;; amdgpu-corpus repo=ROCm/vllm kind=compiled arch=gfx1030 opt=O3
	.amdgcn_target "amdgcn-amd-amdhsa--gfx1030"
	.amdhsa_code_object_version 6
	.section	.text._ZN4vllm25paged_attention_v2_kernelIffLi32ELi8ELi128ELNS_18Fp8KVCacheDataTypeE0ELb1ELi512EEEvPfS2_PT_PKS3_PKT0_S9_ifPKiSB_iPKfiiiSD_SD_iiiii,"axG",@progbits,_ZN4vllm25paged_attention_v2_kernelIffLi32ELi8ELi128ELNS_18Fp8KVCacheDataTypeE0ELb1ELi512EEEvPfS2_PT_PKS3_PKT0_S9_ifPKiSB_iPKfiiiSD_SD_iiiii,comdat
	.protected	_ZN4vllm25paged_attention_v2_kernelIffLi32ELi8ELi128ELNS_18Fp8KVCacheDataTypeE0ELb1ELi512EEEvPfS2_PT_PKS3_PKT0_S9_ifPKiSB_iPKfiiiSD_SD_iiiii ; -- Begin function _ZN4vllm25paged_attention_v2_kernelIffLi32ELi8ELi128ELNS_18Fp8KVCacheDataTypeE0ELb1ELi512EEEvPfS2_PT_PKS3_PKT0_S9_ifPKiSB_iPKfiiiSD_SD_iiiii
	.globl	_ZN4vllm25paged_attention_v2_kernelIffLi32ELi8ELi128ELNS_18Fp8KVCacheDataTypeE0ELb1ELi512EEEvPfS2_PT_PKS3_PKT0_S9_ifPKiSB_iPKfiiiSD_SD_iiiii
	.p2align	8
	.type	_ZN4vllm25paged_attention_v2_kernelIffLi32ELi8ELi128ELNS_18Fp8KVCacheDataTypeE0ELb1ELi512EEEvPfS2_PT_PKS3_PKT0_S9_ifPKiSB_iPKfiiiSD_SD_iiiii,@function
_ZN4vllm25paged_attention_v2_kernelIffLi32ELi8ELi128ELNS_18Fp8KVCacheDataTypeE0ELb1ELi512EEEvPfS2_PT_PKS3_PKT0_S9_ifPKiSB_iPKfiiiSD_SD_iiiii: ; @_ZN4vllm25paged_attention_v2_kernelIffLi32ELi8ELi128ELNS_18Fp8KVCacheDataTypeE0ELb1ELi512EEEvPfS2_PT_PKS3_PKT0_S9_ifPKiSB_iPKfiiiSD_SD_iiiii
; %bb.0:
	s_load_dwordx2 s[0:1], s[4:5], 0x40
	s_mov_b32 s26, s7
	s_ashr_i32 s27, s7, 31
	s_lshl_b64 s[2:3], s[26:27], 2
	s_waitcnt lgkmcnt(0)
	s_add_u32 s0, s0, s2
	s_addc_u32 s1, s1, s3
	s_lshl_b32 s38, s8, 9
	s_load_dword s27, s[0:1], 0x0
	s_waitcnt lgkmcnt(0)
	s_cmp_ge_i32 s38, s27
	s_cbranch_scc1 .LBB0_66
; %bb.1:
	s_clause 0x1
	s_load_dword s9, s[4:5], 0x90
	s_load_dwordx2 s[36:37], s[4:5], 0x30
	s_mov_b32 s40, 0
	s_waitcnt lgkmcnt(0)
	s_abs_i32 s3, s9
	s_abs_i32 s0, s36
	v_cvt_f32_u32_e32 v1, s0
	s_sub_i32 s2, 0, s0
	v_rcp_iflag_f32_e32 v1, v1
	v_mul_f32_e32 v1, 0x4f7ffffe, v1
	v_cvt_u32_f32_e32 v1, v1
	v_readfirstlane_b32 s1, v1
	s_mul_i32 s2, s2, s1
	s_mul_hi_u32 s2, s1, s2
	s_add_i32 s1, s1, s2
	s_xor_b32 s2, s9, s36
	s_mul_hi_u32 s1, s3, s1
	s_ashr_i32 s2, s2, 31
	s_mul_i32 s7, s1, s0
	s_sub_i32 s3, s3, s7
	s_add_i32 s7, s1, 1
	s_sub_i32 s10, s3, s0
	s_cmp_ge_u32 s3, s0
	s_cselect_b32 s1, s7, s1
	s_cselect_b32 s3, s10, s3
	s_add_i32 s7, s1, 1
	s_cmp_ge_u32 s3, s0
	s_cselect_b32 s0, s7, s1
	s_xor_b32 s0, s0, s2
	s_sub_i32 s10, s0, s2
	s_load_dwordx2 s[0:1], s[4:5], 0x50
	s_abs_i32 s2, s10
	v_cvt_f32_u32_e32 v1, s2
	s_sub_i32 s3, 0, s2
	v_rcp_iflag_f32_e32 v1, v1
	v_mul_f32_e32 v1, 0x4f7ffffe, v1
	v_cvt_u32_f32_e32 v1, v1
	v_readfirstlane_b32 s7, v1
	s_mul_i32 s3, s3, s7
	s_mul_hi_u32 s11, s7, s3
	s_abs_i32 s3, s6
	s_add_i32 s7, s7, s11
	s_waitcnt lgkmcnt(0)
	s_cmp_eq_u64 s[0:1], 0
	s_mul_hi_u32 s20, s3, s7
	s_cbranch_scc1 .LBB0_3
; %bb.2:
	s_ashr_i32 s7, s6, 31
	s_lshl_b64 s[12:13], s[6:7], 2
	s_add_u32 s0, s0, s12
	s_addc_u32 s1, s1, s13
	s_load_dword s40, s[0:1], 0x0
.LBB0_3:
	s_load_dwordx4 s[12:15], s[4:5], 0x58
	v_and_b32_e32 v1, 3, v0
	v_cmp_gt_u32_e64 s0, 32, v0
	v_lshlrev_b32_e32 v3, 2, v0
	s_ashr_i32 s1, s6, 31
	s_ashr_i32 s7, s10, 31
	s_lshl_b32 s10, s6, 5
	s_waitcnt lgkmcnt(0)
	s_and_saveexec_b32 s15, s0
	s_cbranch_execz .LBB0_5
; %bb.4:
	s_load_dwordx2 s[16:17], s[4:5], 0x18
	s_mul_i32 s18, s12, s26
	v_and_b32_e32 v4, 0x3fc, v0
	s_ashr_i32 s19, s18, 31
	s_lshl_b64 s[18:19], s[18:19], 2
	v_lshl_add_u32 v4, v1, 5, v4
	s_waitcnt lgkmcnt(0)
	s_add_u32 s12, s16, s18
	s_addc_u32 s18, s17, s19
	s_ashr_i32 s11, s10, 31
	s_lshl_b64 s[16:17], s[10:11], 2
	s_add_u32 s16, s12, s16
	s_addc_u32 s17, s18, s17
	global_load_dword v2, v3, s[16:17]
	s_waitcnt vmcnt(0)
	ds_write_b32 v4, v2
.LBB0_5:
	s_or_b32 exec_lo, exec_lo, s15
	s_load_dwordx4 s[16:19], s[4:5], 0x78
	s_mul_i32 s11, s20, s2
	s_xor_b32 s1, s1, s7
	s_sub_i32 s3, s3, s11
	s_add_i32 s7, s20, 1
	s_sub_i32 s11, s3, s2
	s_cmp_ge_u32 s3, s2
                                        ; implicit-def: $sgpr33
	s_cselect_b32 s7, s7, s20
	s_cselect_b32 s3, s11, s3
	s_add_i32 s11, s7, 1
	s_cmp_ge_u32 s3, s2
	s_mov_b32 s20, -1
	s_cselect_b32 s2, s11, s7
	s_load_dword s7, s[4:5], 0x88
	s_xor_b32 s2, s2, s1
	s_add_i32 s15, s27, -1
	s_sub_i32 s2, s2, s1
	s_abs_i32 s3, s15
	s_waitcnt lgkmcnt(0)
	s_abs_i32 s11, s19
	s_barrier
	v_cvt_f32_u32_e32 v2, s11
	s_sub_i32 s1, 0, s11
	buffer_gl0_inv
	v_rcp_iflag_f32_e32 v2, v2
	v_mul_f32_e32 v2, 0x4f7ffffe, v2
	v_cvt_u32_f32_e32 v2, v2
	v_readfirstlane_b32 s12, v2
	s_mul_i32 s1, s1, s12
	s_mul_hi_u32 s1, s12, s1
	s_add_i32 s12, s12, s1
	s_cmp_lt_i32 s7, 0
	s_mul_hi_u32 s1, s3, s12
	s_cbranch_scc0 .LBB0_7
; %bb.6:
	s_mul_i32 s20, s16, s36
	s_add_i32 s20, s2, s20
	s_mul_i32 s20, s20, s7
	s_sub_i32 s33, 1, s20
	s_mov_b32 s20, 0
.LBB0_7:
	s_load_dwordx2 s[28:29], s[4:5], 0x38
	s_ashr_i32 s15, s15, 31
	s_andn2_b32 vcc_lo, exec_lo, s20
	s_ashr_i32 s19, s19, 31
	s_cbranch_vccnz .LBB0_9
; %bb.8:
	s_mul_i32 s16, s9, s16
	s_add_i32 s16, s16, s6
	s_mul_i32 s7, s16, s7
	s_add_i32 s33, s7, 1
.LBB0_9:
	s_clause 0x4
	s_load_dword s16, s[4:5], 0x48
	s_load_dwordx2 s[34:35], s[4:5], 0x28
	s_load_dword s7, s[4:5], 0x98
	s_load_dwordx4 s[20:23], s[4:5], 0x0
	s_load_dwordx2 s[24:25], s[4:5], 0x10
	s_mul_i32 s30, s1, s11
	s_xor_b32 s15, s15, s19
	s_sub_i32 s3, s3, s30
	s_add_i32 s36, s1, 1
	v_lshrrev_b32_e32 v16, 5, v0
	v_mov_b32_e32 v5, 0xff7fffff
	v_mbcnt_lo_u32_b32 v4, -1, 0
	s_mul_i32 s14, s2, s14
	v_lshl_add_u32 v17, v16, 3, s38
	s_waitcnt lgkmcnt(0)
	s_mul_i32 s30, s16, s26
	s_sub_i32 s16, s3, s11
	s_ashr_i32 s31, s30, 31
	s_cmp_ge_u32 s3, s11
	s_cselect_b32 s1, s36, s1
	s_cselect_b32 s3, s16, s3
	s_add_i32 s16, s1, 1
	s_cmp_ge_u32 s3, s11
	s_cselect_b32 s1, s16, s1
	s_add_i32 s3, s27, 7
	s_lshl_b32 s41, s8, 6
	s_ashr_i32 s16, s3, 31
	v_or_b32_e32 v13, s41, v16
	s_lshr_b32 s16, s16, 29
	s_add_i32 s3, s3, s16
	s_add_i32 s16, s41, 64
	s_ashr_i32 s36, s3, 3
	s_xor_b32 s3, s1, s15
	s_min_i32 s16, s16, s36
	v_ashrrev_i32_e32 v14, 31, v13
	v_cmp_gt_i32_e64 s1, s16, v13
	s_sub_i32 s39, s3, s15
	s_and_saveexec_b32 s42, s1
	s_cbranch_execz .LBB0_21
; %bb.10:
	s_load_dwordx2 s[2:3], s[4:5], 0x20
	s_ashr_i32 s15, s14, 31
	s_sub_i32 s5, s39, s17
	s_lshl_b64 s[44:45], s[14:15], 2
	v_bfe_u32 v6, v0, 2, 3
	v_cmp_eq_u32_e32 vcc_lo, 0, v1
	v_lshlrev_b32_e32 v18, 2, v1
	v_lshlrev_b32_e32 v7, 5, v1
	v_lshl_add_u32 v8, v16, 3, s38
	v_lshlrev_b32_e32 v12, 2, v6
	v_subrev_nc_u32_e32 v19, s27, v6
	v_lshlrev_b32_e32 v22, 4, v6
	v_mov_b32_e32 v9, 0xff7fffff
	v_xor_b32_e32 v10, 2, v4
	v_lshl_or_b32 v20, v16, 5, v12
	v_add_nc_u32_e32 v12, 1, v19
	v_xor_b32_e32 v11, 1, v4
	s_waitcnt lgkmcnt(0)
	s_add_u32 s4, s2, s44
	s_addc_u32 s3, s3, s45
	s_abs_i32 s15, s18
	s_lshl_b64 s[44:45], s[30:31], 2
	v_cvt_f32_u32_e32 v2, s15
	s_sub_i32 s43, 0, s15
	v_cmp_neq_f32_e64 s2, s40, 0
	v_rcp_iflag_f32_e32 v5, v2
	v_lshlrev_b64 v[1:2], 2, v[13:14]
	v_mul_f32_e32 v15, 0x4f7ffffe, v5
	v_mov_b32_e32 v5, 0xff7fffff
	v_cvt_u32_f32_e32 v21, v15
	v_add_nc_u32_e32 v15, 0xa0, v20
	v_add_co_u32 v20, s4, s4, v22
	v_add_co_ci_u32_e64 v22, null, s3, 0, s4
	v_mul_lo_u32 v19, s43, v21
	s_add_u32 s3, s28, s44
	s_addc_u32 s4, s29, s45
	v_add_co_u32 v1, s3, s3, v1
	v_add_co_ci_u32_e64 v2, null, s4, v2, s3
	v_add_co_u32 v18, s3, v20, v18
	v_mul_hi_u32 v23, v21, v19
	v_add_co_ci_u32_e64 v19, null, 0, v22, s3
	s_mov_b32 s43, 0
	s_mov_b32 s44, s13
	v_add_nc_u32_e32 v20, v21, v23
	v_mov_b32_e32 v21, v13
	s_branch .LBB0_13
.LBB0_11:                               ;   in Loop: Header=BB0_13 Depth=1
	s_or_b32 exec_lo, exec_lo, s45
.LBB0_12:                               ;   in Loop: Header=BB0_13 Depth=1
	s_or_b32 exec_lo, exec_lo, s4
	v_add_nc_u32_e32 v21, 4, v21
	v_add_co_u32 v1, s4, v1, 16
	v_add_co_ci_u32_e64 v2, null, 0, v2, s4
	v_cmp_le_i32_e64 s3, s16, v21
	v_add_nc_u32_e32 v8, 32, v8
	v_add_nc_u32_e32 v15, 0x80, v15
	s_or_b32 s43, s3, s43
	s_andn2_b32 exec_lo, exec_lo, s43
	s_cbranch_execz .LBB0_20
.LBB0_13:                               ; =>This Inner Loop Header: Depth=1
	v_sub_nc_u32_e32 v22, 0, v8
	v_max_i32_e32 v22, v8, v22
	s_waitcnt lgkmcnt(0)
	v_mul_hi_u32 v23, v22, s12
	v_mul_lo_u32 v24, v23, s11
	v_sub_nc_u32_e32 v22, v22, v24
	v_add_nc_u32_e32 v24, 1, v23
	v_subrev_nc_u32_e32 v25, s11, v22
	v_cmp_le_u32_e64 s3, s11, v22
	v_cndmask_b32_e64 v23, v23, v24, s3
	v_cndmask_b32_e64 v22, v22, v25, s3
	v_ashrrev_i32_e32 v24, 31, v8
	v_add_nc_u32_e32 v25, 1, v23
	v_cmp_le_u32_e64 s3, s11, v22
	v_xor_b32_e32 v24, s19, v24
	v_cndmask_b32_e64 v22, v23, v25, s3
	v_xor_b32_e32 v22, v22, v24
	v_sub_nc_u32_e32 v22, v22, v24
	v_add_nc_u32_e32 v23, s33, v22
	v_cmp_ge_i32_e64 s4, s5, v22
	v_sub_nc_u32_e32 v24, 0, v23
	v_max_i32_e32 v24, v23, v24
	v_ashrrev_i32_e32 v23, 31, v23
	v_mul_hi_u32 v25, v24, v20
	v_mul_lo_u32 v25, v25, s15
	v_sub_nc_u32_e32 v24, v24, v25
	v_subrev_nc_u32_e32 v25, s15, v24
	v_cmp_le_u32_e64 s3, s15, v24
	v_cndmask_b32_e64 v24, v24, v25, s3
	v_subrev_nc_u32_e32 v25, s15, v24
	v_cmp_le_u32_e64 s3, s15, v24
	v_cndmask_b32_e64 v24, v24, v25, s3
	v_xor_b32_e32 v24, v24, v23
	v_sub_nc_u32_e32 v23, v24, v23
	v_cmp_ne_u32_e64 s3, 0, v23
	s_and_b32 s3, s3, s4
	s_and_saveexec_b32 s4, s3
	s_xor_b32 s3, exec_lo, s4
	s_cbranch_execz .LBB0_17
; %bb.14:                               ;   in Loop: Header=BB0_13 Depth=1
	s_and_saveexec_b32 s4, vcc_lo
; %bb.15:                               ;   in Loop: Header=BB0_13 Depth=1
	ds_write_b32 v15, v9
; %bb.16:                               ;   in Loop: Header=BB0_13 Depth=1
	s_or_b32 exec_lo, exec_lo, s4
.LBB0_17:                               ;   in Loop: Header=BB0_13 Depth=1
	s_andn2_saveexec_b32 s4, s3
	s_cbranch_execz .LBB0_12
; %bb.18:                               ;   in Loop: Header=BB0_13 Depth=1
	global_load_dword v22, v[1:2], off
	s_waitcnt vmcnt(0)
	v_mad_i64_i32 v[22:23], null, v22, s44, 0
	v_lshlrev_b64 v[22:23], 2, v[22:23]
	v_add_co_u32 v22, s3, v18, v22
	v_add_co_ci_u32_e64 v23, null, v19, v23, s3
	v_cmp_gt_i32_e64 s3, 32, v10
	s_clause 0x7
	global_load_dword v30, v[22:23], off offset:128
	global_load_dword v31, v[22:23], off
	global_load_dword v32, v[22:23], off offset:256
	global_load_dword v33, v[22:23], off offset:384
	;; [unrolled: 1-line block ×6, first 2 shown]
	ds_read_b128 v[22:25], v7
	ds_read_b128 v[26:29], v7 offset:16
	s_waitcnt vmcnt(7) lgkmcnt(1)
	v_mul_f32_e32 v23, v23, v30
	s_waitcnt vmcnt(6)
	v_fmac_f32_e32 v23, v22, v31
	v_cndmask_b32_e64 v22, v4, v10, s3
	v_cmp_gt_i32_e64 s3, 32, v11
	s_waitcnt vmcnt(5)
	v_fmac_f32_e32 v23, v24, v32
	v_lshlrev_b32_e32 v22, 2, v22
	v_cndmask_b32_e64 v24, v4, v11, s3
	s_waitcnt vmcnt(4)
	v_fmac_f32_e32 v23, v25, v33
	v_lshlrev_b32_e32 v24, 2, v24
	s_waitcnt vmcnt(3) lgkmcnt(0)
	v_fmac_f32_e32 v23, v26, v34
	s_waitcnt vmcnt(2)
	v_fmac_f32_e32 v23, v27, v35
	s_waitcnt vmcnt(1)
	;; [unrolled: 2-line block ×3, first 2 shown]
	v_fmac_f32_e32 v23, v29, v37
	ds_bpermute_b32 v22, v22, v23
	s_waitcnt lgkmcnt(0)
	v_add_f32_e32 v22, v23, v22
	ds_bpermute_b32 v23, v24, v22
	s_and_saveexec_b32 s45, vcc_lo
	s_cbranch_execz .LBB0_11
; %bb.19:                               ;   in Loop: Header=BB0_13 Depth=1
	v_add_nc_u32_e32 v24, v12, v8
	s_waitcnt lgkmcnt(0)
	v_add_f32_e32 v22, v22, v23
	v_cvt_f32_i32_e32 v24, v24
	v_mul_f32_e32 v24, s40, v24
	v_cndmask_b32_e64 v23, 0, v24, s2
	v_max_f32_e32 v24, v5, v5
	v_fmac_f32_e32 v23, s37, v22
	v_add_nc_u32_e32 v22, v6, v8
	v_max_f32_e32 v24, v24, v23
	v_cmp_gt_i32_e64 s3, s27, v22
	v_cndmask_b32_e64 v22, 0, v23, s3
	v_cndmask_b32_e64 v5, v5, v24, s3
	ds_write_b32 v15, v22
	s_branch .LBB0_11
.LBB0_20:
	s_or_b32 exec_lo, exec_lo, s43
.LBB0_21:
	s_or_b32 exec_lo, exec_lo, s42
	v_xor_b32_e32 v1, 16, v4
	v_xor_b32_e32 v6, 8, v4
	v_max_f32_e32 v7, v5, v5
	v_and_b32_e32 v18, 31, v0
	v_cmp_gt_i32_e32 vcc_lo, 32, v1
	v_cndmask_b32_e32 v1, v4, v1, vcc_lo
	v_cmp_gt_i32_e32 vcc_lo, 32, v6
	v_lshlrev_b32_e32 v2, 2, v1
	ds_bpermute_b32 v1, v2, v5
	v_cndmask_b32_e32 v5, v4, v6, vcc_lo
	v_lshlrev_b32_e32 v5, 2, v5
	s_waitcnt lgkmcnt(0)
	v_max_f32_e32 v1, v1, v1
	v_max_f32_e32 v1, v7, v1
	v_xor_b32_e32 v7, 4, v4
	ds_bpermute_b32 v6, v5, v1
	v_cmp_gt_i32_e32 vcc_lo, 32, v7
	v_cndmask_b32_e32 v7, v4, v7, vcc_lo
	v_cmp_eq_u32_e32 vcc_lo, 0, v18
	v_lshlrev_b32_e32 v8, 2, v7
	s_waitcnt lgkmcnt(0)
	v_max_f32_e32 v6, v6, v6
	v_max_f32_e32 v1, v1, v6
	v_lshlrev_b32_e32 v6, 2, v16
	ds_bpermute_b32 v7, v8, v1
	s_and_saveexec_b32 s2, vcc_lo
	s_cbranch_execz .LBB0_23
; %bb.22:
	s_waitcnt lgkmcnt(0)
	v_max_f32_e32 v7, v7, v7
	v_max_f32_e32 v1, v1, v1
	v_max_f32_e32 v1, v1, v7
	ds_write_b32 v6, v1 offset:128
.LBB0_23:
	s_or_b32 exec_lo, exec_lo, s2
	v_cmp_gt_u32_e64 s2, 4, v18
	v_mov_b32_e32 v1, 0xff7fffff
	s_waitcnt lgkmcnt(0)
	v_lshlrev_b32_e32 v7, 2, v18
	s_barrier
	buffer_gl0_inv
	s_and_saveexec_b32 s3, s2
; %bb.24:
	ds_read_b32 v1, v7 offset:128
; %bb.25:
	s_or_b32 exec_lo, exec_lo, s3
	v_xor_b32_e32 v9, 2, v4
	v_xor_b32_e32 v11, 1, v4
	v_cmp_gt_i32_e64 s3, 32, v9
	v_cndmask_b32_e64 v9, v4, v9, s3
	v_cmp_gt_i32_e64 s3, 32, v11
	v_lshlrev_b32_e32 v9, 2, v9
	v_cndmask_b32_e64 v4, v4, v11, s3
	s_sub_i32 s3, s16, s41
	s_lshl_b32 s3, s3, 3
	s_waitcnt lgkmcnt(0)
	ds_bpermute_b32 v10, v9, v1
	v_max_f32_e32 v1, v1, v1
	v_lshlrev_b32_e32 v19, 2, v4
	s_add_i32 s3, s3, s38
	s_min_i32 s3, s3, s27
	s_sub_i32 s5, s3, s38
	v_cmp_gt_i32_e64 s3, s5, v0
	s_waitcnt lgkmcnt(0)
	v_max_f32_e32 v10, v10, v10
	v_max_f32_e32 v1, v1, v10
	v_mov_b32_e32 v10, 0
	ds_bpermute_b32 v4, v19, v1
	s_waitcnt lgkmcnt(0)
	v_max_f32_e32 v4, v4, v4
	v_max_f32_e32 v1, v1, v4
	v_lshl_add_u32 v4, v0, 2, 0xa0
	ds_bpermute_b32 v1, v10, v1
	s_and_saveexec_b32 s15, s3
	s_cbranch_execz .LBB0_29
; %bb.26:
	v_lshl_add_u32 v11, v0, 2, 0xa0
	v_mov_b32_e32 v10, 0
	v_mov_b32_e32 v12, v0
	s_mov_b32 s37, 0
	.p2align	6
.LBB0_27:                               ; =>This Inner Loop Header: Depth=1
	ds_read_b32 v15, v11
	v_add_nc_u32_e32 v12, 0x80, v12
	v_cmp_le_i32_e64 s4, s5, v12
	s_or_b32 s37, s4, s37
	s_waitcnt lgkmcnt(0)
	v_sub_f32_e32 v15, v15, v1
	v_mul_f32_e32 v15, 0x3fb8aa3b, v15
	v_exp_f32_e32 v15, v15
	ds_write_b32 v11, v15
	v_add_f32_e32 v10, v10, v15
	v_add_nc_u32_e32 v11, 0x200, v11
	s_andn2_b32 exec_lo, exec_lo, s37
	s_cbranch_execnz .LBB0_27
; %bb.28:
	s_or_b32 exec_lo, exec_lo, s37
.LBB0_29:
	s_or_b32 exec_lo, exec_lo, s15
	ds_bpermute_b32 v2, v2, v10
	s_waitcnt lgkmcnt(0)
	v_add_f32_e32 v2, v10, v2
	ds_bpermute_b32 v5, v5, v2
	s_waitcnt lgkmcnt(0)
	v_add_f32_e32 v2, v2, v5
	;; [unrolled: 3-line block ×5, first 2 shown]
	s_and_saveexec_b32 s4, vcc_lo
; %bb.30:
	ds_write_b32 v6, v2 offset:144
; %bb.31:
	s_or_b32 exec_lo, exec_lo, s4
	s_waitcnt lgkmcnt(0)
	s_barrier
	buffer_gl0_inv
	s_and_saveexec_b32 s4, s2
; %bb.32:
	ds_read_b32 v2, v7 offset:144
; %bb.33:
	s_or_b32 exec_lo, exec_lo, s4
	s_waitcnt lgkmcnt(0)
	ds_bpermute_b32 v5, v9, v2
	s_waitcnt lgkmcnt(0)
	v_add_f32_e32 v2, v2, v5
	ds_bpermute_b32 v5, v19, v2
	s_waitcnt lgkmcnt(0)
	v_add_f32_e32 v2, v2, v5
	v_mov_b32_e32 v5, 0
	ds_bpermute_b32 v2, v5, v2
	s_and_saveexec_b32 s2, s3
	s_cbranch_execz .LBB0_36
; %bb.34:
	s_waitcnt lgkmcnt(0)
	v_add_f32_e32 v5, 0x358637bd, v2
	s_mov_b32 s3, 0
	v_div_scale_f32 v6, null, v5, v5, 1.0
	v_div_scale_f32 v9, vcc_lo, 1.0, v5, 1.0
	v_rcp_f32_e32 v7, v6
	v_fma_f32 v8, -v6, v7, 1.0
	v_fmac_f32_e32 v7, v8, v7
	v_mul_f32_e32 v8, v9, v7
	v_fma_f32 v10, -v6, v8, v9
	v_fmac_f32_e32 v8, v10, v7
	v_fma_f32 v6, -v6, v8, v9
	v_div_fmas_f32 v6, v6, v7, v8
	v_div_fixup_f32 v5, v6, v5, 1.0
	v_mov_b32_e32 v6, v0
.LBB0_35:                               ; =>This Inner Loop Header: Depth=1
	ds_read_b32 v7, v4
	v_add_nc_u32_e32 v6, 0x80, v6
	v_cmp_le_i32_e32 vcc_lo, s5, v6
	s_or_b32 s3, vcc_lo, s3
	s_waitcnt lgkmcnt(0)
	v_mul_f32_e32 v7, v5, v7
	ds_write_b32 v4, v7
	v_add_nc_u32_e32 v4, 0x200, v4
	s_andn2_b32 exec_lo, exec_lo, s3
	s_cbranch_execnz .LBB0_35
.LBB0_36:
	s_or_b32 exec_lo, exec_lo, s2
	s_mul_i32 s2, s7, s26
	s_mov_b32 s4, exec_lo
	s_mul_i32 s2, s2, s9
	s_waitcnt lgkmcnt(0)
	s_barrier
	buffer_gl0_inv
	v_cmpx_eq_u32_e32 0, v0
	s_cbranch_execz .LBB0_38
; %bb.37:
	s_ashr_i32 s3, s2, 31
	s_mul_i32 s42, s7, s6
	s_lshl_b64 s[40:41], s[2:3], 2
	v_mov_b32_e32 v4, 0
	s_add_u32 s3, s22, s40
	s_addc_u32 s5, s23, s41
	s_ashr_i32 s43, s42, 31
	s_lshl_b64 s[22:23], s[42:43], 2
	s_add_u32 s3, s3, s22
	s_addc_u32 s5, s5, s23
	s_ashr_i32 s9, s8, 31
	s_lshl_b64 s[42:43], s[8:9], 2
	s_add_u32 s44, s3, s42
	s_addc_u32 s45, s5, s43
	s_add_u32 s3, s20, s40
	s_addc_u32 s5, s21, s41
	;; [unrolled: 2-line block ×4, first 2 shown]
	global_store_dword v4, v1, s[44:45]
	global_store_dword v4, v2, s[20:21]
.LBB0_38:
	s_or_b32 exec_lo, exec_lo, s4
	v_mov_b32_e32 v23, 0
	v_and_b32_e32 v20, 1, v0
	v_mov_b32_e32 v21, 0
	s_and_saveexec_b32 s3, s1
	s_cbranch_execz .LBB0_48
; %bb.39:
	s_ashr_i32 s15, s14, 31
	s_sub_i32 s4, s39, s17
	s_lshl_b64 s[14:15], s[14:15], 2
	v_and_b32_e32 v22, 4, v3
	s_add_u32 s1, s34, s14
	s_addc_u32 s6, s35, s15
	s_abs_i32 s5, s18
	v_lshlrev_b32_e32 v4, 4, v0
	v_cvt_f32_u32_e32 v1, s5
	s_sub_i32 s9, 0, s5
	v_lshlrev_b32_e32 v5, 4, v20
	s_lshl_b64 s[14:15], s[30:31], 2
	v_and_b32_e32 v4, 0x1f0, v4
	v_rcp_iflag_f32_e32 v1, v1
	s_add_i32 s36, s36, -1
	v_lshl_or_b32 v5, v16, 5, v5
	v_mov_b32_e32 v21, 0
	v_add_co_u32 v24, s1, s1, v4
	v_add_co_ci_u32_e64 v25, null, s6, 0, s1
	v_add_nc_u32_e32 v26, 0xa0, v5
	v_mov_b32_e32 v23, 0
	v_mul_f32_e32 v1, 0x4f7ffffe, v1
	s_mov_b32 s6, 0
	v_cvt_u32_f32_e32 v3, v1
	v_lshlrev_b64 v[1:2], 2, v[13:14]
	v_mul_lo_u32 v6, s9, v3
	s_add_u32 s9, s28, s14
	s_addc_u32 s14, s29, s15
	v_add_co_u32 v14, vcc_lo, s9, v1
	v_add_co_ci_u32_e64 v15, null, s14, v2, vcc_lo
	s_mov_b32 s9, s13
	v_mul_hi_u32 v6, v3, v6
	v_add_nc_u32_e32 v27, v3, v6
	s_branch .LBB0_42
.LBB0_40:                               ;   in Loop: Header=BB0_42 Depth=1
	s_or_b32 exec_lo, exec_lo, s1
	s_waitcnt vmcnt(1) lgkmcnt(0)
	v_mul_f32_e32 v5, v1, v5
	s_waitcnt vmcnt(0)
	v_mul_f32_e32 v1, v1, v9
	v_fmac_f32_e32 v5, v2, v6
	v_fmac_f32_e32 v1, v2, v10
	;; [unrolled: 1-line block ×6, first 2 shown]
	v_add_f32_e32 v23, v23, v5
	v_add_f32_e32 v21, v21, v1
.LBB0_41:                               ;   in Loop: Header=BB0_42 Depth=1
	s_or_b32 exec_lo, exec_lo, s13
	v_add_nc_u32_e32 v13, 4, v13
	v_add_co_u32 v14, s1, v14, 16
	v_add_co_ci_u32_e64 v15, null, 0, v15, s1
	v_cmp_le_i32_e32 vcc_lo, s16, v13
	v_add_nc_u32_e32 v17, 32, v17
	v_add_nc_u32_e32 v26, 0x80, v26
	s_or_b32 s6, vcc_lo, s6
	s_andn2_b32 exec_lo, exec_lo, s6
	s_cbranch_execz .LBB0_47
.LBB0_42:                               ; =>This Inner Loop Header: Depth=1
	v_sub_nc_u32_e32 v1, 0, v17
	v_max_i32_e32 v1, v17, v1
	v_mul_hi_u32 v2, v1, s12
	v_mul_lo_u32 v3, v2, s11
	v_sub_nc_u32_e32 v1, v1, v3
	v_add_nc_u32_e32 v3, 1, v2
	v_subrev_nc_u32_e32 v4, s11, v1
	v_cmp_le_u32_e32 vcc_lo, s11, v1
	v_cndmask_b32_e32 v2, v2, v3, vcc_lo
	v_cndmask_b32_e32 v1, v1, v4, vcc_lo
	v_ashrrev_i32_e32 v3, 31, v17
	v_add_nc_u32_e32 v4, 1, v2
	v_cmp_le_u32_e32 vcc_lo, s11, v1
	v_xor_b32_e32 v3, s19, v3
	v_cndmask_b32_e32 v1, v2, v4, vcc_lo
	v_xor_b32_e32 v1, v1, v3
	v_sub_nc_u32_e32 v1, v1, v3
	v_add_nc_u32_e32 v2, s33, v1
	v_cmp_lt_i32_e64 s1, s4, v1
	v_sub_nc_u32_e32 v3, 0, v2
	v_max_i32_e32 v3, v2, v3
	v_ashrrev_i32_e32 v2, 31, v2
	v_mul_hi_u32 v4, v3, v27
	v_mul_lo_u32 v4, v4, s5
	v_sub_nc_u32_e32 v3, v3, v4
	v_subrev_nc_u32_e32 v4, s5, v3
	v_cmp_le_u32_e32 vcc_lo, s5, v3
	v_cndmask_b32_e32 v3, v3, v4, vcc_lo
	v_subrev_nc_u32_e32 v4, s5, v3
	v_cmp_le_u32_e32 vcc_lo, s5, v3
	v_cndmask_b32_e32 v3, v3, v4, vcc_lo
	v_xor_b32_e32 v3, v3, v2
	v_sub_nc_u32_e32 v2, v3, v2
	v_cmp_eq_u32_e32 vcc_lo, 0, v2
	s_or_b32 s1, vcc_lo, s1
	s_and_saveexec_b32 s13, s1
	s_cbranch_execz .LBB0_41
; %bb.43:                               ;   in Loop: Header=BB0_42 Depth=1
	global_load_dword v1, v[14:15], off
	v_add_nc_u32_e32 v28, v22, v17
	v_add_nc_u32_e32 v31, 1, v28
	;; [unrolled: 1-line block ×4, first 2 shown]
	s_waitcnt vmcnt(0)
	v_mad_i64_i32 v[1:2], null, v1, s9, 0
	v_lshlrev_b64 v[1:2], 2, v[1:2]
	v_add_co_u32 v9, vcc_lo, v24, v1
	v_add_co_ci_u32_e64 v10, null, v25, v2, vcc_lo
	ds_read_b128 v[1:4], v26
	v_cmp_eq_u32_e32 vcc_lo, s36, v13
	global_load_dwordx4 v[5:8], v[9:10], off
	s_and_saveexec_b32 s14, vcc_lo
	s_cbranch_execz .LBB0_45
; %bb.44:                               ;   in Loop: Header=BB0_42 Depth=1
	v_cmp_gt_i32_e64 s1, s27, v28
	s_waitcnt vmcnt(0)
	v_cndmask_b32_e64 v5, 0, v5, s1
	v_cmp_gt_i32_e64 s1, s27, v31
	v_cndmask_b32_e64 v6, 0, v6, s1
	v_cmp_gt_i32_e64 s1, s27, v30
	;; [unrolled: 2-line block ×3, first 2 shown]
	v_cndmask_b32_e64 v8, 0, v8, s1
.LBB0_45:                               ;   in Loop: Header=BB0_42 Depth=1
	s_or_b32 exec_lo, exec_lo, s14
	global_load_dwordx4 v[9:12], v[9:10], off offset:512
	s_and_saveexec_b32 s1, vcc_lo
	s_cbranch_execz .LBB0_40
; %bb.46:                               ;   in Loop: Header=BB0_42 Depth=1
	v_cmp_gt_i32_e32 vcc_lo, s27, v28
	s_waitcnt vmcnt(0)
	v_cndmask_b32_e32 v9, 0, v9, vcc_lo
	v_cmp_gt_i32_e32 vcc_lo, s27, v31
	v_cndmask_b32_e32 v10, 0, v10, vcc_lo
	v_cmp_gt_i32_e32 vcc_lo, s27, v30
	;; [unrolled: 2-line block ×3, first 2 shown]
	v_cndmask_b32_e32 v12, 0, v12, vcc_lo
	s_branch .LBB0_40
.LBB0_47:
	s_or_b32 exec_lo, exec_lo, s6
.LBB0_48:
	s_or_b32 exec_lo, exec_lo, s3
	ds_bpermute_b32 v1, v19, v23
	ds_bpermute_b32 v2, v19, v21
	v_lshrrev_b32_e32 v3, 1, v18
	v_and_b32_e32 v5, 0x3c1, v0
	s_mov_b32 s1, exec_lo
	s_waitcnt lgkmcnt(0)
	s_waitcnt_vscnt null, 0x0
	s_barrier
	v_lshl_add_u32 v4, v3, 2, 0xa0
	buffer_gl0_inv
	v_add_f32_e32 v1, v23, v1
	v_add_f32_e32 v2, v21, v2
	v_cmpx_eq_u32_e32 64, v5
	s_cbranch_execz .LBB0_50
; %bb.49:
	v_lshl_add_u32 v5, v16, 7, v4
	v_add_nc_u32_e32 v6, 0xffffff00, v5
	v_add_nc_u32_e32 v5, 0xffffff40, v5
	ds_write_b32 v6, v1
	ds_write_b32 v5, v2
.LBB0_50:
	s_or_b32 exec_lo, exec_lo, s1
	v_and_b32_e32 v5, 0x3e0, v0
	v_lshlrev_b32_e32 v3, 2, v3
	s_mov_b32 s3, exec_lo
	v_cmp_eq_u32_e32 vcc_lo, 0, v20
	s_waitcnt lgkmcnt(0)
	v_lshlrev_b32_e32 v5, 2, v5
	s_barrier
	buffer_gl0_inv
	v_add3_u32 v3, 0xa0, v5, v3
	v_cmpx_gt_u32_e32 64, v0
	s_cbranch_execz .LBB0_56
; %bb.51:
	s_and_saveexec_b32 s1, vcc_lo
	s_cbranch_execz .LBB0_53
; %bb.52:
	ds_read_b32 v5, v3
	s_waitcnt lgkmcnt(0)
	v_add_f32_e32 v1, v1, v5
.LBB0_53:
	s_or_b32 exec_lo, exec_lo, s1
	s_and_saveexec_b32 s1, vcc_lo
	s_cbranch_execz .LBB0_55
; %bb.54:
	ds_read_b32 v5, v3 offset:64
	s_waitcnt lgkmcnt(0)
	v_add_f32_e32 v2, v2, v5
.LBB0_55:
	s_or_b32 exec_lo, exec_lo, s1
.LBB0_56:
	s_or_b32 exec_lo, exec_lo, s3
	v_and_b32_e32 v5, 0x3e1, v0
	s_mov_b32 s3, exec_lo
	s_barrier
	buffer_gl0_inv
	v_cmpx_eq_u32_e32 32, v5
; %bb.57:
	ds_write2_b32 v4, v1, v2 offset1:16
; %bb.58:
	s_or_b32 exec_lo, exec_lo, s3
	s_waitcnt lgkmcnt(0)
	s_barrier
	buffer_gl0_inv
	s_and_saveexec_b32 s1, s0
	s_cbranch_execz .LBB0_64
; %bb.59:
	s_and_saveexec_b32 s0, vcc_lo
	s_cbranch_execz .LBB0_61
; %bb.60:
	ds_read_b32 v4, v3
	s_waitcnt lgkmcnt(0)
	v_add_f32_e32 v1, v1, v4
.LBB0_61:
	s_or_b32 exec_lo, exec_lo, s0
	s_and_saveexec_b32 s0, vcc_lo
	s_cbranch_execz .LBB0_63
; %bb.62:
	ds_read_b32 v3, v3 offset:64
	s_waitcnt lgkmcnt(0)
	v_add_f32_e32 v2, v2, v3
.LBB0_63:
	s_or_b32 exec_lo, exec_lo, s0
.LBB0_64:
	s_or_b32 exec_lo, exec_lo, s1
	s_barrier
	buffer_gl0_inv
	s_mov_b32 s0, exec_lo
	v_cmpx_eq_u32_e32 0, v5
	s_cbranch_execz .LBB0_66
; %bb.65:
	s_lshl_b32 s0, s2, 5
	s_mul_i32 s2, s7, s10
	s_ashr_i32 s1, s0, 31
	v_lshlrev_b32_e32 v0, 1, v0
	s_lshl_b64 s[0:1], s[0:1], 2
	s_add_u32 s4, s24, s0
	s_addc_u32 s5, s25, s1
	s_ashr_i32 s3, s2, 31
	s_lshl_b64 s[0:1], s[2:3], 2
	s_add_u32 s2, s4, s0
	s_addc_u32 s3, s5, s1
	s_lshl_b32 s0, s8, 5
	s_ashr_i32 s1, s0, 31
	s_lshl_b64 s[0:1], s[0:1], 2
	s_add_u32 s0, s2, s0
	s_addc_u32 s1, s3, s1
	global_store_dword v0, v1, s[0:1]
	global_store_dword v0, v2, s[0:1] offset:64
.LBB0_66:
	s_endpgm
	.section	.rodata,"a",@progbits
	.p2align	6, 0x0
	.amdhsa_kernel _ZN4vllm25paged_attention_v2_kernelIffLi32ELi8ELi128ELNS_18Fp8KVCacheDataTypeE0ELb1ELi512EEEvPfS2_PT_PKS3_PKT0_S9_ifPKiSB_iPKfiiiSD_SD_iiiii
		.amdhsa_group_segment_fixed_size 160
		.amdhsa_private_segment_fixed_size 0
		.amdhsa_kernarg_size 400
		.amdhsa_user_sgpr_count 6
		.amdhsa_user_sgpr_private_segment_buffer 1
		.amdhsa_user_sgpr_dispatch_ptr 0
		.amdhsa_user_sgpr_queue_ptr 0
		.amdhsa_user_sgpr_kernarg_segment_ptr 1
		.amdhsa_user_sgpr_dispatch_id 0
		.amdhsa_user_sgpr_flat_scratch_init 0
		.amdhsa_user_sgpr_private_segment_size 0
		.amdhsa_wavefront_size32 1
		.amdhsa_uses_dynamic_stack 0
		.amdhsa_system_sgpr_private_segment_wavefront_offset 0
		.amdhsa_system_sgpr_workgroup_id_x 1
		.amdhsa_system_sgpr_workgroup_id_y 1
		.amdhsa_system_sgpr_workgroup_id_z 1
		.amdhsa_system_sgpr_workgroup_info 0
		.amdhsa_system_vgpr_workitem_id 0
		.amdhsa_next_free_vgpr 38
		.amdhsa_next_free_sgpr 46
		.amdhsa_reserve_vcc 1
		.amdhsa_reserve_flat_scratch 0
		.amdhsa_float_round_mode_32 0
		.amdhsa_float_round_mode_16_64 0
		.amdhsa_float_denorm_mode_32 3
		.amdhsa_float_denorm_mode_16_64 3
		.amdhsa_dx10_clamp 1
		.amdhsa_ieee_mode 1
		.amdhsa_fp16_overflow 0
		.amdhsa_workgroup_processor_mode 1
		.amdhsa_memory_ordered 1
		.amdhsa_forward_progress 1
		.amdhsa_shared_vgpr_count 0
		.amdhsa_exception_fp_ieee_invalid_op 0
		.amdhsa_exception_fp_denorm_src 0
		.amdhsa_exception_fp_ieee_div_zero 0
		.amdhsa_exception_fp_ieee_overflow 0
		.amdhsa_exception_fp_ieee_underflow 0
		.amdhsa_exception_fp_ieee_inexact 0
		.amdhsa_exception_int_div_zero 0
	.end_amdhsa_kernel
	.section	.text._ZN4vllm25paged_attention_v2_kernelIffLi32ELi8ELi128ELNS_18Fp8KVCacheDataTypeE0ELb1ELi512EEEvPfS2_PT_PKS3_PKT0_S9_ifPKiSB_iPKfiiiSD_SD_iiiii,"axG",@progbits,_ZN4vllm25paged_attention_v2_kernelIffLi32ELi8ELi128ELNS_18Fp8KVCacheDataTypeE0ELb1ELi512EEEvPfS2_PT_PKS3_PKT0_S9_ifPKiSB_iPKfiiiSD_SD_iiiii,comdat
.Lfunc_end0:
	.size	_ZN4vllm25paged_attention_v2_kernelIffLi32ELi8ELi128ELNS_18Fp8KVCacheDataTypeE0ELb1ELi512EEEvPfS2_PT_PKS3_PKT0_S9_ifPKiSB_iPKfiiiSD_SD_iiiii, .Lfunc_end0-_ZN4vllm25paged_attention_v2_kernelIffLi32ELi8ELi128ELNS_18Fp8KVCacheDataTypeE0ELb1ELi512EEEvPfS2_PT_PKS3_PKT0_S9_ifPKiSB_iPKfiiiSD_SD_iiiii
                                        ; -- End function
	.set _ZN4vllm25paged_attention_v2_kernelIffLi32ELi8ELi128ELNS_18Fp8KVCacheDataTypeE0ELb1ELi512EEEvPfS2_PT_PKS3_PKT0_S9_ifPKiSB_iPKfiiiSD_SD_iiiii.num_vgpr, 38
	.set _ZN4vllm25paged_attention_v2_kernelIffLi32ELi8ELi128ELNS_18Fp8KVCacheDataTypeE0ELb1ELi512EEEvPfS2_PT_PKS3_PKT0_S9_ifPKiSB_iPKfiiiSD_SD_iiiii.num_agpr, 0
	.set _ZN4vllm25paged_attention_v2_kernelIffLi32ELi8ELi128ELNS_18Fp8KVCacheDataTypeE0ELb1ELi512EEEvPfS2_PT_PKS3_PKT0_S9_ifPKiSB_iPKfiiiSD_SD_iiiii.numbered_sgpr, 46
	.set _ZN4vllm25paged_attention_v2_kernelIffLi32ELi8ELi128ELNS_18Fp8KVCacheDataTypeE0ELb1ELi512EEEvPfS2_PT_PKS3_PKT0_S9_ifPKiSB_iPKfiiiSD_SD_iiiii.num_named_barrier, 0
	.set _ZN4vllm25paged_attention_v2_kernelIffLi32ELi8ELi128ELNS_18Fp8KVCacheDataTypeE0ELb1ELi512EEEvPfS2_PT_PKS3_PKT0_S9_ifPKiSB_iPKfiiiSD_SD_iiiii.private_seg_size, 0
	.set _ZN4vllm25paged_attention_v2_kernelIffLi32ELi8ELi128ELNS_18Fp8KVCacheDataTypeE0ELb1ELi512EEEvPfS2_PT_PKS3_PKT0_S9_ifPKiSB_iPKfiiiSD_SD_iiiii.uses_vcc, 1
	.set _ZN4vllm25paged_attention_v2_kernelIffLi32ELi8ELi128ELNS_18Fp8KVCacheDataTypeE0ELb1ELi512EEEvPfS2_PT_PKS3_PKT0_S9_ifPKiSB_iPKfiiiSD_SD_iiiii.uses_flat_scratch, 0
	.set _ZN4vllm25paged_attention_v2_kernelIffLi32ELi8ELi128ELNS_18Fp8KVCacheDataTypeE0ELb1ELi512EEEvPfS2_PT_PKS3_PKT0_S9_ifPKiSB_iPKfiiiSD_SD_iiiii.has_dyn_sized_stack, 0
	.set _ZN4vllm25paged_attention_v2_kernelIffLi32ELi8ELi128ELNS_18Fp8KVCacheDataTypeE0ELb1ELi512EEEvPfS2_PT_PKS3_PKT0_S9_ifPKiSB_iPKfiiiSD_SD_iiiii.has_recursion, 0
	.set _ZN4vllm25paged_attention_v2_kernelIffLi32ELi8ELi128ELNS_18Fp8KVCacheDataTypeE0ELb1ELi512EEEvPfS2_PT_PKS3_PKT0_S9_ifPKiSB_iPKfiiiSD_SD_iiiii.has_indirect_call, 0
	.section	.AMDGPU.csdata,"",@progbits
; Kernel info:
; codeLenInByte = 3904
; TotalNumSgprs: 48
; NumVgprs: 38
; ScratchSize: 0
; MemoryBound: 0
; FloatMode: 240
; IeeeMode: 1
; LDSByteSize: 160 bytes/workgroup (compile time only)
; SGPRBlocks: 0
; VGPRBlocks: 4
; NumSGPRsForWavesPerEU: 48
; NumVGPRsForWavesPerEU: 38
; Occupancy: 16
; WaveLimiterHint : 1
; COMPUTE_PGM_RSRC2:SCRATCH_EN: 0
; COMPUTE_PGM_RSRC2:USER_SGPR: 6
; COMPUTE_PGM_RSRC2:TRAP_HANDLER: 0
; COMPUTE_PGM_RSRC2:TGID_X_EN: 1
; COMPUTE_PGM_RSRC2:TGID_Y_EN: 1
; COMPUTE_PGM_RSRC2:TGID_Z_EN: 1
; COMPUTE_PGM_RSRC2:TIDIG_COMP_CNT: 0
	.section	.text._ZN4vllm32paged_attention_v2_reduce_kernelIfLi32ELi128ELi512EEEvPT_PKfS4_PKS1_PKii,"axG",@progbits,_ZN4vllm32paged_attention_v2_reduce_kernelIfLi32ELi128ELi512EEEvPT_PKfS4_PKS1_PKii,comdat
	.protected	_ZN4vllm32paged_attention_v2_reduce_kernelIfLi32ELi128ELi512EEEvPT_PKfS4_PKS1_PKii ; -- Begin function _ZN4vllm32paged_attention_v2_reduce_kernelIfLi32ELi128ELi512EEEvPT_PKfS4_PKS1_PKii
	.globl	_ZN4vllm32paged_attention_v2_reduce_kernelIfLi32ELi128ELi512EEEvPT_PKfS4_PKS1_PKii
	.p2align	8
	.type	_ZN4vllm32paged_attention_v2_reduce_kernelIfLi32ELi128ELi512EEEvPT_PKfS4_PKS1_PKii,@function
_ZN4vllm32paged_attention_v2_reduce_kernelIfLi32ELi128ELi512EEEvPT_PKfS4_PKS1_PKii: ; @_ZN4vllm32paged_attention_v2_reduce_kernelIfLi32ELi128ELi512EEEvPT_PKfS4_PKS1_PKii
; %bb.0:
	s_load_dwordx4 s[8:11], s[4:5], 0x18
	s_add_u32 s12, s4, 48
	s_mov_b32 s14, s7
	s_addc_u32 s13, s5, 0
	s_ashr_i32 s15, s7, 31
	s_lshl_b64 s[0:1], s[14:15], 2
	s_waitcnt lgkmcnt(0)
	s_add_u32 s0, s10, s0
	s_addc_u32 s1, s11, s1
	s_load_dword s22, s[0:1], 0x0
	s_clause 0x2
	s_load_dwordx2 s[10:11], s[4:5], 0x0
	s_load_dword s7, s[4:5], 0x28
	s_load_dword s15, s[4:5], 0x30
	s_waitcnt lgkmcnt(0)
	s_add_i32 s0, s22, -1
	s_cmpk_gt_u32 s0, 0x1ff
	s_mov_b32 s0, -1
	s_cbranch_scc0 .LBB1_25
; %bb.1:
	s_load_dwordx2 s[2:3], s[4:5], 0x8
	s_add_i32 s0, s22, 0x1ff
	s_mul_i32 s20, s15, s14
	s_ashr_i32 s1, s0, 31
	v_mov_b32_e32 v3, 0xff7fffff
	s_lshr_b32 s1, s1, 23
	s_mul_i32 s16, s20, s7
	s_add_i32 s0, s0, s1
	s_mul_i32 s18, s7, s6
	s_ashr_i32 s21, s0, 9
	s_ashr_i32 s17, s16, 31
	v_cmp_gt_i32_e32 vcc_lo, s21, v0
	s_ashr_i32 s19, s18, 31
	s_and_saveexec_b32 s1, vcc_lo
	s_cbranch_execz .LBB1_5
; %bb.2:
	s_load_dword s0, s[12:13], 0xc
	s_load_dwordx2 s[24:25], s[4:5], 0x10
	s_lshl_b64 s[26:27], s[16:17], 2
	s_lshl_b64 s[28:29], s[18:19], 2
	v_lshlrev_b32_e32 v1, 2, v0
	v_mov_b32_e32 v3, 0xff7fffff
	v_mov_b32_e32 v5, v0
	v_add_nc_u32_e32 v4, 32, v1
	s_waitcnt lgkmcnt(0)
	s_and_b32 s4, s0, 0xffff
	s_add_u32 s0, s26, s28
	s_addc_u32 s5, s27, s29
	s_add_u32 s0, s24, s0
	s_addc_u32 s5, s25, s5
	v_add_co_u32 v1, s0, s0, v1
	v_add_co_ci_u32_e64 v2, null, s5, 0, s0
	s_mov_b32 s5, 0
	s_lshl_b32 s23, s4, 2
	.p2align	6
.LBB1_3:                                ; =>This Inner Loop Header: Depth=1
	global_load_dword v6, v[1:2], off
	v_add_nc_u32_e32 v5, s4, v5
	v_max_f32_e32 v3, v3, v3
	v_add_co_u32 v1, s0, v1, s23
	v_add_co_ci_u32_e64 v2, null, 0, v2, s0
	v_cmp_le_i32_e64 s0, s21, v5
	s_or_b32 s5, s0, s5
	s_waitcnt vmcnt(0)
	v_max_f32_e32 v7, v6, v6
	ds_write_b32 v4, v6
	v_add_nc_u32_e32 v4, s23, v4
	v_max_f32_e32 v3, v3, v7
	s_andn2_b32 exec_lo, exec_lo, s5
	s_cbranch_execnz .LBB1_3
; %bb.4:
	s_or_b32 exec_lo, exec_lo, s5
.LBB1_5:
	s_or_b32 exec_lo, exec_lo, s1
	v_mbcnt_lo_u32_b32 v1, -1, 0
	s_waitcnt lgkmcnt(0)
	s_barrier
	buffer_gl0_inv
	v_xor_b32_e32 v2, 16, v1
	v_xor_b32_e32 v4, 8, v1
	v_cmp_gt_i32_e64 s0, 32, v2
	v_cndmask_b32_e64 v2, v1, v2, s0
	v_cmp_gt_i32_e64 s0, 32, v4
	v_lshlrev_b32_e32 v5, 2, v2
	v_cndmask_b32_e64 v4, v1, v4, s0
	ds_bpermute_b32 v2, v5, v3
	v_max_f32_e32 v3, v3, v3
	v_lshlrev_b32_e32 v6, 2, v4
	v_xor_b32_e32 v4, 4, v1
	v_cmp_gt_i32_e64 s0, 32, v4
	v_cndmask_b32_e64 v4, v1, v4, s0
	v_lshlrev_b32_e32 v7, 2, v4
	v_xor_b32_e32 v4, 2, v1
	s_waitcnt lgkmcnt(0)
	v_max_f32_e32 v2, v2, v2
	v_cmp_gt_i32_e64 s0, 32, v4
	v_max_f32_e32 v2, v3, v2
	v_cndmask_b32_e64 v4, v1, v4, s0
	ds_bpermute_b32 v3, v6, v2
	s_waitcnt lgkmcnt(0)
	v_max_f32_e32 v3, v3, v3
	v_max_f32_e32 v2, v2, v3
	ds_bpermute_b32 v3, v7, v2
	s_waitcnt lgkmcnt(0)
	v_max_f32_e32 v8, v3, v3
	v_lshlrev_b32_e32 v3, 2, v4
	v_max_f32_e32 v2, v2, v8
	v_xor_b32_e32 v8, 1, v1
	ds_bpermute_b32 v4, v3, v2
	v_cmp_gt_i32_e64 s0, 32, v8
	v_cndmask_b32_e64 v1, v1, v8, s0
	v_lshrrev_b32_e32 v8, 5, v0
	v_lshlrev_b32_e32 v8, 2, v8
	s_waitcnt lgkmcnt(0)
	v_max_f32_e32 v4, v4, v4
	v_max_f32_e32 v2, v2, v4
	v_lshlrev_b32_e32 v4, 2, v1
	v_and_b32_e32 v1, 31, v0
	ds_bpermute_b32 v9, v4, v2
	v_cmp_eq_u32_e64 s0, 0, v1
	s_and_saveexec_b32 s1, s0
	s_cbranch_execz .LBB1_7
; %bb.6:
	s_waitcnt lgkmcnt(0)
	v_max_f32_e32 v9, v9, v9
	v_max_f32_e32 v2, v2, v2
	;; [unrolled: 1-line block ×3, first 2 shown]
	ds_write_b32 v8, v2
.LBB1_7:
	s_or_b32 exec_lo, exec_lo, s1
	v_cmp_gt_u32_e64 s1, 4, v1
	v_mov_b32_e32 v2, 0xff7fffff
	s_waitcnt lgkmcnt(0)
	v_lshlrev_b32_e32 v9, 2, v1
	s_barrier
	buffer_gl0_inv
	s_and_saveexec_b32 s4, s1
; %bb.8:
	ds_read_b32 v2, v9
; %bb.9:
	s_or_b32 exec_lo, exec_lo, s4
	s_waitcnt lgkmcnt(0)
	ds_bpermute_b32 v1, v3, v2
	v_max_f32_e32 v2, v2, v2
	v_mov_b32_e32 v10, 0
	s_lshl_b32 s4, s21, 2
	s_waitcnt lgkmcnt(0)
	v_max_f32_e32 v1, v1, v1
	v_max_f32_e32 v1, v2, v1
	ds_bpermute_b32 v2, v4, v1
	s_waitcnt lgkmcnt(0)
	v_max_f32_e32 v2, v2, v2
	v_max_f32_e32 v1, v1, v2
	ds_bpermute_b32 v11, v10, v1
	s_and_saveexec_b32 s5, vcc_lo
	s_cbranch_execz .LBB1_13
; %bb.10:
	s_load_dword s23, s[12:13], 0xc
	s_lshl_b64 s[24:25], s[16:17], 2
	s_lshl_b64 s[26:27], s[18:19], 2
	v_lshlrev_b32_e32 v1, 2, v0
	v_mov_b32_e32 v10, 0
	v_mov_b32_e32 v13, v0
	v_add_nc_u32_e32 v12, 32, v1
	s_waitcnt lgkmcnt(0)
	s_and_b32 s17, s23, 0xffff
	s_add_u32 s19, s24, s26
	s_addc_u32 s23, s25, s27
	s_add_u32 s2, s2, s19
	s_addc_u32 s3, s3, s23
	v_add_co_u32 v1, s2, s2, v1
	v_add_co_ci_u32_e64 v2, null, s3, 0, s2
	s_mov_b32 s3, 0
	s_lshl_b32 s19, s17, 2
	s_inst_prefetch 0x1
	.p2align	6
.LBB1_11:                               ; =>This Inner Loop Header: Depth=1
	global_load_dword v14, v[1:2], off
	ds_read_b32 v15, v12
	v_add_nc_u32_e32 v13, s17, v13
	s_waitcnt lgkmcnt(0)
	v_sub_f32_e32 v15, v15, v11
	v_mul_f32_e32 v16, 0x3fb8aa3b, v15
	v_cmp_ngt_f32_e32 vcc_lo, 0xc2ce8ed0, v15
	v_cmp_nlt_f32_e64 s2, 0x42b17218, v15
	v_fma_f32 v17, 0x3fb8aa3b, v15, -v16
	v_rndne_f32_e32 v18, v16
	v_fmac_f32_e32 v17, 0x32a5705f, v15
	v_sub_f32_e32 v16, v16, v18
	v_add_f32_e32 v16, v16, v17
	v_cvt_i32_f32_e32 v17, v18
	v_exp_f32_e32 v16, v16
	v_ldexp_f32 v16, v16, v17
	v_add_nc_u32_e32 v17, s4, v12
	v_add_nc_u32_e32 v12, s19, v12
	v_cndmask_b32_e32 v16, 0, v16, vcc_lo
	v_add_co_u32 v1, vcc_lo, v1, s19
	v_add_co_ci_u32_e64 v2, null, 0, v2, vcc_lo
	v_cndmask_b32_e64 v15, 0x7f800000, v16, s2
	v_cmp_le_i32_e32 vcc_lo, s21, v13
	s_or_b32 s3, vcc_lo, s3
	s_waitcnt vmcnt(0)
	v_mul_f32_e32 v16, v14, v15
	v_fmac_f32_e32 v10, v14, v15
	ds_write_b32 v17, v16
	s_andn2_b32 exec_lo, exec_lo, s3
	s_cbranch_execnz .LBB1_11
; %bb.12:
	s_inst_prefetch 0x2
	s_or_b32 exec_lo, exec_lo, s3
.LBB1_13:
	s_or_b32 exec_lo, exec_lo, s5
	ds_bpermute_b32 v1, v5, v10
	s_waitcnt lgkmcnt(0)
	s_barrier
	buffer_gl0_inv
	v_add_f32_e32 v1, v10, v1
	ds_bpermute_b32 v2, v6, v1
	s_waitcnt lgkmcnt(0)
	v_add_f32_e32 v1, v1, v2
	ds_bpermute_b32 v2, v7, v1
	s_waitcnt lgkmcnt(0)
	;; [unrolled: 3-line block ×4, first 2 shown]
	v_add_f32_e32 v1, v1, v2
	s_and_saveexec_b32 s2, s0
; %bb.14:
	ds_write_b32 v8, v1 offset:16
; %bb.15:
	s_or_b32 exec_lo, exec_lo, s2
	s_waitcnt lgkmcnt(0)
	s_barrier
	buffer_gl0_inv
	s_and_saveexec_b32 s0, s1
; %bb.16:
	ds_read_b32 v1, v9 offset:16
; %bb.17:
	s_or_b32 exec_lo, exec_lo, s0
	s_waitcnt lgkmcnt(0)
	ds_bpermute_b32 v2, v3, v1
	s_mov_b32 s0, exec_lo
	s_waitcnt lgkmcnt(0)
	v_add_f32_e32 v1, v1, v2
	ds_bpermute_b32 v2, v4, v1
	s_waitcnt lgkmcnt(0)
	v_add_f32_e32 v1, v1, v2
	v_mov_b32_e32 v2, 0
	ds_bpermute_b32 v2, v2, v1
	v_cmpx_gt_u32_e32 32, v0
	s_cbranch_execz .LBB1_24
; %bb.18:
	s_cmp_gt_i32 s22, 0
	s_mov_b32 s1, 0
	s_cbranch_scc1 .LBB1_20
; %bb.19:
	v_mov_b32_e32 v1, 0
	v_mov_b32_e32 v4, 0
	s_andn2_b32 vcc_lo, exec_lo, s1
	s_cbranch_vccz .LBB1_21
	s_branch .LBB1_23
.LBB1_20:
	v_mov_b32_e32 v4, 0
.LBB1_21:
	s_waitcnt lgkmcnt(0)
	v_add_f32_e32 v4, 0x358637bd, v2
	s_lshl_b32 s16, s16, 5
	s_lshl_b32 s18, s18, 5
	s_ashr_i32 s17, s16, 31
	s_ashr_i32 s19, s18, 31
	v_div_scale_f32 v2, null, v4, v4, 1.0
	v_div_scale_f32 v5, vcc_lo, 1.0, v4, 1.0
	s_add_i32 s2, s4, 32
	v_rcp_f32_e32 v3, v2
	s_lshl_b64 s[4:5], s[16:17], 2
	s_lshl_b64 s[16:17], s[18:19], 2
	s_max_i32 s1, s21, 1
	s_add_u32 s3, s4, s16
	s_addc_u32 s4, s5, s17
	s_add_u32 s3, s8, s3
	s_addc_u32 s4, s9, s4
	v_fma_f32 v1, -v2, v3, 1.0
	v_fmac_f32_e32 v3, v1, v3
	v_mov_b32_e32 v1, 0
	v_mul_f32_e32 v6, v5, v3
	v_fma_f32 v7, -v2, v6, v5
	v_fmac_f32_e32 v6, v7, v3
	v_lshlrev_b32_e32 v7, 2, v0
	v_fma_f32 v2, -v2, v6, v5
	v_div_fmas_f32 v5, v2, v3, v6
	v_add_co_u32 v2, s3, s3, v7
	v_add_co_ci_u32_e64 v3, null, s4, 0, s3
	v_div_fixup_f32 v5, v5, v4, 1.0
	v_mov_b32_e32 v4, v1
.LBB1_22:                               ; =>This Inner Loop Header: Depth=1
	global_load_dword v6, v[2:3], off
	v_mov_b32_e32 v7, s2
	v_add_co_u32 v2, vcc_lo, 0x80, v2
	v_add_co_ci_u32_e64 v3, null, 0, v3, vcc_lo
	ds_read_b32 v7, v7
	s_add_i32 s1, s1, -1
	s_add_i32 s2, s2, 4
	s_cmp_eq_u32 s1, 0
	s_waitcnt vmcnt(0) lgkmcnt(0)
	v_mul_f32_e32 v6, v6, v7
	v_fmac_f32_e32 v4, v5, v6
	s_cbranch_scc0 .LBB1_22
.LBB1_23:
	s_lshl_b32 s2, s20, 5
	s_waitcnt lgkmcnt(0)
	v_lshlrev_b64 v[1:2], 2, v[0:1]
	s_ashr_i32 s3, s2, 31
	s_lshl_b64 s[2:3], s[2:3], 2
	s_add_u32 s1, s10, s2
	s_addc_u32 s4, s11, s3
	s_lshl_b32 s2, s6, 5
	s_ashr_i32 s3, s2, 31
	s_lshl_b64 s[2:3], s[2:3], 2
	s_add_u32 s1, s1, s2
	s_addc_u32 s2, s4, s3
	v_add_co_u32 v1, vcc_lo, s1, v1
	v_add_co_ci_u32_e64 v2, null, s2, v2, vcc_lo
	global_store_dword v[1:2], v4, off
.LBB1_24:
	s_or_b32 exec_lo, exec_lo, s0
	s_mov_b32 s0, 0
.LBB1_25:
	s_and_b32 vcc_lo, exec_lo, s0
	s_cbranch_vccz .LBB1_29
; %bb.26:
	s_mov_b32 s0, exec_lo
	v_cmpx_gt_u32_e32 32, v0
	s_cbranch_execz .LBB1_29
; %bb.27:
	s_mul_i32 s15, s15, s14
	v_lshlrev_b32_e32 v1, 2, v0
	s_lshl_b32 s0, s15, 5
	s_waitcnt lgkmcnt(0)
	v_mov_b32_e32 v2, 0
	s_ashr_i32 s1, s0, 31
	s_lshl_b64 s[0:1], s[0:1], 2
	s_add_u32 s4, s10, s0
	s_addc_u32 s5, s11, s1
	s_lshl_b32 s0, s6, 5
	s_load_dword s10, s[12:13], 0xc
	s_ashr_i32 s1, s0, 31
	s_lshl_b64 s[2:3], s[0:1], 2
	s_mul_i32 s0, s7, s15
	s_add_u32 s1, s4, s2
	s_addc_u32 s2, s5, s3
	s_lshl_b32 s4, s0, 5
	s_mul_i32 s7, s7, s6
	s_ashr_i32 s5, s4, 31
	s_lshl_b64 s[4:5], s[4:5], 2
	s_add_u32 s0, s8, s4
	s_addc_u32 s6, s9, s5
	s_lshl_b32 s4, s7, 5
	s_ashr_i32 s5, s4, 31
	s_lshl_b64 s[4:5], s[4:5], 2
	s_add_u32 s3, s0, s4
	s_addc_u32 s4, s6, s5
	s_waitcnt lgkmcnt(0)
	s_and_b32 s5, s10, 0xffff
	s_mov_b32 s6, 0
	s_lshl_b32 s7, s5, 2
	.p2align	6
.LBB1_28:                               ; =>This Inner Loop Header: Depth=1
	v_add_co_u32 v3, vcc_lo, s3, v1
	v_add_co_ci_u32_e64 v4, null, s4, v2, vcc_lo
	v_add_nc_u32_e32 v0, s5, v0
	global_load_dword v5, v[3:4], off
	v_add_co_u32 v3, vcc_lo, s1, v1
	v_add_co_ci_u32_e64 v4, null, s2, v2, vcc_lo
	v_cmp_lt_u32_e32 vcc_lo, 31, v0
	v_add_co_u32 v1, s0, v1, s7
	v_add_co_ci_u32_e64 v2, null, 0, v2, s0
	s_or_b32 s6, vcc_lo, s6
	s_waitcnt vmcnt(0)
	global_store_dword v[3:4], v5, off
	s_andn2_b32 exec_lo, exec_lo, s6
	s_cbranch_execnz .LBB1_28
.LBB1_29:
	s_endpgm
	.section	.rodata,"a",@progbits
	.p2align	6, 0x0
	.amdhsa_kernel _ZN4vllm32paged_attention_v2_reduce_kernelIfLi32ELi128ELi512EEEvPT_PKfS4_PKS1_PKii
		.amdhsa_group_segment_fixed_size 32
		.amdhsa_private_segment_fixed_size 0
		.amdhsa_kernarg_size 304
		.amdhsa_user_sgpr_count 6
		.amdhsa_user_sgpr_private_segment_buffer 1
		.amdhsa_user_sgpr_dispatch_ptr 0
		.amdhsa_user_sgpr_queue_ptr 0
		.amdhsa_user_sgpr_kernarg_segment_ptr 1
		.amdhsa_user_sgpr_dispatch_id 0
		.amdhsa_user_sgpr_flat_scratch_init 0
		.amdhsa_user_sgpr_private_segment_size 0
		.amdhsa_wavefront_size32 1
		.amdhsa_uses_dynamic_stack 0
		.amdhsa_system_sgpr_private_segment_wavefront_offset 0
		.amdhsa_system_sgpr_workgroup_id_x 1
		.amdhsa_system_sgpr_workgroup_id_y 1
		.amdhsa_system_sgpr_workgroup_id_z 0
		.amdhsa_system_sgpr_workgroup_info 0
		.amdhsa_system_vgpr_workitem_id 0
		.amdhsa_next_free_vgpr 19
		.amdhsa_next_free_sgpr 30
		.amdhsa_reserve_vcc 1
		.amdhsa_reserve_flat_scratch 0
		.amdhsa_float_round_mode_32 0
		.amdhsa_float_round_mode_16_64 0
		.amdhsa_float_denorm_mode_32 3
		.amdhsa_float_denorm_mode_16_64 3
		.amdhsa_dx10_clamp 1
		.amdhsa_ieee_mode 1
		.amdhsa_fp16_overflow 0
		.amdhsa_workgroup_processor_mode 1
		.amdhsa_memory_ordered 1
		.amdhsa_forward_progress 1
		.amdhsa_shared_vgpr_count 0
		.amdhsa_exception_fp_ieee_invalid_op 0
		.amdhsa_exception_fp_denorm_src 0
		.amdhsa_exception_fp_ieee_div_zero 0
		.amdhsa_exception_fp_ieee_overflow 0
		.amdhsa_exception_fp_ieee_underflow 0
		.amdhsa_exception_fp_ieee_inexact 0
		.amdhsa_exception_int_div_zero 0
	.end_amdhsa_kernel
	.section	.text._ZN4vllm32paged_attention_v2_reduce_kernelIfLi32ELi128ELi512EEEvPT_PKfS4_PKS1_PKii,"axG",@progbits,_ZN4vllm32paged_attention_v2_reduce_kernelIfLi32ELi128ELi512EEEvPT_PKfS4_PKS1_PKii,comdat
.Lfunc_end1:
	.size	_ZN4vllm32paged_attention_v2_reduce_kernelIfLi32ELi128ELi512EEEvPT_PKfS4_PKS1_PKii, .Lfunc_end1-_ZN4vllm32paged_attention_v2_reduce_kernelIfLi32ELi128ELi512EEEvPT_PKfS4_PKS1_PKii
                                        ; -- End function
	.set _ZN4vllm32paged_attention_v2_reduce_kernelIfLi32ELi128ELi512EEEvPT_PKfS4_PKS1_PKii.num_vgpr, 19
	.set _ZN4vllm32paged_attention_v2_reduce_kernelIfLi32ELi128ELi512EEEvPT_PKfS4_PKS1_PKii.num_agpr, 0
	.set _ZN4vllm32paged_attention_v2_reduce_kernelIfLi32ELi128ELi512EEEvPT_PKfS4_PKS1_PKii.numbered_sgpr, 30
	.set _ZN4vllm32paged_attention_v2_reduce_kernelIfLi32ELi128ELi512EEEvPT_PKfS4_PKS1_PKii.num_named_barrier, 0
	.set _ZN4vllm32paged_attention_v2_reduce_kernelIfLi32ELi128ELi512EEEvPT_PKfS4_PKS1_PKii.private_seg_size, 0
	.set _ZN4vllm32paged_attention_v2_reduce_kernelIfLi32ELi128ELi512EEEvPT_PKfS4_PKS1_PKii.uses_vcc, 1
	.set _ZN4vllm32paged_attention_v2_reduce_kernelIfLi32ELi128ELi512EEEvPT_PKfS4_PKS1_PKii.uses_flat_scratch, 0
	.set _ZN4vllm32paged_attention_v2_reduce_kernelIfLi32ELi128ELi512EEEvPT_PKfS4_PKS1_PKii.has_dyn_sized_stack, 0
	.set _ZN4vllm32paged_attention_v2_reduce_kernelIfLi32ELi128ELi512EEEvPT_PKfS4_PKS1_PKii.has_recursion, 0
	.set _ZN4vllm32paged_attention_v2_reduce_kernelIfLi32ELi128ELi512EEEvPT_PKfS4_PKS1_PKii.has_indirect_call, 0
	.section	.AMDGPU.csdata,"",@progbits
; Kernel info:
; codeLenInByte = 1948
; TotalNumSgprs: 32
; NumVgprs: 19
; ScratchSize: 0
; MemoryBound: 0
; FloatMode: 240
; IeeeMode: 1
; LDSByteSize: 32 bytes/workgroup (compile time only)
; SGPRBlocks: 0
; VGPRBlocks: 2
; NumSGPRsForWavesPerEU: 32
; NumVGPRsForWavesPerEU: 19
; Occupancy: 16
; WaveLimiterHint : 0
; COMPUTE_PGM_RSRC2:SCRATCH_EN: 0
; COMPUTE_PGM_RSRC2:USER_SGPR: 6
; COMPUTE_PGM_RSRC2:TRAP_HANDLER: 0
; COMPUTE_PGM_RSRC2:TGID_X_EN: 1
; COMPUTE_PGM_RSRC2:TGID_Y_EN: 1
; COMPUTE_PGM_RSRC2:TGID_Z_EN: 0
; COMPUTE_PGM_RSRC2:TIDIG_COMP_CNT: 0
	.section	.text._ZN4vllm25paged_attention_v2_kernelIffLi64ELi8ELi128ELNS_18Fp8KVCacheDataTypeE0ELb1ELi512EEEvPfS2_PT_PKS3_PKT0_S9_ifPKiSB_iPKfiiiSD_SD_iiiii,"axG",@progbits,_ZN4vllm25paged_attention_v2_kernelIffLi64ELi8ELi128ELNS_18Fp8KVCacheDataTypeE0ELb1ELi512EEEvPfS2_PT_PKS3_PKT0_S9_ifPKiSB_iPKfiiiSD_SD_iiiii,comdat
	.protected	_ZN4vllm25paged_attention_v2_kernelIffLi64ELi8ELi128ELNS_18Fp8KVCacheDataTypeE0ELb1ELi512EEEvPfS2_PT_PKS3_PKT0_S9_ifPKiSB_iPKfiiiSD_SD_iiiii ; -- Begin function _ZN4vllm25paged_attention_v2_kernelIffLi64ELi8ELi128ELNS_18Fp8KVCacheDataTypeE0ELb1ELi512EEEvPfS2_PT_PKS3_PKT0_S9_ifPKiSB_iPKfiiiSD_SD_iiiii
	.globl	_ZN4vllm25paged_attention_v2_kernelIffLi64ELi8ELi128ELNS_18Fp8KVCacheDataTypeE0ELb1ELi512EEEvPfS2_PT_PKS3_PKT0_S9_ifPKiSB_iPKfiiiSD_SD_iiiii
	.p2align	8
	.type	_ZN4vllm25paged_attention_v2_kernelIffLi64ELi8ELi128ELNS_18Fp8KVCacheDataTypeE0ELb1ELi512EEEvPfS2_PT_PKS3_PKT0_S9_ifPKiSB_iPKfiiiSD_SD_iiiii,@function
_ZN4vllm25paged_attention_v2_kernelIffLi64ELi8ELi128ELNS_18Fp8KVCacheDataTypeE0ELb1ELi512EEEvPfS2_PT_PKS3_PKT0_S9_ifPKiSB_iPKfiiiSD_SD_iiiii: ; @_ZN4vllm25paged_attention_v2_kernelIffLi64ELi8ELi128ELNS_18Fp8KVCacheDataTypeE0ELb1ELi512EEEvPfS2_PT_PKS3_PKT0_S9_ifPKiSB_iPKfiiiSD_SD_iiiii
; %bb.0:
	s_load_dwordx2 s[0:1], s[4:5], 0x40
	s_mov_b32 s26, s7
	s_ashr_i32 s27, s7, 31
	s_lshl_b64 s[2:3], s[26:27], 2
	s_waitcnt lgkmcnt(0)
	s_add_u32 s0, s0, s2
	s_addc_u32 s1, s1, s3
	s_lshl_b32 s39, s8, 9
	s_load_dword s27, s[0:1], 0x0
	s_waitcnt lgkmcnt(0)
	s_cmp_ge_i32 s39, s27
	s_cbranch_scc1 .LBB2_72
; %bb.1:
	s_clause 0x1
	s_load_dword s9, s[4:5], 0x90
	s_load_dwordx2 s[36:37], s[4:5], 0x30
	s_mov_b32 s41, 0
	s_waitcnt lgkmcnt(0)
	s_abs_i32 s3, s9
	s_abs_i32 s0, s36
	v_cvt_f32_u32_e32 v1, s0
	s_sub_i32 s2, 0, s0
	v_rcp_iflag_f32_e32 v1, v1
	v_mul_f32_e32 v1, 0x4f7ffffe, v1
	v_cvt_u32_f32_e32 v1, v1
	v_readfirstlane_b32 s1, v1
	s_mul_i32 s2, s2, s1
	s_mul_hi_u32 s2, s1, s2
	s_add_i32 s1, s1, s2
	s_xor_b32 s2, s9, s36
	s_mul_hi_u32 s1, s3, s1
	s_ashr_i32 s2, s2, 31
	s_mul_i32 s7, s1, s0
	s_sub_i32 s3, s3, s7
	s_add_i32 s7, s1, 1
	s_sub_i32 s10, s3, s0
	s_cmp_ge_u32 s3, s0
	s_cselect_b32 s1, s7, s1
	s_cselect_b32 s3, s10, s3
	s_add_i32 s7, s1, 1
	s_cmp_ge_u32 s3, s0
	s_cselect_b32 s0, s7, s1
	s_xor_b32 s0, s0, s2
	s_sub_i32 s10, s0, s2
	s_load_dwordx2 s[0:1], s[4:5], 0x50
	s_abs_i32 s2, s10
	v_cvt_f32_u32_e32 v1, s2
	s_sub_i32 s3, 0, s2
	v_rcp_iflag_f32_e32 v1, v1
	v_mul_f32_e32 v1, 0x4f7ffffe, v1
	v_cvt_u32_f32_e32 v1, v1
	v_readfirstlane_b32 s7, v1
	s_mul_i32 s3, s3, s7
	s_mul_hi_u32 s11, s7, s3
	s_abs_i32 s3, s6
	s_add_i32 s7, s7, s11
	s_waitcnt lgkmcnt(0)
	s_cmp_eq_u64 s[0:1], 0
	s_mul_hi_u32 s20, s3, s7
	s_cbranch_scc1 .LBB2_3
; %bb.2:
	s_ashr_i32 s7, s6, 31
	s_lshl_b64 s[12:13], s[6:7], 2
	s_add_u32 s0, s0, s12
	s_addc_u32 s1, s1, s13
	s_load_dword s41, s[0:1], 0x0
.LBB2_3:
	s_load_dwordx4 s[12:15], s[4:5], 0x58
	v_and_b32_e32 v1, 3, v0
	v_cmp_gt_u32_e64 s0, 64, v0
	v_lshlrev_b32_e32 v3, 2, v0
	s_ashr_i32 s1, s6, 31
	s_ashr_i32 s7, s10, 31
	s_lshl_b32 s10, s6, 6
	s_waitcnt lgkmcnt(0)
	s_and_saveexec_b32 s15, s0
	s_cbranch_execz .LBB2_5
; %bb.4:
	s_load_dwordx2 s[16:17], s[4:5], 0x18
	s_mul_i32 s18, s12, s26
	v_and_b32_e32 v4, 0x3fc, v0
	s_ashr_i32 s19, s18, 31
	s_lshl_b64 s[18:19], s[18:19], 2
	v_lshl_add_u32 v4, v1, 6, v4
	s_waitcnt lgkmcnt(0)
	s_add_u32 s12, s16, s18
	s_addc_u32 s18, s17, s19
	s_ashr_i32 s11, s10, 31
	s_lshl_b64 s[16:17], s[10:11], 2
	s_add_u32 s16, s12, s16
	s_addc_u32 s17, s18, s17
	global_load_dword v2, v3, s[16:17]
	s_waitcnt vmcnt(0)
	ds_write_b32 v4, v2
.LBB2_5:
	s_or_b32 exec_lo, exec_lo, s15
	s_load_dwordx4 s[16:19], s[4:5], 0x78
	s_mul_i32 s11, s20, s2
	s_xor_b32 s1, s1, s7
	s_sub_i32 s3, s3, s11
	s_add_i32 s7, s20, 1
	s_sub_i32 s11, s3, s2
	s_cmp_ge_u32 s3, s2
	s_mov_b32 s15, -1
	s_cselect_b32 s7, s7, s20
	s_cselect_b32 s3, s11, s3
	s_add_i32 s11, s7, 1
	s_cmp_ge_u32 s3, s2
                                        ; implicit-def: $sgpr38
	s_cselect_b32 s2, s11, s7
	s_load_dword s7, s[4:5], 0x88
	s_xor_b32 s2, s2, s1
	s_add_i32 s12, s27, -1
	s_sub_i32 s2, s2, s1
	s_abs_i32 s3, s12
	s_waitcnt lgkmcnt(0)
	s_abs_i32 s11, s19
	s_barrier
	v_cvt_f32_u32_e32 v2, s11
	s_sub_i32 s1, 0, s11
	buffer_gl0_inv
	v_rcp_iflag_f32_e32 v2, v2
	v_mul_f32_e32 v2, 0x4f7ffffe, v2
	v_cvt_u32_f32_e32 v2, v2
	v_readfirstlane_b32 s33, v2
	s_mul_i32 s1, s1, s33
	s_mul_hi_u32 s1, s33, s1
	s_add_i32 s33, s33, s1
	s_cmp_lt_i32 s7, 0
	s_mul_hi_u32 s1, s3, s33
	s_cbranch_scc0 .LBB2_7
; %bb.6:
	s_mul_i32 s15, s16, s36
	s_add_i32 s15, s2, s15
	s_mul_i32 s15, s15, s7
	s_sub_i32 s38, 1, s15
	s_mov_b32 s15, 0
.LBB2_7:
	s_load_dwordx2 s[28:29], s[4:5], 0x38
	s_ashr_i32 s12, s12, 31
	s_andn2_b32 vcc_lo, exec_lo, s15
	s_ashr_i32 s19, s19, 31
	s_cbranch_vccnz .LBB2_9
; %bb.8:
	s_mul_i32 s15, s9, s16
	s_add_i32 s15, s15, s6
	s_mul_i32 s7, s15, s7
	s_add_i32 s38, s7, 1
.LBB2_9:
	s_clause 0x4
	s_load_dword s15, s[4:5], 0x48
	s_load_dwordx2 s[34:35], s[4:5], 0x28
	s_load_dword s7, s[4:5], 0x98
	s_load_dwordx4 s[20:23], s[4:5], 0x0
	s_load_dwordx2 s[24:25], s[4:5], 0x10
	s_xor_b32 s40, s12, s19
	s_mul_i32 s12, s1, s11
	s_add_i32 s16, s1, 1
	s_sub_i32 s3, s3, s12
	v_lshrrev_b32_e32 v24, 5, v0
	s_sub_i32 s12, s3, s11
	v_mov_b32_e32 v5, 0xff7fffff
	v_mbcnt_lo_u32_b32 v4, -1, 0
	s_mul_i32 s14, s2, s14
	v_lshl_add_u32 v25, v24, 3, s39
	s_waitcnt lgkmcnt(0)
	s_mul_i32 s30, s15, s26
	s_ashr_i32 s31, s30, 31
	s_cmp_ge_u32 s3, s11
	s_cselect_b32 s1, s16, s1
	s_cselect_b32 s3, s12, s3
	s_add_i32 s12, s1, 1
	s_cmp_ge_u32 s3, s11
	s_cselect_b32 s1, s12, s1
	s_add_i32 s3, s27, 7
	s_lshl_b32 s12, s8, 6
	s_ashr_i32 s15, s3, 31
	v_or_b32_e32 v21, s12, v24
	s_lshr_b32 s15, s15, 29
	s_add_i32 s3, s3, s15
	s_add_i32 s15, s12, 64
	s_ashr_i32 s36, s3, 3
	s_xor_b32 s3, s1, s40
	s_min_i32 s16, s15, s36
	v_ashrrev_i32_e32 v22, 31, v21
	v_cmp_gt_i32_e64 s1, s16, v21
	s_sub_i32 s40, s3, s40
	s_and_saveexec_b32 s42, s1
	s_cbranch_execz .LBB2_21
; %bb.10:
	s_load_dwordx2 s[2:3], s[4:5], 0x20
	s_ashr_i32 s15, s14, 31
	s_sub_i32 s5, s40, s17
	s_lshl_b64 s[44:45], s[14:15], 2
	v_bfe_u32 v6, v0, 2, 3
	v_cmp_eq_u32_e32 vcc_lo, 0, v1
	v_lshlrev_b32_e32 v14, 2, v1
	v_lshlrev_b32_e32 v7, 6, v1
	v_lshl_add_u32 v8, v24, 3, s39
	v_lshlrev_b32_e32 v12, 2, v6
	v_subrev_nc_u32_e32 v15, s27, v6
	v_lshlrev_b32_e32 v18, 4, v6
	v_mov_b32_e32 v9, 0xff7fffff
	v_xor_b32_e32 v10, 2, v4
	v_lshl_or_b32 v16, v24, 5, v12
	v_add_nc_u32_e32 v12, 1, v15
	v_xor_b32_e32 v11, 1, v4
	s_waitcnt lgkmcnt(0)
	s_add_u32 s4, s2, s44
	s_addc_u32 s3, s3, s45
	s_abs_i32 s15, s18
	s_lshl_b64 s[44:45], s[30:31], 2
	v_cvt_f32_u32_e32 v2, s15
	s_sub_i32 s43, 0, s15
	v_cmp_neq_f32_e64 s2, s41, 0
	v_rcp_iflag_f32_e32 v5, v2
	v_lshlrev_b64 v[1:2], 2, v[21:22]
	v_mul_f32_e32 v13, 0x4f7ffffe, v5
	v_mov_b32_e32 v5, 0xff7fffff
	v_cvt_u32_f32_e32 v17, v13
	v_add_nc_u32_e32 v13, 0x120, v16
	v_add_co_u32 v16, s4, s4, v18
	v_add_co_ci_u32_e64 v18, null, s3, 0, s4
	v_mul_lo_u32 v15, s43, v17
	s_add_u32 s3, s28, s44
	s_addc_u32 s4, s29, s45
	v_add_co_u32 v1, s3, s3, v1
	v_add_co_ci_u32_e64 v2, null, s4, v2, s3
	v_add_co_u32 v14, s3, v16, v14
	v_mul_hi_u32 v19, v17, v15
	v_add_co_ci_u32_e64 v15, null, 0, v18, s3
	s_mov_b32 s43, 0
	s_mov_b32 s44, s13
	v_add_nc_u32_e32 v16, v17, v19
	v_mov_b32_e32 v17, v21
	s_branch .LBB2_13
.LBB2_11:                               ;   in Loop: Header=BB2_13 Depth=1
	s_or_b32 exec_lo, exec_lo, s45
.LBB2_12:                               ;   in Loop: Header=BB2_13 Depth=1
	s_or_b32 exec_lo, exec_lo, s4
	v_add_nc_u32_e32 v17, 4, v17
	v_add_co_u32 v1, s4, v1, 16
	v_add_co_ci_u32_e64 v2, null, 0, v2, s4
	v_cmp_le_i32_e64 s3, s16, v17
	v_add_nc_u32_e32 v8, 32, v8
	v_add_nc_u32_e32 v13, 0x80, v13
	s_or_b32 s43, s3, s43
	s_andn2_b32 exec_lo, exec_lo, s43
	s_cbranch_execz .LBB2_20
.LBB2_13:                               ; =>This Inner Loop Header: Depth=1
	v_sub_nc_u32_e32 v18, 0, v8
	v_max_i32_e32 v18, v8, v18
	s_waitcnt lgkmcnt(0)
	v_mul_hi_u32 v19, v18, s33
	v_mul_lo_u32 v20, v19, s11
	v_sub_nc_u32_e32 v18, v18, v20
	v_add_nc_u32_e32 v20, 1, v19
	v_subrev_nc_u32_e32 v23, s11, v18
	v_cmp_le_u32_e64 s3, s11, v18
	v_cndmask_b32_e64 v19, v19, v20, s3
	v_cndmask_b32_e64 v18, v18, v23, s3
	v_ashrrev_i32_e32 v20, 31, v8
	v_add_nc_u32_e32 v23, 1, v19
	v_cmp_le_u32_e64 s3, s11, v18
	v_xor_b32_e32 v20, s19, v20
	v_cndmask_b32_e64 v18, v19, v23, s3
	v_xor_b32_e32 v18, v18, v20
	v_sub_nc_u32_e32 v18, v18, v20
	v_add_nc_u32_e32 v19, s38, v18
	v_cmp_ge_i32_e64 s4, s5, v18
	v_sub_nc_u32_e32 v20, 0, v19
	v_max_i32_e32 v20, v19, v20
	v_ashrrev_i32_e32 v19, 31, v19
	v_mul_hi_u32 v23, v20, v16
	v_mul_lo_u32 v23, v23, s15
	v_sub_nc_u32_e32 v20, v20, v23
	v_subrev_nc_u32_e32 v23, s15, v20
	v_cmp_le_u32_e64 s3, s15, v20
	v_cndmask_b32_e64 v20, v20, v23, s3
	v_subrev_nc_u32_e32 v23, s15, v20
	v_cmp_le_u32_e64 s3, s15, v20
	v_cndmask_b32_e64 v20, v20, v23, s3
	v_xor_b32_e32 v20, v20, v19
	v_sub_nc_u32_e32 v19, v20, v19
	v_cmp_ne_u32_e64 s3, 0, v19
	s_and_b32 s3, s3, s4
	s_and_saveexec_b32 s4, s3
	s_xor_b32 s3, exec_lo, s4
	s_cbranch_execz .LBB2_17
; %bb.14:                               ;   in Loop: Header=BB2_13 Depth=1
	s_and_saveexec_b32 s4, vcc_lo
; %bb.15:                               ;   in Loop: Header=BB2_13 Depth=1
	ds_write_b32 v13, v9
; %bb.16:                               ;   in Loop: Header=BB2_13 Depth=1
	s_or_b32 exec_lo, exec_lo, s4
.LBB2_17:                               ;   in Loop: Header=BB2_13 Depth=1
	s_andn2_saveexec_b32 s4, s3
	s_cbranch_execz .LBB2_12
; %bb.18:                               ;   in Loop: Header=BB2_13 Depth=1
	global_load_dword v18, v[1:2], off
	s_waitcnt vmcnt(0)
	v_mad_i64_i32 v[18:19], null, v18, s44, 0
	v_lshlrev_b64 v[18:19], 2, v[18:19]
	v_add_co_u32 v18, s3, v14, v18
	v_add_co_ci_u32_e64 v19, null, v15, v19, s3
	v_cmp_gt_i32_e64 s3, 32, v10
	s_clause 0xf
	global_load_dword v20, v[18:19], off offset:128
	global_load_dword v23, v[18:19], off
	global_load_dword v34, v[18:19], off offset:256
	global_load_dword v35, v[18:19], off offset:384
	;; [unrolled: 1-line block ×14, first 2 shown]
	ds_read_b128 v[26:29], v7
	ds_read_b128 v[30:33], v7 offset:16
	s_waitcnt vmcnt(15) lgkmcnt(1)
	v_mul_f32_e32 v19, v27, v20
	v_cndmask_b32_e64 v20, v4, v10, s3
	v_cmp_gt_i32_e64 s3, 32, v11
	s_waitcnt vmcnt(14)
	v_fmac_f32_e32 v19, v26, v23
	v_lshlrev_b32_e32 v20, 2, v20
	s_waitcnt vmcnt(13)
	v_fmac_f32_e32 v19, v28, v34
	s_waitcnt vmcnt(12)
	v_fmac_f32_e32 v19, v29, v35
	ds_read_b128 v[26:29], v7 offset:32
	s_waitcnt vmcnt(11) lgkmcnt(1)
	v_fmac_f32_e32 v19, v30, v36
	s_waitcnt vmcnt(10)
	v_fmac_f32_e32 v19, v31, v37
	s_waitcnt vmcnt(9)
	;; [unrolled: 2-line block ×3, first 2 shown]
	v_fmac_f32_e32 v19, v33, v39
	ds_read_b128 v[30:33], v7 offset:48
	s_waitcnt vmcnt(7) lgkmcnt(1)
	v_fmac_f32_e32 v19, v26, v40
	s_waitcnt vmcnt(6)
	v_fmac_f32_e32 v19, v27, v41
	s_waitcnt vmcnt(5)
	v_fmac_f32_e32 v19, v28, v42
	s_waitcnt vmcnt(4)
	v_fmac_f32_e32 v19, v29, v43
	s_waitcnt vmcnt(3) lgkmcnt(0)
	v_fmac_f32_e32 v19, v30, v44
	s_waitcnt vmcnt(2)
	v_fmac_f32_e32 v19, v31, v45
	s_waitcnt vmcnt(1)
	;; [unrolled: 2-line block ×3, first 2 shown]
	v_fmac_f32_e32 v19, v33, v18
	ds_bpermute_b32 v18, v20, v19
	v_cndmask_b32_e64 v20, v4, v11, s3
	v_lshlrev_b32_e32 v20, 2, v20
	s_waitcnt lgkmcnt(0)
	v_add_f32_e32 v18, v19, v18
	ds_bpermute_b32 v19, v20, v18
	s_and_saveexec_b32 s45, vcc_lo
	s_cbranch_execz .LBB2_11
; %bb.19:                               ;   in Loop: Header=BB2_13 Depth=1
	v_add_nc_u32_e32 v20, v12, v8
	s_waitcnt lgkmcnt(0)
	v_add_f32_e32 v18, v18, v19
	v_cvt_f32_i32_e32 v20, v20
	v_mul_f32_e32 v20, s41, v20
	v_cndmask_b32_e64 v19, 0, v20, s2
	v_max_f32_e32 v20, v5, v5
	v_fmac_f32_e32 v19, s37, v18
	v_add_nc_u32_e32 v18, v6, v8
	v_max_f32_e32 v20, v20, v19
	v_cmp_gt_i32_e64 s3, s27, v18
	v_cndmask_b32_e64 v18, 0, v19, s3
	v_cndmask_b32_e64 v5, v5, v20, s3
	ds_write_b32 v13, v18
	s_branch .LBB2_11
.LBB2_20:
	s_or_b32 exec_lo, exec_lo, s43
.LBB2_21:
	s_or_b32 exec_lo, exec_lo, s42
	v_xor_b32_e32 v1, 16, v4
	v_xor_b32_e32 v6, 8, v4
	v_max_f32_e32 v7, v5, v5
	v_and_b32_e32 v26, 31, v0
	v_cmp_gt_i32_e32 vcc_lo, 32, v1
	v_cndmask_b32_e32 v1, v4, v1, vcc_lo
	v_cmp_gt_i32_e32 vcc_lo, 32, v6
	v_lshlrev_b32_e32 v2, 2, v1
	ds_bpermute_b32 v1, v2, v5
	v_cndmask_b32_e32 v5, v4, v6, vcc_lo
	v_lshlrev_b32_e32 v5, 2, v5
	s_waitcnt lgkmcnt(0)
	v_max_f32_e32 v1, v1, v1
	v_max_f32_e32 v1, v7, v1
	v_xor_b32_e32 v7, 4, v4
	ds_bpermute_b32 v6, v5, v1
	v_cmp_gt_i32_e32 vcc_lo, 32, v7
	v_cndmask_b32_e32 v7, v4, v7, vcc_lo
	v_cmp_eq_u32_e32 vcc_lo, 0, v26
	v_lshlrev_b32_e32 v8, 2, v7
	s_waitcnt lgkmcnt(0)
	v_max_f32_e32 v6, v6, v6
	v_max_f32_e32 v1, v1, v6
	v_lshlrev_b32_e32 v6, 2, v24
	ds_bpermute_b32 v7, v8, v1
	s_and_saveexec_b32 s2, vcc_lo
	s_cbranch_execz .LBB2_23
; %bb.22:
	s_waitcnt lgkmcnt(0)
	v_max_f32_e32 v7, v7, v7
	v_max_f32_e32 v1, v1, v1
	;; [unrolled: 1-line block ×3, first 2 shown]
	ds_write_b32 v6, v1 offset:256
.LBB2_23:
	s_or_b32 exec_lo, exec_lo, s2
	v_cmp_gt_u32_e64 s2, 4, v26
	v_mov_b32_e32 v1, 0xff7fffff
	s_waitcnt lgkmcnt(0)
	v_lshlrev_b32_e32 v7, 2, v26
	s_barrier
	buffer_gl0_inv
	s_and_saveexec_b32 s3, s2
; %bb.24:
	ds_read_b32 v1, v7 offset:256
; %bb.25:
	s_or_b32 exec_lo, exec_lo, s3
	v_xor_b32_e32 v9, 2, v4
	v_xor_b32_e32 v11, 1, v4
	v_cmp_gt_i32_e64 s3, 32, v9
	v_cndmask_b32_e64 v9, v4, v9, s3
	v_cmp_gt_i32_e64 s3, 32, v11
	v_lshlrev_b32_e32 v9, 2, v9
	v_cndmask_b32_e64 v4, v4, v11, s3
	s_sub_i32 s3, s16, s12
	s_lshl_b32 s3, s3, 3
	s_waitcnt lgkmcnt(0)
	ds_bpermute_b32 v10, v9, v1
	v_max_f32_e32 v1, v1, v1
	v_lshlrev_b32_e32 v27, 2, v4
	s_add_i32 s3, s3, s39
	s_min_i32 s3, s3, s27
	s_sub_i32 s5, s3, s39
	v_cmp_gt_i32_e64 s3, s5, v0
	s_waitcnt lgkmcnt(0)
	v_max_f32_e32 v10, v10, v10
	v_max_f32_e32 v1, v1, v10
	v_mov_b32_e32 v10, 0
	ds_bpermute_b32 v4, v27, v1
	s_waitcnt lgkmcnt(0)
	v_max_f32_e32 v4, v4, v4
	v_max_f32_e32 v1, v1, v4
	v_lshl_add_u32 v4, v0, 2, 0x120
	ds_bpermute_b32 v1, v10, v1
	s_and_saveexec_b32 s15, s3
	s_cbranch_execz .LBB2_29
; %bb.26:
	v_lshl_add_u32 v11, v0, 2, 0x120
	v_mov_b32_e32 v10, 0
	v_mov_b32_e32 v12, v0
	s_mov_b32 s37, 0
	.p2align	6
.LBB2_27:                               ; =>This Inner Loop Header: Depth=1
	ds_read_b32 v13, v11
	v_add_nc_u32_e32 v12, 0x80, v12
	v_cmp_le_i32_e64 s4, s5, v12
	s_or_b32 s37, s4, s37
	s_waitcnt lgkmcnt(0)
	v_sub_f32_e32 v13, v13, v1
	v_mul_f32_e32 v13, 0x3fb8aa3b, v13
	v_exp_f32_e32 v13, v13
	ds_write_b32 v11, v13
	v_add_f32_e32 v10, v10, v13
	v_add_nc_u32_e32 v11, 0x200, v11
	s_andn2_b32 exec_lo, exec_lo, s37
	s_cbranch_execnz .LBB2_27
; %bb.28:
	s_or_b32 exec_lo, exec_lo, s37
.LBB2_29:
	s_or_b32 exec_lo, exec_lo, s15
	ds_bpermute_b32 v2, v2, v10
	s_waitcnt lgkmcnt(0)
	v_add_f32_e32 v2, v10, v2
	ds_bpermute_b32 v5, v5, v2
	s_waitcnt lgkmcnt(0)
	v_add_f32_e32 v2, v2, v5
	;; [unrolled: 3-line block ×5, first 2 shown]
	s_and_saveexec_b32 s4, vcc_lo
; %bb.30:
	ds_write_b32 v6, v2 offset:272
; %bb.31:
	s_or_b32 exec_lo, exec_lo, s4
	s_waitcnt lgkmcnt(0)
	s_barrier
	buffer_gl0_inv
	s_and_saveexec_b32 s4, s2
; %bb.32:
	ds_read_b32 v2, v7 offset:272
; %bb.33:
	s_or_b32 exec_lo, exec_lo, s4
	s_waitcnt lgkmcnt(0)
	ds_bpermute_b32 v5, v9, v2
	s_waitcnt lgkmcnt(0)
	v_add_f32_e32 v2, v2, v5
	ds_bpermute_b32 v5, v27, v2
	s_waitcnt lgkmcnt(0)
	v_add_f32_e32 v2, v2, v5
	v_mov_b32_e32 v5, 0
	ds_bpermute_b32 v2, v5, v2
	s_and_saveexec_b32 s2, s3
	s_cbranch_execz .LBB2_36
; %bb.34:
	s_waitcnt lgkmcnt(0)
	v_add_f32_e32 v5, 0x358637bd, v2
	s_mov_b32 s3, 0
	v_div_scale_f32 v6, null, v5, v5, 1.0
	v_div_scale_f32 v9, vcc_lo, 1.0, v5, 1.0
	v_rcp_f32_e32 v7, v6
	v_fma_f32 v8, -v6, v7, 1.0
	v_fmac_f32_e32 v7, v8, v7
	v_mul_f32_e32 v8, v9, v7
	v_fma_f32 v10, -v6, v8, v9
	v_fmac_f32_e32 v8, v10, v7
	v_fma_f32 v6, -v6, v8, v9
	v_div_fmas_f32 v6, v6, v7, v8
	v_div_fixup_f32 v5, v6, v5, 1.0
	v_mov_b32_e32 v6, v0
.LBB2_35:                               ; =>This Inner Loop Header: Depth=1
	ds_read_b32 v7, v4
	v_add_nc_u32_e32 v6, 0x80, v6
	v_cmp_le_i32_e32 vcc_lo, s5, v6
	s_or_b32 s3, vcc_lo, s3
	s_waitcnt lgkmcnt(0)
	v_mul_f32_e32 v7, v5, v7
	ds_write_b32 v4, v7
	v_add_nc_u32_e32 v4, 0x200, v4
	s_andn2_b32 exec_lo, exec_lo, s3
	s_cbranch_execnz .LBB2_35
.LBB2_36:
	s_or_b32 exec_lo, exec_lo, s2
	s_mul_i32 s2, s7, s26
	s_mov_b32 s4, exec_lo
	s_mul_i32 s2, s2, s9
	s_waitcnt lgkmcnt(0)
	s_barrier
	buffer_gl0_inv
	v_cmpx_eq_u32_e32 0, v0
	s_cbranch_execz .LBB2_38
; %bb.37:
	s_ashr_i32 s3, s2, 31
	s_mul_i32 s44, s7, s6
	s_lshl_b64 s[42:43], s[2:3], 2
	v_mov_b32_e32 v4, 0
	s_add_u32 s3, s22, s42
	s_addc_u32 s5, s23, s43
	s_ashr_i32 s45, s44, 31
	s_lshl_b64 s[22:23], s[44:45], 2
	s_add_u32 s3, s3, s22
	s_addc_u32 s5, s5, s23
	s_ashr_i32 s9, s8, 31
	s_lshl_b64 s[8:9], s[8:9], 2
	s_add_u32 s44, s3, s8
	s_addc_u32 s45, s5, s9
	s_add_u32 s3, s20, s42
	s_addc_u32 s5, s21, s43
	;; [unrolled: 2-line block ×4, first 2 shown]
	global_store_dword v4, v1, s[44:45]
	global_store_dword v4, v2, s[8:9]
.LBB2_38:
	s_or_b32 exec_lo, exec_lo, s4
	v_mov_b32_e32 v33, 0
	v_and_b32_e32 v28, 1, v0
	v_mov_b32_e32 v31, 0
	v_mov_b32_e32 v30, 0
	;; [unrolled: 1-line block ×3, first 2 shown]
	s_and_saveexec_b32 s3, s1
	s_cbranch_execz .LBB2_52
; %bb.39:
	s_ashr_i32 s15, s14, 31
	s_sub_i32 s4, s40, s17
	s_lshl_b64 s[8:9], s[14:15], 2
	v_and_b32_e32 v32, 4, v3
	s_add_u32 s1, s34, s8
	s_addc_u32 s6, s35, s9
	s_abs_i32 s5, s18
	v_lshlrev_b32_e32 v3, 4, v0
	v_cvt_f32_u32_e32 v1, s5
	s_sub_i32 s8, 0, s5
	v_lshlrev_b32_e32 v5, 4, v28
	s_add_i32 s36, s36, -1
	v_and_b32_e32 v3, 0x1f0, v3
	v_rcp_iflag_f32_e32 v1, v1
	v_mov_b32_e32 v29, 0
	v_lshl_or_b32 v5, v24, 5, v5
	v_mov_b32_e32 v30, 0
	v_add_co_u32 v34, s1, s1, v3
	v_mov_b32_e32 v31, 0
	v_add_co_ci_u32_e64 v35, null, s6, 0, s1
	v_add_nc_u32_e32 v36, 0x120, v5
	v_mul_f32_e32 v1, 0x4f7ffffe, v1
	v_mov_b32_e32 v33, 0
	s_mov_b32 s6, 0
	v_cvt_u32_f32_e32 v4, v1
	v_lshlrev_b64 v[1:2], 2, v[21:22]
	v_mul_lo_u32 v6, s8, v4
	s_lshl_b64 s[8:9], s[30:31], 2
	s_add_u32 s8, s28, s8
	s_addc_u32 s9, s29, s9
	v_add_co_u32 v22, vcc_lo, s8, v1
	v_add_co_ci_u32_e64 v23, null, s9, v2, vcc_lo
	v_mul_hi_u32 v6, v4, v6
	s_mov_b32 s8, s13
	v_add_nc_u32_e32 v37, v4, v6
	s_branch .LBB2_42
.LBB2_40:                               ;   in Loop: Header=BB2_42 Depth=1
	s_or_b32 exec_lo, exec_lo, s1
	s_waitcnt vmcnt(1) lgkmcnt(0)
	v_mul_f32_e32 v13, v1, v13
	v_mul_f32_e32 v9, v1, v9
	;; [unrolled: 1-line block ×3, first 2 shown]
	s_waitcnt vmcnt(0)
	v_mul_f32_e32 v1, v1, v17
	v_fmac_f32_e32 v13, v2, v14
	v_fmac_f32_e32 v9, v2, v10
	;; [unrolled: 1-line block ×12, first 2 shown]
	v_add_f32_e32 v30, v30, v13
	v_add_f32_e32 v31, v31, v9
	;; [unrolled: 1-line block ×4, first 2 shown]
.LBB2_41:                               ;   in Loop: Header=BB2_42 Depth=1
	s_or_b32 exec_lo, exec_lo, s9
	v_add_nc_u32_e32 v21, 4, v21
	v_add_co_u32 v22, s1, v22, 16
	v_add_co_ci_u32_e64 v23, null, 0, v23, s1
	v_cmp_le_i32_e32 vcc_lo, s16, v21
	v_add_nc_u32_e32 v25, 32, v25
	v_add_nc_u32_e32 v36, 0x80, v36
	s_or_b32 s6, vcc_lo, s6
	s_andn2_b32 exec_lo, exec_lo, s6
	s_cbranch_execz .LBB2_51
.LBB2_42:                               ; =>This Inner Loop Header: Depth=1
	v_sub_nc_u32_e32 v1, 0, v25
	v_max_i32_e32 v1, v25, v1
	v_mul_hi_u32 v2, v1, s33
	v_mul_lo_u32 v3, v2, s11
	v_sub_nc_u32_e32 v1, v1, v3
	v_add_nc_u32_e32 v3, 1, v2
	v_subrev_nc_u32_e32 v4, s11, v1
	v_cmp_le_u32_e32 vcc_lo, s11, v1
	v_cndmask_b32_e32 v2, v2, v3, vcc_lo
	v_cndmask_b32_e32 v1, v1, v4, vcc_lo
	v_ashrrev_i32_e32 v3, 31, v25
	v_add_nc_u32_e32 v4, 1, v2
	v_cmp_le_u32_e32 vcc_lo, s11, v1
	v_xor_b32_e32 v3, s19, v3
	v_cndmask_b32_e32 v1, v2, v4, vcc_lo
	v_xor_b32_e32 v1, v1, v3
	v_sub_nc_u32_e32 v1, v1, v3
	v_add_nc_u32_e32 v2, s38, v1
	v_cmp_lt_i32_e64 s1, s4, v1
	v_sub_nc_u32_e32 v3, 0, v2
	v_max_i32_e32 v3, v2, v3
	v_ashrrev_i32_e32 v2, 31, v2
	v_mul_hi_u32 v4, v3, v37
	v_mul_lo_u32 v4, v4, s5
	v_sub_nc_u32_e32 v3, v3, v4
	v_subrev_nc_u32_e32 v4, s5, v3
	v_cmp_le_u32_e32 vcc_lo, s5, v3
	v_cndmask_b32_e32 v3, v3, v4, vcc_lo
	v_subrev_nc_u32_e32 v4, s5, v3
	v_cmp_le_u32_e32 vcc_lo, s5, v3
	v_cndmask_b32_e32 v3, v3, v4, vcc_lo
	v_xor_b32_e32 v3, v3, v2
	v_sub_nc_u32_e32 v2, v3, v2
	v_cmp_eq_u32_e32 vcc_lo, 0, v2
	s_or_b32 s1, vcc_lo, s1
	s_and_saveexec_b32 s9, s1
	s_cbranch_execz .LBB2_41
; %bb.43:                               ;   in Loop: Header=BB2_42 Depth=1
	global_load_dword v1, v[22:23], off
	v_add_nc_u32_e32 v38, v32, v25
	v_add_nc_u32_e32 v41, 1, v38
	;; [unrolled: 1-line block ×4, first 2 shown]
	s_waitcnt vmcnt(0)
	v_mad_i64_i32 v[1:2], null, v1, s8, 0
	v_lshlrev_b64 v[1:2], 2, v[1:2]
	v_add_co_u32 v17, vcc_lo, v34, v1
	v_add_co_ci_u32_e64 v18, null, v35, v2, vcc_lo
	ds_read_b128 v[1:4], v36
	v_cmp_eq_u32_e32 vcc_lo, s36, v21
	global_load_dwordx4 v[5:8], v[17:18], off
	s_and_saveexec_b32 s13, vcc_lo
	s_cbranch_execnz .LBB2_47
; %bb.44:                               ;   in Loop: Header=BB2_42 Depth=1
	s_or_b32 exec_lo, exec_lo, s13
	global_load_dwordx4 v[9:12], v[17:18], off offset:512
	s_and_saveexec_b32 s13, vcc_lo
	s_cbranch_execnz .LBB2_48
.LBB2_45:                               ;   in Loop: Header=BB2_42 Depth=1
	s_or_b32 exec_lo, exec_lo, s13
	global_load_dwordx4 v[13:16], v[17:18], off offset:1024
	s_and_saveexec_b32 s13, vcc_lo
	s_cbranch_execnz .LBB2_49
.LBB2_46:                               ;   in Loop: Header=BB2_42 Depth=1
	s_or_b32 exec_lo, exec_lo, s13
	global_load_dwordx4 v[17:20], v[17:18], off offset:1536
	s_and_saveexec_b32 s1, vcc_lo
	s_cbranch_execz .LBB2_40
	s_branch .LBB2_50
.LBB2_47:                               ;   in Loop: Header=BB2_42 Depth=1
	v_cmp_gt_i32_e64 s1, s27, v38
	s_waitcnt vmcnt(0)
	v_cndmask_b32_e64 v5, 0, v5, s1
	v_cmp_gt_i32_e64 s1, s27, v41
	v_cndmask_b32_e64 v6, 0, v6, s1
	v_cmp_gt_i32_e64 s1, s27, v40
	;; [unrolled: 2-line block ×3, first 2 shown]
	v_cndmask_b32_e64 v8, 0, v8, s1
	s_or_b32 exec_lo, exec_lo, s13
	global_load_dwordx4 v[9:12], v[17:18], off offset:512
	s_and_saveexec_b32 s13, vcc_lo
	s_cbranch_execz .LBB2_45
.LBB2_48:                               ;   in Loop: Header=BB2_42 Depth=1
	v_cmp_gt_i32_e64 s1, s27, v38
	s_waitcnt vmcnt(0)
	v_cndmask_b32_e64 v9, 0, v9, s1
	v_cmp_gt_i32_e64 s1, s27, v41
	v_cndmask_b32_e64 v10, 0, v10, s1
	v_cmp_gt_i32_e64 s1, s27, v40
	;; [unrolled: 2-line block ×3, first 2 shown]
	v_cndmask_b32_e64 v12, 0, v12, s1
	s_or_b32 exec_lo, exec_lo, s13
	global_load_dwordx4 v[13:16], v[17:18], off offset:1024
	s_and_saveexec_b32 s13, vcc_lo
	s_cbranch_execz .LBB2_46
.LBB2_49:                               ;   in Loop: Header=BB2_42 Depth=1
	v_cmp_gt_i32_e64 s1, s27, v38
	s_waitcnt vmcnt(0)
	v_cndmask_b32_e64 v13, 0, v13, s1
	v_cmp_gt_i32_e64 s1, s27, v41
	v_cndmask_b32_e64 v14, 0, v14, s1
	v_cmp_gt_i32_e64 s1, s27, v40
	;; [unrolled: 2-line block ×3, first 2 shown]
	v_cndmask_b32_e64 v16, 0, v16, s1
	s_or_b32 exec_lo, exec_lo, s13
	global_load_dwordx4 v[17:20], v[17:18], off offset:1536
	s_and_saveexec_b32 s1, vcc_lo
	s_cbranch_execz .LBB2_40
.LBB2_50:                               ;   in Loop: Header=BB2_42 Depth=1
	v_cmp_gt_i32_e32 vcc_lo, s27, v38
	s_waitcnt vmcnt(0)
	v_cndmask_b32_e32 v17, 0, v17, vcc_lo
	v_cmp_gt_i32_e32 vcc_lo, s27, v41
	v_cndmask_b32_e32 v18, 0, v18, vcc_lo
	v_cmp_gt_i32_e32 vcc_lo, s27, v40
	;; [unrolled: 2-line block ×3, first 2 shown]
	v_cndmask_b32_e32 v20, 0, v20, vcc_lo
	s_branch .LBB2_40
.LBB2_51:
	s_or_b32 exec_lo, exec_lo, s6
.LBB2_52:
	s_or_b32 exec_lo, exec_lo, s3
	ds_bpermute_b32 v1, v27, v33
	ds_bpermute_b32 v2, v27, v31
	;; [unrolled: 1-line block ×4, first 2 shown]
	v_lshrrev_b32_e32 v5, 1, v26
	v_lshlrev_b32_e32 v7, 8, v24
	v_and_b32_e32 v8, 0x3c1, v0
	s_mov_b32 s1, exec_lo
	s_waitcnt lgkmcnt(0)
	s_waitcnt_vscnt null, 0x0
	v_lshl_add_u32 v6, v5, 2, 0x120
	s_barrier
	buffer_gl0_inv
	v_add_f32_e32 v1, v33, v1
	v_add_f32_e32 v2, v31, v2
	;; [unrolled: 1-line block ×4, first 2 shown]
	v_cmpx_eq_u32_e32 64, v8
	s_cbranch_execz .LBB2_54
; %bb.53:
	v_add_nc_u32_e32 v8, v6, v7
	v_add_nc_u32_e32 v9, 0xfffffe00, v8
	;; [unrolled: 1-line block ×5, first 2 shown]
	ds_write_b32 v9, v1
	ds_write_b32 v10, v2
	;; [unrolled: 1-line block ×4, first 2 shown]
.LBB2_54:
	s_or_b32 exec_lo, exec_lo, s1
	v_lshlrev_b32_e32 v5, 2, v5
	v_cmp_eq_u32_e32 vcc_lo, 0, v28
	s_waitcnt lgkmcnt(0)
	s_barrier
	buffer_gl0_inv
	v_add3_u32 v5, 0x120, v7, v5
	s_and_saveexec_b32 s1, s0
	s_cbranch_execz .LBB2_61
; %bb.55:
	s_and_saveexec_b32 s0, vcc_lo
	s_cbranch_execnz .LBB2_73
; %bb.56:
	s_or_b32 exec_lo, exec_lo, s0
	s_and_saveexec_b32 s0, vcc_lo
	s_cbranch_execnz .LBB2_74
.LBB2_57:
	s_or_b32 exec_lo, exec_lo, s0
	s_and_saveexec_b32 s0, vcc_lo
	s_cbranch_execnz .LBB2_75
.LBB2_58:
	s_or_b32 exec_lo, exec_lo, s0
	s_and_saveexec_b32 s0, vcc_lo
	s_cbranch_execz .LBB2_60
.LBB2_59:
	ds_read_b32 v7, v5 offset:192
	s_waitcnt lgkmcnt(0)
	v_add_f32_e32 v4, v4, v7
.LBB2_60:
	s_or_b32 exec_lo, exec_lo, s0
.LBB2_61:
	s_or_b32 exec_lo, exec_lo, s1
	v_and_b32_e32 v7, 0x3e1, v0
	s_mov_b32 s1, exec_lo
	s_barrier
	buffer_gl0_inv
	v_cmpx_eq_u32_e32 32, v7
	s_cbranch_execz .LBB2_63
; %bb.62:
	ds_write2_b32 v6, v1, v2 offset1:16
	ds_write2_b32 v6, v3, v4 offset0:32 offset1:48
.LBB2_63:
	s_or_b32 exec_lo, exec_lo, s1
	s_mov_b32 s1, exec_lo
	s_waitcnt lgkmcnt(0)
	s_barrier
	buffer_gl0_inv
	v_cmpx_gt_u32_e32 32, v0
	s_cbranch_execz .LBB2_70
; %bb.64:
	s_and_saveexec_b32 s0, vcc_lo
	s_cbranch_execnz .LBB2_76
; %bb.65:
	s_or_b32 exec_lo, exec_lo, s0
	s_and_saveexec_b32 s0, vcc_lo
	s_cbranch_execnz .LBB2_77
.LBB2_66:
	s_or_b32 exec_lo, exec_lo, s0
	s_and_saveexec_b32 s0, vcc_lo
	s_cbranch_execnz .LBB2_78
.LBB2_67:
	s_or_b32 exec_lo, exec_lo, s0
	s_and_saveexec_b32 s0, vcc_lo
	s_cbranch_execz .LBB2_69
.LBB2_68:
	ds_read_b32 v5, v5 offset:192
	s_waitcnt lgkmcnt(0)
	v_add_f32_e32 v4, v4, v5
.LBB2_69:
	s_or_b32 exec_lo, exec_lo, s0
.LBB2_70:
	s_or_b32 exec_lo, exec_lo, s1
	s_barrier
	buffer_gl0_inv
	s_mov_b32 s0, exec_lo
	v_cmpx_eq_u32_e32 0, v7
	s_cbranch_execz .LBB2_72
; %bb.71:
	s_lshl_b32 s0, s2, 6
	s_mul_i32 s2, s7, s10
	s_ashr_i32 s1, s0, 31
	v_lshlrev_b32_e32 v0, 1, v0
	s_lshl_b64 s[0:1], s[0:1], 2
	s_add_u32 s4, s24, s0
	s_addc_u32 s5, s25, s1
	s_ashr_i32 s3, s2, 31
	s_lshl_b64 s[0:1], s[2:3], 2
	s_add_u32 s2, s4, s0
	s_addc_u32 s3, s5, s1
	s_ashr_i32 s13, s12, 31
	s_lshl_b64 s[0:1], s[12:13], 2
	s_add_u32 s0, s2, s0
	s_addc_u32 s1, s3, s1
	global_store_dword v0, v1, s[0:1]
	global_store_dword v0, v2, s[0:1] offset:64
	global_store_dword v0, v3, s[0:1] offset:128
	;; [unrolled: 1-line block ×3, first 2 shown]
.LBB2_72:
	s_endpgm
.LBB2_73:
	ds_read_b32 v7, v5
	s_waitcnt lgkmcnt(0)
	v_add_f32_e32 v1, v1, v7
	s_or_b32 exec_lo, exec_lo, s0
	s_and_saveexec_b32 s0, vcc_lo
	s_cbranch_execz .LBB2_57
.LBB2_74:
	ds_read_b32 v7, v5 offset:64
	s_waitcnt lgkmcnt(0)
	v_add_f32_e32 v2, v2, v7
	s_or_b32 exec_lo, exec_lo, s0
	s_and_saveexec_b32 s0, vcc_lo
	s_cbranch_execz .LBB2_58
.LBB2_75:
	ds_read_b32 v7, v5 offset:128
	s_waitcnt lgkmcnt(0)
	v_add_f32_e32 v3, v3, v7
	s_or_b32 exec_lo, exec_lo, s0
	s_and_saveexec_b32 s0, vcc_lo
	s_cbranch_execnz .LBB2_59
	s_branch .LBB2_60
.LBB2_76:
	ds_read_b32 v6, v5
	s_waitcnt lgkmcnt(0)
	v_add_f32_e32 v1, v1, v6
	s_or_b32 exec_lo, exec_lo, s0
	s_and_saveexec_b32 s0, vcc_lo
	s_cbranch_execz .LBB2_66
.LBB2_77:
	ds_read_b32 v6, v5 offset:64
	s_waitcnt lgkmcnt(0)
	v_add_f32_e32 v2, v2, v6
	s_or_b32 exec_lo, exec_lo, s0
	s_and_saveexec_b32 s0, vcc_lo
	s_cbranch_execz .LBB2_67
.LBB2_78:
	ds_read_b32 v6, v5 offset:128
	s_waitcnt lgkmcnt(0)
	v_add_f32_e32 v3, v3, v6
	s_or_b32 exec_lo, exec_lo, s0
	s_and_saveexec_b32 s0, vcc_lo
	s_cbranch_execnz .LBB2_68
	s_branch .LBB2_69
	.section	.rodata,"a",@progbits
	.p2align	6, 0x0
	.amdhsa_kernel _ZN4vllm25paged_attention_v2_kernelIffLi64ELi8ELi128ELNS_18Fp8KVCacheDataTypeE0ELb1ELi512EEEvPfS2_PT_PKS3_PKT0_S9_ifPKiSB_iPKfiiiSD_SD_iiiii
		.amdhsa_group_segment_fixed_size 288
		.amdhsa_private_segment_fixed_size 0
		.amdhsa_kernarg_size 400
		.amdhsa_user_sgpr_count 6
		.amdhsa_user_sgpr_private_segment_buffer 1
		.amdhsa_user_sgpr_dispatch_ptr 0
		.amdhsa_user_sgpr_queue_ptr 0
		.amdhsa_user_sgpr_kernarg_segment_ptr 1
		.amdhsa_user_sgpr_dispatch_id 0
		.amdhsa_user_sgpr_flat_scratch_init 0
		.amdhsa_user_sgpr_private_segment_size 0
		.amdhsa_wavefront_size32 1
		.amdhsa_uses_dynamic_stack 0
		.amdhsa_system_sgpr_private_segment_wavefront_offset 0
		.amdhsa_system_sgpr_workgroup_id_x 1
		.amdhsa_system_sgpr_workgroup_id_y 1
		.amdhsa_system_sgpr_workgroup_id_z 1
		.amdhsa_system_sgpr_workgroup_info 0
		.amdhsa_system_vgpr_workitem_id 0
		.amdhsa_next_free_vgpr 47
		.amdhsa_next_free_sgpr 46
		.amdhsa_reserve_vcc 1
		.amdhsa_reserve_flat_scratch 0
		.amdhsa_float_round_mode_32 0
		.amdhsa_float_round_mode_16_64 0
		.amdhsa_float_denorm_mode_32 3
		.amdhsa_float_denorm_mode_16_64 3
		.amdhsa_dx10_clamp 1
		.amdhsa_ieee_mode 1
		.amdhsa_fp16_overflow 0
		.amdhsa_workgroup_processor_mode 1
		.amdhsa_memory_ordered 1
		.amdhsa_forward_progress 1
		.amdhsa_shared_vgpr_count 0
		.amdhsa_exception_fp_ieee_invalid_op 0
		.amdhsa_exception_fp_denorm_src 0
		.amdhsa_exception_fp_ieee_div_zero 0
		.amdhsa_exception_fp_ieee_overflow 0
		.amdhsa_exception_fp_ieee_underflow 0
		.amdhsa_exception_fp_ieee_inexact 0
		.amdhsa_exception_int_div_zero 0
	.end_amdhsa_kernel
	.section	.text._ZN4vllm25paged_attention_v2_kernelIffLi64ELi8ELi128ELNS_18Fp8KVCacheDataTypeE0ELb1ELi512EEEvPfS2_PT_PKS3_PKT0_S9_ifPKiSB_iPKfiiiSD_SD_iiiii,"axG",@progbits,_ZN4vllm25paged_attention_v2_kernelIffLi64ELi8ELi128ELNS_18Fp8KVCacheDataTypeE0ELb1ELi512EEEvPfS2_PT_PKS3_PKT0_S9_ifPKiSB_iPKfiiiSD_SD_iiiii,comdat
.Lfunc_end2:
	.size	_ZN4vllm25paged_attention_v2_kernelIffLi64ELi8ELi128ELNS_18Fp8KVCacheDataTypeE0ELb1ELi512EEEvPfS2_PT_PKS3_PKT0_S9_ifPKiSB_iPKfiiiSD_SD_iiiii, .Lfunc_end2-_ZN4vllm25paged_attention_v2_kernelIffLi64ELi8ELi128ELNS_18Fp8KVCacheDataTypeE0ELb1ELi512EEEvPfS2_PT_PKS3_PKT0_S9_ifPKiSB_iPKfiiiSD_SD_iiiii
                                        ; -- End function
	.set _ZN4vllm25paged_attention_v2_kernelIffLi64ELi8ELi128ELNS_18Fp8KVCacheDataTypeE0ELb1ELi512EEEvPfS2_PT_PKS3_PKT0_S9_ifPKiSB_iPKfiiiSD_SD_iiiii.num_vgpr, 47
	.set _ZN4vllm25paged_attention_v2_kernelIffLi64ELi8ELi128ELNS_18Fp8KVCacheDataTypeE0ELb1ELi512EEEvPfS2_PT_PKS3_PKT0_S9_ifPKiSB_iPKfiiiSD_SD_iiiii.num_agpr, 0
	.set _ZN4vllm25paged_attention_v2_kernelIffLi64ELi8ELi128ELNS_18Fp8KVCacheDataTypeE0ELb1ELi512EEEvPfS2_PT_PKS3_PKT0_S9_ifPKiSB_iPKfiiiSD_SD_iiiii.numbered_sgpr, 46
	.set _ZN4vllm25paged_attention_v2_kernelIffLi64ELi8ELi128ELNS_18Fp8KVCacheDataTypeE0ELb1ELi512EEEvPfS2_PT_PKS3_PKT0_S9_ifPKiSB_iPKfiiiSD_SD_iiiii.num_named_barrier, 0
	.set _ZN4vllm25paged_attention_v2_kernelIffLi64ELi8ELi128ELNS_18Fp8KVCacheDataTypeE0ELb1ELi512EEEvPfS2_PT_PKS3_PKT0_S9_ifPKiSB_iPKfiiiSD_SD_iiiii.private_seg_size, 0
	.set _ZN4vllm25paged_attention_v2_kernelIffLi64ELi8ELi128ELNS_18Fp8KVCacheDataTypeE0ELb1ELi512EEEvPfS2_PT_PKS3_PKT0_S9_ifPKiSB_iPKfiiiSD_SD_iiiii.uses_vcc, 1
	.set _ZN4vllm25paged_attention_v2_kernelIffLi64ELi8ELi128ELNS_18Fp8KVCacheDataTypeE0ELb1ELi512EEEvPfS2_PT_PKS3_PKT0_S9_ifPKiSB_iPKfiiiSD_SD_iiiii.uses_flat_scratch, 0
	.set _ZN4vllm25paged_attention_v2_kernelIffLi64ELi8ELi128ELNS_18Fp8KVCacheDataTypeE0ELb1ELi512EEEvPfS2_PT_PKS3_PKT0_S9_ifPKiSB_iPKfiiiSD_SD_iiiii.has_dyn_sized_stack, 0
	.set _ZN4vllm25paged_attention_v2_kernelIffLi64ELi8ELi128ELNS_18Fp8KVCacheDataTypeE0ELb1ELi512EEEvPfS2_PT_PKS3_PKT0_S9_ifPKiSB_iPKfiiiSD_SD_iiiii.has_recursion, 0
	.set _ZN4vllm25paged_attention_v2_kernelIffLi64ELi8ELi128ELNS_18Fp8KVCacheDataTypeE0ELb1ELi512EEEvPfS2_PT_PKS3_PKT0_S9_ifPKiSB_iPKfiiiSD_SD_iiiii.has_indirect_call, 0
	.section	.AMDGPU.csdata,"",@progbits
; Kernel info:
; codeLenInByte = 4588
; TotalNumSgprs: 48
; NumVgprs: 47
; ScratchSize: 0
; MemoryBound: 0
; FloatMode: 240
; IeeeMode: 1
; LDSByteSize: 288 bytes/workgroup (compile time only)
; SGPRBlocks: 0
; VGPRBlocks: 5
; NumSGPRsForWavesPerEU: 48
; NumVGPRsForWavesPerEU: 47
; Occupancy: 16
; WaveLimiterHint : 1
; COMPUTE_PGM_RSRC2:SCRATCH_EN: 0
; COMPUTE_PGM_RSRC2:USER_SGPR: 6
; COMPUTE_PGM_RSRC2:TRAP_HANDLER: 0
; COMPUTE_PGM_RSRC2:TGID_X_EN: 1
; COMPUTE_PGM_RSRC2:TGID_Y_EN: 1
; COMPUTE_PGM_RSRC2:TGID_Z_EN: 1
; COMPUTE_PGM_RSRC2:TIDIG_COMP_CNT: 0
	.section	.text._ZN4vllm32paged_attention_v2_reduce_kernelIfLi64ELi128ELi512EEEvPT_PKfS4_PKS1_PKii,"axG",@progbits,_ZN4vllm32paged_attention_v2_reduce_kernelIfLi64ELi128ELi512EEEvPT_PKfS4_PKS1_PKii,comdat
	.protected	_ZN4vllm32paged_attention_v2_reduce_kernelIfLi64ELi128ELi512EEEvPT_PKfS4_PKS1_PKii ; -- Begin function _ZN4vllm32paged_attention_v2_reduce_kernelIfLi64ELi128ELi512EEEvPT_PKfS4_PKS1_PKii
	.globl	_ZN4vllm32paged_attention_v2_reduce_kernelIfLi64ELi128ELi512EEEvPT_PKfS4_PKS1_PKii
	.p2align	8
	.type	_ZN4vllm32paged_attention_v2_reduce_kernelIfLi64ELi128ELi512EEEvPT_PKfS4_PKS1_PKii,@function
_ZN4vllm32paged_attention_v2_reduce_kernelIfLi64ELi128ELi512EEEvPT_PKfS4_PKS1_PKii: ; @_ZN4vllm32paged_attention_v2_reduce_kernelIfLi64ELi128ELi512EEEvPT_PKfS4_PKS1_PKii
; %bb.0:
	s_load_dwordx4 s[8:11], s[4:5], 0x18
	s_add_u32 s12, s4, 48
	s_mov_b32 s14, s7
	s_addc_u32 s13, s5, 0
	s_ashr_i32 s15, s7, 31
	s_lshl_b64 s[0:1], s[14:15], 2
	s_waitcnt lgkmcnt(0)
	s_add_u32 s0, s10, s0
	s_addc_u32 s1, s11, s1
	s_load_dword s22, s[0:1], 0x0
	s_clause 0x2
	s_load_dwordx2 s[10:11], s[4:5], 0x0
	s_load_dword s7, s[4:5], 0x28
	s_load_dword s15, s[4:5], 0x30
	s_waitcnt lgkmcnt(0)
	s_add_i32 s0, s22, -1
	s_cmpk_gt_u32 s0, 0x1ff
	s_mov_b32 s0, -1
	s_cbranch_scc0 .LBB3_25
; %bb.1:
	s_load_dwordx2 s[2:3], s[4:5], 0x8
	s_add_i32 s0, s22, 0x1ff
	s_mul_i32 s20, s15, s14
	s_ashr_i32 s1, s0, 31
	v_mov_b32_e32 v3, 0xff7fffff
	s_lshr_b32 s1, s1, 23
	s_mul_i32 s16, s20, s7
	s_add_i32 s0, s0, s1
	s_mul_i32 s18, s7, s6
	s_ashr_i32 s21, s0, 9
	s_ashr_i32 s17, s16, 31
	v_cmp_gt_i32_e32 vcc_lo, s21, v0
	s_ashr_i32 s19, s18, 31
	s_and_saveexec_b32 s1, vcc_lo
	s_cbranch_execz .LBB3_5
; %bb.2:
	s_load_dword s0, s[12:13], 0xc
	s_load_dwordx2 s[24:25], s[4:5], 0x10
	s_lshl_b64 s[26:27], s[16:17], 2
	s_lshl_b64 s[28:29], s[18:19], 2
	v_lshlrev_b32_e32 v1, 2, v0
	v_mov_b32_e32 v3, 0xff7fffff
	v_mov_b32_e32 v5, v0
	v_add_nc_u32_e32 v4, 32, v1
	s_waitcnt lgkmcnt(0)
	s_and_b32 s4, s0, 0xffff
	s_add_u32 s0, s26, s28
	s_addc_u32 s5, s27, s29
	s_add_u32 s0, s24, s0
	s_addc_u32 s5, s25, s5
	v_add_co_u32 v1, s0, s0, v1
	v_add_co_ci_u32_e64 v2, null, s5, 0, s0
	s_mov_b32 s5, 0
	s_lshl_b32 s23, s4, 2
	.p2align	6
.LBB3_3:                                ; =>This Inner Loop Header: Depth=1
	global_load_dword v6, v[1:2], off
	v_add_nc_u32_e32 v5, s4, v5
	v_max_f32_e32 v3, v3, v3
	v_add_co_u32 v1, s0, v1, s23
	v_add_co_ci_u32_e64 v2, null, 0, v2, s0
	v_cmp_le_i32_e64 s0, s21, v5
	s_or_b32 s5, s0, s5
	s_waitcnt vmcnt(0)
	v_max_f32_e32 v7, v6, v6
	ds_write_b32 v4, v6
	v_add_nc_u32_e32 v4, s23, v4
	v_max_f32_e32 v3, v3, v7
	s_andn2_b32 exec_lo, exec_lo, s5
	s_cbranch_execnz .LBB3_3
; %bb.4:
	s_or_b32 exec_lo, exec_lo, s5
.LBB3_5:
	s_or_b32 exec_lo, exec_lo, s1
	v_mbcnt_lo_u32_b32 v1, -1, 0
	s_waitcnt lgkmcnt(0)
	s_barrier
	buffer_gl0_inv
	v_xor_b32_e32 v2, 16, v1
	v_xor_b32_e32 v4, 8, v1
	v_cmp_gt_i32_e64 s0, 32, v2
	v_cndmask_b32_e64 v2, v1, v2, s0
	v_cmp_gt_i32_e64 s0, 32, v4
	v_lshlrev_b32_e32 v5, 2, v2
	v_cndmask_b32_e64 v4, v1, v4, s0
	ds_bpermute_b32 v2, v5, v3
	v_max_f32_e32 v3, v3, v3
	v_lshlrev_b32_e32 v6, 2, v4
	v_xor_b32_e32 v4, 4, v1
	v_cmp_gt_i32_e64 s0, 32, v4
	v_cndmask_b32_e64 v4, v1, v4, s0
	v_lshlrev_b32_e32 v7, 2, v4
	v_xor_b32_e32 v4, 2, v1
	s_waitcnt lgkmcnt(0)
	v_max_f32_e32 v2, v2, v2
	v_cmp_gt_i32_e64 s0, 32, v4
	v_max_f32_e32 v2, v3, v2
	v_cndmask_b32_e64 v4, v1, v4, s0
	ds_bpermute_b32 v3, v6, v2
	s_waitcnt lgkmcnt(0)
	v_max_f32_e32 v3, v3, v3
	v_max_f32_e32 v2, v2, v3
	ds_bpermute_b32 v3, v7, v2
	s_waitcnt lgkmcnt(0)
	v_max_f32_e32 v8, v3, v3
	v_lshlrev_b32_e32 v3, 2, v4
	v_max_f32_e32 v2, v2, v8
	v_xor_b32_e32 v8, 1, v1
	ds_bpermute_b32 v4, v3, v2
	v_cmp_gt_i32_e64 s0, 32, v8
	v_cndmask_b32_e64 v1, v1, v8, s0
	v_lshrrev_b32_e32 v8, 5, v0
	v_lshlrev_b32_e32 v8, 2, v8
	s_waitcnt lgkmcnt(0)
	v_max_f32_e32 v4, v4, v4
	v_max_f32_e32 v2, v2, v4
	v_lshlrev_b32_e32 v4, 2, v1
	v_and_b32_e32 v1, 31, v0
	ds_bpermute_b32 v9, v4, v2
	v_cmp_eq_u32_e64 s0, 0, v1
	s_and_saveexec_b32 s1, s0
	s_cbranch_execz .LBB3_7
; %bb.6:
	s_waitcnt lgkmcnt(0)
	v_max_f32_e32 v9, v9, v9
	v_max_f32_e32 v2, v2, v2
	;; [unrolled: 1-line block ×3, first 2 shown]
	ds_write_b32 v8, v2
.LBB3_7:
	s_or_b32 exec_lo, exec_lo, s1
	v_cmp_gt_u32_e64 s1, 4, v1
	v_mov_b32_e32 v2, 0xff7fffff
	s_waitcnt lgkmcnt(0)
	v_lshlrev_b32_e32 v9, 2, v1
	s_barrier
	buffer_gl0_inv
	s_and_saveexec_b32 s4, s1
; %bb.8:
	ds_read_b32 v2, v9
; %bb.9:
	s_or_b32 exec_lo, exec_lo, s4
	s_waitcnt lgkmcnt(0)
	ds_bpermute_b32 v1, v3, v2
	v_max_f32_e32 v2, v2, v2
	v_mov_b32_e32 v10, 0
	s_lshl_b32 s4, s21, 2
	s_waitcnt lgkmcnt(0)
	v_max_f32_e32 v1, v1, v1
	v_max_f32_e32 v1, v2, v1
	ds_bpermute_b32 v2, v4, v1
	s_waitcnt lgkmcnt(0)
	v_max_f32_e32 v2, v2, v2
	v_max_f32_e32 v1, v1, v2
	ds_bpermute_b32 v11, v10, v1
	s_and_saveexec_b32 s5, vcc_lo
	s_cbranch_execz .LBB3_13
; %bb.10:
	s_load_dword s23, s[12:13], 0xc
	s_lshl_b64 s[24:25], s[16:17], 2
	s_lshl_b64 s[26:27], s[18:19], 2
	v_lshlrev_b32_e32 v1, 2, v0
	v_mov_b32_e32 v10, 0
	v_mov_b32_e32 v13, v0
	v_add_nc_u32_e32 v12, 32, v1
	s_waitcnt lgkmcnt(0)
	s_and_b32 s17, s23, 0xffff
	s_add_u32 s19, s24, s26
	s_addc_u32 s23, s25, s27
	s_add_u32 s2, s2, s19
	s_addc_u32 s3, s3, s23
	v_add_co_u32 v1, s2, s2, v1
	v_add_co_ci_u32_e64 v2, null, s3, 0, s2
	s_mov_b32 s3, 0
	s_lshl_b32 s19, s17, 2
	s_inst_prefetch 0x1
	.p2align	6
.LBB3_11:                               ; =>This Inner Loop Header: Depth=1
	global_load_dword v14, v[1:2], off
	ds_read_b32 v15, v12
	v_add_nc_u32_e32 v13, s17, v13
	s_waitcnt lgkmcnt(0)
	v_sub_f32_e32 v15, v15, v11
	v_mul_f32_e32 v16, 0x3fb8aa3b, v15
	v_cmp_ngt_f32_e32 vcc_lo, 0xc2ce8ed0, v15
	v_cmp_nlt_f32_e64 s2, 0x42b17218, v15
	v_fma_f32 v17, 0x3fb8aa3b, v15, -v16
	v_rndne_f32_e32 v18, v16
	v_fmac_f32_e32 v17, 0x32a5705f, v15
	v_sub_f32_e32 v16, v16, v18
	v_add_f32_e32 v16, v16, v17
	v_cvt_i32_f32_e32 v17, v18
	v_exp_f32_e32 v16, v16
	v_ldexp_f32 v16, v16, v17
	v_add_nc_u32_e32 v17, s4, v12
	v_add_nc_u32_e32 v12, s19, v12
	v_cndmask_b32_e32 v16, 0, v16, vcc_lo
	v_add_co_u32 v1, vcc_lo, v1, s19
	v_add_co_ci_u32_e64 v2, null, 0, v2, vcc_lo
	v_cndmask_b32_e64 v15, 0x7f800000, v16, s2
	v_cmp_le_i32_e32 vcc_lo, s21, v13
	s_or_b32 s3, vcc_lo, s3
	s_waitcnt vmcnt(0)
	v_mul_f32_e32 v16, v14, v15
	v_fmac_f32_e32 v10, v14, v15
	ds_write_b32 v17, v16
	s_andn2_b32 exec_lo, exec_lo, s3
	s_cbranch_execnz .LBB3_11
; %bb.12:
	s_inst_prefetch 0x2
	s_or_b32 exec_lo, exec_lo, s3
.LBB3_13:
	s_or_b32 exec_lo, exec_lo, s5
	ds_bpermute_b32 v1, v5, v10
	s_waitcnt lgkmcnt(0)
	s_barrier
	buffer_gl0_inv
	v_add_f32_e32 v1, v10, v1
	ds_bpermute_b32 v2, v6, v1
	s_waitcnt lgkmcnt(0)
	v_add_f32_e32 v1, v1, v2
	ds_bpermute_b32 v2, v7, v1
	s_waitcnt lgkmcnt(0)
	;; [unrolled: 3-line block ×4, first 2 shown]
	v_add_f32_e32 v1, v1, v2
	s_and_saveexec_b32 s2, s0
; %bb.14:
	ds_write_b32 v8, v1 offset:16
; %bb.15:
	s_or_b32 exec_lo, exec_lo, s2
	s_waitcnt lgkmcnt(0)
	s_barrier
	buffer_gl0_inv
	s_and_saveexec_b32 s0, s1
; %bb.16:
	ds_read_b32 v1, v9 offset:16
; %bb.17:
	s_or_b32 exec_lo, exec_lo, s0
	s_waitcnt lgkmcnt(0)
	ds_bpermute_b32 v2, v3, v1
	s_mov_b32 s0, exec_lo
	s_waitcnt lgkmcnt(0)
	v_add_f32_e32 v1, v1, v2
	ds_bpermute_b32 v2, v4, v1
	s_waitcnt lgkmcnt(0)
	v_add_f32_e32 v1, v1, v2
	v_mov_b32_e32 v2, 0
	ds_bpermute_b32 v2, v2, v1
	v_cmpx_gt_u32_e32 64, v0
	s_cbranch_execz .LBB3_24
; %bb.18:
	s_cmp_gt_i32 s22, 0
	s_mov_b32 s1, 0
	s_cbranch_scc1 .LBB3_20
; %bb.19:
	v_mov_b32_e32 v1, 0
	v_mov_b32_e32 v4, 0
	s_andn2_b32 vcc_lo, exec_lo, s1
	s_cbranch_vccz .LBB3_21
	s_branch .LBB3_23
.LBB3_20:
	v_mov_b32_e32 v4, 0
.LBB3_21:
	s_waitcnt lgkmcnt(0)
	v_add_f32_e32 v4, 0x358637bd, v2
	s_lshl_b32 s16, s16, 6
	s_lshl_b32 s18, s18, 6
	s_ashr_i32 s17, s16, 31
	s_ashr_i32 s19, s18, 31
	v_div_scale_f32 v2, null, v4, v4, 1.0
	v_div_scale_f32 v5, vcc_lo, 1.0, v4, 1.0
	s_add_i32 s2, s4, 32
	v_rcp_f32_e32 v3, v2
	s_lshl_b64 s[4:5], s[16:17], 2
	s_lshl_b64 s[16:17], s[18:19], 2
	s_max_i32 s1, s21, 1
	s_add_u32 s3, s4, s16
	s_addc_u32 s4, s5, s17
	s_add_u32 s3, s8, s3
	s_addc_u32 s4, s9, s4
	v_fma_f32 v1, -v2, v3, 1.0
	v_fmac_f32_e32 v3, v1, v3
	v_mov_b32_e32 v1, 0
	v_mul_f32_e32 v6, v5, v3
	v_fma_f32 v7, -v2, v6, v5
	v_fmac_f32_e32 v6, v7, v3
	v_lshlrev_b32_e32 v7, 2, v0
	v_fma_f32 v2, -v2, v6, v5
	v_div_fmas_f32 v5, v2, v3, v6
	v_add_co_u32 v2, s3, s3, v7
	v_add_co_ci_u32_e64 v3, null, s4, 0, s3
	v_div_fixup_f32 v5, v5, v4, 1.0
	v_mov_b32_e32 v4, v1
.LBB3_22:                               ; =>This Inner Loop Header: Depth=1
	global_load_dword v6, v[2:3], off
	v_mov_b32_e32 v7, s2
	v_add_co_u32 v2, vcc_lo, 0x100, v2
	v_add_co_ci_u32_e64 v3, null, 0, v3, vcc_lo
	ds_read_b32 v7, v7
	s_add_i32 s1, s1, -1
	s_add_i32 s2, s2, 4
	s_cmp_eq_u32 s1, 0
	s_waitcnt vmcnt(0) lgkmcnt(0)
	v_mul_f32_e32 v6, v6, v7
	v_fmac_f32_e32 v4, v5, v6
	s_cbranch_scc0 .LBB3_22
.LBB3_23:
	s_lshl_b32 s2, s20, 6
	s_waitcnt lgkmcnt(0)
	v_lshlrev_b64 v[1:2], 2, v[0:1]
	s_ashr_i32 s3, s2, 31
	s_lshl_b64 s[2:3], s[2:3], 2
	s_add_u32 s1, s10, s2
	s_addc_u32 s4, s11, s3
	s_lshl_b32 s2, s6, 6
	s_ashr_i32 s3, s2, 31
	s_lshl_b64 s[2:3], s[2:3], 2
	s_add_u32 s1, s1, s2
	s_addc_u32 s2, s4, s3
	v_add_co_u32 v1, vcc_lo, s1, v1
	v_add_co_ci_u32_e64 v2, null, s2, v2, vcc_lo
	global_store_dword v[1:2], v4, off
.LBB3_24:
	s_or_b32 exec_lo, exec_lo, s0
	s_mov_b32 s0, 0
.LBB3_25:
	s_and_b32 vcc_lo, exec_lo, s0
	s_cbranch_vccz .LBB3_29
; %bb.26:
	s_mov_b32 s0, exec_lo
	v_cmpx_gt_u32_e32 64, v0
	s_cbranch_execz .LBB3_29
; %bb.27:
	s_mul_i32 s15, s15, s14
	v_lshlrev_b32_e32 v1, 2, v0
	s_lshl_b32 s0, s15, 6
	s_waitcnt lgkmcnt(0)
	v_mov_b32_e32 v2, 0
	s_ashr_i32 s1, s0, 31
	s_lshl_b64 s[0:1], s[0:1], 2
	s_add_u32 s4, s10, s0
	s_addc_u32 s5, s11, s1
	s_lshl_b32 s0, s6, 6
	s_load_dword s10, s[12:13], 0xc
	s_ashr_i32 s1, s0, 31
	s_lshl_b64 s[2:3], s[0:1], 2
	s_mul_i32 s0, s7, s15
	s_add_u32 s1, s4, s2
	s_addc_u32 s2, s5, s3
	s_lshl_b32 s4, s0, 6
	s_mul_i32 s7, s7, s6
	s_ashr_i32 s5, s4, 31
	s_lshl_b64 s[4:5], s[4:5], 2
	s_add_u32 s0, s8, s4
	s_addc_u32 s6, s9, s5
	s_lshl_b32 s4, s7, 6
	s_ashr_i32 s5, s4, 31
	s_lshl_b64 s[4:5], s[4:5], 2
	s_add_u32 s3, s0, s4
	s_addc_u32 s4, s6, s5
	s_waitcnt lgkmcnt(0)
	s_and_b32 s5, s10, 0xffff
	s_mov_b32 s6, 0
	s_lshl_b32 s7, s5, 2
	.p2align	6
.LBB3_28:                               ; =>This Inner Loop Header: Depth=1
	v_add_co_u32 v3, vcc_lo, s3, v1
	v_add_co_ci_u32_e64 v4, null, s4, v2, vcc_lo
	v_add_nc_u32_e32 v0, s5, v0
	global_load_dword v5, v[3:4], off
	v_add_co_u32 v3, vcc_lo, s1, v1
	v_add_co_ci_u32_e64 v4, null, s2, v2, vcc_lo
	v_cmp_lt_u32_e32 vcc_lo, 63, v0
	v_add_co_u32 v1, s0, v1, s7
	v_add_co_ci_u32_e64 v2, null, 0, v2, s0
	s_or_b32 s6, vcc_lo, s6
	s_waitcnt vmcnt(0)
	global_store_dword v[3:4], v5, off
	s_andn2_b32 exec_lo, exec_lo, s6
	s_cbranch_execnz .LBB3_28
.LBB3_29:
	s_endpgm
	.section	.rodata,"a",@progbits
	.p2align	6, 0x0
	.amdhsa_kernel _ZN4vllm32paged_attention_v2_reduce_kernelIfLi64ELi128ELi512EEEvPT_PKfS4_PKS1_PKii
		.amdhsa_group_segment_fixed_size 32
		.amdhsa_private_segment_fixed_size 0
		.amdhsa_kernarg_size 304
		.amdhsa_user_sgpr_count 6
		.amdhsa_user_sgpr_private_segment_buffer 1
		.amdhsa_user_sgpr_dispatch_ptr 0
		.amdhsa_user_sgpr_queue_ptr 0
		.amdhsa_user_sgpr_kernarg_segment_ptr 1
		.amdhsa_user_sgpr_dispatch_id 0
		.amdhsa_user_sgpr_flat_scratch_init 0
		.amdhsa_user_sgpr_private_segment_size 0
		.amdhsa_wavefront_size32 1
		.amdhsa_uses_dynamic_stack 0
		.amdhsa_system_sgpr_private_segment_wavefront_offset 0
		.amdhsa_system_sgpr_workgroup_id_x 1
		.amdhsa_system_sgpr_workgroup_id_y 1
		.amdhsa_system_sgpr_workgroup_id_z 0
		.amdhsa_system_sgpr_workgroup_info 0
		.amdhsa_system_vgpr_workitem_id 0
		.amdhsa_next_free_vgpr 19
		.amdhsa_next_free_sgpr 30
		.amdhsa_reserve_vcc 1
		.amdhsa_reserve_flat_scratch 0
		.amdhsa_float_round_mode_32 0
		.amdhsa_float_round_mode_16_64 0
		.amdhsa_float_denorm_mode_32 3
		.amdhsa_float_denorm_mode_16_64 3
		.amdhsa_dx10_clamp 1
		.amdhsa_ieee_mode 1
		.amdhsa_fp16_overflow 0
		.amdhsa_workgroup_processor_mode 1
		.amdhsa_memory_ordered 1
		.amdhsa_forward_progress 1
		.amdhsa_shared_vgpr_count 0
		.amdhsa_exception_fp_ieee_invalid_op 0
		.amdhsa_exception_fp_denorm_src 0
		.amdhsa_exception_fp_ieee_div_zero 0
		.amdhsa_exception_fp_ieee_overflow 0
		.amdhsa_exception_fp_ieee_underflow 0
		.amdhsa_exception_fp_ieee_inexact 0
		.amdhsa_exception_int_div_zero 0
	.end_amdhsa_kernel
	.section	.text._ZN4vllm32paged_attention_v2_reduce_kernelIfLi64ELi128ELi512EEEvPT_PKfS4_PKS1_PKii,"axG",@progbits,_ZN4vllm32paged_attention_v2_reduce_kernelIfLi64ELi128ELi512EEEvPT_PKfS4_PKS1_PKii,comdat
.Lfunc_end3:
	.size	_ZN4vllm32paged_attention_v2_reduce_kernelIfLi64ELi128ELi512EEEvPT_PKfS4_PKS1_PKii, .Lfunc_end3-_ZN4vllm32paged_attention_v2_reduce_kernelIfLi64ELi128ELi512EEEvPT_PKfS4_PKS1_PKii
                                        ; -- End function
	.set _ZN4vllm32paged_attention_v2_reduce_kernelIfLi64ELi128ELi512EEEvPT_PKfS4_PKS1_PKii.num_vgpr, 19
	.set _ZN4vllm32paged_attention_v2_reduce_kernelIfLi64ELi128ELi512EEEvPT_PKfS4_PKS1_PKii.num_agpr, 0
	.set _ZN4vllm32paged_attention_v2_reduce_kernelIfLi64ELi128ELi512EEEvPT_PKfS4_PKS1_PKii.numbered_sgpr, 30
	.set _ZN4vllm32paged_attention_v2_reduce_kernelIfLi64ELi128ELi512EEEvPT_PKfS4_PKS1_PKii.num_named_barrier, 0
	.set _ZN4vllm32paged_attention_v2_reduce_kernelIfLi64ELi128ELi512EEEvPT_PKfS4_PKS1_PKii.private_seg_size, 0
	.set _ZN4vllm32paged_attention_v2_reduce_kernelIfLi64ELi128ELi512EEEvPT_PKfS4_PKS1_PKii.uses_vcc, 1
	.set _ZN4vllm32paged_attention_v2_reduce_kernelIfLi64ELi128ELi512EEEvPT_PKfS4_PKS1_PKii.uses_flat_scratch, 0
	.set _ZN4vllm32paged_attention_v2_reduce_kernelIfLi64ELi128ELi512EEEvPT_PKfS4_PKS1_PKii.has_dyn_sized_stack, 0
	.set _ZN4vllm32paged_attention_v2_reduce_kernelIfLi64ELi128ELi512EEEvPT_PKfS4_PKS1_PKii.has_recursion, 0
	.set _ZN4vllm32paged_attention_v2_reduce_kernelIfLi64ELi128ELi512EEEvPT_PKfS4_PKS1_PKii.has_indirect_call, 0
	.section	.AMDGPU.csdata,"",@progbits
; Kernel info:
; codeLenInByte = 1948
; TotalNumSgprs: 32
; NumVgprs: 19
; ScratchSize: 0
; MemoryBound: 0
; FloatMode: 240
; IeeeMode: 1
; LDSByteSize: 32 bytes/workgroup (compile time only)
; SGPRBlocks: 0
; VGPRBlocks: 2
; NumSGPRsForWavesPerEU: 32
; NumVGPRsForWavesPerEU: 19
; Occupancy: 16
; WaveLimiterHint : 0
; COMPUTE_PGM_RSRC2:SCRATCH_EN: 0
; COMPUTE_PGM_RSRC2:USER_SGPR: 6
; COMPUTE_PGM_RSRC2:TRAP_HANDLER: 0
; COMPUTE_PGM_RSRC2:TGID_X_EN: 1
; COMPUTE_PGM_RSRC2:TGID_Y_EN: 1
; COMPUTE_PGM_RSRC2:TGID_Z_EN: 0
; COMPUTE_PGM_RSRC2:TIDIG_COMP_CNT: 0
	.section	.text._ZN4vllm25paged_attention_v2_kernelIffLi80ELi8ELi128ELNS_18Fp8KVCacheDataTypeE0ELb1ELi512EEEvPfS2_PT_PKS3_PKT0_S9_ifPKiSB_iPKfiiiSD_SD_iiiii,"axG",@progbits,_ZN4vllm25paged_attention_v2_kernelIffLi80ELi8ELi128ELNS_18Fp8KVCacheDataTypeE0ELb1ELi512EEEvPfS2_PT_PKS3_PKT0_S9_ifPKiSB_iPKfiiiSD_SD_iiiii,comdat
	.protected	_ZN4vllm25paged_attention_v2_kernelIffLi80ELi8ELi128ELNS_18Fp8KVCacheDataTypeE0ELb1ELi512EEEvPfS2_PT_PKS3_PKT0_S9_ifPKiSB_iPKfiiiSD_SD_iiiii ; -- Begin function _ZN4vllm25paged_attention_v2_kernelIffLi80ELi8ELi128ELNS_18Fp8KVCacheDataTypeE0ELb1ELi512EEEvPfS2_PT_PKS3_PKT0_S9_ifPKiSB_iPKfiiiSD_SD_iiiii
	.globl	_ZN4vllm25paged_attention_v2_kernelIffLi80ELi8ELi128ELNS_18Fp8KVCacheDataTypeE0ELb1ELi512EEEvPfS2_PT_PKS3_PKT0_S9_ifPKiSB_iPKfiiiSD_SD_iiiii
	.p2align	8
	.type	_ZN4vllm25paged_attention_v2_kernelIffLi80ELi8ELi128ELNS_18Fp8KVCacheDataTypeE0ELb1ELi512EEEvPfS2_PT_PKS3_PKT0_S9_ifPKiSB_iPKfiiiSD_SD_iiiii,@function
_ZN4vllm25paged_attention_v2_kernelIffLi80ELi8ELi128ELNS_18Fp8KVCacheDataTypeE0ELb1ELi512EEEvPfS2_PT_PKS3_PKT0_S9_ifPKiSB_iPKfiiiSD_SD_iiiii: ; @_ZN4vllm25paged_attention_v2_kernelIffLi80ELi8ELi128ELNS_18Fp8KVCacheDataTypeE0ELb1ELi512EEEvPfS2_PT_PKS3_PKT0_S9_ifPKiSB_iPKfiiiSD_SD_iiiii
; %bb.0:
	s_load_dwordx2 s[0:1], s[4:5], 0x40
	s_mov_b32 s26, s7
	s_ashr_i32 s27, s7, 31
	s_lshl_b64 s[2:3], s[26:27], 2
	s_waitcnt lgkmcnt(0)
	s_add_u32 s0, s0, s2
	s_addc_u32 s1, s1, s3
	s_lshl_b32 s38, s8, 9
	s_load_dword s27, s[0:1], 0x0
	s_waitcnt lgkmcnt(0)
	s_cmp_ge_i32 s38, s27
	s_cbranch_scc1 .LBB4_76
; %bb.1:
	s_clause 0x1
	s_load_dword s9, s[4:5], 0x90
	s_load_dwordx2 s[36:37], s[4:5], 0x30
	s_mov_b32 s40, 0
	s_waitcnt lgkmcnt(0)
	s_abs_i32 s3, s9
	s_abs_i32 s0, s36
	v_cvt_f32_u32_e32 v1, s0
	s_sub_i32 s2, 0, s0
	v_rcp_iflag_f32_e32 v1, v1
	v_mul_f32_e32 v1, 0x4f7ffffe, v1
	v_cvt_u32_f32_e32 v1, v1
	v_readfirstlane_b32 s1, v1
	s_mul_i32 s2, s2, s1
	s_mul_hi_u32 s2, s1, s2
	s_add_i32 s1, s1, s2
	s_xor_b32 s2, s9, s36
	s_mul_hi_u32 s1, s3, s1
	s_ashr_i32 s2, s2, 31
	s_mul_i32 s7, s1, s0
	s_sub_i32 s3, s3, s7
	s_add_i32 s7, s1, 1
	s_sub_i32 s10, s3, s0
	s_cmp_ge_u32 s3, s0
	s_cselect_b32 s1, s7, s1
	s_cselect_b32 s3, s10, s3
	s_add_i32 s7, s1, 1
	s_cmp_ge_u32 s3, s0
	s_cselect_b32 s0, s7, s1
	s_xor_b32 s0, s0, s2
	s_sub_i32 s10, s0, s2
	s_load_dwordx2 s[0:1], s[4:5], 0x50
	s_abs_i32 s2, s10
	v_cvt_f32_u32_e32 v1, s2
	s_sub_i32 s3, 0, s2
	v_rcp_iflag_f32_e32 v1, v1
	v_mul_f32_e32 v1, 0x4f7ffffe, v1
	v_cvt_u32_f32_e32 v1, v1
	v_readfirstlane_b32 s7, v1
	s_mul_i32 s3, s3, s7
	s_mul_hi_u32 s11, s7, s3
	s_abs_i32 s3, s6
	s_add_i32 s7, s7, s11
	s_waitcnt lgkmcnt(0)
	s_cmp_eq_u64 s[0:1], 0
	s_mul_hi_u32 s20, s3, s7
	s_cbranch_scc1 .LBB4_3
; %bb.2:
	s_ashr_i32 s7, s6, 31
	s_lshl_b64 s[12:13], s[6:7], 2
	s_add_u32 s0, s0, s12
	s_addc_u32 s1, s1, s13
	s_load_dword s40, s[0:1], 0x0
.LBB4_3:
	s_load_dwordx4 s[12:15], s[4:5], 0x58
	v_and_b32_e32 v1, 3, v0
	v_lshlrev_b32_e32 v3, 2, v0
	s_ashr_i32 s0, s6, 31
	s_ashr_i32 s1, s10, 31
	s_mul_i32 s10, s6, 0x50
	s_mov_b32 s7, exec_lo
	v_cmpx_gt_u32_e32 0x50, v0
	s_cbranch_execz .LBB4_5
; %bb.4:
	s_load_dwordx2 s[16:17], s[4:5], 0x18
	s_waitcnt lgkmcnt(0)
	s_mul_i32 s18, s12, s26
	v_and_b32_e32 v4, 0x3fc, v0
	s_ashr_i32 s19, s18, 31
	s_lshl_b64 s[18:19], s[18:19], 2
	v_mad_u32_u24 v4, 0x50, v1, v4
	s_add_u32 s12, s16, s18
	s_addc_u32 s15, s17, s19
	s_ashr_i32 s11, s10, 31
	s_lshl_b64 s[16:17], s[10:11], 2
	s_add_u32 s16, s12, s16
	s_addc_u32 s17, s15, s17
	global_load_dword v2, v3, s[16:17]
	s_waitcnt vmcnt(0)
	ds_write_b32 v4, v2
.LBB4_5:
	s_or_b32 exec_lo, exec_lo, s7
	s_load_dwordx4 s[16:19], s[4:5], 0x78
	s_mul_i32 s7, s20, s2
	s_xor_b32 s0, s0, s1
	s_sub_i32 s1, s3, s7
	s_add_i32 s3, s20, 1
	s_sub_i32 s7, s1, s2
	s_cmp_ge_u32 s1, s2
                                        ; implicit-def: $sgpr33
	s_cselect_b32 s3, s3, s20
	s_cselect_b32 s1, s7, s1
	s_add_i32 s7, s3, 1
	s_cmp_ge_u32 s1, s2
	s_mov_b32 s20, -1
	s_cselect_b32 s1, s7, s3
	s_load_dword s3, s[4:5], 0x88
	s_xor_b32 s1, s1, s0
	s_add_i32 s7, s27, -1
	s_sub_i32 s1, s1, s0
	s_abs_i32 s2, s7
	s_waitcnt lgkmcnt(0)
	s_abs_i32 s11, s19
	s_barrier
	v_cvt_f32_u32_e32 v2, s11
	s_sub_i32 s0, 0, s11
	buffer_gl0_inv
	v_rcp_iflag_f32_e32 v2, v2
	v_mul_f32_e32 v2, 0x4f7ffffe, v2
	v_cvt_u32_f32_e32 v2, v2
	v_readfirstlane_b32 s12, v2
	s_mul_i32 s0, s0, s12
	s_mul_hi_u32 s0, s12, s0
	s_add_i32 s12, s12, s0
	s_cmp_lt_i32 s3, 0
	s_mul_hi_u32 s0, s2, s12
	s_cbranch_scc0 .LBB4_7
; %bb.6:
	s_mul_i32 s15, s16, s36
	s_mov_b32 s20, 0
	s_add_i32 s15, s1, s15
	s_mul_i32 s15, s15, s3
	s_sub_i32 s33, 1, s15
.LBB4_7:
	s_load_dwordx2 s[28:29], s[4:5], 0x38
	s_ashr_i32 s15, s7, 31
	s_andn2_b32 vcc_lo, exec_lo, s20
	s_ashr_i32 s19, s19, 31
	s_cbranch_vccnz .LBB4_9
; %bb.8:
	s_mul_i32 s7, s9, s16
	s_add_i32 s7, s7, s6
	s_mul_i32 s3, s7, s3
	s_add_i32 s33, s3, 1
.LBB4_9:
	s_clause 0x4
	s_load_dword s3, s[4:5], 0x48
	s_load_dwordx2 s[34:35], s[4:5], 0x28
	s_load_dword s7, s[4:5], 0x98
	s_load_dwordx4 s[20:23], s[4:5], 0x0
	s_load_dwordx2 s[24:25], s[4:5], 0x10
	s_mul_i32 s16, s0, s11
	s_xor_b32 s15, s15, s19
	s_sub_i32 s2, s2, s16
	s_add_i32 s36, s0, 1
	v_lshrrev_b32_e32 v28, 5, v0
	v_mov_b32_e32 v5, 0xff7fffff
	v_mbcnt_lo_u32_b32 v4, -1, 0
	s_mul_i32 s14, s1, s14
	v_lshl_add_u32 v29, v28, 3, s38
	s_waitcnt lgkmcnt(0)
	s_mul_i32 s30, s3, s26
	s_sub_i32 s3, s2, s11
	s_ashr_i32 s31, s30, 31
	s_cmp_ge_u32 s2, s11
	s_cselect_b32 s0, s36, s0
	s_cselect_b32 s2, s3, s2
	s_add_i32 s3, s0, 1
	s_cmp_ge_u32 s2, s11
	s_cselect_b32 s0, s3, s0
	s_add_i32 s2, s27, 7
	s_lshl_b32 s41, s8, 6
	s_ashr_i32 s3, s2, 31
	v_or_b32_e32 v25, s41, v28
	s_lshr_b32 s3, s3, 29
	s_add_i32 s2, s2, s3
	s_add_i32 s3, s41, 64
	s_ashr_i32 s36, s2, 3
	s_xor_b32 s2, s0, s15
	s_min_i32 s16, s3, s36
	v_ashrrev_i32_e32 v26, 31, v25
	v_cmp_gt_i32_e64 s0, s16, v25
	s_sub_i32 s39, s2, s15
	s_and_saveexec_b32 s42, s0
	s_cbranch_execz .LBB4_21
; %bb.10:
	s_load_dwordx2 s[2:3], s[4:5], 0x20
	s_ashr_i32 s15, s14, 31
	s_sub_i32 s4, s39, s17
	s_lshl_b64 s[44:45], s[14:15], 2
	v_bfe_u32 v6, v0, 2, 3
	v_cmp_eq_u32_e32 vcc_lo, 0, v1
	v_lshlrev_b32_e32 v14, 2, v1
	v_mul_u32_u24_e32 v7, 0x50, v1
	v_cmp_neq_f32_e64 s1, s40, 0
	v_lshlrev_b32_e32 v12, 2, v6
	v_subrev_nc_u32_e32 v15, s27, v6
	v_lshlrev_b32_e32 v18, 4, v6
	v_lshl_add_u32 v8, v28, 3, s38
	v_mov_b32_e32 v9, 0xff7fffff
	v_lshl_or_b32 v16, v28, 5, v12
	v_add_nc_u32_e32 v12, 1, v15
	v_xor_b32_e32 v10, 2, v4
	v_xor_b32_e32 v11, 1, v4
	s_waitcnt lgkmcnt(0)
	s_add_u32 s15, s2, s44
	s_addc_u32 s43, s3, s45
	s_abs_i32 s5, s18
	v_cvt_f32_u32_e32 v2, s5
	s_sub_i32 s2, 0, s5
	v_rcp_iflag_f32_e32 v5, v2
	v_lshlrev_b64 v[1:2], 2, v[25:26]
	v_mul_f32_e32 v13, 0x4f7ffffe, v5
	v_mov_b32_e32 v5, 0xff7fffff
	v_cvt_u32_f32_e32 v17, v13
	v_add_nc_u32_e32 v13, 0x160, v16
	v_add_co_u32 v16, s15, s15, v18
	v_add_co_ci_u32_e64 v18, null, s43, 0, s15
	v_mul_lo_u32 v15, s2, v17
	s_lshl_b64 s[2:3], s[30:31], 2
	s_mov_b32 s15, 0
	s_add_u32 s2, s28, s2
	s_addc_u32 s3, s29, s3
	v_add_co_u32 v1, s2, s2, v1
	v_add_co_ci_u32_e64 v2, null, s3, v2, s2
	v_mul_hi_u32 v19, v17, v15
	v_add_co_u32 v14, s2, v16, v14
	v_add_co_ci_u32_e64 v15, null, 0, v18, s2
	s_mov_b32 s43, s13
	v_add_nc_u32_e32 v16, v17, v19
	v_mov_b32_e32 v17, v25
	s_branch .LBB4_13
.LBB4_11:                               ;   in Loop: Header=BB4_13 Depth=1
	s_or_b32 exec_lo, exec_lo, s44
.LBB4_12:                               ;   in Loop: Header=BB4_13 Depth=1
	s_or_b32 exec_lo, exec_lo, s3
	v_add_nc_u32_e32 v17, 4, v17
	v_add_co_u32 v1, s3, v1, 16
	v_add_co_ci_u32_e64 v2, null, 0, v2, s3
	v_cmp_le_i32_e64 s2, s16, v17
	v_add_nc_u32_e32 v8, 32, v8
	v_add_nc_u32_e32 v13, 0x80, v13
	s_or_b32 s15, s2, s15
	s_andn2_b32 exec_lo, exec_lo, s15
	s_cbranch_execz .LBB4_20
.LBB4_13:                               ; =>This Inner Loop Header: Depth=1
	v_sub_nc_u32_e32 v18, 0, v8
	v_max_i32_e32 v18, v8, v18
	s_waitcnt lgkmcnt(0)
	v_mul_hi_u32 v19, v18, s12
	v_mul_lo_u32 v20, v19, s11
	v_sub_nc_u32_e32 v18, v18, v20
	v_add_nc_u32_e32 v20, 1, v19
	v_subrev_nc_u32_e32 v21, s11, v18
	v_cmp_le_u32_e64 s2, s11, v18
	v_cndmask_b32_e64 v19, v19, v20, s2
	v_cndmask_b32_e64 v18, v18, v21, s2
	v_ashrrev_i32_e32 v20, 31, v8
	v_add_nc_u32_e32 v21, 1, v19
	v_cmp_le_u32_e64 s2, s11, v18
	v_xor_b32_e32 v20, s19, v20
	v_cndmask_b32_e64 v18, v19, v21, s2
	v_xor_b32_e32 v18, v18, v20
	v_sub_nc_u32_e32 v18, v18, v20
	v_add_nc_u32_e32 v19, s33, v18
	v_cmp_ge_i32_e64 s3, s4, v18
	v_sub_nc_u32_e32 v20, 0, v19
	v_max_i32_e32 v20, v19, v20
	v_ashrrev_i32_e32 v19, 31, v19
	v_mul_hi_u32 v21, v20, v16
	v_mul_lo_u32 v21, v21, s5
	v_sub_nc_u32_e32 v20, v20, v21
	v_subrev_nc_u32_e32 v21, s5, v20
	v_cmp_le_u32_e64 s2, s5, v20
	v_cndmask_b32_e64 v20, v20, v21, s2
	v_subrev_nc_u32_e32 v21, s5, v20
	v_cmp_le_u32_e64 s2, s5, v20
	v_cndmask_b32_e64 v20, v20, v21, s2
	v_xor_b32_e32 v20, v20, v19
	v_sub_nc_u32_e32 v19, v20, v19
	v_cmp_ne_u32_e64 s2, 0, v19
	s_and_b32 s2, s2, s3
	s_and_saveexec_b32 s3, s2
	s_xor_b32 s2, exec_lo, s3
	s_cbranch_execz .LBB4_17
; %bb.14:                               ;   in Loop: Header=BB4_13 Depth=1
	s_and_saveexec_b32 s3, vcc_lo
; %bb.15:                               ;   in Loop: Header=BB4_13 Depth=1
	ds_write_b32 v13, v9
; %bb.16:                               ;   in Loop: Header=BB4_13 Depth=1
	s_or_b32 exec_lo, exec_lo, s3
.LBB4_17:                               ;   in Loop: Header=BB4_13 Depth=1
	s_andn2_saveexec_b32 s3, s2
	s_cbranch_execz .LBB4_12
; %bb.18:                               ;   in Loop: Header=BB4_13 Depth=1
	global_load_dword v18, v[1:2], off
	s_waitcnt vmcnt(0)
	v_mad_i64_i32 v[18:19], null, v18, s43, 0
	v_lshlrev_b64 v[18:19], 2, v[18:19]
	v_add_co_u32 v18, s2, v14, v18
	v_add_co_ci_u32_e64 v19, null, v15, v19, s2
	s_clause 0xf
	global_load_dword v22, v[18:19], off offset:128
	global_load_dword v23, v[18:19], off
	global_load_dword v24, v[18:19], off offset:256
	global_load_dword v27, v[18:19], off offset:384
	;; [unrolled: 1-line block ×14, first 2 shown]
	v_add_co_u32 v18, s2, 0x800, v18
	v_add_co_ci_u32_e64 v19, null, 0, v19, s2
	v_cmp_gt_i32_e64 s2, 32, v10
	s_clause 0x3
	global_load_dword v46, v[18:19], off
	global_load_dword v47, v[18:19], off offset:128
	global_load_dword v48, v[18:19], off offset:256
	;; [unrolled: 1-line block ×3, first 2 shown]
	ds_read_b128 v[18:21], v7
	ds_read_b128 v[30:33], v7 offset:16
	s_waitcnt vmcnt(19) lgkmcnt(1)
	v_mul_f32_e32 v22, v19, v22
	s_waitcnt vmcnt(18)
	v_fmac_f32_e32 v22, v18, v23
	s_waitcnt vmcnt(17)
	v_fmac_f32_e32 v22, v20, v24
	s_waitcnt vmcnt(16)
	v_fmac_f32_e32 v22, v21, v27
	ds_read_b128 v[18:21], v7 offset:32
	s_waitcnt vmcnt(15) lgkmcnt(1)
	v_fmac_f32_e32 v22, v30, v34
	s_waitcnt vmcnt(14)
	v_fmac_f32_e32 v22, v31, v35
	s_waitcnt vmcnt(13)
	v_fmac_f32_e32 v22, v32, v36
	s_waitcnt vmcnt(12)
	v_fmac_f32_e32 v22, v33, v37
	ds_read_b128 v[30:33], v7 offset:48
	s_waitcnt vmcnt(11) lgkmcnt(1)
	v_fmac_f32_e32 v22, v18, v38
	;; [unrolled: 9-line block ×3, first 2 shown]
	s_waitcnt vmcnt(6)
	v_fmac_f32_e32 v22, v31, v43
	s_waitcnt vmcnt(5)
	v_fmac_f32_e32 v22, v32, v44
	s_waitcnt vmcnt(4)
	v_fmac_f32_e32 v22, v33, v45
	s_waitcnt vmcnt(3) lgkmcnt(0)
	v_fmac_f32_e32 v22, v18, v46
	v_cndmask_b32_e64 v18, v4, v10, s2
	v_cmp_gt_i32_e64 s2, 32, v11
	s_waitcnt vmcnt(2)
	v_fmac_f32_e32 v22, v19, v47
	v_lshlrev_b32_e32 v18, 2, v18
	v_cndmask_b32_e64 v19, v4, v11, s2
	s_waitcnt vmcnt(1)
	v_fmac_f32_e32 v22, v20, v48
	v_lshlrev_b32_e32 v19, 2, v19
	s_waitcnt vmcnt(0)
	v_fmac_f32_e32 v22, v21, v49
	ds_bpermute_b32 v18, v18, v22
	s_waitcnt lgkmcnt(0)
	v_add_f32_e32 v18, v22, v18
	ds_bpermute_b32 v19, v19, v18
	s_and_saveexec_b32 s44, vcc_lo
	s_cbranch_execz .LBB4_11
; %bb.19:                               ;   in Loop: Header=BB4_13 Depth=1
	v_add_nc_u32_e32 v20, v12, v8
	s_waitcnt lgkmcnt(0)
	v_add_f32_e32 v18, v18, v19
	v_cvt_f32_i32_e32 v20, v20
	v_mul_f32_e32 v20, s40, v20
	v_cndmask_b32_e64 v19, 0, v20, s1
	v_max_f32_e32 v20, v5, v5
	v_fmac_f32_e32 v19, s37, v18
	v_add_nc_u32_e32 v18, v6, v8
	v_max_f32_e32 v20, v20, v19
	v_cmp_gt_i32_e64 s2, s27, v18
	v_cndmask_b32_e64 v18, 0, v19, s2
	v_cndmask_b32_e64 v5, v5, v20, s2
	ds_write_b32 v13, v18
	s_branch .LBB4_11
.LBB4_20:
	s_or_b32 exec_lo, exec_lo, s15
.LBB4_21:
	s_or_b32 exec_lo, exec_lo, s42
	v_xor_b32_e32 v1, 16, v4
	v_xor_b32_e32 v6, 8, v4
	v_max_f32_e32 v7, v5, v5
	v_and_b32_e32 v30, 31, v0
	v_cmp_gt_i32_e32 vcc_lo, 32, v1
	v_cndmask_b32_e32 v1, v4, v1, vcc_lo
	v_cmp_gt_i32_e32 vcc_lo, 32, v6
	v_lshlrev_b32_e32 v2, 2, v1
	ds_bpermute_b32 v1, v2, v5
	v_cndmask_b32_e32 v5, v4, v6, vcc_lo
	v_lshlrev_b32_e32 v5, 2, v5
	s_waitcnt lgkmcnt(0)
	v_max_f32_e32 v1, v1, v1
	v_max_f32_e32 v1, v7, v1
	v_xor_b32_e32 v7, 4, v4
	ds_bpermute_b32 v6, v5, v1
	v_cmp_gt_i32_e32 vcc_lo, 32, v7
	v_cndmask_b32_e32 v7, v4, v7, vcc_lo
	v_cmp_eq_u32_e32 vcc_lo, 0, v30
	v_lshlrev_b32_e32 v8, 2, v7
	s_waitcnt lgkmcnt(0)
	v_max_f32_e32 v6, v6, v6
	v_max_f32_e32 v1, v1, v6
	v_lshlrev_b32_e32 v6, 2, v28
	ds_bpermute_b32 v7, v8, v1
	s_and_saveexec_b32 s1, vcc_lo
	s_cbranch_execz .LBB4_23
; %bb.22:
	s_waitcnt lgkmcnt(0)
	v_max_f32_e32 v7, v7, v7
	v_max_f32_e32 v1, v1, v1
	;; [unrolled: 1-line block ×3, first 2 shown]
	ds_write_b32 v6, v1 offset:320
.LBB4_23:
	s_or_b32 exec_lo, exec_lo, s1
	v_cmp_gt_u32_e64 s1, 4, v30
	v_mov_b32_e32 v1, 0xff7fffff
	s_waitcnt lgkmcnt(0)
	v_lshlrev_b32_e32 v7, 2, v30
	s_barrier
	buffer_gl0_inv
	s_and_saveexec_b32 s2, s1
; %bb.24:
	ds_read_b32 v1, v7 offset:320
; %bb.25:
	s_or_b32 exec_lo, exec_lo, s2
	v_xor_b32_e32 v9, 2, v4
	v_xor_b32_e32 v11, 1, v4
	v_cmp_gt_i32_e64 s2, 32, v9
	v_cndmask_b32_e64 v9, v4, v9, s2
	v_cmp_gt_i32_e64 s2, 32, v11
	v_lshlrev_b32_e32 v9, 2, v9
	v_cndmask_b32_e64 v4, v4, v11, s2
	s_sub_i32 s2, s16, s41
	s_lshl_b32 s2, s2, 3
	s_waitcnt lgkmcnt(0)
	ds_bpermute_b32 v10, v9, v1
	v_max_f32_e32 v1, v1, v1
	v_lshlrev_b32_e32 v31, 2, v4
	s_add_i32 s2, s2, s38
	s_min_i32 s2, s2, s27
	s_sub_i32 s4, s2, s38
	v_cmp_gt_i32_e64 s2, s4, v0
	s_waitcnt lgkmcnt(0)
	v_max_f32_e32 v10, v10, v10
	v_max_f32_e32 v1, v1, v10
	v_mov_b32_e32 v10, 0
	ds_bpermute_b32 v4, v31, v1
	s_waitcnt lgkmcnt(0)
	v_max_f32_e32 v4, v4, v4
	v_max_f32_e32 v1, v1, v4
	v_lshl_add_u32 v4, v0, 2, 0x160
	ds_bpermute_b32 v1, v10, v1
	s_and_saveexec_b32 s5, s2
	s_cbranch_execz .LBB4_29
; %bb.26:
	v_lshl_add_u32 v11, v0, 2, 0x160
	v_mov_b32_e32 v10, 0
	v_mov_b32_e32 v12, v0
	s_mov_b32 s15, 0
	.p2align	6
.LBB4_27:                               ; =>This Inner Loop Header: Depth=1
	ds_read_b32 v13, v11
	v_add_nc_u32_e32 v12, 0x80, v12
	v_cmp_le_i32_e64 s3, s4, v12
	s_or_b32 s15, s3, s15
	s_waitcnt lgkmcnt(0)
	v_sub_f32_e32 v13, v13, v1
	v_mul_f32_e32 v13, 0x3fb8aa3b, v13
	v_exp_f32_e32 v13, v13
	ds_write_b32 v11, v13
	v_add_f32_e32 v10, v10, v13
	v_add_nc_u32_e32 v11, 0x200, v11
	s_andn2_b32 exec_lo, exec_lo, s15
	s_cbranch_execnz .LBB4_27
; %bb.28:
	s_or_b32 exec_lo, exec_lo, s15
.LBB4_29:
	s_or_b32 exec_lo, exec_lo, s5
	ds_bpermute_b32 v2, v2, v10
	s_waitcnt lgkmcnt(0)
	v_add_f32_e32 v2, v10, v2
	ds_bpermute_b32 v5, v5, v2
	s_waitcnt lgkmcnt(0)
	v_add_f32_e32 v2, v2, v5
	;; [unrolled: 3-line block ×5, first 2 shown]
	s_and_saveexec_b32 s3, vcc_lo
; %bb.30:
	ds_write_b32 v6, v2 offset:336
; %bb.31:
	s_or_b32 exec_lo, exec_lo, s3
	s_waitcnt lgkmcnt(0)
	s_barrier
	buffer_gl0_inv
	s_and_saveexec_b32 s3, s1
; %bb.32:
	ds_read_b32 v2, v7 offset:336
; %bb.33:
	s_or_b32 exec_lo, exec_lo, s3
	s_waitcnt lgkmcnt(0)
	ds_bpermute_b32 v5, v9, v2
	s_waitcnt lgkmcnt(0)
	v_add_f32_e32 v2, v2, v5
	ds_bpermute_b32 v5, v31, v2
	s_waitcnt lgkmcnt(0)
	v_add_f32_e32 v2, v2, v5
	v_mov_b32_e32 v5, 0
	ds_bpermute_b32 v2, v5, v2
	s_and_saveexec_b32 s1, s2
	s_cbranch_execz .LBB4_36
; %bb.34:
	s_waitcnt lgkmcnt(0)
	v_add_f32_e32 v5, 0x358637bd, v2
	s_mov_b32 s2, 0
	v_div_scale_f32 v6, null, v5, v5, 1.0
	v_div_scale_f32 v9, vcc_lo, 1.0, v5, 1.0
	v_rcp_f32_e32 v7, v6
	v_fma_f32 v8, -v6, v7, 1.0
	v_fmac_f32_e32 v7, v8, v7
	v_mul_f32_e32 v8, v9, v7
	v_fma_f32 v10, -v6, v8, v9
	v_fmac_f32_e32 v8, v10, v7
	v_fma_f32 v6, -v6, v8, v9
	v_div_fmas_f32 v6, v6, v7, v8
	v_div_fixup_f32 v5, v6, v5, 1.0
	v_mov_b32_e32 v6, v0
.LBB4_35:                               ; =>This Inner Loop Header: Depth=1
	ds_read_b32 v7, v4
	v_add_nc_u32_e32 v6, 0x80, v6
	v_cmp_le_i32_e32 vcc_lo, s4, v6
	s_or_b32 s2, vcc_lo, s2
	s_waitcnt lgkmcnt(0)
	v_mul_f32_e32 v7, v5, v7
	ds_write_b32 v4, v7
	v_add_nc_u32_e32 v4, 0x200, v4
	s_andn2_b32 exec_lo, exec_lo, s2
	s_cbranch_execnz .LBB4_35
.LBB4_36:
	s_or_b32 exec_lo, exec_lo, s1
	s_mul_i32 s1, s7, s26
	s_waitcnt lgkmcnt(0)
	s_mul_i32 s2, s1, s9
	s_mov_b32 s1, exec_lo
	s_barrier
	buffer_gl0_inv
	v_cmpx_eq_u32_e32 0, v0
	s_cbranch_execz .LBB4_38
; %bb.37:
	s_ashr_i32 s3, s2, 31
	s_mul_i32 s40, s7, s6
	s_lshl_b64 s[4:5], s[2:3], 2
	v_mov_b32_e32 v4, 0
	s_add_u32 s3, s22, s4
	s_addc_u32 s6, s23, s5
	s_ashr_i32 s41, s40, 31
	s_lshl_b64 s[22:23], s[40:41], 2
	s_add_u32 s3, s3, s22
	s_addc_u32 s6, s6, s23
	s_ashr_i32 s9, s8, 31
	s_lshl_b64 s[40:41], s[8:9], 2
	s_add_u32 s42, s3, s40
	s_addc_u32 s43, s6, s41
	s_add_u32 s3, s20, s4
	s_addc_u32 s4, s21, s5
	;; [unrolled: 2-line block ×4, first 2 shown]
	global_store_dword v4, v1, s[42:43]
	global_store_dword v4, v2, s[4:5]
.LBB4_38:
	s_or_b32 exec_lo, exec_lo, s1
	v_mov_b32_e32 v37, 0
	v_and_b32_e32 v32, 1, v0
	v_mov_b32_e32 v36, 0
	v_mov_b32_e32 v35, 0
	v_mov_b32_e32 v34, 0
	v_mov_b32_e32 v33, 0
	s_and_saveexec_b32 s1, s0
	s_cbranch_execz .LBB4_54
; %bb.39:
	s_ashr_i32 s15, s14, 31
	s_sub_i32 s3, s39, s17
	s_lshl_b64 s[4:5], s[14:15], 2
	v_and_b32_e32 v38, 4, v3
	s_add_u32 s0, s34, s4
	s_addc_u32 s5, s35, s5
	s_abs_i32 s4, s18
	v_lshlrev_b32_e32 v3, 4, v0
	v_cvt_f32_u32_e32 v1, s4
	s_sub_i32 s6, 0, s4
	v_lshlrev_b32_e32 v5, 4, v32
	s_lshl_b64 s[14:15], s[30:31], 2
	v_and_b32_e32 v3, 0x1f0, v3
	v_rcp_iflag_f32_e32 v1, v1
	s_add_i32 s36, s36, -1
	v_lshl_or_b32 v5, v28, 5, v5
	v_mov_b32_e32 v33, 0
	v_add_co_u32 v39, s0, s0, v3
	v_mov_b32_e32 v34, 0
	v_mov_b32_e32 v35, 0
	;; [unrolled: 1-line block ×3, first 2 shown]
	v_add_co_ci_u32_e64 v40, null, s5, 0, s0
	v_mul_f32_e32 v4, 0x4f7ffffe, v1
	v_lshlrev_b64 v[1:2], 2, v[25:26]
	v_add_nc_u32_e32 v41, 0x160, v5
	v_mov_b32_e32 v37, 0
	s_mov_b32 s5, 0
	v_cvt_u32_f32_e32 v4, v4
	v_mul_lo_u32 v6, s6, v4
	s_add_u32 s6, s28, s14
	s_addc_u32 s9, s29, s15
	v_add_co_u32 v26, vcc_lo, s6, v1
	v_add_co_ci_u32_e64 v27, null, s9, v2, vcc_lo
	s_mov_b32 s6, s13
	v_mul_hi_u32 v6, v4, v6
	v_add_nc_u32_e32 v42, v4, v6
	s_branch .LBB4_42
.LBB4_40:                               ;   in Loop: Header=BB4_42 Depth=1
	s_or_b32 exec_lo, exec_lo, s0
	s_waitcnt vmcnt(1) lgkmcnt(0)
	v_mul_f32_e32 v17, v1, v17
	v_mul_f32_e32 v13, v1, v13
	;; [unrolled: 1-line block ×4, first 2 shown]
	s_waitcnt vmcnt(0)
	v_mul_f32_e32 v1, v1, v21
	v_fmac_f32_e32 v17, v2, v18
	v_fmac_f32_e32 v13, v2, v14
	;; [unrolled: 1-line block ×15, first 2 shown]
	v_add_f32_e32 v34, v34, v17
	v_add_f32_e32 v35, v35, v13
	;; [unrolled: 1-line block ×5, first 2 shown]
.LBB4_41:                               ;   in Loop: Header=BB4_42 Depth=1
	s_or_b32 exec_lo, exec_lo, s9
	v_add_nc_u32_e32 v25, 4, v25
	v_add_co_u32 v26, s0, v26, 16
	v_add_co_ci_u32_e64 v27, null, 0, v27, s0
	v_cmp_le_i32_e32 vcc_lo, s16, v25
	v_add_nc_u32_e32 v29, 32, v29
	v_add_nc_u32_e32 v41, 0x80, v41
	s_or_b32 s5, vcc_lo, s5
	s_andn2_b32 exec_lo, exec_lo, s5
	s_cbranch_execz .LBB4_53
.LBB4_42:                               ; =>This Inner Loop Header: Depth=1
	v_sub_nc_u32_e32 v1, 0, v29
	v_max_i32_e32 v1, v29, v1
	v_mul_hi_u32 v2, v1, s12
	v_mul_lo_u32 v3, v2, s11
	v_sub_nc_u32_e32 v1, v1, v3
	v_add_nc_u32_e32 v3, 1, v2
	v_subrev_nc_u32_e32 v4, s11, v1
	v_cmp_le_u32_e32 vcc_lo, s11, v1
	v_cndmask_b32_e32 v2, v2, v3, vcc_lo
	v_cndmask_b32_e32 v1, v1, v4, vcc_lo
	v_ashrrev_i32_e32 v3, 31, v29
	v_add_nc_u32_e32 v4, 1, v2
	v_cmp_le_u32_e32 vcc_lo, s11, v1
	v_xor_b32_e32 v3, s19, v3
	v_cndmask_b32_e32 v1, v2, v4, vcc_lo
	v_xor_b32_e32 v1, v1, v3
	v_sub_nc_u32_e32 v1, v1, v3
	v_add_nc_u32_e32 v2, s33, v1
	v_cmp_lt_i32_e64 s0, s3, v1
	v_sub_nc_u32_e32 v3, 0, v2
	v_max_i32_e32 v3, v2, v3
	v_ashrrev_i32_e32 v2, 31, v2
	v_mul_hi_u32 v4, v3, v42
	v_mul_lo_u32 v4, v4, s4
	v_sub_nc_u32_e32 v3, v3, v4
	v_subrev_nc_u32_e32 v4, s4, v3
	v_cmp_le_u32_e32 vcc_lo, s4, v3
	v_cndmask_b32_e32 v3, v3, v4, vcc_lo
	v_subrev_nc_u32_e32 v4, s4, v3
	v_cmp_le_u32_e32 vcc_lo, s4, v3
	v_cndmask_b32_e32 v3, v3, v4, vcc_lo
	v_xor_b32_e32 v3, v3, v2
	v_sub_nc_u32_e32 v2, v3, v2
	v_cmp_eq_u32_e32 vcc_lo, 0, v2
	s_or_b32 s0, vcc_lo, s0
	s_and_saveexec_b32 s9, s0
	s_cbranch_execz .LBB4_41
; %bb.43:                               ;   in Loop: Header=BB4_42 Depth=1
	global_load_dword v1, v[26:27], off
	v_add_nc_u32_e32 v43, v38, v29
	v_add_nc_u32_e32 v46, 1, v43
	;; [unrolled: 1-line block ×4, first 2 shown]
	s_waitcnt vmcnt(0)
	v_mad_i64_i32 v[1:2], null, v1, s6, 0
	v_lshlrev_b64 v[1:2], 2, v[1:2]
	v_add_co_u32 v21, vcc_lo, v39, v1
	v_add_co_ci_u32_e64 v22, null, v40, v2, vcc_lo
	ds_read_b128 v[1:4], v41
	v_cmp_eq_u32_e32 vcc_lo, s36, v25
	global_load_dwordx4 v[5:8], v[21:22], off
	s_and_saveexec_b32 s13, vcc_lo
	s_cbranch_execnz .LBB4_50
; %bb.44:                               ;   in Loop: Header=BB4_42 Depth=1
	s_or_b32 exec_lo, exec_lo, s13
	global_load_dwordx4 v[9:12], v[21:22], off offset:512
	s_and_saveexec_b32 s13, vcc_lo
	s_cbranch_execnz .LBB4_51
.LBB4_45:                               ;   in Loop: Header=BB4_42 Depth=1
	s_or_b32 exec_lo, exec_lo, s13
	global_load_dwordx4 v[13:16], v[21:22], off offset:1024
	s_and_saveexec_b32 s13, vcc_lo
	s_cbranch_execnz .LBB4_52
.LBB4_46:                               ;   in Loop: Header=BB4_42 Depth=1
	s_or_b32 exec_lo, exec_lo, s13
	global_load_dwordx4 v[17:20], v[21:22], off offset:1536
	s_and_saveexec_b32 s13, vcc_lo
	s_cbranch_execz .LBB4_48
.LBB4_47:                               ;   in Loop: Header=BB4_42 Depth=1
	v_cmp_gt_i32_e64 s0, s27, v43
	s_waitcnt vmcnt(0)
	v_cndmask_b32_e64 v17, 0, v17, s0
	v_cmp_gt_i32_e64 s0, s27, v46
	v_cndmask_b32_e64 v18, 0, v18, s0
	v_cmp_gt_i32_e64 s0, s27, v45
	;; [unrolled: 2-line block ×3, first 2 shown]
	v_cndmask_b32_e64 v20, 0, v20, s0
.LBB4_48:                               ;   in Loop: Header=BB4_42 Depth=1
	s_or_b32 exec_lo, exec_lo, s13
	v_add_co_u32 v21, s0, 0x800, v21
	v_add_co_ci_u32_e64 v22, null, 0, v22, s0
	global_load_dwordx4 v[21:24], v[21:22], off
	s_and_saveexec_b32 s0, vcc_lo
	s_cbranch_execz .LBB4_40
; %bb.49:                               ;   in Loop: Header=BB4_42 Depth=1
	v_cmp_gt_i32_e32 vcc_lo, s27, v43
	s_waitcnt vmcnt(0)
	v_cndmask_b32_e32 v21, 0, v21, vcc_lo
	v_cmp_gt_i32_e32 vcc_lo, s27, v46
	v_cndmask_b32_e32 v22, 0, v22, vcc_lo
	v_cmp_gt_i32_e32 vcc_lo, s27, v45
	v_cndmask_b32_e32 v23, 0, v23, vcc_lo
	v_cmp_gt_i32_e32 vcc_lo, s27, v44
	v_cndmask_b32_e32 v24, 0, v24, vcc_lo
	s_branch .LBB4_40
.LBB4_50:                               ;   in Loop: Header=BB4_42 Depth=1
	v_cmp_gt_i32_e64 s0, s27, v43
	s_waitcnt vmcnt(0)
	v_cndmask_b32_e64 v5, 0, v5, s0
	v_cmp_gt_i32_e64 s0, s27, v46
	v_cndmask_b32_e64 v6, 0, v6, s0
	v_cmp_gt_i32_e64 s0, s27, v45
	;; [unrolled: 2-line block ×3, first 2 shown]
	v_cndmask_b32_e64 v8, 0, v8, s0
	s_or_b32 exec_lo, exec_lo, s13
	global_load_dwordx4 v[9:12], v[21:22], off offset:512
	s_and_saveexec_b32 s13, vcc_lo
	s_cbranch_execz .LBB4_45
.LBB4_51:                               ;   in Loop: Header=BB4_42 Depth=1
	v_cmp_gt_i32_e64 s0, s27, v43
	s_waitcnt vmcnt(0)
	v_cndmask_b32_e64 v9, 0, v9, s0
	v_cmp_gt_i32_e64 s0, s27, v46
	v_cndmask_b32_e64 v10, 0, v10, s0
	v_cmp_gt_i32_e64 s0, s27, v45
	;; [unrolled: 2-line block ×3, first 2 shown]
	v_cndmask_b32_e64 v12, 0, v12, s0
	s_or_b32 exec_lo, exec_lo, s13
	global_load_dwordx4 v[13:16], v[21:22], off offset:1024
	s_and_saveexec_b32 s13, vcc_lo
	s_cbranch_execz .LBB4_46
.LBB4_52:                               ;   in Loop: Header=BB4_42 Depth=1
	v_cmp_gt_i32_e64 s0, s27, v43
	s_waitcnt vmcnt(0)
	v_cndmask_b32_e64 v13, 0, v13, s0
	v_cmp_gt_i32_e64 s0, s27, v46
	v_cndmask_b32_e64 v14, 0, v14, s0
	v_cmp_gt_i32_e64 s0, s27, v45
	;; [unrolled: 2-line block ×3, first 2 shown]
	v_cndmask_b32_e64 v16, 0, v16, s0
	s_or_b32 exec_lo, exec_lo, s13
	global_load_dwordx4 v[17:20], v[21:22], off offset:1536
	s_and_saveexec_b32 s13, vcc_lo
	s_cbranch_execnz .LBB4_47
	s_branch .LBB4_48
.LBB4_53:
	s_or_b32 exec_lo, exec_lo, s5
.LBB4_54:
	s_or_b32 exec_lo, exec_lo, s1
	ds_bpermute_b32 v1, v31, v37
	ds_bpermute_b32 v2, v31, v36
	;; [unrolled: 1-line block ×5, first 2 shown]
	v_lshrrev_b32_e32 v6, 1, v30
	v_mul_u32_u24_e32 v8, 0x140, v28
	v_and_b32_e32 v9, 0x3c1, v0
	s_mov_b32 s0, exec_lo
	s_waitcnt lgkmcnt(0)
	s_waitcnt_vscnt null, 0x0
	v_lshl_add_u32 v7, v6, 2, 0x160
	s_barrier
	buffer_gl0_inv
	v_add_f32_e32 v1, v37, v1
	v_add_f32_e32 v2, v36, v2
	;; [unrolled: 1-line block ×5, first 2 shown]
	v_cmpx_eq_u32_e32 64, v9
	s_cbranch_execz .LBB4_56
; %bb.55:
	v_add_nc_u32_e32 v9, v7, v8
	v_add_nc_u32_e32 v10, 0xfffffd80, v9
	v_add_nc_u32_e32 v11, 0xfffffdc0, v9
	v_add_nc_u32_e32 v12, 0xfffffe00, v9
	v_add_nc_u32_e32 v13, 0xfffffe40, v9
	v_add_nc_u32_e32 v9, 0xfffffe80, v9
	ds_write_b32 v10, v1
	ds_write_b32 v11, v2
	;; [unrolled: 1-line block ×5, first 2 shown]
.LBB4_56:
	s_or_b32 exec_lo, exec_lo, s0
	v_lshlrev_b32_e32 v6, 2, v6
	s_mov_b32 s1, exec_lo
	v_cmp_eq_u32_e32 vcc_lo, 0, v32
	s_waitcnt lgkmcnt(0)
	s_barrier
	v_add3_u32 v6, 0x160, v8, v6
	buffer_gl0_inv
	v_cmpx_gt_u32_e32 64, v0
	s_cbranch_execz .LBB4_64
; %bb.57:
	s_and_saveexec_b32 s0, vcc_lo
	s_cbranch_execnz .LBB4_77
; %bb.58:
	s_or_b32 exec_lo, exec_lo, s0
	s_and_saveexec_b32 s0, vcc_lo
	s_cbranch_execnz .LBB4_78
.LBB4_59:
	s_or_b32 exec_lo, exec_lo, s0
	s_and_saveexec_b32 s0, vcc_lo
	s_cbranch_execnz .LBB4_79
.LBB4_60:
	s_or_b32 exec_lo, exec_lo, s0
	s_and_saveexec_b32 s0, vcc_lo
	s_cbranch_execnz .LBB4_80
.LBB4_61:
	s_or_b32 exec_lo, exec_lo, s0
	s_and_saveexec_b32 s0, vcc_lo
	s_cbranch_execz .LBB4_63
.LBB4_62:
	ds_read_b32 v8, v6 offset:256
	s_waitcnt lgkmcnt(0)
	v_add_f32_e32 v5, v5, v8
.LBB4_63:
	s_or_b32 exec_lo, exec_lo, s0
.LBB4_64:
	s_or_b32 exec_lo, exec_lo, s1
	v_and_b32_e32 v8, 0x3e1, v0
	s_mov_b32 s1, exec_lo
	s_barrier
	buffer_gl0_inv
	v_cmpx_eq_u32_e32 32, v8
	s_cbranch_execz .LBB4_66
; %bb.65:
	ds_write2_b32 v7, v1, v2 offset1:16
	ds_write2_b32 v7, v3, v4 offset0:32 offset1:48
	ds_write_b32 v7, v5 offset:256
.LBB4_66:
	s_or_b32 exec_lo, exec_lo, s1
	s_mov_b32 s1, exec_lo
	s_waitcnt lgkmcnt(0)
	s_barrier
	buffer_gl0_inv
	v_cmpx_gt_u32_e32 32, v0
	s_cbranch_execz .LBB4_74
; %bb.67:
	s_and_saveexec_b32 s0, vcc_lo
	s_cbranch_execnz .LBB4_81
; %bb.68:
	s_or_b32 exec_lo, exec_lo, s0
	s_and_saveexec_b32 s0, vcc_lo
	s_cbranch_execnz .LBB4_82
.LBB4_69:
	s_or_b32 exec_lo, exec_lo, s0
	s_and_saveexec_b32 s0, vcc_lo
	s_cbranch_execnz .LBB4_83
.LBB4_70:
	s_or_b32 exec_lo, exec_lo, s0
	s_and_saveexec_b32 s0, vcc_lo
	s_cbranch_execnz .LBB4_84
.LBB4_71:
	s_or_b32 exec_lo, exec_lo, s0
	s_and_saveexec_b32 s0, vcc_lo
	s_cbranch_execz .LBB4_73
.LBB4_72:
	ds_read_b32 v6, v6 offset:256
	s_waitcnt lgkmcnt(0)
	v_add_f32_e32 v5, v5, v6
.LBB4_73:
	s_or_b32 exec_lo, exec_lo, s0
.LBB4_74:
	s_or_b32 exec_lo, exec_lo, s1
	s_barrier
	buffer_gl0_inv
	s_mov_b32 s0, exec_lo
	v_cmpx_eq_u32_e32 0, v8
	s_cbranch_execz .LBB4_76
; %bb.75:
	s_mul_i32 s0, s2, 0x50
	s_mul_i32 s2, s7, s10
	s_ashr_i32 s1, s0, 31
	v_lshlrev_b32_e32 v0, 1, v0
	s_lshl_b64 s[0:1], s[0:1], 2
	s_add_u32 s4, s24, s0
	s_addc_u32 s5, s25, s1
	s_ashr_i32 s3, s2, 31
	s_lshl_b64 s[0:1], s[2:3], 2
	s_mul_i32 s2, s8, 0x50
	s_add_u32 s4, s4, s0
	s_addc_u32 s5, s5, s1
	s_ashr_i32 s3, s2, 31
	s_lshl_b64 s[0:1], s[2:3], 2
	s_add_u32 s0, s4, s0
	s_addc_u32 s1, s5, s1
	global_store_dword v0, v1, s[0:1]
	global_store_dword v0, v2, s[0:1] offset:64
	global_store_dword v0, v3, s[0:1] offset:128
	;; [unrolled: 1-line block ×4, first 2 shown]
.LBB4_76:
	s_endpgm
.LBB4_77:
	ds_read_b32 v8, v6
	s_waitcnt lgkmcnt(0)
	v_add_f32_e32 v1, v1, v8
	s_or_b32 exec_lo, exec_lo, s0
	s_and_saveexec_b32 s0, vcc_lo
	s_cbranch_execz .LBB4_59
.LBB4_78:
	ds_read_b32 v8, v6 offset:64
	s_waitcnt lgkmcnt(0)
	v_add_f32_e32 v2, v2, v8
	s_or_b32 exec_lo, exec_lo, s0
	s_and_saveexec_b32 s0, vcc_lo
	s_cbranch_execz .LBB4_60
.LBB4_79:
	ds_read_b32 v8, v6 offset:128
	s_waitcnt lgkmcnt(0)
	v_add_f32_e32 v3, v3, v8
	s_or_b32 exec_lo, exec_lo, s0
	s_and_saveexec_b32 s0, vcc_lo
	s_cbranch_execz .LBB4_61
.LBB4_80:
	ds_read_b32 v8, v6 offset:192
	s_waitcnt lgkmcnt(0)
	v_add_f32_e32 v4, v4, v8
	s_or_b32 exec_lo, exec_lo, s0
	s_and_saveexec_b32 s0, vcc_lo
	s_cbranch_execnz .LBB4_62
	s_branch .LBB4_63
.LBB4_81:
	ds_read_b32 v7, v6
	s_waitcnt lgkmcnt(0)
	v_add_f32_e32 v1, v1, v7
	s_or_b32 exec_lo, exec_lo, s0
	s_and_saveexec_b32 s0, vcc_lo
	s_cbranch_execz .LBB4_69
.LBB4_82:
	ds_read_b32 v7, v6 offset:64
	s_waitcnt lgkmcnt(0)
	v_add_f32_e32 v2, v2, v7
	s_or_b32 exec_lo, exec_lo, s0
	s_and_saveexec_b32 s0, vcc_lo
	s_cbranch_execz .LBB4_70
.LBB4_83:
	ds_read_b32 v7, v6 offset:128
	s_waitcnt lgkmcnt(0)
	v_add_f32_e32 v3, v3, v7
	s_or_b32 exec_lo, exec_lo, s0
	s_and_saveexec_b32 s0, vcc_lo
	s_cbranch_execz .LBB4_71
.LBB4_84:
	ds_read_b32 v7, v6 offset:192
	s_waitcnt lgkmcnt(0)
	v_add_f32_e32 v4, v4, v7
	s_or_b32 exec_lo, exec_lo, s0
	s_and_saveexec_b32 s0, vcc_lo
	s_cbranch_execnz .LBB4_72
	s_branch .LBB4_73
	.section	.rodata,"a",@progbits
	.p2align	6, 0x0
	.amdhsa_kernel _ZN4vllm25paged_attention_v2_kernelIffLi80ELi8ELi128ELNS_18Fp8KVCacheDataTypeE0ELb1ELi512EEEvPfS2_PT_PKS3_PKT0_S9_ifPKiSB_iPKfiiiSD_SD_iiiii
		.amdhsa_group_segment_fixed_size 352
		.amdhsa_private_segment_fixed_size 0
		.amdhsa_kernarg_size 400
		.amdhsa_user_sgpr_count 6
		.amdhsa_user_sgpr_private_segment_buffer 1
		.amdhsa_user_sgpr_dispatch_ptr 0
		.amdhsa_user_sgpr_queue_ptr 0
		.amdhsa_user_sgpr_kernarg_segment_ptr 1
		.amdhsa_user_sgpr_dispatch_id 0
		.amdhsa_user_sgpr_flat_scratch_init 0
		.amdhsa_user_sgpr_private_segment_size 0
		.amdhsa_wavefront_size32 1
		.amdhsa_uses_dynamic_stack 0
		.amdhsa_system_sgpr_private_segment_wavefront_offset 0
		.amdhsa_system_sgpr_workgroup_id_x 1
		.amdhsa_system_sgpr_workgroup_id_y 1
		.amdhsa_system_sgpr_workgroup_id_z 1
		.amdhsa_system_sgpr_workgroup_info 0
		.amdhsa_system_vgpr_workitem_id 0
		.amdhsa_next_free_vgpr 50
		.amdhsa_next_free_sgpr 46
		.amdhsa_reserve_vcc 1
		.amdhsa_reserve_flat_scratch 0
		.amdhsa_float_round_mode_32 0
		.amdhsa_float_round_mode_16_64 0
		.amdhsa_float_denorm_mode_32 3
		.amdhsa_float_denorm_mode_16_64 3
		.amdhsa_dx10_clamp 1
		.amdhsa_ieee_mode 1
		.amdhsa_fp16_overflow 0
		.amdhsa_workgroup_processor_mode 1
		.amdhsa_memory_ordered 1
		.amdhsa_forward_progress 1
		.amdhsa_shared_vgpr_count 0
		.amdhsa_exception_fp_ieee_invalid_op 0
		.amdhsa_exception_fp_denorm_src 0
		.amdhsa_exception_fp_ieee_div_zero 0
		.amdhsa_exception_fp_ieee_overflow 0
		.amdhsa_exception_fp_ieee_underflow 0
		.amdhsa_exception_fp_ieee_inexact 0
		.amdhsa_exception_int_div_zero 0
	.end_amdhsa_kernel
	.section	.text._ZN4vllm25paged_attention_v2_kernelIffLi80ELi8ELi128ELNS_18Fp8KVCacheDataTypeE0ELb1ELi512EEEvPfS2_PT_PKS3_PKT0_S9_ifPKiSB_iPKfiiiSD_SD_iiiii,"axG",@progbits,_ZN4vllm25paged_attention_v2_kernelIffLi80ELi8ELi128ELNS_18Fp8KVCacheDataTypeE0ELb1ELi512EEEvPfS2_PT_PKS3_PKT0_S9_ifPKiSB_iPKfiiiSD_SD_iiiii,comdat
.Lfunc_end4:
	.size	_ZN4vllm25paged_attention_v2_kernelIffLi80ELi8ELi128ELNS_18Fp8KVCacheDataTypeE0ELb1ELi512EEEvPfS2_PT_PKS3_PKT0_S9_ifPKiSB_iPKfiiiSD_SD_iiiii, .Lfunc_end4-_ZN4vllm25paged_attention_v2_kernelIffLi80ELi8ELi128ELNS_18Fp8KVCacheDataTypeE0ELb1ELi512EEEvPfS2_PT_PKS3_PKT0_S9_ifPKiSB_iPKfiiiSD_SD_iiiii
                                        ; -- End function
	.set _ZN4vllm25paged_attention_v2_kernelIffLi80ELi8ELi128ELNS_18Fp8KVCacheDataTypeE0ELb1ELi512EEEvPfS2_PT_PKS3_PKT0_S9_ifPKiSB_iPKfiiiSD_SD_iiiii.num_vgpr, 50
	.set _ZN4vllm25paged_attention_v2_kernelIffLi80ELi8ELi128ELNS_18Fp8KVCacheDataTypeE0ELb1ELi512EEEvPfS2_PT_PKS3_PKT0_S9_ifPKiSB_iPKfiiiSD_SD_iiiii.num_agpr, 0
	.set _ZN4vllm25paged_attention_v2_kernelIffLi80ELi8ELi128ELNS_18Fp8KVCacheDataTypeE0ELb1ELi512EEEvPfS2_PT_PKS3_PKT0_S9_ifPKiSB_iPKfiiiSD_SD_iiiii.numbered_sgpr, 46
	.set _ZN4vllm25paged_attention_v2_kernelIffLi80ELi8ELi128ELNS_18Fp8KVCacheDataTypeE0ELb1ELi512EEEvPfS2_PT_PKS3_PKT0_S9_ifPKiSB_iPKfiiiSD_SD_iiiii.num_named_barrier, 0
	.set _ZN4vllm25paged_attention_v2_kernelIffLi80ELi8ELi128ELNS_18Fp8KVCacheDataTypeE0ELb1ELi512EEEvPfS2_PT_PKS3_PKT0_S9_ifPKiSB_iPKfiiiSD_SD_iiiii.private_seg_size, 0
	.set _ZN4vllm25paged_attention_v2_kernelIffLi80ELi8ELi128ELNS_18Fp8KVCacheDataTypeE0ELb1ELi512EEEvPfS2_PT_PKS3_PKT0_S9_ifPKiSB_iPKfiiiSD_SD_iiiii.uses_vcc, 1
	.set _ZN4vllm25paged_attention_v2_kernelIffLi80ELi8ELi128ELNS_18Fp8KVCacheDataTypeE0ELb1ELi512EEEvPfS2_PT_PKS3_PKT0_S9_ifPKiSB_iPKfiiiSD_SD_iiiii.uses_flat_scratch, 0
	.set _ZN4vllm25paged_attention_v2_kernelIffLi80ELi8ELi128ELNS_18Fp8KVCacheDataTypeE0ELb1ELi512EEEvPfS2_PT_PKS3_PKT0_S9_ifPKiSB_iPKfiiiSD_SD_iiiii.has_dyn_sized_stack, 0
	.set _ZN4vllm25paged_attention_v2_kernelIffLi80ELi8ELi128ELNS_18Fp8KVCacheDataTypeE0ELb1ELi512EEEvPfS2_PT_PKS3_PKT0_S9_ifPKiSB_iPKfiiiSD_SD_iiiii.has_recursion, 0
	.set _ZN4vllm25paged_attention_v2_kernelIffLi80ELi8ELi128ELNS_18Fp8KVCacheDataTypeE0ELb1ELi512EEEvPfS2_PT_PKS3_PKT0_S9_ifPKiSB_iPKfiiiSD_SD_iiiii.has_indirect_call, 0
	.section	.AMDGPU.csdata,"",@progbits
; Kernel info:
; codeLenInByte = 4932
; TotalNumSgprs: 48
; NumVgprs: 50
; ScratchSize: 0
; MemoryBound: 0
; FloatMode: 240
; IeeeMode: 1
; LDSByteSize: 352 bytes/workgroup (compile time only)
; SGPRBlocks: 0
; VGPRBlocks: 6
; NumSGPRsForWavesPerEU: 48
; NumVGPRsForWavesPerEU: 50
; Occupancy: 16
; WaveLimiterHint : 1
; COMPUTE_PGM_RSRC2:SCRATCH_EN: 0
; COMPUTE_PGM_RSRC2:USER_SGPR: 6
; COMPUTE_PGM_RSRC2:TRAP_HANDLER: 0
; COMPUTE_PGM_RSRC2:TGID_X_EN: 1
; COMPUTE_PGM_RSRC2:TGID_Y_EN: 1
; COMPUTE_PGM_RSRC2:TGID_Z_EN: 1
; COMPUTE_PGM_RSRC2:TIDIG_COMP_CNT: 0
	.section	.text._ZN4vllm32paged_attention_v2_reduce_kernelIfLi80ELi128ELi512EEEvPT_PKfS4_PKS1_PKii,"axG",@progbits,_ZN4vllm32paged_attention_v2_reduce_kernelIfLi80ELi128ELi512EEEvPT_PKfS4_PKS1_PKii,comdat
	.protected	_ZN4vllm32paged_attention_v2_reduce_kernelIfLi80ELi128ELi512EEEvPT_PKfS4_PKS1_PKii ; -- Begin function _ZN4vllm32paged_attention_v2_reduce_kernelIfLi80ELi128ELi512EEEvPT_PKfS4_PKS1_PKii
	.globl	_ZN4vllm32paged_attention_v2_reduce_kernelIfLi80ELi128ELi512EEEvPT_PKfS4_PKS1_PKii
	.p2align	8
	.type	_ZN4vllm32paged_attention_v2_reduce_kernelIfLi80ELi128ELi512EEEvPT_PKfS4_PKS1_PKii,@function
_ZN4vllm32paged_attention_v2_reduce_kernelIfLi80ELi128ELi512EEEvPT_PKfS4_PKS1_PKii: ; @_ZN4vllm32paged_attention_v2_reduce_kernelIfLi80ELi128ELi512EEEvPT_PKfS4_PKS1_PKii
; %bb.0:
	s_load_dwordx4 s[8:11], s[4:5], 0x18
	s_add_u32 s12, s4, 48
	s_mov_b32 s14, s7
	s_addc_u32 s13, s5, 0
	s_ashr_i32 s15, s7, 31
	s_lshl_b64 s[0:1], s[14:15], 2
	s_waitcnt lgkmcnt(0)
	s_add_u32 s0, s10, s0
	s_addc_u32 s1, s11, s1
	s_load_dword s22, s[0:1], 0x0
	s_clause 0x2
	s_load_dwordx2 s[10:11], s[4:5], 0x0
	s_load_dword s7, s[4:5], 0x28
	s_load_dword s15, s[4:5], 0x30
	s_waitcnt lgkmcnt(0)
	s_add_i32 s0, s22, -1
	s_cmpk_gt_u32 s0, 0x1ff
	s_mov_b32 s0, -1
	s_cbranch_scc0 .LBB5_25
; %bb.1:
	s_load_dwordx2 s[2:3], s[4:5], 0x8
	s_add_i32 s0, s22, 0x1ff
	s_mul_i32 s20, s15, s14
	s_ashr_i32 s1, s0, 31
	v_mov_b32_e32 v3, 0xff7fffff
	s_lshr_b32 s1, s1, 23
	s_mul_i32 s16, s20, s7
	s_add_i32 s0, s0, s1
	s_mul_i32 s18, s7, s6
	s_ashr_i32 s21, s0, 9
	s_ashr_i32 s17, s16, 31
	v_cmp_gt_i32_e32 vcc_lo, s21, v0
	s_ashr_i32 s19, s18, 31
	s_and_saveexec_b32 s1, vcc_lo
	s_cbranch_execz .LBB5_5
; %bb.2:
	s_load_dword s0, s[12:13], 0xc
	s_load_dwordx2 s[24:25], s[4:5], 0x10
	s_lshl_b64 s[26:27], s[16:17], 2
	s_lshl_b64 s[28:29], s[18:19], 2
	v_lshlrev_b32_e32 v1, 2, v0
	v_mov_b32_e32 v3, 0xff7fffff
	v_mov_b32_e32 v5, v0
	v_add_nc_u32_e32 v4, 32, v1
	s_waitcnt lgkmcnt(0)
	s_and_b32 s4, s0, 0xffff
	s_add_u32 s0, s26, s28
	s_addc_u32 s5, s27, s29
	s_add_u32 s0, s24, s0
	s_addc_u32 s5, s25, s5
	v_add_co_u32 v1, s0, s0, v1
	v_add_co_ci_u32_e64 v2, null, s5, 0, s0
	s_mov_b32 s5, 0
	s_lshl_b32 s23, s4, 2
	.p2align	6
.LBB5_3:                                ; =>This Inner Loop Header: Depth=1
	global_load_dword v6, v[1:2], off
	v_add_nc_u32_e32 v5, s4, v5
	v_max_f32_e32 v3, v3, v3
	v_add_co_u32 v1, s0, v1, s23
	v_add_co_ci_u32_e64 v2, null, 0, v2, s0
	v_cmp_le_i32_e64 s0, s21, v5
	s_or_b32 s5, s0, s5
	s_waitcnt vmcnt(0)
	v_max_f32_e32 v7, v6, v6
	ds_write_b32 v4, v6
	v_add_nc_u32_e32 v4, s23, v4
	v_max_f32_e32 v3, v3, v7
	s_andn2_b32 exec_lo, exec_lo, s5
	s_cbranch_execnz .LBB5_3
; %bb.4:
	s_or_b32 exec_lo, exec_lo, s5
.LBB5_5:
	s_or_b32 exec_lo, exec_lo, s1
	v_mbcnt_lo_u32_b32 v1, -1, 0
	s_waitcnt lgkmcnt(0)
	s_barrier
	buffer_gl0_inv
	v_xor_b32_e32 v2, 16, v1
	v_xor_b32_e32 v4, 8, v1
	v_cmp_gt_i32_e64 s0, 32, v2
	v_cndmask_b32_e64 v2, v1, v2, s0
	v_cmp_gt_i32_e64 s0, 32, v4
	v_lshlrev_b32_e32 v5, 2, v2
	v_cndmask_b32_e64 v4, v1, v4, s0
	ds_bpermute_b32 v2, v5, v3
	v_max_f32_e32 v3, v3, v3
	v_lshlrev_b32_e32 v6, 2, v4
	v_xor_b32_e32 v4, 4, v1
	v_cmp_gt_i32_e64 s0, 32, v4
	v_cndmask_b32_e64 v4, v1, v4, s0
	v_lshlrev_b32_e32 v7, 2, v4
	v_xor_b32_e32 v4, 2, v1
	s_waitcnt lgkmcnt(0)
	v_max_f32_e32 v2, v2, v2
	v_cmp_gt_i32_e64 s0, 32, v4
	v_max_f32_e32 v2, v3, v2
	v_cndmask_b32_e64 v4, v1, v4, s0
	ds_bpermute_b32 v3, v6, v2
	s_waitcnt lgkmcnt(0)
	v_max_f32_e32 v3, v3, v3
	v_max_f32_e32 v2, v2, v3
	ds_bpermute_b32 v3, v7, v2
	s_waitcnt lgkmcnt(0)
	v_max_f32_e32 v8, v3, v3
	v_lshlrev_b32_e32 v3, 2, v4
	v_max_f32_e32 v2, v2, v8
	v_xor_b32_e32 v8, 1, v1
	ds_bpermute_b32 v4, v3, v2
	v_cmp_gt_i32_e64 s0, 32, v8
	v_cndmask_b32_e64 v1, v1, v8, s0
	v_lshrrev_b32_e32 v8, 5, v0
	v_lshlrev_b32_e32 v8, 2, v8
	s_waitcnt lgkmcnt(0)
	v_max_f32_e32 v4, v4, v4
	v_max_f32_e32 v2, v2, v4
	v_lshlrev_b32_e32 v4, 2, v1
	v_and_b32_e32 v1, 31, v0
	ds_bpermute_b32 v9, v4, v2
	v_cmp_eq_u32_e64 s0, 0, v1
	s_and_saveexec_b32 s1, s0
	s_cbranch_execz .LBB5_7
; %bb.6:
	s_waitcnt lgkmcnt(0)
	v_max_f32_e32 v9, v9, v9
	v_max_f32_e32 v2, v2, v2
	;; [unrolled: 1-line block ×3, first 2 shown]
	ds_write_b32 v8, v2
.LBB5_7:
	s_or_b32 exec_lo, exec_lo, s1
	v_cmp_gt_u32_e64 s1, 4, v1
	v_mov_b32_e32 v2, 0xff7fffff
	s_waitcnt lgkmcnt(0)
	v_lshlrev_b32_e32 v9, 2, v1
	s_barrier
	buffer_gl0_inv
	s_and_saveexec_b32 s4, s1
; %bb.8:
	ds_read_b32 v2, v9
; %bb.9:
	s_or_b32 exec_lo, exec_lo, s4
	s_waitcnt lgkmcnt(0)
	ds_bpermute_b32 v1, v3, v2
	v_max_f32_e32 v2, v2, v2
	v_mov_b32_e32 v10, 0
	s_lshl_b32 s4, s21, 2
	s_waitcnt lgkmcnt(0)
	v_max_f32_e32 v1, v1, v1
	v_max_f32_e32 v1, v2, v1
	ds_bpermute_b32 v2, v4, v1
	s_waitcnt lgkmcnt(0)
	v_max_f32_e32 v2, v2, v2
	v_max_f32_e32 v1, v1, v2
	ds_bpermute_b32 v11, v10, v1
	s_and_saveexec_b32 s5, vcc_lo
	s_cbranch_execz .LBB5_13
; %bb.10:
	s_load_dword s23, s[12:13], 0xc
	s_lshl_b64 s[24:25], s[16:17], 2
	s_lshl_b64 s[26:27], s[18:19], 2
	v_lshlrev_b32_e32 v1, 2, v0
	v_mov_b32_e32 v10, 0
	v_mov_b32_e32 v13, v0
	v_add_nc_u32_e32 v12, 32, v1
	s_waitcnt lgkmcnt(0)
	s_and_b32 s17, s23, 0xffff
	s_add_u32 s19, s24, s26
	s_addc_u32 s23, s25, s27
	s_add_u32 s2, s2, s19
	s_addc_u32 s3, s3, s23
	v_add_co_u32 v1, s2, s2, v1
	v_add_co_ci_u32_e64 v2, null, s3, 0, s2
	s_mov_b32 s3, 0
	s_lshl_b32 s19, s17, 2
	s_inst_prefetch 0x1
	.p2align	6
.LBB5_11:                               ; =>This Inner Loop Header: Depth=1
	global_load_dword v14, v[1:2], off
	ds_read_b32 v15, v12
	v_add_nc_u32_e32 v13, s17, v13
	s_waitcnt lgkmcnt(0)
	v_sub_f32_e32 v15, v15, v11
	v_mul_f32_e32 v16, 0x3fb8aa3b, v15
	v_cmp_ngt_f32_e32 vcc_lo, 0xc2ce8ed0, v15
	v_cmp_nlt_f32_e64 s2, 0x42b17218, v15
	v_fma_f32 v17, 0x3fb8aa3b, v15, -v16
	v_rndne_f32_e32 v18, v16
	v_fmac_f32_e32 v17, 0x32a5705f, v15
	v_sub_f32_e32 v16, v16, v18
	v_add_f32_e32 v16, v16, v17
	v_cvt_i32_f32_e32 v17, v18
	v_exp_f32_e32 v16, v16
	v_ldexp_f32 v16, v16, v17
	v_add_nc_u32_e32 v17, s4, v12
	v_add_nc_u32_e32 v12, s19, v12
	v_cndmask_b32_e32 v16, 0, v16, vcc_lo
	v_add_co_u32 v1, vcc_lo, v1, s19
	v_add_co_ci_u32_e64 v2, null, 0, v2, vcc_lo
	v_cndmask_b32_e64 v15, 0x7f800000, v16, s2
	v_cmp_le_i32_e32 vcc_lo, s21, v13
	s_or_b32 s3, vcc_lo, s3
	s_waitcnt vmcnt(0)
	v_mul_f32_e32 v16, v14, v15
	v_fmac_f32_e32 v10, v14, v15
	ds_write_b32 v17, v16
	s_andn2_b32 exec_lo, exec_lo, s3
	s_cbranch_execnz .LBB5_11
; %bb.12:
	s_inst_prefetch 0x2
	s_or_b32 exec_lo, exec_lo, s3
.LBB5_13:
	s_or_b32 exec_lo, exec_lo, s5
	ds_bpermute_b32 v1, v5, v10
	s_waitcnt lgkmcnt(0)
	s_barrier
	buffer_gl0_inv
	v_add_f32_e32 v1, v10, v1
	ds_bpermute_b32 v2, v6, v1
	s_waitcnt lgkmcnt(0)
	v_add_f32_e32 v1, v1, v2
	ds_bpermute_b32 v2, v7, v1
	s_waitcnt lgkmcnt(0)
	;; [unrolled: 3-line block ×4, first 2 shown]
	v_add_f32_e32 v1, v1, v2
	s_and_saveexec_b32 s2, s0
; %bb.14:
	ds_write_b32 v8, v1 offset:16
; %bb.15:
	s_or_b32 exec_lo, exec_lo, s2
	s_waitcnt lgkmcnt(0)
	s_barrier
	buffer_gl0_inv
	s_and_saveexec_b32 s0, s1
; %bb.16:
	ds_read_b32 v1, v9 offset:16
; %bb.17:
	s_or_b32 exec_lo, exec_lo, s0
	s_waitcnt lgkmcnt(0)
	ds_bpermute_b32 v2, v3, v1
	s_mov_b32 s0, exec_lo
	s_waitcnt lgkmcnt(0)
	v_add_f32_e32 v1, v1, v2
	ds_bpermute_b32 v2, v4, v1
	s_waitcnt lgkmcnt(0)
	v_add_f32_e32 v1, v1, v2
	v_mov_b32_e32 v2, 0
	ds_bpermute_b32 v2, v2, v1
	v_cmpx_gt_u32_e32 0x50, v0
	s_cbranch_execz .LBB5_24
; %bb.18:
	s_cmp_gt_i32 s22, 0
	s_mov_b32 s1, 0
	s_cbranch_scc1 .LBB5_20
; %bb.19:
	v_mov_b32_e32 v1, 0
	v_mov_b32_e32 v4, 0
	s_andn2_b32 vcc_lo, exec_lo, s1
	s_cbranch_vccz .LBB5_21
	s_branch .LBB5_23
.LBB5_20:
	v_mov_b32_e32 v4, 0
.LBB5_21:
	s_waitcnt lgkmcnt(0)
	v_add_f32_e32 v4, 0x358637bd, v2
	s_mulk_i32 s16, 0x50
	s_mulk_i32 s18, 0x50
	s_ashr_i32 s17, s16, 31
	s_ashr_i32 s19, s18, 31
	v_div_scale_f32 v2, null, v4, v4, 1.0
	v_div_scale_f32 v5, vcc_lo, 1.0, v4, 1.0
	s_add_i32 s2, s4, 32
	v_rcp_f32_e32 v3, v2
	s_lshl_b64 s[4:5], s[16:17], 2
	s_lshl_b64 s[16:17], s[18:19], 2
	s_max_i32 s1, s21, 1
	s_add_u32 s3, s4, s16
	s_addc_u32 s4, s5, s17
	s_add_u32 s3, s8, s3
	s_addc_u32 s4, s9, s4
	v_fma_f32 v1, -v2, v3, 1.0
	v_fmac_f32_e32 v3, v1, v3
	v_mov_b32_e32 v1, 0
	v_mul_f32_e32 v6, v5, v3
	v_fma_f32 v7, -v2, v6, v5
	v_fmac_f32_e32 v6, v7, v3
	v_lshlrev_b32_e32 v7, 2, v0
	v_fma_f32 v2, -v2, v6, v5
	v_div_fmas_f32 v5, v2, v3, v6
	v_add_co_u32 v2, s3, s3, v7
	v_add_co_ci_u32_e64 v3, null, s4, 0, s3
	v_div_fixup_f32 v5, v5, v4, 1.0
	v_mov_b32_e32 v4, v1
.LBB5_22:                               ; =>This Inner Loop Header: Depth=1
	global_load_dword v6, v[2:3], off
	v_mov_b32_e32 v7, s2
	v_add_co_u32 v2, vcc_lo, 0x140, v2
	v_add_co_ci_u32_e64 v3, null, 0, v3, vcc_lo
	ds_read_b32 v7, v7
	s_add_i32 s1, s1, -1
	s_add_i32 s2, s2, 4
	s_cmp_eq_u32 s1, 0
	s_waitcnt vmcnt(0) lgkmcnt(0)
	v_mul_f32_e32 v6, v6, v7
	v_fmac_f32_e32 v4, v5, v6
	s_cbranch_scc0 .LBB5_22
.LBB5_23:
	s_mul_i32 s2, s20, 0x50
	s_mul_i32 s4, s6, 0x50
	s_ashr_i32 s3, s2, 31
	s_waitcnt lgkmcnt(0)
	v_lshlrev_b64 v[1:2], 2, v[0:1]
	s_lshl_b64 s[2:3], s[2:3], 2
	s_add_u32 s1, s10, s2
	s_addc_u32 s16, s11, s3
	s_ashr_i32 s5, s4, 31
	s_lshl_b64 s[2:3], s[4:5], 2
	s_add_u32 s1, s1, s2
	s_addc_u32 s2, s16, s3
	v_add_co_u32 v1, vcc_lo, s1, v1
	v_add_co_ci_u32_e64 v2, null, s2, v2, vcc_lo
	global_store_dword v[1:2], v4, off
.LBB5_24:
	s_or_b32 exec_lo, exec_lo, s0
	s_mov_b32 s0, 0
.LBB5_25:
	s_and_b32 vcc_lo, exec_lo, s0
	s_cbranch_vccz .LBB5_29
; %bb.26:
	s_mov_b32 s0, exec_lo
	v_cmpx_gt_u32_e32 0x50, v0
	s_cbranch_execz .LBB5_29
; %bb.27:
	s_mul_i32 s0, s15, s14
	s_mul_i32 s4, s6, 0x50
	s_mulk_i32 s0, 0x50
	s_load_dword s6, s[12:13], 0xc
	s_ashr_i32 s1, s0, 31
	v_lshlrev_b32_e32 v1, 2, v0
	s_lshl_b64 s[2:3], s[0:1], 2
	s_waitcnt lgkmcnt(0)
	v_mov_b32_e32 v2, 0
	s_add_u32 s1, s10, s2
	s_addc_u32 s11, s11, s3
	s_ashr_i32 s5, s4, 31
	s_mul_i32 s10, s0, s7
	s_lshl_b64 s[2:3], s[4:5], 2
	s_mul_i32 s4, s4, s7
	s_add_u32 s1, s1, s2
	s_addc_u32 s2, s11, s3
	s_ashr_i32 s11, s10, 31
	s_lshl_b64 s[10:11], s[10:11], 2
	s_add_u32 s0, s8, s10
	s_addc_u32 s7, s9, s11
	s_ashr_i32 s5, s4, 31
	s_lshl_b64 s[4:5], s[4:5], 2
	s_add_u32 s3, s0, s4
	s_addc_u32 s4, s7, s5
	s_and_b32 s5, s6, 0xffff
	s_mov_b32 s6, 0
	s_lshl_b32 s7, s5, 2
	.p2align	6
.LBB5_28:                               ; =>This Inner Loop Header: Depth=1
	v_add_co_u32 v3, vcc_lo, s3, v1
	v_add_co_ci_u32_e64 v4, null, s4, v2, vcc_lo
	v_add_nc_u32_e32 v0, s5, v0
	global_load_dword v5, v[3:4], off
	v_add_co_u32 v3, vcc_lo, s1, v1
	v_add_co_ci_u32_e64 v4, null, s2, v2, vcc_lo
	v_cmp_lt_u32_e32 vcc_lo, 0x4f, v0
	v_add_co_u32 v1, s0, v1, s7
	v_add_co_ci_u32_e64 v2, null, 0, v2, s0
	s_or_b32 s6, vcc_lo, s6
	s_waitcnt vmcnt(0)
	global_store_dword v[3:4], v5, off
	s_andn2_b32 exec_lo, exec_lo, s6
	s_cbranch_execnz .LBB5_28
.LBB5_29:
	s_endpgm
	.section	.rodata,"a",@progbits
	.p2align	6, 0x0
	.amdhsa_kernel _ZN4vllm32paged_attention_v2_reduce_kernelIfLi80ELi128ELi512EEEvPT_PKfS4_PKS1_PKii
		.amdhsa_group_segment_fixed_size 32
		.amdhsa_private_segment_fixed_size 0
		.amdhsa_kernarg_size 304
		.amdhsa_user_sgpr_count 6
		.amdhsa_user_sgpr_private_segment_buffer 1
		.amdhsa_user_sgpr_dispatch_ptr 0
		.amdhsa_user_sgpr_queue_ptr 0
		.amdhsa_user_sgpr_kernarg_segment_ptr 1
		.amdhsa_user_sgpr_dispatch_id 0
		.amdhsa_user_sgpr_flat_scratch_init 0
		.amdhsa_user_sgpr_private_segment_size 0
		.amdhsa_wavefront_size32 1
		.amdhsa_uses_dynamic_stack 0
		.amdhsa_system_sgpr_private_segment_wavefront_offset 0
		.amdhsa_system_sgpr_workgroup_id_x 1
		.amdhsa_system_sgpr_workgroup_id_y 1
		.amdhsa_system_sgpr_workgroup_id_z 0
		.amdhsa_system_sgpr_workgroup_info 0
		.amdhsa_system_vgpr_workitem_id 0
		.amdhsa_next_free_vgpr 19
		.amdhsa_next_free_sgpr 30
		.amdhsa_reserve_vcc 1
		.amdhsa_reserve_flat_scratch 0
		.amdhsa_float_round_mode_32 0
		.amdhsa_float_round_mode_16_64 0
		.amdhsa_float_denorm_mode_32 3
		.amdhsa_float_denorm_mode_16_64 3
		.amdhsa_dx10_clamp 1
		.amdhsa_ieee_mode 1
		.amdhsa_fp16_overflow 0
		.amdhsa_workgroup_processor_mode 1
		.amdhsa_memory_ordered 1
		.amdhsa_forward_progress 1
		.amdhsa_shared_vgpr_count 0
		.amdhsa_exception_fp_ieee_invalid_op 0
		.amdhsa_exception_fp_denorm_src 0
		.amdhsa_exception_fp_ieee_div_zero 0
		.amdhsa_exception_fp_ieee_overflow 0
		.amdhsa_exception_fp_ieee_underflow 0
		.amdhsa_exception_fp_ieee_inexact 0
		.amdhsa_exception_int_div_zero 0
	.end_amdhsa_kernel
	.section	.text._ZN4vllm32paged_attention_v2_reduce_kernelIfLi80ELi128ELi512EEEvPT_PKfS4_PKS1_PKii,"axG",@progbits,_ZN4vllm32paged_attention_v2_reduce_kernelIfLi80ELi128ELi512EEEvPT_PKfS4_PKS1_PKii,comdat
.Lfunc_end5:
	.size	_ZN4vllm32paged_attention_v2_reduce_kernelIfLi80ELi128ELi512EEEvPT_PKfS4_PKS1_PKii, .Lfunc_end5-_ZN4vllm32paged_attention_v2_reduce_kernelIfLi80ELi128ELi512EEEvPT_PKfS4_PKS1_PKii
                                        ; -- End function
	.set _ZN4vllm32paged_attention_v2_reduce_kernelIfLi80ELi128ELi512EEEvPT_PKfS4_PKS1_PKii.num_vgpr, 19
	.set _ZN4vllm32paged_attention_v2_reduce_kernelIfLi80ELi128ELi512EEEvPT_PKfS4_PKS1_PKii.num_agpr, 0
	.set _ZN4vllm32paged_attention_v2_reduce_kernelIfLi80ELi128ELi512EEEvPT_PKfS4_PKS1_PKii.numbered_sgpr, 30
	.set _ZN4vllm32paged_attention_v2_reduce_kernelIfLi80ELi128ELi512EEEvPT_PKfS4_PKS1_PKii.num_named_barrier, 0
	.set _ZN4vllm32paged_attention_v2_reduce_kernelIfLi80ELi128ELi512EEEvPT_PKfS4_PKS1_PKii.private_seg_size, 0
	.set _ZN4vllm32paged_attention_v2_reduce_kernelIfLi80ELi128ELi512EEEvPT_PKfS4_PKS1_PKii.uses_vcc, 1
	.set _ZN4vllm32paged_attention_v2_reduce_kernelIfLi80ELi128ELi512EEEvPT_PKfS4_PKS1_PKii.uses_flat_scratch, 0
	.set _ZN4vllm32paged_attention_v2_reduce_kernelIfLi80ELi128ELi512EEEvPT_PKfS4_PKS1_PKii.has_dyn_sized_stack, 0
	.set _ZN4vllm32paged_attention_v2_reduce_kernelIfLi80ELi128ELi512EEEvPT_PKfS4_PKS1_PKii.has_recursion, 0
	.set _ZN4vllm32paged_attention_v2_reduce_kernelIfLi80ELi128ELi512EEEvPT_PKfS4_PKS1_PKii.has_indirect_call, 0
	.section	.AMDGPU.csdata,"",@progbits
; Kernel info:
; codeLenInByte = 2016
; TotalNumSgprs: 32
; NumVgprs: 19
; ScratchSize: 0
; MemoryBound: 0
; FloatMode: 240
; IeeeMode: 1
; LDSByteSize: 32 bytes/workgroup (compile time only)
; SGPRBlocks: 0
; VGPRBlocks: 2
; NumSGPRsForWavesPerEU: 32
; NumVGPRsForWavesPerEU: 19
; Occupancy: 16
; WaveLimiterHint : 0
; COMPUTE_PGM_RSRC2:SCRATCH_EN: 0
; COMPUTE_PGM_RSRC2:USER_SGPR: 6
; COMPUTE_PGM_RSRC2:TRAP_HANDLER: 0
; COMPUTE_PGM_RSRC2:TGID_X_EN: 1
; COMPUTE_PGM_RSRC2:TGID_Y_EN: 1
; COMPUTE_PGM_RSRC2:TGID_Z_EN: 0
; COMPUTE_PGM_RSRC2:TIDIG_COMP_CNT: 0
	.section	.text._ZN4vllm25paged_attention_v2_kernelIffLi96ELi8ELi128ELNS_18Fp8KVCacheDataTypeE0ELb1ELi512EEEvPfS2_PT_PKS3_PKT0_S9_ifPKiSB_iPKfiiiSD_SD_iiiii,"axG",@progbits,_ZN4vllm25paged_attention_v2_kernelIffLi96ELi8ELi128ELNS_18Fp8KVCacheDataTypeE0ELb1ELi512EEEvPfS2_PT_PKS3_PKT0_S9_ifPKiSB_iPKfiiiSD_SD_iiiii,comdat
	.protected	_ZN4vllm25paged_attention_v2_kernelIffLi96ELi8ELi128ELNS_18Fp8KVCacheDataTypeE0ELb1ELi512EEEvPfS2_PT_PKS3_PKT0_S9_ifPKiSB_iPKfiiiSD_SD_iiiii ; -- Begin function _ZN4vllm25paged_attention_v2_kernelIffLi96ELi8ELi128ELNS_18Fp8KVCacheDataTypeE0ELb1ELi512EEEvPfS2_PT_PKS3_PKT0_S9_ifPKiSB_iPKfiiiSD_SD_iiiii
	.globl	_ZN4vllm25paged_attention_v2_kernelIffLi96ELi8ELi128ELNS_18Fp8KVCacheDataTypeE0ELb1ELi512EEEvPfS2_PT_PKS3_PKT0_S9_ifPKiSB_iPKfiiiSD_SD_iiiii
	.p2align	8
	.type	_ZN4vllm25paged_attention_v2_kernelIffLi96ELi8ELi128ELNS_18Fp8KVCacheDataTypeE0ELb1ELi512EEEvPfS2_PT_PKS3_PKT0_S9_ifPKiSB_iPKfiiiSD_SD_iiiii,@function
_ZN4vllm25paged_attention_v2_kernelIffLi96ELi8ELi128ELNS_18Fp8KVCacheDataTypeE0ELb1ELi512EEEvPfS2_PT_PKS3_PKT0_S9_ifPKiSB_iPKfiiiSD_SD_iiiii: ; @_ZN4vllm25paged_attention_v2_kernelIffLi96ELi8ELi128ELNS_18Fp8KVCacheDataTypeE0ELb1ELi512EEEvPfS2_PT_PKS3_PKT0_S9_ifPKiSB_iPKfiiiSD_SD_iiiii
; %bb.0:
	s_load_dwordx2 s[0:1], s[4:5], 0x40
	s_mov_b32 s26, s7
	s_ashr_i32 s27, s7, 31
	s_lshl_b64 s[2:3], s[26:27], 2
	s_waitcnt lgkmcnt(0)
	s_add_u32 s0, s0, s2
	s_addc_u32 s1, s1, s3
	s_lshl_b32 s38, s8, 9
	s_load_dword s27, s[0:1], 0x0
	s_waitcnt lgkmcnt(0)
	s_cmp_ge_i32 s38, s27
	s_cbranch_scc1 .LBB6_80
; %bb.1:
	s_clause 0x1
	s_load_dword s9, s[4:5], 0x90
	s_load_dwordx2 s[36:37], s[4:5], 0x30
	s_mov_b32 s40, 0
	s_waitcnt lgkmcnt(0)
	s_abs_i32 s3, s9
	s_abs_i32 s0, s36
	v_cvt_f32_u32_e32 v1, s0
	s_sub_i32 s2, 0, s0
	v_rcp_iflag_f32_e32 v1, v1
	v_mul_f32_e32 v1, 0x4f7ffffe, v1
	v_cvt_u32_f32_e32 v1, v1
	v_readfirstlane_b32 s1, v1
	s_mul_i32 s2, s2, s1
	s_mul_hi_u32 s2, s1, s2
	s_add_i32 s1, s1, s2
	s_xor_b32 s2, s9, s36
	s_mul_hi_u32 s1, s3, s1
	s_ashr_i32 s2, s2, 31
	s_mul_i32 s7, s1, s0
	s_sub_i32 s3, s3, s7
	s_add_i32 s7, s1, 1
	s_sub_i32 s10, s3, s0
	s_cmp_ge_u32 s3, s0
	s_cselect_b32 s1, s7, s1
	s_cselect_b32 s3, s10, s3
	s_add_i32 s7, s1, 1
	s_cmp_ge_u32 s3, s0
	s_cselect_b32 s0, s7, s1
	s_xor_b32 s0, s0, s2
	s_sub_i32 s10, s0, s2
	s_load_dwordx2 s[0:1], s[4:5], 0x50
	s_abs_i32 s2, s10
	v_cvt_f32_u32_e32 v1, s2
	s_sub_i32 s3, 0, s2
	v_rcp_iflag_f32_e32 v1, v1
	v_mul_f32_e32 v1, 0x4f7ffffe, v1
	v_cvt_u32_f32_e32 v1, v1
	v_readfirstlane_b32 s7, v1
	s_mul_i32 s3, s3, s7
	s_mul_hi_u32 s11, s7, s3
	s_abs_i32 s3, s6
	s_add_i32 s7, s7, s11
	s_waitcnt lgkmcnt(0)
	s_cmp_eq_u64 s[0:1], 0
	s_mul_hi_u32 s20, s3, s7
	s_cbranch_scc1 .LBB6_3
; %bb.2:
	s_ashr_i32 s7, s6, 31
	s_lshl_b64 s[12:13], s[6:7], 2
	s_add_u32 s0, s0, s12
	s_addc_u32 s1, s1, s13
	s_load_dword s40, s[0:1], 0x0
.LBB6_3:
	s_load_dwordx4 s[12:15], s[4:5], 0x58
	v_and_b32_e32 v1, 3, v0
	v_lshlrev_b32_e32 v3, 2, v0
	s_ashr_i32 s0, s6, 31
	s_ashr_i32 s1, s10, 31
	s_mul_i32 s10, s6, 0x60
	s_mov_b32 s7, exec_lo
	v_cmpx_gt_u32_e32 0x60, v0
	s_cbranch_execz .LBB6_5
; %bb.4:
	s_load_dwordx2 s[16:17], s[4:5], 0x18
	s_waitcnt lgkmcnt(0)
	s_mul_i32 s18, s12, s26
	v_and_b32_e32 v4, 0x3fc, v0
	s_ashr_i32 s19, s18, 31
	s_lshl_b64 s[18:19], s[18:19], 2
	v_mad_u32_u24 v4, 0x60, v1, v4
	s_add_u32 s12, s16, s18
	s_addc_u32 s15, s17, s19
	s_ashr_i32 s11, s10, 31
	s_lshl_b64 s[16:17], s[10:11], 2
	s_add_u32 s16, s12, s16
	s_addc_u32 s17, s15, s17
	global_load_dword v2, v3, s[16:17]
	s_waitcnt vmcnt(0)
	ds_write_b32 v4, v2
.LBB6_5:
	s_or_b32 exec_lo, exec_lo, s7
	s_load_dwordx4 s[16:19], s[4:5], 0x78
	s_mul_i32 s7, s20, s2
	s_xor_b32 s0, s0, s1
	s_sub_i32 s1, s3, s7
	s_add_i32 s3, s20, 1
	s_sub_i32 s7, s1, s2
	s_cmp_ge_u32 s1, s2
                                        ; implicit-def: $sgpr33
	s_cselect_b32 s3, s3, s20
	s_cselect_b32 s1, s7, s1
	s_add_i32 s7, s3, 1
	s_cmp_ge_u32 s1, s2
	s_mov_b32 s20, -1
	s_cselect_b32 s1, s7, s3
	s_load_dword s3, s[4:5], 0x88
	s_xor_b32 s1, s1, s0
	s_add_i32 s7, s27, -1
	s_sub_i32 s1, s1, s0
	s_abs_i32 s2, s7
	s_waitcnt lgkmcnt(0)
	s_abs_i32 s11, s19
	s_barrier
	v_cvt_f32_u32_e32 v2, s11
	s_sub_i32 s0, 0, s11
	buffer_gl0_inv
	v_rcp_iflag_f32_e32 v2, v2
	v_mul_f32_e32 v2, 0x4f7ffffe, v2
	v_cvt_u32_f32_e32 v2, v2
	v_readfirstlane_b32 s12, v2
	s_mul_i32 s0, s0, s12
	s_mul_hi_u32 s0, s12, s0
	s_add_i32 s12, s12, s0
	s_cmp_lt_i32 s3, 0
	s_mul_hi_u32 s0, s2, s12
	s_cbranch_scc0 .LBB6_7
; %bb.6:
	s_mul_i32 s15, s16, s36
	s_mov_b32 s20, 0
	s_add_i32 s15, s1, s15
	s_mul_i32 s15, s15, s3
	s_sub_i32 s33, 1, s15
.LBB6_7:
	s_load_dwordx2 s[28:29], s[4:5], 0x38
	s_ashr_i32 s15, s7, 31
	s_andn2_b32 vcc_lo, exec_lo, s20
	s_ashr_i32 s19, s19, 31
	s_cbranch_vccnz .LBB6_9
; %bb.8:
	s_mul_i32 s7, s9, s16
	s_add_i32 s7, s7, s6
	s_mul_i32 s3, s7, s3
	s_add_i32 s33, s3, 1
.LBB6_9:
	s_clause 0x4
	s_load_dword s3, s[4:5], 0x48
	s_load_dwordx2 s[34:35], s[4:5], 0x28
	s_load_dword s7, s[4:5], 0x98
	s_load_dwordx4 s[20:23], s[4:5], 0x0
	s_load_dwordx2 s[24:25], s[4:5], 0x10
	s_mul_i32 s16, s0, s11
	s_xor_b32 s15, s15, s19
	s_sub_i32 s2, s2, s16
	s_add_i32 s36, s0, 1
	v_lshrrev_b32_e32 v32, 5, v0
	v_mov_b32_e32 v5, 0xff7fffff
	v_mbcnt_lo_u32_b32 v4, -1, 0
	s_mul_i32 s14, s1, s14
	v_lshl_add_u32 v33, v32, 3, s38
	s_waitcnt lgkmcnt(0)
	s_mul_i32 s30, s3, s26
	s_sub_i32 s3, s2, s11
	s_ashr_i32 s31, s30, 31
	s_cmp_ge_u32 s2, s11
	s_cselect_b32 s0, s36, s0
	s_cselect_b32 s2, s3, s2
	s_add_i32 s3, s0, 1
	s_cmp_ge_u32 s2, s11
	s_cselect_b32 s0, s3, s0
	s_add_i32 s2, s27, 7
	s_lshl_b32 s41, s8, 6
	s_ashr_i32 s3, s2, 31
	v_or_b32_e32 v29, s41, v32
	s_lshr_b32 s3, s3, 29
	s_add_i32 s2, s2, s3
	s_add_i32 s3, s41, 64
	s_ashr_i32 s36, s2, 3
	s_xor_b32 s2, s0, s15
	s_min_i32 s16, s3, s36
	v_ashrrev_i32_e32 v30, 31, v29
	v_cmp_gt_i32_e64 s0, s16, v29
	s_sub_i32 s39, s2, s15
	s_and_saveexec_b32 s42, s0
	s_cbranch_execz .LBB6_21
; %bb.10:
	s_load_dwordx2 s[2:3], s[4:5], 0x20
	s_ashr_i32 s15, s14, 31
	s_sub_i32 s4, s39, s17
	s_lshl_b64 s[44:45], s[14:15], 2
	v_bfe_u32 v6, v0, 2, 3
	v_cmp_eq_u32_e32 vcc_lo, 0, v1
	v_lshlrev_b32_e32 v14, 2, v1
	v_mul_u32_u24_e32 v7, 0x60, v1
	v_cmp_neq_f32_e64 s1, s40, 0
	v_lshlrev_b32_e32 v12, 2, v6
	v_subrev_nc_u32_e32 v15, s27, v6
	v_lshlrev_b32_e32 v18, 4, v6
	v_lshl_add_u32 v8, v32, 3, s38
	v_mov_b32_e32 v9, 0xff7fffff
	v_lshl_or_b32 v16, v32, 5, v12
	v_add_nc_u32_e32 v12, 1, v15
	v_xor_b32_e32 v10, 2, v4
	v_xor_b32_e32 v11, 1, v4
	s_waitcnt lgkmcnt(0)
	s_add_u32 s15, s2, s44
	s_addc_u32 s43, s3, s45
	s_abs_i32 s5, s18
	v_cvt_f32_u32_e32 v2, s5
	s_sub_i32 s2, 0, s5
	v_rcp_iflag_f32_e32 v5, v2
	v_lshlrev_b64 v[1:2], 2, v[29:30]
	v_mul_f32_e32 v13, 0x4f7ffffe, v5
	v_mov_b32_e32 v5, 0xff7fffff
	v_cvt_u32_f32_e32 v17, v13
	v_add_nc_u32_e32 v13, 0x1a0, v16
	v_add_co_u32 v16, s15, s15, v18
	v_add_co_ci_u32_e64 v18, null, s43, 0, s15
	v_mul_lo_u32 v15, s2, v17
	s_lshl_b64 s[2:3], s[30:31], 2
	s_mov_b32 s15, 0
	s_add_u32 s2, s28, s2
	s_addc_u32 s3, s29, s3
	v_add_co_u32 v1, s2, s2, v1
	v_add_co_ci_u32_e64 v2, null, s3, v2, s2
	v_mul_hi_u32 v19, v17, v15
	v_add_co_u32 v14, s2, v16, v14
	v_add_co_ci_u32_e64 v15, null, 0, v18, s2
	s_mov_b32 s43, s13
	v_add_nc_u32_e32 v16, v17, v19
	v_mov_b32_e32 v17, v29
	s_branch .LBB6_13
.LBB6_11:                               ;   in Loop: Header=BB6_13 Depth=1
	s_or_b32 exec_lo, exec_lo, s44
.LBB6_12:                               ;   in Loop: Header=BB6_13 Depth=1
	s_or_b32 exec_lo, exec_lo, s3
	v_add_nc_u32_e32 v17, 4, v17
	v_add_co_u32 v1, s3, v1, 16
	v_add_co_ci_u32_e64 v2, null, 0, v2, s3
	v_cmp_le_i32_e64 s2, s16, v17
	v_add_nc_u32_e32 v8, 32, v8
	v_add_nc_u32_e32 v13, 0x80, v13
	s_or_b32 s15, s2, s15
	s_andn2_b32 exec_lo, exec_lo, s15
	s_cbranch_execz .LBB6_20
.LBB6_13:                               ; =>This Inner Loop Header: Depth=1
	v_sub_nc_u32_e32 v18, 0, v8
	v_max_i32_e32 v18, v8, v18
	s_waitcnt lgkmcnt(0)
	v_mul_hi_u32 v19, v18, s12
	v_mul_lo_u32 v20, v19, s11
	v_sub_nc_u32_e32 v18, v18, v20
	v_add_nc_u32_e32 v20, 1, v19
	v_subrev_nc_u32_e32 v21, s11, v18
	v_cmp_le_u32_e64 s2, s11, v18
	v_cndmask_b32_e64 v19, v19, v20, s2
	v_cndmask_b32_e64 v18, v18, v21, s2
	v_ashrrev_i32_e32 v20, 31, v8
	v_add_nc_u32_e32 v21, 1, v19
	v_cmp_le_u32_e64 s2, s11, v18
	v_xor_b32_e32 v20, s19, v20
	v_cndmask_b32_e64 v18, v19, v21, s2
	v_xor_b32_e32 v18, v18, v20
	v_sub_nc_u32_e32 v18, v18, v20
	v_add_nc_u32_e32 v19, s33, v18
	v_cmp_ge_i32_e64 s3, s4, v18
	v_sub_nc_u32_e32 v20, 0, v19
	v_max_i32_e32 v20, v19, v20
	v_ashrrev_i32_e32 v19, 31, v19
	v_mul_hi_u32 v21, v20, v16
	v_mul_lo_u32 v21, v21, s5
	v_sub_nc_u32_e32 v20, v20, v21
	v_subrev_nc_u32_e32 v21, s5, v20
	v_cmp_le_u32_e64 s2, s5, v20
	v_cndmask_b32_e64 v20, v20, v21, s2
	v_subrev_nc_u32_e32 v21, s5, v20
	v_cmp_le_u32_e64 s2, s5, v20
	v_cndmask_b32_e64 v20, v20, v21, s2
	v_xor_b32_e32 v20, v20, v19
	v_sub_nc_u32_e32 v19, v20, v19
	v_cmp_ne_u32_e64 s2, 0, v19
	s_and_b32 s2, s2, s3
	s_and_saveexec_b32 s3, s2
	s_xor_b32 s2, exec_lo, s3
	s_cbranch_execz .LBB6_17
; %bb.14:                               ;   in Loop: Header=BB6_13 Depth=1
	s_and_saveexec_b32 s3, vcc_lo
; %bb.15:                               ;   in Loop: Header=BB6_13 Depth=1
	ds_write_b32 v13, v9
; %bb.16:                               ;   in Loop: Header=BB6_13 Depth=1
	s_or_b32 exec_lo, exec_lo, s3
.LBB6_17:                               ;   in Loop: Header=BB6_13 Depth=1
	s_andn2_saveexec_b32 s3, s2
	s_cbranch_execz .LBB6_12
; %bb.18:                               ;   in Loop: Header=BB6_13 Depth=1
	global_load_dword v18, v[1:2], off
	s_waitcnt vmcnt(0)
	v_mad_i64_i32 v[18:19], null, v18, s43, 0
	v_lshlrev_b64 v[18:19], 2, v[18:19]
	v_add_co_u32 v18, s2, v14, v18
	v_add_co_ci_u32_e64 v19, null, v15, v19, s2
	s_clause 0xf
	global_load_dword v26, v[18:19], off offset:128
	global_load_dword v27, v[18:19], off
	global_load_dword v28, v[18:19], off offset:256
	global_load_dword v31, v[18:19], off offset:384
	;; [unrolled: 1-line block ×14, first 2 shown]
	v_add_co_u32 v18, s2, 0x800, v18
	v_add_co_ci_u32_e64 v19, null, 0, v19, s2
	v_cmp_gt_i32_e64 s2, 32, v10
	s_clause 0x7
	global_load_dword v46, v[18:19], off
	global_load_dword v47, v[18:19], off offset:128
	global_load_dword v48, v[18:19], off offset:256
	;; [unrolled: 1-line block ×7, first 2 shown]
	ds_read_b128 v[18:21], v7
	ds_read_b128 v[22:25], v7 offset:16
	s_waitcnt vmcnt(23) lgkmcnt(1)
	v_mul_f32_e32 v26, v19, v26
	s_waitcnt vmcnt(22)
	v_fmac_f32_e32 v26, v18, v27
	s_waitcnt vmcnt(21)
	v_fmac_f32_e32 v26, v20, v28
	s_waitcnt vmcnt(20)
	v_fmac_f32_e32 v26, v21, v31
	ds_read_b128 v[18:21], v7 offset:32
	s_waitcnt vmcnt(19) lgkmcnt(1)
	v_fmac_f32_e32 v26, v22, v34
	s_waitcnt vmcnt(18)
	v_fmac_f32_e32 v26, v23, v35
	s_waitcnt vmcnt(17)
	v_fmac_f32_e32 v26, v24, v36
	s_waitcnt vmcnt(16)
	v_fmac_f32_e32 v26, v25, v37
	ds_read_b128 v[22:25], v7 offset:48
	s_waitcnt vmcnt(15) lgkmcnt(1)
	v_fmac_f32_e32 v26, v18, v38
	;; [unrolled: 9-line block ×4, first 2 shown]
	v_cndmask_b32_e64 v18, v4, v10, s2
	v_cmp_gt_i32_e64 s2, 32, v11
	s_waitcnt vmcnt(6)
	v_fmac_f32_e32 v26, v19, v47
	v_lshlrev_b32_e32 v18, 2, v18
	v_cndmask_b32_e64 v19, v4, v11, s2
	s_waitcnt vmcnt(5)
	v_fmac_f32_e32 v26, v20, v48
	v_lshlrev_b32_e32 v19, 2, v19
	s_waitcnt vmcnt(4)
	v_fmac_f32_e32 v26, v21, v49
	s_waitcnt vmcnt(3) lgkmcnt(0)
	v_fmac_f32_e32 v26, v22, v50
	s_waitcnt vmcnt(2)
	v_fmac_f32_e32 v26, v23, v51
	s_waitcnt vmcnt(1)
	;; [unrolled: 2-line block ×3, first 2 shown]
	v_fmac_f32_e32 v26, v25, v53
	ds_bpermute_b32 v18, v18, v26
	s_waitcnt lgkmcnt(0)
	v_add_f32_e32 v18, v26, v18
	ds_bpermute_b32 v19, v19, v18
	s_and_saveexec_b32 s44, vcc_lo
	s_cbranch_execz .LBB6_11
; %bb.19:                               ;   in Loop: Header=BB6_13 Depth=1
	v_add_nc_u32_e32 v20, v12, v8
	s_waitcnt lgkmcnt(0)
	v_add_f32_e32 v18, v18, v19
	v_cvt_f32_i32_e32 v20, v20
	v_mul_f32_e32 v20, s40, v20
	v_cndmask_b32_e64 v19, 0, v20, s1
	v_max_f32_e32 v20, v5, v5
	v_fmac_f32_e32 v19, s37, v18
	v_add_nc_u32_e32 v18, v6, v8
	v_max_f32_e32 v20, v20, v19
	v_cmp_gt_i32_e64 s2, s27, v18
	v_cndmask_b32_e64 v18, 0, v19, s2
	v_cndmask_b32_e64 v5, v5, v20, s2
	ds_write_b32 v13, v18
	s_branch .LBB6_11
.LBB6_20:
	s_or_b32 exec_lo, exec_lo, s15
.LBB6_21:
	s_or_b32 exec_lo, exec_lo, s42
	v_xor_b32_e32 v1, 16, v4
	v_xor_b32_e32 v6, 8, v4
	v_max_f32_e32 v7, v5, v5
	v_and_b32_e32 v34, 31, v0
	v_cmp_gt_i32_e32 vcc_lo, 32, v1
	v_cndmask_b32_e32 v1, v4, v1, vcc_lo
	v_cmp_gt_i32_e32 vcc_lo, 32, v6
	v_lshlrev_b32_e32 v2, 2, v1
	ds_bpermute_b32 v1, v2, v5
	v_cndmask_b32_e32 v5, v4, v6, vcc_lo
	v_lshlrev_b32_e32 v5, 2, v5
	s_waitcnt lgkmcnt(0)
	v_max_f32_e32 v1, v1, v1
	v_max_f32_e32 v1, v7, v1
	v_xor_b32_e32 v7, 4, v4
	ds_bpermute_b32 v6, v5, v1
	v_cmp_gt_i32_e32 vcc_lo, 32, v7
	v_cndmask_b32_e32 v7, v4, v7, vcc_lo
	v_cmp_eq_u32_e32 vcc_lo, 0, v34
	v_lshlrev_b32_e32 v8, 2, v7
	s_waitcnt lgkmcnt(0)
	v_max_f32_e32 v6, v6, v6
	v_max_f32_e32 v1, v1, v6
	v_lshlrev_b32_e32 v6, 2, v32
	ds_bpermute_b32 v7, v8, v1
	s_and_saveexec_b32 s1, vcc_lo
	s_cbranch_execz .LBB6_23
; %bb.22:
	s_waitcnt lgkmcnt(0)
	v_max_f32_e32 v7, v7, v7
	v_max_f32_e32 v1, v1, v1
	;; [unrolled: 1-line block ×3, first 2 shown]
	ds_write_b32 v6, v1 offset:384
.LBB6_23:
	s_or_b32 exec_lo, exec_lo, s1
	v_cmp_gt_u32_e64 s1, 4, v34
	v_mov_b32_e32 v1, 0xff7fffff
	s_waitcnt lgkmcnt(0)
	v_lshlrev_b32_e32 v7, 2, v34
	s_barrier
	buffer_gl0_inv
	s_and_saveexec_b32 s2, s1
; %bb.24:
	ds_read_b32 v1, v7 offset:384
; %bb.25:
	s_or_b32 exec_lo, exec_lo, s2
	v_xor_b32_e32 v9, 2, v4
	v_xor_b32_e32 v11, 1, v4
	v_cmp_gt_i32_e64 s2, 32, v9
	v_cndmask_b32_e64 v9, v4, v9, s2
	v_cmp_gt_i32_e64 s2, 32, v11
	v_lshlrev_b32_e32 v9, 2, v9
	v_cndmask_b32_e64 v4, v4, v11, s2
	s_sub_i32 s2, s16, s41
	s_lshl_b32 s2, s2, 3
	s_waitcnt lgkmcnt(0)
	ds_bpermute_b32 v10, v9, v1
	v_max_f32_e32 v1, v1, v1
	v_lshlrev_b32_e32 v35, 2, v4
	s_add_i32 s2, s2, s38
	s_min_i32 s2, s2, s27
	s_sub_i32 s4, s2, s38
	v_cmp_gt_i32_e64 s2, s4, v0
	s_waitcnt lgkmcnt(0)
	v_max_f32_e32 v10, v10, v10
	v_max_f32_e32 v1, v1, v10
	v_mov_b32_e32 v10, 0
	ds_bpermute_b32 v4, v35, v1
	s_waitcnt lgkmcnt(0)
	v_max_f32_e32 v4, v4, v4
	v_max_f32_e32 v1, v1, v4
	v_lshl_add_u32 v4, v0, 2, 0x1a0
	ds_bpermute_b32 v1, v10, v1
	s_and_saveexec_b32 s5, s2
	s_cbranch_execz .LBB6_29
; %bb.26:
	v_lshl_add_u32 v11, v0, 2, 0x1a0
	v_mov_b32_e32 v10, 0
	v_mov_b32_e32 v12, v0
	s_mov_b32 s15, 0
	.p2align	6
.LBB6_27:                               ; =>This Inner Loop Header: Depth=1
	ds_read_b32 v13, v11
	v_add_nc_u32_e32 v12, 0x80, v12
	v_cmp_le_i32_e64 s3, s4, v12
	s_or_b32 s15, s3, s15
	s_waitcnt lgkmcnt(0)
	v_sub_f32_e32 v13, v13, v1
	v_mul_f32_e32 v13, 0x3fb8aa3b, v13
	v_exp_f32_e32 v13, v13
	ds_write_b32 v11, v13
	v_add_f32_e32 v10, v10, v13
	v_add_nc_u32_e32 v11, 0x200, v11
	s_andn2_b32 exec_lo, exec_lo, s15
	s_cbranch_execnz .LBB6_27
; %bb.28:
	s_or_b32 exec_lo, exec_lo, s15
.LBB6_29:
	s_or_b32 exec_lo, exec_lo, s5
	ds_bpermute_b32 v2, v2, v10
	s_waitcnt lgkmcnt(0)
	v_add_f32_e32 v2, v10, v2
	ds_bpermute_b32 v5, v5, v2
	s_waitcnt lgkmcnt(0)
	v_add_f32_e32 v2, v2, v5
	;; [unrolled: 3-line block ×5, first 2 shown]
	s_and_saveexec_b32 s3, vcc_lo
; %bb.30:
	ds_write_b32 v6, v2 offset:400
; %bb.31:
	s_or_b32 exec_lo, exec_lo, s3
	s_waitcnt lgkmcnt(0)
	s_barrier
	buffer_gl0_inv
	s_and_saveexec_b32 s3, s1
; %bb.32:
	ds_read_b32 v2, v7 offset:400
; %bb.33:
	s_or_b32 exec_lo, exec_lo, s3
	s_waitcnt lgkmcnt(0)
	ds_bpermute_b32 v5, v9, v2
	s_waitcnt lgkmcnt(0)
	v_add_f32_e32 v2, v2, v5
	ds_bpermute_b32 v5, v35, v2
	s_waitcnt lgkmcnt(0)
	v_add_f32_e32 v2, v2, v5
	v_mov_b32_e32 v5, 0
	ds_bpermute_b32 v2, v5, v2
	s_and_saveexec_b32 s1, s2
	s_cbranch_execz .LBB6_36
; %bb.34:
	s_waitcnt lgkmcnt(0)
	v_add_f32_e32 v5, 0x358637bd, v2
	s_mov_b32 s2, 0
	v_div_scale_f32 v6, null, v5, v5, 1.0
	v_div_scale_f32 v9, vcc_lo, 1.0, v5, 1.0
	v_rcp_f32_e32 v7, v6
	v_fma_f32 v8, -v6, v7, 1.0
	v_fmac_f32_e32 v7, v8, v7
	v_mul_f32_e32 v8, v9, v7
	v_fma_f32 v10, -v6, v8, v9
	v_fmac_f32_e32 v8, v10, v7
	v_fma_f32 v6, -v6, v8, v9
	v_div_fmas_f32 v6, v6, v7, v8
	v_div_fixup_f32 v5, v6, v5, 1.0
	v_mov_b32_e32 v6, v0
.LBB6_35:                               ; =>This Inner Loop Header: Depth=1
	ds_read_b32 v7, v4
	v_add_nc_u32_e32 v6, 0x80, v6
	v_cmp_le_i32_e32 vcc_lo, s4, v6
	s_or_b32 s2, vcc_lo, s2
	s_waitcnt lgkmcnt(0)
	v_mul_f32_e32 v7, v5, v7
	ds_write_b32 v4, v7
	v_add_nc_u32_e32 v4, 0x200, v4
	s_andn2_b32 exec_lo, exec_lo, s2
	s_cbranch_execnz .LBB6_35
.LBB6_36:
	s_or_b32 exec_lo, exec_lo, s1
	s_mul_i32 s1, s7, s26
	s_waitcnt lgkmcnt(0)
	s_mul_i32 s2, s1, s9
	s_mov_b32 s1, exec_lo
	s_barrier
	buffer_gl0_inv
	v_cmpx_eq_u32_e32 0, v0
	s_cbranch_execz .LBB6_38
; %bb.37:
	s_ashr_i32 s3, s2, 31
	s_mul_i32 s40, s7, s6
	s_lshl_b64 s[4:5], s[2:3], 2
	v_mov_b32_e32 v4, 0
	s_add_u32 s3, s22, s4
	s_addc_u32 s6, s23, s5
	s_ashr_i32 s41, s40, 31
	s_lshl_b64 s[22:23], s[40:41], 2
	s_add_u32 s3, s3, s22
	s_addc_u32 s6, s6, s23
	s_ashr_i32 s9, s8, 31
	s_lshl_b64 s[40:41], s[8:9], 2
	s_add_u32 s42, s3, s40
	s_addc_u32 s43, s6, s41
	s_add_u32 s3, s20, s4
	s_addc_u32 s4, s21, s5
	;; [unrolled: 2-line block ×4, first 2 shown]
	global_store_dword v4, v1, s[42:43]
	global_store_dword v4, v2, s[4:5]
.LBB6_38:
	s_or_b32 exec_lo, exec_lo, s1
	v_mov_b32_e32 v42, 0
	v_and_b32_e32 v36, 1, v0
	v_mov_b32_e32 v41, 0
	v_mov_b32_e32 v40, 0
	;; [unrolled: 1-line block ×5, first 2 shown]
	s_and_saveexec_b32 s1, s0
	s_cbranch_execz .LBB6_56
; %bb.39:
	s_ashr_i32 s15, s14, 31
	s_sub_i32 s3, s39, s17
	s_lshl_b64 s[4:5], s[14:15], 2
	v_and_b32_e32 v43, 4, v3
	s_add_u32 s0, s34, s4
	s_addc_u32 s5, s35, s5
	s_abs_i32 s4, s18
	v_lshlrev_b32_e32 v4, 4, v0
	v_cvt_f32_u32_e32 v1, s4
	s_sub_i32 s6, 0, s4
	v_lshlrev_b32_e32 v5, 4, v36
	s_lshl_b64 s[14:15], s[30:31], 2
	v_and_b32_e32 v4, 0x1f0, v4
	v_rcp_iflag_f32_e32 v1, v1
	s_add_i32 s36, s36, -1
	v_lshl_or_b32 v5, v32, 5, v5
	v_mov_b32_e32 v37, 0
	v_add_co_u32 v44, s0, s0, v4
	v_mov_b32_e32 v38, 0
	v_mov_b32_e32 v39, 0
	;; [unrolled: 1-line block ×4, first 2 shown]
	v_mul_f32_e32 v3, 0x4f7ffffe, v1
	v_lshlrev_b64 v[1:2], 2, v[29:30]
	v_add_co_ci_u32_e64 v45, null, s5, 0, s0
	v_add_nc_u32_e32 v46, 0x1a0, v5
	v_cvt_u32_f32_e32 v3, v3
	v_mov_b32_e32 v42, 0
	s_mov_b32 s5, 0
	v_mul_lo_u32 v6, s6, v3
	s_add_u32 s6, s28, s14
	s_addc_u32 s9, s29, s15
	v_add_co_u32 v30, vcc_lo, s6, v1
	v_add_co_ci_u32_e64 v31, null, s9, v2, vcc_lo
	s_mov_b32 s6, s13
	v_mul_hi_u32 v6, v3, v6
	v_add_nc_u32_e32 v47, v3, v6
	s_branch .LBB6_42
.LBB6_40:                               ;   in Loop: Header=BB6_42 Depth=1
	s_or_b32 exec_lo, exec_lo, s0
	s_waitcnt vmcnt(1) lgkmcnt(0)
	v_mul_f32_e32 v21, v1, v21
	v_mul_f32_e32 v17, v1, v17
	;; [unrolled: 1-line block ×5, first 2 shown]
	s_waitcnt vmcnt(0)
	v_mul_f32_e32 v1, v1, v25
	v_fmac_f32_e32 v21, v2, v22
	v_fmac_f32_e32 v17, v2, v18
	;; [unrolled: 1-line block ×18, first 2 shown]
	v_add_f32_e32 v38, v38, v21
	v_add_f32_e32 v39, v39, v17
	;; [unrolled: 1-line block ×6, first 2 shown]
.LBB6_41:                               ;   in Loop: Header=BB6_42 Depth=1
	s_or_b32 exec_lo, exec_lo, s9
	v_add_nc_u32_e32 v29, 4, v29
	v_add_co_u32 v30, s0, v30, 16
	v_add_co_ci_u32_e64 v31, null, 0, v31, s0
	v_cmp_le_i32_e32 vcc_lo, s16, v29
	v_add_nc_u32_e32 v33, 32, v33
	v_add_nc_u32_e32 v46, 0x80, v46
	s_or_b32 s5, vcc_lo, s5
	s_andn2_b32 exec_lo, exec_lo, s5
	s_cbranch_execz .LBB6_55
.LBB6_42:                               ; =>This Inner Loop Header: Depth=1
	v_sub_nc_u32_e32 v1, 0, v33
	v_max_i32_e32 v1, v33, v1
	v_mul_hi_u32 v2, v1, s12
	v_mul_lo_u32 v3, v2, s11
	v_sub_nc_u32_e32 v1, v1, v3
	v_add_nc_u32_e32 v3, 1, v2
	v_subrev_nc_u32_e32 v4, s11, v1
	v_cmp_le_u32_e32 vcc_lo, s11, v1
	v_cndmask_b32_e32 v2, v2, v3, vcc_lo
	v_cndmask_b32_e32 v1, v1, v4, vcc_lo
	v_ashrrev_i32_e32 v3, 31, v33
	v_add_nc_u32_e32 v4, 1, v2
	v_cmp_le_u32_e32 vcc_lo, s11, v1
	v_xor_b32_e32 v3, s19, v3
	v_cndmask_b32_e32 v1, v2, v4, vcc_lo
	v_xor_b32_e32 v1, v1, v3
	v_sub_nc_u32_e32 v1, v1, v3
	v_add_nc_u32_e32 v2, s33, v1
	v_cmp_lt_i32_e64 s0, s3, v1
	v_sub_nc_u32_e32 v3, 0, v2
	v_max_i32_e32 v3, v2, v3
	v_ashrrev_i32_e32 v2, 31, v2
	v_mul_hi_u32 v4, v3, v47
	v_mul_lo_u32 v4, v4, s4
	v_sub_nc_u32_e32 v3, v3, v4
	v_subrev_nc_u32_e32 v4, s4, v3
	v_cmp_le_u32_e32 vcc_lo, s4, v3
	v_cndmask_b32_e32 v3, v3, v4, vcc_lo
	v_subrev_nc_u32_e32 v4, s4, v3
	v_cmp_le_u32_e32 vcc_lo, s4, v3
	v_cndmask_b32_e32 v3, v3, v4, vcc_lo
	v_xor_b32_e32 v3, v3, v2
	v_sub_nc_u32_e32 v2, v3, v2
	v_cmp_eq_u32_e32 vcc_lo, 0, v2
	s_or_b32 s0, vcc_lo, s0
	s_and_saveexec_b32 s9, s0
	s_cbranch_execz .LBB6_41
; %bb.43:                               ;   in Loop: Header=BB6_42 Depth=1
	global_load_dword v1, v[30:31], off
	v_add_nc_u32_e32 v48, v43, v33
	v_add_nc_u32_e32 v51, 1, v48
	v_add_nc_u32_e32 v50, 2, v48
	v_add_nc_u32_e32 v49, 3, v48
	s_waitcnt vmcnt(0)
	v_mad_i64_i32 v[1:2], null, v1, s6, 0
	v_lshlrev_b64 v[1:2], 2, v[1:2]
	v_add_co_u32 v21, vcc_lo, v44, v1
	v_add_co_ci_u32_e64 v22, null, v45, v2, vcc_lo
	ds_read_b128 v[1:4], v46
	v_cmp_eq_u32_e32 vcc_lo, s36, v29
	global_load_dwordx4 v[5:8], v[21:22], off
	s_and_saveexec_b32 s13, vcc_lo
	s_cbranch_execnz .LBB6_52
; %bb.44:                               ;   in Loop: Header=BB6_42 Depth=1
	s_or_b32 exec_lo, exec_lo, s13
	global_load_dwordx4 v[9:12], v[21:22], off offset:512
	s_and_saveexec_b32 s13, vcc_lo
	s_cbranch_execnz .LBB6_53
.LBB6_45:                               ;   in Loop: Header=BB6_42 Depth=1
	s_or_b32 exec_lo, exec_lo, s13
	global_load_dwordx4 v[13:16], v[21:22], off offset:1024
	s_and_saveexec_b32 s13, vcc_lo
	s_cbranch_execnz .LBB6_54
.LBB6_46:                               ;   in Loop: Header=BB6_42 Depth=1
	s_or_b32 exec_lo, exec_lo, s13
	global_load_dwordx4 v[17:20], v[21:22], off offset:1536
	s_and_saveexec_b32 s13, vcc_lo
	s_cbranch_execz .LBB6_48
.LBB6_47:                               ;   in Loop: Header=BB6_42 Depth=1
	v_cmp_gt_i32_e64 s0, s27, v48
	s_waitcnt vmcnt(0)
	v_cndmask_b32_e64 v17, 0, v17, s0
	v_cmp_gt_i32_e64 s0, s27, v51
	v_cndmask_b32_e64 v18, 0, v18, s0
	v_cmp_gt_i32_e64 s0, s27, v50
	v_cndmask_b32_e64 v19, 0, v19, s0
	v_cmp_gt_i32_e64 s0, s27, v49
	v_cndmask_b32_e64 v20, 0, v20, s0
.LBB6_48:                               ;   in Loop: Header=BB6_42 Depth=1
	s_or_b32 exec_lo, exec_lo, s13
	v_add_co_u32 v25, s0, 0x800, v21
	v_add_co_ci_u32_e64 v26, null, 0, v22, s0
	global_load_dwordx4 v[21:24], v[25:26], off
	s_and_saveexec_b32 s13, vcc_lo
	s_cbranch_execz .LBB6_50
; %bb.49:                               ;   in Loop: Header=BB6_42 Depth=1
	v_cmp_gt_i32_e64 s0, s27, v48
	s_waitcnt vmcnt(0)
	v_cndmask_b32_e64 v21, 0, v21, s0
	v_cmp_gt_i32_e64 s0, s27, v51
	v_cndmask_b32_e64 v22, 0, v22, s0
	v_cmp_gt_i32_e64 s0, s27, v50
	;; [unrolled: 2-line block ×3, first 2 shown]
	v_cndmask_b32_e64 v24, 0, v24, s0
.LBB6_50:                               ;   in Loop: Header=BB6_42 Depth=1
	s_or_b32 exec_lo, exec_lo, s13
	global_load_dwordx4 v[25:28], v[25:26], off offset:512
	s_and_saveexec_b32 s0, vcc_lo
	s_cbranch_execz .LBB6_40
; %bb.51:                               ;   in Loop: Header=BB6_42 Depth=1
	v_cmp_gt_i32_e32 vcc_lo, s27, v48
	s_waitcnt vmcnt(0)
	v_cndmask_b32_e32 v25, 0, v25, vcc_lo
	v_cmp_gt_i32_e32 vcc_lo, s27, v51
	v_cndmask_b32_e32 v26, 0, v26, vcc_lo
	v_cmp_gt_i32_e32 vcc_lo, s27, v50
	;; [unrolled: 2-line block ×3, first 2 shown]
	v_cndmask_b32_e32 v28, 0, v28, vcc_lo
	s_branch .LBB6_40
.LBB6_52:                               ;   in Loop: Header=BB6_42 Depth=1
	v_cmp_gt_i32_e64 s0, s27, v48
	s_waitcnt vmcnt(0)
	v_cndmask_b32_e64 v5, 0, v5, s0
	v_cmp_gt_i32_e64 s0, s27, v51
	v_cndmask_b32_e64 v6, 0, v6, s0
	v_cmp_gt_i32_e64 s0, s27, v50
	;; [unrolled: 2-line block ×3, first 2 shown]
	v_cndmask_b32_e64 v8, 0, v8, s0
	s_or_b32 exec_lo, exec_lo, s13
	global_load_dwordx4 v[9:12], v[21:22], off offset:512
	s_and_saveexec_b32 s13, vcc_lo
	s_cbranch_execz .LBB6_45
.LBB6_53:                               ;   in Loop: Header=BB6_42 Depth=1
	v_cmp_gt_i32_e64 s0, s27, v48
	s_waitcnt vmcnt(0)
	v_cndmask_b32_e64 v9, 0, v9, s0
	v_cmp_gt_i32_e64 s0, s27, v51
	v_cndmask_b32_e64 v10, 0, v10, s0
	v_cmp_gt_i32_e64 s0, s27, v50
	v_cndmask_b32_e64 v11, 0, v11, s0
	v_cmp_gt_i32_e64 s0, s27, v49
	v_cndmask_b32_e64 v12, 0, v12, s0
	s_or_b32 exec_lo, exec_lo, s13
	global_load_dwordx4 v[13:16], v[21:22], off offset:1024
	s_and_saveexec_b32 s13, vcc_lo
	s_cbranch_execz .LBB6_46
.LBB6_54:                               ;   in Loop: Header=BB6_42 Depth=1
	v_cmp_gt_i32_e64 s0, s27, v48
	s_waitcnt vmcnt(0)
	v_cndmask_b32_e64 v13, 0, v13, s0
	v_cmp_gt_i32_e64 s0, s27, v51
	v_cndmask_b32_e64 v14, 0, v14, s0
	v_cmp_gt_i32_e64 s0, s27, v50
	;; [unrolled: 2-line block ×3, first 2 shown]
	v_cndmask_b32_e64 v16, 0, v16, s0
	s_or_b32 exec_lo, exec_lo, s13
	global_load_dwordx4 v[17:20], v[21:22], off offset:1536
	s_and_saveexec_b32 s13, vcc_lo
	s_cbranch_execnz .LBB6_47
	s_branch .LBB6_48
.LBB6_55:
	s_or_b32 exec_lo, exec_lo, s5
.LBB6_56:
	s_or_b32 exec_lo, exec_lo, s1
	ds_bpermute_b32 v1, v35, v42
	ds_bpermute_b32 v2, v35, v41
	;; [unrolled: 1-line block ×6, first 2 shown]
	v_lshrrev_b32_e32 v7, 1, v34
	v_mul_u32_u24_e32 v9, 0x180, v32
	v_and_b32_e32 v10, 0x3c1, v0
	s_mov_b32 s0, exec_lo
	s_waitcnt lgkmcnt(0)
	s_waitcnt_vscnt null, 0x0
	v_lshl_add_u32 v8, v7, 2, 0x1a0
	s_barrier
	buffer_gl0_inv
	v_add_f32_e32 v1, v42, v1
	v_add_f32_e32 v2, v41, v2
	;; [unrolled: 1-line block ×6, first 2 shown]
	v_cmpx_eq_u32_e32 64, v10
	s_cbranch_execz .LBB6_58
; %bb.57:
	v_add_nc_u32_e32 v10, v8, v9
	v_add_nc_u32_e32 v11, 0xfffffd00, v10
	;; [unrolled: 1-line block ×7, first 2 shown]
	ds_write_b32 v11, v1
	ds_write_b32 v12, v2
	;; [unrolled: 1-line block ×6, first 2 shown]
.LBB6_58:
	s_or_b32 exec_lo, exec_lo, s0
	v_lshlrev_b32_e32 v7, 2, v7
	s_mov_b32 s1, exec_lo
	v_cmp_eq_u32_e32 vcc_lo, 0, v36
	s_waitcnt lgkmcnt(0)
	s_barrier
	v_add3_u32 v7, 0x1a0, v9, v7
	buffer_gl0_inv
	v_cmpx_gt_u32_e32 64, v0
	s_cbranch_execz .LBB6_67
; %bb.59:
	s_and_saveexec_b32 s0, vcc_lo
	s_cbranch_execnz .LBB6_81
; %bb.60:
	s_or_b32 exec_lo, exec_lo, s0
	s_and_saveexec_b32 s0, vcc_lo
	s_cbranch_execnz .LBB6_82
.LBB6_61:
	s_or_b32 exec_lo, exec_lo, s0
	s_and_saveexec_b32 s0, vcc_lo
	s_cbranch_execnz .LBB6_83
.LBB6_62:
	s_or_b32 exec_lo, exec_lo, s0
	s_and_saveexec_b32 s0, vcc_lo
	s_cbranch_execnz .LBB6_84
.LBB6_63:
	s_or_b32 exec_lo, exec_lo, s0
	s_and_saveexec_b32 s0, vcc_lo
	s_cbranch_execnz .LBB6_85
.LBB6_64:
	s_or_b32 exec_lo, exec_lo, s0
	s_and_saveexec_b32 s0, vcc_lo
	s_cbranch_execz .LBB6_66
.LBB6_65:
	ds_read_b32 v9, v7 offset:320
	s_waitcnt lgkmcnt(0)
	v_add_f32_e32 v6, v6, v9
.LBB6_66:
	s_or_b32 exec_lo, exec_lo, s0
.LBB6_67:
	s_or_b32 exec_lo, exec_lo, s1
	v_and_b32_e32 v9, 0x3e1, v0
	s_mov_b32 s1, exec_lo
	s_barrier
	buffer_gl0_inv
	v_cmpx_eq_u32_e32 32, v9
	s_cbranch_execz .LBB6_69
; %bb.68:
	ds_write2_b32 v8, v1, v2 offset1:16
	ds_write2_b32 v8, v3, v4 offset0:32 offset1:48
	ds_write2_b32 v8, v5, v6 offset0:64 offset1:80
.LBB6_69:
	s_or_b32 exec_lo, exec_lo, s1
	s_mov_b32 s1, exec_lo
	s_waitcnt lgkmcnt(0)
	s_barrier
	buffer_gl0_inv
	v_cmpx_gt_u32_e32 32, v0
	s_cbranch_execz .LBB6_78
; %bb.70:
	s_and_saveexec_b32 s0, vcc_lo
	s_cbranch_execnz .LBB6_86
; %bb.71:
	s_or_b32 exec_lo, exec_lo, s0
	s_and_saveexec_b32 s0, vcc_lo
	s_cbranch_execnz .LBB6_87
.LBB6_72:
	s_or_b32 exec_lo, exec_lo, s0
	s_and_saveexec_b32 s0, vcc_lo
	s_cbranch_execnz .LBB6_88
.LBB6_73:
	s_or_b32 exec_lo, exec_lo, s0
	s_and_saveexec_b32 s0, vcc_lo
	s_cbranch_execnz .LBB6_89
.LBB6_74:
	s_or_b32 exec_lo, exec_lo, s0
	s_and_saveexec_b32 s0, vcc_lo
	s_cbranch_execnz .LBB6_90
.LBB6_75:
	s_or_b32 exec_lo, exec_lo, s0
	s_and_saveexec_b32 s0, vcc_lo
	s_cbranch_execz .LBB6_77
.LBB6_76:
	ds_read_b32 v7, v7 offset:320
	s_waitcnt lgkmcnt(0)
	v_add_f32_e32 v6, v6, v7
.LBB6_77:
	s_or_b32 exec_lo, exec_lo, s0
.LBB6_78:
	s_or_b32 exec_lo, exec_lo, s1
	s_barrier
	buffer_gl0_inv
	s_mov_b32 s0, exec_lo
	v_cmpx_eq_u32_e32 0, v9
	s_cbranch_execz .LBB6_80
; %bb.79:
	s_mul_i32 s0, s2, 0x60
	s_mul_i32 s2, s7, s10
	s_ashr_i32 s1, s0, 31
	v_lshlrev_b32_e32 v0, 1, v0
	s_lshl_b64 s[0:1], s[0:1], 2
	s_add_u32 s4, s24, s0
	s_addc_u32 s5, s25, s1
	s_ashr_i32 s3, s2, 31
	s_lshl_b64 s[0:1], s[2:3], 2
	s_mul_i32 s2, s8, 0x60
	s_add_u32 s4, s4, s0
	s_addc_u32 s5, s5, s1
	s_ashr_i32 s3, s2, 31
	s_lshl_b64 s[0:1], s[2:3], 2
	s_add_u32 s0, s4, s0
	s_addc_u32 s1, s5, s1
	global_store_dword v0, v1, s[0:1]
	global_store_dword v0, v2, s[0:1] offset:64
	global_store_dword v0, v3, s[0:1] offset:128
	global_store_dword v0, v4, s[0:1] offset:192
	global_store_dword v0, v5, s[0:1] offset:256
	global_store_dword v0, v6, s[0:1] offset:320
.LBB6_80:
	s_endpgm
.LBB6_81:
	ds_read_b32 v9, v7
	s_waitcnt lgkmcnt(0)
	v_add_f32_e32 v1, v1, v9
	s_or_b32 exec_lo, exec_lo, s0
	s_and_saveexec_b32 s0, vcc_lo
	s_cbranch_execz .LBB6_61
.LBB6_82:
	ds_read_b32 v9, v7 offset:64
	s_waitcnt lgkmcnt(0)
	v_add_f32_e32 v2, v2, v9
	s_or_b32 exec_lo, exec_lo, s0
	s_and_saveexec_b32 s0, vcc_lo
	s_cbranch_execz .LBB6_62
.LBB6_83:
	ds_read_b32 v9, v7 offset:128
	s_waitcnt lgkmcnt(0)
	v_add_f32_e32 v3, v3, v9
	s_or_b32 exec_lo, exec_lo, s0
	s_and_saveexec_b32 s0, vcc_lo
	s_cbranch_execz .LBB6_63
.LBB6_84:
	ds_read_b32 v9, v7 offset:192
	s_waitcnt lgkmcnt(0)
	v_add_f32_e32 v4, v4, v9
	s_or_b32 exec_lo, exec_lo, s0
	s_and_saveexec_b32 s0, vcc_lo
	s_cbranch_execz .LBB6_64
.LBB6_85:
	ds_read_b32 v9, v7 offset:256
	s_waitcnt lgkmcnt(0)
	v_add_f32_e32 v5, v5, v9
	s_or_b32 exec_lo, exec_lo, s0
	s_and_saveexec_b32 s0, vcc_lo
	s_cbranch_execnz .LBB6_65
	s_branch .LBB6_66
.LBB6_86:
	ds_read_b32 v8, v7
	s_waitcnt lgkmcnt(0)
	v_add_f32_e32 v1, v1, v8
	s_or_b32 exec_lo, exec_lo, s0
	s_and_saveexec_b32 s0, vcc_lo
	s_cbranch_execz .LBB6_72
.LBB6_87:
	ds_read_b32 v8, v7 offset:64
	s_waitcnt lgkmcnt(0)
	v_add_f32_e32 v2, v2, v8
	s_or_b32 exec_lo, exec_lo, s0
	s_and_saveexec_b32 s0, vcc_lo
	s_cbranch_execz .LBB6_73
.LBB6_88:
	ds_read_b32 v8, v7 offset:128
	s_waitcnt lgkmcnt(0)
	v_add_f32_e32 v3, v3, v8
	s_or_b32 exec_lo, exec_lo, s0
	s_and_saveexec_b32 s0, vcc_lo
	s_cbranch_execz .LBB6_74
.LBB6_89:
	ds_read_b32 v8, v7 offset:192
	s_waitcnt lgkmcnt(0)
	v_add_f32_e32 v4, v4, v8
	s_or_b32 exec_lo, exec_lo, s0
	s_and_saveexec_b32 s0, vcc_lo
	s_cbranch_execz .LBB6_75
.LBB6_90:
	ds_read_b32 v8, v7 offset:256
	s_waitcnt lgkmcnt(0)
	v_add_f32_e32 v5, v5, v8
	s_or_b32 exec_lo, exec_lo, s0
	s_and_saveexec_b32 s0, vcc_lo
	s_cbranch_execnz .LBB6_76
	s_branch .LBB6_77
	.section	.rodata,"a",@progbits
	.p2align	6, 0x0
	.amdhsa_kernel _ZN4vllm25paged_attention_v2_kernelIffLi96ELi8ELi128ELNS_18Fp8KVCacheDataTypeE0ELb1ELi512EEEvPfS2_PT_PKS3_PKT0_S9_ifPKiSB_iPKfiiiSD_SD_iiiii
		.amdhsa_group_segment_fixed_size 416
		.amdhsa_private_segment_fixed_size 0
		.amdhsa_kernarg_size 400
		.amdhsa_user_sgpr_count 6
		.amdhsa_user_sgpr_private_segment_buffer 1
		.amdhsa_user_sgpr_dispatch_ptr 0
		.amdhsa_user_sgpr_queue_ptr 0
		.amdhsa_user_sgpr_kernarg_segment_ptr 1
		.amdhsa_user_sgpr_dispatch_id 0
		.amdhsa_user_sgpr_flat_scratch_init 0
		.amdhsa_user_sgpr_private_segment_size 0
		.amdhsa_wavefront_size32 1
		.amdhsa_uses_dynamic_stack 0
		.amdhsa_system_sgpr_private_segment_wavefront_offset 0
		.amdhsa_system_sgpr_workgroup_id_x 1
		.amdhsa_system_sgpr_workgroup_id_y 1
		.amdhsa_system_sgpr_workgroup_id_z 1
		.amdhsa_system_sgpr_workgroup_info 0
		.amdhsa_system_vgpr_workitem_id 0
		.amdhsa_next_free_vgpr 54
		.amdhsa_next_free_sgpr 46
		.amdhsa_reserve_vcc 1
		.amdhsa_reserve_flat_scratch 0
		.amdhsa_float_round_mode_32 0
		.amdhsa_float_round_mode_16_64 0
		.amdhsa_float_denorm_mode_32 3
		.amdhsa_float_denorm_mode_16_64 3
		.amdhsa_dx10_clamp 1
		.amdhsa_ieee_mode 1
		.amdhsa_fp16_overflow 0
		.amdhsa_workgroup_processor_mode 1
		.amdhsa_memory_ordered 1
		.amdhsa_forward_progress 1
		.amdhsa_shared_vgpr_count 0
		.amdhsa_exception_fp_ieee_invalid_op 0
		.amdhsa_exception_fp_denorm_src 0
		.amdhsa_exception_fp_ieee_div_zero 0
		.amdhsa_exception_fp_ieee_overflow 0
		.amdhsa_exception_fp_ieee_underflow 0
		.amdhsa_exception_fp_ieee_inexact 0
		.amdhsa_exception_int_div_zero 0
	.end_amdhsa_kernel
	.section	.text._ZN4vllm25paged_attention_v2_kernelIffLi96ELi8ELi128ELNS_18Fp8KVCacheDataTypeE0ELb1ELi512EEEvPfS2_PT_PKS3_PKT0_S9_ifPKiSB_iPKfiiiSD_SD_iiiii,"axG",@progbits,_ZN4vllm25paged_attention_v2_kernelIffLi96ELi8ELi128ELNS_18Fp8KVCacheDataTypeE0ELb1ELi512EEEvPfS2_PT_PKS3_PKT0_S9_ifPKiSB_iPKfiiiSD_SD_iiiii,comdat
.Lfunc_end6:
	.size	_ZN4vllm25paged_attention_v2_kernelIffLi96ELi8ELi128ELNS_18Fp8KVCacheDataTypeE0ELb1ELi512EEEvPfS2_PT_PKS3_PKT0_S9_ifPKiSB_iPKfiiiSD_SD_iiiii, .Lfunc_end6-_ZN4vllm25paged_attention_v2_kernelIffLi96ELi8ELi128ELNS_18Fp8KVCacheDataTypeE0ELb1ELi512EEEvPfS2_PT_PKS3_PKT0_S9_ifPKiSB_iPKfiiiSD_SD_iiiii
                                        ; -- End function
	.set _ZN4vllm25paged_attention_v2_kernelIffLi96ELi8ELi128ELNS_18Fp8KVCacheDataTypeE0ELb1ELi512EEEvPfS2_PT_PKS3_PKT0_S9_ifPKiSB_iPKfiiiSD_SD_iiiii.num_vgpr, 54
	.set _ZN4vllm25paged_attention_v2_kernelIffLi96ELi8ELi128ELNS_18Fp8KVCacheDataTypeE0ELb1ELi512EEEvPfS2_PT_PKS3_PKT0_S9_ifPKiSB_iPKfiiiSD_SD_iiiii.num_agpr, 0
	.set _ZN4vllm25paged_attention_v2_kernelIffLi96ELi8ELi128ELNS_18Fp8KVCacheDataTypeE0ELb1ELi512EEEvPfS2_PT_PKS3_PKT0_S9_ifPKiSB_iPKfiiiSD_SD_iiiii.numbered_sgpr, 46
	.set _ZN4vllm25paged_attention_v2_kernelIffLi96ELi8ELi128ELNS_18Fp8KVCacheDataTypeE0ELb1ELi512EEEvPfS2_PT_PKS3_PKT0_S9_ifPKiSB_iPKfiiiSD_SD_iiiii.num_named_barrier, 0
	.set _ZN4vllm25paged_attention_v2_kernelIffLi96ELi8ELi128ELNS_18Fp8KVCacheDataTypeE0ELb1ELi512EEEvPfS2_PT_PKS3_PKT0_S9_ifPKiSB_iPKfiiiSD_SD_iiiii.private_seg_size, 0
	.set _ZN4vllm25paged_attention_v2_kernelIffLi96ELi8ELi128ELNS_18Fp8KVCacheDataTypeE0ELb1ELi512EEEvPfS2_PT_PKS3_PKT0_S9_ifPKiSB_iPKfiiiSD_SD_iiiii.uses_vcc, 1
	.set _ZN4vllm25paged_attention_v2_kernelIffLi96ELi8ELi128ELNS_18Fp8KVCacheDataTypeE0ELb1ELi512EEEvPfS2_PT_PKS3_PKT0_S9_ifPKiSB_iPKfiiiSD_SD_iiiii.uses_flat_scratch, 0
	.set _ZN4vllm25paged_attention_v2_kernelIffLi96ELi8ELi128ELNS_18Fp8KVCacheDataTypeE0ELb1ELi512EEEvPfS2_PT_PKS3_PKT0_S9_ifPKiSB_iPKfiiiSD_SD_iiiii.has_dyn_sized_stack, 0
	.set _ZN4vllm25paged_attention_v2_kernelIffLi96ELi8ELi128ELNS_18Fp8KVCacheDataTypeE0ELb1ELi512EEEvPfS2_PT_PKS3_PKT0_S9_ifPKiSB_iPKfiiiSD_SD_iiiii.has_recursion, 0
	.set _ZN4vllm25paged_attention_v2_kernelIffLi96ELi8ELi128ELNS_18Fp8KVCacheDataTypeE0ELb1ELi512EEEvPfS2_PT_PKS3_PKT0_S9_ifPKiSB_iPKfiiiSD_SD_iiiii.has_indirect_call, 0
	.section	.AMDGPU.csdata,"",@progbits
; Kernel info:
; codeLenInByte = 5292
; TotalNumSgprs: 48
; NumVgprs: 54
; ScratchSize: 0
; MemoryBound: 0
; FloatMode: 240
; IeeeMode: 1
; LDSByteSize: 416 bytes/workgroup (compile time only)
; SGPRBlocks: 0
; VGPRBlocks: 6
; NumSGPRsForWavesPerEU: 48
; NumVGPRsForWavesPerEU: 54
; Occupancy: 16
; WaveLimiterHint : 1
; COMPUTE_PGM_RSRC2:SCRATCH_EN: 0
; COMPUTE_PGM_RSRC2:USER_SGPR: 6
; COMPUTE_PGM_RSRC2:TRAP_HANDLER: 0
; COMPUTE_PGM_RSRC2:TGID_X_EN: 1
; COMPUTE_PGM_RSRC2:TGID_Y_EN: 1
; COMPUTE_PGM_RSRC2:TGID_Z_EN: 1
; COMPUTE_PGM_RSRC2:TIDIG_COMP_CNT: 0
	.section	.text._ZN4vllm32paged_attention_v2_reduce_kernelIfLi96ELi128ELi512EEEvPT_PKfS4_PKS1_PKii,"axG",@progbits,_ZN4vllm32paged_attention_v2_reduce_kernelIfLi96ELi128ELi512EEEvPT_PKfS4_PKS1_PKii,comdat
	.protected	_ZN4vllm32paged_attention_v2_reduce_kernelIfLi96ELi128ELi512EEEvPT_PKfS4_PKS1_PKii ; -- Begin function _ZN4vllm32paged_attention_v2_reduce_kernelIfLi96ELi128ELi512EEEvPT_PKfS4_PKS1_PKii
	.globl	_ZN4vllm32paged_attention_v2_reduce_kernelIfLi96ELi128ELi512EEEvPT_PKfS4_PKS1_PKii
	.p2align	8
	.type	_ZN4vllm32paged_attention_v2_reduce_kernelIfLi96ELi128ELi512EEEvPT_PKfS4_PKS1_PKii,@function
_ZN4vllm32paged_attention_v2_reduce_kernelIfLi96ELi128ELi512EEEvPT_PKfS4_PKS1_PKii: ; @_ZN4vllm32paged_attention_v2_reduce_kernelIfLi96ELi128ELi512EEEvPT_PKfS4_PKS1_PKii
; %bb.0:
	s_load_dwordx4 s[8:11], s[4:5], 0x18
	s_add_u32 s12, s4, 48
	s_mov_b32 s14, s7
	s_addc_u32 s13, s5, 0
	s_ashr_i32 s15, s7, 31
	s_lshl_b64 s[0:1], s[14:15], 2
	s_waitcnt lgkmcnt(0)
	s_add_u32 s0, s10, s0
	s_addc_u32 s1, s11, s1
	s_load_dword s22, s[0:1], 0x0
	s_clause 0x2
	s_load_dwordx2 s[10:11], s[4:5], 0x0
	s_load_dword s7, s[4:5], 0x28
	s_load_dword s15, s[4:5], 0x30
	s_waitcnt lgkmcnt(0)
	s_add_i32 s0, s22, -1
	s_cmpk_gt_u32 s0, 0x1ff
	s_mov_b32 s0, -1
	s_cbranch_scc0 .LBB7_25
; %bb.1:
	s_load_dwordx2 s[2:3], s[4:5], 0x8
	s_add_i32 s0, s22, 0x1ff
	s_mul_i32 s20, s15, s14
	s_ashr_i32 s1, s0, 31
	v_mov_b32_e32 v3, 0xff7fffff
	s_lshr_b32 s1, s1, 23
	s_mul_i32 s16, s20, s7
	s_add_i32 s0, s0, s1
	s_mul_i32 s18, s7, s6
	s_ashr_i32 s21, s0, 9
	s_ashr_i32 s17, s16, 31
	v_cmp_gt_i32_e32 vcc_lo, s21, v0
	s_ashr_i32 s19, s18, 31
	s_and_saveexec_b32 s1, vcc_lo
	s_cbranch_execz .LBB7_5
; %bb.2:
	s_load_dword s0, s[12:13], 0xc
	s_load_dwordx2 s[24:25], s[4:5], 0x10
	s_lshl_b64 s[26:27], s[16:17], 2
	s_lshl_b64 s[28:29], s[18:19], 2
	v_lshlrev_b32_e32 v1, 2, v0
	v_mov_b32_e32 v3, 0xff7fffff
	v_mov_b32_e32 v5, v0
	v_add_nc_u32_e32 v4, 32, v1
	s_waitcnt lgkmcnt(0)
	s_and_b32 s4, s0, 0xffff
	s_add_u32 s0, s26, s28
	s_addc_u32 s5, s27, s29
	s_add_u32 s0, s24, s0
	s_addc_u32 s5, s25, s5
	v_add_co_u32 v1, s0, s0, v1
	v_add_co_ci_u32_e64 v2, null, s5, 0, s0
	s_mov_b32 s5, 0
	s_lshl_b32 s23, s4, 2
	.p2align	6
.LBB7_3:                                ; =>This Inner Loop Header: Depth=1
	global_load_dword v6, v[1:2], off
	v_add_nc_u32_e32 v5, s4, v5
	v_max_f32_e32 v3, v3, v3
	v_add_co_u32 v1, s0, v1, s23
	v_add_co_ci_u32_e64 v2, null, 0, v2, s0
	v_cmp_le_i32_e64 s0, s21, v5
	s_or_b32 s5, s0, s5
	s_waitcnt vmcnt(0)
	v_max_f32_e32 v7, v6, v6
	ds_write_b32 v4, v6
	v_add_nc_u32_e32 v4, s23, v4
	v_max_f32_e32 v3, v3, v7
	s_andn2_b32 exec_lo, exec_lo, s5
	s_cbranch_execnz .LBB7_3
; %bb.4:
	s_or_b32 exec_lo, exec_lo, s5
.LBB7_5:
	s_or_b32 exec_lo, exec_lo, s1
	v_mbcnt_lo_u32_b32 v1, -1, 0
	s_waitcnt lgkmcnt(0)
	s_barrier
	buffer_gl0_inv
	v_xor_b32_e32 v2, 16, v1
	v_xor_b32_e32 v4, 8, v1
	v_cmp_gt_i32_e64 s0, 32, v2
	v_cndmask_b32_e64 v2, v1, v2, s0
	v_cmp_gt_i32_e64 s0, 32, v4
	v_lshlrev_b32_e32 v5, 2, v2
	v_cndmask_b32_e64 v4, v1, v4, s0
	ds_bpermute_b32 v2, v5, v3
	v_max_f32_e32 v3, v3, v3
	v_lshlrev_b32_e32 v6, 2, v4
	v_xor_b32_e32 v4, 4, v1
	v_cmp_gt_i32_e64 s0, 32, v4
	v_cndmask_b32_e64 v4, v1, v4, s0
	v_lshlrev_b32_e32 v7, 2, v4
	v_xor_b32_e32 v4, 2, v1
	s_waitcnt lgkmcnt(0)
	v_max_f32_e32 v2, v2, v2
	v_cmp_gt_i32_e64 s0, 32, v4
	v_max_f32_e32 v2, v3, v2
	v_cndmask_b32_e64 v4, v1, v4, s0
	ds_bpermute_b32 v3, v6, v2
	s_waitcnt lgkmcnt(0)
	v_max_f32_e32 v3, v3, v3
	v_max_f32_e32 v2, v2, v3
	ds_bpermute_b32 v3, v7, v2
	s_waitcnt lgkmcnt(0)
	v_max_f32_e32 v8, v3, v3
	v_lshlrev_b32_e32 v3, 2, v4
	v_max_f32_e32 v2, v2, v8
	v_xor_b32_e32 v8, 1, v1
	ds_bpermute_b32 v4, v3, v2
	v_cmp_gt_i32_e64 s0, 32, v8
	v_cndmask_b32_e64 v1, v1, v8, s0
	v_lshrrev_b32_e32 v8, 5, v0
	v_lshlrev_b32_e32 v8, 2, v8
	s_waitcnt lgkmcnt(0)
	v_max_f32_e32 v4, v4, v4
	v_max_f32_e32 v2, v2, v4
	v_lshlrev_b32_e32 v4, 2, v1
	v_and_b32_e32 v1, 31, v0
	ds_bpermute_b32 v9, v4, v2
	v_cmp_eq_u32_e64 s0, 0, v1
	s_and_saveexec_b32 s1, s0
	s_cbranch_execz .LBB7_7
; %bb.6:
	s_waitcnt lgkmcnt(0)
	v_max_f32_e32 v9, v9, v9
	v_max_f32_e32 v2, v2, v2
	;; [unrolled: 1-line block ×3, first 2 shown]
	ds_write_b32 v8, v2
.LBB7_7:
	s_or_b32 exec_lo, exec_lo, s1
	v_cmp_gt_u32_e64 s1, 4, v1
	v_mov_b32_e32 v2, 0xff7fffff
	s_waitcnt lgkmcnt(0)
	v_lshlrev_b32_e32 v9, 2, v1
	s_barrier
	buffer_gl0_inv
	s_and_saveexec_b32 s4, s1
; %bb.8:
	ds_read_b32 v2, v9
; %bb.9:
	s_or_b32 exec_lo, exec_lo, s4
	s_waitcnt lgkmcnt(0)
	ds_bpermute_b32 v1, v3, v2
	v_max_f32_e32 v2, v2, v2
	v_mov_b32_e32 v10, 0
	s_lshl_b32 s4, s21, 2
	s_waitcnt lgkmcnt(0)
	v_max_f32_e32 v1, v1, v1
	v_max_f32_e32 v1, v2, v1
	ds_bpermute_b32 v2, v4, v1
	s_waitcnt lgkmcnt(0)
	v_max_f32_e32 v2, v2, v2
	v_max_f32_e32 v1, v1, v2
	ds_bpermute_b32 v11, v10, v1
	s_and_saveexec_b32 s5, vcc_lo
	s_cbranch_execz .LBB7_13
; %bb.10:
	s_load_dword s23, s[12:13], 0xc
	s_lshl_b64 s[24:25], s[16:17], 2
	s_lshl_b64 s[26:27], s[18:19], 2
	v_lshlrev_b32_e32 v1, 2, v0
	v_mov_b32_e32 v10, 0
	v_mov_b32_e32 v13, v0
	v_add_nc_u32_e32 v12, 32, v1
	s_waitcnt lgkmcnt(0)
	s_and_b32 s17, s23, 0xffff
	s_add_u32 s19, s24, s26
	s_addc_u32 s23, s25, s27
	s_add_u32 s2, s2, s19
	s_addc_u32 s3, s3, s23
	v_add_co_u32 v1, s2, s2, v1
	v_add_co_ci_u32_e64 v2, null, s3, 0, s2
	s_mov_b32 s3, 0
	s_lshl_b32 s19, s17, 2
	s_inst_prefetch 0x1
	.p2align	6
.LBB7_11:                               ; =>This Inner Loop Header: Depth=1
	global_load_dword v14, v[1:2], off
	ds_read_b32 v15, v12
	v_add_nc_u32_e32 v13, s17, v13
	s_waitcnt lgkmcnt(0)
	v_sub_f32_e32 v15, v15, v11
	v_mul_f32_e32 v16, 0x3fb8aa3b, v15
	v_cmp_ngt_f32_e32 vcc_lo, 0xc2ce8ed0, v15
	v_cmp_nlt_f32_e64 s2, 0x42b17218, v15
	v_fma_f32 v17, 0x3fb8aa3b, v15, -v16
	v_rndne_f32_e32 v18, v16
	v_fmac_f32_e32 v17, 0x32a5705f, v15
	v_sub_f32_e32 v16, v16, v18
	v_add_f32_e32 v16, v16, v17
	v_cvt_i32_f32_e32 v17, v18
	v_exp_f32_e32 v16, v16
	v_ldexp_f32 v16, v16, v17
	v_add_nc_u32_e32 v17, s4, v12
	v_add_nc_u32_e32 v12, s19, v12
	v_cndmask_b32_e32 v16, 0, v16, vcc_lo
	v_add_co_u32 v1, vcc_lo, v1, s19
	v_add_co_ci_u32_e64 v2, null, 0, v2, vcc_lo
	v_cndmask_b32_e64 v15, 0x7f800000, v16, s2
	v_cmp_le_i32_e32 vcc_lo, s21, v13
	s_or_b32 s3, vcc_lo, s3
	s_waitcnt vmcnt(0)
	v_mul_f32_e32 v16, v14, v15
	v_fmac_f32_e32 v10, v14, v15
	ds_write_b32 v17, v16
	s_andn2_b32 exec_lo, exec_lo, s3
	s_cbranch_execnz .LBB7_11
; %bb.12:
	s_inst_prefetch 0x2
	s_or_b32 exec_lo, exec_lo, s3
.LBB7_13:
	s_or_b32 exec_lo, exec_lo, s5
	ds_bpermute_b32 v1, v5, v10
	s_waitcnt lgkmcnt(0)
	s_barrier
	buffer_gl0_inv
	v_add_f32_e32 v1, v10, v1
	ds_bpermute_b32 v2, v6, v1
	s_waitcnt lgkmcnt(0)
	v_add_f32_e32 v1, v1, v2
	ds_bpermute_b32 v2, v7, v1
	s_waitcnt lgkmcnt(0)
	;; [unrolled: 3-line block ×4, first 2 shown]
	v_add_f32_e32 v1, v1, v2
	s_and_saveexec_b32 s2, s0
; %bb.14:
	ds_write_b32 v8, v1 offset:16
; %bb.15:
	s_or_b32 exec_lo, exec_lo, s2
	s_waitcnt lgkmcnt(0)
	s_barrier
	buffer_gl0_inv
	s_and_saveexec_b32 s0, s1
; %bb.16:
	ds_read_b32 v1, v9 offset:16
; %bb.17:
	s_or_b32 exec_lo, exec_lo, s0
	s_waitcnt lgkmcnt(0)
	ds_bpermute_b32 v2, v3, v1
	s_mov_b32 s0, exec_lo
	s_waitcnt lgkmcnt(0)
	v_add_f32_e32 v1, v1, v2
	ds_bpermute_b32 v2, v4, v1
	s_waitcnt lgkmcnt(0)
	v_add_f32_e32 v1, v1, v2
	v_mov_b32_e32 v2, 0
	ds_bpermute_b32 v2, v2, v1
	v_cmpx_gt_u32_e32 0x60, v0
	s_cbranch_execz .LBB7_24
; %bb.18:
	s_cmp_gt_i32 s22, 0
	s_mov_b32 s1, 0
	s_cbranch_scc1 .LBB7_20
; %bb.19:
	v_mov_b32_e32 v1, 0
	v_mov_b32_e32 v4, 0
	s_andn2_b32 vcc_lo, exec_lo, s1
	s_cbranch_vccz .LBB7_21
	s_branch .LBB7_23
.LBB7_20:
	v_mov_b32_e32 v4, 0
.LBB7_21:
	s_waitcnt lgkmcnt(0)
	v_add_f32_e32 v4, 0x358637bd, v2
	s_mulk_i32 s16, 0x60
	s_mulk_i32 s18, 0x60
	s_ashr_i32 s17, s16, 31
	s_ashr_i32 s19, s18, 31
	v_div_scale_f32 v2, null, v4, v4, 1.0
	v_div_scale_f32 v5, vcc_lo, 1.0, v4, 1.0
	s_add_i32 s2, s4, 32
	v_rcp_f32_e32 v3, v2
	s_lshl_b64 s[4:5], s[16:17], 2
	s_lshl_b64 s[16:17], s[18:19], 2
	s_max_i32 s1, s21, 1
	s_add_u32 s3, s4, s16
	s_addc_u32 s4, s5, s17
	s_add_u32 s3, s8, s3
	s_addc_u32 s4, s9, s4
	v_fma_f32 v1, -v2, v3, 1.0
	v_fmac_f32_e32 v3, v1, v3
	v_mov_b32_e32 v1, 0
	v_mul_f32_e32 v6, v5, v3
	v_fma_f32 v7, -v2, v6, v5
	v_fmac_f32_e32 v6, v7, v3
	v_lshlrev_b32_e32 v7, 2, v0
	v_fma_f32 v2, -v2, v6, v5
	v_div_fmas_f32 v5, v2, v3, v6
	v_add_co_u32 v2, s3, s3, v7
	v_add_co_ci_u32_e64 v3, null, s4, 0, s3
	v_div_fixup_f32 v5, v5, v4, 1.0
	v_mov_b32_e32 v4, v1
.LBB7_22:                               ; =>This Inner Loop Header: Depth=1
	global_load_dword v6, v[2:3], off
	v_mov_b32_e32 v7, s2
	v_add_co_u32 v2, vcc_lo, 0x180, v2
	v_add_co_ci_u32_e64 v3, null, 0, v3, vcc_lo
	ds_read_b32 v7, v7
	s_add_i32 s1, s1, -1
	s_add_i32 s2, s2, 4
	s_cmp_eq_u32 s1, 0
	s_waitcnt vmcnt(0) lgkmcnt(0)
	v_mul_f32_e32 v6, v6, v7
	v_fmac_f32_e32 v4, v5, v6
	s_cbranch_scc0 .LBB7_22
.LBB7_23:
	s_mul_i32 s2, s20, 0x60
	s_mul_i32 s4, s6, 0x60
	s_ashr_i32 s3, s2, 31
	s_waitcnt lgkmcnt(0)
	v_lshlrev_b64 v[1:2], 2, v[0:1]
	s_lshl_b64 s[2:3], s[2:3], 2
	s_add_u32 s1, s10, s2
	s_addc_u32 s16, s11, s3
	s_ashr_i32 s5, s4, 31
	s_lshl_b64 s[2:3], s[4:5], 2
	s_add_u32 s1, s1, s2
	s_addc_u32 s2, s16, s3
	v_add_co_u32 v1, vcc_lo, s1, v1
	v_add_co_ci_u32_e64 v2, null, s2, v2, vcc_lo
	global_store_dword v[1:2], v4, off
.LBB7_24:
	s_or_b32 exec_lo, exec_lo, s0
	s_mov_b32 s0, 0
.LBB7_25:
	s_and_b32 vcc_lo, exec_lo, s0
	s_cbranch_vccz .LBB7_29
; %bb.26:
	s_mov_b32 s0, exec_lo
	v_cmpx_gt_u32_e32 0x60, v0
	s_cbranch_execz .LBB7_29
; %bb.27:
	s_mul_i32 s0, s15, s14
	s_mul_i32 s4, s6, 0x60
	s_mulk_i32 s0, 0x60
	s_load_dword s6, s[12:13], 0xc
	s_ashr_i32 s1, s0, 31
	v_lshlrev_b32_e32 v1, 2, v0
	s_lshl_b64 s[2:3], s[0:1], 2
	s_waitcnt lgkmcnt(0)
	v_mov_b32_e32 v2, 0
	s_add_u32 s1, s10, s2
	s_addc_u32 s11, s11, s3
	s_ashr_i32 s5, s4, 31
	s_mul_i32 s10, s0, s7
	s_lshl_b64 s[2:3], s[4:5], 2
	s_mul_i32 s4, s4, s7
	s_add_u32 s1, s1, s2
	s_addc_u32 s2, s11, s3
	s_ashr_i32 s11, s10, 31
	s_lshl_b64 s[10:11], s[10:11], 2
	s_add_u32 s0, s8, s10
	s_addc_u32 s7, s9, s11
	s_ashr_i32 s5, s4, 31
	s_lshl_b64 s[4:5], s[4:5], 2
	s_add_u32 s3, s0, s4
	s_addc_u32 s4, s7, s5
	s_and_b32 s5, s6, 0xffff
	s_mov_b32 s6, 0
	s_lshl_b32 s7, s5, 2
	.p2align	6
.LBB7_28:                               ; =>This Inner Loop Header: Depth=1
	v_add_co_u32 v3, vcc_lo, s3, v1
	v_add_co_ci_u32_e64 v4, null, s4, v2, vcc_lo
	v_add_nc_u32_e32 v0, s5, v0
	global_load_dword v5, v[3:4], off
	v_add_co_u32 v3, vcc_lo, s1, v1
	v_add_co_ci_u32_e64 v4, null, s2, v2, vcc_lo
	v_cmp_lt_u32_e32 vcc_lo, 0x5f, v0
	v_add_co_u32 v1, s0, v1, s7
	v_add_co_ci_u32_e64 v2, null, 0, v2, s0
	s_or_b32 s6, vcc_lo, s6
	s_waitcnt vmcnt(0)
	global_store_dword v[3:4], v5, off
	s_andn2_b32 exec_lo, exec_lo, s6
	s_cbranch_execnz .LBB7_28
.LBB7_29:
	s_endpgm
	.section	.rodata,"a",@progbits
	.p2align	6, 0x0
	.amdhsa_kernel _ZN4vllm32paged_attention_v2_reduce_kernelIfLi96ELi128ELi512EEEvPT_PKfS4_PKS1_PKii
		.amdhsa_group_segment_fixed_size 32
		.amdhsa_private_segment_fixed_size 0
		.amdhsa_kernarg_size 304
		.amdhsa_user_sgpr_count 6
		.amdhsa_user_sgpr_private_segment_buffer 1
		.amdhsa_user_sgpr_dispatch_ptr 0
		.amdhsa_user_sgpr_queue_ptr 0
		.amdhsa_user_sgpr_kernarg_segment_ptr 1
		.amdhsa_user_sgpr_dispatch_id 0
		.amdhsa_user_sgpr_flat_scratch_init 0
		.amdhsa_user_sgpr_private_segment_size 0
		.amdhsa_wavefront_size32 1
		.amdhsa_uses_dynamic_stack 0
		.amdhsa_system_sgpr_private_segment_wavefront_offset 0
		.amdhsa_system_sgpr_workgroup_id_x 1
		.amdhsa_system_sgpr_workgroup_id_y 1
		.amdhsa_system_sgpr_workgroup_id_z 0
		.amdhsa_system_sgpr_workgroup_info 0
		.amdhsa_system_vgpr_workitem_id 0
		.amdhsa_next_free_vgpr 19
		.amdhsa_next_free_sgpr 30
		.amdhsa_reserve_vcc 1
		.amdhsa_reserve_flat_scratch 0
		.amdhsa_float_round_mode_32 0
		.amdhsa_float_round_mode_16_64 0
		.amdhsa_float_denorm_mode_32 3
		.amdhsa_float_denorm_mode_16_64 3
		.amdhsa_dx10_clamp 1
		.amdhsa_ieee_mode 1
		.amdhsa_fp16_overflow 0
		.amdhsa_workgroup_processor_mode 1
		.amdhsa_memory_ordered 1
		.amdhsa_forward_progress 1
		.amdhsa_shared_vgpr_count 0
		.amdhsa_exception_fp_ieee_invalid_op 0
		.amdhsa_exception_fp_denorm_src 0
		.amdhsa_exception_fp_ieee_div_zero 0
		.amdhsa_exception_fp_ieee_overflow 0
		.amdhsa_exception_fp_ieee_underflow 0
		.amdhsa_exception_fp_ieee_inexact 0
		.amdhsa_exception_int_div_zero 0
	.end_amdhsa_kernel
	.section	.text._ZN4vllm32paged_attention_v2_reduce_kernelIfLi96ELi128ELi512EEEvPT_PKfS4_PKS1_PKii,"axG",@progbits,_ZN4vllm32paged_attention_v2_reduce_kernelIfLi96ELi128ELi512EEEvPT_PKfS4_PKS1_PKii,comdat
.Lfunc_end7:
	.size	_ZN4vllm32paged_attention_v2_reduce_kernelIfLi96ELi128ELi512EEEvPT_PKfS4_PKS1_PKii, .Lfunc_end7-_ZN4vllm32paged_attention_v2_reduce_kernelIfLi96ELi128ELi512EEEvPT_PKfS4_PKS1_PKii
                                        ; -- End function
	.set _ZN4vllm32paged_attention_v2_reduce_kernelIfLi96ELi128ELi512EEEvPT_PKfS4_PKS1_PKii.num_vgpr, 19
	.set _ZN4vllm32paged_attention_v2_reduce_kernelIfLi96ELi128ELi512EEEvPT_PKfS4_PKS1_PKii.num_agpr, 0
	.set _ZN4vllm32paged_attention_v2_reduce_kernelIfLi96ELi128ELi512EEEvPT_PKfS4_PKS1_PKii.numbered_sgpr, 30
	.set _ZN4vllm32paged_attention_v2_reduce_kernelIfLi96ELi128ELi512EEEvPT_PKfS4_PKS1_PKii.num_named_barrier, 0
	.set _ZN4vllm32paged_attention_v2_reduce_kernelIfLi96ELi128ELi512EEEvPT_PKfS4_PKS1_PKii.private_seg_size, 0
	.set _ZN4vllm32paged_attention_v2_reduce_kernelIfLi96ELi128ELi512EEEvPT_PKfS4_PKS1_PKii.uses_vcc, 1
	.set _ZN4vllm32paged_attention_v2_reduce_kernelIfLi96ELi128ELi512EEEvPT_PKfS4_PKS1_PKii.uses_flat_scratch, 0
	.set _ZN4vllm32paged_attention_v2_reduce_kernelIfLi96ELi128ELi512EEEvPT_PKfS4_PKS1_PKii.has_dyn_sized_stack, 0
	.set _ZN4vllm32paged_attention_v2_reduce_kernelIfLi96ELi128ELi512EEEvPT_PKfS4_PKS1_PKii.has_recursion, 0
	.set _ZN4vllm32paged_attention_v2_reduce_kernelIfLi96ELi128ELi512EEEvPT_PKfS4_PKS1_PKii.has_indirect_call, 0
	.section	.AMDGPU.csdata,"",@progbits
; Kernel info:
; codeLenInByte = 2016
; TotalNumSgprs: 32
; NumVgprs: 19
; ScratchSize: 0
; MemoryBound: 0
; FloatMode: 240
; IeeeMode: 1
; LDSByteSize: 32 bytes/workgroup (compile time only)
; SGPRBlocks: 0
; VGPRBlocks: 2
; NumSGPRsForWavesPerEU: 32
; NumVGPRsForWavesPerEU: 19
; Occupancy: 16
; WaveLimiterHint : 0
; COMPUTE_PGM_RSRC2:SCRATCH_EN: 0
; COMPUTE_PGM_RSRC2:USER_SGPR: 6
; COMPUTE_PGM_RSRC2:TRAP_HANDLER: 0
; COMPUTE_PGM_RSRC2:TGID_X_EN: 1
; COMPUTE_PGM_RSRC2:TGID_Y_EN: 1
; COMPUTE_PGM_RSRC2:TGID_Z_EN: 0
; COMPUTE_PGM_RSRC2:TIDIG_COMP_CNT: 0
	.section	.text._ZN4vllm25paged_attention_v2_kernelIffLi112ELi8ELi128ELNS_18Fp8KVCacheDataTypeE0ELb1ELi512EEEvPfS2_PT_PKS3_PKT0_S9_ifPKiSB_iPKfiiiSD_SD_iiiii,"axG",@progbits,_ZN4vllm25paged_attention_v2_kernelIffLi112ELi8ELi128ELNS_18Fp8KVCacheDataTypeE0ELb1ELi512EEEvPfS2_PT_PKS3_PKT0_S9_ifPKiSB_iPKfiiiSD_SD_iiiii,comdat
	.protected	_ZN4vllm25paged_attention_v2_kernelIffLi112ELi8ELi128ELNS_18Fp8KVCacheDataTypeE0ELb1ELi512EEEvPfS2_PT_PKS3_PKT0_S9_ifPKiSB_iPKfiiiSD_SD_iiiii ; -- Begin function _ZN4vllm25paged_attention_v2_kernelIffLi112ELi8ELi128ELNS_18Fp8KVCacheDataTypeE0ELb1ELi512EEEvPfS2_PT_PKS3_PKT0_S9_ifPKiSB_iPKfiiiSD_SD_iiiii
	.globl	_ZN4vllm25paged_attention_v2_kernelIffLi112ELi8ELi128ELNS_18Fp8KVCacheDataTypeE0ELb1ELi512EEEvPfS2_PT_PKS3_PKT0_S9_ifPKiSB_iPKfiiiSD_SD_iiiii
	.p2align	8
	.type	_ZN4vllm25paged_attention_v2_kernelIffLi112ELi8ELi128ELNS_18Fp8KVCacheDataTypeE0ELb1ELi512EEEvPfS2_PT_PKS3_PKT0_S9_ifPKiSB_iPKfiiiSD_SD_iiiii,@function
_ZN4vllm25paged_attention_v2_kernelIffLi112ELi8ELi128ELNS_18Fp8KVCacheDataTypeE0ELb1ELi512EEEvPfS2_PT_PKS3_PKT0_S9_ifPKiSB_iPKfiiiSD_SD_iiiii: ; @_ZN4vllm25paged_attention_v2_kernelIffLi112ELi8ELi128ELNS_18Fp8KVCacheDataTypeE0ELb1ELi512EEEvPfS2_PT_PKS3_PKT0_S9_ifPKiSB_iPKfiiiSD_SD_iiiii
; %bb.0:
	s_load_dwordx2 s[0:1], s[4:5], 0x40
	s_mov_b32 s26, s7
	s_ashr_i32 s27, s7, 31
	s_lshl_b64 s[2:3], s[26:27], 2
	s_waitcnt lgkmcnt(0)
	s_add_u32 s0, s0, s2
	s_addc_u32 s1, s1, s3
	s_lshl_b32 s38, s8, 9
	s_load_dword s27, s[0:1], 0x0
	s_waitcnt lgkmcnt(0)
	s_cmp_ge_i32 s38, s27
	s_cbranch_scc1 .LBB8_84
; %bb.1:
	s_clause 0x1
	s_load_dword s9, s[4:5], 0x90
	s_load_dwordx2 s[36:37], s[4:5], 0x30
	s_mov_b32 s40, 0
	s_waitcnt lgkmcnt(0)
	s_abs_i32 s3, s9
	s_abs_i32 s0, s36
	v_cvt_f32_u32_e32 v1, s0
	s_sub_i32 s2, 0, s0
	v_rcp_iflag_f32_e32 v1, v1
	v_mul_f32_e32 v1, 0x4f7ffffe, v1
	v_cvt_u32_f32_e32 v1, v1
	v_readfirstlane_b32 s1, v1
	s_mul_i32 s2, s2, s1
	s_mul_hi_u32 s2, s1, s2
	s_add_i32 s1, s1, s2
	s_xor_b32 s2, s9, s36
	s_mul_hi_u32 s1, s3, s1
	s_ashr_i32 s2, s2, 31
	s_mul_i32 s7, s1, s0
	s_sub_i32 s3, s3, s7
	s_add_i32 s7, s1, 1
	s_sub_i32 s10, s3, s0
	s_cmp_ge_u32 s3, s0
	s_cselect_b32 s1, s7, s1
	s_cselect_b32 s3, s10, s3
	s_add_i32 s7, s1, 1
	s_cmp_ge_u32 s3, s0
	s_cselect_b32 s0, s7, s1
	s_xor_b32 s0, s0, s2
	s_sub_i32 s10, s0, s2
	s_load_dwordx2 s[0:1], s[4:5], 0x50
	s_abs_i32 s2, s10
	v_cvt_f32_u32_e32 v1, s2
	s_sub_i32 s3, 0, s2
	v_rcp_iflag_f32_e32 v1, v1
	v_mul_f32_e32 v1, 0x4f7ffffe, v1
	v_cvt_u32_f32_e32 v1, v1
	v_readfirstlane_b32 s7, v1
	s_mul_i32 s3, s3, s7
	s_mul_hi_u32 s11, s7, s3
	s_abs_i32 s3, s6
	s_add_i32 s7, s7, s11
	s_waitcnt lgkmcnt(0)
	s_cmp_eq_u64 s[0:1], 0
	s_mul_hi_u32 s20, s3, s7
	s_cbranch_scc1 .LBB8_3
; %bb.2:
	s_ashr_i32 s7, s6, 31
	s_lshl_b64 s[12:13], s[6:7], 2
	s_add_u32 s0, s0, s12
	s_addc_u32 s1, s1, s13
	s_load_dword s40, s[0:1], 0x0
.LBB8_3:
	s_load_dwordx4 s[12:15], s[4:5], 0x58
	v_and_b32_e32 v1, 3, v0
	v_lshlrev_b32_e32 v3, 2, v0
	s_ashr_i32 s0, s6, 31
	s_ashr_i32 s1, s10, 31
	s_mul_i32 s10, s6, 0x70
	s_mov_b32 s7, exec_lo
	v_cmpx_gt_u32_e32 0x70, v0
	s_cbranch_execz .LBB8_5
; %bb.4:
	s_load_dwordx2 s[16:17], s[4:5], 0x18
	s_waitcnt lgkmcnt(0)
	s_mul_i32 s18, s12, s26
	v_and_b32_e32 v4, 0x3fc, v0
	s_ashr_i32 s19, s18, 31
	s_lshl_b64 s[18:19], s[18:19], 2
	v_mad_u32_u24 v4, 0x70, v1, v4
	s_add_u32 s12, s16, s18
	s_addc_u32 s15, s17, s19
	s_ashr_i32 s11, s10, 31
	s_lshl_b64 s[16:17], s[10:11], 2
	s_add_u32 s16, s12, s16
	s_addc_u32 s17, s15, s17
	global_load_dword v2, v3, s[16:17]
	s_waitcnt vmcnt(0)
	ds_write_b32 v4, v2
.LBB8_5:
	s_or_b32 exec_lo, exec_lo, s7
	s_load_dwordx4 s[16:19], s[4:5], 0x78
	s_mul_i32 s7, s20, s2
	s_xor_b32 s0, s0, s1
	s_sub_i32 s1, s3, s7
	s_add_i32 s3, s20, 1
	s_sub_i32 s7, s1, s2
	s_cmp_ge_u32 s1, s2
                                        ; implicit-def: $sgpr33
	s_cselect_b32 s3, s3, s20
	s_cselect_b32 s1, s7, s1
	s_add_i32 s7, s3, 1
	s_cmp_ge_u32 s1, s2
	s_mov_b32 s20, -1
	s_cselect_b32 s1, s7, s3
	s_load_dword s3, s[4:5], 0x88
	s_xor_b32 s1, s1, s0
	s_add_i32 s7, s27, -1
	s_sub_i32 s1, s1, s0
	s_abs_i32 s2, s7
	s_waitcnt lgkmcnt(0)
	s_abs_i32 s11, s19
	s_barrier
	v_cvt_f32_u32_e32 v2, s11
	s_sub_i32 s0, 0, s11
	buffer_gl0_inv
	v_rcp_iflag_f32_e32 v2, v2
	v_mul_f32_e32 v2, 0x4f7ffffe, v2
	v_cvt_u32_f32_e32 v2, v2
	v_readfirstlane_b32 s12, v2
	s_mul_i32 s0, s0, s12
	s_mul_hi_u32 s0, s12, s0
	s_add_i32 s12, s12, s0
	s_cmp_lt_i32 s3, 0
	s_mul_hi_u32 s0, s2, s12
	s_cbranch_scc0 .LBB8_7
; %bb.6:
	s_mul_i32 s15, s16, s36
	s_mov_b32 s20, 0
	s_add_i32 s15, s1, s15
	s_mul_i32 s15, s15, s3
	s_sub_i32 s33, 1, s15
.LBB8_7:
	s_load_dwordx2 s[28:29], s[4:5], 0x38
	s_ashr_i32 s15, s7, 31
	s_andn2_b32 vcc_lo, exec_lo, s20
	s_ashr_i32 s19, s19, 31
	s_cbranch_vccnz .LBB8_9
; %bb.8:
	s_mul_i32 s7, s9, s16
	s_add_i32 s7, s7, s6
	s_mul_i32 s3, s7, s3
	s_add_i32 s33, s3, 1
.LBB8_9:
	s_clause 0x4
	s_load_dword s3, s[4:5], 0x48
	s_load_dwordx2 s[34:35], s[4:5], 0x28
	s_load_dword s7, s[4:5], 0x98
	s_load_dwordx4 s[20:23], s[4:5], 0x0
	s_load_dwordx2 s[24:25], s[4:5], 0x10
	s_mul_i32 s16, s0, s11
	s_xor_b32 s15, s15, s19
	s_sub_i32 s2, s2, s16
	s_add_i32 s36, s0, 1
	v_lshrrev_b32_e32 v36, 5, v0
	v_mov_b32_e32 v5, 0xff7fffff
	v_mbcnt_lo_u32_b32 v4, -1, 0
	s_mul_i32 s14, s1, s14
	v_lshl_add_u32 v37, v36, 3, s38
	s_waitcnt lgkmcnt(0)
	s_mul_i32 s30, s3, s26
	s_sub_i32 s3, s2, s11
	s_ashr_i32 s31, s30, 31
	s_cmp_ge_u32 s2, s11
	s_cselect_b32 s0, s36, s0
	s_cselect_b32 s2, s3, s2
	s_add_i32 s3, s0, 1
	s_cmp_ge_u32 s2, s11
	s_cselect_b32 s0, s3, s0
	s_add_i32 s2, s27, 7
	s_lshl_b32 s41, s8, 6
	s_ashr_i32 s3, s2, 31
	v_or_b32_e32 v33, s41, v36
	s_lshr_b32 s3, s3, 29
	s_add_i32 s2, s2, s3
	s_add_i32 s3, s41, 64
	s_ashr_i32 s36, s2, 3
	s_xor_b32 s2, s0, s15
	s_min_i32 s16, s3, s36
	v_ashrrev_i32_e32 v34, 31, v33
	v_cmp_gt_i32_e64 s0, s16, v33
	s_sub_i32 s39, s2, s15
	s_and_saveexec_b32 s42, s0
	s_cbranch_execz .LBB8_21
; %bb.10:
	s_load_dwordx2 s[2:3], s[4:5], 0x20
	s_ashr_i32 s15, s14, 31
	s_sub_i32 s4, s39, s17
	s_lshl_b64 s[44:45], s[14:15], 2
	v_bfe_u32 v6, v0, 2, 3
	v_cmp_eq_u32_e32 vcc_lo, 0, v1
	v_lshlrev_b32_e32 v14, 2, v1
	v_mul_u32_u24_e32 v7, 0x70, v1
	v_cmp_neq_f32_e64 s1, s40, 0
	v_lshlrev_b32_e32 v12, 2, v6
	v_subrev_nc_u32_e32 v15, s27, v6
	v_lshlrev_b32_e32 v18, 4, v6
	v_lshl_add_u32 v8, v36, 3, s38
	v_mov_b32_e32 v9, 0xff7fffff
	v_lshl_or_b32 v16, v36, 5, v12
	v_add_nc_u32_e32 v12, 1, v15
	v_xor_b32_e32 v10, 2, v4
	v_xor_b32_e32 v11, 1, v4
	s_waitcnt lgkmcnt(0)
	s_add_u32 s15, s2, s44
	s_addc_u32 s43, s3, s45
	s_abs_i32 s5, s18
	v_cvt_f32_u32_e32 v2, s5
	s_sub_i32 s2, 0, s5
	v_rcp_iflag_f32_e32 v5, v2
	v_lshlrev_b64 v[1:2], 2, v[33:34]
	v_mul_f32_e32 v13, 0x4f7ffffe, v5
	v_mov_b32_e32 v5, 0xff7fffff
	v_cvt_u32_f32_e32 v17, v13
	v_add_nc_u32_e32 v13, 0x1e0, v16
	v_add_co_u32 v16, s15, s15, v18
	v_add_co_ci_u32_e64 v18, null, s43, 0, s15
	v_mul_lo_u32 v15, s2, v17
	s_lshl_b64 s[2:3], s[30:31], 2
	s_mov_b32 s15, 0
	s_add_u32 s2, s28, s2
	s_addc_u32 s3, s29, s3
	v_add_co_u32 v1, s2, s2, v1
	v_add_co_ci_u32_e64 v2, null, s3, v2, s2
	v_mul_hi_u32 v19, v17, v15
	v_add_co_u32 v14, s2, v16, v14
	v_add_co_ci_u32_e64 v15, null, 0, v18, s2
	s_mov_b32 s43, s13
	v_add_nc_u32_e32 v16, v17, v19
	v_mov_b32_e32 v17, v33
	s_branch .LBB8_13
.LBB8_11:                               ;   in Loop: Header=BB8_13 Depth=1
	s_or_b32 exec_lo, exec_lo, s44
.LBB8_12:                               ;   in Loop: Header=BB8_13 Depth=1
	s_or_b32 exec_lo, exec_lo, s3
	v_add_nc_u32_e32 v17, 4, v17
	v_add_co_u32 v1, s3, v1, 16
	v_add_co_ci_u32_e64 v2, null, 0, v2, s3
	v_cmp_le_i32_e64 s2, s16, v17
	v_add_nc_u32_e32 v8, 32, v8
	v_add_nc_u32_e32 v13, 0x80, v13
	s_or_b32 s15, s2, s15
	s_andn2_b32 exec_lo, exec_lo, s15
	s_cbranch_execz .LBB8_20
.LBB8_13:                               ; =>This Inner Loop Header: Depth=1
	v_sub_nc_u32_e32 v18, 0, v8
	v_max_i32_e32 v18, v8, v18
	s_waitcnt lgkmcnt(0)
	v_mul_hi_u32 v19, v18, s12
	v_mul_lo_u32 v20, v19, s11
	v_sub_nc_u32_e32 v18, v18, v20
	v_add_nc_u32_e32 v20, 1, v19
	v_subrev_nc_u32_e32 v21, s11, v18
	v_cmp_le_u32_e64 s2, s11, v18
	v_cndmask_b32_e64 v19, v19, v20, s2
	v_cndmask_b32_e64 v18, v18, v21, s2
	v_ashrrev_i32_e32 v20, 31, v8
	v_add_nc_u32_e32 v21, 1, v19
	v_cmp_le_u32_e64 s2, s11, v18
	v_xor_b32_e32 v20, s19, v20
	v_cndmask_b32_e64 v18, v19, v21, s2
	v_xor_b32_e32 v18, v18, v20
	v_sub_nc_u32_e32 v18, v18, v20
	v_add_nc_u32_e32 v19, s33, v18
	v_cmp_ge_i32_e64 s3, s4, v18
	v_sub_nc_u32_e32 v20, 0, v19
	v_max_i32_e32 v20, v19, v20
	v_ashrrev_i32_e32 v19, 31, v19
	v_mul_hi_u32 v21, v20, v16
	v_mul_lo_u32 v21, v21, s5
	v_sub_nc_u32_e32 v20, v20, v21
	v_subrev_nc_u32_e32 v21, s5, v20
	v_cmp_le_u32_e64 s2, s5, v20
	v_cndmask_b32_e64 v20, v20, v21, s2
	v_subrev_nc_u32_e32 v21, s5, v20
	v_cmp_le_u32_e64 s2, s5, v20
	v_cndmask_b32_e64 v20, v20, v21, s2
	v_xor_b32_e32 v20, v20, v19
	v_sub_nc_u32_e32 v19, v20, v19
	v_cmp_ne_u32_e64 s2, 0, v19
	s_and_b32 s2, s2, s3
	s_and_saveexec_b32 s3, s2
	s_xor_b32 s2, exec_lo, s3
	s_cbranch_execz .LBB8_17
; %bb.14:                               ;   in Loop: Header=BB8_13 Depth=1
	s_and_saveexec_b32 s3, vcc_lo
; %bb.15:                               ;   in Loop: Header=BB8_13 Depth=1
	ds_write_b32 v13, v9
; %bb.16:                               ;   in Loop: Header=BB8_13 Depth=1
	s_or_b32 exec_lo, exec_lo, s3
.LBB8_17:                               ;   in Loop: Header=BB8_13 Depth=1
	s_andn2_saveexec_b32 s3, s2
	s_cbranch_execz .LBB8_12
; %bb.18:                               ;   in Loop: Header=BB8_13 Depth=1
	global_load_dword v18, v[1:2], off
	s_waitcnt vmcnt(0)
	v_mad_i64_i32 v[18:19], null, v18, s43, 0
	v_lshlrev_b64 v[18:19], 2, v[18:19]
	v_add_co_u32 v18, s2, v14, v18
	v_add_co_ci_u32_e64 v19, null, v15, v19, s2
	s_clause 0xf
	global_load_dword v26, v[18:19], off offset:128
	global_load_dword v27, v[18:19], off
	global_load_dword v28, v[18:19], off offset:256
	global_load_dword v29, v[18:19], off offset:384
	global_load_dword v30, v[18:19], off offset:512
	global_load_dword v31, v[18:19], off offset:640
	global_load_dword v32, v[18:19], off offset:768
	global_load_dword v35, v[18:19], off offset:896
	global_load_dword v38, v[18:19], off offset:1024
	global_load_dword v39, v[18:19], off offset:1152
	global_load_dword v40, v[18:19], off offset:1280
	global_load_dword v41, v[18:19], off offset:1408
	global_load_dword v42, v[18:19], off offset:1536
	global_load_dword v43, v[18:19], off offset:1664
	global_load_dword v44, v[18:19], off offset:1792
	global_load_dword v45, v[18:19], off offset:1920
	v_add_co_u32 v18, s2, 0x800, v18
	v_add_co_ci_u32_e64 v19, null, 0, v19, s2
	v_cmp_gt_i32_e64 s2, 32, v10
	s_clause 0xb
	global_load_dword v46, v[18:19], off
	global_load_dword v47, v[18:19], off offset:128
	global_load_dword v48, v[18:19], off offset:256
	global_load_dword v49, v[18:19], off offset:384
	global_load_dword v50, v[18:19], off offset:512
	global_load_dword v51, v[18:19], off offset:640
	global_load_dword v52, v[18:19], off offset:768
	global_load_dword v53, v[18:19], off offset:896
	global_load_dword v54, v[18:19], off offset:1024
	global_load_dword v55, v[18:19], off offset:1152
	global_load_dword v56, v[18:19], off offset:1280
	global_load_dword v57, v[18:19], off offset:1408
	ds_read_b128 v[18:21], v7
	ds_read_b128 v[22:25], v7 offset:16
	s_waitcnt vmcnt(27) lgkmcnt(1)
	v_mul_f32_e32 v26, v19, v26
	s_waitcnt vmcnt(26)
	v_fmac_f32_e32 v26, v18, v27
	s_waitcnt vmcnt(25)
	v_fmac_f32_e32 v26, v20, v28
	s_waitcnt vmcnt(24)
	v_fmac_f32_e32 v26, v21, v29
	ds_read_b128 v[18:21], v7 offset:32
	s_waitcnt vmcnt(23) lgkmcnt(1)
	v_fmac_f32_e32 v26, v22, v30
	s_waitcnt vmcnt(22)
	v_fmac_f32_e32 v26, v23, v31
	s_waitcnt vmcnt(21)
	v_fmac_f32_e32 v26, v24, v32
	s_waitcnt vmcnt(20)
	v_fmac_f32_e32 v26, v25, v35
	ds_read_b128 v[22:25], v7 offset:48
	s_waitcnt vmcnt(19) lgkmcnt(1)
	v_fmac_f32_e32 v26, v18, v38
	;; [unrolled: 9-line block ×5, first 2 shown]
	s_waitcnt vmcnt(6)
	v_fmac_f32_e32 v26, v23, v51
	s_waitcnt vmcnt(5)
	v_fmac_f32_e32 v26, v24, v52
	;; [unrolled: 2-line block ×3, first 2 shown]
	s_waitcnt vmcnt(3) lgkmcnt(0)
	v_fmac_f32_e32 v26, v18, v54
	v_cndmask_b32_e64 v18, v4, v10, s2
	v_cmp_gt_i32_e64 s2, 32, v11
	s_waitcnt vmcnt(2)
	v_fmac_f32_e32 v26, v19, v55
	v_lshlrev_b32_e32 v18, 2, v18
	v_cndmask_b32_e64 v19, v4, v11, s2
	s_waitcnt vmcnt(1)
	v_fmac_f32_e32 v26, v20, v56
	v_lshlrev_b32_e32 v19, 2, v19
	s_waitcnt vmcnt(0)
	v_fmac_f32_e32 v26, v21, v57
	ds_bpermute_b32 v18, v18, v26
	s_waitcnt lgkmcnt(0)
	v_add_f32_e32 v18, v26, v18
	ds_bpermute_b32 v19, v19, v18
	s_and_saveexec_b32 s44, vcc_lo
	s_cbranch_execz .LBB8_11
; %bb.19:                               ;   in Loop: Header=BB8_13 Depth=1
	v_add_nc_u32_e32 v20, v12, v8
	s_waitcnt lgkmcnt(0)
	v_add_f32_e32 v18, v18, v19
	v_cvt_f32_i32_e32 v20, v20
	v_mul_f32_e32 v20, s40, v20
	v_cndmask_b32_e64 v19, 0, v20, s1
	v_max_f32_e32 v20, v5, v5
	v_fmac_f32_e32 v19, s37, v18
	v_add_nc_u32_e32 v18, v6, v8
	v_max_f32_e32 v20, v20, v19
	v_cmp_gt_i32_e64 s2, s27, v18
	v_cndmask_b32_e64 v18, 0, v19, s2
	v_cndmask_b32_e64 v5, v5, v20, s2
	ds_write_b32 v13, v18
	s_branch .LBB8_11
.LBB8_20:
	s_or_b32 exec_lo, exec_lo, s15
.LBB8_21:
	s_or_b32 exec_lo, exec_lo, s42
	v_xor_b32_e32 v1, 16, v4
	v_xor_b32_e32 v6, 8, v4
	v_max_f32_e32 v7, v5, v5
	v_and_b32_e32 v38, 31, v0
	v_cmp_gt_i32_e32 vcc_lo, 32, v1
	v_cndmask_b32_e32 v1, v4, v1, vcc_lo
	v_cmp_gt_i32_e32 vcc_lo, 32, v6
	v_lshlrev_b32_e32 v2, 2, v1
	ds_bpermute_b32 v1, v2, v5
	v_cndmask_b32_e32 v5, v4, v6, vcc_lo
	v_lshlrev_b32_e32 v5, 2, v5
	s_waitcnt lgkmcnt(0)
	v_max_f32_e32 v1, v1, v1
	v_max_f32_e32 v1, v7, v1
	v_xor_b32_e32 v7, 4, v4
	ds_bpermute_b32 v6, v5, v1
	v_cmp_gt_i32_e32 vcc_lo, 32, v7
	v_cndmask_b32_e32 v7, v4, v7, vcc_lo
	v_cmp_eq_u32_e32 vcc_lo, 0, v38
	v_lshlrev_b32_e32 v8, 2, v7
	s_waitcnt lgkmcnt(0)
	v_max_f32_e32 v6, v6, v6
	v_max_f32_e32 v1, v1, v6
	v_lshlrev_b32_e32 v6, 2, v36
	ds_bpermute_b32 v7, v8, v1
	s_and_saveexec_b32 s1, vcc_lo
	s_cbranch_execz .LBB8_23
; %bb.22:
	s_waitcnt lgkmcnt(0)
	v_max_f32_e32 v7, v7, v7
	v_max_f32_e32 v1, v1, v1
	;; [unrolled: 1-line block ×3, first 2 shown]
	ds_write_b32 v6, v1 offset:448
.LBB8_23:
	s_or_b32 exec_lo, exec_lo, s1
	v_cmp_gt_u32_e64 s1, 4, v38
	v_mov_b32_e32 v1, 0xff7fffff
	s_waitcnt lgkmcnt(0)
	v_lshlrev_b32_e32 v7, 2, v38
	s_barrier
	buffer_gl0_inv
	s_and_saveexec_b32 s2, s1
; %bb.24:
	ds_read_b32 v1, v7 offset:448
; %bb.25:
	s_or_b32 exec_lo, exec_lo, s2
	v_xor_b32_e32 v9, 2, v4
	v_xor_b32_e32 v11, 1, v4
	v_cmp_gt_i32_e64 s2, 32, v9
	v_cndmask_b32_e64 v9, v4, v9, s2
	v_cmp_gt_i32_e64 s2, 32, v11
	v_lshlrev_b32_e32 v9, 2, v9
	v_cndmask_b32_e64 v4, v4, v11, s2
	s_sub_i32 s2, s16, s41
	s_lshl_b32 s2, s2, 3
	s_waitcnt lgkmcnt(0)
	ds_bpermute_b32 v10, v9, v1
	v_max_f32_e32 v1, v1, v1
	v_lshlrev_b32_e32 v39, 2, v4
	s_add_i32 s2, s2, s38
	s_min_i32 s2, s2, s27
	s_sub_i32 s4, s2, s38
	v_cmp_gt_i32_e64 s2, s4, v0
	s_waitcnt lgkmcnt(0)
	v_max_f32_e32 v10, v10, v10
	v_max_f32_e32 v1, v1, v10
	v_mov_b32_e32 v10, 0
	ds_bpermute_b32 v4, v39, v1
	s_waitcnt lgkmcnt(0)
	v_max_f32_e32 v4, v4, v4
	v_max_f32_e32 v1, v1, v4
	v_lshl_add_u32 v4, v0, 2, 0x1e0
	ds_bpermute_b32 v1, v10, v1
	s_and_saveexec_b32 s5, s2
	s_cbranch_execz .LBB8_29
; %bb.26:
	v_lshl_add_u32 v11, v0, 2, 0x1e0
	v_mov_b32_e32 v10, 0
	v_mov_b32_e32 v12, v0
	s_mov_b32 s15, 0
	.p2align	6
.LBB8_27:                               ; =>This Inner Loop Header: Depth=1
	ds_read_b32 v13, v11
	v_add_nc_u32_e32 v12, 0x80, v12
	v_cmp_le_i32_e64 s3, s4, v12
	s_or_b32 s15, s3, s15
	s_waitcnt lgkmcnt(0)
	v_sub_f32_e32 v13, v13, v1
	v_mul_f32_e32 v13, 0x3fb8aa3b, v13
	v_exp_f32_e32 v13, v13
	ds_write_b32 v11, v13
	v_add_f32_e32 v10, v10, v13
	v_add_nc_u32_e32 v11, 0x200, v11
	s_andn2_b32 exec_lo, exec_lo, s15
	s_cbranch_execnz .LBB8_27
; %bb.28:
	s_or_b32 exec_lo, exec_lo, s15
.LBB8_29:
	s_or_b32 exec_lo, exec_lo, s5
	ds_bpermute_b32 v2, v2, v10
	s_waitcnt lgkmcnt(0)
	v_add_f32_e32 v2, v10, v2
	ds_bpermute_b32 v5, v5, v2
	s_waitcnt lgkmcnt(0)
	v_add_f32_e32 v2, v2, v5
	;; [unrolled: 3-line block ×5, first 2 shown]
	s_and_saveexec_b32 s3, vcc_lo
; %bb.30:
	ds_write_b32 v6, v2 offset:464
; %bb.31:
	s_or_b32 exec_lo, exec_lo, s3
	s_waitcnt lgkmcnt(0)
	s_barrier
	buffer_gl0_inv
	s_and_saveexec_b32 s3, s1
; %bb.32:
	ds_read_b32 v2, v7 offset:464
; %bb.33:
	s_or_b32 exec_lo, exec_lo, s3
	s_waitcnt lgkmcnt(0)
	ds_bpermute_b32 v5, v9, v2
	s_waitcnt lgkmcnt(0)
	v_add_f32_e32 v2, v2, v5
	ds_bpermute_b32 v5, v39, v2
	s_waitcnt lgkmcnt(0)
	v_add_f32_e32 v2, v2, v5
	v_mov_b32_e32 v5, 0
	ds_bpermute_b32 v2, v5, v2
	s_and_saveexec_b32 s1, s2
	s_cbranch_execz .LBB8_36
; %bb.34:
	s_waitcnt lgkmcnt(0)
	v_add_f32_e32 v5, 0x358637bd, v2
	s_mov_b32 s2, 0
	v_div_scale_f32 v6, null, v5, v5, 1.0
	v_div_scale_f32 v9, vcc_lo, 1.0, v5, 1.0
	v_rcp_f32_e32 v7, v6
	v_fma_f32 v8, -v6, v7, 1.0
	v_fmac_f32_e32 v7, v8, v7
	v_mul_f32_e32 v8, v9, v7
	v_fma_f32 v10, -v6, v8, v9
	v_fmac_f32_e32 v8, v10, v7
	v_fma_f32 v6, -v6, v8, v9
	v_div_fmas_f32 v6, v6, v7, v8
	v_div_fixup_f32 v5, v6, v5, 1.0
	v_mov_b32_e32 v6, v0
.LBB8_35:                               ; =>This Inner Loop Header: Depth=1
	ds_read_b32 v7, v4
	v_add_nc_u32_e32 v6, 0x80, v6
	v_cmp_le_i32_e32 vcc_lo, s4, v6
	s_or_b32 s2, vcc_lo, s2
	s_waitcnt lgkmcnt(0)
	v_mul_f32_e32 v7, v5, v7
	ds_write_b32 v4, v7
	v_add_nc_u32_e32 v4, 0x200, v4
	s_andn2_b32 exec_lo, exec_lo, s2
	s_cbranch_execnz .LBB8_35
.LBB8_36:
	s_or_b32 exec_lo, exec_lo, s1
	s_mul_i32 s1, s7, s26
	s_waitcnt lgkmcnt(0)
	s_mul_i32 s2, s1, s9
	s_mov_b32 s1, exec_lo
	s_barrier
	buffer_gl0_inv
	v_cmpx_eq_u32_e32 0, v0
	s_cbranch_execz .LBB8_38
; %bb.37:
	s_ashr_i32 s3, s2, 31
	s_mul_i32 s40, s7, s6
	s_lshl_b64 s[4:5], s[2:3], 2
	v_mov_b32_e32 v4, 0
	s_add_u32 s3, s22, s4
	s_addc_u32 s6, s23, s5
	s_ashr_i32 s41, s40, 31
	s_lshl_b64 s[22:23], s[40:41], 2
	s_add_u32 s3, s3, s22
	s_addc_u32 s6, s6, s23
	s_ashr_i32 s9, s8, 31
	s_lshl_b64 s[40:41], s[8:9], 2
	s_add_u32 s42, s3, s40
	s_addc_u32 s43, s6, s41
	s_add_u32 s3, s20, s4
	s_addc_u32 s4, s21, s5
	;; [unrolled: 2-line block ×4, first 2 shown]
	global_store_dword v4, v1, s[42:43]
	global_store_dword v4, v2, s[4:5]
.LBB8_38:
	s_or_b32 exec_lo, exec_lo, s1
	v_mov_b32_e32 v47, 0
	v_and_b32_e32 v40, 1, v0
	v_mov_b32_e32 v46, 0
	v_mov_b32_e32 v45, 0
	;; [unrolled: 1-line block ×6, first 2 shown]
	s_and_saveexec_b32 s1, s0
	s_cbranch_execz .LBB8_58
; %bb.39:
	s_ashr_i32 s15, s14, 31
	s_sub_i32 s3, s39, s17
	s_lshl_b64 s[4:5], s[14:15], 2
	v_and_b32_e32 v48, 4, v3
	s_add_u32 s0, s34, s4
	s_addc_u32 s5, s35, s5
	s_abs_i32 s4, s18
	v_lshlrev_b32_e32 v3, 4, v0
	v_cvt_f32_u32_e32 v1, s4
	s_sub_i32 s6, 0, s4
	v_lshlrev_b32_e32 v5, 4, v40
	s_lshl_b64 s[14:15], s[30:31], 2
	v_and_b32_e32 v3, 0x1f0, v3
	v_rcp_iflag_f32_e32 v1, v1
	s_add_i32 s36, s36, -1
	v_lshl_or_b32 v5, v36, 5, v5
	v_mov_b32_e32 v41, 0
	v_add_co_u32 v49, s0, s0, v3
	v_mov_b32_e32 v42, 0
	v_mov_b32_e32 v43, 0
	;; [unrolled: 1-line block ×4, first 2 shown]
	v_mul_f32_e32 v4, 0x4f7ffffe, v1
	v_lshlrev_b64 v[1:2], 2, v[33:34]
	v_mov_b32_e32 v46, 0
	v_add_co_ci_u32_e64 v50, null, s5, 0, s0
	v_cvt_u32_f32_e32 v4, v4
	v_add_nc_u32_e32 v51, 0x1e0, v5
	v_mov_b32_e32 v47, 0
	s_mov_b32 s5, 0
	v_mul_lo_u32 v6, s6, v4
	s_add_u32 s6, s28, s14
	s_addc_u32 s9, s29, s15
	v_add_co_u32 v34, vcc_lo, s6, v1
	v_add_co_ci_u32_e64 v35, null, s9, v2, vcc_lo
	s_mov_b32 s6, s13
	v_mul_hi_u32 v6, v4, v6
	v_add_nc_u32_e32 v52, v4, v6
	s_branch .LBB8_42
.LBB8_40:                               ;   in Loop: Header=BB8_42 Depth=1
	s_or_b32 exec_lo, exec_lo, s0
	s_waitcnt vmcnt(1) lgkmcnt(0)
	v_mul_f32_e32 v25, v1, v25
	v_mul_f32_e32 v21, v1, v21
	;; [unrolled: 1-line block ×6, first 2 shown]
	s_waitcnt vmcnt(0)
	v_mul_f32_e32 v1, v1, v29
	v_fmac_f32_e32 v25, v2, v26
	v_fmac_f32_e32 v21, v2, v22
	v_fmac_f32_e32 v17, v2, v18
	v_fmac_f32_e32 v13, v2, v14
	v_fmac_f32_e32 v9, v2, v10
	v_fmac_f32_e32 v5, v2, v6
	v_fmac_f32_e32 v1, v2, v30
	v_fmac_f32_e32 v25, v3, v27
	v_fmac_f32_e32 v21, v3, v23
	v_fmac_f32_e32 v17, v3, v19
	v_fmac_f32_e32 v13, v3, v15
	v_fmac_f32_e32 v9, v3, v11
	v_fmac_f32_e32 v5, v3, v7
	v_fmac_f32_e32 v1, v3, v31
	v_fmac_f32_e32 v25, v4, v28
	v_fmac_f32_e32 v21, v4, v24
	v_fmac_f32_e32 v17, v4, v20
	v_fmac_f32_e32 v13, v4, v16
	v_fmac_f32_e32 v9, v4, v12
	v_fmac_f32_e32 v5, v4, v8
	v_fmac_f32_e32 v1, v4, v32
	v_add_f32_e32 v42, v42, v25
	v_add_f32_e32 v43, v43, v21
	;; [unrolled: 1-line block ×7, first 2 shown]
.LBB8_41:                               ;   in Loop: Header=BB8_42 Depth=1
	s_or_b32 exec_lo, exec_lo, s9
	v_add_nc_u32_e32 v33, 4, v33
	v_add_co_u32 v34, s0, v34, 16
	v_add_co_ci_u32_e64 v35, null, 0, v35, s0
	v_cmp_le_i32_e32 vcc_lo, s16, v33
	v_add_nc_u32_e32 v37, 32, v37
	v_add_nc_u32_e32 v51, 0x80, v51
	s_or_b32 s5, vcc_lo, s5
	s_andn2_b32 exec_lo, exec_lo, s5
	s_cbranch_execz .LBB8_57
.LBB8_42:                               ; =>This Inner Loop Header: Depth=1
	v_sub_nc_u32_e32 v1, 0, v37
	v_max_i32_e32 v1, v37, v1
	v_mul_hi_u32 v2, v1, s12
	v_mul_lo_u32 v3, v2, s11
	v_sub_nc_u32_e32 v1, v1, v3
	v_add_nc_u32_e32 v3, 1, v2
	v_subrev_nc_u32_e32 v4, s11, v1
	v_cmp_le_u32_e32 vcc_lo, s11, v1
	v_cndmask_b32_e32 v2, v2, v3, vcc_lo
	v_cndmask_b32_e32 v1, v1, v4, vcc_lo
	v_ashrrev_i32_e32 v3, 31, v37
	v_add_nc_u32_e32 v4, 1, v2
	v_cmp_le_u32_e32 vcc_lo, s11, v1
	v_xor_b32_e32 v3, s19, v3
	v_cndmask_b32_e32 v1, v2, v4, vcc_lo
	v_xor_b32_e32 v1, v1, v3
	v_sub_nc_u32_e32 v1, v1, v3
	v_add_nc_u32_e32 v2, s33, v1
	v_cmp_lt_i32_e64 s0, s3, v1
	v_sub_nc_u32_e32 v3, 0, v2
	v_max_i32_e32 v3, v2, v3
	v_ashrrev_i32_e32 v2, 31, v2
	v_mul_hi_u32 v4, v3, v52
	v_mul_lo_u32 v4, v4, s4
	v_sub_nc_u32_e32 v3, v3, v4
	v_subrev_nc_u32_e32 v4, s4, v3
	v_cmp_le_u32_e32 vcc_lo, s4, v3
	v_cndmask_b32_e32 v3, v3, v4, vcc_lo
	v_subrev_nc_u32_e32 v4, s4, v3
	v_cmp_le_u32_e32 vcc_lo, s4, v3
	v_cndmask_b32_e32 v3, v3, v4, vcc_lo
	v_xor_b32_e32 v3, v3, v2
	v_sub_nc_u32_e32 v2, v3, v2
	v_cmp_eq_u32_e32 vcc_lo, 0, v2
	s_or_b32 s0, vcc_lo, s0
	s_and_saveexec_b32 s9, s0
	s_cbranch_execz .LBB8_41
; %bb.43:                               ;   in Loop: Header=BB8_42 Depth=1
	global_load_dword v1, v[34:35], off
	v_add_nc_u32_e32 v53, v48, v37
	v_add_nc_u32_e32 v56, 1, v53
	;; [unrolled: 1-line block ×4, first 2 shown]
	s_waitcnt vmcnt(0)
	v_mad_i64_i32 v[1:2], null, v1, s6, 0
	v_lshlrev_b64 v[1:2], 2, v[1:2]
	v_add_co_u32 v21, vcc_lo, v49, v1
	v_add_co_ci_u32_e64 v22, null, v50, v2, vcc_lo
	ds_read_b128 v[1:4], v51
	v_cmp_eq_u32_e32 vcc_lo, s36, v33
	global_load_dwordx4 v[5:8], v[21:22], off
	s_and_saveexec_b32 s13, vcc_lo
	s_cbranch_execnz .LBB8_51
; %bb.44:                               ;   in Loop: Header=BB8_42 Depth=1
	s_or_b32 exec_lo, exec_lo, s13
	global_load_dwordx4 v[9:12], v[21:22], off offset:512
	s_and_saveexec_b32 s13, vcc_lo
	s_cbranch_execnz .LBB8_52
.LBB8_45:                               ;   in Loop: Header=BB8_42 Depth=1
	s_or_b32 exec_lo, exec_lo, s13
	global_load_dwordx4 v[13:16], v[21:22], off offset:1024
	s_and_saveexec_b32 s13, vcc_lo
	s_cbranch_execnz .LBB8_53
.LBB8_46:                               ;   in Loop: Header=BB8_42 Depth=1
	s_or_b32 exec_lo, exec_lo, s13
	global_load_dwordx4 v[17:20], v[21:22], off offset:1536
	s_and_saveexec_b32 s13, vcc_lo
	s_cbranch_execz .LBB8_48
.LBB8_47:                               ;   in Loop: Header=BB8_42 Depth=1
	v_cmp_gt_i32_e64 s0, s27, v53
	s_waitcnt vmcnt(0)
	v_cndmask_b32_e64 v17, 0, v17, s0
	v_cmp_gt_i32_e64 s0, s27, v56
	v_cndmask_b32_e64 v18, 0, v18, s0
	v_cmp_gt_i32_e64 s0, s27, v55
	;; [unrolled: 2-line block ×3, first 2 shown]
	v_cndmask_b32_e64 v20, 0, v20, s0
.LBB8_48:                               ;   in Loop: Header=BB8_42 Depth=1
	s_or_b32 exec_lo, exec_lo, s13
	v_add_co_u32 v29, s0, 0x800, v21
	v_add_co_ci_u32_e64 v30, null, 0, v22, s0
	global_load_dwordx4 v[21:24], v[29:30], off
	s_and_saveexec_b32 s13, vcc_lo
	s_cbranch_execnz .LBB8_54
; %bb.49:                               ;   in Loop: Header=BB8_42 Depth=1
	s_or_b32 exec_lo, exec_lo, s13
	global_load_dwordx4 v[25:28], v[29:30], off offset:512
	s_and_saveexec_b32 s13, vcc_lo
	s_cbranch_execnz .LBB8_55
.LBB8_50:                               ;   in Loop: Header=BB8_42 Depth=1
	s_or_b32 exec_lo, exec_lo, s13
	global_load_dwordx4 v[29:32], v[29:30], off offset:1024
	s_and_saveexec_b32 s0, vcc_lo
	s_cbranch_execz .LBB8_40
	s_branch .LBB8_56
.LBB8_51:                               ;   in Loop: Header=BB8_42 Depth=1
	v_cmp_gt_i32_e64 s0, s27, v53
	s_waitcnt vmcnt(0)
	v_cndmask_b32_e64 v5, 0, v5, s0
	v_cmp_gt_i32_e64 s0, s27, v56
	v_cndmask_b32_e64 v6, 0, v6, s0
	v_cmp_gt_i32_e64 s0, s27, v55
	;; [unrolled: 2-line block ×3, first 2 shown]
	v_cndmask_b32_e64 v8, 0, v8, s0
	s_or_b32 exec_lo, exec_lo, s13
	global_load_dwordx4 v[9:12], v[21:22], off offset:512
	s_and_saveexec_b32 s13, vcc_lo
	s_cbranch_execz .LBB8_45
.LBB8_52:                               ;   in Loop: Header=BB8_42 Depth=1
	v_cmp_gt_i32_e64 s0, s27, v53
	s_waitcnt vmcnt(0)
	v_cndmask_b32_e64 v9, 0, v9, s0
	v_cmp_gt_i32_e64 s0, s27, v56
	v_cndmask_b32_e64 v10, 0, v10, s0
	v_cmp_gt_i32_e64 s0, s27, v55
	;; [unrolled: 2-line block ×3, first 2 shown]
	v_cndmask_b32_e64 v12, 0, v12, s0
	s_or_b32 exec_lo, exec_lo, s13
	global_load_dwordx4 v[13:16], v[21:22], off offset:1024
	s_and_saveexec_b32 s13, vcc_lo
	s_cbranch_execz .LBB8_46
.LBB8_53:                               ;   in Loop: Header=BB8_42 Depth=1
	v_cmp_gt_i32_e64 s0, s27, v53
	s_waitcnt vmcnt(0)
	v_cndmask_b32_e64 v13, 0, v13, s0
	v_cmp_gt_i32_e64 s0, s27, v56
	v_cndmask_b32_e64 v14, 0, v14, s0
	v_cmp_gt_i32_e64 s0, s27, v55
	;; [unrolled: 2-line block ×3, first 2 shown]
	v_cndmask_b32_e64 v16, 0, v16, s0
	s_or_b32 exec_lo, exec_lo, s13
	global_load_dwordx4 v[17:20], v[21:22], off offset:1536
	s_and_saveexec_b32 s13, vcc_lo
	s_cbranch_execnz .LBB8_47
	s_branch .LBB8_48
.LBB8_54:                               ;   in Loop: Header=BB8_42 Depth=1
	v_cmp_gt_i32_e64 s0, s27, v53
	s_waitcnt vmcnt(0)
	v_cndmask_b32_e64 v21, 0, v21, s0
	v_cmp_gt_i32_e64 s0, s27, v56
	v_cndmask_b32_e64 v22, 0, v22, s0
	v_cmp_gt_i32_e64 s0, s27, v55
	;; [unrolled: 2-line block ×3, first 2 shown]
	v_cndmask_b32_e64 v24, 0, v24, s0
	s_or_b32 exec_lo, exec_lo, s13
	global_load_dwordx4 v[25:28], v[29:30], off offset:512
	s_and_saveexec_b32 s13, vcc_lo
	s_cbranch_execz .LBB8_50
.LBB8_55:                               ;   in Loop: Header=BB8_42 Depth=1
	v_cmp_gt_i32_e64 s0, s27, v53
	s_waitcnt vmcnt(0)
	v_cndmask_b32_e64 v25, 0, v25, s0
	v_cmp_gt_i32_e64 s0, s27, v56
	v_cndmask_b32_e64 v26, 0, v26, s0
	v_cmp_gt_i32_e64 s0, s27, v55
	;; [unrolled: 2-line block ×3, first 2 shown]
	v_cndmask_b32_e64 v28, 0, v28, s0
	s_or_b32 exec_lo, exec_lo, s13
	global_load_dwordx4 v[29:32], v[29:30], off offset:1024
	s_and_saveexec_b32 s0, vcc_lo
	s_cbranch_execz .LBB8_40
.LBB8_56:                               ;   in Loop: Header=BB8_42 Depth=1
	v_cmp_gt_i32_e32 vcc_lo, s27, v53
	s_waitcnt vmcnt(0)
	v_cndmask_b32_e32 v29, 0, v29, vcc_lo
	v_cmp_gt_i32_e32 vcc_lo, s27, v56
	v_cndmask_b32_e32 v30, 0, v30, vcc_lo
	v_cmp_gt_i32_e32 vcc_lo, s27, v55
	;; [unrolled: 2-line block ×3, first 2 shown]
	v_cndmask_b32_e32 v32, 0, v32, vcc_lo
	s_branch .LBB8_40
.LBB8_57:
	s_or_b32 exec_lo, exec_lo, s5
.LBB8_58:
	s_or_b32 exec_lo, exec_lo, s1
	ds_bpermute_b32 v1, v39, v47
	ds_bpermute_b32 v2, v39, v46
	;; [unrolled: 1-line block ×7, first 2 shown]
	v_lshrrev_b32_e32 v8, 1, v38
	v_mul_u32_u24_e32 v10, 0x1c0, v36
	v_and_b32_e32 v11, 0x3c1, v0
	s_mov_b32 s0, exec_lo
	s_waitcnt lgkmcnt(0)
	s_waitcnt_vscnt null, 0x0
	v_lshl_add_u32 v9, v8, 2, 0x1e0
	s_barrier
	buffer_gl0_inv
	v_add_f32_e32 v1, v47, v1
	v_add_f32_e32 v2, v46, v2
	;; [unrolled: 1-line block ×7, first 2 shown]
	v_cmpx_eq_u32_e32 64, v11
	s_cbranch_execz .LBB8_60
; %bb.59:
	v_add_nc_u32_e32 v11, v9, v10
	v_add_nc_u32_e32 v12, 0xfffffc80, v11
	;; [unrolled: 1-line block ×8, first 2 shown]
	ds_write_b32 v12, v1
	ds_write_b32 v13, v2
	;; [unrolled: 1-line block ×7, first 2 shown]
.LBB8_60:
	s_or_b32 exec_lo, exec_lo, s0
	v_lshlrev_b32_e32 v8, 2, v8
	s_mov_b32 s1, exec_lo
	v_cmp_eq_u32_e32 vcc_lo, 0, v40
	s_waitcnt lgkmcnt(0)
	s_barrier
	v_add3_u32 v8, 0x1e0, v10, v8
	buffer_gl0_inv
	v_cmpx_gt_u32_e32 64, v0
	s_cbranch_execz .LBB8_70
; %bb.61:
	s_and_saveexec_b32 s0, vcc_lo
	s_cbranch_execnz .LBB8_85
; %bb.62:
	s_or_b32 exec_lo, exec_lo, s0
	s_and_saveexec_b32 s0, vcc_lo
	s_cbranch_execnz .LBB8_86
.LBB8_63:
	s_or_b32 exec_lo, exec_lo, s0
	s_and_saveexec_b32 s0, vcc_lo
	s_cbranch_execnz .LBB8_87
.LBB8_64:
	s_or_b32 exec_lo, exec_lo, s0
	s_and_saveexec_b32 s0, vcc_lo
	s_cbranch_execnz .LBB8_88
.LBB8_65:
	s_or_b32 exec_lo, exec_lo, s0
	s_and_saveexec_b32 s0, vcc_lo
	s_cbranch_execnz .LBB8_89
.LBB8_66:
	s_or_b32 exec_lo, exec_lo, s0
	s_and_saveexec_b32 s0, vcc_lo
	s_cbranch_execnz .LBB8_90
.LBB8_67:
	s_or_b32 exec_lo, exec_lo, s0
	s_and_saveexec_b32 s0, vcc_lo
	s_cbranch_execz .LBB8_69
.LBB8_68:
	ds_read_b32 v10, v8 offset:384
	s_waitcnt lgkmcnt(0)
	v_add_f32_e32 v7, v7, v10
.LBB8_69:
	s_or_b32 exec_lo, exec_lo, s0
.LBB8_70:
	s_or_b32 exec_lo, exec_lo, s1
	v_and_b32_e32 v10, 0x3e1, v0
	s_mov_b32 s1, exec_lo
	s_barrier
	buffer_gl0_inv
	v_cmpx_eq_u32_e32 32, v10
	s_cbranch_execz .LBB8_72
; %bb.71:
	ds_write2_b32 v9, v1, v2 offset1:16
	ds_write2_b32 v9, v3, v4 offset0:32 offset1:48
	ds_write2_b32 v9, v5, v6 offset0:64 offset1:80
	ds_write_b32 v9, v7 offset:384
.LBB8_72:
	s_or_b32 exec_lo, exec_lo, s1
	s_mov_b32 s1, exec_lo
	s_waitcnt lgkmcnt(0)
	s_barrier
	buffer_gl0_inv
	v_cmpx_gt_u32_e32 32, v0
	s_cbranch_execz .LBB8_82
; %bb.73:
	s_and_saveexec_b32 s0, vcc_lo
	s_cbranch_execnz .LBB8_91
; %bb.74:
	s_or_b32 exec_lo, exec_lo, s0
	s_and_saveexec_b32 s0, vcc_lo
	s_cbranch_execnz .LBB8_92
.LBB8_75:
	s_or_b32 exec_lo, exec_lo, s0
	s_and_saveexec_b32 s0, vcc_lo
	s_cbranch_execnz .LBB8_93
.LBB8_76:
	s_or_b32 exec_lo, exec_lo, s0
	s_and_saveexec_b32 s0, vcc_lo
	s_cbranch_execnz .LBB8_94
.LBB8_77:
	s_or_b32 exec_lo, exec_lo, s0
	s_and_saveexec_b32 s0, vcc_lo
	s_cbranch_execnz .LBB8_95
.LBB8_78:
	s_or_b32 exec_lo, exec_lo, s0
	s_and_saveexec_b32 s0, vcc_lo
	s_cbranch_execnz .LBB8_96
.LBB8_79:
	s_or_b32 exec_lo, exec_lo, s0
	s_and_saveexec_b32 s0, vcc_lo
	s_cbranch_execz .LBB8_81
.LBB8_80:
	ds_read_b32 v8, v8 offset:384
	s_waitcnt lgkmcnt(0)
	v_add_f32_e32 v7, v7, v8
.LBB8_81:
	s_or_b32 exec_lo, exec_lo, s0
.LBB8_82:
	s_or_b32 exec_lo, exec_lo, s1
	s_barrier
	buffer_gl0_inv
	s_mov_b32 s0, exec_lo
	v_cmpx_eq_u32_e32 0, v10
	s_cbranch_execz .LBB8_84
; %bb.83:
	s_mul_i32 s0, s2, 0x70
	s_mul_i32 s2, s7, s10
	s_ashr_i32 s1, s0, 31
	v_lshlrev_b32_e32 v0, 1, v0
	s_lshl_b64 s[0:1], s[0:1], 2
	s_add_u32 s4, s24, s0
	s_addc_u32 s5, s25, s1
	s_ashr_i32 s3, s2, 31
	s_lshl_b64 s[0:1], s[2:3], 2
	s_mul_i32 s2, s8, 0x70
	s_add_u32 s4, s4, s0
	s_addc_u32 s5, s5, s1
	s_ashr_i32 s3, s2, 31
	s_lshl_b64 s[0:1], s[2:3], 2
	s_add_u32 s0, s4, s0
	s_addc_u32 s1, s5, s1
	global_store_dword v0, v1, s[0:1]
	global_store_dword v0, v2, s[0:1] offset:64
	global_store_dword v0, v3, s[0:1] offset:128
	;; [unrolled: 1-line block ×6, first 2 shown]
.LBB8_84:
	s_endpgm
.LBB8_85:
	ds_read_b32 v10, v8
	s_waitcnt lgkmcnt(0)
	v_add_f32_e32 v1, v1, v10
	s_or_b32 exec_lo, exec_lo, s0
	s_and_saveexec_b32 s0, vcc_lo
	s_cbranch_execz .LBB8_63
.LBB8_86:
	ds_read_b32 v10, v8 offset:64
	s_waitcnt lgkmcnt(0)
	v_add_f32_e32 v2, v2, v10
	s_or_b32 exec_lo, exec_lo, s0
	s_and_saveexec_b32 s0, vcc_lo
	s_cbranch_execz .LBB8_64
.LBB8_87:
	ds_read_b32 v10, v8 offset:128
	s_waitcnt lgkmcnt(0)
	v_add_f32_e32 v3, v3, v10
	s_or_b32 exec_lo, exec_lo, s0
	s_and_saveexec_b32 s0, vcc_lo
	s_cbranch_execz .LBB8_65
.LBB8_88:
	ds_read_b32 v10, v8 offset:192
	s_waitcnt lgkmcnt(0)
	v_add_f32_e32 v4, v4, v10
	s_or_b32 exec_lo, exec_lo, s0
	s_and_saveexec_b32 s0, vcc_lo
	s_cbranch_execz .LBB8_66
.LBB8_89:
	ds_read_b32 v10, v8 offset:256
	s_waitcnt lgkmcnt(0)
	v_add_f32_e32 v5, v5, v10
	s_or_b32 exec_lo, exec_lo, s0
	s_and_saveexec_b32 s0, vcc_lo
	s_cbranch_execz .LBB8_67
.LBB8_90:
	ds_read_b32 v10, v8 offset:320
	s_waitcnt lgkmcnt(0)
	v_add_f32_e32 v6, v6, v10
	s_or_b32 exec_lo, exec_lo, s0
	s_and_saveexec_b32 s0, vcc_lo
	s_cbranch_execnz .LBB8_68
	s_branch .LBB8_69
.LBB8_91:
	ds_read_b32 v9, v8
	s_waitcnt lgkmcnt(0)
	v_add_f32_e32 v1, v1, v9
	s_or_b32 exec_lo, exec_lo, s0
	s_and_saveexec_b32 s0, vcc_lo
	s_cbranch_execz .LBB8_75
.LBB8_92:
	ds_read_b32 v9, v8 offset:64
	s_waitcnt lgkmcnt(0)
	v_add_f32_e32 v2, v2, v9
	s_or_b32 exec_lo, exec_lo, s0
	s_and_saveexec_b32 s0, vcc_lo
	s_cbranch_execz .LBB8_76
.LBB8_93:
	ds_read_b32 v9, v8 offset:128
	s_waitcnt lgkmcnt(0)
	v_add_f32_e32 v3, v3, v9
	s_or_b32 exec_lo, exec_lo, s0
	s_and_saveexec_b32 s0, vcc_lo
	s_cbranch_execz .LBB8_77
.LBB8_94:
	ds_read_b32 v9, v8 offset:192
	s_waitcnt lgkmcnt(0)
	v_add_f32_e32 v4, v4, v9
	s_or_b32 exec_lo, exec_lo, s0
	s_and_saveexec_b32 s0, vcc_lo
	s_cbranch_execz .LBB8_78
.LBB8_95:
	ds_read_b32 v9, v8 offset:256
	s_waitcnt lgkmcnt(0)
	v_add_f32_e32 v5, v5, v9
	s_or_b32 exec_lo, exec_lo, s0
	s_and_saveexec_b32 s0, vcc_lo
	s_cbranch_execz .LBB8_79
.LBB8_96:
	ds_read_b32 v9, v8 offset:320
	s_waitcnt lgkmcnt(0)
	v_add_f32_e32 v6, v6, v9
	s_or_b32 exec_lo, exec_lo, s0
	s_and_saveexec_b32 s0, vcc_lo
	s_cbranch_execnz .LBB8_80
	s_branch .LBB8_81
	.section	.rodata,"a",@progbits
	.p2align	6, 0x0
	.amdhsa_kernel _ZN4vllm25paged_attention_v2_kernelIffLi112ELi8ELi128ELNS_18Fp8KVCacheDataTypeE0ELb1ELi512EEEvPfS2_PT_PKS3_PKT0_S9_ifPKiSB_iPKfiiiSD_SD_iiiii
		.amdhsa_group_segment_fixed_size 480
		.amdhsa_private_segment_fixed_size 0
		.amdhsa_kernarg_size 400
		.amdhsa_user_sgpr_count 6
		.amdhsa_user_sgpr_private_segment_buffer 1
		.amdhsa_user_sgpr_dispatch_ptr 0
		.amdhsa_user_sgpr_queue_ptr 0
		.amdhsa_user_sgpr_kernarg_segment_ptr 1
		.amdhsa_user_sgpr_dispatch_id 0
		.amdhsa_user_sgpr_flat_scratch_init 0
		.amdhsa_user_sgpr_private_segment_size 0
		.amdhsa_wavefront_size32 1
		.amdhsa_uses_dynamic_stack 0
		.amdhsa_system_sgpr_private_segment_wavefront_offset 0
		.amdhsa_system_sgpr_workgroup_id_x 1
		.amdhsa_system_sgpr_workgroup_id_y 1
		.amdhsa_system_sgpr_workgroup_id_z 1
		.amdhsa_system_sgpr_workgroup_info 0
		.amdhsa_system_vgpr_workitem_id 0
		.amdhsa_next_free_vgpr 58
		.amdhsa_next_free_sgpr 46
		.amdhsa_reserve_vcc 1
		.amdhsa_reserve_flat_scratch 0
		.amdhsa_float_round_mode_32 0
		.amdhsa_float_round_mode_16_64 0
		.amdhsa_float_denorm_mode_32 3
		.amdhsa_float_denorm_mode_16_64 3
		.amdhsa_dx10_clamp 1
		.amdhsa_ieee_mode 1
		.amdhsa_fp16_overflow 0
		.amdhsa_workgroup_processor_mode 1
		.amdhsa_memory_ordered 1
		.amdhsa_forward_progress 1
		.amdhsa_shared_vgpr_count 0
		.amdhsa_exception_fp_ieee_invalid_op 0
		.amdhsa_exception_fp_denorm_src 0
		.amdhsa_exception_fp_ieee_div_zero 0
		.amdhsa_exception_fp_ieee_overflow 0
		.amdhsa_exception_fp_ieee_underflow 0
		.amdhsa_exception_fp_ieee_inexact 0
		.amdhsa_exception_int_div_zero 0
	.end_amdhsa_kernel
	.section	.text._ZN4vllm25paged_attention_v2_kernelIffLi112ELi8ELi128ELNS_18Fp8KVCacheDataTypeE0ELb1ELi512EEEvPfS2_PT_PKS3_PKT0_S9_ifPKiSB_iPKfiiiSD_SD_iiiii,"axG",@progbits,_ZN4vllm25paged_attention_v2_kernelIffLi112ELi8ELi128ELNS_18Fp8KVCacheDataTypeE0ELb1ELi512EEEvPfS2_PT_PKS3_PKT0_S9_ifPKiSB_iPKfiiiSD_SD_iiiii,comdat
.Lfunc_end8:
	.size	_ZN4vllm25paged_attention_v2_kernelIffLi112ELi8ELi128ELNS_18Fp8KVCacheDataTypeE0ELb1ELi512EEEvPfS2_PT_PKS3_PKT0_S9_ifPKiSB_iPKfiiiSD_SD_iiiii, .Lfunc_end8-_ZN4vllm25paged_attention_v2_kernelIffLi112ELi8ELi128ELNS_18Fp8KVCacheDataTypeE0ELb1ELi512EEEvPfS2_PT_PKS3_PKT0_S9_ifPKiSB_iPKfiiiSD_SD_iiiii
                                        ; -- End function
	.set _ZN4vllm25paged_attention_v2_kernelIffLi112ELi8ELi128ELNS_18Fp8KVCacheDataTypeE0ELb1ELi512EEEvPfS2_PT_PKS3_PKT0_S9_ifPKiSB_iPKfiiiSD_SD_iiiii.num_vgpr, 58
	.set _ZN4vllm25paged_attention_v2_kernelIffLi112ELi8ELi128ELNS_18Fp8KVCacheDataTypeE0ELb1ELi512EEEvPfS2_PT_PKS3_PKT0_S9_ifPKiSB_iPKfiiiSD_SD_iiiii.num_agpr, 0
	.set _ZN4vllm25paged_attention_v2_kernelIffLi112ELi8ELi128ELNS_18Fp8KVCacheDataTypeE0ELb1ELi512EEEvPfS2_PT_PKS3_PKT0_S9_ifPKiSB_iPKfiiiSD_SD_iiiii.numbered_sgpr, 46
	.set _ZN4vllm25paged_attention_v2_kernelIffLi112ELi8ELi128ELNS_18Fp8KVCacheDataTypeE0ELb1ELi512EEEvPfS2_PT_PKS3_PKT0_S9_ifPKiSB_iPKfiiiSD_SD_iiiii.num_named_barrier, 0
	.set _ZN4vllm25paged_attention_v2_kernelIffLi112ELi8ELi128ELNS_18Fp8KVCacheDataTypeE0ELb1ELi512EEEvPfS2_PT_PKS3_PKT0_S9_ifPKiSB_iPKfiiiSD_SD_iiiii.private_seg_size, 0
	.set _ZN4vllm25paged_attention_v2_kernelIffLi112ELi8ELi128ELNS_18Fp8KVCacheDataTypeE0ELb1ELi512EEEvPfS2_PT_PKS3_PKT0_S9_ifPKiSB_iPKfiiiSD_SD_iiiii.uses_vcc, 1
	.set _ZN4vllm25paged_attention_v2_kernelIffLi112ELi8ELi128ELNS_18Fp8KVCacheDataTypeE0ELb1ELi512EEEvPfS2_PT_PKS3_PKT0_S9_ifPKiSB_iPKfiiiSD_SD_iiiii.uses_flat_scratch, 0
	.set _ZN4vllm25paged_attention_v2_kernelIffLi112ELi8ELi128ELNS_18Fp8KVCacheDataTypeE0ELb1ELi512EEEvPfS2_PT_PKS3_PKT0_S9_ifPKiSB_iPKfiiiSD_SD_iiiii.has_dyn_sized_stack, 0
	.set _ZN4vllm25paged_attention_v2_kernelIffLi112ELi8ELi128ELNS_18Fp8KVCacheDataTypeE0ELb1ELi512EEEvPfS2_PT_PKS3_PKT0_S9_ifPKiSB_iPKfiiiSD_SD_iiiii.has_recursion, 0
	.set _ZN4vllm25paged_attention_v2_kernelIffLi112ELi8ELi128ELNS_18Fp8KVCacheDataTypeE0ELb1ELi512EEEvPfS2_PT_PKS3_PKT0_S9_ifPKiSB_iPKfiiiSD_SD_iiiii.has_indirect_call, 0
	.section	.AMDGPU.csdata,"",@progbits
; Kernel info:
; codeLenInByte = 5640
; TotalNumSgprs: 48
; NumVgprs: 58
; ScratchSize: 0
; MemoryBound: 0
; FloatMode: 240
; IeeeMode: 1
; LDSByteSize: 480 bytes/workgroup (compile time only)
; SGPRBlocks: 0
; VGPRBlocks: 7
; NumSGPRsForWavesPerEU: 48
; NumVGPRsForWavesPerEU: 58
; Occupancy: 16
; WaveLimiterHint : 1
; COMPUTE_PGM_RSRC2:SCRATCH_EN: 0
; COMPUTE_PGM_RSRC2:USER_SGPR: 6
; COMPUTE_PGM_RSRC2:TRAP_HANDLER: 0
; COMPUTE_PGM_RSRC2:TGID_X_EN: 1
; COMPUTE_PGM_RSRC2:TGID_Y_EN: 1
; COMPUTE_PGM_RSRC2:TGID_Z_EN: 1
; COMPUTE_PGM_RSRC2:TIDIG_COMP_CNT: 0
	.section	.text._ZN4vllm32paged_attention_v2_reduce_kernelIfLi112ELi128ELi512EEEvPT_PKfS4_PKS1_PKii,"axG",@progbits,_ZN4vllm32paged_attention_v2_reduce_kernelIfLi112ELi128ELi512EEEvPT_PKfS4_PKS1_PKii,comdat
	.protected	_ZN4vllm32paged_attention_v2_reduce_kernelIfLi112ELi128ELi512EEEvPT_PKfS4_PKS1_PKii ; -- Begin function _ZN4vllm32paged_attention_v2_reduce_kernelIfLi112ELi128ELi512EEEvPT_PKfS4_PKS1_PKii
	.globl	_ZN4vllm32paged_attention_v2_reduce_kernelIfLi112ELi128ELi512EEEvPT_PKfS4_PKS1_PKii
	.p2align	8
	.type	_ZN4vllm32paged_attention_v2_reduce_kernelIfLi112ELi128ELi512EEEvPT_PKfS4_PKS1_PKii,@function
_ZN4vllm32paged_attention_v2_reduce_kernelIfLi112ELi128ELi512EEEvPT_PKfS4_PKS1_PKii: ; @_ZN4vllm32paged_attention_v2_reduce_kernelIfLi112ELi128ELi512EEEvPT_PKfS4_PKS1_PKii
; %bb.0:
	s_load_dwordx4 s[8:11], s[4:5], 0x18
	s_add_u32 s12, s4, 48
	s_mov_b32 s14, s7
	s_addc_u32 s13, s5, 0
	s_ashr_i32 s15, s7, 31
	s_lshl_b64 s[0:1], s[14:15], 2
	s_waitcnt lgkmcnt(0)
	s_add_u32 s0, s10, s0
	s_addc_u32 s1, s11, s1
	s_load_dword s22, s[0:1], 0x0
	s_clause 0x2
	s_load_dwordx2 s[10:11], s[4:5], 0x0
	s_load_dword s7, s[4:5], 0x28
	s_load_dword s15, s[4:5], 0x30
	s_waitcnt lgkmcnt(0)
	s_add_i32 s0, s22, -1
	s_cmpk_gt_u32 s0, 0x1ff
	s_mov_b32 s0, -1
	s_cbranch_scc0 .LBB9_25
; %bb.1:
	s_load_dwordx2 s[2:3], s[4:5], 0x8
	s_add_i32 s0, s22, 0x1ff
	s_mul_i32 s20, s15, s14
	s_ashr_i32 s1, s0, 31
	v_mov_b32_e32 v3, 0xff7fffff
	s_lshr_b32 s1, s1, 23
	s_mul_i32 s16, s20, s7
	s_add_i32 s0, s0, s1
	s_mul_i32 s18, s7, s6
	s_ashr_i32 s21, s0, 9
	s_ashr_i32 s17, s16, 31
	v_cmp_gt_i32_e32 vcc_lo, s21, v0
	s_ashr_i32 s19, s18, 31
	s_and_saveexec_b32 s1, vcc_lo
	s_cbranch_execz .LBB9_5
; %bb.2:
	s_load_dword s0, s[12:13], 0xc
	s_load_dwordx2 s[24:25], s[4:5], 0x10
	s_lshl_b64 s[26:27], s[16:17], 2
	s_lshl_b64 s[28:29], s[18:19], 2
	v_lshlrev_b32_e32 v1, 2, v0
	v_mov_b32_e32 v3, 0xff7fffff
	v_mov_b32_e32 v5, v0
	v_add_nc_u32_e32 v4, 32, v1
	s_waitcnt lgkmcnt(0)
	s_and_b32 s4, s0, 0xffff
	s_add_u32 s0, s26, s28
	s_addc_u32 s5, s27, s29
	s_add_u32 s0, s24, s0
	s_addc_u32 s5, s25, s5
	v_add_co_u32 v1, s0, s0, v1
	v_add_co_ci_u32_e64 v2, null, s5, 0, s0
	s_mov_b32 s5, 0
	s_lshl_b32 s23, s4, 2
	.p2align	6
.LBB9_3:                                ; =>This Inner Loop Header: Depth=1
	global_load_dword v6, v[1:2], off
	v_add_nc_u32_e32 v5, s4, v5
	v_max_f32_e32 v3, v3, v3
	v_add_co_u32 v1, s0, v1, s23
	v_add_co_ci_u32_e64 v2, null, 0, v2, s0
	v_cmp_le_i32_e64 s0, s21, v5
	s_or_b32 s5, s0, s5
	s_waitcnt vmcnt(0)
	v_max_f32_e32 v7, v6, v6
	ds_write_b32 v4, v6
	v_add_nc_u32_e32 v4, s23, v4
	v_max_f32_e32 v3, v3, v7
	s_andn2_b32 exec_lo, exec_lo, s5
	s_cbranch_execnz .LBB9_3
; %bb.4:
	s_or_b32 exec_lo, exec_lo, s5
.LBB9_5:
	s_or_b32 exec_lo, exec_lo, s1
	v_mbcnt_lo_u32_b32 v1, -1, 0
	s_waitcnt lgkmcnt(0)
	s_barrier
	buffer_gl0_inv
	v_xor_b32_e32 v2, 16, v1
	v_xor_b32_e32 v4, 8, v1
	v_cmp_gt_i32_e64 s0, 32, v2
	v_cndmask_b32_e64 v2, v1, v2, s0
	v_cmp_gt_i32_e64 s0, 32, v4
	v_lshlrev_b32_e32 v5, 2, v2
	v_cndmask_b32_e64 v4, v1, v4, s0
	ds_bpermute_b32 v2, v5, v3
	v_max_f32_e32 v3, v3, v3
	v_lshlrev_b32_e32 v6, 2, v4
	v_xor_b32_e32 v4, 4, v1
	v_cmp_gt_i32_e64 s0, 32, v4
	v_cndmask_b32_e64 v4, v1, v4, s0
	v_lshlrev_b32_e32 v7, 2, v4
	v_xor_b32_e32 v4, 2, v1
	s_waitcnt lgkmcnt(0)
	v_max_f32_e32 v2, v2, v2
	v_cmp_gt_i32_e64 s0, 32, v4
	v_max_f32_e32 v2, v3, v2
	v_cndmask_b32_e64 v4, v1, v4, s0
	ds_bpermute_b32 v3, v6, v2
	s_waitcnt lgkmcnt(0)
	v_max_f32_e32 v3, v3, v3
	v_max_f32_e32 v2, v2, v3
	ds_bpermute_b32 v3, v7, v2
	s_waitcnt lgkmcnt(0)
	v_max_f32_e32 v8, v3, v3
	v_lshlrev_b32_e32 v3, 2, v4
	v_max_f32_e32 v2, v2, v8
	v_xor_b32_e32 v8, 1, v1
	ds_bpermute_b32 v4, v3, v2
	v_cmp_gt_i32_e64 s0, 32, v8
	v_cndmask_b32_e64 v1, v1, v8, s0
	v_lshrrev_b32_e32 v8, 5, v0
	v_lshlrev_b32_e32 v8, 2, v8
	s_waitcnt lgkmcnt(0)
	v_max_f32_e32 v4, v4, v4
	v_max_f32_e32 v2, v2, v4
	v_lshlrev_b32_e32 v4, 2, v1
	v_and_b32_e32 v1, 31, v0
	ds_bpermute_b32 v9, v4, v2
	v_cmp_eq_u32_e64 s0, 0, v1
	s_and_saveexec_b32 s1, s0
	s_cbranch_execz .LBB9_7
; %bb.6:
	s_waitcnt lgkmcnt(0)
	v_max_f32_e32 v9, v9, v9
	v_max_f32_e32 v2, v2, v2
	;; [unrolled: 1-line block ×3, first 2 shown]
	ds_write_b32 v8, v2
.LBB9_7:
	s_or_b32 exec_lo, exec_lo, s1
	v_cmp_gt_u32_e64 s1, 4, v1
	v_mov_b32_e32 v2, 0xff7fffff
	s_waitcnt lgkmcnt(0)
	v_lshlrev_b32_e32 v9, 2, v1
	s_barrier
	buffer_gl0_inv
	s_and_saveexec_b32 s4, s1
; %bb.8:
	ds_read_b32 v2, v9
; %bb.9:
	s_or_b32 exec_lo, exec_lo, s4
	s_waitcnt lgkmcnt(0)
	ds_bpermute_b32 v1, v3, v2
	v_max_f32_e32 v2, v2, v2
	v_mov_b32_e32 v10, 0
	s_lshl_b32 s4, s21, 2
	s_waitcnt lgkmcnt(0)
	v_max_f32_e32 v1, v1, v1
	v_max_f32_e32 v1, v2, v1
	ds_bpermute_b32 v2, v4, v1
	s_waitcnt lgkmcnt(0)
	v_max_f32_e32 v2, v2, v2
	v_max_f32_e32 v1, v1, v2
	ds_bpermute_b32 v11, v10, v1
	s_and_saveexec_b32 s5, vcc_lo
	s_cbranch_execz .LBB9_13
; %bb.10:
	s_load_dword s23, s[12:13], 0xc
	s_lshl_b64 s[24:25], s[16:17], 2
	s_lshl_b64 s[26:27], s[18:19], 2
	v_lshlrev_b32_e32 v1, 2, v0
	v_mov_b32_e32 v10, 0
	v_mov_b32_e32 v13, v0
	v_add_nc_u32_e32 v12, 32, v1
	s_waitcnt lgkmcnt(0)
	s_and_b32 s17, s23, 0xffff
	s_add_u32 s19, s24, s26
	s_addc_u32 s23, s25, s27
	s_add_u32 s2, s2, s19
	s_addc_u32 s3, s3, s23
	v_add_co_u32 v1, s2, s2, v1
	v_add_co_ci_u32_e64 v2, null, s3, 0, s2
	s_mov_b32 s3, 0
	s_lshl_b32 s19, s17, 2
	s_inst_prefetch 0x1
	.p2align	6
.LBB9_11:                               ; =>This Inner Loop Header: Depth=1
	global_load_dword v14, v[1:2], off
	ds_read_b32 v15, v12
	v_add_nc_u32_e32 v13, s17, v13
	s_waitcnt lgkmcnt(0)
	v_sub_f32_e32 v15, v15, v11
	v_mul_f32_e32 v16, 0x3fb8aa3b, v15
	v_cmp_ngt_f32_e32 vcc_lo, 0xc2ce8ed0, v15
	v_cmp_nlt_f32_e64 s2, 0x42b17218, v15
	v_fma_f32 v17, 0x3fb8aa3b, v15, -v16
	v_rndne_f32_e32 v18, v16
	v_fmac_f32_e32 v17, 0x32a5705f, v15
	v_sub_f32_e32 v16, v16, v18
	v_add_f32_e32 v16, v16, v17
	v_cvt_i32_f32_e32 v17, v18
	v_exp_f32_e32 v16, v16
	v_ldexp_f32 v16, v16, v17
	v_add_nc_u32_e32 v17, s4, v12
	v_add_nc_u32_e32 v12, s19, v12
	v_cndmask_b32_e32 v16, 0, v16, vcc_lo
	v_add_co_u32 v1, vcc_lo, v1, s19
	v_add_co_ci_u32_e64 v2, null, 0, v2, vcc_lo
	v_cndmask_b32_e64 v15, 0x7f800000, v16, s2
	v_cmp_le_i32_e32 vcc_lo, s21, v13
	s_or_b32 s3, vcc_lo, s3
	s_waitcnt vmcnt(0)
	v_mul_f32_e32 v16, v14, v15
	v_fmac_f32_e32 v10, v14, v15
	ds_write_b32 v17, v16
	s_andn2_b32 exec_lo, exec_lo, s3
	s_cbranch_execnz .LBB9_11
; %bb.12:
	s_inst_prefetch 0x2
	s_or_b32 exec_lo, exec_lo, s3
.LBB9_13:
	s_or_b32 exec_lo, exec_lo, s5
	ds_bpermute_b32 v1, v5, v10
	s_waitcnt lgkmcnt(0)
	s_barrier
	buffer_gl0_inv
	v_add_f32_e32 v1, v10, v1
	ds_bpermute_b32 v2, v6, v1
	s_waitcnt lgkmcnt(0)
	v_add_f32_e32 v1, v1, v2
	ds_bpermute_b32 v2, v7, v1
	s_waitcnt lgkmcnt(0)
	;; [unrolled: 3-line block ×4, first 2 shown]
	v_add_f32_e32 v1, v1, v2
	s_and_saveexec_b32 s2, s0
; %bb.14:
	ds_write_b32 v8, v1 offset:16
; %bb.15:
	s_or_b32 exec_lo, exec_lo, s2
	s_waitcnt lgkmcnt(0)
	s_barrier
	buffer_gl0_inv
	s_and_saveexec_b32 s0, s1
; %bb.16:
	ds_read_b32 v1, v9 offset:16
; %bb.17:
	s_or_b32 exec_lo, exec_lo, s0
	s_waitcnt lgkmcnt(0)
	ds_bpermute_b32 v2, v3, v1
	s_mov_b32 s0, exec_lo
	s_waitcnt lgkmcnt(0)
	v_add_f32_e32 v1, v1, v2
	ds_bpermute_b32 v2, v4, v1
	s_waitcnt lgkmcnt(0)
	v_add_f32_e32 v1, v1, v2
	v_mov_b32_e32 v2, 0
	ds_bpermute_b32 v2, v2, v1
	v_cmpx_gt_u32_e32 0x70, v0
	s_cbranch_execz .LBB9_24
; %bb.18:
	s_cmp_gt_i32 s22, 0
	s_mov_b32 s1, 0
	s_cbranch_scc1 .LBB9_20
; %bb.19:
	v_mov_b32_e32 v1, 0
	v_mov_b32_e32 v4, 0
	s_andn2_b32 vcc_lo, exec_lo, s1
	s_cbranch_vccz .LBB9_21
	s_branch .LBB9_23
.LBB9_20:
	v_mov_b32_e32 v4, 0
.LBB9_21:
	s_waitcnt lgkmcnt(0)
	v_add_f32_e32 v4, 0x358637bd, v2
	s_mulk_i32 s16, 0x70
	s_mulk_i32 s18, 0x70
	s_ashr_i32 s17, s16, 31
	s_ashr_i32 s19, s18, 31
	v_div_scale_f32 v2, null, v4, v4, 1.0
	v_div_scale_f32 v5, vcc_lo, 1.0, v4, 1.0
	s_add_i32 s2, s4, 32
	v_rcp_f32_e32 v3, v2
	s_lshl_b64 s[4:5], s[16:17], 2
	s_lshl_b64 s[16:17], s[18:19], 2
	s_max_i32 s1, s21, 1
	s_add_u32 s3, s4, s16
	s_addc_u32 s4, s5, s17
	s_add_u32 s3, s8, s3
	s_addc_u32 s4, s9, s4
	v_fma_f32 v1, -v2, v3, 1.0
	v_fmac_f32_e32 v3, v1, v3
	v_mov_b32_e32 v1, 0
	v_mul_f32_e32 v6, v5, v3
	v_fma_f32 v7, -v2, v6, v5
	v_fmac_f32_e32 v6, v7, v3
	v_lshlrev_b32_e32 v7, 2, v0
	v_fma_f32 v2, -v2, v6, v5
	v_div_fmas_f32 v5, v2, v3, v6
	v_add_co_u32 v2, s3, s3, v7
	v_add_co_ci_u32_e64 v3, null, s4, 0, s3
	v_div_fixup_f32 v5, v5, v4, 1.0
	v_mov_b32_e32 v4, v1
.LBB9_22:                               ; =>This Inner Loop Header: Depth=1
	global_load_dword v6, v[2:3], off
	v_mov_b32_e32 v7, s2
	v_add_co_u32 v2, vcc_lo, 0x1c0, v2
	v_add_co_ci_u32_e64 v3, null, 0, v3, vcc_lo
	ds_read_b32 v7, v7
	s_add_i32 s1, s1, -1
	s_add_i32 s2, s2, 4
	s_cmp_eq_u32 s1, 0
	s_waitcnt vmcnt(0) lgkmcnt(0)
	v_mul_f32_e32 v6, v6, v7
	v_fmac_f32_e32 v4, v5, v6
	s_cbranch_scc0 .LBB9_22
.LBB9_23:
	s_mul_i32 s2, s20, 0x70
	s_mul_i32 s4, s6, 0x70
	s_ashr_i32 s3, s2, 31
	s_waitcnt lgkmcnt(0)
	v_lshlrev_b64 v[1:2], 2, v[0:1]
	s_lshl_b64 s[2:3], s[2:3], 2
	s_add_u32 s1, s10, s2
	s_addc_u32 s16, s11, s3
	s_ashr_i32 s5, s4, 31
	s_lshl_b64 s[2:3], s[4:5], 2
	s_add_u32 s1, s1, s2
	s_addc_u32 s2, s16, s3
	v_add_co_u32 v1, vcc_lo, s1, v1
	v_add_co_ci_u32_e64 v2, null, s2, v2, vcc_lo
	global_store_dword v[1:2], v4, off
.LBB9_24:
	s_or_b32 exec_lo, exec_lo, s0
	s_mov_b32 s0, 0
.LBB9_25:
	s_and_b32 vcc_lo, exec_lo, s0
	s_cbranch_vccz .LBB9_29
; %bb.26:
	s_mov_b32 s0, exec_lo
	v_cmpx_gt_u32_e32 0x70, v0
	s_cbranch_execz .LBB9_29
; %bb.27:
	s_mul_i32 s0, s15, s14
	s_mul_i32 s4, s6, 0x70
	s_mulk_i32 s0, 0x70
	s_load_dword s6, s[12:13], 0xc
	s_ashr_i32 s1, s0, 31
	v_lshlrev_b32_e32 v1, 2, v0
	s_lshl_b64 s[2:3], s[0:1], 2
	s_waitcnt lgkmcnt(0)
	v_mov_b32_e32 v2, 0
	s_add_u32 s1, s10, s2
	s_addc_u32 s11, s11, s3
	s_ashr_i32 s5, s4, 31
	s_mul_i32 s10, s0, s7
	s_lshl_b64 s[2:3], s[4:5], 2
	s_mul_i32 s4, s4, s7
	s_add_u32 s1, s1, s2
	s_addc_u32 s2, s11, s3
	s_ashr_i32 s11, s10, 31
	s_lshl_b64 s[10:11], s[10:11], 2
	s_add_u32 s0, s8, s10
	s_addc_u32 s7, s9, s11
	s_ashr_i32 s5, s4, 31
	s_lshl_b64 s[4:5], s[4:5], 2
	s_add_u32 s3, s0, s4
	s_addc_u32 s4, s7, s5
	s_and_b32 s5, s6, 0xffff
	s_mov_b32 s6, 0
	s_lshl_b32 s7, s5, 2
	.p2align	6
.LBB9_28:                               ; =>This Inner Loop Header: Depth=1
	v_add_co_u32 v3, vcc_lo, s3, v1
	v_add_co_ci_u32_e64 v4, null, s4, v2, vcc_lo
	v_add_nc_u32_e32 v0, s5, v0
	global_load_dword v5, v[3:4], off
	v_add_co_u32 v3, vcc_lo, s1, v1
	v_add_co_ci_u32_e64 v4, null, s2, v2, vcc_lo
	v_cmp_lt_u32_e32 vcc_lo, 0x6f, v0
	v_add_co_u32 v1, s0, v1, s7
	v_add_co_ci_u32_e64 v2, null, 0, v2, s0
	s_or_b32 s6, vcc_lo, s6
	s_waitcnt vmcnt(0)
	global_store_dword v[3:4], v5, off
	s_andn2_b32 exec_lo, exec_lo, s6
	s_cbranch_execnz .LBB9_28
.LBB9_29:
	s_endpgm
	.section	.rodata,"a",@progbits
	.p2align	6, 0x0
	.amdhsa_kernel _ZN4vllm32paged_attention_v2_reduce_kernelIfLi112ELi128ELi512EEEvPT_PKfS4_PKS1_PKii
		.amdhsa_group_segment_fixed_size 32
		.amdhsa_private_segment_fixed_size 0
		.amdhsa_kernarg_size 304
		.amdhsa_user_sgpr_count 6
		.amdhsa_user_sgpr_private_segment_buffer 1
		.amdhsa_user_sgpr_dispatch_ptr 0
		.amdhsa_user_sgpr_queue_ptr 0
		.amdhsa_user_sgpr_kernarg_segment_ptr 1
		.amdhsa_user_sgpr_dispatch_id 0
		.amdhsa_user_sgpr_flat_scratch_init 0
		.amdhsa_user_sgpr_private_segment_size 0
		.amdhsa_wavefront_size32 1
		.amdhsa_uses_dynamic_stack 0
		.amdhsa_system_sgpr_private_segment_wavefront_offset 0
		.amdhsa_system_sgpr_workgroup_id_x 1
		.amdhsa_system_sgpr_workgroup_id_y 1
		.amdhsa_system_sgpr_workgroup_id_z 0
		.amdhsa_system_sgpr_workgroup_info 0
		.amdhsa_system_vgpr_workitem_id 0
		.amdhsa_next_free_vgpr 19
		.amdhsa_next_free_sgpr 30
		.amdhsa_reserve_vcc 1
		.amdhsa_reserve_flat_scratch 0
		.amdhsa_float_round_mode_32 0
		.amdhsa_float_round_mode_16_64 0
		.amdhsa_float_denorm_mode_32 3
		.amdhsa_float_denorm_mode_16_64 3
		.amdhsa_dx10_clamp 1
		.amdhsa_ieee_mode 1
		.amdhsa_fp16_overflow 0
		.amdhsa_workgroup_processor_mode 1
		.amdhsa_memory_ordered 1
		.amdhsa_forward_progress 1
		.amdhsa_shared_vgpr_count 0
		.amdhsa_exception_fp_ieee_invalid_op 0
		.amdhsa_exception_fp_denorm_src 0
		.amdhsa_exception_fp_ieee_div_zero 0
		.amdhsa_exception_fp_ieee_overflow 0
		.amdhsa_exception_fp_ieee_underflow 0
		.amdhsa_exception_fp_ieee_inexact 0
		.amdhsa_exception_int_div_zero 0
	.end_amdhsa_kernel
	.section	.text._ZN4vllm32paged_attention_v2_reduce_kernelIfLi112ELi128ELi512EEEvPT_PKfS4_PKS1_PKii,"axG",@progbits,_ZN4vllm32paged_attention_v2_reduce_kernelIfLi112ELi128ELi512EEEvPT_PKfS4_PKS1_PKii,comdat
.Lfunc_end9:
	.size	_ZN4vllm32paged_attention_v2_reduce_kernelIfLi112ELi128ELi512EEEvPT_PKfS4_PKS1_PKii, .Lfunc_end9-_ZN4vllm32paged_attention_v2_reduce_kernelIfLi112ELi128ELi512EEEvPT_PKfS4_PKS1_PKii
                                        ; -- End function
	.set _ZN4vllm32paged_attention_v2_reduce_kernelIfLi112ELi128ELi512EEEvPT_PKfS4_PKS1_PKii.num_vgpr, 19
	.set _ZN4vllm32paged_attention_v2_reduce_kernelIfLi112ELi128ELi512EEEvPT_PKfS4_PKS1_PKii.num_agpr, 0
	.set _ZN4vllm32paged_attention_v2_reduce_kernelIfLi112ELi128ELi512EEEvPT_PKfS4_PKS1_PKii.numbered_sgpr, 30
	.set _ZN4vllm32paged_attention_v2_reduce_kernelIfLi112ELi128ELi512EEEvPT_PKfS4_PKS1_PKii.num_named_barrier, 0
	.set _ZN4vllm32paged_attention_v2_reduce_kernelIfLi112ELi128ELi512EEEvPT_PKfS4_PKS1_PKii.private_seg_size, 0
	.set _ZN4vllm32paged_attention_v2_reduce_kernelIfLi112ELi128ELi512EEEvPT_PKfS4_PKS1_PKii.uses_vcc, 1
	.set _ZN4vllm32paged_attention_v2_reduce_kernelIfLi112ELi128ELi512EEEvPT_PKfS4_PKS1_PKii.uses_flat_scratch, 0
	.set _ZN4vllm32paged_attention_v2_reduce_kernelIfLi112ELi128ELi512EEEvPT_PKfS4_PKS1_PKii.has_dyn_sized_stack, 0
	.set _ZN4vllm32paged_attention_v2_reduce_kernelIfLi112ELi128ELi512EEEvPT_PKfS4_PKS1_PKii.has_recursion, 0
	.set _ZN4vllm32paged_attention_v2_reduce_kernelIfLi112ELi128ELi512EEEvPT_PKfS4_PKS1_PKii.has_indirect_call, 0
	.section	.AMDGPU.csdata,"",@progbits
; Kernel info:
; codeLenInByte = 2016
; TotalNumSgprs: 32
; NumVgprs: 19
; ScratchSize: 0
; MemoryBound: 0
; FloatMode: 240
; IeeeMode: 1
; LDSByteSize: 32 bytes/workgroup (compile time only)
; SGPRBlocks: 0
; VGPRBlocks: 2
; NumSGPRsForWavesPerEU: 32
; NumVGPRsForWavesPerEU: 19
; Occupancy: 16
; WaveLimiterHint : 0
; COMPUTE_PGM_RSRC2:SCRATCH_EN: 0
; COMPUTE_PGM_RSRC2:USER_SGPR: 6
; COMPUTE_PGM_RSRC2:TRAP_HANDLER: 0
; COMPUTE_PGM_RSRC2:TGID_X_EN: 1
; COMPUTE_PGM_RSRC2:TGID_Y_EN: 1
; COMPUTE_PGM_RSRC2:TGID_Z_EN: 0
; COMPUTE_PGM_RSRC2:TIDIG_COMP_CNT: 0
	.section	.text._ZN4vllm25paged_attention_v2_kernelIffLi120ELi8ELi128ELNS_18Fp8KVCacheDataTypeE0ELb1ELi512EEEvPfS2_PT_PKS3_PKT0_S9_ifPKiSB_iPKfiiiSD_SD_iiiii,"axG",@progbits,_ZN4vllm25paged_attention_v2_kernelIffLi120ELi8ELi128ELNS_18Fp8KVCacheDataTypeE0ELb1ELi512EEEvPfS2_PT_PKS3_PKT0_S9_ifPKiSB_iPKfiiiSD_SD_iiiii,comdat
	.protected	_ZN4vllm25paged_attention_v2_kernelIffLi120ELi8ELi128ELNS_18Fp8KVCacheDataTypeE0ELb1ELi512EEEvPfS2_PT_PKS3_PKT0_S9_ifPKiSB_iPKfiiiSD_SD_iiiii ; -- Begin function _ZN4vllm25paged_attention_v2_kernelIffLi120ELi8ELi128ELNS_18Fp8KVCacheDataTypeE0ELb1ELi512EEEvPfS2_PT_PKS3_PKT0_S9_ifPKiSB_iPKfiiiSD_SD_iiiii
	.globl	_ZN4vllm25paged_attention_v2_kernelIffLi120ELi8ELi128ELNS_18Fp8KVCacheDataTypeE0ELb1ELi512EEEvPfS2_PT_PKS3_PKT0_S9_ifPKiSB_iPKfiiiSD_SD_iiiii
	.p2align	8
	.type	_ZN4vllm25paged_attention_v2_kernelIffLi120ELi8ELi128ELNS_18Fp8KVCacheDataTypeE0ELb1ELi512EEEvPfS2_PT_PKS3_PKT0_S9_ifPKiSB_iPKfiiiSD_SD_iiiii,@function
_ZN4vllm25paged_attention_v2_kernelIffLi120ELi8ELi128ELNS_18Fp8KVCacheDataTypeE0ELb1ELi512EEEvPfS2_PT_PKS3_PKT0_S9_ifPKiSB_iPKfiiiSD_SD_iiiii: ; @_ZN4vllm25paged_attention_v2_kernelIffLi120ELi8ELi128ELNS_18Fp8KVCacheDataTypeE0ELb1ELi512EEEvPfS2_PT_PKS3_PKT0_S9_ifPKiSB_iPKfiiiSD_SD_iiiii
; %bb.0:
	s_load_dwordx2 s[0:1], s[4:5], 0x40
	s_mov_b32 s26, s7
	s_ashr_i32 s27, s7, 31
	s_lshl_b64 s[2:3], s[26:27], 2
	s_waitcnt lgkmcnt(0)
	s_add_u32 s0, s0, s2
	s_addc_u32 s1, s1, s3
	s_lshl_b32 s38, s8, 9
	s_load_dword s27, s[0:1], 0x0
	s_waitcnt lgkmcnt(0)
	s_cmp_ge_i32 s38, s27
	s_cbranch_scc1 .LBB10_103
; %bb.1:
	s_clause 0x1
	s_load_dword s9, s[4:5], 0x90
	s_load_dwordx2 s[36:37], s[4:5], 0x30
	s_mov_b32 s40, 0
	s_waitcnt lgkmcnt(0)
	s_abs_i32 s3, s9
	s_abs_i32 s0, s36
	v_cvt_f32_u32_e32 v1, s0
	s_sub_i32 s2, 0, s0
	v_rcp_iflag_f32_e32 v1, v1
	v_mul_f32_e32 v1, 0x4f7ffffe, v1
	v_cvt_u32_f32_e32 v1, v1
	v_readfirstlane_b32 s1, v1
	s_mul_i32 s2, s2, s1
	s_mul_hi_u32 s2, s1, s2
	s_add_i32 s1, s1, s2
	s_xor_b32 s2, s9, s36
	s_mul_hi_u32 s1, s3, s1
	s_ashr_i32 s2, s2, 31
	s_mul_i32 s7, s1, s0
	s_sub_i32 s3, s3, s7
	s_add_i32 s7, s1, 1
	s_sub_i32 s10, s3, s0
	s_cmp_ge_u32 s3, s0
	s_cselect_b32 s1, s7, s1
	s_cselect_b32 s3, s10, s3
	s_add_i32 s7, s1, 1
	s_cmp_ge_u32 s3, s0
	s_cselect_b32 s0, s7, s1
	s_xor_b32 s0, s0, s2
	s_sub_i32 s10, s0, s2
	s_load_dwordx2 s[0:1], s[4:5], 0x50
	s_abs_i32 s2, s10
	v_cvt_f32_u32_e32 v1, s2
	s_sub_i32 s3, 0, s2
	v_rcp_iflag_f32_e32 v1, v1
	v_mul_f32_e32 v1, 0x4f7ffffe, v1
	v_cvt_u32_f32_e32 v1, v1
	v_readfirstlane_b32 s7, v1
	s_mul_i32 s3, s3, s7
	s_mul_hi_u32 s11, s7, s3
	s_abs_i32 s3, s6
	s_add_i32 s7, s7, s11
	s_waitcnt lgkmcnt(0)
	s_cmp_eq_u64 s[0:1], 0
	s_mul_hi_u32 s20, s3, s7
	s_cbranch_scc1 .LBB10_3
; %bb.2:
	s_ashr_i32 s7, s6, 31
	s_lshl_b64 s[12:13], s[6:7], 2
	s_add_u32 s0, s0, s12
	s_addc_u32 s1, s1, s13
	s_load_dword s40, s[0:1], 0x0
.LBB10_3:
	s_load_dwordx4 s[12:15], s[4:5], 0x58
	v_and_b32_e32 v1, 3, v0
	v_lshlrev_b32_e32 v3, 2, v0
	s_ashr_i32 s0, s6, 31
	s_ashr_i32 s1, s10, 31
	s_mul_i32 s10, s6, 0x78
	s_mov_b32 s7, exec_lo
	v_cmpx_gt_u32_e32 0x78, v0
	s_cbranch_execz .LBB10_5
; %bb.4:
	s_load_dwordx2 s[16:17], s[4:5], 0x18
	s_waitcnt lgkmcnt(0)
	s_mul_i32 s18, s12, s26
	v_and_b32_e32 v4, 0x3fc, v0
	s_ashr_i32 s19, s18, 31
	s_lshl_b64 s[18:19], s[18:19], 2
	v_mad_u32_u24 v4, 0x78, v1, v4
	s_add_u32 s12, s16, s18
	s_addc_u32 s15, s17, s19
	s_ashr_i32 s11, s10, 31
	s_lshl_b64 s[16:17], s[10:11], 2
	s_add_u32 s16, s12, s16
	s_addc_u32 s17, s15, s17
	global_load_dword v2, v3, s[16:17]
	s_waitcnt vmcnt(0)
	ds_write_b32 v4, v2
.LBB10_5:
	s_or_b32 exec_lo, exec_lo, s7
	s_load_dwordx4 s[16:19], s[4:5], 0x78
	s_mul_i32 s7, s20, s2
	s_xor_b32 s0, s0, s1
	s_sub_i32 s1, s3, s7
	s_add_i32 s3, s20, 1
	s_sub_i32 s7, s1, s2
	s_cmp_ge_u32 s1, s2
                                        ; implicit-def: $sgpr33
	s_cselect_b32 s3, s3, s20
	s_cselect_b32 s1, s7, s1
	s_add_i32 s7, s3, 1
	s_cmp_ge_u32 s1, s2
	s_mov_b32 s20, -1
	s_cselect_b32 s1, s7, s3
	s_load_dword s3, s[4:5], 0x88
	s_xor_b32 s1, s1, s0
	s_add_i32 s7, s27, -1
	s_sub_i32 s1, s1, s0
	s_abs_i32 s2, s7
	s_waitcnt lgkmcnt(0)
	s_abs_i32 s11, s19
	s_barrier
	v_cvt_f32_u32_e32 v2, s11
	s_sub_i32 s0, 0, s11
	buffer_gl0_inv
	v_rcp_iflag_f32_e32 v2, v2
	v_mul_f32_e32 v2, 0x4f7ffffe, v2
	v_cvt_u32_f32_e32 v2, v2
	v_readfirstlane_b32 s12, v2
	s_mul_i32 s0, s0, s12
	s_mul_hi_u32 s0, s12, s0
	s_add_i32 s12, s12, s0
	s_cmp_lt_i32 s3, 0
	s_mul_hi_u32 s0, s2, s12
	s_cbranch_scc0 .LBB10_7
; %bb.6:
	s_mul_i32 s15, s16, s36
	s_mov_b32 s20, 0
	s_add_i32 s15, s1, s15
	s_mul_i32 s15, s15, s3
	s_sub_i32 s33, 1, s15
.LBB10_7:
	s_load_dwordx2 s[28:29], s[4:5], 0x38
	s_ashr_i32 s15, s7, 31
	s_andn2_b32 vcc_lo, exec_lo, s20
	s_ashr_i32 s19, s19, 31
	s_cbranch_vccnz .LBB10_9
; %bb.8:
	s_mul_i32 s7, s9, s16
	s_add_i32 s7, s7, s6
	s_mul_i32 s3, s7, s3
	s_add_i32 s33, s3, 1
.LBB10_9:
	s_clause 0x4
	s_load_dword s3, s[4:5], 0x48
	s_load_dwordx2 s[34:35], s[4:5], 0x28
	s_load_dword s7, s[4:5], 0x98
	s_load_dwordx4 s[20:23], s[4:5], 0x0
	s_load_dwordx2 s[24:25], s[4:5], 0x10
	s_mul_i32 s16, s0, s11
	s_xor_b32 s15, s15, s19
	s_sub_i32 s2, s2, s16
	s_add_i32 s36, s0, 1
	v_lshrrev_b32_e32 v40, 5, v0
	v_mov_b32_e32 v5, 0xff7fffff
	v_mbcnt_lo_u32_b32 v4, -1, 0
	s_mul_i32 s14, s1, s14
	s_mov_b32 s42, exec_lo
	v_lshl_add_u32 v41, v40, 3, s38
	s_waitcnt lgkmcnt(0)
	s_mul_i32 s30, s3, s26
	s_sub_i32 s3, s2, s11
	s_ashr_i32 s31, s30, 31
	s_cmp_ge_u32 s2, s11
	s_cselect_b32 s0, s36, s0
	s_cselect_b32 s2, s3, s2
	s_add_i32 s3, s0, 1
	s_cmp_ge_u32 s2, s11
	s_cselect_b32 s0, s3, s0
	s_add_i32 s2, s27, 7
	s_lshl_b32 s41, s8, 6
	s_ashr_i32 s3, s2, 31
	v_or_b32_e32 v37, s41, v40
	s_lshr_b32 s3, s3, 29
	s_add_i32 s2, s2, s3
	s_add_i32 s3, s41, 64
	s_ashr_i32 s36, s2, 3
	s_xor_b32 s2, s0, s15
	s_min_i32 s16, s3, s36
	v_ashrrev_i32_e32 v38, 31, v37
	v_cmp_le_i32_e64 s0, s16, v37
	s_sub_i32 s39, s2, s15
	v_cmpx_gt_i32_e64 s16, v37
	s_cbranch_execz .LBB10_21
; %bb.10:
	s_load_dwordx2 s[2:3], s[4:5], 0x20
	s_ashr_i32 s15, s14, 31
	s_sub_i32 s4, s39, s17
	s_lshl_b64 s[44:45], s[14:15], 2
	v_bfe_u32 v6, v0, 2, 3
	v_cmp_eq_u32_e32 vcc_lo, 0, v1
	v_lshlrev_b32_e32 v14, 2, v1
	v_mul_u32_u24_e32 v7, 0x78, v1
	v_cmp_neq_f32_e64 s1, s40, 0
	v_lshlrev_b32_e32 v12, 2, v6
	v_subrev_nc_u32_e32 v15, s27, v6
	v_lshlrev_b32_e32 v18, 4, v6
	v_lshl_add_u32 v8, v40, 3, s38
	v_mov_b32_e32 v9, 0xff7fffff
	v_lshl_or_b32 v16, v40, 5, v12
	v_add_nc_u32_e32 v12, 1, v15
	v_xor_b32_e32 v10, 2, v4
	v_xor_b32_e32 v11, 1, v4
	s_waitcnt lgkmcnt(0)
	s_add_u32 s15, s2, s44
	s_addc_u32 s43, s3, s45
	s_abs_i32 s5, s18
	v_cvt_f32_u32_e32 v2, s5
	s_sub_i32 s2, 0, s5
	v_rcp_iflag_f32_e32 v5, v2
	v_lshlrev_b64 v[1:2], 2, v[37:38]
	v_mul_f32_e32 v13, 0x4f7ffffe, v5
	v_mov_b32_e32 v5, 0xff7fffff
	v_cvt_u32_f32_e32 v17, v13
	v_add_nc_u32_e32 v13, 0x200, v16
	v_add_co_u32 v16, s15, s15, v18
	v_add_co_ci_u32_e64 v18, null, s43, 0, s15
	v_mul_lo_u32 v15, s2, v17
	s_lshl_b64 s[2:3], s[30:31], 2
	s_mov_b32 s15, 0
	s_add_u32 s2, s28, s2
	s_addc_u32 s3, s29, s3
	v_add_co_u32 v1, s2, s2, v1
	v_add_co_ci_u32_e64 v2, null, s3, v2, s2
	v_mul_hi_u32 v19, v17, v15
	v_add_co_u32 v14, s2, v16, v14
	v_add_co_ci_u32_e64 v15, null, 0, v18, s2
	s_mov_b32 s43, s13
	v_add_nc_u32_e32 v16, v17, v19
	v_mov_b32_e32 v17, v37
	s_branch .LBB10_13
.LBB10_11:                              ;   in Loop: Header=BB10_13 Depth=1
	s_or_b32 exec_lo, exec_lo, s44
.LBB10_12:                              ;   in Loop: Header=BB10_13 Depth=1
	s_or_b32 exec_lo, exec_lo, s3
	v_add_nc_u32_e32 v17, 4, v17
	v_add_co_u32 v1, s3, v1, 16
	v_add_co_ci_u32_e64 v2, null, 0, v2, s3
	v_cmp_le_i32_e64 s2, s16, v17
	v_add_nc_u32_e32 v8, 32, v8
	v_add_nc_u32_e32 v13, 0x80, v13
	s_or_b32 s15, s2, s15
	s_andn2_b32 exec_lo, exec_lo, s15
	s_cbranch_execz .LBB10_20
.LBB10_13:                              ; =>This Inner Loop Header: Depth=1
	v_sub_nc_u32_e32 v18, 0, v8
	v_max_i32_e32 v18, v8, v18
	s_waitcnt lgkmcnt(0)
	v_mul_hi_u32 v19, v18, s12
	v_mul_lo_u32 v20, v19, s11
	v_sub_nc_u32_e32 v18, v18, v20
	v_add_nc_u32_e32 v20, 1, v19
	v_subrev_nc_u32_e32 v21, s11, v18
	v_cmp_le_u32_e64 s2, s11, v18
	v_cndmask_b32_e64 v19, v19, v20, s2
	v_cndmask_b32_e64 v18, v18, v21, s2
	v_ashrrev_i32_e32 v20, 31, v8
	v_add_nc_u32_e32 v21, 1, v19
	v_cmp_le_u32_e64 s2, s11, v18
	v_xor_b32_e32 v20, s19, v20
	v_cndmask_b32_e64 v18, v19, v21, s2
	v_xor_b32_e32 v18, v18, v20
	v_sub_nc_u32_e32 v18, v18, v20
	v_add_nc_u32_e32 v19, s33, v18
	v_cmp_ge_i32_e64 s3, s4, v18
	v_sub_nc_u32_e32 v20, 0, v19
	v_max_i32_e32 v20, v19, v20
	v_ashrrev_i32_e32 v19, 31, v19
	v_mul_hi_u32 v21, v20, v16
	v_mul_lo_u32 v21, v21, s5
	v_sub_nc_u32_e32 v20, v20, v21
	v_subrev_nc_u32_e32 v21, s5, v20
	v_cmp_le_u32_e64 s2, s5, v20
	v_cndmask_b32_e64 v20, v20, v21, s2
	v_subrev_nc_u32_e32 v21, s5, v20
	v_cmp_le_u32_e64 s2, s5, v20
	v_cndmask_b32_e64 v20, v20, v21, s2
	v_xor_b32_e32 v20, v20, v19
	v_sub_nc_u32_e32 v19, v20, v19
	v_cmp_ne_u32_e64 s2, 0, v19
	s_and_b32 s2, s2, s3
	s_and_saveexec_b32 s3, s2
	s_xor_b32 s2, exec_lo, s3
	s_cbranch_execz .LBB10_17
; %bb.14:                               ;   in Loop: Header=BB10_13 Depth=1
	s_and_saveexec_b32 s3, vcc_lo
; %bb.15:                               ;   in Loop: Header=BB10_13 Depth=1
	ds_write_b32 v13, v9
; %bb.16:                               ;   in Loop: Header=BB10_13 Depth=1
	s_or_b32 exec_lo, exec_lo, s3
.LBB10_17:                              ;   in Loop: Header=BB10_13 Depth=1
	s_andn2_saveexec_b32 s3, s2
	s_cbranch_execz .LBB10_12
; %bb.18:                               ;   in Loop: Header=BB10_13 Depth=1
	global_load_dword v18, v[1:2], off
	s_waitcnt vmcnt(0)
	v_mad_i64_i32 v[18:19], null, v18, s43, 0
	v_lshlrev_b64 v[18:19], 2, v[18:19]
	v_add_co_u32 v18, s2, v14, v18
	v_add_co_ci_u32_e64 v19, null, v15, v19, s2
	s_clause 0xf
	global_load_dword v26, v[18:19], off offset:128
	global_load_dword v27, v[18:19], off
	global_load_dword v28, v[18:19], off offset:256
	global_load_dword v29, v[18:19], off offset:384
	;; [unrolled: 1-line block ×14, first 2 shown]
	v_add_co_u32 v18, s2, 0x800, v18
	v_add_co_ci_u32_e64 v19, null, 0, v19, s2
	v_cmp_gt_i32_e64 s2, 32, v10
	s_clause 0xd
	global_load_dword v46, v[18:19], off
	global_load_dword v47, v[18:19], off offset:128
	global_load_dword v48, v[18:19], off offset:256
	;; [unrolled: 1-line block ×13, first 2 shown]
	ds_read2_b64 v[18:21], v7 offset1:1
	ds_read2_b64 v[22:25], v7 offset0:2 offset1:3
	s_waitcnt vmcnt(29) lgkmcnt(1)
	v_mul_f32_e32 v26, v19, v26
	s_waitcnt vmcnt(28)
	v_fmac_f32_e32 v26, v18, v27
	s_waitcnt vmcnt(27)
	v_fmac_f32_e32 v26, v20, v28
	s_waitcnt vmcnt(26)
	v_fmac_f32_e32 v26, v21, v29
	ds_read2_b64 v[18:21], v7 offset0:4 offset1:5
	s_waitcnt vmcnt(25) lgkmcnt(1)
	v_fmac_f32_e32 v26, v22, v30
	s_waitcnt vmcnt(24)
	v_fmac_f32_e32 v26, v23, v31
	s_waitcnt vmcnt(23)
	v_fmac_f32_e32 v26, v24, v32
	s_waitcnt vmcnt(22)
	v_fmac_f32_e32 v26, v25, v33
	ds_read2_b64 v[22:25], v7 offset0:6 offset1:7
	s_waitcnt vmcnt(21) lgkmcnt(1)
	v_fmac_f32_e32 v26, v18, v34
	s_waitcnt vmcnt(20)
	v_fmac_f32_e32 v26, v19, v35
	s_waitcnt vmcnt(19)
	v_fmac_f32_e32 v26, v20, v36
	s_waitcnt vmcnt(18)
	v_fmac_f32_e32 v26, v21, v39
	ds_read2_b64 v[18:21], v7 offset0:8 offset1:9
	s_waitcnt vmcnt(17) lgkmcnt(1)
	v_fmac_f32_e32 v26, v22, v42
	s_waitcnt vmcnt(16)
	v_fmac_f32_e32 v26, v23, v43
	s_waitcnt vmcnt(15)
	v_fmac_f32_e32 v26, v24, v44
	s_waitcnt vmcnt(14)
	v_fmac_f32_e32 v26, v25, v45
	ds_read2_b64 v[22:25], v7 offset0:10 offset1:11
	s_waitcnt vmcnt(13) lgkmcnt(1)
	v_fmac_f32_e32 v26, v18, v46
	s_waitcnt vmcnt(12)
	v_fmac_f32_e32 v26, v19, v47
	s_waitcnt vmcnt(11)
	v_fmac_f32_e32 v26, v20, v48
	s_waitcnt vmcnt(10)
	v_fmac_f32_e32 v26, v21, v49
	ds_read2_b64 v[18:21], v7 offset0:12 offset1:13
	s_waitcnt vmcnt(9) lgkmcnt(1)
	v_fmac_f32_e32 v26, v22, v50
	s_waitcnt vmcnt(8)
	v_fmac_f32_e32 v26, v23, v51
	ds_read_b64 v[22:23], v7 offset:112
	s_waitcnt vmcnt(7)
	v_fmac_f32_e32 v26, v24, v52
	s_waitcnt vmcnt(6)
	v_fmac_f32_e32 v26, v25, v53
	s_waitcnt vmcnt(5) lgkmcnt(1)
	v_fmac_f32_e32 v26, v18, v54
	v_cndmask_b32_e64 v18, v4, v10, s2
	v_cmp_gt_i32_e64 s2, 32, v11
	s_waitcnt vmcnt(4)
	v_fmac_f32_e32 v26, v19, v55
	v_lshlrev_b32_e32 v18, 2, v18
	v_cndmask_b32_e64 v19, v4, v11, s2
	s_waitcnt vmcnt(3)
	v_fmac_f32_e32 v26, v20, v56
	v_lshlrev_b32_e32 v19, 2, v19
	s_waitcnt vmcnt(2)
	v_fmac_f32_e32 v26, v21, v57
	s_waitcnt vmcnt(1) lgkmcnt(0)
	v_fmac_f32_e32 v26, v22, v58
	s_waitcnt vmcnt(0)
	v_fmac_f32_e32 v26, v23, v59
	ds_bpermute_b32 v18, v18, v26
	s_waitcnt lgkmcnt(0)
	v_add_f32_e32 v18, v26, v18
	ds_bpermute_b32 v19, v19, v18
	s_and_saveexec_b32 s44, vcc_lo
	s_cbranch_execz .LBB10_11
; %bb.19:                               ;   in Loop: Header=BB10_13 Depth=1
	v_add_nc_u32_e32 v20, v12, v8
	s_waitcnt lgkmcnt(0)
	v_add_f32_e32 v18, v18, v19
	v_cvt_f32_i32_e32 v20, v20
	v_mul_f32_e32 v20, s40, v20
	v_cndmask_b32_e64 v19, 0, v20, s1
	v_max_f32_e32 v20, v5, v5
	v_fmac_f32_e32 v19, s37, v18
	v_add_nc_u32_e32 v18, v6, v8
	v_max_f32_e32 v20, v20, v19
	v_cmp_gt_i32_e64 s2, s27, v18
	v_cndmask_b32_e64 v18, 0, v19, s2
	v_cndmask_b32_e64 v5, v5, v20, s2
	ds_write_b32 v13, v18
	s_branch .LBB10_11
.LBB10_20:
	s_or_b32 exec_lo, exec_lo, s15
.LBB10_21:
	s_or_b32 exec_lo, exec_lo, s42
	v_xor_b32_e32 v1, 16, v4
	v_xor_b32_e32 v2, 8, v4
	v_max_f32_e32 v7, v5, v5
	v_cmp_gt_i32_e32 vcc_lo, 32, v1
	v_cndmask_b32_e32 v1, v4, v1, vcc_lo
	v_cmp_gt_i32_e32 vcc_lo, 32, v2
	v_lshlrev_b32_e32 v6, 2, v1
	v_cndmask_b32_e32 v2, v4, v2, vcc_lo
	ds_bpermute_b32 v1, v6, v5
	v_lshlrev_b32_e32 v5, 2, v2
	s_waitcnt lgkmcnt(0)
	v_max_f32_e32 v1, v1, v1
	v_max_f32_e32 v1, v7, v1
	v_xor_b32_e32 v7, 4, v4
	ds_bpermute_b32 v2, v5, v1
	v_cmp_gt_i32_e32 vcc_lo, 32, v7
	v_cndmask_b32_e32 v7, v4, v7, vcc_lo
	v_lshlrev_b32_e32 v9, 2, v7
	v_lshlrev_b32_e32 v7, 2, v40
	s_waitcnt lgkmcnt(0)
	v_max_f32_e32 v2, v2, v2
	v_max_f32_e32 v2, v1, v2
	v_and_b32_e32 v1, 31, v0
	ds_bpermute_b32 v8, v9, v2
	v_cmp_eq_u32_e32 vcc_lo, 0, v1
	s_and_saveexec_b32 s1, vcc_lo
	s_cbranch_execz .LBB10_23
; %bb.22:
	s_waitcnt lgkmcnt(0)
	v_max_f32_e32 v8, v8, v8
	v_max_f32_e32 v2, v2, v2
	;; [unrolled: 1-line block ×3, first 2 shown]
	ds_write_b32 v7, v2 offset:480
.LBB10_23:
	s_or_b32 exec_lo, exec_lo, s1
	v_cmp_gt_u32_e64 s1, 4, v1
	v_mov_b32_e32 v2, 0xff7fffff
	s_waitcnt lgkmcnt(0)
	v_lshlrev_b32_e32 v8, 2, v1
	s_barrier
	buffer_gl0_inv
	s_and_saveexec_b32 s2, s1
; %bb.24:
	ds_read_b32 v2, v8 offset:480
; %bb.25:
	s_or_b32 exec_lo, exec_lo, s2
	v_xor_b32_e32 v10, 2, v4
	v_xor_b32_e32 v12, 1, v4
	v_cmp_gt_i32_e64 s2, 32, v10
	v_cndmask_b32_e64 v10, v4, v10, s2
	v_cmp_gt_i32_e64 s2, 32, v12
	v_lshlrev_b32_e32 v10, 2, v10
	v_cndmask_b32_e64 v4, v4, v12, s2
	s_sub_i32 s2, s16, s41
	s_lshl_b32 s2, s2, 3
	s_waitcnt lgkmcnt(0)
	ds_bpermute_b32 v11, v10, v2
	v_max_f32_e32 v2, v2, v2
	v_lshlrev_b32_e32 v43, 2, v4
	s_add_i32 s2, s2, s38
	s_min_i32 s2, s2, s27
	s_sub_i32 s4, s2, s38
	v_cmp_gt_i32_e64 s2, s4, v0
	s_waitcnt lgkmcnt(0)
	v_max_f32_e32 v11, v11, v11
	v_max_f32_e32 v2, v2, v11
	v_mov_b32_e32 v11, 0
	ds_bpermute_b32 v4, v43, v2
	s_waitcnt lgkmcnt(0)
	v_max_f32_e32 v4, v4, v4
	v_max_f32_e32 v2, v2, v4
	v_lshl_add_u32 v4, v0, 2, 0x200
	ds_bpermute_b32 v2, v11, v2
	s_and_saveexec_b32 s5, s2
	s_cbranch_execz .LBB10_29
; %bb.26:
	v_lshl_add_u32 v12, v0, 2, 0x200
	v_mov_b32_e32 v11, 0
	v_mov_b32_e32 v13, v0
	s_mov_b32 s15, 0
	.p2align	6
.LBB10_27:                              ; =>This Inner Loop Header: Depth=1
	ds_read_b32 v14, v12
	v_add_nc_u32_e32 v13, 0x80, v13
	v_cmp_le_i32_e64 s3, s4, v13
	s_or_b32 s15, s3, s15
	s_waitcnt lgkmcnt(0)
	v_sub_f32_e32 v14, v14, v2
	v_mul_f32_e32 v14, 0x3fb8aa3b, v14
	v_exp_f32_e32 v14, v14
	ds_write_b32 v12, v14
	v_add_f32_e32 v11, v11, v14
	v_add_nc_u32_e32 v12, 0x200, v12
	s_andn2_b32 exec_lo, exec_lo, s15
	s_cbranch_execnz .LBB10_27
; %bb.28:
	s_or_b32 exec_lo, exec_lo, s15
.LBB10_29:
	s_or_b32 exec_lo, exec_lo, s5
	ds_bpermute_b32 v6, v6, v11
	s_waitcnt lgkmcnt(0)
	v_add_f32_e32 v6, v11, v6
	ds_bpermute_b32 v5, v5, v6
	s_waitcnt lgkmcnt(0)
	v_add_f32_e32 v5, v6, v5
	;; [unrolled: 3-line block ×5, first 2 shown]
	s_and_saveexec_b32 s3, vcc_lo
; %bb.30:
	ds_write_b32 v7, v5 offset:496
; %bb.31:
	s_or_b32 exec_lo, exec_lo, s3
	s_waitcnt lgkmcnt(0)
	s_barrier
	buffer_gl0_inv
	s_and_saveexec_b32 s3, s1
; %bb.32:
	ds_read_b32 v5, v8 offset:496
; %bb.33:
	s_or_b32 exec_lo, exec_lo, s3
	s_waitcnt lgkmcnt(0)
	ds_bpermute_b32 v6, v10, v5
	s_waitcnt lgkmcnt(0)
	v_add_f32_e32 v5, v5, v6
	ds_bpermute_b32 v6, v43, v5
	s_waitcnt lgkmcnt(0)
	v_add_f32_e32 v5, v5, v6
	v_mov_b32_e32 v6, 0
	ds_bpermute_b32 v5, v6, v5
	s_and_saveexec_b32 s1, s2
	s_cbranch_execz .LBB10_36
; %bb.34:
	s_waitcnt lgkmcnt(0)
	v_add_f32_e32 v6, 0x358637bd, v5
	s_mov_b32 s2, 0
	v_div_scale_f32 v7, null, v6, v6, 1.0
	v_div_scale_f32 v10, vcc_lo, 1.0, v6, 1.0
	v_rcp_f32_e32 v8, v7
	v_fma_f32 v9, -v7, v8, 1.0
	v_fmac_f32_e32 v8, v9, v8
	v_mul_f32_e32 v9, v10, v8
	v_fma_f32 v11, -v7, v9, v10
	v_fmac_f32_e32 v9, v11, v8
	v_fma_f32 v7, -v7, v9, v10
	v_div_fmas_f32 v7, v7, v8, v9
	v_div_fixup_f32 v6, v7, v6, 1.0
	v_mov_b32_e32 v7, v0
.LBB10_35:                              ; =>This Inner Loop Header: Depth=1
	ds_read_b32 v8, v4
	v_add_nc_u32_e32 v7, 0x80, v7
	v_cmp_le_i32_e32 vcc_lo, s4, v7
	s_or_b32 s2, vcc_lo, s2
	s_waitcnt lgkmcnt(0)
	v_mul_f32_e32 v8, v6, v8
	ds_write_b32 v4, v8
	v_add_nc_u32_e32 v4, 0x200, v4
	s_andn2_b32 exec_lo, exec_lo, s2
	s_cbranch_execnz .LBB10_35
.LBB10_36:
	s_or_b32 exec_lo, exec_lo, s1
	s_mul_i32 s1, s7, s26
	s_waitcnt lgkmcnt(0)
	s_mul_i32 s2, s1, s9
	s_mov_b32 s1, exec_lo
	s_barrier
	buffer_gl0_inv
	v_cmpx_eq_u32_e32 0, v0
	s_cbranch_execz .LBB10_38
; %bb.37:
	s_ashr_i32 s3, s2, 31
	s_mul_i32 s40, s7, s6
	s_lshl_b64 s[4:5], s[2:3], 2
	v_mov_b32_e32 v4, 0
	s_add_u32 s3, s22, s4
	s_addc_u32 s6, s23, s5
	s_ashr_i32 s41, s40, 31
	s_lshl_b64 s[22:23], s[40:41], 2
	s_add_u32 s3, s3, s22
	s_addc_u32 s6, s6, s23
	s_ashr_i32 s9, s8, 31
	s_lshl_b64 s[40:41], s[8:9], 2
	s_add_u32 s42, s3, s40
	s_addc_u32 s43, s6, s41
	s_add_u32 s3, s20, s4
	s_addc_u32 s4, s21, s5
	;; [unrolled: 2-line block ×4, first 2 shown]
	global_store_dword v4, v2, s[42:43]
	global_store_dword v4, v5, s[4:5]
.LBB10_38:
	s_or_b32 exec_lo, exec_lo, s1
	v_lshrrev_b32_e32 v42, 1, v1
	s_and_saveexec_b32 s1, s0
	s_xor_b32 s0, exec_lo, s1
; %bb.39:
	v_lshrrev_b32_e32 v42, 1, v1
                                        ; implicit-def: $vgpr41
                                        ; implicit-def: $vgpr37
                                        ; implicit-def: $vgpr3
; %bb.40:
	s_or_saveexec_b32 s3, s0
	v_mov_b32_e32 v52, 0
	v_and_b32_e32 v44, 1, v0
	v_mov_b32_e32 v51, 0
	v_mov_b32_e32 v50, 0
	;; [unrolled: 1-line block ×7, first 2 shown]
	s_xor_b32 exec_lo, exec_lo, s3
	s_cbranch_execz .LBB10_64
; %bb.41:
	s_ashr_i32 s15, s14, 31
	s_sub_i32 s4, s39, s17
	s_lshl_b64 s[0:1], s[14:15], 2
	v_and_b32_e32 v53, 4, v3
	s_add_u32 s5, s34, s0
	s_addc_u32 s6, s35, s1
	s_abs_i32 s9, s18
	v_or_b32_e32 v3, 0x70, v42
	v_cvt_f32_u32_e32 v1, s9
	s_sub_i32 s0, 0, s9
	v_lshlrev_b32_e32 v5, 4, v44
	s_add_i32 s36, s36, -1
	v_lshl_or_b32 v7, v42, 3, v53
	v_rcp_iflag_f32_e32 v4, v1
	v_lshlrev_b64 v[1:2], 2, v[37:38]
	v_cmp_gt_u32_e32 vcc_lo, 0x78, v3
	v_lshl_or_b32 v5, v40, 5, v5
	v_lshl_or_b32 v3, v3, 3, v53
	v_mov_b32_e32 v45, 0
	v_mov_b32_e32 v46, 0
	;; [unrolled: 1-line block ×5, first 2 shown]
	v_mul_f32_e32 v4, 0x4f7ffffe, v4
	v_mov_b32_e32 v50, 0
	v_mov_b32_e32 v51, 0
	v_add_nc_u32_e32 v54, 0x200, v5
	v_lshlrev_b32_e32 v55, 2, v7
	v_cvt_u32_f32_e32 v4, v4
	v_lshlrev_b32_e32 v56, 2, v3
	v_mov_b32_e32 v52, 0
	s_mov_b32 s14, s13
	s_mov_b32 s13, 0
	v_mul_lo_u32 v6, s0, v4
	s_lshl_b64 s[0:1], s[30:31], 2
	s_add_u32 s0, s28, s0
	s_addc_u32 s1, s29, s1
	v_add_co_u32 v38, s0, s0, v1
	v_add_co_ci_u32_e64 v39, null, s1, v2, s0
	v_mul_hi_u32 v6, v4, v6
	v_add_nc_u32_e32 v57, v4, v6
	s_branch .LBB10_45
.LBB10_42:                              ;   in Loop: Header=BB10_45 Depth=1
	s_or_b32 exec_lo, exec_lo, s1
	s_waitcnt vmcnt(0) lgkmcnt(0)
	v_mul_f32_e32 v33, v5, v33
	v_fmac_f32_e32 v33, v6, v34
	v_fmac_f32_e32 v33, v7, v35
	;; [unrolled: 1-line block ×3, first 2 shown]
	v_add_f32_e32 v45, v45, v33
.LBB10_43:                              ;   in Loop: Header=BB10_45 Depth=1
	s_or_b32 exec_lo, exec_lo, s17
	s_waitcnt vmcnt(0) lgkmcnt(0)
	v_mul_f32_e32 v29, v5, v29
	v_mul_f32_e32 v25, v5, v25
	v_mul_f32_e32 v21, v5, v21
	v_mul_f32_e32 v17, v5, v17
	v_mul_f32_e32 v13, v5, v13
	v_mul_f32_e32 v9, v5, v9
	v_mul_f32_e32 v1, v5, v1
	v_fmac_f32_e32 v29, v6, v30
	v_fmac_f32_e32 v25, v6, v26
	;; [unrolled: 1-line block ×21, first 2 shown]
	v_add_f32_e32 v46, v46, v29
	v_add_f32_e32 v47, v47, v25
	;; [unrolled: 1-line block ×7, first 2 shown]
.LBB10_44:                              ;   in Loop: Header=BB10_45 Depth=1
	s_or_b32 exec_lo, exec_lo, s15
	v_add_nc_u32_e32 v37, 4, v37
	v_add_co_u32 v38, s1, v38, 16
	v_add_co_ci_u32_e64 v39, null, 0, v39, s1
	v_cmp_le_i32_e64 s0, s16, v37
	v_add_nc_u32_e32 v41, 32, v41
	v_add_nc_u32_e32 v54, 0x80, v54
	s_or_b32 s13, s0, s13
	s_andn2_b32 exec_lo, exec_lo, s13
	s_cbranch_execz .LBB10_63
.LBB10_45:                              ; =>This Inner Loop Header: Depth=1
	v_sub_nc_u32_e32 v1, 0, v41
	v_max_i32_e32 v1, v41, v1
	v_mul_hi_u32 v2, v1, s12
	v_mul_lo_u32 v3, v2, s11
	v_sub_nc_u32_e32 v1, v1, v3
	v_add_nc_u32_e32 v3, 1, v2
	v_subrev_nc_u32_e32 v4, s11, v1
	v_cmp_le_u32_e64 s0, s11, v1
	v_cndmask_b32_e64 v2, v2, v3, s0
	v_cndmask_b32_e64 v1, v1, v4, s0
	v_ashrrev_i32_e32 v3, 31, v41
	v_add_nc_u32_e32 v4, 1, v2
	v_cmp_le_u32_e64 s0, s11, v1
	v_xor_b32_e32 v3, s19, v3
	v_cndmask_b32_e64 v1, v2, v4, s0
	v_xor_b32_e32 v1, v1, v3
	v_sub_nc_u32_e32 v1, v1, v3
	v_add_nc_u32_e32 v2, s33, v1
	v_cmp_lt_i32_e64 s1, s4, v1
	v_sub_nc_u32_e32 v3, 0, v2
	v_max_i32_e32 v3, v2, v3
	v_ashrrev_i32_e32 v2, 31, v2
	v_mul_hi_u32 v4, v3, v57
	v_mul_lo_u32 v4, v4, s9
	v_sub_nc_u32_e32 v3, v3, v4
	v_subrev_nc_u32_e32 v4, s9, v3
	v_cmp_le_u32_e64 s0, s9, v3
	v_cndmask_b32_e64 v3, v3, v4, s0
	v_subrev_nc_u32_e32 v4, s9, v3
	v_cmp_le_u32_e64 s0, s9, v3
	v_cndmask_b32_e64 v3, v3, v4, s0
	v_xor_b32_e32 v3, v3, v2
	v_sub_nc_u32_e32 v2, v3, v2
	v_cmp_eq_u32_e64 s0, 0, v2
	s_or_b32 s0, s0, s1
	s_and_saveexec_b32 s15, s0
	s_cbranch_execz .LBB10_44
; %bb.46:                               ;   in Loop: Header=BB10_45 Depth=1
	global_load_dword v1, v[38:39], off
	ds_read_b128 v[5:8], v54
	v_add_nc_u32_e32 v58, v53, v41
	s_waitcnt vmcnt(0)
	v_mad_i64_i32 v[1:2], null, v1, s14, 0
	v_lshlrev_b64 v[1:2], 2, v[1:2]
	v_add_co_u32 v33, s0, s5, v1
	v_add_co_ci_u32_e64 v34, null, s6, v2, s0
	v_add_co_u32 v21, s0, v33, v55
	v_add_co_ci_u32_e64 v22, null, 0, v34, s0
	v_cmp_eq_u32_e64 s0, s36, v37
	global_load_dwordx4 v[1:4], v[21:22], off
	s_and_saveexec_b32 s17, s0
	s_cbranch_execnz .LBB10_55
; %bb.47:                               ;   in Loop: Header=BB10_45 Depth=1
	s_or_b32 exec_lo, exec_lo, s17
	global_load_dwordx4 v[9:12], v[21:22], off offset:512
	s_and_saveexec_b32 s17, s0
	s_cbranch_execnz .LBB10_56
.LBB10_48:                              ;   in Loop: Header=BB10_45 Depth=1
	s_or_b32 exec_lo, exec_lo, s17
	global_load_dwordx4 v[13:16], v[21:22], off offset:1024
	s_and_saveexec_b32 s17, s0
	s_cbranch_execnz .LBB10_57
.LBB10_49:                              ;   in Loop: Header=BB10_45 Depth=1
	s_or_b32 exec_lo, exec_lo, s17
	global_load_dwordx4 v[17:20], v[21:22], off offset:1536
	s_and_saveexec_b32 s17, s0
	s_cbranch_execz .LBB10_51
.LBB10_50:                              ;   in Loop: Header=BB10_45 Depth=1
	v_add_nc_u32_e32 v23, 1, v58
	v_cmp_gt_i32_e64 s1, s27, v58
	v_add_nc_u32_e32 v24, 2, v58
	v_add_nc_u32_e32 v25, 3, v58
	s_waitcnt vmcnt(0)
	v_cndmask_b32_e64 v17, 0, v17, s1
	v_cmp_gt_i32_e64 s1, s27, v23
	v_cndmask_b32_e64 v18, 0, v18, s1
	v_cmp_gt_i32_e64 s1, s27, v24
	;; [unrolled: 2-line block ×3, first 2 shown]
	v_cndmask_b32_e64 v20, 0, v20, s1
.LBB10_51:                              ;   in Loop: Header=BB10_45 Depth=1
	s_or_b32 exec_lo, exec_lo, s17
	v_add_co_u32 v29, s1, 0x800, v21
	v_add_co_ci_u32_e64 v30, null, 0, v22, s1
	global_load_dwordx4 v[21:24], v[29:30], off
	s_and_saveexec_b32 s17, s0
	s_cbranch_execnz .LBB10_58
; %bb.52:                               ;   in Loop: Header=BB10_45 Depth=1
	s_or_b32 exec_lo, exec_lo, s17
	global_load_dwordx4 v[25:28], v[29:30], off offset:512
	s_and_saveexec_b32 s17, s0
	s_cbranch_execnz .LBB10_59
.LBB10_53:                              ;   in Loop: Header=BB10_45 Depth=1
	s_or_b32 exec_lo, exec_lo, s17
	global_load_dwordx4 v[29:32], v[29:30], off offset:1024
	s_and_saveexec_b32 s17, s0
	s_cbranch_execnz .LBB10_60
.LBB10_54:                              ;   in Loop: Header=BB10_45 Depth=1
	s_or_b32 exec_lo, exec_lo, s17
	s_and_saveexec_b32 s17, vcc_lo
	s_cbranch_execz .LBB10_43
	s_branch .LBB10_61
.LBB10_55:                              ;   in Loop: Header=BB10_45 Depth=1
	v_add_nc_u32_e32 v9, 1, v58
	v_cmp_gt_i32_e64 s1, s27, v58
	v_add_nc_u32_e32 v10, 2, v58
	v_add_nc_u32_e32 v11, 3, v58
	s_waitcnt vmcnt(0)
	v_cndmask_b32_e64 v1, 0, v1, s1
	v_cmp_gt_i32_e64 s1, s27, v9
	v_cndmask_b32_e64 v2, 0, v2, s1
	v_cmp_gt_i32_e64 s1, s27, v10
	;; [unrolled: 2-line block ×3, first 2 shown]
	v_cndmask_b32_e64 v4, 0, v4, s1
	s_or_b32 exec_lo, exec_lo, s17
	global_load_dwordx4 v[9:12], v[21:22], off offset:512
	s_and_saveexec_b32 s17, s0
	s_cbranch_execz .LBB10_48
.LBB10_56:                              ;   in Loop: Header=BB10_45 Depth=1
	v_add_nc_u32_e32 v13, 1, v58
	v_cmp_gt_i32_e64 s1, s27, v58
	v_add_nc_u32_e32 v14, 2, v58
	v_add_nc_u32_e32 v15, 3, v58
	s_waitcnt vmcnt(0)
	v_cndmask_b32_e64 v9, 0, v9, s1
	v_cmp_gt_i32_e64 s1, s27, v13
	v_cndmask_b32_e64 v10, 0, v10, s1
	v_cmp_gt_i32_e64 s1, s27, v14
	;; [unrolled: 2-line block ×3, first 2 shown]
	v_cndmask_b32_e64 v12, 0, v12, s1
	s_or_b32 exec_lo, exec_lo, s17
	global_load_dwordx4 v[13:16], v[21:22], off offset:1024
	s_and_saveexec_b32 s17, s0
	s_cbranch_execz .LBB10_49
.LBB10_57:                              ;   in Loop: Header=BB10_45 Depth=1
	v_add_nc_u32_e32 v17, 1, v58
	v_cmp_gt_i32_e64 s1, s27, v58
	v_add_nc_u32_e32 v18, 2, v58
	v_add_nc_u32_e32 v19, 3, v58
	s_waitcnt vmcnt(0)
	v_cndmask_b32_e64 v13, 0, v13, s1
	v_cmp_gt_i32_e64 s1, s27, v17
	v_cndmask_b32_e64 v14, 0, v14, s1
	v_cmp_gt_i32_e64 s1, s27, v18
	;; [unrolled: 2-line block ×3, first 2 shown]
	v_cndmask_b32_e64 v16, 0, v16, s1
	s_or_b32 exec_lo, exec_lo, s17
	global_load_dwordx4 v[17:20], v[21:22], off offset:1536
	s_and_saveexec_b32 s17, s0
	s_cbranch_execnz .LBB10_50
	s_branch .LBB10_51
.LBB10_58:                              ;   in Loop: Header=BB10_45 Depth=1
	v_add_nc_u32_e32 v25, 1, v58
	v_cmp_gt_i32_e64 s1, s27, v58
	v_add_nc_u32_e32 v26, 2, v58
	v_add_nc_u32_e32 v27, 3, v58
	s_waitcnt vmcnt(0)
	v_cndmask_b32_e64 v21, 0, v21, s1
	v_cmp_gt_i32_e64 s1, s27, v25
	v_cndmask_b32_e64 v22, 0, v22, s1
	v_cmp_gt_i32_e64 s1, s27, v26
	;; [unrolled: 2-line block ×3, first 2 shown]
	v_cndmask_b32_e64 v24, 0, v24, s1
	s_or_b32 exec_lo, exec_lo, s17
	global_load_dwordx4 v[25:28], v[29:30], off offset:512
	s_and_saveexec_b32 s17, s0
	s_cbranch_execz .LBB10_53
.LBB10_59:                              ;   in Loop: Header=BB10_45 Depth=1
	v_add_nc_u32_e32 v31, 1, v58
	v_cmp_gt_i32_e64 s1, s27, v58
	v_add_nc_u32_e32 v32, 2, v58
	v_add_nc_u32_e32 v35, 3, v58
	s_waitcnt vmcnt(0)
	v_cndmask_b32_e64 v25, 0, v25, s1
	v_cmp_gt_i32_e64 s1, s27, v31
	v_cndmask_b32_e64 v26, 0, v26, s1
	v_cmp_gt_i32_e64 s1, s27, v32
	;; [unrolled: 2-line block ×3, first 2 shown]
	v_cndmask_b32_e64 v28, 0, v28, s1
	s_or_b32 exec_lo, exec_lo, s17
	global_load_dwordx4 v[29:32], v[29:30], off offset:1024
	s_and_saveexec_b32 s17, s0
	s_cbranch_execz .LBB10_54
.LBB10_60:                              ;   in Loop: Header=BB10_45 Depth=1
	v_add_nc_u32_e32 v35, 1, v58
	v_cmp_gt_i32_e64 s1, s27, v58
	v_add_nc_u32_e32 v36, 2, v58
	v_add_nc_u32_e32 v59, 3, v58
	s_waitcnt vmcnt(0)
	v_cndmask_b32_e64 v29, 0, v29, s1
	v_cmp_gt_i32_e64 s1, s27, v35
	v_cndmask_b32_e64 v30, 0, v30, s1
	v_cmp_gt_i32_e64 s1, s27, v36
	;; [unrolled: 2-line block ×3, first 2 shown]
	v_cndmask_b32_e64 v32, 0, v32, s1
	s_or_b32 exec_lo, exec_lo, s17
	s_and_saveexec_b32 s17, vcc_lo
	s_cbranch_execz .LBB10_43
.LBB10_61:                              ;   in Loop: Header=BB10_45 Depth=1
	v_add_co_u32 v33, s1, v33, v56
	v_add_co_ci_u32_e64 v34, null, 0, v34, s1
	global_load_dwordx4 v[33:36], v[33:34], off
	s_and_saveexec_b32 s1, s0
	s_cbranch_execz .LBB10_42
; %bb.62:                               ;   in Loop: Header=BB10_45 Depth=1
	v_add_nc_u32_e32 v59, 1, v58
	v_cmp_gt_i32_e64 s0, s27, v58
	v_add_nc_u32_e32 v60, 2, v58
	v_add_nc_u32_e32 v58, 3, v58
	s_waitcnt vmcnt(0)
	v_cndmask_b32_e64 v33, 0, v33, s0
	v_cmp_gt_i32_e64 s0, s27, v59
	v_cndmask_b32_e64 v34, 0, v34, s0
	v_cmp_gt_i32_e64 s0, s27, v60
	;; [unrolled: 2-line block ×3, first 2 shown]
	v_cndmask_b32_e64 v36, 0, v36, s0
	s_branch .LBB10_42
.LBB10_63:
	s_or_b32 exec_lo, exec_lo, s13
.LBB10_64:
	s_or_b32 exec_lo, exec_lo, s3
	ds_bpermute_b32 v1, v43, v52
	ds_bpermute_b32 v3, v43, v51
	;; [unrolled: 1-line block ×8, first 2 shown]
	s_movk_i32 s0, 0x1e0
	v_and_b32_e32 v11, 0x3c0, v0
	v_mad_u32_u24 v9, v40, s0, 0x200
	s_mov_b32 s1, exec_lo
	v_cmp_eq_u32_e32 vcc_lo, 0, v44
	s_waitcnt lgkmcnt(0)
	s_waitcnt_vscnt null, 0x0
	s_barrier
	buffer_gl0_inv
	v_add_f32_e32 v2, v52, v1
	v_add_f32_e32 v3, v51, v3
	;; [unrolled: 1-line block ×8, first 2 shown]
	v_cmpx_eq_u32_e32 64, v11
	s_cbranch_execz .LBB10_69
; %bb.65:
	v_add_nc_u32_e32 v10, 0xfffffc40, v9
	s_and_saveexec_b32 s0, vcc_lo
	s_cbranch_execz .LBB10_67
; %bb.66:
	v_lshl_add_u32 v11, v42, 2, v10
	ds_write2_b32 v11, v2, v3 offset1:16
	ds_write2_b32 v11, v4, v5 offset0:32 offset1:48
	ds_write2_b32 v11, v6, v7 offset0:64 offset1:80
	ds_write_b32 v11, v8 offset:384
.LBB10_67:
	s_or_b32 exec_lo, exec_lo, s0
	v_or_b32_e32 v11, 0x70, v42
	v_cmp_gt_u32_e64 s0, 0x78, v11
	s_and_b32 s0, vcc_lo, s0
	s_and_b32 exec_lo, exec_lo, s0
; %bb.68:
	v_lshl_add_u32 v10, v11, 2, v10
	ds_write_b32 v10, v1
.LBB10_69:
	s_or_b32 exec_lo, exec_lo, s1
	s_mov_b32 s1, exec_lo
	s_waitcnt lgkmcnt(0)
	s_barrier
	buffer_gl0_inv
	v_cmpx_gt_u32_e32 64, v0
	s_cbranch_execz .LBB10_81
; %bb.70:
	s_and_saveexec_b32 s0, vcc_lo
	s_cbranch_execnz .LBB10_104
; %bb.71:
	s_or_b32 exec_lo, exec_lo, s0
	s_and_saveexec_b32 s0, vcc_lo
	s_cbranch_execnz .LBB10_105
.LBB10_72:
	s_or_b32 exec_lo, exec_lo, s0
	s_and_saveexec_b32 s0, vcc_lo
	s_cbranch_execnz .LBB10_106
.LBB10_73:
	s_or_b32 exec_lo, exec_lo, s0
	s_and_saveexec_b32 s0, vcc_lo
	s_cbranch_execnz .LBB10_107
.LBB10_74:
	s_or_b32 exec_lo, exec_lo, s0
	s_and_saveexec_b32 s0, vcc_lo
	s_cbranch_execnz .LBB10_108
.LBB10_75:
	s_or_b32 exec_lo, exec_lo, s0
	s_and_saveexec_b32 s0, vcc_lo
	s_cbranch_execnz .LBB10_109
.LBB10_76:
	s_or_b32 exec_lo, exec_lo, s0
	s_and_saveexec_b32 s0, vcc_lo
	s_cbranch_execz .LBB10_78
.LBB10_77:
	v_lshl_add_u32 v10, v42, 2, v9
	ds_read_b32 v10, v10 offset:384
	s_waitcnt lgkmcnt(0)
	v_add_f32_e32 v8, v8, v10
.LBB10_78:
	s_or_b32 exec_lo, exec_lo, s0
	v_or_b32_e32 v10, 0x70, v42
	v_cmp_gt_u32_e64 s0, 0x78, v10
	s_and_b32 s3, vcc_lo, s0
	s_and_saveexec_b32 s0, s3
	s_cbranch_execz .LBB10_80
; %bb.79:
	v_lshl_add_u32 v10, v42, 2, v9
	ds_read_b32 v10, v10 offset:448
	s_waitcnt lgkmcnt(0)
	v_add_f32_e32 v1, v1, v10
.LBB10_80:
	s_or_b32 exec_lo, exec_lo, s0
.LBB10_81:
	s_or_b32 exec_lo, exec_lo, s1
	v_and_b32_e32 v10, 0x3e0, v0
	s_mov_b32 s1, exec_lo
	s_barrier
	buffer_gl0_inv
	v_cmpx_eq_u32_e32 32, v10
	s_cbranch_execz .LBB10_86
; %bb.82:
	v_lshl_add_u32 v10, v42, 2, 0x200
	s_and_saveexec_b32 s0, vcc_lo
	s_cbranch_execz .LBB10_84
; %bb.83:
	ds_write2_b32 v10, v2, v3 offset1:16
	ds_write2_b32 v10, v4, v5 offset0:32 offset1:48
	ds_write2_b32 v10, v6, v7 offset0:64 offset1:80
	ds_write_b32 v10, v8 offset:384
.LBB10_84:
	s_or_b32 exec_lo, exec_lo, s0
	v_or_b32_e32 v11, 0x70, v42
	v_cmp_gt_u32_e64 s0, 0x78, v11
	s_and_b32 s0, vcc_lo, s0
	s_and_b32 exec_lo, exec_lo, s0
; %bb.85:
	ds_write_b32 v10, v1 offset:448
.LBB10_86:
	s_or_b32 exec_lo, exec_lo, s1
	v_cmp_gt_u32_e64 s0, 32, v0
	s_waitcnt lgkmcnt(0)
	s_barrier
	buffer_gl0_inv
	s_and_saveexec_b32 s3, s0
	s_cbranch_execz .LBB10_98
; %bb.87:
	v_lshl_add_u32 v9, v42, 2, v9
	s_and_saveexec_b32 s1, vcc_lo
	s_cbranch_execnz .LBB10_110
; %bb.88:
	s_or_b32 exec_lo, exec_lo, s1
	s_and_saveexec_b32 s1, vcc_lo
	s_cbranch_execnz .LBB10_111
.LBB10_89:
	s_or_b32 exec_lo, exec_lo, s1
	s_and_saveexec_b32 s1, vcc_lo
	s_cbranch_execnz .LBB10_112
.LBB10_90:
	s_or_b32 exec_lo, exec_lo, s1
	s_and_saveexec_b32 s1, vcc_lo
	s_cbranch_execnz .LBB10_113
.LBB10_91:
	s_or_b32 exec_lo, exec_lo, s1
	s_and_saveexec_b32 s1, vcc_lo
	s_cbranch_execnz .LBB10_114
.LBB10_92:
	s_or_b32 exec_lo, exec_lo, s1
	s_and_saveexec_b32 s1, vcc_lo
	s_cbranch_execnz .LBB10_115
.LBB10_93:
	s_or_b32 exec_lo, exec_lo, s1
	s_and_saveexec_b32 s1, vcc_lo
	s_cbranch_execz .LBB10_95
.LBB10_94:
	ds_read_b32 v10, v9 offset:384
	s_waitcnt lgkmcnt(0)
	v_add_f32_e32 v8, v8, v10
.LBB10_95:
	s_or_b32 exec_lo, exec_lo, s1
	v_or_b32_e32 v10, 0x70, v42
	v_cmp_gt_u32_e64 s1, 0x78, v10
	s_and_b32 s4, vcc_lo, s1
	s_and_saveexec_b32 s1, s4
	s_cbranch_execz .LBB10_97
; %bb.96:
	ds_read_b32 v9, v9 offset:448
	s_waitcnt lgkmcnt(0)
	v_add_f32_e32 v1, v1, v9
.LBB10_97:
	s_or_b32 exec_lo, exec_lo, s1
.LBB10_98:
	s_or_b32 exec_lo, exec_lo, s3
	s_barrier
	buffer_gl0_inv
	s_and_saveexec_b32 s1, s0
	s_cbranch_execz .LBB10_103
; %bb.99:
	s_mul_i32 s0, s2, 0x78
	s_mul_i32 s2, s7, s10
	s_ashr_i32 s1, s0, 31
	v_lshrrev_b32_e32 v9, 1, v0
	s_lshl_b64 s[0:1], s[0:1], 2
	s_add_u32 s4, s24, s0
	s_addc_u32 s1, s25, s1
	s_ashr_i32 s3, s2, 31
	s_mul_i32 s0, s8, 0x78
	s_lshl_b64 s[2:3], s[2:3], 2
	v_lshlrev_b32_e32 v0, 2, v9
	s_add_u32 s2, s4, s2
	s_addc_u32 s3, s1, s3
	s_ashr_i32 s1, s0, 31
	s_lshl_b64 s[0:1], s[0:1], 2
	s_add_u32 s2, s2, s0
	s_addc_u32 s3, s3, s1
	s_and_saveexec_b32 s0, vcc_lo
	s_cbranch_execz .LBB10_101
; %bb.100:
	global_store_dword v0, v2, s[2:3]
	global_store_dword v0, v3, s[2:3] offset:64
	global_store_dword v0, v4, s[2:3] offset:128
	;; [unrolled: 1-line block ×6, first 2 shown]
.LBB10_101:
	s_or_b32 exec_lo, exec_lo, s0
	v_or_b32_e32 v2, 0x70, v9
	v_cmp_gt_u32_e64 s0, 0x78, v2
	s_and_b32 s0, vcc_lo, s0
	s_and_b32 exec_lo, exec_lo, s0
	s_cbranch_execz .LBB10_103
; %bb.102:
	global_store_dword v0, v1, s[2:3] offset:448
.LBB10_103:
	s_endpgm
.LBB10_104:
	v_lshl_add_u32 v10, v42, 2, v9
	ds_read_b32 v10, v10
	s_waitcnt lgkmcnt(0)
	v_add_f32_e32 v2, v2, v10
	s_or_b32 exec_lo, exec_lo, s0
	s_and_saveexec_b32 s0, vcc_lo
	s_cbranch_execz .LBB10_72
.LBB10_105:
	v_lshl_add_u32 v10, v42, 2, v9
	ds_read_b32 v10, v10 offset:64
	s_waitcnt lgkmcnt(0)
	v_add_f32_e32 v3, v3, v10
	s_or_b32 exec_lo, exec_lo, s0
	s_and_saveexec_b32 s0, vcc_lo
	s_cbranch_execz .LBB10_73
.LBB10_106:
	v_lshl_add_u32 v10, v42, 2, v9
	ds_read_b32 v10, v10 offset:128
	s_waitcnt lgkmcnt(0)
	v_add_f32_e32 v4, v4, v10
	s_or_b32 exec_lo, exec_lo, s0
	s_and_saveexec_b32 s0, vcc_lo
	s_cbranch_execz .LBB10_74
.LBB10_107:
	v_lshl_add_u32 v10, v42, 2, v9
	ds_read_b32 v10, v10 offset:192
	s_waitcnt lgkmcnt(0)
	v_add_f32_e32 v5, v5, v10
	s_or_b32 exec_lo, exec_lo, s0
	s_and_saveexec_b32 s0, vcc_lo
	s_cbranch_execz .LBB10_75
.LBB10_108:
	v_lshl_add_u32 v10, v42, 2, v9
	ds_read_b32 v10, v10 offset:256
	s_waitcnt lgkmcnt(0)
	v_add_f32_e32 v6, v6, v10
	s_or_b32 exec_lo, exec_lo, s0
	s_and_saveexec_b32 s0, vcc_lo
	s_cbranch_execz .LBB10_76
.LBB10_109:
	v_lshl_add_u32 v10, v42, 2, v9
	ds_read_b32 v10, v10 offset:320
	s_waitcnt lgkmcnt(0)
	v_add_f32_e32 v7, v7, v10
	s_or_b32 exec_lo, exec_lo, s0
	s_and_saveexec_b32 s0, vcc_lo
	s_cbranch_execnz .LBB10_77
	s_branch .LBB10_78
.LBB10_110:
	ds_read_b32 v10, v9
	s_waitcnt lgkmcnt(0)
	v_add_f32_e32 v2, v2, v10
	s_or_b32 exec_lo, exec_lo, s1
	s_and_saveexec_b32 s1, vcc_lo
	s_cbranch_execz .LBB10_89
.LBB10_111:
	ds_read_b32 v10, v9 offset:64
	s_waitcnt lgkmcnt(0)
	v_add_f32_e32 v3, v3, v10
	s_or_b32 exec_lo, exec_lo, s1
	s_and_saveexec_b32 s1, vcc_lo
	s_cbranch_execz .LBB10_90
.LBB10_112:
	ds_read_b32 v10, v9 offset:128
	s_waitcnt lgkmcnt(0)
	v_add_f32_e32 v4, v4, v10
	s_or_b32 exec_lo, exec_lo, s1
	s_and_saveexec_b32 s1, vcc_lo
	s_cbranch_execz .LBB10_91
.LBB10_113:
	ds_read_b32 v10, v9 offset:192
	s_waitcnt lgkmcnt(0)
	v_add_f32_e32 v5, v5, v10
	s_or_b32 exec_lo, exec_lo, s1
	s_and_saveexec_b32 s1, vcc_lo
	s_cbranch_execz .LBB10_92
.LBB10_114:
	ds_read_b32 v10, v9 offset:256
	s_waitcnt lgkmcnt(0)
	v_add_f32_e32 v6, v6, v10
	s_or_b32 exec_lo, exec_lo, s1
	s_and_saveexec_b32 s1, vcc_lo
	s_cbranch_execz .LBB10_93
.LBB10_115:
	ds_read_b32 v10, v9 offset:320
	s_waitcnt lgkmcnt(0)
	v_add_f32_e32 v7, v7, v10
	s_or_b32 exec_lo, exec_lo, s1
	s_and_saveexec_b32 s1, vcc_lo
	s_cbranch_execnz .LBB10_94
	s_branch .LBB10_95
	.section	.rodata,"a",@progbits
	.p2align	6, 0x0
	.amdhsa_kernel _ZN4vllm25paged_attention_v2_kernelIffLi120ELi8ELi128ELNS_18Fp8KVCacheDataTypeE0ELb1ELi512EEEvPfS2_PT_PKS3_PKT0_S9_ifPKiSB_iPKfiiiSD_SD_iiiii
		.amdhsa_group_segment_fixed_size 512
		.amdhsa_private_segment_fixed_size 0
		.amdhsa_kernarg_size 400
		.amdhsa_user_sgpr_count 6
		.amdhsa_user_sgpr_private_segment_buffer 1
		.amdhsa_user_sgpr_dispatch_ptr 0
		.amdhsa_user_sgpr_queue_ptr 0
		.amdhsa_user_sgpr_kernarg_segment_ptr 1
		.amdhsa_user_sgpr_dispatch_id 0
		.amdhsa_user_sgpr_flat_scratch_init 0
		.amdhsa_user_sgpr_private_segment_size 0
		.amdhsa_wavefront_size32 1
		.amdhsa_uses_dynamic_stack 0
		.amdhsa_system_sgpr_private_segment_wavefront_offset 0
		.amdhsa_system_sgpr_workgroup_id_x 1
		.amdhsa_system_sgpr_workgroup_id_y 1
		.amdhsa_system_sgpr_workgroup_id_z 1
		.amdhsa_system_sgpr_workgroup_info 0
		.amdhsa_system_vgpr_workitem_id 0
		.amdhsa_next_free_vgpr 61
		.amdhsa_next_free_sgpr 46
		.amdhsa_reserve_vcc 1
		.amdhsa_reserve_flat_scratch 0
		.amdhsa_float_round_mode_32 0
		.amdhsa_float_round_mode_16_64 0
		.amdhsa_float_denorm_mode_32 3
		.amdhsa_float_denorm_mode_16_64 3
		.amdhsa_dx10_clamp 1
		.amdhsa_ieee_mode 1
		.amdhsa_fp16_overflow 0
		.amdhsa_workgroup_processor_mode 1
		.amdhsa_memory_ordered 1
		.amdhsa_forward_progress 1
		.amdhsa_shared_vgpr_count 0
		.amdhsa_exception_fp_ieee_invalid_op 0
		.amdhsa_exception_fp_denorm_src 0
		.amdhsa_exception_fp_ieee_div_zero 0
		.amdhsa_exception_fp_ieee_overflow 0
		.amdhsa_exception_fp_ieee_underflow 0
		.amdhsa_exception_fp_ieee_inexact 0
		.amdhsa_exception_int_div_zero 0
	.end_amdhsa_kernel
	.section	.text._ZN4vllm25paged_attention_v2_kernelIffLi120ELi8ELi128ELNS_18Fp8KVCacheDataTypeE0ELb1ELi512EEEvPfS2_PT_PKS3_PKT0_S9_ifPKiSB_iPKfiiiSD_SD_iiiii,"axG",@progbits,_ZN4vllm25paged_attention_v2_kernelIffLi120ELi8ELi128ELNS_18Fp8KVCacheDataTypeE0ELb1ELi512EEEvPfS2_PT_PKS3_PKT0_S9_ifPKiSB_iPKfiiiSD_SD_iiiii,comdat
.Lfunc_end10:
	.size	_ZN4vllm25paged_attention_v2_kernelIffLi120ELi8ELi128ELNS_18Fp8KVCacheDataTypeE0ELb1ELi512EEEvPfS2_PT_PKS3_PKT0_S9_ifPKiSB_iPKfiiiSD_SD_iiiii, .Lfunc_end10-_ZN4vllm25paged_attention_v2_kernelIffLi120ELi8ELi128ELNS_18Fp8KVCacheDataTypeE0ELb1ELi512EEEvPfS2_PT_PKS3_PKT0_S9_ifPKiSB_iPKfiiiSD_SD_iiiii
                                        ; -- End function
	.set _ZN4vllm25paged_attention_v2_kernelIffLi120ELi8ELi128ELNS_18Fp8KVCacheDataTypeE0ELb1ELi512EEEvPfS2_PT_PKS3_PKT0_S9_ifPKiSB_iPKfiiiSD_SD_iiiii.num_vgpr, 61
	.set _ZN4vllm25paged_attention_v2_kernelIffLi120ELi8ELi128ELNS_18Fp8KVCacheDataTypeE0ELb1ELi512EEEvPfS2_PT_PKS3_PKT0_S9_ifPKiSB_iPKfiiiSD_SD_iiiii.num_agpr, 0
	.set _ZN4vllm25paged_attention_v2_kernelIffLi120ELi8ELi128ELNS_18Fp8KVCacheDataTypeE0ELb1ELi512EEEvPfS2_PT_PKS3_PKT0_S9_ifPKiSB_iPKfiiiSD_SD_iiiii.numbered_sgpr, 46
	.set _ZN4vllm25paged_attention_v2_kernelIffLi120ELi8ELi128ELNS_18Fp8KVCacheDataTypeE0ELb1ELi512EEEvPfS2_PT_PKS3_PKT0_S9_ifPKiSB_iPKfiiiSD_SD_iiiii.num_named_barrier, 0
	.set _ZN4vllm25paged_attention_v2_kernelIffLi120ELi8ELi128ELNS_18Fp8KVCacheDataTypeE0ELb1ELi512EEEvPfS2_PT_PKS3_PKT0_S9_ifPKiSB_iPKfiiiSD_SD_iiiii.private_seg_size, 0
	.set _ZN4vllm25paged_attention_v2_kernelIffLi120ELi8ELi128ELNS_18Fp8KVCacheDataTypeE0ELb1ELi512EEEvPfS2_PT_PKS3_PKT0_S9_ifPKiSB_iPKfiiiSD_SD_iiiii.uses_vcc, 1
	.set _ZN4vllm25paged_attention_v2_kernelIffLi120ELi8ELi128ELNS_18Fp8KVCacheDataTypeE0ELb1ELi512EEEvPfS2_PT_PKS3_PKT0_S9_ifPKiSB_iPKfiiiSD_SD_iiiii.uses_flat_scratch, 0
	.set _ZN4vllm25paged_attention_v2_kernelIffLi120ELi8ELi128ELNS_18Fp8KVCacheDataTypeE0ELb1ELi512EEEvPfS2_PT_PKS3_PKT0_S9_ifPKiSB_iPKfiiiSD_SD_iiiii.has_dyn_sized_stack, 0
	.set _ZN4vllm25paged_attention_v2_kernelIffLi120ELi8ELi128ELNS_18Fp8KVCacheDataTypeE0ELb1ELi512EEEvPfS2_PT_PKS3_PKT0_S9_ifPKiSB_iPKfiiiSD_SD_iiiii.has_recursion, 0
	.set _ZN4vllm25paged_attention_v2_kernelIffLi120ELi8ELi128ELNS_18Fp8KVCacheDataTypeE0ELb1ELi512EEEvPfS2_PT_PKS3_PKT0_S9_ifPKiSB_iPKfiiiSD_SD_iiiii.has_indirect_call, 0
	.section	.AMDGPU.csdata,"",@progbits
; Kernel info:
; codeLenInByte = 6276
; TotalNumSgprs: 48
; NumVgprs: 61
; ScratchSize: 0
; MemoryBound: 0
; FloatMode: 240
; IeeeMode: 1
; LDSByteSize: 512 bytes/workgroup (compile time only)
; SGPRBlocks: 0
; VGPRBlocks: 7
; NumSGPRsForWavesPerEU: 48
; NumVGPRsForWavesPerEU: 61
; Occupancy: 16
; WaveLimiterHint : 1
; COMPUTE_PGM_RSRC2:SCRATCH_EN: 0
; COMPUTE_PGM_RSRC2:USER_SGPR: 6
; COMPUTE_PGM_RSRC2:TRAP_HANDLER: 0
; COMPUTE_PGM_RSRC2:TGID_X_EN: 1
; COMPUTE_PGM_RSRC2:TGID_Y_EN: 1
; COMPUTE_PGM_RSRC2:TGID_Z_EN: 1
; COMPUTE_PGM_RSRC2:TIDIG_COMP_CNT: 0
	.section	.text._ZN4vllm32paged_attention_v2_reduce_kernelIfLi120ELi128ELi512EEEvPT_PKfS4_PKS1_PKii,"axG",@progbits,_ZN4vllm32paged_attention_v2_reduce_kernelIfLi120ELi128ELi512EEEvPT_PKfS4_PKS1_PKii,comdat
	.protected	_ZN4vllm32paged_attention_v2_reduce_kernelIfLi120ELi128ELi512EEEvPT_PKfS4_PKS1_PKii ; -- Begin function _ZN4vllm32paged_attention_v2_reduce_kernelIfLi120ELi128ELi512EEEvPT_PKfS4_PKS1_PKii
	.globl	_ZN4vllm32paged_attention_v2_reduce_kernelIfLi120ELi128ELi512EEEvPT_PKfS4_PKS1_PKii
	.p2align	8
	.type	_ZN4vllm32paged_attention_v2_reduce_kernelIfLi120ELi128ELi512EEEvPT_PKfS4_PKS1_PKii,@function
_ZN4vllm32paged_attention_v2_reduce_kernelIfLi120ELi128ELi512EEEvPT_PKfS4_PKS1_PKii: ; @_ZN4vllm32paged_attention_v2_reduce_kernelIfLi120ELi128ELi512EEEvPT_PKfS4_PKS1_PKii
; %bb.0:
	s_load_dwordx4 s[8:11], s[4:5], 0x18
	s_add_u32 s12, s4, 48
	s_mov_b32 s14, s7
	s_addc_u32 s13, s5, 0
	s_ashr_i32 s15, s7, 31
	s_lshl_b64 s[0:1], s[14:15], 2
	s_waitcnt lgkmcnt(0)
	s_add_u32 s0, s10, s0
	s_addc_u32 s1, s11, s1
	s_load_dword s22, s[0:1], 0x0
	s_clause 0x2
	s_load_dwordx2 s[10:11], s[4:5], 0x0
	s_load_dword s7, s[4:5], 0x28
	s_load_dword s15, s[4:5], 0x30
	s_waitcnt lgkmcnt(0)
	s_add_i32 s0, s22, -1
	s_cmpk_gt_u32 s0, 0x1ff
	s_mov_b32 s0, -1
	s_cbranch_scc0 .LBB11_25
; %bb.1:
	s_load_dwordx2 s[2:3], s[4:5], 0x8
	s_add_i32 s0, s22, 0x1ff
	s_mul_i32 s20, s15, s14
	s_ashr_i32 s1, s0, 31
	v_mov_b32_e32 v3, 0xff7fffff
	s_lshr_b32 s1, s1, 23
	s_mul_i32 s16, s20, s7
	s_add_i32 s0, s0, s1
	s_mul_i32 s18, s7, s6
	s_ashr_i32 s21, s0, 9
	s_ashr_i32 s17, s16, 31
	v_cmp_gt_i32_e32 vcc_lo, s21, v0
	s_ashr_i32 s19, s18, 31
	s_and_saveexec_b32 s1, vcc_lo
	s_cbranch_execz .LBB11_5
; %bb.2:
	s_load_dword s0, s[12:13], 0xc
	s_load_dwordx2 s[24:25], s[4:5], 0x10
	s_lshl_b64 s[26:27], s[16:17], 2
	s_lshl_b64 s[28:29], s[18:19], 2
	v_lshlrev_b32_e32 v1, 2, v0
	v_mov_b32_e32 v3, 0xff7fffff
	v_mov_b32_e32 v5, v0
	v_add_nc_u32_e32 v4, 32, v1
	s_waitcnt lgkmcnt(0)
	s_and_b32 s4, s0, 0xffff
	s_add_u32 s0, s26, s28
	s_addc_u32 s5, s27, s29
	s_add_u32 s0, s24, s0
	s_addc_u32 s5, s25, s5
	v_add_co_u32 v1, s0, s0, v1
	v_add_co_ci_u32_e64 v2, null, s5, 0, s0
	s_mov_b32 s5, 0
	s_lshl_b32 s23, s4, 2
	.p2align	6
.LBB11_3:                               ; =>This Inner Loop Header: Depth=1
	global_load_dword v6, v[1:2], off
	v_add_nc_u32_e32 v5, s4, v5
	v_max_f32_e32 v3, v3, v3
	v_add_co_u32 v1, s0, v1, s23
	v_add_co_ci_u32_e64 v2, null, 0, v2, s0
	v_cmp_le_i32_e64 s0, s21, v5
	s_or_b32 s5, s0, s5
	s_waitcnt vmcnt(0)
	v_max_f32_e32 v7, v6, v6
	ds_write_b32 v4, v6
	v_add_nc_u32_e32 v4, s23, v4
	v_max_f32_e32 v3, v3, v7
	s_andn2_b32 exec_lo, exec_lo, s5
	s_cbranch_execnz .LBB11_3
; %bb.4:
	s_or_b32 exec_lo, exec_lo, s5
.LBB11_5:
	s_or_b32 exec_lo, exec_lo, s1
	v_mbcnt_lo_u32_b32 v1, -1, 0
	s_waitcnt lgkmcnt(0)
	s_barrier
	buffer_gl0_inv
	v_xor_b32_e32 v2, 16, v1
	v_xor_b32_e32 v4, 8, v1
	v_cmp_gt_i32_e64 s0, 32, v2
	v_cndmask_b32_e64 v2, v1, v2, s0
	v_cmp_gt_i32_e64 s0, 32, v4
	v_lshlrev_b32_e32 v5, 2, v2
	v_cndmask_b32_e64 v4, v1, v4, s0
	ds_bpermute_b32 v2, v5, v3
	v_max_f32_e32 v3, v3, v3
	v_lshlrev_b32_e32 v6, 2, v4
	v_xor_b32_e32 v4, 4, v1
	v_cmp_gt_i32_e64 s0, 32, v4
	v_cndmask_b32_e64 v4, v1, v4, s0
	v_lshlrev_b32_e32 v7, 2, v4
	v_xor_b32_e32 v4, 2, v1
	s_waitcnt lgkmcnt(0)
	v_max_f32_e32 v2, v2, v2
	v_cmp_gt_i32_e64 s0, 32, v4
	v_max_f32_e32 v2, v3, v2
	v_cndmask_b32_e64 v4, v1, v4, s0
	ds_bpermute_b32 v3, v6, v2
	s_waitcnt lgkmcnt(0)
	v_max_f32_e32 v3, v3, v3
	v_max_f32_e32 v2, v2, v3
	ds_bpermute_b32 v3, v7, v2
	s_waitcnt lgkmcnt(0)
	v_max_f32_e32 v8, v3, v3
	v_lshlrev_b32_e32 v3, 2, v4
	v_max_f32_e32 v2, v2, v8
	v_xor_b32_e32 v8, 1, v1
	ds_bpermute_b32 v4, v3, v2
	v_cmp_gt_i32_e64 s0, 32, v8
	v_cndmask_b32_e64 v1, v1, v8, s0
	v_lshrrev_b32_e32 v8, 5, v0
	v_lshlrev_b32_e32 v8, 2, v8
	s_waitcnt lgkmcnt(0)
	v_max_f32_e32 v4, v4, v4
	v_max_f32_e32 v2, v2, v4
	v_lshlrev_b32_e32 v4, 2, v1
	v_and_b32_e32 v1, 31, v0
	ds_bpermute_b32 v9, v4, v2
	v_cmp_eq_u32_e64 s0, 0, v1
	s_and_saveexec_b32 s1, s0
	s_cbranch_execz .LBB11_7
; %bb.6:
	s_waitcnt lgkmcnt(0)
	v_max_f32_e32 v9, v9, v9
	v_max_f32_e32 v2, v2, v2
	;; [unrolled: 1-line block ×3, first 2 shown]
	ds_write_b32 v8, v2
.LBB11_7:
	s_or_b32 exec_lo, exec_lo, s1
	v_cmp_gt_u32_e64 s1, 4, v1
	v_mov_b32_e32 v2, 0xff7fffff
	s_waitcnt lgkmcnt(0)
	v_lshlrev_b32_e32 v9, 2, v1
	s_barrier
	buffer_gl0_inv
	s_and_saveexec_b32 s4, s1
; %bb.8:
	ds_read_b32 v2, v9
; %bb.9:
	s_or_b32 exec_lo, exec_lo, s4
	s_waitcnt lgkmcnt(0)
	ds_bpermute_b32 v1, v3, v2
	v_max_f32_e32 v2, v2, v2
	v_mov_b32_e32 v10, 0
	s_lshl_b32 s4, s21, 2
	s_waitcnt lgkmcnt(0)
	v_max_f32_e32 v1, v1, v1
	v_max_f32_e32 v1, v2, v1
	ds_bpermute_b32 v2, v4, v1
	s_waitcnt lgkmcnt(0)
	v_max_f32_e32 v2, v2, v2
	v_max_f32_e32 v1, v1, v2
	ds_bpermute_b32 v11, v10, v1
	s_and_saveexec_b32 s5, vcc_lo
	s_cbranch_execz .LBB11_13
; %bb.10:
	s_load_dword s23, s[12:13], 0xc
	s_lshl_b64 s[24:25], s[16:17], 2
	s_lshl_b64 s[26:27], s[18:19], 2
	v_lshlrev_b32_e32 v1, 2, v0
	v_mov_b32_e32 v10, 0
	v_mov_b32_e32 v13, v0
	v_add_nc_u32_e32 v12, 32, v1
	s_waitcnt lgkmcnt(0)
	s_and_b32 s17, s23, 0xffff
	s_add_u32 s19, s24, s26
	s_addc_u32 s23, s25, s27
	s_add_u32 s2, s2, s19
	s_addc_u32 s3, s3, s23
	v_add_co_u32 v1, s2, s2, v1
	v_add_co_ci_u32_e64 v2, null, s3, 0, s2
	s_mov_b32 s3, 0
	s_lshl_b32 s19, s17, 2
	s_inst_prefetch 0x1
	.p2align	6
.LBB11_11:                              ; =>This Inner Loop Header: Depth=1
	global_load_dword v14, v[1:2], off
	ds_read_b32 v15, v12
	v_add_nc_u32_e32 v13, s17, v13
	s_waitcnt lgkmcnt(0)
	v_sub_f32_e32 v15, v15, v11
	v_mul_f32_e32 v16, 0x3fb8aa3b, v15
	v_cmp_ngt_f32_e32 vcc_lo, 0xc2ce8ed0, v15
	v_cmp_nlt_f32_e64 s2, 0x42b17218, v15
	v_fma_f32 v17, 0x3fb8aa3b, v15, -v16
	v_rndne_f32_e32 v18, v16
	v_fmac_f32_e32 v17, 0x32a5705f, v15
	v_sub_f32_e32 v16, v16, v18
	v_add_f32_e32 v16, v16, v17
	v_cvt_i32_f32_e32 v17, v18
	v_exp_f32_e32 v16, v16
	v_ldexp_f32 v16, v16, v17
	v_add_nc_u32_e32 v17, s4, v12
	v_add_nc_u32_e32 v12, s19, v12
	v_cndmask_b32_e32 v16, 0, v16, vcc_lo
	v_add_co_u32 v1, vcc_lo, v1, s19
	v_add_co_ci_u32_e64 v2, null, 0, v2, vcc_lo
	v_cndmask_b32_e64 v15, 0x7f800000, v16, s2
	v_cmp_le_i32_e32 vcc_lo, s21, v13
	s_or_b32 s3, vcc_lo, s3
	s_waitcnt vmcnt(0)
	v_mul_f32_e32 v16, v14, v15
	v_fmac_f32_e32 v10, v14, v15
	ds_write_b32 v17, v16
	s_andn2_b32 exec_lo, exec_lo, s3
	s_cbranch_execnz .LBB11_11
; %bb.12:
	s_inst_prefetch 0x2
	s_or_b32 exec_lo, exec_lo, s3
.LBB11_13:
	s_or_b32 exec_lo, exec_lo, s5
	ds_bpermute_b32 v1, v5, v10
	s_waitcnt lgkmcnt(0)
	s_barrier
	buffer_gl0_inv
	v_add_f32_e32 v1, v10, v1
	ds_bpermute_b32 v2, v6, v1
	s_waitcnt lgkmcnt(0)
	v_add_f32_e32 v1, v1, v2
	ds_bpermute_b32 v2, v7, v1
	s_waitcnt lgkmcnt(0)
	;; [unrolled: 3-line block ×4, first 2 shown]
	v_add_f32_e32 v1, v1, v2
	s_and_saveexec_b32 s2, s0
; %bb.14:
	ds_write_b32 v8, v1 offset:16
; %bb.15:
	s_or_b32 exec_lo, exec_lo, s2
	s_waitcnt lgkmcnt(0)
	s_barrier
	buffer_gl0_inv
	s_and_saveexec_b32 s0, s1
; %bb.16:
	ds_read_b32 v1, v9 offset:16
; %bb.17:
	s_or_b32 exec_lo, exec_lo, s0
	s_waitcnt lgkmcnt(0)
	ds_bpermute_b32 v2, v3, v1
	s_mov_b32 s0, exec_lo
	s_waitcnt lgkmcnt(0)
	v_add_f32_e32 v1, v1, v2
	ds_bpermute_b32 v2, v4, v1
	s_waitcnt lgkmcnt(0)
	v_add_f32_e32 v1, v1, v2
	v_mov_b32_e32 v2, 0
	ds_bpermute_b32 v2, v2, v1
	v_cmpx_gt_u32_e32 0x78, v0
	s_cbranch_execz .LBB11_24
; %bb.18:
	s_cmp_gt_i32 s22, 0
	s_mov_b32 s1, 0
	s_cbranch_scc1 .LBB11_20
; %bb.19:
	v_mov_b32_e32 v1, 0
	v_mov_b32_e32 v4, 0
	s_andn2_b32 vcc_lo, exec_lo, s1
	s_cbranch_vccz .LBB11_21
	s_branch .LBB11_23
.LBB11_20:
	v_mov_b32_e32 v4, 0
.LBB11_21:
	s_waitcnt lgkmcnt(0)
	v_add_f32_e32 v4, 0x358637bd, v2
	s_mulk_i32 s16, 0x78
	s_mulk_i32 s18, 0x78
	s_ashr_i32 s17, s16, 31
	s_ashr_i32 s19, s18, 31
	v_div_scale_f32 v2, null, v4, v4, 1.0
	v_div_scale_f32 v5, vcc_lo, 1.0, v4, 1.0
	s_add_i32 s2, s4, 32
	v_rcp_f32_e32 v3, v2
	s_lshl_b64 s[4:5], s[16:17], 2
	s_lshl_b64 s[16:17], s[18:19], 2
	s_max_i32 s1, s21, 1
	s_add_u32 s3, s4, s16
	s_addc_u32 s4, s5, s17
	s_add_u32 s3, s8, s3
	s_addc_u32 s4, s9, s4
	v_fma_f32 v1, -v2, v3, 1.0
	v_fmac_f32_e32 v3, v1, v3
	v_mov_b32_e32 v1, 0
	v_mul_f32_e32 v6, v5, v3
	v_fma_f32 v7, -v2, v6, v5
	v_fmac_f32_e32 v6, v7, v3
	v_lshlrev_b32_e32 v7, 2, v0
	v_fma_f32 v2, -v2, v6, v5
	v_div_fmas_f32 v5, v2, v3, v6
	v_add_co_u32 v2, s3, s3, v7
	v_add_co_ci_u32_e64 v3, null, s4, 0, s3
	v_div_fixup_f32 v5, v5, v4, 1.0
	v_mov_b32_e32 v4, v1
.LBB11_22:                              ; =>This Inner Loop Header: Depth=1
	global_load_dword v6, v[2:3], off
	v_mov_b32_e32 v7, s2
	v_add_co_u32 v2, vcc_lo, 0x1e0, v2
	v_add_co_ci_u32_e64 v3, null, 0, v3, vcc_lo
	ds_read_b32 v7, v7
	s_add_i32 s1, s1, -1
	s_add_i32 s2, s2, 4
	s_cmp_eq_u32 s1, 0
	s_waitcnt vmcnt(0) lgkmcnt(0)
	v_mul_f32_e32 v6, v6, v7
	v_fmac_f32_e32 v4, v5, v6
	s_cbranch_scc0 .LBB11_22
.LBB11_23:
	s_mul_i32 s2, s20, 0x78
	s_mul_i32 s4, s6, 0x78
	s_ashr_i32 s3, s2, 31
	s_waitcnt lgkmcnt(0)
	v_lshlrev_b64 v[1:2], 2, v[0:1]
	s_lshl_b64 s[2:3], s[2:3], 2
	s_add_u32 s1, s10, s2
	s_addc_u32 s16, s11, s3
	s_ashr_i32 s5, s4, 31
	s_lshl_b64 s[2:3], s[4:5], 2
	s_add_u32 s1, s1, s2
	s_addc_u32 s2, s16, s3
	v_add_co_u32 v1, vcc_lo, s1, v1
	v_add_co_ci_u32_e64 v2, null, s2, v2, vcc_lo
	global_store_dword v[1:2], v4, off
.LBB11_24:
	s_or_b32 exec_lo, exec_lo, s0
	s_mov_b32 s0, 0
.LBB11_25:
	s_and_b32 vcc_lo, exec_lo, s0
	s_cbranch_vccz .LBB11_29
; %bb.26:
	s_mov_b32 s0, exec_lo
	v_cmpx_gt_u32_e32 0x78, v0
	s_cbranch_execz .LBB11_29
; %bb.27:
	s_mul_i32 s0, s15, s14
	s_mul_i32 s4, s6, 0x78
	s_mulk_i32 s0, 0x78
	s_load_dword s6, s[12:13], 0xc
	s_ashr_i32 s1, s0, 31
	v_lshlrev_b32_e32 v1, 2, v0
	s_lshl_b64 s[2:3], s[0:1], 2
	s_waitcnt lgkmcnt(0)
	v_mov_b32_e32 v2, 0
	s_add_u32 s1, s10, s2
	s_addc_u32 s11, s11, s3
	s_ashr_i32 s5, s4, 31
	s_mul_i32 s10, s0, s7
	s_lshl_b64 s[2:3], s[4:5], 2
	s_mul_i32 s4, s4, s7
	s_add_u32 s1, s1, s2
	s_addc_u32 s2, s11, s3
	s_ashr_i32 s11, s10, 31
	s_lshl_b64 s[10:11], s[10:11], 2
	s_add_u32 s0, s8, s10
	s_addc_u32 s7, s9, s11
	s_ashr_i32 s5, s4, 31
	s_lshl_b64 s[4:5], s[4:5], 2
	s_add_u32 s3, s0, s4
	s_addc_u32 s4, s7, s5
	s_and_b32 s5, s6, 0xffff
	s_mov_b32 s6, 0
	s_lshl_b32 s7, s5, 2
	.p2align	6
.LBB11_28:                              ; =>This Inner Loop Header: Depth=1
	v_add_co_u32 v3, vcc_lo, s3, v1
	v_add_co_ci_u32_e64 v4, null, s4, v2, vcc_lo
	v_add_nc_u32_e32 v0, s5, v0
	global_load_dword v5, v[3:4], off
	v_add_co_u32 v3, vcc_lo, s1, v1
	v_add_co_ci_u32_e64 v4, null, s2, v2, vcc_lo
	v_cmp_lt_u32_e32 vcc_lo, 0x77, v0
	v_add_co_u32 v1, s0, v1, s7
	v_add_co_ci_u32_e64 v2, null, 0, v2, s0
	s_or_b32 s6, vcc_lo, s6
	s_waitcnt vmcnt(0)
	global_store_dword v[3:4], v5, off
	s_andn2_b32 exec_lo, exec_lo, s6
	s_cbranch_execnz .LBB11_28
.LBB11_29:
	s_endpgm
	.section	.rodata,"a",@progbits
	.p2align	6, 0x0
	.amdhsa_kernel _ZN4vllm32paged_attention_v2_reduce_kernelIfLi120ELi128ELi512EEEvPT_PKfS4_PKS1_PKii
		.amdhsa_group_segment_fixed_size 32
		.amdhsa_private_segment_fixed_size 0
		.amdhsa_kernarg_size 304
		.amdhsa_user_sgpr_count 6
		.amdhsa_user_sgpr_private_segment_buffer 1
		.amdhsa_user_sgpr_dispatch_ptr 0
		.amdhsa_user_sgpr_queue_ptr 0
		.amdhsa_user_sgpr_kernarg_segment_ptr 1
		.amdhsa_user_sgpr_dispatch_id 0
		.amdhsa_user_sgpr_flat_scratch_init 0
		.amdhsa_user_sgpr_private_segment_size 0
		.amdhsa_wavefront_size32 1
		.amdhsa_uses_dynamic_stack 0
		.amdhsa_system_sgpr_private_segment_wavefront_offset 0
		.amdhsa_system_sgpr_workgroup_id_x 1
		.amdhsa_system_sgpr_workgroup_id_y 1
		.amdhsa_system_sgpr_workgroup_id_z 0
		.amdhsa_system_sgpr_workgroup_info 0
		.amdhsa_system_vgpr_workitem_id 0
		.amdhsa_next_free_vgpr 19
		.amdhsa_next_free_sgpr 30
		.amdhsa_reserve_vcc 1
		.amdhsa_reserve_flat_scratch 0
		.amdhsa_float_round_mode_32 0
		.amdhsa_float_round_mode_16_64 0
		.amdhsa_float_denorm_mode_32 3
		.amdhsa_float_denorm_mode_16_64 3
		.amdhsa_dx10_clamp 1
		.amdhsa_ieee_mode 1
		.amdhsa_fp16_overflow 0
		.amdhsa_workgroup_processor_mode 1
		.amdhsa_memory_ordered 1
		.amdhsa_forward_progress 1
		.amdhsa_shared_vgpr_count 0
		.amdhsa_exception_fp_ieee_invalid_op 0
		.amdhsa_exception_fp_denorm_src 0
		.amdhsa_exception_fp_ieee_div_zero 0
		.amdhsa_exception_fp_ieee_overflow 0
		.amdhsa_exception_fp_ieee_underflow 0
		.amdhsa_exception_fp_ieee_inexact 0
		.amdhsa_exception_int_div_zero 0
	.end_amdhsa_kernel
	.section	.text._ZN4vllm32paged_attention_v2_reduce_kernelIfLi120ELi128ELi512EEEvPT_PKfS4_PKS1_PKii,"axG",@progbits,_ZN4vllm32paged_attention_v2_reduce_kernelIfLi120ELi128ELi512EEEvPT_PKfS4_PKS1_PKii,comdat
.Lfunc_end11:
	.size	_ZN4vllm32paged_attention_v2_reduce_kernelIfLi120ELi128ELi512EEEvPT_PKfS4_PKS1_PKii, .Lfunc_end11-_ZN4vllm32paged_attention_v2_reduce_kernelIfLi120ELi128ELi512EEEvPT_PKfS4_PKS1_PKii
                                        ; -- End function
	.set _ZN4vllm32paged_attention_v2_reduce_kernelIfLi120ELi128ELi512EEEvPT_PKfS4_PKS1_PKii.num_vgpr, 19
	.set _ZN4vllm32paged_attention_v2_reduce_kernelIfLi120ELi128ELi512EEEvPT_PKfS4_PKS1_PKii.num_agpr, 0
	.set _ZN4vllm32paged_attention_v2_reduce_kernelIfLi120ELi128ELi512EEEvPT_PKfS4_PKS1_PKii.numbered_sgpr, 30
	.set _ZN4vllm32paged_attention_v2_reduce_kernelIfLi120ELi128ELi512EEEvPT_PKfS4_PKS1_PKii.num_named_barrier, 0
	.set _ZN4vllm32paged_attention_v2_reduce_kernelIfLi120ELi128ELi512EEEvPT_PKfS4_PKS1_PKii.private_seg_size, 0
	.set _ZN4vllm32paged_attention_v2_reduce_kernelIfLi120ELi128ELi512EEEvPT_PKfS4_PKS1_PKii.uses_vcc, 1
	.set _ZN4vllm32paged_attention_v2_reduce_kernelIfLi120ELi128ELi512EEEvPT_PKfS4_PKS1_PKii.uses_flat_scratch, 0
	.set _ZN4vllm32paged_attention_v2_reduce_kernelIfLi120ELi128ELi512EEEvPT_PKfS4_PKS1_PKii.has_dyn_sized_stack, 0
	.set _ZN4vllm32paged_attention_v2_reduce_kernelIfLi120ELi128ELi512EEEvPT_PKfS4_PKS1_PKii.has_recursion, 0
	.set _ZN4vllm32paged_attention_v2_reduce_kernelIfLi120ELi128ELi512EEEvPT_PKfS4_PKS1_PKii.has_indirect_call, 0
	.section	.AMDGPU.csdata,"",@progbits
; Kernel info:
; codeLenInByte = 2016
; TotalNumSgprs: 32
; NumVgprs: 19
; ScratchSize: 0
; MemoryBound: 0
; FloatMode: 240
; IeeeMode: 1
; LDSByteSize: 32 bytes/workgroup (compile time only)
; SGPRBlocks: 0
; VGPRBlocks: 2
; NumSGPRsForWavesPerEU: 32
; NumVGPRsForWavesPerEU: 19
; Occupancy: 16
; WaveLimiterHint : 0
; COMPUTE_PGM_RSRC2:SCRATCH_EN: 0
; COMPUTE_PGM_RSRC2:USER_SGPR: 6
; COMPUTE_PGM_RSRC2:TRAP_HANDLER: 0
; COMPUTE_PGM_RSRC2:TGID_X_EN: 1
; COMPUTE_PGM_RSRC2:TGID_Y_EN: 1
; COMPUTE_PGM_RSRC2:TGID_Z_EN: 0
; COMPUTE_PGM_RSRC2:TIDIG_COMP_CNT: 0
	.section	.text._ZN4vllm25paged_attention_v2_kernelIffLi128ELi8ELi128ELNS_18Fp8KVCacheDataTypeE0ELb1ELi512EEEvPfS2_PT_PKS3_PKT0_S9_ifPKiSB_iPKfiiiSD_SD_iiiii,"axG",@progbits,_ZN4vllm25paged_attention_v2_kernelIffLi128ELi8ELi128ELNS_18Fp8KVCacheDataTypeE0ELb1ELi512EEEvPfS2_PT_PKS3_PKT0_S9_ifPKiSB_iPKfiiiSD_SD_iiiii,comdat
	.protected	_ZN4vllm25paged_attention_v2_kernelIffLi128ELi8ELi128ELNS_18Fp8KVCacheDataTypeE0ELb1ELi512EEEvPfS2_PT_PKS3_PKT0_S9_ifPKiSB_iPKfiiiSD_SD_iiiii ; -- Begin function _ZN4vllm25paged_attention_v2_kernelIffLi128ELi8ELi128ELNS_18Fp8KVCacheDataTypeE0ELb1ELi512EEEvPfS2_PT_PKS3_PKT0_S9_ifPKiSB_iPKfiiiSD_SD_iiiii
	.globl	_ZN4vllm25paged_attention_v2_kernelIffLi128ELi8ELi128ELNS_18Fp8KVCacheDataTypeE0ELb1ELi512EEEvPfS2_PT_PKS3_PKT0_S9_ifPKiSB_iPKfiiiSD_SD_iiiii
	.p2align	8
	.type	_ZN4vllm25paged_attention_v2_kernelIffLi128ELi8ELi128ELNS_18Fp8KVCacheDataTypeE0ELb1ELi512EEEvPfS2_PT_PKS3_PKT0_S9_ifPKiSB_iPKfiiiSD_SD_iiiii,@function
_ZN4vllm25paged_attention_v2_kernelIffLi128ELi8ELi128ELNS_18Fp8KVCacheDataTypeE0ELb1ELi512EEEvPfS2_PT_PKS3_PKT0_S9_ifPKiSB_iPKfiiiSD_SD_iiiii: ; @_ZN4vllm25paged_attention_v2_kernelIffLi128ELi8ELi128ELNS_18Fp8KVCacheDataTypeE0ELb1ELi512EEEvPfS2_PT_PKS3_PKT0_S9_ifPKiSB_iPKfiiiSD_SD_iiiii
; %bb.0:
	s_load_dwordx2 s[0:1], s[4:5], 0x40
	s_mov_b32 s26, s7
	s_ashr_i32 s27, s7, 31
	s_lshl_b64 s[2:3], s[26:27], 2
	s_waitcnt lgkmcnt(0)
	s_add_u32 s0, s0, s2
	s_addc_u32 s1, s1, s3
	s_lshl_b32 s38, s8, 9
	s_load_dword s27, s[0:1], 0x0
	s_waitcnt lgkmcnt(0)
	s_cmp_ge_i32 s38, s27
	s_cbranch_scc1 .LBB12_88
; %bb.1:
	s_clause 0x1
	s_load_dword s9, s[4:5], 0x90
	s_load_dwordx2 s[36:37], s[4:5], 0x30
	s_mov_b32 s40, 0
	s_waitcnt lgkmcnt(0)
	s_abs_i32 s3, s9
	s_abs_i32 s0, s36
	v_cvt_f32_u32_e32 v1, s0
	s_sub_i32 s2, 0, s0
	v_rcp_iflag_f32_e32 v1, v1
	v_mul_f32_e32 v1, 0x4f7ffffe, v1
	v_cvt_u32_f32_e32 v1, v1
	v_readfirstlane_b32 s1, v1
	s_mul_i32 s2, s2, s1
	s_mul_hi_u32 s2, s1, s2
	s_add_i32 s1, s1, s2
	s_xor_b32 s2, s9, s36
	s_mul_hi_u32 s1, s3, s1
	s_ashr_i32 s2, s2, 31
	s_mul_i32 s7, s1, s0
	s_sub_i32 s3, s3, s7
	s_add_i32 s7, s1, 1
	s_sub_i32 s10, s3, s0
	s_cmp_ge_u32 s3, s0
	s_cselect_b32 s1, s7, s1
	s_cselect_b32 s3, s10, s3
	s_add_i32 s7, s1, 1
	s_cmp_ge_u32 s3, s0
	s_cselect_b32 s0, s7, s1
	s_xor_b32 s0, s0, s2
	s_sub_i32 s10, s0, s2
	s_load_dwordx2 s[0:1], s[4:5], 0x50
	s_abs_i32 s2, s10
	v_cvt_f32_u32_e32 v1, s2
	s_sub_i32 s3, 0, s2
	v_rcp_iflag_f32_e32 v1, v1
	v_mul_f32_e32 v1, 0x4f7ffffe, v1
	v_cvt_u32_f32_e32 v1, v1
	v_readfirstlane_b32 s7, v1
	s_mul_i32 s3, s3, s7
	s_mul_hi_u32 s11, s7, s3
	s_abs_i32 s3, s6
	s_add_i32 s7, s7, s11
	s_waitcnt lgkmcnt(0)
	s_cmp_eq_u64 s[0:1], 0
	s_mul_hi_u32 s20, s3, s7
	s_cbranch_scc1 .LBB12_3
; %bb.2:
	s_ashr_i32 s7, s6, 31
	s_lshl_b64 s[12:13], s[6:7], 2
	s_add_u32 s0, s0, s12
	s_addc_u32 s1, s1, s13
	s_load_dword s40, s[0:1], 0x0
.LBB12_3:
	s_load_dwordx4 s[12:15], s[4:5], 0x58
	v_and_b32_e32 v1, 3, v0
	v_lshlrev_b32_e32 v3, 2, v0
	s_ashr_i32 s0, s6, 31
	s_ashr_i32 s1, s10, 31
	s_lshl_b32 s10, s6, 7
	s_mov_b32 s7, exec_lo
	v_cmpx_gt_u32_e32 0x80, v0
	s_cbranch_execz .LBB12_5
; %bb.4:
	s_load_dwordx2 s[16:17], s[4:5], 0x18
	s_waitcnt lgkmcnt(0)
	s_mul_i32 s18, s12, s26
	v_and_b32_e32 v4, 0x3fc, v0
	s_ashr_i32 s19, s18, 31
	s_lshl_b64 s[18:19], s[18:19], 2
	v_lshl_add_u32 v4, v1, 7, v4
	s_add_u32 s12, s16, s18
	s_addc_u32 s15, s17, s19
	s_ashr_i32 s11, s10, 31
	s_lshl_b64 s[16:17], s[10:11], 2
	s_add_u32 s16, s12, s16
	s_addc_u32 s17, s15, s17
	global_load_dword v2, v3, s[16:17]
	s_waitcnt vmcnt(0)
	ds_write_b32 v4, v2
.LBB12_5:
	s_or_b32 exec_lo, exec_lo, s7
	s_load_dwordx4 s[16:19], s[4:5], 0x78
	s_mul_i32 s7, s20, s2
	s_xor_b32 s0, s0, s1
	s_sub_i32 s1, s3, s7
	s_add_i32 s3, s20, 1
	s_sub_i32 s7, s1, s2
	s_cmp_ge_u32 s1, s2
                                        ; implicit-def: $sgpr33
	s_cselect_b32 s3, s3, s20
	s_cselect_b32 s1, s7, s1
	s_add_i32 s7, s3, 1
	s_cmp_ge_u32 s1, s2
	s_mov_b32 s20, -1
	s_cselect_b32 s1, s7, s3
	s_load_dword s3, s[4:5], 0x88
	s_xor_b32 s1, s1, s0
	s_add_i32 s7, s27, -1
	s_sub_i32 s1, s1, s0
	s_abs_i32 s2, s7
	s_waitcnt lgkmcnt(0)
	s_abs_i32 s11, s19
	s_barrier
	v_cvt_f32_u32_e32 v2, s11
	s_sub_i32 s0, 0, s11
	buffer_gl0_inv
	v_rcp_iflag_f32_e32 v2, v2
	v_mul_f32_e32 v2, 0x4f7ffffe, v2
	v_cvt_u32_f32_e32 v2, v2
	v_readfirstlane_b32 s12, v2
	s_mul_i32 s0, s0, s12
	s_mul_hi_u32 s0, s12, s0
	s_add_i32 s12, s12, s0
	s_cmp_lt_i32 s3, 0
	s_mul_hi_u32 s0, s2, s12
	s_cbranch_scc0 .LBB12_7
; %bb.6:
	s_mul_i32 s15, s16, s36
	s_mov_b32 s20, 0
	s_add_i32 s15, s1, s15
	s_mul_i32 s15, s15, s3
	s_sub_i32 s33, 1, s15
.LBB12_7:
	s_load_dwordx2 s[28:29], s[4:5], 0x38
	s_ashr_i32 s15, s7, 31
	s_andn2_b32 vcc_lo, exec_lo, s20
	s_ashr_i32 s19, s19, 31
	s_cbranch_vccnz .LBB12_9
; %bb.8:
	s_mul_i32 s7, s9, s16
	s_add_i32 s7, s7, s6
	s_mul_i32 s3, s7, s3
	s_add_i32 s33, s3, 1
.LBB12_9:
	s_clause 0x4
	s_load_dword s3, s[4:5], 0x48
	s_load_dwordx2 s[34:35], s[4:5], 0x28
	s_load_dword s7, s[4:5], 0x98
	s_load_dwordx4 s[20:23], s[4:5], 0x0
	s_load_dwordx2 s[24:25], s[4:5], 0x10
	s_mul_i32 s16, s0, s11
	s_xor_b32 s15, s15, s19
	s_sub_i32 s2, s2, s16
	s_add_i32 s36, s0, 1
	v_lshrrev_b32_e32 v40, 5, v0
	v_mov_b32_e32 v5, 0xff7fffff
	v_mbcnt_lo_u32_b32 v4, -1, 0
	s_mul_i32 s14, s1, s14
	v_lshl_add_u32 v41, v40, 3, s38
	s_waitcnt lgkmcnt(0)
	s_mul_i32 s30, s3, s26
	s_sub_i32 s3, s2, s11
	s_ashr_i32 s31, s30, 31
	s_cmp_ge_u32 s2, s11
	s_cselect_b32 s0, s36, s0
	s_cselect_b32 s2, s3, s2
	s_add_i32 s3, s0, 1
	s_cmp_ge_u32 s2, s11
	s_cselect_b32 s0, s3, s0
	s_add_i32 s2, s27, 7
	s_lshl_b32 s41, s8, 6
	s_ashr_i32 s3, s2, 31
	v_or_b32_e32 v37, s41, v40
	s_lshr_b32 s3, s3, 29
	s_add_i32 s2, s2, s3
	s_add_i32 s3, s41, 64
	s_ashr_i32 s36, s2, 3
	s_xor_b32 s2, s0, s15
	s_min_i32 s16, s3, s36
	v_ashrrev_i32_e32 v38, 31, v37
	v_cmp_gt_i32_e64 s0, s16, v37
	s_sub_i32 s39, s2, s15
	s_and_saveexec_b32 s42, s0
	s_cbranch_execz .LBB12_21
; %bb.10:
	s_load_dwordx2 s[2:3], s[4:5], 0x20
	s_ashr_i32 s15, s14, 31
	s_sub_i32 s4, s39, s17
	s_lshl_b64 s[44:45], s[14:15], 2
	v_bfe_u32 v6, v0, 2, 3
	v_cmp_eq_u32_e32 vcc_lo, 0, v1
	v_lshlrev_b32_e32 v14, 2, v1
	v_lshlrev_b32_e32 v7, 7, v1
	v_cmp_neq_f32_e64 s1, s40, 0
	v_lshlrev_b32_e32 v12, 2, v6
	v_subrev_nc_u32_e32 v15, s27, v6
	v_lshlrev_b32_e32 v18, 4, v6
	v_lshl_add_u32 v8, v40, 3, s38
	v_mov_b32_e32 v9, 0xff7fffff
	v_lshl_or_b32 v16, v40, 5, v12
	v_add_nc_u32_e32 v12, 1, v15
	v_xor_b32_e32 v10, 2, v4
	v_xor_b32_e32 v11, 1, v4
	s_waitcnt lgkmcnt(0)
	s_add_u32 s15, s2, s44
	s_addc_u32 s43, s3, s45
	s_abs_i32 s5, s18
	v_cvt_f32_u32_e32 v2, s5
	s_sub_i32 s2, 0, s5
	v_rcp_iflag_f32_e32 v5, v2
	v_lshlrev_b64 v[1:2], 2, v[37:38]
	v_mul_f32_e32 v13, 0x4f7ffffe, v5
	v_mov_b32_e32 v5, 0xff7fffff
	v_cvt_u32_f32_e32 v17, v13
	v_add_nc_u32_e32 v13, 0x220, v16
	v_add_co_u32 v16, s15, s15, v18
	v_add_co_ci_u32_e64 v18, null, s43, 0, s15
	v_mul_lo_u32 v15, s2, v17
	s_lshl_b64 s[2:3], s[30:31], 2
	s_mov_b32 s15, 0
	s_add_u32 s2, s28, s2
	s_addc_u32 s3, s29, s3
	v_add_co_u32 v1, s2, s2, v1
	v_add_co_ci_u32_e64 v2, null, s3, v2, s2
	v_mul_hi_u32 v19, v17, v15
	v_add_co_u32 v14, s2, v16, v14
	v_add_co_ci_u32_e64 v15, null, 0, v18, s2
	s_mov_b32 s43, s13
	v_add_nc_u32_e32 v16, v17, v19
	v_mov_b32_e32 v17, v37
	s_branch .LBB12_13
.LBB12_11:                              ;   in Loop: Header=BB12_13 Depth=1
	s_or_b32 exec_lo, exec_lo, s44
.LBB12_12:                              ;   in Loop: Header=BB12_13 Depth=1
	s_or_b32 exec_lo, exec_lo, s3
	v_add_nc_u32_e32 v17, 4, v17
	v_add_co_u32 v1, s3, v1, 16
	v_add_co_ci_u32_e64 v2, null, 0, v2, s3
	v_cmp_le_i32_e64 s2, s16, v17
	v_add_nc_u32_e32 v8, 32, v8
	v_add_nc_u32_e32 v13, 0x80, v13
	s_or_b32 s15, s2, s15
	s_andn2_b32 exec_lo, exec_lo, s15
	s_cbranch_execz .LBB12_20
.LBB12_13:                              ; =>This Inner Loop Header: Depth=1
	v_sub_nc_u32_e32 v18, 0, v8
	v_max_i32_e32 v18, v8, v18
	s_waitcnt lgkmcnt(0)
	v_mul_hi_u32 v19, v18, s12
	v_mul_lo_u32 v20, v19, s11
	v_sub_nc_u32_e32 v18, v18, v20
	v_add_nc_u32_e32 v20, 1, v19
	v_subrev_nc_u32_e32 v21, s11, v18
	v_cmp_le_u32_e64 s2, s11, v18
	v_cndmask_b32_e64 v19, v19, v20, s2
	v_cndmask_b32_e64 v18, v18, v21, s2
	v_ashrrev_i32_e32 v20, 31, v8
	v_add_nc_u32_e32 v21, 1, v19
	v_cmp_le_u32_e64 s2, s11, v18
	v_xor_b32_e32 v20, s19, v20
	v_cndmask_b32_e64 v18, v19, v21, s2
	v_xor_b32_e32 v18, v18, v20
	v_sub_nc_u32_e32 v18, v18, v20
	v_add_nc_u32_e32 v19, s33, v18
	v_cmp_ge_i32_e64 s3, s4, v18
	v_sub_nc_u32_e32 v20, 0, v19
	v_max_i32_e32 v20, v19, v20
	v_ashrrev_i32_e32 v19, 31, v19
	v_mul_hi_u32 v21, v20, v16
	v_mul_lo_u32 v21, v21, s5
	v_sub_nc_u32_e32 v20, v20, v21
	v_subrev_nc_u32_e32 v21, s5, v20
	v_cmp_le_u32_e64 s2, s5, v20
	v_cndmask_b32_e64 v20, v20, v21, s2
	v_subrev_nc_u32_e32 v21, s5, v20
	v_cmp_le_u32_e64 s2, s5, v20
	v_cndmask_b32_e64 v20, v20, v21, s2
	v_xor_b32_e32 v20, v20, v19
	v_sub_nc_u32_e32 v19, v20, v19
	v_cmp_ne_u32_e64 s2, 0, v19
	s_and_b32 s2, s2, s3
	s_and_saveexec_b32 s3, s2
	s_xor_b32 s2, exec_lo, s3
	s_cbranch_execz .LBB12_17
; %bb.14:                               ;   in Loop: Header=BB12_13 Depth=1
	s_and_saveexec_b32 s3, vcc_lo
; %bb.15:                               ;   in Loop: Header=BB12_13 Depth=1
	ds_write_b32 v13, v9
; %bb.16:                               ;   in Loop: Header=BB12_13 Depth=1
	s_or_b32 exec_lo, exec_lo, s3
.LBB12_17:                              ;   in Loop: Header=BB12_13 Depth=1
	s_andn2_saveexec_b32 s3, s2
	s_cbranch_execz .LBB12_12
; %bb.18:                               ;   in Loop: Header=BB12_13 Depth=1
	global_load_dword v18, v[1:2], off
	s_waitcnt vmcnt(0)
	v_mad_i64_i32 v[18:19], null, v18, s43, 0
	v_lshlrev_b64 v[18:19], 2, v[18:19]
	v_add_co_u32 v18, s2, v14, v18
	v_add_co_ci_u32_e64 v19, null, v15, v19, s2
	s_clause 0xf
	global_load_dword v26, v[18:19], off offset:128
	global_load_dword v27, v[18:19], off
	global_load_dword v28, v[18:19], off offset:256
	global_load_dword v29, v[18:19], off offset:384
	global_load_dword v30, v[18:19], off offset:512
	global_load_dword v31, v[18:19], off offset:640
	global_load_dword v32, v[18:19], off offset:768
	global_load_dword v33, v[18:19], off offset:896
	global_load_dword v34, v[18:19], off offset:1024
	global_load_dword v35, v[18:19], off offset:1152
	global_load_dword v36, v[18:19], off offset:1280
	global_load_dword v39, v[18:19], off offset:1408
	global_load_dword v42, v[18:19], off offset:1536
	global_load_dword v43, v[18:19], off offset:1664
	global_load_dword v44, v[18:19], off offset:1792
	global_load_dword v45, v[18:19], off offset:1920
	v_add_co_u32 v18, s2, 0x800, v18
	v_add_co_ci_u32_e64 v19, null, 0, v19, s2
	v_cmp_gt_i32_e64 s2, 32, v10
	s_clause 0xf
	global_load_dword v46, v[18:19], off
	global_load_dword v47, v[18:19], off offset:128
	global_load_dword v48, v[18:19], off offset:256
	;; [unrolled: 1-line block ×15, first 2 shown]
	ds_read_b128 v[18:21], v7
	ds_read_b128 v[22:25], v7 offset:16
	s_waitcnt vmcnt(31) lgkmcnt(1)
	v_mul_f32_e32 v26, v19, v26
	s_waitcnt vmcnt(30)
	v_fmac_f32_e32 v26, v18, v27
	s_waitcnt vmcnt(29)
	v_fmac_f32_e32 v26, v20, v28
	s_waitcnt vmcnt(28)
	v_fmac_f32_e32 v26, v21, v29
	ds_read_b128 v[18:21], v7 offset:32
	s_waitcnt vmcnt(27) lgkmcnt(1)
	v_fmac_f32_e32 v26, v22, v30
	s_waitcnt vmcnt(26)
	v_fmac_f32_e32 v26, v23, v31
	s_waitcnt vmcnt(25)
	v_fmac_f32_e32 v26, v24, v32
	s_waitcnt vmcnt(24)
	v_fmac_f32_e32 v26, v25, v33
	ds_read_b128 v[22:25], v7 offset:48
	s_waitcnt vmcnt(23) lgkmcnt(1)
	v_fmac_f32_e32 v26, v18, v34
	;; [unrolled: 9-line block ×6, first 2 shown]
	v_cndmask_b32_e64 v18, v4, v10, s2
	v_cmp_gt_i32_e64 s2, 32, v11
	s_waitcnt vmcnt(6)
	v_fmac_f32_e32 v26, v19, v55
	v_lshlrev_b32_e32 v18, 2, v18
	v_cndmask_b32_e64 v19, v4, v11, s2
	s_waitcnt vmcnt(5)
	v_fmac_f32_e32 v26, v20, v56
	v_lshlrev_b32_e32 v19, 2, v19
	s_waitcnt vmcnt(4)
	v_fmac_f32_e32 v26, v21, v57
	s_waitcnt vmcnt(3) lgkmcnt(0)
	v_fmac_f32_e32 v26, v22, v58
	s_waitcnt vmcnt(2)
	v_fmac_f32_e32 v26, v23, v59
	s_waitcnt vmcnt(1)
	;; [unrolled: 2-line block ×3, first 2 shown]
	v_fmac_f32_e32 v26, v25, v61
	ds_bpermute_b32 v18, v18, v26
	s_waitcnt lgkmcnt(0)
	v_add_f32_e32 v18, v26, v18
	ds_bpermute_b32 v19, v19, v18
	s_and_saveexec_b32 s44, vcc_lo
	s_cbranch_execz .LBB12_11
; %bb.19:                               ;   in Loop: Header=BB12_13 Depth=1
	v_add_nc_u32_e32 v20, v12, v8
	s_waitcnt lgkmcnt(0)
	v_add_f32_e32 v18, v18, v19
	v_cvt_f32_i32_e32 v20, v20
	v_mul_f32_e32 v20, s40, v20
	v_cndmask_b32_e64 v19, 0, v20, s1
	v_max_f32_e32 v20, v5, v5
	v_fmac_f32_e32 v19, s37, v18
	v_add_nc_u32_e32 v18, v6, v8
	v_max_f32_e32 v20, v20, v19
	v_cmp_gt_i32_e64 s2, s27, v18
	v_cndmask_b32_e64 v18, 0, v19, s2
	v_cndmask_b32_e64 v5, v5, v20, s2
	ds_write_b32 v13, v18
	s_branch .LBB12_11
.LBB12_20:
	s_or_b32 exec_lo, exec_lo, s15
.LBB12_21:
	s_or_b32 exec_lo, exec_lo, s42
	v_xor_b32_e32 v1, 16, v4
	v_xor_b32_e32 v6, 8, v4
	v_max_f32_e32 v7, v5, v5
	v_and_b32_e32 v42, 31, v0
	v_cmp_gt_i32_e32 vcc_lo, 32, v1
	v_cndmask_b32_e32 v1, v4, v1, vcc_lo
	v_cmp_gt_i32_e32 vcc_lo, 32, v6
	v_lshlrev_b32_e32 v2, 2, v1
	ds_bpermute_b32 v1, v2, v5
	v_cndmask_b32_e32 v5, v4, v6, vcc_lo
	v_lshlrev_b32_e32 v5, 2, v5
	s_waitcnt lgkmcnt(0)
	v_max_f32_e32 v1, v1, v1
	v_max_f32_e32 v1, v7, v1
	v_xor_b32_e32 v7, 4, v4
	ds_bpermute_b32 v6, v5, v1
	v_cmp_gt_i32_e32 vcc_lo, 32, v7
	v_cndmask_b32_e32 v7, v4, v7, vcc_lo
	v_cmp_eq_u32_e32 vcc_lo, 0, v42
	v_lshlrev_b32_e32 v8, 2, v7
	s_waitcnt lgkmcnt(0)
	v_max_f32_e32 v6, v6, v6
	v_max_f32_e32 v1, v1, v6
	v_lshlrev_b32_e32 v6, 2, v40
	ds_bpermute_b32 v7, v8, v1
	s_and_saveexec_b32 s1, vcc_lo
	s_cbranch_execz .LBB12_23
; %bb.22:
	s_waitcnt lgkmcnt(0)
	v_max_f32_e32 v7, v7, v7
	v_max_f32_e32 v1, v1, v1
	v_max_f32_e32 v1, v1, v7
	ds_write_b32 v6, v1 offset:512
.LBB12_23:
	s_or_b32 exec_lo, exec_lo, s1
	v_cmp_gt_u32_e64 s1, 4, v42
	v_mov_b32_e32 v1, 0xff7fffff
	s_waitcnt lgkmcnt(0)
	v_lshlrev_b32_e32 v7, 2, v42
	s_barrier
	buffer_gl0_inv
	s_and_saveexec_b32 s2, s1
; %bb.24:
	ds_read_b32 v1, v7 offset:512
; %bb.25:
	s_or_b32 exec_lo, exec_lo, s2
	v_xor_b32_e32 v9, 2, v4
	v_xor_b32_e32 v11, 1, v4
	v_cmp_gt_i32_e64 s2, 32, v9
	v_cndmask_b32_e64 v9, v4, v9, s2
	v_cmp_gt_i32_e64 s2, 32, v11
	v_lshlrev_b32_e32 v9, 2, v9
	v_cndmask_b32_e64 v4, v4, v11, s2
	s_sub_i32 s2, s16, s41
	s_lshl_b32 s2, s2, 3
	s_waitcnt lgkmcnt(0)
	ds_bpermute_b32 v10, v9, v1
	v_max_f32_e32 v1, v1, v1
	v_lshlrev_b32_e32 v43, 2, v4
	s_add_i32 s2, s2, s38
	s_min_i32 s2, s2, s27
	s_sub_i32 s4, s2, s38
	v_cmp_gt_i32_e64 s2, s4, v0
	s_waitcnt lgkmcnt(0)
	v_max_f32_e32 v10, v10, v10
	v_max_f32_e32 v1, v1, v10
	v_mov_b32_e32 v10, 0
	ds_bpermute_b32 v4, v43, v1
	s_waitcnt lgkmcnt(0)
	v_max_f32_e32 v4, v4, v4
	v_max_f32_e32 v1, v1, v4
	v_lshl_add_u32 v4, v0, 2, 0x220
	ds_bpermute_b32 v1, v10, v1
	s_and_saveexec_b32 s5, s2
	s_cbranch_execz .LBB12_29
; %bb.26:
	v_lshl_add_u32 v11, v0, 2, 0x220
	v_mov_b32_e32 v10, 0
	v_mov_b32_e32 v12, v0
	s_mov_b32 s15, 0
	.p2align	6
.LBB12_27:                              ; =>This Inner Loop Header: Depth=1
	ds_read_b32 v13, v11
	v_add_nc_u32_e32 v12, 0x80, v12
	v_cmp_le_i32_e64 s3, s4, v12
	s_or_b32 s15, s3, s15
	s_waitcnt lgkmcnt(0)
	v_sub_f32_e32 v13, v13, v1
	v_mul_f32_e32 v13, 0x3fb8aa3b, v13
	v_exp_f32_e32 v13, v13
	ds_write_b32 v11, v13
	v_add_f32_e32 v10, v10, v13
	v_add_nc_u32_e32 v11, 0x200, v11
	s_andn2_b32 exec_lo, exec_lo, s15
	s_cbranch_execnz .LBB12_27
; %bb.28:
	s_or_b32 exec_lo, exec_lo, s15
.LBB12_29:
	s_or_b32 exec_lo, exec_lo, s5
	ds_bpermute_b32 v2, v2, v10
	s_waitcnt lgkmcnt(0)
	v_add_f32_e32 v2, v10, v2
	ds_bpermute_b32 v5, v5, v2
	s_waitcnt lgkmcnt(0)
	v_add_f32_e32 v2, v2, v5
	;; [unrolled: 3-line block ×5, first 2 shown]
	s_and_saveexec_b32 s3, vcc_lo
; %bb.30:
	ds_write_b32 v6, v2 offset:528
; %bb.31:
	s_or_b32 exec_lo, exec_lo, s3
	s_waitcnt lgkmcnt(0)
	s_barrier
	buffer_gl0_inv
	s_and_saveexec_b32 s3, s1
; %bb.32:
	ds_read_b32 v2, v7 offset:528
; %bb.33:
	s_or_b32 exec_lo, exec_lo, s3
	s_waitcnt lgkmcnt(0)
	ds_bpermute_b32 v5, v9, v2
	s_waitcnt lgkmcnt(0)
	v_add_f32_e32 v2, v2, v5
	ds_bpermute_b32 v5, v43, v2
	s_waitcnt lgkmcnt(0)
	v_add_f32_e32 v2, v2, v5
	v_mov_b32_e32 v5, 0
	ds_bpermute_b32 v2, v5, v2
	s_and_saveexec_b32 s1, s2
	s_cbranch_execz .LBB12_36
; %bb.34:
	s_waitcnt lgkmcnt(0)
	v_add_f32_e32 v5, 0x358637bd, v2
	s_mov_b32 s2, 0
	v_div_scale_f32 v6, null, v5, v5, 1.0
	v_div_scale_f32 v9, vcc_lo, 1.0, v5, 1.0
	v_rcp_f32_e32 v7, v6
	v_fma_f32 v8, -v6, v7, 1.0
	v_fmac_f32_e32 v7, v8, v7
	v_mul_f32_e32 v8, v9, v7
	v_fma_f32 v10, -v6, v8, v9
	v_fmac_f32_e32 v8, v10, v7
	v_fma_f32 v6, -v6, v8, v9
	v_div_fmas_f32 v6, v6, v7, v8
	v_div_fixup_f32 v5, v6, v5, 1.0
	v_mov_b32_e32 v6, v0
.LBB12_35:                              ; =>This Inner Loop Header: Depth=1
	ds_read_b32 v7, v4
	v_add_nc_u32_e32 v6, 0x80, v6
	v_cmp_le_i32_e32 vcc_lo, s4, v6
	s_or_b32 s2, vcc_lo, s2
	s_waitcnt lgkmcnt(0)
	v_mul_f32_e32 v7, v5, v7
	ds_write_b32 v4, v7
	v_add_nc_u32_e32 v4, 0x200, v4
	s_andn2_b32 exec_lo, exec_lo, s2
	s_cbranch_execnz .LBB12_35
.LBB12_36:
	s_or_b32 exec_lo, exec_lo, s1
	s_mul_i32 s1, s7, s26
	s_waitcnt lgkmcnt(0)
	s_mul_i32 s2, s1, s9
	s_mov_b32 s1, exec_lo
	s_barrier
	buffer_gl0_inv
	v_cmpx_eq_u32_e32 0, v0
	s_cbranch_execz .LBB12_38
; %bb.37:
	s_ashr_i32 s3, s2, 31
	s_mul_i32 s40, s7, s6
	s_lshl_b64 s[4:5], s[2:3], 2
	v_mov_b32_e32 v4, 0
	s_add_u32 s3, s22, s4
	s_addc_u32 s6, s23, s5
	s_ashr_i32 s41, s40, 31
	s_lshl_b64 s[22:23], s[40:41], 2
	s_add_u32 s3, s3, s22
	s_addc_u32 s6, s6, s23
	s_ashr_i32 s9, s8, 31
	s_lshl_b64 s[40:41], s[8:9], 2
	s_add_u32 s42, s3, s40
	s_addc_u32 s43, s6, s41
	s_add_u32 s3, s20, s4
	s_addc_u32 s4, s21, s5
	;; [unrolled: 2-line block ×4, first 2 shown]
	global_store_dword v4, v1, s[42:43]
	global_store_dword v4, v2, s[4:5]
.LBB12_38:
	s_or_b32 exec_lo, exec_lo, s1
	v_mov_b32_e32 v52, 0
	v_and_b32_e32 v44, 1, v0
	v_mov_b32_e32 v51, 0
	v_mov_b32_e32 v50, 0
	;; [unrolled: 1-line block ×7, first 2 shown]
	s_and_saveexec_b32 s1, s0
	s_cbranch_execz .LBB12_60
; %bb.39:
	s_ashr_i32 s15, s14, 31
	s_sub_i32 s3, s39, s17
	s_lshl_b64 s[4:5], s[14:15], 2
	v_and_b32_e32 v53, 4, v3
	s_add_u32 s0, s34, s4
	s_addc_u32 s5, s35, s5
	s_abs_i32 s4, s18
	v_lshlrev_b32_e32 v3, 4, v0
	v_cvt_f32_u32_e32 v1, s4
	s_sub_i32 s6, 0, s4
	v_lshlrev_b32_e32 v5, 4, v44
	s_lshl_b64 s[14:15], s[30:31], 2
	v_and_b32_e32 v3, 0x1f0, v3
	v_rcp_iflag_f32_e32 v1, v1
	s_add_i32 s36, s36, -1
	v_lshl_or_b32 v5, v40, 5, v5
	v_mov_b32_e32 v45, 0
	v_add_co_u32 v54, s0, s0, v3
	v_mov_b32_e32 v46, 0
	v_mov_b32_e32 v47, 0
	;; [unrolled: 1-line block ×4, first 2 shown]
	v_mul_f32_e32 v4, 0x4f7ffffe, v1
	v_lshlrev_b64 v[1:2], 2, v[37:38]
	v_mov_b32_e32 v50, 0
	v_mov_b32_e32 v51, 0
	v_add_co_ci_u32_e64 v55, null, s5, 0, s0
	v_cvt_u32_f32_e32 v4, v4
	v_add_nc_u32_e32 v56, 0x220, v5
	v_mov_b32_e32 v52, 0
	s_mov_b32 s5, 0
	v_mul_lo_u32 v6, s6, v4
	s_add_u32 s6, s28, s14
	s_addc_u32 s9, s29, s15
	v_add_co_u32 v38, vcc_lo, s6, v1
	v_add_co_ci_u32_e64 v39, null, s9, v2, vcc_lo
	s_mov_b32 s6, s13
	v_mul_hi_u32 v6, v4, v6
	v_add_nc_u32_e32 v57, v4, v6
	s_branch .LBB12_42
.LBB12_40:                              ;   in Loop: Header=BB12_42 Depth=1
	s_or_b32 exec_lo, exec_lo, s0
	s_waitcnt vmcnt(1) lgkmcnt(0)
	v_mul_f32_e32 v29, v1, v29
	v_mul_f32_e32 v25, v1, v25
	;; [unrolled: 1-line block ×7, first 2 shown]
	s_waitcnt vmcnt(0)
	v_mul_f32_e32 v1, v1, v33
	v_fmac_f32_e32 v29, v2, v30
	v_fmac_f32_e32 v25, v2, v26
	v_fmac_f32_e32 v21, v2, v22
	v_fmac_f32_e32 v17, v2, v18
	v_fmac_f32_e32 v13, v2, v14
	v_fmac_f32_e32 v9, v2, v10
	v_fmac_f32_e32 v5, v2, v6
	v_fmac_f32_e32 v1, v2, v34
	v_fmac_f32_e32 v29, v3, v31
	v_fmac_f32_e32 v25, v3, v27
	v_fmac_f32_e32 v21, v3, v23
	v_fmac_f32_e32 v17, v3, v19
	v_fmac_f32_e32 v13, v3, v15
	v_fmac_f32_e32 v9, v3, v11
	v_fmac_f32_e32 v5, v3, v7
	v_fmac_f32_e32 v1, v3, v35
	v_fmac_f32_e32 v29, v4, v32
	v_fmac_f32_e32 v25, v4, v28
	v_fmac_f32_e32 v21, v4, v24
	v_fmac_f32_e32 v17, v4, v20
	v_fmac_f32_e32 v13, v4, v16
	v_fmac_f32_e32 v9, v4, v12
	v_fmac_f32_e32 v5, v4, v8
	v_fmac_f32_e32 v1, v4, v36
	v_add_f32_e32 v46, v46, v29
	v_add_f32_e32 v47, v47, v25
	;; [unrolled: 1-line block ×8, first 2 shown]
.LBB12_41:                              ;   in Loop: Header=BB12_42 Depth=1
	s_or_b32 exec_lo, exec_lo, s9
	v_add_nc_u32_e32 v37, 4, v37
	v_add_co_u32 v38, s0, v38, 16
	v_add_co_ci_u32_e64 v39, null, 0, v39, s0
	v_cmp_le_i32_e32 vcc_lo, s16, v37
	v_add_nc_u32_e32 v41, 32, v41
	v_add_nc_u32_e32 v56, 0x80, v56
	s_or_b32 s5, vcc_lo, s5
	s_andn2_b32 exec_lo, exec_lo, s5
	s_cbranch_execz .LBB12_59
.LBB12_42:                              ; =>This Inner Loop Header: Depth=1
	v_sub_nc_u32_e32 v1, 0, v41
	v_max_i32_e32 v1, v41, v1
	v_mul_hi_u32 v2, v1, s12
	v_mul_lo_u32 v3, v2, s11
	v_sub_nc_u32_e32 v1, v1, v3
	v_add_nc_u32_e32 v3, 1, v2
	v_subrev_nc_u32_e32 v4, s11, v1
	v_cmp_le_u32_e32 vcc_lo, s11, v1
	v_cndmask_b32_e32 v2, v2, v3, vcc_lo
	v_cndmask_b32_e32 v1, v1, v4, vcc_lo
	v_ashrrev_i32_e32 v3, 31, v41
	v_add_nc_u32_e32 v4, 1, v2
	v_cmp_le_u32_e32 vcc_lo, s11, v1
	v_xor_b32_e32 v3, s19, v3
	v_cndmask_b32_e32 v1, v2, v4, vcc_lo
	v_xor_b32_e32 v1, v1, v3
	v_sub_nc_u32_e32 v1, v1, v3
	v_add_nc_u32_e32 v2, s33, v1
	v_cmp_lt_i32_e64 s0, s3, v1
	v_sub_nc_u32_e32 v3, 0, v2
	v_max_i32_e32 v3, v2, v3
	v_ashrrev_i32_e32 v2, 31, v2
	v_mul_hi_u32 v4, v3, v57
	v_mul_lo_u32 v4, v4, s4
	v_sub_nc_u32_e32 v3, v3, v4
	v_subrev_nc_u32_e32 v4, s4, v3
	v_cmp_le_u32_e32 vcc_lo, s4, v3
	v_cndmask_b32_e32 v3, v3, v4, vcc_lo
	v_subrev_nc_u32_e32 v4, s4, v3
	v_cmp_le_u32_e32 vcc_lo, s4, v3
	v_cndmask_b32_e32 v3, v3, v4, vcc_lo
	v_xor_b32_e32 v3, v3, v2
	v_sub_nc_u32_e32 v2, v3, v2
	v_cmp_eq_u32_e32 vcc_lo, 0, v2
	s_or_b32 s0, vcc_lo, s0
	s_and_saveexec_b32 s9, s0
	s_cbranch_execz .LBB12_41
; %bb.43:                               ;   in Loop: Header=BB12_42 Depth=1
	global_load_dword v1, v[38:39], off
	v_add_nc_u32_e32 v58, v53, v41
	v_add_nc_u32_e32 v61, 1, v58
	;; [unrolled: 1-line block ×4, first 2 shown]
	s_waitcnt vmcnt(0)
	v_mad_i64_i32 v[1:2], null, v1, s6, 0
	v_lshlrev_b64 v[1:2], 2, v[1:2]
	v_add_co_u32 v21, vcc_lo, v54, v1
	v_add_co_ci_u32_e64 v22, null, v55, v2, vcc_lo
	ds_read_b128 v[1:4], v56
	v_cmp_eq_u32_e32 vcc_lo, s36, v37
	global_load_dwordx4 v[5:8], v[21:22], off
	s_and_saveexec_b32 s13, vcc_lo
	s_cbranch_execnz .LBB12_52
; %bb.44:                               ;   in Loop: Header=BB12_42 Depth=1
	s_or_b32 exec_lo, exec_lo, s13
	global_load_dwordx4 v[9:12], v[21:22], off offset:512
	s_and_saveexec_b32 s13, vcc_lo
	s_cbranch_execnz .LBB12_53
.LBB12_45:                              ;   in Loop: Header=BB12_42 Depth=1
	s_or_b32 exec_lo, exec_lo, s13
	global_load_dwordx4 v[13:16], v[21:22], off offset:1024
	s_and_saveexec_b32 s13, vcc_lo
	s_cbranch_execnz .LBB12_54
.LBB12_46:                              ;   in Loop: Header=BB12_42 Depth=1
	s_or_b32 exec_lo, exec_lo, s13
	global_load_dwordx4 v[17:20], v[21:22], off offset:1536
	s_and_saveexec_b32 s13, vcc_lo
	s_cbranch_execz .LBB12_48
.LBB12_47:                              ;   in Loop: Header=BB12_42 Depth=1
	v_cmp_gt_i32_e64 s0, s27, v58
	s_waitcnt vmcnt(0)
	v_cndmask_b32_e64 v17, 0, v17, s0
	v_cmp_gt_i32_e64 s0, s27, v61
	v_cndmask_b32_e64 v18, 0, v18, s0
	v_cmp_gt_i32_e64 s0, s27, v60
	;; [unrolled: 2-line block ×3, first 2 shown]
	v_cndmask_b32_e64 v20, 0, v20, s0
.LBB12_48:                              ;   in Loop: Header=BB12_42 Depth=1
	s_or_b32 exec_lo, exec_lo, s13
	v_add_co_u32 v33, s0, 0x800, v21
	v_add_co_ci_u32_e64 v34, null, 0, v22, s0
	global_load_dwordx4 v[21:24], v[33:34], off
	s_and_saveexec_b32 s13, vcc_lo
	s_cbranch_execnz .LBB12_55
; %bb.49:                               ;   in Loop: Header=BB12_42 Depth=1
	s_or_b32 exec_lo, exec_lo, s13
	global_load_dwordx4 v[25:28], v[33:34], off offset:512
	s_and_saveexec_b32 s13, vcc_lo
	s_cbranch_execnz .LBB12_56
.LBB12_50:                              ;   in Loop: Header=BB12_42 Depth=1
	s_or_b32 exec_lo, exec_lo, s13
	global_load_dwordx4 v[29:32], v[33:34], off offset:1024
	s_and_saveexec_b32 s13, vcc_lo
	s_cbranch_execnz .LBB12_57
.LBB12_51:                              ;   in Loop: Header=BB12_42 Depth=1
	s_or_b32 exec_lo, exec_lo, s13
	global_load_dwordx4 v[33:36], v[33:34], off offset:1536
	s_and_saveexec_b32 s0, vcc_lo
	s_cbranch_execz .LBB12_40
	s_branch .LBB12_58
.LBB12_52:                              ;   in Loop: Header=BB12_42 Depth=1
	v_cmp_gt_i32_e64 s0, s27, v58
	s_waitcnt vmcnt(0)
	v_cndmask_b32_e64 v5, 0, v5, s0
	v_cmp_gt_i32_e64 s0, s27, v61
	v_cndmask_b32_e64 v6, 0, v6, s0
	v_cmp_gt_i32_e64 s0, s27, v60
	;; [unrolled: 2-line block ×3, first 2 shown]
	v_cndmask_b32_e64 v8, 0, v8, s0
	s_or_b32 exec_lo, exec_lo, s13
	global_load_dwordx4 v[9:12], v[21:22], off offset:512
	s_and_saveexec_b32 s13, vcc_lo
	s_cbranch_execz .LBB12_45
.LBB12_53:                              ;   in Loop: Header=BB12_42 Depth=1
	v_cmp_gt_i32_e64 s0, s27, v58
	s_waitcnt vmcnt(0)
	v_cndmask_b32_e64 v9, 0, v9, s0
	v_cmp_gt_i32_e64 s0, s27, v61
	v_cndmask_b32_e64 v10, 0, v10, s0
	v_cmp_gt_i32_e64 s0, s27, v60
	;; [unrolled: 2-line block ×3, first 2 shown]
	v_cndmask_b32_e64 v12, 0, v12, s0
	s_or_b32 exec_lo, exec_lo, s13
	global_load_dwordx4 v[13:16], v[21:22], off offset:1024
	s_and_saveexec_b32 s13, vcc_lo
	s_cbranch_execz .LBB12_46
.LBB12_54:                              ;   in Loop: Header=BB12_42 Depth=1
	v_cmp_gt_i32_e64 s0, s27, v58
	s_waitcnt vmcnt(0)
	v_cndmask_b32_e64 v13, 0, v13, s0
	v_cmp_gt_i32_e64 s0, s27, v61
	v_cndmask_b32_e64 v14, 0, v14, s0
	v_cmp_gt_i32_e64 s0, s27, v60
	;; [unrolled: 2-line block ×3, first 2 shown]
	v_cndmask_b32_e64 v16, 0, v16, s0
	s_or_b32 exec_lo, exec_lo, s13
	global_load_dwordx4 v[17:20], v[21:22], off offset:1536
	s_and_saveexec_b32 s13, vcc_lo
	s_cbranch_execnz .LBB12_47
	s_branch .LBB12_48
.LBB12_55:                              ;   in Loop: Header=BB12_42 Depth=1
	v_cmp_gt_i32_e64 s0, s27, v58
	s_waitcnt vmcnt(0)
	v_cndmask_b32_e64 v21, 0, v21, s0
	v_cmp_gt_i32_e64 s0, s27, v61
	v_cndmask_b32_e64 v22, 0, v22, s0
	v_cmp_gt_i32_e64 s0, s27, v60
	;; [unrolled: 2-line block ×3, first 2 shown]
	v_cndmask_b32_e64 v24, 0, v24, s0
	s_or_b32 exec_lo, exec_lo, s13
	global_load_dwordx4 v[25:28], v[33:34], off offset:512
	s_and_saveexec_b32 s13, vcc_lo
	s_cbranch_execz .LBB12_50
.LBB12_56:                              ;   in Loop: Header=BB12_42 Depth=1
	v_cmp_gt_i32_e64 s0, s27, v58
	s_waitcnt vmcnt(0)
	v_cndmask_b32_e64 v25, 0, v25, s0
	v_cmp_gt_i32_e64 s0, s27, v61
	v_cndmask_b32_e64 v26, 0, v26, s0
	v_cmp_gt_i32_e64 s0, s27, v60
	;; [unrolled: 2-line block ×3, first 2 shown]
	v_cndmask_b32_e64 v28, 0, v28, s0
	s_or_b32 exec_lo, exec_lo, s13
	global_load_dwordx4 v[29:32], v[33:34], off offset:1024
	s_and_saveexec_b32 s13, vcc_lo
	s_cbranch_execz .LBB12_51
.LBB12_57:                              ;   in Loop: Header=BB12_42 Depth=1
	v_cmp_gt_i32_e64 s0, s27, v58
	s_waitcnt vmcnt(0)
	v_cndmask_b32_e64 v29, 0, v29, s0
	v_cmp_gt_i32_e64 s0, s27, v61
	v_cndmask_b32_e64 v30, 0, v30, s0
	v_cmp_gt_i32_e64 s0, s27, v60
	;; [unrolled: 2-line block ×3, first 2 shown]
	v_cndmask_b32_e64 v32, 0, v32, s0
	s_or_b32 exec_lo, exec_lo, s13
	global_load_dwordx4 v[33:36], v[33:34], off offset:1536
	s_and_saveexec_b32 s0, vcc_lo
	s_cbranch_execz .LBB12_40
.LBB12_58:                              ;   in Loop: Header=BB12_42 Depth=1
	v_cmp_gt_i32_e32 vcc_lo, s27, v58
	s_waitcnt vmcnt(0)
	v_cndmask_b32_e32 v33, 0, v33, vcc_lo
	v_cmp_gt_i32_e32 vcc_lo, s27, v61
	v_cndmask_b32_e32 v34, 0, v34, vcc_lo
	v_cmp_gt_i32_e32 vcc_lo, s27, v60
	v_cndmask_b32_e32 v35, 0, v35, vcc_lo
	v_cmp_gt_i32_e32 vcc_lo, s27, v59
	v_cndmask_b32_e32 v36, 0, v36, vcc_lo
	s_branch .LBB12_40
.LBB12_59:
	s_or_b32 exec_lo, exec_lo, s5
.LBB12_60:
	s_or_b32 exec_lo, exec_lo, s1
	ds_bpermute_b32 v1, v43, v52
	ds_bpermute_b32 v2, v43, v51
	;; [unrolled: 1-line block ×8, first 2 shown]
	v_lshrrev_b32_e32 v9, 1, v42
	v_lshlrev_b32_e32 v11, 9, v40
	v_and_b32_e32 v12, 0x3c1, v0
	s_mov_b32 s0, exec_lo
	s_waitcnt lgkmcnt(0)
	s_waitcnt_vscnt null, 0x0
	v_lshl_add_u32 v10, v9, 2, 0x220
	s_barrier
	buffer_gl0_inv
	v_add_f32_e32 v1, v52, v1
	v_add_f32_e32 v2, v51, v2
	;; [unrolled: 1-line block ×8, first 2 shown]
	v_cmpx_eq_u32_e32 64, v12
	s_cbranch_execz .LBB12_62
; %bb.61:
	v_add_nc_u32_e32 v12, v10, v11
	v_add_nc_u32_e32 v13, 0xfffffc00, v12
	;; [unrolled: 1-line block ×9, first 2 shown]
	ds_write_b32 v13, v1
	ds_write_b32 v14, v2
	;; [unrolled: 1-line block ×8, first 2 shown]
.LBB12_62:
	s_or_b32 exec_lo, exec_lo, s0
	v_lshlrev_b32_e32 v9, 2, v9
	s_mov_b32 s1, exec_lo
	v_cmp_eq_u32_e32 vcc_lo, 0, v44
	s_waitcnt lgkmcnt(0)
	s_barrier
	v_add3_u32 v9, 0x220, v11, v9
	buffer_gl0_inv
	v_cmpx_gt_u32_e32 64, v0
	s_cbranch_execz .LBB12_73
; %bb.63:
	s_and_saveexec_b32 s0, vcc_lo
	s_cbranch_execnz .LBB12_89
; %bb.64:
	s_or_b32 exec_lo, exec_lo, s0
	s_and_saveexec_b32 s0, vcc_lo
	s_cbranch_execnz .LBB12_90
.LBB12_65:
	s_or_b32 exec_lo, exec_lo, s0
	s_and_saveexec_b32 s0, vcc_lo
	s_cbranch_execnz .LBB12_91
.LBB12_66:
	s_or_b32 exec_lo, exec_lo, s0
	s_and_saveexec_b32 s0, vcc_lo
	s_cbranch_execnz .LBB12_92
.LBB12_67:
	s_or_b32 exec_lo, exec_lo, s0
	s_and_saveexec_b32 s0, vcc_lo
	s_cbranch_execnz .LBB12_93
.LBB12_68:
	s_or_b32 exec_lo, exec_lo, s0
	s_and_saveexec_b32 s0, vcc_lo
	s_cbranch_execnz .LBB12_94
.LBB12_69:
	s_or_b32 exec_lo, exec_lo, s0
	s_and_saveexec_b32 s0, vcc_lo
	s_cbranch_execnz .LBB12_95
.LBB12_70:
	s_or_b32 exec_lo, exec_lo, s0
	s_and_saveexec_b32 s0, vcc_lo
	s_cbranch_execz .LBB12_72
.LBB12_71:
	ds_read_b32 v11, v9 offset:448
	s_waitcnt lgkmcnt(0)
	v_add_f32_e32 v8, v8, v11
.LBB12_72:
	s_or_b32 exec_lo, exec_lo, s0
.LBB12_73:
	s_or_b32 exec_lo, exec_lo, s1
	v_and_b32_e32 v11, 0x3e1, v0
	s_mov_b32 s1, exec_lo
	s_barrier
	buffer_gl0_inv
	v_cmpx_eq_u32_e32 32, v11
	s_cbranch_execz .LBB12_75
; %bb.74:
	ds_write2_b32 v10, v1, v2 offset1:16
	ds_write2_b32 v10, v3, v4 offset0:32 offset1:48
	ds_write2_b32 v10, v5, v6 offset0:64 offset1:80
	;; [unrolled: 1-line block ×3, first 2 shown]
.LBB12_75:
	s_or_b32 exec_lo, exec_lo, s1
	s_mov_b32 s1, exec_lo
	s_waitcnt lgkmcnt(0)
	s_barrier
	buffer_gl0_inv
	v_cmpx_gt_u32_e32 32, v0
	s_cbranch_execz .LBB12_86
; %bb.76:
	s_and_saveexec_b32 s0, vcc_lo
	s_cbranch_execnz .LBB12_96
; %bb.77:
	s_or_b32 exec_lo, exec_lo, s0
	s_and_saveexec_b32 s0, vcc_lo
	s_cbranch_execnz .LBB12_97
.LBB12_78:
	s_or_b32 exec_lo, exec_lo, s0
	s_and_saveexec_b32 s0, vcc_lo
	s_cbranch_execnz .LBB12_98
.LBB12_79:
	s_or_b32 exec_lo, exec_lo, s0
	s_and_saveexec_b32 s0, vcc_lo
	s_cbranch_execnz .LBB12_99
.LBB12_80:
	s_or_b32 exec_lo, exec_lo, s0
	s_and_saveexec_b32 s0, vcc_lo
	s_cbranch_execnz .LBB12_100
.LBB12_81:
	s_or_b32 exec_lo, exec_lo, s0
	s_and_saveexec_b32 s0, vcc_lo
	s_cbranch_execnz .LBB12_101
.LBB12_82:
	s_or_b32 exec_lo, exec_lo, s0
	s_and_saveexec_b32 s0, vcc_lo
	s_cbranch_execnz .LBB12_102
.LBB12_83:
	s_or_b32 exec_lo, exec_lo, s0
	s_and_saveexec_b32 s0, vcc_lo
	s_cbranch_execz .LBB12_85
.LBB12_84:
	ds_read_b32 v9, v9 offset:448
	s_waitcnt lgkmcnt(0)
	v_add_f32_e32 v8, v8, v9
.LBB12_85:
	s_or_b32 exec_lo, exec_lo, s0
.LBB12_86:
	s_or_b32 exec_lo, exec_lo, s1
	s_barrier
	buffer_gl0_inv
	s_mov_b32 s0, exec_lo
	v_cmpx_eq_u32_e32 0, v11
	s_cbranch_execz .LBB12_88
; %bb.87:
	s_lshl_b32 s0, s2, 7
	s_mul_i32 s2, s7, s10
	s_ashr_i32 s1, s0, 31
	v_lshlrev_b32_e32 v0, 1, v0
	s_lshl_b64 s[0:1], s[0:1], 2
	s_add_u32 s4, s24, s0
	s_addc_u32 s5, s25, s1
	s_ashr_i32 s3, s2, 31
	s_lshl_b64 s[0:1], s[2:3], 2
	s_add_u32 s2, s4, s0
	s_addc_u32 s3, s5, s1
	s_lshl_b32 s0, s8, 7
	s_ashr_i32 s1, s0, 31
	s_lshl_b64 s[0:1], s[0:1], 2
	s_add_u32 s0, s2, s0
	s_addc_u32 s1, s3, s1
	global_store_dword v0, v1, s[0:1]
	global_store_dword v0, v2, s[0:1] offset:64
	global_store_dword v0, v3, s[0:1] offset:128
	;; [unrolled: 1-line block ×7, first 2 shown]
.LBB12_88:
	s_endpgm
.LBB12_89:
	ds_read_b32 v11, v9
	s_waitcnt lgkmcnt(0)
	v_add_f32_e32 v1, v1, v11
	s_or_b32 exec_lo, exec_lo, s0
	s_and_saveexec_b32 s0, vcc_lo
	s_cbranch_execz .LBB12_65
.LBB12_90:
	ds_read_b32 v11, v9 offset:64
	s_waitcnt lgkmcnt(0)
	v_add_f32_e32 v2, v2, v11
	s_or_b32 exec_lo, exec_lo, s0
	s_and_saveexec_b32 s0, vcc_lo
	s_cbranch_execz .LBB12_66
.LBB12_91:
	ds_read_b32 v11, v9 offset:128
	s_waitcnt lgkmcnt(0)
	v_add_f32_e32 v3, v3, v11
	s_or_b32 exec_lo, exec_lo, s0
	s_and_saveexec_b32 s0, vcc_lo
	s_cbranch_execz .LBB12_67
.LBB12_92:
	ds_read_b32 v11, v9 offset:192
	s_waitcnt lgkmcnt(0)
	v_add_f32_e32 v4, v4, v11
	s_or_b32 exec_lo, exec_lo, s0
	s_and_saveexec_b32 s0, vcc_lo
	s_cbranch_execz .LBB12_68
.LBB12_93:
	ds_read_b32 v11, v9 offset:256
	s_waitcnt lgkmcnt(0)
	v_add_f32_e32 v5, v5, v11
	s_or_b32 exec_lo, exec_lo, s0
	s_and_saveexec_b32 s0, vcc_lo
	s_cbranch_execz .LBB12_69
.LBB12_94:
	ds_read_b32 v11, v9 offset:320
	s_waitcnt lgkmcnt(0)
	v_add_f32_e32 v6, v6, v11
	s_or_b32 exec_lo, exec_lo, s0
	s_and_saveexec_b32 s0, vcc_lo
	s_cbranch_execz .LBB12_70
.LBB12_95:
	ds_read_b32 v11, v9 offset:384
	s_waitcnt lgkmcnt(0)
	v_add_f32_e32 v7, v7, v11
	s_or_b32 exec_lo, exec_lo, s0
	s_and_saveexec_b32 s0, vcc_lo
	s_cbranch_execnz .LBB12_71
	s_branch .LBB12_72
.LBB12_96:
	ds_read_b32 v10, v9
	s_waitcnt lgkmcnt(0)
	v_add_f32_e32 v1, v1, v10
	s_or_b32 exec_lo, exec_lo, s0
	s_and_saveexec_b32 s0, vcc_lo
	s_cbranch_execz .LBB12_78
.LBB12_97:
	ds_read_b32 v10, v9 offset:64
	s_waitcnt lgkmcnt(0)
	v_add_f32_e32 v2, v2, v10
	s_or_b32 exec_lo, exec_lo, s0
	s_and_saveexec_b32 s0, vcc_lo
	s_cbranch_execz .LBB12_79
.LBB12_98:
	ds_read_b32 v10, v9 offset:128
	s_waitcnt lgkmcnt(0)
	v_add_f32_e32 v3, v3, v10
	s_or_b32 exec_lo, exec_lo, s0
	s_and_saveexec_b32 s0, vcc_lo
	s_cbranch_execz .LBB12_80
.LBB12_99:
	ds_read_b32 v10, v9 offset:192
	s_waitcnt lgkmcnt(0)
	v_add_f32_e32 v4, v4, v10
	s_or_b32 exec_lo, exec_lo, s0
	s_and_saveexec_b32 s0, vcc_lo
	s_cbranch_execz .LBB12_81
.LBB12_100:
	ds_read_b32 v10, v9 offset:256
	s_waitcnt lgkmcnt(0)
	v_add_f32_e32 v5, v5, v10
	s_or_b32 exec_lo, exec_lo, s0
	s_and_saveexec_b32 s0, vcc_lo
	s_cbranch_execz .LBB12_82
.LBB12_101:
	ds_read_b32 v10, v9 offset:320
	s_waitcnt lgkmcnt(0)
	v_add_f32_e32 v6, v6, v10
	s_or_b32 exec_lo, exec_lo, s0
	s_and_saveexec_b32 s0, vcc_lo
	s_cbranch_execz .LBB12_83
.LBB12_102:
	ds_read_b32 v10, v9 offset:384
	s_waitcnt lgkmcnt(0)
	v_add_f32_e32 v7, v7, v10
	s_or_b32 exec_lo, exec_lo, s0
	s_and_saveexec_b32 s0, vcc_lo
	s_cbranch_execnz .LBB12_84
	s_branch .LBB12_85
	.section	.rodata,"a",@progbits
	.p2align	6, 0x0
	.amdhsa_kernel _ZN4vllm25paged_attention_v2_kernelIffLi128ELi8ELi128ELNS_18Fp8KVCacheDataTypeE0ELb1ELi512EEEvPfS2_PT_PKS3_PKT0_S9_ifPKiSB_iPKfiiiSD_SD_iiiii
		.amdhsa_group_segment_fixed_size 544
		.amdhsa_private_segment_fixed_size 0
		.amdhsa_kernarg_size 400
		.amdhsa_user_sgpr_count 6
		.amdhsa_user_sgpr_private_segment_buffer 1
		.amdhsa_user_sgpr_dispatch_ptr 0
		.amdhsa_user_sgpr_queue_ptr 0
		.amdhsa_user_sgpr_kernarg_segment_ptr 1
		.amdhsa_user_sgpr_dispatch_id 0
		.amdhsa_user_sgpr_flat_scratch_init 0
		.amdhsa_user_sgpr_private_segment_size 0
		.amdhsa_wavefront_size32 1
		.amdhsa_uses_dynamic_stack 0
		.amdhsa_system_sgpr_private_segment_wavefront_offset 0
		.amdhsa_system_sgpr_workgroup_id_x 1
		.amdhsa_system_sgpr_workgroup_id_y 1
		.amdhsa_system_sgpr_workgroup_id_z 1
		.amdhsa_system_sgpr_workgroup_info 0
		.amdhsa_system_vgpr_workitem_id 0
		.amdhsa_next_free_vgpr 62
		.amdhsa_next_free_sgpr 46
		.amdhsa_reserve_vcc 1
		.amdhsa_reserve_flat_scratch 0
		.amdhsa_float_round_mode_32 0
		.amdhsa_float_round_mode_16_64 0
		.amdhsa_float_denorm_mode_32 3
		.amdhsa_float_denorm_mode_16_64 3
		.amdhsa_dx10_clamp 1
		.amdhsa_ieee_mode 1
		.amdhsa_fp16_overflow 0
		.amdhsa_workgroup_processor_mode 1
		.amdhsa_memory_ordered 1
		.amdhsa_forward_progress 1
		.amdhsa_shared_vgpr_count 0
		.amdhsa_exception_fp_ieee_invalid_op 0
		.amdhsa_exception_fp_denorm_src 0
		.amdhsa_exception_fp_ieee_div_zero 0
		.amdhsa_exception_fp_ieee_overflow 0
		.amdhsa_exception_fp_ieee_underflow 0
		.amdhsa_exception_fp_ieee_inexact 0
		.amdhsa_exception_int_div_zero 0
	.end_amdhsa_kernel
	.section	.text._ZN4vllm25paged_attention_v2_kernelIffLi128ELi8ELi128ELNS_18Fp8KVCacheDataTypeE0ELb1ELi512EEEvPfS2_PT_PKS3_PKT0_S9_ifPKiSB_iPKfiiiSD_SD_iiiii,"axG",@progbits,_ZN4vllm25paged_attention_v2_kernelIffLi128ELi8ELi128ELNS_18Fp8KVCacheDataTypeE0ELb1ELi512EEEvPfS2_PT_PKS3_PKT0_S9_ifPKiSB_iPKfiiiSD_SD_iiiii,comdat
.Lfunc_end12:
	.size	_ZN4vllm25paged_attention_v2_kernelIffLi128ELi8ELi128ELNS_18Fp8KVCacheDataTypeE0ELb1ELi512EEEvPfS2_PT_PKS3_PKT0_S9_ifPKiSB_iPKfiiiSD_SD_iiiii, .Lfunc_end12-_ZN4vllm25paged_attention_v2_kernelIffLi128ELi8ELi128ELNS_18Fp8KVCacheDataTypeE0ELb1ELi512EEEvPfS2_PT_PKS3_PKT0_S9_ifPKiSB_iPKfiiiSD_SD_iiiii
                                        ; -- End function
	.set _ZN4vllm25paged_attention_v2_kernelIffLi128ELi8ELi128ELNS_18Fp8KVCacheDataTypeE0ELb1ELi512EEEvPfS2_PT_PKS3_PKT0_S9_ifPKiSB_iPKfiiiSD_SD_iiiii.num_vgpr, 62
	.set _ZN4vllm25paged_attention_v2_kernelIffLi128ELi8ELi128ELNS_18Fp8KVCacheDataTypeE0ELb1ELi512EEEvPfS2_PT_PKS3_PKT0_S9_ifPKiSB_iPKfiiiSD_SD_iiiii.num_agpr, 0
	.set _ZN4vllm25paged_attention_v2_kernelIffLi128ELi8ELi128ELNS_18Fp8KVCacheDataTypeE0ELb1ELi512EEEvPfS2_PT_PKS3_PKT0_S9_ifPKiSB_iPKfiiiSD_SD_iiiii.numbered_sgpr, 46
	.set _ZN4vllm25paged_attention_v2_kernelIffLi128ELi8ELi128ELNS_18Fp8KVCacheDataTypeE0ELb1ELi512EEEvPfS2_PT_PKS3_PKT0_S9_ifPKiSB_iPKfiiiSD_SD_iiiii.num_named_barrier, 0
	.set _ZN4vllm25paged_attention_v2_kernelIffLi128ELi8ELi128ELNS_18Fp8KVCacheDataTypeE0ELb1ELi512EEEvPfS2_PT_PKS3_PKT0_S9_ifPKiSB_iPKfiiiSD_SD_iiiii.private_seg_size, 0
	.set _ZN4vllm25paged_attention_v2_kernelIffLi128ELi8ELi128ELNS_18Fp8KVCacheDataTypeE0ELb1ELi512EEEvPfS2_PT_PKS3_PKT0_S9_ifPKiSB_iPKfiiiSD_SD_iiiii.uses_vcc, 1
	.set _ZN4vllm25paged_attention_v2_kernelIffLi128ELi8ELi128ELNS_18Fp8KVCacheDataTypeE0ELb1ELi512EEEvPfS2_PT_PKS3_PKT0_S9_ifPKiSB_iPKfiiiSD_SD_iiiii.uses_flat_scratch, 0
	.set _ZN4vllm25paged_attention_v2_kernelIffLi128ELi8ELi128ELNS_18Fp8KVCacheDataTypeE0ELb1ELi512EEEvPfS2_PT_PKS3_PKT0_S9_ifPKiSB_iPKfiiiSD_SD_iiiii.has_dyn_sized_stack, 0
	.set _ZN4vllm25paged_attention_v2_kernelIffLi128ELi8ELi128ELNS_18Fp8KVCacheDataTypeE0ELb1ELi512EEEvPfS2_PT_PKS3_PKT0_S9_ifPKiSB_iPKfiiiSD_SD_iiiii.has_recursion, 0
	.set _ZN4vllm25paged_attention_v2_kernelIffLi128ELi8ELi128ELNS_18Fp8KVCacheDataTypeE0ELb1ELi512EEEvPfS2_PT_PKS3_PKT0_S9_ifPKiSB_iPKfiiiSD_SD_iiiii.has_indirect_call, 0
	.section	.AMDGPU.csdata,"",@progbits
; Kernel info:
; codeLenInByte = 5944
; TotalNumSgprs: 48
; NumVgprs: 62
; ScratchSize: 0
; MemoryBound: 0
; FloatMode: 240
; IeeeMode: 1
; LDSByteSize: 544 bytes/workgroup (compile time only)
; SGPRBlocks: 0
; VGPRBlocks: 7
; NumSGPRsForWavesPerEU: 48
; NumVGPRsForWavesPerEU: 62
; Occupancy: 16
; WaveLimiterHint : 1
; COMPUTE_PGM_RSRC2:SCRATCH_EN: 0
; COMPUTE_PGM_RSRC2:USER_SGPR: 6
; COMPUTE_PGM_RSRC2:TRAP_HANDLER: 0
; COMPUTE_PGM_RSRC2:TGID_X_EN: 1
; COMPUTE_PGM_RSRC2:TGID_Y_EN: 1
; COMPUTE_PGM_RSRC2:TGID_Z_EN: 1
; COMPUTE_PGM_RSRC2:TIDIG_COMP_CNT: 0
	.section	.text._ZN4vllm32paged_attention_v2_reduce_kernelIfLi128ELi128ELi512EEEvPT_PKfS4_PKS1_PKii,"axG",@progbits,_ZN4vllm32paged_attention_v2_reduce_kernelIfLi128ELi128ELi512EEEvPT_PKfS4_PKS1_PKii,comdat
	.protected	_ZN4vllm32paged_attention_v2_reduce_kernelIfLi128ELi128ELi512EEEvPT_PKfS4_PKS1_PKii ; -- Begin function _ZN4vllm32paged_attention_v2_reduce_kernelIfLi128ELi128ELi512EEEvPT_PKfS4_PKS1_PKii
	.globl	_ZN4vllm32paged_attention_v2_reduce_kernelIfLi128ELi128ELi512EEEvPT_PKfS4_PKS1_PKii
	.p2align	8
	.type	_ZN4vllm32paged_attention_v2_reduce_kernelIfLi128ELi128ELi512EEEvPT_PKfS4_PKS1_PKii,@function
_ZN4vllm32paged_attention_v2_reduce_kernelIfLi128ELi128ELi512EEEvPT_PKfS4_PKS1_PKii: ; @_ZN4vllm32paged_attention_v2_reduce_kernelIfLi128ELi128ELi512EEEvPT_PKfS4_PKS1_PKii
; %bb.0:
	s_load_dwordx4 s[8:11], s[4:5], 0x18
	s_add_u32 s12, s4, 48
	s_mov_b32 s14, s7
	s_addc_u32 s13, s5, 0
	s_ashr_i32 s15, s7, 31
	s_lshl_b64 s[0:1], s[14:15], 2
	s_waitcnt lgkmcnt(0)
	s_add_u32 s0, s10, s0
	s_addc_u32 s1, s11, s1
	s_load_dword s22, s[0:1], 0x0
	s_clause 0x2
	s_load_dwordx2 s[10:11], s[4:5], 0x0
	s_load_dword s7, s[4:5], 0x28
	s_load_dword s15, s[4:5], 0x30
	s_waitcnt lgkmcnt(0)
	s_add_i32 s0, s22, -1
	s_cmpk_gt_u32 s0, 0x1ff
	s_mov_b32 s0, -1
	s_cbranch_scc0 .LBB13_25
; %bb.1:
	s_load_dwordx2 s[2:3], s[4:5], 0x8
	s_add_i32 s0, s22, 0x1ff
	s_mul_i32 s20, s15, s14
	s_ashr_i32 s1, s0, 31
	v_mov_b32_e32 v3, 0xff7fffff
	s_lshr_b32 s1, s1, 23
	s_mul_i32 s16, s20, s7
	s_add_i32 s0, s0, s1
	s_mul_i32 s18, s7, s6
	s_ashr_i32 s21, s0, 9
	s_ashr_i32 s17, s16, 31
	v_cmp_gt_i32_e32 vcc_lo, s21, v0
	s_ashr_i32 s19, s18, 31
	s_and_saveexec_b32 s1, vcc_lo
	s_cbranch_execz .LBB13_5
; %bb.2:
	s_load_dword s0, s[12:13], 0xc
	s_load_dwordx2 s[24:25], s[4:5], 0x10
	s_lshl_b64 s[26:27], s[16:17], 2
	s_lshl_b64 s[28:29], s[18:19], 2
	v_lshlrev_b32_e32 v1, 2, v0
	v_mov_b32_e32 v3, 0xff7fffff
	v_mov_b32_e32 v5, v0
	v_add_nc_u32_e32 v4, 32, v1
	s_waitcnt lgkmcnt(0)
	s_and_b32 s4, s0, 0xffff
	s_add_u32 s0, s26, s28
	s_addc_u32 s5, s27, s29
	s_add_u32 s0, s24, s0
	s_addc_u32 s5, s25, s5
	v_add_co_u32 v1, s0, s0, v1
	v_add_co_ci_u32_e64 v2, null, s5, 0, s0
	s_mov_b32 s5, 0
	s_lshl_b32 s23, s4, 2
	.p2align	6
.LBB13_3:                               ; =>This Inner Loop Header: Depth=1
	global_load_dword v6, v[1:2], off
	v_add_nc_u32_e32 v5, s4, v5
	v_max_f32_e32 v3, v3, v3
	v_add_co_u32 v1, s0, v1, s23
	v_add_co_ci_u32_e64 v2, null, 0, v2, s0
	v_cmp_le_i32_e64 s0, s21, v5
	s_or_b32 s5, s0, s5
	s_waitcnt vmcnt(0)
	v_max_f32_e32 v7, v6, v6
	ds_write_b32 v4, v6
	v_add_nc_u32_e32 v4, s23, v4
	v_max_f32_e32 v3, v3, v7
	s_andn2_b32 exec_lo, exec_lo, s5
	s_cbranch_execnz .LBB13_3
; %bb.4:
	s_or_b32 exec_lo, exec_lo, s5
.LBB13_5:
	s_or_b32 exec_lo, exec_lo, s1
	v_mbcnt_lo_u32_b32 v1, -1, 0
	s_waitcnt lgkmcnt(0)
	s_barrier
	buffer_gl0_inv
	v_xor_b32_e32 v2, 16, v1
	v_xor_b32_e32 v4, 8, v1
	v_cmp_gt_i32_e64 s0, 32, v2
	v_cndmask_b32_e64 v2, v1, v2, s0
	v_cmp_gt_i32_e64 s0, 32, v4
	v_lshlrev_b32_e32 v5, 2, v2
	v_cndmask_b32_e64 v4, v1, v4, s0
	ds_bpermute_b32 v2, v5, v3
	v_max_f32_e32 v3, v3, v3
	v_lshlrev_b32_e32 v6, 2, v4
	v_xor_b32_e32 v4, 4, v1
	v_cmp_gt_i32_e64 s0, 32, v4
	v_cndmask_b32_e64 v4, v1, v4, s0
	v_lshlrev_b32_e32 v7, 2, v4
	v_xor_b32_e32 v4, 2, v1
	s_waitcnt lgkmcnt(0)
	v_max_f32_e32 v2, v2, v2
	v_cmp_gt_i32_e64 s0, 32, v4
	v_max_f32_e32 v2, v3, v2
	v_cndmask_b32_e64 v4, v1, v4, s0
	ds_bpermute_b32 v3, v6, v2
	s_waitcnt lgkmcnt(0)
	v_max_f32_e32 v3, v3, v3
	v_max_f32_e32 v2, v2, v3
	ds_bpermute_b32 v3, v7, v2
	s_waitcnt lgkmcnt(0)
	v_max_f32_e32 v8, v3, v3
	v_lshlrev_b32_e32 v3, 2, v4
	v_max_f32_e32 v2, v2, v8
	v_xor_b32_e32 v8, 1, v1
	ds_bpermute_b32 v4, v3, v2
	v_cmp_gt_i32_e64 s0, 32, v8
	v_cndmask_b32_e64 v1, v1, v8, s0
	v_lshrrev_b32_e32 v8, 5, v0
	v_lshlrev_b32_e32 v8, 2, v8
	s_waitcnt lgkmcnt(0)
	v_max_f32_e32 v4, v4, v4
	v_max_f32_e32 v2, v2, v4
	v_lshlrev_b32_e32 v4, 2, v1
	v_and_b32_e32 v1, 31, v0
	ds_bpermute_b32 v9, v4, v2
	v_cmp_eq_u32_e64 s0, 0, v1
	s_and_saveexec_b32 s1, s0
	s_cbranch_execz .LBB13_7
; %bb.6:
	s_waitcnt lgkmcnt(0)
	v_max_f32_e32 v9, v9, v9
	v_max_f32_e32 v2, v2, v2
	;; [unrolled: 1-line block ×3, first 2 shown]
	ds_write_b32 v8, v2
.LBB13_7:
	s_or_b32 exec_lo, exec_lo, s1
	v_cmp_gt_u32_e64 s1, 4, v1
	v_mov_b32_e32 v2, 0xff7fffff
	s_waitcnt lgkmcnt(0)
	v_lshlrev_b32_e32 v9, 2, v1
	s_barrier
	buffer_gl0_inv
	s_and_saveexec_b32 s4, s1
; %bb.8:
	ds_read_b32 v2, v9
; %bb.9:
	s_or_b32 exec_lo, exec_lo, s4
	s_waitcnt lgkmcnt(0)
	ds_bpermute_b32 v1, v3, v2
	v_max_f32_e32 v2, v2, v2
	v_mov_b32_e32 v10, 0
	s_lshl_b32 s4, s21, 2
	s_waitcnt lgkmcnt(0)
	v_max_f32_e32 v1, v1, v1
	v_max_f32_e32 v1, v2, v1
	ds_bpermute_b32 v2, v4, v1
	s_waitcnt lgkmcnt(0)
	v_max_f32_e32 v2, v2, v2
	v_max_f32_e32 v1, v1, v2
	ds_bpermute_b32 v11, v10, v1
	s_and_saveexec_b32 s5, vcc_lo
	s_cbranch_execz .LBB13_13
; %bb.10:
	s_load_dword s23, s[12:13], 0xc
	s_lshl_b64 s[24:25], s[16:17], 2
	s_lshl_b64 s[26:27], s[18:19], 2
	v_lshlrev_b32_e32 v1, 2, v0
	v_mov_b32_e32 v10, 0
	v_mov_b32_e32 v13, v0
	v_add_nc_u32_e32 v12, 32, v1
	s_waitcnt lgkmcnt(0)
	s_and_b32 s17, s23, 0xffff
	s_add_u32 s19, s24, s26
	s_addc_u32 s23, s25, s27
	s_add_u32 s2, s2, s19
	s_addc_u32 s3, s3, s23
	v_add_co_u32 v1, s2, s2, v1
	v_add_co_ci_u32_e64 v2, null, s3, 0, s2
	s_mov_b32 s3, 0
	s_lshl_b32 s19, s17, 2
	s_inst_prefetch 0x1
	.p2align	6
.LBB13_11:                              ; =>This Inner Loop Header: Depth=1
	global_load_dword v14, v[1:2], off
	ds_read_b32 v15, v12
	v_add_nc_u32_e32 v13, s17, v13
	s_waitcnt lgkmcnt(0)
	v_sub_f32_e32 v15, v15, v11
	v_mul_f32_e32 v16, 0x3fb8aa3b, v15
	v_cmp_ngt_f32_e32 vcc_lo, 0xc2ce8ed0, v15
	v_cmp_nlt_f32_e64 s2, 0x42b17218, v15
	v_fma_f32 v17, 0x3fb8aa3b, v15, -v16
	v_rndne_f32_e32 v18, v16
	v_fmac_f32_e32 v17, 0x32a5705f, v15
	v_sub_f32_e32 v16, v16, v18
	v_add_f32_e32 v16, v16, v17
	v_cvt_i32_f32_e32 v17, v18
	v_exp_f32_e32 v16, v16
	v_ldexp_f32 v16, v16, v17
	v_add_nc_u32_e32 v17, s4, v12
	v_add_nc_u32_e32 v12, s19, v12
	v_cndmask_b32_e32 v16, 0, v16, vcc_lo
	v_add_co_u32 v1, vcc_lo, v1, s19
	v_add_co_ci_u32_e64 v2, null, 0, v2, vcc_lo
	v_cndmask_b32_e64 v15, 0x7f800000, v16, s2
	v_cmp_le_i32_e32 vcc_lo, s21, v13
	s_or_b32 s3, vcc_lo, s3
	s_waitcnt vmcnt(0)
	v_mul_f32_e32 v16, v14, v15
	v_fmac_f32_e32 v10, v14, v15
	ds_write_b32 v17, v16
	s_andn2_b32 exec_lo, exec_lo, s3
	s_cbranch_execnz .LBB13_11
; %bb.12:
	s_inst_prefetch 0x2
	s_or_b32 exec_lo, exec_lo, s3
.LBB13_13:
	s_or_b32 exec_lo, exec_lo, s5
	ds_bpermute_b32 v1, v5, v10
	s_waitcnt lgkmcnt(0)
	s_barrier
	buffer_gl0_inv
	v_add_f32_e32 v1, v10, v1
	ds_bpermute_b32 v2, v6, v1
	s_waitcnt lgkmcnt(0)
	v_add_f32_e32 v1, v1, v2
	ds_bpermute_b32 v2, v7, v1
	s_waitcnt lgkmcnt(0)
	;; [unrolled: 3-line block ×4, first 2 shown]
	v_add_f32_e32 v1, v1, v2
	s_and_saveexec_b32 s2, s0
; %bb.14:
	ds_write_b32 v8, v1 offset:16
; %bb.15:
	s_or_b32 exec_lo, exec_lo, s2
	s_waitcnt lgkmcnt(0)
	s_barrier
	buffer_gl0_inv
	s_and_saveexec_b32 s0, s1
; %bb.16:
	ds_read_b32 v1, v9 offset:16
; %bb.17:
	s_or_b32 exec_lo, exec_lo, s0
	s_waitcnt lgkmcnt(0)
	ds_bpermute_b32 v2, v3, v1
	s_mov_b32 s0, exec_lo
	s_waitcnt lgkmcnt(0)
	v_add_f32_e32 v1, v1, v2
	ds_bpermute_b32 v2, v4, v1
	s_waitcnt lgkmcnt(0)
	v_add_f32_e32 v1, v1, v2
	v_mov_b32_e32 v2, 0
	ds_bpermute_b32 v2, v2, v1
	v_cmpx_gt_u32_e32 0x80, v0
	s_cbranch_execz .LBB13_24
; %bb.18:
	s_cmp_gt_i32 s22, 0
	s_mov_b32 s1, 0
	s_cbranch_scc1 .LBB13_20
; %bb.19:
	v_mov_b32_e32 v1, 0
	v_mov_b32_e32 v4, 0
	s_andn2_b32 vcc_lo, exec_lo, s1
	s_cbranch_vccz .LBB13_21
	s_branch .LBB13_23
.LBB13_20:
	v_mov_b32_e32 v4, 0
.LBB13_21:
	s_waitcnt lgkmcnt(0)
	v_add_f32_e32 v4, 0x358637bd, v2
	s_lshl_b32 s16, s16, 7
	s_lshl_b32 s18, s18, 7
	s_ashr_i32 s17, s16, 31
	s_ashr_i32 s19, s18, 31
	v_div_scale_f32 v2, null, v4, v4, 1.0
	v_div_scale_f32 v5, vcc_lo, 1.0, v4, 1.0
	s_add_i32 s2, s4, 32
	v_rcp_f32_e32 v3, v2
	s_lshl_b64 s[4:5], s[16:17], 2
	s_lshl_b64 s[16:17], s[18:19], 2
	s_max_i32 s1, s21, 1
	s_add_u32 s3, s4, s16
	s_addc_u32 s4, s5, s17
	s_add_u32 s3, s8, s3
	s_addc_u32 s4, s9, s4
	v_fma_f32 v1, -v2, v3, 1.0
	v_fmac_f32_e32 v3, v1, v3
	v_mov_b32_e32 v1, 0
	v_mul_f32_e32 v6, v5, v3
	v_fma_f32 v7, -v2, v6, v5
	v_fmac_f32_e32 v6, v7, v3
	v_lshlrev_b32_e32 v7, 2, v0
	v_fma_f32 v2, -v2, v6, v5
	v_div_fmas_f32 v5, v2, v3, v6
	v_add_co_u32 v2, s3, s3, v7
	v_add_co_ci_u32_e64 v3, null, s4, 0, s3
	v_div_fixup_f32 v5, v5, v4, 1.0
	v_mov_b32_e32 v4, v1
.LBB13_22:                              ; =>This Inner Loop Header: Depth=1
	global_load_dword v6, v[2:3], off
	v_mov_b32_e32 v7, s2
	v_add_co_u32 v2, vcc_lo, 0x200, v2
	v_add_co_ci_u32_e64 v3, null, 0, v3, vcc_lo
	ds_read_b32 v7, v7
	s_add_i32 s1, s1, -1
	s_add_i32 s2, s2, 4
	s_cmp_eq_u32 s1, 0
	s_waitcnt vmcnt(0) lgkmcnt(0)
	v_mul_f32_e32 v6, v6, v7
	v_fmac_f32_e32 v4, v5, v6
	s_cbranch_scc0 .LBB13_22
.LBB13_23:
	s_lshl_b32 s2, s20, 7
	s_waitcnt lgkmcnt(0)
	v_lshlrev_b64 v[1:2], 2, v[0:1]
	s_ashr_i32 s3, s2, 31
	s_lshl_b64 s[2:3], s[2:3], 2
	s_add_u32 s1, s10, s2
	s_addc_u32 s4, s11, s3
	s_lshl_b32 s2, s6, 7
	s_ashr_i32 s3, s2, 31
	s_lshl_b64 s[2:3], s[2:3], 2
	s_add_u32 s1, s1, s2
	s_addc_u32 s2, s4, s3
	v_add_co_u32 v1, vcc_lo, s1, v1
	v_add_co_ci_u32_e64 v2, null, s2, v2, vcc_lo
	global_store_dword v[1:2], v4, off
.LBB13_24:
	s_or_b32 exec_lo, exec_lo, s0
	s_mov_b32 s0, 0
.LBB13_25:
	s_and_b32 vcc_lo, exec_lo, s0
	s_cbranch_vccz .LBB13_29
; %bb.26:
	s_mov_b32 s0, exec_lo
	v_cmpx_gt_u32_e32 0x80, v0
	s_cbranch_execz .LBB13_29
; %bb.27:
	s_mul_i32 s15, s15, s14
	v_lshlrev_b32_e32 v1, 2, v0
	s_lshl_b32 s0, s15, 7
	s_waitcnt lgkmcnt(0)
	v_mov_b32_e32 v2, 0
	s_ashr_i32 s1, s0, 31
	s_lshl_b64 s[0:1], s[0:1], 2
	s_add_u32 s4, s10, s0
	s_addc_u32 s5, s11, s1
	s_lshl_b32 s0, s6, 7
	s_load_dword s10, s[12:13], 0xc
	s_ashr_i32 s1, s0, 31
	s_lshl_b64 s[2:3], s[0:1], 2
	s_mul_i32 s0, s7, s15
	s_add_u32 s1, s4, s2
	s_addc_u32 s2, s5, s3
	s_lshl_b32 s4, s0, 7
	s_mul_i32 s7, s7, s6
	s_ashr_i32 s5, s4, 31
	s_lshl_b64 s[4:5], s[4:5], 2
	s_add_u32 s0, s8, s4
	s_addc_u32 s6, s9, s5
	s_lshl_b32 s4, s7, 7
	s_ashr_i32 s5, s4, 31
	s_lshl_b64 s[4:5], s[4:5], 2
	s_add_u32 s3, s0, s4
	s_addc_u32 s4, s6, s5
	s_waitcnt lgkmcnt(0)
	s_and_b32 s5, s10, 0xffff
	s_mov_b32 s6, 0
	s_lshl_b32 s7, s5, 2
	.p2align	6
.LBB13_28:                              ; =>This Inner Loop Header: Depth=1
	v_add_co_u32 v3, vcc_lo, s3, v1
	v_add_co_ci_u32_e64 v4, null, s4, v2, vcc_lo
	v_add_nc_u32_e32 v0, s5, v0
	global_load_dword v5, v[3:4], off
	v_add_co_u32 v3, vcc_lo, s1, v1
	v_add_co_ci_u32_e64 v4, null, s2, v2, vcc_lo
	v_cmp_lt_u32_e32 vcc_lo, 0x7f, v0
	v_add_co_u32 v1, s0, v1, s7
	v_add_co_ci_u32_e64 v2, null, 0, v2, s0
	s_or_b32 s6, vcc_lo, s6
	s_waitcnt vmcnt(0)
	global_store_dword v[3:4], v5, off
	s_andn2_b32 exec_lo, exec_lo, s6
	s_cbranch_execnz .LBB13_28
.LBB13_29:
	s_endpgm
	.section	.rodata,"a",@progbits
	.p2align	6, 0x0
	.amdhsa_kernel _ZN4vllm32paged_attention_v2_reduce_kernelIfLi128ELi128ELi512EEEvPT_PKfS4_PKS1_PKii
		.amdhsa_group_segment_fixed_size 32
		.amdhsa_private_segment_fixed_size 0
		.amdhsa_kernarg_size 304
		.amdhsa_user_sgpr_count 6
		.amdhsa_user_sgpr_private_segment_buffer 1
		.amdhsa_user_sgpr_dispatch_ptr 0
		.amdhsa_user_sgpr_queue_ptr 0
		.amdhsa_user_sgpr_kernarg_segment_ptr 1
		.amdhsa_user_sgpr_dispatch_id 0
		.amdhsa_user_sgpr_flat_scratch_init 0
		.amdhsa_user_sgpr_private_segment_size 0
		.amdhsa_wavefront_size32 1
		.amdhsa_uses_dynamic_stack 0
		.amdhsa_system_sgpr_private_segment_wavefront_offset 0
		.amdhsa_system_sgpr_workgroup_id_x 1
		.amdhsa_system_sgpr_workgroup_id_y 1
		.amdhsa_system_sgpr_workgroup_id_z 0
		.amdhsa_system_sgpr_workgroup_info 0
		.amdhsa_system_vgpr_workitem_id 0
		.amdhsa_next_free_vgpr 19
		.amdhsa_next_free_sgpr 30
		.amdhsa_reserve_vcc 1
		.amdhsa_reserve_flat_scratch 0
		.amdhsa_float_round_mode_32 0
		.amdhsa_float_round_mode_16_64 0
		.amdhsa_float_denorm_mode_32 3
		.amdhsa_float_denorm_mode_16_64 3
		.amdhsa_dx10_clamp 1
		.amdhsa_ieee_mode 1
		.amdhsa_fp16_overflow 0
		.amdhsa_workgroup_processor_mode 1
		.amdhsa_memory_ordered 1
		.amdhsa_forward_progress 1
		.amdhsa_shared_vgpr_count 0
		.amdhsa_exception_fp_ieee_invalid_op 0
		.amdhsa_exception_fp_denorm_src 0
		.amdhsa_exception_fp_ieee_div_zero 0
		.amdhsa_exception_fp_ieee_overflow 0
		.amdhsa_exception_fp_ieee_underflow 0
		.amdhsa_exception_fp_ieee_inexact 0
		.amdhsa_exception_int_div_zero 0
	.end_amdhsa_kernel
	.section	.text._ZN4vllm32paged_attention_v2_reduce_kernelIfLi128ELi128ELi512EEEvPT_PKfS4_PKS1_PKii,"axG",@progbits,_ZN4vllm32paged_attention_v2_reduce_kernelIfLi128ELi128ELi512EEEvPT_PKfS4_PKS1_PKii,comdat
.Lfunc_end13:
	.size	_ZN4vllm32paged_attention_v2_reduce_kernelIfLi128ELi128ELi512EEEvPT_PKfS4_PKS1_PKii, .Lfunc_end13-_ZN4vllm32paged_attention_v2_reduce_kernelIfLi128ELi128ELi512EEEvPT_PKfS4_PKS1_PKii
                                        ; -- End function
	.set _ZN4vllm32paged_attention_v2_reduce_kernelIfLi128ELi128ELi512EEEvPT_PKfS4_PKS1_PKii.num_vgpr, 19
	.set _ZN4vllm32paged_attention_v2_reduce_kernelIfLi128ELi128ELi512EEEvPT_PKfS4_PKS1_PKii.num_agpr, 0
	.set _ZN4vllm32paged_attention_v2_reduce_kernelIfLi128ELi128ELi512EEEvPT_PKfS4_PKS1_PKii.numbered_sgpr, 30
	.set _ZN4vllm32paged_attention_v2_reduce_kernelIfLi128ELi128ELi512EEEvPT_PKfS4_PKS1_PKii.num_named_barrier, 0
	.set _ZN4vllm32paged_attention_v2_reduce_kernelIfLi128ELi128ELi512EEEvPT_PKfS4_PKS1_PKii.private_seg_size, 0
	.set _ZN4vllm32paged_attention_v2_reduce_kernelIfLi128ELi128ELi512EEEvPT_PKfS4_PKS1_PKii.uses_vcc, 1
	.set _ZN4vllm32paged_attention_v2_reduce_kernelIfLi128ELi128ELi512EEEvPT_PKfS4_PKS1_PKii.uses_flat_scratch, 0
	.set _ZN4vllm32paged_attention_v2_reduce_kernelIfLi128ELi128ELi512EEEvPT_PKfS4_PKS1_PKii.has_dyn_sized_stack, 0
	.set _ZN4vllm32paged_attention_v2_reduce_kernelIfLi128ELi128ELi512EEEvPT_PKfS4_PKS1_PKii.has_recursion, 0
	.set _ZN4vllm32paged_attention_v2_reduce_kernelIfLi128ELi128ELi512EEEvPT_PKfS4_PKS1_PKii.has_indirect_call, 0
	.section	.AMDGPU.csdata,"",@progbits
; Kernel info:
; codeLenInByte = 2016
; TotalNumSgprs: 32
; NumVgprs: 19
; ScratchSize: 0
; MemoryBound: 0
; FloatMode: 240
; IeeeMode: 1
; LDSByteSize: 32 bytes/workgroup (compile time only)
; SGPRBlocks: 0
; VGPRBlocks: 2
; NumSGPRsForWavesPerEU: 32
; NumVGPRsForWavesPerEU: 19
; Occupancy: 16
; WaveLimiterHint : 0
; COMPUTE_PGM_RSRC2:SCRATCH_EN: 0
; COMPUTE_PGM_RSRC2:USER_SGPR: 6
; COMPUTE_PGM_RSRC2:TRAP_HANDLER: 0
; COMPUTE_PGM_RSRC2:TGID_X_EN: 1
; COMPUTE_PGM_RSRC2:TGID_Y_EN: 1
; COMPUTE_PGM_RSRC2:TGID_Z_EN: 0
; COMPUTE_PGM_RSRC2:TIDIG_COMP_CNT: 0
	.section	.text._ZN4vllm25paged_attention_v2_kernelIffLi192ELi8ELi128ELNS_18Fp8KVCacheDataTypeE0ELb1ELi512EEEvPfS2_PT_PKS3_PKT0_S9_ifPKiSB_iPKfiiiSD_SD_iiiii,"axG",@progbits,_ZN4vllm25paged_attention_v2_kernelIffLi192ELi8ELi128ELNS_18Fp8KVCacheDataTypeE0ELb1ELi512EEEvPfS2_PT_PKS3_PKT0_S9_ifPKiSB_iPKfiiiSD_SD_iiiii,comdat
	.protected	_ZN4vllm25paged_attention_v2_kernelIffLi192ELi8ELi128ELNS_18Fp8KVCacheDataTypeE0ELb1ELi512EEEvPfS2_PT_PKS3_PKT0_S9_ifPKiSB_iPKfiiiSD_SD_iiiii ; -- Begin function _ZN4vllm25paged_attention_v2_kernelIffLi192ELi8ELi128ELNS_18Fp8KVCacheDataTypeE0ELb1ELi512EEEvPfS2_PT_PKS3_PKT0_S9_ifPKiSB_iPKfiiiSD_SD_iiiii
	.globl	_ZN4vllm25paged_attention_v2_kernelIffLi192ELi8ELi128ELNS_18Fp8KVCacheDataTypeE0ELb1ELi512EEEvPfS2_PT_PKS3_PKT0_S9_ifPKiSB_iPKfiiiSD_SD_iiiii
	.p2align	8
	.type	_ZN4vllm25paged_attention_v2_kernelIffLi192ELi8ELi128ELNS_18Fp8KVCacheDataTypeE0ELb1ELi512EEEvPfS2_PT_PKS3_PKT0_S9_ifPKiSB_iPKfiiiSD_SD_iiiii,@function
_ZN4vllm25paged_attention_v2_kernelIffLi192ELi8ELi128ELNS_18Fp8KVCacheDataTypeE0ELb1ELi512EEEvPfS2_PT_PKS3_PKT0_S9_ifPKiSB_iPKfiiiSD_SD_iiiii: ; @_ZN4vllm25paged_attention_v2_kernelIffLi192ELi8ELi128ELNS_18Fp8KVCacheDataTypeE0ELb1ELi512EEEvPfS2_PT_PKS3_PKT0_S9_ifPKiSB_iPKfiiiSD_SD_iiiii
; %bb.0:
	s_load_dwordx2 s[0:1], s[4:5], 0x40
	s_mov_b32 s26, s7
	s_ashr_i32 s27, s7, 31
	s_lshl_b64 s[2:3], s[26:27], 2
	s_waitcnt lgkmcnt(0)
	s_add_u32 s0, s0, s2
	s_addc_u32 s1, s1, s3
	s_lshl_b32 s38, s8, 9
	s_load_dword s27, s[0:1], 0x0
	s_waitcnt lgkmcnt(0)
	s_cmp_ge_i32 s38, s27
	s_cbranch_scc1 .LBB14_105
; %bb.1:
	s_clause 0x1
	s_load_dword s9, s[4:5], 0x90
	s_load_dwordx2 s[36:37], s[4:5], 0x30
	s_mov_b32 s40, 0
	s_waitcnt lgkmcnt(0)
	s_abs_i32 s3, s9
	s_abs_i32 s0, s36
	v_cvt_f32_u32_e32 v1, s0
	s_sub_i32 s2, 0, s0
	v_rcp_iflag_f32_e32 v1, v1
	v_mul_f32_e32 v1, 0x4f7ffffe, v1
	v_cvt_u32_f32_e32 v1, v1
	v_readfirstlane_b32 s1, v1
	s_mul_i32 s2, s2, s1
	s_mul_hi_u32 s2, s1, s2
	s_add_i32 s1, s1, s2
	s_xor_b32 s2, s9, s36
	s_mul_hi_u32 s1, s3, s1
	s_ashr_i32 s2, s2, 31
	s_mul_i32 s7, s1, s0
	s_sub_i32 s3, s3, s7
	s_add_i32 s7, s1, 1
	s_sub_i32 s10, s3, s0
	s_cmp_ge_u32 s3, s0
	s_cselect_b32 s1, s7, s1
	s_cselect_b32 s3, s10, s3
	s_add_i32 s7, s1, 1
	s_cmp_ge_u32 s3, s0
	s_cselect_b32 s0, s7, s1
	s_xor_b32 s0, s0, s2
	s_sub_i32 s10, s0, s2
	s_load_dwordx2 s[0:1], s[4:5], 0x50
	s_abs_i32 s2, s10
	v_cvt_f32_u32_e32 v1, s2
	s_sub_i32 s3, 0, s2
	v_rcp_iflag_f32_e32 v1, v1
	v_mul_f32_e32 v1, 0x4f7ffffe, v1
	v_cvt_u32_f32_e32 v1, v1
	v_readfirstlane_b32 s7, v1
	s_mul_i32 s3, s3, s7
	s_mul_hi_u32 s11, s7, s3
	s_abs_i32 s3, s6
	s_add_i32 s7, s7, s11
	s_waitcnt lgkmcnt(0)
	s_cmp_eq_u64 s[0:1], 0
	s_mul_hi_u32 s20, s3, s7
	s_cbranch_scc1 .LBB14_3
; %bb.2:
	s_ashr_i32 s7, s6, 31
	s_lshl_b64 s[12:13], s[6:7], 2
	s_add_u32 s0, s0, s12
	s_addc_u32 s1, s1, s13
	s_load_dword s40, s[0:1], 0x0
.LBB14_3:
	s_clause 0x1
	s_load_dword s7, s[4:5], 0x98
	s_load_dwordx4 s[12:15], s[4:5], 0x58
	v_and_b32_e32 v1, 3, v0
	v_lshlrev_b32_e32 v3, 2, v0
	s_waitcnt lgkmcnt(0)
	s_ashr_i32 s15, s6, 31
	s_ashr_i32 s21, s10, 31
	s_mul_i32 s10, s6, 0xc0
	s_mov_b32 s16, exec_lo
	v_cmpx_gt_u32_e32 0xc0, v0
	s_cbranch_execz .LBB14_6
; %bb.4:
	s_load_dwordx2 s[0:1], s[4:5], 0x18
	s_mul_i32 s18, s12, s26
	v_and_b32_e32 v2, 0x3fc, v0
	s_ashr_i32 s19, s18, 31
	v_cmp_gt_u32_e32 vcc_lo, 64, v0
	s_lshl_b64 s[18:19], s[18:19], 2
	v_mad_u32_u24 v2, 0xc0, v1, v2
	s_waitcnt lgkmcnt(0)
	s_add_u32 s12, s0, s18
	s_addc_u32 s17, s1, s19
	s_ashr_i32 s11, s10, 31
	s_lshl_b64 s[0:1], s[10:11], 2
	s_add_u32 s0, s12, s0
	s_addc_u32 s1, s17, s1
	global_load_dword v4, v3, s[0:1]
	s_waitcnt vmcnt(0)
	ds_write_b32 v2, v4
	s_and_b32 exec_lo, exec_lo, vcc_lo
	s_cbranch_execz .LBB14_6
; %bb.5:
	v_lshrrev_b32_e32 v4, 2, v0
	v_lshlrev_b32_e32 v5, 2, v1
	v_lshlrev_b32_e32 v4, 4, v4
	v_or3_b32 v4, v4, v5, 0x200
	global_load_dword v4, v4, s[0:1]
	s_waitcnt vmcnt(0)
	ds_write_b32 v2, v4 offset:128
.LBB14_6:
	s_or_b32 exec_lo, exec_lo, s16
	s_load_dwordx4 s[16:19], s[4:5], 0x78
	s_mul_i32 s0, s20, s2
	s_xor_b32 s1, s15, s21
	s_sub_i32 s0, s3, s0
	s_add_i32 s3, s20, 1
	s_sub_i32 s11, s0, s2
	s_cmp_ge_u32 s0, s2
                                        ; implicit-def: $sgpr33
	s_cselect_b32 s3, s3, s20
	s_cselect_b32 s0, s11, s0
	s_add_i32 s11, s3, 1
	s_cmp_ge_u32 s0, s2
	s_load_dword s2, s[4:5], 0x88
	s_cselect_b32 s0, s11, s3
	s_add_i32 s15, s27, -1
	s_xor_b32 s0, s0, s1
	s_abs_i32 s3, s15
	s_sub_i32 s1, s0, s1
	s_mov_b32 s20, -1
	s_waitcnt lgkmcnt(0)
	s_abs_i32 s11, s19
	s_barrier
	v_cvt_f32_u32_e32 v2, s11
	s_sub_i32 s0, 0, s11
	buffer_gl0_inv
	v_rcp_iflag_f32_e32 v2, v2
	v_mul_f32_e32 v2, 0x4f7ffffe, v2
	v_cvt_u32_f32_e32 v2, v2
	v_readfirstlane_b32 s12, v2
	s_mul_i32 s0, s0, s12
	s_mul_hi_u32 s0, s12, s0
	s_add_i32 s12, s12, s0
	s_cmp_lt_i32 s2, 0
	s_mul_hi_u32 s0, s3, s12
	s_cbranch_scc0 .LBB14_8
; %bb.7:
	s_mul_i32 s20, s16, s36
	s_add_i32 s20, s1, s20
	s_mul_i32 s20, s20, s2
	s_sub_i32 s33, 1, s20
	s_mov_b32 s20, 0
.LBB14_8:
	s_load_dwordx2 s[28:29], s[4:5], 0x38
	s_ashr_i32 s15, s15, 31
	s_andn2_b32 vcc_lo, exec_lo, s20
	s_ashr_i32 s19, s19, 31
	s_cbranch_vccnz .LBB14_10
; %bb.9:
	s_mul_i32 s16, s9, s16
	s_add_i32 s16, s16, s6
	s_mul_i32 s2, s16, s2
	s_add_i32 s33, s2, 1
.LBB14_10:
	s_clause 0x3
	s_load_dword s2, s[4:5], 0x48
	s_load_dwordx2 s[34:35], s[4:5], 0x28
	s_load_dwordx4 s[20:23], s[4:5], 0x0
	s_load_dwordx2 s[24:25], s[4:5], 0x10
	s_mul_i32 s16, s0, s11
	s_xor_b32 s15, s15, s19
	s_sub_i32 s3, s3, s16
	s_add_i32 s36, s0, 1
	v_lshrrev_b32_e32 v56, 5, v0
	v_mov_b32_e32 v5, 0xff7fffff
	v_mbcnt_lo_u32_b32 v4, -1, 0
	s_mul_i32 s14, s1, s14
	v_lshl_add_u32 v57, v56, 3, s38
	s_waitcnt lgkmcnt(0)
	s_mul_i32 s30, s2, s26
	s_sub_i32 s2, s3, s11
	s_ashr_i32 s31, s30, 31
	s_cmp_ge_u32 s3, s11
	s_cselect_b32 s0, s36, s0
	s_cselect_b32 s2, s2, s3
	s_add_i32 s3, s0, 1
	s_cmp_ge_u32 s2, s11
	s_cselect_b32 s0, s3, s0
	s_add_i32 s2, s27, 7
	s_lshl_b32 s41, s8, 6
	s_ashr_i32 s3, s2, 31
	v_or_b32_e32 v53, s41, v56
	s_lshr_b32 s3, s3, 29
	s_add_i32 s2, s2, s3
	s_add_i32 s3, s41, 64
	s_ashr_i32 s36, s2, 3
	s_xor_b32 s2, s0, s15
	s_min_i32 s16, s3, s36
	v_ashrrev_i32_e32 v54, 31, v53
	v_cmp_gt_i32_e64 s0, s16, v53
	s_sub_i32 s39, s2, s15
	s_and_saveexec_b32 s42, s0
	s_cbranch_execz .LBB14_22
; %bb.11:
	s_load_dwordx2 s[2:3], s[4:5], 0x20
	s_ashr_i32 s15, s14, 31
	s_sub_i32 s4, s39, s17
	s_lshl_b64 s[44:45], s[14:15], 2
	v_bfe_u32 v6, v0, 2, 3
	v_cmp_eq_u32_e32 vcc_lo, 0, v1
	v_lshlrev_b32_e32 v14, 2, v1
	v_mul_u32_u24_e32 v7, 0xc0, v1
	v_cmp_neq_f32_e64 s1, s40, 0
	v_lshlrev_b32_e32 v12, 2, v6
	v_subrev_nc_u32_e32 v15, s27, v6
	v_lshlrev_b32_e32 v18, 4, v6
	v_lshl_add_u32 v8, v56, 3, s38
	v_mov_b32_e32 v9, 0xff7fffff
	v_lshl_or_b32 v16, v56, 5, v12
	v_add_nc_u32_e32 v12, 1, v15
	v_xor_b32_e32 v10, 2, v4
	v_xor_b32_e32 v11, 1, v4
	s_waitcnt lgkmcnt(0)
	s_add_u32 s15, s2, s44
	s_addc_u32 s43, s3, s45
	s_abs_i32 s5, s18
	v_cvt_f32_u32_e32 v2, s5
	s_sub_i32 s2, 0, s5
	v_rcp_iflag_f32_e32 v5, v2
	v_lshlrev_b64 v[1:2], 2, v[53:54]
	v_mul_f32_e32 v13, 0x4f7ffffe, v5
	v_mov_b32_e32 v5, 0xff7fffff
	v_cvt_u32_f32_e32 v17, v13
	v_add_nc_u32_e32 v13, 0x320, v16
	v_add_co_u32 v16, s15, s15, v18
	v_add_co_ci_u32_e64 v18, null, s43, 0, s15
	v_mul_lo_u32 v15, s2, v17
	s_lshl_b64 s[2:3], s[30:31], 2
	s_mov_b32 s15, 0
	s_add_u32 s2, s28, s2
	s_addc_u32 s3, s29, s3
	v_add_co_u32 v1, s2, s2, v1
	v_add_co_ci_u32_e64 v2, null, s3, v2, s2
	v_mul_hi_u32 v19, v17, v15
	v_add_co_u32 v14, s2, v16, v14
	v_add_co_ci_u32_e64 v15, null, 0, v18, s2
	s_mov_b32 s43, s13
	v_add_nc_u32_e32 v16, v17, v19
	v_mov_b32_e32 v17, v53
	s_branch .LBB14_14
.LBB14_12:                              ;   in Loop: Header=BB14_14 Depth=1
	s_or_b32 exec_lo, exec_lo, s44
.LBB14_13:                              ;   in Loop: Header=BB14_14 Depth=1
	s_or_b32 exec_lo, exec_lo, s3
	v_add_nc_u32_e32 v17, 4, v17
	v_add_co_u32 v1, s3, v1, 16
	v_add_co_ci_u32_e64 v2, null, 0, v2, s3
	v_cmp_le_i32_e64 s2, s16, v17
	v_add_nc_u32_e32 v8, 32, v8
	v_add_nc_u32_e32 v13, 0x80, v13
	s_or_b32 s15, s2, s15
	s_andn2_b32 exec_lo, exec_lo, s15
	s_cbranch_execz .LBB14_21
.LBB14_14:                              ; =>This Inner Loop Header: Depth=1
	v_sub_nc_u32_e32 v18, 0, v8
	v_max_i32_e32 v18, v8, v18
	s_waitcnt lgkmcnt(0)
	v_mul_hi_u32 v19, v18, s12
	v_mul_lo_u32 v20, v19, s11
	v_sub_nc_u32_e32 v18, v18, v20
	v_add_nc_u32_e32 v20, 1, v19
	v_subrev_nc_u32_e32 v21, s11, v18
	v_cmp_le_u32_e64 s2, s11, v18
	v_cndmask_b32_e64 v19, v19, v20, s2
	v_cndmask_b32_e64 v18, v18, v21, s2
	v_ashrrev_i32_e32 v20, 31, v8
	v_add_nc_u32_e32 v21, 1, v19
	v_cmp_le_u32_e64 s2, s11, v18
	v_xor_b32_e32 v20, s19, v20
	v_cndmask_b32_e64 v18, v19, v21, s2
	v_xor_b32_e32 v18, v18, v20
	v_sub_nc_u32_e32 v18, v18, v20
	v_add_nc_u32_e32 v19, s33, v18
	v_cmp_ge_i32_e64 s3, s4, v18
	v_sub_nc_u32_e32 v20, 0, v19
	v_max_i32_e32 v20, v19, v20
	v_ashrrev_i32_e32 v19, 31, v19
	v_mul_hi_u32 v21, v20, v16
	v_mul_lo_u32 v21, v21, s5
	v_sub_nc_u32_e32 v20, v20, v21
	v_subrev_nc_u32_e32 v21, s5, v20
	v_cmp_le_u32_e64 s2, s5, v20
	v_cndmask_b32_e64 v20, v20, v21, s2
	v_subrev_nc_u32_e32 v21, s5, v20
	v_cmp_le_u32_e64 s2, s5, v20
	v_cndmask_b32_e64 v20, v20, v21, s2
	v_xor_b32_e32 v20, v20, v19
	v_sub_nc_u32_e32 v19, v20, v19
	v_cmp_ne_u32_e64 s2, 0, v19
	s_and_b32 s2, s2, s3
	s_and_saveexec_b32 s3, s2
	s_xor_b32 s2, exec_lo, s3
	s_cbranch_execz .LBB14_18
; %bb.15:                               ;   in Loop: Header=BB14_14 Depth=1
	s_and_saveexec_b32 s3, vcc_lo
; %bb.16:                               ;   in Loop: Header=BB14_14 Depth=1
	ds_write_b32 v13, v9
; %bb.17:                               ;   in Loop: Header=BB14_14 Depth=1
	s_or_b32 exec_lo, exec_lo, s3
.LBB14_18:                              ;   in Loop: Header=BB14_14 Depth=1
	s_andn2_saveexec_b32 s3, s2
	s_cbranch_execz .LBB14_13
; %bb.19:                               ;   in Loop: Header=BB14_14 Depth=1
	global_load_dword v18, v[1:2], off
	s_waitcnt vmcnt(0)
	v_mad_i64_i32 v[18:19], null, v18, s43, 0
	v_lshlrev_b64 v[18:19], 2, v[18:19]
	v_add_co_u32 v18, s2, v14, v18
	v_add_co_ci_u32_e64 v19, null, v15, v19, s2
	s_clause 0xf
	global_load_dword v26, v[18:19], off offset:128
	global_load_dword v27, v[18:19], off offset:256
	;; [unrolled: 1-line block ×7, first 2 shown]
	global_load_dword v33, v[18:19], off
	global_load_dword v34, v[18:19], off offset:1024
	global_load_dword v35, v[18:19], off offset:1152
	global_load_dword v36, v[18:19], off offset:1280
	global_load_dword v37, v[18:19], off offset:1408
	global_load_dword v38, v[18:19], off offset:1536
	global_load_dword v39, v[18:19], off offset:1664
	global_load_dword v40, v[18:19], off offset:1792
	global_load_dword v41, v[18:19], off offset:1920
	v_add_co_u32 v20, s2, v18, 0x1000
	v_add_co_ci_u32_e64 v21, null, 0, v19, s2
	v_add_co_u32 v22, s2, 0x800, v18
	v_add_co_ci_u32_e64 v23, null, 0, v19, s2
	s_clause 0xf
	global_load_dword v42, v[20:21], off offset:-2048
	global_load_dword v43, v[22:23], off offset:128
	global_load_dword v44, v[22:23], off offset:256
	;; [unrolled: 1-line block ×15, first 2 shown]
	v_add_co_u32 v18, s2, 0x1000, v18
	v_add_co_ci_u32_e64 v19, null, 0, v19, s2
	s_clause 0xf
	global_load_dword v62, v[20:21], off
	global_load_dword v63, v[18:19], off offset:128
	global_load_dword v64, v[18:19], off offset:256
	;; [unrolled: 1-line block ×15, first 2 shown]
	ds_read_b128 v[18:21], v7
	ds_read_b128 v[22:25], v7 offset:16
	v_cmp_gt_i32_e64 s2, 32, v10
	s_waitcnt vmcnt(47) lgkmcnt(1)
	v_mul_f32_e32 v26, v19, v26
	s_waitcnt vmcnt(40)
	v_fmac_f32_e32 v26, v18, v33
	v_fmac_f32_e32 v26, v20, v27
	;; [unrolled: 1-line block ×3, first 2 shown]
	ds_read_b128 v[18:21], v7 offset:32
	s_waitcnt lgkmcnt(1)
	v_fmac_f32_e32 v26, v22, v29
	v_fmac_f32_e32 v26, v23, v30
	;; [unrolled: 1-line block ×4, first 2 shown]
	ds_read_b128 v[22:25], v7 offset:48
	s_waitcnt vmcnt(39) lgkmcnt(1)
	v_fmac_f32_e32 v26, v18, v34
	s_waitcnt vmcnt(38)
	v_fmac_f32_e32 v26, v19, v35
	s_waitcnt vmcnt(37)
	v_fmac_f32_e32 v26, v20, v36
	s_waitcnt vmcnt(36)
	v_fmac_f32_e32 v26, v21, v37
	ds_read_b128 v[18:21], v7 offset:64
	s_waitcnt vmcnt(35) lgkmcnt(1)
	v_fmac_f32_e32 v26, v22, v38
	s_waitcnt vmcnt(34)
	v_fmac_f32_e32 v26, v23, v39
	s_waitcnt vmcnt(33)
	v_fmac_f32_e32 v26, v24, v40
	s_waitcnt vmcnt(32)
	v_fmac_f32_e32 v26, v25, v41
	;; [unrolled: 9-line block ×8, first 2 shown]
	ds_read_b128 v[22:25], v7 offset:176
	s_waitcnt vmcnt(7) lgkmcnt(1)
	v_fmac_f32_e32 v26, v18, v70
	v_cndmask_b32_e64 v18, v4, v10, s2
	v_cmp_gt_i32_e64 s2, 32, v11
	s_waitcnt vmcnt(6)
	v_fmac_f32_e32 v26, v19, v71
	v_lshlrev_b32_e32 v18, 2, v18
	v_cndmask_b32_e64 v19, v4, v11, s2
	s_waitcnt vmcnt(5)
	v_fmac_f32_e32 v26, v20, v72
	v_lshlrev_b32_e32 v19, 2, v19
	s_waitcnt vmcnt(4)
	v_fmac_f32_e32 v26, v21, v73
	s_waitcnt vmcnt(3) lgkmcnt(0)
	v_fmac_f32_e32 v26, v22, v74
	s_waitcnt vmcnt(2)
	v_fmac_f32_e32 v26, v23, v75
	s_waitcnt vmcnt(1)
	v_fmac_f32_e32 v26, v24, v76
	s_waitcnt vmcnt(0)
	v_fmac_f32_e32 v26, v25, v77
	ds_bpermute_b32 v18, v18, v26
	s_waitcnt lgkmcnt(0)
	v_add_f32_e32 v18, v26, v18
	ds_bpermute_b32 v19, v19, v18
	s_and_saveexec_b32 s44, vcc_lo
	s_cbranch_execz .LBB14_12
; %bb.20:                               ;   in Loop: Header=BB14_14 Depth=1
	v_add_nc_u32_e32 v20, v12, v8
	s_waitcnt lgkmcnt(0)
	v_add_f32_e32 v18, v18, v19
	v_cvt_f32_i32_e32 v20, v20
	v_mul_f32_e32 v20, s40, v20
	v_cndmask_b32_e64 v19, 0, v20, s1
	v_max_f32_e32 v20, v5, v5
	v_fmac_f32_e32 v19, s37, v18
	v_add_nc_u32_e32 v18, v6, v8
	v_max_f32_e32 v20, v20, v19
	v_cmp_gt_i32_e64 s2, s27, v18
	v_cndmask_b32_e64 v18, 0, v19, s2
	v_cndmask_b32_e64 v5, v5, v20, s2
	ds_write_b32 v13, v18
	s_branch .LBB14_12
.LBB14_21:
	s_or_b32 exec_lo, exec_lo, s15
.LBB14_22:
	s_or_b32 exec_lo, exec_lo, s42
	v_xor_b32_e32 v1, 16, v4
	v_xor_b32_e32 v6, 8, v4
	v_max_f32_e32 v7, v5, v5
	v_and_b32_e32 v58, 31, v0
	v_cmp_gt_i32_e32 vcc_lo, 32, v1
	v_cndmask_b32_e32 v1, v4, v1, vcc_lo
	v_cmp_gt_i32_e32 vcc_lo, 32, v6
	v_lshlrev_b32_e32 v2, 2, v1
	ds_bpermute_b32 v1, v2, v5
	v_cndmask_b32_e32 v5, v4, v6, vcc_lo
	v_lshlrev_b32_e32 v5, 2, v5
	s_waitcnt lgkmcnt(0)
	v_max_f32_e32 v1, v1, v1
	v_max_f32_e32 v1, v7, v1
	v_xor_b32_e32 v7, 4, v4
	ds_bpermute_b32 v6, v5, v1
	v_cmp_gt_i32_e32 vcc_lo, 32, v7
	v_cndmask_b32_e32 v7, v4, v7, vcc_lo
	v_cmp_eq_u32_e32 vcc_lo, 0, v58
	v_lshlrev_b32_e32 v8, 2, v7
	s_waitcnt lgkmcnt(0)
	v_max_f32_e32 v6, v6, v6
	v_max_f32_e32 v1, v1, v6
	v_lshlrev_b32_e32 v6, 2, v56
	ds_bpermute_b32 v7, v8, v1
	s_and_saveexec_b32 s1, vcc_lo
	s_cbranch_execz .LBB14_24
; %bb.23:
	s_waitcnt lgkmcnt(0)
	v_max_f32_e32 v7, v7, v7
	v_max_f32_e32 v1, v1, v1
	;; [unrolled: 1-line block ×3, first 2 shown]
	ds_write_b32 v6, v1 offset:768
.LBB14_24:
	s_or_b32 exec_lo, exec_lo, s1
	v_cmp_gt_u32_e64 s1, 4, v58
	v_mov_b32_e32 v1, 0xff7fffff
	s_waitcnt lgkmcnt(0)
	v_lshlrev_b32_e32 v7, 2, v58
	s_barrier
	buffer_gl0_inv
	s_and_saveexec_b32 s2, s1
; %bb.25:
	ds_read_b32 v1, v7 offset:768
; %bb.26:
	s_or_b32 exec_lo, exec_lo, s2
	v_xor_b32_e32 v9, 2, v4
	v_xor_b32_e32 v11, 1, v4
	v_cmp_gt_i32_e64 s2, 32, v9
	v_cndmask_b32_e64 v9, v4, v9, s2
	v_cmp_gt_i32_e64 s2, 32, v11
	v_lshlrev_b32_e32 v9, 2, v9
	v_cndmask_b32_e64 v4, v4, v11, s2
	s_sub_i32 s2, s16, s41
	s_lshl_b32 s2, s2, 3
	s_waitcnt lgkmcnt(0)
	ds_bpermute_b32 v10, v9, v1
	v_max_f32_e32 v1, v1, v1
	v_lshlrev_b32_e32 v59, 2, v4
	s_add_i32 s2, s2, s38
	s_min_i32 s2, s2, s27
	s_sub_i32 s4, s2, s38
	v_cmp_gt_i32_e64 s2, s4, v0
	s_waitcnt lgkmcnt(0)
	v_max_f32_e32 v10, v10, v10
	v_max_f32_e32 v1, v1, v10
	v_mov_b32_e32 v10, 0
	ds_bpermute_b32 v4, v59, v1
	s_waitcnt lgkmcnt(0)
	v_max_f32_e32 v4, v4, v4
	v_max_f32_e32 v1, v1, v4
	v_lshl_add_u32 v4, v0, 2, 0x320
	ds_bpermute_b32 v1, v10, v1
	s_and_saveexec_b32 s5, s2
	s_cbranch_execz .LBB14_30
; %bb.27:
	v_lshl_add_u32 v11, v0, 2, 0x320
	v_mov_b32_e32 v10, 0
	v_mov_b32_e32 v12, v0
	s_mov_b32 s15, 0
	.p2align	6
.LBB14_28:                              ; =>This Inner Loop Header: Depth=1
	ds_read_b32 v13, v11
	v_add_nc_u32_e32 v12, 0x80, v12
	v_cmp_le_i32_e64 s3, s4, v12
	s_or_b32 s15, s3, s15
	s_waitcnt lgkmcnt(0)
	v_sub_f32_e32 v13, v13, v1
	v_mul_f32_e32 v13, 0x3fb8aa3b, v13
	v_exp_f32_e32 v13, v13
	ds_write_b32 v11, v13
	v_add_f32_e32 v10, v10, v13
	v_add_nc_u32_e32 v11, 0x200, v11
	s_andn2_b32 exec_lo, exec_lo, s15
	s_cbranch_execnz .LBB14_28
; %bb.29:
	s_or_b32 exec_lo, exec_lo, s15
.LBB14_30:
	s_or_b32 exec_lo, exec_lo, s5
	ds_bpermute_b32 v2, v2, v10
	s_waitcnt lgkmcnt(0)
	v_add_f32_e32 v2, v10, v2
	ds_bpermute_b32 v5, v5, v2
	s_waitcnt lgkmcnt(0)
	v_add_f32_e32 v2, v2, v5
	;; [unrolled: 3-line block ×5, first 2 shown]
	s_and_saveexec_b32 s3, vcc_lo
; %bb.31:
	ds_write_b32 v6, v2 offset:784
; %bb.32:
	s_or_b32 exec_lo, exec_lo, s3
	s_waitcnt lgkmcnt(0)
	s_barrier
	buffer_gl0_inv
	s_and_saveexec_b32 s3, s1
; %bb.33:
	ds_read_b32 v2, v7 offset:784
; %bb.34:
	s_or_b32 exec_lo, exec_lo, s3
	s_waitcnt lgkmcnt(0)
	ds_bpermute_b32 v5, v9, v2
	s_waitcnt lgkmcnt(0)
	v_add_f32_e32 v2, v2, v5
	ds_bpermute_b32 v5, v59, v2
	s_waitcnt lgkmcnt(0)
	v_add_f32_e32 v2, v2, v5
	v_mov_b32_e32 v5, 0
	ds_bpermute_b32 v2, v5, v2
	s_and_saveexec_b32 s1, s2
	s_cbranch_execz .LBB14_37
; %bb.35:
	s_waitcnt lgkmcnt(0)
	v_add_f32_e32 v5, 0x358637bd, v2
	s_mov_b32 s2, 0
	v_div_scale_f32 v6, null, v5, v5, 1.0
	v_div_scale_f32 v9, vcc_lo, 1.0, v5, 1.0
	v_rcp_f32_e32 v7, v6
	v_fma_f32 v8, -v6, v7, 1.0
	v_fmac_f32_e32 v7, v8, v7
	v_mul_f32_e32 v8, v9, v7
	v_fma_f32 v10, -v6, v8, v9
	v_fmac_f32_e32 v8, v10, v7
	v_fma_f32 v6, -v6, v8, v9
	v_div_fmas_f32 v6, v6, v7, v8
	v_div_fixup_f32 v5, v6, v5, 1.0
	v_mov_b32_e32 v6, v0
.LBB14_36:                              ; =>This Inner Loop Header: Depth=1
	ds_read_b32 v7, v4
	v_add_nc_u32_e32 v6, 0x80, v6
	v_cmp_le_i32_e32 vcc_lo, s4, v6
	s_or_b32 s2, vcc_lo, s2
	s_waitcnt lgkmcnt(0)
	v_mul_f32_e32 v7, v5, v7
	ds_write_b32 v4, v7
	v_add_nc_u32_e32 v4, 0x200, v4
	s_andn2_b32 exec_lo, exec_lo, s2
	s_cbranch_execnz .LBB14_36
.LBB14_37:
	s_or_b32 exec_lo, exec_lo, s1
	s_mul_i32 s1, s7, s26
	s_waitcnt lgkmcnt(0)
	s_mul_i32 s4, s1, s9
	s_mov_b32 s1, exec_lo
	s_barrier
	buffer_gl0_inv
	v_cmpx_eq_u32_e32 0, v0
	s_cbranch_execz .LBB14_39
; %bb.38:
	s_ashr_i32 s5, s4, 31
	s_mul_i32 s40, s7, s6
	s_lshl_b64 s[2:3], s[4:5], 2
	v_mov_b32_e32 v4, 0
	s_add_u32 s5, s22, s2
	s_addc_u32 s6, s23, s3
	s_ashr_i32 s41, s40, 31
	s_lshl_b64 s[22:23], s[40:41], 2
	s_add_u32 s5, s5, s22
	s_addc_u32 s6, s6, s23
	s_ashr_i32 s9, s8, 31
	s_lshl_b64 s[40:41], s[8:9], 2
	s_add_u32 s42, s5, s40
	s_addc_u32 s43, s6, s41
	s_add_u32 s2, s20, s2
	s_addc_u32 s3, s21, s3
	;; [unrolled: 2-line block ×4, first 2 shown]
	global_store_dword v4, v1, s[42:43]
	global_store_dword v4, v2, s[2:3]
.LBB14_39:
	s_or_b32 exec_lo, exec_lo, s1
	v_mov_b32_e32 v72, 0
	v_and_b32_e32 v60, 1, v0
	v_mov_b32_e32 v71, 0
	v_mov_b32_e32 v70, 0
	;; [unrolled: 1-line block ×11, first 2 shown]
	s_and_saveexec_b32 s3, s0
	s_cbranch_execz .LBB14_69
; %bb.40:
	s_ashr_i32 s15, s14, 31
	s_sub_i32 s5, s39, s17
	s_lshl_b64 s[0:1], s[14:15], 2
	v_and_b32_e32 v73, 4, v3
	s_add_u32 s2, s34, s0
	s_addc_u32 s9, s35, s1
	s_abs_i32 s6, s18
	v_lshlrev_b32_e32 v3, 4, v0
	v_cvt_f32_u32_e32 v1, s6
	s_sub_i32 s0, 0, s6
	v_lshlrev_b32_e32 v5, 4, v60
	s_add_i32 s36, s36, -1
	v_and_b32_e32 v3, 0x1f0, v3
	v_rcp_iflag_f32_e32 v4, v1
	v_lshlrev_b64 v[1:2], 2, v[53:54]
	v_lshl_or_b32 v5, v56, 5, v5
	v_mov_b32_e32 v61, 0
	v_add_co_u32 v74, s2, s2, v3
	v_mov_b32_e32 v62, 0
	v_mov_b32_e32 v63, 0
	;; [unrolled: 1-line block ×4, first 2 shown]
	v_mul_f32_e32 v4, 0x4f7ffffe, v4
	v_mov_b32_e32 v66, 0
	v_mov_b32_e32 v67, 0
	;; [unrolled: 1-line block ×4, first 2 shown]
	v_cvt_u32_f32_e32 v4, v4
	v_mov_b32_e32 v70, 0
	v_mov_b32_e32 v71, 0
	v_add_co_ci_u32_e64 v75, null, s9, 0, s2
	v_mul_lo_u32 v6, s0, v4
	s_lshl_b64 s[0:1], s[30:31], 2
	v_add_nc_u32_e32 v76, 0x320, v5
	s_add_u32 s0, s28, s0
	s_addc_u32 s1, s29, s1
	v_add_co_u32 v54, vcc_lo, s0, v1
	v_add_co_ci_u32_e64 v55, null, s1, v2, vcc_lo
	v_mul_hi_u32 v6, v4, v6
	v_mov_b32_e32 v72, 0
	s_mov_b32 s9, 0
	v_add_nc_u32_e32 v77, v4, v6
	s_branch .LBB14_43
.LBB14_41:                              ;   in Loop: Header=BB14_43 Depth=1
	s_or_b32 exec_lo, exec_lo, s15
	s_waitcnt vmcnt(1) lgkmcnt(0)
	v_mul_f32_e32 v49, v1, v49
	v_mul_f32_e32 v45, v1, v45
	;; [unrolled: 1-line block ×11, first 2 shown]
	s_waitcnt vmcnt(0)
	v_mul_f32_e32 v1, v1, v41
	v_fmac_f32_e32 v49, v2, v50
	v_fmac_f32_e32 v45, v2, v46
	;; [unrolled: 1-line block ×36, first 2 shown]
	v_add_f32_e32 v62, v62, v49
	v_add_f32_e32 v63, v63, v45
	;; [unrolled: 1-line block ×12, first 2 shown]
.LBB14_42:                              ;   in Loop: Header=BB14_43 Depth=1
	s_or_b32 exec_lo, exec_lo, s14
	v_add_nc_u32_e32 v53, 4, v53
	v_add_co_u32 v54, s0, v54, 16
	v_add_co_ci_u32_e64 v55, null, 0, v55, s0
	v_cmp_le_i32_e32 vcc_lo, s16, v53
	v_add_nc_u32_e32 v57, 32, v57
	v_add_nc_u32_e32 v76, 0x80, v76
	s_or_b32 s9, vcc_lo, s9
	s_andn2_b32 exec_lo, exec_lo, s9
	s_cbranch_execz .LBB14_68
.LBB14_43:                              ; =>This Inner Loop Header: Depth=1
	v_sub_nc_u32_e32 v1, 0, v57
	v_max_i32_e32 v1, v57, v1
	v_mul_hi_u32 v2, v1, s12
	v_mul_lo_u32 v3, v2, s11
	v_sub_nc_u32_e32 v1, v1, v3
	v_add_nc_u32_e32 v3, 1, v2
	v_subrev_nc_u32_e32 v4, s11, v1
	v_cmp_le_u32_e32 vcc_lo, s11, v1
	v_cndmask_b32_e32 v2, v2, v3, vcc_lo
	v_cndmask_b32_e32 v1, v1, v4, vcc_lo
	v_ashrrev_i32_e32 v3, 31, v57
	v_add_nc_u32_e32 v4, 1, v2
	v_cmp_le_u32_e32 vcc_lo, s11, v1
	v_xor_b32_e32 v3, s19, v3
	v_cndmask_b32_e32 v1, v2, v4, vcc_lo
	v_xor_b32_e32 v1, v1, v3
	v_sub_nc_u32_e32 v1, v1, v3
	v_add_nc_u32_e32 v2, s33, v1
	v_cmp_lt_i32_e64 s0, s5, v1
	v_sub_nc_u32_e32 v3, 0, v2
	v_max_i32_e32 v3, v2, v3
	v_ashrrev_i32_e32 v2, 31, v2
	v_mul_hi_u32 v4, v3, v77
	v_mul_lo_u32 v4, v4, s6
	v_sub_nc_u32_e32 v3, v3, v4
	v_subrev_nc_u32_e32 v4, s6, v3
	v_cmp_le_u32_e32 vcc_lo, s6, v3
	v_cndmask_b32_e32 v3, v3, v4, vcc_lo
	v_subrev_nc_u32_e32 v4, s6, v3
	v_cmp_le_u32_e32 vcc_lo, s6, v3
	v_cndmask_b32_e32 v3, v3, v4, vcc_lo
	v_xor_b32_e32 v3, v3, v2
	v_sub_nc_u32_e32 v2, v3, v2
	v_cmp_eq_u32_e32 vcc_lo, 0, v2
	s_or_b32 s0, vcc_lo, s0
	s_and_saveexec_b32 s14, s0
	s_cbranch_execz .LBB14_42
; %bb.44:                               ;   in Loop: Header=BB14_43 Depth=1
	global_load_dword v1, v[54:55], off
	v_add_nc_u32_e32 v78, v73, v57
	v_add_nc_u32_e32 v81, 1, v78
	;; [unrolled: 1-line block ×4, first 2 shown]
	s_waitcnt vmcnt(0)
	v_mad_i64_i32 v[1:2], null, v1, s13, 0
	v_lshlrev_b64 v[1:2], 2, v[1:2]
	v_add_co_u32 v37, vcc_lo, v74, v1
	v_add_co_ci_u32_e64 v38, null, v75, v2, vcc_lo
	ds_read_b128 v[1:4], v76
	v_cmp_eq_u32_e32 vcc_lo, s36, v53
	global_load_dwordx4 v[5:8], v[37:38], off
	s_and_saveexec_b32 s1, vcc_lo
	s_cbranch_execnz .LBB14_58
; %bb.45:                               ;   in Loop: Header=BB14_43 Depth=1
	s_or_b32 exec_lo, exec_lo, s1
	global_load_dwordx4 v[9:12], v[37:38], off offset:512
	s_and_saveexec_b32 s1, vcc_lo
	s_cbranch_execnz .LBB14_59
.LBB14_46:                              ;   in Loop: Header=BB14_43 Depth=1
	s_or_b32 exec_lo, exec_lo, s1
	global_load_dwordx4 v[13:16], v[37:38], off offset:1024
	s_and_saveexec_b32 s1, vcc_lo
	s_cbranch_execnz .LBB14_60
.LBB14_47:                              ;   in Loop: Header=BB14_43 Depth=1
	s_or_b32 exec_lo, exec_lo, s1
	global_load_dwordx4 v[17:20], v[37:38], off offset:1536
	s_and_saveexec_b32 s1, vcc_lo
	s_cbranch_execz .LBB14_49
.LBB14_48:                              ;   in Loop: Header=BB14_43 Depth=1
	v_cmp_gt_i32_e64 s0, s27, v78
	s_waitcnt vmcnt(0)
	v_cndmask_b32_e64 v17, 0, v17, s0
	v_cmp_gt_i32_e64 s0, s27, v81
	v_cndmask_b32_e64 v18, 0, v18, s0
	v_cmp_gt_i32_e64 s0, s27, v80
	;; [unrolled: 2-line block ×3, first 2 shown]
	v_cndmask_b32_e64 v20, 0, v20, s0
.LBB14_49:                              ;   in Loop: Header=BB14_43 Depth=1
	s_or_b32 exec_lo, exec_lo, s1
	v_add_co_u32 v33, s0, 0x800, v37
	v_add_co_ci_u32_e64 v34, null, 0, v38, s0
	global_load_dwordx4 v[21:24], v[33:34], off
	s_and_saveexec_b32 s1, vcc_lo
	s_cbranch_execnz .LBB14_61
; %bb.50:                               ;   in Loop: Header=BB14_43 Depth=1
	s_or_b32 exec_lo, exec_lo, s1
	global_load_dwordx4 v[25:28], v[33:34], off offset:512
	s_and_saveexec_b32 s1, vcc_lo
	s_cbranch_execnz .LBB14_62
.LBB14_51:                              ;   in Loop: Header=BB14_43 Depth=1
	s_or_b32 exec_lo, exec_lo, s1
	global_load_dwordx4 v[29:32], v[33:34], off offset:1024
	s_and_saveexec_b32 s1, vcc_lo
	s_cbranch_execnz .LBB14_63
.LBB14_52:                              ;   in Loop: Header=BB14_43 Depth=1
	s_or_b32 exec_lo, exec_lo, s1
	global_load_dwordx4 v[33:36], v[33:34], off offset:1536
	s_and_saveexec_b32 s1, vcc_lo
	s_cbranch_execz .LBB14_54
.LBB14_53:                              ;   in Loop: Header=BB14_43 Depth=1
	v_cmp_gt_i32_e64 s0, s27, v78
	s_waitcnt vmcnt(0)
	v_cndmask_b32_e64 v33, 0, v33, s0
	v_cmp_gt_i32_e64 s0, s27, v81
	v_cndmask_b32_e64 v34, 0, v34, s0
	v_cmp_gt_i32_e64 s0, s27, v80
	;; [unrolled: 2-line block ×3, first 2 shown]
	v_cndmask_b32_e64 v36, 0, v36, s0
.LBB14_54:                              ;   in Loop: Header=BB14_43 Depth=1
	s_or_b32 exec_lo, exec_lo, s1
	v_add_co_u32 v41, s0, 0x1000, v37
	v_add_co_ci_u32_e64 v42, null, 0, v38, s0
	global_load_dwordx4 v[37:40], v[41:42], off
	s_and_saveexec_b32 s1, vcc_lo
	s_cbranch_execnz .LBB14_64
; %bb.55:                               ;   in Loop: Header=BB14_43 Depth=1
	s_or_b32 exec_lo, exec_lo, s1
	global_load_dwordx4 v[45:48], v[41:42], off offset:512
	s_and_saveexec_b32 s1, vcc_lo
	s_cbranch_execnz .LBB14_65
.LBB14_56:                              ;   in Loop: Header=BB14_43 Depth=1
	s_or_b32 exec_lo, exec_lo, s1
	global_load_dwordx4 v[49:52], v[41:42], off offset:1024
	s_and_saveexec_b32 s1, vcc_lo
	s_cbranch_execnz .LBB14_66
.LBB14_57:                              ;   in Loop: Header=BB14_43 Depth=1
	s_or_b32 exec_lo, exec_lo, s1
	global_load_dwordx4 v[41:44], v[41:42], off offset:1536
	s_and_saveexec_b32 s15, vcc_lo
	s_cbranch_execz .LBB14_41
	s_branch .LBB14_67
.LBB14_58:                              ;   in Loop: Header=BB14_43 Depth=1
	v_cmp_gt_i32_e64 s0, s27, v78
	s_waitcnt vmcnt(0)
	v_cndmask_b32_e64 v5, 0, v5, s0
	v_cmp_gt_i32_e64 s0, s27, v81
	v_cndmask_b32_e64 v6, 0, v6, s0
	v_cmp_gt_i32_e64 s0, s27, v80
	;; [unrolled: 2-line block ×3, first 2 shown]
	v_cndmask_b32_e64 v8, 0, v8, s0
	s_or_b32 exec_lo, exec_lo, s1
	global_load_dwordx4 v[9:12], v[37:38], off offset:512
	s_and_saveexec_b32 s1, vcc_lo
	s_cbranch_execz .LBB14_46
.LBB14_59:                              ;   in Loop: Header=BB14_43 Depth=1
	v_cmp_gt_i32_e64 s0, s27, v78
	s_waitcnt vmcnt(0)
	v_cndmask_b32_e64 v9, 0, v9, s0
	v_cmp_gt_i32_e64 s0, s27, v81
	v_cndmask_b32_e64 v10, 0, v10, s0
	v_cmp_gt_i32_e64 s0, s27, v80
	;; [unrolled: 2-line block ×3, first 2 shown]
	v_cndmask_b32_e64 v12, 0, v12, s0
	s_or_b32 exec_lo, exec_lo, s1
	global_load_dwordx4 v[13:16], v[37:38], off offset:1024
	s_and_saveexec_b32 s1, vcc_lo
	s_cbranch_execz .LBB14_47
.LBB14_60:                              ;   in Loop: Header=BB14_43 Depth=1
	v_cmp_gt_i32_e64 s0, s27, v78
	s_waitcnt vmcnt(0)
	v_cndmask_b32_e64 v13, 0, v13, s0
	v_cmp_gt_i32_e64 s0, s27, v81
	v_cndmask_b32_e64 v14, 0, v14, s0
	v_cmp_gt_i32_e64 s0, s27, v80
	v_cndmask_b32_e64 v15, 0, v15, s0
	v_cmp_gt_i32_e64 s0, s27, v79
	v_cndmask_b32_e64 v16, 0, v16, s0
	s_or_b32 exec_lo, exec_lo, s1
	global_load_dwordx4 v[17:20], v[37:38], off offset:1536
	s_and_saveexec_b32 s1, vcc_lo
	s_cbranch_execnz .LBB14_48
	s_branch .LBB14_49
.LBB14_61:                              ;   in Loop: Header=BB14_43 Depth=1
	v_cmp_gt_i32_e64 s0, s27, v78
	s_waitcnt vmcnt(0)
	v_cndmask_b32_e64 v21, 0, v21, s0
	v_cmp_gt_i32_e64 s0, s27, v81
	v_cndmask_b32_e64 v22, 0, v22, s0
	v_cmp_gt_i32_e64 s0, s27, v80
	;; [unrolled: 2-line block ×3, first 2 shown]
	v_cndmask_b32_e64 v24, 0, v24, s0
	s_or_b32 exec_lo, exec_lo, s1
	global_load_dwordx4 v[25:28], v[33:34], off offset:512
	s_and_saveexec_b32 s1, vcc_lo
	s_cbranch_execz .LBB14_51
.LBB14_62:                              ;   in Loop: Header=BB14_43 Depth=1
	v_cmp_gt_i32_e64 s0, s27, v78
	s_waitcnt vmcnt(0)
	v_cndmask_b32_e64 v25, 0, v25, s0
	v_cmp_gt_i32_e64 s0, s27, v81
	v_cndmask_b32_e64 v26, 0, v26, s0
	v_cmp_gt_i32_e64 s0, s27, v80
	;; [unrolled: 2-line block ×3, first 2 shown]
	v_cndmask_b32_e64 v28, 0, v28, s0
	s_or_b32 exec_lo, exec_lo, s1
	global_load_dwordx4 v[29:32], v[33:34], off offset:1024
	s_and_saveexec_b32 s1, vcc_lo
	s_cbranch_execz .LBB14_52
.LBB14_63:                              ;   in Loop: Header=BB14_43 Depth=1
	v_cmp_gt_i32_e64 s0, s27, v78
	s_waitcnt vmcnt(0)
	v_cndmask_b32_e64 v29, 0, v29, s0
	v_cmp_gt_i32_e64 s0, s27, v81
	v_cndmask_b32_e64 v30, 0, v30, s0
	v_cmp_gt_i32_e64 s0, s27, v80
	;; [unrolled: 2-line block ×3, first 2 shown]
	v_cndmask_b32_e64 v32, 0, v32, s0
	s_or_b32 exec_lo, exec_lo, s1
	global_load_dwordx4 v[33:36], v[33:34], off offset:1536
	s_and_saveexec_b32 s1, vcc_lo
	s_cbranch_execnz .LBB14_53
	s_branch .LBB14_54
.LBB14_64:                              ;   in Loop: Header=BB14_43 Depth=1
	v_cmp_gt_i32_e64 s0, s27, v78
	s_waitcnt vmcnt(0)
	v_cndmask_b32_e64 v37, 0, v37, s0
	v_cmp_gt_i32_e64 s0, s27, v81
	v_cndmask_b32_e64 v38, 0, v38, s0
	v_cmp_gt_i32_e64 s0, s27, v80
	;; [unrolled: 2-line block ×3, first 2 shown]
	v_cndmask_b32_e64 v40, 0, v40, s0
	s_or_b32 exec_lo, exec_lo, s1
	global_load_dwordx4 v[45:48], v[41:42], off offset:512
	s_and_saveexec_b32 s1, vcc_lo
	s_cbranch_execz .LBB14_56
.LBB14_65:                              ;   in Loop: Header=BB14_43 Depth=1
	v_cmp_gt_i32_e64 s0, s27, v78
	s_waitcnt vmcnt(0)
	v_cndmask_b32_e64 v45, 0, v45, s0
	v_cmp_gt_i32_e64 s0, s27, v81
	v_cndmask_b32_e64 v46, 0, v46, s0
	v_cmp_gt_i32_e64 s0, s27, v80
	;; [unrolled: 2-line block ×3, first 2 shown]
	v_cndmask_b32_e64 v48, 0, v48, s0
	s_or_b32 exec_lo, exec_lo, s1
	global_load_dwordx4 v[49:52], v[41:42], off offset:1024
	s_and_saveexec_b32 s1, vcc_lo
	s_cbranch_execz .LBB14_57
.LBB14_66:                              ;   in Loop: Header=BB14_43 Depth=1
	v_cmp_gt_i32_e64 s0, s27, v78
	s_waitcnt vmcnt(0)
	v_cndmask_b32_e64 v49, 0, v49, s0
	v_cmp_gt_i32_e64 s0, s27, v81
	v_cndmask_b32_e64 v50, 0, v50, s0
	v_cmp_gt_i32_e64 s0, s27, v80
	;; [unrolled: 2-line block ×3, first 2 shown]
	v_cndmask_b32_e64 v52, 0, v52, s0
	s_or_b32 exec_lo, exec_lo, s1
	global_load_dwordx4 v[41:44], v[41:42], off offset:1536
	s_and_saveexec_b32 s15, vcc_lo
	s_cbranch_execz .LBB14_41
.LBB14_67:                              ;   in Loop: Header=BB14_43 Depth=1
	v_cmp_gt_i32_e32 vcc_lo, s27, v78
	v_cmp_gt_i32_e64 s0, s27, v81
	v_cmp_gt_i32_e64 s1, s27, v80
	;; [unrolled: 1-line block ×3, first 2 shown]
	s_waitcnt vmcnt(0)
	v_cndmask_b32_e32 v41, 0, v41, vcc_lo
	v_cndmask_b32_e64 v42, 0, v42, s0
	v_cndmask_b32_e64 v43, 0, v43, s1
	;; [unrolled: 1-line block ×3, first 2 shown]
	s_branch .LBB14_41
.LBB14_68:
	s_or_b32 exec_lo, exec_lo, s9
.LBB14_69:
	s_or_b32 exec_lo, exec_lo, s3
	ds_bpermute_b32 v1, v59, v72
	ds_bpermute_b32 v2, v59, v71
	;; [unrolled: 1-line block ×12, first 2 shown]
	v_lshrrev_b32_e32 v13, 1, v58
	v_and_b32_e32 v16, 0x3c1, v0
	v_mul_u32_u24_e32 v15, 0x300, v56
	s_mov_b32 s0, exec_lo
	s_waitcnt lgkmcnt(0)
	s_waitcnt_vscnt null, 0x0
	v_lshl_add_u32 v14, v13, 2, 0x320
	s_barrier
	buffer_gl0_inv
	v_add_f32_e32 v1, v72, v1
	v_add_f32_e32 v2, v71, v2
	;; [unrolled: 1-line block ×12, first 2 shown]
	v_cmpx_eq_u32_e32 64, v16
	s_cbranch_execz .LBB14_71
; %bb.70:
	v_add_nc_u32_e32 v16, v14, v15
	v_add_nc_u32_e32 v17, 0xfffffa00, v16
	;; [unrolled: 1-line block ×8, first 2 shown]
	ds_write_b32 v17, v1
	ds_write_b32 v18, v2
	;; [unrolled: 1-line block ×7, first 2 shown]
	v_add_nc_u32_e32 v17, 0xfffffbc0, v16
	v_add_nc_u32_e32 v18, 0xfffffc00, v16
	;; [unrolled: 1-line block ×5, first 2 shown]
	ds_write_b32 v17, v8
	ds_write_b32 v18, v9
	;; [unrolled: 1-line block ×5, first 2 shown]
.LBB14_71:
	s_or_b32 exec_lo, exec_lo, s0
	v_lshlrev_b32_e32 v13, 2, v13
	s_mov_b32 s1, exec_lo
	v_cmp_eq_u32_e32 vcc_lo, 0, v60
	s_waitcnt lgkmcnt(0)
	s_barrier
	v_add3_u32 v13, 0x320, v15, v13
	buffer_gl0_inv
	v_cmpx_gt_u32_e32 64, v0
	s_cbranch_execz .LBB14_86
; %bb.72:
	s_and_saveexec_b32 s0, vcc_lo
	s_cbranch_execnz .LBB14_106
; %bb.73:
	s_or_b32 exec_lo, exec_lo, s0
	s_and_saveexec_b32 s0, vcc_lo
	s_cbranch_execnz .LBB14_107
.LBB14_74:
	s_or_b32 exec_lo, exec_lo, s0
	s_and_saveexec_b32 s0, vcc_lo
	s_cbranch_execnz .LBB14_108
.LBB14_75:
	s_or_b32 exec_lo, exec_lo, s0
	s_and_saveexec_b32 s0, vcc_lo
	s_cbranch_execnz .LBB14_109
.LBB14_76:
	s_or_b32 exec_lo, exec_lo, s0
	s_and_saveexec_b32 s0, vcc_lo
	s_cbranch_execnz .LBB14_110
.LBB14_77:
	s_or_b32 exec_lo, exec_lo, s0
	s_and_saveexec_b32 s0, vcc_lo
	s_cbranch_execnz .LBB14_111
.LBB14_78:
	s_or_b32 exec_lo, exec_lo, s0
	s_and_saveexec_b32 s0, vcc_lo
	s_cbranch_execnz .LBB14_112
.LBB14_79:
	s_or_b32 exec_lo, exec_lo, s0
	s_and_saveexec_b32 s0, vcc_lo
	s_cbranch_execnz .LBB14_113
.LBB14_80:
	s_or_b32 exec_lo, exec_lo, s0
	s_and_saveexec_b32 s0, vcc_lo
	s_cbranch_execnz .LBB14_114
.LBB14_81:
	s_or_b32 exec_lo, exec_lo, s0
	s_and_saveexec_b32 s0, vcc_lo
	s_cbranch_execnz .LBB14_115
.LBB14_82:
	s_or_b32 exec_lo, exec_lo, s0
	s_and_saveexec_b32 s0, vcc_lo
	s_cbranch_execnz .LBB14_116
.LBB14_83:
	s_or_b32 exec_lo, exec_lo, s0
	s_and_saveexec_b32 s0, vcc_lo
	s_cbranch_execz .LBB14_85
.LBB14_84:
	ds_read_b32 v15, v13 offset:704
	s_waitcnt lgkmcnt(0)
	v_add_f32_e32 v12, v12, v15
.LBB14_85:
	s_or_b32 exec_lo, exec_lo, s0
.LBB14_86:
	s_or_b32 exec_lo, exec_lo, s1
	v_and_b32_e32 v15, 0x3e1, v0
	s_mov_b32 s1, exec_lo
	s_barrier
	buffer_gl0_inv
	v_cmpx_eq_u32_e32 32, v15
	s_cbranch_execz .LBB14_88
; %bb.87:
	ds_write2_b32 v14, v1, v2 offset1:16
	ds_write2_b32 v14, v3, v4 offset0:32 offset1:48
	ds_write2_b32 v14, v5, v6 offset0:64 offset1:80
	;; [unrolled: 1-line block ×5, first 2 shown]
.LBB14_88:
	s_or_b32 exec_lo, exec_lo, s1
	s_mov_b32 s1, exec_lo
	s_waitcnt lgkmcnt(0)
	s_barrier
	buffer_gl0_inv
	v_cmpx_gt_u32_e32 32, v0
	s_cbranch_execz .LBB14_103
; %bb.89:
	s_and_saveexec_b32 s0, vcc_lo
	s_cbranch_execnz .LBB14_117
; %bb.90:
	s_or_b32 exec_lo, exec_lo, s0
	s_and_saveexec_b32 s0, vcc_lo
	s_cbranch_execnz .LBB14_118
.LBB14_91:
	s_or_b32 exec_lo, exec_lo, s0
	s_and_saveexec_b32 s0, vcc_lo
	s_cbranch_execnz .LBB14_119
.LBB14_92:
	s_or_b32 exec_lo, exec_lo, s0
	s_and_saveexec_b32 s0, vcc_lo
	s_cbranch_execnz .LBB14_120
.LBB14_93:
	s_or_b32 exec_lo, exec_lo, s0
	s_and_saveexec_b32 s0, vcc_lo
	s_cbranch_execnz .LBB14_121
.LBB14_94:
	s_or_b32 exec_lo, exec_lo, s0
	s_and_saveexec_b32 s0, vcc_lo
	s_cbranch_execnz .LBB14_122
.LBB14_95:
	s_or_b32 exec_lo, exec_lo, s0
	s_and_saveexec_b32 s0, vcc_lo
	s_cbranch_execnz .LBB14_123
.LBB14_96:
	s_or_b32 exec_lo, exec_lo, s0
	s_and_saveexec_b32 s0, vcc_lo
	s_cbranch_execnz .LBB14_124
.LBB14_97:
	s_or_b32 exec_lo, exec_lo, s0
	s_and_saveexec_b32 s0, vcc_lo
	s_cbranch_execnz .LBB14_125
.LBB14_98:
	s_or_b32 exec_lo, exec_lo, s0
	s_and_saveexec_b32 s0, vcc_lo
	s_cbranch_execnz .LBB14_126
.LBB14_99:
	s_or_b32 exec_lo, exec_lo, s0
	s_and_saveexec_b32 s0, vcc_lo
	s_cbranch_execnz .LBB14_127
.LBB14_100:
	s_or_b32 exec_lo, exec_lo, s0
	s_and_saveexec_b32 s0, vcc_lo
	s_cbranch_execz .LBB14_102
.LBB14_101:
	ds_read_b32 v13, v13 offset:704
	s_waitcnt lgkmcnt(0)
	v_add_f32_e32 v12, v12, v13
.LBB14_102:
	s_or_b32 exec_lo, exec_lo, s0
.LBB14_103:
	s_or_b32 exec_lo, exec_lo, s1
	s_barrier
	buffer_gl0_inv
	s_mov_b32 s0, exec_lo
	v_cmpx_eq_u32_e32 0, v15
	s_cbranch_execz .LBB14_105
; %bb.104:
	s_mul_i32 s0, s4, 0xc0
	s_mul_i32 s2, s7, s10
	s_ashr_i32 s1, s0, 31
	v_lshlrev_b32_e32 v0, 1, v0
	s_lshl_b64 s[0:1], s[0:1], 2
	s_add_u32 s4, s24, s0
	s_addc_u32 s5, s25, s1
	s_ashr_i32 s3, s2, 31
	s_lshl_b64 s[0:1], s[2:3], 2
	s_mul_i32 s2, s8, 0xc0
	s_add_u32 s4, s4, s0
	s_addc_u32 s5, s5, s1
	s_ashr_i32 s3, s2, 31
	s_lshl_b64 s[0:1], s[2:3], 2
	s_add_u32 s0, s4, s0
	s_addc_u32 s1, s5, s1
	global_store_dword v0, v1, s[0:1]
	global_store_dword v0, v2, s[0:1] offset:64
	global_store_dword v0, v3, s[0:1] offset:128
	;; [unrolled: 1-line block ×11, first 2 shown]
.LBB14_105:
	s_endpgm
.LBB14_106:
	ds_read_b32 v15, v13
	s_waitcnt lgkmcnt(0)
	v_add_f32_e32 v1, v1, v15
	s_or_b32 exec_lo, exec_lo, s0
	s_and_saveexec_b32 s0, vcc_lo
	s_cbranch_execz .LBB14_74
.LBB14_107:
	ds_read_b32 v15, v13 offset:64
	s_waitcnt lgkmcnt(0)
	v_add_f32_e32 v2, v2, v15
	s_or_b32 exec_lo, exec_lo, s0
	s_and_saveexec_b32 s0, vcc_lo
	s_cbranch_execz .LBB14_75
.LBB14_108:
	ds_read_b32 v15, v13 offset:128
	s_waitcnt lgkmcnt(0)
	v_add_f32_e32 v3, v3, v15
	s_or_b32 exec_lo, exec_lo, s0
	s_and_saveexec_b32 s0, vcc_lo
	s_cbranch_execz .LBB14_76
.LBB14_109:
	ds_read_b32 v15, v13 offset:192
	s_waitcnt lgkmcnt(0)
	v_add_f32_e32 v4, v4, v15
	s_or_b32 exec_lo, exec_lo, s0
	s_and_saveexec_b32 s0, vcc_lo
	s_cbranch_execz .LBB14_77
.LBB14_110:
	ds_read_b32 v15, v13 offset:256
	s_waitcnt lgkmcnt(0)
	v_add_f32_e32 v5, v5, v15
	s_or_b32 exec_lo, exec_lo, s0
	s_and_saveexec_b32 s0, vcc_lo
	s_cbranch_execz .LBB14_78
.LBB14_111:
	ds_read_b32 v15, v13 offset:320
	s_waitcnt lgkmcnt(0)
	v_add_f32_e32 v6, v6, v15
	s_or_b32 exec_lo, exec_lo, s0
	s_and_saveexec_b32 s0, vcc_lo
	s_cbranch_execz .LBB14_79
.LBB14_112:
	ds_read_b32 v15, v13 offset:384
	s_waitcnt lgkmcnt(0)
	v_add_f32_e32 v7, v7, v15
	s_or_b32 exec_lo, exec_lo, s0
	s_and_saveexec_b32 s0, vcc_lo
	s_cbranch_execz .LBB14_80
.LBB14_113:
	ds_read_b32 v15, v13 offset:448
	s_waitcnt lgkmcnt(0)
	v_add_f32_e32 v8, v8, v15
	s_or_b32 exec_lo, exec_lo, s0
	s_and_saveexec_b32 s0, vcc_lo
	s_cbranch_execz .LBB14_81
.LBB14_114:
	ds_read_b32 v15, v13 offset:512
	s_waitcnt lgkmcnt(0)
	v_add_f32_e32 v9, v9, v15
	s_or_b32 exec_lo, exec_lo, s0
	s_and_saveexec_b32 s0, vcc_lo
	s_cbranch_execz .LBB14_82
.LBB14_115:
	ds_read_b32 v15, v13 offset:576
	s_waitcnt lgkmcnt(0)
	v_add_f32_e32 v10, v10, v15
	s_or_b32 exec_lo, exec_lo, s0
	s_and_saveexec_b32 s0, vcc_lo
	s_cbranch_execz .LBB14_83
.LBB14_116:
	ds_read_b32 v15, v13 offset:640
	s_waitcnt lgkmcnt(0)
	v_add_f32_e32 v11, v11, v15
	s_or_b32 exec_lo, exec_lo, s0
	s_and_saveexec_b32 s0, vcc_lo
	s_cbranch_execnz .LBB14_84
	s_branch .LBB14_85
.LBB14_117:
	ds_read_b32 v14, v13
	s_waitcnt lgkmcnt(0)
	v_add_f32_e32 v1, v1, v14
	s_or_b32 exec_lo, exec_lo, s0
	s_and_saveexec_b32 s0, vcc_lo
	s_cbranch_execz .LBB14_91
.LBB14_118:
	ds_read_b32 v14, v13 offset:64
	s_waitcnt lgkmcnt(0)
	v_add_f32_e32 v2, v2, v14
	s_or_b32 exec_lo, exec_lo, s0
	s_and_saveexec_b32 s0, vcc_lo
	s_cbranch_execz .LBB14_92
.LBB14_119:
	ds_read_b32 v14, v13 offset:128
	s_waitcnt lgkmcnt(0)
	v_add_f32_e32 v3, v3, v14
	s_or_b32 exec_lo, exec_lo, s0
	s_and_saveexec_b32 s0, vcc_lo
	s_cbranch_execz .LBB14_93
.LBB14_120:
	ds_read_b32 v14, v13 offset:192
	s_waitcnt lgkmcnt(0)
	v_add_f32_e32 v4, v4, v14
	s_or_b32 exec_lo, exec_lo, s0
	s_and_saveexec_b32 s0, vcc_lo
	s_cbranch_execz .LBB14_94
.LBB14_121:
	ds_read_b32 v14, v13 offset:256
	s_waitcnt lgkmcnt(0)
	v_add_f32_e32 v5, v5, v14
	s_or_b32 exec_lo, exec_lo, s0
	s_and_saveexec_b32 s0, vcc_lo
	s_cbranch_execz .LBB14_95
.LBB14_122:
	ds_read_b32 v14, v13 offset:320
	s_waitcnt lgkmcnt(0)
	v_add_f32_e32 v6, v6, v14
	s_or_b32 exec_lo, exec_lo, s0
	s_and_saveexec_b32 s0, vcc_lo
	s_cbranch_execz .LBB14_96
.LBB14_123:
	ds_read_b32 v14, v13 offset:384
	s_waitcnt lgkmcnt(0)
	v_add_f32_e32 v7, v7, v14
	s_or_b32 exec_lo, exec_lo, s0
	s_and_saveexec_b32 s0, vcc_lo
	s_cbranch_execz .LBB14_97
.LBB14_124:
	ds_read_b32 v14, v13 offset:448
	s_waitcnt lgkmcnt(0)
	v_add_f32_e32 v8, v8, v14
	s_or_b32 exec_lo, exec_lo, s0
	s_and_saveexec_b32 s0, vcc_lo
	s_cbranch_execz .LBB14_98
.LBB14_125:
	ds_read_b32 v14, v13 offset:512
	s_waitcnt lgkmcnt(0)
	v_add_f32_e32 v9, v9, v14
	s_or_b32 exec_lo, exec_lo, s0
	s_and_saveexec_b32 s0, vcc_lo
	s_cbranch_execz .LBB14_99
.LBB14_126:
	ds_read_b32 v14, v13 offset:576
	s_waitcnt lgkmcnt(0)
	v_add_f32_e32 v10, v10, v14
	s_or_b32 exec_lo, exec_lo, s0
	s_and_saveexec_b32 s0, vcc_lo
	s_cbranch_execz .LBB14_100
.LBB14_127:
	ds_read_b32 v14, v13 offset:640
	s_waitcnt lgkmcnt(0)
	v_add_f32_e32 v11, v11, v14
	s_or_b32 exec_lo, exec_lo, s0
	s_and_saveexec_b32 s0, vcc_lo
	s_cbranch_execnz .LBB14_101
	s_branch .LBB14_102
	.section	.rodata,"a",@progbits
	.p2align	6, 0x0
	.amdhsa_kernel _ZN4vllm25paged_attention_v2_kernelIffLi192ELi8ELi128ELNS_18Fp8KVCacheDataTypeE0ELb1ELi512EEEvPfS2_PT_PKS3_PKT0_S9_ifPKiSB_iPKfiiiSD_SD_iiiii
		.amdhsa_group_segment_fixed_size 800
		.amdhsa_private_segment_fixed_size 0
		.amdhsa_kernarg_size 400
		.amdhsa_user_sgpr_count 6
		.amdhsa_user_sgpr_private_segment_buffer 1
		.amdhsa_user_sgpr_dispatch_ptr 0
		.amdhsa_user_sgpr_queue_ptr 0
		.amdhsa_user_sgpr_kernarg_segment_ptr 1
		.amdhsa_user_sgpr_dispatch_id 0
		.amdhsa_user_sgpr_flat_scratch_init 0
		.amdhsa_user_sgpr_private_segment_size 0
		.amdhsa_wavefront_size32 1
		.amdhsa_uses_dynamic_stack 0
		.amdhsa_system_sgpr_private_segment_wavefront_offset 0
		.amdhsa_system_sgpr_workgroup_id_x 1
		.amdhsa_system_sgpr_workgroup_id_y 1
		.amdhsa_system_sgpr_workgroup_id_z 1
		.amdhsa_system_sgpr_workgroup_info 0
		.amdhsa_system_vgpr_workitem_id 0
		.amdhsa_next_free_vgpr 82
		.amdhsa_next_free_sgpr 46
		.amdhsa_reserve_vcc 1
		.amdhsa_reserve_flat_scratch 0
		.amdhsa_float_round_mode_32 0
		.amdhsa_float_round_mode_16_64 0
		.amdhsa_float_denorm_mode_32 3
		.amdhsa_float_denorm_mode_16_64 3
		.amdhsa_dx10_clamp 1
		.amdhsa_ieee_mode 1
		.amdhsa_fp16_overflow 0
		.amdhsa_workgroup_processor_mode 1
		.amdhsa_memory_ordered 1
		.amdhsa_forward_progress 1
		.amdhsa_shared_vgpr_count 0
		.amdhsa_exception_fp_ieee_invalid_op 0
		.amdhsa_exception_fp_denorm_src 0
		.amdhsa_exception_fp_ieee_div_zero 0
		.amdhsa_exception_fp_ieee_overflow 0
		.amdhsa_exception_fp_ieee_underflow 0
		.amdhsa_exception_fp_ieee_inexact 0
		.amdhsa_exception_int_div_zero 0
	.end_amdhsa_kernel
	.section	.text._ZN4vllm25paged_attention_v2_kernelIffLi192ELi8ELi128ELNS_18Fp8KVCacheDataTypeE0ELb1ELi512EEEvPfS2_PT_PKS3_PKT0_S9_ifPKiSB_iPKfiiiSD_SD_iiiii,"axG",@progbits,_ZN4vllm25paged_attention_v2_kernelIffLi192ELi8ELi128ELNS_18Fp8KVCacheDataTypeE0ELb1ELi512EEEvPfS2_PT_PKS3_PKT0_S9_ifPKiSB_iPKfiiiSD_SD_iiiii,comdat
.Lfunc_end14:
	.size	_ZN4vllm25paged_attention_v2_kernelIffLi192ELi8ELi128ELNS_18Fp8KVCacheDataTypeE0ELb1ELi512EEEvPfS2_PT_PKS3_PKT0_S9_ifPKiSB_iPKfiiiSD_SD_iiiii, .Lfunc_end14-_ZN4vllm25paged_attention_v2_kernelIffLi192ELi8ELi128ELNS_18Fp8KVCacheDataTypeE0ELb1ELi512EEEvPfS2_PT_PKS3_PKT0_S9_ifPKiSB_iPKfiiiSD_SD_iiiii
                                        ; -- End function
	.set _ZN4vllm25paged_attention_v2_kernelIffLi192ELi8ELi128ELNS_18Fp8KVCacheDataTypeE0ELb1ELi512EEEvPfS2_PT_PKS3_PKT0_S9_ifPKiSB_iPKfiiiSD_SD_iiiii.num_vgpr, 82
	.set _ZN4vllm25paged_attention_v2_kernelIffLi192ELi8ELi128ELNS_18Fp8KVCacheDataTypeE0ELb1ELi512EEEvPfS2_PT_PKS3_PKT0_S9_ifPKiSB_iPKfiiiSD_SD_iiiii.num_agpr, 0
	.set _ZN4vllm25paged_attention_v2_kernelIffLi192ELi8ELi128ELNS_18Fp8KVCacheDataTypeE0ELb1ELi512EEEvPfS2_PT_PKS3_PKT0_S9_ifPKiSB_iPKfiiiSD_SD_iiiii.numbered_sgpr, 46
	.set _ZN4vllm25paged_attention_v2_kernelIffLi192ELi8ELi128ELNS_18Fp8KVCacheDataTypeE0ELb1ELi512EEEvPfS2_PT_PKS3_PKT0_S9_ifPKiSB_iPKfiiiSD_SD_iiiii.num_named_barrier, 0
	.set _ZN4vllm25paged_attention_v2_kernelIffLi192ELi8ELi128ELNS_18Fp8KVCacheDataTypeE0ELb1ELi512EEEvPfS2_PT_PKS3_PKT0_S9_ifPKiSB_iPKfiiiSD_SD_iiiii.private_seg_size, 0
	.set _ZN4vllm25paged_attention_v2_kernelIffLi192ELi8ELi128ELNS_18Fp8KVCacheDataTypeE0ELb1ELi512EEEvPfS2_PT_PKS3_PKT0_S9_ifPKiSB_iPKfiiiSD_SD_iiiii.uses_vcc, 1
	.set _ZN4vllm25paged_attention_v2_kernelIffLi192ELi8ELi128ELNS_18Fp8KVCacheDataTypeE0ELb1ELi512EEEvPfS2_PT_PKS3_PKT0_S9_ifPKiSB_iPKfiiiSD_SD_iiiii.uses_flat_scratch, 0
	.set _ZN4vllm25paged_attention_v2_kernelIffLi192ELi8ELi128ELNS_18Fp8KVCacheDataTypeE0ELb1ELi512EEEvPfS2_PT_PKS3_PKT0_S9_ifPKiSB_iPKfiiiSD_SD_iiiii.has_dyn_sized_stack, 0
	.set _ZN4vllm25paged_attention_v2_kernelIffLi192ELi8ELi128ELNS_18Fp8KVCacheDataTypeE0ELb1ELi512EEEvPfS2_PT_PKS3_PKT0_S9_ifPKiSB_iPKfiiiSD_SD_iiiii.has_recursion, 0
	.set _ZN4vllm25paged_attention_v2_kernelIffLi192ELi8ELi128ELNS_18Fp8KVCacheDataTypeE0ELb1ELi512EEEvPfS2_PT_PKS3_PKT0_S9_ifPKiSB_iPKfiiiSD_SD_iiiii.has_indirect_call, 0
	.section	.AMDGPU.csdata,"",@progbits
; Kernel info:
; codeLenInByte = 7388
; TotalNumSgprs: 48
; NumVgprs: 82
; ScratchSize: 0
; MemoryBound: 0
; FloatMode: 240
; IeeeMode: 1
; LDSByteSize: 800 bytes/workgroup (compile time only)
; SGPRBlocks: 0
; VGPRBlocks: 10
; NumSGPRsForWavesPerEU: 48
; NumVGPRsForWavesPerEU: 82
; Occupancy: 10
; WaveLimiterHint : 1
; COMPUTE_PGM_RSRC2:SCRATCH_EN: 0
; COMPUTE_PGM_RSRC2:USER_SGPR: 6
; COMPUTE_PGM_RSRC2:TRAP_HANDLER: 0
; COMPUTE_PGM_RSRC2:TGID_X_EN: 1
; COMPUTE_PGM_RSRC2:TGID_Y_EN: 1
; COMPUTE_PGM_RSRC2:TGID_Z_EN: 1
; COMPUTE_PGM_RSRC2:TIDIG_COMP_CNT: 0
	.section	.text._ZN4vllm32paged_attention_v2_reduce_kernelIfLi192ELi128ELi512EEEvPT_PKfS4_PKS1_PKii,"axG",@progbits,_ZN4vllm32paged_attention_v2_reduce_kernelIfLi192ELi128ELi512EEEvPT_PKfS4_PKS1_PKii,comdat
	.protected	_ZN4vllm32paged_attention_v2_reduce_kernelIfLi192ELi128ELi512EEEvPT_PKfS4_PKS1_PKii ; -- Begin function _ZN4vllm32paged_attention_v2_reduce_kernelIfLi192ELi128ELi512EEEvPT_PKfS4_PKS1_PKii
	.globl	_ZN4vllm32paged_attention_v2_reduce_kernelIfLi192ELi128ELi512EEEvPT_PKfS4_PKS1_PKii
	.p2align	8
	.type	_ZN4vllm32paged_attention_v2_reduce_kernelIfLi192ELi128ELi512EEEvPT_PKfS4_PKS1_PKii,@function
_ZN4vllm32paged_attention_v2_reduce_kernelIfLi192ELi128ELi512EEEvPT_PKfS4_PKS1_PKii: ; @_ZN4vllm32paged_attention_v2_reduce_kernelIfLi192ELi128ELi512EEEvPT_PKfS4_PKS1_PKii
; %bb.0:
	s_load_dwordx4 s[8:11], s[4:5], 0x18
	s_add_u32 s12, s4, 48
	s_mov_b32 s14, s7
	s_addc_u32 s13, s5, 0
	s_ashr_i32 s15, s7, 31
	s_lshl_b64 s[0:1], s[14:15], 2
	s_waitcnt lgkmcnt(0)
	s_add_u32 s0, s10, s0
	s_addc_u32 s1, s11, s1
	s_load_dword s22, s[0:1], 0x0
	s_clause 0x2
	s_load_dwordx2 s[10:11], s[4:5], 0x0
	s_load_dword s7, s[4:5], 0x28
	s_load_dword s15, s[4:5], 0x30
	s_waitcnt lgkmcnt(0)
	s_add_i32 s0, s22, -1
	s_cmpk_gt_u32 s0, 0x1ff
	s_mov_b32 s0, -1
	s_cbranch_scc0 .LBB15_31
; %bb.1:
	s_load_dwordx2 s[2:3], s[4:5], 0x8
	s_add_i32 s0, s22, 0x1ff
	s_mul_i32 s20, s15, s14
	s_ashr_i32 s1, s0, 31
	v_mov_b32_e32 v3, 0xff7fffff
	s_lshr_b32 s1, s1, 23
	s_mul_i32 s16, s20, s7
	s_add_i32 s0, s0, s1
	s_mul_i32 s18, s7, s6
	s_ashr_i32 s21, s0, 9
	s_ashr_i32 s17, s16, 31
	v_cmp_gt_i32_e32 vcc_lo, s21, v0
	s_ashr_i32 s19, s18, 31
	s_and_saveexec_b32 s1, vcc_lo
	s_cbranch_execz .LBB15_5
; %bb.2:
	s_load_dword s0, s[12:13], 0xc
	s_load_dwordx2 s[24:25], s[4:5], 0x10
	s_lshl_b64 s[26:27], s[16:17], 2
	s_lshl_b64 s[28:29], s[18:19], 2
	v_lshlrev_b32_e32 v1, 2, v0
	v_mov_b32_e32 v3, 0xff7fffff
	v_mov_b32_e32 v5, v0
	v_add_nc_u32_e32 v4, 32, v1
	s_waitcnt lgkmcnt(0)
	s_and_b32 s4, s0, 0xffff
	s_add_u32 s0, s26, s28
	s_addc_u32 s5, s27, s29
	s_add_u32 s0, s24, s0
	s_addc_u32 s5, s25, s5
	v_add_co_u32 v1, s0, s0, v1
	v_add_co_ci_u32_e64 v2, null, s5, 0, s0
	s_mov_b32 s5, 0
	s_lshl_b32 s23, s4, 2
	.p2align	6
.LBB15_3:                               ; =>This Inner Loop Header: Depth=1
	global_load_dword v6, v[1:2], off
	v_add_nc_u32_e32 v5, s4, v5
	v_max_f32_e32 v3, v3, v3
	v_add_co_u32 v1, s0, v1, s23
	v_add_co_ci_u32_e64 v2, null, 0, v2, s0
	v_cmp_le_i32_e64 s0, s21, v5
	s_or_b32 s5, s0, s5
	s_waitcnt vmcnt(0)
	v_max_f32_e32 v7, v6, v6
	ds_write_b32 v4, v6
	v_add_nc_u32_e32 v4, s23, v4
	v_max_f32_e32 v3, v3, v7
	s_andn2_b32 exec_lo, exec_lo, s5
	s_cbranch_execnz .LBB15_3
; %bb.4:
	s_or_b32 exec_lo, exec_lo, s5
.LBB15_5:
	s_or_b32 exec_lo, exec_lo, s1
	v_mbcnt_lo_u32_b32 v1, -1, 0
	s_waitcnt lgkmcnt(0)
	s_barrier
	buffer_gl0_inv
	v_xor_b32_e32 v2, 16, v1
	v_xor_b32_e32 v4, 8, v1
	v_cmp_gt_i32_e64 s0, 32, v2
	v_cndmask_b32_e64 v2, v1, v2, s0
	v_cmp_gt_i32_e64 s0, 32, v4
	v_lshlrev_b32_e32 v5, 2, v2
	v_cndmask_b32_e64 v4, v1, v4, s0
	ds_bpermute_b32 v2, v5, v3
	v_max_f32_e32 v3, v3, v3
	v_lshlrev_b32_e32 v6, 2, v4
	v_xor_b32_e32 v4, 4, v1
	v_cmp_gt_i32_e64 s0, 32, v4
	v_cndmask_b32_e64 v4, v1, v4, s0
	v_lshlrev_b32_e32 v7, 2, v4
	v_xor_b32_e32 v4, 2, v1
	s_waitcnt lgkmcnt(0)
	v_max_f32_e32 v2, v2, v2
	v_cmp_gt_i32_e64 s0, 32, v4
	v_max_f32_e32 v2, v3, v2
	v_cndmask_b32_e64 v4, v1, v4, s0
	ds_bpermute_b32 v3, v6, v2
	s_waitcnt lgkmcnt(0)
	v_max_f32_e32 v3, v3, v3
	v_max_f32_e32 v2, v2, v3
	ds_bpermute_b32 v3, v7, v2
	s_waitcnt lgkmcnt(0)
	v_max_f32_e32 v8, v3, v3
	v_lshlrev_b32_e32 v3, 2, v4
	v_max_f32_e32 v2, v2, v8
	v_xor_b32_e32 v8, 1, v1
	ds_bpermute_b32 v4, v3, v2
	v_cmp_gt_i32_e64 s0, 32, v8
	v_cndmask_b32_e64 v1, v1, v8, s0
	v_lshrrev_b32_e32 v8, 5, v0
	v_lshlrev_b32_e32 v8, 2, v8
	s_waitcnt lgkmcnt(0)
	v_max_f32_e32 v4, v4, v4
	v_max_f32_e32 v2, v2, v4
	v_lshlrev_b32_e32 v4, 2, v1
	v_and_b32_e32 v1, 31, v0
	ds_bpermute_b32 v9, v4, v2
	v_cmp_eq_u32_e64 s0, 0, v1
	s_and_saveexec_b32 s1, s0
	s_cbranch_execz .LBB15_7
; %bb.6:
	s_waitcnt lgkmcnt(0)
	v_max_f32_e32 v9, v9, v9
	v_max_f32_e32 v2, v2, v2
	;; [unrolled: 1-line block ×3, first 2 shown]
	ds_write_b32 v8, v2
.LBB15_7:
	s_or_b32 exec_lo, exec_lo, s1
	v_cmp_gt_u32_e64 s1, 4, v1
	v_mov_b32_e32 v2, 0xff7fffff
	s_waitcnt lgkmcnt(0)
	v_lshlrev_b32_e32 v9, 2, v1
	s_barrier
	buffer_gl0_inv
	s_and_saveexec_b32 s4, s1
; %bb.8:
	ds_read_b32 v2, v9
; %bb.9:
	s_or_b32 exec_lo, exec_lo, s4
	s_waitcnt lgkmcnt(0)
	ds_bpermute_b32 v1, v3, v2
	v_max_f32_e32 v2, v2, v2
	v_mov_b32_e32 v10, 0
	s_lshl_b32 s5, s21, 2
	s_waitcnt lgkmcnt(0)
	v_max_f32_e32 v1, v1, v1
	v_max_f32_e32 v1, v2, v1
	ds_bpermute_b32 v2, v4, v1
	s_waitcnt lgkmcnt(0)
	v_max_f32_e32 v2, v2, v2
	v_max_f32_e32 v1, v1, v2
	ds_bpermute_b32 v11, v10, v1
	s_and_saveexec_b32 s4, vcc_lo
	s_cbranch_execz .LBB15_13
; %bb.10:
	s_load_dword s23, s[12:13], 0xc
	s_lshl_b64 s[24:25], s[16:17], 2
	s_lshl_b64 s[26:27], s[18:19], 2
	v_lshlrev_b32_e32 v1, 2, v0
	v_mov_b32_e32 v10, 0
	v_mov_b32_e32 v13, v0
	v_add_nc_u32_e32 v12, 32, v1
	s_waitcnt lgkmcnt(0)
	s_and_b32 s17, s23, 0xffff
	s_add_u32 s19, s24, s26
	s_addc_u32 s23, s25, s27
	s_add_u32 s2, s2, s19
	s_addc_u32 s3, s3, s23
	v_add_co_u32 v1, s2, s2, v1
	v_add_co_ci_u32_e64 v2, null, s3, 0, s2
	s_mov_b32 s3, 0
	s_lshl_b32 s19, s17, 2
	s_inst_prefetch 0x1
	.p2align	6
.LBB15_11:                              ; =>This Inner Loop Header: Depth=1
	global_load_dword v14, v[1:2], off
	ds_read_b32 v15, v12
	v_add_nc_u32_e32 v13, s17, v13
	s_waitcnt lgkmcnt(0)
	v_sub_f32_e32 v15, v15, v11
	v_mul_f32_e32 v16, 0x3fb8aa3b, v15
	v_cmp_ngt_f32_e32 vcc_lo, 0xc2ce8ed0, v15
	v_cmp_nlt_f32_e64 s2, 0x42b17218, v15
	v_fma_f32 v17, 0x3fb8aa3b, v15, -v16
	v_rndne_f32_e32 v18, v16
	v_fmac_f32_e32 v17, 0x32a5705f, v15
	v_sub_f32_e32 v16, v16, v18
	v_add_f32_e32 v16, v16, v17
	v_cvt_i32_f32_e32 v17, v18
	v_exp_f32_e32 v16, v16
	v_ldexp_f32 v16, v16, v17
	v_add_nc_u32_e32 v17, s5, v12
	v_add_nc_u32_e32 v12, s19, v12
	v_cndmask_b32_e32 v16, 0, v16, vcc_lo
	v_add_co_u32 v1, vcc_lo, v1, s19
	v_add_co_ci_u32_e64 v2, null, 0, v2, vcc_lo
	v_cndmask_b32_e64 v15, 0x7f800000, v16, s2
	v_cmp_le_i32_e32 vcc_lo, s21, v13
	s_or_b32 s3, vcc_lo, s3
	s_waitcnt vmcnt(0)
	v_mul_f32_e32 v16, v14, v15
	v_fmac_f32_e32 v10, v14, v15
	ds_write_b32 v17, v16
	s_andn2_b32 exec_lo, exec_lo, s3
	s_cbranch_execnz .LBB15_11
; %bb.12:
	s_inst_prefetch 0x2
	s_or_b32 exec_lo, exec_lo, s3
.LBB15_13:
	s_or_b32 exec_lo, exec_lo, s4
	ds_bpermute_b32 v1, v5, v10
	s_waitcnt lgkmcnt(0)
	s_barrier
	buffer_gl0_inv
	v_add_f32_e32 v1, v10, v1
	ds_bpermute_b32 v2, v6, v1
	s_waitcnt lgkmcnt(0)
	v_add_f32_e32 v1, v1, v2
	ds_bpermute_b32 v2, v7, v1
	s_waitcnt lgkmcnt(0)
	;; [unrolled: 3-line block ×4, first 2 shown]
	v_add_f32_e32 v1, v1, v2
	s_and_saveexec_b32 s2, s0
; %bb.14:
	ds_write_b32 v8, v1 offset:16
; %bb.15:
	s_or_b32 exec_lo, exec_lo, s2
	s_waitcnt lgkmcnt(0)
	s_barrier
	buffer_gl0_inv
	s_and_saveexec_b32 s0, s1
; %bb.16:
	ds_read_b32 v1, v9 offset:16
; %bb.17:
	s_or_b32 exec_lo, exec_lo, s0
	s_waitcnt lgkmcnt(0)
	ds_bpermute_b32 v2, v3, v1
	s_mov_b32 s4, exec_lo
	s_waitcnt lgkmcnt(0)
	v_add_f32_e32 v1, v1, v2
	ds_bpermute_b32 v2, v4, v1
	s_waitcnt lgkmcnt(0)
	v_add_f32_e32 v1, v1, v2
	v_mov_b32_e32 v2, 0
	ds_bpermute_b32 v1, v2, v1
	v_cmpx_gt_u32_e32 0xc0, v0
	s_cbranch_execz .LBB15_30
; %bb.18:
	s_waitcnt lgkmcnt(0)
	v_add_f32_e32 v2, 0x358637bd, v1
	s_mul_i32 s0, s16, 0xc0
	s_mul_i32 s2, s18, 0xc0
	s_ashr_i32 s1, s0, 31
	s_ashr_i32 s3, s2, 31
	v_div_scale_f32 v1, null, v2, v2, 1.0
	v_div_scale_f32 v5, vcc_lo, 1.0, v2, 1.0
	s_cmp_gt_i32 s22, 0
	v_rcp_f32_e32 v3, v1
	s_cselect_b32 s17, -1, 0
	s_mov_b32 s16, 0
	v_fma_f32 v4, -v1, v3, 1.0
	v_fmac_f32_e32 v3, v4, v3
	v_mul_f32_e32 v4, v5, v3
	v_fma_f32 v6, -v1, v4, v5
	v_fmac_f32_e32 v4, v6, v3
	v_fma_f32 v1, -v1, v4, v5
	v_div_fmas_f32 v3, v1, v3, v4
	s_and_b32 vcc_lo, exec_lo, s17
	s_cbranch_vccnz .LBB15_20
; %bb.19:
	v_mov_b32_e32 v1, 0
	s_branch .LBB15_21
.LBB15_20:
	s_mov_b32 s16, -1
.LBB15_21:
	v_div_fixup_f32 v5, v3, v2, 1.0
	v_mov_b32_e32 v6, 0
	s_add_i32 s5, s5, 32
	s_andn2_b32 vcc_lo, exec_lo, s16
	s_max_i32 s16, s21, 1
	s_cbranch_vccnz .LBB15_24
; %bb.22:
	s_lshl_b64 s[18:19], s[0:1], 2
	s_lshl_b64 s[22:23], s[2:3], 2
	v_lshlrev_b32_e32 v2, 2, v0
	s_add_u32 s18, s18, s22
	s_addc_u32 s19, s19, s23
	v_mov_b32_e32 v1, 0
	s_add_u32 s18, s8, s18
	s_addc_u32 s19, s9, s19
	v_add_co_u32 v2, s18, s18, v2
	v_add_co_ci_u32_e64 v3, null, s19, 0, s18
	v_mov_b32_e32 v6, v1
	s_mov_b32 s18, s5
	s_mov_b32 s19, s16
.LBB15_23:                              ; =>This Inner Loop Header: Depth=1
	global_load_dword v4, v[2:3], off
	v_mov_b32_e32 v7, s18
	v_add_co_u32 v2, vcc_lo, 0x300, v2
	v_add_co_ci_u32_e64 v3, null, 0, v3, vcc_lo
	ds_read_b32 v7, v7
	s_add_i32 s19, s19, -1
	s_add_i32 s18, s18, 4
	s_cmp_eq_u32 s19, 0
	s_waitcnt vmcnt(0) lgkmcnt(0)
	v_mul_f32_e32 v4, v4, v7
	v_fmac_f32_e32 v6, v5, v4
	s_cbranch_scc0 .LBB15_23
.LBB15_24:
	s_mul_i32 s18, s20, 0xc0
	s_mul_i32 s20, s6, 0xc0
	s_ashr_i32 s19, s18, 31
	v_lshlrev_b64 v[3:4], 2, v[0:1]
	s_lshl_b64 s[18:19], s[18:19], 2
	s_add_u32 s22, s10, s18
	s_addc_u32 s23, s11, s19
	s_ashr_i32 s21, s20, 31
	s_lshl_b64 s[18:19], s[20:21], 2
	s_add_u32 s18, s22, s18
	s_addc_u32 s19, s23, s19
	v_add_co_u32 v1, vcc_lo, s18, v3
	v_add_co_ci_u32_e64 v2, null, s19, v4, vcc_lo
	v_cmp_gt_u32_e32 vcc_lo, 64, v0
	global_store_dword v[1:2], v6, off
	s_and_b32 exec_lo, exec_lo, vcc_lo
	s_cbranch_execz .LBB15_30
; %bb.25:
	s_andn2_b32 vcc_lo, exec_lo, s17
	s_cbranch_vccnz .LBB15_28
; %bb.26:
	s_lshl_b64 s[0:1], s[0:1], 2
	s_lshl_b64 s[2:3], s[2:3], 2
	v_mov_b32_e32 v6, 0
	s_add_u32 s0, s0, s2
	s_addc_u32 s1, s1, s3
	s_add_u32 s0, s8, s0
	s_addc_u32 s1, s9, s1
	v_add_co_u32 v3, vcc_lo, s0, v3
	v_add_co_ci_u32_e64 v4, null, s1, v4, vcc_lo
	v_add_co_u32 v3, vcc_lo, 0x200, v3
	v_add_co_ci_u32_e64 v4, null, 0, v4, vcc_lo
	.p2align	6
.LBB15_27:                              ; =>This Inner Loop Header: Depth=1
	global_load_dword v7, v[3:4], off
	v_mov_b32_e32 v8, s5
	v_add_co_u32 v3, vcc_lo, 0x300, v3
	v_add_co_ci_u32_e64 v4, null, 0, v4, vcc_lo
	ds_read_b32 v8, v8
	s_add_i32 s16, s16, -1
	s_add_i32 s5, s5, 4
	s_cmp_lg_u32 s16, 0
	s_waitcnt vmcnt(0) lgkmcnt(0)
	v_mul_f32_e32 v7, v7, v8
	v_fmac_f32_e32 v6, v5, v7
	s_cbranch_scc1 .LBB15_27
	s_branch .LBB15_29
.LBB15_28:
	v_mov_b32_e32 v6, 0
.LBB15_29:
	global_store_dword v[1:2], v6, off offset:512
.LBB15_30:
	s_or_b32 exec_lo, exec_lo, s4
	s_mov_b32 s0, 0
.LBB15_31:
	s_and_b32 vcc_lo, exec_lo, s0
	s_cbranch_vccz .LBB15_35
; %bb.32:
	s_mov_b32 s0, exec_lo
	v_cmpx_gt_u32_e32 0xc0, v0
	s_cbranch_execz .LBB15_35
; %bb.33:
	s_mul_i32 s0, s15, s14
	s_mul_i32 s4, s6, 0xc0
	s_mulk_i32 s0, 0xc0
	s_load_dword s6, s[12:13], 0xc
	s_ashr_i32 s1, s0, 31
	s_waitcnt lgkmcnt(0)
	v_lshlrev_b32_e32 v1, 2, v0
	s_lshl_b64 s[2:3], s[0:1], 2
	v_mov_b32_e32 v2, 0
	s_add_u32 s1, s10, s2
	s_addc_u32 s11, s11, s3
	s_ashr_i32 s5, s4, 31
	s_mul_i32 s10, s0, s7
	s_lshl_b64 s[2:3], s[4:5], 2
	s_mul_i32 s4, s4, s7
	s_add_u32 s1, s1, s2
	s_addc_u32 s2, s11, s3
	s_ashr_i32 s11, s10, 31
	s_lshl_b64 s[10:11], s[10:11], 2
	s_add_u32 s0, s8, s10
	s_addc_u32 s7, s9, s11
	s_ashr_i32 s5, s4, 31
	s_lshl_b64 s[4:5], s[4:5], 2
	s_add_u32 s3, s0, s4
	s_addc_u32 s4, s7, s5
	s_and_b32 s5, s6, 0xffff
	s_mov_b32 s6, 0
	s_lshl_b32 s7, s5, 2
	.p2align	6
.LBB15_34:                              ; =>This Inner Loop Header: Depth=1
	v_add_co_u32 v3, vcc_lo, s3, v1
	v_add_co_ci_u32_e64 v4, null, s4, v2, vcc_lo
	v_add_nc_u32_e32 v0, s5, v0
	global_load_dword v5, v[3:4], off
	v_add_co_u32 v3, vcc_lo, s1, v1
	v_add_co_ci_u32_e64 v4, null, s2, v2, vcc_lo
	v_cmp_lt_u32_e32 vcc_lo, 0xbf, v0
	v_add_co_u32 v1, s0, v1, s7
	v_add_co_ci_u32_e64 v2, null, 0, v2, s0
	s_or_b32 s6, vcc_lo, s6
	s_waitcnt vmcnt(0)
	global_store_dword v[3:4], v5, off
	s_andn2_b32 exec_lo, exec_lo, s6
	s_cbranch_execnz .LBB15_34
.LBB15_35:
	s_endpgm
	.section	.rodata,"a",@progbits
	.p2align	6, 0x0
	.amdhsa_kernel _ZN4vllm32paged_attention_v2_reduce_kernelIfLi192ELi128ELi512EEEvPT_PKfS4_PKS1_PKii
		.amdhsa_group_segment_fixed_size 32
		.amdhsa_private_segment_fixed_size 0
		.amdhsa_kernarg_size 304
		.amdhsa_user_sgpr_count 6
		.amdhsa_user_sgpr_private_segment_buffer 1
		.amdhsa_user_sgpr_dispatch_ptr 0
		.amdhsa_user_sgpr_queue_ptr 0
		.amdhsa_user_sgpr_kernarg_segment_ptr 1
		.amdhsa_user_sgpr_dispatch_id 0
		.amdhsa_user_sgpr_flat_scratch_init 0
		.amdhsa_user_sgpr_private_segment_size 0
		.amdhsa_wavefront_size32 1
		.amdhsa_uses_dynamic_stack 0
		.amdhsa_system_sgpr_private_segment_wavefront_offset 0
		.amdhsa_system_sgpr_workgroup_id_x 1
		.amdhsa_system_sgpr_workgroup_id_y 1
		.amdhsa_system_sgpr_workgroup_id_z 0
		.amdhsa_system_sgpr_workgroup_info 0
		.amdhsa_system_vgpr_workitem_id 0
		.amdhsa_next_free_vgpr 19
		.amdhsa_next_free_sgpr 30
		.amdhsa_reserve_vcc 1
		.amdhsa_reserve_flat_scratch 0
		.amdhsa_float_round_mode_32 0
		.amdhsa_float_round_mode_16_64 0
		.amdhsa_float_denorm_mode_32 3
		.amdhsa_float_denorm_mode_16_64 3
		.amdhsa_dx10_clamp 1
		.amdhsa_ieee_mode 1
		.amdhsa_fp16_overflow 0
		.amdhsa_workgroup_processor_mode 1
		.amdhsa_memory_ordered 1
		.amdhsa_forward_progress 1
		.amdhsa_shared_vgpr_count 0
		.amdhsa_exception_fp_ieee_invalid_op 0
		.amdhsa_exception_fp_denorm_src 0
		.amdhsa_exception_fp_ieee_div_zero 0
		.amdhsa_exception_fp_ieee_overflow 0
		.amdhsa_exception_fp_ieee_underflow 0
		.amdhsa_exception_fp_ieee_inexact 0
		.amdhsa_exception_int_div_zero 0
	.end_amdhsa_kernel
	.section	.text._ZN4vllm32paged_attention_v2_reduce_kernelIfLi192ELi128ELi512EEEvPT_PKfS4_PKS1_PKii,"axG",@progbits,_ZN4vllm32paged_attention_v2_reduce_kernelIfLi192ELi128ELi512EEEvPT_PKfS4_PKS1_PKii,comdat
.Lfunc_end15:
	.size	_ZN4vllm32paged_attention_v2_reduce_kernelIfLi192ELi128ELi512EEEvPT_PKfS4_PKS1_PKii, .Lfunc_end15-_ZN4vllm32paged_attention_v2_reduce_kernelIfLi192ELi128ELi512EEEvPT_PKfS4_PKS1_PKii
                                        ; -- End function
	.set _ZN4vllm32paged_attention_v2_reduce_kernelIfLi192ELi128ELi512EEEvPT_PKfS4_PKS1_PKii.num_vgpr, 19
	.set _ZN4vllm32paged_attention_v2_reduce_kernelIfLi192ELi128ELi512EEEvPT_PKfS4_PKS1_PKii.num_agpr, 0
	.set _ZN4vllm32paged_attention_v2_reduce_kernelIfLi192ELi128ELi512EEEvPT_PKfS4_PKS1_PKii.numbered_sgpr, 30
	.set _ZN4vllm32paged_attention_v2_reduce_kernelIfLi192ELi128ELi512EEEvPT_PKfS4_PKS1_PKii.num_named_barrier, 0
	.set _ZN4vllm32paged_attention_v2_reduce_kernelIfLi192ELi128ELi512EEEvPT_PKfS4_PKS1_PKii.private_seg_size, 0
	.set _ZN4vllm32paged_attention_v2_reduce_kernelIfLi192ELi128ELi512EEEvPT_PKfS4_PKS1_PKii.uses_vcc, 1
	.set _ZN4vllm32paged_attention_v2_reduce_kernelIfLi192ELi128ELi512EEEvPT_PKfS4_PKS1_PKii.uses_flat_scratch, 0
	.set _ZN4vllm32paged_attention_v2_reduce_kernelIfLi192ELi128ELi512EEEvPT_PKfS4_PKS1_PKii.has_dyn_sized_stack, 0
	.set _ZN4vllm32paged_attention_v2_reduce_kernelIfLi192ELi128ELi512EEEvPT_PKfS4_PKS1_PKii.has_recursion, 0
	.set _ZN4vllm32paged_attention_v2_reduce_kernelIfLi192ELi128ELi512EEEvPT_PKfS4_PKS1_PKii.has_indirect_call, 0
	.section	.AMDGPU.csdata,"",@progbits
; Kernel info:
; codeLenInByte = 2208
; TotalNumSgprs: 32
; NumVgprs: 19
; ScratchSize: 0
; MemoryBound: 0
; FloatMode: 240
; IeeeMode: 1
; LDSByteSize: 32 bytes/workgroup (compile time only)
; SGPRBlocks: 0
; VGPRBlocks: 2
; NumSGPRsForWavesPerEU: 32
; NumVGPRsForWavesPerEU: 19
; Occupancy: 16
; WaveLimiterHint : 0
; COMPUTE_PGM_RSRC2:SCRATCH_EN: 0
; COMPUTE_PGM_RSRC2:USER_SGPR: 6
; COMPUTE_PGM_RSRC2:TRAP_HANDLER: 0
; COMPUTE_PGM_RSRC2:TGID_X_EN: 1
; COMPUTE_PGM_RSRC2:TGID_Y_EN: 1
; COMPUTE_PGM_RSRC2:TGID_Z_EN: 0
; COMPUTE_PGM_RSRC2:TIDIG_COMP_CNT: 0
	.section	.text._ZN4vllm25paged_attention_v2_kernelIffLi256ELi8ELi128ELNS_18Fp8KVCacheDataTypeE0ELb1ELi512EEEvPfS2_PT_PKS3_PKT0_S9_ifPKiSB_iPKfiiiSD_SD_iiiii,"axG",@progbits,_ZN4vllm25paged_attention_v2_kernelIffLi256ELi8ELi128ELNS_18Fp8KVCacheDataTypeE0ELb1ELi512EEEvPfS2_PT_PKS3_PKT0_S9_ifPKiSB_iPKfiiiSD_SD_iiiii,comdat
	.protected	_ZN4vllm25paged_attention_v2_kernelIffLi256ELi8ELi128ELNS_18Fp8KVCacheDataTypeE0ELb1ELi512EEEvPfS2_PT_PKS3_PKT0_S9_ifPKiSB_iPKfiiiSD_SD_iiiii ; -- Begin function _ZN4vllm25paged_attention_v2_kernelIffLi256ELi8ELi128ELNS_18Fp8KVCacheDataTypeE0ELb1ELi512EEEvPfS2_PT_PKS3_PKT0_S9_ifPKiSB_iPKfiiiSD_SD_iiiii
	.globl	_ZN4vllm25paged_attention_v2_kernelIffLi256ELi8ELi128ELNS_18Fp8KVCacheDataTypeE0ELb1ELi512EEEvPfS2_PT_PKS3_PKT0_S9_ifPKiSB_iPKfiiiSD_SD_iiiii
	.p2align	8
	.type	_ZN4vllm25paged_attention_v2_kernelIffLi256ELi8ELi128ELNS_18Fp8KVCacheDataTypeE0ELb1ELi512EEEvPfS2_PT_PKS3_PKT0_S9_ifPKiSB_iPKfiiiSD_SD_iiiii,@function
_ZN4vllm25paged_attention_v2_kernelIffLi256ELi8ELi128ELNS_18Fp8KVCacheDataTypeE0ELb1ELi512EEEvPfS2_PT_PKS3_PKT0_S9_ifPKiSB_iPKfiiiSD_SD_iiiii: ; @_ZN4vllm25paged_attention_v2_kernelIffLi256ELi8ELi128ELNS_18Fp8KVCacheDataTypeE0ELb1ELi512EEEvPfS2_PT_PKS3_PKT0_S9_ifPKiSB_iPKfiiiSD_SD_iiiii
; %bb.0:
	s_load_dwordx2 s[0:1], s[4:5], 0x40
	s_mov_b32 s26, s7
	s_ashr_i32 s27, s7, 31
	s_lshl_b64 s[2:3], s[26:27], 2
	s_waitcnt lgkmcnt(0)
	s_add_u32 s0, s0, s2
	s_addc_u32 s1, s1, s3
	s_lshl_b32 s38, s8, 9
	s_load_dword s27, s[0:1], 0x0
	s_waitcnt lgkmcnt(0)
	s_cmp_ge_i32 s38, s27
	s_cbranch_scc1 .LBB16_121
; %bb.1:
	s_clause 0x1
	s_load_dword s9, s[4:5], 0x90
	s_load_dwordx2 s[36:37], s[4:5], 0x30
	s_mov_b32 s40, 0
	s_waitcnt lgkmcnt(0)
	s_abs_i32 s3, s9
	s_abs_i32 s0, s36
	v_cvt_f32_u32_e32 v1, s0
	s_sub_i32 s2, 0, s0
	v_rcp_iflag_f32_e32 v1, v1
	v_mul_f32_e32 v1, 0x4f7ffffe, v1
	v_cvt_u32_f32_e32 v1, v1
	v_readfirstlane_b32 s1, v1
	s_mul_i32 s2, s2, s1
	s_mul_hi_u32 s2, s1, s2
	s_add_i32 s1, s1, s2
	s_xor_b32 s2, s9, s36
	s_mul_hi_u32 s1, s3, s1
	s_ashr_i32 s2, s2, 31
	s_mul_i32 s7, s1, s0
	s_sub_i32 s3, s3, s7
	s_add_i32 s7, s1, 1
	s_sub_i32 s10, s3, s0
	s_cmp_ge_u32 s3, s0
	s_cselect_b32 s1, s7, s1
	s_cselect_b32 s3, s10, s3
	s_add_i32 s7, s1, 1
	s_cmp_ge_u32 s3, s0
	s_cselect_b32 s0, s7, s1
	s_xor_b32 s0, s0, s2
	s_sub_i32 s10, s0, s2
	s_load_dwordx2 s[0:1], s[4:5], 0x50
	s_abs_i32 s2, s10
	v_cvt_f32_u32_e32 v1, s2
	s_sub_i32 s3, 0, s2
	v_rcp_iflag_f32_e32 v1, v1
	v_mul_f32_e32 v1, 0x4f7ffffe, v1
	v_cvt_u32_f32_e32 v1, v1
	v_readfirstlane_b32 s7, v1
	s_mul_i32 s3, s3, s7
	s_mul_hi_u32 s11, s7, s3
	s_abs_i32 s3, s6
	s_add_i32 s7, s7, s11
	s_waitcnt lgkmcnt(0)
	s_cmp_eq_u64 s[0:1], 0
	s_mul_hi_u32 s20, s3, s7
	s_cbranch_scc1 .LBB16_3
; %bb.2:
	s_ashr_i32 s7, s6, 31
	s_lshl_b64 s[12:13], s[6:7], 2
	s_add_u32 s0, s0, s12
	s_addc_u32 s1, s1, s13
	s_load_dword s40, s[0:1], 0x0
.LBB16_3:
	s_clause 0x1
	s_load_dword s7, s[4:5], 0x98
	s_load_dwordx4 s[12:15], s[4:5], 0x58
	v_and_b32_e32 v1, 3, v0
	v_lshlrev_b32_e32 v3, 2, v0
	s_waitcnt lgkmcnt(0)
	s_ashr_i32 s15, s6, 31
	s_ashr_i32 s21, s10, 31
	s_lshl_b32 s10, s6, 8
	s_mov_b32 s16, exec_lo
	v_cmpx_gt_u32_e32 0x100, v0
	s_cbranch_execz .LBB16_6
; %bb.4:
	s_load_dwordx2 s[0:1], s[4:5], 0x18
	s_mul_i32 s18, s12, s26
	v_and_b32_e32 v2, 0x3fc, v0
	s_ashr_i32 s19, s18, 31
	v_cmp_gt_u32_e32 vcc_lo, 0x80, v0
	s_lshl_b64 s[18:19], s[18:19], 2
	v_lshl_add_u32 v2, v1, 8, v2
	s_waitcnt lgkmcnt(0)
	s_add_u32 s12, s0, s18
	s_addc_u32 s17, s1, s19
	s_ashr_i32 s11, s10, 31
	s_lshl_b64 s[0:1], s[10:11], 2
	s_add_u32 s0, s12, s0
	s_addc_u32 s1, s17, s1
	global_load_dword v4, v3, s[0:1]
	s_waitcnt vmcnt(0)
	ds_write_b32 v2, v4
	s_and_b32 exec_lo, exec_lo, vcc_lo
	s_cbranch_execz .LBB16_6
; %bb.5:
	v_lshrrev_b32_e32 v4, 2, v0
	v_lshlrev_b32_e32 v5, 2, v1
	v_lshlrev_b32_e32 v4, 4, v4
	v_or3_b32 v4, v4, v5, 0x200
	global_load_dword v4, v4, s[0:1]
	s_waitcnt vmcnt(0)
	ds_write_b32 v2, v4 offset:128
.LBB16_6:
	s_or_b32 exec_lo, exec_lo, s16
	s_load_dwordx4 s[16:19], s[4:5], 0x78
	s_mul_i32 s0, s20, s2
	s_xor_b32 s1, s15, s21
	s_sub_i32 s0, s3, s0
	s_add_i32 s3, s20, 1
	s_sub_i32 s11, s0, s2
	s_cmp_ge_u32 s0, s2
                                        ; implicit-def: $sgpr33
	s_cselect_b32 s3, s3, s20
	s_cselect_b32 s0, s11, s0
	s_add_i32 s11, s3, 1
	s_cmp_ge_u32 s0, s2
	s_load_dword s2, s[4:5], 0x88
	s_cselect_b32 s0, s11, s3
	s_add_i32 s15, s27, -1
	s_xor_b32 s0, s0, s1
	s_abs_i32 s3, s15
	s_sub_i32 s1, s0, s1
	s_mov_b32 s20, -1
	s_waitcnt lgkmcnt(0)
	s_abs_i32 s11, s19
	s_barrier
	v_cvt_f32_u32_e32 v2, s11
	s_sub_i32 s0, 0, s11
	buffer_gl0_inv
	v_rcp_iflag_f32_e32 v2, v2
	v_mul_f32_e32 v2, 0x4f7ffffe, v2
	v_cvt_u32_f32_e32 v2, v2
	v_readfirstlane_b32 s12, v2
	s_mul_i32 s0, s0, s12
	s_mul_hi_u32 s0, s12, s0
	s_add_i32 s12, s12, s0
	s_cmp_lt_i32 s2, 0
	s_mul_hi_u32 s0, s3, s12
	s_cbranch_scc0 .LBB16_8
; %bb.7:
	s_mul_i32 s20, s16, s36
	s_add_i32 s20, s1, s20
	s_mul_i32 s20, s20, s2
	s_sub_i32 s33, 1, s20
	s_mov_b32 s20, 0
.LBB16_8:
	s_load_dwordx2 s[28:29], s[4:5], 0x38
	s_ashr_i32 s15, s15, 31
	s_andn2_b32 vcc_lo, exec_lo, s20
	s_ashr_i32 s19, s19, 31
	s_cbranch_vccnz .LBB16_10
; %bb.9:
	s_mul_i32 s16, s9, s16
	s_add_i32 s16, s16, s6
	s_mul_i32 s2, s16, s2
	s_add_i32 s33, s2, 1
.LBB16_10:
	s_clause 0x3
	s_load_dword s2, s[4:5], 0x48
	s_load_dwordx2 s[34:35], s[4:5], 0x28
	s_load_dwordx4 s[20:23], s[4:5], 0x0
	s_load_dwordx2 s[24:25], s[4:5], 0x10
	s_mul_i32 s16, s0, s11
	s_xor_b32 s15, s15, s19
	s_sub_i32 s3, s3, s16
	s_add_i32 s36, s0, 1
	v_lshrrev_b32_e32 v72, 5, v0
	v_mov_b32_e32 v5, 0xff7fffff
	v_mbcnt_lo_u32_b32 v4, -1, 0
	s_mul_i32 s14, s1, s14
	v_lshl_add_u32 v73, v72, 3, s38
	s_waitcnt lgkmcnt(0)
	s_mul_i32 s30, s2, s26
	s_sub_i32 s2, s3, s11
	s_ashr_i32 s31, s30, 31
	s_cmp_ge_u32 s3, s11
	s_cselect_b32 s0, s36, s0
	s_cselect_b32 s2, s2, s3
	s_add_i32 s3, s0, 1
	s_cmp_ge_u32 s2, s11
	s_cselect_b32 s0, s3, s0
	s_add_i32 s2, s27, 7
	s_lshl_b32 s41, s8, 6
	s_ashr_i32 s3, s2, 31
	v_or_b32_e32 v69, s41, v72
	s_lshr_b32 s3, s3, 29
	s_add_i32 s2, s2, s3
	s_add_i32 s3, s41, 64
	s_ashr_i32 s36, s2, 3
	s_xor_b32 s2, s0, s15
	s_min_i32 s16, s3, s36
	v_ashrrev_i32_e32 v70, 31, v69
	v_cmp_gt_i32_e64 s0, s16, v69
	s_sub_i32 s39, s2, s15
	s_and_saveexec_b32 s42, s0
	s_cbranch_execz .LBB16_22
; %bb.11:
	s_load_dwordx2 s[2:3], s[4:5], 0x20
	s_ashr_i32 s15, s14, 31
	s_sub_i32 s4, s39, s17
	s_lshl_b64 s[44:45], s[14:15], 2
	v_bfe_u32 v6, v0, 2, 3
	v_cmp_eq_u32_e32 vcc_lo, 0, v1
	v_lshlrev_b32_e32 v14, 2, v1
	v_lshlrev_b32_e32 v7, 8, v1
	v_cmp_neq_f32_e64 s1, s40, 0
	v_lshlrev_b32_e32 v12, 2, v6
	v_subrev_nc_u32_e32 v15, s27, v6
	v_lshlrev_b32_e32 v18, 4, v6
	v_lshl_add_u32 v8, v72, 3, s38
	v_mov_b32_e32 v9, 0xff7fffff
	v_lshl_or_b32 v16, v72, 5, v12
	v_add_nc_u32_e32 v12, 1, v15
	v_xor_b32_e32 v10, 2, v4
	v_xor_b32_e32 v11, 1, v4
	s_waitcnt lgkmcnt(0)
	s_add_u32 s15, s2, s44
	s_addc_u32 s43, s3, s45
	s_abs_i32 s5, s18
	v_cvt_f32_u32_e32 v2, s5
	s_sub_i32 s2, 0, s5
	v_rcp_iflag_f32_e32 v5, v2
	v_lshlrev_b64 v[1:2], 2, v[69:70]
	v_mul_f32_e32 v13, 0x4f7ffffe, v5
	v_mov_b32_e32 v5, 0xff7fffff
	v_cvt_u32_f32_e32 v17, v13
	v_add_nc_u32_e32 v13, 0x420, v16
	v_add_co_u32 v16, s15, s15, v18
	v_add_co_ci_u32_e64 v18, null, s43, 0, s15
	v_mul_lo_u32 v15, s2, v17
	s_lshl_b64 s[2:3], s[30:31], 2
	s_mov_b32 s15, 0
	s_add_u32 s2, s28, s2
	s_addc_u32 s3, s29, s3
	v_add_co_u32 v1, s2, s2, v1
	v_add_co_ci_u32_e64 v2, null, s3, v2, s2
	v_mul_hi_u32 v19, v17, v15
	v_add_co_u32 v14, s2, v16, v14
	v_add_co_ci_u32_e64 v15, null, 0, v18, s2
	s_mov_b32 s43, s13
	v_add_nc_u32_e32 v16, v17, v19
	v_mov_b32_e32 v17, v69
	s_branch .LBB16_14
.LBB16_12:                              ;   in Loop: Header=BB16_14 Depth=1
	s_or_b32 exec_lo, exec_lo, s44
.LBB16_13:                              ;   in Loop: Header=BB16_14 Depth=1
	s_or_b32 exec_lo, exec_lo, s3
	v_add_nc_u32_e32 v17, 4, v17
	v_add_co_u32 v1, s3, v1, 16
	v_add_co_ci_u32_e64 v2, null, 0, v2, s3
	v_cmp_le_i32_e64 s2, s16, v17
	v_add_nc_u32_e32 v8, 32, v8
	v_add_nc_u32_e32 v13, 0x80, v13
	s_or_b32 s15, s2, s15
	s_andn2_b32 exec_lo, exec_lo, s15
	s_cbranch_execz .LBB16_21
.LBB16_14:                              ; =>This Inner Loop Header: Depth=1
	v_sub_nc_u32_e32 v18, 0, v8
	v_max_i32_e32 v18, v8, v18
	s_waitcnt lgkmcnt(0)
	v_mul_hi_u32 v19, v18, s12
	v_mul_lo_u32 v20, v19, s11
	v_sub_nc_u32_e32 v18, v18, v20
	v_add_nc_u32_e32 v20, 1, v19
	v_subrev_nc_u32_e32 v21, s11, v18
	v_cmp_le_u32_e64 s2, s11, v18
	v_cndmask_b32_e64 v19, v19, v20, s2
	v_cndmask_b32_e64 v18, v18, v21, s2
	v_ashrrev_i32_e32 v20, 31, v8
	v_add_nc_u32_e32 v21, 1, v19
	v_cmp_le_u32_e64 s2, s11, v18
	v_xor_b32_e32 v20, s19, v20
	v_cndmask_b32_e64 v18, v19, v21, s2
	v_xor_b32_e32 v18, v18, v20
	v_sub_nc_u32_e32 v18, v18, v20
	v_add_nc_u32_e32 v19, s33, v18
	v_cmp_ge_i32_e64 s3, s4, v18
	v_sub_nc_u32_e32 v20, 0, v19
	v_max_i32_e32 v20, v19, v20
	v_ashrrev_i32_e32 v19, 31, v19
	v_mul_hi_u32 v21, v20, v16
	v_mul_lo_u32 v21, v21, s5
	v_sub_nc_u32_e32 v20, v20, v21
	v_subrev_nc_u32_e32 v21, s5, v20
	v_cmp_le_u32_e64 s2, s5, v20
	v_cndmask_b32_e64 v20, v20, v21, s2
	v_subrev_nc_u32_e32 v21, s5, v20
	v_cmp_le_u32_e64 s2, s5, v20
	v_cndmask_b32_e64 v20, v20, v21, s2
	v_xor_b32_e32 v20, v20, v19
	v_sub_nc_u32_e32 v19, v20, v19
	v_cmp_ne_u32_e64 s2, 0, v19
	s_and_b32 s2, s2, s3
	s_and_saveexec_b32 s3, s2
	s_xor_b32 s2, exec_lo, s3
	s_cbranch_execz .LBB16_18
; %bb.15:                               ;   in Loop: Header=BB16_14 Depth=1
	s_and_saveexec_b32 s3, vcc_lo
; %bb.16:                               ;   in Loop: Header=BB16_14 Depth=1
	ds_write_b32 v13, v9
; %bb.17:                               ;   in Loop: Header=BB16_14 Depth=1
	s_or_b32 exec_lo, exec_lo, s3
.LBB16_18:                              ;   in Loop: Header=BB16_14 Depth=1
	s_andn2_saveexec_b32 s3, s2
	s_cbranch_execz .LBB16_13
; %bb.19:                               ;   in Loop: Header=BB16_14 Depth=1
	global_load_dword v18, v[1:2], off
	s_waitcnt vmcnt(0)
	v_mad_i64_i32 v[18:19], null, v18, s43, 0
	v_lshlrev_b64 v[18:19], 2, v[18:19]
	v_add_co_u32 v18, s2, v14, v18
	v_add_co_ci_u32_e64 v19, null, v15, v19, s2
	s_clause 0xf
	global_load_dword v26, v[18:19], off offset:128
	global_load_dword v27, v[18:19], off offset:256
	;; [unrolled: 1-line block ×7, first 2 shown]
	global_load_dword v33, v[18:19], off
	global_load_dword v34, v[18:19], off offset:1024
	global_load_dword v35, v[18:19], off offset:1152
	;; [unrolled: 1-line block ×8, first 2 shown]
	v_add_co_u32 v20, s2, v18, 0x1000
	v_add_co_ci_u32_e64 v21, null, 0, v19, s2
	v_add_co_u32 v22, s2, 0x800, v18
	v_add_co_ci_u32_e64 v23, null, 0, v19, s2
	s_clause 0xf
	global_load_dword v42, v[20:21], off offset:-2048
	global_load_dword v43, v[22:23], off offset:128
	global_load_dword v44, v[22:23], off offset:256
	;; [unrolled: 1-line block ×15, first 2 shown]
	v_add_co_u32 v22, s2, 0x1000, v18
	v_add_co_ci_u32_e64 v23, null, 0, v19, s2
	s_clause 0xe
	global_load_dword v58, v[20:21], off
	global_load_dword v59, v[22:23], off offset:128
	global_load_dword v60, v[22:23], off offset:256
	;; [unrolled: 1-line block ×14, first 2 shown]
	v_add_co_u32 v24, s2, 0x1800, v18
	v_add_co_ci_u32_e64 v25, null, 0, v19, s2
	s_clause 0xc
	global_load_dword v77, v[22:23], off offset:1920
	global_load_dword v78, v[24:25], off
	global_load_dword v79, v[24:25], off offset:128
	global_load_dword v80, v[24:25], off offset:256
	;; [unrolled: 1-line block ×11, first 2 shown]
	ds_read_b128 v[18:21], v7
	s_clause 0x3
	global_load_dword v90, v[24:25], off offset:1536
	global_load_dword v91, v[24:25], off offset:1664
	;; [unrolled: 1-line block ×4, first 2 shown]
	ds_read_b128 v[22:25], v7 offset:16
	v_cmp_gt_i32_e64 s2, 32, v10
	s_waitcnt vmcnt(62) lgkmcnt(1)
	v_mul_f32_e32 v26, v19, v26
	s_waitcnt vmcnt(56)
	v_fmac_f32_e32 v26, v18, v33
	v_fmac_f32_e32 v26, v20, v27
	;; [unrolled: 1-line block ×3, first 2 shown]
	ds_read_b128 v[18:21], v7 offset:32
	s_waitcnt lgkmcnt(1)
	v_fmac_f32_e32 v26, v22, v29
	v_fmac_f32_e32 v26, v23, v30
	;; [unrolled: 1-line block ×4, first 2 shown]
	ds_read_b128 v[22:25], v7 offset:48
	s_waitcnt vmcnt(55) lgkmcnt(1)
	v_fmac_f32_e32 v26, v18, v34
	s_waitcnt vmcnt(54)
	v_fmac_f32_e32 v26, v19, v35
	s_waitcnt vmcnt(53)
	v_fmac_f32_e32 v26, v20, v36
	s_waitcnt vmcnt(52)
	v_fmac_f32_e32 v26, v21, v37
	ds_read_b128 v[18:21], v7 offset:64
	s_waitcnt vmcnt(51) lgkmcnt(1)
	v_fmac_f32_e32 v26, v22, v38
	s_waitcnt vmcnt(50)
	v_fmac_f32_e32 v26, v23, v39
	s_waitcnt vmcnt(49)
	v_fmac_f32_e32 v26, v24, v40
	s_waitcnt vmcnt(48)
	v_fmac_f32_e32 v26, v25, v41
	;; [unrolled: 9-line block ×12, first 2 shown]
	ds_read_b128 v[22:25], v7 offset:240
	s_waitcnt vmcnt(7) lgkmcnt(1)
	v_fmac_f32_e32 v26, v86, v18
	v_cndmask_b32_e64 v18, v4, v10, s2
	v_cmp_gt_i32_e64 s2, 32, v11
	s_waitcnt vmcnt(6)
	v_fmac_f32_e32 v26, v87, v19
	v_lshlrev_b32_e32 v18, 2, v18
	v_cndmask_b32_e64 v19, v4, v11, s2
	s_waitcnt vmcnt(5)
	v_fmac_f32_e32 v26, v88, v20
	v_lshlrev_b32_e32 v19, 2, v19
	s_waitcnt vmcnt(4)
	v_fmac_f32_e32 v26, v89, v21
	s_waitcnt vmcnt(3) lgkmcnt(0)
	v_fmac_f32_e32 v26, v90, v22
	s_waitcnt vmcnt(2)
	v_fmac_f32_e32 v26, v91, v23
	s_waitcnt vmcnt(1)
	;; [unrolled: 2-line block ×3, first 2 shown]
	v_fmac_f32_e32 v26, v93, v25
	ds_bpermute_b32 v18, v18, v26
	s_waitcnt lgkmcnt(0)
	v_add_f32_e32 v18, v26, v18
	ds_bpermute_b32 v19, v19, v18
	s_and_saveexec_b32 s44, vcc_lo
	s_cbranch_execz .LBB16_12
; %bb.20:                               ;   in Loop: Header=BB16_14 Depth=1
	v_add_nc_u32_e32 v20, v12, v8
	s_waitcnt lgkmcnt(0)
	v_add_f32_e32 v18, v18, v19
	v_cvt_f32_i32_e32 v20, v20
	v_mul_f32_e32 v20, s40, v20
	v_cndmask_b32_e64 v19, 0, v20, s1
	v_max_f32_e32 v20, v5, v5
	v_fmac_f32_e32 v19, s37, v18
	v_add_nc_u32_e32 v18, v6, v8
	v_max_f32_e32 v20, v20, v19
	v_cmp_gt_i32_e64 s2, s27, v18
	v_cndmask_b32_e64 v18, 0, v19, s2
	v_cndmask_b32_e64 v5, v5, v20, s2
	ds_write_b32 v13, v18
	s_branch .LBB16_12
.LBB16_21:
	s_or_b32 exec_lo, exec_lo, s15
.LBB16_22:
	s_or_b32 exec_lo, exec_lo, s42
	v_xor_b32_e32 v1, 16, v4
	v_xor_b32_e32 v6, 8, v4
	v_max_f32_e32 v7, v5, v5
	v_and_b32_e32 v74, 31, v0
	v_cmp_gt_i32_e32 vcc_lo, 32, v1
	v_cndmask_b32_e32 v1, v4, v1, vcc_lo
	v_cmp_gt_i32_e32 vcc_lo, 32, v6
	v_lshlrev_b32_e32 v2, 2, v1
	ds_bpermute_b32 v1, v2, v5
	v_cndmask_b32_e32 v5, v4, v6, vcc_lo
	v_lshlrev_b32_e32 v5, 2, v5
	s_waitcnt lgkmcnt(0)
	v_max_f32_e32 v1, v1, v1
	v_max_f32_e32 v1, v7, v1
	v_xor_b32_e32 v7, 4, v4
	ds_bpermute_b32 v6, v5, v1
	v_cmp_gt_i32_e32 vcc_lo, 32, v7
	v_cndmask_b32_e32 v7, v4, v7, vcc_lo
	v_cmp_eq_u32_e32 vcc_lo, 0, v74
	v_lshlrev_b32_e32 v8, 2, v7
	s_waitcnt lgkmcnt(0)
	v_max_f32_e32 v6, v6, v6
	v_max_f32_e32 v1, v1, v6
	v_lshlrev_b32_e32 v6, 2, v72
	ds_bpermute_b32 v7, v8, v1
	s_and_saveexec_b32 s1, vcc_lo
	s_cbranch_execz .LBB16_24
; %bb.23:
	s_waitcnt lgkmcnt(0)
	v_max_f32_e32 v7, v7, v7
	v_max_f32_e32 v1, v1, v1
	;; [unrolled: 1-line block ×3, first 2 shown]
	ds_write_b32 v6, v1 offset:1024
.LBB16_24:
	s_or_b32 exec_lo, exec_lo, s1
	v_cmp_gt_u32_e64 s1, 4, v74
	v_mov_b32_e32 v1, 0xff7fffff
	s_waitcnt lgkmcnt(0)
	v_lshlrev_b32_e32 v7, 2, v74
	s_barrier
	buffer_gl0_inv
	s_and_saveexec_b32 s2, s1
; %bb.25:
	ds_read_b32 v1, v7 offset:1024
; %bb.26:
	s_or_b32 exec_lo, exec_lo, s2
	v_xor_b32_e32 v9, 2, v4
	v_xor_b32_e32 v11, 1, v4
	v_cmp_gt_i32_e64 s2, 32, v9
	v_cndmask_b32_e64 v9, v4, v9, s2
	v_cmp_gt_i32_e64 s2, 32, v11
	v_lshlrev_b32_e32 v9, 2, v9
	v_cndmask_b32_e64 v4, v4, v11, s2
	s_sub_i32 s2, s16, s41
	s_lshl_b32 s2, s2, 3
	s_waitcnt lgkmcnt(0)
	ds_bpermute_b32 v10, v9, v1
	v_max_f32_e32 v1, v1, v1
	v_lshlrev_b32_e32 v75, 2, v4
	s_add_i32 s2, s2, s38
	s_min_i32 s2, s2, s27
	s_sub_i32 s4, s2, s38
	v_cmp_gt_i32_e64 s2, s4, v0
	s_waitcnt lgkmcnt(0)
	v_max_f32_e32 v10, v10, v10
	v_max_f32_e32 v1, v1, v10
	v_mov_b32_e32 v10, 0
	ds_bpermute_b32 v4, v75, v1
	s_waitcnt lgkmcnt(0)
	v_max_f32_e32 v4, v4, v4
	v_max_f32_e32 v1, v1, v4
	v_lshl_add_u32 v4, v0, 2, 0x420
	ds_bpermute_b32 v1, v10, v1
	s_and_saveexec_b32 s5, s2
	s_cbranch_execz .LBB16_30
; %bb.27:
	v_lshl_add_u32 v11, v0, 2, 0x420
	v_mov_b32_e32 v10, 0
	v_mov_b32_e32 v12, v0
	s_mov_b32 s15, 0
	.p2align	6
.LBB16_28:                              ; =>This Inner Loop Header: Depth=1
	ds_read_b32 v13, v11
	v_add_nc_u32_e32 v12, 0x80, v12
	v_cmp_le_i32_e64 s3, s4, v12
	s_or_b32 s15, s3, s15
	s_waitcnt lgkmcnt(0)
	v_sub_f32_e32 v13, v13, v1
	v_mul_f32_e32 v13, 0x3fb8aa3b, v13
	v_exp_f32_e32 v13, v13
	ds_write_b32 v11, v13
	v_add_f32_e32 v10, v10, v13
	v_add_nc_u32_e32 v11, 0x200, v11
	s_andn2_b32 exec_lo, exec_lo, s15
	s_cbranch_execnz .LBB16_28
; %bb.29:
	s_or_b32 exec_lo, exec_lo, s15
.LBB16_30:
	s_or_b32 exec_lo, exec_lo, s5
	ds_bpermute_b32 v2, v2, v10
	s_waitcnt lgkmcnt(0)
	v_add_f32_e32 v2, v10, v2
	ds_bpermute_b32 v5, v5, v2
	s_waitcnt lgkmcnt(0)
	v_add_f32_e32 v2, v2, v5
	;; [unrolled: 3-line block ×5, first 2 shown]
	s_and_saveexec_b32 s3, vcc_lo
; %bb.31:
	ds_write_b32 v6, v2 offset:1040
; %bb.32:
	s_or_b32 exec_lo, exec_lo, s3
	s_waitcnt lgkmcnt(0)
	s_barrier
	buffer_gl0_inv
	s_and_saveexec_b32 s3, s1
; %bb.33:
	ds_read_b32 v2, v7 offset:1040
; %bb.34:
	s_or_b32 exec_lo, exec_lo, s3
	s_waitcnt lgkmcnt(0)
	ds_bpermute_b32 v5, v9, v2
	s_waitcnt lgkmcnt(0)
	v_add_f32_e32 v2, v2, v5
	ds_bpermute_b32 v5, v75, v2
	s_waitcnt lgkmcnt(0)
	v_add_f32_e32 v2, v2, v5
	v_mov_b32_e32 v5, 0
	ds_bpermute_b32 v2, v5, v2
	s_and_saveexec_b32 s1, s2
	s_cbranch_execz .LBB16_37
; %bb.35:
	s_waitcnt lgkmcnt(0)
	v_add_f32_e32 v5, 0x358637bd, v2
	s_mov_b32 s2, 0
	v_div_scale_f32 v6, null, v5, v5, 1.0
	v_div_scale_f32 v9, vcc_lo, 1.0, v5, 1.0
	v_rcp_f32_e32 v7, v6
	v_fma_f32 v8, -v6, v7, 1.0
	v_fmac_f32_e32 v7, v8, v7
	v_mul_f32_e32 v8, v9, v7
	v_fma_f32 v10, -v6, v8, v9
	v_fmac_f32_e32 v8, v10, v7
	v_fma_f32 v6, -v6, v8, v9
	v_div_fmas_f32 v6, v6, v7, v8
	v_div_fixup_f32 v5, v6, v5, 1.0
	v_mov_b32_e32 v6, v0
.LBB16_36:                              ; =>This Inner Loop Header: Depth=1
	ds_read_b32 v7, v4
	v_add_nc_u32_e32 v6, 0x80, v6
	v_cmp_le_i32_e32 vcc_lo, s4, v6
	s_or_b32 s2, vcc_lo, s2
	s_waitcnt lgkmcnt(0)
	v_mul_f32_e32 v7, v5, v7
	ds_write_b32 v4, v7
	v_add_nc_u32_e32 v4, 0x200, v4
	s_andn2_b32 exec_lo, exec_lo, s2
	s_cbranch_execnz .LBB16_36
.LBB16_37:
	s_or_b32 exec_lo, exec_lo, s1
	s_mul_i32 s1, s7, s26
	s_waitcnt lgkmcnt(0)
	s_mul_i32 s4, s1, s9
	s_mov_b32 s1, exec_lo
	s_barrier
	buffer_gl0_inv
	v_cmpx_eq_u32_e32 0, v0
	s_cbranch_execz .LBB16_39
; %bb.38:
	s_ashr_i32 s5, s4, 31
	s_mul_i32 s40, s7, s6
	s_lshl_b64 s[2:3], s[4:5], 2
	v_mov_b32_e32 v4, 0
	s_add_u32 s5, s22, s2
	s_addc_u32 s6, s23, s3
	s_ashr_i32 s41, s40, 31
	s_lshl_b64 s[22:23], s[40:41], 2
	s_add_u32 s5, s5, s22
	s_addc_u32 s6, s6, s23
	s_ashr_i32 s9, s8, 31
	s_lshl_b64 s[40:41], s[8:9], 2
	s_add_u32 s42, s5, s40
	s_addc_u32 s43, s6, s41
	s_add_u32 s2, s20, s2
	s_addc_u32 s3, s21, s3
	;; [unrolled: 2-line block ×4, first 2 shown]
	global_store_dword v4, v1, s[42:43]
	global_store_dword v4, v2, s[2:3]
.LBB16_39:
	s_or_b32 exec_lo, exec_lo, s1
	v_mov_b32_e32 v92, 0
	v_and_b32_e32 v76, 1, v0
	v_mov_b32_e32 v91, 0
	v_mov_b32_e32 v90, 0
	;; [unrolled: 1-line block ×15, first 2 shown]
	s_and_saveexec_b32 s5, s0
	s_cbranch_execz .LBB16_77
; %bb.40:
	s_ashr_i32 s15, s14, 31
	s_sub_i32 s6, s39, s17
	s_lshl_b64 s[0:1], s[14:15], 2
	v_and_b32_e32 v93, 4, v3
	s_add_u32 s2, s34, s0
	s_addc_u32 s3, s35, s1
	s_abs_i32 s9, s18
	v_lshlrev_b32_e32 v3, 4, v0
	v_cvt_f32_u32_e32 v1, s9
	s_sub_i32 s0, 0, s9
	v_lshlrev_b32_e32 v5, 4, v76
	s_add_i32 s36, s36, -1
	v_and_b32_e32 v3, 0x1f0, v3
	v_rcp_iflag_f32_e32 v4, v1
	v_lshlrev_b64 v[1:2], 2, v[69:70]
	v_lshl_or_b32 v5, v72, 5, v5
	v_mov_b32_e32 v77, 0
	v_add_co_u32 v94, s2, s2, v3
	v_mov_b32_e32 v78, 0
	v_mov_b32_e32 v79, 0
	;; [unrolled: 1-line block ×4, first 2 shown]
	v_mul_f32_e32 v4, 0x4f7ffffe, v4
	v_mov_b32_e32 v82, 0
	v_mov_b32_e32 v83, 0
	;; [unrolled: 1-line block ×4, first 2 shown]
	v_cvt_u32_f32_e32 v4, v4
	v_mov_b32_e32 v86, 0
	v_mov_b32_e32 v87, 0
	;; [unrolled: 1-line block ×4, first 2 shown]
	v_mul_lo_u32 v6, s0, v4
	s_lshl_b64 s[0:1], s[30:31], 2
	v_mov_b32_e32 v90, 0
	s_add_u32 s0, s28, s0
	s_addc_u32 s1, s29, s1
	v_add_co_u32 v70, vcc_lo, s0, v1
	v_mov_b32_e32 v91, 0
	v_mul_hi_u32 v6, v4, v6
	v_add_co_ci_u32_e64 v95, null, s3, 0, s2
	v_add_nc_u32_e32 v96, 0x420, v5
	v_add_co_ci_u32_e64 v71, null, s1, v2, vcc_lo
	v_mov_b32_e32 v92, 0
	s_mov_b32 s14, s13
	v_add_nc_u32_e32 v97, v4, v6
	s_mov_b32 s13, 0
	s_branch .LBB16_43
.LBB16_41:                              ;   in Loop: Header=BB16_43 Depth=1
	s_or_b32 exec_lo, exec_lo, s0
	s_waitcnt vmcnt(1) lgkmcnt(0)
	v_mul_f32_e32 v65, v1, v65
	v_mul_f32_e32 v61, v1, v61
	;; [unrolled: 1-line block ×15, first 2 shown]
	s_waitcnt vmcnt(0)
	v_mul_f32_e32 v1, v1, v53
	v_fmac_f32_e32 v65, v2, v66
	v_fmac_f32_e32 v61, v2, v62
	;; [unrolled: 1-line block ×48, first 2 shown]
	v_add_f32_e32 v78, v78, v65
	v_add_f32_e32 v79, v79, v61
	;; [unrolled: 1-line block ×16, first 2 shown]
.LBB16_42:                              ;   in Loop: Header=BB16_43 Depth=1
	s_or_b32 exec_lo, exec_lo, s15
	v_add_nc_u32_e32 v69, 4, v69
	v_add_co_u32 v70, s0, v70, 16
	v_add_co_ci_u32_e64 v71, null, 0, v71, s0
	v_cmp_le_i32_e32 vcc_lo, s16, v69
	v_add_nc_u32_e32 v73, 32, v73
	v_add_nc_u32_e32 v96, 0x80, v96
	s_or_b32 s13, vcc_lo, s13
	s_andn2_b32 exec_lo, exec_lo, s13
	s_cbranch_execz .LBB16_76
.LBB16_43:                              ; =>This Inner Loop Header: Depth=1
	v_sub_nc_u32_e32 v1, 0, v73
	v_max_i32_e32 v1, v73, v1
	v_mul_hi_u32 v2, v1, s12
	v_mul_lo_u32 v3, v2, s11
	v_sub_nc_u32_e32 v1, v1, v3
	v_add_nc_u32_e32 v3, 1, v2
	v_subrev_nc_u32_e32 v4, s11, v1
	v_cmp_le_u32_e32 vcc_lo, s11, v1
	v_cndmask_b32_e32 v2, v2, v3, vcc_lo
	v_cndmask_b32_e32 v1, v1, v4, vcc_lo
	v_ashrrev_i32_e32 v3, 31, v73
	v_add_nc_u32_e32 v4, 1, v2
	v_cmp_le_u32_e32 vcc_lo, s11, v1
	v_xor_b32_e32 v3, s19, v3
	v_cndmask_b32_e32 v1, v2, v4, vcc_lo
	v_xor_b32_e32 v1, v1, v3
	v_sub_nc_u32_e32 v1, v1, v3
	v_add_nc_u32_e32 v2, s33, v1
	v_cmp_lt_i32_e64 s0, s6, v1
	v_sub_nc_u32_e32 v3, 0, v2
	v_max_i32_e32 v3, v2, v3
	v_ashrrev_i32_e32 v2, 31, v2
	v_mul_hi_u32 v4, v3, v97
	v_mul_lo_u32 v4, v4, s9
	v_sub_nc_u32_e32 v3, v3, v4
	v_subrev_nc_u32_e32 v4, s9, v3
	v_cmp_le_u32_e32 vcc_lo, s9, v3
	v_cndmask_b32_e32 v3, v3, v4, vcc_lo
	v_subrev_nc_u32_e32 v4, s9, v3
	v_cmp_le_u32_e32 vcc_lo, s9, v3
	v_cndmask_b32_e32 v3, v3, v4, vcc_lo
	v_xor_b32_e32 v3, v3, v2
	v_sub_nc_u32_e32 v2, v3, v2
	v_cmp_eq_u32_e32 vcc_lo, 0, v2
	s_or_b32 s0, vcc_lo, s0
	s_and_saveexec_b32 s15, s0
	s_cbranch_execz .LBB16_42
; %bb.44:                               ;   in Loop: Header=BB16_43 Depth=1
	global_load_dword v1, v[70:71], off
	v_add_nc_u32_e32 v98, v93, v73
	v_add_nc_u32_e32 v101, 1, v98
	v_add_nc_u32_e32 v100, 2, v98
	v_add_nc_u32_e32 v99, 3, v98
	s_waitcnt vmcnt(0)
	v_mad_i64_i32 v[1:2], null, v1, s14, 0
	v_lshlrev_b64 v[1:2], 2, v[1:2]
	v_add_co_u32 v53, vcc_lo, v94, v1
	v_add_co_ci_u32_e64 v54, null, v95, v2, vcc_lo
	ds_read_b128 v[1:4], v96
	v_cmp_eq_u32_e32 vcc_lo, s36, v69
	global_load_dwordx4 v[5:8], v[53:54], off
	s_and_saveexec_b32 s1, vcc_lo
	s_cbranch_execnz .LBB16_63
; %bb.45:                               ;   in Loop: Header=BB16_43 Depth=1
	s_or_b32 exec_lo, exec_lo, s1
	global_load_dwordx4 v[9:12], v[53:54], off offset:512
	s_and_saveexec_b32 s1, vcc_lo
	s_cbranch_execnz .LBB16_64
.LBB16_46:                              ;   in Loop: Header=BB16_43 Depth=1
	s_or_b32 exec_lo, exec_lo, s1
	global_load_dwordx4 v[13:16], v[53:54], off offset:1024
	s_and_saveexec_b32 s1, vcc_lo
	s_cbranch_execnz .LBB16_65
.LBB16_47:                              ;   in Loop: Header=BB16_43 Depth=1
	s_or_b32 exec_lo, exec_lo, s1
	global_load_dwordx4 v[17:20], v[53:54], off offset:1536
	s_and_saveexec_b32 s1, vcc_lo
	s_cbranch_execz .LBB16_49
.LBB16_48:                              ;   in Loop: Header=BB16_43 Depth=1
	v_cmp_gt_i32_e64 s0, s27, v98
	s_waitcnt vmcnt(0)
	v_cndmask_b32_e64 v17, 0, v17, s0
	v_cmp_gt_i32_e64 s0, s27, v101
	v_cndmask_b32_e64 v18, 0, v18, s0
	v_cmp_gt_i32_e64 s0, s27, v100
	;; [unrolled: 2-line block ×3, first 2 shown]
	v_cndmask_b32_e64 v20, 0, v20, s0
.LBB16_49:                              ;   in Loop: Header=BB16_43 Depth=1
	s_or_b32 exec_lo, exec_lo, s1
	v_add_co_u32 v33, s0, 0x800, v53
	v_add_co_ci_u32_e64 v34, null, 0, v54, s0
	global_load_dwordx4 v[21:24], v[33:34], off
	s_and_saveexec_b32 s1, vcc_lo
	s_cbranch_execnz .LBB16_66
; %bb.50:                               ;   in Loop: Header=BB16_43 Depth=1
	s_or_b32 exec_lo, exec_lo, s1
	global_load_dwordx4 v[25:28], v[33:34], off offset:512
	s_and_saveexec_b32 s1, vcc_lo
	s_cbranch_execnz .LBB16_67
.LBB16_51:                              ;   in Loop: Header=BB16_43 Depth=1
	s_or_b32 exec_lo, exec_lo, s1
	global_load_dwordx4 v[29:32], v[33:34], off offset:1024
	s_and_saveexec_b32 s1, vcc_lo
	s_cbranch_execnz .LBB16_68
.LBB16_52:                              ;   in Loop: Header=BB16_43 Depth=1
	s_or_b32 exec_lo, exec_lo, s1
	global_load_dwordx4 v[33:36], v[33:34], off offset:1536
	s_and_saveexec_b32 s1, vcc_lo
	s_cbranch_execz .LBB16_54
.LBB16_53:                              ;   in Loop: Header=BB16_43 Depth=1
	v_cmp_gt_i32_e64 s0, s27, v98
	s_waitcnt vmcnt(0)
	v_cndmask_b32_e64 v33, 0, v33, s0
	v_cmp_gt_i32_e64 s0, s27, v101
	v_cndmask_b32_e64 v34, 0, v34, s0
	v_cmp_gt_i32_e64 s0, s27, v100
	;; [unrolled: 2-line block ×3, first 2 shown]
	v_cndmask_b32_e64 v36, 0, v36, s0
.LBB16_54:                              ;   in Loop: Header=BB16_43 Depth=1
	s_or_b32 exec_lo, exec_lo, s1
	v_add_co_u32 v49, s0, 0x1000, v53
	v_add_co_ci_u32_e64 v50, null, 0, v54, s0
	global_load_dwordx4 v[37:40], v[49:50], off
	s_and_saveexec_b32 s1, vcc_lo
	s_cbranch_execnz .LBB16_69
; %bb.55:                               ;   in Loop: Header=BB16_43 Depth=1
	s_or_b32 exec_lo, exec_lo, s1
	global_load_dwordx4 v[41:44], v[49:50], off offset:512
	s_and_saveexec_b32 s1, vcc_lo
	s_cbranch_execnz .LBB16_70
.LBB16_56:                              ;   in Loop: Header=BB16_43 Depth=1
	s_or_b32 exec_lo, exec_lo, s1
	global_load_dwordx4 v[45:48], v[49:50], off offset:1024
	s_and_saveexec_b32 s1, vcc_lo
	s_cbranch_execnz .LBB16_71
.LBB16_57:                              ;   in Loop: Header=BB16_43 Depth=1
	s_or_b32 exec_lo, exec_lo, s1
	global_load_dwordx4 v[49:52], v[49:50], off offset:1536
	s_and_saveexec_b32 s1, vcc_lo
	s_cbranch_execz .LBB16_59
.LBB16_58:                              ;   in Loop: Header=BB16_43 Depth=1
	v_cmp_gt_i32_e64 s0, s27, v98
	s_waitcnt vmcnt(0)
	v_cndmask_b32_e64 v49, 0, v49, s0
	v_cmp_gt_i32_e64 s0, s27, v101
	v_cndmask_b32_e64 v50, 0, v50, s0
	v_cmp_gt_i32_e64 s0, s27, v100
	;; [unrolled: 2-line block ×3, first 2 shown]
	v_cndmask_b32_e64 v52, 0, v52, s0
.LBB16_59:                              ;   in Loop: Header=BB16_43 Depth=1
	s_or_b32 exec_lo, exec_lo, s1
	v_add_co_u32 v53, s0, 0x1800, v53
	v_add_co_ci_u32_e64 v54, null, 0, v54, s0
	global_load_dwordx4 v[57:60], v[53:54], off
	s_and_saveexec_b32 s1, vcc_lo
	s_cbranch_execnz .LBB16_72
; %bb.60:                               ;   in Loop: Header=BB16_43 Depth=1
	s_or_b32 exec_lo, exec_lo, s1
	global_load_dwordx4 v[61:64], v[53:54], off offset:512
	s_and_saveexec_b32 s1, vcc_lo
	s_cbranch_execnz .LBB16_73
.LBB16_61:                              ;   in Loop: Header=BB16_43 Depth=1
	s_or_b32 exec_lo, exec_lo, s1
	global_load_dwordx4 v[65:68], v[53:54], off offset:1024
	s_and_saveexec_b32 s17, vcc_lo
	s_cbranch_execnz .LBB16_74
.LBB16_62:                              ;   in Loop: Header=BB16_43 Depth=1
	s_or_b32 exec_lo, exec_lo, s17
	global_load_dwordx4 v[53:56], v[53:54], off offset:1536
	s_and_saveexec_b32 s0, vcc_lo
	s_cbranch_execz .LBB16_41
	s_branch .LBB16_75
.LBB16_63:                              ;   in Loop: Header=BB16_43 Depth=1
	v_cmp_gt_i32_e64 s0, s27, v98
	s_waitcnt vmcnt(0)
	v_cndmask_b32_e64 v5, 0, v5, s0
	v_cmp_gt_i32_e64 s0, s27, v101
	v_cndmask_b32_e64 v6, 0, v6, s0
	v_cmp_gt_i32_e64 s0, s27, v100
	;; [unrolled: 2-line block ×3, first 2 shown]
	v_cndmask_b32_e64 v8, 0, v8, s0
	s_or_b32 exec_lo, exec_lo, s1
	global_load_dwordx4 v[9:12], v[53:54], off offset:512
	s_and_saveexec_b32 s1, vcc_lo
	s_cbranch_execz .LBB16_46
.LBB16_64:                              ;   in Loop: Header=BB16_43 Depth=1
	v_cmp_gt_i32_e64 s0, s27, v98
	s_waitcnt vmcnt(0)
	v_cndmask_b32_e64 v9, 0, v9, s0
	v_cmp_gt_i32_e64 s0, s27, v101
	v_cndmask_b32_e64 v10, 0, v10, s0
	v_cmp_gt_i32_e64 s0, s27, v100
	;; [unrolled: 2-line block ×3, first 2 shown]
	v_cndmask_b32_e64 v12, 0, v12, s0
	s_or_b32 exec_lo, exec_lo, s1
	global_load_dwordx4 v[13:16], v[53:54], off offset:1024
	s_and_saveexec_b32 s1, vcc_lo
	s_cbranch_execz .LBB16_47
.LBB16_65:                              ;   in Loop: Header=BB16_43 Depth=1
	v_cmp_gt_i32_e64 s0, s27, v98
	s_waitcnt vmcnt(0)
	v_cndmask_b32_e64 v13, 0, v13, s0
	v_cmp_gt_i32_e64 s0, s27, v101
	v_cndmask_b32_e64 v14, 0, v14, s0
	v_cmp_gt_i32_e64 s0, s27, v100
	;; [unrolled: 2-line block ×3, first 2 shown]
	v_cndmask_b32_e64 v16, 0, v16, s0
	s_or_b32 exec_lo, exec_lo, s1
	global_load_dwordx4 v[17:20], v[53:54], off offset:1536
	s_and_saveexec_b32 s1, vcc_lo
	s_cbranch_execnz .LBB16_48
	s_branch .LBB16_49
.LBB16_66:                              ;   in Loop: Header=BB16_43 Depth=1
	v_cmp_gt_i32_e64 s0, s27, v98
	s_waitcnt vmcnt(0)
	v_cndmask_b32_e64 v21, 0, v21, s0
	v_cmp_gt_i32_e64 s0, s27, v101
	v_cndmask_b32_e64 v22, 0, v22, s0
	v_cmp_gt_i32_e64 s0, s27, v100
	;; [unrolled: 2-line block ×3, first 2 shown]
	v_cndmask_b32_e64 v24, 0, v24, s0
	s_or_b32 exec_lo, exec_lo, s1
	global_load_dwordx4 v[25:28], v[33:34], off offset:512
	s_and_saveexec_b32 s1, vcc_lo
	s_cbranch_execz .LBB16_51
.LBB16_67:                              ;   in Loop: Header=BB16_43 Depth=1
	v_cmp_gt_i32_e64 s0, s27, v98
	s_waitcnt vmcnt(0)
	v_cndmask_b32_e64 v25, 0, v25, s0
	v_cmp_gt_i32_e64 s0, s27, v101
	v_cndmask_b32_e64 v26, 0, v26, s0
	v_cmp_gt_i32_e64 s0, s27, v100
	v_cndmask_b32_e64 v27, 0, v27, s0
	v_cmp_gt_i32_e64 s0, s27, v99
	v_cndmask_b32_e64 v28, 0, v28, s0
	s_or_b32 exec_lo, exec_lo, s1
	global_load_dwordx4 v[29:32], v[33:34], off offset:1024
	s_and_saveexec_b32 s1, vcc_lo
	s_cbranch_execz .LBB16_52
.LBB16_68:                              ;   in Loop: Header=BB16_43 Depth=1
	v_cmp_gt_i32_e64 s0, s27, v98
	s_waitcnt vmcnt(0)
	v_cndmask_b32_e64 v29, 0, v29, s0
	v_cmp_gt_i32_e64 s0, s27, v101
	v_cndmask_b32_e64 v30, 0, v30, s0
	v_cmp_gt_i32_e64 s0, s27, v100
	;; [unrolled: 2-line block ×3, first 2 shown]
	v_cndmask_b32_e64 v32, 0, v32, s0
	s_or_b32 exec_lo, exec_lo, s1
	global_load_dwordx4 v[33:36], v[33:34], off offset:1536
	s_and_saveexec_b32 s1, vcc_lo
	s_cbranch_execnz .LBB16_53
	s_branch .LBB16_54
.LBB16_69:                              ;   in Loop: Header=BB16_43 Depth=1
	v_cmp_gt_i32_e64 s0, s27, v98
	s_waitcnt vmcnt(0)
	v_cndmask_b32_e64 v37, 0, v37, s0
	v_cmp_gt_i32_e64 s0, s27, v101
	v_cndmask_b32_e64 v38, 0, v38, s0
	v_cmp_gt_i32_e64 s0, s27, v100
	;; [unrolled: 2-line block ×3, first 2 shown]
	v_cndmask_b32_e64 v40, 0, v40, s0
	s_or_b32 exec_lo, exec_lo, s1
	global_load_dwordx4 v[41:44], v[49:50], off offset:512
	s_and_saveexec_b32 s1, vcc_lo
	s_cbranch_execz .LBB16_56
.LBB16_70:                              ;   in Loop: Header=BB16_43 Depth=1
	v_cmp_gt_i32_e64 s0, s27, v98
	s_waitcnt vmcnt(0)
	v_cndmask_b32_e64 v41, 0, v41, s0
	v_cmp_gt_i32_e64 s0, s27, v101
	v_cndmask_b32_e64 v42, 0, v42, s0
	v_cmp_gt_i32_e64 s0, s27, v100
	;; [unrolled: 2-line block ×3, first 2 shown]
	v_cndmask_b32_e64 v44, 0, v44, s0
	s_or_b32 exec_lo, exec_lo, s1
	global_load_dwordx4 v[45:48], v[49:50], off offset:1024
	s_and_saveexec_b32 s1, vcc_lo
	s_cbranch_execz .LBB16_57
.LBB16_71:                              ;   in Loop: Header=BB16_43 Depth=1
	v_cmp_gt_i32_e64 s0, s27, v98
	s_waitcnt vmcnt(0)
	v_cndmask_b32_e64 v45, 0, v45, s0
	v_cmp_gt_i32_e64 s0, s27, v101
	v_cndmask_b32_e64 v46, 0, v46, s0
	v_cmp_gt_i32_e64 s0, s27, v100
	;; [unrolled: 2-line block ×3, first 2 shown]
	v_cndmask_b32_e64 v48, 0, v48, s0
	s_or_b32 exec_lo, exec_lo, s1
	global_load_dwordx4 v[49:52], v[49:50], off offset:1536
	s_and_saveexec_b32 s1, vcc_lo
	s_cbranch_execnz .LBB16_58
	s_branch .LBB16_59
.LBB16_72:                              ;   in Loop: Header=BB16_43 Depth=1
	v_cmp_gt_i32_e64 s0, s27, v98
	s_waitcnt vmcnt(0)
	v_cndmask_b32_e64 v57, 0, v57, s0
	v_cmp_gt_i32_e64 s0, s27, v101
	v_cndmask_b32_e64 v58, 0, v58, s0
	v_cmp_gt_i32_e64 s0, s27, v100
	;; [unrolled: 2-line block ×3, first 2 shown]
	v_cndmask_b32_e64 v60, 0, v60, s0
	s_or_b32 exec_lo, exec_lo, s1
	global_load_dwordx4 v[61:64], v[53:54], off offset:512
	s_and_saveexec_b32 s1, vcc_lo
	s_cbranch_execz .LBB16_61
.LBB16_73:                              ;   in Loop: Header=BB16_43 Depth=1
	v_cmp_gt_i32_e64 s0, s27, v98
	s_waitcnt vmcnt(0)
	v_cndmask_b32_e64 v61, 0, v61, s0
	v_cmp_gt_i32_e64 s0, s27, v101
	v_cndmask_b32_e64 v62, 0, v62, s0
	v_cmp_gt_i32_e64 s0, s27, v100
	;; [unrolled: 2-line block ×3, first 2 shown]
	v_cndmask_b32_e64 v64, 0, v64, s0
	s_or_b32 exec_lo, exec_lo, s1
	global_load_dwordx4 v[65:68], v[53:54], off offset:1024
	s_and_saveexec_b32 s17, vcc_lo
	s_cbranch_execz .LBB16_62
.LBB16_74:                              ;   in Loop: Header=BB16_43 Depth=1
	v_cmp_gt_i32_e64 s0, s27, v98
	v_cmp_gt_i32_e64 s1, s27, v101
	;; [unrolled: 1-line block ×4, first 2 shown]
	s_waitcnt vmcnt(0)
	v_cndmask_b32_e64 v65, 0, v65, s0
	v_cndmask_b32_e64 v66, 0, v66, s1
	;; [unrolled: 1-line block ×4, first 2 shown]
	s_or_b32 exec_lo, exec_lo, s17
	global_load_dwordx4 v[53:56], v[53:54], off offset:1536
	s_and_saveexec_b32 s0, vcc_lo
	s_cbranch_execz .LBB16_41
.LBB16_75:                              ;   in Loop: Header=BB16_43 Depth=1
	v_cmp_gt_i32_e32 vcc_lo, s27, v98
	s_waitcnt vmcnt(0)
	v_cndmask_b32_e32 v53, 0, v53, vcc_lo
	v_cmp_gt_i32_e32 vcc_lo, s27, v101
	v_cndmask_b32_e32 v54, 0, v54, vcc_lo
	v_cmp_gt_i32_e32 vcc_lo, s27, v100
	;; [unrolled: 2-line block ×3, first 2 shown]
	v_cndmask_b32_e32 v56, 0, v56, vcc_lo
	s_branch .LBB16_41
.LBB16_76:
	s_or_b32 exec_lo, exec_lo, s13
.LBB16_77:
	s_or_b32 exec_lo, exec_lo, s5
	ds_bpermute_b32 v1, v75, v92
	ds_bpermute_b32 v2, v75, v91
	;; [unrolled: 1-line block ×16, first 2 shown]
	v_lshrrev_b32_e32 v17, 1, v74
	v_and_b32_e32 v20, 0x3c1, v0
	v_lshlrev_b32_e32 v19, 10, v72
	s_mov_b32 s0, exec_lo
	s_waitcnt lgkmcnt(15)
	v_add_f32_e32 v1, v92, v1
	s_waitcnt lgkmcnt(14)
	v_add_f32_e32 v2, v91, v2
	;; [unrolled: 2-line block ×16, first 2 shown]
	v_lshl_add_u32 v18, v17, 2, 0x420
	s_waitcnt_vscnt null, 0x0
	s_barrier
	buffer_gl0_inv
	v_cmpx_eq_u32_e32 64, v20
	s_cbranch_execz .LBB16_79
; %bb.78:
	v_add_nc_u32_e32 v20, v18, v19
	v_add_nc_u32_e32 v21, 0xfffff800, v20
	;; [unrolled: 1-line block ×7, first 2 shown]
	ds_write_b32 v21, v1
	ds_write_b32 v22, v2
	;; [unrolled: 1-line block ×6, first 2 shown]
	v_add_nc_u32_e32 v21, 0xfffff980, v20
	v_add_nc_u32_e32 v22, 0xfffff9c0, v20
	;; [unrolled: 1-line block ×5, first 2 shown]
	ds_write_b32 v21, v7
	ds_write_b32 v22, v8
	;; [unrolled: 1-line block ×5, first 2 shown]
	v_add_nc_u32_e32 v21, 0xfffffac0, v20
	v_add_nc_u32_e32 v22, 0xfffffb00, v20
	v_add_nc_u32_e32 v23, 0xfffffb40, v20
	v_add_nc_u32_e32 v24, 0xfffffb80, v20
	v_add_nc_u32_e32 v20, 0xfffffbc0, v20
	ds_write_b32 v21, v12
	ds_write_b32 v22, v13
	ds_write_b32 v23, v14
	ds_write_b32 v24, v15
	ds_write_b32 v20, v16
.LBB16_79:
	s_or_b32 exec_lo, exec_lo, s0
	v_lshlrev_b32_e32 v17, 2, v17
	s_mov_b32 s1, exec_lo
	v_cmp_eq_u32_e32 vcc_lo, 0, v76
	s_waitcnt lgkmcnt(0)
	s_barrier
	v_add3_u32 v17, 0x420, v19, v17
	buffer_gl0_inv
	v_cmpx_gt_u32_e32 64, v0
	s_cbranch_execz .LBB16_98
; %bb.80:
	s_and_saveexec_b32 s0, vcc_lo
	s_cbranch_execnz .LBB16_122
; %bb.81:
	s_or_b32 exec_lo, exec_lo, s0
	s_and_saveexec_b32 s0, vcc_lo
	s_cbranch_execnz .LBB16_123
.LBB16_82:
	s_or_b32 exec_lo, exec_lo, s0
	s_and_saveexec_b32 s0, vcc_lo
	s_cbranch_execnz .LBB16_124
.LBB16_83:
	s_or_b32 exec_lo, exec_lo, s0
	s_and_saveexec_b32 s0, vcc_lo
	s_cbranch_execnz .LBB16_125
.LBB16_84:
	s_or_b32 exec_lo, exec_lo, s0
	s_and_saveexec_b32 s0, vcc_lo
	s_cbranch_execnz .LBB16_126
.LBB16_85:
	s_or_b32 exec_lo, exec_lo, s0
	s_and_saveexec_b32 s0, vcc_lo
	s_cbranch_execnz .LBB16_127
.LBB16_86:
	s_or_b32 exec_lo, exec_lo, s0
	s_and_saveexec_b32 s0, vcc_lo
	s_cbranch_execnz .LBB16_128
.LBB16_87:
	s_or_b32 exec_lo, exec_lo, s0
	s_and_saveexec_b32 s0, vcc_lo
	s_cbranch_execnz .LBB16_129
.LBB16_88:
	s_or_b32 exec_lo, exec_lo, s0
	s_and_saveexec_b32 s0, vcc_lo
	s_cbranch_execnz .LBB16_130
.LBB16_89:
	s_or_b32 exec_lo, exec_lo, s0
	s_and_saveexec_b32 s0, vcc_lo
	s_cbranch_execnz .LBB16_131
.LBB16_90:
	s_or_b32 exec_lo, exec_lo, s0
	s_and_saveexec_b32 s0, vcc_lo
	s_cbranch_execnz .LBB16_132
.LBB16_91:
	s_or_b32 exec_lo, exec_lo, s0
	s_and_saveexec_b32 s0, vcc_lo
	s_cbranch_execnz .LBB16_133
.LBB16_92:
	s_or_b32 exec_lo, exec_lo, s0
	s_and_saveexec_b32 s0, vcc_lo
	s_cbranch_execnz .LBB16_134
.LBB16_93:
	s_or_b32 exec_lo, exec_lo, s0
	s_and_saveexec_b32 s0, vcc_lo
	s_cbranch_execnz .LBB16_135
.LBB16_94:
	s_or_b32 exec_lo, exec_lo, s0
	s_and_saveexec_b32 s0, vcc_lo
	s_cbranch_execnz .LBB16_136
.LBB16_95:
	s_or_b32 exec_lo, exec_lo, s0
	s_and_saveexec_b32 s0, vcc_lo
	s_cbranch_execz .LBB16_97
.LBB16_96:
	ds_read_b32 v19, v17 offset:960
	s_waitcnt lgkmcnt(0)
	v_add_f32_e32 v16, v16, v19
.LBB16_97:
	s_or_b32 exec_lo, exec_lo, s0
.LBB16_98:
	s_or_b32 exec_lo, exec_lo, s1
	v_and_b32_e32 v19, 0x3e1, v0
	s_mov_b32 s1, exec_lo
	s_barrier
	buffer_gl0_inv
	v_cmpx_eq_u32_e32 32, v19
	s_cbranch_execz .LBB16_100
; %bb.99:
	ds_write2_b32 v18, v1, v2 offset1:16
	ds_write2_b32 v18, v3, v4 offset0:32 offset1:48
	ds_write2_b32 v18, v5, v6 offset0:64 offset1:80
	;; [unrolled: 1-line block ×7, first 2 shown]
.LBB16_100:
	s_or_b32 exec_lo, exec_lo, s1
	s_mov_b32 s1, exec_lo
	s_waitcnt lgkmcnt(0)
	s_barrier
	buffer_gl0_inv
	v_cmpx_gt_u32_e32 32, v0
	s_cbranch_execz .LBB16_119
; %bb.101:
	s_and_saveexec_b32 s0, vcc_lo
	s_cbranch_execnz .LBB16_137
; %bb.102:
	s_or_b32 exec_lo, exec_lo, s0
	s_and_saveexec_b32 s0, vcc_lo
	s_cbranch_execnz .LBB16_138
.LBB16_103:
	s_or_b32 exec_lo, exec_lo, s0
	s_and_saveexec_b32 s0, vcc_lo
	s_cbranch_execnz .LBB16_139
.LBB16_104:
	s_or_b32 exec_lo, exec_lo, s0
	s_and_saveexec_b32 s0, vcc_lo
	s_cbranch_execnz .LBB16_140
.LBB16_105:
	s_or_b32 exec_lo, exec_lo, s0
	s_and_saveexec_b32 s0, vcc_lo
	s_cbranch_execnz .LBB16_141
.LBB16_106:
	s_or_b32 exec_lo, exec_lo, s0
	s_and_saveexec_b32 s0, vcc_lo
	s_cbranch_execnz .LBB16_142
.LBB16_107:
	s_or_b32 exec_lo, exec_lo, s0
	s_and_saveexec_b32 s0, vcc_lo
	s_cbranch_execnz .LBB16_143
.LBB16_108:
	s_or_b32 exec_lo, exec_lo, s0
	s_and_saveexec_b32 s0, vcc_lo
	s_cbranch_execnz .LBB16_144
.LBB16_109:
	s_or_b32 exec_lo, exec_lo, s0
	s_and_saveexec_b32 s0, vcc_lo
	s_cbranch_execnz .LBB16_145
.LBB16_110:
	s_or_b32 exec_lo, exec_lo, s0
	s_and_saveexec_b32 s0, vcc_lo
	s_cbranch_execnz .LBB16_146
.LBB16_111:
	s_or_b32 exec_lo, exec_lo, s0
	s_and_saveexec_b32 s0, vcc_lo
	s_cbranch_execnz .LBB16_147
.LBB16_112:
	s_or_b32 exec_lo, exec_lo, s0
	s_and_saveexec_b32 s0, vcc_lo
	s_cbranch_execnz .LBB16_148
.LBB16_113:
	s_or_b32 exec_lo, exec_lo, s0
	s_and_saveexec_b32 s0, vcc_lo
	s_cbranch_execnz .LBB16_149
.LBB16_114:
	s_or_b32 exec_lo, exec_lo, s0
	s_and_saveexec_b32 s0, vcc_lo
	s_cbranch_execnz .LBB16_150
.LBB16_115:
	s_or_b32 exec_lo, exec_lo, s0
	s_and_saveexec_b32 s0, vcc_lo
	s_cbranch_execnz .LBB16_151
.LBB16_116:
	s_or_b32 exec_lo, exec_lo, s0
	s_and_saveexec_b32 s0, vcc_lo
	s_cbranch_execz .LBB16_118
.LBB16_117:
	ds_read_b32 v17, v17 offset:960
	s_waitcnt lgkmcnt(0)
	v_add_f32_e32 v16, v16, v17
.LBB16_118:
	s_or_b32 exec_lo, exec_lo, s0
.LBB16_119:
	s_or_b32 exec_lo, exec_lo, s1
	s_barrier
	buffer_gl0_inv
	s_mov_b32 s0, exec_lo
	v_cmpx_eq_u32_e32 0, v19
	s_cbranch_execz .LBB16_121
; %bb.120:
	s_lshl_b32 s0, s4, 8
	s_mul_i32 s2, s7, s10
	s_ashr_i32 s1, s0, 31
	v_lshlrev_b32_e32 v0, 1, v0
	s_lshl_b64 s[0:1], s[0:1], 2
	s_add_u32 s4, s24, s0
	s_addc_u32 s5, s25, s1
	s_ashr_i32 s3, s2, 31
	s_lshl_b64 s[0:1], s[2:3], 2
	s_add_u32 s2, s4, s0
	s_addc_u32 s3, s5, s1
	s_lshl_b32 s0, s8, 8
	s_ashr_i32 s1, s0, 31
	s_lshl_b64 s[0:1], s[0:1], 2
	s_add_u32 s0, s2, s0
	s_addc_u32 s1, s3, s1
	global_store_dword v0, v1, s[0:1]
	global_store_dword v0, v2, s[0:1] offset:64
	global_store_dword v0, v3, s[0:1] offset:128
	;; [unrolled: 1-line block ×15, first 2 shown]
.LBB16_121:
	s_endpgm
.LBB16_122:
	ds_read_b32 v19, v17
	s_waitcnt lgkmcnt(0)
	v_add_f32_e32 v1, v1, v19
	s_or_b32 exec_lo, exec_lo, s0
	s_and_saveexec_b32 s0, vcc_lo
	s_cbranch_execz .LBB16_82
.LBB16_123:
	ds_read_b32 v19, v17 offset:64
	s_waitcnt lgkmcnt(0)
	v_add_f32_e32 v2, v2, v19
	s_or_b32 exec_lo, exec_lo, s0
	s_and_saveexec_b32 s0, vcc_lo
	s_cbranch_execz .LBB16_83
.LBB16_124:
	ds_read_b32 v19, v17 offset:128
	s_waitcnt lgkmcnt(0)
	v_add_f32_e32 v3, v3, v19
	s_or_b32 exec_lo, exec_lo, s0
	s_and_saveexec_b32 s0, vcc_lo
	s_cbranch_execz .LBB16_84
.LBB16_125:
	ds_read_b32 v19, v17 offset:192
	s_waitcnt lgkmcnt(0)
	v_add_f32_e32 v4, v4, v19
	s_or_b32 exec_lo, exec_lo, s0
	s_and_saveexec_b32 s0, vcc_lo
	s_cbranch_execz .LBB16_85
.LBB16_126:
	ds_read_b32 v19, v17 offset:256
	s_waitcnt lgkmcnt(0)
	v_add_f32_e32 v5, v5, v19
	s_or_b32 exec_lo, exec_lo, s0
	s_and_saveexec_b32 s0, vcc_lo
	s_cbranch_execz .LBB16_86
.LBB16_127:
	ds_read_b32 v19, v17 offset:320
	s_waitcnt lgkmcnt(0)
	v_add_f32_e32 v6, v6, v19
	s_or_b32 exec_lo, exec_lo, s0
	s_and_saveexec_b32 s0, vcc_lo
	s_cbranch_execz .LBB16_87
.LBB16_128:
	ds_read_b32 v19, v17 offset:384
	s_waitcnt lgkmcnt(0)
	v_add_f32_e32 v7, v7, v19
	s_or_b32 exec_lo, exec_lo, s0
	s_and_saveexec_b32 s0, vcc_lo
	s_cbranch_execz .LBB16_88
.LBB16_129:
	ds_read_b32 v19, v17 offset:448
	s_waitcnt lgkmcnt(0)
	v_add_f32_e32 v8, v8, v19
	s_or_b32 exec_lo, exec_lo, s0
	s_and_saveexec_b32 s0, vcc_lo
	s_cbranch_execz .LBB16_89
.LBB16_130:
	ds_read_b32 v19, v17 offset:512
	s_waitcnt lgkmcnt(0)
	v_add_f32_e32 v9, v9, v19
	s_or_b32 exec_lo, exec_lo, s0
	s_and_saveexec_b32 s0, vcc_lo
	s_cbranch_execz .LBB16_90
.LBB16_131:
	ds_read_b32 v19, v17 offset:576
	s_waitcnt lgkmcnt(0)
	v_add_f32_e32 v10, v10, v19
	s_or_b32 exec_lo, exec_lo, s0
	s_and_saveexec_b32 s0, vcc_lo
	s_cbranch_execz .LBB16_91
.LBB16_132:
	ds_read_b32 v19, v17 offset:640
	s_waitcnt lgkmcnt(0)
	v_add_f32_e32 v11, v11, v19
	s_or_b32 exec_lo, exec_lo, s0
	s_and_saveexec_b32 s0, vcc_lo
	s_cbranch_execz .LBB16_92
.LBB16_133:
	ds_read_b32 v19, v17 offset:704
	s_waitcnt lgkmcnt(0)
	v_add_f32_e32 v12, v12, v19
	s_or_b32 exec_lo, exec_lo, s0
	s_and_saveexec_b32 s0, vcc_lo
	s_cbranch_execz .LBB16_93
.LBB16_134:
	ds_read_b32 v19, v17 offset:768
	s_waitcnt lgkmcnt(0)
	v_add_f32_e32 v13, v13, v19
	s_or_b32 exec_lo, exec_lo, s0
	s_and_saveexec_b32 s0, vcc_lo
	s_cbranch_execz .LBB16_94
.LBB16_135:
	ds_read_b32 v19, v17 offset:832
	s_waitcnt lgkmcnt(0)
	v_add_f32_e32 v14, v14, v19
	s_or_b32 exec_lo, exec_lo, s0
	s_and_saveexec_b32 s0, vcc_lo
	s_cbranch_execz .LBB16_95
.LBB16_136:
	ds_read_b32 v19, v17 offset:896
	s_waitcnt lgkmcnt(0)
	v_add_f32_e32 v15, v15, v19
	s_or_b32 exec_lo, exec_lo, s0
	s_and_saveexec_b32 s0, vcc_lo
	s_cbranch_execnz .LBB16_96
	s_branch .LBB16_97
.LBB16_137:
	ds_read_b32 v18, v17
	s_waitcnt lgkmcnt(0)
	v_add_f32_e32 v1, v1, v18
	s_or_b32 exec_lo, exec_lo, s0
	s_and_saveexec_b32 s0, vcc_lo
	s_cbranch_execz .LBB16_103
.LBB16_138:
	ds_read_b32 v18, v17 offset:64
	s_waitcnt lgkmcnt(0)
	v_add_f32_e32 v2, v2, v18
	s_or_b32 exec_lo, exec_lo, s0
	s_and_saveexec_b32 s0, vcc_lo
	s_cbranch_execz .LBB16_104
.LBB16_139:
	ds_read_b32 v18, v17 offset:128
	s_waitcnt lgkmcnt(0)
	v_add_f32_e32 v3, v3, v18
	s_or_b32 exec_lo, exec_lo, s0
	s_and_saveexec_b32 s0, vcc_lo
	s_cbranch_execz .LBB16_105
.LBB16_140:
	ds_read_b32 v18, v17 offset:192
	s_waitcnt lgkmcnt(0)
	v_add_f32_e32 v4, v4, v18
	s_or_b32 exec_lo, exec_lo, s0
	s_and_saveexec_b32 s0, vcc_lo
	s_cbranch_execz .LBB16_106
.LBB16_141:
	ds_read_b32 v18, v17 offset:256
	s_waitcnt lgkmcnt(0)
	v_add_f32_e32 v5, v5, v18
	s_or_b32 exec_lo, exec_lo, s0
	s_and_saveexec_b32 s0, vcc_lo
	s_cbranch_execz .LBB16_107
.LBB16_142:
	ds_read_b32 v18, v17 offset:320
	s_waitcnt lgkmcnt(0)
	v_add_f32_e32 v6, v6, v18
	s_or_b32 exec_lo, exec_lo, s0
	s_and_saveexec_b32 s0, vcc_lo
	s_cbranch_execz .LBB16_108
.LBB16_143:
	ds_read_b32 v18, v17 offset:384
	s_waitcnt lgkmcnt(0)
	v_add_f32_e32 v7, v7, v18
	s_or_b32 exec_lo, exec_lo, s0
	s_and_saveexec_b32 s0, vcc_lo
	s_cbranch_execz .LBB16_109
.LBB16_144:
	ds_read_b32 v18, v17 offset:448
	s_waitcnt lgkmcnt(0)
	v_add_f32_e32 v8, v8, v18
	s_or_b32 exec_lo, exec_lo, s0
	s_and_saveexec_b32 s0, vcc_lo
	s_cbranch_execz .LBB16_110
.LBB16_145:
	ds_read_b32 v18, v17 offset:512
	s_waitcnt lgkmcnt(0)
	v_add_f32_e32 v9, v9, v18
	s_or_b32 exec_lo, exec_lo, s0
	s_and_saveexec_b32 s0, vcc_lo
	s_cbranch_execz .LBB16_111
.LBB16_146:
	ds_read_b32 v18, v17 offset:576
	s_waitcnt lgkmcnt(0)
	v_add_f32_e32 v10, v10, v18
	s_or_b32 exec_lo, exec_lo, s0
	s_and_saveexec_b32 s0, vcc_lo
	s_cbranch_execz .LBB16_112
.LBB16_147:
	ds_read_b32 v18, v17 offset:640
	s_waitcnt lgkmcnt(0)
	v_add_f32_e32 v11, v11, v18
	s_or_b32 exec_lo, exec_lo, s0
	s_and_saveexec_b32 s0, vcc_lo
	s_cbranch_execz .LBB16_113
.LBB16_148:
	ds_read_b32 v18, v17 offset:704
	s_waitcnt lgkmcnt(0)
	v_add_f32_e32 v12, v12, v18
	s_or_b32 exec_lo, exec_lo, s0
	s_and_saveexec_b32 s0, vcc_lo
	s_cbranch_execz .LBB16_114
.LBB16_149:
	ds_read_b32 v18, v17 offset:768
	s_waitcnt lgkmcnt(0)
	v_add_f32_e32 v13, v13, v18
	s_or_b32 exec_lo, exec_lo, s0
	s_and_saveexec_b32 s0, vcc_lo
	s_cbranch_execz .LBB16_115
.LBB16_150:
	ds_read_b32 v18, v17 offset:832
	s_waitcnt lgkmcnt(0)
	v_add_f32_e32 v14, v14, v18
	s_or_b32 exec_lo, exec_lo, s0
	s_and_saveexec_b32 s0, vcc_lo
	s_cbranch_execz .LBB16_116
.LBB16_151:
	ds_read_b32 v18, v17 offset:896
	s_waitcnt lgkmcnt(0)
	v_add_f32_e32 v15, v15, v18
	s_or_b32 exec_lo, exec_lo, s0
	s_and_saveexec_b32 s0, vcc_lo
	s_cbranch_execnz .LBB16_117
	s_branch .LBB16_118
	.section	.rodata,"a",@progbits
	.p2align	6, 0x0
	.amdhsa_kernel _ZN4vllm25paged_attention_v2_kernelIffLi256ELi8ELi128ELNS_18Fp8KVCacheDataTypeE0ELb1ELi512EEEvPfS2_PT_PKS3_PKT0_S9_ifPKiSB_iPKfiiiSD_SD_iiiii
		.amdhsa_group_segment_fixed_size 1056
		.amdhsa_private_segment_fixed_size 0
		.amdhsa_kernarg_size 400
		.amdhsa_user_sgpr_count 6
		.amdhsa_user_sgpr_private_segment_buffer 1
		.amdhsa_user_sgpr_dispatch_ptr 0
		.amdhsa_user_sgpr_queue_ptr 0
		.amdhsa_user_sgpr_kernarg_segment_ptr 1
		.amdhsa_user_sgpr_dispatch_id 0
		.amdhsa_user_sgpr_flat_scratch_init 0
		.amdhsa_user_sgpr_private_segment_size 0
		.amdhsa_wavefront_size32 1
		.amdhsa_uses_dynamic_stack 0
		.amdhsa_system_sgpr_private_segment_wavefront_offset 0
		.amdhsa_system_sgpr_workgroup_id_x 1
		.amdhsa_system_sgpr_workgroup_id_y 1
		.amdhsa_system_sgpr_workgroup_id_z 1
		.amdhsa_system_sgpr_workgroup_info 0
		.amdhsa_system_vgpr_workitem_id 0
		.amdhsa_next_free_vgpr 102
		.amdhsa_next_free_sgpr 46
		.amdhsa_reserve_vcc 1
		.amdhsa_reserve_flat_scratch 0
		.amdhsa_float_round_mode_32 0
		.amdhsa_float_round_mode_16_64 0
		.amdhsa_float_denorm_mode_32 3
		.amdhsa_float_denorm_mode_16_64 3
		.amdhsa_dx10_clamp 1
		.amdhsa_ieee_mode 1
		.amdhsa_fp16_overflow 0
		.amdhsa_workgroup_processor_mode 1
		.amdhsa_memory_ordered 1
		.amdhsa_forward_progress 1
		.amdhsa_shared_vgpr_count 0
		.amdhsa_exception_fp_ieee_invalid_op 0
		.amdhsa_exception_fp_denorm_src 0
		.amdhsa_exception_fp_ieee_div_zero 0
		.amdhsa_exception_fp_ieee_overflow 0
		.amdhsa_exception_fp_ieee_underflow 0
		.amdhsa_exception_fp_ieee_inexact 0
		.amdhsa_exception_int_div_zero 0
	.end_amdhsa_kernel
	.section	.text._ZN4vllm25paged_attention_v2_kernelIffLi256ELi8ELi128ELNS_18Fp8KVCacheDataTypeE0ELb1ELi512EEEvPfS2_PT_PKS3_PKT0_S9_ifPKiSB_iPKfiiiSD_SD_iiiii,"axG",@progbits,_ZN4vllm25paged_attention_v2_kernelIffLi256ELi8ELi128ELNS_18Fp8KVCacheDataTypeE0ELb1ELi512EEEvPfS2_PT_PKS3_PKT0_S9_ifPKiSB_iPKfiiiSD_SD_iiiii,comdat
.Lfunc_end16:
	.size	_ZN4vllm25paged_attention_v2_kernelIffLi256ELi8ELi128ELNS_18Fp8KVCacheDataTypeE0ELb1ELi512EEEvPfS2_PT_PKS3_PKT0_S9_ifPKiSB_iPKfiiiSD_SD_iiiii, .Lfunc_end16-_ZN4vllm25paged_attention_v2_kernelIffLi256ELi8ELi128ELNS_18Fp8KVCacheDataTypeE0ELb1ELi512EEEvPfS2_PT_PKS3_PKT0_S9_ifPKiSB_iPKfiiiSD_SD_iiiii
                                        ; -- End function
	.set _ZN4vllm25paged_attention_v2_kernelIffLi256ELi8ELi128ELNS_18Fp8KVCacheDataTypeE0ELb1ELi512EEEvPfS2_PT_PKS3_PKT0_S9_ifPKiSB_iPKfiiiSD_SD_iiiii.num_vgpr, 102
	.set _ZN4vllm25paged_attention_v2_kernelIffLi256ELi8ELi128ELNS_18Fp8KVCacheDataTypeE0ELb1ELi512EEEvPfS2_PT_PKS3_PKT0_S9_ifPKiSB_iPKfiiiSD_SD_iiiii.num_agpr, 0
	.set _ZN4vllm25paged_attention_v2_kernelIffLi256ELi8ELi128ELNS_18Fp8KVCacheDataTypeE0ELb1ELi512EEEvPfS2_PT_PKS3_PKT0_S9_ifPKiSB_iPKfiiiSD_SD_iiiii.numbered_sgpr, 46
	.set _ZN4vllm25paged_attention_v2_kernelIffLi256ELi8ELi128ELNS_18Fp8KVCacheDataTypeE0ELb1ELi512EEEvPfS2_PT_PKS3_PKT0_S9_ifPKiSB_iPKfiiiSD_SD_iiiii.num_named_barrier, 0
	.set _ZN4vllm25paged_attention_v2_kernelIffLi256ELi8ELi128ELNS_18Fp8KVCacheDataTypeE0ELb1ELi512EEEvPfS2_PT_PKS3_PKT0_S9_ifPKiSB_iPKfiiiSD_SD_iiiii.private_seg_size, 0
	.set _ZN4vllm25paged_attention_v2_kernelIffLi256ELi8ELi128ELNS_18Fp8KVCacheDataTypeE0ELb1ELi512EEEvPfS2_PT_PKS3_PKT0_S9_ifPKiSB_iPKfiiiSD_SD_iiiii.uses_vcc, 1
	.set _ZN4vllm25paged_attention_v2_kernelIffLi256ELi8ELi128ELNS_18Fp8KVCacheDataTypeE0ELb1ELi512EEEvPfS2_PT_PKS3_PKT0_S9_ifPKiSB_iPKfiiiSD_SD_iiiii.uses_flat_scratch, 0
	.set _ZN4vllm25paged_attention_v2_kernelIffLi256ELi8ELi128ELNS_18Fp8KVCacheDataTypeE0ELb1ELi512EEEvPfS2_PT_PKS3_PKT0_S9_ifPKiSB_iPKfiiiSD_SD_iiiii.has_dyn_sized_stack, 0
	.set _ZN4vllm25paged_attention_v2_kernelIffLi256ELi8ELi128ELNS_18Fp8KVCacheDataTypeE0ELb1ELi512EEEvPfS2_PT_PKS3_PKT0_S9_ifPKiSB_iPKfiiiSD_SD_iiiii.has_recursion, 0
	.set _ZN4vllm25paged_attention_v2_kernelIffLi256ELi8ELi128ELNS_18Fp8KVCacheDataTypeE0ELb1ELi512EEEvPfS2_PT_PKS3_PKT0_S9_ifPKiSB_iPKfiiiSD_SD_iiiii.has_indirect_call, 0
	.section	.AMDGPU.csdata,"",@progbits
; Kernel info:
; codeLenInByte = 8764
; TotalNumSgprs: 48
; NumVgprs: 102
; ScratchSize: 0
; MemoryBound: 0
; FloatMode: 240
; IeeeMode: 1
; LDSByteSize: 1056 bytes/workgroup (compile time only)
; SGPRBlocks: 0
; VGPRBlocks: 12
; NumSGPRsForWavesPerEU: 48
; NumVGPRsForWavesPerEU: 102
; Occupancy: 9
; WaveLimiterHint : 1
; COMPUTE_PGM_RSRC2:SCRATCH_EN: 0
; COMPUTE_PGM_RSRC2:USER_SGPR: 6
; COMPUTE_PGM_RSRC2:TRAP_HANDLER: 0
; COMPUTE_PGM_RSRC2:TGID_X_EN: 1
; COMPUTE_PGM_RSRC2:TGID_Y_EN: 1
; COMPUTE_PGM_RSRC2:TGID_Z_EN: 1
; COMPUTE_PGM_RSRC2:TIDIG_COMP_CNT: 0
	.section	.text._ZN4vllm32paged_attention_v2_reduce_kernelIfLi256ELi128ELi512EEEvPT_PKfS4_PKS1_PKii,"axG",@progbits,_ZN4vllm32paged_attention_v2_reduce_kernelIfLi256ELi128ELi512EEEvPT_PKfS4_PKS1_PKii,comdat
	.protected	_ZN4vllm32paged_attention_v2_reduce_kernelIfLi256ELi128ELi512EEEvPT_PKfS4_PKS1_PKii ; -- Begin function _ZN4vllm32paged_attention_v2_reduce_kernelIfLi256ELi128ELi512EEEvPT_PKfS4_PKS1_PKii
	.globl	_ZN4vllm32paged_attention_v2_reduce_kernelIfLi256ELi128ELi512EEEvPT_PKfS4_PKS1_PKii
	.p2align	8
	.type	_ZN4vllm32paged_attention_v2_reduce_kernelIfLi256ELi128ELi512EEEvPT_PKfS4_PKS1_PKii,@function
_ZN4vllm32paged_attention_v2_reduce_kernelIfLi256ELi128ELi512EEEvPT_PKfS4_PKS1_PKii: ; @_ZN4vllm32paged_attention_v2_reduce_kernelIfLi256ELi128ELi512EEEvPT_PKfS4_PKS1_PKii
; %bb.0:
	s_load_dwordx4 s[8:11], s[4:5], 0x18
	s_add_u32 s12, s4, 48
	s_mov_b32 s14, s7
	s_addc_u32 s13, s5, 0
	s_ashr_i32 s15, s7, 31
	s_lshl_b64 s[0:1], s[14:15], 2
	s_waitcnt lgkmcnt(0)
	s_add_u32 s0, s10, s0
	s_addc_u32 s1, s11, s1
	s_load_dword s22, s[0:1], 0x0
	s_clause 0x2
	s_load_dwordx2 s[10:11], s[4:5], 0x0
	s_load_dword s7, s[4:5], 0x28
	s_load_dword s15, s[4:5], 0x30
	s_waitcnt lgkmcnt(0)
	s_add_i32 s0, s22, -1
	s_cmpk_gt_u32 s0, 0x1ff
	s_mov_b32 s0, -1
	s_cbranch_scc0 .LBB17_31
; %bb.1:
	s_load_dwordx2 s[2:3], s[4:5], 0x8
	s_add_i32 s0, s22, 0x1ff
	s_mul_i32 s20, s15, s14
	s_ashr_i32 s1, s0, 31
	v_mov_b32_e32 v3, 0xff7fffff
	s_lshr_b32 s1, s1, 23
	s_mul_i32 s16, s20, s7
	s_add_i32 s0, s0, s1
	s_mul_i32 s18, s7, s6
	s_ashr_i32 s21, s0, 9
	s_ashr_i32 s17, s16, 31
	v_cmp_gt_i32_e32 vcc_lo, s21, v0
	s_ashr_i32 s19, s18, 31
	s_and_saveexec_b32 s1, vcc_lo
	s_cbranch_execz .LBB17_5
; %bb.2:
	s_load_dword s0, s[12:13], 0xc
	s_load_dwordx2 s[24:25], s[4:5], 0x10
	s_lshl_b64 s[26:27], s[16:17], 2
	s_lshl_b64 s[28:29], s[18:19], 2
	v_lshlrev_b32_e32 v1, 2, v0
	v_mov_b32_e32 v3, 0xff7fffff
	v_mov_b32_e32 v5, v0
	v_add_nc_u32_e32 v4, 32, v1
	s_waitcnt lgkmcnt(0)
	s_and_b32 s4, s0, 0xffff
	s_add_u32 s0, s26, s28
	s_addc_u32 s5, s27, s29
	s_add_u32 s0, s24, s0
	s_addc_u32 s5, s25, s5
	v_add_co_u32 v1, s0, s0, v1
	v_add_co_ci_u32_e64 v2, null, s5, 0, s0
	s_mov_b32 s5, 0
	s_lshl_b32 s23, s4, 2
	.p2align	6
.LBB17_3:                               ; =>This Inner Loop Header: Depth=1
	global_load_dword v6, v[1:2], off
	v_add_nc_u32_e32 v5, s4, v5
	v_max_f32_e32 v3, v3, v3
	v_add_co_u32 v1, s0, v1, s23
	v_add_co_ci_u32_e64 v2, null, 0, v2, s0
	v_cmp_le_i32_e64 s0, s21, v5
	s_or_b32 s5, s0, s5
	s_waitcnt vmcnt(0)
	v_max_f32_e32 v7, v6, v6
	ds_write_b32 v4, v6
	v_add_nc_u32_e32 v4, s23, v4
	v_max_f32_e32 v3, v3, v7
	s_andn2_b32 exec_lo, exec_lo, s5
	s_cbranch_execnz .LBB17_3
; %bb.4:
	s_or_b32 exec_lo, exec_lo, s5
.LBB17_5:
	s_or_b32 exec_lo, exec_lo, s1
	v_mbcnt_lo_u32_b32 v1, -1, 0
	s_waitcnt lgkmcnt(0)
	s_barrier
	buffer_gl0_inv
	v_xor_b32_e32 v2, 16, v1
	v_xor_b32_e32 v4, 8, v1
	v_cmp_gt_i32_e64 s0, 32, v2
	v_cndmask_b32_e64 v2, v1, v2, s0
	v_cmp_gt_i32_e64 s0, 32, v4
	v_lshlrev_b32_e32 v5, 2, v2
	v_cndmask_b32_e64 v4, v1, v4, s0
	ds_bpermute_b32 v2, v5, v3
	v_max_f32_e32 v3, v3, v3
	v_lshlrev_b32_e32 v6, 2, v4
	v_xor_b32_e32 v4, 4, v1
	v_cmp_gt_i32_e64 s0, 32, v4
	v_cndmask_b32_e64 v4, v1, v4, s0
	v_lshlrev_b32_e32 v7, 2, v4
	v_xor_b32_e32 v4, 2, v1
	s_waitcnt lgkmcnt(0)
	v_max_f32_e32 v2, v2, v2
	v_cmp_gt_i32_e64 s0, 32, v4
	v_max_f32_e32 v2, v3, v2
	v_cndmask_b32_e64 v4, v1, v4, s0
	ds_bpermute_b32 v3, v6, v2
	s_waitcnt lgkmcnt(0)
	v_max_f32_e32 v3, v3, v3
	v_max_f32_e32 v2, v2, v3
	ds_bpermute_b32 v3, v7, v2
	s_waitcnt lgkmcnt(0)
	v_max_f32_e32 v8, v3, v3
	v_lshlrev_b32_e32 v3, 2, v4
	v_max_f32_e32 v2, v2, v8
	v_xor_b32_e32 v8, 1, v1
	ds_bpermute_b32 v4, v3, v2
	v_cmp_gt_i32_e64 s0, 32, v8
	v_cndmask_b32_e64 v1, v1, v8, s0
	v_lshrrev_b32_e32 v8, 5, v0
	v_lshlrev_b32_e32 v8, 2, v8
	s_waitcnt lgkmcnt(0)
	v_max_f32_e32 v4, v4, v4
	v_max_f32_e32 v2, v2, v4
	v_lshlrev_b32_e32 v4, 2, v1
	v_and_b32_e32 v1, 31, v0
	ds_bpermute_b32 v9, v4, v2
	v_cmp_eq_u32_e64 s0, 0, v1
	s_and_saveexec_b32 s1, s0
	s_cbranch_execz .LBB17_7
; %bb.6:
	s_waitcnt lgkmcnt(0)
	v_max_f32_e32 v9, v9, v9
	v_max_f32_e32 v2, v2, v2
	;; [unrolled: 1-line block ×3, first 2 shown]
	ds_write_b32 v8, v2
.LBB17_7:
	s_or_b32 exec_lo, exec_lo, s1
	v_cmp_gt_u32_e64 s1, 4, v1
	v_mov_b32_e32 v2, 0xff7fffff
	s_waitcnt lgkmcnt(0)
	v_lshlrev_b32_e32 v9, 2, v1
	s_barrier
	buffer_gl0_inv
	s_and_saveexec_b32 s4, s1
; %bb.8:
	ds_read_b32 v2, v9
; %bb.9:
	s_or_b32 exec_lo, exec_lo, s4
	s_waitcnt lgkmcnt(0)
	ds_bpermute_b32 v1, v3, v2
	v_max_f32_e32 v2, v2, v2
	v_mov_b32_e32 v10, 0
	s_lshl_b32 s5, s21, 2
	s_waitcnt lgkmcnt(0)
	v_max_f32_e32 v1, v1, v1
	v_max_f32_e32 v1, v2, v1
	ds_bpermute_b32 v2, v4, v1
	s_waitcnt lgkmcnt(0)
	v_max_f32_e32 v2, v2, v2
	v_max_f32_e32 v1, v1, v2
	ds_bpermute_b32 v11, v10, v1
	s_and_saveexec_b32 s4, vcc_lo
	s_cbranch_execz .LBB17_13
; %bb.10:
	s_load_dword s23, s[12:13], 0xc
	s_lshl_b64 s[24:25], s[16:17], 2
	s_lshl_b64 s[26:27], s[18:19], 2
	v_lshlrev_b32_e32 v1, 2, v0
	v_mov_b32_e32 v10, 0
	v_mov_b32_e32 v13, v0
	v_add_nc_u32_e32 v12, 32, v1
	s_waitcnt lgkmcnt(0)
	s_and_b32 s17, s23, 0xffff
	s_add_u32 s19, s24, s26
	s_addc_u32 s23, s25, s27
	s_add_u32 s2, s2, s19
	s_addc_u32 s3, s3, s23
	v_add_co_u32 v1, s2, s2, v1
	v_add_co_ci_u32_e64 v2, null, s3, 0, s2
	s_mov_b32 s3, 0
	s_lshl_b32 s19, s17, 2
	s_inst_prefetch 0x1
	.p2align	6
.LBB17_11:                              ; =>This Inner Loop Header: Depth=1
	global_load_dword v14, v[1:2], off
	ds_read_b32 v15, v12
	v_add_nc_u32_e32 v13, s17, v13
	s_waitcnt lgkmcnt(0)
	v_sub_f32_e32 v15, v15, v11
	v_mul_f32_e32 v16, 0x3fb8aa3b, v15
	v_cmp_ngt_f32_e32 vcc_lo, 0xc2ce8ed0, v15
	v_cmp_nlt_f32_e64 s2, 0x42b17218, v15
	v_fma_f32 v17, 0x3fb8aa3b, v15, -v16
	v_rndne_f32_e32 v18, v16
	v_fmac_f32_e32 v17, 0x32a5705f, v15
	v_sub_f32_e32 v16, v16, v18
	v_add_f32_e32 v16, v16, v17
	v_cvt_i32_f32_e32 v17, v18
	v_exp_f32_e32 v16, v16
	v_ldexp_f32 v16, v16, v17
	v_add_nc_u32_e32 v17, s5, v12
	v_add_nc_u32_e32 v12, s19, v12
	v_cndmask_b32_e32 v16, 0, v16, vcc_lo
	v_add_co_u32 v1, vcc_lo, v1, s19
	v_add_co_ci_u32_e64 v2, null, 0, v2, vcc_lo
	v_cndmask_b32_e64 v15, 0x7f800000, v16, s2
	v_cmp_le_i32_e32 vcc_lo, s21, v13
	s_or_b32 s3, vcc_lo, s3
	s_waitcnt vmcnt(0)
	v_mul_f32_e32 v16, v14, v15
	v_fmac_f32_e32 v10, v14, v15
	ds_write_b32 v17, v16
	s_andn2_b32 exec_lo, exec_lo, s3
	s_cbranch_execnz .LBB17_11
; %bb.12:
	s_inst_prefetch 0x2
	s_or_b32 exec_lo, exec_lo, s3
.LBB17_13:
	s_or_b32 exec_lo, exec_lo, s4
	ds_bpermute_b32 v1, v5, v10
	s_waitcnt lgkmcnt(0)
	s_barrier
	buffer_gl0_inv
	v_add_f32_e32 v1, v10, v1
	ds_bpermute_b32 v2, v6, v1
	s_waitcnt lgkmcnt(0)
	v_add_f32_e32 v1, v1, v2
	ds_bpermute_b32 v2, v7, v1
	s_waitcnt lgkmcnt(0)
	;; [unrolled: 3-line block ×4, first 2 shown]
	v_add_f32_e32 v1, v1, v2
	s_and_saveexec_b32 s2, s0
; %bb.14:
	ds_write_b32 v8, v1 offset:16
; %bb.15:
	s_or_b32 exec_lo, exec_lo, s2
	s_waitcnt lgkmcnt(0)
	s_barrier
	buffer_gl0_inv
	s_and_saveexec_b32 s0, s1
; %bb.16:
	ds_read_b32 v1, v9 offset:16
; %bb.17:
	s_or_b32 exec_lo, exec_lo, s0
	s_waitcnt lgkmcnt(0)
	ds_bpermute_b32 v2, v3, v1
	s_mov_b32 s4, exec_lo
	s_waitcnt lgkmcnt(0)
	v_add_f32_e32 v1, v1, v2
	ds_bpermute_b32 v2, v4, v1
	s_waitcnt lgkmcnt(0)
	v_add_f32_e32 v1, v1, v2
	v_mov_b32_e32 v2, 0
	ds_bpermute_b32 v1, v2, v1
	v_cmpx_gt_u32_e32 0x100, v0
	s_cbranch_execz .LBB17_30
; %bb.18:
	s_waitcnt lgkmcnt(0)
	v_add_f32_e32 v2, 0x358637bd, v1
	s_lshl_b32 s0, s16, 8
	s_lshl_b32 s2, s18, 8
	s_ashr_i32 s1, s0, 31
	s_ashr_i32 s3, s2, 31
	v_div_scale_f32 v1, null, v2, v2, 1.0
	v_div_scale_f32 v5, vcc_lo, 1.0, v2, 1.0
	s_cmp_gt_i32 s22, 0
	v_rcp_f32_e32 v3, v1
	s_cselect_b32 s17, -1, 0
	s_mov_b32 s16, 0
	v_fma_f32 v4, -v1, v3, 1.0
	v_fmac_f32_e32 v3, v4, v3
	v_mul_f32_e32 v4, v5, v3
	v_fma_f32 v6, -v1, v4, v5
	v_fmac_f32_e32 v4, v6, v3
	v_fma_f32 v1, -v1, v4, v5
	v_div_fmas_f32 v3, v1, v3, v4
	s_and_b32 vcc_lo, exec_lo, s17
	s_cbranch_vccnz .LBB17_20
; %bb.19:
	v_mov_b32_e32 v1, 0
	s_branch .LBB17_21
.LBB17_20:
	s_mov_b32 s16, -1
.LBB17_21:
	v_div_fixup_f32 v5, v3, v2, 1.0
	v_mov_b32_e32 v6, 0
	s_add_i32 s5, s5, 32
	s_andn2_b32 vcc_lo, exec_lo, s16
	s_max_i32 s16, s21, 1
	s_cbranch_vccnz .LBB17_24
; %bb.22:
	s_lshl_b64 s[18:19], s[0:1], 2
	s_lshl_b64 s[22:23], s[2:3], 2
	v_lshlrev_b32_e32 v2, 2, v0
	s_add_u32 s18, s18, s22
	s_addc_u32 s19, s19, s23
	v_mov_b32_e32 v1, 0
	s_add_u32 s18, s8, s18
	s_addc_u32 s19, s9, s19
	v_add_co_u32 v2, s18, s18, v2
	v_add_co_ci_u32_e64 v3, null, s19, 0, s18
	v_mov_b32_e32 v6, v1
	s_mov_b32 s18, s5
	s_mov_b32 s19, s16
.LBB17_23:                              ; =>This Inner Loop Header: Depth=1
	global_load_dword v4, v[2:3], off
	v_mov_b32_e32 v7, s18
	v_add_co_u32 v2, vcc_lo, 0x400, v2
	v_add_co_ci_u32_e64 v3, null, 0, v3, vcc_lo
	ds_read_b32 v7, v7
	s_add_i32 s19, s19, -1
	s_add_i32 s18, s18, 4
	s_cmp_eq_u32 s19, 0
	s_waitcnt vmcnt(0) lgkmcnt(0)
	v_mul_f32_e32 v4, v4, v7
	v_fmac_f32_e32 v6, v5, v4
	s_cbranch_scc0 .LBB17_23
.LBB17_24:
	s_lshl_b32 s18, s20, 8
	v_lshlrev_b64 v[3:4], 2, v[0:1]
	s_ashr_i32 s19, s18, 31
	s_lshl_b64 s[18:19], s[18:19], 2
	s_add_u32 s20, s10, s18
	s_addc_u32 s21, s11, s19
	s_lshl_b32 s18, s6, 8
	s_ashr_i32 s19, s18, 31
	s_lshl_b64 s[18:19], s[18:19], 2
	s_add_u32 s18, s20, s18
	s_addc_u32 s19, s21, s19
	v_add_co_u32 v1, vcc_lo, s18, v3
	v_add_co_ci_u32_e64 v2, null, s19, v4, vcc_lo
	v_cmp_gt_u32_e32 vcc_lo, 0x80, v0
	global_store_dword v[1:2], v6, off
	s_and_b32 exec_lo, exec_lo, vcc_lo
	s_cbranch_execz .LBB17_30
; %bb.25:
	s_andn2_b32 vcc_lo, exec_lo, s17
	s_cbranch_vccnz .LBB17_28
; %bb.26:
	s_lshl_b64 s[0:1], s[0:1], 2
	s_lshl_b64 s[2:3], s[2:3], 2
	v_mov_b32_e32 v6, 0
	s_add_u32 s0, s0, s2
	s_addc_u32 s1, s1, s3
	s_add_u32 s0, s8, s0
	s_addc_u32 s1, s9, s1
	v_add_co_u32 v3, vcc_lo, s0, v3
	v_add_co_ci_u32_e64 v4, null, s1, v4, vcc_lo
	v_add_co_u32 v3, vcc_lo, 0x200, v3
	v_add_co_ci_u32_e64 v4, null, 0, v4, vcc_lo
	.p2align	6
.LBB17_27:                              ; =>This Inner Loop Header: Depth=1
	global_load_dword v7, v[3:4], off
	v_mov_b32_e32 v8, s5
	v_add_co_u32 v3, vcc_lo, 0x400, v3
	v_add_co_ci_u32_e64 v4, null, 0, v4, vcc_lo
	ds_read_b32 v8, v8
	s_add_i32 s16, s16, -1
	s_add_i32 s5, s5, 4
	s_cmp_lg_u32 s16, 0
	s_waitcnt vmcnt(0) lgkmcnt(0)
	v_mul_f32_e32 v7, v7, v8
	v_fmac_f32_e32 v6, v5, v7
	s_cbranch_scc1 .LBB17_27
	s_branch .LBB17_29
.LBB17_28:
	v_mov_b32_e32 v6, 0
.LBB17_29:
	global_store_dword v[1:2], v6, off offset:512
.LBB17_30:
	s_or_b32 exec_lo, exec_lo, s4
	s_mov_b32 s0, 0
.LBB17_31:
	s_and_b32 vcc_lo, exec_lo, s0
	s_cbranch_vccz .LBB17_35
; %bb.32:
	s_mov_b32 s0, exec_lo
	v_cmpx_gt_u32_e32 0x100, v0
	s_cbranch_execz .LBB17_35
; %bb.33:
	s_mul_i32 s15, s15, s14
	s_waitcnt lgkmcnt(0)
	v_lshlrev_b32_e32 v1, 2, v0
	s_lshl_b32 s0, s15, 8
	v_mov_b32_e32 v2, 0
	s_ashr_i32 s1, s0, 31
	s_lshl_b64 s[0:1], s[0:1], 2
	s_add_u32 s4, s10, s0
	s_addc_u32 s5, s11, s1
	s_lshl_b32 s0, s6, 8
	s_load_dword s10, s[12:13], 0xc
	s_ashr_i32 s1, s0, 31
	s_lshl_b64 s[2:3], s[0:1], 2
	s_mul_i32 s0, s7, s15
	s_add_u32 s1, s4, s2
	s_addc_u32 s2, s5, s3
	s_lshl_b32 s4, s0, 8
	s_mul_i32 s7, s7, s6
	s_ashr_i32 s5, s4, 31
	s_lshl_b64 s[4:5], s[4:5], 2
	s_add_u32 s0, s8, s4
	s_addc_u32 s6, s9, s5
	s_lshl_b32 s4, s7, 8
	s_ashr_i32 s5, s4, 31
	s_lshl_b64 s[4:5], s[4:5], 2
	s_add_u32 s3, s0, s4
	s_addc_u32 s4, s6, s5
	s_waitcnt lgkmcnt(0)
	s_and_b32 s5, s10, 0xffff
	s_mov_b32 s6, 0
	s_lshl_b32 s7, s5, 2
	.p2align	6
.LBB17_34:                              ; =>This Inner Loop Header: Depth=1
	v_add_co_u32 v3, vcc_lo, s3, v1
	v_add_co_ci_u32_e64 v4, null, s4, v2, vcc_lo
	v_add_nc_u32_e32 v0, s5, v0
	global_load_dword v5, v[3:4], off
	v_add_co_u32 v3, vcc_lo, s1, v1
	v_add_co_ci_u32_e64 v4, null, s2, v2, vcc_lo
	v_cmp_lt_u32_e32 vcc_lo, 0xff, v0
	v_add_co_u32 v1, s0, v1, s7
	v_add_co_ci_u32_e64 v2, null, 0, v2, s0
	s_or_b32 s6, vcc_lo, s6
	s_waitcnt vmcnt(0)
	global_store_dword v[3:4], v5, off
	s_andn2_b32 exec_lo, exec_lo, s6
	s_cbranch_execnz .LBB17_34
.LBB17_35:
	s_endpgm
	.section	.rodata,"a",@progbits
	.p2align	6, 0x0
	.amdhsa_kernel _ZN4vllm32paged_attention_v2_reduce_kernelIfLi256ELi128ELi512EEEvPT_PKfS4_PKS1_PKii
		.amdhsa_group_segment_fixed_size 32
		.amdhsa_private_segment_fixed_size 0
		.amdhsa_kernarg_size 304
		.amdhsa_user_sgpr_count 6
		.amdhsa_user_sgpr_private_segment_buffer 1
		.amdhsa_user_sgpr_dispatch_ptr 0
		.amdhsa_user_sgpr_queue_ptr 0
		.amdhsa_user_sgpr_kernarg_segment_ptr 1
		.amdhsa_user_sgpr_dispatch_id 0
		.amdhsa_user_sgpr_flat_scratch_init 0
		.amdhsa_user_sgpr_private_segment_size 0
		.amdhsa_wavefront_size32 1
		.amdhsa_uses_dynamic_stack 0
		.amdhsa_system_sgpr_private_segment_wavefront_offset 0
		.amdhsa_system_sgpr_workgroup_id_x 1
		.amdhsa_system_sgpr_workgroup_id_y 1
		.amdhsa_system_sgpr_workgroup_id_z 0
		.amdhsa_system_sgpr_workgroup_info 0
		.amdhsa_system_vgpr_workitem_id 0
		.amdhsa_next_free_vgpr 19
		.amdhsa_next_free_sgpr 30
		.amdhsa_reserve_vcc 1
		.amdhsa_reserve_flat_scratch 0
		.amdhsa_float_round_mode_32 0
		.amdhsa_float_round_mode_16_64 0
		.amdhsa_float_denorm_mode_32 3
		.amdhsa_float_denorm_mode_16_64 3
		.amdhsa_dx10_clamp 1
		.amdhsa_ieee_mode 1
		.amdhsa_fp16_overflow 0
		.amdhsa_workgroup_processor_mode 1
		.amdhsa_memory_ordered 1
		.amdhsa_forward_progress 1
		.amdhsa_shared_vgpr_count 0
		.amdhsa_exception_fp_ieee_invalid_op 0
		.amdhsa_exception_fp_denorm_src 0
		.amdhsa_exception_fp_ieee_div_zero 0
		.amdhsa_exception_fp_ieee_overflow 0
		.amdhsa_exception_fp_ieee_underflow 0
		.amdhsa_exception_fp_ieee_inexact 0
		.amdhsa_exception_int_div_zero 0
	.end_amdhsa_kernel
	.section	.text._ZN4vllm32paged_attention_v2_reduce_kernelIfLi256ELi128ELi512EEEvPT_PKfS4_PKS1_PKii,"axG",@progbits,_ZN4vllm32paged_attention_v2_reduce_kernelIfLi256ELi128ELi512EEEvPT_PKfS4_PKS1_PKii,comdat
.Lfunc_end17:
	.size	_ZN4vllm32paged_attention_v2_reduce_kernelIfLi256ELi128ELi512EEEvPT_PKfS4_PKS1_PKii, .Lfunc_end17-_ZN4vllm32paged_attention_v2_reduce_kernelIfLi256ELi128ELi512EEEvPT_PKfS4_PKS1_PKii
                                        ; -- End function
	.set _ZN4vllm32paged_attention_v2_reduce_kernelIfLi256ELi128ELi512EEEvPT_PKfS4_PKS1_PKii.num_vgpr, 19
	.set _ZN4vllm32paged_attention_v2_reduce_kernelIfLi256ELi128ELi512EEEvPT_PKfS4_PKS1_PKii.num_agpr, 0
	.set _ZN4vllm32paged_attention_v2_reduce_kernelIfLi256ELi128ELi512EEEvPT_PKfS4_PKS1_PKii.numbered_sgpr, 30
	.set _ZN4vllm32paged_attention_v2_reduce_kernelIfLi256ELi128ELi512EEEvPT_PKfS4_PKS1_PKii.num_named_barrier, 0
	.set _ZN4vllm32paged_attention_v2_reduce_kernelIfLi256ELi128ELi512EEEvPT_PKfS4_PKS1_PKii.private_seg_size, 0
	.set _ZN4vllm32paged_attention_v2_reduce_kernelIfLi256ELi128ELi512EEEvPT_PKfS4_PKS1_PKii.uses_vcc, 1
	.set _ZN4vllm32paged_attention_v2_reduce_kernelIfLi256ELi128ELi512EEEvPT_PKfS4_PKS1_PKii.uses_flat_scratch, 0
	.set _ZN4vllm32paged_attention_v2_reduce_kernelIfLi256ELi128ELi512EEEvPT_PKfS4_PKS1_PKii.has_dyn_sized_stack, 0
	.set _ZN4vllm32paged_attention_v2_reduce_kernelIfLi256ELi128ELi512EEEvPT_PKfS4_PKS1_PKii.has_recursion, 0
	.set _ZN4vllm32paged_attention_v2_reduce_kernelIfLi256ELi128ELi512EEEvPT_PKfS4_PKS1_PKii.has_indirect_call, 0
	.section	.AMDGPU.csdata,"",@progbits
; Kernel info:
; codeLenInByte = 2208
; TotalNumSgprs: 32
; NumVgprs: 19
; ScratchSize: 0
; MemoryBound: 0
; FloatMode: 240
; IeeeMode: 1
; LDSByteSize: 32 bytes/workgroup (compile time only)
; SGPRBlocks: 0
; VGPRBlocks: 2
; NumSGPRsForWavesPerEU: 32
; NumVGPRsForWavesPerEU: 19
; Occupancy: 16
; WaveLimiterHint : 0
; COMPUTE_PGM_RSRC2:SCRATCH_EN: 0
; COMPUTE_PGM_RSRC2:USER_SGPR: 6
; COMPUTE_PGM_RSRC2:TRAP_HANDLER: 0
; COMPUTE_PGM_RSRC2:TGID_X_EN: 1
; COMPUTE_PGM_RSRC2:TGID_Y_EN: 1
; COMPUTE_PGM_RSRC2:TGID_Z_EN: 0
; COMPUTE_PGM_RSRC2:TIDIG_COMP_CNT: 0
	.section	.text._ZN4vllm25paged_attention_v2_kernelIffLi32ELi8ELi128ELNS_18Fp8KVCacheDataTypeE0ELb0ELi512EEEvPfS2_PT_PKS3_PKT0_S9_ifPKiSB_iPKfiiiSD_SD_iiiii,"axG",@progbits,_ZN4vllm25paged_attention_v2_kernelIffLi32ELi8ELi128ELNS_18Fp8KVCacheDataTypeE0ELb0ELi512EEEvPfS2_PT_PKS3_PKT0_S9_ifPKiSB_iPKfiiiSD_SD_iiiii,comdat
	.protected	_ZN4vllm25paged_attention_v2_kernelIffLi32ELi8ELi128ELNS_18Fp8KVCacheDataTypeE0ELb0ELi512EEEvPfS2_PT_PKS3_PKT0_S9_ifPKiSB_iPKfiiiSD_SD_iiiii ; -- Begin function _ZN4vllm25paged_attention_v2_kernelIffLi32ELi8ELi128ELNS_18Fp8KVCacheDataTypeE0ELb0ELi512EEEvPfS2_PT_PKS3_PKT0_S9_ifPKiSB_iPKfiiiSD_SD_iiiii
	.globl	_ZN4vllm25paged_attention_v2_kernelIffLi32ELi8ELi128ELNS_18Fp8KVCacheDataTypeE0ELb0ELi512EEEvPfS2_PT_PKS3_PKT0_S9_ifPKiSB_iPKfiiiSD_SD_iiiii
	.p2align	8
	.type	_ZN4vllm25paged_attention_v2_kernelIffLi32ELi8ELi128ELNS_18Fp8KVCacheDataTypeE0ELb0ELi512EEEvPfS2_PT_PKS3_PKT0_S9_ifPKiSB_iPKfiiiSD_SD_iiiii,@function
_ZN4vllm25paged_attention_v2_kernelIffLi32ELi8ELi128ELNS_18Fp8KVCacheDataTypeE0ELb0ELi512EEEvPfS2_PT_PKS3_PKT0_S9_ifPKiSB_iPKfiiiSD_SD_iiiii: ; @_ZN4vllm25paged_attention_v2_kernelIffLi32ELi8ELi128ELNS_18Fp8KVCacheDataTypeE0ELb0ELi512EEEvPfS2_PT_PKS3_PKT0_S9_ifPKiSB_iPKfiiiSD_SD_iiiii
; %bb.0:
	s_load_dwordx2 s[0:1], s[4:5], 0x40
	s_mov_b32 s22, s7
	s_ashr_i32 s23, s7, 31
	s_lshl_b64 s[2:3], s[22:23], 2
	s_waitcnt lgkmcnt(0)
	s_add_u32 s0, s0, s2
	s_addc_u32 s1, s1, s3
	s_lshl_b32 s33, s8, 9
	s_load_dword s23, s[0:1], 0x0
	s_waitcnt lgkmcnt(0)
	s_cmp_ge_i32 s33, s23
	s_cbranch_scc1 .LBB18_56
; %bb.1:
	s_clause 0x1
	s_load_dword s9, s[4:5], 0x90
	s_load_dwordx2 s[30:31], s[4:5], 0x30
	s_mov_b32 s34, 0
	s_waitcnt lgkmcnt(0)
	s_abs_i32 s3, s9
	s_abs_i32 s0, s30
	v_cvt_f32_u32_e32 v1, s0
	s_sub_i32 s2, 0, s0
	v_rcp_iflag_f32_e32 v1, v1
	v_mul_f32_e32 v1, 0x4f7ffffe, v1
	v_cvt_u32_f32_e32 v1, v1
	v_readfirstlane_b32 s1, v1
	s_mul_i32 s2, s2, s1
	s_mul_hi_u32 s2, s1, s2
	s_add_i32 s1, s1, s2
	s_xor_b32 s2, s9, s30
	s_mul_hi_u32 s1, s3, s1
	s_ashr_i32 s2, s2, 31
	s_mul_i32 s7, s1, s0
	s_sub_i32 s3, s3, s7
	s_add_i32 s7, s1, 1
	s_sub_i32 s10, s3, s0
	s_cmp_ge_u32 s3, s0
	s_cselect_b32 s1, s7, s1
	s_cselect_b32 s3, s10, s3
	s_add_i32 s7, s1, 1
	s_cmp_ge_u32 s3, s0
	s_cselect_b32 s0, s7, s1
	s_abs_i32 s16, s6
	s_xor_b32 s0, s0, s2
	s_sub_i32 s10, s0, s2
	s_load_dwordx2 s[0:1], s[4:5], 0x50
	s_abs_i32 s2, s10
	v_cvt_f32_u32_e32 v1, s2
	s_sub_i32 s7, 0, s2
	v_rcp_iflag_f32_e32 v1, v1
	v_mul_f32_e32 v1, 0x4f7ffffe, v1
	v_cvt_u32_f32_e32 v1, v1
	v_readfirstlane_b32 s3, v1
	s_mul_i32 s7, s7, s3
	s_mul_hi_u32 s7, s3, s7
	s_add_i32 s3, s3, s7
	s_waitcnt lgkmcnt(0)
	s_cmp_eq_u64 s[0:1], 0
	s_mul_hi_u32 s3, s16, s3
	s_cbranch_scc1 .LBB18_3
; %bb.2:
	s_ashr_i32 s7, s6, 31
	s_lshl_b64 s[12:13], s[6:7], 2
	s_add_u32 s0, s0, s12
	s_addc_u32 s1, s1, s13
	s_load_dword s34, s[0:1], 0x0
.LBB18_3:
	s_load_dwordx4 s[12:15], s[4:5], 0x58
	v_and_b32_e32 v9, 3, v0
	v_cmp_gt_u32_e64 s0, 32, v0
	v_lshlrev_b32_e32 v11, 2, v0
	s_ashr_i32 s1, s6, 31
	s_ashr_i32 s7, s10, 31
	s_lshl_b32 s10, s6, 5
	s_waitcnt lgkmcnt(0)
	s_and_saveexec_b32 s15, s0
	s_cbranch_execz .LBB18_5
; %bb.4:
	s_load_dwordx2 s[18:19], s[4:5], 0x18
	s_mul_i32 s20, s12, s22
	v_and_b32_e32 v2, 0x3fc, v0
	s_ashr_i32 s21, s20, 31
	s_lshl_b64 s[20:21], s[20:21], 2
	v_lshl_add_u32 v2, v9, 5, v2
	s_waitcnt lgkmcnt(0)
	s_add_u32 s12, s18, s20
	s_addc_u32 s17, s19, s21
	s_ashr_i32 s11, s10, 31
	s_lshl_b64 s[18:19], s[10:11], 2
	s_add_u32 s18, s12, s18
	s_addc_u32 s19, s17, s19
	global_load_dword v1, v11, s[18:19]
	s_waitcnt vmcnt(0)
	ds_write_b32 v2, v1
.LBB18_5:
	s_or_b32 exec_lo, exec_lo, s15
	s_add_i32 s11, s23, 7
	s_lshl_b32 s30, s8, 6
	s_ashr_i32 s12, s11, 31
	s_xor_b32 s1, s1, s7
	s_lshr_b32 s12, s12, 29
	s_add_i32 s7, s30, 64
	s_add_i32 s11, s11, s12
	s_mul_i32 s15, s3, s2
	s_ashr_i32 s12, s11, 3
	s_sub_i32 s15, s16, s15
	s_min_i32 s11, s7, s12
	s_clause 0x1
	s_load_dwordx2 s[24:25], s[4:5], 0x38
	s_load_dword s7, s[4:5], 0x48
	s_add_i32 s16, s3, 1
	s_sub_i32 s17, s15, s2
	s_cmp_ge_u32 s15, s2
	v_lshrrev_b32_e32 v16, 5, v0
	s_cselect_b32 s3, s16, s3
	s_cselect_b32 s15, s17, s15
	s_add_i32 s16, s3, 1
	s_cmp_ge_u32 s15, s2
	v_or_b32_e32 v13, s30, v16
	s_cselect_b32 s2, s16, s3
	v_mbcnt_lo_u32_b32 v12, -1, 0
	s_xor_b32 s2, s2, s1
	s_mov_b32 s3, exec_lo
	s_sub_i32 s2, s2, s1
	v_cmp_gt_i32_e64 s1, s11, v13
	s_waitcnt lgkmcnt(0)
	s_barrier
	buffer_gl0_inv
                                        ; implicit-def: $vgpr15
                                        ; implicit-def: $vgpr18
	s_mul_i32 s26, s7, s22
	s_ashr_i32 s27, s26, 31
	v_cmpx_le_i32_e64 s11, v13
	s_xor_b32 s3, exec_lo, s3
; %bb.6:
	v_mov_b32_e32 v15, 0
	v_mbcnt_lo_u32_b32 v12, -1, 0
	v_mov_b32_e32 v18, 32
                                        ; implicit-def: $vgpr9
; %bb.7:
	s_or_saveexec_b32 s35, s3
	s_clause 0x3
	s_load_dwordx4 s[16:19], s[4:5], 0x0
	s_load_dwordx2 s[20:21], s[4:5], 0x10
	s_load_dwordx2 s[28:29], s[4:5], 0x28
	s_load_dword s7, s[4:5], 0x98
	v_mov_b32_e32 v17, 0xff7fffff
	v_ashrrev_i32_e32 v14, 31, v13
	s_mul_i32 s14, s2, s14
	s_xor_b32 exec_lo, exec_lo, s35
	s_cbranch_execz .LBB18_13
; %bb.8:
	s_load_dwordx2 s[2:3], s[4:5], 0x20
	v_xor_b32_e32 v19, 2, v12
	v_bfe_u32 v10, v0, 2, 3
	v_xor_b32_e32 v20, 1, v12
	s_ashr_i32 s15, s14, 31
	v_lshlrev_b32_e32 v5, 5, v9
	v_cmp_gt_i32_e32 vcc_lo, 32, v19
	v_lshlrev_b32_e32 v21, 4, v10
	s_lshl_b64 s[4:5], s[14:15], 2
	v_lshlrev_b32_e32 v17, 2, v9
	ds_read_b128 v[1:4], v5
	ds_read_b128 v[5:8], v5 offset:16
	v_cndmask_b32_e32 v19, v12, v19, vcc_lo
	v_cmp_gt_i32_e32 vcc_lo, 32, v20
	v_lshlrev_b32_e32 v23, 2, v10
	v_mov_b32_e32 v15, 0
	v_mov_b32_e32 v18, 32
	v_lshlrev_b32_e32 v19, 2, v19
	v_cndmask_b32_e32 v22, v12, v20, vcc_lo
	v_lshl_or_b32 v24, v16, 5, v23
	v_mov_b32_e32 v25, v13
	s_waitcnt lgkmcnt(0)
	s_add_u32 s2, s2, s4
	s_addc_u32 s3, s3, s5
	v_add_co_u32 v20, s2, s2, v21
	v_add_co_ci_u32_e64 v21, null, s3, 0, s2
	s_lshl_b64 s[36:37], s[26:27], 2
	v_add_co_u32 v20, vcc_lo, v20, v17
	v_lshlrev_b32_e32 v17, 3, v16
	v_add_co_ci_u32_e64 v21, null, 0, v21, vcc_lo
	v_cmp_eq_u32_e32 vcc_lo, 0, v9
	s_sub_i32 s5, 1, s23
	v_add3_u32 v23, s33, v17, v10
	v_lshlrev_b64 v[9:10], 2, v[13:14]
	s_add_u32 s3, s24, s36
	s_addc_u32 s4, s25, s37
	v_lshlrev_b32_e32 v22, 2, v22
	v_cmp_neq_f32_e64 s2, s34, 0
	v_add_nc_u32_e32 v24, 0xa0, v24
	v_add_co_u32 v9, s3, s3, v9
	v_add_co_ci_u32_e64 v10, null, s4, v10, s3
	v_mov_b32_e32 v17, 0xff7fffff
	s_mov_b32 s36, s13
	s_mov_b32 s15, 0
	s_branch .LBB18_10
.LBB18_9:                               ;   in Loop: Header=BB18_10 Depth=1
	s_or_b32 exec_lo, exec_lo, s4
	v_add_nc_u32_e32 v25, 4, v25
	v_add_co_u32 v9, s4, v9, 16
	v_add_nc_u32_e32 v23, 32, v23
	v_add_nc_u32_e32 v24, 0x80, v24
	v_cmp_le_i32_e64 s3, s11, v25
	v_add_co_ci_u32_e64 v10, null, 0, v10, s4
	s_or_b32 s15, s3, s15
	s_andn2_b32 exec_lo, exec_lo, s15
	s_cbranch_execz .LBB18_12
.LBB18_10:                              ; =>This Inner Loop Header: Depth=1
	global_load_dword v26, v[9:10], off
	s_waitcnt vmcnt(0) lgkmcnt(0)
	v_mad_i64_i32 v[26:27], null, v26, s36, 0
	v_lshlrev_b64 v[26:27], 2, v[26:27]
	v_add_co_u32 v26, s3, v20, v26
	v_add_co_ci_u32_e64 v27, null, v21, v27, s3
	s_clause 0x7
	global_load_dword v28, v[26:27], off offset:128
	global_load_dword v29, v[26:27], off
	global_load_dword v30, v[26:27], off offset:256
	global_load_dword v31, v[26:27], off offset:384
	;; [unrolled: 1-line block ×6, first 2 shown]
	s_waitcnt vmcnt(7)
	v_mul_f32_e32 v27, v2, v28
	s_waitcnt vmcnt(6)
	v_fmac_f32_e32 v27, v1, v29
	s_waitcnt vmcnt(5)
	v_fmac_f32_e32 v27, v3, v30
	;; [unrolled: 2-line block ×7, first 2 shown]
	ds_bpermute_b32 v26, v19, v27
	s_waitcnt lgkmcnt(0)
	v_add_f32_e32 v26, v27, v26
	ds_bpermute_b32 v27, v22, v26
	s_and_saveexec_b32 s4, vcc_lo
	s_cbranch_execz .LBB18_9
; %bb.11:                               ;   in Loop: Header=BB18_10 Depth=1
	v_add_nc_u32_e32 v28, s5, v23
	s_waitcnt lgkmcnt(0)
	v_add_f32_e32 v26, v26, v27
	v_cmp_gt_i32_e64 s3, s23, v23
	v_cvt_f32_i32_e32 v28, v28
	v_mul_f32_e32 v28, s34, v28
	v_cndmask_b32_e64 v27, 0, v28, s2
	v_max_f32_e32 v28, v17, v17
	v_fmac_f32_e32 v27, s31, v26
	v_max_f32_e32 v26, v28, v27
	v_cndmask_b32_e64 v27, 0, v27, s3
	v_cndmask_b32_e64 v17, v17, v26, s3
	ds_write_b32 v24, v27
	s_branch .LBB18_9
.LBB18_12:
	s_or_b32 exec_lo, exec_lo, s15
.LBB18_13:
	s_or_b32 exec_lo, exec_lo, s35
	v_xor_b32_e32 v1, 16, v12
	v_xor_b32_e32 v3, 8, v12
	v_max_f32_e32 v5, v17, v17
	v_cmp_lt_i32_e32 vcc_lo, v1, v18
	v_cndmask_b32_e32 v1, v12, v1, vcc_lo
	v_cmp_lt_i32_e32 vcc_lo, v3, v18
	v_lshlrev_b32_e32 v2, 2, v1
	v_cndmask_b32_e32 v3, v12, v3, vcc_lo
	ds_bpermute_b32 v1, v2, v17
	v_lshlrev_b32_e32 v4, 2, v3
	v_and_b32_e32 v17, 31, v0
	s_waitcnt lgkmcnt(0)
	v_max_f32_e32 v1, v1, v1
	v_max_f32_e32 v1, v5, v1
	v_xor_b32_e32 v5, 4, v12
	ds_bpermute_b32 v3, v4, v1
	v_cmp_lt_i32_e32 vcc_lo, v5, v18
	v_cndmask_b32_e32 v5, v12, v5, vcc_lo
	v_cmp_eq_u32_e32 vcc_lo, 0, v17
	v_lshlrev_b32_e32 v7, 2, v5
	v_lshlrev_b32_e32 v5, 2, v16
	s_waitcnt lgkmcnt(0)
	v_max_f32_e32 v3, v3, v3
	v_max_f32_e32 v1, v1, v3
	ds_bpermute_b32 v3, v7, v1
	s_and_saveexec_b32 s2, vcc_lo
	s_cbranch_execz .LBB18_15
; %bb.14:
	s_waitcnt lgkmcnt(0)
	v_max_f32_e32 v3, v3, v3
	v_max_f32_e32 v1, v1, v1
	;; [unrolled: 1-line block ×3, first 2 shown]
	ds_write_b32 v5, v1 offset:128
.LBB18_15:
	s_or_b32 exec_lo, exec_lo, s2
	v_cmp_gt_u32_e64 s2, 4, v17
	v_mov_b32_e32 v1, 0xff7fffff
	v_lshlrev_b32_e32 v6, 2, v17
	s_waitcnt lgkmcnt(0)
	s_barrier
	buffer_gl0_inv
	s_and_saveexec_b32 s3, s2
; %bb.16:
	ds_read_b32 v1, v6 offset:128
; %bb.17:
	s_or_b32 exec_lo, exec_lo, s3
	v_xor_b32_e32 v3, 2, v12
	v_xor_b32_e32 v9, 1, v12
	v_cmp_lt_i32_e64 s3, v3, v18
	v_cndmask_b32_e64 v3, v12, v3, s3
	v_cmp_lt_i32_e64 s3, v9, v18
	v_lshlrev_b32_e32 v8, 2, v3
	v_cndmask_b32_e64 v9, v12, v9, s3
	s_sub_i32 s3, s11, s30
	s_lshl_b32 s3, s3, 3
	s_waitcnt lgkmcnt(0)
	ds_bpermute_b32 v3, v8, v1
	v_max_f32_e32 v1, v1, v1
	v_lshlrev_b32_e32 v18, 2, v9
	s_add_i32 s3, s3, s33
	v_mov_b32_e32 v9, 0
	s_min_i32 s3, s3, s23
	s_sub_i32 s5, s3, s33
	v_cmp_gt_i32_e64 s3, s5, v0
	s_waitcnt lgkmcnt(0)
	v_max_f32_e32 v3, v3, v3
	v_max_f32_e32 v1, v1, v3
	ds_bpermute_b32 v3, v18, v1
	s_waitcnt lgkmcnt(0)
	v_max_f32_e32 v3, v3, v3
	v_max_f32_e32 v1, v1, v3
	v_lshlrev_b32_e32 v3, 2, v15
	ds_bpermute_b32 v1, v3, v1
	v_lshl_add_u32 v3, v0, 2, 0xa0
	s_and_saveexec_b32 s15, s3
	s_cbranch_execz .LBB18_21
; %bb.18:
	v_lshl_add_u32 v10, v0, 2, 0xa0
	v_mov_b32_e32 v9, 0
	v_mov_b32_e32 v15, v0
	s_mov_b32 s30, 0
	.p2align	6
.LBB18_19:                              ; =>This Inner Loop Header: Depth=1
	ds_read_b32 v19, v10
	v_add_nc_u32_e32 v15, 0x80, v15
	v_cmp_le_i32_e64 s4, s5, v15
	s_or_b32 s30, s4, s30
	s_waitcnt lgkmcnt(0)
	v_sub_f32_e32 v19, v19, v1
	v_mul_f32_e32 v19, 0x3fb8aa3b, v19
	v_exp_f32_e32 v19, v19
	ds_write_b32 v10, v19
	v_add_f32_e32 v9, v9, v19
	v_add_nc_u32_e32 v10, 0x200, v10
	s_andn2_b32 exec_lo, exec_lo, s30
	s_cbranch_execnz .LBB18_19
; %bb.20:
	s_or_b32 exec_lo, exec_lo, s30
.LBB18_21:
	s_or_b32 exec_lo, exec_lo, s15
	ds_bpermute_b32 v2, v2, v9
	s_waitcnt lgkmcnt(0)
	v_add_f32_e32 v2, v9, v2
	ds_bpermute_b32 v4, v4, v2
	s_waitcnt lgkmcnt(0)
	v_add_f32_e32 v2, v2, v4
	;; [unrolled: 3-line block ×5, first 2 shown]
	s_and_saveexec_b32 s4, vcc_lo
; %bb.22:
	ds_write_b32 v5, v2 offset:144
; %bb.23:
	s_or_b32 exec_lo, exec_lo, s4
	s_waitcnt lgkmcnt(0)
	s_barrier
	buffer_gl0_inv
	s_and_saveexec_b32 s4, s2
; %bb.24:
	ds_read_b32 v2, v6 offset:144
; %bb.25:
	s_or_b32 exec_lo, exec_lo, s4
	s_waitcnt lgkmcnt(0)
	ds_bpermute_b32 v4, v8, v2
	v_lshlrev_b32_e32 v5, 2, v12
	s_waitcnt lgkmcnt(0)
	v_add_f32_e32 v2, v2, v4
	ds_bpermute_b32 v4, v18, v2
	s_waitcnt lgkmcnt(0)
	v_add_f32_e32 v2, v2, v4
	v_and_b32_e32 v4, 0xffffff80, v5
	ds_bpermute_b32 v2, v4, v2
	s_and_saveexec_b32 s2, s3
	s_cbranch_execz .LBB18_28
; %bb.26:
	s_waitcnt lgkmcnt(0)
	v_add_f32_e32 v4, 0x358637bd, v2
	s_mov_b32 s3, 0
	v_div_scale_f32 v5, null, v4, v4, 1.0
	v_div_scale_f32 v8, vcc_lo, 1.0, v4, 1.0
	v_rcp_f32_e32 v6, v5
	v_fma_f32 v7, -v5, v6, 1.0
	v_fmac_f32_e32 v6, v7, v6
	v_mul_f32_e32 v7, v8, v6
	v_fma_f32 v9, -v5, v7, v8
	v_fmac_f32_e32 v7, v9, v6
	v_fma_f32 v5, -v5, v7, v8
	v_div_fmas_f32 v5, v5, v6, v7
	v_div_fixup_f32 v4, v5, v4, 1.0
	v_mov_b32_e32 v5, v0
.LBB18_27:                              ; =>This Inner Loop Header: Depth=1
	ds_read_b32 v6, v3
	v_add_nc_u32_e32 v5, 0x80, v5
	v_cmp_le_i32_e32 vcc_lo, s5, v5
	s_or_b32 s3, vcc_lo, s3
	s_waitcnt lgkmcnt(0)
	v_mul_f32_e32 v6, v4, v6
	ds_write_b32 v3, v6
	v_add_nc_u32_e32 v3, 0x200, v3
	s_andn2_b32 exec_lo, exec_lo, s3
	s_cbranch_execnz .LBB18_27
.LBB18_28:
	s_or_b32 exec_lo, exec_lo, s2
	s_mul_i32 s2, s7, s22
	s_mov_b32 s4, exec_lo
	s_mul_i32 s2, s2, s9
	s_waitcnt lgkmcnt(0)
	s_barrier
	buffer_gl0_inv
	v_cmpx_eq_u32_e32 0, v0
	s_cbranch_execz .LBB18_30
; %bb.29:
	s_ashr_i32 s3, s2, 31
	s_mul_i32 s34, s7, s6
	s_lshl_b64 s[30:31], s[2:3], 2
	v_mov_b32_e32 v3, 0
	s_add_u32 s3, s18, s30
	s_addc_u32 s5, s19, s31
	s_ashr_i32 s35, s34, 31
	s_lshl_b64 s[18:19], s[34:35], 2
	s_add_u32 s3, s3, s18
	s_addc_u32 s5, s5, s19
	s_ashr_i32 s9, s8, 31
	s_lshl_b64 s[34:35], s[8:9], 2
	s_add_u32 s36, s3, s34
	s_addc_u32 s37, s5, s35
	s_add_u32 s3, s16, s30
	s_addc_u32 s5, s17, s31
	;; [unrolled: 2-line block ×4, first 2 shown]
	global_store_dword v3, v1, s[36:37]
	global_store_dword v3, v2, s[16:17]
.LBB18_30:
	s_or_b32 exec_lo, exec_lo, s4
	v_mov_b32_e32 v21, 0
	v_and_b32_e32 v19, 1, v0
	v_mov_b32_e32 v20, 0
	s_and_saveexec_b32 s3, s1
	s_cbranch_execz .LBB18_38
; %bb.31:
	v_lshlrev_b32_e32 v2, 4, v0
	s_ashr_i32 s15, s14, 31
	v_and_b32_e32 v1, 4, v11
	v_lshl_add_u32 v4, v16, 3, s33
	s_lshl_b64 s[4:5], s[14:15], 2
	v_and_b32_e32 v2, 0x1f0, v2
	s_add_u32 s1, s28, s4
	v_lshlrev_b32_e32 v3, 4, v19
	s_addc_u32 s4, s29, s5
	v_add3_u32 v24, v4, v1, 3
	v_add_co_u32 v22, s1, s1, v2
	v_lshlrev_b64 v[1:2], 2, v[13:14]
	v_add_co_ci_u32_e64 v23, null, s4, 0, s1
	s_lshl_b64 s[4:5], s[26:27], 2
	s_add_i32 s12, s12, -1
	v_lshl_or_b32 v3, v16, 5, v3
	s_add_u32 s1, s24, s4
	s_addc_u32 s4, s25, s5
	v_add_co_u32 v14, vcc_lo, s1, v1
	v_mov_b32_e32 v20, 0
	v_add_nc_u32_e32 v25, 0xa0, v3
	v_add_co_ci_u32_e64 v15, null, s4, v2, vcc_lo
	v_mov_b32_e32 v21, 0
	s_mov_b32 s5, s13
	s_mov_b32 s4, 0
	s_branch .LBB18_33
.LBB18_32:                              ;   in Loop: Header=BB18_33 Depth=1
	s_or_b32 exec_lo, exec_lo, s1
	s_waitcnt vmcnt(1) lgkmcnt(0)
	v_mul_f32_e32 v5, v1, v5
	s_waitcnt vmcnt(0)
	v_mul_f32_e32 v1, v1, v9
	v_add_nc_u32_e32 v13, 4, v13
	v_add_co_u32 v14, s1, v14, 16
	v_fmac_f32_e32 v5, v2, v6
	v_fmac_f32_e32 v1, v2, v10
	v_cmp_le_i32_e32 vcc_lo, s11, v13
	v_add_nc_u32_e32 v24, 32, v24
	v_add_nc_u32_e32 v25, 0x80, v25
	v_fmac_f32_e32 v5, v3, v7
	v_fmac_f32_e32 v1, v3, v11
	v_add_co_ci_u32_e64 v15, null, 0, v15, s1
	s_or_b32 s4, vcc_lo, s4
	v_fmac_f32_e32 v5, v4, v8
	v_fmac_f32_e32 v1, v4, v12
	v_add_f32_e32 v21, v21, v5
	v_add_f32_e32 v20, v20, v1
	s_andn2_b32 exec_lo, exec_lo, s4
	s_cbranch_execz .LBB18_37
.LBB18_33:                              ; =>This Inner Loop Header: Depth=1
	global_load_dword v1, v[14:15], off
	v_add_nc_u32_e32 v26, -3, v24
	v_add_nc_u32_e32 v28, -2, v24
	;; [unrolled: 1-line block ×3, first 2 shown]
	s_waitcnt vmcnt(0)
	v_mad_i64_i32 v[1:2], null, v1, s5, 0
	v_lshlrev_b64 v[1:2], 2, v[1:2]
	v_add_co_u32 v9, vcc_lo, v22, v1
	v_add_co_ci_u32_e64 v10, null, v23, v2, vcc_lo
	ds_read_b128 v[1:4], v25
	v_cmp_eq_u32_e32 vcc_lo, s12, v13
	global_load_dwordx4 v[5:8], v[9:10], off
	s_and_saveexec_b32 s6, vcc_lo
	s_cbranch_execz .LBB18_35
; %bb.34:                               ;   in Loop: Header=BB18_33 Depth=1
	v_cmp_gt_i32_e64 s1, s23, v26
	s_waitcnt vmcnt(0)
	v_cndmask_b32_e64 v5, 0, v5, s1
	v_cmp_gt_i32_e64 s1, s23, v28
	v_cndmask_b32_e64 v6, 0, v6, s1
	v_cmp_gt_i32_e64 s1, s23, v27
	;; [unrolled: 2-line block ×3, first 2 shown]
	v_cndmask_b32_e64 v8, 0, v8, s1
.LBB18_35:                              ;   in Loop: Header=BB18_33 Depth=1
	s_or_b32 exec_lo, exec_lo, s6
	global_load_dwordx4 v[9:12], v[9:10], off offset:512
	s_and_saveexec_b32 s1, vcc_lo
	s_cbranch_execz .LBB18_32
; %bb.36:                               ;   in Loop: Header=BB18_33 Depth=1
	v_cmp_gt_i32_e32 vcc_lo, s23, v26
	s_waitcnt vmcnt(0)
	v_cndmask_b32_e32 v9, 0, v9, vcc_lo
	v_cmp_gt_i32_e32 vcc_lo, s23, v28
	v_cndmask_b32_e32 v10, 0, v10, vcc_lo
	v_cmp_gt_i32_e32 vcc_lo, s23, v27
	;; [unrolled: 2-line block ×3, first 2 shown]
	v_cndmask_b32_e32 v12, 0, v12, vcc_lo
	s_branch .LBB18_32
.LBB18_37:
	s_or_b32 exec_lo, exec_lo, s4
.LBB18_38:
	s_or_b32 exec_lo, exec_lo, s3
	ds_bpermute_b32 v1, v18, v21
	ds_bpermute_b32 v2, v18, v20
	v_lshrrev_b32_e32 v3, 1, v17
	v_and_b32_e32 v5, 0x3c1, v0
	s_mov_b32 s1, exec_lo
	s_waitcnt lgkmcnt(0)
	s_waitcnt_vscnt null, 0x0
	s_barrier
	v_lshl_add_u32 v4, v3, 2, 0xa0
	buffer_gl0_inv
	v_add_f32_e32 v1, v21, v1
	v_add_f32_e32 v2, v20, v2
	v_cmpx_eq_u32_e32 64, v5
	s_cbranch_execz .LBB18_40
; %bb.39:
	v_lshl_add_u32 v5, v16, 7, v4
	v_add_nc_u32_e32 v6, 0xffffff00, v5
	v_add_nc_u32_e32 v5, 0xffffff40, v5
	ds_write_b32 v6, v1
	ds_write_b32 v5, v2
.LBB18_40:
	s_or_b32 exec_lo, exec_lo, s1
	v_and_b32_e32 v5, 0x3e0, v0
	v_lshlrev_b32_e32 v3, 2, v3
	s_mov_b32 s3, exec_lo
	v_cmp_eq_u32_e32 vcc_lo, 0, v19
	s_waitcnt lgkmcnt(0)
	v_lshlrev_b32_e32 v5, 2, v5
	s_barrier
	buffer_gl0_inv
	v_add3_u32 v3, 0xa0, v5, v3
	v_cmpx_gt_u32_e32 64, v0
	s_cbranch_execz .LBB18_46
; %bb.41:
	s_and_saveexec_b32 s1, vcc_lo
	s_cbranch_execz .LBB18_43
; %bb.42:
	ds_read_b32 v5, v3
	s_waitcnt lgkmcnt(0)
	v_add_f32_e32 v1, v1, v5
.LBB18_43:
	s_or_b32 exec_lo, exec_lo, s1
	s_and_saveexec_b32 s1, vcc_lo
	s_cbranch_execz .LBB18_45
; %bb.44:
	ds_read_b32 v5, v3 offset:64
	s_waitcnt lgkmcnt(0)
	v_add_f32_e32 v2, v2, v5
.LBB18_45:
	s_or_b32 exec_lo, exec_lo, s1
.LBB18_46:
	s_or_b32 exec_lo, exec_lo, s3
	v_and_b32_e32 v5, 0x3e1, v0
	s_mov_b32 s3, exec_lo
	s_barrier
	buffer_gl0_inv
	v_cmpx_eq_u32_e32 32, v5
; %bb.47:
	ds_write2_b32 v4, v1, v2 offset1:16
; %bb.48:
	s_or_b32 exec_lo, exec_lo, s3
	s_waitcnt lgkmcnt(0)
	s_barrier
	buffer_gl0_inv
	s_and_saveexec_b32 s1, s0
	s_cbranch_execz .LBB18_54
; %bb.49:
	s_and_saveexec_b32 s0, vcc_lo
	s_cbranch_execz .LBB18_51
; %bb.50:
	ds_read_b32 v4, v3
	s_waitcnt lgkmcnt(0)
	v_add_f32_e32 v1, v1, v4
.LBB18_51:
	s_or_b32 exec_lo, exec_lo, s0
	s_and_saveexec_b32 s0, vcc_lo
	s_cbranch_execz .LBB18_53
; %bb.52:
	ds_read_b32 v3, v3 offset:64
	s_waitcnt lgkmcnt(0)
	v_add_f32_e32 v2, v2, v3
.LBB18_53:
	s_or_b32 exec_lo, exec_lo, s0
.LBB18_54:
	s_or_b32 exec_lo, exec_lo, s1
	s_barrier
	buffer_gl0_inv
	s_mov_b32 s0, exec_lo
	v_cmpx_eq_u32_e32 0, v5
	s_cbranch_execz .LBB18_56
; %bb.55:
	s_lshl_b32 s0, s2, 5
	s_mul_i32 s2, s7, s10
	s_ashr_i32 s1, s0, 31
	v_lshlrev_b32_e32 v0, 1, v0
	s_lshl_b64 s[0:1], s[0:1], 2
	s_add_u32 s4, s20, s0
	s_addc_u32 s5, s21, s1
	s_ashr_i32 s3, s2, 31
	s_lshl_b64 s[0:1], s[2:3], 2
	s_add_u32 s2, s4, s0
	s_addc_u32 s3, s5, s1
	s_lshl_b32 s0, s8, 5
	s_ashr_i32 s1, s0, 31
	s_lshl_b64 s[0:1], s[0:1], 2
	s_add_u32 s0, s2, s0
	s_addc_u32 s1, s3, s1
	global_store_dword v0, v1, s[0:1]
	global_store_dword v0, v2, s[0:1] offset:64
.LBB18_56:
	s_endpgm
	.section	.rodata,"a",@progbits
	.p2align	6, 0x0
	.amdhsa_kernel _ZN4vllm25paged_attention_v2_kernelIffLi32ELi8ELi128ELNS_18Fp8KVCacheDataTypeE0ELb0ELi512EEEvPfS2_PT_PKS3_PKT0_S9_ifPKiSB_iPKfiiiSD_SD_iiiii
		.amdhsa_group_segment_fixed_size 160
		.amdhsa_private_segment_fixed_size 0
		.amdhsa_kernarg_size 400
		.amdhsa_user_sgpr_count 6
		.amdhsa_user_sgpr_private_segment_buffer 1
		.amdhsa_user_sgpr_dispatch_ptr 0
		.amdhsa_user_sgpr_queue_ptr 0
		.amdhsa_user_sgpr_kernarg_segment_ptr 1
		.amdhsa_user_sgpr_dispatch_id 0
		.amdhsa_user_sgpr_flat_scratch_init 0
		.amdhsa_user_sgpr_private_segment_size 0
		.amdhsa_wavefront_size32 1
		.amdhsa_uses_dynamic_stack 0
		.amdhsa_system_sgpr_private_segment_wavefront_offset 0
		.amdhsa_system_sgpr_workgroup_id_x 1
		.amdhsa_system_sgpr_workgroup_id_y 1
		.amdhsa_system_sgpr_workgroup_id_z 1
		.amdhsa_system_sgpr_workgroup_info 0
		.amdhsa_system_vgpr_workitem_id 0
		.amdhsa_next_free_vgpr 35
		.amdhsa_next_free_sgpr 38
		.amdhsa_reserve_vcc 1
		.amdhsa_reserve_flat_scratch 0
		.amdhsa_float_round_mode_32 0
		.amdhsa_float_round_mode_16_64 0
		.amdhsa_float_denorm_mode_32 3
		.amdhsa_float_denorm_mode_16_64 3
		.amdhsa_dx10_clamp 1
		.amdhsa_ieee_mode 1
		.amdhsa_fp16_overflow 0
		.amdhsa_workgroup_processor_mode 1
		.amdhsa_memory_ordered 1
		.amdhsa_forward_progress 1
		.amdhsa_shared_vgpr_count 0
		.amdhsa_exception_fp_ieee_invalid_op 0
		.amdhsa_exception_fp_denorm_src 0
		.amdhsa_exception_fp_ieee_div_zero 0
		.amdhsa_exception_fp_ieee_overflow 0
		.amdhsa_exception_fp_ieee_underflow 0
		.amdhsa_exception_fp_ieee_inexact 0
		.amdhsa_exception_int_div_zero 0
	.end_amdhsa_kernel
	.section	.text._ZN4vllm25paged_attention_v2_kernelIffLi32ELi8ELi128ELNS_18Fp8KVCacheDataTypeE0ELb0ELi512EEEvPfS2_PT_PKS3_PKT0_S9_ifPKiSB_iPKfiiiSD_SD_iiiii,"axG",@progbits,_ZN4vllm25paged_attention_v2_kernelIffLi32ELi8ELi128ELNS_18Fp8KVCacheDataTypeE0ELb0ELi512EEEvPfS2_PT_PKS3_PKT0_S9_ifPKiSB_iPKfiiiSD_SD_iiiii,comdat
.Lfunc_end18:
	.size	_ZN4vllm25paged_attention_v2_kernelIffLi32ELi8ELi128ELNS_18Fp8KVCacheDataTypeE0ELb0ELi512EEEvPfS2_PT_PKS3_PKT0_S9_ifPKiSB_iPKfiiiSD_SD_iiiii, .Lfunc_end18-_ZN4vllm25paged_attention_v2_kernelIffLi32ELi8ELi128ELNS_18Fp8KVCacheDataTypeE0ELb0ELi512EEEvPfS2_PT_PKS3_PKT0_S9_ifPKiSB_iPKfiiiSD_SD_iiiii
                                        ; -- End function
	.set _ZN4vllm25paged_attention_v2_kernelIffLi32ELi8ELi128ELNS_18Fp8KVCacheDataTypeE0ELb0ELi512EEEvPfS2_PT_PKS3_PKT0_S9_ifPKiSB_iPKfiiiSD_SD_iiiii.num_vgpr, 35
	.set _ZN4vllm25paged_attention_v2_kernelIffLi32ELi8ELi128ELNS_18Fp8KVCacheDataTypeE0ELb0ELi512EEEvPfS2_PT_PKS3_PKT0_S9_ifPKiSB_iPKfiiiSD_SD_iiiii.num_agpr, 0
	.set _ZN4vllm25paged_attention_v2_kernelIffLi32ELi8ELi128ELNS_18Fp8KVCacheDataTypeE0ELb0ELi512EEEvPfS2_PT_PKS3_PKT0_S9_ifPKiSB_iPKfiiiSD_SD_iiiii.numbered_sgpr, 38
	.set _ZN4vllm25paged_attention_v2_kernelIffLi32ELi8ELi128ELNS_18Fp8KVCacheDataTypeE0ELb0ELi512EEEvPfS2_PT_PKS3_PKT0_S9_ifPKiSB_iPKfiiiSD_SD_iiiii.num_named_barrier, 0
	.set _ZN4vllm25paged_attention_v2_kernelIffLi32ELi8ELi128ELNS_18Fp8KVCacheDataTypeE0ELb0ELi512EEEvPfS2_PT_PKS3_PKT0_S9_ifPKiSB_iPKfiiiSD_SD_iiiii.private_seg_size, 0
	.set _ZN4vllm25paged_attention_v2_kernelIffLi32ELi8ELi128ELNS_18Fp8KVCacheDataTypeE0ELb0ELi512EEEvPfS2_PT_PKS3_PKT0_S9_ifPKiSB_iPKfiiiSD_SD_iiiii.uses_vcc, 1
	.set _ZN4vllm25paged_attention_v2_kernelIffLi32ELi8ELi128ELNS_18Fp8KVCacheDataTypeE0ELb0ELi512EEEvPfS2_PT_PKS3_PKT0_S9_ifPKiSB_iPKfiiiSD_SD_iiiii.uses_flat_scratch, 0
	.set _ZN4vllm25paged_attention_v2_kernelIffLi32ELi8ELi128ELNS_18Fp8KVCacheDataTypeE0ELb0ELi512EEEvPfS2_PT_PKS3_PKT0_S9_ifPKiSB_iPKfiiiSD_SD_iiiii.has_dyn_sized_stack, 0
	.set _ZN4vllm25paged_attention_v2_kernelIffLi32ELi8ELi128ELNS_18Fp8KVCacheDataTypeE0ELb0ELi512EEEvPfS2_PT_PKS3_PKT0_S9_ifPKiSB_iPKfiiiSD_SD_iiiii.has_recursion, 0
	.set _ZN4vllm25paged_attention_v2_kernelIffLi32ELi8ELi128ELNS_18Fp8KVCacheDataTypeE0ELb0ELi512EEEvPfS2_PT_PKS3_PKT0_S9_ifPKiSB_iPKfiiiSD_SD_iiiii.has_indirect_call, 0
	.section	.AMDGPU.csdata,"",@progbits
; Kernel info:
; codeLenInByte = 3188
; TotalNumSgprs: 40
; NumVgprs: 35
; ScratchSize: 0
; MemoryBound: 0
; FloatMode: 240
; IeeeMode: 1
; LDSByteSize: 160 bytes/workgroup (compile time only)
; SGPRBlocks: 0
; VGPRBlocks: 4
; NumSGPRsForWavesPerEU: 40
; NumVGPRsForWavesPerEU: 35
; Occupancy: 16
; WaveLimiterHint : 1
; COMPUTE_PGM_RSRC2:SCRATCH_EN: 0
; COMPUTE_PGM_RSRC2:USER_SGPR: 6
; COMPUTE_PGM_RSRC2:TRAP_HANDLER: 0
; COMPUTE_PGM_RSRC2:TGID_X_EN: 1
; COMPUTE_PGM_RSRC2:TGID_Y_EN: 1
; COMPUTE_PGM_RSRC2:TGID_Z_EN: 1
; COMPUTE_PGM_RSRC2:TIDIG_COMP_CNT: 0
	.section	.text._ZN4vllm25paged_attention_v2_kernelIffLi64ELi8ELi128ELNS_18Fp8KVCacheDataTypeE0ELb0ELi512EEEvPfS2_PT_PKS3_PKT0_S9_ifPKiSB_iPKfiiiSD_SD_iiiii,"axG",@progbits,_ZN4vllm25paged_attention_v2_kernelIffLi64ELi8ELi128ELNS_18Fp8KVCacheDataTypeE0ELb0ELi512EEEvPfS2_PT_PKS3_PKT0_S9_ifPKiSB_iPKfiiiSD_SD_iiiii,comdat
	.protected	_ZN4vllm25paged_attention_v2_kernelIffLi64ELi8ELi128ELNS_18Fp8KVCacheDataTypeE0ELb0ELi512EEEvPfS2_PT_PKS3_PKT0_S9_ifPKiSB_iPKfiiiSD_SD_iiiii ; -- Begin function _ZN4vllm25paged_attention_v2_kernelIffLi64ELi8ELi128ELNS_18Fp8KVCacheDataTypeE0ELb0ELi512EEEvPfS2_PT_PKS3_PKT0_S9_ifPKiSB_iPKfiiiSD_SD_iiiii
	.globl	_ZN4vllm25paged_attention_v2_kernelIffLi64ELi8ELi128ELNS_18Fp8KVCacheDataTypeE0ELb0ELi512EEEvPfS2_PT_PKS3_PKT0_S9_ifPKiSB_iPKfiiiSD_SD_iiiii
	.p2align	8
	.type	_ZN4vllm25paged_attention_v2_kernelIffLi64ELi8ELi128ELNS_18Fp8KVCacheDataTypeE0ELb0ELi512EEEvPfS2_PT_PKS3_PKT0_S9_ifPKiSB_iPKfiiiSD_SD_iiiii,@function
_ZN4vllm25paged_attention_v2_kernelIffLi64ELi8ELi128ELNS_18Fp8KVCacheDataTypeE0ELb0ELi512EEEvPfS2_PT_PKS3_PKT0_S9_ifPKiSB_iPKfiiiSD_SD_iiiii: ; @_ZN4vllm25paged_attention_v2_kernelIffLi64ELi8ELi128ELNS_18Fp8KVCacheDataTypeE0ELb0ELi512EEEvPfS2_PT_PKS3_PKT0_S9_ifPKiSB_iPKfiiiSD_SD_iiiii
; %bb.0:
	s_load_dwordx2 s[0:1], s[4:5], 0x40
	s_mov_b32 s22, s7
	s_ashr_i32 s23, s7, 31
	s_lshl_b64 s[2:3], s[22:23], 2
	s_waitcnt lgkmcnt(0)
	s_add_u32 s0, s0, s2
	s_addc_u32 s1, s1, s3
	s_lshl_b32 s33, s8, 9
	s_load_dword s23, s[0:1], 0x0
	s_waitcnt lgkmcnt(0)
	s_cmp_ge_i32 s33, s23
	s_cbranch_scc1 .LBB19_62
; %bb.1:
	s_clause 0x1
	s_load_dword s9, s[4:5], 0x90
	s_load_dwordx2 s[30:31], s[4:5], 0x30
	s_mov_b32 s34, 0
	s_waitcnt lgkmcnt(0)
	s_abs_i32 s3, s9
	s_abs_i32 s0, s30
	v_cvt_f32_u32_e32 v1, s0
	s_sub_i32 s2, 0, s0
	v_rcp_iflag_f32_e32 v1, v1
	v_mul_f32_e32 v1, 0x4f7ffffe, v1
	v_cvt_u32_f32_e32 v1, v1
	v_readfirstlane_b32 s1, v1
	s_mul_i32 s2, s2, s1
	s_mul_hi_u32 s2, s1, s2
	s_add_i32 s1, s1, s2
	s_xor_b32 s2, s9, s30
	s_mul_hi_u32 s1, s3, s1
	s_ashr_i32 s2, s2, 31
	s_mul_i32 s7, s1, s0
	s_sub_i32 s3, s3, s7
	s_add_i32 s7, s1, 1
	s_sub_i32 s10, s3, s0
	s_cmp_ge_u32 s3, s0
	s_cselect_b32 s1, s7, s1
	s_cselect_b32 s3, s10, s3
	s_add_i32 s7, s1, 1
	s_cmp_ge_u32 s3, s0
	s_cselect_b32 s0, s7, s1
	s_abs_i32 s16, s6
	s_xor_b32 s0, s0, s2
	s_sub_i32 s10, s0, s2
	s_load_dwordx2 s[0:1], s[4:5], 0x50
	s_abs_i32 s2, s10
	v_cvt_f32_u32_e32 v1, s2
	s_sub_i32 s7, 0, s2
	v_rcp_iflag_f32_e32 v1, v1
	v_mul_f32_e32 v1, 0x4f7ffffe, v1
	v_cvt_u32_f32_e32 v1, v1
	v_readfirstlane_b32 s3, v1
	s_mul_i32 s7, s7, s3
	s_mul_hi_u32 s7, s3, s7
	s_add_i32 s3, s3, s7
	s_waitcnt lgkmcnt(0)
	s_cmp_eq_u64 s[0:1], 0
	s_mul_hi_u32 s3, s16, s3
	s_cbranch_scc1 .LBB19_3
; %bb.2:
	s_ashr_i32 s7, s6, 31
	s_lshl_b64 s[12:13], s[6:7], 2
	s_add_u32 s0, s0, s12
	s_addc_u32 s1, s1, s13
	s_load_dword s34, s[0:1], 0x0
.LBB19_3:
	s_load_dwordx4 s[12:15], s[4:5], 0x58
	v_and_b32_e32 v17, 3, v0
	v_cmp_gt_u32_e64 s0, 64, v0
	v_lshlrev_b32_e32 v19, 2, v0
	s_ashr_i32 s1, s6, 31
	s_ashr_i32 s7, s10, 31
	s_lshl_b32 s10, s6, 6
	s_waitcnt lgkmcnt(0)
	s_and_saveexec_b32 s15, s0
	s_cbranch_execz .LBB19_5
; %bb.4:
	s_load_dwordx2 s[18:19], s[4:5], 0x18
	s_mul_i32 s20, s12, s22
	v_and_b32_e32 v2, 0x3fc, v0
	s_ashr_i32 s21, s20, 31
	s_lshl_b64 s[20:21], s[20:21], 2
	v_lshl_add_u32 v2, v17, 6, v2
	s_waitcnt lgkmcnt(0)
	s_add_u32 s12, s18, s20
	s_addc_u32 s17, s19, s21
	s_ashr_i32 s11, s10, 31
	s_lshl_b64 s[18:19], s[10:11], 2
	s_add_u32 s18, s12, s18
	s_addc_u32 s19, s17, s19
	global_load_dword v1, v19, s[18:19]
	s_waitcnt vmcnt(0)
	ds_write_b32 v2, v1
.LBB19_5:
	s_or_b32 exec_lo, exec_lo, s15
	s_add_i32 s11, s23, 7
	s_lshl_b32 s12, s8, 6
	s_ashr_i32 s15, s11, 31
	s_xor_b32 s1, s1, s7
	s_lshr_b32 s15, s15, 29
	s_add_i32 s7, s12, 64
	s_add_i32 s11, s11, s15
	s_mul_i32 s15, s3, s2
	s_ashr_i32 s30, s11, 3
	s_sub_i32 s15, s16, s15
	s_min_i32 s11, s7, s30
	s_clause 0x1
	s_load_dwordx2 s[24:25], s[4:5], 0x38
	s_load_dword s7, s[4:5], 0x48
	s_add_i32 s16, s3, 1
	s_sub_i32 s17, s15, s2
	s_cmp_ge_u32 s15, s2
	v_lshrrev_b32_e32 v24, 5, v0
	s_cselect_b32 s3, s16, s3
	s_cselect_b32 s15, s17, s15
	s_add_i32 s16, s3, 1
	s_cmp_ge_u32 s15, s2
	v_or_b32_e32 v21, s12, v24
	s_cselect_b32 s2, s16, s3
	v_mbcnt_lo_u32_b32 v20, -1, 0
	s_xor_b32 s2, s2, s1
	s_mov_b32 s3, exec_lo
	s_sub_i32 s2, s2, s1
	v_cmp_gt_i32_e64 s1, s11, v21
	s_waitcnt lgkmcnt(0)
	s_barrier
	buffer_gl0_inv
                                        ; implicit-def: $vgpr23
                                        ; implicit-def: $vgpr26
	s_mul_i32 s26, s7, s22
	s_ashr_i32 s27, s26, 31
	v_cmpx_le_i32_e64 s11, v21
	s_xor_b32 s3, exec_lo, s3
; %bb.6:
	v_mov_b32_e32 v23, 0
	v_mbcnt_lo_u32_b32 v20, -1, 0
	v_mov_b32_e32 v26, 32
                                        ; implicit-def: $vgpr17
; %bb.7:
	s_or_saveexec_b32 s35, s3
	s_clause 0x3
	s_load_dwordx4 s[16:19], s[4:5], 0x0
	s_load_dwordx2 s[20:21], s[4:5], 0x10
	s_load_dwordx2 s[28:29], s[4:5], 0x28
	s_load_dword s7, s[4:5], 0x98
	v_mov_b32_e32 v25, 0xff7fffff
	v_ashrrev_i32_e32 v22, 31, v21
	s_mul_i32 s14, s2, s14
	s_xor_b32 exec_lo, exec_lo, s35
	s_cbranch_execz .LBB19_13
; %bb.8:
	s_load_dwordx2 s[2:3], s[4:5], 0x20
	v_bfe_u32 v18, v0, 2, 3
	v_xor_b32_e32 v26, 2, v20
	s_ashr_i32 s15, s14, 31
	v_xor_b32_e32 v27, 1, v20
	v_lshlrev_b32_e32 v13, 6, v17
	v_lshlrev_b32_e32 v28, 4, v18
	v_cmp_gt_i32_e32 vcc_lo, 32, v26
	s_lshl_b64 s[4:5], s[14:15], 2
	v_lshlrev_b32_e32 v25, 2, v17
	ds_read_b128 v[1:4], v13
	ds_read_b128 v[5:8], v13 offset:16
	ds_read_b128 v[9:12], v13 offset:32
	ds_read_b128 v[13:16], v13 offset:48
	v_lshlrev_b32_e32 v31, 2, v18
	v_cndmask_b32_e32 v29, v20, v26, vcc_lo
	v_cmp_gt_i32_e32 vcc_lo, 32, v27
	v_mov_b32_e32 v23, 0
	v_mov_b32_e32 v33, v21
	v_lshl_or_b32 v32, v24, 5, v31
	v_lshlrev_b32_e32 v29, 2, v29
	v_cndmask_b32_e32 v30, v20, v27, vcc_lo
	s_mov_b32 s15, 0
	s_waitcnt lgkmcnt(0)
	s_add_u32 s2, s2, s4
	s_addc_u32 s3, s3, s5
	v_add_co_u32 v26, s2, s2, v28
	v_add_co_ci_u32_e64 v28, null, s3, 0, s2
	s_lshl_b64 s[36:37], s[26:27], 2
	v_add_co_u32 v27, vcc_lo, v26, v25
	v_lshlrev_b32_e32 v25, 3, v24
	v_add_co_ci_u32_e64 v28, null, 0, v28, vcc_lo
	v_cmp_eq_u32_e32 vcc_lo, 0, v17
	s_sub_i32 s5, 1, s23
	v_add3_u32 v31, s33, v25, v18
	v_lshlrev_b64 v[17:18], 2, v[21:22]
	s_add_u32 s3, s24, s36
	s_addc_u32 s4, s25, s37
	v_mov_b32_e32 v26, 32
	v_lshlrev_b32_e32 v30, 2, v30
	v_cmp_neq_f32_e64 s2, s34, 0
	v_add_co_u32 v17, s3, s3, v17
	v_add_nc_u32_e32 v32, 0x120, v32
	v_add_co_ci_u32_e64 v18, null, s4, v18, s3
	v_mov_b32_e32 v25, 0xff7fffff
	s_mov_b32 s36, s13
	s_branch .LBB19_10
.LBB19_9:                               ;   in Loop: Header=BB19_10 Depth=1
	s_or_b32 exec_lo, exec_lo, s4
	v_add_nc_u32_e32 v33, 4, v33
	v_add_co_u32 v17, s4, v17, 16
	v_add_nc_u32_e32 v31, 32, v31
	v_add_nc_u32_e32 v32, 0x80, v32
	v_cmp_le_i32_e64 s3, s11, v33
	v_add_co_ci_u32_e64 v18, null, 0, v18, s4
	s_or_b32 s15, s3, s15
	s_andn2_b32 exec_lo, exec_lo, s15
	s_cbranch_execz .LBB19_12
.LBB19_10:                              ; =>This Inner Loop Header: Depth=1
	global_load_dword v34, v[17:18], off
	s_waitcnt vmcnt(0) lgkmcnt(0)
	v_mad_i64_i32 v[34:35], null, v34, s36, 0
	v_lshlrev_b64 v[34:35], 2, v[34:35]
	v_add_co_u32 v34, s3, v27, v34
	v_add_co_ci_u32_e64 v35, null, v28, v35, s3
	s_clause 0xf
	global_load_dword v36, v[34:35], off offset:128
	global_load_dword v37, v[34:35], off
	global_load_dword v38, v[34:35], off offset:256
	global_load_dword v39, v[34:35], off offset:384
	;; [unrolled: 1-line block ×14, first 2 shown]
	s_waitcnt vmcnt(15)
	v_mul_f32_e32 v35, v2, v36
	s_waitcnt vmcnt(14)
	v_fmac_f32_e32 v35, v1, v37
	s_waitcnt vmcnt(13)
	v_fmac_f32_e32 v35, v3, v38
	;; [unrolled: 2-line block ×15, first 2 shown]
	ds_bpermute_b32 v34, v29, v35
	s_waitcnt lgkmcnt(0)
	v_add_f32_e32 v34, v35, v34
	ds_bpermute_b32 v35, v30, v34
	s_and_saveexec_b32 s4, vcc_lo
	s_cbranch_execz .LBB19_9
; %bb.11:                               ;   in Loop: Header=BB19_10 Depth=1
	v_add_nc_u32_e32 v36, s5, v31
	s_waitcnt lgkmcnt(0)
	v_add_f32_e32 v34, v34, v35
	v_cmp_gt_i32_e64 s3, s23, v31
	v_cvt_f32_i32_e32 v36, v36
	v_mul_f32_e32 v36, s34, v36
	v_cndmask_b32_e64 v35, 0, v36, s2
	v_max_f32_e32 v36, v25, v25
	v_fmac_f32_e32 v35, s31, v34
	v_max_f32_e32 v34, v36, v35
	v_cndmask_b32_e64 v35, 0, v35, s3
	v_cndmask_b32_e64 v25, v25, v34, s3
	ds_write_b32 v32, v35
	s_branch .LBB19_9
.LBB19_12:
	s_or_b32 exec_lo, exec_lo, s15
.LBB19_13:
	s_or_b32 exec_lo, exec_lo, s35
	v_xor_b32_e32 v1, 16, v20
	v_xor_b32_e32 v3, 8, v20
	v_max_f32_e32 v5, v25, v25
	v_cmp_lt_i32_e32 vcc_lo, v1, v26
	v_cndmask_b32_e32 v1, v20, v1, vcc_lo
	v_cmp_lt_i32_e32 vcc_lo, v3, v26
	v_lshlrev_b32_e32 v2, 2, v1
	v_cndmask_b32_e32 v3, v20, v3, vcc_lo
	ds_bpermute_b32 v1, v2, v25
	v_lshlrev_b32_e32 v4, 2, v3
	v_and_b32_e32 v25, 31, v0
	s_waitcnt lgkmcnt(0)
	v_max_f32_e32 v1, v1, v1
	v_max_f32_e32 v1, v5, v1
	v_xor_b32_e32 v5, 4, v20
	ds_bpermute_b32 v3, v4, v1
	v_cmp_lt_i32_e32 vcc_lo, v5, v26
	v_cndmask_b32_e32 v5, v20, v5, vcc_lo
	v_cmp_eq_u32_e32 vcc_lo, 0, v25
	v_lshlrev_b32_e32 v7, 2, v5
	v_lshlrev_b32_e32 v5, 2, v24
	s_waitcnt lgkmcnt(0)
	v_max_f32_e32 v3, v3, v3
	v_max_f32_e32 v1, v1, v3
	ds_bpermute_b32 v3, v7, v1
	s_and_saveexec_b32 s2, vcc_lo
	s_cbranch_execz .LBB19_15
; %bb.14:
	s_waitcnt lgkmcnt(0)
	v_max_f32_e32 v3, v3, v3
	v_max_f32_e32 v1, v1, v1
	;; [unrolled: 1-line block ×3, first 2 shown]
	ds_write_b32 v5, v1 offset:256
.LBB19_15:
	s_or_b32 exec_lo, exec_lo, s2
	v_cmp_gt_u32_e64 s2, 4, v25
	v_mov_b32_e32 v1, 0xff7fffff
	v_lshlrev_b32_e32 v6, 2, v25
	s_waitcnt lgkmcnt(0)
	s_barrier
	buffer_gl0_inv
	s_and_saveexec_b32 s3, s2
; %bb.16:
	ds_read_b32 v1, v6 offset:256
; %bb.17:
	s_or_b32 exec_lo, exec_lo, s3
	v_xor_b32_e32 v3, 2, v20
	v_xor_b32_e32 v9, 1, v20
	v_cmp_lt_i32_e64 s3, v3, v26
	v_cndmask_b32_e64 v3, v20, v3, s3
	v_cmp_lt_i32_e64 s3, v9, v26
	v_lshlrev_b32_e32 v8, 2, v3
	v_cndmask_b32_e64 v9, v20, v9, s3
	s_sub_i32 s3, s11, s12
	s_lshl_b32 s3, s3, 3
	s_waitcnt lgkmcnt(0)
	ds_bpermute_b32 v3, v8, v1
	v_max_f32_e32 v1, v1, v1
	v_lshlrev_b32_e32 v26, 2, v9
	s_add_i32 s3, s3, s33
	v_mov_b32_e32 v9, 0
	s_min_i32 s3, s3, s23
	s_sub_i32 s5, s3, s33
	v_cmp_gt_i32_e64 s3, s5, v0
	s_waitcnt lgkmcnt(0)
	v_max_f32_e32 v3, v3, v3
	v_max_f32_e32 v1, v1, v3
	ds_bpermute_b32 v3, v26, v1
	s_waitcnt lgkmcnt(0)
	v_max_f32_e32 v3, v3, v3
	v_max_f32_e32 v1, v1, v3
	v_lshlrev_b32_e32 v3, 2, v23
	ds_bpermute_b32 v1, v3, v1
	v_lshl_add_u32 v3, v0, 2, 0x120
	s_and_saveexec_b32 s15, s3
	s_cbranch_execz .LBB19_21
; %bb.18:
	v_lshl_add_u32 v10, v0, 2, 0x120
	v_mov_b32_e32 v9, 0
	v_mov_b32_e32 v11, v0
	s_mov_b32 s31, 0
	.p2align	6
.LBB19_19:                              ; =>This Inner Loop Header: Depth=1
	ds_read_b32 v12, v10
	v_add_nc_u32_e32 v11, 0x80, v11
	v_cmp_le_i32_e64 s4, s5, v11
	s_or_b32 s31, s4, s31
	s_waitcnt lgkmcnt(0)
	v_sub_f32_e32 v12, v12, v1
	v_mul_f32_e32 v12, 0x3fb8aa3b, v12
	v_exp_f32_e32 v12, v12
	ds_write_b32 v10, v12
	v_add_f32_e32 v9, v9, v12
	v_add_nc_u32_e32 v10, 0x200, v10
	s_andn2_b32 exec_lo, exec_lo, s31
	s_cbranch_execnz .LBB19_19
; %bb.20:
	s_or_b32 exec_lo, exec_lo, s31
.LBB19_21:
	s_or_b32 exec_lo, exec_lo, s15
	ds_bpermute_b32 v2, v2, v9
	s_waitcnt lgkmcnt(0)
	v_add_f32_e32 v2, v9, v2
	ds_bpermute_b32 v4, v4, v2
	s_waitcnt lgkmcnt(0)
	v_add_f32_e32 v2, v2, v4
	;; [unrolled: 3-line block ×5, first 2 shown]
	s_and_saveexec_b32 s4, vcc_lo
; %bb.22:
	ds_write_b32 v5, v2 offset:272
; %bb.23:
	s_or_b32 exec_lo, exec_lo, s4
	s_waitcnt lgkmcnt(0)
	s_barrier
	buffer_gl0_inv
	s_and_saveexec_b32 s4, s2
; %bb.24:
	ds_read_b32 v2, v6 offset:272
; %bb.25:
	s_or_b32 exec_lo, exec_lo, s4
	s_waitcnt lgkmcnt(0)
	ds_bpermute_b32 v4, v8, v2
	v_lshlrev_b32_e32 v5, 2, v20
	s_waitcnt lgkmcnt(0)
	v_add_f32_e32 v2, v2, v4
	ds_bpermute_b32 v4, v26, v2
	s_waitcnt lgkmcnt(0)
	v_add_f32_e32 v2, v2, v4
	v_and_b32_e32 v4, 0xffffff80, v5
	ds_bpermute_b32 v2, v4, v2
	s_and_saveexec_b32 s2, s3
	s_cbranch_execz .LBB19_28
; %bb.26:
	s_waitcnt lgkmcnt(0)
	v_add_f32_e32 v4, 0x358637bd, v2
	s_mov_b32 s3, 0
	v_div_scale_f32 v5, null, v4, v4, 1.0
	v_div_scale_f32 v8, vcc_lo, 1.0, v4, 1.0
	v_rcp_f32_e32 v6, v5
	v_fma_f32 v7, -v5, v6, 1.0
	v_fmac_f32_e32 v6, v7, v6
	v_mul_f32_e32 v7, v8, v6
	v_fma_f32 v9, -v5, v7, v8
	v_fmac_f32_e32 v7, v9, v6
	v_fma_f32 v5, -v5, v7, v8
	v_div_fmas_f32 v5, v5, v6, v7
	v_div_fixup_f32 v4, v5, v4, 1.0
	v_mov_b32_e32 v5, v0
.LBB19_27:                              ; =>This Inner Loop Header: Depth=1
	ds_read_b32 v6, v3
	v_add_nc_u32_e32 v5, 0x80, v5
	v_cmp_le_i32_e32 vcc_lo, s5, v5
	s_or_b32 s3, vcc_lo, s3
	s_waitcnt lgkmcnt(0)
	v_mul_f32_e32 v6, v4, v6
	ds_write_b32 v3, v6
	v_add_nc_u32_e32 v3, 0x200, v3
	s_andn2_b32 exec_lo, exec_lo, s3
	s_cbranch_execnz .LBB19_27
.LBB19_28:
	s_or_b32 exec_lo, exec_lo, s2
	s_mul_i32 s2, s7, s22
	s_mov_b32 s4, exec_lo
	s_mul_i32 s2, s2, s9
	s_waitcnt lgkmcnt(0)
	s_barrier
	buffer_gl0_inv
	v_cmpx_eq_u32_e32 0, v0
	s_cbranch_execz .LBB19_30
; %bb.29:
	s_ashr_i32 s3, s2, 31
	s_mul_i32 s36, s7, s6
	s_lshl_b64 s[34:35], s[2:3], 2
	v_mov_b32_e32 v3, 0
	s_add_u32 s3, s18, s34
	s_addc_u32 s5, s19, s35
	s_ashr_i32 s37, s36, 31
	s_lshl_b64 s[18:19], s[36:37], 2
	s_add_u32 s3, s3, s18
	s_addc_u32 s5, s5, s19
	s_ashr_i32 s9, s8, 31
	s_lshl_b64 s[8:9], s[8:9], 2
	s_add_u32 s36, s3, s8
	s_addc_u32 s37, s5, s9
	s_add_u32 s3, s16, s34
	s_addc_u32 s5, s17, s35
	;; [unrolled: 2-line block ×4, first 2 shown]
	global_store_dword v3, v1, s[36:37]
	global_store_dword v3, v2, s[8:9]
.LBB19_30:
	s_or_b32 exec_lo, exec_lo, s4
	v_mov_b32_e32 v29, 0
	v_and_b32_e32 v27, 1, v0
	v_mov_b32_e32 v31, 0
	v_mov_b32_e32 v30, 0
	;; [unrolled: 1-line block ×3, first 2 shown]
	s_and_saveexec_b32 s3, s1
	s_cbranch_execz .LBB19_42
; %bb.31:
	v_lshlrev_b32_e32 v2, 4, v0
	s_ashr_i32 s15, s14, 31
	v_and_b32_e32 v1, 4, v19
	v_lshl_add_u32 v4, v24, 3, s33
	s_lshl_b64 s[4:5], s[14:15], 2
	v_and_b32_e32 v2, 0x1f0, v2
	s_add_u32 s1, s28, s4
	v_lshlrev_b32_e32 v3, 4, v27
	s_addc_u32 s4, s29, s5
	v_add3_u32 v34, v4, v1, 3
	v_add_co_u32 v32, s1, s1, v2
	v_lshlrev_b64 v[1:2], 2, v[21:22]
	v_add_co_ci_u32_e64 v33, null, s4, 0, s1
	s_lshl_b64 s[4:5], s[26:27], 2
	s_add_i32 s30, s30, -1
	v_lshl_or_b32 v3, v24, 5, v3
	s_add_u32 s1, s24, s4
	s_addc_u32 s4, s25, s5
	v_add_co_u32 v22, vcc_lo, s1, v1
	v_mov_b32_e32 v28, 0
	v_add_nc_u32_e32 v35, 0x120, v3
	v_add_co_ci_u32_e64 v23, null, s4, v2, vcc_lo
	v_mov_b32_e32 v30, 0
	v_mov_b32_e32 v31, 0
	;; [unrolled: 1-line block ×3, first 2 shown]
	s_mov_b32 s5, s13
	s_mov_b32 s4, 0
	s_branch .LBB19_33
.LBB19_32:                              ;   in Loop: Header=BB19_33 Depth=1
	s_or_b32 exec_lo, exec_lo, s1
	s_waitcnt vmcnt(1) lgkmcnt(0)
	v_mul_f32_e32 v13, v1, v13
	v_mul_f32_e32 v9, v1, v9
	;; [unrolled: 1-line block ×3, first 2 shown]
	s_waitcnt vmcnt(0)
	v_mul_f32_e32 v1, v1, v17
	v_add_nc_u32_e32 v21, 4, v21
	v_fmac_f32_e32 v13, v2, v14
	v_fmac_f32_e32 v9, v2, v10
	;; [unrolled: 1-line block ×4, first 2 shown]
	v_cmp_le_i32_e32 vcc_lo, s11, v21
	v_fmac_f32_e32 v13, v3, v15
	v_fmac_f32_e32 v9, v3, v11
	v_fmac_f32_e32 v5, v3, v7
	v_fmac_f32_e32 v1, v3, v19
	v_add_co_u32 v22, s1, v22, 16
	v_fmac_f32_e32 v13, v4, v16
	v_fmac_f32_e32 v9, v4, v12
	;; [unrolled: 1-line block ×4, first 2 shown]
	v_add_nc_u32_e32 v34, 32, v34
	v_add_f32_e32 v30, v30, v13
	v_add_f32_e32 v31, v31, v9
	;; [unrolled: 1-line block ×4, first 2 shown]
	v_add_nc_u32_e32 v35, 0x80, v35
	v_add_co_ci_u32_e64 v23, null, 0, v23, s1
	s_or_b32 s4, vcc_lo, s4
	s_andn2_b32 exec_lo, exec_lo, s4
	s_cbranch_execz .LBB19_41
.LBB19_33:                              ; =>This Inner Loop Header: Depth=1
	global_load_dword v1, v[22:23], off
	v_add_nc_u32_e32 v36, -3, v34
	v_add_nc_u32_e32 v38, -2, v34
	v_add_nc_u32_e32 v37, -1, v34
	s_waitcnt vmcnt(0)
	v_mad_i64_i32 v[1:2], null, v1, s5, 0
	v_lshlrev_b64 v[1:2], 2, v[1:2]
	v_add_co_u32 v17, vcc_lo, v32, v1
	v_add_co_ci_u32_e64 v18, null, v33, v2, vcc_lo
	ds_read_b128 v[1:4], v35
	v_cmp_eq_u32_e32 vcc_lo, s30, v21
	global_load_dwordx4 v[5:8], v[17:18], off
	s_and_saveexec_b32 s6, vcc_lo
	s_cbranch_execnz .LBB19_37
; %bb.34:                               ;   in Loop: Header=BB19_33 Depth=1
	s_or_b32 exec_lo, exec_lo, s6
	global_load_dwordx4 v[9:12], v[17:18], off offset:512
	s_and_saveexec_b32 s6, vcc_lo
	s_cbranch_execnz .LBB19_38
.LBB19_35:                              ;   in Loop: Header=BB19_33 Depth=1
	s_or_b32 exec_lo, exec_lo, s6
	global_load_dwordx4 v[13:16], v[17:18], off offset:1024
	s_and_saveexec_b32 s6, vcc_lo
	s_cbranch_execnz .LBB19_39
.LBB19_36:                              ;   in Loop: Header=BB19_33 Depth=1
	s_or_b32 exec_lo, exec_lo, s6
	global_load_dwordx4 v[17:20], v[17:18], off offset:1536
	s_and_saveexec_b32 s1, vcc_lo
	s_cbranch_execz .LBB19_32
	s_branch .LBB19_40
.LBB19_37:                              ;   in Loop: Header=BB19_33 Depth=1
	v_cmp_gt_i32_e64 s1, s23, v36
	s_waitcnt vmcnt(0)
	v_cndmask_b32_e64 v5, 0, v5, s1
	v_cmp_gt_i32_e64 s1, s23, v38
	v_cndmask_b32_e64 v6, 0, v6, s1
	v_cmp_gt_i32_e64 s1, s23, v37
	;; [unrolled: 2-line block ×3, first 2 shown]
	v_cndmask_b32_e64 v8, 0, v8, s1
	s_or_b32 exec_lo, exec_lo, s6
	global_load_dwordx4 v[9:12], v[17:18], off offset:512
	s_and_saveexec_b32 s6, vcc_lo
	s_cbranch_execz .LBB19_35
.LBB19_38:                              ;   in Loop: Header=BB19_33 Depth=1
	v_cmp_gt_i32_e64 s1, s23, v36
	s_waitcnt vmcnt(0)
	v_cndmask_b32_e64 v9, 0, v9, s1
	v_cmp_gt_i32_e64 s1, s23, v38
	v_cndmask_b32_e64 v10, 0, v10, s1
	v_cmp_gt_i32_e64 s1, s23, v37
	;; [unrolled: 2-line block ×3, first 2 shown]
	v_cndmask_b32_e64 v12, 0, v12, s1
	s_or_b32 exec_lo, exec_lo, s6
	global_load_dwordx4 v[13:16], v[17:18], off offset:1024
	s_and_saveexec_b32 s6, vcc_lo
	s_cbranch_execz .LBB19_36
.LBB19_39:                              ;   in Loop: Header=BB19_33 Depth=1
	v_cmp_gt_i32_e64 s1, s23, v36
	s_waitcnt vmcnt(0)
	v_cndmask_b32_e64 v13, 0, v13, s1
	v_cmp_gt_i32_e64 s1, s23, v38
	v_cndmask_b32_e64 v14, 0, v14, s1
	v_cmp_gt_i32_e64 s1, s23, v37
	;; [unrolled: 2-line block ×3, first 2 shown]
	v_cndmask_b32_e64 v16, 0, v16, s1
	s_or_b32 exec_lo, exec_lo, s6
	global_load_dwordx4 v[17:20], v[17:18], off offset:1536
	s_and_saveexec_b32 s1, vcc_lo
	s_cbranch_execz .LBB19_32
.LBB19_40:                              ;   in Loop: Header=BB19_33 Depth=1
	v_cmp_gt_i32_e32 vcc_lo, s23, v36
	s_waitcnt vmcnt(0)
	v_cndmask_b32_e32 v17, 0, v17, vcc_lo
	v_cmp_gt_i32_e32 vcc_lo, s23, v38
	v_cndmask_b32_e32 v18, 0, v18, vcc_lo
	v_cmp_gt_i32_e32 vcc_lo, s23, v37
	;; [unrolled: 2-line block ×3, first 2 shown]
	v_cndmask_b32_e32 v20, 0, v20, vcc_lo
	s_branch .LBB19_32
.LBB19_41:
	s_or_b32 exec_lo, exec_lo, s4
.LBB19_42:
	s_or_b32 exec_lo, exec_lo, s3
	ds_bpermute_b32 v1, v26, v29
	ds_bpermute_b32 v2, v26, v31
	;; [unrolled: 1-line block ×4, first 2 shown]
	v_lshrrev_b32_e32 v5, 1, v25
	v_lshlrev_b32_e32 v7, 8, v24
	v_and_b32_e32 v8, 0x3c1, v0
	s_mov_b32 s1, exec_lo
	s_waitcnt lgkmcnt(0)
	s_waitcnt_vscnt null, 0x0
	v_lshl_add_u32 v6, v5, 2, 0x120
	s_barrier
	buffer_gl0_inv
	v_add_f32_e32 v1, v29, v1
	v_add_f32_e32 v2, v31, v2
	;; [unrolled: 1-line block ×4, first 2 shown]
	v_cmpx_eq_u32_e32 64, v8
	s_cbranch_execz .LBB19_44
; %bb.43:
	v_add_nc_u32_e32 v8, v6, v7
	v_add_nc_u32_e32 v9, 0xfffffe00, v8
	;; [unrolled: 1-line block ×5, first 2 shown]
	ds_write_b32 v9, v1
	ds_write_b32 v10, v2
	;; [unrolled: 1-line block ×4, first 2 shown]
.LBB19_44:
	s_or_b32 exec_lo, exec_lo, s1
	v_lshlrev_b32_e32 v5, 2, v5
	v_cmp_eq_u32_e32 vcc_lo, 0, v27
	s_waitcnt lgkmcnt(0)
	s_barrier
	buffer_gl0_inv
	v_add3_u32 v5, 0x120, v7, v5
	s_and_saveexec_b32 s1, s0
	s_cbranch_execz .LBB19_51
; %bb.45:
	s_and_saveexec_b32 s0, vcc_lo
	s_cbranch_execnz .LBB19_63
; %bb.46:
	s_or_b32 exec_lo, exec_lo, s0
	s_and_saveexec_b32 s0, vcc_lo
	s_cbranch_execnz .LBB19_64
.LBB19_47:
	s_or_b32 exec_lo, exec_lo, s0
	s_and_saveexec_b32 s0, vcc_lo
	s_cbranch_execnz .LBB19_65
.LBB19_48:
	s_or_b32 exec_lo, exec_lo, s0
	s_and_saveexec_b32 s0, vcc_lo
	s_cbranch_execz .LBB19_50
.LBB19_49:
	ds_read_b32 v7, v5 offset:192
	s_waitcnt lgkmcnt(0)
	v_add_f32_e32 v4, v4, v7
.LBB19_50:
	s_or_b32 exec_lo, exec_lo, s0
.LBB19_51:
	s_or_b32 exec_lo, exec_lo, s1
	v_and_b32_e32 v7, 0x3e1, v0
	s_mov_b32 s1, exec_lo
	s_barrier
	buffer_gl0_inv
	v_cmpx_eq_u32_e32 32, v7
	s_cbranch_execz .LBB19_53
; %bb.52:
	ds_write2_b32 v6, v1, v2 offset1:16
	ds_write2_b32 v6, v3, v4 offset0:32 offset1:48
.LBB19_53:
	s_or_b32 exec_lo, exec_lo, s1
	s_mov_b32 s1, exec_lo
	s_waitcnt lgkmcnt(0)
	s_barrier
	buffer_gl0_inv
	v_cmpx_gt_u32_e32 32, v0
	s_cbranch_execz .LBB19_60
; %bb.54:
	s_and_saveexec_b32 s0, vcc_lo
	s_cbranch_execnz .LBB19_66
; %bb.55:
	s_or_b32 exec_lo, exec_lo, s0
	s_and_saveexec_b32 s0, vcc_lo
	s_cbranch_execnz .LBB19_67
.LBB19_56:
	s_or_b32 exec_lo, exec_lo, s0
	s_and_saveexec_b32 s0, vcc_lo
	s_cbranch_execnz .LBB19_68
.LBB19_57:
	s_or_b32 exec_lo, exec_lo, s0
	s_and_saveexec_b32 s0, vcc_lo
	s_cbranch_execz .LBB19_59
.LBB19_58:
	ds_read_b32 v5, v5 offset:192
	s_waitcnt lgkmcnt(0)
	v_add_f32_e32 v4, v4, v5
.LBB19_59:
	s_or_b32 exec_lo, exec_lo, s0
.LBB19_60:
	s_or_b32 exec_lo, exec_lo, s1
	s_barrier
	buffer_gl0_inv
	s_mov_b32 s0, exec_lo
	v_cmpx_eq_u32_e32 0, v7
	s_cbranch_execz .LBB19_62
; %bb.61:
	s_lshl_b32 s0, s2, 6
	s_mul_i32 s2, s7, s10
	s_ashr_i32 s1, s0, 31
	v_lshlrev_b32_e32 v0, 1, v0
	s_lshl_b64 s[0:1], s[0:1], 2
	s_add_u32 s4, s20, s0
	s_addc_u32 s5, s21, s1
	s_ashr_i32 s3, s2, 31
	s_lshl_b64 s[0:1], s[2:3], 2
	s_add_u32 s2, s4, s0
	s_addc_u32 s3, s5, s1
	s_ashr_i32 s13, s12, 31
	s_lshl_b64 s[0:1], s[12:13], 2
	s_add_u32 s0, s2, s0
	s_addc_u32 s1, s3, s1
	global_store_dword v0, v1, s[0:1]
	global_store_dword v0, v2, s[0:1] offset:64
	global_store_dword v0, v3, s[0:1] offset:128
	;; [unrolled: 1-line block ×3, first 2 shown]
.LBB19_62:
	s_endpgm
.LBB19_63:
	ds_read_b32 v7, v5
	s_waitcnt lgkmcnt(0)
	v_add_f32_e32 v1, v1, v7
	s_or_b32 exec_lo, exec_lo, s0
	s_and_saveexec_b32 s0, vcc_lo
	s_cbranch_execz .LBB19_47
.LBB19_64:
	ds_read_b32 v7, v5 offset:64
	s_waitcnt lgkmcnt(0)
	v_add_f32_e32 v2, v2, v7
	s_or_b32 exec_lo, exec_lo, s0
	s_and_saveexec_b32 s0, vcc_lo
	s_cbranch_execz .LBB19_48
.LBB19_65:
	ds_read_b32 v7, v5 offset:128
	s_waitcnt lgkmcnt(0)
	v_add_f32_e32 v3, v3, v7
	s_or_b32 exec_lo, exec_lo, s0
	s_and_saveexec_b32 s0, vcc_lo
	s_cbranch_execnz .LBB19_49
	s_branch .LBB19_50
.LBB19_66:
	ds_read_b32 v6, v5
	s_waitcnt lgkmcnt(0)
	v_add_f32_e32 v1, v1, v6
	s_or_b32 exec_lo, exec_lo, s0
	s_and_saveexec_b32 s0, vcc_lo
	s_cbranch_execz .LBB19_56
.LBB19_67:
	ds_read_b32 v6, v5 offset:64
	s_waitcnt lgkmcnt(0)
	v_add_f32_e32 v2, v2, v6
	s_or_b32 exec_lo, exec_lo, s0
	s_and_saveexec_b32 s0, vcc_lo
	s_cbranch_execz .LBB19_57
.LBB19_68:
	ds_read_b32 v6, v5 offset:128
	s_waitcnt lgkmcnt(0)
	v_add_f32_e32 v3, v3, v6
	s_or_b32 exec_lo, exec_lo, s0
	s_and_saveexec_b32 s0, vcc_lo
	s_cbranch_execnz .LBB19_58
	s_branch .LBB19_59
	.section	.rodata,"a",@progbits
	.p2align	6, 0x0
	.amdhsa_kernel _ZN4vllm25paged_attention_v2_kernelIffLi64ELi8ELi128ELNS_18Fp8KVCacheDataTypeE0ELb0ELi512EEEvPfS2_PT_PKS3_PKT0_S9_ifPKiSB_iPKfiiiSD_SD_iiiii
		.amdhsa_group_segment_fixed_size 288
		.amdhsa_private_segment_fixed_size 0
		.amdhsa_kernarg_size 400
		.amdhsa_user_sgpr_count 6
		.amdhsa_user_sgpr_private_segment_buffer 1
		.amdhsa_user_sgpr_dispatch_ptr 0
		.amdhsa_user_sgpr_queue_ptr 0
		.amdhsa_user_sgpr_kernarg_segment_ptr 1
		.amdhsa_user_sgpr_dispatch_id 0
		.amdhsa_user_sgpr_flat_scratch_init 0
		.amdhsa_user_sgpr_private_segment_size 0
		.amdhsa_wavefront_size32 1
		.amdhsa_uses_dynamic_stack 0
		.amdhsa_system_sgpr_private_segment_wavefront_offset 0
		.amdhsa_system_sgpr_workgroup_id_x 1
		.amdhsa_system_sgpr_workgroup_id_y 1
		.amdhsa_system_sgpr_workgroup_id_z 1
		.amdhsa_system_sgpr_workgroup_info 0
		.amdhsa_system_vgpr_workitem_id 0
		.amdhsa_next_free_vgpr 51
		.amdhsa_next_free_sgpr 38
		.amdhsa_reserve_vcc 1
		.amdhsa_reserve_flat_scratch 0
		.amdhsa_float_round_mode_32 0
		.amdhsa_float_round_mode_16_64 0
		.amdhsa_float_denorm_mode_32 3
		.amdhsa_float_denorm_mode_16_64 3
		.amdhsa_dx10_clamp 1
		.amdhsa_ieee_mode 1
		.amdhsa_fp16_overflow 0
		.amdhsa_workgroup_processor_mode 1
		.amdhsa_memory_ordered 1
		.amdhsa_forward_progress 1
		.amdhsa_shared_vgpr_count 0
		.amdhsa_exception_fp_ieee_invalid_op 0
		.amdhsa_exception_fp_denorm_src 0
		.amdhsa_exception_fp_ieee_div_zero 0
		.amdhsa_exception_fp_ieee_overflow 0
		.amdhsa_exception_fp_ieee_underflow 0
		.amdhsa_exception_fp_ieee_inexact 0
		.amdhsa_exception_int_div_zero 0
	.end_amdhsa_kernel
	.section	.text._ZN4vllm25paged_attention_v2_kernelIffLi64ELi8ELi128ELNS_18Fp8KVCacheDataTypeE0ELb0ELi512EEEvPfS2_PT_PKS3_PKT0_S9_ifPKiSB_iPKfiiiSD_SD_iiiii,"axG",@progbits,_ZN4vllm25paged_attention_v2_kernelIffLi64ELi8ELi128ELNS_18Fp8KVCacheDataTypeE0ELb0ELi512EEEvPfS2_PT_PKS3_PKT0_S9_ifPKiSB_iPKfiiiSD_SD_iiiii,comdat
.Lfunc_end19:
	.size	_ZN4vllm25paged_attention_v2_kernelIffLi64ELi8ELi128ELNS_18Fp8KVCacheDataTypeE0ELb0ELi512EEEvPfS2_PT_PKS3_PKT0_S9_ifPKiSB_iPKfiiiSD_SD_iiiii, .Lfunc_end19-_ZN4vllm25paged_attention_v2_kernelIffLi64ELi8ELi128ELNS_18Fp8KVCacheDataTypeE0ELb0ELi512EEEvPfS2_PT_PKS3_PKT0_S9_ifPKiSB_iPKfiiiSD_SD_iiiii
                                        ; -- End function
	.set _ZN4vllm25paged_attention_v2_kernelIffLi64ELi8ELi128ELNS_18Fp8KVCacheDataTypeE0ELb0ELi512EEEvPfS2_PT_PKS3_PKT0_S9_ifPKiSB_iPKfiiiSD_SD_iiiii.num_vgpr, 51
	.set _ZN4vllm25paged_attention_v2_kernelIffLi64ELi8ELi128ELNS_18Fp8KVCacheDataTypeE0ELb0ELi512EEEvPfS2_PT_PKS3_PKT0_S9_ifPKiSB_iPKfiiiSD_SD_iiiii.num_agpr, 0
	.set _ZN4vllm25paged_attention_v2_kernelIffLi64ELi8ELi128ELNS_18Fp8KVCacheDataTypeE0ELb0ELi512EEEvPfS2_PT_PKS3_PKT0_S9_ifPKiSB_iPKfiiiSD_SD_iiiii.numbered_sgpr, 38
	.set _ZN4vllm25paged_attention_v2_kernelIffLi64ELi8ELi128ELNS_18Fp8KVCacheDataTypeE0ELb0ELi512EEEvPfS2_PT_PKS3_PKT0_S9_ifPKiSB_iPKfiiiSD_SD_iiiii.num_named_barrier, 0
	.set _ZN4vllm25paged_attention_v2_kernelIffLi64ELi8ELi128ELNS_18Fp8KVCacheDataTypeE0ELb0ELi512EEEvPfS2_PT_PKS3_PKT0_S9_ifPKiSB_iPKfiiiSD_SD_iiiii.private_seg_size, 0
	.set _ZN4vllm25paged_attention_v2_kernelIffLi64ELi8ELi128ELNS_18Fp8KVCacheDataTypeE0ELb0ELi512EEEvPfS2_PT_PKS3_PKT0_S9_ifPKiSB_iPKfiiiSD_SD_iiiii.uses_vcc, 1
	.set _ZN4vllm25paged_attention_v2_kernelIffLi64ELi8ELi128ELNS_18Fp8KVCacheDataTypeE0ELb0ELi512EEEvPfS2_PT_PKS3_PKT0_S9_ifPKiSB_iPKfiiiSD_SD_iiiii.uses_flat_scratch, 0
	.set _ZN4vllm25paged_attention_v2_kernelIffLi64ELi8ELi128ELNS_18Fp8KVCacheDataTypeE0ELb0ELi512EEEvPfS2_PT_PKS3_PKT0_S9_ifPKiSB_iPKfiiiSD_SD_iiiii.has_dyn_sized_stack, 0
	.set _ZN4vllm25paged_attention_v2_kernelIffLi64ELi8ELi128ELNS_18Fp8KVCacheDataTypeE0ELb0ELi512EEEvPfS2_PT_PKS3_PKT0_S9_ifPKiSB_iPKfiiiSD_SD_iiiii.has_recursion, 0
	.set _ZN4vllm25paged_attention_v2_kernelIffLi64ELi8ELi128ELNS_18Fp8KVCacheDataTypeE0ELb0ELi512EEEvPfS2_PT_PKS3_PKT0_S9_ifPKiSB_iPKfiiiSD_SD_iiiii.has_indirect_call, 0
	.section	.AMDGPU.csdata,"",@progbits
; Kernel info:
; codeLenInByte = 3872
; TotalNumSgprs: 40
; NumVgprs: 51
; ScratchSize: 0
; MemoryBound: 0
; FloatMode: 240
; IeeeMode: 1
; LDSByteSize: 288 bytes/workgroup (compile time only)
; SGPRBlocks: 0
; VGPRBlocks: 6
; NumSGPRsForWavesPerEU: 40
; NumVGPRsForWavesPerEU: 51
; Occupancy: 16
; WaveLimiterHint : 1
; COMPUTE_PGM_RSRC2:SCRATCH_EN: 0
; COMPUTE_PGM_RSRC2:USER_SGPR: 6
; COMPUTE_PGM_RSRC2:TRAP_HANDLER: 0
; COMPUTE_PGM_RSRC2:TGID_X_EN: 1
; COMPUTE_PGM_RSRC2:TGID_Y_EN: 1
; COMPUTE_PGM_RSRC2:TGID_Z_EN: 1
; COMPUTE_PGM_RSRC2:TIDIG_COMP_CNT: 0
	.section	.text._ZN4vllm25paged_attention_v2_kernelIffLi80ELi8ELi128ELNS_18Fp8KVCacheDataTypeE0ELb0ELi512EEEvPfS2_PT_PKS3_PKT0_S9_ifPKiSB_iPKfiiiSD_SD_iiiii,"axG",@progbits,_ZN4vllm25paged_attention_v2_kernelIffLi80ELi8ELi128ELNS_18Fp8KVCacheDataTypeE0ELb0ELi512EEEvPfS2_PT_PKS3_PKT0_S9_ifPKiSB_iPKfiiiSD_SD_iiiii,comdat
	.protected	_ZN4vllm25paged_attention_v2_kernelIffLi80ELi8ELi128ELNS_18Fp8KVCacheDataTypeE0ELb0ELi512EEEvPfS2_PT_PKS3_PKT0_S9_ifPKiSB_iPKfiiiSD_SD_iiiii ; -- Begin function _ZN4vllm25paged_attention_v2_kernelIffLi80ELi8ELi128ELNS_18Fp8KVCacheDataTypeE0ELb0ELi512EEEvPfS2_PT_PKS3_PKT0_S9_ifPKiSB_iPKfiiiSD_SD_iiiii
	.globl	_ZN4vllm25paged_attention_v2_kernelIffLi80ELi8ELi128ELNS_18Fp8KVCacheDataTypeE0ELb0ELi512EEEvPfS2_PT_PKS3_PKT0_S9_ifPKiSB_iPKfiiiSD_SD_iiiii
	.p2align	8
	.type	_ZN4vllm25paged_attention_v2_kernelIffLi80ELi8ELi128ELNS_18Fp8KVCacheDataTypeE0ELb0ELi512EEEvPfS2_PT_PKS3_PKT0_S9_ifPKiSB_iPKfiiiSD_SD_iiiii,@function
_ZN4vllm25paged_attention_v2_kernelIffLi80ELi8ELi128ELNS_18Fp8KVCacheDataTypeE0ELb0ELi512EEEvPfS2_PT_PKS3_PKT0_S9_ifPKiSB_iPKfiiiSD_SD_iiiii: ; @_ZN4vllm25paged_attention_v2_kernelIffLi80ELi8ELi128ELNS_18Fp8KVCacheDataTypeE0ELb0ELi512EEEvPfS2_PT_PKS3_PKT0_S9_ifPKiSB_iPKfiiiSD_SD_iiiii
; %bb.0:
	s_load_dwordx2 s[0:1], s[4:5], 0x40
	s_mov_b32 s22, s7
	s_ashr_i32 s23, s7, 31
	s_lshl_b64 s[2:3], s[22:23], 2
	s_waitcnt lgkmcnt(0)
	s_add_u32 s0, s0, s2
	s_addc_u32 s1, s1, s3
	s_lshl_b32 s33, s8, 9
	s_load_dword s23, s[0:1], 0x0
	s_waitcnt lgkmcnt(0)
	s_cmp_ge_i32 s33, s23
	s_cbranch_scc1 .LBB20_66
; %bb.1:
	s_clause 0x1
	s_load_dword s9, s[4:5], 0x90
	s_load_dwordx2 s[30:31], s[4:5], 0x30
	s_mov_b32 s34, 0
	s_waitcnt lgkmcnt(0)
	s_abs_i32 s3, s9
	s_abs_i32 s0, s30
	v_cvt_f32_u32_e32 v1, s0
	s_sub_i32 s2, 0, s0
	v_rcp_iflag_f32_e32 v1, v1
	v_mul_f32_e32 v1, 0x4f7ffffe, v1
	v_cvt_u32_f32_e32 v1, v1
	v_readfirstlane_b32 s1, v1
	s_mul_i32 s2, s2, s1
	s_mul_hi_u32 s2, s1, s2
	s_add_i32 s1, s1, s2
	s_xor_b32 s2, s9, s30
	s_mul_hi_u32 s1, s3, s1
	s_ashr_i32 s2, s2, 31
	s_mul_i32 s7, s1, s0
	s_sub_i32 s3, s3, s7
	s_add_i32 s7, s1, 1
	s_sub_i32 s10, s3, s0
	s_cmp_ge_u32 s3, s0
	s_cselect_b32 s1, s7, s1
	s_cselect_b32 s3, s10, s3
	s_add_i32 s7, s1, 1
	s_cmp_ge_u32 s3, s0
	s_cselect_b32 s0, s7, s1
	s_abs_i32 s16, s6
	s_xor_b32 s0, s0, s2
	s_sub_i32 s10, s0, s2
	s_load_dwordx2 s[0:1], s[4:5], 0x50
	s_abs_i32 s2, s10
	v_cvt_f32_u32_e32 v1, s2
	s_sub_i32 s7, 0, s2
	v_rcp_iflag_f32_e32 v1, v1
	v_mul_f32_e32 v1, 0x4f7ffffe, v1
	v_cvt_u32_f32_e32 v1, v1
	v_readfirstlane_b32 s3, v1
	s_mul_i32 s7, s7, s3
	s_mul_hi_u32 s7, s3, s7
	s_add_i32 s3, s3, s7
	s_waitcnt lgkmcnt(0)
	s_cmp_eq_u64 s[0:1], 0
	s_mul_hi_u32 s3, s16, s3
	s_cbranch_scc1 .LBB20_3
; %bb.2:
	s_ashr_i32 s7, s6, 31
	s_lshl_b64 s[12:13], s[6:7], 2
	s_add_u32 s0, s0, s12
	s_addc_u32 s1, s1, s13
	s_load_dword s34, s[0:1], 0x0
.LBB20_3:
	s_load_dwordx4 s[12:15], s[4:5], 0x58
	v_and_b32_e32 v21, 3, v0
	v_lshlrev_b32_e32 v23, 2, v0
	s_ashr_i32 s0, s6, 31
	s_ashr_i32 s1, s10, 31
	s_mul_i32 s10, s6, 0x50
	s_mov_b32 s7, exec_lo
	v_cmpx_gt_u32_e32 0x50, v0
	s_cbranch_execz .LBB20_5
; %bb.4:
	s_load_dwordx2 s[18:19], s[4:5], 0x18
	s_waitcnt lgkmcnt(0)
	s_mul_i32 s20, s12, s22
	v_and_b32_e32 v2, 0x3fc, v0
	s_ashr_i32 s21, s20, 31
	s_lshl_b64 s[20:21], s[20:21], 2
	v_mad_u32_u24 v2, 0x50, v21, v2
	s_add_u32 s12, s18, s20
	s_addc_u32 s15, s19, s21
	s_ashr_i32 s11, s10, 31
	s_lshl_b64 s[18:19], s[10:11], 2
	s_add_u32 s18, s12, s18
	s_addc_u32 s19, s15, s19
	global_load_dword v1, v23, s[18:19]
	s_waitcnt vmcnt(0)
	ds_write_b32 v2, v1
.LBB20_5:
	s_or_b32 exec_lo, exec_lo, s7
	s_add_i32 s7, s23, 7
	s_load_dwordx2 s[24:25], s[4:5], 0x38
	s_waitcnt lgkmcnt(0)
	s_load_dword s15, s[4:5], 0x48
	s_ashr_i32 s11, s7, 31
	s_lshl_b32 s30, s8, 6
	s_lshr_b32 s11, s11, 29
	s_xor_b32 s0, s0, s1
	s_add_i32 s7, s7, s11
	s_add_i32 s1, s30, 64
	s_ashr_i32 s12, s7, 3
	s_mul_i32 s7, s3, s2
	s_min_i32 s11, s1, s12
	s_sub_i32 s1, s16, s7
	s_add_i32 s7, s3, 1
	s_sub_i32 s16, s1, s2
	s_cmp_ge_u32 s1, s2
	v_lshrrev_b32_e32 v28, 5, v0
	s_cselect_b32 s3, s7, s3
	s_cselect_b32 s1, s16, s1
	s_add_i32 s7, s3, 1
	s_cmp_ge_u32 s1, s2
	v_or_b32_e32 v25, s30, v28
	s_cselect_b32 s1, s7, s3
	v_mbcnt_lo_u32_b32 v24, -1, 0
	s_xor_b32 s1, s1, s0
	s_waitcnt lgkmcnt(0)
	s_mul_i32 s26, s15, s22
	s_sub_i32 s1, s1, s0
	v_cmp_gt_i32_e64 s0, s11, v25
	s_ashr_i32 s27, s26, 31
	s_mov_b32 s2, exec_lo
	s_barrier
	buffer_gl0_inv
                                        ; implicit-def: $vgpr27
                                        ; implicit-def: $vgpr30
	v_cmpx_le_i32_e64 s11, v25
	s_xor_b32 s2, exec_lo, s2
; %bb.6:
	v_mov_b32_e32 v27, 0
	v_mbcnt_lo_u32_b32 v24, -1, 0
	v_mov_b32_e32 v30, 32
                                        ; implicit-def: $vgpr21
; %bb.7:
	s_or_saveexec_b32 s35, s2
	s_clause 0x3
	s_load_dwordx4 s[16:19], s[4:5], 0x0
	s_load_dwordx2 s[20:21], s[4:5], 0x10
	s_load_dwordx2 s[28:29], s[4:5], 0x28
	s_load_dword s7, s[4:5], 0x98
	v_mov_b32_e32 v29, 0xff7fffff
	v_ashrrev_i32_e32 v26, 31, v25
	s_mul_i32 s14, s1, s14
	s_xor_b32 exec_lo, exec_lo, s35
	s_cbranch_execz .LBB20_13
; %bb.8:
	s_load_dwordx2 s[2:3], s[4:5], 0x20
	v_bfe_u32 v22, v0, 2, 3
	v_xor_b32_e32 v19, 2, v24
	s_ashr_i32 s15, s14, 31
	v_xor_b32_e32 v20, 1, v24
	s_lshl_b64 s[4:5], s[14:15], 2
	v_lshlrev_b32_e32 v30, 4, v22
	v_cmp_gt_i32_e32 vcc_lo, 32, v19
	v_mul_u32_u24_e32 v18, 0x50, v21
	v_lshlrev_b32_e32 v17, 2, v21
	ds_read_b128 v[1:4], v18
	ds_read_b128 v[5:8], v18 offset:16
	ds_read_b128 v[9:12], v18 offset:32
	;; [unrolled: 1-line block ×3, first 2 shown]
	v_cndmask_b32_e32 v33, v24, v19, vcc_lo
	v_cmp_gt_i32_e32 vcc_lo, 32, v20
	v_lshlrev_b32_e32 v35, 3, v28
	v_lshlrev_b32_e32 v29, 2, v22
	v_mov_b32_e32 v27, 0
	v_lshlrev_b32_e32 v33, 2, v33
	s_waitcnt lgkmcnt(0)
	s_add_u32 s1, s2, s4
	s_addc_u32 s2, s3, s5
	v_add_co_u32 v19, s1, s1, v30
	v_cndmask_b32_e32 v34, v24, v20, vcc_lo
	v_add_co_ci_u32_e64 v30, null, s2, 0, s1
	v_add_co_u32 v31, vcc_lo, v19, v17
	ds_read_b128 v[17:20], v18 offset:64
	v_add_co_ci_u32_e64 v32, null, 0, v30, vcc_lo
	v_cmp_eq_u32_e32 vcc_lo, 0, v21
	v_add3_u32 v35, s33, v35, v22
	v_lshlrev_b64 v[21:22], 2, v[25:26]
	s_lshl_b64 s[2:3], s[26:27], 2
	v_lshl_or_b32 v29, v28, 5, v29
	s_sub_i32 s4, 1, s23
	s_add_u32 s2, s24, s2
	s_addc_u32 s3, s25, s3
	v_add_co_u32 v21, s2, s2, v21
	v_mov_b32_e32 v30, 32
	v_lshlrev_b32_e32 v34, 2, v34
	v_cmp_neq_f32_e64 s1, s34, 0
	v_add_nc_u32_e32 v36, 0x160, v29
	v_add_co_ci_u32_e64 v22, null, s3, v22, s2
	v_mov_b32_e32 v29, 0xff7fffff
	v_mov_b32_e32 v37, v25
	s_mov_b32 s15, s13
	s_mov_b32 s5, 0
	s_branch .LBB20_10
.LBB20_9:                               ;   in Loop: Header=BB20_10 Depth=1
	s_or_b32 exec_lo, exec_lo, s3
	v_add_nc_u32_e32 v37, 4, v37
	v_add_co_u32 v21, s3, v21, 16
	v_add_nc_u32_e32 v35, 32, v35
	v_add_nc_u32_e32 v36, 0x80, v36
	v_cmp_le_i32_e64 s2, s11, v37
	v_add_co_ci_u32_e64 v22, null, 0, v22, s3
	s_or_b32 s5, s2, s5
	s_andn2_b32 exec_lo, exec_lo, s5
	s_cbranch_execz .LBB20_12
.LBB20_10:                              ; =>This Inner Loop Header: Depth=1
	global_load_dword v38, v[21:22], off
	s_waitcnt vmcnt(0) lgkmcnt(0)
	v_mad_i64_i32 v[38:39], null, v38, s15, 0
	v_lshlrev_b64 v[38:39], 2, v[38:39]
	v_add_co_u32 v38, s2, v31, v38
	v_add_co_ci_u32_e64 v39, null, v32, v39, s2
	s_clause 0xf
	global_load_dword v40, v[38:39], off offset:128
	global_load_dword v41, v[38:39], off
	global_load_dword v42, v[38:39], off offset:256
	global_load_dword v43, v[38:39], off offset:384
	;; [unrolled: 1-line block ×14, first 2 shown]
	v_add_co_u32 v38, s2, 0x800, v38
	v_add_co_ci_u32_e64 v39, null, 0, v39, s2
	s_clause 0x3
	global_load_dword v56, v[38:39], off
	global_load_dword v57, v[38:39], off offset:128
	global_load_dword v58, v[38:39], off offset:256
	global_load_dword v38, v[38:39], off offset:384
	s_waitcnt vmcnt(19)
	v_mul_f32_e32 v39, v2, v40
	s_waitcnt vmcnt(18)
	v_fmac_f32_e32 v39, v1, v41
	s_waitcnt vmcnt(17)
	v_fmac_f32_e32 v39, v3, v42
	s_waitcnt vmcnt(16)
	v_fmac_f32_e32 v39, v4, v43
	s_waitcnt vmcnt(15)
	v_fmac_f32_e32 v39, v5, v44
	s_waitcnt vmcnt(14)
	v_fmac_f32_e32 v39, v6, v45
	s_waitcnt vmcnt(13)
	v_fmac_f32_e32 v39, v7, v46
	s_waitcnt vmcnt(12)
	v_fmac_f32_e32 v39, v8, v47
	s_waitcnt vmcnt(11)
	v_fmac_f32_e32 v39, v9, v48
	s_waitcnt vmcnt(10)
	v_fmac_f32_e32 v39, v10, v49
	s_waitcnt vmcnt(9)
	v_fmac_f32_e32 v39, v11, v50
	s_waitcnt vmcnt(8)
	v_fmac_f32_e32 v39, v12, v51
	s_waitcnt vmcnt(7)
	v_fmac_f32_e32 v39, v13, v52
	s_waitcnt vmcnt(6)
	v_fmac_f32_e32 v39, v14, v53
	s_waitcnt vmcnt(5)
	v_fmac_f32_e32 v39, v15, v54
	s_waitcnt vmcnt(4)
	v_fmac_f32_e32 v39, v16, v55
	s_waitcnt vmcnt(3) lgkmcnt(0)
	v_fmac_f32_e32 v39, v17, v56
	s_waitcnt vmcnt(2)
	v_fmac_f32_e32 v39, v18, v57
	s_waitcnt vmcnt(1)
	;; [unrolled: 2-line block ×3, first 2 shown]
	v_fmac_f32_e32 v39, v20, v38
	ds_bpermute_b32 v38, v33, v39
	s_waitcnt lgkmcnt(0)
	v_add_f32_e32 v38, v39, v38
	ds_bpermute_b32 v39, v34, v38
	s_and_saveexec_b32 s3, vcc_lo
	s_cbranch_execz .LBB20_9
; %bb.11:                               ;   in Loop: Header=BB20_10 Depth=1
	v_add_nc_u32_e32 v40, s4, v35
	s_waitcnt lgkmcnt(0)
	v_add_f32_e32 v38, v38, v39
	v_cmp_gt_i32_e64 s2, s23, v35
	v_cvt_f32_i32_e32 v40, v40
	v_mul_f32_e32 v40, s34, v40
	v_cndmask_b32_e64 v39, 0, v40, s1
	v_max_f32_e32 v40, v29, v29
	v_fmac_f32_e32 v39, s31, v38
	v_max_f32_e32 v38, v40, v39
	v_cndmask_b32_e64 v39, 0, v39, s2
	v_cndmask_b32_e64 v29, v29, v38, s2
	ds_write_b32 v36, v39
	s_branch .LBB20_9
.LBB20_12:
	s_or_b32 exec_lo, exec_lo, s5
.LBB20_13:
	s_or_b32 exec_lo, exec_lo, s35
	v_xor_b32_e32 v1, 16, v24
	v_xor_b32_e32 v3, 8, v24
	v_max_f32_e32 v5, v29, v29
	v_cmp_lt_i32_e32 vcc_lo, v1, v30
	v_cndmask_b32_e32 v1, v24, v1, vcc_lo
	v_cmp_lt_i32_e32 vcc_lo, v3, v30
	v_lshlrev_b32_e32 v2, 2, v1
	v_cndmask_b32_e32 v3, v24, v3, vcc_lo
	ds_bpermute_b32 v1, v2, v29
	v_lshlrev_b32_e32 v4, 2, v3
	v_and_b32_e32 v29, 31, v0
	s_waitcnt lgkmcnt(0)
	v_max_f32_e32 v1, v1, v1
	v_max_f32_e32 v1, v5, v1
	v_xor_b32_e32 v5, 4, v24
	ds_bpermute_b32 v3, v4, v1
	v_cmp_lt_i32_e32 vcc_lo, v5, v30
	v_cndmask_b32_e32 v5, v24, v5, vcc_lo
	v_cmp_eq_u32_e32 vcc_lo, 0, v29
	v_lshlrev_b32_e32 v7, 2, v5
	v_lshlrev_b32_e32 v5, 2, v28
	s_waitcnt lgkmcnt(0)
	v_max_f32_e32 v3, v3, v3
	v_max_f32_e32 v1, v1, v3
	ds_bpermute_b32 v3, v7, v1
	s_and_saveexec_b32 s1, vcc_lo
	s_cbranch_execz .LBB20_15
; %bb.14:
	s_waitcnt lgkmcnt(0)
	v_max_f32_e32 v3, v3, v3
	v_max_f32_e32 v1, v1, v1
	;; [unrolled: 1-line block ×3, first 2 shown]
	ds_write_b32 v5, v1 offset:320
.LBB20_15:
	s_or_b32 exec_lo, exec_lo, s1
	v_cmp_gt_u32_e64 s1, 4, v29
	v_mov_b32_e32 v1, 0xff7fffff
	v_lshlrev_b32_e32 v6, 2, v29
	s_waitcnt lgkmcnt(0)
	s_barrier
	buffer_gl0_inv
	s_and_saveexec_b32 s2, s1
; %bb.16:
	ds_read_b32 v1, v6 offset:320
; %bb.17:
	s_or_b32 exec_lo, exec_lo, s2
	v_xor_b32_e32 v3, 2, v24
	v_xor_b32_e32 v9, 1, v24
	v_cmp_lt_i32_e64 s2, v3, v30
	v_cndmask_b32_e64 v3, v24, v3, s2
	v_cmp_lt_i32_e64 s2, v9, v30
	v_lshlrev_b32_e32 v8, 2, v3
	v_cndmask_b32_e64 v9, v24, v9, s2
	s_sub_i32 s2, s11, s30
	s_lshl_b32 s2, s2, 3
	s_waitcnt lgkmcnt(0)
	ds_bpermute_b32 v3, v8, v1
	v_max_f32_e32 v1, v1, v1
	v_lshlrev_b32_e32 v30, 2, v9
	s_add_i32 s2, s2, s33
	v_mov_b32_e32 v9, 0
	s_min_i32 s2, s2, s23
	s_sub_i32 s4, s2, s33
	v_cmp_gt_i32_e64 s2, s4, v0
	s_waitcnt lgkmcnt(0)
	v_max_f32_e32 v3, v3, v3
	v_max_f32_e32 v1, v1, v3
	ds_bpermute_b32 v3, v30, v1
	s_waitcnt lgkmcnt(0)
	v_max_f32_e32 v3, v3, v3
	v_max_f32_e32 v1, v1, v3
	v_lshlrev_b32_e32 v3, 2, v27
	ds_bpermute_b32 v1, v3, v1
	v_lshl_add_u32 v3, v0, 2, 0x160
	s_and_saveexec_b32 s5, s2
	s_cbranch_execz .LBB20_21
; %bb.18:
	v_lshl_add_u32 v10, v0, 2, 0x160
	v_mov_b32_e32 v9, 0
	v_mov_b32_e32 v11, v0
	s_mov_b32 s15, 0
	.p2align	6
.LBB20_19:                              ; =>This Inner Loop Header: Depth=1
	ds_read_b32 v12, v10
	v_add_nc_u32_e32 v11, 0x80, v11
	v_cmp_le_i32_e64 s3, s4, v11
	s_or_b32 s15, s3, s15
	s_waitcnt lgkmcnt(0)
	v_sub_f32_e32 v12, v12, v1
	v_mul_f32_e32 v12, 0x3fb8aa3b, v12
	v_exp_f32_e32 v12, v12
	ds_write_b32 v10, v12
	v_add_f32_e32 v9, v9, v12
	v_add_nc_u32_e32 v10, 0x200, v10
	s_andn2_b32 exec_lo, exec_lo, s15
	s_cbranch_execnz .LBB20_19
; %bb.20:
	s_or_b32 exec_lo, exec_lo, s15
.LBB20_21:
	s_or_b32 exec_lo, exec_lo, s5
	ds_bpermute_b32 v2, v2, v9
	s_waitcnt lgkmcnt(0)
	v_add_f32_e32 v2, v9, v2
	ds_bpermute_b32 v4, v4, v2
	s_waitcnt lgkmcnt(0)
	v_add_f32_e32 v2, v2, v4
	;; [unrolled: 3-line block ×5, first 2 shown]
	s_and_saveexec_b32 s3, vcc_lo
; %bb.22:
	ds_write_b32 v5, v2 offset:336
; %bb.23:
	s_or_b32 exec_lo, exec_lo, s3
	s_waitcnt lgkmcnt(0)
	s_barrier
	buffer_gl0_inv
	s_and_saveexec_b32 s3, s1
; %bb.24:
	ds_read_b32 v2, v6 offset:336
; %bb.25:
	s_or_b32 exec_lo, exec_lo, s3
	s_waitcnt lgkmcnt(0)
	ds_bpermute_b32 v4, v8, v2
	v_lshlrev_b32_e32 v5, 2, v24
	s_waitcnt lgkmcnt(0)
	v_add_f32_e32 v2, v2, v4
	ds_bpermute_b32 v4, v30, v2
	s_waitcnt lgkmcnt(0)
	v_add_f32_e32 v2, v2, v4
	v_and_b32_e32 v4, 0xffffff80, v5
	ds_bpermute_b32 v2, v4, v2
	s_and_saveexec_b32 s1, s2
	s_cbranch_execz .LBB20_28
; %bb.26:
	s_waitcnt lgkmcnt(0)
	v_add_f32_e32 v4, 0x358637bd, v2
	s_mov_b32 s2, 0
	v_div_scale_f32 v5, null, v4, v4, 1.0
	v_div_scale_f32 v8, vcc_lo, 1.0, v4, 1.0
	v_rcp_f32_e32 v6, v5
	v_fma_f32 v7, -v5, v6, 1.0
	v_fmac_f32_e32 v6, v7, v6
	v_mul_f32_e32 v7, v8, v6
	v_fma_f32 v9, -v5, v7, v8
	v_fmac_f32_e32 v7, v9, v6
	v_fma_f32 v5, -v5, v7, v8
	v_div_fmas_f32 v5, v5, v6, v7
	v_div_fixup_f32 v4, v5, v4, 1.0
	v_mov_b32_e32 v5, v0
.LBB20_27:                              ; =>This Inner Loop Header: Depth=1
	ds_read_b32 v6, v3
	v_add_nc_u32_e32 v5, 0x80, v5
	v_cmp_le_i32_e32 vcc_lo, s4, v5
	s_or_b32 s2, vcc_lo, s2
	s_waitcnt lgkmcnt(0)
	v_mul_f32_e32 v6, v4, v6
	ds_write_b32 v3, v6
	v_add_nc_u32_e32 v3, 0x200, v3
	s_andn2_b32 exec_lo, exec_lo, s2
	s_cbranch_execnz .LBB20_27
.LBB20_28:
	s_or_b32 exec_lo, exec_lo, s1
	s_mul_i32 s1, s7, s22
	s_waitcnt lgkmcnt(0)
	s_mul_i32 s2, s1, s9
	s_mov_b32 s1, exec_lo
	s_barrier
	buffer_gl0_inv
	v_cmpx_eq_u32_e32 0, v0
	s_cbranch_execz .LBB20_30
; %bb.29:
	s_ashr_i32 s3, s2, 31
	s_mul_i32 s30, s7, s6
	s_lshl_b64 s[4:5], s[2:3], 2
	v_mov_b32_e32 v3, 0
	s_add_u32 s3, s18, s4
	s_addc_u32 s6, s19, s5
	s_ashr_i32 s31, s30, 31
	s_lshl_b64 s[18:19], s[30:31], 2
	s_add_u32 s3, s3, s18
	s_addc_u32 s6, s6, s19
	s_ashr_i32 s9, s8, 31
	s_lshl_b64 s[30:31], s[8:9], 2
	s_add_u32 s34, s3, s30
	s_addc_u32 s35, s6, s31
	s_add_u32 s3, s16, s4
	s_addc_u32 s4, s17, s5
	;; [unrolled: 2-line block ×4, first 2 shown]
	global_store_dword v3, v1, s[34:35]
	global_store_dword v3, v2, s[4:5]
.LBB20_30:
	s_or_b32 exec_lo, exec_lo, s1
	v_mov_b32_e32 v34, 0
	v_and_b32_e32 v31, 1, v0
	v_mov_b32_e32 v36, 0
	v_mov_b32_e32 v35, 0
	;; [unrolled: 1-line block ×4, first 2 shown]
	s_and_saveexec_b32 s1, s0
	s_cbranch_execz .LBB20_44
; %bb.31:
	v_lshlrev_b32_e32 v2, 4, v0
	s_ashr_i32 s15, s14, 31
	v_and_b32_e32 v1, 4, v23
	v_lshl_add_u32 v4, v28, 3, s33
	s_lshl_b64 s[4:5], s[14:15], 2
	v_and_b32_e32 v2, 0x1f0, v2
	s_add_u32 s0, s28, s4
	v_lshlrev_b32_e32 v3, 4, v31
	v_add3_u32 v39, v4, v1, 3
	s_addc_u32 s3, s29, s5
	v_add_co_u32 v37, s0, s0, v2
	v_lshlrev_b64 v[1:2], 2, v[25:26]
	s_lshl_b64 s[4:5], s[26:27], 2
	s_add_i32 s12, s12, -1
	v_lshl_or_b32 v3, v28, 5, v3
	v_add_co_ci_u32_e64 v38, null, s3, 0, s0
	s_add_u32 s0, s24, s4
	s_addc_u32 s3, s25, s5
	v_add_co_u32 v26, vcc_lo, s0, v1
	v_mov_b32_e32 v32, 0
	v_add_nc_u32_e32 v40, 0x160, v3
	v_add_co_ci_u32_e64 v27, null, s3, v2, vcc_lo
	v_mov_b32_e32 v33, 0
	v_mov_b32_e32 v35, 0
	;; [unrolled: 1-line block ×4, first 2 shown]
	s_mov_b32 s4, s13
	s_mov_b32 s3, 0
	s_branch .LBB20_33
.LBB20_32:                              ;   in Loop: Header=BB20_33 Depth=1
	s_or_b32 exec_lo, exec_lo, s0
	s_waitcnt vmcnt(1) lgkmcnt(0)
	v_mul_f32_e32 v17, v1, v17
	v_mul_f32_e32 v13, v1, v13
	;; [unrolled: 1-line block ×4, first 2 shown]
	s_waitcnt vmcnt(0)
	v_mul_f32_e32 v1, v1, v21
	v_fmac_f32_e32 v17, v2, v18
	v_fmac_f32_e32 v13, v2, v14
	;; [unrolled: 1-line block ×10, first 2 shown]
	v_add_nc_u32_e32 v25, 4, v25
	v_fmac_f32_e32 v17, v4, v20
	v_fmac_f32_e32 v13, v4, v16
	;; [unrolled: 1-line block ×5, first 2 shown]
	v_cmp_le_i32_e32 vcc_lo, s11, v25
	v_add_co_u32 v26, s0, v26, 16
	v_add_f32_e32 v33, v33, v17
	v_add_f32_e32 v35, v35, v13
	;; [unrolled: 1-line block ×5, first 2 shown]
	v_add_nc_u32_e32 v39, 32, v39
	v_add_nc_u32_e32 v40, 0x80, v40
	v_add_co_ci_u32_e64 v27, null, 0, v27, s0
	s_or_b32 s3, vcc_lo, s3
	s_andn2_b32 exec_lo, exec_lo, s3
	s_cbranch_execz .LBB20_43
.LBB20_33:                              ; =>This Inner Loop Header: Depth=1
	global_load_dword v1, v[26:27], off
	v_add_nc_u32_e32 v41, -3, v39
	v_add_nc_u32_e32 v43, -2, v39
	;; [unrolled: 1-line block ×3, first 2 shown]
	s_waitcnt vmcnt(0)
	v_mad_i64_i32 v[1:2], null, v1, s4, 0
	v_lshlrev_b64 v[1:2], 2, v[1:2]
	v_add_co_u32 v21, vcc_lo, v37, v1
	v_add_co_ci_u32_e64 v22, null, v38, v2, vcc_lo
	ds_read_b128 v[1:4], v40
	v_cmp_eq_u32_e32 vcc_lo, s12, v25
	global_load_dwordx4 v[5:8], v[21:22], off
	s_and_saveexec_b32 s5, vcc_lo
	s_cbranch_execnz .LBB20_40
; %bb.34:                               ;   in Loop: Header=BB20_33 Depth=1
	s_or_b32 exec_lo, exec_lo, s5
	global_load_dwordx4 v[9:12], v[21:22], off offset:512
	s_and_saveexec_b32 s5, vcc_lo
	s_cbranch_execnz .LBB20_41
.LBB20_35:                              ;   in Loop: Header=BB20_33 Depth=1
	s_or_b32 exec_lo, exec_lo, s5
	global_load_dwordx4 v[13:16], v[21:22], off offset:1024
	s_and_saveexec_b32 s5, vcc_lo
	s_cbranch_execnz .LBB20_42
.LBB20_36:                              ;   in Loop: Header=BB20_33 Depth=1
	s_or_b32 exec_lo, exec_lo, s5
	global_load_dwordx4 v[17:20], v[21:22], off offset:1536
	s_and_saveexec_b32 s5, vcc_lo
	s_cbranch_execz .LBB20_38
.LBB20_37:                              ;   in Loop: Header=BB20_33 Depth=1
	v_cmp_gt_i32_e64 s0, s23, v41
	s_waitcnt vmcnt(0)
	v_cndmask_b32_e64 v17, 0, v17, s0
	v_cmp_gt_i32_e64 s0, s23, v43
	v_cndmask_b32_e64 v18, 0, v18, s0
	v_cmp_gt_i32_e64 s0, s23, v42
	;; [unrolled: 2-line block ×3, first 2 shown]
	v_cndmask_b32_e64 v20, 0, v20, s0
.LBB20_38:                              ;   in Loop: Header=BB20_33 Depth=1
	s_or_b32 exec_lo, exec_lo, s5
	v_add_co_u32 v21, s0, 0x800, v21
	v_add_co_ci_u32_e64 v22, null, 0, v22, s0
	global_load_dwordx4 v[21:24], v[21:22], off
	s_and_saveexec_b32 s0, vcc_lo
	s_cbranch_execz .LBB20_32
; %bb.39:                               ;   in Loop: Header=BB20_33 Depth=1
	v_cmp_gt_i32_e32 vcc_lo, s23, v41
	s_waitcnt vmcnt(0)
	v_cndmask_b32_e32 v21, 0, v21, vcc_lo
	v_cmp_gt_i32_e32 vcc_lo, s23, v43
	v_cndmask_b32_e32 v22, 0, v22, vcc_lo
	v_cmp_gt_i32_e32 vcc_lo, s23, v42
	;; [unrolled: 2-line block ×3, first 2 shown]
	v_cndmask_b32_e32 v24, 0, v24, vcc_lo
	s_branch .LBB20_32
.LBB20_40:                              ;   in Loop: Header=BB20_33 Depth=1
	v_cmp_gt_i32_e64 s0, s23, v41
	s_waitcnt vmcnt(0)
	v_cndmask_b32_e64 v5, 0, v5, s0
	v_cmp_gt_i32_e64 s0, s23, v43
	v_cndmask_b32_e64 v6, 0, v6, s0
	v_cmp_gt_i32_e64 s0, s23, v42
	;; [unrolled: 2-line block ×3, first 2 shown]
	v_cndmask_b32_e64 v8, 0, v8, s0
	s_or_b32 exec_lo, exec_lo, s5
	global_load_dwordx4 v[9:12], v[21:22], off offset:512
	s_and_saveexec_b32 s5, vcc_lo
	s_cbranch_execz .LBB20_35
.LBB20_41:                              ;   in Loop: Header=BB20_33 Depth=1
	v_cmp_gt_i32_e64 s0, s23, v41
	s_waitcnt vmcnt(0)
	v_cndmask_b32_e64 v9, 0, v9, s0
	v_cmp_gt_i32_e64 s0, s23, v43
	v_cndmask_b32_e64 v10, 0, v10, s0
	v_cmp_gt_i32_e64 s0, s23, v42
	v_cndmask_b32_e64 v11, 0, v11, s0
	v_cmp_gt_i32_e64 s0, s23, v39
	v_cndmask_b32_e64 v12, 0, v12, s0
	s_or_b32 exec_lo, exec_lo, s5
	global_load_dwordx4 v[13:16], v[21:22], off offset:1024
	s_and_saveexec_b32 s5, vcc_lo
	s_cbranch_execz .LBB20_36
.LBB20_42:                              ;   in Loop: Header=BB20_33 Depth=1
	v_cmp_gt_i32_e64 s0, s23, v41
	s_waitcnt vmcnt(0)
	v_cndmask_b32_e64 v13, 0, v13, s0
	v_cmp_gt_i32_e64 s0, s23, v43
	v_cndmask_b32_e64 v14, 0, v14, s0
	v_cmp_gt_i32_e64 s0, s23, v42
	;; [unrolled: 2-line block ×3, first 2 shown]
	v_cndmask_b32_e64 v16, 0, v16, s0
	s_or_b32 exec_lo, exec_lo, s5
	global_load_dwordx4 v[17:20], v[21:22], off offset:1536
	s_and_saveexec_b32 s5, vcc_lo
	s_cbranch_execnz .LBB20_37
	s_branch .LBB20_38
.LBB20_43:
	s_or_b32 exec_lo, exec_lo, s3
.LBB20_44:
	s_or_b32 exec_lo, exec_lo, s1
	ds_bpermute_b32 v1, v30, v34
	ds_bpermute_b32 v2, v30, v36
	;; [unrolled: 1-line block ×5, first 2 shown]
	v_lshrrev_b32_e32 v6, 1, v29
	v_mul_u32_u24_e32 v8, 0x140, v28
	v_and_b32_e32 v9, 0x3c1, v0
	s_mov_b32 s0, exec_lo
	s_waitcnt lgkmcnt(0)
	s_waitcnt_vscnt null, 0x0
	v_lshl_add_u32 v7, v6, 2, 0x160
	s_barrier
	buffer_gl0_inv
	v_add_f32_e32 v1, v34, v1
	v_add_f32_e32 v2, v36, v2
	;; [unrolled: 1-line block ×5, first 2 shown]
	v_cmpx_eq_u32_e32 64, v9
	s_cbranch_execz .LBB20_46
; %bb.45:
	v_add_nc_u32_e32 v9, v7, v8
	v_add_nc_u32_e32 v10, 0xfffffd80, v9
	;; [unrolled: 1-line block ×6, first 2 shown]
	ds_write_b32 v10, v1
	ds_write_b32 v11, v2
	;; [unrolled: 1-line block ×5, first 2 shown]
.LBB20_46:
	s_or_b32 exec_lo, exec_lo, s0
	v_lshlrev_b32_e32 v6, 2, v6
	s_mov_b32 s1, exec_lo
	v_cmp_eq_u32_e32 vcc_lo, 0, v31
	s_waitcnt lgkmcnt(0)
	s_barrier
	v_add3_u32 v6, 0x160, v8, v6
	buffer_gl0_inv
	v_cmpx_gt_u32_e32 64, v0
	s_cbranch_execz .LBB20_54
; %bb.47:
	s_and_saveexec_b32 s0, vcc_lo
	s_cbranch_execnz .LBB20_67
; %bb.48:
	s_or_b32 exec_lo, exec_lo, s0
	s_and_saveexec_b32 s0, vcc_lo
	s_cbranch_execnz .LBB20_68
.LBB20_49:
	s_or_b32 exec_lo, exec_lo, s0
	s_and_saveexec_b32 s0, vcc_lo
	s_cbranch_execnz .LBB20_69
.LBB20_50:
	s_or_b32 exec_lo, exec_lo, s0
	s_and_saveexec_b32 s0, vcc_lo
	s_cbranch_execnz .LBB20_70
.LBB20_51:
	s_or_b32 exec_lo, exec_lo, s0
	s_and_saveexec_b32 s0, vcc_lo
	s_cbranch_execz .LBB20_53
.LBB20_52:
	ds_read_b32 v8, v6 offset:256
	s_waitcnt lgkmcnt(0)
	v_add_f32_e32 v5, v5, v8
.LBB20_53:
	s_or_b32 exec_lo, exec_lo, s0
.LBB20_54:
	s_or_b32 exec_lo, exec_lo, s1
	v_and_b32_e32 v8, 0x3e1, v0
	s_mov_b32 s1, exec_lo
	s_barrier
	buffer_gl0_inv
	v_cmpx_eq_u32_e32 32, v8
	s_cbranch_execz .LBB20_56
; %bb.55:
	ds_write2_b32 v7, v1, v2 offset1:16
	ds_write2_b32 v7, v3, v4 offset0:32 offset1:48
	ds_write_b32 v7, v5 offset:256
.LBB20_56:
	s_or_b32 exec_lo, exec_lo, s1
	s_mov_b32 s1, exec_lo
	s_waitcnt lgkmcnt(0)
	s_barrier
	buffer_gl0_inv
	v_cmpx_gt_u32_e32 32, v0
	s_cbranch_execz .LBB20_64
; %bb.57:
	s_and_saveexec_b32 s0, vcc_lo
	s_cbranch_execnz .LBB20_71
; %bb.58:
	s_or_b32 exec_lo, exec_lo, s0
	s_and_saveexec_b32 s0, vcc_lo
	s_cbranch_execnz .LBB20_72
.LBB20_59:
	s_or_b32 exec_lo, exec_lo, s0
	s_and_saveexec_b32 s0, vcc_lo
	s_cbranch_execnz .LBB20_73
.LBB20_60:
	s_or_b32 exec_lo, exec_lo, s0
	s_and_saveexec_b32 s0, vcc_lo
	s_cbranch_execnz .LBB20_74
.LBB20_61:
	s_or_b32 exec_lo, exec_lo, s0
	s_and_saveexec_b32 s0, vcc_lo
	s_cbranch_execz .LBB20_63
.LBB20_62:
	ds_read_b32 v6, v6 offset:256
	s_waitcnt lgkmcnt(0)
	v_add_f32_e32 v5, v5, v6
.LBB20_63:
	s_or_b32 exec_lo, exec_lo, s0
.LBB20_64:
	s_or_b32 exec_lo, exec_lo, s1
	s_barrier
	buffer_gl0_inv
	s_mov_b32 s0, exec_lo
	v_cmpx_eq_u32_e32 0, v8
	s_cbranch_execz .LBB20_66
; %bb.65:
	s_mul_i32 s0, s2, 0x50
	s_mul_i32 s2, s7, s10
	s_ashr_i32 s1, s0, 31
	v_lshlrev_b32_e32 v0, 1, v0
	s_lshl_b64 s[0:1], s[0:1], 2
	s_add_u32 s4, s20, s0
	s_addc_u32 s5, s21, s1
	s_ashr_i32 s3, s2, 31
	s_lshl_b64 s[0:1], s[2:3], 2
	s_mul_i32 s2, s8, 0x50
	s_add_u32 s4, s4, s0
	s_addc_u32 s5, s5, s1
	s_ashr_i32 s3, s2, 31
	s_lshl_b64 s[0:1], s[2:3], 2
	s_add_u32 s0, s4, s0
	s_addc_u32 s1, s5, s1
	global_store_dword v0, v1, s[0:1]
	global_store_dword v0, v2, s[0:1] offset:64
	global_store_dword v0, v3, s[0:1] offset:128
	;; [unrolled: 1-line block ×4, first 2 shown]
.LBB20_66:
	s_endpgm
.LBB20_67:
	ds_read_b32 v8, v6
	s_waitcnt lgkmcnt(0)
	v_add_f32_e32 v1, v1, v8
	s_or_b32 exec_lo, exec_lo, s0
	s_and_saveexec_b32 s0, vcc_lo
	s_cbranch_execz .LBB20_49
.LBB20_68:
	ds_read_b32 v8, v6 offset:64
	s_waitcnt lgkmcnt(0)
	v_add_f32_e32 v2, v2, v8
	s_or_b32 exec_lo, exec_lo, s0
	s_and_saveexec_b32 s0, vcc_lo
	s_cbranch_execz .LBB20_50
.LBB20_69:
	ds_read_b32 v8, v6 offset:128
	s_waitcnt lgkmcnt(0)
	v_add_f32_e32 v3, v3, v8
	s_or_b32 exec_lo, exec_lo, s0
	s_and_saveexec_b32 s0, vcc_lo
	s_cbranch_execz .LBB20_51
.LBB20_70:
	ds_read_b32 v8, v6 offset:192
	s_waitcnt lgkmcnt(0)
	v_add_f32_e32 v4, v4, v8
	s_or_b32 exec_lo, exec_lo, s0
	s_and_saveexec_b32 s0, vcc_lo
	s_cbranch_execnz .LBB20_52
	s_branch .LBB20_53
.LBB20_71:
	ds_read_b32 v7, v6
	s_waitcnt lgkmcnt(0)
	v_add_f32_e32 v1, v1, v7
	s_or_b32 exec_lo, exec_lo, s0
	s_and_saveexec_b32 s0, vcc_lo
	s_cbranch_execz .LBB20_59
.LBB20_72:
	ds_read_b32 v7, v6 offset:64
	s_waitcnt lgkmcnt(0)
	v_add_f32_e32 v2, v2, v7
	s_or_b32 exec_lo, exec_lo, s0
	s_and_saveexec_b32 s0, vcc_lo
	s_cbranch_execz .LBB20_60
.LBB20_73:
	ds_read_b32 v7, v6 offset:128
	s_waitcnt lgkmcnt(0)
	v_add_f32_e32 v3, v3, v7
	s_or_b32 exec_lo, exec_lo, s0
	s_and_saveexec_b32 s0, vcc_lo
	s_cbranch_execz .LBB20_61
.LBB20_74:
	ds_read_b32 v7, v6 offset:192
	s_waitcnt lgkmcnt(0)
	v_add_f32_e32 v4, v4, v7
	s_or_b32 exec_lo, exec_lo, s0
	s_and_saveexec_b32 s0, vcc_lo
	s_cbranch_execnz .LBB20_62
	s_branch .LBB20_63
	.section	.rodata,"a",@progbits
	.p2align	6, 0x0
	.amdhsa_kernel _ZN4vllm25paged_attention_v2_kernelIffLi80ELi8ELi128ELNS_18Fp8KVCacheDataTypeE0ELb0ELi512EEEvPfS2_PT_PKS3_PKT0_S9_ifPKiSB_iPKfiiiSD_SD_iiiii
		.amdhsa_group_segment_fixed_size 352
		.amdhsa_private_segment_fixed_size 0
		.amdhsa_kernarg_size 400
		.amdhsa_user_sgpr_count 6
		.amdhsa_user_sgpr_private_segment_buffer 1
		.amdhsa_user_sgpr_dispatch_ptr 0
		.amdhsa_user_sgpr_queue_ptr 0
		.amdhsa_user_sgpr_kernarg_segment_ptr 1
		.amdhsa_user_sgpr_dispatch_id 0
		.amdhsa_user_sgpr_flat_scratch_init 0
		.amdhsa_user_sgpr_private_segment_size 0
		.amdhsa_wavefront_size32 1
		.amdhsa_uses_dynamic_stack 0
		.amdhsa_system_sgpr_private_segment_wavefront_offset 0
		.amdhsa_system_sgpr_workgroup_id_x 1
		.amdhsa_system_sgpr_workgroup_id_y 1
		.amdhsa_system_sgpr_workgroup_id_z 1
		.amdhsa_system_sgpr_workgroup_info 0
		.amdhsa_system_vgpr_workitem_id 0
		.amdhsa_next_free_vgpr 59
		.amdhsa_next_free_sgpr 36
		.amdhsa_reserve_vcc 1
		.amdhsa_reserve_flat_scratch 0
		.amdhsa_float_round_mode_32 0
		.amdhsa_float_round_mode_16_64 0
		.amdhsa_float_denorm_mode_32 3
		.amdhsa_float_denorm_mode_16_64 3
		.amdhsa_dx10_clamp 1
		.amdhsa_ieee_mode 1
		.amdhsa_fp16_overflow 0
		.amdhsa_workgroup_processor_mode 1
		.amdhsa_memory_ordered 1
		.amdhsa_forward_progress 1
		.amdhsa_shared_vgpr_count 0
		.amdhsa_exception_fp_ieee_invalid_op 0
		.amdhsa_exception_fp_denorm_src 0
		.amdhsa_exception_fp_ieee_div_zero 0
		.amdhsa_exception_fp_ieee_overflow 0
		.amdhsa_exception_fp_ieee_underflow 0
		.amdhsa_exception_fp_ieee_inexact 0
		.amdhsa_exception_int_div_zero 0
	.end_amdhsa_kernel
	.section	.text._ZN4vllm25paged_attention_v2_kernelIffLi80ELi8ELi128ELNS_18Fp8KVCacheDataTypeE0ELb0ELi512EEEvPfS2_PT_PKS3_PKT0_S9_ifPKiSB_iPKfiiiSD_SD_iiiii,"axG",@progbits,_ZN4vllm25paged_attention_v2_kernelIffLi80ELi8ELi128ELNS_18Fp8KVCacheDataTypeE0ELb0ELi512EEEvPfS2_PT_PKS3_PKT0_S9_ifPKiSB_iPKfiiiSD_SD_iiiii,comdat
.Lfunc_end20:
	.size	_ZN4vllm25paged_attention_v2_kernelIffLi80ELi8ELi128ELNS_18Fp8KVCacheDataTypeE0ELb0ELi512EEEvPfS2_PT_PKS3_PKT0_S9_ifPKiSB_iPKfiiiSD_SD_iiiii, .Lfunc_end20-_ZN4vllm25paged_attention_v2_kernelIffLi80ELi8ELi128ELNS_18Fp8KVCacheDataTypeE0ELb0ELi512EEEvPfS2_PT_PKS3_PKT0_S9_ifPKiSB_iPKfiiiSD_SD_iiiii
                                        ; -- End function
	.set _ZN4vllm25paged_attention_v2_kernelIffLi80ELi8ELi128ELNS_18Fp8KVCacheDataTypeE0ELb0ELi512EEEvPfS2_PT_PKS3_PKT0_S9_ifPKiSB_iPKfiiiSD_SD_iiiii.num_vgpr, 59
	.set _ZN4vllm25paged_attention_v2_kernelIffLi80ELi8ELi128ELNS_18Fp8KVCacheDataTypeE0ELb0ELi512EEEvPfS2_PT_PKS3_PKT0_S9_ifPKiSB_iPKfiiiSD_SD_iiiii.num_agpr, 0
	.set _ZN4vllm25paged_attention_v2_kernelIffLi80ELi8ELi128ELNS_18Fp8KVCacheDataTypeE0ELb0ELi512EEEvPfS2_PT_PKS3_PKT0_S9_ifPKiSB_iPKfiiiSD_SD_iiiii.numbered_sgpr, 36
	.set _ZN4vllm25paged_attention_v2_kernelIffLi80ELi8ELi128ELNS_18Fp8KVCacheDataTypeE0ELb0ELi512EEEvPfS2_PT_PKS3_PKT0_S9_ifPKiSB_iPKfiiiSD_SD_iiiii.num_named_barrier, 0
	.set _ZN4vllm25paged_attention_v2_kernelIffLi80ELi8ELi128ELNS_18Fp8KVCacheDataTypeE0ELb0ELi512EEEvPfS2_PT_PKS3_PKT0_S9_ifPKiSB_iPKfiiiSD_SD_iiiii.private_seg_size, 0
	.set _ZN4vllm25paged_attention_v2_kernelIffLi80ELi8ELi128ELNS_18Fp8KVCacheDataTypeE0ELb0ELi512EEEvPfS2_PT_PKS3_PKT0_S9_ifPKiSB_iPKfiiiSD_SD_iiiii.uses_vcc, 1
	.set _ZN4vllm25paged_attention_v2_kernelIffLi80ELi8ELi128ELNS_18Fp8KVCacheDataTypeE0ELb0ELi512EEEvPfS2_PT_PKS3_PKT0_S9_ifPKiSB_iPKfiiiSD_SD_iiiii.uses_flat_scratch, 0
	.set _ZN4vllm25paged_attention_v2_kernelIffLi80ELi8ELi128ELNS_18Fp8KVCacheDataTypeE0ELb0ELi512EEEvPfS2_PT_PKS3_PKT0_S9_ifPKiSB_iPKfiiiSD_SD_iiiii.has_dyn_sized_stack, 0
	.set _ZN4vllm25paged_attention_v2_kernelIffLi80ELi8ELi128ELNS_18Fp8KVCacheDataTypeE0ELb0ELi512EEEvPfS2_PT_PKS3_PKT0_S9_ifPKiSB_iPKfiiiSD_SD_iiiii.has_recursion, 0
	.set _ZN4vllm25paged_attention_v2_kernelIffLi80ELi8ELi128ELNS_18Fp8KVCacheDataTypeE0ELb0ELi512EEEvPfS2_PT_PKS3_PKT0_S9_ifPKiSB_iPKfiiiSD_SD_iiiii.has_indirect_call, 0
	.section	.AMDGPU.csdata,"",@progbits
; Kernel info:
; codeLenInByte = 4280
; TotalNumSgprs: 38
; NumVgprs: 59
; ScratchSize: 0
; MemoryBound: 0
; FloatMode: 240
; IeeeMode: 1
; LDSByteSize: 352 bytes/workgroup (compile time only)
; SGPRBlocks: 0
; VGPRBlocks: 7
; NumSGPRsForWavesPerEU: 38
; NumVGPRsForWavesPerEU: 59
; Occupancy: 16
; WaveLimiterHint : 1
; COMPUTE_PGM_RSRC2:SCRATCH_EN: 0
; COMPUTE_PGM_RSRC2:USER_SGPR: 6
; COMPUTE_PGM_RSRC2:TRAP_HANDLER: 0
; COMPUTE_PGM_RSRC2:TGID_X_EN: 1
; COMPUTE_PGM_RSRC2:TGID_Y_EN: 1
; COMPUTE_PGM_RSRC2:TGID_Z_EN: 1
; COMPUTE_PGM_RSRC2:TIDIG_COMP_CNT: 0
	.section	.text._ZN4vllm25paged_attention_v2_kernelIffLi96ELi8ELi128ELNS_18Fp8KVCacheDataTypeE0ELb0ELi512EEEvPfS2_PT_PKS3_PKT0_S9_ifPKiSB_iPKfiiiSD_SD_iiiii,"axG",@progbits,_ZN4vllm25paged_attention_v2_kernelIffLi96ELi8ELi128ELNS_18Fp8KVCacheDataTypeE0ELb0ELi512EEEvPfS2_PT_PKS3_PKT0_S9_ifPKiSB_iPKfiiiSD_SD_iiiii,comdat
	.protected	_ZN4vllm25paged_attention_v2_kernelIffLi96ELi8ELi128ELNS_18Fp8KVCacheDataTypeE0ELb0ELi512EEEvPfS2_PT_PKS3_PKT0_S9_ifPKiSB_iPKfiiiSD_SD_iiiii ; -- Begin function _ZN4vllm25paged_attention_v2_kernelIffLi96ELi8ELi128ELNS_18Fp8KVCacheDataTypeE0ELb0ELi512EEEvPfS2_PT_PKS3_PKT0_S9_ifPKiSB_iPKfiiiSD_SD_iiiii
	.globl	_ZN4vllm25paged_attention_v2_kernelIffLi96ELi8ELi128ELNS_18Fp8KVCacheDataTypeE0ELb0ELi512EEEvPfS2_PT_PKS3_PKT0_S9_ifPKiSB_iPKfiiiSD_SD_iiiii
	.p2align	8
	.type	_ZN4vllm25paged_attention_v2_kernelIffLi96ELi8ELi128ELNS_18Fp8KVCacheDataTypeE0ELb0ELi512EEEvPfS2_PT_PKS3_PKT0_S9_ifPKiSB_iPKfiiiSD_SD_iiiii,@function
_ZN4vllm25paged_attention_v2_kernelIffLi96ELi8ELi128ELNS_18Fp8KVCacheDataTypeE0ELb0ELi512EEEvPfS2_PT_PKS3_PKT0_S9_ifPKiSB_iPKfiiiSD_SD_iiiii: ; @_ZN4vllm25paged_attention_v2_kernelIffLi96ELi8ELi128ELNS_18Fp8KVCacheDataTypeE0ELb0ELi512EEEvPfS2_PT_PKS3_PKT0_S9_ifPKiSB_iPKfiiiSD_SD_iiiii
; %bb.0:
	s_load_dwordx2 s[0:1], s[4:5], 0x40
	s_mov_b32 s22, s7
	s_ashr_i32 s23, s7, 31
	s_lshl_b64 s[2:3], s[22:23], 2
	s_waitcnt lgkmcnt(0)
	s_add_u32 s0, s0, s2
	s_addc_u32 s1, s1, s3
	s_lshl_b32 s33, s8, 9
	s_load_dword s23, s[0:1], 0x0
	s_waitcnt lgkmcnt(0)
	s_cmp_ge_i32 s33, s23
	s_cbranch_scc1 .LBB21_70
; %bb.1:
	s_clause 0x1
	s_load_dword s9, s[4:5], 0x90
	s_load_dwordx2 s[30:31], s[4:5], 0x30
	s_mov_b32 s34, 0
	s_waitcnt lgkmcnt(0)
	s_abs_i32 s3, s9
	s_abs_i32 s0, s30
	v_cvt_f32_u32_e32 v1, s0
	s_sub_i32 s2, 0, s0
	v_rcp_iflag_f32_e32 v1, v1
	v_mul_f32_e32 v1, 0x4f7ffffe, v1
	v_cvt_u32_f32_e32 v1, v1
	v_readfirstlane_b32 s1, v1
	s_mul_i32 s2, s2, s1
	s_mul_hi_u32 s2, s1, s2
	s_add_i32 s1, s1, s2
	s_xor_b32 s2, s9, s30
	s_mul_hi_u32 s1, s3, s1
	s_ashr_i32 s2, s2, 31
	s_mul_i32 s7, s1, s0
	s_sub_i32 s3, s3, s7
	s_add_i32 s7, s1, 1
	s_sub_i32 s10, s3, s0
	s_cmp_ge_u32 s3, s0
	s_cselect_b32 s1, s7, s1
	s_cselect_b32 s3, s10, s3
	s_add_i32 s7, s1, 1
	s_cmp_ge_u32 s3, s0
	s_cselect_b32 s0, s7, s1
	s_abs_i32 s16, s6
	s_xor_b32 s0, s0, s2
	s_sub_i32 s10, s0, s2
	s_load_dwordx2 s[0:1], s[4:5], 0x50
	s_abs_i32 s2, s10
	v_cvt_f32_u32_e32 v1, s2
	s_sub_i32 s7, 0, s2
	v_rcp_iflag_f32_e32 v1, v1
	v_mul_f32_e32 v1, 0x4f7ffffe, v1
	v_cvt_u32_f32_e32 v1, v1
	v_readfirstlane_b32 s3, v1
	s_mul_i32 s7, s7, s3
	s_mul_hi_u32 s7, s3, s7
	s_add_i32 s3, s3, s7
	s_waitcnt lgkmcnt(0)
	s_cmp_eq_u64 s[0:1], 0
	s_mul_hi_u32 s3, s16, s3
	s_cbranch_scc1 .LBB21_3
; %bb.2:
	s_ashr_i32 s7, s6, 31
	s_lshl_b64 s[12:13], s[6:7], 2
	s_add_u32 s0, s0, s12
	s_addc_u32 s1, s1, s13
	s_load_dword s34, s[0:1], 0x0
.LBB21_3:
	s_load_dwordx4 s[12:15], s[4:5], 0x58
	v_and_b32_e32 v25, 3, v0
	v_lshlrev_b32_e32 v27, 2, v0
	s_ashr_i32 s0, s6, 31
	s_ashr_i32 s1, s10, 31
	s_mul_i32 s10, s6, 0x60
	s_mov_b32 s7, exec_lo
	v_cmpx_gt_u32_e32 0x60, v0
	s_cbranch_execz .LBB21_5
; %bb.4:
	s_load_dwordx2 s[18:19], s[4:5], 0x18
	s_waitcnt lgkmcnt(0)
	s_mul_i32 s20, s12, s22
	v_and_b32_e32 v2, 0x3fc, v0
	s_ashr_i32 s21, s20, 31
	s_lshl_b64 s[20:21], s[20:21], 2
	v_mad_u32_u24 v2, 0x60, v25, v2
	s_add_u32 s12, s18, s20
	s_addc_u32 s15, s19, s21
	s_ashr_i32 s11, s10, 31
	s_lshl_b64 s[18:19], s[10:11], 2
	s_add_u32 s18, s12, s18
	s_addc_u32 s19, s15, s19
	global_load_dword v1, v27, s[18:19]
	s_waitcnt vmcnt(0)
	ds_write_b32 v2, v1
.LBB21_5:
	s_or_b32 exec_lo, exec_lo, s7
	s_add_i32 s7, s23, 7
	s_load_dwordx2 s[24:25], s[4:5], 0x38
	s_waitcnt lgkmcnt(0)
	s_load_dword s15, s[4:5], 0x48
	s_ashr_i32 s11, s7, 31
	s_lshl_b32 s30, s8, 6
	s_lshr_b32 s11, s11, 29
	s_xor_b32 s0, s0, s1
	s_add_i32 s7, s7, s11
	s_add_i32 s1, s30, 64
	s_ashr_i32 s12, s7, 3
	s_mul_i32 s7, s3, s2
	s_min_i32 s11, s1, s12
	s_sub_i32 s1, s16, s7
	s_add_i32 s7, s3, 1
	s_sub_i32 s16, s1, s2
	s_cmp_ge_u32 s1, s2
	v_lshrrev_b32_e32 v32, 5, v0
	s_cselect_b32 s3, s7, s3
	s_cselect_b32 s1, s16, s1
	s_add_i32 s7, s3, 1
	s_cmp_ge_u32 s1, s2
	v_or_b32_e32 v29, s30, v32
	s_cselect_b32 s1, s7, s3
	v_mbcnt_lo_u32_b32 v28, -1, 0
	s_xor_b32 s1, s1, s0
	s_waitcnt lgkmcnt(0)
	s_mul_i32 s26, s15, s22
	s_sub_i32 s1, s1, s0
	v_cmp_gt_i32_e64 s0, s11, v29
	s_ashr_i32 s27, s26, 31
	s_mov_b32 s2, exec_lo
	s_barrier
	buffer_gl0_inv
                                        ; implicit-def: $vgpr31
                                        ; implicit-def: $vgpr34
	v_cmpx_le_i32_e64 s11, v29
	s_xor_b32 s2, exec_lo, s2
; %bb.6:
	v_mov_b32_e32 v31, 0
	v_mbcnt_lo_u32_b32 v28, -1, 0
	v_mov_b32_e32 v34, 32
                                        ; implicit-def: $vgpr25
; %bb.7:
	s_or_saveexec_b32 s35, s2
	s_clause 0x3
	s_load_dwordx4 s[16:19], s[4:5], 0x0
	s_load_dwordx2 s[20:21], s[4:5], 0x10
	s_load_dwordx2 s[28:29], s[4:5], 0x28
	s_load_dword s7, s[4:5], 0x98
	v_mov_b32_e32 v33, 0xff7fffff
	v_ashrrev_i32_e32 v30, 31, v29
	s_mul_i32 s14, s1, s14
	s_xor_b32 exec_lo, exec_lo, s35
	s_cbranch_execz .LBB21_13
; %bb.8:
	s_load_dwordx2 s[2:3], s[4:5], 0x20
	v_bfe_u32 v26, v0, 2, 3
	v_xor_b32_e32 v18, 2, v28
	s_ashr_i32 s15, s14, 31
	v_xor_b32_e32 v19, 1, v28
	s_lshl_b64 s[4:5], s[14:15], 2
	v_lshlrev_b32_e32 v20, 4, v26
	v_cmp_gt_i32_e32 vcc_lo, 32, v18
	v_lshlrev_b32_e32 v17, 2, v25
	v_mul_u32_u24_e32 v21, 0x60, v25
	ds_read_b128 v[1:4], v21
	ds_read_b128 v[5:8], v21 offset:16
	ds_read_b128 v[9:12], v21 offset:32
	;; [unrolled: 1-line block ×3, first 2 shown]
	v_cndmask_b32_e32 v37, v28, v18, vcc_lo
	v_cmp_gt_i32_e32 vcc_lo, 32, v19
	v_lshlrev_b32_e32 v39, 3, v32
	v_lshlrev_b32_e32 v33, 2, v26
	v_mov_b32_e32 v31, 0
	s_waitcnt lgkmcnt(0)
	s_add_u32 s1, s2, s4
	s_addc_u32 s2, s3, s5
	v_add_co_u32 v18, s1, s1, v20
	v_add_co_ci_u32_e64 v20, null, s2, 0, s1
	v_cndmask_b32_e32 v38, v28, v19, vcc_lo
	v_add_co_u32 v35, vcc_lo, v18, v17
	v_add_co_ci_u32_e64 v36, null, 0, v20, vcc_lo
	ds_read_b128 v[17:20], v21 offset:64
	ds_read_b128 v[21:24], v21 offset:80
	v_cmp_eq_u32_e32 vcc_lo, 0, v25
	v_add3_u32 v39, s33, v39, v26
	v_lshlrev_b64 v[25:26], 2, v[29:30]
	s_lshl_b64 s[2:3], s[26:27], 2
	v_lshl_or_b32 v33, v32, 5, v33
	s_sub_i32 s4, 1, s23
	s_add_u32 s2, s24, s2
	s_addc_u32 s3, s25, s3
	v_add_co_u32 v25, s2, s2, v25
	v_mov_b32_e32 v34, 32
	v_lshlrev_b32_e32 v37, 2, v37
	v_lshlrev_b32_e32 v38, 2, v38
	v_cmp_neq_f32_e64 s1, s34, 0
	v_add_nc_u32_e32 v40, 0x1a0, v33
	v_add_co_ci_u32_e64 v26, null, s3, v26, s2
	v_mov_b32_e32 v33, 0xff7fffff
	v_mov_b32_e32 v41, v29
	s_mov_b32 s15, s13
	s_mov_b32 s5, 0
	s_branch .LBB21_10
.LBB21_9:                               ;   in Loop: Header=BB21_10 Depth=1
	s_or_b32 exec_lo, exec_lo, s3
	v_add_nc_u32_e32 v41, 4, v41
	v_add_co_u32 v25, s3, v25, 16
	v_add_nc_u32_e32 v39, 32, v39
	v_add_nc_u32_e32 v40, 0x80, v40
	v_cmp_le_i32_e64 s2, s11, v41
	v_add_co_ci_u32_e64 v26, null, 0, v26, s3
	s_or_b32 s5, s2, s5
	s_andn2_b32 exec_lo, exec_lo, s5
	s_cbranch_execz .LBB21_12
.LBB21_10:                              ; =>This Inner Loop Header: Depth=1
	global_load_dword v42, v[25:26], off
	s_waitcnt vmcnt(0) lgkmcnt(0)
	v_mad_i64_i32 v[42:43], null, v42, s15, 0
	v_lshlrev_b64 v[42:43], 2, v[42:43]
	v_add_co_u32 v42, s2, v35, v42
	v_add_co_ci_u32_e64 v43, null, v36, v43, s2
	s_clause 0xf
	global_load_dword v44, v[42:43], off offset:128
	global_load_dword v45, v[42:43], off
	global_load_dword v46, v[42:43], off offset:256
	global_load_dword v47, v[42:43], off offset:384
	;; [unrolled: 1-line block ×14, first 2 shown]
	v_add_co_u32 v42, s2, 0x800, v42
	v_add_co_ci_u32_e64 v43, null, 0, v43, s2
	s_clause 0x7
	global_load_dword v60, v[42:43], off
	global_load_dword v61, v[42:43], off offset:128
	global_load_dword v62, v[42:43], off offset:256
	;; [unrolled: 1-line block ×7, first 2 shown]
	s_waitcnt vmcnt(23)
	v_mul_f32_e32 v43, v2, v44
	s_waitcnt vmcnt(22)
	v_fmac_f32_e32 v43, v1, v45
	s_waitcnt vmcnt(21)
	v_fmac_f32_e32 v43, v3, v46
	;; [unrolled: 2-line block ×15, first 2 shown]
	s_waitcnt vmcnt(7) lgkmcnt(1)
	v_fmac_f32_e32 v43, v17, v60
	s_waitcnt vmcnt(6)
	v_fmac_f32_e32 v43, v18, v61
	s_waitcnt vmcnt(5)
	;; [unrolled: 2-line block ×3, first 2 shown]
	v_fmac_f32_e32 v43, v20, v63
	s_waitcnt vmcnt(3) lgkmcnt(0)
	v_fmac_f32_e32 v43, v21, v64
	s_waitcnt vmcnt(2)
	v_fmac_f32_e32 v43, v22, v65
	s_waitcnt vmcnt(1)
	;; [unrolled: 2-line block ×3, first 2 shown]
	v_fmac_f32_e32 v43, v24, v42
	ds_bpermute_b32 v42, v37, v43
	s_waitcnt lgkmcnt(0)
	v_add_f32_e32 v42, v43, v42
	ds_bpermute_b32 v43, v38, v42
	s_and_saveexec_b32 s3, vcc_lo
	s_cbranch_execz .LBB21_9
; %bb.11:                               ;   in Loop: Header=BB21_10 Depth=1
	v_add_nc_u32_e32 v44, s4, v39
	s_waitcnt lgkmcnt(0)
	v_add_f32_e32 v42, v42, v43
	v_cmp_gt_i32_e64 s2, s23, v39
	v_cvt_f32_i32_e32 v44, v44
	v_mul_f32_e32 v44, s34, v44
	v_cndmask_b32_e64 v43, 0, v44, s1
	v_max_f32_e32 v44, v33, v33
	v_fmac_f32_e32 v43, s31, v42
	v_max_f32_e32 v42, v44, v43
	v_cndmask_b32_e64 v43, 0, v43, s2
	v_cndmask_b32_e64 v33, v33, v42, s2
	ds_write_b32 v40, v43
	s_branch .LBB21_9
.LBB21_12:
	s_or_b32 exec_lo, exec_lo, s5
.LBB21_13:
	s_or_b32 exec_lo, exec_lo, s35
	v_xor_b32_e32 v1, 16, v28
	v_xor_b32_e32 v3, 8, v28
	v_max_f32_e32 v5, v33, v33
	v_cmp_lt_i32_e32 vcc_lo, v1, v34
	v_cndmask_b32_e32 v1, v28, v1, vcc_lo
	v_cmp_lt_i32_e32 vcc_lo, v3, v34
	v_lshlrev_b32_e32 v2, 2, v1
	v_cndmask_b32_e32 v3, v28, v3, vcc_lo
	ds_bpermute_b32 v1, v2, v33
	v_lshlrev_b32_e32 v4, 2, v3
	v_and_b32_e32 v33, 31, v0
	s_waitcnt lgkmcnt(0)
	v_max_f32_e32 v1, v1, v1
	v_max_f32_e32 v1, v5, v1
	v_xor_b32_e32 v5, 4, v28
	ds_bpermute_b32 v3, v4, v1
	v_cmp_lt_i32_e32 vcc_lo, v5, v34
	v_cndmask_b32_e32 v5, v28, v5, vcc_lo
	v_cmp_eq_u32_e32 vcc_lo, 0, v33
	v_lshlrev_b32_e32 v7, 2, v5
	v_lshlrev_b32_e32 v5, 2, v32
	s_waitcnt lgkmcnt(0)
	v_max_f32_e32 v3, v3, v3
	v_max_f32_e32 v1, v1, v3
	ds_bpermute_b32 v3, v7, v1
	s_and_saveexec_b32 s1, vcc_lo
	s_cbranch_execz .LBB21_15
; %bb.14:
	s_waitcnt lgkmcnt(0)
	v_max_f32_e32 v3, v3, v3
	v_max_f32_e32 v1, v1, v1
	;; [unrolled: 1-line block ×3, first 2 shown]
	ds_write_b32 v5, v1 offset:384
.LBB21_15:
	s_or_b32 exec_lo, exec_lo, s1
	v_cmp_gt_u32_e64 s1, 4, v33
	v_mov_b32_e32 v1, 0xff7fffff
	v_lshlrev_b32_e32 v6, 2, v33
	s_waitcnt lgkmcnt(0)
	s_barrier
	buffer_gl0_inv
	s_and_saveexec_b32 s2, s1
; %bb.16:
	ds_read_b32 v1, v6 offset:384
; %bb.17:
	s_or_b32 exec_lo, exec_lo, s2
	v_xor_b32_e32 v3, 2, v28
	v_xor_b32_e32 v9, 1, v28
	v_cmp_lt_i32_e64 s2, v3, v34
	v_cndmask_b32_e64 v3, v28, v3, s2
	v_cmp_lt_i32_e64 s2, v9, v34
	v_lshlrev_b32_e32 v8, 2, v3
	v_cndmask_b32_e64 v9, v28, v9, s2
	s_sub_i32 s2, s11, s30
	s_lshl_b32 s2, s2, 3
	s_waitcnt lgkmcnt(0)
	ds_bpermute_b32 v3, v8, v1
	v_max_f32_e32 v1, v1, v1
	v_lshlrev_b32_e32 v34, 2, v9
	s_add_i32 s2, s2, s33
	v_mov_b32_e32 v9, 0
	s_min_i32 s2, s2, s23
	s_sub_i32 s4, s2, s33
	v_cmp_gt_i32_e64 s2, s4, v0
	s_waitcnt lgkmcnt(0)
	v_max_f32_e32 v3, v3, v3
	v_max_f32_e32 v1, v1, v3
	ds_bpermute_b32 v3, v34, v1
	s_waitcnt lgkmcnt(0)
	v_max_f32_e32 v3, v3, v3
	v_max_f32_e32 v1, v1, v3
	v_lshlrev_b32_e32 v3, 2, v31
	ds_bpermute_b32 v1, v3, v1
	v_lshl_add_u32 v3, v0, 2, 0x1a0
	s_and_saveexec_b32 s5, s2
	s_cbranch_execz .LBB21_21
; %bb.18:
	v_lshl_add_u32 v10, v0, 2, 0x1a0
	v_mov_b32_e32 v9, 0
	v_mov_b32_e32 v11, v0
	s_mov_b32 s15, 0
	.p2align	6
.LBB21_19:                              ; =>This Inner Loop Header: Depth=1
	ds_read_b32 v12, v10
	v_add_nc_u32_e32 v11, 0x80, v11
	v_cmp_le_i32_e64 s3, s4, v11
	s_or_b32 s15, s3, s15
	s_waitcnt lgkmcnt(0)
	v_sub_f32_e32 v12, v12, v1
	v_mul_f32_e32 v12, 0x3fb8aa3b, v12
	v_exp_f32_e32 v12, v12
	ds_write_b32 v10, v12
	v_add_f32_e32 v9, v9, v12
	v_add_nc_u32_e32 v10, 0x200, v10
	s_andn2_b32 exec_lo, exec_lo, s15
	s_cbranch_execnz .LBB21_19
; %bb.20:
	s_or_b32 exec_lo, exec_lo, s15
.LBB21_21:
	s_or_b32 exec_lo, exec_lo, s5
	ds_bpermute_b32 v2, v2, v9
	s_waitcnt lgkmcnt(0)
	v_add_f32_e32 v2, v9, v2
	ds_bpermute_b32 v4, v4, v2
	s_waitcnt lgkmcnt(0)
	v_add_f32_e32 v2, v2, v4
	;; [unrolled: 3-line block ×5, first 2 shown]
	s_and_saveexec_b32 s3, vcc_lo
; %bb.22:
	ds_write_b32 v5, v2 offset:400
; %bb.23:
	s_or_b32 exec_lo, exec_lo, s3
	s_waitcnt lgkmcnt(0)
	s_barrier
	buffer_gl0_inv
	s_and_saveexec_b32 s3, s1
; %bb.24:
	ds_read_b32 v2, v6 offset:400
; %bb.25:
	s_or_b32 exec_lo, exec_lo, s3
	s_waitcnt lgkmcnt(0)
	ds_bpermute_b32 v4, v8, v2
	v_lshlrev_b32_e32 v5, 2, v28
	s_waitcnt lgkmcnt(0)
	v_add_f32_e32 v2, v2, v4
	ds_bpermute_b32 v4, v34, v2
	s_waitcnt lgkmcnt(0)
	v_add_f32_e32 v2, v2, v4
	v_and_b32_e32 v4, 0xffffff80, v5
	ds_bpermute_b32 v2, v4, v2
	s_and_saveexec_b32 s1, s2
	s_cbranch_execz .LBB21_28
; %bb.26:
	s_waitcnt lgkmcnt(0)
	v_add_f32_e32 v4, 0x358637bd, v2
	s_mov_b32 s2, 0
	v_div_scale_f32 v5, null, v4, v4, 1.0
	v_div_scale_f32 v8, vcc_lo, 1.0, v4, 1.0
	v_rcp_f32_e32 v6, v5
	v_fma_f32 v7, -v5, v6, 1.0
	v_fmac_f32_e32 v6, v7, v6
	v_mul_f32_e32 v7, v8, v6
	v_fma_f32 v9, -v5, v7, v8
	v_fmac_f32_e32 v7, v9, v6
	v_fma_f32 v5, -v5, v7, v8
	v_div_fmas_f32 v5, v5, v6, v7
	v_div_fixup_f32 v4, v5, v4, 1.0
	v_mov_b32_e32 v5, v0
.LBB21_27:                              ; =>This Inner Loop Header: Depth=1
	ds_read_b32 v6, v3
	v_add_nc_u32_e32 v5, 0x80, v5
	v_cmp_le_i32_e32 vcc_lo, s4, v5
	s_or_b32 s2, vcc_lo, s2
	s_waitcnt lgkmcnt(0)
	v_mul_f32_e32 v6, v4, v6
	ds_write_b32 v3, v6
	v_add_nc_u32_e32 v3, 0x200, v3
	s_andn2_b32 exec_lo, exec_lo, s2
	s_cbranch_execnz .LBB21_27
.LBB21_28:
	s_or_b32 exec_lo, exec_lo, s1
	s_mul_i32 s1, s7, s22
	s_waitcnt lgkmcnt(0)
	s_mul_i32 s2, s1, s9
	s_mov_b32 s1, exec_lo
	s_barrier
	buffer_gl0_inv
	v_cmpx_eq_u32_e32 0, v0
	s_cbranch_execz .LBB21_30
; %bb.29:
	s_ashr_i32 s3, s2, 31
	s_mul_i32 s30, s7, s6
	s_lshl_b64 s[4:5], s[2:3], 2
	v_mov_b32_e32 v3, 0
	s_add_u32 s3, s18, s4
	s_addc_u32 s6, s19, s5
	s_ashr_i32 s31, s30, 31
	s_lshl_b64 s[18:19], s[30:31], 2
	s_add_u32 s3, s3, s18
	s_addc_u32 s6, s6, s19
	s_ashr_i32 s9, s8, 31
	s_lshl_b64 s[30:31], s[8:9], 2
	s_add_u32 s34, s3, s30
	s_addc_u32 s35, s6, s31
	s_add_u32 s3, s16, s4
	s_addc_u32 s4, s17, s5
	;; [unrolled: 2-line block ×4, first 2 shown]
	global_store_dword v3, v1, s[34:35]
	global_store_dword v3, v2, s[4:5]
.LBB21_30:
	s_or_b32 exec_lo, exec_lo, s1
	v_mov_b32_e32 v39, 0
	v_and_b32_e32 v35, 1, v0
	v_mov_b32_e32 v41, 0
	v_mov_b32_e32 v40, 0
	;; [unrolled: 1-line block ×5, first 2 shown]
	s_and_saveexec_b32 s1, s0
	s_cbranch_execz .LBB21_46
; %bb.31:
	v_lshlrev_b32_e32 v2, 4, v0
	s_ashr_i32 s15, s14, 31
	v_and_b32_e32 v1, 4, v27
	v_lshl_add_u32 v4, v32, 3, s33
	s_lshl_b64 s[4:5], s[14:15], 2
	v_and_b32_e32 v2, 0x1f0, v2
	s_add_u32 s0, s28, s4
	v_lshlrev_b32_e32 v3, 4, v35
	v_add3_u32 v44, v4, v1, 3
	s_addc_u32 s3, s29, s5
	v_add_co_u32 v42, s0, s0, v2
	v_lshlrev_b64 v[1:2], 2, v[29:30]
	s_lshl_b64 s[4:5], s[26:27], 2
	s_add_i32 s12, s12, -1
	v_lshl_or_b32 v3, v32, 5, v3
	v_add_co_ci_u32_e64 v43, null, s3, 0, s0
	s_add_u32 s0, s24, s4
	s_addc_u32 s3, s25, s5
	v_add_co_u32 v30, vcc_lo, s0, v1
	v_mov_b32_e32 v36, 0
	v_add_nc_u32_e32 v45, 0x1a0, v3
	v_add_co_ci_u32_e64 v31, null, s3, v2, vcc_lo
	v_mov_b32_e32 v37, 0
	v_mov_b32_e32 v38, 0
	;; [unrolled: 1-line block ×5, first 2 shown]
	s_mov_b32 s4, s13
	s_mov_b32 s3, 0
	s_branch .LBB21_33
.LBB21_32:                              ;   in Loop: Header=BB21_33 Depth=1
	s_or_b32 exec_lo, exec_lo, s0
	s_waitcnt vmcnt(1) lgkmcnt(0)
	v_mul_f32_e32 v21, v1, v21
	v_mul_f32_e32 v17, v1, v17
	v_mul_f32_e32 v13, v1, v13
	v_mul_f32_e32 v9, v1, v9
	v_mul_f32_e32 v5, v1, v5
	s_waitcnt vmcnt(0)
	v_mul_f32_e32 v1, v1, v25
	v_fmac_f32_e32 v21, v2, v22
	v_fmac_f32_e32 v17, v2, v18
	;; [unrolled: 1-line block ×12, first 2 shown]
	v_add_nc_u32_e32 v29, 4, v29
	v_fmac_f32_e32 v21, v4, v24
	v_fmac_f32_e32 v17, v4, v20
	;; [unrolled: 1-line block ×6, first 2 shown]
	v_cmp_le_i32_e32 vcc_lo, s11, v29
	v_add_co_u32 v30, s0, v30, 16
	v_add_f32_e32 v37, v37, v21
	v_add_f32_e32 v38, v38, v17
	;; [unrolled: 1-line block ×6, first 2 shown]
	v_add_nc_u32_e32 v44, 32, v44
	v_add_nc_u32_e32 v45, 0x80, v45
	v_add_co_ci_u32_e64 v31, null, 0, v31, s0
	s_or_b32 s3, vcc_lo, s3
	s_andn2_b32 exec_lo, exec_lo, s3
	s_cbranch_execz .LBB21_45
.LBB21_33:                              ; =>This Inner Loop Header: Depth=1
	global_load_dword v1, v[30:31], off
	v_add_nc_u32_e32 v46, -3, v44
	v_add_nc_u32_e32 v48, -2, v44
	;; [unrolled: 1-line block ×3, first 2 shown]
	s_waitcnt vmcnt(0)
	v_mad_i64_i32 v[1:2], null, v1, s4, 0
	v_lshlrev_b64 v[1:2], 2, v[1:2]
	v_add_co_u32 v21, vcc_lo, v42, v1
	v_add_co_ci_u32_e64 v22, null, v43, v2, vcc_lo
	ds_read_b128 v[1:4], v45
	v_cmp_eq_u32_e32 vcc_lo, s12, v29
	global_load_dwordx4 v[5:8], v[21:22], off
	s_and_saveexec_b32 s5, vcc_lo
	s_cbranch_execnz .LBB21_42
; %bb.34:                               ;   in Loop: Header=BB21_33 Depth=1
	s_or_b32 exec_lo, exec_lo, s5
	global_load_dwordx4 v[9:12], v[21:22], off offset:512
	s_and_saveexec_b32 s5, vcc_lo
	s_cbranch_execnz .LBB21_43
.LBB21_35:                              ;   in Loop: Header=BB21_33 Depth=1
	s_or_b32 exec_lo, exec_lo, s5
	global_load_dwordx4 v[13:16], v[21:22], off offset:1024
	s_and_saveexec_b32 s5, vcc_lo
	s_cbranch_execnz .LBB21_44
.LBB21_36:                              ;   in Loop: Header=BB21_33 Depth=1
	s_or_b32 exec_lo, exec_lo, s5
	global_load_dwordx4 v[17:20], v[21:22], off offset:1536
	s_and_saveexec_b32 s5, vcc_lo
	s_cbranch_execz .LBB21_38
.LBB21_37:                              ;   in Loop: Header=BB21_33 Depth=1
	v_cmp_gt_i32_e64 s0, s23, v46
	s_waitcnt vmcnt(0)
	v_cndmask_b32_e64 v17, 0, v17, s0
	v_cmp_gt_i32_e64 s0, s23, v48
	v_cndmask_b32_e64 v18, 0, v18, s0
	v_cmp_gt_i32_e64 s0, s23, v47
	;; [unrolled: 2-line block ×3, first 2 shown]
	v_cndmask_b32_e64 v20, 0, v20, s0
.LBB21_38:                              ;   in Loop: Header=BB21_33 Depth=1
	s_or_b32 exec_lo, exec_lo, s5
	v_add_co_u32 v25, s0, 0x800, v21
	v_add_co_ci_u32_e64 v26, null, 0, v22, s0
	global_load_dwordx4 v[21:24], v[25:26], off
	s_and_saveexec_b32 s5, vcc_lo
	s_cbranch_execz .LBB21_40
; %bb.39:                               ;   in Loop: Header=BB21_33 Depth=1
	v_cmp_gt_i32_e64 s0, s23, v46
	s_waitcnt vmcnt(0)
	v_cndmask_b32_e64 v21, 0, v21, s0
	v_cmp_gt_i32_e64 s0, s23, v48
	v_cndmask_b32_e64 v22, 0, v22, s0
	v_cmp_gt_i32_e64 s0, s23, v47
	v_cndmask_b32_e64 v23, 0, v23, s0
	v_cmp_gt_i32_e64 s0, s23, v44
	v_cndmask_b32_e64 v24, 0, v24, s0
.LBB21_40:                              ;   in Loop: Header=BB21_33 Depth=1
	s_or_b32 exec_lo, exec_lo, s5
	global_load_dwordx4 v[25:28], v[25:26], off offset:512
	s_and_saveexec_b32 s0, vcc_lo
	s_cbranch_execz .LBB21_32
; %bb.41:                               ;   in Loop: Header=BB21_33 Depth=1
	v_cmp_gt_i32_e32 vcc_lo, s23, v46
	s_waitcnt vmcnt(0)
	v_cndmask_b32_e32 v25, 0, v25, vcc_lo
	v_cmp_gt_i32_e32 vcc_lo, s23, v48
	v_cndmask_b32_e32 v26, 0, v26, vcc_lo
	v_cmp_gt_i32_e32 vcc_lo, s23, v47
	;; [unrolled: 2-line block ×3, first 2 shown]
	v_cndmask_b32_e32 v28, 0, v28, vcc_lo
	s_branch .LBB21_32
.LBB21_42:                              ;   in Loop: Header=BB21_33 Depth=1
	v_cmp_gt_i32_e64 s0, s23, v46
	s_waitcnt vmcnt(0)
	v_cndmask_b32_e64 v5, 0, v5, s0
	v_cmp_gt_i32_e64 s0, s23, v48
	v_cndmask_b32_e64 v6, 0, v6, s0
	v_cmp_gt_i32_e64 s0, s23, v47
	;; [unrolled: 2-line block ×3, first 2 shown]
	v_cndmask_b32_e64 v8, 0, v8, s0
	s_or_b32 exec_lo, exec_lo, s5
	global_load_dwordx4 v[9:12], v[21:22], off offset:512
	s_and_saveexec_b32 s5, vcc_lo
	s_cbranch_execz .LBB21_35
.LBB21_43:                              ;   in Loop: Header=BB21_33 Depth=1
	v_cmp_gt_i32_e64 s0, s23, v46
	s_waitcnt vmcnt(0)
	v_cndmask_b32_e64 v9, 0, v9, s0
	v_cmp_gt_i32_e64 s0, s23, v48
	v_cndmask_b32_e64 v10, 0, v10, s0
	v_cmp_gt_i32_e64 s0, s23, v47
	;; [unrolled: 2-line block ×3, first 2 shown]
	v_cndmask_b32_e64 v12, 0, v12, s0
	s_or_b32 exec_lo, exec_lo, s5
	global_load_dwordx4 v[13:16], v[21:22], off offset:1024
	s_and_saveexec_b32 s5, vcc_lo
	s_cbranch_execz .LBB21_36
.LBB21_44:                              ;   in Loop: Header=BB21_33 Depth=1
	v_cmp_gt_i32_e64 s0, s23, v46
	s_waitcnt vmcnt(0)
	v_cndmask_b32_e64 v13, 0, v13, s0
	v_cmp_gt_i32_e64 s0, s23, v48
	v_cndmask_b32_e64 v14, 0, v14, s0
	v_cmp_gt_i32_e64 s0, s23, v47
	;; [unrolled: 2-line block ×3, first 2 shown]
	v_cndmask_b32_e64 v16, 0, v16, s0
	s_or_b32 exec_lo, exec_lo, s5
	global_load_dwordx4 v[17:20], v[21:22], off offset:1536
	s_and_saveexec_b32 s5, vcc_lo
	s_cbranch_execnz .LBB21_37
	s_branch .LBB21_38
.LBB21_45:
	s_or_b32 exec_lo, exec_lo, s3
.LBB21_46:
	s_or_b32 exec_lo, exec_lo, s1
	ds_bpermute_b32 v1, v34, v39
	ds_bpermute_b32 v2, v34, v41
	;; [unrolled: 1-line block ×6, first 2 shown]
	v_lshrrev_b32_e32 v7, 1, v33
	v_mul_u32_u24_e32 v9, 0x180, v32
	v_and_b32_e32 v10, 0x3c1, v0
	s_mov_b32 s0, exec_lo
	s_waitcnt lgkmcnt(0)
	s_waitcnt_vscnt null, 0x0
	v_lshl_add_u32 v8, v7, 2, 0x1a0
	s_barrier
	buffer_gl0_inv
	v_add_f32_e32 v1, v39, v1
	v_add_f32_e32 v2, v41, v2
	;; [unrolled: 1-line block ×6, first 2 shown]
	v_cmpx_eq_u32_e32 64, v10
	s_cbranch_execz .LBB21_48
; %bb.47:
	v_add_nc_u32_e32 v10, v8, v9
	v_add_nc_u32_e32 v11, 0xfffffd00, v10
	;; [unrolled: 1-line block ×7, first 2 shown]
	ds_write_b32 v11, v1
	ds_write_b32 v12, v2
	;; [unrolled: 1-line block ×6, first 2 shown]
.LBB21_48:
	s_or_b32 exec_lo, exec_lo, s0
	v_lshlrev_b32_e32 v7, 2, v7
	s_mov_b32 s1, exec_lo
	v_cmp_eq_u32_e32 vcc_lo, 0, v35
	s_waitcnt lgkmcnt(0)
	s_barrier
	v_add3_u32 v7, 0x1a0, v9, v7
	buffer_gl0_inv
	v_cmpx_gt_u32_e32 64, v0
	s_cbranch_execz .LBB21_57
; %bb.49:
	s_and_saveexec_b32 s0, vcc_lo
	s_cbranch_execnz .LBB21_71
; %bb.50:
	s_or_b32 exec_lo, exec_lo, s0
	s_and_saveexec_b32 s0, vcc_lo
	s_cbranch_execnz .LBB21_72
.LBB21_51:
	s_or_b32 exec_lo, exec_lo, s0
	s_and_saveexec_b32 s0, vcc_lo
	s_cbranch_execnz .LBB21_73
.LBB21_52:
	s_or_b32 exec_lo, exec_lo, s0
	s_and_saveexec_b32 s0, vcc_lo
	s_cbranch_execnz .LBB21_74
.LBB21_53:
	s_or_b32 exec_lo, exec_lo, s0
	s_and_saveexec_b32 s0, vcc_lo
	s_cbranch_execnz .LBB21_75
.LBB21_54:
	s_or_b32 exec_lo, exec_lo, s0
	s_and_saveexec_b32 s0, vcc_lo
	s_cbranch_execz .LBB21_56
.LBB21_55:
	ds_read_b32 v9, v7 offset:320
	s_waitcnt lgkmcnt(0)
	v_add_f32_e32 v6, v6, v9
.LBB21_56:
	s_or_b32 exec_lo, exec_lo, s0
.LBB21_57:
	s_or_b32 exec_lo, exec_lo, s1
	v_and_b32_e32 v9, 0x3e1, v0
	s_mov_b32 s1, exec_lo
	s_barrier
	buffer_gl0_inv
	v_cmpx_eq_u32_e32 32, v9
	s_cbranch_execz .LBB21_59
; %bb.58:
	ds_write2_b32 v8, v1, v2 offset1:16
	ds_write2_b32 v8, v3, v4 offset0:32 offset1:48
	ds_write2_b32 v8, v5, v6 offset0:64 offset1:80
.LBB21_59:
	s_or_b32 exec_lo, exec_lo, s1
	s_mov_b32 s1, exec_lo
	s_waitcnt lgkmcnt(0)
	s_barrier
	buffer_gl0_inv
	v_cmpx_gt_u32_e32 32, v0
	s_cbranch_execz .LBB21_68
; %bb.60:
	s_and_saveexec_b32 s0, vcc_lo
	s_cbranch_execnz .LBB21_76
; %bb.61:
	s_or_b32 exec_lo, exec_lo, s0
	s_and_saveexec_b32 s0, vcc_lo
	s_cbranch_execnz .LBB21_77
.LBB21_62:
	s_or_b32 exec_lo, exec_lo, s0
	s_and_saveexec_b32 s0, vcc_lo
	s_cbranch_execnz .LBB21_78
.LBB21_63:
	s_or_b32 exec_lo, exec_lo, s0
	s_and_saveexec_b32 s0, vcc_lo
	s_cbranch_execnz .LBB21_79
.LBB21_64:
	s_or_b32 exec_lo, exec_lo, s0
	s_and_saveexec_b32 s0, vcc_lo
	s_cbranch_execnz .LBB21_80
.LBB21_65:
	s_or_b32 exec_lo, exec_lo, s0
	s_and_saveexec_b32 s0, vcc_lo
	s_cbranch_execz .LBB21_67
.LBB21_66:
	ds_read_b32 v7, v7 offset:320
	s_waitcnt lgkmcnt(0)
	v_add_f32_e32 v6, v6, v7
.LBB21_67:
	s_or_b32 exec_lo, exec_lo, s0
.LBB21_68:
	s_or_b32 exec_lo, exec_lo, s1
	s_barrier
	buffer_gl0_inv
	s_mov_b32 s0, exec_lo
	v_cmpx_eq_u32_e32 0, v9
	s_cbranch_execz .LBB21_70
; %bb.69:
	s_mul_i32 s0, s2, 0x60
	s_mul_i32 s2, s7, s10
	s_ashr_i32 s1, s0, 31
	v_lshlrev_b32_e32 v0, 1, v0
	s_lshl_b64 s[0:1], s[0:1], 2
	s_add_u32 s4, s20, s0
	s_addc_u32 s5, s21, s1
	s_ashr_i32 s3, s2, 31
	s_lshl_b64 s[0:1], s[2:3], 2
	s_mul_i32 s2, s8, 0x60
	s_add_u32 s4, s4, s0
	s_addc_u32 s5, s5, s1
	s_ashr_i32 s3, s2, 31
	s_lshl_b64 s[0:1], s[2:3], 2
	s_add_u32 s0, s4, s0
	s_addc_u32 s1, s5, s1
	global_store_dword v0, v1, s[0:1]
	global_store_dword v0, v2, s[0:1] offset:64
	global_store_dword v0, v3, s[0:1] offset:128
	;; [unrolled: 1-line block ×5, first 2 shown]
.LBB21_70:
	s_endpgm
.LBB21_71:
	ds_read_b32 v9, v7
	s_waitcnt lgkmcnt(0)
	v_add_f32_e32 v1, v1, v9
	s_or_b32 exec_lo, exec_lo, s0
	s_and_saveexec_b32 s0, vcc_lo
	s_cbranch_execz .LBB21_51
.LBB21_72:
	ds_read_b32 v9, v7 offset:64
	s_waitcnt lgkmcnt(0)
	v_add_f32_e32 v2, v2, v9
	s_or_b32 exec_lo, exec_lo, s0
	s_and_saveexec_b32 s0, vcc_lo
	s_cbranch_execz .LBB21_52
.LBB21_73:
	ds_read_b32 v9, v7 offset:128
	s_waitcnt lgkmcnt(0)
	v_add_f32_e32 v3, v3, v9
	s_or_b32 exec_lo, exec_lo, s0
	s_and_saveexec_b32 s0, vcc_lo
	s_cbranch_execz .LBB21_53
.LBB21_74:
	ds_read_b32 v9, v7 offset:192
	s_waitcnt lgkmcnt(0)
	v_add_f32_e32 v4, v4, v9
	s_or_b32 exec_lo, exec_lo, s0
	s_and_saveexec_b32 s0, vcc_lo
	s_cbranch_execz .LBB21_54
.LBB21_75:
	ds_read_b32 v9, v7 offset:256
	s_waitcnt lgkmcnt(0)
	v_add_f32_e32 v5, v5, v9
	s_or_b32 exec_lo, exec_lo, s0
	s_and_saveexec_b32 s0, vcc_lo
	s_cbranch_execnz .LBB21_55
	s_branch .LBB21_56
.LBB21_76:
	ds_read_b32 v8, v7
	s_waitcnt lgkmcnt(0)
	v_add_f32_e32 v1, v1, v8
	s_or_b32 exec_lo, exec_lo, s0
	s_and_saveexec_b32 s0, vcc_lo
	s_cbranch_execz .LBB21_62
.LBB21_77:
	ds_read_b32 v8, v7 offset:64
	s_waitcnt lgkmcnt(0)
	v_add_f32_e32 v2, v2, v8
	s_or_b32 exec_lo, exec_lo, s0
	s_and_saveexec_b32 s0, vcc_lo
	s_cbranch_execz .LBB21_63
.LBB21_78:
	ds_read_b32 v8, v7 offset:128
	s_waitcnt lgkmcnt(0)
	v_add_f32_e32 v3, v3, v8
	s_or_b32 exec_lo, exec_lo, s0
	s_and_saveexec_b32 s0, vcc_lo
	s_cbranch_execz .LBB21_64
.LBB21_79:
	ds_read_b32 v8, v7 offset:192
	s_waitcnt lgkmcnt(0)
	v_add_f32_e32 v4, v4, v8
	s_or_b32 exec_lo, exec_lo, s0
	s_and_saveexec_b32 s0, vcc_lo
	s_cbranch_execz .LBB21_65
.LBB21_80:
	ds_read_b32 v8, v7 offset:256
	s_waitcnt lgkmcnt(0)
	v_add_f32_e32 v5, v5, v8
	s_or_b32 exec_lo, exec_lo, s0
	s_and_saveexec_b32 s0, vcc_lo
	s_cbranch_execnz .LBB21_66
	s_branch .LBB21_67
	.section	.rodata,"a",@progbits
	.p2align	6, 0x0
	.amdhsa_kernel _ZN4vllm25paged_attention_v2_kernelIffLi96ELi8ELi128ELNS_18Fp8KVCacheDataTypeE0ELb0ELi512EEEvPfS2_PT_PKS3_PKT0_S9_ifPKiSB_iPKfiiiSD_SD_iiiii
		.amdhsa_group_segment_fixed_size 416
		.amdhsa_private_segment_fixed_size 0
		.amdhsa_kernarg_size 400
		.amdhsa_user_sgpr_count 6
		.amdhsa_user_sgpr_private_segment_buffer 1
		.amdhsa_user_sgpr_dispatch_ptr 0
		.amdhsa_user_sgpr_queue_ptr 0
		.amdhsa_user_sgpr_kernarg_segment_ptr 1
		.amdhsa_user_sgpr_dispatch_id 0
		.amdhsa_user_sgpr_flat_scratch_init 0
		.amdhsa_user_sgpr_private_segment_size 0
		.amdhsa_wavefront_size32 1
		.amdhsa_uses_dynamic_stack 0
		.amdhsa_system_sgpr_private_segment_wavefront_offset 0
		.amdhsa_system_sgpr_workgroup_id_x 1
		.amdhsa_system_sgpr_workgroup_id_y 1
		.amdhsa_system_sgpr_workgroup_id_z 1
		.amdhsa_system_sgpr_workgroup_info 0
		.amdhsa_system_vgpr_workitem_id 0
		.amdhsa_next_free_vgpr 67
		.amdhsa_next_free_sgpr 36
		.amdhsa_reserve_vcc 1
		.amdhsa_reserve_flat_scratch 0
		.amdhsa_float_round_mode_32 0
		.amdhsa_float_round_mode_16_64 0
		.amdhsa_float_denorm_mode_32 3
		.amdhsa_float_denorm_mode_16_64 3
		.amdhsa_dx10_clamp 1
		.amdhsa_ieee_mode 1
		.amdhsa_fp16_overflow 0
		.amdhsa_workgroup_processor_mode 1
		.amdhsa_memory_ordered 1
		.amdhsa_forward_progress 1
		.amdhsa_shared_vgpr_count 0
		.amdhsa_exception_fp_ieee_invalid_op 0
		.amdhsa_exception_fp_denorm_src 0
		.amdhsa_exception_fp_ieee_div_zero 0
		.amdhsa_exception_fp_ieee_overflow 0
		.amdhsa_exception_fp_ieee_underflow 0
		.amdhsa_exception_fp_ieee_inexact 0
		.amdhsa_exception_int_div_zero 0
	.end_amdhsa_kernel
	.section	.text._ZN4vllm25paged_attention_v2_kernelIffLi96ELi8ELi128ELNS_18Fp8KVCacheDataTypeE0ELb0ELi512EEEvPfS2_PT_PKS3_PKT0_S9_ifPKiSB_iPKfiiiSD_SD_iiiii,"axG",@progbits,_ZN4vllm25paged_attention_v2_kernelIffLi96ELi8ELi128ELNS_18Fp8KVCacheDataTypeE0ELb0ELi512EEEvPfS2_PT_PKS3_PKT0_S9_ifPKiSB_iPKfiiiSD_SD_iiiii,comdat
.Lfunc_end21:
	.size	_ZN4vllm25paged_attention_v2_kernelIffLi96ELi8ELi128ELNS_18Fp8KVCacheDataTypeE0ELb0ELi512EEEvPfS2_PT_PKS3_PKT0_S9_ifPKiSB_iPKfiiiSD_SD_iiiii, .Lfunc_end21-_ZN4vllm25paged_attention_v2_kernelIffLi96ELi8ELi128ELNS_18Fp8KVCacheDataTypeE0ELb0ELi512EEEvPfS2_PT_PKS3_PKT0_S9_ifPKiSB_iPKfiiiSD_SD_iiiii
                                        ; -- End function
	.set _ZN4vllm25paged_attention_v2_kernelIffLi96ELi8ELi128ELNS_18Fp8KVCacheDataTypeE0ELb0ELi512EEEvPfS2_PT_PKS3_PKT0_S9_ifPKiSB_iPKfiiiSD_SD_iiiii.num_vgpr, 67
	.set _ZN4vllm25paged_attention_v2_kernelIffLi96ELi8ELi128ELNS_18Fp8KVCacheDataTypeE0ELb0ELi512EEEvPfS2_PT_PKS3_PKT0_S9_ifPKiSB_iPKfiiiSD_SD_iiiii.num_agpr, 0
	.set _ZN4vllm25paged_attention_v2_kernelIffLi96ELi8ELi128ELNS_18Fp8KVCacheDataTypeE0ELb0ELi512EEEvPfS2_PT_PKS3_PKT0_S9_ifPKiSB_iPKfiiiSD_SD_iiiii.numbered_sgpr, 36
	.set _ZN4vllm25paged_attention_v2_kernelIffLi96ELi8ELi128ELNS_18Fp8KVCacheDataTypeE0ELb0ELi512EEEvPfS2_PT_PKS3_PKT0_S9_ifPKiSB_iPKfiiiSD_SD_iiiii.num_named_barrier, 0
	.set _ZN4vllm25paged_attention_v2_kernelIffLi96ELi8ELi128ELNS_18Fp8KVCacheDataTypeE0ELb0ELi512EEEvPfS2_PT_PKS3_PKT0_S9_ifPKiSB_iPKfiiiSD_SD_iiiii.private_seg_size, 0
	.set _ZN4vllm25paged_attention_v2_kernelIffLi96ELi8ELi128ELNS_18Fp8KVCacheDataTypeE0ELb0ELi512EEEvPfS2_PT_PKS3_PKT0_S9_ifPKiSB_iPKfiiiSD_SD_iiiii.uses_vcc, 1
	.set _ZN4vllm25paged_attention_v2_kernelIffLi96ELi8ELi128ELNS_18Fp8KVCacheDataTypeE0ELb0ELi512EEEvPfS2_PT_PKS3_PKT0_S9_ifPKiSB_iPKfiiiSD_SD_iiiii.uses_flat_scratch, 0
	.set _ZN4vllm25paged_attention_v2_kernelIffLi96ELi8ELi128ELNS_18Fp8KVCacheDataTypeE0ELb0ELi512EEEvPfS2_PT_PKS3_PKT0_S9_ifPKiSB_iPKfiiiSD_SD_iiiii.has_dyn_sized_stack, 0
	.set _ZN4vllm25paged_attention_v2_kernelIffLi96ELi8ELi128ELNS_18Fp8KVCacheDataTypeE0ELb0ELi512EEEvPfS2_PT_PKS3_PKT0_S9_ifPKiSB_iPKfiiiSD_SD_iiiii.has_recursion, 0
	.set _ZN4vllm25paged_attention_v2_kernelIffLi96ELi8ELi128ELNS_18Fp8KVCacheDataTypeE0ELb0ELi512EEEvPfS2_PT_PKS3_PKT0_S9_ifPKiSB_iPKfiiiSD_SD_iiiii.has_indirect_call, 0
	.section	.AMDGPU.csdata,"",@progbits
; Kernel info:
; codeLenInByte = 4576
; TotalNumSgprs: 38
; NumVgprs: 67
; ScratchSize: 0
; MemoryBound: 0
; FloatMode: 240
; IeeeMode: 1
; LDSByteSize: 416 bytes/workgroup (compile time only)
; SGPRBlocks: 0
; VGPRBlocks: 8
; NumSGPRsForWavesPerEU: 38
; NumVGPRsForWavesPerEU: 67
; Occupancy: 12
; WaveLimiterHint : 1
; COMPUTE_PGM_RSRC2:SCRATCH_EN: 0
; COMPUTE_PGM_RSRC2:USER_SGPR: 6
; COMPUTE_PGM_RSRC2:TRAP_HANDLER: 0
; COMPUTE_PGM_RSRC2:TGID_X_EN: 1
; COMPUTE_PGM_RSRC2:TGID_Y_EN: 1
; COMPUTE_PGM_RSRC2:TGID_Z_EN: 1
; COMPUTE_PGM_RSRC2:TIDIG_COMP_CNT: 0
	.section	.text._ZN4vllm25paged_attention_v2_kernelIffLi112ELi8ELi128ELNS_18Fp8KVCacheDataTypeE0ELb0ELi512EEEvPfS2_PT_PKS3_PKT0_S9_ifPKiSB_iPKfiiiSD_SD_iiiii,"axG",@progbits,_ZN4vllm25paged_attention_v2_kernelIffLi112ELi8ELi128ELNS_18Fp8KVCacheDataTypeE0ELb0ELi512EEEvPfS2_PT_PKS3_PKT0_S9_ifPKiSB_iPKfiiiSD_SD_iiiii,comdat
	.protected	_ZN4vllm25paged_attention_v2_kernelIffLi112ELi8ELi128ELNS_18Fp8KVCacheDataTypeE0ELb0ELi512EEEvPfS2_PT_PKS3_PKT0_S9_ifPKiSB_iPKfiiiSD_SD_iiiii ; -- Begin function _ZN4vllm25paged_attention_v2_kernelIffLi112ELi8ELi128ELNS_18Fp8KVCacheDataTypeE0ELb0ELi512EEEvPfS2_PT_PKS3_PKT0_S9_ifPKiSB_iPKfiiiSD_SD_iiiii
	.globl	_ZN4vllm25paged_attention_v2_kernelIffLi112ELi8ELi128ELNS_18Fp8KVCacheDataTypeE0ELb0ELi512EEEvPfS2_PT_PKS3_PKT0_S9_ifPKiSB_iPKfiiiSD_SD_iiiii
	.p2align	8
	.type	_ZN4vllm25paged_attention_v2_kernelIffLi112ELi8ELi128ELNS_18Fp8KVCacheDataTypeE0ELb0ELi512EEEvPfS2_PT_PKS3_PKT0_S9_ifPKiSB_iPKfiiiSD_SD_iiiii,@function
_ZN4vllm25paged_attention_v2_kernelIffLi112ELi8ELi128ELNS_18Fp8KVCacheDataTypeE0ELb0ELi512EEEvPfS2_PT_PKS3_PKT0_S9_ifPKiSB_iPKfiiiSD_SD_iiiii: ; @_ZN4vllm25paged_attention_v2_kernelIffLi112ELi8ELi128ELNS_18Fp8KVCacheDataTypeE0ELb0ELi512EEEvPfS2_PT_PKS3_PKT0_S9_ifPKiSB_iPKfiiiSD_SD_iiiii
; %bb.0:
	s_load_dwordx2 s[0:1], s[4:5], 0x40
	s_mov_b32 s22, s7
	s_ashr_i32 s23, s7, 31
	s_lshl_b64 s[2:3], s[22:23], 2
	s_waitcnt lgkmcnt(0)
	s_add_u32 s0, s0, s2
	s_addc_u32 s1, s1, s3
	s_lshl_b32 s33, s8, 9
	s_load_dword s23, s[0:1], 0x0
	s_waitcnt lgkmcnt(0)
	s_cmp_ge_i32 s33, s23
	s_cbranch_scc1 .LBB22_74
; %bb.1:
	s_clause 0x1
	s_load_dword s9, s[4:5], 0x90
	s_load_dwordx2 s[30:31], s[4:5], 0x30
	s_mov_b32 s34, 0
	s_waitcnt lgkmcnt(0)
	s_abs_i32 s3, s9
	s_abs_i32 s0, s30
	v_cvt_f32_u32_e32 v1, s0
	s_sub_i32 s2, 0, s0
	v_rcp_iflag_f32_e32 v1, v1
	v_mul_f32_e32 v1, 0x4f7ffffe, v1
	v_cvt_u32_f32_e32 v1, v1
	v_readfirstlane_b32 s1, v1
	s_mul_i32 s2, s2, s1
	s_mul_hi_u32 s2, s1, s2
	s_add_i32 s1, s1, s2
	s_xor_b32 s2, s9, s30
	s_mul_hi_u32 s1, s3, s1
	s_ashr_i32 s2, s2, 31
	s_mul_i32 s7, s1, s0
	s_sub_i32 s3, s3, s7
	s_add_i32 s7, s1, 1
	s_sub_i32 s10, s3, s0
	s_cmp_ge_u32 s3, s0
	s_cselect_b32 s1, s7, s1
	s_cselect_b32 s3, s10, s3
	s_add_i32 s7, s1, 1
	s_cmp_ge_u32 s3, s0
	s_cselect_b32 s0, s7, s1
	s_abs_i32 s16, s6
	s_xor_b32 s0, s0, s2
	s_sub_i32 s10, s0, s2
	s_load_dwordx2 s[0:1], s[4:5], 0x50
	s_abs_i32 s2, s10
	v_cvt_f32_u32_e32 v1, s2
	s_sub_i32 s7, 0, s2
	v_rcp_iflag_f32_e32 v1, v1
	v_mul_f32_e32 v1, 0x4f7ffffe, v1
	v_cvt_u32_f32_e32 v1, v1
	v_readfirstlane_b32 s3, v1
	s_mul_i32 s7, s7, s3
	s_mul_hi_u32 s7, s3, s7
	s_add_i32 s3, s3, s7
	s_waitcnt lgkmcnt(0)
	s_cmp_eq_u64 s[0:1], 0
	s_mul_hi_u32 s3, s16, s3
	s_cbranch_scc1 .LBB22_3
; %bb.2:
	s_ashr_i32 s7, s6, 31
	s_lshl_b64 s[12:13], s[6:7], 2
	s_add_u32 s0, s0, s12
	s_addc_u32 s1, s1, s13
	s_load_dword s34, s[0:1], 0x0
.LBB22_3:
	s_load_dwordx4 s[12:15], s[4:5], 0x58
	v_and_b32_e32 v29, 3, v0
	v_lshlrev_b32_e32 v31, 2, v0
	s_ashr_i32 s0, s6, 31
	s_ashr_i32 s1, s10, 31
	s_mul_i32 s10, s6, 0x70
	s_mov_b32 s7, exec_lo
	v_cmpx_gt_u32_e32 0x70, v0
	s_cbranch_execz .LBB22_5
; %bb.4:
	s_load_dwordx2 s[18:19], s[4:5], 0x18
	s_waitcnt lgkmcnt(0)
	s_mul_i32 s20, s12, s22
	v_and_b32_e32 v2, 0x3fc, v0
	s_ashr_i32 s21, s20, 31
	s_lshl_b64 s[20:21], s[20:21], 2
	v_mad_u32_u24 v2, 0x70, v29, v2
	s_add_u32 s12, s18, s20
	s_addc_u32 s15, s19, s21
	s_ashr_i32 s11, s10, 31
	s_lshl_b64 s[18:19], s[10:11], 2
	s_add_u32 s18, s12, s18
	s_addc_u32 s19, s15, s19
	global_load_dword v1, v31, s[18:19]
	s_waitcnt vmcnt(0)
	ds_write_b32 v2, v1
.LBB22_5:
	s_or_b32 exec_lo, exec_lo, s7
	s_add_i32 s7, s23, 7
	s_load_dwordx2 s[24:25], s[4:5], 0x38
	s_waitcnt lgkmcnt(0)
	s_load_dword s15, s[4:5], 0x48
	s_ashr_i32 s11, s7, 31
	s_lshl_b32 s30, s8, 6
	s_lshr_b32 s11, s11, 29
	s_xor_b32 s0, s0, s1
	s_add_i32 s7, s7, s11
	s_add_i32 s1, s30, 64
	s_ashr_i32 s12, s7, 3
	s_mul_i32 s7, s3, s2
	s_min_i32 s11, s1, s12
	s_sub_i32 s1, s16, s7
	s_add_i32 s7, s3, 1
	s_sub_i32 s16, s1, s2
	s_cmp_ge_u32 s1, s2
	v_lshrrev_b32_e32 v36, 5, v0
	s_cselect_b32 s3, s7, s3
	s_cselect_b32 s1, s16, s1
	s_add_i32 s7, s3, 1
	s_cmp_ge_u32 s1, s2
	v_or_b32_e32 v33, s30, v36
	s_cselect_b32 s1, s7, s3
	v_mbcnt_lo_u32_b32 v32, -1, 0
	s_xor_b32 s1, s1, s0
	s_waitcnt lgkmcnt(0)
	s_mul_i32 s26, s15, s22
	s_sub_i32 s1, s1, s0
	v_cmp_gt_i32_e64 s0, s11, v33
	s_ashr_i32 s27, s26, 31
	s_mov_b32 s2, exec_lo
	s_barrier
	buffer_gl0_inv
                                        ; implicit-def: $vgpr35
                                        ; implicit-def: $vgpr38
	v_cmpx_le_i32_e64 s11, v33
	s_xor_b32 s2, exec_lo, s2
; %bb.6:
	v_mov_b32_e32 v35, 0
	v_mbcnt_lo_u32_b32 v32, -1, 0
	v_mov_b32_e32 v38, 32
                                        ; implicit-def: $vgpr29
; %bb.7:
	s_or_saveexec_b32 s35, s2
	s_clause 0x3
	s_load_dwordx4 s[16:19], s[4:5], 0x0
	s_load_dwordx2 s[20:21], s[4:5], 0x10
	s_load_dwordx2 s[28:29], s[4:5], 0x28
	s_load_dword s7, s[4:5], 0x98
	v_mov_b32_e32 v37, 0xff7fffff
	v_ashrrev_i32_e32 v34, 31, v33
	s_mul_i32 s14, s1, s14
	s_xor_b32 exec_lo, exec_lo, s35
	s_cbranch_execz .LBB22_13
; %bb.8:
	s_load_dwordx2 s[2:3], s[4:5], 0x20
	v_bfe_u32 v30, v0, 2, 3
	v_xor_b32_e32 v18, 2, v32
	s_ashr_i32 s15, s14, 31
	v_xor_b32_e32 v19, 1, v32
	s_lshl_b64 s[4:5], s[14:15], 2
	v_lshlrev_b32_e32 v20, 4, v30
	v_cmp_gt_i32_e32 vcc_lo, 32, v18
	v_lshlrev_b32_e32 v17, 2, v29
	v_mul_u32_u24_e32 v25, 0x70, v29
	ds_read_b128 v[1:4], v25
	ds_read_b128 v[5:8], v25 offset:16
	ds_read_b128 v[9:12], v25 offset:32
	;; [unrolled: 1-line block ×3, first 2 shown]
	v_cndmask_b32_e32 v41, v32, v18, vcc_lo
	v_cmp_gt_i32_e32 vcc_lo, 32, v19
	v_lshlrev_b32_e32 v43, 3, v36
	v_lshlrev_b32_e32 v37, 2, v30
	v_mov_b32_e32 v35, 0
	s_waitcnt lgkmcnt(0)
	s_add_u32 s1, s2, s4
	s_addc_u32 s2, s3, s5
	v_add_co_u32 v18, s1, s1, v20
	v_add_co_ci_u32_e64 v20, null, s2, 0, s1
	v_cndmask_b32_e32 v42, v32, v19, vcc_lo
	v_add_co_u32 v39, vcc_lo, v18, v17
	v_add_co_ci_u32_e64 v40, null, 0, v20, vcc_lo
	ds_read_b128 v[17:20], v25 offset:64
	ds_read_b128 v[21:24], v25 offset:80
	ds_read_b128 v[25:28], v25 offset:96
	v_cmp_eq_u32_e32 vcc_lo, 0, v29
	v_add3_u32 v43, s33, v43, v30
	v_lshlrev_b64 v[29:30], 2, v[33:34]
	s_lshl_b64 s[2:3], s[26:27], 2
	v_lshl_or_b32 v37, v36, 5, v37
	s_sub_i32 s4, 1, s23
	s_add_u32 s2, s24, s2
	s_addc_u32 s3, s25, s3
	v_add_co_u32 v29, s2, s2, v29
	v_mov_b32_e32 v38, 32
	v_lshlrev_b32_e32 v41, 2, v41
	v_lshlrev_b32_e32 v42, 2, v42
	v_cmp_neq_f32_e64 s1, s34, 0
	v_add_nc_u32_e32 v44, 0x1e0, v37
	v_add_co_ci_u32_e64 v30, null, s3, v30, s2
	v_mov_b32_e32 v37, 0xff7fffff
	v_mov_b32_e32 v45, v33
	s_mov_b32 s15, s13
	s_mov_b32 s5, 0
	s_branch .LBB22_10
.LBB22_9:                               ;   in Loop: Header=BB22_10 Depth=1
	s_or_b32 exec_lo, exec_lo, s3
	v_add_nc_u32_e32 v45, 4, v45
	v_add_co_u32 v29, s3, v29, 16
	v_add_nc_u32_e32 v43, 32, v43
	v_add_nc_u32_e32 v44, 0x80, v44
	v_cmp_le_i32_e64 s2, s11, v45
	v_add_co_ci_u32_e64 v30, null, 0, v30, s3
	s_or_b32 s5, s2, s5
	s_andn2_b32 exec_lo, exec_lo, s5
	s_cbranch_execz .LBB22_12
.LBB22_10:                              ; =>This Inner Loop Header: Depth=1
	global_load_dword v46, v[29:30], off
	s_waitcnt vmcnt(0) lgkmcnt(0)
	v_mad_i64_i32 v[46:47], null, v46, s15, 0
	v_lshlrev_b64 v[46:47], 2, v[46:47]
	v_add_co_u32 v46, s2, v39, v46
	v_add_co_ci_u32_e64 v47, null, v40, v47, s2
	s_clause 0xe
	global_load_dword v50, v[46:47], off offset:128
	global_load_dword v51, v[46:47], off offset:256
	;; [unrolled: 1-line block ×7, first 2 shown]
	global_load_dword v57, v[46:47], off
	global_load_dword v58, v[46:47], off offset:1024
	global_load_dword v59, v[46:47], off offset:1152
	;; [unrolled: 1-line block ×7, first 2 shown]
	v_add_co_u32 v48, s2, 0x800, v46
	v_add_co_ci_u32_e64 v49, null, 0, v47, s2
	s_clause 0xc
	global_load_dword v46, v[46:47], off offset:1920
	global_load_dword v47, v[48:49], off
	global_load_dword v65, v[48:49], off offset:128
	global_load_dword v66, v[48:49], off offset:256
	;; [unrolled: 1-line block ×11, first 2 shown]
	s_waitcnt vmcnt(27)
	v_mul_f32_e32 v49, v2, v50
	s_waitcnt vmcnt(20)
	v_fmac_f32_e32 v49, v1, v57
	v_fmac_f32_e32 v49, v3, v51
	v_fmac_f32_e32 v49, v4, v52
	v_fmac_f32_e32 v49, v5, v53
	v_fmac_f32_e32 v49, v6, v54
	v_fmac_f32_e32 v49, v7, v55
	v_fmac_f32_e32 v49, v8, v56
	s_waitcnt vmcnt(19)
	v_fmac_f32_e32 v49, v9, v58
	s_waitcnt vmcnt(18)
	v_fmac_f32_e32 v49, v10, v59
	;; [unrolled: 2-line block ×8, first 2 shown]
	s_waitcnt vmcnt(11) lgkmcnt(2)
	v_fmac_f32_e32 v49, v17, v47
	s_waitcnt vmcnt(10)
	v_fmac_f32_e32 v49, v18, v65
	s_waitcnt vmcnt(9)
	v_fmac_f32_e32 v49, v19, v66
	s_waitcnt vmcnt(8)
	v_fmac_f32_e32 v49, v20, v67
	s_waitcnt vmcnt(7) lgkmcnt(1)
	v_fmac_f32_e32 v49, v21, v68
	s_waitcnt vmcnt(6)
	v_fmac_f32_e32 v49, v22, v69
	s_waitcnt vmcnt(5)
	v_fmac_f32_e32 v49, v23, v70
	s_waitcnt vmcnt(4)
	v_fmac_f32_e32 v49, v24, v71
	;; [unrolled: 8-line block ×3, first 2 shown]
	ds_bpermute_b32 v46, v41, v49
	s_waitcnt lgkmcnt(0)
	v_add_f32_e32 v46, v49, v46
	ds_bpermute_b32 v47, v42, v46
	s_and_saveexec_b32 s3, vcc_lo
	s_cbranch_execz .LBB22_9
; %bb.11:                               ;   in Loop: Header=BB22_10 Depth=1
	v_add_nc_u32_e32 v48, s4, v43
	s_waitcnt lgkmcnt(0)
	v_add_f32_e32 v46, v46, v47
	v_cmp_gt_i32_e64 s2, s23, v43
	v_cvt_f32_i32_e32 v48, v48
	v_mul_f32_e32 v48, s34, v48
	v_cndmask_b32_e64 v47, 0, v48, s1
	v_max_f32_e32 v48, v37, v37
	v_fmac_f32_e32 v47, s31, v46
	v_max_f32_e32 v46, v48, v47
	v_cndmask_b32_e64 v47, 0, v47, s2
	v_cndmask_b32_e64 v37, v37, v46, s2
	ds_write_b32 v44, v47
	s_branch .LBB22_9
.LBB22_12:
	s_or_b32 exec_lo, exec_lo, s5
.LBB22_13:
	s_or_b32 exec_lo, exec_lo, s35
	v_xor_b32_e32 v1, 16, v32
	v_xor_b32_e32 v3, 8, v32
	v_max_f32_e32 v5, v37, v37
	v_cmp_lt_i32_e32 vcc_lo, v1, v38
	v_cndmask_b32_e32 v1, v32, v1, vcc_lo
	v_cmp_lt_i32_e32 vcc_lo, v3, v38
	v_lshlrev_b32_e32 v2, 2, v1
	v_cndmask_b32_e32 v3, v32, v3, vcc_lo
	ds_bpermute_b32 v1, v2, v37
	v_lshlrev_b32_e32 v4, 2, v3
	v_and_b32_e32 v37, 31, v0
	s_waitcnt lgkmcnt(0)
	v_max_f32_e32 v1, v1, v1
	v_max_f32_e32 v1, v5, v1
	v_xor_b32_e32 v5, 4, v32
	ds_bpermute_b32 v3, v4, v1
	v_cmp_lt_i32_e32 vcc_lo, v5, v38
	v_cndmask_b32_e32 v5, v32, v5, vcc_lo
	v_cmp_eq_u32_e32 vcc_lo, 0, v37
	v_lshlrev_b32_e32 v7, 2, v5
	v_lshlrev_b32_e32 v5, 2, v36
	s_waitcnt lgkmcnt(0)
	v_max_f32_e32 v3, v3, v3
	v_max_f32_e32 v1, v1, v3
	ds_bpermute_b32 v3, v7, v1
	s_and_saveexec_b32 s1, vcc_lo
	s_cbranch_execz .LBB22_15
; %bb.14:
	s_waitcnt lgkmcnt(0)
	v_max_f32_e32 v3, v3, v3
	v_max_f32_e32 v1, v1, v1
	;; [unrolled: 1-line block ×3, first 2 shown]
	ds_write_b32 v5, v1 offset:448
.LBB22_15:
	s_or_b32 exec_lo, exec_lo, s1
	v_cmp_gt_u32_e64 s1, 4, v37
	v_mov_b32_e32 v1, 0xff7fffff
	v_lshlrev_b32_e32 v6, 2, v37
	s_waitcnt lgkmcnt(0)
	s_barrier
	buffer_gl0_inv
	s_and_saveexec_b32 s2, s1
; %bb.16:
	ds_read_b32 v1, v6 offset:448
; %bb.17:
	s_or_b32 exec_lo, exec_lo, s2
	v_xor_b32_e32 v3, 2, v32
	v_xor_b32_e32 v9, 1, v32
	v_cmp_lt_i32_e64 s2, v3, v38
	v_cndmask_b32_e64 v3, v32, v3, s2
	v_cmp_lt_i32_e64 s2, v9, v38
	v_lshlrev_b32_e32 v8, 2, v3
	v_cndmask_b32_e64 v9, v32, v9, s2
	s_sub_i32 s2, s11, s30
	s_lshl_b32 s2, s2, 3
	s_waitcnt lgkmcnt(0)
	ds_bpermute_b32 v3, v8, v1
	v_max_f32_e32 v1, v1, v1
	v_lshlrev_b32_e32 v38, 2, v9
	s_add_i32 s2, s2, s33
	v_mov_b32_e32 v9, 0
	s_min_i32 s2, s2, s23
	s_sub_i32 s4, s2, s33
	v_cmp_gt_i32_e64 s2, s4, v0
	s_waitcnt lgkmcnt(0)
	v_max_f32_e32 v3, v3, v3
	v_max_f32_e32 v1, v1, v3
	ds_bpermute_b32 v3, v38, v1
	s_waitcnt lgkmcnt(0)
	v_max_f32_e32 v3, v3, v3
	v_max_f32_e32 v1, v1, v3
	v_lshlrev_b32_e32 v3, 2, v35
	ds_bpermute_b32 v1, v3, v1
	v_lshl_add_u32 v3, v0, 2, 0x1e0
	s_and_saveexec_b32 s5, s2
	s_cbranch_execz .LBB22_21
; %bb.18:
	v_lshl_add_u32 v10, v0, 2, 0x1e0
	v_mov_b32_e32 v9, 0
	v_mov_b32_e32 v11, v0
	s_mov_b32 s15, 0
	.p2align	6
.LBB22_19:                              ; =>This Inner Loop Header: Depth=1
	ds_read_b32 v12, v10
	v_add_nc_u32_e32 v11, 0x80, v11
	v_cmp_le_i32_e64 s3, s4, v11
	s_or_b32 s15, s3, s15
	s_waitcnt lgkmcnt(0)
	v_sub_f32_e32 v12, v12, v1
	v_mul_f32_e32 v12, 0x3fb8aa3b, v12
	v_exp_f32_e32 v12, v12
	ds_write_b32 v10, v12
	v_add_f32_e32 v9, v9, v12
	v_add_nc_u32_e32 v10, 0x200, v10
	s_andn2_b32 exec_lo, exec_lo, s15
	s_cbranch_execnz .LBB22_19
; %bb.20:
	s_or_b32 exec_lo, exec_lo, s15
.LBB22_21:
	s_or_b32 exec_lo, exec_lo, s5
	ds_bpermute_b32 v2, v2, v9
	s_waitcnt lgkmcnt(0)
	v_add_f32_e32 v2, v9, v2
	ds_bpermute_b32 v4, v4, v2
	s_waitcnt lgkmcnt(0)
	v_add_f32_e32 v2, v2, v4
	;; [unrolled: 3-line block ×5, first 2 shown]
	s_and_saveexec_b32 s3, vcc_lo
; %bb.22:
	ds_write_b32 v5, v2 offset:464
; %bb.23:
	s_or_b32 exec_lo, exec_lo, s3
	s_waitcnt lgkmcnt(0)
	s_barrier
	buffer_gl0_inv
	s_and_saveexec_b32 s3, s1
; %bb.24:
	ds_read_b32 v2, v6 offset:464
; %bb.25:
	s_or_b32 exec_lo, exec_lo, s3
	s_waitcnt lgkmcnt(0)
	ds_bpermute_b32 v4, v8, v2
	v_lshlrev_b32_e32 v5, 2, v32
	s_waitcnt lgkmcnt(0)
	v_add_f32_e32 v2, v2, v4
	ds_bpermute_b32 v4, v38, v2
	s_waitcnt lgkmcnt(0)
	v_add_f32_e32 v2, v2, v4
	v_and_b32_e32 v4, 0xffffff80, v5
	ds_bpermute_b32 v2, v4, v2
	s_and_saveexec_b32 s1, s2
	s_cbranch_execz .LBB22_28
; %bb.26:
	s_waitcnt lgkmcnt(0)
	v_add_f32_e32 v4, 0x358637bd, v2
	s_mov_b32 s2, 0
	v_div_scale_f32 v5, null, v4, v4, 1.0
	v_div_scale_f32 v8, vcc_lo, 1.0, v4, 1.0
	v_rcp_f32_e32 v6, v5
	v_fma_f32 v7, -v5, v6, 1.0
	v_fmac_f32_e32 v6, v7, v6
	v_mul_f32_e32 v7, v8, v6
	v_fma_f32 v9, -v5, v7, v8
	v_fmac_f32_e32 v7, v9, v6
	v_fma_f32 v5, -v5, v7, v8
	v_div_fmas_f32 v5, v5, v6, v7
	v_div_fixup_f32 v4, v5, v4, 1.0
	v_mov_b32_e32 v5, v0
.LBB22_27:                              ; =>This Inner Loop Header: Depth=1
	ds_read_b32 v6, v3
	v_add_nc_u32_e32 v5, 0x80, v5
	v_cmp_le_i32_e32 vcc_lo, s4, v5
	s_or_b32 s2, vcc_lo, s2
	s_waitcnt lgkmcnt(0)
	v_mul_f32_e32 v6, v4, v6
	ds_write_b32 v3, v6
	v_add_nc_u32_e32 v3, 0x200, v3
	s_andn2_b32 exec_lo, exec_lo, s2
	s_cbranch_execnz .LBB22_27
.LBB22_28:
	s_or_b32 exec_lo, exec_lo, s1
	s_mul_i32 s1, s7, s22
	s_waitcnt lgkmcnt(0)
	s_mul_i32 s2, s1, s9
	s_mov_b32 s1, exec_lo
	s_barrier
	buffer_gl0_inv
	v_cmpx_eq_u32_e32 0, v0
	s_cbranch_execz .LBB22_30
; %bb.29:
	s_ashr_i32 s3, s2, 31
	s_mul_i32 s30, s7, s6
	s_lshl_b64 s[4:5], s[2:3], 2
	v_mov_b32_e32 v3, 0
	s_add_u32 s3, s18, s4
	s_addc_u32 s6, s19, s5
	s_ashr_i32 s31, s30, 31
	s_lshl_b64 s[18:19], s[30:31], 2
	s_add_u32 s3, s3, s18
	s_addc_u32 s6, s6, s19
	s_ashr_i32 s9, s8, 31
	s_lshl_b64 s[30:31], s[8:9], 2
	s_add_u32 s34, s3, s30
	s_addc_u32 s35, s6, s31
	s_add_u32 s3, s16, s4
	s_addc_u32 s4, s17, s5
	;; [unrolled: 2-line block ×4, first 2 shown]
	global_store_dword v3, v1, s[34:35]
	global_store_dword v3, v2, s[4:5]
.LBB22_30:
	s_or_b32 exec_lo, exec_lo, s1
	v_mov_b32_e32 v44, 0
	v_and_b32_e32 v39, 1, v0
	v_mov_b32_e32 v46, 0
	v_mov_b32_e32 v45, 0
	;; [unrolled: 1-line block ×6, first 2 shown]
	s_and_saveexec_b32 s1, s0
	s_cbranch_execz .LBB22_48
; %bb.31:
	v_lshlrev_b32_e32 v2, 4, v0
	s_ashr_i32 s15, s14, 31
	v_and_b32_e32 v1, 4, v31
	v_lshl_add_u32 v4, v36, 3, s33
	s_lshl_b64 s[4:5], s[14:15], 2
	v_and_b32_e32 v2, 0x1f0, v2
	s_add_u32 s0, s28, s4
	v_lshlrev_b32_e32 v3, 4, v39
	v_add3_u32 v49, v4, v1, 3
	s_addc_u32 s3, s29, s5
	v_add_co_u32 v47, s0, s0, v2
	v_lshlrev_b64 v[1:2], 2, v[33:34]
	s_lshl_b64 s[4:5], s[26:27], 2
	s_add_i32 s12, s12, -1
	v_lshl_or_b32 v3, v36, 5, v3
	v_add_co_ci_u32_e64 v48, null, s3, 0, s0
	s_add_u32 s0, s24, s4
	s_addc_u32 s3, s25, s5
	v_add_co_u32 v34, vcc_lo, s0, v1
	v_mov_b32_e32 v40, 0
	v_add_nc_u32_e32 v50, 0x1e0, v3
	v_add_co_ci_u32_e64 v35, null, s3, v2, vcc_lo
	v_mov_b32_e32 v41, 0
	v_mov_b32_e32 v42, 0
	;; [unrolled: 1-line block ×6, first 2 shown]
	s_mov_b32 s4, s13
	s_mov_b32 s3, 0
	s_branch .LBB22_33
.LBB22_32:                              ;   in Loop: Header=BB22_33 Depth=1
	s_or_b32 exec_lo, exec_lo, s0
	s_waitcnt vmcnt(1) lgkmcnt(0)
	v_mul_f32_e32 v25, v1, v25
	v_mul_f32_e32 v21, v1, v21
	;; [unrolled: 1-line block ×6, first 2 shown]
	s_waitcnt vmcnt(0)
	v_mul_f32_e32 v1, v1, v29
	v_fmac_f32_e32 v25, v2, v26
	v_fmac_f32_e32 v21, v2, v22
	;; [unrolled: 1-line block ×14, first 2 shown]
	v_add_nc_u32_e32 v33, 4, v33
	v_fmac_f32_e32 v25, v4, v28
	v_fmac_f32_e32 v21, v4, v24
	v_fmac_f32_e32 v17, v4, v20
	v_fmac_f32_e32 v13, v4, v16
	v_fmac_f32_e32 v9, v4, v12
	v_fmac_f32_e32 v5, v4, v8
	v_fmac_f32_e32 v1, v4, v32
	v_cmp_le_i32_e32 vcc_lo, s11, v33
	v_add_co_u32 v34, s0, v34, 16
	v_add_f32_e32 v41, v41, v25
	v_add_f32_e32 v42, v42, v21
	v_add_f32_e32 v43, v43, v17
	v_add_f32_e32 v45, v45, v13
	v_add_f32_e32 v46, v46, v9
	v_add_f32_e32 v44, v44, v5
	v_add_f32_e32 v40, v40, v1
	v_add_nc_u32_e32 v49, 32, v49
	v_add_nc_u32_e32 v50, 0x80, v50
	v_add_co_ci_u32_e64 v35, null, 0, v35, s0
	s_or_b32 s3, vcc_lo, s3
	s_andn2_b32 exec_lo, exec_lo, s3
	s_cbranch_execz .LBB22_47
.LBB22_33:                              ; =>This Inner Loop Header: Depth=1
	global_load_dword v1, v[34:35], off
	v_add_nc_u32_e32 v51, -3, v49
	v_add_nc_u32_e32 v53, -2, v49
	;; [unrolled: 1-line block ×3, first 2 shown]
	s_waitcnt vmcnt(0)
	v_mad_i64_i32 v[1:2], null, v1, s4, 0
	v_lshlrev_b64 v[1:2], 2, v[1:2]
	v_add_co_u32 v21, vcc_lo, v47, v1
	v_add_co_ci_u32_e64 v22, null, v48, v2, vcc_lo
	ds_read_b128 v[1:4], v50
	v_cmp_eq_u32_e32 vcc_lo, s12, v33
	global_load_dwordx4 v[5:8], v[21:22], off
	s_and_saveexec_b32 s5, vcc_lo
	s_cbranch_execnz .LBB22_41
; %bb.34:                               ;   in Loop: Header=BB22_33 Depth=1
	s_or_b32 exec_lo, exec_lo, s5
	global_load_dwordx4 v[9:12], v[21:22], off offset:512
	s_and_saveexec_b32 s5, vcc_lo
	s_cbranch_execnz .LBB22_42
.LBB22_35:                              ;   in Loop: Header=BB22_33 Depth=1
	s_or_b32 exec_lo, exec_lo, s5
	global_load_dwordx4 v[13:16], v[21:22], off offset:1024
	s_and_saveexec_b32 s5, vcc_lo
	s_cbranch_execnz .LBB22_43
.LBB22_36:                              ;   in Loop: Header=BB22_33 Depth=1
	s_or_b32 exec_lo, exec_lo, s5
	global_load_dwordx4 v[17:20], v[21:22], off offset:1536
	s_and_saveexec_b32 s5, vcc_lo
	s_cbranch_execz .LBB22_38
.LBB22_37:                              ;   in Loop: Header=BB22_33 Depth=1
	v_cmp_gt_i32_e64 s0, s23, v51
	s_waitcnt vmcnt(0)
	v_cndmask_b32_e64 v17, 0, v17, s0
	v_cmp_gt_i32_e64 s0, s23, v53
	v_cndmask_b32_e64 v18, 0, v18, s0
	v_cmp_gt_i32_e64 s0, s23, v52
	;; [unrolled: 2-line block ×3, first 2 shown]
	v_cndmask_b32_e64 v20, 0, v20, s0
.LBB22_38:                              ;   in Loop: Header=BB22_33 Depth=1
	s_or_b32 exec_lo, exec_lo, s5
	v_add_co_u32 v29, s0, 0x800, v21
	v_add_co_ci_u32_e64 v30, null, 0, v22, s0
	global_load_dwordx4 v[21:24], v[29:30], off
	s_and_saveexec_b32 s5, vcc_lo
	s_cbranch_execnz .LBB22_44
; %bb.39:                               ;   in Loop: Header=BB22_33 Depth=1
	s_or_b32 exec_lo, exec_lo, s5
	global_load_dwordx4 v[25:28], v[29:30], off offset:512
	s_and_saveexec_b32 s5, vcc_lo
	s_cbranch_execnz .LBB22_45
.LBB22_40:                              ;   in Loop: Header=BB22_33 Depth=1
	s_or_b32 exec_lo, exec_lo, s5
	global_load_dwordx4 v[29:32], v[29:30], off offset:1024
	s_and_saveexec_b32 s0, vcc_lo
	s_cbranch_execz .LBB22_32
	s_branch .LBB22_46
.LBB22_41:                              ;   in Loop: Header=BB22_33 Depth=1
	v_cmp_gt_i32_e64 s0, s23, v51
	s_waitcnt vmcnt(0)
	v_cndmask_b32_e64 v5, 0, v5, s0
	v_cmp_gt_i32_e64 s0, s23, v53
	v_cndmask_b32_e64 v6, 0, v6, s0
	v_cmp_gt_i32_e64 s0, s23, v52
	;; [unrolled: 2-line block ×3, first 2 shown]
	v_cndmask_b32_e64 v8, 0, v8, s0
	s_or_b32 exec_lo, exec_lo, s5
	global_load_dwordx4 v[9:12], v[21:22], off offset:512
	s_and_saveexec_b32 s5, vcc_lo
	s_cbranch_execz .LBB22_35
.LBB22_42:                              ;   in Loop: Header=BB22_33 Depth=1
	v_cmp_gt_i32_e64 s0, s23, v51
	s_waitcnt vmcnt(0)
	v_cndmask_b32_e64 v9, 0, v9, s0
	v_cmp_gt_i32_e64 s0, s23, v53
	v_cndmask_b32_e64 v10, 0, v10, s0
	v_cmp_gt_i32_e64 s0, s23, v52
	;; [unrolled: 2-line block ×3, first 2 shown]
	v_cndmask_b32_e64 v12, 0, v12, s0
	s_or_b32 exec_lo, exec_lo, s5
	global_load_dwordx4 v[13:16], v[21:22], off offset:1024
	s_and_saveexec_b32 s5, vcc_lo
	s_cbranch_execz .LBB22_36
.LBB22_43:                              ;   in Loop: Header=BB22_33 Depth=1
	v_cmp_gt_i32_e64 s0, s23, v51
	s_waitcnt vmcnt(0)
	v_cndmask_b32_e64 v13, 0, v13, s0
	v_cmp_gt_i32_e64 s0, s23, v53
	v_cndmask_b32_e64 v14, 0, v14, s0
	v_cmp_gt_i32_e64 s0, s23, v52
	;; [unrolled: 2-line block ×3, first 2 shown]
	v_cndmask_b32_e64 v16, 0, v16, s0
	s_or_b32 exec_lo, exec_lo, s5
	global_load_dwordx4 v[17:20], v[21:22], off offset:1536
	s_and_saveexec_b32 s5, vcc_lo
	s_cbranch_execnz .LBB22_37
	s_branch .LBB22_38
.LBB22_44:                              ;   in Loop: Header=BB22_33 Depth=1
	v_cmp_gt_i32_e64 s0, s23, v51
	s_waitcnt vmcnt(0)
	v_cndmask_b32_e64 v21, 0, v21, s0
	v_cmp_gt_i32_e64 s0, s23, v53
	v_cndmask_b32_e64 v22, 0, v22, s0
	v_cmp_gt_i32_e64 s0, s23, v52
	;; [unrolled: 2-line block ×3, first 2 shown]
	v_cndmask_b32_e64 v24, 0, v24, s0
	s_or_b32 exec_lo, exec_lo, s5
	global_load_dwordx4 v[25:28], v[29:30], off offset:512
	s_and_saveexec_b32 s5, vcc_lo
	s_cbranch_execz .LBB22_40
.LBB22_45:                              ;   in Loop: Header=BB22_33 Depth=1
	v_cmp_gt_i32_e64 s0, s23, v51
	s_waitcnt vmcnt(0)
	v_cndmask_b32_e64 v25, 0, v25, s0
	v_cmp_gt_i32_e64 s0, s23, v53
	v_cndmask_b32_e64 v26, 0, v26, s0
	v_cmp_gt_i32_e64 s0, s23, v52
	;; [unrolled: 2-line block ×3, first 2 shown]
	v_cndmask_b32_e64 v28, 0, v28, s0
	s_or_b32 exec_lo, exec_lo, s5
	global_load_dwordx4 v[29:32], v[29:30], off offset:1024
	s_and_saveexec_b32 s0, vcc_lo
	s_cbranch_execz .LBB22_32
.LBB22_46:                              ;   in Loop: Header=BB22_33 Depth=1
	v_cmp_gt_i32_e32 vcc_lo, s23, v51
	s_waitcnt vmcnt(0)
	v_cndmask_b32_e32 v29, 0, v29, vcc_lo
	v_cmp_gt_i32_e32 vcc_lo, s23, v53
	v_cndmask_b32_e32 v30, 0, v30, vcc_lo
	v_cmp_gt_i32_e32 vcc_lo, s23, v52
	;; [unrolled: 2-line block ×3, first 2 shown]
	v_cndmask_b32_e32 v32, 0, v32, vcc_lo
	s_branch .LBB22_32
.LBB22_47:
	s_or_b32 exec_lo, exec_lo, s3
.LBB22_48:
	s_or_b32 exec_lo, exec_lo, s1
	ds_bpermute_b32 v1, v38, v44
	ds_bpermute_b32 v2, v38, v46
	;; [unrolled: 1-line block ×7, first 2 shown]
	v_lshrrev_b32_e32 v8, 1, v37
	v_mul_u32_u24_e32 v10, 0x1c0, v36
	v_and_b32_e32 v11, 0x3c1, v0
	s_mov_b32 s0, exec_lo
	s_waitcnt lgkmcnt(0)
	s_waitcnt_vscnt null, 0x0
	v_lshl_add_u32 v9, v8, 2, 0x1e0
	s_barrier
	buffer_gl0_inv
	v_add_f32_e32 v1, v44, v1
	v_add_f32_e32 v2, v46, v2
	;; [unrolled: 1-line block ×7, first 2 shown]
	v_cmpx_eq_u32_e32 64, v11
	s_cbranch_execz .LBB22_50
; %bb.49:
	v_add_nc_u32_e32 v11, v9, v10
	v_add_nc_u32_e32 v12, 0xfffffc80, v11
	;; [unrolled: 1-line block ×8, first 2 shown]
	ds_write_b32 v12, v1
	ds_write_b32 v13, v2
	;; [unrolled: 1-line block ×7, first 2 shown]
.LBB22_50:
	s_or_b32 exec_lo, exec_lo, s0
	v_lshlrev_b32_e32 v8, 2, v8
	s_mov_b32 s1, exec_lo
	v_cmp_eq_u32_e32 vcc_lo, 0, v39
	s_waitcnt lgkmcnt(0)
	s_barrier
	v_add3_u32 v8, 0x1e0, v10, v8
	buffer_gl0_inv
	v_cmpx_gt_u32_e32 64, v0
	s_cbranch_execz .LBB22_60
; %bb.51:
	s_and_saveexec_b32 s0, vcc_lo
	s_cbranch_execnz .LBB22_75
; %bb.52:
	s_or_b32 exec_lo, exec_lo, s0
	s_and_saveexec_b32 s0, vcc_lo
	s_cbranch_execnz .LBB22_76
.LBB22_53:
	s_or_b32 exec_lo, exec_lo, s0
	s_and_saveexec_b32 s0, vcc_lo
	s_cbranch_execnz .LBB22_77
.LBB22_54:
	s_or_b32 exec_lo, exec_lo, s0
	s_and_saveexec_b32 s0, vcc_lo
	s_cbranch_execnz .LBB22_78
.LBB22_55:
	s_or_b32 exec_lo, exec_lo, s0
	s_and_saveexec_b32 s0, vcc_lo
	s_cbranch_execnz .LBB22_79
.LBB22_56:
	s_or_b32 exec_lo, exec_lo, s0
	s_and_saveexec_b32 s0, vcc_lo
	s_cbranch_execnz .LBB22_80
.LBB22_57:
	s_or_b32 exec_lo, exec_lo, s0
	s_and_saveexec_b32 s0, vcc_lo
	s_cbranch_execz .LBB22_59
.LBB22_58:
	ds_read_b32 v10, v8 offset:384
	s_waitcnt lgkmcnt(0)
	v_add_f32_e32 v7, v7, v10
.LBB22_59:
	s_or_b32 exec_lo, exec_lo, s0
.LBB22_60:
	s_or_b32 exec_lo, exec_lo, s1
	v_and_b32_e32 v10, 0x3e1, v0
	s_mov_b32 s1, exec_lo
	s_barrier
	buffer_gl0_inv
	v_cmpx_eq_u32_e32 32, v10
	s_cbranch_execz .LBB22_62
; %bb.61:
	ds_write2_b32 v9, v1, v2 offset1:16
	ds_write2_b32 v9, v3, v4 offset0:32 offset1:48
	ds_write2_b32 v9, v5, v6 offset0:64 offset1:80
	ds_write_b32 v9, v7 offset:384
.LBB22_62:
	s_or_b32 exec_lo, exec_lo, s1
	s_mov_b32 s1, exec_lo
	s_waitcnt lgkmcnt(0)
	s_barrier
	buffer_gl0_inv
	v_cmpx_gt_u32_e32 32, v0
	s_cbranch_execz .LBB22_72
; %bb.63:
	s_and_saveexec_b32 s0, vcc_lo
	s_cbranch_execnz .LBB22_81
; %bb.64:
	s_or_b32 exec_lo, exec_lo, s0
	s_and_saveexec_b32 s0, vcc_lo
	s_cbranch_execnz .LBB22_82
.LBB22_65:
	s_or_b32 exec_lo, exec_lo, s0
	s_and_saveexec_b32 s0, vcc_lo
	s_cbranch_execnz .LBB22_83
.LBB22_66:
	s_or_b32 exec_lo, exec_lo, s0
	s_and_saveexec_b32 s0, vcc_lo
	s_cbranch_execnz .LBB22_84
.LBB22_67:
	s_or_b32 exec_lo, exec_lo, s0
	s_and_saveexec_b32 s0, vcc_lo
	s_cbranch_execnz .LBB22_85
.LBB22_68:
	s_or_b32 exec_lo, exec_lo, s0
	s_and_saveexec_b32 s0, vcc_lo
	s_cbranch_execnz .LBB22_86
.LBB22_69:
	s_or_b32 exec_lo, exec_lo, s0
	s_and_saveexec_b32 s0, vcc_lo
	s_cbranch_execz .LBB22_71
.LBB22_70:
	ds_read_b32 v8, v8 offset:384
	s_waitcnt lgkmcnt(0)
	v_add_f32_e32 v7, v7, v8
.LBB22_71:
	s_or_b32 exec_lo, exec_lo, s0
.LBB22_72:
	s_or_b32 exec_lo, exec_lo, s1
	s_barrier
	buffer_gl0_inv
	s_mov_b32 s0, exec_lo
	v_cmpx_eq_u32_e32 0, v10
	s_cbranch_execz .LBB22_74
; %bb.73:
	s_mul_i32 s0, s2, 0x70
	s_mul_i32 s2, s7, s10
	s_ashr_i32 s1, s0, 31
	v_lshlrev_b32_e32 v0, 1, v0
	s_lshl_b64 s[0:1], s[0:1], 2
	s_add_u32 s4, s20, s0
	s_addc_u32 s5, s21, s1
	s_ashr_i32 s3, s2, 31
	s_lshl_b64 s[0:1], s[2:3], 2
	s_mul_i32 s2, s8, 0x70
	s_add_u32 s4, s4, s0
	s_addc_u32 s5, s5, s1
	s_ashr_i32 s3, s2, 31
	s_lshl_b64 s[0:1], s[2:3], 2
	s_add_u32 s0, s4, s0
	s_addc_u32 s1, s5, s1
	global_store_dword v0, v1, s[0:1]
	global_store_dword v0, v2, s[0:1] offset:64
	global_store_dword v0, v3, s[0:1] offset:128
	;; [unrolled: 1-line block ×6, first 2 shown]
.LBB22_74:
	s_endpgm
.LBB22_75:
	ds_read_b32 v10, v8
	s_waitcnt lgkmcnt(0)
	v_add_f32_e32 v1, v1, v10
	s_or_b32 exec_lo, exec_lo, s0
	s_and_saveexec_b32 s0, vcc_lo
	s_cbranch_execz .LBB22_53
.LBB22_76:
	ds_read_b32 v10, v8 offset:64
	s_waitcnt lgkmcnt(0)
	v_add_f32_e32 v2, v2, v10
	s_or_b32 exec_lo, exec_lo, s0
	s_and_saveexec_b32 s0, vcc_lo
	s_cbranch_execz .LBB22_54
.LBB22_77:
	ds_read_b32 v10, v8 offset:128
	s_waitcnt lgkmcnt(0)
	v_add_f32_e32 v3, v3, v10
	s_or_b32 exec_lo, exec_lo, s0
	s_and_saveexec_b32 s0, vcc_lo
	s_cbranch_execz .LBB22_55
.LBB22_78:
	ds_read_b32 v10, v8 offset:192
	s_waitcnt lgkmcnt(0)
	v_add_f32_e32 v4, v4, v10
	s_or_b32 exec_lo, exec_lo, s0
	s_and_saveexec_b32 s0, vcc_lo
	s_cbranch_execz .LBB22_56
.LBB22_79:
	ds_read_b32 v10, v8 offset:256
	s_waitcnt lgkmcnt(0)
	v_add_f32_e32 v5, v5, v10
	s_or_b32 exec_lo, exec_lo, s0
	s_and_saveexec_b32 s0, vcc_lo
	s_cbranch_execz .LBB22_57
.LBB22_80:
	ds_read_b32 v10, v8 offset:320
	s_waitcnt lgkmcnt(0)
	v_add_f32_e32 v6, v6, v10
	s_or_b32 exec_lo, exec_lo, s0
	s_and_saveexec_b32 s0, vcc_lo
	s_cbranch_execnz .LBB22_58
	s_branch .LBB22_59
.LBB22_81:
	ds_read_b32 v9, v8
	s_waitcnt lgkmcnt(0)
	v_add_f32_e32 v1, v1, v9
	s_or_b32 exec_lo, exec_lo, s0
	s_and_saveexec_b32 s0, vcc_lo
	s_cbranch_execz .LBB22_65
.LBB22_82:
	ds_read_b32 v9, v8 offset:64
	s_waitcnt lgkmcnt(0)
	v_add_f32_e32 v2, v2, v9
	s_or_b32 exec_lo, exec_lo, s0
	s_and_saveexec_b32 s0, vcc_lo
	s_cbranch_execz .LBB22_66
.LBB22_83:
	ds_read_b32 v9, v8 offset:128
	s_waitcnt lgkmcnt(0)
	v_add_f32_e32 v3, v3, v9
	s_or_b32 exec_lo, exec_lo, s0
	s_and_saveexec_b32 s0, vcc_lo
	s_cbranch_execz .LBB22_67
.LBB22_84:
	ds_read_b32 v9, v8 offset:192
	s_waitcnt lgkmcnt(0)
	v_add_f32_e32 v4, v4, v9
	s_or_b32 exec_lo, exec_lo, s0
	s_and_saveexec_b32 s0, vcc_lo
	s_cbranch_execz .LBB22_68
.LBB22_85:
	ds_read_b32 v9, v8 offset:256
	s_waitcnt lgkmcnt(0)
	v_add_f32_e32 v5, v5, v9
	s_or_b32 exec_lo, exec_lo, s0
	s_and_saveexec_b32 s0, vcc_lo
	s_cbranch_execz .LBB22_69
.LBB22_86:
	ds_read_b32 v9, v8 offset:320
	s_waitcnt lgkmcnt(0)
	v_add_f32_e32 v6, v6, v9
	s_or_b32 exec_lo, exec_lo, s0
	s_and_saveexec_b32 s0, vcc_lo
	s_cbranch_execnz .LBB22_70
	s_branch .LBB22_71
	.section	.rodata,"a",@progbits
	.p2align	6, 0x0
	.amdhsa_kernel _ZN4vllm25paged_attention_v2_kernelIffLi112ELi8ELi128ELNS_18Fp8KVCacheDataTypeE0ELb0ELi512EEEvPfS2_PT_PKS3_PKT0_S9_ifPKiSB_iPKfiiiSD_SD_iiiii
		.amdhsa_group_segment_fixed_size 480
		.amdhsa_private_segment_fixed_size 0
		.amdhsa_kernarg_size 400
		.amdhsa_user_sgpr_count 6
		.amdhsa_user_sgpr_private_segment_buffer 1
		.amdhsa_user_sgpr_dispatch_ptr 0
		.amdhsa_user_sgpr_queue_ptr 0
		.amdhsa_user_sgpr_kernarg_segment_ptr 1
		.amdhsa_user_sgpr_dispatch_id 0
		.amdhsa_user_sgpr_flat_scratch_init 0
		.amdhsa_user_sgpr_private_segment_size 0
		.amdhsa_wavefront_size32 1
		.amdhsa_uses_dynamic_stack 0
		.amdhsa_system_sgpr_private_segment_wavefront_offset 0
		.amdhsa_system_sgpr_workgroup_id_x 1
		.amdhsa_system_sgpr_workgroup_id_y 1
		.amdhsa_system_sgpr_workgroup_id_z 1
		.amdhsa_system_sgpr_workgroup_info 0
		.amdhsa_system_vgpr_workitem_id 0
		.amdhsa_next_free_vgpr 75
		.amdhsa_next_free_sgpr 36
		.amdhsa_reserve_vcc 1
		.amdhsa_reserve_flat_scratch 0
		.amdhsa_float_round_mode_32 0
		.amdhsa_float_round_mode_16_64 0
		.amdhsa_float_denorm_mode_32 3
		.amdhsa_float_denorm_mode_16_64 3
		.amdhsa_dx10_clamp 1
		.amdhsa_ieee_mode 1
		.amdhsa_fp16_overflow 0
		.amdhsa_workgroup_processor_mode 1
		.amdhsa_memory_ordered 1
		.amdhsa_forward_progress 1
		.amdhsa_shared_vgpr_count 0
		.amdhsa_exception_fp_ieee_invalid_op 0
		.amdhsa_exception_fp_denorm_src 0
		.amdhsa_exception_fp_ieee_div_zero 0
		.amdhsa_exception_fp_ieee_overflow 0
		.amdhsa_exception_fp_ieee_underflow 0
		.amdhsa_exception_fp_ieee_inexact 0
		.amdhsa_exception_int_div_zero 0
	.end_amdhsa_kernel
	.section	.text._ZN4vllm25paged_attention_v2_kernelIffLi112ELi8ELi128ELNS_18Fp8KVCacheDataTypeE0ELb0ELi512EEEvPfS2_PT_PKS3_PKT0_S9_ifPKiSB_iPKfiiiSD_SD_iiiii,"axG",@progbits,_ZN4vllm25paged_attention_v2_kernelIffLi112ELi8ELi128ELNS_18Fp8KVCacheDataTypeE0ELb0ELi512EEEvPfS2_PT_PKS3_PKT0_S9_ifPKiSB_iPKfiiiSD_SD_iiiii,comdat
.Lfunc_end22:
	.size	_ZN4vllm25paged_attention_v2_kernelIffLi112ELi8ELi128ELNS_18Fp8KVCacheDataTypeE0ELb0ELi512EEEvPfS2_PT_PKS3_PKT0_S9_ifPKiSB_iPKfiiiSD_SD_iiiii, .Lfunc_end22-_ZN4vllm25paged_attention_v2_kernelIffLi112ELi8ELi128ELNS_18Fp8KVCacheDataTypeE0ELb0ELi512EEEvPfS2_PT_PKS3_PKT0_S9_ifPKiSB_iPKfiiiSD_SD_iiiii
                                        ; -- End function
	.set _ZN4vllm25paged_attention_v2_kernelIffLi112ELi8ELi128ELNS_18Fp8KVCacheDataTypeE0ELb0ELi512EEEvPfS2_PT_PKS3_PKT0_S9_ifPKiSB_iPKfiiiSD_SD_iiiii.num_vgpr, 75
	.set _ZN4vllm25paged_attention_v2_kernelIffLi112ELi8ELi128ELNS_18Fp8KVCacheDataTypeE0ELb0ELi512EEEvPfS2_PT_PKS3_PKT0_S9_ifPKiSB_iPKfiiiSD_SD_iiiii.num_agpr, 0
	.set _ZN4vllm25paged_attention_v2_kernelIffLi112ELi8ELi128ELNS_18Fp8KVCacheDataTypeE0ELb0ELi512EEEvPfS2_PT_PKS3_PKT0_S9_ifPKiSB_iPKfiiiSD_SD_iiiii.numbered_sgpr, 36
	.set _ZN4vllm25paged_attention_v2_kernelIffLi112ELi8ELi128ELNS_18Fp8KVCacheDataTypeE0ELb0ELi512EEEvPfS2_PT_PKS3_PKT0_S9_ifPKiSB_iPKfiiiSD_SD_iiiii.num_named_barrier, 0
	.set _ZN4vllm25paged_attention_v2_kernelIffLi112ELi8ELi128ELNS_18Fp8KVCacheDataTypeE0ELb0ELi512EEEvPfS2_PT_PKS3_PKT0_S9_ifPKiSB_iPKfiiiSD_SD_iiiii.private_seg_size, 0
	.set _ZN4vllm25paged_attention_v2_kernelIffLi112ELi8ELi128ELNS_18Fp8KVCacheDataTypeE0ELb0ELi512EEEvPfS2_PT_PKS3_PKT0_S9_ifPKiSB_iPKfiiiSD_SD_iiiii.uses_vcc, 1
	.set _ZN4vllm25paged_attention_v2_kernelIffLi112ELi8ELi128ELNS_18Fp8KVCacheDataTypeE0ELb0ELi512EEEvPfS2_PT_PKS3_PKT0_S9_ifPKiSB_iPKfiiiSD_SD_iiiii.uses_flat_scratch, 0
	.set _ZN4vllm25paged_attention_v2_kernelIffLi112ELi8ELi128ELNS_18Fp8KVCacheDataTypeE0ELb0ELi512EEEvPfS2_PT_PKS3_PKT0_S9_ifPKiSB_iPKfiiiSD_SD_iiiii.has_dyn_sized_stack, 0
	.set _ZN4vllm25paged_attention_v2_kernelIffLi112ELi8ELi128ELNS_18Fp8KVCacheDataTypeE0ELb0ELi512EEEvPfS2_PT_PKS3_PKT0_S9_ifPKiSB_iPKfiiiSD_SD_iiiii.has_recursion, 0
	.set _ZN4vllm25paged_attention_v2_kernelIffLi112ELi8ELi128ELNS_18Fp8KVCacheDataTypeE0ELb0ELi512EEEvPfS2_PT_PKS3_PKT0_S9_ifPKiSB_iPKfiiiSD_SD_iiiii.has_indirect_call, 0
	.section	.AMDGPU.csdata,"",@progbits
; Kernel info:
; codeLenInByte = 4924
; TotalNumSgprs: 38
; NumVgprs: 75
; ScratchSize: 0
; MemoryBound: 0
; FloatMode: 240
; IeeeMode: 1
; LDSByteSize: 480 bytes/workgroup (compile time only)
; SGPRBlocks: 0
; VGPRBlocks: 9
; NumSGPRsForWavesPerEU: 38
; NumVGPRsForWavesPerEU: 75
; Occupancy: 12
; WaveLimiterHint : 1
; COMPUTE_PGM_RSRC2:SCRATCH_EN: 0
; COMPUTE_PGM_RSRC2:USER_SGPR: 6
; COMPUTE_PGM_RSRC2:TRAP_HANDLER: 0
; COMPUTE_PGM_RSRC2:TGID_X_EN: 1
; COMPUTE_PGM_RSRC2:TGID_Y_EN: 1
; COMPUTE_PGM_RSRC2:TGID_Z_EN: 1
; COMPUTE_PGM_RSRC2:TIDIG_COMP_CNT: 0
	.section	.text._ZN4vllm25paged_attention_v2_kernelIffLi120ELi8ELi128ELNS_18Fp8KVCacheDataTypeE0ELb0ELi512EEEvPfS2_PT_PKS3_PKT0_S9_ifPKiSB_iPKfiiiSD_SD_iiiii,"axG",@progbits,_ZN4vllm25paged_attention_v2_kernelIffLi120ELi8ELi128ELNS_18Fp8KVCacheDataTypeE0ELb0ELi512EEEvPfS2_PT_PKS3_PKT0_S9_ifPKiSB_iPKfiiiSD_SD_iiiii,comdat
	.protected	_ZN4vllm25paged_attention_v2_kernelIffLi120ELi8ELi128ELNS_18Fp8KVCacheDataTypeE0ELb0ELi512EEEvPfS2_PT_PKS3_PKT0_S9_ifPKiSB_iPKfiiiSD_SD_iiiii ; -- Begin function _ZN4vllm25paged_attention_v2_kernelIffLi120ELi8ELi128ELNS_18Fp8KVCacheDataTypeE0ELb0ELi512EEEvPfS2_PT_PKS3_PKT0_S9_ifPKiSB_iPKfiiiSD_SD_iiiii
	.globl	_ZN4vllm25paged_attention_v2_kernelIffLi120ELi8ELi128ELNS_18Fp8KVCacheDataTypeE0ELb0ELi512EEEvPfS2_PT_PKS3_PKT0_S9_ifPKiSB_iPKfiiiSD_SD_iiiii
	.p2align	8
	.type	_ZN4vllm25paged_attention_v2_kernelIffLi120ELi8ELi128ELNS_18Fp8KVCacheDataTypeE0ELb0ELi512EEEvPfS2_PT_PKS3_PKT0_S9_ifPKiSB_iPKfiiiSD_SD_iiiii,@function
_ZN4vllm25paged_attention_v2_kernelIffLi120ELi8ELi128ELNS_18Fp8KVCacheDataTypeE0ELb0ELi512EEEvPfS2_PT_PKS3_PKT0_S9_ifPKiSB_iPKfiiiSD_SD_iiiii: ; @_ZN4vllm25paged_attention_v2_kernelIffLi120ELi8ELi128ELNS_18Fp8KVCacheDataTypeE0ELb0ELi512EEEvPfS2_PT_PKS3_PKT0_S9_ifPKiSB_iPKfiiiSD_SD_iiiii
; %bb.0:
	s_load_dwordx2 s[0:1], s[4:5], 0x40
	s_mov_b32 s22, s7
	s_ashr_i32 s23, s7, 31
	s_lshl_b64 s[2:3], s[22:23], 2
	s_waitcnt lgkmcnt(0)
	s_add_u32 s0, s0, s2
	s_addc_u32 s1, s1, s3
	s_lshl_b32 s33, s8, 9
	s_load_dword s23, s[0:1], 0x0
	s_waitcnt lgkmcnt(0)
	s_cmp_ge_i32 s33, s23
	s_cbranch_scc1 .LBB23_93
; %bb.1:
	s_clause 0x1
	s_load_dword s9, s[4:5], 0x90
	s_load_dwordx2 s[30:31], s[4:5], 0x30
	s_mov_b32 s34, 0
	s_waitcnt lgkmcnt(0)
	s_abs_i32 s3, s9
	s_abs_i32 s0, s30
	v_cvt_f32_u32_e32 v1, s0
	s_sub_i32 s2, 0, s0
	v_rcp_iflag_f32_e32 v1, v1
	v_mul_f32_e32 v1, 0x4f7ffffe, v1
	v_cvt_u32_f32_e32 v1, v1
	v_readfirstlane_b32 s1, v1
	s_mul_i32 s2, s2, s1
	s_mul_hi_u32 s2, s1, s2
	s_add_i32 s1, s1, s2
	s_xor_b32 s2, s9, s30
	s_mul_hi_u32 s1, s3, s1
	s_ashr_i32 s2, s2, 31
	s_mul_i32 s7, s1, s0
	s_sub_i32 s3, s3, s7
	s_add_i32 s7, s1, 1
	s_sub_i32 s10, s3, s0
	s_cmp_ge_u32 s3, s0
	s_cselect_b32 s1, s7, s1
	s_cselect_b32 s3, s10, s3
	s_add_i32 s7, s1, 1
	s_cmp_ge_u32 s3, s0
	s_cselect_b32 s0, s7, s1
	s_abs_i32 s16, s6
	s_xor_b32 s0, s0, s2
	s_sub_i32 s10, s0, s2
	s_load_dwordx2 s[0:1], s[4:5], 0x50
	s_abs_i32 s2, s10
	v_cvt_f32_u32_e32 v1, s2
	s_sub_i32 s7, 0, s2
	v_rcp_iflag_f32_e32 v1, v1
	v_mul_f32_e32 v1, 0x4f7ffffe, v1
	v_cvt_u32_f32_e32 v1, v1
	v_readfirstlane_b32 s3, v1
	s_mul_i32 s7, s7, s3
	s_mul_hi_u32 s7, s3, s7
	s_add_i32 s3, s3, s7
	s_waitcnt lgkmcnt(0)
	s_cmp_eq_u64 s[0:1], 0
	s_mul_hi_u32 s3, s16, s3
	s_cbranch_scc1 .LBB23_3
; %bb.2:
	s_ashr_i32 s7, s6, 31
	s_lshl_b64 s[12:13], s[6:7], 2
	s_add_u32 s0, s0, s12
	s_addc_u32 s1, s1, s13
	s_load_dword s34, s[0:1], 0x0
.LBB23_3:
	s_load_dwordx4 s[12:15], s[4:5], 0x58
	v_and_b32_e32 v31, 3, v0
	v_lshlrev_b32_e32 v33, 2, v0
	s_ashr_i32 s0, s6, 31
	s_ashr_i32 s1, s10, 31
	s_mul_i32 s10, s6, 0x78
	s_mov_b32 s7, exec_lo
	v_cmpx_gt_u32_e32 0x78, v0
	s_cbranch_execz .LBB23_5
; %bb.4:
	s_load_dwordx2 s[18:19], s[4:5], 0x18
	s_waitcnt lgkmcnt(0)
	s_mul_i32 s20, s12, s22
	v_and_b32_e32 v2, 0x3fc, v0
	s_ashr_i32 s21, s20, 31
	s_lshl_b64 s[20:21], s[20:21], 2
	v_mad_u32_u24 v2, 0x78, v31, v2
	s_add_u32 s12, s18, s20
	s_addc_u32 s15, s19, s21
	s_ashr_i32 s11, s10, 31
	s_lshl_b64 s[18:19], s[10:11], 2
	s_add_u32 s18, s12, s18
	s_addc_u32 s19, s15, s19
	global_load_dword v1, v33, s[18:19]
	s_waitcnt vmcnt(0)
	ds_write_b32 v2, v1
.LBB23_5:
	s_or_b32 exec_lo, exec_lo, s7
	s_add_i32 s7, s23, 7
	s_lshl_b32 s30, s8, 6
	s_ashr_i32 s11, s7, 31
	s_waitcnt lgkmcnt(0)
	s_mul_i32 s15, s3, s2
	s_lshr_b32 s11, s11, 29
	s_xor_b32 s0, s0, s1
	s_add_i32 s7, s7, s11
	s_add_i32 s11, s30, 64
	s_ashr_i32 s12, s7, 3
	s_clause 0x1
	s_load_dwordx2 s[24:25], s[4:5], 0x38
	s_load_dword s7, s[4:5], 0x48
	s_sub_i32 s1, s16, s15
	s_min_i32 s11, s11, s12
	s_add_i32 s15, s3, 1
	s_sub_i32 s16, s1, s2
	s_cmp_ge_u32 s1, s2
	v_lshrrev_b32_e32 v40, 5, v0
	s_cselect_b32 s3, s15, s3
	s_cselect_b32 s1, s16, s1
	s_add_i32 s15, s3, 1
	s_cmp_ge_u32 s1, s2
	v_or_b32_e32 v37, s30, v40
	s_cselect_b32 s1, s15, s3
	v_mbcnt_lo_u32_b32 v34, -1, 0
	s_xor_b32 s1, s1, s0
	s_waitcnt lgkmcnt(0)
	s_sub_i32 s1, s1, s0
	v_cmp_le_i32_e64 s0, s11, v37
	s_barrier
	buffer_gl0_inv
	s_mul_i32 s26, s7, s22
                                        ; implicit-def: $vgpr35
                                        ; implicit-def: $vgpr36
	s_ashr_i32 s27, s26, 31
	s_and_saveexec_b32 s2, s0
	s_xor_b32 s2, exec_lo, s2
; %bb.6:
	v_mov_b32_e32 v35, 0
	v_mbcnt_lo_u32_b32 v34, -1, 0
	v_mov_b32_e32 v36, 32
                                        ; implicit-def: $vgpr31
; %bb.7:
	s_or_saveexec_b32 s35, s2
	s_clause 0x3
	s_load_dwordx4 s[16:19], s[4:5], 0x0
	s_load_dwordx2 s[20:21], s[4:5], 0x10
	s_load_dwordx2 s[28:29], s[4:5], 0x28
	s_load_dword s7, s[4:5], 0x98
	v_mov_b32_e32 v39, 0xff7fffff
	v_ashrrev_i32_e32 v38, 31, v37
	s_mul_i32 s14, s1, s14
	s_xor_b32 exec_lo, exec_lo, s35
	s_cbranch_execz .LBB23_13
; %bb.8:
	s_load_dwordx2 s[2:3], s[4:5], 0x20
	v_bfe_u32 v32, v0, 2, 3
	s_ashr_i32 s15, s14, 31
	v_xor_b32_e32 v26, 2, v34
	s_lshl_b64 s[4:5], s[14:15], 2
	v_lshlrev_b32_e32 v25, 2, v31
	v_lshlrev_b32_e32 v28, 4, v32
	v_xor_b32_e32 v27, 1, v34
	v_cmp_gt_i32_e32 vcc_lo, 32, v26
	v_mul_u32_u24_e32 v29, 0x78, v31
	ds_read2_b64 v[1:4], v29 offset1:1
	ds_read2_b64 v[5:8], v29 offset0:2 offset1:3
	ds_read2_b64 v[9:12], v29 offset0:4 offset1:5
	;; [unrolled: 1-line block ×5, first 2 shown]
	v_cndmask_b32_e32 v43, v34, v26, vcc_lo
	v_lshlrev_b32_e32 v45, 3, v40
	v_lshlrev_b32_e32 v39, 2, v32
	v_mov_b32_e32 v35, 0
	v_mov_b32_e32 v36, 32
	s_waitcnt lgkmcnt(0)
	s_add_u32 s1, s2, s4
	s_addc_u32 s2, s3, s5
	v_add_co_u32 v28, s1, s1, v28
	v_add_co_ci_u32_e64 v30, null, s2, 0, s1
	v_add3_u32 v45, s33, v45, v32
	v_add_co_u32 v41, vcc_lo, v28, v25
	v_add_co_ci_u32_e64 v42, null, 0, v30, vcc_lo
	v_cmp_gt_i32_e32 vcc_lo, 32, v27
	s_lshl_b64 s[2:3], s[26:27], 2
	v_lshl_or_b32 v39, v40, 5, v39
	s_sub_i32 s4, 1, s23
	s_add_u32 s2, s24, s2
	v_cndmask_b32_e32 v44, v34, v27, vcc_lo
	ds_read2_b64 v[25:28], v29 offset0:12 offset1:13
	ds_read_b64 v[29:30], v29 offset:112
	v_cmp_eq_u32_e32 vcc_lo, 0, v31
	v_lshlrev_b64 v[31:32], 2, v[37:38]
	s_addc_u32 s3, s25, s3
	v_lshlrev_b32_e32 v43, 2, v43
	v_lshlrev_b32_e32 v44, 2, v44
	v_cmp_neq_f32_e64 s1, s34, 0
	v_add_nc_u32_e32 v46, 0x200, v39
	v_add_co_u32 v31, s2, s2, v31
	v_add_co_ci_u32_e64 v32, null, s3, v32, s2
	v_mov_b32_e32 v39, 0xff7fffff
	v_mov_b32_e32 v47, v37
	s_mov_b32 s15, s13
	s_mov_b32 s5, 0
	s_branch .LBB23_10
.LBB23_9:                               ;   in Loop: Header=BB23_10 Depth=1
	s_or_b32 exec_lo, exec_lo, s3
	v_add_nc_u32_e32 v47, 4, v47
	v_add_co_u32 v31, s3, v31, 16
	v_add_nc_u32_e32 v45, 32, v45
	v_add_nc_u32_e32 v46, 0x80, v46
	v_cmp_le_i32_e64 s2, s11, v47
	v_add_co_ci_u32_e64 v32, null, 0, v32, s3
	s_or_b32 s5, s2, s5
	s_andn2_b32 exec_lo, exec_lo, s5
	s_cbranch_execz .LBB23_12
.LBB23_10:                              ; =>This Inner Loop Header: Depth=1
	global_load_dword v48, v[31:32], off
	s_waitcnt vmcnt(0) lgkmcnt(0)
	v_mad_i64_i32 v[48:49], null, v48, s15, 0
	v_lshlrev_b64 v[48:49], 2, v[48:49]
	v_add_co_u32 v48, s2, v41, v48
	v_add_co_ci_u32_e64 v49, null, v42, v49, s2
	s_clause 0xe
	global_load_dword v52, v[48:49], off offset:128
	global_load_dword v53, v[48:49], off offset:256
	;; [unrolled: 1-line block ×7, first 2 shown]
	global_load_dword v59, v[48:49], off
	global_load_dword v60, v[48:49], off offset:1024
	global_load_dword v61, v[48:49], off offset:1152
	;; [unrolled: 1-line block ×7, first 2 shown]
	v_add_co_u32 v50, s2, 0x800, v48
	v_add_co_ci_u32_e64 v51, null, 0, v49, s2
	s_clause 0xe
	global_load_dword v48, v[48:49], off offset:1920
	global_load_dword v49, v[50:51], off
	global_load_dword v67, v[50:51], off offset:128
	global_load_dword v68, v[50:51], off offset:256
	;; [unrolled: 1-line block ×13, first 2 shown]
	s_waitcnt vmcnt(29)
	v_mul_f32_e32 v51, v2, v52
	s_waitcnt vmcnt(22)
	v_fmac_f32_e32 v51, v1, v59
	v_fmac_f32_e32 v51, v3, v53
	;; [unrolled: 1-line block ×7, first 2 shown]
	s_waitcnt vmcnt(21)
	v_fmac_f32_e32 v51, v9, v60
	s_waitcnt vmcnt(20)
	v_fmac_f32_e32 v51, v10, v61
	;; [unrolled: 2-line block ×16, first 2 shown]
	s_waitcnt vmcnt(5) lgkmcnt(1)
	v_fmac_f32_e32 v51, v25, v74
	s_waitcnt vmcnt(4)
	v_fmac_f32_e32 v51, v26, v75
	s_waitcnt vmcnt(3)
	;; [unrolled: 2-line block ×3, first 2 shown]
	v_fmac_f32_e32 v51, v28, v77
	s_waitcnt vmcnt(1) lgkmcnt(0)
	v_fmac_f32_e32 v51, v29, v78
	s_waitcnt vmcnt(0)
	v_fmac_f32_e32 v51, v30, v50
	ds_bpermute_b32 v48, v43, v51
	s_waitcnt lgkmcnt(0)
	v_add_f32_e32 v48, v51, v48
	ds_bpermute_b32 v49, v44, v48
	s_and_saveexec_b32 s3, vcc_lo
	s_cbranch_execz .LBB23_9
; %bb.11:                               ;   in Loop: Header=BB23_10 Depth=1
	v_add_nc_u32_e32 v50, s4, v45
	s_waitcnt lgkmcnt(0)
	v_add_f32_e32 v48, v48, v49
	v_cmp_gt_i32_e64 s2, s23, v45
	v_cvt_f32_i32_e32 v50, v50
	v_mul_f32_e32 v50, s34, v50
	v_cndmask_b32_e64 v49, 0, v50, s1
	v_max_f32_e32 v50, v39, v39
	v_fmac_f32_e32 v49, s31, v48
	v_max_f32_e32 v48, v50, v49
	v_cndmask_b32_e64 v49, 0, v49, s2
	v_cndmask_b32_e64 v39, v39, v48, s2
	ds_write_b32 v46, v49
	s_branch .LBB23_9
.LBB23_12:
	s_or_b32 exec_lo, exec_lo, s5
.LBB23_13:
	s_or_b32 exec_lo, exec_lo, s35
	v_xor_b32_e32 v1, 16, v34
	v_xor_b32_e32 v2, 8, v34
	v_max_f32_e32 v4, v39, v39
	v_lshlrev_b32_e32 v6, 2, v40
	v_cmp_lt_i32_e32 vcc_lo, v1, v36
	v_cndmask_b32_e32 v1, v34, v1, vcc_lo
	v_cmp_lt_i32_e32 vcc_lo, v2, v36
	v_lshlrev_b32_e32 v3, 2, v1
	v_cndmask_b32_e32 v2, v34, v2, vcc_lo
	ds_bpermute_b32 v1, v3, v39
	v_lshlrev_b32_e32 v5, 2, v2
	s_waitcnt lgkmcnt(0)
	v_max_f32_e32 v1, v1, v1
	v_max_f32_e32 v1, v4, v1
	v_xor_b32_e32 v4, 4, v34
	ds_bpermute_b32 v2, v5, v1
	v_cmp_lt_i32_e32 vcc_lo, v4, v36
	v_cndmask_b32_e32 v4, v34, v4, vcc_lo
	v_lshlrev_b32_e32 v8, 2, v4
	s_waitcnt lgkmcnt(0)
	v_max_f32_e32 v2, v2, v2
	v_max_f32_e32 v2, v1, v2
	v_and_b32_e32 v1, 31, v0
	ds_bpermute_b32 v4, v8, v2
	v_cmp_eq_u32_e32 vcc_lo, 0, v1
	s_and_saveexec_b32 s1, vcc_lo
	s_cbranch_execz .LBB23_15
; %bb.14:
	s_waitcnt lgkmcnt(0)
	v_max_f32_e32 v4, v4, v4
	v_max_f32_e32 v2, v2, v2
	v_max_f32_e32 v2, v2, v4
	ds_write_b32 v6, v2 offset:480
.LBB23_15:
	s_or_b32 exec_lo, exec_lo, s1
	v_cmp_gt_u32_e64 s1, 4, v1
	v_mov_b32_e32 v2, 0xff7fffff
	v_lshlrev_b32_e32 v7, 2, v1
	s_waitcnt lgkmcnt(0)
	s_barrier
	buffer_gl0_inv
	s_and_saveexec_b32 s2, s1
; %bb.16:
	ds_read_b32 v2, v7 offset:480
; %bb.17:
	s_or_b32 exec_lo, exec_lo, s2
	v_xor_b32_e32 v4, 2, v34
	v_xor_b32_e32 v10, 1, v34
	v_cmp_lt_i32_e64 s2, v4, v36
	v_cndmask_b32_e64 v4, v34, v4, s2
	v_cmp_lt_i32_e64 s2, v10, v36
	v_lshlrev_b32_e32 v9, 2, v4
	v_cndmask_b32_e64 v10, v34, v10, s2
	s_sub_i32 s2, s11, s30
	s_lshl_b32 s2, s2, 3
	s_waitcnt lgkmcnt(0)
	ds_bpermute_b32 v4, v9, v2
	v_max_f32_e32 v2, v2, v2
	v_lshlrev_b32_e32 v42, 2, v10
	s_add_i32 s2, s2, s33
	v_mov_b32_e32 v10, 0
	s_min_i32 s2, s2, s23
	s_sub_i32 s4, s2, s33
	v_cmp_gt_i32_e64 s2, s4, v0
	s_waitcnt lgkmcnt(0)
	v_max_f32_e32 v4, v4, v4
	v_max_f32_e32 v2, v2, v4
	ds_bpermute_b32 v4, v42, v2
	s_waitcnt lgkmcnt(0)
	v_max_f32_e32 v4, v4, v4
	v_max_f32_e32 v2, v2, v4
	v_lshlrev_b32_e32 v4, 2, v35
	ds_bpermute_b32 v2, v4, v2
	v_lshl_add_u32 v4, v0, 2, 0x200
	s_and_saveexec_b32 s5, s2
	s_cbranch_execz .LBB23_21
; %bb.18:
	v_lshl_add_u32 v11, v0, 2, 0x200
	v_mov_b32_e32 v10, 0
	v_mov_b32_e32 v12, v0
	s_mov_b32 s15, 0
	.p2align	6
.LBB23_19:                              ; =>This Inner Loop Header: Depth=1
	ds_read_b32 v13, v11
	v_add_nc_u32_e32 v12, 0x80, v12
	v_cmp_le_i32_e64 s3, s4, v12
	s_or_b32 s15, s3, s15
	s_waitcnt lgkmcnt(0)
	v_sub_f32_e32 v13, v13, v2
	v_mul_f32_e32 v13, 0x3fb8aa3b, v13
	v_exp_f32_e32 v13, v13
	ds_write_b32 v11, v13
	v_add_f32_e32 v10, v10, v13
	v_add_nc_u32_e32 v11, 0x200, v11
	s_andn2_b32 exec_lo, exec_lo, s15
	s_cbranch_execnz .LBB23_19
; %bb.20:
	s_or_b32 exec_lo, exec_lo, s15
.LBB23_21:
	s_or_b32 exec_lo, exec_lo, s5
	ds_bpermute_b32 v3, v3, v10
	s_waitcnt lgkmcnt(0)
	v_add_f32_e32 v3, v10, v3
	ds_bpermute_b32 v5, v5, v3
	s_waitcnt lgkmcnt(0)
	v_add_f32_e32 v3, v3, v5
	;; [unrolled: 3-line block ×5, first 2 shown]
	s_and_saveexec_b32 s3, vcc_lo
; %bb.22:
	ds_write_b32 v6, v3 offset:496
; %bb.23:
	s_or_b32 exec_lo, exec_lo, s3
	s_waitcnt lgkmcnt(0)
	s_barrier
	buffer_gl0_inv
	s_and_saveexec_b32 s3, s1
; %bb.24:
	ds_read_b32 v3, v7 offset:496
; %bb.25:
	s_or_b32 exec_lo, exec_lo, s3
	s_waitcnt lgkmcnt(0)
	ds_bpermute_b32 v5, v9, v3
	v_lshlrev_b32_e32 v6, 2, v34
	s_waitcnt lgkmcnt(0)
	v_add_f32_e32 v3, v3, v5
	ds_bpermute_b32 v5, v42, v3
	s_waitcnt lgkmcnt(0)
	v_add_f32_e32 v3, v3, v5
	v_and_b32_e32 v5, 0xffffff80, v6
	ds_bpermute_b32 v3, v5, v3
	s_and_saveexec_b32 s1, s2
	s_cbranch_execz .LBB23_28
; %bb.26:
	s_waitcnt lgkmcnt(0)
	v_add_f32_e32 v5, 0x358637bd, v3
	s_mov_b32 s2, 0
	v_div_scale_f32 v6, null, v5, v5, 1.0
	v_div_scale_f32 v9, vcc_lo, 1.0, v5, 1.0
	v_rcp_f32_e32 v7, v6
	v_fma_f32 v8, -v6, v7, 1.0
	v_fmac_f32_e32 v7, v8, v7
	v_mul_f32_e32 v8, v9, v7
	v_fma_f32 v10, -v6, v8, v9
	v_fmac_f32_e32 v8, v10, v7
	v_fma_f32 v6, -v6, v8, v9
	v_div_fmas_f32 v6, v6, v7, v8
	v_div_fixup_f32 v5, v6, v5, 1.0
	v_mov_b32_e32 v6, v0
.LBB23_27:                              ; =>This Inner Loop Header: Depth=1
	ds_read_b32 v7, v4
	v_add_nc_u32_e32 v6, 0x80, v6
	v_cmp_le_i32_e32 vcc_lo, s4, v6
	s_or_b32 s2, vcc_lo, s2
	s_waitcnt lgkmcnt(0)
	v_mul_f32_e32 v7, v5, v7
	ds_write_b32 v4, v7
	v_add_nc_u32_e32 v4, 0x200, v4
	s_andn2_b32 exec_lo, exec_lo, s2
	s_cbranch_execnz .LBB23_27
.LBB23_28:
	s_or_b32 exec_lo, exec_lo, s1
	s_mul_i32 s1, s7, s22
	s_waitcnt lgkmcnt(0)
	s_mul_i32 s2, s1, s9
	s_mov_b32 s1, exec_lo
	s_barrier
	buffer_gl0_inv
	v_cmpx_eq_u32_e32 0, v0
	s_cbranch_execz .LBB23_30
; %bb.29:
	s_ashr_i32 s3, s2, 31
	s_mul_i32 s30, s7, s6
	s_lshl_b64 s[4:5], s[2:3], 2
	v_mov_b32_e32 v4, 0
	s_add_u32 s3, s18, s4
	s_addc_u32 s6, s19, s5
	s_ashr_i32 s31, s30, 31
	s_lshl_b64 s[18:19], s[30:31], 2
	s_add_u32 s3, s3, s18
	s_addc_u32 s6, s6, s19
	s_ashr_i32 s9, s8, 31
	s_lshl_b64 s[30:31], s[8:9], 2
	s_add_u32 s34, s3, s30
	s_addc_u32 s35, s6, s31
	s_add_u32 s3, s16, s4
	s_addc_u32 s4, s17, s5
	;; [unrolled: 2-line block ×4, first 2 shown]
	global_store_dword v4, v2, s[34:35]
	global_store_dword v4, v3, s[4:5]
.LBB23_30:
	s_or_b32 exec_lo, exec_lo, s1
	v_lshrrev_b32_e32 v41, 1, v1
	s_and_saveexec_b32 s1, s0
	s_xor_b32 s0, exec_lo, s1
; %bb.31:
	v_lshrrev_b32_e32 v41, 1, v1
                                        ; implicit-def: $vgpr37
                                        ; implicit-def: $vgpr33
; %bb.32:
	s_or_saveexec_b32 s3, s0
	v_mov_b32_e32 v49, 0
	v_and_b32_e32 v43, 1, v0
	v_mov_b32_e32 v51, 0
	v_mov_b32_e32 v50, 0
	;; [unrolled: 1-line block ×7, first 2 shown]
	s_xor_b32 exec_lo, exec_lo, s3
	s_cbranch_execz .LBB23_54
; %bb.33:
	v_and_b32_e32 v1, 4, v33
	v_or_b32_e32 v2, 0x70, v41
	v_lshl_add_u32 v5, v40, 3, s33
	s_ashr_i32 s15, s14, 31
	v_lshlrev_b32_e32 v3, 4, v43
	s_lshl_b64 s[0:1], s[14:15], 2
	v_lshl_or_b32 v4, v41, 3, v1
	v_cmp_gt_u32_e32 vcc_lo, 0x78, v2
	v_lshl_or_b32 v6, v2, 3, v1
	v_add3_u32 v52, v5, v1, 3
	v_lshlrev_b64 v[1:2], 2, v[37:38]
	s_add_u32 s4, s28, s0
	s_addc_u32 s5, s29, s1
	s_lshl_b64 s[0:1], s[26:27], 2
	s_add_i32 s12, s12, -1
	v_lshl_or_b32 v3, v40, 5, v3
	s_add_u32 s0, s24, s0
	s_addc_u32 s1, s25, s1
	v_add_co_u32 v38, s0, s0, v1
	v_mov_b32_e32 v44, 0
	v_add_nc_u32_e32 v53, 0x200, v3
	v_add_co_ci_u32_e64 v39, null, s1, v2, s0
	v_lshlrev_b32_e32 v54, 2, v4
	v_lshlrev_b32_e32 v55, 2, v6
	v_mov_b32_e32 v45, 0
	v_mov_b32_e32 v46, 0
	v_mov_b32_e32 v47, 0
	v_mov_b32_e32 v48, 0
	v_mov_b32_e32 v50, 0
	v_mov_b32_e32 v51, 0
	v_mov_b32_e32 v49, 0
	s_mov_b32 s9, s13
	s_mov_b32 s6, 0
	s_branch .LBB23_36
.LBB23_34:                              ;   in Loop: Header=BB23_36 Depth=1
	s_or_b32 exec_lo, exec_lo, s1
	s_waitcnt vmcnt(0) lgkmcnt(0)
	v_mul_f32_e32 v33, v5, v33
	v_fmac_f32_e32 v33, v6, v34
	v_fmac_f32_e32 v33, v7, v35
	;; [unrolled: 1-line block ×3, first 2 shown]
	v_add_f32_e32 v44, v44, v33
.LBB23_35:                              ;   in Loop: Header=BB23_36 Depth=1
	s_or_b32 exec_lo, exec_lo, s13
	s_waitcnt vmcnt(0) lgkmcnt(0)
	v_mul_f32_e32 v29, v5, v29
	v_mul_f32_e32 v25, v5, v25
	;; [unrolled: 1-line block ×7, first 2 shown]
	v_fmac_f32_e32 v29, v6, v30
	v_fmac_f32_e32 v25, v6, v26
	;; [unrolled: 1-line block ×14, first 2 shown]
	v_add_nc_u32_e32 v37, 4, v37
	v_fmac_f32_e32 v29, v8, v32
	v_fmac_f32_e32 v25, v8, v28
	v_fmac_f32_e32 v21, v8, v24
	v_fmac_f32_e32 v17, v8, v20
	v_fmac_f32_e32 v13, v8, v16
	v_fmac_f32_e32 v9, v8, v12
	v_fmac_f32_e32 v1, v8, v4
	v_cmp_le_i32_e64 s0, s11, v37
	v_add_co_u32 v38, s1, v38, 16
	v_add_f32_e32 v45, v45, v29
	v_add_f32_e32 v46, v46, v25
	;; [unrolled: 1-line block ×7, first 2 shown]
	v_add_nc_u32_e32 v52, 32, v52
	v_add_nc_u32_e32 v53, 0x80, v53
	v_add_co_ci_u32_e64 v39, null, 0, v39, s1
	s_or_b32 s6, s0, s6
	s_andn2_b32 exec_lo, exec_lo, s6
	s_cbranch_execz .LBB23_53
.LBB23_36:                              ; =>This Inner Loop Header: Depth=1
	global_load_dword v1, v[38:39], off
	ds_read_b128 v[5:8], v53
	v_add_nc_u32_e32 v56, -3, v52
	s_waitcnt vmcnt(0)
	v_mad_i64_i32 v[1:2], null, v1, s9, 0
	v_lshlrev_b64 v[1:2], 2, v[1:2]
	v_add_co_u32 v33, s0, s4, v1
	v_add_co_ci_u32_e64 v34, null, s5, v2, s0
	v_add_co_u32 v21, s0, v33, v54
	v_add_co_ci_u32_e64 v22, null, 0, v34, s0
	v_cmp_eq_u32_e64 s0, s12, v37
	global_load_dwordx4 v[1:4], v[21:22], off
	s_and_saveexec_b32 s13, s0
	s_cbranch_execnz .LBB23_45
; %bb.37:                               ;   in Loop: Header=BB23_36 Depth=1
	s_or_b32 exec_lo, exec_lo, s13
	global_load_dwordx4 v[9:12], v[21:22], off offset:512
	s_and_saveexec_b32 s13, s0
	s_cbranch_execnz .LBB23_46
.LBB23_38:                              ;   in Loop: Header=BB23_36 Depth=1
	s_or_b32 exec_lo, exec_lo, s13
	global_load_dwordx4 v[13:16], v[21:22], off offset:1024
	s_and_saveexec_b32 s13, s0
	s_cbranch_execnz .LBB23_47
.LBB23_39:                              ;   in Loop: Header=BB23_36 Depth=1
	s_or_b32 exec_lo, exec_lo, s13
	global_load_dwordx4 v[17:20], v[21:22], off offset:1536
	s_and_saveexec_b32 s13, s0
	s_cbranch_execz .LBB23_41
.LBB23_40:                              ;   in Loop: Header=BB23_36 Depth=1
	v_add_nc_u32_e32 v23, -2, v52
	v_cmp_gt_i32_e64 s1, s23, v56
	v_add_nc_u32_e32 v24, -1, v52
	s_waitcnt vmcnt(0)
	v_cndmask_b32_e64 v17, 0, v17, s1
	v_cmp_gt_i32_e64 s1, s23, v23
	v_cndmask_b32_e64 v18, 0, v18, s1
	v_cmp_gt_i32_e64 s1, s23, v24
	;; [unrolled: 2-line block ×3, first 2 shown]
	v_cndmask_b32_e64 v20, 0, v20, s1
.LBB23_41:                              ;   in Loop: Header=BB23_36 Depth=1
	s_or_b32 exec_lo, exec_lo, s13
	v_add_co_u32 v29, s1, 0x800, v21
	v_add_co_ci_u32_e64 v30, null, 0, v22, s1
	global_load_dwordx4 v[21:24], v[29:30], off
	s_and_saveexec_b32 s13, s0
	s_cbranch_execnz .LBB23_48
; %bb.42:                               ;   in Loop: Header=BB23_36 Depth=1
	s_or_b32 exec_lo, exec_lo, s13
	global_load_dwordx4 v[25:28], v[29:30], off offset:512
	s_and_saveexec_b32 s13, s0
	s_cbranch_execnz .LBB23_49
.LBB23_43:                              ;   in Loop: Header=BB23_36 Depth=1
	s_or_b32 exec_lo, exec_lo, s13
	global_load_dwordx4 v[29:32], v[29:30], off offset:1024
	s_and_saveexec_b32 s13, s0
	s_cbranch_execnz .LBB23_50
.LBB23_44:                              ;   in Loop: Header=BB23_36 Depth=1
	s_or_b32 exec_lo, exec_lo, s13
	s_and_saveexec_b32 s13, vcc_lo
	s_cbranch_execz .LBB23_35
	s_branch .LBB23_51
.LBB23_45:                              ;   in Loop: Header=BB23_36 Depth=1
	v_add_nc_u32_e32 v9, -2, v52
	v_cmp_gt_i32_e64 s1, s23, v56
	v_add_nc_u32_e32 v10, -1, v52
	s_waitcnt vmcnt(0)
	v_cndmask_b32_e64 v1, 0, v1, s1
	v_cmp_gt_i32_e64 s1, s23, v9
	v_cndmask_b32_e64 v2, 0, v2, s1
	v_cmp_gt_i32_e64 s1, s23, v10
	;; [unrolled: 2-line block ×3, first 2 shown]
	v_cndmask_b32_e64 v4, 0, v4, s1
	s_or_b32 exec_lo, exec_lo, s13
	global_load_dwordx4 v[9:12], v[21:22], off offset:512
	s_and_saveexec_b32 s13, s0
	s_cbranch_execz .LBB23_38
.LBB23_46:                              ;   in Loop: Header=BB23_36 Depth=1
	v_add_nc_u32_e32 v13, -2, v52
	v_cmp_gt_i32_e64 s1, s23, v56
	v_add_nc_u32_e32 v14, -1, v52
	s_waitcnt vmcnt(0)
	v_cndmask_b32_e64 v9, 0, v9, s1
	v_cmp_gt_i32_e64 s1, s23, v13
	v_cndmask_b32_e64 v10, 0, v10, s1
	v_cmp_gt_i32_e64 s1, s23, v14
	;; [unrolled: 2-line block ×3, first 2 shown]
	v_cndmask_b32_e64 v12, 0, v12, s1
	s_or_b32 exec_lo, exec_lo, s13
	global_load_dwordx4 v[13:16], v[21:22], off offset:1024
	s_and_saveexec_b32 s13, s0
	s_cbranch_execz .LBB23_39
.LBB23_47:                              ;   in Loop: Header=BB23_36 Depth=1
	v_add_nc_u32_e32 v17, -2, v52
	v_cmp_gt_i32_e64 s1, s23, v56
	v_add_nc_u32_e32 v18, -1, v52
	s_waitcnt vmcnt(0)
	v_cndmask_b32_e64 v13, 0, v13, s1
	v_cmp_gt_i32_e64 s1, s23, v17
	v_cndmask_b32_e64 v14, 0, v14, s1
	v_cmp_gt_i32_e64 s1, s23, v18
	v_cndmask_b32_e64 v15, 0, v15, s1
	v_cmp_gt_i32_e64 s1, s23, v52
	v_cndmask_b32_e64 v16, 0, v16, s1
	s_or_b32 exec_lo, exec_lo, s13
	global_load_dwordx4 v[17:20], v[21:22], off offset:1536
	s_and_saveexec_b32 s13, s0
	s_cbranch_execnz .LBB23_40
	s_branch .LBB23_41
.LBB23_48:                              ;   in Loop: Header=BB23_36 Depth=1
	v_add_nc_u32_e32 v25, -2, v52
	v_cmp_gt_i32_e64 s1, s23, v56
	v_add_nc_u32_e32 v26, -1, v52
	s_waitcnt vmcnt(0)
	v_cndmask_b32_e64 v21, 0, v21, s1
	v_cmp_gt_i32_e64 s1, s23, v25
	v_cndmask_b32_e64 v22, 0, v22, s1
	v_cmp_gt_i32_e64 s1, s23, v26
	;; [unrolled: 2-line block ×3, first 2 shown]
	v_cndmask_b32_e64 v24, 0, v24, s1
	s_or_b32 exec_lo, exec_lo, s13
	global_load_dwordx4 v[25:28], v[29:30], off offset:512
	s_and_saveexec_b32 s13, s0
	s_cbranch_execz .LBB23_43
.LBB23_49:                              ;   in Loop: Header=BB23_36 Depth=1
	v_add_nc_u32_e32 v31, -2, v52
	v_cmp_gt_i32_e64 s1, s23, v56
	v_add_nc_u32_e32 v32, -1, v52
	s_waitcnt vmcnt(0)
	v_cndmask_b32_e64 v25, 0, v25, s1
	v_cmp_gt_i32_e64 s1, s23, v31
	v_cndmask_b32_e64 v26, 0, v26, s1
	v_cmp_gt_i32_e64 s1, s23, v32
	;; [unrolled: 2-line block ×3, first 2 shown]
	v_cndmask_b32_e64 v28, 0, v28, s1
	s_or_b32 exec_lo, exec_lo, s13
	global_load_dwordx4 v[29:32], v[29:30], off offset:1024
	s_and_saveexec_b32 s13, s0
	s_cbranch_execz .LBB23_44
.LBB23_50:                              ;   in Loop: Header=BB23_36 Depth=1
	v_add_nc_u32_e32 v35, -2, v52
	v_cmp_gt_i32_e64 s1, s23, v56
	v_add_nc_u32_e32 v36, -1, v52
	s_waitcnt vmcnt(0)
	v_cndmask_b32_e64 v29, 0, v29, s1
	v_cmp_gt_i32_e64 s1, s23, v35
	v_cndmask_b32_e64 v30, 0, v30, s1
	v_cmp_gt_i32_e64 s1, s23, v36
	;; [unrolled: 2-line block ×3, first 2 shown]
	v_cndmask_b32_e64 v32, 0, v32, s1
	s_or_b32 exec_lo, exec_lo, s13
	s_and_saveexec_b32 s13, vcc_lo
	s_cbranch_execz .LBB23_35
.LBB23_51:                              ;   in Loop: Header=BB23_36 Depth=1
	v_add_co_u32 v33, s1, v33, v55
	v_add_co_ci_u32_e64 v34, null, 0, v34, s1
	global_load_dwordx4 v[33:36], v[33:34], off
	s_and_saveexec_b32 s1, s0
	s_cbranch_execz .LBB23_34
; %bb.52:                               ;   in Loop: Header=BB23_36 Depth=1
	v_add_nc_u32_e32 v57, -2, v52
	v_cmp_gt_i32_e64 s0, s23, v56
	v_add_nc_u32_e32 v58, -1, v52
	s_waitcnt vmcnt(0)
	v_cndmask_b32_e64 v33, 0, v33, s0
	v_cmp_gt_i32_e64 s0, s23, v57
	v_cndmask_b32_e64 v34, 0, v34, s0
	v_cmp_gt_i32_e64 s0, s23, v58
	;; [unrolled: 2-line block ×3, first 2 shown]
	v_cndmask_b32_e64 v36, 0, v36, s0
	s_branch .LBB23_34
.LBB23_53:
	s_or_b32 exec_lo, exec_lo, s6
.LBB23_54:
	s_or_b32 exec_lo, exec_lo, s3
	ds_bpermute_b32 v1, v42, v49
	ds_bpermute_b32 v3, v42, v51
	;; [unrolled: 1-line block ×8, first 2 shown]
	s_movk_i32 s0, 0x1e0
	v_and_b32_e32 v11, 0x3c0, v0
	v_mad_u32_u24 v9, v40, s0, 0x200
	s_mov_b32 s1, exec_lo
	v_cmp_eq_u32_e32 vcc_lo, 0, v43
	s_waitcnt lgkmcnt(0)
	s_waitcnt_vscnt null, 0x0
	s_barrier
	buffer_gl0_inv
	v_add_f32_e32 v2, v49, v1
	v_add_f32_e32 v3, v51, v3
	;; [unrolled: 1-line block ×8, first 2 shown]
	v_cmpx_eq_u32_e32 64, v11
	s_cbranch_execz .LBB23_59
; %bb.55:
	v_add_nc_u32_e32 v10, 0xfffffc40, v9
	s_and_saveexec_b32 s0, vcc_lo
	s_cbranch_execz .LBB23_57
; %bb.56:
	v_lshl_add_u32 v11, v41, 2, v10
	ds_write2_b32 v11, v2, v3 offset1:16
	ds_write2_b32 v11, v4, v5 offset0:32 offset1:48
	ds_write2_b32 v11, v6, v7 offset0:64 offset1:80
	ds_write_b32 v11, v8 offset:384
.LBB23_57:
	s_or_b32 exec_lo, exec_lo, s0
	v_or_b32_e32 v11, 0x70, v41
	v_cmp_gt_u32_e64 s0, 0x78, v11
	s_and_b32 s0, vcc_lo, s0
	s_and_b32 exec_lo, exec_lo, s0
; %bb.58:
	v_lshl_add_u32 v10, v11, 2, v10
	ds_write_b32 v10, v1
.LBB23_59:
	s_or_b32 exec_lo, exec_lo, s1
	s_mov_b32 s1, exec_lo
	s_waitcnt lgkmcnt(0)
	s_barrier
	buffer_gl0_inv
	v_cmpx_gt_u32_e32 64, v0
	s_cbranch_execz .LBB23_71
; %bb.60:
	s_and_saveexec_b32 s0, vcc_lo
	s_cbranch_execnz .LBB23_94
; %bb.61:
	s_or_b32 exec_lo, exec_lo, s0
	s_and_saveexec_b32 s0, vcc_lo
	s_cbranch_execnz .LBB23_95
.LBB23_62:
	s_or_b32 exec_lo, exec_lo, s0
	s_and_saveexec_b32 s0, vcc_lo
	s_cbranch_execnz .LBB23_96
.LBB23_63:
	s_or_b32 exec_lo, exec_lo, s0
	s_and_saveexec_b32 s0, vcc_lo
	s_cbranch_execnz .LBB23_97
.LBB23_64:
	s_or_b32 exec_lo, exec_lo, s0
	s_and_saveexec_b32 s0, vcc_lo
	s_cbranch_execnz .LBB23_98
.LBB23_65:
	s_or_b32 exec_lo, exec_lo, s0
	s_and_saveexec_b32 s0, vcc_lo
	s_cbranch_execnz .LBB23_99
.LBB23_66:
	s_or_b32 exec_lo, exec_lo, s0
	s_and_saveexec_b32 s0, vcc_lo
	s_cbranch_execz .LBB23_68
.LBB23_67:
	v_lshl_add_u32 v10, v41, 2, v9
	ds_read_b32 v10, v10 offset:384
	s_waitcnt lgkmcnt(0)
	v_add_f32_e32 v8, v8, v10
.LBB23_68:
	s_or_b32 exec_lo, exec_lo, s0
	v_or_b32_e32 v10, 0x70, v41
	v_cmp_gt_u32_e64 s0, 0x78, v10
	s_and_b32 s3, vcc_lo, s0
	s_and_saveexec_b32 s0, s3
	s_cbranch_execz .LBB23_70
; %bb.69:
	v_lshl_add_u32 v10, v41, 2, v9
	ds_read_b32 v10, v10 offset:448
	s_waitcnt lgkmcnt(0)
	v_add_f32_e32 v1, v1, v10
.LBB23_70:
	s_or_b32 exec_lo, exec_lo, s0
.LBB23_71:
	s_or_b32 exec_lo, exec_lo, s1
	v_and_b32_e32 v10, 0x3e0, v0
	s_mov_b32 s1, exec_lo
	s_barrier
	buffer_gl0_inv
	v_cmpx_eq_u32_e32 32, v10
	s_cbranch_execz .LBB23_76
; %bb.72:
	v_lshl_add_u32 v10, v41, 2, 0x200
	s_and_saveexec_b32 s0, vcc_lo
	s_cbranch_execz .LBB23_74
; %bb.73:
	ds_write2_b32 v10, v2, v3 offset1:16
	ds_write2_b32 v10, v4, v5 offset0:32 offset1:48
	ds_write2_b32 v10, v6, v7 offset0:64 offset1:80
	ds_write_b32 v10, v8 offset:384
.LBB23_74:
	s_or_b32 exec_lo, exec_lo, s0
	v_or_b32_e32 v11, 0x70, v41
	v_cmp_gt_u32_e64 s0, 0x78, v11
	s_and_b32 s0, vcc_lo, s0
	s_and_b32 exec_lo, exec_lo, s0
; %bb.75:
	ds_write_b32 v10, v1 offset:448
.LBB23_76:
	s_or_b32 exec_lo, exec_lo, s1
	v_cmp_gt_u32_e64 s0, 32, v0
	s_waitcnt lgkmcnt(0)
	s_barrier
	buffer_gl0_inv
	s_and_saveexec_b32 s3, s0
	s_cbranch_execz .LBB23_88
; %bb.77:
	v_lshl_add_u32 v9, v41, 2, v9
	s_and_saveexec_b32 s1, vcc_lo
	s_cbranch_execnz .LBB23_100
; %bb.78:
	s_or_b32 exec_lo, exec_lo, s1
	s_and_saveexec_b32 s1, vcc_lo
	s_cbranch_execnz .LBB23_101
.LBB23_79:
	s_or_b32 exec_lo, exec_lo, s1
	s_and_saveexec_b32 s1, vcc_lo
	s_cbranch_execnz .LBB23_102
.LBB23_80:
	s_or_b32 exec_lo, exec_lo, s1
	s_and_saveexec_b32 s1, vcc_lo
	s_cbranch_execnz .LBB23_103
.LBB23_81:
	s_or_b32 exec_lo, exec_lo, s1
	s_and_saveexec_b32 s1, vcc_lo
	s_cbranch_execnz .LBB23_104
.LBB23_82:
	s_or_b32 exec_lo, exec_lo, s1
	s_and_saveexec_b32 s1, vcc_lo
	s_cbranch_execnz .LBB23_105
.LBB23_83:
	s_or_b32 exec_lo, exec_lo, s1
	s_and_saveexec_b32 s1, vcc_lo
	s_cbranch_execz .LBB23_85
.LBB23_84:
	ds_read_b32 v10, v9 offset:384
	s_waitcnt lgkmcnt(0)
	v_add_f32_e32 v8, v8, v10
.LBB23_85:
	s_or_b32 exec_lo, exec_lo, s1
	v_or_b32_e32 v10, 0x70, v41
	v_cmp_gt_u32_e64 s1, 0x78, v10
	s_and_b32 s4, vcc_lo, s1
	s_and_saveexec_b32 s1, s4
	s_cbranch_execz .LBB23_87
; %bb.86:
	ds_read_b32 v9, v9 offset:448
	s_waitcnt lgkmcnt(0)
	v_add_f32_e32 v1, v1, v9
.LBB23_87:
	s_or_b32 exec_lo, exec_lo, s1
.LBB23_88:
	s_or_b32 exec_lo, exec_lo, s3
	s_barrier
	buffer_gl0_inv
	s_and_saveexec_b32 s1, s0
	s_cbranch_execz .LBB23_93
; %bb.89:
	s_mul_i32 s0, s2, 0x78
	s_mul_i32 s2, s7, s10
	s_ashr_i32 s1, s0, 31
	v_lshrrev_b32_e32 v9, 1, v0
	s_lshl_b64 s[0:1], s[0:1], 2
	s_add_u32 s4, s20, s0
	s_addc_u32 s1, s21, s1
	s_ashr_i32 s3, s2, 31
	s_mul_i32 s0, s8, 0x78
	s_lshl_b64 s[2:3], s[2:3], 2
	v_lshlrev_b32_e32 v0, 2, v9
	s_add_u32 s2, s4, s2
	s_addc_u32 s3, s1, s3
	s_ashr_i32 s1, s0, 31
	s_lshl_b64 s[0:1], s[0:1], 2
	s_add_u32 s2, s2, s0
	s_addc_u32 s3, s3, s1
	s_and_saveexec_b32 s0, vcc_lo
	s_cbranch_execz .LBB23_91
; %bb.90:
	global_store_dword v0, v2, s[2:3]
	global_store_dword v0, v3, s[2:3] offset:64
	global_store_dword v0, v4, s[2:3] offset:128
	;; [unrolled: 1-line block ×6, first 2 shown]
.LBB23_91:
	s_or_b32 exec_lo, exec_lo, s0
	v_or_b32_e32 v2, 0x70, v9
	v_cmp_gt_u32_e64 s0, 0x78, v2
	s_and_b32 s0, vcc_lo, s0
	s_and_b32 exec_lo, exec_lo, s0
	s_cbranch_execz .LBB23_93
; %bb.92:
	global_store_dword v0, v1, s[2:3] offset:448
.LBB23_93:
	s_endpgm
.LBB23_94:
	v_lshl_add_u32 v10, v41, 2, v9
	ds_read_b32 v10, v10
	s_waitcnt lgkmcnt(0)
	v_add_f32_e32 v2, v2, v10
	s_or_b32 exec_lo, exec_lo, s0
	s_and_saveexec_b32 s0, vcc_lo
	s_cbranch_execz .LBB23_62
.LBB23_95:
	v_lshl_add_u32 v10, v41, 2, v9
	ds_read_b32 v10, v10 offset:64
	s_waitcnt lgkmcnt(0)
	v_add_f32_e32 v3, v3, v10
	s_or_b32 exec_lo, exec_lo, s0
	s_and_saveexec_b32 s0, vcc_lo
	s_cbranch_execz .LBB23_63
.LBB23_96:
	v_lshl_add_u32 v10, v41, 2, v9
	ds_read_b32 v10, v10 offset:128
	s_waitcnt lgkmcnt(0)
	v_add_f32_e32 v4, v4, v10
	s_or_b32 exec_lo, exec_lo, s0
	s_and_saveexec_b32 s0, vcc_lo
	s_cbranch_execz .LBB23_64
.LBB23_97:
	v_lshl_add_u32 v10, v41, 2, v9
	ds_read_b32 v10, v10 offset:192
	s_waitcnt lgkmcnt(0)
	v_add_f32_e32 v5, v5, v10
	s_or_b32 exec_lo, exec_lo, s0
	s_and_saveexec_b32 s0, vcc_lo
	s_cbranch_execz .LBB23_65
.LBB23_98:
	v_lshl_add_u32 v10, v41, 2, v9
	ds_read_b32 v10, v10 offset:256
	s_waitcnt lgkmcnt(0)
	v_add_f32_e32 v6, v6, v10
	s_or_b32 exec_lo, exec_lo, s0
	s_and_saveexec_b32 s0, vcc_lo
	s_cbranch_execz .LBB23_66
.LBB23_99:
	v_lshl_add_u32 v10, v41, 2, v9
	ds_read_b32 v10, v10 offset:320
	s_waitcnt lgkmcnt(0)
	v_add_f32_e32 v7, v7, v10
	s_or_b32 exec_lo, exec_lo, s0
	s_and_saveexec_b32 s0, vcc_lo
	s_cbranch_execnz .LBB23_67
	s_branch .LBB23_68
.LBB23_100:
	ds_read_b32 v10, v9
	s_waitcnt lgkmcnt(0)
	v_add_f32_e32 v2, v2, v10
	s_or_b32 exec_lo, exec_lo, s1
	s_and_saveexec_b32 s1, vcc_lo
	s_cbranch_execz .LBB23_79
.LBB23_101:
	ds_read_b32 v10, v9 offset:64
	s_waitcnt lgkmcnt(0)
	v_add_f32_e32 v3, v3, v10
	s_or_b32 exec_lo, exec_lo, s1
	s_and_saveexec_b32 s1, vcc_lo
	s_cbranch_execz .LBB23_80
.LBB23_102:
	ds_read_b32 v10, v9 offset:128
	s_waitcnt lgkmcnt(0)
	v_add_f32_e32 v4, v4, v10
	s_or_b32 exec_lo, exec_lo, s1
	s_and_saveexec_b32 s1, vcc_lo
	s_cbranch_execz .LBB23_81
.LBB23_103:
	ds_read_b32 v10, v9 offset:192
	s_waitcnt lgkmcnt(0)
	v_add_f32_e32 v5, v5, v10
	s_or_b32 exec_lo, exec_lo, s1
	s_and_saveexec_b32 s1, vcc_lo
	s_cbranch_execz .LBB23_82
.LBB23_104:
	ds_read_b32 v10, v9 offset:256
	s_waitcnt lgkmcnt(0)
	v_add_f32_e32 v6, v6, v10
	s_or_b32 exec_lo, exec_lo, s1
	s_and_saveexec_b32 s1, vcc_lo
	s_cbranch_execz .LBB23_83
.LBB23_105:
	ds_read_b32 v10, v9 offset:320
	s_waitcnt lgkmcnt(0)
	v_add_f32_e32 v7, v7, v10
	s_or_b32 exec_lo, exec_lo, s1
	s_and_saveexec_b32 s1, vcc_lo
	s_cbranch_execnz .LBB23_84
	s_branch .LBB23_85
	.section	.rodata,"a",@progbits
	.p2align	6, 0x0
	.amdhsa_kernel _ZN4vllm25paged_attention_v2_kernelIffLi120ELi8ELi128ELNS_18Fp8KVCacheDataTypeE0ELb0ELi512EEEvPfS2_PT_PKS3_PKT0_S9_ifPKiSB_iPKfiiiSD_SD_iiiii
		.amdhsa_group_segment_fixed_size 512
		.amdhsa_private_segment_fixed_size 0
		.amdhsa_kernarg_size 400
		.amdhsa_user_sgpr_count 6
		.amdhsa_user_sgpr_private_segment_buffer 1
		.amdhsa_user_sgpr_dispatch_ptr 0
		.amdhsa_user_sgpr_queue_ptr 0
		.amdhsa_user_sgpr_kernarg_segment_ptr 1
		.amdhsa_user_sgpr_dispatch_id 0
		.amdhsa_user_sgpr_flat_scratch_init 0
		.amdhsa_user_sgpr_private_segment_size 0
		.amdhsa_wavefront_size32 1
		.amdhsa_uses_dynamic_stack 0
		.amdhsa_system_sgpr_private_segment_wavefront_offset 0
		.amdhsa_system_sgpr_workgroup_id_x 1
		.amdhsa_system_sgpr_workgroup_id_y 1
		.amdhsa_system_sgpr_workgroup_id_z 1
		.amdhsa_system_sgpr_workgroup_info 0
		.amdhsa_system_vgpr_workitem_id 0
		.amdhsa_next_free_vgpr 79
		.amdhsa_next_free_sgpr 36
		.amdhsa_reserve_vcc 1
		.amdhsa_reserve_flat_scratch 0
		.amdhsa_float_round_mode_32 0
		.amdhsa_float_round_mode_16_64 0
		.amdhsa_float_denorm_mode_32 3
		.amdhsa_float_denorm_mode_16_64 3
		.amdhsa_dx10_clamp 1
		.amdhsa_ieee_mode 1
		.amdhsa_fp16_overflow 0
		.amdhsa_workgroup_processor_mode 1
		.amdhsa_memory_ordered 1
		.amdhsa_forward_progress 1
		.amdhsa_shared_vgpr_count 0
		.amdhsa_exception_fp_ieee_invalid_op 0
		.amdhsa_exception_fp_denorm_src 0
		.amdhsa_exception_fp_ieee_div_zero 0
		.amdhsa_exception_fp_ieee_overflow 0
		.amdhsa_exception_fp_ieee_underflow 0
		.amdhsa_exception_fp_ieee_inexact 0
		.amdhsa_exception_int_div_zero 0
	.end_amdhsa_kernel
	.section	.text._ZN4vllm25paged_attention_v2_kernelIffLi120ELi8ELi128ELNS_18Fp8KVCacheDataTypeE0ELb0ELi512EEEvPfS2_PT_PKS3_PKT0_S9_ifPKiSB_iPKfiiiSD_SD_iiiii,"axG",@progbits,_ZN4vllm25paged_attention_v2_kernelIffLi120ELi8ELi128ELNS_18Fp8KVCacheDataTypeE0ELb0ELi512EEEvPfS2_PT_PKS3_PKT0_S9_ifPKiSB_iPKfiiiSD_SD_iiiii,comdat
.Lfunc_end23:
	.size	_ZN4vllm25paged_attention_v2_kernelIffLi120ELi8ELi128ELNS_18Fp8KVCacheDataTypeE0ELb0ELi512EEEvPfS2_PT_PKS3_PKT0_S9_ifPKiSB_iPKfiiiSD_SD_iiiii, .Lfunc_end23-_ZN4vllm25paged_attention_v2_kernelIffLi120ELi8ELi128ELNS_18Fp8KVCacheDataTypeE0ELb0ELi512EEEvPfS2_PT_PKS3_PKT0_S9_ifPKiSB_iPKfiiiSD_SD_iiiii
                                        ; -- End function
	.set _ZN4vllm25paged_attention_v2_kernelIffLi120ELi8ELi128ELNS_18Fp8KVCacheDataTypeE0ELb0ELi512EEEvPfS2_PT_PKS3_PKT0_S9_ifPKiSB_iPKfiiiSD_SD_iiiii.num_vgpr, 79
	.set _ZN4vllm25paged_attention_v2_kernelIffLi120ELi8ELi128ELNS_18Fp8KVCacheDataTypeE0ELb0ELi512EEEvPfS2_PT_PKS3_PKT0_S9_ifPKiSB_iPKfiiiSD_SD_iiiii.num_agpr, 0
	.set _ZN4vllm25paged_attention_v2_kernelIffLi120ELi8ELi128ELNS_18Fp8KVCacheDataTypeE0ELb0ELi512EEEvPfS2_PT_PKS3_PKT0_S9_ifPKiSB_iPKfiiiSD_SD_iiiii.numbered_sgpr, 36
	.set _ZN4vllm25paged_attention_v2_kernelIffLi120ELi8ELi128ELNS_18Fp8KVCacheDataTypeE0ELb0ELi512EEEvPfS2_PT_PKS3_PKT0_S9_ifPKiSB_iPKfiiiSD_SD_iiiii.num_named_barrier, 0
	.set _ZN4vllm25paged_attention_v2_kernelIffLi120ELi8ELi128ELNS_18Fp8KVCacheDataTypeE0ELb0ELi512EEEvPfS2_PT_PKS3_PKT0_S9_ifPKiSB_iPKfiiiSD_SD_iiiii.private_seg_size, 0
	.set _ZN4vllm25paged_attention_v2_kernelIffLi120ELi8ELi128ELNS_18Fp8KVCacheDataTypeE0ELb0ELi512EEEvPfS2_PT_PKS3_PKT0_S9_ifPKiSB_iPKfiiiSD_SD_iiiii.uses_vcc, 1
	.set _ZN4vllm25paged_attention_v2_kernelIffLi120ELi8ELi128ELNS_18Fp8KVCacheDataTypeE0ELb0ELi512EEEvPfS2_PT_PKS3_PKT0_S9_ifPKiSB_iPKfiiiSD_SD_iiiii.uses_flat_scratch, 0
	.set _ZN4vllm25paged_attention_v2_kernelIffLi120ELi8ELi128ELNS_18Fp8KVCacheDataTypeE0ELb0ELi512EEEvPfS2_PT_PKS3_PKT0_S9_ifPKiSB_iPKfiiiSD_SD_iiiii.has_dyn_sized_stack, 0
	.set _ZN4vllm25paged_attention_v2_kernelIffLi120ELi8ELi128ELNS_18Fp8KVCacheDataTypeE0ELb0ELi512EEEvPfS2_PT_PKS3_PKT0_S9_ifPKiSB_iPKfiiiSD_SD_iiiii.has_recursion, 0
	.set _ZN4vllm25paged_attention_v2_kernelIffLi120ELi8ELi128ELNS_18Fp8KVCacheDataTypeE0ELb0ELi512EEEvPfS2_PT_PKS3_PKT0_S9_ifPKiSB_iPKfiiiSD_SD_iiiii.has_indirect_call, 0
	.section	.AMDGPU.csdata,"",@progbits
; Kernel info:
; codeLenInByte = 5556
; TotalNumSgprs: 38
; NumVgprs: 79
; ScratchSize: 0
; MemoryBound: 0
; FloatMode: 240
; IeeeMode: 1
; LDSByteSize: 512 bytes/workgroup (compile time only)
; SGPRBlocks: 0
; VGPRBlocks: 9
; NumSGPRsForWavesPerEU: 38
; NumVGPRsForWavesPerEU: 79
; Occupancy: 12
; WaveLimiterHint : 1
; COMPUTE_PGM_RSRC2:SCRATCH_EN: 0
; COMPUTE_PGM_RSRC2:USER_SGPR: 6
; COMPUTE_PGM_RSRC2:TRAP_HANDLER: 0
; COMPUTE_PGM_RSRC2:TGID_X_EN: 1
; COMPUTE_PGM_RSRC2:TGID_Y_EN: 1
; COMPUTE_PGM_RSRC2:TGID_Z_EN: 1
; COMPUTE_PGM_RSRC2:TIDIG_COMP_CNT: 0
	.section	.text._ZN4vllm25paged_attention_v2_kernelIffLi128ELi8ELi128ELNS_18Fp8KVCacheDataTypeE0ELb0ELi512EEEvPfS2_PT_PKS3_PKT0_S9_ifPKiSB_iPKfiiiSD_SD_iiiii,"axG",@progbits,_ZN4vllm25paged_attention_v2_kernelIffLi128ELi8ELi128ELNS_18Fp8KVCacheDataTypeE0ELb0ELi512EEEvPfS2_PT_PKS3_PKT0_S9_ifPKiSB_iPKfiiiSD_SD_iiiii,comdat
	.protected	_ZN4vllm25paged_attention_v2_kernelIffLi128ELi8ELi128ELNS_18Fp8KVCacheDataTypeE0ELb0ELi512EEEvPfS2_PT_PKS3_PKT0_S9_ifPKiSB_iPKfiiiSD_SD_iiiii ; -- Begin function _ZN4vllm25paged_attention_v2_kernelIffLi128ELi8ELi128ELNS_18Fp8KVCacheDataTypeE0ELb0ELi512EEEvPfS2_PT_PKS3_PKT0_S9_ifPKiSB_iPKfiiiSD_SD_iiiii
	.globl	_ZN4vllm25paged_attention_v2_kernelIffLi128ELi8ELi128ELNS_18Fp8KVCacheDataTypeE0ELb0ELi512EEEvPfS2_PT_PKS3_PKT0_S9_ifPKiSB_iPKfiiiSD_SD_iiiii
	.p2align	8
	.type	_ZN4vllm25paged_attention_v2_kernelIffLi128ELi8ELi128ELNS_18Fp8KVCacheDataTypeE0ELb0ELi512EEEvPfS2_PT_PKS3_PKT0_S9_ifPKiSB_iPKfiiiSD_SD_iiiii,@function
_ZN4vllm25paged_attention_v2_kernelIffLi128ELi8ELi128ELNS_18Fp8KVCacheDataTypeE0ELb0ELi512EEEvPfS2_PT_PKS3_PKT0_S9_ifPKiSB_iPKfiiiSD_SD_iiiii: ; @_ZN4vllm25paged_attention_v2_kernelIffLi128ELi8ELi128ELNS_18Fp8KVCacheDataTypeE0ELb0ELi512EEEvPfS2_PT_PKS3_PKT0_S9_ifPKiSB_iPKfiiiSD_SD_iiiii
; %bb.0:
	s_load_dwordx2 s[0:1], s[4:5], 0x40
	s_mov_b32 s22, s7
	s_ashr_i32 s23, s7, 31
	s_lshl_b64 s[2:3], s[22:23], 2
	s_waitcnt lgkmcnt(0)
	s_add_u32 s0, s0, s2
	s_addc_u32 s1, s1, s3
	s_lshl_b32 s33, s8, 9
	s_load_dword s23, s[0:1], 0x0
	s_waitcnt lgkmcnt(0)
	s_cmp_ge_i32 s33, s23
	s_cbranch_scc1 .LBB24_78
; %bb.1:
	s_clause 0x1
	s_load_dword s9, s[4:5], 0x90
	s_load_dwordx2 s[30:31], s[4:5], 0x30
	s_mov_b32 s34, 0
	s_waitcnt lgkmcnt(0)
	s_abs_i32 s3, s9
	s_abs_i32 s0, s30
	v_cvt_f32_u32_e32 v1, s0
	s_sub_i32 s2, 0, s0
	v_rcp_iflag_f32_e32 v1, v1
	v_mul_f32_e32 v1, 0x4f7ffffe, v1
	v_cvt_u32_f32_e32 v1, v1
	v_readfirstlane_b32 s1, v1
	s_mul_i32 s2, s2, s1
	s_mul_hi_u32 s2, s1, s2
	s_add_i32 s1, s1, s2
	s_xor_b32 s2, s9, s30
	s_mul_hi_u32 s1, s3, s1
	s_ashr_i32 s2, s2, 31
	s_mul_i32 s7, s1, s0
	s_sub_i32 s3, s3, s7
	s_add_i32 s7, s1, 1
	s_sub_i32 s10, s3, s0
	s_cmp_ge_u32 s3, s0
	s_cselect_b32 s1, s7, s1
	s_cselect_b32 s3, s10, s3
	s_add_i32 s7, s1, 1
	s_cmp_ge_u32 s3, s0
	s_cselect_b32 s0, s7, s1
	s_abs_i32 s16, s6
	s_xor_b32 s0, s0, s2
	s_sub_i32 s10, s0, s2
	s_load_dwordx2 s[0:1], s[4:5], 0x50
	s_abs_i32 s2, s10
	v_cvt_f32_u32_e32 v1, s2
	s_sub_i32 s7, 0, s2
	v_rcp_iflag_f32_e32 v1, v1
	v_mul_f32_e32 v1, 0x4f7ffffe, v1
	v_cvt_u32_f32_e32 v1, v1
	v_readfirstlane_b32 s3, v1
	s_mul_i32 s7, s7, s3
	s_mul_hi_u32 s7, s3, s7
	s_add_i32 s3, s3, s7
	s_waitcnt lgkmcnt(0)
	s_cmp_eq_u64 s[0:1], 0
	s_mul_hi_u32 s3, s16, s3
	s_cbranch_scc1 .LBB24_3
; %bb.2:
	s_ashr_i32 s7, s6, 31
	s_lshl_b64 s[12:13], s[6:7], 2
	s_add_u32 s0, s0, s12
	s_addc_u32 s1, s1, s13
	s_load_dword s34, s[0:1], 0x0
.LBB24_3:
	s_load_dwordx4 s[12:15], s[4:5], 0x58
	v_and_b32_e32 v33, 3, v0
	v_lshlrev_b32_e32 v35, 2, v0
	s_ashr_i32 s0, s6, 31
	s_ashr_i32 s1, s10, 31
	s_lshl_b32 s10, s6, 7
	s_mov_b32 s7, exec_lo
	v_cmpx_gt_u32_e32 0x80, v0
	s_cbranch_execz .LBB24_5
; %bb.4:
	s_load_dwordx2 s[18:19], s[4:5], 0x18
	s_waitcnt lgkmcnt(0)
	s_mul_i32 s20, s12, s22
	v_and_b32_e32 v2, 0x3fc, v0
	s_ashr_i32 s21, s20, 31
	s_lshl_b64 s[20:21], s[20:21], 2
	v_lshl_add_u32 v2, v33, 7, v2
	s_add_u32 s12, s18, s20
	s_addc_u32 s15, s19, s21
	s_ashr_i32 s11, s10, 31
	s_lshl_b64 s[18:19], s[10:11], 2
	s_add_u32 s18, s12, s18
	s_addc_u32 s19, s15, s19
	global_load_dword v1, v35, s[18:19]
	s_waitcnt vmcnt(0)
	ds_write_b32 v2, v1
.LBB24_5:
	s_or_b32 exec_lo, exec_lo, s7
	s_add_i32 s7, s23, 7
	s_load_dwordx2 s[24:25], s[4:5], 0x38
	s_waitcnt lgkmcnt(0)
	s_load_dword s15, s[4:5], 0x48
	s_ashr_i32 s11, s7, 31
	s_lshl_b32 s30, s8, 6
	s_lshr_b32 s11, s11, 29
	s_xor_b32 s0, s0, s1
	s_add_i32 s7, s7, s11
	s_add_i32 s1, s30, 64
	s_ashr_i32 s12, s7, 3
	s_mul_i32 s7, s3, s2
	s_min_i32 s11, s1, s12
	s_sub_i32 s1, s16, s7
	s_add_i32 s7, s3, 1
	s_sub_i32 s16, s1, s2
	s_cmp_ge_u32 s1, s2
	v_lshrrev_b32_e32 v40, 5, v0
	s_cselect_b32 s3, s7, s3
	s_cselect_b32 s1, s16, s1
	s_add_i32 s7, s3, 1
	s_cmp_ge_u32 s1, s2
	v_or_b32_e32 v37, s30, v40
	s_cselect_b32 s1, s7, s3
	v_mbcnt_lo_u32_b32 v36, -1, 0
	s_xor_b32 s1, s1, s0
	s_waitcnt lgkmcnt(0)
	s_mul_i32 s26, s15, s22
	s_sub_i32 s1, s1, s0
	v_cmp_gt_i32_e64 s0, s11, v37
	s_ashr_i32 s27, s26, 31
	s_mov_b32 s2, exec_lo
	s_barrier
	buffer_gl0_inv
                                        ; implicit-def: $vgpr39
                                        ; implicit-def: $vgpr42
	v_cmpx_le_i32_e64 s11, v37
	s_xor_b32 s2, exec_lo, s2
; %bb.6:
	v_mov_b32_e32 v39, 0
	v_mbcnt_lo_u32_b32 v36, -1, 0
	v_mov_b32_e32 v42, 32
                                        ; implicit-def: $vgpr33
; %bb.7:
	s_or_saveexec_b32 s35, s2
	s_clause 0x3
	s_load_dwordx4 s[16:19], s[4:5], 0x0
	s_load_dwordx2 s[20:21], s[4:5], 0x10
	s_load_dwordx2 s[28:29], s[4:5], 0x28
	s_load_dword s7, s[4:5], 0x98
	v_mov_b32_e32 v41, 0xff7fffff
	v_ashrrev_i32_e32 v38, 31, v37
	s_mul_i32 s14, s1, s14
	s_xor_b32 exec_lo, exec_lo, s35
	s_cbranch_execz .LBB24_13
; %bb.8:
	s_load_dwordx2 s[2:3], s[4:5], 0x20
	v_bfe_u32 v34, v0, 2, 3
	s_ashr_i32 s15, s14, 31
	v_xor_b32_e32 v26, 2, v36
	s_lshl_b64 s[4:5], s[14:15], 2
	v_lshlrev_b32_e32 v25, 2, v33
	v_lshlrev_b32_e32 v28, 4, v34
	v_xor_b32_e32 v27, 1, v36
	v_cmp_gt_i32_e32 vcc_lo, 32, v26
	v_lshlrev_b32_e32 v29, 7, v33
	ds_read_b128 v[1:4], v29
	ds_read_b128 v[5:8], v29 offset:16
	ds_read_b128 v[9:12], v29 offset:32
	;; [unrolled: 1-line block ×5, first 2 shown]
	v_cndmask_b32_e32 v45, v36, v26, vcc_lo
	v_lshlrev_b32_e32 v47, 3, v40
	v_lshlrev_b32_e32 v41, 2, v34
	v_mov_b32_e32 v39, 0
	v_mov_b32_e32 v42, 32
	s_waitcnt lgkmcnt(0)
	s_add_u32 s1, s2, s4
	s_addc_u32 s2, s3, s5
	v_add_co_u32 v28, s1, s1, v28
	v_add_co_ci_u32_e64 v30, null, s2, 0, s1
	v_add3_u32 v47, s33, v47, v34
	v_add_co_u32 v43, vcc_lo, v28, v25
	v_add_co_ci_u32_e64 v44, null, 0, v30, vcc_lo
	v_cmp_gt_i32_e32 vcc_lo, 32, v27
	s_lshl_b64 s[2:3], s[26:27], 2
	v_lshl_or_b32 v41, v40, 5, v41
	s_sub_i32 s4, 1, s23
	s_add_u32 s2, s24, s2
	v_cndmask_b32_e32 v46, v36, v27, vcc_lo
	ds_read_b128 v[25:28], v29 offset:96
	ds_read_b128 v[29:32], v29 offset:112
	v_cmp_eq_u32_e32 vcc_lo, 0, v33
	v_lshlrev_b64 v[33:34], 2, v[37:38]
	s_addc_u32 s3, s25, s3
	v_lshlrev_b32_e32 v45, 2, v45
	v_lshlrev_b32_e32 v46, 2, v46
	v_cmp_neq_f32_e64 s1, s34, 0
	v_add_nc_u32_e32 v48, 0x220, v41
	v_add_co_u32 v33, s2, s2, v33
	v_add_co_ci_u32_e64 v34, null, s3, v34, s2
	v_mov_b32_e32 v41, 0xff7fffff
	v_mov_b32_e32 v49, v37
	s_mov_b32 s15, s13
	s_mov_b32 s5, 0
	s_branch .LBB24_10
.LBB24_9:                               ;   in Loop: Header=BB24_10 Depth=1
	s_or_b32 exec_lo, exec_lo, s3
	v_add_nc_u32_e32 v49, 4, v49
	v_add_co_u32 v33, s3, v33, 16
	v_add_nc_u32_e32 v47, 32, v47
	v_add_nc_u32_e32 v48, 0x80, v48
	v_cmp_le_i32_e64 s2, s11, v49
	v_add_co_ci_u32_e64 v34, null, 0, v34, s3
	s_or_b32 s5, s2, s5
	s_andn2_b32 exec_lo, exec_lo, s5
	s_cbranch_execz .LBB24_12
.LBB24_10:                              ; =>This Inner Loop Header: Depth=1
	global_load_dword v50, v[33:34], off
	s_waitcnt vmcnt(0) lgkmcnt(0)
	v_mad_i64_i32 v[50:51], null, v50, s15, 0
	v_lshlrev_b64 v[50:51], 2, v[50:51]
	v_add_co_u32 v50, s2, v43, v50
	v_add_co_ci_u32_e64 v51, null, v44, v51, s2
	s_clause 0xf
	global_load_dword v52, v[50:51], off offset:128
	global_load_dword v53, v[50:51], off offset:256
	;; [unrolled: 1-line block ×7, first 2 shown]
	global_load_dword v59, v[50:51], off
	global_load_dword v60, v[50:51], off offset:1024
	global_load_dword v61, v[50:51], off offset:1152
	;; [unrolled: 1-line block ×8, first 2 shown]
	v_add_co_u32 v50, s2, 0x800, v50
	v_add_co_ci_u32_e64 v51, null, 0, v51, s2
	s_clause 0xf
	global_load_dword v68, v[50:51], off
	global_load_dword v69, v[50:51], off offset:128
	global_load_dword v70, v[50:51], off offset:256
	;; [unrolled: 1-line block ×15, first 2 shown]
	s_waitcnt vmcnt(31)
	v_mul_f32_e32 v51, v2, v52
	s_waitcnt vmcnt(24)
	v_fmac_f32_e32 v51, v1, v59
	v_fmac_f32_e32 v51, v3, v53
	;; [unrolled: 1-line block ×7, first 2 shown]
	s_waitcnt vmcnt(23)
	v_fmac_f32_e32 v51, v9, v60
	s_waitcnt vmcnt(22)
	v_fmac_f32_e32 v51, v10, v61
	;; [unrolled: 2-line block ×16, first 2 shown]
	s_waitcnt vmcnt(7) lgkmcnt(1)
	v_fmac_f32_e32 v51, v25, v76
	s_waitcnt vmcnt(6)
	v_fmac_f32_e32 v51, v26, v77
	s_waitcnt vmcnt(5)
	;; [unrolled: 2-line block ×3, first 2 shown]
	v_fmac_f32_e32 v51, v28, v79
	s_waitcnt vmcnt(3) lgkmcnt(0)
	v_fmac_f32_e32 v51, v29, v80
	s_waitcnt vmcnt(2)
	v_fmac_f32_e32 v51, v30, v81
	s_waitcnt vmcnt(1)
	;; [unrolled: 2-line block ×3, first 2 shown]
	v_fmac_f32_e32 v51, v32, v50
	ds_bpermute_b32 v50, v45, v51
	s_waitcnt lgkmcnt(0)
	v_add_f32_e32 v50, v51, v50
	ds_bpermute_b32 v51, v46, v50
	s_and_saveexec_b32 s3, vcc_lo
	s_cbranch_execz .LBB24_9
; %bb.11:                               ;   in Loop: Header=BB24_10 Depth=1
	v_add_nc_u32_e32 v52, s4, v47
	s_waitcnt lgkmcnt(0)
	v_add_f32_e32 v50, v50, v51
	v_cmp_gt_i32_e64 s2, s23, v47
	v_cvt_f32_i32_e32 v52, v52
	v_mul_f32_e32 v52, s34, v52
	v_cndmask_b32_e64 v51, 0, v52, s1
	v_max_f32_e32 v52, v41, v41
	v_fmac_f32_e32 v51, s31, v50
	v_max_f32_e32 v50, v52, v51
	v_cndmask_b32_e64 v51, 0, v51, s2
	v_cndmask_b32_e64 v41, v41, v50, s2
	ds_write_b32 v48, v51
	s_branch .LBB24_9
.LBB24_12:
	s_or_b32 exec_lo, exec_lo, s5
.LBB24_13:
	s_or_b32 exec_lo, exec_lo, s35
	v_xor_b32_e32 v1, 16, v36
	v_xor_b32_e32 v3, 8, v36
	v_max_f32_e32 v5, v41, v41
	v_cmp_lt_i32_e32 vcc_lo, v1, v42
	v_cndmask_b32_e32 v1, v36, v1, vcc_lo
	v_cmp_lt_i32_e32 vcc_lo, v3, v42
	v_lshlrev_b32_e32 v2, 2, v1
	v_cndmask_b32_e32 v3, v36, v3, vcc_lo
	ds_bpermute_b32 v1, v2, v41
	v_lshlrev_b32_e32 v4, 2, v3
	v_and_b32_e32 v41, 31, v0
	s_waitcnt lgkmcnt(0)
	v_max_f32_e32 v1, v1, v1
	v_max_f32_e32 v1, v5, v1
	v_xor_b32_e32 v5, 4, v36
	ds_bpermute_b32 v3, v4, v1
	v_cmp_lt_i32_e32 vcc_lo, v5, v42
	v_cndmask_b32_e32 v5, v36, v5, vcc_lo
	v_cmp_eq_u32_e32 vcc_lo, 0, v41
	v_lshlrev_b32_e32 v7, 2, v5
	v_lshlrev_b32_e32 v5, 2, v40
	s_waitcnt lgkmcnt(0)
	v_max_f32_e32 v3, v3, v3
	v_max_f32_e32 v1, v1, v3
	ds_bpermute_b32 v3, v7, v1
	s_and_saveexec_b32 s1, vcc_lo
	s_cbranch_execz .LBB24_15
; %bb.14:
	s_waitcnt lgkmcnt(0)
	v_max_f32_e32 v3, v3, v3
	v_max_f32_e32 v1, v1, v1
	;; [unrolled: 1-line block ×3, first 2 shown]
	ds_write_b32 v5, v1 offset:512
.LBB24_15:
	s_or_b32 exec_lo, exec_lo, s1
	v_cmp_gt_u32_e64 s1, 4, v41
	v_mov_b32_e32 v1, 0xff7fffff
	v_lshlrev_b32_e32 v6, 2, v41
	s_waitcnt lgkmcnt(0)
	s_barrier
	buffer_gl0_inv
	s_and_saveexec_b32 s2, s1
; %bb.16:
	ds_read_b32 v1, v6 offset:512
; %bb.17:
	s_or_b32 exec_lo, exec_lo, s2
	v_xor_b32_e32 v3, 2, v36
	v_xor_b32_e32 v9, 1, v36
	v_cmp_lt_i32_e64 s2, v3, v42
	v_cndmask_b32_e64 v3, v36, v3, s2
	v_cmp_lt_i32_e64 s2, v9, v42
	v_lshlrev_b32_e32 v8, 2, v3
	v_cndmask_b32_e64 v9, v36, v9, s2
	s_sub_i32 s2, s11, s30
	s_lshl_b32 s2, s2, 3
	s_waitcnt lgkmcnt(0)
	ds_bpermute_b32 v3, v8, v1
	v_max_f32_e32 v1, v1, v1
	v_lshlrev_b32_e32 v42, 2, v9
	s_add_i32 s2, s2, s33
	v_mov_b32_e32 v9, 0
	s_min_i32 s2, s2, s23
	s_sub_i32 s4, s2, s33
	v_cmp_gt_i32_e64 s2, s4, v0
	s_waitcnt lgkmcnt(0)
	v_max_f32_e32 v3, v3, v3
	v_max_f32_e32 v1, v1, v3
	ds_bpermute_b32 v3, v42, v1
	s_waitcnt lgkmcnt(0)
	v_max_f32_e32 v3, v3, v3
	v_max_f32_e32 v1, v1, v3
	v_lshlrev_b32_e32 v3, 2, v39
	ds_bpermute_b32 v1, v3, v1
	v_lshl_add_u32 v3, v0, 2, 0x220
	s_and_saveexec_b32 s5, s2
	s_cbranch_execz .LBB24_21
; %bb.18:
	v_lshl_add_u32 v10, v0, 2, 0x220
	v_mov_b32_e32 v9, 0
	v_mov_b32_e32 v11, v0
	s_mov_b32 s15, 0
	.p2align	6
.LBB24_19:                              ; =>This Inner Loop Header: Depth=1
	ds_read_b32 v12, v10
	v_add_nc_u32_e32 v11, 0x80, v11
	v_cmp_le_i32_e64 s3, s4, v11
	s_or_b32 s15, s3, s15
	s_waitcnt lgkmcnt(0)
	v_sub_f32_e32 v12, v12, v1
	v_mul_f32_e32 v12, 0x3fb8aa3b, v12
	v_exp_f32_e32 v12, v12
	ds_write_b32 v10, v12
	v_add_f32_e32 v9, v9, v12
	v_add_nc_u32_e32 v10, 0x200, v10
	s_andn2_b32 exec_lo, exec_lo, s15
	s_cbranch_execnz .LBB24_19
; %bb.20:
	s_or_b32 exec_lo, exec_lo, s15
.LBB24_21:
	s_or_b32 exec_lo, exec_lo, s5
	ds_bpermute_b32 v2, v2, v9
	s_waitcnt lgkmcnt(0)
	v_add_f32_e32 v2, v9, v2
	ds_bpermute_b32 v4, v4, v2
	s_waitcnt lgkmcnt(0)
	v_add_f32_e32 v2, v2, v4
	;; [unrolled: 3-line block ×5, first 2 shown]
	s_and_saveexec_b32 s3, vcc_lo
; %bb.22:
	ds_write_b32 v5, v2 offset:528
; %bb.23:
	s_or_b32 exec_lo, exec_lo, s3
	s_waitcnt lgkmcnt(0)
	s_barrier
	buffer_gl0_inv
	s_and_saveexec_b32 s3, s1
; %bb.24:
	ds_read_b32 v2, v6 offset:528
; %bb.25:
	s_or_b32 exec_lo, exec_lo, s3
	s_waitcnt lgkmcnt(0)
	ds_bpermute_b32 v4, v8, v2
	v_lshlrev_b32_e32 v5, 2, v36
	s_waitcnt lgkmcnt(0)
	v_add_f32_e32 v2, v2, v4
	ds_bpermute_b32 v4, v42, v2
	s_waitcnt lgkmcnt(0)
	v_add_f32_e32 v2, v2, v4
	v_and_b32_e32 v4, 0xffffff80, v5
	ds_bpermute_b32 v2, v4, v2
	s_and_saveexec_b32 s1, s2
	s_cbranch_execz .LBB24_28
; %bb.26:
	s_waitcnt lgkmcnt(0)
	v_add_f32_e32 v4, 0x358637bd, v2
	s_mov_b32 s2, 0
	v_div_scale_f32 v5, null, v4, v4, 1.0
	v_div_scale_f32 v8, vcc_lo, 1.0, v4, 1.0
	v_rcp_f32_e32 v6, v5
	v_fma_f32 v7, -v5, v6, 1.0
	v_fmac_f32_e32 v6, v7, v6
	v_mul_f32_e32 v7, v8, v6
	v_fma_f32 v9, -v5, v7, v8
	v_fmac_f32_e32 v7, v9, v6
	v_fma_f32 v5, -v5, v7, v8
	v_div_fmas_f32 v5, v5, v6, v7
	v_div_fixup_f32 v4, v5, v4, 1.0
	v_mov_b32_e32 v5, v0
.LBB24_27:                              ; =>This Inner Loop Header: Depth=1
	ds_read_b32 v6, v3
	v_add_nc_u32_e32 v5, 0x80, v5
	v_cmp_le_i32_e32 vcc_lo, s4, v5
	s_or_b32 s2, vcc_lo, s2
	s_waitcnt lgkmcnt(0)
	v_mul_f32_e32 v6, v4, v6
	ds_write_b32 v3, v6
	v_add_nc_u32_e32 v3, 0x200, v3
	s_andn2_b32 exec_lo, exec_lo, s2
	s_cbranch_execnz .LBB24_27
.LBB24_28:
	s_or_b32 exec_lo, exec_lo, s1
	s_mul_i32 s1, s7, s22
	s_waitcnt lgkmcnt(0)
	s_mul_i32 s2, s1, s9
	s_mov_b32 s1, exec_lo
	s_barrier
	buffer_gl0_inv
	v_cmpx_eq_u32_e32 0, v0
	s_cbranch_execz .LBB24_30
; %bb.29:
	s_ashr_i32 s3, s2, 31
	s_mul_i32 s30, s7, s6
	s_lshl_b64 s[4:5], s[2:3], 2
	v_mov_b32_e32 v3, 0
	s_add_u32 s3, s18, s4
	s_addc_u32 s6, s19, s5
	s_ashr_i32 s31, s30, 31
	s_lshl_b64 s[18:19], s[30:31], 2
	s_add_u32 s3, s3, s18
	s_addc_u32 s6, s6, s19
	s_ashr_i32 s9, s8, 31
	s_lshl_b64 s[30:31], s[8:9], 2
	s_add_u32 s34, s3, s30
	s_addc_u32 s35, s6, s31
	s_add_u32 s3, s16, s4
	s_addc_u32 s4, s17, s5
	s_add_u32 s3, s3, s18
	s_addc_u32 s5, s4, s19
	s_add_u32 s4, s3, s30
	s_addc_u32 s5, s5, s31
	global_store_dword v3, v1, s[34:35]
	global_store_dword v3, v2, s[4:5]
.LBB24_30:
	s_or_b32 exec_lo, exec_lo, s1
	v_mov_b32_e32 v49, 0
	v_and_b32_e32 v43, 1, v0
	v_mov_b32_e32 v51, 0
	v_mov_b32_e32 v50, 0
	;; [unrolled: 1-line block ×7, first 2 shown]
	s_and_saveexec_b32 s1, s0
	s_cbranch_execz .LBB24_50
; %bb.31:
	v_lshlrev_b32_e32 v2, 4, v0
	s_ashr_i32 s15, s14, 31
	v_and_b32_e32 v1, 4, v35
	v_lshl_add_u32 v4, v40, 3, s33
	s_lshl_b64 s[4:5], s[14:15], 2
	v_and_b32_e32 v2, 0x1f0, v2
	s_add_u32 s0, s28, s4
	v_lshlrev_b32_e32 v3, 4, v43
	v_add3_u32 v54, v4, v1, 3
	s_addc_u32 s3, s29, s5
	v_add_co_u32 v52, s0, s0, v2
	v_lshlrev_b64 v[1:2], 2, v[37:38]
	s_lshl_b64 s[4:5], s[26:27], 2
	s_add_i32 s12, s12, -1
	v_lshl_or_b32 v3, v40, 5, v3
	v_add_co_ci_u32_e64 v53, null, s3, 0, s0
	s_add_u32 s0, s24, s4
	s_addc_u32 s3, s25, s5
	v_add_co_u32 v38, vcc_lo, s0, v1
	v_mov_b32_e32 v44, 0
	v_add_nc_u32_e32 v55, 0x220, v3
	v_add_co_ci_u32_e64 v39, null, s3, v2, vcc_lo
	v_mov_b32_e32 v45, 0
	v_mov_b32_e32 v46, 0
	v_mov_b32_e32 v47, 0
	v_mov_b32_e32 v48, 0
	v_mov_b32_e32 v50, 0
	v_mov_b32_e32 v51, 0
	v_mov_b32_e32 v49, 0
	s_mov_b32 s4, s13
	s_mov_b32 s3, 0
	s_branch .LBB24_33
.LBB24_32:                              ;   in Loop: Header=BB24_33 Depth=1
	s_or_b32 exec_lo, exec_lo, s0
	s_waitcnt vmcnt(1) lgkmcnt(0)
	v_mul_f32_e32 v29, v1, v29
	v_mul_f32_e32 v25, v1, v25
	;; [unrolled: 1-line block ×7, first 2 shown]
	s_waitcnt vmcnt(0)
	v_mul_f32_e32 v1, v1, v33
	v_fmac_f32_e32 v29, v2, v30
	v_fmac_f32_e32 v25, v2, v26
	;; [unrolled: 1-line block ×16, first 2 shown]
	v_add_nc_u32_e32 v37, 4, v37
	v_fmac_f32_e32 v29, v4, v32
	v_fmac_f32_e32 v25, v4, v28
	v_fmac_f32_e32 v21, v4, v24
	v_fmac_f32_e32 v17, v4, v20
	v_fmac_f32_e32 v13, v4, v16
	v_fmac_f32_e32 v9, v4, v12
	v_fmac_f32_e32 v5, v4, v8
	v_fmac_f32_e32 v1, v4, v36
	v_cmp_le_i32_e32 vcc_lo, s11, v37
	v_add_co_u32 v38, s0, v38, 16
	v_add_f32_e32 v45, v45, v29
	v_add_f32_e32 v46, v46, v25
	v_add_f32_e32 v47, v47, v21
	v_add_f32_e32 v48, v48, v17
	v_add_f32_e32 v50, v50, v13
	v_add_f32_e32 v51, v51, v9
	v_add_f32_e32 v49, v49, v5
	v_add_f32_e32 v44, v44, v1
	v_add_nc_u32_e32 v54, 32, v54
	v_add_nc_u32_e32 v55, 0x80, v55
	v_add_co_ci_u32_e64 v39, null, 0, v39, s0
	s_or_b32 s3, vcc_lo, s3
	s_andn2_b32 exec_lo, exec_lo, s3
	s_cbranch_execz .LBB24_49
.LBB24_33:                              ; =>This Inner Loop Header: Depth=1
	global_load_dword v1, v[38:39], off
	v_add_nc_u32_e32 v56, -3, v54
	v_add_nc_u32_e32 v58, -2, v54
	;; [unrolled: 1-line block ×3, first 2 shown]
	s_waitcnt vmcnt(0)
	v_mad_i64_i32 v[1:2], null, v1, s4, 0
	v_lshlrev_b64 v[1:2], 2, v[1:2]
	v_add_co_u32 v21, vcc_lo, v52, v1
	v_add_co_ci_u32_e64 v22, null, v53, v2, vcc_lo
	ds_read_b128 v[1:4], v55
	v_cmp_eq_u32_e32 vcc_lo, s12, v37
	global_load_dwordx4 v[5:8], v[21:22], off
	s_and_saveexec_b32 s5, vcc_lo
	s_cbranch_execnz .LBB24_42
; %bb.34:                               ;   in Loop: Header=BB24_33 Depth=1
	s_or_b32 exec_lo, exec_lo, s5
	global_load_dwordx4 v[9:12], v[21:22], off offset:512
	s_and_saveexec_b32 s5, vcc_lo
	s_cbranch_execnz .LBB24_43
.LBB24_35:                              ;   in Loop: Header=BB24_33 Depth=1
	s_or_b32 exec_lo, exec_lo, s5
	global_load_dwordx4 v[13:16], v[21:22], off offset:1024
	s_and_saveexec_b32 s5, vcc_lo
	s_cbranch_execnz .LBB24_44
.LBB24_36:                              ;   in Loop: Header=BB24_33 Depth=1
	s_or_b32 exec_lo, exec_lo, s5
	global_load_dwordx4 v[17:20], v[21:22], off offset:1536
	s_and_saveexec_b32 s5, vcc_lo
	s_cbranch_execz .LBB24_38
.LBB24_37:                              ;   in Loop: Header=BB24_33 Depth=1
	v_cmp_gt_i32_e64 s0, s23, v56
	s_waitcnt vmcnt(0)
	v_cndmask_b32_e64 v17, 0, v17, s0
	v_cmp_gt_i32_e64 s0, s23, v58
	v_cndmask_b32_e64 v18, 0, v18, s0
	v_cmp_gt_i32_e64 s0, s23, v57
	;; [unrolled: 2-line block ×3, first 2 shown]
	v_cndmask_b32_e64 v20, 0, v20, s0
.LBB24_38:                              ;   in Loop: Header=BB24_33 Depth=1
	s_or_b32 exec_lo, exec_lo, s5
	v_add_co_u32 v33, s0, 0x800, v21
	v_add_co_ci_u32_e64 v34, null, 0, v22, s0
	global_load_dwordx4 v[21:24], v[33:34], off
	s_and_saveexec_b32 s5, vcc_lo
	s_cbranch_execnz .LBB24_45
; %bb.39:                               ;   in Loop: Header=BB24_33 Depth=1
	s_or_b32 exec_lo, exec_lo, s5
	global_load_dwordx4 v[25:28], v[33:34], off offset:512
	s_and_saveexec_b32 s5, vcc_lo
	s_cbranch_execnz .LBB24_46
.LBB24_40:                              ;   in Loop: Header=BB24_33 Depth=1
	s_or_b32 exec_lo, exec_lo, s5
	global_load_dwordx4 v[29:32], v[33:34], off offset:1024
	s_and_saveexec_b32 s5, vcc_lo
	s_cbranch_execnz .LBB24_47
.LBB24_41:                              ;   in Loop: Header=BB24_33 Depth=1
	s_or_b32 exec_lo, exec_lo, s5
	global_load_dwordx4 v[33:36], v[33:34], off offset:1536
	s_and_saveexec_b32 s0, vcc_lo
	s_cbranch_execz .LBB24_32
	s_branch .LBB24_48
.LBB24_42:                              ;   in Loop: Header=BB24_33 Depth=1
	v_cmp_gt_i32_e64 s0, s23, v56
	s_waitcnt vmcnt(0)
	v_cndmask_b32_e64 v5, 0, v5, s0
	v_cmp_gt_i32_e64 s0, s23, v58
	v_cndmask_b32_e64 v6, 0, v6, s0
	v_cmp_gt_i32_e64 s0, s23, v57
	;; [unrolled: 2-line block ×3, first 2 shown]
	v_cndmask_b32_e64 v8, 0, v8, s0
	s_or_b32 exec_lo, exec_lo, s5
	global_load_dwordx4 v[9:12], v[21:22], off offset:512
	s_and_saveexec_b32 s5, vcc_lo
	s_cbranch_execz .LBB24_35
.LBB24_43:                              ;   in Loop: Header=BB24_33 Depth=1
	v_cmp_gt_i32_e64 s0, s23, v56
	s_waitcnt vmcnt(0)
	v_cndmask_b32_e64 v9, 0, v9, s0
	v_cmp_gt_i32_e64 s0, s23, v58
	v_cndmask_b32_e64 v10, 0, v10, s0
	v_cmp_gt_i32_e64 s0, s23, v57
	;; [unrolled: 2-line block ×3, first 2 shown]
	v_cndmask_b32_e64 v12, 0, v12, s0
	s_or_b32 exec_lo, exec_lo, s5
	global_load_dwordx4 v[13:16], v[21:22], off offset:1024
	s_and_saveexec_b32 s5, vcc_lo
	s_cbranch_execz .LBB24_36
.LBB24_44:                              ;   in Loop: Header=BB24_33 Depth=1
	v_cmp_gt_i32_e64 s0, s23, v56
	s_waitcnt vmcnt(0)
	v_cndmask_b32_e64 v13, 0, v13, s0
	v_cmp_gt_i32_e64 s0, s23, v58
	v_cndmask_b32_e64 v14, 0, v14, s0
	v_cmp_gt_i32_e64 s0, s23, v57
	;; [unrolled: 2-line block ×3, first 2 shown]
	v_cndmask_b32_e64 v16, 0, v16, s0
	s_or_b32 exec_lo, exec_lo, s5
	global_load_dwordx4 v[17:20], v[21:22], off offset:1536
	s_and_saveexec_b32 s5, vcc_lo
	s_cbranch_execnz .LBB24_37
	s_branch .LBB24_38
.LBB24_45:                              ;   in Loop: Header=BB24_33 Depth=1
	v_cmp_gt_i32_e64 s0, s23, v56
	s_waitcnt vmcnt(0)
	v_cndmask_b32_e64 v21, 0, v21, s0
	v_cmp_gt_i32_e64 s0, s23, v58
	v_cndmask_b32_e64 v22, 0, v22, s0
	v_cmp_gt_i32_e64 s0, s23, v57
	v_cndmask_b32_e64 v23, 0, v23, s0
	v_cmp_gt_i32_e64 s0, s23, v54
	v_cndmask_b32_e64 v24, 0, v24, s0
	s_or_b32 exec_lo, exec_lo, s5
	global_load_dwordx4 v[25:28], v[33:34], off offset:512
	s_and_saveexec_b32 s5, vcc_lo
	s_cbranch_execz .LBB24_40
.LBB24_46:                              ;   in Loop: Header=BB24_33 Depth=1
	v_cmp_gt_i32_e64 s0, s23, v56
	s_waitcnt vmcnt(0)
	v_cndmask_b32_e64 v25, 0, v25, s0
	v_cmp_gt_i32_e64 s0, s23, v58
	v_cndmask_b32_e64 v26, 0, v26, s0
	v_cmp_gt_i32_e64 s0, s23, v57
	;; [unrolled: 2-line block ×3, first 2 shown]
	v_cndmask_b32_e64 v28, 0, v28, s0
	s_or_b32 exec_lo, exec_lo, s5
	global_load_dwordx4 v[29:32], v[33:34], off offset:1024
	s_and_saveexec_b32 s5, vcc_lo
	s_cbranch_execz .LBB24_41
.LBB24_47:                              ;   in Loop: Header=BB24_33 Depth=1
	v_cmp_gt_i32_e64 s0, s23, v56
	s_waitcnt vmcnt(0)
	v_cndmask_b32_e64 v29, 0, v29, s0
	v_cmp_gt_i32_e64 s0, s23, v58
	v_cndmask_b32_e64 v30, 0, v30, s0
	v_cmp_gt_i32_e64 s0, s23, v57
	;; [unrolled: 2-line block ×3, first 2 shown]
	v_cndmask_b32_e64 v32, 0, v32, s0
	s_or_b32 exec_lo, exec_lo, s5
	global_load_dwordx4 v[33:36], v[33:34], off offset:1536
	s_and_saveexec_b32 s0, vcc_lo
	s_cbranch_execz .LBB24_32
.LBB24_48:                              ;   in Loop: Header=BB24_33 Depth=1
	v_cmp_gt_i32_e32 vcc_lo, s23, v56
	s_waitcnt vmcnt(0)
	v_cndmask_b32_e32 v33, 0, v33, vcc_lo
	v_cmp_gt_i32_e32 vcc_lo, s23, v58
	v_cndmask_b32_e32 v34, 0, v34, vcc_lo
	v_cmp_gt_i32_e32 vcc_lo, s23, v57
	;; [unrolled: 2-line block ×3, first 2 shown]
	v_cndmask_b32_e32 v36, 0, v36, vcc_lo
	s_branch .LBB24_32
.LBB24_49:
	s_or_b32 exec_lo, exec_lo, s3
.LBB24_50:
	s_or_b32 exec_lo, exec_lo, s1
	ds_bpermute_b32 v1, v42, v49
	ds_bpermute_b32 v2, v42, v51
	ds_bpermute_b32 v3, v42, v50
	ds_bpermute_b32 v4, v42, v48
	ds_bpermute_b32 v5, v42, v47
	ds_bpermute_b32 v6, v42, v46
	ds_bpermute_b32 v7, v42, v45
	ds_bpermute_b32 v8, v42, v44
	v_lshrrev_b32_e32 v9, 1, v41
	v_lshlrev_b32_e32 v11, 9, v40
	v_and_b32_e32 v12, 0x3c1, v0
	s_mov_b32 s0, exec_lo
	s_waitcnt lgkmcnt(0)
	s_waitcnt_vscnt null, 0x0
	v_lshl_add_u32 v10, v9, 2, 0x220
	s_barrier
	buffer_gl0_inv
	v_add_f32_e32 v1, v49, v1
	v_add_f32_e32 v2, v51, v2
	;; [unrolled: 1-line block ×8, first 2 shown]
	v_cmpx_eq_u32_e32 64, v12
	s_cbranch_execz .LBB24_52
; %bb.51:
	v_add_nc_u32_e32 v12, v10, v11
	v_add_nc_u32_e32 v13, 0xfffffc00, v12
	;; [unrolled: 1-line block ×9, first 2 shown]
	ds_write_b32 v13, v1
	ds_write_b32 v14, v2
	;; [unrolled: 1-line block ×8, first 2 shown]
.LBB24_52:
	s_or_b32 exec_lo, exec_lo, s0
	v_lshlrev_b32_e32 v9, 2, v9
	s_mov_b32 s1, exec_lo
	v_cmp_eq_u32_e32 vcc_lo, 0, v43
	s_waitcnt lgkmcnt(0)
	s_barrier
	v_add3_u32 v9, 0x220, v11, v9
	buffer_gl0_inv
	v_cmpx_gt_u32_e32 64, v0
	s_cbranch_execz .LBB24_63
; %bb.53:
	s_and_saveexec_b32 s0, vcc_lo
	s_cbranch_execnz .LBB24_79
; %bb.54:
	s_or_b32 exec_lo, exec_lo, s0
	s_and_saveexec_b32 s0, vcc_lo
	s_cbranch_execnz .LBB24_80
.LBB24_55:
	s_or_b32 exec_lo, exec_lo, s0
	s_and_saveexec_b32 s0, vcc_lo
	s_cbranch_execnz .LBB24_81
.LBB24_56:
	s_or_b32 exec_lo, exec_lo, s0
	s_and_saveexec_b32 s0, vcc_lo
	s_cbranch_execnz .LBB24_82
.LBB24_57:
	s_or_b32 exec_lo, exec_lo, s0
	s_and_saveexec_b32 s0, vcc_lo
	s_cbranch_execnz .LBB24_83
.LBB24_58:
	s_or_b32 exec_lo, exec_lo, s0
	s_and_saveexec_b32 s0, vcc_lo
	s_cbranch_execnz .LBB24_84
.LBB24_59:
	s_or_b32 exec_lo, exec_lo, s0
	s_and_saveexec_b32 s0, vcc_lo
	s_cbranch_execnz .LBB24_85
.LBB24_60:
	s_or_b32 exec_lo, exec_lo, s0
	s_and_saveexec_b32 s0, vcc_lo
	s_cbranch_execz .LBB24_62
.LBB24_61:
	ds_read_b32 v11, v9 offset:448
	s_waitcnt lgkmcnt(0)
	v_add_f32_e32 v8, v8, v11
.LBB24_62:
	s_or_b32 exec_lo, exec_lo, s0
.LBB24_63:
	s_or_b32 exec_lo, exec_lo, s1
	v_and_b32_e32 v11, 0x3e1, v0
	s_mov_b32 s1, exec_lo
	s_barrier
	buffer_gl0_inv
	v_cmpx_eq_u32_e32 32, v11
	s_cbranch_execz .LBB24_65
; %bb.64:
	ds_write2_b32 v10, v1, v2 offset1:16
	ds_write2_b32 v10, v3, v4 offset0:32 offset1:48
	ds_write2_b32 v10, v5, v6 offset0:64 offset1:80
	;; [unrolled: 1-line block ×3, first 2 shown]
.LBB24_65:
	s_or_b32 exec_lo, exec_lo, s1
	s_mov_b32 s1, exec_lo
	s_waitcnt lgkmcnt(0)
	s_barrier
	buffer_gl0_inv
	v_cmpx_gt_u32_e32 32, v0
	s_cbranch_execz .LBB24_76
; %bb.66:
	s_and_saveexec_b32 s0, vcc_lo
	s_cbranch_execnz .LBB24_86
; %bb.67:
	s_or_b32 exec_lo, exec_lo, s0
	s_and_saveexec_b32 s0, vcc_lo
	s_cbranch_execnz .LBB24_87
.LBB24_68:
	s_or_b32 exec_lo, exec_lo, s0
	s_and_saveexec_b32 s0, vcc_lo
	s_cbranch_execnz .LBB24_88
.LBB24_69:
	s_or_b32 exec_lo, exec_lo, s0
	s_and_saveexec_b32 s0, vcc_lo
	s_cbranch_execnz .LBB24_89
.LBB24_70:
	s_or_b32 exec_lo, exec_lo, s0
	s_and_saveexec_b32 s0, vcc_lo
	s_cbranch_execnz .LBB24_90
.LBB24_71:
	s_or_b32 exec_lo, exec_lo, s0
	s_and_saveexec_b32 s0, vcc_lo
	s_cbranch_execnz .LBB24_91
.LBB24_72:
	s_or_b32 exec_lo, exec_lo, s0
	s_and_saveexec_b32 s0, vcc_lo
	s_cbranch_execnz .LBB24_92
.LBB24_73:
	s_or_b32 exec_lo, exec_lo, s0
	s_and_saveexec_b32 s0, vcc_lo
	s_cbranch_execz .LBB24_75
.LBB24_74:
	ds_read_b32 v9, v9 offset:448
	s_waitcnt lgkmcnt(0)
	v_add_f32_e32 v8, v8, v9
.LBB24_75:
	s_or_b32 exec_lo, exec_lo, s0
.LBB24_76:
	s_or_b32 exec_lo, exec_lo, s1
	s_barrier
	buffer_gl0_inv
	s_mov_b32 s0, exec_lo
	v_cmpx_eq_u32_e32 0, v11
	s_cbranch_execz .LBB24_78
; %bb.77:
	s_lshl_b32 s0, s2, 7
	s_mul_i32 s2, s7, s10
	s_ashr_i32 s1, s0, 31
	v_lshlrev_b32_e32 v0, 1, v0
	s_lshl_b64 s[0:1], s[0:1], 2
	s_add_u32 s4, s20, s0
	s_addc_u32 s5, s21, s1
	s_ashr_i32 s3, s2, 31
	s_lshl_b64 s[0:1], s[2:3], 2
	s_add_u32 s2, s4, s0
	s_addc_u32 s3, s5, s1
	s_lshl_b32 s0, s8, 7
	s_ashr_i32 s1, s0, 31
	s_lshl_b64 s[0:1], s[0:1], 2
	s_add_u32 s0, s2, s0
	s_addc_u32 s1, s3, s1
	global_store_dword v0, v1, s[0:1]
	global_store_dword v0, v2, s[0:1] offset:64
	global_store_dword v0, v3, s[0:1] offset:128
	;; [unrolled: 1-line block ×7, first 2 shown]
.LBB24_78:
	s_endpgm
.LBB24_79:
	ds_read_b32 v11, v9
	s_waitcnt lgkmcnt(0)
	v_add_f32_e32 v1, v1, v11
	s_or_b32 exec_lo, exec_lo, s0
	s_and_saveexec_b32 s0, vcc_lo
	s_cbranch_execz .LBB24_55
.LBB24_80:
	ds_read_b32 v11, v9 offset:64
	s_waitcnt lgkmcnt(0)
	v_add_f32_e32 v2, v2, v11
	s_or_b32 exec_lo, exec_lo, s0
	s_and_saveexec_b32 s0, vcc_lo
	s_cbranch_execz .LBB24_56
.LBB24_81:
	ds_read_b32 v11, v9 offset:128
	s_waitcnt lgkmcnt(0)
	v_add_f32_e32 v3, v3, v11
	s_or_b32 exec_lo, exec_lo, s0
	s_and_saveexec_b32 s0, vcc_lo
	s_cbranch_execz .LBB24_57
.LBB24_82:
	ds_read_b32 v11, v9 offset:192
	s_waitcnt lgkmcnt(0)
	v_add_f32_e32 v4, v4, v11
	s_or_b32 exec_lo, exec_lo, s0
	s_and_saveexec_b32 s0, vcc_lo
	s_cbranch_execz .LBB24_58
.LBB24_83:
	ds_read_b32 v11, v9 offset:256
	s_waitcnt lgkmcnt(0)
	v_add_f32_e32 v5, v5, v11
	s_or_b32 exec_lo, exec_lo, s0
	s_and_saveexec_b32 s0, vcc_lo
	s_cbranch_execz .LBB24_59
.LBB24_84:
	ds_read_b32 v11, v9 offset:320
	s_waitcnt lgkmcnt(0)
	v_add_f32_e32 v6, v6, v11
	s_or_b32 exec_lo, exec_lo, s0
	s_and_saveexec_b32 s0, vcc_lo
	s_cbranch_execz .LBB24_60
.LBB24_85:
	ds_read_b32 v11, v9 offset:384
	s_waitcnt lgkmcnt(0)
	v_add_f32_e32 v7, v7, v11
	s_or_b32 exec_lo, exec_lo, s0
	s_and_saveexec_b32 s0, vcc_lo
	s_cbranch_execnz .LBB24_61
	s_branch .LBB24_62
.LBB24_86:
	ds_read_b32 v10, v9
	s_waitcnt lgkmcnt(0)
	v_add_f32_e32 v1, v1, v10
	s_or_b32 exec_lo, exec_lo, s0
	s_and_saveexec_b32 s0, vcc_lo
	s_cbranch_execz .LBB24_68
.LBB24_87:
	ds_read_b32 v10, v9 offset:64
	s_waitcnt lgkmcnt(0)
	v_add_f32_e32 v2, v2, v10
	s_or_b32 exec_lo, exec_lo, s0
	s_and_saveexec_b32 s0, vcc_lo
	s_cbranch_execz .LBB24_69
.LBB24_88:
	ds_read_b32 v10, v9 offset:128
	s_waitcnt lgkmcnt(0)
	v_add_f32_e32 v3, v3, v10
	s_or_b32 exec_lo, exec_lo, s0
	s_and_saveexec_b32 s0, vcc_lo
	s_cbranch_execz .LBB24_70
.LBB24_89:
	ds_read_b32 v10, v9 offset:192
	s_waitcnt lgkmcnt(0)
	v_add_f32_e32 v4, v4, v10
	s_or_b32 exec_lo, exec_lo, s0
	s_and_saveexec_b32 s0, vcc_lo
	s_cbranch_execz .LBB24_71
.LBB24_90:
	ds_read_b32 v10, v9 offset:256
	s_waitcnt lgkmcnt(0)
	v_add_f32_e32 v5, v5, v10
	s_or_b32 exec_lo, exec_lo, s0
	s_and_saveexec_b32 s0, vcc_lo
	s_cbranch_execz .LBB24_72
.LBB24_91:
	ds_read_b32 v10, v9 offset:320
	s_waitcnt lgkmcnt(0)
	v_add_f32_e32 v6, v6, v10
	s_or_b32 exec_lo, exec_lo, s0
	s_and_saveexec_b32 s0, vcc_lo
	s_cbranch_execz .LBB24_73
.LBB24_92:
	ds_read_b32 v10, v9 offset:384
	s_waitcnt lgkmcnt(0)
	v_add_f32_e32 v7, v7, v10
	s_or_b32 exec_lo, exec_lo, s0
	s_and_saveexec_b32 s0, vcc_lo
	s_cbranch_execnz .LBB24_74
	s_branch .LBB24_75
	.section	.rodata,"a",@progbits
	.p2align	6, 0x0
	.amdhsa_kernel _ZN4vllm25paged_attention_v2_kernelIffLi128ELi8ELi128ELNS_18Fp8KVCacheDataTypeE0ELb0ELi512EEEvPfS2_PT_PKS3_PKT0_S9_ifPKiSB_iPKfiiiSD_SD_iiiii
		.amdhsa_group_segment_fixed_size 544
		.amdhsa_private_segment_fixed_size 0
		.amdhsa_kernarg_size 400
		.amdhsa_user_sgpr_count 6
		.amdhsa_user_sgpr_private_segment_buffer 1
		.amdhsa_user_sgpr_dispatch_ptr 0
		.amdhsa_user_sgpr_queue_ptr 0
		.amdhsa_user_sgpr_kernarg_segment_ptr 1
		.amdhsa_user_sgpr_dispatch_id 0
		.amdhsa_user_sgpr_flat_scratch_init 0
		.amdhsa_user_sgpr_private_segment_size 0
		.amdhsa_wavefront_size32 1
		.amdhsa_uses_dynamic_stack 0
		.amdhsa_system_sgpr_private_segment_wavefront_offset 0
		.amdhsa_system_sgpr_workgroup_id_x 1
		.amdhsa_system_sgpr_workgroup_id_y 1
		.amdhsa_system_sgpr_workgroup_id_z 1
		.amdhsa_system_sgpr_workgroup_info 0
		.amdhsa_system_vgpr_workitem_id 0
		.amdhsa_next_free_vgpr 83
		.amdhsa_next_free_sgpr 36
		.amdhsa_reserve_vcc 1
		.amdhsa_reserve_flat_scratch 0
		.amdhsa_float_round_mode_32 0
		.amdhsa_float_round_mode_16_64 0
		.amdhsa_float_denorm_mode_32 3
		.amdhsa_float_denorm_mode_16_64 3
		.amdhsa_dx10_clamp 1
		.amdhsa_ieee_mode 1
		.amdhsa_fp16_overflow 0
		.amdhsa_workgroup_processor_mode 1
		.amdhsa_memory_ordered 1
		.amdhsa_forward_progress 1
		.amdhsa_shared_vgpr_count 0
		.amdhsa_exception_fp_ieee_invalid_op 0
		.amdhsa_exception_fp_denorm_src 0
		.amdhsa_exception_fp_ieee_div_zero 0
		.amdhsa_exception_fp_ieee_overflow 0
		.amdhsa_exception_fp_ieee_underflow 0
		.amdhsa_exception_fp_ieee_inexact 0
		.amdhsa_exception_int_div_zero 0
	.end_amdhsa_kernel
	.section	.text._ZN4vllm25paged_attention_v2_kernelIffLi128ELi8ELi128ELNS_18Fp8KVCacheDataTypeE0ELb0ELi512EEEvPfS2_PT_PKS3_PKT0_S9_ifPKiSB_iPKfiiiSD_SD_iiiii,"axG",@progbits,_ZN4vllm25paged_attention_v2_kernelIffLi128ELi8ELi128ELNS_18Fp8KVCacheDataTypeE0ELb0ELi512EEEvPfS2_PT_PKS3_PKT0_S9_ifPKiSB_iPKfiiiSD_SD_iiiii,comdat
.Lfunc_end24:
	.size	_ZN4vllm25paged_attention_v2_kernelIffLi128ELi8ELi128ELNS_18Fp8KVCacheDataTypeE0ELb0ELi512EEEvPfS2_PT_PKS3_PKT0_S9_ifPKiSB_iPKfiiiSD_SD_iiiii, .Lfunc_end24-_ZN4vllm25paged_attention_v2_kernelIffLi128ELi8ELi128ELNS_18Fp8KVCacheDataTypeE0ELb0ELi512EEEvPfS2_PT_PKS3_PKT0_S9_ifPKiSB_iPKfiiiSD_SD_iiiii
                                        ; -- End function
	.set _ZN4vllm25paged_attention_v2_kernelIffLi128ELi8ELi128ELNS_18Fp8KVCacheDataTypeE0ELb0ELi512EEEvPfS2_PT_PKS3_PKT0_S9_ifPKiSB_iPKfiiiSD_SD_iiiii.num_vgpr, 83
	.set _ZN4vllm25paged_attention_v2_kernelIffLi128ELi8ELi128ELNS_18Fp8KVCacheDataTypeE0ELb0ELi512EEEvPfS2_PT_PKS3_PKT0_S9_ifPKiSB_iPKfiiiSD_SD_iiiii.num_agpr, 0
	.set _ZN4vllm25paged_attention_v2_kernelIffLi128ELi8ELi128ELNS_18Fp8KVCacheDataTypeE0ELb0ELi512EEEvPfS2_PT_PKS3_PKT0_S9_ifPKiSB_iPKfiiiSD_SD_iiiii.numbered_sgpr, 36
	.set _ZN4vllm25paged_attention_v2_kernelIffLi128ELi8ELi128ELNS_18Fp8KVCacheDataTypeE0ELb0ELi512EEEvPfS2_PT_PKS3_PKT0_S9_ifPKiSB_iPKfiiiSD_SD_iiiii.num_named_barrier, 0
	.set _ZN4vllm25paged_attention_v2_kernelIffLi128ELi8ELi128ELNS_18Fp8KVCacheDataTypeE0ELb0ELi512EEEvPfS2_PT_PKS3_PKT0_S9_ifPKiSB_iPKfiiiSD_SD_iiiii.private_seg_size, 0
	.set _ZN4vllm25paged_attention_v2_kernelIffLi128ELi8ELi128ELNS_18Fp8KVCacheDataTypeE0ELb0ELi512EEEvPfS2_PT_PKS3_PKT0_S9_ifPKiSB_iPKfiiiSD_SD_iiiii.uses_vcc, 1
	.set _ZN4vllm25paged_attention_v2_kernelIffLi128ELi8ELi128ELNS_18Fp8KVCacheDataTypeE0ELb0ELi512EEEvPfS2_PT_PKS3_PKT0_S9_ifPKiSB_iPKfiiiSD_SD_iiiii.uses_flat_scratch, 0
	.set _ZN4vllm25paged_attention_v2_kernelIffLi128ELi8ELi128ELNS_18Fp8KVCacheDataTypeE0ELb0ELi512EEEvPfS2_PT_PKS3_PKT0_S9_ifPKiSB_iPKfiiiSD_SD_iiiii.has_dyn_sized_stack, 0
	.set _ZN4vllm25paged_attention_v2_kernelIffLi128ELi8ELi128ELNS_18Fp8KVCacheDataTypeE0ELb0ELi512EEEvPfS2_PT_PKS3_PKT0_S9_ifPKiSB_iPKfiiiSD_SD_iiiii.has_recursion, 0
	.set _ZN4vllm25paged_attention_v2_kernelIffLi128ELi8ELi128ELNS_18Fp8KVCacheDataTypeE0ELb0ELi512EEEvPfS2_PT_PKS3_PKT0_S9_ifPKiSB_iPKfiiiSD_SD_iiiii.has_indirect_call, 0
	.section	.AMDGPU.csdata,"",@progbits
; Kernel info:
; codeLenInByte = 5228
; TotalNumSgprs: 38
; NumVgprs: 83
; ScratchSize: 0
; MemoryBound: 0
; FloatMode: 240
; IeeeMode: 1
; LDSByteSize: 544 bytes/workgroup (compile time only)
; SGPRBlocks: 0
; VGPRBlocks: 10
; NumSGPRsForWavesPerEU: 38
; NumVGPRsForWavesPerEU: 83
; Occupancy: 10
; WaveLimiterHint : 1
; COMPUTE_PGM_RSRC2:SCRATCH_EN: 0
; COMPUTE_PGM_RSRC2:USER_SGPR: 6
; COMPUTE_PGM_RSRC2:TRAP_HANDLER: 0
; COMPUTE_PGM_RSRC2:TGID_X_EN: 1
; COMPUTE_PGM_RSRC2:TGID_Y_EN: 1
; COMPUTE_PGM_RSRC2:TGID_Z_EN: 1
; COMPUTE_PGM_RSRC2:TIDIG_COMP_CNT: 0
	.section	.text._ZN4vllm25paged_attention_v2_kernelIffLi192ELi8ELi128ELNS_18Fp8KVCacheDataTypeE0ELb0ELi512EEEvPfS2_PT_PKS3_PKT0_S9_ifPKiSB_iPKfiiiSD_SD_iiiii,"axG",@progbits,_ZN4vllm25paged_attention_v2_kernelIffLi192ELi8ELi128ELNS_18Fp8KVCacheDataTypeE0ELb0ELi512EEEvPfS2_PT_PKS3_PKT0_S9_ifPKiSB_iPKfiiiSD_SD_iiiii,comdat
	.protected	_ZN4vllm25paged_attention_v2_kernelIffLi192ELi8ELi128ELNS_18Fp8KVCacheDataTypeE0ELb0ELi512EEEvPfS2_PT_PKS3_PKT0_S9_ifPKiSB_iPKfiiiSD_SD_iiiii ; -- Begin function _ZN4vllm25paged_attention_v2_kernelIffLi192ELi8ELi128ELNS_18Fp8KVCacheDataTypeE0ELb0ELi512EEEvPfS2_PT_PKS3_PKT0_S9_ifPKiSB_iPKfiiiSD_SD_iiiii
	.globl	_ZN4vllm25paged_attention_v2_kernelIffLi192ELi8ELi128ELNS_18Fp8KVCacheDataTypeE0ELb0ELi512EEEvPfS2_PT_PKS3_PKT0_S9_ifPKiSB_iPKfiiiSD_SD_iiiii
	.p2align	8
	.type	_ZN4vllm25paged_attention_v2_kernelIffLi192ELi8ELi128ELNS_18Fp8KVCacheDataTypeE0ELb0ELi512EEEvPfS2_PT_PKS3_PKT0_S9_ifPKiSB_iPKfiiiSD_SD_iiiii,@function
_ZN4vllm25paged_attention_v2_kernelIffLi192ELi8ELi128ELNS_18Fp8KVCacheDataTypeE0ELb0ELi512EEEvPfS2_PT_PKS3_PKT0_S9_ifPKiSB_iPKfiiiSD_SD_iiiii: ; @_ZN4vllm25paged_attention_v2_kernelIffLi192ELi8ELi128ELNS_18Fp8KVCacheDataTypeE0ELb0ELi512EEEvPfS2_PT_PKS3_PKT0_S9_ifPKiSB_iPKfiiiSD_SD_iiiii
; %bb.0:
	s_load_dwordx2 s[0:1], s[4:5], 0x40
	s_mov_b32 s22, s7
	s_ashr_i32 s23, s7, 31
	s_lshl_b64 s[2:3], s[22:23], 2
	s_waitcnt lgkmcnt(0)
	s_add_u32 s0, s0, s2
	s_addc_u32 s1, s1, s3
	s_lshl_b32 s33, s8, 9
	s_load_dword s23, s[0:1], 0x0
	s_waitcnt lgkmcnt(0)
	s_cmp_ge_i32 s33, s23
	s_cbranch_scc1 .LBB25_95
; %bb.1:
	s_clause 0x1
	s_load_dword s9, s[4:5], 0x90
	s_load_dwordx2 s[30:31], s[4:5], 0x30
	s_mov_b32 s34, 0
	s_waitcnt lgkmcnt(0)
	s_abs_i32 s3, s9
	s_abs_i32 s0, s30
	v_cvt_f32_u32_e32 v1, s0
	s_sub_i32 s2, 0, s0
	v_rcp_iflag_f32_e32 v1, v1
	v_mul_f32_e32 v1, 0x4f7ffffe, v1
	v_cvt_u32_f32_e32 v1, v1
	v_readfirstlane_b32 s1, v1
	s_mul_i32 s2, s2, s1
	s_mul_hi_u32 s2, s1, s2
	s_add_i32 s1, s1, s2
	s_xor_b32 s2, s9, s30
	s_mul_hi_u32 s1, s3, s1
	s_ashr_i32 s2, s2, 31
	s_mul_i32 s7, s1, s0
	s_sub_i32 s3, s3, s7
	s_add_i32 s7, s1, 1
	s_sub_i32 s10, s3, s0
	s_cmp_ge_u32 s3, s0
	s_cselect_b32 s1, s7, s1
	s_cselect_b32 s3, s10, s3
	s_add_i32 s7, s1, 1
	s_cmp_ge_u32 s3, s0
	s_cselect_b32 s0, s7, s1
	s_abs_i32 s16, s6
	s_xor_b32 s0, s0, s2
	s_sub_i32 s10, s0, s2
	s_load_dwordx2 s[0:1], s[4:5], 0x50
	s_abs_i32 s2, s10
	v_cvt_f32_u32_e32 v1, s2
	s_sub_i32 s7, 0, s2
	v_rcp_iflag_f32_e32 v1, v1
	v_mul_f32_e32 v1, 0x4f7ffffe, v1
	v_cvt_u32_f32_e32 v1, v1
	v_readfirstlane_b32 s3, v1
	s_mul_i32 s7, s7, s3
	s_mul_hi_u32 s7, s3, s7
	s_add_i32 s3, s3, s7
	s_waitcnt lgkmcnt(0)
	s_cmp_eq_u64 s[0:1], 0
	s_mul_hi_u32 s3, s16, s3
	s_cbranch_scc1 .LBB25_3
; %bb.2:
	s_ashr_i32 s7, s6, 31
	s_lshl_b64 s[12:13], s[6:7], 2
	s_add_u32 s0, s0, s12
	s_addc_u32 s1, s1, s13
	s_load_dword s34, s[0:1], 0x0
.LBB25_3:
	s_clause 0x1
	s_load_dword s7, s[4:5], 0x98
	s_load_dwordx4 s[12:15], s[4:5], 0x58
	v_and_b32_e32 v41, 3, v0
	v_lshlrev_b32_e32 v51, 2, v0
	s_waitcnt lgkmcnt(0)
	s_ashr_i32 s15, s6, 31
	s_ashr_i32 s17, s10, 31
	s_mul_i32 s10, s6, 0xc0
	s_mov_b32 s18, exec_lo
	v_cmpx_gt_u32_e32 0xc0, v0
	s_cbranch_execz .LBB25_6
; %bb.4:
	s_load_dwordx2 s[0:1], s[4:5], 0x18
	s_mul_i32 s20, s12, s22
	v_and_b32_e32 v1, 0x3fc, v0
	s_ashr_i32 s21, s20, 31
	v_cmp_gt_u32_e32 vcc_lo, 64, v0
	s_lshl_b64 s[20:21], s[20:21], 2
	v_mad_u32_u24 v1, 0xc0, v41, v1
	s_waitcnt lgkmcnt(0)
	s_add_u32 s12, s0, s20
	s_addc_u32 s19, s1, s21
	s_ashr_i32 s11, s10, 31
	s_lshl_b64 s[0:1], s[10:11], 2
	s_add_u32 s0, s12, s0
	s_addc_u32 s1, s19, s1
	global_load_dword v2, v51, s[0:1]
	s_waitcnt vmcnt(0)
	ds_write_b32 v1, v2
	s_and_b32 exec_lo, exec_lo, vcc_lo
	s_cbranch_execz .LBB25_6
; %bb.5:
	v_lshrrev_b32_e32 v2, 2, v0
	v_lshlrev_b32_e32 v3, 2, v41
	v_lshlrev_b32_e32 v2, 4, v2
	v_or3_b32 v2, v2, v3, 0x200
	global_load_dword v2, v2, s[0:1]
	s_waitcnt vmcnt(0)
	ds_write_b32 v1, v2 offset:128
.LBB25_6:
	s_or_b32 exec_lo, exec_lo, s18
	s_add_i32 s0, s23, 7
	s_xor_b32 s15, s15, s17
	s_ashr_i32 s1, s0, 31
	s_clause 0x1
	s_load_dwordx2 s[24:25], s[4:5], 0x38
	s_load_dword s17, s[4:5], 0x48
	s_lshr_b32 s1, s1, 29
	s_lshl_b32 s30, s8, 6
	s_add_i32 s0, s0, s1
	s_add_i32 s1, s30, 64
	s_ashr_i32 s12, s0, 3
	s_mul_i32 s0, s3, s2
	s_min_i32 s11, s1, s12
	s_sub_i32 s0, s16, s0
	s_add_i32 s1, s3, 1
	s_sub_i32 s16, s0, s2
	s_cmp_ge_u32 s0, s2
	v_lshrrev_b32_e32 v56, 5, v0
	s_cselect_b32 s1, s1, s3
	s_cselect_b32 s0, s16, s0
	s_add_i32 s3, s1, 1
	s_cmp_ge_u32 s0, s2
	v_or_b32_e32 v53, s30, v56
	s_cselect_b32 s0, s3, s1
	v_mbcnt_lo_u32_b32 v52, -1, 0
	s_xor_b32 s0, s0, s15
	s_waitcnt lgkmcnt(0)
	s_mul_i32 s26, s17, s22
	s_sub_i32 s1, s0, s15
	v_cmp_gt_i32_e64 s0, s11, v53
	s_ashr_i32 s27, s26, 31
	s_mov_b32 s2, exec_lo
	s_barrier
	buffer_gl0_inv
                                        ; implicit-def: $vgpr55
                                        ; implicit-def: $vgpr58
	v_cmpx_le_i32_e64 s11, v53
	s_xor_b32 s2, exec_lo, s2
; %bb.7:
	v_mov_b32_e32 v55, 0
	v_mbcnt_lo_u32_b32 v52, -1, 0
	v_mov_b32_e32 v58, 32
                                        ; implicit-def: $vgpr41
; %bb.8:
	s_or_saveexec_b32 s35, s2
	s_clause 0x2
	s_load_dwordx4 s[16:19], s[4:5], 0x0
	s_load_dwordx2 s[20:21], s[4:5], 0x10
	s_load_dwordx2 s[28:29], s[4:5], 0x28
	v_mov_b32_e32 v62, 0xff7fffff
	v_ashrrev_i32_e32 v54, 31, v53
	s_mul_i32 s14, s1, s14
	s_xor_b32 exec_lo, exec_lo, s35
	s_cbranch_execz .LBB25_14
; %bb.9:
	s_load_dwordx2 s[2:3], s[4:5], 0x20
	v_bfe_u32 v49, v0, 2, 3
	s_ashr_i32 s15, s14, 31
	v_lshlrev_b32_e32 v33, 2, v41
	s_lshl_b64 s[4:5], s[14:15], 2
	v_xor_b32_e32 v34, 2, v52
	v_lshlrev_b32_e32 v25, 4, v49
	v_xor_b32_e32 v35, 1, v52
	v_mul_u32_u24_e32 v45, 0xc0, v41
	ds_read_b128 v[1:4], v45
	ds_read_b128 v[5:8], v45 offset:16
	ds_read_b128 v[9:12], v45 offset:32
	;; [unrolled: 1-line block ×5, first 2 shown]
	v_lshlrev_b32_e32 v50, 2, v49
	v_lshlrev_b32_e32 v62, 3, v56
	v_mov_b32_e32 v55, 0
	v_mov_b32_e32 v58, 32
	;; [unrolled: 1-line block ×3, first 2 shown]
	v_lshl_or_b32 v64, v56, 5, v50
	s_waitcnt lgkmcnt(0)
	s_add_u32 s1, s2, s4
	s_addc_u32 s2, s3, s5
	v_add_co_u32 v36, s1, s1, v25
	v_add_co_ci_u32_e64 v37, null, s2, 0, s1
	ds_read_b128 v[25:28], v45 offset:96
	ds_read_b128 v[29:32], v45 offset:112
	v_add_co_u32 v57, vcc_lo, v36, v33
	v_add_co_ci_u32_e64 v59, null, 0, v37, vcc_lo
	v_cmp_gt_i32_e32 vcc_lo, 32, v34
	v_add3_u32 v63, s33, v62, v49
	v_lshlrev_b64 v[49:50], 2, v[53:54]
	s_lshl_b64 s[2:3], s[26:27], 2
	s_sub_i32 s4, 1, s23
	v_cndmask_b32_e32 v42, v52, v34, vcc_lo
	v_cmp_gt_i32_e32 vcc_lo, 32, v35
	s_add_u32 s2, s24, s2
	s_addc_u32 s3, s25, s3
	v_add_co_u32 v49, s2, s2, v49
	v_cndmask_b32_e32 v43, v52, v35, vcc_lo
	ds_read_b128 v[33:36], v45 offset:128
	ds_read_b128 v[37:40], v45 offset:144
	v_lshlrev_b32_e32 v60, 2, v42
	v_cmp_eq_u32_e32 vcc_lo, 0, v41
	v_cmp_neq_f32_e64 s1, s34, 0
	v_lshlrev_b32_e32 v61, 2, v43
	ds_read_b128 v[41:44], v45 offset:160
	ds_read_b128 v[45:48], v45 offset:176
	v_add_nc_u32_e32 v64, 0x320, v64
	v_add_co_ci_u32_e64 v50, null, s3, v50, s2
	v_mov_b32_e32 v62, 0xff7fffff
	s_mov_b32 s15, s13
	s_mov_b32 s5, 0
	s_branch .LBB25_11
.LBB25_10:                              ;   in Loop: Header=BB25_11 Depth=1
	s_or_b32 exec_lo, exec_lo, s3
	v_add_nc_u32_e32 v65, 4, v65
	v_add_co_u32 v49, s3, v49, 16
	v_add_nc_u32_e32 v63, 32, v63
	v_add_nc_u32_e32 v64, 0x80, v64
	v_cmp_le_i32_e64 s2, s11, v65
	v_add_co_ci_u32_e64 v50, null, 0, v50, s3
	s_or_b32 s5, s2, s5
	s_andn2_b32 exec_lo, exec_lo, s5
	s_cbranch_execz .LBB25_13
.LBB25_11:                              ; =>This Inner Loop Header: Depth=1
	global_load_dword v66, v[49:50], off
	s_waitcnt vmcnt(0) lgkmcnt(0)
	v_mad_i64_i32 v[66:67], null, v66, s15, 0
	v_lshlrev_b64 v[66:67], 2, v[66:67]
	v_add_co_u32 v66, s2, v57, v66
	v_add_co_ci_u32_e64 v67, null, v59, v67, s2
	s_clause 0xf
	global_load_dword v72, v[66:67], off offset:128
	global_load_dword v73, v[66:67], off offset:256
	;; [unrolled: 1-line block ×7, first 2 shown]
	global_load_dword v79, v[66:67], off
	global_load_dword v80, v[66:67], off offset:1024
	global_load_dword v81, v[66:67], off offset:1152
	;; [unrolled: 1-line block ×8, first 2 shown]
	v_add_co_u32 v68, s2, v66, 0x1000
	v_add_co_ci_u32_e64 v69, null, 0, v67, s2
	v_add_co_u32 v70, s2, 0x800, v66
	v_add_co_ci_u32_e64 v71, null, 0, v67, s2
	s_clause 0xf
	global_load_dword v88, v[68:69], off offset:-2048
	global_load_dword v89, v[70:71], off offset:128
	global_load_dword v90, v[70:71], off offset:256
	;; [unrolled: 1-line block ×15, first 2 shown]
	v_add_co_u32 v66, s2, 0x1000, v66
	v_add_co_ci_u32_e64 v67, null, 0, v67, s2
	s_clause 0xf
	global_load_dword v68, v[68:69], off
	global_load_dword v69, v[66:67], off offset:128
	global_load_dword v71, v[66:67], off offset:256
	;; [unrolled: 1-line block ×15, first 2 shown]
	s_waitcnt vmcnt(47)
	v_mul_f32_e32 v67, v2, v72
	s_waitcnt vmcnt(40)
	v_fmac_f32_e32 v67, v1, v79
	v_fmac_f32_e32 v67, v3, v73
	;; [unrolled: 1-line block ×7, first 2 shown]
	s_waitcnt vmcnt(39)
	v_fmac_f32_e32 v67, v9, v80
	s_waitcnt vmcnt(38)
	v_fmac_f32_e32 v67, v10, v81
	;; [unrolled: 2-line block ×16, first 2 shown]
	s_waitcnt vmcnt(23) lgkmcnt(5)
	v_fmac_f32_e32 v67, v25, v96
	s_waitcnt vmcnt(22)
	v_fmac_f32_e32 v67, v26, v97
	s_waitcnt vmcnt(21)
	v_fmac_f32_e32 v67, v27, v98
	s_waitcnt vmcnt(20)
	v_fmac_f32_e32 v67, v28, v99
	s_waitcnt vmcnt(19) lgkmcnt(4)
	v_fmac_f32_e32 v67, v29, v100
	s_waitcnt vmcnt(18)
	v_fmac_f32_e32 v67, v30, v101
	s_waitcnt vmcnt(17)
	v_fmac_f32_e32 v67, v31, v102
	s_waitcnt vmcnt(16)
	v_fmac_f32_e32 v67, v32, v70
	;; [unrolled: 8-line block ×6, first 2 shown]
	ds_bpermute_b32 v66, v60, v67
	s_waitcnt lgkmcnt(0)
	v_add_f32_e32 v66, v67, v66
	ds_bpermute_b32 v67, v61, v66
	s_and_saveexec_b32 s3, vcc_lo
	s_cbranch_execz .LBB25_10
; %bb.12:                               ;   in Loop: Header=BB25_11 Depth=1
	v_add_nc_u32_e32 v68, s4, v63
	s_waitcnt lgkmcnt(0)
	v_add_f32_e32 v66, v66, v67
	v_cmp_gt_i32_e64 s2, s23, v63
	v_cvt_f32_i32_e32 v68, v68
	v_mul_f32_e32 v68, s34, v68
	v_cndmask_b32_e64 v67, 0, v68, s1
	v_max_f32_e32 v68, v62, v62
	v_fmac_f32_e32 v67, s31, v66
	v_max_f32_e32 v66, v68, v67
	v_cndmask_b32_e64 v67, 0, v67, s2
	v_cndmask_b32_e64 v62, v62, v66, s2
	ds_write_b32 v64, v67
	s_branch .LBB25_10
.LBB25_13:
	s_or_b32 exec_lo, exec_lo, s5
.LBB25_14:
	s_or_b32 exec_lo, exec_lo, s35
	v_xor_b32_e32 v1, 16, v52
	v_xor_b32_e32 v3, 8, v52
	v_max_f32_e32 v5, v62, v62
	v_and_b32_e32 v57, 31, v0
	v_cmp_lt_i32_e32 vcc_lo, v1, v58
	v_cndmask_b32_e32 v1, v52, v1, vcc_lo
	v_cmp_lt_i32_e32 vcc_lo, v3, v58
	v_lshlrev_b32_e32 v2, 2, v1
	v_cndmask_b32_e32 v3, v52, v3, vcc_lo
	ds_bpermute_b32 v1, v2, v62
	v_lshlrev_b32_e32 v4, 2, v3
	s_waitcnt lgkmcnt(0)
	v_max_f32_e32 v1, v1, v1
	v_max_f32_e32 v1, v5, v1
	v_xor_b32_e32 v5, 4, v52
	ds_bpermute_b32 v3, v4, v1
	v_cmp_lt_i32_e32 vcc_lo, v5, v58
	v_cndmask_b32_e32 v5, v52, v5, vcc_lo
	v_cmp_eq_u32_e32 vcc_lo, 0, v57
	v_lshlrev_b32_e32 v7, 2, v5
	v_lshlrev_b32_e32 v5, 2, v56
	s_waitcnt lgkmcnt(0)
	v_max_f32_e32 v3, v3, v3
	v_max_f32_e32 v1, v1, v3
	ds_bpermute_b32 v3, v7, v1
	s_and_saveexec_b32 s1, vcc_lo
	s_cbranch_execz .LBB25_16
; %bb.15:
	s_waitcnt lgkmcnt(0)
	v_max_f32_e32 v3, v3, v3
	v_max_f32_e32 v1, v1, v1
	;; [unrolled: 1-line block ×3, first 2 shown]
	ds_write_b32 v5, v1 offset:768
.LBB25_16:
	s_or_b32 exec_lo, exec_lo, s1
	v_cmp_gt_u32_e64 s1, 4, v57
	v_mov_b32_e32 v1, 0xff7fffff
	v_lshlrev_b32_e32 v6, 2, v57
	s_waitcnt lgkmcnt(0)
	s_barrier
	buffer_gl0_inv
	s_and_saveexec_b32 s2, s1
; %bb.17:
	ds_read_b32 v1, v6 offset:768
; %bb.18:
	s_or_b32 exec_lo, exec_lo, s2
	v_xor_b32_e32 v3, 2, v52
	v_xor_b32_e32 v9, 1, v52
	v_cmp_lt_i32_e64 s2, v3, v58
	v_cndmask_b32_e64 v3, v52, v3, s2
	v_cmp_lt_i32_e64 s2, v9, v58
	v_lshlrev_b32_e32 v8, 2, v3
	v_cndmask_b32_e64 v9, v52, v9, s2
	s_sub_i32 s2, s11, s30
	s_lshl_b32 s2, s2, 3
	s_waitcnt lgkmcnt(0)
	ds_bpermute_b32 v3, v8, v1
	v_max_f32_e32 v1, v1, v1
	v_lshlrev_b32_e32 v58, 2, v9
	s_add_i32 s2, s2, s33
	v_mov_b32_e32 v9, 0
	s_min_i32 s2, s2, s23
	s_sub_i32 s4, s2, s33
	v_cmp_gt_i32_e64 s2, s4, v0
	s_waitcnt lgkmcnt(0)
	v_max_f32_e32 v3, v3, v3
	v_max_f32_e32 v1, v1, v3
	ds_bpermute_b32 v3, v58, v1
	s_waitcnt lgkmcnt(0)
	v_max_f32_e32 v3, v3, v3
	v_max_f32_e32 v1, v1, v3
	v_lshlrev_b32_e32 v3, 2, v55
	ds_bpermute_b32 v1, v3, v1
	v_lshl_add_u32 v3, v0, 2, 0x320
	s_and_saveexec_b32 s5, s2
	s_cbranch_execz .LBB25_22
; %bb.19:
	v_lshl_add_u32 v10, v0, 2, 0x320
	v_mov_b32_e32 v9, 0
	v_mov_b32_e32 v11, v0
	s_mov_b32 s15, 0
	.p2align	6
.LBB25_20:                              ; =>This Inner Loop Header: Depth=1
	ds_read_b32 v12, v10
	v_add_nc_u32_e32 v11, 0x80, v11
	v_cmp_le_i32_e64 s3, s4, v11
	s_or_b32 s15, s3, s15
	s_waitcnt lgkmcnt(0)
	v_sub_f32_e32 v12, v12, v1
	v_mul_f32_e32 v12, 0x3fb8aa3b, v12
	v_exp_f32_e32 v12, v12
	ds_write_b32 v10, v12
	v_add_f32_e32 v9, v9, v12
	v_add_nc_u32_e32 v10, 0x200, v10
	s_andn2_b32 exec_lo, exec_lo, s15
	s_cbranch_execnz .LBB25_20
; %bb.21:
	s_or_b32 exec_lo, exec_lo, s15
.LBB25_22:
	s_or_b32 exec_lo, exec_lo, s5
	ds_bpermute_b32 v2, v2, v9
	s_waitcnt lgkmcnt(0)
	v_add_f32_e32 v2, v9, v2
	ds_bpermute_b32 v4, v4, v2
	s_waitcnt lgkmcnt(0)
	v_add_f32_e32 v2, v2, v4
	;; [unrolled: 3-line block ×5, first 2 shown]
	s_and_saveexec_b32 s3, vcc_lo
; %bb.23:
	ds_write_b32 v5, v2 offset:784
; %bb.24:
	s_or_b32 exec_lo, exec_lo, s3
	s_waitcnt lgkmcnt(0)
	s_barrier
	buffer_gl0_inv
	s_and_saveexec_b32 s3, s1
; %bb.25:
	ds_read_b32 v2, v6 offset:784
; %bb.26:
	s_or_b32 exec_lo, exec_lo, s3
	s_waitcnt lgkmcnt(0)
	ds_bpermute_b32 v4, v8, v2
	v_lshlrev_b32_e32 v5, 2, v52
	s_waitcnt lgkmcnt(0)
	v_add_f32_e32 v2, v2, v4
	ds_bpermute_b32 v4, v58, v2
	s_waitcnt lgkmcnt(0)
	v_add_f32_e32 v2, v2, v4
	v_and_b32_e32 v4, 0xffffff80, v5
	ds_bpermute_b32 v2, v4, v2
	s_and_saveexec_b32 s1, s2
	s_cbranch_execz .LBB25_29
; %bb.27:
	s_waitcnt lgkmcnt(0)
	v_add_f32_e32 v4, 0x358637bd, v2
	s_mov_b32 s2, 0
	v_div_scale_f32 v5, null, v4, v4, 1.0
	v_div_scale_f32 v8, vcc_lo, 1.0, v4, 1.0
	v_rcp_f32_e32 v6, v5
	v_fma_f32 v7, -v5, v6, 1.0
	v_fmac_f32_e32 v6, v7, v6
	v_mul_f32_e32 v7, v8, v6
	v_fma_f32 v9, -v5, v7, v8
	v_fmac_f32_e32 v7, v9, v6
	v_fma_f32 v5, -v5, v7, v8
	v_div_fmas_f32 v5, v5, v6, v7
	v_div_fixup_f32 v4, v5, v4, 1.0
	v_mov_b32_e32 v5, v0
.LBB25_28:                              ; =>This Inner Loop Header: Depth=1
	ds_read_b32 v6, v3
	v_add_nc_u32_e32 v5, 0x80, v5
	v_cmp_le_i32_e32 vcc_lo, s4, v5
	s_or_b32 s2, vcc_lo, s2
	s_waitcnt lgkmcnt(0)
	v_mul_f32_e32 v6, v4, v6
	ds_write_b32 v3, v6
	v_add_nc_u32_e32 v3, 0x200, v3
	s_andn2_b32 exec_lo, exec_lo, s2
	s_cbranch_execnz .LBB25_28
.LBB25_29:
	s_or_b32 exec_lo, exec_lo, s1
	s_mul_i32 s1, s7, s22
	s_waitcnt lgkmcnt(0)
	s_mul_i32 s2, s1, s9
	s_mov_b32 s1, exec_lo
	s_barrier
	buffer_gl0_inv
	v_cmpx_eq_u32_e32 0, v0
	s_cbranch_execz .LBB25_31
; %bb.30:
	s_ashr_i32 s3, s2, 31
	s_mul_i32 s30, s7, s6
	s_lshl_b64 s[4:5], s[2:3], 2
	v_mov_b32_e32 v3, 0
	s_add_u32 s3, s18, s4
	s_addc_u32 s6, s19, s5
	s_ashr_i32 s31, s30, 31
	s_lshl_b64 s[18:19], s[30:31], 2
	s_add_u32 s3, s3, s18
	s_addc_u32 s6, s6, s19
	s_ashr_i32 s9, s8, 31
	s_lshl_b64 s[30:31], s[8:9], 2
	s_add_u32 s34, s3, s30
	s_addc_u32 s35, s6, s31
	s_add_u32 s3, s16, s4
	s_addc_u32 s4, s17, s5
	;; [unrolled: 2-line block ×4, first 2 shown]
	global_store_dword v3, v1, s[34:35]
	global_store_dword v3, v2, s[4:5]
.LBB25_31:
	s_or_b32 exec_lo, exec_lo, s1
	v_mov_b32_e32 v69, 0
	v_and_b32_e32 v59, 1, v0
	v_mov_b32_e32 v71, 0
	v_mov_b32_e32 v70, 0
	;; [unrolled: 1-line block ×11, first 2 shown]
	s_and_saveexec_b32 s1, s0
	s_cbranch_execz .LBB25_59
; %bb.32:
	v_lshlrev_b32_e32 v2, 4, v0
	s_ashr_i32 s15, s14, 31
	v_and_b32_e32 v1, 4, v51
	v_lshl_add_u32 v4, v56, 3, s33
	s_lshl_b64 s[4:5], s[14:15], 2
	v_and_b32_e32 v2, 0x1f0, v2
	s_add_u32 s0, s28, s4
	v_lshlrev_b32_e32 v3, 4, v59
	v_add3_u32 v74, v4, v1, 3
	s_addc_u32 s3, s29, s5
	v_add_co_u32 v72, s0, s0, v2
	v_lshlrev_b64 v[1:2], 2, v[53:54]
	s_lshl_b64 s[4:5], s[26:27], 2
	s_add_i32 s12, s12, -1
	v_lshl_or_b32 v3, v56, 5, v3
	v_add_co_ci_u32_e64 v73, null, s3, 0, s0
	s_add_u32 s0, s24, s4
	s_addc_u32 s3, s25, s5
	v_add_co_u32 v54, vcc_lo, s0, v1
	v_mov_b32_e32 v60, 0
	v_add_nc_u32_e32 v75, 0x320, v3
	v_add_co_ci_u32_e64 v55, null, s3, v2, vcc_lo
	v_mov_b32_e32 v61, 0
	v_mov_b32_e32 v62, 0
	;; [unrolled: 1-line block ×11, first 2 shown]
	s_mov_b32 s4, s13
	s_mov_b32 s3, 0
	s_branch .LBB25_34
.LBB25_33:                              ;   in Loop: Header=BB25_34 Depth=1
	s_or_b32 exec_lo, exec_lo, s0
	s_waitcnt vmcnt(1) lgkmcnt(0)
	v_mul_f32_e32 v49, v1, v49
	v_mul_f32_e32 v45, v1, v45
	;; [unrolled: 1-line block ×11, first 2 shown]
	s_waitcnt vmcnt(0)
	v_mul_f32_e32 v1, v1, v41
	v_fmac_f32_e32 v49, v2, v50
	v_fmac_f32_e32 v45, v2, v46
	v_fmac_f32_e32 v37, v2, v38
	v_fmac_f32_e32 v33, v2, v34
	v_fmac_f32_e32 v29, v2, v30
	v_fmac_f32_e32 v25, v2, v26
	v_fmac_f32_e32 v21, v2, v22
	v_fmac_f32_e32 v17, v2, v18
	v_fmac_f32_e32 v13, v2, v14
	v_fmac_f32_e32 v9, v2, v10
	v_fmac_f32_e32 v5, v2, v6
	v_fmac_f32_e32 v1, v2, v42
	v_fmac_f32_e32 v49, v3, v51
	v_fmac_f32_e32 v45, v3, v47
	v_fmac_f32_e32 v37, v3, v39
	v_fmac_f32_e32 v33, v3, v35
	v_fmac_f32_e32 v29, v3, v31
	v_fmac_f32_e32 v25, v3, v27
	v_fmac_f32_e32 v21, v3, v23
	v_fmac_f32_e32 v17, v3, v19
	v_fmac_f32_e32 v13, v3, v15
	v_fmac_f32_e32 v9, v3, v11
	v_fmac_f32_e32 v5, v3, v7
	v_fmac_f32_e32 v1, v3, v43
	v_add_nc_u32_e32 v53, 4, v53
	v_fmac_f32_e32 v49, v4, v52
	v_fmac_f32_e32 v45, v4, v48
	;; [unrolled: 1-line block ×12, first 2 shown]
	v_cmp_le_i32_e32 vcc_lo, s11, v53
	v_add_co_u32 v54, s0, v54, 16
	v_add_f32_e32 v61, v61, v49
	v_add_f32_e32 v62, v62, v45
	;; [unrolled: 1-line block ×12, first 2 shown]
	v_add_nc_u32_e32 v74, 32, v74
	v_add_nc_u32_e32 v75, 0x80, v75
	v_add_co_ci_u32_e64 v55, null, 0, v55, s0
	s_or_b32 s3, vcc_lo, s3
	s_andn2_b32 exec_lo, exec_lo, s3
	s_cbranch_execz .LBB25_58
.LBB25_34:                              ; =>This Inner Loop Header: Depth=1
	global_load_dword v1, v[54:55], off
	v_add_nc_u32_e32 v76, -3, v74
	v_add_nc_u32_e32 v78, -2, v74
	;; [unrolled: 1-line block ×3, first 2 shown]
	s_waitcnt vmcnt(0)
	v_mad_i64_i32 v[1:2], null, v1, s4, 0
	v_lshlrev_b64 v[1:2], 2, v[1:2]
	v_add_co_u32 v37, vcc_lo, v72, v1
	v_add_co_ci_u32_e64 v38, null, v73, v2, vcc_lo
	ds_read_b128 v[1:4], v75
	v_cmp_eq_u32_e32 vcc_lo, s12, v53
	global_load_dwordx4 v[5:8], v[37:38], off
	s_and_saveexec_b32 s5, vcc_lo
	s_cbranch_execnz .LBB25_48
; %bb.35:                               ;   in Loop: Header=BB25_34 Depth=1
	s_or_b32 exec_lo, exec_lo, s5
	global_load_dwordx4 v[9:12], v[37:38], off offset:512
	s_and_saveexec_b32 s5, vcc_lo
	s_cbranch_execnz .LBB25_49
.LBB25_36:                              ;   in Loop: Header=BB25_34 Depth=1
	s_or_b32 exec_lo, exec_lo, s5
	global_load_dwordx4 v[13:16], v[37:38], off offset:1024
	s_and_saveexec_b32 s5, vcc_lo
	s_cbranch_execnz .LBB25_50
.LBB25_37:                              ;   in Loop: Header=BB25_34 Depth=1
	s_or_b32 exec_lo, exec_lo, s5
	global_load_dwordx4 v[17:20], v[37:38], off offset:1536
	s_and_saveexec_b32 s5, vcc_lo
	s_cbranch_execz .LBB25_39
.LBB25_38:                              ;   in Loop: Header=BB25_34 Depth=1
	v_cmp_gt_i32_e64 s0, s23, v76
	s_waitcnt vmcnt(0)
	v_cndmask_b32_e64 v17, 0, v17, s0
	v_cmp_gt_i32_e64 s0, s23, v78
	v_cndmask_b32_e64 v18, 0, v18, s0
	v_cmp_gt_i32_e64 s0, s23, v77
	;; [unrolled: 2-line block ×3, first 2 shown]
	v_cndmask_b32_e64 v20, 0, v20, s0
.LBB25_39:                              ;   in Loop: Header=BB25_34 Depth=1
	s_or_b32 exec_lo, exec_lo, s5
	v_add_co_u32 v33, s0, 0x800, v37
	v_add_co_ci_u32_e64 v34, null, 0, v38, s0
	global_load_dwordx4 v[21:24], v[33:34], off
	s_and_saveexec_b32 s5, vcc_lo
	s_cbranch_execnz .LBB25_51
; %bb.40:                               ;   in Loop: Header=BB25_34 Depth=1
	s_or_b32 exec_lo, exec_lo, s5
	global_load_dwordx4 v[25:28], v[33:34], off offset:512
	s_and_saveexec_b32 s5, vcc_lo
	s_cbranch_execnz .LBB25_52
.LBB25_41:                              ;   in Loop: Header=BB25_34 Depth=1
	s_or_b32 exec_lo, exec_lo, s5
	global_load_dwordx4 v[29:32], v[33:34], off offset:1024
	s_and_saveexec_b32 s5, vcc_lo
	s_cbranch_execnz .LBB25_53
.LBB25_42:                              ;   in Loop: Header=BB25_34 Depth=1
	s_or_b32 exec_lo, exec_lo, s5
	global_load_dwordx4 v[33:36], v[33:34], off offset:1536
	s_and_saveexec_b32 s5, vcc_lo
	s_cbranch_execz .LBB25_44
.LBB25_43:                              ;   in Loop: Header=BB25_34 Depth=1
	v_cmp_gt_i32_e64 s0, s23, v76
	s_waitcnt vmcnt(0)
	v_cndmask_b32_e64 v33, 0, v33, s0
	v_cmp_gt_i32_e64 s0, s23, v78
	v_cndmask_b32_e64 v34, 0, v34, s0
	v_cmp_gt_i32_e64 s0, s23, v77
	;; [unrolled: 2-line block ×3, first 2 shown]
	v_cndmask_b32_e64 v36, 0, v36, s0
.LBB25_44:                              ;   in Loop: Header=BB25_34 Depth=1
	s_or_b32 exec_lo, exec_lo, s5
	v_add_co_u32 v41, s0, 0x1000, v37
	v_add_co_ci_u32_e64 v42, null, 0, v38, s0
	global_load_dwordx4 v[37:40], v[41:42], off
	s_and_saveexec_b32 s5, vcc_lo
	s_cbranch_execnz .LBB25_54
; %bb.45:                               ;   in Loop: Header=BB25_34 Depth=1
	s_or_b32 exec_lo, exec_lo, s5
	global_load_dwordx4 v[45:48], v[41:42], off offset:512
	s_and_saveexec_b32 s5, vcc_lo
	s_cbranch_execnz .LBB25_55
.LBB25_46:                              ;   in Loop: Header=BB25_34 Depth=1
	s_or_b32 exec_lo, exec_lo, s5
	global_load_dwordx4 v[49:52], v[41:42], off offset:1024
	s_and_saveexec_b32 s5, vcc_lo
	s_cbranch_execnz .LBB25_56
.LBB25_47:                              ;   in Loop: Header=BB25_34 Depth=1
	s_or_b32 exec_lo, exec_lo, s5
	global_load_dwordx4 v[41:44], v[41:42], off offset:1536
	s_and_saveexec_b32 s0, vcc_lo
	s_cbranch_execz .LBB25_33
	s_branch .LBB25_57
.LBB25_48:                              ;   in Loop: Header=BB25_34 Depth=1
	v_cmp_gt_i32_e64 s0, s23, v76
	s_waitcnt vmcnt(0)
	v_cndmask_b32_e64 v5, 0, v5, s0
	v_cmp_gt_i32_e64 s0, s23, v78
	v_cndmask_b32_e64 v6, 0, v6, s0
	v_cmp_gt_i32_e64 s0, s23, v77
	;; [unrolled: 2-line block ×3, first 2 shown]
	v_cndmask_b32_e64 v8, 0, v8, s0
	s_or_b32 exec_lo, exec_lo, s5
	global_load_dwordx4 v[9:12], v[37:38], off offset:512
	s_and_saveexec_b32 s5, vcc_lo
	s_cbranch_execz .LBB25_36
.LBB25_49:                              ;   in Loop: Header=BB25_34 Depth=1
	v_cmp_gt_i32_e64 s0, s23, v76
	s_waitcnt vmcnt(0)
	v_cndmask_b32_e64 v9, 0, v9, s0
	v_cmp_gt_i32_e64 s0, s23, v78
	v_cndmask_b32_e64 v10, 0, v10, s0
	v_cmp_gt_i32_e64 s0, s23, v77
	;; [unrolled: 2-line block ×3, first 2 shown]
	v_cndmask_b32_e64 v12, 0, v12, s0
	s_or_b32 exec_lo, exec_lo, s5
	global_load_dwordx4 v[13:16], v[37:38], off offset:1024
	s_and_saveexec_b32 s5, vcc_lo
	s_cbranch_execz .LBB25_37
.LBB25_50:                              ;   in Loop: Header=BB25_34 Depth=1
	v_cmp_gt_i32_e64 s0, s23, v76
	s_waitcnt vmcnt(0)
	v_cndmask_b32_e64 v13, 0, v13, s0
	v_cmp_gt_i32_e64 s0, s23, v78
	v_cndmask_b32_e64 v14, 0, v14, s0
	v_cmp_gt_i32_e64 s0, s23, v77
	;; [unrolled: 2-line block ×3, first 2 shown]
	v_cndmask_b32_e64 v16, 0, v16, s0
	s_or_b32 exec_lo, exec_lo, s5
	global_load_dwordx4 v[17:20], v[37:38], off offset:1536
	s_and_saveexec_b32 s5, vcc_lo
	s_cbranch_execnz .LBB25_38
	s_branch .LBB25_39
.LBB25_51:                              ;   in Loop: Header=BB25_34 Depth=1
	v_cmp_gt_i32_e64 s0, s23, v76
	s_waitcnt vmcnt(0)
	v_cndmask_b32_e64 v21, 0, v21, s0
	v_cmp_gt_i32_e64 s0, s23, v78
	v_cndmask_b32_e64 v22, 0, v22, s0
	v_cmp_gt_i32_e64 s0, s23, v77
	;; [unrolled: 2-line block ×3, first 2 shown]
	v_cndmask_b32_e64 v24, 0, v24, s0
	s_or_b32 exec_lo, exec_lo, s5
	global_load_dwordx4 v[25:28], v[33:34], off offset:512
	s_and_saveexec_b32 s5, vcc_lo
	s_cbranch_execz .LBB25_41
.LBB25_52:                              ;   in Loop: Header=BB25_34 Depth=1
	v_cmp_gt_i32_e64 s0, s23, v76
	s_waitcnt vmcnt(0)
	v_cndmask_b32_e64 v25, 0, v25, s0
	v_cmp_gt_i32_e64 s0, s23, v78
	v_cndmask_b32_e64 v26, 0, v26, s0
	v_cmp_gt_i32_e64 s0, s23, v77
	v_cndmask_b32_e64 v27, 0, v27, s0
	v_cmp_gt_i32_e64 s0, s23, v74
	v_cndmask_b32_e64 v28, 0, v28, s0
	s_or_b32 exec_lo, exec_lo, s5
	global_load_dwordx4 v[29:32], v[33:34], off offset:1024
	s_and_saveexec_b32 s5, vcc_lo
	s_cbranch_execz .LBB25_42
.LBB25_53:                              ;   in Loop: Header=BB25_34 Depth=1
	v_cmp_gt_i32_e64 s0, s23, v76
	s_waitcnt vmcnt(0)
	v_cndmask_b32_e64 v29, 0, v29, s0
	v_cmp_gt_i32_e64 s0, s23, v78
	v_cndmask_b32_e64 v30, 0, v30, s0
	v_cmp_gt_i32_e64 s0, s23, v77
	v_cndmask_b32_e64 v31, 0, v31, s0
	v_cmp_gt_i32_e64 s0, s23, v74
	v_cndmask_b32_e64 v32, 0, v32, s0
	s_or_b32 exec_lo, exec_lo, s5
	global_load_dwordx4 v[33:36], v[33:34], off offset:1536
	s_and_saveexec_b32 s5, vcc_lo
	s_cbranch_execnz .LBB25_43
	s_branch .LBB25_44
.LBB25_54:                              ;   in Loop: Header=BB25_34 Depth=1
	v_cmp_gt_i32_e64 s0, s23, v76
	s_waitcnt vmcnt(0)
	v_cndmask_b32_e64 v37, 0, v37, s0
	v_cmp_gt_i32_e64 s0, s23, v78
	v_cndmask_b32_e64 v38, 0, v38, s0
	v_cmp_gt_i32_e64 s0, s23, v77
	;; [unrolled: 2-line block ×3, first 2 shown]
	v_cndmask_b32_e64 v40, 0, v40, s0
	s_or_b32 exec_lo, exec_lo, s5
	global_load_dwordx4 v[45:48], v[41:42], off offset:512
	s_and_saveexec_b32 s5, vcc_lo
	s_cbranch_execz .LBB25_46
.LBB25_55:                              ;   in Loop: Header=BB25_34 Depth=1
	v_cmp_gt_i32_e64 s0, s23, v76
	s_waitcnt vmcnt(0)
	v_cndmask_b32_e64 v45, 0, v45, s0
	v_cmp_gt_i32_e64 s0, s23, v78
	v_cndmask_b32_e64 v46, 0, v46, s0
	v_cmp_gt_i32_e64 s0, s23, v77
	;; [unrolled: 2-line block ×3, first 2 shown]
	v_cndmask_b32_e64 v48, 0, v48, s0
	s_or_b32 exec_lo, exec_lo, s5
	global_load_dwordx4 v[49:52], v[41:42], off offset:1024
	s_and_saveexec_b32 s5, vcc_lo
	s_cbranch_execz .LBB25_47
.LBB25_56:                              ;   in Loop: Header=BB25_34 Depth=1
	v_cmp_gt_i32_e64 s0, s23, v76
	s_waitcnt vmcnt(0)
	v_cndmask_b32_e64 v49, 0, v49, s0
	v_cmp_gt_i32_e64 s0, s23, v78
	v_cndmask_b32_e64 v50, 0, v50, s0
	v_cmp_gt_i32_e64 s0, s23, v77
	;; [unrolled: 2-line block ×3, first 2 shown]
	v_cndmask_b32_e64 v52, 0, v52, s0
	s_or_b32 exec_lo, exec_lo, s5
	global_load_dwordx4 v[41:44], v[41:42], off offset:1536
	s_and_saveexec_b32 s0, vcc_lo
	s_cbranch_execz .LBB25_33
.LBB25_57:                              ;   in Loop: Header=BB25_34 Depth=1
	v_cmp_gt_i32_e32 vcc_lo, s23, v76
	s_waitcnt vmcnt(0)
	v_cndmask_b32_e32 v41, 0, v41, vcc_lo
	v_cmp_gt_i32_e32 vcc_lo, s23, v78
	v_cndmask_b32_e32 v42, 0, v42, vcc_lo
	v_cmp_gt_i32_e32 vcc_lo, s23, v77
	;; [unrolled: 2-line block ×3, first 2 shown]
	v_cndmask_b32_e32 v44, 0, v44, vcc_lo
	s_branch .LBB25_33
.LBB25_58:
	s_or_b32 exec_lo, exec_lo, s3
.LBB25_59:
	s_or_b32 exec_lo, exec_lo, s1
	ds_bpermute_b32 v1, v58, v69
	ds_bpermute_b32 v2, v58, v71
	;; [unrolled: 1-line block ×12, first 2 shown]
	v_lshrrev_b32_e32 v13, 1, v57
	v_and_b32_e32 v16, 0x3c1, v0
	v_mul_u32_u24_e32 v15, 0x300, v56
	s_mov_b32 s0, exec_lo
	s_waitcnt lgkmcnt(0)
	s_waitcnt_vscnt null, 0x0
	v_lshl_add_u32 v14, v13, 2, 0x320
	s_barrier
	buffer_gl0_inv
	v_add_f32_e32 v1, v69, v1
	v_add_f32_e32 v2, v71, v2
	;; [unrolled: 1-line block ×12, first 2 shown]
	v_cmpx_eq_u32_e32 64, v16
	s_cbranch_execz .LBB25_61
; %bb.60:
	v_add_nc_u32_e32 v16, v14, v15
	v_add_nc_u32_e32 v17, 0xfffffa00, v16
	;; [unrolled: 1-line block ×8, first 2 shown]
	ds_write_b32 v17, v1
	ds_write_b32 v18, v2
	;; [unrolled: 1-line block ×7, first 2 shown]
	v_add_nc_u32_e32 v17, 0xfffffbc0, v16
	v_add_nc_u32_e32 v18, 0xfffffc00, v16
	;; [unrolled: 1-line block ×5, first 2 shown]
	ds_write_b32 v17, v8
	ds_write_b32 v18, v9
	;; [unrolled: 1-line block ×5, first 2 shown]
.LBB25_61:
	s_or_b32 exec_lo, exec_lo, s0
	v_lshlrev_b32_e32 v13, 2, v13
	s_mov_b32 s1, exec_lo
	v_cmp_eq_u32_e32 vcc_lo, 0, v59
	s_waitcnt lgkmcnt(0)
	s_barrier
	v_add3_u32 v13, 0x320, v15, v13
	buffer_gl0_inv
	v_cmpx_gt_u32_e32 64, v0
	s_cbranch_execz .LBB25_76
; %bb.62:
	s_and_saveexec_b32 s0, vcc_lo
	s_cbranch_execnz .LBB25_96
; %bb.63:
	s_or_b32 exec_lo, exec_lo, s0
	s_and_saveexec_b32 s0, vcc_lo
	s_cbranch_execnz .LBB25_97
.LBB25_64:
	s_or_b32 exec_lo, exec_lo, s0
	s_and_saveexec_b32 s0, vcc_lo
	s_cbranch_execnz .LBB25_98
.LBB25_65:
	s_or_b32 exec_lo, exec_lo, s0
	s_and_saveexec_b32 s0, vcc_lo
	s_cbranch_execnz .LBB25_99
.LBB25_66:
	s_or_b32 exec_lo, exec_lo, s0
	s_and_saveexec_b32 s0, vcc_lo
	s_cbranch_execnz .LBB25_100
.LBB25_67:
	s_or_b32 exec_lo, exec_lo, s0
	s_and_saveexec_b32 s0, vcc_lo
	s_cbranch_execnz .LBB25_101
.LBB25_68:
	s_or_b32 exec_lo, exec_lo, s0
	s_and_saveexec_b32 s0, vcc_lo
	s_cbranch_execnz .LBB25_102
.LBB25_69:
	s_or_b32 exec_lo, exec_lo, s0
	s_and_saveexec_b32 s0, vcc_lo
	s_cbranch_execnz .LBB25_103
.LBB25_70:
	s_or_b32 exec_lo, exec_lo, s0
	s_and_saveexec_b32 s0, vcc_lo
	s_cbranch_execnz .LBB25_104
.LBB25_71:
	s_or_b32 exec_lo, exec_lo, s0
	s_and_saveexec_b32 s0, vcc_lo
	s_cbranch_execnz .LBB25_105
.LBB25_72:
	s_or_b32 exec_lo, exec_lo, s0
	s_and_saveexec_b32 s0, vcc_lo
	s_cbranch_execnz .LBB25_106
.LBB25_73:
	s_or_b32 exec_lo, exec_lo, s0
	s_and_saveexec_b32 s0, vcc_lo
	s_cbranch_execz .LBB25_75
.LBB25_74:
	ds_read_b32 v15, v13 offset:704
	s_waitcnt lgkmcnt(0)
	v_add_f32_e32 v12, v12, v15
.LBB25_75:
	s_or_b32 exec_lo, exec_lo, s0
.LBB25_76:
	s_or_b32 exec_lo, exec_lo, s1
	v_and_b32_e32 v15, 0x3e1, v0
	s_mov_b32 s1, exec_lo
	s_barrier
	buffer_gl0_inv
	v_cmpx_eq_u32_e32 32, v15
	s_cbranch_execz .LBB25_78
; %bb.77:
	ds_write2_b32 v14, v1, v2 offset1:16
	ds_write2_b32 v14, v3, v4 offset0:32 offset1:48
	ds_write2_b32 v14, v5, v6 offset0:64 offset1:80
	;; [unrolled: 1-line block ×5, first 2 shown]
.LBB25_78:
	s_or_b32 exec_lo, exec_lo, s1
	s_mov_b32 s1, exec_lo
	s_waitcnt lgkmcnt(0)
	s_barrier
	buffer_gl0_inv
	v_cmpx_gt_u32_e32 32, v0
	s_cbranch_execz .LBB25_93
; %bb.79:
	s_and_saveexec_b32 s0, vcc_lo
	s_cbranch_execnz .LBB25_107
; %bb.80:
	s_or_b32 exec_lo, exec_lo, s0
	s_and_saveexec_b32 s0, vcc_lo
	s_cbranch_execnz .LBB25_108
.LBB25_81:
	s_or_b32 exec_lo, exec_lo, s0
	s_and_saveexec_b32 s0, vcc_lo
	s_cbranch_execnz .LBB25_109
.LBB25_82:
	s_or_b32 exec_lo, exec_lo, s0
	s_and_saveexec_b32 s0, vcc_lo
	s_cbranch_execnz .LBB25_110
.LBB25_83:
	s_or_b32 exec_lo, exec_lo, s0
	s_and_saveexec_b32 s0, vcc_lo
	s_cbranch_execnz .LBB25_111
.LBB25_84:
	s_or_b32 exec_lo, exec_lo, s0
	s_and_saveexec_b32 s0, vcc_lo
	s_cbranch_execnz .LBB25_112
.LBB25_85:
	s_or_b32 exec_lo, exec_lo, s0
	s_and_saveexec_b32 s0, vcc_lo
	s_cbranch_execnz .LBB25_113
.LBB25_86:
	s_or_b32 exec_lo, exec_lo, s0
	s_and_saveexec_b32 s0, vcc_lo
	s_cbranch_execnz .LBB25_114
.LBB25_87:
	s_or_b32 exec_lo, exec_lo, s0
	s_and_saveexec_b32 s0, vcc_lo
	s_cbranch_execnz .LBB25_115
.LBB25_88:
	s_or_b32 exec_lo, exec_lo, s0
	s_and_saveexec_b32 s0, vcc_lo
	s_cbranch_execnz .LBB25_116
.LBB25_89:
	s_or_b32 exec_lo, exec_lo, s0
	s_and_saveexec_b32 s0, vcc_lo
	s_cbranch_execnz .LBB25_117
.LBB25_90:
	s_or_b32 exec_lo, exec_lo, s0
	s_and_saveexec_b32 s0, vcc_lo
	s_cbranch_execz .LBB25_92
.LBB25_91:
	ds_read_b32 v13, v13 offset:704
	s_waitcnt lgkmcnt(0)
	v_add_f32_e32 v12, v12, v13
.LBB25_92:
	s_or_b32 exec_lo, exec_lo, s0
.LBB25_93:
	s_or_b32 exec_lo, exec_lo, s1
	s_barrier
	buffer_gl0_inv
	s_mov_b32 s0, exec_lo
	v_cmpx_eq_u32_e32 0, v15
	s_cbranch_execz .LBB25_95
; %bb.94:
	s_mul_i32 s0, s2, 0xc0
	s_mul_i32 s2, s7, s10
	s_ashr_i32 s1, s0, 31
	v_lshlrev_b32_e32 v0, 1, v0
	s_lshl_b64 s[0:1], s[0:1], 2
	s_add_u32 s4, s20, s0
	s_addc_u32 s5, s21, s1
	s_ashr_i32 s3, s2, 31
	s_lshl_b64 s[0:1], s[2:3], 2
	s_mul_i32 s2, s8, 0xc0
	s_add_u32 s4, s4, s0
	s_addc_u32 s5, s5, s1
	s_ashr_i32 s3, s2, 31
	s_lshl_b64 s[0:1], s[2:3], 2
	s_add_u32 s0, s4, s0
	s_addc_u32 s1, s5, s1
	global_store_dword v0, v1, s[0:1]
	global_store_dword v0, v2, s[0:1] offset:64
	global_store_dword v0, v3, s[0:1] offset:128
	;; [unrolled: 1-line block ×11, first 2 shown]
.LBB25_95:
	s_endpgm
.LBB25_96:
	ds_read_b32 v15, v13
	s_waitcnt lgkmcnt(0)
	v_add_f32_e32 v1, v1, v15
	s_or_b32 exec_lo, exec_lo, s0
	s_and_saveexec_b32 s0, vcc_lo
	s_cbranch_execz .LBB25_64
.LBB25_97:
	ds_read_b32 v15, v13 offset:64
	s_waitcnt lgkmcnt(0)
	v_add_f32_e32 v2, v2, v15
	s_or_b32 exec_lo, exec_lo, s0
	s_and_saveexec_b32 s0, vcc_lo
	s_cbranch_execz .LBB25_65
.LBB25_98:
	ds_read_b32 v15, v13 offset:128
	s_waitcnt lgkmcnt(0)
	v_add_f32_e32 v3, v3, v15
	s_or_b32 exec_lo, exec_lo, s0
	s_and_saveexec_b32 s0, vcc_lo
	s_cbranch_execz .LBB25_66
.LBB25_99:
	ds_read_b32 v15, v13 offset:192
	s_waitcnt lgkmcnt(0)
	v_add_f32_e32 v4, v4, v15
	s_or_b32 exec_lo, exec_lo, s0
	s_and_saveexec_b32 s0, vcc_lo
	s_cbranch_execz .LBB25_67
.LBB25_100:
	ds_read_b32 v15, v13 offset:256
	s_waitcnt lgkmcnt(0)
	v_add_f32_e32 v5, v5, v15
	s_or_b32 exec_lo, exec_lo, s0
	s_and_saveexec_b32 s0, vcc_lo
	s_cbranch_execz .LBB25_68
.LBB25_101:
	ds_read_b32 v15, v13 offset:320
	s_waitcnt lgkmcnt(0)
	v_add_f32_e32 v6, v6, v15
	s_or_b32 exec_lo, exec_lo, s0
	s_and_saveexec_b32 s0, vcc_lo
	s_cbranch_execz .LBB25_69
.LBB25_102:
	ds_read_b32 v15, v13 offset:384
	s_waitcnt lgkmcnt(0)
	v_add_f32_e32 v7, v7, v15
	s_or_b32 exec_lo, exec_lo, s0
	s_and_saveexec_b32 s0, vcc_lo
	s_cbranch_execz .LBB25_70
.LBB25_103:
	ds_read_b32 v15, v13 offset:448
	s_waitcnt lgkmcnt(0)
	v_add_f32_e32 v8, v8, v15
	s_or_b32 exec_lo, exec_lo, s0
	s_and_saveexec_b32 s0, vcc_lo
	s_cbranch_execz .LBB25_71
.LBB25_104:
	ds_read_b32 v15, v13 offset:512
	s_waitcnt lgkmcnt(0)
	v_add_f32_e32 v9, v9, v15
	s_or_b32 exec_lo, exec_lo, s0
	s_and_saveexec_b32 s0, vcc_lo
	s_cbranch_execz .LBB25_72
.LBB25_105:
	ds_read_b32 v15, v13 offset:576
	s_waitcnt lgkmcnt(0)
	v_add_f32_e32 v10, v10, v15
	s_or_b32 exec_lo, exec_lo, s0
	s_and_saveexec_b32 s0, vcc_lo
	s_cbranch_execz .LBB25_73
.LBB25_106:
	ds_read_b32 v15, v13 offset:640
	s_waitcnt lgkmcnt(0)
	v_add_f32_e32 v11, v11, v15
	s_or_b32 exec_lo, exec_lo, s0
	s_and_saveexec_b32 s0, vcc_lo
	s_cbranch_execnz .LBB25_74
	s_branch .LBB25_75
.LBB25_107:
	ds_read_b32 v14, v13
	s_waitcnt lgkmcnt(0)
	v_add_f32_e32 v1, v1, v14
	s_or_b32 exec_lo, exec_lo, s0
	s_and_saveexec_b32 s0, vcc_lo
	s_cbranch_execz .LBB25_81
.LBB25_108:
	ds_read_b32 v14, v13 offset:64
	s_waitcnt lgkmcnt(0)
	v_add_f32_e32 v2, v2, v14
	s_or_b32 exec_lo, exec_lo, s0
	s_and_saveexec_b32 s0, vcc_lo
	s_cbranch_execz .LBB25_82
.LBB25_109:
	ds_read_b32 v14, v13 offset:128
	s_waitcnt lgkmcnt(0)
	v_add_f32_e32 v3, v3, v14
	s_or_b32 exec_lo, exec_lo, s0
	s_and_saveexec_b32 s0, vcc_lo
	s_cbranch_execz .LBB25_83
.LBB25_110:
	ds_read_b32 v14, v13 offset:192
	s_waitcnt lgkmcnt(0)
	v_add_f32_e32 v4, v4, v14
	s_or_b32 exec_lo, exec_lo, s0
	s_and_saveexec_b32 s0, vcc_lo
	s_cbranch_execz .LBB25_84
.LBB25_111:
	ds_read_b32 v14, v13 offset:256
	s_waitcnt lgkmcnt(0)
	v_add_f32_e32 v5, v5, v14
	s_or_b32 exec_lo, exec_lo, s0
	s_and_saveexec_b32 s0, vcc_lo
	s_cbranch_execz .LBB25_85
.LBB25_112:
	ds_read_b32 v14, v13 offset:320
	s_waitcnt lgkmcnt(0)
	v_add_f32_e32 v6, v6, v14
	s_or_b32 exec_lo, exec_lo, s0
	s_and_saveexec_b32 s0, vcc_lo
	s_cbranch_execz .LBB25_86
.LBB25_113:
	ds_read_b32 v14, v13 offset:384
	s_waitcnt lgkmcnt(0)
	v_add_f32_e32 v7, v7, v14
	s_or_b32 exec_lo, exec_lo, s0
	s_and_saveexec_b32 s0, vcc_lo
	s_cbranch_execz .LBB25_87
.LBB25_114:
	ds_read_b32 v14, v13 offset:448
	s_waitcnt lgkmcnt(0)
	v_add_f32_e32 v8, v8, v14
	s_or_b32 exec_lo, exec_lo, s0
	s_and_saveexec_b32 s0, vcc_lo
	s_cbranch_execz .LBB25_88
.LBB25_115:
	ds_read_b32 v14, v13 offset:512
	s_waitcnt lgkmcnt(0)
	v_add_f32_e32 v9, v9, v14
	s_or_b32 exec_lo, exec_lo, s0
	s_and_saveexec_b32 s0, vcc_lo
	s_cbranch_execz .LBB25_89
.LBB25_116:
	ds_read_b32 v14, v13 offset:576
	s_waitcnt lgkmcnt(0)
	v_add_f32_e32 v10, v10, v14
	s_or_b32 exec_lo, exec_lo, s0
	s_and_saveexec_b32 s0, vcc_lo
	s_cbranch_execz .LBB25_90
.LBB25_117:
	ds_read_b32 v14, v13 offset:640
	s_waitcnt lgkmcnt(0)
	v_add_f32_e32 v11, v11, v14
	s_or_b32 exec_lo, exec_lo, s0
	s_and_saveexec_b32 s0, vcc_lo
	s_cbranch_execnz .LBB25_91
	s_branch .LBB25_92
	.section	.rodata,"a",@progbits
	.p2align	6, 0x0
	.amdhsa_kernel _ZN4vllm25paged_attention_v2_kernelIffLi192ELi8ELi128ELNS_18Fp8KVCacheDataTypeE0ELb0ELi512EEEvPfS2_PT_PKS3_PKT0_S9_ifPKiSB_iPKfiiiSD_SD_iiiii
		.amdhsa_group_segment_fixed_size 800
		.amdhsa_private_segment_fixed_size 0
		.amdhsa_kernarg_size 400
		.amdhsa_user_sgpr_count 6
		.amdhsa_user_sgpr_private_segment_buffer 1
		.amdhsa_user_sgpr_dispatch_ptr 0
		.amdhsa_user_sgpr_queue_ptr 0
		.amdhsa_user_sgpr_kernarg_segment_ptr 1
		.amdhsa_user_sgpr_dispatch_id 0
		.amdhsa_user_sgpr_flat_scratch_init 0
		.amdhsa_user_sgpr_private_segment_size 0
		.amdhsa_wavefront_size32 1
		.amdhsa_uses_dynamic_stack 0
		.amdhsa_system_sgpr_private_segment_wavefront_offset 0
		.amdhsa_system_sgpr_workgroup_id_x 1
		.amdhsa_system_sgpr_workgroup_id_y 1
		.amdhsa_system_sgpr_workgroup_id_z 1
		.amdhsa_system_sgpr_workgroup_info 0
		.amdhsa_system_vgpr_workitem_id 0
		.amdhsa_next_free_vgpr 115
		.amdhsa_next_free_sgpr 36
		.amdhsa_reserve_vcc 1
		.amdhsa_reserve_flat_scratch 0
		.amdhsa_float_round_mode_32 0
		.amdhsa_float_round_mode_16_64 0
		.amdhsa_float_denorm_mode_32 3
		.amdhsa_float_denorm_mode_16_64 3
		.amdhsa_dx10_clamp 1
		.amdhsa_ieee_mode 1
		.amdhsa_fp16_overflow 0
		.amdhsa_workgroup_processor_mode 1
		.amdhsa_memory_ordered 1
		.amdhsa_forward_progress 1
		.amdhsa_shared_vgpr_count 0
		.amdhsa_exception_fp_ieee_invalid_op 0
		.amdhsa_exception_fp_denorm_src 0
		.amdhsa_exception_fp_ieee_div_zero 0
		.amdhsa_exception_fp_ieee_overflow 0
		.amdhsa_exception_fp_ieee_underflow 0
		.amdhsa_exception_fp_ieee_inexact 0
		.amdhsa_exception_int_div_zero 0
	.end_amdhsa_kernel
	.section	.text._ZN4vllm25paged_attention_v2_kernelIffLi192ELi8ELi128ELNS_18Fp8KVCacheDataTypeE0ELb0ELi512EEEvPfS2_PT_PKS3_PKT0_S9_ifPKiSB_iPKfiiiSD_SD_iiiii,"axG",@progbits,_ZN4vllm25paged_attention_v2_kernelIffLi192ELi8ELi128ELNS_18Fp8KVCacheDataTypeE0ELb0ELi512EEEvPfS2_PT_PKS3_PKT0_S9_ifPKiSB_iPKfiiiSD_SD_iiiii,comdat
.Lfunc_end25:
	.size	_ZN4vllm25paged_attention_v2_kernelIffLi192ELi8ELi128ELNS_18Fp8KVCacheDataTypeE0ELb0ELi512EEEvPfS2_PT_PKS3_PKT0_S9_ifPKiSB_iPKfiiiSD_SD_iiiii, .Lfunc_end25-_ZN4vllm25paged_attention_v2_kernelIffLi192ELi8ELi128ELNS_18Fp8KVCacheDataTypeE0ELb0ELi512EEEvPfS2_PT_PKS3_PKT0_S9_ifPKiSB_iPKfiiiSD_SD_iiiii
                                        ; -- End function
	.set _ZN4vllm25paged_attention_v2_kernelIffLi192ELi8ELi128ELNS_18Fp8KVCacheDataTypeE0ELb0ELi512EEEvPfS2_PT_PKS3_PKT0_S9_ifPKiSB_iPKfiiiSD_SD_iiiii.num_vgpr, 115
	.set _ZN4vllm25paged_attention_v2_kernelIffLi192ELi8ELi128ELNS_18Fp8KVCacheDataTypeE0ELb0ELi512EEEvPfS2_PT_PKS3_PKT0_S9_ifPKiSB_iPKfiiiSD_SD_iiiii.num_agpr, 0
	.set _ZN4vllm25paged_attention_v2_kernelIffLi192ELi8ELi128ELNS_18Fp8KVCacheDataTypeE0ELb0ELi512EEEvPfS2_PT_PKS3_PKT0_S9_ifPKiSB_iPKfiiiSD_SD_iiiii.numbered_sgpr, 36
	.set _ZN4vllm25paged_attention_v2_kernelIffLi192ELi8ELi128ELNS_18Fp8KVCacheDataTypeE0ELb0ELi512EEEvPfS2_PT_PKS3_PKT0_S9_ifPKiSB_iPKfiiiSD_SD_iiiii.num_named_barrier, 0
	.set _ZN4vllm25paged_attention_v2_kernelIffLi192ELi8ELi128ELNS_18Fp8KVCacheDataTypeE0ELb0ELi512EEEvPfS2_PT_PKS3_PKT0_S9_ifPKiSB_iPKfiiiSD_SD_iiiii.private_seg_size, 0
	.set _ZN4vllm25paged_attention_v2_kernelIffLi192ELi8ELi128ELNS_18Fp8KVCacheDataTypeE0ELb0ELi512EEEvPfS2_PT_PKS3_PKT0_S9_ifPKiSB_iPKfiiiSD_SD_iiiii.uses_vcc, 1
	.set _ZN4vllm25paged_attention_v2_kernelIffLi192ELi8ELi128ELNS_18Fp8KVCacheDataTypeE0ELb0ELi512EEEvPfS2_PT_PKS3_PKT0_S9_ifPKiSB_iPKfiiiSD_SD_iiiii.uses_flat_scratch, 0
	.set _ZN4vllm25paged_attention_v2_kernelIffLi192ELi8ELi128ELNS_18Fp8KVCacheDataTypeE0ELb0ELi512EEEvPfS2_PT_PKS3_PKT0_S9_ifPKiSB_iPKfiiiSD_SD_iiiii.has_dyn_sized_stack, 0
	.set _ZN4vllm25paged_attention_v2_kernelIffLi192ELi8ELi128ELNS_18Fp8KVCacheDataTypeE0ELb0ELi512EEEvPfS2_PT_PKS3_PKT0_S9_ifPKiSB_iPKfiiiSD_SD_iiiii.has_recursion, 0
	.set _ZN4vllm25paged_attention_v2_kernelIffLi192ELi8ELi128ELNS_18Fp8KVCacheDataTypeE0ELb0ELi512EEEvPfS2_PT_PKS3_PKT0_S9_ifPKiSB_iPKfiiiSD_SD_iiiii.has_indirect_call, 0
	.section	.AMDGPU.csdata,"",@progbits
; Kernel info:
; codeLenInByte = 6652
; TotalNumSgprs: 38
; NumVgprs: 115
; ScratchSize: 0
; MemoryBound: 0
; FloatMode: 240
; IeeeMode: 1
; LDSByteSize: 800 bytes/workgroup (compile time only)
; SGPRBlocks: 0
; VGPRBlocks: 14
; NumSGPRsForWavesPerEU: 38
; NumVGPRsForWavesPerEU: 115
; Occupancy: 8
; WaveLimiterHint : 1
; COMPUTE_PGM_RSRC2:SCRATCH_EN: 0
; COMPUTE_PGM_RSRC2:USER_SGPR: 6
; COMPUTE_PGM_RSRC2:TRAP_HANDLER: 0
; COMPUTE_PGM_RSRC2:TGID_X_EN: 1
; COMPUTE_PGM_RSRC2:TGID_Y_EN: 1
; COMPUTE_PGM_RSRC2:TGID_Z_EN: 1
; COMPUTE_PGM_RSRC2:TIDIG_COMP_CNT: 0
	.section	.text._ZN4vllm25paged_attention_v2_kernelIffLi256ELi8ELi128ELNS_18Fp8KVCacheDataTypeE0ELb0ELi512EEEvPfS2_PT_PKS3_PKT0_S9_ifPKiSB_iPKfiiiSD_SD_iiiii,"axG",@progbits,_ZN4vllm25paged_attention_v2_kernelIffLi256ELi8ELi128ELNS_18Fp8KVCacheDataTypeE0ELb0ELi512EEEvPfS2_PT_PKS3_PKT0_S9_ifPKiSB_iPKfiiiSD_SD_iiiii,comdat
	.protected	_ZN4vllm25paged_attention_v2_kernelIffLi256ELi8ELi128ELNS_18Fp8KVCacheDataTypeE0ELb0ELi512EEEvPfS2_PT_PKS3_PKT0_S9_ifPKiSB_iPKfiiiSD_SD_iiiii ; -- Begin function _ZN4vllm25paged_attention_v2_kernelIffLi256ELi8ELi128ELNS_18Fp8KVCacheDataTypeE0ELb0ELi512EEEvPfS2_PT_PKS3_PKT0_S9_ifPKiSB_iPKfiiiSD_SD_iiiii
	.globl	_ZN4vllm25paged_attention_v2_kernelIffLi256ELi8ELi128ELNS_18Fp8KVCacheDataTypeE0ELb0ELi512EEEvPfS2_PT_PKS3_PKT0_S9_ifPKiSB_iPKfiiiSD_SD_iiiii
	.p2align	8
	.type	_ZN4vllm25paged_attention_v2_kernelIffLi256ELi8ELi128ELNS_18Fp8KVCacheDataTypeE0ELb0ELi512EEEvPfS2_PT_PKS3_PKT0_S9_ifPKiSB_iPKfiiiSD_SD_iiiii,@function
_ZN4vllm25paged_attention_v2_kernelIffLi256ELi8ELi128ELNS_18Fp8KVCacheDataTypeE0ELb0ELi512EEEvPfS2_PT_PKS3_PKT0_S9_ifPKiSB_iPKfiiiSD_SD_iiiii: ; @_ZN4vllm25paged_attention_v2_kernelIffLi256ELi8ELi128ELNS_18Fp8KVCacheDataTypeE0ELb0ELi512EEEvPfS2_PT_PKS3_PKT0_S9_ifPKiSB_iPKfiiiSD_SD_iiiii
; %bb.0:
	s_mov_b64 s[38:39], s[2:3]
	s_mov_b64 s[36:37], s[0:1]
	s_load_dwordx2 s[0:1], s[4:5], 0x40
	s_add_u32 s36, s36, s9
	s_addc_u32 s37, s37, 0
	s_mov_b32 s22, s7
	s_ashr_i32 s23, s7, 31
	s_lshl_b64 s[2:3], s[22:23], 2
	s_waitcnt lgkmcnt(0)
	s_add_u32 s0, s0, s2
	s_addc_u32 s1, s1, s3
	s_lshl_b32 s33, s8, 9
	s_load_dword s23, s[0:1], 0x0
	s_waitcnt lgkmcnt(0)
	s_cmp_ge_i32 s33, s23
	s_cbranch_scc1 .LBB26_111
; %bb.1:
	s_clause 0x1
	s_load_dword s9, s[4:5], 0x90
	s_load_dwordx2 s[30:31], s[4:5], 0x30
	v_mov_b32_e32 v69, v0
	s_mov_b32 s34, 0
	s_waitcnt lgkmcnt(0)
	s_abs_i32 s3, s9
	s_abs_i32 s0, s30
	v_cvt_f32_u32_e32 v0, s0
	s_sub_i32 s2, 0, s0
	v_rcp_iflag_f32_e32 v0, v0
	v_mul_f32_e32 v0, 0x4f7ffffe, v0
	v_cvt_u32_f32_e32 v0, v0
	v_readfirstlane_b32 s1, v0
	s_mul_i32 s2, s2, s1
	s_mul_hi_u32 s2, s1, s2
	s_add_i32 s1, s1, s2
	s_xor_b32 s2, s9, s30
	s_mul_hi_u32 s1, s3, s1
	s_ashr_i32 s2, s2, 31
	s_mul_i32 s7, s1, s0
	s_sub_i32 s3, s3, s7
	s_add_i32 s7, s1, 1
	s_sub_i32 s10, s3, s0
	s_cmp_ge_u32 s3, s0
	s_cselect_b32 s1, s7, s1
	s_cselect_b32 s3, s10, s3
	s_add_i32 s7, s1, 1
	s_cmp_ge_u32 s3, s0
	s_cselect_b32 s0, s7, s1
	s_abs_i32 s16, s6
	s_xor_b32 s0, s0, s2
	s_sub_i32 s10, s0, s2
	s_load_dwordx2 s[0:1], s[4:5], 0x50
	s_abs_i32 s2, s10
	v_cvt_f32_u32_e32 v0, s2
	s_sub_i32 s7, 0, s2
	v_rcp_iflag_f32_e32 v0, v0
	v_mul_f32_e32 v0, 0x4f7ffffe, v0
	v_cvt_u32_f32_e32 v0, v0
	v_readfirstlane_b32 s3, v0
	s_mul_i32 s7, s7, s3
	s_mul_hi_u32 s7, s3, s7
	s_add_i32 s3, s3, s7
	s_waitcnt lgkmcnt(0)
	s_cmp_eq_u64 s[0:1], 0
	s_mul_hi_u32 s3, s16, s3
	s_cbranch_scc1 .LBB26_3
; %bb.2:
	s_ashr_i32 s7, s6, 31
	s_lshl_b64 s[12:13], s[6:7], 2
	s_add_u32 s0, s0, s12
	s_addc_u32 s1, s1, s13
	s_load_dword s34, s[0:1], 0x0
.LBB26_3:
	s_clause 0x1
	s_load_dword s7, s[4:5], 0x98
	s_load_dwordx4 s[12:15], s[4:5], 0x58
	v_and_b32_e32 v41, 3, v69
	v_lshlrev_b32_e32 v12, 2, v69
	s_waitcnt lgkmcnt(0)
	s_ashr_i32 s15, s6, 31
	s_ashr_i32 s17, s10, 31
	s_lshl_b32 s10, s6, 8
	s_mov_b32 s18, exec_lo
	v_cmpx_gt_u32_e32 0x100, v69
	s_cbranch_execz .LBB26_6
; %bb.4:
	s_load_dwordx2 s[0:1], s[4:5], 0x18
	s_mul_i32 s20, s12, s22
	v_and_b32_e32 v1, 0x3fc, v69
	s_ashr_i32 s21, s20, 31
	v_cmp_gt_u32_e32 vcc_lo, 0x80, v69
	s_lshl_b64 s[20:21], s[20:21], 2
	v_lshl_add_u32 v1, v41, 8, v1
	s_waitcnt lgkmcnt(0)
	s_add_u32 s12, s0, s20
	s_addc_u32 s19, s1, s21
	s_ashr_i32 s11, s10, 31
	s_lshl_b64 s[0:1], s[10:11], 2
	s_add_u32 s0, s12, s0
	s_addc_u32 s1, s19, s1
	global_load_dword v0, v12, s[0:1]
	s_waitcnt vmcnt(0)
	ds_write_b32 v1, v0
	s_and_b32 exec_lo, exec_lo, vcc_lo
	s_cbranch_execz .LBB26_6
; %bb.5:
	v_lshrrev_b32_e32 v0, 2, v69
	v_lshlrev_b32_e32 v2, 2, v41
	v_lshlrev_b32_e32 v0, 4, v0
	v_or3_b32 v0, v0, v2, 0x200
	global_load_dword v0, v0, s[0:1]
	s_waitcnt vmcnt(0)
	ds_write_b32 v1, v0 offset:128
.LBB26_6:
	s_or_b32 exec_lo, exec_lo, s18
	s_add_i32 s0, s23, 7
	s_xor_b32 s15, s15, s17
	s_ashr_i32 s1, s0, 31
	s_clause 0x1
	s_load_dwordx2 s[24:25], s[4:5], 0x38
	s_load_dword s17, s[4:5], 0x48
	s_lshr_b32 s1, s1, 29
	s_lshl_b32 s30, s8, 6
	s_add_i32 s0, s0, s1
	s_add_i32 s1, s30, 64
	s_ashr_i32 s12, s0, 3
	s_mul_i32 s0, s3, s2
	s_min_i32 s11, s1, s12
	s_sub_i32 s0, s16, s0
	s_add_i32 s1, s3, 1
	s_sub_i32 s16, s0, s2
	s_cmp_ge_u32 s0, s2
	v_lshrrev_b32_e32 v72, 5, v69
	s_cselect_b32 s1, s1, s3
	s_cselect_b32 s0, s16, s0
	s_add_i32 s3, s1, 1
	s_cmp_ge_u32 s0, s2
	v_or_b32_e32 v99, s30, v72
	s_cselect_b32 s0, s3, s1
	v_mbcnt_lo_u32_b32 v37, -1, 0
	s_xor_b32 s0, s0, s15
	s_waitcnt lgkmcnt(0)
	s_mul_i32 s26, s17, s22
	s_sub_i32 s1, s0, s15
	v_cmp_gt_i32_e64 s0, s11, v99
	s_ashr_i32 s27, s26, 31
	s_mov_b32 s2, exec_lo
	s_barrier
	buffer_gl0_inv
                                        ; implicit-def: $vgpr9
                                        ; implicit-def: $vgpr10
	v_cmpx_le_i32_e64 s11, v99
	s_xor_b32 s2, exec_lo, s2
; %bb.7:
	v_mov_b32_e32 v9, 0
	v_mbcnt_lo_u32_b32 v37, -1, 0
	v_mov_b32_e32 v10, 32
                                        ; implicit-def: $vgpr41
; %bb.8:
	s_or_saveexec_b32 s35, s2
	s_clause 0x2
	s_load_dwordx4 s[16:19], s[4:5], 0x0
	s_load_dwordx2 s[20:21], s[4:5], 0x10
	s_load_dwordx2 s[28:29], s[4:5], 0x28
	v_mov_b32_e32 v3, 0xff7fffff
	v_ashrrev_i32_e32 v100, 31, v99
	s_mul_i32 s14, s1, s14
	s_xor_b32 exec_lo, exec_lo, s35
	s_cbranch_execz .LBB26_14
; %bb.9:
	s_load_dwordx2 s[2:3], s[4:5], 0x20
	v_bfe_u32 v65, v69, 2, 3
	s_ashr_i32 s15, s14, 31
	v_lshlrev_b32_e32 v0, 2, v41
	s_lshl_b64 s[4:5], s[14:15], 2
	v_lshlrev_b32_e32 v61, 8, v41
	v_lshlrev_b32_e32 v25, 4, v65
	v_xor_b32_e32 v33, 2, v37
	buffer_store_dword v12, off, s[36:39], 0 offset:60 ; 4-byte Folded Spill
	buffer_store_dword v69, off, s[36:39], 0 offset:44 ; 4-byte Folded Spill
	v_xor_b32_e32 v34, 1, v37
	ds_read_b128 v[86:89], v61
	ds_read_b128 v[5:8], v61 offset:16
	ds_read_b128 v[9:12], v61 offset:32
	;; [unrolled: 1-line block ×5, first 2 shown]
	v_lshlrev_b32_e32 v66, 2, v65
	v_lshlrev_b32_e32 v67, 3, v72
	s_mov_b32 s15, s13
	v_add3_u32 v79, s33, v67, v65
	s_waitcnt lgkmcnt(0)
	s_add_u32 s1, s2, s4
	s_addc_u32 s2, s3, s5
	v_add_co_u32 v35, s1, s1, v25
	v_add_co_ci_u32_e64 v36, null, s2, 0, s1
	ds_read_b128 v[25:28], v61 offset:96
	ds_read_b128 v[29:32], v61 offset:112
	v_add_co_u32 v0, vcc_lo, v35, v0
	buffer_store_dword v37, off, s[36:39], 0 offset:64 ; 4-byte Folded Spill
	s_lshl_b64 s[2:3], s[26:27], 2
	s_sub_i32 s4, 1, s23
	buffer_store_dword v0, off, s[36:39], 0 offset:28 ; 4-byte Folded Spill
	v_add_co_ci_u32_e64 v0, null, 0, v36, vcc_lo
	v_cmp_gt_i32_e32 vcc_lo, 32, v33
	s_add_u32 s2, s24, s2
	s_addc_u32 s3, s25, s3
	buffer_store_dword v0, off, s[36:39], 0 offset:32 ; 4-byte Folded Spill
	v_cmp_neq_f32_e64 s1, s34, 0
	v_cndmask_b32_e32 v0, v37, v33, vcc_lo
	v_cmp_gt_i32_e32 vcc_lo, 32, v34
	s_mov_b32 s5, 0
	v_lshlrev_b32_e32 v0, 2, v0
	v_cndmask_b32_e32 v42, v37, v34, vcc_lo
	ds_read_b128 v[33:36], v61 offset:128
	ds_read_b128 v[37:40], v61 offset:144
	v_cmp_eq_u32_e32 vcc_lo, 0, v41
	buffer_store_dword v0, off, s[36:39], 0 offset:36 ; 4-byte Folded Spill
	v_lshlrev_b32_e32 v0, 2, v42
	buffer_store_dword v0, off, s[36:39], 0 offset:40 ; 4-byte Folded Spill
	v_mov_b32_e32 v0, 0xff7fffff
	ds_read_b128 v[41:44], v61 offset:160
	ds_read_b128 v[45:48], v61 offset:176
	;; [unrolled: 1-line block ×6, first 2 shown]
	buffer_store_dword v72, off, s[36:39], 0 offset:48 ; 4-byte Folded Spill
	v_lshl_or_b32 v72, v72, 5, v66
	v_lshlrev_b64 v[65:66], 2, v[99:100]
	buffer_store_dword v0, off, s[36:39], 0 offset:24 ; 4-byte Folded Spill
	buffer_store_dword v99, off, s[36:39], 0 offset:52 ; 4-byte Folded Spill
	;; [unrolled: 1-line block ×3, first 2 shown]
	v_add_nc_u32_e32 v80, 0x420, v72
	v_add_co_u32 v65, s2, s2, v65
	v_add_co_ci_u32_e64 v66, null, s3, v66, s2
	v_mov_b32_e32 v81, v99
	s_branch .LBB26_11
.LBB26_10:                              ;   in Loop: Header=BB26_11 Depth=1
	s_or_b32 exec_lo, exec_lo, s3
	v_add_nc_u32_e32 v81, 4, v81
	v_add_co_u32 v65, s3, v65, 16
	v_add_nc_u32_e32 v79, 32, v79
	v_add_nc_u32_e32 v80, 0x80, v80
	v_cmp_le_i32_e64 s2, s11, v81
	v_add_co_ci_u32_e64 v66, null, 0, v66, s3
	s_or_b32 s5, s2, s5
	s_andn2_b32 exec_lo, exec_lo, s5
	s_cbranch_execz .LBB26_13
.LBB26_11:                              ; =>This Inner Loop Header: Depth=1
	global_load_dword v67, v[65:66], off
	buffer_load_dword v0, off, s[36:39], 0 offset:28 ; 4-byte Folded Reload
	s_waitcnt vmcnt(1)
	v_mad_i64_i32 v[82:83], null, v67, s15, 0
	v_lshlrev_b64 v[82:83], 2, v[82:83]
	s_waitcnt vmcnt(0)
	v_add_co_u32 v73, s2, v0, v82
	buffer_load_dword v0, off, s[36:39], 0 offset:32 ; 4-byte Folded Reload
	s_waitcnt vmcnt(0)
	v_add_co_ci_u32_e64 v74, null, v0, v83, s2
	v_add_co_u32 v114, s2, 0x800, v73
	s_clause 0xa
	global_load_dword v95, v[73:74], off
	global_load_dword v97, v[73:74], off offset:128
	global_load_dword v96, v[73:74], off offset:256
	;; [unrolled: 1-line block ×10, first 2 shown]
	v_add_co_ci_u32_e64 v115, null, 0, v74, s2
	v_add_co_u32 v116, s2, v73, 0x1000
	v_add_co_ci_u32_e64 v117, null, 0, v74, s2
	v_add_co_u32 v75, s2, 0x1000, v73
	v_add_co_ci_u32_e64 v76, null, 0, v74, s2
	s_waitcnt vmcnt(0)
	buffer_store_dword v0, off, s[36:39], 0 offset:20 ; 4-byte Folded Spill
	global_load_dword v0, v[73:74], off offset:1408
	s_waitcnt vmcnt(0)
	buffer_store_dword v0, off, s[36:39], 0 offset:16 ; 4-byte Folded Spill
	global_load_dword v0, v[73:74], off offset:1536
	;; [unrolled: 3-line block ×5, first 2 shown]
	v_add_co_u32 v73, s2, 0x1800, v73
	v_add_co_ci_u32_e64 v74, null, 0, v74, s2
	s_waitcnt vmcnt(0)
	buffer_store_dword v0, off, s[36:39], 0 ; 4-byte Folded Spill
	s_clause 0xf
	global_load_dword v113, v[116:117], off offset:-2048
	global_load_dword v112, v[114:115], off offset:128
	global_load_dword v111, v[114:115], off offset:256
	;; [unrolled: 1-line block ×15, first 2 shown]
	s_waitcnt lgkmcnt(0)
	s_clause 0x1f
	global_load_dword v72, v[116:117], off
	global_load_dword v67, v[75:76], off offset:128
	global_load_dword v127, v[75:76], off offset:256
	;; [unrolled: 1-line block ×15, first 2 shown]
	global_load_dword v75, v[73:74], off
	global_load_dword v76, v[73:74], off offset:128
	global_load_dword v68, v[73:74], off offset:256
	;; [unrolled: 1-line block ×15, first 2 shown]
	v_mul_f32_e32 v74, v87, v97
	v_fmac_f32_e32 v74, v86, v95
	v_fmac_f32_e32 v74, v88, v96
	;; [unrolled: 1-line block ×8, first 2 shown]
	buffer_load_dword v82, off, s[36:39], 0 offset:20 ; 4-byte Folded Reload
	v_fmac_f32_e32 v74, v10, v83
	s_waitcnt vmcnt(0)
	v_fmac_f32_e32 v74, v11, v82
	buffer_load_dword v82, off, s[36:39], 0 offset:16 ; 4-byte Folded Reload
	s_waitcnt vmcnt(0)
	v_fmac_f32_e32 v74, v12, v82
	buffer_load_dword v82, off, s[36:39], 0 offset:12 ; 4-byte Folded Reload
	;; [unrolled: 3-line block ×4, first 2 shown]
	s_waitcnt vmcnt(0)
	v_fmac_f32_e32 v74, v15, v82
	buffer_load_dword v82, off, s[36:39], 0 ; 4-byte Folded Reload
	s_waitcnt vmcnt(0)
	v_fmac_f32_e32 v74, v16, v82
	v_fmac_f32_e32 v74, v17, v113
	;; [unrolled: 1-line block ×9, first 2 shown]
	s_waitcnt lgkmcnt(9)
	v_fmac_f32_e32 v74, v25, v105
	v_fmac_f32_e32 v74, v26, v104
	v_fmac_f32_e32 v74, v27, v103
	v_fmac_f32_e32 v74, v28, v102
	s_waitcnt lgkmcnt(8)
	v_fmac_f32_e32 v74, v29, v101
	v_fmac_f32_e32 v74, v30, v100
	v_fmac_f32_e32 v74, v31, v99
	v_fmac_f32_e32 v74, v32, v98
	;; [unrolled: 5-line block ×7, first 2 shown]
	s_waitcnt lgkmcnt(2)
	v_fmac_f32_e32 v74, v53, v0
	buffer_load_dword v0, off, s[36:39], 0 offset:36 ; 4-byte Folded Reload
	v_fmac_f32_e32 v74, v54, v77
	v_fmac_f32_e32 v74, v55, v78
	;; [unrolled: 1-line block ×3, first 2 shown]
	s_waitcnt lgkmcnt(1)
	v_fmac_f32_e32 v74, v57, v70
	v_fmac_f32_e32 v74, v58, v1
	;; [unrolled: 1-line block ×4, first 2 shown]
	s_waitcnt lgkmcnt(0)
	v_fmac_f32_e32 v74, v61, v4
	v_fmac_f32_e32 v74, v62, v84
	;; [unrolled: 1-line block ×4, first 2 shown]
	s_waitcnt vmcnt(0)
	ds_bpermute_b32 v0, v0, v74
	s_waitcnt lgkmcnt(0)
	v_add_f32_e32 v67, v74, v0
	buffer_load_dword v0, off, s[36:39], 0 offset:40 ; 4-byte Folded Reload
	s_waitcnt vmcnt(0)
	ds_bpermute_b32 v72, v0, v67
	s_and_saveexec_b32 s3, vcc_lo
	s_cbranch_execz .LBB26_10
; %bb.12:                               ;   in Loop: Header=BB26_11 Depth=1
	buffer_load_dword v3, off, s[36:39], 0 offset:24 ; 4-byte Folded Reload
	v_add_nc_u32_e32 v0, s4, v79
	s_waitcnt lgkmcnt(0)
	v_add_f32_e32 v1, v67, v72
	v_cmp_gt_i32_e64 s2, s23, v79
	v_cvt_f32_i32_e32 v0, v0
	v_mul_f32_e32 v0, s34, v0
	v_cndmask_b32_e64 v0, 0, v0, s1
	v_fmac_f32_e32 v0, s31, v1
	s_waitcnt vmcnt(0)
	v_max_f32_e32 v2, v3, v3
	v_max_f32_e32 v1, v2, v0
	v_cndmask_b32_e64 v0, 0, v0, s2
	v_cndmask_b32_e64 v3, v3, v1, s2
	ds_write_b32 v80, v0
	buffer_store_dword v3, off, s[36:39], 0 offset:24 ; 4-byte Folded Spill
	s_branch .LBB26_10
.LBB26_13:
	s_or_b32 exec_lo, exec_lo, s5
	buffer_load_dword v69, off, s[36:39], 0 offset:44 ; 4-byte Folded Reload
	s_waitcnt lgkmcnt(0)
	s_clause 0x5
	buffer_load_dword v72, off, s[36:39], 0 offset:48
	buffer_load_dword v99, off, s[36:39], 0 offset:52
	;; [unrolled: 1-line block ×6, first 2 shown]
	v_mov_b32_e32 v9, 0
	v_mov_b32_e32 v10, 32
.LBB26_14:
	s_or_b32 exec_lo, exec_lo, s35
	s_waitcnt vmcnt(1)
	v_xor_b32_e32 v0, 16, v37
	v_xor_b32_e32 v1, 8, v37
	v_and_b32_e32 v73, 31, v69
	v_lshlrev_b32_e32 v5, 2, v72
	v_cmp_lt_i32_e32 vcc_lo, v0, v10
	v_cndmask_b32_e32 v0, v37, v0, vcc_lo
	v_cmp_lt_i32_e32 vcc_lo, v1, v10
	v_lshlrev_b32_e32 v2, 2, v0
	v_cndmask_b32_e32 v1, v37, v1, vcc_lo
	s_waitcnt vmcnt(0)
	ds_bpermute_b32 v0, v2, v3
	v_max_f32_e32 v3, v3, v3
	v_lshlrev_b32_e32 v4, 2, v1
	s_waitcnt lgkmcnt(0)
	v_max_f32_e32 v0, v0, v0
	v_max_f32_e32 v0, v3, v0
	v_xor_b32_e32 v3, 4, v37
	ds_bpermute_b32 v1, v4, v0
	v_cmp_lt_i32_e32 vcc_lo, v3, v10
	v_cndmask_b32_e32 v3, v37, v3, vcc_lo
	v_cmp_eq_u32_e32 vcc_lo, 0, v73
	v_lshlrev_b32_e32 v7, 2, v3
	s_waitcnt lgkmcnt(0)
	v_max_f32_e32 v1, v1, v1
	v_max_f32_e32 v1, v0, v1
	ds_bpermute_b32 v3, v7, v1
	s_and_saveexec_b32 s1, vcc_lo
	s_cbranch_execz .LBB26_16
; %bb.15:
	s_waitcnt lgkmcnt(0)
	v_max_f32_e32 v0, v3, v3
	v_max_f32_e32 v1, v1, v1
	;; [unrolled: 1-line block ×3, first 2 shown]
	ds_write_b32 v5, v0 offset:1024
.LBB26_16:
	s_or_b32 exec_lo, exec_lo, s1
	v_cmp_gt_u32_e64 s1, 4, v73
	v_mov_b32_e32 v1, 0xff7fffff
	v_lshlrev_b32_e32 v6, 2, v73
	s_waitcnt lgkmcnt(0)
	s_waitcnt_vscnt null, 0x0
	s_barrier
	buffer_gl0_inv
	s_and_saveexec_b32 s2, s1
; %bb.17:
	ds_read_b32 v1, v6 offset:1024
; %bb.18:
	s_or_b32 exec_lo, exec_lo, s2
	v_xor_b32_e32 v0, 2, v37
	v_xor_b32_e32 v3, 1, v37
	v_cmp_lt_i32_e64 s2, v0, v10
	v_cndmask_b32_e64 v0, v37, v0, s2
	v_cmp_lt_i32_e64 s2, v3, v10
	v_lshlrev_b32_e32 v8, 2, v0
	v_cndmask_b32_e64 v3, v37, v3, s2
	s_sub_i32 s2, s11, s30
	s_lshl_b32 s2, s2, 3
	s_waitcnt lgkmcnt(0)
	ds_bpermute_b32 v0, v8, v1
	v_max_f32_e32 v1, v1, v1
	v_lshlrev_b32_e32 v74, 2, v3
	s_add_i32 s2, s2, s33
	v_lshl_add_u32 v3, v69, 2, 0x420
	s_min_i32 s2, s2, s23
	s_sub_i32 s4, s2, s33
	v_cmp_gt_i32_e64 s2, s4, v69
	s_waitcnt lgkmcnt(0)
	v_max_f32_e32 v0, v0, v0
	v_max_f32_e32 v0, v1, v0
	ds_bpermute_b32 v1, v74, v0
	s_waitcnt lgkmcnt(0)
	v_max_f32_e32 v1, v1, v1
	v_max_f32_e32 v0, v0, v1
	v_lshlrev_b32_e32 v1, 2, v9
	v_mov_b32_e32 v9, 0
	ds_bpermute_b32 v1, v1, v0
	s_and_saveexec_b32 s5, s2
	s_cbranch_execz .LBB26_22
; %bb.19:
	v_lshl_add_u32 v10, v69, 2, 0x420
	v_mov_b32_e32 v9, 0
	v_mov_b32_e32 v11, v69
	s_mov_b32 s15, 0
	.p2align	6
.LBB26_20:                              ; =>This Inner Loop Header: Depth=1
	ds_read_b32 v0, v10
	v_add_nc_u32_e32 v11, 0x80, v11
	v_cmp_le_i32_e64 s3, s4, v11
	s_or_b32 s15, s3, s15
	s_waitcnt lgkmcnt(0)
	v_sub_f32_e32 v0, v0, v1
	v_mul_f32_e32 v0, 0x3fb8aa3b, v0
	v_exp_f32_e32 v0, v0
	ds_write_b32 v10, v0
	v_add_f32_e32 v9, v9, v0
	v_add_nc_u32_e32 v10, 0x200, v10
	s_andn2_b32 exec_lo, exec_lo, s15
	s_cbranch_execnz .LBB26_20
; %bb.21:
	s_or_b32 exec_lo, exec_lo, s15
.LBB26_22:
	s_or_b32 exec_lo, exec_lo, s5
	ds_bpermute_b32 v0, v2, v9
	s_waitcnt lgkmcnt(0)
	v_add_f32_e32 v0, v9, v0
	ds_bpermute_b32 v2, v4, v0
	s_waitcnt lgkmcnt(0)
	v_add_f32_e32 v0, v0, v2
	;; [unrolled: 3-line block ×5, first 2 shown]
	s_and_saveexec_b32 s3, vcc_lo
; %bb.23:
	ds_write_b32 v5, v2 offset:1040
; %bb.24:
	s_or_b32 exec_lo, exec_lo, s3
	s_waitcnt lgkmcnt(0)
	s_barrier
	buffer_gl0_inv
	s_and_saveexec_b32 s3, s1
; %bb.25:
	ds_read_b32 v2, v6 offset:1040
; %bb.26:
	s_or_b32 exec_lo, exec_lo, s3
	s_waitcnt lgkmcnt(0)
	ds_bpermute_b32 v0, v8, v2
	v_lshlrev_b32_e32 v4, 2, v37
	s_waitcnt lgkmcnt(0)
	v_add_f32_e32 v0, v2, v0
	ds_bpermute_b32 v2, v74, v0
	s_waitcnt lgkmcnt(0)
	v_add_f32_e32 v0, v0, v2
	v_and_b32_e32 v2, 0xffffff80, v4
	ds_bpermute_b32 v2, v2, v0
	s_and_saveexec_b32 s1, s2
	s_cbranch_execz .LBB26_29
; %bb.27:
	s_waitcnt lgkmcnt(0)
	v_add_f32_e32 v0, 0x358637bd, v2
	s_mov_b32 s2, 0
	v_div_scale_f32 v4, null, v0, v0, 1.0
	v_div_scale_f32 v7, vcc_lo, 1.0, v0, 1.0
	v_rcp_f32_e32 v5, v4
	v_fma_f32 v6, -v4, v5, 1.0
	v_fmac_f32_e32 v5, v6, v5
	v_mul_f32_e32 v6, v7, v5
	v_fma_f32 v8, -v4, v6, v7
	v_fmac_f32_e32 v6, v8, v5
	v_fma_f32 v4, -v4, v6, v7
	v_div_fmas_f32 v4, v4, v5, v6
	v_mov_b32_e32 v5, v69
	v_div_fixup_f32 v4, v4, v0, 1.0
.LBB26_28:                              ; =>This Inner Loop Header: Depth=1
	ds_read_b32 v0, v3
	v_add_nc_u32_e32 v5, 0x80, v5
	v_cmp_le_i32_e32 vcc_lo, s4, v5
	s_or_b32 s2, vcc_lo, s2
	s_waitcnt lgkmcnt(0)
	v_mul_f32_e32 v0, v4, v0
	ds_write_b32 v3, v0
	v_add_nc_u32_e32 v3, 0x200, v3
	s_andn2_b32 exec_lo, exec_lo, s2
	s_cbranch_execnz .LBB26_28
.LBB26_29:
	s_or_b32 exec_lo, exec_lo, s1
	s_mul_i32 s1, s7, s22
	s_waitcnt lgkmcnt(0)
	s_mul_i32 s2, s1, s9
	s_mov_b32 s1, exec_lo
	s_barrier
	buffer_gl0_inv
	v_cmpx_eq_u32_e32 0, v69
	s_cbranch_execz .LBB26_31
; %bb.30:
	s_ashr_i32 s3, s2, 31
	s_mul_i32 s30, s7, s6
	s_lshl_b64 s[4:5], s[2:3], 2
	v_mov_b32_e32 v0, 0
	s_add_u32 s3, s18, s4
	s_addc_u32 s6, s19, s5
	s_ashr_i32 s31, s30, 31
	s_lshl_b64 s[18:19], s[30:31], 2
	s_add_u32 s3, s3, s18
	s_addc_u32 s6, s6, s19
	s_ashr_i32 s9, s8, 31
	s_lshl_b64 s[30:31], s[8:9], 2
	s_add_u32 s34, s3, s30
	s_addc_u32 s35, s6, s31
	s_add_u32 s3, s16, s4
	s_addc_u32 s4, s17, s5
	;; [unrolled: 2-line block ×4, first 2 shown]
	global_store_dword v0, v1, s[34:35]
	global_store_dword v0, v2, s[4:5]
.LBB26_31:
	s_or_b32 exec_lo, exec_lo, s1
	v_mov_b32_e32 v89, 0
	v_and_b32_e32 v75, 1, v69
	v_mov_b32_e32 v91, 0
	v_mov_b32_e32 v90, 0
	;; [unrolled: 1-line block ×15, first 2 shown]
	s_and_saveexec_b32 s1, s0
	s_cbranch_execz .LBB26_67
; %bb.32:
	v_lshlrev_b32_e32 v1, 4, v69
	s_ashr_i32 s15, s14, 31
	v_and_b32_e32 v0, 4, v12
	v_lshl_add_u32 v3, v72, 3, s33
	s_lshl_b64 s[4:5], s[14:15], 2
	v_and_b32_e32 v1, 0x1f0, v1
	s_add_u32 s0, s28, s4
	v_lshlrev_b32_e32 v2, 4, v75
	v_add3_u32 v94, v3, v0, 3
	s_addc_u32 s3, s29, s5
	v_add_co_u32 v92, s0, s0, v1
	v_lshlrev_b64 v[0:1], 2, v[99:100]
	s_lshl_b64 s[4:5], s[26:27], 2
	s_add_i32 s12, s12, -1
	v_lshl_or_b32 v2, v72, 5, v2
	v_add_co_ci_u32_e64 v93, null, s3, 0, s0
	s_add_u32 s0, s24, s4
	s_addc_u32 s3, s25, s5
	v_add_co_u32 v70, vcc_lo, s0, v0
	v_mov_b32_e32 v76, 0
	v_add_nc_u32_e32 v95, 0x420, v2
	v_add_co_ci_u32_e64 v71, null, s3, v1, vcc_lo
	v_mov_b32_e32 v77, 0
	v_mov_b32_e32 v78, 0
	;; [unrolled: 1-line block ×15, first 2 shown]
	s_mov_b32 s4, s13
	s_mov_b32 s3, 0
	s_branch .LBB26_34
.LBB26_33:                              ;   in Loop: Header=BB26_34 Depth=1
	s_or_b32 exec_lo, exec_lo, s0
	s_waitcnt vmcnt(1) lgkmcnt(0)
	v_mul_f32_e32 v0, v1, v65
	v_mul_f32_e32 v61, v1, v61
	;; [unrolled: 1-line block ×5, first 2 shown]
	v_fmac_f32_e32 v0, v2, v66
	v_mul_f32_e32 v41, v1, v41
	v_mul_f32_e32 v33, v1, v33
	;; [unrolled: 1-line block ×4, first 2 shown]
	v_fmac_f32_e32 v0, v3, v67
	v_mul_f32_e32 v21, v1, v21
	v_mul_f32_e32 v13, v1, v13
	v_mul_f32_e32 v9, v1, v9
	v_mul_f32_e32 v5, v1, v5
	v_fmac_f32_e32 v0, v4, v68
	v_fmac_f32_e32 v61, v2, v62
	;; [unrolled: 1-line block ×5, first 2 shown]
	v_add_f32_e32 v77, v77, v0
	v_mul_f32_e32 v0, v1, v37
	v_fmac_f32_e32 v41, v2, v42
	v_fmac_f32_e32 v33, v2, v34
	;; [unrolled: 1-line block ×19, first 2 shown]
	v_add_f32_e32 v83, v83, v0
	v_mul_f32_e32 v0, v1, v17
	s_waitcnt vmcnt(0)
	v_mul_f32_e32 v1, v1, v53
	v_fmac_f32_e32 v21, v3, v23
	v_fmac_f32_e32 v13, v3, v15
	;; [unrolled: 1-line block ×6, first 2 shown]
	v_add_nc_u32_e32 v99, 4, v99
	v_fmac_f32_e32 v61, v4, v64
	v_fmac_f32_e32 v0, v3, v19
	;; [unrolled: 1-line block ×16, first 2 shown]
	v_cmp_le_i32_e32 vcc_lo, s11, v99
	v_add_co_u32 v70, s0, v70, 16
	v_add_f32_e32 v78, v78, v61
	v_add_f32_e32 v79, v79, v57
	;; [unrolled: 1-line block ×14, first 2 shown]
	v_add_nc_u32_e32 v94, 32, v94
	v_add_nc_u32_e32 v95, 0x80, v95
	v_add_co_ci_u32_e64 v71, null, 0, v71, s0
	s_or_b32 s3, vcc_lo, s3
	s_andn2_b32 exec_lo, exec_lo, s3
	s_cbranch_execz .LBB26_66
.LBB26_34:                              ; =>This Inner Loop Header: Depth=1
	global_load_dword v0, v[70:71], off
	v_add_nc_u32_e32 v96, -3, v94
	v_add_nc_u32_e32 v98, -2, v94
	;; [unrolled: 1-line block ×3, first 2 shown]
	s_waitcnt vmcnt(0)
	v_mad_i64_i32 v[0:1], null, v0, s4, 0
	v_lshlrev_b64 v[0:1], 2, v[0:1]
	v_add_co_u32 v53, vcc_lo, v92, v0
	v_add_co_ci_u32_e64 v54, null, v93, v1, vcc_lo
	ds_read_b128 v[1:4], v95
	v_cmp_eq_u32_e32 vcc_lo, s12, v99
	global_load_dwordx4 v[5:8], v[53:54], off
	s_and_saveexec_b32 s5, vcc_lo
	s_cbranch_execnz .LBB26_53
; %bb.35:                               ;   in Loop: Header=BB26_34 Depth=1
	s_or_b32 exec_lo, exec_lo, s5
	global_load_dwordx4 v[9:12], v[53:54], off offset:512
	s_and_saveexec_b32 s5, vcc_lo
	s_cbranch_execnz .LBB26_54
.LBB26_36:                              ;   in Loop: Header=BB26_34 Depth=1
	s_or_b32 exec_lo, exec_lo, s5
	global_load_dwordx4 v[13:16], v[53:54], off offset:1024
	s_and_saveexec_b32 s5, vcc_lo
	s_cbranch_execnz .LBB26_55
.LBB26_37:                              ;   in Loop: Header=BB26_34 Depth=1
	s_or_b32 exec_lo, exec_lo, s5
	global_load_dwordx4 v[17:20], v[53:54], off offset:1536
	s_and_saveexec_b32 s5, vcc_lo
	s_cbranch_execz .LBB26_39
.LBB26_38:                              ;   in Loop: Header=BB26_34 Depth=1
	v_cmp_gt_i32_e64 s0, s23, v96
	s_waitcnt vmcnt(0)
	v_cndmask_b32_e64 v17, 0, v17, s0
	v_cmp_gt_i32_e64 s0, s23, v98
	v_cndmask_b32_e64 v18, 0, v18, s0
	v_cmp_gt_i32_e64 s0, s23, v97
	v_cndmask_b32_e64 v19, 0, v19, s0
	v_cmp_gt_i32_e64 s0, s23, v94
	v_cndmask_b32_e64 v20, 0, v20, s0
.LBB26_39:                              ;   in Loop: Header=BB26_34 Depth=1
	s_or_b32 exec_lo, exec_lo, s5
	v_add_co_u32 v33, s0, 0x800, v53
	v_add_co_ci_u32_e64 v34, null, 0, v54, s0
	global_load_dwordx4 v[21:24], v[33:34], off
	s_and_saveexec_b32 s5, vcc_lo
	s_cbranch_execnz .LBB26_56
; %bb.40:                               ;   in Loop: Header=BB26_34 Depth=1
	s_or_b32 exec_lo, exec_lo, s5
	global_load_dwordx4 v[25:28], v[33:34], off offset:512
	s_and_saveexec_b32 s5, vcc_lo
	s_cbranch_execnz .LBB26_57
.LBB26_41:                              ;   in Loop: Header=BB26_34 Depth=1
	s_or_b32 exec_lo, exec_lo, s5
	global_load_dwordx4 v[29:32], v[33:34], off offset:1024
	s_and_saveexec_b32 s5, vcc_lo
	s_cbranch_execnz .LBB26_58
.LBB26_42:                              ;   in Loop: Header=BB26_34 Depth=1
	s_or_b32 exec_lo, exec_lo, s5
	global_load_dwordx4 v[33:36], v[33:34], off offset:1536
	s_and_saveexec_b32 s5, vcc_lo
	s_cbranch_execz .LBB26_44
.LBB26_43:                              ;   in Loop: Header=BB26_34 Depth=1
	v_cmp_gt_i32_e64 s0, s23, v96
	s_waitcnt vmcnt(0)
	v_cndmask_b32_e64 v33, 0, v33, s0
	v_cmp_gt_i32_e64 s0, s23, v98
	v_cndmask_b32_e64 v34, 0, v34, s0
	v_cmp_gt_i32_e64 s0, s23, v97
	;; [unrolled: 2-line block ×3, first 2 shown]
	v_cndmask_b32_e64 v36, 0, v36, s0
.LBB26_44:                              ;   in Loop: Header=BB26_34 Depth=1
	s_or_b32 exec_lo, exec_lo, s5
	v_add_co_u32 v49, s0, 0x1000, v53
	v_add_co_ci_u32_e64 v50, null, 0, v54, s0
	global_load_dwordx4 v[37:40], v[49:50], off
	s_and_saveexec_b32 s5, vcc_lo
	s_cbranch_execnz .LBB26_59
; %bb.45:                               ;   in Loop: Header=BB26_34 Depth=1
	s_or_b32 exec_lo, exec_lo, s5
	global_load_dwordx4 v[41:44], v[49:50], off offset:512
	s_and_saveexec_b32 s5, vcc_lo
	s_cbranch_execnz .LBB26_60
.LBB26_46:                              ;   in Loop: Header=BB26_34 Depth=1
	s_or_b32 exec_lo, exec_lo, s5
	global_load_dwordx4 v[45:48], v[49:50], off offset:1024
	s_and_saveexec_b32 s5, vcc_lo
	s_cbranch_execnz .LBB26_61
.LBB26_47:                              ;   in Loop: Header=BB26_34 Depth=1
	s_or_b32 exec_lo, exec_lo, s5
	global_load_dwordx4 v[49:52], v[49:50], off offset:1536
	s_and_saveexec_b32 s5, vcc_lo
	s_cbranch_execz .LBB26_49
.LBB26_48:                              ;   in Loop: Header=BB26_34 Depth=1
	v_cmp_gt_i32_e64 s0, s23, v96
	s_waitcnt vmcnt(0)
	v_cndmask_b32_e64 v49, 0, v49, s0
	v_cmp_gt_i32_e64 s0, s23, v98
	v_cndmask_b32_e64 v50, 0, v50, s0
	v_cmp_gt_i32_e64 s0, s23, v97
	;; [unrolled: 2-line block ×3, first 2 shown]
	v_cndmask_b32_e64 v52, 0, v52, s0
.LBB26_49:                              ;   in Loop: Header=BB26_34 Depth=1
	s_or_b32 exec_lo, exec_lo, s5
	v_add_co_u32 v53, s0, 0x1800, v53
	v_add_co_ci_u32_e64 v54, null, 0, v54, s0
	global_load_dwordx4 v[57:60], v[53:54], off
	s_and_saveexec_b32 s5, vcc_lo
	s_cbranch_execnz .LBB26_62
; %bb.50:                               ;   in Loop: Header=BB26_34 Depth=1
	s_or_b32 exec_lo, exec_lo, s5
	global_load_dwordx4 v[61:64], v[53:54], off offset:512
	s_and_saveexec_b32 s5, vcc_lo
	s_cbranch_execnz .LBB26_63
.LBB26_51:                              ;   in Loop: Header=BB26_34 Depth=1
	s_or_b32 exec_lo, exec_lo, s5
	global_load_dwordx4 v[65:68], v[53:54], off offset:1024
	s_and_saveexec_b32 s5, vcc_lo
	s_cbranch_execnz .LBB26_64
.LBB26_52:                              ;   in Loop: Header=BB26_34 Depth=1
	s_or_b32 exec_lo, exec_lo, s5
	global_load_dwordx4 v[53:56], v[53:54], off offset:1536
	s_and_saveexec_b32 s0, vcc_lo
	s_cbranch_execz .LBB26_33
	s_branch .LBB26_65
.LBB26_53:                              ;   in Loop: Header=BB26_34 Depth=1
	v_cmp_gt_i32_e64 s0, s23, v96
	s_waitcnt vmcnt(0)
	v_cndmask_b32_e64 v5, 0, v5, s0
	v_cmp_gt_i32_e64 s0, s23, v98
	v_cndmask_b32_e64 v6, 0, v6, s0
	v_cmp_gt_i32_e64 s0, s23, v97
	;; [unrolled: 2-line block ×3, first 2 shown]
	v_cndmask_b32_e64 v8, 0, v8, s0
	s_or_b32 exec_lo, exec_lo, s5
	global_load_dwordx4 v[9:12], v[53:54], off offset:512
	s_and_saveexec_b32 s5, vcc_lo
	s_cbranch_execz .LBB26_36
.LBB26_54:                              ;   in Loop: Header=BB26_34 Depth=1
	v_cmp_gt_i32_e64 s0, s23, v96
	s_waitcnt vmcnt(0)
	v_cndmask_b32_e64 v9, 0, v9, s0
	v_cmp_gt_i32_e64 s0, s23, v98
	v_cndmask_b32_e64 v10, 0, v10, s0
	v_cmp_gt_i32_e64 s0, s23, v97
	;; [unrolled: 2-line block ×3, first 2 shown]
	v_cndmask_b32_e64 v12, 0, v12, s0
	s_or_b32 exec_lo, exec_lo, s5
	global_load_dwordx4 v[13:16], v[53:54], off offset:1024
	s_and_saveexec_b32 s5, vcc_lo
	s_cbranch_execz .LBB26_37
.LBB26_55:                              ;   in Loop: Header=BB26_34 Depth=1
	v_cmp_gt_i32_e64 s0, s23, v96
	s_waitcnt vmcnt(0)
	v_cndmask_b32_e64 v13, 0, v13, s0
	v_cmp_gt_i32_e64 s0, s23, v98
	v_cndmask_b32_e64 v14, 0, v14, s0
	v_cmp_gt_i32_e64 s0, s23, v97
	;; [unrolled: 2-line block ×3, first 2 shown]
	v_cndmask_b32_e64 v16, 0, v16, s0
	s_or_b32 exec_lo, exec_lo, s5
	global_load_dwordx4 v[17:20], v[53:54], off offset:1536
	s_and_saveexec_b32 s5, vcc_lo
	s_cbranch_execnz .LBB26_38
	s_branch .LBB26_39
.LBB26_56:                              ;   in Loop: Header=BB26_34 Depth=1
	v_cmp_gt_i32_e64 s0, s23, v96
	s_waitcnt vmcnt(0)
	v_cndmask_b32_e64 v21, 0, v21, s0
	v_cmp_gt_i32_e64 s0, s23, v98
	v_cndmask_b32_e64 v22, 0, v22, s0
	v_cmp_gt_i32_e64 s0, s23, v97
	;; [unrolled: 2-line block ×3, first 2 shown]
	v_cndmask_b32_e64 v24, 0, v24, s0
	s_or_b32 exec_lo, exec_lo, s5
	global_load_dwordx4 v[25:28], v[33:34], off offset:512
	s_and_saveexec_b32 s5, vcc_lo
	s_cbranch_execz .LBB26_41
.LBB26_57:                              ;   in Loop: Header=BB26_34 Depth=1
	v_cmp_gt_i32_e64 s0, s23, v96
	s_waitcnt vmcnt(0)
	v_cndmask_b32_e64 v25, 0, v25, s0
	v_cmp_gt_i32_e64 s0, s23, v98
	v_cndmask_b32_e64 v26, 0, v26, s0
	v_cmp_gt_i32_e64 s0, s23, v97
	;; [unrolled: 2-line block ×3, first 2 shown]
	v_cndmask_b32_e64 v28, 0, v28, s0
	s_or_b32 exec_lo, exec_lo, s5
	global_load_dwordx4 v[29:32], v[33:34], off offset:1024
	s_and_saveexec_b32 s5, vcc_lo
	s_cbranch_execz .LBB26_42
.LBB26_58:                              ;   in Loop: Header=BB26_34 Depth=1
	v_cmp_gt_i32_e64 s0, s23, v96
	s_waitcnt vmcnt(0)
	v_cndmask_b32_e64 v29, 0, v29, s0
	v_cmp_gt_i32_e64 s0, s23, v98
	v_cndmask_b32_e64 v30, 0, v30, s0
	v_cmp_gt_i32_e64 s0, s23, v97
	v_cndmask_b32_e64 v31, 0, v31, s0
	v_cmp_gt_i32_e64 s0, s23, v94
	v_cndmask_b32_e64 v32, 0, v32, s0
	s_or_b32 exec_lo, exec_lo, s5
	global_load_dwordx4 v[33:36], v[33:34], off offset:1536
	s_and_saveexec_b32 s5, vcc_lo
	s_cbranch_execnz .LBB26_43
	s_branch .LBB26_44
.LBB26_59:                              ;   in Loop: Header=BB26_34 Depth=1
	v_cmp_gt_i32_e64 s0, s23, v96
	s_waitcnt vmcnt(0)
	v_cndmask_b32_e64 v37, 0, v37, s0
	v_cmp_gt_i32_e64 s0, s23, v98
	v_cndmask_b32_e64 v38, 0, v38, s0
	v_cmp_gt_i32_e64 s0, s23, v97
	;; [unrolled: 2-line block ×3, first 2 shown]
	v_cndmask_b32_e64 v40, 0, v40, s0
	s_or_b32 exec_lo, exec_lo, s5
	global_load_dwordx4 v[41:44], v[49:50], off offset:512
	s_and_saveexec_b32 s5, vcc_lo
	s_cbranch_execz .LBB26_46
.LBB26_60:                              ;   in Loop: Header=BB26_34 Depth=1
	v_cmp_gt_i32_e64 s0, s23, v96
	s_waitcnt vmcnt(0)
	v_cndmask_b32_e64 v41, 0, v41, s0
	v_cmp_gt_i32_e64 s0, s23, v98
	v_cndmask_b32_e64 v42, 0, v42, s0
	v_cmp_gt_i32_e64 s0, s23, v97
	;; [unrolled: 2-line block ×3, first 2 shown]
	v_cndmask_b32_e64 v44, 0, v44, s0
	s_or_b32 exec_lo, exec_lo, s5
	global_load_dwordx4 v[45:48], v[49:50], off offset:1024
	s_and_saveexec_b32 s5, vcc_lo
	s_cbranch_execz .LBB26_47
.LBB26_61:                              ;   in Loop: Header=BB26_34 Depth=1
	v_cmp_gt_i32_e64 s0, s23, v96
	s_waitcnt vmcnt(0)
	v_cndmask_b32_e64 v45, 0, v45, s0
	v_cmp_gt_i32_e64 s0, s23, v98
	v_cndmask_b32_e64 v46, 0, v46, s0
	v_cmp_gt_i32_e64 s0, s23, v97
	;; [unrolled: 2-line block ×3, first 2 shown]
	v_cndmask_b32_e64 v48, 0, v48, s0
	s_or_b32 exec_lo, exec_lo, s5
	global_load_dwordx4 v[49:52], v[49:50], off offset:1536
	s_and_saveexec_b32 s5, vcc_lo
	s_cbranch_execnz .LBB26_48
	s_branch .LBB26_49
.LBB26_62:                              ;   in Loop: Header=BB26_34 Depth=1
	v_cmp_gt_i32_e64 s0, s23, v96
	s_waitcnt vmcnt(0)
	v_cndmask_b32_e64 v57, 0, v57, s0
	v_cmp_gt_i32_e64 s0, s23, v98
	v_cndmask_b32_e64 v58, 0, v58, s0
	v_cmp_gt_i32_e64 s0, s23, v97
	;; [unrolled: 2-line block ×3, first 2 shown]
	v_cndmask_b32_e64 v60, 0, v60, s0
	s_or_b32 exec_lo, exec_lo, s5
	global_load_dwordx4 v[61:64], v[53:54], off offset:512
	s_and_saveexec_b32 s5, vcc_lo
	s_cbranch_execz .LBB26_51
.LBB26_63:                              ;   in Loop: Header=BB26_34 Depth=1
	v_cmp_gt_i32_e64 s0, s23, v96
	s_waitcnt vmcnt(0)
	v_cndmask_b32_e64 v61, 0, v61, s0
	v_cmp_gt_i32_e64 s0, s23, v98
	v_cndmask_b32_e64 v62, 0, v62, s0
	v_cmp_gt_i32_e64 s0, s23, v97
	;; [unrolled: 2-line block ×3, first 2 shown]
	v_cndmask_b32_e64 v64, 0, v64, s0
	s_or_b32 exec_lo, exec_lo, s5
	global_load_dwordx4 v[65:68], v[53:54], off offset:1024
	s_and_saveexec_b32 s5, vcc_lo
	s_cbranch_execz .LBB26_52
.LBB26_64:                              ;   in Loop: Header=BB26_34 Depth=1
	v_cmp_gt_i32_e64 s0, s23, v96
	s_waitcnt vmcnt(0)
	v_cndmask_b32_e64 v65, 0, v65, s0
	v_cmp_gt_i32_e64 s0, s23, v98
	v_cndmask_b32_e64 v66, 0, v66, s0
	v_cmp_gt_i32_e64 s0, s23, v97
	;; [unrolled: 2-line block ×3, first 2 shown]
	v_cndmask_b32_e64 v68, 0, v68, s0
	s_or_b32 exec_lo, exec_lo, s5
	global_load_dwordx4 v[53:56], v[53:54], off offset:1536
	s_and_saveexec_b32 s0, vcc_lo
	s_cbranch_execz .LBB26_33
.LBB26_65:                              ;   in Loop: Header=BB26_34 Depth=1
	v_cmp_gt_i32_e32 vcc_lo, s23, v96
	s_waitcnt vmcnt(0)
	v_cndmask_b32_e32 v53, 0, v53, vcc_lo
	v_cmp_gt_i32_e32 vcc_lo, s23, v98
	v_cndmask_b32_e32 v54, 0, v54, vcc_lo
	v_cmp_gt_i32_e32 vcc_lo, s23, v97
	;; [unrolled: 2-line block ×3, first 2 shown]
	v_cndmask_b32_e32 v56, 0, v56, vcc_lo
	s_branch .LBB26_33
.LBB26_66:
	s_or_b32 exec_lo, exec_lo, s3
.LBB26_67:
	s_or_b32 exec_lo, exec_lo, s1
	ds_bpermute_b32 v0, v74, v89
	ds_bpermute_b32 v2, v74, v91
	;; [unrolled: 1-line block ×16, first 2 shown]
	v_lshrrev_b32_e32 v17, 1, v73
	v_lshlrev_b32_e32 v19, 10, v72
	s_mov_b32 s0, exec_lo
	s_waitcnt lgkmcnt(0)
	s_waitcnt_vscnt null, 0x0
	v_add_f32_e32 v1, v89, v0
	v_add_f32_e32 v2, v91, v2
	;; [unrolled: 1-line block ×14, first 2 shown]
	v_and_b32_e32 v0, 0x3c1, v69
	v_add_f32_e32 v15, v77, v15
	v_add_f32_e32 v16, v76, v16
	v_lshl_add_u32 v18, v17, 2, 0x420
	s_barrier
	buffer_gl0_inv
	v_cmpx_eq_u32_e32 64, v0
	s_cbranch_execz .LBB26_69
; %bb.68:
	v_add_nc_u32_e32 v0, v18, v19
	v_add_nc_u32_e32 v20, 0xfffff800, v0
	;; [unrolled: 1-line block ×7, first 2 shown]
	ds_write_b32 v20, v1
	ds_write_b32 v21, v2
	ds_write_b32 v22, v3
	ds_write_b32 v23, v4
	ds_write_b32 v24, v5
	ds_write_b32 v25, v6
	v_add_nc_u32_e32 v20, 0xfffff980, v0
	v_add_nc_u32_e32 v21, 0xfffff9c0, v0
	;; [unrolled: 1-line block ×5, first 2 shown]
	ds_write_b32 v20, v7
	ds_write_b32 v21, v8
	;; [unrolled: 1-line block ×5, first 2 shown]
	v_add_nc_u32_e32 v20, 0xfffffac0, v0
	v_add_nc_u32_e32 v21, 0xfffffb00, v0
	;; [unrolled: 1-line block ×5, first 2 shown]
	ds_write_b32 v20, v12
	ds_write_b32 v21, v13
	;; [unrolled: 1-line block ×5, first 2 shown]
.LBB26_69:
	s_or_b32 exec_lo, exec_lo, s0
	v_lshlrev_b32_e32 v0, 2, v17
	s_mov_b32 s1, exec_lo
	v_cmp_eq_u32_e32 vcc_lo, 0, v75
	s_waitcnt lgkmcnt(0)
	s_barrier
	v_add3_u32 v17, 0x420, v19, v0
	buffer_gl0_inv
	v_cmpx_gt_u32_e32 64, v69
	s_cbranch_execz .LBB26_88
; %bb.70:
	s_and_saveexec_b32 s0, vcc_lo
	s_cbranch_execnz .LBB26_112
; %bb.71:
	s_or_b32 exec_lo, exec_lo, s0
	s_and_saveexec_b32 s0, vcc_lo
	s_cbranch_execnz .LBB26_113
.LBB26_72:
	s_or_b32 exec_lo, exec_lo, s0
	s_and_saveexec_b32 s0, vcc_lo
	s_cbranch_execnz .LBB26_114
.LBB26_73:
	s_or_b32 exec_lo, exec_lo, s0
	s_and_saveexec_b32 s0, vcc_lo
	s_cbranch_execnz .LBB26_115
.LBB26_74:
	s_or_b32 exec_lo, exec_lo, s0
	s_and_saveexec_b32 s0, vcc_lo
	s_cbranch_execnz .LBB26_116
.LBB26_75:
	s_or_b32 exec_lo, exec_lo, s0
	s_and_saveexec_b32 s0, vcc_lo
	s_cbranch_execnz .LBB26_117
.LBB26_76:
	s_or_b32 exec_lo, exec_lo, s0
	s_and_saveexec_b32 s0, vcc_lo
	s_cbranch_execnz .LBB26_118
.LBB26_77:
	s_or_b32 exec_lo, exec_lo, s0
	s_and_saveexec_b32 s0, vcc_lo
	s_cbranch_execnz .LBB26_119
.LBB26_78:
	s_or_b32 exec_lo, exec_lo, s0
	s_and_saveexec_b32 s0, vcc_lo
	s_cbranch_execnz .LBB26_120
.LBB26_79:
	s_or_b32 exec_lo, exec_lo, s0
	s_and_saveexec_b32 s0, vcc_lo
	s_cbranch_execnz .LBB26_121
.LBB26_80:
	s_or_b32 exec_lo, exec_lo, s0
	s_and_saveexec_b32 s0, vcc_lo
	s_cbranch_execnz .LBB26_122
.LBB26_81:
	s_or_b32 exec_lo, exec_lo, s0
	s_and_saveexec_b32 s0, vcc_lo
	s_cbranch_execnz .LBB26_123
.LBB26_82:
	s_or_b32 exec_lo, exec_lo, s0
	s_and_saveexec_b32 s0, vcc_lo
	s_cbranch_execnz .LBB26_124
.LBB26_83:
	s_or_b32 exec_lo, exec_lo, s0
	s_and_saveexec_b32 s0, vcc_lo
	s_cbranch_execnz .LBB26_125
.LBB26_84:
	s_or_b32 exec_lo, exec_lo, s0
	s_and_saveexec_b32 s0, vcc_lo
	s_cbranch_execnz .LBB26_126
.LBB26_85:
	s_or_b32 exec_lo, exec_lo, s0
	s_and_saveexec_b32 s0, vcc_lo
	s_cbranch_execz .LBB26_87
.LBB26_86:
	ds_read_b32 v0, v17 offset:960
	s_waitcnt lgkmcnt(0)
	v_add_f32_e32 v16, v16, v0
.LBB26_87:
	s_or_b32 exec_lo, exec_lo, s0
.LBB26_88:
	s_or_b32 exec_lo, exec_lo, s1
	v_and_b32_e32 v19, 0x3e1, v69
	s_mov_b32 s1, exec_lo
	s_barrier
	buffer_gl0_inv
	v_cmpx_eq_u32_e32 32, v19
	s_cbranch_execz .LBB26_90
; %bb.89:
	ds_write2_b32 v18, v1, v2 offset1:16
	ds_write2_b32 v18, v3, v4 offset0:32 offset1:48
	ds_write2_b32 v18, v5, v6 offset0:64 offset1:80
	;; [unrolled: 1-line block ×7, first 2 shown]
.LBB26_90:
	s_or_b32 exec_lo, exec_lo, s1
	s_mov_b32 s1, exec_lo
	s_waitcnt lgkmcnt(0)
	s_barrier
	buffer_gl0_inv
	v_cmpx_gt_u32_e32 32, v69
	s_cbranch_execz .LBB26_109
; %bb.91:
	s_and_saveexec_b32 s0, vcc_lo
	s_cbranch_execnz .LBB26_127
; %bb.92:
	s_or_b32 exec_lo, exec_lo, s0
	s_and_saveexec_b32 s0, vcc_lo
	s_cbranch_execnz .LBB26_128
.LBB26_93:
	s_or_b32 exec_lo, exec_lo, s0
	s_and_saveexec_b32 s0, vcc_lo
	s_cbranch_execnz .LBB26_129
.LBB26_94:
	s_or_b32 exec_lo, exec_lo, s0
	s_and_saveexec_b32 s0, vcc_lo
	s_cbranch_execnz .LBB26_130
.LBB26_95:
	s_or_b32 exec_lo, exec_lo, s0
	s_and_saveexec_b32 s0, vcc_lo
	s_cbranch_execnz .LBB26_131
.LBB26_96:
	s_or_b32 exec_lo, exec_lo, s0
	s_and_saveexec_b32 s0, vcc_lo
	s_cbranch_execnz .LBB26_132
.LBB26_97:
	s_or_b32 exec_lo, exec_lo, s0
	s_and_saveexec_b32 s0, vcc_lo
	s_cbranch_execnz .LBB26_133
.LBB26_98:
	s_or_b32 exec_lo, exec_lo, s0
	s_and_saveexec_b32 s0, vcc_lo
	s_cbranch_execnz .LBB26_134
.LBB26_99:
	s_or_b32 exec_lo, exec_lo, s0
	s_and_saveexec_b32 s0, vcc_lo
	s_cbranch_execnz .LBB26_135
.LBB26_100:
	s_or_b32 exec_lo, exec_lo, s0
	s_and_saveexec_b32 s0, vcc_lo
	s_cbranch_execnz .LBB26_136
.LBB26_101:
	s_or_b32 exec_lo, exec_lo, s0
	s_and_saveexec_b32 s0, vcc_lo
	s_cbranch_execnz .LBB26_137
.LBB26_102:
	s_or_b32 exec_lo, exec_lo, s0
	s_and_saveexec_b32 s0, vcc_lo
	s_cbranch_execnz .LBB26_138
.LBB26_103:
	s_or_b32 exec_lo, exec_lo, s0
	s_and_saveexec_b32 s0, vcc_lo
	s_cbranch_execnz .LBB26_139
.LBB26_104:
	s_or_b32 exec_lo, exec_lo, s0
	s_and_saveexec_b32 s0, vcc_lo
	s_cbranch_execnz .LBB26_140
.LBB26_105:
	s_or_b32 exec_lo, exec_lo, s0
	s_and_saveexec_b32 s0, vcc_lo
	s_cbranch_execnz .LBB26_141
.LBB26_106:
	s_or_b32 exec_lo, exec_lo, s0
	s_and_saveexec_b32 s0, vcc_lo
	s_cbranch_execz .LBB26_108
.LBB26_107:
	ds_read_b32 v0, v17 offset:960
	s_waitcnt lgkmcnt(0)
	v_add_f32_e32 v16, v16, v0
.LBB26_108:
	s_or_b32 exec_lo, exec_lo, s0
.LBB26_109:
	s_or_b32 exec_lo, exec_lo, s1
	s_barrier
	buffer_gl0_inv
	s_mov_b32 s0, exec_lo
	v_cmpx_eq_u32_e32 0, v19
	s_cbranch_execz .LBB26_111
; %bb.110:
	s_lshl_b32 s0, s2, 8
	s_mul_i32 s2, s7, s10
	s_ashr_i32 s1, s0, 31
	v_lshlrev_b32_e32 v0, 1, v69
	s_lshl_b64 s[0:1], s[0:1], 2
	s_add_u32 s4, s20, s0
	s_addc_u32 s5, s21, s1
	s_ashr_i32 s3, s2, 31
	s_lshl_b64 s[0:1], s[2:3], 2
	s_add_u32 s2, s4, s0
	s_addc_u32 s3, s5, s1
	s_lshl_b32 s0, s8, 8
	s_ashr_i32 s1, s0, 31
	s_lshl_b64 s[0:1], s[0:1], 2
	s_add_u32 s0, s2, s0
	s_addc_u32 s1, s3, s1
	global_store_dword v0, v1, s[0:1]
	global_store_dword v0, v2, s[0:1] offset:64
	global_store_dword v0, v3, s[0:1] offset:128
	;; [unrolled: 1-line block ×15, first 2 shown]
.LBB26_111:
	s_endpgm
.LBB26_112:
	ds_read_b32 v0, v17
	s_waitcnt lgkmcnt(0)
	v_add_f32_e32 v1, v1, v0
	s_or_b32 exec_lo, exec_lo, s0
	s_and_saveexec_b32 s0, vcc_lo
	s_cbranch_execz .LBB26_72
.LBB26_113:
	ds_read_b32 v0, v17 offset:64
	s_waitcnt lgkmcnt(0)
	v_add_f32_e32 v2, v2, v0
	s_or_b32 exec_lo, exec_lo, s0
	s_and_saveexec_b32 s0, vcc_lo
	s_cbranch_execz .LBB26_73
.LBB26_114:
	ds_read_b32 v0, v17 offset:128
	s_waitcnt lgkmcnt(0)
	v_add_f32_e32 v3, v3, v0
	s_or_b32 exec_lo, exec_lo, s0
	s_and_saveexec_b32 s0, vcc_lo
	s_cbranch_execz .LBB26_74
.LBB26_115:
	ds_read_b32 v0, v17 offset:192
	s_waitcnt lgkmcnt(0)
	v_add_f32_e32 v4, v4, v0
	s_or_b32 exec_lo, exec_lo, s0
	s_and_saveexec_b32 s0, vcc_lo
	s_cbranch_execz .LBB26_75
.LBB26_116:
	ds_read_b32 v0, v17 offset:256
	s_waitcnt lgkmcnt(0)
	v_add_f32_e32 v5, v5, v0
	s_or_b32 exec_lo, exec_lo, s0
	s_and_saveexec_b32 s0, vcc_lo
	s_cbranch_execz .LBB26_76
.LBB26_117:
	ds_read_b32 v0, v17 offset:320
	s_waitcnt lgkmcnt(0)
	v_add_f32_e32 v6, v6, v0
	s_or_b32 exec_lo, exec_lo, s0
	s_and_saveexec_b32 s0, vcc_lo
	s_cbranch_execz .LBB26_77
.LBB26_118:
	ds_read_b32 v0, v17 offset:384
	s_waitcnt lgkmcnt(0)
	v_add_f32_e32 v7, v7, v0
	s_or_b32 exec_lo, exec_lo, s0
	s_and_saveexec_b32 s0, vcc_lo
	s_cbranch_execz .LBB26_78
.LBB26_119:
	ds_read_b32 v0, v17 offset:448
	s_waitcnt lgkmcnt(0)
	v_add_f32_e32 v8, v8, v0
	s_or_b32 exec_lo, exec_lo, s0
	s_and_saveexec_b32 s0, vcc_lo
	s_cbranch_execz .LBB26_79
.LBB26_120:
	ds_read_b32 v0, v17 offset:512
	s_waitcnt lgkmcnt(0)
	v_add_f32_e32 v9, v9, v0
	s_or_b32 exec_lo, exec_lo, s0
	s_and_saveexec_b32 s0, vcc_lo
	s_cbranch_execz .LBB26_80
.LBB26_121:
	ds_read_b32 v0, v17 offset:576
	s_waitcnt lgkmcnt(0)
	v_add_f32_e32 v10, v10, v0
	s_or_b32 exec_lo, exec_lo, s0
	s_and_saveexec_b32 s0, vcc_lo
	s_cbranch_execz .LBB26_81
.LBB26_122:
	ds_read_b32 v0, v17 offset:640
	s_waitcnt lgkmcnt(0)
	v_add_f32_e32 v11, v11, v0
	s_or_b32 exec_lo, exec_lo, s0
	s_and_saveexec_b32 s0, vcc_lo
	s_cbranch_execz .LBB26_82
.LBB26_123:
	ds_read_b32 v0, v17 offset:704
	s_waitcnt lgkmcnt(0)
	v_add_f32_e32 v12, v12, v0
	s_or_b32 exec_lo, exec_lo, s0
	s_and_saveexec_b32 s0, vcc_lo
	s_cbranch_execz .LBB26_83
.LBB26_124:
	ds_read_b32 v0, v17 offset:768
	s_waitcnt lgkmcnt(0)
	v_add_f32_e32 v13, v13, v0
	s_or_b32 exec_lo, exec_lo, s0
	s_and_saveexec_b32 s0, vcc_lo
	s_cbranch_execz .LBB26_84
.LBB26_125:
	ds_read_b32 v0, v17 offset:832
	s_waitcnt lgkmcnt(0)
	v_add_f32_e32 v14, v14, v0
	s_or_b32 exec_lo, exec_lo, s0
	s_and_saveexec_b32 s0, vcc_lo
	s_cbranch_execz .LBB26_85
.LBB26_126:
	ds_read_b32 v0, v17 offset:896
	s_waitcnt lgkmcnt(0)
	v_add_f32_e32 v15, v15, v0
	s_or_b32 exec_lo, exec_lo, s0
	s_and_saveexec_b32 s0, vcc_lo
	s_cbranch_execnz .LBB26_86
	s_branch .LBB26_87
.LBB26_127:
	ds_read_b32 v0, v17
	s_waitcnt lgkmcnt(0)
	v_add_f32_e32 v1, v1, v0
	s_or_b32 exec_lo, exec_lo, s0
	s_and_saveexec_b32 s0, vcc_lo
	s_cbranch_execz .LBB26_93
.LBB26_128:
	ds_read_b32 v0, v17 offset:64
	s_waitcnt lgkmcnt(0)
	v_add_f32_e32 v2, v2, v0
	s_or_b32 exec_lo, exec_lo, s0
	s_and_saveexec_b32 s0, vcc_lo
	s_cbranch_execz .LBB26_94
.LBB26_129:
	ds_read_b32 v0, v17 offset:128
	s_waitcnt lgkmcnt(0)
	v_add_f32_e32 v3, v3, v0
	s_or_b32 exec_lo, exec_lo, s0
	s_and_saveexec_b32 s0, vcc_lo
	s_cbranch_execz .LBB26_95
.LBB26_130:
	ds_read_b32 v0, v17 offset:192
	s_waitcnt lgkmcnt(0)
	v_add_f32_e32 v4, v4, v0
	s_or_b32 exec_lo, exec_lo, s0
	s_and_saveexec_b32 s0, vcc_lo
	s_cbranch_execz .LBB26_96
.LBB26_131:
	ds_read_b32 v0, v17 offset:256
	s_waitcnt lgkmcnt(0)
	v_add_f32_e32 v5, v5, v0
	s_or_b32 exec_lo, exec_lo, s0
	s_and_saveexec_b32 s0, vcc_lo
	s_cbranch_execz .LBB26_97
.LBB26_132:
	ds_read_b32 v0, v17 offset:320
	s_waitcnt lgkmcnt(0)
	v_add_f32_e32 v6, v6, v0
	s_or_b32 exec_lo, exec_lo, s0
	s_and_saveexec_b32 s0, vcc_lo
	s_cbranch_execz .LBB26_98
.LBB26_133:
	ds_read_b32 v0, v17 offset:384
	s_waitcnt lgkmcnt(0)
	v_add_f32_e32 v7, v7, v0
	s_or_b32 exec_lo, exec_lo, s0
	s_and_saveexec_b32 s0, vcc_lo
	s_cbranch_execz .LBB26_99
.LBB26_134:
	ds_read_b32 v0, v17 offset:448
	s_waitcnt lgkmcnt(0)
	v_add_f32_e32 v8, v8, v0
	s_or_b32 exec_lo, exec_lo, s0
	s_and_saveexec_b32 s0, vcc_lo
	s_cbranch_execz .LBB26_100
.LBB26_135:
	ds_read_b32 v0, v17 offset:512
	s_waitcnt lgkmcnt(0)
	v_add_f32_e32 v9, v9, v0
	s_or_b32 exec_lo, exec_lo, s0
	s_and_saveexec_b32 s0, vcc_lo
	s_cbranch_execz .LBB26_101
.LBB26_136:
	ds_read_b32 v0, v17 offset:576
	s_waitcnt lgkmcnt(0)
	v_add_f32_e32 v10, v10, v0
	s_or_b32 exec_lo, exec_lo, s0
	s_and_saveexec_b32 s0, vcc_lo
	s_cbranch_execz .LBB26_102
.LBB26_137:
	ds_read_b32 v0, v17 offset:640
	s_waitcnt lgkmcnt(0)
	v_add_f32_e32 v11, v11, v0
	s_or_b32 exec_lo, exec_lo, s0
	s_and_saveexec_b32 s0, vcc_lo
	s_cbranch_execz .LBB26_103
.LBB26_138:
	ds_read_b32 v0, v17 offset:704
	s_waitcnt lgkmcnt(0)
	v_add_f32_e32 v12, v12, v0
	s_or_b32 exec_lo, exec_lo, s0
	s_and_saveexec_b32 s0, vcc_lo
	s_cbranch_execz .LBB26_104
.LBB26_139:
	ds_read_b32 v0, v17 offset:768
	s_waitcnt lgkmcnt(0)
	v_add_f32_e32 v13, v13, v0
	s_or_b32 exec_lo, exec_lo, s0
	s_and_saveexec_b32 s0, vcc_lo
	s_cbranch_execz .LBB26_105
.LBB26_140:
	ds_read_b32 v0, v17 offset:832
	s_waitcnt lgkmcnt(0)
	v_add_f32_e32 v14, v14, v0
	s_or_b32 exec_lo, exec_lo, s0
	s_and_saveexec_b32 s0, vcc_lo
	s_cbranch_execz .LBB26_106
.LBB26_141:
	ds_read_b32 v0, v17 offset:896
	s_waitcnt lgkmcnt(0)
	v_add_f32_e32 v15, v15, v0
	s_or_b32 exec_lo, exec_lo, s0
	s_and_saveexec_b32 s0, vcc_lo
	s_cbranch_execnz .LBB26_107
	s_branch .LBB26_108
	.section	.rodata,"a",@progbits
	.p2align	6, 0x0
	.amdhsa_kernel _ZN4vllm25paged_attention_v2_kernelIffLi256ELi8ELi128ELNS_18Fp8KVCacheDataTypeE0ELb0ELi512EEEvPfS2_PT_PKS3_PKT0_S9_ifPKiSB_iPKfiiiSD_SD_iiiii
		.amdhsa_group_segment_fixed_size 1056
		.amdhsa_private_segment_fixed_size 72
		.amdhsa_kernarg_size 400
		.amdhsa_user_sgpr_count 6
		.amdhsa_user_sgpr_private_segment_buffer 1
		.amdhsa_user_sgpr_dispatch_ptr 0
		.amdhsa_user_sgpr_queue_ptr 0
		.amdhsa_user_sgpr_kernarg_segment_ptr 1
		.amdhsa_user_sgpr_dispatch_id 0
		.amdhsa_user_sgpr_flat_scratch_init 0
		.amdhsa_user_sgpr_private_segment_size 0
		.amdhsa_wavefront_size32 1
		.amdhsa_uses_dynamic_stack 0
		.amdhsa_system_sgpr_private_segment_wavefront_offset 1
		.amdhsa_system_sgpr_workgroup_id_x 1
		.amdhsa_system_sgpr_workgroup_id_y 1
		.amdhsa_system_sgpr_workgroup_id_z 1
		.amdhsa_system_sgpr_workgroup_info 0
		.amdhsa_system_vgpr_workitem_id 0
		.amdhsa_next_free_vgpr 128
		.amdhsa_next_free_sgpr 40
		.amdhsa_reserve_vcc 1
		.amdhsa_reserve_flat_scratch 0
		.amdhsa_float_round_mode_32 0
		.amdhsa_float_round_mode_16_64 0
		.amdhsa_float_denorm_mode_32 3
		.amdhsa_float_denorm_mode_16_64 3
		.amdhsa_dx10_clamp 1
		.amdhsa_ieee_mode 1
		.amdhsa_fp16_overflow 0
		.amdhsa_workgroup_processor_mode 1
		.amdhsa_memory_ordered 1
		.amdhsa_forward_progress 1
		.amdhsa_shared_vgpr_count 0
		.amdhsa_exception_fp_ieee_invalid_op 0
		.amdhsa_exception_fp_denorm_src 0
		.amdhsa_exception_fp_ieee_div_zero 0
		.amdhsa_exception_fp_ieee_overflow 0
		.amdhsa_exception_fp_ieee_underflow 0
		.amdhsa_exception_fp_ieee_inexact 0
		.amdhsa_exception_int_div_zero 0
	.end_amdhsa_kernel
	.section	.text._ZN4vllm25paged_attention_v2_kernelIffLi256ELi8ELi128ELNS_18Fp8KVCacheDataTypeE0ELb0ELi512EEEvPfS2_PT_PKS3_PKT0_S9_ifPKiSB_iPKfiiiSD_SD_iiiii,"axG",@progbits,_ZN4vllm25paged_attention_v2_kernelIffLi256ELi8ELi128ELNS_18Fp8KVCacheDataTypeE0ELb0ELi512EEEvPfS2_PT_PKS3_PKT0_S9_ifPKiSB_iPKfiiiSD_SD_iiiii,comdat
.Lfunc_end26:
	.size	_ZN4vllm25paged_attention_v2_kernelIffLi256ELi8ELi128ELNS_18Fp8KVCacheDataTypeE0ELb0ELi512EEEvPfS2_PT_PKS3_PKT0_S9_ifPKiSB_iPKfiiiSD_SD_iiiii, .Lfunc_end26-_ZN4vllm25paged_attention_v2_kernelIffLi256ELi8ELi128ELNS_18Fp8KVCacheDataTypeE0ELb0ELi512EEEvPfS2_PT_PKS3_PKT0_S9_ifPKiSB_iPKfiiiSD_SD_iiiii
                                        ; -- End function
	.set _ZN4vllm25paged_attention_v2_kernelIffLi256ELi8ELi128ELNS_18Fp8KVCacheDataTypeE0ELb0ELi512EEEvPfS2_PT_PKS3_PKT0_S9_ifPKiSB_iPKfiiiSD_SD_iiiii.num_vgpr, 128
	.set _ZN4vllm25paged_attention_v2_kernelIffLi256ELi8ELi128ELNS_18Fp8KVCacheDataTypeE0ELb0ELi512EEEvPfS2_PT_PKS3_PKT0_S9_ifPKiSB_iPKfiiiSD_SD_iiiii.num_agpr, 0
	.set _ZN4vllm25paged_attention_v2_kernelIffLi256ELi8ELi128ELNS_18Fp8KVCacheDataTypeE0ELb0ELi512EEEvPfS2_PT_PKS3_PKT0_S9_ifPKiSB_iPKfiiiSD_SD_iiiii.numbered_sgpr, 40
	.set _ZN4vllm25paged_attention_v2_kernelIffLi256ELi8ELi128ELNS_18Fp8KVCacheDataTypeE0ELb0ELi512EEEvPfS2_PT_PKS3_PKT0_S9_ifPKiSB_iPKfiiiSD_SD_iiiii.num_named_barrier, 0
	.set _ZN4vllm25paged_attention_v2_kernelIffLi256ELi8ELi128ELNS_18Fp8KVCacheDataTypeE0ELb0ELi512EEEvPfS2_PT_PKS3_PKT0_S9_ifPKiSB_iPKfiiiSD_SD_iiiii.private_seg_size, 72
	.set _ZN4vllm25paged_attention_v2_kernelIffLi256ELi8ELi128ELNS_18Fp8KVCacheDataTypeE0ELb0ELi512EEEvPfS2_PT_PKS3_PKT0_S9_ifPKiSB_iPKfiiiSD_SD_iiiii.uses_vcc, 1
	.set _ZN4vllm25paged_attention_v2_kernelIffLi256ELi8ELi128ELNS_18Fp8KVCacheDataTypeE0ELb0ELi512EEEvPfS2_PT_PKS3_PKT0_S9_ifPKiSB_iPKfiiiSD_SD_iiiii.uses_flat_scratch, 0
	.set _ZN4vllm25paged_attention_v2_kernelIffLi256ELi8ELi128ELNS_18Fp8KVCacheDataTypeE0ELb0ELi512EEEvPfS2_PT_PKS3_PKT0_S9_ifPKiSB_iPKfiiiSD_SD_iiiii.has_dyn_sized_stack, 0
	.set _ZN4vllm25paged_attention_v2_kernelIffLi256ELi8ELi128ELNS_18Fp8KVCacheDataTypeE0ELb0ELi512EEEvPfS2_PT_PKS3_PKT0_S9_ifPKiSB_iPKfiiiSD_SD_iiiii.has_recursion, 0
	.set _ZN4vllm25paged_attention_v2_kernelIffLi256ELi8ELi128ELNS_18Fp8KVCacheDataTypeE0ELb0ELi512EEEvPfS2_PT_PKS3_PKT0_S9_ifPKiSB_iPKfiiiSD_SD_iiiii.has_indirect_call, 0
	.section	.AMDGPU.csdata,"",@progbits
; Kernel info:
; codeLenInByte = 8180
; TotalNumSgprs: 42
; NumVgprs: 128
; ScratchSize: 72
; MemoryBound: 0
; FloatMode: 240
; IeeeMode: 1
; LDSByteSize: 1056 bytes/workgroup (compile time only)
; SGPRBlocks: 0
; VGPRBlocks: 15
; NumSGPRsForWavesPerEU: 42
; NumVGPRsForWavesPerEU: 128
; Occupancy: 8
; WaveLimiterHint : 1
; COMPUTE_PGM_RSRC2:SCRATCH_EN: 1
; COMPUTE_PGM_RSRC2:USER_SGPR: 6
; COMPUTE_PGM_RSRC2:TRAP_HANDLER: 0
; COMPUTE_PGM_RSRC2:TGID_X_EN: 1
; COMPUTE_PGM_RSRC2:TGID_Y_EN: 1
; COMPUTE_PGM_RSRC2:TGID_Z_EN: 1
; COMPUTE_PGM_RSRC2:TIDIG_COMP_CNT: 0
	.section	.text._ZN4vllm25paged_attention_v2_kernelIffLi32ELi16ELi128ELNS_18Fp8KVCacheDataTypeE0ELb1ELi512EEEvPfS2_PT_PKS3_PKT0_S9_ifPKiSB_iPKfiiiSD_SD_iiiii,"axG",@progbits,_ZN4vllm25paged_attention_v2_kernelIffLi32ELi16ELi128ELNS_18Fp8KVCacheDataTypeE0ELb1ELi512EEEvPfS2_PT_PKS3_PKT0_S9_ifPKiSB_iPKfiiiSD_SD_iiiii,comdat
	.protected	_ZN4vllm25paged_attention_v2_kernelIffLi32ELi16ELi128ELNS_18Fp8KVCacheDataTypeE0ELb1ELi512EEEvPfS2_PT_PKS3_PKT0_S9_ifPKiSB_iPKfiiiSD_SD_iiiii ; -- Begin function _ZN4vllm25paged_attention_v2_kernelIffLi32ELi16ELi128ELNS_18Fp8KVCacheDataTypeE0ELb1ELi512EEEvPfS2_PT_PKS3_PKT0_S9_ifPKiSB_iPKfiiiSD_SD_iiiii
	.globl	_ZN4vllm25paged_attention_v2_kernelIffLi32ELi16ELi128ELNS_18Fp8KVCacheDataTypeE0ELb1ELi512EEEvPfS2_PT_PKS3_PKT0_S9_ifPKiSB_iPKfiiiSD_SD_iiiii
	.p2align	8
	.type	_ZN4vllm25paged_attention_v2_kernelIffLi32ELi16ELi128ELNS_18Fp8KVCacheDataTypeE0ELb1ELi512EEEvPfS2_PT_PKS3_PKT0_S9_ifPKiSB_iPKfiiiSD_SD_iiiii,@function
_ZN4vllm25paged_attention_v2_kernelIffLi32ELi16ELi128ELNS_18Fp8KVCacheDataTypeE0ELb1ELi512EEEvPfS2_PT_PKS3_PKT0_S9_ifPKiSB_iPKfiiiSD_SD_iiiii: ; @_ZN4vllm25paged_attention_v2_kernelIffLi32ELi16ELi128ELNS_18Fp8KVCacheDataTypeE0ELb1ELi512EEEvPfS2_PT_PKS3_PKT0_S9_ifPKiSB_iPKfiiiSD_SD_iiiii
; %bb.0:
	s_load_dwordx2 s[0:1], s[4:5], 0x40
	s_mov_b32 s26, s7
	s_ashr_i32 s27, s7, 31
	s_lshl_b64 s[2:3], s[26:27], 2
	s_waitcnt lgkmcnt(0)
	s_add_u32 s0, s0, s2
	s_addc_u32 s1, s1, s3
	s_lshl_b32 s39, s8, 9
	s_load_dword s27, s[0:1], 0x0
	s_waitcnt lgkmcnt(0)
	s_cmp_ge_i32 s39, s27
	s_cbranch_scc1 .LBB27_72
; %bb.1:
	s_clause 0x1
	s_load_dword s9, s[4:5], 0x90
	s_load_dwordx2 s[36:37], s[4:5], 0x30
	s_mov_b32 s41, 0
	s_waitcnt lgkmcnt(0)
	s_abs_i32 s3, s9
	s_abs_i32 s0, s36
	v_cvt_f32_u32_e32 v1, s0
	s_sub_i32 s2, 0, s0
	v_rcp_iflag_f32_e32 v1, v1
	v_mul_f32_e32 v1, 0x4f7ffffe, v1
	v_cvt_u32_f32_e32 v1, v1
	v_readfirstlane_b32 s1, v1
	s_mul_i32 s2, s2, s1
	s_mul_hi_u32 s2, s1, s2
	s_add_i32 s1, s1, s2
	s_xor_b32 s2, s9, s36
	s_mul_hi_u32 s1, s3, s1
	s_ashr_i32 s2, s2, 31
	s_mul_i32 s7, s1, s0
	s_sub_i32 s3, s3, s7
	s_add_i32 s7, s1, 1
	s_sub_i32 s10, s3, s0
	s_cmp_ge_u32 s3, s0
	s_cselect_b32 s1, s7, s1
	s_cselect_b32 s3, s10, s3
	s_add_i32 s7, s1, 1
	s_cmp_ge_u32 s3, s0
	s_cselect_b32 s0, s7, s1
	s_xor_b32 s0, s0, s2
	s_sub_i32 s10, s0, s2
	s_load_dwordx2 s[0:1], s[4:5], 0x50
	s_abs_i32 s2, s10
	v_cvt_f32_u32_e32 v1, s2
	s_sub_i32 s3, 0, s2
	v_rcp_iflag_f32_e32 v1, v1
	v_mul_f32_e32 v1, 0x4f7ffffe, v1
	v_cvt_u32_f32_e32 v1, v1
	v_readfirstlane_b32 s7, v1
	s_mul_i32 s3, s3, s7
	s_mul_hi_u32 s11, s7, s3
	s_abs_i32 s3, s6
	s_add_i32 s7, s7, s11
	s_waitcnt lgkmcnt(0)
	s_cmp_eq_u64 s[0:1], 0
	s_mul_hi_u32 s20, s3, s7
	s_cbranch_scc1 .LBB27_3
; %bb.2:
	s_ashr_i32 s7, s6, 31
	s_lshl_b64 s[12:13], s[6:7], 2
	s_add_u32 s0, s0, s12
	s_addc_u32 s1, s1, s13
	s_load_dword s41, s[0:1], 0x0
.LBB27_3:
	s_load_dwordx4 s[12:15], s[4:5], 0x58
	v_and_b32_e32 v1, 1, v0
	v_lshlrev_b32_e32 v2, 3, v0
	v_lshlrev_b32_e32 v3, 2, v0
	s_ashr_i32 s0, s6, 31
	s_ashr_i32 s1, s10, 31
	s_lshl_b32 s10, s6, 5
	s_mov_b32 s7, exec_lo
	v_cmpx_gt_u32_e32 16, v0
	s_cbranch_execz .LBB27_5
; %bb.4:
	s_load_dwordx2 s[16:17], s[4:5], 0x18
	s_waitcnt lgkmcnt(0)
	s_mul_i32 s18, s12, s26
	v_and_b32_e32 v6, 0xff8, v3
	s_ashr_i32 s19, s18, 31
	s_lshl_b64 s[18:19], s[18:19], 2
	v_lshl_add_u32 v6, v1, 6, v6
	s_add_u32 s12, s16, s18
	s_addc_u32 s15, s17, s19
	s_ashr_i32 s11, s10, 31
	s_lshl_b64 s[16:17], s[10:11], 2
	s_add_u32 s16, s12, s16
	s_addc_u32 s17, s15, s17
	global_load_dwordx2 v[4:5], v2, s[16:17]
	s_waitcnt vmcnt(0)
	ds_write_b64 v6, v[4:5]
.LBB27_5:
	s_or_b32 exec_lo, exec_lo, s7
	s_load_dwordx4 s[16:19], s[4:5], 0x78
	s_mul_i32 s7, s20, s2
	s_xor_b32 s0, s0, s1
	s_sub_i32 s1, s3, s7
	s_add_i32 s3, s20, 1
	s_sub_i32 s7, s1, s2
	s_cmp_ge_u32 s1, s2
	s_waitcnt lgkmcnt(0)
	s_mov_b32 s15, -1
	s_cselect_b32 s3, s3, s20
	s_cselect_b32 s1, s7, s1
	s_add_i32 s7, s3, 1
	s_cmp_ge_u32 s1, s2
                                        ; implicit-def: $sgpr38
	s_cselect_b32 s1, s7, s3
	s_load_dword s3, s[4:5], 0x88
	s_xor_b32 s1, s1, s0
	s_add_i32 s7, s27, -1
	s_sub_i32 s1, s1, s0
	s_abs_i32 s2, s7
	s_waitcnt lgkmcnt(0)
	s_abs_i32 s11, s19
	s_barrier
	v_cvt_f32_u32_e32 v4, s11
	s_sub_i32 s0, 0, s11
	buffer_gl0_inv
	v_rcp_iflag_f32_e32 v4, v4
	v_mul_f32_e32 v4, 0x4f7ffffe, v4
	v_cvt_u32_f32_e32 v4, v4
	v_readfirstlane_b32 s33, v4
	s_mul_i32 s0, s0, s33
	s_mul_hi_u32 s0, s33, s0
	s_add_i32 s33, s33, s0
	s_cmp_lt_i32 s3, 0
	s_mul_hi_u32 s0, s2, s33
	s_cbranch_scc0 .LBB27_7
; %bb.6:
	s_mul_i32 s12, s16, s36
	s_mov_b32 s15, 0
	s_add_i32 s12, s1, s12
	s_mul_i32 s12, s12, s3
	s_sub_i32 s38, 1, s12
.LBB27_7:
	s_load_dwordx2 s[28:29], s[4:5], 0x38
	s_ashr_i32 s12, s7, 31
	s_andn2_b32 vcc_lo, exec_lo, s15
	s_ashr_i32 s19, s19, 31
	s_cbranch_vccnz .LBB27_9
; %bb.8:
	s_mul_i32 s7, s9, s16
	s_add_i32 s7, s7, s6
	s_mul_i32 s3, s7, s3
	s_add_i32 s38, s3, 1
.LBB27_9:
	s_clause 0x4
	s_load_dword s3, s[4:5], 0x48
	s_load_dwordx2 s[34:35], s[4:5], 0x28
	s_load_dword s7, s[4:5], 0x98
	s_load_dwordx4 s[20:23], s[4:5], 0x0
	s_load_dwordx2 s[24:25], s[4:5], 0x10
	s_xor_b32 s15, s12, s19
	s_mul_i32 s12, s0, s11
	s_add_i32 s16, s0, 1
	s_sub_i32 s2, s2, s12
	v_lshrrev_b32_e32 v24, 5, v0
	v_mov_b32_e32 v5, 0xff7fffff
	v_mbcnt_lo_u32_b32 v4, -1, 0
	s_mul_i32 s14, s1, s14
	v_lshl_add_u32 v25, v24, 4, s39
	s_waitcnt lgkmcnt(0)
	s_mul_i32 s30, s3, s26
	s_sub_i32 s3, s2, s11
	s_ashr_i32 s31, s30, 31
	s_cmp_ge_u32 s2, s11
	s_cselect_b32 s0, s16, s0
	s_cselect_b32 s2, s3, s2
	s_add_i32 s3, s0, 1
	s_cmp_ge_u32 s2, s11
	s_cselect_b32 s0, s3, s0
	s_add_i32 s2, s27, 15
	s_lshl_b32 s12, s8, 5
	s_ashr_i32 s3, s2, 31
	v_or_b32_e32 v21, s12, v24
	s_lshr_b32 s3, s3, 28
	s_add_i32 s2, s2, s3
	s_add_i32 s3, s12, 32
	s_ashr_i32 s36, s2, 4
	s_xor_b32 s2, s0, s15
	s_min_i32 s16, s3, s36
	v_ashrrev_i32_e32 v22, 31, v21
	v_cmp_gt_i32_e64 s0, s16, v21
	s_sub_i32 s40, s2, s15
	s_and_saveexec_b32 s42, s0
	s_cbranch_execz .LBB27_21
; %bb.10:
	s_load_dwordx2 s[2:3], s[4:5], 0x20
	s_ashr_i32 s15, s14, 31
	s_sub_i32 s4, s40, s17
	s_lshl_b64 s[44:45], s[14:15], 2
	v_bfe_u32 v6, v0, 1, 4
	v_cmp_eq_u32_e32 vcc_lo, 0, v1
	v_and_b32_e32 v13, 8, v2
	v_lshlrev_b32_e32 v7, 6, v1
	v_lshlrev_b64 v[1:2], 2, v[21:22]
	v_lshlrev_b32_e32 v11, 2, v6
	v_subrev_nc_u32_e32 v14, s27, v6
	v_lshlrev_b32_e32 v17, 4, v6
	v_cmp_neq_f32_e64 s1, s41, 0
	v_lshl_add_u32 v8, v24, 4, s39
	v_lshl_or_b32 v15, v24, 6, v11
	v_add_nc_u32_e32 v11, 1, v14
	v_mov_b32_e32 v9, 0xff7fffff
	v_xor_b32_e32 v10, 1, v4
	s_waitcnt lgkmcnt(0)
	s_add_u32 s15, s2, s44
	s_addc_u32 s43, s3, s45
	s_abs_i32 s5, s18
	v_cvt_f32_u32_e32 v5, s5
	s_sub_i32 s2, 0, s5
	v_rcp_iflag_f32_e32 v5, v5
	v_mul_f32_e32 v12, 0x4f7ffffe, v5
	v_mov_b32_e32 v5, 0xff7fffff
	v_cvt_u32_f32_e32 v16, v12
	v_add_nc_u32_e32 v12, 0xa0, v15
	v_add_co_u32 v15, s15, s15, v17
	v_add_co_ci_u32_e64 v17, null, s43, 0, s15
	v_mul_lo_u32 v14, s2, v16
	s_lshl_b64 s[2:3], s[30:31], 2
	s_mov_b32 s15, 0
	s_add_u32 s2, s28, s2
	s_addc_u32 s3, s29, s3
	v_add_co_u32 v1, s2, s2, v1
	v_add_co_ci_u32_e64 v2, null, s3, v2, s2
	v_mul_hi_u32 v18, v16, v14
	v_add_co_u32 v13, s2, v15, v13
	v_add_co_ci_u32_e64 v14, null, 0, v17, s2
	s_mov_b32 s43, s13
	v_add_nc_u32_e32 v15, v16, v18
	v_mov_b32_e32 v16, v21
	s_branch .LBB27_13
.LBB27_11:                              ;   in Loop: Header=BB27_13 Depth=1
	s_or_b32 exec_lo, exec_lo, s44
.LBB27_12:                              ;   in Loop: Header=BB27_13 Depth=1
	s_or_b32 exec_lo, exec_lo, s3
	v_add_nc_u32_e32 v16, 4, v16
	v_add_co_u32 v1, s3, v1, 16
	v_add_co_ci_u32_e64 v2, null, 0, v2, s3
	v_cmp_le_i32_e64 s2, s16, v16
	v_add_nc_u32_e32 v8, 64, v8
	v_add_nc_u32_e32 v12, 0x100, v12
	s_or_b32 s15, s2, s15
	s_andn2_b32 exec_lo, exec_lo, s15
	s_cbranch_execz .LBB27_20
.LBB27_13:                              ; =>This Inner Loop Header: Depth=1
	v_sub_nc_u32_e32 v17, 0, v8
	v_max_i32_e32 v17, v8, v17
	s_waitcnt lgkmcnt(0)
	v_mul_hi_u32 v18, v17, s33
	v_mul_lo_u32 v19, v18, s11
	v_sub_nc_u32_e32 v17, v17, v19
	v_add_nc_u32_e32 v19, 1, v18
	v_subrev_nc_u32_e32 v20, s11, v17
	v_cmp_le_u32_e64 s2, s11, v17
	v_cndmask_b32_e64 v18, v18, v19, s2
	v_cndmask_b32_e64 v17, v17, v20, s2
	v_ashrrev_i32_e32 v19, 31, v8
	v_add_nc_u32_e32 v20, 1, v18
	v_cmp_le_u32_e64 s2, s11, v17
	v_xor_b32_e32 v19, s19, v19
	v_cndmask_b32_e64 v17, v18, v20, s2
	v_xor_b32_e32 v17, v17, v19
	v_sub_nc_u32_e32 v17, v17, v19
	v_add_nc_u32_e32 v18, s38, v17
	v_cmp_ge_i32_e64 s3, s4, v17
	v_sub_nc_u32_e32 v19, 0, v18
	v_max_i32_e32 v19, v18, v19
	v_ashrrev_i32_e32 v18, 31, v18
	v_mul_hi_u32 v20, v19, v15
	v_mul_lo_u32 v20, v20, s5
	v_sub_nc_u32_e32 v19, v19, v20
	v_subrev_nc_u32_e32 v20, s5, v19
	v_cmp_le_u32_e64 s2, s5, v19
	v_cndmask_b32_e64 v19, v19, v20, s2
	v_subrev_nc_u32_e32 v20, s5, v19
	v_cmp_le_u32_e64 s2, s5, v19
	v_cndmask_b32_e64 v19, v19, v20, s2
	v_xor_b32_e32 v19, v19, v18
	v_sub_nc_u32_e32 v18, v19, v18
	v_cmp_ne_u32_e64 s2, 0, v18
	s_and_b32 s2, s2, s3
	s_and_saveexec_b32 s3, s2
	s_xor_b32 s2, exec_lo, s3
	s_cbranch_execz .LBB27_17
; %bb.14:                               ;   in Loop: Header=BB27_13 Depth=1
	s_and_saveexec_b32 s3, vcc_lo
; %bb.15:                               ;   in Loop: Header=BB27_13 Depth=1
	ds_write_b32 v12, v9
; %bb.16:                               ;   in Loop: Header=BB27_13 Depth=1
	s_or_b32 exec_lo, exec_lo, s3
.LBB27_17:                              ;   in Loop: Header=BB27_13 Depth=1
	s_andn2_saveexec_b32 s3, s2
	s_cbranch_execz .LBB27_12
; %bb.18:                               ;   in Loop: Header=BB27_13 Depth=1
	global_load_dword v17, v[1:2], off
	s_waitcnt vmcnt(0)
	v_mad_i64_i32 v[17:18], null, v17, s43, 0
	v_lshlrev_b64 v[17:18], 2, v[17:18]
	v_add_co_u32 v17, s2, v13, v17
	v_add_co_ci_u32_e64 v18, null, v14, v18, s2
	v_cmp_gt_i32_e64 s2, 32, v10
	s_clause 0x7
	global_load_dwordx2 v[34:35], v[17:18], off offset:256
	global_load_dwordx2 v[36:37], v[17:18], off
	global_load_dwordx2 v[38:39], v[17:18], off offset:512
	global_load_dwordx2 v[40:41], v[17:18], off offset:768
	;; [unrolled: 1-line block ×6, first 2 shown]
	ds_read_b128 v[17:20], v7
	ds_read_b128 v[26:29], v7 offset:16
	ds_read_b128 v[30:33], v7 offset:32
	s_waitcnt vmcnt(7) lgkmcnt(2)
	v_mul_f32_e32 v23, v19, v34
	v_mul_f32_e32 v34, v20, v35
	s_waitcnt vmcnt(6)
	v_fmac_f32_e32 v23, v17, v36
	v_fmac_f32_e32 v34, v18, v37
	ds_read_b128 v[17:20], v7 offset:48
	s_waitcnt vmcnt(5) lgkmcnt(2)
	v_fmac_f32_e32 v23, v26, v38
	v_fmac_f32_e32 v34, v27, v39
	s_waitcnt vmcnt(4)
	v_fmac_f32_e32 v23, v28, v40
	v_fmac_f32_e32 v34, v29, v41
	s_waitcnt vmcnt(3) lgkmcnt(1)
	v_fmac_f32_e32 v23, v30, v42
	v_fmac_f32_e32 v34, v31, v43
	s_waitcnt vmcnt(2)
	v_fmac_f32_e32 v23, v32, v44
	v_fmac_f32_e32 v34, v33, v45
	s_waitcnt vmcnt(1) lgkmcnt(0)
	v_fmac_f32_e32 v23, v17, v46
	v_fmac_f32_e32 v34, v18, v47
	v_cndmask_b32_e64 v17, v4, v10, s2
	s_waitcnt vmcnt(0)
	v_fmac_f32_e32 v23, v19, v48
	v_fmac_f32_e32 v34, v20, v49
	v_lshlrev_b32_e32 v18, 2, v17
	v_add_f32_e32 v17, v23, v34
	ds_bpermute_b32 v18, v18, v17
	s_and_saveexec_b32 s44, vcc_lo
	s_cbranch_execz .LBB27_11
; %bb.19:                               ;   in Loop: Header=BB27_13 Depth=1
	v_add_nc_u32_e32 v19, v11, v8
	s_waitcnt lgkmcnt(0)
	v_add_f32_e32 v17, v17, v18
	v_cvt_f32_i32_e32 v19, v19
	v_mul_f32_e32 v19, s41, v19
	v_cndmask_b32_e64 v18, 0, v19, s1
	v_max_f32_e32 v19, v5, v5
	v_fmac_f32_e32 v18, s37, v17
	v_add_nc_u32_e32 v17, v6, v8
	v_max_f32_e32 v19, v19, v18
	v_cmp_gt_i32_e64 s2, s27, v17
	v_cndmask_b32_e64 v17, 0, v18, s2
	v_cndmask_b32_e64 v5, v5, v19, s2
	ds_write_b32 v12, v17
	s_branch .LBB27_11
.LBB27_20:
	s_or_b32 exec_lo, exec_lo, s15
.LBB27_21:
	s_or_b32 exec_lo, exec_lo, s42
	v_xor_b32_e32 v1, 16, v4
	v_xor_b32_e32 v6, 8, v4
	v_max_f32_e32 v7, v5, v5
	v_and_b32_e32 v26, 31, v0
	v_cmp_gt_i32_e32 vcc_lo, 32, v1
	v_cndmask_b32_e32 v1, v4, v1, vcc_lo
	v_cmp_gt_i32_e32 vcc_lo, 32, v6
	v_lshlrev_b32_e32 v2, 2, v1
	ds_bpermute_b32 v1, v2, v5
	v_cndmask_b32_e32 v5, v4, v6, vcc_lo
	v_lshlrev_b32_e32 v5, 2, v5
	s_waitcnt lgkmcnt(0)
	v_max_f32_e32 v1, v1, v1
	v_max_f32_e32 v1, v7, v1
	v_xor_b32_e32 v7, 4, v4
	ds_bpermute_b32 v6, v5, v1
	v_cmp_gt_i32_e32 vcc_lo, 32, v7
	v_cndmask_b32_e32 v7, v4, v7, vcc_lo
	s_waitcnt lgkmcnt(0)
	v_max_f32_e32 v8, v6, v6
	v_lshlrev_b32_e32 v6, 2, v7
	v_max_f32_e32 v1, v1, v8
	v_xor_b32_e32 v8, 2, v4
	ds_bpermute_b32 v7, v6, v1
	v_cmp_gt_i32_e32 vcc_lo, 32, v8
	v_cndmask_b32_e32 v8, v4, v8, vcc_lo
	v_cmp_eq_u32_e32 vcc_lo, 0, v26
	v_lshlrev_b32_e32 v27, 2, v8
	s_waitcnt lgkmcnt(0)
	v_max_f32_e32 v7, v7, v7
	v_max_f32_e32 v1, v1, v7
	v_lshlrev_b32_e32 v7, 2, v24
	ds_bpermute_b32 v8, v27, v1
	s_and_saveexec_b32 s1, vcc_lo
	s_cbranch_execz .LBB27_23
; %bb.22:
	s_waitcnt lgkmcnt(0)
	v_max_f32_e32 v8, v8, v8
	v_max_f32_e32 v1, v1, v1
	;; [unrolled: 1-line block ×3, first 2 shown]
	ds_write_b32 v7, v1 offset:128
.LBB27_23:
	s_or_b32 exec_lo, exec_lo, s1
	v_cmp_gt_u32_e64 s1, 4, v26
	v_mov_b32_e32 v1, 0xff7fffff
	s_waitcnt lgkmcnt(0)
	v_lshlrev_b32_e32 v8, 2, v26
	s_barrier
	buffer_gl0_inv
	s_and_saveexec_b32 s2, s1
; %bb.24:
	ds_read_b32 v1, v8 offset:128
; %bb.25:
	s_or_b32 exec_lo, exec_lo, s2
	s_waitcnt lgkmcnt(0)
	ds_bpermute_b32 v9, v27, v1
	v_xor_b32_e32 v10, 1, v4
	v_max_f32_e32 v1, v1, v1
	v_cmp_gt_i32_e64 s2, 32, v10
	v_cndmask_b32_e64 v4, v4, v10, s2
	s_sub_i32 s2, s16, s12
	s_lshl_b32 s2, s2, 4
	v_lshlrev_b32_e32 v28, 2, v4
	s_add_i32 s2, s2, s39
	s_min_i32 s2, s2, s27
	s_waitcnt lgkmcnt(0)
	v_max_f32_e32 v9, v9, v9
	s_sub_i32 s4, s2, s39
	v_cmp_gt_i32_e64 s2, s4, v0
	v_max_f32_e32 v1, v1, v9
	v_mov_b32_e32 v9, 0
	ds_bpermute_b32 v4, v28, v1
	s_waitcnt lgkmcnt(0)
	v_max_f32_e32 v4, v4, v4
	v_max_f32_e32 v1, v1, v4
	v_lshl_add_u32 v4, v0, 2, 0xa0
	ds_bpermute_b32 v1, v9, v1
	s_and_saveexec_b32 s5, s2
	s_cbranch_execz .LBB27_29
; %bb.26:
	v_lshl_add_u32 v10, v0, 2, 0xa0
	v_mov_b32_e32 v9, 0
	v_mov_b32_e32 v11, v0
	s_mov_b32 s15, 0
	.p2align	6
.LBB27_27:                              ; =>This Inner Loop Header: Depth=1
	ds_read_b32 v12, v10
	v_add_nc_u32_e32 v11, 0x80, v11
	v_cmp_le_i32_e64 s3, s4, v11
	s_or_b32 s15, s3, s15
	s_waitcnt lgkmcnt(0)
	v_sub_f32_e32 v12, v12, v1
	v_mul_f32_e32 v12, 0x3fb8aa3b, v12
	v_exp_f32_e32 v12, v12
	ds_write_b32 v10, v12
	v_add_f32_e32 v9, v9, v12
	v_add_nc_u32_e32 v10, 0x200, v10
	s_andn2_b32 exec_lo, exec_lo, s15
	s_cbranch_execnz .LBB27_27
; %bb.28:
	s_or_b32 exec_lo, exec_lo, s15
.LBB27_29:
	s_or_b32 exec_lo, exec_lo, s5
	ds_bpermute_b32 v2, v2, v9
	s_waitcnt lgkmcnt(0)
	v_add_f32_e32 v2, v9, v2
	ds_bpermute_b32 v5, v5, v2
	s_waitcnt lgkmcnt(0)
	v_add_f32_e32 v2, v2, v5
	;; [unrolled: 3-line block ×5, first 2 shown]
	s_and_saveexec_b32 s3, vcc_lo
; %bb.30:
	ds_write_b32 v7, v2 offset:144
; %bb.31:
	s_or_b32 exec_lo, exec_lo, s3
	s_waitcnt lgkmcnt(0)
	s_barrier
	buffer_gl0_inv
	s_and_saveexec_b32 s3, s1
; %bb.32:
	ds_read_b32 v2, v8 offset:144
; %bb.33:
	s_or_b32 exec_lo, exec_lo, s3
	s_waitcnt lgkmcnt(0)
	ds_bpermute_b32 v5, v27, v2
	s_waitcnt lgkmcnt(0)
	v_add_f32_e32 v2, v2, v5
	ds_bpermute_b32 v5, v28, v2
	s_waitcnt lgkmcnt(0)
	v_add_f32_e32 v2, v2, v5
	v_mov_b32_e32 v5, 0
	ds_bpermute_b32 v2, v5, v2
	s_and_saveexec_b32 s1, s2
	s_cbranch_execz .LBB27_36
; %bb.34:
	s_waitcnt lgkmcnt(0)
	v_add_f32_e32 v5, 0x358637bd, v2
	s_mov_b32 s2, 0
	v_div_scale_f32 v6, null, v5, v5, 1.0
	v_div_scale_f32 v9, vcc_lo, 1.0, v5, 1.0
	v_rcp_f32_e32 v7, v6
	v_fma_f32 v8, -v6, v7, 1.0
	v_fmac_f32_e32 v7, v8, v7
	v_mul_f32_e32 v8, v9, v7
	v_fma_f32 v10, -v6, v8, v9
	v_fmac_f32_e32 v8, v10, v7
	v_fma_f32 v6, -v6, v8, v9
	v_div_fmas_f32 v6, v6, v7, v8
	v_div_fixup_f32 v5, v6, v5, 1.0
	v_mov_b32_e32 v6, v0
.LBB27_35:                              ; =>This Inner Loop Header: Depth=1
	ds_read_b32 v7, v4
	v_add_nc_u32_e32 v6, 0x80, v6
	v_cmp_le_i32_e32 vcc_lo, s4, v6
	s_or_b32 s2, vcc_lo, s2
	s_waitcnt lgkmcnt(0)
	v_mul_f32_e32 v7, v5, v7
	ds_write_b32 v4, v7
	v_add_nc_u32_e32 v4, 0x200, v4
	s_andn2_b32 exec_lo, exec_lo, s2
	s_cbranch_execnz .LBB27_35
.LBB27_36:
	s_or_b32 exec_lo, exec_lo, s1
	s_mul_i32 s1, s7, s26
	s_waitcnt lgkmcnt(0)
	s_mul_i32 s2, s1, s9
	s_mov_b32 s1, exec_lo
	s_barrier
	buffer_gl0_inv
	v_cmpx_eq_u32_e32 0, v0
	s_cbranch_execz .LBB27_38
; %bb.37:
	s_ashr_i32 s3, s2, 31
	s_mul_i32 s42, s7, s6
	s_lshl_b64 s[4:5], s[2:3], 2
	v_mov_b32_e32 v4, 0
	s_add_u32 s3, s22, s4
	s_addc_u32 s6, s23, s5
	s_ashr_i32 s43, s42, 31
	s_lshl_b64 s[22:23], s[42:43], 2
	s_add_u32 s3, s3, s22
	s_addc_u32 s6, s6, s23
	s_ashr_i32 s9, s8, 31
	s_lshl_b64 s[8:9], s[8:9], 2
	s_add_u32 s42, s3, s8
	s_addc_u32 s43, s6, s9
	s_add_u32 s3, s20, s4
	s_addc_u32 s4, s21, s5
	;; [unrolled: 2-line block ×4, first 2 shown]
	global_store_dword v4, v1, s[42:43]
	global_store_dword v4, v2, s[4:5]
.LBB27_38:
	s_or_b32 exec_lo, exec_lo, s1
	v_mov_b32_e32 v34, 0
	v_and_b32_e32 v29, 3, v0
	v_mov_b32_e32 v32, 0
	v_mov_b32_e32 v31, 0
	;; [unrolled: 1-line block ×3, first 2 shown]
	s_and_saveexec_b32 s1, s0
	s_cbranch_execz .LBB27_52
; %bb.39:
	s_ashr_i32 s15, s14, 31
	s_sub_i32 s3, s40, s17
	s_lshl_b64 s[4:5], s[14:15], 2
	v_and_b32_e32 v33, 12, v3
	s_add_u32 s0, s34, s4
	s_addc_u32 s5, s35, s5
	s_abs_i32 s4, s18
	v_lshlrev_b32_e32 v3, 4, v0
	v_cvt_f32_u32_e32 v1, s4
	s_sub_i32 s6, 0, s4
	v_lshlrev_b32_e32 v5, 4, v29
	s_lshl_b64 s[8:9], s[30:31], 2
	v_and_b32_e32 v3, 0x1f0, v3
	v_rcp_iflag_f32_e32 v1, v1
	s_add_i32 s36, s36, -1
	v_lshl_or_b32 v5, v24, 6, v5
	v_mov_b32_e32 v30, 0
	v_add_co_u32 v35, s0, s0, v3
	v_mov_b32_e32 v31, 0
	v_mov_b32_e32 v32, 0
	v_add_co_ci_u32_e64 v36, null, s5, 0, s0
	v_mul_f32_e32 v1, 0x4f7ffffe, v1
	v_add_nc_u32_e32 v37, 0xa0, v5
	v_mov_b32_e32 v34, 0
	s_mov_b32 s5, 0
	v_cvt_u32_f32_e32 v4, v1
	v_lshlrev_b64 v[1:2], 2, v[21:22]
	v_mul_lo_u32 v6, s6, v4
	s_add_u32 s6, s28, s8
	s_addc_u32 s8, s29, s9
	v_add_co_u32 v22, vcc_lo, s6, v1
	v_add_co_ci_u32_e64 v23, null, s8, v2, vcc_lo
	s_mov_b32 s6, s13
	v_mul_hi_u32 v6, v4, v6
	v_add_nc_u32_e32 v38, v4, v6
	s_branch .LBB27_42
.LBB27_40:                              ;   in Loop: Header=BB27_42 Depth=1
	s_or_b32 exec_lo, exec_lo, s0
	s_waitcnt vmcnt(1) lgkmcnt(0)
	v_mul_f32_e32 v13, v1, v13
	v_mul_f32_e32 v9, v1, v9
	;; [unrolled: 1-line block ×3, first 2 shown]
	s_waitcnt vmcnt(0)
	v_mul_f32_e32 v1, v1, v17
	v_fmac_f32_e32 v13, v2, v14
	v_fmac_f32_e32 v9, v2, v10
	;; [unrolled: 1-line block ×12, first 2 shown]
	v_add_f32_e32 v31, v31, v13
	v_add_f32_e32 v32, v32, v9
	;; [unrolled: 1-line block ×4, first 2 shown]
.LBB27_41:                              ;   in Loop: Header=BB27_42 Depth=1
	s_or_b32 exec_lo, exec_lo, s8
	v_add_nc_u32_e32 v21, 4, v21
	v_add_co_u32 v22, s0, v22, 16
	v_add_co_ci_u32_e64 v23, null, 0, v23, s0
	v_cmp_le_i32_e32 vcc_lo, s16, v21
	v_add_nc_u32_e32 v25, 64, v25
	v_add_nc_u32_e32 v37, 0x100, v37
	s_or_b32 s5, vcc_lo, s5
	s_andn2_b32 exec_lo, exec_lo, s5
	s_cbranch_execz .LBB27_51
.LBB27_42:                              ; =>This Inner Loop Header: Depth=1
	v_sub_nc_u32_e32 v1, 0, v25
	v_max_i32_e32 v1, v25, v1
	v_mul_hi_u32 v2, v1, s33
	v_mul_lo_u32 v3, v2, s11
	v_sub_nc_u32_e32 v1, v1, v3
	v_add_nc_u32_e32 v3, 1, v2
	v_subrev_nc_u32_e32 v4, s11, v1
	v_cmp_le_u32_e32 vcc_lo, s11, v1
	v_cndmask_b32_e32 v2, v2, v3, vcc_lo
	v_cndmask_b32_e32 v1, v1, v4, vcc_lo
	v_ashrrev_i32_e32 v3, 31, v25
	v_add_nc_u32_e32 v4, 1, v2
	v_cmp_le_u32_e32 vcc_lo, s11, v1
	v_xor_b32_e32 v3, s19, v3
	v_cndmask_b32_e32 v1, v2, v4, vcc_lo
	v_xor_b32_e32 v1, v1, v3
	v_sub_nc_u32_e32 v1, v1, v3
	v_add_nc_u32_e32 v2, s38, v1
	v_cmp_lt_i32_e64 s0, s3, v1
	v_sub_nc_u32_e32 v3, 0, v2
	v_max_i32_e32 v3, v2, v3
	v_ashrrev_i32_e32 v2, 31, v2
	v_mul_hi_u32 v4, v3, v38
	v_mul_lo_u32 v4, v4, s4
	v_sub_nc_u32_e32 v3, v3, v4
	v_subrev_nc_u32_e32 v4, s4, v3
	v_cmp_le_u32_e32 vcc_lo, s4, v3
	v_cndmask_b32_e32 v3, v3, v4, vcc_lo
	v_subrev_nc_u32_e32 v4, s4, v3
	v_cmp_le_u32_e32 vcc_lo, s4, v3
	v_cndmask_b32_e32 v3, v3, v4, vcc_lo
	v_xor_b32_e32 v3, v3, v2
	v_sub_nc_u32_e32 v2, v3, v2
	v_cmp_eq_u32_e32 vcc_lo, 0, v2
	s_or_b32 s0, vcc_lo, s0
	s_and_saveexec_b32 s8, s0
	s_cbranch_execz .LBB27_41
; %bb.43:                               ;   in Loop: Header=BB27_42 Depth=1
	global_load_dword v1, v[22:23], off
	v_add_nc_u32_e32 v39, v33, v25
	v_add_nc_u32_e32 v42, 1, v39
	;; [unrolled: 1-line block ×4, first 2 shown]
	s_waitcnt vmcnt(0)
	v_mad_i64_i32 v[1:2], null, v1, s6, 0
	v_lshlrev_b64 v[1:2], 2, v[1:2]
	v_add_co_u32 v17, vcc_lo, v35, v1
	v_add_co_ci_u32_e64 v18, null, v36, v2, vcc_lo
	ds_read_b128 v[1:4], v37
	v_cmp_eq_u32_e32 vcc_lo, s36, v21
	global_load_dwordx4 v[5:8], v[17:18], off
	s_and_saveexec_b32 s9, vcc_lo
	s_cbranch_execnz .LBB27_47
; %bb.44:                               ;   in Loop: Header=BB27_42 Depth=1
	s_or_b32 exec_lo, exec_lo, s9
	global_load_dwordx4 v[9:12], v[17:18], off offset:512
	s_and_saveexec_b32 s9, vcc_lo
	s_cbranch_execnz .LBB27_48
.LBB27_45:                              ;   in Loop: Header=BB27_42 Depth=1
	s_or_b32 exec_lo, exec_lo, s9
	global_load_dwordx4 v[13:16], v[17:18], off offset:1024
	s_and_saveexec_b32 s9, vcc_lo
	s_cbranch_execnz .LBB27_49
.LBB27_46:                              ;   in Loop: Header=BB27_42 Depth=1
	s_or_b32 exec_lo, exec_lo, s9
	global_load_dwordx4 v[17:20], v[17:18], off offset:1536
	s_and_saveexec_b32 s0, vcc_lo
	s_cbranch_execz .LBB27_40
	s_branch .LBB27_50
.LBB27_47:                              ;   in Loop: Header=BB27_42 Depth=1
	v_cmp_gt_i32_e64 s0, s27, v39
	s_waitcnt vmcnt(0)
	v_cndmask_b32_e64 v5, 0, v5, s0
	v_cmp_gt_i32_e64 s0, s27, v42
	v_cndmask_b32_e64 v6, 0, v6, s0
	v_cmp_gt_i32_e64 s0, s27, v41
	;; [unrolled: 2-line block ×3, first 2 shown]
	v_cndmask_b32_e64 v8, 0, v8, s0
	s_or_b32 exec_lo, exec_lo, s9
	global_load_dwordx4 v[9:12], v[17:18], off offset:512
	s_and_saveexec_b32 s9, vcc_lo
	s_cbranch_execz .LBB27_45
.LBB27_48:                              ;   in Loop: Header=BB27_42 Depth=1
	v_cmp_gt_i32_e64 s0, s27, v39
	s_waitcnt vmcnt(0)
	v_cndmask_b32_e64 v9, 0, v9, s0
	v_cmp_gt_i32_e64 s0, s27, v42
	v_cndmask_b32_e64 v10, 0, v10, s0
	v_cmp_gt_i32_e64 s0, s27, v41
	;; [unrolled: 2-line block ×3, first 2 shown]
	v_cndmask_b32_e64 v12, 0, v12, s0
	s_or_b32 exec_lo, exec_lo, s9
	global_load_dwordx4 v[13:16], v[17:18], off offset:1024
	s_and_saveexec_b32 s9, vcc_lo
	s_cbranch_execz .LBB27_46
.LBB27_49:                              ;   in Loop: Header=BB27_42 Depth=1
	v_cmp_gt_i32_e64 s0, s27, v39
	s_waitcnt vmcnt(0)
	v_cndmask_b32_e64 v13, 0, v13, s0
	v_cmp_gt_i32_e64 s0, s27, v42
	v_cndmask_b32_e64 v14, 0, v14, s0
	v_cmp_gt_i32_e64 s0, s27, v41
	;; [unrolled: 2-line block ×3, first 2 shown]
	v_cndmask_b32_e64 v16, 0, v16, s0
	s_or_b32 exec_lo, exec_lo, s9
	global_load_dwordx4 v[17:20], v[17:18], off offset:1536
	s_and_saveexec_b32 s0, vcc_lo
	s_cbranch_execz .LBB27_40
.LBB27_50:                              ;   in Loop: Header=BB27_42 Depth=1
	v_cmp_gt_i32_e32 vcc_lo, s27, v39
	s_waitcnt vmcnt(0)
	v_cndmask_b32_e32 v17, 0, v17, vcc_lo
	v_cmp_gt_i32_e32 vcc_lo, s27, v42
	v_cndmask_b32_e32 v18, 0, v18, vcc_lo
	v_cmp_gt_i32_e32 vcc_lo, s27, v41
	;; [unrolled: 2-line block ×3, first 2 shown]
	v_cndmask_b32_e32 v20, 0, v20, vcc_lo
	s_branch .LBB27_40
.LBB27_51:
	s_or_b32 exec_lo, exec_lo, s5
.LBB27_52:
	s_or_b32 exec_lo, exec_lo, s1
	ds_bpermute_b32 v1, v27, v34
	ds_bpermute_b32 v2, v27, v32
	;; [unrolled: 1-line block ×4, first 2 shown]
	v_and_b32_e32 v6, 28, v26
	v_lshrrev_b32_e32 v5, 2, v26
	v_and_b32_e32 v11, 0x3c3, v0
	s_mov_b32 s0, exec_lo
	s_waitcnt lgkmcnt(0)
	s_waitcnt_vscnt null, 0x0
	v_add_nc_u32_e32 v6, 0xa0, v6
	s_barrier
	buffer_gl0_inv
	v_add_f32_e32 v1, v34, v1
	v_add_f32_e32 v2, v32, v2
	;; [unrolled: 1-line block ×4, first 2 shown]
	ds_bpermute_b32 v7, v28, v1
	ds_bpermute_b32 v8, v28, v2
	;; [unrolled: 1-line block ×4, first 2 shown]
	s_waitcnt lgkmcnt(3)
	v_add_f32_e32 v1, v1, v7
	s_waitcnt lgkmcnt(2)
	v_add_f32_e32 v2, v2, v8
	;; [unrolled: 2-line block ×4, first 2 shown]
	v_cmpx_eq_u32_e32 64, v11
	s_cbranch_execz .LBB27_54
; %bb.53:
	v_lshl_add_u32 v7, v24, 7, v6
	v_add_nc_u32_e32 v8, 0xffffff00, v7
	v_add_nc_u32_e32 v9, 0xffffff20, v7
	;; [unrolled: 1-line block ×4, first 2 shown]
	ds_write_b32 v8, v1
	ds_write_b32 v9, v2
	;; [unrolled: 1-line block ×4, first 2 shown]
.LBB27_54:
	s_or_b32 exec_lo, exec_lo, s0
	v_and_b32_e32 v7, 0x3e0, v0
	v_lshlrev_b32_e32 v5, 2, v5
	s_mov_b32 s1, exec_lo
	v_cmp_eq_u32_e32 vcc_lo, 0, v29
	s_waitcnt lgkmcnt(0)
	v_lshlrev_b32_e32 v7, 2, v7
	s_barrier
	buffer_gl0_inv
	v_add3_u32 v5, 0xa0, v7, v5
	v_cmpx_gt_u32_e32 64, v0
	s_cbranch_execz .LBB27_61
; %bb.55:
	s_and_saveexec_b32 s0, vcc_lo
	s_cbranch_execnz .LBB27_73
; %bb.56:
	s_or_b32 exec_lo, exec_lo, s0
	s_and_saveexec_b32 s0, vcc_lo
	s_cbranch_execnz .LBB27_74
.LBB27_57:
	s_or_b32 exec_lo, exec_lo, s0
	s_and_saveexec_b32 s0, vcc_lo
	s_cbranch_execnz .LBB27_75
.LBB27_58:
	s_or_b32 exec_lo, exec_lo, s0
	s_and_saveexec_b32 s0, vcc_lo
	s_cbranch_execz .LBB27_60
.LBB27_59:
	ds_read_b32 v7, v5 offset:96
	s_waitcnt lgkmcnt(0)
	v_add_f32_e32 v4, v4, v7
.LBB27_60:
	s_or_b32 exec_lo, exec_lo, s0
.LBB27_61:
	s_or_b32 exec_lo, exec_lo, s1
	v_and_b32_e32 v7, 0x3e3, v0
	s_mov_b32 s1, exec_lo
	s_barrier
	buffer_gl0_inv
	v_cmpx_eq_u32_e32 32, v7
	s_cbranch_execz .LBB27_63
; %bb.62:
	ds_write2_b32 v6, v1, v2 offset1:8
	ds_write2_b32 v6, v3, v4 offset0:16 offset1:24
.LBB27_63:
	s_or_b32 exec_lo, exec_lo, s1
	s_mov_b32 s1, exec_lo
	s_waitcnt lgkmcnt(0)
	s_barrier
	buffer_gl0_inv
	v_cmpx_gt_u32_e32 32, v0
	s_cbranch_execz .LBB27_70
; %bb.64:
	s_and_saveexec_b32 s0, vcc_lo
	s_cbranch_execnz .LBB27_76
; %bb.65:
	s_or_b32 exec_lo, exec_lo, s0
	s_and_saveexec_b32 s0, vcc_lo
	s_cbranch_execnz .LBB27_77
.LBB27_66:
	s_or_b32 exec_lo, exec_lo, s0
	s_and_saveexec_b32 s0, vcc_lo
	s_cbranch_execnz .LBB27_78
.LBB27_67:
	s_or_b32 exec_lo, exec_lo, s0
	s_and_saveexec_b32 s0, vcc_lo
	s_cbranch_execz .LBB27_69
.LBB27_68:
	ds_read_b32 v5, v5 offset:96
	s_waitcnt lgkmcnt(0)
	v_add_f32_e32 v4, v4, v5
.LBB27_69:
	s_or_b32 exec_lo, exec_lo, s0
.LBB27_70:
	s_or_b32 exec_lo, exec_lo, s1
	s_barrier
	buffer_gl0_inv
	s_mov_b32 s0, exec_lo
	v_cmpx_eq_u32_e32 0, v7
	s_cbranch_execz .LBB27_72
; %bb.71:
	s_lshl_b32 s0, s2, 5
	s_mul_i32 s2, s7, s10
	s_ashr_i32 s1, s0, 31
	s_lshl_b64 s[0:1], s[0:1], 2
	s_add_u32 s4, s24, s0
	s_addc_u32 s5, s25, s1
	s_ashr_i32 s3, s2, 31
	s_lshl_b64 s[0:1], s[2:3], 2
	s_add_u32 s2, s4, s0
	s_addc_u32 s3, s5, s1
	;; [unrolled: 4-line block ×3, first 2 shown]
	global_store_dword v0, v1, s[0:1]
	global_store_dword v0, v2, s[0:1] offset:32
	global_store_dword v0, v3, s[0:1] offset:64
	;; [unrolled: 1-line block ×3, first 2 shown]
.LBB27_72:
	s_endpgm
.LBB27_73:
	ds_read_b32 v7, v5
	s_waitcnt lgkmcnt(0)
	v_add_f32_e32 v1, v1, v7
	s_or_b32 exec_lo, exec_lo, s0
	s_and_saveexec_b32 s0, vcc_lo
	s_cbranch_execz .LBB27_57
.LBB27_74:
	ds_read_b32 v7, v5 offset:32
	s_waitcnt lgkmcnt(0)
	v_add_f32_e32 v2, v2, v7
	s_or_b32 exec_lo, exec_lo, s0
	s_and_saveexec_b32 s0, vcc_lo
	s_cbranch_execz .LBB27_58
.LBB27_75:
	ds_read_b32 v7, v5 offset:64
	s_waitcnt lgkmcnt(0)
	v_add_f32_e32 v3, v3, v7
	s_or_b32 exec_lo, exec_lo, s0
	s_and_saveexec_b32 s0, vcc_lo
	s_cbranch_execnz .LBB27_59
	s_branch .LBB27_60
.LBB27_76:
	ds_read_b32 v6, v5
	s_waitcnt lgkmcnt(0)
	v_add_f32_e32 v1, v1, v6
	s_or_b32 exec_lo, exec_lo, s0
	s_and_saveexec_b32 s0, vcc_lo
	s_cbranch_execz .LBB27_66
.LBB27_77:
	ds_read_b32 v6, v5 offset:32
	s_waitcnt lgkmcnt(0)
	v_add_f32_e32 v2, v2, v6
	s_or_b32 exec_lo, exec_lo, s0
	s_and_saveexec_b32 s0, vcc_lo
	s_cbranch_execz .LBB27_67
.LBB27_78:
	ds_read_b32 v6, v5 offset:64
	s_waitcnt lgkmcnt(0)
	v_add_f32_e32 v3, v3, v6
	s_or_b32 exec_lo, exec_lo, s0
	s_and_saveexec_b32 s0, vcc_lo
	s_cbranch_execnz .LBB27_68
	s_branch .LBB27_69
	.section	.rodata,"a",@progbits
	.p2align	6, 0x0
	.amdhsa_kernel _ZN4vllm25paged_attention_v2_kernelIffLi32ELi16ELi128ELNS_18Fp8KVCacheDataTypeE0ELb1ELi512EEEvPfS2_PT_PKS3_PKT0_S9_ifPKiSB_iPKfiiiSD_SD_iiiii
		.amdhsa_group_segment_fixed_size 160
		.amdhsa_private_segment_fixed_size 0
		.amdhsa_kernarg_size 400
		.amdhsa_user_sgpr_count 6
		.amdhsa_user_sgpr_private_segment_buffer 1
		.amdhsa_user_sgpr_dispatch_ptr 0
		.amdhsa_user_sgpr_queue_ptr 0
		.amdhsa_user_sgpr_kernarg_segment_ptr 1
		.amdhsa_user_sgpr_dispatch_id 0
		.amdhsa_user_sgpr_flat_scratch_init 0
		.amdhsa_user_sgpr_private_segment_size 0
		.amdhsa_wavefront_size32 1
		.amdhsa_uses_dynamic_stack 0
		.amdhsa_system_sgpr_private_segment_wavefront_offset 0
		.amdhsa_system_sgpr_workgroup_id_x 1
		.amdhsa_system_sgpr_workgroup_id_y 1
		.amdhsa_system_sgpr_workgroup_id_z 1
		.amdhsa_system_sgpr_workgroup_info 0
		.amdhsa_system_vgpr_workitem_id 0
		.amdhsa_next_free_vgpr 50
		.amdhsa_next_free_sgpr 46
		.amdhsa_reserve_vcc 1
		.amdhsa_reserve_flat_scratch 0
		.amdhsa_float_round_mode_32 0
		.amdhsa_float_round_mode_16_64 0
		.amdhsa_float_denorm_mode_32 3
		.amdhsa_float_denorm_mode_16_64 3
		.amdhsa_dx10_clamp 1
		.amdhsa_ieee_mode 1
		.amdhsa_fp16_overflow 0
		.amdhsa_workgroup_processor_mode 1
		.amdhsa_memory_ordered 1
		.amdhsa_forward_progress 1
		.amdhsa_shared_vgpr_count 0
		.amdhsa_exception_fp_ieee_invalid_op 0
		.amdhsa_exception_fp_denorm_src 0
		.amdhsa_exception_fp_ieee_div_zero 0
		.amdhsa_exception_fp_ieee_overflow 0
		.amdhsa_exception_fp_ieee_underflow 0
		.amdhsa_exception_fp_ieee_inexact 0
		.amdhsa_exception_int_div_zero 0
	.end_amdhsa_kernel
	.section	.text._ZN4vllm25paged_attention_v2_kernelIffLi32ELi16ELi128ELNS_18Fp8KVCacheDataTypeE0ELb1ELi512EEEvPfS2_PT_PKS3_PKT0_S9_ifPKiSB_iPKfiiiSD_SD_iiiii,"axG",@progbits,_ZN4vllm25paged_attention_v2_kernelIffLi32ELi16ELi128ELNS_18Fp8KVCacheDataTypeE0ELb1ELi512EEEvPfS2_PT_PKS3_PKT0_S9_ifPKiSB_iPKfiiiSD_SD_iiiii,comdat
.Lfunc_end27:
	.size	_ZN4vllm25paged_attention_v2_kernelIffLi32ELi16ELi128ELNS_18Fp8KVCacheDataTypeE0ELb1ELi512EEEvPfS2_PT_PKS3_PKT0_S9_ifPKiSB_iPKfiiiSD_SD_iiiii, .Lfunc_end27-_ZN4vllm25paged_attention_v2_kernelIffLi32ELi16ELi128ELNS_18Fp8KVCacheDataTypeE0ELb1ELi512EEEvPfS2_PT_PKS3_PKT0_S9_ifPKiSB_iPKfiiiSD_SD_iiiii
                                        ; -- End function
	.set _ZN4vllm25paged_attention_v2_kernelIffLi32ELi16ELi128ELNS_18Fp8KVCacheDataTypeE0ELb1ELi512EEEvPfS2_PT_PKS3_PKT0_S9_ifPKiSB_iPKfiiiSD_SD_iiiii.num_vgpr, 50
	.set _ZN4vllm25paged_attention_v2_kernelIffLi32ELi16ELi128ELNS_18Fp8KVCacheDataTypeE0ELb1ELi512EEEvPfS2_PT_PKS3_PKT0_S9_ifPKiSB_iPKfiiiSD_SD_iiiii.num_agpr, 0
	.set _ZN4vllm25paged_attention_v2_kernelIffLi32ELi16ELi128ELNS_18Fp8KVCacheDataTypeE0ELb1ELi512EEEvPfS2_PT_PKS3_PKT0_S9_ifPKiSB_iPKfiiiSD_SD_iiiii.numbered_sgpr, 46
	.set _ZN4vllm25paged_attention_v2_kernelIffLi32ELi16ELi128ELNS_18Fp8KVCacheDataTypeE0ELb1ELi512EEEvPfS2_PT_PKS3_PKT0_S9_ifPKiSB_iPKfiiiSD_SD_iiiii.num_named_barrier, 0
	.set _ZN4vllm25paged_attention_v2_kernelIffLi32ELi16ELi128ELNS_18Fp8KVCacheDataTypeE0ELb1ELi512EEEvPfS2_PT_PKS3_PKT0_S9_ifPKiSB_iPKfiiiSD_SD_iiiii.private_seg_size, 0
	.set _ZN4vllm25paged_attention_v2_kernelIffLi32ELi16ELi128ELNS_18Fp8KVCacheDataTypeE0ELb1ELi512EEEvPfS2_PT_PKS3_PKT0_S9_ifPKiSB_iPKfiiiSD_SD_iiiii.uses_vcc, 1
	.set _ZN4vllm25paged_attention_v2_kernelIffLi32ELi16ELi128ELNS_18Fp8KVCacheDataTypeE0ELb1ELi512EEEvPfS2_PT_PKS3_PKT0_S9_ifPKiSB_iPKfiiiSD_SD_iiiii.uses_flat_scratch, 0
	.set _ZN4vllm25paged_attention_v2_kernelIffLi32ELi16ELi128ELNS_18Fp8KVCacheDataTypeE0ELb1ELi512EEEvPfS2_PT_PKS3_PKT0_S9_ifPKiSB_iPKfiiiSD_SD_iiiii.has_dyn_sized_stack, 0
	.set _ZN4vllm25paged_attention_v2_kernelIffLi32ELi16ELi128ELNS_18Fp8KVCacheDataTypeE0ELb1ELi512EEEvPfS2_PT_PKS3_PKT0_S9_ifPKiSB_iPKfiiiSD_SD_iiiii.has_recursion, 0
	.set _ZN4vllm25paged_attention_v2_kernelIffLi32ELi16ELi128ELNS_18Fp8KVCacheDataTypeE0ELb1ELi512EEEvPfS2_PT_PKS3_PKT0_S9_ifPKiSB_iPKfiiiSD_SD_iiiii.has_indirect_call, 0
	.section	.AMDGPU.csdata,"",@progbits
; Kernel info:
; codeLenInByte = 4536
; TotalNumSgprs: 48
; NumVgprs: 50
; ScratchSize: 0
; MemoryBound: 0
; FloatMode: 240
; IeeeMode: 1
; LDSByteSize: 160 bytes/workgroup (compile time only)
; SGPRBlocks: 0
; VGPRBlocks: 6
; NumSGPRsForWavesPerEU: 48
; NumVGPRsForWavesPerEU: 50
; Occupancy: 16
; WaveLimiterHint : 1
; COMPUTE_PGM_RSRC2:SCRATCH_EN: 0
; COMPUTE_PGM_RSRC2:USER_SGPR: 6
; COMPUTE_PGM_RSRC2:TRAP_HANDLER: 0
; COMPUTE_PGM_RSRC2:TGID_X_EN: 1
; COMPUTE_PGM_RSRC2:TGID_Y_EN: 1
; COMPUTE_PGM_RSRC2:TGID_Z_EN: 1
; COMPUTE_PGM_RSRC2:TIDIG_COMP_CNT: 0
	.section	.text._ZN4vllm25paged_attention_v2_kernelIffLi64ELi16ELi128ELNS_18Fp8KVCacheDataTypeE0ELb1ELi512EEEvPfS2_PT_PKS3_PKT0_S9_ifPKiSB_iPKfiiiSD_SD_iiiii,"axG",@progbits,_ZN4vllm25paged_attention_v2_kernelIffLi64ELi16ELi128ELNS_18Fp8KVCacheDataTypeE0ELb1ELi512EEEvPfS2_PT_PKS3_PKT0_S9_ifPKiSB_iPKfiiiSD_SD_iiiii,comdat
	.protected	_ZN4vllm25paged_attention_v2_kernelIffLi64ELi16ELi128ELNS_18Fp8KVCacheDataTypeE0ELb1ELi512EEEvPfS2_PT_PKS3_PKT0_S9_ifPKiSB_iPKfiiiSD_SD_iiiii ; -- Begin function _ZN4vllm25paged_attention_v2_kernelIffLi64ELi16ELi128ELNS_18Fp8KVCacheDataTypeE0ELb1ELi512EEEvPfS2_PT_PKS3_PKT0_S9_ifPKiSB_iPKfiiiSD_SD_iiiii
	.globl	_ZN4vllm25paged_attention_v2_kernelIffLi64ELi16ELi128ELNS_18Fp8KVCacheDataTypeE0ELb1ELi512EEEvPfS2_PT_PKS3_PKT0_S9_ifPKiSB_iPKfiiiSD_SD_iiiii
	.p2align	8
	.type	_ZN4vllm25paged_attention_v2_kernelIffLi64ELi16ELi128ELNS_18Fp8KVCacheDataTypeE0ELb1ELi512EEEvPfS2_PT_PKS3_PKT0_S9_ifPKiSB_iPKfiiiSD_SD_iiiii,@function
_ZN4vllm25paged_attention_v2_kernelIffLi64ELi16ELi128ELNS_18Fp8KVCacheDataTypeE0ELb1ELi512EEEvPfS2_PT_PKS3_PKT0_S9_ifPKiSB_iPKfiiiSD_SD_iiiii: ; @_ZN4vllm25paged_attention_v2_kernelIffLi64ELi16ELi128ELNS_18Fp8KVCacheDataTypeE0ELb1ELi512EEEvPfS2_PT_PKS3_PKT0_S9_ifPKiSB_iPKfiiiSD_SD_iiiii
; %bb.0:
	s_load_dwordx2 s[0:1], s[4:5], 0x40
	s_mov_b32 s26, s7
	s_ashr_i32 s27, s7, 31
	s_lshl_b64 s[2:3], s[26:27], 2
	s_waitcnt lgkmcnt(0)
	s_add_u32 s0, s0, s2
	s_addc_u32 s1, s1, s3
	s_lshl_b32 s38, s8, 9
	s_load_dword s27, s[0:1], 0x0
	s_waitcnt lgkmcnt(0)
	s_cmp_ge_i32 s38, s27
	s_cbranch_scc1 .LBB28_88
; %bb.1:
	s_clause 0x1
	s_load_dword s9, s[4:5], 0x90
	s_load_dwordx2 s[36:37], s[4:5], 0x30
	s_mov_b32 s40, 0
	s_waitcnt lgkmcnt(0)
	s_abs_i32 s3, s9
	s_abs_i32 s0, s36
	v_cvt_f32_u32_e32 v1, s0
	s_sub_i32 s2, 0, s0
	v_rcp_iflag_f32_e32 v1, v1
	v_mul_f32_e32 v1, 0x4f7ffffe, v1
	v_cvt_u32_f32_e32 v1, v1
	v_readfirstlane_b32 s1, v1
	s_mul_i32 s2, s2, s1
	s_mul_hi_u32 s2, s1, s2
	s_add_i32 s1, s1, s2
	s_xor_b32 s2, s9, s36
	s_mul_hi_u32 s1, s3, s1
	s_ashr_i32 s2, s2, 31
	s_mul_i32 s7, s1, s0
	s_sub_i32 s3, s3, s7
	s_add_i32 s7, s1, 1
	s_sub_i32 s10, s3, s0
	s_cmp_ge_u32 s3, s0
	s_cselect_b32 s1, s7, s1
	s_cselect_b32 s3, s10, s3
	s_add_i32 s7, s1, 1
	s_cmp_ge_u32 s3, s0
	s_cselect_b32 s0, s7, s1
	s_xor_b32 s0, s0, s2
	s_sub_i32 s10, s0, s2
	s_load_dwordx2 s[0:1], s[4:5], 0x50
	s_abs_i32 s2, s10
	v_cvt_f32_u32_e32 v1, s2
	s_sub_i32 s3, 0, s2
	v_rcp_iflag_f32_e32 v1, v1
	v_mul_f32_e32 v1, 0x4f7ffffe, v1
	v_cvt_u32_f32_e32 v1, v1
	v_readfirstlane_b32 s7, v1
	s_mul_i32 s3, s3, s7
	s_mul_hi_u32 s11, s7, s3
	s_abs_i32 s3, s6
	s_add_i32 s7, s7, s11
	s_waitcnt lgkmcnt(0)
	s_cmp_eq_u64 s[0:1], 0
	s_mul_hi_u32 s20, s3, s7
	s_cbranch_scc1 .LBB28_3
; %bb.2:
	s_ashr_i32 s7, s6, 31
	s_lshl_b64 s[12:13], s[6:7], 2
	s_add_u32 s0, s0, s12
	s_addc_u32 s1, s1, s13
	s_load_dword s40, s[0:1], 0x0
.LBB28_3:
	s_load_dwordx4 s[12:15], s[4:5], 0x58
	v_and_b32_e32 v1, 1, v0
	v_cmp_gt_u32_e64 s0, 32, v0
	v_lshlrev_b32_e32 v2, 3, v0
	v_lshlrev_b32_e32 v3, 2, v0
	s_ashr_i32 s1, s6, 31
	s_ashr_i32 s7, s10, 31
	s_lshl_b32 s10, s6, 6
	s_waitcnt lgkmcnt(0)
	s_and_saveexec_b32 s15, s0
	s_cbranch_execz .LBB28_5
; %bb.4:
	s_load_dwordx2 s[16:17], s[4:5], 0x18
	s_mul_i32 s18, s12, s26
	v_and_b32_e32 v6, 0xff8, v3
	s_ashr_i32 s19, s18, 31
	s_lshl_b64 s[18:19], s[18:19], 2
	v_lshl_add_u32 v6, v1, 7, v6
	s_waitcnt lgkmcnt(0)
	s_add_u32 s12, s16, s18
	s_addc_u32 s18, s17, s19
	s_ashr_i32 s11, s10, 31
	s_lshl_b64 s[16:17], s[10:11], 2
	s_add_u32 s16, s12, s16
	s_addc_u32 s17, s18, s17
	global_load_dwordx2 v[4:5], v2, s[16:17]
	s_waitcnt vmcnt(0)
	ds_write_b64 v6, v[4:5]
.LBB28_5:
	s_or_b32 exec_lo, exec_lo, s15
	s_load_dwordx4 s[16:19], s[4:5], 0x78
	s_mul_i32 s11, s20, s2
	s_xor_b32 s1, s1, s7
	s_sub_i32 s3, s3, s11
	s_add_i32 s7, s20, 1
	s_sub_i32 s11, s3, s2
	s_cmp_ge_u32 s3, s2
                                        ; implicit-def: $sgpr33
	s_cselect_b32 s7, s7, s20
	s_cselect_b32 s3, s11, s3
	s_add_i32 s11, s7, 1
	s_cmp_ge_u32 s3, s2
	s_mov_b32 s20, -1
	s_cselect_b32 s2, s11, s7
	s_load_dword s7, s[4:5], 0x88
	s_xor_b32 s2, s2, s1
	s_add_i32 s15, s27, -1
	s_sub_i32 s2, s2, s1
	s_abs_i32 s3, s15
	s_waitcnt lgkmcnt(0)
	s_abs_i32 s11, s19
	s_barrier
	v_cvt_f32_u32_e32 v4, s11
	s_sub_i32 s1, 0, s11
	buffer_gl0_inv
	v_rcp_iflag_f32_e32 v4, v4
	v_mul_f32_e32 v4, 0x4f7ffffe, v4
	v_cvt_u32_f32_e32 v4, v4
	v_readfirstlane_b32 s12, v4
	s_mul_i32 s1, s1, s12
	s_mul_hi_u32 s1, s12, s1
	s_add_i32 s12, s12, s1
	s_cmp_lt_i32 s7, 0
	s_mul_hi_u32 s1, s3, s12
	s_cbranch_scc0 .LBB28_7
; %bb.6:
	s_mul_i32 s20, s16, s36
	s_add_i32 s20, s2, s20
	s_mul_i32 s20, s20, s7
	s_sub_i32 s33, 1, s20
	s_mov_b32 s20, 0
.LBB28_7:
	s_load_dwordx2 s[28:29], s[4:5], 0x38
	s_ashr_i32 s15, s15, 31
	s_andn2_b32 vcc_lo, exec_lo, s20
	s_ashr_i32 s19, s19, 31
	s_cbranch_vccnz .LBB28_9
; %bb.8:
	s_mul_i32 s16, s9, s16
	s_add_i32 s16, s16, s6
	s_mul_i32 s7, s16, s7
	s_add_i32 s33, s7, 1
.LBB28_9:
	s_clause 0x4
	s_load_dword s16, s[4:5], 0x48
	s_load_dwordx2 s[34:35], s[4:5], 0x28
	s_load_dword s7, s[4:5], 0x98
	s_load_dwordx4 s[20:23], s[4:5], 0x0
	s_load_dwordx2 s[24:25], s[4:5], 0x10
	s_mul_i32 s30, s1, s11
	s_xor_b32 s15, s15, s19
	s_sub_i32 s3, s3, s30
	s_add_i32 s36, s1, 1
	v_lshrrev_b32_e32 v40, 5, v0
	v_mov_b32_e32 v5, 0xff7fffff
	v_mbcnt_lo_u32_b32 v4, -1, 0
	s_mul_i32 s14, s2, s14
	v_lshl_add_u32 v41, v40, 4, s38
	s_waitcnt lgkmcnt(0)
	s_mul_i32 s30, s16, s26
	s_sub_i32 s16, s3, s11
	s_ashr_i32 s31, s30, 31
	s_cmp_ge_u32 s3, s11
	s_cselect_b32 s1, s36, s1
	s_cselect_b32 s3, s16, s3
	s_add_i32 s16, s1, 1
	s_cmp_ge_u32 s3, s11
	s_cselect_b32 s1, s16, s1
	s_add_i32 s3, s27, 15
	s_lshl_b32 s41, s8, 5
	s_ashr_i32 s16, s3, 31
	v_or_b32_e32 v37, s41, v40
	s_lshr_b32 s16, s16, 28
	s_add_i32 s3, s3, s16
	s_add_i32 s16, s41, 32
	s_ashr_i32 s36, s3, 4
	s_xor_b32 s3, s1, s15
	s_min_i32 s16, s16, s36
	v_ashrrev_i32_e32 v38, 31, v37
	v_cmp_gt_i32_e64 s1, s16, v37
	s_sub_i32 s39, s3, s15
	s_and_saveexec_b32 s42, s1
	s_cbranch_execz .LBB28_21
; %bb.10:
	s_load_dwordx2 s[2:3], s[4:5], 0x20
	s_ashr_i32 s15, s14, 31
	s_sub_i32 s5, s39, s17
	s_lshl_b64 s[44:45], s[14:15], 2
	v_bfe_u32 v6, v0, 1, 4
	v_cmp_eq_u32_e32 vcc_lo, 0, v1
	v_and_b32_e32 v13, 8, v2
	v_lshlrev_b32_e32 v7, 7, v1
	v_lshlrev_b64 v[1:2], 2, v[37:38]
	v_lshlrev_b32_e32 v11, 2, v6
	v_subrev_nc_u32_e32 v14, s27, v6
	v_lshlrev_b32_e32 v17, 4, v6
	v_lshl_add_u32 v8, v40, 4, s38
	v_mov_b32_e32 v9, 0xff7fffff
	v_lshl_or_b32 v15, v40, 6, v11
	v_add_nc_u32_e32 v11, 1, v14
	v_xor_b32_e32 v10, 1, v4
	s_waitcnt lgkmcnt(0)
	s_add_u32 s4, s2, s44
	s_addc_u32 s3, s3, s45
	s_abs_i32 s15, s18
	s_lshl_b64 s[44:45], s[30:31], 2
	v_cvt_f32_u32_e32 v5, s15
	s_sub_i32 s43, 0, s15
	v_cmp_neq_f32_e64 s2, s40, 0
	v_rcp_iflag_f32_e32 v5, v5
	v_mul_f32_e32 v12, 0x4f7ffffe, v5
	v_mov_b32_e32 v5, 0xff7fffff
	v_cvt_u32_f32_e32 v16, v12
	v_add_nc_u32_e32 v12, 0x120, v15
	v_add_co_u32 v15, s4, s4, v17
	v_add_co_ci_u32_e64 v17, null, s3, 0, s4
	v_mul_lo_u32 v14, s43, v16
	s_add_u32 s3, s28, s44
	s_addc_u32 s4, s29, s45
	v_add_co_u32 v1, s3, s3, v1
	v_add_co_ci_u32_e64 v2, null, s4, v2, s3
	v_add_co_u32 v13, s3, v15, v13
	v_mul_hi_u32 v18, v16, v14
	v_add_co_ci_u32_e64 v14, null, 0, v17, s3
	s_mov_b32 s43, 0
	s_mov_b32 s44, s13
	v_add_nc_u32_e32 v15, v16, v18
	v_mov_b32_e32 v16, v37
	s_branch .LBB28_13
.LBB28_11:                              ;   in Loop: Header=BB28_13 Depth=1
	s_or_b32 exec_lo, exec_lo, s45
.LBB28_12:                              ;   in Loop: Header=BB28_13 Depth=1
	s_or_b32 exec_lo, exec_lo, s4
	v_add_nc_u32_e32 v16, 4, v16
	v_add_co_u32 v1, s4, v1, 16
	v_add_co_ci_u32_e64 v2, null, 0, v2, s4
	v_cmp_le_i32_e64 s3, s16, v16
	v_add_nc_u32_e32 v8, 64, v8
	v_add_nc_u32_e32 v12, 0x100, v12
	s_or_b32 s43, s3, s43
	s_andn2_b32 exec_lo, exec_lo, s43
	s_cbranch_execz .LBB28_20
.LBB28_13:                              ; =>This Inner Loop Header: Depth=1
	v_sub_nc_u32_e32 v17, 0, v8
	v_max_i32_e32 v17, v8, v17
	s_waitcnt lgkmcnt(0)
	v_mul_hi_u32 v18, v17, s12
	v_mul_lo_u32 v19, v18, s11
	v_sub_nc_u32_e32 v17, v17, v19
	v_add_nc_u32_e32 v19, 1, v18
	v_subrev_nc_u32_e32 v20, s11, v17
	v_cmp_le_u32_e64 s3, s11, v17
	v_cndmask_b32_e64 v18, v18, v19, s3
	v_cndmask_b32_e64 v17, v17, v20, s3
	v_ashrrev_i32_e32 v19, 31, v8
	v_add_nc_u32_e32 v20, 1, v18
	v_cmp_le_u32_e64 s3, s11, v17
	v_xor_b32_e32 v19, s19, v19
	v_cndmask_b32_e64 v17, v18, v20, s3
	v_xor_b32_e32 v17, v17, v19
	v_sub_nc_u32_e32 v17, v17, v19
	v_add_nc_u32_e32 v18, s33, v17
	v_cmp_ge_i32_e64 s4, s5, v17
	v_sub_nc_u32_e32 v19, 0, v18
	v_max_i32_e32 v19, v18, v19
	v_ashrrev_i32_e32 v18, 31, v18
	v_mul_hi_u32 v20, v19, v15
	v_mul_lo_u32 v20, v20, s15
	v_sub_nc_u32_e32 v19, v19, v20
	v_subrev_nc_u32_e32 v20, s15, v19
	v_cmp_le_u32_e64 s3, s15, v19
	v_cndmask_b32_e64 v19, v19, v20, s3
	v_subrev_nc_u32_e32 v20, s15, v19
	v_cmp_le_u32_e64 s3, s15, v19
	v_cndmask_b32_e64 v19, v19, v20, s3
	v_xor_b32_e32 v19, v19, v18
	v_sub_nc_u32_e32 v18, v19, v18
	v_cmp_ne_u32_e64 s3, 0, v18
	s_and_b32 s3, s3, s4
	s_and_saveexec_b32 s4, s3
	s_xor_b32 s3, exec_lo, s4
	s_cbranch_execz .LBB28_17
; %bb.14:                               ;   in Loop: Header=BB28_13 Depth=1
	s_and_saveexec_b32 s4, vcc_lo
; %bb.15:                               ;   in Loop: Header=BB28_13 Depth=1
	ds_write_b32 v12, v9
; %bb.16:                               ;   in Loop: Header=BB28_13 Depth=1
	s_or_b32 exec_lo, exec_lo, s4
.LBB28_17:                              ;   in Loop: Header=BB28_13 Depth=1
	s_andn2_saveexec_b32 s4, s3
	s_cbranch_execz .LBB28_12
; %bb.18:                               ;   in Loop: Header=BB28_13 Depth=1
	global_load_dword v17, v[1:2], off
	s_waitcnt vmcnt(0)
	v_mad_i64_i32 v[17:18], null, v17, s44, 0
	v_lshlrev_b64 v[17:18], 2, v[17:18]
	v_add_co_u32 v17, s3, v13, v17
	v_add_co_ci_u32_e64 v18, null, v14, v18, s3
	s_clause 0x7
	global_load_dwordx2 v[29:30], v[17:18], off offset:256
	global_load_dwordx2 v[31:32], v[17:18], off
	global_load_dwordx2 v[33:34], v[17:18], off offset:512
	global_load_dwordx2 v[35:36], v[17:18], off offset:768
	;; [unrolled: 1-line block ×6, first 2 shown]
	v_add_co_u32 v17, s3, 0x800, v17
	v_add_co_ci_u32_e64 v18, null, 0, v18, s3
	v_cmp_gt_i32_e64 s3, 32, v10
	s_clause 0x7
	global_load_dwordx2 v[50:51], v[17:18], off
	global_load_dwordx2 v[52:53], v[17:18], off offset:256
	global_load_dwordx2 v[54:55], v[17:18], off offset:512
	;; [unrolled: 1-line block ×7, first 2 shown]
	ds_read_b128 v[17:20], v7
	ds_read_b128 v[21:24], v7 offset:16
	ds_read_b128 v[25:28], v7 offset:32
	s_waitcnt vmcnt(15) lgkmcnt(2)
	v_mul_f32_e32 v29, v19, v29
	v_mul_f32_e32 v30, v20, v30
	s_waitcnt vmcnt(14)
	v_fmac_f32_e32 v29, v17, v31
	v_fmac_f32_e32 v30, v18, v32
	ds_read_b128 v[17:20], v7 offset:48
	s_waitcnt vmcnt(13) lgkmcnt(2)
	v_fmac_f32_e32 v29, v21, v33
	v_fmac_f32_e32 v30, v22, v34
	s_waitcnt vmcnt(12)
	v_fmac_f32_e32 v29, v23, v35
	v_fmac_f32_e32 v30, v24, v36
	ds_read_b128 v[21:24], v7 offset:64
	s_waitcnt vmcnt(11) lgkmcnt(2)
	v_fmac_f32_e32 v29, v25, v42
	v_fmac_f32_e32 v30, v26, v43
	;; [unrolled: 7-line block ×5, first 2 shown]
	s_waitcnt vmcnt(4)
	v_fmac_f32_e32 v29, v27, v56
	v_fmac_f32_e32 v30, v28, v57
	s_waitcnt vmcnt(3) lgkmcnt(1)
	v_fmac_f32_e32 v29, v17, v58
	v_fmac_f32_e32 v30, v18, v59
	v_cndmask_b32_e64 v17, v4, v10, s3
	s_waitcnt vmcnt(2)
	v_fmac_f32_e32 v29, v19, v60
	v_fmac_f32_e32 v30, v20, v61
	v_lshlrev_b32_e32 v18, 2, v17
	s_waitcnt vmcnt(1) lgkmcnt(0)
	v_fmac_f32_e32 v29, v21, v62
	v_fmac_f32_e32 v30, v22, v63
	s_waitcnt vmcnt(0)
	v_fmac_f32_e32 v29, v23, v64
	v_fmac_f32_e32 v30, v24, v65
	v_add_f32_e32 v17, v29, v30
	ds_bpermute_b32 v18, v18, v17
	s_and_saveexec_b32 s45, vcc_lo
	s_cbranch_execz .LBB28_11
; %bb.19:                               ;   in Loop: Header=BB28_13 Depth=1
	v_add_nc_u32_e32 v19, v11, v8
	s_waitcnt lgkmcnt(0)
	v_add_f32_e32 v17, v17, v18
	v_cvt_f32_i32_e32 v19, v19
	v_mul_f32_e32 v19, s40, v19
	v_cndmask_b32_e64 v18, 0, v19, s2
	v_max_f32_e32 v19, v5, v5
	v_fmac_f32_e32 v18, s37, v17
	v_add_nc_u32_e32 v17, v6, v8
	v_max_f32_e32 v19, v19, v18
	v_cmp_gt_i32_e64 s3, s27, v17
	v_cndmask_b32_e64 v17, 0, v18, s3
	v_cndmask_b32_e64 v5, v5, v19, s3
	ds_write_b32 v12, v17
	s_branch .LBB28_11
.LBB28_20:
	s_or_b32 exec_lo, exec_lo, s43
.LBB28_21:
	s_or_b32 exec_lo, exec_lo, s42
	v_xor_b32_e32 v1, 16, v4
	v_xor_b32_e32 v6, 8, v4
	v_max_f32_e32 v7, v5, v5
	v_and_b32_e32 v42, 31, v0
	v_cmp_gt_i32_e32 vcc_lo, 32, v1
	v_cndmask_b32_e32 v1, v4, v1, vcc_lo
	v_cmp_gt_i32_e32 vcc_lo, 32, v6
	v_lshlrev_b32_e32 v2, 2, v1
	ds_bpermute_b32 v1, v2, v5
	v_cndmask_b32_e32 v5, v4, v6, vcc_lo
	v_lshlrev_b32_e32 v5, 2, v5
	s_waitcnt lgkmcnt(0)
	v_max_f32_e32 v1, v1, v1
	v_max_f32_e32 v1, v7, v1
	v_xor_b32_e32 v7, 4, v4
	ds_bpermute_b32 v6, v5, v1
	v_cmp_gt_i32_e32 vcc_lo, 32, v7
	v_cndmask_b32_e32 v7, v4, v7, vcc_lo
	s_waitcnt lgkmcnt(0)
	v_max_f32_e32 v8, v6, v6
	v_lshlrev_b32_e32 v6, 2, v7
	v_max_f32_e32 v1, v1, v8
	v_xor_b32_e32 v8, 2, v4
	ds_bpermute_b32 v7, v6, v1
	v_cmp_gt_i32_e32 vcc_lo, 32, v8
	v_cndmask_b32_e32 v8, v4, v8, vcc_lo
	v_cmp_eq_u32_e32 vcc_lo, 0, v42
	v_lshlrev_b32_e32 v43, 2, v8
	s_waitcnt lgkmcnt(0)
	v_max_f32_e32 v7, v7, v7
	v_max_f32_e32 v1, v1, v7
	v_lshlrev_b32_e32 v7, 2, v40
	ds_bpermute_b32 v8, v43, v1
	s_and_saveexec_b32 s2, vcc_lo
	s_cbranch_execz .LBB28_23
; %bb.22:
	s_waitcnt lgkmcnt(0)
	v_max_f32_e32 v8, v8, v8
	v_max_f32_e32 v1, v1, v1
	;; [unrolled: 1-line block ×3, first 2 shown]
	ds_write_b32 v7, v1 offset:256
.LBB28_23:
	s_or_b32 exec_lo, exec_lo, s2
	v_cmp_gt_u32_e64 s2, 4, v42
	v_mov_b32_e32 v1, 0xff7fffff
	s_waitcnt lgkmcnt(0)
	v_lshlrev_b32_e32 v8, 2, v42
	s_barrier
	buffer_gl0_inv
	s_and_saveexec_b32 s3, s2
; %bb.24:
	ds_read_b32 v1, v8 offset:256
; %bb.25:
	s_or_b32 exec_lo, exec_lo, s3
	s_waitcnt lgkmcnt(0)
	ds_bpermute_b32 v9, v43, v1
	v_xor_b32_e32 v10, 1, v4
	v_max_f32_e32 v1, v1, v1
	v_cmp_gt_i32_e64 s3, 32, v10
	v_cndmask_b32_e64 v4, v4, v10, s3
	s_sub_i32 s3, s16, s41
	s_lshl_b32 s3, s3, 4
	v_lshlrev_b32_e32 v44, 2, v4
	s_add_i32 s3, s3, s38
	s_min_i32 s3, s3, s27
	s_waitcnt lgkmcnt(0)
	v_max_f32_e32 v9, v9, v9
	s_sub_i32 s5, s3, s38
	v_cmp_gt_i32_e64 s3, s5, v0
	v_max_f32_e32 v1, v1, v9
	v_mov_b32_e32 v9, 0
	ds_bpermute_b32 v4, v44, v1
	s_waitcnt lgkmcnt(0)
	v_max_f32_e32 v4, v4, v4
	v_max_f32_e32 v1, v1, v4
	v_lshl_add_u32 v4, v0, 2, 0x120
	ds_bpermute_b32 v1, v9, v1
	s_and_saveexec_b32 s15, s3
	s_cbranch_execz .LBB28_29
; %bb.26:
	v_lshl_add_u32 v10, v0, 2, 0x120
	v_mov_b32_e32 v9, 0
	v_mov_b32_e32 v11, v0
	s_mov_b32 s37, 0
	.p2align	6
.LBB28_27:                              ; =>This Inner Loop Header: Depth=1
	ds_read_b32 v12, v10
	v_add_nc_u32_e32 v11, 0x80, v11
	v_cmp_le_i32_e64 s4, s5, v11
	s_or_b32 s37, s4, s37
	s_waitcnt lgkmcnt(0)
	v_sub_f32_e32 v12, v12, v1
	v_mul_f32_e32 v12, 0x3fb8aa3b, v12
	v_exp_f32_e32 v12, v12
	ds_write_b32 v10, v12
	v_add_f32_e32 v9, v9, v12
	v_add_nc_u32_e32 v10, 0x200, v10
	s_andn2_b32 exec_lo, exec_lo, s37
	s_cbranch_execnz .LBB28_27
; %bb.28:
	s_or_b32 exec_lo, exec_lo, s37
.LBB28_29:
	s_or_b32 exec_lo, exec_lo, s15
	ds_bpermute_b32 v2, v2, v9
	s_waitcnt lgkmcnt(0)
	v_add_f32_e32 v2, v9, v2
	ds_bpermute_b32 v5, v5, v2
	s_waitcnt lgkmcnt(0)
	v_add_f32_e32 v2, v2, v5
	;; [unrolled: 3-line block ×5, first 2 shown]
	s_and_saveexec_b32 s4, vcc_lo
; %bb.30:
	ds_write_b32 v7, v2 offset:272
; %bb.31:
	s_or_b32 exec_lo, exec_lo, s4
	s_waitcnt lgkmcnt(0)
	s_barrier
	buffer_gl0_inv
	s_and_saveexec_b32 s4, s2
; %bb.32:
	ds_read_b32 v2, v8 offset:272
; %bb.33:
	s_or_b32 exec_lo, exec_lo, s4
	s_waitcnt lgkmcnt(0)
	ds_bpermute_b32 v5, v43, v2
	s_waitcnt lgkmcnt(0)
	v_add_f32_e32 v2, v2, v5
	ds_bpermute_b32 v5, v44, v2
	s_waitcnt lgkmcnt(0)
	v_add_f32_e32 v2, v2, v5
	v_mov_b32_e32 v5, 0
	ds_bpermute_b32 v2, v5, v2
	s_and_saveexec_b32 s2, s3
	s_cbranch_execz .LBB28_36
; %bb.34:
	s_waitcnt lgkmcnt(0)
	v_add_f32_e32 v5, 0x358637bd, v2
	s_mov_b32 s3, 0
	v_div_scale_f32 v6, null, v5, v5, 1.0
	v_div_scale_f32 v9, vcc_lo, 1.0, v5, 1.0
	v_rcp_f32_e32 v7, v6
	v_fma_f32 v8, -v6, v7, 1.0
	v_fmac_f32_e32 v7, v8, v7
	v_mul_f32_e32 v8, v9, v7
	v_fma_f32 v10, -v6, v8, v9
	v_fmac_f32_e32 v8, v10, v7
	v_fma_f32 v6, -v6, v8, v9
	v_div_fmas_f32 v6, v6, v7, v8
	v_div_fixup_f32 v5, v6, v5, 1.0
	v_mov_b32_e32 v6, v0
.LBB28_35:                              ; =>This Inner Loop Header: Depth=1
	ds_read_b32 v7, v4
	v_add_nc_u32_e32 v6, 0x80, v6
	v_cmp_le_i32_e32 vcc_lo, s5, v6
	s_or_b32 s3, vcc_lo, s3
	s_waitcnt lgkmcnt(0)
	v_mul_f32_e32 v7, v5, v7
	ds_write_b32 v4, v7
	v_add_nc_u32_e32 v4, 0x200, v4
	s_andn2_b32 exec_lo, exec_lo, s3
	s_cbranch_execnz .LBB28_35
.LBB28_36:
	s_or_b32 exec_lo, exec_lo, s2
	s_mul_i32 s2, s7, s26
	s_mov_b32 s4, exec_lo
	s_mul_i32 s2, s2, s9
	s_waitcnt lgkmcnt(0)
	s_barrier
	buffer_gl0_inv
	v_cmpx_eq_u32_e32 0, v0
	s_cbranch_execz .LBB28_38
; %bb.37:
	s_ashr_i32 s3, s2, 31
	s_mul_i32 s42, s7, s6
	s_lshl_b64 s[40:41], s[2:3], 2
	v_mov_b32_e32 v4, 0
	s_add_u32 s3, s22, s40
	s_addc_u32 s5, s23, s41
	s_ashr_i32 s43, s42, 31
	s_lshl_b64 s[22:23], s[42:43], 2
	s_add_u32 s3, s3, s22
	s_addc_u32 s5, s5, s23
	s_ashr_i32 s9, s8, 31
	s_lshl_b64 s[42:43], s[8:9], 2
	s_add_u32 s44, s3, s42
	s_addc_u32 s45, s5, s43
	s_add_u32 s3, s20, s40
	s_addc_u32 s5, s21, s41
	s_add_u32 s3, s3, s22
	s_addc_u32 s5, s5, s23
	s_add_u32 s20, s3, s42
	s_addc_u32 s21, s5, s43
	global_store_dword v4, v1, s[44:45]
	global_store_dword v4, v2, s[20:21]
.LBB28_38:
	s_or_b32 exec_lo, exec_lo, s4
	v_mov_b32_e32 v53, 0
	v_and_b32_e32 v45, 3, v0
	v_mov_b32_e32 v52, 0
	v_mov_b32_e32 v51, 0
	;; [unrolled: 1-line block ×7, first 2 shown]
	s_and_saveexec_b32 s3, s1
	s_cbranch_execz .LBB28_60
; %bb.39:
	s_ashr_i32 s15, s14, 31
	s_sub_i32 s4, s39, s17
	s_lshl_b64 s[14:15], s[14:15], 2
	v_and_b32_e32 v54, 12, v3
	s_add_u32 s1, s34, s14
	s_addc_u32 s6, s35, s15
	s_abs_i32 s5, s18
	v_lshlrev_b32_e32 v3, 4, v0
	v_cvt_f32_u32_e32 v1, s5
	s_sub_i32 s9, 0, s5
	v_lshlrev_b32_e32 v5, 4, v45
	s_lshl_b64 s[14:15], s[30:31], 2
	v_and_b32_e32 v3, 0x1f0, v3
	v_rcp_iflag_f32_e32 v1, v1
	s_add_i32 s36, s36, -1
	v_lshl_or_b32 v5, v40, 6, v5
	v_mov_b32_e32 v46, 0
	v_add_co_u32 v55, s1, s1, v3
	v_mov_b32_e32 v47, 0
	v_mov_b32_e32 v48, 0
	;; [unrolled: 1-line block ×4, first 2 shown]
	v_mul_f32_e32 v4, 0x4f7ffffe, v1
	v_lshlrev_b64 v[1:2], 2, v[37:38]
	v_mov_b32_e32 v51, 0
	v_mov_b32_e32 v52, 0
	v_add_co_ci_u32_e64 v56, null, s6, 0, s1
	v_cvt_u32_f32_e32 v4, v4
	v_add_nc_u32_e32 v57, 0x120, v5
	v_mov_b32_e32 v53, 0
	s_mov_b32 s6, 0
	v_mul_lo_u32 v6, s9, v4
	s_add_u32 s9, s28, s14
	s_addc_u32 s14, s29, s15
	v_add_co_u32 v38, vcc_lo, s9, v1
	v_add_co_ci_u32_e64 v39, null, s14, v2, vcc_lo
	s_mov_b32 s9, s13
	v_mul_hi_u32 v6, v4, v6
	v_add_nc_u32_e32 v58, v4, v6
	s_branch .LBB28_42
.LBB28_40:                              ;   in Loop: Header=BB28_42 Depth=1
	s_or_b32 exec_lo, exec_lo, s1
	s_waitcnt vmcnt(1) lgkmcnt(0)
	v_mul_f32_e32 v29, v1, v29
	v_mul_f32_e32 v25, v1, v25
	;; [unrolled: 1-line block ×7, first 2 shown]
	s_waitcnt vmcnt(0)
	v_mul_f32_e32 v1, v1, v33
	v_fmac_f32_e32 v29, v2, v30
	v_fmac_f32_e32 v25, v2, v26
	;; [unrolled: 1-line block ×24, first 2 shown]
	v_add_f32_e32 v47, v47, v29
	v_add_f32_e32 v48, v48, v25
	;; [unrolled: 1-line block ×8, first 2 shown]
.LBB28_41:                              ;   in Loop: Header=BB28_42 Depth=1
	s_or_b32 exec_lo, exec_lo, s13
	v_add_nc_u32_e32 v37, 4, v37
	v_add_co_u32 v38, s1, v38, 16
	v_add_co_ci_u32_e64 v39, null, 0, v39, s1
	v_cmp_le_i32_e32 vcc_lo, s16, v37
	v_add_nc_u32_e32 v41, 64, v41
	v_add_nc_u32_e32 v57, 0x100, v57
	s_or_b32 s6, vcc_lo, s6
	s_andn2_b32 exec_lo, exec_lo, s6
	s_cbranch_execz .LBB28_59
.LBB28_42:                              ; =>This Inner Loop Header: Depth=1
	v_sub_nc_u32_e32 v1, 0, v41
	v_max_i32_e32 v1, v41, v1
	v_mul_hi_u32 v2, v1, s12
	v_mul_lo_u32 v3, v2, s11
	v_sub_nc_u32_e32 v1, v1, v3
	v_add_nc_u32_e32 v3, 1, v2
	v_subrev_nc_u32_e32 v4, s11, v1
	v_cmp_le_u32_e32 vcc_lo, s11, v1
	v_cndmask_b32_e32 v2, v2, v3, vcc_lo
	v_cndmask_b32_e32 v1, v1, v4, vcc_lo
	v_ashrrev_i32_e32 v3, 31, v41
	v_add_nc_u32_e32 v4, 1, v2
	v_cmp_le_u32_e32 vcc_lo, s11, v1
	v_xor_b32_e32 v3, s19, v3
	v_cndmask_b32_e32 v1, v2, v4, vcc_lo
	v_xor_b32_e32 v1, v1, v3
	v_sub_nc_u32_e32 v1, v1, v3
	v_add_nc_u32_e32 v2, s33, v1
	v_cmp_lt_i32_e64 s1, s4, v1
	v_sub_nc_u32_e32 v3, 0, v2
	v_max_i32_e32 v3, v2, v3
	v_ashrrev_i32_e32 v2, 31, v2
	v_mul_hi_u32 v4, v3, v58
	v_mul_lo_u32 v4, v4, s5
	v_sub_nc_u32_e32 v3, v3, v4
	v_subrev_nc_u32_e32 v4, s5, v3
	v_cmp_le_u32_e32 vcc_lo, s5, v3
	v_cndmask_b32_e32 v3, v3, v4, vcc_lo
	v_subrev_nc_u32_e32 v4, s5, v3
	v_cmp_le_u32_e32 vcc_lo, s5, v3
	v_cndmask_b32_e32 v3, v3, v4, vcc_lo
	v_xor_b32_e32 v3, v3, v2
	v_sub_nc_u32_e32 v2, v3, v2
	v_cmp_eq_u32_e32 vcc_lo, 0, v2
	s_or_b32 s1, vcc_lo, s1
	s_and_saveexec_b32 s13, s1
	s_cbranch_execz .LBB28_41
; %bb.43:                               ;   in Loop: Header=BB28_42 Depth=1
	global_load_dword v1, v[38:39], off
	v_add_nc_u32_e32 v59, v54, v41
	v_add_nc_u32_e32 v62, 1, v59
	;; [unrolled: 1-line block ×4, first 2 shown]
	s_waitcnt vmcnt(0)
	v_mad_i64_i32 v[1:2], null, v1, s9, 0
	v_lshlrev_b64 v[1:2], 2, v[1:2]
	v_add_co_u32 v21, vcc_lo, v55, v1
	v_add_co_ci_u32_e64 v22, null, v56, v2, vcc_lo
	ds_read_b128 v[1:4], v57
	v_cmp_eq_u32_e32 vcc_lo, s36, v37
	global_load_dwordx4 v[5:8], v[21:22], off
	s_and_saveexec_b32 s14, vcc_lo
	s_cbranch_execnz .LBB28_52
; %bb.44:                               ;   in Loop: Header=BB28_42 Depth=1
	s_or_b32 exec_lo, exec_lo, s14
	global_load_dwordx4 v[9:12], v[21:22], off offset:512
	s_and_saveexec_b32 s14, vcc_lo
	s_cbranch_execnz .LBB28_53
.LBB28_45:                              ;   in Loop: Header=BB28_42 Depth=1
	s_or_b32 exec_lo, exec_lo, s14
	global_load_dwordx4 v[13:16], v[21:22], off offset:1024
	s_and_saveexec_b32 s14, vcc_lo
	s_cbranch_execnz .LBB28_54
.LBB28_46:                              ;   in Loop: Header=BB28_42 Depth=1
	s_or_b32 exec_lo, exec_lo, s14
	global_load_dwordx4 v[17:20], v[21:22], off offset:1536
	s_and_saveexec_b32 s14, vcc_lo
	s_cbranch_execz .LBB28_48
.LBB28_47:                              ;   in Loop: Header=BB28_42 Depth=1
	v_cmp_gt_i32_e64 s1, s27, v59
	s_waitcnt vmcnt(0)
	v_cndmask_b32_e64 v17, 0, v17, s1
	v_cmp_gt_i32_e64 s1, s27, v62
	v_cndmask_b32_e64 v18, 0, v18, s1
	v_cmp_gt_i32_e64 s1, s27, v61
	;; [unrolled: 2-line block ×3, first 2 shown]
	v_cndmask_b32_e64 v20, 0, v20, s1
.LBB28_48:                              ;   in Loop: Header=BB28_42 Depth=1
	s_or_b32 exec_lo, exec_lo, s14
	v_add_co_u32 v33, s1, 0x800, v21
	v_add_co_ci_u32_e64 v34, null, 0, v22, s1
	global_load_dwordx4 v[21:24], v[33:34], off
	s_and_saveexec_b32 s14, vcc_lo
	s_cbranch_execnz .LBB28_55
; %bb.49:                               ;   in Loop: Header=BB28_42 Depth=1
	s_or_b32 exec_lo, exec_lo, s14
	global_load_dwordx4 v[25:28], v[33:34], off offset:512
	s_and_saveexec_b32 s14, vcc_lo
	s_cbranch_execnz .LBB28_56
.LBB28_50:                              ;   in Loop: Header=BB28_42 Depth=1
	s_or_b32 exec_lo, exec_lo, s14
	global_load_dwordx4 v[29:32], v[33:34], off offset:1024
	s_and_saveexec_b32 s14, vcc_lo
	s_cbranch_execnz .LBB28_57
.LBB28_51:                              ;   in Loop: Header=BB28_42 Depth=1
	s_or_b32 exec_lo, exec_lo, s14
	global_load_dwordx4 v[33:36], v[33:34], off offset:1536
	s_and_saveexec_b32 s1, vcc_lo
	s_cbranch_execz .LBB28_40
	s_branch .LBB28_58
.LBB28_52:                              ;   in Loop: Header=BB28_42 Depth=1
	v_cmp_gt_i32_e64 s1, s27, v59
	s_waitcnt vmcnt(0)
	v_cndmask_b32_e64 v5, 0, v5, s1
	v_cmp_gt_i32_e64 s1, s27, v62
	v_cndmask_b32_e64 v6, 0, v6, s1
	v_cmp_gt_i32_e64 s1, s27, v61
	;; [unrolled: 2-line block ×3, first 2 shown]
	v_cndmask_b32_e64 v8, 0, v8, s1
	s_or_b32 exec_lo, exec_lo, s14
	global_load_dwordx4 v[9:12], v[21:22], off offset:512
	s_and_saveexec_b32 s14, vcc_lo
	s_cbranch_execz .LBB28_45
.LBB28_53:                              ;   in Loop: Header=BB28_42 Depth=1
	v_cmp_gt_i32_e64 s1, s27, v59
	s_waitcnt vmcnt(0)
	v_cndmask_b32_e64 v9, 0, v9, s1
	v_cmp_gt_i32_e64 s1, s27, v62
	v_cndmask_b32_e64 v10, 0, v10, s1
	v_cmp_gt_i32_e64 s1, s27, v61
	;; [unrolled: 2-line block ×3, first 2 shown]
	v_cndmask_b32_e64 v12, 0, v12, s1
	s_or_b32 exec_lo, exec_lo, s14
	global_load_dwordx4 v[13:16], v[21:22], off offset:1024
	s_and_saveexec_b32 s14, vcc_lo
	s_cbranch_execz .LBB28_46
.LBB28_54:                              ;   in Loop: Header=BB28_42 Depth=1
	v_cmp_gt_i32_e64 s1, s27, v59
	s_waitcnt vmcnt(0)
	v_cndmask_b32_e64 v13, 0, v13, s1
	v_cmp_gt_i32_e64 s1, s27, v62
	v_cndmask_b32_e64 v14, 0, v14, s1
	v_cmp_gt_i32_e64 s1, s27, v61
	;; [unrolled: 2-line block ×3, first 2 shown]
	v_cndmask_b32_e64 v16, 0, v16, s1
	s_or_b32 exec_lo, exec_lo, s14
	global_load_dwordx4 v[17:20], v[21:22], off offset:1536
	s_and_saveexec_b32 s14, vcc_lo
	s_cbranch_execnz .LBB28_47
	s_branch .LBB28_48
.LBB28_55:                              ;   in Loop: Header=BB28_42 Depth=1
	v_cmp_gt_i32_e64 s1, s27, v59
	s_waitcnt vmcnt(0)
	v_cndmask_b32_e64 v21, 0, v21, s1
	v_cmp_gt_i32_e64 s1, s27, v62
	v_cndmask_b32_e64 v22, 0, v22, s1
	v_cmp_gt_i32_e64 s1, s27, v61
	;; [unrolled: 2-line block ×3, first 2 shown]
	v_cndmask_b32_e64 v24, 0, v24, s1
	s_or_b32 exec_lo, exec_lo, s14
	global_load_dwordx4 v[25:28], v[33:34], off offset:512
	s_and_saveexec_b32 s14, vcc_lo
	s_cbranch_execz .LBB28_50
.LBB28_56:                              ;   in Loop: Header=BB28_42 Depth=1
	v_cmp_gt_i32_e64 s1, s27, v59
	s_waitcnt vmcnt(0)
	v_cndmask_b32_e64 v25, 0, v25, s1
	v_cmp_gt_i32_e64 s1, s27, v62
	v_cndmask_b32_e64 v26, 0, v26, s1
	v_cmp_gt_i32_e64 s1, s27, v61
	;; [unrolled: 2-line block ×3, first 2 shown]
	v_cndmask_b32_e64 v28, 0, v28, s1
	s_or_b32 exec_lo, exec_lo, s14
	global_load_dwordx4 v[29:32], v[33:34], off offset:1024
	s_and_saveexec_b32 s14, vcc_lo
	s_cbranch_execz .LBB28_51
.LBB28_57:                              ;   in Loop: Header=BB28_42 Depth=1
	v_cmp_gt_i32_e64 s1, s27, v59
	s_waitcnt vmcnt(0)
	v_cndmask_b32_e64 v29, 0, v29, s1
	v_cmp_gt_i32_e64 s1, s27, v62
	v_cndmask_b32_e64 v30, 0, v30, s1
	v_cmp_gt_i32_e64 s1, s27, v61
	v_cndmask_b32_e64 v31, 0, v31, s1
	v_cmp_gt_i32_e64 s1, s27, v60
	v_cndmask_b32_e64 v32, 0, v32, s1
	s_or_b32 exec_lo, exec_lo, s14
	global_load_dwordx4 v[33:36], v[33:34], off offset:1536
	s_and_saveexec_b32 s1, vcc_lo
	s_cbranch_execz .LBB28_40
.LBB28_58:                              ;   in Loop: Header=BB28_42 Depth=1
	v_cmp_gt_i32_e32 vcc_lo, s27, v59
	s_waitcnt vmcnt(0)
	v_cndmask_b32_e32 v33, 0, v33, vcc_lo
	v_cmp_gt_i32_e32 vcc_lo, s27, v62
	v_cndmask_b32_e32 v34, 0, v34, vcc_lo
	v_cmp_gt_i32_e32 vcc_lo, s27, v61
	;; [unrolled: 2-line block ×3, first 2 shown]
	v_cndmask_b32_e32 v36, 0, v36, vcc_lo
	s_branch .LBB28_40
.LBB28_59:
	s_or_b32 exec_lo, exec_lo, s6
.LBB28_60:
	s_or_b32 exec_lo, exec_lo, s3
	ds_bpermute_b32 v1, v43, v53
	ds_bpermute_b32 v2, v43, v52
	;; [unrolled: 1-line block ×8, first 2 shown]
	v_and_b32_e32 v10, 28, v42
	v_lshrrev_b32_e32 v9, 2, v42
	v_lshlrev_b32_e32 v11, 8, v40
	v_and_b32_e32 v20, 0x3c3, v0
	s_mov_b32 s1, exec_lo
	v_add_nc_u32_e32 v10, 0x120, v10
	s_waitcnt lgkmcnt(0)
	s_waitcnt_vscnt null, 0x0
	s_barrier
	buffer_gl0_inv
	v_add_f32_e32 v1, v53, v1
	v_add_f32_e32 v2, v52, v2
	;; [unrolled: 1-line block ×8, first 2 shown]
	ds_bpermute_b32 v12, v44, v1
	ds_bpermute_b32 v13, v44, v2
	;; [unrolled: 1-line block ×8, first 2 shown]
	s_waitcnt lgkmcnt(7)
	v_add_f32_e32 v1, v1, v12
	s_waitcnt lgkmcnt(6)
	v_add_f32_e32 v2, v2, v13
	;; [unrolled: 2-line block ×8, first 2 shown]
	v_cmpx_eq_u32_e32 64, v20
	s_cbranch_execz .LBB28_62
; %bb.61:
	v_add_nc_u32_e32 v12, v10, v11
	v_add_nc_u32_e32 v13, 0xfffffe00, v12
	;; [unrolled: 1-line block ×9, first 2 shown]
	ds_write_b32 v13, v1
	ds_write_b32 v14, v2
	;; [unrolled: 1-line block ×8, first 2 shown]
.LBB28_62:
	s_or_b32 exec_lo, exec_lo, s1
	v_lshlrev_b32_e32 v9, 2, v9
	s_mov_b32 s3, exec_lo
	v_cmp_eq_u32_e32 vcc_lo, 0, v45
	s_waitcnt lgkmcnt(0)
	s_barrier
	v_add3_u32 v9, 0x120, v11, v9
	buffer_gl0_inv
	v_cmpx_gt_u32_e32 64, v0
	s_cbranch_execz .LBB28_73
; %bb.63:
	s_and_saveexec_b32 s1, vcc_lo
	s_cbranch_execnz .LBB28_89
; %bb.64:
	s_or_b32 exec_lo, exec_lo, s1
	s_and_saveexec_b32 s1, vcc_lo
	s_cbranch_execnz .LBB28_90
.LBB28_65:
	s_or_b32 exec_lo, exec_lo, s1
	s_and_saveexec_b32 s1, vcc_lo
	s_cbranch_execnz .LBB28_91
.LBB28_66:
	s_or_b32 exec_lo, exec_lo, s1
	s_and_saveexec_b32 s1, vcc_lo
	s_cbranch_execnz .LBB28_92
.LBB28_67:
	s_or_b32 exec_lo, exec_lo, s1
	s_and_saveexec_b32 s1, vcc_lo
	s_cbranch_execnz .LBB28_93
.LBB28_68:
	s_or_b32 exec_lo, exec_lo, s1
	s_and_saveexec_b32 s1, vcc_lo
	s_cbranch_execnz .LBB28_94
.LBB28_69:
	s_or_b32 exec_lo, exec_lo, s1
	s_and_saveexec_b32 s1, vcc_lo
	s_cbranch_execnz .LBB28_95
.LBB28_70:
	s_or_b32 exec_lo, exec_lo, s1
	s_and_saveexec_b32 s1, vcc_lo
	s_cbranch_execz .LBB28_72
.LBB28_71:
	ds_read_b32 v11, v9 offset:224
	s_waitcnt lgkmcnt(0)
	v_add_f32_e32 v8, v8, v11
.LBB28_72:
	s_or_b32 exec_lo, exec_lo, s1
.LBB28_73:
	s_or_b32 exec_lo, exec_lo, s3
	v_and_b32_e32 v11, 0x3e3, v0
	s_mov_b32 s3, exec_lo
	s_barrier
	buffer_gl0_inv
	v_cmpx_eq_u32_e32 32, v11
	s_cbranch_execz .LBB28_75
; %bb.74:
	ds_write2_b32 v10, v1, v2 offset1:8
	ds_write2_b32 v10, v3, v4 offset0:16 offset1:24
	ds_write2_b32 v10, v5, v6 offset0:32 offset1:40
	;; [unrolled: 1-line block ×3, first 2 shown]
.LBB28_75:
	s_or_b32 exec_lo, exec_lo, s3
	s_waitcnt lgkmcnt(0)
	s_barrier
	buffer_gl0_inv
	s_and_saveexec_b32 s1, s0
	s_cbranch_execz .LBB28_86
; %bb.76:
	s_and_saveexec_b32 s0, vcc_lo
	s_cbranch_execnz .LBB28_96
; %bb.77:
	s_or_b32 exec_lo, exec_lo, s0
	s_and_saveexec_b32 s0, vcc_lo
	s_cbranch_execnz .LBB28_97
.LBB28_78:
	s_or_b32 exec_lo, exec_lo, s0
	s_and_saveexec_b32 s0, vcc_lo
	s_cbranch_execnz .LBB28_98
.LBB28_79:
	s_or_b32 exec_lo, exec_lo, s0
	s_and_saveexec_b32 s0, vcc_lo
	s_cbranch_execnz .LBB28_99
.LBB28_80:
	s_or_b32 exec_lo, exec_lo, s0
	s_and_saveexec_b32 s0, vcc_lo
	s_cbranch_execnz .LBB28_100
.LBB28_81:
	s_or_b32 exec_lo, exec_lo, s0
	s_and_saveexec_b32 s0, vcc_lo
	s_cbranch_execnz .LBB28_101
.LBB28_82:
	s_or_b32 exec_lo, exec_lo, s0
	s_and_saveexec_b32 s0, vcc_lo
	s_cbranch_execnz .LBB28_102
.LBB28_83:
	s_or_b32 exec_lo, exec_lo, s0
	s_and_saveexec_b32 s0, vcc_lo
	s_cbranch_execz .LBB28_85
.LBB28_84:
	ds_read_b32 v9, v9 offset:224
	s_waitcnt lgkmcnt(0)
	v_add_f32_e32 v8, v8, v9
.LBB28_85:
	s_or_b32 exec_lo, exec_lo, s0
.LBB28_86:
	s_or_b32 exec_lo, exec_lo, s1
	s_barrier
	buffer_gl0_inv
	s_mov_b32 s0, exec_lo
	v_cmpx_eq_u32_e32 0, v11
	s_cbranch_execz .LBB28_88
; %bb.87:
	s_lshl_b32 s0, s2, 6
	s_mul_i32 s2, s7, s10
	s_ashr_i32 s1, s0, 31
	s_lshl_b64 s[0:1], s[0:1], 2
	s_add_u32 s4, s24, s0
	s_addc_u32 s5, s25, s1
	s_ashr_i32 s3, s2, 31
	s_lshl_b64 s[0:1], s[2:3], 2
	s_add_u32 s2, s4, s0
	s_addc_u32 s3, s5, s1
	s_lshl_b32 s0, s8, 6
	s_ashr_i32 s1, s0, 31
	s_lshl_b64 s[0:1], s[0:1], 2
	s_add_u32 s0, s2, s0
	s_addc_u32 s1, s3, s1
	global_store_dword v0, v1, s[0:1]
	global_store_dword v0, v2, s[0:1] offset:32
	global_store_dword v0, v3, s[0:1] offset:64
	;; [unrolled: 1-line block ×7, first 2 shown]
.LBB28_88:
	s_endpgm
.LBB28_89:
	ds_read_b32 v11, v9
	s_waitcnt lgkmcnt(0)
	v_add_f32_e32 v1, v1, v11
	s_or_b32 exec_lo, exec_lo, s1
	s_and_saveexec_b32 s1, vcc_lo
	s_cbranch_execz .LBB28_65
.LBB28_90:
	ds_read_b32 v11, v9 offset:32
	s_waitcnt lgkmcnt(0)
	v_add_f32_e32 v2, v2, v11
	s_or_b32 exec_lo, exec_lo, s1
	s_and_saveexec_b32 s1, vcc_lo
	s_cbranch_execz .LBB28_66
.LBB28_91:
	ds_read_b32 v11, v9 offset:64
	s_waitcnt lgkmcnt(0)
	v_add_f32_e32 v3, v3, v11
	s_or_b32 exec_lo, exec_lo, s1
	s_and_saveexec_b32 s1, vcc_lo
	s_cbranch_execz .LBB28_67
.LBB28_92:
	ds_read_b32 v11, v9 offset:96
	s_waitcnt lgkmcnt(0)
	v_add_f32_e32 v4, v4, v11
	s_or_b32 exec_lo, exec_lo, s1
	s_and_saveexec_b32 s1, vcc_lo
	s_cbranch_execz .LBB28_68
.LBB28_93:
	ds_read_b32 v11, v9 offset:128
	s_waitcnt lgkmcnt(0)
	v_add_f32_e32 v5, v5, v11
	s_or_b32 exec_lo, exec_lo, s1
	s_and_saveexec_b32 s1, vcc_lo
	s_cbranch_execz .LBB28_69
.LBB28_94:
	ds_read_b32 v11, v9 offset:160
	s_waitcnt lgkmcnt(0)
	v_add_f32_e32 v6, v6, v11
	s_or_b32 exec_lo, exec_lo, s1
	s_and_saveexec_b32 s1, vcc_lo
	s_cbranch_execz .LBB28_70
.LBB28_95:
	ds_read_b32 v11, v9 offset:192
	s_waitcnt lgkmcnt(0)
	v_add_f32_e32 v7, v7, v11
	s_or_b32 exec_lo, exec_lo, s1
	s_and_saveexec_b32 s1, vcc_lo
	s_cbranch_execnz .LBB28_71
	s_branch .LBB28_72
.LBB28_96:
	ds_read_b32 v10, v9
	s_waitcnt lgkmcnt(0)
	v_add_f32_e32 v1, v1, v10
	s_or_b32 exec_lo, exec_lo, s0
	s_and_saveexec_b32 s0, vcc_lo
	s_cbranch_execz .LBB28_78
.LBB28_97:
	ds_read_b32 v10, v9 offset:32
	s_waitcnt lgkmcnt(0)
	v_add_f32_e32 v2, v2, v10
	s_or_b32 exec_lo, exec_lo, s0
	s_and_saveexec_b32 s0, vcc_lo
	s_cbranch_execz .LBB28_79
.LBB28_98:
	ds_read_b32 v10, v9 offset:64
	s_waitcnt lgkmcnt(0)
	v_add_f32_e32 v3, v3, v10
	s_or_b32 exec_lo, exec_lo, s0
	s_and_saveexec_b32 s0, vcc_lo
	s_cbranch_execz .LBB28_80
.LBB28_99:
	ds_read_b32 v10, v9 offset:96
	s_waitcnt lgkmcnt(0)
	v_add_f32_e32 v4, v4, v10
	s_or_b32 exec_lo, exec_lo, s0
	s_and_saveexec_b32 s0, vcc_lo
	s_cbranch_execz .LBB28_81
.LBB28_100:
	ds_read_b32 v10, v9 offset:128
	s_waitcnt lgkmcnt(0)
	v_add_f32_e32 v5, v5, v10
	s_or_b32 exec_lo, exec_lo, s0
	s_and_saveexec_b32 s0, vcc_lo
	s_cbranch_execz .LBB28_82
.LBB28_101:
	ds_read_b32 v10, v9 offset:160
	s_waitcnt lgkmcnt(0)
	v_add_f32_e32 v6, v6, v10
	s_or_b32 exec_lo, exec_lo, s0
	s_and_saveexec_b32 s0, vcc_lo
	s_cbranch_execz .LBB28_83
.LBB28_102:
	ds_read_b32 v10, v9 offset:192
	s_waitcnt lgkmcnt(0)
	v_add_f32_e32 v7, v7, v10
	s_or_b32 exec_lo, exec_lo, s0
	s_and_saveexec_b32 s0, vcc_lo
	s_cbranch_execnz .LBB28_84
	s_branch .LBB28_85
	.section	.rodata,"a",@progbits
	.p2align	6, 0x0
	.amdhsa_kernel _ZN4vllm25paged_attention_v2_kernelIffLi64ELi16ELi128ELNS_18Fp8KVCacheDataTypeE0ELb1ELi512EEEvPfS2_PT_PKS3_PKT0_S9_ifPKiSB_iPKfiiiSD_SD_iiiii
		.amdhsa_group_segment_fixed_size 288
		.amdhsa_private_segment_fixed_size 0
		.amdhsa_kernarg_size 400
		.amdhsa_user_sgpr_count 6
		.amdhsa_user_sgpr_private_segment_buffer 1
		.amdhsa_user_sgpr_dispatch_ptr 0
		.amdhsa_user_sgpr_queue_ptr 0
		.amdhsa_user_sgpr_kernarg_segment_ptr 1
		.amdhsa_user_sgpr_dispatch_id 0
		.amdhsa_user_sgpr_flat_scratch_init 0
		.amdhsa_user_sgpr_private_segment_size 0
		.amdhsa_wavefront_size32 1
		.amdhsa_uses_dynamic_stack 0
		.amdhsa_system_sgpr_private_segment_wavefront_offset 0
		.amdhsa_system_sgpr_workgroup_id_x 1
		.amdhsa_system_sgpr_workgroup_id_y 1
		.amdhsa_system_sgpr_workgroup_id_z 1
		.amdhsa_system_sgpr_workgroup_info 0
		.amdhsa_system_vgpr_workitem_id 0
		.amdhsa_next_free_vgpr 66
		.amdhsa_next_free_sgpr 46
		.amdhsa_reserve_vcc 1
		.amdhsa_reserve_flat_scratch 0
		.amdhsa_float_round_mode_32 0
		.amdhsa_float_round_mode_16_64 0
		.amdhsa_float_denorm_mode_32 3
		.amdhsa_float_denorm_mode_16_64 3
		.amdhsa_dx10_clamp 1
		.amdhsa_ieee_mode 1
		.amdhsa_fp16_overflow 0
		.amdhsa_workgroup_processor_mode 1
		.amdhsa_memory_ordered 1
		.amdhsa_forward_progress 1
		.amdhsa_shared_vgpr_count 0
		.amdhsa_exception_fp_ieee_invalid_op 0
		.amdhsa_exception_fp_denorm_src 0
		.amdhsa_exception_fp_ieee_div_zero 0
		.amdhsa_exception_fp_ieee_overflow 0
		.amdhsa_exception_fp_ieee_underflow 0
		.amdhsa_exception_fp_ieee_inexact 0
		.amdhsa_exception_int_div_zero 0
	.end_amdhsa_kernel
	.section	.text._ZN4vllm25paged_attention_v2_kernelIffLi64ELi16ELi128ELNS_18Fp8KVCacheDataTypeE0ELb1ELi512EEEvPfS2_PT_PKS3_PKT0_S9_ifPKiSB_iPKfiiiSD_SD_iiiii,"axG",@progbits,_ZN4vllm25paged_attention_v2_kernelIffLi64ELi16ELi128ELNS_18Fp8KVCacheDataTypeE0ELb1ELi512EEEvPfS2_PT_PKS3_PKT0_S9_ifPKiSB_iPKfiiiSD_SD_iiiii,comdat
.Lfunc_end28:
	.size	_ZN4vllm25paged_attention_v2_kernelIffLi64ELi16ELi128ELNS_18Fp8KVCacheDataTypeE0ELb1ELi512EEEvPfS2_PT_PKS3_PKT0_S9_ifPKiSB_iPKfiiiSD_SD_iiiii, .Lfunc_end28-_ZN4vllm25paged_attention_v2_kernelIffLi64ELi16ELi128ELNS_18Fp8KVCacheDataTypeE0ELb1ELi512EEEvPfS2_PT_PKS3_PKT0_S9_ifPKiSB_iPKfiiiSD_SD_iiiii
                                        ; -- End function
	.set _ZN4vllm25paged_attention_v2_kernelIffLi64ELi16ELi128ELNS_18Fp8KVCacheDataTypeE0ELb1ELi512EEEvPfS2_PT_PKS3_PKT0_S9_ifPKiSB_iPKfiiiSD_SD_iiiii.num_vgpr, 66
	.set _ZN4vllm25paged_attention_v2_kernelIffLi64ELi16ELi128ELNS_18Fp8KVCacheDataTypeE0ELb1ELi512EEEvPfS2_PT_PKS3_PKT0_S9_ifPKiSB_iPKfiiiSD_SD_iiiii.num_agpr, 0
	.set _ZN4vllm25paged_attention_v2_kernelIffLi64ELi16ELi128ELNS_18Fp8KVCacheDataTypeE0ELb1ELi512EEEvPfS2_PT_PKS3_PKT0_S9_ifPKiSB_iPKfiiiSD_SD_iiiii.numbered_sgpr, 46
	.set _ZN4vllm25paged_attention_v2_kernelIffLi64ELi16ELi128ELNS_18Fp8KVCacheDataTypeE0ELb1ELi512EEEvPfS2_PT_PKS3_PKT0_S9_ifPKiSB_iPKfiiiSD_SD_iiiii.num_named_barrier, 0
	.set _ZN4vllm25paged_attention_v2_kernelIffLi64ELi16ELi128ELNS_18Fp8KVCacheDataTypeE0ELb1ELi512EEEvPfS2_PT_PKS3_PKT0_S9_ifPKiSB_iPKfiiiSD_SD_iiiii.private_seg_size, 0
	.set _ZN4vllm25paged_attention_v2_kernelIffLi64ELi16ELi128ELNS_18Fp8KVCacheDataTypeE0ELb1ELi512EEEvPfS2_PT_PKS3_PKT0_S9_ifPKiSB_iPKfiiiSD_SD_iiiii.uses_vcc, 1
	.set _ZN4vllm25paged_attention_v2_kernelIffLi64ELi16ELi128ELNS_18Fp8KVCacheDataTypeE0ELb1ELi512EEEvPfS2_PT_PKS3_PKT0_S9_ifPKiSB_iPKfiiiSD_SD_iiiii.uses_flat_scratch, 0
	.set _ZN4vllm25paged_attention_v2_kernelIffLi64ELi16ELi128ELNS_18Fp8KVCacheDataTypeE0ELb1ELi512EEEvPfS2_PT_PKS3_PKT0_S9_ifPKiSB_iPKfiiiSD_SD_iiiii.has_dyn_sized_stack, 0
	.set _ZN4vllm25paged_attention_v2_kernelIffLi64ELi16ELi128ELNS_18Fp8KVCacheDataTypeE0ELb1ELi512EEEvPfS2_PT_PKS3_PKT0_S9_ifPKiSB_iPKfiiiSD_SD_iiiii.has_recursion, 0
	.set _ZN4vllm25paged_attention_v2_kernelIffLi64ELi16ELi128ELNS_18Fp8KVCacheDataTypeE0ELb1ELi512EEEvPfS2_PT_PKS3_PKT0_S9_ifPKiSB_iPKfiiiSD_SD_iiiii.has_indirect_call, 0
	.section	.AMDGPU.csdata,"",@progbits
; Kernel info:
; codeLenInByte = 5808
; TotalNumSgprs: 48
; NumVgprs: 66
; ScratchSize: 0
; MemoryBound: 0
; FloatMode: 240
; IeeeMode: 1
; LDSByteSize: 288 bytes/workgroup (compile time only)
; SGPRBlocks: 0
; VGPRBlocks: 8
; NumSGPRsForWavesPerEU: 48
; NumVGPRsForWavesPerEU: 66
; Occupancy: 12
; WaveLimiterHint : 1
; COMPUTE_PGM_RSRC2:SCRATCH_EN: 0
; COMPUTE_PGM_RSRC2:USER_SGPR: 6
; COMPUTE_PGM_RSRC2:TRAP_HANDLER: 0
; COMPUTE_PGM_RSRC2:TGID_X_EN: 1
; COMPUTE_PGM_RSRC2:TGID_Y_EN: 1
; COMPUTE_PGM_RSRC2:TGID_Z_EN: 1
; COMPUTE_PGM_RSRC2:TIDIG_COMP_CNT: 0
	.section	.text._ZN4vllm25paged_attention_v2_kernelIffLi80ELi16ELi128ELNS_18Fp8KVCacheDataTypeE0ELb1ELi512EEEvPfS2_PT_PKS3_PKT0_S9_ifPKiSB_iPKfiiiSD_SD_iiiii,"axG",@progbits,_ZN4vllm25paged_attention_v2_kernelIffLi80ELi16ELi128ELNS_18Fp8KVCacheDataTypeE0ELb1ELi512EEEvPfS2_PT_PKS3_PKT0_S9_ifPKiSB_iPKfiiiSD_SD_iiiii,comdat
	.protected	_ZN4vllm25paged_attention_v2_kernelIffLi80ELi16ELi128ELNS_18Fp8KVCacheDataTypeE0ELb1ELi512EEEvPfS2_PT_PKS3_PKT0_S9_ifPKiSB_iPKfiiiSD_SD_iiiii ; -- Begin function _ZN4vllm25paged_attention_v2_kernelIffLi80ELi16ELi128ELNS_18Fp8KVCacheDataTypeE0ELb1ELi512EEEvPfS2_PT_PKS3_PKT0_S9_ifPKiSB_iPKfiiiSD_SD_iiiii
	.globl	_ZN4vllm25paged_attention_v2_kernelIffLi80ELi16ELi128ELNS_18Fp8KVCacheDataTypeE0ELb1ELi512EEEvPfS2_PT_PKS3_PKT0_S9_ifPKiSB_iPKfiiiSD_SD_iiiii
	.p2align	8
	.type	_ZN4vllm25paged_attention_v2_kernelIffLi80ELi16ELi128ELNS_18Fp8KVCacheDataTypeE0ELb1ELi512EEEvPfS2_PT_PKS3_PKT0_S9_ifPKiSB_iPKfiiiSD_SD_iiiii,@function
_ZN4vllm25paged_attention_v2_kernelIffLi80ELi16ELi128ELNS_18Fp8KVCacheDataTypeE0ELb1ELi512EEEvPfS2_PT_PKS3_PKT0_S9_ifPKiSB_iPKfiiiSD_SD_iiiii: ; @_ZN4vllm25paged_attention_v2_kernelIffLi80ELi16ELi128ELNS_18Fp8KVCacheDataTypeE0ELb1ELi512EEEvPfS2_PT_PKS3_PKT0_S9_ifPKiSB_iPKfiiiSD_SD_iiiii
; %bb.0:
	s_load_dwordx2 s[0:1], s[4:5], 0x40
	s_mov_b32 s26, s7
	s_ashr_i32 s27, s7, 31
	s_lshl_b64 s[2:3], s[26:27], 2
	s_waitcnt lgkmcnt(0)
	s_add_u32 s0, s0, s2
	s_addc_u32 s1, s1, s3
	s_lshl_b32 s38, s8, 9
	s_load_dword s27, s[0:1], 0x0
	s_waitcnt lgkmcnt(0)
	s_cmp_ge_i32 s38, s27
	s_cbranch_scc1 .LBB29_96
; %bb.1:
	s_clause 0x1
	s_load_dword s9, s[4:5], 0x90
	s_load_dwordx2 s[36:37], s[4:5], 0x30
	s_mov_b32 s40, 0
	s_waitcnt lgkmcnt(0)
	s_abs_i32 s3, s9
	s_abs_i32 s0, s36
	v_cvt_f32_u32_e32 v1, s0
	s_sub_i32 s2, 0, s0
	v_rcp_iflag_f32_e32 v1, v1
	v_mul_f32_e32 v1, 0x4f7ffffe, v1
	v_cvt_u32_f32_e32 v1, v1
	v_readfirstlane_b32 s1, v1
	s_mul_i32 s2, s2, s1
	s_mul_hi_u32 s2, s1, s2
	s_add_i32 s1, s1, s2
	s_xor_b32 s2, s9, s36
	s_mul_hi_u32 s1, s3, s1
	s_ashr_i32 s2, s2, 31
	s_mul_i32 s7, s1, s0
	s_sub_i32 s3, s3, s7
	s_add_i32 s7, s1, 1
	s_sub_i32 s10, s3, s0
	s_cmp_ge_u32 s3, s0
	s_cselect_b32 s1, s7, s1
	s_cselect_b32 s3, s10, s3
	s_add_i32 s7, s1, 1
	s_cmp_ge_u32 s3, s0
	s_cselect_b32 s0, s7, s1
	s_xor_b32 s0, s0, s2
	s_sub_i32 s10, s0, s2
	s_load_dwordx2 s[0:1], s[4:5], 0x50
	s_abs_i32 s2, s10
	v_cvt_f32_u32_e32 v1, s2
	s_sub_i32 s3, 0, s2
	v_rcp_iflag_f32_e32 v1, v1
	v_mul_f32_e32 v1, 0x4f7ffffe, v1
	v_cvt_u32_f32_e32 v1, v1
	v_readfirstlane_b32 s7, v1
	s_mul_i32 s3, s3, s7
	s_mul_hi_u32 s11, s7, s3
	s_abs_i32 s3, s6
	s_add_i32 s7, s7, s11
	s_waitcnt lgkmcnt(0)
	s_cmp_eq_u64 s[0:1], 0
	s_mul_hi_u32 s20, s3, s7
	s_cbranch_scc1 .LBB29_3
; %bb.2:
	s_ashr_i32 s7, s6, 31
	s_lshl_b64 s[12:13], s[6:7], 2
	s_add_u32 s0, s0, s12
	s_addc_u32 s1, s1, s13
	s_load_dword s40, s[0:1], 0x0
.LBB29_3:
	s_load_dwordx4 s[12:15], s[4:5], 0x58
	v_and_b32_e32 v1, 1, v0
	v_lshlrev_b32_e32 v2, 3, v0
	v_lshlrev_b32_e32 v3, 2, v0
	s_ashr_i32 s0, s6, 31
	s_ashr_i32 s1, s10, 31
	s_mul_i32 s10, s6, 0x50
	s_mov_b32 s7, exec_lo
	v_cmpx_gt_u32_e32 40, v0
	s_cbranch_execz .LBB29_5
; %bb.4:
	s_load_dwordx2 s[16:17], s[4:5], 0x18
	s_waitcnt lgkmcnt(0)
	s_mul_i32 s18, s12, s26
	v_and_b32_e32 v6, 0xff8, v3
	s_ashr_i32 s19, s18, 31
	s_lshl_b64 s[18:19], s[18:19], 2
	v_mad_u32_u24 v6, 0xa0, v1, v6
	s_add_u32 s12, s16, s18
	s_addc_u32 s15, s17, s19
	s_ashr_i32 s11, s10, 31
	s_lshl_b64 s[16:17], s[10:11], 2
	s_add_u32 s16, s12, s16
	s_addc_u32 s17, s15, s17
	global_load_dwordx2 v[4:5], v2, s[16:17]
	s_waitcnt vmcnt(0)
	ds_write_b64 v6, v[4:5]
.LBB29_5:
	s_or_b32 exec_lo, exec_lo, s7
	s_load_dwordx4 s[16:19], s[4:5], 0x78
	s_mul_i32 s7, s20, s2
	s_xor_b32 s0, s0, s1
	s_sub_i32 s1, s3, s7
	s_add_i32 s3, s20, 1
	s_sub_i32 s7, s1, s2
	s_cmp_ge_u32 s1, s2
                                        ; implicit-def: $sgpr33
	s_cselect_b32 s3, s3, s20
	s_cselect_b32 s1, s7, s1
	s_add_i32 s7, s3, 1
	s_cmp_ge_u32 s1, s2
	s_mov_b32 s20, -1
	s_cselect_b32 s1, s7, s3
	s_load_dword s3, s[4:5], 0x88
	s_xor_b32 s1, s1, s0
	s_add_i32 s7, s27, -1
	s_sub_i32 s1, s1, s0
	s_abs_i32 s2, s7
	s_waitcnt lgkmcnt(0)
	s_abs_i32 s11, s19
	s_barrier
	v_cvt_f32_u32_e32 v4, s11
	s_sub_i32 s0, 0, s11
	buffer_gl0_inv
	v_rcp_iflag_f32_e32 v4, v4
	v_mul_f32_e32 v4, 0x4f7ffffe, v4
	v_cvt_u32_f32_e32 v4, v4
	v_readfirstlane_b32 s12, v4
	s_mul_i32 s0, s0, s12
	s_mul_hi_u32 s0, s12, s0
	s_add_i32 s12, s12, s0
	s_cmp_lt_i32 s3, 0
	s_mul_hi_u32 s0, s2, s12
	s_cbranch_scc0 .LBB29_7
; %bb.6:
	s_mul_i32 s15, s16, s36
	s_mov_b32 s20, 0
	s_add_i32 s15, s1, s15
	s_mul_i32 s15, s15, s3
	s_sub_i32 s33, 1, s15
.LBB29_7:
	s_load_dwordx2 s[28:29], s[4:5], 0x38
	s_ashr_i32 s15, s7, 31
	s_andn2_b32 vcc_lo, exec_lo, s20
	s_ashr_i32 s19, s19, 31
	s_cbranch_vccnz .LBB29_9
; %bb.8:
	s_mul_i32 s7, s9, s16
	s_add_i32 s7, s7, s6
	s_mul_i32 s3, s7, s3
	s_add_i32 s33, s3, 1
.LBB29_9:
	s_clause 0x4
	s_load_dword s3, s[4:5], 0x48
	s_load_dwordx2 s[34:35], s[4:5], 0x28
	s_load_dword s7, s[4:5], 0x98
	s_load_dwordx4 s[20:23], s[4:5], 0x0
	s_load_dwordx2 s[24:25], s[4:5], 0x10
	s_mul_i32 s16, s0, s11
	s_xor_b32 s15, s15, s19
	s_sub_i32 s2, s2, s16
	s_add_i32 s36, s0, 1
	v_lshrrev_b32_e32 v48, 5, v0
	v_mov_b32_e32 v5, 0xff7fffff
	v_mbcnt_lo_u32_b32 v4, -1, 0
	s_mul_i32 s14, s1, s14
	v_lshl_add_u32 v49, v48, 4, s38
	s_waitcnt lgkmcnt(0)
	s_mul_i32 s30, s3, s26
	s_sub_i32 s3, s2, s11
	s_ashr_i32 s31, s30, 31
	s_cmp_ge_u32 s2, s11
	s_cselect_b32 s0, s36, s0
	s_cselect_b32 s2, s3, s2
	s_add_i32 s3, s0, 1
	s_cmp_ge_u32 s2, s11
	s_cselect_b32 s0, s3, s0
	s_add_i32 s2, s27, 15
	s_lshl_b32 s41, s8, 5
	s_ashr_i32 s3, s2, 31
	v_or_b32_e32 v45, s41, v48
	s_lshr_b32 s3, s3, 28
	s_add_i32 s2, s2, s3
	s_add_i32 s3, s41, 32
	s_ashr_i32 s36, s2, 4
	s_xor_b32 s2, s0, s15
	s_min_i32 s16, s3, s36
	v_ashrrev_i32_e32 v46, 31, v45
	v_cmp_gt_i32_e64 s0, s16, v45
	s_sub_i32 s39, s2, s15
	s_and_saveexec_b32 s42, s0
	s_cbranch_execz .LBB29_21
; %bb.10:
	s_load_dwordx2 s[2:3], s[4:5], 0x20
	s_ashr_i32 s15, s14, 31
	s_sub_i32 s4, s39, s17
	s_lshl_b64 s[44:45], s[14:15], 2
	v_bfe_u32 v6, v0, 1, 4
	v_cmp_eq_u32_e32 vcc_lo, 0, v1
	v_and_b32_e32 v13, 8, v2
	v_mul_u32_u24_e32 v7, 0xa0, v1
	v_lshlrev_b64 v[1:2], 2, v[45:46]
	v_lshlrev_b32_e32 v11, 2, v6
	v_subrev_nc_u32_e32 v14, s27, v6
	v_lshlrev_b32_e32 v17, 4, v6
	v_cmp_neq_f32_e64 s1, s40, 0
	v_lshl_add_u32 v8, v48, 4, s38
	v_lshl_or_b32 v15, v48, 6, v11
	v_add_nc_u32_e32 v11, 1, v14
	v_mov_b32_e32 v9, 0xff7fffff
	v_xor_b32_e32 v10, 1, v4
	s_waitcnt lgkmcnt(0)
	s_add_u32 s15, s2, s44
	s_addc_u32 s43, s3, s45
	s_abs_i32 s5, s18
	v_cvt_f32_u32_e32 v5, s5
	s_sub_i32 s2, 0, s5
	v_rcp_iflag_f32_e32 v5, v5
	v_mul_f32_e32 v12, 0x4f7ffffe, v5
	v_mov_b32_e32 v5, 0xff7fffff
	v_cvt_u32_f32_e32 v16, v12
	v_add_nc_u32_e32 v12, 0x160, v15
	v_add_co_u32 v15, s15, s15, v17
	v_add_co_ci_u32_e64 v17, null, s43, 0, s15
	v_mul_lo_u32 v14, s2, v16
	s_lshl_b64 s[2:3], s[30:31], 2
	s_mov_b32 s15, 0
	s_add_u32 s2, s28, s2
	s_addc_u32 s3, s29, s3
	v_add_co_u32 v1, s2, s2, v1
	v_add_co_ci_u32_e64 v2, null, s3, v2, s2
	v_mul_hi_u32 v18, v16, v14
	v_add_co_u32 v13, s2, v15, v13
	v_add_co_ci_u32_e64 v14, null, 0, v17, s2
	s_mov_b32 s43, s13
	v_add_nc_u32_e32 v15, v16, v18
	v_mov_b32_e32 v16, v45
	s_branch .LBB29_13
.LBB29_11:                              ;   in Loop: Header=BB29_13 Depth=1
	s_or_b32 exec_lo, exec_lo, s44
.LBB29_12:                              ;   in Loop: Header=BB29_13 Depth=1
	s_or_b32 exec_lo, exec_lo, s3
	v_add_nc_u32_e32 v16, 4, v16
	v_add_co_u32 v1, s3, v1, 16
	v_add_co_ci_u32_e64 v2, null, 0, v2, s3
	v_cmp_le_i32_e64 s2, s16, v16
	v_add_nc_u32_e32 v8, 64, v8
	v_add_nc_u32_e32 v12, 0x100, v12
	s_or_b32 s15, s2, s15
	s_andn2_b32 exec_lo, exec_lo, s15
	s_cbranch_execz .LBB29_20
.LBB29_13:                              ; =>This Inner Loop Header: Depth=1
	v_sub_nc_u32_e32 v17, 0, v8
	v_max_i32_e32 v17, v8, v17
	s_waitcnt lgkmcnt(0)
	v_mul_hi_u32 v18, v17, s12
	v_mul_lo_u32 v19, v18, s11
	v_sub_nc_u32_e32 v17, v17, v19
	v_add_nc_u32_e32 v19, 1, v18
	v_subrev_nc_u32_e32 v20, s11, v17
	v_cmp_le_u32_e64 s2, s11, v17
	v_cndmask_b32_e64 v18, v18, v19, s2
	v_cndmask_b32_e64 v17, v17, v20, s2
	v_ashrrev_i32_e32 v19, 31, v8
	v_add_nc_u32_e32 v20, 1, v18
	v_cmp_le_u32_e64 s2, s11, v17
	v_xor_b32_e32 v19, s19, v19
	v_cndmask_b32_e64 v17, v18, v20, s2
	v_xor_b32_e32 v17, v17, v19
	v_sub_nc_u32_e32 v17, v17, v19
	v_add_nc_u32_e32 v18, s33, v17
	v_cmp_ge_i32_e64 s3, s4, v17
	v_sub_nc_u32_e32 v19, 0, v18
	v_max_i32_e32 v19, v18, v19
	v_ashrrev_i32_e32 v18, 31, v18
	v_mul_hi_u32 v20, v19, v15
	v_mul_lo_u32 v20, v20, s5
	v_sub_nc_u32_e32 v19, v19, v20
	v_subrev_nc_u32_e32 v20, s5, v19
	v_cmp_le_u32_e64 s2, s5, v19
	v_cndmask_b32_e64 v19, v19, v20, s2
	v_subrev_nc_u32_e32 v20, s5, v19
	v_cmp_le_u32_e64 s2, s5, v19
	v_cndmask_b32_e64 v19, v19, v20, s2
	v_xor_b32_e32 v19, v19, v18
	v_sub_nc_u32_e32 v18, v19, v18
	v_cmp_ne_u32_e64 s2, 0, v18
	s_and_b32 s2, s2, s3
	s_and_saveexec_b32 s3, s2
	s_xor_b32 s2, exec_lo, s3
	s_cbranch_execz .LBB29_17
; %bb.14:                               ;   in Loop: Header=BB29_13 Depth=1
	s_and_saveexec_b32 s3, vcc_lo
; %bb.15:                               ;   in Loop: Header=BB29_13 Depth=1
	ds_write_b32 v12, v9
; %bb.16:                               ;   in Loop: Header=BB29_13 Depth=1
	s_or_b32 exec_lo, exec_lo, s3
.LBB29_17:                              ;   in Loop: Header=BB29_13 Depth=1
	s_andn2_saveexec_b32 s3, s2
	s_cbranch_execz .LBB29_12
; %bb.18:                               ;   in Loop: Header=BB29_13 Depth=1
	global_load_dword v17, v[1:2], off
	s_waitcnt vmcnt(0)
	v_mad_i64_i32 v[17:18], null, v17, s43, 0
	v_lshlrev_b64 v[17:18], 2, v[17:18]
	v_add_co_u32 v17, s2, v13, v17
	v_add_co_ci_u32_e64 v18, null, v14, v18, s2
	s_clause 0x7
	global_load_dwordx2 v[29:30], v[17:18], off offset:256
	global_load_dwordx2 v[31:32], v[17:18], off offset:512
	;; [unrolled: 1-line block ×3, first 2 shown]
	global_load_dwordx2 v[35:36], v[17:18], off
	global_load_dwordx2 v[37:38], v[17:18], off offset:1024
	global_load_dwordx2 v[39:40], v[17:18], off offset:1280
	;; [unrolled: 1-line block ×4, first 2 shown]
	v_add_co_u32 v19, s2, v17, 0x1000
	v_add_co_ci_u32_e64 v20, null, 0, v18, s2
	v_add_co_u32 v21, s2, 0x800, v17
	v_add_co_ci_u32_e64 v22, null, 0, v18, s2
	s_clause 0x7
	global_load_dwordx2 v[50:51], v[19:20], off offset:-2048
	global_load_dwordx2 v[52:53], v[21:22], off offset:256
	global_load_dwordx2 v[54:55], v[21:22], off offset:512
	;; [unrolled: 1-line block ×7, first 2 shown]
	v_add_co_u32 v17, s2, 0x1000, v17
	v_add_co_ci_u32_e64 v18, null, 0, v18, s2
	s_clause 0x3
	global_load_dwordx2 v[66:67], v[19:20], off
	global_load_dwordx2 v[68:69], v[17:18], off offset:256
	global_load_dwordx2 v[70:71], v[17:18], off offset:512
	;; [unrolled: 1-line block ×3, first 2 shown]
	ds_read_b128 v[17:20], v7
	ds_read_b128 v[21:24], v7 offset:16
	ds_read_b128 v[25:28], v7 offset:32
	v_cmp_gt_i32_e64 s2, 32, v10
	s_waitcnt vmcnt(19) lgkmcnt(2)
	v_mul_f32_e32 v29, v19, v29
	v_mul_f32_e32 v30, v20, v30
	s_waitcnt vmcnt(16)
	v_fmac_f32_e32 v29, v17, v35
	v_fmac_f32_e32 v30, v18, v36
	ds_read_b128 v[17:20], v7 offset:48
	s_waitcnt lgkmcnt(2)
	v_fmac_f32_e32 v29, v21, v31
	v_fmac_f32_e32 v30, v22, v32
	;; [unrolled: 1-line block ×4, first 2 shown]
	ds_read_b128 v[21:24], v7 offset:64
	s_waitcnt vmcnt(15) lgkmcnt(2)
	v_fmac_f32_e32 v29, v25, v37
	v_fmac_f32_e32 v30, v26, v38
	s_waitcnt vmcnt(14)
	v_fmac_f32_e32 v29, v27, v39
	v_fmac_f32_e32 v30, v28, v40
	ds_read_b128 v[25:28], v7 offset:80
	s_waitcnt vmcnt(13) lgkmcnt(2)
	v_fmac_f32_e32 v29, v17, v41
	v_fmac_f32_e32 v30, v18, v42
	s_waitcnt vmcnt(12)
	v_fmac_f32_e32 v29, v19, v43
	v_fmac_f32_e32 v30, v20, v44
	;; [unrolled: 7-line block ×6, first 2 shown]
	s_waitcnt vmcnt(3) lgkmcnt(1)
	v_fmac_f32_e32 v29, v25, v66
	v_fmac_f32_e32 v30, v26, v67
	s_waitcnt vmcnt(2)
	v_fmac_f32_e32 v29, v27, v68
	v_fmac_f32_e32 v30, v28, v69
	s_waitcnt vmcnt(1) lgkmcnt(0)
	v_fmac_f32_e32 v29, v17, v70
	v_fmac_f32_e32 v30, v18, v71
	v_cndmask_b32_e64 v17, v4, v10, s2
	s_waitcnt vmcnt(0)
	v_fmac_f32_e32 v29, v19, v72
	v_fmac_f32_e32 v30, v20, v73
	v_lshlrev_b32_e32 v18, 2, v17
	v_add_f32_e32 v17, v29, v30
	ds_bpermute_b32 v18, v18, v17
	s_and_saveexec_b32 s44, vcc_lo
	s_cbranch_execz .LBB29_11
; %bb.19:                               ;   in Loop: Header=BB29_13 Depth=1
	v_add_nc_u32_e32 v19, v11, v8
	s_waitcnt lgkmcnt(0)
	v_add_f32_e32 v17, v17, v18
	v_cvt_f32_i32_e32 v19, v19
	v_mul_f32_e32 v19, s40, v19
	v_cndmask_b32_e64 v18, 0, v19, s1
	v_max_f32_e32 v19, v5, v5
	v_fmac_f32_e32 v18, s37, v17
	v_add_nc_u32_e32 v17, v6, v8
	v_max_f32_e32 v19, v19, v18
	v_cmp_gt_i32_e64 s2, s27, v17
	v_cndmask_b32_e64 v17, 0, v18, s2
	v_cndmask_b32_e64 v5, v5, v19, s2
	ds_write_b32 v12, v17
	s_branch .LBB29_11
.LBB29_20:
	s_or_b32 exec_lo, exec_lo, s15
.LBB29_21:
	s_or_b32 exec_lo, exec_lo, s42
	v_xor_b32_e32 v1, 16, v4
	v_xor_b32_e32 v6, 8, v4
	v_max_f32_e32 v7, v5, v5
	v_and_b32_e32 v50, 31, v0
	v_cmp_gt_i32_e32 vcc_lo, 32, v1
	v_cndmask_b32_e32 v1, v4, v1, vcc_lo
	v_cmp_gt_i32_e32 vcc_lo, 32, v6
	v_lshlrev_b32_e32 v2, 2, v1
	ds_bpermute_b32 v1, v2, v5
	v_cndmask_b32_e32 v5, v4, v6, vcc_lo
	v_lshlrev_b32_e32 v5, 2, v5
	s_waitcnt lgkmcnt(0)
	v_max_f32_e32 v1, v1, v1
	v_max_f32_e32 v1, v7, v1
	v_xor_b32_e32 v7, 4, v4
	ds_bpermute_b32 v6, v5, v1
	v_cmp_gt_i32_e32 vcc_lo, 32, v7
	v_cndmask_b32_e32 v7, v4, v7, vcc_lo
	s_waitcnt lgkmcnt(0)
	v_max_f32_e32 v8, v6, v6
	v_lshlrev_b32_e32 v6, 2, v7
	v_max_f32_e32 v1, v1, v8
	v_xor_b32_e32 v8, 2, v4
	ds_bpermute_b32 v7, v6, v1
	v_cmp_gt_i32_e32 vcc_lo, 32, v8
	v_cndmask_b32_e32 v8, v4, v8, vcc_lo
	v_cmp_eq_u32_e32 vcc_lo, 0, v50
	v_lshlrev_b32_e32 v51, 2, v8
	s_waitcnt lgkmcnt(0)
	v_max_f32_e32 v7, v7, v7
	v_max_f32_e32 v1, v1, v7
	v_lshlrev_b32_e32 v7, 2, v48
	ds_bpermute_b32 v8, v51, v1
	s_and_saveexec_b32 s1, vcc_lo
	s_cbranch_execz .LBB29_23
; %bb.22:
	s_waitcnt lgkmcnt(0)
	v_max_f32_e32 v8, v8, v8
	v_max_f32_e32 v1, v1, v1
	;; [unrolled: 1-line block ×3, first 2 shown]
	ds_write_b32 v7, v1 offset:320
.LBB29_23:
	s_or_b32 exec_lo, exec_lo, s1
	v_cmp_gt_u32_e64 s1, 4, v50
	v_mov_b32_e32 v1, 0xff7fffff
	s_waitcnt lgkmcnt(0)
	v_lshlrev_b32_e32 v8, 2, v50
	s_barrier
	buffer_gl0_inv
	s_and_saveexec_b32 s2, s1
; %bb.24:
	ds_read_b32 v1, v8 offset:320
; %bb.25:
	s_or_b32 exec_lo, exec_lo, s2
	s_waitcnt lgkmcnt(0)
	ds_bpermute_b32 v9, v51, v1
	v_xor_b32_e32 v10, 1, v4
	v_max_f32_e32 v1, v1, v1
	v_cmp_gt_i32_e64 s2, 32, v10
	v_cndmask_b32_e64 v4, v4, v10, s2
	s_sub_i32 s2, s16, s41
	s_lshl_b32 s2, s2, 4
	v_lshlrev_b32_e32 v52, 2, v4
	s_add_i32 s2, s2, s38
	s_min_i32 s2, s2, s27
	s_waitcnt lgkmcnt(0)
	v_max_f32_e32 v9, v9, v9
	s_sub_i32 s4, s2, s38
	v_cmp_gt_i32_e64 s2, s4, v0
	v_max_f32_e32 v1, v1, v9
	v_mov_b32_e32 v9, 0
	ds_bpermute_b32 v4, v52, v1
	s_waitcnt lgkmcnt(0)
	v_max_f32_e32 v4, v4, v4
	v_max_f32_e32 v1, v1, v4
	v_lshl_add_u32 v4, v0, 2, 0x160
	ds_bpermute_b32 v1, v9, v1
	s_and_saveexec_b32 s5, s2
	s_cbranch_execz .LBB29_29
; %bb.26:
	v_lshl_add_u32 v10, v0, 2, 0x160
	v_mov_b32_e32 v9, 0
	v_mov_b32_e32 v11, v0
	s_mov_b32 s15, 0
	.p2align	6
.LBB29_27:                              ; =>This Inner Loop Header: Depth=1
	ds_read_b32 v12, v10
	v_add_nc_u32_e32 v11, 0x80, v11
	v_cmp_le_i32_e64 s3, s4, v11
	s_or_b32 s15, s3, s15
	s_waitcnt lgkmcnt(0)
	v_sub_f32_e32 v12, v12, v1
	v_mul_f32_e32 v12, 0x3fb8aa3b, v12
	v_exp_f32_e32 v12, v12
	ds_write_b32 v10, v12
	v_add_f32_e32 v9, v9, v12
	v_add_nc_u32_e32 v10, 0x200, v10
	s_andn2_b32 exec_lo, exec_lo, s15
	s_cbranch_execnz .LBB29_27
; %bb.28:
	s_or_b32 exec_lo, exec_lo, s15
.LBB29_29:
	s_or_b32 exec_lo, exec_lo, s5
	ds_bpermute_b32 v2, v2, v9
	s_waitcnt lgkmcnt(0)
	v_add_f32_e32 v2, v9, v2
	ds_bpermute_b32 v5, v5, v2
	s_waitcnt lgkmcnt(0)
	v_add_f32_e32 v2, v2, v5
	;; [unrolled: 3-line block ×5, first 2 shown]
	s_and_saveexec_b32 s3, vcc_lo
; %bb.30:
	ds_write_b32 v7, v2 offset:336
; %bb.31:
	s_or_b32 exec_lo, exec_lo, s3
	s_waitcnt lgkmcnt(0)
	s_barrier
	buffer_gl0_inv
	s_and_saveexec_b32 s3, s1
; %bb.32:
	ds_read_b32 v2, v8 offset:336
; %bb.33:
	s_or_b32 exec_lo, exec_lo, s3
	s_waitcnt lgkmcnt(0)
	ds_bpermute_b32 v5, v51, v2
	s_waitcnt lgkmcnt(0)
	v_add_f32_e32 v2, v2, v5
	ds_bpermute_b32 v5, v52, v2
	s_waitcnt lgkmcnt(0)
	v_add_f32_e32 v2, v2, v5
	v_mov_b32_e32 v5, 0
	ds_bpermute_b32 v2, v5, v2
	s_and_saveexec_b32 s1, s2
	s_cbranch_execz .LBB29_36
; %bb.34:
	s_waitcnt lgkmcnt(0)
	v_add_f32_e32 v5, 0x358637bd, v2
	s_mov_b32 s2, 0
	v_div_scale_f32 v6, null, v5, v5, 1.0
	v_div_scale_f32 v9, vcc_lo, 1.0, v5, 1.0
	v_rcp_f32_e32 v7, v6
	v_fma_f32 v8, -v6, v7, 1.0
	v_fmac_f32_e32 v7, v8, v7
	v_mul_f32_e32 v8, v9, v7
	v_fma_f32 v10, -v6, v8, v9
	v_fmac_f32_e32 v8, v10, v7
	v_fma_f32 v6, -v6, v8, v9
	v_div_fmas_f32 v6, v6, v7, v8
	v_div_fixup_f32 v5, v6, v5, 1.0
	v_mov_b32_e32 v6, v0
.LBB29_35:                              ; =>This Inner Loop Header: Depth=1
	ds_read_b32 v7, v4
	v_add_nc_u32_e32 v6, 0x80, v6
	v_cmp_le_i32_e32 vcc_lo, s4, v6
	s_or_b32 s2, vcc_lo, s2
	s_waitcnt lgkmcnt(0)
	v_mul_f32_e32 v7, v5, v7
	ds_write_b32 v4, v7
	v_add_nc_u32_e32 v4, 0x200, v4
	s_andn2_b32 exec_lo, exec_lo, s2
	s_cbranch_execnz .LBB29_35
.LBB29_36:
	s_or_b32 exec_lo, exec_lo, s1
	s_mul_i32 s1, s7, s26
	s_waitcnt lgkmcnt(0)
	s_mul_i32 s2, s1, s9
	s_mov_b32 s1, exec_lo
	s_barrier
	buffer_gl0_inv
	v_cmpx_eq_u32_e32 0, v0
	s_cbranch_execz .LBB29_38
; %bb.37:
	s_ashr_i32 s3, s2, 31
	s_mul_i32 s40, s7, s6
	s_lshl_b64 s[4:5], s[2:3], 2
	v_mov_b32_e32 v4, 0
	s_add_u32 s3, s22, s4
	s_addc_u32 s6, s23, s5
	s_ashr_i32 s41, s40, 31
	s_lshl_b64 s[22:23], s[40:41], 2
	s_add_u32 s3, s3, s22
	s_addc_u32 s6, s6, s23
	s_ashr_i32 s9, s8, 31
	s_lshl_b64 s[40:41], s[8:9], 2
	s_add_u32 s42, s3, s40
	s_addc_u32 s43, s6, s41
	s_add_u32 s3, s20, s4
	s_addc_u32 s4, s21, s5
	;; [unrolled: 2-line block ×4, first 2 shown]
	global_store_dword v4, v1, s[42:43]
	global_store_dword v4, v2, s[4:5]
.LBB29_38:
	s_or_b32 exec_lo, exec_lo, s1
	v_mov_b32_e32 v63, 0
	v_and_b32_e32 v53, 3, v0
	v_mov_b32_e32 v62, 0
	v_mov_b32_e32 v61, 0
	v_mov_b32_e32 v60, 0
	v_mov_b32_e32 v59, 0
	v_mov_b32_e32 v58, 0
	v_mov_b32_e32 v57, 0
	v_mov_b32_e32 v56, 0
	v_mov_b32_e32 v55, 0
	v_mov_b32_e32 v54, 0
	s_and_saveexec_b32 s1, s0
	s_cbranch_execz .LBB29_64
; %bb.39:
	s_ashr_i32 s15, s14, 31
	s_sub_i32 s3, s39, s17
	s_lshl_b64 s[4:5], s[14:15], 2
	v_and_b32_e32 v64, 12, v3
	s_add_u32 s0, s34, s4
	s_addc_u32 s5, s35, s5
	s_abs_i32 s4, s18
	v_lshlrev_b32_e32 v3, 4, v0
	v_cvt_f32_u32_e32 v1, s4
	s_sub_i32 s6, 0, s4
	v_lshlrev_b32_e32 v5, 4, v53
	s_lshl_b64 s[14:15], s[30:31], 2
	v_and_b32_e32 v3, 0x1f0, v3
	v_rcp_iflag_f32_e32 v4, v1
	v_lshlrev_b64 v[1:2], 2, v[45:46]
	s_add_i32 s36, s36, -1
	v_lshl_or_b32 v5, v48, 6, v5
	v_add_co_u32 v65, s0, s0, v3
	v_mov_b32_e32 v54, 0
	v_mov_b32_e32 v55, 0
	;; [unrolled: 1-line block ×4, first 2 shown]
	v_mul_f32_e32 v4, 0x4f7ffffe, v4
	v_mov_b32_e32 v58, 0
	v_mov_b32_e32 v59, 0
	;; [unrolled: 1-line block ×4, first 2 shown]
	v_cvt_u32_f32_e32 v4, v4
	v_mov_b32_e32 v62, 0
	v_add_co_ci_u32_e64 v66, null, s5, 0, s0
	v_add_nc_u32_e32 v67, 0x160, v5
	v_mul_lo_u32 v6, s6, v4
	s_add_u32 s6, s28, s14
	s_addc_u32 s9, s29, s15
	v_add_co_u32 v46, vcc_lo, s6, v1
	v_add_co_ci_u32_e64 v47, null, s9, v2, vcc_lo
	v_mov_b32_e32 v63, 0
	v_mul_hi_u32 v6, v4, v6
	s_mov_b32 s6, s13
	s_mov_b32 s5, 0
	v_add_nc_u32_e32 v68, v4, v6
	s_branch .LBB29_42
.LBB29_40:                              ;   in Loop: Header=BB29_42 Depth=1
	s_or_b32 exec_lo, exec_lo, s0
	s_waitcnt vmcnt(1) lgkmcnt(0)
	v_mul_f32_e32 v41, v1, v41
	v_mul_f32_e32 v33, v1, v33
	;; [unrolled: 1-line block ×9, first 2 shown]
	s_waitcnt vmcnt(0)
	v_mul_f32_e32 v1, v1, v37
	v_fmac_f32_e32 v41, v2, v42
	v_fmac_f32_e32 v33, v2, v34
	;; [unrolled: 1-line block ×30, first 2 shown]
	v_add_f32_e32 v55, v55, v41
	v_add_f32_e32 v56, v56, v33
	;; [unrolled: 1-line block ×10, first 2 shown]
.LBB29_41:                              ;   in Loop: Header=BB29_42 Depth=1
	s_or_b32 exec_lo, exec_lo, s9
	v_add_nc_u32_e32 v45, 4, v45
	v_add_co_u32 v46, s0, v46, 16
	v_add_co_ci_u32_e64 v47, null, 0, v47, s0
	v_cmp_le_i32_e32 vcc_lo, s16, v45
	v_add_nc_u32_e32 v49, 64, v49
	v_add_nc_u32_e32 v67, 0x100, v67
	s_or_b32 s5, vcc_lo, s5
	s_andn2_b32 exec_lo, exec_lo, s5
	s_cbranch_execz .LBB29_63
.LBB29_42:                              ; =>This Inner Loop Header: Depth=1
	v_sub_nc_u32_e32 v1, 0, v49
	v_max_i32_e32 v1, v49, v1
	v_mul_hi_u32 v2, v1, s12
	v_mul_lo_u32 v3, v2, s11
	v_sub_nc_u32_e32 v1, v1, v3
	v_add_nc_u32_e32 v3, 1, v2
	v_subrev_nc_u32_e32 v4, s11, v1
	v_cmp_le_u32_e32 vcc_lo, s11, v1
	v_cndmask_b32_e32 v2, v2, v3, vcc_lo
	v_cndmask_b32_e32 v1, v1, v4, vcc_lo
	v_ashrrev_i32_e32 v3, 31, v49
	v_add_nc_u32_e32 v4, 1, v2
	v_cmp_le_u32_e32 vcc_lo, s11, v1
	v_xor_b32_e32 v3, s19, v3
	v_cndmask_b32_e32 v1, v2, v4, vcc_lo
	v_xor_b32_e32 v1, v1, v3
	v_sub_nc_u32_e32 v1, v1, v3
	v_add_nc_u32_e32 v2, s33, v1
	v_cmp_lt_i32_e64 s0, s3, v1
	v_sub_nc_u32_e32 v3, 0, v2
	v_max_i32_e32 v3, v2, v3
	v_ashrrev_i32_e32 v2, 31, v2
	v_mul_hi_u32 v4, v3, v68
	v_mul_lo_u32 v4, v4, s4
	v_sub_nc_u32_e32 v3, v3, v4
	v_subrev_nc_u32_e32 v4, s4, v3
	v_cmp_le_u32_e32 vcc_lo, s4, v3
	v_cndmask_b32_e32 v3, v3, v4, vcc_lo
	v_subrev_nc_u32_e32 v4, s4, v3
	v_cmp_le_u32_e32 vcc_lo, s4, v3
	v_cndmask_b32_e32 v3, v3, v4, vcc_lo
	v_xor_b32_e32 v3, v3, v2
	v_sub_nc_u32_e32 v2, v3, v2
	v_cmp_eq_u32_e32 vcc_lo, 0, v2
	s_or_b32 s0, vcc_lo, s0
	s_and_saveexec_b32 s9, s0
	s_cbranch_execz .LBB29_41
; %bb.43:                               ;   in Loop: Header=BB29_42 Depth=1
	global_load_dword v1, v[46:47], off
	v_add_nc_u32_e32 v69, v64, v49
	v_add_nc_u32_e32 v72, 1, v69
	;; [unrolled: 1-line block ×4, first 2 shown]
	s_waitcnt vmcnt(0)
	v_mad_i64_i32 v[1:2], null, v1, s6, 0
	v_lshlrev_b64 v[1:2], 2, v[1:2]
	v_add_co_u32 v37, vcc_lo, v65, v1
	v_add_co_ci_u32_e64 v38, null, v66, v2, vcc_lo
	ds_read_b128 v[1:4], v67
	v_cmp_eq_u32_e32 vcc_lo, s36, v45
	global_load_dwordx4 v[5:8], v[37:38], off
	s_and_saveexec_b32 s13, vcc_lo
	s_cbranch_execnz .LBB29_57
; %bb.44:                               ;   in Loop: Header=BB29_42 Depth=1
	s_or_b32 exec_lo, exec_lo, s13
	global_load_dwordx4 v[9:12], v[37:38], off offset:512
	s_and_saveexec_b32 s13, vcc_lo
	s_cbranch_execnz .LBB29_58
.LBB29_45:                              ;   in Loop: Header=BB29_42 Depth=1
	s_or_b32 exec_lo, exec_lo, s13
	global_load_dwordx4 v[13:16], v[37:38], off offset:1024
	s_and_saveexec_b32 s13, vcc_lo
	s_cbranch_execnz .LBB29_59
.LBB29_46:                              ;   in Loop: Header=BB29_42 Depth=1
	s_or_b32 exec_lo, exec_lo, s13
	global_load_dwordx4 v[17:20], v[37:38], off offset:1536
	s_and_saveexec_b32 s13, vcc_lo
	s_cbranch_execz .LBB29_48
.LBB29_47:                              ;   in Loop: Header=BB29_42 Depth=1
	v_cmp_gt_i32_e64 s0, s27, v69
	s_waitcnt vmcnt(0)
	v_cndmask_b32_e64 v17, 0, v17, s0
	v_cmp_gt_i32_e64 s0, s27, v72
	v_cndmask_b32_e64 v18, 0, v18, s0
	v_cmp_gt_i32_e64 s0, s27, v71
	;; [unrolled: 2-line block ×3, first 2 shown]
	v_cndmask_b32_e64 v20, 0, v20, s0
.LBB29_48:                              ;   in Loop: Header=BB29_42 Depth=1
	s_or_b32 exec_lo, exec_lo, s13
	v_add_co_u32 v33, s0, 0x800, v37
	v_add_co_ci_u32_e64 v34, null, 0, v38, s0
	global_load_dwordx4 v[21:24], v[33:34], off
	s_and_saveexec_b32 s13, vcc_lo
	s_cbranch_execnz .LBB29_60
; %bb.49:                               ;   in Loop: Header=BB29_42 Depth=1
	s_or_b32 exec_lo, exec_lo, s13
	global_load_dwordx4 v[25:28], v[33:34], off offset:512
	s_and_saveexec_b32 s13, vcc_lo
	s_cbranch_execnz .LBB29_61
.LBB29_50:                              ;   in Loop: Header=BB29_42 Depth=1
	s_or_b32 exec_lo, exec_lo, s13
	global_load_dwordx4 v[29:32], v[33:34], off offset:1024
	s_and_saveexec_b32 s13, vcc_lo
	s_cbranch_execnz .LBB29_62
.LBB29_51:                              ;   in Loop: Header=BB29_42 Depth=1
	s_or_b32 exec_lo, exec_lo, s13
	global_load_dwordx4 v[33:36], v[33:34], off offset:1536
	s_and_saveexec_b32 s13, vcc_lo
	s_cbranch_execz .LBB29_53
.LBB29_52:                              ;   in Loop: Header=BB29_42 Depth=1
	v_cmp_gt_i32_e64 s0, s27, v69
	s_waitcnt vmcnt(0)
	v_cndmask_b32_e64 v33, 0, v33, s0
	v_cmp_gt_i32_e64 s0, s27, v72
	v_cndmask_b32_e64 v34, 0, v34, s0
	v_cmp_gt_i32_e64 s0, s27, v71
	;; [unrolled: 2-line block ×3, first 2 shown]
	v_cndmask_b32_e64 v36, 0, v36, s0
.LBB29_53:                              ;   in Loop: Header=BB29_42 Depth=1
	s_or_b32 exec_lo, exec_lo, s13
	v_add_co_u32 v37, s0, 0x1000, v37
	v_add_co_ci_u32_e64 v38, null, 0, v38, s0
	global_load_dwordx4 v[41:44], v[37:38], off
	s_and_saveexec_b32 s13, vcc_lo
	s_cbranch_execz .LBB29_55
; %bb.54:                               ;   in Loop: Header=BB29_42 Depth=1
	v_cmp_gt_i32_e64 s0, s27, v69
	s_waitcnt vmcnt(0)
	v_cndmask_b32_e64 v41, 0, v41, s0
	v_cmp_gt_i32_e64 s0, s27, v72
	v_cndmask_b32_e64 v42, 0, v42, s0
	v_cmp_gt_i32_e64 s0, s27, v71
	;; [unrolled: 2-line block ×3, first 2 shown]
	v_cndmask_b32_e64 v44, 0, v44, s0
.LBB29_55:                              ;   in Loop: Header=BB29_42 Depth=1
	s_or_b32 exec_lo, exec_lo, s13
	global_load_dwordx4 v[37:40], v[37:38], off offset:512
	s_and_saveexec_b32 s0, vcc_lo
	s_cbranch_execz .LBB29_40
; %bb.56:                               ;   in Loop: Header=BB29_42 Depth=1
	v_cmp_gt_i32_e32 vcc_lo, s27, v69
	s_waitcnt vmcnt(0)
	v_cndmask_b32_e32 v37, 0, v37, vcc_lo
	v_cmp_gt_i32_e32 vcc_lo, s27, v72
	v_cndmask_b32_e32 v38, 0, v38, vcc_lo
	v_cmp_gt_i32_e32 vcc_lo, s27, v71
	;; [unrolled: 2-line block ×3, first 2 shown]
	v_cndmask_b32_e32 v40, 0, v40, vcc_lo
	s_branch .LBB29_40
.LBB29_57:                              ;   in Loop: Header=BB29_42 Depth=1
	v_cmp_gt_i32_e64 s0, s27, v69
	s_waitcnt vmcnt(0)
	v_cndmask_b32_e64 v5, 0, v5, s0
	v_cmp_gt_i32_e64 s0, s27, v72
	v_cndmask_b32_e64 v6, 0, v6, s0
	v_cmp_gt_i32_e64 s0, s27, v71
	v_cndmask_b32_e64 v7, 0, v7, s0
	v_cmp_gt_i32_e64 s0, s27, v70
	v_cndmask_b32_e64 v8, 0, v8, s0
	s_or_b32 exec_lo, exec_lo, s13
	global_load_dwordx4 v[9:12], v[37:38], off offset:512
	s_and_saveexec_b32 s13, vcc_lo
	s_cbranch_execz .LBB29_45
.LBB29_58:                              ;   in Loop: Header=BB29_42 Depth=1
	v_cmp_gt_i32_e64 s0, s27, v69
	s_waitcnt vmcnt(0)
	v_cndmask_b32_e64 v9, 0, v9, s0
	v_cmp_gt_i32_e64 s0, s27, v72
	v_cndmask_b32_e64 v10, 0, v10, s0
	v_cmp_gt_i32_e64 s0, s27, v71
	;; [unrolled: 2-line block ×3, first 2 shown]
	v_cndmask_b32_e64 v12, 0, v12, s0
	s_or_b32 exec_lo, exec_lo, s13
	global_load_dwordx4 v[13:16], v[37:38], off offset:1024
	s_and_saveexec_b32 s13, vcc_lo
	s_cbranch_execz .LBB29_46
.LBB29_59:                              ;   in Loop: Header=BB29_42 Depth=1
	v_cmp_gt_i32_e64 s0, s27, v69
	s_waitcnt vmcnt(0)
	v_cndmask_b32_e64 v13, 0, v13, s0
	v_cmp_gt_i32_e64 s0, s27, v72
	v_cndmask_b32_e64 v14, 0, v14, s0
	v_cmp_gt_i32_e64 s0, s27, v71
	;; [unrolled: 2-line block ×3, first 2 shown]
	v_cndmask_b32_e64 v16, 0, v16, s0
	s_or_b32 exec_lo, exec_lo, s13
	global_load_dwordx4 v[17:20], v[37:38], off offset:1536
	s_and_saveexec_b32 s13, vcc_lo
	s_cbranch_execnz .LBB29_47
	s_branch .LBB29_48
.LBB29_60:                              ;   in Loop: Header=BB29_42 Depth=1
	v_cmp_gt_i32_e64 s0, s27, v69
	s_waitcnt vmcnt(0)
	v_cndmask_b32_e64 v21, 0, v21, s0
	v_cmp_gt_i32_e64 s0, s27, v72
	v_cndmask_b32_e64 v22, 0, v22, s0
	v_cmp_gt_i32_e64 s0, s27, v71
	;; [unrolled: 2-line block ×3, first 2 shown]
	v_cndmask_b32_e64 v24, 0, v24, s0
	s_or_b32 exec_lo, exec_lo, s13
	global_load_dwordx4 v[25:28], v[33:34], off offset:512
	s_and_saveexec_b32 s13, vcc_lo
	s_cbranch_execz .LBB29_50
.LBB29_61:                              ;   in Loop: Header=BB29_42 Depth=1
	v_cmp_gt_i32_e64 s0, s27, v69
	s_waitcnt vmcnt(0)
	v_cndmask_b32_e64 v25, 0, v25, s0
	v_cmp_gt_i32_e64 s0, s27, v72
	v_cndmask_b32_e64 v26, 0, v26, s0
	v_cmp_gt_i32_e64 s0, s27, v71
	;; [unrolled: 2-line block ×3, first 2 shown]
	v_cndmask_b32_e64 v28, 0, v28, s0
	s_or_b32 exec_lo, exec_lo, s13
	global_load_dwordx4 v[29:32], v[33:34], off offset:1024
	s_and_saveexec_b32 s13, vcc_lo
	s_cbranch_execz .LBB29_51
.LBB29_62:                              ;   in Loop: Header=BB29_42 Depth=1
	v_cmp_gt_i32_e64 s0, s27, v69
	s_waitcnt vmcnt(0)
	v_cndmask_b32_e64 v29, 0, v29, s0
	v_cmp_gt_i32_e64 s0, s27, v72
	v_cndmask_b32_e64 v30, 0, v30, s0
	v_cmp_gt_i32_e64 s0, s27, v71
	;; [unrolled: 2-line block ×3, first 2 shown]
	v_cndmask_b32_e64 v32, 0, v32, s0
	s_or_b32 exec_lo, exec_lo, s13
	global_load_dwordx4 v[33:36], v[33:34], off offset:1536
	s_and_saveexec_b32 s13, vcc_lo
	s_cbranch_execnz .LBB29_52
	s_branch .LBB29_53
.LBB29_63:
	s_or_b32 exec_lo, exec_lo, s5
.LBB29_64:
	s_or_b32 exec_lo, exec_lo, s1
	ds_bpermute_b32 v1, v51, v63
	ds_bpermute_b32 v2, v51, v62
	;; [unrolled: 1-line block ×10, first 2 shown]
	v_and_b32_e32 v12, 28, v50
	v_lshrrev_b32_e32 v11, 2, v50
	v_mul_u32_u24_e32 v13, 0x140, v48
	v_and_b32_e32 v24, 0x3c3, v0
	s_mov_b32 s0, exec_lo
	v_add_nc_u32_e32 v12, 0x160, v12
	s_waitcnt lgkmcnt(0)
	s_waitcnt_vscnt null, 0x0
	s_barrier
	buffer_gl0_inv
	v_add_f32_e32 v1, v63, v1
	v_add_f32_e32 v2, v62, v2
	;; [unrolled: 1-line block ×10, first 2 shown]
	ds_bpermute_b32 v14, v52, v1
	ds_bpermute_b32 v15, v52, v2
	ds_bpermute_b32 v16, v52, v3
	ds_bpermute_b32 v17, v52, v4
	ds_bpermute_b32 v18, v52, v5
	ds_bpermute_b32 v19, v52, v6
	ds_bpermute_b32 v20, v52, v7
	ds_bpermute_b32 v21, v52, v8
	ds_bpermute_b32 v22, v52, v9
	ds_bpermute_b32 v23, v52, v10
	s_waitcnt lgkmcnt(9)
	v_add_f32_e32 v1, v1, v14
	s_waitcnt lgkmcnt(8)
	v_add_f32_e32 v2, v2, v15
	;; [unrolled: 2-line block ×10, first 2 shown]
	v_cmpx_eq_u32_e32 64, v24
	s_cbranch_execz .LBB29_66
; %bb.65:
	v_add_nc_u32_e32 v14, v12, v13
	v_add_nc_u32_e32 v15, 0xfffffd80, v14
	;; [unrolled: 1-line block ×6, first 2 shown]
	ds_write_b32 v15, v1
	ds_write_b32 v16, v2
	ds_write_b32 v17, v3
	ds_write_b32 v18, v4
	ds_write_b32 v19, v5
	v_add_nc_u32_e32 v15, 0xfffffe20, v14
	v_add_nc_u32_e32 v16, 0xfffffe40, v14
	;; [unrolled: 1-line block ×5, first 2 shown]
	ds_write_b32 v15, v6
	ds_write_b32 v16, v7
	;; [unrolled: 1-line block ×5, first 2 shown]
.LBB29_66:
	s_or_b32 exec_lo, exec_lo, s0
	v_lshlrev_b32_e32 v11, 2, v11
	s_mov_b32 s1, exec_lo
	v_cmp_eq_u32_e32 vcc_lo, 0, v53
	s_waitcnt lgkmcnt(0)
	s_barrier
	v_add3_u32 v11, 0x160, v13, v11
	buffer_gl0_inv
	v_cmpx_gt_u32_e32 64, v0
	s_cbranch_execz .LBB29_79
; %bb.67:
	s_and_saveexec_b32 s0, vcc_lo
	s_cbranch_execnz .LBB29_97
; %bb.68:
	s_or_b32 exec_lo, exec_lo, s0
	s_and_saveexec_b32 s0, vcc_lo
	s_cbranch_execnz .LBB29_98
.LBB29_69:
	s_or_b32 exec_lo, exec_lo, s0
	s_and_saveexec_b32 s0, vcc_lo
	s_cbranch_execnz .LBB29_99
.LBB29_70:
	s_or_b32 exec_lo, exec_lo, s0
	s_and_saveexec_b32 s0, vcc_lo
	s_cbranch_execnz .LBB29_100
.LBB29_71:
	s_or_b32 exec_lo, exec_lo, s0
	s_and_saveexec_b32 s0, vcc_lo
	s_cbranch_execnz .LBB29_101
.LBB29_72:
	s_or_b32 exec_lo, exec_lo, s0
	s_and_saveexec_b32 s0, vcc_lo
	s_cbranch_execnz .LBB29_102
.LBB29_73:
	s_or_b32 exec_lo, exec_lo, s0
	s_and_saveexec_b32 s0, vcc_lo
	s_cbranch_execnz .LBB29_103
.LBB29_74:
	s_or_b32 exec_lo, exec_lo, s0
	s_and_saveexec_b32 s0, vcc_lo
	s_cbranch_execnz .LBB29_104
.LBB29_75:
	s_or_b32 exec_lo, exec_lo, s0
	s_and_saveexec_b32 s0, vcc_lo
	s_cbranch_execnz .LBB29_105
.LBB29_76:
	s_or_b32 exec_lo, exec_lo, s0
	s_and_saveexec_b32 s0, vcc_lo
	s_cbranch_execz .LBB29_78
.LBB29_77:
	ds_read_b32 v13, v11 offset:288
	s_waitcnt lgkmcnt(0)
	v_add_f32_e32 v10, v10, v13
.LBB29_78:
	s_or_b32 exec_lo, exec_lo, s0
.LBB29_79:
	s_or_b32 exec_lo, exec_lo, s1
	v_and_b32_e32 v13, 0x3e3, v0
	s_mov_b32 s1, exec_lo
	s_barrier
	buffer_gl0_inv
	v_cmpx_eq_u32_e32 32, v13
	s_cbranch_execz .LBB29_81
; %bb.80:
	ds_write2_b32 v12, v1, v2 offset1:8
	ds_write2_b32 v12, v3, v4 offset0:16 offset1:24
	ds_write2_b32 v12, v5, v6 offset0:32 offset1:40
	ds_write2_b32 v12, v7, v8 offset0:48 offset1:56
	ds_write2_b32 v12, v9, v10 offset0:64 offset1:72
.LBB29_81:
	s_or_b32 exec_lo, exec_lo, s1
	s_mov_b32 s1, exec_lo
	s_waitcnt lgkmcnt(0)
	s_barrier
	buffer_gl0_inv
	v_cmpx_gt_u32_e32 32, v0
	s_cbranch_execz .LBB29_94
; %bb.82:
	s_and_saveexec_b32 s0, vcc_lo
	s_cbranch_execnz .LBB29_106
; %bb.83:
	s_or_b32 exec_lo, exec_lo, s0
	s_and_saveexec_b32 s0, vcc_lo
	s_cbranch_execnz .LBB29_107
.LBB29_84:
	s_or_b32 exec_lo, exec_lo, s0
	s_and_saveexec_b32 s0, vcc_lo
	s_cbranch_execnz .LBB29_108
.LBB29_85:
	s_or_b32 exec_lo, exec_lo, s0
	s_and_saveexec_b32 s0, vcc_lo
	s_cbranch_execnz .LBB29_109
.LBB29_86:
	s_or_b32 exec_lo, exec_lo, s0
	s_and_saveexec_b32 s0, vcc_lo
	s_cbranch_execnz .LBB29_110
.LBB29_87:
	s_or_b32 exec_lo, exec_lo, s0
	s_and_saveexec_b32 s0, vcc_lo
	s_cbranch_execnz .LBB29_111
.LBB29_88:
	s_or_b32 exec_lo, exec_lo, s0
	s_and_saveexec_b32 s0, vcc_lo
	s_cbranch_execnz .LBB29_112
.LBB29_89:
	s_or_b32 exec_lo, exec_lo, s0
	s_and_saveexec_b32 s0, vcc_lo
	s_cbranch_execnz .LBB29_113
.LBB29_90:
	s_or_b32 exec_lo, exec_lo, s0
	s_and_saveexec_b32 s0, vcc_lo
	s_cbranch_execnz .LBB29_114
.LBB29_91:
	s_or_b32 exec_lo, exec_lo, s0
	s_and_saveexec_b32 s0, vcc_lo
	s_cbranch_execz .LBB29_93
.LBB29_92:
	ds_read_b32 v11, v11 offset:288
	s_waitcnt lgkmcnt(0)
	v_add_f32_e32 v10, v10, v11
.LBB29_93:
	s_or_b32 exec_lo, exec_lo, s0
.LBB29_94:
	s_or_b32 exec_lo, exec_lo, s1
	s_barrier
	buffer_gl0_inv
	s_mov_b32 s0, exec_lo
	v_cmpx_eq_u32_e32 0, v13
	s_cbranch_execz .LBB29_96
; %bb.95:
	s_mul_i32 s0, s2, 0x50
	s_mul_i32 s2, s7, s10
	s_ashr_i32 s1, s0, 31
	s_lshl_b64 s[0:1], s[0:1], 2
	s_add_u32 s4, s24, s0
	s_addc_u32 s5, s25, s1
	s_ashr_i32 s3, s2, 31
	s_lshl_b64 s[0:1], s[2:3], 2
	s_mul_i32 s2, s8, 0x50
	s_add_u32 s4, s4, s0
	s_addc_u32 s5, s5, s1
	s_ashr_i32 s3, s2, 31
	s_lshl_b64 s[0:1], s[2:3], 2
	s_add_u32 s0, s4, s0
	s_addc_u32 s1, s5, s1
	global_store_dword v0, v1, s[0:1]
	global_store_dword v0, v2, s[0:1] offset:32
	global_store_dword v0, v3, s[0:1] offset:64
	;; [unrolled: 1-line block ×9, first 2 shown]
.LBB29_96:
	s_endpgm
.LBB29_97:
	ds_read_b32 v13, v11
	s_waitcnt lgkmcnt(0)
	v_add_f32_e32 v1, v1, v13
	s_or_b32 exec_lo, exec_lo, s0
	s_and_saveexec_b32 s0, vcc_lo
	s_cbranch_execz .LBB29_69
.LBB29_98:
	ds_read_b32 v13, v11 offset:32
	s_waitcnt lgkmcnt(0)
	v_add_f32_e32 v2, v2, v13
	s_or_b32 exec_lo, exec_lo, s0
	s_and_saveexec_b32 s0, vcc_lo
	s_cbranch_execz .LBB29_70
.LBB29_99:
	ds_read_b32 v13, v11 offset:64
	s_waitcnt lgkmcnt(0)
	v_add_f32_e32 v3, v3, v13
	s_or_b32 exec_lo, exec_lo, s0
	s_and_saveexec_b32 s0, vcc_lo
	s_cbranch_execz .LBB29_71
.LBB29_100:
	ds_read_b32 v13, v11 offset:96
	s_waitcnt lgkmcnt(0)
	v_add_f32_e32 v4, v4, v13
	s_or_b32 exec_lo, exec_lo, s0
	s_and_saveexec_b32 s0, vcc_lo
	s_cbranch_execz .LBB29_72
.LBB29_101:
	ds_read_b32 v13, v11 offset:128
	s_waitcnt lgkmcnt(0)
	v_add_f32_e32 v5, v5, v13
	s_or_b32 exec_lo, exec_lo, s0
	s_and_saveexec_b32 s0, vcc_lo
	s_cbranch_execz .LBB29_73
.LBB29_102:
	ds_read_b32 v13, v11 offset:160
	s_waitcnt lgkmcnt(0)
	v_add_f32_e32 v6, v6, v13
	s_or_b32 exec_lo, exec_lo, s0
	s_and_saveexec_b32 s0, vcc_lo
	s_cbranch_execz .LBB29_74
.LBB29_103:
	ds_read_b32 v13, v11 offset:192
	s_waitcnt lgkmcnt(0)
	v_add_f32_e32 v7, v7, v13
	s_or_b32 exec_lo, exec_lo, s0
	s_and_saveexec_b32 s0, vcc_lo
	s_cbranch_execz .LBB29_75
.LBB29_104:
	ds_read_b32 v13, v11 offset:224
	s_waitcnt lgkmcnt(0)
	v_add_f32_e32 v8, v8, v13
	s_or_b32 exec_lo, exec_lo, s0
	s_and_saveexec_b32 s0, vcc_lo
	s_cbranch_execz .LBB29_76
.LBB29_105:
	ds_read_b32 v13, v11 offset:256
	s_waitcnt lgkmcnt(0)
	v_add_f32_e32 v9, v9, v13
	s_or_b32 exec_lo, exec_lo, s0
	s_and_saveexec_b32 s0, vcc_lo
	s_cbranch_execnz .LBB29_77
	s_branch .LBB29_78
.LBB29_106:
	ds_read_b32 v12, v11
	s_waitcnt lgkmcnt(0)
	v_add_f32_e32 v1, v1, v12
	s_or_b32 exec_lo, exec_lo, s0
	s_and_saveexec_b32 s0, vcc_lo
	s_cbranch_execz .LBB29_84
.LBB29_107:
	ds_read_b32 v12, v11 offset:32
	s_waitcnt lgkmcnt(0)
	v_add_f32_e32 v2, v2, v12
	s_or_b32 exec_lo, exec_lo, s0
	s_and_saveexec_b32 s0, vcc_lo
	s_cbranch_execz .LBB29_85
.LBB29_108:
	ds_read_b32 v12, v11 offset:64
	s_waitcnt lgkmcnt(0)
	v_add_f32_e32 v3, v3, v12
	s_or_b32 exec_lo, exec_lo, s0
	s_and_saveexec_b32 s0, vcc_lo
	s_cbranch_execz .LBB29_86
.LBB29_109:
	ds_read_b32 v12, v11 offset:96
	s_waitcnt lgkmcnt(0)
	v_add_f32_e32 v4, v4, v12
	s_or_b32 exec_lo, exec_lo, s0
	s_and_saveexec_b32 s0, vcc_lo
	s_cbranch_execz .LBB29_87
.LBB29_110:
	ds_read_b32 v12, v11 offset:128
	s_waitcnt lgkmcnt(0)
	v_add_f32_e32 v5, v5, v12
	s_or_b32 exec_lo, exec_lo, s0
	s_and_saveexec_b32 s0, vcc_lo
	s_cbranch_execz .LBB29_88
.LBB29_111:
	ds_read_b32 v12, v11 offset:160
	s_waitcnt lgkmcnt(0)
	v_add_f32_e32 v6, v6, v12
	s_or_b32 exec_lo, exec_lo, s0
	s_and_saveexec_b32 s0, vcc_lo
	s_cbranch_execz .LBB29_89
.LBB29_112:
	ds_read_b32 v12, v11 offset:192
	s_waitcnt lgkmcnt(0)
	v_add_f32_e32 v7, v7, v12
	s_or_b32 exec_lo, exec_lo, s0
	s_and_saveexec_b32 s0, vcc_lo
	s_cbranch_execz .LBB29_90
.LBB29_113:
	ds_read_b32 v12, v11 offset:224
	s_waitcnt lgkmcnt(0)
	v_add_f32_e32 v8, v8, v12
	s_or_b32 exec_lo, exec_lo, s0
	s_and_saveexec_b32 s0, vcc_lo
	s_cbranch_execz .LBB29_91
.LBB29_114:
	ds_read_b32 v12, v11 offset:256
	s_waitcnt lgkmcnt(0)
	v_add_f32_e32 v9, v9, v12
	s_or_b32 exec_lo, exec_lo, s0
	s_and_saveexec_b32 s0, vcc_lo
	s_cbranch_execnz .LBB29_92
	s_branch .LBB29_93
	.section	.rodata,"a",@progbits
	.p2align	6, 0x0
	.amdhsa_kernel _ZN4vllm25paged_attention_v2_kernelIffLi80ELi16ELi128ELNS_18Fp8KVCacheDataTypeE0ELb1ELi512EEEvPfS2_PT_PKS3_PKT0_S9_ifPKiSB_iPKfiiiSD_SD_iiiii
		.amdhsa_group_segment_fixed_size 352
		.amdhsa_private_segment_fixed_size 0
		.amdhsa_kernarg_size 400
		.amdhsa_user_sgpr_count 6
		.amdhsa_user_sgpr_private_segment_buffer 1
		.amdhsa_user_sgpr_dispatch_ptr 0
		.amdhsa_user_sgpr_queue_ptr 0
		.amdhsa_user_sgpr_kernarg_segment_ptr 1
		.amdhsa_user_sgpr_dispatch_id 0
		.amdhsa_user_sgpr_flat_scratch_init 0
		.amdhsa_user_sgpr_private_segment_size 0
		.amdhsa_wavefront_size32 1
		.amdhsa_uses_dynamic_stack 0
		.amdhsa_system_sgpr_private_segment_wavefront_offset 0
		.amdhsa_system_sgpr_workgroup_id_x 1
		.amdhsa_system_sgpr_workgroup_id_y 1
		.amdhsa_system_sgpr_workgroup_id_z 1
		.amdhsa_system_sgpr_workgroup_info 0
		.amdhsa_system_vgpr_workitem_id 0
		.amdhsa_next_free_vgpr 74
		.amdhsa_next_free_sgpr 46
		.amdhsa_reserve_vcc 1
		.amdhsa_reserve_flat_scratch 0
		.amdhsa_float_round_mode_32 0
		.amdhsa_float_round_mode_16_64 0
		.amdhsa_float_denorm_mode_32 3
		.amdhsa_float_denorm_mode_16_64 3
		.amdhsa_dx10_clamp 1
		.amdhsa_ieee_mode 1
		.amdhsa_fp16_overflow 0
		.amdhsa_workgroup_processor_mode 1
		.amdhsa_memory_ordered 1
		.amdhsa_forward_progress 1
		.amdhsa_shared_vgpr_count 0
		.amdhsa_exception_fp_ieee_invalid_op 0
		.amdhsa_exception_fp_denorm_src 0
		.amdhsa_exception_fp_ieee_div_zero 0
		.amdhsa_exception_fp_ieee_overflow 0
		.amdhsa_exception_fp_ieee_underflow 0
		.amdhsa_exception_fp_ieee_inexact 0
		.amdhsa_exception_int_div_zero 0
	.end_amdhsa_kernel
	.section	.text._ZN4vllm25paged_attention_v2_kernelIffLi80ELi16ELi128ELNS_18Fp8KVCacheDataTypeE0ELb1ELi512EEEvPfS2_PT_PKS3_PKT0_S9_ifPKiSB_iPKfiiiSD_SD_iiiii,"axG",@progbits,_ZN4vllm25paged_attention_v2_kernelIffLi80ELi16ELi128ELNS_18Fp8KVCacheDataTypeE0ELb1ELi512EEEvPfS2_PT_PKS3_PKT0_S9_ifPKiSB_iPKfiiiSD_SD_iiiii,comdat
.Lfunc_end29:
	.size	_ZN4vllm25paged_attention_v2_kernelIffLi80ELi16ELi128ELNS_18Fp8KVCacheDataTypeE0ELb1ELi512EEEvPfS2_PT_PKS3_PKT0_S9_ifPKiSB_iPKfiiiSD_SD_iiiii, .Lfunc_end29-_ZN4vllm25paged_attention_v2_kernelIffLi80ELi16ELi128ELNS_18Fp8KVCacheDataTypeE0ELb1ELi512EEEvPfS2_PT_PKS3_PKT0_S9_ifPKiSB_iPKfiiiSD_SD_iiiii
                                        ; -- End function
	.set _ZN4vllm25paged_attention_v2_kernelIffLi80ELi16ELi128ELNS_18Fp8KVCacheDataTypeE0ELb1ELi512EEEvPfS2_PT_PKS3_PKT0_S9_ifPKiSB_iPKfiiiSD_SD_iiiii.num_vgpr, 74
	.set _ZN4vllm25paged_attention_v2_kernelIffLi80ELi16ELi128ELNS_18Fp8KVCacheDataTypeE0ELb1ELi512EEEvPfS2_PT_PKS3_PKT0_S9_ifPKiSB_iPKfiiiSD_SD_iiiii.num_agpr, 0
	.set _ZN4vllm25paged_attention_v2_kernelIffLi80ELi16ELi128ELNS_18Fp8KVCacheDataTypeE0ELb1ELi512EEEvPfS2_PT_PKS3_PKT0_S9_ifPKiSB_iPKfiiiSD_SD_iiiii.numbered_sgpr, 46
	.set _ZN4vllm25paged_attention_v2_kernelIffLi80ELi16ELi128ELNS_18Fp8KVCacheDataTypeE0ELb1ELi512EEEvPfS2_PT_PKS3_PKT0_S9_ifPKiSB_iPKfiiiSD_SD_iiiii.num_named_barrier, 0
	.set _ZN4vllm25paged_attention_v2_kernelIffLi80ELi16ELi128ELNS_18Fp8KVCacheDataTypeE0ELb1ELi512EEEvPfS2_PT_PKS3_PKT0_S9_ifPKiSB_iPKfiiiSD_SD_iiiii.private_seg_size, 0
	.set _ZN4vllm25paged_attention_v2_kernelIffLi80ELi16ELi128ELNS_18Fp8KVCacheDataTypeE0ELb1ELi512EEEvPfS2_PT_PKS3_PKT0_S9_ifPKiSB_iPKfiiiSD_SD_iiiii.uses_vcc, 1
	.set _ZN4vllm25paged_attention_v2_kernelIffLi80ELi16ELi128ELNS_18Fp8KVCacheDataTypeE0ELb1ELi512EEEvPfS2_PT_PKS3_PKT0_S9_ifPKiSB_iPKfiiiSD_SD_iiiii.uses_flat_scratch, 0
	.set _ZN4vllm25paged_attention_v2_kernelIffLi80ELi16ELi128ELNS_18Fp8KVCacheDataTypeE0ELb1ELi512EEEvPfS2_PT_PKS3_PKT0_S9_ifPKiSB_iPKfiiiSD_SD_iiiii.has_dyn_sized_stack, 0
	.set _ZN4vllm25paged_attention_v2_kernelIffLi80ELi16ELi128ELNS_18Fp8KVCacheDataTypeE0ELb1ELi512EEEvPfS2_PT_PKS3_PKT0_S9_ifPKiSB_iPKfiiiSD_SD_iiiii.has_recursion, 0
	.set _ZN4vllm25paged_attention_v2_kernelIffLi80ELi16ELi128ELNS_18Fp8KVCacheDataTypeE0ELb1ELi512EEEvPfS2_PT_PKS3_PKT0_S9_ifPKiSB_iPKfiiiSD_SD_iiiii.has_indirect_call, 0
	.section	.AMDGPU.csdata,"",@progbits
; Kernel info:
; codeLenInByte = 6540
; TotalNumSgprs: 48
; NumVgprs: 74
; ScratchSize: 0
; MemoryBound: 0
; FloatMode: 240
; IeeeMode: 1
; LDSByteSize: 352 bytes/workgroup (compile time only)
; SGPRBlocks: 0
; VGPRBlocks: 9
; NumSGPRsForWavesPerEU: 48
; NumVGPRsForWavesPerEU: 74
; Occupancy: 12
; WaveLimiterHint : 1
; COMPUTE_PGM_RSRC2:SCRATCH_EN: 0
; COMPUTE_PGM_RSRC2:USER_SGPR: 6
; COMPUTE_PGM_RSRC2:TRAP_HANDLER: 0
; COMPUTE_PGM_RSRC2:TGID_X_EN: 1
; COMPUTE_PGM_RSRC2:TGID_Y_EN: 1
; COMPUTE_PGM_RSRC2:TGID_Z_EN: 1
; COMPUTE_PGM_RSRC2:TIDIG_COMP_CNT: 0
	.section	.text._ZN4vllm25paged_attention_v2_kernelIffLi96ELi16ELi128ELNS_18Fp8KVCacheDataTypeE0ELb1ELi512EEEvPfS2_PT_PKS3_PKT0_S9_ifPKiSB_iPKfiiiSD_SD_iiiii,"axG",@progbits,_ZN4vllm25paged_attention_v2_kernelIffLi96ELi16ELi128ELNS_18Fp8KVCacheDataTypeE0ELb1ELi512EEEvPfS2_PT_PKS3_PKT0_S9_ifPKiSB_iPKfiiiSD_SD_iiiii,comdat
	.protected	_ZN4vllm25paged_attention_v2_kernelIffLi96ELi16ELi128ELNS_18Fp8KVCacheDataTypeE0ELb1ELi512EEEvPfS2_PT_PKS3_PKT0_S9_ifPKiSB_iPKfiiiSD_SD_iiiii ; -- Begin function _ZN4vllm25paged_attention_v2_kernelIffLi96ELi16ELi128ELNS_18Fp8KVCacheDataTypeE0ELb1ELi512EEEvPfS2_PT_PKS3_PKT0_S9_ifPKiSB_iPKfiiiSD_SD_iiiii
	.globl	_ZN4vllm25paged_attention_v2_kernelIffLi96ELi16ELi128ELNS_18Fp8KVCacheDataTypeE0ELb1ELi512EEEvPfS2_PT_PKS3_PKT0_S9_ifPKiSB_iPKfiiiSD_SD_iiiii
	.p2align	8
	.type	_ZN4vllm25paged_attention_v2_kernelIffLi96ELi16ELi128ELNS_18Fp8KVCacheDataTypeE0ELb1ELi512EEEvPfS2_PT_PKS3_PKT0_S9_ifPKiSB_iPKfiiiSD_SD_iiiii,@function
_ZN4vllm25paged_attention_v2_kernelIffLi96ELi16ELi128ELNS_18Fp8KVCacheDataTypeE0ELb1ELi512EEEvPfS2_PT_PKS3_PKT0_S9_ifPKiSB_iPKfiiiSD_SD_iiiii: ; @_ZN4vllm25paged_attention_v2_kernelIffLi96ELi16ELi128ELNS_18Fp8KVCacheDataTypeE0ELb1ELi512EEEvPfS2_PT_PKS3_PKT0_S9_ifPKiSB_iPKfiiiSD_SD_iiiii
; %bb.0:
	s_load_dwordx2 s[0:1], s[4:5], 0x40
	s_mov_b32 s26, s7
	s_ashr_i32 s27, s7, 31
	s_lshl_b64 s[2:3], s[26:27], 2
	s_waitcnt lgkmcnt(0)
	s_add_u32 s0, s0, s2
	s_addc_u32 s1, s1, s3
	s_lshl_b32 s38, s8, 9
	s_load_dword s27, s[0:1], 0x0
	s_waitcnt lgkmcnt(0)
	s_cmp_ge_i32 s38, s27
	s_cbranch_scc1 .LBB30_104
; %bb.1:
	s_clause 0x1
	s_load_dword s9, s[4:5], 0x90
	s_load_dwordx2 s[36:37], s[4:5], 0x30
	s_mov_b32 s40, 0
	s_waitcnt lgkmcnt(0)
	s_abs_i32 s3, s9
	s_abs_i32 s0, s36
	v_cvt_f32_u32_e32 v1, s0
	s_sub_i32 s2, 0, s0
	v_rcp_iflag_f32_e32 v1, v1
	v_mul_f32_e32 v1, 0x4f7ffffe, v1
	v_cvt_u32_f32_e32 v1, v1
	v_readfirstlane_b32 s1, v1
	s_mul_i32 s2, s2, s1
	s_mul_hi_u32 s2, s1, s2
	s_add_i32 s1, s1, s2
	s_xor_b32 s2, s9, s36
	s_mul_hi_u32 s1, s3, s1
	s_ashr_i32 s2, s2, 31
	s_mul_i32 s7, s1, s0
	s_sub_i32 s3, s3, s7
	s_add_i32 s7, s1, 1
	s_sub_i32 s10, s3, s0
	s_cmp_ge_u32 s3, s0
	s_cselect_b32 s1, s7, s1
	s_cselect_b32 s3, s10, s3
	s_add_i32 s7, s1, 1
	s_cmp_ge_u32 s3, s0
	s_cselect_b32 s0, s7, s1
	s_xor_b32 s0, s0, s2
	s_sub_i32 s10, s0, s2
	s_load_dwordx2 s[0:1], s[4:5], 0x50
	s_abs_i32 s2, s10
	v_cvt_f32_u32_e32 v1, s2
	s_sub_i32 s3, 0, s2
	v_rcp_iflag_f32_e32 v1, v1
	v_mul_f32_e32 v1, 0x4f7ffffe, v1
	v_cvt_u32_f32_e32 v1, v1
	v_readfirstlane_b32 s7, v1
	s_mul_i32 s3, s3, s7
	s_mul_hi_u32 s11, s7, s3
	s_abs_i32 s3, s6
	s_add_i32 s7, s7, s11
	s_waitcnt lgkmcnt(0)
	s_cmp_eq_u64 s[0:1], 0
	s_mul_hi_u32 s20, s3, s7
	s_cbranch_scc1 .LBB30_3
; %bb.2:
	s_ashr_i32 s7, s6, 31
	s_lshl_b64 s[12:13], s[6:7], 2
	s_add_u32 s0, s0, s12
	s_addc_u32 s1, s1, s13
	s_load_dword s40, s[0:1], 0x0
.LBB30_3:
	s_load_dwordx4 s[12:15], s[4:5], 0x58
	v_and_b32_e32 v1, 1, v0
	v_lshlrev_b32_e32 v2, 3, v0
	v_lshlrev_b32_e32 v3, 2, v0
	s_ashr_i32 s0, s6, 31
	s_ashr_i32 s1, s10, 31
	s_mul_i32 s10, s6, 0x60
	s_mov_b32 s7, exec_lo
	v_cmpx_gt_u32_e32 48, v0
	s_cbranch_execz .LBB30_5
; %bb.4:
	s_load_dwordx2 s[16:17], s[4:5], 0x18
	s_waitcnt lgkmcnt(0)
	s_mul_i32 s18, s12, s26
	v_and_b32_e32 v6, 0xff8, v3
	s_ashr_i32 s19, s18, 31
	s_lshl_b64 s[18:19], s[18:19], 2
	v_mad_u32_u24 v6, 0xc0, v1, v6
	s_add_u32 s12, s16, s18
	s_addc_u32 s15, s17, s19
	s_ashr_i32 s11, s10, 31
	s_lshl_b64 s[16:17], s[10:11], 2
	s_add_u32 s16, s12, s16
	s_addc_u32 s17, s15, s17
	global_load_dwordx2 v[4:5], v2, s[16:17]
	s_waitcnt vmcnt(0)
	ds_write_b64 v6, v[4:5]
.LBB30_5:
	s_or_b32 exec_lo, exec_lo, s7
	s_load_dwordx4 s[16:19], s[4:5], 0x78
	s_mul_i32 s7, s20, s2
	s_xor_b32 s0, s0, s1
	s_sub_i32 s1, s3, s7
	s_add_i32 s3, s20, 1
	s_sub_i32 s7, s1, s2
	s_cmp_ge_u32 s1, s2
                                        ; implicit-def: $sgpr33
	s_cselect_b32 s3, s3, s20
	s_cselect_b32 s1, s7, s1
	s_add_i32 s7, s3, 1
	s_cmp_ge_u32 s1, s2
	s_mov_b32 s20, -1
	s_cselect_b32 s1, s7, s3
	s_load_dword s3, s[4:5], 0x88
	s_xor_b32 s1, s1, s0
	s_add_i32 s7, s27, -1
	s_sub_i32 s1, s1, s0
	s_abs_i32 s2, s7
	s_waitcnt lgkmcnt(0)
	s_abs_i32 s11, s19
	s_barrier
	v_cvt_f32_u32_e32 v4, s11
	s_sub_i32 s0, 0, s11
	buffer_gl0_inv
	v_rcp_iflag_f32_e32 v4, v4
	v_mul_f32_e32 v4, 0x4f7ffffe, v4
	v_cvt_u32_f32_e32 v4, v4
	v_readfirstlane_b32 s12, v4
	s_mul_i32 s0, s0, s12
	s_mul_hi_u32 s0, s12, s0
	s_add_i32 s12, s12, s0
	s_cmp_lt_i32 s3, 0
	s_mul_hi_u32 s0, s2, s12
	s_cbranch_scc0 .LBB30_7
; %bb.6:
	s_mul_i32 s15, s16, s36
	s_mov_b32 s20, 0
	s_add_i32 s15, s1, s15
	s_mul_i32 s15, s15, s3
	s_sub_i32 s33, 1, s15
.LBB30_7:
	s_load_dwordx2 s[28:29], s[4:5], 0x38
	s_ashr_i32 s15, s7, 31
	s_andn2_b32 vcc_lo, exec_lo, s20
	s_ashr_i32 s19, s19, 31
	s_cbranch_vccnz .LBB30_9
; %bb.8:
	s_mul_i32 s7, s9, s16
	s_add_i32 s7, s7, s6
	s_mul_i32 s3, s7, s3
	s_add_i32 s33, s3, 1
.LBB30_9:
	s_clause 0x4
	s_load_dword s3, s[4:5], 0x48
	s_load_dwordx2 s[34:35], s[4:5], 0x28
	s_load_dword s7, s[4:5], 0x98
	s_load_dwordx4 s[20:23], s[4:5], 0x0
	s_load_dwordx2 s[24:25], s[4:5], 0x10
	s_mul_i32 s16, s0, s11
	s_xor_b32 s15, s15, s19
	s_sub_i32 s2, s2, s16
	s_add_i32 s36, s0, 1
	v_lshrrev_b32_e32 v56, 5, v0
	v_mov_b32_e32 v5, 0xff7fffff
	v_mbcnt_lo_u32_b32 v4, -1, 0
	s_mul_i32 s14, s1, s14
	v_lshl_add_u32 v57, v56, 4, s38
	s_waitcnt lgkmcnt(0)
	s_mul_i32 s30, s3, s26
	s_sub_i32 s3, s2, s11
	s_ashr_i32 s31, s30, 31
	s_cmp_ge_u32 s2, s11
	s_cselect_b32 s0, s36, s0
	s_cselect_b32 s2, s3, s2
	s_add_i32 s3, s0, 1
	s_cmp_ge_u32 s2, s11
	s_cselect_b32 s0, s3, s0
	s_add_i32 s2, s27, 15
	s_lshl_b32 s41, s8, 5
	s_ashr_i32 s3, s2, 31
	v_or_b32_e32 v53, s41, v56
	s_lshr_b32 s3, s3, 28
	s_add_i32 s2, s2, s3
	s_add_i32 s3, s41, 32
	s_ashr_i32 s36, s2, 4
	s_xor_b32 s2, s0, s15
	s_min_i32 s16, s3, s36
	v_ashrrev_i32_e32 v54, 31, v53
	v_cmp_gt_i32_e64 s0, s16, v53
	s_sub_i32 s39, s2, s15
	s_and_saveexec_b32 s42, s0
	s_cbranch_execz .LBB30_21
; %bb.10:
	s_load_dwordx2 s[2:3], s[4:5], 0x20
	s_ashr_i32 s15, s14, 31
	s_sub_i32 s4, s39, s17
	s_lshl_b64 s[44:45], s[14:15], 2
	v_bfe_u32 v6, v0, 1, 4
	v_cmp_eq_u32_e32 vcc_lo, 0, v1
	v_and_b32_e32 v13, 8, v2
	v_mul_u32_u24_e32 v7, 0xc0, v1
	v_lshlrev_b64 v[1:2], 2, v[53:54]
	v_lshlrev_b32_e32 v11, 2, v6
	v_subrev_nc_u32_e32 v14, s27, v6
	v_lshlrev_b32_e32 v17, 4, v6
	v_cmp_neq_f32_e64 s1, s40, 0
	v_lshl_add_u32 v8, v56, 4, s38
	v_lshl_or_b32 v15, v56, 6, v11
	v_add_nc_u32_e32 v11, 1, v14
	v_mov_b32_e32 v9, 0xff7fffff
	v_xor_b32_e32 v10, 1, v4
	s_waitcnt lgkmcnt(0)
	s_add_u32 s15, s2, s44
	s_addc_u32 s43, s3, s45
	s_abs_i32 s5, s18
	v_cvt_f32_u32_e32 v5, s5
	s_sub_i32 s2, 0, s5
	v_rcp_iflag_f32_e32 v5, v5
	v_mul_f32_e32 v12, 0x4f7ffffe, v5
	v_mov_b32_e32 v5, 0xff7fffff
	v_cvt_u32_f32_e32 v16, v12
	v_add_nc_u32_e32 v12, 0x1a0, v15
	v_add_co_u32 v15, s15, s15, v17
	v_add_co_ci_u32_e64 v17, null, s43, 0, s15
	v_mul_lo_u32 v14, s2, v16
	s_lshl_b64 s[2:3], s[30:31], 2
	s_mov_b32 s15, 0
	s_add_u32 s2, s28, s2
	s_addc_u32 s3, s29, s3
	v_add_co_u32 v1, s2, s2, v1
	v_add_co_ci_u32_e64 v2, null, s3, v2, s2
	v_mul_hi_u32 v18, v16, v14
	v_add_co_u32 v13, s2, v15, v13
	v_add_co_ci_u32_e64 v14, null, 0, v17, s2
	s_mov_b32 s43, s13
	v_add_nc_u32_e32 v15, v16, v18
	v_mov_b32_e32 v16, v53
	s_branch .LBB30_13
.LBB30_11:                              ;   in Loop: Header=BB30_13 Depth=1
	s_or_b32 exec_lo, exec_lo, s44
.LBB30_12:                              ;   in Loop: Header=BB30_13 Depth=1
	s_or_b32 exec_lo, exec_lo, s3
	v_add_nc_u32_e32 v16, 4, v16
	v_add_co_u32 v1, s3, v1, 16
	v_add_co_ci_u32_e64 v2, null, 0, v2, s3
	v_cmp_le_i32_e64 s2, s16, v16
	v_add_nc_u32_e32 v8, 64, v8
	v_add_nc_u32_e32 v12, 0x100, v12
	s_or_b32 s15, s2, s15
	s_andn2_b32 exec_lo, exec_lo, s15
	s_cbranch_execz .LBB30_20
.LBB30_13:                              ; =>This Inner Loop Header: Depth=1
	v_sub_nc_u32_e32 v17, 0, v8
	v_max_i32_e32 v17, v8, v17
	s_waitcnt lgkmcnt(0)
	v_mul_hi_u32 v18, v17, s12
	v_mul_lo_u32 v19, v18, s11
	v_sub_nc_u32_e32 v17, v17, v19
	v_add_nc_u32_e32 v19, 1, v18
	v_subrev_nc_u32_e32 v20, s11, v17
	v_cmp_le_u32_e64 s2, s11, v17
	v_cndmask_b32_e64 v18, v18, v19, s2
	v_cndmask_b32_e64 v17, v17, v20, s2
	v_ashrrev_i32_e32 v19, 31, v8
	v_add_nc_u32_e32 v20, 1, v18
	v_cmp_le_u32_e64 s2, s11, v17
	v_xor_b32_e32 v19, s19, v19
	v_cndmask_b32_e64 v17, v18, v20, s2
	v_xor_b32_e32 v17, v17, v19
	v_sub_nc_u32_e32 v17, v17, v19
	v_add_nc_u32_e32 v18, s33, v17
	v_cmp_ge_i32_e64 s3, s4, v17
	v_sub_nc_u32_e32 v19, 0, v18
	v_max_i32_e32 v19, v18, v19
	v_ashrrev_i32_e32 v18, 31, v18
	v_mul_hi_u32 v20, v19, v15
	v_mul_lo_u32 v20, v20, s5
	v_sub_nc_u32_e32 v19, v19, v20
	v_subrev_nc_u32_e32 v20, s5, v19
	v_cmp_le_u32_e64 s2, s5, v19
	v_cndmask_b32_e64 v19, v19, v20, s2
	v_subrev_nc_u32_e32 v20, s5, v19
	v_cmp_le_u32_e64 s2, s5, v19
	v_cndmask_b32_e64 v19, v19, v20, s2
	v_xor_b32_e32 v19, v19, v18
	v_sub_nc_u32_e32 v18, v19, v18
	v_cmp_ne_u32_e64 s2, 0, v18
	s_and_b32 s2, s2, s3
	s_and_saveexec_b32 s3, s2
	s_xor_b32 s2, exec_lo, s3
	s_cbranch_execz .LBB30_17
; %bb.14:                               ;   in Loop: Header=BB30_13 Depth=1
	s_and_saveexec_b32 s3, vcc_lo
; %bb.15:                               ;   in Loop: Header=BB30_13 Depth=1
	ds_write_b32 v12, v9
; %bb.16:                               ;   in Loop: Header=BB30_13 Depth=1
	s_or_b32 exec_lo, exec_lo, s3
.LBB30_17:                              ;   in Loop: Header=BB30_13 Depth=1
	s_andn2_saveexec_b32 s3, s2
	s_cbranch_execz .LBB30_12
; %bb.18:                               ;   in Loop: Header=BB30_13 Depth=1
	global_load_dword v17, v[1:2], off
	s_waitcnt vmcnt(0)
	v_mad_i64_i32 v[17:18], null, v17, s43, 0
	v_lshlrev_b64 v[17:18], 2, v[17:18]
	v_add_co_u32 v17, s2, v13, v17
	v_add_co_ci_u32_e64 v18, null, v14, v18, s2
	s_clause 0x7
	global_load_dwordx2 v[29:30], v[17:18], off offset:256
	global_load_dwordx2 v[31:32], v[17:18], off offset:512
	;; [unrolled: 1-line block ×3, first 2 shown]
	global_load_dwordx2 v[35:36], v[17:18], off
	global_load_dwordx2 v[37:38], v[17:18], off offset:1024
	global_load_dwordx2 v[39:40], v[17:18], off offset:1280
	;; [unrolled: 1-line block ×4, first 2 shown]
	v_add_co_u32 v19, s2, v17, 0x1000
	v_add_co_ci_u32_e64 v20, null, 0, v18, s2
	v_add_co_u32 v21, s2, 0x800, v17
	v_add_co_ci_u32_e64 v22, null, 0, v18, s2
	s_clause 0x7
	global_load_dwordx2 v[45:46], v[19:20], off offset:-2048
	global_load_dwordx2 v[47:48], v[21:22], off offset:256
	global_load_dwordx2 v[49:50], v[21:22], off offset:512
	global_load_dwordx2 v[51:52], v[21:22], off offset:768
	global_load_dwordx2 v[58:59], v[21:22], off offset:1024
	global_load_dwordx2 v[60:61], v[21:22], off offset:1280
	global_load_dwordx2 v[62:63], v[21:22], off offset:1536
	global_load_dwordx2 v[64:65], v[21:22], off offset:1792
	v_add_co_u32 v17, s2, 0x1000, v17
	v_add_co_ci_u32_e64 v18, null, 0, v18, s2
	s_clause 0x7
	global_load_dwordx2 v[66:67], v[19:20], off
	global_load_dwordx2 v[68:69], v[17:18], off offset:256
	global_load_dwordx2 v[70:71], v[17:18], off offset:512
	;; [unrolled: 1-line block ×7, first 2 shown]
	ds_read_b128 v[17:20], v7
	ds_read_b128 v[21:24], v7 offset:16
	ds_read_b128 v[25:28], v7 offset:32
	v_cmp_gt_i32_e64 s2, 32, v10
	s_waitcnt vmcnt(23) lgkmcnt(2)
	v_mul_f32_e32 v29, v19, v29
	v_mul_f32_e32 v30, v20, v30
	s_waitcnt vmcnt(20)
	v_fmac_f32_e32 v29, v17, v35
	v_fmac_f32_e32 v30, v18, v36
	ds_read_b128 v[17:20], v7 offset:48
	s_waitcnt lgkmcnt(2)
	v_fmac_f32_e32 v29, v21, v31
	v_fmac_f32_e32 v30, v22, v32
	;; [unrolled: 1-line block ×4, first 2 shown]
	ds_read_b128 v[21:24], v7 offset:64
	s_waitcnt vmcnt(19) lgkmcnt(2)
	v_fmac_f32_e32 v29, v25, v37
	v_fmac_f32_e32 v30, v26, v38
	s_waitcnt vmcnt(18)
	v_fmac_f32_e32 v29, v27, v39
	v_fmac_f32_e32 v30, v28, v40
	ds_read_b128 v[25:28], v7 offset:80
	s_waitcnt vmcnt(17) lgkmcnt(2)
	v_fmac_f32_e32 v29, v17, v41
	v_fmac_f32_e32 v30, v18, v42
	s_waitcnt vmcnt(16)
	v_fmac_f32_e32 v29, v19, v43
	v_fmac_f32_e32 v30, v20, v44
	;; [unrolled: 7-line block ×7, first 2 shown]
	ds_read_b128 v[25:28], v7 offset:176
	s_waitcnt vmcnt(5) lgkmcnt(2)
	v_fmac_f32_e32 v29, v17, v70
	v_fmac_f32_e32 v30, v18, v71
	v_cndmask_b32_e64 v17, v4, v10, s2
	s_waitcnt vmcnt(4)
	v_fmac_f32_e32 v29, v19, v72
	v_fmac_f32_e32 v30, v20, v73
	v_lshlrev_b32_e32 v18, 2, v17
	s_waitcnt vmcnt(3) lgkmcnt(1)
	v_fmac_f32_e32 v29, v21, v74
	v_fmac_f32_e32 v30, v22, v75
	s_waitcnt vmcnt(2)
	v_fmac_f32_e32 v29, v23, v76
	v_fmac_f32_e32 v30, v24, v77
	s_waitcnt vmcnt(1) lgkmcnt(0)
	v_fmac_f32_e32 v29, v25, v78
	v_fmac_f32_e32 v30, v26, v79
	s_waitcnt vmcnt(0)
	v_fmac_f32_e32 v29, v27, v80
	v_fmac_f32_e32 v30, v28, v81
	v_add_f32_e32 v17, v29, v30
	ds_bpermute_b32 v18, v18, v17
	s_and_saveexec_b32 s44, vcc_lo
	s_cbranch_execz .LBB30_11
; %bb.19:                               ;   in Loop: Header=BB30_13 Depth=1
	v_add_nc_u32_e32 v19, v11, v8
	s_waitcnt lgkmcnt(0)
	v_add_f32_e32 v17, v17, v18
	v_cvt_f32_i32_e32 v19, v19
	v_mul_f32_e32 v19, s40, v19
	v_cndmask_b32_e64 v18, 0, v19, s1
	v_max_f32_e32 v19, v5, v5
	v_fmac_f32_e32 v18, s37, v17
	v_add_nc_u32_e32 v17, v6, v8
	v_max_f32_e32 v19, v19, v18
	v_cmp_gt_i32_e64 s2, s27, v17
	v_cndmask_b32_e64 v17, 0, v18, s2
	v_cndmask_b32_e64 v5, v5, v19, s2
	ds_write_b32 v12, v17
	s_branch .LBB30_11
.LBB30_20:
	s_or_b32 exec_lo, exec_lo, s15
.LBB30_21:
	s_or_b32 exec_lo, exec_lo, s42
	v_xor_b32_e32 v1, 16, v4
	v_xor_b32_e32 v6, 8, v4
	v_max_f32_e32 v7, v5, v5
	v_and_b32_e32 v58, 31, v0
	v_cmp_gt_i32_e32 vcc_lo, 32, v1
	v_cndmask_b32_e32 v1, v4, v1, vcc_lo
	v_cmp_gt_i32_e32 vcc_lo, 32, v6
	v_lshlrev_b32_e32 v2, 2, v1
	ds_bpermute_b32 v1, v2, v5
	v_cndmask_b32_e32 v5, v4, v6, vcc_lo
	v_lshlrev_b32_e32 v5, 2, v5
	s_waitcnt lgkmcnt(0)
	v_max_f32_e32 v1, v1, v1
	v_max_f32_e32 v1, v7, v1
	v_xor_b32_e32 v7, 4, v4
	ds_bpermute_b32 v6, v5, v1
	v_cmp_gt_i32_e32 vcc_lo, 32, v7
	v_cndmask_b32_e32 v7, v4, v7, vcc_lo
	s_waitcnt lgkmcnt(0)
	v_max_f32_e32 v8, v6, v6
	v_lshlrev_b32_e32 v6, 2, v7
	v_max_f32_e32 v1, v1, v8
	v_xor_b32_e32 v8, 2, v4
	ds_bpermute_b32 v7, v6, v1
	v_cmp_gt_i32_e32 vcc_lo, 32, v8
	v_cndmask_b32_e32 v8, v4, v8, vcc_lo
	v_cmp_eq_u32_e32 vcc_lo, 0, v58
	v_lshlrev_b32_e32 v59, 2, v8
	s_waitcnt lgkmcnt(0)
	v_max_f32_e32 v7, v7, v7
	v_max_f32_e32 v1, v1, v7
	v_lshlrev_b32_e32 v7, 2, v56
	ds_bpermute_b32 v8, v59, v1
	s_and_saveexec_b32 s1, vcc_lo
	s_cbranch_execz .LBB30_23
; %bb.22:
	s_waitcnt lgkmcnt(0)
	v_max_f32_e32 v8, v8, v8
	v_max_f32_e32 v1, v1, v1
	;; [unrolled: 1-line block ×3, first 2 shown]
	ds_write_b32 v7, v1 offset:384
.LBB30_23:
	s_or_b32 exec_lo, exec_lo, s1
	v_cmp_gt_u32_e64 s1, 4, v58
	v_mov_b32_e32 v1, 0xff7fffff
	s_waitcnt lgkmcnt(0)
	v_lshlrev_b32_e32 v8, 2, v58
	s_barrier
	buffer_gl0_inv
	s_and_saveexec_b32 s2, s1
; %bb.24:
	ds_read_b32 v1, v8 offset:384
; %bb.25:
	s_or_b32 exec_lo, exec_lo, s2
	s_waitcnt lgkmcnt(0)
	ds_bpermute_b32 v9, v59, v1
	v_xor_b32_e32 v10, 1, v4
	v_max_f32_e32 v1, v1, v1
	v_cmp_gt_i32_e64 s2, 32, v10
	v_cndmask_b32_e64 v4, v4, v10, s2
	s_sub_i32 s2, s16, s41
	s_lshl_b32 s2, s2, 4
	v_lshlrev_b32_e32 v60, 2, v4
	s_add_i32 s2, s2, s38
	s_min_i32 s2, s2, s27
	s_waitcnt lgkmcnt(0)
	v_max_f32_e32 v9, v9, v9
	s_sub_i32 s4, s2, s38
	v_cmp_gt_i32_e64 s2, s4, v0
	v_max_f32_e32 v1, v1, v9
	v_mov_b32_e32 v9, 0
	ds_bpermute_b32 v4, v60, v1
	s_waitcnt lgkmcnt(0)
	v_max_f32_e32 v4, v4, v4
	v_max_f32_e32 v1, v1, v4
	v_lshl_add_u32 v4, v0, 2, 0x1a0
	ds_bpermute_b32 v1, v9, v1
	s_and_saveexec_b32 s5, s2
	s_cbranch_execz .LBB30_29
; %bb.26:
	v_lshl_add_u32 v10, v0, 2, 0x1a0
	v_mov_b32_e32 v9, 0
	v_mov_b32_e32 v11, v0
	s_mov_b32 s15, 0
	.p2align	6
.LBB30_27:                              ; =>This Inner Loop Header: Depth=1
	ds_read_b32 v12, v10
	v_add_nc_u32_e32 v11, 0x80, v11
	v_cmp_le_i32_e64 s3, s4, v11
	s_or_b32 s15, s3, s15
	s_waitcnt lgkmcnt(0)
	v_sub_f32_e32 v12, v12, v1
	v_mul_f32_e32 v12, 0x3fb8aa3b, v12
	v_exp_f32_e32 v12, v12
	ds_write_b32 v10, v12
	v_add_f32_e32 v9, v9, v12
	v_add_nc_u32_e32 v10, 0x200, v10
	s_andn2_b32 exec_lo, exec_lo, s15
	s_cbranch_execnz .LBB30_27
; %bb.28:
	s_or_b32 exec_lo, exec_lo, s15
.LBB30_29:
	s_or_b32 exec_lo, exec_lo, s5
	ds_bpermute_b32 v2, v2, v9
	s_waitcnt lgkmcnt(0)
	v_add_f32_e32 v2, v9, v2
	ds_bpermute_b32 v5, v5, v2
	s_waitcnt lgkmcnt(0)
	v_add_f32_e32 v2, v2, v5
	;; [unrolled: 3-line block ×5, first 2 shown]
	s_and_saveexec_b32 s3, vcc_lo
; %bb.30:
	ds_write_b32 v7, v2 offset:400
; %bb.31:
	s_or_b32 exec_lo, exec_lo, s3
	s_waitcnt lgkmcnt(0)
	s_barrier
	buffer_gl0_inv
	s_and_saveexec_b32 s3, s1
; %bb.32:
	ds_read_b32 v2, v8 offset:400
; %bb.33:
	s_or_b32 exec_lo, exec_lo, s3
	s_waitcnt lgkmcnt(0)
	ds_bpermute_b32 v5, v59, v2
	s_waitcnt lgkmcnt(0)
	v_add_f32_e32 v2, v2, v5
	ds_bpermute_b32 v5, v60, v2
	s_waitcnt lgkmcnt(0)
	v_add_f32_e32 v2, v2, v5
	v_mov_b32_e32 v5, 0
	ds_bpermute_b32 v2, v5, v2
	s_and_saveexec_b32 s1, s2
	s_cbranch_execz .LBB30_36
; %bb.34:
	s_waitcnt lgkmcnt(0)
	v_add_f32_e32 v5, 0x358637bd, v2
	s_mov_b32 s2, 0
	v_div_scale_f32 v6, null, v5, v5, 1.0
	v_div_scale_f32 v9, vcc_lo, 1.0, v5, 1.0
	v_rcp_f32_e32 v7, v6
	v_fma_f32 v8, -v6, v7, 1.0
	v_fmac_f32_e32 v7, v8, v7
	v_mul_f32_e32 v8, v9, v7
	v_fma_f32 v10, -v6, v8, v9
	v_fmac_f32_e32 v8, v10, v7
	v_fma_f32 v6, -v6, v8, v9
	v_div_fmas_f32 v6, v6, v7, v8
	v_div_fixup_f32 v5, v6, v5, 1.0
	v_mov_b32_e32 v6, v0
.LBB30_35:                              ; =>This Inner Loop Header: Depth=1
	ds_read_b32 v7, v4
	v_add_nc_u32_e32 v6, 0x80, v6
	v_cmp_le_i32_e32 vcc_lo, s4, v6
	s_or_b32 s2, vcc_lo, s2
	s_waitcnt lgkmcnt(0)
	v_mul_f32_e32 v7, v5, v7
	ds_write_b32 v4, v7
	v_add_nc_u32_e32 v4, 0x200, v4
	s_andn2_b32 exec_lo, exec_lo, s2
	s_cbranch_execnz .LBB30_35
.LBB30_36:
	s_or_b32 exec_lo, exec_lo, s1
	s_mul_i32 s1, s7, s26
	s_waitcnt lgkmcnt(0)
	s_mul_i32 s4, s1, s9
	s_mov_b32 s1, exec_lo
	s_barrier
	buffer_gl0_inv
	v_cmpx_eq_u32_e32 0, v0
	s_cbranch_execz .LBB30_38
; %bb.37:
	s_ashr_i32 s5, s4, 31
	s_mul_i32 s40, s7, s6
	s_lshl_b64 s[2:3], s[4:5], 2
	v_mov_b32_e32 v4, 0
	s_add_u32 s5, s22, s2
	s_addc_u32 s6, s23, s3
	s_ashr_i32 s41, s40, 31
	s_lshl_b64 s[22:23], s[40:41], 2
	s_add_u32 s5, s5, s22
	s_addc_u32 s6, s6, s23
	s_ashr_i32 s9, s8, 31
	s_lshl_b64 s[40:41], s[8:9], 2
	s_add_u32 s42, s5, s40
	s_addc_u32 s43, s6, s41
	s_add_u32 s2, s20, s2
	s_addc_u32 s3, s21, s3
	;; [unrolled: 2-line block ×4, first 2 shown]
	global_store_dword v4, v1, s[42:43]
	global_store_dword v4, v2, s[2:3]
.LBB30_38:
	s_or_b32 exec_lo, exec_lo, s1
	v_mov_b32_e32 v73, 0
	v_and_b32_e32 v61, 3, v0
	v_mov_b32_e32 v72, 0
	v_mov_b32_e32 v71, 0
	;; [unrolled: 1-line block ×11, first 2 shown]
	s_and_saveexec_b32 s5, s0
	s_cbranch_execz .LBB30_68
; %bb.39:
	s_ashr_i32 s15, s14, 31
	s_sub_i32 s6, s39, s17
	s_lshl_b64 s[0:1], s[14:15], 2
	v_and_b32_e32 v74, 12, v3
	s_add_u32 s2, s34, s0
	s_addc_u32 s3, s35, s1
	s_abs_i32 s9, s18
	v_lshlrev_b32_e32 v3, 4, v0
	v_cvt_f32_u32_e32 v1, s9
	s_sub_i32 s0, 0, s9
	v_lshlrev_b32_e32 v5, 4, v61
	s_add_i32 s36, s36, -1
	v_and_b32_e32 v3, 0x1f0, v3
	v_rcp_iflag_f32_e32 v4, v1
	v_lshlrev_b64 v[1:2], 2, v[53:54]
	v_lshl_or_b32 v5, v56, 6, v5
	v_mov_b32_e32 v62, 0
	v_add_co_u32 v75, s2, s2, v3
	v_mov_b32_e32 v63, 0
	v_mov_b32_e32 v64, 0
	;; [unrolled: 1-line block ×4, first 2 shown]
	v_mul_f32_e32 v4, 0x4f7ffffe, v4
	v_mov_b32_e32 v67, 0
	v_mov_b32_e32 v68, 0
	;; [unrolled: 1-line block ×4, first 2 shown]
	v_cvt_u32_f32_e32 v4, v4
	v_mov_b32_e32 v71, 0
	v_mov_b32_e32 v72, 0
	v_add_co_ci_u32_e64 v76, null, s3, 0, s2
	v_mul_lo_u32 v6, s0, v4
	s_lshl_b64 s[0:1], s[30:31], 2
	v_add_nc_u32_e32 v77, 0x1a0, v5
	s_add_u32 s0, s28, s0
	s_addc_u32 s1, s29, s1
	v_add_co_u32 v54, vcc_lo, s0, v1
	v_add_co_ci_u32_e64 v55, null, s1, v2, vcc_lo
	v_mul_hi_u32 v6, v4, v6
	v_mov_b32_e32 v73, 0
	s_mov_b32 s14, s13
	s_mov_b32 s13, 0
	v_add_nc_u32_e32 v78, v4, v6
	s_branch .LBB30_42
.LBB30_40:                              ;   in Loop: Header=BB30_42 Depth=1
	s_or_b32 exec_lo, exec_lo, s0
	s_waitcnt vmcnt(1) lgkmcnt(0)
	v_mul_f32_e32 v49, v1, v49
	v_mul_f32_e32 v45, v1, v45
	v_mul_f32_e32 v37, v1, v37
	v_mul_f32_e32 v33, v1, v33
	v_mul_f32_e32 v29, v1, v29
	v_mul_f32_e32 v25, v1, v25
	v_mul_f32_e32 v21, v1, v21
	v_mul_f32_e32 v17, v1, v17
	v_mul_f32_e32 v13, v1, v13
	v_mul_f32_e32 v9, v1, v9
	v_mul_f32_e32 v5, v1, v5
	s_waitcnt vmcnt(0)
	v_mul_f32_e32 v1, v1, v41
	v_fmac_f32_e32 v49, v2, v50
	v_fmac_f32_e32 v45, v2, v46
	;; [unrolled: 1-line block ×36, first 2 shown]
	v_add_f32_e32 v63, v63, v49
	v_add_f32_e32 v64, v64, v45
	;; [unrolled: 1-line block ×12, first 2 shown]
.LBB30_41:                              ;   in Loop: Header=BB30_42 Depth=1
	s_or_b32 exec_lo, exec_lo, s15
	v_add_nc_u32_e32 v53, 4, v53
	v_add_co_u32 v54, s0, v54, 16
	v_add_co_ci_u32_e64 v55, null, 0, v55, s0
	v_cmp_le_i32_e32 vcc_lo, s16, v53
	v_add_nc_u32_e32 v57, 64, v57
	v_add_nc_u32_e32 v77, 0x100, v77
	s_or_b32 s13, vcc_lo, s13
	s_andn2_b32 exec_lo, exec_lo, s13
	s_cbranch_execz .LBB30_67
.LBB30_42:                              ; =>This Inner Loop Header: Depth=1
	v_sub_nc_u32_e32 v1, 0, v57
	v_max_i32_e32 v1, v57, v1
	v_mul_hi_u32 v2, v1, s12
	v_mul_lo_u32 v3, v2, s11
	v_sub_nc_u32_e32 v1, v1, v3
	v_add_nc_u32_e32 v3, 1, v2
	v_subrev_nc_u32_e32 v4, s11, v1
	v_cmp_le_u32_e32 vcc_lo, s11, v1
	v_cndmask_b32_e32 v2, v2, v3, vcc_lo
	v_cndmask_b32_e32 v1, v1, v4, vcc_lo
	v_ashrrev_i32_e32 v3, 31, v57
	v_add_nc_u32_e32 v4, 1, v2
	v_cmp_le_u32_e32 vcc_lo, s11, v1
	v_xor_b32_e32 v3, s19, v3
	v_cndmask_b32_e32 v1, v2, v4, vcc_lo
	v_xor_b32_e32 v1, v1, v3
	v_sub_nc_u32_e32 v1, v1, v3
	v_add_nc_u32_e32 v2, s33, v1
	v_cmp_lt_i32_e64 s0, s6, v1
	v_sub_nc_u32_e32 v3, 0, v2
	v_max_i32_e32 v3, v2, v3
	v_ashrrev_i32_e32 v2, 31, v2
	v_mul_hi_u32 v4, v3, v78
	v_mul_lo_u32 v4, v4, s9
	v_sub_nc_u32_e32 v3, v3, v4
	v_subrev_nc_u32_e32 v4, s9, v3
	v_cmp_le_u32_e32 vcc_lo, s9, v3
	v_cndmask_b32_e32 v3, v3, v4, vcc_lo
	v_subrev_nc_u32_e32 v4, s9, v3
	v_cmp_le_u32_e32 vcc_lo, s9, v3
	v_cndmask_b32_e32 v3, v3, v4, vcc_lo
	v_xor_b32_e32 v3, v3, v2
	v_sub_nc_u32_e32 v2, v3, v2
	v_cmp_eq_u32_e32 vcc_lo, 0, v2
	s_or_b32 s0, vcc_lo, s0
	s_and_saveexec_b32 s15, s0
	s_cbranch_execz .LBB30_41
; %bb.43:                               ;   in Loop: Header=BB30_42 Depth=1
	global_load_dword v1, v[54:55], off
	v_add_nc_u32_e32 v79, v74, v57
	v_add_nc_u32_e32 v82, 1, v79
	;; [unrolled: 1-line block ×4, first 2 shown]
	s_waitcnt vmcnt(0)
	v_mad_i64_i32 v[1:2], null, v1, s14, 0
	v_lshlrev_b64 v[1:2], 2, v[1:2]
	v_add_co_u32 v37, vcc_lo, v75, v1
	v_add_co_ci_u32_e64 v38, null, v76, v2, vcc_lo
	ds_read_b128 v[1:4], v77
	v_cmp_eq_u32_e32 vcc_lo, s36, v53
	global_load_dwordx4 v[5:8], v[37:38], off
	s_and_saveexec_b32 s1, vcc_lo
	s_cbranch_execnz .LBB30_57
; %bb.44:                               ;   in Loop: Header=BB30_42 Depth=1
	s_or_b32 exec_lo, exec_lo, s1
	global_load_dwordx4 v[9:12], v[37:38], off offset:512
	s_and_saveexec_b32 s1, vcc_lo
	s_cbranch_execnz .LBB30_58
.LBB30_45:                              ;   in Loop: Header=BB30_42 Depth=1
	s_or_b32 exec_lo, exec_lo, s1
	global_load_dwordx4 v[13:16], v[37:38], off offset:1024
	s_and_saveexec_b32 s1, vcc_lo
	s_cbranch_execnz .LBB30_59
.LBB30_46:                              ;   in Loop: Header=BB30_42 Depth=1
	s_or_b32 exec_lo, exec_lo, s1
	global_load_dwordx4 v[17:20], v[37:38], off offset:1536
	s_and_saveexec_b32 s1, vcc_lo
	s_cbranch_execz .LBB30_48
.LBB30_47:                              ;   in Loop: Header=BB30_42 Depth=1
	v_cmp_gt_i32_e64 s0, s27, v79
	s_waitcnt vmcnt(0)
	v_cndmask_b32_e64 v17, 0, v17, s0
	v_cmp_gt_i32_e64 s0, s27, v82
	v_cndmask_b32_e64 v18, 0, v18, s0
	v_cmp_gt_i32_e64 s0, s27, v81
	;; [unrolled: 2-line block ×3, first 2 shown]
	v_cndmask_b32_e64 v20, 0, v20, s0
.LBB30_48:                              ;   in Loop: Header=BB30_42 Depth=1
	s_or_b32 exec_lo, exec_lo, s1
	v_add_co_u32 v33, s0, 0x800, v37
	v_add_co_ci_u32_e64 v34, null, 0, v38, s0
	global_load_dwordx4 v[21:24], v[33:34], off
	s_and_saveexec_b32 s1, vcc_lo
	s_cbranch_execnz .LBB30_60
; %bb.49:                               ;   in Loop: Header=BB30_42 Depth=1
	s_or_b32 exec_lo, exec_lo, s1
	global_load_dwordx4 v[25:28], v[33:34], off offset:512
	s_and_saveexec_b32 s1, vcc_lo
	s_cbranch_execnz .LBB30_61
.LBB30_50:                              ;   in Loop: Header=BB30_42 Depth=1
	s_or_b32 exec_lo, exec_lo, s1
	global_load_dwordx4 v[29:32], v[33:34], off offset:1024
	s_and_saveexec_b32 s1, vcc_lo
	s_cbranch_execnz .LBB30_62
.LBB30_51:                              ;   in Loop: Header=BB30_42 Depth=1
	s_or_b32 exec_lo, exec_lo, s1
	global_load_dwordx4 v[33:36], v[33:34], off offset:1536
	s_and_saveexec_b32 s1, vcc_lo
	s_cbranch_execz .LBB30_53
.LBB30_52:                              ;   in Loop: Header=BB30_42 Depth=1
	v_cmp_gt_i32_e64 s0, s27, v79
	s_waitcnt vmcnt(0)
	v_cndmask_b32_e64 v33, 0, v33, s0
	v_cmp_gt_i32_e64 s0, s27, v82
	v_cndmask_b32_e64 v34, 0, v34, s0
	v_cmp_gt_i32_e64 s0, s27, v81
	;; [unrolled: 2-line block ×3, first 2 shown]
	v_cndmask_b32_e64 v36, 0, v36, s0
.LBB30_53:                              ;   in Loop: Header=BB30_42 Depth=1
	s_or_b32 exec_lo, exec_lo, s1
	v_add_co_u32 v41, s0, 0x1000, v37
	v_add_co_ci_u32_e64 v42, null, 0, v38, s0
	global_load_dwordx4 v[37:40], v[41:42], off
	s_and_saveexec_b32 s1, vcc_lo
	s_cbranch_execnz .LBB30_63
; %bb.54:                               ;   in Loop: Header=BB30_42 Depth=1
	s_or_b32 exec_lo, exec_lo, s1
	global_load_dwordx4 v[45:48], v[41:42], off offset:512
	s_and_saveexec_b32 s1, vcc_lo
	s_cbranch_execnz .LBB30_64
.LBB30_55:                              ;   in Loop: Header=BB30_42 Depth=1
	s_or_b32 exec_lo, exec_lo, s1
	global_load_dwordx4 v[49:52], v[41:42], off offset:1024
	s_and_saveexec_b32 s17, vcc_lo
	s_cbranch_execnz .LBB30_65
.LBB30_56:                              ;   in Loop: Header=BB30_42 Depth=1
	s_or_b32 exec_lo, exec_lo, s17
	global_load_dwordx4 v[41:44], v[41:42], off offset:1536
	s_and_saveexec_b32 s0, vcc_lo
	s_cbranch_execz .LBB30_40
	s_branch .LBB30_66
.LBB30_57:                              ;   in Loop: Header=BB30_42 Depth=1
	v_cmp_gt_i32_e64 s0, s27, v79
	s_waitcnt vmcnt(0)
	v_cndmask_b32_e64 v5, 0, v5, s0
	v_cmp_gt_i32_e64 s0, s27, v82
	v_cndmask_b32_e64 v6, 0, v6, s0
	v_cmp_gt_i32_e64 s0, s27, v81
	;; [unrolled: 2-line block ×3, first 2 shown]
	v_cndmask_b32_e64 v8, 0, v8, s0
	s_or_b32 exec_lo, exec_lo, s1
	global_load_dwordx4 v[9:12], v[37:38], off offset:512
	s_and_saveexec_b32 s1, vcc_lo
	s_cbranch_execz .LBB30_45
.LBB30_58:                              ;   in Loop: Header=BB30_42 Depth=1
	v_cmp_gt_i32_e64 s0, s27, v79
	s_waitcnt vmcnt(0)
	v_cndmask_b32_e64 v9, 0, v9, s0
	v_cmp_gt_i32_e64 s0, s27, v82
	v_cndmask_b32_e64 v10, 0, v10, s0
	v_cmp_gt_i32_e64 s0, s27, v81
	;; [unrolled: 2-line block ×3, first 2 shown]
	v_cndmask_b32_e64 v12, 0, v12, s0
	s_or_b32 exec_lo, exec_lo, s1
	global_load_dwordx4 v[13:16], v[37:38], off offset:1024
	s_and_saveexec_b32 s1, vcc_lo
	s_cbranch_execz .LBB30_46
.LBB30_59:                              ;   in Loop: Header=BB30_42 Depth=1
	v_cmp_gt_i32_e64 s0, s27, v79
	s_waitcnt vmcnt(0)
	v_cndmask_b32_e64 v13, 0, v13, s0
	v_cmp_gt_i32_e64 s0, s27, v82
	v_cndmask_b32_e64 v14, 0, v14, s0
	v_cmp_gt_i32_e64 s0, s27, v81
	;; [unrolled: 2-line block ×3, first 2 shown]
	v_cndmask_b32_e64 v16, 0, v16, s0
	s_or_b32 exec_lo, exec_lo, s1
	global_load_dwordx4 v[17:20], v[37:38], off offset:1536
	s_and_saveexec_b32 s1, vcc_lo
	s_cbranch_execnz .LBB30_47
	s_branch .LBB30_48
.LBB30_60:                              ;   in Loop: Header=BB30_42 Depth=1
	v_cmp_gt_i32_e64 s0, s27, v79
	s_waitcnt vmcnt(0)
	v_cndmask_b32_e64 v21, 0, v21, s0
	v_cmp_gt_i32_e64 s0, s27, v82
	v_cndmask_b32_e64 v22, 0, v22, s0
	v_cmp_gt_i32_e64 s0, s27, v81
	;; [unrolled: 2-line block ×3, first 2 shown]
	v_cndmask_b32_e64 v24, 0, v24, s0
	s_or_b32 exec_lo, exec_lo, s1
	global_load_dwordx4 v[25:28], v[33:34], off offset:512
	s_and_saveexec_b32 s1, vcc_lo
	s_cbranch_execz .LBB30_50
.LBB30_61:                              ;   in Loop: Header=BB30_42 Depth=1
	v_cmp_gt_i32_e64 s0, s27, v79
	s_waitcnt vmcnt(0)
	v_cndmask_b32_e64 v25, 0, v25, s0
	v_cmp_gt_i32_e64 s0, s27, v82
	v_cndmask_b32_e64 v26, 0, v26, s0
	v_cmp_gt_i32_e64 s0, s27, v81
	;; [unrolled: 2-line block ×3, first 2 shown]
	v_cndmask_b32_e64 v28, 0, v28, s0
	s_or_b32 exec_lo, exec_lo, s1
	global_load_dwordx4 v[29:32], v[33:34], off offset:1024
	s_and_saveexec_b32 s1, vcc_lo
	s_cbranch_execz .LBB30_51
.LBB30_62:                              ;   in Loop: Header=BB30_42 Depth=1
	v_cmp_gt_i32_e64 s0, s27, v79
	s_waitcnt vmcnt(0)
	v_cndmask_b32_e64 v29, 0, v29, s0
	v_cmp_gt_i32_e64 s0, s27, v82
	v_cndmask_b32_e64 v30, 0, v30, s0
	v_cmp_gt_i32_e64 s0, s27, v81
	;; [unrolled: 2-line block ×3, first 2 shown]
	v_cndmask_b32_e64 v32, 0, v32, s0
	s_or_b32 exec_lo, exec_lo, s1
	global_load_dwordx4 v[33:36], v[33:34], off offset:1536
	s_and_saveexec_b32 s1, vcc_lo
	s_cbranch_execnz .LBB30_52
	s_branch .LBB30_53
.LBB30_63:                              ;   in Loop: Header=BB30_42 Depth=1
	v_cmp_gt_i32_e64 s0, s27, v79
	s_waitcnt vmcnt(0)
	v_cndmask_b32_e64 v37, 0, v37, s0
	v_cmp_gt_i32_e64 s0, s27, v82
	v_cndmask_b32_e64 v38, 0, v38, s0
	v_cmp_gt_i32_e64 s0, s27, v81
	v_cndmask_b32_e64 v39, 0, v39, s0
	v_cmp_gt_i32_e64 s0, s27, v80
	v_cndmask_b32_e64 v40, 0, v40, s0
	s_or_b32 exec_lo, exec_lo, s1
	global_load_dwordx4 v[45:48], v[41:42], off offset:512
	s_and_saveexec_b32 s1, vcc_lo
	s_cbranch_execz .LBB30_55
.LBB30_64:                              ;   in Loop: Header=BB30_42 Depth=1
	v_cmp_gt_i32_e64 s0, s27, v79
	s_waitcnt vmcnt(0)
	v_cndmask_b32_e64 v45, 0, v45, s0
	v_cmp_gt_i32_e64 s0, s27, v82
	v_cndmask_b32_e64 v46, 0, v46, s0
	v_cmp_gt_i32_e64 s0, s27, v81
	;; [unrolled: 2-line block ×3, first 2 shown]
	v_cndmask_b32_e64 v48, 0, v48, s0
	s_or_b32 exec_lo, exec_lo, s1
	global_load_dwordx4 v[49:52], v[41:42], off offset:1024
	s_and_saveexec_b32 s17, vcc_lo
	s_cbranch_execz .LBB30_56
.LBB30_65:                              ;   in Loop: Header=BB30_42 Depth=1
	v_cmp_gt_i32_e64 s0, s27, v79
	v_cmp_gt_i32_e64 s1, s27, v82
	v_cmp_gt_i32_e64 s2, s27, v81
	v_cmp_gt_i32_e64 s3, s27, v80
	s_waitcnt vmcnt(0)
	v_cndmask_b32_e64 v49, 0, v49, s0
	v_cndmask_b32_e64 v50, 0, v50, s1
	;; [unrolled: 1-line block ×4, first 2 shown]
	s_or_b32 exec_lo, exec_lo, s17
	global_load_dwordx4 v[41:44], v[41:42], off offset:1536
	s_and_saveexec_b32 s0, vcc_lo
	s_cbranch_execz .LBB30_40
.LBB30_66:                              ;   in Loop: Header=BB30_42 Depth=1
	v_cmp_gt_i32_e32 vcc_lo, s27, v79
	s_waitcnt vmcnt(0)
	v_cndmask_b32_e32 v41, 0, v41, vcc_lo
	v_cmp_gt_i32_e32 vcc_lo, s27, v82
	v_cndmask_b32_e32 v42, 0, v42, vcc_lo
	v_cmp_gt_i32_e32 vcc_lo, s27, v81
	v_cndmask_b32_e32 v43, 0, v43, vcc_lo
	v_cmp_gt_i32_e32 vcc_lo, s27, v80
	v_cndmask_b32_e32 v44, 0, v44, vcc_lo
	s_branch .LBB30_40
.LBB30_67:
	s_or_b32 exec_lo, exec_lo, s13
.LBB30_68:
	s_or_b32 exec_lo, exec_lo, s5
	ds_bpermute_b32 v2, v59, v72
	ds_bpermute_b32 v1, v59, v73
	;; [unrolled: 1-line block ×12, first 2 shown]
	s_mov_b32 s0, exec_lo
	s_waitcnt lgkmcnt(0)
	s_waitcnt_vscnt null, 0x0
	s_barrier
	buffer_gl0_inv
	v_add_f32_e32 v2, v72, v2
	v_add_f32_e32 v1, v73, v1
	;; [unrolled: 1-line block ×12, first 2 shown]
	ds_bpermute_b32 v14, v60, v2
	ds_bpermute_b32 v13, v60, v1
	;; [unrolled: 1-line block ×12, first 2 shown]
	s_waitcnt lgkmcnt(11)
	v_add_f32_e32 v2, v2, v14
	v_and_b32_e32 v14, 28, v58
	s_waitcnt lgkmcnt(10)
	v_add_f32_e32 v1, v1, v13
	s_waitcnt lgkmcnt(9)
	v_add_f32_e32 v3, v3, v15
	;; [unrolled: 2-line block ×10, first 2 shown]
	v_and_b32_e32 v16, 0x3c3, v0
	s_waitcnt lgkmcnt(0)
	v_add_f32_e32 v12, v12, v24
	v_lshrrev_b32_e32 v13, 2, v58
	v_add_nc_u32_e32 v14, 0x1a0, v14
	v_mul_u32_u24_e32 v15, 0x180, v56
	v_cmpx_eq_u32_e32 64, v16
	s_cbranch_execz .LBB30_70
; %bb.69:
	v_add_nc_u32_e32 v16, v14, v15
	v_add_nc_u32_e32 v17, 0xfffffd00, v16
	;; [unrolled: 1-line block ×8, first 2 shown]
	ds_write_b32 v17, v1
	ds_write_b32 v18, v2
	;; [unrolled: 1-line block ×7, first 2 shown]
	v_add_nc_u32_e32 v17, 0xfffffde0, v16
	v_add_nc_u32_e32 v18, 0xfffffe00, v16
	;; [unrolled: 1-line block ×5, first 2 shown]
	ds_write_b32 v17, v8
	ds_write_b32 v18, v9
	;; [unrolled: 1-line block ×5, first 2 shown]
.LBB30_70:
	s_or_b32 exec_lo, exec_lo, s0
	v_lshlrev_b32_e32 v13, 2, v13
	s_mov_b32 s1, exec_lo
	v_cmp_eq_u32_e32 vcc_lo, 0, v61
	s_waitcnt lgkmcnt(0)
	s_barrier
	v_add3_u32 v13, 0x1a0, v15, v13
	buffer_gl0_inv
	v_cmpx_gt_u32_e32 64, v0
	s_cbranch_execz .LBB30_85
; %bb.71:
	s_and_saveexec_b32 s0, vcc_lo
	s_cbranch_execnz .LBB30_105
; %bb.72:
	s_or_b32 exec_lo, exec_lo, s0
	s_and_saveexec_b32 s0, vcc_lo
	s_cbranch_execnz .LBB30_106
.LBB30_73:
	s_or_b32 exec_lo, exec_lo, s0
	s_and_saveexec_b32 s0, vcc_lo
	s_cbranch_execnz .LBB30_107
.LBB30_74:
	s_or_b32 exec_lo, exec_lo, s0
	s_and_saveexec_b32 s0, vcc_lo
	s_cbranch_execnz .LBB30_108
.LBB30_75:
	s_or_b32 exec_lo, exec_lo, s0
	s_and_saveexec_b32 s0, vcc_lo
	s_cbranch_execnz .LBB30_109
.LBB30_76:
	s_or_b32 exec_lo, exec_lo, s0
	s_and_saveexec_b32 s0, vcc_lo
	s_cbranch_execnz .LBB30_110
.LBB30_77:
	s_or_b32 exec_lo, exec_lo, s0
	s_and_saveexec_b32 s0, vcc_lo
	s_cbranch_execnz .LBB30_111
.LBB30_78:
	s_or_b32 exec_lo, exec_lo, s0
	s_and_saveexec_b32 s0, vcc_lo
	s_cbranch_execnz .LBB30_112
.LBB30_79:
	s_or_b32 exec_lo, exec_lo, s0
	s_and_saveexec_b32 s0, vcc_lo
	s_cbranch_execnz .LBB30_113
.LBB30_80:
	s_or_b32 exec_lo, exec_lo, s0
	s_and_saveexec_b32 s0, vcc_lo
	s_cbranch_execnz .LBB30_114
.LBB30_81:
	s_or_b32 exec_lo, exec_lo, s0
	s_and_saveexec_b32 s0, vcc_lo
	s_cbranch_execnz .LBB30_115
.LBB30_82:
	s_or_b32 exec_lo, exec_lo, s0
	s_and_saveexec_b32 s0, vcc_lo
	s_cbranch_execz .LBB30_84
.LBB30_83:
	ds_read_b32 v15, v13 offset:352
	s_waitcnt lgkmcnt(0)
	v_add_f32_e32 v12, v12, v15
.LBB30_84:
	s_or_b32 exec_lo, exec_lo, s0
.LBB30_85:
	s_or_b32 exec_lo, exec_lo, s1
	v_and_b32_e32 v15, 0x3e3, v0
	s_mov_b32 s1, exec_lo
	s_barrier
	buffer_gl0_inv
	v_cmpx_eq_u32_e32 32, v15
	s_cbranch_execz .LBB30_87
; %bb.86:
	ds_write2_b32 v14, v1, v2 offset1:8
	ds_write2_b32 v14, v3, v4 offset0:16 offset1:24
	ds_write2_b32 v14, v5, v6 offset0:32 offset1:40
	;; [unrolled: 1-line block ×5, first 2 shown]
.LBB30_87:
	s_or_b32 exec_lo, exec_lo, s1
	s_mov_b32 s1, exec_lo
	s_waitcnt lgkmcnt(0)
	s_barrier
	buffer_gl0_inv
	v_cmpx_gt_u32_e32 32, v0
	s_cbranch_execz .LBB30_102
; %bb.88:
	s_and_saveexec_b32 s0, vcc_lo
	s_cbranch_execnz .LBB30_116
; %bb.89:
	s_or_b32 exec_lo, exec_lo, s0
	s_and_saveexec_b32 s0, vcc_lo
	s_cbranch_execnz .LBB30_117
.LBB30_90:
	s_or_b32 exec_lo, exec_lo, s0
	s_and_saveexec_b32 s0, vcc_lo
	s_cbranch_execnz .LBB30_118
.LBB30_91:
	s_or_b32 exec_lo, exec_lo, s0
	s_and_saveexec_b32 s0, vcc_lo
	s_cbranch_execnz .LBB30_119
.LBB30_92:
	s_or_b32 exec_lo, exec_lo, s0
	s_and_saveexec_b32 s0, vcc_lo
	s_cbranch_execnz .LBB30_120
.LBB30_93:
	s_or_b32 exec_lo, exec_lo, s0
	s_and_saveexec_b32 s0, vcc_lo
	s_cbranch_execnz .LBB30_121
.LBB30_94:
	s_or_b32 exec_lo, exec_lo, s0
	s_and_saveexec_b32 s0, vcc_lo
	s_cbranch_execnz .LBB30_122
.LBB30_95:
	s_or_b32 exec_lo, exec_lo, s0
	s_and_saveexec_b32 s0, vcc_lo
	s_cbranch_execnz .LBB30_123
.LBB30_96:
	s_or_b32 exec_lo, exec_lo, s0
	s_and_saveexec_b32 s0, vcc_lo
	s_cbranch_execnz .LBB30_124
.LBB30_97:
	s_or_b32 exec_lo, exec_lo, s0
	s_and_saveexec_b32 s0, vcc_lo
	s_cbranch_execnz .LBB30_125
.LBB30_98:
	s_or_b32 exec_lo, exec_lo, s0
	s_and_saveexec_b32 s0, vcc_lo
	s_cbranch_execnz .LBB30_126
.LBB30_99:
	s_or_b32 exec_lo, exec_lo, s0
	s_and_saveexec_b32 s0, vcc_lo
	s_cbranch_execz .LBB30_101
.LBB30_100:
	ds_read_b32 v13, v13 offset:352
	s_waitcnt lgkmcnt(0)
	v_add_f32_e32 v12, v12, v13
.LBB30_101:
	s_or_b32 exec_lo, exec_lo, s0
.LBB30_102:
	s_or_b32 exec_lo, exec_lo, s1
	s_barrier
	buffer_gl0_inv
	s_mov_b32 s0, exec_lo
	v_cmpx_eq_u32_e32 0, v15
	s_cbranch_execz .LBB30_104
; %bb.103:
	s_mul_i32 s0, s4, 0x60
	s_mul_i32 s2, s7, s10
	s_ashr_i32 s1, s0, 31
	s_lshl_b64 s[0:1], s[0:1], 2
	s_add_u32 s4, s24, s0
	s_addc_u32 s5, s25, s1
	s_ashr_i32 s3, s2, 31
	s_lshl_b64 s[0:1], s[2:3], 2
	s_mul_i32 s2, s8, 0x60
	s_add_u32 s4, s4, s0
	s_addc_u32 s5, s5, s1
	s_ashr_i32 s3, s2, 31
	s_lshl_b64 s[0:1], s[2:3], 2
	s_add_u32 s0, s4, s0
	s_addc_u32 s1, s5, s1
	global_store_dword v0, v1, s[0:1]
	global_store_dword v0, v2, s[0:1] offset:32
	global_store_dword v0, v3, s[0:1] offset:64
	global_store_dword v0, v4, s[0:1] offset:96
	global_store_dword v0, v5, s[0:1] offset:128
	global_store_dword v0, v6, s[0:1] offset:160
	global_store_dword v0, v7, s[0:1] offset:192
	global_store_dword v0, v8, s[0:1] offset:224
	global_store_dword v0, v9, s[0:1] offset:256
	global_store_dword v0, v10, s[0:1] offset:288
	global_store_dword v0, v11, s[0:1] offset:320
	global_store_dword v0, v12, s[0:1] offset:352
.LBB30_104:
	s_endpgm
.LBB30_105:
	ds_read_b32 v15, v13
	s_waitcnt lgkmcnt(0)
	v_add_f32_e32 v1, v1, v15
	s_or_b32 exec_lo, exec_lo, s0
	s_and_saveexec_b32 s0, vcc_lo
	s_cbranch_execz .LBB30_73
.LBB30_106:
	ds_read_b32 v15, v13 offset:32
	s_waitcnt lgkmcnt(0)
	v_add_f32_e32 v2, v2, v15
	s_or_b32 exec_lo, exec_lo, s0
	s_and_saveexec_b32 s0, vcc_lo
	s_cbranch_execz .LBB30_74
.LBB30_107:
	ds_read_b32 v15, v13 offset:64
	s_waitcnt lgkmcnt(0)
	v_add_f32_e32 v3, v3, v15
	s_or_b32 exec_lo, exec_lo, s0
	s_and_saveexec_b32 s0, vcc_lo
	s_cbranch_execz .LBB30_75
.LBB30_108:
	ds_read_b32 v15, v13 offset:96
	s_waitcnt lgkmcnt(0)
	v_add_f32_e32 v4, v4, v15
	s_or_b32 exec_lo, exec_lo, s0
	s_and_saveexec_b32 s0, vcc_lo
	s_cbranch_execz .LBB30_76
.LBB30_109:
	ds_read_b32 v15, v13 offset:128
	s_waitcnt lgkmcnt(0)
	v_add_f32_e32 v5, v5, v15
	s_or_b32 exec_lo, exec_lo, s0
	s_and_saveexec_b32 s0, vcc_lo
	s_cbranch_execz .LBB30_77
.LBB30_110:
	ds_read_b32 v15, v13 offset:160
	s_waitcnt lgkmcnt(0)
	v_add_f32_e32 v6, v6, v15
	s_or_b32 exec_lo, exec_lo, s0
	s_and_saveexec_b32 s0, vcc_lo
	s_cbranch_execz .LBB30_78
.LBB30_111:
	ds_read_b32 v15, v13 offset:192
	s_waitcnt lgkmcnt(0)
	v_add_f32_e32 v7, v7, v15
	s_or_b32 exec_lo, exec_lo, s0
	s_and_saveexec_b32 s0, vcc_lo
	s_cbranch_execz .LBB30_79
.LBB30_112:
	ds_read_b32 v15, v13 offset:224
	s_waitcnt lgkmcnt(0)
	v_add_f32_e32 v8, v8, v15
	s_or_b32 exec_lo, exec_lo, s0
	s_and_saveexec_b32 s0, vcc_lo
	s_cbranch_execz .LBB30_80
.LBB30_113:
	ds_read_b32 v15, v13 offset:256
	s_waitcnt lgkmcnt(0)
	v_add_f32_e32 v9, v9, v15
	s_or_b32 exec_lo, exec_lo, s0
	s_and_saveexec_b32 s0, vcc_lo
	s_cbranch_execz .LBB30_81
.LBB30_114:
	ds_read_b32 v15, v13 offset:288
	s_waitcnt lgkmcnt(0)
	v_add_f32_e32 v10, v10, v15
	s_or_b32 exec_lo, exec_lo, s0
	s_and_saveexec_b32 s0, vcc_lo
	s_cbranch_execz .LBB30_82
.LBB30_115:
	ds_read_b32 v15, v13 offset:320
	s_waitcnt lgkmcnt(0)
	v_add_f32_e32 v11, v11, v15
	s_or_b32 exec_lo, exec_lo, s0
	s_and_saveexec_b32 s0, vcc_lo
	s_cbranch_execnz .LBB30_83
	s_branch .LBB30_84
.LBB30_116:
	ds_read_b32 v14, v13
	s_waitcnt lgkmcnt(0)
	v_add_f32_e32 v1, v1, v14
	s_or_b32 exec_lo, exec_lo, s0
	s_and_saveexec_b32 s0, vcc_lo
	s_cbranch_execz .LBB30_90
.LBB30_117:
	ds_read_b32 v14, v13 offset:32
	s_waitcnt lgkmcnt(0)
	v_add_f32_e32 v2, v2, v14
	s_or_b32 exec_lo, exec_lo, s0
	s_and_saveexec_b32 s0, vcc_lo
	s_cbranch_execz .LBB30_91
.LBB30_118:
	ds_read_b32 v14, v13 offset:64
	s_waitcnt lgkmcnt(0)
	v_add_f32_e32 v3, v3, v14
	s_or_b32 exec_lo, exec_lo, s0
	s_and_saveexec_b32 s0, vcc_lo
	s_cbranch_execz .LBB30_92
.LBB30_119:
	ds_read_b32 v14, v13 offset:96
	s_waitcnt lgkmcnt(0)
	v_add_f32_e32 v4, v4, v14
	s_or_b32 exec_lo, exec_lo, s0
	s_and_saveexec_b32 s0, vcc_lo
	s_cbranch_execz .LBB30_93
.LBB30_120:
	ds_read_b32 v14, v13 offset:128
	s_waitcnt lgkmcnt(0)
	v_add_f32_e32 v5, v5, v14
	s_or_b32 exec_lo, exec_lo, s0
	s_and_saveexec_b32 s0, vcc_lo
	s_cbranch_execz .LBB30_94
.LBB30_121:
	ds_read_b32 v14, v13 offset:160
	s_waitcnt lgkmcnt(0)
	v_add_f32_e32 v6, v6, v14
	s_or_b32 exec_lo, exec_lo, s0
	s_and_saveexec_b32 s0, vcc_lo
	s_cbranch_execz .LBB30_95
.LBB30_122:
	ds_read_b32 v14, v13 offset:192
	s_waitcnt lgkmcnt(0)
	v_add_f32_e32 v7, v7, v14
	s_or_b32 exec_lo, exec_lo, s0
	s_and_saveexec_b32 s0, vcc_lo
	s_cbranch_execz .LBB30_96
.LBB30_123:
	ds_read_b32 v14, v13 offset:224
	s_waitcnt lgkmcnt(0)
	v_add_f32_e32 v8, v8, v14
	s_or_b32 exec_lo, exec_lo, s0
	s_and_saveexec_b32 s0, vcc_lo
	s_cbranch_execz .LBB30_97
.LBB30_124:
	ds_read_b32 v14, v13 offset:256
	s_waitcnt lgkmcnt(0)
	v_add_f32_e32 v9, v9, v14
	s_or_b32 exec_lo, exec_lo, s0
	s_and_saveexec_b32 s0, vcc_lo
	s_cbranch_execz .LBB30_98
.LBB30_125:
	ds_read_b32 v14, v13 offset:288
	s_waitcnt lgkmcnt(0)
	v_add_f32_e32 v10, v10, v14
	s_or_b32 exec_lo, exec_lo, s0
	s_and_saveexec_b32 s0, vcc_lo
	s_cbranch_execz .LBB30_99
.LBB30_126:
	ds_read_b32 v14, v13 offset:320
	s_waitcnt lgkmcnt(0)
	v_add_f32_e32 v11, v11, v14
	s_or_b32 exec_lo, exec_lo, s0
	s_and_saveexec_b32 s0, vcc_lo
	s_cbranch_execnz .LBB30_100
	s_branch .LBB30_101
	.section	.rodata,"a",@progbits
	.p2align	6, 0x0
	.amdhsa_kernel _ZN4vllm25paged_attention_v2_kernelIffLi96ELi16ELi128ELNS_18Fp8KVCacheDataTypeE0ELb1ELi512EEEvPfS2_PT_PKS3_PKT0_S9_ifPKiSB_iPKfiiiSD_SD_iiiii
		.amdhsa_group_segment_fixed_size 416
		.amdhsa_private_segment_fixed_size 0
		.amdhsa_kernarg_size 400
		.amdhsa_user_sgpr_count 6
		.amdhsa_user_sgpr_private_segment_buffer 1
		.amdhsa_user_sgpr_dispatch_ptr 0
		.amdhsa_user_sgpr_queue_ptr 0
		.amdhsa_user_sgpr_kernarg_segment_ptr 1
		.amdhsa_user_sgpr_dispatch_id 0
		.amdhsa_user_sgpr_flat_scratch_init 0
		.amdhsa_user_sgpr_private_segment_size 0
		.amdhsa_wavefront_size32 1
		.amdhsa_uses_dynamic_stack 0
		.amdhsa_system_sgpr_private_segment_wavefront_offset 0
		.amdhsa_system_sgpr_workgroup_id_x 1
		.amdhsa_system_sgpr_workgroup_id_y 1
		.amdhsa_system_sgpr_workgroup_id_z 1
		.amdhsa_system_sgpr_workgroup_info 0
		.amdhsa_system_vgpr_workitem_id 0
		.amdhsa_next_free_vgpr 83
		.amdhsa_next_free_sgpr 46
		.amdhsa_reserve_vcc 1
		.amdhsa_reserve_flat_scratch 0
		.amdhsa_float_round_mode_32 0
		.amdhsa_float_round_mode_16_64 0
		.amdhsa_float_denorm_mode_32 3
		.amdhsa_float_denorm_mode_16_64 3
		.amdhsa_dx10_clamp 1
		.amdhsa_ieee_mode 1
		.amdhsa_fp16_overflow 0
		.amdhsa_workgroup_processor_mode 1
		.amdhsa_memory_ordered 1
		.amdhsa_forward_progress 1
		.amdhsa_shared_vgpr_count 0
		.amdhsa_exception_fp_ieee_invalid_op 0
		.amdhsa_exception_fp_denorm_src 0
		.amdhsa_exception_fp_ieee_div_zero 0
		.amdhsa_exception_fp_ieee_overflow 0
		.amdhsa_exception_fp_ieee_underflow 0
		.amdhsa_exception_fp_ieee_inexact 0
		.amdhsa_exception_int_div_zero 0
	.end_amdhsa_kernel
	.section	.text._ZN4vllm25paged_attention_v2_kernelIffLi96ELi16ELi128ELNS_18Fp8KVCacheDataTypeE0ELb1ELi512EEEvPfS2_PT_PKS3_PKT0_S9_ifPKiSB_iPKfiiiSD_SD_iiiii,"axG",@progbits,_ZN4vllm25paged_attention_v2_kernelIffLi96ELi16ELi128ELNS_18Fp8KVCacheDataTypeE0ELb1ELi512EEEvPfS2_PT_PKS3_PKT0_S9_ifPKiSB_iPKfiiiSD_SD_iiiii,comdat
.Lfunc_end30:
	.size	_ZN4vllm25paged_attention_v2_kernelIffLi96ELi16ELi128ELNS_18Fp8KVCacheDataTypeE0ELb1ELi512EEEvPfS2_PT_PKS3_PKT0_S9_ifPKiSB_iPKfiiiSD_SD_iiiii, .Lfunc_end30-_ZN4vllm25paged_attention_v2_kernelIffLi96ELi16ELi128ELNS_18Fp8KVCacheDataTypeE0ELb1ELi512EEEvPfS2_PT_PKS3_PKT0_S9_ifPKiSB_iPKfiiiSD_SD_iiiii
                                        ; -- End function
	.set _ZN4vllm25paged_attention_v2_kernelIffLi96ELi16ELi128ELNS_18Fp8KVCacheDataTypeE0ELb1ELi512EEEvPfS2_PT_PKS3_PKT0_S9_ifPKiSB_iPKfiiiSD_SD_iiiii.num_vgpr, 83
	.set _ZN4vllm25paged_attention_v2_kernelIffLi96ELi16ELi128ELNS_18Fp8KVCacheDataTypeE0ELb1ELi512EEEvPfS2_PT_PKS3_PKT0_S9_ifPKiSB_iPKfiiiSD_SD_iiiii.num_agpr, 0
	.set _ZN4vllm25paged_attention_v2_kernelIffLi96ELi16ELi128ELNS_18Fp8KVCacheDataTypeE0ELb1ELi512EEEvPfS2_PT_PKS3_PKT0_S9_ifPKiSB_iPKfiiiSD_SD_iiiii.numbered_sgpr, 46
	.set _ZN4vllm25paged_attention_v2_kernelIffLi96ELi16ELi128ELNS_18Fp8KVCacheDataTypeE0ELb1ELi512EEEvPfS2_PT_PKS3_PKT0_S9_ifPKiSB_iPKfiiiSD_SD_iiiii.num_named_barrier, 0
	.set _ZN4vllm25paged_attention_v2_kernelIffLi96ELi16ELi128ELNS_18Fp8KVCacheDataTypeE0ELb1ELi512EEEvPfS2_PT_PKS3_PKT0_S9_ifPKiSB_iPKfiiiSD_SD_iiiii.private_seg_size, 0
	.set _ZN4vllm25paged_attention_v2_kernelIffLi96ELi16ELi128ELNS_18Fp8KVCacheDataTypeE0ELb1ELi512EEEvPfS2_PT_PKS3_PKT0_S9_ifPKiSB_iPKfiiiSD_SD_iiiii.uses_vcc, 1
	.set _ZN4vllm25paged_attention_v2_kernelIffLi96ELi16ELi128ELNS_18Fp8KVCacheDataTypeE0ELb1ELi512EEEvPfS2_PT_PKS3_PKT0_S9_ifPKiSB_iPKfiiiSD_SD_iiiii.uses_flat_scratch, 0
	.set _ZN4vllm25paged_attention_v2_kernelIffLi96ELi16ELi128ELNS_18Fp8KVCacheDataTypeE0ELb1ELi512EEEvPfS2_PT_PKS3_PKT0_S9_ifPKiSB_iPKfiiiSD_SD_iiiii.has_dyn_sized_stack, 0
	.set _ZN4vllm25paged_attention_v2_kernelIffLi96ELi16ELi128ELNS_18Fp8KVCacheDataTypeE0ELb1ELi512EEEvPfS2_PT_PKS3_PKT0_S9_ifPKiSB_iPKfiiiSD_SD_iiiii.has_recursion, 0
	.set _ZN4vllm25paged_attention_v2_kernelIffLi96ELi16ELi128ELNS_18Fp8KVCacheDataTypeE0ELb1ELi512EEEvPfS2_PT_PKS3_PKT0_S9_ifPKiSB_iPKfiiiSD_SD_iiiii.has_indirect_call, 0
	.section	.AMDGPU.csdata,"",@progbits
; Kernel info:
; codeLenInByte = 7172
; TotalNumSgprs: 48
; NumVgprs: 83
; ScratchSize: 0
; MemoryBound: 0
; FloatMode: 240
; IeeeMode: 1
; LDSByteSize: 416 bytes/workgroup (compile time only)
; SGPRBlocks: 0
; VGPRBlocks: 10
; NumSGPRsForWavesPerEU: 48
; NumVGPRsForWavesPerEU: 83
; Occupancy: 10
; WaveLimiterHint : 1
; COMPUTE_PGM_RSRC2:SCRATCH_EN: 0
; COMPUTE_PGM_RSRC2:USER_SGPR: 6
; COMPUTE_PGM_RSRC2:TRAP_HANDLER: 0
; COMPUTE_PGM_RSRC2:TGID_X_EN: 1
; COMPUTE_PGM_RSRC2:TGID_Y_EN: 1
; COMPUTE_PGM_RSRC2:TGID_Z_EN: 1
; COMPUTE_PGM_RSRC2:TIDIG_COMP_CNT: 0
	.section	.text._ZN4vllm25paged_attention_v2_kernelIffLi112ELi16ELi128ELNS_18Fp8KVCacheDataTypeE0ELb1ELi512EEEvPfS2_PT_PKS3_PKT0_S9_ifPKiSB_iPKfiiiSD_SD_iiiii,"axG",@progbits,_ZN4vllm25paged_attention_v2_kernelIffLi112ELi16ELi128ELNS_18Fp8KVCacheDataTypeE0ELb1ELi512EEEvPfS2_PT_PKS3_PKT0_S9_ifPKiSB_iPKfiiiSD_SD_iiiii,comdat
	.protected	_ZN4vllm25paged_attention_v2_kernelIffLi112ELi16ELi128ELNS_18Fp8KVCacheDataTypeE0ELb1ELi512EEEvPfS2_PT_PKS3_PKT0_S9_ifPKiSB_iPKfiiiSD_SD_iiiii ; -- Begin function _ZN4vllm25paged_attention_v2_kernelIffLi112ELi16ELi128ELNS_18Fp8KVCacheDataTypeE0ELb1ELi512EEEvPfS2_PT_PKS3_PKT0_S9_ifPKiSB_iPKfiiiSD_SD_iiiii
	.globl	_ZN4vllm25paged_attention_v2_kernelIffLi112ELi16ELi128ELNS_18Fp8KVCacheDataTypeE0ELb1ELi512EEEvPfS2_PT_PKS3_PKT0_S9_ifPKiSB_iPKfiiiSD_SD_iiiii
	.p2align	8
	.type	_ZN4vllm25paged_attention_v2_kernelIffLi112ELi16ELi128ELNS_18Fp8KVCacheDataTypeE0ELb1ELi512EEEvPfS2_PT_PKS3_PKT0_S9_ifPKiSB_iPKfiiiSD_SD_iiiii,@function
_ZN4vllm25paged_attention_v2_kernelIffLi112ELi16ELi128ELNS_18Fp8KVCacheDataTypeE0ELb1ELi512EEEvPfS2_PT_PKS3_PKT0_S9_ifPKiSB_iPKfiiiSD_SD_iiiii: ; @_ZN4vllm25paged_attention_v2_kernelIffLi112ELi16ELi128ELNS_18Fp8KVCacheDataTypeE0ELb1ELi512EEEvPfS2_PT_PKS3_PKT0_S9_ifPKiSB_iPKfiiiSD_SD_iiiii
; %bb.0:
	s_load_dwordx2 s[0:1], s[4:5], 0x40
	s_mov_b32 s26, s7
	s_ashr_i32 s27, s7, 31
	s_lshl_b64 s[2:3], s[26:27], 2
	s_waitcnt lgkmcnt(0)
	s_add_u32 s0, s0, s2
	s_addc_u32 s1, s1, s3
	s_lshl_b32 s38, s8, 9
	s_load_dword s27, s[0:1], 0x0
	s_waitcnt lgkmcnt(0)
	s_cmp_ge_i32 s38, s27
	s_cbranch_scc1 .LBB31_112
; %bb.1:
	s_clause 0x1
	s_load_dword s9, s[4:5], 0x90
	s_load_dwordx2 s[36:37], s[4:5], 0x30
	s_mov_b32 s40, 0
	s_waitcnt lgkmcnt(0)
	s_abs_i32 s3, s9
	s_abs_i32 s0, s36
	v_cvt_f32_u32_e32 v1, s0
	s_sub_i32 s2, 0, s0
	v_rcp_iflag_f32_e32 v1, v1
	v_mul_f32_e32 v1, 0x4f7ffffe, v1
	v_cvt_u32_f32_e32 v1, v1
	v_readfirstlane_b32 s1, v1
	s_mul_i32 s2, s2, s1
	s_mul_hi_u32 s2, s1, s2
	s_add_i32 s1, s1, s2
	s_xor_b32 s2, s9, s36
	s_mul_hi_u32 s1, s3, s1
	s_ashr_i32 s2, s2, 31
	s_mul_i32 s7, s1, s0
	s_sub_i32 s3, s3, s7
	s_add_i32 s7, s1, 1
	s_sub_i32 s10, s3, s0
	s_cmp_ge_u32 s3, s0
	s_cselect_b32 s1, s7, s1
	s_cselect_b32 s3, s10, s3
	s_add_i32 s7, s1, 1
	s_cmp_ge_u32 s3, s0
	s_cselect_b32 s0, s7, s1
	s_xor_b32 s0, s0, s2
	s_sub_i32 s10, s0, s2
	s_load_dwordx2 s[0:1], s[4:5], 0x50
	s_abs_i32 s2, s10
	v_cvt_f32_u32_e32 v1, s2
	s_sub_i32 s3, 0, s2
	v_rcp_iflag_f32_e32 v1, v1
	v_mul_f32_e32 v1, 0x4f7ffffe, v1
	v_cvt_u32_f32_e32 v1, v1
	v_readfirstlane_b32 s7, v1
	s_mul_i32 s3, s3, s7
	s_mul_hi_u32 s11, s7, s3
	s_abs_i32 s3, s6
	s_add_i32 s7, s7, s11
	s_waitcnt lgkmcnt(0)
	s_cmp_eq_u64 s[0:1], 0
	s_mul_hi_u32 s20, s3, s7
	s_cbranch_scc1 .LBB31_3
; %bb.2:
	s_ashr_i32 s7, s6, 31
	s_lshl_b64 s[12:13], s[6:7], 2
	s_add_u32 s0, s0, s12
	s_addc_u32 s1, s1, s13
	s_load_dword s40, s[0:1], 0x0
.LBB31_3:
	s_load_dwordx4 s[12:15], s[4:5], 0x58
	v_and_b32_e32 v1, 1, v0
	v_lshlrev_b32_e32 v2, 3, v0
	v_lshlrev_b32_e32 v3, 2, v0
	s_ashr_i32 s0, s6, 31
	s_ashr_i32 s1, s10, 31
	s_mul_i32 s10, s6, 0x70
	s_mov_b32 s7, exec_lo
	v_cmpx_gt_u32_e32 56, v0
	s_cbranch_execz .LBB31_5
; %bb.4:
	s_load_dwordx2 s[16:17], s[4:5], 0x18
	s_waitcnt lgkmcnt(0)
	s_mul_i32 s18, s12, s26
	v_and_b32_e32 v6, 0xff8, v3
	s_ashr_i32 s19, s18, 31
	s_lshl_b64 s[18:19], s[18:19], 2
	v_mad_u32_u24 v6, 0xe0, v1, v6
	s_add_u32 s12, s16, s18
	s_addc_u32 s15, s17, s19
	s_ashr_i32 s11, s10, 31
	s_lshl_b64 s[16:17], s[10:11], 2
	s_add_u32 s16, s12, s16
	s_addc_u32 s17, s15, s17
	global_load_dwordx2 v[4:5], v2, s[16:17]
	s_waitcnt vmcnt(0)
	ds_write_b64 v6, v[4:5]
.LBB31_5:
	s_or_b32 exec_lo, exec_lo, s7
	s_load_dwordx4 s[16:19], s[4:5], 0x78
	s_mul_i32 s7, s20, s2
	s_xor_b32 s0, s0, s1
	s_sub_i32 s1, s3, s7
	s_add_i32 s3, s20, 1
	s_sub_i32 s7, s1, s2
	s_cmp_ge_u32 s1, s2
                                        ; implicit-def: $sgpr33
	s_cselect_b32 s3, s3, s20
	s_cselect_b32 s1, s7, s1
	s_add_i32 s7, s3, 1
	s_cmp_ge_u32 s1, s2
	s_mov_b32 s20, -1
	s_cselect_b32 s1, s7, s3
	s_load_dword s3, s[4:5], 0x88
	s_xor_b32 s1, s1, s0
	s_add_i32 s7, s27, -1
	s_sub_i32 s1, s1, s0
	s_abs_i32 s2, s7
	s_waitcnt lgkmcnt(0)
	s_abs_i32 s11, s19
	s_barrier
	v_cvt_f32_u32_e32 v4, s11
	s_sub_i32 s0, 0, s11
	buffer_gl0_inv
	v_rcp_iflag_f32_e32 v4, v4
	v_mul_f32_e32 v4, 0x4f7ffffe, v4
	v_cvt_u32_f32_e32 v4, v4
	v_readfirstlane_b32 s12, v4
	s_mul_i32 s0, s0, s12
	s_mul_hi_u32 s0, s12, s0
	s_add_i32 s12, s12, s0
	s_cmp_lt_i32 s3, 0
	s_mul_hi_u32 s0, s2, s12
	s_cbranch_scc0 .LBB31_7
; %bb.6:
	s_mul_i32 s15, s16, s36
	s_mov_b32 s20, 0
	s_add_i32 s15, s1, s15
	s_mul_i32 s15, s15, s3
	s_sub_i32 s33, 1, s15
.LBB31_7:
	s_load_dwordx2 s[28:29], s[4:5], 0x38
	s_ashr_i32 s15, s7, 31
	s_andn2_b32 vcc_lo, exec_lo, s20
	s_ashr_i32 s19, s19, 31
	s_cbranch_vccnz .LBB31_9
; %bb.8:
	s_mul_i32 s7, s9, s16
	s_add_i32 s7, s7, s6
	s_mul_i32 s3, s7, s3
	s_add_i32 s33, s3, 1
.LBB31_9:
	s_clause 0x4
	s_load_dword s3, s[4:5], 0x48
	s_load_dwordx2 s[34:35], s[4:5], 0x28
	s_load_dword s7, s[4:5], 0x98
	s_load_dwordx4 s[20:23], s[4:5], 0x0
	s_load_dwordx2 s[24:25], s[4:5], 0x10
	s_mul_i32 s16, s0, s11
	s_xor_b32 s15, s15, s19
	s_sub_i32 s2, s2, s16
	s_add_i32 s36, s0, 1
	v_lshrrev_b32_e32 v64, 5, v0
	v_mov_b32_e32 v5, 0xff7fffff
	v_mbcnt_lo_u32_b32 v4, -1, 0
	s_mul_i32 s14, s1, s14
	v_lshl_add_u32 v65, v64, 4, s38
	s_waitcnt lgkmcnt(0)
	s_mul_i32 s30, s3, s26
	s_sub_i32 s3, s2, s11
	s_ashr_i32 s31, s30, 31
	s_cmp_ge_u32 s2, s11
	s_cselect_b32 s0, s36, s0
	s_cselect_b32 s2, s3, s2
	s_add_i32 s3, s0, 1
	s_cmp_ge_u32 s2, s11
	s_cselect_b32 s0, s3, s0
	s_add_i32 s2, s27, 15
	s_lshl_b32 s41, s8, 5
	s_ashr_i32 s3, s2, 31
	v_or_b32_e32 v61, s41, v64
	s_lshr_b32 s3, s3, 28
	s_add_i32 s2, s2, s3
	s_add_i32 s3, s41, 32
	s_ashr_i32 s36, s2, 4
	s_xor_b32 s2, s0, s15
	s_min_i32 s16, s3, s36
	v_ashrrev_i32_e32 v62, 31, v61
	v_cmp_gt_i32_e64 s0, s16, v61
	s_sub_i32 s39, s2, s15
	s_and_saveexec_b32 s42, s0
	s_cbranch_execz .LBB31_21
; %bb.10:
	s_load_dwordx2 s[2:3], s[4:5], 0x20
	s_ashr_i32 s15, s14, 31
	s_sub_i32 s4, s39, s17
	s_lshl_b64 s[44:45], s[14:15], 2
	v_bfe_u32 v6, v0, 1, 4
	v_cmp_eq_u32_e32 vcc_lo, 0, v1
	v_and_b32_e32 v13, 8, v2
	v_mul_u32_u24_e32 v7, 0xe0, v1
	v_lshlrev_b64 v[1:2], 2, v[61:62]
	v_lshlrev_b32_e32 v11, 2, v6
	v_subrev_nc_u32_e32 v14, s27, v6
	v_lshlrev_b32_e32 v17, 4, v6
	v_cmp_neq_f32_e64 s1, s40, 0
	v_lshl_add_u32 v8, v64, 4, s38
	v_lshl_or_b32 v15, v64, 6, v11
	v_add_nc_u32_e32 v11, 1, v14
	v_mov_b32_e32 v9, 0xff7fffff
	v_xor_b32_e32 v10, 1, v4
	s_waitcnt lgkmcnt(0)
	s_add_u32 s15, s2, s44
	s_addc_u32 s43, s3, s45
	s_abs_i32 s5, s18
	v_cvt_f32_u32_e32 v5, s5
	s_sub_i32 s2, 0, s5
	v_rcp_iflag_f32_e32 v5, v5
	v_mul_f32_e32 v12, 0x4f7ffffe, v5
	v_mov_b32_e32 v5, 0xff7fffff
	v_cvt_u32_f32_e32 v16, v12
	v_add_nc_u32_e32 v12, 0x1e0, v15
	v_add_co_u32 v15, s15, s15, v17
	v_add_co_ci_u32_e64 v17, null, s43, 0, s15
	v_mul_lo_u32 v14, s2, v16
	s_lshl_b64 s[2:3], s[30:31], 2
	s_mov_b32 s15, 0
	s_add_u32 s2, s28, s2
	s_addc_u32 s3, s29, s3
	v_add_co_u32 v1, s2, s2, v1
	v_add_co_ci_u32_e64 v2, null, s3, v2, s2
	v_mul_hi_u32 v18, v16, v14
	v_add_co_u32 v13, s2, v15, v13
	v_add_co_ci_u32_e64 v14, null, 0, v17, s2
	s_mov_b32 s43, s13
	v_add_nc_u32_e32 v15, v16, v18
	v_mov_b32_e32 v16, v61
	s_branch .LBB31_13
.LBB31_11:                              ;   in Loop: Header=BB31_13 Depth=1
	s_or_b32 exec_lo, exec_lo, s44
.LBB31_12:                              ;   in Loop: Header=BB31_13 Depth=1
	s_or_b32 exec_lo, exec_lo, s3
	v_add_nc_u32_e32 v16, 4, v16
	v_add_co_u32 v1, s3, v1, 16
	v_add_co_ci_u32_e64 v2, null, 0, v2, s3
	v_cmp_le_i32_e64 s2, s16, v16
	v_add_nc_u32_e32 v8, 64, v8
	v_add_nc_u32_e32 v12, 0x100, v12
	s_or_b32 s15, s2, s15
	s_andn2_b32 exec_lo, exec_lo, s15
	s_cbranch_execz .LBB31_20
.LBB31_13:                              ; =>This Inner Loop Header: Depth=1
	v_sub_nc_u32_e32 v17, 0, v8
	v_max_i32_e32 v17, v8, v17
	s_waitcnt lgkmcnt(0)
	v_mul_hi_u32 v18, v17, s12
	v_mul_lo_u32 v19, v18, s11
	v_sub_nc_u32_e32 v17, v17, v19
	v_add_nc_u32_e32 v19, 1, v18
	v_subrev_nc_u32_e32 v20, s11, v17
	v_cmp_le_u32_e64 s2, s11, v17
	v_cndmask_b32_e64 v18, v18, v19, s2
	v_cndmask_b32_e64 v17, v17, v20, s2
	v_ashrrev_i32_e32 v19, 31, v8
	v_add_nc_u32_e32 v20, 1, v18
	v_cmp_le_u32_e64 s2, s11, v17
	v_xor_b32_e32 v19, s19, v19
	v_cndmask_b32_e64 v17, v18, v20, s2
	v_xor_b32_e32 v17, v17, v19
	v_sub_nc_u32_e32 v17, v17, v19
	v_add_nc_u32_e32 v18, s33, v17
	v_cmp_ge_i32_e64 s3, s4, v17
	v_sub_nc_u32_e32 v19, 0, v18
	v_max_i32_e32 v19, v18, v19
	v_ashrrev_i32_e32 v18, 31, v18
	v_mul_hi_u32 v20, v19, v15
	v_mul_lo_u32 v20, v20, s5
	v_sub_nc_u32_e32 v19, v19, v20
	v_subrev_nc_u32_e32 v20, s5, v19
	v_cmp_le_u32_e64 s2, s5, v19
	v_cndmask_b32_e64 v19, v19, v20, s2
	v_subrev_nc_u32_e32 v20, s5, v19
	v_cmp_le_u32_e64 s2, s5, v19
	v_cndmask_b32_e64 v19, v19, v20, s2
	v_xor_b32_e32 v19, v19, v18
	v_sub_nc_u32_e32 v18, v19, v18
	v_cmp_ne_u32_e64 s2, 0, v18
	s_and_b32 s2, s2, s3
	s_and_saveexec_b32 s3, s2
	s_xor_b32 s2, exec_lo, s3
	s_cbranch_execz .LBB31_17
; %bb.14:                               ;   in Loop: Header=BB31_13 Depth=1
	s_and_saveexec_b32 s3, vcc_lo
; %bb.15:                               ;   in Loop: Header=BB31_13 Depth=1
	ds_write_b32 v12, v9
; %bb.16:                               ;   in Loop: Header=BB31_13 Depth=1
	s_or_b32 exec_lo, exec_lo, s3
.LBB31_17:                              ;   in Loop: Header=BB31_13 Depth=1
	s_andn2_saveexec_b32 s3, s2
	s_cbranch_execz .LBB31_12
; %bb.18:                               ;   in Loop: Header=BB31_13 Depth=1
	global_load_dword v17, v[1:2], off
	s_waitcnt vmcnt(0)
	v_mad_i64_i32 v[17:18], null, v17, s43, 0
	v_lshlrev_b64 v[17:18], 2, v[17:18]
	v_add_co_u32 v17, s2, v13, v17
	v_add_co_ci_u32_e64 v18, null, v14, v18, s2
	s_clause 0x7
	global_load_dwordx2 v[29:30], v[17:18], off offset:256
	global_load_dwordx2 v[31:32], v[17:18], off offset:512
	;; [unrolled: 1-line block ×3, first 2 shown]
	global_load_dwordx2 v[35:36], v[17:18], off
	global_load_dwordx2 v[37:38], v[17:18], off offset:1024
	global_load_dwordx2 v[39:40], v[17:18], off offset:1280
	;; [unrolled: 1-line block ×4, first 2 shown]
	v_add_co_u32 v19, s2, v17, 0x1000
	v_add_co_ci_u32_e64 v20, null, 0, v18, s2
	v_add_co_u32 v21, s2, 0x800, v17
	v_add_co_ci_u32_e64 v22, null, 0, v18, s2
	s_clause 0x7
	global_load_dwordx2 v[45:46], v[19:20], off offset:-2048
	global_load_dwordx2 v[47:48], v[21:22], off offset:256
	global_load_dwordx2 v[49:50], v[21:22], off offset:512
	;; [unrolled: 1-line block ×7, first 2 shown]
	v_add_co_u32 v21, s2, 0x1000, v17
	v_add_co_ci_u32_e64 v22, null, 0, v18, s2
	s_clause 0x6
	global_load_dwordx2 v[66:67], v[19:20], off
	global_load_dwordx2 v[68:69], v[21:22], off offset:256
	global_load_dwordx2 v[70:71], v[21:22], off offset:512
	;; [unrolled: 1-line block ×6, first 2 shown]
	v_add_co_u32 v17, s2, 0x1800, v17
	v_add_co_ci_u32_e64 v18, null, 0, v18, s2
	s_clause 0x4
	global_load_dwordx2 v[80:81], v[21:22], off offset:1792
	global_load_dwordx2 v[82:83], v[17:18], off
	global_load_dwordx2 v[84:85], v[17:18], off offset:256
	global_load_dwordx2 v[86:87], v[17:18], off offset:512
	;; [unrolled: 1-line block ×3, first 2 shown]
	ds_read_b128 v[17:20], v7
	ds_read_b128 v[21:24], v7 offset:16
	ds_read_b128 v[25:28], v7 offset:32
	v_cmp_gt_i32_e64 s2, 32, v10
	s_waitcnt vmcnt(27) lgkmcnt(2)
	v_mul_f32_e32 v29, v19, v29
	v_mul_f32_e32 v30, v20, v30
	s_waitcnt vmcnt(24)
	v_fmac_f32_e32 v29, v17, v35
	v_fmac_f32_e32 v30, v18, v36
	ds_read_b128 v[17:20], v7 offset:48
	s_waitcnt lgkmcnt(2)
	v_fmac_f32_e32 v29, v21, v31
	v_fmac_f32_e32 v30, v22, v32
	;; [unrolled: 1-line block ×4, first 2 shown]
	ds_read_b128 v[21:24], v7 offset:64
	s_waitcnt vmcnt(23) lgkmcnt(2)
	v_fmac_f32_e32 v29, v25, v37
	v_fmac_f32_e32 v30, v26, v38
	s_waitcnt vmcnt(22)
	v_fmac_f32_e32 v29, v27, v39
	v_fmac_f32_e32 v30, v28, v40
	ds_read_b128 v[25:28], v7 offset:80
	s_waitcnt vmcnt(21) lgkmcnt(2)
	v_fmac_f32_e32 v29, v17, v41
	v_fmac_f32_e32 v30, v18, v42
	s_waitcnt vmcnt(20)
	v_fmac_f32_e32 v29, v19, v43
	v_fmac_f32_e32 v30, v20, v44
	;; [unrolled: 7-line block ×10, first 2 shown]
	s_waitcnt vmcnt(3) lgkmcnt(1)
	v_fmac_f32_e32 v29, v17, v82
	v_fmac_f32_e32 v30, v18, v83
	v_cndmask_b32_e64 v17, v4, v10, s2
	s_waitcnt vmcnt(2)
	v_fmac_f32_e32 v29, v84, v19
	v_fmac_f32_e32 v30, v85, v20
	v_lshlrev_b32_e32 v18, 2, v17
	s_waitcnt vmcnt(1) lgkmcnt(0)
	v_fmac_f32_e32 v29, v86, v21
	v_fmac_f32_e32 v30, v87, v22
	s_waitcnt vmcnt(0)
	v_fmac_f32_e32 v29, v88, v23
	v_fmac_f32_e32 v30, v89, v24
	v_add_f32_e32 v17, v29, v30
	ds_bpermute_b32 v18, v18, v17
	s_and_saveexec_b32 s44, vcc_lo
	s_cbranch_execz .LBB31_11
; %bb.19:                               ;   in Loop: Header=BB31_13 Depth=1
	v_add_nc_u32_e32 v19, v11, v8
	s_waitcnt lgkmcnt(0)
	v_add_f32_e32 v17, v17, v18
	v_cvt_f32_i32_e32 v19, v19
	v_mul_f32_e32 v19, s40, v19
	v_cndmask_b32_e64 v18, 0, v19, s1
	v_max_f32_e32 v19, v5, v5
	v_fmac_f32_e32 v18, s37, v17
	v_add_nc_u32_e32 v17, v6, v8
	v_max_f32_e32 v19, v19, v18
	v_cmp_gt_i32_e64 s2, s27, v17
	v_cndmask_b32_e64 v17, 0, v18, s2
	v_cndmask_b32_e64 v5, v5, v19, s2
	ds_write_b32 v12, v17
	s_branch .LBB31_11
.LBB31_20:
	s_or_b32 exec_lo, exec_lo, s15
.LBB31_21:
	s_or_b32 exec_lo, exec_lo, s42
	v_xor_b32_e32 v1, 16, v4
	v_xor_b32_e32 v6, 8, v4
	v_max_f32_e32 v7, v5, v5
	v_and_b32_e32 v66, 31, v0
	v_cmp_gt_i32_e32 vcc_lo, 32, v1
	v_cndmask_b32_e32 v1, v4, v1, vcc_lo
	v_cmp_gt_i32_e32 vcc_lo, 32, v6
	v_lshlrev_b32_e32 v2, 2, v1
	ds_bpermute_b32 v1, v2, v5
	v_cndmask_b32_e32 v5, v4, v6, vcc_lo
	v_lshlrev_b32_e32 v5, 2, v5
	s_waitcnt lgkmcnt(0)
	v_max_f32_e32 v1, v1, v1
	v_max_f32_e32 v1, v7, v1
	v_xor_b32_e32 v7, 4, v4
	ds_bpermute_b32 v6, v5, v1
	v_cmp_gt_i32_e32 vcc_lo, 32, v7
	v_cndmask_b32_e32 v7, v4, v7, vcc_lo
	s_waitcnt lgkmcnt(0)
	v_max_f32_e32 v8, v6, v6
	v_lshlrev_b32_e32 v6, 2, v7
	v_max_f32_e32 v1, v1, v8
	v_xor_b32_e32 v8, 2, v4
	ds_bpermute_b32 v7, v6, v1
	v_cmp_gt_i32_e32 vcc_lo, 32, v8
	v_cndmask_b32_e32 v8, v4, v8, vcc_lo
	v_cmp_eq_u32_e32 vcc_lo, 0, v66
	v_lshlrev_b32_e32 v67, 2, v8
	s_waitcnt lgkmcnt(0)
	v_max_f32_e32 v7, v7, v7
	v_max_f32_e32 v1, v1, v7
	v_lshlrev_b32_e32 v7, 2, v64
	ds_bpermute_b32 v8, v67, v1
	s_and_saveexec_b32 s1, vcc_lo
	s_cbranch_execz .LBB31_23
; %bb.22:
	s_waitcnt lgkmcnt(0)
	v_max_f32_e32 v8, v8, v8
	v_max_f32_e32 v1, v1, v1
	;; [unrolled: 1-line block ×3, first 2 shown]
	ds_write_b32 v7, v1 offset:448
.LBB31_23:
	s_or_b32 exec_lo, exec_lo, s1
	v_cmp_gt_u32_e64 s1, 4, v66
	v_mov_b32_e32 v1, 0xff7fffff
	s_waitcnt lgkmcnt(0)
	v_lshlrev_b32_e32 v8, 2, v66
	s_barrier
	buffer_gl0_inv
	s_and_saveexec_b32 s2, s1
; %bb.24:
	ds_read_b32 v1, v8 offset:448
; %bb.25:
	s_or_b32 exec_lo, exec_lo, s2
	s_waitcnt lgkmcnt(0)
	ds_bpermute_b32 v9, v67, v1
	v_xor_b32_e32 v10, 1, v4
	v_max_f32_e32 v1, v1, v1
	v_cmp_gt_i32_e64 s2, 32, v10
	v_cndmask_b32_e64 v4, v4, v10, s2
	s_sub_i32 s2, s16, s41
	s_lshl_b32 s2, s2, 4
	v_lshlrev_b32_e32 v68, 2, v4
	s_add_i32 s2, s2, s38
	s_min_i32 s2, s2, s27
	s_waitcnt lgkmcnt(0)
	v_max_f32_e32 v9, v9, v9
	s_sub_i32 s4, s2, s38
	v_cmp_gt_i32_e64 s2, s4, v0
	v_max_f32_e32 v1, v1, v9
	v_mov_b32_e32 v9, 0
	ds_bpermute_b32 v4, v68, v1
	s_waitcnt lgkmcnt(0)
	v_max_f32_e32 v4, v4, v4
	v_max_f32_e32 v1, v1, v4
	v_lshl_add_u32 v4, v0, 2, 0x1e0
	ds_bpermute_b32 v1, v9, v1
	s_and_saveexec_b32 s5, s2
	s_cbranch_execz .LBB31_29
; %bb.26:
	v_lshl_add_u32 v10, v0, 2, 0x1e0
	v_mov_b32_e32 v9, 0
	v_mov_b32_e32 v11, v0
	s_mov_b32 s15, 0
	.p2align	6
.LBB31_27:                              ; =>This Inner Loop Header: Depth=1
	ds_read_b32 v12, v10
	v_add_nc_u32_e32 v11, 0x80, v11
	v_cmp_le_i32_e64 s3, s4, v11
	s_or_b32 s15, s3, s15
	s_waitcnt lgkmcnt(0)
	v_sub_f32_e32 v12, v12, v1
	v_mul_f32_e32 v12, 0x3fb8aa3b, v12
	v_exp_f32_e32 v12, v12
	ds_write_b32 v10, v12
	v_add_f32_e32 v9, v9, v12
	v_add_nc_u32_e32 v10, 0x200, v10
	s_andn2_b32 exec_lo, exec_lo, s15
	s_cbranch_execnz .LBB31_27
; %bb.28:
	s_or_b32 exec_lo, exec_lo, s15
.LBB31_29:
	s_or_b32 exec_lo, exec_lo, s5
	ds_bpermute_b32 v2, v2, v9
	s_waitcnt lgkmcnt(0)
	v_add_f32_e32 v2, v9, v2
	ds_bpermute_b32 v5, v5, v2
	s_waitcnt lgkmcnt(0)
	v_add_f32_e32 v2, v2, v5
	;; [unrolled: 3-line block ×5, first 2 shown]
	s_and_saveexec_b32 s3, vcc_lo
; %bb.30:
	ds_write_b32 v7, v2 offset:464
; %bb.31:
	s_or_b32 exec_lo, exec_lo, s3
	s_waitcnt lgkmcnt(0)
	s_barrier
	buffer_gl0_inv
	s_and_saveexec_b32 s3, s1
; %bb.32:
	ds_read_b32 v2, v8 offset:464
; %bb.33:
	s_or_b32 exec_lo, exec_lo, s3
	s_waitcnt lgkmcnt(0)
	ds_bpermute_b32 v5, v67, v2
	s_waitcnt lgkmcnt(0)
	v_add_f32_e32 v2, v2, v5
	ds_bpermute_b32 v5, v68, v2
	s_waitcnt lgkmcnt(0)
	v_add_f32_e32 v2, v2, v5
	v_mov_b32_e32 v5, 0
	ds_bpermute_b32 v2, v5, v2
	s_and_saveexec_b32 s1, s2
	s_cbranch_execz .LBB31_36
; %bb.34:
	s_waitcnt lgkmcnt(0)
	v_add_f32_e32 v5, 0x358637bd, v2
	s_mov_b32 s2, 0
	v_div_scale_f32 v6, null, v5, v5, 1.0
	v_div_scale_f32 v9, vcc_lo, 1.0, v5, 1.0
	v_rcp_f32_e32 v7, v6
	v_fma_f32 v8, -v6, v7, 1.0
	v_fmac_f32_e32 v7, v8, v7
	v_mul_f32_e32 v8, v9, v7
	v_fma_f32 v10, -v6, v8, v9
	v_fmac_f32_e32 v8, v10, v7
	v_fma_f32 v6, -v6, v8, v9
	v_div_fmas_f32 v6, v6, v7, v8
	v_div_fixup_f32 v5, v6, v5, 1.0
	v_mov_b32_e32 v6, v0
.LBB31_35:                              ; =>This Inner Loop Header: Depth=1
	ds_read_b32 v7, v4
	v_add_nc_u32_e32 v6, 0x80, v6
	v_cmp_le_i32_e32 vcc_lo, s4, v6
	s_or_b32 s2, vcc_lo, s2
	s_waitcnt lgkmcnt(0)
	v_mul_f32_e32 v7, v5, v7
	ds_write_b32 v4, v7
	v_add_nc_u32_e32 v4, 0x200, v4
	s_andn2_b32 exec_lo, exec_lo, s2
	s_cbranch_execnz .LBB31_35
.LBB31_36:
	s_or_b32 exec_lo, exec_lo, s1
	s_mul_i32 s1, s7, s26
	s_waitcnt lgkmcnt(0)
	s_mul_i32 s4, s1, s9
	s_mov_b32 s1, exec_lo
	s_barrier
	buffer_gl0_inv
	v_cmpx_eq_u32_e32 0, v0
	s_cbranch_execz .LBB31_38
; %bb.37:
	s_ashr_i32 s5, s4, 31
	s_mul_i32 s40, s7, s6
	s_lshl_b64 s[2:3], s[4:5], 2
	v_mov_b32_e32 v4, 0
	s_add_u32 s5, s22, s2
	s_addc_u32 s6, s23, s3
	s_ashr_i32 s41, s40, 31
	s_lshl_b64 s[22:23], s[40:41], 2
	s_add_u32 s5, s5, s22
	s_addc_u32 s6, s6, s23
	s_ashr_i32 s9, s8, 31
	s_lshl_b64 s[40:41], s[8:9], 2
	s_add_u32 s42, s5, s40
	s_addc_u32 s43, s6, s41
	s_add_u32 s2, s20, s2
	s_addc_u32 s3, s21, s3
	;; [unrolled: 2-line block ×4, first 2 shown]
	global_store_dword v4, v1, s[42:43]
	global_store_dword v4, v2, s[2:3]
.LBB31_38:
	s_or_b32 exec_lo, exec_lo, s1
	v_mov_b32_e32 v83, 0
	v_and_b32_e32 v69, 3, v0
	v_mov_b32_e32 v82, 0
	v_mov_b32_e32 v81, 0
	;; [unrolled: 1-line block ×13, first 2 shown]
	s_and_saveexec_b32 s5, s0
	s_cbranch_execz .LBB31_72
; %bb.39:
	s_ashr_i32 s15, s14, 31
	s_sub_i32 s6, s39, s17
	s_lshl_b64 s[0:1], s[14:15], 2
	v_and_b32_e32 v84, 12, v3
	s_add_u32 s2, s34, s0
	s_addc_u32 s3, s35, s1
	s_abs_i32 s9, s18
	v_lshlrev_b32_e32 v3, 4, v0
	v_cvt_f32_u32_e32 v1, s9
	s_sub_i32 s0, 0, s9
	v_lshlrev_b32_e32 v5, 4, v69
	s_add_i32 s36, s36, -1
	v_and_b32_e32 v3, 0x1f0, v3
	v_rcp_iflag_f32_e32 v4, v1
	v_lshlrev_b64 v[1:2], 2, v[61:62]
	v_lshl_or_b32 v5, v64, 6, v5
	v_mov_b32_e32 v70, 0
	v_add_co_u32 v85, s2, s2, v3
	v_mov_b32_e32 v71, 0
	v_mov_b32_e32 v72, 0
	v_mov_b32_e32 v73, 0
	v_mov_b32_e32 v74, 0
	v_mul_f32_e32 v4, 0x4f7ffffe, v4
	v_mov_b32_e32 v75, 0
	v_mov_b32_e32 v76, 0
	;; [unrolled: 1-line block ×4, first 2 shown]
	v_cvt_u32_f32_e32 v4, v4
	v_mov_b32_e32 v79, 0
	v_mov_b32_e32 v80, 0
	;; [unrolled: 1-line block ×4, first 2 shown]
	v_mul_lo_u32 v6, s0, v4
	s_lshl_b64 s[0:1], s[30:31], 2
	v_add_co_ci_u32_e64 v86, null, s3, 0, s2
	s_add_u32 s0, s28, s0
	s_addc_u32 s1, s29, s1
	v_add_co_u32 v62, vcc_lo, s0, v1
	v_mul_hi_u32 v6, v4, v6
	v_add_nc_u32_e32 v87, 0x1e0, v5
	v_add_co_ci_u32_e64 v63, null, s1, v2, vcc_lo
	v_mov_b32_e32 v83, 0
	s_mov_b32 s14, s13
	s_mov_b32 s13, 0
	v_add_nc_u32_e32 v88, v4, v6
	s_branch .LBB31_42
.LBB31_40:                              ;   in Loop: Header=BB31_42 Depth=1
	s_or_b32 exec_lo, exec_lo, s0
	s_waitcnt vmcnt(1) lgkmcnt(0)
	v_mul_f32_e32 v57, v1, v57
	v_mul_f32_e32 v53, v1, v53
	;; [unrolled: 1-line block ×13, first 2 shown]
	s_waitcnt vmcnt(0)
	v_mul_f32_e32 v1, v1, v45
	v_fmac_f32_e32 v57, v2, v58
	v_fmac_f32_e32 v53, v2, v54
	;; [unrolled: 1-line block ×42, first 2 shown]
	v_add_f32_e32 v71, v71, v57
	v_add_f32_e32 v72, v72, v53
	;; [unrolled: 1-line block ×14, first 2 shown]
.LBB31_41:                              ;   in Loop: Header=BB31_42 Depth=1
	s_or_b32 exec_lo, exec_lo, s15
	v_add_nc_u32_e32 v61, 4, v61
	v_add_co_u32 v62, s0, v62, 16
	v_add_co_ci_u32_e64 v63, null, 0, v63, s0
	v_cmp_le_i32_e32 vcc_lo, s16, v61
	v_add_nc_u32_e32 v65, 64, v65
	v_add_nc_u32_e32 v87, 0x100, v87
	s_or_b32 s13, vcc_lo, s13
	s_andn2_b32 exec_lo, exec_lo, s13
	s_cbranch_execz .LBB31_71
.LBB31_42:                              ; =>This Inner Loop Header: Depth=1
	v_sub_nc_u32_e32 v1, 0, v65
	v_max_i32_e32 v1, v65, v1
	v_mul_hi_u32 v2, v1, s12
	v_mul_lo_u32 v3, v2, s11
	v_sub_nc_u32_e32 v1, v1, v3
	v_add_nc_u32_e32 v3, 1, v2
	v_subrev_nc_u32_e32 v4, s11, v1
	v_cmp_le_u32_e32 vcc_lo, s11, v1
	v_cndmask_b32_e32 v2, v2, v3, vcc_lo
	v_cndmask_b32_e32 v1, v1, v4, vcc_lo
	v_ashrrev_i32_e32 v3, 31, v65
	v_add_nc_u32_e32 v4, 1, v2
	v_cmp_le_u32_e32 vcc_lo, s11, v1
	v_xor_b32_e32 v3, s19, v3
	v_cndmask_b32_e32 v1, v2, v4, vcc_lo
	v_xor_b32_e32 v1, v1, v3
	v_sub_nc_u32_e32 v1, v1, v3
	v_add_nc_u32_e32 v2, s33, v1
	v_cmp_lt_i32_e64 s0, s6, v1
	v_sub_nc_u32_e32 v3, 0, v2
	v_max_i32_e32 v3, v2, v3
	v_ashrrev_i32_e32 v2, 31, v2
	v_mul_hi_u32 v4, v3, v88
	v_mul_lo_u32 v4, v4, s9
	v_sub_nc_u32_e32 v3, v3, v4
	v_subrev_nc_u32_e32 v4, s9, v3
	v_cmp_le_u32_e32 vcc_lo, s9, v3
	v_cndmask_b32_e32 v3, v3, v4, vcc_lo
	v_subrev_nc_u32_e32 v4, s9, v3
	v_cmp_le_u32_e32 vcc_lo, s9, v3
	v_cndmask_b32_e32 v3, v3, v4, vcc_lo
	v_xor_b32_e32 v3, v3, v2
	v_sub_nc_u32_e32 v2, v3, v2
	v_cmp_eq_u32_e32 vcc_lo, 0, v2
	s_or_b32 s0, vcc_lo, s0
	s_and_saveexec_b32 s15, s0
	s_cbranch_execz .LBB31_41
; %bb.43:                               ;   in Loop: Header=BB31_42 Depth=1
	global_load_dword v1, v[62:63], off
	v_add_nc_u32_e32 v89, v84, v65
	v_add_nc_u32_e32 v92, 1, v89
	;; [unrolled: 1-line block ×4, first 2 shown]
	s_waitcnt vmcnt(0)
	v_mad_i64_i32 v[1:2], null, v1, s14, 0
	v_lshlrev_b64 v[1:2], 2, v[1:2]
	v_add_co_u32 v45, vcc_lo, v85, v1
	v_add_co_ci_u32_e64 v46, null, v86, v2, vcc_lo
	ds_read_b128 v[1:4], v87
	v_cmp_eq_u32_e32 vcc_lo, s36, v61
	global_load_dwordx4 v[5:8], v[45:46], off
	s_and_saveexec_b32 s1, vcc_lo
	s_cbranch_execnz .LBB31_62
; %bb.44:                               ;   in Loop: Header=BB31_42 Depth=1
	s_or_b32 exec_lo, exec_lo, s1
	global_load_dwordx4 v[9:12], v[45:46], off offset:512
	s_and_saveexec_b32 s1, vcc_lo
	s_cbranch_execnz .LBB31_63
.LBB31_45:                              ;   in Loop: Header=BB31_42 Depth=1
	s_or_b32 exec_lo, exec_lo, s1
	global_load_dwordx4 v[13:16], v[45:46], off offset:1024
	s_and_saveexec_b32 s1, vcc_lo
	s_cbranch_execnz .LBB31_64
.LBB31_46:                              ;   in Loop: Header=BB31_42 Depth=1
	s_or_b32 exec_lo, exec_lo, s1
	global_load_dwordx4 v[17:20], v[45:46], off offset:1536
	s_and_saveexec_b32 s1, vcc_lo
	s_cbranch_execz .LBB31_48
.LBB31_47:                              ;   in Loop: Header=BB31_42 Depth=1
	v_cmp_gt_i32_e64 s0, s27, v89
	s_waitcnt vmcnt(0)
	v_cndmask_b32_e64 v17, 0, v17, s0
	v_cmp_gt_i32_e64 s0, s27, v92
	v_cndmask_b32_e64 v18, 0, v18, s0
	v_cmp_gt_i32_e64 s0, s27, v91
	;; [unrolled: 2-line block ×3, first 2 shown]
	v_cndmask_b32_e64 v20, 0, v20, s0
.LBB31_48:                              ;   in Loop: Header=BB31_42 Depth=1
	s_or_b32 exec_lo, exec_lo, s1
	v_add_co_u32 v33, s0, 0x800, v45
	v_add_co_ci_u32_e64 v34, null, 0, v46, s0
	global_load_dwordx4 v[21:24], v[33:34], off
	s_and_saveexec_b32 s1, vcc_lo
	s_cbranch_execnz .LBB31_65
; %bb.49:                               ;   in Loop: Header=BB31_42 Depth=1
	s_or_b32 exec_lo, exec_lo, s1
	global_load_dwordx4 v[25:28], v[33:34], off offset:512
	s_and_saveexec_b32 s1, vcc_lo
	s_cbranch_execnz .LBB31_66
.LBB31_50:                              ;   in Loop: Header=BB31_42 Depth=1
	s_or_b32 exec_lo, exec_lo, s1
	global_load_dwordx4 v[29:32], v[33:34], off offset:1024
	s_and_saveexec_b32 s1, vcc_lo
	s_cbranch_execnz .LBB31_67
.LBB31_51:                              ;   in Loop: Header=BB31_42 Depth=1
	s_or_b32 exec_lo, exec_lo, s1
	global_load_dwordx4 v[33:36], v[33:34], off offset:1536
	s_and_saveexec_b32 s1, vcc_lo
	s_cbranch_execz .LBB31_53
.LBB31_52:                              ;   in Loop: Header=BB31_42 Depth=1
	v_cmp_gt_i32_e64 s0, s27, v89
	s_waitcnt vmcnt(0)
	v_cndmask_b32_e64 v33, 0, v33, s0
	v_cmp_gt_i32_e64 s0, s27, v92
	v_cndmask_b32_e64 v34, 0, v34, s0
	v_cmp_gt_i32_e64 s0, s27, v91
	;; [unrolled: 2-line block ×3, first 2 shown]
	v_cndmask_b32_e64 v36, 0, v36, s0
.LBB31_53:                              ;   in Loop: Header=BB31_42 Depth=1
	s_or_b32 exec_lo, exec_lo, s1
	v_add_co_u32 v47, s0, 0x1000, v45
	v_add_co_ci_u32_e64 v48, null, 0, v46, s0
	global_load_dwordx4 v[37:40], v[47:48], off
	s_and_saveexec_b32 s1, vcc_lo
	s_cbranch_execnz .LBB31_68
; %bb.54:                               ;   in Loop: Header=BB31_42 Depth=1
	s_or_b32 exec_lo, exec_lo, s1
	global_load_dwordx4 v[41:44], v[47:48], off offset:512
	s_and_saveexec_b32 s17, vcc_lo
	s_cbranch_execnz .LBB31_69
.LBB31_55:                              ;   in Loop: Header=BB31_42 Depth=1
	s_or_b32 exec_lo, exec_lo, s17
	global_load_dwordx4 v[49:52], v[47:48], off offset:1024
	s_and_saveexec_b32 s1, vcc_lo
	s_cbranch_execnz .LBB31_70
.LBB31_56:                              ;   in Loop: Header=BB31_42 Depth=1
	s_or_b32 exec_lo, exec_lo, s1
	global_load_dwordx4 v[53:56], v[47:48], off offset:1536
	s_and_saveexec_b32 s1, vcc_lo
	s_cbranch_execz .LBB31_58
.LBB31_57:                              ;   in Loop: Header=BB31_42 Depth=1
	v_cmp_gt_i32_e64 s0, s27, v89
	s_waitcnt vmcnt(0)
	v_cndmask_b32_e64 v53, 0, v53, s0
	v_cmp_gt_i32_e64 s0, s27, v92
	v_cndmask_b32_e64 v54, 0, v54, s0
	v_cmp_gt_i32_e64 s0, s27, v91
	;; [unrolled: 2-line block ×3, first 2 shown]
	v_cndmask_b32_e64 v56, 0, v56, s0
.LBB31_58:                              ;   in Loop: Header=BB31_42 Depth=1
	s_or_b32 exec_lo, exec_lo, s1
	v_add_co_u32 v45, s0, 0x1800, v45
	v_add_co_ci_u32_e64 v46, null, 0, v46, s0
	global_load_dwordx4 v[57:60], v[45:46], off
	s_and_saveexec_b32 s1, vcc_lo
	s_cbranch_execz .LBB31_60
; %bb.59:                               ;   in Loop: Header=BB31_42 Depth=1
	v_cmp_gt_i32_e64 s0, s27, v89
	s_waitcnt vmcnt(0)
	v_cndmask_b32_e64 v57, 0, v57, s0
	v_cmp_gt_i32_e64 s0, s27, v92
	v_cndmask_b32_e64 v58, 0, v58, s0
	v_cmp_gt_i32_e64 s0, s27, v91
	;; [unrolled: 2-line block ×3, first 2 shown]
	v_cndmask_b32_e64 v60, 0, v60, s0
.LBB31_60:                              ;   in Loop: Header=BB31_42 Depth=1
	s_or_b32 exec_lo, exec_lo, s1
	global_load_dwordx4 v[45:48], v[45:46], off offset:512
	s_and_saveexec_b32 s0, vcc_lo
	s_cbranch_execz .LBB31_40
; %bb.61:                               ;   in Loop: Header=BB31_42 Depth=1
	v_cmp_gt_i32_e32 vcc_lo, s27, v89
	s_waitcnt vmcnt(0)
	v_cndmask_b32_e32 v45, 0, v45, vcc_lo
	v_cmp_gt_i32_e32 vcc_lo, s27, v92
	v_cndmask_b32_e32 v46, 0, v46, vcc_lo
	v_cmp_gt_i32_e32 vcc_lo, s27, v91
	;; [unrolled: 2-line block ×3, first 2 shown]
	v_cndmask_b32_e32 v48, 0, v48, vcc_lo
	s_branch .LBB31_40
.LBB31_62:                              ;   in Loop: Header=BB31_42 Depth=1
	v_cmp_gt_i32_e64 s0, s27, v89
	s_waitcnt vmcnt(0)
	v_cndmask_b32_e64 v5, 0, v5, s0
	v_cmp_gt_i32_e64 s0, s27, v92
	v_cndmask_b32_e64 v6, 0, v6, s0
	v_cmp_gt_i32_e64 s0, s27, v91
	v_cndmask_b32_e64 v7, 0, v7, s0
	v_cmp_gt_i32_e64 s0, s27, v90
	v_cndmask_b32_e64 v8, 0, v8, s0
	s_or_b32 exec_lo, exec_lo, s1
	global_load_dwordx4 v[9:12], v[45:46], off offset:512
	s_and_saveexec_b32 s1, vcc_lo
	s_cbranch_execz .LBB31_45
.LBB31_63:                              ;   in Loop: Header=BB31_42 Depth=1
	v_cmp_gt_i32_e64 s0, s27, v89
	s_waitcnt vmcnt(0)
	v_cndmask_b32_e64 v9, 0, v9, s0
	v_cmp_gt_i32_e64 s0, s27, v92
	v_cndmask_b32_e64 v10, 0, v10, s0
	v_cmp_gt_i32_e64 s0, s27, v91
	;; [unrolled: 2-line block ×3, first 2 shown]
	v_cndmask_b32_e64 v12, 0, v12, s0
	s_or_b32 exec_lo, exec_lo, s1
	global_load_dwordx4 v[13:16], v[45:46], off offset:1024
	s_and_saveexec_b32 s1, vcc_lo
	s_cbranch_execz .LBB31_46
.LBB31_64:                              ;   in Loop: Header=BB31_42 Depth=1
	v_cmp_gt_i32_e64 s0, s27, v89
	s_waitcnt vmcnt(0)
	v_cndmask_b32_e64 v13, 0, v13, s0
	v_cmp_gt_i32_e64 s0, s27, v92
	v_cndmask_b32_e64 v14, 0, v14, s0
	v_cmp_gt_i32_e64 s0, s27, v91
	;; [unrolled: 2-line block ×3, first 2 shown]
	v_cndmask_b32_e64 v16, 0, v16, s0
	s_or_b32 exec_lo, exec_lo, s1
	global_load_dwordx4 v[17:20], v[45:46], off offset:1536
	s_and_saveexec_b32 s1, vcc_lo
	s_cbranch_execnz .LBB31_47
	s_branch .LBB31_48
.LBB31_65:                              ;   in Loop: Header=BB31_42 Depth=1
	v_cmp_gt_i32_e64 s0, s27, v89
	s_waitcnt vmcnt(0)
	v_cndmask_b32_e64 v21, 0, v21, s0
	v_cmp_gt_i32_e64 s0, s27, v92
	v_cndmask_b32_e64 v22, 0, v22, s0
	v_cmp_gt_i32_e64 s0, s27, v91
	;; [unrolled: 2-line block ×3, first 2 shown]
	v_cndmask_b32_e64 v24, 0, v24, s0
	s_or_b32 exec_lo, exec_lo, s1
	global_load_dwordx4 v[25:28], v[33:34], off offset:512
	s_and_saveexec_b32 s1, vcc_lo
	s_cbranch_execz .LBB31_50
.LBB31_66:                              ;   in Loop: Header=BB31_42 Depth=1
	v_cmp_gt_i32_e64 s0, s27, v89
	s_waitcnt vmcnt(0)
	v_cndmask_b32_e64 v25, 0, v25, s0
	v_cmp_gt_i32_e64 s0, s27, v92
	v_cndmask_b32_e64 v26, 0, v26, s0
	v_cmp_gt_i32_e64 s0, s27, v91
	;; [unrolled: 2-line block ×3, first 2 shown]
	v_cndmask_b32_e64 v28, 0, v28, s0
	s_or_b32 exec_lo, exec_lo, s1
	global_load_dwordx4 v[29:32], v[33:34], off offset:1024
	s_and_saveexec_b32 s1, vcc_lo
	s_cbranch_execz .LBB31_51
.LBB31_67:                              ;   in Loop: Header=BB31_42 Depth=1
	v_cmp_gt_i32_e64 s0, s27, v89
	s_waitcnt vmcnt(0)
	v_cndmask_b32_e64 v29, 0, v29, s0
	v_cmp_gt_i32_e64 s0, s27, v92
	v_cndmask_b32_e64 v30, 0, v30, s0
	v_cmp_gt_i32_e64 s0, s27, v91
	v_cndmask_b32_e64 v31, 0, v31, s0
	v_cmp_gt_i32_e64 s0, s27, v90
	v_cndmask_b32_e64 v32, 0, v32, s0
	s_or_b32 exec_lo, exec_lo, s1
	global_load_dwordx4 v[33:36], v[33:34], off offset:1536
	s_and_saveexec_b32 s1, vcc_lo
	s_cbranch_execnz .LBB31_52
	s_branch .LBB31_53
.LBB31_68:                              ;   in Loop: Header=BB31_42 Depth=1
	v_cmp_gt_i32_e64 s0, s27, v89
	s_waitcnt vmcnt(0)
	v_cndmask_b32_e64 v37, 0, v37, s0
	v_cmp_gt_i32_e64 s0, s27, v92
	v_cndmask_b32_e64 v38, 0, v38, s0
	v_cmp_gt_i32_e64 s0, s27, v91
	;; [unrolled: 2-line block ×3, first 2 shown]
	v_cndmask_b32_e64 v40, 0, v40, s0
	s_or_b32 exec_lo, exec_lo, s1
	global_load_dwordx4 v[41:44], v[47:48], off offset:512
	s_and_saveexec_b32 s17, vcc_lo
	s_cbranch_execz .LBB31_55
.LBB31_69:                              ;   in Loop: Header=BB31_42 Depth=1
	v_cmp_gt_i32_e64 s0, s27, v89
	v_cmp_gt_i32_e64 s1, s27, v92
	;; [unrolled: 1-line block ×4, first 2 shown]
	s_waitcnt vmcnt(0)
	v_cndmask_b32_e64 v41, 0, v41, s0
	v_cndmask_b32_e64 v42, 0, v42, s1
	;; [unrolled: 1-line block ×4, first 2 shown]
	s_or_b32 exec_lo, exec_lo, s17
	global_load_dwordx4 v[49:52], v[47:48], off offset:1024
	s_and_saveexec_b32 s1, vcc_lo
	s_cbranch_execz .LBB31_56
.LBB31_70:                              ;   in Loop: Header=BB31_42 Depth=1
	v_cmp_gt_i32_e64 s0, s27, v89
	s_waitcnt vmcnt(0)
	v_cndmask_b32_e64 v49, 0, v49, s0
	v_cmp_gt_i32_e64 s0, s27, v92
	v_cndmask_b32_e64 v50, 0, v50, s0
	v_cmp_gt_i32_e64 s0, s27, v91
	v_cndmask_b32_e64 v51, 0, v51, s0
	v_cmp_gt_i32_e64 s0, s27, v90
	v_cndmask_b32_e64 v52, 0, v52, s0
	s_or_b32 exec_lo, exec_lo, s1
	global_load_dwordx4 v[53:56], v[47:48], off offset:1536
	s_and_saveexec_b32 s1, vcc_lo
	s_cbranch_execnz .LBB31_57
	s_branch .LBB31_58
.LBB31_71:
	s_or_b32 exec_lo, exec_lo, s13
.LBB31_72:
	s_or_b32 exec_lo, exec_lo, s5
	ds_bpermute_b32 v2, v67, v82
	ds_bpermute_b32 v1, v67, v83
	;; [unrolled: 1-line block ×14, first 2 shown]
	s_mov_b32 s0, exec_lo
	s_waitcnt lgkmcnt(0)
	s_waitcnt_vscnt null, 0x0
	s_barrier
	buffer_gl0_inv
	v_add_f32_e32 v2, v82, v2
	v_add_f32_e32 v1, v83, v1
	;; [unrolled: 1-line block ×7, first 2 shown]
	ds_bpermute_b32 v16, v68, v2
	v_add_f32_e32 v8, v76, v8
	v_add_f32_e32 v9, v75, v9
	v_add_f32_e32 v10, v74, v10
	v_add_f32_e32 v11, v73, v11
	v_add_f32_e32 v12, v72, v12
	v_add_f32_e32 v13, v71, v13
	v_add_f32_e32 v14, v70, v14
	ds_bpermute_b32 v15, v68, v1
	ds_bpermute_b32 v17, v68, v3
	;; [unrolled: 1-line block ×13, first 2 shown]
	s_waitcnt lgkmcnt(13)
	v_add_f32_e32 v2, v2, v16
	v_and_b32_e32 v16, 28, v66
	v_add_nc_u32_e32 v16, 0x1e0, v16
	s_waitcnt lgkmcnt(12)
	v_add_f32_e32 v1, v1, v15
	s_waitcnt lgkmcnt(11)
	v_add_f32_e32 v3, v3, v17
	;; [unrolled: 2-line block ×12, first 2 shown]
	v_and_b32_e32 v18, 0x3c3, v0
	s_waitcnt lgkmcnt(0)
	v_add_f32_e32 v14, v14, v28
	v_lshrrev_b32_e32 v15, 2, v66
	v_mul_u32_u24_e32 v17, 0x1c0, v64
	v_cmpx_eq_u32_e32 64, v18
	s_cbranch_execz .LBB31_74
; %bb.73:
	v_add_nc_u32_e32 v18, v16, v17
	v_add_nc_u32_e32 v19, 0xfffffc80, v18
	;; [unrolled: 1-line block ×7, first 2 shown]
	ds_write_b32 v19, v1
	ds_write_b32 v20, v2
	ds_write_b32 v21, v3
	ds_write_b32 v22, v4
	v_add_nc_u32_e32 v19, 0xfffffd40, v18
	v_add_nc_u32_e32 v20, 0xfffffd60, v18
	;; [unrolled: 1-line block ×3, first 2 shown]
	ds_write_b32 v23, v5
	ds_write_b32 v24, v6
	;; [unrolled: 1-line block ×5, first 2 shown]
	v_add_nc_u32_e32 v19, 0xfffffda0, v18
	v_add_nc_u32_e32 v20, 0xfffffdc0, v18
	;; [unrolled: 1-line block ×5, first 2 shown]
	ds_write_b32 v19, v10
	ds_write_b32 v20, v11
	;; [unrolled: 1-line block ×5, first 2 shown]
.LBB31_74:
	s_or_b32 exec_lo, exec_lo, s0
	v_lshlrev_b32_e32 v15, 2, v15
	s_mov_b32 s1, exec_lo
	v_cmp_eq_u32_e32 vcc_lo, 0, v69
	s_waitcnt lgkmcnt(0)
	s_barrier
	v_add3_u32 v15, 0x1e0, v17, v15
	buffer_gl0_inv
	v_cmpx_gt_u32_e32 64, v0
	s_cbranch_execz .LBB31_91
; %bb.75:
	s_and_saveexec_b32 s0, vcc_lo
	s_cbranch_execnz .LBB31_113
; %bb.76:
	s_or_b32 exec_lo, exec_lo, s0
	s_and_saveexec_b32 s0, vcc_lo
	s_cbranch_execnz .LBB31_114
.LBB31_77:
	s_or_b32 exec_lo, exec_lo, s0
	s_and_saveexec_b32 s0, vcc_lo
	s_cbranch_execnz .LBB31_115
.LBB31_78:
	s_or_b32 exec_lo, exec_lo, s0
	s_and_saveexec_b32 s0, vcc_lo
	s_cbranch_execnz .LBB31_116
.LBB31_79:
	s_or_b32 exec_lo, exec_lo, s0
	s_and_saveexec_b32 s0, vcc_lo
	s_cbranch_execnz .LBB31_117
.LBB31_80:
	s_or_b32 exec_lo, exec_lo, s0
	s_and_saveexec_b32 s0, vcc_lo
	s_cbranch_execnz .LBB31_118
.LBB31_81:
	s_or_b32 exec_lo, exec_lo, s0
	s_and_saveexec_b32 s0, vcc_lo
	s_cbranch_execnz .LBB31_119
.LBB31_82:
	s_or_b32 exec_lo, exec_lo, s0
	s_and_saveexec_b32 s0, vcc_lo
	s_cbranch_execnz .LBB31_120
.LBB31_83:
	s_or_b32 exec_lo, exec_lo, s0
	s_and_saveexec_b32 s0, vcc_lo
	s_cbranch_execnz .LBB31_121
.LBB31_84:
	s_or_b32 exec_lo, exec_lo, s0
	s_and_saveexec_b32 s0, vcc_lo
	s_cbranch_execnz .LBB31_122
.LBB31_85:
	s_or_b32 exec_lo, exec_lo, s0
	s_and_saveexec_b32 s0, vcc_lo
	s_cbranch_execnz .LBB31_123
.LBB31_86:
	s_or_b32 exec_lo, exec_lo, s0
	s_and_saveexec_b32 s0, vcc_lo
	s_cbranch_execnz .LBB31_124
.LBB31_87:
	s_or_b32 exec_lo, exec_lo, s0
	s_and_saveexec_b32 s0, vcc_lo
	s_cbranch_execnz .LBB31_125
.LBB31_88:
	s_or_b32 exec_lo, exec_lo, s0
	s_and_saveexec_b32 s0, vcc_lo
	s_cbranch_execz .LBB31_90
.LBB31_89:
	ds_read_b32 v17, v15 offset:416
	s_waitcnt lgkmcnt(0)
	v_add_f32_e32 v14, v14, v17
.LBB31_90:
	s_or_b32 exec_lo, exec_lo, s0
.LBB31_91:
	s_or_b32 exec_lo, exec_lo, s1
	v_and_b32_e32 v17, 0x3e3, v0
	s_mov_b32 s1, exec_lo
	s_barrier
	buffer_gl0_inv
	v_cmpx_eq_u32_e32 32, v17
	s_cbranch_execz .LBB31_93
; %bb.92:
	ds_write2_b32 v16, v1, v2 offset1:8
	ds_write2_b32 v16, v3, v4 offset0:16 offset1:24
	ds_write2_b32 v16, v5, v6 offset0:32 offset1:40
	;; [unrolled: 1-line block ×6, first 2 shown]
.LBB31_93:
	s_or_b32 exec_lo, exec_lo, s1
	s_mov_b32 s1, exec_lo
	s_waitcnt lgkmcnt(0)
	s_barrier
	buffer_gl0_inv
	v_cmpx_gt_u32_e32 32, v0
	s_cbranch_execz .LBB31_110
; %bb.94:
	s_and_saveexec_b32 s0, vcc_lo
	s_cbranch_execnz .LBB31_126
; %bb.95:
	s_or_b32 exec_lo, exec_lo, s0
	s_and_saveexec_b32 s0, vcc_lo
	s_cbranch_execnz .LBB31_127
.LBB31_96:
	s_or_b32 exec_lo, exec_lo, s0
	s_and_saveexec_b32 s0, vcc_lo
	s_cbranch_execnz .LBB31_128
.LBB31_97:
	s_or_b32 exec_lo, exec_lo, s0
	s_and_saveexec_b32 s0, vcc_lo
	s_cbranch_execnz .LBB31_129
.LBB31_98:
	s_or_b32 exec_lo, exec_lo, s0
	s_and_saveexec_b32 s0, vcc_lo
	s_cbranch_execnz .LBB31_130
.LBB31_99:
	s_or_b32 exec_lo, exec_lo, s0
	s_and_saveexec_b32 s0, vcc_lo
	s_cbranch_execnz .LBB31_131
.LBB31_100:
	s_or_b32 exec_lo, exec_lo, s0
	s_and_saveexec_b32 s0, vcc_lo
	s_cbranch_execnz .LBB31_132
.LBB31_101:
	s_or_b32 exec_lo, exec_lo, s0
	s_and_saveexec_b32 s0, vcc_lo
	s_cbranch_execnz .LBB31_133
.LBB31_102:
	s_or_b32 exec_lo, exec_lo, s0
	s_and_saveexec_b32 s0, vcc_lo
	s_cbranch_execnz .LBB31_134
.LBB31_103:
	s_or_b32 exec_lo, exec_lo, s0
	s_and_saveexec_b32 s0, vcc_lo
	s_cbranch_execnz .LBB31_135
.LBB31_104:
	s_or_b32 exec_lo, exec_lo, s0
	s_and_saveexec_b32 s0, vcc_lo
	s_cbranch_execnz .LBB31_136
.LBB31_105:
	s_or_b32 exec_lo, exec_lo, s0
	s_and_saveexec_b32 s0, vcc_lo
	s_cbranch_execnz .LBB31_137
.LBB31_106:
	s_or_b32 exec_lo, exec_lo, s0
	s_and_saveexec_b32 s0, vcc_lo
	s_cbranch_execnz .LBB31_138
.LBB31_107:
	s_or_b32 exec_lo, exec_lo, s0
	s_and_saveexec_b32 s0, vcc_lo
	s_cbranch_execz .LBB31_109
.LBB31_108:
	ds_read_b32 v15, v15 offset:416
	s_waitcnt lgkmcnt(0)
	v_add_f32_e32 v14, v14, v15
.LBB31_109:
	s_or_b32 exec_lo, exec_lo, s0
.LBB31_110:
	s_or_b32 exec_lo, exec_lo, s1
	s_barrier
	buffer_gl0_inv
	s_mov_b32 s0, exec_lo
	v_cmpx_eq_u32_e32 0, v17
	s_cbranch_execz .LBB31_112
; %bb.111:
	s_mul_i32 s0, s4, 0x70
	s_mul_i32 s2, s7, s10
	s_ashr_i32 s1, s0, 31
	s_lshl_b64 s[0:1], s[0:1], 2
	s_add_u32 s4, s24, s0
	s_addc_u32 s5, s25, s1
	s_ashr_i32 s3, s2, 31
	s_lshl_b64 s[0:1], s[2:3], 2
	s_mul_i32 s2, s8, 0x70
	s_add_u32 s4, s4, s0
	s_addc_u32 s5, s5, s1
	s_ashr_i32 s3, s2, 31
	s_lshl_b64 s[0:1], s[2:3], 2
	s_add_u32 s0, s4, s0
	s_addc_u32 s1, s5, s1
	global_store_dword v0, v1, s[0:1]
	global_store_dword v0, v2, s[0:1] offset:32
	global_store_dword v0, v3, s[0:1] offset:64
	;; [unrolled: 1-line block ×13, first 2 shown]
.LBB31_112:
	s_endpgm
.LBB31_113:
	ds_read_b32 v17, v15
	s_waitcnt lgkmcnt(0)
	v_add_f32_e32 v1, v1, v17
	s_or_b32 exec_lo, exec_lo, s0
	s_and_saveexec_b32 s0, vcc_lo
	s_cbranch_execz .LBB31_77
.LBB31_114:
	ds_read_b32 v17, v15 offset:32
	s_waitcnt lgkmcnt(0)
	v_add_f32_e32 v2, v2, v17
	s_or_b32 exec_lo, exec_lo, s0
	s_and_saveexec_b32 s0, vcc_lo
	s_cbranch_execz .LBB31_78
.LBB31_115:
	ds_read_b32 v17, v15 offset:64
	s_waitcnt lgkmcnt(0)
	v_add_f32_e32 v3, v3, v17
	s_or_b32 exec_lo, exec_lo, s0
	s_and_saveexec_b32 s0, vcc_lo
	s_cbranch_execz .LBB31_79
.LBB31_116:
	ds_read_b32 v17, v15 offset:96
	s_waitcnt lgkmcnt(0)
	v_add_f32_e32 v4, v4, v17
	s_or_b32 exec_lo, exec_lo, s0
	s_and_saveexec_b32 s0, vcc_lo
	s_cbranch_execz .LBB31_80
.LBB31_117:
	ds_read_b32 v17, v15 offset:128
	s_waitcnt lgkmcnt(0)
	v_add_f32_e32 v5, v5, v17
	s_or_b32 exec_lo, exec_lo, s0
	s_and_saveexec_b32 s0, vcc_lo
	s_cbranch_execz .LBB31_81
.LBB31_118:
	ds_read_b32 v17, v15 offset:160
	s_waitcnt lgkmcnt(0)
	v_add_f32_e32 v6, v6, v17
	s_or_b32 exec_lo, exec_lo, s0
	s_and_saveexec_b32 s0, vcc_lo
	s_cbranch_execz .LBB31_82
.LBB31_119:
	ds_read_b32 v17, v15 offset:192
	s_waitcnt lgkmcnt(0)
	v_add_f32_e32 v7, v7, v17
	s_or_b32 exec_lo, exec_lo, s0
	s_and_saveexec_b32 s0, vcc_lo
	s_cbranch_execz .LBB31_83
.LBB31_120:
	ds_read_b32 v17, v15 offset:224
	s_waitcnt lgkmcnt(0)
	v_add_f32_e32 v8, v8, v17
	s_or_b32 exec_lo, exec_lo, s0
	s_and_saveexec_b32 s0, vcc_lo
	s_cbranch_execz .LBB31_84
.LBB31_121:
	ds_read_b32 v17, v15 offset:256
	s_waitcnt lgkmcnt(0)
	v_add_f32_e32 v9, v9, v17
	s_or_b32 exec_lo, exec_lo, s0
	s_and_saveexec_b32 s0, vcc_lo
	s_cbranch_execz .LBB31_85
.LBB31_122:
	ds_read_b32 v17, v15 offset:288
	s_waitcnt lgkmcnt(0)
	v_add_f32_e32 v10, v10, v17
	s_or_b32 exec_lo, exec_lo, s0
	s_and_saveexec_b32 s0, vcc_lo
	s_cbranch_execz .LBB31_86
.LBB31_123:
	ds_read_b32 v17, v15 offset:320
	s_waitcnt lgkmcnt(0)
	v_add_f32_e32 v11, v11, v17
	s_or_b32 exec_lo, exec_lo, s0
	s_and_saveexec_b32 s0, vcc_lo
	s_cbranch_execz .LBB31_87
.LBB31_124:
	ds_read_b32 v17, v15 offset:352
	s_waitcnt lgkmcnt(0)
	v_add_f32_e32 v12, v12, v17
	s_or_b32 exec_lo, exec_lo, s0
	s_and_saveexec_b32 s0, vcc_lo
	s_cbranch_execz .LBB31_88
.LBB31_125:
	ds_read_b32 v17, v15 offset:384
	s_waitcnt lgkmcnt(0)
	v_add_f32_e32 v13, v13, v17
	s_or_b32 exec_lo, exec_lo, s0
	s_and_saveexec_b32 s0, vcc_lo
	s_cbranch_execnz .LBB31_89
	s_branch .LBB31_90
.LBB31_126:
	ds_read_b32 v16, v15
	s_waitcnt lgkmcnt(0)
	v_add_f32_e32 v1, v1, v16
	s_or_b32 exec_lo, exec_lo, s0
	s_and_saveexec_b32 s0, vcc_lo
	s_cbranch_execz .LBB31_96
.LBB31_127:
	ds_read_b32 v16, v15 offset:32
	s_waitcnt lgkmcnt(0)
	v_add_f32_e32 v2, v2, v16
	s_or_b32 exec_lo, exec_lo, s0
	s_and_saveexec_b32 s0, vcc_lo
	s_cbranch_execz .LBB31_97
.LBB31_128:
	ds_read_b32 v16, v15 offset:64
	s_waitcnt lgkmcnt(0)
	v_add_f32_e32 v3, v3, v16
	s_or_b32 exec_lo, exec_lo, s0
	s_and_saveexec_b32 s0, vcc_lo
	s_cbranch_execz .LBB31_98
.LBB31_129:
	ds_read_b32 v16, v15 offset:96
	s_waitcnt lgkmcnt(0)
	v_add_f32_e32 v4, v4, v16
	s_or_b32 exec_lo, exec_lo, s0
	s_and_saveexec_b32 s0, vcc_lo
	s_cbranch_execz .LBB31_99
.LBB31_130:
	ds_read_b32 v16, v15 offset:128
	s_waitcnt lgkmcnt(0)
	v_add_f32_e32 v5, v5, v16
	s_or_b32 exec_lo, exec_lo, s0
	s_and_saveexec_b32 s0, vcc_lo
	s_cbranch_execz .LBB31_100
.LBB31_131:
	ds_read_b32 v16, v15 offset:160
	s_waitcnt lgkmcnt(0)
	v_add_f32_e32 v6, v6, v16
	s_or_b32 exec_lo, exec_lo, s0
	s_and_saveexec_b32 s0, vcc_lo
	s_cbranch_execz .LBB31_101
.LBB31_132:
	ds_read_b32 v16, v15 offset:192
	s_waitcnt lgkmcnt(0)
	v_add_f32_e32 v7, v7, v16
	s_or_b32 exec_lo, exec_lo, s0
	s_and_saveexec_b32 s0, vcc_lo
	s_cbranch_execz .LBB31_102
.LBB31_133:
	ds_read_b32 v16, v15 offset:224
	s_waitcnt lgkmcnt(0)
	v_add_f32_e32 v8, v8, v16
	s_or_b32 exec_lo, exec_lo, s0
	s_and_saveexec_b32 s0, vcc_lo
	s_cbranch_execz .LBB31_103
.LBB31_134:
	ds_read_b32 v16, v15 offset:256
	s_waitcnt lgkmcnt(0)
	v_add_f32_e32 v9, v9, v16
	s_or_b32 exec_lo, exec_lo, s0
	s_and_saveexec_b32 s0, vcc_lo
	s_cbranch_execz .LBB31_104
.LBB31_135:
	ds_read_b32 v16, v15 offset:288
	s_waitcnt lgkmcnt(0)
	v_add_f32_e32 v10, v10, v16
	s_or_b32 exec_lo, exec_lo, s0
	s_and_saveexec_b32 s0, vcc_lo
	s_cbranch_execz .LBB31_105
.LBB31_136:
	ds_read_b32 v16, v15 offset:320
	s_waitcnt lgkmcnt(0)
	v_add_f32_e32 v11, v11, v16
	s_or_b32 exec_lo, exec_lo, s0
	s_and_saveexec_b32 s0, vcc_lo
	s_cbranch_execz .LBB31_106
.LBB31_137:
	ds_read_b32 v16, v15 offset:352
	s_waitcnt lgkmcnt(0)
	v_add_f32_e32 v12, v12, v16
	s_or_b32 exec_lo, exec_lo, s0
	s_and_saveexec_b32 s0, vcc_lo
	s_cbranch_execz .LBB31_107
.LBB31_138:
	ds_read_b32 v16, v15 offset:384
	s_waitcnt lgkmcnt(0)
	v_add_f32_e32 v13, v13, v16
	s_or_b32 exec_lo, exec_lo, s0
	s_and_saveexec_b32 s0, vcc_lo
	s_cbranch_execnz .LBB31_108
	s_branch .LBB31_109
	.section	.rodata,"a",@progbits
	.p2align	6, 0x0
	.amdhsa_kernel _ZN4vllm25paged_attention_v2_kernelIffLi112ELi16ELi128ELNS_18Fp8KVCacheDataTypeE0ELb1ELi512EEEvPfS2_PT_PKS3_PKT0_S9_ifPKiSB_iPKfiiiSD_SD_iiiii
		.amdhsa_group_segment_fixed_size 480
		.amdhsa_private_segment_fixed_size 0
		.amdhsa_kernarg_size 400
		.amdhsa_user_sgpr_count 6
		.amdhsa_user_sgpr_private_segment_buffer 1
		.amdhsa_user_sgpr_dispatch_ptr 0
		.amdhsa_user_sgpr_queue_ptr 0
		.amdhsa_user_sgpr_kernarg_segment_ptr 1
		.amdhsa_user_sgpr_dispatch_id 0
		.amdhsa_user_sgpr_flat_scratch_init 0
		.amdhsa_user_sgpr_private_segment_size 0
		.amdhsa_wavefront_size32 1
		.amdhsa_uses_dynamic_stack 0
		.amdhsa_system_sgpr_private_segment_wavefront_offset 0
		.amdhsa_system_sgpr_workgroup_id_x 1
		.amdhsa_system_sgpr_workgroup_id_y 1
		.amdhsa_system_sgpr_workgroup_id_z 1
		.amdhsa_system_sgpr_workgroup_info 0
		.amdhsa_system_vgpr_workitem_id 0
		.amdhsa_next_free_vgpr 93
		.amdhsa_next_free_sgpr 46
		.amdhsa_reserve_vcc 1
		.amdhsa_reserve_flat_scratch 0
		.amdhsa_float_round_mode_32 0
		.amdhsa_float_round_mode_16_64 0
		.amdhsa_float_denorm_mode_32 3
		.amdhsa_float_denorm_mode_16_64 3
		.amdhsa_dx10_clamp 1
		.amdhsa_ieee_mode 1
		.amdhsa_fp16_overflow 0
		.amdhsa_workgroup_processor_mode 1
		.amdhsa_memory_ordered 1
		.amdhsa_forward_progress 1
		.amdhsa_shared_vgpr_count 0
		.amdhsa_exception_fp_ieee_invalid_op 0
		.amdhsa_exception_fp_denorm_src 0
		.amdhsa_exception_fp_ieee_div_zero 0
		.amdhsa_exception_fp_ieee_overflow 0
		.amdhsa_exception_fp_ieee_underflow 0
		.amdhsa_exception_fp_ieee_inexact 0
		.amdhsa_exception_int_div_zero 0
	.end_amdhsa_kernel
	.section	.text._ZN4vllm25paged_attention_v2_kernelIffLi112ELi16ELi128ELNS_18Fp8KVCacheDataTypeE0ELb1ELi512EEEvPfS2_PT_PKS3_PKT0_S9_ifPKiSB_iPKfiiiSD_SD_iiiii,"axG",@progbits,_ZN4vllm25paged_attention_v2_kernelIffLi112ELi16ELi128ELNS_18Fp8KVCacheDataTypeE0ELb1ELi512EEEvPfS2_PT_PKS3_PKT0_S9_ifPKiSB_iPKfiiiSD_SD_iiiii,comdat
.Lfunc_end31:
	.size	_ZN4vllm25paged_attention_v2_kernelIffLi112ELi16ELi128ELNS_18Fp8KVCacheDataTypeE0ELb1ELi512EEEvPfS2_PT_PKS3_PKT0_S9_ifPKiSB_iPKfiiiSD_SD_iiiii, .Lfunc_end31-_ZN4vllm25paged_attention_v2_kernelIffLi112ELi16ELi128ELNS_18Fp8KVCacheDataTypeE0ELb1ELi512EEEvPfS2_PT_PKS3_PKT0_S9_ifPKiSB_iPKfiiiSD_SD_iiiii
                                        ; -- End function
	.set _ZN4vllm25paged_attention_v2_kernelIffLi112ELi16ELi128ELNS_18Fp8KVCacheDataTypeE0ELb1ELi512EEEvPfS2_PT_PKS3_PKT0_S9_ifPKiSB_iPKfiiiSD_SD_iiiii.num_vgpr, 93
	.set _ZN4vllm25paged_attention_v2_kernelIffLi112ELi16ELi128ELNS_18Fp8KVCacheDataTypeE0ELb1ELi512EEEvPfS2_PT_PKS3_PKT0_S9_ifPKiSB_iPKfiiiSD_SD_iiiii.num_agpr, 0
	.set _ZN4vllm25paged_attention_v2_kernelIffLi112ELi16ELi128ELNS_18Fp8KVCacheDataTypeE0ELb1ELi512EEEvPfS2_PT_PKS3_PKT0_S9_ifPKiSB_iPKfiiiSD_SD_iiiii.numbered_sgpr, 46
	.set _ZN4vllm25paged_attention_v2_kernelIffLi112ELi16ELi128ELNS_18Fp8KVCacheDataTypeE0ELb1ELi512EEEvPfS2_PT_PKS3_PKT0_S9_ifPKiSB_iPKfiiiSD_SD_iiiii.num_named_barrier, 0
	.set _ZN4vllm25paged_attention_v2_kernelIffLi112ELi16ELi128ELNS_18Fp8KVCacheDataTypeE0ELb1ELi512EEEvPfS2_PT_PKS3_PKT0_S9_ifPKiSB_iPKfiiiSD_SD_iiiii.private_seg_size, 0
	.set _ZN4vllm25paged_attention_v2_kernelIffLi112ELi16ELi128ELNS_18Fp8KVCacheDataTypeE0ELb1ELi512EEEvPfS2_PT_PKS3_PKT0_S9_ifPKiSB_iPKfiiiSD_SD_iiiii.uses_vcc, 1
	.set _ZN4vllm25paged_attention_v2_kernelIffLi112ELi16ELi128ELNS_18Fp8KVCacheDataTypeE0ELb1ELi512EEEvPfS2_PT_PKS3_PKT0_S9_ifPKiSB_iPKfiiiSD_SD_iiiii.uses_flat_scratch, 0
	.set _ZN4vllm25paged_attention_v2_kernelIffLi112ELi16ELi128ELNS_18Fp8KVCacheDataTypeE0ELb1ELi512EEEvPfS2_PT_PKS3_PKT0_S9_ifPKiSB_iPKfiiiSD_SD_iiiii.has_dyn_sized_stack, 0
	.set _ZN4vllm25paged_attention_v2_kernelIffLi112ELi16ELi128ELNS_18Fp8KVCacheDataTypeE0ELb1ELi512EEEvPfS2_PT_PKS3_PKT0_S9_ifPKiSB_iPKfiiiSD_SD_iiiii.has_recursion, 0
	.set _ZN4vllm25paged_attention_v2_kernelIffLi112ELi16ELi128ELNS_18Fp8KVCacheDataTypeE0ELb1ELi512EEEvPfS2_PT_PKS3_PKT0_S9_ifPKiSB_iPKfiiiSD_SD_iiiii.has_indirect_call, 0
	.section	.AMDGPU.csdata,"",@progbits
; Kernel info:
; codeLenInByte = 7824
; TotalNumSgprs: 48
; NumVgprs: 93
; ScratchSize: 0
; MemoryBound: 0
; FloatMode: 240
; IeeeMode: 1
; LDSByteSize: 480 bytes/workgroup (compile time only)
; SGPRBlocks: 0
; VGPRBlocks: 11
; NumSGPRsForWavesPerEU: 48
; NumVGPRsForWavesPerEU: 93
; Occupancy: 10
; WaveLimiterHint : 1
; COMPUTE_PGM_RSRC2:SCRATCH_EN: 0
; COMPUTE_PGM_RSRC2:USER_SGPR: 6
; COMPUTE_PGM_RSRC2:TRAP_HANDLER: 0
; COMPUTE_PGM_RSRC2:TGID_X_EN: 1
; COMPUTE_PGM_RSRC2:TGID_Y_EN: 1
; COMPUTE_PGM_RSRC2:TGID_Z_EN: 1
; COMPUTE_PGM_RSRC2:TIDIG_COMP_CNT: 0
	.section	.text._ZN4vllm25paged_attention_v2_kernelIffLi120ELi16ELi128ELNS_18Fp8KVCacheDataTypeE0ELb1ELi512EEEvPfS2_PT_PKS3_PKT0_S9_ifPKiSB_iPKfiiiSD_SD_iiiii,"axG",@progbits,_ZN4vllm25paged_attention_v2_kernelIffLi120ELi16ELi128ELNS_18Fp8KVCacheDataTypeE0ELb1ELi512EEEvPfS2_PT_PKS3_PKT0_S9_ifPKiSB_iPKfiiiSD_SD_iiiii,comdat
	.protected	_ZN4vllm25paged_attention_v2_kernelIffLi120ELi16ELi128ELNS_18Fp8KVCacheDataTypeE0ELb1ELi512EEEvPfS2_PT_PKS3_PKT0_S9_ifPKiSB_iPKfiiiSD_SD_iiiii ; -- Begin function _ZN4vllm25paged_attention_v2_kernelIffLi120ELi16ELi128ELNS_18Fp8KVCacheDataTypeE0ELb1ELi512EEEvPfS2_PT_PKS3_PKT0_S9_ifPKiSB_iPKfiiiSD_SD_iiiii
	.globl	_ZN4vllm25paged_attention_v2_kernelIffLi120ELi16ELi128ELNS_18Fp8KVCacheDataTypeE0ELb1ELi512EEEvPfS2_PT_PKS3_PKT0_S9_ifPKiSB_iPKfiiiSD_SD_iiiii
	.p2align	8
	.type	_ZN4vllm25paged_attention_v2_kernelIffLi120ELi16ELi128ELNS_18Fp8KVCacheDataTypeE0ELb1ELi512EEEvPfS2_PT_PKS3_PKT0_S9_ifPKiSB_iPKfiiiSD_SD_iiiii,@function
_ZN4vllm25paged_attention_v2_kernelIffLi120ELi16ELi128ELNS_18Fp8KVCacheDataTypeE0ELb1ELi512EEEvPfS2_PT_PKS3_PKT0_S9_ifPKiSB_iPKfiiiSD_SD_iiiii: ; @_ZN4vllm25paged_attention_v2_kernelIffLi120ELi16ELi128ELNS_18Fp8KVCacheDataTypeE0ELb1ELi512EEEvPfS2_PT_PKS3_PKT0_S9_ifPKiSB_iPKfiiiSD_SD_iiiii
; %bb.0:
	s_load_dwordx2 s[0:1], s[4:5], 0x40
	s_mov_b32 s26, s7
	s_ashr_i32 s27, s7, 31
	s_lshl_b64 s[2:3], s[26:27], 2
	s_waitcnt lgkmcnt(0)
	s_add_u32 s0, s0, s2
	s_addc_u32 s1, s1, s3
	s_lshl_b32 s38, s8, 9
	s_load_dword s27, s[0:1], 0x0
	s_waitcnt lgkmcnt(0)
	s_cmp_ge_i32 s38, s27
	s_cbranch_scc1 .LBB32_116
; %bb.1:
	s_clause 0x1
	s_load_dword s9, s[4:5], 0x90
	s_load_dwordx2 s[36:37], s[4:5], 0x30
	s_mov_b32 s40, 0
	s_waitcnt lgkmcnt(0)
	s_abs_i32 s3, s9
	s_abs_i32 s0, s36
	v_cvt_f32_u32_e32 v1, s0
	s_sub_i32 s2, 0, s0
	v_rcp_iflag_f32_e32 v1, v1
	v_mul_f32_e32 v1, 0x4f7ffffe, v1
	v_cvt_u32_f32_e32 v1, v1
	v_readfirstlane_b32 s1, v1
	s_mul_i32 s2, s2, s1
	s_mul_hi_u32 s2, s1, s2
	s_add_i32 s1, s1, s2
	s_xor_b32 s2, s9, s36
	s_mul_hi_u32 s1, s3, s1
	s_ashr_i32 s2, s2, 31
	s_mul_i32 s7, s1, s0
	s_sub_i32 s3, s3, s7
	s_add_i32 s7, s1, 1
	s_sub_i32 s10, s3, s0
	s_cmp_ge_u32 s3, s0
	s_cselect_b32 s1, s7, s1
	s_cselect_b32 s3, s10, s3
	s_add_i32 s7, s1, 1
	s_cmp_ge_u32 s3, s0
	s_cselect_b32 s0, s7, s1
	s_xor_b32 s0, s0, s2
	s_sub_i32 s10, s0, s2
	s_load_dwordx2 s[0:1], s[4:5], 0x50
	s_abs_i32 s2, s10
	v_cvt_f32_u32_e32 v1, s2
	s_sub_i32 s3, 0, s2
	v_rcp_iflag_f32_e32 v1, v1
	v_mul_f32_e32 v1, 0x4f7ffffe, v1
	v_cvt_u32_f32_e32 v1, v1
	v_readfirstlane_b32 s7, v1
	s_mul_i32 s3, s3, s7
	s_mul_hi_u32 s11, s7, s3
	s_abs_i32 s3, s6
	s_add_i32 s7, s7, s11
	s_waitcnt lgkmcnt(0)
	s_cmp_eq_u64 s[0:1], 0
	s_mul_hi_u32 s20, s3, s7
	s_cbranch_scc1 .LBB32_3
; %bb.2:
	s_ashr_i32 s7, s6, 31
	s_lshl_b64 s[12:13], s[6:7], 2
	s_add_u32 s0, s0, s12
	s_addc_u32 s1, s1, s13
	s_load_dword s40, s[0:1], 0x0
.LBB32_3:
	s_load_dwordx4 s[12:15], s[4:5], 0x58
	v_and_b32_e32 v1, 1, v0
	v_lshlrev_b32_e32 v2, 3, v0
	v_lshlrev_b32_e32 v3, 2, v0
	s_ashr_i32 s0, s6, 31
	s_ashr_i32 s1, s10, 31
	s_mul_i32 s10, s6, 0x78
	s_mov_b32 s7, exec_lo
	v_cmpx_gt_u32_e32 60, v0
	s_cbranch_execz .LBB32_5
; %bb.4:
	s_load_dwordx2 s[16:17], s[4:5], 0x18
	s_waitcnt lgkmcnt(0)
	s_mul_i32 s18, s12, s26
	v_and_b32_e32 v6, 0xff8, v3
	s_ashr_i32 s19, s18, 31
	s_lshl_b64 s[18:19], s[18:19], 2
	v_mad_u32_u24 v6, 0xf0, v1, v6
	s_add_u32 s12, s16, s18
	s_addc_u32 s15, s17, s19
	s_ashr_i32 s11, s10, 31
	s_lshl_b64 s[16:17], s[10:11], 2
	s_add_u32 s16, s12, s16
	s_addc_u32 s17, s15, s17
	global_load_dwordx2 v[4:5], v2, s[16:17]
	s_waitcnt vmcnt(0)
	ds_write_b64 v6, v[4:5]
.LBB32_5:
	s_or_b32 exec_lo, exec_lo, s7
	s_load_dwordx4 s[16:19], s[4:5], 0x78
	s_mul_i32 s7, s20, s2
	s_xor_b32 s0, s0, s1
	s_sub_i32 s1, s3, s7
	s_add_i32 s3, s20, 1
	s_sub_i32 s7, s1, s2
	s_cmp_ge_u32 s1, s2
                                        ; implicit-def: $sgpr33
	s_cselect_b32 s3, s3, s20
	s_cselect_b32 s1, s7, s1
	s_add_i32 s7, s3, 1
	s_cmp_ge_u32 s1, s2
	s_mov_b32 s20, -1
	s_cselect_b32 s1, s7, s3
	s_load_dword s3, s[4:5], 0x88
	s_xor_b32 s1, s1, s0
	s_add_i32 s7, s27, -1
	s_sub_i32 s1, s1, s0
	s_abs_i32 s2, s7
	s_waitcnt lgkmcnt(0)
	s_abs_i32 s11, s19
	s_barrier
	v_cvt_f32_u32_e32 v4, s11
	s_sub_i32 s0, 0, s11
	buffer_gl0_inv
	v_rcp_iflag_f32_e32 v4, v4
	v_mul_f32_e32 v4, 0x4f7ffffe, v4
	v_cvt_u32_f32_e32 v4, v4
	v_readfirstlane_b32 s12, v4
	s_mul_i32 s0, s0, s12
	s_mul_hi_u32 s0, s12, s0
	s_add_i32 s12, s12, s0
	s_cmp_lt_i32 s3, 0
	s_mul_hi_u32 s0, s2, s12
	s_cbranch_scc0 .LBB32_7
; %bb.6:
	s_mul_i32 s15, s16, s36
	s_mov_b32 s20, 0
	s_add_i32 s15, s1, s15
	s_mul_i32 s15, s15, s3
	s_sub_i32 s33, 1, s15
.LBB32_7:
	s_load_dwordx2 s[28:29], s[4:5], 0x38
	s_ashr_i32 s15, s7, 31
	s_andn2_b32 vcc_lo, exec_lo, s20
	s_ashr_i32 s19, s19, 31
	s_cbranch_vccnz .LBB32_9
; %bb.8:
	s_mul_i32 s7, s9, s16
	s_add_i32 s7, s7, s6
	s_mul_i32 s3, s7, s3
	s_add_i32 s33, s3, 1
.LBB32_9:
	s_clause 0x4
	s_load_dword s3, s[4:5], 0x48
	s_load_dwordx2 s[34:35], s[4:5], 0x28
	s_load_dword s7, s[4:5], 0x98
	s_load_dwordx4 s[20:23], s[4:5], 0x0
	s_load_dwordx2 s[24:25], s[4:5], 0x10
	s_mul_i32 s16, s0, s11
	s_xor_b32 s15, s15, s19
	s_sub_i32 s2, s2, s16
	s_add_i32 s36, s0, 1
	v_lshrrev_b32_e32 v68, 5, v0
	v_mov_b32_e32 v5, 0xff7fffff
	v_mbcnt_lo_u32_b32 v4, -1, 0
	s_mul_i32 s14, s1, s14
	v_lshl_add_u32 v69, v68, 4, s38
	s_waitcnt lgkmcnt(0)
	s_mul_i32 s30, s3, s26
	s_sub_i32 s3, s2, s11
	s_ashr_i32 s31, s30, 31
	s_cmp_ge_u32 s2, s11
	s_cselect_b32 s0, s36, s0
	s_cselect_b32 s2, s3, s2
	s_add_i32 s3, s0, 1
	s_cmp_ge_u32 s2, s11
	s_cselect_b32 s0, s3, s0
	s_add_i32 s2, s27, 15
	s_lshl_b32 s41, s8, 5
	s_ashr_i32 s3, s2, 31
	v_or_b32_e32 v65, s41, v68
	s_lshr_b32 s3, s3, 28
	s_add_i32 s2, s2, s3
	s_add_i32 s3, s41, 32
	s_ashr_i32 s36, s2, 4
	s_xor_b32 s2, s0, s15
	s_min_i32 s16, s3, s36
	v_ashrrev_i32_e32 v66, 31, v65
	v_cmp_gt_i32_e64 s0, s16, v65
	s_sub_i32 s39, s2, s15
	s_and_saveexec_b32 s42, s0
	s_cbranch_execz .LBB32_21
; %bb.10:
	s_load_dwordx2 s[2:3], s[4:5], 0x20
	s_ashr_i32 s15, s14, 31
	s_sub_i32 s4, s39, s17
	s_lshl_b64 s[44:45], s[14:15], 2
	v_bfe_u32 v6, v0, 1, 4
	v_cmp_eq_u32_e32 vcc_lo, 0, v1
	v_and_b32_e32 v13, 8, v2
	v_mul_u32_u24_e32 v7, 0xf0, v1
	v_lshlrev_b64 v[1:2], 2, v[65:66]
	v_lshlrev_b32_e32 v11, 2, v6
	v_subrev_nc_u32_e32 v14, s27, v6
	v_lshlrev_b32_e32 v17, 4, v6
	v_cmp_neq_f32_e64 s1, s40, 0
	v_lshl_add_u32 v8, v68, 4, s38
	v_lshl_or_b32 v15, v68, 6, v11
	v_add_nc_u32_e32 v11, 1, v14
	v_mov_b32_e32 v9, 0xff7fffff
	v_xor_b32_e32 v10, 1, v4
	s_waitcnt lgkmcnt(0)
	s_add_u32 s15, s2, s44
	s_addc_u32 s43, s3, s45
	s_abs_i32 s5, s18
	v_cvt_f32_u32_e32 v5, s5
	s_sub_i32 s2, 0, s5
	v_rcp_iflag_f32_e32 v5, v5
	v_mul_f32_e32 v12, 0x4f7ffffe, v5
	v_mov_b32_e32 v5, 0xff7fffff
	v_cvt_u32_f32_e32 v16, v12
	v_add_nc_u32_e32 v12, 0x200, v15
	v_add_co_u32 v15, s15, s15, v17
	v_add_co_ci_u32_e64 v17, null, s43, 0, s15
	v_mul_lo_u32 v14, s2, v16
	s_lshl_b64 s[2:3], s[30:31], 2
	s_mov_b32 s15, 0
	s_add_u32 s2, s28, s2
	s_addc_u32 s3, s29, s3
	v_add_co_u32 v1, s2, s2, v1
	v_add_co_ci_u32_e64 v2, null, s3, v2, s2
	v_mul_hi_u32 v18, v16, v14
	v_add_co_u32 v13, s2, v15, v13
	v_add_co_ci_u32_e64 v14, null, 0, v17, s2
	s_mov_b32 s43, s13
	v_add_nc_u32_e32 v15, v16, v18
	v_mov_b32_e32 v16, v65
	s_branch .LBB32_13
.LBB32_11:                              ;   in Loop: Header=BB32_13 Depth=1
	s_or_b32 exec_lo, exec_lo, s44
.LBB32_12:                              ;   in Loop: Header=BB32_13 Depth=1
	s_or_b32 exec_lo, exec_lo, s3
	v_add_nc_u32_e32 v16, 4, v16
	v_add_co_u32 v1, s3, v1, 16
	v_add_co_ci_u32_e64 v2, null, 0, v2, s3
	v_cmp_le_i32_e64 s2, s16, v16
	v_add_nc_u32_e32 v8, 64, v8
	v_add_nc_u32_e32 v12, 0x100, v12
	s_or_b32 s15, s2, s15
	s_andn2_b32 exec_lo, exec_lo, s15
	s_cbranch_execz .LBB32_20
.LBB32_13:                              ; =>This Inner Loop Header: Depth=1
	v_sub_nc_u32_e32 v17, 0, v8
	v_max_i32_e32 v17, v8, v17
	s_waitcnt lgkmcnt(0)
	v_mul_hi_u32 v18, v17, s12
	v_mul_lo_u32 v19, v18, s11
	v_sub_nc_u32_e32 v17, v17, v19
	v_add_nc_u32_e32 v19, 1, v18
	v_subrev_nc_u32_e32 v20, s11, v17
	v_cmp_le_u32_e64 s2, s11, v17
	v_cndmask_b32_e64 v18, v18, v19, s2
	v_cndmask_b32_e64 v17, v17, v20, s2
	v_ashrrev_i32_e32 v19, 31, v8
	v_add_nc_u32_e32 v20, 1, v18
	v_cmp_le_u32_e64 s2, s11, v17
	v_xor_b32_e32 v19, s19, v19
	v_cndmask_b32_e64 v17, v18, v20, s2
	v_xor_b32_e32 v17, v17, v19
	v_sub_nc_u32_e32 v17, v17, v19
	v_add_nc_u32_e32 v18, s33, v17
	v_cmp_ge_i32_e64 s3, s4, v17
	v_sub_nc_u32_e32 v19, 0, v18
	v_max_i32_e32 v19, v18, v19
	v_ashrrev_i32_e32 v18, 31, v18
	v_mul_hi_u32 v20, v19, v15
	v_mul_lo_u32 v20, v20, s5
	v_sub_nc_u32_e32 v19, v19, v20
	v_subrev_nc_u32_e32 v20, s5, v19
	v_cmp_le_u32_e64 s2, s5, v19
	v_cndmask_b32_e64 v19, v19, v20, s2
	v_subrev_nc_u32_e32 v20, s5, v19
	v_cmp_le_u32_e64 s2, s5, v19
	v_cndmask_b32_e64 v19, v19, v20, s2
	v_xor_b32_e32 v19, v19, v18
	v_sub_nc_u32_e32 v18, v19, v18
	v_cmp_ne_u32_e64 s2, 0, v18
	s_and_b32 s2, s2, s3
	s_and_saveexec_b32 s3, s2
	s_xor_b32 s2, exec_lo, s3
	s_cbranch_execz .LBB32_17
; %bb.14:                               ;   in Loop: Header=BB32_13 Depth=1
	s_and_saveexec_b32 s3, vcc_lo
; %bb.15:                               ;   in Loop: Header=BB32_13 Depth=1
	ds_write_b32 v12, v9
; %bb.16:                               ;   in Loop: Header=BB32_13 Depth=1
	s_or_b32 exec_lo, exec_lo, s3
.LBB32_17:                              ;   in Loop: Header=BB32_13 Depth=1
	s_andn2_saveexec_b32 s3, s2
	s_cbranch_execz .LBB32_12
; %bb.18:                               ;   in Loop: Header=BB32_13 Depth=1
	global_load_dword v17, v[1:2], off
	s_waitcnt vmcnt(0)
	v_mad_i64_i32 v[17:18], null, v17, s43, 0
	v_lshlrev_b64 v[17:18], 2, v[17:18]
	v_add_co_u32 v17, s2, v13, v17
	v_add_co_ci_u32_e64 v18, null, v14, v18, s2
	s_clause 0x7
	global_load_dwordx2 v[29:30], v[17:18], off offset:256
	global_load_dwordx2 v[31:32], v[17:18], off offset:512
	;; [unrolled: 1-line block ×3, first 2 shown]
	global_load_dwordx2 v[35:36], v[17:18], off
	global_load_dwordx2 v[37:38], v[17:18], off offset:1024
	global_load_dwordx2 v[39:40], v[17:18], off offset:1280
	;; [unrolled: 1-line block ×4, first 2 shown]
	v_add_co_u32 v19, s2, v17, 0x1000
	v_add_co_ci_u32_e64 v20, null, 0, v18, s2
	v_add_co_u32 v21, s2, 0x800, v17
	v_add_co_ci_u32_e64 v22, null, 0, v18, s2
	s_clause 0x7
	global_load_dwordx2 v[45:46], v[19:20], off offset:-2048
	global_load_dwordx2 v[47:48], v[21:22], off offset:256
	global_load_dwordx2 v[49:50], v[21:22], off offset:512
	;; [unrolled: 1-line block ×7, first 2 shown]
	v_add_co_u32 v21, s2, 0x1000, v17
	v_add_co_ci_u32_e64 v22, null, 0, v18, s2
	s_clause 0x6
	global_load_dwordx2 v[61:62], v[19:20], off
	global_load_dwordx2 v[63:64], v[21:22], off offset:256
	global_load_dwordx2 v[70:71], v[21:22], off offset:512
	;; [unrolled: 1-line block ×6, first 2 shown]
	v_add_co_u32 v17, s2, 0x1800, v17
	v_add_co_ci_u32_e64 v18, null, 0, v18, s2
	s_clause 0x6
	global_load_dwordx2 v[80:81], v[21:22], off offset:1792
	global_load_dwordx2 v[82:83], v[17:18], off
	global_load_dwordx2 v[84:85], v[17:18], off offset:256
	global_load_dwordx2 v[86:87], v[17:18], off offset:512
	global_load_dwordx2 v[88:89], v[17:18], off offset:768
	global_load_dwordx2 v[90:91], v[17:18], off offset:1024
	global_load_dwordx2 v[92:93], v[17:18], off offset:1280
	ds_read_b128 v[17:20], v7
	ds_read_b128 v[21:24], v7 offset:16
	ds_read_b128 v[25:28], v7 offset:32
	v_cmp_gt_i32_e64 s2, 32, v10
	s_waitcnt vmcnt(29) lgkmcnt(2)
	v_mul_f32_e32 v29, v19, v29
	v_mul_f32_e32 v30, v20, v30
	s_waitcnt vmcnt(26)
	v_fmac_f32_e32 v29, v17, v35
	v_fmac_f32_e32 v30, v18, v36
	ds_read_b128 v[17:20], v7 offset:48
	s_waitcnt lgkmcnt(2)
	v_fmac_f32_e32 v29, v21, v31
	v_fmac_f32_e32 v30, v22, v32
	;; [unrolled: 1-line block ×4, first 2 shown]
	ds_read_b128 v[21:24], v7 offset:64
	s_waitcnt vmcnt(25) lgkmcnt(2)
	v_fmac_f32_e32 v29, v25, v37
	v_fmac_f32_e32 v30, v26, v38
	s_waitcnt vmcnt(24)
	v_fmac_f32_e32 v29, v27, v39
	v_fmac_f32_e32 v30, v28, v40
	ds_read_b128 v[25:28], v7 offset:80
	s_waitcnt vmcnt(23) lgkmcnt(2)
	v_fmac_f32_e32 v29, v17, v41
	v_fmac_f32_e32 v30, v18, v42
	s_waitcnt vmcnt(22)
	v_fmac_f32_e32 v29, v19, v43
	v_fmac_f32_e32 v30, v20, v44
	;; [unrolled: 7-line block ×10, first 2 shown]
	ds_read_b128 v[25:28], v7 offset:224
	s_waitcnt vmcnt(5) lgkmcnt(2)
	v_fmac_f32_e32 v29, v17, v82
	v_fmac_f32_e32 v30, v18, v83
	v_cndmask_b32_e64 v17, v4, v10, s2
	s_waitcnt vmcnt(4)
	v_fmac_f32_e32 v29, v84, v19
	v_fmac_f32_e32 v30, v85, v20
	v_lshlrev_b32_e32 v18, 2, v17
	s_waitcnt vmcnt(3) lgkmcnt(1)
	v_fmac_f32_e32 v29, v86, v21
	v_fmac_f32_e32 v30, v87, v22
	s_waitcnt vmcnt(2)
	v_fmac_f32_e32 v29, v88, v23
	v_fmac_f32_e32 v30, v89, v24
	s_waitcnt vmcnt(1) lgkmcnt(0)
	v_fmac_f32_e32 v29, v90, v25
	v_fmac_f32_e32 v30, v91, v26
	s_waitcnt vmcnt(0)
	v_fmac_f32_e32 v29, v92, v27
	v_fmac_f32_e32 v30, v93, v28
	v_add_f32_e32 v17, v29, v30
	ds_bpermute_b32 v18, v18, v17
	s_and_saveexec_b32 s44, vcc_lo
	s_cbranch_execz .LBB32_11
; %bb.19:                               ;   in Loop: Header=BB32_13 Depth=1
	v_add_nc_u32_e32 v19, v11, v8
	s_waitcnt lgkmcnt(0)
	v_add_f32_e32 v17, v17, v18
	v_cvt_f32_i32_e32 v19, v19
	v_mul_f32_e32 v19, s40, v19
	v_cndmask_b32_e64 v18, 0, v19, s1
	v_max_f32_e32 v19, v5, v5
	v_fmac_f32_e32 v18, s37, v17
	v_add_nc_u32_e32 v17, v6, v8
	v_max_f32_e32 v19, v19, v18
	v_cmp_gt_i32_e64 s2, s27, v17
	v_cndmask_b32_e64 v17, 0, v18, s2
	v_cndmask_b32_e64 v5, v5, v19, s2
	ds_write_b32 v12, v17
	s_branch .LBB32_11
.LBB32_20:
	s_or_b32 exec_lo, exec_lo, s15
.LBB32_21:
	s_or_b32 exec_lo, exec_lo, s42
	v_xor_b32_e32 v1, 16, v4
	v_xor_b32_e32 v6, 8, v4
	v_max_f32_e32 v7, v5, v5
	v_and_b32_e32 v70, 31, v0
	v_cmp_gt_i32_e32 vcc_lo, 32, v1
	v_cndmask_b32_e32 v1, v4, v1, vcc_lo
	v_cmp_gt_i32_e32 vcc_lo, 32, v6
	v_lshlrev_b32_e32 v2, 2, v1
	ds_bpermute_b32 v1, v2, v5
	v_cndmask_b32_e32 v5, v4, v6, vcc_lo
	v_lshlrev_b32_e32 v5, 2, v5
	s_waitcnt lgkmcnt(0)
	v_max_f32_e32 v1, v1, v1
	v_max_f32_e32 v1, v7, v1
	v_xor_b32_e32 v7, 4, v4
	ds_bpermute_b32 v6, v5, v1
	v_cmp_gt_i32_e32 vcc_lo, 32, v7
	v_cndmask_b32_e32 v7, v4, v7, vcc_lo
	s_waitcnt lgkmcnt(0)
	v_max_f32_e32 v8, v6, v6
	v_lshlrev_b32_e32 v6, 2, v7
	v_max_f32_e32 v1, v1, v8
	v_xor_b32_e32 v8, 2, v4
	ds_bpermute_b32 v7, v6, v1
	v_cmp_gt_i32_e32 vcc_lo, 32, v8
	v_cndmask_b32_e32 v8, v4, v8, vcc_lo
	v_cmp_eq_u32_e32 vcc_lo, 0, v70
	v_lshlrev_b32_e32 v71, 2, v8
	s_waitcnt lgkmcnt(0)
	v_max_f32_e32 v7, v7, v7
	v_max_f32_e32 v1, v1, v7
	v_lshlrev_b32_e32 v7, 2, v68
	ds_bpermute_b32 v8, v71, v1
	s_and_saveexec_b32 s1, vcc_lo
	s_cbranch_execz .LBB32_23
; %bb.22:
	s_waitcnt lgkmcnt(0)
	v_max_f32_e32 v8, v8, v8
	v_max_f32_e32 v1, v1, v1
	;; [unrolled: 1-line block ×3, first 2 shown]
	ds_write_b32 v7, v1 offset:480
.LBB32_23:
	s_or_b32 exec_lo, exec_lo, s1
	v_cmp_gt_u32_e64 s1, 4, v70
	v_mov_b32_e32 v1, 0xff7fffff
	s_waitcnt lgkmcnt(0)
	v_lshlrev_b32_e32 v8, 2, v70
	s_barrier
	buffer_gl0_inv
	s_and_saveexec_b32 s2, s1
; %bb.24:
	ds_read_b32 v1, v8 offset:480
; %bb.25:
	s_or_b32 exec_lo, exec_lo, s2
	s_waitcnt lgkmcnt(0)
	ds_bpermute_b32 v9, v71, v1
	v_xor_b32_e32 v10, 1, v4
	v_max_f32_e32 v1, v1, v1
	v_cmp_gt_i32_e64 s2, 32, v10
	v_cndmask_b32_e64 v4, v4, v10, s2
	s_sub_i32 s2, s16, s41
	s_lshl_b32 s2, s2, 4
	v_lshlrev_b32_e32 v72, 2, v4
	s_add_i32 s2, s2, s38
	s_min_i32 s2, s2, s27
	s_waitcnt lgkmcnt(0)
	v_max_f32_e32 v9, v9, v9
	s_sub_i32 s4, s2, s38
	v_cmp_gt_i32_e64 s2, s4, v0
	v_max_f32_e32 v1, v1, v9
	v_mov_b32_e32 v9, 0
	ds_bpermute_b32 v4, v72, v1
	s_waitcnt lgkmcnt(0)
	v_max_f32_e32 v4, v4, v4
	v_max_f32_e32 v1, v1, v4
	v_lshl_add_u32 v4, v0, 2, 0x200
	ds_bpermute_b32 v1, v9, v1
	s_and_saveexec_b32 s5, s2
	s_cbranch_execz .LBB32_29
; %bb.26:
	v_lshl_add_u32 v10, v0, 2, 0x200
	v_mov_b32_e32 v9, 0
	v_mov_b32_e32 v11, v0
	s_mov_b32 s15, 0
	.p2align	6
.LBB32_27:                              ; =>This Inner Loop Header: Depth=1
	ds_read_b32 v12, v10
	v_add_nc_u32_e32 v11, 0x80, v11
	v_cmp_le_i32_e64 s3, s4, v11
	s_or_b32 s15, s3, s15
	s_waitcnt lgkmcnt(0)
	v_sub_f32_e32 v12, v12, v1
	v_mul_f32_e32 v12, 0x3fb8aa3b, v12
	v_exp_f32_e32 v12, v12
	ds_write_b32 v10, v12
	v_add_f32_e32 v9, v9, v12
	v_add_nc_u32_e32 v10, 0x200, v10
	s_andn2_b32 exec_lo, exec_lo, s15
	s_cbranch_execnz .LBB32_27
; %bb.28:
	s_or_b32 exec_lo, exec_lo, s15
.LBB32_29:
	s_or_b32 exec_lo, exec_lo, s5
	ds_bpermute_b32 v2, v2, v9
	s_waitcnt lgkmcnt(0)
	v_add_f32_e32 v2, v9, v2
	ds_bpermute_b32 v5, v5, v2
	s_waitcnt lgkmcnt(0)
	v_add_f32_e32 v2, v2, v5
	;; [unrolled: 3-line block ×5, first 2 shown]
	s_and_saveexec_b32 s3, vcc_lo
; %bb.30:
	ds_write_b32 v7, v2 offset:496
; %bb.31:
	s_or_b32 exec_lo, exec_lo, s3
	s_waitcnt lgkmcnt(0)
	s_barrier
	buffer_gl0_inv
	s_and_saveexec_b32 s3, s1
; %bb.32:
	ds_read_b32 v2, v8 offset:496
; %bb.33:
	s_or_b32 exec_lo, exec_lo, s3
	s_waitcnt lgkmcnt(0)
	ds_bpermute_b32 v5, v71, v2
	s_waitcnt lgkmcnt(0)
	v_add_f32_e32 v2, v2, v5
	ds_bpermute_b32 v5, v72, v2
	s_waitcnt lgkmcnt(0)
	v_add_f32_e32 v2, v2, v5
	v_mov_b32_e32 v5, 0
	ds_bpermute_b32 v2, v5, v2
	s_and_saveexec_b32 s1, s2
	s_cbranch_execz .LBB32_36
; %bb.34:
	s_waitcnt lgkmcnt(0)
	v_add_f32_e32 v5, 0x358637bd, v2
	s_mov_b32 s2, 0
	v_div_scale_f32 v6, null, v5, v5, 1.0
	v_div_scale_f32 v9, vcc_lo, 1.0, v5, 1.0
	v_rcp_f32_e32 v7, v6
	v_fma_f32 v8, -v6, v7, 1.0
	v_fmac_f32_e32 v7, v8, v7
	v_mul_f32_e32 v8, v9, v7
	v_fma_f32 v10, -v6, v8, v9
	v_fmac_f32_e32 v8, v10, v7
	v_fma_f32 v6, -v6, v8, v9
	v_div_fmas_f32 v6, v6, v7, v8
	v_div_fixup_f32 v5, v6, v5, 1.0
	v_mov_b32_e32 v6, v0
.LBB32_35:                              ; =>This Inner Loop Header: Depth=1
	ds_read_b32 v7, v4
	v_add_nc_u32_e32 v6, 0x80, v6
	v_cmp_le_i32_e32 vcc_lo, s4, v6
	s_or_b32 s2, vcc_lo, s2
	s_waitcnt lgkmcnt(0)
	v_mul_f32_e32 v7, v5, v7
	ds_write_b32 v4, v7
	v_add_nc_u32_e32 v4, 0x200, v4
	s_andn2_b32 exec_lo, exec_lo, s2
	s_cbranch_execnz .LBB32_35
.LBB32_36:
	s_or_b32 exec_lo, exec_lo, s1
	s_mul_i32 s1, s7, s26
	s_waitcnt lgkmcnt(0)
	s_mul_i32 s4, s1, s9
	s_mov_b32 s1, exec_lo
	s_barrier
	buffer_gl0_inv
	v_cmpx_eq_u32_e32 0, v0
	s_cbranch_execz .LBB32_38
; %bb.37:
	s_ashr_i32 s5, s4, 31
	s_mul_i32 s40, s7, s6
	s_lshl_b64 s[2:3], s[4:5], 2
	v_mov_b32_e32 v4, 0
	s_add_u32 s5, s22, s2
	s_addc_u32 s6, s23, s3
	s_ashr_i32 s41, s40, 31
	s_lshl_b64 s[22:23], s[40:41], 2
	s_add_u32 s5, s5, s22
	s_addc_u32 s6, s6, s23
	s_ashr_i32 s9, s8, 31
	s_lshl_b64 s[40:41], s[8:9], 2
	s_add_u32 s42, s5, s40
	s_addc_u32 s43, s6, s41
	s_add_u32 s2, s20, s2
	s_addc_u32 s3, s21, s3
	;; [unrolled: 2-line block ×4, first 2 shown]
	global_store_dword v4, v1, s[42:43]
	global_store_dword v4, v2, s[2:3]
.LBB32_38:
	s_or_b32 exec_lo, exec_lo, s1
	v_mov_b32_e32 v88, 0
	v_and_b32_e32 v73, 3, v0
	v_mov_b32_e32 v87, 0
	v_mov_b32_e32 v86, 0
	;; [unrolled: 1-line block ×14, first 2 shown]
	s_and_saveexec_b32 s3, s0
	s_cbranch_execz .LBB32_74
; %bb.39:
	s_ashr_i32 s15, s14, 31
	s_sub_i32 s5, s39, s17
	s_lshl_b64 s[0:1], s[14:15], 2
	v_and_b32_e32 v89, 12, v3
	s_add_u32 s2, s34, s0
	s_addc_u32 s9, s35, s1
	s_abs_i32 s6, s18
	v_lshlrev_b32_e32 v4, 4, v0
	v_cvt_f32_u32_e32 v1, s6
	s_sub_i32 s0, 0, s6
	v_lshlrev_b32_e32 v5, 4, v73
	s_add_i32 s36, s36, -1
	v_and_b32_e32 v4, 0x1f0, v4
	v_rcp_iflag_f32_e32 v3, v1
	v_lshlrev_b64 v[1:2], 2, v[65:66]
	v_lshl_or_b32 v5, v68, 6, v5
	v_mov_b32_e32 v74, 0
	v_add_co_u32 v90, s2, s2, v4
	v_mov_b32_e32 v75, 0
	v_mov_b32_e32 v76, 0
	;; [unrolled: 1-line block ×4, first 2 shown]
	v_mul_f32_e32 v3, 0x4f7ffffe, v3
	v_mov_b32_e32 v79, 0
	v_mov_b32_e32 v80, 0
	;; [unrolled: 1-line block ×4, first 2 shown]
	v_cvt_u32_f32_e32 v3, v3
	v_mov_b32_e32 v83, 0
	v_mov_b32_e32 v84, 0
	;; [unrolled: 1-line block ×4, first 2 shown]
	v_mul_lo_u32 v6, s0, v3
	s_lshl_b64 s[0:1], s[30:31], 2
	v_mov_b32_e32 v87, 0
	s_add_u32 s0, s28, s0
	s_addc_u32 s1, s29, s1
	v_add_co_u32 v66, vcc_lo, s0, v1
	v_add_co_ci_u32_e64 v91, null, s9, 0, s2
	v_mul_hi_u32 v6, v3, v6
	v_add_nc_u32_e32 v92, 0x200, v5
	v_add_co_ci_u32_e64 v67, null, s1, v2, vcc_lo
	v_mov_b32_e32 v88, 0
	s_mov_b32 s9, 0
	v_add_nc_u32_e32 v93, v3, v6
	s_branch .LBB32_42
.LBB32_40:                              ;   in Loop: Header=BB32_42 Depth=1
	s_or_b32 exec_lo, exec_lo, s15
	s_waitcnt vmcnt(1) lgkmcnt(0)
	v_mul_f32_e32 v61, v1, v61
	v_mul_f32_e32 v57, v1, v57
	;; [unrolled: 1-line block ×14, first 2 shown]
	s_waitcnt vmcnt(0)
	v_mul_f32_e32 v1, v1, v49
	v_fmac_f32_e32 v61, v2, v62
	v_fmac_f32_e32 v57, v2, v58
	;; [unrolled: 1-line block ×45, first 2 shown]
	v_add_f32_e32 v75, v75, v61
	v_add_f32_e32 v76, v76, v57
	;; [unrolled: 1-line block ×15, first 2 shown]
.LBB32_41:                              ;   in Loop: Header=BB32_42 Depth=1
	s_or_b32 exec_lo, exec_lo, s14
	v_add_nc_u32_e32 v65, 4, v65
	v_add_co_u32 v66, s0, v66, 16
	v_add_co_ci_u32_e64 v67, null, 0, v67, s0
	v_cmp_le_i32_e32 vcc_lo, s16, v65
	v_add_nc_u32_e32 v69, 64, v69
	v_add_nc_u32_e32 v92, 0x100, v92
	s_or_b32 s9, vcc_lo, s9
	s_andn2_b32 exec_lo, exec_lo, s9
	s_cbranch_execz .LBB32_73
.LBB32_42:                              ; =>This Inner Loop Header: Depth=1
	v_sub_nc_u32_e32 v1, 0, v69
	v_max_i32_e32 v1, v69, v1
	v_mul_hi_u32 v2, v1, s12
	v_mul_lo_u32 v3, v2, s11
	v_sub_nc_u32_e32 v1, v1, v3
	v_add_nc_u32_e32 v3, 1, v2
	v_subrev_nc_u32_e32 v4, s11, v1
	v_cmp_le_u32_e32 vcc_lo, s11, v1
	v_cndmask_b32_e32 v2, v2, v3, vcc_lo
	v_cndmask_b32_e32 v1, v1, v4, vcc_lo
	v_ashrrev_i32_e32 v3, 31, v69
	v_add_nc_u32_e32 v4, 1, v2
	v_cmp_le_u32_e32 vcc_lo, s11, v1
	v_xor_b32_e32 v3, s19, v3
	v_cndmask_b32_e32 v1, v2, v4, vcc_lo
	v_xor_b32_e32 v1, v1, v3
	v_sub_nc_u32_e32 v1, v1, v3
	v_add_nc_u32_e32 v2, s33, v1
	v_cmp_lt_i32_e64 s0, s5, v1
	v_sub_nc_u32_e32 v3, 0, v2
	v_max_i32_e32 v3, v2, v3
	v_ashrrev_i32_e32 v2, 31, v2
	v_mul_hi_u32 v4, v3, v93
	v_mul_lo_u32 v4, v4, s6
	v_sub_nc_u32_e32 v3, v3, v4
	v_subrev_nc_u32_e32 v4, s6, v3
	v_cmp_le_u32_e32 vcc_lo, s6, v3
	v_cndmask_b32_e32 v3, v3, v4, vcc_lo
	v_subrev_nc_u32_e32 v4, s6, v3
	v_cmp_le_u32_e32 vcc_lo, s6, v3
	v_cndmask_b32_e32 v3, v3, v4, vcc_lo
	v_xor_b32_e32 v3, v3, v2
	v_sub_nc_u32_e32 v2, v3, v2
	v_cmp_eq_u32_e32 vcc_lo, 0, v2
	s_or_b32 s0, vcc_lo, s0
	s_and_saveexec_b32 s14, s0
	s_cbranch_execz .LBB32_41
; %bb.43:                               ;   in Loop: Header=BB32_42 Depth=1
	global_load_dword v1, v[66:67], off
	v_add_nc_u32_e32 v94, v89, v69
	v_add_nc_u32_e32 v97, 1, v94
	;; [unrolled: 1-line block ×4, first 2 shown]
	s_waitcnt vmcnt(0)
	v_mad_i64_i32 v[1:2], null, v1, s13, 0
	v_lshlrev_b64 v[1:2], 2, v[1:2]
	v_add_co_u32 v49, vcc_lo, v90, v1
	v_add_co_ci_u32_e64 v50, null, v91, v2, vcc_lo
	ds_read_b128 v[1:4], v92
	v_cmp_eq_u32_e32 vcc_lo, s36, v65
	global_load_dwordx4 v[5:8], v[49:50], off
	s_and_saveexec_b32 s1, vcc_lo
	s_cbranch_execnz .LBB32_61
; %bb.44:                               ;   in Loop: Header=BB32_42 Depth=1
	s_or_b32 exec_lo, exec_lo, s1
	global_load_dwordx4 v[9:12], v[49:50], off offset:512
	s_and_saveexec_b32 s1, vcc_lo
	s_cbranch_execnz .LBB32_62
.LBB32_45:                              ;   in Loop: Header=BB32_42 Depth=1
	s_or_b32 exec_lo, exec_lo, s1
	global_load_dwordx4 v[13:16], v[49:50], off offset:1024
	s_and_saveexec_b32 s1, vcc_lo
	s_cbranch_execnz .LBB32_63
.LBB32_46:                              ;   in Loop: Header=BB32_42 Depth=1
	s_or_b32 exec_lo, exec_lo, s1
	global_load_dwordx4 v[17:20], v[49:50], off offset:1536
	s_and_saveexec_b32 s1, vcc_lo
	s_cbranch_execz .LBB32_48
.LBB32_47:                              ;   in Loop: Header=BB32_42 Depth=1
	v_cmp_gt_i32_e64 s0, s27, v94
	s_waitcnt vmcnt(0)
	v_cndmask_b32_e64 v17, 0, v17, s0
	v_cmp_gt_i32_e64 s0, s27, v97
	v_cndmask_b32_e64 v18, 0, v18, s0
	v_cmp_gt_i32_e64 s0, s27, v96
	;; [unrolled: 2-line block ×3, first 2 shown]
	v_cndmask_b32_e64 v20, 0, v20, s0
.LBB32_48:                              ;   in Loop: Header=BB32_42 Depth=1
	s_or_b32 exec_lo, exec_lo, s1
	v_add_co_u32 v33, s0, 0x800, v49
	v_add_co_ci_u32_e64 v34, null, 0, v50, s0
	global_load_dwordx4 v[21:24], v[33:34], off
	s_and_saveexec_b32 s1, vcc_lo
	s_cbranch_execnz .LBB32_64
; %bb.49:                               ;   in Loop: Header=BB32_42 Depth=1
	s_or_b32 exec_lo, exec_lo, s1
	global_load_dwordx4 v[25:28], v[33:34], off offset:512
	s_and_saveexec_b32 s1, vcc_lo
	s_cbranch_execnz .LBB32_65
.LBB32_50:                              ;   in Loop: Header=BB32_42 Depth=1
	s_or_b32 exec_lo, exec_lo, s1
	global_load_dwordx4 v[29:32], v[33:34], off offset:1024
	s_and_saveexec_b32 s1, vcc_lo
	s_cbranch_execnz .LBB32_66
.LBB32_51:                              ;   in Loop: Header=BB32_42 Depth=1
	s_or_b32 exec_lo, exec_lo, s1
	global_load_dwordx4 v[33:36], v[33:34], off offset:1536
	s_and_saveexec_b32 s1, vcc_lo
	s_cbranch_execz .LBB32_53
.LBB32_52:                              ;   in Loop: Header=BB32_42 Depth=1
	v_cmp_gt_i32_e64 s0, s27, v94
	s_waitcnt vmcnt(0)
	v_cndmask_b32_e64 v33, 0, v33, s0
	v_cmp_gt_i32_e64 s0, s27, v97
	v_cndmask_b32_e64 v34, 0, v34, s0
	v_cmp_gt_i32_e64 s0, s27, v96
	;; [unrolled: 2-line block ×3, first 2 shown]
	v_cndmask_b32_e64 v36, 0, v36, s0
.LBB32_53:                              ;   in Loop: Header=BB32_42 Depth=1
	s_or_b32 exec_lo, exec_lo, s1
	v_add_co_u32 v51, s0, 0x1000, v49
	v_add_co_ci_u32_e64 v52, null, 0, v50, s0
	global_load_dwordx4 v[37:40], v[51:52], off
	s_and_saveexec_b32 s1, vcc_lo
	s_cbranch_execnz .LBB32_67
; %bb.54:                               ;   in Loop: Header=BB32_42 Depth=1
	s_or_b32 exec_lo, exec_lo, s1
	global_load_dwordx4 v[41:44], v[51:52], off offset:512
	s_and_saveexec_b32 s1, vcc_lo
	s_cbranch_execnz .LBB32_68
.LBB32_55:                              ;   in Loop: Header=BB32_42 Depth=1
	s_or_b32 exec_lo, exec_lo, s1
	global_load_dwordx4 v[45:48], v[51:52], off offset:1024
	s_and_saveexec_b32 s1, vcc_lo
	s_cbranch_execnz .LBB32_69
.LBB32_56:                              ;   in Loop: Header=BB32_42 Depth=1
	s_or_b32 exec_lo, exec_lo, s1
	global_load_dwordx4 v[53:56], v[51:52], off offset:1536
	s_and_saveexec_b32 s1, vcc_lo
	s_cbranch_execz .LBB32_58
.LBB32_57:                              ;   in Loop: Header=BB32_42 Depth=1
	v_cmp_gt_i32_e64 s0, s27, v94
	s_waitcnt vmcnt(0)
	v_cndmask_b32_e64 v53, 0, v53, s0
	v_cmp_gt_i32_e64 s0, s27, v97
	v_cndmask_b32_e64 v54, 0, v54, s0
	v_cmp_gt_i32_e64 s0, s27, v96
	;; [unrolled: 2-line block ×3, first 2 shown]
	v_cndmask_b32_e64 v56, 0, v56, s0
.LBB32_58:                              ;   in Loop: Header=BB32_42 Depth=1
	s_or_b32 exec_lo, exec_lo, s1
	v_add_co_u32 v49, s0, 0x1800, v49
	v_add_co_ci_u32_e64 v50, null, 0, v50, s0
	global_load_dwordx4 v[57:60], v[49:50], off
	s_and_saveexec_b32 s1, vcc_lo
	s_cbranch_execnz .LBB32_70
; %bb.59:                               ;   in Loop: Header=BB32_42 Depth=1
	s_or_b32 exec_lo, exec_lo, s1
	global_load_dwordx4 v[61:64], v[49:50], off offset:512
	s_and_saveexec_b32 s1, vcc_lo
	s_cbranch_execnz .LBB32_71
.LBB32_60:                              ;   in Loop: Header=BB32_42 Depth=1
	s_or_b32 exec_lo, exec_lo, s1
	global_load_dwordx4 v[49:52], v[49:50], off offset:1024
	s_and_saveexec_b32 s15, vcc_lo
	s_cbranch_execz .LBB32_40
	s_branch .LBB32_72
.LBB32_61:                              ;   in Loop: Header=BB32_42 Depth=1
	v_cmp_gt_i32_e64 s0, s27, v94
	s_waitcnt vmcnt(0)
	v_cndmask_b32_e64 v5, 0, v5, s0
	v_cmp_gt_i32_e64 s0, s27, v97
	v_cndmask_b32_e64 v6, 0, v6, s0
	v_cmp_gt_i32_e64 s0, s27, v96
	;; [unrolled: 2-line block ×3, first 2 shown]
	v_cndmask_b32_e64 v8, 0, v8, s0
	s_or_b32 exec_lo, exec_lo, s1
	global_load_dwordx4 v[9:12], v[49:50], off offset:512
	s_and_saveexec_b32 s1, vcc_lo
	s_cbranch_execz .LBB32_45
.LBB32_62:                              ;   in Loop: Header=BB32_42 Depth=1
	v_cmp_gt_i32_e64 s0, s27, v94
	s_waitcnt vmcnt(0)
	v_cndmask_b32_e64 v9, 0, v9, s0
	v_cmp_gt_i32_e64 s0, s27, v97
	v_cndmask_b32_e64 v10, 0, v10, s0
	v_cmp_gt_i32_e64 s0, s27, v96
	;; [unrolled: 2-line block ×3, first 2 shown]
	v_cndmask_b32_e64 v12, 0, v12, s0
	s_or_b32 exec_lo, exec_lo, s1
	global_load_dwordx4 v[13:16], v[49:50], off offset:1024
	s_and_saveexec_b32 s1, vcc_lo
	s_cbranch_execz .LBB32_46
.LBB32_63:                              ;   in Loop: Header=BB32_42 Depth=1
	v_cmp_gt_i32_e64 s0, s27, v94
	s_waitcnt vmcnt(0)
	v_cndmask_b32_e64 v13, 0, v13, s0
	v_cmp_gt_i32_e64 s0, s27, v97
	v_cndmask_b32_e64 v14, 0, v14, s0
	v_cmp_gt_i32_e64 s0, s27, v96
	;; [unrolled: 2-line block ×3, first 2 shown]
	v_cndmask_b32_e64 v16, 0, v16, s0
	s_or_b32 exec_lo, exec_lo, s1
	global_load_dwordx4 v[17:20], v[49:50], off offset:1536
	s_and_saveexec_b32 s1, vcc_lo
	s_cbranch_execnz .LBB32_47
	s_branch .LBB32_48
.LBB32_64:                              ;   in Loop: Header=BB32_42 Depth=1
	v_cmp_gt_i32_e64 s0, s27, v94
	s_waitcnt vmcnt(0)
	v_cndmask_b32_e64 v21, 0, v21, s0
	v_cmp_gt_i32_e64 s0, s27, v97
	v_cndmask_b32_e64 v22, 0, v22, s0
	v_cmp_gt_i32_e64 s0, s27, v96
	;; [unrolled: 2-line block ×3, first 2 shown]
	v_cndmask_b32_e64 v24, 0, v24, s0
	s_or_b32 exec_lo, exec_lo, s1
	global_load_dwordx4 v[25:28], v[33:34], off offset:512
	s_and_saveexec_b32 s1, vcc_lo
	s_cbranch_execz .LBB32_50
.LBB32_65:                              ;   in Loop: Header=BB32_42 Depth=1
	v_cmp_gt_i32_e64 s0, s27, v94
	s_waitcnt vmcnt(0)
	v_cndmask_b32_e64 v25, 0, v25, s0
	v_cmp_gt_i32_e64 s0, s27, v97
	v_cndmask_b32_e64 v26, 0, v26, s0
	v_cmp_gt_i32_e64 s0, s27, v96
	v_cndmask_b32_e64 v27, 0, v27, s0
	v_cmp_gt_i32_e64 s0, s27, v95
	v_cndmask_b32_e64 v28, 0, v28, s0
	s_or_b32 exec_lo, exec_lo, s1
	global_load_dwordx4 v[29:32], v[33:34], off offset:1024
	s_and_saveexec_b32 s1, vcc_lo
	s_cbranch_execz .LBB32_51
.LBB32_66:                              ;   in Loop: Header=BB32_42 Depth=1
	v_cmp_gt_i32_e64 s0, s27, v94
	s_waitcnt vmcnt(0)
	v_cndmask_b32_e64 v29, 0, v29, s0
	v_cmp_gt_i32_e64 s0, s27, v97
	v_cndmask_b32_e64 v30, 0, v30, s0
	v_cmp_gt_i32_e64 s0, s27, v96
	;; [unrolled: 2-line block ×3, first 2 shown]
	v_cndmask_b32_e64 v32, 0, v32, s0
	s_or_b32 exec_lo, exec_lo, s1
	global_load_dwordx4 v[33:36], v[33:34], off offset:1536
	s_and_saveexec_b32 s1, vcc_lo
	s_cbranch_execnz .LBB32_52
	s_branch .LBB32_53
.LBB32_67:                              ;   in Loop: Header=BB32_42 Depth=1
	v_cmp_gt_i32_e64 s0, s27, v94
	s_waitcnt vmcnt(0)
	v_cndmask_b32_e64 v37, 0, v37, s0
	v_cmp_gt_i32_e64 s0, s27, v97
	v_cndmask_b32_e64 v38, 0, v38, s0
	v_cmp_gt_i32_e64 s0, s27, v96
	;; [unrolled: 2-line block ×3, first 2 shown]
	v_cndmask_b32_e64 v40, 0, v40, s0
	s_or_b32 exec_lo, exec_lo, s1
	global_load_dwordx4 v[41:44], v[51:52], off offset:512
	s_and_saveexec_b32 s1, vcc_lo
	s_cbranch_execz .LBB32_55
.LBB32_68:                              ;   in Loop: Header=BB32_42 Depth=1
	v_cmp_gt_i32_e64 s0, s27, v94
	s_waitcnt vmcnt(0)
	v_cndmask_b32_e64 v41, 0, v41, s0
	v_cmp_gt_i32_e64 s0, s27, v97
	v_cndmask_b32_e64 v42, 0, v42, s0
	v_cmp_gt_i32_e64 s0, s27, v96
	;; [unrolled: 2-line block ×3, first 2 shown]
	v_cndmask_b32_e64 v44, 0, v44, s0
	s_or_b32 exec_lo, exec_lo, s1
	global_load_dwordx4 v[45:48], v[51:52], off offset:1024
	s_and_saveexec_b32 s1, vcc_lo
	s_cbranch_execz .LBB32_56
.LBB32_69:                              ;   in Loop: Header=BB32_42 Depth=1
	v_cmp_gt_i32_e64 s0, s27, v94
	s_waitcnt vmcnt(0)
	v_cndmask_b32_e64 v45, 0, v45, s0
	v_cmp_gt_i32_e64 s0, s27, v97
	v_cndmask_b32_e64 v46, 0, v46, s0
	v_cmp_gt_i32_e64 s0, s27, v96
	;; [unrolled: 2-line block ×3, first 2 shown]
	v_cndmask_b32_e64 v48, 0, v48, s0
	s_or_b32 exec_lo, exec_lo, s1
	global_load_dwordx4 v[53:56], v[51:52], off offset:1536
	s_and_saveexec_b32 s1, vcc_lo
	s_cbranch_execnz .LBB32_57
	s_branch .LBB32_58
.LBB32_70:                              ;   in Loop: Header=BB32_42 Depth=1
	v_cmp_gt_i32_e64 s0, s27, v94
	s_waitcnt vmcnt(0)
	v_cndmask_b32_e64 v57, 0, v57, s0
	v_cmp_gt_i32_e64 s0, s27, v97
	v_cndmask_b32_e64 v58, 0, v58, s0
	v_cmp_gt_i32_e64 s0, s27, v96
	;; [unrolled: 2-line block ×3, first 2 shown]
	v_cndmask_b32_e64 v60, 0, v60, s0
	s_or_b32 exec_lo, exec_lo, s1
	global_load_dwordx4 v[61:64], v[49:50], off offset:512
	s_and_saveexec_b32 s1, vcc_lo
	s_cbranch_execz .LBB32_60
.LBB32_71:                              ;   in Loop: Header=BB32_42 Depth=1
	v_cmp_gt_i32_e64 s0, s27, v94
	s_waitcnt vmcnt(0)
	v_cndmask_b32_e64 v61, 0, v61, s0
	v_cmp_gt_i32_e64 s0, s27, v97
	v_cndmask_b32_e64 v62, 0, v62, s0
	v_cmp_gt_i32_e64 s0, s27, v96
	;; [unrolled: 2-line block ×3, first 2 shown]
	v_cndmask_b32_e64 v64, 0, v64, s0
	s_or_b32 exec_lo, exec_lo, s1
	global_load_dwordx4 v[49:52], v[49:50], off offset:1024
	s_and_saveexec_b32 s15, vcc_lo
	s_cbranch_execz .LBB32_40
.LBB32_72:                              ;   in Loop: Header=BB32_42 Depth=1
	v_cmp_gt_i32_e32 vcc_lo, s27, v94
	v_cmp_gt_i32_e64 s0, s27, v97
	v_cmp_gt_i32_e64 s1, s27, v96
	;; [unrolled: 1-line block ×3, first 2 shown]
	s_waitcnt vmcnt(0)
	v_cndmask_b32_e32 v49, 0, v49, vcc_lo
	v_cndmask_b32_e64 v50, 0, v50, s0
	v_cndmask_b32_e64 v51, 0, v51, s1
	;; [unrolled: 1-line block ×3, first 2 shown]
	s_branch .LBB32_40
.LBB32_73:
	s_or_b32 exec_lo, exec_lo, s9
.LBB32_74:
	s_or_b32 exec_lo, exec_lo, s3
	ds_bpermute_b32 v2, v71, v87
	ds_bpermute_b32 v1, v71, v88
	ds_bpermute_b32 v3, v71, v86
	ds_bpermute_b32 v4, v71, v85
	ds_bpermute_b32 v5, v71, v84
	ds_bpermute_b32 v6, v71, v83
	ds_bpermute_b32 v7, v71, v82
	ds_bpermute_b32 v8, v71, v81
	ds_bpermute_b32 v9, v71, v80
	ds_bpermute_b32 v10, v71, v79
	ds_bpermute_b32 v11, v71, v78
	ds_bpermute_b32 v12, v71, v77
	ds_bpermute_b32 v13, v71, v76
	ds_bpermute_b32 v14, v71, v75
	ds_bpermute_b32 v15, v71, v74
	s_mov_b32 s0, exec_lo
	s_waitcnt lgkmcnt(0)
	s_waitcnt_vscnt null, 0x0
	s_barrier
	buffer_gl0_inv
	v_add_f32_e32 v2, v87, v2
	v_add_f32_e32 v1, v88, v1
	v_add_f32_e32 v3, v86, v3
	v_add_f32_e32 v4, v85, v4
	v_add_f32_e32 v5, v84, v5
	v_add_f32_e32 v6, v83, v6
	v_add_f32_e32 v7, v82, v7
	ds_bpermute_b32 v17, v72, v2
	v_add_f32_e32 v8, v81, v8
	v_add_f32_e32 v9, v80, v9
	;; [unrolled: 1-line block ×8, first 2 shown]
	ds_bpermute_b32 v16, v72, v1
	ds_bpermute_b32 v18, v72, v3
	;; [unrolled: 1-line block ×14, first 2 shown]
	s_waitcnt lgkmcnt(14)
	v_add_f32_e32 v2, v2, v17
	v_and_b32_e32 v17, 28, v70
	s_waitcnt lgkmcnt(13)
	v_add_f32_e32 v1, v1, v16
	s_waitcnt lgkmcnt(12)
	v_add_f32_e32 v3, v3, v18
	;; [unrolled: 2-line block ×13, first 2 shown]
	v_and_b32_e32 v19, 0x3c3, v0
	s_waitcnt lgkmcnt(0)
	v_add_f32_e32 v15, v15, v30
	v_lshrrev_b32_e32 v16, 2, v70
	v_add_nc_u32_e32 v17, 0x200, v17
	v_mul_u32_u24_e32 v18, 0x1e0, v68
	v_cmpx_eq_u32_e32 64, v19
	s_cbranch_execz .LBB32_76
; %bb.75:
	v_add_nc_u32_e32 v19, v17, v18
	v_add_nc_u32_e32 v20, 0xfffffc40, v19
	;; [unrolled: 1-line block ×6, first 2 shown]
	ds_write_b32 v20, v1
	ds_write_b32 v21, v2
	;; [unrolled: 1-line block ×5, first 2 shown]
	v_add_nc_u32_e32 v20, 0xfffffce0, v19
	v_add_nc_u32_e32 v21, 0xfffffd00, v19
	;; [unrolled: 1-line block ×5, first 2 shown]
	ds_write_b32 v20, v6
	ds_write_b32 v21, v7
	;; [unrolled: 1-line block ×5, first 2 shown]
	v_add_nc_u32_e32 v20, 0xfffffd80, v19
	v_add_nc_u32_e32 v21, 0xfffffda0, v19
	v_add_nc_u32_e32 v22, 0xfffffdc0, v19
	v_add_nc_u32_e32 v23, 0xfffffde0, v19
	v_add_nc_u32_e32 v19, 0xfffffe00, v19
	ds_write_b32 v20, v11
	ds_write_b32 v21, v12
	;; [unrolled: 1-line block ×5, first 2 shown]
.LBB32_76:
	s_or_b32 exec_lo, exec_lo, s0
	v_lshlrev_b32_e32 v16, 2, v16
	s_mov_b32 s1, exec_lo
	v_cmp_eq_u32_e32 vcc_lo, 0, v73
	s_waitcnt lgkmcnt(0)
	s_barrier
	v_add3_u32 v16, 0x200, v18, v16
	buffer_gl0_inv
	v_cmpx_gt_u32_e32 64, v0
	s_cbranch_execz .LBB32_94
; %bb.77:
	s_and_saveexec_b32 s0, vcc_lo
	s_cbranch_execnz .LBB32_117
; %bb.78:
	s_or_b32 exec_lo, exec_lo, s0
	s_and_saveexec_b32 s0, vcc_lo
	s_cbranch_execnz .LBB32_118
.LBB32_79:
	s_or_b32 exec_lo, exec_lo, s0
	s_and_saveexec_b32 s0, vcc_lo
	s_cbranch_execnz .LBB32_119
.LBB32_80:
	s_or_b32 exec_lo, exec_lo, s0
	s_and_saveexec_b32 s0, vcc_lo
	s_cbranch_execnz .LBB32_120
.LBB32_81:
	s_or_b32 exec_lo, exec_lo, s0
	s_and_saveexec_b32 s0, vcc_lo
	s_cbranch_execnz .LBB32_121
.LBB32_82:
	s_or_b32 exec_lo, exec_lo, s0
	s_and_saveexec_b32 s0, vcc_lo
	s_cbranch_execnz .LBB32_122
.LBB32_83:
	s_or_b32 exec_lo, exec_lo, s0
	s_and_saveexec_b32 s0, vcc_lo
	s_cbranch_execnz .LBB32_123
.LBB32_84:
	s_or_b32 exec_lo, exec_lo, s0
	s_and_saveexec_b32 s0, vcc_lo
	s_cbranch_execnz .LBB32_124
.LBB32_85:
	s_or_b32 exec_lo, exec_lo, s0
	s_and_saveexec_b32 s0, vcc_lo
	s_cbranch_execnz .LBB32_125
.LBB32_86:
	s_or_b32 exec_lo, exec_lo, s0
	s_and_saveexec_b32 s0, vcc_lo
	s_cbranch_execnz .LBB32_126
.LBB32_87:
	s_or_b32 exec_lo, exec_lo, s0
	s_and_saveexec_b32 s0, vcc_lo
	s_cbranch_execnz .LBB32_127
.LBB32_88:
	s_or_b32 exec_lo, exec_lo, s0
	s_and_saveexec_b32 s0, vcc_lo
	s_cbranch_execnz .LBB32_128
.LBB32_89:
	s_or_b32 exec_lo, exec_lo, s0
	s_and_saveexec_b32 s0, vcc_lo
	s_cbranch_execnz .LBB32_129
.LBB32_90:
	s_or_b32 exec_lo, exec_lo, s0
	s_and_saveexec_b32 s0, vcc_lo
	s_cbranch_execnz .LBB32_130
.LBB32_91:
	s_or_b32 exec_lo, exec_lo, s0
	s_and_saveexec_b32 s0, vcc_lo
	s_cbranch_execz .LBB32_93
.LBB32_92:
	ds_read_b32 v18, v16 offset:448
	s_waitcnt lgkmcnt(0)
	v_add_f32_e32 v15, v15, v18
.LBB32_93:
	s_or_b32 exec_lo, exec_lo, s0
.LBB32_94:
	s_or_b32 exec_lo, exec_lo, s1
	v_and_b32_e32 v18, 0x3e3, v0
	s_mov_b32 s1, exec_lo
	s_barrier
	buffer_gl0_inv
	v_cmpx_eq_u32_e32 32, v18
	s_cbranch_execz .LBB32_96
; %bb.95:
	ds_write2_b32 v17, v1, v2 offset1:8
	ds_write2_b32 v17, v3, v4 offset0:16 offset1:24
	ds_write2_b32 v17, v5, v6 offset0:32 offset1:40
	;; [unrolled: 1-line block ×6, first 2 shown]
	ds_write_b32 v17, v15 offset:448
.LBB32_96:
	s_or_b32 exec_lo, exec_lo, s1
	s_mov_b32 s1, exec_lo
	s_waitcnt lgkmcnt(0)
	s_barrier
	buffer_gl0_inv
	v_cmpx_gt_u32_e32 32, v0
	s_cbranch_execz .LBB32_114
; %bb.97:
	s_and_saveexec_b32 s0, vcc_lo
	s_cbranch_execnz .LBB32_131
; %bb.98:
	s_or_b32 exec_lo, exec_lo, s0
	s_and_saveexec_b32 s0, vcc_lo
	s_cbranch_execnz .LBB32_132
.LBB32_99:
	s_or_b32 exec_lo, exec_lo, s0
	s_and_saveexec_b32 s0, vcc_lo
	s_cbranch_execnz .LBB32_133
.LBB32_100:
	s_or_b32 exec_lo, exec_lo, s0
	s_and_saveexec_b32 s0, vcc_lo
	s_cbranch_execnz .LBB32_134
.LBB32_101:
	s_or_b32 exec_lo, exec_lo, s0
	s_and_saveexec_b32 s0, vcc_lo
	s_cbranch_execnz .LBB32_135
.LBB32_102:
	s_or_b32 exec_lo, exec_lo, s0
	s_and_saveexec_b32 s0, vcc_lo
	s_cbranch_execnz .LBB32_136
.LBB32_103:
	s_or_b32 exec_lo, exec_lo, s0
	s_and_saveexec_b32 s0, vcc_lo
	s_cbranch_execnz .LBB32_137
.LBB32_104:
	s_or_b32 exec_lo, exec_lo, s0
	s_and_saveexec_b32 s0, vcc_lo
	s_cbranch_execnz .LBB32_138
.LBB32_105:
	s_or_b32 exec_lo, exec_lo, s0
	s_and_saveexec_b32 s0, vcc_lo
	s_cbranch_execnz .LBB32_139
.LBB32_106:
	s_or_b32 exec_lo, exec_lo, s0
	s_and_saveexec_b32 s0, vcc_lo
	s_cbranch_execnz .LBB32_140
.LBB32_107:
	s_or_b32 exec_lo, exec_lo, s0
	s_and_saveexec_b32 s0, vcc_lo
	s_cbranch_execnz .LBB32_141
.LBB32_108:
	s_or_b32 exec_lo, exec_lo, s0
	s_and_saveexec_b32 s0, vcc_lo
	s_cbranch_execnz .LBB32_142
.LBB32_109:
	s_or_b32 exec_lo, exec_lo, s0
	s_and_saveexec_b32 s0, vcc_lo
	s_cbranch_execnz .LBB32_143
.LBB32_110:
	s_or_b32 exec_lo, exec_lo, s0
	s_and_saveexec_b32 s0, vcc_lo
	s_cbranch_execnz .LBB32_144
.LBB32_111:
	s_or_b32 exec_lo, exec_lo, s0
	s_and_saveexec_b32 s0, vcc_lo
	s_cbranch_execz .LBB32_113
.LBB32_112:
	ds_read_b32 v16, v16 offset:448
	s_waitcnt lgkmcnt(0)
	v_add_f32_e32 v15, v15, v16
.LBB32_113:
	s_or_b32 exec_lo, exec_lo, s0
.LBB32_114:
	s_or_b32 exec_lo, exec_lo, s1
	s_barrier
	buffer_gl0_inv
	s_mov_b32 s0, exec_lo
	v_cmpx_eq_u32_e32 0, v18
	s_cbranch_execz .LBB32_116
; %bb.115:
	s_mul_i32 s0, s4, 0x78
	s_mul_i32 s2, s7, s10
	s_ashr_i32 s1, s0, 31
	s_lshl_b64 s[0:1], s[0:1], 2
	s_add_u32 s4, s24, s0
	s_addc_u32 s5, s25, s1
	s_ashr_i32 s3, s2, 31
	s_lshl_b64 s[0:1], s[2:3], 2
	s_mul_i32 s2, s8, 0x78
	s_add_u32 s4, s4, s0
	s_addc_u32 s5, s5, s1
	s_ashr_i32 s3, s2, 31
	s_lshl_b64 s[0:1], s[2:3], 2
	s_add_u32 s0, s4, s0
	s_addc_u32 s1, s5, s1
	global_store_dword v0, v1, s[0:1]
	global_store_dword v0, v2, s[0:1] offset:32
	global_store_dword v0, v3, s[0:1] offset:64
	;; [unrolled: 1-line block ×14, first 2 shown]
.LBB32_116:
	s_endpgm
.LBB32_117:
	ds_read_b32 v18, v16
	s_waitcnt lgkmcnt(0)
	v_add_f32_e32 v1, v1, v18
	s_or_b32 exec_lo, exec_lo, s0
	s_and_saveexec_b32 s0, vcc_lo
	s_cbranch_execz .LBB32_79
.LBB32_118:
	ds_read_b32 v18, v16 offset:32
	s_waitcnt lgkmcnt(0)
	v_add_f32_e32 v2, v2, v18
	s_or_b32 exec_lo, exec_lo, s0
	s_and_saveexec_b32 s0, vcc_lo
	s_cbranch_execz .LBB32_80
.LBB32_119:
	ds_read_b32 v18, v16 offset:64
	s_waitcnt lgkmcnt(0)
	v_add_f32_e32 v3, v3, v18
	s_or_b32 exec_lo, exec_lo, s0
	s_and_saveexec_b32 s0, vcc_lo
	s_cbranch_execz .LBB32_81
.LBB32_120:
	ds_read_b32 v18, v16 offset:96
	s_waitcnt lgkmcnt(0)
	v_add_f32_e32 v4, v4, v18
	s_or_b32 exec_lo, exec_lo, s0
	s_and_saveexec_b32 s0, vcc_lo
	s_cbranch_execz .LBB32_82
.LBB32_121:
	ds_read_b32 v18, v16 offset:128
	s_waitcnt lgkmcnt(0)
	v_add_f32_e32 v5, v5, v18
	s_or_b32 exec_lo, exec_lo, s0
	s_and_saveexec_b32 s0, vcc_lo
	s_cbranch_execz .LBB32_83
.LBB32_122:
	ds_read_b32 v18, v16 offset:160
	s_waitcnt lgkmcnt(0)
	v_add_f32_e32 v6, v6, v18
	s_or_b32 exec_lo, exec_lo, s0
	s_and_saveexec_b32 s0, vcc_lo
	s_cbranch_execz .LBB32_84
.LBB32_123:
	ds_read_b32 v18, v16 offset:192
	s_waitcnt lgkmcnt(0)
	v_add_f32_e32 v7, v7, v18
	s_or_b32 exec_lo, exec_lo, s0
	s_and_saveexec_b32 s0, vcc_lo
	s_cbranch_execz .LBB32_85
.LBB32_124:
	ds_read_b32 v18, v16 offset:224
	s_waitcnt lgkmcnt(0)
	v_add_f32_e32 v8, v8, v18
	s_or_b32 exec_lo, exec_lo, s0
	s_and_saveexec_b32 s0, vcc_lo
	s_cbranch_execz .LBB32_86
.LBB32_125:
	ds_read_b32 v18, v16 offset:256
	s_waitcnt lgkmcnt(0)
	v_add_f32_e32 v9, v9, v18
	s_or_b32 exec_lo, exec_lo, s0
	s_and_saveexec_b32 s0, vcc_lo
	s_cbranch_execz .LBB32_87
.LBB32_126:
	ds_read_b32 v18, v16 offset:288
	s_waitcnt lgkmcnt(0)
	v_add_f32_e32 v10, v10, v18
	s_or_b32 exec_lo, exec_lo, s0
	s_and_saveexec_b32 s0, vcc_lo
	s_cbranch_execz .LBB32_88
.LBB32_127:
	ds_read_b32 v18, v16 offset:320
	s_waitcnt lgkmcnt(0)
	v_add_f32_e32 v11, v11, v18
	s_or_b32 exec_lo, exec_lo, s0
	s_and_saveexec_b32 s0, vcc_lo
	s_cbranch_execz .LBB32_89
.LBB32_128:
	ds_read_b32 v18, v16 offset:352
	s_waitcnt lgkmcnt(0)
	v_add_f32_e32 v12, v12, v18
	s_or_b32 exec_lo, exec_lo, s0
	s_and_saveexec_b32 s0, vcc_lo
	s_cbranch_execz .LBB32_90
.LBB32_129:
	ds_read_b32 v18, v16 offset:384
	s_waitcnt lgkmcnt(0)
	v_add_f32_e32 v13, v13, v18
	s_or_b32 exec_lo, exec_lo, s0
	s_and_saveexec_b32 s0, vcc_lo
	s_cbranch_execz .LBB32_91
.LBB32_130:
	ds_read_b32 v18, v16 offset:416
	s_waitcnt lgkmcnt(0)
	v_add_f32_e32 v14, v14, v18
	s_or_b32 exec_lo, exec_lo, s0
	s_and_saveexec_b32 s0, vcc_lo
	s_cbranch_execnz .LBB32_92
	s_branch .LBB32_93
.LBB32_131:
	ds_read_b32 v17, v16
	s_waitcnt lgkmcnt(0)
	v_add_f32_e32 v1, v1, v17
	s_or_b32 exec_lo, exec_lo, s0
	s_and_saveexec_b32 s0, vcc_lo
	s_cbranch_execz .LBB32_99
.LBB32_132:
	ds_read_b32 v17, v16 offset:32
	s_waitcnt lgkmcnt(0)
	v_add_f32_e32 v2, v2, v17
	s_or_b32 exec_lo, exec_lo, s0
	s_and_saveexec_b32 s0, vcc_lo
	s_cbranch_execz .LBB32_100
.LBB32_133:
	ds_read_b32 v17, v16 offset:64
	s_waitcnt lgkmcnt(0)
	v_add_f32_e32 v3, v3, v17
	s_or_b32 exec_lo, exec_lo, s0
	s_and_saveexec_b32 s0, vcc_lo
	s_cbranch_execz .LBB32_101
.LBB32_134:
	ds_read_b32 v17, v16 offset:96
	s_waitcnt lgkmcnt(0)
	v_add_f32_e32 v4, v4, v17
	s_or_b32 exec_lo, exec_lo, s0
	s_and_saveexec_b32 s0, vcc_lo
	s_cbranch_execz .LBB32_102
.LBB32_135:
	ds_read_b32 v17, v16 offset:128
	s_waitcnt lgkmcnt(0)
	v_add_f32_e32 v5, v5, v17
	s_or_b32 exec_lo, exec_lo, s0
	s_and_saveexec_b32 s0, vcc_lo
	s_cbranch_execz .LBB32_103
.LBB32_136:
	ds_read_b32 v17, v16 offset:160
	s_waitcnt lgkmcnt(0)
	v_add_f32_e32 v6, v6, v17
	s_or_b32 exec_lo, exec_lo, s0
	s_and_saveexec_b32 s0, vcc_lo
	s_cbranch_execz .LBB32_104
.LBB32_137:
	ds_read_b32 v17, v16 offset:192
	s_waitcnt lgkmcnt(0)
	v_add_f32_e32 v7, v7, v17
	s_or_b32 exec_lo, exec_lo, s0
	s_and_saveexec_b32 s0, vcc_lo
	s_cbranch_execz .LBB32_105
.LBB32_138:
	ds_read_b32 v17, v16 offset:224
	s_waitcnt lgkmcnt(0)
	v_add_f32_e32 v8, v8, v17
	s_or_b32 exec_lo, exec_lo, s0
	s_and_saveexec_b32 s0, vcc_lo
	s_cbranch_execz .LBB32_106
.LBB32_139:
	ds_read_b32 v17, v16 offset:256
	s_waitcnt lgkmcnt(0)
	v_add_f32_e32 v9, v9, v17
	s_or_b32 exec_lo, exec_lo, s0
	s_and_saveexec_b32 s0, vcc_lo
	s_cbranch_execz .LBB32_107
.LBB32_140:
	ds_read_b32 v17, v16 offset:288
	s_waitcnt lgkmcnt(0)
	v_add_f32_e32 v10, v10, v17
	s_or_b32 exec_lo, exec_lo, s0
	s_and_saveexec_b32 s0, vcc_lo
	s_cbranch_execz .LBB32_108
.LBB32_141:
	ds_read_b32 v17, v16 offset:320
	s_waitcnt lgkmcnt(0)
	v_add_f32_e32 v11, v11, v17
	s_or_b32 exec_lo, exec_lo, s0
	s_and_saveexec_b32 s0, vcc_lo
	s_cbranch_execz .LBB32_109
.LBB32_142:
	ds_read_b32 v17, v16 offset:352
	s_waitcnt lgkmcnt(0)
	v_add_f32_e32 v12, v12, v17
	s_or_b32 exec_lo, exec_lo, s0
	s_and_saveexec_b32 s0, vcc_lo
	s_cbranch_execz .LBB32_110
.LBB32_143:
	ds_read_b32 v17, v16 offset:384
	s_waitcnt lgkmcnt(0)
	v_add_f32_e32 v13, v13, v17
	s_or_b32 exec_lo, exec_lo, s0
	s_and_saveexec_b32 s0, vcc_lo
	s_cbranch_execz .LBB32_111
.LBB32_144:
	ds_read_b32 v17, v16 offset:416
	s_waitcnt lgkmcnt(0)
	v_add_f32_e32 v14, v14, v17
	s_or_b32 exec_lo, exec_lo, s0
	s_and_saveexec_b32 s0, vcc_lo
	s_cbranch_execnz .LBB32_112
	s_branch .LBB32_113
	.section	.rodata,"a",@progbits
	.p2align	6, 0x0
	.amdhsa_kernel _ZN4vllm25paged_attention_v2_kernelIffLi120ELi16ELi128ELNS_18Fp8KVCacheDataTypeE0ELb1ELi512EEEvPfS2_PT_PKS3_PKT0_S9_ifPKiSB_iPKfiiiSD_SD_iiiii
		.amdhsa_group_segment_fixed_size 512
		.amdhsa_private_segment_fixed_size 0
		.amdhsa_kernarg_size 400
		.amdhsa_user_sgpr_count 6
		.amdhsa_user_sgpr_private_segment_buffer 1
		.amdhsa_user_sgpr_dispatch_ptr 0
		.amdhsa_user_sgpr_queue_ptr 0
		.amdhsa_user_sgpr_kernarg_segment_ptr 1
		.amdhsa_user_sgpr_dispatch_id 0
		.amdhsa_user_sgpr_flat_scratch_init 0
		.amdhsa_user_sgpr_private_segment_size 0
		.amdhsa_wavefront_size32 1
		.amdhsa_uses_dynamic_stack 0
		.amdhsa_system_sgpr_private_segment_wavefront_offset 0
		.amdhsa_system_sgpr_workgroup_id_x 1
		.amdhsa_system_sgpr_workgroup_id_y 1
		.amdhsa_system_sgpr_workgroup_id_z 1
		.amdhsa_system_sgpr_workgroup_info 0
		.amdhsa_system_vgpr_workitem_id 0
		.amdhsa_next_free_vgpr 98
		.amdhsa_next_free_sgpr 46
		.amdhsa_reserve_vcc 1
		.amdhsa_reserve_flat_scratch 0
		.amdhsa_float_round_mode_32 0
		.amdhsa_float_round_mode_16_64 0
		.amdhsa_float_denorm_mode_32 3
		.amdhsa_float_denorm_mode_16_64 3
		.amdhsa_dx10_clamp 1
		.amdhsa_ieee_mode 1
		.amdhsa_fp16_overflow 0
		.amdhsa_workgroup_processor_mode 1
		.amdhsa_memory_ordered 1
		.amdhsa_forward_progress 1
		.amdhsa_shared_vgpr_count 0
		.amdhsa_exception_fp_ieee_invalid_op 0
		.amdhsa_exception_fp_denorm_src 0
		.amdhsa_exception_fp_ieee_div_zero 0
		.amdhsa_exception_fp_ieee_overflow 0
		.amdhsa_exception_fp_ieee_underflow 0
		.amdhsa_exception_fp_ieee_inexact 0
		.amdhsa_exception_int_div_zero 0
	.end_amdhsa_kernel
	.section	.text._ZN4vllm25paged_attention_v2_kernelIffLi120ELi16ELi128ELNS_18Fp8KVCacheDataTypeE0ELb1ELi512EEEvPfS2_PT_PKS3_PKT0_S9_ifPKiSB_iPKfiiiSD_SD_iiiii,"axG",@progbits,_ZN4vllm25paged_attention_v2_kernelIffLi120ELi16ELi128ELNS_18Fp8KVCacheDataTypeE0ELb1ELi512EEEvPfS2_PT_PKS3_PKT0_S9_ifPKiSB_iPKfiiiSD_SD_iiiii,comdat
.Lfunc_end32:
	.size	_ZN4vllm25paged_attention_v2_kernelIffLi120ELi16ELi128ELNS_18Fp8KVCacheDataTypeE0ELb1ELi512EEEvPfS2_PT_PKS3_PKT0_S9_ifPKiSB_iPKfiiiSD_SD_iiiii, .Lfunc_end32-_ZN4vllm25paged_attention_v2_kernelIffLi120ELi16ELi128ELNS_18Fp8KVCacheDataTypeE0ELb1ELi512EEEvPfS2_PT_PKS3_PKT0_S9_ifPKiSB_iPKfiiiSD_SD_iiiii
                                        ; -- End function
	.set _ZN4vllm25paged_attention_v2_kernelIffLi120ELi16ELi128ELNS_18Fp8KVCacheDataTypeE0ELb1ELi512EEEvPfS2_PT_PKS3_PKT0_S9_ifPKiSB_iPKfiiiSD_SD_iiiii.num_vgpr, 98
	.set _ZN4vllm25paged_attention_v2_kernelIffLi120ELi16ELi128ELNS_18Fp8KVCacheDataTypeE0ELb1ELi512EEEvPfS2_PT_PKS3_PKT0_S9_ifPKiSB_iPKfiiiSD_SD_iiiii.num_agpr, 0
	.set _ZN4vllm25paged_attention_v2_kernelIffLi120ELi16ELi128ELNS_18Fp8KVCacheDataTypeE0ELb1ELi512EEEvPfS2_PT_PKS3_PKT0_S9_ifPKiSB_iPKfiiiSD_SD_iiiii.numbered_sgpr, 46
	.set _ZN4vllm25paged_attention_v2_kernelIffLi120ELi16ELi128ELNS_18Fp8KVCacheDataTypeE0ELb1ELi512EEEvPfS2_PT_PKS3_PKT0_S9_ifPKiSB_iPKfiiiSD_SD_iiiii.num_named_barrier, 0
	.set _ZN4vllm25paged_attention_v2_kernelIffLi120ELi16ELi128ELNS_18Fp8KVCacheDataTypeE0ELb1ELi512EEEvPfS2_PT_PKS3_PKT0_S9_ifPKiSB_iPKfiiiSD_SD_iiiii.private_seg_size, 0
	.set _ZN4vllm25paged_attention_v2_kernelIffLi120ELi16ELi128ELNS_18Fp8KVCacheDataTypeE0ELb1ELi512EEEvPfS2_PT_PKS3_PKT0_S9_ifPKiSB_iPKfiiiSD_SD_iiiii.uses_vcc, 1
	.set _ZN4vllm25paged_attention_v2_kernelIffLi120ELi16ELi128ELNS_18Fp8KVCacheDataTypeE0ELb1ELi512EEEvPfS2_PT_PKS3_PKT0_S9_ifPKiSB_iPKfiiiSD_SD_iiiii.uses_flat_scratch, 0
	.set _ZN4vllm25paged_attention_v2_kernelIffLi120ELi16ELi128ELNS_18Fp8KVCacheDataTypeE0ELb1ELi512EEEvPfS2_PT_PKS3_PKT0_S9_ifPKiSB_iPKfiiiSD_SD_iiiii.has_dyn_sized_stack, 0
	.set _ZN4vllm25paged_attention_v2_kernelIffLi120ELi16ELi128ELNS_18Fp8KVCacheDataTypeE0ELb1ELi512EEEvPfS2_PT_PKS3_PKT0_S9_ifPKiSB_iPKfiiiSD_SD_iiiii.has_recursion, 0
	.set _ZN4vllm25paged_attention_v2_kernelIffLi120ELi16ELi128ELNS_18Fp8KVCacheDataTypeE0ELb1ELi512EEEvPfS2_PT_PKS3_PKT0_S9_ifPKiSB_iPKfiiiSD_SD_iiiii.has_indirect_call, 0
	.section	.AMDGPU.csdata,"",@progbits
; Kernel info:
; codeLenInByte = 8208
; TotalNumSgprs: 48
; NumVgprs: 98
; ScratchSize: 0
; MemoryBound: 0
; FloatMode: 240
; IeeeMode: 1
; LDSByteSize: 512 bytes/workgroup (compile time only)
; SGPRBlocks: 0
; VGPRBlocks: 12
; NumSGPRsForWavesPerEU: 48
; NumVGPRsForWavesPerEU: 98
; Occupancy: 9
; WaveLimiterHint : 1
; COMPUTE_PGM_RSRC2:SCRATCH_EN: 0
; COMPUTE_PGM_RSRC2:USER_SGPR: 6
; COMPUTE_PGM_RSRC2:TRAP_HANDLER: 0
; COMPUTE_PGM_RSRC2:TGID_X_EN: 1
; COMPUTE_PGM_RSRC2:TGID_Y_EN: 1
; COMPUTE_PGM_RSRC2:TGID_Z_EN: 1
; COMPUTE_PGM_RSRC2:TIDIG_COMP_CNT: 0
	.section	.text._ZN4vllm25paged_attention_v2_kernelIffLi128ELi16ELi128ELNS_18Fp8KVCacheDataTypeE0ELb1ELi512EEEvPfS2_PT_PKS3_PKT0_S9_ifPKiSB_iPKfiiiSD_SD_iiiii,"axG",@progbits,_ZN4vllm25paged_attention_v2_kernelIffLi128ELi16ELi128ELNS_18Fp8KVCacheDataTypeE0ELb1ELi512EEEvPfS2_PT_PKS3_PKT0_S9_ifPKiSB_iPKfiiiSD_SD_iiiii,comdat
	.protected	_ZN4vllm25paged_attention_v2_kernelIffLi128ELi16ELi128ELNS_18Fp8KVCacheDataTypeE0ELb1ELi512EEEvPfS2_PT_PKS3_PKT0_S9_ifPKiSB_iPKfiiiSD_SD_iiiii ; -- Begin function _ZN4vllm25paged_attention_v2_kernelIffLi128ELi16ELi128ELNS_18Fp8KVCacheDataTypeE0ELb1ELi512EEEvPfS2_PT_PKS3_PKT0_S9_ifPKiSB_iPKfiiiSD_SD_iiiii
	.globl	_ZN4vllm25paged_attention_v2_kernelIffLi128ELi16ELi128ELNS_18Fp8KVCacheDataTypeE0ELb1ELi512EEEvPfS2_PT_PKS3_PKT0_S9_ifPKiSB_iPKfiiiSD_SD_iiiii
	.p2align	8
	.type	_ZN4vllm25paged_attention_v2_kernelIffLi128ELi16ELi128ELNS_18Fp8KVCacheDataTypeE0ELb1ELi512EEEvPfS2_PT_PKS3_PKT0_S9_ifPKiSB_iPKfiiiSD_SD_iiiii,@function
_ZN4vllm25paged_attention_v2_kernelIffLi128ELi16ELi128ELNS_18Fp8KVCacheDataTypeE0ELb1ELi512EEEvPfS2_PT_PKS3_PKT0_S9_ifPKiSB_iPKfiiiSD_SD_iiiii: ; @_ZN4vllm25paged_attention_v2_kernelIffLi128ELi16ELi128ELNS_18Fp8KVCacheDataTypeE0ELb1ELi512EEEvPfS2_PT_PKS3_PKT0_S9_ifPKiSB_iPKfiiiSD_SD_iiiii
; %bb.0:
	s_load_dwordx2 s[0:1], s[4:5], 0x40
	s_mov_b32 s26, s7
	s_ashr_i32 s27, s7, 31
	s_lshl_b64 s[2:3], s[26:27], 2
	s_waitcnt lgkmcnt(0)
	s_add_u32 s0, s0, s2
	s_addc_u32 s1, s1, s3
	s_lshl_b32 s40, s8, 9
	s_load_dword s27, s[0:1], 0x0
	s_waitcnt lgkmcnt(0)
	s_cmp_ge_i32 s40, s27
	s_cbranch_scc1 .LBB33_120
; %bb.1:
	s_clause 0x1
	s_load_dword s9, s[4:5], 0x90
	s_load_dwordx2 s[38:39], s[4:5], 0x30
	s_mov_b32 s42, 0
	s_waitcnt lgkmcnt(0)
	s_abs_i32 s3, s9
	s_abs_i32 s0, s38
	v_cvt_f32_u32_e32 v1, s0
	s_sub_i32 s2, 0, s0
	v_rcp_iflag_f32_e32 v1, v1
	v_mul_f32_e32 v1, 0x4f7ffffe, v1
	v_cvt_u32_f32_e32 v1, v1
	v_readfirstlane_b32 s1, v1
	s_mul_i32 s2, s2, s1
	s_mul_hi_u32 s2, s1, s2
	s_add_i32 s1, s1, s2
	s_xor_b32 s2, s9, s38
	s_mul_hi_u32 s1, s3, s1
	s_ashr_i32 s2, s2, 31
	s_mul_i32 s7, s1, s0
	s_sub_i32 s3, s3, s7
	s_add_i32 s7, s1, 1
	s_sub_i32 s10, s3, s0
	s_cmp_ge_u32 s3, s0
	s_cselect_b32 s1, s7, s1
	s_cselect_b32 s3, s10, s3
	s_add_i32 s7, s1, 1
	s_cmp_ge_u32 s3, s0
	s_cselect_b32 s0, s7, s1
	s_xor_b32 s0, s0, s2
	s_sub_i32 s10, s0, s2
	s_load_dwordx2 s[0:1], s[4:5], 0x50
	s_abs_i32 s2, s10
	v_cvt_f32_u32_e32 v1, s2
	s_sub_i32 s3, 0, s2
	v_rcp_iflag_f32_e32 v1, v1
	v_mul_f32_e32 v1, 0x4f7ffffe, v1
	v_cvt_u32_f32_e32 v1, v1
	v_readfirstlane_b32 s7, v1
	s_mul_i32 s3, s3, s7
	s_mul_hi_u32 s11, s7, s3
	s_abs_i32 s3, s6
	s_add_i32 s7, s7, s11
	s_waitcnt lgkmcnt(0)
	s_cmp_eq_u64 s[0:1], 0
	s_mul_hi_u32 s20, s3, s7
	s_cbranch_scc1 .LBB33_3
; %bb.2:
	s_ashr_i32 s7, s6, 31
	s_lshl_b64 s[12:13], s[6:7], 2
	s_add_u32 s0, s0, s12
	s_addc_u32 s1, s1, s13
	s_load_dword s42, s[0:1], 0x0
.LBB33_3:
	s_load_dwordx4 s[12:15], s[4:5], 0x58
	v_and_b32_e32 v1, 1, v0
	v_cmp_gt_u32_e64 s0, 64, v0
	v_lshlrev_b32_e32 v2, 3, v0
	v_lshlrev_b32_e32 v3, 2, v0
	s_ashr_i32 s1, s6, 31
	s_ashr_i32 s7, s10, 31
	s_lshl_b32 s10, s6, 7
	s_waitcnt lgkmcnt(0)
	s_and_saveexec_b32 s15, s0
	s_cbranch_execz .LBB33_5
; %bb.4:
	s_load_dwordx2 s[16:17], s[4:5], 0x18
	s_mul_i32 s18, s12, s26
	v_and_b32_e32 v6, 0xff8, v3
	s_ashr_i32 s19, s18, 31
	s_lshl_b64 s[18:19], s[18:19], 2
	v_lshl_add_u32 v6, v1, 8, v6
	s_waitcnt lgkmcnt(0)
	s_add_u32 s12, s16, s18
	s_addc_u32 s18, s17, s19
	s_ashr_i32 s11, s10, 31
	s_lshl_b64 s[16:17], s[10:11], 2
	s_add_u32 s16, s12, s16
	s_addc_u32 s17, s18, s17
	global_load_dwordx2 v[4:5], v2, s[16:17]
	s_waitcnt vmcnt(0)
	ds_write_b64 v6, v[4:5]
.LBB33_5:
	s_or_b32 exec_lo, exec_lo, s15
	s_load_dwordx4 s[16:19], s[4:5], 0x78
	s_mul_i32 s11, s20, s2
	s_xor_b32 s1, s1, s7
	s_sub_i32 s3, s3, s11
	s_add_i32 s7, s20, 1
	s_sub_i32 s11, s3, s2
	s_cmp_ge_u32 s3, s2
                                        ; implicit-def: $sgpr33
	s_cselect_b32 s7, s7, s20
	s_cselect_b32 s3, s11, s3
	s_add_i32 s11, s7, 1
	s_cmp_ge_u32 s3, s2
	s_mov_b32 s20, -1
	s_cselect_b32 s2, s11, s7
	s_load_dword s7, s[4:5], 0x88
	s_xor_b32 s2, s2, s1
	s_add_i32 s15, s27, -1
	s_sub_i32 s2, s2, s1
	s_abs_i32 s3, s15
	s_waitcnt lgkmcnt(0)
	s_abs_i32 s11, s19
	s_barrier
	v_cvt_f32_u32_e32 v4, s11
	s_sub_i32 s1, 0, s11
	buffer_gl0_inv
	v_rcp_iflag_f32_e32 v4, v4
	v_mul_f32_e32 v4, 0x4f7ffffe, v4
	v_cvt_u32_f32_e32 v4, v4
	v_readfirstlane_b32 s12, v4
	s_mul_i32 s1, s1, s12
	s_mul_hi_u32 s1, s12, s1
	s_add_i32 s12, s12, s1
	s_cmp_lt_i32 s7, 0
	s_mul_hi_u32 s1, s3, s12
	s_cbranch_scc0 .LBB33_7
; %bb.6:
	s_mul_i32 s20, s16, s38
	s_add_i32 s20, s2, s20
	s_mul_i32 s20, s20, s7
	s_sub_i32 s33, 1, s20
	s_mov_b32 s20, 0
.LBB33_7:
	s_load_dwordx2 s[28:29], s[4:5], 0x38
	s_ashr_i32 s15, s15, 31
	s_andn2_b32 vcc_lo, exec_lo, s20
	s_ashr_i32 s19, s19, 31
	s_cbranch_vccnz .LBB33_9
; %bb.8:
	s_mul_i32 s16, s9, s16
	s_add_i32 s16, s16, s6
	s_mul_i32 s7, s16, s7
	s_add_i32 s33, s7, 1
.LBB33_9:
	s_clause 0x4
	s_load_dword s16, s[4:5], 0x48
	s_load_dwordx2 s[34:35], s[4:5], 0x28
	s_load_dword s7, s[4:5], 0x98
	s_load_dwordx4 s[20:23], s[4:5], 0x0
	s_load_dwordx2 s[24:25], s[4:5], 0x10
	s_xor_b32 s36, s15, s19
	s_mul_i32 s15, s1, s11
	s_add_i32 s37, s1, 1
	s_sub_i32 s3, s3, s15
	v_lshrrev_b32_e32 v72, 5, v0
	s_sub_i32 s15, s3, s11
	v_mov_b32_e32 v5, 0xff7fffff
	v_mbcnt_lo_u32_b32 v4, -1, 0
	v_lshl_add_u32 v73, v72, 4, s40
	s_waitcnt lgkmcnt(0)
	s_mul_i32 s30, s16, s26
	s_ashr_i32 s31, s30, 31
	s_cmp_ge_u32 s3, s11
	s_cselect_b32 s1, s37, s1
	s_cselect_b32 s3, s15, s3
	s_add_i32 s15, s1, 1
	s_cmp_ge_u32 s3, s11
	s_cselect_b32 s1, s15, s1
	s_add_i32 s3, s27, 15
	s_lshl_b32 s15, s8, 5
	s_ashr_i32 s16, s3, 31
	v_or_b32_e32 v69, s15, v72
	s_lshr_b32 s16, s16, 28
	s_add_i32 s3, s3, s16
	s_add_i32 s16, s15, 32
	s_ashr_i32 s38, s3, 4
	s_xor_b32 s3, s1, s36
	s_min_i32 s16, s16, s38
	v_ashrrev_i32_e32 v70, 31, v69
	v_cmp_gt_i32_e64 s1, s16, v69
	s_sub_i32 s41, s3, s36
	s_mul_i32 s36, s2, s14
	s_and_saveexec_b32 s14, s1
	s_cbranch_execz .LBB33_21
; %bb.10:
	s_load_dwordx2 s[2:3], s[4:5], 0x20
	s_ashr_i32 s37, s36, 31
	s_sub_i32 s5, s41, s17
	s_lshl_b64 s[44:45], s[36:37], 2
	v_bfe_u32 v6, v0, 1, 4
	v_cmp_eq_u32_e32 vcc_lo, 0, v1
	v_and_b32_e32 v13, 8, v2
	v_lshlrev_b32_e32 v7, 8, v1
	v_lshlrev_b64 v[1:2], 2, v[69:70]
	v_lshlrev_b32_e32 v11, 2, v6
	v_subrev_nc_u32_e32 v14, s27, v6
	v_lshlrev_b32_e32 v17, 4, v6
	v_lshl_add_u32 v8, v72, 4, s40
	v_mov_b32_e32 v9, 0xff7fffff
	v_lshl_or_b32 v15, v72, 6, v11
	v_add_nc_u32_e32 v11, 1, v14
	v_xor_b32_e32 v10, 1, v4
	s_waitcnt lgkmcnt(0)
	s_add_u32 s4, s2, s44
	s_addc_u32 s3, s3, s45
	s_abs_i32 s37, s18
	s_lshl_b64 s[44:45], s[30:31], 2
	v_cvt_f32_u32_e32 v5, s37
	s_sub_i32 s43, 0, s37
	v_cmp_neq_f32_e64 s2, s42, 0
	v_rcp_iflag_f32_e32 v5, v5
	v_mul_f32_e32 v12, 0x4f7ffffe, v5
	v_mov_b32_e32 v5, 0xff7fffff
	v_cvt_u32_f32_e32 v16, v12
	v_add_nc_u32_e32 v12, 0x220, v15
	v_add_co_u32 v15, s4, s4, v17
	v_add_co_ci_u32_e64 v17, null, s3, 0, s4
	v_mul_lo_u32 v14, s43, v16
	s_add_u32 s3, s28, s44
	s_addc_u32 s4, s29, s45
	v_add_co_u32 v1, s3, s3, v1
	v_add_co_ci_u32_e64 v2, null, s4, v2, s3
	v_add_co_u32 v13, s3, v15, v13
	v_mul_hi_u32 v18, v16, v14
	v_add_co_ci_u32_e64 v14, null, 0, v17, s3
	s_mov_b32 s43, 0
	s_mov_b32 s44, s13
	v_add_nc_u32_e32 v15, v16, v18
	v_mov_b32_e32 v16, v69
	s_branch .LBB33_13
.LBB33_11:                              ;   in Loop: Header=BB33_13 Depth=1
	s_or_b32 exec_lo, exec_lo, s45
.LBB33_12:                              ;   in Loop: Header=BB33_13 Depth=1
	s_or_b32 exec_lo, exec_lo, s4
	v_add_nc_u32_e32 v16, 4, v16
	v_add_co_u32 v1, s4, v1, 16
	v_add_co_ci_u32_e64 v2, null, 0, v2, s4
	v_cmp_le_i32_e64 s3, s16, v16
	v_add_nc_u32_e32 v8, 64, v8
	v_add_nc_u32_e32 v12, 0x100, v12
	s_or_b32 s43, s3, s43
	s_andn2_b32 exec_lo, exec_lo, s43
	s_cbranch_execz .LBB33_20
.LBB33_13:                              ; =>This Inner Loop Header: Depth=1
	v_sub_nc_u32_e32 v17, 0, v8
	v_max_i32_e32 v17, v8, v17
	s_waitcnt lgkmcnt(0)
	v_mul_hi_u32 v18, v17, s12
	v_mul_lo_u32 v19, v18, s11
	v_sub_nc_u32_e32 v17, v17, v19
	v_add_nc_u32_e32 v19, 1, v18
	v_subrev_nc_u32_e32 v20, s11, v17
	v_cmp_le_u32_e64 s3, s11, v17
	v_cndmask_b32_e64 v18, v18, v19, s3
	v_cndmask_b32_e64 v17, v17, v20, s3
	v_ashrrev_i32_e32 v19, 31, v8
	v_add_nc_u32_e32 v20, 1, v18
	v_cmp_le_u32_e64 s3, s11, v17
	v_xor_b32_e32 v19, s19, v19
	v_cndmask_b32_e64 v17, v18, v20, s3
	v_xor_b32_e32 v17, v17, v19
	v_sub_nc_u32_e32 v17, v17, v19
	v_add_nc_u32_e32 v18, s33, v17
	v_cmp_ge_i32_e64 s4, s5, v17
	v_sub_nc_u32_e32 v19, 0, v18
	v_max_i32_e32 v19, v18, v19
	v_ashrrev_i32_e32 v18, 31, v18
	v_mul_hi_u32 v20, v19, v15
	v_mul_lo_u32 v20, v20, s37
	v_sub_nc_u32_e32 v19, v19, v20
	v_subrev_nc_u32_e32 v20, s37, v19
	v_cmp_le_u32_e64 s3, s37, v19
	v_cndmask_b32_e64 v19, v19, v20, s3
	v_subrev_nc_u32_e32 v20, s37, v19
	v_cmp_le_u32_e64 s3, s37, v19
	v_cndmask_b32_e64 v19, v19, v20, s3
	v_xor_b32_e32 v19, v19, v18
	v_sub_nc_u32_e32 v18, v19, v18
	v_cmp_ne_u32_e64 s3, 0, v18
	s_and_b32 s3, s3, s4
	s_and_saveexec_b32 s4, s3
	s_xor_b32 s3, exec_lo, s4
	s_cbranch_execz .LBB33_17
; %bb.14:                               ;   in Loop: Header=BB33_13 Depth=1
	s_and_saveexec_b32 s4, vcc_lo
; %bb.15:                               ;   in Loop: Header=BB33_13 Depth=1
	ds_write_b32 v12, v9
; %bb.16:                               ;   in Loop: Header=BB33_13 Depth=1
	s_or_b32 exec_lo, exec_lo, s4
.LBB33_17:                              ;   in Loop: Header=BB33_13 Depth=1
	s_andn2_saveexec_b32 s4, s3
	s_cbranch_execz .LBB33_12
; %bb.18:                               ;   in Loop: Header=BB33_13 Depth=1
	global_load_dword v17, v[1:2], off
	s_waitcnt vmcnt(0)
	v_mad_i64_i32 v[17:18], null, v17, s44, 0
	v_lshlrev_b64 v[17:18], 2, v[17:18]
	v_add_co_u32 v17, s3, v13, v17
	v_add_co_ci_u32_e64 v18, null, v14, v18, s3
	s_clause 0x7
	global_load_dwordx2 v[29:30], v[17:18], off offset:256
	global_load_dwordx2 v[31:32], v[17:18], off offset:512
	;; [unrolled: 1-line block ×3, first 2 shown]
	global_load_dwordx2 v[35:36], v[17:18], off
	global_load_dwordx2 v[37:38], v[17:18], off offset:1024
	global_load_dwordx2 v[39:40], v[17:18], off offset:1280
	;; [unrolled: 1-line block ×4, first 2 shown]
	v_add_co_u32 v19, s3, v17, 0x1000
	v_add_co_ci_u32_e64 v20, null, 0, v18, s3
	v_add_co_u32 v21, s3, 0x800, v17
	v_add_co_ci_u32_e64 v22, null, 0, v18, s3
	s_clause 0x7
	global_load_dwordx2 v[45:46], v[19:20], off offset:-2048
	global_load_dwordx2 v[47:48], v[21:22], off offset:256
	global_load_dwordx2 v[49:50], v[21:22], off offset:512
	;; [unrolled: 1-line block ×7, first 2 shown]
	v_add_co_u32 v21, s3, 0x1000, v17
	v_add_co_ci_u32_e64 v22, null, 0, v18, s3
	s_clause 0x6
	global_load_dwordx2 v[61:62], v[19:20], off
	global_load_dwordx2 v[63:64], v[21:22], off offset:256
	global_load_dwordx2 v[65:66], v[21:22], off offset:512
	;; [unrolled: 1-line block ×6, first 2 shown]
	v_add_co_u32 v17, s3, 0x1800, v17
	v_add_co_ci_u32_e64 v18, null, 0, v18, s3
	s_clause 0x8
	global_load_dwordx2 v[80:81], v[21:22], off offset:1792
	global_load_dwordx2 v[82:83], v[17:18], off
	global_load_dwordx2 v[84:85], v[17:18], off offset:256
	global_load_dwordx2 v[86:87], v[17:18], off offset:512
	;; [unrolled: 1-line block ×7, first 2 shown]
	ds_read_b128 v[17:20], v7
	ds_read_b128 v[21:24], v7 offset:16
	ds_read_b128 v[25:28], v7 offset:32
	v_cmp_gt_i32_e64 s3, 32, v10
	s_waitcnt vmcnt(31) lgkmcnt(2)
	v_mul_f32_e32 v29, v19, v29
	v_mul_f32_e32 v30, v20, v30
	s_waitcnt vmcnt(28)
	v_fmac_f32_e32 v29, v17, v35
	v_fmac_f32_e32 v30, v18, v36
	ds_read_b128 v[17:20], v7 offset:48
	s_waitcnt lgkmcnt(2)
	v_fmac_f32_e32 v29, v21, v31
	v_fmac_f32_e32 v30, v22, v32
	;; [unrolled: 1-line block ×4, first 2 shown]
	ds_read_b128 v[21:24], v7 offset:64
	s_waitcnt vmcnt(27) lgkmcnt(2)
	v_fmac_f32_e32 v29, v25, v37
	v_fmac_f32_e32 v30, v26, v38
	s_waitcnt vmcnt(26)
	v_fmac_f32_e32 v29, v27, v39
	v_fmac_f32_e32 v30, v28, v40
	ds_read_b128 v[25:28], v7 offset:80
	s_waitcnt vmcnt(25) lgkmcnt(2)
	v_fmac_f32_e32 v29, v17, v41
	v_fmac_f32_e32 v30, v18, v42
	s_waitcnt vmcnt(24)
	v_fmac_f32_e32 v29, v19, v43
	v_fmac_f32_e32 v30, v20, v44
	;; [unrolled: 7-line block ×12, first 2 shown]
	s_waitcnt vmcnt(3) lgkmcnt(1)
	v_fmac_f32_e32 v29, v90, v25
	v_fmac_f32_e32 v30, v91, v26
	s_waitcnt vmcnt(2)
	v_fmac_f32_e32 v29, v92, v27
	v_fmac_f32_e32 v30, v93, v28
	s_waitcnt vmcnt(1) lgkmcnt(0)
	v_fmac_f32_e32 v29, v94, v17
	v_fmac_f32_e32 v30, v95, v18
	v_cndmask_b32_e64 v17, v4, v10, s3
	s_waitcnt vmcnt(0)
	v_fmac_f32_e32 v29, v96, v19
	v_fmac_f32_e32 v30, v97, v20
	v_lshlrev_b32_e32 v18, 2, v17
	v_add_f32_e32 v17, v29, v30
	ds_bpermute_b32 v18, v18, v17
	s_and_saveexec_b32 s45, vcc_lo
	s_cbranch_execz .LBB33_11
; %bb.19:                               ;   in Loop: Header=BB33_13 Depth=1
	v_add_nc_u32_e32 v19, v11, v8
	s_waitcnt lgkmcnt(0)
	v_add_f32_e32 v17, v17, v18
	v_cvt_f32_i32_e32 v19, v19
	v_mul_f32_e32 v19, s42, v19
	v_cndmask_b32_e64 v18, 0, v19, s2
	v_max_f32_e32 v19, v5, v5
	v_fmac_f32_e32 v18, s39, v17
	v_add_nc_u32_e32 v17, v6, v8
	v_max_f32_e32 v19, v19, v18
	v_cmp_gt_i32_e64 s3, s27, v17
	v_cndmask_b32_e64 v17, 0, v18, s3
	v_cndmask_b32_e64 v5, v5, v19, s3
	ds_write_b32 v12, v17
	s_branch .LBB33_11
.LBB33_20:
	s_or_b32 exec_lo, exec_lo, s43
.LBB33_21:
	s_or_b32 exec_lo, exec_lo, s14
	v_xor_b32_e32 v1, 16, v4
	v_xor_b32_e32 v6, 8, v4
	v_max_f32_e32 v7, v5, v5
	v_and_b32_e32 v74, 31, v0
	v_cmp_gt_i32_e32 vcc_lo, 32, v1
	v_cndmask_b32_e32 v1, v4, v1, vcc_lo
	v_cmp_gt_i32_e32 vcc_lo, 32, v6
	v_lshlrev_b32_e32 v2, 2, v1
	ds_bpermute_b32 v1, v2, v5
	v_cndmask_b32_e32 v5, v4, v6, vcc_lo
	v_lshlrev_b32_e32 v5, 2, v5
	s_waitcnt lgkmcnt(0)
	v_max_f32_e32 v1, v1, v1
	v_max_f32_e32 v1, v7, v1
	v_xor_b32_e32 v7, 4, v4
	ds_bpermute_b32 v6, v5, v1
	v_cmp_gt_i32_e32 vcc_lo, 32, v7
	v_cndmask_b32_e32 v7, v4, v7, vcc_lo
	s_waitcnt lgkmcnt(0)
	v_max_f32_e32 v8, v6, v6
	v_lshlrev_b32_e32 v6, 2, v7
	v_max_f32_e32 v1, v1, v8
	v_xor_b32_e32 v8, 2, v4
	ds_bpermute_b32 v7, v6, v1
	v_cmp_gt_i32_e32 vcc_lo, 32, v8
	v_cndmask_b32_e32 v8, v4, v8, vcc_lo
	v_cmp_eq_u32_e32 vcc_lo, 0, v74
	v_lshlrev_b32_e32 v75, 2, v8
	s_waitcnt lgkmcnt(0)
	v_max_f32_e32 v7, v7, v7
	v_max_f32_e32 v1, v1, v7
	v_lshlrev_b32_e32 v7, 2, v72
	ds_bpermute_b32 v8, v75, v1
	s_and_saveexec_b32 s2, vcc_lo
	s_cbranch_execz .LBB33_23
; %bb.22:
	s_waitcnt lgkmcnt(0)
	v_max_f32_e32 v8, v8, v8
	v_max_f32_e32 v1, v1, v1
	;; [unrolled: 1-line block ×3, first 2 shown]
	ds_write_b32 v7, v1 offset:512
.LBB33_23:
	s_or_b32 exec_lo, exec_lo, s2
	v_cmp_gt_u32_e64 s2, 4, v74
	v_mov_b32_e32 v1, 0xff7fffff
	s_waitcnt lgkmcnt(0)
	v_lshlrev_b32_e32 v8, 2, v74
	s_barrier
	buffer_gl0_inv
	s_and_saveexec_b32 s3, s2
; %bb.24:
	ds_read_b32 v1, v8 offset:512
; %bb.25:
	s_or_b32 exec_lo, exec_lo, s3
	s_waitcnt lgkmcnt(0)
	ds_bpermute_b32 v9, v75, v1
	v_xor_b32_e32 v10, 1, v4
	v_max_f32_e32 v1, v1, v1
	v_cmp_gt_i32_e64 s3, 32, v10
	v_cndmask_b32_e64 v4, v4, v10, s3
	s_sub_i32 s3, s16, s15
	s_lshl_b32 s3, s3, 4
	v_lshlrev_b32_e32 v76, 2, v4
	s_add_i32 s3, s3, s40
	s_min_i32 s3, s3, s27
	s_waitcnt lgkmcnt(0)
	v_max_f32_e32 v9, v9, v9
	s_sub_i32 s5, s3, s40
	v_cmp_gt_i32_e64 s3, s5, v0
	v_max_f32_e32 v1, v1, v9
	v_mov_b32_e32 v9, 0
	ds_bpermute_b32 v4, v76, v1
	s_waitcnt lgkmcnt(0)
	v_max_f32_e32 v4, v4, v4
	v_max_f32_e32 v1, v1, v4
	v_lshl_add_u32 v4, v0, 2, 0x220
	ds_bpermute_b32 v1, v9, v1
	s_and_saveexec_b32 s14, s3
	s_cbranch_execz .LBB33_29
; %bb.26:
	v_lshl_add_u32 v10, v0, 2, 0x220
	v_mov_b32_e32 v9, 0
	v_mov_b32_e32 v11, v0
	s_mov_b32 s15, 0
	.p2align	6
.LBB33_27:                              ; =>This Inner Loop Header: Depth=1
	ds_read_b32 v12, v10
	v_add_nc_u32_e32 v11, 0x80, v11
	v_cmp_le_i32_e64 s4, s5, v11
	s_or_b32 s15, s4, s15
	s_waitcnt lgkmcnt(0)
	v_sub_f32_e32 v12, v12, v1
	v_mul_f32_e32 v12, 0x3fb8aa3b, v12
	v_exp_f32_e32 v12, v12
	ds_write_b32 v10, v12
	v_add_f32_e32 v9, v9, v12
	v_add_nc_u32_e32 v10, 0x200, v10
	s_andn2_b32 exec_lo, exec_lo, s15
	s_cbranch_execnz .LBB33_27
; %bb.28:
	s_or_b32 exec_lo, exec_lo, s15
.LBB33_29:
	s_or_b32 exec_lo, exec_lo, s14
	ds_bpermute_b32 v2, v2, v9
	s_waitcnt lgkmcnt(0)
	v_add_f32_e32 v2, v9, v2
	ds_bpermute_b32 v5, v5, v2
	s_waitcnt lgkmcnt(0)
	v_add_f32_e32 v2, v2, v5
	;; [unrolled: 3-line block ×5, first 2 shown]
	s_and_saveexec_b32 s4, vcc_lo
; %bb.30:
	ds_write_b32 v7, v2 offset:528
; %bb.31:
	s_or_b32 exec_lo, exec_lo, s4
	s_waitcnt lgkmcnt(0)
	s_barrier
	buffer_gl0_inv
	s_and_saveexec_b32 s4, s2
; %bb.32:
	ds_read_b32 v2, v8 offset:528
; %bb.33:
	s_or_b32 exec_lo, exec_lo, s4
	s_waitcnt lgkmcnt(0)
	ds_bpermute_b32 v5, v75, v2
	s_waitcnt lgkmcnt(0)
	v_add_f32_e32 v2, v2, v5
	ds_bpermute_b32 v5, v76, v2
	s_waitcnt lgkmcnt(0)
	v_add_f32_e32 v2, v2, v5
	v_mov_b32_e32 v5, 0
	ds_bpermute_b32 v2, v5, v2
	s_and_saveexec_b32 s2, s3
	s_cbranch_execz .LBB33_36
; %bb.34:
	s_waitcnt lgkmcnt(0)
	v_add_f32_e32 v5, 0x358637bd, v2
	s_mov_b32 s3, 0
	v_div_scale_f32 v6, null, v5, v5, 1.0
	v_div_scale_f32 v9, vcc_lo, 1.0, v5, 1.0
	v_rcp_f32_e32 v7, v6
	v_fma_f32 v8, -v6, v7, 1.0
	v_fmac_f32_e32 v7, v8, v7
	v_mul_f32_e32 v8, v9, v7
	v_fma_f32 v10, -v6, v8, v9
	v_fmac_f32_e32 v8, v10, v7
	v_fma_f32 v6, -v6, v8, v9
	v_div_fmas_f32 v6, v6, v7, v8
	v_div_fixup_f32 v5, v6, v5, 1.0
	v_mov_b32_e32 v6, v0
.LBB33_35:                              ; =>This Inner Loop Header: Depth=1
	ds_read_b32 v7, v4
	v_add_nc_u32_e32 v6, 0x80, v6
	v_cmp_le_i32_e32 vcc_lo, s5, v6
	s_or_b32 s3, vcc_lo, s3
	s_waitcnt lgkmcnt(0)
	v_mul_f32_e32 v7, v5, v7
	ds_write_b32 v4, v7
	v_add_nc_u32_e32 v4, 0x200, v4
	s_andn2_b32 exec_lo, exec_lo, s3
	s_cbranch_execnz .LBB33_35
.LBB33_36:
	s_or_b32 exec_lo, exec_lo, s2
	s_mul_i32 s2, s7, s26
	s_waitcnt lgkmcnt(0)
	s_mul_i32 s14, s2, s9
	s_mov_b32 s2, exec_lo
	s_barrier
	buffer_gl0_inv
	v_cmpx_eq_u32_e32 0, v0
	s_cbranch_execz .LBB33_38
; %bb.37:
	s_ashr_i32 s15, s14, 31
	s_mul_i32 s42, s7, s6
	s_lshl_b64 s[4:5], s[14:15], 2
	v_mov_b32_e32 v4, 0
	s_add_u32 s3, s22, s4
	s_addc_u32 s6, s23, s5
	s_ashr_i32 s43, s42, 31
	s_lshl_b64 s[22:23], s[42:43], 2
	s_add_u32 s3, s3, s22
	s_addc_u32 s6, s6, s23
	s_ashr_i32 s9, s8, 31
	s_lshl_b64 s[42:43], s[8:9], 2
	s_add_u32 s44, s3, s42
	s_addc_u32 s45, s6, s43
	s_add_u32 s3, s20, s4
	s_addc_u32 s4, s21, s5
	;; [unrolled: 2-line block ×4, first 2 shown]
	global_store_dword v4, v1, s[44:45]
	global_store_dword v4, v2, s[4:5]
.LBB33_38:
	s_or_b32 exec_lo, exec_lo, s2
	v_mov_b32_e32 v93, 0
	v_and_b32_e32 v77, 3, v0
	v_mov_b32_e32 v92, 0
	v_mov_b32_e32 v91, 0
	v_mov_b32_e32 v90, 0
	v_mov_b32_e32 v89, 0
	v_mov_b32_e32 v88, 0
	v_mov_b32_e32 v87, 0
	v_mov_b32_e32 v86, 0
	v_mov_b32_e32 v85, 0
	v_mov_b32_e32 v84, 0
	v_mov_b32_e32 v83, 0
	v_mov_b32_e32 v82, 0
	v_mov_b32_e32 v81, 0
	v_mov_b32_e32 v80, 0
	v_mov_b32_e32 v79, 0
	v_mov_b32_e32 v78, 0
	s_and_saveexec_b32 s5, s1
	s_cbranch_execz .LBB33_76
; %bb.39:
	s_ashr_i32 s37, s36, 31
	s_sub_i32 s6, s41, s17
	s_lshl_b64 s[2:3], s[36:37], 2
	v_and_b32_e32 v94, 12, v3
	s_add_u32 s1, s34, s2
	s_addc_u32 s4, s35, s3
	s_abs_i32 s9, s18
	v_lshlrev_b32_e32 v3, 4, v0
	v_cvt_f32_u32_e32 v1, s9
	s_sub_i32 s2, 0, s9
	v_lshlrev_b32_e32 v5, 4, v77
	s_add_i32 s15, s38, -1
	v_and_b32_e32 v3, 0x1f0, v3
	v_rcp_iflag_f32_e32 v4, v1
	v_lshlrev_b64 v[1:2], 2, v[69:70]
	v_lshl_or_b32 v5, v72, 6, v5
	v_mov_b32_e32 v78, 0
	v_add_co_u32 v95, s1, s1, v3
	v_mov_b32_e32 v79, 0
	v_mov_b32_e32 v80, 0
	;; [unrolled: 1-line block ×4, first 2 shown]
	v_mul_f32_e32 v4, 0x4f7ffffe, v4
	v_mov_b32_e32 v83, 0
	v_mov_b32_e32 v84, 0
	v_mov_b32_e32 v85, 0
	v_mov_b32_e32 v86, 0
	v_cvt_u32_f32_e32 v4, v4
	v_mov_b32_e32 v87, 0
	v_mov_b32_e32 v88, 0
	;; [unrolled: 1-line block ×4, first 2 shown]
	v_mul_lo_u32 v6, s2, v4
	s_lshl_b64 s[2:3], s[30:31], 2
	v_mov_b32_e32 v91, 0
	s_add_u32 s2, s28, s2
	s_addc_u32 s3, s29, s3
	v_add_co_u32 v70, vcc_lo, s2, v1
	v_mov_b32_e32 v92, 0
	v_mul_hi_u32 v6, v4, v6
	v_add_co_ci_u32_e64 v96, null, s4, 0, s1
	v_add_nc_u32_e32 v97, 0x220, v5
	v_add_co_ci_u32_e64 v71, null, s3, v2, vcc_lo
	v_mov_b32_e32 v93, 0
	s_mov_b32 s17, s13
	v_add_nc_u32_e32 v98, v4, v6
	s_mov_b32 s13, 0
	s_branch .LBB33_42
.LBB33_40:                              ;   in Loop: Header=BB33_42 Depth=1
	s_or_b32 exec_lo, exec_lo, s1
	s_waitcnt vmcnt(1) lgkmcnt(0)
	v_mul_f32_e32 v65, v1, v65
	v_mul_f32_e32 v61, v1, v61
	;; [unrolled: 1-line block ×15, first 2 shown]
	s_waitcnt vmcnt(0)
	v_mul_f32_e32 v1, v1, v53
	v_fmac_f32_e32 v65, v2, v66
	v_fmac_f32_e32 v61, v2, v62
	;; [unrolled: 1-line block ×48, first 2 shown]
	v_add_f32_e32 v79, v79, v65
	v_add_f32_e32 v80, v80, v61
	;; [unrolled: 1-line block ×16, first 2 shown]
.LBB33_41:                              ;   in Loop: Header=BB33_42 Depth=1
	s_or_b32 exec_lo, exec_lo, s18
	v_add_nc_u32_e32 v69, 4, v69
	v_add_co_u32 v70, s1, v70, 16
	v_add_co_ci_u32_e64 v71, null, 0, v71, s1
	v_cmp_le_i32_e32 vcc_lo, s16, v69
	v_add_nc_u32_e32 v73, 64, v73
	v_add_nc_u32_e32 v97, 0x100, v97
	s_or_b32 s13, vcc_lo, s13
	s_andn2_b32 exec_lo, exec_lo, s13
	s_cbranch_execz .LBB33_75
.LBB33_42:                              ; =>This Inner Loop Header: Depth=1
	v_sub_nc_u32_e32 v1, 0, v73
	v_max_i32_e32 v1, v73, v1
	v_mul_hi_u32 v2, v1, s12
	v_mul_lo_u32 v3, v2, s11
	v_sub_nc_u32_e32 v1, v1, v3
	v_add_nc_u32_e32 v3, 1, v2
	v_subrev_nc_u32_e32 v4, s11, v1
	v_cmp_le_u32_e32 vcc_lo, s11, v1
	v_cndmask_b32_e32 v2, v2, v3, vcc_lo
	v_cndmask_b32_e32 v1, v1, v4, vcc_lo
	v_ashrrev_i32_e32 v3, 31, v73
	v_add_nc_u32_e32 v4, 1, v2
	v_cmp_le_u32_e32 vcc_lo, s11, v1
	v_xor_b32_e32 v3, s19, v3
	v_cndmask_b32_e32 v1, v2, v4, vcc_lo
	v_xor_b32_e32 v1, v1, v3
	v_sub_nc_u32_e32 v1, v1, v3
	v_add_nc_u32_e32 v2, s33, v1
	v_cmp_lt_i32_e64 s1, s6, v1
	v_sub_nc_u32_e32 v3, 0, v2
	v_max_i32_e32 v3, v2, v3
	v_ashrrev_i32_e32 v2, 31, v2
	v_mul_hi_u32 v4, v3, v98
	v_mul_lo_u32 v4, v4, s9
	v_sub_nc_u32_e32 v3, v3, v4
	v_subrev_nc_u32_e32 v4, s9, v3
	v_cmp_le_u32_e32 vcc_lo, s9, v3
	v_cndmask_b32_e32 v3, v3, v4, vcc_lo
	v_subrev_nc_u32_e32 v4, s9, v3
	v_cmp_le_u32_e32 vcc_lo, s9, v3
	v_cndmask_b32_e32 v3, v3, v4, vcc_lo
	v_xor_b32_e32 v3, v3, v2
	v_sub_nc_u32_e32 v2, v3, v2
	v_cmp_eq_u32_e32 vcc_lo, 0, v2
	s_or_b32 s1, vcc_lo, s1
	s_and_saveexec_b32 s18, s1
	s_cbranch_execz .LBB33_41
; %bb.43:                               ;   in Loop: Header=BB33_42 Depth=1
	global_load_dword v1, v[70:71], off
	v_add_nc_u32_e32 v99, v94, v73
	v_add_nc_u32_e32 v102, 1, v99
	;; [unrolled: 1-line block ×4, first 2 shown]
	s_waitcnt vmcnt(0)
	v_mad_i64_i32 v[1:2], null, v1, s17, 0
	v_lshlrev_b64 v[1:2], 2, v[1:2]
	v_add_co_u32 v53, vcc_lo, v95, v1
	v_add_co_ci_u32_e64 v54, null, v96, v2, vcc_lo
	ds_read_b128 v[1:4], v97
	v_cmp_eq_u32_e32 vcc_lo, s15, v69
	global_load_dwordx4 v[5:8], v[53:54], off
	s_and_saveexec_b32 s2, vcc_lo
	s_cbranch_execnz .LBB33_62
; %bb.44:                               ;   in Loop: Header=BB33_42 Depth=1
	s_or_b32 exec_lo, exec_lo, s2
	global_load_dwordx4 v[9:12], v[53:54], off offset:512
	s_and_saveexec_b32 s2, vcc_lo
	s_cbranch_execnz .LBB33_63
.LBB33_45:                              ;   in Loop: Header=BB33_42 Depth=1
	s_or_b32 exec_lo, exec_lo, s2
	global_load_dwordx4 v[13:16], v[53:54], off offset:1024
	s_and_saveexec_b32 s2, vcc_lo
	s_cbranch_execnz .LBB33_64
.LBB33_46:                              ;   in Loop: Header=BB33_42 Depth=1
	s_or_b32 exec_lo, exec_lo, s2
	global_load_dwordx4 v[17:20], v[53:54], off offset:1536
	s_and_saveexec_b32 s2, vcc_lo
	s_cbranch_execz .LBB33_48
.LBB33_47:                              ;   in Loop: Header=BB33_42 Depth=1
	v_cmp_gt_i32_e64 s1, s27, v99
	s_waitcnt vmcnt(0)
	v_cndmask_b32_e64 v17, 0, v17, s1
	v_cmp_gt_i32_e64 s1, s27, v102
	v_cndmask_b32_e64 v18, 0, v18, s1
	v_cmp_gt_i32_e64 s1, s27, v101
	;; [unrolled: 2-line block ×3, first 2 shown]
	v_cndmask_b32_e64 v20, 0, v20, s1
.LBB33_48:                              ;   in Loop: Header=BB33_42 Depth=1
	s_or_b32 exec_lo, exec_lo, s2
	v_add_co_u32 v33, s1, 0x800, v53
	v_add_co_ci_u32_e64 v34, null, 0, v54, s1
	global_load_dwordx4 v[21:24], v[33:34], off
	s_and_saveexec_b32 s2, vcc_lo
	s_cbranch_execnz .LBB33_65
; %bb.49:                               ;   in Loop: Header=BB33_42 Depth=1
	s_or_b32 exec_lo, exec_lo, s2
	global_load_dwordx4 v[25:28], v[33:34], off offset:512
	s_and_saveexec_b32 s2, vcc_lo
	s_cbranch_execnz .LBB33_66
.LBB33_50:                              ;   in Loop: Header=BB33_42 Depth=1
	s_or_b32 exec_lo, exec_lo, s2
	global_load_dwordx4 v[29:32], v[33:34], off offset:1024
	s_and_saveexec_b32 s2, vcc_lo
	s_cbranch_execnz .LBB33_67
.LBB33_51:                              ;   in Loop: Header=BB33_42 Depth=1
	s_or_b32 exec_lo, exec_lo, s2
	global_load_dwordx4 v[33:36], v[33:34], off offset:1536
	s_and_saveexec_b32 s2, vcc_lo
	s_cbranch_execz .LBB33_53
.LBB33_52:                              ;   in Loop: Header=BB33_42 Depth=1
	v_cmp_gt_i32_e64 s1, s27, v99
	s_waitcnt vmcnt(0)
	v_cndmask_b32_e64 v33, 0, v33, s1
	v_cmp_gt_i32_e64 s1, s27, v102
	v_cndmask_b32_e64 v34, 0, v34, s1
	v_cmp_gt_i32_e64 s1, s27, v101
	;; [unrolled: 2-line block ×3, first 2 shown]
	v_cndmask_b32_e64 v36, 0, v36, s1
.LBB33_53:                              ;   in Loop: Header=BB33_42 Depth=1
	s_or_b32 exec_lo, exec_lo, s2
	v_add_co_u32 v49, s1, 0x1000, v53
	v_add_co_ci_u32_e64 v50, null, 0, v54, s1
	global_load_dwordx4 v[37:40], v[49:50], off
	s_and_saveexec_b32 s2, vcc_lo
	s_cbranch_execnz .LBB33_68
; %bb.54:                               ;   in Loop: Header=BB33_42 Depth=1
	s_or_b32 exec_lo, exec_lo, s2
	global_load_dwordx4 v[41:44], v[49:50], off offset:512
	s_and_saveexec_b32 s2, vcc_lo
	s_cbranch_execnz .LBB33_69
.LBB33_55:                              ;   in Loop: Header=BB33_42 Depth=1
	s_or_b32 exec_lo, exec_lo, s2
	global_load_dwordx4 v[45:48], v[49:50], off offset:1024
	s_and_saveexec_b32 s2, vcc_lo
	s_cbranch_execnz .LBB33_70
.LBB33_56:                              ;   in Loop: Header=BB33_42 Depth=1
	s_or_b32 exec_lo, exec_lo, s2
	global_load_dwordx4 v[49:52], v[49:50], off offset:1536
	s_and_saveexec_b32 s2, vcc_lo
	s_cbranch_execz .LBB33_58
.LBB33_57:                              ;   in Loop: Header=BB33_42 Depth=1
	v_cmp_gt_i32_e64 s1, s27, v99
	s_waitcnt vmcnt(0)
	v_cndmask_b32_e64 v49, 0, v49, s1
	v_cmp_gt_i32_e64 s1, s27, v102
	v_cndmask_b32_e64 v50, 0, v50, s1
	v_cmp_gt_i32_e64 s1, s27, v101
	;; [unrolled: 2-line block ×3, first 2 shown]
	v_cndmask_b32_e64 v52, 0, v52, s1
.LBB33_58:                              ;   in Loop: Header=BB33_42 Depth=1
	s_or_b32 exec_lo, exec_lo, s2
	v_add_co_u32 v53, s1, 0x1800, v53
	v_add_co_ci_u32_e64 v54, null, 0, v54, s1
	global_load_dwordx4 v[57:60], v[53:54], off
	s_and_saveexec_b32 s2, vcc_lo
	s_cbranch_execnz .LBB33_71
; %bb.59:                               ;   in Loop: Header=BB33_42 Depth=1
	s_or_b32 exec_lo, exec_lo, s2
	global_load_dwordx4 v[61:64], v[53:54], off offset:512
	s_and_saveexec_b32 s20, vcc_lo
	s_cbranch_execnz .LBB33_72
.LBB33_60:                              ;   in Loop: Header=BB33_42 Depth=1
	s_or_b32 exec_lo, exec_lo, s20
	global_load_dwordx4 v[65:68], v[53:54], off offset:1024
	s_and_saveexec_b32 s2, vcc_lo
	s_cbranch_execnz .LBB33_73
.LBB33_61:                              ;   in Loop: Header=BB33_42 Depth=1
	s_or_b32 exec_lo, exec_lo, s2
	global_load_dwordx4 v[53:56], v[53:54], off offset:1536
	s_and_saveexec_b32 s1, vcc_lo
	s_cbranch_execz .LBB33_40
	s_branch .LBB33_74
.LBB33_62:                              ;   in Loop: Header=BB33_42 Depth=1
	v_cmp_gt_i32_e64 s1, s27, v99
	s_waitcnt vmcnt(0)
	v_cndmask_b32_e64 v5, 0, v5, s1
	v_cmp_gt_i32_e64 s1, s27, v102
	v_cndmask_b32_e64 v6, 0, v6, s1
	v_cmp_gt_i32_e64 s1, s27, v101
	;; [unrolled: 2-line block ×3, first 2 shown]
	v_cndmask_b32_e64 v8, 0, v8, s1
	s_or_b32 exec_lo, exec_lo, s2
	global_load_dwordx4 v[9:12], v[53:54], off offset:512
	s_and_saveexec_b32 s2, vcc_lo
	s_cbranch_execz .LBB33_45
.LBB33_63:                              ;   in Loop: Header=BB33_42 Depth=1
	v_cmp_gt_i32_e64 s1, s27, v99
	s_waitcnt vmcnt(0)
	v_cndmask_b32_e64 v9, 0, v9, s1
	v_cmp_gt_i32_e64 s1, s27, v102
	v_cndmask_b32_e64 v10, 0, v10, s1
	v_cmp_gt_i32_e64 s1, s27, v101
	;; [unrolled: 2-line block ×3, first 2 shown]
	v_cndmask_b32_e64 v12, 0, v12, s1
	s_or_b32 exec_lo, exec_lo, s2
	global_load_dwordx4 v[13:16], v[53:54], off offset:1024
	s_and_saveexec_b32 s2, vcc_lo
	s_cbranch_execz .LBB33_46
.LBB33_64:                              ;   in Loop: Header=BB33_42 Depth=1
	v_cmp_gt_i32_e64 s1, s27, v99
	s_waitcnt vmcnt(0)
	v_cndmask_b32_e64 v13, 0, v13, s1
	v_cmp_gt_i32_e64 s1, s27, v102
	v_cndmask_b32_e64 v14, 0, v14, s1
	v_cmp_gt_i32_e64 s1, s27, v101
	v_cndmask_b32_e64 v15, 0, v15, s1
	v_cmp_gt_i32_e64 s1, s27, v100
	v_cndmask_b32_e64 v16, 0, v16, s1
	s_or_b32 exec_lo, exec_lo, s2
	global_load_dwordx4 v[17:20], v[53:54], off offset:1536
	s_and_saveexec_b32 s2, vcc_lo
	s_cbranch_execnz .LBB33_47
	s_branch .LBB33_48
.LBB33_65:                              ;   in Loop: Header=BB33_42 Depth=1
	v_cmp_gt_i32_e64 s1, s27, v99
	s_waitcnt vmcnt(0)
	v_cndmask_b32_e64 v21, 0, v21, s1
	v_cmp_gt_i32_e64 s1, s27, v102
	v_cndmask_b32_e64 v22, 0, v22, s1
	v_cmp_gt_i32_e64 s1, s27, v101
	;; [unrolled: 2-line block ×3, first 2 shown]
	v_cndmask_b32_e64 v24, 0, v24, s1
	s_or_b32 exec_lo, exec_lo, s2
	global_load_dwordx4 v[25:28], v[33:34], off offset:512
	s_and_saveexec_b32 s2, vcc_lo
	s_cbranch_execz .LBB33_50
.LBB33_66:                              ;   in Loop: Header=BB33_42 Depth=1
	v_cmp_gt_i32_e64 s1, s27, v99
	s_waitcnt vmcnt(0)
	v_cndmask_b32_e64 v25, 0, v25, s1
	v_cmp_gt_i32_e64 s1, s27, v102
	v_cndmask_b32_e64 v26, 0, v26, s1
	v_cmp_gt_i32_e64 s1, s27, v101
	;; [unrolled: 2-line block ×3, first 2 shown]
	v_cndmask_b32_e64 v28, 0, v28, s1
	s_or_b32 exec_lo, exec_lo, s2
	global_load_dwordx4 v[29:32], v[33:34], off offset:1024
	s_and_saveexec_b32 s2, vcc_lo
	s_cbranch_execz .LBB33_51
.LBB33_67:                              ;   in Loop: Header=BB33_42 Depth=1
	v_cmp_gt_i32_e64 s1, s27, v99
	s_waitcnt vmcnt(0)
	v_cndmask_b32_e64 v29, 0, v29, s1
	v_cmp_gt_i32_e64 s1, s27, v102
	v_cndmask_b32_e64 v30, 0, v30, s1
	v_cmp_gt_i32_e64 s1, s27, v101
	;; [unrolled: 2-line block ×3, first 2 shown]
	v_cndmask_b32_e64 v32, 0, v32, s1
	s_or_b32 exec_lo, exec_lo, s2
	global_load_dwordx4 v[33:36], v[33:34], off offset:1536
	s_and_saveexec_b32 s2, vcc_lo
	s_cbranch_execnz .LBB33_52
	s_branch .LBB33_53
.LBB33_68:                              ;   in Loop: Header=BB33_42 Depth=1
	v_cmp_gt_i32_e64 s1, s27, v99
	s_waitcnt vmcnt(0)
	v_cndmask_b32_e64 v37, 0, v37, s1
	v_cmp_gt_i32_e64 s1, s27, v102
	v_cndmask_b32_e64 v38, 0, v38, s1
	v_cmp_gt_i32_e64 s1, s27, v101
	;; [unrolled: 2-line block ×3, first 2 shown]
	v_cndmask_b32_e64 v40, 0, v40, s1
	s_or_b32 exec_lo, exec_lo, s2
	global_load_dwordx4 v[41:44], v[49:50], off offset:512
	s_and_saveexec_b32 s2, vcc_lo
	s_cbranch_execz .LBB33_55
.LBB33_69:                              ;   in Loop: Header=BB33_42 Depth=1
	v_cmp_gt_i32_e64 s1, s27, v99
	s_waitcnt vmcnt(0)
	v_cndmask_b32_e64 v41, 0, v41, s1
	v_cmp_gt_i32_e64 s1, s27, v102
	v_cndmask_b32_e64 v42, 0, v42, s1
	v_cmp_gt_i32_e64 s1, s27, v101
	;; [unrolled: 2-line block ×3, first 2 shown]
	v_cndmask_b32_e64 v44, 0, v44, s1
	s_or_b32 exec_lo, exec_lo, s2
	global_load_dwordx4 v[45:48], v[49:50], off offset:1024
	s_and_saveexec_b32 s2, vcc_lo
	s_cbranch_execz .LBB33_56
.LBB33_70:                              ;   in Loop: Header=BB33_42 Depth=1
	v_cmp_gt_i32_e64 s1, s27, v99
	s_waitcnt vmcnt(0)
	v_cndmask_b32_e64 v45, 0, v45, s1
	v_cmp_gt_i32_e64 s1, s27, v102
	v_cndmask_b32_e64 v46, 0, v46, s1
	v_cmp_gt_i32_e64 s1, s27, v101
	;; [unrolled: 2-line block ×3, first 2 shown]
	v_cndmask_b32_e64 v48, 0, v48, s1
	s_or_b32 exec_lo, exec_lo, s2
	global_load_dwordx4 v[49:52], v[49:50], off offset:1536
	s_and_saveexec_b32 s2, vcc_lo
	s_cbranch_execnz .LBB33_57
	s_branch .LBB33_58
.LBB33_71:                              ;   in Loop: Header=BB33_42 Depth=1
	v_cmp_gt_i32_e64 s1, s27, v99
	s_waitcnt vmcnt(0)
	v_cndmask_b32_e64 v57, 0, v57, s1
	v_cmp_gt_i32_e64 s1, s27, v102
	v_cndmask_b32_e64 v58, 0, v58, s1
	v_cmp_gt_i32_e64 s1, s27, v101
	;; [unrolled: 2-line block ×3, first 2 shown]
	v_cndmask_b32_e64 v60, 0, v60, s1
	s_or_b32 exec_lo, exec_lo, s2
	global_load_dwordx4 v[61:64], v[53:54], off offset:512
	s_and_saveexec_b32 s20, vcc_lo
	s_cbranch_execz .LBB33_60
.LBB33_72:                              ;   in Loop: Header=BB33_42 Depth=1
	v_cmp_gt_i32_e64 s1, s27, v99
	v_cmp_gt_i32_e64 s2, s27, v102
	;; [unrolled: 1-line block ×4, first 2 shown]
	s_waitcnt vmcnt(0)
	v_cndmask_b32_e64 v61, 0, v61, s1
	v_cndmask_b32_e64 v62, 0, v62, s2
	;; [unrolled: 1-line block ×4, first 2 shown]
	s_or_b32 exec_lo, exec_lo, s20
	global_load_dwordx4 v[65:68], v[53:54], off offset:1024
	s_and_saveexec_b32 s2, vcc_lo
	s_cbranch_execz .LBB33_61
.LBB33_73:                              ;   in Loop: Header=BB33_42 Depth=1
	v_cmp_gt_i32_e64 s1, s27, v99
	s_waitcnt vmcnt(0)
	v_cndmask_b32_e64 v65, 0, v65, s1
	v_cmp_gt_i32_e64 s1, s27, v102
	v_cndmask_b32_e64 v66, 0, v66, s1
	v_cmp_gt_i32_e64 s1, s27, v101
	v_cndmask_b32_e64 v67, 0, v67, s1
	v_cmp_gt_i32_e64 s1, s27, v100
	v_cndmask_b32_e64 v68, 0, v68, s1
	s_or_b32 exec_lo, exec_lo, s2
	global_load_dwordx4 v[53:56], v[53:54], off offset:1536
	s_and_saveexec_b32 s1, vcc_lo
	s_cbranch_execz .LBB33_40
.LBB33_74:                              ;   in Loop: Header=BB33_42 Depth=1
	v_cmp_gt_i32_e32 vcc_lo, s27, v99
	s_waitcnt vmcnt(0)
	v_cndmask_b32_e32 v53, 0, v53, vcc_lo
	v_cmp_gt_i32_e32 vcc_lo, s27, v102
	v_cndmask_b32_e32 v54, 0, v54, vcc_lo
	v_cmp_gt_i32_e32 vcc_lo, s27, v101
	;; [unrolled: 2-line block ×3, first 2 shown]
	v_cndmask_b32_e32 v56, 0, v56, vcc_lo
	s_branch .LBB33_40
.LBB33_75:
	s_or_b32 exec_lo, exec_lo, s13
.LBB33_76:
	s_or_b32 exec_lo, exec_lo, s5
	ds_bpermute_b32 v2, v75, v92
	ds_bpermute_b32 v1, v75, v93
	ds_bpermute_b32 v3, v75, v91
	ds_bpermute_b32 v4, v75, v90
	ds_bpermute_b32 v5, v75, v89
	ds_bpermute_b32 v6, v75, v88
	ds_bpermute_b32 v7, v75, v87
	ds_bpermute_b32 v8, v75, v86
	ds_bpermute_b32 v9, v75, v85
	ds_bpermute_b32 v10, v75, v84
	ds_bpermute_b32 v11, v75, v83
	ds_bpermute_b32 v12, v75, v82
	ds_bpermute_b32 v13, v75, v81
	ds_bpermute_b32 v14, v75, v80
	ds_bpermute_b32 v15, v75, v79
	ds_bpermute_b32 v16, v75, v78
	s_mov_b32 s1, exec_lo
	s_waitcnt lgkmcnt(0)
	s_waitcnt_vscnt null, 0x0
	s_barrier
	buffer_gl0_inv
	v_add_f32_e32 v2, v92, v2
	v_add_f32_e32 v1, v93, v1
	;; [unrolled: 1-line block ×6, first 2 shown]
	ds_bpermute_b32 v18, v76, v2
	v_add_f32_e32 v7, v87, v7
	v_add_f32_e32 v8, v86, v8
	;; [unrolled: 1-line block ×10, first 2 shown]
	ds_bpermute_b32 v17, v76, v1
	ds_bpermute_b32 v19, v76, v3
	;; [unrolled: 1-line block ×15, first 2 shown]
	s_waitcnt lgkmcnt(15)
	v_add_f32_e32 v2, v2, v18
	v_and_b32_e32 v18, 28, v74
	s_waitcnt lgkmcnt(14)
	v_add_f32_e32 v1, v1, v17
	s_waitcnt lgkmcnt(13)
	v_add_f32_e32 v3, v3, v19
	;; [unrolled: 2-line block ×14, first 2 shown]
	v_and_b32_e32 v20, 0x3c3, v0
	s_waitcnt lgkmcnt(0)
	v_add_f32_e32 v16, v16, v32
	v_lshrrev_b32_e32 v17, 2, v74
	v_add_nc_u32_e32 v18, 0x220, v18
	v_lshlrev_b32_e32 v19, 9, v72
	v_cmpx_eq_u32_e32 64, v20
	s_cbranch_execz .LBB33_78
; %bb.77:
	v_add_nc_u32_e32 v20, v18, v19
	v_add_nc_u32_e32 v21, 0xfffffc00, v20
	v_add_nc_u32_e32 v22, 0xfffffc20, v20
	v_add_nc_u32_e32 v23, 0xfffffc40, v20
	v_add_nc_u32_e32 v24, 0xfffffc60, v20
	v_add_nc_u32_e32 v25, 0xfffffc80, v20
	v_add_nc_u32_e32 v26, 0xfffffca0, v20
	ds_write_b32 v21, v1
	ds_write_b32 v22, v2
	;; [unrolled: 1-line block ×6, first 2 shown]
	v_add_nc_u32_e32 v21, 0xfffffcc0, v20
	v_add_nc_u32_e32 v22, 0xfffffce0, v20
	;; [unrolled: 1-line block ×5, first 2 shown]
	ds_write_b32 v21, v7
	ds_write_b32 v22, v8
	;; [unrolled: 1-line block ×5, first 2 shown]
	v_add_nc_u32_e32 v21, 0xfffffd60, v20
	v_add_nc_u32_e32 v22, 0xfffffd80, v20
	;; [unrolled: 1-line block ×5, first 2 shown]
	ds_write_b32 v21, v12
	ds_write_b32 v22, v13
	;; [unrolled: 1-line block ×5, first 2 shown]
.LBB33_78:
	s_or_b32 exec_lo, exec_lo, s1
	v_lshlrev_b32_e32 v17, 2, v17
	v_cmp_eq_u32_e32 vcc_lo, 0, v77
	s_waitcnt lgkmcnt(0)
	s_barrier
	buffer_gl0_inv
	v_add3_u32 v17, 0x220, v19, v17
	s_and_saveexec_b32 s1, s0
	s_cbranch_execz .LBB33_97
; %bb.79:
	s_and_saveexec_b32 s0, vcc_lo
	s_cbranch_execnz .LBB33_121
; %bb.80:
	s_or_b32 exec_lo, exec_lo, s0
	s_and_saveexec_b32 s0, vcc_lo
	s_cbranch_execnz .LBB33_122
.LBB33_81:
	s_or_b32 exec_lo, exec_lo, s0
	s_and_saveexec_b32 s0, vcc_lo
	s_cbranch_execnz .LBB33_123
.LBB33_82:
	s_or_b32 exec_lo, exec_lo, s0
	s_and_saveexec_b32 s0, vcc_lo
	s_cbranch_execnz .LBB33_124
.LBB33_83:
	s_or_b32 exec_lo, exec_lo, s0
	s_and_saveexec_b32 s0, vcc_lo
	s_cbranch_execnz .LBB33_125
.LBB33_84:
	s_or_b32 exec_lo, exec_lo, s0
	s_and_saveexec_b32 s0, vcc_lo
	s_cbranch_execnz .LBB33_126
.LBB33_85:
	s_or_b32 exec_lo, exec_lo, s0
	s_and_saveexec_b32 s0, vcc_lo
	s_cbranch_execnz .LBB33_127
.LBB33_86:
	s_or_b32 exec_lo, exec_lo, s0
	s_and_saveexec_b32 s0, vcc_lo
	s_cbranch_execnz .LBB33_128
.LBB33_87:
	s_or_b32 exec_lo, exec_lo, s0
	s_and_saveexec_b32 s0, vcc_lo
	s_cbranch_execnz .LBB33_129
.LBB33_88:
	s_or_b32 exec_lo, exec_lo, s0
	s_and_saveexec_b32 s0, vcc_lo
	s_cbranch_execnz .LBB33_130
.LBB33_89:
	s_or_b32 exec_lo, exec_lo, s0
	s_and_saveexec_b32 s0, vcc_lo
	s_cbranch_execnz .LBB33_131
.LBB33_90:
	s_or_b32 exec_lo, exec_lo, s0
	s_and_saveexec_b32 s0, vcc_lo
	s_cbranch_execnz .LBB33_132
.LBB33_91:
	s_or_b32 exec_lo, exec_lo, s0
	s_and_saveexec_b32 s0, vcc_lo
	s_cbranch_execnz .LBB33_133
.LBB33_92:
	s_or_b32 exec_lo, exec_lo, s0
	s_and_saveexec_b32 s0, vcc_lo
	s_cbranch_execnz .LBB33_134
.LBB33_93:
	s_or_b32 exec_lo, exec_lo, s0
	s_and_saveexec_b32 s0, vcc_lo
	s_cbranch_execnz .LBB33_135
.LBB33_94:
	s_or_b32 exec_lo, exec_lo, s0
	s_and_saveexec_b32 s0, vcc_lo
	s_cbranch_execz .LBB33_96
.LBB33_95:
	ds_read_b32 v19, v17 offset:480
	s_waitcnt lgkmcnt(0)
	v_add_f32_e32 v16, v16, v19
.LBB33_96:
	s_or_b32 exec_lo, exec_lo, s0
.LBB33_97:
	s_or_b32 exec_lo, exec_lo, s1
	v_and_b32_e32 v19, 0x3e3, v0
	s_mov_b32 s1, exec_lo
	s_barrier
	buffer_gl0_inv
	v_cmpx_eq_u32_e32 32, v19
	s_cbranch_execz .LBB33_99
; %bb.98:
	ds_write2_b32 v18, v1, v2 offset1:8
	ds_write2_b32 v18, v3, v4 offset0:16 offset1:24
	ds_write2_b32 v18, v5, v6 offset0:32 offset1:40
	;; [unrolled: 1-line block ×7, first 2 shown]
.LBB33_99:
	s_or_b32 exec_lo, exec_lo, s1
	s_mov_b32 s1, exec_lo
	s_waitcnt lgkmcnt(0)
	s_barrier
	buffer_gl0_inv
	v_cmpx_gt_u32_e32 32, v0
	s_cbranch_execz .LBB33_118
; %bb.100:
	s_and_saveexec_b32 s0, vcc_lo
	s_cbranch_execnz .LBB33_136
; %bb.101:
	s_or_b32 exec_lo, exec_lo, s0
	s_and_saveexec_b32 s0, vcc_lo
	s_cbranch_execnz .LBB33_137
.LBB33_102:
	s_or_b32 exec_lo, exec_lo, s0
	s_and_saveexec_b32 s0, vcc_lo
	s_cbranch_execnz .LBB33_138
.LBB33_103:
	s_or_b32 exec_lo, exec_lo, s0
	s_and_saveexec_b32 s0, vcc_lo
	s_cbranch_execnz .LBB33_139
.LBB33_104:
	s_or_b32 exec_lo, exec_lo, s0
	s_and_saveexec_b32 s0, vcc_lo
	s_cbranch_execnz .LBB33_140
.LBB33_105:
	s_or_b32 exec_lo, exec_lo, s0
	s_and_saveexec_b32 s0, vcc_lo
	s_cbranch_execnz .LBB33_141
.LBB33_106:
	s_or_b32 exec_lo, exec_lo, s0
	s_and_saveexec_b32 s0, vcc_lo
	s_cbranch_execnz .LBB33_142
.LBB33_107:
	s_or_b32 exec_lo, exec_lo, s0
	s_and_saveexec_b32 s0, vcc_lo
	s_cbranch_execnz .LBB33_143
.LBB33_108:
	s_or_b32 exec_lo, exec_lo, s0
	s_and_saveexec_b32 s0, vcc_lo
	s_cbranch_execnz .LBB33_144
.LBB33_109:
	s_or_b32 exec_lo, exec_lo, s0
	s_and_saveexec_b32 s0, vcc_lo
	s_cbranch_execnz .LBB33_145
.LBB33_110:
	s_or_b32 exec_lo, exec_lo, s0
	s_and_saveexec_b32 s0, vcc_lo
	s_cbranch_execnz .LBB33_146
.LBB33_111:
	s_or_b32 exec_lo, exec_lo, s0
	s_and_saveexec_b32 s0, vcc_lo
	s_cbranch_execnz .LBB33_147
.LBB33_112:
	s_or_b32 exec_lo, exec_lo, s0
	s_and_saveexec_b32 s0, vcc_lo
	s_cbranch_execnz .LBB33_148
.LBB33_113:
	s_or_b32 exec_lo, exec_lo, s0
	s_and_saveexec_b32 s0, vcc_lo
	s_cbranch_execnz .LBB33_149
.LBB33_114:
	s_or_b32 exec_lo, exec_lo, s0
	s_and_saveexec_b32 s0, vcc_lo
	s_cbranch_execnz .LBB33_150
.LBB33_115:
	s_or_b32 exec_lo, exec_lo, s0
	s_and_saveexec_b32 s0, vcc_lo
	s_cbranch_execz .LBB33_117
.LBB33_116:
	ds_read_b32 v17, v17 offset:480
	s_waitcnt lgkmcnt(0)
	v_add_f32_e32 v16, v16, v17
.LBB33_117:
	s_or_b32 exec_lo, exec_lo, s0
.LBB33_118:
	s_or_b32 exec_lo, exec_lo, s1
	s_barrier
	buffer_gl0_inv
	s_mov_b32 s0, exec_lo
	v_cmpx_eq_u32_e32 0, v19
	s_cbranch_execz .LBB33_120
; %bb.119:
	s_lshl_b32 s0, s14, 7
	s_mul_i32 s2, s7, s10
	s_ashr_i32 s1, s0, 31
	s_lshl_b64 s[0:1], s[0:1], 2
	s_add_u32 s4, s24, s0
	s_addc_u32 s5, s25, s1
	s_ashr_i32 s3, s2, 31
	s_lshl_b64 s[0:1], s[2:3], 2
	s_add_u32 s2, s4, s0
	s_addc_u32 s3, s5, s1
	s_lshl_b32 s0, s8, 7
	s_ashr_i32 s1, s0, 31
	s_lshl_b64 s[0:1], s[0:1], 2
	s_add_u32 s0, s2, s0
	s_addc_u32 s1, s3, s1
	global_store_dword v0, v1, s[0:1]
	global_store_dword v0, v2, s[0:1] offset:32
	global_store_dword v0, v3, s[0:1] offset:64
	;; [unrolled: 1-line block ×15, first 2 shown]
.LBB33_120:
	s_endpgm
.LBB33_121:
	ds_read_b32 v19, v17
	s_waitcnt lgkmcnt(0)
	v_add_f32_e32 v1, v1, v19
	s_or_b32 exec_lo, exec_lo, s0
	s_and_saveexec_b32 s0, vcc_lo
	s_cbranch_execz .LBB33_81
.LBB33_122:
	ds_read_b32 v19, v17 offset:32
	s_waitcnt lgkmcnt(0)
	v_add_f32_e32 v2, v2, v19
	s_or_b32 exec_lo, exec_lo, s0
	s_and_saveexec_b32 s0, vcc_lo
	s_cbranch_execz .LBB33_82
.LBB33_123:
	ds_read_b32 v19, v17 offset:64
	s_waitcnt lgkmcnt(0)
	v_add_f32_e32 v3, v3, v19
	s_or_b32 exec_lo, exec_lo, s0
	s_and_saveexec_b32 s0, vcc_lo
	s_cbranch_execz .LBB33_83
.LBB33_124:
	ds_read_b32 v19, v17 offset:96
	s_waitcnt lgkmcnt(0)
	v_add_f32_e32 v4, v4, v19
	s_or_b32 exec_lo, exec_lo, s0
	s_and_saveexec_b32 s0, vcc_lo
	s_cbranch_execz .LBB33_84
.LBB33_125:
	ds_read_b32 v19, v17 offset:128
	s_waitcnt lgkmcnt(0)
	v_add_f32_e32 v5, v5, v19
	s_or_b32 exec_lo, exec_lo, s0
	s_and_saveexec_b32 s0, vcc_lo
	s_cbranch_execz .LBB33_85
.LBB33_126:
	ds_read_b32 v19, v17 offset:160
	s_waitcnt lgkmcnt(0)
	v_add_f32_e32 v6, v6, v19
	s_or_b32 exec_lo, exec_lo, s0
	s_and_saveexec_b32 s0, vcc_lo
	s_cbranch_execz .LBB33_86
.LBB33_127:
	ds_read_b32 v19, v17 offset:192
	s_waitcnt lgkmcnt(0)
	v_add_f32_e32 v7, v7, v19
	s_or_b32 exec_lo, exec_lo, s0
	s_and_saveexec_b32 s0, vcc_lo
	s_cbranch_execz .LBB33_87
.LBB33_128:
	ds_read_b32 v19, v17 offset:224
	s_waitcnt lgkmcnt(0)
	v_add_f32_e32 v8, v8, v19
	s_or_b32 exec_lo, exec_lo, s0
	s_and_saveexec_b32 s0, vcc_lo
	s_cbranch_execz .LBB33_88
.LBB33_129:
	ds_read_b32 v19, v17 offset:256
	s_waitcnt lgkmcnt(0)
	v_add_f32_e32 v9, v9, v19
	s_or_b32 exec_lo, exec_lo, s0
	s_and_saveexec_b32 s0, vcc_lo
	s_cbranch_execz .LBB33_89
.LBB33_130:
	ds_read_b32 v19, v17 offset:288
	s_waitcnt lgkmcnt(0)
	v_add_f32_e32 v10, v10, v19
	s_or_b32 exec_lo, exec_lo, s0
	s_and_saveexec_b32 s0, vcc_lo
	s_cbranch_execz .LBB33_90
.LBB33_131:
	ds_read_b32 v19, v17 offset:320
	s_waitcnt lgkmcnt(0)
	v_add_f32_e32 v11, v11, v19
	s_or_b32 exec_lo, exec_lo, s0
	s_and_saveexec_b32 s0, vcc_lo
	s_cbranch_execz .LBB33_91
.LBB33_132:
	ds_read_b32 v19, v17 offset:352
	s_waitcnt lgkmcnt(0)
	v_add_f32_e32 v12, v12, v19
	s_or_b32 exec_lo, exec_lo, s0
	s_and_saveexec_b32 s0, vcc_lo
	s_cbranch_execz .LBB33_92
.LBB33_133:
	ds_read_b32 v19, v17 offset:384
	s_waitcnt lgkmcnt(0)
	v_add_f32_e32 v13, v13, v19
	s_or_b32 exec_lo, exec_lo, s0
	s_and_saveexec_b32 s0, vcc_lo
	s_cbranch_execz .LBB33_93
.LBB33_134:
	ds_read_b32 v19, v17 offset:416
	s_waitcnt lgkmcnt(0)
	v_add_f32_e32 v14, v14, v19
	s_or_b32 exec_lo, exec_lo, s0
	s_and_saveexec_b32 s0, vcc_lo
	s_cbranch_execz .LBB33_94
.LBB33_135:
	ds_read_b32 v19, v17 offset:448
	s_waitcnt lgkmcnt(0)
	v_add_f32_e32 v15, v15, v19
	s_or_b32 exec_lo, exec_lo, s0
	s_and_saveexec_b32 s0, vcc_lo
	s_cbranch_execnz .LBB33_95
	s_branch .LBB33_96
.LBB33_136:
	ds_read_b32 v18, v17
	s_waitcnt lgkmcnt(0)
	v_add_f32_e32 v1, v1, v18
	s_or_b32 exec_lo, exec_lo, s0
	s_and_saveexec_b32 s0, vcc_lo
	s_cbranch_execz .LBB33_102
.LBB33_137:
	ds_read_b32 v18, v17 offset:32
	s_waitcnt lgkmcnt(0)
	v_add_f32_e32 v2, v2, v18
	s_or_b32 exec_lo, exec_lo, s0
	s_and_saveexec_b32 s0, vcc_lo
	s_cbranch_execz .LBB33_103
.LBB33_138:
	ds_read_b32 v18, v17 offset:64
	s_waitcnt lgkmcnt(0)
	v_add_f32_e32 v3, v3, v18
	s_or_b32 exec_lo, exec_lo, s0
	s_and_saveexec_b32 s0, vcc_lo
	s_cbranch_execz .LBB33_104
.LBB33_139:
	ds_read_b32 v18, v17 offset:96
	s_waitcnt lgkmcnt(0)
	v_add_f32_e32 v4, v4, v18
	s_or_b32 exec_lo, exec_lo, s0
	s_and_saveexec_b32 s0, vcc_lo
	s_cbranch_execz .LBB33_105
.LBB33_140:
	ds_read_b32 v18, v17 offset:128
	s_waitcnt lgkmcnt(0)
	v_add_f32_e32 v5, v5, v18
	s_or_b32 exec_lo, exec_lo, s0
	s_and_saveexec_b32 s0, vcc_lo
	s_cbranch_execz .LBB33_106
.LBB33_141:
	ds_read_b32 v18, v17 offset:160
	s_waitcnt lgkmcnt(0)
	v_add_f32_e32 v6, v6, v18
	s_or_b32 exec_lo, exec_lo, s0
	s_and_saveexec_b32 s0, vcc_lo
	s_cbranch_execz .LBB33_107
.LBB33_142:
	ds_read_b32 v18, v17 offset:192
	s_waitcnt lgkmcnt(0)
	v_add_f32_e32 v7, v7, v18
	s_or_b32 exec_lo, exec_lo, s0
	s_and_saveexec_b32 s0, vcc_lo
	s_cbranch_execz .LBB33_108
.LBB33_143:
	ds_read_b32 v18, v17 offset:224
	s_waitcnt lgkmcnt(0)
	v_add_f32_e32 v8, v8, v18
	s_or_b32 exec_lo, exec_lo, s0
	s_and_saveexec_b32 s0, vcc_lo
	s_cbranch_execz .LBB33_109
.LBB33_144:
	ds_read_b32 v18, v17 offset:256
	s_waitcnt lgkmcnt(0)
	v_add_f32_e32 v9, v9, v18
	s_or_b32 exec_lo, exec_lo, s0
	s_and_saveexec_b32 s0, vcc_lo
	s_cbranch_execz .LBB33_110
.LBB33_145:
	ds_read_b32 v18, v17 offset:288
	s_waitcnt lgkmcnt(0)
	v_add_f32_e32 v10, v10, v18
	s_or_b32 exec_lo, exec_lo, s0
	s_and_saveexec_b32 s0, vcc_lo
	s_cbranch_execz .LBB33_111
.LBB33_146:
	ds_read_b32 v18, v17 offset:320
	s_waitcnt lgkmcnt(0)
	v_add_f32_e32 v11, v11, v18
	s_or_b32 exec_lo, exec_lo, s0
	s_and_saveexec_b32 s0, vcc_lo
	s_cbranch_execz .LBB33_112
.LBB33_147:
	ds_read_b32 v18, v17 offset:352
	s_waitcnt lgkmcnt(0)
	v_add_f32_e32 v12, v12, v18
	s_or_b32 exec_lo, exec_lo, s0
	s_and_saveexec_b32 s0, vcc_lo
	s_cbranch_execz .LBB33_113
.LBB33_148:
	ds_read_b32 v18, v17 offset:384
	s_waitcnt lgkmcnt(0)
	v_add_f32_e32 v13, v13, v18
	s_or_b32 exec_lo, exec_lo, s0
	s_and_saveexec_b32 s0, vcc_lo
	s_cbranch_execz .LBB33_114
.LBB33_149:
	ds_read_b32 v18, v17 offset:416
	s_waitcnt lgkmcnt(0)
	v_add_f32_e32 v14, v14, v18
	s_or_b32 exec_lo, exec_lo, s0
	s_and_saveexec_b32 s0, vcc_lo
	s_cbranch_execz .LBB33_115
.LBB33_150:
	ds_read_b32 v18, v17 offset:448
	s_waitcnt lgkmcnt(0)
	v_add_f32_e32 v15, v15, v18
	s_or_b32 exec_lo, exec_lo, s0
	s_and_saveexec_b32 s0, vcc_lo
	s_cbranch_execnz .LBB33_116
	s_branch .LBB33_117
	.section	.rodata,"a",@progbits
	.p2align	6, 0x0
	.amdhsa_kernel _ZN4vllm25paged_attention_v2_kernelIffLi128ELi16ELi128ELNS_18Fp8KVCacheDataTypeE0ELb1ELi512EEEvPfS2_PT_PKS3_PKT0_S9_ifPKiSB_iPKfiiiSD_SD_iiiii
		.amdhsa_group_segment_fixed_size 544
		.amdhsa_private_segment_fixed_size 0
		.amdhsa_kernarg_size 400
		.amdhsa_user_sgpr_count 6
		.amdhsa_user_sgpr_private_segment_buffer 1
		.amdhsa_user_sgpr_dispatch_ptr 0
		.amdhsa_user_sgpr_queue_ptr 0
		.amdhsa_user_sgpr_kernarg_segment_ptr 1
		.amdhsa_user_sgpr_dispatch_id 0
		.amdhsa_user_sgpr_flat_scratch_init 0
		.amdhsa_user_sgpr_private_segment_size 0
		.amdhsa_wavefront_size32 1
		.amdhsa_uses_dynamic_stack 0
		.amdhsa_system_sgpr_private_segment_wavefront_offset 0
		.amdhsa_system_sgpr_workgroup_id_x 1
		.amdhsa_system_sgpr_workgroup_id_y 1
		.amdhsa_system_sgpr_workgroup_id_z 1
		.amdhsa_system_sgpr_workgroup_info 0
		.amdhsa_system_vgpr_workitem_id 0
		.amdhsa_next_free_vgpr 103
		.amdhsa_next_free_sgpr 46
		.amdhsa_reserve_vcc 1
		.amdhsa_reserve_flat_scratch 0
		.amdhsa_float_round_mode_32 0
		.amdhsa_float_round_mode_16_64 0
		.amdhsa_float_denorm_mode_32 3
		.amdhsa_float_denorm_mode_16_64 3
		.amdhsa_dx10_clamp 1
		.amdhsa_ieee_mode 1
		.amdhsa_fp16_overflow 0
		.amdhsa_workgroup_processor_mode 1
		.amdhsa_memory_ordered 1
		.amdhsa_forward_progress 1
		.amdhsa_shared_vgpr_count 0
		.amdhsa_exception_fp_ieee_invalid_op 0
		.amdhsa_exception_fp_denorm_src 0
		.amdhsa_exception_fp_ieee_div_zero 0
		.amdhsa_exception_fp_ieee_overflow 0
		.amdhsa_exception_fp_ieee_underflow 0
		.amdhsa_exception_fp_ieee_inexact 0
		.amdhsa_exception_int_div_zero 0
	.end_amdhsa_kernel
	.section	.text._ZN4vllm25paged_attention_v2_kernelIffLi128ELi16ELi128ELNS_18Fp8KVCacheDataTypeE0ELb1ELi512EEEvPfS2_PT_PKS3_PKT0_S9_ifPKiSB_iPKfiiiSD_SD_iiiii,"axG",@progbits,_ZN4vllm25paged_attention_v2_kernelIffLi128ELi16ELi128ELNS_18Fp8KVCacheDataTypeE0ELb1ELi512EEEvPfS2_PT_PKS3_PKT0_S9_ifPKiSB_iPKfiiiSD_SD_iiiii,comdat
.Lfunc_end33:
	.size	_ZN4vllm25paged_attention_v2_kernelIffLi128ELi16ELi128ELNS_18Fp8KVCacheDataTypeE0ELb1ELi512EEEvPfS2_PT_PKS3_PKT0_S9_ifPKiSB_iPKfiiiSD_SD_iiiii, .Lfunc_end33-_ZN4vllm25paged_attention_v2_kernelIffLi128ELi16ELi128ELNS_18Fp8KVCacheDataTypeE0ELb1ELi512EEEvPfS2_PT_PKS3_PKT0_S9_ifPKiSB_iPKfiiiSD_SD_iiiii
                                        ; -- End function
	.set _ZN4vllm25paged_attention_v2_kernelIffLi128ELi16ELi128ELNS_18Fp8KVCacheDataTypeE0ELb1ELi512EEEvPfS2_PT_PKS3_PKT0_S9_ifPKiSB_iPKfiiiSD_SD_iiiii.num_vgpr, 103
	.set _ZN4vllm25paged_attention_v2_kernelIffLi128ELi16ELi128ELNS_18Fp8KVCacheDataTypeE0ELb1ELi512EEEvPfS2_PT_PKS3_PKT0_S9_ifPKiSB_iPKfiiiSD_SD_iiiii.num_agpr, 0
	.set _ZN4vllm25paged_attention_v2_kernelIffLi128ELi16ELi128ELNS_18Fp8KVCacheDataTypeE0ELb1ELi512EEEvPfS2_PT_PKS3_PKT0_S9_ifPKiSB_iPKfiiiSD_SD_iiiii.numbered_sgpr, 46
	.set _ZN4vllm25paged_attention_v2_kernelIffLi128ELi16ELi128ELNS_18Fp8KVCacheDataTypeE0ELb1ELi512EEEvPfS2_PT_PKS3_PKT0_S9_ifPKiSB_iPKfiiiSD_SD_iiiii.num_named_barrier, 0
	.set _ZN4vllm25paged_attention_v2_kernelIffLi128ELi16ELi128ELNS_18Fp8KVCacheDataTypeE0ELb1ELi512EEEvPfS2_PT_PKS3_PKT0_S9_ifPKiSB_iPKfiiiSD_SD_iiiii.private_seg_size, 0
	.set _ZN4vllm25paged_attention_v2_kernelIffLi128ELi16ELi128ELNS_18Fp8KVCacheDataTypeE0ELb1ELi512EEEvPfS2_PT_PKS3_PKT0_S9_ifPKiSB_iPKfiiiSD_SD_iiiii.uses_vcc, 1
	.set _ZN4vllm25paged_attention_v2_kernelIffLi128ELi16ELi128ELNS_18Fp8KVCacheDataTypeE0ELb1ELi512EEEvPfS2_PT_PKS3_PKT0_S9_ifPKiSB_iPKfiiiSD_SD_iiiii.uses_flat_scratch, 0
	.set _ZN4vllm25paged_attention_v2_kernelIffLi128ELi16ELi128ELNS_18Fp8KVCacheDataTypeE0ELb1ELi512EEEvPfS2_PT_PKS3_PKT0_S9_ifPKiSB_iPKfiiiSD_SD_iiiii.has_dyn_sized_stack, 0
	.set _ZN4vllm25paged_attention_v2_kernelIffLi128ELi16ELi128ELNS_18Fp8KVCacheDataTypeE0ELb1ELi512EEEvPfS2_PT_PKS3_PKT0_S9_ifPKiSB_iPKfiiiSD_SD_iiiii.has_recursion, 0
	.set _ZN4vllm25paged_attention_v2_kernelIffLi128ELi16ELi128ELNS_18Fp8KVCacheDataTypeE0ELb1ELi512EEEvPfS2_PT_PKS3_PKT0_S9_ifPKiSB_iPKfiiiSD_SD_iiiii.has_indirect_call, 0
	.section	.AMDGPU.csdata,"",@progbits
; Kernel info:
; codeLenInByte = 8440
; TotalNumSgprs: 48
; NumVgprs: 103
; ScratchSize: 0
; MemoryBound: 0
; FloatMode: 240
; IeeeMode: 1
; LDSByteSize: 544 bytes/workgroup (compile time only)
; SGPRBlocks: 0
; VGPRBlocks: 12
; NumSGPRsForWavesPerEU: 48
; NumVGPRsForWavesPerEU: 103
; Occupancy: 9
; WaveLimiterHint : 1
; COMPUTE_PGM_RSRC2:SCRATCH_EN: 0
; COMPUTE_PGM_RSRC2:USER_SGPR: 6
; COMPUTE_PGM_RSRC2:TRAP_HANDLER: 0
; COMPUTE_PGM_RSRC2:TGID_X_EN: 1
; COMPUTE_PGM_RSRC2:TGID_Y_EN: 1
; COMPUTE_PGM_RSRC2:TGID_Z_EN: 1
; COMPUTE_PGM_RSRC2:TIDIG_COMP_CNT: 0
	.section	.text._ZN4vllm25paged_attention_v2_kernelIffLi192ELi16ELi128ELNS_18Fp8KVCacheDataTypeE0ELb1ELi512EEEvPfS2_PT_PKS3_PKT0_S9_ifPKiSB_iPKfiiiSD_SD_iiiii,"axG",@progbits,_ZN4vllm25paged_attention_v2_kernelIffLi192ELi16ELi128ELNS_18Fp8KVCacheDataTypeE0ELb1ELi512EEEvPfS2_PT_PKS3_PKT0_S9_ifPKiSB_iPKfiiiSD_SD_iiiii,comdat
	.protected	_ZN4vllm25paged_attention_v2_kernelIffLi192ELi16ELi128ELNS_18Fp8KVCacheDataTypeE0ELb1ELi512EEEvPfS2_PT_PKS3_PKT0_S9_ifPKiSB_iPKfiiiSD_SD_iiiii ; -- Begin function _ZN4vllm25paged_attention_v2_kernelIffLi192ELi16ELi128ELNS_18Fp8KVCacheDataTypeE0ELb1ELi512EEEvPfS2_PT_PKS3_PKT0_S9_ifPKiSB_iPKfiiiSD_SD_iiiii
	.globl	_ZN4vllm25paged_attention_v2_kernelIffLi192ELi16ELi128ELNS_18Fp8KVCacheDataTypeE0ELb1ELi512EEEvPfS2_PT_PKS3_PKT0_S9_ifPKiSB_iPKfiiiSD_SD_iiiii
	.p2align	8
	.type	_ZN4vllm25paged_attention_v2_kernelIffLi192ELi16ELi128ELNS_18Fp8KVCacheDataTypeE0ELb1ELi512EEEvPfS2_PT_PKS3_PKT0_S9_ifPKiSB_iPKfiiiSD_SD_iiiii,@function
_ZN4vllm25paged_attention_v2_kernelIffLi192ELi16ELi128ELNS_18Fp8KVCacheDataTypeE0ELb1ELi512EEEvPfS2_PT_PKS3_PKT0_S9_ifPKiSB_iPKfiiiSD_SD_iiiii: ; @_ZN4vllm25paged_attention_v2_kernelIffLi192ELi16ELi128ELNS_18Fp8KVCacheDataTypeE0ELb1ELi512EEEvPfS2_PT_PKS3_PKT0_S9_ifPKiSB_iPKfiiiSD_SD_iiiii
; %bb.0:
	s_mov_b64 s[50:51], s[2:3]
	s_mov_b64 s[48:49], s[0:1]
	s_load_dwordx2 s[0:1], s[4:5], 0x40
	s_add_u32 s48, s48, s9
	s_addc_u32 s49, s49, 0
	s_mov_b32 s26, s7
	s_ashr_i32 s27, s7, 31
	s_lshl_b64 s[2:3], s[26:27], 2
	s_waitcnt lgkmcnt(0)
	s_add_u32 s0, s0, s2
	s_addc_u32 s1, s1, s3
	s_lshl_b32 s38, s8, 9
	s_load_dword s27, s[0:1], 0x0
	s_waitcnt lgkmcnt(0)
	s_cmp_ge_i32 s38, s27
	s_cbranch_scc1 .LBB34_152
; %bb.1:
	s_clause 0x1
	s_load_dword s9, s[4:5], 0x90
	s_load_dwordx2 s[36:37], s[4:5], 0x30
	v_mov_b32_e32 v76, v0
	s_mov_b32 s40, 0
	s_waitcnt lgkmcnt(0)
	s_abs_i32 s3, s9
	s_abs_i32 s0, s36
	v_cvt_f32_u32_e32 v0, s0
	s_sub_i32 s2, 0, s0
	v_rcp_iflag_f32_e32 v0, v0
	v_mul_f32_e32 v0, 0x4f7ffffe, v0
	v_cvt_u32_f32_e32 v0, v0
	v_readfirstlane_b32 s1, v0
	s_mul_i32 s2, s2, s1
	s_mul_hi_u32 s2, s1, s2
	s_add_i32 s1, s1, s2
	s_xor_b32 s2, s9, s36
	s_mul_hi_u32 s1, s3, s1
	s_ashr_i32 s2, s2, 31
	s_mul_i32 s7, s1, s0
	s_sub_i32 s3, s3, s7
	s_add_i32 s7, s1, 1
	s_sub_i32 s10, s3, s0
	s_cmp_ge_u32 s3, s0
	s_cselect_b32 s1, s7, s1
	s_cselect_b32 s3, s10, s3
	s_add_i32 s7, s1, 1
	s_cmp_ge_u32 s3, s0
	s_cselect_b32 s0, s7, s1
	s_xor_b32 s0, s0, s2
	s_sub_i32 s10, s0, s2
	s_load_dwordx2 s[0:1], s[4:5], 0x50
	s_abs_i32 s2, s10
	v_cvt_f32_u32_e32 v0, s2
	s_sub_i32 s3, 0, s2
	v_rcp_iflag_f32_e32 v0, v0
	v_mul_f32_e32 v0, 0x4f7ffffe, v0
	v_cvt_u32_f32_e32 v0, v0
	v_readfirstlane_b32 s7, v0
	s_mul_i32 s3, s3, s7
	s_mul_hi_u32 s11, s7, s3
	s_abs_i32 s3, s6
	s_add_i32 s7, s7, s11
	s_waitcnt lgkmcnt(0)
	s_cmp_eq_u64 s[0:1], 0
	s_mul_hi_u32 s20, s3, s7
	s_cbranch_scc1 .LBB34_3
; %bb.2:
	s_ashr_i32 s7, s6, 31
	s_lshl_b64 s[12:13], s[6:7], 2
	s_add_u32 s0, s0, s12
	s_addc_u32 s1, s1, s13
	s_load_dword s40, s[0:1], 0x0
.LBB34_3:
	s_load_dwordx4 s[12:15], s[4:5], 0x58
	v_and_b32_e32 v1, 1, v76
	v_lshlrev_b32_e32 v2, 3, v76
	v_lshlrev_b32_e32 v7, 2, v76
	s_ashr_i32 s0, s6, 31
	s_ashr_i32 s1, s10, 31
	s_mul_i32 s10, s6, 0xc0
	s_mov_b32 s7, exec_lo
	v_cmpx_gt_u32_e32 0x60, v76
	s_cbranch_execz .LBB34_5
; %bb.4:
	s_load_dwordx2 s[16:17], s[4:5], 0x18
	s_waitcnt lgkmcnt(0)
	s_mul_i32 s18, s12, s26
	v_and_b32_e32 v0, 0xff8, v7
	s_ashr_i32 s19, s18, 31
	s_lshl_b64 s[18:19], s[18:19], 2
	v_mad_u32_u24 v0, 0x180, v1, v0
	s_add_u32 s12, s16, s18
	s_addc_u32 s15, s17, s19
	s_ashr_i32 s11, s10, 31
	s_lshl_b64 s[16:17], s[10:11], 2
	s_add_u32 s16, s12, s16
	s_addc_u32 s17, s15, s17
	global_load_dwordx2 v[3:4], v2, s[16:17]
	s_waitcnt vmcnt(0)
	ds_write_b64 v0, v[3:4]
.LBB34_5:
	s_or_b32 exec_lo, exec_lo, s7
	s_load_dwordx4 s[16:19], s[4:5], 0x78
	s_mul_i32 s7, s20, s2
	s_xor_b32 s0, s0, s1
	s_sub_i32 s1, s3, s7
	s_add_i32 s3, s20, 1
	s_sub_i32 s7, s1, s2
	s_cmp_ge_u32 s1, s2
                                        ; implicit-def: $sgpr33
	s_cselect_b32 s3, s3, s20
	s_cselect_b32 s1, s7, s1
	s_add_i32 s7, s3, 1
	s_cmp_ge_u32 s1, s2
	s_mov_b32 s20, -1
	s_cselect_b32 s1, s7, s3
	s_load_dword s3, s[4:5], 0x88
	s_xor_b32 s1, s1, s0
	s_add_i32 s7, s27, -1
	s_sub_i32 s1, s1, s0
	s_abs_i32 s2, s7
	s_waitcnt lgkmcnt(0)
	s_abs_i32 s11, s19
	s_barrier
	v_cvt_f32_u32_e32 v0, s11
	s_sub_i32 s0, 0, s11
	buffer_gl0_inv
	v_rcp_iflag_f32_e32 v0, v0
	v_mul_f32_e32 v0, 0x4f7ffffe, v0
	v_cvt_u32_f32_e32 v0, v0
	v_readfirstlane_b32 s12, v0
	s_mul_i32 s0, s0, s12
	s_mul_hi_u32 s0, s12, s0
	s_add_i32 s12, s12, s0
	s_cmp_lt_i32 s3, 0
	s_mul_hi_u32 s0, s2, s12
	s_cbranch_scc0 .LBB34_7
; %bb.6:
	s_mul_i32 s15, s16, s36
	s_mov_b32 s20, 0
	s_add_i32 s15, s1, s15
	s_mul_i32 s15, s15, s3
	s_sub_i32 s33, 1, s15
.LBB34_7:
	s_load_dwordx2 s[28:29], s[4:5], 0x38
	s_ashr_i32 s15, s7, 31
	s_andn2_b32 vcc_lo, exec_lo, s20
	s_ashr_i32 s19, s19, 31
	s_cbranch_vccnz .LBB34_9
; %bb.8:
	s_mul_i32 s7, s9, s16
	s_add_i32 s7, s7, s6
	s_mul_i32 s3, s7, s3
	s_add_i32 s33, s3, 1
.LBB34_9:
	s_clause 0x4
	s_load_dword s3, s[4:5], 0x48
	s_load_dwordx2 s[34:35], s[4:5], 0x28
	s_load_dword s7, s[4:5], 0x98
	s_load_dwordx4 s[20:23], s[4:5], 0x0
	s_load_dwordx2 s[24:25], s[4:5], 0x10
	s_mul_i32 s16, s0, s11
	s_xor_b32 s15, s15, s19
	s_sub_i32 s2, s2, s16
	s_add_i32 s36, s0, 1
	v_lshrrev_b32_e32 v77, 5, v76
	v_mov_b32_e32 v8, 0xff7fffff
	v_mbcnt_lo_u32_b32 v0, -1, 0
	s_mul_i32 s14, s1, s14
	v_lshl_add_u32 v105, v77, 4, s38
	s_waitcnt lgkmcnt(0)
	s_mul_i32 s30, s3, s26
	s_sub_i32 s3, s2, s11
	s_ashr_i32 s31, s30, 31
	s_cmp_ge_u32 s2, s11
	s_cselect_b32 s0, s36, s0
	s_cselect_b32 s2, s3, s2
	s_add_i32 s3, s0, 1
	s_cmp_ge_u32 s2, s11
	s_cselect_b32 s0, s3, s0
	s_add_i32 s2, s27, 15
	s_lshl_b32 s41, s8, 5
	s_ashr_i32 s3, s2, 31
	v_or_b32_e32 v101, s41, v77
	s_lshr_b32 s3, s3, 28
	s_add_i32 s2, s2, s3
	s_add_i32 s3, s41, 32
	s_ashr_i32 s36, s2, 4
	s_xor_b32 s2, s0, s15
	s_min_i32 s16, s3, s36
	v_ashrrev_i32_e32 v102, 31, v101
	v_cmp_gt_i32_e64 s0, s16, v101
	s_sub_i32 s39, s2, s15
	s_and_saveexec_b32 s42, s0
	s_cbranch_execz .LBB34_21
; %bb.10:
	s_load_dwordx2 s[2:3], s[4:5], 0x20
	s_ashr_i32 s15, s14, 31
	s_sub_i32 s4, s39, s17
	s_lshl_b64 s[44:45], s[14:15], 2
	v_bfe_u32 v9, v76, 1, 4
	v_cmp_eq_u32_e32 vcc_lo, 0, v1
	v_and_b32_e32 v4, 8, v2
	v_mul_u32_u24_e32 v10, 0x180, v1
	v_lshlrev_b64 v[1:2], 2, v[101:102]
	v_lshlrev_b32_e32 v5, 2, v9
	v_subrev_nc_u32_e32 v6, s27, v9
	v_lshlrev_b32_e32 v16, 4, v9
	v_cmp_neq_f32_e64 s1, s40, 0
	v_lshl_add_u32 v11, v77, 4, s38
	v_lshl_or_b32 v5, v77, 6, v5
	v_add_nc_u32_e32 v14, 1, v6
	v_mov_b32_e32 v12, 0xff7fffff
	v_xor_b32_e32 v13, 1, v0
	v_mov_b32_e32 v8, 0xff7fffff
	v_add_nc_u32_e32 v15, 0x320, v5
	s_waitcnt lgkmcnt(0)
	s_add_u32 s15, s2, s44
	s_addc_u32 s43, s3, s45
	s_abs_i32 s5, s18
	v_add_co_u32 v6, s15, s15, v16
	v_cvt_f32_u32_e32 v3, s5
	s_sub_i32 s2, 0, s5
	v_add_co_ci_u32_e64 v17, null, s43, 0, s15
	v_mov_b32_e32 v19, v101
	v_rcp_iflag_f32_e32 v3, v3
	s_mov_b32 s15, 0
	s_mov_b32 s43, s13
	v_mul_f32_e32 v3, 0x4f7ffffe, v3
	v_cvt_u32_f32_e32 v3, v3
	v_mul_lo_u32 v5, s2, v3
	s_lshl_b64 s[2:3], s[30:31], 2
	s_add_u32 s2, s28, s2
	s_addc_u32 s3, s29, s3
	v_add_co_u32 v1, s2, s2, v1
	v_add_co_ci_u32_e64 v2, null, s3, v2, s2
	v_mul_hi_u32 v5, v3, v5
	v_add_co_u32 v16, s2, v6, v4
	v_add_co_ci_u32_e64 v17, null, 0, v17, s2
	v_add_nc_u32_e32 v18, v3, v5
	s_branch .LBB34_13
.LBB34_11:                              ;   in Loop: Header=BB34_13 Depth=1
	s_or_b32 exec_lo, exec_lo, s44
.LBB34_12:                              ;   in Loop: Header=BB34_13 Depth=1
	s_or_b32 exec_lo, exec_lo, s3
	v_add_nc_u32_e32 v19, 4, v19
	v_add_co_u32 v1, s3, v1, 16
	v_add_co_ci_u32_e64 v2, null, 0, v2, s3
	v_cmp_le_i32_e64 s2, s16, v19
	v_add_nc_u32_e32 v11, 64, v11
	v_add_nc_u32_e32 v15, 0x100, v15
	s_or_b32 s15, s2, s15
	s_andn2_b32 exec_lo, exec_lo, s15
	s_cbranch_execz .LBB34_20
.LBB34_13:                              ; =>This Inner Loop Header: Depth=1
	v_sub_nc_u32_e32 v3, 0, v11
	v_max_i32_e32 v3, v11, v3
	s_waitcnt lgkmcnt(0)
	v_mul_hi_u32 v4, v3, s12
	v_mul_lo_u32 v5, v4, s11
	v_sub_nc_u32_e32 v3, v3, v5
	v_add_nc_u32_e32 v5, 1, v4
	v_subrev_nc_u32_e32 v6, s11, v3
	v_cmp_le_u32_e64 s2, s11, v3
	v_cndmask_b32_e64 v4, v4, v5, s2
	v_cndmask_b32_e64 v3, v3, v6, s2
	v_ashrrev_i32_e32 v5, 31, v11
	v_add_nc_u32_e32 v6, 1, v4
	v_cmp_le_u32_e64 s2, s11, v3
	v_xor_b32_e32 v5, s19, v5
	v_cndmask_b32_e64 v3, v4, v6, s2
	v_xor_b32_e32 v3, v3, v5
	v_sub_nc_u32_e32 v3, v3, v5
	v_add_nc_u32_e32 v4, s33, v3
	v_cmp_ge_i32_e64 s3, s4, v3
	v_sub_nc_u32_e32 v5, 0, v4
	v_max_i32_e32 v5, v4, v5
	v_ashrrev_i32_e32 v4, 31, v4
	v_mul_hi_u32 v6, v5, v18
	v_mul_lo_u32 v6, v6, s5
	v_sub_nc_u32_e32 v5, v5, v6
	v_subrev_nc_u32_e32 v6, s5, v5
	v_cmp_le_u32_e64 s2, s5, v5
	v_cndmask_b32_e64 v5, v5, v6, s2
	v_subrev_nc_u32_e32 v6, s5, v5
	v_cmp_le_u32_e64 s2, s5, v5
	v_cndmask_b32_e64 v5, v5, v6, s2
	v_xor_b32_e32 v5, v5, v4
	v_sub_nc_u32_e32 v4, v5, v4
	v_cmp_ne_u32_e64 s2, 0, v4
	s_and_b32 s2, s2, s3
	s_and_saveexec_b32 s3, s2
	s_xor_b32 s2, exec_lo, s3
	s_cbranch_execz .LBB34_17
; %bb.14:                               ;   in Loop: Header=BB34_13 Depth=1
	s_and_saveexec_b32 s3, vcc_lo
; %bb.15:                               ;   in Loop: Header=BB34_13 Depth=1
	ds_write_b32 v15, v12
; %bb.16:                               ;   in Loop: Header=BB34_13 Depth=1
	s_or_b32 exec_lo, exec_lo, s3
.LBB34_17:                              ;   in Loop: Header=BB34_13 Depth=1
	s_andn2_saveexec_b32 s3, s2
	s_cbranch_execz .LBB34_12
; %bb.18:                               ;   in Loop: Header=BB34_13 Depth=1
	global_load_dword v3, v[1:2], off
	s_waitcnt vmcnt(0)
	v_mad_i64_i32 v[3:4], null, v3, s43, 0
	v_lshlrev_b64 v[3:4], 2, v[3:4]
	v_add_co_u32 v5, s2, v16, v3
	v_add_co_ci_u32_e64 v6, null, v17, v4, s2
	s_clause 0x7
	global_load_dwordx2 v[3:4], v[5:6], off offset:256
	global_load_dwordx2 v[30:31], v[5:6], off
	global_load_dwordx2 v[32:33], v[5:6], off offset:512
	global_load_dwordx2 v[34:35], v[5:6], off offset:768
	;; [unrolled: 1-line block ×6, first 2 shown]
	v_add_co_u32 v20, s2, v5, 0x1000
	v_add_co_ci_u32_e64 v21, null, 0, v6, s2
	v_add_co_u32 v22, s2, 0x800, v5
	v_add_co_ci_u32_e64 v23, null, 0, v6, s2
	s_clause 0x7
	global_load_dwordx2 v[44:45], v[20:21], off offset:-2048
	global_load_dwordx2 v[46:47], v[22:23], off offset:256
	global_load_dwordx2 v[48:49], v[22:23], off offset:512
	;; [unrolled: 1-line block ×7, first 2 shown]
	ds_read_b128 v[22:25], v10
	v_add_co_u32 v60, s2, 0x1000, v5
	v_add_co_ci_u32_e64 v61, null, 0, v6, s2
	s_clause 0x1
	global_load_dwordx2 v[62:63], v[20:21], off
	global_load_dwordx2 v[64:65], v[60:61], off offset:256
	ds_read_b128 v[26:29], v10 offset:16
	s_clause 0x3
	global_load_dwordx2 v[66:67], v[60:61], off offset:512
	global_load_dwordx2 v[68:69], v[60:61], off offset:768
	;; [unrolled: 1-line block ×4, first 2 shown]
	s_waitcnt vmcnt(21) lgkmcnt(1)
	v_mul_f32_e32 v20, v24, v3
	v_mul_f32_e32 v21, v25, v4
	v_add_co_u32 v3, s2, v5, 0x2000
	v_add_co_ci_u32_e64 v4, null, 0, v6, s2
	s_waitcnt vmcnt(20)
	v_fmac_f32_e32 v20, v22, v30
	v_fmac_f32_e32 v21, v23, v31
	ds_read_b128 v[22:25], v10 offset:32
	s_waitcnt vmcnt(19) lgkmcnt(1)
	v_fmac_f32_e32 v20, v26, v32
	v_fmac_f32_e32 v21, v27, v33
	s_waitcnt vmcnt(18)
	v_fmac_f32_e32 v20, v28, v34
	v_fmac_f32_e32 v21, v29, v35
	global_load_dwordx2 v[34:35], v[60:61], off offset:1536
	ds_read_b128 v[26:29], v10 offset:48
	s_waitcnt vmcnt(18) lgkmcnt(1)
	v_fmac_f32_e32 v20, v22, v36
	v_fmac_f32_e32 v21, v23, v37
	global_load_dwordx2 v[36:37], v[60:61], off offset:1792
	s_waitcnt vmcnt(18)
	v_fmac_f32_e32 v20, v24, v38
	v_add_co_u32 v38, s2, 0x1800, v5
	v_fmac_f32_e32 v21, v25, v39
	v_add_co_ci_u32_e64 v39, null, 0, v6, s2
	s_clause 0x1
	global_load_dwordx2 v[60:61], v[3:4], off offset:-2048
	global_load_dwordx2 v[74:75], v[38:39], off offset:256
	s_waitcnt vmcnt(19) lgkmcnt(0)
	v_fmac_f32_e32 v20, v26, v40
	v_fmac_f32_e32 v21, v27, v41
	s_waitcnt vmcnt(18)
	v_fmac_f32_e32 v20, v28, v42
	v_fmac_f32_e32 v21, v29, v43
	ds_read_b128 v[22:25], v10 offset:64
	ds_read_b128 v[26:29], v10 offset:80
	s_clause 0x2
	global_load_dwordx2 v[3:4], v[3:4], off
	global_load_dwordx2 v[40:41], v[38:39], off offset:512
	global_load_dwordx2 v[42:43], v[38:39], off offset:768
	ds_read_b128 v[30:33], v10 offset:128
	s_waitcnt vmcnt(20) lgkmcnt(2)
	v_fmac_f32_e32 v20, v22, v44
	v_fmac_f32_e32 v21, v23, v45
	global_load_dwordx2 v[44:45], v[38:39], off offset:1024
	s_waitcnt vmcnt(20)
	v_fmac_f32_e32 v20, v24, v46
	v_fmac_f32_e32 v21, v25, v47
	ds_read_b128 v[22:25], v10 offset:96
	s_waitcnt vmcnt(19) lgkmcnt(2)
	v_fmac_f32_e32 v20, v26, v48
	v_fmac_f32_e32 v21, v27, v49
	s_waitcnt vmcnt(18)
	v_fmac_f32_e32 v20, v28, v50
	v_fmac_f32_e32 v21, v29, v51
	ds_read_b128 v[26:29], v10 offset:112
	s_clause 0x2
	global_load_dwordx2 v[46:47], v[38:39], off offset:1280
	global_load_dwordx2 v[48:49], v[38:39], off offset:1536
	;; [unrolled: 1-line block ×3, first 2 shown]
	v_add_co_u32 v50, s2, 0x2000, v5
	v_add_co_ci_u32_e64 v51, null, 0, v6, s2
	v_add_co_u32 v5, s2, 0x2800, v5
	v_add_co_ci_u32_e64 v6, null, 0, v6, s2
	s_waitcnt vmcnt(20) lgkmcnt(1)
	v_fmac_f32_e32 v20, v22, v52
	v_fmac_f32_e32 v21, v23, v53
	global_load_dwordx2 v[52:53], v[50:51], off offset:256
	v_cmp_gt_i32_e64 s2, 32, v13
	s_waitcnt vmcnt(20)
	v_fmac_f32_e32 v20, v24, v54
	v_fmac_f32_e32 v21, v25, v55
	ds_read_b128 v[22:25], v10 offset:144
	s_waitcnt vmcnt(19) lgkmcnt(1)
	v_fmac_f32_e32 v20, v26, v56
	v_fmac_f32_e32 v21, v27, v57
	s_waitcnt vmcnt(18)
	v_fmac_f32_e32 v20, v28, v58
	v_fmac_f32_e32 v21, v29, v59
	ds_read_b128 v[26:29], v10 offset:160
	s_clause 0x1
	global_load_dwordx2 v[54:55], v[50:51], off offset:512
	global_load_dwordx2 v[56:57], v[50:51], off offset:768
	s_waitcnt vmcnt(19)
	v_fmac_f32_e32 v20, v30, v62
	v_fmac_f32_e32 v21, v31, v63
	s_clause 0x1
	global_load_dwordx2 v[58:59], v[50:51], off offset:1024
	global_load_dwordx2 v[62:63], v[50:51], off offset:1280
	s_waitcnt vmcnt(20)
	v_fmac_f32_e32 v20, v32, v64
	v_fmac_f32_e32 v21, v33, v65
	s_clause 0x1
	global_load_dwordx2 v[64:65], v[50:51], off offset:1536
	global_load_dwordx2 v[50:51], v[50:51], off offset:1792
	s_waitcnt vmcnt(21) lgkmcnt(1)
	v_fmac_f32_e32 v20, v22, v66
	v_fmac_f32_e32 v21, v23, v67
	s_waitcnt vmcnt(20)
	v_fmac_f32_e32 v20, v24, v68
	v_fmac_f32_e32 v21, v25, v69
	ds_read_b128 v[22:25], v10 offset:176
	s_waitcnt vmcnt(19) lgkmcnt(1)
	v_fmac_f32_e32 v20, v26, v70
	v_fmac_f32_e32 v21, v27, v71
	s_waitcnt vmcnt(18)
	v_fmac_f32_e32 v20, v28, v72
	v_fmac_f32_e32 v21, v29, v73
	ds_read_b128 v[26:29], v10 offset:192
	s_clause 0x1
	global_load_dwordx2 v[66:67], v[5:6], off
	global_load_dwordx2 v[68:69], v[5:6], off offset:256
	s_waitcnt vmcnt(19) lgkmcnt(1)
	v_fmac_f32_e32 v20, v22, v34
	v_fmac_f32_e32 v21, v23, v35
	global_load_dwordx2 v[34:35], v[5:6], off offset:512
	s_waitcnt vmcnt(19)
	v_fmac_f32_e32 v20, v24, v36
	v_fmac_f32_e32 v21, v25, v37
	global_load_dwordx2 v[36:37], v[5:6], off offset:768
	ds_read_b128 v[22:25], v10 offset:208
	s_waitcnt vmcnt(19) lgkmcnt(1)
	v_fmac_f32_e32 v20, v26, v60
	v_fmac_f32_e32 v21, v27, v61
	global_load_dwordx2 v[60:61], v[5:6], off offset:1024
	s_waitcnt vmcnt(19)
	v_fmac_f32_e32 v20, v74, v28
	v_fmac_f32_e32 v21, v75, v29
	s_clause 0x2
	global_load_dwordx2 v[70:71], v[5:6], off offset:1280
	global_load_dwordx2 v[72:73], v[5:6], off offset:1536
	;; [unrolled: 1-line block ×3, first 2 shown]
	ds_read_b128 v[26:29], v10 offset:224
	ds_read_b128 v[30:33], v10 offset:256
	s_waitcnt vmcnt(20) lgkmcnt(2)
	v_fmac_f32_e32 v20, v40, v22
	v_fmac_f32_e32 v21, v41, v23
	s_waitcnt vmcnt(19)
	v_fmac_f32_e32 v20, v42, v24
	v_fmac_f32_e32 v21, v43, v25
	ds_read_b128 v[22:25], v10 offset:240
	s_waitcnt vmcnt(18) lgkmcnt(2)
	v_fmac_f32_e32 v20, v44, v26
	v_fmac_f32_e32 v21, v45, v27
	s_waitcnt vmcnt(17)
	v_fmac_f32_e32 v20, v46, v28
	v_fmac_f32_e32 v21, v47, v29
	;; [unrolled: 7-line block ×3, first 2 shown]
	ds_read_b128 v[22:25], v10 offset:288
	v_fmac_f32_e32 v20, v3, v30
	v_fmac_f32_e32 v21, v4, v31
	ds_read_b128 v[3:6], v10 offset:304
	s_waitcnt vmcnt(14)
	v_fmac_f32_e32 v20, v52, v32
	v_fmac_f32_e32 v21, v53, v33
	s_waitcnt vmcnt(13) lgkmcnt(2)
	v_fmac_f32_e32 v20, v54, v26
	v_fmac_f32_e32 v21, v55, v27
	s_waitcnt vmcnt(12)
	v_fmac_f32_e32 v20, v56, v28
	v_fmac_f32_e32 v21, v57, v29
	ds_read_b128 v[26:29], v10 offset:320
	s_waitcnt vmcnt(11) lgkmcnt(2)
	v_fmac_f32_e32 v20, v58, v22
	v_fmac_f32_e32 v21, v59, v23
	s_waitcnt vmcnt(10)
	v_fmac_f32_e32 v20, v62, v24
	v_fmac_f32_e32 v21, v63, v25
	ds_read_b128 v[22:25], v10 offset:336
	;; [unrolled: 7-line block ×4, first 2 shown]
	s_waitcnt vmcnt(5) lgkmcnt(2)
	v_fmac_f32_e32 v20, v34, v22
	v_fmac_f32_e32 v21, v35, v23
	s_waitcnt vmcnt(4)
	v_fmac_f32_e32 v20, v36, v24
	v_fmac_f32_e32 v21, v37, v25
	s_waitcnt vmcnt(3) lgkmcnt(1)
	v_fmac_f32_e32 v20, v60, v3
	v_fmac_f32_e32 v21, v61, v4
	v_cndmask_b32_e64 v3, v0, v13, s2
	s_waitcnt vmcnt(2)
	v_fmac_f32_e32 v20, v70, v5
	v_fmac_f32_e32 v21, v71, v6
	v_lshlrev_b32_e32 v4, 2, v3
	s_waitcnt vmcnt(1) lgkmcnt(0)
	v_fmac_f32_e32 v20, v72, v26
	v_fmac_f32_e32 v21, v73, v27
	s_waitcnt vmcnt(0)
	v_fmac_f32_e32 v20, v74, v28
	v_fmac_f32_e32 v21, v75, v29
	v_add_f32_e32 v3, v20, v21
	ds_bpermute_b32 v4, v4, v3
	s_and_saveexec_b32 s44, vcc_lo
	s_cbranch_execz .LBB34_11
; %bb.19:                               ;   in Loop: Header=BB34_13 Depth=1
	v_add_nc_u32_e32 v5, v14, v11
	s_waitcnt lgkmcnt(0)
	v_add_f32_e32 v3, v3, v4
	v_cvt_f32_i32_e32 v5, v5
	v_mul_f32_e32 v5, s40, v5
	v_cndmask_b32_e64 v4, 0, v5, s1
	v_max_f32_e32 v5, v8, v8
	v_fmac_f32_e32 v4, s37, v3
	v_add_nc_u32_e32 v3, v9, v11
	v_max_f32_e32 v5, v5, v4
	v_cmp_gt_i32_e64 s2, s27, v3
	v_cndmask_b32_e64 v3, 0, v4, s2
	v_cndmask_b32_e64 v8, v8, v5, s2
	ds_write_b32 v15, v3
	s_branch .LBB34_11
.LBB34_20:
	s_or_b32 exec_lo, exec_lo, s15
.LBB34_21:
	s_or_b32 exec_lo, exec_lo, s42
	v_xor_b32_e32 v1, 16, v0
	v_xor_b32_e32 v3, 8, v0
	s_waitcnt lgkmcnt(0)
	v_max_f32_e32 v4, v8, v8
	v_xor_b32_e32 v5, 4, v0
	v_and_b32_e32 v43, 31, v76
	v_cmp_gt_i32_e32 vcc_lo, 32, v1
	v_cndmask_b32_e32 v1, v0, v1, vcc_lo
	v_cmp_gt_i32_e32 vcc_lo, 32, v3
	v_lshlrev_b32_e32 v1, 2, v1
	v_cndmask_b32_e32 v3, v0, v3, vcc_lo
	v_cmp_gt_i32_e32 vcc_lo, 32, v5
	ds_bpermute_b32 v2, v1, v8
	v_lshlrev_b32_e32 v3, 2, v3
	v_cndmask_b32_e32 v5, v0, v5, vcc_lo
	s_waitcnt lgkmcnt(0)
	v_max_f32_e32 v2, v2, v2
	v_max_f32_e32 v2, v4, v2
	ds_bpermute_b32 v4, v3, v2
	s_waitcnt lgkmcnt(0)
	v_max_f32_e32 v6, v4, v4
	v_lshlrev_b32_e32 v4, 2, v5
	v_max_f32_e32 v2, v2, v6
	v_xor_b32_e32 v6, 2, v0
	ds_bpermute_b32 v5, v4, v2
	v_cmp_gt_i32_e32 vcc_lo, 32, v6
	v_cndmask_b32_e32 v6, v0, v6, vcc_lo
	v_cmp_eq_u32_e32 vcc_lo, 0, v43
	v_lshlrev_b32_e32 v107, 2, v6
	s_waitcnt lgkmcnt(0)
	v_max_f32_e32 v5, v5, v5
	v_max_f32_e32 v2, v2, v5
	v_lshlrev_b32_e32 v5, 2, v77
	ds_bpermute_b32 v6, v107, v2
	s_and_saveexec_b32 s1, vcc_lo
	s_cbranch_execz .LBB34_23
; %bb.22:
	s_waitcnt lgkmcnt(0)
	v_max_f32_e32 v6, v6, v6
	v_max_f32_e32 v2, v2, v2
	v_max_f32_e32 v2, v2, v6
	ds_write_b32 v5, v2 offset:768
.LBB34_23:
	s_or_b32 exec_lo, exec_lo, s1
	v_cmp_gt_u32_e64 s1, 4, v43
	v_mov_b32_e32 v2, 0xff7fffff
	s_waitcnt lgkmcnt(0)
	v_lshlrev_b32_e32 v6, 2, v43
	s_barrier
	buffer_gl0_inv
	s_and_saveexec_b32 s2, s1
; %bb.24:
	ds_read_b32 v2, v6 offset:768
; %bb.25:
	s_or_b32 exec_lo, exec_lo, s2
	s_waitcnt lgkmcnt(0)
	ds_bpermute_b32 v8, v107, v2
	v_xor_b32_e32 v9, 1, v0
	v_max_f32_e32 v2, v2, v2
	v_cmp_gt_i32_e64 s2, 32, v9
	v_cndmask_b32_e64 v0, v0, v9, s2
	s_sub_i32 s2, s16, s41
	s_lshl_b32 s2, s2, 4
	v_lshlrev_b32_e32 v108, 2, v0
	s_add_i32 s2, s2, s38
	s_min_i32 s2, s2, s27
	s_waitcnt lgkmcnt(0)
	v_max_f32_e32 v8, v8, v8
	s_sub_i32 s4, s2, s38
	v_cmp_gt_i32_e64 s2, s4, v76
	v_max_f32_e32 v0, v2, v8
	v_mov_b32_e32 v8, 0
	ds_bpermute_b32 v2, v108, v0
	s_waitcnt lgkmcnt(0)
	v_max_f32_e32 v2, v2, v2
	v_max_f32_e32 v0, v0, v2
	v_lshl_add_u32 v2, v76, 2, 0x320
	ds_bpermute_b32 v0, v8, v0
	s_and_saveexec_b32 s5, s2
	s_cbranch_execz .LBB34_29
; %bb.26:
	v_lshl_add_u32 v9, v76, 2, 0x320
	v_mov_b32_e32 v8, 0
	v_mov_b32_e32 v10, v76
	s_mov_b32 s15, 0
	.p2align	6
.LBB34_27:                              ; =>This Inner Loop Header: Depth=1
	ds_read_b32 v11, v9
	v_add_nc_u32_e32 v10, 0x80, v10
	v_cmp_le_i32_e64 s3, s4, v10
	s_or_b32 s15, s3, s15
	s_waitcnt lgkmcnt(0)
	v_sub_f32_e32 v11, v11, v0
	v_mul_f32_e32 v11, 0x3fb8aa3b, v11
	v_exp_f32_e32 v11, v11
	ds_write_b32 v9, v11
	v_add_f32_e32 v8, v8, v11
	v_add_nc_u32_e32 v9, 0x200, v9
	s_andn2_b32 exec_lo, exec_lo, s15
	s_cbranch_execnz .LBB34_27
; %bb.28:
	s_or_b32 exec_lo, exec_lo, s15
.LBB34_29:
	s_or_b32 exec_lo, exec_lo, s5
	ds_bpermute_b32 v1, v1, v8
	s_waitcnt lgkmcnt(0)
	v_add_f32_e32 v1, v8, v1
	ds_bpermute_b32 v3, v3, v1
	s_waitcnt lgkmcnt(0)
	v_add_f32_e32 v1, v1, v3
	;; [unrolled: 3-line block ×5, first 2 shown]
	s_and_saveexec_b32 s3, vcc_lo
; %bb.30:
	ds_write_b32 v5, v1 offset:784
; %bb.31:
	s_or_b32 exec_lo, exec_lo, s3
	s_waitcnt lgkmcnt(0)
	s_barrier
	buffer_gl0_inv
	s_and_saveexec_b32 s3, s1
; %bb.32:
	ds_read_b32 v1, v6 offset:784
; %bb.33:
	s_or_b32 exec_lo, exec_lo, s3
	s_waitcnt lgkmcnt(0)
	ds_bpermute_b32 v3, v107, v1
	s_waitcnt lgkmcnt(0)
	v_add_f32_e32 v1, v1, v3
	ds_bpermute_b32 v3, v108, v1
	s_waitcnt lgkmcnt(0)
	v_add_f32_e32 v1, v1, v3
	v_mov_b32_e32 v3, 0
	ds_bpermute_b32 v1, v3, v1
	s_and_saveexec_b32 s1, s2
	s_cbranch_execz .LBB34_36
; %bb.34:
	s_waitcnt lgkmcnt(0)
	v_add_f32_e32 v3, 0x358637bd, v1
	s_mov_b32 s2, 0
	v_div_scale_f32 v4, null, v3, v3, 1.0
	v_div_scale_f32 v8, vcc_lo, 1.0, v3, 1.0
	v_rcp_f32_e32 v5, v4
	v_fma_f32 v6, -v4, v5, 1.0
	v_fmac_f32_e32 v5, v6, v5
	v_mul_f32_e32 v6, v8, v5
	v_fma_f32 v9, -v4, v6, v8
	v_fmac_f32_e32 v6, v9, v5
	v_fma_f32 v4, -v4, v6, v8
	v_div_fmas_f32 v4, v4, v5, v6
	v_div_fixup_f32 v3, v4, v3, 1.0
	v_mov_b32_e32 v4, v76
.LBB34_35:                              ; =>This Inner Loop Header: Depth=1
	ds_read_b32 v5, v2
	v_add_nc_u32_e32 v4, 0x80, v4
	v_cmp_le_i32_e32 vcc_lo, s4, v4
	s_or_b32 s2, vcc_lo, s2
	s_waitcnt lgkmcnt(0)
	v_mul_f32_e32 v5, v3, v5
	ds_write_b32 v2, v5
	v_add_nc_u32_e32 v2, 0x200, v2
	s_andn2_b32 exec_lo, exec_lo, s2
	s_cbranch_execnz .LBB34_35
.LBB34_36:
	s_or_b32 exec_lo, exec_lo, s1
	s_mul_i32 s1, s7, s26
	s_waitcnt lgkmcnt(0)
	s_mul_i32 s2, s1, s9
	s_mov_b32 s1, exec_lo
	s_barrier
	buffer_gl0_inv
	v_cmpx_eq_u32_e32 0, v76
	s_cbranch_execz .LBB34_38
; %bb.37:
	s_ashr_i32 s3, s2, 31
	s_mul_i32 s40, s7, s6
	s_lshl_b64 s[4:5], s[2:3], 2
	v_mov_b32_e32 v2, 0
	s_add_u32 s3, s22, s4
	s_addc_u32 s6, s23, s5
	s_ashr_i32 s41, s40, 31
	s_lshl_b64 s[22:23], s[40:41], 2
	s_add_u32 s3, s3, s22
	s_addc_u32 s6, s6, s23
	s_ashr_i32 s9, s8, 31
	s_lshl_b64 s[40:41], s[8:9], 2
	s_add_u32 s42, s3, s40
	s_addc_u32 s43, s6, s41
	s_add_u32 s3, s20, s4
	s_addc_u32 s4, s21, s5
	;; [unrolled: 2-line block ×4, first 2 shown]
	global_store_dword v2, v0, s[42:43]
	global_store_dword v2, v1, s[4:5]
.LBB34_38:
	s_or_b32 exec_lo, exec_lo, s1
	v_mov_b32_e32 v0, 0
	v_and_b32_e32 v44, 3, v76
	v_mov_b32_e32 v20, 0
	v_mov_b32_e32 v19, 0
	;; [unrolled: 1-line block ×23, first 2 shown]
	s_and_saveexec_b32 s1, s0
	s_cbranch_execz .LBB34_92
; %bb.39:
	s_ashr_i32 s15, s14, 31
	s_sub_i32 s3, s39, s17
	s_lshl_b64 s[4:5], s[14:15], 2
	v_and_b32_e32 v1, 12, v7
	s_add_u32 s0, s34, s4
	s_addc_u32 s6, s35, s5
	s_abs_i32 s4, s18
	v_lshlrev_b32_e32 v2, 4, v76
	v_cvt_f32_u32_e32 v0, s4
	s_sub_i32 s5, 0, s4
	buffer_store_dword v43, off, s[48:51], 0 offset:52 ; 4-byte Folded Spill
	buffer_store_dword v1, off, s[48:51], 0 offset:32 ; 4-byte Folded Spill
	;; [unrolled: 1-line block ×3, first 2 shown]
	v_lshlrev_b32_e32 v4, 4, v44
	v_rcp_iflag_f32_e32 v3, v0
	v_lshlrev_b64 v[0:1], 2, v[101:102]
	v_and_b32_e32 v2, 0x1f0, v2
	s_lshl_b64 s[14:15], s[30:31], 2
	v_lshl_or_b32 v4, v77, 6, v4
	v_mov_b32_e32 v117, 0
	v_mov_b32_e32 v118, 0
	v_add_co_u32 v2, s0, s0, v2
	v_mov_b32_e32 v119, 0
	v_mul_f32_e32 v3, 0x4f7ffffe, v3
	v_mov_b32_e32 v120, 0
	v_mov_b32_e32 v121, 0
	;; [unrolled: 1-line block ×4, first 2 shown]
	v_cvt_u32_f32_e32 v3, v3
	v_mov_b32_e32 v124, 0
	v_mov_b32_e32 v125, 0
	;; [unrolled: 1-line block ×4, first 2 shown]
	v_mul_lo_u32 v5, s5, v3
	s_add_i32 s5, s36, -1
	s_add_u32 s9, s28, s14
	s_addc_u32 s14, s29, s15
	v_add_co_u32 v102, vcc_lo, s9, v0
	v_mov_b32_e32 v109, 0
	v_mov_b32_e32 v104, 0
	v_mul_hi_u32 v5, v3, v5
	v_mov_b32_e32 v106, 0
	v_mov_b32_e32 v24, 0
	;; [unrolled: 1-line block ×3, first 2 shown]
	buffer_store_dword v2, off, s[48:51], 0 offset:36 ; 4-byte Folded Spill
	v_add_co_ci_u32_e64 v2, null, s6, 0, s0
	v_add_nc_u32_e32 v112, 0x320, v4
	v_add_nc_u32_e32 v0, v3, v5
	v_add_co_ci_u32_e64 v103, null, s14, v1, vcc_lo
	v_mov_b32_e32 v111, 0
	v_mov_b32_e32 v26, 0
	buffer_store_dword v0, off, s[48:51], 0 ; 4-byte Folded Spill
	v_mov_b32_e32 v27, 0
	v_mov_b32_e32 v25, 0
	;; [unrolled: 1-line block ×6, first 2 shown]
	s_mov_b32 s9, s13
	s_mov_b32 s6, 0
	buffer_store_dword v44, off, s[48:51], 0 offset:56 ; 4-byte Folded Spill
	buffer_store_dword v77, off, s[48:51], 0 offset:48 ; 4-byte Folded Spill
	;; [unrolled: 1-line block ×3, first 2 shown]
	s_branch .LBB34_42
.LBB34_40:                              ;   in Loop: Header=BB34_42 Depth=1
	s_or_b32 exec_lo, exec_lo, s0
	s_waitcnt vmcnt(18) lgkmcnt(0)
	v_mul_f32_e32 v25, v1, v25
	v_mul_f32_e32 v21, v1, v21
	;; [unrolled: 1-line block ×3, first 2 shown]
	s_waitcnt vmcnt(1)
	v_mul_f32_e32 v97, v1, v97
	v_mul_f32_e32 v93, v1, v93
	v_fmac_f32_e32 v25, v2, v26
	buffer_load_dword v26, off, s[48:51], 0 offset:4 ; 4-byte Folded Reload
	v_fmac_f32_e32 v21, v2, v22
	v_fmac_f32_e32 v17, v2, v18
	v_mul_f32_e32 v89, v1, v89
	v_fmac_f32_e32 v25, v3, v27
	s_clause 0x1
	buffer_load_dword v27, off, s[48:51], 0 offset:8
	buffer_load_dword v18, off, s[48:51], 0 offset:16
	v_fmac_f32_e32 v21, v3, v23
	v_fmac_f32_e32 v17, v3, v19
	;; [unrolled: 1-line block ×3, first 2 shown]
	v_mul_f32_e32 v85, v1, v85
	v_mul_f32_e32 v81, v1, v81
	v_fmac_f32_e32 v21, v4, v24
	v_fmac_f32_e32 v17, v4, v20
	v_mov_b32_e32 v24, v0
	buffer_load_dword v0, off, s[48:51], 0 offset:24 ; 4-byte Folded Reload
	v_mul_f32_e32 v77, v1, v77
	v_mul_f32_e32 v73, v1, v73
	;; [unrolled: 1-line block ×15, first 2 shown]
	s_waitcnt vmcnt(4)
	v_mul_f32_e32 v1, v1, v69
	v_fmac_f32_e32 v97, v2, v98
	v_fmac_f32_e32 v93, v2, v94
	;; [unrolled: 1-line block ×63, first 2 shown]
	v_add_f32_e32 v118, v118, v97
	v_add_f32_e32 v119, v119, v93
	;; [unrolled: 1-line block ×17, first 2 shown]
	s_clause 0x1
	buffer_load_dword v19, off, s[48:51], 0 offset:20
	buffer_load_dword v20, off, s[48:51], 0 offset:28
	s_waitcnt vmcnt(5)
	v_add_f32_e32 v26, v26, v29
	s_waitcnt vmcnt(4)
	v_add_f32_e32 v27, v27, v25
	buffer_load_dword v25, off, s[48:51], 0 offset:12 ; 4-byte Folded Reload
	s_waitcnt vmcnt(4)
	v_add_f32_e32 v18, v18, v17
	s_waitcnt vmcnt(3)
	v_add_f32_e32 v0, v0, v5
	;; [unrolled: 2-line block ×5, first 2 shown]
.LBB34_41:                              ;   in Loop: Header=BB34_42 Depth=1
	s_or_b32 exec_lo, exec_lo, s13
	v_add_nc_u32_e32 v101, 4, v101
	v_add_co_u32 v102, s0, v102, 16
	v_add_co_ci_u32_e64 v103, null, 0, v103, s0
	v_cmp_le_i32_e32 vcc_lo, s16, v101
	v_add_nc_u32_e32 v105, 64, v105
	v_add_nc_u32_e32 v112, 0x100, v112
	s_or_b32 s6, vcc_lo, s6
	s_andn2_b32 exec_lo, exec_lo, s6
	s_cbranch_execz .LBB34_91
.LBB34_42:                              ; =>This Inner Loop Header: Depth=1
	v_sub_nc_u32_e32 v1, 0, v105
	v_max_i32_e32 v1, v105, v1
	v_mul_hi_u32 v2, v1, s12
	v_mul_lo_u32 v3, v2, s11
	v_sub_nc_u32_e32 v1, v1, v3
	v_add_nc_u32_e32 v3, 1, v2
	v_subrev_nc_u32_e32 v4, s11, v1
	v_cmp_le_u32_e32 vcc_lo, s11, v1
	v_cndmask_b32_e32 v2, v2, v3, vcc_lo
	v_cndmask_b32_e32 v1, v1, v4, vcc_lo
	v_ashrrev_i32_e32 v3, 31, v105
	v_add_nc_u32_e32 v4, 1, v2
	v_cmp_le_u32_e32 vcc_lo, s11, v1
	v_xor_b32_e32 v3, s19, v3
	v_cndmask_b32_e32 v1, v2, v4, vcc_lo
	buffer_load_dword v4, off, s[48:51], 0  ; 4-byte Folded Reload
	v_xor_b32_e32 v1, v1, v3
	v_sub_nc_u32_e32 v1, v1, v3
	v_add_nc_u32_e32 v2, s33, v1
	v_cmp_lt_i32_e64 s0, s3, v1
	v_sub_nc_u32_e32 v3, 0, v2
	v_max_i32_e32 v3, v2, v3
	v_ashrrev_i32_e32 v2, 31, v2
	s_waitcnt vmcnt(0)
	v_mul_hi_u32 v4, v3, v4
	v_mul_lo_u32 v4, v4, s4
	v_sub_nc_u32_e32 v3, v3, v4
	v_subrev_nc_u32_e32 v4, s4, v3
	v_cmp_le_u32_e32 vcc_lo, s4, v3
	v_cndmask_b32_e32 v3, v3, v4, vcc_lo
	v_subrev_nc_u32_e32 v4, s4, v3
	v_cmp_le_u32_e32 vcc_lo, s4, v3
	v_cndmask_b32_e32 v3, v3, v4, vcc_lo
	v_xor_b32_e32 v3, v3, v2
	v_sub_nc_u32_e32 v2, v3, v2
	v_cmp_eq_u32_e32 vcc_lo, 0, v2
	s_or_b32 s0, vcc_lo, s0
	s_and_saveexec_b32 s13, s0
	s_cbranch_execz .LBB34_41
; %bb.43:                               ;   in Loop: Header=BB34_42 Depth=1
	buffer_store_dword v20, off, s[48:51], 0 offset:28 ; 4-byte Folded Spill
	buffer_store_dword v0, off, s[48:51], 0 offset:24 ; 4-byte Folded Spill
	;; [unrolled: 1-line block ×7, first 2 shown]
	global_load_dword v1, v[102:103], off
	s_clause 0x1
	buffer_load_dword v3, off, s[48:51], 0 offset:36
	buffer_load_dword v9, off, s[48:51], 0 offset:32
	v_mov_b32_e32 v0, v24
	s_waitcnt vmcnt(2)
	v_mad_i64_i32 v[1:2], null, v1, s9, 0
	s_waitcnt vmcnt(0)
	v_add_nc_u32_e32 v114, v9, v105
	v_add_nc_u32_e32 v116, 1, v114
	v_lshlrev_b64 v[1:2], 2, v[1:2]
	v_add_nc_u32_e32 v115, 2, v114
	v_add_nc_u32_e32 v113, 3, v114
	v_add_co_u32 v69, vcc_lo, v3, v1
	buffer_load_dword v1, off, s[48:51], 0 offset:40 ; 4-byte Folded Reload
	s_waitcnt vmcnt(0)
	v_add_co_ci_u32_e64 v70, null, v1, v2, vcc_lo
	ds_read_b128 v[1:4], v112
	v_cmp_eq_u32_e32 vcc_lo, s5, v101
	global_load_dwordx4 v[5:8], v[69:70], off
	s_and_saveexec_b32 s14, vcc_lo
	s_cbranch_execnz .LBB34_72
; %bb.44:                               ;   in Loop: Header=BB34_42 Depth=1
	s_or_b32 exec_lo, exec_lo, s14
	global_load_dwordx4 v[9:12], v[69:70], off offset:512
	s_and_saveexec_b32 s14, vcc_lo
	s_cbranch_execnz .LBB34_73
.LBB34_45:                              ;   in Loop: Header=BB34_42 Depth=1
	s_or_b32 exec_lo, exec_lo, s14
	global_load_dwordx4 v[13:16], v[69:70], off offset:1024
	s_and_saveexec_b32 s14, vcc_lo
	s_cbranch_execnz .LBB34_74
.LBB34_46:                              ;   in Loop: Header=BB34_42 Depth=1
	s_or_b32 exec_lo, exec_lo, s14
	global_load_dwordx4 v[17:20], v[69:70], off offset:1536
	s_and_saveexec_b32 s14, vcc_lo
	s_cbranch_execz .LBB34_48
.LBB34_47:                              ;   in Loop: Header=BB34_42 Depth=1
	v_cmp_gt_i32_e64 s0, s27, v114
	s_waitcnt vmcnt(0)
	v_cndmask_b32_e64 v17, 0, v17, s0
	v_cmp_gt_i32_e64 s0, s27, v116
	v_cndmask_b32_e64 v18, 0, v18, s0
	v_cmp_gt_i32_e64 s0, s27, v115
	;; [unrolled: 2-line block ×3, first 2 shown]
	v_cndmask_b32_e64 v20, 0, v20, s0
.LBB34_48:                              ;   in Loop: Header=BB34_42 Depth=1
	s_or_b32 exec_lo, exec_lo, s14
	v_add_co_u32 v33, s0, 0x800, v69
	v_add_co_ci_u32_e64 v34, null, 0, v70, s0
	global_load_dwordx4 v[21:24], v[33:34], off
	s_and_saveexec_b32 s14, vcc_lo
	s_cbranch_execnz .LBB34_75
; %bb.49:                               ;   in Loop: Header=BB34_42 Depth=1
	s_or_b32 exec_lo, exec_lo, s14
	global_load_dwordx4 v[25:28], v[33:34], off offset:512
	s_and_saveexec_b32 s14, vcc_lo
	s_cbranch_execnz .LBB34_76
.LBB34_50:                              ;   in Loop: Header=BB34_42 Depth=1
	s_or_b32 exec_lo, exec_lo, s14
	global_load_dwordx4 v[29:32], v[33:34], off offset:1024
	s_and_saveexec_b32 s14, vcc_lo
	s_cbranch_execnz .LBB34_77
.LBB34_51:                              ;   in Loop: Header=BB34_42 Depth=1
	s_or_b32 exec_lo, exec_lo, s14
	global_load_dwordx4 v[33:36], v[33:34], off offset:1536
	s_and_saveexec_b32 s14, vcc_lo
	s_cbranch_execz .LBB34_53
.LBB34_52:                              ;   in Loop: Header=BB34_42 Depth=1
	v_cmp_gt_i32_e64 s0, s27, v114
	s_waitcnt vmcnt(0)
	v_cndmask_b32_e64 v33, 0, v33, s0
	v_cmp_gt_i32_e64 s0, s27, v116
	v_cndmask_b32_e64 v34, 0, v34, s0
	v_cmp_gt_i32_e64 s0, s27, v115
	;; [unrolled: 2-line block ×3, first 2 shown]
	v_cndmask_b32_e64 v36, 0, v36, s0
.LBB34_53:                              ;   in Loop: Header=BB34_42 Depth=1
	s_or_b32 exec_lo, exec_lo, s14
	v_add_co_u32 v49, s0, 0x1000, v69
	v_add_co_ci_u32_e64 v50, null, 0, v70, s0
	global_load_dwordx4 v[37:40], v[49:50], off
	s_and_saveexec_b32 s14, vcc_lo
	s_cbranch_execnz .LBB34_78
; %bb.54:                               ;   in Loop: Header=BB34_42 Depth=1
	s_or_b32 exec_lo, exec_lo, s14
	global_load_dwordx4 v[41:44], v[49:50], off offset:512
	s_and_saveexec_b32 s14, vcc_lo
	s_cbranch_execnz .LBB34_79
.LBB34_55:                              ;   in Loop: Header=BB34_42 Depth=1
	s_or_b32 exec_lo, exec_lo, s14
	global_load_dwordx4 v[45:48], v[49:50], off offset:1024
	s_and_saveexec_b32 s14, vcc_lo
	s_cbranch_execnz .LBB34_80
.LBB34_56:                              ;   in Loop: Header=BB34_42 Depth=1
	s_or_b32 exec_lo, exec_lo, s14
	global_load_dwordx4 v[49:52], v[49:50], off offset:1536
	s_and_saveexec_b32 s14, vcc_lo
	s_cbranch_execz .LBB34_58
.LBB34_57:                              ;   in Loop: Header=BB34_42 Depth=1
	v_cmp_gt_i32_e64 s0, s27, v114
	s_waitcnt vmcnt(0)
	v_cndmask_b32_e64 v49, 0, v49, s0
	v_cmp_gt_i32_e64 s0, s27, v116
	v_cndmask_b32_e64 v50, 0, v50, s0
	v_cmp_gt_i32_e64 s0, s27, v115
	;; [unrolled: 2-line block ×3, first 2 shown]
	v_cndmask_b32_e64 v52, 0, v52, s0
.LBB34_58:                              ;   in Loop: Header=BB34_42 Depth=1
	s_or_b32 exec_lo, exec_lo, s14
	v_add_co_u32 v65, s0, 0x1800, v69
	v_add_co_ci_u32_e64 v66, null, 0, v70, s0
	global_load_dwordx4 v[53:56], v[65:66], off
	s_and_saveexec_b32 s14, vcc_lo
	s_cbranch_execnz .LBB34_81
; %bb.59:                               ;   in Loop: Header=BB34_42 Depth=1
	s_or_b32 exec_lo, exec_lo, s14
	global_load_dwordx4 v[57:60], v[65:66], off offset:512
	s_and_saveexec_b32 s14, vcc_lo
	s_cbranch_execnz .LBB34_82
.LBB34_60:                              ;   in Loop: Header=BB34_42 Depth=1
	s_or_b32 exec_lo, exec_lo, s14
	global_load_dwordx4 v[61:64], v[65:66], off offset:1024
	s_and_saveexec_b32 s14, vcc_lo
	s_cbranch_execnz .LBB34_83
.LBB34_61:                              ;   in Loop: Header=BB34_42 Depth=1
	s_or_b32 exec_lo, exec_lo, s14
	global_load_dwordx4 v[65:68], v[65:66], off offset:1536
	s_and_saveexec_b32 s14, vcc_lo
	s_cbranch_execz .LBB34_63
.LBB34_62:                              ;   in Loop: Header=BB34_42 Depth=1
	v_cmp_gt_i32_e64 s0, s27, v114
	s_waitcnt vmcnt(0)
	v_cndmask_b32_e64 v65, 0, v65, s0
	v_cmp_gt_i32_e64 s0, s27, v116
	v_cndmask_b32_e64 v66, 0, v66, s0
	v_cmp_gt_i32_e64 s0, s27, v115
	;; [unrolled: 2-line block ×3, first 2 shown]
	v_cndmask_b32_e64 v68, 0, v68, s0
.LBB34_63:                              ;   in Loop: Header=BB34_42 Depth=1
	s_or_b32 exec_lo, exec_lo, s14
	v_add_co_u32 v71, s0, 0x2000, v69
	v_add_co_ci_u32_e64 v72, null, 0, v70, s0
	global_load_dwordx4 v[73:76], v[71:72], off
	s_and_saveexec_b32 s14, vcc_lo
	s_cbranch_execnz .LBB34_84
; %bb.64:                               ;   in Loop: Header=BB34_42 Depth=1
	s_or_b32 exec_lo, exec_lo, s14
	global_load_dwordx4 v[77:80], v[71:72], off offset:512
	s_and_saveexec_b32 s14, vcc_lo
	s_cbranch_execnz .LBB34_85
.LBB34_65:                              ;   in Loop: Header=BB34_42 Depth=1
	s_or_b32 exec_lo, exec_lo, s14
	global_load_dwordx4 v[81:84], v[71:72], off offset:1024
	s_and_saveexec_b32 s14, vcc_lo
	s_cbranch_execnz .LBB34_86
.LBB34_66:                              ;   in Loop: Header=BB34_42 Depth=1
	s_or_b32 exec_lo, exec_lo, s14
	global_load_dwordx4 v[85:88], v[71:72], off offset:1536
	s_and_saveexec_b32 s14, vcc_lo
	s_cbranch_execz .LBB34_68
.LBB34_67:                              ;   in Loop: Header=BB34_42 Depth=1
	v_cmp_gt_i32_e64 s0, s27, v114
	s_waitcnt vmcnt(0)
	v_cndmask_b32_e64 v85, 0, v85, s0
	v_cmp_gt_i32_e64 s0, s27, v116
	v_cndmask_b32_e64 v86, 0, v86, s0
	v_cmp_gt_i32_e64 s0, s27, v115
	;; [unrolled: 2-line block ×3, first 2 shown]
	v_cndmask_b32_e64 v88, 0, v88, s0
.LBB34_68:                              ;   in Loop: Header=BB34_42 Depth=1
	s_or_b32 exec_lo, exec_lo, s14
	v_add_co_u32 v69, s0, 0x2800, v69
	v_add_co_ci_u32_e64 v70, null, 0, v70, s0
	global_load_dwordx4 v[89:92], v[69:70], off
	s_and_saveexec_b32 s14, vcc_lo
	s_cbranch_execnz .LBB34_87
; %bb.69:                               ;   in Loop: Header=BB34_42 Depth=1
	s_or_b32 exec_lo, exec_lo, s14
	global_load_dwordx4 v[93:96], v[69:70], off offset:512
	s_and_saveexec_b32 s14, vcc_lo
	s_cbranch_execnz .LBB34_88
.LBB34_70:                              ;   in Loop: Header=BB34_42 Depth=1
	s_or_b32 exec_lo, exec_lo, s14
	global_load_dwordx4 v[97:100], v[69:70], off offset:1024
	s_and_saveexec_b32 s14, vcc_lo
	s_cbranch_execnz .LBB34_89
.LBB34_71:                              ;   in Loop: Header=BB34_42 Depth=1
	s_or_b32 exec_lo, exec_lo, s14
	global_load_dwordx4 v[69:72], v[69:70], off offset:1536
	s_and_saveexec_b32 s0, vcc_lo
	s_cbranch_execz .LBB34_40
	s_branch .LBB34_90
.LBB34_72:                              ;   in Loop: Header=BB34_42 Depth=1
	v_cmp_gt_i32_e64 s0, s27, v114
	s_waitcnt vmcnt(0)
	v_cndmask_b32_e64 v5, 0, v5, s0
	v_cmp_gt_i32_e64 s0, s27, v116
	v_cndmask_b32_e64 v6, 0, v6, s0
	v_cmp_gt_i32_e64 s0, s27, v115
	;; [unrolled: 2-line block ×3, first 2 shown]
	v_cndmask_b32_e64 v8, 0, v8, s0
	s_or_b32 exec_lo, exec_lo, s14
	global_load_dwordx4 v[9:12], v[69:70], off offset:512
	s_and_saveexec_b32 s14, vcc_lo
	s_cbranch_execz .LBB34_45
.LBB34_73:                              ;   in Loop: Header=BB34_42 Depth=1
	v_cmp_gt_i32_e64 s0, s27, v114
	s_waitcnt vmcnt(0)
	v_cndmask_b32_e64 v9, 0, v9, s0
	v_cmp_gt_i32_e64 s0, s27, v116
	v_cndmask_b32_e64 v10, 0, v10, s0
	v_cmp_gt_i32_e64 s0, s27, v115
	;; [unrolled: 2-line block ×3, first 2 shown]
	v_cndmask_b32_e64 v12, 0, v12, s0
	s_or_b32 exec_lo, exec_lo, s14
	global_load_dwordx4 v[13:16], v[69:70], off offset:1024
	s_and_saveexec_b32 s14, vcc_lo
	s_cbranch_execz .LBB34_46
.LBB34_74:                              ;   in Loop: Header=BB34_42 Depth=1
	v_cmp_gt_i32_e64 s0, s27, v114
	s_waitcnt vmcnt(0)
	v_cndmask_b32_e64 v13, 0, v13, s0
	v_cmp_gt_i32_e64 s0, s27, v116
	v_cndmask_b32_e64 v14, 0, v14, s0
	v_cmp_gt_i32_e64 s0, s27, v115
	;; [unrolled: 2-line block ×3, first 2 shown]
	v_cndmask_b32_e64 v16, 0, v16, s0
	s_or_b32 exec_lo, exec_lo, s14
	global_load_dwordx4 v[17:20], v[69:70], off offset:1536
	s_and_saveexec_b32 s14, vcc_lo
	s_cbranch_execnz .LBB34_47
	s_branch .LBB34_48
.LBB34_75:                              ;   in Loop: Header=BB34_42 Depth=1
	v_cmp_gt_i32_e64 s0, s27, v114
	s_waitcnt vmcnt(0)
	v_cndmask_b32_e64 v21, 0, v21, s0
	v_cmp_gt_i32_e64 s0, s27, v116
	v_cndmask_b32_e64 v22, 0, v22, s0
	v_cmp_gt_i32_e64 s0, s27, v115
	v_cndmask_b32_e64 v23, 0, v23, s0
	v_cmp_gt_i32_e64 s0, s27, v113
	v_cndmask_b32_e64 v24, 0, v24, s0
	s_or_b32 exec_lo, exec_lo, s14
	global_load_dwordx4 v[25:28], v[33:34], off offset:512
	s_and_saveexec_b32 s14, vcc_lo
	s_cbranch_execz .LBB34_50
.LBB34_76:                              ;   in Loop: Header=BB34_42 Depth=1
	v_cmp_gt_i32_e64 s0, s27, v114
	s_waitcnt vmcnt(0)
	v_cndmask_b32_e64 v25, 0, v25, s0
	v_cmp_gt_i32_e64 s0, s27, v116
	v_cndmask_b32_e64 v26, 0, v26, s0
	v_cmp_gt_i32_e64 s0, s27, v115
	;; [unrolled: 2-line block ×3, first 2 shown]
	v_cndmask_b32_e64 v28, 0, v28, s0
	s_or_b32 exec_lo, exec_lo, s14
	global_load_dwordx4 v[29:32], v[33:34], off offset:1024
	s_and_saveexec_b32 s14, vcc_lo
	s_cbranch_execz .LBB34_51
.LBB34_77:                              ;   in Loop: Header=BB34_42 Depth=1
	v_cmp_gt_i32_e64 s0, s27, v114
	s_waitcnt vmcnt(0)
	v_cndmask_b32_e64 v29, 0, v29, s0
	v_cmp_gt_i32_e64 s0, s27, v116
	v_cndmask_b32_e64 v30, 0, v30, s0
	v_cmp_gt_i32_e64 s0, s27, v115
	;; [unrolled: 2-line block ×3, first 2 shown]
	v_cndmask_b32_e64 v32, 0, v32, s0
	s_or_b32 exec_lo, exec_lo, s14
	global_load_dwordx4 v[33:36], v[33:34], off offset:1536
	s_and_saveexec_b32 s14, vcc_lo
	s_cbranch_execnz .LBB34_52
	s_branch .LBB34_53
.LBB34_78:                              ;   in Loop: Header=BB34_42 Depth=1
	v_cmp_gt_i32_e64 s0, s27, v114
	s_waitcnt vmcnt(0)
	v_cndmask_b32_e64 v37, 0, v37, s0
	v_cmp_gt_i32_e64 s0, s27, v116
	v_cndmask_b32_e64 v38, 0, v38, s0
	v_cmp_gt_i32_e64 s0, s27, v115
	;; [unrolled: 2-line block ×3, first 2 shown]
	v_cndmask_b32_e64 v40, 0, v40, s0
	s_or_b32 exec_lo, exec_lo, s14
	global_load_dwordx4 v[41:44], v[49:50], off offset:512
	s_and_saveexec_b32 s14, vcc_lo
	s_cbranch_execz .LBB34_55
.LBB34_79:                              ;   in Loop: Header=BB34_42 Depth=1
	v_cmp_gt_i32_e64 s0, s27, v114
	s_waitcnt vmcnt(0)
	v_cndmask_b32_e64 v41, 0, v41, s0
	v_cmp_gt_i32_e64 s0, s27, v116
	v_cndmask_b32_e64 v42, 0, v42, s0
	v_cmp_gt_i32_e64 s0, s27, v115
	;; [unrolled: 2-line block ×3, first 2 shown]
	v_cndmask_b32_e64 v44, 0, v44, s0
	s_or_b32 exec_lo, exec_lo, s14
	global_load_dwordx4 v[45:48], v[49:50], off offset:1024
	s_and_saveexec_b32 s14, vcc_lo
	s_cbranch_execz .LBB34_56
.LBB34_80:                              ;   in Loop: Header=BB34_42 Depth=1
	v_cmp_gt_i32_e64 s0, s27, v114
	s_waitcnt vmcnt(0)
	v_cndmask_b32_e64 v45, 0, v45, s0
	v_cmp_gt_i32_e64 s0, s27, v116
	v_cndmask_b32_e64 v46, 0, v46, s0
	v_cmp_gt_i32_e64 s0, s27, v115
	;; [unrolled: 2-line block ×3, first 2 shown]
	v_cndmask_b32_e64 v48, 0, v48, s0
	s_or_b32 exec_lo, exec_lo, s14
	global_load_dwordx4 v[49:52], v[49:50], off offset:1536
	s_and_saveexec_b32 s14, vcc_lo
	s_cbranch_execnz .LBB34_57
	s_branch .LBB34_58
.LBB34_81:                              ;   in Loop: Header=BB34_42 Depth=1
	v_cmp_gt_i32_e64 s0, s27, v114
	s_waitcnt vmcnt(0)
	v_cndmask_b32_e64 v53, 0, v53, s0
	v_cmp_gt_i32_e64 s0, s27, v116
	v_cndmask_b32_e64 v54, 0, v54, s0
	v_cmp_gt_i32_e64 s0, s27, v115
	;; [unrolled: 2-line block ×3, first 2 shown]
	v_cndmask_b32_e64 v56, 0, v56, s0
	s_or_b32 exec_lo, exec_lo, s14
	global_load_dwordx4 v[57:60], v[65:66], off offset:512
	s_and_saveexec_b32 s14, vcc_lo
	s_cbranch_execz .LBB34_60
.LBB34_82:                              ;   in Loop: Header=BB34_42 Depth=1
	v_cmp_gt_i32_e64 s0, s27, v114
	s_waitcnt vmcnt(0)
	v_cndmask_b32_e64 v57, 0, v57, s0
	v_cmp_gt_i32_e64 s0, s27, v116
	v_cndmask_b32_e64 v58, 0, v58, s0
	v_cmp_gt_i32_e64 s0, s27, v115
	;; [unrolled: 2-line block ×3, first 2 shown]
	v_cndmask_b32_e64 v60, 0, v60, s0
	s_or_b32 exec_lo, exec_lo, s14
	global_load_dwordx4 v[61:64], v[65:66], off offset:1024
	s_and_saveexec_b32 s14, vcc_lo
	s_cbranch_execz .LBB34_61
.LBB34_83:                              ;   in Loop: Header=BB34_42 Depth=1
	v_cmp_gt_i32_e64 s0, s27, v114
	s_waitcnt vmcnt(0)
	v_cndmask_b32_e64 v61, 0, v61, s0
	v_cmp_gt_i32_e64 s0, s27, v116
	v_cndmask_b32_e64 v62, 0, v62, s0
	v_cmp_gt_i32_e64 s0, s27, v115
	;; [unrolled: 2-line block ×3, first 2 shown]
	v_cndmask_b32_e64 v64, 0, v64, s0
	s_or_b32 exec_lo, exec_lo, s14
	global_load_dwordx4 v[65:68], v[65:66], off offset:1536
	s_and_saveexec_b32 s14, vcc_lo
	s_cbranch_execnz .LBB34_62
	s_branch .LBB34_63
.LBB34_84:                              ;   in Loop: Header=BB34_42 Depth=1
	v_cmp_gt_i32_e64 s0, s27, v114
	s_waitcnt vmcnt(0)
	v_cndmask_b32_e64 v73, 0, v73, s0
	v_cmp_gt_i32_e64 s0, s27, v116
	v_cndmask_b32_e64 v74, 0, v74, s0
	v_cmp_gt_i32_e64 s0, s27, v115
	v_cndmask_b32_e64 v75, 0, v75, s0
	v_cmp_gt_i32_e64 s0, s27, v113
	v_cndmask_b32_e64 v76, 0, v76, s0
	s_or_b32 exec_lo, exec_lo, s14
	global_load_dwordx4 v[77:80], v[71:72], off offset:512
	s_and_saveexec_b32 s14, vcc_lo
	s_cbranch_execz .LBB34_65
.LBB34_85:                              ;   in Loop: Header=BB34_42 Depth=1
	v_cmp_gt_i32_e64 s0, s27, v114
	s_waitcnt vmcnt(0)
	v_cndmask_b32_e64 v77, 0, v77, s0
	v_cmp_gt_i32_e64 s0, s27, v116
	v_cndmask_b32_e64 v78, 0, v78, s0
	v_cmp_gt_i32_e64 s0, s27, v115
	;; [unrolled: 2-line block ×3, first 2 shown]
	v_cndmask_b32_e64 v80, 0, v80, s0
	s_or_b32 exec_lo, exec_lo, s14
	global_load_dwordx4 v[81:84], v[71:72], off offset:1024
	s_and_saveexec_b32 s14, vcc_lo
	s_cbranch_execz .LBB34_66
.LBB34_86:                              ;   in Loop: Header=BB34_42 Depth=1
	v_cmp_gt_i32_e64 s0, s27, v114
	s_waitcnt vmcnt(0)
	v_cndmask_b32_e64 v81, 0, v81, s0
	v_cmp_gt_i32_e64 s0, s27, v116
	v_cndmask_b32_e64 v82, 0, v82, s0
	v_cmp_gt_i32_e64 s0, s27, v115
	v_cndmask_b32_e64 v83, 0, v83, s0
	v_cmp_gt_i32_e64 s0, s27, v113
	v_cndmask_b32_e64 v84, 0, v84, s0
	s_or_b32 exec_lo, exec_lo, s14
	global_load_dwordx4 v[85:88], v[71:72], off offset:1536
	s_and_saveexec_b32 s14, vcc_lo
	s_cbranch_execnz .LBB34_67
	s_branch .LBB34_68
.LBB34_87:                              ;   in Loop: Header=BB34_42 Depth=1
	v_cmp_gt_i32_e64 s0, s27, v114
	s_waitcnt vmcnt(0)
	v_cndmask_b32_e64 v89, 0, v89, s0
	v_cmp_gt_i32_e64 s0, s27, v116
	v_cndmask_b32_e64 v90, 0, v90, s0
	v_cmp_gt_i32_e64 s0, s27, v115
	;; [unrolled: 2-line block ×3, first 2 shown]
	v_cndmask_b32_e64 v92, 0, v92, s0
	s_or_b32 exec_lo, exec_lo, s14
	global_load_dwordx4 v[93:96], v[69:70], off offset:512
	s_and_saveexec_b32 s14, vcc_lo
	s_cbranch_execz .LBB34_70
.LBB34_88:                              ;   in Loop: Header=BB34_42 Depth=1
	v_cmp_gt_i32_e64 s0, s27, v114
	s_waitcnt vmcnt(0)
	v_cndmask_b32_e64 v93, 0, v93, s0
	v_cmp_gt_i32_e64 s0, s27, v116
	v_cndmask_b32_e64 v94, 0, v94, s0
	v_cmp_gt_i32_e64 s0, s27, v115
	;; [unrolled: 2-line block ×3, first 2 shown]
	v_cndmask_b32_e64 v96, 0, v96, s0
	s_or_b32 exec_lo, exec_lo, s14
	global_load_dwordx4 v[97:100], v[69:70], off offset:1024
	s_and_saveexec_b32 s14, vcc_lo
	s_cbranch_execz .LBB34_71
.LBB34_89:                              ;   in Loop: Header=BB34_42 Depth=1
	v_cmp_gt_i32_e64 s0, s27, v114
	s_waitcnt vmcnt(0)
	v_cndmask_b32_e64 v97, 0, v97, s0
	v_cmp_gt_i32_e64 s0, s27, v116
	v_cndmask_b32_e64 v98, 0, v98, s0
	v_cmp_gt_i32_e64 s0, s27, v115
	;; [unrolled: 2-line block ×3, first 2 shown]
	v_cndmask_b32_e64 v100, 0, v100, s0
	s_or_b32 exec_lo, exec_lo, s14
	global_load_dwordx4 v[69:72], v[69:70], off offset:1536
	s_and_saveexec_b32 s0, vcc_lo
	s_cbranch_execz .LBB34_40
.LBB34_90:                              ;   in Loop: Header=BB34_42 Depth=1
	v_cmp_gt_i32_e32 vcc_lo, s27, v114
	s_waitcnt vmcnt(0)
	v_cndmask_b32_e32 v69, 0, v69, vcc_lo
	v_cmp_gt_i32_e32 vcc_lo, s27, v116
	v_cndmask_b32_e32 v70, 0, v70, vcc_lo
	v_cmp_gt_i32_e32 vcc_lo, s27, v115
	v_cndmask_b32_e32 v71, 0, v71, vcc_lo
	v_cmp_gt_i32_e32 vcc_lo, s27, v113
	v_cndmask_b32_e32 v72, 0, v72, vcc_lo
	s_branch .LBB34_40
.LBB34_91:
	s_or_b32 exec_lo, exec_lo, s6
	s_clause 0x3
	buffer_load_dword v76, off, s[48:51], 0 offset:44
	buffer_load_dword v77, off, s[48:51], 0 offset:48
	;; [unrolled: 1-line block ×4, first 2 shown]
.LBB34_92:
	s_or_b32 exec_lo, exec_lo, s1
	ds_bpermute_b32 v1, v107, v0
	ds_bpermute_b32 v2, v107, v20
	;; [unrolled: 1-line block ×19, first 2 shown]
	s_mov_b32 s0, exec_lo
	s_waitcnt lgkmcnt(18)
	v_add_f32_e32 v0, v0, v1
	s_waitcnt lgkmcnt(17)
	v_add_f32_e32 v1, v20, v2
	;; [unrolled: 2-line block ×4, first 2 shown]
	ds_bpermute_b32 v4, v107, v123
	ds_bpermute_b32 v18, v108, v0
	;; [unrolled: 1-line block ×5, first 2 shown]
	s_waitcnt lgkmcnt(19)
	v_add_f32_e32 v5, v25, v5
	s_waitcnt lgkmcnt(18)
	v_add_f32_e32 v6, v27, v6
	;; [unrolled: 2-line block ×5, first 2 shown]
	ds_bpermute_b32 v24, v108, v5
	ds_bpermute_b32 v25, v108, v6
	s_waitcnt lgkmcnt(16)
	v_add_f32_e32 v9, v110, v9
	s_waitcnt lgkmcnt(15)
	v_add_f32_e32 v11, v106, v11
	ds_bpermute_b32 v26, v108, v7
	s_waitcnt lgkmcnt(15)
	v_add_f32_e32 v12, v104, v12
	s_waitcnt lgkmcnt(14)
	v_add_f32_e32 v13, v109, v13
	s_waitcnt lgkmcnt(13)
	v_add_f32_e32 v14, v127, v14
	s_waitcnt lgkmcnt(12)
	v_add_f32_e32 v15, v126, v15
	s_waitcnt lgkmcnt(11)
	v_add_f32_e32 v16, v125, v16
	s_waitcnt lgkmcnt(10)
	v_add_f32_e32 v17, v124, v17
	s_waitcnt lgkmcnt(6)
	v_add_f32_e32 v0, v0, v18
	s_waitcnt lgkmcnt(5)
	v_add_f32_e32 v1, v1, v19
	s_waitcnt lgkmcnt(4)
	v_add_f32_e32 v2, v2, v20
	s_waitcnt lgkmcnt(3)
	v_add_f32_e32 v3, v3, v21
	ds_bpermute_b32 v18, v107, v120
	ds_bpermute_b32 v19, v107, v119
	;; [unrolled: 1-line block ×4, first 2 shown]
	v_add_f32_e32 v35, v123, v4
	v_add_f32_e32 v22, v122, v22
	;; [unrolled: 1-line block ×3, first 2 shown]
	ds_bpermute_b32 v27, v108, v8
	ds_bpermute_b32 v28, v108, v9
	;; [unrolled: 1-line block ×11, first 2 shown]
	s_waitcnt lgkmcnt(17)
	v_add_f32_e32 v4, v5, v24
	s_waitcnt lgkmcnt(16)
	v_add_f32_e32 v5, v6, v25
	;; [unrolled: 2-line block ×6, first 2 shown]
	ds_bpermute_b32 v18, v108, v22
	ds_bpermute_b32 v19, v108, v23
	;; [unrolled: 1-line block ×6, first 2 shown]
	v_add_f32_e32 v6, v7, v26
	s_waitcnt vmcnt(1)
	v_and_b32_e32 v26, 28, v43
	s_waitcnt lgkmcnt(16)
	v_add_f32_e32 v7, v8, v27
	s_waitcnt lgkmcnt(15)
	v_add_f32_e32 v8, v9, v28
	;; [unrolled: 2-line block ×11, first 2 shown]
	v_and_b32_e32 v27, 0x3c3, v76
	s_waitcnt lgkmcnt(5)
	v_add_f32_e32 v18, v22, v18
	s_waitcnt lgkmcnt(4)
	v_add_f32_e32 v19, v23, v19
	;; [unrolled: 2-line block ×6, first 2 shown]
	v_lshrrev_b32_e32 v24, 2, v43
	v_add_nc_u32_e32 v25, 0x320, v26
	v_mul_u32_u24_e32 v26, 0x300, v77
	s_waitcnt vmcnt(0)
	s_waitcnt_vscnt null, 0x0
	s_barrier
	buffer_gl0_inv
	v_cmpx_eq_u32_e32 64, v27
	s_cbranch_execz .LBB34_94
; %bb.93:
	v_add_nc_u32_e32 v27, v25, v26
	v_add_nc_u32_e32 v28, 0xfffffa00, v27
	;; [unrolled: 1-line block ×7, first 2 shown]
	ds_write_b32 v28, v0
	ds_write_b32 v29, v1
	;; [unrolled: 1-line block ×4, first 2 shown]
	v_add_nc_u32_e32 v28, 0xfffffac0, v27
	v_add_nc_u32_e32 v29, 0xfffffae0, v27
	v_add_nc_u32_e32 v30, 0xfffffb00, v27
	ds_write_b32 v32, v4
	ds_write_b32 v33, v5
	ds_write_b32 v28, v6
	ds_write_b32 v29, v7
	ds_write_b32 v30, v8
	v_add_nc_u32_e32 v28, 0xfffffb20, v27
	v_add_nc_u32_e32 v29, 0xfffffb40, v27
	v_add_nc_u32_e32 v30, 0xfffffb60, v27
	v_add_nc_u32_e32 v31, 0xfffffb80, v27
	v_add_nc_u32_e32 v32, 0xfffffba0, v27
	ds_write_b32 v28, v9
	ds_write_b32 v29, v10
	ds_write_b32 v30, v11
	ds_write_b32 v31, v12
	ds_write_b32 v32, v13
	v_add_nc_u32_e32 v28, 0xfffffbc0, v27
	v_add_nc_u32_e32 v29, 0xfffffbe0, v27
	;; [unrolled: 10-line block ×3, first 2 shown]
	v_add_nc_u32_e32 v30, 0xfffffca0, v27
	v_add_nc_u32_e32 v31, 0xfffffcc0, v27
	;; [unrolled: 1-line block ×3, first 2 shown]
	ds_write_b32 v28, v19
	ds_write_b32 v29, v20
	;; [unrolled: 1-line block ×5, first 2 shown]
.LBB34_94:
	s_or_b32 exec_lo, exec_lo, s0
	v_lshlrev_b32_e32 v24, 2, v24
	s_mov_b32 s1, exec_lo
	v_cmp_eq_u32_e32 vcc_lo, 0, v44
	s_waitcnt lgkmcnt(0)
	s_barrier
	v_add3_u32 v24, 0x320, v26, v24
	buffer_gl0_inv
	v_cmpx_gt_u32_e32 64, v76
	s_cbranch_execz .LBB34_121
; %bb.95:
	s_and_saveexec_b32 s0, vcc_lo
	s_cbranch_execnz .LBB34_153
; %bb.96:
	s_or_b32 exec_lo, exec_lo, s0
	s_and_saveexec_b32 s0, vcc_lo
	s_cbranch_execnz .LBB34_154
.LBB34_97:
	s_or_b32 exec_lo, exec_lo, s0
	s_and_saveexec_b32 s0, vcc_lo
	s_cbranch_execnz .LBB34_155
.LBB34_98:
	s_or_b32 exec_lo, exec_lo, s0
	s_and_saveexec_b32 s0, vcc_lo
	s_cbranch_execnz .LBB34_156
.LBB34_99:
	s_or_b32 exec_lo, exec_lo, s0
	s_and_saveexec_b32 s0, vcc_lo
	s_cbranch_execnz .LBB34_157
.LBB34_100:
	s_or_b32 exec_lo, exec_lo, s0
	s_and_saveexec_b32 s0, vcc_lo
	s_cbranch_execnz .LBB34_158
.LBB34_101:
	s_or_b32 exec_lo, exec_lo, s0
	s_and_saveexec_b32 s0, vcc_lo
	s_cbranch_execnz .LBB34_159
.LBB34_102:
	s_or_b32 exec_lo, exec_lo, s0
	s_and_saveexec_b32 s0, vcc_lo
	s_cbranch_execnz .LBB34_160
.LBB34_103:
	s_or_b32 exec_lo, exec_lo, s0
	s_and_saveexec_b32 s0, vcc_lo
	s_cbranch_execnz .LBB34_161
.LBB34_104:
	s_or_b32 exec_lo, exec_lo, s0
	s_and_saveexec_b32 s0, vcc_lo
	s_cbranch_execnz .LBB34_162
.LBB34_105:
	s_or_b32 exec_lo, exec_lo, s0
	s_and_saveexec_b32 s0, vcc_lo
	s_cbranch_execnz .LBB34_163
.LBB34_106:
	s_or_b32 exec_lo, exec_lo, s0
	s_and_saveexec_b32 s0, vcc_lo
	s_cbranch_execnz .LBB34_164
.LBB34_107:
	s_or_b32 exec_lo, exec_lo, s0
	s_and_saveexec_b32 s0, vcc_lo
	s_cbranch_execnz .LBB34_165
.LBB34_108:
	s_or_b32 exec_lo, exec_lo, s0
	s_and_saveexec_b32 s0, vcc_lo
	s_cbranch_execnz .LBB34_166
.LBB34_109:
	s_or_b32 exec_lo, exec_lo, s0
	s_and_saveexec_b32 s0, vcc_lo
	s_cbranch_execnz .LBB34_167
.LBB34_110:
	s_or_b32 exec_lo, exec_lo, s0
	s_and_saveexec_b32 s0, vcc_lo
	s_cbranch_execnz .LBB34_168
.LBB34_111:
	s_or_b32 exec_lo, exec_lo, s0
	s_and_saveexec_b32 s0, vcc_lo
	s_cbranch_execnz .LBB34_169
.LBB34_112:
	s_or_b32 exec_lo, exec_lo, s0
	s_and_saveexec_b32 s0, vcc_lo
	s_cbranch_execnz .LBB34_170
.LBB34_113:
	s_or_b32 exec_lo, exec_lo, s0
	s_and_saveexec_b32 s0, vcc_lo
	s_cbranch_execnz .LBB34_171
.LBB34_114:
	s_or_b32 exec_lo, exec_lo, s0
	s_and_saveexec_b32 s0, vcc_lo
	s_cbranch_execnz .LBB34_172
.LBB34_115:
	s_or_b32 exec_lo, exec_lo, s0
	s_and_saveexec_b32 s0, vcc_lo
	s_cbranch_execnz .LBB34_173
.LBB34_116:
	s_or_b32 exec_lo, exec_lo, s0
	s_and_saveexec_b32 s0, vcc_lo
	s_cbranch_execnz .LBB34_174
.LBB34_117:
	s_or_b32 exec_lo, exec_lo, s0
	s_and_saveexec_b32 s0, vcc_lo
	s_cbranch_execnz .LBB34_175
.LBB34_118:
	s_or_b32 exec_lo, exec_lo, s0
	s_and_saveexec_b32 s0, vcc_lo
	s_cbranch_execz .LBB34_120
.LBB34_119:
	ds_read_b32 v26, v24 offset:736
	s_waitcnt lgkmcnt(0)
	v_add_f32_e32 v23, v23, v26
.LBB34_120:
	s_or_b32 exec_lo, exec_lo, s0
.LBB34_121:
	s_or_b32 exec_lo, exec_lo, s1
	v_and_b32_e32 v26, 0x3e3, v76
	s_mov_b32 s1, exec_lo
	s_barrier
	buffer_gl0_inv
	v_cmpx_eq_u32_e32 32, v26
	s_cbranch_execz .LBB34_123
; %bb.122:
	ds_write2_b32 v25, v0, v1 offset1:8
	ds_write2_b32 v25, v2, v3 offset0:16 offset1:24
	ds_write2_b32 v25, v4, v5 offset0:32 offset1:40
	;; [unrolled: 1-line block ×11, first 2 shown]
.LBB34_123:
	s_or_b32 exec_lo, exec_lo, s1
	s_mov_b32 s1, exec_lo
	s_waitcnt lgkmcnt(0)
	s_barrier
	buffer_gl0_inv
	v_cmpx_gt_u32_e32 32, v76
	s_cbranch_execz .LBB34_150
; %bb.124:
	s_and_saveexec_b32 s0, vcc_lo
	s_cbranch_execnz .LBB34_176
; %bb.125:
	s_or_b32 exec_lo, exec_lo, s0
	s_and_saveexec_b32 s0, vcc_lo
	s_cbranch_execnz .LBB34_177
.LBB34_126:
	s_or_b32 exec_lo, exec_lo, s0
	s_and_saveexec_b32 s0, vcc_lo
	s_cbranch_execnz .LBB34_178
.LBB34_127:
	s_or_b32 exec_lo, exec_lo, s0
	s_and_saveexec_b32 s0, vcc_lo
	s_cbranch_execnz .LBB34_179
.LBB34_128:
	s_or_b32 exec_lo, exec_lo, s0
	s_and_saveexec_b32 s0, vcc_lo
	s_cbranch_execnz .LBB34_180
.LBB34_129:
	s_or_b32 exec_lo, exec_lo, s0
	s_and_saveexec_b32 s0, vcc_lo
	s_cbranch_execnz .LBB34_181
.LBB34_130:
	s_or_b32 exec_lo, exec_lo, s0
	s_and_saveexec_b32 s0, vcc_lo
	s_cbranch_execnz .LBB34_182
.LBB34_131:
	s_or_b32 exec_lo, exec_lo, s0
	s_and_saveexec_b32 s0, vcc_lo
	s_cbranch_execnz .LBB34_183
.LBB34_132:
	s_or_b32 exec_lo, exec_lo, s0
	s_and_saveexec_b32 s0, vcc_lo
	s_cbranch_execnz .LBB34_184
.LBB34_133:
	s_or_b32 exec_lo, exec_lo, s0
	s_and_saveexec_b32 s0, vcc_lo
	s_cbranch_execnz .LBB34_185
.LBB34_134:
	s_or_b32 exec_lo, exec_lo, s0
	s_and_saveexec_b32 s0, vcc_lo
	s_cbranch_execnz .LBB34_186
.LBB34_135:
	s_or_b32 exec_lo, exec_lo, s0
	s_and_saveexec_b32 s0, vcc_lo
	s_cbranch_execnz .LBB34_187
.LBB34_136:
	s_or_b32 exec_lo, exec_lo, s0
	s_and_saveexec_b32 s0, vcc_lo
	s_cbranch_execnz .LBB34_188
.LBB34_137:
	s_or_b32 exec_lo, exec_lo, s0
	s_and_saveexec_b32 s0, vcc_lo
	s_cbranch_execnz .LBB34_189
.LBB34_138:
	s_or_b32 exec_lo, exec_lo, s0
	s_and_saveexec_b32 s0, vcc_lo
	s_cbranch_execnz .LBB34_190
.LBB34_139:
	s_or_b32 exec_lo, exec_lo, s0
	s_and_saveexec_b32 s0, vcc_lo
	s_cbranch_execnz .LBB34_191
.LBB34_140:
	s_or_b32 exec_lo, exec_lo, s0
	s_and_saveexec_b32 s0, vcc_lo
	s_cbranch_execnz .LBB34_192
.LBB34_141:
	s_or_b32 exec_lo, exec_lo, s0
	s_and_saveexec_b32 s0, vcc_lo
	s_cbranch_execnz .LBB34_193
.LBB34_142:
	s_or_b32 exec_lo, exec_lo, s0
	s_and_saveexec_b32 s0, vcc_lo
	s_cbranch_execnz .LBB34_194
.LBB34_143:
	s_or_b32 exec_lo, exec_lo, s0
	s_and_saveexec_b32 s0, vcc_lo
	s_cbranch_execnz .LBB34_195
.LBB34_144:
	s_or_b32 exec_lo, exec_lo, s0
	s_and_saveexec_b32 s0, vcc_lo
	s_cbranch_execnz .LBB34_196
.LBB34_145:
	s_or_b32 exec_lo, exec_lo, s0
	s_and_saveexec_b32 s0, vcc_lo
	s_cbranch_execnz .LBB34_197
.LBB34_146:
	s_or_b32 exec_lo, exec_lo, s0
	s_and_saveexec_b32 s0, vcc_lo
	s_cbranch_execnz .LBB34_198
.LBB34_147:
	s_or_b32 exec_lo, exec_lo, s0
	s_and_saveexec_b32 s0, vcc_lo
	s_cbranch_execz .LBB34_149
.LBB34_148:
	ds_read_b32 v24, v24 offset:736
	s_waitcnt lgkmcnt(0)
	v_add_f32_e32 v23, v23, v24
.LBB34_149:
	s_or_b32 exec_lo, exec_lo, s0
.LBB34_150:
	s_or_b32 exec_lo, exec_lo, s1
	s_barrier
	buffer_gl0_inv
	s_mov_b32 s0, exec_lo
	v_cmpx_eq_u32_e32 0, v26
	s_cbranch_execz .LBB34_152
; %bb.151:
	s_mul_i32 s0, s2, 0xc0
	s_mul_i32 s2, s7, s10
	s_ashr_i32 s1, s0, 31
	s_lshl_b64 s[0:1], s[0:1], 2
	s_add_u32 s4, s24, s0
	s_addc_u32 s5, s25, s1
	s_ashr_i32 s3, s2, 31
	s_lshl_b64 s[0:1], s[2:3], 2
	s_mul_i32 s2, s8, 0xc0
	s_add_u32 s4, s4, s0
	s_addc_u32 s5, s5, s1
	s_ashr_i32 s3, s2, 31
	s_lshl_b64 s[0:1], s[2:3], 2
	s_add_u32 s0, s4, s0
	s_addc_u32 s1, s5, s1
	global_store_dword v76, v0, s[0:1]
	global_store_dword v76, v1, s[0:1] offset:32
	global_store_dword v76, v2, s[0:1] offset:64
	;; [unrolled: 1-line block ×23, first 2 shown]
.LBB34_152:
	s_endpgm
.LBB34_153:
	ds_read_b32 v26, v24
	s_waitcnt lgkmcnt(0)
	v_add_f32_e32 v0, v0, v26
	s_or_b32 exec_lo, exec_lo, s0
	s_and_saveexec_b32 s0, vcc_lo
	s_cbranch_execz .LBB34_97
.LBB34_154:
	ds_read_b32 v26, v24 offset:32
	s_waitcnt lgkmcnt(0)
	v_add_f32_e32 v1, v1, v26
	s_or_b32 exec_lo, exec_lo, s0
	s_and_saveexec_b32 s0, vcc_lo
	s_cbranch_execz .LBB34_98
.LBB34_155:
	ds_read_b32 v26, v24 offset:64
	s_waitcnt lgkmcnt(0)
	v_add_f32_e32 v2, v2, v26
	s_or_b32 exec_lo, exec_lo, s0
	s_and_saveexec_b32 s0, vcc_lo
	s_cbranch_execz .LBB34_99
.LBB34_156:
	ds_read_b32 v26, v24 offset:96
	s_waitcnt lgkmcnt(0)
	v_add_f32_e32 v3, v3, v26
	s_or_b32 exec_lo, exec_lo, s0
	s_and_saveexec_b32 s0, vcc_lo
	s_cbranch_execz .LBB34_100
.LBB34_157:
	ds_read_b32 v26, v24 offset:128
	s_waitcnt lgkmcnt(0)
	v_add_f32_e32 v4, v4, v26
	s_or_b32 exec_lo, exec_lo, s0
	s_and_saveexec_b32 s0, vcc_lo
	s_cbranch_execz .LBB34_101
.LBB34_158:
	ds_read_b32 v26, v24 offset:160
	s_waitcnt lgkmcnt(0)
	v_add_f32_e32 v5, v5, v26
	s_or_b32 exec_lo, exec_lo, s0
	s_and_saveexec_b32 s0, vcc_lo
	s_cbranch_execz .LBB34_102
.LBB34_159:
	ds_read_b32 v26, v24 offset:192
	s_waitcnt lgkmcnt(0)
	v_add_f32_e32 v6, v6, v26
	s_or_b32 exec_lo, exec_lo, s0
	s_and_saveexec_b32 s0, vcc_lo
	s_cbranch_execz .LBB34_103
.LBB34_160:
	ds_read_b32 v26, v24 offset:224
	s_waitcnt lgkmcnt(0)
	v_add_f32_e32 v7, v7, v26
	s_or_b32 exec_lo, exec_lo, s0
	s_and_saveexec_b32 s0, vcc_lo
	s_cbranch_execz .LBB34_104
.LBB34_161:
	ds_read_b32 v26, v24 offset:256
	s_waitcnt lgkmcnt(0)
	v_add_f32_e32 v8, v8, v26
	s_or_b32 exec_lo, exec_lo, s0
	s_and_saveexec_b32 s0, vcc_lo
	s_cbranch_execz .LBB34_105
.LBB34_162:
	ds_read_b32 v26, v24 offset:288
	s_waitcnt lgkmcnt(0)
	v_add_f32_e32 v9, v9, v26
	s_or_b32 exec_lo, exec_lo, s0
	s_and_saveexec_b32 s0, vcc_lo
	s_cbranch_execz .LBB34_106
.LBB34_163:
	ds_read_b32 v26, v24 offset:320
	s_waitcnt lgkmcnt(0)
	v_add_f32_e32 v10, v10, v26
	s_or_b32 exec_lo, exec_lo, s0
	s_and_saveexec_b32 s0, vcc_lo
	s_cbranch_execz .LBB34_107
.LBB34_164:
	ds_read_b32 v26, v24 offset:352
	s_waitcnt lgkmcnt(0)
	v_add_f32_e32 v11, v11, v26
	s_or_b32 exec_lo, exec_lo, s0
	s_and_saveexec_b32 s0, vcc_lo
	s_cbranch_execz .LBB34_108
.LBB34_165:
	ds_read_b32 v26, v24 offset:384
	s_waitcnt lgkmcnt(0)
	v_add_f32_e32 v12, v12, v26
	s_or_b32 exec_lo, exec_lo, s0
	s_and_saveexec_b32 s0, vcc_lo
	s_cbranch_execz .LBB34_109
.LBB34_166:
	ds_read_b32 v26, v24 offset:416
	s_waitcnt lgkmcnt(0)
	v_add_f32_e32 v13, v13, v26
	s_or_b32 exec_lo, exec_lo, s0
	s_and_saveexec_b32 s0, vcc_lo
	s_cbranch_execz .LBB34_110
.LBB34_167:
	ds_read_b32 v26, v24 offset:448
	s_waitcnt lgkmcnt(0)
	v_add_f32_e32 v14, v14, v26
	s_or_b32 exec_lo, exec_lo, s0
	s_and_saveexec_b32 s0, vcc_lo
	s_cbranch_execz .LBB34_111
.LBB34_168:
	ds_read_b32 v26, v24 offset:480
	s_waitcnt lgkmcnt(0)
	v_add_f32_e32 v15, v15, v26
	s_or_b32 exec_lo, exec_lo, s0
	s_and_saveexec_b32 s0, vcc_lo
	s_cbranch_execz .LBB34_112
.LBB34_169:
	ds_read_b32 v26, v24 offset:512
	s_waitcnt lgkmcnt(0)
	v_add_f32_e32 v16, v16, v26
	s_or_b32 exec_lo, exec_lo, s0
	s_and_saveexec_b32 s0, vcc_lo
	s_cbranch_execz .LBB34_113
.LBB34_170:
	ds_read_b32 v26, v24 offset:544
	s_waitcnt lgkmcnt(0)
	v_add_f32_e32 v17, v17, v26
	s_or_b32 exec_lo, exec_lo, s0
	s_and_saveexec_b32 s0, vcc_lo
	s_cbranch_execz .LBB34_114
.LBB34_171:
	ds_read_b32 v26, v24 offset:576
	s_waitcnt lgkmcnt(0)
	v_add_f32_e32 v18, v18, v26
	s_or_b32 exec_lo, exec_lo, s0
	s_and_saveexec_b32 s0, vcc_lo
	s_cbranch_execz .LBB34_115
.LBB34_172:
	ds_read_b32 v26, v24 offset:608
	s_waitcnt lgkmcnt(0)
	v_add_f32_e32 v19, v19, v26
	s_or_b32 exec_lo, exec_lo, s0
	s_and_saveexec_b32 s0, vcc_lo
	s_cbranch_execz .LBB34_116
.LBB34_173:
	ds_read_b32 v26, v24 offset:640
	s_waitcnt lgkmcnt(0)
	v_add_f32_e32 v20, v20, v26
	s_or_b32 exec_lo, exec_lo, s0
	s_and_saveexec_b32 s0, vcc_lo
	s_cbranch_execz .LBB34_117
.LBB34_174:
	ds_read_b32 v26, v24 offset:672
	s_waitcnt lgkmcnt(0)
	v_add_f32_e32 v21, v21, v26
	s_or_b32 exec_lo, exec_lo, s0
	s_and_saveexec_b32 s0, vcc_lo
	s_cbranch_execz .LBB34_118
.LBB34_175:
	ds_read_b32 v26, v24 offset:704
	s_waitcnt lgkmcnt(0)
	v_add_f32_e32 v22, v22, v26
	s_or_b32 exec_lo, exec_lo, s0
	s_and_saveexec_b32 s0, vcc_lo
	s_cbranch_execnz .LBB34_119
	s_branch .LBB34_120
.LBB34_176:
	ds_read_b32 v25, v24
	s_waitcnt lgkmcnt(0)
	v_add_f32_e32 v0, v0, v25
	s_or_b32 exec_lo, exec_lo, s0
	s_and_saveexec_b32 s0, vcc_lo
	s_cbranch_execz .LBB34_126
.LBB34_177:
	ds_read_b32 v25, v24 offset:32
	s_waitcnt lgkmcnt(0)
	v_add_f32_e32 v1, v1, v25
	s_or_b32 exec_lo, exec_lo, s0
	s_and_saveexec_b32 s0, vcc_lo
	s_cbranch_execz .LBB34_127
.LBB34_178:
	ds_read_b32 v25, v24 offset:64
	s_waitcnt lgkmcnt(0)
	v_add_f32_e32 v2, v2, v25
	s_or_b32 exec_lo, exec_lo, s0
	s_and_saveexec_b32 s0, vcc_lo
	s_cbranch_execz .LBB34_128
.LBB34_179:
	ds_read_b32 v25, v24 offset:96
	s_waitcnt lgkmcnt(0)
	v_add_f32_e32 v3, v3, v25
	s_or_b32 exec_lo, exec_lo, s0
	s_and_saveexec_b32 s0, vcc_lo
	s_cbranch_execz .LBB34_129
.LBB34_180:
	ds_read_b32 v25, v24 offset:128
	s_waitcnt lgkmcnt(0)
	v_add_f32_e32 v4, v4, v25
	s_or_b32 exec_lo, exec_lo, s0
	s_and_saveexec_b32 s0, vcc_lo
	s_cbranch_execz .LBB34_130
.LBB34_181:
	ds_read_b32 v25, v24 offset:160
	s_waitcnt lgkmcnt(0)
	v_add_f32_e32 v5, v5, v25
	s_or_b32 exec_lo, exec_lo, s0
	s_and_saveexec_b32 s0, vcc_lo
	s_cbranch_execz .LBB34_131
.LBB34_182:
	ds_read_b32 v25, v24 offset:192
	s_waitcnt lgkmcnt(0)
	v_add_f32_e32 v6, v6, v25
	s_or_b32 exec_lo, exec_lo, s0
	s_and_saveexec_b32 s0, vcc_lo
	s_cbranch_execz .LBB34_132
.LBB34_183:
	ds_read_b32 v25, v24 offset:224
	s_waitcnt lgkmcnt(0)
	v_add_f32_e32 v7, v7, v25
	s_or_b32 exec_lo, exec_lo, s0
	s_and_saveexec_b32 s0, vcc_lo
	s_cbranch_execz .LBB34_133
.LBB34_184:
	ds_read_b32 v25, v24 offset:256
	s_waitcnt lgkmcnt(0)
	v_add_f32_e32 v8, v8, v25
	s_or_b32 exec_lo, exec_lo, s0
	s_and_saveexec_b32 s0, vcc_lo
	s_cbranch_execz .LBB34_134
.LBB34_185:
	ds_read_b32 v25, v24 offset:288
	s_waitcnt lgkmcnt(0)
	v_add_f32_e32 v9, v9, v25
	s_or_b32 exec_lo, exec_lo, s0
	s_and_saveexec_b32 s0, vcc_lo
	s_cbranch_execz .LBB34_135
.LBB34_186:
	ds_read_b32 v25, v24 offset:320
	s_waitcnt lgkmcnt(0)
	v_add_f32_e32 v10, v10, v25
	s_or_b32 exec_lo, exec_lo, s0
	s_and_saveexec_b32 s0, vcc_lo
	s_cbranch_execz .LBB34_136
.LBB34_187:
	ds_read_b32 v25, v24 offset:352
	s_waitcnt lgkmcnt(0)
	v_add_f32_e32 v11, v11, v25
	s_or_b32 exec_lo, exec_lo, s0
	s_and_saveexec_b32 s0, vcc_lo
	s_cbranch_execz .LBB34_137
.LBB34_188:
	ds_read_b32 v25, v24 offset:384
	s_waitcnt lgkmcnt(0)
	v_add_f32_e32 v12, v12, v25
	s_or_b32 exec_lo, exec_lo, s0
	s_and_saveexec_b32 s0, vcc_lo
	s_cbranch_execz .LBB34_138
.LBB34_189:
	ds_read_b32 v25, v24 offset:416
	s_waitcnt lgkmcnt(0)
	v_add_f32_e32 v13, v13, v25
	s_or_b32 exec_lo, exec_lo, s0
	s_and_saveexec_b32 s0, vcc_lo
	s_cbranch_execz .LBB34_139
.LBB34_190:
	ds_read_b32 v25, v24 offset:448
	s_waitcnt lgkmcnt(0)
	v_add_f32_e32 v14, v14, v25
	s_or_b32 exec_lo, exec_lo, s0
	s_and_saveexec_b32 s0, vcc_lo
	s_cbranch_execz .LBB34_140
.LBB34_191:
	ds_read_b32 v25, v24 offset:480
	s_waitcnt lgkmcnt(0)
	v_add_f32_e32 v15, v15, v25
	s_or_b32 exec_lo, exec_lo, s0
	s_and_saveexec_b32 s0, vcc_lo
	s_cbranch_execz .LBB34_141
.LBB34_192:
	ds_read_b32 v25, v24 offset:512
	s_waitcnt lgkmcnt(0)
	v_add_f32_e32 v16, v16, v25
	s_or_b32 exec_lo, exec_lo, s0
	s_and_saveexec_b32 s0, vcc_lo
	s_cbranch_execz .LBB34_142
.LBB34_193:
	ds_read_b32 v25, v24 offset:544
	s_waitcnt lgkmcnt(0)
	v_add_f32_e32 v17, v17, v25
	s_or_b32 exec_lo, exec_lo, s0
	s_and_saveexec_b32 s0, vcc_lo
	s_cbranch_execz .LBB34_143
.LBB34_194:
	ds_read_b32 v25, v24 offset:576
	s_waitcnt lgkmcnt(0)
	v_add_f32_e32 v18, v18, v25
	s_or_b32 exec_lo, exec_lo, s0
	s_and_saveexec_b32 s0, vcc_lo
	s_cbranch_execz .LBB34_144
.LBB34_195:
	ds_read_b32 v25, v24 offset:608
	s_waitcnt lgkmcnt(0)
	v_add_f32_e32 v19, v19, v25
	s_or_b32 exec_lo, exec_lo, s0
	s_and_saveexec_b32 s0, vcc_lo
	s_cbranch_execz .LBB34_145
.LBB34_196:
	ds_read_b32 v25, v24 offset:640
	s_waitcnt lgkmcnt(0)
	v_add_f32_e32 v20, v20, v25
	s_or_b32 exec_lo, exec_lo, s0
	s_and_saveexec_b32 s0, vcc_lo
	s_cbranch_execz .LBB34_146
.LBB34_197:
	ds_read_b32 v25, v24 offset:672
	s_waitcnt lgkmcnt(0)
	v_add_f32_e32 v21, v21, v25
	s_or_b32 exec_lo, exec_lo, s0
	s_and_saveexec_b32 s0, vcc_lo
	s_cbranch_execz .LBB34_147
.LBB34_198:
	ds_read_b32 v25, v24 offset:704
	s_waitcnt lgkmcnt(0)
	v_add_f32_e32 v22, v22, v25
	s_or_b32 exec_lo, exec_lo, s0
	s_and_saveexec_b32 s0, vcc_lo
	s_cbranch_execnz .LBB34_148
	s_branch .LBB34_149
	.section	.rodata,"a",@progbits
	.p2align	6, 0x0
	.amdhsa_kernel _ZN4vllm25paged_attention_v2_kernelIffLi192ELi16ELi128ELNS_18Fp8KVCacheDataTypeE0ELb1ELi512EEEvPfS2_PT_PKS3_PKT0_S9_ifPKiSB_iPKfiiiSD_SD_iiiii
		.amdhsa_group_segment_fixed_size 800
		.amdhsa_private_segment_fixed_size 64
		.amdhsa_kernarg_size 400
		.amdhsa_user_sgpr_count 6
		.amdhsa_user_sgpr_private_segment_buffer 1
		.amdhsa_user_sgpr_dispatch_ptr 0
		.amdhsa_user_sgpr_queue_ptr 0
		.amdhsa_user_sgpr_kernarg_segment_ptr 1
		.amdhsa_user_sgpr_dispatch_id 0
		.amdhsa_user_sgpr_flat_scratch_init 0
		.amdhsa_user_sgpr_private_segment_size 0
		.amdhsa_wavefront_size32 1
		.amdhsa_uses_dynamic_stack 0
		.amdhsa_system_sgpr_private_segment_wavefront_offset 1
		.amdhsa_system_sgpr_workgroup_id_x 1
		.amdhsa_system_sgpr_workgroup_id_y 1
		.amdhsa_system_sgpr_workgroup_id_z 1
		.amdhsa_system_sgpr_workgroup_info 0
		.amdhsa_system_vgpr_workitem_id 0
		.amdhsa_next_free_vgpr 128
		.amdhsa_next_free_sgpr 52
		.amdhsa_reserve_vcc 1
		.amdhsa_reserve_flat_scratch 0
		.amdhsa_float_round_mode_32 0
		.amdhsa_float_round_mode_16_64 0
		.amdhsa_float_denorm_mode_32 3
		.amdhsa_float_denorm_mode_16_64 3
		.amdhsa_dx10_clamp 1
		.amdhsa_ieee_mode 1
		.amdhsa_fp16_overflow 0
		.amdhsa_workgroup_processor_mode 1
		.amdhsa_memory_ordered 1
		.amdhsa_forward_progress 1
		.amdhsa_shared_vgpr_count 0
		.amdhsa_exception_fp_ieee_invalid_op 0
		.amdhsa_exception_fp_denorm_src 0
		.amdhsa_exception_fp_ieee_div_zero 0
		.amdhsa_exception_fp_ieee_overflow 0
		.amdhsa_exception_fp_ieee_underflow 0
		.amdhsa_exception_fp_ieee_inexact 0
		.amdhsa_exception_int_div_zero 0
	.end_amdhsa_kernel
	.section	.text._ZN4vllm25paged_attention_v2_kernelIffLi192ELi16ELi128ELNS_18Fp8KVCacheDataTypeE0ELb1ELi512EEEvPfS2_PT_PKS3_PKT0_S9_ifPKiSB_iPKfiiiSD_SD_iiiii,"axG",@progbits,_ZN4vllm25paged_attention_v2_kernelIffLi192ELi16ELi128ELNS_18Fp8KVCacheDataTypeE0ELb1ELi512EEEvPfS2_PT_PKS3_PKT0_S9_ifPKiSB_iPKfiiiSD_SD_iiiii,comdat
.Lfunc_end34:
	.size	_ZN4vllm25paged_attention_v2_kernelIffLi192ELi16ELi128ELNS_18Fp8KVCacheDataTypeE0ELb1ELi512EEEvPfS2_PT_PKS3_PKT0_S9_ifPKiSB_iPKfiiiSD_SD_iiiii, .Lfunc_end34-_ZN4vllm25paged_attention_v2_kernelIffLi192ELi16ELi128ELNS_18Fp8KVCacheDataTypeE0ELb1ELi512EEEvPfS2_PT_PKS3_PKT0_S9_ifPKiSB_iPKfiiiSD_SD_iiiii
                                        ; -- End function
	.set _ZN4vllm25paged_attention_v2_kernelIffLi192ELi16ELi128ELNS_18Fp8KVCacheDataTypeE0ELb1ELi512EEEvPfS2_PT_PKS3_PKT0_S9_ifPKiSB_iPKfiiiSD_SD_iiiii.num_vgpr, 128
	.set _ZN4vllm25paged_attention_v2_kernelIffLi192ELi16ELi128ELNS_18Fp8KVCacheDataTypeE0ELb1ELi512EEEvPfS2_PT_PKS3_PKT0_S9_ifPKiSB_iPKfiiiSD_SD_iiiii.num_agpr, 0
	.set _ZN4vllm25paged_attention_v2_kernelIffLi192ELi16ELi128ELNS_18Fp8KVCacheDataTypeE0ELb1ELi512EEEvPfS2_PT_PKS3_PKT0_S9_ifPKiSB_iPKfiiiSD_SD_iiiii.numbered_sgpr, 52
	.set _ZN4vllm25paged_attention_v2_kernelIffLi192ELi16ELi128ELNS_18Fp8KVCacheDataTypeE0ELb1ELi512EEEvPfS2_PT_PKS3_PKT0_S9_ifPKiSB_iPKfiiiSD_SD_iiiii.num_named_barrier, 0
	.set _ZN4vllm25paged_attention_v2_kernelIffLi192ELi16ELi128ELNS_18Fp8KVCacheDataTypeE0ELb1ELi512EEEvPfS2_PT_PKS3_PKT0_S9_ifPKiSB_iPKfiiiSD_SD_iiiii.private_seg_size, 64
	.set _ZN4vllm25paged_attention_v2_kernelIffLi192ELi16ELi128ELNS_18Fp8KVCacheDataTypeE0ELb1ELi512EEEvPfS2_PT_PKS3_PKT0_S9_ifPKiSB_iPKfiiiSD_SD_iiiii.uses_vcc, 1
	.set _ZN4vllm25paged_attention_v2_kernelIffLi192ELi16ELi128ELNS_18Fp8KVCacheDataTypeE0ELb1ELi512EEEvPfS2_PT_PKS3_PKT0_S9_ifPKiSB_iPKfiiiSD_SD_iiiii.uses_flat_scratch, 0
	.set _ZN4vllm25paged_attention_v2_kernelIffLi192ELi16ELi128ELNS_18Fp8KVCacheDataTypeE0ELb1ELi512EEEvPfS2_PT_PKS3_PKT0_S9_ifPKiSB_iPKfiiiSD_SD_iiiii.has_dyn_sized_stack, 0
	.set _ZN4vllm25paged_attention_v2_kernelIffLi192ELi16ELi128ELNS_18Fp8KVCacheDataTypeE0ELb1ELi512EEEvPfS2_PT_PKS3_PKT0_S9_ifPKiSB_iPKfiiiSD_SD_iiiii.has_recursion, 0
	.set _ZN4vllm25paged_attention_v2_kernelIffLi192ELi16ELi128ELNS_18Fp8KVCacheDataTypeE0ELb1ELi512EEEvPfS2_PT_PKS3_PKT0_S9_ifPKiSB_iPKfiiiSD_SD_iiiii.has_indirect_call, 0
	.section	.AMDGPU.csdata,"",@progbits
; Kernel info:
; codeLenInByte = 11544
; TotalNumSgprs: 54
; NumVgprs: 128
; ScratchSize: 64
; MemoryBound: 0
; FloatMode: 240
; IeeeMode: 1
; LDSByteSize: 800 bytes/workgroup (compile time only)
; SGPRBlocks: 0
; VGPRBlocks: 15
; NumSGPRsForWavesPerEU: 54
; NumVGPRsForWavesPerEU: 128
; Occupancy: 8
; WaveLimiterHint : 1
; COMPUTE_PGM_RSRC2:SCRATCH_EN: 1
; COMPUTE_PGM_RSRC2:USER_SGPR: 6
; COMPUTE_PGM_RSRC2:TRAP_HANDLER: 0
; COMPUTE_PGM_RSRC2:TGID_X_EN: 1
; COMPUTE_PGM_RSRC2:TGID_Y_EN: 1
; COMPUTE_PGM_RSRC2:TGID_Z_EN: 1
; COMPUTE_PGM_RSRC2:TIDIG_COMP_CNT: 0
	.section	.text._ZN4vllm25paged_attention_v2_kernelIffLi256ELi16ELi128ELNS_18Fp8KVCacheDataTypeE0ELb1ELi512EEEvPfS2_PT_PKS3_PKT0_S9_ifPKiSB_iPKfiiiSD_SD_iiiii,"axG",@progbits,_ZN4vllm25paged_attention_v2_kernelIffLi256ELi16ELi128ELNS_18Fp8KVCacheDataTypeE0ELb1ELi512EEEvPfS2_PT_PKS3_PKT0_S9_ifPKiSB_iPKfiiiSD_SD_iiiii,comdat
	.protected	_ZN4vllm25paged_attention_v2_kernelIffLi256ELi16ELi128ELNS_18Fp8KVCacheDataTypeE0ELb1ELi512EEEvPfS2_PT_PKS3_PKT0_S9_ifPKiSB_iPKfiiiSD_SD_iiiii ; -- Begin function _ZN4vllm25paged_attention_v2_kernelIffLi256ELi16ELi128ELNS_18Fp8KVCacheDataTypeE0ELb1ELi512EEEvPfS2_PT_PKS3_PKT0_S9_ifPKiSB_iPKfiiiSD_SD_iiiii
	.globl	_ZN4vllm25paged_attention_v2_kernelIffLi256ELi16ELi128ELNS_18Fp8KVCacheDataTypeE0ELb1ELi512EEEvPfS2_PT_PKS3_PKT0_S9_ifPKiSB_iPKfiiiSD_SD_iiiii
	.p2align	8
	.type	_ZN4vllm25paged_attention_v2_kernelIffLi256ELi16ELi128ELNS_18Fp8KVCacheDataTypeE0ELb1ELi512EEEvPfS2_PT_PKS3_PKT0_S9_ifPKiSB_iPKfiiiSD_SD_iiiii,@function
_ZN4vllm25paged_attention_v2_kernelIffLi256ELi16ELi128ELNS_18Fp8KVCacheDataTypeE0ELb1ELi512EEEvPfS2_PT_PKS3_PKT0_S9_ifPKiSB_iPKfiiiSD_SD_iiiii: ; @_ZN4vllm25paged_attention_v2_kernelIffLi256ELi16ELi128ELNS_18Fp8KVCacheDataTypeE0ELb1ELi512EEEvPfS2_PT_PKS3_PKT0_S9_ifPKiSB_iPKfiiiSD_SD_iiiii
; %bb.0:
	s_mov_b64 s[50:51], s[2:3]
	s_mov_b64 s[48:49], s[0:1]
	s_load_dwordx2 s[0:1], s[4:5], 0x40
	s_add_u32 s48, s48, s9
	s_addc_u32 s49, s49, 0
	s_mov_b32 s26, s7
	s_ashr_i32 s27, s7, 31
	s_lshl_b64 s[2:3], s[26:27], 2
	s_waitcnt lgkmcnt(0)
	s_add_u32 s0, s0, s2
	s_addc_u32 s1, s1, s3
	s_lshl_b32 s38, s8, 9
	s_load_dword s27, s[0:1], 0x0
	s_waitcnt lgkmcnt(0)
	s_cmp_ge_i32 s38, s27
	s_cbranch_scc1 .LBB35_184
; %bb.1:
	s_clause 0x1
	s_load_dword s9, s[4:5], 0x90
	s_load_dwordx2 s[36:37], s[4:5], 0x30
	v_mov_b32_e32 v80, v0
	s_mov_b32 s40, 0
	s_waitcnt lgkmcnt(0)
	s_abs_i32 s3, s9
	s_abs_i32 s0, s36
	v_cvt_f32_u32_e32 v0, s0
	s_sub_i32 s2, 0, s0
	v_rcp_iflag_f32_e32 v0, v0
	v_mul_f32_e32 v0, 0x4f7ffffe, v0
	v_cvt_u32_f32_e32 v0, v0
	v_readfirstlane_b32 s1, v0
	s_mul_i32 s2, s2, s1
	s_mul_hi_u32 s2, s1, s2
	s_add_i32 s1, s1, s2
	s_xor_b32 s2, s9, s36
	s_mul_hi_u32 s1, s3, s1
	s_ashr_i32 s2, s2, 31
	s_mul_i32 s7, s1, s0
	s_sub_i32 s3, s3, s7
	s_add_i32 s7, s1, 1
	s_sub_i32 s10, s3, s0
	s_cmp_ge_u32 s3, s0
	s_cselect_b32 s1, s7, s1
	s_cselect_b32 s3, s10, s3
	s_add_i32 s7, s1, 1
	s_cmp_ge_u32 s3, s0
	s_cselect_b32 s0, s7, s1
	s_xor_b32 s0, s0, s2
	s_sub_i32 s10, s0, s2
	s_load_dwordx2 s[0:1], s[4:5], 0x50
	s_abs_i32 s2, s10
	v_cvt_f32_u32_e32 v0, s2
	s_sub_i32 s3, 0, s2
	v_rcp_iflag_f32_e32 v0, v0
	v_mul_f32_e32 v0, 0x4f7ffffe, v0
	v_cvt_u32_f32_e32 v0, v0
	v_readfirstlane_b32 s7, v0
	s_mul_i32 s3, s3, s7
	s_mul_hi_u32 s11, s7, s3
	s_abs_i32 s3, s6
	s_add_i32 s7, s7, s11
	s_waitcnt lgkmcnt(0)
	s_cmp_eq_u64 s[0:1], 0
	s_mul_hi_u32 s20, s3, s7
	s_cbranch_scc1 .LBB35_3
; %bb.2:
	s_ashr_i32 s7, s6, 31
	s_lshl_b64 s[12:13], s[6:7], 2
	s_add_u32 s0, s0, s12
	s_addc_u32 s1, s1, s13
	s_load_dword s40, s[0:1], 0x0
.LBB35_3:
	s_load_dwordx4 s[12:15], s[4:5], 0x58
	v_and_b32_e32 v1, 1, v80
	v_lshlrev_b32_e32 v2, 3, v80
	v_lshlrev_b32_e32 v0, 2, v80
	s_ashr_i32 s0, s6, 31
	s_ashr_i32 s1, s10, 31
	s_lshl_b32 s10, s6, 8
	s_mov_b32 s7, exec_lo
	v_cmpx_gt_u32_e32 0x80, v80
	s_cbranch_execz .LBB35_5
; %bb.4:
	s_load_dwordx2 s[16:17], s[4:5], 0x18
	s_waitcnt lgkmcnt(0)
	s_mul_i32 s18, s12, s26
	v_and_b32_e32 v5, 0xff8, v0
	s_ashr_i32 s19, s18, 31
	s_lshl_b64 s[18:19], s[18:19], 2
	v_lshl_add_u32 v5, v1, 9, v5
	s_add_u32 s12, s16, s18
	s_addc_u32 s15, s17, s19
	s_ashr_i32 s11, s10, 31
	s_lshl_b64 s[16:17], s[10:11], 2
	s_add_u32 s16, s12, s16
	s_addc_u32 s17, s15, s17
	global_load_dwordx2 v[3:4], v2, s[16:17]
	s_waitcnt vmcnt(0)
	ds_write_b64 v5, v[3:4]
.LBB35_5:
	s_or_b32 exec_lo, exec_lo, s7
	s_load_dwordx4 s[16:19], s[4:5], 0x78
	s_mul_i32 s7, s20, s2
	s_xor_b32 s0, s0, s1
	s_sub_i32 s1, s3, s7
	s_add_i32 s3, s20, 1
	s_sub_i32 s7, s1, s2
	s_cmp_ge_u32 s1, s2
                                        ; implicit-def: $sgpr33
	s_cselect_b32 s3, s3, s20
	s_cselect_b32 s1, s7, s1
	s_add_i32 s7, s3, 1
	s_cmp_ge_u32 s1, s2
	s_mov_b32 s20, -1
	s_cselect_b32 s1, s7, s3
	s_load_dword s3, s[4:5], 0x88
	s_xor_b32 s1, s1, s0
	s_add_i32 s7, s27, -1
	s_sub_i32 s1, s1, s0
	s_abs_i32 s2, s7
	s_waitcnt lgkmcnt(0)
	s_abs_i32 s11, s19
	s_barrier
	v_cvt_f32_u32_e32 v3, s11
	s_sub_i32 s0, 0, s11
	buffer_gl0_inv
	v_rcp_iflag_f32_e32 v3, v3
	v_mul_f32_e32 v3, 0x4f7ffffe, v3
	v_cvt_u32_f32_e32 v3, v3
	v_readfirstlane_b32 s12, v3
	s_mul_i32 s0, s0, s12
	s_mul_hi_u32 s0, s12, s0
	s_add_i32 s12, s12, s0
	s_cmp_lt_i32 s3, 0
	s_mul_hi_u32 s0, s2, s12
	s_cbranch_scc0 .LBB35_7
; %bb.6:
	s_mul_i32 s15, s16, s36
	s_mov_b32 s20, 0
	s_add_i32 s15, s1, s15
	s_mul_i32 s15, s15, s3
	s_sub_i32 s33, 1, s15
.LBB35_7:
	s_load_dwordx2 s[28:29], s[4:5], 0x38
	s_ashr_i32 s15, s7, 31
	s_andn2_b32 vcc_lo, exec_lo, s20
	s_ashr_i32 s19, s19, 31
	s_cbranch_vccnz .LBB35_9
; %bb.8:
	s_mul_i32 s7, s9, s16
	s_add_i32 s7, s7, s6
	s_mul_i32 s3, s7, s3
	s_add_i32 s33, s3, 1
.LBB35_9:
	s_clause 0x4
	s_load_dword s3, s[4:5], 0x48
	s_load_dwordx2 s[34:35], s[4:5], 0x28
	s_load_dword s7, s[4:5], 0x98
	s_load_dwordx4 s[20:23], s[4:5], 0x0
	s_load_dwordx2 s[24:25], s[4:5], 0x10
	s_mul_i32 s16, s0, s11
	s_xor_b32 s15, s15, s19
	s_sub_i32 s2, s2, s16
	s_add_i32 s36, s0, 1
	v_lshrrev_b32_e32 v81, 5, v80
	v_mov_b32_e32 v28, 0xff7fffff
	v_mbcnt_lo_u32_b32 v27, -1, 0
	s_mul_i32 s14, s1, s14
	v_lshl_add_u32 v82, v81, 4, s38
	s_waitcnt lgkmcnt(0)
	s_mul_i32 s30, s3, s26
	s_sub_i32 s3, s2, s11
	s_ashr_i32 s31, s30, 31
	s_cmp_ge_u32 s2, s11
	s_cselect_b32 s0, s36, s0
	s_cselect_b32 s2, s3, s2
	s_add_i32 s3, s0, 1
	s_cmp_ge_u32 s2, s11
	s_cselect_b32 s0, s3, s0
	s_lshl_b32 s41, s8, 5
	s_add_i32 s2, s27, 15
	v_or_b32_e32 v3, s41, v81
	s_ashr_i32 s3, s2, 31
	s_lshr_b32 s3, s3, 28
	v_ashrrev_i32_e32 v4, 31, v3
	s_add_i32 s2, s2, s3
	s_add_i32 s3, s41, 32
	s_ashr_i32 s36, s2, 4
	buffer_store_dword v3, off, s[48:51], 0 ; 4-byte Folded Spill
	buffer_store_dword v4, off, s[48:51], 0 offset:4 ; 4-byte Folded Spill
	s_min_i32 s16, s3, s36
	s_xor_b32 s2, s0, s15
	s_sub_i32 s39, s2, s15
	v_cmp_gt_i32_e64 s0, s16, v3
	s_and_saveexec_b32 s42, s0
	s_cbranch_execz .LBB35_21
; %bb.10:
	s_clause 0x1
	buffer_load_dword v8, off, s[48:51], 0
	buffer_load_dword v9, off, s[48:51], 0 offset:4
	s_load_dwordx2 s[2:3], s[4:5], 0x20
	s_ashr_i32 s15, s14, 31
	s_sub_i32 s4, s39, s17
	s_lshl_b64 s[44:45], s[14:15], 2
	v_bfe_u32 v29, v80, 1, 4
	v_cmp_eq_u32_e32 vcc_lo, 0, v1
	v_and_b32_e32 v4, 8, v2
	v_lshlrev_b32_e32 v30, 9, v1
	v_cmp_neq_f32_e64 s1, s40, 0
	v_lshlrev_b32_e32 v5, 2, v29
	v_subrev_nc_u32_e32 v6, s27, v29
	v_lshlrev_b32_e32 v7, 4, v29
	v_lshl_add_u32 v31, v81, 4, s38
	v_mov_b32_e32 v32, 0xff7fffff
	v_lshl_or_b32 v5, v81, 6, v5
	v_add_nc_u32_e32 v34, 1, v6
	v_xor_b32_e32 v33, 1, v27
	v_mov_b32_e32 v28, 0xff7fffff
	v_add_nc_u32_e32 v35, 0x420, v5
	s_waitcnt lgkmcnt(0)
	s_add_u32 s15, s2, s44
	s_addc_u32 s43, s3, s45
	s_abs_i32 s5, s18
	v_add_co_u32 v6, s15, s15, v7
	v_cvt_f32_u32_e32 v3, s5
	s_sub_i32 s2, 0, s5
	v_add_co_ci_u32_e64 v7, null, s43, 0, s15
	s_mov_b32 s15, 0
	v_rcp_iflag_f32_e32 v3, v3
	s_mov_b32 s43, s13
	v_mul_f32_e32 v3, 0x4f7ffffe, v3
	v_cvt_u32_f32_e32 v3, v3
	v_mul_lo_u32 v5, s2, v3
	s_lshl_b64 s[2:3], s[30:31], 2
	s_add_u32 s2, s28, s2
	s_addc_u32 s3, s29, s3
	v_mul_hi_u32 v5, v3, v5
	v_add_nc_u32_e32 v38, v3, v5
	s_waitcnt vmcnt(1)
	v_mov_b32_e32 v39, v8
	s_waitcnt vmcnt(0)
	v_lshlrev_b64 v[1:2], 2, v[8:9]
	v_add_co_u32 v1, s2, s2, v1
	v_add_co_ci_u32_e64 v2, null, s3, v2, s2
	v_add_co_u32 v36, s2, v6, v4
	v_add_co_ci_u32_e64 v37, null, 0, v7, s2
	s_branch .LBB35_13
.LBB35_11:                              ;   in Loop: Header=BB35_13 Depth=1
	s_or_b32 exec_lo, exec_lo, s44
.LBB35_12:                              ;   in Loop: Header=BB35_13 Depth=1
	s_or_b32 exec_lo, exec_lo, s3
	v_add_nc_u32_e32 v39, 4, v39
	v_add_co_u32 v1, s3, v1, 16
	v_add_co_ci_u32_e64 v2, null, 0, v2, s3
	v_cmp_le_i32_e64 s2, s16, v39
	v_add_nc_u32_e32 v31, 64, v31
	v_add_nc_u32_e32 v35, 0x100, v35
	s_or_b32 s15, s2, s15
	s_andn2_b32 exec_lo, exec_lo, s15
	s_cbranch_execz .LBB35_20
.LBB35_13:                              ; =>This Inner Loop Header: Depth=1
	v_sub_nc_u32_e32 v3, 0, v31
	v_max_i32_e32 v3, v31, v3
	s_waitcnt lgkmcnt(0)
	v_mul_hi_u32 v4, v3, s12
	v_mul_lo_u32 v5, v4, s11
	v_sub_nc_u32_e32 v3, v3, v5
	v_add_nc_u32_e32 v5, 1, v4
	v_subrev_nc_u32_e32 v6, s11, v3
	v_cmp_le_u32_e64 s2, s11, v3
	v_cndmask_b32_e64 v4, v4, v5, s2
	v_cndmask_b32_e64 v3, v3, v6, s2
	v_ashrrev_i32_e32 v5, 31, v31
	v_add_nc_u32_e32 v6, 1, v4
	v_cmp_le_u32_e64 s2, s11, v3
	v_xor_b32_e32 v5, s19, v5
	v_cndmask_b32_e64 v3, v4, v6, s2
	v_xor_b32_e32 v3, v3, v5
	v_sub_nc_u32_e32 v3, v3, v5
	v_add_nc_u32_e32 v4, s33, v3
	v_cmp_ge_i32_e64 s3, s4, v3
	v_sub_nc_u32_e32 v5, 0, v4
	v_max_i32_e32 v5, v4, v5
	v_ashrrev_i32_e32 v4, 31, v4
	v_mul_hi_u32 v6, v5, v38
	v_mul_lo_u32 v6, v6, s5
	v_sub_nc_u32_e32 v5, v5, v6
	v_subrev_nc_u32_e32 v6, s5, v5
	v_cmp_le_u32_e64 s2, s5, v5
	v_cndmask_b32_e64 v5, v5, v6, s2
	v_subrev_nc_u32_e32 v6, s5, v5
	v_cmp_le_u32_e64 s2, s5, v5
	v_cndmask_b32_e64 v5, v5, v6, s2
	v_xor_b32_e32 v5, v5, v4
	v_sub_nc_u32_e32 v4, v5, v4
	v_cmp_ne_u32_e64 s2, 0, v4
	s_and_b32 s2, s2, s3
	s_and_saveexec_b32 s3, s2
	s_xor_b32 s2, exec_lo, s3
	s_cbranch_execz .LBB35_17
; %bb.14:                               ;   in Loop: Header=BB35_13 Depth=1
	s_and_saveexec_b32 s3, vcc_lo
; %bb.15:                               ;   in Loop: Header=BB35_13 Depth=1
	ds_write_b32 v35, v32
; %bb.16:                               ;   in Loop: Header=BB35_13 Depth=1
	s_or_b32 exec_lo, exec_lo, s3
.LBB35_17:                              ;   in Loop: Header=BB35_13 Depth=1
	s_andn2_saveexec_b32 s3, s2
	s_cbranch_execz .LBB35_12
; %bb.18:                               ;   in Loop: Header=BB35_13 Depth=1
	global_load_dword v3, v[1:2], off
	s_waitcnt vmcnt(0)
	v_mad_i64_i32 v[3:4], null, v3, s43, 0
	v_lshlrev_b64 v[3:4], 2, v[3:4]
	v_add_co_u32 v5, s2, v36, v3
	v_add_co_ci_u32_e64 v6, null, v37, v4, s2
	s_clause 0x6
	global_load_dwordx2 v[3:4], v[5:6], off offset:256
	global_load_dwordx2 v[19:20], v[5:6], off
	global_load_dwordx2 v[21:22], v[5:6], off offset:512
	global_load_dwordx2 v[23:24], v[5:6], off offset:768
	;; [unrolled: 1-line block ×5, first 2 shown]
	v_add_co_u32 v15, s2, v5, 0x1000
	v_add_co_ci_u32_e64 v16, null, 0, v6, s2
	s_clause 0x1
	global_load_dwordx2 v[46:47], v[5:6], off offset:1792
	global_load_dwordx2 v[48:49], v[15:16], off offset:-2048
	v_add_co_u32 v11, s2, 0x800, v5
	v_add_co_ci_u32_e64 v12, null, 0, v6, s2
	s_clause 0x4
	global_load_dwordx2 v[50:51], v[11:12], off offset:256
	global_load_dwordx2 v[52:53], v[11:12], off offset:512
	;; [unrolled: 1-line block ×5, first 2 shown]
	ds_read_b128 v[7:10], v30
	s_clause 0x2
	global_load_dwordx2 v[60:61], v[11:12], off offset:1536
	global_load_dwordx2 v[62:63], v[11:12], off offset:1792
	global_load_dwordx2 v[64:65], v[15:16], off
	v_add_co_u32 v66, s2, 0x1000, v5
	ds_read_b128 v[11:14], v30 offset:16
	v_add_co_ci_u32_e64 v67, null, 0, v6, s2
	s_clause 0x1
	global_load_dwordx2 v[68:69], v[66:67], off offset:256
	global_load_dwordx2 v[70:71], v[66:67], off offset:1536
	s_waitcnt vmcnt(18) lgkmcnt(1)
	v_mul_f32_e32 v40, v9, v3
	v_mul_f32_e32 v41, v10, v4
	s_waitcnt vmcnt(17)
	v_fmac_f32_e32 v40, v7, v19
	v_fmac_f32_e32 v41, v8, v20
	global_load_dwordx2 v[19:20], v[66:67], off offset:512
	ds_read_b128 v[15:18], v30 offset:32
	ds_read_b128 v[7:10], v30 offset:48
	s_waitcnt vmcnt(17) lgkmcnt(2)
	v_fmac_f32_e32 v40, v11, v21
	v_fmac_f32_e32 v41, v12, v22
	global_load_dwordx2 v[21:22], v[66:67], off offset:768
	s_waitcnt vmcnt(17)
	v_fmac_f32_e32 v40, v13, v23
	v_fmac_f32_e32 v41, v14, v24
	global_load_dwordx2 v[23:24], v[66:67], off offset:1024
	ds_read_b128 v[11:14], v30 offset:64
	s_waitcnt vmcnt(17) lgkmcnt(2)
	v_fmac_f32_e32 v40, v15, v25
	v_fmac_f32_e32 v41, v16, v26
	global_load_dwordx2 v[25:26], v[66:67], off offset:1280
	s_waitcnt vmcnt(17)
	v_fmac_f32_e32 v40, v17, v42
	v_fmac_f32_e32 v41, v18, v43
	ds_read_b128 v[15:18], v30 offset:80
	v_add_co_u32 v42, s2, v5, 0x2000
	s_waitcnt vmcnt(16) lgkmcnt(2)
	v_fmac_f32_e32 v40, v7, v44
	v_fmac_f32_e32 v41, v8, v45
	v_add_co_ci_u32_e64 v43, null, 0, v6, s2
	v_add_co_u32 v7, s2, 0x3800, v5
	global_load_dwordx2 v[44:45], v[66:67], off offset:1792
	s_waitcnt vmcnt(16)
	v_fmac_f32_e32 v40, v9, v46
	v_add_co_ci_u32_e64 v8, null, 0, v6, s2
	v_fmac_f32_e32 v41, v10, v47
	s_clause 0x1
	global_load_dwordx2 v[46:47], v[42:43], off offset:-2048
	global_load_dwordx2 v[3:4], v[7:8], off offset:1792
	s_waitcnt vmcnt(17) lgkmcnt(1)
	v_fmac_f32_e32 v40, v11, v48
	v_add_co_u32 v48, s2, 0x1800, v5
	v_fmac_f32_e32 v41, v12, v49
	v_add_co_ci_u32_e64 v49, null, 0, v6, s2
	ds_read_b128 v[9:12], v30 offset:96
	s_waitcnt vmcnt(16)
	v_fmac_f32_e32 v40, v13, v50
	v_fmac_f32_e32 v41, v14, v51
	global_load_dwordx2 v[50:51], v[48:49], off offset:256
	s_waitcnt vmcnt(16) lgkmcnt(1)
	v_fmac_f32_e32 v40, v15, v52
	v_fmac_f32_e32 v41, v16, v53
	global_load_dwordx2 v[52:53], v[48:49], off offset:512
	ds_read_b128 v[13:16], v30 offset:112
	s_waitcnt vmcnt(16)
	v_fmac_f32_e32 v40, v17, v54
	v_fmac_f32_e32 v41, v18, v55
	global_load_dwordx2 v[54:55], v[48:49], off offset:768
	s_waitcnt vmcnt(16) lgkmcnt(1)
	v_fmac_f32_e32 v40, v9, v56
	v_fmac_f32_e32 v41, v10, v57
	s_waitcnt vmcnt(15)
	v_fmac_f32_e32 v40, v11, v58
	v_fmac_f32_e32 v41, v12, v59
	ds_read_b128 v[9:12], v30 offset:128
	s_clause 0x1
	global_load_dwordx2 v[56:57], v[48:49], off offset:1024
	global_load_dwordx2 v[58:59], v[48:49], off offset:1280
	s_waitcnt vmcnt(16) lgkmcnt(1)
	v_fmac_f32_e32 v40, v13, v60
	v_fmac_f32_e32 v41, v14, v61
	global_load_dwordx2 v[60:61], v[48:49], off offset:1536
	s_waitcnt vmcnt(16)
	v_fmac_f32_e32 v40, v15, v62
	v_add_co_u32 v62, s2, 0x2000, v5
	v_fmac_f32_e32 v41, v16, v63
	v_add_co_ci_u32_e64 v63, null, 0, v6, s2
	ds_read_b128 v[13:16], v30 offset:144
	global_load_dwordx2 v[66:67], v[62:63], off offset:256
	s_waitcnt vmcnt(16) lgkmcnt(1)
	v_fmac_f32_e32 v40, v9, v64
	v_fmac_f32_e32 v41, v10, v65
	s_clause 0x1
	global_load_dwordx2 v[64:65], v[42:43], off
	global_load_dwordx2 v[48:49], v[48:49], off offset:1792
	s_waitcnt vmcnt(17)
	v_fmac_f32_e32 v40, v11, v68
	v_fmac_f32_e32 v41, v12, v69
	ds_read_b128 v[9:12], v30 offset:160
	s_waitcnt vmcnt(15) lgkmcnt(1)
	v_fmac_f32_e32 v40, v13, v19
	v_fmac_f32_e32 v41, v14, v20
	ds_read_b128 v[17:20], v30 offset:176
	s_clause 0x3
	global_load_dwordx2 v[68:69], v[62:63], off offset:512
	global_load_dwordx2 v[72:73], v[62:63], off offset:768
	;; [unrolled: 1-line block ×4, first 2 shown]
	s_waitcnt vmcnt(18)
	v_fmac_f32_e32 v40, v15, v21
	v_fmac_f32_e32 v41, v16, v22
	s_waitcnt vmcnt(17) lgkmcnt(1)
	v_fmac_f32_e32 v40, v9, v23
	v_fmac_f32_e32 v41, v10, v24
	v_add_co_u32 v9, s2, v5, 0x3000
	v_add_co_ci_u32_e64 v10, null, 0, v6, s2
	s_waitcnt vmcnt(16)
	v_fmac_f32_e32 v40, v11, v25
	v_fmac_f32_e32 v41, v12, v26
	ds_read_b128 v[11:14], v30 offset:192
	s_waitcnt lgkmcnt(1)
	v_fmac_f32_e32 v40, v17, v70
	v_fmac_f32_e32 v41, v18, v71
	global_load_dwordx2 v[70:71], v[62:63], off offset:1536
	ds_read_b128 v[15:18], v30 offset:208
	s_clause 0x2
	global_load_dwordx2 v[62:63], v[62:63], off offset:1792
	global_load_dwordx2 v[78:79], v[9:10], off offset:-2048
	global_load_dwordx2 v[9:10], v[9:10], off
	ds_read_b128 v[21:24], v30 offset:256
	s_waitcnt vmcnt(19)
	v_fmac_f32_e32 v40, v19, v44
	v_fmac_f32_e32 v41, v20, v45
	ds_read_b128 v[42:45], v30 offset:272
	s_waitcnt vmcnt(18) lgkmcnt(3)
	v_fmac_f32_e32 v40, v11, v46
	v_add_co_u32 v46, s2, 0x2800, v5
	v_fmac_f32_e32 v41, v12, v47
	v_add_co_ci_u32_e64 v47, null, 0, v6, s2
	s_waitcnt vmcnt(16)
	v_fmac_f32_e32 v40, v50, v13
	v_fmac_f32_e32 v41, v51, v14
	s_clause 0x1
	global_load_dwordx2 v[50:51], v[46:47], off offset:256
	global_load_dwordx2 v[25:26], v[46:47], off offset:768
	ds_read_b128 v[11:14], v30 offset:224
	s_waitcnt vmcnt(17) lgkmcnt(3)
	v_fmac_f32_e32 v40, v52, v15
	v_fmac_f32_e32 v41, v53, v16
	s_clause 0x1
	global_load_dwordx2 v[52:53], v[46:47], off offset:512
	global_load_dwordx2 v[15:16], v[46:47], off offset:1024
	s_waitcnt vmcnt(18)
	v_fmac_f32_e32 v40, v54, v17
	v_fmac_f32_e32 v41, v55, v18
	ds_read_b128 v[17:20], v30 offset:240
	v_add_co_u32 v54, s2, 0x3000, v5
	v_add_co_ci_u32_e64 v55, null, 0, v6, s2
	v_cmp_gt_i32_e64 s2, 32, v33
	global_load_dwordx2 v[5:6], v[54:55], off offset:256
	s_waitcnt vmcnt(18) lgkmcnt(1)
	v_fmac_f32_e32 v40, v56, v11
	v_fmac_f32_e32 v41, v57, v12
	global_load_dwordx2 v[11:12], v[46:47], off offset:1536
	s_waitcnt vmcnt(18)
	v_fmac_f32_e32 v40, v58, v13
	v_fmac_f32_e32 v41, v59, v14
	global_load_dwordx2 v[13:14], v[46:47], off offset:1280
	s_waitcnt vmcnt(18) lgkmcnt(0)
	v_fmac_f32_e32 v40, v60, v17
	v_fmac_f32_e32 v41, v61, v18
	global_load_dwordx2 v[17:18], v[46:47], off offset:1792
	s_waitcnt vmcnt(16)
	v_fmac_f32_e32 v40, v48, v19
	v_fmac_f32_e32 v41, v49, v20
	ds_read_b128 v[46:49], v30 offset:288
	v_fmac_f32_e32 v40, v64, v21
	v_fmac_f32_e32 v41, v65, v22
	;; [unrolled: 1-line block ×4, first 2 shown]
	s_clause 0x4
	global_load_dwordx2 v[21:22], v[54:55], off offset:512
	global_load_dwordx2 v[23:24], v[54:55], off offset:768
	;; [unrolled: 1-line block ×5, first 2 shown]
	s_waitcnt vmcnt(20)
	v_fmac_f32_e32 v40, v68, v42
	v_fmac_f32_e32 v41, v69, v43
	s_waitcnt vmcnt(19)
	v_fmac_f32_e32 v40, v72, v44
	v_fmac_f32_e32 v41, v73, v45
	ds_read_b128 v[42:45], v30 offset:304
	s_waitcnt vmcnt(18) lgkmcnt(1)
	v_fmac_f32_e32 v40, v74, v46
	v_fmac_f32_e32 v41, v75, v47
	s_waitcnt vmcnt(17)
	v_fmac_f32_e32 v40, v76, v48
	v_fmac_f32_e32 v41, v77, v49
	ds_read_b128 v[46:49], v30 offset:320
	s_clause 0x3
	global_load_dwordx2 v[54:55], v[54:55], off offset:1792
	global_load_dwordx2 v[60:61], v[7:8], off
	global_load_dwordx2 v[64:65], v[7:8], off offset:256
	global_load_dwordx2 v[66:67], v[7:8], off offset:768
	s_waitcnt vmcnt(20) lgkmcnt(1)
	v_fmac_f32_e32 v40, v70, v42
	v_fmac_f32_e32 v41, v71, v43
	s_waitcnt vmcnt(19)
	v_fmac_f32_e32 v40, v62, v44
	v_fmac_f32_e32 v41, v63, v45
	global_load_dwordx2 v[62:63], v[7:8], off offset:512
	ds_read_b128 v[42:45], v30 offset:336
	s_clause 0x2
	global_load_dwordx2 v[68:69], v[7:8], off offset:1024
	global_load_dwordx2 v[70:71], v[7:8], off offset:1280
	;; [unrolled: 1-line block ×3, first 2 shown]
	s_waitcnt vmcnt(22) lgkmcnt(1)
	v_fmac_f32_e32 v40, v78, v46
	v_fmac_f32_e32 v41, v79, v47
	s_waitcnt vmcnt(20)
	v_fmac_f32_e32 v40, v50, v48
	v_fmac_f32_e32 v41, v51, v49
	ds_read_b128 v[46:49], v30 offset:352
	s_waitcnt vmcnt(18) lgkmcnt(1)
	v_fmac_f32_e32 v40, v52, v42
	v_fmac_f32_e32 v41, v53, v43
	ds_read_b128 v[50:53], v30 offset:384
	v_fmac_f32_e32 v40, v25, v44
	v_fmac_f32_e32 v41, v26, v45
	ds_read_b128 v[42:45], v30 offset:368
	s_waitcnt vmcnt(17) lgkmcnt(2)
	v_fmac_f32_e32 v40, v15, v46
	v_fmac_f32_e32 v41, v16, v47
	s_waitcnt vmcnt(14)
	v_fmac_f32_e32 v40, v13, v48
	v_fmac_f32_e32 v41, v14, v49
	ds_read_b128 v[13:16], v30 offset:400
	s_waitcnt lgkmcnt(1)
	v_fmac_f32_e32 v40, v11, v42
	v_fmac_f32_e32 v41, v12, v43
	s_waitcnt vmcnt(13)
	v_fmac_f32_e32 v40, v17, v44
	v_fmac_f32_e32 v41, v18, v45
	ds_read_b128 v[42:45], v30 offset:416
	v_fmac_f32_e32 v40, v9, v50
	v_fmac_f32_e32 v41, v10, v51
	ds_read_b128 v[9:12], v30 offset:448
	;; [unrolled: 3-line block ×3, first 2 shown]
	s_waitcnt vmcnt(12) lgkmcnt(3)
	v_fmac_f32_e32 v40, v21, v13
	v_fmac_f32_e32 v41, v22, v14
	s_waitcnt vmcnt(11)
	v_fmac_f32_e32 v40, v23, v15
	v_fmac_f32_e32 v41, v24, v16
	ds_read_b128 v[13:16], v30 offset:464
	s_waitcnt vmcnt(10) lgkmcnt(3)
	v_fmac_f32_e32 v40, v19, v42
	v_fmac_f32_e32 v41, v20, v43
	s_waitcnt vmcnt(9)
	v_fmac_f32_e32 v40, v56, v44
	v_fmac_f32_e32 v41, v57, v45
	s_waitcnt vmcnt(8) lgkmcnt(1)
	v_fmac_f32_e32 v40, v58, v5
	v_fmac_f32_e32 v41, v59, v6
	s_waitcnt vmcnt(7)
	v_fmac_f32_e32 v40, v54, v7
	v_fmac_f32_e32 v41, v55, v8
	ds_read_b128 v[5:8], v30 offset:480
	s_waitcnt vmcnt(6)
	v_fmac_f32_e32 v40, v60, v9
	v_fmac_f32_e32 v41, v61, v10
	s_waitcnt vmcnt(5)
	v_fmac_f32_e32 v40, v64, v11
	v_fmac_f32_e32 v41, v65, v12
	ds_read_b128 v[9:12], v30 offset:496
	s_waitcnt vmcnt(3) lgkmcnt(2)
	v_fmac_f32_e32 v40, v62, v13
	v_fmac_f32_e32 v41, v63, v14
	;; [unrolled: 1-line block ×4, first 2 shown]
	s_waitcnt vmcnt(2) lgkmcnt(1)
	v_fmac_f32_e32 v40, v68, v5
	v_fmac_f32_e32 v41, v69, v6
	v_cndmask_b32_e64 v5, v27, v33, s2
	s_waitcnt vmcnt(1)
	v_fmac_f32_e32 v40, v70, v7
	v_fmac_f32_e32 v41, v71, v8
	s_waitcnt vmcnt(0) lgkmcnt(0)
	v_fmac_f32_e32 v40, v72, v9
	v_fmac_f32_e32 v41, v73, v10
	;; [unrolled: 1-line block ×4, first 2 shown]
	v_lshlrev_b32_e32 v4, 2, v5
	v_add_f32_e32 v3, v40, v41
	ds_bpermute_b32 v4, v4, v3
	s_and_saveexec_b32 s44, vcc_lo
	s_cbranch_execz .LBB35_11
; %bb.19:                               ;   in Loop: Header=BB35_13 Depth=1
	v_add_nc_u32_e32 v5, v34, v31
	s_waitcnt lgkmcnt(0)
	v_add_f32_e32 v3, v3, v4
	v_cvt_f32_i32_e32 v5, v5
	v_mul_f32_e32 v5, s40, v5
	v_cndmask_b32_e64 v4, 0, v5, s1
	v_max_f32_e32 v5, v28, v28
	v_fmac_f32_e32 v4, s37, v3
	v_add_nc_u32_e32 v3, v29, v31
	v_max_f32_e32 v5, v5, v4
	v_cmp_gt_i32_e64 s2, s27, v3
	v_cndmask_b32_e64 v3, 0, v4, s2
	v_cndmask_b32_e64 v28, v28, v5, s2
	ds_write_b32 v35, v3
	s_branch .LBB35_11
.LBB35_20:
	s_or_b32 exec_lo, exec_lo, s15
.LBB35_21:
	s_or_b32 exec_lo, exec_lo, s42
	v_xor_b32_e32 v1, 16, v27
	v_xor_b32_e32 v3, 8, v27
	v_max_f32_e32 v5, v28, v28
	v_xor_b32_e32 v6, 2, v27
	v_and_b32_e32 v55, 31, v80
	v_cmp_gt_i32_e32 vcc_lo, 32, v1
	v_cndmask_b32_e32 v1, v27, v1, vcc_lo
	v_cmp_gt_i32_e32 vcc_lo, 32, v3
	v_lshlrev_b32_e32 v2, 2, v1
	v_cndmask_b32_e32 v3, v27, v3, vcc_lo
	ds_bpermute_b32 v1, v2, v28
	s_waitcnt lgkmcnt(1)
	v_lshlrev_b32_e32 v4, 2, v3
	s_waitcnt lgkmcnt(0)
	v_max_f32_e32 v1, v1, v1
	v_max_f32_e32 v1, v5, v1
	v_xor_b32_e32 v5, 4, v27
	ds_bpermute_b32 v3, v4, v1
	v_cmp_gt_i32_e32 vcc_lo, 32, v5
	v_cndmask_b32_e32 v5, v27, v5, vcc_lo
	v_cmp_gt_i32_e32 vcc_lo, 32, v6
	v_lshlrev_b32_e32 v5, 2, v5
	v_cndmask_b32_e32 v6, v27, v6, vcc_lo
	v_cmp_eq_u32_e32 vcc_lo, 0, v55
	v_lshlrev_b32_e32 v38, 2, v6
	v_lshlrev_b32_e32 v6, 2, v81
	s_waitcnt lgkmcnt(0)
	v_max_f32_e32 v3, v3, v3
	v_max_f32_e32 v1, v1, v3
	ds_bpermute_b32 v3, v5, v1
	s_waitcnt lgkmcnt(0)
	v_max_f32_e32 v3, v3, v3
	v_max_f32_e32 v1, v1, v3
	ds_bpermute_b32 v3, v38, v1
	s_and_saveexec_b32 s1, vcc_lo
	s_cbranch_execz .LBB35_23
; %bb.22:
	s_waitcnt lgkmcnt(0)
	v_max_f32_e32 v3, v3, v3
	v_max_f32_e32 v1, v1, v1
	;; [unrolled: 1-line block ×3, first 2 shown]
	ds_write_b32 v6, v1 offset:1024
.LBB35_23:
	s_or_b32 exec_lo, exec_lo, s1
	v_cmp_gt_u32_e64 s1, 4, v55
	v_mov_b32_e32 v1, 0xff7fffff
	v_lshlrev_b32_e32 v7, 2, v55
	s_waitcnt lgkmcnt(0)
	s_waitcnt_vscnt null, 0x0
	s_barrier
	buffer_gl0_inv
	s_and_saveexec_b32 s2, s1
; %bb.24:
	ds_read_b32 v1, v7 offset:1024
; %bb.25:
	s_or_b32 exec_lo, exec_lo, s2
	s_waitcnt lgkmcnt(0)
	ds_bpermute_b32 v3, v38, v1
	v_xor_b32_e32 v8, 1, v27
	v_max_f32_e32 v1, v1, v1
	v_cmp_gt_i32_e64 s2, 32, v8
	v_cndmask_b32_e64 v8, v27, v8, s2
	s_sub_i32 s2, s16, s41
	s_lshl_b32 s2, s2, 4
	v_lshlrev_b32_e32 v54, 2, v8
	v_mov_b32_e32 v8, 0
	s_add_i32 s2, s2, s38
	s_min_i32 s2, s2, s27
	s_waitcnt lgkmcnt(0)
	v_max_f32_e32 v3, v3, v3
	s_sub_i32 s4, s2, s38
	v_cmp_gt_i32_e64 s2, s4, v80
	v_max_f32_e32 v1, v1, v3
	ds_bpermute_b32 v3, v54, v1
	s_waitcnt lgkmcnt(0)
	v_max_f32_e32 v3, v3, v3
	v_max_f32_e32 v1, v1, v3
	v_lshl_add_u32 v3, v80, 2, 0x420
	ds_bpermute_b32 v1, v8, v1
	s_and_saveexec_b32 s5, s2
	s_cbranch_execz .LBB35_29
; %bb.26:
	v_lshl_add_u32 v9, v80, 2, 0x420
	v_mov_b32_e32 v8, 0
	v_mov_b32_e32 v10, v80
	s_mov_b32 s15, 0
	.p2align	6
.LBB35_27:                              ; =>This Inner Loop Header: Depth=1
	ds_read_b32 v11, v9
	v_add_nc_u32_e32 v10, 0x80, v10
	v_cmp_le_i32_e64 s3, s4, v10
	s_or_b32 s15, s3, s15
	s_waitcnt lgkmcnt(0)
	v_sub_f32_e32 v11, v11, v1
	v_mul_f32_e32 v11, 0x3fb8aa3b, v11
	v_exp_f32_e32 v11, v11
	ds_write_b32 v9, v11
	v_add_f32_e32 v8, v8, v11
	v_add_nc_u32_e32 v9, 0x200, v9
	s_andn2_b32 exec_lo, exec_lo, s15
	s_cbranch_execnz .LBB35_27
; %bb.28:
	s_or_b32 exec_lo, exec_lo, s15
.LBB35_29:
	s_or_b32 exec_lo, exec_lo, s5
	ds_bpermute_b32 v2, v2, v8
	s_waitcnt lgkmcnt(0)
	v_add_f32_e32 v2, v8, v2
	ds_bpermute_b32 v4, v4, v2
	s_waitcnt lgkmcnt(0)
	v_add_f32_e32 v2, v2, v4
	;; [unrolled: 3-line block ×5, first 2 shown]
	s_and_saveexec_b32 s3, vcc_lo
; %bb.30:
	ds_write_b32 v6, v2 offset:1040
; %bb.31:
	s_or_b32 exec_lo, exec_lo, s3
	s_waitcnt lgkmcnt(0)
	s_barrier
	buffer_gl0_inv
	s_and_saveexec_b32 s3, s1
; %bb.32:
	ds_read_b32 v2, v7 offset:1040
; %bb.33:
	s_or_b32 exec_lo, exec_lo, s3
	s_waitcnt lgkmcnt(0)
	ds_bpermute_b32 v4, v38, v2
	s_waitcnt lgkmcnt(0)
	v_add_f32_e32 v2, v2, v4
	ds_bpermute_b32 v4, v54, v2
	s_waitcnt lgkmcnt(0)
	v_add_f32_e32 v2, v2, v4
	v_mov_b32_e32 v4, 0
	ds_bpermute_b32 v2, v4, v2
	s_and_saveexec_b32 s1, s2
	s_cbranch_execz .LBB35_36
; %bb.34:
	s_waitcnt lgkmcnt(0)
	v_add_f32_e32 v4, 0x358637bd, v2
	s_mov_b32 s2, 0
	v_div_scale_f32 v5, null, v4, v4, 1.0
	v_div_scale_f32 v8, vcc_lo, 1.0, v4, 1.0
	v_rcp_f32_e32 v6, v5
	v_fma_f32 v7, -v5, v6, 1.0
	v_fmac_f32_e32 v6, v7, v6
	v_mul_f32_e32 v7, v8, v6
	v_fma_f32 v9, -v5, v7, v8
	v_fmac_f32_e32 v7, v9, v6
	v_fma_f32 v5, -v5, v7, v8
	v_div_fmas_f32 v5, v5, v6, v7
	v_div_fixup_f32 v4, v5, v4, 1.0
	v_mov_b32_e32 v5, v80
.LBB35_35:                              ; =>This Inner Loop Header: Depth=1
	ds_read_b32 v6, v3
	v_add_nc_u32_e32 v5, 0x80, v5
	v_cmp_le_i32_e32 vcc_lo, s4, v5
	s_or_b32 s2, vcc_lo, s2
	s_waitcnt lgkmcnt(0)
	v_mul_f32_e32 v6, v4, v6
	ds_write_b32 v3, v6
	v_add_nc_u32_e32 v3, 0x200, v3
	s_andn2_b32 exec_lo, exec_lo, s2
	s_cbranch_execnz .LBB35_35
.LBB35_36:
	s_or_b32 exec_lo, exec_lo, s1
	s_mul_i32 s1, s7, s26
	s_waitcnt lgkmcnt(0)
	s_mul_i32 s2, s1, s9
	s_mov_b32 s1, exec_lo
	s_barrier
	buffer_gl0_inv
	v_cmpx_eq_u32_e32 0, v80
	s_cbranch_execz .LBB35_38
; %bb.37:
	s_ashr_i32 s3, s2, 31
	s_mul_i32 s40, s7, s6
	s_lshl_b64 s[4:5], s[2:3], 2
	v_mov_b32_e32 v3, 0
	s_add_u32 s3, s22, s4
	s_addc_u32 s6, s23, s5
	s_ashr_i32 s41, s40, 31
	s_lshl_b64 s[22:23], s[40:41], 2
	s_add_u32 s3, s3, s22
	s_addc_u32 s6, s6, s23
	s_ashr_i32 s9, s8, 31
	s_lshl_b64 s[40:41], s[8:9], 2
	s_add_u32 s42, s3, s40
	s_addc_u32 s43, s6, s41
	s_add_u32 s3, s20, s4
	s_addc_u32 s4, s21, s5
	;; [unrolled: 2-line block ×4, first 2 shown]
	global_store_dword v3, v1, s[42:43]
	global_store_dword v3, v2, s[4:5]
.LBB35_38:
	s_or_b32 exec_lo, exec_lo, s1
	v_mov_b32_e32 v18, 0
	v_and_b32_e32 v56, 3, v80
	v_mov_b32_e32 v26, 0
	v_mov_b32_e32 v17, 0
	;; [unrolled: 1-line block ×31, first 2 shown]
	s_and_saveexec_b32 s1, s0
	s_cbranch_execz .LBB35_108
; %bb.39:
	v_and_b32_e32 v1, 12, v0
	buffer_store_dword v54, off, s[48:51], 0 offset:220 ; 4-byte Folded Spill
	buffer_store_dword v38, off, s[48:51], 0 offset:216 ; 4-byte Folded Spill
	;; [unrolled: 1-line block ×4, first 2 shown]
	s_ashr_i32 s15, s14, 31
	s_sub_i32 s3, s39, s17
	s_lshl_b64 s[4:5], s[14:15], 2
	buffer_store_dword v1, off, s[48:51], 0 offset:192 ; 4-byte Folded Spill
	s_clause 0x1
	buffer_load_dword v1, off, s[48:51], 0
	buffer_load_dword v2, off, s[48:51], 0 offset:4
	s_add_u32 s4, s34, s4
	s_addc_u32 s5, s35, s5
	s_abs_i32 s6, s18
	v_and_b32_e32 v4, 0x7c, v0
	v_cvt_f32_u32_e32 v3, s6
	s_sub_i32 s0, 0, s6
	v_or_b32_e32 v0, 0xf80, v0
	v_lshlrev_b32_e32 v5, 4, v56
	v_lshlrev_b32_e32 v4, 2, v4
	v_rcp_iflag_f32_e32 v3, v3
	s_lshl_b64 s[14:15], s[30:31], 2
	s_add_i32 s9, s36, -1
	v_lshl_or_b32 v5, v81, 6, v5
	buffer_store_dword v4, off, s[48:51], 0 offset:196 ; 4-byte Folded Spill
	v_lshlrev_b32_e32 v0, 2, v0
	v_mov_b32_e32 v52, 0
	v_mov_b32_e32 v51, 0
	;; [unrolled: 1-line block ×4, first 2 shown]
	v_mul_f32_e32 v3, 0x4f7ffffe, v3
	v_mov_b32_e32 v48, 0
	v_mov_b32_e32 v47, 0
	;; [unrolled: 1-line block ×4, first 2 shown]
	v_cvt_u32_f32_e32 v3, v3
	v_mov_b32_e32 v42, 0
	v_mov_b32_e32 v40, 0
	;; [unrolled: 1-line block ×4, first 2 shown]
	v_mul_lo_u32 v6, s0, v3
	s_add_u32 s0, s28, s14
	s_addc_u32 s14, s29, s15
	v_mov_b32_e32 v36, 0
	v_mov_b32_e32 v30, 0
	;; [unrolled: 1-line block ×5, first 2 shown]
	v_mul_hi_u32 v4, v3, v6
	v_mov_b32_e32 v34, 0
	buffer_store_dword v0, off, s[48:51], 0 offset:200 ; 4-byte Folded Spill
	v_add_nc_u32_e32 v0, 0x420, v5
	v_mov_b32_e32 v35, 0
	v_mov_b32_e32 v57, 0
	;; [unrolled: 1-line block ×14, first 2 shown]
	buffer_store_dword v56, off, s[48:51], 0 offset:224 ; 4-byte Folded Spill
	buffer_store_dword v81, off, s[48:51], 0 offset:208 ; 4-byte Folded Spill
	s_waitcnt vmcnt(0)
	v_lshlrev_b64 v[1:2], 2, v[1:2]
	v_add_co_u32 v126, vcc_lo, s0, v1
	v_add_co_ci_u32_e64 v127, null, s14, v2, vcc_lo
	v_add_nc_u32_e32 v1, v3, v4
	s_mov_b32 s14, s13
	s_mov_b32 s13, 0
	buffer_store_dword v1, off, s[48:51], 0 offset:60 ; 4-byte Folded Spill
	s_branch .LBB35_42
.LBB35_40:                              ;   in Loop: Header=BB35_42 Depth=1
	s_or_b32 exec_lo, exec_lo, s0
	s_waitcnt lgkmcnt(0)
	v_mul_f32_e32 v77, v1, v77
	v_mul_f32_e32 v16, v1, v81
	;; [unrolled: 1-line block ×5, first 2 shown]
	v_fmac_f32_e32 v77, v2, v78
	v_mul_f32_e32 v33, v1, v33
	v_fmac_f32_e32 v17, v2, v18
	v_fmac_f32_e32 v41, v2, v42
	;; [unrolled: 1-line block ×9, first 2 shown]
	s_clause 0x3
	buffer_load_dword v78, off, s[48:51], 0 offset:44
	buffer_load_dword v79, off, s[48:51], 0 offset:48
	;; [unrolled: 1-line block ×4, first 2 shown]
	v_fmac_f32_e32 v33, v3, v35
	v_fmac_f32_e32 v41, v4, v44
	;; [unrolled: 1-line block ×3, first 2 shown]
	v_mul_f32_e32 v14, v1, v93
	v_fmac_f32_e32 v16, v2, v82
	v_fmac_f32_e32 v33, v4, v36
	v_mul_f32_e32 v29, v1, v29
	v_mul_f32_e32 v25, v1, v25
	v_fmac_f32_e32 v14, v2, v94
	v_mul_f32_e32 v21, v1, v21
	v_fmac_f32_e32 v16, v3, v83
	v_fmac_f32_e32 v29, v2, v30
	;; [unrolled: 1-line block ×10, first 2 shown]
	v_mul_f32_e32 v13, v1, v97
	v_fmac_f32_e32 v29, v4, v32
	v_fmac_f32_e32 v25, v4, v28
	v_mul_f32_e32 v15, v1, v85
	v_fmac_f32_e32 v21, v4, v24
	v_mul_f32_e32 v57, v1, v57
	v_fmac_f32_e32 v13, v2, v98
	v_fmac_f32_e32 v17, v4, v20
	;; [unrolled: 1-line block ×3, first 2 shown]
	v_mul_f32_e32 v49, v1, v49
	v_fmac_f32_e32 v57, v2, v58
	v_fmac_f32_e32 v13, v3, v99
	v_mul_f32_e32 v45, v1, v45
	v_fmac_f32_e32 v15, v3, v87
	v_fmac_f32_e32 v49, v2, v50
	;; [unrolled: 1-line block ×8, first 2 shown]
	v_mul_f32_e32 v9, v1, v9
	v_fmac_f32_e32 v45, v3, v47
	v_mul_f32_e32 v5, v1, v5
	v_fmac_f32_e32 v49, v4, v52
	;; [unrolled: 2-line block ×3, first 2 shown]
	v_fmac_f32_e32 v45, v4, v48
	v_fmac_f32_e32 v5, v2, v6
	v_mul_f32_e32 v6, v1, v121
	v_mul_f32_e32 v10, v1, v109
	v_fmac_f32_e32 v9, v3, v11
	v_mul_f32_e32 v11, v1, v105
	v_fmac_f32_e32 v5, v3, v7
	v_mul_f32_e32 v7, v1, v117
	v_mul_f32_e32 v69, v1, v69
	v_fmac_f32_e32 v9, v4, v12
	v_mul_f32_e32 v12, v1, v101
	v_fmac_f32_e32 v5, v4, v8
	v_mul_f32_e32 v8, v1, v113
	v_mul_f32_e32 v65, v1, v65
	;; [unrolled: 1-line block ×4, first 2 shown]
	v_fmac_f32_e32 v6, v2, v122
	v_fmac_f32_e32 v7, v2, v118
	;; [unrolled: 1-line block ×33, first 2 shown]
	s_waitcnt vmcnt(3)
	v_mul_f32_e32 v18, v1, v78
	s_waitcnt vmcnt(2)
	v_fmac_f32_e32 v18, v2, v79
	s_waitcnt vmcnt(1)
	v_fmac_f32_e32 v18, v3, v80
	;; [unrolled: 2-line block ×3, first 2 shown]
	s_clause 0x3
	buffer_load_dword v78, off, s[48:51], 0 offset:28
	buffer_load_dword v79, off, s[48:51], 0 offset:32
	;; [unrolled: 1-line block ×4, first 2 shown]
	s_waitcnt vmcnt(3)
	v_mul_f32_e32 v19, v1, v78
	s_waitcnt vmcnt(2)
	v_fmac_f32_e32 v19, v2, v79
	s_waitcnt vmcnt(1)
	v_fmac_f32_e32 v19, v3, v80
	;; [unrolled: 2-line block ×3, first 2 shown]
	s_clause 0x1a
	buffer_load_dword v78, off, s[48:51], 0 offset:12
	buffer_load_dword v79, off, s[48:51], 0 offset:16
	;; [unrolled: 1-line block ×27, first 2 shown]
	s_waitcnt vmcnt(26)
	v_mul_f32_e32 v20, v1, v78
	v_mul_f32_e32 v1, v1, v89
	s_waitcnt vmcnt(22)
	v_add_f32_e32 v42, v42, v12
	s_waitcnt vmcnt(21)
	v_add_f32_e32 v40, v40, v13
	;; [unrolled: 2-line block ×3, first 2 shown]
	buffer_load_dword v14, off, s[48:51], 0 offset:160 ; 4-byte Folded Reload
	s_waitcnt vmcnt(19)
	v_add_f32_e32 v36, v36, v16
	buffer_load_dword v16, off, s[48:51], 0 offset:168 ; 4-byte Folded Reload
	v_add_f32_e32 v44, v44, v15
	s_clause 0x1
	buffer_load_dword v13, off, s[48:51], 0 offset:156
	buffer_load_dword v15, off, s[48:51], 0 offset:164
	v_fmac_f32_e32 v20, v2, v79
	s_waitcnt vmcnt(16)
	v_add_f32_e32 v35, v35, v57
	buffer_load_dword v57, off, s[48:51], 0 offset:140 ; 4-byte Folded Reload
	v_fmac_f32_e32 v1, v2, v90
	v_add_f32_e32 v30, v30, v77
	v_fmac_f32_e32 v20, v3, v80
	s_waitcnt vmcnt(12)
	v_add_f32_e32 v51, v51, v9
	s_waitcnt vmcnt(11)
	v_add_f32_e32 v50, v50, v5
	v_fmac_f32_e32 v1, v3, v91
	s_waitcnt vmcnt(10)
	v_add_f32_e32 v58, v58, v6
	v_fmac_f32_e32 v20, v4, v81
	s_waitcnt vmcnt(9)
	v_add_f32_e32 v48, v48, v7
	s_waitcnt vmcnt(8)
	v_add_f32_e32 v47, v47, v8
	v_fmac_f32_e32 v1, v4, v92
	s_waitcnt vmcnt(7)
	v_add_f32_e32 v46, v46, v10
	s_waitcnt vmcnt(6)
	v_add_f32_e32 v43, v43, v11
	v_add_f32_e32 v28, v28, v73
	v_add_f32_e32 v31, v31, v69
	v_add_f32_e32 v32, v32, v65
	v_add_f32_e32 v34, v34, v61
	v_add_f32_e32 v22, v22, v49
	v_add_f32_e32 v24, v24, v41
	s_waitcnt vmcnt(5)
	v_add_f32_e32 v52, v52, v1
	v_add_f32_e32 v26, v26, v19
	s_waitcnt vmcnt(4)
	v_add_f32_e32 v14, v14, v33
	s_waitcnt vmcnt(3)
	v_add_f32_e32 v16, v16, v25
	buffer_load_dword v25, off, s[48:51], 0 offset:172 ; 4-byte Folded Reload
	v_add_f32_e32 v23, v23, v45
	s_waitcnt vmcnt(3)
	v_add_f32_e32 v13, v13, v37
	s_waitcnt vmcnt(2)
	;; [unrolled: 2-line block ×4, first 2 shown]
	v_add_f32_e32 v25, v25, v21
	buffer_load_dword v21, off, s[48:51], 0 offset:176 ; 4-byte Folded Reload
	s_waitcnt vmcnt(0)
	v_add_f32_e32 v21, v21, v17
	buffer_load_dword v17, off, s[48:51], 0 offset:180 ; 4-byte Folded Reload
	s_waitcnt vmcnt(0)
	;; [unrolled: 3-line block ×3, first 2 shown]
	v_add_f32_e32 v18, v18, v20
.LBB35_41:                              ;   in Loop: Header=BB35_42 Depth=1
	s_or_b32 exec_lo, exec_lo, s15
	s_clause 0x1
	buffer_load_dword v1, off, s[48:51], 0
	buffer_load_dword v2, off, s[48:51], 0 offset:4
	v_add_co_u32 v126, s0, v126, 16
	v_add_co_ci_u32_e64 v127, null, 0, v127, s0
	v_add_nc_u32_e32 v0, 0x100, v0
	s_waitcnt vmcnt(0)
	v_mov_b32_e32 v2, v1
	v_add_nc_u32_e32 v2, 4, v2
	v_mov_b32_e32 v1, v2
	buffer_store_dword v1, off, s[48:51], 0 ; 4-byte Folded Spill
	buffer_store_dword v2, off, s[48:51], 0 offset:4 ; 4-byte Folded Spill
	buffer_load_dword v82, off, s[48:51], 0 offset:8 ; 4-byte Folded Reload
	v_cmp_le_i32_e32 vcc_lo, s16, v2
	s_waitcnt vmcnt(0)
	v_add_nc_u32_e32 v82, 64, v82
	s_or_b32 s13, vcc_lo, s13
	s_andn2_b32 exec_lo, exec_lo, s13
	s_cbranch_execz .LBB35_107
.LBB35_42:                              ; =>This Inner Loop Header: Depth=1
	v_sub_nc_u32_e32 v1, 0, v82
	buffer_store_dword v82, off, s[48:51], 0 offset:8 ; 4-byte Folded Spill
	v_max_i32_e32 v1, v82, v1
	v_mul_hi_u32 v2, v1, s12
	v_mul_lo_u32 v3, v2, s11
	v_sub_nc_u32_e32 v1, v1, v3
	v_add_nc_u32_e32 v3, 1, v2
	v_subrev_nc_u32_e32 v4, s11, v1
	v_cmp_le_u32_e32 vcc_lo, s11, v1
	v_cndmask_b32_e32 v2, v2, v3, vcc_lo
	v_cndmask_b32_e32 v1, v1, v4, vcc_lo
	v_ashrrev_i32_e32 v3, 31, v82
	v_add_nc_u32_e32 v4, 1, v2
	v_cmp_le_u32_e32 vcc_lo, s11, v1
	v_xor_b32_e32 v3, s19, v3
	v_cndmask_b32_e32 v1, v2, v4, vcc_lo
	buffer_load_dword v4, off, s[48:51], 0 offset:60 ; 4-byte Folded Reload
	v_xor_b32_e32 v1, v1, v3
	v_sub_nc_u32_e32 v1, v1, v3
	v_add_nc_u32_e32 v2, s33, v1
	v_cmp_lt_i32_e64 s0, s3, v1
	v_sub_nc_u32_e32 v3, 0, v2
	v_max_i32_e32 v3, v2, v3
	v_ashrrev_i32_e32 v2, 31, v2
	s_waitcnt vmcnt(0)
	v_mul_hi_u32 v4, v3, v4
	v_mul_lo_u32 v4, v4, s6
	v_sub_nc_u32_e32 v3, v3, v4
	v_subrev_nc_u32_e32 v4, s6, v3
	v_cmp_le_u32_e32 vcc_lo, s6, v3
	v_cndmask_b32_e32 v3, v3, v4, vcc_lo
	v_subrev_nc_u32_e32 v4, s6, v3
	v_cmp_le_u32_e32 vcc_lo, s6, v3
	v_cndmask_b32_e32 v3, v3, v4, vcc_lo
	v_xor_b32_e32 v3, v3, v2
	v_sub_nc_u32_e32 v2, v3, v2
	v_cmp_eq_u32_e32 vcc_lo, 0, v2
	s_or_b32 s0, vcc_lo, s0
	s_and_saveexec_b32 s15, s0
	s_cbranch_execz .LBB35_41
; %bb.43:                               ;   in Loop: Header=BB35_42 Depth=1
	buffer_store_dword v26, off, s[48:51], 0 offset:188 ; 4-byte Folded Spill
	buffer_store_dword v18, off, s[48:51], 0 offset:184 ; 4-byte Folded Spill
	;; [unrolled: 1-line block ×32, first 2 shown]
	global_load_dword v1, v[126:127], off
	s_waitcnt vmcnt(0)
	v_mad_i64_i32 v[1:2], null, v1, s14, 0
	v_lshlrev_b64 v[1:2], 2, v[1:2]
	v_add_co_u32 v16, vcc_lo, s4, v1
	buffer_load_dword v1, off, s[48:51], 0 offset:196 ; 4-byte Folded Reload
	v_add_co_ci_u32_e64 v89, null, s5, v2, vcc_lo
	s_waitcnt vmcnt(0)
	v_add_co_u32 v5, vcc_lo, v16, v1
	v_add_co_ci_u32_e64 v6, null, 0, v89, vcc_lo
	global_load_dwordx4 v[1:4], v[5:6], off
	s_waitcnt vmcnt(0)
	buffer_store_dword v1, off, s[48:51], 0 offset:12 ; 4-byte Folded Spill
	buffer_store_dword v2, off, s[48:51], 0 offset:16 ; 4-byte Folded Spill
	;; [unrolled: 1-line block ×4, first 2 shown]
	ds_read_b128 v[1:4], v0
	s_clause 0x1
	buffer_load_dword v7, off, s[48:51], 0 offset:8
	buffer_load_dword v8, off, s[48:51], 0 offset:192
	s_waitcnt vmcnt(0)
	v_add_nc_u32_e32 v13, v8, v7
	s_clause 0x1
	buffer_load_dword v7, off, s[48:51], 0
	buffer_load_dword v8, off, s[48:51], 0 offset:4
	v_add_nc_u32_e32 v15, 1, v13
	v_add_nc_u32_e32 v14, 2, v13
	;; [unrolled: 1-line block ×3, first 2 shown]
	s_waitcnt vmcnt(1)
	v_cmp_eq_u32_e32 vcc_lo, s9, v7
	s_and_saveexec_b32 s17, vcc_lo
	s_cbranch_execz .LBB35_45
; %bb.44:                               ;   in Loop: Header=BB35_42 Depth=1
	s_clause 0x3
	buffer_load_dword v7, off, s[48:51], 0 offset:12
	buffer_load_dword v8, off, s[48:51], 0 offset:16
	;; [unrolled: 1-line block ×4, first 2 shown]
	v_cmp_gt_i32_e64 s0, s27, v13
	s_waitcnt vmcnt(3)
	v_cndmask_b32_e64 v7, 0, v7, s0
	v_cmp_gt_i32_e64 s0, s27, v15
	s_waitcnt vmcnt(2)
	v_cndmask_b32_e64 v8, 0, v8, s0
	v_cmp_gt_i32_e64 s0, s27, v14
	s_waitcnt vmcnt(1)
	v_cndmask_b32_e64 v9, 0, v9, s0
	v_cmp_gt_i32_e64 s0, s27, v125
	s_waitcnt vmcnt(0)
	v_cndmask_b32_e64 v10, 0, v10, s0
	buffer_store_dword v7, off, s[48:51], 0 offset:12 ; 4-byte Folded Spill
	buffer_store_dword v8, off, s[48:51], 0 offset:16 ; 4-byte Folded Spill
	;; [unrolled: 1-line block ×4, first 2 shown]
.LBB35_45:                              ;   in Loop: Header=BB35_42 Depth=1
	s_or_b32 exec_lo, exec_lo, s17
	global_load_dwordx4 v[7:10], v[5:6], off offset:512
	s_waitcnt vmcnt(0)
	buffer_store_dword v7, off, s[48:51], 0 offset:28 ; 4-byte Folded Spill
	buffer_store_dword v8, off, s[48:51], 0 offset:32 ; 4-byte Folded Spill
	;; [unrolled: 1-line block ×4, first 2 shown]
	s_and_saveexec_b32 s17, vcc_lo
	s_cbranch_execz .LBB35_47
; %bb.46:                               ;   in Loop: Header=BB35_42 Depth=1
	s_clause 0x3
	buffer_load_dword v7, off, s[48:51], 0 offset:28
	buffer_load_dword v8, off, s[48:51], 0 offset:32
	;; [unrolled: 1-line block ×4, first 2 shown]
	v_cmp_gt_i32_e64 s0, s27, v13
	s_waitcnt vmcnt(3)
	v_cndmask_b32_e64 v7, 0, v7, s0
	v_cmp_gt_i32_e64 s0, s27, v15
	s_waitcnt vmcnt(2)
	v_cndmask_b32_e64 v8, 0, v8, s0
	;; [unrolled: 3-line block ×4, first 2 shown]
	buffer_store_dword v7, off, s[48:51], 0 offset:28 ; 4-byte Folded Spill
	buffer_store_dword v8, off, s[48:51], 0 offset:32 ; 4-byte Folded Spill
	;; [unrolled: 1-line block ×4, first 2 shown]
.LBB35_47:                              ;   in Loop: Header=BB35_42 Depth=1
	s_or_b32 exec_lo, exec_lo, s17
	global_load_dwordx4 v[7:10], v[5:6], off offset:1024
	s_waitcnt vmcnt(0)
	buffer_store_dword v7, off, s[48:51], 0 offset:44 ; 4-byte Folded Spill
	buffer_store_dword v8, off, s[48:51], 0 offset:48 ; 4-byte Folded Spill
	;; [unrolled: 1-line block ×4, first 2 shown]
	s_and_saveexec_b32 s17, vcc_lo
	s_cbranch_execz .LBB35_49
; %bb.48:                               ;   in Loop: Header=BB35_42 Depth=1
	s_clause 0x3
	buffer_load_dword v7, off, s[48:51], 0 offset:44
	buffer_load_dword v8, off, s[48:51], 0 offset:48
	;; [unrolled: 1-line block ×4, first 2 shown]
	v_cmp_gt_i32_e64 s0, s27, v13
	s_waitcnt vmcnt(3)
	v_cndmask_b32_e64 v7, 0, v7, s0
	v_cmp_gt_i32_e64 s0, s27, v15
	s_waitcnt vmcnt(2)
	v_cndmask_b32_e64 v8, 0, v8, s0
	;; [unrolled: 3-line block ×4, first 2 shown]
	buffer_store_dword v7, off, s[48:51], 0 offset:44 ; 4-byte Folded Spill
	buffer_store_dword v8, off, s[48:51], 0 offset:48 ; 4-byte Folded Spill
	;; [unrolled: 1-line block ×4, first 2 shown]
.LBB35_49:                              ;   in Loop: Header=BB35_42 Depth=1
	s_or_b32 exec_lo, exec_lo, s17
	global_load_dwordx4 v[17:20], v[5:6], off offset:1536
	s_and_saveexec_b32 s17, vcc_lo
	s_cbranch_execz .LBB35_51
; %bb.50:                               ;   in Loop: Header=BB35_42 Depth=1
	v_cmp_gt_i32_e64 s0, s27, v13
	s_waitcnt vmcnt(0)
	v_cndmask_b32_e64 v17, 0, v17, s0
	v_cmp_gt_i32_e64 s0, s27, v15
	v_cndmask_b32_e64 v18, 0, v18, s0
	v_cmp_gt_i32_e64 s0, s27, v14
	;; [unrolled: 2-line block ×3, first 2 shown]
	v_cndmask_b32_e64 v20, 0, v20, s0
.LBB35_51:                              ;   in Loop: Header=BB35_42 Depth=1
	s_or_b32 exec_lo, exec_lo, s17
	v_add_co_u32 v7, s0, 0x800, v5
	v_add_co_ci_u32_e64 v8, null, 0, v6, s0
	global_load_dwordx4 v[21:24], v[7:8], off
	s_and_saveexec_b32 s17, vcc_lo
	s_cbranch_execnz .LBB35_87
; %bb.52:                               ;   in Loop: Header=BB35_42 Depth=1
	s_or_b32 exec_lo, exec_lo, s17
	global_load_dwordx4 v[25:28], v[7:8], off offset:512
	s_and_saveexec_b32 s17, vcc_lo
	s_cbranch_execnz .LBB35_88
.LBB35_53:                              ;   in Loop: Header=BB35_42 Depth=1
	s_or_b32 exec_lo, exec_lo, s17
	global_load_dwordx4 v[29:32], v[7:8], off offset:1024
	s_and_saveexec_b32 s17, vcc_lo
	s_cbranch_execnz .LBB35_89
.LBB35_54:                              ;   in Loop: Header=BB35_42 Depth=1
	s_or_b32 exec_lo, exec_lo, s17
	global_load_dwordx4 v[33:36], v[7:8], off offset:1536
	s_and_saveexec_b32 s17, vcc_lo
	s_cbranch_execz .LBB35_56
.LBB35_55:                              ;   in Loop: Header=BB35_42 Depth=1
	v_cmp_gt_i32_e64 s0, s27, v13
	s_waitcnt vmcnt(0)
	v_cndmask_b32_e64 v33, 0, v33, s0
	v_cmp_gt_i32_e64 s0, s27, v15
	v_cndmask_b32_e64 v34, 0, v34, s0
	v_cmp_gt_i32_e64 s0, s27, v14
	;; [unrolled: 2-line block ×3, first 2 shown]
	v_cndmask_b32_e64 v36, 0, v36, s0
.LBB35_56:                              ;   in Loop: Header=BB35_42 Depth=1
	s_or_b32 exec_lo, exec_lo, s17
	v_add_co_u32 v7, s0, 0x1000, v5
	v_add_co_ci_u32_e64 v8, null, 0, v6, s0
	global_load_dwordx4 v[37:40], v[7:8], off
	s_and_saveexec_b32 s17, vcc_lo
	s_cbranch_execnz .LBB35_90
; %bb.57:                               ;   in Loop: Header=BB35_42 Depth=1
	s_or_b32 exec_lo, exec_lo, s17
	global_load_dwordx4 v[41:44], v[7:8], off offset:512
	s_and_saveexec_b32 s17, vcc_lo
	s_cbranch_execnz .LBB35_91
.LBB35_58:                              ;   in Loop: Header=BB35_42 Depth=1
	s_or_b32 exec_lo, exec_lo, s17
	global_load_dwordx4 v[45:48], v[7:8], off offset:1024
	s_and_saveexec_b32 s17, vcc_lo
	s_cbranch_execnz .LBB35_92
.LBB35_59:                              ;   in Loop: Header=BB35_42 Depth=1
	s_or_b32 exec_lo, exec_lo, s17
	global_load_dwordx4 v[49:52], v[7:8], off offset:1536
	s_and_saveexec_b32 s17, vcc_lo
	s_cbranch_execz .LBB35_61
.LBB35_60:                              ;   in Loop: Header=BB35_42 Depth=1
	v_cmp_gt_i32_e64 s0, s27, v13
	s_waitcnt vmcnt(0)
	v_cndmask_b32_e64 v49, 0, v49, s0
	v_cmp_gt_i32_e64 s0, s27, v15
	v_cndmask_b32_e64 v50, 0, v50, s0
	v_cmp_gt_i32_e64 s0, s27, v14
	;; [unrolled: 2-line block ×3, first 2 shown]
	v_cndmask_b32_e64 v52, 0, v52, s0
.LBB35_61:                              ;   in Loop: Header=BB35_42 Depth=1
	s_or_b32 exec_lo, exec_lo, s17
	v_add_co_u32 v7, s0, 0x1800, v5
	v_add_co_ci_u32_e64 v8, null, 0, v6, s0
	global_load_dwordx4 v[53:56], v[7:8], off
	s_and_saveexec_b32 s17, vcc_lo
	s_cbranch_execnz .LBB35_93
; %bb.62:                               ;   in Loop: Header=BB35_42 Depth=1
	s_or_b32 exec_lo, exec_lo, s17
	global_load_dwordx4 v[57:60], v[7:8], off offset:512
	s_and_saveexec_b32 s17, vcc_lo
	s_cbranch_execnz .LBB35_94
.LBB35_63:                              ;   in Loop: Header=BB35_42 Depth=1
	s_or_b32 exec_lo, exec_lo, s17
	global_load_dwordx4 v[61:64], v[7:8], off offset:1024
	s_and_saveexec_b32 s17, vcc_lo
	s_cbranch_execnz .LBB35_95
.LBB35_64:                              ;   in Loop: Header=BB35_42 Depth=1
	s_or_b32 exec_lo, exec_lo, s17
	global_load_dwordx4 v[65:68], v[7:8], off offset:1536
	s_and_saveexec_b32 s17, vcc_lo
	s_cbranch_execz .LBB35_66
.LBB35_65:                              ;   in Loop: Header=BB35_42 Depth=1
	v_cmp_gt_i32_e64 s0, s27, v13
	s_waitcnt vmcnt(0)
	v_cndmask_b32_e64 v65, 0, v65, s0
	v_cmp_gt_i32_e64 s0, s27, v15
	v_cndmask_b32_e64 v66, 0, v66, s0
	v_cmp_gt_i32_e64 s0, s27, v14
	;; [unrolled: 2-line block ×3, first 2 shown]
	v_cndmask_b32_e64 v68, 0, v68, s0
.LBB35_66:                              ;   in Loop: Header=BB35_42 Depth=1
	s_or_b32 exec_lo, exec_lo, s17
	v_add_co_u32 v7, s0, 0x2000, v5
	v_add_co_ci_u32_e64 v8, null, 0, v6, s0
	global_load_dwordx4 v[69:72], v[7:8], off
	s_and_saveexec_b32 s17, vcc_lo
	s_cbranch_execnz .LBB35_96
; %bb.67:                               ;   in Loop: Header=BB35_42 Depth=1
	s_or_b32 exec_lo, exec_lo, s17
	global_load_dwordx4 v[73:76], v[7:8], off offset:512
	s_and_saveexec_b32 s17, vcc_lo
	s_cbranch_execnz .LBB35_97
.LBB35_68:                              ;   in Loop: Header=BB35_42 Depth=1
	s_or_b32 exec_lo, exec_lo, s17
	global_load_dwordx4 v[77:80], v[7:8], off offset:1024
	s_and_saveexec_b32 s17, vcc_lo
	s_cbranch_execnz .LBB35_98
.LBB35_69:                              ;   in Loop: Header=BB35_42 Depth=1
	s_or_b32 exec_lo, exec_lo, s17
	global_load_dwordx4 v[81:84], v[7:8], off offset:1536
	s_and_saveexec_b32 s17, vcc_lo
	s_cbranch_execz .LBB35_71
.LBB35_70:                              ;   in Loop: Header=BB35_42 Depth=1
	v_cmp_gt_i32_e64 s0, s27, v13
	s_waitcnt vmcnt(0)
	v_cndmask_b32_e64 v81, 0, v81, s0
	v_cmp_gt_i32_e64 s0, s27, v15
	v_cndmask_b32_e64 v82, 0, v82, s0
	v_cmp_gt_i32_e64 s0, s27, v14
	;; [unrolled: 2-line block ×3, first 2 shown]
	v_cndmask_b32_e64 v84, 0, v84, s0
.LBB35_71:                              ;   in Loop: Header=BB35_42 Depth=1
	s_or_b32 exec_lo, exec_lo, s17
	v_add_co_u32 v7, s0, 0x2800, v5
	v_add_co_ci_u32_e64 v8, null, 0, v6, s0
	global_load_dwordx4 v[85:88], v[7:8], off
	s_and_saveexec_b32 s17, vcc_lo
	s_cbranch_execnz .LBB35_99
; %bb.72:                               ;   in Loop: Header=BB35_42 Depth=1
	s_or_b32 exec_lo, exec_lo, s17
	global_load_dwordx4 v[93:96], v[7:8], off offset:512
	s_and_saveexec_b32 s17, vcc_lo
	s_cbranch_execnz .LBB35_100
.LBB35_73:                              ;   in Loop: Header=BB35_42 Depth=1
	s_or_b32 exec_lo, exec_lo, s17
	global_load_dwordx4 v[97:100], v[7:8], off offset:1024
	s_and_saveexec_b32 s17, vcc_lo
	s_cbranch_execnz .LBB35_101
.LBB35_74:                              ;   in Loop: Header=BB35_42 Depth=1
	s_or_b32 exec_lo, exec_lo, s17
	global_load_dwordx4 v[101:104], v[7:8], off offset:1536
	s_and_saveexec_b32 s17, vcc_lo
	s_cbranch_execz .LBB35_76
.LBB35_75:                              ;   in Loop: Header=BB35_42 Depth=1
	v_cmp_gt_i32_e64 s0, s27, v13
	s_waitcnt vmcnt(0)
	v_cndmask_b32_e64 v101, 0, v101, s0
	v_cmp_gt_i32_e64 s0, s27, v15
	v_cndmask_b32_e64 v102, 0, v102, s0
	v_cmp_gt_i32_e64 s0, s27, v14
	;; [unrolled: 2-line block ×3, first 2 shown]
	v_cndmask_b32_e64 v104, 0, v104, s0
.LBB35_76:                              ;   in Loop: Header=BB35_42 Depth=1
	s_or_b32 exec_lo, exec_lo, s17
	v_add_co_u32 v7, s0, 0x3000, v5
	v_add_co_ci_u32_e64 v8, null, 0, v6, s0
	global_load_dwordx4 v[105:108], v[7:8], off
	s_and_saveexec_b32 s17, vcc_lo
	s_cbranch_execnz .LBB35_102
; %bb.77:                               ;   in Loop: Header=BB35_42 Depth=1
	s_or_b32 exec_lo, exec_lo, s17
	global_load_dwordx4 v[109:112], v[7:8], off offset:512
	s_and_saveexec_b32 s17, vcc_lo
	s_cbranch_execnz .LBB35_103
.LBB35_78:                              ;   in Loop: Header=BB35_42 Depth=1
	s_or_b32 exec_lo, exec_lo, s17
	global_load_dwordx4 v[113:116], v[7:8], off offset:1024
	s_and_saveexec_b32 s17, vcc_lo
	s_cbranch_execnz .LBB35_104
.LBB35_79:                              ;   in Loop: Header=BB35_42 Depth=1
	s_or_b32 exec_lo, exec_lo, s17
	global_load_dwordx4 v[117:120], v[7:8], off offset:1536
	s_and_saveexec_b32 s17, vcc_lo
	s_cbranch_execz .LBB35_81
.LBB35_80:                              ;   in Loop: Header=BB35_42 Depth=1
	v_cmp_gt_i32_e64 s0, s27, v13
	s_waitcnt vmcnt(0)
	v_cndmask_b32_e64 v117, 0, v117, s0
	v_cmp_gt_i32_e64 s0, s27, v15
	v_cndmask_b32_e64 v118, 0, v118, s0
	v_cmp_gt_i32_e64 s0, s27, v14
	;; [unrolled: 2-line block ×3, first 2 shown]
	v_cndmask_b32_e64 v120, 0, v120, s0
.LBB35_81:                              ;   in Loop: Header=BB35_42 Depth=1
	s_or_b32 exec_lo, exec_lo, s17
	v_add_co_u32 v9, s0, 0x3800, v5
	v_add_co_ci_u32_e64 v10, null, 0, v6, s0
	global_load_dwordx4 v[121:124], v[9:10], off
	s_and_saveexec_b32 s17, vcc_lo
	s_cbranch_execnz .LBB35_105
; %bb.82:                               ;   in Loop: Header=BB35_42 Depth=1
	s_or_b32 exec_lo, exec_lo, s17
	global_load_dwordx4 v[5:8], v[9:10], off offset:512
	s_and_saveexec_b32 s17, vcc_lo
	s_cbranch_execnz .LBB35_106
.LBB35_83:                              ;   in Loop: Header=BB35_42 Depth=1
	s_or_b32 exec_lo, exec_lo, s17
	global_load_dwordx4 v[9:12], v[9:10], off offset:1024
	s_and_saveexec_b32 s17, vcc_lo
	s_cbranch_execz .LBB35_85
.LBB35_84:                              ;   in Loop: Header=BB35_42 Depth=1
	v_cmp_gt_i32_e64 s0, s27, v13
	s_waitcnt vmcnt(0)
	v_cndmask_b32_e64 v9, 0, v9, s0
	v_cmp_gt_i32_e64 s0, s27, v15
	v_cndmask_b32_e64 v10, 0, v10, s0
	v_cmp_gt_i32_e64 s0, s27, v14
	;; [unrolled: 2-line block ×3, first 2 shown]
	v_cndmask_b32_e64 v12, 0, v12, s0
.LBB35_85:                              ;   in Loop: Header=BB35_42 Depth=1
	s_or_b32 exec_lo, exec_lo, s17
	buffer_load_dword v90, off, s[48:51], 0 offset:200 ; 4-byte Folded Reload
	s_waitcnt vmcnt(0)
	v_add_co_u32 v90, s0, v16, v90
	v_add_co_ci_u32_e64 v91, null, 0, v89, s0
	global_load_dwordx4 v[89:92], v[90:91], off
	s_and_saveexec_b32 s0, vcc_lo
	s_cbranch_execz .LBB35_40
; %bb.86:                               ;   in Loop: Header=BB35_42 Depth=1
	v_cmp_gt_i32_e32 vcc_lo, s27, v13
	s_waitcnt vmcnt(0)
	v_cndmask_b32_e32 v89, 0, v89, vcc_lo
	v_cmp_gt_i32_e32 vcc_lo, s27, v15
	v_cndmask_b32_e32 v90, 0, v90, vcc_lo
	v_cmp_gt_i32_e32 vcc_lo, s27, v14
	;; [unrolled: 2-line block ×3, first 2 shown]
	v_cndmask_b32_e32 v92, 0, v92, vcc_lo
	s_branch .LBB35_40
.LBB35_87:                              ;   in Loop: Header=BB35_42 Depth=1
	v_cmp_gt_i32_e64 s0, s27, v13
	s_waitcnt vmcnt(0)
	v_cndmask_b32_e64 v21, 0, v21, s0
	v_cmp_gt_i32_e64 s0, s27, v15
	v_cndmask_b32_e64 v22, 0, v22, s0
	v_cmp_gt_i32_e64 s0, s27, v14
	;; [unrolled: 2-line block ×3, first 2 shown]
	v_cndmask_b32_e64 v24, 0, v24, s0
	s_or_b32 exec_lo, exec_lo, s17
	global_load_dwordx4 v[25:28], v[7:8], off offset:512
	s_and_saveexec_b32 s17, vcc_lo
	s_cbranch_execz .LBB35_53
.LBB35_88:                              ;   in Loop: Header=BB35_42 Depth=1
	v_cmp_gt_i32_e64 s0, s27, v13
	s_waitcnt vmcnt(0)
	v_cndmask_b32_e64 v25, 0, v25, s0
	v_cmp_gt_i32_e64 s0, s27, v15
	v_cndmask_b32_e64 v26, 0, v26, s0
	v_cmp_gt_i32_e64 s0, s27, v14
	;; [unrolled: 2-line block ×3, first 2 shown]
	v_cndmask_b32_e64 v28, 0, v28, s0
	s_or_b32 exec_lo, exec_lo, s17
	global_load_dwordx4 v[29:32], v[7:8], off offset:1024
	s_and_saveexec_b32 s17, vcc_lo
	s_cbranch_execz .LBB35_54
.LBB35_89:                              ;   in Loop: Header=BB35_42 Depth=1
	v_cmp_gt_i32_e64 s0, s27, v13
	s_waitcnt vmcnt(0)
	v_cndmask_b32_e64 v29, 0, v29, s0
	v_cmp_gt_i32_e64 s0, s27, v15
	v_cndmask_b32_e64 v30, 0, v30, s0
	v_cmp_gt_i32_e64 s0, s27, v14
	;; [unrolled: 2-line block ×3, first 2 shown]
	v_cndmask_b32_e64 v32, 0, v32, s0
	s_or_b32 exec_lo, exec_lo, s17
	global_load_dwordx4 v[33:36], v[7:8], off offset:1536
	s_and_saveexec_b32 s17, vcc_lo
	s_cbranch_execnz .LBB35_55
	s_branch .LBB35_56
.LBB35_90:                              ;   in Loop: Header=BB35_42 Depth=1
	v_cmp_gt_i32_e64 s0, s27, v13
	s_waitcnt vmcnt(0)
	v_cndmask_b32_e64 v37, 0, v37, s0
	v_cmp_gt_i32_e64 s0, s27, v15
	v_cndmask_b32_e64 v38, 0, v38, s0
	v_cmp_gt_i32_e64 s0, s27, v14
	v_cndmask_b32_e64 v39, 0, v39, s0
	v_cmp_gt_i32_e64 s0, s27, v125
	v_cndmask_b32_e64 v40, 0, v40, s0
	s_or_b32 exec_lo, exec_lo, s17
	global_load_dwordx4 v[41:44], v[7:8], off offset:512
	s_and_saveexec_b32 s17, vcc_lo
	s_cbranch_execz .LBB35_58
.LBB35_91:                              ;   in Loop: Header=BB35_42 Depth=1
	v_cmp_gt_i32_e64 s0, s27, v13
	s_waitcnt vmcnt(0)
	v_cndmask_b32_e64 v41, 0, v41, s0
	v_cmp_gt_i32_e64 s0, s27, v15
	v_cndmask_b32_e64 v42, 0, v42, s0
	v_cmp_gt_i32_e64 s0, s27, v14
	;; [unrolled: 2-line block ×3, first 2 shown]
	v_cndmask_b32_e64 v44, 0, v44, s0
	s_or_b32 exec_lo, exec_lo, s17
	global_load_dwordx4 v[45:48], v[7:8], off offset:1024
	s_and_saveexec_b32 s17, vcc_lo
	s_cbranch_execz .LBB35_59
.LBB35_92:                              ;   in Loop: Header=BB35_42 Depth=1
	v_cmp_gt_i32_e64 s0, s27, v13
	s_waitcnt vmcnt(0)
	v_cndmask_b32_e64 v45, 0, v45, s0
	v_cmp_gt_i32_e64 s0, s27, v15
	v_cndmask_b32_e64 v46, 0, v46, s0
	v_cmp_gt_i32_e64 s0, s27, v14
	;; [unrolled: 2-line block ×3, first 2 shown]
	v_cndmask_b32_e64 v48, 0, v48, s0
	s_or_b32 exec_lo, exec_lo, s17
	global_load_dwordx4 v[49:52], v[7:8], off offset:1536
	s_and_saveexec_b32 s17, vcc_lo
	s_cbranch_execnz .LBB35_60
	s_branch .LBB35_61
.LBB35_93:                              ;   in Loop: Header=BB35_42 Depth=1
	v_cmp_gt_i32_e64 s0, s27, v13
	s_waitcnt vmcnt(0)
	v_cndmask_b32_e64 v53, 0, v53, s0
	v_cmp_gt_i32_e64 s0, s27, v15
	v_cndmask_b32_e64 v54, 0, v54, s0
	v_cmp_gt_i32_e64 s0, s27, v14
	;; [unrolled: 2-line block ×3, first 2 shown]
	v_cndmask_b32_e64 v56, 0, v56, s0
	s_or_b32 exec_lo, exec_lo, s17
	global_load_dwordx4 v[57:60], v[7:8], off offset:512
	s_and_saveexec_b32 s17, vcc_lo
	s_cbranch_execz .LBB35_63
.LBB35_94:                              ;   in Loop: Header=BB35_42 Depth=1
	v_cmp_gt_i32_e64 s0, s27, v13
	s_waitcnt vmcnt(0)
	v_cndmask_b32_e64 v57, 0, v57, s0
	v_cmp_gt_i32_e64 s0, s27, v15
	v_cndmask_b32_e64 v58, 0, v58, s0
	v_cmp_gt_i32_e64 s0, s27, v14
	;; [unrolled: 2-line block ×3, first 2 shown]
	v_cndmask_b32_e64 v60, 0, v60, s0
	s_or_b32 exec_lo, exec_lo, s17
	global_load_dwordx4 v[61:64], v[7:8], off offset:1024
	s_and_saveexec_b32 s17, vcc_lo
	s_cbranch_execz .LBB35_64
.LBB35_95:                              ;   in Loop: Header=BB35_42 Depth=1
	v_cmp_gt_i32_e64 s0, s27, v13
	s_waitcnt vmcnt(0)
	v_cndmask_b32_e64 v61, 0, v61, s0
	v_cmp_gt_i32_e64 s0, s27, v15
	v_cndmask_b32_e64 v62, 0, v62, s0
	v_cmp_gt_i32_e64 s0, s27, v14
	;; [unrolled: 2-line block ×3, first 2 shown]
	v_cndmask_b32_e64 v64, 0, v64, s0
	s_or_b32 exec_lo, exec_lo, s17
	global_load_dwordx4 v[65:68], v[7:8], off offset:1536
	s_and_saveexec_b32 s17, vcc_lo
	s_cbranch_execnz .LBB35_65
	s_branch .LBB35_66
.LBB35_96:                              ;   in Loop: Header=BB35_42 Depth=1
	v_cmp_gt_i32_e64 s0, s27, v13
	s_waitcnt vmcnt(0)
	v_cndmask_b32_e64 v69, 0, v69, s0
	v_cmp_gt_i32_e64 s0, s27, v15
	v_cndmask_b32_e64 v70, 0, v70, s0
	v_cmp_gt_i32_e64 s0, s27, v14
	;; [unrolled: 2-line block ×3, first 2 shown]
	v_cndmask_b32_e64 v72, 0, v72, s0
	s_or_b32 exec_lo, exec_lo, s17
	global_load_dwordx4 v[73:76], v[7:8], off offset:512
	s_and_saveexec_b32 s17, vcc_lo
	s_cbranch_execz .LBB35_68
.LBB35_97:                              ;   in Loop: Header=BB35_42 Depth=1
	v_cmp_gt_i32_e64 s0, s27, v13
	s_waitcnt vmcnt(0)
	v_cndmask_b32_e64 v73, 0, v73, s0
	v_cmp_gt_i32_e64 s0, s27, v15
	v_cndmask_b32_e64 v74, 0, v74, s0
	v_cmp_gt_i32_e64 s0, s27, v14
	;; [unrolled: 2-line block ×3, first 2 shown]
	v_cndmask_b32_e64 v76, 0, v76, s0
	s_or_b32 exec_lo, exec_lo, s17
	global_load_dwordx4 v[77:80], v[7:8], off offset:1024
	s_and_saveexec_b32 s17, vcc_lo
	s_cbranch_execz .LBB35_69
.LBB35_98:                              ;   in Loop: Header=BB35_42 Depth=1
	v_cmp_gt_i32_e64 s0, s27, v13
	s_waitcnt vmcnt(0)
	v_cndmask_b32_e64 v77, 0, v77, s0
	v_cmp_gt_i32_e64 s0, s27, v15
	v_cndmask_b32_e64 v78, 0, v78, s0
	v_cmp_gt_i32_e64 s0, s27, v14
	v_cndmask_b32_e64 v79, 0, v79, s0
	v_cmp_gt_i32_e64 s0, s27, v125
	v_cndmask_b32_e64 v80, 0, v80, s0
	s_or_b32 exec_lo, exec_lo, s17
	global_load_dwordx4 v[81:84], v[7:8], off offset:1536
	s_and_saveexec_b32 s17, vcc_lo
	s_cbranch_execnz .LBB35_70
	s_branch .LBB35_71
.LBB35_99:                              ;   in Loop: Header=BB35_42 Depth=1
	v_cmp_gt_i32_e64 s0, s27, v13
	s_waitcnt vmcnt(0)
	v_cndmask_b32_e64 v85, 0, v85, s0
	v_cmp_gt_i32_e64 s0, s27, v15
	v_cndmask_b32_e64 v86, 0, v86, s0
	v_cmp_gt_i32_e64 s0, s27, v14
	v_cndmask_b32_e64 v87, 0, v87, s0
	v_cmp_gt_i32_e64 s0, s27, v125
	v_cndmask_b32_e64 v88, 0, v88, s0
	s_or_b32 exec_lo, exec_lo, s17
	global_load_dwordx4 v[93:96], v[7:8], off offset:512
	s_and_saveexec_b32 s17, vcc_lo
	s_cbranch_execz .LBB35_73
.LBB35_100:                             ;   in Loop: Header=BB35_42 Depth=1
	v_cmp_gt_i32_e64 s0, s27, v13
	s_waitcnt vmcnt(0)
	v_cndmask_b32_e64 v93, 0, v93, s0
	v_cmp_gt_i32_e64 s0, s27, v15
	v_cndmask_b32_e64 v94, 0, v94, s0
	v_cmp_gt_i32_e64 s0, s27, v14
	;; [unrolled: 2-line block ×3, first 2 shown]
	v_cndmask_b32_e64 v96, 0, v96, s0
	s_or_b32 exec_lo, exec_lo, s17
	global_load_dwordx4 v[97:100], v[7:8], off offset:1024
	s_and_saveexec_b32 s17, vcc_lo
	s_cbranch_execz .LBB35_74
.LBB35_101:                             ;   in Loop: Header=BB35_42 Depth=1
	v_cmp_gt_i32_e64 s0, s27, v13
	s_waitcnt vmcnt(0)
	v_cndmask_b32_e64 v97, 0, v97, s0
	v_cmp_gt_i32_e64 s0, s27, v15
	v_cndmask_b32_e64 v98, 0, v98, s0
	v_cmp_gt_i32_e64 s0, s27, v14
	;; [unrolled: 2-line block ×3, first 2 shown]
	v_cndmask_b32_e64 v100, 0, v100, s0
	s_or_b32 exec_lo, exec_lo, s17
	global_load_dwordx4 v[101:104], v[7:8], off offset:1536
	s_and_saveexec_b32 s17, vcc_lo
	s_cbranch_execnz .LBB35_75
	s_branch .LBB35_76
.LBB35_102:                             ;   in Loop: Header=BB35_42 Depth=1
	v_cmp_gt_i32_e64 s0, s27, v13
	s_waitcnt vmcnt(0)
	v_cndmask_b32_e64 v105, 0, v105, s0
	v_cmp_gt_i32_e64 s0, s27, v15
	v_cndmask_b32_e64 v106, 0, v106, s0
	v_cmp_gt_i32_e64 s0, s27, v14
	;; [unrolled: 2-line block ×3, first 2 shown]
	v_cndmask_b32_e64 v108, 0, v108, s0
	s_or_b32 exec_lo, exec_lo, s17
	global_load_dwordx4 v[109:112], v[7:8], off offset:512
	s_and_saveexec_b32 s17, vcc_lo
	s_cbranch_execz .LBB35_78
.LBB35_103:                             ;   in Loop: Header=BB35_42 Depth=1
	v_cmp_gt_i32_e64 s0, s27, v13
	s_waitcnt vmcnt(0)
	v_cndmask_b32_e64 v109, 0, v109, s0
	v_cmp_gt_i32_e64 s0, s27, v15
	v_cndmask_b32_e64 v110, 0, v110, s0
	v_cmp_gt_i32_e64 s0, s27, v14
	v_cndmask_b32_e64 v111, 0, v111, s0
	v_cmp_gt_i32_e64 s0, s27, v125
	v_cndmask_b32_e64 v112, 0, v112, s0
	s_or_b32 exec_lo, exec_lo, s17
	global_load_dwordx4 v[113:116], v[7:8], off offset:1024
	s_and_saveexec_b32 s17, vcc_lo
	s_cbranch_execz .LBB35_79
.LBB35_104:                             ;   in Loop: Header=BB35_42 Depth=1
	v_cmp_gt_i32_e64 s0, s27, v13
	s_waitcnt vmcnt(0)
	v_cndmask_b32_e64 v113, 0, v113, s0
	v_cmp_gt_i32_e64 s0, s27, v15
	v_cndmask_b32_e64 v114, 0, v114, s0
	v_cmp_gt_i32_e64 s0, s27, v14
	;; [unrolled: 2-line block ×3, first 2 shown]
	v_cndmask_b32_e64 v116, 0, v116, s0
	s_or_b32 exec_lo, exec_lo, s17
	global_load_dwordx4 v[117:120], v[7:8], off offset:1536
	s_and_saveexec_b32 s17, vcc_lo
	s_cbranch_execnz .LBB35_80
	s_branch .LBB35_81
.LBB35_105:                             ;   in Loop: Header=BB35_42 Depth=1
	v_cmp_gt_i32_e64 s0, s27, v13
	s_waitcnt vmcnt(0)
	v_cndmask_b32_e64 v121, 0, v121, s0
	v_cmp_gt_i32_e64 s0, s27, v15
	v_cndmask_b32_e64 v122, 0, v122, s0
	v_cmp_gt_i32_e64 s0, s27, v14
	;; [unrolled: 2-line block ×3, first 2 shown]
	v_cndmask_b32_e64 v124, 0, v124, s0
	s_or_b32 exec_lo, exec_lo, s17
	global_load_dwordx4 v[5:8], v[9:10], off offset:512
	s_and_saveexec_b32 s17, vcc_lo
	s_cbranch_execz .LBB35_83
.LBB35_106:                             ;   in Loop: Header=BB35_42 Depth=1
	v_cmp_gt_i32_e64 s0, s27, v13
	s_waitcnt vmcnt(0)
	v_cndmask_b32_e64 v5, 0, v5, s0
	v_cmp_gt_i32_e64 s0, s27, v15
	v_cndmask_b32_e64 v6, 0, v6, s0
	v_cmp_gt_i32_e64 s0, s27, v14
	;; [unrolled: 2-line block ×3, first 2 shown]
	v_cndmask_b32_e64 v8, 0, v8, s0
	s_or_b32 exec_lo, exec_lo, s17
	global_load_dwordx4 v[9:12], v[9:10], off offset:1024
	s_and_saveexec_b32 s17, vcc_lo
	s_cbranch_execnz .LBB35_84
	s_branch .LBB35_85
.LBB35_107:
	s_or_b32 exec_lo, exec_lo, s13
	s_clause 0x5
	buffer_load_dword v80, off, s[48:51], 0 offset:204
	buffer_load_dword v81, off, s[48:51], 0 offset:208
	buffer_load_dword v55, off, s[48:51], 0 offset:212
	buffer_load_dword v38, off, s[48:51], 0 offset:216
	buffer_load_dword v54, off, s[48:51], 0 offset:220
	buffer_load_dword v56, off, s[48:51], 0 offset:224
.LBB35_108:
	s_or_b32 exec_lo, exec_lo, s1
	s_waitcnt vmcnt(2)
	ds_bpermute_b32 v0, v38, v18
	ds_bpermute_b32 v1, v38, v26
	;; [unrolled: 1-line block ×16, first 2 shown]
	s_mov_b32 s0, exec_lo
	s_waitcnt vmcnt(0) lgkmcnt(0)
	s_waitcnt_vscnt null, 0x0
	s_barrier
	buffer_gl0_inv
	v_add_f32_e32 v0, v18, v0
	v_add_f32_e32 v1, v26, v1
	;; [unrolled: 1-line block ×6, first 2 shown]
	ds_bpermute_b32 v13, v54, v0
	ds_bpermute_b32 v14, v54, v1
	;; [unrolled: 1-line block ×4, first 2 shown]
	v_add_f32_e32 v4, v25, v4
	v_add_f32_e32 v5, v16, v5
	;; [unrolled: 1-line block ×4, first 2 shown]
	ds_bpermute_b32 v20, v54, v7
	ds_bpermute_b32 v17, v54, v4
	;; [unrolled: 1-line block ×8, first 2 shown]
	v_add_f32_e32 v9, v24, v9
	v_add_f32_e32 v11, v22, v11
	;; [unrolled: 1-line block ×4, first 2 shown]
	s_waitcnt lgkmcnt(11)
	v_add_f32_e32 v0, v0, v13
	s_waitcnt lgkmcnt(10)
	v_add_f32_e32 v1, v1, v14
	;; [unrolled: 2-line block ×4, first 2 shown]
	ds_bpermute_b32 v13, v38, v31
	ds_bpermute_b32 v14, v38, v28
	;; [unrolled: 1-line block ×4, first 2 shown]
	s_waitcnt lgkmcnt(11)
	v_add_f32_e32 v7, v7, v20
	s_waitcnt lgkmcnt(10)
	v_add_f32_e32 v4, v4, v17
	;; [unrolled: 2-line block ×7, first 2 shown]
	v_add_f32_e32 v20, v32, v27
	ds_bpermute_b32 v21, v38, v44
	ds_bpermute_b32 v23, v38, v39
	;; [unrolled: 1-line block ×6, first 2 shown]
	s_waitcnt lgkmcnt(10)
	v_add_f32_e32 v3, v3, v16
	ds_bpermute_b32 v16, v54, v12
	s_waitcnt lgkmcnt(10)
	v_add_f32_e32 v27, v31, v13
	ds_bpermute_b32 v13, v38, v42
	;; [unrolled: 3-line block ×4, first 2 shown]
	ds_bpermute_b32 v31, v38, v47
	s_waitcnt lgkmcnt(11)
	v_add_f32_e32 v19, v36, v19
	ds_bpermute_b32 v36, v38, v50
	ds_bpermute_b32 v38, v38, v52
	;; [unrolled: 1-line block ×3, first 2 shown]
	v_add_f32_e32 v37, v51, v37
	s_waitcnt lgkmcnt(13)
	v_add_f32_e32 v21, v44, v21
	s_waitcnt lgkmcnt(12)
	;; [unrolled: 2-line block ×6, first 2 shown]
	v_add_f32_e32 v11, v11, v24
	ds_bpermute_b32 v22, v54, v17
	ds_bpermute_b32 v24, v54, v18
	;; [unrolled: 1-line block ×3, first 2 shown]
	s_waitcnt lgkmcnt(9)
	v_add_f32_e32 v41, v42, v13
	ds_bpermute_b32 v32, v54, v28
	s_waitcnt lgkmcnt(9)
	v_add_f32_e32 v43, v43, v14
	ds_bpermute_b32 v34, v54, v29
	s_waitcnt lgkmcnt(9)
	v_add_f32_e32 v45, v46, v15
	s_waitcnt lgkmcnt(8)
	v_add_f32_e32 v31, v47, v31
	ds_bpermute_b32 v39, v54, v19
	s_waitcnt lgkmcnt(8)
	v_add_f32_e32 v36, v50, v36
	ds_bpermute_b32 v50, v54, v33
	s_waitcnt lgkmcnt(8)
	v_add_f32_e32 v38, v52, v38
	ds_bpermute_b32 v40, v54, v21
	ds_bpermute_b32 v42, v54, v23
	ds_bpermute_b32 v44, v54, v26
	;; [unrolled: 1-line block ×10, first 2 shown]
	v_add_f32_e32 v12, v12, v16
	s_waitcnt lgkmcnt(18)
	v_add_f32_e32 v16, v27, v30
	s_waitcnt lgkmcnt(17)
	;; [unrolled: 2-line block ×7, first 2 shown]
	v_add_f32_e32 v27, v33, v50
	v_and_b32_e32 v33, 28, v55
	v_add_f32_e32 v19, v19, v39
	s_waitcnt lgkmcnt(10)
	v_add_f32_e32 v20, v21, v40
	s_waitcnt lgkmcnt(9)
	;; [unrolled: 2-line block ×10, first 2 shown]
	v_add_f32_e32 v30, v37, v53
	v_and_b32_e32 v35, 0x3c3, v80
	s_waitcnt lgkmcnt(0)
	v_add_f32_e32 v31, v38, v54
	v_lshrrev_b32_e32 v32, 2, v55
	v_add_nc_u32_e32 v33, 0x420, v33
	v_lshlrev_b32_e32 v34, 10, v81
	v_cmpx_eq_u32_e32 64, v35
	s_cbranch_execz .LBB35_110
; %bb.109:
	v_add_nc_u32_e32 v35, v33, v34
	v_add_nc_u32_e32 v36, 0xfffff800, v35
	;; [unrolled: 1-line block ×8, first 2 shown]
	ds_write_b32 v36, v0
	ds_write_b32 v37, v1
	;; [unrolled: 1-line block ×7, first 2 shown]
	v_add_nc_u32_e32 v36, 0xfffff8e0, v35
	v_add_nc_u32_e32 v37, 0xfffff900, v35
	v_add_nc_u32_e32 v38, 0xfffff920, v35
	v_add_nc_u32_e32 v39, 0xfffff940, v35
	v_add_nc_u32_e32 v40, 0xfffff960, v35
	ds_write_b32 v36, v7
	ds_write_b32 v37, v8
	ds_write_b32 v38, v9
	ds_write_b32 v39, v10
	ds_write_b32 v40, v11
	v_add_nc_u32_e32 v36, 0xfffff980, v35
	v_add_nc_u32_e32 v37, 0xfffff9a0, v35
	v_add_nc_u32_e32 v38, 0xfffff9c0, v35
	v_add_nc_u32_e32 v39, 0xfffff9e0, v35
	v_add_nc_u32_e32 v40, 0xfffffa00, v35
	ds_write_b32 v36, v12
	ds_write_b32 v37, v13
	ds_write_b32 v38, v14
	ds_write_b32 v39, v15
	ds_write_b32 v40, v16
	;; [unrolled: 10-line block ×5, first 2 shown]
.LBB35_110:
	s_or_b32 exec_lo, exec_lo, s0
	v_lshlrev_b32_e32 v32, 2, v32
	s_mov_b32 s1, exec_lo
	v_cmp_eq_u32_e32 vcc_lo, 0, v56
	s_waitcnt lgkmcnt(0)
	s_barrier
	v_add3_u32 v32, 0x420, v34, v32
	buffer_gl0_inv
	v_cmpx_gt_u32_e32 64, v80
	s_cbranch_execz .LBB35_145
; %bb.111:
	s_and_saveexec_b32 s0, vcc_lo
	s_cbranch_execnz .LBB35_185
; %bb.112:
	s_or_b32 exec_lo, exec_lo, s0
	s_and_saveexec_b32 s0, vcc_lo
	s_cbranch_execnz .LBB35_186
.LBB35_113:
	s_or_b32 exec_lo, exec_lo, s0
	s_and_saveexec_b32 s0, vcc_lo
	s_cbranch_execnz .LBB35_187
.LBB35_114:
	s_or_b32 exec_lo, exec_lo, s0
	s_and_saveexec_b32 s0, vcc_lo
	s_cbranch_execnz .LBB35_188
.LBB35_115:
	s_or_b32 exec_lo, exec_lo, s0
	s_and_saveexec_b32 s0, vcc_lo
	s_cbranch_execnz .LBB35_189
.LBB35_116:
	s_or_b32 exec_lo, exec_lo, s0
	s_and_saveexec_b32 s0, vcc_lo
	s_cbranch_execnz .LBB35_190
.LBB35_117:
	s_or_b32 exec_lo, exec_lo, s0
	s_and_saveexec_b32 s0, vcc_lo
	s_cbranch_execnz .LBB35_191
.LBB35_118:
	s_or_b32 exec_lo, exec_lo, s0
	s_and_saveexec_b32 s0, vcc_lo
	s_cbranch_execnz .LBB35_192
.LBB35_119:
	s_or_b32 exec_lo, exec_lo, s0
	s_and_saveexec_b32 s0, vcc_lo
	s_cbranch_execnz .LBB35_193
.LBB35_120:
	s_or_b32 exec_lo, exec_lo, s0
	s_and_saveexec_b32 s0, vcc_lo
	s_cbranch_execnz .LBB35_194
.LBB35_121:
	s_or_b32 exec_lo, exec_lo, s0
	s_and_saveexec_b32 s0, vcc_lo
	s_cbranch_execnz .LBB35_195
.LBB35_122:
	s_or_b32 exec_lo, exec_lo, s0
	s_and_saveexec_b32 s0, vcc_lo
	s_cbranch_execnz .LBB35_196
.LBB35_123:
	s_or_b32 exec_lo, exec_lo, s0
	s_and_saveexec_b32 s0, vcc_lo
	s_cbranch_execnz .LBB35_197
.LBB35_124:
	s_or_b32 exec_lo, exec_lo, s0
	s_and_saveexec_b32 s0, vcc_lo
	s_cbranch_execnz .LBB35_198
.LBB35_125:
	s_or_b32 exec_lo, exec_lo, s0
	s_and_saveexec_b32 s0, vcc_lo
	s_cbranch_execnz .LBB35_199
.LBB35_126:
	s_or_b32 exec_lo, exec_lo, s0
	s_and_saveexec_b32 s0, vcc_lo
	s_cbranch_execnz .LBB35_200
.LBB35_127:
	s_or_b32 exec_lo, exec_lo, s0
	s_and_saveexec_b32 s0, vcc_lo
	s_cbranch_execnz .LBB35_201
.LBB35_128:
	s_or_b32 exec_lo, exec_lo, s0
	s_and_saveexec_b32 s0, vcc_lo
	s_cbranch_execnz .LBB35_202
.LBB35_129:
	s_or_b32 exec_lo, exec_lo, s0
	s_and_saveexec_b32 s0, vcc_lo
	s_cbranch_execnz .LBB35_203
.LBB35_130:
	s_or_b32 exec_lo, exec_lo, s0
	s_and_saveexec_b32 s0, vcc_lo
	s_cbranch_execnz .LBB35_204
.LBB35_131:
	s_or_b32 exec_lo, exec_lo, s0
	s_and_saveexec_b32 s0, vcc_lo
	s_cbranch_execnz .LBB35_205
.LBB35_132:
	s_or_b32 exec_lo, exec_lo, s0
	s_and_saveexec_b32 s0, vcc_lo
	s_cbranch_execnz .LBB35_206
.LBB35_133:
	s_or_b32 exec_lo, exec_lo, s0
	s_and_saveexec_b32 s0, vcc_lo
	s_cbranch_execnz .LBB35_207
.LBB35_134:
	s_or_b32 exec_lo, exec_lo, s0
	s_and_saveexec_b32 s0, vcc_lo
	s_cbranch_execnz .LBB35_208
.LBB35_135:
	s_or_b32 exec_lo, exec_lo, s0
	s_and_saveexec_b32 s0, vcc_lo
	s_cbranch_execnz .LBB35_209
.LBB35_136:
	s_or_b32 exec_lo, exec_lo, s0
	s_and_saveexec_b32 s0, vcc_lo
	s_cbranch_execnz .LBB35_210
.LBB35_137:
	s_or_b32 exec_lo, exec_lo, s0
	s_and_saveexec_b32 s0, vcc_lo
	s_cbranch_execnz .LBB35_211
.LBB35_138:
	s_or_b32 exec_lo, exec_lo, s0
	s_and_saveexec_b32 s0, vcc_lo
	s_cbranch_execnz .LBB35_212
.LBB35_139:
	s_or_b32 exec_lo, exec_lo, s0
	s_and_saveexec_b32 s0, vcc_lo
	s_cbranch_execnz .LBB35_213
.LBB35_140:
	s_or_b32 exec_lo, exec_lo, s0
	s_and_saveexec_b32 s0, vcc_lo
	s_cbranch_execnz .LBB35_214
.LBB35_141:
	s_or_b32 exec_lo, exec_lo, s0
	s_and_saveexec_b32 s0, vcc_lo
	s_cbranch_execnz .LBB35_215
.LBB35_142:
	s_or_b32 exec_lo, exec_lo, s0
	s_and_saveexec_b32 s0, vcc_lo
	s_cbranch_execz .LBB35_144
.LBB35_143:
	ds_read_b32 v34, v32 offset:992
	s_waitcnt lgkmcnt(0)
	v_add_f32_e32 v31, v31, v34
.LBB35_144:
	s_or_b32 exec_lo, exec_lo, s0
.LBB35_145:
	s_or_b32 exec_lo, exec_lo, s1
	v_and_b32_e32 v34, 0x3e3, v80
	s_mov_b32 s1, exec_lo
	s_barrier
	buffer_gl0_inv
	v_cmpx_eq_u32_e32 32, v34
	s_cbranch_execz .LBB35_147
; %bb.146:
	ds_write2_b32 v33, v0, v1 offset1:8
	ds_write2_b32 v33, v2, v3 offset0:16 offset1:24
	ds_write2_b32 v33, v4, v5 offset0:32 offset1:40
	;; [unrolled: 1-line block ×15, first 2 shown]
.LBB35_147:
	s_or_b32 exec_lo, exec_lo, s1
	s_mov_b32 s1, exec_lo
	s_waitcnt lgkmcnt(0)
	s_barrier
	buffer_gl0_inv
	v_cmpx_gt_u32_e32 32, v80
	s_cbranch_execz .LBB35_182
; %bb.148:
	s_and_saveexec_b32 s0, vcc_lo
	s_cbranch_execnz .LBB35_216
; %bb.149:
	s_or_b32 exec_lo, exec_lo, s0
	s_and_saveexec_b32 s0, vcc_lo
	s_cbranch_execnz .LBB35_217
.LBB35_150:
	s_or_b32 exec_lo, exec_lo, s0
	s_and_saveexec_b32 s0, vcc_lo
	s_cbranch_execnz .LBB35_218
.LBB35_151:
	s_or_b32 exec_lo, exec_lo, s0
	s_and_saveexec_b32 s0, vcc_lo
	s_cbranch_execnz .LBB35_219
.LBB35_152:
	s_or_b32 exec_lo, exec_lo, s0
	s_and_saveexec_b32 s0, vcc_lo
	s_cbranch_execnz .LBB35_220
.LBB35_153:
	s_or_b32 exec_lo, exec_lo, s0
	s_and_saveexec_b32 s0, vcc_lo
	s_cbranch_execnz .LBB35_221
.LBB35_154:
	s_or_b32 exec_lo, exec_lo, s0
	s_and_saveexec_b32 s0, vcc_lo
	s_cbranch_execnz .LBB35_222
.LBB35_155:
	s_or_b32 exec_lo, exec_lo, s0
	s_and_saveexec_b32 s0, vcc_lo
	s_cbranch_execnz .LBB35_223
.LBB35_156:
	s_or_b32 exec_lo, exec_lo, s0
	s_and_saveexec_b32 s0, vcc_lo
	s_cbranch_execnz .LBB35_224
.LBB35_157:
	s_or_b32 exec_lo, exec_lo, s0
	s_and_saveexec_b32 s0, vcc_lo
	s_cbranch_execnz .LBB35_225
.LBB35_158:
	s_or_b32 exec_lo, exec_lo, s0
	s_and_saveexec_b32 s0, vcc_lo
	s_cbranch_execnz .LBB35_226
.LBB35_159:
	s_or_b32 exec_lo, exec_lo, s0
	s_and_saveexec_b32 s0, vcc_lo
	s_cbranch_execnz .LBB35_227
.LBB35_160:
	s_or_b32 exec_lo, exec_lo, s0
	s_and_saveexec_b32 s0, vcc_lo
	s_cbranch_execnz .LBB35_228
.LBB35_161:
	s_or_b32 exec_lo, exec_lo, s0
	s_and_saveexec_b32 s0, vcc_lo
	s_cbranch_execnz .LBB35_229
.LBB35_162:
	s_or_b32 exec_lo, exec_lo, s0
	s_and_saveexec_b32 s0, vcc_lo
	s_cbranch_execnz .LBB35_230
.LBB35_163:
	s_or_b32 exec_lo, exec_lo, s0
	s_and_saveexec_b32 s0, vcc_lo
	s_cbranch_execnz .LBB35_231
.LBB35_164:
	s_or_b32 exec_lo, exec_lo, s0
	s_and_saveexec_b32 s0, vcc_lo
	s_cbranch_execnz .LBB35_232
.LBB35_165:
	s_or_b32 exec_lo, exec_lo, s0
	s_and_saveexec_b32 s0, vcc_lo
	s_cbranch_execnz .LBB35_233
.LBB35_166:
	s_or_b32 exec_lo, exec_lo, s0
	s_and_saveexec_b32 s0, vcc_lo
	s_cbranch_execnz .LBB35_234
.LBB35_167:
	s_or_b32 exec_lo, exec_lo, s0
	s_and_saveexec_b32 s0, vcc_lo
	s_cbranch_execnz .LBB35_235
.LBB35_168:
	s_or_b32 exec_lo, exec_lo, s0
	s_and_saveexec_b32 s0, vcc_lo
	s_cbranch_execnz .LBB35_236
.LBB35_169:
	s_or_b32 exec_lo, exec_lo, s0
	s_and_saveexec_b32 s0, vcc_lo
	s_cbranch_execnz .LBB35_237
.LBB35_170:
	s_or_b32 exec_lo, exec_lo, s0
	s_and_saveexec_b32 s0, vcc_lo
	s_cbranch_execnz .LBB35_238
.LBB35_171:
	s_or_b32 exec_lo, exec_lo, s0
	s_and_saveexec_b32 s0, vcc_lo
	s_cbranch_execnz .LBB35_239
.LBB35_172:
	s_or_b32 exec_lo, exec_lo, s0
	s_and_saveexec_b32 s0, vcc_lo
	s_cbranch_execnz .LBB35_240
.LBB35_173:
	s_or_b32 exec_lo, exec_lo, s0
	s_and_saveexec_b32 s0, vcc_lo
	s_cbranch_execnz .LBB35_241
.LBB35_174:
	s_or_b32 exec_lo, exec_lo, s0
	s_and_saveexec_b32 s0, vcc_lo
	s_cbranch_execnz .LBB35_242
.LBB35_175:
	s_or_b32 exec_lo, exec_lo, s0
	s_and_saveexec_b32 s0, vcc_lo
	s_cbranch_execnz .LBB35_243
.LBB35_176:
	s_or_b32 exec_lo, exec_lo, s0
	s_and_saveexec_b32 s0, vcc_lo
	s_cbranch_execnz .LBB35_244
.LBB35_177:
	s_or_b32 exec_lo, exec_lo, s0
	s_and_saveexec_b32 s0, vcc_lo
	s_cbranch_execnz .LBB35_245
.LBB35_178:
	s_or_b32 exec_lo, exec_lo, s0
	s_and_saveexec_b32 s0, vcc_lo
	s_cbranch_execnz .LBB35_246
.LBB35_179:
	s_or_b32 exec_lo, exec_lo, s0
	s_and_saveexec_b32 s0, vcc_lo
	s_cbranch_execz .LBB35_181
.LBB35_180:
	ds_read_b32 v32, v32 offset:992
	s_waitcnt lgkmcnt(0)
	v_add_f32_e32 v31, v31, v32
.LBB35_181:
	s_or_b32 exec_lo, exec_lo, s0
.LBB35_182:
	s_or_b32 exec_lo, exec_lo, s1
	s_barrier
	buffer_gl0_inv
	s_mov_b32 s0, exec_lo
	v_cmpx_eq_u32_e32 0, v34
	s_cbranch_execz .LBB35_184
; %bb.183:
	s_lshl_b32 s0, s2, 8
	s_mul_i32 s2, s7, s10
	s_ashr_i32 s1, s0, 31
	s_lshl_b64 s[0:1], s[0:1], 2
	s_add_u32 s4, s24, s0
	s_addc_u32 s5, s25, s1
	s_ashr_i32 s3, s2, 31
	s_lshl_b64 s[0:1], s[2:3], 2
	s_add_u32 s2, s4, s0
	s_addc_u32 s3, s5, s1
	s_lshl_b32 s0, s8, 8
	s_ashr_i32 s1, s0, 31
	s_lshl_b64 s[0:1], s[0:1], 2
	s_add_u32 s0, s2, s0
	s_addc_u32 s1, s3, s1
	global_store_dword v80, v0, s[0:1]
	global_store_dword v80, v1, s[0:1] offset:32
	global_store_dword v80, v2, s[0:1] offset:64
	global_store_dword v80, v3, s[0:1] offset:96
	global_store_dword v80, v4, s[0:1] offset:128
	global_store_dword v80, v5, s[0:1] offset:160
	global_store_dword v80, v6, s[0:1] offset:192
	global_store_dword v80, v7, s[0:1] offset:224
	global_store_dword v80, v8, s[0:1] offset:256
	global_store_dword v80, v9, s[0:1] offset:288
	global_store_dword v80, v10, s[0:1] offset:320
	global_store_dword v80, v11, s[0:1] offset:352
	global_store_dword v80, v12, s[0:1] offset:384
	global_store_dword v80, v13, s[0:1] offset:416
	global_store_dword v80, v14, s[0:1] offset:448
	global_store_dword v80, v15, s[0:1] offset:480
	global_store_dword v80, v16, s[0:1] offset:512
	global_store_dword v80, v17, s[0:1] offset:544
	global_store_dword v80, v18, s[0:1] offset:576
	global_store_dword v80, v19, s[0:1] offset:608
	global_store_dword v80, v20, s[0:1] offset:640
	global_store_dword v80, v21, s[0:1] offset:672
	global_store_dword v80, v22, s[0:1] offset:704
	global_store_dword v80, v23, s[0:1] offset:736
	global_store_dword v80, v24, s[0:1] offset:768
	global_store_dword v80, v25, s[0:1] offset:800
	global_store_dword v80, v26, s[0:1] offset:832
	global_store_dword v80, v27, s[0:1] offset:864
	global_store_dword v80, v28, s[0:1] offset:896
	global_store_dword v80, v29, s[0:1] offset:928
	global_store_dword v80, v30, s[0:1] offset:960
	global_store_dword v80, v31, s[0:1] offset:992
.LBB35_184:
	s_endpgm
.LBB35_185:
	ds_read_b32 v34, v32
	s_waitcnt lgkmcnt(0)
	v_add_f32_e32 v0, v0, v34
	s_or_b32 exec_lo, exec_lo, s0
	s_and_saveexec_b32 s0, vcc_lo
	s_cbranch_execz .LBB35_113
.LBB35_186:
	ds_read_b32 v34, v32 offset:32
	s_waitcnt lgkmcnt(0)
	v_add_f32_e32 v1, v1, v34
	s_or_b32 exec_lo, exec_lo, s0
	s_and_saveexec_b32 s0, vcc_lo
	s_cbranch_execz .LBB35_114
.LBB35_187:
	ds_read_b32 v34, v32 offset:64
	s_waitcnt lgkmcnt(0)
	v_add_f32_e32 v2, v2, v34
	s_or_b32 exec_lo, exec_lo, s0
	s_and_saveexec_b32 s0, vcc_lo
	s_cbranch_execz .LBB35_115
.LBB35_188:
	ds_read_b32 v34, v32 offset:96
	s_waitcnt lgkmcnt(0)
	v_add_f32_e32 v3, v3, v34
	s_or_b32 exec_lo, exec_lo, s0
	s_and_saveexec_b32 s0, vcc_lo
	s_cbranch_execz .LBB35_116
.LBB35_189:
	ds_read_b32 v34, v32 offset:128
	s_waitcnt lgkmcnt(0)
	v_add_f32_e32 v4, v4, v34
	s_or_b32 exec_lo, exec_lo, s0
	s_and_saveexec_b32 s0, vcc_lo
	s_cbranch_execz .LBB35_117
.LBB35_190:
	ds_read_b32 v34, v32 offset:160
	s_waitcnt lgkmcnt(0)
	v_add_f32_e32 v5, v5, v34
	s_or_b32 exec_lo, exec_lo, s0
	s_and_saveexec_b32 s0, vcc_lo
	s_cbranch_execz .LBB35_118
.LBB35_191:
	ds_read_b32 v34, v32 offset:192
	s_waitcnt lgkmcnt(0)
	v_add_f32_e32 v6, v6, v34
	s_or_b32 exec_lo, exec_lo, s0
	s_and_saveexec_b32 s0, vcc_lo
	s_cbranch_execz .LBB35_119
.LBB35_192:
	ds_read_b32 v34, v32 offset:224
	s_waitcnt lgkmcnt(0)
	v_add_f32_e32 v7, v7, v34
	s_or_b32 exec_lo, exec_lo, s0
	s_and_saveexec_b32 s0, vcc_lo
	s_cbranch_execz .LBB35_120
.LBB35_193:
	ds_read_b32 v34, v32 offset:256
	s_waitcnt lgkmcnt(0)
	v_add_f32_e32 v8, v8, v34
	s_or_b32 exec_lo, exec_lo, s0
	s_and_saveexec_b32 s0, vcc_lo
	s_cbranch_execz .LBB35_121
.LBB35_194:
	ds_read_b32 v34, v32 offset:288
	s_waitcnt lgkmcnt(0)
	v_add_f32_e32 v9, v9, v34
	s_or_b32 exec_lo, exec_lo, s0
	s_and_saveexec_b32 s0, vcc_lo
	s_cbranch_execz .LBB35_122
.LBB35_195:
	ds_read_b32 v34, v32 offset:320
	s_waitcnt lgkmcnt(0)
	v_add_f32_e32 v10, v10, v34
	s_or_b32 exec_lo, exec_lo, s0
	s_and_saveexec_b32 s0, vcc_lo
	s_cbranch_execz .LBB35_123
.LBB35_196:
	ds_read_b32 v34, v32 offset:352
	s_waitcnt lgkmcnt(0)
	v_add_f32_e32 v11, v11, v34
	s_or_b32 exec_lo, exec_lo, s0
	s_and_saveexec_b32 s0, vcc_lo
	s_cbranch_execz .LBB35_124
.LBB35_197:
	ds_read_b32 v34, v32 offset:384
	s_waitcnt lgkmcnt(0)
	v_add_f32_e32 v12, v12, v34
	s_or_b32 exec_lo, exec_lo, s0
	s_and_saveexec_b32 s0, vcc_lo
	s_cbranch_execz .LBB35_125
.LBB35_198:
	ds_read_b32 v34, v32 offset:416
	s_waitcnt lgkmcnt(0)
	v_add_f32_e32 v13, v13, v34
	s_or_b32 exec_lo, exec_lo, s0
	s_and_saveexec_b32 s0, vcc_lo
	s_cbranch_execz .LBB35_126
.LBB35_199:
	ds_read_b32 v34, v32 offset:448
	s_waitcnt lgkmcnt(0)
	v_add_f32_e32 v14, v14, v34
	s_or_b32 exec_lo, exec_lo, s0
	s_and_saveexec_b32 s0, vcc_lo
	s_cbranch_execz .LBB35_127
.LBB35_200:
	ds_read_b32 v34, v32 offset:480
	s_waitcnt lgkmcnt(0)
	v_add_f32_e32 v15, v15, v34
	s_or_b32 exec_lo, exec_lo, s0
	s_and_saveexec_b32 s0, vcc_lo
	s_cbranch_execz .LBB35_128
.LBB35_201:
	ds_read_b32 v34, v32 offset:512
	s_waitcnt lgkmcnt(0)
	v_add_f32_e32 v16, v16, v34
	s_or_b32 exec_lo, exec_lo, s0
	s_and_saveexec_b32 s0, vcc_lo
	s_cbranch_execz .LBB35_129
.LBB35_202:
	ds_read_b32 v34, v32 offset:544
	s_waitcnt lgkmcnt(0)
	v_add_f32_e32 v17, v17, v34
	s_or_b32 exec_lo, exec_lo, s0
	s_and_saveexec_b32 s0, vcc_lo
	s_cbranch_execz .LBB35_130
.LBB35_203:
	ds_read_b32 v34, v32 offset:576
	s_waitcnt lgkmcnt(0)
	v_add_f32_e32 v18, v18, v34
	s_or_b32 exec_lo, exec_lo, s0
	s_and_saveexec_b32 s0, vcc_lo
	s_cbranch_execz .LBB35_131
.LBB35_204:
	ds_read_b32 v34, v32 offset:608
	s_waitcnt lgkmcnt(0)
	v_add_f32_e32 v19, v19, v34
	s_or_b32 exec_lo, exec_lo, s0
	s_and_saveexec_b32 s0, vcc_lo
	s_cbranch_execz .LBB35_132
.LBB35_205:
	ds_read_b32 v34, v32 offset:640
	s_waitcnt lgkmcnt(0)
	v_add_f32_e32 v20, v20, v34
	s_or_b32 exec_lo, exec_lo, s0
	s_and_saveexec_b32 s0, vcc_lo
	s_cbranch_execz .LBB35_133
.LBB35_206:
	ds_read_b32 v34, v32 offset:672
	s_waitcnt lgkmcnt(0)
	v_add_f32_e32 v21, v21, v34
	s_or_b32 exec_lo, exec_lo, s0
	s_and_saveexec_b32 s0, vcc_lo
	s_cbranch_execz .LBB35_134
.LBB35_207:
	ds_read_b32 v34, v32 offset:704
	s_waitcnt lgkmcnt(0)
	v_add_f32_e32 v22, v22, v34
	s_or_b32 exec_lo, exec_lo, s0
	s_and_saveexec_b32 s0, vcc_lo
	s_cbranch_execz .LBB35_135
.LBB35_208:
	ds_read_b32 v34, v32 offset:736
	s_waitcnt lgkmcnt(0)
	v_add_f32_e32 v23, v23, v34
	s_or_b32 exec_lo, exec_lo, s0
	s_and_saveexec_b32 s0, vcc_lo
	s_cbranch_execz .LBB35_136
.LBB35_209:
	ds_read_b32 v34, v32 offset:768
	s_waitcnt lgkmcnt(0)
	v_add_f32_e32 v24, v24, v34
	s_or_b32 exec_lo, exec_lo, s0
	s_and_saveexec_b32 s0, vcc_lo
	s_cbranch_execz .LBB35_137
.LBB35_210:
	ds_read_b32 v34, v32 offset:800
	s_waitcnt lgkmcnt(0)
	v_add_f32_e32 v25, v25, v34
	s_or_b32 exec_lo, exec_lo, s0
	s_and_saveexec_b32 s0, vcc_lo
	s_cbranch_execz .LBB35_138
.LBB35_211:
	ds_read_b32 v34, v32 offset:832
	s_waitcnt lgkmcnt(0)
	v_add_f32_e32 v26, v26, v34
	s_or_b32 exec_lo, exec_lo, s0
	s_and_saveexec_b32 s0, vcc_lo
	s_cbranch_execz .LBB35_139
.LBB35_212:
	ds_read_b32 v34, v32 offset:864
	s_waitcnt lgkmcnt(0)
	v_add_f32_e32 v27, v27, v34
	s_or_b32 exec_lo, exec_lo, s0
	s_and_saveexec_b32 s0, vcc_lo
	s_cbranch_execz .LBB35_140
.LBB35_213:
	ds_read_b32 v34, v32 offset:896
	s_waitcnt lgkmcnt(0)
	v_add_f32_e32 v28, v28, v34
	s_or_b32 exec_lo, exec_lo, s0
	s_and_saveexec_b32 s0, vcc_lo
	s_cbranch_execz .LBB35_141
.LBB35_214:
	ds_read_b32 v34, v32 offset:928
	s_waitcnt lgkmcnt(0)
	v_add_f32_e32 v29, v29, v34
	s_or_b32 exec_lo, exec_lo, s0
	s_and_saveexec_b32 s0, vcc_lo
	s_cbranch_execz .LBB35_142
.LBB35_215:
	ds_read_b32 v34, v32 offset:960
	s_waitcnt lgkmcnt(0)
	v_add_f32_e32 v30, v30, v34
	s_or_b32 exec_lo, exec_lo, s0
	s_and_saveexec_b32 s0, vcc_lo
	s_cbranch_execnz .LBB35_143
	s_branch .LBB35_144
.LBB35_216:
	ds_read_b32 v33, v32
	s_waitcnt lgkmcnt(0)
	v_add_f32_e32 v0, v0, v33
	s_or_b32 exec_lo, exec_lo, s0
	s_and_saveexec_b32 s0, vcc_lo
	s_cbranch_execz .LBB35_150
.LBB35_217:
	ds_read_b32 v33, v32 offset:32
	s_waitcnt lgkmcnt(0)
	v_add_f32_e32 v1, v1, v33
	s_or_b32 exec_lo, exec_lo, s0
	s_and_saveexec_b32 s0, vcc_lo
	s_cbranch_execz .LBB35_151
.LBB35_218:
	ds_read_b32 v33, v32 offset:64
	s_waitcnt lgkmcnt(0)
	v_add_f32_e32 v2, v2, v33
	s_or_b32 exec_lo, exec_lo, s0
	s_and_saveexec_b32 s0, vcc_lo
	s_cbranch_execz .LBB35_152
.LBB35_219:
	ds_read_b32 v33, v32 offset:96
	s_waitcnt lgkmcnt(0)
	v_add_f32_e32 v3, v3, v33
	s_or_b32 exec_lo, exec_lo, s0
	s_and_saveexec_b32 s0, vcc_lo
	s_cbranch_execz .LBB35_153
.LBB35_220:
	ds_read_b32 v33, v32 offset:128
	s_waitcnt lgkmcnt(0)
	v_add_f32_e32 v4, v4, v33
	s_or_b32 exec_lo, exec_lo, s0
	s_and_saveexec_b32 s0, vcc_lo
	s_cbranch_execz .LBB35_154
.LBB35_221:
	ds_read_b32 v33, v32 offset:160
	s_waitcnt lgkmcnt(0)
	v_add_f32_e32 v5, v5, v33
	s_or_b32 exec_lo, exec_lo, s0
	s_and_saveexec_b32 s0, vcc_lo
	s_cbranch_execz .LBB35_155
.LBB35_222:
	ds_read_b32 v33, v32 offset:192
	s_waitcnt lgkmcnt(0)
	v_add_f32_e32 v6, v6, v33
	s_or_b32 exec_lo, exec_lo, s0
	s_and_saveexec_b32 s0, vcc_lo
	s_cbranch_execz .LBB35_156
.LBB35_223:
	ds_read_b32 v33, v32 offset:224
	s_waitcnt lgkmcnt(0)
	v_add_f32_e32 v7, v7, v33
	s_or_b32 exec_lo, exec_lo, s0
	s_and_saveexec_b32 s0, vcc_lo
	s_cbranch_execz .LBB35_157
.LBB35_224:
	ds_read_b32 v33, v32 offset:256
	s_waitcnt lgkmcnt(0)
	v_add_f32_e32 v8, v8, v33
	s_or_b32 exec_lo, exec_lo, s0
	s_and_saveexec_b32 s0, vcc_lo
	s_cbranch_execz .LBB35_158
.LBB35_225:
	ds_read_b32 v33, v32 offset:288
	s_waitcnt lgkmcnt(0)
	v_add_f32_e32 v9, v9, v33
	s_or_b32 exec_lo, exec_lo, s0
	s_and_saveexec_b32 s0, vcc_lo
	s_cbranch_execz .LBB35_159
.LBB35_226:
	ds_read_b32 v33, v32 offset:320
	s_waitcnt lgkmcnt(0)
	v_add_f32_e32 v10, v10, v33
	s_or_b32 exec_lo, exec_lo, s0
	s_and_saveexec_b32 s0, vcc_lo
	s_cbranch_execz .LBB35_160
.LBB35_227:
	ds_read_b32 v33, v32 offset:352
	s_waitcnt lgkmcnt(0)
	v_add_f32_e32 v11, v11, v33
	s_or_b32 exec_lo, exec_lo, s0
	s_and_saveexec_b32 s0, vcc_lo
	s_cbranch_execz .LBB35_161
.LBB35_228:
	ds_read_b32 v33, v32 offset:384
	s_waitcnt lgkmcnt(0)
	v_add_f32_e32 v12, v12, v33
	s_or_b32 exec_lo, exec_lo, s0
	s_and_saveexec_b32 s0, vcc_lo
	s_cbranch_execz .LBB35_162
.LBB35_229:
	ds_read_b32 v33, v32 offset:416
	s_waitcnt lgkmcnt(0)
	v_add_f32_e32 v13, v13, v33
	s_or_b32 exec_lo, exec_lo, s0
	s_and_saveexec_b32 s0, vcc_lo
	s_cbranch_execz .LBB35_163
.LBB35_230:
	ds_read_b32 v33, v32 offset:448
	s_waitcnt lgkmcnt(0)
	v_add_f32_e32 v14, v14, v33
	s_or_b32 exec_lo, exec_lo, s0
	s_and_saveexec_b32 s0, vcc_lo
	s_cbranch_execz .LBB35_164
.LBB35_231:
	ds_read_b32 v33, v32 offset:480
	s_waitcnt lgkmcnt(0)
	v_add_f32_e32 v15, v15, v33
	s_or_b32 exec_lo, exec_lo, s0
	s_and_saveexec_b32 s0, vcc_lo
	s_cbranch_execz .LBB35_165
.LBB35_232:
	ds_read_b32 v33, v32 offset:512
	s_waitcnt lgkmcnt(0)
	v_add_f32_e32 v16, v16, v33
	s_or_b32 exec_lo, exec_lo, s0
	s_and_saveexec_b32 s0, vcc_lo
	s_cbranch_execz .LBB35_166
.LBB35_233:
	ds_read_b32 v33, v32 offset:544
	s_waitcnt lgkmcnt(0)
	v_add_f32_e32 v17, v17, v33
	s_or_b32 exec_lo, exec_lo, s0
	s_and_saveexec_b32 s0, vcc_lo
	s_cbranch_execz .LBB35_167
.LBB35_234:
	ds_read_b32 v33, v32 offset:576
	s_waitcnt lgkmcnt(0)
	v_add_f32_e32 v18, v18, v33
	s_or_b32 exec_lo, exec_lo, s0
	s_and_saveexec_b32 s0, vcc_lo
	s_cbranch_execz .LBB35_168
.LBB35_235:
	ds_read_b32 v33, v32 offset:608
	s_waitcnt lgkmcnt(0)
	v_add_f32_e32 v19, v19, v33
	s_or_b32 exec_lo, exec_lo, s0
	s_and_saveexec_b32 s0, vcc_lo
	s_cbranch_execz .LBB35_169
.LBB35_236:
	ds_read_b32 v33, v32 offset:640
	s_waitcnt lgkmcnt(0)
	v_add_f32_e32 v20, v20, v33
	s_or_b32 exec_lo, exec_lo, s0
	s_and_saveexec_b32 s0, vcc_lo
	s_cbranch_execz .LBB35_170
.LBB35_237:
	ds_read_b32 v33, v32 offset:672
	s_waitcnt lgkmcnt(0)
	v_add_f32_e32 v21, v21, v33
	s_or_b32 exec_lo, exec_lo, s0
	s_and_saveexec_b32 s0, vcc_lo
	s_cbranch_execz .LBB35_171
.LBB35_238:
	ds_read_b32 v33, v32 offset:704
	s_waitcnt lgkmcnt(0)
	v_add_f32_e32 v22, v22, v33
	s_or_b32 exec_lo, exec_lo, s0
	s_and_saveexec_b32 s0, vcc_lo
	s_cbranch_execz .LBB35_172
.LBB35_239:
	ds_read_b32 v33, v32 offset:736
	s_waitcnt lgkmcnt(0)
	v_add_f32_e32 v23, v23, v33
	s_or_b32 exec_lo, exec_lo, s0
	s_and_saveexec_b32 s0, vcc_lo
	s_cbranch_execz .LBB35_173
.LBB35_240:
	ds_read_b32 v33, v32 offset:768
	s_waitcnt lgkmcnt(0)
	v_add_f32_e32 v24, v24, v33
	s_or_b32 exec_lo, exec_lo, s0
	s_and_saveexec_b32 s0, vcc_lo
	s_cbranch_execz .LBB35_174
.LBB35_241:
	ds_read_b32 v33, v32 offset:800
	s_waitcnt lgkmcnt(0)
	v_add_f32_e32 v25, v25, v33
	s_or_b32 exec_lo, exec_lo, s0
	s_and_saveexec_b32 s0, vcc_lo
	s_cbranch_execz .LBB35_175
.LBB35_242:
	ds_read_b32 v33, v32 offset:832
	s_waitcnt lgkmcnt(0)
	v_add_f32_e32 v26, v26, v33
	s_or_b32 exec_lo, exec_lo, s0
	s_and_saveexec_b32 s0, vcc_lo
	s_cbranch_execz .LBB35_176
.LBB35_243:
	ds_read_b32 v33, v32 offset:864
	s_waitcnt lgkmcnt(0)
	v_add_f32_e32 v27, v27, v33
	s_or_b32 exec_lo, exec_lo, s0
	s_and_saveexec_b32 s0, vcc_lo
	s_cbranch_execz .LBB35_177
.LBB35_244:
	ds_read_b32 v33, v32 offset:896
	s_waitcnt lgkmcnt(0)
	v_add_f32_e32 v28, v28, v33
	s_or_b32 exec_lo, exec_lo, s0
	s_and_saveexec_b32 s0, vcc_lo
	s_cbranch_execz .LBB35_178
.LBB35_245:
	ds_read_b32 v33, v32 offset:928
	s_waitcnt lgkmcnt(0)
	v_add_f32_e32 v29, v29, v33
	s_or_b32 exec_lo, exec_lo, s0
	s_and_saveexec_b32 s0, vcc_lo
	s_cbranch_execz .LBB35_179
.LBB35_246:
	ds_read_b32 v33, v32 offset:960
	s_waitcnt lgkmcnt(0)
	v_add_f32_e32 v30, v30, v33
	s_or_b32 exec_lo, exec_lo, s0
	s_and_saveexec_b32 s0, vcc_lo
	s_cbranch_execnz .LBB35_180
	s_branch .LBB35_181
	.section	.rodata,"a",@progbits
	.p2align	6, 0x0
	.amdhsa_kernel _ZN4vllm25paged_attention_v2_kernelIffLi256ELi16ELi128ELNS_18Fp8KVCacheDataTypeE0ELb1ELi512EEEvPfS2_PT_PKS3_PKT0_S9_ifPKiSB_iPKfiiiSD_SD_iiiii
		.amdhsa_group_segment_fixed_size 1056
		.amdhsa_private_segment_fixed_size 232
		.amdhsa_kernarg_size 400
		.amdhsa_user_sgpr_count 6
		.amdhsa_user_sgpr_private_segment_buffer 1
		.amdhsa_user_sgpr_dispatch_ptr 0
		.amdhsa_user_sgpr_queue_ptr 0
		.amdhsa_user_sgpr_kernarg_segment_ptr 1
		.amdhsa_user_sgpr_dispatch_id 0
		.amdhsa_user_sgpr_flat_scratch_init 0
		.amdhsa_user_sgpr_private_segment_size 0
		.amdhsa_wavefront_size32 1
		.amdhsa_uses_dynamic_stack 0
		.amdhsa_system_sgpr_private_segment_wavefront_offset 1
		.amdhsa_system_sgpr_workgroup_id_x 1
		.amdhsa_system_sgpr_workgroup_id_y 1
		.amdhsa_system_sgpr_workgroup_id_z 1
		.amdhsa_system_sgpr_workgroup_info 0
		.amdhsa_system_vgpr_workitem_id 0
		.amdhsa_next_free_vgpr 128
		.amdhsa_next_free_sgpr 52
		.amdhsa_reserve_vcc 1
		.amdhsa_reserve_flat_scratch 0
		.amdhsa_float_round_mode_32 0
		.amdhsa_float_round_mode_16_64 0
		.amdhsa_float_denorm_mode_32 3
		.amdhsa_float_denorm_mode_16_64 3
		.amdhsa_dx10_clamp 1
		.amdhsa_ieee_mode 1
		.amdhsa_fp16_overflow 0
		.amdhsa_workgroup_processor_mode 1
		.amdhsa_memory_ordered 1
		.amdhsa_forward_progress 1
		.amdhsa_shared_vgpr_count 0
		.amdhsa_exception_fp_ieee_invalid_op 0
		.amdhsa_exception_fp_denorm_src 0
		.amdhsa_exception_fp_ieee_div_zero 0
		.amdhsa_exception_fp_ieee_overflow 0
		.amdhsa_exception_fp_ieee_underflow 0
		.amdhsa_exception_fp_ieee_inexact 0
		.amdhsa_exception_int_div_zero 0
	.end_amdhsa_kernel
	.section	.text._ZN4vllm25paged_attention_v2_kernelIffLi256ELi16ELi128ELNS_18Fp8KVCacheDataTypeE0ELb1ELi512EEEvPfS2_PT_PKS3_PKT0_S9_ifPKiSB_iPKfiiiSD_SD_iiiii,"axG",@progbits,_ZN4vllm25paged_attention_v2_kernelIffLi256ELi16ELi128ELNS_18Fp8KVCacheDataTypeE0ELb1ELi512EEEvPfS2_PT_PKS3_PKT0_S9_ifPKiSB_iPKfiiiSD_SD_iiiii,comdat
.Lfunc_end35:
	.size	_ZN4vllm25paged_attention_v2_kernelIffLi256ELi16ELi128ELNS_18Fp8KVCacheDataTypeE0ELb1ELi512EEEvPfS2_PT_PKS3_PKT0_S9_ifPKiSB_iPKfiiiSD_SD_iiiii, .Lfunc_end35-_ZN4vllm25paged_attention_v2_kernelIffLi256ELi16ELi128ELNS_18Fp8KVCacheDataTypeE0ELb1ELi512EEEvPfS2_PT_PKS3_PKT0_S9_ifPKiSB_iPKfiiiSD_SD_iiiii
                                        ; -- End function
	.set _ZN4vllm25paged_attention_v2_kernelIffLi256ELi16ELi128ELNS_18Fp8KVCacheDataTypeE0ELb1ELi512EEEvPfS2_PT_PKS3_PKT0_S9_ifPKiSB_iPKfiiiSD_SD_iiiii.num_vgpr, 128
	.set _ZN4vllm25paged_attention_v2_kernelIffLi256ELi16ELi128ELNS_18Fp8KVCacheDataTypeE0ELb1ELi512EEEvPfS2_PT_PKS3_PKT0_S9_ifPKiSB_iPKfiiiSD_SD_iiiii.num_agpr, 0
	.set _ZN4vllm25paged_attention_v2_kernelIffLi256ELi16ELi128ELNS_18Fp8KVCacheDataTypeE0ELb1ELi512EEEvPfS2_PT_PKS3_PKT0_S9_ifPKiSB_iPKfiiiSD_SD_iiiii.numbered_sgpr, 52
	.set _ZN4vllm25paged_attention_v2_kernelIffLi256ELi16ELi128ELNS_18Fp8KVCacheDataTypeE0ELb1ELi512EEEvPfS2_PT_PKS3_PKT0_S9_ifPKiSB_iPKfiiiSD_SD_iiiii.num_named_barrier, 0
	.set _ZN4vllm25paged_attention_v2_kernelIffLi256ELi16ELi128ELNS_18Fp8KVCacheDataTypeE0ELb1ELi512EEEvPfS2_PT_PKS3_PKT0_S9_ifPKiSB_iPKfiiiSD_SD_iiiii.private_seg_size, 232
	.set _ZN4vllm25paged_attention_v2_kernelIffLi256ELi16ELi128ELNS_18Fp8KVCacheDataTypeE0ELb1ELi512EEEvPfS2_PT_PKS3_PKT0_S9_ifPKiSB_iPKfiiiSD_SD_iiiii.uses_vcc, 1
	.set _ZN4vllm25paged_attention_v2_kernelIffLi256ELi16ELi128ELNS_18Fp8KVCacheDataTypeE0ELb1ELi512EEEvPfS2_PT_PKS3_PKT0_S9_ifPKiSB_iPKfiiiSD_SD_iiiii.uses_flat_scratch, 0
	.set _ZN4vllm25paged_attention_v2_kernelIffLi256ELi16ELi128ELNS_18Fp8KVCacheDataTypeE0ELb1ELi512EEEvPfS2_PT_PKS3_PKT0_S9_ifPKiSB_iPKfiiiSD_SD_iiiii.has_dyn_sized_stack, 0
	.set _ZN4vllm25paged_attention_v2_kernelIffLi256ELi16ELi128ELNS_18Fp8KVCacheDataTypeE0ELb1ELi512EEEvPfS2_PT_PKS3_PKT0_S9_ifPKiSB_iPKfiiiSD_SD_iiiii.has_recursion, 0
	.set _ZN4vllm25paged_attention_v2_kernelIffLi256ELi16ELi128ELNS_18Fp8KVCacheDataTypeE0ELb1ELi512EEEvPfS2_PT_PKS3_PKT0_S9_ifPKiSB_iPKfiiiSD_SD_iiiii.has_indirect_call, 0
	.section	.AMDGPU.csdata,"",@progbits
; Kernel info:
; codeLenInByte = 15240
; TotalNumSgprs: 54
; NumVgprs: 128
; ScratchSize: 232
; MemoryBound: 0
; FloatMode: 240
; IeeeMode: 1
; LDSByteSize: 1056 bytes/workgroup (compile time only)
; SGPRBlocks: 0
; VGPRBlocks: 15
; NumSGPRsForWavesPerEU: 54
; NumVGPRsForWavesPerEU: 128
; Occupancy: 8
; WaveLimiterHint : 1
; COMPUTE_PGM_RSRC2:SCRATCH_EN: 1
; COMPUTE_PGM_RSRC2:USER_SGPR: 6
; COMPUTE_PGM_RSRC2:TRAP_HANDLER: 0
; COMPUTE_PGM_RSRC2:TGID_X_EN: 1
; COMPUTE_PGM_RSRC2:TGID_Y_EN: 1
; COMPUTE_PGM_RSRC2:TGID_Z_EN: 1
; COMPUTE_PGM_RSRC2:TIDIG_COMP_CNT: 0
	.section	.text._ZN4vllm25paged_attention_v2_kernelIffLi32ELi16ELi128ELNS_18Fp8KVCacheDataTypeE0ELb0ELi512EEEvPfS2_PT_PKS3_PKT0_S9_ifPKiSB_iPKfiiiSD_SD_iiiii,"axG",@progbits,_ZN4vllm25paged_attention_v2_kernelIffLi32ELi16ELi128ELNS_18Fp8KVCacheDataTypeE0ELb0ELi512EEEvPfS2_PT_PKS3_PKT0_S9_ifPKiSB_iPKfiiiSD_SD_iiiii,comdat
	.protected	_ZN4vllm25paged_attention_v2_kernelIffLi32ELi16ELi128ELNS_18Fp8KVCacheDataTypeE0ELb0ELi512EEEvPfS2_PT_PKS3_PKT0_S9_ifPKiSB_iPKfiiiSD_SD_iiiii ; -- Begin function _ZN4vllm25paged_attention_v2_kernelIffLi32ELi16ELi128ELNS_18Fp8KVCacheDataTypeE0ELb0ELi512EEEvPfS2_PT_PKS3_PKT0_S9_ifPKiSB_iPKfiiiSD_SD_iiiii
	.globl	_ZN4vllm25paged_attention_v2_kernelIffLi32ELi16ELi128ELNS_18Fp8KVCacheDataTypeE0ELb0ELi512EEEvPfS2_PT_PKS3_PKT0_S9_ifPKiSB_iPKfiiiSD_SD_iiiii
	.p2align	8
	.type	_ZN4vllm25paged_attention_v2_kernelIffLi32ELi16ELi128ELNS_18Fp8KVCacheDataTypeE0ELb0ELi512EEEvPfS2_PT_PKS3_PKT0_S9_ifPKiSB_iPKfiiiSD_SD_iiiii,@function
_ZN4vllm25paged_attention_v2_kernelIffLi32ELi16ELi128ELNS_18Fp8KVCacheDataTypeE0ELb0ELi512EEEvPfS2_PT_PKS3_PKT0_S9_ifPKiSB_iPKfiiiSD_SD_iiiii: ; @_ZN4vllm25paged_attention_v2_kernelIffLi32ELi16ELi128ELNS_18Fp8KVCacheDataTypeE0ELb0ELi512EEEvPfS2_PT_PKS3_PKT0_S9_ifPKiSB_iPKfiiiSD_SD_iiiii
; %bb.0:
	s_load_dwordx2 s[0:1], s[4:5], 0x40
	s_mov_b32 s22, s7
	s_ashr_i32 s23, s7, 31
	s_lshl_b64 s[2:3], s[22:23], 2
	s_waitcnt lgkmcnt(0)
	s_add_u32 s0, s0, s2
	s_addc_u32 s1, s1, s3
	s_lshl_b32 s33, s8, 9
	s_load_dword s23, s[0:1], 0x0
	s_waitcnt lgkmcnt(0)
	s_cmp_ge_i32 s33, s23
	s_cbranch_scc1 .LBB36_62
; %bb.1:
	s_clause 0x1
	s_load_dword s9, s[4:5], 0x90
	s_load_dwordx2 s[30:31], s[4:5], 0x30
	s_mov_b32 s34, 0
	s_waitcnt lgkmcnt(0)
	s_abs_i32 s3, s9
	s_abs_i32 s0, s30
	v_cvt_f32_u32_e32 v1, s0
	s_sub_i32 s2, 0, s0
	v_rcp_iflag_f32_e32 v1, v1
	v_mul_f32_e32 v1, 0x4f7ffffe, v1
	v_cvt_u32_f32_e32 v1, v1
	v_readfirstlane_b32 s1, v1
	s_mul_i32 s2, s2, s1
	s_mul_hi_u32 s2, s1, s2
	s_add_i32 s1, s1, s2
	s_xor_b32 s2, s9, s30
	s_mul_hi_u32 s1, s3, s1
	s_ashr_i32 s2, s2, 31
	s_mul_i32 s7, s1, s0
	s_sub_i32 s3, s3, s7
	s_add_i32 s7, s1, 1
	s_sub_i32 s10, s3, s0
	s_cmp_ge_u32 s3, s0
	s_cselect_b32 s1, s7, s1
	s_cselect_b32 s3, s10, s3
	s_add_i32 s7, s1, 1
	s_cmp_ge_u32 s3, s0
	s_cselect_b32 s0, s7, s1
	s_abs_i32 s16, s6
	s_xor_b32 s0, s0, s2
	s_sub_i32 s10, s0, s2
	s_load_dwordx2 s[0:1], s[4:5], 0x50
	s_abs_i32 s2, s10
	v_cvt_f32_u32_e32 v1, s2
	s_sub_i32 s7, 0, s2
	v_rcp_iflag_f32_e32 v1, v1
	v_mul_f32_e32 v1, 0x4f7ffffe, v1
	v_cvt_u32_f32_e32 v1, v1
	v_readfirstlane_b32 s3, v1
	s_mul_i32 s7, s7, s3
	s_mul_hi_u32 s7, s3, s7
	s_add_i32 s3, s3, s7
	s_waitcnt lgkmcnt(0)
	s_cmp_eq_u64 s[0:1], 0
	s_mul_hi_u32 s3, s16, s3
	s_cbranch_scc1 .LBB36_3
; %bb.2:
	s_ashr_i32 s7, s6, 31
	s_lshl_b64 s[12:13], s[6:7], 2
	s_add_u32 s0, s0, s12
	s_addc_u32 s1, s1, s13
	s_load_dword s34, s[0:1], 0x0
.LBB36_3:
	s_load_dwordx4 s[12:15], s[4:5], 0x58
	v_and_b32_e32 v17, 1, v0
	v_lshlrev_b32_e32 v1, 3, v0
	v_lshlrev_b32_e32 v19, 2, v0
	s_ashr_i32 s0, s6, 31
	s_ashr_i32 s1, s10, 31
	s_lshl_b32 s10, s6, 5
	s_mov_b32 s7, exec_lo
	v_cmpx_gt_u32_e32 16, v0
	s_cbranch_execz .LBB36_5
; %bb.4:
	s_load_dwordx2 s[18:19], s[4:5], 0x18
	s_waitcnt lgkmcnt(0)
	s_mul_i32 s20, s12, s22
	v_and_b32_e32 v4, 0xff8, v19
	s_ashr_i32 s21, s20, 31
	s_lshl_b64 s[20:21], s[20:21], 2
	v_lshl_add_u32 v4, v17, 6, v4
	s_add_u32 s12, s18, s20
	s_addc_u32 s15, s19, s21
	s_ashr_i32 s11, s10, 31
	s_lshl_b64 s[18:19], s[10:11], 2
	s_add_u32 s18, s12, s18
	s_addc_u32 s19, s15, s19
	global_load_dwordx2 v[2:3], v1, s[18:19]
	s_waitcnt vmcnt(0)
	ds_write_b64 v4, v[2:3]
.LBB36_5:
	s_or_b32 exec_lo, exec_lo, s7
	s_add_i32 s7, s23, 15
	s_load_dwordx2 s[24:25], s[4:5], 0x38
	s_waitcnt lgkmcnt(0)
	s_load_dword s15, s[4:5], 0x48
	s_ashr_i32 s11, s7, 31
	s_lshl_b32 s12, s8, 5
	s_lshr_b32 s11, s11, 28
	s_xor_b32 s0, s0, s1
	s_add_i32 s7, s7, s11
	s_add_i32 s1, s12, 32
	s_ashr_i32 s30, s7, 4
	s_mul_i32 s7, s3, s2
	s_min_i32 s11, s1, s30
	s_sub_i32 s1, s16, s7
	s_add_i32 s7, s3, 1
	s_sub_i32 s16, s1, s2
	s_cmp_ge_u32 s1, s2
	v_lshrrev_b32_e32 v24, 5, v0
	s_cselect_b32 s3, s7, s3
	s_cselect_b32 s1, s16, s1
	s_add_i32 s7, s3, 1
	s_cmp_ge_u32 s1, s2
	v_or_b32_e32 v21, s12, v24
	s_cselect_b32 s1, s7, s3
	v_mbcnt_lo_u32_b32 v20, -1, 0
	s_xor_b32 s1, s1, s0
	s_waitcnt lgkmcnt(0)
	s_mul_i32 s26, s15, s22
	s_sub_i32 s1, s1, s0
	v_cmp_gt_i32_e64 s0, s11, v21
	s_ashr_i32 s27, s26, 31
	s_mov_b32 s2, exec_lo
	s_barrier
	buffer_gl0_inv
                                        ; implicit-def: $vgpr23
                                        ; implicit-def: $vgpr27
	v_cmpx_le_i32_e64 s11, v21
	s_xor_b32 s2, exec_lo, s2
; %bb.6:
	v_mov_b32_e32 v23, 0
	v_mbcnt_lo_u32_b32 v20, -1, 0
	v_mov_b32_e32 v27, 32
                                        ; implicit-def: $vgpr1
                                        ; implicit-def: $vgpr17
; %bb.7:
	s_or_saveexec_b32 s35, s2
	s_clause 0x3
	s_load_dwordx4 s[16:19], s[4:5], 0x0
	s_load_dwordx2 s[20:21], s[4:5], 0x10
	s_load_dwordx2 s[28:29], s[4:5], 0x28
	s_load_dword s7, s[4:5], 0x98
	v_mov_b32_e32 v25, 0xff7fffff
	v_ashrrev_i32_e32 v22, 31, v21
	s_mul_i32 s14, s1, s14
	s_xor_b32 exec_lo, exec_lo, s35
	s_cbranch_execz .LBB36_13
; %bb.8:
	s_load_dwordx2 s[2:3], s[4:5], 0x20
	v_bfe_u32 v18, v0, 1, 4
	v_lshlrev_b32_e32 v13, 6, v17
	s_ashr_i32 s15, s14, 31
	v_xor_b32_e32 v26, 1, v20
	s_lshl_b64 s[4:5], s[14:15], 2
	v_lshlrev_b32_e32 v28, 4, v18
	v_and_b32_e32 v25, 8, v1
	ds_read_b128 v[1:4], v13
	ds_read_b128 v[5:8], v13 offset:16
	ds_read_b128 v[9:12], v13 offset:32
	;; [unrolled: 1-line block ×3, first 2 shown]
	v_cmp_gt_i32_e32 vcc_lo, 32, v26
	v_lshlrev_b32_e32 v30, 4, v24
	v_lshlrev_b32_e32 v31, 2, v18
	v_mov_b32_e32 v23, 0
	v_mov_b32_e32 v27, 32
	v_cndmask_b32_e32 v26, v20, v26, vcc_lo
	v_add3_u32 v30, s33, v30, v18
	v_mov_b32_e32 v32, v21
	s_mov_b32 s15, s13
	v_lshlrev_b32_e32 v26, 2, v26
	s_waitcnt lgkmcnt(0)
	s_add_u32 s1, s2, s4
	s_addc_u32 s2, s3, s5
	v_add_co_u32 v28, s1, s1, v28
	v_add_co_ci_u32_e64 v29, null, s2, 0, s1
	s_lshl_b64 s[2:3], s[26:27], 2
	v_add_co_u32 v28, vcc_lo, v28, v25
	v_add_co_ci_u32_e64 v29, null, 0, v29, vcc_lo
	v_cmp_eq_u32_e32 vcc_lo, 0, v17
	v_lshlrev_b64 v[17:18], 2, v[21:22]
	v_lshl_or_b32 v25, v24, 6, v31
	s_sub_i32 s4, 1, s23
	s_add_u32 s2, s24, s2
	s_addc_u32 s3, s25, s3
	v_cmp_neq_f32_e64 s1, s34, 0
	v_add_co_u32 v17, s2, s2, v17
	v_add_nc_u32_e32 v31, 0xa0, v25
	v_add_co_ci_u32_e64 v18, null, s3, v18, s2
	v_mov_b32_e32 v25, 0xff7fffff
	s_mov_b32 s5, 0
	s_branch .LBB36_10
.LBB36_9:                               ;   in Loop: Header=BB36_10 Depth=1
	s_or_b32 exec_lo, exec_lo, s3
	v_add_nc_u32_e32 v32, 4, v32
	v_add_co_u32 v17, s3, v17, 16
	v_add_nc_u32_e32 v30, 64, v30
	v_add_nc_u32_e32 v31, 0x100, v31
	v_cmp_le_i32_e64 s2, s11, v32
	v_add_co_ci_u32_e64 v18, null, 0, v18, s3
	s_or_b32 s5, s2, s5
	s_andn2_b32 exec_lo, exec_lo, s5
	s_cbranch_execz .LBB36_12
.LBB36_10:                              ; =>This Inner Loop Header: Depth=1
	global_load_dword v33, v[17:18], off
	s_waitcnt vmcnt(0) lgkmcnt(0)
	v_mad_i64_i32 v[33:34], null, v33, s15, 0
	v_lshlrev_b64 v[33:34], 2, v[33:34]
	v_add_co_u32 v33, s2, v28, v33
	v_add_co_ci_u32_e64 v34, null, v29, v34, s2
	s_clause 0x7
	global_load_dwordx2 v[35:36], v[33:34], off offset:256
	global_load_dwordx2 v[37:38], v[33:34], off
	global_load_dwordx2 v[39:40], v[33:34], off offset:512
	global_load_dwordx2 v[41:42], v[33:34], off offset:768
	;; [unrolled: 1-line block ×6, first 2 shown]
	s_waitcnt vmcnt(7)
	v_mul_f32_e32 v35, v3, v35
	v_mul_f32_e32 v36, v4, v36
	s_waitcnt vmcnt(6)
	v_fmac_f32_e32 v35, v1, v37
	v_fmac_f32_e32 v36, v2, v38
	s_waitcnt vmcnt(5)
	v_fmac_f32_e32 v35, v5, v39
	v_fmac_f32_e32 v36, v6, v40
	;; [unrolled: 3-line block ×7, first 2 shown]
	v_add_f32_e32 v33, v35, v36
	ds_bpermute_b32 v34, v26, v33
	s_and_saveexec_b32 s3, vcc_lo
	s_cbranch_execz .LBB36_9
; %bb.11:                               ;   in Loop: Header=BB36_10 Depth=1
	v_add_nc_u32_e32 v35, s4, v30
	s_waitcnt lgkmcnt(0)
	v_add_f32_e32 v33, v33, v34
	v_cmp_gt_i32_e64 s2, s23, v30
	v_cvt_f32_i32_e32 v35, v35
	v_mul_f32_e32 v35, s34, v35
	v_cndmask_b32_e64 v34, 0, v35, s1
	v_max_f32_e32 v35, v25, v25
	v_fmac_f32_e32 v34, s31, v33
	v_max_f32_e32 v33, v35, v34
	v_cndmask_b32_e64 v34, 0, v34, s2
	v_cndmask_b32_e64 v25, v25, v33, s2
	ds_write_b32 v31, v34
	s_branch .LBB36_9
.LBB36_12:
	s_or_b32 exec_lo, exec_lo, s5
.LBB36_13:
	s_or_b32 exec_lo, exec_lo, s35
	v_xor_b32_e32 v1, 16, v20
	v_xor_b32_e32 v3, 8, v20
	v_max_f32_e32 v5, v25, v25
	v_xor_b32_e32 v6, 2, v20
	v_cmp_lt_i32_e32 vcc_lo, v1, v27
	v_cndmask_b32_e32 v1, v20, v1, vcc_lo
	v_cmp_lt_i32_e32 vcc_lo, v3, v27
	v_lshlrev_b32_e32 v2, 2, v1
	v_cndmask_b32_e32 v3, v20, v3, vcc_lo
	ds_bpermute_b32 v1, v2, v25
	v_lshlrev_b32_e32 v4, 2, v3
	v_and_b32_e32 v25, 31, v0
	s_waitcnt lgkmcnt(0)
	v_max_f32_e32 v1, v1, v1
	v_max_f32_e32 v1, v5, v1
	v_xor_b32_e32 v5, 4, v20
	ds_bpermute_b32 v3, v4, v1
	v_cmp_lt_i32_e32 vcc_lo, v5, v27
	v_cndmask_b32_e32 v5, v20, v5, vcc_lo
	v_cmp_lt_i32_e32 vcc_lo, v6, v27
	v_lshlrev_b32_e32 v5, 2, v5
	v_cndmask_b32_e32 v6, v20, v6, vcc_lo
	v_cmp_eq_u32_e32 vcc_lo, 0, v25
	v_lshlrev_b32_e32 v26, 2, v6
	v_lshlrev_b32_e32 v6, 2, v24
	s_waitcnt lgkmcnt(0)
	v_max_f32_e32 v3, v3, v3
	v_max_f32_e32 v1, v1, v3
	ds_bpermute_b32 v3, v5, v1
	s_waitcnt lgkmcnt(0)
	v_max_f32_e32 v3, v3, v3
	v_max_f32_e32 v1, v1, v3
	ds_bpermute_b32 v3, v26, v1
	s_and_saveexec_b32 s1, vcc_lo
	s_cbranch_execz .LBB36_15
; %bb.14:
	s_waitcnt lgkmcnt(0)
	v_max_f32_e32 v3, v3, v3
	v_max_f32_e32 v1, v1, v1
	;; [unrolled: 1-line block ×3, first 2 shown]
	ds_write_b32 v6, v1 offset:128
.LBB36_15:
	s_or_b32 exec_lo, exec_lo, s1
	v_cmp_gt_u32_e64 s1, 4, v25
	v_mov_b32_e32 v1, 0xff7fffff
	v_lshlrev_b32_e32 v7, 2, v25
	s_waitcnt lgkmcnt(0)
	s_barrier
	buffer_gl0_inv
	s_and_saveexec_b32 s2, s1
; %bb.16:
	ds_read_b32 v1, v7 offset:128
; %bb.17:
	s_or_b32 exec_lo, exec_lo, s2
	s_waitcnt lgkmcnt(0)
	ds_bpermute_b32 v3, v26, v1
	v_xor_b32_e32 v8, 1, v20
	v_max_f32_e32 v1, v1, v1
	v_cmp_lt_i32_e64 s2, v8, v27
	v_cndmask_b32_e64 v8, v20, v8, s2
	s_sub_i32 s2, s11, s12
	s_lshl_b32 s2, s2, 4
	v_lshlrev_b32_e32 v27, 2, v8
	s_add_i32 s2, s2, s33
	v_mov_b32_e32 v8, 0
	s_min_i32 s2, s2, s23
	s_waitcnt lgkmcnt(0)
	v_max_f32_e32 v3, v3, v3
	s_sub_i32 s4, s2, s33
	v_cmp_gt_i32_e64 s2, s4, v0
	v_max_f32_e32 v1, v1, v3
	ds_bpermute_b32 v3, v27, v1
	s_waitcnt lgkmcnt(0)
	v_max_f32_e32 v3, v3, v3
	v_max_f32_e32 v1, v1, v3
	v_lshlrev_b32_e32 v3, 2, v23
	ds_bpermute_b32 v1, v3, v1
	v_lshl_add_u32 v3, v0, 2, 0xa0
	s_and_saveexec_b32 s5, s2
	s_cbranch_execz .LBB36_21
; %bb.18:
	v_lshl_add_u32 v9, v0, 2, 0xa0
	v_mov_b32_e32 v8, 0
	v_mov_b32_e32 v10, v0
	s_mov_b32 s15, 0
	.p2align	6
.LBB36_19:                              ; =>This Inner Loop Header: Depth=1
	ds_read_b32 v11, v9
	v_add_nc_u32_e32 v10, 0x80, v10
	v_cmp_le_i32_e64 s3, s4, v10
	s_or_b32 s15, s3, s15
	s_waitcnt lgkmcnt(0)
	v_sub_f32_e32 v11, v11, v1
	v_mul_f32_e32 v11, 0x3fb8aa3b, v11
	v_exp_f32_e32 v11, v11
	ds_write_b32 v9, v11
	v_add_f32_e32 v8, v8, v11
	v_add_nc_u32_e32 v9, 0x200, v9
	s_andn2_b32 exec_lo, exec_lo, s15
	s_cbranch_execnz .LBB36_19
; %bb.20:
	s_or_b32 exec_lo, exec_lo, s15
.LBB36_21:
	s_or_b32 exec_lo, exec_lo, s5
	ds_bpermute_b32 v2, v2, v8
	s_waitcnt lgkmcnt(0)
	v_add_f32_e32 v2, v8, v2
	ds_bpermute_b32 v4, v4, v2
	s_waitcnt lgkmcnt(0)
	v_add_f32_e32 v2, v2, v4
	;; [unrolled: 3-line block ×5, first 2 shown]
	s_and_saveexec_b32 s3, vcc_lo
; %bb.22:
	ds_write_b32 v6, v2 offset:144
; %bb.23:
	s_or_b32 exec_lo, exec_lo, s3
	s_waitcnt lgkmcnt(0)
	s_barrier
	buffer_gl0_inv
	s_and_saveexec_b32 s3, s1
; %bb.24:
	ds_read_b32 v2, v7 offset:144
; %bb.25:
	s_or_b32 exec_lo, exec_lo, s3
	s_waitcnt lgkmcnt(0)
	ds_bpermute_b32 v4, v26, v2
	v_lshlrev_b32_e32 v5, 2, v20
	s_waitcnt lgkmcnt(0)
	v_add_f32_e32 v2, v2, v4
	ds_bpermute_b32 v4, v27, v2
	s_waitcnt lgkmcnt(0)
	v_add_f32_e32 v2, v2, v4
	v_and_b32_e32 v4, 0xffffff80, v5
	ds_bpermute_b32 v2, v4, v2
	s_and_saveexec_b32 s1, s2
	s_cbranch_execz .LBB36_28
; %bb.26:
	s_waitcnt lgkmcnt(0)
	v_add_f32_e32 v4, 0x358637bd, v2
	s_mov_b32 s2, 0
	v_div_scale_f32 v5, null, v4, v4, 1.0
	v_div_scale_f32 v8, vcc_lo, 1.0, v4, 1.0
	v_rcp_f32_e32 v6, v5
	v_fma_f32 v7, -v5, v6, 1.0
	v_fmac_f32_e32 v6, v7, v6
	v_mul_f32_e32 v7, v8, v6
	v_fma_f32 v9, -v5, v7, v8
	v_fmac_f32_e32 v7, v9, v6
	v_fma_f32 v5, -v5, v7, v8
	v_div_fmas_f32 v5, v5, v6, v7
	v_div_fixup_f32 v4, v5, v4, 1.0
	v_mov_b32_e32 v5, v0
.LBB36_27:                              ; =>This Inner Loop Header: Depth=1
	ds_read_b32 v6, v3
	v_add_nc_u32_e32 v5, 0x80, v5
	v_cmp_le_i32_e32 vcc_lo, s4, v5
	s_or_b32 s2, vcc_lo, s2
	s_waitcnt lgkmcnt(0)
	v_mul_f32_e32 v6, v4, v6
	ds_write_b32 v3, v6
	v_add_nc_u32_e32 v3, 0x200, v3
	s_andn2_b32 exec_lo, exec_lo, s2
	s_cbranch_execnz .LBB36_27
.LBB36_28:
	s_or_b32 exec_lo, exec_lo, s1
	s_mul_i32 s1, s7, s22
	s_waitcnt lgkmcnt(0)
	s_mul_i32 s2, s1, s9
	s_mov_b32 s1, exec_lo
	s_barrier
	buffer_gl0_inv
	v_cmpx_eq_u32_e32 0, v0
	s_cbranch_execz .LBB36_30
; %bb.29:
	s_ashr_i32 s3, s2, 31
	s_mul_i32 s34, s7, s6
	s_lshl_b64 s[4:5], s[2:3], 2
	v_mov_b32_e32 v3, 0
	s_add_u32 s3, s18, s4
	s_addc_u32 s6, s19, s5
	s_ashr_i32 s35, s34, 31
	s_lshl_b64 s[18:19], s[34:35], 2
	s_add_u32 s3, s3, s18
	s_addc_u32 s6, s6, s19
	s_ashr_i32 s9, s8, 31
	s_lshl_b64 s[8:9], s[8:9], 2
	s_add_u32 s34, s3, s8
	s_addc_u32 s35, s6, s9
	s_add_u32 s3, s16, s4
	s_addc_u32 s4, s17, s5
	;; [unrolled: 2-line block ×4, first 2 shown]
	global_store_dword v3, v1, s[34:35]
	global_store_dword v3, v2, s[4:5]
.LBB36_30:
	s_or_b32 exec_lo, exec_lo, s1
	v_mov_b32_e32 v30, 0
	v_and_b32_e32 v28, 3, v0
	v_mov_b32_e32 v32, 0
	v_mov_b32_e32 v31, 0
	;; [unrolled: 1-line block ×3, first 2 shown]
	s_and_saveexec_b32 s1, s0
	s_cbranch_execz .LBB36_42
; %bb.31:
	v_lshlrev_b32_e32 v2, 4, v0
	s_ashr_i32 s15, s14, 31
	v_and_b32_e32 v1, 12, v19
	v_lshl_add_u32 v4, v24, 4, s33
	s_lshl_b64 s[4:5], s[14:15], 2
	v_and_b32_e32 v2, 0x1f0, v2
	s_add_u32 s0, s28, s4
	v_lshlrev_b32_e32 v3, 4, v28
	v_add3_u32 v35, v4, v1, 3
	s_addc_u32 s3, s29, s5
	v_add_co_u32 v33, s0, s0, v2
	v_lshlrev_b64 v[1:2], 2, v[21:22]
	s_lshl_b64 s[4:5], s[26:27], 2
	s_add_i32 s30, s30, -1
	v_lshl_or_b32 v3, v24, 6, v3
	v_add_co_ci_u32_e64 v34, null, s3, 0, s0
	s_add_u32 s0, s24, s4
	s_addc_u32 s3, s25, s5
	v_add_co_u32 v22, vcc_lo, s0, v1
	v_mov_b32_e32 v29, 0
	v_add_nc_u32_e32 v36, 0xa0, v3
	v_add_co_ci_u32_e64 v23, null, s3, v2, vcc_lo
	v_mov_b32_e32 v31, 0
	v_mov_b32_e32 v32, 0
	;; [unrolled: 1-line block ×3, first 2 shown]
	s_mov_b32 s4, s13
	s_mov_b32 s3, 0
	s_branch .LBB36_33
.LBB36_32:                              ;   in Loop: Header=BB36_33 Depth=1
	s_or_b32 exec_lo, exec_lo, s0
	s_waitcnt vmcnt(1) lgkmcnt(0)
	v_mul_f32_e32 v13, v1, v13
	v_mul_f32_e32 v9, v1, v9
	;; [unrolled: 1-line block ×3, first 2 shown]
	s_waitcnt vmcnt(0)
	v_mul_f32_e32 v1, v1, v17
	v_add_nc_u32_e32 v21, 4, v21
	v_fmac_f32_e32 v13, v2, v14
	v_fmac_f32_e32 v9, v2, v10
	;; [unrolled: 1-line block ×4, first 2 shown]
	v_cmp_le_i32_e32 vcc_lo, s11, v21
	v_fmac_f32_e32 v13, v3, v15
	v_fmac_f32_e32 v9, v3, v11
	;; [unrolled: 1-line block ×4, first 2 shown]
	v_add_co_u32 v22, s0, v22, 16
	v_fmac_f32_e32 v13, v4, v16
	v_fmac_f32_e32 v9, v4, v12
	;; [unrolled: 1-line block ×4, first 2 shown]
	v_add_nc_u32_e32 v35, 64, v35
	v_add_f32_e32 v31, v31, v13
	v_add_f32_e32 v32, v32, v9
	v_add_f32_e32 v30, v30, v5
	v_add_f32_e32 v29, v29, v1
	v_add_nc_u32_e32 v36, 0x100, v36
	v_add_co_ci_u32_e64 v23, null, 0, v23, s0
	s_or_b32 s3, vcc_lo, s3
	s_andn2_b32 exec_lo, exec_lo, s3
	s_cbranch_execz .LBB36_41
.LBB36_33:                              ; =>This Inner Loop Header: Depth=1
	global_load_dword v1, v[22:23], off
	v_add_nc_u32_e32 v37, -3, v35
	v_add_nc_u32_e32 v39, -2, v35
	;; [unrolled: 1-line block ×3, first 2 shown]
	s_waitcnt vmcnt(0)
	v_mad_i64_i32 v[1:2], null, v1, s4, 0
	v_lshlrev_b64 v[1:2], 2, v[1:2]
	v_add_co_u32 v17, vcc_lo, v33, v1
	v_add_co_ci_u32_e64 v18, null, v34, v2, vcc_lo
	ds_read_b128 v[1:4], v36
	v_cmp_eq_u32_e32 vcc_lo, s30, v21
	global_load_dwordx4 v[5:8], v[17:18], off
	s_and_saveexec_b32 s5, vcc_lo
	s_cbranch_execnz .LBB36_37
; %bb.34:                               ;   in Loop: Header=BB36_33 Depth=1
	s_or_b32 exec_lo, exec_lo, s5
	global_load_dwordx4 v[9:12], v[17:18], off offset:512
	s_and_saveexec_b32 s5, vcc_lo
	s_cbranch_execnz .LBB36_38
.LBB36_35:                              ;   in Loop: Header=BB36_33 Depth=1
	s_or_b32 exec_lo, exec_lo, s5
	global_load_dwordx4 v[13:16], v[17:18], off offset:1024
	s_and_saveexec_b32 s5, vcc_lo
	s_cbranch_execnz .LBB36_39
.LBB36_36:                              ;   in Loop: Header=BB36_33 Depth=1
	s_or_b32 exec_lo, exec_lo, s5
	global_load_dwordx4 v[17:20], v[17:18], off offset:1536
	s_and_saveexec_b32 s0, vcc_lo
	s_cbranch_execz .LBB36_32
	s_branch .LBB36_40
.LBB36_37:                              ;   in Loop: Header=BB36_33 Depth=1
	v_cmp_gt_i32_e64 s0, s23, v37
	s_waitcnt vmcnt(0)
	v_cndmask_b32_e64 v5, 0, v5, s0
	v_cmp_gt_i32_e64 s0, s23, v39
	v_cndmask_b32_e64 v6, 0, v6, s0
	v_cmp_gt_i32_e64 s0, s23, v38
	;; [unrolled: 2-line block ×3, first 2 shown]
	v_cndmask_b32_e64 v8, 0, v8, s0
	s_or_b32 exec_lo, exec_lo, s5
	global_load_dwordx4 v[9:12], v[17:18], off offset:512
	s_and_saveexec_b32 s5, vcc_lo
	s_cbranch_execz .LBB36_35
.LBB36_38:                              ;   in Loop: Header=BB36_33 Depth=1
	v_cmp_gt_i32_e64 s0, s23, v37
	s_waitcnt vmcnt(0)
	v_cndmask_b32_e64 v9, 0, v9, s0
	v_cmp_gt_i32_e64 s0, s23, v39
	v_cndmask_b32_e64 v10, 0, v10, s0
	v_cmp_gt_i32_e64 s0, s23, v38
	;; [unrolled: 2-line block ×3, first 2 shown]
	v_cndmask_b32_e64 v12, 0, v12, s0
	s_or_b32 exec_lo, exec_lo, s5
	global_load_dwordx4 v[13:16], v[17:18], off offset:1024
	s_and_saveexec_b32 s5, vcc_lo
	s_cbranch_execz .LBB36_36
.LBB36_39:                              ;   in Loop: Header=BB36_33 Depth=1
	v_cmp_gt_i32_e64 s0, s23, v37
	s_waitcnt vmcnt(0)
	v_cndmask_b32_e64 v13, 0, v13, s0
	v_cmp_gt_i32_e64 s0, s23, v39
	v_cndmask_b32_e64 v14, 0, v14, s0
	v_cmp_gt_i32_e64 s0, s23, v38
	v_cndmask_b32_e64 v15, 0, v15, s0
	v_cmp_gt_i32_e64 s0, s23, v35
	v_cndmask_b32_e64 v16, 0, v16, s0
	s_or_b32 exec_lo, exec_lo, s5
	global_load_dwordx4 v[17:20], v[17:18], off offset:1536
	s_and_saveexec_b32 s0, vcc_lo
	s_cbranch_execz .LBB36_32
.LBB36_40:                              ;   in Loop: Header=BB36_33 Depth=1
	v_cmp_gt_i32_e32 vcc_lo, s23, v37
	s_waitcnt vmcnt(0)
	v_cndmask_b32_e32 v17, 0, v17, vcc_lo
	v_cmp_gt_i32_e32 vcc_lo, s23, v39
	v_cndmask_b32_e32 v18, 0, v18, vcc_lo
	v_cmp_gt_i32_e32 vcc_lo, s23, v38
	;; [unrolled: 2-line block ×3, first 2 shown]
	v_cndmask_b32_e32 v20, 0, v20, vcc_lo
	s_branch .LBB36_32
.LBB36_41:
	s_or_b32 exec_lo, exec_lo, s3
.LBB36_42:
	s_or_b32 exec_lo, exec_lo, s1
	ds_bpermute_b32 v1, v26, v30
	ds_bpermute_b32 v2, v26, v32
	;; [unrolled: 1-line block ×4, first 2 shown]
	v_and_b32_e32 v6, 28, v25
	v_lshrrev_b32_e32 v5, 2, v25
	v_and_b32_e32 v11, 0x3c3, v0
	s_mov_b32 s0, exec_lo
	s_waitcnt lgkmcnt(0)
	s_waitcnt_vscnt null, 0x0
	v_add_nc_u32_e32 v6, 0xa0, v6
	s_barrier
	buffer_gl0_inv
	v_add_f32_e32 v1, v30, v1
	v_add_f32_e32 v2, v32, v2
	;; [unrolled: 1-line block ×4, first 2 shown]
	ds_bpermute_b32 v7, v27, v1
	ds_bpermute_b32 v8, v27, v2
	;; [unrolled: 1-line block ×4, first 2 shown]
	s_waitcnt lgkmcnt(3)
	v_add_f32_e32 v1, v1, v7
	s_waitcnt lgkmcnt(2)
	v_add_f32_e32 v2, v2, v8
	;; [unrolled: 2-line block ×4, first 2 shown]
	v_cmpx_eq_u32_e32 64, v11
	s_cbranch_execz .LBB36_44
; %bb.43:
	v_lshl_add_u32 v7, v24, 7, v6
	v_add_nc_u32_e32 v8, 0xffffff00, v7
	v_add_nc_u32_e32 v9, 0xffffff20, v7
	;; [unrolled: 1-line block ×4, first 2 shown]
	ds_write_b32 v8, v1
	ds_write_b32 v9, v2
	;; [unrolled: 1-line block ×4, first 2 shown]
.LBB36_44:
	s_or_b32 exec_lo, exec_lo, s0
	v_and_b32_e32 v7, 0x3e0, v0
	v_lshlrev_b32_e32 v5, 2, v5
	s_mov_b32 s1, exec_lo
	v_cmp_eq_u32_e32 vcc_lo, 0, v28
	s_waitcnt lgkmcnt(0)
	v_lshlrev_b32_e32 v7, 2, v7
	s_barrier
	buffer_gl0_inv
	v_add3_u32 v5, 0xa0, v7, v5
	v_cmpx_gt_u32_e32 64, v0
	s_cbranch_execz .LBB36_51
; %bb.45:
	s_and_saveexec_b32 s0, vcc_lo
	s_cbranch_execnz .LBB36_63
; %bb.46:
	s_or_b32 exec_lo, exec_lo, s0
	s_and_saveexec_b32 s0, vcc_lo
	s_cbranch_execnz .LBB36_64
.LBB36_47:
	s_or_b32 exec_lo, exec_lo, s0
	s_and_saveexec_b32 s0, vcc_lo
	s_cbranch_execnz .LBB36_65
.LBB36_48:
	s_or_b32 exec_lo, exec_lo, s0
	s_and_saveexec_b32 s0, vcc_lo
	s_cbranch_execz .LBB36_50
.LBB36_49:
	ds_read_b32 v7, v5 offset:96
	s_waitcnt lgkmcnt(0)
	v_add_f32_e32 v4, v4, v7
.LBB36_50:
	s_or_b32 exec_lo, exec_lo, s0
.LBB36_51:
	s_or_b32 exec_lo, exec_lo, s1
	v_and_b32_e32 v7, 0x3e3, v0
	s_mov_b32 s1, exec_lo
	s_barrier
	buffer_gl0_inv
	v_cmpx_eq_u32_e32 32, v7
	s_cbranch_execz .LBB36_53
; %bb.52:
	ds_write2_b32 v6, v1, v2 offset1:8
	ds_write2_b32 v6, v3, v4 offset0:16 offset1:24
.LBB36_53:
	s_or_b32 exec_lo, exec_lo, s1
	s_mov_b32 s1, exec_lo
	s_waitcnt lgkmcnt(0)
	s_barrier
	buffer_gl0_inv
	v_cmpx_gt_u32_e32 32, v0
	s_cbranch_execz .LBB36_60
; %bb.54:
	s_and_saveexec_b32 s0, vcc_lo
	s_cbranch_execnz .LBB36_66
; %bb.55:
	s_or_b32 exec_lo, exec_lo, s0
	s_and_saveexec_b32 s0, vcc_lo
	s_cbranch_execnz .LBB36_67
.LBB36_56:
	s_or_b32 exec_lo, exec_lo, s0
	s_and_saveexec_b32 s0, vcc_lo
	s_cbranch_execnz .LBB36_68
.LBB36_57:
	s_or_b32 exec_lo, exec_lo, s0
	s_and_saveexec_b32 s0, vcc_lo
	s_cbranch_execz .LBB36_59
.LBB36_58:
	ds_read_b32 v5, v5 offset:96
	s_waitcnt lgkmcnt(0)
	v_add_f32_e32 v4, v4, v5
.LBB36_59:
	s_or_b32 exec_lo, exec_lo, s0
.LBB36_60:
	s_or_b32 exec_lo, exec_lo, s1
	s_barrier
	buffer_gl0_inv
	s_mov_b32 s0, exec_lo
	v_cmpx_eq_u32_e32 0, v7
	s_cbranch_execz .LBB36_62
; %bb.61:
	s_lshl_b32 s0, s2, 5
	s_mul_i32 s2, s7, s10
	s_ashr_i32 s1, s0, 31
	s_lshl_b64 s[0:1], s[0:1], 2
	s_add_u32 s4, s20, s0
	s_addc_u32 s5, s21, s1
	s_ashr_i32 s3, s2, 31
	s_lshl_b64 s[0:1], s[2:3], 2
	s_add_u32 s2, s4, s0
	s_addc_u32 s3, s5, s1
	;; [unrolled: 4-line block ×3, first 2 shown]
	global_store_dword v0, v1, s[0:1]
	global_store_dword v0, v2, s[0:1] offset:32
	global_store_dword v0, v3, s[0:1] offset:64
	global_store_dword v0, v4, s[0:1] offset:96
.LBB36_62:
	s_endpgm
.LBB36_63:
	ds_read_b32 v7, v5
	s_waitcnt lgkmcnt(0)
	v_add_f32_e32 v1, v1, v7
	s_or_b32 exec_lo, exec_lo, s0
	s_and_saveexec_b32 s0, vcc_lo
	s_cbranch_execz .LBB36_47
.LBB36_64:
	ds_read_b32 v7, v5 offset:32
	s_waitcnt lgkmcnt(0)
	v_add_f32_e32 v2, v2, v7
	s_or_b32 exec_lo, exec_lo, s0
	s_and_saveexec_b32 s0, vcc_lo
	s_cbranch_execz .LBB36_48
.LBB36_65:
	ds_read_b32 v7, v5 offset:64
	s_waitcnt lgkmcnt(0)
	v_add_f32_e32 v3, v3, v7
	s_or_b32 exec_lo, exec_lo, s0
	s_and_saveexec_b32 s0, vcc_lo
	s_cbranch_execnz .LBB36_49
	s_branch .LBB36_50
.LBB36_66:
	ds_read_b32 v6, v5
	s_waitcnt lgkmcnt(0)
	v_add_f32_e32 v1, v1, v6
	s_or_b32 exec_lo, exec_lo, s0
	s_and_saveexec_b32 s0, vcc_lo
	s_cbranch_execz .LBB36_56
.LBB36_67:
	ds_read_b32 v6, v5 offset:32
	s_waitcnt lgkmcnt(0)
	v_add_f32_e32 v2, v2, v6
	s_or_b32 exec_lo, exec_lo, s0
	s_and_saveexec_b32 s0, vcc_lo
	s_cbranch_execz .LBB36_57
.LBB36_68:
	ds_read_b32 v6, v5 offset:64
	s_waitcnt lgkmcnt(0)
	v_add_f32_e32 v3, v3, v6
	s_or_b32 exec_lo, exec_lo, s0
	s_and_saveexec_b32 s0, vcc_lo
	s_cbranch_execnz .LBB36_58
	s_branch .LBB36_59
	.section	.rodata,"a",@progbits
	.p2align	6, 0x0
	.amdhsa_kernel _ZN4vllm25paged_attention_v2_kernelIffLi32ELi16ELi128ELNS_18Fp8KVCacheDataTypeE0ELb0ELi512EEEvPfS2_PT_PKS3_PKT0_S9_ifPKiSB_iPKfiiiSD_SD_iiiii
		.amdhsa_group_segment_fixed_size 160
		.amdhsa_private_segment_fixed_size 0
		.amdhsa_kernarg_size 400
		.amdhsa_user_sgpr_count 6
		.amdhsa_user_sgpr_private_segment_buffer 1
		.amdhsa_user_sgpr_dispatch_ptr 0
		.amdhsa_user_sgpr_queue_ptr 0
		.amdhsa_user_sgpr_kernarg_segment_ptr 1
		.amdhsa_user_sgpr_dispatch_id 0
		.amdhsa_user_sgpr_flat_scratch_init 0
		.amdhsa_user_sgpr_private_segment_size 0
		.amdhsa_wavefront_size32 1
		.amdhsa_uses_dynamic_stack 0
		.amdhsa_system_sgpr_private_segment_wavefront_offset 0
		.amdhsa_system_sgpr_workgroup_id_x 1
		.amdhsa_system_sgpr_workgroup_id_y 1
		.amdhsa_system_sgpr_workgroup_id_z 1
		.amdhsa_system_sgpr_workgroup_info 0
		.amdhsa_system_vgpr_workitem_id 0
		.amdhsa_next_free_vgpr 49
		.amdhsa_next_free_sgpr 36
		.amdhsa_reserve_vcc 1
		.amdhsa_reserve_flat_scratch 0
		.amdhsa_float_round_mode_32 0
		.amdhsa_float_round_mode_16_64 0
		.amdhsa_float_denorm_mode_32 3
		.amdhsa_float_denorm_mode_16_64 3
		.amdhsa_dx10_clamp 1
		.amdhsa_ieee_mode 1
		.amdhsa_fp16_overflow 0
		.amdhsa_workgroup_processor_mode 1
		.amdhsa_memory_ordered 1
		.amdhsa_forward_progress 1
		.amdhsa_shared_vgpr_count 0
		.amdhsa_exception_fp_ieee_invalid_op 0
		.amdhsa_exception_fp_denorm_src 0
		.amdhsa_exception_fp_ieee_div_zero 0
		.amdhsa_exception_fp_ieee_overflow 0
		.amdhsa_exception_fp_ieee_underflow 0
		.amdhsa_exception_fp_ieee_inexact 0
		.amdhsa_exception_int_div_zero 0
	.end_amdhsa_kernel
	.section	.text._ZN4vllm25paged_attention_v2_kernelIffLi32ELi16ELi128ELNS_18Fp8KVCacheDataTypeE0ELb0ELi512EEEvPfS2_PT_PKS3_PKT0_S9_ifPKiSB_iPKfiiiSD_SD_iiiii,"axG",@progbits,_ZN4vllm25paged_attention_v2_kernelIffLi32ELi16ELi128ELNS_18Fp8KVCacheDataTypeE0ELb0ELi512EEEvPfS2_PT_PKS3_PKT0_S9_ifPKiSB_iPKfiiiSD_SD_iiiii,comdat
.Lfunc_end36:
	.size	_ZN4vllm25paged_attention_v2_kernelIffLi32ELi16ELi128ELNS_18Fp8KVCacheDataTypeE0ELb0ELi512EEEvPfS2_PT_PKS3_PKT0_S9_ifPKiSB_iPKfiiiSD_SD_iiiii, .Lfunc_end36-_ZN4vllm25paged_attention_v2_kernelIffLi32ELi16ELi128ELNS_18Fp8KVCacheDataTypeE0ELb0ELi512EEEvPfS2_PT_PKS3_PKT0_S9_ifPKiSB_iPKfiiiSD_SD_iiiii
                                        ; -- End function
	.set _ZN4vllm25paged_attention_v2_kernelIffLi32ELi16ELi128ELNS_18Fp8KVCacheDataTypeE0ELb0ELi512EEEvPfS2_PT_PKS3_PKT0_S9_ifPKiSB_iPKfiiiSD_SD_iiiii.num_vgpr, 49
	.set _ZN4vllm25paged_attention_v2_kernelIffLi32ELi16ELi128ELNS_18Fp8KVCacheDataTypeE0ELb0ELi512EEEvPfS2_PT_PKS3_PKT0_S9_ifPKiSB_iPKfiiiSD_SD_iiiii.num_agpr, 0
	.set _ZN4vllm25paged_attention_v2_kernelIffLi32ELi16ELi128ELNS_18Fp8KVCacheDataTypeE0ELb0ELi512EEEvPfS2_PT_PKS3_PKT0_S9_ifPKiSB_iPKfiiiSD_SD_iiiii.numbered_sgpr, 36
	.set _ZN4vllm25paged_attention_v2_kernelIffLi32ELi16ELi128ELNS_18Fp8KVCacheDataTypeE0ELb0ELi512EEEvPfS2_PT_PKS3_PKT0_S9_ifPKiSB_iPKfiiiSD_SD_iiiii.num_named_barrier, 0
	.set _ZN4vllm25paged_attention_v2_kernelIffLi32ELi16ELi128ELNS_18Fp8KVCacheDataTypeE0ELb0ELi512EEEvPfS2_PT_PKS3_PKT0_S9_ifPKiSB_iPKfiiiSD_SD_iiiii.private_seg_size, 0
	.set _ZN4vllm25paged_attention_v2_kernelIffLi32ELi16ELi128ELNS_18Fp8KVCacheDataTypeE0ELb0ELi512EEEvPfS2_PT_PKS3_PKT0_S9_ifPKiSB_iPKfiiiSD_SD_iiiii.uses_vcc, 1
	.set _ZN4vllm25paged_attention_v2_kernelIffLi32ELi16ELi128ELNS_18Fp8KVCacheDataTypeE0ELb0ELi512EEEvPfS2_PT_PKS3_PKT0_S9_ifPKiSB_iPKfiiiSD_SD_iiiii.uses_flat_scratch, 0
	.set _ZN4vllm25paged_attention_v2_kernelIffLi32ELi16ELi128ELNS_18Fp8KVCacheDataTypeE0ELb0ELi512EEEvPfS2_PT_PKS3_PKT0_S9_ifPKiSB_iPKfiiiSD_SD_iiiii.has_dyn_sized_stack, 0
	.set _ZN4vllm25paged_attention_v2_kernelIffLi32ELi16ELi128ELNS_18Fp8KVCacheDataTypeE0ELb0ELi512EEEvPfS2_PT_PKS3_PKT0_S9_ifPKiSB_iPKfiiiSD_SD_iiiii.has_recursion, 0
	.set _ZN4vllm25paged_attention_v2_kernelIffLi32ELi16ELi128ELNS_18Fp8KVCacheDataTypeE0ELb0ELi512EEEvPfS2_PT_PKS3_PKT0_S9_ifPKiSB_iPKfiiiSD_SD_iiiii.has_indirect_call, 0
	.section	.AMDGPU.csdata,"",@progbits
; Kernel info:
; codeLenInByte = 3884
; TotalNumSgprs: 38
; NumVgprs: 49
; ScratchSize: 0
; MemoryBound: 0
; FloatMode: 240
; IeeeMode: 1
; LDSByteSize: 160 bytes/workgroup (compile time only)
; SGPRBlocks: 0
; VGPRBlocks: 6
; NumSGPRsForWavesPerEU: 38
; NumVGPRsForWavesPerEU: 49
; Occupancy: 16
; WaveLimiterHint : 1
; COMPUTE_PGM_RSRC2:SCRATCH_EN: 0
; COMPUTE_PGM_RSRC2:USER_SGPR: 6
; COMPUTE_PGM_RSRC2:TRAP_HANDLER: 0
; COMPUTE_PGM_RSRC2:TGID_X_EN: 1
; COMPUTE_PGM_RSRC2:TGID_Y_EN: 1
; COMPUTE_PGM_RSRC2:TGID_Z_EN: 1
; COMPUTE_PGM_RSRC2:TIDIG_COMP_CNT: 0
	.section	.text._ZN4vllm25paged_attention_v2_kernelIffLi64ELi16ELi128ELNS_18Fp8KVCacheDataTypeE0ELb0ELi512EEEvPfS2_PT_PKS3_PKT0_S9_ifPKiSB_iPKfiiiSD_SD_iiiii,"axG",@progbits,_ZN4vllm25paged_attention_v2_kernelIffLi64ELi16ELi128ELNS_18Fp8KVCacheDataTypeE0ELb0ELi512EEEvPfS2_PT_PKS3_PKT0_S9_ifPKiSB_iPKfiiiSD_SD_iiiii,comdat
	.protected	_ZN4vllm25paged_attention_v2_kernelIffLi64ELi16ELi128ELNS_18Fp8KVCacheDataTypeE0ELb0ELi512EEEvPfS2_PT_PKS3_PKT0_S9_ifPKiSB_iPKfiiiSD_SD_iiiii ; -- Begin function _ZN4vllm25paged_attention_v2_kernelIffLi64ELi16ELi128ELNS_18Fp8KVCacheDataTypeE0ELb0ELi512EEEvPfS2_PT_PKS3_PKT0_S9_ifPKiSB_iPKfiiiSD_SD_iiiii
	.globl	_ZN4vllm25paged_attention_v2_kernelIffLi64ELi16ELi128ELNS_18Fp8KVCacheDataTypeE0ELb0ELi512EEEvPfS2_PT_PKS3_PKT0_S9_ifPKiSB_iPKfiiiSD_SD_iiiii
	.p2align	8
	.type	_ZN4vllm25paged_attention_v2_kernelIffLi64ELi16ELi128ELNS_18Fp8KVCacheDataTypeE0ELb0ELi512EEEvPfS2_PT_PKS3_PKT0_S9_ifPKiSB_iPKfiiiSD_SD_iiiii,@function
_ZN4vllm25paged_attention_v2_kernelIffLi64ELi16ELi128ELNS_18Fp8KVCacheDataTypeE0ELb0ELi512EEEvPfS2_PT_PKS3_PKT0_S9_ifPKiSB_iPKfiiiSD_SD_iiiii: ; @_ZN4vllm25paged_attention_v2_kernelIffLi64ELi16ELi128ELNS_18Fp8KVCacheDataTypeE0ELb0ELi512EEEvPfS2_PT_PKS3_PKT0_S9_ifPKiSB_iPKfiiiSD_SD_iiiii
; %bb.0:
	s_load_dwordx2 s[0:1], s[4:5], 0x40
	s_mov_b32 s22, s7
	s_ashr_i32 s23, s7, 31
	s_lshl_b64 s[2:3], s[22:23], 2
	s_waitcnt lgkmcnt(0)
	s_add_u32 s0, s0, s2
	s_addc_u32 s1, s1, s3
	s_lshl_b32 s33, s8, 9
	s_load_dword s23, s[0:1], 0x0
	s_waitcnt lgkmcnt(0)
	s_cmp_ge_i32 s33, s23
	s_cbranch_scc1 .LBB37_78
; %bb.1:
	s_clause 0x1
	s_load_dword s9, s[4:5], 0x90
	s_load_dwordx2 s[30:31], s[4:5], 0x30
	s_mov_b32 s34, 0
	s_waitcnt lgkmcnt(0)
	s_abs_i32 s3, s9
	s_abs_i32 s0, s30
	v_cvt_f32_u32_e32 v1, s0
	s_sub_i32 s2, 0, s0
	v_rcp_iflag_f32_e32 v1, v1
	v_mul_f32_e32 v1, 0x4f7ffffe, v1
	v_cvt_u32_f32_e32 v1, v1
	v_readfirstlane_b32 s1, v1
	s_mul_i32 s2, s2, s1
	s_mul_hi_u32 s2, s1, s2
	s_add_i32 s1, s1, s2
	s_xor_b32 s2, s9, s30
	s_mul_hi_u32 s1, s3, s1
	s_ashr_i32 s2, s2, 31
	s_mul_i32 s7, s1, s0
	s_sub_i32 s3, s3, s7
	s_add_i32 s7, s1, 1
	s_sub_i32 s10, s3, s0
	s_cmp_ge_u32 s3, s0
	s_cselect_b32 s1, s7, s1
	s_cselect_b32 s3, s10, s3
	s_add_i32 s7, s1, 1
	s_cmp_ge_u32 s3, s0
	s_cselect_b32 s0, s7, s1
	s_abs_i32 s16, s6
	s_xor_b32 s0, s0, s2
	s_sub_i32 s10, s0, s2
	s_load_dwordx2 s[0:1], s[4:5], 0x50
	s_abs_i32 s2, s10
	v_cvt_f32_u32_e32 v1, s2
	s_sub_i32 s7, 0, s2
	v_rcp_iflag_f32_e32 v1, v1
	v_mul_f32_e32 v1, 0x4f7ffffe, v1
	v_cvt_u32_f32_e32 v1, v1
	v_readfirstlane_b32 s3, v1
	s_mul_i32 s7, s7, s3
	s_mul_hi_u32 s7, s3, s7
	s_add_i32 s3, s3, s7
	s_waitcnt lgkmcnt(0)
	s_cmp_eq_u64 s[0:1], 0
	s_mul_hi_u32 s3, s16, s3
	s_cbranch_scc1 .LBB37_3
; %bb.2:
	s_ashr_i32 s7, s6, 31
	s_lshl_b64 s[12:13], s[6:7], 2
	s_add_u32 s0, s0, s12
	s_addc_u32 s1, s1, s13
	s_load_dword s34, s[0:1], 0x0
.LBB37_3:
	s_load_dwordx4 s[12:15], s[4:5], 0x58
	v_and_b32_e32 v33, 1, v0
	v_cmp_gt_u32_e64 s0, 32, v0
	v_lshlrev_b32_e32 v1, 3, v0
	v_lshlrev_b32_e32 v35, 2, v0
	s_ashr_i32 s1, s6, 31
	s_ashr_i32 s7, s10, 31
	s_lshl_b32 s10, s6, 6
	s_waitcnt lgkmcnt(0)
	s_and_saveexec_b32 s15, s0
	s_cbranch_execz .LBB37_5
; %bb.4:
	s_load_dwordx2 s[18:19], s[4:5], 0x18
	s_mul_i32 s20, s12, s22
	v_and_b32_e32 v4, 0xff8, v35
	s_ashr_i32 s21, s20, 31
	s_lshl_b64 s[20:21], s[20:21], 2
	v_lshl_add_u32 v4, v33, 7, v4
	s_waitcnt lgkmcnt(0)
	s_add_u32 s12, s18, s20
	s_addc_u32 s17, s19, s21
	s_ashr_i32 s11, s10, 31
	s_lshl_b64 s[18:19], s[10:11], 2
	s_add_u32 s18, s12, s18
	s_addc_u32 s19, s17, s19
	global_load_dwordx2 v[2:3], v1, s[18:19]
	s_waitcnt vmcnt(0)
	ds_write_b64 v4, v[2:3]
.LBB37_5:
	s_or_b32 exec_lo, exec_lo, s15
	s_add_i32 s11, s23, 15
	s_lshl_b32 s30, s8, 5
	s_ashr_i32 s12, s11, 31
	s_xor_b32 s1, s1, s7
	s_lshr_b32 s12, s12, 28
	s_add_i32 s7, s30, 32
	s_add_i32 s11, s11, s12
	s_mul_i32 s15, s3, s2
	s_ashr_i32 s12, s11, 4
	s_sub_i32 s15, s16, s15
	s_min_i32 s11, s7, s12
	s_clause 0x1
	s_load_dwordx2 s[24:25], s[4:5], 0x38
	s_load_dword s7, s[4:5], 0x48
	s_add_i32 s16, s3, 1
	s_sub_i32 s17, s15, s2
	s_cmp_ge_u32 s15, s2
	v_lshrrev_b32_e32 v40, 5, v0
	s_cselect_b32 s3, s16, s3
	s_cselect_b32 s15, s17, s15
	s_add_i32 s16, s3, 1
	s_cmp_ge_u32 s15, s2
	v_or_b32_e32 v37, s30, v40
	s_cselect_b32 s2, s16, s3
	v_mbcnt_lo_u32_b32 v36, -1, 0
	s_xor_b32 s2, s2, s1
	s_mov_b32 s3, exec_lo
	s_sub_i32 s2, s2, s1
	v_cmp_gt_i32_e64 s1, s11, v37
	s_waitcnt lgkmcnt(0)
	s_barrier
	buffer_gl0_inv
                                        ; implicit-def: $vgpr39
                                        ; implicit-def: $vgpr43
	s_mul_i32 s26, s7, s22
	s_ashr_i32 s27, s26, 31
	v_cmpx_le_i32_e64 s11, v37
	s_xor_b32 s3, exec_lo, s3
; %bb.6:
	v_mov_b32_e32 v39, 0
	v_mbcnt_lo_u32_b32 v36, -1, 0
	v_mov_b32_e32 v43, 32
                                        ; implicit-def: $vgpr1
                                        ; implicit-def: $vgpr33
; %bb.7:
	s_or_saveexec_b32 s35, s3
	s_clause 0x3
	s_load_dwordx4 s[16:19], s[4:5], 0x0
	s_load_dwordx2 s[20:21], s[4:5], 0x10
	s_load_dwordx2 s[28:29], s[4:5], 0x28
	s_load_dword s7, s[4:5], 0x98
	v_mov_b32_e32 v41, 0xff7fffff
	v_ashrrev_i32_e32 v38, 31, v37
	s_mul_i32 s14, s2, s14
	s_xor_b32 exec_lo, exec_lo, s35
	s_cbranch_execz .LBB37_13
; %bb.8:
	s_load_dwordx2 s[2:3], s[4:5], 0x20
	v_bfe_u32 v34, v0, 1, 4
	s_ashr_i32 s15, s14, 31
	v_xor_b32_e32 v26, 1, v36
	s_lshl_b64 s[4:5], s[14:15], 2
	v_lshlrev_b32_e32 v29, 7, v33
	v_lshlrev_b32_e32 v27, 4, v34
	v_and_b32_e32 v25, 8, v1
	v_cmp_gt_i32_e32 vcc_lo, 32, v26
	ds_read_b128 v[1:4], v29
	ds_read_b128 v[5:8], v29 offset:16
	ds_read_b128 v[9:12], v29 offset:32
	;; [unrolled: 1-line block ×5, first 2 shown]
	v_lshlrev_b32_e32 v46, 4, v40
	v_lshlrev_b32_e32 v41, 2, v34
	v_cndmask_b32_e32 v45, v36, v26, vcc_lo
	v_mov_b32_e32 v39, 0
	v_mov_b32_e32 v43, 32
	v_add3_u32 v46, s33, v46, v34
	v_lshl_or_b32 v41, v40, 6, v41
	v_lshlrev_b32_e32 v45, 2, v45
	v_mov_b32_e32 v48, v37
	s_waitcnt lgkmcnt(0)
	s_add_u32 s2, s2, s4
	s_addc_u32 s3, s3, s5
	v_add_co_u32 v27, s2, s2, v27
	v_add_co_ci_u32_e64 v28, null, s3, 0, s2
	s_lshl_b64 s[36:37], s[26:27], 2
	v_add_co_u32 v42, vcc_lo, v27, v25
	v_add_co_ci_u32_e64 v44, null, 0, v28, vcc_lo
	ds_read_b128 v[25:28], v29 offset:96
	ds_read_b128 v[29:32], v29 offset:112
	v_cmp_eq_u32_e32 vcc_lo, 0, v33
	v_lshlrev_b64 v[33:34], 2, v[37:38]
	s_sub_i32 s5, 1, s23
	s_add_u32 s3, s24, s36
	s_addc_u32 s4, s25, s37
	v_cmp_neq_f32_e64 s2, s34, 0
	v_add_nc_u32_e32 v47, 0x120, v41
	v_add_co_u32 v33, s3, s3, v33
	v_add_co_ci_u32_e64 v34, null, s4, v34, s3
	v_mov_b32_e32 v41, 0xff7fffff
	s_mov_b32 s36, s13
	s_mov_b32 s15, 0
	s_branch .LBB37_10
.LBB37_9:                               ;   in Loop: Header=BB37_10 Depth=1
	s_or_b32 exec_lo, exec_lo, s4
	v_add_nc_u32_e32 v48, 4, v48
	v_add_co_u32 v33, s4, v33, 16
	v_add_nc_u32_e32 v46, 64, v46
	v_add_nc_u32_e32 v47, 0x100, v47
	v_cmp_le_i32_e64 s3, s11, v48
	v_add_co_ci_u32_e64 v34, null, 0, v34, s4
	s_or_b32 s15, s3, s15
	s_andn2_b32 exec_lo, exec_lo, s15
	s_cbranch_execz .LBB37_12
.LBB37_10:                              ; =>This Inner Loop Header: Depth=1
	global_load_dword v49, v[33:34], off
	s_waitcnt vmcnt(0) lgkmcnt(0)
	v_mad_i64_i32 v[49:50], null, v49, s36, 0
	v_lshlrev_b64 v[49:50], 2, v[49:50]
	v_add_co_u32 v49, s3, v42, v49
	v_add_co_ci_u32_e64 v50, null, v44, v50, s3
	s_clause 0x6
	global_load_dwordx2 v[51:52], v[49:50], off offset:256
	global_load_dwordx2 v[53:54], v[49:50], off offset:512
	;; [unrolled: 1-line block ×3, first 2 shown]
	global_load_dwordx2 v[57:58], v[49:50], off
	global_load_dwordx2 v[59:60], v[49:50], off offset:1024
	global_load_dwordx2 v[61:62], v[49:50], off offset:1280
	;; [unrolled: 1-line block ×3, first 2 shown]
	v_add_co_u32 v65, s3, 0x800, v49
	v_add_co_ci_u32_e64 v66, null, 0, v50, s3
	s_clause 0x8
	global_load_dwordx2 v[49:50], v[49:50], off offset:1792
	global_load_dwordx2 v[67:68], v[65:66], off
	global_load_dwordx2 v[69:70], v[65:66], off offset:256
	global_load_dwordx2 v[71:72], v[65:66], off offset:512
	;; [unrolled: 1-line block ×7, first 2 shown]
	s_waitcnt vmcnt(15)
	v_mul_f32_e32 v51, v3, v51
	v_mul_f32_e32 v52, v4, v52
	s_waitcnt vmcnt(12)
	v_fmac_f32_e32 v51, v1, v57
	v_fmac_f32_e32 v52, v2, v58
	;; [unrolled: 1-line block ×6, first 2 shown]
	s_waitcnt vmcnt(11)
	v_fmac_f32_e32 v51, v9, v59
	v_fmac_f32_e32 v52, v10, v60
	s_waitcnt vmcnt(10)
	v_fmac_f32_e32 v51, v11, v61
	v_fmac_f32_e32 v52, v12, v62
	;; [unrolled: 3-line block ×8, first 2 shown]
	s_waitcnt vmcnt(3) lgkmcnt(1)
	v_fmac_f32_e32 v51, v25, v75
	v_fmac_f32_e32 v52, v26, v76
	s_waitcnt vmcnt(2)
	v_fmac_f32_e32 v51, v27, v77
	v_fmac_f32_e32 v52, v28, v78
	s_waitcnt vmcnt(1) lgkmcnt(0)
	v_fmac_f32_e32 v51, v29, v79
	v_fmac_f32_e32 v52, v30, v80
	s_waitcnt vmcnt(0)
	v_fmac_f32_e32 v51, v31, v65
	v_fmac_f32_e32 v52, v32, v66
	v_add_f32_e32 v49, v51, v52
	ds_bpermute_b32 v50, v45, v49
	s_and_saveexec_b32 s4, vcc_lo
	s_cbranch_execz .LBB37_9
; %bb.11:                               ;   in Loop: Header=BB37_10 Depth=1
	v_add_nc_u32_e32 v51, s5, v46
	s_waitcnt lgkmcnt(0)
	v_add_f32_e32 v49, v49, v50
	v_cmp_gt_i32_e64 s3, s23, v46
	v_cvt_f32_i32_e32 v51, v51
	v_mul_f32_e32 v51, s34, v51
	v_cndmask_b32_e64 v50, 0, v51, s2
	v_max_f32_e32 v51, v41, v41
	v_fmac_f32_e32 v50, s31, v49
	v_max_f32_e32 v49, v51, v50
	v_cndmask_b32_e64 v50, 0, v50, s3
	v_cndmask_b32_e64 v41, v41, v49, s3
	ds_write_b32 v47, v50
	s_branch .LBB37_9
.LBB37_12:
	s_or_b32 exec_lo, exec_lo, s15
.LBB37_13:
	s_or_b32 exec_lo, exec_lo, s35
	v_xor_b32_e32 v1, 16, v36
	v_xor_b32_e32 v3, 8, v36
	v_max_f32_e32 v5, v41, v41
	v_xor_b32_e32 v6, 2, v36
	v_cmp_lt_i32_e32 vcc_lo, v1, v43
	v_cndmask_b32_e32 v1, v36, v1, vcc_lo
	v_cmp_lt_i32_e32 vcc_lo, v3, v43
	v_lshlrev_b32_e32 v2, 2, v1
	v_cndmask_b32_e32 v3, v36, v3, vcc_lo
	ds_bpermute_b32 v1, v2, v41
	v_lshlrev_b32_e32 v4, 2, v3
	v_and_b32_e32 v41, 31, v0
	s_waitcnt lgkmcnt(0)
	v_max_f32_e32 v1, v1, v1
	v_max_f32_e32 v1, v5, v1
	v_xor_b32_e32 v5, 4, v36
	ds_bpermute_b32 v3, v4, v1
	v_cmp_lt_i32_e32 vcc_lo, v5, v43
	v_cndmask_b32_e32 v5, v36, v5, vcc_lo
	v_cmp_lt_i32_e32 vcc_lo, v6, v43
	v_lshlrev_b32_e32 v5, 2, v5
	v_cndmask_b32_e32 v6, v36, v6, vcc_lo
	v_cmp_eq_u32_e32 vcc_lo, 0, v41
	v_lshlrev_b32_e32 v42, 2, v6
	v_lshlrev_b32_e32 v6, 2, v40
	s_waitcnt lgkmcnt(0)
	v_max_f32_e32 v3, v3, v3
	v_max_f32_e32 v1, v1, v3
	ds_bpermute_b32 v3, v5, v1
	s_waitcnt lgkmcnt(0)
	v_max_f32_e32 v3, v3, v3
	v_max_f32_e32 v1, v1, v3
	ds_bpermute_b32 v3, v42, v1
	s_and_saveexec_b32 s2, vcc_lo
	s_cbranch_execz .LBB37_15
; %bb.14:
	s_waitcnt lgkmcnt(0)
	v_max_f32_e32 v3, v3, v3
	v_max_f32_e32 v1, v1, v1
	;; [unrolled: 1-line block ×3, first 2 shown]
	ds_write_b32 v6, v1 offset:256
.LBB37_15:
	s_or_b32 exec_lo, exec_lo, s2
	v_cmp_gt_u32_e64 s2, 4, v41
	v_mov_b32_e32 v1, 0xff7fffff
	v_lshlrev_b32_e32 v7, 2, v41
	s_waitcnt lgkmcnt(0)
	s_barrier
	buffer_gl0_inv
	s_and_saveexec_b32 s3, s2
; %bb.16:
	ds_read_b32 v1, v7 offset:256
; %bb.17:
	s_or_b32 exec_lo, exec_lo, s3
	s_waitcnt lgkmcnt(0)
	ds_bpermute_b32 v3, v42, v1
	v_xor_b32_e32 v8, 1, v36
	v_max_f32_e32 v1, v1, v1
	v_cmp_lt_i32_e64 s3, v8, v43
	v_cndmask_b32_e64 v8, v36, v8, s3
	s_sub_i32 s3, s11, s30
	s_lshl_b32 s3, s3, 4
	v_lshlrev_b32_e32 v43, 2, v8
	s_add_i32 s3, s3, s33
	v_mov_b32_e32 v8, 0
	s_min_i32 s3, s3, s23
	s_waitcnt lgkmcnt(0)
	v_max_f32_e32 v3, v3, v3
	s_sub_i32 s5, s3, s33
	v_cmp_gt_i32_e64 s3, s5, v0
	v_max_f32_e32 v1, v1, v3
	ds_bpermute_b32 v3, v43, v1
	s_waitcnt lgkmcnt(0)
	v_max_f32_e32 v3, v3, v3
	v_max_f32_e32 v1, v1, v3
	v_lshlrev_b32_e32 v3, 2, v39
	ds_bpermute_b32 v1, v3, v1
	v_lshl_add_u32 v3, v0, 2, 0x120
	s_and_saveexec_b32 s15, s3
	s_cbranch_execz .LBB37_21
; %bb.18:
	v_lshl_add_u32 v9, v0, 2, 0x120
	v_mov_b32_e32 v8, 0
	v_mov_b32_e32 v10, v0
	s_mov_b32 s30, 0
	.p2align	6
.LBB37_19:                              ; =>This Inner Loop Header: Depth=1
	ds_read_b32 v11, v9
	v_add_nc_u32_e32 v10, 0x80, v10
	v_cmp_le_i32_e64 s4, s5, v10
	s_or_b32 s30, s4, s30
	s_waitcnt lgkmcnt(0)
	v_sub_f32_e32 v11, v11, v1
	v_mul_f32_e32 v11, 0x3fb8aa3b, v11
	v_exp_f32_e32 v11, v11
	ds_write_b32 v9, v11
	v_add_f32_e32 v8, v8, v11
	v_add_nc_u32_e32 v9, 0x200, v9
	s_andn2_b32 exec_lo, exec_lo, s30
	s_cbranch_execnz .LBB37_19
; %bb.20:
	s_or_b32 exec_lo, exec_lo, s30
.LBB37_21:
	s_or_b32 exec_lo, exec_lo, s15
	ds_bpermute_b32 v2, v2, v8
	s_waitcnt lgkmcnt(0)
	v_add_f32_e32 v2, v8, v2
	ds_bpermute_b32 v4, v4, v2
	s_waitcnt lgkmcnt(0)
	v_add_f32_e32 v2, v2, v4
	;; [unrolled: 3-line block ×5, first 2 shown]
	s_and_saveexec_b32 s4, vcc_lo
; %bb.22:
	ds_write_b32 v6, v2 offset:272
; %bb.23:
	s_or_b32 exec_lo, exec_lo, s4
	s_waitcnt lgkmcnt(0)
	s_barrier
	buffer_gl0_inv
	s_and_saveexec_b32 s4, s2
; %bb.24:
	ds_read_b32 v2, v7 offset:272
; %bb.25:
	s_or_b32 exec_lo, exec_lo, s4
	s_waitcnt lgkmcnt(0)
	ds_bpermute_b32 v4, v42, v2
	v_lshlrev_b32_e32 v5, 2, v36
	s_waitcnt lgkmcnt(0)
	v_add_f32_e32 v2, v2, v4
	ds_bpermute_b32 v4, v43, v2
	s_waitcnt lgkmcnt(0)
	v_add_f32_e32 v2, v2, v4
	v_and_b32_e32 v4, 0xffffff80, v5
	ds_bpermute_b32 v2, v4, v2
	s_and_saveexec_b32 s2, s3
	s_cbranch_execz .LBB37_28
; %bb.26:
	s_waitcnt lgkmcnt(0)
	v_add_f32_e32 v4, 0x358637bd, v2
	s_mov_b32 s3, 0
	v_div_scale_f32 v5, null, v4, v4, 1.0
	v_div_scale_f32 v8, vcc_lo, 1.0, v4, 1.0
	v_rcp_f32_e32 v6, v5
	v_fma_f32 v7, -v5, v6, 1.0
	v_fmac_f32_e32 v6, v7, v6
	v_mul_f32_e32 v7, v8, v6
	v_fma_f32 v9, -v5, v7, v8
	v_fmac_f32_e32 v7, v9, v6
	v_fma_f32 v5, -v5, v7, v8
	v_div_fmas_f32 v5, v5, v6, v7
	v_div_fixup_f32 v4, v5, v4, 1.0
	v_mov_b32_e32 v5, v0
.LBB37_27:                              ; =>This Inner Loop Header: Depth=1
	ds_read_b32 v6, v3
	v_add_nc_u32_e32 v5, 0x80, v5
	v_cmp_le_i32_e32 vcc_lo, s5, v5
	s_or_b32 s3, vcc_lo, s3
	s_waitcnt lgkmcnt(0)
	v_mul_f32_e32 v6, v4, v6
	ds_write_b32 v3, v6
	v_add_nc_u32_e32 v3, 0x200, v3
	s_andn2_b32 exec_lo, exec_lo, s3
	s_cbranch_execnz .LBB37_27
.LBB37_28:
	s_or_b32 exec_lo, exec_lo, s2
	s_mul_i32 s2, s7, s22
	s_mov_b32 s4, exec_lo
	s_mul_i32 s2, s2, s9
	s_waitcnt lgkmcnt(0)
	s_barrier
	buffer_gl0_inv
	v_cmpx_eq_u32_e32 0, v0
	s_cbranch_execz .LBB37_30
; %bb.29:
	s_ashr_i32 s3, s2, 31
	s_mul_i32 s34, s7, s6
	s_lshl_b64 s[30:31], s[2:3], 2
	v_mov_b32_e32 v3, 0
	s_add_u32 s3, s18, s30
	s_addc_u32 s5, s19, s31
	s_ashr_i32 s35, s34, 31
	s_lshl_b64 s[18:19], s[34:35], 2
	s_add_u32 s3, s3, s18
	s_addc_u32 s5, s5, s19
	s_ashr_i32 s9, s8, 31
	s_lshl_b64 s[34:35], s[8:9], 2
	s_add_u32 s36, s3, s34
	s_addc_u32 s37, s5, s35
	s_add_u32 s3, s16, s30
	s_addc_u32 s5, s17, s31
	;; [unrolled: 2-line block ×4, first 2 shown]
	global_store_dword v3, v1, s[36:37]
	global_store_dword v3, v2, s[16:17]
.LBB37_30:
	s_or_b32 exec_lo, exec_lo, s4
	v_mov_b32_e32 v50, 0
	v_and_b32_e32 v44, 3, v0
	v_mov_b32_e32 v52, 0
	v_mov_b32_e32 v51, 0
	;; [unrolled: 1-line block ×7, first 2 shown]
	s_and_saveexec_b32 s3, s1
	s_cbranch_execz .LBB37_50
; %bb.31:
	v_lshlrev_b32_e32 v2, 4, v0
	s_ashr_i32 s15, s14, 31
	v_and_b32_e32 v1, 12, v35
	v_lshl_add_u32 v4, v40, 4, s33
	s_lshl_b64 s[4:5], s[14:15], 2
	v_and_b32_e32 v2, 0x1f0, v2
	s_add_u32 s1, s28, s4
	v_lshlrev_b32_e32 v3, 4, v44
	s_addc_u32 s4, s29, s5
	v_add3_u32 v55, v4, v1, 3
	v_add_co_u32 v53, s1, s1, v2
	v_lshlrev_b64 v[1:2], 2, v[37:38]
	v_add_co_ci_u32_e64 v54, null, s4, 0, s1
	s_lshl_b64 s[4:5], s[26:27], 2
	s_add_i32 s12, s12, -1
	v_lshl_or_b32 v3, v40, 6, v3
	s_add_u32 s1, s24, s4
	s_addc_u32 s4, s25, s5
	v_add_co_u32 v38, vcc_lo, s1, v1
	v_mov_b32_e32 v45, 0
	v_add_nc_u32_e32 v56, 0x120, v3
	v_add_co_ci_u32_e64 v39, null, s4, v2, vcc_lo
	v_mov_b32_e32 v46, 0
	v_mov_b32_e32 v47, 0
	;; [unrolled: 1-line block ×7, first 2 shown]
	s_mov_b32 s5, s13
	s_mov_b32 s4, 0
	s_branch .LBB37_33
.LBB37_32:                              ;   in Loop: Header=BB37_33 Depth=1
	s_or_b32 exec_lo, exec_lo, s1
	s_waitcnt vmcnt(1) lgkmcnt(0)
	v_mul_f32_e32 v29, v1, v29
	v_mul_f32_e32 v25, v1, v25
	;; [unrolled: 1-line block ×7, first 2 shown]
	s_waitcnt vmcnt(0)
	v_mul_f32_e32 v1, v1, v33
	v_fmac_f32_e32 v29, v2, v30
	v_fmac_f32_e32 v25, v2, v26
	;; [unrolled: 1-line block ×16, first 2 shown]
	v_add_nc_u32_e32 v37, 4, v37
	v_fmac_f32_e32 v29, v4, v32
	v_fmac_f32_e32 v25, v4, v28
	;; [unrolled: 1-line block ×8, first 2 shown]
	v_cmp_le_i32_e32 vcc_lo, s11, v37
	v_add_co_u32 v38, s1, v38, 16
	v_add_f32_e32 v46, v46, v29
	v_add_f32_e32 v47, v47, v25
	;; [unrolled: 1-line block ×8, first 2 shown]
	v_add_nc_u32_e32 v55, 64, v55
	v_add_nc_u32_e32 v56, 0x100, v56
	v_add_co_ci_u32_e64 v39, null, 0, v39, s1
	s_or_b32 s4, vcc_lo, s4
	s_andn2_b32 exec_lo, exec_lo, s4
	s_cbranch_execz .LBB37_49
.LBB37_33:                              ; =>This Inner Loop Header: Depth=1
	global_load_dword v1, v[38:39], off
	v_add_nc_u32_e32 v57, -3, v55
	v_add_nc_u32_e32 v59, -2, v55
	;; [unrolled: 1-line block ×3, first 2 shown]
	s_waitcnt vmcnt(0)
	v_mad_i64_i32 v[1:2], null, v1, s5, 0
	v_lshlrev_b64 v[1:2], 2, v[1:2]
	v_add_co_u32 v21, vcc_lo, v53, v1
	v_add_co_ci_u32_e64 v22, null, v54, v2, vcc_lo
	ds_read_b128 v[1:4], v56
	v_cmp_eq_u32_e32 vcc_lo, s12, v37
	global_load_dwordx4 v[5:8], v[21:22], off
	s_and_saveexec_b32 s6, vcc_lo
	s_cbranch_execnz .LBB37_42
; %bb.34:                               ;   in Loop: Header=BB37_33 Depth=1
	s_or_b32 exec_lo, exec_lo, s6
	global_load_dwordx4 v[9:12], v[21:22], off offset:512
	s_and_saveexec_b32 s6, vcc_lo
	s_cbranch_execnz .LBB37_43
.LBB37_35:                              ;   in Loop: Header=BB37_33 Depth=1
	s_or_b32 exec_lo, exec_lo, s6
	global_load_dwordx4 v[13:16], v[21:22], off offset:1024
	s_and_saveexec_b32 s6, vcc_lo
	s_cbranch_execnz .LBB37_44
.LBB37_36:                              ;   in Loop: Header=BB37_33 Depth=1
	s_or_b32 exec_lo, exec_lo, s6
	global_load_dwordx4 v[17:20], v[21:22], off offset:1536
	s_and_saveexec_b32 s6, vcc_lo
	s_cbranch_execz .LBB37_38
.LBB37_37:                              ;   in Loop: Header=BB37_33 Depth=1
	v_cmp_gt_i32_e64 s1, s23, v57
	s_waitcnt vmcnt(0)
	v_cndmask_b32_e64 v17, 0, v17, s1
	v_cmp_gt_i32_e64 s1, s23, v59
	v_cndmask_b32_e64 v18, 0, v18, s1
	v_cmp_gt_i32_e64 s1, s23, v58
	;; [unrolled: 2-line block ×3, first 2 shown]
	v_cndmask_b32_e64 v20, 0, v20, s1
.LBB37_38:                              ;   in Loop: Header=BB37_33 Depth=1
	s_or_b32 exec_lo, exec_lo, s6
	v_add_co_u32 v33, s1, 0x800, v21
	v_add_co_ci_u32_e64 v34, null, 0, v22, s1
	global_load_dwordx4 v[21:24], v[33:34], off
	s_and_saveexec_b32 s6, vcc_lo
	s_cbranch_execnz .LBB37_45
; %bb.39:                               ;   in Loop: Header=BB37_33 Depth=1
	s_or_b32 exec_lo, exec_lo, s6
	global_load_dwordx4 v[25:28], v[33:34], off offset:512
	s_and_saveexec_b32 s6, vcc_lo
	s_cbranch_execnz .LBB37_46
.LBB37_40:                              ;   in Loop: Header=BB37_33 Depth=1
	s_or_b32 exec_lo, exec_lo, s6
	global_load_dwordx4 v[29:32], v[33:34], off offset:1024
	s_and_saveexec_b32 s6, vcc_lo
	s_cbranch_execnz .LBB37_47
.LBB37_41:                              ;   in Loop: Header=BB37_33 Depth=1
	s_or_b32 exec_lo, exec_lo, s6
	global_load_dwordx4 v[33:36], v[33:34], off offset:1536
	s_and_saveexec_b32 s1, vcc_lo
	s_cbranch_execz .LBB37_32
	s_branch .LBB37_48
.LBB37_42:                              ;   in Loop: Header=BB37_33 Depth=1
	v_cmp_gt_i32_e64 s1, s23, v57
	s_waitcnt vmcnt(0)
	v_cndmask_b32_e64 v5, 0, v5, s1
	v_cmp_gt_i32_e64 s1, s23, v59
	v_cndmask_b32_e64 v6, 0, v6, s1
	v_cmp_gt_i32_e64 s1, s23, v58
	;; [unrolled: 2-line block ×3, first 2 shown]
	v_cndmask_b32_e64 v8, 0, v8, s1
	s_or_b32 exec_lo, exec_lo, s6
	global_load_dwordx4 v[9:12], v[21:22], off offset:512
	s_and_saveexec_b32 s6, vcc_lo
	s_cbranch_execz .LBB37_35
.LBB37_43:                              ;   in Loop: Header=BB37_33 Depth=1
	v_cmp_gt_i32_e64 s1, s23, v57
	s_waitcnt vmcnt(0)
	v_cndmask_b32_e64 v9, 0, v9, s1
	v_cmp_gt_i32_e64 s1, s23, v59
	v_cndmask_b32_e64 v10, 0, v10, s1
	v_cmp_gt_i32_e64 s1, s23, v58
	v_cndmask_b32_e64 v11, 0, v11, s1
	v_cmp_gt_i32_e64 s1, s23, v55
	v_cndmask_b32_e64 v12, 0, v12, s1
	s_or_b32 exec_lo, exec_lo, s6
	global_load_dwordx4 v[13:16], v[21:22], off offset:1024
	s_and_saveexec_b32 s6, vcc_lo
	s_cbranch_execz .LBB37_36
.LBB37_44:                              ;   in Loop: Header=BB37_33 Depth=1
	v_cmp_gt_i32_e64 s1, s23, v57
	s_waitcnt vmcnt(0)
	v_cndmask_b32_e64 v13, 0, v13, s1
	v_cmp_gt_i32_e64 s1, s23, v59
	v_cndmask_b32_e64 v14, 0, v14, s1
	v_cmp_gt_i32_e64 s1, s23, v58
	;; [unrolled: 2-line block ×3, first 2 shown]
	v_cndmask_b32_e64 v16, 0, v16, s1
	s_or_b32 exec_lo, exec_lo, s6
	global_load_dwordx4 v[17:20], v[21:22], off offset:1536
	s_and_saveexec_b32 s6, vcc_lo
	s_cbranch_execnz .LBB37_37
	s_branch .LBB37_38
.LBB37_45:                              ;   in Loop: Header=BB37_33 Depth=1
	v_cmp_gt_i32_e64 s1, s23, v57
	s_waitcnt vmcnt(0)
	v_cndmask_b32_e64 v21, 0, v21, s1
	v_cmp_gt_i32_e64 s1, s23, v59
	v_cndmask_b32_e64 v22, 0, v22, s1
	v_cmp_gt_i32_e64 s1, s23, v58
	;; [unrolled: 2-line block ×3, first 2 shown]
	v_cndmask_b32_e64 v24, 0, v24, s1
	s_or_b32 exec_lo, exec_lo, s6
	global_load_dwordx4 v[25:28], v[33:34], off offset:512
	s_and_saveexec_b32 s6, vcc_lo
	s_cbranch_execz .LBB37_40
.LBB37_46:                              ;   in Loop: Header=BB37_33 Depth=1
	v_cmp_gt_i32_e64 s1, s23, v57
	s_waitcnt vmcnt(0)
	v_cndmask_b32_e64 v25, 0, v25, s1
	v_cmp_gt_i32_e64 s1, s23, v59
	v_cndmask_b32_e64 v26, 0, v26, s1
	v_cmp_gt_i32_e64 s1, s23, v58
	;; [unrolled: 2-line block ×3, first 2 shown]
	v_cndmask_b32_e64 v28, 0, v28, s1
	s_or_b32 exec_lo, exec_lo, s6
	global_load_dwordx4 v[29:32], v[33:34], off offset:1024
	s_and_saveexec_b32 s6, vcc_lo
	s_cbranch_execz .LBB37_41
.LBB37_47:                              ;   in Loop: Header=BB37_33 Depth=1
	v_cmp_gt_i32_e64 s1, s23, v57
	s_waitcnt vmcnt(0)
	v_cndmask_b32_e64 v29, 0, v29, s1
	v_cmp_gt_i32_e64 s1, s23, v59
	v_cndmask_b32_e64 v30, 0, v30, s1
	v_cmp_gt_i32_e64 s1, s23, v58
	;; [unrolled: 2-line block ×3, first 2 shown]
	v_cndmask_b32_e64 v32, 0, v32, s1
	s_or_b32 exec_lo, exec_lo, s6
	global_load_dwordx4 v[33:36], v[33:34], off offset:1536
	s_and_saveexec_b32 s1, vcc_lo
	s_cbranch_execz .LBB37_32
.LBB37_48:                              ;   in Loop: Header=BB37_33 Depth=1
	v_cmp_gt_i32_e32 vcc_lo, s23, v57
	s_waitcnt vmcnt(0)
	v_cndmask_b32_e32 v33, 0, v33, vcc_lo
	v_cmp_gt_i32_e32 vcc_lo, s23, v59
	v_cndmask_b32_e32 v34, 0, v34, vcc_lo
	v_cmp_gt_i32_e32 vcc_lo, s23, v58
	;; [unrolled: 2-line block ×3, first 2 shown]
	v_cndmask_b32_e32 v36, 0, v36, vcc_lo
	s_branch .LBB37_32
.LBB37_49:
	s_or_b32 exec_lo, exec_lo, s4
.LBB37_50:
	s_or_b32 exec_lo, exec_lo, s3
	ds_bpermute_b32 v1, v42, v50
	ds_bpermute_b32 v2, v42, v52
	ds_bpermute_b32 v3, v42, v51
	ds_bpermute_b32 v4, v42, v49
	ds_bpermute_b32 v5, v42, v48
	ds_bpermute_b32 v6, v42, v47
	ds_bpermute_b32 v7, v42, v46
	ds_bpermute_b32 v8, v42, v45
	v_and_b32_e32 v10, 28, v41
	v_lshrrev_b32_e32 v9, 2, v41
	v_lshlrev_b32_e32 v11, 8, v40
	v_and_b32_e32 v20, 0x3c3, v0
	s_mov_b32 s1, exec_lo
	v_add_nc_u32_e32 v10, 0x120, v10
	s_waitcnt lgkmcnt(0)
	s_waitcnt_vscnt null, 0x0
	s_barrier
	buffer_gl0_inv
	v_add_f32_e32 v1, v50, v1
	v_add_f32_e32 v2, v52, v2
	;; [unrolled: 1-line block ×8, first 2 shown]
	ds_bpermute_b32 v12, v43, v1
	ds_bpermute_b32 v13, v43, v2
	;; [unrolled: 1-line block ×8, first 2 shown]
	s_waitcnt lgkmcnt(7)
	v_add_f32_e32 v1, v1, v12
	s_waitcnt lgkmcnt(6)
	v_add_f32_e32 v2, v2, v13
	;; [unrolled: 2-line block ×8, first 2 shown]
	v_cmpx_eq_u32_e32 64, v20
	s_cbranch_execz .LBB37_52
; %bb.51:
	v_add_nc_u32_e32 v12, v10, v11
	v_add_nc_u32_e32 v13, 0xfffffe00, v12
	;; [unrolled: 1-line block ×9, first 2 shown]
	ds_write_b32 v13, v1
	ds_write_b32 v14, v2
	;; [unrolled: 1-line block ×8, first 2 shown]
.LBB37_52:
	s_or_b32 exec_lo, exec_lo, s1
	v_lshlrev_b32_e32 v9, 2, v9
	s_mov_b32 s3, exec_lo
	v_cmp_eq_u32_e32 vcc_lo, 0, v44
	s_waitcnt lgkmcnt(0)
	s_barrier
	v_add3_u32 v9, 0x120, v11, v9
	buffer_gl0_inv
	v_cmpx_gt_u32_e32 64, v0
	s_cbranch_execz .LBB37_63
; %bb.53:
	s_and_saveexec_b32 s1, vcc_lo
	s_cbranch_execnz .LBB37_79
; %bb.54:
	s_or_b32 exec_lo, exec_lo, s1
	s_and_saveexec_b32 s1, vcc_lo
	s_cbranch_execnz .LBB37_80
.LBB37_55:
	s_or_b32 exec_lo, exec_lo, s1
	s_and_saveexec_b32 s1, vcc_lo
	s_cbranch_execnz .LBB37_81
.LBB37_56:
	s_or_b32 exec_lo, exec_lo, s1
	s_and_saveexec_b32 s1, vcc_lo
	s_cbranch_execnz .LBB37_82
.LBB37_57:
	s_or_b32 exec_lo, exec_lo, s1
	s_and_saveexec_b32 s1, vcc_lo
	s_cbranch_execnz .LBB37_83
.LBB37_58:
	s_or_b32 exec_lo, exec_lo, s1
	s_and_saveexec_b32 s1, vcc_lo
	s_cbranch_execnz .LBB37_84
.LBB37_59:
	s_or_b32 exec_lo, exec_lo, s1
	s_and_saveexec_b32 s1, vcc_lo
	s_cbranch_execnz .LBB37_85
.LBB37_60:
	s_or_b32 exec_lo, exec_lo, s1
	s_and_saveexec_b32 s1, vcc_lo
	s_cbranch_execz .LBB37_62
.LBB37_61:
	ds_read_b32 v11, v9 offset:224
	s_waitcnt lgkmcnt(0)
	v_add_f32_e32 v8, v8, v11
.LBB37_62:
	s_or_b32 exec_lo, exec_lo, s1
.LBB37_63:
	s_or_b32 exec_lo, exec_lo, s3
	v_and_b32_e32 v11, 0x3e3, v0
	s_mov_b32 s3, exec_lo
	s_barrier
	buffer_gl0_inv
	v_cmpx_eq_u32_e32 32, v11
	s_cbranch_execz .LBB37_65
; %bb.64:
	ds_write2_b32 v10, v1, v2 offset1:8
	ds_write2_b32 v10, v3, v4 offset0:16 offset1:24
	ds_write2_b32 v10, v5, v6 offset0:32 offset1:40
	;; [unrolled: 1-line block ×3, first 2 shown]
.LBB37_65:
	s_or_b32 exec_lo, exec_lo, s3
	s_waitcnt lgkmcnt(0)
	s_barrier
	buffer_gl0_inv
	s_and_saveexec_b32 s1, s0
	s_cbranch_execz .LBB37_76
; %bb.66:
	s_and_saveexec_b32 s0, vcc_lo
	s_cbranch_execnz .LBB37_86
; %bb.67:
	s_or_b32 exec_lo, exec_lo, s0
	s_and_saveexec_b32 s0, vcc_lo
	s_cbranch_execnz .LBB37_87
.LBB37_68:
	s_or_b32 exec_lo, exec_lo, s0
	s_and_saveexec_b32 s0, vcc_lo
	s_cbranch_execnz .LBB37_88
.LBB37_69:
	s_or_b32 exec_lo, exec_lo, s0
	s_and_saveexec_b32 s0, vcc_lo
	s_cbranch_execnz .LBB37_89
.LBB37_70:
	s_or_b32 exec_lo, exec_lo, s0
	s_and_saveexec_b32 s0, vcc_lo
	s_cbranch_execnz .LBB37_90
.LBB37_71:
	s_or_b32 exec_lo, exec_lo, s0
	s_and_saveexec_b32 s0, vcc_lo
	s_cbranch_execnz .LBB37_91
.LBB37_72:
	s_or_b32 exec_lo, exec_lo, s0
	s_and_saveexec_b32 s0, vcc_lo
	s_cbranch_execnz .LBB37_92
.LBB37_73:
	s_or_b32 exec_lo, exec_lo, s0
	s_and_saveexec_b32 s0, vcc_lo
	s_cbranch_execz .LBB37_75
.LBB37_74:
	ds_read_b32 v9, v9 offset:224
	s_waitcnt lgkmcnt(0)
	v_add_f32_e32 v8, v8, v9
.LBB37_75:
	s_or_b32 exec_lo, exec_lo, s0
.LBB37_76:
	s_or_b32 exec_lo, exec_lo, s1
	s_barrier
	buffer_gl0_inv
	s_mov_b32 s0, exec_lo
	v_cmpx_eq_u32_e32 0, v11
	s_cbranch_execz .LBB37_78
; %bb.77:
	s_lshl_b32 s0, s2, 6
	s_mul_i32 s2, s7, s10
	s_ashr_i32 s1, s0, 31
	s_lshl_b64 s[0:1], s[0:1], 2
	s_add_u32 s4, s20, s0
	s_addc_u32 s5, s21, s1
	s_ashr_i32 s3, s2, 31
	s_lshl_b64 s[0:1], s[2:3], 2
	s_add_u32 s2, s4, s0
	s_addc_u32 s3, s5, s1
	s_lshl_b32 s0, s8, 6
	s_ashr_i32 s1, s0, 31
	s_lshl_b64 s[0:1], s[0:1], 2
	s_add_u32 s0, s2, s0
	s_addc_u32 s1, s3, s1
	global_store_dword v0, v1, s[0:1]
	global_store_dword v0, v2, s[0:1] offset:32
	global_store_dword v0, v3, s[0:1] offset:64
	;; [unrolled: 1-line block ×7, first 2 shown]
.LBB37_78:
	s_endpgm
.LBB37_79:
	ds_read_b32 v11, v9
	s_waitcnt lgkmcnt(0)
	v_add_f32_e32 v1, v1, v11
	s_or_b32 exec_lo, exec_lo, s1
	s_and_saveexec_b32 s1, vcc_lo
	s_cbranch_execz .LBB37_55
.LBB37_80:
	ds_read_b32 v11, v9 offset:32
	s_waitcnt lgkmcnt(0)
	v_add_f32_e32 v2, v2, v11
	s_or_b32 exec_lo, exec_lo, s1
	s_and_saveexec_b32 s1, vcc_lo
	s_cbranch_execz .LBB37_56
.LBB37_81:
	ds_read_b32 v11, v9 offset:64
	s_waitcnt lgkmcnt(0)
	v_add_f32_e32 v3, v3, v11
	s_or_b32 exec_lo, exec_lo, s1
	s_and_saveexec_b32 s1, vcc_lo
	s_cbranch_execz .LBB37_57
.LBB37_82:
	ds_read_b32 v11, v9 offset:96
	s_waitcnt lgkmcnt(0)
	v_add_f32_e32 v4, v4, v11
	s_or_b32 exec_lo, exec_lo, s1
	s_and_saveexec_b32 s1, vcc_lo
	s_cbranch_execz .LBB37_58
.LBB37_83:
	ds_read_b32 v11, v9 offset:128
	s_waitcnt lgkmcnt(0)
	v_add_f32_e32 v5, v5, v11
	s_or_b32 exec_lo, exec_lo, s1
	s_and_saveexec_b32 s1, vcc_lo
	s_cbranch_execz .LBB37_59
.LBB37_84:
	ds_read_b32 v11, v9 offset:160
	s_waitcnt lgkmcnt(0)
	v_add_f32_e32 v6, v6, v11
	s_or_b32 exec_lo, exec_lo, s1
	s_and_saveexec_b32 s1, vcc_lo
	s_cbranch_execz .LBB37_60
.LBB37_85:
	ds_read_b32 v11, v9 offset:192
	s_waitcnt lgkmcnt(0)
	v_add_f32_e32 v7, v7, v11
	s_or_b32 exec_lo, exec_lo, s1
	s_and_saveexec_b32 s1, vcc_lo
	s_cbranch_execnz .LBB37_61
	s_branch .LBB37_62
.LBB37_86:
	ds_read_b32 v10, v9
	s_waitcnt lgkmcnt(0)
	v_add_f32_e32 v1, v1, v10
	s_or_b32 exec_lo, exec_lo, s0
	s_and_saveexec_b32 s0, vcc_lo
	s_cbranch_execz .LBB37_68
.LBB37_87:
	ds_read_b32 v10, v9 offset:32
	s_waitcnt lgkmcnt(0)
	v_add_f32_e32 v2, v2, v10
	s_or_b32 exec_lo, exec_lo, s0
	s_and_saveexec_b32 s0, vcc_lo
	s_cbranch_execz .LBB37_69
.LBB37_88:
	ds_read_b32 v10, v9 offset:64
	s_waitcnt lgkmcnt(0)
	v_add_f32_e32 v3, v3, v10
	s_or_b32 exec_lo, exec_lo, s0
	s_and_saveexec_b32 s0, vcc_lo
	s_cbranch_execz .LBB37_70
.LBB37_89:
	ds_read_b32 v10, v9 offset:96
	s_waitcnt lgkmcnt(0)
	v_add_f32_e32 v4, v4, v10
	s_or_b32 exec_lo, exec_lo, s0
	s_and_saveexec_b32 s0, vcc_lo
	s_cbranch_execz .LBB37_71
.LBB37_90:
	ds_read_b32 v10, v9 offset:128
	s_waitcnt lgkmcnt(0)
	v_add_f32_e32 v5, v5, v10
	s_or_b32 exec_lo, exec_lo, s0
	s_and_saveexec_b32 s0, vcc_lo
	s_cbranch_execz .LBB37_72
.LBB37_91:
	ds_read_b32 v10, v9 offset:160
	s_waitcnt lgkmcnt(0)
	v_add_f32_e32 v6, v6, v10
	s_or_b32 exec_lo, exec_lo, s0
	s_and_saveexec_b32 s0, vcc_lo
	s_cbranch_execz .LBB37_73
.LBB37_92:
	ds_read_b32 v10, v9 offset:192
	s_waitcnt lgkmcnt(0)
	v_add_f32_e32 v7, v7, v10
	s_or_b32 exec_lo, exec_lo, s0
	s_and_saveexec_b32 s0, vcc_lo
	s_cbranch_execnz .LBB37_74
	s_branch .LBB37_75
	.section	.rodata,"a",@progbits
	.p2align	6, 0x0
	.amdhsa_kernel _ZN4vllm25paged_attention_v2_kernelIffLi64ELi16ELi128ELNS_18Fp8KVCacheDataTypeE0ELb0ELi512EEEvPfS2_PT_PKS3_PKT0_S9_ifPKiSB_iPKfiiiSD_SD_iiiii
		.amdhsa_group_segment_fixed_size 288
		.amdhsa_private_segment_fixed_size 0
		.amdhsa_kernarg_size 400
		.amdhsa_user_sgpr_count 6
		.amdhsa_user_sgpr_private_segment_buffer 1
		.amdhsa_user_sgpr_dispatch_ptr 0
		.amdhsa_user_sgpr_queue_ptr 0
		.amdhsa_user_sgpr_kernarg_segment_ptr 1
		.amdhsa_user_sgpr_dispatch_id 0
		.amdhsa_user_sgpr_flat_scratch_init 0
		.amdhsa_user_sgpr_private_segment_size 0
		.amdhsa_wavefront_size32 1
		.amdhsa_uses_dynamic_stack 0
		.amdhsa_system_sgpr_private_segment_wavefront_offset 0
		.amdhsa_system_sgpr_workgroup_id_x 1
		.amdhsa_system_sgpr_workgroup_id_y 1
		.amdhsa_system_sgpr_workgroup_id_z 1
		.amdhsa_system_sgpr_workgroup_info 0
		.amdhsa_system_vgpr_workitem_id 0
		.amdhsa_next_free_vgpr 81
		.amdhsa_next_free_sgpr 38
		.amdhsa_reserve_vcc 1
		.amdhsa_reserve_flat_scratch 0
		.amdhsa_float_round_mode_32 0
		.amdhsa_float_round_mode_16_64 0
		.amdhsa_float_denorm_mode_32 3
		.amdhsa_float_denorm_mode_16_64 3
		.amdhsa_dx10_clamp 1
		.amdhsa_ieee_mode 1
		.amdhsa_fp16_overflow 0
		.amdhsa_workgroup_processor_mode 1
		.amdhsa_memory_ordered 1
		.amdhsa_forward_progress 1
		.amdhsa_shared_vgpr_count 0
		.amdhsa_exception_fp_ieee_invalid_op 0
		.amdhsa_exception_fp_denorm_src 0
		.amdhsa_exception_fp_ieee_div_zero 0
		.amdhsa_exception_fp_ieee_overflow 0
		.amdhsa_exception_fp_ieee_underflow 0
		.amdhsa_exception_fp_ieee_inexact 0
		.amdhsa_exception_int_div_zero 0
	.end_amdhsa_kernel
	.section	.text._ZN4vllm25paged_attention_v2_kernelIffLi64ELi16ELi128ELNS_18Fp8KVCacheDataTypeE0ELb0ELi512EEEvPfS2_PT_PKS3_PKT0_S9_ifPKiSB_iPKfiiiSD_SD_iiiii,"axG",@progbits,_ZN4vllm25paged_attention_v2_kernelIffLi64ELi16ELi128ELNS_18Fp8KVCacheDataTypeE0ELb0ELi512EEEvPfS2_PT_PKS3_PKT0_S9_ifPKiSB_iPKfiiiSD_SD_iiiii,comdat
.Lfunc_end37:
	.size	_ZN4vllm25paged_attention_v2_kernelIffLi64ELi16ELi128ELNS_18Fp8KVCacheDataTypeE0ELb0ELi512EEEvPfS2_PT_PKS3_PKT0_S9_ifPKiSB_iPKfiiiSD_SD_iiiii, .Lfunc_end37-_ZN4vllm25paged_attention_v2_kernelIffLi64ELi16ELi128ELNS_18Fp8KVCacheDataTypeE0ELb0ELi512EEEvPfS2_PT_PKS3_PKT0_S9_ifPKiSB_iPKfiiiSD_SD_iiiii
                                        ; -- End function
	.set _ZN4vllm25paged_attention_v2_kernelIffLi64ELi16ELi128ELNS_18Fp8KVCacheDataTypeE0ELb0ELi512EEEvPfS2_PT_PKS3_PKT0_S9_ifPKiSB_iPKfiiiSD_SD_iiiii.num_vgpr, 81
	.set _ZN4vllm25paged_attention_v2_kernelIffLi64ELi16ELi128ELNS_18Fp8KVCacheDataTypeE0ELb0ELi512EEEvPfS2_PT_PKS3_PKT0_S9_ifPKiSB_iPKfiiiSD_SD_iiiii.num_agpr, 0
	.set _ZN4vllm25paged_attention_v2_kernelIffLi64ELi16ELi128ELNS_18Fp8KVCacheDataTypeE0ELb0ELi512EEEvPfS2_PT_PKS3_PKT0_S9_ifPKiSB_iPKfiiiSD_SD_iiiii.numbered_sgpr, 38
	.set _ZN4vllm25paged_attention_v2_kernelIffLi64ELi16ELi128ELNS_18Fp8KVCacheDataTypeE0ELb0ELi512EEEvPfS2_PT_PKS3_PKT0_S9_ifPKiSB_iPKfiiiSD_SD_iiiii.num_named_barrier, 0
	.set _ZN4vllm25paged_attention_v2_kernelIffLi64ELi16ELi128ELNS_18Fp8KVCacheDataTypeE0ELb0ELi512EEEvPfS2_PT_PKS3_PKT0_S9_ifPKiSB_iPKfiiiSD_SD_iiiii.private_seg_size, 0
	.set _ZN4vllm25paged_attention_v2_kernelIffLi64ELi16ELi128ELNS_18Fp8KVCacheDataTypeE0ELb0ELi512EEEvPfS2_PT_PKS3_PKT0_S9_ifPKiSB_iPKfiiiSD_SD_iiiii.uses_vcc, 1
	.set _ZN4vllm25paged_attention_v2_kernelIffLi64ELi16ELi128ELNS_18Fp8KVCacheDataTypeE0ELb0ELi512EEEvPfS2_PT_PKS3_PKT0_S9_ifPKiSB_iPKfiiiSD_SD_iiiii.uses_flat_scratch, 0
	.set _ZN4vllm25paged_attention_v2_kernelIffLi64ELi16ELi128ELNS_18Fp8KVCacheDataTypeE0ELb0ELi512EEEvPfS2_PT_PKS3_PKT0_S9_ifPKiSB_iPKfiiiSD_SD_iiiii.has_dyn_sized_stack, 0
	.set _ZN4vllm25paged_attention_v2_kernelIffLi64ELi16ELi128ELNS_18Fp8KVCacheDataTypeE0ELb0ELi512EEEvPfS2_PT_PKS3_PKT0_S9_ifPKiSB_iPKfiiiSD_SD_iiiii.has_recursion, 0
	.set _ZN4vllm25paged_attention_v2_kernelIffLi64ELi16ELi128ELNS_18Fp8KVCacheDataTypeE0ELb0ELi512EEEvPfS2_PT_PKS3_PKT0_S9_ifPKiSB_iPKfiiiSD_SD_iiiii.has_indirect_call, 0
	.section	.AMDGPU.csdata,"",@progbits
; Kernel info:
; codeLenInByte = 5156
; TotalNumSgprs: 40
; NumVgprs: 81
; ScratchSize: 0
; MemoryBound: 0
; FloatMode: 240
; IeeeMode: 1
; LDSByteSize: 288 bytes/workgroup (compile time only)
; SGPRBlocks: 0
; VGPRBlocks: 10
; NumSGPRsForWavesPerEU: 40
; NumVGPRsForWavesPerEU: 81
; Occupancy: 10
; WaveLimiterHint : 1
; COMPUTE_PGM_RSRC2:SCRATCH_EN: 0
; COMPUTE_PGM_RSRC2:USER_SGPR: 6
; COMPUTE_PGM_RSRC2:TRAP_HANDLER: 0
; COMPUTE_PGM_RSRC2:TGID_X_EN: 1
; COMPUTE_PGM_RSRC2:TGID_Y_EN: 1
; COMPUTE_PGM_RSRC2:TGID_Z_EN: 1
; COMPUTE_PGM_RSRC2:TIDIG_COMP_CNT: 0
	.section	.text._ZN4vllm25paged_attention_v2_kernelIffLi80ELi16ELi128ELNS_18Fp8KVCacheDataTypeE0ELb0ELi512EEEvPfS2_PT_PKS3_PKT0_S9_ifPKiSB_iPKfiiiSD_SD_iiiii,"axG",@progbits,_ZN4vllm25paged_attention_v2_kernelIffLi80ELi16ELi128ELNS_18Fp8KVCacheDataTypeE0ELb0ELi512EEEvPfS2_PT_PKS3_PKT0_S9_ifPKiSB_iPKfiiiSD_SD_iiiii,comdat
	.protected	_ZN4vllm25paged_attention_v2_kernelIffLi80ELi16ELi128ELNS_18Fp8KVCacheDataTypeE0ELb0ELi512EEEvPfS2_PT_PKS3_PKT0_S9_ifPKiSB_iPKfiiiSD_SD_iiiii ; -- Begin function _ZN4vllm25paged_attention_v2_kernelIffLi80ELi16ELi128ELNS_18Fp8KVCacheDataTypeE0ELb0ELi512EEEvPfS2_PT_PKS3_PKT0_S9_ifPKiSB_iPKfiiiSD_SD_iiiii
	.globl	_ZN4vllm25paged_attention_v2_kernelIffLi80ELi16ELi128ELNS_18Fp8KVCacheDataTypeE0ELb0ELi512EEEvPfS2_PT_PKS3_PKT0_S9_ifPKiSB_iPKfiiiSD_SD_iiiii
	.p2align	8
	.type	_ZN4vllm25paged_attention_v2_kernelIffLi80ELi16ELi128ELNS_18Fp8KVCacheDataTypeE0ELb0ELi512EEEvPfS2_PT_PKS3_PKT0_S9_ifPKiSB_iPKfiiiSD_SD_iiiii,@function
_ZN4vllm25paged_attention_v2_kernelIffLi80ELi16ELi128ELNS_18Fp8KVCacheDataTypeE0ELb0ELi512EEEvPfS2_PT_PKS3_PKT0_S9_ifPKiSB_iPKfiiiSD_SD_iiiii: ; @_ZN4vllm25paged_attention_v2_kernelIffLi80ELi16ELi128ELNS_18Fp8KVCacheDataTypeE0ELb0ELi512EEEvPfS2_PT_PKS3_PKT0_S9_ifPKiSB_iPKfiiiSD_SD_iiiii
; %bb.0:
	s_load_dwordx2 s[0:1], s[4:5], 0x40
	s_mov_b32 s22, s7
	s_ashr_i32 s23, s7, 31
	s_lshl_b64 s[2:3], s[22:23], 2
	s_waitcnt lgkmcnt(0)
	s_add_u32 s0, s0, s2
	s_addc_u32 s1, s1, s3
	s_lshl_b32 s33, s8, 9
	s_load_dword s23, s[0:1], 0x0
	s_waitcnt lgkmcnt(0)
	s_cmp_ge_i32 s33, s23
	s_cbranch_scc1 .LBB38_86
; %bb.1:
	s_clause 0x1
	s_load_dword s9, s[4:5], 0x90
	s_load_dwordx2 s[30:31], s[4:5], 0x30
	s_mov_b32 s34, 0
	s_waitcnt lgkmcnt(0)
	s_abs_i32 s3, s9
	s_abs_i32 s0, s30
	v_cvt_f32_u32_e32 v1, s0
	s_sub_i32 s2, 0, s0
	v_rcp_iflag_f32_e32 v1, v1
	v_mul_f32_e32 v1, 0x4f7ffffe, v1
	v_cvt_u32_f32_e32 v1, v1
	v_readfirstlane_b32 s1, v1
	s_mul_i32 s2, s2, s1
	s_mul_hi_u32 s2, s1, s2
	s_add_i32 s1, s1, s2
	s_xor_b32 s2, s9, s30
	s_mul_hi_u32 s1, s3, s1
	s_ashr_i32 s2, s2, 31
	s_mul_i32 s7, s1, s0
	s_sub_i32 s3, s3, s7
	s_add_i32 s7, s1, 1
	s_sub_i32 s10, s3, s0
	s_cmp_ge_u32 s3, s0
	s_cselect_b32 s1, s7, s1
	s_cselect_b32 s3, s10, s3
	s_add_i32 s7, s1, 1
	s_cmp_ge_u32 s3, s0
	s_cselect_b32 s0, s7, s1
	s_abs_i32 s16, s6
	s_xor_b32 s0, s0, s2
	s_sub_i32 s10, s0, s2
	s_load_dwordx2 s[0:1], s[4:5], 0x50
	s_abs_i32 s2, s10
	v_cvt_f32_u32_e32 v1, s2
	s_sub_i32 s7, 0, s2
	v_rcp_iflag_f32_e32 v1, v1
	v_mul_f32_e32 v1, 0x4f7ffffe, v1
	v_cvt_u32_f32_e32 v1, v1
	v_readfirstlane_b32 s3, v1
	s_mul_i32 s7, s7, s3
	s_mul_hi_u32 s7, s3, s7
	s_add_i32 s3, s3, s7
	s_waitcnt lgkmcnt(0)
	s_cmp_eq_u64 s[0:1], 0
	s_mul_hi_u32 s3, s16, s3
	s_cbranch_scc1 .LBB38_3
; %bb.2:
	s_ashr_i32 s7, s6, 31
	s_lshl_b64 s[12:13], s[6:7], 2
	s_add_u32 s0, s0, s12
	s_addc_u32 s1, s1, s13
	s_load_dword s34, s[0:1], 0x0
.LBB38_3:
	s_load_dwordx4 s[12:15], s[4:5], 0x58
	v_and_b32_e32 v41, 1, v0
	v_lshlrev_b32_e32 v1, 3, v0
	v_lshlrev_b32_e32 v43, 2, v0
	s_ashr_i32 s0, s6, 31
	s_ashr_i32 s1, s10, 31
	s_mul_i32 s10, s6, 0x50
	s_mov_b32 s7, exec_lo
	v_cmpx_gt_u32_e32 40, v0
	s_cbranch_execz .LBB38_5
; %bb.4:
	s_load_dwordx2 s[18:19], s[4:5], 0x18
	s_waitcnt lgkmcnt(0)
	s_mul_i32 s20, s12, s22
	v_and_b32_e32 v4, 0xff8, v43
	s_ashr_i32 s21, s20, 31
	s_lshl_b64 s[20:21], s[20:21], 2
	v_mad_u32_u24 v4, 0xa0, v41, v4
	s_add_u32 s12, s18, s20
	s_addc_u32 s15, s19, s21
	s_ashr_i32 s11, s10, 31
	s_lshl_b64 s[18:19], s[10:11], 2
	s_add_u32 s18, s12, s18
	s_addc_u32 s19, s15, s19
	global_load_dwordx2 v[2:3], v1, s[18:19]
	s_waitcnt vmcnt(0)
	ds_write_b64 v4, v[2:3]
.LBB38_5:
	s_or_b32 exec_lo, exec_lo, s7
	s_add_i32 s7, s23, 15
	s_load_dwordx2 s[24:25], s[4:5], 0x38
	s_waitcnt lgkmcnt(0)
	s_load_dword s15, s[4:5], 0x48
	s_ashr_i32 s11, s7, 31
	s_lshl_b32 s30, s8, 5
	s_lshr_b32 s11, s11, 28
	s_xor_b32 s0, s0, s1
	s_add_i32 s7, s7, s11
	s_add_i32 s1, s30, 32
	s_ashr_i32 s12, s7, 4
	s_mul_i32 s7, s3, s2
	s_min_i32 s11, s1, s12
	s_sub_i32 s1, s16, s7
	s_add_i32 s7, s3, 1
	s_sub_i32 s16, s1, s2
	s_cmp_ge_u32 s1, s2
	v_lshrrev_b32_e32 v48, 5, v0
	s_cselect_b32 s3, s7, s3
	s_cselect_b32 s1, s16, s1
	s_add_i32 s7, s3, 1
	s_cmp_ge_u32 s1, s2
	v_or_b32_e32 v45, s30, v48
	s_cselect_b32 s1, s7, s3
	v_mbcnt_lo_u32_b32 v44, -1, 0
	s_xor_b32 s1, s1, s0
	s_waitcnt lgkmcnt(0)
	s_mul_i32 s26, s15, s22
	s_sub_i32 s1, s1, s0
	v_cmp_gt_i32_e64 s0, s11, v45
	s_ashr_i32 s27, s26, 31
	s_mov_b32 s2, exec_lo
	s_barrier
	buffer_gl0_inv
                                        ; implicit-def: $vgpr47
                                        ; implicit-def: $vgpr51
	v_cmpx_le_i32_e64 s11, v45
	s_xor_b32 s2, exec_lo, s2
; %bb.6:
	v_mov_b32_e32 v47, 0
	v_mbcnt_lo_u32_b32 v44, -1, 0
	v_mov_b32_e32 v51, 32
                                        ; implicit-def: $vgpr1
                                        ; implicit-def: $vgpr41
; %bb.7:
	s_or_saveexec_b32 s35, s2
	s_clause 0x3
	s_load_dwordx4 s[16:19], s[4:5], 0x0
	s_load_dwordx2 s[20:21], s[4:5], 0x10
	s_load_dwordx2 s[28:29], s[4:5], 0x28
	s_load_dword s7, s[4:5], 0x98
	v_mov_b32_e32 v49, 0xff7fffff
	v_ashrrev_i32_e32 v46, 31, v45
	s_mul_i32 s14, s1, s14
	s_xor_b32 exec_lo, exec_lo, s35
	s_cbranch_execz .LBB38_13
; %bb.8:
	s_load_dwordx2 s[2:3], s[4:5], 0x20
	v_bfe_u32 v42, v0, 1, 4
	s_ashr_i32 s15, s14, 31
	v_xor_b32_e32 v26, 1, v44
	s_lshl_b64 s[4:5], s[14:15], 2
	v_and_b32_e32 v25, 8, v1
	v_lshlrev_b32_e32 v27, 4, v42
	v_mul_u32_u24_e32 v37, 0xa0, v41
	v_cmp_gt_i32_e32 vcc_lo, 32, v26
	ds_read_b128 v[1:4], v37
	ds_read_b128 v[5:8], v37 offset:16
	ds_read_b128 v[9:12], v37 offset:32
	;; [unrolled: 1-line block ×5, first 2 shown]
	v_cndmask_b32_e32 v53, v44, v26, vcc_lo
	v_lshlrev_b32_e32 v54, 4, v48
	v_lshlrev_b32_e32 v49, 2, v42
	v_mov_b32_e32 v47, 0
	v_mov_b32_e32 v51, 32
	v_lshlrev_b32_e32 v53, 2, v53
	v_add3_u32 v54, s33, v54, v42
	s_waitcnt lgkmcnt(0)
	s_add_u32 s1, s2, s4
	s_addc_u32 s2, s3, s5
	v_add_co_u32 v27, s1, s1, v27
	v_add_co_ci_u32_e64 v28, null, s2, 0, s1
	s_lshl_b64 s[2:3], s[26:27], 2
	v_add_co_u32 v50, vcc_lo, v27, v25
	v_add_co_ci_u32_e64 v52, null, 0, v28, vcc_lo
	ds_read_b128 v[25:28], v37 offset:96
	ds_read_b128 v[29:32], v37 offset:112
	;; [unrolled: 1-line block ×4, first 2 shown]
	v_cmp_eq_u32_e32 vcc_lo, 0, v41
	v_lshlrev_b64 v[41:42], 2, v[45:46]
	v_lshl_or_b32 v49, v48, 6, v49
	s_sub_i32 s4, 1, s23
	s_add_u32 s2, s24, s2
	s_addc_u32 s3, s25, s3
	v_cmp_neq_f32_e64 s1, s34, 0
	v_add_co_u32 v41, s2, s2, v41
	v_add_nc_u32_e32 v55, 0x160, v49
	v_add_co_ci_u32_e64 v42, null, s3, v42, s2
	v_mov_b32_e32 v49, 0xff7fffff
	v_mov_b32_e32 v56, v45
	s_mov_b32 s15, s13
	s_mov_b32 s5, 0
	s_branch .LBB38_10
.LBB38_9:                               ;   in Loop: Header=BB38_10 Depth=1
	s_or_b32 exec_lo, exec_lo, s3
	v_add_nc_u32_e32 v56, 4, v56
	v_add_co_u32 v41, s3, v41, 16
	v_add_nc_u32_e32 v54, 64, v54
	v_add_nc_u32_e32 v55, 0x100, v55
	v_cmp_le_i32_e64 s2, s11, v56
	v_add_co_ci_u32_e64 v42, null, 0, v42, s3
	s_or_b32 s5, s2, s5
	s_andn2_b32 exec_lo, exec_lo, s5
	s_cbranch_execz .LBB38_12
.LBB38_10:                              ; =>This Inner Loop Header: Depth=1
	global_load_dword v57, v[41:42], off
	s_waitcnt vmcnt(0) lgkmcnt(0)
	v_mad_i64_i32 v[57:58], null, v57, s15, 0
	v_lshlrev_b64 v[57:58], 2, v[57:58]
	v_add_co_u32 v57, s2, v50, v57
	v_add_co_ci_u32_e64 v58, null, v52, v58, s2
	s_clause 0x6
	global_load_dwordx2 v[59:60], v[57:58], off offset:256
	global_load_dwordx2 v[61:62], v[57:58], off offset:512
	;; [unrolled: 1-line block ×3, first 2 shown]
	global_load_dwordx2 v[65:66], v[57:58], off
	global_load_dwordx2 v[67:68], v[57:58], off offset:1024
	global_load_dwordx2 v[69:70], v[57:58], off offset:1280
	;; [unrolled: 1-line block ×3, first 2 shown]
	v_add_co_u32 v73, s2, v57, 0x1000
	global_load_dwordx2 v[75:76], v[57:58], off offset:1792
	v_add_co_ci_u32_e64 v74, null, 0, v58, s2
	v_add_co_u32 v77, s2, 0x800, v57
	v_add_co_ci_u32_e64 v78, null, 0, v58, s2
	s_clause 0x2
	global_load_dwordx2 v[79:80], v[73:74], off offset:-2048
	global_load_dwordx2 v[81:82], v[77:78], off offset:256
	global_load_dwordx2 v[83:84], v[77:78], off offset:512
	v_add_co_u32 v57, s2, 0x1000, v57
	v_add_co_ci_u32_e64 v58, null, 0, v58, s2
	s_waitcnt vmcnt(10)
	v_mul_f32_e32 v85, v3, v59
	v_mul_f32_e32 v86, v4, v60
	global_load_dwordx2 v[59:60], v[77:78], off offset:768
	s_waitcnt vmcnt(8)
	v_fmac_f32_e32 v85, v1, v65
	v_fmac_f32_e32 v86, v2, v66
	global_load_dwordx2 v[65:66], v[77:78], off offset:1024
	v_fmac_f32_e32 v85, v5, v61
	v_fmac_f32_e32 v86, v6, v62
	global_load_dwordx2 v[61:62], v[77:78], off offset:1280
	v_fmac_f32_e32 v85, v7, v63
	v_fmac_f32_e32 v86, v8, v64
	s_clause 0x2
	global_load_dwordx2 v[63:64], v[77:78], off offset:1536
	global_load_dwordx2 v[77:78], v[77:78], off offset:1792
	global_load_dwordx2 v[73:74], v[73:74], off
	s_waitcnt vmcnt(12)
	v_fmac_f32_e32 v85, v9, v67
	v_fmac_f32_e32 v86, v10, v68
	global_load_dwordx2 v[67:68], v[57:58], off offset:256
	s_waitcnt vmcnt(12)
	v_fmac_f32_e32 v85, v11, v69
	v_fmac_f32_e32 v86, v12, v70
	s_clause 0x1
	global_load_dwordx2 v[69:70], v[57:58], off offset:512
	global_load_dwordx2 v[57:58], v[57:58], off offset:768
	s_waitcnt vmcnt(13)
	v_fmac_f32_e32 v85, v13, v71
	v_fmac_f32_e32 v86, v14, v72
	s_waitcnt vmcnt(12)
	v_fmac_f32_e32 v85, v15, v75
	v_fmac_f32_e32 v86, v16, v76
	;; [unrolled: 3-line block ×6, first 2 shown]
	s_waitcnt vmcnt(7) lgkmcnt(3)
	v_fmac_f32_e32 v85, v25, v65
	v_fmac_f32_e32 v86, v26, v66
	s_waitcnt vmcnt(6)
	v_fmac_f32_e32 v85, v27, v61
	v_fmac_f32_e32 v86, v28, v62
	s_waitcnt vmcnt(5) lgkmcnt(2)
	v_fmac_f32_e32 v85, v29, v63
	v_fmac_f32_e32 v86, v30, v64
	s_waitcnt vmcnt(4)
	v_fmac_f32_e32 v85, v31, v77
	v_fmac_f32_e32 v86, v32, v78
	;; [unrolled: 6-line block ×4, first 2 shown]
	v_add_f32_e32 v57, v85, v86
	ds_bpermute_b32 v58, v53, v57
	s_and_saveexec_b32 s3, vcc_lo
	s_cbranch_execz .LBB38_9
; %bb.11:                               ;   in Loop: Header=BB38_10 Depth=1
	v_add_nc_u32_e32 v59, s4, v54
	s_waitcnt lgkmcnt(0)
	v_add_f32_e32 v57, v57, v58
	v_cmp_gt_i32_e64 s2, s23, v54
	v_cvt_f32_i32_e32 v59, v59
	v_mul_f32_e32 v59, s34, v59
	v_cndmask_b32_e64 v58, 0, v59, s1
	v_max_f32_e32 v59, v49, v49
	v_fmac_f32_e32 v58, s31, v57
	v_max_f32_e32 v57, v59, v58
	v_cndmask_b32_e64 v58, 0, v58, s2
	v_cndmask_b32_e64 v49, v49, v57, s2
	ds_write_b32 v55, v58
	s_branch .LBB38_9
.LBB38_12:
	s_or_b32 exec_lo, exec_lo, s5
.LBB38_13:
	s_or_b32 exec_lo, exec_lo, s35
	v_xor_b32_e32 v1, 16, v44
	v_xor_b32_e32 v3, 8, v44
	v_max_f32_e32 v5, v49, v49
	v_xor_b32_e32 v6, 2, v44
	v_cmp_lt_i32_e32 vcc_lo, v1, v51
	v_cndmask_b32_e32 v1, v44, v1, vcc_lo
	v_cmp_lt_i32_e32 vcc_lo, v3, v51
	v_lshlrev_b32_e32 v2, 2, v1
	v_cndmask_b32_e32 v3, v44, v3, vcc_lo
	ds_bpermute_b32 v1, v2, v49
	v_lshlrev_b32_e32 v4, 2, v3
	v_and_b32_e32 v49, 31, v0
	s_waitcnt lgkmcnt(0)
	v_max_f32_e32 v1, v1, v1
	v_max_f32_e32 v1, v5, v1
	v_xor_b32_e32 v5, 4, v44
	ds_bpermute_b32 v3, v4, v1
	v_cmp_lt_i32_e32 vcc_lo, v5, v51
	v_cndmask_b32_e32 v5, v44, v5, vcc_lo
	v_cmp_lt_i32_e32 vcc_lo, v6, v51
	v_lshlrev_b32_e32 v5, 2, v5
	v_cndmask_b32_e32 v6, v44, v6, vcc_lo
	v_cmp_eq_u32_e32 vcc_lo, 0, v49
	v_lshlrev_b32_e32 v50, 2, v6
	v_lshlrev_b32_e32 v6, 2, v48
	s_waitcnt lgkmcnt(0)
	v_max_f32_e32 v3, v3, v3
	v_max_f32_e32 v1, v1, v3
	ds_bpermute_b32 v3, v5, v1
	s_waitcnt lgkmcnt(0)
	v_max_f32_e32 v3, v3, v3
	v_max_f32_e32 v1, v1, v3
	ds_bpermute_b32 v3, v50, v1
	s_and_saveexec_b32 s1, vcc_lo
	s_cbranch_execz .LBB38_15
; %bb.14:
	s_waitcnt lgkmcnt(0)
	v_max_f32_e32 v3, v3, v3
	v_max_f32_e32 v1, v1, v1
	v_max_f32_e32 v1, v1, v3
	ds_write_b32 v6, v1 offset:320
.LBB38_15:
	s_or_b32 exec_lo, exec_lo, s1
	v_cmp_gt_u32_e64 s1, 4, v49
	v_mov_b32_e32 v1, 0xff7fffff
	v_lshlrev_b32_e32 v7, 2, v49
	s_waitcnt lgkmcnt(0)
	s_barrier
	buffer_gl0_inv
	s_and_saveexec_b32 s2, s1
; %bb.16:
	ds_read_b32 v1, v7 offset:320
; %bb.17:
	s_or_b32 exec_lo, exec_lo, s2
	s_waitcnt lgkmcnt(0)
	ds_bpermute_b32 v3, v50, v1
	v_xor_b32_e32 v8, 1, v44
	v_max_f32_e32 v1, v1, v1
	v_cmp_lt_i32_e64 s2, v8, v51
	v_cndmask_b32_e64 v8, v44, v8, s2
	s_sub_i32 s2, s11, s30
	s_lshl_b32 s2, s2, 4
	v_lshlrev_b32_e32 v51, 2, v8
	s_add_i32 s2, s2, s33
	v_mov_b32_e32 v8, 0
	s_min_i32 s2, s2, s23
	s_waitcnt lgkmcnt(0)
	v_max_f32_e32 v3, v3, v3
	s_sub_i32 s4, s2, s33
	v_cmp_gt_i32_e64 s2, s4, v0
	v_max_f32_e32 v1, v1, v3
	ds_bpermute_b32 v3, v51, v1
	s_waitcnt lgkmcnt(0)
	v_max_f32_e32 v3, v3, v3
	v_max_f32_e32 v1, v1, v3
	v_lshlrev_b32_e32 v3, 2, v47
	ds_bpermute_b32 v1, v3, v1
	v_lshl_add_u32 v3, v0, 2, 0x160
	s_and_saveexec_b32 s5, s2
	s_cbranch_execz .LBB38_21
; %bb.18:
	v_lshl_add_u32 v9, v0, 2, 0x160
	v_mov_b32_e32 v8, 0
	v_mov_b32_e32 v10, v0
	s_mov_b32 s15, 0
	.p2align	6
.LBB38_19:                              ; =>This Inner Loop Header: Depth=1
	ds_read_b32 v11, v9
	v_add_nc_u32_e32 v10, 0x80, v10
	v_cmp_le_i32_e64 s3, s4, v10
	s_or_b32 s15, s3, s15
	s_waitcnt lgkmcnt(0)
	v_sub_f32_e32 v11, v11, v1
	v_mul_f32_e32 v11, 0x3fb8aa3b, v11
	v_exp_f32_e32 v11, v11
	ds_write_b32 v9, v11
	v_add_f32_e32 v8, v8, v11
	v_add_nc_u32_e32 v9, 0x200, v9
	s_andn2_b32 exec_lo, exec_lo, s15
	s_cbranch_execnz .LBB38_19
; %bb.20:
	s_or_b32 exec_lo, exec_lo, s15
.LBB38_21:
	s_or_b32 exec_lo, exec_lo, s5
	ds_bpermute_b32 v2, v2, v8
	s_waitcnt lgkmcnt(0)
	v_add_f32_e32 v2, v8, v2
	ds_bpermute_b32 v4, v4, v2
	s_waitcnt lgkmcnt(0)
	v_add_f32_e32 v2, v2, v4
	;; [unrolled: 3-line block ×5, first 2 shown]
	s_and_saveexec_b32 s3, vcc_lo
; %bb.22:
	ds_write_b32 v6, v2 offset:336
; %bb.23:
	s_or_b32 exec_lo, exec_lo, s3
	s_waitcnt lgkmcnt(0)
	s_barrier
	buffer_gl0_inv
	s_and_saveexec_b32 s3, s1
; %bb.24:
	ds_read_b32 v2, v7 offset:336
; %bb.25:
	s_or_b32 exec_lo, exec_lo, s3
	s_waitcnt lgkmcnt(0)
	ds_bpermute_b32 v4, v50, v2
	v_lshlrev_b32_e32 v5, 2, v44
	s_waitcnt lgkmcnt(0)
	v_add_f32_e32 v2, v2, v4
	ds_bpermute_b32 v4, v51, v2
	s_waitcnt lgkmcnt(0)
	v_add_f32_e32 v2, v2, v4
	v_and_b32_e32 v4, 0xffffff80, v5
	ds_bpermute_b32 v2, v4, v2
	s_and_saveexec_b32 s1, s2
	s_cbranch_execz .LBB38_28
; %bb.26:
	s_waitcnt lgkmcnt(0)
	v_add_f32_e32 v4, 0x358637bd, v2
	s_mov_b32 s2, 0
	v_div_scale_f32 v5, null, v4, v4, 1.0
	v_div_scale_f32 v8, vcc_lo, 1.0, v4, 1.0
	v_rcp_f32_e32 v6, v5
	v_fma_f32 v7, -v5, v6, 1.0
	v_fmac_f32_e32 v6, v7, v6
	v_mul_f32_e32 v7, v8, v6
	v_fma_f32 v9, -v5, v7, v8
	v_fmac_f32_e32 v7, v9, v6
	v_fma_f32 v5, -v5, v7, v8
	v_div_fmas_f32 v5, v5, v6, v7
	v_div_fixup_f32 v4, v5, v4, 1.0
	v_mov_b32_e32 v5, v0
.LBB38_27:                              ; =>This Inner Loop Header: Depth=1
	ds_read_b32 v6, v3
	v_add_nc_u32_e32 v5, 0x80, v5
	v_cmp_le_i32_e32 vcc_lo, s4, v5
	s_or_b32 s2, vcc_lo, s2
	s_waitcnt lgkmcnt(0)
	v_mul_f32_e32 v6, v4, v6
	ds_write_b32 v3, v6
	v_add_nc_u32_e32 v3, 0x200, v3
	s_andn2_b32 exec_lo, exec_lo, s2
	s_cbranch_execnz .LBB38_27
.LBB38_28:
	s_or_b32 exec_lo, exec_lo, s1
	s_mul_i32 s1, s7, s22
	s_waitcnt lgkmcnt(0)
	s_mul_i32 s2, s1, s9
	s_mov_b32 s1, exec_lo
	s_barrier
	buffer_gl0_inv
	v_cmpx_eq_u32_e32 0, v0
	s_cbranch_execz .LBB38_30
; %bb.29:
	s_ashr_i32 s3, s2, 31
	s_mul_i32 s30, s7, s6
	s_lshl_b64 s[4:5], s[2:3], 2
	v_mov_b32_e32 v3, 0
	s_add_u32 s3, s18, s4
	s_addc_u32 s6, s19, s5
	s_ashr_i32 s31, s30, 31
	s_lshl_b64 s[18:19], s[30:31], 2
	s_add_u32 s3, s3, s18
	s_addc_u32 s6, s6, s19
	s_ashr_i32 s9, s8, 31
	s_lshl_b64 s[30:31], s[8:9], 2
	s_add_u32 s34, s3, s30
	s_addc_u32 s35, s6, s31
	s_add_u32 s3, s16, s4
	s_addc_u32 s4, s17, s5
	;; [unrolled: 2-line block ×4, first 2 shown]
	global_store_dword v3, v1, s[34:35]
	global_store_dword v3, v2, s[4:5]
.LBB38_30:
	s_or_b32 exec_lo, exec_lo, s1
	v_mov_b32_e32 v60, 0
	v_and_b32_e32 v52, 3, v0
	v_mov_b32_e32 v62, 0
	v_mov_b32_e32 v61, 0
	;; [unrolled: 1-line block ×9, first 2 shown]
	s_and_saveexec_b32 s1, s0
	s_cbranch_execz .LBB38_54
; %bb.31:
	v_lshlrev_b32_e32 v2, 4, v0
	s_ashr_i32 s15, s14, 31
	v_and_b32_e32 v1, 12, v43
	v_lshl_add_u32 v4, v48, 4, s33
	s_lshl_b64 s[4:5], s[14:15], 2
	v_and_b32_e32 v2, 0x1f0, v2
	s_add_u32 s0, s28, s4
	v_lshlrev_b32_e32 v3, 4, v52
	v_add3_u32 v65, v4, v1, 3
	s_addc_u32 s3, s29, s5
	v_add_co_u32 v63, s0, s0, v2
	v_lshlrev_b64 v[1:2], 2, v[45:46]
	s_lshl_b64 s[4:5], s[26:27], 2
	s_add_i32 s12, s12, -1
	v_lshl_or_b32 v3, v48, 6, v3
	v_add_co_ci_u32_e64 v64, null, s3, 0, s0
	s_add_u32 s0, s24, s4
	s_addc_u32 s3, s25, s5
	v_add_co_u32 v46, vcc_lo, s0, v1
	v_mov_b32_e32 v53, 0
	v_add_nc_u32_e32 v66, 0x160, v3
	v_add_co_ci_u32_e64 v47, null, s3, v2, vcc_lo
	v_mov_b32_e32 v54, 0
	v_mov_b32_e32 v55, 0
	;; [unrolled: 1-line block ×9, first 2 shown]
	s_mov_b32 s4, s13
	s_mov_b32 s3, 0
	s_branch .LBB38_33
.LBB38_32:                              ;   in Loop: Header=BB38_33 Depth=1
	s_or_b32 exec_lo, exec_lo, s0
	s_waitcnt vmcnt(1) lgkmcnt(0)
	v_mul_f32_e32 v41, v1, v41
	v_mul_f32_e32 v33, v1, v33
	;; [unrolled: 1-line block ×9, first 2 shown]
	s_waitcnt vmcnt(0)
	v_mul_f32_e32 v1, v1, v37
	v_fmac_f32_e32 v41, v2, v42
	v_fmac_f32_e32 v33, v2, v34
	;; [unrolled: 1-line block ×20, first 2 shown]
	v_add_nc_u32_e32 v45, 4, v45
	v_fmac_f32_e32 v41, v4, v44
	v_fmac_f32_e32 v33, v4, v36
	v_fmac_f32_e32 v29, v4, v32
	v_fmac_f32_e32 v25, v4, v28
	v_fmac_f32_e32 v21, v4, v24
	v_fmac_f32_e32 v17, v4, v20
	v_fmac_f32_e32 v13, v4, v16
	v_fmac_f32_e32 v9, v4, v12
	v_fmac_f32_e32 v5, v4, v8
	v_fmac_f32_e32 v1, v4, v40
	v_cmp_le_i32_e32 vcc_lo, s11, v45
	v_add_co_u32 v46, s0, v46, 16
	v_add_f32_e32 v54, v54, v41
	v_add_f32_e32 v55, v55, v33
	;; [unrolled: 1-line block ×10, first 2 shown]
	v_add_nc_u32_e32 v65, 64, v65
	v_add_nc_u32_e32 v66, 0x100, v66
	v_add_co_ci_u32_e64 v47, null, 0, v47, s0
	s_or_b32 s3, vcc_lo, s3
	s_andn2_b32 exec_lo, exec_lo, s3
	s_cbranch_execz .LBB38_53
.LBB38_33:                              ; =>This Inner Loop Header: Depth=1
	global_load_dword v1, v[46:47], off
	v_add_nc_u32_e32 v67, -3, v65
	v_add_nc_u32_e32 v69, -2, v65
	;; [unrolled: 1-line block ×3, first 2 shown]
	s_waitcnt vmcnt(0)
	v_mad_i64_i32 v[1:2], null, v1, s4, 0
	v_lshlrev_b64 v[1:2], 2, v[1:2]
	v_add_co_u32 v37, vcc_lo, v63, v1
	v_add_co_ci_u32_e64 v38, null, v64, v2, vcc_lo
	ds_read_b128 v[1:4], v66
	v_cmp_eq_u32_e32 vcc_lo, s12, v45
	global_load_dwordx4 v[5:8], v[37:38], off
	s_and_saveexec_b32 s5, vcc_lo
	s_cbranch_execnz .LBB38_47
; %bb.34:                               ;   in Loop: Header=BB38_33 Depth=1
	s_or_b32 exec_lo, exec_lo, s5
	global_load_dwordx4 v[9:12], v[37:38], off offset:512
	s_and_saveexec_b32 s5, vcc_lo
	s_cbranch_execnz .LBB38_48
.LBB38_35:                              ;   in Loop: Header=BB38_33 Depth=1
	s_or_b32 exec_lo, exec_lo, s5
	global_load_dwordx4 v[13:16], v[37:38], off offset:1024
	s_and_saveexec_b32 s5, vcc_lo
	s_cbranch_execnz .LBB38_49
.LBB38_36:                              ;   in Loop: Header=BB38_33 Depth=1
	s_or_b32 exec_lo, exec_lo, s5
	global_load_dwordx4 v[17:20], v[37:38], off offset:1536
	s_and_saveexec_b32 s5, vcc_lo
	s_cbranch_execz .LBB38_38
.LBB38_37:                              ;   in Loop: Header=BB38_33 Depth=1
	v_cmp_gt_i32_e64 s0, s23, v67
	s_waitcnt vmcnt(0)
	v_cndmask_b32_e64 v17, 0, v17, s0
	v_cmp_gt_i32_e64 s0, s23, v69
	v_cndmask_b32_e64 v18, 0, v18, s0
	v_cmp_gt_i32_e64 s0, s23, v68
	;; [unrolled: 2-line block ×3, first 2 shown]
	v_cndmask_b32_e64 v20, 0, v20, s0
.LBB38_38:                              ;   in Loop: Header=BB38_33 Depth=1
	s_or_b32 exec_lo, exec_lo, s5
	v_add_co_u32 v33, s0, 0x800, v37
	v_add_co_ci_u32_e64 v34, null, 0, v38, s0
	global_load_dwordx4 v[21:24], v[33:34], off
	s_and_saveexec_b32 s5, vcc_lo
	s_cbranch_execnz .LBB38_50
; %bb.39:                               ;   in Loop: Header=BB38_33 Depth=1
	s_or_b32 exec_lo, exec_lo, s5
	global_load_dwordx4 v[25:28], v[33:34], off offset:512
	s_and_saveexec_b32 s5, vcc_lo
	s_cbranch_execnz .LBB38_51
.LBB38_40:                              ;   in Loop: Header=BB38_33 Depth=1
	s_or_b32 exec_lo, exec_lo, s5
	global_load_dwordx4 v[29:32], v[33:34], off offset:1024
	s_and_saveexec_b32 s5, vcc_lo
	s_cbranch_execnz .LBB38_52
.LBB38_41:                              ;   in Loop: Header=BB38_33 Depth=1
	s_or_b32 exec_lo, exec_lo, s5
	global_load_dwordx4 v[33:36], v[33:34], off offset:1536
	s_and_saveexec_b32 s5, vcc_lo
	s_cbranch_execz .LBB38_43
.LBB38_42:                              ;   in Loop: Header=BB38_33 Depth=1
	v_cmp_gt_i32_e64 s0, s23, v67
	s_waitcnt vmcnt(0)
	v_cndmask_b32_e64 v33, 0, v33, s0
	v_cmp_gt_i32_e64 s0, s23, v69
	v_cndmask_b32_e64 v34, 0, v34, s0
	v_cmp_gt_i32_e64 s0, s23, v68
	;; [unrolled: 2-line block ×3, first 2 shown]
	v_cndmask_b32_e64 v36, 0, v36, s0
.LBB38_43:                              ;   in Loop: Header=BB38_33 Depth=1
	s_or_b32 exec_lo, exec_lo, s5
	v_add_co_u32 v37, s0, 0x1000, v37
	v_add_co_ci_u32_e64 v38, null, 0, v38, s0
	global_load_dwordx4 v[41:44], v[37:38], off
	s_and_saveexec_b32 s5, vcc_lo
	s_cbranch_execz .LBB38_45
; %bb.44:                               ;   in Loop: Header=BB38_33 Depth=1
	v_cmp_gt_i32_e64 s0, s23, v67
	s_waitcnt vmcnt(0)
	v_cndmask_b32_e64 v41, 0, v41, s0
	v_cmp_gt_i32_e64 s0, s23, v69
	v_cndmask_b32_e64 v42, 0, v42, s0
	v_cmp_gt_i32_e64 s0, s23, v68
	v_cndmask_b32_e64 v43, 0, v43, s0
	v_cmp_gt_i32_e64 s0, s23, v65
	v_cndmask_b32_e64 v44, 0, v44, s0
.LBB38_45:                              ;   in Loop: Header=BB38_33 Depth=1
	s_or_b32 exec_lo, exec_lo, s5
	global_load_dwordx4 v[37:40], v[37:38], off offset:512
	s_and_saveexec_b32 s0, vcc_lo
	s_cbranch_execz .LBB38_32
; %bb.46:                               ;   in Loop: Header=BB38_33 Depth=1
	v_cmp_gt_i32_e32 vcc_lo, s23, v67
	s_waitcnt vmcnt(0)
	v_cndmask_b32_e32 v37, 0, v37, vcc_lo
	v_cmp_gt_i32_e32 vcc_lo, s23, v69
	v_cndmask_b32_e32 v38, 0, v38, vcc_lo
	v_cmp_gt_i32_e32 vcc_lo, s23, v68
	v_cndmask_b32_e32 v39, 0, v39, vcc_lo
	v_cmp_gt_i32_e32 vcc_lo, s23, v65
	v_cndmask_b32_e32 v40, 0, v40, vcc_lo
	s_branch .LBB38_32
.LBB38_47:                              ;   in Loop: Header=BB38_33 Depth=1
	v_cmp_gt_i32_e64 s0, s23, v67
	s_waitcnt vmcnt(0)
	v_cndmask_b32_e64 v5, 0, v5, s0
	v_cmp_gt_i32_e64 s0, s23, v69
	v_cndmask_b32_e64 v6, 0, v6, s0
	v_cmp_gt_i32_e64 s0, s23, v68
	;; [unrolled: 2-line block ×3, first 2 shown]
	v_cndmask_b32_e64 v8, 0, v8, s0
	s_or_b32 exec_lo, exec_lo, s5
	global_load_dwordx4 v[9:12], v[37:38], off offset:512
	s_and_saveexec_b32 s5, vcc_lo
	s_cbranch_execz .LBB38_35
.LBB38_48:                              ;   in Loop: Header=BB38_33 Depth=1
	v_cmp_gt_i32_e64 s0, s23, v67
	s_waitcnt vmcnt(0)
	v_cndmask_b32_e64 v9, 0, v9, s0
	v_cmp_gt_i32_e64 s0, s23, v69
	v_cndmask_b32_e64 v10, 0, v10, s0
	v_cmp_gt_i32_e64 s0, s23, v68
	;; [unrolled: 2-line block ×3, first 2 shown]
	v_cndmask_b32_e64 v12, 0, v12, s0
	s_or_b32 exec_lo, exec_lo, s5
	global_load_dwordx4 v[13:16], v[37:38], off offset:1024
	s_and_saveexec_b32 s5, vcc_lo
	s_cbranch_execz .LBB38_36
.LBB38_49:                              ;   in Loop: Header=BB38_33 Depth=1
	v_cmp_gt_i32_e64 s0, s23, v67
	s_waitcnt vmcnt(0)
	v_cndmask_b32_e64 v13, 0, v13, s0
	v_cmp_gt_i32_e64 s0, s23, v69
	v_cndmask_b32_e64 v14, 0, v14, s0
	v_cmp_gt_i32_e64 s0, s23, v68
	v_cndmask_b32_e64 v15, 0, v15, s0
	v_cmp_gt_i32_e64 s0, s23, v65
	v_cndmask_b32_e64 v16, 0, v16, s0
	s_or_b32 exec_lo, exec_lo, s5
	global_load_dwordx4 v[17:20], v[37:38], off offset:1536
	s_and_saveexec_b32 s5, vcc_lo
	s_cbranch_execnz .LBB38_37
	s_branch .LBB38_38
.LBB38_50:                              ;   in Loop: Header=BB38_33 Depth=1
	v_cmp_gt_i32_e64 s0, s23, v67
	s_waitcnt vmcnt(0)
	v_cndmask_b32_e64 v21, 0, v21, s0
	v_cmp_gt_i32_e64 s0, s23, v69
	v_cndmask_b32_e64 v22, 0, v22, s0
	v_cmp_gt_i32_e64 s0, s23, v68
	;; [unrolled: 2-line block ×3, first 2 shown]
	v_cndmask_b32_e64 v24, 0, v24, s0
	s_or_b32 exec_lo, exec_lo, s5
	global_load_dwordx4 v[25:28], v[33:34], off offset:512
	s_and_saveexec_b32 s5, vcc_lo
	s_cbranch_execz .LBB38_40
.LBB38_51:                              ;   in Loop: Header=BB38_33 Depth=1
	v_cmp_gt_i32_e64 s0, s23, v67
	s_waitcnt vmcnt(0)
	v_cndmask_b32_e64 v25, 0, v25, s0
	v_cmp_gt_i32_e64 s0, s23, v69
	v_cndmask_b32_e64 v26, 0, v26, s0
	v_cmp_gt_i32_e64 s0, s23, v68
	;; [unrolled: 2-line block ×3, first 2 shown]
	v_cndmask_b32_e64 v28, 0, v28, s0
	s_or_b32 exec_lo, exec_lo, s5
	global_load_dwordx4 v[29:32], v[33:34], off offset:1024
	s_and_saveexec_b32 s5, vcc_lo
	s_cbranch_execz .LBB38_41
.LBB38_52:                              ;   in Loop: Header=BB38_33 Depth=1
	v_cmp_gt_i32_e64 s0, s23, v67
	s_waitcnt vmcnt(0)
	v_cndmask_b32_e64 v29, 0, v29, s0
	v_cmp_gt_i32_e64 s0, s23, v69
	v_cndmask_b32_e64 v30, 0, v30, s0
	v_cmp_gt_i32_e64 s0, s23, v68
	;; [unrolled: 2-line block ×3, first 2 shown]
	v_cndmask_b32_e64 v32, 0, v32, s0
	s_or_b32 exec_lo, exec_lo, s5
	global_load_dwordx4 v[33:36], v[33:34], off offset:1536
	s_and_saveexec_b32 s5, vcc_lo
	s_cbranch_execnz .LBB38_42
	s_branch .LBB38_43
.LBB38_53:
	s_or_b32 exec_lo, exec_lo, s3
.LBB38_54:
	s_or_b32 exec_lo, exec_lo, s1
	ds_bpermute_b32 v1, v50, v60
	ds_bpermute_b32 v2, v50, v62
	ds_bpermute_b32 v3, v50, v61
	ds_bpermute_b32 v4, v50, v59
	ds_bpermute_b32 v5, v50, v58
	ds_bpermute_b32 v6, v50, v57
	ds_bpermute_b32 v7, v50, v56
	ds_bpermute_b32 v8, v50, v55
	ds_bpermute_b32 v9, v50, v54
	ds_bpermute_b32 v10, v50, v53
	v_and_b32_e32 v12, 28, v49
	v_lshrrev_b32_e32 v11, 2, v49
	v_mul_u32_u24_e32 v13, 0x140, v48
	v_and_b32_e32 v24, 0x3c3, v0
	s_mov_b32 s0, exec_lo
	v_add_nc_u32_e32 v12, 0x160, v12
	s_waitcnt lgkmcnt(0)
	s_waitcnt_vscnt null, 0x0
	s_barrier
	buffer_gl0_inv
	v_add_f32_e32 v1, v60, v1
	v_add_f32_e32 v2, v62, v2
	;; [unrolled: 1-line block ×10, first 2 shown]
	ds_bpermute_b32 v14, v51, v1
	ds_bpermute_b32 v15, v51, v2
	;; [unrolled: 1-line block ×10, first 2 shown]
	s_waitcnt lgkmcnt(9)
	v_add_f32_e32 v1, v1, v14
	s_waitcnt lgkmcnt(8)
	v_add_f32_e32 v2, v2, v15
	;; [unrolled: 2-line block ×10, first 2 shown]
	v_cmpx_eq_u32_e32 64, v24
	s_cbranch_execz .LBB38_56
; %bb.55:
	v_add_nc_u32_e32 v14, v12, v13
	v_add_nc_u32_e32 v15, 0xfffffd80, v14
	;; [unrolled: 1-line block ×6, first 2 shown]
	ds_write_b32 v15, v1
	ds_write_b32 v16, v2
	;; [unrolled: 1-line block ×5, first 2 shown]
	v_add_nc_u32_e32 v15, 0xfffffe20, v14
	v_add_nc_u32_e32 v16, 0xfffffe40, v14
	;; [unrolled: 1-line block ×5, first 2 shown]
	ds_write_b32 v15, v6
	ds_write_b32 v16, v7
	;; [unrolled: 1-line block ×5, first 2 shown]
.LBB38_56:
	s_or_b32 exec_lo, exec_lo, s0
	v_lshlrev_b32_e32 v11, 2, v11
	s_mov_b32 s1, exec_lo
	v_cmp_eq_u32_e32 vcc_lo, 0, v52
	s_waitcnt lgkmcnt(0)
	s_barrier
	v_add3_u32 v11, 0x160, v13, v11
	buffer_gl0_inv
	v_cmpx_gt_u32_e32 64, v0
	s_cbranch_execz .LBB38_69
; %bb.57:
	s_and_saveexec_b32 s0, vcc_lo
	s_cbranch_execnz .LBB38_87
; %bb.58:
	s_or_b32 exec_lo, exec_lo, s0
	s_and_saveexec_b32 s0, vcc_lo
	s_cbranch_execnz .LBB38_88
.LBB38_59:
	s_or_b32 exec_lo, exec_lo, s0
	s_and_saveexec_b32 s0, vcc_lo
	s_cbranch_execnz .LBB38_89
.LBB38_60:
	s_or_b32 exec_lo, exec_lo, s0
	s_and_saveexec_b32 s0, vcc_lo
	s_cbranch_execnz .LBB38_90
.LBB38_61:
	s_or_b32 exec_lo, exec_lo, s0
	s_and_saveexec_b32 s0, vcc_lo
	s_cbranch_execnz .LBB38_91
.LBB38_62:
	s_or_b32 exec_lo, exec_lo, s0
	s_and_saveexec_b32 s0, vcc_lo
	s_cbranch_execnz .LBB38_92
.LBB38_63:
	s_or_b32 exec_lo, exec_lo, s0
	s_and_saveexec_b32 s0, vcc_lo
	s_cbranch_execnz .LBB38_93
.LBB38_64:
	s_or_b32 exec_lo, exec_lo, s0
	s_and_saveexec_b32 s0, vcc_lo
	s_cbranch_execnz .LBB38_94
.LBB38_65:
	s_or_b32 exec_lo, exec_lo, s0
	s_and_saveexec_b32 s0, vcc_lo
	s_cbranch_execnz .LBB38_95
.LBB38_66:
	s_or_b32 exec_lo, exec_lo, s0
	s_and_saveexec_b32 s0, vcc_lo
	s_cbranch_execz .LBB38_68
.LBB38_67:
	ds_read_b32 v13, v11 offset:288
	s_waitcnt lgkmcnt(0)
	v_add_f32_e32 v10, v10, v13
.LBB38_68:
	s_or_b32 exec_lo, exec_lo, s0
.LBB38_69:
	s_or_b32 exec_lo, exec_lo, s1
	v_and_b32_e32 v13, 0x3e3, v0
	s_mov_b32 s1, exec_lo
	s_barrier
	buffer_gl0_inv
	v_cmpx_eq_u32_e32 32, v13
	s_cbranch_execz .LBB38_71
; %bb.70:
	ds_write2_b32 v12, v1, v2 offset1:8
	ds_write2_b32 v12, v3, v4 offset0:16 offset1:24
	ds_write2_b32 v12, v5, v6 offset0:32 offset1:40
	;; [unrolled: 1-line block ×4, first 2 shown]
.LBB38_71:
	s_or_b32 exec_lo, exec_lo, s1
	s_mov_b32 s1, exec_lo
	s_waitcnt lgkmcnt(0)
	s_barrier
	buffer_gl0_inv
	v_cmpx_gt_u32_e32 32, v0
	s_cbranch_execz .LBB38_84
; %bb.72:
	s_and_saveexec_b32 s0, vcc_lo
	s_cbranch_execnz .LBB38_96
; %bb.73:
	s_or_b32 exec_lo, exec_lo, s0
	s_and_saveexec_b32 s0, vcc_lo
	s_cbranch_execnz .LBB38_97
.LBB38_74:
	s_or_b32 exec_lo, exec_lo, s0
	s_and_saveexec_b32 s0, vcc_lo
	s_cbranch_execnz .LBB38_98
.LBB38_75:
	s_or_b32 exec_lo, exec_lo, s0
	s_and_saveexec_b32 s0, vcc_lo
	s_cbranch_execnz .LBB38_99
.LBB38_76:
	s_or_b32 exec_lo, exec_lo, s0
	s_and_saveexec_b32 s0, vcc_lo
	s_cbranch_execnz .LBB38_100
.LBB38_77:
	s_or_b32 exec_lo, exec_lo, s0
	s_and_saveexec_b32 s0, vcc_lo
	s_cbranch_execnz .LBB38_101
.LBB38_78:
	s_or_b32 exec_lo, exec_lo, s0
	s_and_saveexec_b32 s0, vcc_lo
	s_cbranch_execnz .LBB38_102
.LBB38_79:
	s_or_b32 exec_lo, exec_lo, s0
	s_and_saveexec_b32 s0, vcc_lo
	s_cbranch_execnz .LBB38_103
.LBB38_80:
	s_or_b32 exec_lo, exec_lo, s0
	s_and_saveexec_b32 s0, vcc_lo
	s_cbranch_execnz .LBB38_104
.LBB38_81:
	s_or_b32 exec_lo, exec_lo, s0
	s_and_saveexec_b32 s0, vcc_lo
	s_cbranch_execz .LBB38_83
.LBB38_82:
	ds_read_b32 v11, v11 offset:288
	s_waitcnt lgkmcnt(0)
	v_add_f32_e32 v10, v10, v11
.LBB38_83:
	s_or_b32 exec_lo, exec_lo, s0
.LBB38_84:
	s_or_b32 exec_lo, exec_lo, s1
	s_barrier
	buffer_gl0_inv
	s_mov_b32 s0, exec_lo
	v_cmpx_eq_u32_e32 0, v13
	s_cbranch_execz .LBB38_86
; %bb.85:
	s_mul_i32 s0, s2, 0x50
	s_mul_i32 s2, s7, s10
	s_ashr_i32 s1, s0, 31
	s_lshl_b64 s[0:1], s[0:1], 2
	s_add_u32 s4, s20, s0
	s_addc_u32 s5, s21, s1
	s_ashr_i32 s3, s2, 31
	s_lshl_b64 s[0:1], s[2:3], 2
	s_mul_i32 s2, s8, 0x50
	s_add_u32 s4, s4, s0
	s_addc_u32 s5, s5, s1
	s_ashr_i32 s3, s2, 31
	s_lshl_b64 s[0:1], s[2:3], 2
	s_add_u32 s0, s4, s0
	s_addc_u32 s1, s5, s1
	global_store_dword v0, v1, s[0:1]
	global_store_dword v0, v2, s[0:1] offset:32
	global_store_dword v0, v3, s[0:1] offset:64
	;; [unrolled: 1-line block ×9, first 2 shown]
.LBB38_86:
	s_endpgm
.LBB38_87:
	ds_read_b32 v13, v11
	s_waitcnt lgkmcnt(0)
	v_add_f32_e32 v1, v1, v13
	s_or_b32 exec_lo, exec_lo, s0
	s_and_saveexec_b32 s0, vcc_lo
	s_cbranch_execz .LBB38_59
.LBB38_88:
	ds_read_b32 v13, v11 offset:32
	s_waitcnt lgkmcnt(0)
	v_add_f32_e32 v2, v2, v13
	s_or_b32 exec_lo, exec_lo, s0
	s_and_saveexec_b32 s0, vcc_lo
	s_cbranch_execz .LBB38_60
.LBB38_89:
	ds_read_b32 v13, v11 offset:64
	s_waitcnt lgkmcnt(0)
	v_add_f32_e32 v3, v3, v13
	s_or_b32 exec_lo, exec_lo, s0
	s_and_saveexec_b32 s0, vcc_lo
	s_cbranch_execz .LBB38_61
.LBB38_90:
	ds_read_b32 v13, v11 offset:96
	s_waitcnt lgkmcnt(0)
	v_add_f32_e32 v4, v4, v13
	s_or_b32 exec_lo, exec_lo, s0
	s_and_saveexec_b32 s0, vcc_lo
	s_cbranch_execz .LBB38_62
.LBB38_91:
	ds_read_b32 v13, v11 offset:128
	s_waitcnt lgkmcnt(0)
	v_add_f32_e32 v5, v5, v13
	s_or_b32 exec_lo, exec_lo, s0
	s_and_saveexec_b32 s0, vcc_lo
	s_cbranch_execz .LBB38_63
.LBB38_92:
	ds_read_b32 v13, v11 offset:160
	s_waitcnt lgkmcnt(0)
	v_add_f32_e32 v6, v6, v13
	s_or_b32 exec_lo, exec_lo, s0
	s_and_saveexec_b32 s0, vcc_lo
	s_cbranch_execz .LBB38_64
.LBB38_93:
	ds_read_b32 v13, v11 offset:192
	s_waitcnt lgkmcnt(0)
	v_add_f32_e32 v7, v7, v13
	s_or_b32 exec_lo, exec_lo, s0
	s_and_saveexec_b32 s0, vcc_lo
	s_cbranch_execz .LBB38_65
.LBB38_94:
	ds_read_b32 v13, v11 offset:224
	s_waitcnt lgkmcnt(0)
	v_add_f32_e32 v8, v8, v13
	s_or_b32 exec_lo, exec_lo, s0
	s_and_saveexec_b32 s0, vcc_lo
	s_cbranch_execz .LBB38_66
.LBB38_95:
	ds_read_b32 v13, v11 offset:256
	s_waitcnt lgkmcnt(0)
	v_add_f32_e32 v9, v9, v13
	s_or_b32 exec_lo, exec_lo, s0
	s_and_saveexec_b32 s0, vcc_lo
	s_cbranch_execnz .LBB38_67
	s_branch .LBB38_68
.LBB38_96:
	ds_read_b32 v12, v11
	s_waitcnt lgkmcnt(0)
	v_add_f32_e32 v1, v1, v12
	s_or_b32 exec_lo, exec_lo, s0
	s_and_saveexec_b32 s0, vcc_lo
	s_cbranch_execz .LBB38_74
.LBB38_97:
	ds_read_b32 v12, v11 offset:32
	s_waitcnt lgkmcnt(0)
	v_add_f32_e32 v2, v2, v12
	s_or_b32 exec_lo, exec_lo, s0
	s_and_saveexec_b32 s0, vcc_lo
	s_cbranch_execz .LBB38_75
.LBB38_98:
	ds_read_b32 v12, v11 offset:64
	s_waitcnt lgkmcnt(0)
	v_add_f32_e32 v3, v3, v12
	s_or_b32 exec_lo, exec_lo, s0
	s_and_saveexec_b32 s0, vcc_lo
	s_cbranch_execz .LBB38_76
.LBB38_99:
	ds_read_b32 v12, v11 offset:96
	s_waitcnt lgkmcnt(0)
	v_add_f32_e32 v4, v4, v12
	s_or_b32 exec_lo, exec_lo, s0
	s_and_saveexec_b32 s0, vcc_lo
	s_cbranch_execz .LBB38_77
.LBB38_100:
	ds_read_b32 v12, v11 offset:128
	s_waitcnt lgkmcnt(0)
	v_add_f32_e32 v5, v5, v12
	s_or_b32 exec_lo, exec_lo, s0
	s_and_saveexec_b32 s0, vcc_lo
	s_cbranch_execz .LBB38_78
.LBB38_101:
	ds_read_b32 v12, v11 offset:160
	s_waitcnt lgkmcnt(0)
	v_add_f32_e32 v6, v6, v12
	s_or_b32 exec_lo, exec_lo, s0
	s_and_saveexec_b32 s0, vcc_lo
	s_cbranch_execz .LBB38_79
.LBB38_102:
	ds_read_b32 v12, v11 offset:192
	s_waitcnt lgkmcnt(0)
	v_add_f32_e32 v7, v7, v12
	s_or_b32 exec_lo, exec_lo, s0
	s_and_saveexec_b32 s0, vcc_lo
	s_cbranch_execz .LBB38_80
.LBB38_103:
	ds_read_b32 v12, v11 offset:224
	s_waitcnt lgkmcnt(0)
	v_add_f32_e32 v8, v8, v12
	s_or_b32 exec_lo, exec_lo, s0
	s_and_saveexec_b32 s0, vcc_lo
	s_cbranch_execz .LBB38_81
.LBB38_104:
	ds_read_b32 v12, v11 offset:256
	s_waitcnt lgkmcnt(0)
	v_add_f32_e32 v9, v9, v12
	s_or_b32 exec_lo, exec_lo, s0
	s_and_saveexec_b32 s0, vcc_lo
	s_cbranch_execnz .LBB38_82
	s_branch .LBB38_83
	.section	.rodata,"a",@progbits
	.p2align	6, 0x0
	.amdhsa_kernel _ZN4vllm25paged_attention_v2_kernelIffLi80ELi16ELi128ELNS_18Fp8KVCacheDataTypeE0ELb0ELi512EEEvPfS2_PT_PKS3_PKT0_S9_ifPKiSB_iPKfiiiSD_SD_iiiii
		.amdhsa_group_segment_fixed_size 352
		.amdhsa_private_segment_fixed_size 0
		.amdhsa_kernarg_size 400
		.amdhsa_user_sgpr_count 6
		.amdhsa_user_sgpr_private_segment_buffer 1
		.amdhsa_user_sgpr_dispatch_ptr 0
		.amdhsa_user_sgpr_queue_ptr 0
		.amdhsa_user_sgpr_kernarg_segment_ptr 1
		.amdhsa_user_sgpr_dispatch_id 0
		.amdhsa_user_sgpr_flat_scratch_init 0
		.amdhsa_user_sgpr_private_segment_size 0
		.amdhsa_wavefront_size32 1
		.amdhsa_uses_dynamic_stack 0
		.amdhsa_system_sgpr_private_segment_wavefront_offset 0
		.amdhsa_system_sgpr_workgroup_id_x 1
		.amdhsa_system_sgpr_workgroup_id_y 1
		.amdhsa_system_sgpr_workgroup_id_z 1
		.amdhsa_system_sgpr_workgroup_info 0
		.amdhsa_system_vgpr_workitem_id 0
		.amdhsa_next_free_vgpr 87
		.amdhsa_next_free_sgpr 36
		.amdhsa_reserve_vcc 1
		.amdhsa_reserve_flat_scratch 0
		.amdhsa_float_round_mode_32 0
		.amdhsa_float_round_mode_16_64 0
		.amdhsa_float_denorm_mode_32 3
		.amdhsa_float_denorm_mode_16_64 3
		.amdhsa_dx10_clamp 1
		.amdhsa_ieee_mode 1
		.amdhsa_fp16_overflow 0
		.amdhsa_workgroup_processor_mode 1
		.amdhsa_memory_ordered 1
		.amdhsa_forward_progress 1
		.amdhsa_shared_vgpr_count 0
		.amdhsa_exception_fp_ieee_invalid_op 0
		.amdhsa_exception_fp_denorm_src 0
		.amdhsa_exception_fp_ieee_div_zero 0
		.amdhsa_exception_fp_ieee_overflow 0
		.amdhsa_exception_fp_ieee_underflow 0
		.amdhsa_exception_fp_ieee_inexact 0
		.amdhsa_exception_int_div_zero 0
	.end_amdhsa_kernel
	.section	.text._ZN4vllm25paged_attention_v2_kernelIffLi80ELi16ELi128ELNS_18Fp8KVCacheDataTypeE0ELb0ELi512EEEvPfS2_PT_PKS3_PKT0_S9_ifPKiSB_iPKfiiiSD_SD_iiiii,"axG",@progbits,_ZN4vllm25paged_attention_v2_kernelIffLi80ELi16ELi128ELNS_18Fp8KVCacheDataTypeE0ELb0ELi512EEEvPfS2_PT_PKS3_PKT0_S9_ifPKiSB_iPKfiiiSD_SD_iiiii,comdat
.Lfunc_end38:
	.size	_ZN4vllm25paged_attention_v2_kernelIffLi80ELi16ELi128ELNS_18Fp8KVCacheDataTypeE0ELb0ELi512EEEvPfS2_PT_PKS3_PKT0_S9_ifPKiSB_iPKfiiiSD_SD_iiiii, .Lfunc_end38-_ZN4vllm25paged_attention_v2_kernelIffLi80ELi16ELi128ELNS_18Fp8KVCacheDataTypeE0ELb0ELi512EEEvPfS2_PT_PKS3_PKT0_S9_ifPKiSB_iPKfiiiSD_SD_iiiii
                                        ; -- End function
	.set _ZN4vllm25paged_attention_v2_kernelIffLi80ELi16ELi128ELNS_18Fp8KVCacheDataTypeE0ELb0ELi512EEEvPfS2_PT_PKS3_PKT0_S9_ifPKiSB_iPKfiiiSD_SD_iiiii.num_vgpr, 87
	.set _ZN4vllm25paged_attention_v2_kernelIffLi80ELi16ELi128ELNS_18Fp8KVCacheDataTypeE0ELb0ELi512EEEvPfS2_PT_PKS3_PKT0_S9_ifPKiSB_iPKfiiiSD_SD_iiiii.num_agpr, 0
	.set _ZN4vllm25paged_attention_v2_kernelIffLi80ELi16ELi128ELNS_18Fp8KVCacheDataTypeE0ELb0ELi512EEEvPfS2_PT_PKS3_PKT0_S9_ifPKiSB_iPKfiiiSD_SD_iiiii.numbered_sgpr, 36
	.set _ZN4vllm25paged_attention_v2_kernelIffLi80ELi16ELi128ELNS_18Fp8KVCacheDataTypeE0ELb0ELi512EEEvPfS2_PT_PKS3_PKT0_S9_ifPKiSB_iPKfiiiSD_SD_iiiii.num_named_barrier, 0
	.set _ZN4vllm25paged_attention_v2_kernelIffLi80ELi16ELi128ELNS_18Fp8KVCacheDataTypeE0ELb0ELi512EEEvPfS2_PT_PKS3_PKT0_S9_ifPKiSB_iPKfiiiSD_SD_iiiii.private_seg_size, 0
	.set _ZN4vllm25paged_attention_v2_kernelIffLi80ELi16ELi128ELNS_18Fp8KVCacheDataTypeE0ELb0ELi512EEEvPfS2_PT_PKS3_PKT0_S9_ifPKiSB_iPKfiiiSD_SD_iiiii.uses_vcc, 1
	.set _ZN4vllm25paged_attention_v2_kernelIffLi80ELi16ELi128ELNS_18Fp8KVCacheDataTypeE0ELb0ELi512EEEvPfS2_PT_PKS3_PKT0_S9_ifPKiSB_iPKfiiiSD_SD_iiiii.uses_flat_scratch, 0
	.set _ZN4vllm25paged_attention_v2_kernelIffLi80ELi16ELi128ELNS_18Fp8KVCacheDataTypeE0ELb0ELi512EEEvPfS2_PT_PKS3_PKT0_S9_ifPKiSB_iPKfiiiSD_SD_iiiii.has_dyn_sized_stack, 0
	.set _ZN4vllm25paged_attention_v2_kernelIffLi80ELi16ELi128ELNS_18Fp8KVCacheDataTypeE0ELb0ELi512EEEvPfS2_PT_PKS3_PKT0_S9_ifPKiSB_iPKfiiiSD_SD_iiiii.has_recursion, 0
	.set _ZN4vllm25paged_attention_v2_kernelIffLi80ELi16ELi128ELNS_18Fp8KVCacheDataTypeE0ELb0ELi512EEEvPfS2_PT_PKS3_PKT0_S9_ifPKiSB_iPKfiiiSD_SD_iiiii.has_indirect_call, 0
	.section	.AMDGPU.csdata,"",@progbits
; Kernel info:
; codeLenInByte = 5824
; TotalNumSgprs: 38
; NumVgprs: 87
; ScratchSize: 0
; MemoryBound: 0
; FloatMode: 240
; IeeeMode: 1
; LDSByteSize: 352 bytes/workgroup (compile time only)
; SGPRBlocks: 0
; VGPRBlocks: 10
; NumSGPRsForWavesPerEU: 38
; NumVGPRsForWavesPerEU: 87
; Occupancy: 10
; WaveLimiterHint : 1
; COMPUTE_PGM_RSRC2:SCRATCH_EN: 0
; COMPUTE_PGM_RSRC2:USER_SGPR: 6
; COMPUTE_PGM_RSRC2:TRAP_HANDLER: 0
; COMPUTE_PGM_RSRC2:TGID_X_EN: 1
; COMPUTE_PGM_RSRC2:TGID_Y_EN: 1
; COMPUTE_PGM_RSRC2:TGID_Z_EN: 1
; COMPUTE_PGM_RSRC2:TIDIG_COMP_CNT: 0
	.section	.text._ZN4vllm25paged_attention_v2_kernelIffLi96ELi16ELi128ELNS_18Fp8KVCacheDataTypeE0ELb0ELi512EEEvPfS2_PT_PKS3_PKT0_S9_ifPKiSB_iPKfiiiSD_SD_iiiii,"axG",@progbits,_ZN4vllm25paged_attention_v2_kernelIffLi96ELi16ELi128ELNS_18Fp8KVCacheDataTypeE0ELb0ELi512EEEvPfS2_PT_PKS3_PKT0_S9_ifPKiSB_iPKfiiiSD_SD_iiiii,comdat
	.protected	_ZN4vllm25paged_attention_v2_kernelIffLi96ELi16ELi128ELNS_18Fp8KVCacheDataTypeE0ELb0ELi512EEEvPfS2_PT_PKS3_PKT0_S9_ifPKiSB_iPKfiiiSD_SD_iiiii ; -- Begin function _ZN4vllm25paged_attention_v2_kernelIffLi96ELi16ELi128ELNS_18Fp8KVCacheDataTypeE0ELb0ELi512EEEvPfS2_PT_PKS3_PKT0_S9_ifPKiSB_iPKfiiiSD_SD_iiiii
	.globl	_ZN4vllm25paged_attention_v2_kernelIffLi96ELi16ELi128ELNS_18Fp8KVCacheDataTypeE0ELb0ELi512EEEvPfS2_PT_PKS3_PKT0_S9_ifPKiSB_iPKfiiiSD_SD_iiiii
	.p2align	8
	.type	_ZN4vllm25paged_attention_v2_kernelIffLi96ELi16ELi128ELNS_18Fp8KVCacheDataTypeE0ELb0ELi512EEEvPfS2_PT_PKS3_PKT0_S9_ifPKiSB_iPKfiiiSD_SD_iiiii,@function
_ZN4vllm25paged_attention_v2_kernelIffLi96ELi16ELi128ELNS_18Fp8KVCacheDataTypeE0ELb0ELi512EEEvPfS2_PT_PKS3_PKT0_S9_ifPKiSB_iPKfiiiSD_SD_iiiii: ; @_ZN4vllm25paged_attention_v2_kernelIffLi96ELi16ELi128ELNS_18Fp8KVCacheDataTypeE0ELb0ELi512EEEvPfS2_PT_PKS3_PKT0_S9_ifPKiSB_iPKfiiiSD_SD_iiiii
; %bb.0:
	s_load_dwordx2 s[0:1], s[4:5], 0x40
	s_mov_b32 s22, s7
	s_ashr_i32 s23, s7, 31
	s_lshl_b64 s[2:3], s[22:23], 2
	s_waitcnt lgkmcnt(0)
	s_add_u32 s0, s0, s2
	s_addc_u32 s1, s1, s3
	s_lshl_b32 s33, s8, 9
	s_load_dword s23, s[0:1], 0x0
	s_waitcnt lgkmcnt(0)
	s_cmp_ge_i32 s33, s23
	s_cbranch_scc1 .LBB39_94
; %bb.1:
	s_clause 0x1
	s_load_dword s9, s[4:5], 0x90
	s_load_dwordx2 s[30:31], s[4:5], 0x30
	s_mov_b32 s34, 0
	s_waitcnt lgkmcnt(0)
	s_abs_i32 s3, s9
	s_abs_i32 s0, s30
	v_cvt_f32_u32_e32 v1, s0
	s_sub_i32 s2, 0, s0
	v_rcp_iflag_f32_e32 v1, v1
	v_mul_f32_e32 v1, 0x4f7ffffe, v1
	v_cvt_u32_f32_e32 v1, v1
	v_readfirstlane_b32 s1, v1
	s_mul_i32 s2, s2, s1
	s_mul_hi_u32 s2, s1, s2
	s_add_i32 s1, s1, s2
	s_xor_b32 s2, s9, s30
	s_mul_hi_u32 s1, s3, s1
	s_ashr_i32 s2, s2, 31
	s_mul_i32 s7, s1, s0
	s_sub_i32 s3, s3, s7
	s_add_i32 s7, s1, 1
	s_sub_i32 s10, s3, s0
	s_cmp_ge_u32 s3, s0
	s_cselect_b32 s1, s7, s1
	s_cselect_b32 s3, s10, s3
	s_add_i32 s7, s1, 1
	s_cmp_ge_u32 s3, s0
	s_cselect_b32 s0, s7, s1
	s_abs_i32 s16, s6
	s_xor_b32 s0, s0, s2
	s_sub_i32 s10, s0, s2
	s_load_dwordx2 s[0:1], s[4:5], 0x50
	s_abs_i32 s2, s10
	v_cvt_f32_u32_e32 v1, s2
	s_sub_i32 s7, 0, s2
	v_rcp_iflag_f32_e32 v1, v1
	v_mul_f32_e32 v1, 0x4f7ffffe, v1
	v_cvt_u32_f32_e32 v1, v1
	v_readfirstlane_b32 s3, v1
	s_mul_i32 s7, s7, s3
	s_mul_hi_u32 s7, s3, s7
	s_add_i32 s3, s3, s7
	s_waitcnt lgkmcnt(0)
	s_cmp_eq_u64 s[0:1], 0
	s_mul_hi_u32 s3, s16, s3
	s_cbranch_scc1 .LBB39_3
; %bb.2:
	s_ashr_i32 s7, s6, 31
	s_lshl_b64 s[12:13], s[6:7], 2
	s_add_u32 s0, s0, s12
	s_addc_u32 s1, s1, s13
	s_load_dword s34, s[0:1], 0x0
.LBB39_3:
	s_load_dwordx4 s[12:15], s[4:5], 0x58
	v_and_b32_e32 v41, 1, v0
	v_lshlrev_b32_e32 v1, 3, v0
	v_lshlrev_b32_e32 v51, 2, v0
	s_ashr_i32 s0, s6, 31
	s_ashr_i32 s1, s10, 31
	s_mul_i32 s10, s6, 0x60
	s_mov_b32 s7, exec_lo
	v_cmpx_gt_u32_e32 48, v0
	s_cbranch_execz .LBB39_5
; %bb.4:
	s_load_dwordx2 s[18:19], s[4:5], 0x18
	s_waitcnt lgkmcnt(0)
	s_mul_i32 s20, s12, s22
	v_and_b32_e32 v4, 0xff8, v51
	s_ashr_i32 s21, s20, 31
	s_lshl_b64 s[20:21], s[20:21], 2
	v_mad_u32_u24 v4, 0xc0, v41, v4
	s_add_u32 s12, s18, s20
	s_addc_u32 s15, s19, s21
	s_ashr_i32 s11, s10, 31
	s_lshl_b64 s[18:19], s[10:11], 2
	s_add_u32 s18, s12, s18
	s_addc_u32 s19, s15, s19
	global_load_dwordx2 v[2:3], v1, s[18:19]
	s_waitcnt vmcnt(0)
	ds_write_b64 v4, v[2:3]
.LBB39_5:
	s_or_b32 exec_lo, exec_lo, s7
	s_add_i32 s7, s23, 15
	s_load_dwordx2 s[24:25], s[4:5], 0x38
	s_waitcnt lgkmcnt(0)
	s_load_dword s15, s[4:5], 0x48
	s_ashr_i32 s11, s7, 31
	s_lshl_b32 s30, s8, 5
	s_lshr_b32 s11, s11, 28
	s_xor_b32 s0, s0, s1
	s_add_i32 s7, s7, s11
	s_add_i32 s1, s30, 32
	s_ashr_i32 s12, s7, 4
	s_mul_i32 s7, s3, s2
	s_min_i32 s11, s1, s12
	s_sub_i32 s1, s16, s7
	s_add_i32 s7, s3, 1
	s_sub_i32 s16, s1, s2
	s_cmp_ge_u32 s1, s2
	v_lshrrev_b32_e32 v56, 5, v0
	s_cselect_b32 s3, s7, s3
	s_cselect_b32 s1, s16, s1
	s_add_i32 s7, s3, 1
	s_cmp_ge_u32 s1, s2
	v_or_b32_e32 v53, s30, v56
	s_cselect_b32 s1, s7, s3
	v_mbcnt_lo_u32_b32 v52, -1, 0
	s_xor_b32 s1, s1, s0
	s_waitcnt lgkmcnt(0)
	s_mul_i32 s26, s15, s22
	s_sub_i32 s1, s1, s0
	v_cmp_gt_i32_e64 s0, s11, v53
	s_ashr_i32 s27, s26, 31
	s_mov_b32 s2, exec_lo
	s_barrier
	buffer_gl0_inv
                                        ; implicit-def: $vgpr55
                                        ; implicit-def: $vgpr59
	v_cmpx_le_i32_e64 s11, v53
	s_xor_b32 s2, exec_lo, s2
; %bb.6:
	v_mov_b32_e32 v55, 0
	v_mbcnt_lo_u32_b32 v52, -1, 0
	v_mov_b32_e32 v59, 32
                                        ; implicit-def: $vgpr1
                                        ; implicit-def: $vgpr41
; %bb.7:
	s_or_saveexec_b32 s35, s2
	s_clause 0x3
	s_load_dwordx4 s[16:19], s[4:5], 0x0
	s_load_dwordx2 s[20:21], s[4:5], 0x10
	s_load_dwordx2 s[28:29], s[4:5], 0x28
	s_load_dword s7, s[4:5], 0x98
	v_mov_b32_e32 v61, 0xff7fffff
	v_ashrrev_i32_e32 v54, 31, v53
	s_mul_i32 s14, s1, s14
	s_xor_b32 exec_lo, exec_lo, s35
	s_cbranch_execz .LBB39_13
; %bb.8:
	s_load_dwordx2 s[2:3], s[4:5], 0x20
	v_bfe_u32 v49, v0, 1, 4
	s_ashr_i32 s15, s14, 31
	v_xor_b32_e32 v26, 1, v52
	s_lshl_b64 s[4:5], s[14:15], 2
	v_and_b32_e32 v25, 8, v1
	v_lshlrev_b32_e32 v27, 4, v49
	v_mul_u32_u24_e32 v45, 0xc0, v41
	v_cmp_gt_i32_e32 vcc_lo, 32, v26
	ds_read_b128 v[1:4], v45
	ds_read_b128 v[5:8], v45 offset:16
	ds_read_b128 v[9:12], v45 offset:32
	;; [unrolled: 1-line block ×5, first 2 shown]
	v_cndmask_b32_e32 v42, v52, v26, vcc_lo
	v_lshlrev_b32_e32 v50, 2, v49
	v_lshlrev_b32_e32 v61, 4, v56
	v_mov_b32_e32 v55, 0
	v_mov_b32_e32 v59, 32
	v_lshlrev_b32_e32 v60, 2, v42
	v_lshl_or_b32 v63, v56, 6, v50
	s_waitcnt lgkmcnt(0)
	s_add_u32 s1, s2, s4
	s_addc_u32 s2, s3, s5
	v_add_co_u32 v27, s1, s1, v27
	v_add_co_ci_u32_e64 v28, null, s2, 0, s1
	v_add3_u32 v62, s33, v61, v49
	v_add_co_u32 v57, vcc_lo, v27, v25
	v_add_co_ci_u32_e64 v58, null, 0, v28, vcc_lo
	ds_read_b128 v[25:28], v45 offset:96
	ds_read_b128 v[29:32], v45 offset:112
	;; [unrolled: 1-line block ×4, first 2 shown]
	v_cmp_eq_u32_e32 vcc_lo, 0, v41
	ds_read_b128 v[41:44], v45 offset:160
	ds_read_b128 v[45:48], v45 offset:176
	v_lshlrev_b64 v[49:50], 2, v[53:54]
	s_lshl_b64 s[2:3], s[26:27], 2
	s_sub_i32 s4, 1, s23
	s_add_u32 s2, s24, s2
	s_addc_u32 s3, s25, s3
	v_cmp_neq_f32_e64 s1, s34, 0
	v_add_co_u32 v49, s2, s2, v49
	v_add_nc_u32_e32 v63, 0x1a0, v63
	v_add_co_ci_u32_e64 v50, null, s3, v50, s2
	v_mov_b32_e32 v61, 0xff7fffff
	v_mov_b32_e32 v64, v53
	s_mov_b32 s15, s13
	s_mov_b32 s5, 0
	s_branch .LBB39_10
.LBB39_9:                               ;   in Loop: Header=BB39_10 Depth=1
	s_or_b32 exec_lo, exec_lo, s3
	v_add_nc_u32_e32 v64, 4, v64
	v_add_co_u32 v49, s3, v49, 16
	v_add_nc_u32_e32 v62, 64, v62
	v_add_nc_u32_e32 v63, 0x100, v63
	v_cmp_le_i32_e64 s2, s11, v64
	v_add_co_ci_u32_e64 v50, null, 0, v50, s3
	s_or_b32 s5, s2, s5
	s_andn2_b32 exec_lo, exec_lo, s5
	s_cbranch_execz .LBB39_12
.LBB39_10:                              ; =>This Inner Loop Header: Depth=1
	global_load_dword v65, v[49:50], off
	s_waitcnt vmcnt(0) lgkmcnt(0)
	v_mad_i64_i32 v[65:66], null, v65, s15, 0
	v_lshlrev_b64 v[65:66], 2, v[65:66]
	v_add_co_u32 v65, s2, v57, v65
	v_add_co_ci_u32_e64 v66, null, v58, v66, s2
	s_clause 0x7
	global_load_dwordx2 v[67:68], v[65:66], off offset:256
	global_load_dwordx2 v[69:70], v[65:66], off offset:512
	;; [unrolled: 1-line block ×3, first 2 shown]
	global_load_dwordx2 v[73:74], v[65:66], off
	global_load_dwordx2 v[75:76], v[65:66], off offset:1024
	global_load_dwordx2 v[77:78], v[65:66], off offset:1280
	;; [unrolled: 1-line block ×4, first 2 shown]
	v_add_co_u32 v81, s2, v65, 0x1000
	v_add_co_ci_u32_e64 v82, null, 0, v66, s2
	v_add_co_u32 v85, s2, 0x800, v65
	v_add_co_ci_u32_e64 v86, null, 0, v66, s2
	s_clause 0x7
	global_load_dwordx2 v[87:88], v[81:82], off offset:-2048
	global_load_dwordx2 v[89:90], v[85:86], off offset:256
	global_load_dwordx2 v[91:92], v[85:86], off offset:512
	;; [unrolled: 1-line block ×7, first 2 shown]
	v_add_co_u32 v65, s2, 0x1000, v65
	v_add_co_ci_u32_e64 v66, null, 0, v66, s2
	global_load_dwordx2 v[81:82], v[81:82], off
	s_waitcnt vmcnt(16)
	v_mul_f32_e32 v101, v3, v67
	v_mul_f32_e32 v102, v4, v68
	global_load_dwordx2 v[67:68], v[65:66], off offset:256
	s_waitcnt vmcnt(14)
	v_fmac_f32_e32 v101, v1, v73
	v_fmac_f32_e32 v102, v2, v74
	global_load_dwordx2 v[73:74], v[65:66], off offset:512
	v_fmac_f32_e32 v101, v5, v69
	v_fmac_f32_e32 v102, v6, v70
	global_load_dwordx2 v[69:70], v[65:66], off offset:768
	;; [unrolled: 3-line block ×3, first 2 shown]
	s_waitcnt vmcnt(16)
	v_fmac_f32_e32 v101, v9, v75
	v_fmac_f32_e32 v102, v10, v76
	global_load_dwordx2 v[75:76], v[65:66], off offset:1280
	s_waitcnt vmcnt(16)
	v_fmac_f32_e32 v101, v11, v77
	v_fmac_f32_e32 v102, v12, v78
	s_clause 0x1
	global_load_dwordx2 v[77:78], v[65:66], off offset:1536
	global_load_dwordx2 v[65:66], v[65:66], off offset:1792
	s_waitcnt vmcnt(17)
	v_fmac_f32_e32 v101, v13, v79
	v_fmac_f32_e32 v102, v14, v80
	s_waitcnt vmcnt(16)
	v_fmac_f32_e32 v101, v15, v83
	v_fmac_f32_e32 v102, v16, v84
	;; [unrolled: 3-line block ×6, first 2 shown]
	s_waitcnt vmcnt(11) lgkmcnt(5)
	v_fmac_f32_e32 v101, v25, v95
	v_fmac_f32_e32 v102, v26, v96
	s_waitcnt vmcnt(10)
	v_fmac_f32_e32 v101, v27, v97
	v_fmac_f32_e32 v102, v28, v98
	s_waitcnt vmcnt(9) lgkmcnt(4)
	v_fmac_f32_e32 v101, v29, v99
	v_fmac_f32_e32 v102, v30, v100
	s_waitcnt vmcnt(8)
	v_fmac_f32_e32 v101, v31, v85
	v_fmac_f32_e32 v102, v32, v86
	;; [unrolled: 6-line block ×6, first 2 shown]
	v_add_f32_e32 v65, v101, v102
	ds_bpermute_b32 v66, v60, v65
	s_and_saveexec_b32 s3, vcc_lo
	s_cbranch_execz .LBB39_9
; %bb.11:                               ;   in Loop: Header=BB39_10 Depth=1
	v_add_nc_u32_e32 v67, s4, v62
	s_waitcnt lgkmcnt(0)
	v_add_f32_e32 v65, v65, v66
	v_cmp_gt_i32_e64 s2, s23, v62
	v_cvt_f32_i32_e32 v67, v67
	v_mul_f32_e32 v67, s34, v67
	v_cndmask_b32_e64 v66, 0, v67, s1
	v_max_f32_e32 v67, v61, v61
	v_fmac_f32_e32 v66, s31, v65
	v_max_f32_e32 v65, v67, v66
	v_cndmask_b32_e64 v66, 0, v66, s2
	v_cndmask_b32_e64 v61, v61, v65, s2
	ds_write_b32 v63, v66
	s_branch .LBB39_9
.LBB39_12:
	s_or_b32 exec_lo, exec_lo, s5
.LBB39_13:
	s_or_b32 exec_lo, exec_lo, s35
	v_xor_b32_e32 v1, 16, v52
	v_xor_b32_e32 v3, 8, v52
	v_max_f32_e32 v5, v61, v61
	v_xor_b32_e32 v6, 2, v52
	v_and_b32_e32 v57, 31, v0
	v_cmp_lt_i32_e32 vcc_lo, v1, v59
	v_cndmask_b32_e32 v1, v52, v1, vcc_lo
	v_cmp_lt_i32_e32 vcc_lo, v3, v59
	v_lshlrev_b32_e32 v2, 2, v1
	v_cndmask_b32_e32 v3, v52, v3, vcc_lo
	ds_bpermute_b32 v1, v2, v61
	v_lshlrev_b32_e32 v4, 2, v3
	s_waitcnt lgkmcnt(0)
	v_max_f32_e32 v1, v1, v1
	v_max_f32_e32 v1, v5, v1
	v_xor_b32_e32 v5, 4, v52
	ds_bpermute_b32 v3, v4, v1
	v_cmp_lt_i32_e32 vcc_lo, v5, v59
	v_cndmask_b32_e32 v5, v52, v5, vcc_lo
	v_cmp_lt_i32_e32 vcc_lo, v6, v59
	v_lshlrev_b32_e32 v5, 2, v5
	v_cndmask_b32_e32 v6, v52, v6, vcc_lo
	v_cmp_eq_u32_e32 vcc_lo, 0, v57
	v_lshlrev_b32_e32 v58, 2, v6
	v_lshlrev_b32_e32 v6, 2, v56
	s_waitcnt lgkmcnt(0)
	v_max_f32_e32 v3, v3, v3
	v_max_f32_e32 v1, v1, v3
	ds_bpermute_b32 v3, v5, v1
	s_waitcnt lgkmcnt(0)
	v_max_f32_e32 v3, v3, v3
	v_max_f32_e32 v1, v1, v3
	ds_bpermute_b32 v3, v58, v1
	s_and_saveexec_b32 s1, vcc_lo
	s_cbranch_execz .LBB39_15
; %bb.14:
	s_waitcnt lgkmcnt(0)
	v_max_f32_e32 v3, v3, v3
	v_max_f32_e32 v1, v1, v1
	v_max_f32_e32 v1, v1, v3
	ds_write_b32 v6, v1 offset:384
.LBB39_15:
	s_or_b32 exec_lo, exec_lo, s1
	v_cmp_gt_u32_e64 s1, 4, v57
	v_mov_b32_e32 v1, 0xff7fffff
	v_lshlrev_b32_e32 v7, 2, v57
	s_waitcnt lgkmcnt(0)
	s_barrier
	buffer_gl0_inv
	s_and_saveexec_b32 s2, s1
; %bb.16:
	ds_read_b32 v1, v7 offset:384
; %bb.17:
	s_or_b32 exec_lo, exec_lo, s2
	s_waitcnt lgkmcnt(0)
	ds_bpermute_b32 v3, v58, v1
	v_xor_b32_e32 v8, 1, v52
	v_max_f32_e32 v1, v1, v1
	v_cmp_lt_i32_e64 s2, v8, v59
	v_cndmask_b32_e64 v8, v52, v8, s2
	s_sub_i32 s2, s11, s30
	s_lshl_b32 s2, s2, 4
	v_lshlrev_b32_e32 v59, 2, v8
	s_add_i32 s2, s2, s33
	v_mov_b32_e32 v8, 0
	s_min_i32 s2, s2, s23
	s_waitcnt lgkmcnt(0)
	v_max_f32_e32 v3, v3, v3
	s_sub_i32 s4, s2, s33
	v_cmp_gt_i32_e64 s2, s4, v0
	v_max_f32_e32 v1, v1, v3
	ds_bpermute_b32 v3, v59, v1
	s_waitcnt lgkmcnt(0)
	v_max_f32_e32 v3, v3, v3
	v_max_f32_e32 v1, v1, v3
	v_lshlrev_b32_e32 v3, 2, v55
	ds_bpermute_b32 v1, v3, v1
	v_lshl_add_u32 v3, v0, 2, 0x1a0
	s_and_saveexec_b32 s5, s2
	s_cbranch_execz .LBB39_21
; %bb.18:
	v_lshl_add_u32 v9, v0, 2, 0x1a0
	v_mov_b32_e32 v8, 0
	v_mov_b32_e32 v10, v0
	s_mov_b32 s15, 0
	.p2align	6
.LBB39_19:                              ; =>This Inner Loop Header: Depth=1
	ds_read_b32 v11, v9
	v_add_nc_u32_e32 v10, 0x80, v10
	v_cmp_le_i32_e64 s3, s4, v10
	s_or_b32 s15, s3, s15
	s_waitcnt lgkmcnt(0)
	v_sub_f32_e32 v11, v11, v1
	v_mul_f32_e32 v11, 0x3fb8aa3b, v11
	v_exp_f32_e32 v11, v11
	ds_write_b32 v9, v11
	v_add_f32_e32 v8, v8, v11
	v_add_nc_u32_e32 v9, 0x200, v9
	s_andn2_b32 exec_lo, exec_lo, s15
	s_cbranch_execnz .LBB39_19
; %bb.20:
	s_or_b32 exec_lo, exec_lo, s15
.LBB39_21:
	s_or_b32 exec_lo, exec_lo, s5
	ds_bpermute_b32 v2, v2, v8
	s_waitcnt lgkmcnt(0)
	v_add_f32_e32 v2, v8, v2
	ds_bpermute_b32 v4, v4, v2
	s_waitcnt lgkmcnt(0)
	v_add_f32_e32 v2, v2, v4
	;; [unrolled: 3-line block ×5, first 2 shown]
	s_and_saveexec_b32 s3, vcc_lo
; %bb.22:
	ds_write_b32 v6, v2 offset:400
; %bb.23:
	s_or_b32 exec_lo, exec_lo, s3
	s_waitcnt lgkmcnt(0)
	s_barrier
	buffer_gl0_inv
	s_and_saveexec_b32 s3, s1
; %bb.24:
	ds_read_b32 v2, v7 offset:400
; %bb.25:
	s_or_b32 exec_lo, exec_lo, s3
	s_waitcnt lgkmcnt(0)
	ds_bpermute_b32 v4, v58, v2
	v_lshlrev_b32_e32 v5, 2, v52
	s_waitcnt lgkmcnt(0)
	v_add_f32_e32 v2, v2, v4
	ds_bpermute_b32 v4, v59, v2
	s_waitcnt lgkmcnt(0)
	v_add_f32_e32 v2, v2, v4
	v_and_b32_e32 v4, 0xffffff80, v5
	ds_bpermute_b32 v2, v4, v2
	s_and_saveexec_b32 s1, s2
	s_cbranch_execz .LBB39_28
; %bb.26:
	s_waitcnt lgkmcnt(0)
	v_add_f32_e32 v4, 0x358637bd, v2
	s_mov_b32 s2, 0
	v_div_scale_f32 v5, null, v4, v4, 1.0
	v_div_scale_f32 v8, vcc_lo, 1.0, v4, 1.0
	v_rcp_f32_e32 v6, v5
	v_fma_f32 v7, -v5, v6, 1.0
	v_fmac_f32_e32 v6, v7, v6
	v_mul_f32_e32 v7, v8, v6
	v_fma_f32 v9, -v5, v7, v8
	v_fmac_f32_e32 v7, v9, v6
	v_fma_f32 v5, -v5, v7, v8
	v_div_fmas_f32 v5, v5, v6, v7
	v_div_fixup_f32 v4, v5, v4, 1.0
	v_mov_b32_e32 v5, v0
.LBB39_27:                              ; =>This Inner Loop Header: Depth=1
	ds_read_b32 v6, v3
	v_add_nc_u32_e32 v5, 0x80, v5
	v_cmp_le_i32_e32 vcc_lo, s4, v5
	s_or_b32 s2, vcc_lo, s2
	s_waitcnt lgkmcnt(0)
	v_mul_f32_e32 v6, v4, v6
	ds_write_b32 v3, v6
	v_add_nc_u32_e32 v3, 0x200, v3
	s_andn2_b32 exec_lo, exec_lo, s2
	s_cbranch_execnz .LBB39_27
.LBB39_28:
	s_or_b32 exec_lo, exec_lo, s1
	s_mul_i32 s1, s7, s22
	s_waitcnt lgkmcnt(0)
	s_mul_i32 s2, s1, s9
	s_mov_b32 s1, exec_lo
	s_barrier
	buffer_gl0_inv
	v_cmpx_eq_u32_e32 0, v0
	s_cbranch_execz .LBB39_30
; %bb.29:
	s_ashr_i32 s3, s2, 31
	s_mul_i32 s30, s7, s6
	s_lshl_b64 s[4:5], s[2:3], 2
	v_mov_b32_e32 v3, 0
	s_add_u32 s3, s18, s4
	s_addc_u32 s6, s19, s5
	s_ashr_i32 s31, s30, 31
	s_lshl_b64 s[18:19], s[30:31], 2
	s_add_u32 s3, s3, s18
	s_addc_u32 s6, s6, s19
	s_ashr_i32 s9, s8, 31
	s_lshl_b64 s[30:31], s[8:9], 2
	s_add_u32 s34, s3, s30
	s_addc_u32 s35, s6, s31
	s_add_u32 s3, s16, s4
	s_addc_u32 s4, s17, s5
	;; [unrolled: 2-line block ×4, first 2 shown]
	global_store_dword v3, v1, s[34:35]
	global_store_dword v3, v2, s[4:5]
.LBB39_30:
	s_or_b32 exec_lo, exec_lo, s1
	v_mov_b32_e32 v70, 0
	v_and_b32_e32 v60, 3, v0
	v_mov_b32_e32 v72, 0
	v_mov_b32_e32 v71, 0
	;; [unrolled: 1-line block ×11, first 2 shown]
	s_and_saveexec_b32 s1, s0
	s_cbranch_execz .LBB39_58
; %bb.31:
	v_lshlrev_b32_e32 v2, 4, v0
	s_ashr_i32 s15, s14, 31
	v_and_b32_e32 v1, 12, v51
	v_lshl_add_u32 v4, v56, 4, s33
	s_lshl_b64 s[4:5], s[14:15], 2
	v_and_b32_e32 v2, 0x1f0, v2
	s_add_u32 s0, s28, s4
	v_lshlrev_b32_e32 v3, 4, v60
	v_add3_u32 v75, v4, v1, 3
	s_addc_u32 s3, s29, s5
	v_add_co_u32 v73, s0, s0, v2
	v_lshlrev_b64 v[1:2], 2, v[53:54]
	s_lshl_b64 s[4:5], s[26:27], 2
	s_add_i32 s12, s12, -1
	v_lshl_or_b32 v3, v56, 6, v3
	v_add_co_ci_u32_e64 v74, null, s3, 0, s0
	s_add_u32 s0, s24, s4
	s_addc_u32 s3, s25, s5
	v_add_co_u32 v54, vcc_lo, s0, v1
	v_mov_b32_e32 v61, 0
	v_add_nc_u32_e32 v76, 0x1a0, v3
	v_add_co_ci_u32_e64 v55, null, s3, v2, vcc_lo
	v_mov_b32_e32 v62, 0
	v_mov_b32_e32 v63, 0
	;; [unrolled: 1-line block ×11, first 2 shown]
	s_mov_b32 s4, s13
	s_mov_b32 s3, 0
	s_branch .LBB39_33
.LBB39_32:                              ;   in Loop: Header=BB39_33 Depth=1
	s_or_b32 exec_lo, exec_lo, s0
	s_waitcnt vmcnt(1) lgkmcnt(0)
	v_mul_f32_e32 v49, v1, v49
	v_mul_f32_e32 v45, v1, v45
	;; [unrolled: 1-line block ×11, first 2 shown]
	s_waitcnt vmcnt(0)
	v_mul_f32_e32 v1, v1, v41
	v_fmac_f32_e32 v49, v2, v50
	v_fmac_f32_e32 v45, v2, v46
	v_fmac_f32_e32 v37, v2, v38
	v_fmac_f32_e32 v33, v2, v34
	v_fmac_f32_e32 v29, v2, v30
	v_fmac_f32_e32 v25, v2, v26
	v_fmac_f32_e32 v21, v2, v22
	v_fmac_f32_e32 v17, v2, v18
	v_fmac_f32_e32 v13, v2, v14
	v_fmac_f32_e32 v9, v2, v10
	v_fmac_f32_e32 v5, v2, v6
	v_fmac_f32_e32 v1, v2, v42
	v_fmac_f32_e32 v49, v3, v51
	v_fmac_f32_e32 v45, v3, v47
	v_fmac_f32_e32 v37, v3, v39
	v_fmac_f32_e32 v33, v3, v35
	v_fmac_f32_e32 v29, v3, v31
	v_fmac_f32_e32 v25, v3, v27
	v_fmac_f32_e32 v21, v3, v23
	v_fmac_f32_e32 v17, v3, v19
	v_fmac_f32_e32 v13, v3, v15
	v_fmac_f32_e32 v9, v3, v11
	v_fmac_f32_e32 v5, v3, v7
	v_fmac_f32_e32 v1, v3, v43
	v_add_nc_u32_e32 v53, 4, v53
	v_fmac_f32_e32 v49, v4, v52
	v_fmac_f32_e32 v45, v4, v48
	;; [unrolled: 1-line block ×12, first 2 shown]
	v_cmp_le_i32_e32 vcc_lo, s11, v53
	v_add_co_u32 v54, s0, v54, 16
	v_add_f32_e32 v62, v62, v49
	v_add_f32_e32 v63, v63, v45
	;; [unrolled: 1-line block ×12, first 2 shown]
	v_add_nc_u32_e32 v75, 64, v75
	v_add_nc_u32_e32 v76, 0x100, v76
	v_add_co_ci_u32_e64 v55, null, 0, v55, s0
	s_or_b32 s3, vcc_lo, s3
	s_andn2_b32 exec_lo, exec_lo, s3
	s_cbranch_execz .LBB39_57
.LBB39_33:                              ; =>This Inner Loop Header: Depth=1
	global_load_dword v1, v[54:55], off
	v_add_nc_u32_e32 v77, -3, v75
	v_add_nc_u32_e32 v79, -2, v75
	;; [unrolled: 1-line block ×3, first 2 shown]
	s_waitcnt vmcnt(0)
	v_mad_i64_i32 v[1:2], null, v1, s4, 0
	v_lshlrev_b64 v[1:2], 2, v[1:2]
	v_add_co_u32 v37, vcc_lo, v73, v1
	v_add_co_ci_u32_e64 v38, null, v74, v2, vcc_lo
	ds_read_b128 v[1:4], v76
	v_cmp_eq_u32_e32 vcc_lo, s12, v53
	global_load_dwordx4 v[5:8], v[37:38], off
	s_and_saveexec_b32 s5, vcc_lo
	s_cbranch_execnz .LBB39_47
; %bb.34:                               ;   in Loop: Header=BB39_33 Depth=1
	s_or_b32 exec_lo, exec_lo, s5
	global_load_dwordx4 v[9:12], v[37:38], off offset:512
	s_and_saveexec_b32 s5, vcc_lo
	s_cbranch_execnz .LBB39_48
.LBB39_35:                              ;   in Loop: Header=BB39_33 Depth=1
	s_or_b32 exec_lo, exec_lo, s5
	global_load_dwordx4 v[13:16], v[37:38], off offset:1024
	s_and_saveexec_b32 s5, vcc_lo
	s_cbranch_execnz .LBB39_49
.LBB39_36:                              ;   in Loop: Header=BB39_33 Depth=1
	s_or_b32 exec_lo, exec_lo, s5
	global_load_dwordx4 v[17:20], v[37:38], off offset:1536
	s_and_saveexec_b32 s5, vcc_lo
	s_cbranch_execz .LBB39_38
.LBB39_37:                              ;   in Loop: Header=BB39_33 Depth=1
	v_cmp_gt_i32_e64 s0, s23, v77
	s_waitcnt vmcnt(0)
	v_cndmask_b32_e64 v17, 0, v17, s0
	v_cmp_gt_i32_e64 s0, s23, v79
	v_cndmask_b32_e64 v18, 0, v18, s0
	v_cmp_gt_i32_e64 s0, s23, v78
	;; [unrolled: 2-line block ×3, first 2 shown]
	v_cndmask_b32_e64 v20, 0, v20, s0
.LBB39_38:                              ;   in Loop: Header=BB39_33 Depth=1
	s_or_b32 exec_lo, exec_lo, s5
	v_add_co_u32 v33, s0, 0x800, v37
	v_add_co_ci_u32_e64 v34, null, 0, v38, s0
	global_load_dwordx4 v[21:24], v[33:34], off
	s_and_saveexec_b32 s5, vcc_lo
	s_cbranch_execnz .LBB39_50
; %bb.39:                               ;   in Loop: Header=BB39_33 Depth=1
	s_or_b32 exec_lo, exec_lo, s5
	global_load_dwordx4 v[25:28], v[33:34], off offset:512
	s_and_saveexec_b32 s5, vcc_lo
	s_cbranch_execnz .LBB39_51
.LBB39_40:                              ;   in Loop: Header=BB39_33 Depth=1
	s_or_b32 exec_lo, exec_lo, s5
	global_load_dwordx4 v[29:32], v[33:34], off offset:1024
	s_and_saveexec_b32 s5, vcc_lo
	s_cbranch_execnz .LBB39_52
.LBB39_41:                              ;   in Loop: Header=BB39_33 Depth=1
	s_or_b32 exec_lo, exec_lo, s5
	global_load_dwordx4 v[33:36], v[33:34], off offset:1536
	s_and_saveexec_b32 s5, vcc_lo
	s_cbranch_execz .LBB39_43
.LBB39_42:                              ;   in Loop: Header=BB39_33 Depth=1
	v_cmp_gt_i32_e64 s0, s23, v77
	s_waitcnt vmcnt(0)
	v_cndmask_b32_e64 v33, 0, v33, s0
	v_cmp_gt_i32_e64 s0, s23, v79
	v_cndmask_b32_e64 v34, 0, v34, s0
	v_cmp_gt_i32_e64 s0, s23, v78
	;; [unrolled: 2-line block ×3, first 2 shown]
	v_cndmask_b32_e64 v36, 0, v36, s0
.LBB39_43:                              ;   in Loop: Header=BB39_33 Depth=1
	s_or_b32 exec_lo, exec_lo, s5
	v_add_co_u32 v41, s0, 0x1000, v37
	v_add_co_ci_u32_e64 v42, null, 0, v38, s0
	global_load_dwordx4 v[37:40], v[41:42], off
	s_and_saveexec_b32 s5, vcc_lo
	s_cbranch_execnz .LBB39_53
; %bb.44:                               ;   in Loop: Header=BB39_33 Depth=1
	s_or_b32 exec_lo, exec_lo, s5
	global_load_dwordx4 v[45:48], v[41:42], off offset:512
	s_and_saveexec_b32 s5, vcc_lo
	s_cbranch_execnz .LBB39_54
.LBB39_45:                              ;   in Loop: Header=BB39_33 Depth=1
	s_or_b32 exec_lo, exec_lo, s5
	global_load_dwordx4 v[49:52], v[41:42], off offset:1024
	s_and_saveexec_b32 s5, vcc_lo
	s_cbranch_execnz .LBB39_55
.LBB39_46:                              ;   in Loop: Header=BB39_33 Depth=1
	s_or_b32 exec_lo, exec_lo, s5
	global_load_dwordx4 v[41:44], v[41:42], off offset:1536
	s_and_saveexec_b32 s0, vcc_lo
	s_cbranch_execz .LBB39_32
	s_branch .LBB39_56
.LBB39_47:                              ;   in Loop: Header=BB39_33 Depth=1
	v_cmp_gt_i32_e64 s0, s23, v77
	s_waitcnt vmcnt(0)
	v_cndmask_b32_e64 v5, 0, v5, s0
	v_cmp_gt_i32_e64 s0, s23, v79
	v_cndmask_b32_e64 v6, 0, v6, s0
	v_cmp_gt_i32_e64 s0, s23, v78
	;; [unrolled: 2-line block ×3, first 2 shown]
	v_cndmask_b32_e64 v8, 0, v8, s0
	s_or_b32 exec_lo, exec_lo, s5
	global_load_dwordx4 v[9:12], v[37:38], off offset:512
	s_and_saveexec_b32 s5, vcc_lo
	s_cbranch_execz .LBB39_35
.LBB39_48:                              ;   in Loop: Header=BB39_33 Depth=1
	v_cmp_gt_i32_e64 s0, s23, v77
	s_waitcnt vmcnt(0)
	v_cndmask_b32_e64 v9, 0, v9, s0
	v_cmp_gt_i32_e64 s0, s23, v79
	v_cndmask_b32_e64 v10, 0, v10, s0
	v_cmp_gt_i32_e64 s0, s23, v78
	;; [unrolled: 2-line block ×3, first 2 shown]
	v_cndmask_b32_e64 v12, 0, v12, s0
	s_or_b32 exec_lo, exec_lo, s5
	global_load_dwordx4 v[13:16], v[37:38], off offset:1024
	s_and_saveexec_b32 s5, vcc_lo
	s_cbranch_execz .LBB39_36
.LBB39_49:                              ;   in Loop: Header=BB39_33 Depth=1
	v_cmp_gt_i32_e64 s0, s23, v77
	s_waitcnt vmcnt(0)
	v_cndmask_b32_e64 v13, 0, v13, s0
	v_cmp_gt_i32_e64 s0, s23, v79
	v_cndmask_b32_e64 v14, 0, v14, s0
	v_cmp_gt_i32_e64 s0, s23, v78
	;; [unrolled: 2-line block ×3, first 2 shown]
	v_cndmask_b32_e64 v16, 0, v16, s0
	s_or_b32 exec_lo, exec_lo, s5
	global_load_dwordx4 v[17:20], v[37:38], off offset:1536
	s_and_saveexec_b32 s5, vcc_lo
	s_cbranch_execnz .LBB39_37
	s_branch .LBB39_38
.LBB39_50:                              ;   in Loop: Header=BB39_33 Depth=1
	v_cmp_gt_i32_e64 s0, s23, v77
	s_waitcnt vmcnt(0)
	v_cndmask_b32_e64 v21, 0, v21, s0
	v_cmp_gt_i32_e64 s0, s23, v79
	v_cndmask_b32_e64 v22, 0, v22, s0
	v_cmp_gt_i32_e64 s0, s23, v78
	;; [unrolled: 2-line block ×3, first 2 shown]
	v_cndmask_b32_e64 v24, 0, v24, s0
	s_or_b32 exec_lo, exec_lo, s5
	global_load_dwordx4 v[25:28], v[33:34], off offset:512
	s_and_saveexec_b32 s5, vcc_lo
	s_cbranch_execz .LBB39_40
.LBB39_51:                              ;   in Loop: Header=BB39_33 Depth=1
	v_cmp_gt_i32_e64 s0, s23, v77
	s_waitcnt vmcnt(0)
	v_cndmask_b32_e64 v25, 0, v25, s0
	v_cmp_gt_i32_e64 s0, s23, v79
	v_cndmask_b32_e64 v26, 0, v26, s0
	v_cmp_gt_i32_e64 s0, s23, v78
	;; [unrolled: 2-line block ×3, first 2 shown]
	v_cndmask_b32_e64 v28, 0, v28, s0
	s_or_b32 exec_lo, exec_lo, s5
	global_load_dwordx4 v[29:32], v[33:34], off offset:1024
	s_and_saveexec_b32 s5, vcc_lo
	s_cbranch_execz .LBB39_41
.LBB39_52:                              ;   in Loop: Header=BB39_33 Depth=1
	v_cmp_gt_i32_e64 s0, s23, v77
	s_waitcnt vmcnt(0)
	v_cndmask_b32_e64 v29, 0, v29, s0
	v_cmp_gt_i32_e64 s0, s23, v79
	v_cndmask_b32_e64 v30, 0, v30, s0
	v_cmp_gt_i32_e64 s0, s23, v78
	;; [unrolled: 2-line block ×3, first 2 shown]
	v_cndmask_b32_e64 v32, 0, v32, s0
	s_or_b32 exec_lo, exec_lo, s5
	global_load_dwordx4 v[33:36], v[33:34], off offset:1536
	s_and_saveexec_b32 s5, vcc_lo
	s_cbranch_execnz .LBB39_42
	s_branch .LBB39_43
.LBB39_53:                              ;   in Loop: Header=BB39_33 Depth=1
	v_cmp_gt_i32_e64 s0, s23, v77
	s_waitcnt vmcnt(0)
	v_cndmask_b32_e64 v37, 0, v37, s0
	v_cmp_gt_i32_e64 s0, s23, v79
	v_cndmask_b32_e64 v38, 0, v38, s0
	v_cmp_gt_i32_e64 s0, s23, v78
	;; [unrolled: 2-line block ×3, first 2 shown]
	v_cndmask_b32_e64 v40, 0, v40, s0
	s_or_b32 exec_lo, exec_lo, s5
	global_load_dwordx4 v[45:48], v[41:42], off offset:512
	s_and_saveexec_b32 s5, vcc_lo
	s_cbranch_execz .LBB39_45
.LBB39_54:                              ;   in Loop: Header=BB39_33 Depth=1
	v_cmp_gt_i32_e64 s0, s23, v77
	s_waitcnt vmcnt(0)
	v_cndmask_b32_e64 v45, 0, v45, s0
	v_cmp_gt_i32_e64 s0, s23, v79
	v_cndmask_b32_e64 v46, 0, v46, s0
	v_cmp_gt_i32_e64 s0, s23, v78
	;; [unrolled: 2-line block ×3, first 2 shown]
	v_cndmask_b32_e64 v48, 0, v48, s0
	s_or_b32 exec_lo, exec_lo, s5
	global_load_dwordx4 v[49:52], v[41:42], off offset:1024
	s_and_saveexec_b32 s5, vcc_lo
	s_cbranch_execz .LBB39_46
.LBB39_55:                              ;   in Loop: Header=BB39_33 Depth=1
	v_cmp_gt_i32_e64 s0, s23, v77
	s_waitcnt vmcnt(0)
	v_cndmask_b32_e64 v49, 0, v49, s0
	v_cmp_gt_i32_e64 s0, s23, v79
	v_cndmask_b32_e64 v50, 0, v50, s0
	v_cmp_gt_i32_e64 s0, s23, v78
	;; [unrolled: 2-line block ×3, first 2 shown]
	v_cndmask_b32_e64 v52, 0, v52, s0
	s_or_b32 exec_lo, exec_lo, s5
	global_load_dwordx4 v[41:44], v[41:42], off offset:1536
	s_and_saveexec_b32 s0, vcc_lo
	s_cbranch_execz .LBB39_32
.LBB39_56:                              ;   in Loop: Header=BB39_33 Depth=1
	v_cmp_gt_i32_e32 vcc_lo, s23, v77
	s_waitcnt vmcnt(0)
	v_cndmask_b32_e32 v41, 0, v41, vcc_lo
	v_cmp_gt_i32_e32 vcc_lo, s23, v79
	v_cndmask_b32_e32 v42, 0, v42, vcc_lo
	v_cmp_gt_i32_e32 vcc_lo, s23, v78
	;; [unrolled: 2-line block ×3, first 2 shown]
	v_cndmask_b32_e32 v44, 0, v44, vcc_lo
	s_branch .LBB39_32
.LBB39_57:
	s_or_b32 exec_lo, exec_lo, s3
.LBB39_58:
	s_or_b32 exec_lo, exec_lo, s1
	ds_bpermute_b32 v2, v58, v72
	ds_bpermute_b32 v1, v58, v70
	;; [unrolled: 1-line block ×12, first 2 shown]
	s_mov_b32 s0, exec_lo
	s_waitcnt lgkmcnt(0)
	s_waitcnt_vscnt null, 0x0
	s_barrier
	buffer_gl0_inv
	v_add_f32_e32 v2, v72, v2
	v_add_f32_e32 v1, v70, v1
	;; [unrolled: 1-line block ×12, first 2 shown]
	ds_bpermute_b32 v14, v59, v2
	ds_bpermute_b32 v13, v59, v1
	;; [unrolled: 1-line block ×12, first 2 shown]
	s_waitcnt lgkmcnt(11)
	v_add_f32_e32 v2, v2, v14
	v_and_b32_e32 v14, 28, v57
	s_waitcnt lgkmcnt(10)
	v_add_f32_e32 v1, v1, v13
	s_waitcnt lgkmcnt(9)
	v_add_f32_e32 v3, v3, v15
	;; [unrolled: 2-line block ×10, first 2 shown]
	v_and_b32_e32 v16, 0x3c3, v0
	s_waitcnt lgkmcnt(0)
	v_add_f32_e32 v12, v12, v24
	v_lshrrev_b32_e32 v13, 2, v57
	v_add_nc_u32_e32 v14, 0x1a0, v14
	v_mul_u32_u24_e32 v15, 0x180, v56
	v_cmpx_eq_u32_e32 64, v16
	s_cbranch_execz .LBB39_60
; %bb.59:
	v_add_nc_u32_e32 v16, v14, v15
	v_add_nc_u32_e32 v17, 0xfffffd00, v16
	;; [unrolled: 1-line block ×8, first 2 shown]
	ds_write_b32 v17, v1
	ds_write_b32 v18, v2
	;; [unrolled: 1-line block ×7, first 2 shown]
	v_add_nc_u32_e32 v17, 0xfffffde0, v16
	v_add_nc_u32_e32 v18, 0xfffffe00, v16
	;; [unrolled: 1-line block ×5, first 2 shown]
	ds_write_b32 v17, v8
	ds_write_b32 v18, v9
	;; [unrolled: 1-line block ×5, first 2 shown]
.LBB39_60:
	s_or_b32 exec_lo, exec_lo, s0
	v_lshlrev_b32_e32 v13, 2, v13
	s_mov_b32 s1, exec_lo
	v_cmp_eq_u32_e32 vcc_lo, 0, v60
	s_waitcnt lgkmcnt(0)
	s_barrier
	v_add3_u32 v13, 0x1a0, v15, v13
	buffer_gl0_inv
	v_cmpx_gt_u32_e32 64, v0
	s_cbranch_execz .LBB39_75
; %bb.61:
	s_and_saveexec_b32 s0, vcc_lo
	s_cbranch_execnz .LBB39_95
; %bb.62:
	s_or_b32 exec_lo, exec_lo, s0
	s_and_saveexec_b32 s0, vcc_lo
	s_cbranch_execnz .LBB39_96
.LBB39_63:
	s_or_b32 exec_lo, exec_lo, s0
	s_and_saveexec_b32 s0, vcc_lo
	s_cbranch_execnz .LBB39_97
.LBB39_64:
	s_or_b32 exec_lo, exec_lo, s0
	s_and_saveexec_b32 s0, vcc_lo
	s_cbranch_execnz .LBB39_98
.LBB39_65:
	s_or_b32 exec_lo, exec_lo, s0
	s_and_saveexec_b32 s0, vcc_lo
	s_cbranch_execnz .LBB39_99
.LBB39_66:
	s_or_b32 exec_lo, exec_lo, s0
	s_and_saveexec_b32 s0, vcc_lo
	s_cbranch_execnz .LBB39_100
.LBB39_67:
	s_or_b32 exec_lo, exec_lo, s0
	s_and_saveexec_b32 s0, vcc_lo
	s_cbranch_execnz .LBB39_101
.LBB39_68:
	s_or_b32 exec_lo, exec_lo, s0
	s_and_saveexec_b32 s0, vcc_lo
	s_cbranch_execnz .LBB39_102
.LBB39_69:
	s_or_b32 exec_lo, exec_lo, s0
	s_and_saveexec_b32 s0, vcc_lo
	s_cbranch_execnz .LBB39_103
.LBB39_70:
	s_or_b32 exec_lo, exec_lo, s0
	s_and_saveexec_b32 s0, vcc_lo
	s_cbranch_execnz .LBB39_104
.LBB39_71:
	s_or_b32 exec_lo, exec_lo, s0
	s_and_saveexec_b32 s0, vcc_lo
	s_cbranch_execnz .LBB39_105
.LBB39_72:
	s_or_b32 exec_lo, exec_lo, s0
	s_and_saveexec_b32 s0, vcc_lo
	s_cbranch_execz .LBB39_74
.LBB39_73:
	ds_read_b32 v15, v13 offset:352
	s_waitcnt lgkmcnt(0)
	v_add_f32_e32 v12, v12, v15
.LBB39_74:
	s_or_b32 exec_lo, exec_lo, s0
.LBB39_75:
	s_or_b32 exec_lo, exec_lo, s1
	v_and_b32_e32 v15, 0x3e3, v0
	s_mov_b32 s1, exec_lo
	s_barrier
	buffer_gl0_inv
	v_cmpx_eq_u32_e32 32, v15
	s_cbranch_execz .LBB39_77
; %bb.76:
	ds_write2_b32 v14, v1, v2 offset1:8
	ds_write2_b32 v14, v3, v4 offset0:16 offset1:24
	ds_write2_b32 v14, v5, v6 offset0:32 offset1:40
	;; [unrolled: 1-line block ×5, first 2 shown]
.LBB39_77:
	s_or_b32 exec_lo, exec_lo, s1
	s_mov_b32 s1, exec_lo
	s_waitcnt lgkmcnt(0)
	s_barrier
	buffer_gl0_inv
	v_cmpx_gt_u32_e32 32, v0
	s_cbranch_execz .LBB39_92
; %bb.78:
	s_and_saveexec_b32 s0, vcc_lo
	s_cbranch_execnz .LBB39_106
; %bb.79:
	s_or_b32 exec_lo, exec_lo, s0
	s_and_saveexec_b32 s0, vcc_lo
	s_cbranch_execnz .LBB39_107
.LBB39_80:
	s_or_b32 exec_lo, exec_lo, s0
	s_and_saveexec_b32 s0, vcc_lo
	s_cbranch_execnz .LBB39_108
.LBB39_81:
	s_or_b32 exec_lo, exec_lo, s0
	s_and_saveexec_b32 s0, vcc_lo
	s_cbranch_execnz .LBB39_109
.LBB39_82:
	s_or_b32 exec_lo, exec_lo, s0
	s_and_saveexec_b32 s0, vcc_lo
	s_cbranch_execnz .LBB39_110
.LBB39_83:
	s_or_b32 exec_lo, exec_lo, s0
	s_and_saveexec_b32 s0, vcc_lo
	s_cbranch_execnz .LBB39_111
.LBB39_84:
	s_or_b32 exec_lo, exec_lo, s0
	s_and_saveexec_b32 s0, vcc_lo
	s_cbranch_execnz .LBB39_112
.LBB39_85:
	s_or_b32 exec_lo, exec_lo, s0
	s_and_saveexec_b32 s0, vcc_lo
	s_cbranch_execnz .LBB39_113
.LBB39_86:
	s_or_b32 exec_lo, exec_lo, s0
	s_and_saveexec_b32 s0, vcc_lo
	s_cbranch_execnz .LBB39_114
.LBB39_87:
	s_or_b32 exec_lo, exec_lo, s0
	s_and_saveexec_b32 s0, vcc_lo
	s_cbranch_execnz .LBB39_115
.LBB39_88:
	s_or_b32 exec_lo, exec_lo, s0
	s_and_saveexec_b32 s0, vcc_lo
	s_cbranch_execnz .LBB39_116
.LBB39_89:
	s_or_b32 exec_lo, exec_lo, s0
	s_and_saveexec_b32 s0, vcc_lo
	s_cbranch_execz .LBB39_91
.LBB39_90:
	ds_read_b32 v13, v13 offset:352
	s_waitcnt lgkmcnt(0)
	v_add_f32_e32 v12, v12, v13
.LBB39_91:
	s_or_b32 exec_lo, exec_lo, s0
.LBB39_92:
	s_or_b32 exec_lo, exec_lo, s1
	s_barrier
	buffer_gl0_inv
	s_mov_b32 s0, exec_lo
	v_cmpx_eq_u32_e32 0, v15
	s_cbranch_execz .LBB39_94
; %bb.93:
	s_mul_i32 s0, s2, 0x60
	s_mul_i32 s2, s7, s10
	s_ashr_i32 s1, s0, 31
	s_lshl_b64 s[0:1], s[0:1], 2
	s_add_u32 s4, s20, s0
	s_addc_u32 s5, s21, s1
	s_ashr_i32 s3, s2, 31
	s_lshl_b64 s[0:1], s[2:3], 2
	s_mul_i32 s2, s8, 0x60
	s_add_u32 s4, s4, s0
	s_addc_u32 s5, s5, s1
	s_ashr_i32 s3, s2, 31
	s_lshl_b64 s[0:1], s[2:3], 2
	s_add_u32 s0, s4, s0
	s_addc_u32 s1, s5, s1
	global_store_dword v0, v1, s[0:1]
	global_store_dword v0, v2, s[0:1] offset:32
	global_store_dword v0, v3, s[0:1] offset:64
	;; [unrolled: 1-line block ×11, first 2 shown]
.LBB39_94:
	s_endpgm
.LBB39_95:
	ds_read_b32 v15, v13
	s_waitcnt lgkmcnt(0)
	v_add_f32_e32 v1, v1, v15
	s_or_b32 exec_lo, exec_lo, s0
	s_and_saveexec_b32 s0, vcc_lo
	s_cbranch_execz .LBB39_63
.LBB39_96:
	ds_read_b32 v15, v13 offset:32
	s_waitcnt lgkmcnt(0)
	v_add_f32_e32 v2, v2, v15
	s_or_b32 exec_lo, exec_lo, s0
	s_and_saveexec_b32 s0, vcc_lo
	s_cbranch_execz .LBB39_64
.LBB39_97:
	ds_read_b32 v15, v13 offset:64
	s_waitcnt lgkmcnt(0)
	v_add_f32_e32 v3, v3, v15
	s_or_b32 exec_lo, exec_lo, s0
	s_and_saveexec_b32 s0, vcc_lo
	s_cbranch_execz .LBB39_65
.LBB39_98:
	ds_read_b32 v15, v13 offset:96
	s_waitcnt lgkmcnt(0)
	v_add_f32_e32 v4, v4, v15
	s_or_b32 exec_lo, exec_lo, s0
	s_and_saveexec_b32 s0, vcc_lo
	s_cbranch_execz .LBB39_66
.LBB39_99:
	ds_read_b32 v15, v13 offset:128
	s_waitcnt lgkmcnt(0)
	v_add_f32_e32 v5, v5, v15
	s_or_b32 exec_lo, exec_lo, s0
	s_and_saveexec_b32 s0, vcc_lo
	s_cbranch_execz .LBB39_67
.LBB39_100:
	ds_read_b32 v15, v13 offset:160
	s_waitcnt lgkmcnt(0)
	v_add_f32_e32 v6, v6, v15
	s_or_b32 exec_lo, exec_lo, s0
	s_and_saveexec_b32 s0, vcc_lo
	s_cbranch_execz .LBB39_68
.LBB39_101:
	ds_read_b32 v15, v13 offset:192
	s_waitcnt lgkmcnt(0)
	v_add_f32_e32 v7, v7, v15
	s_or_b32 exec_lo, exec_lo, s0
	s_and_saveexec_b32 s0, vcc_lo
	s_cbranch_execz .LBB39_69
.LBB39_102:
	ds_read_b32 v15, v13 offset:224
	s_waitcnt lgkmcnt(0)
	v_add_f32_e32 v8, v8, v15
	s_or_b32 exec_lo, exec_lo, s0
	s_and_saveexec_b32 s0, vcc_lo
	s_cbranch_execz .LBB39_70
.LBB39_103:
	ds_read_b32 v15, v13 offset:256
	s_waitcnt lgkmcnt(0)
	v_add_f32_e32 v9, v9, v15
	s_or_b32 exec_lo, exec_lo, s0
	s_and_saveexec_b32 s0, vcc_lo
	s_cbranch_execz .LBB39_71
.LBB39_104:
	ds_read_b32 v15, v13 offset:288
	s_waitcnt lgkmcnt(0)
	v_add_f32_e32 v10, v10, v15
	s_or_b32 exec_lo, exec_lo, s0
	s_and_saveexec_b32 s0, vcc_lo
	s_cbranch_execz .LBB39_72
.LBB39_105:
	ds_read_b32 v15, v13 offset:320
	s_waitcnt lgkmcnt(0)
	v_add_f32_e32 v11, v11, v15
	s_or_b32 exec_lo, exec_lo, s0
	s_and_saveexec_b32 s0, vcc_lo
	s_cbranch_execnz .LBB39_73
	s_branch .LBB39_74
.LBB39_106:
	ds_read_b32 v14, v13
	s_waitcnt lgkmcnt(0)
	v_add_f32_e32 v1, v1, v14
	s_or_b32 exec_lo, exec_lo, s0
	s_and_saveexec_b32 s0, vcc_lo
	s_cbranch_execz .LBB39_80
.LBB39_107:
	ds_read_b32 v14, v13 offset:32
	s_waitcnt lgkmcnt(0)
	v_add_f32_e32 v2, v2, v14
	s_or_b32 exec_lo, exec_lo, s0
	s_and_saveexec_b32 s0, vcc_lo
	s_cbranch_execz .LBB39_81
.LBB39_108:
	ds_read_b32 v14, v13 offset:64
	s_waitcnt lgkmcnt(0)
	v_add_f32_e32 v3, v3, v14
	s_or_b32 exec_lo, exec_lo, s0
	s_and_saveexec_b32 s0, vcc_lo
	s_cbranch_execz .LBB39_82
.LBB39_109:
	ds_read_b32 v14, v13 offset:96
	s_waitcnt lgkmcnt(0)
	v_add_f32_e32 v4, v4, v14
	s_or_b32 exec_lo, exec_lo, s0
	s_and_saveexec_b32 s0, vcc_lo
	s_cbranch_execz .LBB39_83
.LBB39_110:
	ds_read_b32 v14, v13 offset:128
	s_waitcnt lgkmcnt(0)
	v_add_f32_e32 v5, v5, v14
	s_or_b32 exec_lo, exec_lo, s0
	s_and_saveexec_b32 s0, vcc_lo
	s_cbranch_execz .LBB39_84
.LBB39_111:
	ds_read_b32 v14, v13 offset:160
	s_waitcnt lgkmcnt(0)
	v_add_f32_e32 v6, v6, v14
	s_or_b32 exec_lo, exec_lo, s0
	s_and_saveexec_b32 s0, vcc_lo
	s_cbranch_execz .LBB39_85
.LBB39_112:
	ds_read_b32 v14, v13 offset:192
	s_waitcnt lgkmcnt(0)
	v_add_f32_e32 v7, v7, v14
	s_or_b32 exec_lo, exec_lo, s0
	s_and_saveexec_b32 s0, vcc_lo
	s_cbranch_execz .LBB39_86
.LBB39_113:
	ds_read_b32 v14, v13 offset:224
	s_waitcnt lgkmcnt(0)
	v_add_f32_e32 v8, v8, v14
	s_or_b32 exec_lo, exec_lo, s0
	s_and_saveexec_b32 s0, vcc_lo
	s_cbranch_execz .LBB39_87
.LBB39_114:
	ds_read_b32 v14, v13 offset:256
	s_waitcnt lgkmcnt(0)
	v_add_f32_e32 v9, v9, v14
	s_or_b32 exec_lo, exec_lo, s0
	s_and_saveexec_b32 s0, vcc_lo
	s_cbranch_execz .LBB39_88
.LBB39_115:
	ds_read_b32 v14, v13 offset:288
	s_waitcnt lgkmcnt(0)
	v_add_f32_e32 v10, v10, v14
	s_or_b32 exec_lo, exec_lo, s0
	s_and_saveexec_b32 s0, vcc_lo
	s_cbranch_execz .LBB39_89
.LBB39_116:
	ds_read_b32 v14, v13 offset:320
	s_waitcnt lgkmcnt(0)
	v_add_f32_e32 v11, v11, v14
	s_or_b32 exec_lo, exec_lo, s0
	s_and_saveexec_b32 s0, vcc_lo
	s_cbranch_execnz .LBB39_90
	s_branch .LBB39_91
	.section	.rodata,"a",@progbits
	.p2align	6, 0x0
	.amdhsa_kernel _ZN4vllm25paged_attention_v2_kernelIffLi96ELi16ELi128ELNS_18Fp8KVCacheDataTypeE0ELb0ELi512EEEvPfS2_PT_PKS3_PKT0_S9_ifPKiSB_iPKfiiiSD_SD_iiiii
		.amdhsa_group_segment_fixed_size 416
		.amdhsa_private_segment_fixed_size 0
		.amdhsa_kernarg_size 400
		.amdhsa_user_sgpr_count 6
		.amdhsa_user_sgpr_private_segment_buffer 1
		.amdhsa_user_sgpr_dispatch_ptr 0
		.amdhsa_user_sgpr_queue_ptr 0
		.amdhsa_user_sgpr_kernarg_segment_ptr 1
		.amdhsa_user_sgpr_dispatch_id 0
		.amdhsa_user_sgpr_flat_scratch_init 0
		.amdhsa_user_sgpr_private_segment_size 0
		.amdhsa_wavefront_size32 1
		.amdhsa_uses_dynamic_stack 0
		.amdhsa_system_sgpr_private_segment_wavefront_offset 0
		.amdhsa_system_sgpr_workgroup_id_x 1
		.amdhsa_system_sgpr_workgroup_id_y 1
		.amdhsa_system_sgpr_workgroup_id_z 1
		.amdhsa_system_sgpr_workgroup_info 0
		.amdhsa_system_vgpr_workitem_id 0
		.amdhsa_next_free_vgpr 103
		.amdhsa_next_free_sgpr 36
		.amdhsa_reserve_vcc 1
		.amdhsa_reserve_flat_scratch 0
		.amdhsa_float_round_mode_32 0
		.amdhsa_float_round_mode_16_64 0
		.amdhsa_float_denorm_mode_32 3
		.amdhsa_float_denorm_mode_16_64 3
		.amdhsa_dx10_clamp 1
		.amdhsa_ieee_mode 1
		.amdhsa_fp16_overflow 0
		.amdhsa_workgroup_processor_mode 1
		.amdhsa_memory_ordered 1
		.amdhsa_forward_progress 1
		.amdhsa_shared_vgpr_count 0
		.amdhsa_exception_fp_ieee_invalid_op 0
		.amdhsa_exception_fp_denorm_src 0
		.amdhsa_exception_fp_ieee_div_zero 0
		.amdhsa_exception_fp_ieee_overflow 0
		.amdhsa_exception_fp_ieee_underflow 0
		.amdhsa_exception_fp_ieee_inexact 0
		.amdhsa_exception_int_div_zero 0
	.end_amdhsa_kernel
	.section	.text._ZN4vllm25paged_attention_v2_kernelIffLi96ELi16ELi128ELNS_18Fp8KVCacheDataTypeE0ELb0ELi512EEEvPfS2_PT_PKS3_PKT0_S9_ifPKiSB_iPKfiiiSD_SD_iiiii,"axG",@progbits,_ZN4vllm25paged_attention_v2_kernelIffLi96ELi16ELi128ELNS_18Fp8KVCacheDataTypeE0ELb0ELi512EEEvPfS2_PT_PKS3_PKT0_S9_ifPKiSB_iPKfiiiSD_SD_iiiii,comdat
.Lfunc_end39:
	.size	_ZN4vllm25paged_attention_v2_kernelIffLi96ELi16ELi128ELNS_18Fp8KVCacheDataTypeE0ELb0ELi512EEEvPfS2_PT_PKS3_PKT0_S9_ifPKiSB_iPKfiiiSD_SD_iiiii, .Lfunc_end39-_ZN4vllm25paged_attention_v2_kernelIffLi96ELi16ELi128ELNS_18Fp8KVCacheDataTypeE0ELb0ELi512EEEvPfS2_PT_PKS3_PKT0_S9_ifPKiSB_iPKfiiiSD_SD_iiiii
                                        ; -- End function
	.set _ZN4vllm25paged_attention_v2_kernelIffLi96ELi16ELi128ELNS_18Fp8KVCacheDataTypeE0ELb0ELi512EEEvPfS2_PT_PKS3_PKT0_S9_ifPKiSB_iPKfiiiSD_SD_iiiii.num_vgpr, 103
	.set _ZN4vllm25paged_attention_v2_kernelIffLi96ELi16ELi128ELNS_18Fp8KVCacheDataTypeE0ELb0ELi512EEEvPfS2_PT_PKS3_PKT0_S9_ifPKiSB_iPKfiiiSD_SD_iiiii.num_agpr, 0
	.set _ZN4vllm25paged_attention_v2_kernelIffLi96ELi16ELi128ELNS_18Fp8KVCacheDataTypeE0ELb0ELi512EEEvPfS2_PT_PKS3_PKT0_S9_ifPKiSB_iPKfiiiSD_SD_iiiii.numbered_sgpr, 36
	.set _ZN4vllm25paged_attention_v2_kernelIffLi96ELi16ELi128ELNS_18Fp8KVCacheDataTypeE0ELb0ELi512EEEvPfS2_PT_PKS3_PKT0_S9_ifPKiSB_iPKfiiiSD_SD_iiiii.num_named_barrier, 0
	.set _ZN4vllm25paged_attention_v2_kernelIffLi96ELi16ELi128ELNS_18Fp8KVCacheDataTypeE0ELb0ELi512EEEvPfS2_PT_PKS3_PKT0_S9_ifPKiSB_iPKfiiiSD_SD_iiiii.private_seg_size, 0
	.set _ZN4vllm25paged_attention_v2_kernelIffLi96ELi16ELi128ELNS_18Fp8KVCacheDataTypeE0ELb0ELi512EEEvPfS2_PT_PKS3_PKT0_S9_ifPKiSB_iPKfiiiSD_SD_iiiii.uses_vcc, 1
	.set _ZN4vllm25paged_attention_v2_kernelIffLi96ELi16ELi128ELNS_18Fp8KVCacheDataTypeE0ELb0ELi512EEEvPfS2_PT_PKS3_PKT0_S9_ifPKiSB_iPKfiiiSD_SD_iiiii.uses_flat_scratch, 0
	.set _ZN4vllm25paged_attention_v2_kernelIffLi96ELi16ELi128ELNS_18Fp8KVCacheDataTypeE0ELb0ELi512EEEvPfS2_PT_PKS3_PKT0_S9_ifPKiSB_iPKfiiiSD_SD_iiiii.has_dyn_sized_stack, 0
	.set _ZN4vllm25paged_attention_v2_kernelIffLi96ELi16ELi128ELNS_18Fp8KVCacheDataTypeE0ELb0ELi512EEEvPfS2_PT_PKS3_PKT0_S9_ifPKiSB_iPKfiiiSD_SD_iiiii.has_recursion, 0
	.set _ZN4vllm25paged_attention_v2_kernelIffLi96ELi16ELi128ELNS_18Fp8KVCacheDataTypeE0ELb0ELi512EEEvPfS2_PT_PKS3_PKT0_S9_ifPKiSB_iPKfiiiSD_SD_iiiii.has_indirect_call, 0
	.section	.AMDGPU.csdata,"",@progbits
; Kernel info:
; codeLenInByte = 6520
; TotalNumSgprs: 38
; NumVgprs: 103
; ScratchSize: 0
; MemoryBound: 0
; FloatMode: 240
; IeeeMode: 1
; LDSByteSize: 416 bytes/workgroup (compile time only)
; SGPRBlocks: 0
; VGPRBlocks: 12
; NumSGPRsForWavesPerEU: 38
; NumVGPRsForWavesPerEU: 103
; Occupancy: 9
; WaveLimiterHint : 1
; COMPUTE_PGM_RSRC2:SCRATCH_EN: 0
; COMPUTE_PGM_RSRC2:USER_SGPR: 6
; COMPUTE_PGM_RSRC2:TRAP_HANDLER: 0
; COMPUTE_PGM_RSRC2:TGID_X_EN: 1
; COMPUTE_PGM_RSRC2:TGID_Y_EN: 1
; COMPUTE_PGM_RSRC2:TGID_Z_EN: 1
; COMPUTE_PGM_RSRC2:TIDIG_COMP_CNT: 0
	.section	.text._ZN4vllm25paged_attention_v2_kernelIffLi112ELi16ELi128ELNS_18Fp8KVCacheDataTypeE0ELb0ELi512EEEvPfS2_PT_PKS3_PKT0_S9_ifPKiSB_iPKfiiiSD_SD_iiiii,"axG",@progbits,_ZN4vllm25paged_attention_v2_kernelIffLi112ELi16ELi128ELNS_18Fp8KVCacheDataTypeE0ELb0ELi512EEEvPfS2_PT_PKS3_PKT0_S9_ifPKiSB_iPKfiiiSD_SD_iiiii,comdat
	.protected	_ZN4vllm25paged_attention_v2_kernelIffLi112ELi16ELi128ELNS_18Fp8KVCacheDataTypeE0ELb0ELi512EEEvPfS2_PT_PKS3_PKT0_S9_ifPKiSB_iPKfiiiSD_SD_iiiii ; -- Begin function _ZN4vllm25paged_attention_v2_kernelIffLi112ELi16ELi128ELNS_18Fp8KVCacheDataTypeE0ELb0ELi512EEEvPfS2_PT_PKS3_PKT0_S9_ifPKiSB_iPKfiiiSD_SD_iiiii
	.globl	_ZN4vllm25paged_attention_v2_kernelIffLi112ELi16ELi128ELNS_18Fp8KVCacheDataTypeE0ELb0ELi512EEEvPfS2_PT_PKS3_PKT0_S9_ifPKiSB_iPKfiiiSD_SD_iiiii
	.p2align	8
	.type	_ZN4vllm25paged_attention_v2_kernelIffLi112ELi16ELi128ELNS_18Fp8KVCacheDataTypeE0ELb0ELi512EEEvPfS2_PT_PKS3_PKT0_S9_ifPKiSB_iPKfiiiSD_SD_iiiii,@function
_ZN4vllm25paged_attention_v2_kernelIffLi112ELi16ELi128ELNS_18Fp8KVCacheDataTypeE0ELb0ELi512EEEvPfS2_PT_PKS3_PKT0_S9_ifPKiSB_iPKfiiiSD_SD_iiiii: ; @_ZN4vllm25paged_attention_v2_kernelIffLi112ELi16ELi128ELNS_18Fp8KVCacheDataTypeE0ELb0ELi512EEEvPfS2_PT_PKS3_PKT0_S9_ifPKiSB_iPKfiiiSD_SD_iiiii
; %bb.0:
	s_load_dwordx2 s[0:1], s[4:5], 0x40
	s_mov_b32 s22, s7
	s_ashr_i32 s23, s7, 31
	s_lshl_b64 s[2:3], s[22:23], 2
	s_waitcnt lgkmcnt(0)
	s_add_u32 s0, s0, s2
	s_addc_u32 s1, s1, s3
	s_lshl_b32 s33, s8, 9
	s_load_dword s23, s[0:1], 0x0
	s_waitcnt lgkmcnt(0)
	s_cmp_ge_i32 s33, s23
	s_cbranch_scc1 .LBB40_102
; %bb.1:
	s_clause 0x1
	s_load_dword s9, s[4:5], 0x90
	s_load_dwordx2 s[30:31], s[4:5], 0x30
	s_mov_b32 s34, 0
	s_waitcnt lgkmcnt(0)
	s_abs_i32 s3, s9
	s_abs_i32 s0, s30
	v_cvt_f32_u32_e32 v1, s0
	s_sub_i32 s2, 0, s0
	v_rcp_iflag_f32_e32 v1, v1
	v_mul_f32_e32 v1, 0x4f7ffffe, v1
	v_cvt_u32_f32_e32 v1, v1
	v_readfirstlane_b32 s1, v1
	s_mul_i32 s2, s2, s1
	s_mul_hi_u32 s2, s1, s2
	s_add_i32 s1, s1, s2
	s_xor_b32 s2, s9, s30
	s_mul_hi_u32 s1, s3, s1
	s_ashr_i32 s2, s2, 31
	s_mul_i32 s7, s1, s0
	s_sub_i32 s3, s3, s7
	s_add_i32 s7, s1, 1
	s_sub_i32 s10, s3, s0
	s_cmp_ge_u32 s3, s0
	s_cselect_b32 s1, s7, s1
	s_cselect_b32 s3, s10, s3
	s_add_i32 s7, s1, 1
	s_cmp_ge_u32 s3, s0
	s_cselect_b32 s0, s7, s1
	s_abs_i32 s16, s6
	s_xor_b32 s0, s0, s2
	s_sub_i32 s10, s0, s2
	s_load_dwordx2 s[0:1], s[4:5], 0x50
	s_abs_i32 s2, s10
	v_cvt_f32_u32_e32 v1, s2
	s_sub_i32 s7, 0, s2
	v_rcp_iflag_f32_e32 v1, v1
	v_mul_f32_e32 v1, 0x4f7ffffe, v1
	v_cvt_u32_f32_e32 v1, v1
	v_readfirstlane_b32 s3, v1
	s_mul_i32 s7, s7, s3
	s_mul_hi_u32 s7, s3, s7
	s_add_i32 s3, s3, s7
	s_waitcnt lgkmcnt(0)
	s_cmp_eq_u64 s[0:1], 0
	s_mul_hi_u32 s3, s16, s3
	s_cbranch_scc1 .LBB40_3
; %bb.2:
	s_ashr_i32 s7, s6, 31
	s_lshl_b64 s[12:13], s[6:7], 2
	s_add_u32 s0, s0, s12
	s_addc_u32 s1, s1, s13
	s_load_dword s34, s[0:1], 0x0
.LBB40_3:
	s_load_dwordx4 s[12:15], s[4:5], 0x58
	v_and_b32_e32 v41, 1, v0
	v_lshlrev_b32_e32 v1, 3, v0
	v_lshlrev_b32_e32 v59, 2, v0
	s_ashr_i32 s0, s6, 31
	s_ashr_i32 s1, s10, 31
	s_mul_i32 s10, s6, 0x70
	s_mov_b32 s7, exec_lo
	v_cmpx_gt_u32_e32 56, v0
	s_cbranch_execz .LBB40_5
; %bb.4:
	s_load_dwordx2 s[18:19], s[4:5], 0x18
	s_waitcnt lgkmcnt(0)
	s_mul_i32 s20, s12, s22
	v_and_b32_e32 v4, 0xff8, v59
	s_ashr_i32 s21, s20, 31
	s_lshl_b64 s[20:21], s[20:21], 2
	v_mad_u32_u24 v4, 0xe0, v41, v4
	s_add_u32 s12, s18, s20
	s_addc_u32 s15, s19, s21
	s_ashr_i32 s11, s10, 31
	s_lshl_b64 s[18:19], s[10:11], 2
	s_add_u32 s18, s12, s18
	s_addc_u32 s19, s15, s19
	global_load_dwordx2 v[2:3], v1, s[18:19]
	s_waitcnt vmcnt(0)
	ds_write_b64 v4, v[2:3]
.LBB40_5:
	s_or_b32 exec_lo, exec_lo, s7
	s_add_i32 s7, s23, 15
	s_load_dwordx2 s[24:25], s[4:5], 0x38
	s_waitcnt lgkmcnt(0)
	s_load_dword s15, s[4:5], 0x48
	s_ashr_i32 s11, s7, 31
	s_lshl_b32 s30, s8, 5
	s_lshr_b32 s11, s11, 28
	s_xor_b32 s0, s0, s1
	s_add_i32 s7, s7, s11
	s_add_i32 s1, s30, 32
	s_ashr_i32 s12, s7, 4
	s_mul_i32 s7, s3, s2
	s_min_i32 s11, s1, s12
	s_sub_i32 s1, s16, s7
	s_add_i32 s7, s3, 1
	s_sub_i32 s16, s1, s2
	s_cmp_ge_u32 s1, s2
	v_lshrrev_b32_e32 v64, 5, v0
	s_cselect_b32 s3, s7, s3
	s_cselect_b32 s1, s16, s1
	s_add_i32 s7, s3, 1
	s_cmp_ge_u32 s1, s2
	v_or_b32_e32 v61, s30, v64
	s_cselect_b32 s1, s7, s3
	v_mbcnt_lo_u32_b32 v60, -1, 0
	s_xor_b32 s1, s1, s0
	s_waitcnt lgkmcnt(0)
	s_mul_i32 s26, s15, s22
	s_sub_i32 s1, s1, s0
	v_cmp_gt_i32_e64 s0, s11, v61
	s_ashr_i32 s27, s26, 31
	s_mov_b32 s2, exec_lo
	s_barrier
	buffer_gl0_inv
                                        ; implicit-def: $vgpr63
                                        ; implicit-def: $vgpr67
	v_cmpx_le_i32_e64 s11, v61
	s_xor_b32 s2, exec_lo, s2
; %bb.6:
	v_mov_b32_e32 v63, 0
	v_mbcnt_lo_u32_b32 v60, -1, 0
	v_mov_b32_e32 v67, 32
                                        ; implicit-def: $vgpr1
                                        ; implicit-def: $vgpr41
; %bb.7:
	s_or_saveexec_b32 s35, s2
	s_clause 0x3
	s_load_dwordx4 s[16:19], s[4:5], 0x0
	s_load_dwordx2 s[20:21], s[4:5], 0x10
	s_load_dwordx2 s[28:29], s[4:5], 0x28
	s_load_dword s7, s[4:5], 0x98
	v_mov_b32_e32 v69, 0xff7fffff
	v_ashrrev_i32_e32 v62, 31, v61
	s_mul_i32 s14, s1, s14
	s_xor_b32 exec_lo, exec_lo, s35
	s_cbranch_execz .LBB40_13
; %bb.8:
	s_load_dwordx2 s[2:3], s[4:5], 0x20
	v_bfe_u32 v57, v0, 1, 4
	v_xor_b32_e32 v26, 1, v60
	s_ashr_i32 s15, s14, 31
	v_and_b32_e32 v25, 8, v1
	s_lshl_b64 s[4:5], s[14:15], 2
	v_lshlrev_b32_e32 v27, 4, v57
	v_cmp_gt_i32_e32 vcc_lo, 32, v26
	v_mul_u32_u24_e32 v53, 0xe0, v41
	ds_read_b128 v[1:4], v53
	ds_read_b128 v[5:8], v53 offset:16
	ds_read_b128 v[9:12], v53 offset:32
	;; [unrolled: 1-line block ×5, first 2 shown]
	v_cndmask_b32_e32 v42, v60, v26, vcc_lo
	v_lshlrev_b32_e32 v58, 2, v57
	v_lshlrev_b32_e32 v69, 4, v64
	v_mov_b32_e32 v63, 0
	v_mov_b32_e32 v67, 32
	v_lshlrev_b32_e32 v68, 2, v42
	s_waitcnt lgkmcnt(0)
	s_add_u32 s1, s2, s4
	s_addc_u32 s2, s3, s5
	v_add_co_u32 v27, s1, s1, v27
	v_add_co_ci_u32_e64 v28, null, s2, 0, s1
	v_lshl_or_b32 v71, v64, 6, v58
	v_add_co_u32 v65, vcc_lo, v27, v25
	v_add_co_ci_u32_e64 v66, null, 0, v28, vcc_lo
	ds_read_b128 v[25:28], v53 offset:96
	ds_read_b128 v[29:32], v53 offset:112
	;; [unrolled: 1-line block ×4, first 2 shown]
	v_cmp_eq_u32_e32 vcc_lo, 0, v41
	ds_read_b128 v[41:44], v53 offset:160
	ds_read_b128 v[45:48], v53 offset:176
	;; [unrolled: 1-line block ×4, first 2 shown]
	v_add3_u32 v70, s33, v69, v57
	v_lshlrev_b64 v[57:58], 2, v[61:62]
	s_lshl_b64 s[2:3], s[26:27], 2
	s_sub_i32 s4, 1, s23
	s_add_u32 s2, s24, s2
	s_addc_u32 s3, s25, s3
	v_cmp_neq_f32_e64 s1, s34, 0
	v_add_co_u32 v57, s2, s2, v57
	v_add_nc_u32_e32 v71, 0x1e0, v71
	v_add_co_ci_u32_e64 v58, null, s3, v58, s2
	v_mov_b32_e32 v69, 0xff7fffff
	v_mov_b32_e32 v72, v61
	s_mov_b32 s15, s13
	s_mov_b32 s5, 0
	s_branch .LBB40_10
.LBB40_9:                               ;   in Loop: Header=BB40_10 Depth=1
	s_or_b32 exec_lo, exec_lo, s3
	v_add_nc_u32_e32 v72, 4, v72
	v_add_co_u32 v57, s3, v57, 16
	v_add_nc_u32_e32 v70, 64, v70
	v_add_nc_u32_e32 v71, 0x100, v71
	v_cmp_le_i32_e64 s2, s11, v72
	v_add_co_ci_u32_e64 v58, null, 0, v58, s3
	s_or_b32 s5, s2, s5
	s_andn2_b32 exec_lo, exec_lo, s5
	s_cbranch_execz .LBB40_12
.LBB40_10:                              ; =>This Inner Loop Header: Depth=1
	global_load_dword v73, v[57:58], off
	s_waitcnt vmcnt(0) lgkmcnt(0)
	v_mad_i64_i32 v[73:74], null, v73, s15, 0
	v_lshlrev_b64 v[73:74], 2, v[73:74]
	v_add_co_u32 v73, s2, v65, v73
	v_add_co_ci_u32_e64 v74, null, v66, v74, s2
	s_clause 0x7
	global_load_dwordx2 v[75:76], v[73:74], off offset:256
	global_load_dwordx2 v[77:78], v[73:74], off offset:512
	;; [unrolled: 1-line block ×3, first 2 shown]
	global_load_dwordx2 v[81:82], v[73:74], off
	global_load_dwordx2 v[83:84], v[73:74], off offset:1024
	global_load_dwordx2 v[85:86], v[73:74], off offset:1280
	;; [unrolled: 1-line block ×4, first 2 shown]
	v_add_co_u32 v89, s2, v73, 0x1000
	v_add_co_ci_u32_e64 v90, null, 0, v74, s2
	v_add_co_u32 v93, s2, 0x800, v73
	v_add_co_ci_u32_e64 v94, null, 0, v74, s2
	s_clause 0x3
	global_load_dwordx2 v[95:96], v[89:90], off offset:-2048
	global_load_dwordx2 v[97:98], v[93:94], off offset:256
	global_load_dwordx2 v[99:100], v[93:94], off offset:512
	;; [unrolled: 1-line block ×3, first 2 shown]
	s_waitcnt vmcnt(11)
	v_mul_f32_e32 v103, v3, v75
	v_mul_f32_e32 v104, v4, v76
	global_load_dwordx2 v[75:76], v[93:94], off offset:1024
	s_waitcnt vmcnt(9)
	v_fmac_f32_e32 v103, v1, v81
	v_fmac_f32_e32 v104, v2, v82
	;; [unrolled: 1-line block ×4, first 2 shown]
	global_load_dwordx2 v[77:78], v[93:94], off offset:1280
	v_fmac_f32_e32 v103, v7, v79
	v_fmac_f32_e32 v104, v8, v80
	s_clause 0x1
	global_load_dwordx2 v[79:80], v[93:94], off offset:1536
	global_load_dwordx2 v[81:82], v[93:94], off offset:1792
	s_waitcnt vmcnt(11)
	v_fmac_f32_e32 v103, v9, v83
	v_add_co_u32 v83, s2, 0x1000, v73
	v_fmac_f32_e32 v104, v10, v84
	v_add_co_ci_u32_e64 v84, null, 0, v74, s2
	s_waitcnt vmcnt(10)
	v_fmac_f32_e32 v103, v11, v85
	v_add_co_u32 v73, s2, 0x1800, v73
	v_fmac_f32_e32 v104, v12, v86
	s_clause 0x1
	global_load_dwordx2 v[85:86], v[89:90], off
	global_load_dwordx2 v[89:90], v[83:84], off offset:256
	s_waitcnt vmcnt(11)
	v_fmac_f32_e32 v103, v13, v87
	v_add_co_ci_u32_e64 v74, null, 0, v74, s2
	v_fmac_f32_e32 v104, v14, v88
	s_waitcnt vmcnt(10)
	v_fmac_f32_e32 v103, v15, v91
	v_fmac_f32_e32 v104, v16, v92
	s_clause 0x2
	global_load_dwordx2 v[87:88], v[83:84], off offset:512
	global_load_dwordx2 v[91:92], v[73:74], off offset:768
	global_load_dwordx2 v[93:94], v[83:84], off offset:768
	s_waitcnt vmcnt(12)
	v_fmac_f32_e32 v103, v17, v95
	v_fmac_f32_e32 v104, v18, v96
	global_load_dwordx2 v[95:96], v[83:84], off offset:1024
	s_waitcnt vmcnt(12)
	v_fmac_f32_e32 v103, v19, v97
	v_fmac_f32_e32 v104, v20, v98
	global_load_dwordx2 v[97:98], v[83:84], off offset:1280
	s_waitcnt vmcnt(12)
	v_fmac_f32_e32 v103, v21, v99
	v_fmac_f32_e32 v104, v22, v100
	s_clause 0x1
	global_load_dwordx2 v[99:100], v[83:84], off offset:1536
	global_load_dwordx2 v[83:84], v[83:84], off offset:1792
	s_waitcnt vmcnt(13)
	v_fmac_f32_e32 v103, v23, v101
	v_fmac_f32_e32 v104, v24, v102
	s_waitcnt vmcnt(12) lgkmcnt(7)
	v_fmac_f32_e32 v103, v25, v75
	v_fmac_f32_e32 v104, v26, v76
	global_load_dwordx2 v[75:76], v[73:74], off
	s_waitcnt vmcnt(12)
	v_fmac_f32_e32 v103, v27, v77
	v_fmac_f32_e32 v104, v28, v78
	s_clause 0x1
	global_load_dwordx2 v[77:78], v[73:74], off offset:256
	global_load_dwordx2 v[73:74], v[73:74], off offset:512
	s_waitcnt vmcnt(13) lgkmcnt(6)
	v_fmac_f32_e32 v103, v29, v79
	v_fmac_f32_e32 v104, v30, v80
	s_waitcnt vmcnt(12)
	v_fmac_f32_e32 v103, v31, v81
	v_fmac_f32_e32 v104, v32, v82
	s_waitcnt vmcnt(11) lgkmcnt(5)
	v_fmac_f32_e32 v103, v33, v85
	v_fmac_f32_e32 v104, v34, v86
	s_waitcnt vmcnt(10)
	v_fmac_f32_e32 v103, v35, v89
	v_fmac_f32_e32 v104, v36, v90
	;; [unrolled: 6-line block ×6, first 2 shown]
	s_waitcnt vmcnt(0) lgkmcnt(0)
	v_fmac_f32_e32 v103, v53, v73
	v_fmac_f32_e32 v104, v54, v74
	;; [unrolled: 1-line block ×4, first 2 shown]
	v_add_f32_e32 v73, v103, v104
	ds_bpermute_b32 v74, v68, v73
	s_and_saveexec_b32 s3, vcc_lo
	s_cbranch_execz .LBB40_9
; %bb.11:                               ;   in Loop: Header=BB40_10 Depth=1
	v_add_nc_u32_e32 v75, s4, v70
	s_waitcnt lgkmcnt(0)
	v_add_f32_e32 v73, v73, v74
	v_cmp_gt_i32_e64 s2, s23, v70
	v_cvt_f32_i32_e32 v75, v75
	v_mul_f32_e32 v75, s34, v75
	v_cndmask_b32_e64 v74, 0, v75, s1
	v_max_f32_e32 v75, v69, v69
	v_fmac_f32_e32 v74, s31, v73
	v_max_f32_e32 v73, v75, v74
	v_cndmask_b32_e64 v74, 0, v74, s2
	v_cndmask_b32_e64 v69, v69, v73, s2
	ds_write_b32 v71, v74
	s_branch .LBB40_9
.LBB40_12:
	s_or_b32 exec_lo, exec_lo, s5
.LBB40_13:
	s_or_b32 exec_lo, exec_lo, s35
	v_xor_b32_e32 v1, 16, v60
	v_xor_b32_e32 v3, 8, v60
	v_max_f32_e32 v5, v69, v69
	v_xor_b32_e32 v6, 2, v60
	v_and_b32_e32 v65, 31, v0
	v_cmp_lt_i32_e32 vcc_lo, v1, v67
	v_cndmask_b32_e32 v1, v60, v1, vcc_lo
	v_cmp_lt_i32_e32 vcc_lo, v3, v67
	v_lshlrev_b32_e32 v2, 2, v1
	v_cndmask_b32_e32 v3, v60, v3, vcc_lo
	ds_bpermute_b32 v1, v2, v69
	v_lshlrev_b32_e32 v4, 2, v3
	s_waitcnt lgkmcnt(0)
	v_max_f32_e32 v1, v1, v1
	v_max_f32_e32 v1, v5, v1
	v_xor_b32_e32 v5, 4, v60
	ds_bpermute_b32 v3, v4, v1
	v_cmp_lt_i32_e32 vcc_lo, v5, v67
	v_cndmask_b32_e32 v5, v60, v5, vcc_lo
	v_cmp_lt_i32_e32 vcc_lo, v6, v67
	v_lshlrev_b32_e32 v5, 2, v5
	v_cndmask_b32_e32 v6, v60, v6, vcc_lo
	v_cmp_eq_u32_e32 vcc_lo, 0, v65
	v_lshlrev_b32_e32 v66, 2, v6
	v_lshlrev_b32_e32 v6, 2, v64
	s_waitcnt lgkmcnt(0)
	v_max_f32_e32 v3, v3, v3
	v_max_f32_e32 v1, v1, v3
	ds_bpermute_b32 v3, v5, v1
	s_waitcnt lgkmcnt(0)
	v_max_f32_e32 v3, v3, v3
	v_max_f32_e32 v1, v1, v3
	ds_bpermute_b32 v3, v66, v1
	s_and_saveexec_b32 s1, vcc_lo
	s_cbranch_execz .LBB40_15
; %bb.14:
	s_waitcnt lgkmcnt(0)
	v_max_f32_e32 v3, v3, v3
	v_max_f32_e32 v1, v1, v1
	v_max_f32_e32 v1, v1, v3
	ds_write_b32 v6, v1 offset:448
.LBB40_15:
	s_or_b32 exec_lo, exec_lo, s1
	v_cmp_gt_u32_e64 s1, 4, v65
	v_mov_b32_e32 v1, 0xff7fffff
	v_lshlrev_b32_e32 v7, 2, v65
	s_waitcnt lgkmcnt(0)
	s_barrier
	buffer_gl0_inv
	s_and_saveexec_b32 s2, s1
; %bb.16:
	ds_read_b32 v1, v7 offset:448
; %bb.17:
	s_or_b32 exec_lo, exec_lo, s2
	s_waitcnt lgkmcnt(0)
	ds_bpermute_b32 v3, v66, v1
	v_xor_b32_e32 v8, 1, v60
	v_max_f32_e32 v1, v1, v1
	v_cmp_lt_i32_e64 s2, v8, v67
	v_cndmask_b32_e64 v8, v60, v8, s2
	s_sub_i32 s2, s11, s30
	s_lshl_b32 s2, s2, 4
	v_lshlrev_b32_e32 v67, 2, v8
	s_add_i32 s2, s2, s33
	v_mov_b32_e32 v8, 0
	s_min_i32 s2, s2, s23
	s_waitcnt lgkmcnt(0)
	v_max_f32_e32 v3, v3, v3
	s_sub_i32 s4, s2, s33
	v_cmp_gt_i32_e64 s2, s4, v0
	v_max_f32_e32 v1, v1, v3
	ds_bpermute_b32 v3, v67, v1
	s_waitcnt lgkmcnt(0)
	v_max_f32_e32 v3, v3, v3
	v_max_f32_e32 v1, v1, v3
	v_lshlrev_b32_e32 v3, 2, v63
	ds_bpermute_b32 v1, v3, v1
	v_lshl_add_u32 v3, v0, 2, 0x1e0
	s_and_saveexec_b32 s5, s2
	s_cbranch_execz .LBB40_21
; %bb.18:
	v_lshl_add_u32 v9, v0, 2, 0x1e0
	v_mov_b32_e32 v8, 0
	v_mov_b32_e32 v10, v0
	s_mov_b32 s15, 0
	.p2align	6
.LBB40_19:                              ; =>This Inner Loop Header: Depth=1
	ds_read_b32 v11, v9
	v_add_nc_u32_e32 v10, 0x80, v10
	v_cmp_le_i32_e64 s3, s4, v10
	s_or_b32 s15, s3, s15
	s_waitcnt lgkmcnt(0)
	v_sub_f32_e32 v11, v11, v1
	v_mul_f32_e32 v11, 0x3fb8aa3b, v11
	v_exp_f32_e32 v11, v11
	ds_write_b32 v9, v11
	v_add_f32_e32 v8, v8, v11
	v_add_nc_u32_e32 v9, 0x200, v9
	s_andn2_b32 exec_lo, exec_lo, s15
	s_cbranch_execnz .LBB40_19
; %bb.20:
	s_or_b32 exec_lo, exec_lo, s15
.LBB40_21:
	s_or_b32 exec_lo, exec_lo, s5
	ds_bpermute_b32 v2, v2, v8
	s_waitcnt lgkmcnt(0)
	v_add_f32_e32 v2, v8, v2
	ds_bpermute_b32 v4, v4, v2
	s_waitcnt lgkmcnt(0)
	v_add_f32_e32 v2, v2, v4
	;; [unrolled: 3-line block ×5, first 2 shown]
	s_and_saveexec_b32 s3, vcc_lo
; %bb.22:
	ds_write_b32 v6, v2 offset:464
; %bb.23:
	s_or_b32 exec_lo, exec_lo, s3
	s_waitcnt lgkmcnt(0)
	s_barrier
	buffer_gl0_inv
	s_and_saveexec_b32 s3, s1
; %bb.24:
	ds_read_b32 v2, v7 offset:464
; %bb.25:
	s_or_b32 exec_lo, exec_lo, s3
	s_waitcnt lgkmcnt(0)
	ds_bpermute_b32 v4, v66, v2
	v_lshlrev_b32_e32 v5, 2, v60
	s_waitcnt lgkmcnt(0)
	v_add_f32_e32 v2, v2, v4
	ds_bpermute_b32 v4, v67, v2
	s_waitcnt lgkmcnt(0)
	v_add_f32_e32 v2, v2, v4
	v_and_b32_e32 v4, 0xffffff80, v5
	ds_bpermute_b32 v2, v4, v2
	s_and_saveexec_b32 s1, s2
	s_cbranch_execz .LBB40_28
; %bb.26:
	s_waitcnt lgkmcnt(0)
	v_add_f32_e32 v4, 0x358637bd, v2
	s_mov_b32 s2, 0
	v_div_scale_f32 v5, null, v4, v4, 1.0
	v_div_scale_f32 v8, vcc_lo, 1.0, v4, 1.0
	v_rcp_f32_e32 v6, v5
	v_fma_f32 v7, -v5, v6, 1.0
	v_fmac_f32_e32 v6, v7, v6
	v_mul_f32_e32 v7, v8, v6
	v_fma_f32 v9, -v5, v7, v8
	v_fmac_f32_e32 v7, v9, v6
	v_fma_f32 v5, -v5, v7, v8
	v_div_fmas_f32 v5, v5, v6, v7
	v_div_fixup_f32 v4, v5, v4, 1.0
	v_mov_b32_e32 v5, v0
.LBB40_27:                              ; =>This Inner Loop Header: Depth=1
	ds_read_b32 v6, v3
	v_add_nc_u32_e32 v5, 0x80, v5
	v_cmp_le_i32_e32 vcc_lo, s4, v5
	s_or_b32 s2, vcc_lo, s2
	s_waitcnt lgkmcnt(0)
	v_mul_f32_e32 v6, v4, v6
	ds_write_b32 v3, v6
	v_add_nc_u32_e32 v3, 0x200, v3
	s_andn2_b32 exec_lo, exec_lo, s2
	s_cbranch_execnz .LBB40_27
.LBB40_28:
	s_or_b32 exec_lo, exec_lo, s1
	s_mul_i32 s1, s7, s22
	s_waitcnt lgkmcnt(0)
	s_mul_i32 s2, s1, s9
	s_mov_b32 s1, exec_lo
	s_barrier
	buffer_gl0_inv
	v_cmpx_eq_u32_e32 0, v0
	s_cbranch_execz .LBB40_30
; %bb.29:
	s_ashr_i32 s3, s2, 31
	s_mul_i32 s30, s7, s6
	s_lshl_b64 s[4:5], s[2:3], 2
	v_mov_b32_e32 v3, 0
	s_add_u32 s3, s18, s4
	s_addc_u32 s6, s19, s5
	s_ashr_i32 s31, s30, 31
	s_lshl_b64 s[18:19], s[30:31], 2
	s_add_u32 s3, s3, s18
	s_addc_u32 s6, s6, s19
	s_ashr_i32 s9, s8, 31
	s_lshl_b64 s[30:31], s[8:9], 2
	s_add_u32 s34, s3, s30
	s_addc_u32 s35, s6, s31
	s_add_u32 s3, s16, s4
	s_addc_u32 s4, s17, s5
	;; [unrolled: 2-line block ×4, first 2 shown]
	global_store_dword v3, v1, s[34:35]
	global_store_dword v3, v2, s[4:5]
.LBB40_30:
	s_or_b32 exec_lo, exec_lo, s1
	v_mov_b32_e32 v80, 0
	v_and_b32_e32 v68, 3, v0
	v_mov_b32_e32 v82, 0
	v_mov_b32_e32 v81, 0
	;; [unrolled: 1-line block ×13, first 2 shown]
	s_and_saveexec_b32 s1, s0
	s_cbranch_execz .LBB40_62
; %bb.31:
	v_lshlrev_b32_e32 v2, 4, v0
	s_ashr_i32 s15, s14, 31
	v_and_b32_e32 v1, 12, v59
	v_lshl_add_u32 v4, v64, 4, s33
	s_lshl_b64 s[4:5], s[14:15], 2
	v_and_b32_e32 v2, 0x1f0, v2
	s_add_u32 s0, s28, s4
	v_lshlrev_b32_e32 v3, 4, v68
	v_add3_u32 v85, v4, v1, 3
	s_addc_u32 s3, s29, s5
	v_add_co_u32 v83, s0, s0, v2
	v_lshlrev_b64 v[1:2], 2, v[61:62]
	s_lshl_b64 s[4:5], s[26:27], 2
	s_add_i32 s12, s12, -1
	v_lshl_or_b32 v3, v64, 6, v3
	v_add_co_ci_u32_e64 v84, null, s3, 0, s0
	s_add_u32 s0, s24, s4
	s_addc_u32 s3, s25, s5
	v_add_co_u32 v62, vcc_lo, s0, v1
	v_mov_b32_e32 v69, 0
	v_add_nc_u32_e32 v86, 0x1e0, v3
	v_add_co_ci_u32_e64 v63, null, s3, v2, vcc_lo
	v_mov_b32_e32 v70, 0
	v_mov_b32_e32 v71, 0
	;; [unrolled: 1-line block ×13, first 2 shown]
	s_mov_b32 s4, s13
	s_mov_b32 s3, 0
	s_branch .LBB40_33
.LBB40_32:                              ;   in Loop: Header=BB40_33 Depth=1
	s_or_b32 exec_lo, exec_lo, s0
	s_waitcnt vmcnt(1) lgkmcnt(0)
	v_mul_f32_e32 v57, v1, v57
	v_mul_f32_e32 v53, v1, v53
	;; [unrolled: 1-line block ×13, first 2 shown]
	s_waitcnt vmcnt(0)
	v_mul_f32_e32 v1, v1, v45
	v_fmac_f32_e32 v57, v2, v58
	v_fmac_f32_e32 v53, v2, v54
	;; [unrolled: 1-line block ×28, first 2 shown]
	v_add_nc_u32_e32 v61, 4, v61
	v_fmac_f32_e32 v57, v4, v60
	v_fmac_f32_e32 v53, v4, v56
	;; [unrolled: 1-line block ×14, first 2 shown]
	v_cmp_le_i32_e32 vcc_lo, s11, v61
	v_add_co_u32 v62, s0, v62, 16
	v_add_f32_e32 v70, v70, v57
	v_add_f32_e32 v71, v71, v53
	;; [unrolled: 1-line block ×14, first 2 shown]
	v_add_nc_u32_e32 v85, 64, v85
	v_add_nc_u32_e32 v86, 0x100, v86
	v_add_co_ci_u32_e64 v63, null, 0, v63, s0
	s_or_b32 s3, vcc_lo, s3
	s_andn2_b32 exec_lo, exec_lo, s3
	s_cbranch_execz .LBB40_61
.LBB40_33:                              ; =>This Inner Loop Header: Depth=1
	global_load_dword v1, v[62:63], off
	v_add_nc_u32_e32 v87, -3, v85
	v_add_nc_u32_e32 v89, -2, v85
	;; [unrolled: 1-line block ×3, first 2 shown]
	s_waitcnt vmcnt(0)
	v_mad_i64_i32 v[1:2], null, v1, s4, 0
	v_lshlrev_b64 v[1:2], 2, v[1:2]
	v_add_co_u32 v45, vcc_lo, v83, v1
	v_add_co_ci_u32_e64 v46, null, v84, v2, vcc_lo
	ds_read_b128 v[1:4], v86
	v_cmp_eq_u32_e32 vcc_lo, s12, v61
	global_load_dwordx4 v[5:8], v[45:46], off
	s_and_saveexec_b32 s5, vcc_lo
	s_cbranch_execnz .LBB40_52
; %bb.34:                               ;   in Loop: Header=BB40_33 Depth=1
	s_or_b32 exec_lo, exec_lo, s5
	global_load_dwordx4 v[9:12], v[45:46], off offset:512
	s_and_saveexec_b32 s5, vcc_lo
	s_cbranch_execnz .LBB40_53
.LBB40_35:                              ;   in Loop: Header=BB40_33 Depth=1
	s_or_b32 exec_lo, exec_lo, s5
	global_load_dwordx4 v[13:16], v[45:46], off offset:1024
	s_and_saveexec_b32 s5, vcc_lo
	s_cbranch_execnz .LBB40_54
.LBB40_36:                              ;   in Loop: Header=BB40_33 Depth=1
	s_or_b32 exec_lo, exec_lo, s5
	global_load_dwordx4 v[17:20], v[45:46], off offset:1536
	s_and_saveexec_b32 s5, vcc_lo
	s_cbranch_execz .LBB40_38
.LBB40_37:                              ;   in Loop: Header=BB40_33 Depth=1
	v_cmp_gt_i32_e64 s0, s23, v87
	s_waitcnt vmcnt(0)
	v_cndmask_b32_e64 v17, 0, v17, s0
	v_cmp_gt_i32_e64 s0, s23, v89
	v_cndmask_b32_e64 v18, 0, v18, s0
	v_cmp_gt_i32_e64 s0, s23, v88
	;; [unrolled: 2-line block ×3, first 2 shown]
	v_cndmask_b32_e64 v20, 0, v20, s0
.LBB40_38:                              ;   in Loop: Header=BB40_33 Depth=1
	s_or_b32 exec_lo, exec_lo, s5
	v_add_co_u32 v33, s0, 0x800, v45
	v_add_co_ci_u32_e64 v34, null, 0, v46, s0
	global_load_dwordx4 v[21:24], v[33:34], off
	s_and_saveexec_b32 s5, vcc_lo
	s_cbranch_execnz .LBB40_55
; %bb.39:                               ;   in Loop: Header=BB40_33 Depth=1
	s_or_b32 exec_lo, exec_lo, s5
	global_load_dwordx4 v[25:28], v[33:34], off offset:512
	s_and_saveexec_b32 s5, vcc_lo
	s_cbranch_execnz .LBB40_56
.LBB40_40:                              ;   in Loop: Header=BB40_33 Depth=1
	s_or_b32 exec_lo, exec_lo, s5
	global_load_dwordx4 v[29:32], v[33:34], off offset:1024
	s_and_saveexec_b32 s5, vcc_lo
	s_cbranch_execnz .LBB40_57
.LBB40_41:                              ;   in Loop: Header=BB40_33 Depth=1
	s_or_b32 exec_lo, exec_lo, s5
	global_load_dwordx4 v[33:36], v[33:34], off offset:1536
	s_and_saveexec_b32 s5, vcc_lo
	s_cbranch_execz .LBB40_43
.LBB40_42:                              ;   in Loop: Header=BB40_33 Depth=1
	v_cmp_gt_i32_e64 s0, s23, v87
	s_waitcnt vmcnt(0)
	v_cndmask_b32_e64 v33, 0, v33, s0
	v_cmp_gt_i32_e64 s0, s23, v89
	v_cndmask_b32_e64 v34, 0, v34, s0
	v_cmp_gt_i32_e64 s0, s23, v88
	v_cndmask_b32_e64 v35, 0, v35, s0
	v_cmp_gt_i32_e64 s0, s23, v85
	v_cndmask_b32_e64 v36, 0, v36, s0
.LBB40_43:                              ;   in Loop: Header=BB40_33 Depth=1
	s_or_b32 exec_lo, exec_lo, s5
	v_add_co_u32 v47, s0, 0x1000, v45
	v_add_co_ci_u32_e64 v48, null, 0, v46, s0
	global_load_dwordx4 v[37:40], v[47:48], off
	s_and_saveexec_b32 s5, vcc_lo
	s_cbranch_execnz .LBB40_58
; %bb.44:                               ;   in Loop: Header=BB40_33 Depth=1
	s_or_b32 exec_lo, exec_lo, s5
	global_load_dwordx4 v[41:44], v[47:48], off offset:512
	s_and_saveexec_b32 s5, vcc_lo
	s_cbranch_execnz .LBB40_59
.LBB40_45:                              ;   in Loop: Header=BB40_33 Depth=1
	s_or_b32 exec_lo, exec_lo, s5
	global_load_dwordx4 v[49:52], v[47:48], off offset:1024
	s_and_saveexec_b32 s5, vcc_lo
	s_cbranch_execnz .LBB40_60
.LBB40_46:                              ;   in Loop: Header=BB40_33 Depth=1
	s_or_b32 exec_lo, exec_lo, s5
	global_load_dwordx4 v[53:56], v[47:48], off offset:1536
	s_and_saveexec_b32 s5, vcc_lo
	s_cbranch_execz .LBB40_48
.LBB40_47:                              ;   in Loop: Header=BB40_33 Depth=1
	v_cmp_gt_i32_e64 s0, s23, v87
	s_waitcnt vmcnt(0)
	v_cndmask_b32_e64 v53, 0, v53, s0
	v_cmp_gt_i32_e64 s0, s23, v89
	v_cndmask_b32_e64 v54, 0, v54, s0
	v_cmp_gt_i32_e64 s0, s23, v88
	;; [unrolled: 2-line block ×3, first 2 shown]
	v_cndmask_b32_e64 v56, 0, v56, s0
.LBB40_48:                              ;   in Loop: Header=BB40_33 Depth=1
	s_or_b32 exec_lo, exec_lo, s5
	v_add_co_u32 v45, s0, 0x1800, v45
	v_add_co_ci_u32_e64 v46, null, 0, v46, s0
	global_load_dwordx4 v[57:60], v[45:46], off
	s_and_saveexec_b32 s5, vcc_lo
	s_cbranch_execz .LBB40_50
; %bb.49:                               ;   in Loop: Header=BB40_33 Depth=1
	v_cmp_gt_i32_e64 s0, s23, v87
	s_waitcnt vmcnt(0)
	v_cndmask_b32_e64 v57, 0, v57, s0
	v_cmp_gt_i32_e64 s0, s23, v89
	v_cndmask_b32_e64 v58, 0, v58, s0
	v_cmp_gt_i32_e64 s0, s23, v88
	;; [unrolled: 2-line block ×3, first 2 shown]
	v_cndmask_b32_e64 v60, 0, v60, s0
.LBB40_50:                              ;   in Loop: Header=BB40_33 Depth=1
	s_or_b32 exec_lo, exec_lo, s5
	global_load_dwordx4 v[45:48], v[45:46], off offset:512
	s_and_saveexec_b32 s0, vcc_lo
	s_cbranch_execz .LBB40_32
; %bb.51:                               ;   in Loop: Header=BB40_33 Depth=1
	v_cmp_gt_i32_e32 vcc_lo, s23, v87
	s_waitcnt vmcnt(0)
	v_cndmask_b32_e32 v45, 0, v45, vcc_lo
	v_cmp_gt_i32_e32 vcc_lo, s23, v89
	v_cndmask_b32_e32 v46, 0, v46, vcc_lo
	v_cmp_gt_i32_e32 vcc_lo, s23, v88
	;; [unrolled: 2-line block ×3, first 2 shown]
	v_cndmask_b32_e32 v48, 0, v48, vcc_lo
	s_branch .LBB40_32
.LBB40_52:                              ;   in Loop: Header=BB40_33 Depth=1
	v_cmp_gt_i32_e64 s0, s23, v87
	s_waitcnt vmcnt(0)
	v_cndmask_b32_e64 v5, 0, v5, s0
	v_cmp_gt_i32_e64 s0, s23, v89
	v_cndmask_b32_e64 v6, 0, v6, s0
	v_cmp_gt_i32_e64 s0, s23, v88
	v_cndmask_b32_e64 v7, 0, v7, s0
	v_cmp_gt_i32_e64 s0, s23, v85
	v_cndmask_b32_e64 v8, 0, v8, s0
	s_or_b32 exec_lo, exec_lo, s5
	global_load_dwordx4 v[9:12], v[45:46], off offset:512
	s_and_saveexec_b32 s5, vcc_lo
	s_cbranch_execz .LBB40_35
.LBB40_53:                              ;   in Loop: Header=BB40_33 Depth=1
	v_cmp_gt_i32_e64 s0, s23, v87
	s_waitcnt vmcnt(0)
	v_cndmask_b32_e64 v9, 0, v9, s0
	v_cmp_gt_i32_e64 s0, s23, v89
	v_cndmask_b32_e64 v10, 0, v10, s0
	v_cmp_gt_i32_e64 s0, s23, v88
	;; [unrolled: 2-line block ×3, first 2 shown]
	v_cndmask_b32_e64 v12, 0, v12, s0
	s_or_b32 exec_lo, exec_lo, s5
	global_load_dwordx4 v[13:16], v[45:46], off offset:1024
	s_and_saveexec_b32 s5, vcc_lo
	s_cbranch_execz .LBB40_36
.LBB40_54:                              ;   in Loop: Header=BB40_33 Depth=1
	v_cmp_gt_i32_e64 s0, s23, v87
	s_waitcnt vmcnt(0)
	v_cndmask_b32_e64 v13, 0, v13, s0
	v_cmp_gt_i32_e64 s0, s23, v89
	v_cndmask_b32_e64 v14, 0, v14, s0
	v_cmp_gt_i32_e64 s0, s23, v88
	;; [unrolled: 2-line block ×3, first 2 shown]
	v_cndmask_b32_e64 v16, 0, v16, s0
	s_or_b32 exec_lo, exec_lo, s5
	global_load_dwordx4 v[17:20], v[45:46], off offset:1536
	s_and_saveexec_b32 s5, vcc_lo
	s_cbranch_execnz .LBB40_37
	s_branch .LBB40_38
.LBB40_55:                              ;   in Loop: Header=BB40_33 Depth=1
	v_cmp_gt_i32_e64 s0, s23, v87
	s_waitcnt vmcnt(0)
	v_cndmask_b32_e64 v21, 0, v21, s0
	v_cmp_gt_i32_e64 s0, s23, v89
	v_cndmask_b32_e64 v22, 0, v22, s0
	v_cmp_gt_i32_e64 s0, s23, v88
	;; [unrolled: 2-line block ×3, first 2 shown]
	v_cndmask_b32_e64 v24, 0, v24, s0
	s_or_b32 exec_lo, exec_lo, s5
	global_load_dwordx4 v[25:28], v[33:34], off offset:512
	s_and_saveexec_b32 s5, vcc_lo
	s_cbranch_execz .LBB40_40
.LBB40_56:                              ;   in Loop: Header=BB40_33 Depth=1
	v_cmp_gt_i32_e64 s0, s23, v87
	s_waitcnt vmcnt(0)
	v_cndmask_b32_e64 v25, 0, v25, s0
	v_cmp_gt_i32_e64 s0, s23, v89
	v_cndmask_b32_e64 v26, 0, v26, s0
	v_cmp_gt_i32_e64 s0, s23, v88
	;; [unrolled: 2-line block ×3, first 2 shown]
	v_cndmask_b32_e64 v28, 0, v28, s0
	s_or_b32 exec_lo, exec_lo, s5
	global_load_dwordx4 v[29:32], v[33:34], off offset:1024
	s_and_saveexec_b32 s5, vcc_lo
	s_cbranch_execz .LBB40_41
.LBB40_57:                              ;   in Loop: Header=BB40_33 Depth=1
	v_cmp_gt_i32_e64 s0, s23, v87
	s_waitcnt vmcnt(0)
	v_cndmask_b32_e64 v29, 0, v29, s0
	v_cmp_gt_i32_e64 s0, s23, v89
	v_cndmask_b32_e64 v30, 0, v30, s0
	v_cmp_gt_i32_e64 s0, s23, v88
	;; [unrolled: 2-line block ×3, first 2 shown]
	v_cndmask_b32_e64 v32, 0, v32, s0
	s_or_b32 exec_lo, exec_lo, s5
	global_load_dwordx4 v[33:36], v[33:34], off offset:1536
	s_and_saveexec_b32 s5, vcc_lo
	s_cbranch_execnz .LBB40_42
	s_branch .LBB40_43
.LBB40_58:                              ;   in Loop: Header=BB40_33 Depth=1
	v_cmp_gt_i32_e64 s0, s23, v87
	s_waitcnt vmcnt(0)
	v_cndmask_b32_e64 v37, 0, v37, s0
	v_cmp_gt_i32_e64 s0, s23, v89
	v_cndmask_b32_e64 v38, 0, v38, s0
	v_cmp_gt_i32_e64 s0, s23, v88
	;; [unrolled: 2-line block ×3, first 2 shown]
	v_cndmask_b32_e64 v40, 0, v40, s0
	s_or_b32 exec_lo, exec_lo, s5
	global_load_dwordx4 v[41:44], v[47:48], off offset:512
	s_and_saveexec_b32 s5, vcc_lo
	s_cbranch_execz .LBB40_45
.LBB40_59:                              ;   in Loop: Header=BB40_33 Depth=1
	v_cmp_gt_i32_e64 s0, s23, v87
	s_waitcnt vmcnt(0)
	v_cndmask_b32_e64 v41, 0, v41, s0
	v_cmp_gt_i32_e64 s0, s23, v89
	v_cndmask_b32_e64 v42, 0, v42, s0
	v_cmp_gt_i32_e64 s0, s23, v88
	;; [unrolled: 2-line block ×3, first 2 shown]
	v_cndmask_b32_e64 v44, 0, v44, s0
	s_or_b32 exec_lo, exec_lo, s5
	global_load_dwordx4 v[49:52], v[47:48], off offset:1024
	s_and_saveexec_b32 s5, vcc_lo
	s_cbranch_execz .LBB40_46
.LBB40_60:                              ;   in Loop: Header=BB40_33 Depth=1
	v_cmp_gt_i32_e64 s0, s23, v87
	s_waitcnt vmcnt(0)
	v_cndmask_b32_e64 v49, 0, v49, s0
	v_cmp_gt_i32_e64 s0, s23, v89
	v_cndmask_b32_e64 v50, 0, v50, s0
	v_cmp_gt_i32_e64 s0, s23, v88
	;; [unrolled: 2-line block ×3, first 2 shown]
	v_cndmask_b32_e64 v52, 0, v52, s0
	s_or_b32 exec_lo, exec_lo, s5
	global_load_dwordx4 v[53:56], v[47:48], off offset:1536
	s_and_saveexec_b32 s5, vcc_lo
	s_cbranch_execnz .LBB40_47
	s_branch .LBB40_48
.LBB40_61:
	s_or_b32 exec_lo, exec_lo, s3
.LBB40_62:
	s_or_b32 exec_lo, exec_lo, s1
	ds_bpermute_b32 v2, v66, v82
	ds_bpermute_b32 v1, v66, v80
	;; [unrolled: 1-line block ×14, first 2 shown]
	s_mov_b32 s0, exec_lo
	s_waitcnt lgkmcnt(0)
	s_waitcnt_vscnt null, 0x0
	s_barrier
	buffer_gl0_inv
	v_add_f32_e32 v2, v82, v2
	v_add_f32_e32 v1, v80, v1
	;; [unrolled: 1-line block ×7, first 2 shown]
	ds_bpermute_b32 v16, v67, v2
	v_add_f32_e32 v8, v75, v8
	v_add_f32_e32 v9, v74, v9
	;; [unrolled: 1-line block ×7, first 2 shown]
	ds_bpermute_b32 v15, v67, v1
	ds_bpermute_b32 v17, v67, v3
	;; [unrolled: 1-line block ×13, first 2 shown]
	s_waitcnt lgkmcnt(13)
	v_add_f32_e32 v2, v2, v16
	v_and_b32_e32 v16, 28, v65
	v_add_nc_u32_e32 v16, 0x1e0, v16
	s_waitcnt lgkmcnt(12)
	v_add_f32_e32 v1, v1, v15
	s_waitcnt lgkmcnt(11)
	v_add_f32_e32 v3, v3, v17
	;; [unrolled: 2-line block ×12, first 2 shown]
	v_and_b32_e32 v18, 0x3c3, v0
	s_waitcnt lgkmcnt(0)
	v_add_f32_e32 v14, v14, v28
	v_lshrrev_b32_e32 v15, 2, v65
	v_mul_u32_u24_e32 v17, 0x1c0, v64
	v_cmpx_eq_u32_e32 64, v18
	s_cbranch_execz .LBB40_64
; %bb.63:
	v_add_nc_u32_e32 v18, v16, v17
	v_add_nc_u32_e32 v19, 0xfffffc80, v18
	;; [unrolled: 1-line block ×7, first 2 shown]
	ds_write_b32 v19, v1
	ds_write_b32 v20, v2
	;; [unrolled: 1-line block ×4, first 2 shown]
	v_add_nc_u32_e32 v19, 0xfffffd40, v18
	v_add_nc_u32_e32 v20, 0xfffffd60, v18
	v_add_nc_u32_e32 v21, 0xfffffd80, v18
	ds_write_b32 v23, v5
	ds_write_b32 v24, v6
	;; [unrolled: 1-line block ×5, first 2 shown]
	v_add_nc_u32_e32 v19, 0xfffffda0, v18
	v_add_nc_u32_e32 v20, 0xfffffdc0, v18
	v_add_nc_u32_e32 v21, 0xfffffde0, v18
	v_add_nc_u32_e32 v22, 0xfffffe00, v18
	v_add_nc_u32_e32 v18, 0xfffffe20, v18
	ds_write_b32 v19, v10
	ds_write_b32 v20, v11
	;; [unrolled: 1-line block ×5, first 2 shown]
.LBB40_64:
	s_or_b32 exec_lo, exec_lo, s0
	v_lshlrev_b32_e32 v15, 2, v15
	s_mov_b32 s1, exec_lo
	v_cmp_eq_u32_e32 vcc_lo, 0, v68
	s_waitcnt lgkmcnt(0)
	s_barrier
	v_add3_u32 v15, 0x1e0, v17, v15
	buffer_gl0_inv
	v_cmpx_gt_u32_e32 64, v0
	s_cbranch_execz .LBB40_81
; %bb.65:
	s_and_saveexec_b32 s0, vcc_lo
	s_cbranch_execnz .LBB40_103
; %bb.66:
	s_or_b32 exec_lo, exec_lo, s0
	s_and_saveexec_b32 s0, vcc_lo
	s_cbranch_execnz .LBB40_104
.LBB40_67:
	s_or_b32 exec_lo, exec_lo, s0
	s_and_saveexec_b32 s0, vcc_lo
	s_cbranch_execnz .LBB40_105
.LBB40_68:
	s_or_b32 exec_lo, exec_lo, s0
	s_and_saveexec_b32 s0, vcc_lo
	s_cbranch_execnz .LBB40_106
.LBB40_69:
	s_or_b32 exec_lo, exec_lo, s0
	s_and_saveexec_b32 s0, vcc_lo
	s_cbranch_execnz .LBB40_107
.LBB40_70:
	s_or_b32 exec_lo, exec_lo, s0
	s_and_saveexec_b32 s0, vcc_lo
	s_cbranch_execnz .LBB40_108
.LBB40_71:
	s_or_b32 exec_lo, exec_lo, s0
	s_and_saveexec_b32 s0, vcc_lo
	s_cbranch_execnz .LBB40_109
.LBB40_72:
	s_or_b32 exec_lo, exec_lo, s0
	s_and_saveexec_b32 s0, vcc_lo
	s_cbranch_execnz .LBB40_110
.LBB40_73:
	s_or_b32 exec_lo, exec_lo, s0
	s_and_saveexec_b32 s0, vcc_lo
	s_cbranch_execnz .LBB40_111
.LBB40_74:
	s_or_b32 exec_lo, exec_lo, s0
	s_and_saveexec_b32 s0, vcc_lo
	s_cbranch_execnz .LBB40_112
.LBB40_75:
	s_or_b32 exec_lo, exec_lo, s0
	s_and_saveexec_b32 s0, vcc_lo
	s_cbranch_execnz .LBB40_113
.LBB40_76:
	s_or_b32 exec_lo, exec_lo, s0
	s_and_saveexec_b32 s0, vcc_lo
	s_cbranch_execnz .LBB40_114
.LBB40_77:
	s_or_b32 exec_lo, exec_lo, s0
	s_and_saveexec_b32 s0, vcc_lo
	s_cbranch_execnz .LBB40_115
.LBB40_78:
	s_or_b32 exec_lo, exec_lo, s0
	s_and_saveexec_b32 s0, vcc_lo
	s_cbranch_execz .LBB40_80
.LBB40_79:
	ds_read_b32 v17, v15 offset:416
	s_waitcnt lgkmcnt(0)
	v_add_f32_e32 v14, v14, v17
.LBB40_80:
	s_or_b32 exec_lo, exec_lo, s0
.LBB40_81:
	s_or_b32 exec_lo, exec_lo, s1
	v_and_b32_e32 v17, 0x3e3, v0
	s_mov_b32 s1, exec_lo
	s_barrier
	buffer_gl0_inv
	v_cmpx_eq_u32_e32 32, v17
	s_cbranch_execz .LBB40_83
; %bb.82:
	ds_write2_b32 v16, v1, v2 offset1:8
	ds_write2_b32 v16, v3, v4 offset0:16 offset1:24
	ds_write2_b32 v16, v5, v6 offset0:32 offset1:40
	;; [unrolled: 1-line block ×6, first 2 shown]
.LBB40_83:
	s_or_b32 exec_lo, exec_lo, s1
	s_mov_b32 s1, exec_lo
	s_waitcnt lgkmcnt(0)
	s_barrier
	buffer_gl0_inv
	v_cmpx_gt_u32_e32 32, v0
	s_cbranch_execz .LBB40_100
; %bb.84:
	s_and_saveexec_b32 s0, vcc_lo
	s_cbranch_execnz .LBB40_116
; %bb.85:
	s_or_b32 exec_lo, exec_lo, s0
	s_and_saveexec_b32 s0, vcc_lo
	s_cbranch_execnz .LBB40_117
.LBB40_86:
	s_or_b32 exec_lo, exec_lo, s0
	s_and_saveexec_b32 s0, vcc_lo
	s_cbranch_execnz .LBB40_118
.LBB40_87:
	s_or_b32 exec_lo, exec_lo, s0
	s_and_saveexec_b32 s0, vcc_lo
	s_cbranch_execnz .LBB40_119
.LBB40_88:
	s_or_b32 exec_lo, exec_lo, s0
	s_and_saveexec_b32 s0, vcc_lo
	s_cbranch_execnz .LBB40_120
.LBB40_89:
	s_or_b32 exec_lo, exec_lo, s0
	s_and_saveexec_b32 s0, vcc_lo
	s_cbranch_execnz .LBB40_121
.LBB40_90:
	s_or_b32 exec_lo, exec_lo, s0
	s_and_saveexec_b32 s0, vcc_lo
	s_cbranch_execnz .LBB40_122
.LBB40_91:
	s_or_b32 exec_lo, exec_lo, s0
	s_and_saveexec_b32 s0, vcc_lo
	s_cbranch_execnz .LBB40_123
.LBB40_92:
	s_or_b32 exec_lo, exec_lo, s0
	s_and_saveexec_b32 s0, vcc_lo
	s_cbranch_execnz .LBB40_124
.LBB40_93:
	s_or_b32 exec_lo, exec_lo, s0
	s_and_saveexec_b32 s0, vcc_lo
	s_cbranch_execnz .LBB40_125
.LBB40_94:
	s_or_b32 exec_lo, exec_lo, s0
	s_and_saveexec_b32 s0, vcc_lo
	s_cbranch_execnz .LBB40_126
.LBB40_95:
	s_or_b32 exec_lo, exec_lo, s0
	s_and_saveexec_b32 s0, vcc_lo
	s_cbranch_execnz .LBB40_127
.LBB40_96:
	s_or_b32 exec_lo, exec_lo, s0
	s_and_saveexec_b32 s0, vcc_lo
	s_cbranch_execnz .LBB40_128
.LBB40_97:
	s_or_b32 exec_lo, exec_lo, s0
	s_and_saveexec_b32 s0, vcc_lo
	s_cbranch_execz .LBB40_99
.LBB40_98:
	ds_read_b32 v15, v15 offset:416
	s_waitcnt lgkmcnt(0)
	v_add_f32_e32 v14, v14, v15
.LBB40_99:
	s_or_b32 exec_lo, exec_lo, s0
.LBB40_100:
	s_or_b32 exec_lo, exec_lo, s1
	s_barrier
	buffer_gl0_inv
	s_mov_b32 s0, exec_lo
	v_cmpx_eq_u32_e32 0, v17
	s_cbranch_execz .LBB40_102
; %bb.101:
	s_mul_i32 s0, s2, 0x70
	s_mul_i32 s2, s7, s10
	s_ashr_i32 s1, s0, 31
	s_lshl_b64 s[0:1], s[0:1], 2
	s_add_u32 s4, s20, s0
	s_addc_u32 s5, s21, s1
	s_ashr_i32 s3, s2, 31
	s_lshl_b64 s[0:1], s[2:3], 2
	s_mul_i32 s2, s8, 0x70
	s_add_u32 s4, s4, s0
	s_addc_u32 s5, s5, s1
	s_ashr_i32 s3, s2, 31
	s_lshl_b64 s[0:1], s[2:3], 2
	s_add_u32 s0, s4, s0
	s_addc_u32 s1, s5, s1
	global_store_dword v0, v1, s[0:1]
	global_store_dword v0, v2, s[0:1] offset:32
	global_store_dword v0, v3, s[0:1] offset:64
	;; [unrolled: 1-line block ×13, first 2 shown]
.LBB40_102:
	s_endpgm
.LBB40_103:
	ds_read_b32 v17, v15
	s_waitcnt lgkmcnt(0)
	v_add_f32_e32 v1, v1, v17
	s_or_b32 exec_lo, exec_lo, s0
	s_and_saveexec_b32 s0, vcc_lo
	s_cbranch_execz .LBB40_67
.LBB40_104:
	ds_read_b32 v17, v15 offset:32
	s_waitcnt lgkmcnt(0)
	v_add_f32_e32 v2, v2, v17
	s_or_b32 exec_lo, exec_lo, s0
	s_and_saveexec_b32 s0, vcc_lo
	s_cbranch_execz .LBB40_68
.LBB40_105:
	ds_read_b32 v17, v15 offset:64
	s_waitcnt lgkmcnt(0)
	v_add_f32_e32 v3, v3, v17
	s_or_b32 exec_lo, exec_lo, s0
	s_and_saveexec_b32 s0, vcc_lo
	s_cbranch_execz .LBB40_69
.LBB40_106:
	ds_read_b32 v17, v15 offset:96
	s_waitcnt lgkmcnt(0)
	v_add_f32_e32 v4, v4, v17
	s_or_b32 exec_lo, exec_lo, s0
	s_and_saveexec_b32 s0, vcc_lo
	s_cbranch_execz .LBB40_70
.LBB40_107:
	ds_read_b32 v17, v15 offset:128
	s_waitcnt lgkmcnt(0)
	v_add_f32_e32 v5, v5, v17
	s_or_b32 exec_lo, exec_lo, s0
	s_and_saveexec_b32 s0, vcc_lo
	s_cbranch_execz .LBB40_71
.LBB40_108:
	ds_read_b32 v17, v15 offset:160
	s_waitcnt lgkmcnt(0)
	v_add_f32_e32 v6, v6, v17
	s_or_b32 exec_lo, exec_lo, s0
	s_and_saveexec_b32 s0, vcc_lo
	s_cbranch_execz .LBB40_72
.LBB40_109:
	ds_read_b32 v17, v15 offset:192
	s_waitcnt lgkmcnt(0)
	v_add_f32_e32 v7, v7, v17
	s_or_b32 exec_lo, exec_lo, s0
	s_and_saveexec_b32 s0, vcc_lo
	s_cbranch_execz .LBB40_73
.LBB40_110:
	ds_read_b32 v17, v15 offset:224
	s_waitcnt lgkmcnt(0)
	v_add_f32_e32 v8, v8, v17
	s_or_b32 exec_lo, exec_lo, s0
	s_and_saveexec_b32 s0, vcc_lo
	s_cbranch_execz .LBB40_74
.LBB40_111:
	ds_read_b32 v17, v15 offset:256
	s_waitcnt lgkmcnt(0)
	v_add_f32_e32 v9, v9, v17
	s_or_b32 exec_lo, exec_lo, s0
	s_and_saveexec_b32 s0, vcc_lo
	s_cbranch_execz .LBB40_75
.LBB40_112:
	ds_read_b32 v17, v15 offset:288
	s_waitcnt lgkmcnt(0)
	v_add_f32_e32 v10, v10, v17
	s_or_b32 exec_lo, exec_lo, s0
	s_and_saveexec_b32 s0, vcc_lo
	s_cbranch_execz .LBB40_76
.LBB40_113:
	ds_read_b32 v17, v15 offset:320
	s_waitcnt lgkmcnt(0)
	v_add_f32_e32 v11, v11, v17
	s_or_b32 exec_lo, exec_lo, s0
	s_and_saveexec_b32 s0, vcc_lo
	s_cbranch_execz .LBB40_77
.LBB40_114:
	ds_read_b32 v17, v15 offset:352
	s_waitcnt lgkmcnt(0)
	v_add_f32_e32 v12, v12, v17
	s_or_b32 exec_lo, exec_lo, s0
	s_and_saveexec_b32 s0, vcc_lo
	s_cbranch_execz .LBB40_78
.LBB40_115:
	ds_read_b32 v17, v15 offset:384
	s_waitcnt lgkmcnt(0)
	v_add_f32_e32 v13, v13, v17
	s_or_b32 exec_lo, exec_lo, s0
	s_and_saveexec_b32 s0, vcc_lo
	s_cbranch_execnz .LBB40_79
	s_branch .LBB40_80
.LBB40_116:
	ds_read_b32 v16, v15
	s_waitcnt lgkmcnt(0)
	v_add_f32_e32 v1, v1, v16
	s_or_b32 exec_lo, exec_lo, s0
	s_and_saveexec_b32 s0, vcc_lo
	s_cbranch_execz .LBB40_86
.LBB40_117:
	ds_read_b32 v16, v15 offset:32
	s_waitcnt lgkmcnt(0)
	v_add_f32_e32 v2, v2, v16
	s_or_b32 exec_lo, exec_lo, s0
	s_and_saveexec_b32 s0, vcc_lo
	s_cbranch_execz .LBB40_87
.LBB40_118:
	ds_read_b32 v16, v15 offset:64
	s_waitcnt lgkmcnt(0)
	v_add_f32_e32 v3, v3, v16
	s_or_b32 exec_lo, exec_lo, s0
	s_and_saveexec_b32 s0, vcc_lo
	s_cbranch_execz .LBB40_88
.LBB40_119:
	ds_read_b32 v16, v15 offset:96
	s_waitcnt lgkmcnt(0)
	v_add_f32_e32 v4, v4, v16
	s_or_b32 exec_lo, exec_lo, s0
	s_and_saveexec_b32 s0, vcc_lo
	s_cbranch_execz .LBB40_89
.LBB40_120:
	ds_read_b32 v16, v15 offset:128
	s_waitcnt lgkmcnt(0)
	v_add_f32_e32 v5, v5, v16
	s_or_b32 exec_lo, exec_lo, s0
	s_and_saveexec_b32 s0, vcc_lo
	s_cbranch_execz .LBB40_90
.LBB40_121:
	ds_read_b32 v16, v15 offset:160
	s_waitcnt lgkmcnt(0)
	v_add_f32_e32 v6, v6, v16
	s_or_b32 exec_lo, exec_lo, s0
	s_and_saveexec_b32 s0, vcc_lo
	s_cbranch_execz .LBB40_91
.LBB40_122:
	ds_read_b32 v16, v15 offset:192
	s_waitcnt lgkmcnt(0)
	v_add_f32_e32 v7, v7, v16
	s_or_b32 exec_lo, exec_lo, s0
	s_and_saveexec_b32 s0, vcc_lo
	s_cbranch_execz .LBB40_92
.LBB40_123:
	ds_read_b32 v16, v15 offset:224
	s_waitcnt lgkmcnt(0)
	v_add_f32_e32 v8, v8, v16
	s_or_b32 exec_lo, exec_lo, s0
	s_and_saveexec_b32 s0, vcc_lo
	s_cbranch_execz .LBB40_93
.LBB40_124:
	ds_read_b32 v16, v15 offset:256
	s_waitcnt lgkmcnt(0)
	v_add_f32_e32 v9, v9, v16
	s_or_b32 exec_lo, exec_lo, s0
	s_and_saveexec_b32 s0, vcc_lo
	s_cbranch_execz .LBB40_94
.LBB40_125:
	ds_read_b32 v16, v15 offset:288
	s_waitcnt lgkmcnt(0)
	v_add_f32_e32 v10, v10, v16
	s_or_b32 exec_lo, exec_lo, s0
	s_and_saveexec_b32 s0, vcc_lo
	s_cbranch_execz .LBB40_95
.LBB40_126:
	ds_read_b32 v16, v15 offset:320
	s_waitcnt lgkmcnt(0)
	v_add_f32_e32 v11, v11, v16
	s_or_b32 exec_lo, exec_lo, s0
	s_and_saveexec_b32 s0, vcc_lo
	s_cbranch_execz .LBB40_96
.LBB40_127:
	ds_read_b32 v16, v15 offset:352
	s_waitcnt lgkmcnt(0)
	v_add_f32_e32 v12, v12, v16
	s_or_b32 exec_lo, exec_lo, s0
	s_and_saveexec_b32 s0, vcc_lo
	s_cbranch_execz .LBB40_97
.LBB40_128:
	ds_read_b32 v16, v15 offset:384
	s_waitcnt lgkmcnt(0)
	v_add_f32_e32 v13, v13, v16
	s_or_b32 exec_lo, exec_lo, s0
	s_and_saveexec_b32 s0, vcc_lo
	s_cbranch_execnz .LBB40_98
	s_branch .LBB40_99
	.section	.rodata,"a",@progbits
	.p2align	6, 0x0
	.amdhsa_kernel _ZN4vllm25paged_attention_v2_kernelIffLi112ELi16ELi128ELNS_18Fp8KVCacheDataTypeE0ELb0ELi512EEEvPfS2_PT_PKS3_PKT0_S9_ifPKiSB_iPKfiiiSD_SD_iiiii
		.amdhsa_group_segment_fixed_size 480
		.amdhsa_private_segment_fixed_size 0
		.amdhsa_kernarg_size 400
		.amdhsa_user_sgpr_count 6
		.amdhsa_user_sgpr_private_segment_buffer 1
		.amdhsa_user_sgpr_dispatch_ptr 0
		.amdhsa_user_sgpr_queue_ptr 0
		.amdhsa_user_sgpr_kernarg_segment_ptr 1
		.amdhsa_user_sgpr_dispatch_id 0
		.amdhsa_user_sgpr_flat_scratch_init 0
		.amdhsa_user_sgpr_private_segment_size 0
		.amdhsa_wavefront_size32 1
		.amdhsa_uses_dynamic_stack 0
		.amdhsa_system_sgpr_private_segment_wavefront_offset 0
		.amdhsa_system_sgpr_workgroup_id_x 1
		.amdhsa_system_sgpr_workgroup_id_y 1
		.amdhsa_system_sgpr_workgroup_id_z 1
		.amdhsa_system_sgpr_workgroup_info 0
		.amdhsa_system_vgpr_workitem_id 0
		.amdhsa_next_free_vgpr 105
		.amdhsa_next_free_sgpr 36
		.amdhsa_reserve_vcc 1
		.amdhsa_reserve_flat_scratch 0
		.amdhsa_float_round_mode_32 0
		.amdhsa_float_round_mode_16_64 0
		.amdhsa_float_denorm_mode_32 3
		.amdhsa_float_denorm_mode_16_64 3
		.amdhsa_dx10_clamp 1
		.amdhsa_ieee_mode 1
		.amdhsa_fp16_overflow 0
		.amdhsa_workgroup_processor_mode 1
		.amdhsa_memory_ordered 1
		.amdhsa_forward_progress 1
		.amdhsa_shared_vgpr_count 0
		.amdhsa_exception_fp_ieee_invalid_op 0
		.amdhsa_exception_fp_denorm_src 0
		.amdhsa_exception_fp_ieee_div_zero 0
		.amdhsa_exception_fp_ieee_overflow 0
		.amdhsa_exception_fp_ieee_underflow 0
		.amdhsa_exception_fp_ieee_inexact 0
		.amdhsa_exception_int_div_zero 0
	.end_amdhsa_kernel
	.section	.text._ZN4vllm25paged_attention_v2_kernelIffLi112ELi16ELi128ELNS_18Fp8KVCacheDataTypeE0ELb0ELi512EEEvPfS2_PT_PKS3_PKT0_S9_ifPKiSB_iPKfiiiSD_SD_iiiii,"axG",@progbits,_ZN4vllm25paged_attention_v2_kernelIffLi112ELi16ELi128ELNS_18Fp8KVCacheDataTypeE0ELb0ELi512EEEvPfS2_PT_PKS3_PKT0_S9_ifPKiSB_iPKfiiiSD_SD_iiiii,comdat
.Lfunc_end40:
	.size	_ZN4vllm25paged_attention_v2_kernelIffLi112ELi16ELi128ELNS_18Fp8KVCacheDataTypeE0ELb0ELi512EEEvPfS2_PT_PKS3_PKT0_S9_ifPKiSB_iPKfiiiSD_SD_iiiii, .Lfunc_end40-_ZN4vllm25paged_attention_v2_kernelIffLi112ELi16ELi128ELNS_18Fp8KVCacheDataTypeE0ELb0ELi512EEEvPfS2_PT_PKS3_PKT0_S9_ifPKiSB_iPKfiiiSD_SD_iiiii
                                        ; -- End function
	.set _ZN4vllm25paged_attention_v2_kernelIffLi112ELi16ELi128ELNS_18Fp8KVCacheDataTypeE0ELb0ELi512EEEvPfS2_PT_PKS3_PKT0_S9_ifPKiSB_iPKfiiiSD_SD_iiiii.num_vgpr, 105
	.set _ZN4vllm25paged_attention_v2_kernelIffLi112ELi16ELi128ELNS_18Fp8KVCacheDataTypeE0ELb0ELi512EEEvPfS2_PT_PKS3_PKT0_S9_ifPKiSB_iPKfiiiSD_SD_iiiii.num_agpr, 0
	.set _ZN4vllm25paged_attention_v2_kernelIffLi112ELi16ELi128ELNS_18Fp8KVCacheDataTypeE0ELb0ELi512EEEvPfS2_PT_PKS3_PKT0_S9_ifPKiSB_iPKfiiiSD_SD_iiiii.numbered_sgpr, 36
	.set _ZN4vllm25paged_attention_v2_kernelIffLi112ELi16ELi128ELNS_18Fp8KVCacheDataTypeE0ELb0ELi512EEEvPfS2_PT_PKS3_PKT0_S9_ifPKiSB_iPKfiiiSD_SD_iiiii.num_named_barrier, 0
	.set _ZN4vllm25paged_attention_v2_kernelIffLi112ELi16ELi128ELNS_18Fp8KVCacheDataTypeE0ELb0ELi512EEEvPfS2_PT_PKS3_PKT0_S9_ifPKiSB_iPKfiiiSD_SD_iiiii.private_seg_size, 0
	.set _ZN4vllm25paged_attention_v2_kernelIffLi112ELi16ELi128ELNS_18Fp8KVCacheDataTypeE0ELb0ELi512EEEvPfS2_PT_PKS3_PKT0_S9_ifPKiSB_iPKfiiiSD_SD_iiiii.uses_vcc, 1
	.set _ZN4vllm25paged_attention_v2_kernelIffLi112ELi16ELi128ELNS_18Fp8KVCacheDataTypeE0ELb0ELi512EEEvPfS2_PT_PKS3_PKT0_S9_ifPKiSB_iPKfiiiSD_SD_iiiii.uses_flat_scratch, 0
	.set _ZN4vllm25paged_attention_v2_kernelIffLi112ELi16ELi128ELNS_18Fp8KVCacheDataTypeE0ELb0ELi512EEEvPfS2_PT_PKS3_PKT0_S9_ifPKiSB_iPKfiiiSD_SD_iiiii.has_dyn_sized_stack, 0
	.set _ZN4vllm25paged_attention_v2_kernelIffLi112ELi16ELi128ELNS_18Fp8KVCacheDataTypeE0ELb0ELi512EEEvPfS2_PT_PKS3_PKT0_S9_ifPKiSB_iPKfiiiSD_SD_iiiii.has_recursion, 0
	.set _ZN4vllm25paged_attention_v2_kernelIffLi112ELi16ELi128ELNS_18Fp8KVCacheDataTypeE0ELb0ELi512EEEvPfS2_PT_PKS3_PKT0_S9_ifPKiSB_iPKfiiiSD_SD_iiiii.has_indirect_call, 0
	.section	.AMDGPU.csdata,"",@progbits
; Kernel info:
; codeLenInByte = 7172
; TotalNumSgprs: 38
; NumVgprs: 105
; ScratchSize: 0
; MemoryBound: 0
; FloatMode: 240
; IeeeMode: 1
; LDSByteSize: 480 bytes/workgroup (compile time only)
; SGPRBlocks: 0
; VGPRBlocks: 13
; NumSGPRsForWavesPerEU: 38
; NumVGPRsForWavesPerEU: 105
; Occupancy: 9
; WaveLimiterHint : 1
; COMPUTE_PGM_RSRC2:SCRATCH_EN: 0
; COMPUTE_PGM_RSRC2:USER_SGPR: 6
; COMPUTE_PGM_RSRC2:TRAP_HANDLER: 0
; COMPUTE_PGM_RSRC2:TGID_X_EN: 1
; COMPUTE_PGM_RSRC2:TGID_Y_EN: 1
; COMPUTE_PGM_RSRC2:TGID_Z_EN: 1
; COMPUTE_PGM_RSRC2:TIDIG_COMP_CNT: 0
	.section	.text._ZN4vllm25paged_attention_v2_kernelIffLi120ELi16ELi128ELNS_18Fp8KVCacheDataTypeE0ELb0ELi512EEEvPfS2_PT_PKS3_PKT0_S9_ifPKiSB_iPKfiiiSD_SD_iiiii,"axG",@progbits,_ZN4vllm25paged_attention_v2_kernelIffLi120ELi16ELi128ELNS_18Fp8KVCacheDataTypeE0ELb0ELi512EEEvPfS2_PT_PKS3_PKT0_S9_ifPKiSB_iPKfiiiSD_SD_iiiii,comdat
	.protected	_ZN4vllm25paged_attention_v2_kernelIffLi120ELi16ELi128ELNS_18Fp8KVCacheDataTypeE0ELb0ELi512EEEvPfS2_PT_PKS3_PKT0_S9_ifPKiSB_iPKfiiiSD_SD_iiiii ; -- Begin function _ZN4vllm25paged_attention_v2_kernelIffLi120ELi16ELi128ELNS_18Fp8KVCacheDataTypeE0ELb0ELi512EEEvPfS2_PT_PKS3_PKT0_S9_ifPKiSB_iPKfiiiSD_SD_iiiii
	.globl	_ZN4vllm25paged_attention_v2_kernelIffLi120ELi16ELi128ELNS_18Fp8KVCacheDataTypeE0ELb0ELi512EEEvPfS2_PT_PKS3_PKT0_S9_ifPKiSB_iPKfiiiSD_SD_iiiii
	.p2align	8
	.type	_ZN4vllm25paged_attention_v2_kernelIffLi120ELi16ELi128ELNS_18Fp8KVCacheDataTypeE0ELb0ELi512EEEvPfS2_PT_PKS3_PKT0_S9_ifPKiSB_iPKfiiiSD_SD_iiiii,@function
_ZN4vllm25paged_attention_v2_kernelIffLi120ELi16ELi128ELNS_18Fp8KVCacheDataTypeE0ELb0ELi512EEEvPfS2_PT_PKS3_PKT0_S9_ifPKiSB_iPKfiiiSD_SD_iiiii: ; @_ZN4vllm25paged_attention_v2_kernelIffLi120ELi16ELi128ELNS_18Fp8KVCacheDataTypeE0ELb0ELi512EEEvPfS2_PT_PKS3_PKT0_S9_ifPKiSB_iPKfiiiSD_SD_iiiii
; %bb.0:
	s_load_dwordx2 s[0:1], s[4:5], 0x40
	s_mov_b32 s22, s7
	s_ashr_i32 s23, s7, 31
	s_lshl_b64 s[2:3], s[22:23], 2
	s_waitcnt lgkmcnt(0)
	s_add_u32 s0, s0, s2
	s_addc_u32 s1, s1, s3
	s_lshl_b32 s33, s8, 9
	s_load_dword s23, s[0:1], 0x0
	s_waitcnt lgkmcnt(0)
	s_cmp_ge_i32 s33, s23
	s_cbranch_scc1 .LBB41_106
; %bb.1:
	s_clause 0x1
	s_load_dword s9, s[4:5], 0x90
	s_load_dwordx2 s[30:31], s[4:5], 0x30
	s_mov_b32 s34, 0
	s_waitcnt lgkmcnt(0)
	s_abs_i32 s3, s9
	s_abs_i32 s0, s30
	v_cvt_f32_u32_e32 v1, s0
	s_sub_i32 s2, 0, s0
	v_rcp_iflag_f32_e32 v1, v1
	v_mul_f32_e32 v1, 0x4f7ffffe, v1
	v_cvt_u32_f32_e32 v1, v1
	v_readfirstlane_b32 s1, v1
	s_mul_i32 s2, s2, s1
	s_mul_hi_u32 s2, s1, s2
	s_add_i32 s1, s1, s2
	s_xor_b32 s2, s9, s30
	s_mul_hi_u32 s1, s3, s1
	s_ashr_i32 s2, s2, 31
	s_mul_i32 s7, s1, s0
	s_sub_i32 s3, s3, s7
	s_add_i32 s7, s1, 1
	s_sub_i32 s10, s3, s0
	s_cmp_ge_u32 s3, s0
	s_cselect_b32 s1, s7, s1
	s_cselect_b32 s3, s10, s3
	s_add_i32 s7, s1, 1
	s_cmp_ge_u32 s3, s0
	s_cselect_b32 s0, s7, s1
	s_abs_i32 s16, s6
	s_xor_b32 s0, s0, s2
	s_sub_i32 s10, s0, s2
	s_load_dwordx2 s[0:1], s[4:5], 0x50
	s_abs_i32 s2, s10
	v_cvt_f32_u32_e32 v1, s2
	s_sub_i32 s7, 0, s2
	v_rcp_iflag_f32_e32 v1, v1
	v_mul_f32_e32 v1, 0x4f7ffffe, v1
	v_cvt_u32_f32_e32 v1, v1
	v_readfirstlane_b32 s3, v1
	s_mul_i32 s7, s7, s3
	s_mul_hi_u32 s7, s3, s7
	s_add_i32 s3, s3, s7
	s_waitcnt lgkmcnt(0)
	s_cmp_eq_u64 s[0:1], 0
	s_mul_hi_u32 s3, s16, s3
	s_cbranch_scc1 .LBB41_3
; %bb.2:
	s_ashr_i32 s7, s6, 31
	s_lshl_b64 s[12:13], s[6:7], 2
	s_add_u32 s0, s0, s12
	s_addc_u32 s1, s1, s13
	s_load_dword s34, s[0:1], 0x0
.LBB41_3:
	s_load_dwordx4 s[12:15], s[4:5], 0x58
	v_and_b32_e32 v41, 1, v0
	v_lshlrev_b32_e32 v1, 3, v0
	v_lshlrev_b32_e32 v63, 2, v0
	s_ashr_i32 s0, s6, 31
	s_ashr_i32 s1, s10, 31
	s_mul_i32 s10, s6, 0x78
	s_mov_b32 s7, exec_lo
	v_cmpx_gt_u32_e32 60, v0
	s_cbranch_execz .LBB41_5
; %bb.4:
	s_load_dwordx2 s[18:19], s[4:5], 0x18
	s_waitcnt lgkmcnt(0)
	s_mul_i32 s20, s12, s22
	v_and_b32_e32 v4, 0xff8, v63
	s_ashr_i32 s21, s20, 31
	s_lshl_b64 s[20:21], s[20:21], 2
	v_mad_u32_u24 v4, 0xf0, v41, v4
	s_add_u32 s12, s18, s20
	s_addc_u32 s15, s19, s21
	s_ashr_i32 s11, s10, 31
	s_lshl_b64 s[18:19], s[10:11], 2
	s_add_u32 s18, s12, s18
	s_addc_u32 s19, s15, s19
	global_load_dwordx2 v[2:3], v1, s[18:19]
	s_waitcnt vmcnt(0)
	ds_write_b64 v4, v[2:3]
.LBB41_5:
	s_or_b32 exec_lo, exec_lo, s7
	s_add_i32 s7, s23, 15
	s_load_dwordx2 s[24:25], s[4:5], 0x38
	s_waitcnt lgkmcnt(0)
	s_load_dword s15, s[4:5], 0x48
	s_ashr_i32 s11, s7, 31
	s_lshl_b32 s30, s8, 5
	s_lshr_b32 s11, s11, 28
	s_xor_b32 s0, s0, s1
	s_add_i32 s7, s7, s11
	s_add_i32 s1, s30, 32
	s_ashr_i32 s12, s7, 4
	s_mul_i32 s7, s3, s2
	s_min_i32 s11, s1, s12
	s_sub_i32 s1, s16, s7
	s_add_i32 s7, s3, 1
	s_sub_i32 s16, s1, s2
	s_cmp_ge_u32 s1, s2
	v_lshrrev_b32_e32 v68, 5, v0
	s_cselect_b32 s3, s7, s3
	s_cselect_b32 s1, s16, s1
	s_add_i32 s7, s3, 1
	s_cmp_ge_u32 s1, s2
	v_or_b32_e32 v65, s30, v68
	s_cselect_b32 s1, s7, s3
	v_mbcnt_lo_u32_b32 v64, -1, 0
	s_xor_b32 s1, s1, s0
	s_waitcnt lgkmcnt(0)
	s_mul_i32 s26, s15, s22
	s_sub_i32 s1, s1, s0
	v_cmp_gt_i32_e64 s0, s11, v65
	s_ashr_i32 s27, s26, 31
	s_mov_b32 s2, exec_lo
	s_barrier
	buffer_gl0_inv
                                        ; implicit-def: $vgpr67
                                        ; implicit-def: $vgpr71
	v_cmpx_le_i32_e64 s11, v65
	s_xor_b32 s2, exec_lo, s2
; %bb.6:
	v_mov_b32_e32 v67, 0
	v_mbcnt_lo_u32_b32 v64, -1, 0
	v_mov_b32_e32 v71, 32
                                        ; implicit-def: $vgpr1
                                        ; implicit-def: $vgpr41
; %bb.7:
	s_or_saveexec_b32 s35, s2
	s_clause 0x3
	s_load_dwordx4 s[16:19], s[4:5], 0x0
	s_load_dwordx2 s[20:21], s[4:5], 0x10
	s_load_dwordx2 s[28:29], s[4:5], 0x28
	s_load_dword s7, s[4:5], 0x98
	v_mov_b32_e32 v73, 0xff7fffff
	v_ashrrev_i32_e32 v66, 31, v65
	s_mul_i32 s14, s1, s14
	s_xor_b32 exec_lo, exec_lo, s35
	s_cbranch_execz .LBB41_13
; %bb.8:
	s_load_dwordx2 s[2:3], s[4:5], 0x20
	v_bfe_u32 v61, v0, 1, 4
	v_xor_b32_e32 v26, 1, v64
	s_ashr_i32 s15, s14, 31
	v_and_b32_e32 v25, 8, v1
	s_lshl_b64 s[4:5], s[14:15], 2
	v_lshlrev_b32_e32 v27, 4, v61
	v_cmp_gt_i32_e32 vcc_lo, 32, v26
	v_mul_u32_u24_e32 v57, 0xf0, v41
	ds_read_b128 v[1:4], v57
	ds_read_b128 v[5:8], v57 offset:16
	ds_read_b128 v[9:12], v57 offset:32
	;; [unrolled: 1-line block ×5, first 2 shown]
	v_cndmask_b32_e32 v42, v64, v26, vcc_lo
	v_lshlrev_b32_e32 v62, 2, v61
	v_lshlrev_b32_e32 v73, 4, v68
	v_mov_b32_e32 v67, 0
	v_mov_b32_e32 v71, 32
	v_lshlrev_b32_e32 v72, 2, v42
	s_waitcnt lgkmcnt(0)
	s_add_u32 s1, s2, s4
	s_addc_u32 s2, s3, s5
	v_add_co_u32 v27, s1, s1, v27
	v_add_co_ci_u32_e64 v28, null, s2, 0, s1
	v_lshl_or_b32 v75, v68, 6, v62
	v_add_co_u32 v69, vcc_lo, v27, v25
	v_add_co_ci_u32_e64 v70, null, 0, v28, vcc_lo
	ds_read_b128 v[25:28], v57 offset:96
	ds_read_b128 v[29:32], v57 offset:112
	ds_read_b128 v[33:36], v57 offset:128
	ds_read_b128 v[37:40], v57 offset:144
	v_cmp_eq_u32_e32 vcc_lo, 0, v41
	ds_read_b128 v[41:44], v57 offset:160
	ds_read_b128 v[45:48], v57 offset:176
	;; [unrolled: 1-line block ×5, first 2 shown]
	v_add3_u32 v74, s33, v73, v61
	v_lshlrev_b64 v[61:62], 2, v[65:66]
	s_lshl_b64 s[2:3], s[26:27], 2
	s_sub_i32 s4, 1, s23
	s_add_u32 s2, s24, s2
	s_addc_u32 s3, s25, s3
	v_cmp_neq_f32_e64 s1, s34, 0
	v_add_co_u32 v61, s2, s2, v61
	v_add_nc_u32_e32 v75, 0x200, v75
	v_add_co_ci_u32_e64 v62, null, s3, v62, s2
	v_mov_b32_e32 v73, 0xff7fffff
	v_mov_b32_e32 v76, v65
	s_mov_b32 s15, s13
	s_mov_b32 s5, 0
	s_branch .LBB41_10
.LBB41_9:                               ;   in Loop: Header=BB41_10 Depth=1
	s_or_b32 exec_lo, exec_lo, s3
	v_add_nc_u32_e32 v76, 4, v76
	v_add_co_u32 v61, s3, v61, 16
	v_add_nc_u32_e32 v74, 64, v74
	v_add_nc_u32_e32 v75, 0x100, v75
	v_cmp_le_i32_e64 s2, s11, v76
	v_add_co_ci_u32_e64 v62, null, 0, v62, s3
	s_or_b32 s5, s2, s5
	s_andn2_b32 exec_lo, exec_lo, s5
	s_cbranch_execz .LBB41_12
.LBB41_10:                              ; =>This Inner Loop Header: Depth=1
	global_load_dword v77, v[61:62], off
	s_waitcnt vmcnt(0) lgkmcnt(0)
	v_mad_i64_i32 v[77:78], null, v77, s15, 0
	v_lshlrev_b64 v[77:78], 2, v[77:78]
	v_add_co_u32 v77, s2, v69, v77
	v_add_co_ci_u32_e64 v78, null, v70, v78, s2
	s_clause 0x7
	global_load_dwordx2 v[79:80], v[77:78], off offset:256
	global_load_dwordx2 v[81:82], v[77:78], off offset:512
	;; [unrolled: 1-line block ×3, first 2 shown]
	global_load_dwordx2 v[85:86], v[77:78], off
	global_load_dwordx2 v[87:88], v[77:78], off offset:1024
	global_load_dwordx2 v[89:90], v[77:78], off offset:1280
	global_load_dwordx2 v[91:92], v[77:78], off offset:1536
	global_load_dwordx2 v[93:94], v[77:78], off offset:1792
	v_add_co_u32 v95, s2, v77, 0x1000
	v_add_co_ci_u32_e64 v96, null, 0, v78, s2
	v_add_co_u32 v97, s2, 0x800, v77
	v_add_co_ci_u32_e64 v98, null, 0, v78, s2
	;; [unrolled: 2-line block ×4, first 2 shown]
	s_waitcnt vmcnt(7)
	v_mul_f32_e32 v101, v3, v79
	v_mul_f32_e32 v102, v4, v80
	global_load_dwordx2 v[79:80], v[95:96], off offset:-2048
	s_waitcnt vmcnt(5)
	v_fmac_f32_e32 v101, v1, v85
	v_fmac_f32_e32 v102, v2, v86
	global_load_dwordx2 v[85:86], v[97:98], off offset:256
	v_fmac_f32_e32 v101, v5, v81
	v_fmac_f32_e32 v102, v6, v82
	global_load_dwordx2 v[81:82], v[97:98], off offset:512
	;; [unrolled: 3-line block ×3, first 2 shown]
	s_waitcnt vmcnt(7)
	v_fmac_f32_e32 v101, v9, v87
	v_fmac_f32_e32 v102, v10, v88
	global_load_dwordx2 v[87:88], v[97:98], off offset:1024
	s_waitcnt vmcnt(7)
	v_fmac_f32_e32 v101, v11, v89
	v_fmac_f32_e32 v102, v12, v90
	global_load_dwordx2 v[89:90], v[97:98], off offset:1280
	s_waitcnt vmcnt(7)
	v_fmac_f32_e32 v101, v13, v91
	v_fmac_f32_e32 v102, v14, v92
	s_clause 0x2
	global_load_dwordx2 v[91:92], v[97:98], off offset:1536
	global_load_dwordx2 v[97:98], v[97:98], off offset:1792
	global_load_dwordx2 v[95:96], v[95:96], off
	s_waitcnt vmcnt(9)
	v_fmac_f32_e32 v101, v15, v93
	v_fmac_f32_e32 v102, v16, v94
	global_load_dwordx2 v[93:94], v[99:100], off offset:256
	s_waitcnt vmcnt(9)
	v_fmac_f32_e32 v101, v17, v79
	v_fmac_f32_e32 v102, v18, v80
	global_load_dwordx2 v[79:80], v[99:100], off offset:512
	;; [unrolled: 4-line block ×5, first 2 shown]
	s_waitcnt vmcnt(9) lgkmcnt(8)
	v_fmac_f32_e32 v101, v25, v87
	v_fmac_f32_e32 v102, v26, v88
	s_clause 0x1
	global_load_dwordx2 v[87:88], v[99:100], off offset:1536
	global_load_dwordx2 v[99:100], v[99:100], off offset:1792
	s_waitcnt vmcnt(10)
	v_fmac_f32_e32 v101, v27, v89
	v_fmac_f32_e32 v102, v28, v90
	global_load_dwordx2 v[89:90], v[77:78], off
	s_waitcnt vmcnt(10) lgkmcnt(7)
	v_fmac_f32_e32 v101, v29, v91
	v_fmac_f32_e32 v102, v30, v92
	global_load_dwordx2 v[91:92], v[77:78], off offset:256
	s_waitcnt vmcnt(10)
	v_fmac_f32_e32 v101, v31, v97
	v_fmac_f32_e32 v102, v32, v98
	global_load_dwordx2 v[97:98], v[77:78], off offset:512
	s_waitcnt vmcnt(10) lgkmcnt(6)
	v_fmac_f32_e32 v101, v33, v95
	v_fmac_f32_e32 v102, v34, v96
	global_load_dwordx2 v[95:96], v[77:78], off offset:768
	s_waitcnt vmcnt(10)
	v_fmac_f32_e32 v101, v35, v93
	v_fmac_f32_e32 v102, v36, v94
	s_clause 0x1
	global_load_dwordx2 v[93:94], v[77:78], off offset:1024
	global_load_dwordx2 v[77:78], v[77:78], off offset:1280
	s_waitcnt vmcnt(11) lgkmcnt(5)
	v_fmac_f32_e32 v101, v37, v79
	v_fmac_f32_e32 v102, v38, v80
	s_waitcnt vmcnt(10)
	v_fmac_f32_e32 v101, v39, v85
	v_fmac_f32_e32 v102, v40, v86
	s_waitcnt vmcnt(9) lgkmcnt(4)
	v_fmac_f32_e32 v101, v41, v81
	v_fmac_f32_e32 v102, v42, v82
	s_waitcnt vmcnt(8)
	v_fmac_f32_e32 v101, v43, v83
	v_fmac_f32_e32 v102, v44, v84
	;; [unrolled: 6-line block ×6, first 2 shown]
	v_add_f32_e32 v77, v101, v102
	ds_bpermute_b32 v78, v72, v77
	s_and_saveexec_b32 s3, vcc_lo
	s_cbranch_execz .LBB41_9
; %bb.11:                               ;   in Loop: Header=BB41_10 Depth=1
	v_add_nc_u32_e32 v79, s4, v74
	s_waitcnt lgkmcnt(0)
	v_add_f32_e32 v77, v77, v78
	v_cmp_gt_i32_e64 s2, s23, v74
	v_cvt_f32_i32_e32 v79, v79
	v_mul_f32_e32 v79, s34, v79
	v_cndmask_b32_e64 v78, 0, v79, s1
	v_max_f32_e32 v79, v73, v73
	v_fmac_f32_e32 v78, s31, v77
	v_max_f32_e32 v77, v79, v78
	v_cndmask_b32_e64 v78, 0, v78, s2
	v_cndmask_b32_e64 v73, v73, v77, s2
	ds_write_b32 v75, v78
	s_branch .LBB41_9
.LBB41_12:
	s_or_b32 exec_lo, exec_lo, s5
.LBB41_13:
	s_or_b32 exec_lo, exec_lo, s35
	v_xor_b32_e32 v1, 16, v64
	v_xor_b32_e32 v3, 8, v64
	v_max_f32_e32 v5, v73, v73
	v_xor_b32_e32 v6, 2, v64
	v_and_b32_e32 v69, 31, v0
	v_cmp_lt_i32_e32 vcc_lo, v1, v71
	v_cndmask_b32_e32 v1, v64, v1, vcc_lo
	v_cmp_lt_i32_e32 vcc_lo, v3, v71
	v_lshlrev_b32_e32 v2, 2, v1
	v_cndmask_b32_e32 v3, v64, v3, vcc_lo
	ds_bpermute_b32 v1, v2, v73
	v_lshlrev_b32_e32 v4, 2, v3
	s_waitcnt lgkmcnt(0)
	v_max_f32_e32 v1, v1, v1
	v_max_f32_e32 v1, v5, v1
	v_xor_b32_e32 v5, 4, v64
	ds_bpermute_b32 v3, v4, v1
	v_cmp_lt_i32_e32 vcc_lo, v5, v71
	v_cndmask_b32_e32 v5, v64, v5, vcc_lo
	v_cmp_lt_i32_e32 vcc_lo, v6, v71
	v_lshlrev_b32_e32 v5, 2, v5
	v_cndmask_b32_e32 v6, v64, v6, vcc_lo
	v_cmp_eq_u32_e32 vcc_lo, 0, v69
	v_lshlrev_b32_e32 v70, 2, v6
	v_lshlrev_b32_e32 v6, 2, v68
	s_waitcnt lgkmcnt(0)
	v_max_f32_e32 v3, v3, v3
	v_max_f32_e32 v1, v1, v3
	ds_bpermute_b32 v3, v5, v1
	s_waitcnt lgkmcnt(0)
	v_max_f32_e32 v3, v3, v3
	v_max_f32_e32 v1, v1, v3
	ds_bpermute_b32 v3, v70, v1
	s_and_saveexec_b32 s1, vcc_lo
	s_cbranch_execz .LBB41_15
; %bb.14:
	s_waitcnt lgkmcnt(0)
	v_max_f32_e32 v3, v3, v3
	v_max_f32_e32 v1, v1, v1
	;; [unrolled: 1-line block ×3, first 2 shown]
	ds_write_b32 v6, v1 offset:480
.LBB41_15:
	s_or_b32 exec_lo, exec_lo, s1
	v_cmp_gt_u32_e64 s1, 4, v69
	v_mov_b32_e32 v1, 0xff7fffff
	v_lshlrev_b32_e32 v7, 2, v69
	s_waitcnt lgkmcnt(0)
	s_barrier
	buffer_gl0_inv
	s_and_saveexec_b32 s2, s1
; %bb.16:
	ds_read_b32 v1, v7 offset:480
; %bb.17:
	s_or_b32 exec_lo, exec_lo, s2
	s_waitcnt lgkmcnt(0)
	ds_bpermute_b32 v3, v70, v1
	v_xor_b32_e32 v8, 1, v64
	v_max_f32_e32 v1, v1, v1
	v_cmp_lt_i32_e64 s2, v8, v71
	v_cndmask_b32_e64 v8, v64, v8, s2
	s_sub_i32 s2, s11, s30
	s_lshl_b32 s2, s2, 4
	v_lshlrev_b32_e32 v71, 2, v8
	s_add_i32 s2, s2, s33
	v_mov_b32_e32 v8, 0
	s_min_i32 s2, s2, s23
	s_waitcnt lgkmcnt(0)
	v_max_f32_e32 v3, v3, v3
	s_sub_i32 s4, s2, s33
	v_cmp_gt_i32_e64 s2, s4, v0
	v_max_f32_e32 v1, v1, v3
	ds_bpermute_b32 v3, v71, v1
	s_waitcnt lgkmcnt(0)
	v_max_f32_e32 v3, v3, v3
	v_max_f32_e32 v1, v1, v3
	v_lshlrev_b32_e32 v3, 2, v67
	ds_bpermute_b32 v1, v3, v1
	v_lshl_add_u32 v3, v0, 2, 0x200
	s_and_saveexec_b32 s5, s2
	s_cbranch_execz .LBB41_21
; %bb.18:
	v_lshl_add_u32 v9, v0, 2, 0x200
	v_mov_b32_e32 v8, 0
	v_mov_b32_e32 v10, v0
	s_mov_b32 s15, 0
	.p2align	6
.LBB41_19:                              ; =>This Inner Loop Header: Depth=1
	ds_read_b32 v11, v9
	v_add_nc_u32_e32 v10, 0x80, v10
	v_cmp_le_i32_e64 s3, s4, v10
	s_or_b32 s15, s3, s15
	s_waitcnt lgkmcnt(0)
	v_sub_f32_e32 v11, v11, v1
	v_mul_f32_e32 v11, 0x3fb8aa3b, v11
	v_exp_f32_e32 v11, v11
	ds_write_b32 v9, v11
	v_add_f32_e32 v8, v8, v11
	v_add_nc_u32_e32 v9, 0x200, v9
	s_andn2_b32 exec_lo, exec_lo, s15
	s_cbranch_execnz .LBB41_19
; %bb.20:
	s_or_b32 exec_lo, exec_lo, s15
.LBB41_21:
	s_or_b32 exec_lo, exec_lo, s5
	ds_bpermute_b32 v2, v2, v8
	s_waitcnt lgkmcnt(0)
	v_add_f32_e32 v2, v8, v2
	ds_bpermute_b32 v4, v4, v2
	s_waitcnt lgkmcnt(0)
	v_add_f32_e32 v2, v2, v4
	;; [unrolled: 3-line block ×5, first 2 shown]
	s_and_saveexec_b32 s3, vcc_lo
; %bb.22:
	ds_write_b32 v6, v2 offset:496
; %bb.23:
	s_or_b32 exec_lo, exec_lo, s3
	s_waitcnt lgkmcnt(0)
	s_barrier
	buffer_gl0_inv
	s_and_saveexec_b32 s3, s1
; %bb.24:
	ds_read_b32 v2, v7 offset:496
; %bb.25:
	s_or_b32 exec_lo, exec_lo, s3
	s_waitcnt lgkmcnt(0)
	ds_bpermute_b32 v4, v70, v2
	v_lshlrev_b32_e32 v5, 2, v64
	s_waitcnt lgkmcnt(0)
	v_add_f32_e32 v2, v2, v4
	ds_bpermute_b32 v4, v71, v2
	s_waitcnt lgkmcnt(0)
	v_add_f32_e32 v2, v2, v4
	v_and_b32_e32 v4, 0xffffff80, v5
	ds_bpermute_b32 v2, v4, v2
	s_and_saveexec_b32 s1, s2
	s_cbranch_execz .LBB41_28
; %bb.26:
	s_waitcnt lgkmcnt(0)
	v_add_f32_e32 v4, 0x358637bd, v2
	s_mov_b32 s2, 0
	v_div_scale_f32 v5, null, v4, v4, 1.0
	v_div_scale_f32 v8, vcc_lo, 1.0, v4, 1.0
	v_rcp_f32_e32 v6, v5
	v_fma_f32 v7, -v5, v6, 1.0
	v_fmac_f32_e32 v6, v7, v6
	v_mul_f32_e32 v7, v8, v6
	v_fma_f32 v9, -v5, v7, v8
	v_fmac_f32_e32 v7, v9, v6
	v_fma_f32 v5, -v5, v7, v8
	v_div_fmas_f32 v5, v5, v6, v7
	v_div_fixup_f32 v4, v5, v4, 1.0
	v_mov_b32_e32 v5, v0
.LBB41_27:                              ; =>This Inner Loop Header: Depth=1
	ds_read_b32 v6, v3
	v_add_nc_u32_e32 v5, 0x80, v5
	v_cmp_le_i32_e32 vcc_lo, s4, v5
	s_or_b32 s2, vcc_lo, s2
	s_waitcnt lgkmcnt(0)
	v_mul_f32_e32 v6, v4, v6
	ds_write_b32 v3, v6
	v_add_nc_u32_e32 v3, 0x200, v3
	s_andn2_b32 exec_lo, exec_lo, s2
	s_cbranch_execnz .LBB41_27
.LBB41_28:
	s_or_b32 exec_lo, exec_lo, s1
	s_mul_i32 s1, s7, s22
	s_waitcnt lgkmcnt(0)
	s_mul_i32 s2, s1, s9
	s_mov_b32 s1, exec_lo
	s_barrier
	buffer_gl0_inv
	v_cmpx_eq_u32_e32 0, v0
	s_cbranch_execz .LBB41_30
; %bb.29:
	s_ashr_i32 s3, s2, 31
	s_mul_i32 s30, s7, s6
	s_lshl_b64 s[4:5], s[2:3], 2
	v_mov_b32_e32 v3, 0
	s_add_u32 s3, s18, s4
	s_addc_u32 s6, s19, s5
	s_ashr_i32 s31, s30, 31
	s_lshl_b64 s[18:19], s[30:31], 2
	s_add_u32 s3, s3, s18
	s_addc_u32 s6, s6, s19
	s_ashr_i32 s9, s8, 31
	s_lshl_b64 s[30:31], s[8:9], 2
	s_add_u32 s34, s3, s30
	s_addc_u32 s35, s6, s31
	s_add_u32 s3, s16, s4
	s_addc_u32 s4, s17, s5
	;; [unrolled: 2-line block ×4, first 2 shown]
	global_store_dword v3, v1, s[34:35]
	global_store_dword v3, v2, s[4:5]
.LBB41_30:
	s_or_b32 exec_lo, exec_lo, s1
	v_mov_b32_e32 v85, 0
	v_and_b32_e32 v72, 3, v0
	v_mov_b32_e32 v87, 0
	v_mov_b32_e32 v86, 0
	;; [unrolled: 1-line block ×14, first 2 shown]
	s_and_saveexec_b32 s1, s0
	s_cbranch_execz .LBB41_64
; %bb.31:
	v_lshlrev_b32_e32 v2, 4, v0
	s_ashr_i32 s15, s14, 31
	v_and_b32_e32 v1, 12, v63
	v_lshl_add_u32 v4, v68, 4, s33
	s_lshl_b64 s[4:5], s[14:15], 2
	v_and_b32_e32 v2, 0x1f0, v2
	s_add_u32 s0, s28, s4
	v_lshlrev_b32_e32 v3, 4, v72
	v_add3_u32 v90, v4, v1, 3
	s_addc_u32 s3, s29, s5
	v_add_co_u32 v88, s0, s0, v2
	v_lshlrev_b64 v[1:2], 2, v[65:66]
	s_lshl_b64 s[4:5], s[26:27], 2
	s_add_i32 s12, s12, -1
	v_lshl_or_b32 v3, v68, 6, v3
	v_add_co_ci_u32_e64 v89, null, s3, 0, s0
	s_add_u32 s0, s24, s4
	s_addc_u32 s3, s25, s5
	v_add_co_u32 v66, vcc_lo, s0, v1
	v_mov_b32_e32 v73, 0
	v_add_nc_u32_e32 v91, 0x200, v3
	v_add_co_ci_u32_e64 v67, null, s3, v2, vcc_lo
	v_mov_b32_e32 v74, 0
	v_mov_b32_e32 v75, 0
	;; [unrolled: 1-line block ×14, first 2 shown]
	s_mov_b32 s4, s13
	s_mov_b32 s3, 0
	s_branch .LBB41_33
.LBB41_32:                              ;   in Loop: Header=BB41_33 Depth=1
	s_or_b32 exec_lo, exec_lo, s0
	s_waitcnt vmcnt(1) lgkmcnt(0)
	v_mul_f32_e32 v61, v1, v61
	v_mul_f32_e32 v57, v1, v57
	;; [unrolled: 1-line block ×14, first 2 shown]
	s_waitcnt vmcnt(0)
	v_mul_f32_e32 v1, v1, v49
	v_fmac_f32_e32 v61, v2, v62
	v_fmac_f32_e32 v57, v2, v58
	;; [unrolled: 1-line block ×30, first 2 shown]
	v_add_nc_u32_e32 v65, 4, v65
	v_fmac_f32_e32 v61, v4, v64
	v_fmac_f32_e32 v57, v4, v60
	;; [unrolled: 1-line block ×15, first 2 shown]
	v_cmp_le_i32_e32 vcc_lo, s11, v65
	v_add_co_u32 v66, s0, v66, 16
	v_add_f32_e32 v74, v74, v61
	v_add_f32_e32 v75, v75, v57
	;; [unrolled: 1-line block ×15, first 2 shown]
	v_add_nc_u32_e32 v90, 64, v90
	v_add_nc_u32_e32 v91, 0x100, v91
	v_add_co_ci_u32_e64 v67, null, 0, v67, s0
	s_or_b32 s3, vcc_lo, s3
	s_andn2_b32 exec_lo, exec_lo, s3
	s_cbranch_execz .LBB41_63
.LBB41_33:                              ; =>This Inner Loop Header: Depth=1
	global_load_dword v1, v[66:67], off
	v_add_nc_u32_e32 v92, -3, v90
	v_add_nc_u32_e32 v94, -2, v90
	;; [unrolled: 1-line block ×3, first 2 shown]
	s_waitcnt vmcnt(0)
	v_mad_i64_i32 v[1:2], null, v1, s4, 0
	v_lshlrev_b64 v[1:2], 2, v[1:2]
	v_add_co_u32 v49, vcc_lo, v88, v1
	v_add_co_ci_u32_e64 v50, null, v89, v2, vcc_lo
	ds_read_b128 v[1:4], v91
	v_cmp_eq_u32_e32 vcc_lo, s12, v65
	global_load_dwordx4 v[5:8], v[49:50], off
	s_and_saveexec_b32 s5, vcc_lo
	s_cbranch_execnz .LBB41_51
; %bb.34:                               ;   in Loop: Header=BB41_33 Depth=1
	s_or_b32 exec_lo, exec_lo, s5
	global_load_dwordx4 v[9:12], v[49:50], off offset:512
	s_and_saveexec_b32 s5, vcc_lo
	s_cbranch_execnz .LBB41_52
.LBB41_35:                              ;   in Loop: Header=BB41_33 Depth=1
	s_or_b32 exec_lo, exec_lo, s5
	global_load_dwordx4 v[13:16], v[49:50], off offset:1024
	s_and_saveexec_b32 s5, vcc_lo
	s_cbranch_execnz .LBB41_53
.LBB41_36:                              ;   in Loop: Header=BB41_33 Depth=1
	s_or_b32 exec_lo, exec_lo, s5
	global_load_dwordx4 v[17:20], v[49:50], off offset:1536
	s_and_saveexec_b32 s5, vcc_lo
	s_cbranch_execz .LBB41_38
.LBB41_37:                              ;   in Loop: Header=BB41_33 Depth=1
	v_cmp_gt_i32_e64 s0, s23, v92
	s_waitcnt vmcnt(0)
	v_cndmask_b32_e64 v17, 0, v17, s0
	v_cmp_gt_i32_e64 s0, s23, v94
	v_cndmask_b32_e64 v18, 0, v18, s0
	v_cmp_gt_i32_e64 s0, s23, v93
	v_cndmask_b32_e64 v19, 0, v19, s0
	v_cmp_gt_i32_e64 s0, s23, v90
	v_cndmask_b32_e64 v20, 0, v20, s0
.LBB41_38:                              ;   in Loop: Header=BB41_33 Depth=1
	s_or_b32 exec_lo, exec_lo, s5
	v_add_co_u32 v33, s0, 0x800, v49
	v_add_co_ci_u32_e64 v34, null, 0, v50, s0
	global_load_dwordx4 v[21:24], v[33:34], off
	s_and_saveexec_b32 s5, vcc_lo
	s_cbranch_execnz .LBB41_54
; %bb.39:                               ;   in Loop: Header=BB41_33 Depth=1
	s_or_b32 exec_lo, exec_lo, s5
	global_load_dwordx4 v[25:28], v[33:34], off offset:512
	s_and_saveexec_b32 s5, vcc_lo
	s_cbranch_execnz .LBB41_55
.LBB41_40:                              ;   in Loop: Header=BB41_33 Depth=1
	s_or_b32 exec_lo, exec_lo, s5
	global_load_dwordx4 v[29:32], v[33:34], off offset:1024
	s_and_saveexec_b32 s5, vcc_lo
	s_cbranch_execnz .LBB41_56
.LBB41_41:                              ;   in Loop: Header=BB41_33 Depth=1
	s_or_b32 exec_lo, exec_lo, s5
	global_load_dwordx4 v[33:36], v[33:34], off offset:1536
	s_and_saveexec_b32 s5, vcc_lo
	s_cbranch_execz .LBB41_43
.LBB41_42:                              ;   in Loop: Header=BB41_33 Depth=1
	v_cmp_gt_i32_e64 s0, s23, v92
	s_waitcnt vmcnt(0)
	v_cndmask_b32_e64 v33, 0, v33, s0
	v_cmp_gt_i32_e64 s0, s23, v94
	v_cndmask_b32_e64 v34, 0, v34, s0
	v_cmp_gt_i32_e64 s0, s23, v93
	;; [unrolled: 2-line block ×3, first 2 shown]
	v_cndmask_b32_e64 v36, 0, v36, s0
.LBB41_43:                              ;   in Loop: Header=BB41_33 Depth=1
	s_or_b32 exec_lo, exec_lo, s5
	v_add_co_u32 v51, s0, 0x1000, v49
	v_add_co_ci_u32_e64 v52, null, 0, v50, s0
	global_load_dwordx4 v[37:40], v[51:52], off
	s_and_saveexec_b32 s5, vcc_lo
	s_cbranch_execnz .LBB41_57
; %bb.44:                               ;   in Loop: Header=BB41_33 Depth=1
	s_or_b32 exec_lo, exec_lo, s5
	global_load_dwordx4 v[41:44], v[51:52], off offset:512
	s_and_saveexec_b32 s5, vcc_lo
	s_cbranch_execnz .LBB41_58
.LBB41_45:                              ;   in Loop: Header=BB41_33 Depth=1
	s_or_b32 exec_lo, exec_lo, s5
	global_load_dwordx4 v[45:48], v[51:52], off offset:1024
	s_and_saveexec_b32 s5, vcc_lo
	s_cbranch_execnz .LBB41_59
.LBB41_46:                              ;   in Loop: Header=BB41_33 Depth=1
	s_or_b32 exec_lo, exec_lo, s5
	global_load_dwordx4 v[53:56], v[51:52], off offset:1536
	s_and_saveexec_b32 s5, vcc_lo
	s_cbranch_execz .LBB41_48
.LBB41_47:                              ;   in Loop: Header=BB41_33 Depth=1
	v_cmp_gt_i32_e64 s0, s23, v92
	s_waitcnt vmcnt(0)
	v_cndmask_b32_e64 v53, 0, v53, s0
	v_cmp_gt_i32_e64 s0, s23, v94
	v_cndmask_b32_e64 v54, 0, v54, s0
	v_cmp_gt_i32_e64 s0, s23, v93
	;; [unrolled: 2-line block ×3, first 2 shown]
	v_cndmask_b32_e64 v56, 0, v56, s0
.LBB41_48:                              ;   in Loop: Header=BB41_33 Depth=1
	s_or_b32 exec_lo, exec_lo, s5
	v_add_co_u32 v49, s0, 0x1800, v49
	v_add_co_ci_u32_e64 v50, null, 0, v50, s0
	global_load_dwordx4 v[57:60], v[49:50], off
	s_and_saveexec_b32 s5, vcc_lo
	s_cbranch_execnz .LBB41_60
; %bb.49:                               ;   in Loop: Header=BB41_33 Depth=1
	s_or_b32 exec_lo, exec_lo, s5
	global_load_dwordx4 v[61:64], v[49:50], off offset:512
	s_and_saveexec_b32 s5, vcc_lo
	s_cbranch_execnz .LBB41_61
.LBB41_50:                              ;   in Loop: Header=BB41_33 Depth=1
	s_or_b32 exec_lo, exec_lo, s5
	global_load_dwordx4 v[49:52], v[49:50], off offset:1024
	s_and_saveexec_b32 s0, vcc_lo
	s_cbranch_execz .LBB41_32
	s_branch .LBB41_62
.LBB41_51:                              ;   in Loop: Header=BB41_33 Depth=1
	v_cmp_gt_i32_e64 s0, s23, v92
	s_waitcnt vmcnt(0)
	v_cndmask_b32_e64 v5, 0, v5, s0
	v_cmp_gt_i32_e64 s0, s23, v94
	v_cndmask_b32_e64 v6, 0, v6, s0
	v_cmp_gt_i32_e64 s0, s23, v93
	v_cndmask_b32_e64 v7, 0, v7, s0
	v_cmp_gt_i32_e64 s0, s23, v90
	v_cndmask_b32_e64 v8, 0, v8, s0
	s_or_b32 exec_lo, exec_lo, s5
	global_load_dwordx4 v[9:12], v[49:50], off offset:512
	s_and_saveexec_b32 s5, vcc_lo
	s_cbranch_execz .LBB41_35
.LBB41_52:                              ;   in Loop: Header=BB41_33 Depth=1
	v_cmp_gt_i32_e64 s0, s23, v92
	s_waitcnt vmcnt(0)
	v_cndmask_b32_e64 v9, 0, v9, s0
	v_cmp_gt_i32_e64 s0, s23, v94
	v_cndmask_b32_e64 v10, 0, v10, s0
	v_cmp_gt_i32_e64 s0, s23, v93
	;; [unrolled: 2-line block ×3, first 2 shown]
	v_cndmask_b32_e64 v12, 0, v12, s0
	s_or_b32 exec_lo, exec_lo, s5
	global_load_dwordx4 v[13:16], v[49:50], off offset:1024
	s_and_saveexec_b32 s5, vcc_lo
	s_cbranch_execz .LBB41_36
.LBB41_53:                              ;   in Loop: Header=BB41_33 Depth=1
	v_cmp_gt_i32_e64 s0, s23, v92
	s_waitcnt vmcnt(0)
	v_cndmask_b32_e64 v13, 0, v13, s0
	v_cmp_gt_i32_e64 s0, s23, v94
	v_cndmask_b32_e64 v14, 0, v14, s0
	v_cmp_gt_i32_e64 s0, s23, v93
	;; [unrolled: 2-line block ×3, first 2 shown]
	v_cndmask_b32_e64 v16, 0, v16, s0
	s_or_b32 exec_lo, exec_lo, s5
	global_load_dwordx4 v[17:20], v[49:50], off offset:1536
	s_and_saveexec_b32 s5, vcc_lo
	s_cbranch_execnz .LBB41_37
	s_branch .LBB41_38
.LBB41_54:                              ;   in Loop: Header=BB41_33 Depth=1
	v_cmp_gt_i32_e64 s0, s23, v92
	s_waitcnt vmcnt(0)
	v_cndmask_b32_e64 v21, 0, v21, s0
	v_cmp_gt_i32_e64 s0, s23, v94
	v_cndmask_b32_e64 v22, 0, v22, s0
	v_cmp_gt_i32_e64 s0, s23, v93
	v_cndmask_b32_e64 v23, 0, v23, s0
	v_cmp_gt_i32_e64 s0, s23, v90
	v_cndmask_b32_e64 v24, 0, v24, s0
	s_or_b32 exec_lo, exec_lo, s5
	global_load_dwordx4 v[25:28], v[33:34], off offset:512
	s_and_saveexec_b32 s5, vcc_lo
	s_cbranch_execz .LBB41_40
.LBB41_55:                              ;   in Loop: Header=BB41_33 Depth=1
	v_cmp_gt_i32_e64 s0, s23, v92
	s_waitcnt vmcnt(0)
	v_cndmask_b32_e64 v25, 0, v25, s0
	v_cmp_gt_i32_e64 s0, s23, v94
	v_cndmask_b32_e64 v26, 0, v26, s0
	v_cmp_gt_i32_e64 s0, s23, v93
	;; [unrolled: 2-line block ×3, first 2 shown]
	v_cndmask_b32_e64 v28, 0, v28, s0
	s_or_b32 exec_lo, exec_lo, s5
	global_load_dwordx4 v[29:32], v[33:34], off offset:1024
	s_and_saveexec_b32 s5, vcc_lo
	s_cbranch_execz .LBB41_41
.LBB41_56:                              ;   in Loop: Header=BB41_33 Depth=1
	v_cmp_gt_i32_e64 s0, s23, v92
	s_waitcnt vmcnt(0)
	v_cndmask_b32_e64 v29, 0, v29, s0
	v_cmp_gt_i32_e64 s0, s23, v94
	v_cndmask_b32_e64 v30, 0, v30, s0
	v_cmp_gt_i32_e64 s0, s23, v93
	;; [unrolled: 2-line block ×3, first 2 shown]
	v_cndmask_b32_e64 v32, 0, v32, s0
	s_or_b32 exec_lo, exec_lo, s5
	global_load_dwordx4 v[33:36], v[33:34], off offset:1536
	s_and_saveexec_b32 s5, vcc_lo
	s_cbranch_execnz .LBB41_42
	s_branch .LBB41_43
.LBB41_57:                              ;   in Loop: Header=BB41_33 Depth=1
	v_cmp_gt_i32_e64 s0, s23, v92
	s_waitcnt vmcnt(0)
	v_cndmask_b32_e64 v37, 0, v37, s0
	v_cmp_gt_i32_e64 s0, s23, v94
	v_cndmask_b32_e64 v38, 0, v38, s0
	v_cmp_gt_i32_e64 s0, s23, v93
	;; [unrolled: 2-line block ×3, first 2 shown]
	v_cndmask_b32_e64 v40, 0, v40, s0
	s_or_b32 exec_lo, exec_lo, s5
	global_load_dwordx4 v[41:44], v[51:52], off offset:512
	s_and_saveexec_b32 s5, vcc_lo
	s_cbranch_execz .LBB41_45
.LBB41_58:                              ;   in Loop: Header=BB41_33 Depth=1
	v_cmp_gt_i32_e64 s0, s23, v92
	s_waitcnt vmcnt(0)
	v_cndmask_b32_e64 v41, 0, v41, s0
	v_cmp_gt_i32_e64 s0, s23, v94
	v_cndmask_b32_e64 v42, 0, v42, s0
	v_cmp_gt_i32_e64 s0, s23, v93
	;; [unrolled: 2-line block ×3, first 2 shown]
	v_cndmask_b32_e64 v44, 0, v44, s0
	s_or_b32 exec_lo, exec_lo, s5
	global_load_dwordx4 v[45:48], v[51:52], off offset:1024
	s_and_saveexec_b32 s5, vcc_lo
	s_cbranch_execz .LBB41_46
.LBB41_59:                              ;   in Loop: Header=BB41_33 Depth=1
	v_cmp_gt_i32_e64 s0, s23, v92
	s_waitcnt vmcnt(0)
	v_cndmask_b32_e64 v45, 0, v45, s0
	v_cmp_gt_i32_e64 s0, s23, v94
	v_cndmask_b32_e64 v46, 0, v46, s0
	v_cmp_gt_i32_e64 s0, s23, v93
	;; [unrolled: 2-line block ×3, first 2 shown]
	v_cndmask_b32_e64 v48, 0, v48, s0
	s_or_b32 exec_lo, exec_lo, s5
	global_load_dwordx4 v[53:56], v[51:52], off offset:1536
	s_and_saveexec_b32 s5, vcc_lo
	s_cbranch_execnz .LBB41_47
	s_branch .LBB41_48
.LBB41_60:                              ;   in Loop: Header=BB41_33 Depth=1
	v_cmp_gt_i32_e64 s0, s23, v92
	s_waitcnt vmcnt(0)
	v_cndmask_b32_e64 v57, 0, v57, s0
	v_cmp_gt_i32_e64 s0, s23, v94
	v_cndmask_b32_e64 v58, 0, v58, s0
	v_cmp_gt_i32_e64 s0, s23, v93
	v_cndmask_b32_e64 v59, 0, v59, s0
	v_cmp_gt_i32_e64 s0, s23, v90
	v_cndmask_b32_e64 v60, 0, v60, s0
	s_or_b32 exec_lo, exec_lo, s5
	global_load_dwordx4 v[61:64], v[49:50], off offset:512
	s_and_saveexec_b32 s5, vcc_lo
	s_cbranch_execz .LBB41_50
.LBB41_61:                              ;   in Loop: Header=BB41_33 Depth=1
	v_cmp_gt_i32_e64 s0, s23, v92
	s_waitcnt vmcnt(0)
	v_cndmask_b32_e64 v61, 0, v61, s0
	v_cmp_gt_i32_e64 s0, s23, v94
	v_cndmask_b32_e64 v62, 0, v62, s0
	v_cmp_gt_i32_e64 s0, s23, v93
	;; [unrolled: 2-line block ×3, first 2 shown]
	v_cndmask_b32_e64 v64, 0, v64, s0
	s_or_b32 exec_lo, exec_lo, s5
	global_load_dwordx4 v[49:52], v[49:50], off offset:1024
	s_and_saveexec_b32 s0, vcc_lo
	s_cbranch_execz .LBB41_32
.LBB41_62:                              ;   in Loop: Header=BB41_33 Depth=1
	v_cmp_gt_i32_e32 vcc_lo, s23, v92
	s_waitcnt vmcnt(0)
	v_cndmask_b32_e32 v49, 0, v49, vcc_lo
	v_cmp_gt_i32_e32 vcc_lo, s23, v94
	v_cndmask_b32_e32 v50, 0, v50, vcc_lo
	v_cmp_gt_i32_e32 vcc_lo, s23, v93
	;; [unrolled: 2-line block ×3, first 2 shown]
	v_cndmask_b32_e32 v52, 0, v52, vcc_lo
	s_branch .LBB41_32
.LBB41_63:
	s_or_b32 exec_lo, exec_lo, s3
.LBB41_64:
	s_or_b32 exec_lo, exec_lo, s1
	ds_bpermute_b32 v2, v70, v87
	ds_bpermute_b32 v1, v70, v85
	;; [unrolled: 1-line block ×15, first 2 shown]
	s_mov_b32 s0, exec_lo
	s_waitcnt lgkmcnt(0)
	s_waitcnt_vscnt null, 0x0
	s_barrier
	buffer_gl0_inv
	v_add_f32_e32 v2, v87, v2
	v_add_f32_e32 v1, v85, v1
	v_add_f32_e32 v3, v86, v3
	v_add_f32_e32 v4, v84, v4
	v_add_f32_e32 v5, v83, v5
	v_add_f32_e32 v6, v82, v6
	v_add_f32_e32 v7, v81, v7
	ds_bpermute_b32 v17, v71, v2
	v_add_f32_e32 v8, v80, v8
	v_add_f32_e32 v9, v79, v9
	;; [unrolled: 1-line block ×8, first 2 shown]
	ds_bpermute_b32 v16, v71, v1
	ds_bpermute_b32 v18, v71, v3
	ds_bpermute_b32 v19, v71, v4
	ds_bpermute_b32 v20, v71, v5
	ds_bpermute_b32 v21, v71, v6
	ds_bpermute_b32 v22, v71, v7
	ds_bpermute_b32 v23, v71, v8
	ds_bpermute_b32 v24, v71, v9
	ds_bpermute_b32 v25, v71, v10
	ds_bpermute_b32 v26, v71, v11
	ds_bpermute_b32 v27, v71, v12
	ds_bpermute_b32 v28, v71, v13
	ds_bpermute_b32 v29, v71, v14
	ds_bpermute_b32 v30, v71, v15
	s_waitcnt lgkmcnt(14)
	v_add_f32_e32 v2, v2, v17
	v_and_b32_e32 v17, 28, v69
	s_waitcnt lgkmcnt(13)
	v_add_f32_e32 v1, v1, v16
	s_waitcnt lgkmcnt(12)
	v_add_f32_e32 v3, v3, v18
	;; [unrolled: 2-line block ×13, first 2 shown]
	v_and_b32_e32 v19, 0x3c3, v0
	s_waitcnt lgkmcnt(0)
	v_add_f32_e32 v15, v15, v30
	v_lshrrev_b32_e32 v16, 2, v69
	v_add_nc_u32_e32 v17, 0x200, v17
	v_mul_u32_u24_e32 v18, 0x1e0, v68
	v_cmpx_eq_u32_e32 64, v19
	s_cbranch_execz .LBB41_66
; %bb.65:
	v_add_nc_u32_e32 v19, v17, v18
	v_add_nc_u32_e32 v20, 0xfffffc40, v19
	;; [unrolled: 1-line block ×6, first 2 shown]
	ds_write_b32 v20, v1
	ds_write_b32 v21, v2
	;; [unrolled: 1-line block ×5, first 2 shown]
	v_add_nc_u32_e32 v20, 0xfffffce0, v19
	v_add_nc_u32_e32 v21, 0xfffffd00, v19
	;; [unrolled: 1-line block ×5, first 2 shown]
	ds_write_b32 v20, v6
	ds_write_b32 v21, v7
	;; [unrolled: 1-line block ×5, first 2 shown]
	v_add_nc_u32_e32 v20, 0xfffffd80, v19
	v_add_nc_u32_e32 v21, 0xfffffda0, v19
	;; [unrolled: 1-line block ×5, first 2 shown]
	ds_write_b32 v20, v11
	ds_write_b32 v21, v12
	;; [unrolled: 1-line block ×5, first 2 shown]
.LBB41_66:
	s_or_b32 exec_lo, exec_lo, s0
	v_lshlrev_b32_e32 v16, 2, v16
	s_mov_b32 s1, exec_lo
	v_cmp_eq_u32_e32 vcc_lo, 0, v72
	s_waitcnt lgkmcnt(0)
	s_barrier
	v_add3_u32 v16, 0x200, v18, v16
	buffer_gl0_inv
	v_cmpx_gt_u32_e32 64, v0
	s_cbranch_execz .LBB41_84
; %bb.67:
	s_and_saveexec_b32 s0, vcc_lo
	s_cbranch_execnz .LBB41_107
; %bb.68:
	s_or_b32 exec_lo, exec_lo, s0
	s_and_saveexec_b32 s0, vcc_lo
	s_cbranch_execnz .LBB41_108
.LBB41_69:
	s_or_b32 exec_lo, exec_lo, s0
	s_and_saveexec_b32 s0, vcc_lo
	s_cbranch_execnz .LBB41_109
.LBB41_70:
	s_or_b32 exec_lo, exec_lo, s0
	s_and_saveexec_b32 s0, vcc_lo
	s_cbranch_execnz .LBB41_110
.LBB41_71:
	s_or_b32 exec_lo, exec_lo, s0
	s_and_saveexec_b32 s0, vcc_lo
	s_cbranch_execnz .LBB41_111
.LBB41_72:
	s_or_b32 exec_lo, exec_lo, s0
	s_and_saveexec_b32 s0, vcc_lo
	s_cbranch_execnz .LBB41_112
.LBB41_73:
	s_or_b32 exec_lo, exec_lo, s0
	s_and_saveexec_b32 s0, vcc_lo
	s_cbranch_execnz .LBB41_113
.LBB41_74:
	s_or_b32 exec_lo, exec_lo, s0
	s_and_saveexec_b32 s0, vcc_lo
	s_cbranch_execnz .LBB41_114
.LBB41_75:
	s_or_b32 exec_lo, exec_lo, s0
	s_and_saveexec_b32 s0, vcc_lo
	s_cbranch_execnz .LBB41_115
.LBB41_76:
	s_or_b32 exec_lo, exec_lo, s0
	s_and_saveexec_b32 s0, vcc_lo
	s_cbranch_execnz .LBB41_116
.LBB41_77:
	s_or_b32 exec_lo, exec_lo, s0
	s_and_saveexec_b32 s0, vcc_lo
	s_cbranch_execnz .LBB41_117
.LBB41_78:
	s_or_b32 exec_lo, exec_lo, s0
	s_and_saveexec_b32 s0, vcc_lo
	s_cbranch_execnz .LBB41_118
.LBB41_79:
	s_or_b32 exec_lo, exec_lo, s0
	s_and_saveexec_b32 s0, vcc_lo
	s_cbranch_execnz .LBB41_119
.LBB41_80:
	s_or_b32 exec_lo, exec_lo, s0
	s_and_saveexec_b32 s0, vcc_lo
	s_cbranch_execnz .LBB41_120
.LBB41_81:
	s_or_b32 exec_lo, exec_lo, s0
	s_and_saveexec_b32 s0, vcc_lo
	s_cbranch_execz .LBB41_83
.LBB41_82:
	ds_read_b32 v18, v16 offset:448
	s_waitcnt lgkmcnt(0)
	v_add_f32_e32 v15, v15, v18
.LBB41_83:
	s_or_b32 exec_lo, exec_lo, s0
.LBB41_84:
	s_or_b32 exec_lo, exec_lo, s1
	v_and_b32_e32 v18, 0x3e3, v0
	s_mov_b32 s1, exec_lo
	s_barrier
	buffer_gl0_inv
	v_cmpx_eq_u32_e32 32, v18
	s_cbranch_execz .LBB41_86
; %bb.85:
	ds_write2_b32 v17, v1, v2 offset1:8
	ds_write2_b32 v17, v3, v4 offset0:16 offset1:24
	ds_write2_b32 v17, v5, v6 offset0:32 offset1:40
	;; [unrolled: 1-line block ×6, first 2 shown]
	ds_write_b32 v17, v15 offset:448
.LBB41_86:
	s_or_b32 exec_lo, exec_lo, s1
	s_mov_b32 s1, exec_lo
	s_waitcnt lgkmcnt(0)
	s_barrier
	buffer_gl0_inv
	v_cmpx_gt_u32_e32 32, v0
	s_cbranch_execz .LBB41_104
; %bb.87:
	s_and_saveexec_b32 s0, vcc_lo
	s_cbranch_execnz .LBB41_121
; %bb.88:
	s_or_b32 exec_lo, exec_lo, s0
	s_and_saveexec_b32 s0, vcc_lo
	s_cbranch_execnz .LBB41_122
.LBB41_89:
	s_or_b32 exec_lo, exec_lo, s0
	s_and_saveexec_b32 s0, vcc_lo
	s_cbranch_execnz .LBB41_123
.LBB41_90:
	s_or_b32 exec_lo, exec_lo, s0
	s_and_saveexec_b32 s0, vcc_lo
	s_cbranch_execnz .LBB41_124
.LBB41_91:
	s_or_b32 exec_lo, exec_lo, s0
	s_and_saveexec_b32 s0, vcc_lo
	s_cbranch_execnz .LBB41_125
.LBB41_92:
	s_or_b32 exec_lo, exec_lo, s0
	s_and_saveexec_b32 s0, vcc_lo
	s_cbranch_execnz .LBB41_126
.LBB41_93:
	s_or_b32 exec_lo, exec_lo, s0
	s_and_saveexec_b32 s0, vcc_lo
	s_cbranch_execnz .LBB41_127
.LBB41_94:
	s_or_b32 exec_lo, exec_lo, s0
	s_and_saveexec_b32 s0, vcc_lo
	s_cbranch_execnz .LBB41_128
.LBB41_95:
	s_or_b32 exec_lo, exec_lo, s0
	s_and_saveexec_b32 s0, vcc_lo
	s_cbranch_execnz .LBB41_129
.LBB41_96:
	s_or_b32 exec_lo, exec_lo, s0
	s_and_saveexec_b32 s0, vcc_lo
	s_cbranch_execnz .LBB41_130
.LBB41_97:
	s_or_b32 exec_lo, exec_lo, s0
	s_and_saveexec_b32 s0, vcc_lo
	s_cbranch_execnz .LBB41_131
.LBB41_98:
	s_or_b32 exec_lo, exec_lo, s0
	s_and_saveexec_b32 s0, vcc_lo
	s_cbranch_execnz .LBB41_132
.LBB41_99:
	s_or_b32 exec_lo, exec_lo, s0
	s_and_saveexec_b32 s0, vcc_lo
	s_cbranch_execnz .LBB41_133
.LBB41_100:
	s_or_b32 exec_lo, exec_lo, s0
	s_and_saveexec_b32 s0, vcc_lo
	s_cbranch_execnz .LBB41_134
.LBB41_101:
	s_or_b32 exec_lo, exec_lo, s0
	s_and_saveexec_b32 s0, vcc_lo
	s_cbranch_execz .LBB41_103
.LBB41_102:
	ds_read_b32 v16, v16 offset:448
	s_waitcnt lgkmcnt(0)
	v_add_f32_e32 v15, v15, v16
.LBB41_103:
	s_or_b32 exec_lo, exec_lo, s0
.LBB41_104:
	s_or_b32 exec_lo, exec_lo, s1
	s_barrier
	buffer_gl0_inv
	s_mov_b32 s0, exec_lo
	v_cmpx_eq_u32_e32 0, v18
	s_cbranch_execz .LBB41_106
; %bb.105:
	s_mul_i32 s0, s2, 0x78
	s_mul_i32 s2, s7, s10
	s_ashr_i32 s1, s0, 31
	s_lshl_b64 s[0:1], s[0:1], 2
	s_add_u32 s4, s20, s0
	s_addc_u32 s5, s21, s1
	s_ashr_i32 s3, s2, 31
	s_lshl_b64 s[0:1], s[2:3], 2
	s_mul_i32 s2, s8, 0x78
	s_add_u32 s4, s4, s0
	s_addc_u32 s5, s5, s1
	s_ashr_i32 s3, s2, 31
	s_lshl_b64 s[0:1], s[2:3], 2
	s_add_u32 s0, s4, s0
	s_addc_u32 s1, s5, s1
	global_store_dword v0, v1, s[0:1]
	global_store_dword v0, v2, s[0:1] offset:32
	global_store_dword v0, v3, s[0:1] offset:64
	;; [unrolled: 1-line block ×14, first 2 shown]
.LBB41_106:
	s_endpgm
.LBB41_107:
	ds_read_b32 v18, v16
	s_waitcnt lgkmcnt(0)
	v_add_f32_e32 v1, v1, v18
	s_or_b32 exec_lo, exec_lo, s0
	s_and_saveexec_b32 s0, vcc_lo
	s_cbranch_execz .LBB41_69
.LBB41_108:
	ds_read_b32 v18, v16 offset:32
	s_waitcnt lgkmcnt(0)
	v_add_f32_e32 v2, v2, v18
	s_or_b32 exec_lo, exec_lo, s0
	s_and_saveexec_b32 s0, vcc_lo
	s_cbranch_execz .LBB41_70
.LBB41_109:
	ds_read_b32 v18, v16 offset:64
	s_waitcnt lgkmcnt(0)
	v_add_f32_e32 v3, v3, v18
	s_or_b32 exec_lo, exec_lo, s0
	s_and_saveexec_b32 s0, vcc_lo
	s_cbranch_execz .LBB41_71
.LBB41_110:
	ds_read_b32 v18, v16 offset:96
	s_waitcnt lgkmcnt(0)
	v_add_f32_e32 v4, v4, v18
	s_or_b32 exec_lo, exec_lo, s0
	s_and_saveexec_b32 s0, vcc_lo
	s_cbranch_execz .LBB41_72
.LBB41_111:
	ds_read_b32 v18, v16 offset:128
	s_waitcnt lgkmcnt(0)
	v_add_f32_e32 v5, v5, v18
	s_or_b32 exec_lo, exec_lo, s0
	s_and_saveexec_b32 s0, vcc_lo
	s_cbranch_execz .LBB41_73
.LBB41_112:
	ds_read_b32 v18, v16 offset:160
	s_waitcnt lgkmcnt(0)
	v_add_f32_e32 v6, v6, v18
	s_or_b32 exec_lo, exec_lo, s0
	s_and_saveexec_b32 s0, vcc_lo
	s_cbranch_execz .LBB41_74
.LBB41_113:
	ds_read_b32 v18, v16 offset:192
	s_waitcnt lgkmcnt(0)
	v_add_f32_e32 v7, v7, v18
	s_or_b32 exec_lo, exec_lo, s0
	s_and_saveexec_b32 s0, vcc_lo
	s_cbranch_execz .LBB41_75
.LBB41_114:
	ds_read_b32 v18, v16 offset:224
	s_waitcnt lgkmcnt(0)
	v_add_f32_e32 v8, v8, v18
	s_or_b32 exec_lo, exec_lo, s0
	s_and_saveexec_b32 s0, vcc_lo
	s_cbranch_execz .LBB41_76
.LBB41_115:
	ds_read_b32 v18, v16 offset:256
	s_waitcnt lgkmcnt(0)
	v_add_f32_e32 v9, v9, v18
	s_or_b32 exec_lo, exec_lo, s0
	s_and_saveexec_b32 s0, vcc_lo
	s_cbranch_execz .LBB41_77
.LBB41_116:
	ds_read_b32 v18, v16 offset:288
	s_waitcnt lgkmcnt(0)
	v_add_f32_e32 v10, v10, v18
	s_or_b32 exec_lo, exec_lo, s0
	s_and_saveexec_b32 s0, vcc_lo
	s_cbranch_execz .LBB41_78
.LBB41_117:
	ds_read_b32 v18, v16 offset:320
	s_waitcnt lgkmcnt(0)
	v_add_f32_e32 v11, v11, v18
	s_or_b32 exec_lo, exec_lo, s0
	s_and_saveexec_b32 s0, vcc_lo
	s_cbranch_execz .LBB41_79
.LBB41_118:
	ds_read_b32 v18, v16 offset:352
	s_waitcnt lgkmcnt(0)
	v_add_f32_e32 v12, v12, v18
	s_or_b32 exec_lo, exec_lo, s0
	s_and_saveexec_b32 s0, vcc_lo
	s_cbranch_execz .LBB41_80
.LBB41_119:
	ds_read_b32 v18, v16 offset:384
	s_waitcnt lgkmcnt(0)
	v_add_f32_e32 v13, v13, v18
	s_or_b32 exec_lo, exec_lo, s0
	s_and_saveexec_b32 s0, vcc_lo
	s_cbranch_execz .LBB41_81
.LBB41_120:
	ds_read_b32 v18, v16 offset:416
	s_waitcnt lgkmcnt(0)
	v_add_f32_e32 v14, v14, v18
	s_or_b32 exec_lo, exec_lo, s0
	s_and_saveexec_b32 s0, vcc_lo
	s_cbranch_execnz .LBB41_82
	s_branch .LBB41_83
.LBB41_121:
	ds_read_b32 v17, v16
	s_waitcnt lgkmcnt(0)
	v_add_f32_e32 v1, v1, v17
	s_or_b32 exec_lo, exec_lo, s0
	s_and_saveexec_b32 s0, vcc_lo
	s_cbranch_execz .LBB41_89
.LBB41_122:
	ds_read_b32 v17, v16 offset:32
	s_waitcnt lgkmcnt(0)
	v_add_f32_e32 v2, v2, v17
	s_or_b32 exec_lo, exec_lo, s0
	s_and_saveexec_b32 s0, vcc_lo
	s_cbranch_execz .LBB41_90
.LBB41_123:
	ds_read_b32 v17, v16 offset:64
	s_waitcnt lgkmcnt(0)
	v_add_f32_e32 v3, v3, v17
	s_or_b32 exec_lo, exec_lo, s0
	s_and_saveexec_b32 s0, vcc_lo
	s_cbranch_execz .LBB41_91
.LBB41_124:
	ds_read_b32 v17, v16 offset:96
	s_waitcnt lgkmcnt(0)
	v_add_f32_e32 v4, v4, v17
	s_or_b32 exec_lo, exec_lo, s0
	s_and_saveexec_b32 s0, vcc_lo
	s_cbranch_execz .LBB41_92
.LBB41_125:
	ds_read_b32 v17, v16 offset:128
	s_waitcnt lgkmcnt(0)
	v_add_f32_e32 v5, v5, v17
	s_or_b32 exec_lo, exec_lo, s0
	s_and_saveexec_b32 s0, vcc_lo
	s_cbranch_execz .LBB41_93
.LBB41_126:
	ds_read_b32 v17, v16 offset:160
	s_waitcnt lgkmcnt(0)
	v_add_f32_e32 v6, v6, v17
	s_or_b32 exec_lo, exec_lo, s0
	s_and_saveexec_b32 s0, vcc_lo
	s_cbranch_execz .LBB41_94
.LBB41_127:
	ds_read_b32 v17, v16 offset:192
	s_waitcnt lgkmcnt(0)
	v_add_f32_e32 v7, v7, v17
	s_or_b32 exec_lo, exec_lo, s0
	s_and_saveexec_b32 s0, vcc_lo
	s_cbranch_execz .LBB41_95
.LBB41_128:
	ds_read_b32 v17, v16 offset:224
	s_waitcnt lgkmcnt(0)
	v_add_f32_e32 v8, v8, v17
	s_or_b32 exec_lo, exec_lo, s0
	s_and_saveexec_b32 s0, vcc_lo
	s_cbranch_execz .LBB41_96
.LBB41_129:
	ds_read_b32 v17, v16 offset:256
	s_waitcnt lgkmcnt(0)
	v_add_f32_e32 v9, v9, v17
	s_or_b32 exec_lo, exec_lo, s0
	s_and_saveexec_b32 s0, vcc_lo
	s_cbranch_execz .LBB41_97
.LBB41_130:
	ds_read_b32 v17, v16 offset:288
	s_waitcnt lgkmcnt(0)
	v_add_f32_e32 v10, v10, v17
	s_or_b32 exec_lo, exec_lo, s0
	s_and_saveexec_b32 s0, vcc_lo
	s_cbranch_execz .LBB41_98
.LBB41_131:
	ds_read_b32 v17, v16 offset:320
	s_waitcnt lgkmcnt(0)
	v_add_f32_e32 v11, v11, v17
	s_or_b32 exec_lo, exec_lo, s0
	s_and_saveexec_b32 s0, vcc_lo
	s_cbranch_execz .LBB41_99
.LBB41_132:
	ds_read_b32 v17, v16 offset:352
	s_waitcnt lgkmcnt(0)
	v_add_f32_e32 v12, v12, v17
	s_or_b32 exec_lo, exec_lo, s0
	s_and_saveexec_b32 s0, vcc_lo
	s_cbranch_execz .LBB41_100
.LBB41_133:
	ds_read_b32 v17, v16 offset:384
	s_waitcnt lgkmcnt(0)
	v_add_f32_e32 v13, v13, v17
	s_or_b32 exec_lo, exec_lo, s0
	s_and_saveexec_b32 s0, vcc_lo
	s_cbranch_execz .LBB41_101
.LBB41_134:
	ds_read_b32 v17, v16 offset:416
	s_waitcnt lgkmcnt(0)
	v_add_f32_e32 v14, v14, v17
	s_or_b32 exec_lo, exec_lo, s0
	s_and_saveexec_b32 s0, vcc_lo
	s_cbranch_execnz .LBB41_102
	s_branch .LBB41_103
	.section	.rodata,"a",@progbits
	.p2align	6, 0x0
	.amdhsa_kernel _ZN4vllm25paged_attention_v2_kernelIffLi120ELi16ELi128ELNS_18Fp8KVCacheDataTypeE0ELb0ELi512EEEvPfS2_PT_PKS3_PKT0_S9_ifPKiSB_iPKfiiiSD_SD_iiiii
		.amdhsa_group_segment_fixed_size 512
		.amdhsa_private_segment_fixed_size 0
		.amdhsa_kernarg_size 400
		.amdhsa_user_sgpr_count 6
		.amdhsa_user_sgpr_private_segment_buffer 1
		.amdhsa_user_sgpr_dispatch_ptr 0
		.amdhsa_user_sgpr_queue_ptr 0
		.amdhsa_user_sgpr_kernarg_segment_ptr 1
		.amdhsa_user_sgpr_dispatch_id 0
		.amdhsa_user_sgpr_flat_scratch_init 0
		.amdhsa_user_sgpr_private_segment_size 0
		.amdhsa_wavefront_size32 1
		.amdhsa_uses_dynamic_stack 0
		.amdhsa_system_sgpr_private_segment_wavefront_offset 0
		.amdhsa_system_sgpr_workgroup_id_x 1
		.amdhsa_system_sgpr_workgroup_id_y 1
		.amdhsa_system_sgpr_workgroup_id_z 1
		.amdhsa_system_sgpr_workgroup_info 0
		.amdhsa_system_vgpr_workitem_id 0
		.amdhsa_next_free_vgpr 103
		.amdhsa_next_free_sgpr 36
		.amdhsa_reserve_vcc 1
		.amdhsa_reserve_flat_scratch 0
		.amdhsa_float_round_mode_32 0
		.amdhsa_float_round_mode_16_64 0
		.amdhsa_float_denorm_mode_32 3
		.amdhsa_float_denorm_mode_16_64 3
		.amdhsa_dx10_clamp 1
		.amdhsa_ieee_mode 1
		.amdhsa_fp16_overflow 0
		.amdhsa_workgroup_processor_mode 1
		.amdhsa_memory_ordered 1
		.amdhsa_forward_progress 1
		.amdhsa_shared_vgpr_count 0
		.amdhsa_exception_fp_ieee_invalid_op 0
		.amdhsa_exception_fp_denorm_src 0
		.amdhsa_exception_fp_ieee_div_zero 0
		.amdhsa_exception_fp_ieee_overflow 0
		.amdhsa_exception_fp_ieee_underflow 0
		.amdhsa_exception_fp_ieee_inexact 0
		.amdhsa_exception_int_div_zero 0
	.end_amdhsa_kernel
	.section	.text._ZN4vllm25paged_attention_v2_kernelIffLi120ELi16ELi128ELNS_18Fp8KVCacheDataTypeE0ELb0ELi512EEEvPfS2_PT_PKS3_PKT0_S9_ifPKiSB_iPKfiiiSD_SD_iiiii,"axG",@progbits,_ZN4vllm25paged_attention_v2_kernelIffLi120ELi16ELi128ELNS_18Fp8KVCacheDataTypeE0ELb0ELi512EEEvPfS2_PT_PKS3_PKT0_S9_ifPKiSB_iPKfiiiSD_SD_iiiii,comdat
.Lfunc_end41:
	.size	_ZN4vllm25paged_attention_v2_kernelIffLi120ELi16ELi128ELNS_18Fp8KVCacheDataTypeE0ELb0ELi512EEEvPfS2_PT_PKS3_PKT0_S9_ifPKiSB_iPKfiiiSD_SD_iiiii, .Lfunc_end41-_ZN4vllm25paged_attention_v2_kernelIffLi120ELi16ELi128ELNS_18Fp8KVCacheDataTypeE0ELb0ELi512EEEvPfS2_PT_PKS3_PKT0_S9_ifPKiSB_iPKfiiiSD_SD_iiiii
                                        ; -- End function
	.set _ZN4vllm25paged_attention_v2_kernelIffLi120ELi16ELi128ELNS_18Fp8KVCacheDataTypeE0ELb0ELi512EEEvPfS2_PT_PKS3_PKT0_S9_ifPKiSB_iPKfiiiSD_SD_iiiii.num_vgpr, 103
	.set _ZN4vllm25paged_attention_v2_kernelIffLi120ELi16ELi128ELNS_18Fp8KVCacheDataTypeE0ELb0ELi512EEEvPfS2_PT_PKS3_PKT0_S9_ifPKiSB_iPKfiiiSD_SD_iiiii.num_agpr, 0
	.set _ZN4vllm25paged_attention_v2_kernelIffLi120ELi16ELi128ELNS_18Fp8KVCacheDataTypeE0ELb0ELi512EEEvPfS2_PT_PKS3_PKT0_S9_ifPKiSB_iPKfiiiSD_SD_iiiii.numbered_sgpr, 36
	.set _ZN4vllm25paged_attention_v2_kernelIffLi120ELi16ELi128ELNS_18Fp8KVCacheDataTypeE0ELb0ELi512EEEvPfS2_PT_PKS3_PKT0_S9_ifPKiSB_iPKfiiiSD_SD_iiiii.num_named_barrier, 0
	.set _ZN4vllm25paged_attention_v2_kernelIffLi120ELi16ELi128ELNS_18Fp8KVCacheDataTypeE0ELb0ELi512EEEvPfS2_PT_PKS3_PKT0_S9_ifPKiSB_iPKfiiiSD_SD_iiiii.private_seg_size, 0
	.set _ZN4vllm25paged_attention_v2_kernelIffLi120ELi16ELi128ELNS_18Fp8KVCacheDataTypeE0ELb0ELi512EEEvPfS2_PT_PKS3_PKT0_S9_ifPKiSB_iPKfiiiSD_SD_iiiii.uses_vcc, 1
	.set _ZN4vllm25paged_attention_v2_kernelIffLi120ELi16ELi128ELNS_18Fp8KVCacheDataTypeE0ELb0ELi512EEEvPfS2_PT_PKS3_PKT0_S9_ifPKiSB_iPKfiiiSD_SD_iiiii.uses_flat_scratch, 0
	.set _ZN4vllm25paged_attention_v2_kernelIffLi120ELi16ELi128ELNS_18Fp8KVCacheDataTypeE0ELb0ELi512EEEvPfS2_PT_PKS3_PKT0_S9_ifPKiSB_iPKfiiiSD_SD_iiiii.has_dyn_sized_stack, 0
	.set _ZN4vllm25paged_attention_v2_kernelIffLi120ELi16ELi128ELNS_18Fp8KVCacheDataTypeE0ELb0ELi512EEEvPfS2_PT_PKS3_PKT0_S9_ifPKiSB_iPKfiiiSD_SD_iiiii.has_recursion, 0
	.set _ZN4vllm25paged_attention_v2_kernelIffLi120ELi16ELi128ELNS_18Fp8KVCacheDataTypeE0ELb0ELi512EEEvPfS2_PT_PKS3_PKT0_S9_ifPKiSB_iPKfiiiSD_SD_iiiii.has_indirect_call, 0
	.section	.AMDGPU.csdata,"",@progbits
; Kernel info:
; codeLenInByte = 7472
; TotalNumSgprs: 38
; NumVgprs: 103
; ScratchSize: 0
; MemoryBound: 0
; FloatMode: 240
; IeeeMode: 1
; LDSByteSize: 512 bytes/workgroup (compile time only)
; SGPRBlocks: 0
; VGPRBlocks: 12
; NumSGPRsForWavesPerEU: 38
; NumVGPRsForWavesPerEU: 103
; Occupancy: 9
; WaveLimiterHint : 1
; COMPUTE_PGM_RSRC2:SCRATCH_EN: 0
; COMPUTE_PGM_RSRC2:USER_SGPR: 6
; COMPUTE_PGM_RSRC2:TRAP_HANDLER: 0
; COMPUTE_PGM_RSRC2:TGID_X_EN: 1
; COMPUTE_PGM_RSRC2:TGID_Y_EN: 1
; COMPUTE_PGM_RSRC2:TGID_Z_EN: 1
; COMPUTE_PGM_RSRC2:TIDIG_COMP_CNT: 0
	.section	.text._ZN4vllm25paged_attention_v2_kernelIffLi128ELi16ELi128ELNS_18Fp8KVCacheDataTypeE0ELb0ELi512EEEvPfS2_PT_PKS3_PKT0_S9_ifPKiSB_iPKfiiiSD_SD_iiiii,"axG",@progbits,_ZN4vllm25paged_attention_v2_kernelIffLi128ELi16ELi128ELNS_18Fp8KVCacheDataTypeE0ELb0ELi512EEEvPfS2_PT_PKS3_PKT0_S9_ifPKiSB_iPKfiiiSD_SD_iiiii,comdat
	.protected	_ZN4vllm25paged_attention_v2_kernelIffLi128ELi16ELi128ELNS_18Fp8KVCacheDataTypeE0ELb0ELi512EEEvPfS2_PT_PKS3_PKT0_S9_ifPKiSB_iPKfiiiSD_SD_iiiii ; -- Begin function _ZN4vllm25paged_attention_v2_kernelIffLi128ELi16ELi128ELNS_18Fp8KVCacheDataTypeE0ELb0ELi512EEEvPfS2_PT_PKS3_PKT0_S9_ifPKiSB_iPKfiiiSD_SD_iiiii
	.globl	_ZN4vllm25paged_attention_v2_kernelIffLi128ELi16ELi128ELNS_18Fp8KVCacheDataTypeE0ELb0ELi512EEEvPfS2_PT_PKS3_PKT0_S9_ifPKiSB_iPKfiiiSD_SD_iiiii
	.p2align	8
	.type	_ZN4vllm25paged_attention_v2_kernelIffLi128ELi16ELi128ELNS_18Fp8KVCacheDataTypeE0ELb0ELi512EEEvPfS2_PT_PKS3_PKT0_S9_ifPKiSB_iPKfiiiSD_SD_iiiii,@function
_ZN4vllm25paged_attention_v2_kernelIffLi128ELi16ELi128ELNS_18Fp8KVCacheDataTypeE0ELb0ELi512EEEvPfS2_PT_PKS3_PKT0_S9_ifPKiSB_iPKfiiiSD_SD_iiiii: ; @_ZN4vllm25paged_attention_v2_kernelIffLi128ELi16ELi128ELNS_18Fp8KVCacheDataTypeE0ELb0ELi512EEEvPfS2_PT_PKS3_PKT0_S9_ifPKiSB_iPKfiiiSD_SD_iiiii
; %bb.0:
	s_load_dwordx2 s[0:1], s[4:5], 0x40
	s_mov_b32 s22, s7
	s_ashr_i32 s23, s7, 31
	s_lshl_b64 s[2:3], s[22:23], 2
	s_waitcnt lgkmcnt(0)
	s_add_u32 s0, s0, s2
	s_addc_u32 s1, s1, s3
	s_lshl_b32 s33, s8, 9
	s_load_dword s23, s[0:1], 0x0
	s_waitcnt lgkmcnt(0)
	s_cmp_ge_i32 s33, s23
	s_cbranch_scc1 .LBB42_110
; %bb.1:
	s_clause 0x1
	s_load_dword s9, s[4:5], 0x90
	s_load_dwordx2 s[30:31], s[4:5], 0x30
	s_mov_b32 s34, 0
	s_waitcnt lgkmcnt(0)
	s_abs_i32 s3, s9
	s_abs_i32 s0, s30
	v_cvt_f32_u32_e32 v1, s0
	s_sub_i32 s2, 0, s0
	v_rcp_iflag_f32_e32 v1, v1
	v_mul_f32_e32 v1, 0x4f7ffffe, v1
	v_cvt_u32_f32_e32 v1, v1
	v_readfirstlane_b32 s1, v1
	s_mul_i32 s2, s2, s1
	s_mul_hi_u32 s2, s1, s2
	s_add_i32 s1, s1, s2
	s_xor_b32 s2, s9, s30
	s_mul_hi_u32 s1, s3, s1
	s_ashr_i32 s2, s2, 31
	s_mul_i32 s7, s1, s0
	s_sub_i32 s3, s3, s7
	s_add_i32 s7, s1, 1
	s_sub_i32 s10, s3, s0
	s_cmp_ge_u32 s3, s0
	s_cselect_b32 s1, s7, s1
	s_cselect_b32 s3, s10, s3
	s_add_i32 s7, s1, 1
	s_cmp_ge_u32 s3, s0
	s_cselect_b32 s0, s7, s1
	s_abs_i32 s16, s6
	s_xor_b32 s0, s0, s2
	s_sub_i32 s10, s0, s2
	s_load_dwordx2 s[0:1], s[4:5], 0x50
	s_abs_i32 s2, s10
	v_cvt_f32_u32_e32 v1, s2
	s_sub_i32 s7, 0, s2
	v_rcp_iflag_f32_e32 v1, v1
	v_mul_f32_e32 v1, 0x4f7ffffe, v1
	v_cvt_u32_f32_e32 v1, v1
	v_readfirstlane_b32 s3, v1
	s_mul_i32 s7, s7, s3
	s_mul_hi_u32 s7, s3, s7
	s_add_i32 s3, s3, s7
	s_waitcnt lgkmcnt(0)
	s_cmp_eq_u64 s[0:1], 0
	s_mul_hi_u32 s3, s16, s3
	s_cbranch_scc1 .LBB42_3
; %bb.2:
	s_ashr_i32 s7, s6, 31
	s_lshl_b64 s[12:13], s[6:7], 2
	s_add_u32 s0, s0, s12
	s_addc_u32 s1, s1, s13
	s_load_dword s34, s[0:1], 0x0
.LBB42_3:
	s_load_dwordx4 s[12:15], s[4:5], 0x58
	v_and_b32_e32 v41, 1, v0
	v_cmp_gt_u32_e64 s0, 64, v0
	v_lshlrev_b32_e32 v1, 3, v0
	v_lshlrev_b32_e32 v67, 2, v0
	s_ashr_i32 s1, s6, 31
	s_ashr_i32 s7, s10, 31
	s_lshl_b32 s10, s6, 7
	s_waitcnt lgkmcnt(0)
	s_and_saveexec_b32 s15, s0
	s_cbranch_execz .LBB42_5
; %bb.4:
	s_load_dwordx2 s[18:19], s[4:5], 0x18
	s_mul_i32 s20, s12, s22
	v_and_b32_e32 v4, 0xff8, v67
	s_ashr_i32 s21, s20, 31
	s_lshl_b64 s[20:21], s[20:21], 2
	v_lshl_add_u32 v4, v41, 8, v4
	s_waitcnt lgkmcnt(0)
	s_add_u32 s12, s18, s20
	s_addc_u32 s17, s19, s21
	s_ashr_i32 s11, s10, 31
	s_lshl_b64 s[18:19], s[10:11], 2
	s_add_u32 s18, s12, s18
	s_addc_u32 s19, s17, s19
	global_load_dwordx2 v[2:3], v1, s[18:19]
	s_waitcnt vmcnt(0)
	ds_write_b64 v4, v[2:3]
.LBB42_5:
	s_or_b32 exec_lo, exec_lo, s15
	s_add_i32 s11, s23, 15
	s_lshl_b32 s30, s8, 5
	s_ashr_i32 s12, s11, 31
	s_xor_b32 s1, s1, s7
	s_lshr_b32 s12, s12, 28
	s_add_i32 s7, s30, 32
	s_add_i32 s11, s11, s12
	s_mul_i32 s15, s3, s2
	s_ashr_i32 s12, s11, 4
	s_sub_i32 s15, s16, s15
	s_min_i32 s11, s7, s12
	s_clause 0x1
	s_load_dwordx2 s[24:25], s[4:5], 0x38
	s_load_dword s7, s[4:5], 0x48
	s_add_i32 s16, s3, 1
	s_sub_i32 s17, s15, s2
	s_cmp_ge_u32 s15, s2
	v_lshrrev_b32_e32 v72, 5, v0
	s_cselect_b32 s3, s16, s3
	s_cselect_b32 s15, s17, s15
	s_add_i32 s16, s3, 1
	s_cmp_ge_u32 s15, s2
	v_or_b32_e32 v69, s30, v72
	s_cselect_b32 s2, s16, s3
	v_mbcnt_lo_u32_b32 v68, -1, 0
	s_xor_b32 s2, s2, s1
	s_mov_b32 s3, exec_lo
	s_sub_i32 s2, s2, s1
	v_cmp_gt_i32_e64 s1, s11, v69
	s_waitcnt lgkmcnt(0)
	s_barrier
	buffer_gl0_inv
                                        ; implicit-def: $vgpr71
                                        ; implicit-def: $vgpr75
	s_mul_i32 s26, s7, s22
	s_ashr_i32 s27, s26, 31
	v_cmpx_le_i32_e64 s11, v69
	s_xor_b32 s3, exec_lo, s3
; %bb.6:
	v_mov_b32_e32 v71, 0
	v_mbcnt_lo_u32_b32 v68, -1, 0
	v_mov_b32_e32 v75, 32
                                        ; implicit-def: $vgpr1
                                        ; implicit-def: $vgpr41
; %bb.7:
	s_or_saveexec_b32 s35, s3
	s_clause 0x3
	s_load_dwordx4 s[16:19], s[4:5], 0x0
	s_load_dwordx2 s[20:21], s[4:5], 0x10
	s_load_dwordx2 s[28:29], s[4:5], 0x28
	s_load_dword s7, s[4:5], 0x98
	v_mov_b32_e32 v77, 0xff7fffff
	v_ashrrev_i32_e32 v70, 31, v69
	s_mul_i32 s14, s2, s14
	s_xor_b32 exec_lo, exec_lo, s35
	s_cbranch_execz .LBB42_13
; %bb.8:
	s_load_dwordx2 s[2:3], s[4:5], 0x20
	v_bfe_u32 v65, v0, 1, 4
	v_xor_b32_e32 v26, 1, v68
	s_ashr_i32 s15, s14, 31
	v_and_b32_e32 v25, 8, v1
	s_lshl_b64 s[4:5], s[14:15], 2
	v_lshlrev_b32_e32 v27, 4, v65
	v_cmp_gt_i32_e32 vcc_lo, 32, v26
	v_lshlrev_b32_e32 v61, 8, v41
	ds_read_b128 v[1:4], v61
	ds_read_b128 v[5:8], v61 offset:16
	ds_read_b128 v[9:12], v61 offset:32
	;; [unrolled: 1-line block ×5, first 2 shown]
	v_cndmask_b32_e32 v42, v68, v26, vcc_lo
	v_lshlrev_b32_e32 v66, 2, v65
	v_lshlrev_b32_e32 v77, 4, v72
	v_mov_b32_e32 v71, 0
	v_mov_b32_e32 v75, 32
	v_lshlrev_b32_e32 v76, 2, v42
	s_waitcnt lgkmcnt(0)
	s_add_u32 s2, s2, s4
	s_addc_u32 s3, s3, s5
	v_add_co_u32 v27, s2, s2, v27
	v_add_co_ci_u32_e64 v28, null, s3, 0, s2
	v_lshl_or_b32 v79, v72, 6, v66
	v_add_co_u32 v73, vcc_lo, v27, v25
	v_add_co_ci_u32_e64 v74, null, 0, v28, vcc_lo
	ds_read_b128 v[25:28], v61 offset:96
	ds_read_b128 v[29:32], v61 offset:112
	;; [unrolled: 1-line block ×4, first 2 shown]
	v_cmp_eq_u32_e32 vcc_lo, 0, v41
	ds_read_b128 v[41:44], v61 offset:160
	ds_read_b128 v[45:48], v61 offset:176
	;; [unrolled: 1-line block ×6, first 2 shown]
	v_add3_u32 v78, s33, v77, v65
	v_lshlrev_b64 v[65:66], 2, v[69:70]
	s_lshl_b64 s[36:37], s[26:27], 2
	s_sub_i32 s5, 1, s23
	s_add_u32 s3, s24, s36
	s_addc_u32 s4, s25, s37
	v_cmp_neq_f32_e64 s2, s34, 0
	v_add_co_u32 v65, s3, s3, v65
	v_add_nc_u32_e32 v79, 0x220, v79
	v_add_co_ci_u32_e64 v66, null, s4, v66, s3
	v_mov_b32_e32 v77, 0xff7fffff
	v_mov_b32_e32 v80, v69
	s_mov_b32 s36, s13
	s_mov_b32 s15, 0
	s_branch .LBB42_10
.LBB42_9:                               ;   in Loop: Header=BB42_10 Depth=1
	s_or_b32 exec_lo, exec_lo, s4
	v_add_nc_u32_e32 v80, 4, v80
	v_add_co_u32 v65, s4, v65, 16
	v_add_nc_u32_e32 v78, 64, v78
	v_add_nc_u32_e32 v79, 0x100, v79
	v_cmp_le_i32_e64 s3, s11, v80
	v_add_co_ci_u32_e64 v66, null, 0, v66, s4
	s_or_b32 s15, s3, s15
	s_andn2_b32 exec_lo, exec_lo, s15
	s_cbranch_execz .LBB42_12
.LBB42_10:                              ; =>This Inner Loop Header: Depth=1
	global_load_dword v81, v[65:66], off
	s_waitcnt vmcnt(0) lgkmcnt(0)
	v_mad_i64_i32 v[81:82], null, v81, s36, 0
	v_lshlrev_b64 v[81:82], 2, v[81:82]
	v_add_co_u32 v81, s3, v73, v81
	v_add_co_ci_u32_e64 v82, null, v74, v82, s3
	s_clause 0x7
	global_load_dwordx2 v[83:84], v[81:82], off offset:256
	global_load_dwordx2 v[85:86], v[81:82], off offset:512
	;; [unrolled: 1-line block ×3, first 2 shown]
	global_load_dwordx2 v[89:90], v[81:82], off
	global_load_dwordx2 v[91:92], v[81:82], off offset:1024
	global_load_dwordx2 v[93:94], v[81:82], off offset:1280
	;; [unrolled: 1-line block ×4, first 2 shown]
	v_add_co_u32 v97, s3, v81, 0x1000
	v_add_co_ci_u32_e64 v98, null, 0, v82, s3
	v_add_co_u32 v101, s3, 0x800, v81
	v_add_co_ci_u32_e64 v102, null, 0, v82, s3
	s_clause 0x7
	global_load_dwordx2 v[103:104], v[97:98], off offset:-2048
	global_load_dwordx2 v[105:106], v[101:102], off offset:256
	global_load_dwordx2 v[107:108], v[101:102], off offset:512
	;; [unrolled: 1-line block ×7, first 2 shown]
	v_add_co_u32 v115, s3, 0x1000, v81
	v_add_co_ci_u32_e64 v116, null, 0, v82, s3
	v_add_co_u32 v81, s3, 0x1800, v81
	v_add_co_ci_u32_e64 v82, null, 0, v82, s3
	s_waitcnt vmcnt(15)
	v_mul_f32_e32 v119, v3, v83
	v_mul_f32_e32 v120, v4, v84
	global_load_dwordx2 v[83:84], v[97:98], off
	s_waitcnt vmcnt(13)
	v_fmac_f32_e32 v119, v1, v89
	v_fmac_f32_e32 v120, v2, v90
	global_load_dwordx2 v[89:90], v[115:116], off offset:256
	v_fmac_f32_e32 v119, v5, v85
	v_fmac_f32_e32 v120, v6, v86
	global_load_dwordx2 v[85:86], v[115:116], off offset:512
	;; [unrolled: 3-line block ×3, first 2 shown]
	s_waitcnt vmcnt(15)
	v_fmac_f32_e32 v119, v9, v91
	v_fmac_f32_e32 v120, v10, v92
	global_load_dwordx2 v[91:92], v[115:116], off offset:1024
	s_waitcnt vmcnt(15)
	v_fmac_f32_e32 v119, v11, v93
	v_fmac_f32_e32 v120, v12, v94
	global_load_dwordx2 v[93:94], v[115:116], off offset:1280
	s_waitcnt vmcnt(15)
	v_fmac_f32_e32 v119, v13, v95
	v_fmac_f32_e32 v120, v14, v96
	global_load_dwordx2 v[95:96], v[115:116], off offset:1536
	s_waitcnt vmcnt(15)
	v_fmac_f32_e32 v119, v15, v99
	v_fmac_f32_e32 v120, v16, v100
	s_clause 0x1
	global_load_dwordx2 v[97:98], v[115:116], off offset:1792
	global_load_dwordx2 v[99:100], v[81:82], off offset:1792
	s_waitcnt vmcnt(16)
	v_fmac_f32_e32 v119, v17, v103
	v_fmac_f32_e32 v120, v18, v104
	global_load_dwordx2 v[103:104], v[81:82], off
	s_waitcnt vmcnt(16)
	v_fmac_f32_e32 v119, v19, v105
	v_fmac_f32_e32 v120, v20, v106
	global_load_dwordx2 v[105:106], v[81:82], off offset:256
	s_waitcnt vmcnt(16)
	v_fmac_f32_e32 v119, v21, v107
	v_fmac_f32_e32 v120, v22, v108
	global_load_dwordx2 v[107:108], v[81:82], off offset:512
	;; [unrolled: 4-line block ×3, first 2 shown]
	s_waitcnt vmcnt(16) lgkmcnt(9)
	v_fmac_f32_e32 v119, v25, v111
	v_fmac_f32_e32 v120, v26, v112
	global_load_dwordx2 v[111:112], v[81:82], off offset:1024
	s_waitcnt vmcnt(16)
	v_fmac_f32_e32 v119, v27, v113
	v_fmac_f32_e32 v120, v28, v114
	s_clause 0x1
	global_load_dwordx2 v[113:114], v[81:82], off offset:1280
	global_load_dwordx2 v[81:82], v[81:82], off offset:1536
	s_waitcnt vmcnt(17) lgkmcnt(8)
	v_fmac_f32_e32 v119, v29, v117
	v_fmac_f32_e32 v120, v30, v118
	s_waitcnt vmcnt(16)
	v_fmac_f32_e32 v119, v31, v101
	v_fmac_f32_e32 v120, v32, v102
	s_waitcnt vmcnt(15) lgkmcnt(7)
	v_fmac_f32_e32 v119, v33, v83
	v_fmac_f32_e32 v120, v34, v84
	s_waitcnt vmcnt(14)
	v_fmac_f32_e32 v119, v35, v89
	v_fmac_f32_e32 v120, v36, v90
	;; [unrolled: 6-line block ×8, first 2 shown]
	s_waitcnt vmcnt(0) lgkmcnt(0)
	v_fmac_f32_e32 v119, v61, v81
	v_fmac_f32_e32 v120, v62, v82
	;; [unrolled: 1-line block ×4, first 2 shown]
	v_add_f32_e32 v81, v119, v120
	ds_bpermute_b32 v82, v76, v81
	s_and_saveexec_b32 s4, vcc_lo
	s_cbranch_execz .LBB42_9
; %bb.11:                               ;   in Loop: Header=BB42_10 Depth=1
	v_add_nc_u32_e32 v83, s5, v78
	s_waitcnt lgkmcnt(0)
	v_add_f32_e32 v81, v81, v82
	v_cmp_gt_i32_e64 s3, s23, v78
	v_cvt_f32_i32_e32 v83, v83
	v_mul_f32_e32 v83, s34, v83
	v_cndmask_b32_e64 v82, 0, v83, s2
	v_max_f32_e32 v83, v77, v77
	v_fmac_f32_e32 v82, s31, v81
	v_max_f32_e32 v81, v83, v82
	v_cndmask_b32_e64 v82, 0, v82, s3
	v_cndmask_b32_e64 v77, v77, v81, s3
	ds_write_b32 v79, v82
	s_branch .LBB42_9
.LBB42_12:
	s_or_b32 exec_lo, exec_lo, s15
.LBB42_13:
	s_or_b32 exec_lo, exec_lo, s35
	v_xor_b32_e32 v1, 16, v68
	v_xor_b32_e32 v3, 8, v68
	v_max_f32_e32 v5, v77, v77
	v_xor_b32_e32 v6, 2, v68
	v_and_b32_e32 v73, 31, v0
	v_cmp_lt_i32_e32 vcc_lo, v1, v75
	v_cndmask_b32_e32 v1, v68, v1, vcc_lo
	v_cmp_lt_i32_e32 vcc_lo, v3, v75
	v_lshlrev_b32_e32 v2, 2, v1
	v_cndmask_b32_e32 v3, v68, v3, vcc_lo
	ds_bpermute_b32 v1, v2, v77
	v_lshlrev_b32_e32 v4, 2, v3
	s_waitcnt lgkmcnt(0)
	v_max_f32_e32 v1, v1, v1
	v_max_f32_e32 v1, v5, v1
	v_xor_b32_e32 v5, 4, v68
	ds_bpermute_b32 v3, v4, v1
	v_cmp_lt_i32_e32 vcc_lo, v5, v75
	v_cndmask_b32_e32 v5, v68, v5, vcc_lo
	v_cmp_lt_i32_e32 vcc_lo, v6, v75
	v_lshlrev_b32_e32 v5, 2, v5
	v_cndmask_b32_e32 v6, v68, v6, vcc_lo
	v_cmp_eq_u32_e32 vcc_lo, 0, v73
	v_lshlrev_b32_e32 v74, 2, v6
	v_lshlrev_b32_e32 v6, 2, v72
	s_waitcnt lgkmcnt(0)
	v_max_f32_e32 v3, v3, v3
	v_max_f32_e32 v1, v1, v3
	ds_bpermute_b32 v3, v5, v1
	s_waitcnt lgkmcnt(0)
	v_max_f32_e32 v3, v3, v3
	v_max_f32_e32 v1, v1, v3
	ds_bpermute_b32 v3, v74, v1
	s_and_saveexec_b32 s2, vcc_lo
	s_cbranch_execz .LBB42_15
; %bb.14:
	s_waitcnt lgkmcnt(0)
	v_max_f32_e32 v3, v3, v3
	v_max_f32_e32 v1, v1, v1
	;; [unrolled: 1-line block ×3, first 2 shown]
	ds_write_b32 v6, v1 offset:512
.LBB42_15:
	s_or_b32 exec_lo, exec_lo, s2
	v_cmp_gt_u32_e64 s2, 4, v73
	v_mov_b32_e32 v1, 0xff7fffff
	v_lshlrev_b32_e32 v7, 2, v73
	s_waitcnt lgkmcnt(0)
	s_barrier
	buffer_gl0_inv
	s_and_saveexec_b32 s3, s2
; %bb.16:
	ds_read_b32 v1, v7 offset:512
; %bb.17:
	s_or_b32 exec_lo, exec_lo, s3
	s_waitcnt lgkmcnt(0)
	ds_bpermute_b32 v3, v74, v1
	v_xor_b32_e32 v8, 1, v68
	v_max_f32_e32 v1, v1, v1
	v_cmp_lt_i32_e64 s3, v8, v75
	v_cndmask_b32_e64 v8, v68, v8, s3
	s_sub_i32 s3, s11, s30
	s_lshl_b32 s3, s3, 4
	v_lshlrev_b32_e32 v75, 2, v8
	s_add_i32 s3, s3, s33
	v_mov_b32_e32 v8, 0
	s_min_i32 s3, s3, s23
	s_waitcnt lgkmcnt(0)
	v_max_f32_e32 v3, v3, v3
	s_sub_i32 s5, s3, s33
	v_cmp_gt_i32_e64 s3, s5, v0
	v_max_f32_e32 v1, v1, v3
	ds_bpermute_b32 v3, v75, v1
	s_waitcnt lgkmcnt(0)
	v_max_f32_e32 v3, v3, v3
	v_max_f32_e32 v1, v1, v3
	v_lshlrev_b32_e32 v3, 2, v71
	ds_bpermute_b32 v1, v3, v1
	v_lshl_add_u32 v3, v0, 2, 0x220
	s_and_saveexec_b32 s15, s3
	s_cbranch_execz .LBB42_21
; %bb.18:
	v_lshl_add_u32 v9, v0, 2, 0x220
	v_mov_b32_e32 v8, 0
	v_mov_b32_e32 v10, v0
	s_mov_b32 s30, 0
	.p2align	6
.LBB42_19:                              ; =>This Inner Loop Header: Depth=1
	ds_read_b32 v11, v9
	v_add_nc_u32_e32 v10, 0x80, v10
	v_cmp_le_i32_e64 s4, s5, v10
	s_or_b32 s30, s4, s30
	s_waitcnt lgkmcnt(0)
	v_sub_f32_e32 v11, v11, v1
	v_mul_f32_e32 v11, 0x3fb8aa3b, v11
	v_exp_f32_e32 v11, v11
	ds_write_b32 v9, v11
	v_add_f32_e32 v8, v8, v11
	v_add_nc_u32_e32 v9, 0x200, v9
	s_andn2_b32 exec_lo, exec_lo, s30
	s_cbranch_execnz .LBB42_19
; %bb.20:
	s_or_b32 exec_lo, exec_lo, s30
.LBB42_21:
	s_or_b32 exec_lo, exec_lo, s15
	ds_bpermute_b32 v2, v2, v8
	s_waitcnt lgkmcnt(0)
	v_add_f32_e32 v2, v8, v2
	ds_bpermute_b32 v4, v4, v2
	s_waitcnt lgkmcnt(0)
	v_add_f32_e32 v2, v2, v4
	;; [unrolled: 3-line block ×5, first 2 shown]
	s_and_saveexec_b32 s4, vcc_lo
; %bb.22:
	ds_write_b32 v6, v2 offset:528
; %bb.23:
	s_or_b32 exec_lo, exec_lo, s4
	s_waitcnt lgkmcnt(0)
	s_barrier
	buffer_gl0_inv
	s_and_saveexec_b32 s4, s2
; %bb.24:
	ds_read_b32 v2, v7 offset:528
; %bb.25:
	s_or_b32 exec_lo, exec_lo, s4
	s_waitcnt lgkmcnt(0)
	ds_bpermute_b32 v4, v74, v2
	v_lshlrev_b32_e32 v5, 2, v68
	s_waitcnt lgkmcnt(0)
	v_add_f32_e32 v2, v2, v4
	ds_bpermute_b32 v4, v75, v2
	s_waitcnt lgkmcnt(0)
	v_add_f32_e32 v2, v2, v4
	v_and_b32_e32 v4, 0xffffff80, v5
	ds_bpermute_b32 v2, v4, v2
	s_and_saveexec_b32 s2, s3
	s_cbranch_execz .LBB42_28
; %bb.26:
	s_waitcnt lgkmcnt(0)
	v_add_f32_e32 v4, 0x358637bd, v2
	s_mov_b32 s3, 0
	v_div_scale_f32 v5, null, v4, v4, 1.0
	v_div_scale_f32 v8, vcc_lo, 1.0, v4, 1.0
	v_rcp_f32_e32 v6, v5
	v_fma_f32 v7, -v5, v6, 1.0
	v_fmac_f32_e32 v6, v7, v6
	v_mul_f32_e32 v7, v8, v6
	v_fma_f32 v9, -v5, v7, v8
	v_fmac_f32_e32 v7, v9, v6
	v_fma_f32 v5, -v5, v7, v8
	v_div_fmas_f32 v5, v5, v6, v7
	v_div_fixup_f32 v4, v5, v4, 1.0
	v_mov_b32_e32 v5, v0
.LBB42_27:                              ; =>This Inner Loop Header: Depth=1
	ds_read_b32 v6, v3
	v_add_nc_u32_e32 v5, 0x80, v5
	v_cmp_le_i32_e32 vcc_lo, s5, v5
	s_or_b32 s3, vcc_lo, s3
	s_waitcnt lgkmcnt(0)
	v_mul_f32_e32 v6, v4, v6
	ds_write_b32 v3, v6
	v_add_nc_u32_e32 v3, 0x200, v3
	s_andn2_b32 exec_lo, exec_lo, s3
	s_cbranch_execnz .LBB42_27
.LBB42_28:
	s_or_b32 exec_lo, exec_lo, s2
	s_mul_i32 s2, s7, s22
	s_mov_b32 s4, exec_lo
	s_mul_i32 s2, s2, s9
	s_waitcnt lgkmcnt(0)
	s_barrier
	buffer_gl0_inv
	v_cmpx_eq_u32_e32 0, v0
	s_cbranch_execz .LBB42_30
; %bb.29:
	s_ashr_i32 s3, s2, 31
	s_mul_i32 s34, s7, s6
	s_lshl_b64 s[30:31], s[2:3], 2
	v_mov_b32_e32 v3, 0
	s_add_u32 s3, s18, s30
	s_addc_u32 s5, s19, s31
	s_ashr_i32 s35, s34, 31
	s_lshl_b64 s[18:19], s[34:35], 2
	s_add_u32 s3, s3, s18
	s_addc_u32 s5, s5, s19
	s_ashr_i32 s9, s8, 31
	s_lshl_b64 s[34:35], s[8:9], 2
	s_add_u32 s36, s3, s34
	s_addc_u32 s37, s5, s35
	s_add_u32 s3, s16, s30
	s_addc_u32 s5, s17, s31
	;; [unrolled: 2-line block ×4, first 2 shown]
	global_store_dword v3, v1, s[36:37]
	global_store_dword v3, v2, s[16:17]
.LBB42_30:
	s_or_b32 exec_lo, exec_lo, s4
	v_mov_b32_e32 v90, 0
	v_and_b32_e32 v76, 3, v0
	v_mov_b32_e32 v92, 0
	v_mov_b32_e32 v91, 0
	;; [unrolled: 1-line block ×15, first 2 shown]
	s_and_saveexec_b32 s3, s1
	s_cbranch_execz .LBB42_66
; %bb.31:
	v_lshlrev_b32_e32 v2, 4, v0
	s_ashr_i32 s15, s14, 31
	v_and_b32_e32 v1, 12, v67
	v_lshl_add_u32 v4, v72, 4, s33
	s_lshl_b64 s[4:5], s[14:15], 2
	v_and_b32_e32 v2, 0x1f0, v2
	s_add_u32 s1, s28, s4
	v_lshlrev_b32_e32 v3, 4, v76
	s_addc_u32 s4, s29, s5
	v_add3_u32 v95, v4, v1, 3
	v_add_co_u32 v93, s1, s1, v2
	v_lshlrev_b64 v[1:2], 2, v[69:70]
	v_add_co_ci_u32_e64 v94, null, s4, 0, s1
	s_lshl_b64 s[4:5], s[26:27], 2
	s_add_i32 s12, s12, -1
	v_lshl_or_b32 v3, v72, 6, v3
	s_add_u32 s1, s24, s4
	s_addc_u32 s4, s25, s5
	v_add_co_u32 v70, vcc_lo, s1, v1
	v_mov_b32_e32 v77, 0
	v_add_nc_u32_e32 v96, 0x220, v3
	v_add_co_ci_u32_e64 v71, null, s4, v2, vcc_lo
	v_mov_b32_e32 v78, 0
	v_mov_b32_e32 v79, 0
	;; [unrolled: 1-line block ×15, first 2 shown]
	s_mov_b32 s5, s13
	s_mov_b32 s4, 0
	s_branch .LBB42_33
.LBB42_32:                              ;   in Loop: Header=BB42_33 Depth=1
	s_or_b32 exec_lo, exec_lo, s1
	s_waitcnt vmcnt(1) lgkmcnt(0)
	v_mul_f32_e32 v65, v1, v65
	v_mul_f32_e32 v61, v1, v61
	;; [unrolled: 1-line block ×15, first 2 shown]
	s_waitcnt vmcnt(0)
	v_mul_f32_e32 v1, v1, v53
	v_fmac_f32_e32 v65, v2, v66
	v_fmac_f32_e32 v61, v2, v62
	;; [unrolled: 1-line block ×32, first 2 shown]
	v_add_nc_u32_e32 v69, 4, v69
	v_fmac_f32_e32 v65, v4, v68
	v_fmac_f32_e32 v61, v4, v64
	;; [unrolled: 1-line block ×16, first 2 shown]
	v_cmp_le_i32_e32 vcc_lo, s11, v69
	v_add_co_u32 v70, s1, v70, 16
	v_add_f32_e32 v78, v78, v65
	v_add_f32_e32 v79, v79, v61
	;; [unrolled: 1-line block ×16, first 2 shown]
	v_add_nc_u32_e32 v95, 64, v95
	v_add_nc_u32_e32 v96, 0x100, v96
	v_add_co_ci_u32_e64 v71, null, 0, v71, s1
	s_or_b32 s4, vcc_lo, s4
	s_andn2_b32 exec_lo, exec_lo, s4
	s_cbranch_execz .LBB42_65
.LBB42_33:                              ; =>This Inner Loop Header: Depth=1
	global_load_dword v1, v[70:71], off
	v_add_nc_u32_e32 v97, -3, v95
	v_add_nc_u32_e32 v99, -2, v95
	;; [unrolled: 1-line block ×3, first 2 shown]
	s_waitcnt vmcnt(0)
	v_mad_i64_i32 v[1:2], null, v1, s5, 0
	v_lshlrev_b64 v[1:2], 2, v[1:2]
	v_add_co_u32 v53, vcc_lo, v93, v1
	v_add_co_ci_u32_e64 v54, null, v94, v2, vcc_lo
	ds_read_b128 v[1:4], v96
	v_cmp_eq_u32_e32 vcc_lo, s12, v69
	global_load_dwordx4 v[5:8], v[53:54], off
	s_and_saveexec_b32 s6, vcc_lo
	s_cbranch_execnz .LBB42_52
; %bb.34:                               ;   in Loop: Header=BB42_33 Depth=1
	s_or_b32 exec_lo, exec_lo, s6
	global_load_dwordx4 v[9:12], v[53:54], off offset:512
	s_and_saveexec_b32 s6, vcc_lo
	s_cbranch_execnz .LBB42_53
.LBB42_35:                              ;   in Loop: Header=BB42_33 Depth=1
	s_or_b32 exec_lo, exec_lo, s6
	global_load_dwordx4 v[13:16], v[53:54], off offset:1024
	s_and_saveexec_b32 s6, vcc_lo
	s_cbranch_execnz .LBB42_54
.LBB42_36:                              ;   in Loop: Header=BB42_33 Depth=1
	s_or_b32 exec_lo, exec_lo, s6
	global_load_dwordx4 v[17:20], v[53:54], off offset:1536
	s_and_saveexec_b32 s6, vcc_lo
	s_cbranch_execz .LBB42_38
.LBB42_37:                              ;   in Loop: Header=BB42_33 Depth=1
	v_cmp_gt_i32_e64 s1, s23, v97
	s_waitcnt vmcnt(0)
	v_cndmask_b32_e64 v17, 0, v17, s1
	v_cmp_gt_i32_e64 s1, s23, v99
	v_cndmask_b32_e64 v18, 0, v18, s1
	v_cmp_gt_i32_e64 s1, s23, v98
	;; [unrolled: 2-line block ×3, first 2 shown]
	v_cndmask_b32_e64 v20, 0, v20, s1
.LBB42_38:                              ;   in Loop: Header=BB42_33 Depth=1
	s_or_b32 exec_lo, exec_lo, s6
	v_add_co_u32 v33, s1, 0x800, v53
	v_add_co_ci_u32_e64 v34, null, 0, v54, s1
	global_load_dwordx4 v[21:24], v[33:34], off
	s_and_saveexec_b32 s6, vcc_lo
	s_cbranch_execnz .LBB42_55
; %bb.39:                               ;   in Loop: Header=BB42_33 Depth=1
	s_or_b32 exec_lo, exec_lo, s6
	global_load_dwordx4 v[25:28], v[33:34], off offset:512
	s_and_saveexec_b32 s6, vcc_lo
	s_cbranch_execnz .LBB42_56
.LBB42_40:                              ;   in Loop: Header=BB42_33 Depth=1
	s_or_b32 exec_lo, exec_lo, s6
	global_load_dwordx4 v[29:32], v[33:34], off offset:1024
	s_and_saveexec_b32 s6, vcc_lo
	s_cbranch_execnz .LBB42_57
.LBB42_41:                              ;   in Loop: Header=BB42_33 Depth=1
	s_or_b32 exec_lo, exec_lo, s6
	global_load_dwordx4 v[33:36], v[33:34], off offset:1536
	s_and_saveexec_b32 s6, vcc_lo
	s_cbranch_execz .LBB42_43
.LBB42_42:                              ;   in Loop: Header=BB42_33 Depth=1
	v_cmp_gt_i32_e64 s1, s23, v97
	s_waitcnt vmcnt(0)
	v_cndmask_b32_e64 v33, 0, v33, s1
	v_cmp_gt_i32_e64 s1, s23, v99
	v_cndmask_b32_e64 v34, 0, v34, s1
	v_cmp_gt_i32_e64 s1, s23, v98
	;; [unrolled: 2-line block ×3, first 2 shown]
	v_cndmask_b32_e64 v36, 0, v36, s1
.LBB42_43:                              ;   in Loop: Header=BB42_33 Depth=1
	s_or_b32 exec_lo, exec_lo, s6
	v_add_co_u32 v49, s1, 0x1000, v53
	v_add_co_ci_u32_e64 v50, null, 0, v54, s1
	global_load_dwordx4 v[37:40], v[49:50], off
	s_and_saveexec_b32 s6, vcc_lo
	s_cbranch_execnz .LBB42_58
; %bb.44:                               ;   in Loop: Header=BB42_33 Depth=1
	s_or_b32 exec_lo, exec_lo, s6
	global_load_dwordx4 v[41:44], v[49:50], off offset:512
	s_and_saveexec_b32 s6, vcc_lo
	s_cbranch_execnz .LBB42_59
.LBB42_45:                              ;   in Loop: Header=BB42_33 Depth=1
	s_or_b32 exec_lo, exec_lo, s6
	global_load_dwordx4 v[45:48], v[49:50], off offset:1024
	s_and_saveexec_b32 s6, vcc_lo
	s_cbranch_execnz .LBB42_60
.LBB42_46:                              ;   in Loop: Header=BB42_33 Depth=1
	s_or_b32 exec_lo, exec_lo, s6
	global_load_dwordx4 v[49:52], v[49:50], off offset:1536
	s_and_saveexec_b32 s6, vcc_lo
	s_cbranch_execz .LBB42_48
.LBB42_47:                              ;   in Loop: Header=BB42_33 Depth=1
	v_cmp_gt_i32_e64 s1, s23, v97
	s_waitcnt vmcnt(0)
	v_cndmask_b32_e64 v49, 0, v49, s1
	v_cmp_gt_i32_e64 s1, s23, v99
	v_cndmask_b32_e64 v50, 0, v50, s1
	v_cmp_gt_i32_e64 s1, s23, v98
	;; [unrolled: 2-line block ×3, first 2 shown]
	v_cndmask_b32_e64 v52, 0, v52, s1
.LBB42_48:                              ;   in Loop: Header=BB42_33 Depth=1
	s_or_b32 exec_lo, exec_lo, s6
	v_add_co_u32 v53, s1, 0x1800, v53
	v_add_co_ci_u32_e64 v54, null, 0, v54, s1
	global_load_dwordx4 v[57:60], v[53:54], off
	s_and_saveexec_b32 s6, vcc_lo
	s_cbranch_execnz .LBB42_61
; %bb.49:                               ;   in Loop: Header=BB42_33 Depth=1
	s_or_b32 exec_lo, exec_lo, s6
	global_load_dwordx4 v[61:64], v[53:54], off offset:512
	s_and_saveexec_b32 s6, vcc_lo
	s_cbranch_execnz .LBB42_62
.LBB42_50:                              ;   in Loop: Header=BB42_33 Depth=1
	s_or_b32 exec_lo, exec_lo, s6
	global_load_dwordx4 v[65:68], v[53:54], off offset:1024
	s_and_saveexec_b32 s6, vcc_lo
	s_cbranch_execnz .LBB42_63
.LBB42_51:                              ;   in Loop: Header=BB42_33 Depth=1
	s_or_b32 exec_lo, exec_lo, s6
	global_load_dwordx4 v[53:56], v[53:54], off offset:1536
	s_and_saveexec_b32 s1, vcc_lo
	s_cbranch_execz .LBB42_32
	s_branch .LBB42_64
.LBB42_52:                              ;   in Loop: Header=BB42_33 Depth=1
	v_cmp_gt_i32_e64 s1, s23, v97
	s_waitcnt vmcnt(0)
	v_cndmask_b32_e64 v5, 0, v5, s1
	v_cmp_gt_i32_e64 s1, s23, v99
	v_cndmask_b32_e64 v6, 0, v6, s1
	v_cmp_gt_i32_e64 s1, s23, v98
	;; [unrolled: 2-line block ×3, first 2 shown]
	v_cndmask_b32_e64 v8, 0, v8, s1
	s_or_b32 exec_lo, exec_lo, s6
	global_load_dwordx4 v[9:12], v[53:54], off offset:512
	s_and_saveexec_b32 s6, vcc_lo
	s_cbranch_execz .LBB42_35
.LBB42_53:                              ;   in Loop: Header=BB42_33 Depth=1
	v_cmp_gt_i32_e64 s1, s23, v97
	s_waitcnt vmcnt(0)
	v_cndmask_b32_e64 v9, 0, v9, s1
	v_cmp_gt_i32_e64 s1, s23, v99
	v_cndmask_b32_e64 v10, 0, v10, s1
	v_cmp_gt_i32_e64 s1, s23, v98
	;; [unrolled: 2-line block ×3, first 2 shown]
	v_cndmask_b32_e64 v12, 0, v12, s1
	s_or_b32 exec_lo, exec_lo, s6
	global_load_dwordx4 v[13:16], v[53:54], off offset:1024
	s_and_saveexec_b32 s6, vcc_lo
	s_cbranch_execz .LBB42_36
.LBB42_54:                              ;   in Loop: Header=BB42_33 Depth=1
	v_cmp_gt_i32_e64 s1, s23, v97
	s_waitcnt vmcnt(0)
	v_cndmask_b32_e64 v13, 0, v13, s1
	v_cmp_gt_i32_e64 s1, s23, v99
	v_cndmask_b32_e64 v14, 0, v14, s1
	v_cmp_gt_i32_e64 s1, s23, v98
	;; [unrolled: 2-line block ×3, first 2 shown]
	v_cndmask_b32_e64 v16, 0, v16, s1
	s_or_b32 exec_lo, exec_lo, s6
	global_load_dwordx4 v[17:20], v[53:54], off offset:1536
	s_and_saveexec_b32 s6, vcc_lo
	s_cbranch_execnz .LBB42_37
	s_branch .LBB42_38
.LBB42_55:                              ;   in Loop: Header=BB42_33 Depth=1
	v_cmp_gt_i32_e64 s1, s23, v97
	s_waitcnt vmcnt(0)
	v_cndmask_b32_e64 v21, 0, v21, s1
	v_cmp_gt_i32_e64 s1, s23, v99
	v_cndmask_b32_e64 v22, 0, v22, s1
	v_cmp_gt_i32_e64 s1, s23, v98
	v_cndmask_b32_e64 v23, 0, v23, s1
	v_cmp_gt_i32_e64 s1, s23, v95
	v_cndmask_b32_e64 v24, 0, v24, s1
	s_or_b32 exec_lo, exec_lo, s6
	global_load_dwordx4 v[25:28], v[33:34], off offset:512
	s_and_saveexec_b32 s6, vcc_lo
	s_cbranch_execz .LBB42_40
.LBB42_56:                              ;   in Loop: Header=BB42_33 Depth=1
	v_cmp_gt_i32_e64 s1, s23, v97
	s_waitcnt vmcnt(0)
	v_cndmask_b32_e64 v25, 0, v25, s1
	v_cmp_gt_i32_e64 s1, s23, v99
	v_cndmask_b32_e64 v26, 0, v26, s1
	v_cmp_gt_i32_e64 s1, s23, v98
	v_cndmask_b32_e64 v27, 0, v27, s1
	v_cmp_gt_i32_e64 s1, s23, v95
	v_cndmask_b32_e64 v28, 0, v28, s1
	s_or_b32 exec_lo, exec_lo, s6
	global_load_dwordx4 v[29:32], v[33:34], off offset:1024
	s_and_saveexec_b32 s6, vcc_lo
	s_cbranch_execz .LBB42_41
.LBB42_57:                              ;   in Loop: Header=BB42_33 Depth=1
	v_cmp_gt_i32_e64 s1, s23, v97
	s_waitcnt vmcnt(0)
	v_cndmask_b32_e64 v29, 0, v29, s1
	v_cmp_gt_i32_e64 s1, s23, v99
	v_cndmask_b32_e64 v30, 0, v30, s1
	v_cmp_gt_i32_e64 s1, s23, v98
	;; [unrolled: 2-line block ×3, first 2 shown]
	v_cndmask_b32_e64 v32, 0, v32, s1
	s_or_b32 exec_lo, exec_lo, s6
	global_load_dwordx4 v[33:36], v[33:34], off offset:1536
	s_and_saveexec_b32 s6, vcc_lo
	s_cbranch_execnz .LBB42_42
	s_branch .LBB42_43
.LBB42_58:                              ;   in Loop: Header=BB42_33 Depth=1
	v_cmp_gt_i32_e64 s1, s23, v97
	s_waitcnt vmcnt(0)
	v_cndmask_b32_e64 v37, 0, v37, s1
	v_cmp_gt_i32_e64 s1, s23, v99
	v_cndmask_b32_e64 v38, 0, v38, s1
	v_cmp_gt_i32_e64 s1, s23, v98
	;; [unrolled: 2-line block ×3, first 2 shown]
	v_cndmask_b32_e64 v40, 0, v40, s1
	s_or_b32 exec_lo, exec_lo, s6
	global_load_dwordx4 v[41:44], v[49:50], off offset:512
	s_and_saveexec_b32 s6, vcc_lo
	s_cbranch_execz .LBB42_45
.LBB42_59:                              ;   in Loop: Header=BB42_33 Depth=1
	v_cmp_gt_i32_e64 s1, s23, v97
	s_waitcnt vmcnt(0)
	v_cndmask_b32_e64 v41, 0, v41, s1
	v_cmp_gt_i32_e64 s1, s23, v99
	v_cndmask_b32_e64 v42, 0, v42, s1
	v_cmp_gt_i32_e64 s1, s23, v98
	;; [unrolled: 2-line block ×3, first 2 shown]
	v_cndmask_b32_e64 v44, 0, v44, s1
	s_or_b32 exec_lo, exec_lo, s6
	global_load_dwordx4 v[45:48], v[49:50], off offset:1024
	s_and_saveexec_b32 s6, vcc_lo
	s_cbranch_execz .LBB42_46
.LBB42_60:                              ;   in Loop: Header=BB42_33 Depth=1
	v_cmp_gt_i32_e64 s1, s23, v97
	s_waitcnt vmcnt(0)
	v_cndmask_b32_e64 v45, 0, v45, s1
	v_cmp_gt_i32_e64 s1, s23, v99
	v_cndmask_b32_e64 v46, 0, v46, s1
	v_cmp_gt_i32_e64 s1, s23, v98
	v_cndmask_b32_e64 v47, 0, v47, s1
	v_cmp_gt_i32_e64 s1, s23, v95
	v_cndmask_b32_e64 v48, 0, v48, s1
	s_or_b32 exec_lo, exec_lo, s6
	global_load_dwordx4 v[49:52], v[49:50], off offset:1536
	s_and_saveexec_b32 s6, vcc_lo
	s_cbranch_execnz .LBB42_47
	s_branch .LBB42_48
.LBB42_61:                              ;   in Loop: Header=BB42_33 Depth=1
	v_cmp_gt_i32_e64 s1, s23, v97
	s_waitcnt vmcnt(0)
	v_cndmask_b32_e64 v57, 0, v57, s1
	v_cmp_gt_i32_e64 s1, s23, v99
	v_cndmask_b32_e64 v58, 0, v58, s1
	v_cmp_gt_i32_e64 s1, s23, v98
	;; [unrolled: 2-line block ×3, first 2 shown]
	v_cndmask_b32_e64 v60, 0, v60, s1
	s_or_b32 exec_lo, exec_lo, s6
	global_load_dwordx4 v[61:64], v[53:54], off offset:512
	s_and_saveexec_b32 s6, vcc_lo
	s_cbranch_execz .LBB42_50
.LBB42_62:                              ;   in Loop: Header=BB42_33 Depth=1
	v_cmp_gt_i32_e64 s1, s23, v97
	s_waitcnt vmcnt(0)
	v_cndmask_b32_e64 v61, 0, v61, s1
	v_cmp_gt_i32_e64 s1, s23, v99
	v_cndmask_b32_e64 v62, 0, v62, s1
	v_cmp_gt_i32_e64 s1, s23, v98
	v_cndmask_b32_e64 v63, 0, v63, s1
	v_cmp_gt_i32_e64 s1, s23, v95
	v_cndmask_b32_e64 v64, 0, v64, s1
	s_or_b32 exec_lo, exec_lo, s6
	global_load_dwordx4 v[65:68], v[53:54], off offset:1024
	s_and_saveexec_b32 s6, vcc_lo
	s_cbranch_execz .LBB42_51
.LBB42_63:                              ;   in Loop: Header=BB42_33 Depth=1
	v_cmp_gt_i32_e64 s1, s23, v97
	s_waitcnt vmcnt(0)
	v_cndmask_b32_e64 v65, 0, v65, s1
	v_cmp_gt_i32_e64 s1, s23, v99
	v_cndmask_b32_e64 v66, 0, v66, s1
	v_cmp_gt_i32_e64 s1, s23, v98
	;; [unrolled: 2-line block ×3, first 2 shown]
	v_cndmask_b32_e64 v68, 0, v68, s1
	s_or_b32 exec_lo, exec_lo, s6
	global_load_dwordx4 v[53:56], v[53:54], off offset:1536
	s_and_saveexec_b32 s1, vcc_lo
	s_cbranch_execz .LBB42_32
.LBB42_64:                              ;   in Loop: Header=BB42_33 Depth=1
	v_cmp_gt_i32_e32 vcc_lo, s23, v97
	s_waitcnt vmcnt(0)
	v_cndmask_b32_e32 v53, 0, v53, vcc_lo
	v_cmp_gt_i32_e32 vcc_lo, s23, v99
	v_cndmask_b32_e32 v54, 0, v54, vcc_lo
	v_cmp_gt_i32_e32 vcc_lo, s23, v98
	;; [unrolled: 2-line block ×3, first 2 shown]
	v_cndmask_b32_e32 v56, 0, v56, vcc_lo
	s_branch .LBB42_32
.LBB42_65:
	s_or_b32 exec_lo, exec_lo, s4
.LBB42_66:
	s_or_b32 exec_lo, exec_lo, s3
	ds_bpermute_b32 v2, v74, v92
	ds_bpermute_b32 v1, v74, v90
	;; [unrolled: 1-line block ×16, first 2 shown]
	s_mov_b32 s1, exec_lo
	s_waitcnt lgkmcnt(0)
	s_waitcnt_vscnt null, 0x0
	s_barrier
	buffer_gl0_inv
	v_add_f32_e32 v2, v92, v2
	v_add_f32_e32 v1, v90, v1
	;; [unrolled: 1-line block ×6, first 2 shown]
	ds_bpermute_b32 v18, v75, v2
	v_add_f32_e32 v7, v86, v7
	v_add_f32_e32 v8, v85, v8
	v_add_f32_e32 v9, v84, v9
	v_add_f32_e32 v10, v83, v10
	v_add_f32_e32 v11, v82, v11
	v_add_f32_e32 v12, v81, v12
	v_add_f32_e32 v13, v80, v13
	v_add_f32_e32 v14, v79, v14
	v_add_f32_e32 v15, v78, v15
	v_add_f32_e32 v16, v77, v16
	ds_bpermute_b32 v17, v75, v1
	ds_bpermute_b32 v19, v75, v3
	;; [unrolled: 1-line block ×15, first 2 shown]
	s_waitcnt lgkmcnt(15)
	v_add_f32_e32 v2, v2, v18
	v_and_b32_e32 v18, 28, v73
	s_waitcnt lgkmcnt(14)
	v_add_f32_e32 v1, v1, v17
	s_waitcnt lgkmcnt(13)
	v_add_f32_e32 v3, v3, v19
	;; [unrolled: 2-line block ×14, first 2 shown]
	v_and_b32_e32 v20, 0x3c3, v0
	s_waitcnt lgkmcnt(0)
	v_add_f32_e32 v16, v16, v32
	v_lshrrev_b32_e32 v17, 2, v73
	v_add_nc_u32_e32 v18, 0x220, v18
	v_lshlrev_b32_e32 v19, 9, v72
	v_cmpx_eq_u32_e32 64, v20
	s_cbranch_execz .LBB42_68
; %bb.67:
	v_add_nc_u32_e32 v20, v18, v19
	v_add_nc_u32_e32 v21, 0xfffffc00, v20
	;; [unrolled: 1-line block ×7, first 2 shown]
	ds_write_b32 v21, v1
	ds_write_b32 v22, v2
	;; [unrolled: 1-line block ×6, first 2 shown]
	v_add_nc_u32_e32 v21, 0xfffffcc0, v20
	v_add_nc_u32_e32 v22, 0xfffffce0, v20
	;; [unrolled: 1-line block ×5, first 2 shown]
	ds_write_b32 v21, v7
	ds_write_b32 v22, v8
	;; [unrolled: 1-line block ×5, first 2 shown]
	v_add_nc_u32_e32 v21, 0xfffffd60, v20
	v_add_nc_u32_e32 v22, 0xfffffd80, v20
	;; [unrolled: 1-line block ×5, first 2 shown]
	ds_write_b32 v21, v12
	ds_write_b32 v22, v13
	;; [unrolled: 1-line block ×5, first 2 shown]
.LBB42_68:
	s_or_b32 exec_lo, exec_lo, s1
	v_lshlrev_b32_e32 v17, 2, v17
	v_cmp_eq_u32_e32 vcc_lo, 0, v76
	s_waitcnt lgkmcnt(0)
	s_barrier
	buffer_gl0_inv
	v_add3_u32 v17, 0x220, v19, v17
	s_and_saveexec_b32 s1, s0
	s_cbranch_execz .LBB42_87
; %bb.69:
	s_and_saveexec_b32 s0, vcc_lo
	s_cbranch_execnz .LBB42_111
; %bb.70:
	s_or_b32 exec_lo, exec_lo, s0
	s_and_saveexec_b32 s0, vcc_lo
	s_cbranch_execnz .LBB42_112
.LBB42_71:
	s_or_b32 exec_lo, exec_lo, s0
	s_and_saveexec_b32 s0, vcc_lo
	s_cbranch_execnz .LBB42_113
.LBB42_72:
	s_or_b32 exec_lo, exec_lo, s0
	s_and_saveexec_b32 s0, vcc_lo
	s_cbranch_execnz .LBB42_114
.LBB42_73:
	s_or_b32 exec_lo, exec_lo, s0
	s_and_saveexec_b32 s0, vcc_lo
	s_cbranch_execnz .LBB42_115
.LBB42_74:
	s_or_b32 exec_lo, exec_lo, s0
	s_and_saveexec_b32 s0, vcc_lo
	s_cbranch_execnz .LBB42_116
.LBB42_75:
	s_or_b32 exec_lo, exec_lo, s0
	s_and_saveexec_b32 s0, vcc_lo
	s_cbranch_execnz .LBB42_117
.LBB42_76:
	s_or_b32 exec_lo, exec_lo, s0
	s_and_saveexec_b32 s0, vcc_lo
	s_cbranch_execnz .LBB42_118
.LBB42_77:
	s_or_b32 exec_lo, exec_lo, s0
	s_and_saveexec_b32 s0, vcc_lo
	s_cbranch_execnz .LBB42_119
.LBB42_78:
	s_or_b32 exec_lo, exec_lo, s0
	s_and_saveexec_b32 s0, vcc_lo
	s_cbranch_execnz .LBB42_120
.LBB42_79:
	s_or_b32 exec_lo, exec_lo, s0
	s_and_saveexec_b32 s0, vcc_lo
	s_cbranch_execnz .LBB42_121
.LBB42_80:
	s_or_b32 exec_lo, exec_lo, s0
	s_and_saveexec_b32 s0, vcc_lo
	s_cbranch_execnz .LBB42_122
.LBB42_81:
	s_or_b32 exec_lo, exec_lo, s0
	s_and_saveexec_b32 s0, vcc_lo
	s_cbranch_execnz .LBB42_123
.LBB42_82:
	s_or_b32 exec_lo, exec_lo, s0
	s_and_saveexec_b32 s0, vcc_lo
	s_cbranch_execnz .LBB42_124
.LBB42_83:
	s_or_b32 exec_lo, exec_lo, s0
	s_and_saveexec_b32 s0, vcc_lo
	s_cbranch_execnz .LBB42_125
.LBB42_84:
	s_or_b32 exec_lo, exec_lo, s0
	s_and_saveexec_b32 s0, vcc_lo
	s_cbranch_execz .LBB42_86
.LBB42_85:
	ds_read_b32 v19, v17 offset:480
	s_waitcnt lgkmcnt(0)
	v_add_f32_e32 v16, v16, v19
.LBB42_86:
	s_or_b32 exec_lo, exec_lo, s0
.LBB42_87:
	s_or_b32 exec_lo, exec_lo, s1
	v_and_b32_e32 v19, 0x3e3, v0
	s_mov_b32 s1, exec_lo
	s_barrier
	buffer_gl0_inv
	v_cmpx_eq_u32_e32 32, v19
	s_cbranch_execz .LBB42_89
; %bb.88:
	ds_write2_b32 v18, v1, v2 offset1:8
	ds_write2_b32 v18, v3, v4 offset0:16 offset1:24
	ds_write2_b32 v18, v5, v6 offset0:32 offset1:40
	;; [unrolled: 1-line block ×7, first 2 shown]
.LBB42_89:
	s_or_b32 exec_lo, exec_lo, s1
	s_mov_b32 s1, exec_lo
	s_waitcnt lgkmcnt(0)
	s_barrier
	buffer_gl0_inv
	v_cmpx_gt_u32_e32 32, v0
	s_cbranch_execz .LBB42_108
; %bb.90:
	s_and_saveexec_b32 s0, vcc_lo
	s_cbranch_execnz .LBB42_126
; %bb.91:
	s_or_b32 exec_lo, exec_lo, s0
	s_and_saveexec_b32 s0, vcc_lo
	s_cbranch_execnz .LBB42_127
.LBB42_92:
	s_or_b32 exec_lo, exec_lo, s0
	s_and_saveexec_b32 s0, vcc_lo
	s_cbranch_execnz .LBB42_128
.LBB42_93:
	s_or_b32 exec_lo, exec_lo, s0
	s_and_saveexec_b32 s0, vcc_lo
	s_cbranch_execnz .LBB42_129
.LBB42_94:
	s_or_b32 exec_lo, exec_lo, s0
	s_and_saveexec_b32 s0, vcc_lo
	s_cbranch_execnz .LBB42_130
.LBB42_95:
	s_or_b32 exec_lo, exec_lo, s0
	s_and_saveexec_b32 s0, vcc_lo
	s_cbranch_execnz .LBB42_131
.LBB42_96:
	s_or_b32 exec_lo, exec_lo, s0
	s_and_saveexec_b32 s0, vcc_lo
	s_cbranch_execnz .LBB42_132
.LBB42_97:
	s_or_b32 exec_lo, exec_lo, s0
	s_and_saveexec_b32 s0, vcc_lo
	s_cbranch_execnz .LBB42_133
.LBB42_98:
	s_or_b32 exec_lo, exec_lo, s0
	s_and_saveexec_b32 s0, vcc_lo
	s_cbranch_execnz .LBB42_134
.LBB42_99:
	s_or_b32 exec_lo, exec_lo, s0
	s_and_saveexec_b32 s0, vcc_lo
	s_cbranch_execnz .LBB42_135
.LBB42_100:
	s_or_b32 exec_lo, exec_lo, s0
	s_and_saveexec_b32 s0, vcc_lo
	s_cbranch_execnz .LBB42_136
.LBB42_101:
	s_or_b32 exec_lo, exec_lo, s0
	s_and_saveexec_b32 s0, vcc_lo
	s_cbranch_execnz .LBB42_137
.LBB42_102:
	s_or_b32 exec_lo, exec_lo, s0
	s_and_saveexec_b32 s0, vcc_lo
	s_cbranch_execnz .LBB42_138
.LBB42_103:
	s_or_b32 exec_lo, exec_lo, s0
	s_and_saveexec_b32 s0, vcc_lo
	s_cbranch_execnz .LBB42_139
.LBB42_104:
	s_or_b32 exec_lo, exec_lo, s0
	s_and_saveexec_b32 s0, vcc_lo
	s_cbranch_execnz .LBB42_140
.LBB42_105:
	s_or_b32 exec_lo, exec_lo, s0
	s_and_saveexec_b32 s0, vcc_lo
	s_cbranch_execz .LBB42_107
.LBB42_106:
	ds_read_b32 v17, v17 offset:480
	s_waitcnt lgkmcnt(0)
	v_add_f32_e32 v16, v16, v17
.LBB42_107:
	s_or_b32 exec_lo, exec_lo, s0
.LBB42_108:
	s_or_b32 exec_lo, exec_lo, s1
	s_barrier
	buffer_gl0_inv
	s_mov_b32 s0, exec_lo
	v_cmpx_eq_u32_e32 0, v19
	s_cbranch_execz .LBB42_110
; %bb.109:
	s_lshl_b32 s0, s2, 7
	s_mul_i32 s2, s7, s10
	s_ashr_i32 s1, s0, 31
	s_lshl_b64 s[0:1], s[0:1], 2
	s_add_u32 s4, s20, s0
	s_addc_u32 s5, s21, s1
	s_ashr_i32 s3, s2, 31
	s_lshl_b64 s[0:1], s[2:3], 2
	s_add_u32 s2, s4, s0
	s_addc_u32 s3, s5, s1
	s_lshl_b32 s0, s8, 7
	s_ashr_i32 s1, s0, 31
	s_lshl_b64 s[0:1], s[0:1], 2
	s_add_u32 s0, s2, s0
	s_addc_u32 s1, s3, s1
	global_store_dword v0, v1, s[0:1]
	global_store_dword v0, v2, s[0:1] offset:32
	global_store_dword v0, v3, s[0:1] offset:64
	;; [unrolled: 1-line block ×15, first 2 shown]
.LBB42_110:
	s_endpgm
.LBB42_111:
	ds_read_b32 v19, v17
	s_waitcnt lgkmcnt(0)
	v_add_f32_e32 v1, v1, v19
	s_or_b32 exec_lo, exec_lo, s0
	s_and_saveexec_b32 s0, vcc_lo
	s_cbranch_execz .LBB42_71
.LBB42_112:
	ds_read_b32 v19, v17 offset:32
	s_waitcnt lgkmcnt(0)
	v_add_f32_e32 v2, v2, v19
	s_or_b32 exec_lo, exec_lo, s0
	s_and_saveexec_b32 s0, vcc_lo
	s_cbranch_execz .LBB42_72
.LBB42_113:
	ds_read_b32 v19, v17 offset:64
	s_waitcnt lgkmcnt(0)
	v_add_f32_e32 v3, v3, v19
	s_or_b32 exec_lo, exec_lo, s0
	s_and_saveexec_b32 s0, vcc_lo
	s_cbranch_execz .LBB42_73
.LBB42_114:
	ds_read_b32 v19, v17 offset:96
	s_waitcnt lgkmcnt(0)
	v_add_f32_e32 v4, v4, v19
	s_or_b32 exec_lo, exec_lo, s0
	s_and_saveexec_b32 s0, vcc_lo
	s_cbranch_execz .LBB42_74
.LBB42_115:
	ds_read_b32 v19, v17 offset:128
	s_waitcnt lgkmcnt(0)
	v_add_f32_e32 v5, v5, v19
	s_or_b32 exec_lo, exec_lo, s0
	s_and_saveexec_b32 s0, vcc_lo
	s_cbranch_execz .LBB42_75
.LBB42_116:
	ds_read_b32 v19, v17 offset:160
	s_waitcnt lgkmcnt(0)
	v_add_f32_e32 v6, v6, v19
	s_or_b32 exec_lo, exec_lo, s0
	s_and_saveexec_b32 s0, vcc_lo
	s_cbranch_execz .LBB42_76
.LBB42_117:
	ds_read_b32 v19, v17 offset:192
	s_waitcnt lgkmcnt(0)
	v_add_f32_e32 v7, v7, v19
	s_or_b32 exec_lo, exec_lo, s0
	s_and_saveexec_b32 s0, vcc_lo
	s_cbranch_execz .LBB42_77
.LBB42_118:
	ds_read_b32 v19, v17 offset:224
	s_waitcnt lgkmcnt(0)
	v_add_f32_e32 v8, v8, v19
	s_or_b32 exec_lo, exec_lo, s0
	s_and_saveexec_b32 s0, vcc_lo
	s_cbranch_execz .LBB42_78
.LBB42_119:
	ds_read_b32 v19, v17 offset:256
	s_waitcnt lgkmcnt(0)
	v_add_f32_e32 v9, v9, v19
	s_or_b32 exec_lo, exec_lo, s0
	s_and_saveexec_b32 s0, vcc_lo
	s_cbranch_execz .LBB42_79
.LBB42_120:
	ds_read_b32 v19, v17 offset:288
	s_waitcnt lgkmcnt(0)
	v_add_f32_e32 v10, v10, v19
	s_or_b32 exec_lo, exec_lo, s0
	s_and_saveexec_b32 s0, vcc_lo
	s_cbranch_execz .LBB42_80
.LBB42_121:
	ds_read_b32 v19, v17 offset:320
	s_waitcnt lgkmcnt(0)
	v_add_f32_e32 v11, v11, v19
	s_or_b32 exec_lo, exec_lo, s0
	s_and_saveexec_b32 s0, vcc_lo
	s_cbranch_execz .LBB42_81
.LBB42_122:
	ds_read_b32 v19, v17 offset:352
	s_waitcnt lgkmcnt(0)
	v_add_f32_e32 v12, v12, v19
	s_or_b32 exec_lo, exec_lo, s0
	s_and_saveexec_b32 s0, vcc_lo
	s_cbranch_execz .LBB42_82
.LBB42_123:
	ds_read_b32 v19, v17 offset:384
	s_waitcnt lgkmcnt(0)
	v_add_f32_e32 v13, v13, v19
	s_or_b32 exec_lo, exec_lo, s0
	s_and_saveexec_b32 s0, vcc_lo
	s_cbranch_execz .LBB42_83
.LBB42_124:
	ds_read_b32 v19, v17 offset:416
	s_waitcnt lgkmcnt(0)
	v_add_f32_e32 v14, v14, v19
	s_or_b32 exec_lo, exec_lo, s0
	s_and_saveexec_b32 s0, vcc_lo
	s_cbranch_execz .LBB42_84
.LBB42_125:
	ds_read_b32 v19, v17 offset:448
	s_waitcnt lgkmcnt(0)
	v_add_f32_e32 v15, v15, v19
	s_or_b32 exec_lo, exec_lo, s0
	s_and_saveexec_b32 s0, vcc_lo
	s_cbranch_execnz .LBB42_85
	s_branch .LBB42_86
.LBB42_126:
	ds_read_b32 v18, v17
	s_waitcnt lgkmcnt(0)
	v_add_f32_e32 v1, v1, v18
	s_or_b32 exec_lo, exec_lo, s0
	s_and_saveexec_b32 s0, vcc_lo
	s_cbranch_execz .LBB42_92
.LBB42_127:
	ds_read_b32 v18, v17 offset:32
	s_waitcnt lgkmcnt(0)
	v_add_f32_e32 v2, v2, v18
	s_or_b32 exec_lo, exec_lo, s0
	s_and_saveexec_b32 s0, vcc_lo
	s_cbranch_execz .LBB42_93
.LBB42_128:
	ds_read_b32 v18, v17 offset:64
	s_waitcnt lgkmcnt(0)
	v_add_f32_e32 v3, v3, v18
	s_or_b32 exec_lo, exec_lo, s0
	s_and_saveexec_b32 s0, vcc_lo
	s_cbranch_execz .LBB42_94
.LBB42_129:
	ds_read_b32 v18, v17 offset:96
	s_waitcnt lgkmcnt(0)
	v_add_f32_e32 v4, v4, v18
	s_or_b32 exec_lo, exec_lo, s0
	s_and_saveexec_b32 s0, vcc_lo
	s_cbranch_execz .LBB42_95
.LBB42_130:
	ds_read_b32 v18, v17 offset:128
	s_waitcnt lgkmcnt(0)
	v_add_f32_e32 v5, v5, v18
	s_or_b32 exec_lo, exec_lo, s0
	s_and_saveexec_b32 s0, vcc_lo
	s_cbranch_execz .LBB42_96
.LBB42_131:
	ds_read_b32 v18, v17 offset:160
	s_waitcnt lgkmcnt(0)
	v_add_f32_e32 v6, v6, v18
	s_or_b32 exec_lo, exec_lo, s0
	s_and_saveexec_b32 s0, vcc_lo
	s_cbranch_execz .LBB42_97
.LBB42_132:
	ds_read_b32 v18, v17 offset:192
	s_waitcnt lgkmcnt(0)
	v_add_f32_e32 v7, v7, v18
	s_or_b32 exec_lo, exec_lo, s0
	s_and_saveexec_b32 s0, vcc_lo
	s_cbranch_execz .LBB42_98
.LBB42_133:
	ds_read_b32 v18, v17 offset:224
	s_waitcnt lgkmcnt(0)
	v_add_f32_e32 v8, v8, v18
	s_or_b32 exec_lo, exec_lo, s0
	s_and_saveexec_b32 s0, vcc_lo
	s_cbranch_execz .LBB42_99
.LBB42_134:
	ds_read_b32 v18, v17 offset:256
	s_waitcnt lgkmcnt(0)
	v_add_f32_e32 v9, v9, v18
	s_or_b32 exec_lo, exec_lo, s0
	s_and_saveexec_b32 s0, vcc_lo
	s_cbranch_execz .LBB42_100
.LBB42_135:
	ds_read_b32 v18, v17 offset:288
	s_waitcnt lgkmcnt(0)
	v_add_f32_e32 v10, v10, v18
	s_or_b32 exec_lo, exec_lo, s0
	s_and_saveexec_b32 s0, vcc_lo
	s_cbranch_execz .LBB42_101
.LBB42_136:
	ds_read_b32 v18, v17 offset:320
	s_waitcnt lgkmcnt(0)
	v_add_f32_e32 v11, v11, v18
	s_or_b32 exec_lo, exec_lo, s0
	s_and_saveexec_b32 s0, vcc_lo
	s_cbranch_execz .LBB42_102
.LBB42_137:
	ds_read_b32 v18, v17 offset:352
	s_waitcnt lgkmcnt(0)
	v_add_f32_e32 v12, v12, v18
	s_or_b32 exec_lo, exec_lo, s0
	s_and_saveexec_b32 s0, vcc_lo
	s_cbranch_execz .LBB42_103
.LBB42_138:
	ds_read_b32 v18, v17 offset:384
	s_waitcnt lgkmcnt(0)
	v_add_f32_e32 v13, v13, v18
	s_or_b32 exec_lo, exec_lo, s0
	s_and_saveexec_b32 s0, vcc_lo
	s_cbranch_execz .LBB42_104
.LBB42_139:
	ds_read_b32 v18, v17 offset:416
	s_waitcnt lgkmcnt(0)
	v_add_f32_e32 v14, v14, v18
	s_or_b32 exec_lo, exec_lo, s0
	s_and_saveexec_b32 s0, vcc_lo
	s_cbranch_execz .LBB42_105
.LBB42_140:
	ds_read_b32 v18, v17 offset:448
	s_waitcnt lgkmcnt(0)
	v_add_f32_e32 v15, v15, v18
	s_or_b32 exec_lo, exec_lo, s0
	s_and_saveexec_b32 s0, vcc_lo
	s_cbranch_execnz .LBB42_106
	s_branch .LBB42_107
	.section	.rodata,"a",@progbits
	.p2align	6, 0x0
	.amdhsa_kernel _ZN4vllm25paged_attention_v2_kernelIffLi128ELi16ELi128ELNS_18Fp8KVCacheDataTypeE0ELb0ELi512EEEvPfS2_PT_PKS3_PKT0_S9_ifPKiSB_iPKfiiiSD_SD_iiiii
		.amdhsa_group_segment_fixed_size 544
		.amdhsa_private_segment_fixed_size 0
		.amdhsa_kernarg_size 400
		.amdhsa_user_sgpr_count 6
		.amdhsa_user_sgpr_private_segment_buffer 1
		.amdhsa_user_sgpr_dispatch_ptr 0
		.amdhsa_user_sgpr_queue_ptr 0
		.amdhsa_user_sgpr_kernarg_segment_ptr 1
		.amdhsa_user_sgpr_dispatch_id 0
		.amdhsa_user_sgpr_flat_scratch_init 0
		.amdhsa_user_sgpr_private_segment_size 0
		.amdhsa_wavefront_size32 1
		.amdhsa_uses_dynamic_stack 0
		.amdhsa_system_sgpr_private_segment_wavefront_offset 0
		.amdhsa_system_sgpr_workgroup_id_x 1
		.amdhsa_system_sgpr_workgroup_id_y 1
		.amdhsa_system_sgpr_workgroup_id_z 1
		.amdhsa_system_sgpr_workgroup_info 0
		.amdhsa_system_vgpr_workitem_id 0
		.amdhsa_next_free_vgpr 121
		.amdhsa_next_free_sgpr 38
		.amdhsa_reserve_vcc 1
		.amdhsa_reserve_flat_scratch 0
		.amdhsa_float_round_mode_32 0
		.amdhsa_float_round_mode_16_64 0
		.amdhsa_float_denorm_mode_32 3
		.amdhsa_float_denorm_mode_16_64 3
		.amdhsa_dx10_clamp 1
		.amdhsa_ieee_mode 1
		.amdhsa_fp16_overflow 0
		.amdhsa_workgroup_processor_mode 1
		.amdhsa_memory_ordered 1
		.amdhsa_forward_progress 1
		.amdhsa_shared_vgpr_count 0
		.amdhsa_exception_fp_ieee_invalid_op 0
		.amdhsa_exception_fp_denorm_src 0
		.amdhsa_exception_fp_ieee_div_zero 0
		.amdhsa_exception_fp_ieee_overflow 0
		.amdhsa_exception_fp_ieee_underflow 0
		.amdhsa_exception_fp_ieee_inexact 0
		.amdhsa_exception_int_div_zero 0
	.end_amdhsa_kernel
	.section	.text._ZN4vllm25paged_attention_v2_kernelIffLi128ELi16ELi128ELNS_18Fp8KVCacheDataTypeE0ELb0ELi512EEEvPfS2_PT_PKS3_PKT0_S9_ifPKiSB_iPKfiiiSD_SD_iiiii,"axG",@progbits,_ZN4vllm25paged_attention_v2_kernelIffLi128ELi16ELi128ELNS_18Fp8KVCacheDataTypeE0ELb0ELi512EEEvPfS2_PT_PKS3_PKT0_S9_ifPKiSB_iPKfiiiSD_SD_iiiii,comdat
.Lfunc_end42:
	.size	_ZN4vllm25paged_attention_v2_kernelIffLi128ELi16ELi128ELNS_18Fp8KVCacheDataTypeE0ELb0ELi512EEEvPfS2_PT_PKS3_PKT0_S9_ifPKiSB_iPKfiiiSD_SD_iiiii, .Lfunc_end42-_ZN4vllm25paged_attention_v2_kernelIffLi128ELi16ELi128ELNS_18Fp8KVCacheDataTypeE0ELb0ELi512EEEvPfS2_PT_PKS3_PKT0_S9_ifPKiSB_iPKfiiiSD_SD_iiiii
                                        ; -- End function
	.set _ZN4vllm25paged_attention_v2_kernelIffLi128ELi16ELi128ELNS_18Fp8KVCacheDataTypeE0ELb0ELi512EEEvPfS2_PT_PKS3_PKT0_S9_ifPKiSB_iPKfiiiSD_SD_iiiii.num_vgpr, 121
	.set _ZN4vllm25paged_attention_v2_kernelIffLi128ELi16ELi128ELNS_18Fp8KVCacheDataTypeE0ELb0ELi512EEEvPfS2_PT_PKS3_PKT0_S9_ifPKiSB_iPKfiiiSD_SD_iiiii.num_agpr, 0
	.set _ZN4vllm25paged_attention_v2_kernelIffLi128ELi16ELi128ELNS_18Fp8KVCacheDataTypeE0ELb0ELi512EEEvPfS2_PT_PKS3_PKT0_S9_ifPKiSB_iPKfiiiSD_SD_iiiii.numbered_sgpr, 38
	.set _ZN4vllm25paged_attention_v2_kernelIffLi128ELi16ELi128ELNS_18Fp8KVCacheDataTypeE0ELb0ELi512EEEvPfS2_PT_PKS3_PKT0_S9_ifPKiSB_iPKfiiiSD_SD_iiiii.num_named_barrier, 0
	.set _ZN4vllm25paged_attention_v2_kernelIffLi128ELi16ELi128ELNS_18Fp8KVCacheDataTypeE0ELb0ELi512EEEvPfS2_PT_PKS3_PKT0_S9_ifPKiSB_iPKfiiiSD_SD_iiiii.private_seg_size, 0
	.set _ZN4vllm25paged_attention_v2_kernelIffLi128ELi16ELi128ELNS_18Fp8KVCacheDataTypeE0ELb0ELi512EEEvPfS2_PT_PKS3_PKT0_S9_ifPKiSB_iPKfiiiSD_SD_iiiii.uses_vcc, 1
	.set _ZN4vllm25paged_attention_v2_kernelIffLi128ELi16ELi128ELNS_18Fp8KVCacheDataTypeE0ELb0ELi512EEEvPfS2_PT_PKS3_PKT0_S9_ifPKiSB_iPKfiiiSD_SD_iiiii.uses_flat_scratch, 0
	.set _ZN4vllm25paged_attention_v2_kernelIffLi128ELi16ELi128ELNS_18Fp8KVCacheDataTypeE0ELb0ELi512EEEvPfS2_PT_PKS3_PKT0_S9_ifPKiSB_iPKfiiiSD_SD_iiiii.has_dyn_sized_stack, 0
	.set _ZN4vllm25paged_attention_v2_kernelIffLi128ELi16ELi128ELNS_18Fp8KVCacheDataTypeE0ELb0ELi512EEEvPfS2_PT_PKS3_PKT0_S9_ifPKiSB_iPKfiiiSD_SD_iiiii.has_recursion, 0
	.set _ZN4vllm25paged_attention_v2_kernelIffLi128ELi16ELi128ELNS_18Fp8KVCacheDataTypeE0ELb0ELi512EEEvPfS2_PT_PKS3_PKT0_S9_ifPKiSB_iPKfiiiSD_SD_iiiii.has_indirect_call, 0
	.section	.AMDGPU.csdata,"",@progbits
; Kernel info:
; codeLenInByte = 7788
; TotalNumSgprs: 40
; NumVgprs: 121
; ScratchSize: 0
; MemoryBound: 0
; FloatMode: 240
; IeeeMode: 1
; LDSByteSize: 544 bytes/workgroup (compile time only)
; SGPRBlocks: 0
; VGPRBlocks: 15
; NumSGPRsForWavesPerEU: 40
; NumVGPRsForWavesPerEU: 121
; Occupancy: 8
; WaveLimiterHint : 1
; COMPUTE_PGM_RSRC2:SCRATCH_EN: 0
; COMPUTE_PGM_RSRC2:USER_SGPR: 6
; COMPUTE_PGM_RSRC2:TRAP_HANDLER: 0
; COMPUTE_PGM_RSRC2:TGID_X_EN: 1
; COMPUTE_PGM_RSRC2:TGID_Y_EN: 1
; COMPUTE_PGM_RSRC2:TGID_Z_EN: 1
; COMPUTE_PGM_RSRC2:TIDIG_COMP_CNT: 0
	.section	.text._ZN4vllm25paged_attention_v2_kernelIffLi192ELi16ELi128ELNS_18Fp8KVCacheDataTypeE0ELb0ELi512EEEvPfS2_PT_PKS3_PKT0_S9_ifPKiSB_iPKfiiiSD_SD_iiiii,"axG",@progbits,_ZN4vllm25paged_attention_v2_kernelIffLi192ELi16ELi128ELNS_18Fp8KVCacheDataTypeE0ELb0ELi512EEEvPfS2_PT_PKS3_PKT0_S9_ifPKiSB_iPKfiiiSD_SD_iiiii,comdat
	.protected	_ZN4vllm25paged_attention_v2_kernelIffLi192ELi16ELi128ELNS_18Fp8KVCacheDataTypeE0ELb0ELi512EEEvPfS2_PT_PKS3_PKT0_S9_ifPKiSB_iPKfiiiSD_SD_iiiii ; -- Begin function _ZN4vllm25paged_attention_v2_kernelIffLi192ELi16ELi128ELNS_18Fp8KVCacheDataTypeE0ELb0ELi512EEEvPfS2_PT_PKS3_PKT0_S9_ifPKiSB_iPKfiiiSD_SD_iiiii
	.globl	_ZN4vllm25paged_attention_v2_kernelIffLi192ELi16ELi128ELNS_18Fp8KVCacheDataTypeE0ELb0ELi512EEEvPfS2_PT_PKS3_PKT0_S9_ifPKiSB_iPKfiiiSD_SD_iiiii
	.p2align	8
	.type	_ZN4vllm25paged_attention_v2_kernelIffLi192ELi16ELi128ELNS_18Fp8KVCacheDataTypeE0ELb0ELi512EEEvPfS2_PT_PKS3_PKT0_S9_ifPKiSB_iPKfiiiSD_SD_iiiii,@function
_ZN4vllm25paged_attention_v2_kernelIffLi192ELi16ELi128ELNS_18Fp8KVCacheDataTypeE0ELb0ELi512EEEvPfS2_PT_PKS3_PKT0_S9_ifPKiSB_iPKfiiiSD_SD_iiiii: ; @_ZN4vllm25paged_attention_v2_kernelIffLi192ELi16ELi128ELNS_18Fp8KVCacheDataTypeE0ELb0ELi512EEEvPfS2_PT_PKS3_PKT0_S9_ifPKiSB_iPKfiiiSD_SD_iiiii
; %bb.0:
	s_mov_b64 s[38:39], s[2:3]
	s_mov_b64 s[36:37], s[0:1]
	s_load_dwordx2 s[0:1], s[4:5], 0x40
	s_add_u32 s36, s36, s9
	s_addc_u32 s37, s37, 0
	s_mov_b32 s22, s7
	s_ashr_i32 s23, s7, 31
	s_lshl_b64 s[2:3], s[22:23], 2
	s_waitcnt lgkmcnt(0)
	s_add_u32 s0, s0, s2
	s_addc_u32 s1, s1, s3
	s_lshl_b32 s33, s8, 9
	s_load_dword s23, s[0:1], 0x0
	s_waitcnt lgkmcnt(0)
	s_cmp_ge_i32 s33, s23
	s_cbranch_scc1 .LBB43_142
; %bb.1:
	s_clause 0x1
	s_load_dword s9, s[4:5], 0x90
	s_load_dwordx2 s[30:31], s[4:5], 0x30
	v_mov_b32_e32 v43, v0
	s_mov_b32 s34, 0
	s_waitcnt lgkmcnt(0)
	s_abs_i32 s3, s9
	s_abs_i32 s0, s30
	v_cvt_f32_u32_e32 v0, s0
	s_sub_i32 s2, 0, s0
	v_rcp_iflag_f32_e32 v0, v0
	v_mul_f32_e32 v0, 0x4f7ffffe, v0
	v_cvt_u32_f32_e32 v0, v0
	v_readfirstlane_b32 s1, v0
	s_mul_i32 s2, s2, s1
	s_mul_hi_u32 s2, s1, s2
	s_add_i32 s1, s1, s2
	s_xor_b32 s2, s9, s30
	s_mul_hi_u32 s1, s3, s1
	s_ashr_i32 s2, s2, 31
	s_mul_i32 s7, s1, s0
	s_sub_i32 s3, s3, s7
	s_add_i32 s7, s1, 1
	s_sub_i32 s10, s3, s0
	s_cmp_ge_u32 s3, s0
	s_cselect_b32 s1, s7, s1
	s_cselect_b32 s3, s10, s3
	s_add_i32 s7, s1, 1
	s_cmp_ge_u32 s3, s0
	s_cselect_b32 s0, s7, s1
	s_abs_i32 s16, s6
	s_xor_b32 s0, s0, s2
	s_sub_i32 s10, s0, s2
	s_load_dwordx2 s[0:1], s[4:5], 0x50
	s_abs_i32 s2, s10
	v_cvt_f32_u32_e32 v0, s2
	s_sub_i32 s7, 0, s2
	v_rcp_iflag_f32_e32 v0, v0
	v_mul_f32_e32 v0, 0x4f7ffffe, v0
	v_cvt_u32_f32_e32 v0, v0
	v_readfirstlane_b32 s3, v0
	s_mul_i32 s7, s7, s3
	s_mul_hi_u32 s7, s3, s7
	s_add_i32 s3, s3, s7
	s_waitcnt lgkmcnt(0)
	s_cmp_eq_u64 s[0:1], 0
	s_mul_hi_u32 s3, s16, s3
	s_cbranch_scc1 .LBB43_3
; %bb.2:
	s_ashr_i32 s7, s6, 31
	s_lshl_b64 s[12:13], s[6:7], 2
	s_add_u32 s0, s0, s12
	s_addc_u32 s1, s1, s13
	s_load_dword s34, s[0:1], 0x0
.LBB43_3:
	s_load_dwordx4 s[12:15], s[4:5], 0x58
	v_and_b32_e32 v41, 1, v43
	v_lshlrev_b32_e32 v1, 3, v43
	v_lshlrev_b32_e32 v12, 2, v43
	s_ashr_i32 s0, s6, 31
	s_ashr_i32 s1, s10, 31
	s_mul_i32 s10, s6, 0xc0
	s_mov_b32 s7, exec_lo
	v_cmpx_gt_u32_e32 0x60, v43
	s_cbranch_execz .LBB43_5
; %bb.4:
	s_load_dwordx2 s[18:19], s[4:5], 0x18
	s_waitcnt lgkmcnt(0)
	s_mul_i32 s20, s12, s22
	v_and_b32_e32 v0, 0xff8, v12
	s_ashr_i32 s21, s20, 31
	s_lshl_b64 s[20:21], s[20:21], 2
	v_mad_u32_u24 v0, 0x180, v41, v0
	s_add_u32 s12, s18, s20
	s_addc_u32 s15, s19, s21
	s_ashr_i32 s11, s10, 31
	s_lshl_b64 s[18:19], s[10:11], 2
	s_add_u32 s18, s12, s18
	s_addc_u32 s19, s15, s19
	global_load_dwordx2 v[2:3], v1, s[18:19]
	s_waitcnt vmcnt(0)
	ds_write_b64 v0, v[2:3]
.LBB43_5:
	s_or_b32 exec_lo, exec_lo, s7
	s_add_i32 s7, s23, 15
	s_load_dwordx2 s[24:25], s[4:5], 0x38
	s_waitcnt lgkmcnt(0)
	s_load_dword s15, s[4:5], 0x48
	s_ashr_i32 s11, s7, 31
	s_lshl_b32 s30, s8, 5
	s_lshr_b32 s11, s11, 28
	s_xor_b32 s0, s0, s1
	s_add_i32 s7, s7, s11
	s_add_i32 s1, s30, 32
	s_ashr_i32 s12, s7, 4
	s_mul_i32 s7, s3, s2
	s_min_i32 s11, s1, s12
	s_sub_i32 s1, s16, s7
	s_add_i32 s7, s3, 1
	s_sub_i32 s16, s1, s2
	s_cmp_ge_u32 s1, s2
	v_lshrrev_b32_e32 v100, 5, v43
	s_cselect_b32 s3, s7, s3
	s_cselect_b32 s1, s16, s1
	s_add_i32 s7, s3, 1
	s_cmp_ge_u32 s1, s2
	v_or_b32_e32 v101, s30, v100
	s_cselect_b32 s1, s7, s3
	v_mbcnt_lo_u32_b32 v0, -1, 0
	s_xor_b32 s1, s1, s0
	s_waitcnt lgkmcnt(0)
	s_mul_i32 s26, s15, s22
	s_sub_i32 s1, s1, s0
	v_cmp_gt_i32_e64 s0, s11, v101
	s_ashr_i32 s27, s26, 31
	s_mov_b32 s2, exec_lo
	s_barrier
	buffer_gl0_inv
                                        ; implicit-def: $vgpr127
                                        ; implicit-def: $vgpr103
	v_cmpx_le_i32_e64 s11, v101
	s_xor_b32 s2, exec_lo, s2
; %bb.6:
	v_mov_b32_e32 v127, 0
	v_mbcnt_lo_u32_b32 v0, -1, 0
	v_mov_b32_e32 v103, 32
                                        ; implicit-def: $vgpr1
                                        ; implicit-def: $vgpr41
; %bb.7:
	s_or_saveexec_b32 s35, s2
	s_clause 0x3
	s_load_dwordx4 s[16:19], s[4:5], 0x0
	s_load_dwordx2 s[20:21], s[4:5], 0x10
	s_load_dwordx2 s[28:29], s[4:5], 0x28
	s_load_dword s7, s[4:5], 0x98
	v_mov_b32_e32 v107, 0xff7fffff
	v_ashrrev_i32_e32 v102, 31, v101
	s_mul_i32 s14, s1, s14
	buffer_store_dword v43, off, s[36:39], 0 offset:28 ; 4-byte Folded Spill
	buffer_store_dword v100, off, s[36:39], 0 offset:32 ; 4-byte Folded Spill
	s_xor_b32 exec_lo, exec_lo, s35
	s_cbranch_execz .LBB43_13
; %bb.8:
	s_load_dwordx2 s[2:3], s[4:5], 0x20
	v_bfe_u32 v97, v43, 1, 4
	v_xor_b32_e32 v26, 1, v0
	s_ashr_i32 s15, s14, 31
	v_and_b32_e32 v25, 8, v1
	s_lshl_b64 s[4:5], s[14:15], 2
	v_lshlrev_b32_e32 v27, 4, v97
	v_cmp_gt_i32_e32 vcc_lo, 32, v26
	v_mul_u32_u24_e32 v93, 0x180, v41
	v_lshlrev_b32_e32 v98, 2, v97
	v_lshlrev_b32_e32 v99, 4, v100
	buffer_store_dword v12, off, s[36:39], 0 offset:8 ; 4-byte Folded Spill
	v_cndmask_b32_e32 v42, v0, v26, vcc_lo
	ds_read_b128 v[1:4], v93
	ds_read_b128 v[5:8], v93 offset:16
	ds_read_b128 v[9:12], v93 offset:32
	;; [unrolled: 1-line block ×5, first 2 shown]
	v_lshl_or_b32 v100, v100, 6, v98
	v_add3_u32 v108, s33, v99, v97
	v_lshlrev_b64 v[97:98], 2, v[101:102]
	v_lshlrev_b32_e32 v106, 2, v42
	v_mov_b32_e32 v127, 0
	v_mov_b32_e32 v103, 32
	s_waitcnt lgkmcnt(0)
	s_add_u32 s1, s2, s4
	s_addc_u32 s2, s3, s5
	v_add_co_u32 v27, s1, s1, v27
	v_add_co_ci_u32_e64 v28, null, s2, 0, s1
	s_lshl_b64 s[2:3], s[26:27], 2
	v_add_co_u32 v104, vcc_lo, v27, v25
	v_add_co_ci_u32_e64 v105, null, 0, v28, vcc_lo
	ds_read_b128 v[25:28], v93 offset:96
	ds_read_b128 v[29:32], v93 offset:112
	;; [unrolled: 1-line block ×4, first 2 shown]
	v_cmp_eq_u32_e32 vcc_lo, 0, v41
	ds_read_b128 v[41:44], v93 offset:160
	ds_read_b128 v[45:48], v93 offset:176
	;; [unrolled: 1-line block ×14, first 2 shown]
	buffer_store_dword v101, off, s[36:39], 0 ; 4-byte Folded Spill
	buffer_store_dword v102, off, s[36:39], 0 offset:4 ; 4-byte Folded Spill
	s_sub_i32 s4, 1, s23
	s_add_u32 s2, s24, s2
	s_addc_u32 s3, s25, s3
	v_add_co_u32 v97, s2, s2, v97
	v_cmp_neq_f32_e64 s1, s34, 0
	v_add_nc_u32_e32 v109, 0x320, v100
	v_add_co_ci_u32_e64 v98, null, s3, v98, s2
	v_mov_b32_e32 v107, 0xff7fffff
	s_mov_b32 s15, s13
	s_mov_b32 s5, 0
	v_mov_b32_e32 v110, v101
	s_branch .LBB43_10
.LBB43_9:                               ;   in Loop: Header=BB43_10 Depth=1
	s_or_b32 exec_lo, exec_lo, s3
	v_add_nc_u32_e32 v110, 4, v110
	v_add_co_u32 v97, s3, v97, 16
	v_add_nc_u32_e32 v108, 64, v108
	v_add_nc_u32_e32 v109, 0x100, v109
	v_cmp_le_i32_e64 s2, s11, v110
	v_add_co_ci_u32_e64 v98, null, 0, v98, s3
	s_or_b32 s5, s2, s5
	s_andn2_b32 exec_lo, exec_lo, s5
	s_cbranch_execz .LBB43_12
.LBB43_10:                              ; =>This Inner Loop Header: Depth=1
	global_load_dword v99, v[97:98], off
	s_waitcnt vmcnt(0) lgkmcnt(0)
	v_mad_i64_i32 v[99:100], null, v99, s15, 0
	v_lshlrev_b64 v[99:100], 2, v[99:100]
	v_add_co_u32 v99, s2, v104, v99
	v_add_co_ci_u32_e64 v100, null, v105, v100, s2
	s_clause 0x3
	global_load_dwordx2 v[111:112], v[99:100], off offset:256
	global_load_dwordx2 v[113:114], v[99:100], off offset:512
	;; [unrolled: 1-line block ×3, first 2 shown]
	global_load_dwordx2 v[117:118], v[99:100], off
	s_waitcnt vmcnt(3)
	v_mul_f32_e32 v111, v3, v111
	v_mul_f32_e32 v112, v4, v112
	s_waitcnt vmcnt(0)
	v_fmac_f32_e32 v111, v1, v117
	v_fmac_f32_e32 v112, v2, v118
	;; [unrolled: 1-line block ×6, first 2 shown]
	s_clause 0x3
	global_load_dwordx2 v[113:114], v[99:100], off offset:1024
	global_load_dwordx2 v[115:116], v[99:100], off offset:1280
	;; [unrolled: 1-line block ×4, first 2 shown]
	s_waitcnt vmcnt(3)
	v_fmac_f32_e32 v111, v9, v113
	v_fmac_f32_e32 v112, v10, v114
	v_add_co_u32 v113, s2, v99, 0x1000
	v_add_co_ci_u32_e64 v114, null, 0, v100, s2
	s_waitcnt vmcnt(2)
	v_fmac_f32_e32 v111, v11, v115
	v_fmac_f32_e32 v112, v12, v116
	v_add_co_u32 v115, s2, v99, 0x2000
	v_add_co_ci_u32_e64 v116, null, 0, v100, s2
	s_waitcnt vmcnt(1)
	v_fmac_f32_e32 v111, v13, v117
	v_fmac_f32_e32 v112, v14, v118
	s_waitcnt vmcnt(0)
	v_fmac_f32_e32 v111, v15, v119
	v_fmac_f32_e32 v112, v16, v120
	s_clause 0x3
	global_load_dwordx2 v[117:118], v[113:114], off offset:-2048
	global_load_dwordx2 v[113:114], v[113:114], off
	global_load_dwordx2 v[119:120], v[115:116], off offset:-2048
	global_load_dwordx2 v[115:116], v[115:116], off
	s_waitcnt vmcnt(3)
	v_fmac_f32_e32 v111, v17, v117
	v_add_co_u32 v117, s2, 0x800, v99
	v_fmac_f32_e32 v112, v18, v118
	v_add_co_ci_u32_e64 v118, null, 0, v100, s2
	s_clause 0x3
	global_load_dwordx2 v[121:122], v[117:118], off offset:256
	global_load_dwordx2 v[123:124], v[117:118], off offset:512
	;; [unrolled: 1-line block ×4, first 2 shown]
	s_waitcnt vmcnt(3)
	v_fmac_f32_e32 v111, v19, v121
	v_fmac_f32_e32 v112, v20, v122
	s_waitcnt vmcnt(2)
	v_fmac_f32_e32 v111, v21, v123
	v_fmac_f32_e32 v112, v22, v124
	v_add_co_u32 v123, s2, 0x1000, v99
	v_add_co_ci_u32_e64 v124, null, 0, v100, s2
	s_waitcnt vmcnt(1)
	v_fmac_f32_e32 v111, v23, v125
	v_fmac_f32_e32 v112, v24, v126
	s_waitcnt vmcnt(0) lgkmcnt(17)
	v_fmac_f32_e32 v111, v25, v101
	v_fmac_f32_e32 v112, v26, v102
	s_clause 0x3
	global_load_dwordx2 v[101:102], v[117:118], off offset:1280
	global_load_dwordx2 v[121:122], v[117:118], off offset:1536
	;; [unrolled: 1-line block ×4, first 2 shown]
	s_waitcnt vmcnt(3)
	v_fmac_f32_e32 v111, v27, v101
	v_fmac_f32_e32 v112, v28, v102
	s_waitcnt vmcnt(2) lgkmcnt(16)
	v_fmac_f32_e32 v111, v29, v121
	v_fmac_f32_e32 v112, v30, v122
	s_waitcnt vmcnt(1)
	v_fmac_f32_e32 v111, v31, v117
	v_fmac_f32_e32 v112, v32, v118
	s_waitcnt lgkmcnt(15)
	v_fmac_f32_e32 v111, v33, v113
	v_fmac_f32_e32 v112, v34, v114
	s_clause 0x3
	global_load_dwordx2 v[101:102], v[123:124], off offset:512
	global_load_dwordx2 v[113:114], v[123:124], off offset:768
	;; [unrolled: 1-line block ×4, first 2 shown]
	s_waitcnt vmcnt(4)
	v_fmac_f32_e32 v111, v35, v125
	v_fmac_f32_e32 v112, v36, v126
	s_waitcnt vmcnt(3) lgkmcnt(14)
	v_fmac_f32_e32 v111, v37, v101
	v_fmac_f32_e32 v112, v38, v102
	s_waitcnt vmcnt(2)
	v_fmac_f32_e32 v111, v39, v113
	v_fmac_f32_e32 v112, v40, v114
	s_clause 0x1
	global_load_dwordx2 v[101:102], v[123:124], off offset:1536
	global_load_dwordx2 v[113:114], v[123:124], off offset:1792
	s_waitcnt vmcnt(3) lgkmcnt(13)
	v_fmac_f32_e32 v111, v41, v117
	v_add_co_u32 v117, s2, 0x1800, v99
	v_fmac_f32_e32 v112, v42, v118
	v_add_co_ci_u32_e64 v118, null, 0, v100, s2
	s_waitcnt vmcnt(2)
	v_fmac_f32_e32 v111, v43, v121
	v_fmac_f32_e32 v112, v44, v122
	s_clause 0x1
	global_load_dwordx2 v[121:122], v[117:118], off offset:256
	global_load_dwordx2 v[123:124], v[117:118], off offset:512
	s_waitcnt vmcnt(3) lgkmcnt(12)
	v_fmac_f32_e32 v111, v45, v101
	v_fmac_f32_e32 v112, v46, v102
	s_waitcnt vmcnt(2)
	v_fmac_f32_e32 v111, v47, v113
	v_fmac_f32_e32 v112, v48, v114
	s_waitcnt lgkmcnt(11)
	v_fmac_f32_e32 v111, v49, v119
	v_fmac_f32_e32 v112, v50, v120
	s_waitcnt vmcnt(1)
	v_fmac_f32_e32 v111, v51, v121
	v_fmac_f32_e32 v112, v52, v122
	s_clause 0x3
	global_load_dwordx2 v[101:102], v[117:118], off offset:768
	global_load_dwordx2 v[113:114], v[117:118], off offset:1024
	;; [unrolled: 1-line block ×4, first 2 shown]
	s_waitcnt vmcnt(4) lgkmcnt(10)
	v_fmac_f32_e32 v111, v53, v123
	v_fmac_f32_e32 v112, v54, v124
	s_waitcnt vmcnt(3)
	v_fmac_f32_e32 v111, v55, v101
	v_fmac_f32_e32 v112, v56, v102
	global_load_dwordx2 v[101:102], v[117:118], off offset:1792
	s_waitcnt vmcnt(3) lgkmcnt(9)
	v_fmac_f32_e32 v111, v57, v113
	v_fmac_f32_e32 v112, v58, v114
	v_add_co_u32 v113, s2, 0x2000, v99
	v_add_co_ci_u32_e64 v114, null, 0, v100, s2
	s_waitcnt vmcnt(2)
	v_fmac_f32_e32 v111, v59, v119
	v_fmac_f32_e32 v112, v60, v120
	v_add_co_u32 v99, s2, 0x2800, v99
	v_add_co_ci_u32_e64 v100, null, 0, v100, s2
	s_waitcnt vmcnt(1) lgkmcnt(8)
	v_fmac_f32_e32 v111, v61, v121
	v_fmac_f32_e32 v112, v62, v122
	s_clause 0x2
	global_load_dwordx2 v[117:118], v[113:114], off offset:256
	global_load_dwordx2 v[119:120], v[113:114], off offset:512
	;; [unrolled: 1-line block ×3, first 2 shown]
	s_waitcnt vmcnt(3)
	v_fmac_f32_e32 v111, v63, v101
	v_fmac_f32_e32 v112, v64, v102
	s_waitcnt lgkmcnt(7)
	v_fmac_f32_e32 v111, v65, v115
	v_fmac_f32_e32 v112, v66, v116
	s_waitcnt vmcnt(2)
	v_fmac_f32_e32 v111, v67, v117
	v_fmac_f32_e32 v112, v68, v118
	s_clause 0x3
	global_load_dwordx2 v[101:102], v[113:114], off offset:1024
	global_load_dwordx2 v[115:116], v[113:114], off offset:1280
	;; [unrolled: 1-line block ×4, first 2 shown]
	s_waitcnt vmcnt(5) lgkmcnt(6)
	v_fmac_f32_e32 v111, v69, v119
	v_fmac_f32_e32 v112, v70, v120
	s_waitcnt vmcnt(4)
	v_fmac_f32_e32 v111, v71, v121
	v_fmac_f32_e32 v112, v72, v122
	s_waitcnt vmcnt(3) lgkmcnt(5)
	v_fmac_f32_e32 v111, v73, v101
	v_fmac_f32_e32 v112, v74, v102
	s_waitcnt vmcnt(2)
	v_fmac_f32_e32 v111, v75, v115
	v_fmac_f32_e32 v112, v76, v116
	;; [unrolled: 6-line block ×3, first 2 shown]
	s_clause 0x3
	global_load_dwordx2 v[101:102], v[99:100], off
	global_load_dwordx2 v[113:114], v[99:100], off offset:256
	global_load_dwordx2 v[115:116], v[99:100], off offset:512
	;; [unrolled: 1-line block ×3, first 2 shown]
	s_waitcnt vmcnt(3) lgkmcnt(3)
	v_fmac_f32_e32 v111, v81, v101
	v_fmac_f32_e32 v112, v82, v102
	s_waitcnt vmcnt(2)
	v_fmac_f32_e32 v111, v83, v113
	v_fmac_f32_e32 v112, v84, v114
	s_waitcnt vmcnt(1) lgkmcnt(2)
	v_fmac_f32_e32 v111, v85, v115
	v_fmac_f32_e32 v112, v86, v116
	s_clause 0x3
	global_load_dwordx2 v[101:102], v[99:100], off offset:1024
	global_load_dwordx2 v[113:114], v[99:100], off offset:1280
	;; [unrolled: 1-line block ×4, first 2 shown]
	s_waitcnt vmcnt(4)
	v_fmac_f32_e32 v111, v87, v117
	v_fmac_f32_e32 v112, v88, v118
	s_waitcnt vmcnt(3) lgkmcnt(1)
	v_fmac_f32_e32 v111, v89, v101
	v_fmac_f32_e32 v112, v90, v102
	s_waitcnt vmcnt(2)
	v_fmac_f32_e32 v111, v91, v113
	v_fmac_f32_e32 v112, v92, v114
	s_waitcnt vmcnt(1) lgkmcnt(0)
	v_fmac_f32_e32 v111, v93, v115
	v_fmac_f32_e32 v112, v94, v116
	s_waitcnt vmcnt(0)
	v_fmac_f32_e32 v111, v95, v99
	v_fmac_f32_e32 v112, v96, v100
	v_add_f32_e32 v99, v111, v112
	ds_bpermute_b32 v100, v106, v99
	s_and_saveexec_b32 s3, vcc_lo
	s_cbranch_execz .LBB43_9
; %bb.11:                               ;   in Loop: Header=BB43_10 Depth=1
	v_add_nc_u32_e32 v101, s4, v108
	s_waitcnt lgkmcnt(0)
	v_add_f32_e32 v99, v99, v100
	v_cmp_gt_i32_e64 s2, s23, v108
	v_cvt_f32_i32_e32 v101, v101
	v_mul_f32_e32 v101, s34, v101
	v_cndmask_b32_e64 v100, 0, v101, s1
	v_max_f32_e32 v101, v107, v107
	v_fmac_f32_e32 v100, s31, v99
	v_max_f32_e32 v99, v101, v100
	v_cndmask_b32_e64 v100, 0, v100, s2
	v_cndmask_b32_e64 v107, v107, v99, s2
	ds_write_b32 v109, v100
	s_branch .LBB43_9
.LBB43_12:
	s_or_b32 exec_lo, exec_lo, s5
	buffer_load_dword v43, off, s[36:39], 0 offset:28 ; 4-byte Folded Reload
	s_waitcnt lgkmcnt(0)
	s_clause 0x3
	buffer_load_dword v100, off, s[36:39], 0 offset:32
	buffer_load_dword v101, off, s[36:39], 0
	buffer_load_dword v102, off, s[36:39], 0 offset:4
	buffer_load_dword v12, off, s[36:39], 0 offset:8
.LBB43_13:
	s_or_b32 exec_lo, exec_lo, s35
	v_xor_b32_e32 v1, 16, v0
	v_xor_b32_e32 v3, 8, v0
	v_max_f32_e32 v5, v107, v107
	v_xor_b32_e32 v6, 2, v0
	s_waitcnt vmcnt(4)
	v_and_b32_e32 v44, 31, v43
	v_cmp_lt_i32_e32 vcc_lo, v1, v103
	v_cndmask_b32_e32 v1, v0, v1, vcc_lo
	v_cmp_lt_i32_e32 vcc_lo, v3, v103
	v_lshlrev_b32_e32 v2, 2, v1
	v_cndmask_b32_e32 v3, v0, v3, vcc_lo
	ds_bpermute_b32 v1, v2, v107
	v_lshlrev_b32_e32 v4, 2, v3
	s_waitcnt lgkmcnt(0)
	v_max_f32_e32 v1, v1, v1
	v_max_f32_e32 v1, v5, v1
	v_xor_b32_e32 v5, 4, v0
	ds_bpermute_b32 v3, v4, v1
	v_cmp_lt_i32_e32 vcc_lo, v5, v103
	v_cndmask_b32_e32 v5, v0, v5, vcc_lo
	v_cmp_lt_i32_e32 vcc_lo, v6, v103
	v_lshlrev_b32_e32 v5, 2, v5
	v_cndmask_b32_e32 v6, v0, v6, vcc_lo
	v_cmp_eq_u32_e32 vcc_lo, 0, v44
	v_lshlrev_b32_e32 v31, 2, v6
	s_waitcnt vmcnt(3)
	v_lshlrev_b32_e32 v6, 2, v100
	s_waitcnt lgkmcnt(0)
	v_max_f32_e32 v3, v3, v3
	v_max_f32_e32 v1, v1, v3
	ds_bpermute_b32 v3, v5, v1
	s_waitcnt lgkmcnt(0)
	v_max_f32_e32 v3, v3, v3
	v_max_f32_e32 v1, v1, v3
	ds_bpermute_b32 v3, v31, v1
	s_and_saveexec_b32 s1, vcc_lo
	s_cbranch_execz .LBB43_15
; %bb.14:
	s_waitcnt lgkmcnt(0)
	v_max_f32_e32 v3, v3, v3
	v_max_f32_e32 v1, v1, v1
	;; [unrolled: 1-line block ×3, first 2 shown]
	ds_write_b32 v6, v1 offset:768
.LBB43_15:
	s_or_b32 exec_lo, exec_lo, s1
	v_cmp_gt_u32_e64 s1, 4, v44
	v_mov_b32_e32 v1, 0xff7fffff
	v_lshlrev_b32_e32 v7, 2, v44
	s_waitcnt vmcnt(0) lgkmcnt(0)
	s_waitcnt_vscnt null, 0x0
	s_barrier
	buffer_gl0_inv
	s_and_saveexec_b32 s2, s1
; %bb.16:
	ds_read_b32 v1, v7 offset:768
; %bb.17:
	s_or_b32 exec_lo, exec_lo, s2
	s_waitcnt lgkmcnt(0)
	ds_bpermute_b32 v3, v31, v1
	v_xor_b32_e32 v8, 1, v0
	v_max_f32_e32 v1, v1, v1
	v_cmp_lt_i32_e64 s2, v8, v103
	v_cndmask_b32_e64 v8, v0, v8, s2
	s_sub_i32 s2, s11, s30
	s_lshl_b32 s2, s2, 4
	v_lshlrev_b32_e32 v45, 2, v8
	s_add_i32 s2, s2, s33
	v_mov_b32_e32 v8, 0
	s_min_i32 s2, s2, s23
	s_waitcnt lgkmcnt(0)
	v_max_f32_e32 v3, v3, v3
	s_sub_i32 s4, s2, s33
	v_cmp_gt_i32_e64 s2, s4, v43
	v_max_f32_e32 v1, v1, v3
	ds_bpermute_b32 v3, v45, v1
	s_waitcnt lgkmcnt(0)
	v_max_f32_e32 v3, v3, v3
	v_max_f32_e32 v1, v1, v3
	v_lshlrev_b32_e32 v3, 2, v127
	ds_bpermute_b32 v1, v3, v1
	v_lshl_add_u32 v3, v43, 2, 0x320
	s_and_saveexec_b32 s5, s2
	s_cbranch_execz .LBB43_21
; %bb.18:
	v_lshl_add_u32 v9, v43, 2, 0x320
	v_mov_b32_e32 v8, 0
	v_mov_b32_e32 v10, v43
	s_mov_b32 s15, 0
	.p2align	6
.LBB43_19:                              ; =>This Inner Loop Header: Depth=1
	ds_read_b32 v11, v9
	v_add_nc_u32_e32 v10, 0x80, v10
	v_cmp_le_i32_e64 s3, s4, v10
	s_or_b32 s15, s3, s15
	s_waitcnt lgkmcnt(0)
	v_sub_f32_e32 v11, v11, v1
	v_mul_f32_e32 v11, 0x3fb8aa3b, v11
	v_exp_f32_e32 v11, v11
	ds_write_b32 v9, v11
	v_add_f32_e32 v8, v8, v11
	v_add_nc_u32_e32 v9, 0x200, v9
	s_andn2_b32 exec_lo, exec_lo, s15
	s_cbranch_execnz .LBB43_19
; %bb.20:
	s_or_b32 exec_lo, exec_lo, s15
.LBB43_21:
	s_or_b32 exec_lo, exec_lo, s5
	ds_bpermute_b32 v2, v2, v8
	s_waitcnt lgkmcnt(0)
	v_add_f32_e32 v2, v8, v2
	ds_bpermute_b32 v4, v4, v2
	s_waitcnt lgkmcnt(0)
	v_add_f32_e32 v2, v2, v4
	;; [unrolled: 3-line block ×5, first 2 shown]
	s_and_saveexec_b32 s3, vcc_lo
; %bb.22:
	ds_write_b32 v6, v2 offset:784
; %bb.23:
	s_or_b32 exec_lo, exec_lo, s3
	s_waitcnt lgkmcnt(0)
	s_barrier
	buffer_gl0_inv
	s_and_saveexec_b32 s3, s1
; %bb.24:
	ds_read_b32 v2, v7 offset:784
; %bb.25:
	s_or_b32 exec_lo, exec_lo, s3
	s_waitcnt lgkmcnt(0)
	ds_bpermute_b32 v4, v31, v2
	v_lshlrev_b32_e32 v0, 2, v0
	v_and_b32_e32 v0, 0xffffff80, v0
	s_waitcnt lgkmcnt(0)
	v_add_f32_e32 v2, v2, v4
	ds_bpermute_b32 v4, v45, v2
	s_waitcnt lgkmcnt(0)
	v_add_f32_e32 v2, v2, v4
	ds_bpermute_b32 v0, v0, v2
	s_and_saveexec_b32 s1, s2
	s_cbranch_execz .LBB43_28
; %bb.26:
	s_waitcnt lgkmcnt(0)
	v_add_f32_e32 v2, 0x358637bd, v0
	s_mov_b32 s2, 0
	v_div_scale_f32 v4, null, v2, v2, 1.0
	v_div_scale_f32 v7, vcc_lo, 1.0, v2, 1.0
	v_rcp_f32_e32 v5, v4
	v_fma_f32 v6, -v4, v5, 1.0
	v_fmac_f32_e32 v5, v6, v5
	v_mul_f32_e32 v6, v7, v5
	v_fma_f32 v8, -v4, v6, v7
	v_fmac_f32_e32 v6, v8, v5
	v_fma_f32 v4, -v4, v6, v7
	v_div_fmas_f32 v4, v4, v5, v6
	v_div_fixup_f32 v2, v4, v2, 1.0
	v_mov_b32_e32 v4, v43
.LBB43_27:                              ; =>This Inner Loop Header: Depth=1
	ds_read_b32 v5, v3
	v_add_nc_u32_e32 v4, 0x80, v4
	v_cmp_le_i32_e32 vcc_lo, s4, v4
	s_or_b32 s2, vcc_lo, s2
	s_waitcnt lgkmcnt(0)
	v_mul_f32_e32 v5, v2, v5
	ds_write_b32 v3, v5
	v_add_nc_u32_e32 v3, 0x200, v3
	s_andn2_b32 exec_lo, exec_lo, s2
	s_cbranch_execnz .LBB43_27
.LBB43_28:
	s_or_b32 exec_lo, exec_lo, s1
	s_mul_i32 s1, s7, s22
	s_waitcnt lgkmcnt(0)
	s_mul_i32 s2, s1, s9
	s_mov_b32 s1, exec_lo
	s_barrier
	buffer_gl0_inv
	v_cmpx_eq_u32_e32 0, v43
	s_cbranch_execz .LBB43_30
; %bb.29:
	s_ashr_i32 s3, s2, 31
	s_mul_i32 s30, s7, s6
	s_lshl_b64 s[4:5], s[2:3], 2
	v_mov_b32_e32 v2, 0
	s_add_u32 s3, s18, s4
	s_addc_u32 s6, s19, s5
	s_ashr_i32 s31, s30, 31
	s_lshl_b64 s[18:19], s[30:31], 2
	s_add_u32 s3, s3, s18
	s_addc_u32 s6, s6, s19
	s_ashr_i32 s9, s8, 31
	s_lshl_b64 s[30:31], s[8:9], 2
	s_add_u32 s34, s3, s30
	s_addc_u32 s35, s6, s31
	s_add_u32 s3, s16, s4
	s_addc_u32 s4, s17, s5
	;; [unrolled: 2-line block ×4, first 2 shown]
	global_store_dword v2, v1, s[34:35]
	global_store_dword v2, v0, s[4:5]
.LBB43_30:
	s_or_b32 exec_lo, exec_lo, s1
	v_mov_b32_e32 v5, 0
	v_and_b32_e32 v46, 3, v43
	v_mov_b32_e32 v112, 0
	v_mov_b32_e32 v0, 0
	;; [unrolled: 1-line block ×23, first 2 shown]
	s_and_saveexec_b32 s1, s0
	s_cbranch_execz .LBB43_82
; %bb.31:
	v_lshlrev_b32_e32 v1, 4, v43
	s_ashr_i32 s15, s14, 31
	buffer_store_dword v45, off, s[36:39], 0 offset:44 ; 4-byte Folded Spill
	buffer_store_dword v31, off, s[36:39], 0 offset:40 ; 4-byte Folded Spill
	;; [unrolled: 1-line block ×3, first 2 shown]
	s_lshl_b64 s[4:5], s[14:15], 2
	v_and_b32_e32 v0, 12, v12
	v_and_b32_e32 v1, 0x1f0, v1
	s_add_u32 s0, s28, s4
	s_addc_u32 s4, s29, s5
	v_lshl_add_u32 v3, v100, 4, s33
	v_lshlrev_b32_e32 v2, 4, v46
	v_add_co_u32 v1, s0, s0, v1
	s_add_i32 s3, s12, -1
	v_add3_u32 v106, v3, v0, 3
	v_lshl_or_b32 v2, v100, 6, v2
	buffer_store_dword v1, off, s[36:39], 0 offset:20 ; 4-byte Folded Spill
	v_add_co_ci_u32_e64 v1, null, s4, 0, s0
	s_lshl_b64 s[4:5], s[26:27], 2
	v_mov_b32_e32 v42, 0
	s_add_u32 s0, s24, s4
	buffer_store_dword v1, off, s[36:39], 0 offset:24 ; 4-byte Folded Spill
	v_lshlrev_b64 v[0:1], 2, v[101:102]
	s_addc_u32 s4, s25, s5
	v_mov_b32_e32 v9, v101
	v_add_nc_u32_e32 v101, 0x320, v2
	v_mov_b32_e32 v113, 0
	v_mov_b32_e32 v114, 0
	v_add_co_u32 v102, vcc_lo, s0, v0
	v_mov_b32_e32 v0, 0
	v_add_co_ci_u32_e64 v103, null, s4, v1, vcc_lo
	v_mov_b32_e32 v115, 0
	v_mov_b32_e32 v116, 0
	buffer_store_dword v0, off, s[36:39], 0 offset:8 ; 4-byte Folded Spill
	v_mov_b32_e32 v117, 0
	v_mov_b32_e32 v118, 0
	;; [unrolled: 1-line block ×18, first 2 shown]
	s_mov_b32 s5, s13
	s_mov_b32 s4, 0
	buffer_store_dword v46, off, s[36:39], 0 offset:48 ; 4-byte Folded Spill
	s_branch .LBB43_33
.LBB43_32:                              ;   in Loop: Header=BB43_33 Depth=1
	s_or_b32 exec_lo, exec_lo, s0
	s_waitcnt vmcnt(1) lgkmcnt(0)
	v_mul_f32_e32 v97, v1, v97
	v_mul_f32_e32 v9, v1, v9
	v_mul_f32_e32 v41, v1, v41
	v_mul_f32_e32 v5, v1, v5
	v_mul_f32_e32 v93, v1, v93
	v_fmac_f32_e32 v97, v2, v98
	buffer_load_dword v98, off, s[36:39], 0 offset:8 ; 4-byte Folded Reload
	v_fmac_f32_e32 v9, v2, v10
	v_fmac_f32_e32 v41, v2, v42
	;; [unrolled: 1-line block ×4, first 2 shown]
	s_clause 0x1
	buffer_load_dword v6, off, s[36:39], 0 offset:16
	buffer_load_dword v42, off, s[36:39], 0 offset:12
	v_fmac_f32_e32 v9, v3, v11
	v_mul_f32_e32 v89, v1, v89
	v_fmac_f32_e32 v97, v4, v100
	v_mul_f32_e32 v85, v1, v85
	v_mul_f32_e32 v81, v1, v81
	v_fmac_f32_e32 v9, v4, v12
	v_mul_f32_e32 v77, v1, v77
	v_mul_f32_e32 v73, v1, v73
	;; [unrolled: 1-line block ×4, first 2 shown]
	v_add_f32_e32 v112, v112, v9
	v_mul_f32_e32 v57, v1, v57
	v_mul_f32_e32 v53, v1, v53
	;; [unrolled: 1-line block ×11, first 2 shown]
	s_waitcnt vmcnt(3)
	v_mul_f32_e32 v1, v1, v69
	v_fmac_f32_e32 v93, v2, v94
	v_fmac_f32_e32 v89, v2, v90
	;; [unrolled: 1-line block ×64, first 2 shown]
	v_add_co_u32 v102, vcc_lo, v102, 16
	v_add_co_ci_u32_e64 v103, null, 0, v103, vcc_lo
	v_add_f32_e32 v113, v113, v93
	v_add_f32_e32 v114, v114, v89
	;; [unrolled: 1-line block ×20, first 2 shown]
	v_add_nc_u32_e32 v106, 64, v106
	v_add_nc_u32_e32 v101, 0x100, v101
	s_waitcnt vmcnt(2)
	v_add_f32_e32 v98, v98, v97
	s_waitcnt vmcnt(1)
	v_add_f32_e32 v5, v6, v5
	buffer_store_dword v98, off, s[36:39], 0 offset:8 ; 4-byte Folded Spill
	s_clause 0x1
	buffer_load_dword v9, off, s[36:39], 0
	buffer_load_dword v10, off, s[36:39], 0 offset:4
	s_waitcnt vmcnt(2)
	v_add_f32_e32 v42, v42, v1
	s_waitcnt vmcnt(1)
	v_add_nc_u32_e32 v9, 4, v9
	v_cmp_le_i32_e32 vcc_lo, s11, v9
	s_or_b32 s4, vcc_lo, s4
	s_andn2_b32 exec_lo, exec_lo, s4
	s_cbranch_execz .LBB43_81
.LBB43_33:                              ; =>This Inner Loop Header: Depth=1
	buffer_store_dword v5, off, s[36:39], 0 offset:16 ; 4-byte Folded Spill
	buffer_store_dword v42, off, s[36:39], 0 offset:12 ; 4-byte Folded Spill
	global_load_dword v1, v[102:103], off
	buffer_load_dword v3, off, s[36:39], 0 offset:20 ; 4-byte Folded Reload
	v_add_nc_u32_e32 v109, -3, v106
	s_waitcnt vmcnt(2)
	v_mov_b32_e32 v10, v9
	v_add_nc_u32_e32 v111, -2, v106
	v_add_nc_u32_e32 v110, -1, v106
	s_waitcnt vmcnt(1)
	v_mad_i64_i32 v[1:2], null, v1, s5, 0
	v_lshlrev_b64 v[1:2], 2, v[1:2]
	s_waitcnt vmcnt(0)
	v_add_co_u32 v69, vcc_lo, v3, v1
	buffer_load_dword v1, off, s[36:39], 0 offset:24 ; 4-byte Folded Reload
	s_waitcnt vmcnt(0)
	v_add_co_ci_u32_e64 v70, null, v1, v2, vcc_lo
	ds_read_b128 v[1:4], v101
	v_cmp_eq_u32_e32 vcc_lo, s3, v9
	global_load_dwordx4 v[5:8], v[69:70], off
	buffer_store_dword v10, off, s[36:39], 0 ; 4-byte Folded Spill
	buffer_store_dword v11, off, s[36:39], 0 offset:4 ; 4-byte Folded Spill
	s_and_saveexec_b32 s6, vcc_lo
	s_cbranch_execnz .LBB43_62
; %bb.34:                               ;   in Loop: Header=BB43_33 Depth=1
	s_or_b32 exec_lo, exec_lo, s6
	global_load_dwordx4 v[9:12], v[69:70], off offset:512
	s_and_saveexec_b32 s6, vcc_lo
	s_cbranch_execnz .LBB43_63
.LBB43_35:                              ;   in Loop: Header=BB43_33 Depth=1
	s_or_b32 exec_lo, exec_lo, s6
	global_load_dwordx4 v[13:16], v[69:70], off offset:1024
	s_and_saveexec_b32 s6, vcc_lo
	s_cbranch_execnz .LBB43_64
.LBB43_36:                              ;   in Loop: Header=BB43_33 Depth=1
	s_or_b32 exec_lo, exec_lo, s6
	global_load_dwordx4 v[17:20], v[69:70], off offset:1536
	s_and_saveexec_b32 s6, vcc_lo
	s_cbranch_execz .LBB43_38
.LBB43_37:                              ;   in Loop: Header=BB43_33 Depth=1
	v_cmp_gt_i32_e64 s0, s23, v109
	s_waitcnt vmcnt(0)
	v_cndmask_b32_e64 v17, 0, v17, s0
	v_cmp_gt_i32_e64 s0, s23, v111
	v_cndmask_b32_e64 v18, 0, v18, s0
	v_cmp_gt_i32_e64 s0, s23, v110
	;; [unrolled: 2-line block ×3, first 2 shown]
	v_cndmask_b32_e64 v20, 0, v20, s0
.LBB43_38:                              ;   in Loop: Header=BB43_33 Depth=1
	s_or_b32 exec_lo, exec_lo, s6
	v_add_co_u32 v33, s0, 0x800, v69
	v_add_co_ci_u32_e64 v34, null, 0, v70, s0
	global_load_dwordx4 v[21:24], v[33:34], off
	s_and_saveexec_b32 s6, vcc_lo
	s_cbranch_execnz .LBB43_65
; %bb.39:                               ;   in Loop: Header=BB43_33 Depth=1
	s_or_b32 exec_lo, exec_lo, s6
	global_load_dwordx4 v[25:28], v[33:34], off offset:512
	s_and_saveexec_b32 s6, vcc_lo
	s_cbranch_execnz .LBB43_66
.LBB43_40:                              ;   in Loop: Header=BB43_33 Depth=1
	s_or_b32 exec_lo, exec_lo, s6
	global_load_dwordx4 v[29:32], v[33:34], off offset:1024
	s_and_saveexec_b32 s6, vcc_lo
	s_cbranch_execnz .LBB43_67
.LBB43_41:                              ;   in Loop: Header=BB43_33 Depth=1
	s_or_b32 exec_lo, exec_lo, s6
	global_load_dwordx4 v[33:36], v[33:34], off offset:1536
	s_and_saveexec_b32 s6, vcc_lo
	s_cbranch_execz .LBB43_43
.LBB43_42:                              ;   in Loop: Header=BB43_33 Depth=1
	v_cmp_gt_i32_e64 s0, s23, v109
	s_waitcnt vmcnt(0)
	v_cndmask_b32_e64 v33, 0, v33, s0
	v_cmp_gt_i32_e64 s0, s23, v111
	v_cndmask_b32_e64 v34, 0, v34, s0
	v_cmp_gt_i32_e64 s0, s23, v110
	;; [unrolled: 2-line block ×3, first 2 shown]
	v_cndmask_b32_e64 v36, 0, v36, s0
.LBB43_43:                              ;   in Loop: Header=BB43_33 Depth=1
	s_or_b32 exec_lo, exec_lo, s6
	v_add_co_u32 v49, s0, 0x1000, v69
	v_add_co_ci_u32_e64 v50, null, 0, v70, s0
	global_load_dwordx4 v[37:40], v[49:50], off
	s_and_saveexec_b32 s6, vcc_lo
	s_cbranch_execnz .LBB43_68
; %bb.44:                               ;   in Loop: Header=BB43_33 Depth=1
	s_or_b32 exec_lo, exec_lo, s6
	global_load_dwordx4 v[41:44], v[49:50], off offset:512
	s_and_saveexec_b32 s6, vcc_lo
	s_cbranch_execnz .LBB43_69
.LBB43_45:                              ;   in Loop: Header=BB43_33 Depth=1
	s_or_b32 exec_lo, exec_lo, s6
	global_load_dwordx4 v[45:48], v[49:50], off offset:1024
	s_and_saveexec_b32 s6, vcc_lo
	s_cbranch_execnz .LBB43_70
.LBB43_46:                              ;   in Loop: Header=BB43_33 Depth=1
	s_or_b32 exec_lo, exec_lo, s6
	global_load_dwordx4 v[49:52], v[49:50], off offset:1536
	s_and_saveexec_b32 s6, vcc_lo
	s_cbranch_execz .LBB43_48
.LBB43_47:                              ;   in Loop: Header=BB43_33 Depth=1
	v_cmp_gt_i32_e64 s0, s23, v109
	s_waitcnt vmcnt(0)
	v_cndmask_b32_e64 v49, 0, v49, s0
	v_cmp_gt_i32_e64 s0, s23, v111
	v_cndmask_b32_e64 v50, 0, v50, s0
	v_cmp_gt_i32_e64 s0, s23, v110
	;; [unrolled: 2-line block ×3, first 2 shown]
	v_cndmask_b32_e64 v52, 0, v52, s0
.LBB43_48:                              ;   in Loop: Header=BB43_33 Depth=1
	s_or_b32 exec_lo, exec_lo, s6
	v_add_co_u32 v65, s0, 0x1800, v69
	v_add_co_ci_u32_e64 v66, null, 0, v70, s0
	global_load_dwordx4 v[53:56], v[65:66], off
	s_and_saveexec_b32 s6, vcc_lo
	s_cbranch_execnz .LBB43_71
; %bb.49:                               ;   in Loop: Header=BB43_33 Depth=1
	s_or_b32 exec_lo, exec_lo, s6
	global_load_dwordx4 v[57:60], v[65:66], off offset:512
	s_and_saveexec_b32 s6, vcc_lo
	s_cbranch_execnz .LBB43_72
.LBB43_50:                              ;   in Loop: Header=BB43_33 Depth=1
	s_or_b32 exec_lo, exec_lo, s6
	global_load_dwordx4 v[61:64], v[65:66], off offset:1024
	s_and_saveexec_b32 s6, vcc_lo
	s_cbranch_execnz .LBB43_73
.LBB43_51:                              ;   in Loop: Header=BB43_33 Depth=1
	s_or_b32 exec_lo, exec_lo, s6
	global_load_dwordx4 v[65:68], v[65:66], off offset:1536
	s_and_saveexec_b32 s6, vcc_lo
	s_cbranch_execz .LBB43_53
.LBB43_52:                              ;   in Loop: Header=BB43_33 Depth=1
	v_cmp_gt_i32_e64 s0, s23, v109
	s_waitcnt vmcnt(0)
	v_cndmask_b32_e64 v65, 0, v65, s0
	v_cmp_gt_i32_e64 s0, s23, v111
	v_cndmask_b32_e64 v66, 0, v66, s0
	v_cmp_gt_i32_e64 s0, s23, v110
	;; [unrolled: 2-line block ×3, first 2 shown]
	v_cndmask_b32_e64 v68, 0, v68, s0
.LBB43_53:                              ;   in Loop: Header=BB43_33 Depth=1
	s_or_b32 exec_lo, exec_lo, s6
	v_add_co_u32 v71, s0, 0x2000, v69
	v_add_co_ci_u32_e64 v72, null, 0, v70, s0
	global_load_dwordx4 v[73:76], v[71:72], off
	s_and_saveexec_b32 s6, vcc_lo
	s_cbranch_execnz .LBB43_74
; %bb.54:                               ;   in Loop: Header=BB43_33 Depth=1
	s_or_b32 exec_lo, exec_lo, s6
	global_load_dwordx4 v[77:80], v[71:72], off offset:512
	s_and_saveexec_b32 s6, vcc_lo
	s_cbranch_execnz .LBB43_75
.LBB43_55:                              ;   in Loop: Header=BB43_33 Depth=1
	s_or_b32 exec_lo, exec_lo, s6
	global_load_dwordx4 v[81:84], v[71:72], off offset:1024
	s_and_saveexec_b32 s6, vcc_lo
	s_cbranch_execnz .LBB43_76
.LBB43_56:                              ;   in Loop: Header=BB43_33 Depth=1
	s_or_b32 exec_lo, exec_lo, s6
	global_load_dwordx4 v[85:88], v[71:72], off offset:1536
	s_and_saveexec_b32 s6, vcc_lo
	s_cbranch_execz .LBB43_58
.LBB43_57:                              ;   in Loop: Header=BB43_33 Depth=1
	v_cmp_gt_i32_e64 s0, s23, v109
	s_waitcnt vmcnt(0)
	v_cndmask_b32_e64 v85, 0, v85, s0
	v_cmp_gt_i32_e64 s0, s23, v111
	v_cndmask_b32_e64 v86, 0, v86, s0
	v_cmp_gt_i32_e64 s0, s23, v110
	;; [unrolled: 2-line block ×3, first 2 shown]
	v_cndmask_b32_e64 v88, 0, v88, s0
.LBB43_58:                              ;   in Loop: Header=BB43_33 Depth=1
	s_or_b32 exec_lo, exec_lo, s6
	v_add_co_u32 v69, s0, 0x2800, v69
	v_add_co_ci_u32_e64 v70, null, 0, v70, s0
	global_load_dwordx4 v[89:92], v[69:70], off
	s_and_saveexec_b32 s6, vcc_lo
	s_cbranch_execnz .LBB43_77
; %bb.59:                               ;   in Loop: Header=BB43_33 Depth=1
	s_or_b32 exec_lo, exec_lo, s6
	global_load_dwordx4 v[93:96], v[69:70], off offset:512
	s_and_saveexec_b32 s6, vcc_lo
	s_cbranch_execnz .LBB43_78
.LBB43_60:                              ;   in Loop: Header=BB43_33 Depth=1
	s_or_b32 exec_lo, exec_lo, s6
	global_load_dwordx4 v[97:100], v[69:70], off offset:1024
	s_and_saveexec_b32 s6, vcc_lo
	s_cbranch_execnz .LBB43_79
.LBB43_61:                              ;   in Loop: Header=BB43_33 Depth=1
	s_or_b32 exec_lo, exec_lo, s6
	global_load_dwordx4 v[69:72], v[69:70], off offset:1536
	s_and_saveexec_b32 s0, vcc_lo
	s_cbranch_execz .LBB43_32
	s_branch .LBB43_80
.LBB43_62:                              ;   in Loop: Header=BB43_33 Depth=1
	v_cmp_gt_i32_e64 s0, s23, v109
	s_waitcnt vmcnt(0)
	v_cndmask_b32_e64 v5, 0, v5, s0
	v_cmp_gt_i32_e64 s0, s23, v111
	v_cndmask_b32_e64 v6, 0, v6, s0
	v_cmp_gt_i32_e64 s0, s23, v110
	;; [unrolled: 2-line block ×3, first 2 shown]
	v_cndmask_b32_e64 v8, 0, v8, s0
	s_or_b32 exec_lo, exec_lo, s6
	global_load_dwordx4 v[9:12], v[69:70], off offset:512
	s_and_saveexec_b32 s6, vcc_lo
	s_cbranch_execz .LBB43_35
.LBB43_63:                              ;   in Loop: Header=BB43_33 Depth=1
	v_cmp_gt_i32_e64 s0, s23, v109
	s_waitcnt vmcnt(0)
	v_cndmask_b32_e64 v9, 0, v9, s0
	v_cmp_gt_i32_e64 s0, s23, v111
	v_cndmask_b32_e64 v10, 0, v10, s0
	v_cmp_gt_i32_e64 s0, s23, v110
	;; [unrolled: 2-line block ×3, first 2 shown]
	v_cndmask_b32_e64 v12, 0, v12, s0
	s_or_b32 exec_lo, exec_lo, s6
	global_load_dwordx4 v[13:16], v[69:70], off offset:1024
	s_and_saveexec_b32 s6, vcc_lo
	s_cbranch_execz .LBB43_36
.LBB43_64:                              ;   in Loop: Header=BB43_33 Depth=1
	v_cmp_gt_i32_e64 s0, s23, v109
	s_waitcnt vmcnt(0)
	v_cndmask_b32_e64 v13, 0, v13, s0
	v_cmp_gt_i32_e64 s0, s23, v111
	v_cndmask_b32_e64 v14, 0, v14, s0
	v_cmp_gt_i32_e64 s0, s23, v110
	v_cndmask_b32_e64 v15, 0, v15, s0
	v_cmp_gt_i32_e64 s0, s23, v106
	v_cndmask_b32_e64 v16, 0, v16, s0
	s_or_b32 exec_lo, exec_lo, s6
	global_load_dwordx4 v[17:20], v[69:70], off offset:1536
	s_and_saveexec_b32 s6, vcc_lo
	s_cbranch_execnz .LBB43_37
	s_branch .LBB43_38
.LBB43_65:                              ;   in Loop: Header=BB43_33 Depth=1
	v_cmp_gt_i32_e64 s0, s23, v109
	s_waitcnt vmcnt(0)
	v_cndmask_b32_e64 v21, 0, v21, s0
	v_cmp_gt_i32_e64 s0, s23, v111
	v_cndmask_b32_e64 v22, 0, v22, s0
	v_cmp_gt_i32_e64 s0, s23, v110
	v_cndmask_b32_e64 v23, 0, v23, s0
	v_cmp_gt_i32_e64 s0, s23, v106
	v_cndmask_b32_e64 v24, 0, v24, s0
	s_or_b32 exec_lo, exec_lo, s6
	global_load_dwordx4 v[25:28], v[33:34], off offset:512
	s_and_saveexec_b32 s6, vcc_lo
	s_cbranch_execz .LBB43_40
.LBB43_66:                              ;   in Loop: Header=BB43_33 Depth=1
	v_cmp_gt_i32_e64 s0, s23, v109
	s_waitcnt vmcnt(0)
	v_cndmask_b32_e64 v25, 0, v25, s0
	v_cmp_gt_i32_e64 s0, s23, v111
	v_cndmask_b32_e64 v26, 0, v26, s0
	v_cmp_gt_i32_e64 s0, s23, v110
	;; [unrolled: 2-line block ×3, first 2 shown]
	v_cndmask_b32_e64 v28, 0, v28, s0
	s_or_b32 exec_lo, exec_lo, s6
	global_load_dwordx4 v[29:32], v[33:34], off offset:1024
	s_and_saveexec_b32 s6, vcc_lo
	s_cbranch_execz .LBB43_41
.LBB43_67:                              ;   in Loop: Header=BB43_33 Depth=1
	v_cmp_gt_i32_e64 s0, s23, v109
	s_waitcnt vmcnt(0)
	v_cndmask_b32_e64 v29, 0, v29, s0
	v_cmp_gt_i32_e64 s0, s23, v111
	v_cndmask_b32_e64 v30, 0, v30, s0
	v_cmp_gt_i32_e64 s0, s23, v110
	;; [unrolled: 2-line block ×3, first 2 shown]
	v_cndmask_b32_e64 v32, 0, v32, s0
	s_or_b32 exec_lo, exec_lo, s6
	global_load_dwordx4 v[33:36], v[33:34], off offset:1536
	s_and_saveexec_b32 s6, vcc_lo
	s_cbranch_execnz .LBB43_42
	s_branch .LBB43_43
.LBB43_68:                              ;   in Loop: Header=BB43_33 Depth=1
	v_cmp_gt_i32_e64 s0, s23, v109
	s_waitcnt vmcnt(0)
	v_cndmask_b32_e64 v37, 0, v37, s0
	v_cmp_gt_i32_e64 s0, s23, v111
	v_cndmask_b32_e64 v38, 0, v38, s0
	v_cmp_gt_i32_e64 s0, s23, v110
	v_cndmask_b32_e64 v39, 0, v39, s0
	v_cmp_gt_i32_e64 s0, s23, v106
	v_cndmask_b32_e64 v40, 0, v40, s0
	s_or_b32 exec_lo, exec_lo, s6
	global_load_dwordx4 v[41:44], v[49:50], off offset:512
	s_and_saveexec_b32 s6, vcc_lo
	s_cbranch_execz .LBB43_45
.LBB43_69:                              ;   in Loop: Header=BB43_33 Depth=1
	v_cmp_gt_i32_e64 s0, s23, v109
	s_waitcnt vmcnt(0)
	v_cndmask_b32_e64 v41, 0, v41, s0
	v_cmp_gt_i32_e64 s0, s23, v111
	v_cndmask_b32_e64 v42, 0, v42, s0
	v_cmp_gt_i32_e64 s0, s23, v110
	;; [unrolled: 2-line block ×3, first 2 shown]
	v_cndmask_b32_e64 v44, 0, v44, s0
	s_or_b32 exec_lo, exec_lo, s6
	global_load_dwordx4 v[45:48], v[49:50], off offset:1024
	s_and_saveexec_b32 s6, vcc_lo
	s_cbranch_execz .LBB43_46
.LBB43_70:                              ;   in Loop: Header=BB43_33 Depth=1
	v_cmp_gt_i32_e64 s0, s23, v109
	s_waitcnt vmcnt(0)
	v_cndmask_b32_e64 v45, 0, v45, s0
	v_cmp_gt_i32_e64 s0, s23, v111
	v_cndmask_b32_e64 v46, 0, v46, s0
	v_cmp_gt_i32_e64 s0, s23, v110
	;; [unrolled: 2-line block ×3, first 2 shown]
	v_cndmask_b32_e64 v48, 0, v48, s0
	s_or_b32 exec_lo, exec_lo, s6
	global_load_dwordx4 v[49:52], v[49:50], off offset:1536
	s_and_saveexec_b32 s6, vcc_lo
	s_cbranch_execnz .LBB43_47
	s_branch .LBB43_48
.LBB43_71:                              ;   in Loop: Header=BB43_33 Depth=1
	v_cmp_gt_i32_e64 s0, s23, v109
	s_waitcnt vmcnt(0)
	v_cndmask_b32_e64 v53, 0, v53, s0
	v_cmp_gt_i32_e64 s0, s23, v111
	v_cndmask_b32_e64 v54, 0, v54, s0
	v_cmp_gt_i32_e64 s0, s23, v110
	;; [unrolled: 2-line block ×3, first 2 shown]
	v_cndmask_b32_e64 v56, 0, v56, s0
	s_or_b32 exec_lo, exec_lo, s6
	global_load_dwordx4 v[57:60], v[65:66], off offset:512
	s_and_saveexec_b32 s6, vcc_lo
	s_cbranch_execz .LBB43_50
.LBB43_72:                              ;   in Loop: Header=BB43_33 Depth=1
	v_cmp_gt_i32_e64 s0, s23, v109
	s_waitcnt vmcnt(0)
	v_cndmask_b32_e64 v57, 0, v57, s0
	v_cmp_gt_i32_e64 s0, s23, v111
	v_cndmask_b32_e64 v58, 0, v58, s0
	v_cmp_gt_i32_e64 s0, s23, v110
	;; [unrolled: 2-line block ×3, first 2 shown]
	v_cndmask_b32_e64 v60, 0, v60, s0
	s_or_b32 exec_lo, exec_lo, s6
	global_load_dwordx4 v[61:64], v[65:66], off offset:1024
	s_and_saveexec_b32 s6, vcc_lo
	s_cbranch_execz .LBB43_51
.LBB43_73:                              ;   in Loop: Header=BB43_33 Depth=1
	v_cmp_gt_i32_e64 s0, s23, v109
	s_waitcnt vmcnt(0)
	v_cndmask_b32_e64 v61, 0, v61, s0
	v_cmp_gt_i32_e64 s0, s23, v111
	v_cndmask_b32_e64 v62, 0, v62, s0
	v_cmp_gt_i32_e64 s0, s23, v110
	;; [unrolled: 2-line block ×3, first 2 shown]
	v_cndmask_b32_e64 v64, 0, v64, s0
	s_or_b32 exec_lo, exec_lo, s6
	global_load_dwordx4 v[65:68], v[65:66], off offset:1536
	s_and_saveexec_b32 s6, vcc_lo
	s_cbranch_execnz .LBB43_52
	s_branch .LBB43_53
.LBB43_74:                              ;   in Loop: Header=BB43_33 Depth=1
	v_cmp_gt_i32_e64 s0, s23, v109
	s_waitcnt vmcnt(0)
	v_cndmask_b32_e64 v73, 0, v73, s0
	v_cmp_gt_i32_e64 s0, s23, v111
	v_cndmask_b32_e64 v74, 0, v74, s0
	v_cmp_gt_i32_e64 s0, s23, v110
	;; [unrolled: 2-line block ×3, first 2 shown]
	v_cndmask_b32_e64 v76, 0, v76, s0
	s_or_b32 exec_lo, exec_lo, s6
	global_load_dwordx4 v[77:80], v[71:72], off offset:512
	s_and_saveexec_b32 s6, vcc_lo
	s_cbranch_execz .LBB43_55
.LBB43_75:                              ;   in Loop: Header=BB43_33 Depth=1
	v_cmp_gt_i32_e64 s0, s23, v109
	s_waitcnt vmcnt(0)
	v_cndmask_b32_e64 v77, 0, v77, s0
	v_cmp_gt_i32_e64 s0, s23, v111
	v_cndmask_b32_e64 v78, 0, v78, s0
	v_cmp_gt_i32_e64 s0, s23, v110
	;; [unrolled: 2-line block ×3, first 2 shown]
	v_cndmask_b32_e64 v80, 0, v80, s0
	s_or_b32 exec_lo, exec_lo, s6
	global_load_dwordx4 v[81:84], v[71:72], off offset:1024
	s_and_saveexec_b32 s6, vcc_lo
	s_cbranch_execz .LBB43_56
.LBB43_76:                              ;   in Loop: Header=BB43_33 Depth=1
	v_cmp_gt_i32_e64 s0, s23, v109
	s_waitcnt vmcnt(0)
	v_cndmask_b32_e64 v81, 0, v81, s0
	v_cmp_gt_i32_e64 s0, s23, v111
	v_cndmask_b32_e64 v82, 0, v82, s0
	v_cmp_gt_i32_e64 s0, s23, v110
	;; [unrolled: 2-line block ×3, first 2 shown]
	v_cndmask_b32_e64 v84, 0, v84, s0
	s_or_b32 exec_lo, exec_lo, s6
	global_load_dwordx4 v[85:88], v[71:72], off offset:1536
	s_and_saveexec_b32 s6, vcc_lo
	s_cbranch_execnz .LBB43_57
	s_branch .LBB43_58
.LBB43_77:                              ;   in Loop: Header=BB43_33 Depth=1
	v_cmp_gt_i32_e64 s0, s23, v109
	s_waitcnt vmcnt(0)
	v_cndmask_b32_e64 v89, 0, v89, s0
	v_cmp_gt_i32_e64 s0, s23, v111
	v_cndmask_b32_e64 v90, 0, v90, s0
	v_cmp_gt_i32_e64 s0, s23, v110
	v_cndmask_b32_e64 v91, 0, v91, s0
	v_cmp_gt_i32_e64 s0, s23, v106
	v_cndmask_b32_e64 v92, 0, v92, s0
	s_or_b32 exec_lo, exec_lo, s6
	global_load_dwordx4 v[93:96], v[69:70], off offset:512
	s_and_saveexec_b32 s6, vcc_lo
	s_cbranch_execz .LBB43_60
.LBB43_78:                              ;   in Loop: Header=BB43_33 Depth=1
	v_cmp_gt_i32_e64 s0, s23, v109
	s_waitcnt vmcnt(0)
	v_cndmask_b32_e64 v93, 0, v93, s0
	v_cmp_gt_i32_e64 s0, s23, v111
	v_cndmask_b32_e64 v94, 0, v94, s0
	v_cmp_gt_i32_e64 s0, s23, v110
	;; [unrolled: 2-line block ×3, first 2 shown]
	v_cndmask_b32_e64 v96, 0, v96, s0
	s_or_b32 exec_lo, exec_lo, s6
	global_load_dwordx4 v[97:100], v[69:70], off offset:1024
	s_and_saveexec_b32 s6, vcc_lo
	s_cbranch_execz .LBB43_61
.LBB43_79:                              ;   in Loop: Header=BB43_33 Depth=1
	v_cmp_gt_i32_e64 s0, s23, v109
	s_waitcnt vmcnt(0)
	v_cndmask_b32_e64 v97, 0, v97, s0
	v_cmp_gt_i32_e64 s0, s23, v111
	v_cndmask_b32_e64 v98, 0, v98, s0
	v_cmp_gt_i32_e64 s0, s23, v110
	;; [unrolled: 2-line block ×3, first 2 shown]
	v_cndmask_b32_e64 v100, 0, v100, s0
	s_or_b32 exec_lo, exec_lo, s6
	global_load_dwordx4 v[69:72], v[69:70], off offset:1536
	s_and_saveexec_b32 s0, vcc_lo
	s_cbranch_execz .LBB43_32
.LBB43_80:                              ;   in Loop: Header=BB43_33 Depth=1
	v_cmp_gt_i32_e32 vcc_lo, s23, v109
	s_waitcnt vmcnt(0)
	v_cndmask_b32_e32 v69, 0, v69, vcc_lo
	v_cmp_gt_i32_e32 vcc_lo, s23, v111
	v_cndmask_b32_e32 v70, 0, v70, vcc_lo
	v_cmp_gt_i32_e32 vcc_lo, s23, v110
	;; [unrolled: 2-line block ×3, first 2 shown]
	v_cndmask_b32_e32 v72, 0, v72, vcc_lo
	s_branch .LBB43_32
.LBB43_81:
	s_or_b32 exec_lo, exec_lo, s4
	s_clause 0x6
	buffer_load_dword v43, off, s[36:39], 0 offset:28
	buffer_load_dword v100, off, s[36:39], 0 offset:32
	;; [unrolled: 1-line block ×7, first 2 shown]
.LBB43_82:
	s_or_b32 exec_lo, exec_lo, s1
	s_waitcnt vmcnt(3)
	ds_bpermute_b32 v1, v31, v5
	ds_bpermute_b32 v2, v31, v112
	;; [unrolled: 1-line block ×4, first 2 shown]
	v_mov_b32_e32 v18, v5
	ds_bpermute_b32 v5, v31, v105
	ds_bpermute_b32 v6, v31, v104
	ds_bpermute_b32 v7, v31, v108
	ds_bpermute_b32 v8, v31, v127
	ds_bpermute_b32 v9, v31, v126
	ds_bpermute_b32 v10, v31, v125
	ds_bpermute_b32 v11, v31, v124
	ds_bpermute_b32 v12, v31, v123
	ds_bpermute_b32 v13, v31, v122
	ds_bpermute_b32 v14, v31, v121
	ds_bpermute_b32 v15, v31, v120
	ds_bpermute_b32 v16, v31, v119
	ds_bpermute_b32 v17, v31, v118
	ds_bpermute_b32 v22, v31, v116
	ds_bpermute_b32 v23, v31, v115
	s_waitcnt lgkmcnt(18)
	v_add_f32_e32 v1, v18, v1
	s_waitcnt lgkmcnt(17)
	v_add_f32_e32 v2, v112, v2
	;; [unrolled: 2-line block ×4, first 2 shown]
	ds_bpermute_b32 v18, v31, v117
	s_waitcnt vmcnt(2)
	ds_bpermute_b32 v0, v45, v1
	ds_bpermute_b32 v19, v45, v2
	;; [unrolled: 1-line block ×4, first 2 shown]
	s_waitcnt lgkmcnt(19)
	v_add_f32_e32 v5, v105, v5
	s_waitcnt lgkmcnt(18)
	v_add_f32_e32 v6, v104, v6
	;; [unrolled: 2-line block ×5, first 2 shown]
	ds_bpermute_b32 v24, v45, v5
	ds_bpermute_b32 v25, v45, v6
	s_waitcnt lgkmcnt(16)
	v_add_f32_e32 v10, v125, v10
	s_waitcnt lgkmcnt(15)
	v_add_f32_e32 v11, v124, v11
	ds_bpermute_b32 v26, v45, v7
	s_waitcnt lgkmcnt(15)
	v_add_f32_e32 v12, v123, v12
	s_waitcnt lgkmcnt(14)
	v_add_f32_e32 v13, v122, v13
	;; [unrolled: 2-line block ×10, first 2 shown]
	ds_bpermute_b32 v4, v31, v114
	ds_bpermute_b32 v19, v31, v113
	s_waitcnt vmcnt(0)
	ds_bpermute_b32 v20, v31, v41
	ds_bpermute_b32 v21, v31, v42
	v_add_f32_e32 v18, v117, v18
	v_add_f32_e32 v22, v116, v22
	;; [unrolled: 1-line block ×3, first 2 shown]
	ds_bpermute_b32 v27, v45, v8
	ds_bpermute_b32 v28, v45, v9
	;; [unrolled: 1-line block ×12, first 2 shown]
	s_mov_b32 s0, exec_lo
	s_waitcnt lgkmcnt(15)
	v_add_f32_e32 v38, v114, v4
	s_waitcnt lgkmcnt(14)
	v_add_f32_e32 v40, v113, v19
	;; [unrolled: 2-line block ×4, first 2 shown]
	ds_bpermute_b32 v19, v45, v23
	ds_bpermute_b32 v20, v45, v38
	;; [unrolled: 1-line block ×3, first 2 shown]
	v_add_f32_e32 v4, v5, v24
	ds_bpermute_b32 v24, v45, v41
	v_add_f32_e32 v5, v6, v25
	ds_bpermute_b32 v25, v45, v42
	v_add_f32_e32 v6, v7, v26
	v_and_b32_e32 v26, 28, v44
	s_waitcnt lgkmcnt(16)
	v_add_f32_e32 v7, v8, v27
	s_waitcnt lgkmcnt(15)
	v_add_f32_e32 v8, v9, v28
	;; [unrolled: 2-line block ×16, first 2 shown]
	v_and_b32_e32 v27, 0x3c3, v43
	s_waitcnt lgkmcnt(0)
	v_add_f32_e32 v23, v42, v25
	v_lshrrev_b32_e32 v24, 2, v44
	v_add_nc_u32_e32 v25, 0x320, v26
	v_mul_u32_u24_e32 v26, 0x300, v100
	s_waitcnt_vscnt null, 0x0
	s_barrier
	buffer_gl0_inv
	v_cmpx_eq_u32_e32 64, v27
	s_cbranch_execz .LBB43_84
; %bb.83:
	v_add_nc_u32_e32 v27, v25, v26
	v_add_nc_u32_e32 v28, 0xfffffa00, v27
	;; [unrolled: 1-line block ×7, first 2 shown]
	ds_write_b32 v28, v0
	ds_write_b32 v29, v1
	;; [unrolled: 1-line block ×4, first 2 shown]
	v_add_nc_u32_e32 v28, 0xfffffac0, v27
	v_add_nc_u32_e32 v29, 0xfffffae0, v27
	v_add_nc_u32_e32 v30, 0xfffffb00, v27
	ds_write_b32 v32, v4
	ds_write_b32 v33, v5
	ds_write_b32 v28, v6
	ds_write_b32 v29, v7
	ds_write_b32 v30, v8
	v_add_nc_u32_e32 v28, 0xfffffb20, v27
	v_add_nc_u32_e32 v29, 0xfffffb40, v27
	v_add_nc_u32_e32 v30, 0xfffffb60, v27
	v_add_nc_u32_e32 v31, 0xfffffb80, v27
	v_add_nc_u32_e32 v32, 0xfffffba0, v27
	ds_write_b32 v28, v9
	ds_write_b32 v29, v10
	ds_write_b32 v30, v11
	ds_write_b32 v31, v12
	ds_write_b32 v32, v13
	v_add_nc_u32_e32 v28, 0xfffffbc0, v27
	v_add_nc_u32_e32 v29, 0xfffffbe0, v27
	;; [unrolled: 10-line block ×3, first 2 shown]
	v_add_nc_u32_e32 v30, 0xfffffca0, v27
	v_add_nc_u32_e32 v31, 0xfffffcc0, v27
	v_add_nc_u32_e32 v27, 0xfffffce0, v27
	ds_write_b32 v28, v19
	ds_write_b32 v29, v20
	;; [unrolled: 1-line block ×5, first 2 shown]
.LBB43_84:
	s_or_b32 exec_lo, exec_lo, s0
	v_lshlrev_b32_e32 v24, 2, v24
	s_mov_b32 s1, exec_lo
	v_cmp_eq_u32_e32 vcc_lo, 0, v46
	s_waitcnt lgkmcnt(0)
	s_barrier
	v_add3_u32 v24, 0x320, v26, v24
	buffer_gl0_inv
	v_cmpx_gt_u32_e32 64, v43
	s_cbranch_execz .LBB43_111
; %bb.85:
	s_and_saveexec_b32 s0, vcc_lo
	s_cbranch_execnz .LBB43_143
; %bb.86:
	s_or_b32 exec_lo, exec_lo, s0
	s_and_saveexec_b32 s0, vcc_lo
	s_cbranch_execnz .LBB43_144
.LBB43_87:
	s_or_b32 exec_lo, exec_lo, s0
	s_and_saveexec_b32 s0, vcc_lo
	s_cbranch_execnz .LBB43_145
.LBB43_88:
	s_or_b32 exec_lo, exec_lo, s0
	s_and_saveexec_b32 s0, vcc_lo
	s_cbranch_execnz .LBB43_146
.LBB43_89:
	s_or_b32 exec_lo, exec_lo, s0
	s_and_saveexec_b32 s0, vcc_lo
	s_cbranch_execnz .LBB43_147
.LBB43_90:
	s_or_b32 exec_lo, exec_lo, s0
	s_and_saveexec_b32 s0, vcc_lo
	s_cbranch_execnz .LBB43_148
.LBB43_91:
	s_or_b32 exec_lo, exec_lo, s0
	s_and_saveexec_b32 s0, vcc_lo
	s_cbranch_execnz .LBB43_149
.LBB43_92:
	s_or_b32 exec_lo, exec_lo, s0
	s_and_saveexec_b32 s0, vcc_lo
	s_cbranch_execnz .LBB43_150
.LBB43_93:
	s_or_b32 exec_lo, exec_lo, s0
	s_and_saveexec_b32 s0, vcc_lo
	s_cbranch_execnz .LBB43_151
.LBB43_94:
	s_or_b32 exec_lo, exec_lo, s0
	s_and_saveexec_b32 s0, vcc_lo
	s_cbranch_execnz .LBB43_152
.LBB43_95:
	s_or_b32 exec_lo, exec_lo, s0
	s_and_saveexec_b32 s0, vcc_lo
	s_cbranch_execnz .LBB43_153
.LBB43_96:
	s_or_b32 exec_lo, exec_lo, s0
	s_and_saveexec_b32 s0, vcc_lo
	s_cbranch_execnz .LBB43_154
.LBB43_97:
	s_or_b32 exec_lo, exec_lo, s0
	s_and_saveexec_b32 s0, vcc_lo
	s_cbranch_execnz .LBB43_155
.LBB43_98:
	s_or_b32 exec_lo, exec_lo, s0
	s_and_saveexec_b32 s0, vcc_lo
	s_cbranch_execnz .LBB43_156
.LBB43_99:
	s_or_b32 exec_lo, exec_lo, s0
	s_and_saveexec_b32 s0, vcc_lo
	s_cbranch_execnz .LBB43_157
.LBB43_100:
	s_or_b32 exec_lo, exec_lo, s0
	s_and_saveexec_b32 s0, vcc_lo
	s_cbranch_execnz .LBB43_158
.LBB43_101:
	s_or_b32 exec_lo, exec_lo, s0
	s_and_saveexec_b32 s0, vcc_lo
	s_cbranch_execnz .LBB43_159
.LBB43_102:
	s_or_b32 exec_lo, exec_lo, s0
	s_and_saveexec_b32 s0, vcc_lo
	s_cbranch_execnz .LBB43_160
.LBB43_103:
	s_or_b32 exec_lo, exec_lo, s0
	s_and_saveexec_b32 s0, vcc_lo
	s_cbranch_execnz .LBB43_161
.LBB43_104:
	s_or_b32 exec_lo, exec_lo, s0
	s_and_saveexec_b32 s0, vcc_lo
	s_cbranch_execnz .LBB43_162
.LBB43_105:
	s_or_b32 exec_lo, exec_lo, s0
	s_and_saveexec_b32 s0, vcc_lo
	s_cbranch_execnz .LBB43_163
.LBB43_106:
	s_or_b32 exec_lo, exec_lo, s0
	s_and_saveexec_b32 s0, vcc_lo
	s_cbranch_execnz .LBB43_164
.LBB43_107:
	s_or_b32 exec_lo, exec_lo, s0
	s_and_saveexec_b32 s0, vcc_lo
	s_cbranch_execnz .LBB43_165
.LBB43_108:
	s_or_b32 exec_lo, exec_lo, s0
	s_and_saveexec_b32 s0, vcc_lo
	s_cbranch_execz .LBB43_110
.LBB43_109:
	ds_read_b32 v26, v24 offset:736
	s_waitcnt lgkmcnt(0)
	v_add_f32_e32 v23, v23, v26
.LBB43_110:
	s_or_b32 exec_lo, exec_lo, s0
.LBB43_111:
	s_or_b32 exec_lo, exec_lo, s1
	v_and_b32_e32 v26, 0x3e3, v43
	s_mov_b32 s1, exec_lo
	s_barrier
	buffer_gl0_inv
	v_cmpx_eq_u32_e32 32, v26
	s_cbranch_execz .LBB43_113
; %bb.112:
	ds_write2_b32 v25, v0, v1 offset1:8
	ds_write2_b32 v25, v2, v3 offset0:16 offset1:24
	ds_write2_b32 v25, v4, v5 offset0:32 offset1:40
	;; [unrolled: 1-line block ×11, first 2 shown]
.LBB43_113:
	s_or_b32 exec_lo, exec_lo, s1
	s_mov_b32 s1, exec_lo
	s_waitcnt lgkmcnt(0)
	s_barrier
	buffer_gl0_inv
	v_cmpx_gt_u32_e32 32, v43
	s_cbranch_execz .LBB43_140
; %bb.114:
	s_and_saveexec_b32 s0, vcc_lo
	s_cbranch_execnz .LBB43_166
; %bb.115:
	s_or_b32 exec_lo, exec_lo, s0
	s_and_saveexec_b32 s0, vcc_lo
	s_cbranch_execnz .LBB43_167
.LBB43_116:
	s_or_b32 exec_lo, exec_lo, s0
	s_and_saveexec_b32 s0, vcc_lo
	s_cbranch_execnz .LBB43_168
.LBB43_117:
	s_or_b32 exec_lo, exec_lo, s0
	s_and_saveexec_b32 s0, vcc_lo
	s_cbranch_execnz .LBB43_169
.LBB43_118:
	s_or_b32 exec_lo, exec_lo, s0
	s_and_saveexec_b32 s0, vcc_lo
	s_cbranch_execnz .LBB43_170
.LBB43_119:
	s_or_b32 exec_lo, exec_lo, s0
	s_and_saveexec_b32 s0, vcc_lo
	s_cbranch_execnz .LBB43_171
.LBB43_120:
	s_or_b32 exec_lo, exec_lo, s0
	s_and_saveexec_b32 s0, vcc_lo
	s_cbranch_execnz .LBB43_172
.LBB43_121:
	s_or_b32 exec_lo, exec_lo, s0
	s_and_saveexec_b32 s0, vcc_lo
	s_cbranch_execnz .LBB43_173
.LBB43_122:
	s_or_b32 exec_lo, exec_lo, s0
	s_and_saveexec_b32 s0, vcc_lo
	s_cbranch_execnz .LBB43_174
.LBB43_123:
	s_or_b32 exec_lo, exec_lo, s0
	s_and_saveexec_b32 s0, vcc_lo
	s_cbranch_execnz .LBB43_175
.LBB43_124:
	s_or_b32 exec_lo, exec_lo, s0
	s_and_saveexec_b32 s0, vcc_lo
	s_cbranch_execnz .LBB43_176
.LBB43_125:
	s_or_b32 exec_lo, exec_lo, s0
	s_and_saveexec_b32 s0, vcc_lo
	s_cbranch_execnz .LBB43_177
.LBB43_126:
	s_or_b32 exec_lo, exec_lo, s0
	s_and_saveexec_b32 s0, vcc_lo
	s_cbranch_execnz .LBB43_178
.LBB43_127:
	s_or_b32 exec_lo, exec_lo, s0
	s_and_saveexec_b32 s0, vcc_lo
	s_cbranch_execnz .LBB43_179
.LBB43_128:
	s_or_b32 exec_lo, exec_lo, s0
	s_and_saveexec_b32 s0, vcc_lo
	s_cbranch_execnz .LBB43_180
.LBB43_129:
	s_or_b32 exec_lo, exec_lo, s0
	s_and_saveexec_b32 s0, vcc_lo
	s_cbranch_execnz .LBB43_181
.LBB43_130:
	s_or_b32 exec_lo, exec_lo, s0
	s_and_saveexec_b32 s0, vcc_lo
	s_cbranch_execnz .LBB43_182
.LBB43_131:
	s_or_b32 exec_lo, exec_lo, s0
	s_and_saveexec_b32 s0, vcc_lo
	s_cbranch_execnz .LBB43_183
.LBB43_132:
	s_or_b32 exec_lo, exec_lo, s0
	s_and_saveexec_b32 s0, vcc_lo
	s_cbranch_execnz .LBB43_184
.LBB43_133:
	s_or_b32 exec_lo, exec_lo, s0
	s_and_saveexec_b32 s0, vcc_lo
	s_cbranch_execnz .LBB43_185
.LBB43_134:
	s_or_b32 exec_lo, exec_lo, s0
	s_and_saveexec_b32 s0, vcc_lo
	s_cbranch_execnz .LBB43_186
.LBB43_135:
	s_or_b32 exec_lo, exec_lo, s0
	s_and_saveexec_b32 s0, vcc_lo
	s_cbranch_execnz .LBB43_187
.LBB43_136:
	s_or_b32 exec_lo, exec_lo, s0
	s_and_saveexec_b32 s0, vcc_lo
	s_cbranch_execnz .LBB43_188
.LBB43_137:
	s_or_b32 exec_lo, exec_lo, s0
	s_and_saveexec_b32 s0, vcc_lo
	s_cbranch_execz .LBB43_139
.LBB43_138:
	ds_read_b32 v24, v24 offset:736
	s_waitcnt lgkmcnt(0)
	v_add_f32_e32 v23, v23, v24
.LBB43_139:
	s_or_b32 exec_lo, exec_lo, s0
.LBB43_140:
	s_or_b32 exec_lo, exec_lo, s1
	s_barrier
	buffer_gl0_inv
	s_mov_b32 s0, exec_lo
	v_cmpx_eq_u32_e32 0, v26
	s_cbranch_execz .LBB43_142
; %bb.141:
	s_mul_i32 s0, s2, 0xc0
	s_mul_i32 s2, s7, s10
	s_ashr_i32 s1, s0, 31
	s_lshl_b64 s[0:1], s[0:1], 2
	s_add_u32 s4, s20, s0
	s_addc_u32 s5, s21, s1
	s_ashr_i32 s3, s2, 31
	s_lshl_b64 s[0:1], s[2:3], 2
	s_mul_i32 s2, s8, 0xc0
	s_add_u32 s4, s4, s0
	s_addc_u32 s5, s5, s1
	s_ashr_i32 s3, s2, 31
	s_lshl_b64 s[0:1], s[2:3], 2
	s_add_u32 s0, s4, s0
	s_addc_u32 s1, s5, s1
	global_store_dword v43, v0, s[0:1]
	global_store_dword v43, v1, s[0:1] offset:32
	global_store_dword v43, v2, s[0:1] offset:64
	;; [unrolled: 1-line block ×23, first 2 shown]
.LBB43_142:
	s_endpgm
.LBB43_143:
	ds_read_b32 v26, v24
	s_waitcnt lgkmcnt(0)
	v_add_f32_e32 v0, v0, v26
	s_or_b32 exec_lo, exec_lo, s0
	s_and_saveexec_b32 s0, vcc_lo
	s_cbranch_execz .LBB43_87
.LBB43_144:
	ds_read_b32 v26, v24 offset:32
	s_waitcnt lgkmcnt(0)
	v_add_f32_e32 v1, v1, v26
	s_or_b32 exec_lo, exec_lo, s0
	s_and_saveexec_b32 s0, vcc_lo
	s_cbranch_execz .LBB43_88
.LBB43_145:
	ds_read_b32 v26, v24 offset:64
	s_waitcnt lgkmcnt(0)
	v_add_f32_e32 v2, v2, v26
	s_or_b32 exec_lo, exec_lo, s0
	s_and_saveexec_b32 s0, vcc_lo
	s_cbranch_execz .LBB43_89
.LBB43_146:
	ds_read_b32 v26, v24 offset:96
	s_waitcnt lgkmcnt(0)
	v_add_f32_e32 v3, v3, v26
	s_or_b32 exec_lo, exec_lo, s0
	s_and_saveexec_b32 s0, vcc_lo
	s_cbranch_execz .LBB43_90
.LBB43_147:
	ds_read_b32 v26, v24 offset:128
	s_waitcnt lgkmcnt(0)
	v_add_f32_e32 v4, v4, v26
	s_or_b32 exec_lo, exec_lo, s0
	s_and_saveexec_b32 s0, vcc_lo
	s_cbranch_execz .LBB43_91
.LBB43_148:
	ds_read_b32 v26, v24 offset:160
	s_waitcnt lgkmcnt(0)
	v_add_f32_e32 v5, v5, v26
	s_or_b32 exec_lo, exec_lo, s0
	s_and_saveexec_b32 s0, vcc_lo
	s_cbranch_execz .LBB43_92
.LBB43_149:
	ds_read_b32 v26, v24 offset:192
	s_waitcnt lgkmcnt(0)
	v_add_f32_e32 v6, v6, v26
	s_or_b32 exec_lo, exec_lo, s0
	s_and_saveexec_b32 s0, vcc_lo
	s_cbranch_execz .LBB43_93
.LBB43_150:
	ds_read_b32 v26, v24 offset:224
	s_waitcnt lgkmcnt(0)
	v_add_f32_e32 v7, v7, v26
	s_or_b32 exec_lo, exec_lo, s0
	s_and_saveexec_b32 s0, vcc_lo
	s_cbranch_execz .LBB43_94
.LBB43_151:
	ds_read_b32 v26, v24 offset:256
	s_waitcnt lgkmcnt(0)
	v_add_f32_e32 v8, v8, v26
	s_or_b32 exec_lo, exec_lo, s0
	s_and_saveexec_b32 s0, vcc_lo
	s_cbranch_execz .LBB43_95
.LBB43_152:
	ds_read_b32 v26, v24 offset:288
	s_waitcnt lgkmcnt(0)
	v_add_f32_e32 v9, v9, v26
	s_or_b32 exec_lo, exec_lo, s0
	s_and_saveexec_b32 s0, vcc_lo
	s_cbranch_execz .LBB43_96
.LBB43_153:
	ds_read_b32 v26, v24 offset:320
	s_waitcnt lgkmcnt(0)
	v_add_f32_e32 v10, v10, v26
	s_or_b32 exec_lo, exec_lo, s0
	s_and_saveexec_b32 s0, vcc_lo
	s_cbranch_execz .LBB43_97
.LBB43_154:
	ds_read_b32 v26, v24 offset:352
	s_waitcnt lgkmcnt(0)
	v_add_f32_e32 v11, v11, v26
	s_or_b32 exec_lo, exec_lo, s0
	s_and_saveexec_b32 s0, vcc_lo
	s_cbranch_execz .LBB43_98
.LBB43_155:
	ds_read_b32 v26, v24 offset:384
	s_waitcnt lgkmcnt(0)
	v_add_f32_e32 v12, v12, v26
	s_or_b32 exec_lo, exec_lo, s0
	s_and_saveexec_b32 s0, vcc_lo
	s_cbranch_execz .LBB43_99
.LBB43_156:
	ds_read_b32 v26, v24 offset:416
	s_waitcnt lgkmcnt(0)
	v_add_f32_e32 v13, v13, v26
	s_or_b32 exec_lo, exec_lo, s0
	s_and_saveexec_b32 s0, vcc_lo
	s_cbranch_execz .LBB43_100
.LBB43_157:
	ds_read_b32 v26, v24 offset:448
	s_waitcnt lgkmcnt(0)
	v_add_f32_e32 v14, v14, v26
	s_or_b32 exec_lo, exec_lo, s0
	s_and_saveexec_b32 s0, vcc_lo
	s_cbranch_execz .LBB43_101
.LBB43_158:
	ds_read_b32 v26, v24 offset:480
	s_waitcnt lgkmcnt(0)
	v_add_f32_e32 v15, v15, v26
	s_or_b32 exec_lo, exec_lo, s0
	s_and_saveexec_b32 s0, vcc_lo
	s_cbranch_execz .LBB43_102
.LBB43_159:
	ds_read_b32 v26, v24 offset:512
	s_waitcnt lgkmcnt(0)
	v_add_f32_e32 v16, v16, v26
	s_or_b32 exec_lo, exec_lo, s0
	s_and_saveexec_b32 s0, vcc_lo
	s_cbranch_execz .LBB43_103
.LBB43_160:
	ds_read_b32 v26, v24 offset:544
	s_waitcnt lgkmcnt(0)
	v_add_f32_e32 v17, v17, v26
	s_or_b32 exec_lo, exec_lo, s0
	s_and_saveexec_b32 s0, vcc_lo
	s_cbranch_execz .LBB43_104
.LBB43_161:
	ds_read_b32 v26, v24 offset:576
	s_waitcnt lgkmcnt(0)
	v_add_f32_e32 v18, v18, v26
	s_or_b32 exec_lo, exec_lo, s0
	s_and_saveexec_b32 s0, vcc_lo
	s_cbranch_execz .LBB43_105
.LBB43_162:
	ds_read_b32 v26, v24 offset:608
	s_waitcnt lgkmcnt(0)
	v_add_f32_e32 v19, v19, v26
	s_or_b32 exec_lo, exec_lo, s0
	s_and_saveexec_b32 s0, vcc_lo
	s_cbranch_execz .LBB43_106
.LBB43_163:
	ds_read_b32 v26, v24 offset:640
	s_waitcnt lgkmcnt(0)
	v_add_f32_e32 v20, v20, v26
	s_or_b32 exec_lo, exec_lo, s0
	s_and_saveexec_b32 s0, vcc_lo
	s_cbranch_execz .LBB43_107
.LBB43_164:
	ds_read_b32 v26, v24 offset:672
	s_waitcnt lgkmcnt(0)
	v_add_f32_e32 v21, v21, v26
	s_or_b32 exec_lo, exec_lo, s0
	s_and_saveexec_b32 s0, vcc_lo
	s_cbranch_execz .LBB43_108
.LBB43_165:
	ds_read_b32 v26, v24 offset:704
	s_waitcnt lgkmcnt(0)
	v_add_f32_e32 v22, v22, v26
	s_or_b32 exec_lo, exec_lo, s0
	s_and_saveexec_b32 s0, vcc_lo
	s_cbranch_execnz .LBB43_109
	s_branch .LBB43_110
.LBB43_166:
	ds_read_b32 v25, v24
	s_waitcnt lgkmcnt(0)
	v_add_f32_e32 v0, v0, v25
	s_or_b32 exec_lo, exec_lo, s0
	s_and_saveexec_b32 s0, vcc_lo
	s_cbranch_execz .LBB43_116
.LBB43_167:
	ds_read_b32 v25, v24 offset:32
	s_waitcnt lgkmcnt(0)
	v_add_f32_e32 v1, v1, v25
	s_or_b32 exec_lo, exec_lo, s0
	s_and_saveexec_b32 s0, vcc_lo
	s_cbranch_execz .LBB43_117
.LBB43_168:
	ds_read_b32 v25, v24 offset:64
	s_waitcnt lgkmcnt(0)
	v_add_f32_e32 v2, v2, v25
	s_or_b32 exec_lo, exec_lo, s0
	s_and_saveexec_b32 s0, vcc_lo
	s_cbranch_execz .LBB43_118
.LBB43_169:
	ds_read_b32 v25, v24 offset:96
	s_waitcnt lgkmcnt(0)
	v_add_f32_e32 v3, v3, v25
	s_or_b32 exec_lo, exec_lo, s0
	s_and_saveexec_b32 s0, vcc_lo
	s_cbranch_execz .LBB43_119
.LBB43_170:
	ds_read_b32 v25, v24 offset:128
	s_waitcnt lgkmcnt(0)
	v_add_f32_e32 v4, v4, v25
	s_or_b32 exec_lo, exec_lo, s0
	s_and_saveexec_b32 s0, vcc_lo
	s_cbranch_execz .LBB43_120
.LBB43_171:
	ds_read_b32 v25, v24 offset:160
	s_waitcnt lgkmcnt(0)
	v_add_f32_e32 v5, v5, v25
	s_or_b32 exec_lo, exec_lo, s0
	s_and_saveexec_b32 s0, vcc_lo
	s_cbranch_execz .LBB43_121
.LBB43_172:
	ds_read_b32 v25, v24 offset:192
	s_waitcnt lgkmcnt(0)
	v_add_f32_e32 v6, v6, v25
	s_or_b32 exec_lo, exec_lo, s0
	s_and_saveexec_b32 s0, vcc_lo
	s_cbranch_execz .LBB43_122
.LBB43_173:
	ds_read_b32 v25, v24 offset:224
	s_waitcnt lgkmcnt(0)
	v_add_f32_e32 v7, v7, v25
	s_or_b32 exec_lo, exec_lo, s0
	s_and_saveexec_b32 s0, vcc_lo
	s_cbranch_execz .LBB43_123
.LBB43_174:
	ds_read_b32 v25, v24 offset:256
	s_waitcnt lgkmcnt(0)
	v_add_f32_e32 v8, v8, v25
	s_or_b32 exec_lo, exec_lo, s0
	s_and_saveexec_b32 s0, vcc_lo
	s_cbranch_execz .LBB43_124
.LBB43_175:
	ds_read_b32 v25, v24 offset:288
	s_waitcnt lgkmcnt(0)
	v_add_f32_e32 v9, v9, v25
	s_or_b32 exec_lo, exec_lo, s0
	s_and_saveexec_b32 s0, vcc_lo
	s_cbranch_execz .LBB43_125
.LBB43_176:
	ds_read_b32 v25, v24 offset:320
	s_waitcnt lgkmcnt(0)
	v_add_f32_e32 v10, v10, v25
	s_or_b32 exec_lo, exec_lo, s0
	s_and_saveexec_b32 s0, vcc_lo
	s_cbranch_execz .LBB43_126
.LBB43_177:
	ds_read_b32 v25, v24 offset:352
	s_waitcnt lgkmcnt(0)
	v_add_f32_e32 v11, v11, v25
	s_or_b32 exec_lo, exec_lo, s0
	s_and_saveexec_b32 s0, vcc_lo
	s_cbranch_execz .LBB43_127
.LBB43_178:
	ds_read_b32 v25, v24 offset:384
	s_waitcnt lgkmcnt(0)
	v_add_f32_e32 v12, v12, v25
	s_or_b32 exec_lo, exec_lo, s0
	s_and_saveexec_b32 s0, vcc_lo
	s_cbranch_execz .LBB43_128
.LBB43_179:
	ds_read_b32 v25, v24 offset:416
	s_waitcnt lgkmcnt(0)
	v_add_f32_e32 v13, v13, v25
	s_or_b32 exec_lo, exec_lo, s0
	s_and_saveexec_b32 s0, vcc_lo
	s_cbranch_execz .LBB43_129
.LBB43_180:
	ds_read_b32 v25, v24 offset:448
	s_waitcnt lgkmcnt(0)
	v_add_f32_e32 v14, v14, v25
	s_or_b32 exec_lo, exec_lo, s0
	s_and_saveexec_b32 s0, vcc_lo
	s_cbranch_execz .LBB43_130
.LBB43_181:
	ds_read_b32 v25, v24 offset:480
	s_waitcnt lgkmcnt(0)
	v_add_f32_e32 v15, v15, v25
	s_or_b32 exec_lo, exec_lo, s0
	s_and_saveexec_b32 s0, vcc_lo
	s_cbranch_execz .LBB43_131
.LBB43_182:
	ds_read_b32 v25, v24 offset:512
	s_waitcnt lgkmcnt(0)
	v_add_f32_e32 v16, v16, v25
	s_or_b32 exec_lo, exec_lo, s0
	s_and_saveexec_b32 s0, vcc_lo
	s_cbranch_execz .LBB43_132
.LBB43_183:
	ds_read_b32 v25, v24 offset:544
	s_waitcnt lgkmcnt(0)
	v_add_f32_e32 v17, v17, v25
	s_or_b32 exec_lo, exec_lo, s0
	s_and_saveexec_b32 s0, vcc_lo
	s_cbranch_execz .LBB43_133
.LBB43_184:
	ds_read_b32 v25, v24 offset:576
	s_waitcnt lgkmcnt(0)
	v_add_f32_e32 v18, v18, v25
	s_or_b32 exec_lo, exec_lo, s0
	s_and_saveexec_b32 s0, vcc_lo
	s_cbranch_execz .LBB43_134
.LBB43_185:
	ds_read_b32 v25, v24 offset:608
	s_waitcnt lgkmcnt(0)
	v_add_f32_e32 v19, v19, v25
	s_or_b32 exec_lo, exec_lo, s0
	s_and_saveexec_b32 s0, vcc_lo
	s_cbranch_execz .LBB43_135
.LBB43_186:
	ds_read_b32 v25, v24 offset:640
	s_waitcnt lgkmcnt(0)
	v_add_f32_e32 v20, v20, v25
	s_or_b32 exec_lo, exec_lo, s0
	s_and_saveexec_b32 s0, vcc_lo
	s_cbranch_execz .LBB43_136
.LBB43_187:
	ds_read_b32 v25, v24 offset:672
	s_waitcnt lgkmcnt(0)
	v_add_f32_e32 v21, v21, v25
	s_or_b32 exec_lo, exec_lo, s0
	s_and_saveexec_b32 s0, vcc_lo
	s_cbranch_execz .LBB43_137
.LBB43_188:
	ds_read_b32 v25, v24 offset:704
	s_waitcnt lgkmcnt(0)
	v_add_f32_e32 v22, v22, v25
	s_or_b32 exec_lo, exec_lo, s0
	s_and_saveexec_b32 s0, vcc_lo
	s_cbranch_execnz .LBB43_138
	s_branch .LBB43_139
	.section	.rodata,"a",@progbits
	.p2align	6, 0x0
	.amdhsa_kernel _ZN4vllm25paged_attention_v2_kernelIffLi192ELi16ELi128ELNS_18Fp8KVCacheDataTypeE0ELb0ELi512EEEvPfS2_PT_PKS3_PKT0_S9_ifPKiSB_iPKfiiiSD_SD_iiiii
		.amdhsa_group_segment_fixed_size 800
		.amdhsa_private_segment_fixed_size 56
		.amdhsa_kernarg_size 400
		.amdhsa_user_sgpr_count 6
		.amdhsa_user_sgpr_private_segment_buffer 1
		.amdhsa_user_sgpr_dispatch_ptr 0
		.amdhsa_user_sgpr_queue_ptr 0
		.amdhsa_user_sgpr_kernarg_segment_ptr 1
		.amdhsa_user_sgpr_dispatch_id 0
		.amdhsa_user_sgpr_flat_scratch_init 0
		.amdhsa_user_sgpr_private_segment_size 0
		.amdhsa_wavefront_size32 1
		.amdhsa_uses_dynamic_stack 0
		.amdhsa_system_sgpr_private_segment_wavefront_offset 1
		.amdhsa_system_sgpr_workgroup_id_x 1
		.amdhsa_system_sgpr_workgroup_id_y 1
		.amdhsa_system_sgpr_workgroup_id_z 1
		.amdhsa_system_sgpr_workgroup_info 0
		.amdhsa_system_vgpr_workitem_id 0
		.amdhsa_next_free_vgpr 128
		.amdhsa_next_free_sgpr 40
		.amdhsa_reserve_vcc 1
		.amdhsa_reserve_flat_scratch 0
		.amdhsa_float_round_mode_32 0
		.amdhsa_float_round_mode_16_64 0
		.amdhsa_float_denorm_mode_32 3
		.amdhsa_float_denorm_mode_16_64 3
		.amdhsa_dx10_clamp 1
		.amdhsa_ieee_mode 1
		.amdhsa_fp16_overflow 0
		.amdhsa_workgroup_processor_mode 1
		.amdhsa_memory_ordered 1
		.amdhsa_forward_progress 1
		.amdhsa_shared_vgpr_count 0
		.amdhsa_exception_fp_ieee_invalid_op 0
		.amdhsa_exception_fp_denorm_src 0
		.amdhsa_exception_fp_ieee_div_zero 0
		.amdhsa_exception_fp_ieee_overflow 0
		.amdhsa_exception_fp_ieee_underflow 0
		.amdhsa_exception_fp_ieee_inexact 0
		.amdhsa_exception_int_div_zero 0
	.end_amdhsa_kernel
	.section	.text._ZN4vllm25paged_attention_v2_kernelIffLi192ELi16ELi128ELNS_18Fp8KVCacheDataTypeE0ELb0ELi512EEEvPfS2_PT_PKS3_PKT0_S9_ifPKiSB_iPKfiiiSD_SD_iiiii,"axG",@progbits,_ZN4vllm25paged_attention_v2_kernelIffLi192ELi16ELi128ELNS_18Fp8KVCacheDataTypeE0ELb0ELi512EEEvPfS2_PT_PKS3_PKT0_S9_ifPKiSB_iPKfiiiSD_SD_iiiii,comdat
.Lfunc_end43:
	.size	_ZN4vllm25paged_attention_v2_kernelIffLi192ELi16ELi128ELNS_18Fp8KVCacheDataTypeE0ELb0ELi512EEEvPfS2_PT_PKS3_PKT0_S9_ifPKiSB_iPKfiiiSD_SD_iiiii, .Lfunc_end43-_ZN4vllm25paged_attention_v2_kernelIffLi192ELi16ELi128ELNS_18Fp8KVCacheDataTypeE0ELb0ELi512EEEvPfS2_PT_PKS3_PKT0_S9_ifPKiSB_iPKfiiiSD_SD_iiiii
                                        ; -- End function
	.set _ZN4vllm25paged_attention_v2_kernelIffLi192ELi16ELi128ELNS_18Fp8KVCacheDataTypeE0ELb0ELi512EEEvPfS2_PT_PKS3_PKT0_S9_ifPKiSB_iPKfiiiSD_SD_iiiii.num_vgpr, 128
	.set _ZN4vllm25paged_attention_v2_kernelIffLi192ELi16ELi128ELNS_18Fp8KVCacheDataTypeE0ELb0ELi512EEEvPfS2_PT_PKS3_PKT0_S9_ifPKiSB_iPKfiiiSD_SD_iiiii.num_agpr, 0
	.set _ZN4vllm25paged_attention_v2_kernelIffLi192ELi16ELi128ELNS_18Fp8KVCacheDataTypeE0ELb0ELi512EEEvPfS2_PT_PKS3_PKT0_S9_ifPKiSB_iPKfiiiSD_SD_iiiii.numbered_sgpr, 40
	.set _ZN4vllm25paged_attention_v2_kernelIffLi192ELi16ELi128ELNS_18Fp8KVCacheDataTypeE0ELb0ELi512EEEvPfS2_PT_PKS3_PKT0_S9_ifPKiSB_iPKfiiiSD_SD_iiiii.num_named_barrier, 0
	.set _ZN4vllm25paged_attention_v2_kernelIffLi192ELi16ELi128ELNS_18Fp8KVCacheDataTypeE0ELb0ELi512EEEvPfS2_PT_PKS3_PKT0_S9_ifPKiSB_iPKfiiiSD_SD_iiiii.private_seg_size, 56
	.set _ZN4vllm25paged_attention_v2_kernelIffLi192ELi16ELi128ELNS_18Fp8KVCacheDataTypeE0ELb0ELi512EEEvPfS2_PT_PKS3_PKT0_S9_ifPKiSB_iPKfiiiSD_SD_iiiii.uses_vcc, 1
	.set _ZN4vllm25paged_attention_v2_kernelIffLi192ELi16ELi128ELNS_18Fp8KVCacheDataTypeE0ELb0ELi512EEEvPfS2_PT_PKS3_PKT0_S9_ifPKiSB_iPKfiiiSD_SD_iiiii.uses_flat_scratch, 0
	.set _ZN4vllm25paged_attention_v2_kernelIffLi192ELi16ELi128ELNS_18Fp8KVCacheDataTypeE0ELb0ELi512EEEvPfS2_PT_PKS3_PKT0_S9_ifPKiSB_iPKfiiiSD_SD_iiiii.has_dyn_sized_stack, 0
	.set _ZN4vllm25paged_attention_v2_kernelIffLi192ELi16ELi128ELNS_18Fp8KVCacheDataTypeE0ELb0ELi512EEEvPfS2_PT_PKS3_PKT0_S9_ifPKiSB_iPKfiiiSD_SD_iiiii.has_recursion, 0
	.set _ZN4vllm25paged_attention_v2_kernelIffLi192ELi16ELi128ELNS_18Fp8KVCacheDataTypeE0ELb0ELi512EEEvPfS2_PT_PKS3_PKT0_S9_ifPKiSB_iPKfiiiSD_SD_iiiii.has_indirect_call, 0
	.section	.AMDGPU.csdata,"",@progbits
; Kernel info:
; codeLenInByte = 10968
; TotalNumSgprs: 42
; NumVgprs: 128
; ScratchSize: 56
; MemoryBound: 0
; FloatMode: 240
; IeeeMode: 1
; LDSByteSize: 800 bytes/workgroup (compile time only)
; SGPRBlocks: 0
; VGPRBlocks: 15
; NumSGPRsForWavesPerEU: 42
; NumVGPRsForWavesPerEU: 128
; Occupancy: 8
; WaveLimiterHint : 1
; COMPUTE_PGM_RSRC2:SCRATCH_EN: 1
; COMPUTE_PGM_RSRC2:USER_SGPR: 6
; COMPUTE_PGM_RSRC2:TRAP_HANDLER: 0
; COMPUTE_PGM_RSRC2:TGID_X_EN: 1
; COMPUTE_PGM_RSRC2:TGID_Y_EN: 1
; COMPUTE_PGM_RSRC2:TGID_Z_EN: 1
; COMPUTE_PGM_RSRC2:TIDIG_COMP_CNT: 0
	.section	.text._ZN4vllm25paged_attention_v2_kernelIffLi256ELi16ELi128ELNS_18Fp8KVCacheDataTypeE0ELb0ELi512EEEvPfS2_PT_PKS3_PKT0_S9_ifPKiSB_iPKfiiiSD_SD_iiiii,"axG",@progbits,_ZN4vllm25paged_attention_v2_kernelIffLi256ELi16ELi128ELNS_18Fp8KVCacheDataTypeE0ELb0ELi512EEEvPfS2_PT_PKS3_PKT0_S9_ifPKiSB_iPKfiiiSD_SD_iiiii,comdat
	.protected	_ZN4vllm25paged_attention_v2_kernelIffLi256ELi16ELi128ELNS_18Fp8KVCacheDataTypeE0ELb0ELi512EEEvPfS2_PT_PKS3_PKT0_S9_ifPKiSB_iPKfiiiSD_SD_iiiii ; -- Begin function _ZN4vllm25paged_attention_v2_kernelIffLi256ELi16ELi128ELNS_18Fp8KVCacheDataTypeE0ELb0ELi512EEEvPfS2_PT_PKS3_PKT0_S9_ifPKiSB_iPKfiiiSD_SD_iiiii
	.globl	_ZN4vllm25paged_attention_v2_kernelIffLi256ELi16ELi128ELNS_18Fp8KVCacheDataTypeE0ELb0ELi512EEEvPfS2_PT_PKS3_PKT0_S9_ifPKiSB_iPKfiiiSD_SD_iiiii
	.p2align	8
	.type	_ZN4vllm25paged_attention_v2_kernelIffLi256ELi16ELi128ELNS_18Fp8KVCacheDataTypeE0ELb0ELi512EEEvPfS2_PT_PKS3_PKT0_S9_ifPKiSB_iPKfiiiSD_SD_iiiii,@function
_ZN4vllm25paged_attention_v2_kernelIffLi256ELi16ELi128ELNS_18Fp8KVCacheDataTypeE0ELb0ELi512EEEvPfS2_PT_PKS3_PKT0_S9_ifPKiSB_iPKfiiiSD_SD_iiiii: ; @_ZN4vllm25paged_attention_v2_kernelIffLi256ELi16ELi128ELNS_18Fp8KVCacheDataTypeE0ELb0ELi512EEEvPfS2_PT_PKS3_PKT0_S9_ifPKiSB_iPKfiiiSD_SD_iiiii
; %bb.0:
	s_mov_b64 s[42:43], s[2:3]
	s_mov_b64 s[40:41], s[0:1]
	s_load_dwordx2 s[0:1], s[4:5], 0x40
	s_add_u32 s40, s40, s9
	s_addc_u32 s41, s41, 0
	s_mov_b32 s22, s7
	s_ashr_i32 s23, s7, 31
	s_lshl_b64 s[2:3], s[22:23], 2
	s_waitcnt lgkmcnt(0)
	s_add_u32 s0, s0, s2
	s_addc_u32 s1, s1, s3
	s_lshl_b32 s30, s8, 9
	s_load_dword s23, s[0:1], 0x0
	s_waitcnt lgkmcnt(0)
	s_cmp_ge_i32 s30, s23
	s_cbranch_scc1 .LBB44_174
; %bb.1:
	s_clause 0x1
	s_load_dword s9, s[4:5], 0x90
	s_load_dwordx2 s[2:3], s[4:5], 0x30
	v_mov_b32_e32 v55, v0
	s_mov_b32 s33, 0
	s_waitcnt lgkmcnt(0)
	s_abs_i32 s10, s9
	s_abs_i32 s0, s2
	s_xor_b32 s2, s9, s2
	v_cvt_f32_u32_e32 v0, s0
	s_sub_i32 s7, 0, s0
	s_ashr_i32 s2, s2, 31
	v_rcp_iflag_f32_e32 v0, v0
	v_mul_f32_e32 v0, 0x4f7ffffe, v0
	v_cvt_u32_f32_e32 v0, v0
	v_readfirstlane_b32 s1, v0
	s_mul_i32 s7, s7, s1
	s_mul_hi_u32 s7, s1, s7
	s_add_i32 s1, s1, s7
	s_mul_hi_u32 s1, s10, s1
	s_mul_i32 s7, s1, s0
	s_sub_i32 s7, s10, s7
	s_add_i32 s10, s1, 1
	s_sub_i32 s11, s7, s0
	s_cmp_ge_u32 s7, s0
	s_cselect_b32 s1, s10, s1
	s_cselect_b32 s7, s11, s7
	s_add_i32 s10, s1, 1
	s_cmp_ge_u32 s7, s0
	s_cselect_b32 s0, s10, s1
	s_abs_i32 s17, s6
	s_xor_b32 s0, s0, s2
	s_sub_i32 s10, s0, s2
	s_load_dwordx2 s[0:1], s[4:5], 0x50
	s_abs_i32 s2, s10
	v_cvt_f32_u32_e32 v0, s2
	s_sub_i32 s11, 0, s2
	v_rcp_iflag_f32_e32 v0, v0
	v_mul_f32_e32 v0, 0x4f7ffffe, v0
	v_cvt_u32_f32_e32 v0, v0
	v_readfirstlane_b32 s7, v0
	s_mul_i32 s11, s11, s7
	s_mul_hi_u32 s11, s7, s11
	s_add_i32 s7, s7, s11
	s_waitcnt lgkmcnt(0)
	s_cmp_eq_u64 s[0:1], 0
	s_mul_hi_u32 s16, s17, s7
	s_cbranch_scc1 .LBB44_3
; %bb.2:
	s_ashr_i32 s7, s6, 31
	s_lshl_b64 s[12:13], s[6:7], 2
	s_add_u32 s0, s0, s12
	s_addc_u32 s1, s1, s13
	s_load_dword s33, s[0:1], 0x0
.LBB44_3:
	s_load_dwordx4 s[12:15], s[4:5], 0x58
	v_and_b32_e32 v0, 1, v55
	v_lshlrev_b32_e32 v1, 3, v55
	v_lshlrev_b32_e32 v14, 2, v55
	s_ashr_i32 s0, s6, 31
	s_ashr_i32 s1, s10, 31
	s_lshl_b32 s10, s6, 8
	s_mov_b32 s7, exec_lo
	v_cmpx_gt_u32_e32 0x80, v55
	s_cbranch_execz .LBB44_5
; %bb.4:
	s_load_dwordx2 s[18:19], s[4:5], 0x18
	s_waitcnt lgkmcnt(0)
	s_mul_i32 s20, s12, s22
	v_and_b32_e32 v4, 0xff8, v14
	s_ashr_i32 s21, s20, 31
	s_lshl_b64 s[20:21], s[20:21], 2
	v_lshl_add_u32 v4, v0, 9, v4
	s_add_u32 s12, s18, s20
	s_addc_u32 s15, s19, s21
	s_ashr_i32 s11, s10, 31
	s_lshl_b64 s[18:19], s[10:11], 2
	s_add_u32 s18, s12, s18
	s_addc_u32 s19, s15, s19
	global_load_dwordx2 v[2:3], v1, s[18:19]
	s_waitcnt vmcnt(0)
	ds_write_b64 v4, v[2:3]
.LBB44_5:
	s_or_b32 exec_lo, exec_lo, s7
	s_add_i32 s7, s23, 15
	s_load_dwordx2 s[24:25], s[4:5], 0x38
	s_waitcnt lgkmcnt(0)
	s_load_dword s15, s[4:5], 0x48
	s_ashr_i32 s11, s7, 31
	s_lshl_b32 s31, s8, 5
	s_lshr_b32 s11, s11, 28
	s_xor_b32 s0, s0, s1
	s_add_i32 s7, s7, s11
	s_add_i32 s1, s31, 32
	s_ashr_i32 s12, s7, 4
	s_mul_i32 s7, s16, s2
	s_min_i32 s11, s1, s12
	s_sub_i32 s1, s17, s7
	s_add_i32 s7, s16, 1
	s_sub_i32 s17, s1, s2
	s_cmp_ge_u32 s1, s2
	v_lshrrev_b32_e32 v125, 5, v55
	s_cselect_b32 s7, s7, s16
	s_cselect_b32 s1, s17, s1
	s_add_i32 s16, s7, 1
	s_cmp_ge_u32 s1, s2
	v_or_b32_e32 v11, s31, v125
	s_cselect_b32 s1, s16, s7
	v_mbcnt_lo_u32_b32 v13, -1, 0
	s_xor_b32 s1, s1, s0
	s_waitcnt lgkmcnt(0)
	s_mul_i32 s26, s15, s22
	s_sub_i32 s1, s1, s0
	v_cmp_gt_i32_e64 s0, s11, v11
	s_ashr_i32 s27, s26, 31
	s_mov_b32 s2, exec_lo
	s_barrier
	buffer_gl0_inv
                                        ; implicit-def: $vgpr8
                                        ; implicit-def: $vgpr9
	v_cmpx_le_i32_e64 s11, v11
	s_xor_b32 s2, exec_lo, s2
; %bb.6:
	v_mov_b32_e32 v8, 0
	v_mbcnt_lo_u32_b32 v13, -1, 0
	v_mov_b32_e32 v9, 32
                                        ; implicit-def: $vgpr1
                                        ; implicit-def: $vgpr0
; %bb.7:
	s_or_saveexec_b32 s34, s2
	s_clause 0x3
	s_load_dwordx4 s[16:19], s[4:5], 0x0
	s_load_dwordx2 s[20:21], s[4:5], 0x10
	s_load_dwordx2 s[28:29], s[4:5], 0x28
	s_load_dword s7, s[4:5], 0x98
	v_mov_b32_e32 v32, 0xff7fffff
	v_ashrrev_i32_e32 v12, 31, v11
	s_mul_i32 s14, s1, s14
	buffer_store_dword v55, off, s[40:43], 0 offset:280 ; 4-byte Folded Spill
	buffer_store_dword v125, off, s[40:43], 0 offset:284 ; 4-byte Folded Spill
	s_xor_b32 exec_lo, exec_lo, s34
	s_cbranch_execz .LBB44_13
; %bb.8:
	s_load_dwordx2 s[36:37], s[4:5], 0x20
	v_bfe_u32 v5, v55, 1, 4
	s_ashr_i32 s15, s14, 31
	v_and_b32_e32 v1, 8, v1
	s_lshl_b64 s[38:39], s[14:15], 2
	buffer_store_dword v14, off, s[40:43], 0 offset:164 ; 4-byte Folded Spill
	v_lshlrev_b32_e32 v2, 4, v5
	v_lshlrev_b32_e32 v6, 2, v5
	v_mov_b32_e32 v31, v12
	v_mov_b32_e32 v32, 0xff7fffff
	;; [unrolled: 1-line block ×3, first 2 shown]
	s_mov_b32 s4, s13
	s_mov_b32 s5, 0
	s_waitcnt lgkmcnt(0)
	s_add_u32 s1, s36, s38
	s_addc_u32 s2, s37, s39
	v_add_co_u32 v2, s1, s1, v2
	v_add_co_ci_u32_e64 v3, null, s2, 0, s1
	s_lshl_b64 s[36:37], s[26:27], 2
	v_add_co_u32 v1, vcc_lo, v2, v1
	v_xor_b32_e32 v2, 1, v13
	s_sub_i32 s15, 1, s23
	s_add_u32 s2, s24, s36
	buffer_store_dword v1, off, s[40:43], 0 ; 4-byte Folded Spill
	v_add_co_ci_u32_e64 v1, null, 0, v3, vcc_lo
	v_cmp_gt_i32_e32 vcc_lo, 32, v2
	s_addc_u32 s35, s25, s37
	v_cmp_neq_f32_e64 s1, s33, 0
	buffer_store_dword v1, off, s[40:43], 0 offset:16 ; 4-byte Folded Spill
	v_lshlrev_b32_e32 v1, 9, v0
	v_cndmask_b32_e32 v2, v13, v2, vcc_lo
	v_cmp_eq_u32_e32 vcc_lo, 0, v0
	v_lshlrev_b32_e32 v0, 4, v125
	ds_read_b128 v[7:10], v1
	v_lshlrev_b32_e32 v2, 2, v2
	s_waitcnt lgkmcnt(0)
	buffer_store_dword v7, off, s[40:43], 0 offset:32 ; 4-byte Folded Spill
	buffer_store_dword v8, off, s[40:43], 0 offset:36 ; 4-byte Folded Spill
	buffer_store_dword v9, off, s[40:43], 0 offset:40 ; 4-byte Folded Spill
	buffer_store_dword v10, off, s[40:43], 0 offset:44 ; 4-byte Folded Spill
	ds_read_b128 v[7:10], v1 offset:16
	v_add3_u32 v127, s30, v0, v5
	v_lshl_or_b32 v0, v125, 6, v6
	v_lshlrev_b64 v[5:6], 2, v[11:12]
	s_waitcnt lgkmcnt(0)
	buffer_store_dword v7, off, s[40:43], 0 offset:48 ; 4-byte Folded Spill
	buffer_store_dword v8, off, s[40:43], 0 offset:52 ; 4-byte Folded Spill
	;; [unrolled: 1-line block ×4, first 2 shown]
	ds_read_b128 v[7:10], v1 offset:32
	v_add_co_u32 v125, s2, s2, v5
	v_add_nc_u32_e32 v0, 0x420, v0
	v_add_co_ci_u32_e64 v126, null, s35, v6, s2
	s_waitcnt lgkmcnt(0)
	buffer_store_dword v7, off, s[40:43], 0 offset:64 ; 4-byte Folded Spill
	buffer_store_dword v8, off, s[40:43], 0 offset:68 ; 4-byte Folded Spill
	buffer_store_dword v9, off, s[40:43], 0 offset:72 ; 4-byte Folded Spill
	buffer_store_dword v10, off, s[40:43], 0 offset:76 ; 4-byte Folded Spill
	ds_read_b128 v[7:10], v1 offset:48
	s_waitcnt lgkmcnt(0)
	buffer_store_dword v7, off, s[40:43], 0 offset:80 ; 4-byte Folded Spill
	buffer_store_dword v8, off, s[40:43], 0 offset:84 ; 4-byte Folded Spill
	buffer_store_dword v9, off, s[40:43], 0 offset:88 ; 4-byte Folded Spill
	buffer_store_dword v10, off, s[40:43], 0 offset:92 ; 4-byte Folded Spill
	ds_read_b128 v[7:10], v1 offset:64
	;; [unrolled: 6-line block ×6, first 2 shown]
	ds_read_b128 v[37:40], v1 offset:144
	ds_read_b128 v[41:44], v1 offset:160
	;; [unrolled: 1-line block ×4, first 2 shown]
	buffer_store_dword v13, off, s[40:43], 0 offset:168 ; 4-byte Folded Spill
	buffer_store_dword v2, off, s[40:43], 0 offset:160 ; 4-byte Folded Spill
	ds_read_b128 v[53:56], v1 offset:208
	ds_read_b128 v[57:60], v1 offset:224
	;; [unrolled: 1-line block ×19, first 2 shown]
	v_mov_b32_e32 v13, v11
	s_branch .LBB44_10
.LBB44_9:                               ;   in Loop: Header=BB44_10 Depth=1
	s_or_b32 exec_lo, exec_lo, s35
	v_add_nc_u32_e32 v13, 4, v13
	v_add_co_u32 v125, s2, v125, 16
	v_add_co_ci_u32_e64 v126, null, 0, v126, s2
	v_cmp_le_i32_e64 s2, s11, v13
	v_add_nc_u32_e32 v127, 64, v127
	v_add_nc_u32_e32 v0, 0x100, v0
	s_or_b32 s5, s2, s5
	s_andn2_b32 exec_lo, exec_lo, s5
	s_cbranch_execz .LBB44_12
.LBB44_10:                              ; =>This Inner Loop Header: Depth=1
	global_load_dword v5, v[125:126], off
	buffer_load_dword v7, off, s[40:43], 0  ; 4-byte Folded Reload
	s_waitcnt vmcnt(1) lgkmcnt(0)
	v_mad_i64_i32 v[5:6], null, v5, s4, 0
	v_lshlrev_b64 v[5:6], 2, v[5:6]
	s_waitcnt vmcnt(0)
	v_add_co_u32 v9, s2, v7, v5
	buffer_load_dword v5, off, s[40:43], 0 offset:16 ; 4-byte Folded Reload
	s_waitcnt vmcnt(0)
	v_add_co_ci_u32_e64 v10, null, v5, v6, s2
	s_clause 0x3
	global_load_dwordx2 v[5:6], v[9:10], off offset:256
	global_load_dwordx2 v[7:8], v[9:10], off offset:512
	;; [unrolled: 1-line block ×3, first 2 shown]
	global_load_dwordx2 v[16:17], v[9:10], off
	s_clause 0x3
	buffer_load_dword v18, off, s[40:43], 0 offset:32
	buffer_load_dword v19, off, s[40:43], 0 offset:36
	;; [unrolled: 1-line block ×4, first 2 shown]
	s_waitcnt vmcnt(1)
	v_mul_f32_e32 v14, v20, v5
	s_waitcnt vmcnt(0)
	v_mul_f32_e32 v15, v21, v6
	v_fmac_f32_e32 v14, v18, v16
	v_fmac_f32_e32 v15, v19, v17
	s_clause 0x3
	buffer_load_dword v16, off, s[40:43], 0 offset:48
	buffer_load_dword v17, off, s[40:43], 0 offset:52
	;; [unrolled: 1-line block ×4, first 2 shown]
	s_waitcnt vmcnt(3)
	v_fmac_f32_e32 v14, v16, v7
	s_waitcnt vmcnt(2)
	v_fmac_f32_e32 v15, v17, v8
	;; [unrolled: 2-line block ×4, first 2 shown]
	s_clause 0x3
	global_load_dwordx2 v[5:6], v[9:10], off offset:1024
	global_load_dwordx2 v[7:8], v[9:10], off offset:1280
	;; [unrolled: 1-line block ×4, first 2 shown]
	s_clause 0x3
	buffer_load_dword v18, off, s[40:43], 0 offset:64
	buffer_load_dword v19, off, s[40:43], 0 offset:68
	;; [unrolled: 1-line block ×4, first 2 shown]
	s_waitcnt vmcnt(3)
	v_fmac_f32_e32 v14, v18, v5
	s_waitcnt vmcnt(2)
	v_fmac_f32_e32 v15, v19, v6
	;; [unrolled: 2-line block ×4, first 2 shown]
	s_clause 0x3
	buffer_load_dword v5, off, s[40:43], 0 offset:80
	buffer_load_dword v6, off, s[40:43], 0 offset:84
	;; [unrolled: 1-line block ×4, first 2 shown]
	s_waitcnt vmcnt(3)
	v_fmac_f32_e32 v14, v5, v11
	s_waitcnt vmcnt(2)
	v_fmac_f32_e32 v15, v6, v12
	v_add_co_u32 v5, s2, v9, 0x1000
	v_add_co_ci_u32_e64 v6, null, 0, v10, s2
	s_waitcnt vmcnt(1)
	v_fmac_f32_e32 v14, v7, v16
	v_add_co_u32 v7, s2, 0x3800, v9
	s_waitcnt vmcnt(0)
	v_fmac_f32_e32 v15, v8, v17
	v_add_co_ci_u32_e64 v8, null, 0, v10, s2
	s_clause 0x2
	global_load_dwordx2 v[11:12], v[5:6], off offset:-2048
	global_load_dwordx2 v[16:17], v[5:6], off
	global_load_dwordx2 v[5:6], v[7:8], off offset:1792
	s_clause 0x3
	buffer_load_dword v24, off, s[40:43], 0 offset:96
	buffer_load_dword v25, off, s[40:43], 0 offset:100
	;; [unrolled: 1-line block ×4, first 2 shown]
	s_waitcnt vmcnt(3)
	v_fmac_f32_e32 v14, v24, v11
	v_add_co_u32 v11, s2, 0x800, v9
	s_waitcnt vmcnt(2)
	v_fmac_f32_e32 v15, v25, v12
	v_add_co_ci_u32_e64 v12, null, 0, v10, s2
	s_clause 0x3
	global_load_dwordx2 v[18:19], v[11:12], off offset:256
	global_load_dwordx2 v[20:21], v[11:12], off offset:512
	;; [unrolled: 1-line block ×4, first 2 shown]
	s_waitcnt vmcnt(3)
	v_fmac_f32_e32 v14, v26, v18
	v_fmac_f32_e32 v15, v27, v19
	s_clause 0x3
	buffer_load_dword v26, off, s[40:43], 0 offset:112
	buffer_load_dword v27, off, s[40:43], 0 offset:116
	buffer_load_dword v28, off, s[40:43], 0 offset:120
	buffer_load_dword v29, off, s[40:43], 0 offset:124
	s_waitcnt vmcnt(3)
	v_fmac_f32_e32 v14, v26, v20
	s_waitcnt vmcnt(2)
	v_fmac_f32_e32 v15, v27, v21
	;; [unrolled: 2-line block ×4, first 2 shown]
	s_clause 0x3
	buffer_load_dword v26, off, s[40:43], 0 offset:128
	buffer_load_dword v27, off, s[40:43], 0 offset:132
	;; [unrolled: 1-line block ×4, first 2 shown]
	s_clause 0x2
	global_load_dwordx2 v[18:19], v[11:12], off offset:1280
	global_load_dwordx2 v[20:21], v[11:12], off offset:1536
	;; [unrolled: 1-line block ×3, first 2 shown]
	v_add_co_u32 v22, s2, 0x1000, v9
	v_add_co_ci_u32_e64 v23, null, 0, v10, s2
	s_waitcnt vmcnt(6)
	v_fmac_f32_e32 v14, v26, v24
	s_waitcnt vmcnt(5)
	v_fmac_f32_e32 v15, v27, v25
	global_load_dwordx2 v[24:25], v[22:23], off offset:256
	s_waitcnt vmcnt(3)
	v_fmac_f32_e32 v14, v28, v18
	v_fmac_f32_e32 v15, v29, v19
	s_clause 0x3
	buffer_load_dword v26, off, s[40:43], 0 offset:144
	buffer_load_dword v27, off, s[40:43], 0 offset:148
	;; [unrolled: 1-line block ×4, first 2 shown]
	s_waitcnt vmcnt(3)
	v_fmac_f32_e32 v14, v26, v20
	s_waitcnt vmcnt(2)
	v_fmac_f32_e32 v15, v27, v21
	;; [unrolled: 2-line block ×4, first 2 shown]
	s_waitcnt lgkmcnt(23)
	v_fmac_f32_e32 v14, v33, v16
	v_fmac_f32_e32 v15, v34, v17
	s_clause 0x3
	global_load_dwordx2 v[11:12], v[22:23], off offset:512
	global_load_dwordx2 v[16:17], v[22:23], off offset:768
	;; [unrolled: 1-line block ×4, first 2 shown]
	v_fmac_f32_e32 v14, v35, v24
	v_fmac_f32_e32 v15, v36, v25
	s_waitcnt vmcnt(3) lgkmcnt(22)
	v_fmac_f32_e32 v14, v37, v11
	v_fmac_f32_e32 v15, v38, v12
	s_waitcnt vmcnt(2)
	v_fmac_f32_e32 v14, v39, v16
	v_fmac_f32_e32 v15, v40, v17
	s_clause 0x1
	global_load_dwordx2 v[11:12], v[22:23], off offset:1536
	global_load_dwordx2 v[16:17], v[22:23], off offset:1792
	s_waitcnt vmcnt(3) lgkmcnt(21)
	v_fmac_f32_e32 v14, v41, v18
	v_fmac_f32_e32 v15, v42, v19
	v_add_co_u32 v18, s2, 0x1800, v9
	v_add_co_ci_u32_e64 v19, null, 0, v10, s2
	s_waitcnt vmcnt(2)
	v_fmac_f32_e32 v14, v43, v20
	v_fmac_f32_e32 v15, v44, v21
	s_clause 0x1
	global_load_dwordx2 v[20:21], v[18:19], off offset:256
	global_load_dwordx2 v[22:23], v[18:19], off offset:512
	s_waitcnt vmcnt(3) lgkmcnt(20)
	v_fmac_f32_e32 v14, v45, v11
	v_fmac_f32_e32 v15, v46, v12
	v_add_co_u32 v11, s2, v9, 0x2000
	v_add_co_ci_u32_e64 v12, null, 0, v10, s2
	s_waitcnt vmcnt(2)
	v_fmac_f32_e32 v14, v47, v16
	v_add_co_u32 v16, s2, v9, 0x3000
	v_fmac_f32_e32 v15, v48, v17
	v_add_co_ci_u32_e64 v17, null, 0, v10, s2
	s_clause 0x3
	global_load_dwordx2 v[24:25], v[11:12], off offset:-2048
	global_load_dwordx2 v[26:27], v[11:12], off
	global_load_dwordx2 v[28:29], v[16:17], off offset:-2048
	global_load_dwordx2 v[11:12], v[16:17], off
	s_waitcnt vmcnt(3) lgkmcnt(19)
	v_fmac_f32_e32 v14, v49, v24
	v_fmac_f32_e32 v15, v50, v25
	;; [unrolled: 1-line block ×4, first 2 shown]
	s_waitcnt lgkmcnt(18)
	v_fmac_f32_e32 v14, v53, v22
	v_fmac_f32_e32 v15, v54, v23
	s_clause 0x3
	global_load_dwordx2 v[16:17], v[18:19], off offset:768
	global_load_dwordx2 v[20:21], v[18:19], off offset:1024
	;; [unrolled: 1-line block ×4, first 2 shown]
	s_waitcnt vmcnt(3)
	v_fmac_f32_e32 v14, v55, v16
	v_fmac_f32_e32 v15, v56, v17
	global_load_dwordx2 v[16:17], v[18:19], off offset:1792
	v_add_co_u32 v18, s2, 0x2000, v9
	s_waitcnt vmcnt(3) lgkmcnt(17)
	v_fmac_f32_e32 v14, v57, v20
	v_fmac_f32_e32 v15, v58, v21
	v_add_co_ci_u32_e64 v19, null, 0, v10, s2
	s_waitcnt vmcnt(2)
	v_fmac_f32_e32 v14, v59, v22
	v_fmac_f32_e32 v15, v60, v23
	s_waitcnt vmcnt(1) lgkmcnt(16)
	v_fmac_f32_e32 v14, v61, v24
	v_fmac_f32_e32 v15, v62, v25
	s_clause 0x2
	global_load_dwordx2 v[20:21], v[18:19], off offset:256
	global_load_dwordx2 v[22:23], v[18:19], off offset:512
	;; [unrolled: 1-line block ×3, first 2 shown]
	s_waitcnt vmcnt(3)
	v_fmac_f32_e32 v14, v63, v16
	v_fmac_f32_e32 v15, v64, v17
	s_waitcnt lgkmcnt(15)
	v_fmac_f32_e32 v14, v65, v26
	v_fmac_f32_e32 v15, v66, v27
	s_waitcnt vmcnt(2)
	v_fmac_f32_e32 v14, v67, v20
	v_fmac_f32_e32 v15, v68, v21
	s_waitcnt vmcnt(1) lgkmcnt(14)
	v_fmac_f32_e32 v14, v69, v22
	v_fmac_f32_e32 v15, v70, v23
	s_clause 0x3
	global_load_dwordx2 v[16:17], v[18:19], off offset:1024
	global_load_dwordx2 v[20:21], v[18:19], off offset:1280
	;; [unrolled: 1-line block ×4, first 2 shown]
	s_waitcnt vmcnt(4)
	v_fmac_f32_e32 v14, v71, v24
	v_fmac_f32_e32 v15, v72, v25
	s_waitcnt vmcnt(3) lgkmcnt(13)
	v_fmac_f32_e32 v14, v73, v16
	v_fmac_f32_e32 v15, v74, v17
	v_add_co_u32 v16, s2, 0x2800, v9
	v_add_co_ci_u32_e64 v17, null, 0, v10, s2
	s_waitcnt vmcnt(2)
	v_fmac_f32_e32 v14, v75, v20
	v_fmac_f32_e32 v15, v76, v21
	v_add_co_u32 v9, s2, 0x3000, v9
	v_add_co_ci_u32_e64 v10, null, 0, v10, s2
	s_waitcnt vmcnt(1) lgkmcnt(12)
	v_fmac_f32_e32 v14, v77, v22
	v_fmac_f32_e32 v15, v78, v23
	s_waitcnt vmcnt(0)
	v_fmac_f32_e32 v14, v79, v18
	v_fmac_f32_e32 v15, v80, v19
	s_clause 0x3
	global_load_dwordx2 v[18:19], v[16:17], off offset:256
	global_load_dwordx2 v[20:21], v[16:17], off offset:512
	;; [unrolled: 1-line block ×4, first 2 shown]
	s_waitcnt lgkmcnt(11)
	v_fmac_f32_e32 v14, v81, v28
	v_fmac_f32_e32 v15, v82, v29
	s_waitcnt vmcnt(3)
	v_fmac_f32_e32 v14, v83, v18
	v_fmac_f32_e32 v15, v84, v19
	s_waitcnt vmcnt(2) lgkmcnt(10)
	v_fmac_f32_e32 v14, v85, v20
	v_fmac_f32_e32 v15, v86, v21
	s_waitcnt vmcnt(1)
	v_fmac_f32_e32 v14, v87, v22
	v_fmac_f32_e32 v15, v88, v23
	s_clause 0x3
	global_load_dwordx2 v[18:19], v[16:17], off offset:1280
	global_load_dwordx2 v[20:21], v[16:17], off offset:1536
	;; [unrolled: 1-line block ×4, first 2 shown]
	s_waitcnt vmcnt(4) lgkmcnt(9)
	v_fmac_f32_e32 v14, v89, v24
	v_fmac_f32_e32 v15, v90, v25
	s_waitcnt vmcnt(3)
	v_fmac_f32_e32 v14, v91, v18
	v_fmac_f32_e32 v15, v92, v19
	s_waitcnt vmcnt(2) lgkmcnt(8)
	v_fmac_f32_e32 v14, v93, v20
	v_fmac_f32_e32 v15, v94, v21
	s_waitcnt vmcnt(1)
	v_fmac_f32_e32 v14, v95, v16
	v_fmac_f32_e32 v15, v96, v17
	s_waitcnt lgkmcnt(7)
	v_fmac_f32_e32 v14, v97, v11
	v_fmac_f32_e32 v15, v98, v12
	s_clause 0x3
	global_load_dwordx2 v[11:12], v[9:10], off offset:512
	global_load_dwordx2 v[16:17], v[9:10], off offset:768
	;; [unrolled: 1-line block ×4, first 2 shown]
	s_waitcnt vmcnt(4)
	v_fmac_f32_e32 v14, v99, v22
	v_fmac_f32_e32 v15, v100, v23
	s_waitcnt vmcnt(3) lgkmcnt(6)
	v_fmac_f32_e32 v14, v101, v11
	v_fmac_f32_e32 v15, v102, v12
	s_waitcnt vmcnt(2)
	v_fmac_f32_e32 v14, v103, v16
	v_fmac_f32_e32 v15, v104, v17
	s_waitcnt vmcnt(1) lgkmcnt(5)
	v_fmac_f32_e32 v14, v105, v18
	v_fmac_f32_e32 v15, v106, v19
	s_clause 0x3
	global_load_dwordx2 v[11:12], v[9:10], off offset:1536
	global_load_dwordx2 v[9:10], v[9:10], off offset:1792
	global_load_dwordx2 v[16:17], v[7:8], off
	global_load_dwordx2 v[18:19], v[7:8], off offset:256
	s_waitcnt vmcnt(4)
	v_fmac_f32_e32 v14, v107, v20
	v_fmac_f32_e32 v15, v108, v21
	s_waitcnt vmcnt(3) lgkmcnt(4)
	v_fmac_f32_e32 v14, v109, v11
	v_fmac_f32_e32 v15, v110, v12
	s_waitcnt vmcnt(2)
	v_fmac_f32_e32 v14, v111, v9
	v_fmac_f32_e32 v15, v112, v10
	s_waitcnt vmcnt(1) lgkmcnt(3)
	v_fmac_f32_e32 v14, v113, v16
	v_fmac_f32_e32 v15, v114, v17
	s_waitcnt vmcnt(0)
	v_fmac_f32_e32 v14, v115, v18
	v_fmac_f32_e32 v15, v116, v19
	s_clause 0x4
	global_load_dwordx2 v[9:10], v[7:8], off offset:512
	global_load_dwordx2 v[11:12], v[7:8], off offset:768
	;; [unrolled: 1-line block ×5, first 2 shown]
	s_waitcnt vmcnt(4) lgkmcnt(2)
	v_fmac_f32_e32 v15, v118, v10
	v_fmac_f32_e32 v14, v117, v9
	s_waitcnt vmcnt(3)
	v_fmac_f32_e32 v15, v120, v12
	v_fmac_f32_e32 v14, v119, v11
	s_waitcnt vmcnt(2) lgkmcnt(1)
	v_fmac_f32_e32 v15, v122, v17
	v_fmac_f32_e32 v14, v121, v16
	s_waitcnt vmcnt(1)
	v_fmac_f32_e32 v15, v124, v19
	v_fmac_f32_e32 v14, v123, v18
	s_waitcnt vmcnt(0) lgkmcnt(0)
	v_fmac_f32_e32 v15, v2, v8
	v_fmac_f32_e32 v14, v1, v7
	;; [unrolled: 1-line block ×3, first 2 shown]
	buffer_load_dword v6, off, s[40:43], 0 offset:160 ; 4-byte Folded Reload
	v_fmac_f32_e32 v14, v3, v5
	v_add_f32_e32 v5, v14, v15
	s_waitcnt vmcnt(0)
	ds_bpermute_b32 v6, v6, v5
	s_and_saveexec_b32 s35, vcc_lo
	s_cbranch_execz .LBB44_9
; %bb.11:                               ;   in Loop: Header=BB44_10 Depth=1
	v_add_nc_u32_e32 v7, s15, v127
	s_waitcnt lgkmcnt(0)
	v_add_f32_e32 v5, v5, v6
	v_cmp_gt_i32_e64 s2, s23, v127
	v_cvt_f32_i32_e32 v7, v7
	v_mul_f32_e32 v7, s33, v7
	v_cndmask_b32_e64 v6, 0, v7, s1
	v_max_f32_e32 v7, v32, v32
	v_fmac_f32_e32 v6, s3, v5
	v_max_f32_e32 v5, v7, v6
	v_cndmask_b32_e64 v6, 0, v6, s2
	v_cndmask_b32_e64 v32, v32, v5, s2
	ds_write_b32 v0, v6
	s_branch .LBB44_9
.LBB44_12:
	s_or_b32 exec_lo, exec_lo, s5
	s_clause 0x3
	buffer_load_dword v55, off, s[40:43], 0 offset:280
	buffer_load_dword v125, off, s[40:43], 0 offset:284
	;; [unrolled: 1-line block ×4, first 2 shown]
	v_mov_b32_e32 v11, v30
	v_mov_b32_e32 v12, v31
	;; [unrolled: 1-line block ×4, first 2 shown]
.LBB44_13:
	s_or_b32 exec_lo, exec_lo, s34
	s_waitcnt vmcnt(0)
	v_xor_b32_e32 v0, 16, v13
	v_xor_b32_e32 v2, 8, v13
	v_max_f32_e32 v4, v32, v32
	v_xor_b32_e32 v5, 2, v13
	v_and_b32_e32 v56, 31, v55
	v_cmp_lt_i32_e32 vcc_lo, v0, v9
	v_cndmask_b32_e32 v0, v13, v0, vcc_lo
	v_cmp_lt_i32_e32 vcc_lo, v2, v9
	v_lshlrev_b32_e32 v1, 2, v0
	v_cndmask_b32_e32 v2, v13, v2, vcc_lo
	ds_bpermute_b32 v0, v1, v32
	v_lshlrev_b32_e32 v3, 2, v2
	s_waitcnt lgkmcnt(0)
	v_max_f32_e32 v0, v0, v0
	v_max_f32_e32 v0, v4, v0
	v_xor_b32_e32 v4, 4, v13
	ds_bpermute_b32 v2, v3, v0
	v_cmp_lt_i32_e32 vcc_lo, v4, v9
	v_cndmask_b32_e32 v4, v13, v4, vcc_lo
	v_cmp_lt_i32_e32 vcc_lo, v5, v9
	v_lshlrev_b32_e32 v4, 2, v4
	v_cndmask_b32_e32 v5, v13, v5, vcc_lo
	v_cmp_eq_u32_e32 vcc_lo, 0, v56
	v_lshlrev_b32_e32 v38, 2, v5
	v_lshlrev_b32_e32 v5, 2, v125
	s_waitcnt lgkmcnt(0)
	v_max_f32_e32 v2, v2, v2
	v_max_f32_e32 v0, v0, v2
	ds_bpermute_b32 v2, v4, v0
	s_waitcnt lgkmcnt(0)
	v_max_f32_e32 v2, v2, v2
	v_max_f32_e32 v0, v0, v2
	ds_bpermute_b32 v2, v38, v0
	s_and_saveexec_b32 s1, vcc_lo
	s_cbranch_execz .LBB44_15
; %bb.14:
	s_waitcnt lgkmcnt(0)
	v_max_f32_e32 v2, v2, v2
	v_max_f32_e32 v0, v0, v0
	;; [unrolled: 1-line block ×3, first 2 shown]
	ds_write_b32 v5, v0 offset:1024
.LBB44_15:
	s_or_b32 exec_lo, exec_lo, s1
	v_cmp_gt_u32_e64 s1, 4, v56
	v_mov_b32_e32 v0, 0xff7fffff
	v_lshlrev_b32_e32 v6, 2, v56
	s_waitcnt lgkmcnt(0)
	s_waitcnt_vscnt null, 0x0
	s_barrier
	buffer_gl0_inv
	s_and_saveexec_b32 s2, s1
; %bb.16:
	ds_read_b32 v0, v6 offset:1024
; %bb.17:
	s_or_b32 exec_lo, exec_lo, s2
	s_waitcnt lgkmcnt(0)
	ds_bpermute_b32 v2, v38, v0
	v_xor_b32_e32 v7, 1, v13
	v_max_f32_e32 v0, v0, v0
	v_cmp_lt_i32_e64 s2, v7, v9
	v_cndmask_b32_e64 v7, v13, v7, s2
	s_sub_i32 s2, s11, s31
	s_lshl_b32 s2, s2, 4
	v_lshlrev_b32_e32 v54, 2, v7
	s_add_i32 s2, s2, s30
	v_mov_b32_e32 v7, 0
	s_min_i32 s2, s2, s23
	s_waitcnt lgkmcnt(0)
	v_max_f32_e32 v2, v2, v2
	s_sub_i32 s4, s2, s30
	v_cmp_gt_i32_e64 s2, s4, v55
	v_max_f32_e32 v0, v0, v2
	ds_bpermute_b32 v2, v54, v0
	s_waitcnt lgkmcnt(0)
	v_max_f32_e32 v2, v2, v2
	v_max_f32_e32 v0, v0, v2
	v_lshlrev_b32_e32 v2, 2, v8
	ds_bpermute_b32 v0, v2, v0
	v_lshl_add_u32 v2, v55, 2, 0x420
	s_and_saveexec_b32 s5, s2
	s_cbranch_execz .LBB44_21
; %bb.18:
	v_lshl_add_u32 v8, v55, 2, 0x420
	v_mov_b32_e32 v7, 0
	v_mov_b32_e32 v9, v55
	s_mov_b32 s15, 0
	.p2align	6
.LBB44_19:                              ; =>This Inner Loop Header: Depth=1
	ds_read_b32 v10, v8
	v_add_nc_u32_e32 v9, 0x80, v9
	v_cmp_le_i32_e64 s3, s4, v9
	s_or_b32 s15, s3, s15
	s_waitcnt lgkmcnt(0)
	v_sub_f32_e32 v10, v10, v0
	v_mul_f32_e32 v10, 0x3fb8aa3b, v10
	v_exp_f32_e32 v10, v10
	ds_write_b32 v8, v10
	v_add_f32_e32 v7, v7, v10
	v_add_nc_u32_e32 v8, 0x200, v8
	s_andn2_b32 exec_lo, exec_lo, s15
	s_cbranch_execnz .LBB44_19
; %bb.20:
	s_or_b32 exec_lo, exec_lo, s15
.LBB44_21:
	s_or_b32 exec_lo, exec_lo, s5
	ds_bpermute_b32 v1, v1, v7
	s_waitcnt lgkmcnt(0)
	v_add_f32_e32 v1, v7, v1
	ds_bpermute_b32 v3, v3, v1
	s_waitcnt lgkmcnt(0)
	v_add_f32_e32 v1, v1, v3
	;; [unrolled: 3-line block ×5, first 2 shown]
	s_and_saveexec_b32 s3, vcc_lo
; %bb.22:
	ds_write_b32 v5, v1 offset:1040
; %bb.23:
	s_or_b32 exec_lo, exec_lo, s3
	s_waitcnt lgkmcnt(0)
	s_barrier
	buffer_gl0_inv
	s_and_saveexec_b32 s3, s1
; %bb.24:
	ds_read_b32 v1, v6 offset:1040
; %bb.25:
	s_or_b32 exec_lo, exec_lo, s3
	s_waitcnt lgkmcnt(0)
	ds_bpermute_b32 v3, v38, v1
	v_lshlrev_b32_e32 v4, 2, v13
	s_waitcnt lgkmcnt(0)
	v_add_f32_e32 v1, v1, v3
	ds_bpermute_b32 v3, v54, v1
	s_waitcnt lgkmcnt(0)
	v_add_f32_e32 v1, v1, v3
	v_and_b32_e32 v3, 0xffffff80, v4
	ds_bpermute_b32 v1, v3, v1
	s_and_saveexec_b32 s1, s2
	s_cbranch_execz .LBB44_28
; %bb.26:
	s_waitcnt lgkmcnt(0)
	v_add_f32_e32 v3, 0x358637bd, v1
	s_mov_b32 s2, 0
	v_div_scale_f32 v4, null, v3, v3, 1.0
	v_div_scale_f32 v7, vcc_lo, 1.0, v3, 1.0
	v_rcp_f32_e32 v5, v4
	v_fma_f32 v6, -v4, v5, 1.0
	v_fmac_f32_e32 v5, v6, v5
	v_mul_f32_e32 v6, v7, v5
	v_fma_f32 v8, -v4, v6, v7
	v_fmac_f32_e32 v6, v8, v5
	v_fma_f32 v4, -v4, v6, v7
	v_div_fmas_f32 v4, v4, v5, v6
	v_div_fixup_f32 v3, v4, v3, 1.0
	v_mov_b32_e32 v4, v55
.LBB44_27:                              ; =>This Inner Loop Header: Depth=1
	ds_read_b32 v5, v2
	v_add_nc_u32_e32 v4, 0x80, v4
	v_cmp_le_i32_e32 vcc_lo, s4, v4
	s_or_b32 s2, vcc_lo, s2
	s_waitcnt lgkmcnt(0)
	v_mul_f32_e32 v5, v3, v5
	ds_write_b32 v2, v5
	v_add_nc_u32_e32 v2, 0x200, v2
	s_andn2_b32 exec_lo, exec_lo, s2
	s_cbranch_execnz .LBB44_27
.LBB44_28:
	s_or_b32 exec_lo, exec_lo, s1
	s_mul_i32 s1, s7, s22
	s_waitcnt lgkmcnt(0)
	s_mul_i32 s2, s1, s9
	s_mov_b32 s1, exec_lo
	s_barrier
	buffer_gl0_inv
	v_cmpx_eq_u32_e32 0, v55
	s_cbranch_execz .LBB44_30
; %bb.29:
	s_ashr_i32 s3, s2, 31
	s_mul_i32 s34, s7, s6
	s_lshl_b64 s[4:5], s[2:3], 2
	v_mov_b32_e32 v2, 0
	s_add_u32 s3, s18, s4
	s_addc_u32 s6, s19, s5
	s_ashr_i32 s35, s34, 31
	s_lshl_b64 s[18:19], s[34:35], 2
	s_add_u32 s3, s3, s18
	s_addc_u32 s6, s6, s19
	s_ashr_i32 s9, s8, 31
	s_lshl_b64 s[34:35], s[8:9], 2
	s_add_u32 s36, s3, s34
	s_addc_u32 s37, s6, s35
	s_add_u32 s3, s16, s4
	s_addc_u32 s4, s17, s5
	;; [unrolled: 2-line block ×4, first 2 shown]
	global_store_dword v2, v0, s[36:37]
	global_store_dword v2, v1, s[4:5]
.LBB44_30:
	s_or_b32 exec_lo, exec_lo, s1
	v_mov_b32_e32 v19, 0
	v_and_b32_e32 v57, 3, v55
	v_mov_b32_e32 v24, 0
	v_mov_b32_e32 v23, 0
	;; [unrolled: 1-line block ×31, first 2 shown]
	s_and_saveexec_b32 s1, s0
	s_cbranch_execz .LBB44_98
; %bb.31:
	v_and_b32_e32 v0, 12, v14
	v_lshlrev_b32_e32 v1, 4, v57
	v_lshl_add_u32 v3, v125, 4, s30
	v_mov_b32_e32 v4, 0
	s_ashr_i32 s15, s14, 31
	buffer_store_dword v54, off, s[40:43], 0 offset:296 ; 4-byte Folded Spill
	buffer_store_dword v38, off, s[40:43], 0 offset:292 ; 4-byte Folded Spill
	;; [unrolled: 1-line block ×3, first 2 shown]
	s_lshl_b64 s[4:5], s[14:15], 2
	v_and_b32_e32 v2, 0x7c, v14
	buffer_store_dword v4, off, s[40:43], 0 offset:48 ; 4-byte Folded Spill
	v_lshl_or_b32 v4, v125, 6, v1
	v_add3_u32 v125, v3, v0, 3
	v_lshlrev_b64 v[0:1], 2, v[11:12]
	s_add_u32 s3, s28, s4
	s_addc_u32 s4, s29, s5
	s_lshl_b64 s[14:15], s[26:27], 2
	s_add_i32 s5, s12, -1
	s_add_u32 s0, s24, s14
	v_or_b32_e32 v5, 0xf80, v14
	v_add_co_u32 v126, vcc_lo, s0, v0
	v_lshlrev_b32_e32 v0, 2, v2
	s_addc_u32 s6, s25, s15
	v_add_nc_u32_e32 v3, 0x420, v4
	v_add_co_ci_u32_e64 v127, null, s6, v1, vcc_lo
	buffer_store_dword v0, off, s[40:43], 0 offset:272 ; 4-byte Folded Spill
	v_lshlrev_b32_e32 v0, 2, v5
	v_mov_b32_e32 v7, 0
	v_mov_b32_e32 v6, 0
	;; [unrolled: 1-line block ×3, first 2 shown]
	s_mov_b32 s9, s13
	buffer_store_dword v0, off, s[40:43], 0 offset:276 ; 4-byte Folded Spill
	v_mov_b32_e32 v0, 0
	s_mov_b32 s6, 0
	buffer_store_dword v57, off, s[40:43], 0 offset:300 ; 4-byte Folded Spill
	buffer_store_dword v0, off, s[40:43], 0 offset:64 ; 4-byte Folded Spill
	v_mov_b32_e32 v0, 0
	buffer_store_dword v0, off, s[40:43], 0 offset:80 ; 4-byte Folded Spill
	v_mov_b32_e32 v0, 0
	;; [unrolled: 2-line block ×27, first 2 shown]
	buffer_store_dword v0, off, s[40:43], 0 offset:236 ; 4-byte Folded Spill
	s_branch .LBB44_33
.LBB44_32:                              ;   in Loop: Header=BB44_33 Depth=1
	s_or_b32 exec_lo, exec_lo, s0
	s_waitcnt lgkmcnt(0)
	v_mul_f32_e32 v0, v1, v9
	buffer_load_dword v9, off, s[40:43], 0 offset:64 ; 4-byte Folded Reload
	v_add_co_u32 v126, vcc_lo, v126, 16
	v_add_co_ci_u32_e64 v127, null, 0, v127, vcc_lo
	v_fmac_f32_e32 v0, v2, v10
	v_add_nc_u32_e32 v125, 64, v125
	v_fmac_f32_e32 v0, v3, v11
	v_fmac_f32_e32 v0, v4, v12
	s_waitcnt vmcnt(0)
	v_add_f32_e32 v9, v9, v0
	v_mul_f32_e32 v0, v1, v5
	buffer_load_dword v5, off, s[40:43], 0 offset:80 ; 4-byte Folded Reload
	buffer_store_dword v9, off, s[40:43], 0 offset:64 ; 4-byte Folded Spill
	v_fmac_f32_e32 v0, v2, v6
	buffer_load_dword v6, off, s[40:43], 0 offset:260 ; 4-byte Folded Reload
	v_fmac_f32_e32 v0, v3, v7
	buffer_load_dword v7, off, s[40:43], 0 offset:256 ; 4-byte Folded Reload
	;; [unrolled: 2-line block ×3, first 2 shown]
	s_waitcnt vmcnt(3)
	v_add_f32_e32 v5, v5, v0
	v_mul_f32_e32 v0, v1, v121
	buffer_store_dword v5, off, s[40:43], 0 offset:80 ; 4-byte Folded Spill
	buffer_load_dword v5, off, s[40:43], 0 offset:96 ; 4-byte Folded Reload
	v_fmac_f32_e32 v0, v2, v122
	v_fmac_f32_e32 v0, v3, v123
	v_fmac_f32_e32 v0, v4, v124
	s_waitcnt vmcnt(0)
	v_add_f32_e32 v5, v5, v0
	v_mul_f32_e32 v0, v1, v117
	buffer_store_dword v5, off, s[40:43], 0 offset:96 ; 4-byte Folded Spill
	buffer_load_dword v5, off, s[40:43], 0 offset:112 ; 4-byte Folded Reload
	v_fmac_f32_e32 v0, v2, v118
	v_fmac_f32_e32 v0, v3, v119
	v_fmac_f32_e32 v0, v4, v120
	;; [unrolled: 8-line block ×22, first 2 shown]
	v_add_f32_e32 v7, v7, v0
	v_mul_f32_e32 v0, v1, v29
	v_fmac_f32_e32 v0, v2, v30
	v_fmac_f32_e32 v0, v3, v31
	;; [unrolled: 1-line block ×3, first 2 shown]
	v_add_f32_e32 v6, v6, v0
	v_mul_f32_e32 v0, v1, v25
	v_fmac_f32_e32 v0, v2, v26
	v_fmac_f32_e32 v0, v3, v27
	;; [unrolled: 1-line block ×3, first 2 shown]
	s_waitcnt vmcnt(0)
	v_add_f32_e32 v5, v5, v0
	v_mul_f32_e32 v0, v1, v21
	v_fmac_f32_e32 v0, v2, v22
	v_fmac_f32_e32 v0, v3, v23
	v_fmac_f32_e32 v0, v4, v24
	v_add_f32_e32 v8, v8, v0
	v_mul_f32_e32 v0, v1, v17
	buffer_store_dword v8, off, s[40:43], 0 offset:228 ; 4-byte Folded Spill
	buffer_load_dword v8, off, s[40:43], 0 offset:232 ; 4-byte Folded Reload
	v_fmac_f32_e32 v0, v2, v18
	v_fmac_f32_e32 v0, v3, v19
	;; [unrolled: 1-line block ×3, first 2 shown]
	s_waitcnt vmcnt(0)
	v_add_f32_e32 v8, v8, v0
	buffer_store_dword v8, off, s[40:43], 0 offset:232 ; 4-byte Folded Spill
	s_clause 0x3
	buffer_load_dword v8, off, s[40:43], 0 offset:32
	buffer_load_dword v9, off, s[40:43], 0 offset:36
	;; [unrolled: 1-line block ×4, first 2 shown]
	s_waitcnt vmcnt(3)
	v_mul_f32_e32 v0, v1, v8
	buffer_load_dword v8, off, s[40:43], 0 offset:240 ; 4-byte Folded Reload
	s_waitcnt vmcnt(3)
	v_fmac_f32_e32 v0, v2, v9
	s_waitcnt vmcnt(2)
	v_fmac_f32_e32 v0, v3, v10
	;; [unrolled: 2-line block ×3, first 2 shown]
	s_waitcnt vmcnt(0)
	v_add_f32_e32 v8, v8, v0
	buffer_store_dword v8, off, s[40:43], 0 offset:240 ; 4-byte Folded Spill
	s_clause 0x3
	buffer_load_dword v8, off, s[40:43], 0 offset:16
	buffer_load_dword v9, off, s[40:43], 0 offset:20
	buffer_load_dword v10, off, s[40:43], 0 offset:24
	buffer_load_dword v11, off, s[40:43], 0 offset:28
	s_waitcnt vmcnt(3)
	v_mul_f32_e32 v0, v1, v8
	buffer_load_dword v8, off, s[40:43], 0 offset:244 ; 4-byte Folded Reload
	s_waitcnt vmcnt(3)
	v_fmac_f32_e32 v0, v2, v9
	s_waitcnt vmcnt(2)
	v_fmac_f32_e32 v0, v3, v10
	;; [unrolled: 2-line block ×3, first 2 shown]
	s_waitcnt vmcnt(0)
	v_add_f32_e32 v8, v8, v0
	buffer_store_dword v8, off, s[40:43], 0 offset:244 ; 4-byte Folded Spill
	s_clause 0x3
	buffer_load_dword v8, off, s[40:43], 0
	buffer_load_dword v9, off, s[40:43], 0 offset:4
	buffer_load_dword v10, off, s[40:43], 0 offset:8
	;; [unrolled: 1-line block ×3, first 2 shown]
	s_waitcnt vmcnt(3)
	v_mul_f32_e32 v0, v1, v8
	buffer_load_dword v8, off, s[40:43], 0 offset:236 ; 4-byte Folded Reload
	s_waitcnt vmcnt(3)
	v_fmac_f32_e32 v0, v2, v9
	s_waitcnt vmcnt(2)
	v_fmac_f32_e32 v0, v3, v10
	;; [unrolled: 2-line block ×3, first 2 shown]
	s_waitcnt vmcnt(0)
	v_add_f32_e32 v8, v8, v0
	v_mul_f32_e32 v0, v1, v93
	buffer_load_dword v1, off, s[40:43], 0 offset:48 ; 4-byte Folded Reload
	buffer_store_dword v8, off, s[40:43], 0 offset:236 ; 4-byte Folded Spill
	v_fmac_f32_e32 v0, v2, v94
	v_fmac_f32_e32 v0, v3, v95
	;; [unrolled: 1-line block ×3, first 2 shown]
	s_waitcnt vmcnt(0)
	v_add_f32_e32 v1, v1, v0
	buffer_store_dword v1, off, s[40:43], 0 offset:48 ; 4-byte Folded Spill
	s_clause 0x2
	buffer_load_dword v11, off, s[40:43], 0 offset:248
	buffer_load_dword v12, off, s[40:43], 0 offset:252
	;; [unrolled: 1-line block ×3, first 2 shown]
	s_waitcnt vmcnt(2)
	v_add_nc_u32_e32 v11, 4, v11
	s_waitcnt vmcnt(0)
	v_add_nc_u32_e32 v3, 0x100, v3
	v_cmp_le_i32_e32 vcc_lo, s11, v11
	s_or_b32 s6, vcc_lo, s6
	s_andn2_b32 exec_lo, exec_lo, s6
	s_cbranch_execz .LBB44_97
.LBB44_33:                              ; =>This Inner Loop Header: Depth=1
	buffer_store_dword v5, off, s[40:43], 0 offset:264 ; 4-byte Folded Spill
	buffer_store_dword v6, off, s[40:43], 0 offset:260 ; 4-byte Folded Spill
	;; [unrolled: 1-line block ×3, first 2 shown]
	global_load_dword v0, v[126:127], off
	v_add_nc_u32_e32 v14, -2, v125
	v_add_nc_u32_e32 v13, -1, v125
	s_waitcnt vmcnt(0)
	v_mad_i64_i32 v[0:1], null, v0, s9, 0
	v_lshlrev_b64 v[0:1], 2, v[0:1]
	v_add_co_u32 v15, vcc_lo, s3, v0
	buffer_load_dword v0, off, s[40:43], 0 offset:272 ; 4-byte Folded Reload
	v_add_co_ci_u32_e64 v16, null, s4, v1, vcc_lo
	s_waitcnt vmcnt(0)
	v_add_co_u32 v5, vcc_lo, v15, v0
	v_add_co_ci_u32_e64 v6, null, 0, v16, vcc_lo
	v_add_nc_u32_e32 v0, -3, v125
	v_cmp_eq_u32_e32 vcc_lo, s5, v11
	global_load_dwordx4 v[7:10], v[5:6], off
	s_waitcnt vmcnt(0)
	buffer_store_dword v7, off, s[40:43], 0 ; 4-byte Folded Spill
	buffer_store_dword v8, off, s[40:43], 0 offset:4 ; 4-byte Folded Spill
	buffer_store_dword v9, off, s[40:43], 0 offset:8 ; 4-byte Folded Spill
	;; [unrolled: 1-line block ×4, first 2 shown]
	ds_read_b128 v[1:4], v3
	v_mov_b32_e32 v7, v11
	buffer_store_dword v7, off, s[40:43], 0 offset:248 ; 4-byte Folded Spill
	buffer_store_dword v8, off, s[40:43], 0 offset:252 ; 4-byte Folded Spill
	s_and_saveexec_b32 s12, vcc_lo
	s_cbranch_execz .LBB44_35
; %bb.34:                               ;   in Loop: Header=BB44_33 Depth=1
	s_clause 0x3
	buffer_load_dword v7, off, s[40:43], 0
	buffer_load_dword v8, off, s[40:43], 0 offset:4
	buffer_load_dword v9, off, s[40:43], 0 offset:8
	;; [unrolled: 1-line block ×3, first 2 shown]
	v_cmp_gt_i32_e64 s0, s23, v0
	s_waitcnt vmcnt(3)
	v_cndmask_b32_e64 v7, 0, v7, s0
	v_cmp_gt_i32_e64 s0, s23, v14
	s_waitcnt vmcnt(2)
	v_cndmask_b32_e64 v8, 0, v8, s0
	;; [unrolled: 3-line block ×4, first 2 shown]
	buffer_store_dword v7, off, s[40:43], 0 ; 4-byte Folded Spill
	buffer_store_dword v8, off, s[40:43], 0 offset:4 ; 4-byte Folded Spill
	buffer_store_dword v9, off, s[40:43], 0 offset:8 ; 4-byte Folded Spill
	;; [unrolled: 1-line block ×3, first 2 shown]
.LBB44_35:                              ;   in Loop: Header=BB44_33 Depth=1
	s_or_b32 exec_lo, exec_lo, s12
	global_load_dwordx4 v[7:10], v[5:6], off offset:512
	s_waitcnt vmcnt(0)
	buffer_store_dword v7, off, s[40:43], 0 offset:16 ; 4-byte Folded Spill
	buffer_store_dword v8, off, s[40:43], 0 offset:20 ; 4-byte Folded Spill
	buffer_store_dword v9, off, s[40:43], 0 offset:24 ; 4-byte Folded Spill
	buffer_store_dword v10, off, s[40:43], 0 offset:28 ; 4-byte Folded Spill
	s_and_saveexec_b32 s12, vcc_lo
	s_cbranch_execz .LBB44_37
; %bb.36:                               ;   in Loop: Header=BB44_33 Depth=1
	s_clause 0x3
	buffer_load_dword v7, off, s[40:43], 0 offset:16
	buffer_load_dword v8, off, s[40:43], 0 offset:20
	;; [unrolled: 1-line block ×4, first 2 shown]
	v_cmp_gt_i32_e64 s0, s23, v0
	s_waitcnt vmcnt(3)
	v_cndmask_b32_e64 v7, 0, v7, s0
	v_cmp_gt_i32_e64 s0, s23, v14
	s_waitcnt vmcnt(2)
	v_cndmask_b32_e64 v8, 0, v8, s0
	;; [unrolled: 3-line block ×4, first 2 shown]
	buffer_store_dword v7, off, s[40:43], 0 offset:16 ; 4-byte Folded Spill
	buffer_store_dword v8, off, s[40:43], 0 offset:20 ; 4-byte Folded Spill
	;; [unrolled: 1-line block ×4, first 2 shown]
.LBB44_37:                              ;   in Loop: Header=BB44_33 Depth=1
	s_or_b32 exec_lo, exec_lo, s12
	global_load_dwordx4 v[7:10], v[5:6], off offset:1024
	s_waitcnt vmcnt(0)
	buffer_store_dword v7, off, s[40:43], 0 offset:32 ; 4-byte Folded Spill
	buffer_store_dword v8, off, s[40:43], 0 offset:36 ; 4-byte Folded Spill
	;; [unrolled: 1-line block ×4, first 2 shown]
	s_and_saveexec_b32 s12, vcc_lo
	s_cbranch_execz .LBB44_39
; %bb.38:                               ;   in Loop: Header=BB44_33 Depth=1
	s_clause 0x3
	buffer_load_dword v7, off, s[40:43], 0 offset:32
	buffer_load_dword v8, off, s[40:43], 0 offset:36
	;; [unrolled: 1-line block ×4, first 2 shown]
	v_cmp_gt_i32_e64 s0, s23, v0
	s_waitcnt vmcnt(3)
	v_cndmask_b32_e64 v7, 0, v7, s0
	v_cmp_gt_i32_e64 s0, s23, v14
	s_waitcnt vmcnt(2)
	v_cndmask_b32_e64 v8, 0, v8, s0
	;; [unrolled: 3-line block ×4, first 2 shown]
	buffer_store_dword v7, off, s[40:43], 0 offset:32 ; 4-byte Folded Spill
	buffer_store_dword v8, off, s[40:43], 0 offset:36 ; 4-byte Folded Spill
	;; [unrolled: 1-line block ×4, first 2 shown]
.LBB44_39:                              ;   in Loop: Header=BB44_33 Depth=1
	s_or_b32 exec_lo, exec_lo, s12
	global_load_dwordx4 v[17:20], v[5:6], off offset:1536
	s_and_saveexec_b32 s12, vcc_lo
	s_cbranch_execz .LBB44_41
; %bb.40:                               ;   in Loop: Header=BB44_33 Depth=1
	v_cmp_gt_i32_e64 s0, s23, v0
	s_waitcnt vmcnt(0)
	v_cndmask_b32_e64 v17, 0, v17, s0
	v_cmp_gt_i32_e64 s0, s23, v14
	v_cndmask_b32_e64 v18, 0, v18, s0
	v_cmp_gt_i32_e64 s0, s23, v13
	;; [unrolled: 2-line block ×3, first 2 shown]
	v_cndmask_b32_e64 v20, 0, v20, s0
.LBB44_41:                              ;   in Loop: Header=BB44_33 Depth=1
	s_or_b32 exec_lo, exec_lo, s12
	v_add_co_u32 v7, s0, 0x800, v5
	v_add_co_ci_u32_e64 v8, null, 0, v6, s0
	global_load_dwordx4 v[21:24], v[7:8], off
	s_and_saveexec_b32 s12, vcc_lo
	s_cbranch_execnz .LBB44_77
; %bb.42:                               ;   in Loop: Header=BB44_33 Depth=1
	s_or_b32 exec_lo, exec_lo, s12
	global_load_dwordx4 v[25:28], v[7:8], off offset:512
	s_and_saveexec_b32 s12, vcc_lo
	s_cbranch_execnz .LBB44_78
.LBB44_43:                              ;   in Loop: Header=BB44_33 Depth=1
	s_or_b32 exec_lo, exec_lo, s12
	global_load_dwordx4 v[29:32], v[7:8], off offset:1024
	s_and_saveexec_b32 s12, vcc_lo
	s_cbranch_execnz .LBB44_79
.LBB44_44:                              ;   in Loop: Header=BB44_33 Depth=1
	s_or_b32 exec_lo, exec_lo, s12
	global_load_dwordx4 v[33:36], v[7:8], off offset:1536
	s_and_saveexec_b32 s12, vcc_lo
	s_cbranch_execz .LBB44_46
.LBB44_45:                              ;   in Loop: Header=BB44_33 Depth=1
	v_cmp_gt_i32_e64 s0, s23, v0
	s_waitcnt vmcnt(0)
	v_cndmask_b32_e64 v33, 0, v33, s0
	v_cmp_gt_i32_e64 s0, s23, v14
	v_cndmask_b32_e64 v34, 0, v34, s0
	v_cmp_gt_i32_e64 s0, s23, v13
	;; [unrolled: 2-line block ×3, first 2 shown]
	v_cndmask_b32_e64 v36, 0, v36, s0
.LBB44_46:                              ;   in Loop: Header=BB44_33 Depth=1
	s_or_b32 exec_lo, exec_lo, s12
	v_add_co_u32 v7, s0, 0x1000, v5
	v_add_co_ci_u32_e64 v8, null, 0, v6, s0
	global_load_dwordx4 v[37:40], v[7:8], off
	s_and_saveexec_b32 s12, vcc_lo
	s_cbranch_execnz .LBB44_80
; %bb.47:                               ;   in Loop: Header=BB44_33 Depth=1
	s_or_b32 exec_lo, exec_lo, s12
	global_load_dwordx4 v[41:44], v[7:8], off offset:512
	s_and_saveexec_b32 s12, vcc_lo
	s_cbranch_execnz .LBB44_81
.LBB44_48:                              ;   in Loop: Header=BB44_33 Depth=1
	s_or_b32 exec_lo, exec_lo, s12
	global_load_dwordx4 v[45:48], v[7:8], off offset:1024
	s_and_saveexec_b32 s12, vcc_lo
	s_cbranch_execnz .LBB44_82
.LBB44_49:                              ;   in Loop: Header=BB44_33 Depth=1
	s_or_b32 exec_lo, exec_lo, s12
	global_load_dwordx4 v[49:52], v[7:8], off offset:1536
	s_and_saveexec_b32 s12, vcc_lo
	s_cbranch_execz .LBB44_51
.LBB44_50:                              ;   in Loop: Header=BB44_33 Depth=1
	v_cmp_gt_i32_e64 s0, s23, v0
	s_waitcnt vmcnt(0)
	v_cndmask_b32_e64 v49, 0, v49, s0
	v_cmp_gt_i32_e64 s0, s23, v14
	v_cndmask_b32_e64 v50, 0, v50, s0
	v_cmp_gt_i32_e64 s0, s23, v13
	;; [unrolled: 2-line block ×3, first 2 shown]
	v_cndmask_b32_e64 v52, 0, v52, s0
.LBB44_51:                              ;   in Loop: Header=BB44_33 Depth=1
	s_or_b32 exec_lo, exec_lo, s12
	v_add_co_u32 v7, s0, 0x1800, v5
	v_add_co_ci_u32_e64 v8, null, 0, v6, s0
	global_load_dwordx4 v[53:56], v[7:8], off
	s_and_saveexec_b32 s12, vcc_lo
	s_cbranch_execnz .LBB44_83
; %bb.52:                               ;   in Loop: Header=BB44_33 Depth=1
	s_or_b32 exec_lo, exec_lo, s12
	global_load_dwordx4 v[57:60], v[7:8], off offset:512
	s_and_saveexec_b32 s12, vcc_lo
	s_cbranch_execnz .LBB44_84
.LBB44_53:                              ;   in Loop: Header=BB44_33 Depth=1
	s_or_b32 exec_lo, exec_lo, s12
	global_load_dwordx4 v[61:64], v[7:8], off offset:1024
	s_and_saveexec_b32 s12, vcc_lo
	s_cbranch_execnz .LBB44_85
.LBB44_54:                              ;   in Loop: Header=BB44_33 Depth=1
	s_or_b32 exec_lo, exec_lo, s12
	global_load_dwordx4 v[65:68], v[7:8], off offset:1536
	s_and_saveexec_b32 s12, vcc_lo
	s_cbranch_execz .LBB44_56
.LBB44_55:                              ;   in Loop: Header=BB44_33 Depth=1
	v_cmp_gt_i32_e64 s0, s23, v0
	s_waitcnt vmcnt(0)
	v_cndmask_b32_e64 v65, 0, v65, s0
	v_cmp_gt_i32_e64 s0, s23, v14
	v_cndmask_b32_e64 v66, 0, v66, s0
	v_cmp_gt_i32_e64 s0, s23, v13
	;; [unrolled: 2-line block ×3, first 2 shown]
	v_cndmask_b32_e64 v68, 0, v68, s0
.LBB44_56:                              ;   in Loop: Header=BB44_33 Depth=1
	s_or_b32 exec_lo, exec_lo, s12
	v_add_co_u32 v7, s0, 0x2000, v5
	v_add_co_ci_u32_e64 v8, null, 0, v6, s0
	global_load_dwordx4 v[69:72], v[7:8], off
	s_and_saveexec_b32 s12, vcc_lo
	s_cbranch_execnz .LBB44_86
; %bb.57:                               ;   in Loop: Header=BB44_33 Depth=1
	s_or_b32 exec_lo, exec_lo, s12
	global_load_dwordx4 v[73:76], v[7:8], off offset:512
	s_and_saveexec_b32 s12, vcc_lo
	s_cbranch_execnz .LBB44_87
.LBB44_58:                              ;   in Loop: Header=BB44_33 Depth=1
	s_or_b32 exec_lo, exec_lo, s12
	global_load_dwordx4 v[77:80], v[7:8], off offset:1024
	s_and_saveexec_b32 s12, vcc_lo
	s_cbranch_execnz .LBB44_88
.LBB44_59:                              ;   in Loop: Header=BB44_33 Depth=1
	s_or_b32 exec_lo, exec_lo, s12
	global_load_dwordx4 v[81:84], v[7:8], off offset:1536
	s_and_saveexec_b32 s12, vcc_lo
	s_cbranch_execz .LBB44_61
.LBB44_60:                              ;   in Loop: Header=BB44_33 Depth=1
	v_cmp_gt_i32_e64 s0, s23, v0
	s_waitcnt vmcnt(0)
	v_cndmask_b32_e64 v81, 0, v81, s0
	v_cmp_gt_i32_e64 s0, s23, v14
	v_cndmask_b32_e64 v82, 0, v82, s0
	v_cmp_gt_i32_e64 s0, s23, v13
	v_cndmask_b32_e64 v83, 0, v83, s0
	v_cmp_gt_i32_e64 s0, s23, v125
	v_cndmask_b32_e64 v84, 0, v84, s0
.LBB44_61:                              ;   in Loop: Header=BB44_33 Depth=1
	s_or_b32 exec_lo, exec_lo, s12
	v_add_co_u32 v7, s0, 0x2800, v5
	v_add_co_ci_u32_e64 v8, null, 0, v6, s0
	global_load_dwordx4 v[85:88], v[7:8], off
	s_and_saveexec_b32 s12, vcc_lo
	s_cbranch_execnz .LBB44_89
; %bb.62:                               ;   in Loop: Header=BB44_33 Depth=1
	s_or_b32 exec_lo, exec_lo, s12
	global_load_dwordx4 v[89:92], v[7:8], off offset:512
	s_and_saveexec_b32 s12, vcc_lo
	s_cbranch_execnz .LBB44_90
.LBB44_63:                              ;   in Loop: Header=BB44_33 Depth=1
	s_or_b32 exec_lo, exec_lo, s12
	global_load_dwordx4 v[97:100], v[7:8], off offset:1024
	s_and_saveexec_b32 s12, vcc_lo
	s_cbranch_execnz .LBB44_91
.LBB44_64:                              ;   in Loop: Header=BB44_33 Depth=1
	s_or_b32 exec_lo, exec_lo, s12
	global_load_dwordx4 v[101:104], v[7:8], off offset:1536
	s_and_saveexec_b32 s12, vcc_lo
	s_cbranch_execz .LBB44_66
.LBB44_65:                              ;   in Loop: Header=BB44_33 Depth=1
	v_cmp_gt_i32_e64 s0, s23, v0
	s_waitcnt vmcnt(0)
	v_cndmask_b32_e64 v101, 0, v101, s0
	v_cmp_gt_i32_e64 s0, s23, v14
	v_cndmask_b32_e64 v102, 0, v102, s0
	v_cmp_gt_i32_e64 s0, s23, v13
	v_cndmask_b32_e64 v103, 0, v103, s0
	v_cmp_gt_i32_e64 s0, s23, v125
	v_cndmask_b32_e64 v104, 0, v104, s0
.LBB44_66:                              ;   in Loop: Header=BB44_33 Depth=1
	s_or_b32 exec_lo, exec_lo, s12
	v_add_co_u32 v7, s0, 0x3000, v5
	v_add_co_ci_u32_e64 v8, null, 0, v6, s0
	global_load_dwordx4 v[105:108], v[7:8], off
	s_and_saveexec_b32 s12, vcc_lo
	s_cbranch_execnz .LBB44_92
; %bb.67:                               ;   in Loop: Header=BB44_33 Depth=1
	s_or_b32 exec_lo, exec_lo, s12
	global_load_dwordx4 v[109:112], v[7:8], off offset:512
	s_and_saveexec_b32 s12, vcc_lo
	s_cbranch_execnz .LBB44_93
.LBB44_68:                              ;   in Loop: Header=BB44_33 Depth=1
	s_or_b32 exec_lo, exec_lo, s12
	global_load_dwordx4 v[113:116], v[7:8], off offset:1024
	s_and_saveexec_b32 s12, vcc_lo
	s_cbranch_execnz .LBB44_94
.LBB44_69:                              ;   in Loop: Header=BB44_33 Depth=1
	s_or_b32 exec_lo, exec_lo, s12
	global_load_dwordx4 v[117:120], v[7:8], off offset:1536
	s_and_saveexec_b32 s12, vcc_lo
	s_cbranch_execz .LBB44_71
.LBB44_70:                              ;   in Loop: Header=BB44_33 Depth=1
	v_cmp_gt_i32_e64 s0, s23, v0
	s_waitcnt vmcnt(0)
	v_cndmask_b32_e64 v117, 0, v117, s0
	v_cmp_gt_i32_e64 s0, s23, v14
	v_cndmask_b32_e64 v118, 0, v118, s0
	v_cmp_gt_i32_e64 s0, s23, v13
	;; [unrolled: 2-line block ×3, first 2 shown]
	v_cndmask_b32_e64 v120, 0, v120, s0
.LBB44_71:                              ;   in Loop: Header=BB44_33 Depth=1
	s_or_b32 exec_lo, exec_lo, s12
	v_add_co_u32 v9, s0, 0x3800, v5
	v_add_co_ci_u32_e64 v10, null, 0, v6, s0
	global_load_dwordx4 v[121:124], v[9:10], off
	s_and_saveexec_b32 s12, vcc_lo
	s_cbranch_execnz .LBB44_95
; %bb.72:                               ;   in Loop: Header=BB44_33 Depth=1
	s_or_b32 exec_lo, exec_lo, s12
	global_load_dwordx4 v[5:8], v[9:10], off offset:512
	s_and_saveexec_b32 s12, vcc_lo
	s_cbranch_execnz .LBB44_96
.LBB44_73:                              ;   in Loop: Header=BB44_33 Depth=1
	s_or_b32 exec_lo, exec_lo, s12
	global_load_dwordx4 v[9:12], v[9:10], off offset:1024
	s_and_saveexec_b32 s12, vcc_lo
	s_cbranch_execz .LBB44_75
.LBB44_74:                              ;   in Loop: Header=BB44_33 Depth=1
	v_cmp_gt_i32_e64 s0, s23, v0
	s_waitcnt vmcnt(0)
	v_cndmask_b32_e64 v9, 0, v9, s0
	v_cmp_gt_i32_e64 s0, s23, v14
	v_cndmask_b32_e64 v10, 0, v10, s0
	v_cmp_gt_i32_e64 s0, s23, v13
	v_cndmask_b32_e64 v11, 0, v11, s0
	v_cmp_gt_i32_e64 s0, s23, v125
	v_cndmask_b32_e64 v12, 0, v12, s0
.LBB44_75:                              ;   in Loop: Header=BB44_33 Depth=1
	s_or_b32 exec_lo, exec_lo, s12
	buffer_load_dword v93, off, s[40:43], 0 offset:276 ; 4-byte Folded Reload
	s_waitcnt vmcnt(0)
	v_add_co_u32 v15, s0, v15, v93
	v_add_co_ci_u32_e64 v16, null, 0, v16, s0
	global_load_dwordx4 v[93:96], v[15:16], off
	s_and_saveexec_b32 s0, vcc_lo
	s_cbranch_execz .LBB44_32
; %bb.76:                               ;   in Loop: Header=BB44_33 Depth=1
	v_cmp_gt_i32_e32 vcc_lo, s23, v0
	s_waitcnt vmcnt(0)
	v_cndmask_b32_e32 v93, 0, v93, vcc_lo
	v_cmp_gt_i32_e32 vcc_lo, s23, v14
	v_cndmask_b32_e32 v94, 0, v94, vcc_lo
	v_cmp_gt_i32_e32 vcc_lo, s23, v13
	;; [unrolled: 2-line block ×3, first 2 shown]
	v_cndmask_b32_e32 v96, 0, v96, vcc_lo
	s_branch .LBB44_32
.LBB44_77:                              ;   in Loop: Header=BB44_33 Depth=1
	v_cmp_gt_i32_e64 s0, s23, v0
	s_waitcnt vmcnt(0)
	v_cndmask_b32_e64 v21, 0, v21, s0
	v_cmp_gt_i32_e64 s0, s23, v14
	v_cndmask_b32_e64 v22, 0, v22, s0
	v_cmp_gt_i32_e64 s0, s23, v13
	v_cndmask_b32_e64 v23, 0, v23, s0
	v_cmp_gt_i32_e64 s0, s23, v125
	v_cndmask_b32_e64 v24, 0, v24, s0
	s_or_b32 exec_lo, exec_lo, s12
	global_load_dwordx4 v[25:28], v[7:8], off offset:512
	s_and_saveexec_b32 s12, vcc_lo
	s_cbranch_execz .LBB44_43
.LBB44_78:                              ;   in Loop: Header=BB44_33 Depth=1
	v_cmp_gt_i32_e64 s0, s23, v0
	s_waitcnt vmcnt(0)
	v_cndmask_b32_e64 v25, 0, v25, s0
	v_cmp_gt_i32_e64 s0, s23, v14
	v_cndmask_b32_e64 v26, 0, v26, s0
	v_cmp_gt_i32_e64 s0, s23, v13
	;; [unrolled: 2-line block ×3, first 2 shown]
	v_cndmask_b32_e64 v28, 0, v28, s0
	s_or_b32 exec_lo, exec_lo, s12
	global_load_dwordx4 v[29:32], v[7:8], off offset:1024
	s_and_saveexec_b32 s12, vcc_lo
	s_cbranch_execz .LBB44_44
.LBB44_79:                              ;   in Loop: Header=BB44_33 Depth=1
	v_cmp_gt_i32_e64 s0, s23, v0
	s_waitcnt vmcnt(0)
	v_cndmask_b32_e64 v29, 0, v29, s0
	v_cmp_gt_i32_e64 s0, s23, v14
	v_cndmask_b32_e64 v30, 0, v30, s0
	v_cmp_gt_i32_e64 s0, s23, v13
	;; [unrolled: 2-line block ×3, first 2 shown]
	v_cndmask_b32_e64 v32, 0, v32, s0
	s_or_b32 exec_lo, exec_lo, s12
	global_load_dwordx4 v[33:36], v[7:8], off offset:1536
	s_and_saveexec_b32 s12, vcc_lo
	s_cbranch_execnz .LBB44_45
	s_branch .LBB44_46
.LBB44_80:                              ;   in Loop: Header=BB44_33 Depth=1
	v_cmp_gt_i32_e64 s0, s23, v0
	s_waitcnt vmcnt(0)
	v_cndmask_b32_e64 v37, 0, v37, s0
	v_cmp_gt_i32_e64 s0, s23, v14
	v_cndmask_b32_e64 v38, 0, v38, s0
	v_cmp_gt_i32_e64 s0, s23, v13
	;; [unrolled: 2-line block ×3, first 2 shown]
	v_cndmask_b32_e64 v40, 0, v40, s0
	s_or_b32 exec_lo, exec_lo, s12
	global_load_dwordx4 v[41:44], v[7:8], off offset:512
	s_and_saveexec_b32 s12, vcc_lo
	s_cbranch_execz .LBB44_48
.LBB44_81:                              ;   in Loop: Header=BB44_33 Depth=1
	v_cmp_gt_i32_e64 s0, s23, v0
	s_waitcnt vmcnt(0)
	v_cndmask_b32_e64 v41, 0, v41, s0
	v_cmp_gt_i32_e64 s0, s23, v14
	v_cndmask_b32_e64 v42, 0, v42, s0
	v_cmp_gt_i32_e64 s0, s23, v13
	;; [unrolled: 2-line block ×3, first 2 shown]
	v_cndmask_b32_e64 v44, 0, v44, s0
	s_or_b32 exec_lo, exec_lo, s12
	global_load_dwordx4 v[45:48], v[7:8], off offset:1024
	s_and_saveexec_b32 s12, vcc_lo
	s_cbranch_execz .LBB44_49
.LBB44_82:                              ;   in Loop: Header=BB44_33 Depth=1
	v_cmp_gt_i32_e64 s0, s23, v0
	s_waitcnt vmcnt(0)
	v_cndmask_b32_e64 v45, 0, v45, s0
	v_cmp_gt_i32_e64 s0, s23, v14
	v_cndmask_b32_e64 v46, 0, v46, s0
	v_cmp_gt_i32_e64 s0, s23, v13
	;; [unrolled: 2-line block ×3, first 2 shown]
	v_cndmask_b32_e64 v48, 0, v48, s0
	s_or_b32 exec_lo, exec_lo, s12
	global_load_dwordx4 v[49:52], v[7:8], off offset:1536
	s_and_saveexec_b32 s12, vcc_lo
	s_cbranch_execnz .LBB44_50
	s_branch .LBB44_51
.LBB44_83:                              ;   in Loop: Header=BB44_33 Depth=1
	v_cmp_gt_i32_e64 s0, s23, v0
	s_waitcnt vmcnt(0)
	v_cndmask_b32_e64 v53, 0, v53, s0
	v_cmp_gt_i32_e64 s0, s23, v14
	v_cndmask_b32_e64 v54, 0, v54, s0
	v_cmp_gt_i32_e64 s0, s23, v13
	;; [unrolled: 2-line block ×3, first 2 shown]
	v_cndmask_b32_e64 v56, 0, v56, s0
	s_or_b32 exec_lo, exec_lo, s12
	global_load_dwordx4 v[57:60], v[7:8], off offset:512
	s_and_saveexec_b32 s12, vcc_lo
	s_cbranch_execz .LBB44_53
.LBB44_84:                              ;   in Loop: Header=BB44_33 Depth=1
	v_cmp_gt_i32_e64 s0, s23, v0
	s_waitcnt vmcnt(0)
	v_cndmask_b32_e64 v57, 0, v57, s0
	v_cmp_gt_i32_e64 s0, s23, v14
	v_cndmask_b32_e64 v58, 0, v58, s0
	v_cmp_gt_i32_e64 s0, s23, v13
	;; [unrolled: 2-line block ×3, first 2 shown]
	v_cndmask_b32_e64 v60, 0, v60, s0
	s_or_b32 exec_lo, exec_lo, s12
	global_load_dwordx4 v[61:64], v[7:8], off offset:1024
	s_and_saveexec_b32 s12, vcc_lo
	s_cbranch_execz .LBB44_54
.LBB44_85:                              ;   in Loop: Header=BB44_33 Depth=1
	v_cmp_gt_i32_e64 s0, s23, v0
	s_waitcnt vmcnt(0)
	v_cndmask_b32_e64 v61, 0, v61, s0
	v_cmp_gt_i32_e64 s0, s23, v14
	v_cndmask_b32_e64 v62, 0, v62, s0
	v_cmp_gt_i32_e64 s0, s23, v13
	;; [unrolled: 2-line block ×3, first 2 shown]
	v_cndmask_b32_e64 v64, 0, v64, s0
	s_or_b32 exec_lo, exec_lo, s12
	global_load_dwordx4 v[65:68], v[7:8], off offset:1536
	s_and_saveexec_b32 s12, vcc_lo
	s_cbranch_execnz .LBB44_55
	s_branch .LBB44_56
.LBB44_86:                              ;   in Loop: Header=BB44_33 Depth=1
	v_cmp_gt_i32_e64 s0, s23, v0
	s_waitcnt vmcnt(0)
	v_cndmask_b32_e64 v69, 0, v69, s0
	v_cmp_gt_i32_e64 s0, s23, v14
	v_cndmask_b32_e64 v70, 0, v70, s0
	v_cmp_gt_i32_e64 s0, s23, v13
	;; [unrolled: 2-line block ×3, first 2 shown]
	v_cndmask_b32_e64 v72, 0, v72, s0
	s_or_b32 exec_lo, exec_lo, s12
	global_load_dwordx4 v[73:76], v[7:8], off offset:512
	s_and_saveexec_b32 s12, vcc_lo
	s_cbranch_execz .LBB44_58
.LBB44_87:                              ;   in Loop: Header=BB44_33 Depth=1
	v_cmp_gt_i32_e64 s0, s23, v0
	s_waitcnt vmcnt(0)
	v_cndmask_b32_e64 v73, 0, v73, s0
	v_cmp_gt_i32_e64 s0, s23, v14
	v_cndmask_b32_e64 v74, 0, v74, s0
	v_cmp_gt_i32_e64 s0, s23, v13
	;; [unrolled: 2-line block ×3, first 2 shown]
	v_cndmask_b32_e64 v76, 0, v76, s0
	s_or_b32 exec_lo, exec_lo, s12
	global_load_dwordx4 v[77:80], v[7:8], off offset:1024
	s_and_saveexec_b32 s12, vcc_lo
	s_cbranch_execz .LBB44_59
.LBB44_88:                              ;   in Loop: Header=BB44_33 Depth=1
	v_cmp_gt_i32_e64 s0, s23, v0
	s_waitcnt vmcnt(0)
	v_cndmask_b32_e64 v77, 0, v77, s0
	v_cmp_gt_i32_e64 s0, s23, v14
	v_cndmask_b32_e64 v78, 0, v78, s0
	v_cmp_gt_i32_e64 s0, s23, v13
	;; [unrolled: 2-line block ×3, first 2 shown]
	v_cndmask_b32_e64 v80, 0, v80, s0
	s_or_b32 exec_lo, exec_lo, s12
	global_load_dwordx4 v[81:84], v[7:8], off offset:1536
	s_and_saveexec_b32 s12, vcc_lo
	s_cbranch_execnz .LBB44_60
	s_branch .LBB44_61
.LBB44_89:                              ;   in Loop: Header=BB44_33 Depth=1
	v_cmp_gt_i32_e64 s0, s23, v0
	s_waitcnt vmcnt(0)
	v_cndmask_b32_e64 v85, 0, v85, s0
	v_cmp_gt_i32_e64 s0, s23, v14
	v_cndmask_b32_e64 v86, 0, v86, s0
	v_cmp_gt_i32_e64 s0, s23, v13
	v_cndmask_b32_e64 v87, 0, v87, s0
	v_cmp_gt_i32_e64 s0, s23, v125
	v_cndmask_b32_e64 v88, 0, v88, s0
	s_or_b32 exec_lo, exec_lo, s12
	global_load_dwordx4 v[89:92], v[7:8], off offset:512
	s_and_saveexec_b32 s12, vcc_lo
	s_cbranch_execz .LBB44_63
.LBB44_90:                              ;   in Loop: Header=BB44_33 Depth=1
	v_cmp_gt_i32_e64 s0, s23, v0
	s_waitcnt vmcnt(0)
	v_cndmask_b32_e64 v89, 0, v89, s0
	v_cmp_gt_i32_e64 s0, s23, v14
	v_cndmask_b32_e64 v90, 0, v90, s0
	v_cmp_gt_i32_e64 s0, s23, v13
	;; [unrolled: 2-line block ×3, first 2 shown]
	v_cndmask_b32_e64 v92, 0, v92, s0
	s_or_b32 exec_lo, exec_lo, s12
	global_load_dwordx4 v[97:100], v[7:8], off offset:1024
	s_and_saveexec_b32 s12, vcc_lo
	s_cbranch_execz .LBB44_64
.LBB44_91:                              ;   in Loop: Header=BB44_33 Depth=1
	v_cmp_gt_i32_e64 s0, s23, v0
	s_waitcnt vmcnt(0)
	v_cndmask_b32_e64 v97, 0, v97, s0
	v_cmp_gt_i32_e64 s0, s23, v14
	v_cndmask_b32_e64 v98, 0, v98, s0
	v_cmp_gt_i32_e64 s0, s23, v13
	v_cndmask_b32_e64 v99, 0, v99, s0
	v_cmp_gt_i32_e64 s0, s23, v125
	v_cndmask_b32_e64 v100, 0, v100, s0
	s_or_b32 exec_lo, exec_lo, s12
	global_load_dwordx4 v[101:104], v[7:8], off offset:1536
	s_and_saveexec_b32 s12, vcc_lo
	s_cbranch_execnz .LBB44_65
	s_branch .LBB44_66
.LBB44_92:                              ;   in Loop: Header=BB44_33 Depth=1
	v_cmp_gt_i32_e64 s0, s23, v0
	s_waitcnt vmcnt(0)
	v_cndmask_b32_e64 v105, 0, v105, s0
	v_cmp_gt_i32_e64 s0, s23, v14
	v_cndmask_b32_e64 v106, 0, v106, s0
	v_cmp_gt_i32_e64 s0, s23, v13
	;; [unrolled: 2-line block ×3, first 2 shown]
	v_cndmask_b32_e64 v108, 0, v108, s0
	s_or_b32 exec_lo, exec_lo, s12
	global_load_dwordx4 v[109:112], v[7:8], off offset:512
	s_and_saveexec_b32 s12, vcc_lo
	s_cbranch_execz .LBB44_68
.LBB44_93:                              ;   in Loop: Header=BB44_33 Depth=1
	v_cmp_gt_i32_e64 s0, s23, v0
	s_waitcnt vmcnt(0)
	v_cndmask_b32_e64 v109, 0, v109, s0
	v_cmp_gt_i32_e64 s0, s23, v14
	v_cndmask_b32_e64 v110, 0, v110, s0
	v_cmp_gt_i32_e64 s0, s23, v13
	v_cndmask_b32_e64 v111, 0, v111, s0
	v_cmp_gt_i32_e64 s0, s23, v125
	v_cndmask_b32_e64 v112, 0, v112, s0
	s_or_b32 exec_lo, exec_lo, s12
	global_load_dwordx4 v[113:116], v[7:8], off offset:1024
	s_and_saveexec_b32 s12, vcc_lo
	s_cbranch_execz .LBB44_69
.LBB44_94:                              ;   in Loop: Header=BB44_33 Depth=1
	v_cmp_gt_i32_e64 s0, s23, v0
	s_waitcnt vmcnt(0)
	v_cndmask_b32_e64 v113, 0, v113, s0
	v_cmp_gt_i32_e64 s0, s23, v14
	v_cndmask_b32_e64 v114, 0, v114, s0
	v_cmp_gt_i32_e64 s0, s23, v13
	;; [unrolled: 2-line block ×3, first 2 shown]
	v_cndmask_b32_e64 v116, 0, v116, s0
	s_or_b32 exec_lo, exec_lo, s12
	global_load_dwordx4 v[117:120], v[7:8], off offset:1536
	s_and_saveexec_b32 s12, vcc_lo
	s_cbranch_execnz .LBB44_70
	s_branch .LBB44_71
.LBB44_95:                              ;   in Loop: Header=BB44_33 Depth=1
	v_cmp_gt_i32_e64 s0, s23, v0
	s_waitcnt vmcnt(0)
	v_cndmask_b32_e64 v121, 0, v121, s0
	v_cmp_gt_i32_e64 s0, s23, v14
	v_cndmask_b32_e64 v122, 0, v122, s0
	v_cmp_gt_i32_e64 s0, s23, v13
	;; [unrolled: 2-line block ×3, first 2 shown]
	v_cndmask_b32_e64 v124, 0, v124, s0
	s_or_b32 exec_lo, exec_lo, s12
	global_load_dwordx4 v[5:8], v[9:10], off offset:512
	s_and_saveexec_b32 s12, vcc_lo
	s_cbranch_execz .LBB44_73
.LBB44_96:                              ;   in Loop: Header=BB44_33 Depth=1
	v_cmp_gt_i32_e64 s0, s23, v0
	s_waitcnt vmcnt(0)
	v_cndmask_b32_e64 v5, 0, v5, s0
	v_cmp_gt_i32_e64 s0, s23, v14
	v_cndmask_b32_e64 v6, 0, v6, s0
	v_cmp_gt_i32_e64 s0, s23, v13
	;; [unrolled: 2-line block ×3, first 2 shown]
	v_cndmask_b32_e64 v8, 0, v8, s0
	s_or_b32 exec_lo, exec_lo, s12
	global_load_dwordx4 v[9:12], v[9:10], off offset:1024
	s_and_saveexec_b32 s12, vcc_lo
	s_cbranch_execnz .LBB44_74
	s_branch .LBB44_75
.LBB44_97:
	s_or_b32 exec_lo, exec_lo, s6
	s_clause 0x22
	buffer_load_dword v55, off, s[40:43], 0 offset:280
	buffer_load_dword v125, off, s[40:43], 0 offset:284
	;; [unrolled: 1-line block ×35, first 2 shown]
.LBB44_98:
	s_or_b32 exec_lo, exec_lo, s1
	s_waitcnt vmcnt(2)
	ds_bpermute_b32 v0, v38, v19
	s_waitcnt vmcnt(0)
	ds_bpermute_b32 v1, v38, v24
	ds_bpermute_b32 v2, v38, v23
	v_mov_b32_e32 v15, v6
	ds_bpermute_b32 v6, v38, v6
	ds_bpermute_b32 v8, v38, v13
	v_mov_b32_e32 v14, v7
	ds_bpermute_b32 v7, v38, v7
	ds_bpermute_b32 v11, v38, v21
	;; [unrolled: 1-line block ×3, first 2 shown]
	v_mov_b32_e32 v16, v5
	ds_bpermute_b32 v5, v38, v5
	ds_bpermute_b32 v10, v38, v22
	;; [unrolled: 1-line block ×9, first 2 shown]
	s_waitcnt lgkmcnt(16)
	v_add_f32_e32 v0, v19, v0
	s_waitcnt lgkmcnt(15)
	v_add_f32_e32 v1, v24, v1
	;; [unrolled: 2-line block ×3, first 2 shown]
	s_mov_b32 s0, exec_lo
	s_waitcnt lgkmcnt(13)
	v_add_f32_e32 v6, v15, v6
	s_waitcnt lgkmcnt(12)
	v_add_f32_e32 v8, v13, v8
	ds_bpermute_b32 v13, v54, v0
	s_waitcnt lgkmcnt(12)
	v_add_f32_e32 v7, v14, v7
	ds_bpermute_b32 v14, v54, v1
	ds_bpermute_b32 v15, v54, v2
	;; [unrolled: 1-line block ×3, first 2 shown]
	s_waitcnt lgkmcnt(14)
	v_add_f32_e32 v11, v21, v11
	ds_bpermute_b32 v21, v54, v8
	s_waitcnt lgkmcnt(14)
	v_add_f32_e32 v4, v17, v4
	s_waitcnt lgkmcnt(13)
	v_add_f32_e32 v5, v16, v5
	;; [unrolled: 2-line block ×5, first 2 shown]
	ds_bpermute_b32 v17, v54, v4
	ds_bpermute_b32 v18, v54, v5
	;; [unrolled: 1-line block ×7, first 2 shown]
	s_waitcnt lgkmcnt(13)
	v_add_f32_e32 v12, v34, v12
	s_waitcnt lgkmcnt(11)
	v_add_f32_e32 v0, v0, v13
	ds_bpermute_b32 v13, v38, v30
	s_waitcnt lgkmcnt(11)
	v_add_f32_e32 v1, v1, v14
	s_waitcnt lgkmcnt(10)
	v_add_f32_e32 v2, v2, v15
	;; [unrolled: 2-line block ×3, first 2 shown]
	ds_bpermute_b32 v14, v38, v28
	ds_bpermute_b32 v15, v38, v29
	s_waitcnt lgkmcnt(10)
	v_add_f32_e32 v8, v8, v21
	ds_bpermute_b32 v19, v38, v36
	ds_bpermute_b32 v21, v38, v37
	v_add_f32_e32 v35, v49, v35
	s_waitcnt lgkmcnt(0)
	s_waitcnt_vscnt null, 0x0
	v_add_f32_e32 v4, v4, v17
	v_add_f32_e32 v17, v33, v25
	ds_bpermute_b32 v33, v38, v48
	v_add_f32_e32 v5, v5, v18
	v_add_f32_e32 v7, v7, v20
	;; [unrolled: 1-line block ×5, first 2 shown]
	ds_bpermute_b32 v23, v38, v39
	ds_bpermute_b32 v26, v38, v40
	v_add_f32_e32 v27, v30, v13
	ds_bpermute_b32 v13, v38, v41
	ds_bpermute_b32 v31, v38, v47
	v_add_f32_e32 v28, v28, v14
	ds_bpermute_b32 v14, v38, v43
	v_add_f32_e32 v29, v29, v15
	;; [unrolled: 2-line block ×4, first 2 shown]
	ds_bpermute_b32 v37, v38, v51
	ds_bpermute_b32 v38, v38, v52
	s_waitcnt lgkmcnt(9)
	v_add_f32_e32 v33, v48, v33
	v_add_f32_e32 v3, v3, v16
	ds_bpermute_b32 v16, v54, v12
	ds_bpermute_b32 v30, v54, v27
	v_add_f32_e32 v9, v9, v22
	v_add_f32_e32 v11, v11, v24
	s_waitcnt lgkmcnt(10)
	v_add_f32_e32 v23, v39, v23
	s_waitcnt lgkmcnt(9)
	v_add_f32_e32 v26, v40, v26
	ds_bpermute_b32 v22, v54, v17
	s_waitcnt lgkmcnt(9)
	v_add_f32_e32 v41, v41, v13
	s_waitcnt lgkmcnt(8)
	v_add_f32_e32 v31, v47, v31
	ds_bpermute_b32 v24, v54, v18
	s_waitcnt lgkmcnt(8)
	v_add_f32_e32 v43, v43, v14
	ds_bpermute_b32 v25, v54, v20
	;; [unrolled: 3-line block ×4, first 2 shown]
	s_waitcnt lgkmcnt(8)
	v_add_f32_e32 v37, v51, v37
	s_waitcnt lgkmcnt(7)
	v_add_f32_e32 v38, v52, v38
	ds_bpermute_b32 v34, v54, v29
	ds_bpermute_b32 v39, v54, v19
	;; [unrolled: 1-line block ×13, first 2 shown]
	s_waitcnt lgkmcnt(19)
	v_add_f32_e32 v12, v12, v16
	s_waitcnt lgkmcnt(18)
	v_add_f32_e32 v16, v27, v30
	;; [unrolled: 2-line block ×5, first 2 shown]
	v_and_b32_e32 v33, 28, v56
	v_add_f32_e32 v15, v20, v25
	v_add_f32_e32 v17, v28, v32
	s_waitcnt lgkmcnt(12)
	v_add_f32_e32 v18, v29, v34
	s_waitcnt lgkmcnt(11)
	;; [unrolled: 2-line block ×12, first 2 shown]
	v_add_f32_e32 v30, v37, v53
	v_and_b32_e32 v35, 0x3c3, v55
	s_waitcnt lgkmcnt(0)
	v_add_f32_e32 v31, v38, v54
	v_lshrrev_b32_e32 v32, 2, v56
	v_add_nc_u32_e32 v33, 0x420, v33
	v_lshlrev_b32_e32 v34, 10, v125
	s_barrier
	buffer_gl0_inv
	v_cmpx_eq_u32_e32 64, v35
	s_cbranch_execz .LBB44_100
; %bb.99:
	v_add_nc_u32_e32 v35, v33, v34
	v_add_nc_u32_e32 v36, 0xfffff800, v35
	;; [unrolled: 1-line block ×8, first 2 shown]
	ds_write_b32 v36, v0
	ds_write_b32 v37, v1
	;; [unrolled: 1-line block ×7, first 2 shown]
	v_add_nc_u32_e32 v36, 0xfffff8e0, v35
	v_add_nc_u32_e32 v37, 0xfffff900, v35
	v_add_nc_u32_e32 v38, 0xfffff920, v35
	v_add_nc_u32_e32 v39, 0xfffff940, v35
	v_add_nc_u32_e32 v40, 0xfffff960, v35
	ds_write_b32 v36, v7
	ds_write_b32 v37, v8
	ds_write_b32 v38, v9
	ds_write_b32 v39, v10
	ds_write_b32 v40, v11
	v_add_nc_u32_e32 v36, 0xfffff980, v35
	v_add_nc_u32_e32 v37, 0xfffff9a0, v35
	v_add_nc_u32_e32 v38, 0xfffff9c0, v35
	v_add_nc_u32_e32 v39, 0xfffff9e0, v35
	v_add_nc_u32_e32 v40, 0xfffffa00, v35
	ds_write_b32 v36, v12
	ds_write_b32 v37, v13
	ds_write_b32 v38, v14
	ds_write_b32 v39, v15
	ds_write_b32 v40, v16
	v_add_nc_u32_e32 v36, 0xfffffa20, v35
	v_add_nc_u32_e32 v37, 0xfffffa40, v35
	v_add_nc_u32_e32 v38, 0xfffffa60, v35
	v_add_nc_u32_e32 v39, 0xfffffa80, v35
	v_add_nc_u32_e32 v40, 0xfffffaa0, v35
	ds_write_b32 v36, v17
	ds_write_b32 v37, v18
	ds_write_b32 v38, v19
	ds_write_b32 v39, v20
	ds_write_b32 v40, v21
	v_add_nc_u32_e32 v36, 0xfffffac0, v35
	v_add_nc_u32_e32 v37, 0xfffffae0, v35
	v_add_nc_u32_e32 v38, 0xfffffb00, v35
	v_add_nc_u32_e32 v39, 0xfffffb20, v35
	v_add_nc_u32_e32 v40, 0xfffffb40, v35
	ds_write_b32 v36, v22
	ds_write_b32 v37, v23
	ds_write_b32 v38, v24
	ds_write_b32 v39, v25
	ds_write_b32 v40, v26
	v_add_nc_u32_e32 v36, 0xfffffb60, v35
	v_add_nc_u32_e32 v37, 0xfffffb80, v35
	v_add_nc_u32_e32 v38, 0xfffffba0, v35
	v_add_nc_u32_e32 v39, 0xfffffbc0, v35
	v_add_nc_u32_e32 v35, 0xfffffbe0, v35
	ds_write_b32 v36, v27
	ds_write_b32 v37, v28
	ds_write_b32 v38, v29
	ds_write_b32 v39, v30
	ds_write_b32 v35, v31
.LBB44_100:
	s_or_b32 exec_lo, exec_lo, s0
	v_lshlrev_b32_e32 v32, 2, v32
	s_mov_b32 s1, exec_lo
	v_cmp_eq_u32_e32 vcc_lo, 0, v57
	s_waitcnt lgkmcnt(0)
	s_barrier
	v_add3_u32 v32, 0x420, v34, v32
	buffer_gl0_inv
	v_cmpx_gt_u32_e32 64, v55
	s_cbranch_execz .LBB44_135
; %bb.101:
	s_and_saveexec_b32 s0, vcc_lo
	s_cbranch_execnz .LBB44_175
; %bb.102:
	s_or_b32 exec_lo, exec_lo, s0
	s_and_saveexec_b32 s0, vcc_lo
	s_cbranch_execnz .LBB44_176
.LBB44_103:
	s_or_b32 exec_lo, exec_lo, s0
	s_and_saveexec_b32 s0, vcc_lo
	s_cbranch_execnz .LBB44_177
.LBB44_104:
	s_or_b32 exec_lo, exec_lo, s0
	s_and_saveexec_b32 s0, vcc_lo
	s_cbranch_execnz .LBB44_178
.LBB44_105:
	s_or_b32 exec_lo, exec_lo, s0
	s_and_saveexec_b32 s0, vcc_lo
	s_cbranch_execnz .LBB44_179
.LBB44_106:
	s_or_b32 exec_lo, exec_lo, s0
	s_and_saveexec_b32 s0, vcc_lo
	s_cbranch_execnz .LBB44_180
.LBB44_107:
	s_or_b32 exec_lo, exec_lo, s0
	s_and_saveexec_b32 s0, vcc_lo
	s_cbranch_execnz .LBB44_181
.LBB44_108:
	s_or_b32 exec_lo, exec_lo, s0
	s_and_saveexec_b32 s0, vcc_lo
	s_cbranch_execnz .LBB44_182
.LBB44_109:
	s_or_b32 exec_lo, exec_lo, s0
	s_and_saveexec_b32 s0, vcc_lo
	s_cbranch_execnz .LBB44_183
.LBB44_110:
	s_or_b32 exec_lo, exec_lo, s0
	s_and_saveexec_b32 s0, vcc_lo
	s_cbranch_execnz .LBB44_184
.LBB44_111:
	s_or_b32 exec_lo, exec_lo, s0
	s_and_saveexec_b32 s0, vcc_lo
	s_cbranch_execnz .LBB44_185
.LBB44_112:
	s_or_b32 exec_lo, exec_lo, s0
	s_and_saveexec_b32 s0, vcc_lo
	s_cbranch_execnz .LBB44_186
.LBB44_113:
	s_or_b32 exec_lo, exec_lo, s0
	s_and_saveexec_b32 s0, vcc_lo
	s_cbranch_execnz .LBB44_187
.LBB44_114:
	s_or_b32 exec_lo, exec_lo, s0
	s_and_saveexec_b32 s0, vcc_lo
	s_cbranch_execnz .LBB44_188
.LBB44_115:
	s_or_b32 exec_lo, exec_lo, s0
	s_and_saveexec_b32 s0, vcc_lo
	s_cbranch_execnz .LBB44_189
.LBB44_116:
	s_or_b32 exec_lo, exec_lo, s0
	s_and_saveexec_b32 s0, vcc_lo
	s_cbranch_execnz .LBB44_190
.LBB44_117:
	s_or_b32 exec_lo, exec_lo, s0
	s_and_saveexec_b32 s0, vcc_lo
	s_cbranch_execnz .LBB44_191
.LBB44_118:
	s_or_b32 exec_lo, exec_lo, s0
	s_and_saveexec_b32 s0, vcc_lo
	s_cbranch_execnz .LBB44_192
.LBB44_119:
	s_or_b32 exec_lo, exec_lo, s0
	s_and_saveexec_b32 s0, vcc_lo
	s_cbranch_execnz .LBB44_193
.LBB44_120:
	s_or_b32 exec_lo, exec_lo, s0
	s_and_saveexec_b32 s0, vcc_lo
	s_cbranch_execnz .LBB44_194
.LBB44_121:
	s_or_b32 exec_lo, exec_lo, s0
	s_and_saveexec_b32 s0, vcc_lo
	s_cbranch_execnz .LBB44_195
.LBB44_122:
	s_or_b32 exec_lo, exec_lo, s0
	s_and_saveexec_b32 s0, vcc_lo
	s_cbranch_execnz .LBB44_196
.LBB44_123:
	s_or_b32 exec_lo, exec_lo, s0
	s_and_saveexec_b32 s0, vcc_lo
	s_cbranch_execnz .LBB44_197
.LBB44_124:
	s_or_b32 exec_lo, exec_lo, s0
	s_and_saveexec_b32 s0, vcc_lo
	s_cbranch_execnz .LBB44_198
.LBB44_125:
	s_or_b32 exec_lo, exec_lo, s0
	s_and_saveexec_b32 s0, vcc_lo
	s_cbranch_execnz .LBB44_199
.LBB44_126:
	s_or_b32 exec_lo, exec_lo, s0
	s_and_saveexec_b32 s0, vcc_lo
	s_cbranch_execnz .LBB44_200
.LBB44_127:
	s_or_b32 exec_lo, exec_lo, s0
	s_and_saveexec_b32 s0, vcc_lo
	s_cbranch_execnz .LBB44_201
.LBB44_128:
	s_or_b32 exec_lo, exec_lo, s0
	s_and_saveexec_b32 s0, vcc_lo
	s_cbranch_execnz .LBB44_202
.LBB44_129:
	s_or_b32 exec_lo, exec_lo, s0
	s_and_saveexec_b32 s0, vcc_lo
	s_cbranch_execnz .LBB44_203
.LBB44_130:
	s_or_b32 exec_lo, exec_lo, s0
	s_and_saveexec_b32 s0, vcc_lo
	s_cbranch_execnz .LBB44_204
.LBB44_131:
	s_or_b32 exec_lo, exec_lo, s0
	s_and_saveexec_b32 s0, vcc_lo
	s_cbranch_execnz .LBB44_205
.LBB44_132:
	s_or_b32 exec_lo, exec_lo, s0
	s_and_saveexec_b32 s0, vcc_lo
	s_cbranch_execz .LBB44_134
.LBB44_133:
	ds_read_b32 v34, v32 offset:992
	s_waitcnt lgkmcnt(0)
	v_add_f32_e32 v31, v31, v34
.LBB44_134:
	s_or_b32 exec_lo, exec_lo, s0
.LBB44_135:
	s_or_b32 exec_lo, exec_lo, s1
	v_and_b32_e32 v34, 0x3e3, v55
	s_mov_b32 s1, exec_lo
	s_barrier
	buffer_gl0_inv
	v_cmpx_eq_u32_e32 32, v34
	s_cbranch_execz .LBB44_137
; %bb.136:
	ds_write2_b32 v33, v0, v1 offset1:8
	ds_write2_b32 v33, v2, v3 offset0:16 offset1:24
	ds_write2_b32 v33, v4, v5 offset0:32 offset1:40
	;; [unrolled: 1-line block ×15, first 2 shown]
.LBB44_137:
	s_or_b32 exec_lo, exec_lo, s1
	s_mov_b32 s1, exec_lo
	s_waitcnt lgkmcnt(0)
	s_barrier
	buffer_gl0_inv
	v_cmpx_gt_u32_e32 32, v55
	s_cbranch_execz .LBB44_172
; %bb.138:
	s_and_saveexec_b32 s0, vcc_lo
	s_cbranch_execnz .LBB44_206
; %bb.139:
	s_or_b32 exec_lo, exec_lo, s0
	s_and_saveexec_b32 s0, vcc_lo
	s_cbranch_execnz .LBB44_207
.LBB44_140:
	s_or_b32 exec_lo, exec_lo, s0
	s_and_saveexec_b32 s0, vcc_lo
	s_cbranch_execnz .LBB44_208
.LBB44_141:
	s_or_b32 exec_lo, exec_lo, s0
	s_and_saveexec_b32 s0, vcc_lo
	s_cbranch_execnz .LBB44_209
.LBB44_142:
	s_or_b32 exec_lo, exec_lo, s0
	s_and_saveexec_b32 s0, vcc_lo
	s_cbranch_execnz .LBB44_210
.LBB44_143:
	s_or_b32 exec_lo, exec_lo, s0
	s_and_saveexec_b32 s0, vcc_lo
	s_cbranch_execnz .LBB44_211
.LBB44_144:
	s_or_b32 exec_lo, exec_lo, s0
	s_and_saveexec_b32 s0, vcc_lo
	s_cbranch_execnz .LBB44_212
.LBB44_145:
	s_or_b32 exec_lo, exec_lo, s0
	s_and_saveexec_b32 s0, vcc_lo
	s_cbranch_execnz .LBB44_213
.LBB44_146:
	s_or_b32 exec_lo, exec_lo, s0
	s_and_saveexec_b32 s0, vcc_lo
	s_cbranch_execnz .LBB44_214
.LBB44_147:
	s_or_b32 exec_lo, exec_lo, s0
	s_and_saveexec_b32 s0, vcc_lo
	s_cbranch_execnz .LBB44_215
.LBB44_148:
	s_or_b32 exec_lo, exec_lo, s0
	s_and_saveexec_b32 s0, vcc_lo
	s_cbranch_execnz .LBB44_216
.LBB44_149:
	s_or_b32 exec_lo, exec_lo, s0
	s_and_saveexec_b32 s0, vcc_lo
	s_cbranch_execnz .LBB44_217
.LBB44_150:
	s_or_b32 exec_lo, exec_lo, s0
	s_and_saveexec_b32 s0, vcc_lo
	s_cbranch_execnz .LBB44_218
.LBB44_151:
	s_or_b32 exec_lo, exec_lo, s0
	s_and_saveexec_b32 s0, vcc_lo
	s_cbranch_execnz .LBB44_219
.LBB44_152:
	s_or_b32 exec_lo, exec_lo, s0
	s_and_saveexec_b32 s0, vcc_lo
	s_cbranch_execnz .LBB44_220
.LBB44_153:
	s_or_b32 exec_lo, exec_lo, s0
	s_and_saveexec_b32 s0, vcc_lo
	s_cbranch_execnz .LBB44_221
.LBB44_154:
	s_or_b32 exec_lo, exec_lo, s0
	s_and_saveexec_b32 s0, vcc_lo
	s_cbranch_execnz .LBB44_222
.LBB44_155:
	s_or_b32 exec_lo, exec_lo, s0
	s_and_saveexec_b32 s0, vcc_lo
	s_cbranch_execnz .LBB44_223
.LBB44_156:
	s_or_b32 exec_lo, exec_lo, s0
	s_and_saveexec_b32 s0, vcc_lo
	s_cbranch_execnz .LBB44_224
.LBB44_157:
	s_or_b32 exec_lo, exec_lo, s0
	s_and_saveexec_b32 s0, vcc_lo
	s_cbranch_execnz .LBB44_225
.LBB44_158:
	s_or_b32 exec_lo, exec_lo, s0
	s_and_saveexec_b32 s0, vcc_lo
	s_cbranch_execnz .LBB44_226
.LBB44_159:
	s_or_b32 exec_lo, exec_lo, s0
	s_and_saveexec_b32 s0, vcc_lo
	s_cbranch_execnz .LBB44_227
.LBB44_160:
	s_or_b32 exec_lo, exec_lo, s0
	s_and_saveexec_b32 s0, vcc_lo
	s_cbranch_execnz .LBB44_228
.LBB44_161:
	s_or_b32 exec_lo, exec_lo, s0
	s_and_saveexec_b32 s0, vcc_lo
	s_cbranch_execnz .LBB44_229
.LBB44_162:
	s_or_b32 exec_lo, exec_lo, s0
	s_and_saveexec_b32 s0, vcc_lo
	s_cbranch_execnz .LBB44_230
.LBB44_163:
	s_or_b32 exec_lo, exec_lo, s0
	s_and_saveexec_b32 s0, vcc_lo
	s_cbranch_execnz .LBB44_231
.LBB44_164:
	s_or_b32 exec_lo, exec_lo, s0
	s_and_saveexec_b32 s0, vcc_lo
	s_cbranch_execnz .LBB44_232
.LBB44_165:
	s_or_b32 exec_lo, exec_lo, s0
	s_and_saveexec_b32 s0, vcc_lo
	s_cbranch_execnz .LBB44_233
.LBB44_166:
	s_or_b32 exec_lo, exec_lo, s0
	s_and_saveexec_b32 s0, vcc_lo
	s_cbranch_execnz .LBB44_234
.LBB44_167:
	s_or_b32 exec_lo, exec_lo, s0
	s_and_saveexec_b32 s0, vcc_lo
	s_cbranch_execnz .LBB44_235
.LBB44_168:
	s_or_b32 exec_lo, exec_lo, s0
	s_and_saveexec_b32 s0, vcc_lo
	s_cbranch_execnz .LBB44_236
.LBB44_169:
	s_or_b32 exec_lo, exec_lo, s0
	s_and_saveexec_b32 s0, vcc_lo
	s_cbranch_execz .LBB44_171
.LBB44_170:
	ds_read_b32 v32, v32 offset:992
	s_waitcnt lgkmcnt(0)
	v_add_f32_e32 v31, v31, v32
.LBB44_171:
	s_or_b32 exec_lo, exec_lo, s0
.LBB44_172:
	s_or_b32 exec_lo, exec_lo, s1
	s_barrier
	buffer_gl0_inv
	s_mov_b32 s0, exec_lo
	v_cmpx_eq_u32_e32 0, v34
	s_cbranch_execz .LBB44_174
; %bb.173:
	s_lshl_b32 s0, s2, 8
	s_mul_i32 s2, s7, s10
	s_ashr_i32 s1, s0, 31
	s_lshl_b64 s[0:1], s[0:1], 2
	s_add_u32 s4, s20, s0
	s_addc_u32 s5, s21, s1
	s_ashr_i32 s3, s2, 31
	s_lshl_b64 s[0:1], s[2:3], 2
	s_add_u32 s2, s4, s0
	s_addc_u32 s3, s5, s1
	s_lshl_b32 s0, s8, 8
	s_ashr_i32 s1, s0, 31
	s_lshl_b64 s[0:1], s[0:1], 2
	s_add_u32 s0, s2, s0
	s_addc_u32 s1, s3, s1
	global_store_dword v55, v0, s[0:1]
	global_store_dword v55, v1, s[0:1] offset:32
	global_store_dword v55, v2, s[0:1] offset:64
	;; [unrolled: 1-line block ×31, first 2 shown]
.LBB44_174:
	s_endpgm
.LBB44_175:
	ds_read_b32 v34, v32
	s_waitcnt lgkmcnt(0)
	v_add_f32_e32 v0, v0, v34
	s_or_b32 exec_lo, exec_lo, s0
	s_and_saveexec_b32 s0, vcc_lo
	s_cbranch_execz .LBB44_103
.LBB44_176:
	ds_read_b32 v34, v32 offset:32
	s_waitcnt lgkmcnt(0)
	v_add_f32_e32 v1, v1, v34
	s_or_b32 exec_lo, exec_lo, s0
	s_and_saveexec_b32 s0, vcc_lo
	s_cbranch_execz .LBB44_104
.LBB44_177:
	ds_read_b32 v34, v32 offset:64
	s_waitcnt lgkmcnt(0)
	v_add_f32_e32 v2, v2, v34
	s_or_b32 exec_lo, exec_lo, s0
	s_and_saveexec_b32 s0, vcc_lo
	s_cbranch_execz .LBB44_105
.LBB44_178:
	ds_read_b32 v34, v32 offset:96
	s_waitcnt lgkmcnt(0)
	v_add_f32_e32 v3, v3, v34
	s_or_b32 exec_lo, exec_lo, s0
	s_and_saveexec_b32 s0, vcc_lo
	s_cbranch_execz .LBB44_106
.LBB44_179:
	ds_read_b32 v34, v32 offset:128
	s_waitcnt lgkmcnt(0)
	v_add_f32_e32 v4, v4, v34
	s_or_b32 exec_lo, exec_lo, s0
	s_and_saveexec_b32 s0, vcc_lo
	s_cbranch_execz .LBB44_107
.LBB44_180:
	ds_read_b32 v34, v32 offset:160
	s_waitcnt lgkmcnt(0)
	v_add_f32_e32 v5, v5, v34
	s_or_b32 exec_lo, exec_lo, s0
	s_and_saveexec_b32 s0, vcc_lo
	s_cbranch_execz .LBB44_108
.LBB44_181:
	ds_read_b32 v34, v32 offset:192
	s_waitcnt lgkmcnt(0)
	v_add_f32_e32 v6, v6, v34
	s_or_b32 exec_lo, exec_lo, s0
	s_and_saveexec_b32 s0, vcc_lo
	s_cbranch_execz .LBB44_109
.LBB44_182:
	ds_read_b32 v34, v32 offset:224
	s_waitcnt lgkmcnt(0)
	v_add_f32_e32 v7, v7, v34
	s_or_b32 exec_lo, exec_lo, s0
	s_and_saveexec_b32 s0, vcc_lo
	s_cbranch_execz .LBB44_110
.LBB44_183:
	ds_read_b32 v34, v32 offset:256
	s_waitcnt lgkmcnt(0)
	v_add_f32_e32 v8, v8, v34
	s_or_b32 exec_lo, exec_lo, s0
	s_and_saveexec_b32 s0, vcc_lo
	s_cbranch_execz .LBB44_111
.LBB44_184:
	ds_read_b32 v34, v32 offset:288
	s_waitcnt lgkmcnt(0)
	v_add_f32_e32 v9, v9, v34
	s_or_b32 exec_lo, exec_lo, s0
	s_and_saveexec_b32 s0, vcc_lo
	s_cbranch_execz .LBB44_112
.LBB44_185:
	ds_read_b32 v34, v32 offset:320
	s_waitcnt lgkmcnt(0)
	v_add_f32_e32 v10, v10, v34
	s_or_b32 exec_lo, exec_lo, s0
	s_and_saveexec_b32 s0, vcc_lo
	s_cbranch_execz .LBB44_113
.LBB44_186:
	ds_read_b32 v34, v32 offset:352
	s_waitcnt lgkmcnt(0)
	v_add_f32_e32 v11, v11, v34
	s_or_b32 exec_lo, exec_lo, s0
	s_and_saveexec_b32 s0, vcc_lo
	s_cbranch_execz .LBB44_114
.LBB44_187:
	ds_read_b32 v34, v32 offset:384
	s_waitcnt lgkmcnt(0)
	v_add_f32_e32 v12, v12, v34
	s_or_b32 exec_lo, exec_lo, s0
	s_and_saveexec_b32 s0, vcc_lo
	s_cbranch_execz .LBB44_115
.LBB44_188:
	ds_read_b32 v34, v32 offset:416
	s_waitcnt lgkmcnt(0)
	v_add_f32_e32 v13, v13, v34
	s_or_b32 exec_lo, exec_lo, s0
	s_and_saveexec_b32 s0, vcc_lo
	s_cbranch_execz .LBB44_116
.LBB44_189:
	ds_read_b32 v34, v32 offset:448
	s_waitcnt lgkmcnt(0)
	v_add_f32_e32 v14, v14, v34
	s_or_b32 exec_lo, exec_lo, s0
	s_and_saveexec_b32 s0, vcc_lo
	s_cbranch_execz .LBB44_117
.LBB44_190:
	ds_read_b32 v34, v32 offset:480
	s_waitcnt lgkmcnt(0)
	v_add_f32_e32 v15, v15, v34
	s_or_b32 exec_lo, exec_lo, s0
	s_and_saveexec_b32 s0, vcc_lo
	s_cbranch_execz .LBB44_118
.LBB44_191:
	ds_read_b32 v34, v32 offset:512
	s_waitcnt lgkmcnt(0)
	v_add_f32_e32 v16, v16, v34
	s_or_b32 exec_lo, exec_lo, s0
	s_and_saveexec_b32 s0, vcc_lo
	s_cbranch_execz .LBB44_119
.LBB44_192:
	ds_read_b32 v34, v32 offset:544
	s_waitcnt lgkmcnt(0)
	v_add_f32_e32 v17, v17, v34
	s_or_b32 exec_lo, exec_lo, s0
	s_and_saveexec_b32 s0, vcc_lo
	s_cbranch_execz .LBB44_120
.LBB44_193:
	ds_read_b32 v34, v32 offset:576
	s_waitcnt lgkmcnt(0)
	v_add_f32_e32 v18, v18, v34
	s_or_b32 exec_lo, exec_lo, s0
	s_and_saveexec_b32 s0, vcc_lo
	s_cbranch_execz .LBB44_121
.LBB44_194:
	ds_read_b32 v34, v32 offset:608
	s_waitcnt lgkmcnt(0)
	v_add_f32_e32 v19, v19, v34
	s_or_b32 exec_lo, exec_lo, s0
	s_and_saveexec_b32 s0, vcc_lo
	s_cbranch_execz .LBB44_122
.LBB44_195:
	ds_read_b32 v34, v32 offset:640
	s_waitcnt lgkmcnt(0)
	v_add_f32_e32 v20, v20, v34
	s_or_b32 exec_lo, exec_lo, s0
	s_and_saveexec_b32 s0, vcc_lo
	s_cbranch_execz .LBB44_123
.LBB44_196:
	ds_read_b32 v34, v32 offset:672
	s_waitcnt lgkmcnt(0)
	v_add_f32_e32 v21, v21, v34
	s_or_b32 exec_lo, exec_lo, s0
	s_and_saveexec_b32 s0, vcc_lo
	s_cbranch_execz .LBB44_124
.LBB44_197:
	ds_read_b32 v34, v32 offset:704
	s_waitcnt lgkmcnt(0)
	v_add_f32_e32 v22, v22, v34
	s_or_b32 exec_lo, exec_lo, s0
	s_and_saveexec_b32 s0, vcc_lo
	s_cbranch_execz .LBB44_125
.LBB44_198:
	ds_read_b32 v34, v32 offset:736
	s_waitcnt lgkmcnt(0)
	v_add_f32_e32 v23, v23, v34
	s_or_b32 exec_lo, exec_lo, s0
	s_and_saveexec_b32 s0, vcc_lo
	s_cbranch_execz .LBB44_126
.LBB44_199:
	ds_read_b32 v34, v32 offset:768
	s_waitcnt lgkmcnt(0)
	v_add_f32_e32 v24, v24, v34
	s_or_b32 exec_lo, exec_lo, s0
	s_and_saveexec_b32 s0, vcc_lo
	s_cbranch_execz .LBB44_127
.LBB44_200:
	ds_read_b32 v34, v32 offset:800
	s_waitcnt lgkmcnt(0)
	v_add_f32_e32 v25, v25, v34
	s_or_b32 exec_lo, exec_lo, s0
	s_and_saveexec_b32 s0, vcc_lo
	s_cbranch_execz .LBB44_128
.LBB44_201:
	ds_read_b32 v34, v32 offset:832
	s_waitcnt lgkmcnt(0)
	v_add_f32_e32 v26, v26, v34
	s_or_b32 exec_lo, exec_lo, s0
	s_and_saveexec_b32 s0, vcc_lo
	s_cbranch_execz .LBB44_129
.LBB44_202:
	ds_read_b32 v34, v32 offset:864
	s_waitcnt lgkmcnt(0)
	v_add_f32_e32 v27, v27, v34
	s_or_b32 exec_lo, exec_lo, s0
	s_and_saveexec_b32 s0, vcc_lo
	s_cbranch_execz .LBB44_130
.LBB44_203:
	ds_read_b32 v34, v32 offset:896
	s_waitcnt lgkmcnt(0)
	v_add_f32_e32 v28, v28, v34
	s_or_b32 exec_lo, exec_lo, s0
	s_and_saveexec_b32 s0, vcc_lo
	s_cbranch_execz .LBB44_131
.LBB44_204:
	ds_read_b32 v34, v32 offset:928
	s_waitcnt lgkmcnt(0)
	v_add_f32_e32 v29, v29, v34
	s_or_b32 exec_lo, exec_lo, s0
	s_and_saveexec_b32 s0, vcc_lo
	s_cbranch_execz .LBB44_132
.LBB44_205:
	ds_read_b32 v34, v32 offset:960
	s_waitcnt lgkmcnt(0)
	v_add_f32_e32 v30, v30, v34
	s_or_b32 exec_lo, exec_lo, s0
	s_and_saveexec_b32 s0, vcc_lo
	s_cbranch_execnz .LBB44_133
	s_branch .LBB44_134
.LBB44_206:
	ds_read_b32 v33, v32
	s_waitcnt lgkmcnt(0)
	v_add_f32_e32 v0, v0, v33
	s_or_b32 exec_lo, exec_lo, s0
	s_and_saveexec_b32 s0, vcc_lo
	s_cbranch_execz .LBB44_140
.LBB44_207:
	ds_read_b32 v33, v32 offset:32
	s_waitcnt lgkmcnt(0)
	v_add_f32_e32 v1, v1, v33
	s_or_b32 exec_lo, exec_lo, s0
	s_and_saveexec_b32 s0, vcc_lo
	s_cbranch_execz .LBB44_141
.LBB44_208:
	ds_read_b32 v33, v32 offset:64
	s_waitcnt lgkmcnt(0)
	v_add_f32_e32 v2, v2, v33
	s_or_b32 exec_lo, exec_lo, s0
	s_and_saveexec_b32 s0, vcc_lo
	s_cbranch_execz .LBB44_142
.LBB44_209:
	ds_read_b32 v33, v32 offset:96
	s_waitcnt lgkmcnt(0)
	v_add_f32_e32 v3, v3, v33
	s_or_b32 exec_lo, exec_lo, s0
	s_and_saveexec_b32 s0, vcc_lo
	s_cbranch_execz .LBB44_143
.LBB44_210:
	ds_read_b32 v33, v32 offset:128
	s_waitcnt lgkmcnt(0)
	v_add_f32_e32 v4, v4, v33
	s_or_b32 exec_lo, exec_lo, s0
	s_and_saveexec_b32 s0, vcc_lo
	s_cbranch_execz .LBB44_144
.LBB44_211:
	ds_read_b32 v33, v32 offset:160
	s_waitcnt lgkmcnt(0)
	v_add_f32_e32 v5, v5, v33
	s_or_b32 exec_lo, exec_lo, s0
	s_and_saveexec_b32 s0, vcc_lo
	s_cbranch_execz .LBB44_145
.LBB44_212:
	ds_read_b32 v33, v32 offset:192
	s_waitcnt lgkmcnt(0)
	v_add_f32_e32 v6, v6, v33
	s_or_b32 exec_lo, exec_lo, s0
	s_and_saveexec_b32 s0, vcc_lo
	s_cbranch_execz .LBB44_146
.LBB44_213:
	ds_read_b32 v33, v32 offset:224
	s_waitcnt lgkmcnt(0)
	v_add_f32_e32 v7, v7, v33
	s_or_b32 exec_lo, exec_lo, s0
	s_and_saveexec_b32 s0, vcc_lo
	s_cbranch_execz .LBB44_147
.LBB44_214:
	ds_read_b32 v33, v32 offset:256
	s_waitcnt lgkmcnt(0)
	v_add_f32_e32 v8, v8, v33
	s_or_b32 exec_lo, exec_lo, s0
	s_and_saveexec_b32 s0, vcc_lo
	s_cbranch_execz .LBB44_148
.LBB44_215:
	ds_read_b32 v33, v32 offset:288
	s_waitcnt lgkmcnt(0)
	v_add_f32_e32 v9, v9, v33
	s_or_b32 exec_lo, exec_lo, s0
	s_and_saveexec_b32 s0, vcc_lo
	s_cbranch_execz .LBB44_149
.LBB44_216:
	ds_read_b32 v33, v32 offset:320
	s_waitcnt lgkmcnt(0)
	v_add_f32_e32 v10, v10, v33
	s_or_b32 exec_lo, exec_lo, s0
	s_and_saveexec_b32 s0, vcc_lo
	s_cbranch_execz .LBB44_150
.LBB44_217:
	ds_read_b32 v33, v32 offset:352
	s_waitcnt lgkmcnt(0)
	v_add_f32_e32 v11, v11, v33
	s_or_b32 exec_lo, exec_lo, s0
	s_and_saveexec_b32 s0, vcc_lo
	s_cbranch_execz .LBB44_151
.LBB44_218:
	ds_read_b32 v33, v32 offset:384
	s_waitcnt lgkmcnt(0)
	v_add_f32_e32 v12, v12, v33
	s_or_b32 exec_lo, exec_lo, s0
	s_and_saveexec_b32 s0, vcc_lo
	s_cbranch_execz .LBB44_152
.LBB44_219:
	ds_read_b32 v33, v32 offset:416
	s_waitcnt lgkmcnt(0)
	v_add_f32_e32 v13, v13, v33
	s_or_b32 exec_lo, exec_lo, s0
	s_and_saveexec_b32 s0, vcc_lo
	s_cbranch_execz .LBB44_153
.LBB44_220:
	ds_read_b32 v33, v32 offset:448
	s_waitcnt lgkmcnt(0)
	v_add_f32_e32 v14, v14, v33
	s_or_b32 exec_lo, exec_lo, s0
	s_and_saveexec_b32 s0, vcc_lo
	s_cbranch_execz .LBB44_154
.LBB44_221:
	ds_read_b32 v33, v32 offset:480
	s_waitcnt lgkmcnt(0)
	v_add_f32_e32 v15, v15, v33
	s_or_b32 exec_lo, exec_lo, s0
	s_and_saveexec_b32 s0, vcc_lo
	s_cbranch_execz .LBB44_155
.LBB44_222:
	ds_read_b32 v33, v32 offset:512
	s_waitcnt lgkmcnt(0)
	v_add_f32_e32 v16, v16, v33
	s_or_b32 exec_lo, exec_lo, s0
	s_and_saveexec_b32 s0, vcc_lo
	s_cbranch_execz .LBB44_156
.LBB44_223:
	ds_read_b32 v33, v32 offset:544
	s_waitcnt lgkmcnt(0)
	v_add_f32_e32 v17, v17, v33
	s_or_b32 exec_lo, exec_lo, s0
	s_and_saveexec_b32 s0, vcc_lo
	s_cbranch_execz .LBB44_157
.LBB44_224:
	ds_read_b32 v33, v32 offset:576
	s_waitcnt lgkmcnt(0)
	v_add_f32_e32 v18, v18, v33
	s_or_b32 exec_lo, exec_lo, s0
	s_and_saveexec_b32 s0, vcc_lo
	s_cbranch_execz .LBB44_158
.LBB44_225:
	ds_read_b32 v33, v32 offset:608
	s_waitcnt lgkmcnt(0)
	v_add_f32_e32 v19, v19, v33
	s_or_b32 exec_lo, exec_lo, s0
	s_and_saveexec_b32 s0, vcc_lo
	s_cbranch_execz .LBB44_159
.LBB44_226:
	ds_read_b32 v33, v32 offset:640
	s_waitcnt lgkmcnt(0)
	v_add_f32_e32 v20, v20, v33
	s_or_b32 exec_lo, exec_lo, s0
	s_and_saveexec_b32 s0, vcc_lo
	s_cbranch_execz .LBB44_160
.LBB44_227:
	ds_read_b32 v33, v32 offset:672
	s_waitcnt lgkmcnt(0)
	v_add_f32_e32 v21, v21, v33
	s_or_b32 exec_lo, exec_lo, s0
	s_and_saveexec_b32 s0, vcc_lo
	s_cbranch_execz .LBB44_161
.LBB44_228:
	ds_read_b32 v33, v32 offset:704
	s_waitcnt lgkmcnt(0)
	v_add_f32_e32 v22, v22, v33
	s_or_b32 exec_lo, exec_lo, s0
	s_and_saveexec_b32 s0, vcc_lo
	s_cbranch_execz .LBB44_162
.LBB44_229:
	ds_read_b32 v33, v32 offset:736
	s_waitcnt lgkmcnt(0)
	v_add_f32_e32 v23, v23, v33
	s_or_b32 exec_lo, exec_lo, s0
	s_and_saveexec_b32 s0, vcc_lo
	s_cbranch_execz .LBB44_163
.LBB44_230:
	ds_read_b32 v33, v32 offset:768
	s_waitcnt lgkmcnt(0)
	v_add_f32_e32 v24, v24, v33
	s_or_b32 exec_lo, exec_lo, s0
	s_and_saveexec_b32 s0, vcc_lo
	s_cbranch_execz .LBB44_164
.LBB44_231:
	ds_read_b32 v33, v32 offset:800
	s_waitcnt lgkmcnt(0)
	v_add_f32_e32 v25, v25, v33
	s_or_b32 exec_lo, exec_lo, s0
	s_and_saveexec_b32 s0, vcc_lo
	s_cbranch_execz .LBB44_165
.LBB44_232:
	ds_read_b32 v33, v32 offset:832
	s_waitcnt lgkmcnt(0)
	v_add_f32_e32 v26, v26, v33
	s_or_b32 exec_lo, exec_lo, s0
	s_and_saveexec_b32 s0, vcc_lo
	s_cbranch_execz .LBB44_166
.LBB44_233:
	ds_read_b32 v33, v32 offset:864
	s_waitcnt lgkmcnt(0)
	v_add_f32_e32 v27, v27, v33
	s_or_b32 exec_lo, exec_lo, s0
	s_and_saveexec_b32 s0, vcc_lo
	s_cbranch_execz .LBB44_167
.LBB44_234:
	ds_read_b32 v33, v32 offset:896
	s_waitcnt lgkmcnt(0)
	v_add_f32_e32 v28, v28, v33
	s_or_b32 exec_lo, exec_lo, s0
	s_and_saveexec_b32 s0, vcc_lo
	s_cbranch_execz .LBB44_168
.LBB44_235:
	ds_read_b32 v33, v32 offset:928
	s_waitcnt lgkmcnt(0)
	v_add_f32_e32 v29, v29, v33
	s_or_b32 exec_lo, exec_lo, s0
	s_and_saveexec_b32 s0, vcc_lo
	s_cbranch_execz .LBB44_169
.LBB44_236:
	ds_read_b32 v33, v32 offset:960
	s_waitcnt lgkmcnt(0)
	v_add_f32_e32 v30, v30, v33
	s_or_b32 exec_lo, exec_lo, s0
	s_and_saveexec_b32 s0, vcc_lo
	s_cbranch_execnz .LBB44_170
	s_branch .LBB44_171
	.section	.rodata,"a",@progbits
	.p2align	6, 0x0
	.amdhsa_kernel _ZN4vllm25paged_attention_v2_kernelIffLi256ELi16ELi128ELNS_18Fp8KVCacheDataTypeE0ELb0ELi512EEEvPfS2_PT_PKS3_PKT0_S9_ifPKiSB_iPKfiiiSD_SD_iiiii
		.amdhsa_group_segment_fixed_size 1056
		.amdhsa_private_segment_fixed_size 308
		.amdhsa_kernarg_size 400
		.amdhsa_user_sgpr_count 6
		.amdhsa_user_sgpr_private_segment_buffer 1
		.amdhsa_user_sgpr_dispatch_ptr 0
		.amdhsa_user_sgpr_queue_ptr 0
		.amdhsa_user_sgpr_kernarg_segment_ptr 1
		.amdhsa_user_sgpr_dispatch_id 0
		.amdhsa_user_sgpr_flat_scratch_init 0
		.amdhsa_user_sgpr_private_segment_size 0
		.amdhsa_wavefront_size32 1
		.amdhsa_uses_dynamic_stack 0
		.amdhsa_system_sgpr_private_segment_wavefront_offset 1
		.amdhsa_system_sgpr_workgroup_id_x 1
		.amdhsa_system_sgpr_workgroup_id_y 1
		.amdhsa_system_sgpr_workgroup_id_z 1
		.amdhsa_system_sgpr_workgroup_info 0
		.amdhsa_system_vgpr_workitem_id 0
		.amdhsa_next_free_vgpr 128
		.amdhsa_next_free_sgpr 44
		.amdhsa_reserve_vcc 1
		.amdhsa_reserve_flat_scratch 0
		.amdhsa_float_round_mode_32 0
		.amdhsa_float_round_mode_16_64 0
		.amdhsa_float_denorm_mode_32 3
		.amdhsa_float_denorm_mode_16_64 3
		.amdhsa_dx10_clamp 1
		.amdhsa_ieee_mode 1
		.amdhsa_fp16_overflow 0
		.amdhsa_workgroup_processor_mode 1
		.amdhsa_memory_ordered 1
		.amdhsa_forward_progress 1
		.amdhsa_shared_vgpr_count 0
		.amdhsa_exception_fp_ieee_invalid_op 0
		.amdhsa_exception_fp_denorm_src 0
		.amdhsa_exception_fp_ieee_div_zero 0
		.amdhsa_exception_fp_ieee_overflow 0
		.amdhsa_exception_fp_ieee_underflow 0
		.amdhsa_exception_fp_ieee_inexact 0
		.amdhsa_exception_int_div_zero 0
	.end_amdhsa_kernel
	.section	.text._ZN4vllm25paged_attention_v2_kernelIffLi256ELi16ELi128ELNS_18Fp8KVCacheDataTypeE0ELb0ELi512EEEvPfS2_PT_PKS3_PKT0_S9_ifPKiSB_iPKfiiiSD_SD_iiiii,"axG",@progbits,_ZN4vllm25paged_attention_v2_kernelIffLi256ELi16ELi128ELNS_18Fp8KVCacheDataTypeE0ELb0ELi512EEEvPfS2_PT_PKS3_PKT0_S9_ifPKiSB_iPKfiiiSD_SD_iiiii,comdat
.Lfunc_end44:
	.size	_ZN4vllm25paged_attention_v2_kernelIffLi256ELi16ELi128ELNS_18Fp8KVCacheDataTypeE0ELb0ELi512EEEvPfS2_PT_PKS3_PKT0_S9_ifPKiSB_iPKfiiiSD_SD_iiiii, .Lfunc_end44-_ZN4vllm25paged_attention_v2_kernelIffLi256ELi16ELi128ELNS_18Fp8KVCacheDataTypeE0ELb0ELi512EEEvPfS2_PT_PKS3_PKT0_S9_ifPKiSB_iPKfiiiSD_SD_iiiii
                                        ; -- End function
	.set _ZN4vllm25paged_attention_v2_kernelIffLi256ELi16ELi128ELNS_18Fp8KVCacheDataTypeE0ELb0ELi512EEEvPfS2_PT_PKS3_PKT0_S9_ifPKiSB_iPKfiiiSD_SD_iiiii.num_vgpr, 128
	.set _ZN4vllm25paged_attention_v2_kernelIffLi256ELi16ELi128ELNS_18Fp8KVCacheDataTypeE0ELb0ELi512EEEvPfS2_PT_PKS3_PKT0_S9_ifPKiSB_iPKfiiiSD_SD_iiiii.num_agpr, 0
	.set _ZN4vllm25paged_attention_v2_kernelIffLi256ELi16ELi128ELNS_18Fp8KVCacheDataTypeE0ELb0ELi512EEEvPfS2_PT_PKS3_PKT0_S9_ifPKiSB_iPKfiiiSD_SD_iiiii.numbered_sgpr, 44
	.set _ZN4vllm25paged_attention_v2_kernelIffLi256ELi16ELi128ELNS_18Fp8KVCacheDataTypeE0ELb0ELi512EEEvPfS2_PT_PKS3_PKT0_S9_ifPKiSB_iPKfiiiSD_SD_iiiii.num_named_barrier, 0
	.set _ZN4vllm25paged_attention_v2_kernelIffLi256ELi16ELi128ELNS_18Fp8KVCacheDataTypeE0ELb0ELi512EEEvPfS2_PT_PKS3_PKT0_S9_ifPKiSB_iPKfiiiSD_SD_iiiii.private_seg_size, 308
	.set _ZN4vllm25paged_attention_v2_kernelIffLi256ELi16ELi128ELNS_18Fp8KVCacheDataTypeE0ELb0ELi512EEEvPfS2_PT_PKS3_PKT0_S9_ifPKiSB_iPKfiiiSD_SD_iiiii.uses_vcc, 1
	.set _ZN4vllm25paged_attention_v2_kernelIffLi256ELi16ELi128ELNS_18Fp8KVCacheDataTypeE0ELb0ELi512EEEvPfS2_PT_PKS3_PKT0_S9_ifPKiSB_iPKfiiiSD_SD_iiiii.uses_flat_scratch, 0
	.set _ZN4vllm25paged_attention_v2_kernelIffLi256ELi16ELi128ELNS_18Fp8KVCacheDataTypeE0ELb0ELi512EEEvPfS2_PT_PKS3_PKT0_S9_ifPKiSB_iPKfiiiSD_SD_iiiii.has_dyn_sized_stack, 0
	.set _ZN4vllm25paged_attention_v2_kernelIffLi256ELi16ELi128ELNS_18Fp8KVCacheDataTypeE0ELb0ELi512EEEvPfS2_PT_PKS3_PKT0_S9_ifPKiSB_iPKfiiiSD_SD_iiiii.has_recursion, 0
	.set _ZN4vllm25paged_attention_v2_kernelIffLi256ELi16ELi128ELNS_18Fp8KVCacheDataTypeE0ELb0ELi512EEEvPfS2_PT_PKS3_PKT0_S9_ifPKiSB_iPKfiiiSD_SD_iiiii.has_indirect_call, 0
	.section	.AMDGPU.csdata,"",@progbits
; Kernel info:
; codeLenInByte = 15688
; TotalNumSgprs: 46
; NumVgprs: 128
; ScratchSize: 308
; MemoryBound: 0
; FloatMode: 240
; IeeeMode: 1
; LDSByteSize: 1056 bytes/workgroup (compile time only)
; SGPRBlocks: 0
; VGPRBlocks: 15
; NumSGPRsForWavesPerEU: 46
; NumVGPRsForWavesPerEU: 128
; Occupancy: 8
; WaveLimiterHint : 1
; COMPUTE_PGM_RSRC2:SCRATCH_EN: 1
; COMPUTE_PGM_RSRC2:USER_SGPR: 6
; COMPUTE_PGM_RSRC2:TRAP_HANDLER: 0
; COMPUTE_PGM_RSRC2:TGID_X_EN: 1
; COMPUTE_PGM_RSRC2:TGID_Y_EN: 1
; COMPUTE_PGM_RSRC2:TGID_Z_EN: 1
; COMPUTE_PGM_RSRC2:TIDIG_COMP_CNT: 0
	.section	.text._ZN4vllm25paged_attention_v2_kernelIffLi32ELi32ELi128ELNS_18Fp8KVCacheDataTypeE0ELb1ELi512EEEvPfS2_PT_PKS3_PKT0_S9_ifPKiSB_iPKfiiiSD_SD_iiiii,"axG",@progbits,_ZN4vllm25paged_attention_v2_kernelIffLi32ELi32ELi128ELNS_18Fp8KVCacheDataTypeE0ELb1ELi512EEEvPfS2_PT_PKS3_PKT0_S9_ifPKiSB_iPKfiiiSD_SD_iiiii,comdat
	.protected	_ZN4vllm25paged_attention_v2_kernelIffLi32ELi32ELi128ELNS_18Fp8KVCacheDataTypeE0ELb1ELi512EEEvPfS2_PT_PKS3_PKT0_S9_ifPKiSB_iPKfiiiSD_SD_iiiii ; -- Begin function _ZN4vllm25paged_attention_v2_kernelIffLi32ELi32ELi128ELNS_18Fp8KVCacheDataTypeE0ELb1ELi512EEEvPfS2_PT_PKS3_PKT0_S9_ifPKiSB_iPKfiiiSD_SD_iiiii
	.globl	_ZN4vllm25paged_attention_v2_kernelIffLi32ELi32ELi128ELNS_18Fp8KVCacheDataTypeE0ELb1ELi512EEEvPfS2_PT_PKS3_PKT0_S9_ifPKiSB_iPKfiiiSD_SD_iiiii
	.p2align	8
	.type	_ZN4vllm25paged_attention_v2_kernelIffLi32ELi32ELi128ELNS_18Fp8KVCacheDataTypeE0ELb1ELi512EEEvPfS2_PT_PKS3_PKT0_S9_ifPKiSB_iPKfiiiSD_SD_iiiii,@function
_ZN4vllm25paged_attention_v2_kernelIffLi32ELi32ELi128ELNS_18Fp8KVCacheDataTypeE0ELb1ELi512EEEvPfS2_PT_PKS3_PKT0_S9_ifPKiSB_iPKfiiiSD_SD_iiiii: ; @_ZN4vllm25paged_attention_v2_kernelIffLi32ELi32ELi128ELNS_18Fp8KVCacheDataTypeE0ELb1ELi512EEEvPfS2_PT_PKS3_PKT0_S9_ifPKiSB_iPKfiiiSD_SD_iiiii
; %bb.0:
	s_load_dwordx2 s[0:1], s[4:5], 0x40
	s_mov_b32 s26, s7
	s_ashr_i32 s27, s7, 31
	s_lshl_b64 s[2:3], s[26:27], 2
	s_waitcnt lgkmcnt(0)
	s_add_u32 s0, s0, s2
	s_addc_u32 s1, s1, s3
	s_lshl_b32 s37, s8, 9
	s_load_dword s27, s[0:1], 0x0
	s_waitcnt lgkmcnt(0)
	s_cmp_ge_i32 s37, s27
	s_cbranch_scc1 .LBB45_84
; %bb.1:
	s_clause 0x1
	s_load_dword s9, s[4:5], 0x90
	s_load_dwordx2 s[2:3], s[4:5], 0x30
	s_mov_b32 s39, 0
	s_waitcnt lgkmcnt(0)
	s_abs_i32 s10, s9
	s_abs_i32 s0, s2
	v_cvt_f32_u32_e32 v1, s0
	s_sub_i32 s7, 0, s0
	v_rcp_iflag_f32_e32 v1, v1
	v_mul_f32_e32 v1, 0x4f7ffffe, v1
	v_cvt_u32_f32_e32 v1, v1
	v_readfirstlane_b32 s1, v1
	s_mul_i32 s7, s7, s1
	s_mul_hi_u32 s7, s1, s7
	s_add_i32 s1, s1, s7
	s_xor_b32 s7, s9, s2
	s_mul_hi_u32 s1, s10, s1
	s_ashr_i32 s7, s7, 31
	s_mul_i32 s11, s1, s0
	s_sub_i32 s10, s10, s11
	s_add_i32 s11, s1, 1
	s_sub_i32 s12, s10, s0
	s_cmp_ge_u32 s10, s0
	s_cselect_b32 s1, s11, s1
	s_cselect_b32 s10, s12, s10
	s_add_i32 s11, s1, 1
	s_cmp_ge_u32 s10, s0
	s_cselect_b32 s0, s11, s1
	s_abs_i32 s21, s6
	s_xor_b32 s0, s0, s7
	s_sub_i32 s10, s0, s7
	s_load_dwordx2 s[0:1], s[4:5], 0x50
	s_abs_i32 s20, s10
	v_cvt_f32_u32_e32 v1, s20
	s_sub_i32 s11, 0, s20
	v_rcp_iflag_f32_e32 v1, v1
	v_mul_f32_e32 v1, 0x4f7ffffe, v1
	v_cvt_u32_f32_e32 v1, v1
	v_readfirstlane_b32 s7, v1
	s_mul_i32 s11, s11, s7
	s_mul_hi_u32 s11, s7, s11
	s_add_i32 s7, s7, s11
	s_waitcnt lgkmcnt(0)
	s_cmp_eq_u64 s[0:1], 0
	s_mul_hi_u32 s22, s21, s7
	s_cbranch_scc1 .LBB45_3
; %bb.2:
	s_ashr_i32 s7, s6, 31
	s_lshl_b64 s[12:13], s[6:7], 2
	s_add_u32 s0, s0, s12
	s_addc_u32 s1, s1, s13
	s_load_dword s39, s[0:1], 0x0
.LBB45_3:
	s_load_dwordx4 s[12:15], s[4:5], 0x58
	v_lshlrev_b32_e32 v35, 4, v0
	s_ashr_i32 s0, s6, 31
	s_ashr_i32 s1, s10, 31
	s_lshl_b32 s10, s6, 5
	s_mov_b32 s7, exec_lo
	v_cmpx_gt_u32_e32 8, v0
	s_cbranch_execz .LBB45_5
; %bb.4:
	s_load_dwordx2 s[16:17], s[4:5], 0x18
	s_waitcnt lgkmcnt(0)
	s_mul_i32 s18, s12, s26
	s_ashr_i32 s19, s18, 31
	s_lshl_b64 s[18:19], s[18:19], 2
	s_add_u32 s12, s16, s18
	s_addc_u32 s15, s17, s19
	s_ashr_i32 s11, s10, 31
	s_lshl_b64 s[16:17], s[10:11], 2
	s_add_u32 s16, s12, s16
	s_addc_u32 s17, s15, s17
	global_load_dwordx4 v[1:4], v35, s[16:17]
	s_waitcnt vmcnt(0)
	ds_write_b128 v35, v[1:4]
.LBB45_5:
	s_or_b32 exec_lo, exec_lo, s7
	s_load_dwordx4 s[16:19], s[4:5], 0x78
	s_mul_i32 s7, s22, s20
	s_xor_b32 s0, s0, s1
	s_sub_i32 s1, s21, s7
	s_add_i32 s7, s22, 1
	s_sub_i32 s11, s1, s20
	s_cmp_ge_u32 s1, s20
	s_mov_b32 s21, -1
	s_cselect_b32 s7, s7, s22
	s_cselect_b32 s1, s11, s1
	s_add_i32 s11, s7, 1
	s_cmp_ge_u32 s1, s20
                                        ; implicit-def: $sgpr33
	s_cselect_b32 s1, s11, s7
	s_load_dword s7, s[4:5], 0x88
	s_xor_b32 s1, s1, s0
	s_add_i32 s20, s27, -1
	s_sub_i32 s1, s1, s0
	s_waitcnt lgkmcnt(0)
	s_abs_i32 s15, s20
	s_abs_i32 s11, s19
	s_barrier
	v_cvt_f32_u32_e32 v1, s11
	s_sub_i32 s0, 0, s11
	buffer_gl0_inv
	v_rcp_iflag_f32_e32 v1, v1
	v_mul_f32_e32 v1, 0x4f7ffffe, v1
	v_cvt_u32_f32_e32 v1, v1
	v_readfirstlane_b32 s12, v1
	s_mul_i32 s0, s0, s12
	s_mul_hi_u32 s0, s12, s0
	s_add_i32 s12, s12, s0
	s_cmp_lt_i32 s7, 0
	s_mul_hi_u32 s0, s15, s12
	s_cbranch_scc0 .LBB45_7
; %bb.6:
	s_mul_i32 s2, s16, s2
	s_mov_b32 s21, 0
	s_add_i32 s2, s1, s2
	s_mul_i32 s2, s2, s7
	s_sub_i32 s33, 1, s2
.LBB45_7:
	s_load_dwordx2 s[28:29], s[4:5], 0x38
	s_ashr_i32 s2, s20, 31
	s_andn2_b32 vcc_lo, exec_lo, s21
	s_ashr_i32 s19, s19, 31
	s_cbranch_vccnz .LBB45_9
; %bb.8:
	s_mul_i32 s16, s9, s16
	s_add_i32 s16, s16, s6
	s_mul_i32 s7, s16, s7
	s_add_i32 s33, s7, 1
.LBB45_9:
	s_clause 0x4
	s_load_dword s16, s[4:5], 0x48
	s_load_dwordx2 s[34:35], s[4:5], 0x28
	s_load_dword s7, s[4:5], 0x98
	s_load_dwordx4 s[20:23], s[4:5], 0x0
	s_load_dwordx2 s[24:25], s[4:5], 0x10
	s_mul_i32 s30, s0, s11
	s_xor_b32 s2, s2, s19
	s_sub_i32 s15, s15, s30
	s_add_i32 s36, s0, 1
	v_lshrrev_b32_e32 v40, 5, v0
	v_and_b32_e32 v41, 31, v0
	v_mov_b32_e32 v39, 0xff7fffff
	s_mul_i32 s14, s1, s14
	v_lshl_add_u32 v42, v40, 5, s37
	v_lshlrev_b32_e32 v36, 2, v41
	s_waitcnt lgkmcnt(0)
	s_mul_i32 s30, s16, s26
	s_sub_i32 s16, s15, s11
	s_ashr_i32 s31, s30, 31
	s_cmp_ge_u32 s15, s11
	s_cselect_b32 s0, s36, s0
	s_cselect_b32 s15, s16, s15
	s_add_i32 s16, s0, 1
	s_cmp_ge_u32 s15, s11
	s_cselect_b32 s0, s16, s0
	s_add_i32 s15, s27, 31
	s_lshl_b32 s40, s8, 4
	s_ashr_i32 s16, s15, 31
	v_add_nc_u32_e32 v37, s40, v40
	s_lshr_b32 s16, s16, 27
	s_add_i32 s15, s15, s16
	s_add_i32 s16, s40, 16
	s_ashr_i32 s36, s15, 5
	s_xor_b32 s15, s0, s2
	s_min_i32 s16, s16, s36
	v_ashrrev_i32_e32 v38, 31, v37
	v_cmp_gt_i32_e64 s0, s16, v37
	s_sub_i32 s38, s15, s2
	s_and_saveexec_b32 s41, s0
	s_cbranch_execz .LBB45_17
; %bb.10:
	s_load_dwordx2 s[42:43], s[4:5], 0x20
	s_ashr_i32 s15, s14, 31
	s_sub_i32 s4, s38, s17
	s_lshl_b64 s[44:45], s[14:15], 2
	v_mov_b32_e32 v29, 0
	v_lshlrev_b32_e32 v47, 4, v41
	v_lshlrev_b64 v[33:34], 2, v[37:38]
	v_subrev_nc_u32_e32 v45, s27, v41
	v_lshl_or_b32 v46, v40, 7, v36
	v_cmp_neq_f32_e64 vcc_lo, s39, 0
	v_lshl_add_u32 v43, v40, 5, s37
	v_mov_b32_e32 v44, 0xff7fffff
	v_mov_b32_e32 v39, 0xff7fffff
	v_add_nc_u32_e32 v45, 1, v45
	v_add_nc_u32_e32 v46, 0xa0, v46
	s_waitcnt lgkmcnt(0)
	s_add_u32 s1, s42, s44
	s_addc_u32 s2, s43, s45
	s_abs_i32 s5, s18
	s_lshl_b64 s[42:43], s[30:31], 2
	v_cvt_f32_u32_e32 v1, s5
	s_sub_i32 s15, 0, s5
	v_add_co_u32 v47, s1, s1, v47
	v_rcp_iflag_f32_e32 v1, v1
	v_mul_f32_e32 v1, 0x4f7ffffe, v1
	v_cvt_u32_f32_e32 v49, v1
	ds_read_b128 v[1:4], v29
	ds_read_b128 v[5:8], v29 offset:16
	ds_read_b128 v[9:12], v29 offset:32
	ds_read_b128 v[13:16], v29 offset:48
	ds_read_b128 v[17:20], v29 offset:64
	ds_read_b128 v[21:24], v29 offset:80
	ds_read_b128 v[25:28], v29 offset:96
	ds_read_b128 v[29:32], v29 offset:112
	v_mul_lo_u32 v48, s15, v49
	s_mov_b32 s15, 0
	v_mul_hi_u32 v50, v49, v48
	v_add_co_ci_u32_e64 v48, null, s2, 0, s1
	s_add_u32 s1, s28, s42
	s_addc_u32 s2, s29, s43
	v_add_co_u32 v33, s1, s1, v33
	v_add_co_ci_u32_e64 v34, null, s2, v34, s1
	v_add_nc_u32_e32 v49, v49, v50
	v_mov_b32_e32 v50, v37
	s_mov_b32 s42, s13
	s_branch .LBB45_12
.LBB45_11:                              ;   in Loop: Header=BB45_12 Depth=1
	s_or_b32 exec_lo, exec_lo, s2
	v_add_nc_u32_e32 v50, 4, v50
	v_add_co_u32 v33, s2, v33, 16
	v_add_co_ci_u32_e64 v34, null, 0, v34, s2
	v_cmp_le_i32_e64 s1, s16, v50
	v_add_nc_u32_e32 v43, 0x80, v43
	v_add_nc_u32_e32 v46, 0x200, v46
	s_or_b32 s15, s1, s15
	s_andn2_b32 exec_lo, exec_lo, s15
	s_cbranch_execz .LBB45_16
.LBB45_12:                              ; =>This Inner Loop Header: Depth=1
	v_sub_nc_u32_e32 v51, 0, v43
	v_max_i32_e32 v51, v43, v51
	v_mul_hi_u32 v52, v51, s12
	v_mul_lo_u32 v53, v52, s11
	v_sub_nc_u32_e32 v51, v51, v53
	v_add_nc_u32_e32 v53, 1, v52
	v_subrev_nc_u32_e32 v54, s11, v51
	v_cmp_le_u32_e64 s1, s11, v51
	v_cndmask_b32_e64 v52, v52, v53, s1
	v_cndmask_b32_e64 v51, v51, v54, s1
	v_ashrrev_i32_e32 v53, 31, v43
	v_add_nc_u32_e32 v54, 1, v52
	v_cmp_le_u32_e64 s1, s11, v51
	v_xor_b32_e32 v53, s19, v53
	v_cndmask_b32_e64 v51, v52, v54, s1
	v_xor_b32_e32 v51, v51, v53
	v_sub_nc_u32_e32 v51, v51, v53
	v_add_nc_u32_e32 v52, s33, v51
	v_cmp_ge_i32_e64 s2, s4, v51
	v_sub_nc_u32_e32 v53, 0, v52
	v_max_i32_e32 v53, v52, v53
	v_ashrrev_i32_e32 v52, 31, v52
	v_mul_hi_u32 v54, v53, v49
	v_mul_lo_u32 v54, v54, s5
	v_sub_nc_u32_e32 v53, v53, v54
	v_subrev_nc_u32_e32 v54, s5, v53
	v_cmp_le_u32_e64 s1, s5, v53
	v_cndmask_b32_e64 v53, v53, v54, s1
	v_subrev_nc_u32_e32 v54, s5, v53
	v_cmp_le_u32_e64 s1, s5, v53
	v_cndmask_b32_e64 v53, v53, v54, s1
	v_xor_b32_e32 v53, v53, v52
	v_sub_nc_u32_e32 v52, v53, v52
	v_cmp_ne_u32_e64 s1, 0, v52
	s_and_b32 s1, s1, s2
	s_and_saveexec_b32 s2, s1
	s_xor_b32 s1, exec_lo, s2
; %bb.13:                               ;   in Loop: Header=BB45_12 Depth=1
	ds_write_b32 v46, v44
; %bb.14:                               ;   in Loop: Header=BB45_12 Depth=1
	s_andn2_saveexec_b32 s2, s1
	s_cbranch_execz .LBB45_11
; %bb.15:                               ;   in Loop: Header=BB45_12 Depth=1
	global_load_dword v51, v[33:34], off
	s_waitcnt vmcnt(0)
	v_mad_i64_i32 v[51:52], null, v51, s42, 0
	v_lshlrev_b64 v[51:52], 2, v[51:52]
	v_add_co_u32 v67, s1, v47, v51
	v_add_co_ci_u32_e64 v68, null, v48, v52, s1
	s_clause 0x3
	global_load_dwordx4 v[51:54], v[67:68], off offset:512
	global_load_dwordx4 v[55:58], v[67:68], off
	global_load_dwordx4 v[59:62], v[67:68], off offset:1024
	global_load_dwordx4 v[63:66], v[67:68], off offset:1536
	v_add_co_u32 v79, s1, 0x800, v67
	v_add_co_ci_u32_e64 v80, null, 0, v68, s1
	s_clause 0x3
	global_load_dwordx4 v[67:70], v[79:80], off
	global_load_dwordx4 v[71:74], v[79:80], off offset:512
	global_load_dwordx4 v[75:78], v[79:80], off offset:1024
	;; [unrolled: 1-line block ×3, first 2 shown]
	s_waitcnt vmcnt(7) lgkmcnt(6)
	v_mul_f32_e32 v51, v5, v51
	v_mul_f32_e32 v52, v6, v52
	;; [unrolled: 1-line block ×4, first 2 shown]
	s_waitcnt vmcnt(6)
	v_fmac_f32_e32 v51, v1, v55
	v_fmac_f32_e32 v52, v2, v56
	;; [unrolled: 1-line block ×4, first 2 shown]
	v_add_nc_u32_e32 v55, v45, v43
	s_waitcnt vmcnt(5) lgkmcnt(5)
	v_fmac_f32_e32 v51, v9, v59
	v_fmac_f32_e32 v52, v10, v60
	;; [unrolled: 1-line block ×4, first 2 shown]
	v_cvt_f32_i32_e32 v55, v55
	s_waitcnt vmcnt(4) lgkmcnt(4)
	v_fmac_f32_e32 v51, v13, v63
	v_fmac_f32_e32 v52, v14, v64
	v_fmac_f32_e32 v53, v15, v65
	v_fmac_f32_e32 v54, v16, v66
	s_waitcnt vmcnt(3) lgkmcnt(3)
	v_fmac_f32_e32 v51, v17, v67
	v_fmac_f32_e32 v52, v18, v68
	v_fmac_f32_e32 v53, v19, v69
	v_fmac_f32_e32 v54, v20, v70
	;; [unrolled: 5-line block ×5, first 2 shown]
	v_add_f32_e32 v51, v51, v52
	v_mul_f32_e32 v52, s39, v55
	v_add_f32_e32 v51, v53, v51
	v_cndmask_b32_e32 v52, 0, v52, vcc_lo
	v_max_f32_e32 v53, v39, v39
	v_add_f32_e32 v51, v54, v51
	v_fmac_f32_e32 v52, s3, v51
	v_add_nc_u32_e32 v51, v41, v43
	v_max_f32_e32 v53, v53, v52
	v_cmp_gt_i32_e64 s1, s27, v51
	v_cndmask_b32_e64 v51, 0, v52, s1
	v_cndmask_b32_e64 v39, v39, v53, s1
	ds_write_b32 v46, v51
	s_branch .LBB45_11
.LBB45_16:
	s_or_b32 exec_lo, exec_lo, s15
.LBB45_17:
	s_or_b32 exec_lo, exec_lo, s41
	s_waitcnt lgkmcnt(7)
	v_mbcnt_lo_u32_b32 v1, -1, 0
	s_waitcnt lgkmcnt(6)
	v_max_f32_e32 v5, v39, v39
	v_xor_b32_e32 v2, 16, v1
	v_xor_b32_e32 v4, 8, v1
	v_cmp_gt_i32_e32 vcc_lo, 32, v2
	v_cndmask_b32_e32 v2, v1, v2, vcc_lo
	v_cmp_gt_i32_e32 vcc_lo, 32, v4
	v_lshlrev_b32_e32 v2, 2, v2
	v_cndmask_b32_e32 v4, v1, v4, vcc_lo
	ds_bpermute_b32 v3, v2, v39
	s_waitcnt lgkmcnt(0)
	v_max_f32_e32 v6, v3, v3
	v_lshlrev_b32_e32 v3, 2, v4
	v_max_f32_e32 v4, v5, v6
	v_xor_b32_e32 v6, 4, v1
	ds_bpermute_b32 v5, v3, v4
	v_cmp_gt_i32_e32 vcc_lo, 32, v6
	v_cndmask_b32_e32 v6, v1, v6, vcc_lo
	v_lshlrev_b32_e32 v45, 2, v6
	v_xor_b32_e32 v6, 2, v1
	v_cmp_gt_i32_e32 vcc_lo, 32, v6
	s_waitcnt lgkmcnt(0)
	v_max_f32_e32 v5, v5, v5
	v_cndmask_b32_e32 v6, v1, v6, vcc_lo
	v_max_f32_e32 v4, v4, v5
	v_lshlrev_b32_e32 v44, 2, v6
	v_xor_b32_e32 v6, 1, v1
	ds_bpermute_b32 v5, v45, v4
	v_cmp_gt_i32_e32 vcc_lo, 32, v6
	v_cndmask_b32_e32 v6, v1, v6, vcc_lo
	v_cmp_eq_u32_e32 vcc_lo, 0, v41
	v_lshlrev_b32_e32 v43, 2, v6
	s_waitcnt lgkmcnt(0)
	v_max_f32_e32 v5, v5, v5
	v_max_f32_e32 v4, v4, v5
	ds_bpermute_b32 v5, v44, v4
	s_waitcnt lgkmcnt(0)
	v_max_f32_e32 v5, v5, v5
	v_max_f32_e32 v1, v4, v5
	v_lshlrev_b32_e32 v5, 2, v40
	ds_bpermute_b32 v4, v43, v1
	s_and_saveexec_b32 s1, vcc_lo
	s_cbranch_execz .LBB45_19
; %bb.18:
	s_waitcnt lgkmcnt(0)
	v_max_f32_e32 v4, v4, v4
	v_max_f32_e32 v1, v1, v1
	;; [unrolled: 1-line block ×3, first 2 shown]
	ds_write_b32 v5, v1 offset:128
.LBB45_19:
	s_or_b32 exec_lo, exec_lo, s1
	v_cmp_gt_u32_e64 s1, 4, v41
	v_mov_b32_e32 v1, 0xff7fffff
	s_waitcnt lgkmcnt(0)
	s_barrier
	buffer_gl0_inv
	s_and_saveexec_b32 s2, s1
; %bb.20:
	ds_read_b32 v1, v36 offset:128
; %bb.21:
	s_or_b32 exec_lo, exec_lo, s2
	s_waitcnt lgkmcnt(0)
	ds_bpermute_b32 v4, v44, v1
	v_max_f32_e32 v1, v1, v1
	v_mov_b32_e32 v6, 0
	s_sub_i32 s2, s16, s40
	s_lshl_b32 s2, s2, 5
	s_add_i32 s2, s2, s37
	s_min_i32 s2, s2, s27
	s_sub_i32 s4, s2, s37
	v_cmp_gt_i32_e64 s2, s4, v0
	s_waitcnt lgkmcnt(0)
	v_max_f32_e32 v4, v4, v4
	v_max_f32_e32 v1, v1, v4
	ds_bpermute_b32 v4, v43, v1
	s_waitcnt lgkmcnt(0)
	v_max_f32_e32 v4, v4, v4
	v_max_f32_e32 v1, v1, v4
	v_lshl_add_u32 v4, v0, 2, 0xa0
	ds_bpermute_b32 v1, v6, v1
	s_and_saveexec_b32 s5, s2
	s_cbranch_execz .LBB45_25
; %bb.22:
	v_lshl_add_u32 v7, v0, 2, 0xa0
	v_mov_b32_e32 v6, 0
	v_mov_b32_e32 v8, v0
	s_mov_b32 s15, 0
	.p2align	6
.LBB45_23:                              ; =>This Inner Loop Header: Depth=1
	ds_read_b32 v9, v7
	v_add_nc_u32_e32 v8, 0x80, v8
	v_cmp_le_i32_e64 s3, s4, v8
	s_or_b32 s15, s3, s15
	s_waitcnt lgkmcnt(0)
	v_sub_f32_e32 v9, v9, v1
	v_mul_f32_e32 v9, 0x3fb8aa3b, v9
	v_exp_f32_e32 v9, v9
	ds_write_b32 v7, v9
	v_add_f32_e32 v6, v6, v9
	v_add_nc_u32_e32 v7, 0x200, v7
	s_andn2_b32 exec_lo, exec_lo, s15
	s_cbranch_execnz .LBB45_23
; %bb.24:
	s_or_b32 exec_lo, exec_lo, s15
.LBB45_25:
	s_or_b32 exec_lo, exec_lo, s5
	ds_bpermute_b32 v2, v2, v6
	s_waitcnt lgkmcnt(0)
	v_add_f32_e32 v2, v6, v2
	ds_bpermute_b32 v3, v3, v2
	s_waitcnt lgkmcnt(0)
	v_add_f32_e32 v2, v2, v3
	;; [unrolled: 3-line block ×5, first 2 shown]
	s_and_saveexec_b32 s3, vcc_lo
; %bb.26:
	ds_write_b32 v5, v2 offset:144
; %bb.27:
	s_or_b32 exec_lo, exec_lo, s3
	s_waitcnt lgkmcnt(0)
	s_barrier
	buffer_gl0_inv
	s_and_saveexec_b32 s3, s1
; %bb.28:
	ds_read_b32 v2, v36 offset:144
; %bb.29:
	s_or_b32 exec_lo, exec_lo, s3
	s_waitcnt lgkmcnt(0)
	ds_bpermute_b32 v3, v44, v2
	s_waitcnt lgkmcnt(0)
	v_add_f32_e32 v2, v2, v3
	ds_bpermute_b32 v3, v43, v2
	s_waitcnt lgkmcnt(0)
	v_add_f32_e32 v2, v2, v3
	v_mov_b32_e32 v3, 0
	ds_bpermute_b32 v2, v3, v2
	s_and_saveexec_b32 s1, s2
	s_cbranch_execz .LBB45_32
; %bb.30:
	s_waitcnt lgkmcnt(0)
	v_add_f32_e32 v3, 0x358637bd, v2
	s_mov_b32 s2, 0
	v_div_scale_f32 v5, null, v3, v3, 1.0
	v_div_scale_f32 v8, vcc_lo, 1.0, v3, 1.0
	v_rcp_f32_e32 v6, v5
	v_fma_f32 v7, -v5, v6, 1.0
	v_fmac_f32_e32 v6, v7, v6
	v_mul_f32_e32 v7, v8, v6
	v_fma_f32 v9, -v5, v7, v8
	v_fmac_f32_e32 v7, v9, v6
	v_fma_f32 v5, -v5, v7, v8
	v_div_fmas_f32 v5, v5, v6, v7
	v_div_fixup_f32 v3, v5, v3, 1.0
	v_mov_b32_e32 v5, v0
.LBB45_31:                              ; =>This Inner Loop Header: Depth=1
	ds_read_b32 v6, v4
	v_add_nc_u32_e32 v5, 0x80, v5
	v_cmp_le_i32_e32 vcc_lo, s4, v5
	s_or_b32 s2, vcc_lo, s2
	s_waitcnt lgkmcnt(0)
	v_mul_f32_e32 v6, v3, v6
	ds_write_b32 v4, v6
	v_add_nc_u32_e32 v4, 0x200, v4
	s_andn2_b32 exec_lo, exec_lo, s2
	s_cbranch_execnz .LBB45_31
.LBB45_32:
	s_or_b32 exec_lo, exec_lo, s1
	s_mul_i32 s1, s7, s26
	s_waitcnt lgkmcnt(0)
	s_mul_i32 s2, s1, s9
	s_mov_b32 s1, exec_lo
	s_barrier
	buffer_gl0_inv
	v_cmpx_eq_u32_e32 0, v0
	s_cbranch_execz .LBB45_34
; %bb.33:
	s_ashr_i32 s3, s2, 31
	s_mul_i32 s40, s7, s6
	s_lshl_b64 s[4:5], s[2:3], 2
	v_mov_b32_e32 v3, 0
	s_add_u32 s3, s22, s4
	s_addc_u32 s6, s23, s5
	s_ashr_i32 s41, s40, 31
	s_lshl_b64 s[22:23], s[40:41], 2
	s_add_u32 s3, s3, s22
	s_addc_u32 s6, s6, s23
	s_ashr_i32 s9, s8, 31
	s_lshl_b64 s[40:41], s[8:9], 2
	s_add_u32 s42, s3, s40
	s_addc_u32 s43, s6, s41
	s_add_u32 s3, s20, s4
	s_addc_u32 s4, s21, s5
	;; [unrolled: 2-line block ×4, first 2 shown]
	global_store_dword v3, v1, s[42:43]
	global_store_dword v3, v2, s[4:5]
.LBB45_34:
	s_or_b32 exec_lo, exec_lo, s1
	v_mov_b32_e32 v54, 0
	v_and_b32_e32 v46, 7, v0
	v_mov_b32_e32 v53, 0
	v_mov_b32_e32 v52, 0
	;; [unrolled: 1-line block ×7, first 2 shown]
	s_and_saveexec_b32 s1, s0
	s_cbranch_execz .LBB45_56
; %bb.35:
	s_ashr_i32 s15, s14, 31
	s_sub_i32 s3, s38, s17
	s_lshl_b64 s[4:5], s[14:15], 2
	v_lshlrev_b32_e32 v4, 2, v0
	s_add_u32 s0, s34, s4
	s_addc_u32 s5, s35, s5
	s_abs_i32 s4, s18
	v_and_b32_e32 v5, 0x1f0, v35
	v_cvt_f32_u32_e32 v1, s4
	s_sub_i32 s6, 0, s4
	v_and_b32_e32 v55, 28, v4
	v_lshlrev_b32_e32 v6, 4, v46
	s_lshl_b64 s[14:15], s[30:31], 2
	v_rcp_iflag_f32_e32 v3, v1
	v_lshlrev_b64 v[1:2], 2, v[37:38]
	v_add_co_u32 v56, s0, s0, v5
	s_add_i32 s36, s36, -1
	v_lshl_or_b32 v6, v40, 7, v6
	v_add_co_ci_u32_e64 v57, null, s5, 0, s0
	s_add_u32 s0, s28, s14
	s_addc_u32 s5, s29, s15
	v_mul_f32_e32 v3, 0x4f7ffffe, v3
	v_add_co_u32 v38, vcc_lo, s0, v1
	v_mov_b32_e32 v47, 0
	v_mov_b32_e32 v48, 0
	v_cvt_u32_f32_e32 v3, v3
	v_mov_b32_e32 v49, 0
	v_mov_b32_e32 v50, 0
	v_mov_b32_e32 v51, 0
	v_mov_b32_e32 v52, 0
	v_mul_lo_u32 v4, s6, v3
	v_mov_b32_e32 v53, 0
	v_add_nc_u32_e32 v58, 0xa0, v6
	v_add_co_ci_u32_e64 v39, null, s5, v2, vcc_lo
	v_mov_b32_e32 v54, 0
	s_mov_b32 s6, s13
	s_mov_b32 s5, 0
	v_mul_hi_u32 v4, v3, v4
	v_add_nc_u32_e32 v59, v3, v4
	s_branch .LBB45_38
.LBB45_36:                              ;   in Loop: Header=BB45_38 Depth=1
	s_or_b32 exec_lo, exec_lo, s0
	s_waitcnt vmcnt(1) lgkmcnt(0)
	v_mul_f32_e32 v29, v1, v29
	v_mul_f32_e32 v25, v1, v25
	;; [unrolled: 1-line block ×7, first 2 shown]
	s_waitcnt vmcnt(0)
	v_mul_f32_e32 v1, v1, v33
	v_fmac_f32_e32 v29, v2, v30
	v_fmac_f32_e32 v25, v2, v26
	;; [unrolled: 1-line block ×24, first 2 shown]
	v_add_f32_e32 v48, v48, v29
	v_add_f32_e32 v49, v49, v25
	;; [unrolled: 1-line block ×8, first 2 shown]
.LBB45_37:                              ;   in Loop: Header=BB45_38 Depth=1
	s_or_b32 exec_lo, exec_lo, s9
	v_add_nc_u32_e32 v37, 4, v37
	v_add_co_u32 v38, s0, v38, 16
	v_add_co_ci_u32_e64 v39, null, 0, v39, s0
	v_cmp_le_i32_e32 vcc_lo, s16, v37
	v_add_nc_u32_e32 v42, 0x80, v42
	v_add_nc_u32_e32 v58, 0x200, v58
	s_or_b32 s5, vcc_lo, s5
	s_andn2_b32 exec_lo, exec_lo, s5
	s_cbranch_execz .LBB45_55
.LBB45_38:                              ; =>This Inner Loop Header: Depth=1
	v_sub_nc_u32_e32 v1, 0, v42
	v_max_i32_e32 v1, v42, v1
	v_mul_hi_u32 v2, v1, s12
	v_mul_lo_u32 v3, v2, s11
	v_sub_nc_u32_e32 v1, v1, v3
	v_add_nc_u32_e32 v3, 1, v2
	v_subrev_nc_u32_e32 v4, s11, v1
	v_cmp_le_u32_e32 vcc_lo, s11, v1
	v_cndmask_b32_e32 v2, v2, v3, vcc_lo
	v_cndmask_b32_e32 v1, v1, v4, vcc_lo
	v_ashrrev_i32_e32 v3, 31, v42
	v_add_nc_u32_e32 v4, 1, v2
	v_cmp_le_u32_e32 vcc_lo, s11, v1
	v_xor_b32_e32 v3, s19, v3
	v_cndmask_b32_e32 v1, v2, v4, vcc_lo
	v_xor_b32_e32 v1, v1, v3
	v_sub_nc_u32_e32 v1, v1, v3
	v_add_nc_u32_e32 v2, s33, v1
	v_cmp_lt_i32_e64 s0, s3, v1
	v_sub_nc_u32_e32 v3, 0, v2
	v_max_i32_e32 v3, v2, v3
	v_ashrrev_i32_e32 v2, 31, v2
	v_mul_hi_u32 v4, v3, v59
	v_mul_lo_u32 v4, v4, s4
	v_sub_nc_u32_e32 v3, v3, v4
	v_subrev_nc_u32_e32 v4, s4, v3
	v_cmp_le_u32_e32 vcc_lo, s4, v3
	v_cndmask_b32_e32 v3, v3, v4, vcc_lo
	v_subrev_nc_u32_e32 v4, s4, v3
	v_cmp_le_u32_e32 vcc_lo, s4, v3
	v_cndmask_b32_e32 v3, v3, v4, vcc_lo
	v_xor_b32_e32 v3, v3, v2
	v_sub_nc_u32_e32 v2, v3, v2
	v_cmp_eq_u32_e32 vcc_lo, 0, v2
	s_or_b32 s0, vcc_lo, s0
	s_and_saveexec_b32 s9, s0
	s_cbranch_execz .LBB45_37
; %bb.39:                               ;   in Loop: Header=BB45_38 Depth=1
	global_load_dword v1, v[38:39], off
	v_add_nc_u32_e32 v60, v55, v42
	v_add_nc_u32_e32 v63, 1, v60
	;; [unrolled: 1-line block ×4, first 2 shown]
	s_waitcnt vmcnt(0)
	v_mad_i64_i32 v[1:2], null, v1, s6, 0
	v_lshlrev_b64 v[1:2], 2, v[1:2]
	v_add_co_u32 v21, vcc_lo, v56, v1
	v_add_co_ci_u32_e64 v22, null, v57, v2, vcc_lo
	ds_read_b128 v[1:4], v58
	v_cmp_eq_u32_e32 vcc_lo, s36, v37
	global_load_dwordx4 v[5:8], v[21:22], off
	s_and_saveexec_b32 s13, vcc_lo
	s_cbranch_execnz .LBB45_48
; %bb.40:                               ;   in Loop: Header=BB45_38 Depth=1
	s_or_b32 exec_lo, exec_lo, s13
	global_load_dwordx4 v[9:12], v[21:22], off offset:512
	s_and_saveexec_b32 s13, vcc_lo
	s_cbranch_execnz .LBB45_49
.LBB45_41:                              ;   in Loop: Header=BB45_38 Depth=1
	s_or_b32 exec_lo, exec_lo, s13
	global_load_dwordx4 v[13:16], v[21:22], off offset:1024
	s_and_saveexec_b32 s13, vcc_lo
	s_cbranch_execnz .LBB45_50
.LBB45_42:                              ;   in Loop: Header=BB45_38 Depth=1
	s_or_b32 exec_lo, exec_lo, s13
	global_load_dwordx4 v[17:20], v[21:22], off offset:1536
	s_and_saveexec_b32 s13, vcc_lo
	s_cbranch_execz .LBB45_44
.LBB45_43:                              ;   in Loop: Header=BB45_38 Depth=1
	v_cmp_gt_i32_e64 s0, s27, v60
	s_waitcnt vmcnt(0)
	v_cndmask_b32_e64 v17, 0, v17, s0
	v_cmp_gt_i32_e64 s0, s27, v63
	v_cndmask_b32_e64 v18, 0, v18, s0
	v_cmp_gt_i32_e64 s0, s27, v62
	;; [unrolled: 2-line block ×3, first 2 shown]
	v_cndmask_b32_e64 v20, 0, v20, s0
.LBB45_44:                              ;   in Loop: Header=BB45_38 Depth=1
	s_or_b32 exec_lo, exec_lo, s13
	v_add_co_u32 v33, s0, 0x800, v21
	v_add_co_ci_u32_e64 v34, null, 0, v22, s0
	global_load_dwordx4 v[21:24], v[33:34], off
	s_and_saveexec_b32 s13, vcc_lo
	s_cbranch_execnz .LBB45_51
; %bb.45:                               ;   in Loop: Header=BB45_38 Depth=1
	s_or_b32 exec_lo, exec_lo, s13
	global_load_dwordx4 v[25:28], v[33:34], off offset:512
	s_and_saveexec_b32 s13, vcc_lo
	s_cbranch_execnz .LBB45_52
.LBB45_46:                              ;   in Loop: Header=BB45_38 Depth=1
	s_or_b32 exec_lo, exec_lo, s13
	global_load_dwordx4 v[29:32], v[33:34], off offset:1024
	s_and_saveexec_b32 s13, vcc_lo
	s_cbranch_execnz .LBB45_53
.LBB45_47:                              ;   in Loop: Header=BB45_38 Depth=1
	s_or_b32 exec_lo, exec_lo, s13
	global_load_dwordx4 v[33:36], v[33:34], off offset:1536
	s_and_saveexec_b32 s0, vcc_lo
	s_cbranch_execz .LBB45_36
	s_branch .LBB45_54
.LBB45_48:                              ;   in Loop: Header=BB45_38 Depth=1
	v_cmp_gt_i32_e64 s0, s27, v60
	s_waitcnt vmcnt(0)
	v_cndmask_b32_e64 v5, 0, v5, s0
	v_cmp_gt_i32_e64 s0, s27, v63
	v_cndmask_b32_e64 v6, 0, v6, s0
	v_cmp_gt_i32_e64 s0, s27, v62
	;; [unrolled: 2-line block ×3, first 2 shown]
	v_cndmask_b32_e64 v8, 0, v8, s0
	s_or_b32 exec_lo, exec_lo, s13
	global_load_dwordx4 v[9:12], v[21:22], off offset:512
	s_and_saveexec_b32 s13, vcc_lo
	s_cbranch_execz .LBB45_41
.LBB45_49:                              ;   in Loop: Header=BB45_38 Depth=1
	v_cmp_gt_i32_e64 s0, s27, v60
	s_waitcnt vmcnt(0)
	v_cndmask_b32_e64 v9, 0, v9, s0
	v_cmp_gt_i32_e64 s0, s27, v63
	v_cndmask_b32_e64 v10, 0, v10, s0
	v_cmp_gt_i32_e64 s0, s27, v62
	;; [unrolled: 2-line block ×3, first 2 shown]
	v_cndmask_b32_e64 v12, 0, v12, s0
	s_or_b32 exec_lo, exec_lo, s13
	global_load_dwordx4 v[13:16], v[21:22], off offset:1024
	s_and_saveexec_b32 s13, vcc_lo
	s_cbranch_execz .LBB45_42
.LBB45_50:                              ;   in Loop: Header=BB45_38 Depth=1
	v_cmp_gt_i32_e64 s0, s27, v60
	s_waitcnt vmcnt(0)
	v_cndmask_b32_e64 v13, 0, v13, s0
	v_cmp_gt_i32_e64 s0, s27, v63
	v_cndmask_b32_e64 v14, 0, v14, s0
	v_cmp_gt_i32_e64 s0, s27, v62
	;; [unrolled: 2-line block ×3, first 2 shown]
	v_cndmask_b32_e64 v16, 0, v16, s0
	s_or_b32 exec_lo, exec_lo, s13
	global_load_dwordx4 v[17:20], v[21:22], off offset:1536
	s_and_saveexec_b32 s13, vcc_lo
	s_cbranch_execnz .LBB45_43
	s_branch .LBB45_44
.LBB45_51:                              ;   in Loop: Header=BB45_38 Depth=1
	v_cmp_gt_i32_e64 s0, s27, v60
	s_waitcnt vmcnt(0)
	v_cndmask_b32_e64 v21, 0, v21, s0
	v_cmp_gt_i32_e64 s0, s27, v63
	v_cndmask_b32_e64 v22, 0, v22, s0
	v_cmp_gt_i32_e64 s0, s27, v62
	v_cndmask_b32_e64 v23, 0, v23, s0
	v_cmp_gt_i32_e64 s0, s27, v61
	v_cndmask_b32_e64 v24, 0, v24, s0
	s_or_b32 exec_lo, exec_lo, s13
	global_load_dwordx4 v[25:28], v[33:34], off offset:512
	s_and_saveexec_b32 s13, vcc_lo
	s_cbranch_execz .LBB45_46
.LBB45_52:                              ;   in Loop: Header=BB45_38 Depth=1
	v_cmp_gt_i32_e64 s0, s27, v60
	s_waitcnt vmcnt(0)
	v_cndmask_b32_e64 v25, 0, v25, s0
	v_cmp_gt_i32_e64 s0, s27, v63
	v_cndmask_b32_e64 v26, 0, v26, s0
	v_cmp_gt_i32_e64 s0, s27, v62
	;; [unrolled: 2-line block ×3, first 2 shown]
	v_cndmask_b32_e64 v28, 0, v28, s0
	s_or_b32 exec_lo, exec_lo, s13
	global_load_dwordx4 v[29:32], v[33:34], off offset:1024
	s_and_saveexec_b32 s13, vcc_lo
	s_cbranch_execz .LBB45_47
.LBB45_53:                              ;   in Loop: Header=BB45_38 Depth=1
	v_cmp_gt_i32_e64 s0, s27, v60
	s_waitcnt vmcnt(0)
	v_cndmask_b32_e64 v29, 0, v29, s0
	v_cmp_gt_i32_e64 s0, s27, v63
	v_cndmask_b32_e64 v30, 0, v30, s0
	v_cmp_gt_i32_e64 s0, s27, v62
	;; [unrolled: 2-line block ×3, first 2 shown]
	v_cndmask_b32_e64 v32, 0, v32, s0
	s_or_b32 exec_lo, exec_lo, s13
	global_load_dwordx4 v[33:36], v[33:34], off offset:1536
	s_and_saveexec_b32 s0, vcc_lo
	s_cbranch_execz .LBB45_36
.LBB45_54:                              ;   in Loop: Header=BB45_38 Depth=1
	v_cmp_gt_i32_e32 vcc_lo, s27, v60
	s_waitcnt vmcnt(0)
	v_cndmask_b32_e32 v33, 0, v33, vcc_lo
	v_cmp_gt_i32_e32 vcc_lo, s27, v63
	v_cndmask_b32_e32 v34, 0, v34, vcc_lo
	v_cmp_gt_i32_e32 vcc_lo, s27, v62
	;; [unrolled: 2-line block ×3, first 2 shown]
	v_cndmask_b32_e32 v36, 0, v36, vcc_lo
	s_branch .LBB45_36
.LBB45_55:
	s_or_b32 exec_lo, exec_lo, s5
.LBB45_56:
	s_or_b32 exec_lo, exec_lo, s1
	ds_bpermute_b32 v1, v45, v54
	ds_bpermute_b32 v2, v45, v53
	;; [unrolled: 1-line block ×8, first 2 shown]
	v_and_b32_e32 v19, 0x3c7, v0
	s_mov_b32 s0, exec_lo
	s_waitcnt lgkmcnt(0)
	s_waitcnt_vscnt null, 0x0
	s_barrier
	buffer_gl0_inv
	v_add_f32_e32 v1, v54, v1
	v_add_f32_e32 v2, v53, v2
	;; [unrolled: 1-line block ×8, first 2 shown]
	ds_bpermute_b32 v9, v44, v1
	ds_bpermute_b32 v10, v44, v2
	;; [unrolled: 1-line block ×8, first 2 shown]
	s_waitcnt lgkmcnt(7)
	v_add_f32_e32 v1, v1, v9
	s_waitcnt lgkmcnt(6)
	v_add_f32_e32 v2, v2, v10
	;; [unrolled: 2-line block ×8, first 2 shown]
	ds_bpermute_b32 v11, v43, v1
	ds_bpermute_b32 v12, v43, v2
	;; [unrolled: 1-line block ×8, first 2 shown]
	v_lshrrev_b32_e32 v9, 3, v41
	v_lshl_add_u32 v10, v9, 2, 0xa0
	s_waitcnt lgkmcnt(7)
	v_add_f32_e32 v1, v1, v11
	s_waitcnt lgkmcnt(6)
	v_add_f32_e32 v2, v2, v12
	;; [unrolled: 2-line block ×8, first 2 shown]
	v_cmpx_eq_u32_e32 64, v19
	s_cbranch_execz .LBB45_58
; %bb.57:
	v_lshl_add_u32 v11, v40, 7, v10
	v_add_nc_u32_e32 v12, 0xffffff00, v11
	v_add_nc_u32_e32 v15, 0xffffff30, v11
	;; [unrolled: 1-line block ×8, first 2 shown]
	ds_write_b32 v12, v1
	ds_write_b32 v13, v2
	;; [unrolled: 1-line block ×8, first 2 shown]
.LBB45_58:
	s_or_b32 exec_lo, exec_lo, s0
	v_and_b32_e32 v11, 0x3e0, v0
	v_lshlrev_b32_e32 v9, 2, v9
	s_mov_b32 s1, exec_lo
	v_cmp_eq_u32_e32 vcc_lo, 0, v46
	s_waitcnt lgkmcnt(0)
	v_lshlrev_b32_e32 v11, 2, v11
	s_barrier
	buffer_gl0_inv
	v_add3_u32 v9, 0xa0, v11, v9
	v_cmpx_gt_u32_e32 64, v0
	s_cbranch_execz .LBB45_69
; %bb.59:
	s_and_saveexec_b32 s0, vcc_lo
	s_cbranch_execnz .LBB45_85
; %bb.60:
	s_or_b32 exec_lo, exec_lo, s0
	s_and_saveexec_b32 s0, vcc_lo
	s_cbranch_execnz .LBB45_86
.LBB45_61:
	s_or_b32 exec_lo, exec_lo, s0
	s_and_saveexec_b32 s0, vcc_lo
	s_cbranch_execnz .LBB45_87
.LBB45_62:
	s_or_b32 exec_lo, exec_lo, s0
	s_and_saveexec_b32 s0, vcc_lo
	s_cbranch_execnz .LBB45_88
.LBB45_63:
	s_or_b32 exec_lo, exec_lo, s0
	s_and_saveexec_b32 s0, vcc_lo
	s_cbranch_execnz .LBB45_89
.LBB45_64:
	s_or_b32 exec_lo, exec_lo, s0
	s_and_saveexec_b32 s0, vcc_lo
	s_cbranch_execnz .LBB45_90
.LBB45_65:
	s_or_b32 exec_lo, exec_lo, s0
	s_and_saveexec_b32 s0, vcc_lo
	s_cbranch_execnz .LBB45_91
.LBB45_66:
	s_or_b32 exec_lo, exec_lo, s0
	s_and_saveexec_b32 s0, vcc_lo
	s_cbranch_execz .LBB45_68
.LBB45_67:
	ds_read_b32 v11, v9 offset:112
	s_waitcnt lgkmcnt(0)
	v_add_f32_e32 v8, v8, v11
.LBB45_68:
	s_or_b32 exec_lo, exec_lo, s0
.LBB45_69:
	s_or_b32 exec_lo, exec_lo, s1
	v_and_b32_e32 v11, 0x3e7, v0
	s_mov_b32 s1, exec_lo
	s_barrier
	buffer_gl0_inv
	v_cmpx_eq_u32_e32 32, v11
	s_cbranch_execz .LBB45_71
; %bb.70:
	ds_write2_b32 v10, v1, v2 offset1:4
	ds_write2_b32 v10, v3, v4 offset0:8 offset1:12
	ds_write2_b32 v10, v5, v6 offset0:16 offset1:20
	;; [unrolled: 1-line block ×3, first 2 shown]
.LBB45_71:
	s_or_b32 exec_lo, exec_lo, s1
	s_mov_b32 s1, exec_lo
	s_waitcnt lgkmcnt(0)
	s_barrier
	buffer_gl0_inv
	v_cmpx_gt_u32_e32 32, v0
	s_cbranch_execz .LBB45_82
; %bb.72:
	s_and_saveexec_b32 s0, vcc_lo
	s_cbranch_execnz .LBB45_92
; %bb.73:
	s_or_b32 exec_lo, exec_lo, s0
	s_and_saveexec_b32 s0, vcc_lo
	s_cbranch_execnz .LBB45_93
.LBB45_74:
	s_or_b32 exec_lo, exec_lo, s0
	s_and_saveexec_b32 s0, vcc_lo
	s_cbranch_execnz .LBB45_94
.LBB45_75:
	s_or_b32 exec_lo, exec_lo, s0
	s_and_saveexec_b32 s0, vcc_lo
	s_cbranch_execnz .LBB45_95
.LBB45_76:
	s_or_b32 exec_lo, exec_lo, s0
	s_and_saveexec_b32 s0, vcc_lo
	s_cbranch_execnz .LBB45_96
.LBB45_77:
	s_or_b32 exec_lo, exec_lo, s0
	s_and_saveexec_b32 s0, vcc_lo
	s_cbranch_execnz .LBB45_97
.LBB45_78:
	s_or_b32 exec_lo, exec_lo, s0
	s_and_saveexec_b32 s0, vcc_lo
	s_cbranch_execnz .LBB45_98
.LBB45_79:
	s_or_b32 exec_lo, exec_lo, s0
	s_and_saveexec_b32 s0, vcc_lo
	s_cbranch_execz .LBB45_81
.LBB45_80:
	ds_read_b32 v9, v9 offset:112
	s_waitcnt lgkmcnt(0)
	v_add_f32_e32 v8, v8, v9
.LBB45_81:
	s_or_b32 exec_lo, exec_lo, s0
.LBB45_82:
	s_or_b32 exec_lo, exec_lo, s1
	s_barrier
	buffer_gl0_inv
	s_mov_b32 s0, exec_lo
	v_cmpx_eq_u32_e32 0, v11
	s_cbranch_execz .LBB45_84
; %bb.83:
	s_lshl_b32 s0, s2, 5
	s_mul_i32 s2, s7, s10
	s_ashr_i32 s1, s0, 31
	v_lshrrev_b32_e32 v0, 1, v0
	s_lshl_b64 s[0:1], s[0:1], 2
	s_add_u32 s4, s24, s0
	s_addc_u32 s5, s25, s1
	s_ashr_i32 s3, s2, 31
	s_lshl_b64 s[0:1], s[2:3], 2
	s_add_u32 s2, s4, s0
	s_addc_u32 s3, s5, s1
	s_lshl_b32 s0, s8, 5
	s_ashr_i32 s1, s0, 31
	s_lshl_b64 s[0:1], s[0:1], 2
	s_add_u32 s0, s2, s0
	s_addc_u32 s1, s3, s1
	global_store_dword v0, v1, s[0:1]
	global_store_dword v0, v2, s[0:1] offset:16
	global_store_dword v0, v3, s[0:1] offset:32
	global_store_dword v0, v4, s[0:1] offset:48
	global_store_dword v0, v5, s[0:1] offset:64
	global_store_dword v0, v6, s[0:1] offset:80
	global_store_dword v0, v7, s[0:1] offset:96
	global_store_dword v0, v8, s[0:1] offset:112
.LBB45_84:
	s_endpgm
.LBB45_85:
	ds_read_b32 v11, v9
	s_waitcnt lgkmcnt(0)
	v_add_f32_e32 v1, v1, v11
	s_or_b32 exec_lo, exec_lo, s0
	s_and_saveexec_b32 s0, vcc_lo
	s_cbranch_execz .LBB45_61
.LBB45_86:
	ds_read_b32 v11, v9 offset:16
	s_waitcnt lgkmcnt(0)
	v_add_f32_e32 v2, v2, v11
	s_or_b32 exec_lo, exec_lo, s0
	s_and_saveexec_b32 s0, vcc_lo
	s_cbranch_execz .LBB45_62
.LBB45_87:
	ds_read_b32 v11, v9 offset:32
	s_waitcnt lgkmcnt(0)
	v_add_f32_e32 v3, v3, v11
	s_or_b32 exec_lo, exec_lo, s0
	s_and_saveexec_b32 s0, vcc_lo
	s_cbranch_execz .LBB45_63
.LBB45_88:
	ds_read_b32 v11, v9 offset:48
	s_waitcnt lgkmcnt(0)
	v_add_f32_e32 v4, v4, v11
	s_or_b32 exec_lo, exec_lo, s0
	s_and_saveexec_b32 s0, vcc_lo
	s_cbranch_execz .LBB45_64
.LBB45_89:
	ds_read_b32 v11, v9 offset:64
	s_waitcnt lgkmcnt(0)
	v_add_f32_e32 v5, v5, v11
	s_or_b32 exec_lo, exec_lo, s0
	s_and_saveexec_b32 s0, vcc_lo
	s_cbranch_execz .LBB45_65
.LBB45_90:
	ds_read_b32 v11, v9 offset:80
	s_waitcnt lgkmcnt(0)
	v_add_f32_e32 v6, v6, v11
	s_or_b32 exec_lo, exec_lo, s0
	s_and_saveexec_b32 s0, vcc_lo
	s_cbranch_execz .LBB45_66
.LBB45_91:
	ds_read_b32 v11, v9 offset:96
	s_waitcnt lgkmcnt(0)
	v_add_f32_e32 v7, v7, v11
	s_or_b32 exec_lo, exec_lo, s0
	s_and_saveexec_b32 s0, vcc_lo
	s_cbranch_execnz .LBB45_67
	s_branch .LBB45_68
.LBB45_92:
	ds_read_b32 v10, v9
	s_waitcnt lgkmcnt(0)
	v_add_f32_e32 v1, v1, v10
	s_or_b32 exec_lo, exec_lo, s0
	s_and_saveexec_b32 s0, vcc_lo
	s_cbranch_execz .LBB45_74
.LBB45_93:
	ds_read_b32 v10, v9 offset:16
	s_waitcnt lgkmcnt(0)
	v_add_f32_e32 v2, v2, v10
	s_or_b32 exec_lo, exec_lo, s0
	s_and_saveexec_b32 s0, vcc_lo
	s_cbranch_execz .LBB45_75
.LBB45_94:
	ds_read_b32 v10, v9 offset:32
	s_waitcnt lgkmcnt(0)
	v_add_f32_e32 v3, v3, v10
	s_or_b32 exec_lo, exec_lo, s0
	s_and_saveexec_b32 s0, vcc_lo
	s_cbranch_execz .LBB45_76
.LBB45_95:
	ds_read_b32 v10, v9 offset:48
	s_waitcnt lgkmcnt(0)
	v_add_f32_e32 v4, v4, v10
	s_or_b32 exec_lo, exec_lo, s0
	s_and_saveexec_b32 s0, vcc_lo
	s_cbranch_execz .LBB45_77
.LBB45_96:
	ds_read_b32 v10, v9 offset:64
	s_waitcnt lgkmcnt(0)
	v_add_f32_e32 v5, v5, v10
	s_or_b32 exec_lo, exec_lo, s0
	s_and_saveexec_b32 s0, vcc_lo
	s_cbranch_execz .LBB45_78
.LBB45_97:
	ds_read_b32 v10, v9 offset:80
	s_waitcnt lgkmcnt(0)
	v_add_f32_e32 v6, v6, v10
	s_or_b32 exec_lo, exec_lo, s0
	s_and_saveexec_b32 s0, vcc_lo
	s_cbranch_execz .LBB45_79
.LBB45_98:
	ds_read_b32 v10, v9 offset:96
	s_waitcnt lgkmcnt(0)
	v_add_f32_e32 v7, v7, v10
	s_or_b32 exec_lo, exec_lo, s0
	s_and_saveexec_b32 s0, vcc_lo
	s_cbranch_execnz .LBB45_80
	s_branch .LBB45_81
	.section	.rodata,"a",@progbits
	.p2align	6, 0x0
	.amdhsa_kernel _ZN4vllm25paged_attention_v2_kernelIffLi32ELi32ELi128ELNS_18Fp8KVCacheDataTypeE0ELb1ELi512EEEvPfS2_PT_PKS3_PKT0_S9_ifPKiSB_iPKfiiiSD_SD_iiiii
		.amdhsa_group_segment_fixed_size 160
		.amdhsa_private_segment_fixed_size 0
		.amdhsa_kernarg_size 400
		.amdhsa_user_sgpr_count 6
		.amdhsa_user_sgpr_private_segment_buffer 1
		.amdhsa_user_sgpr_dispatch_ptr 0
		.amdhsa_user_sgpr_queue_ptr 0
		.amdhsa_user_sgpr_kernarg_segment_ptr 1
		.amdhsa_user_sgpr_dispatch_id 0
		.amdhsa_user_sgpr_flat_scratch_init 0
		.amdhsa_user_sgpr_private_segment_size 0
		.amdhsa_wavefront_size32 1
		.amdhsa_uses_dynamic_stack 0
		.amdhsa_system_sgpr_private_segment_wavefront_offset 0
		.amdhsa_system_sgpr_workgroup_id_x 1
		.amdhsa_system_sgpr_workgroup_id_y 1
		.amdhsa_system_sgpr_workgroup_id_z 1
		.amdhsa_system_sgpr_workgroup_info 0
		.amdhsa_system_vgpr_workitem_id 0
		.amdhsa_next_free_vgpr 83
		.amdhsa_next_free_sgpr 46
		.amdhsa_reserve_vcc 1
		.amdhsa_reserve_flat_scratch 0
		.amdhsa_float_round_mode_32 0
		.amdhsa_float_round_mode_16_64 0
		.amdhsa_float_denorm_mode_32 3
		.amdhsa_float_denorm_mode_16_64 3
		.amdhsa_dx10_clamp 1
		.amdhsa_ieee_mode 1
		.amdhsa_fp16_overflow 0
		.amdhsa_workgroup_processor_mode 1
		.amdhsa_memory_ordered 1
		.amdhsa_forward_progress 1
		.amdhsa_shared_vgpr_count 0
		.amdhsa_exception_fp_ieee_invalid_op 0
		.amdhsa_exception_fp_denorm_src 0
		.amdhsa_exception_fp_ieee_div_zero 0
		.amdhsa_exception_fp_ieee_overflow 0
		.amdhsa_exception_fp_ieee_underflow 0
		.amdhsa_exception_fp_ieee_inexact 0
		.amdhsa_exception_int_div_zero 0
	.end_amdhsa_kernel
	.section	.text._ZN4vllm25paged_attention_v2_kernelIffLi32ELi32ELi128ELNS_18Fp8KVCacheDataTypeE0ELb1ELi512EEEvPfS2_PT_PKS3_PKT0_S9_ifPKiSB_iPKfiiiSD_SD_iiiii,"axG",@progbits,_ZN4vllm25paged_attention_v2_kernelIffLi32ELi32ELi128ELNS_18Fp8KVCacheDataTypeE0ELb1ELi512EEEvPfS2_PT_PKS3_PKT0_S9_ifPKiSB_iPKfiiiSD_SD_iiiii,comdat
.Lfunc_end45:
	.size	_ZN4vllm25paged_attention_v2_kernelIffLi32ELi32ELi128ELNS_18Fp8KVCacheDataTypeE0ELb1ELi512EEEvPfS2_PT_PKS3_PKT0_S9_ifPKiSB_iPKfiiiSD_SD_iiiii, .Lfunc_end45-_ZN4vllm25paged_attention_v2_kernelIffLi32ELi32ELi128ELNS_18Fp8KVCacheDataTypeE0ELb1ELi512EEEvPfS2_PT_PKS3_PKT0_S9_ifPKiSB_iPKfiiiSD_SD_iiiii
                                        ; -- End function
	.set _ZN4vllm25paged_attention_v2_kernelIffLi32ELi32ELi128ELNS_18Fp8KVCacheDataTypeE0ELb1ELi512EEEvPfS2_PT_PKS3_PKT0_S9_ifPKiSB_iPKfiiiSD_SD_iiiii.num_vgpr, 83
	.set _ZN4vllm25paged_attention_v2_kernelIffLi32ELi32ELi128ELNS_18Fp8KVCacheDataTypeE0ELb1ELi512EEEvPfS2_PT_PKS3_PKT0_S9_ifPKiSB_iPKfiiiSD_SD_iiiii.num_agpr, 0
	.set _ZN4vllm25paged_attention_v2_kernelIffLi32ELi32ELi128ELNS_18Fp8KVCacheDataTypeE0ELb1ELi512EEEvPfS2_PT_PKS3_PKT0_S9_ifPKiSB_iPKfiiiSD_SD_iiiii.numbered_sgpr, 46
	.set _ZN4vllm25paged_attention_v2_kernelIffLi32ELi32ELi128ELNS_18Fp8KVCacheDataTypeE0ELb1ELi512EEEvPfS2_PT_PKS3_PKT0_S9_ifPKiSB_iPKfiiiSD_SD_iiiii.num_named_barrier, 0
	.set _ZN4vllm25paged_attention_v2_kernelIffLi32ELi32ELi128ELNS_18Fp8KVCacheDataTypeE0ELb1ELi512EEEvPfS2_PT_PKS3_PKT0_S9_ifPKiSB_iPKfiiiSD_SD_iiiii.private_seg_size, 0
	.set _ZN4vllm25paged_attention_v2_kernelIffLi32ELi32ELi128ELNS_18Fp8KVCacheDataTypeE0ELb1ELi512EEEvPfS2_PT_PKS3_PKT0_S9_ifPKiSB_iPKfiiiSD_SD_iiiii.uses_vcc, 1
	.set _ZN4vllm25paged_attention_v2_kernelIffLi32ELi32ELi128ELNS_18Fp8KVCacheDataTypeE0ELb1ELi512EEEvPfS2_PT_PKS3_PKT0_S9_ifPKiSB_iPKfiiiSD_SD_iiiii.uses_flat_scratch, 0
	.set _ZN4vllm25paged_attention_v2_kernelIffLi32ELi32ELi128ELNS_18Fp8KVCacheDataTypeE0ELb1ELi512EEEvPfS2_PT_PKS3_PKT0_S9_ifPKiSB_iPKfiiiSD_SD_iiiii.has_dyn_sized_stack, 0
	.set _ZN4vllm25paged_attention_v2_kernelIffLi32ELi32ELi128ELNS_18Fp8KVCacheDataTypeE0ELb1ELi512EEEvPfS2_PT_PKS3_PKT0_S9_ifPKiSB_iPKfiiiSD_SD_iiiii.has_recursion, 0
	.set _ZN4vllm25paged_attention_v2_kernelIffLi32ELi32ELi128ELNS_18Fp8KVCacheDataTypeE0ELb1ELi512EEEvPfS2_PT_PKS3_PKT0_S9_ifPKiSB_iPKfiiiSD_SD_iiiii.has_indirect_call, 0
	.section	.AMDGPU.csdata,"",@progbits
; Kernel info:
; codeLenInByte = 5768
; TotalNumSgprs: 48
; NumVgprs: 83
; ScratchSize: 0
; MemoryBound: 0
; FloatMode: 240
; IeeeMode: 1
; LDSByteSize: 160 bytes/workgroup (compile time only)
; SGPRBlocks: 0
; VGPRBlocks: 10
; NumSGPRsForWavesPerEU: 48
; NumVGPRsForWavesPerEU: 83
; Occupancy: 10
; WaveLimiterHint : 1
; COMPUTE_PGM_RSRC2:SCRATCH_EN: 0
; COMPUTE_PGM_RSRC2:USER_SGPR: 6
; COMPUTE_PGM_RSRC2:TRAP_HANDLER: 0
; COMPUTE_PGM_RSRC2:TGID_X_EN: 1
; COMPUTE_PGM_RSRC2:TGID_Y_EN: 1
; COMPUTE_PGM_RSRC2:TGID_Z_EN: 1
; COMPUTE_PGM_RSRC2:TIDIG_COMP_CNT: 0
	.section	.text._ZN4vllm25paged_attention_v2_kernelIffLi64ELi32ELi128ELNS_18Fp8KVCacheDataTypeE0ELb1ELi512EEEvPfS2_PT_PKS3_PKT0_S9_ifPKiSB_iPKfiiiSD_SD_iiiii,"axG",@progbits,_ZN4vllm25paged_attention_v2_kernelIffLi64ELi32ELi128ELNS_18Fp8KVCacheDataTypeE0ELb1ELi512EEEvPfS2_PT_PKS3_PKT0_S9_ifPKiSB_iPKfiiiSD_SD_iiiii,comdat
	.protected	_ZN4vllm25paged_attention_v2_kernelIffLi64ELi32ELi128ELNS_18Fp8KVCacheDataTypeE0ELb1ELi512EEEvPfS2_PT_PKS3_PKT0_S9_ifPKiSB_iPKfiiiSD_SD_iiiii ; -- Begin function _ZN4vllm25paged_attention_v2_kernelIffLi64ELi32ELi128ELNS_18Fp8KVCacheDataTypeE0ELb1ELi512EEEvPfS2_PT_PKS3_PKT0_S9_ifPKiSB_iPKfiiiSD_SD_iiiii
	.globl	_ZN4vllm25paged_attention_v2_kernelIffLi64ELi32ELi128ELNS_18Fp8KVCacheDataTypeE0ELb1ELi512EEEvPfS2_PT_PKS3_PKT0_S9_ifPKiSB_iPKfiiiSD_SD_iiiii
	.p2align	8
	.type	_ZN4vllm25paged_attention_v2_kernelIffLi64ELi32ELi128ELNS_18Fp8KVCacheDataTypeE0ELb1ELi512EEEvPfS2_PT_PKS3_PKT0_S9_ifPKiSB_iPKfiiiSD_SD_iiiii,@function
_ZN4vllm25paged_attention_v2_kernelIffLi64ELi32ELi128ELNS_18Fp8KVCacheDataTypeE0ELb1ELi512EEEvPfS2_PT_PKS3_PKT0_S9_ifPKiSB_iPKfiiiSD_SD_iiiii: ; @_ZN4vllm25paged_attention_v2_kernelIffLi64ELi32ELi128ELNS_18Fp8KVCacheDataTypeE0ELb1ELi512EEEvPfS2_PT_PKS3_PKT0_S9_ifPKiSB_iPKfiiiSD_SD_iiiii
; %bb.0:
	s_load_dwordx2 s[0:1], s[4:5], 0x40
	s_mov_b32 s26, s7
	s_ashr_i32 s27, s7, 31
	s_lshl_b64 s[2:3], s[26:27], 2
	s_waitcnt lgkmcnt(0)
	s_add_u32 s0, s0, s2
	s_addc_u32 s1, s1, s3
	s_lshl_b32 s37, s8, 9
	s_load_dword s27, s[0:1], 0x0
	s_waitcnt lgkmcnt(0)
	s_cmp_ge_i32 s37, s27
	s_cbranch_scc1 .LBB46_116
; %bb.1:
	s_clause 0x1
	s_load_dword s9, s[4:5], 0x90
	s_load_dwordx2 s[2:3], s[4:5], 0x30
	s_mov_b32 s39, 0
	s_waitcnt lgkmcnt(0)
	s_abs_i32 s10, s9
	s_abs_i32 s0, s2
	v_cvt_f32_u32_e32 v1, s0
	s_sub_i32 s7, 0, s0
	v_rcp_iflag_f32_e32 v1, v1
	v_mul_f32_e32 v1, 0x4f7ffffe, v1
	v_cvt_u32_f32_e32 v1, v1
	v_readfirstlane_b32 s1, v1
	s_mul_i32 s7, s7, s1
	s_mul_hi_u32 s7, s1, s7
	s_add_i32 s1, s1, s7
	s_xor_b32 s7, s9, s2
	s_mul_hi_u32 s1, s10, s1
	s_ashr_i32 s7, s7, 31
	s_mul_i32 s11, s1, s0
	s_sub_i32 s10, s10, s11
	s_add_i32 s11, s1, 1
	s_sub_i32 s12, s10, s0
	s_cmp_ge_u32 s10, s0
	s_cselect_b32 s1, s11, s1
	s_cselect_b32 s10, s12, s10
	s_add_i32 s11, s1, 1
	s_cmp_ge_u32 s10, s0
	s_cselect_b32 s0, s11, s1
	s_abs_i32 s21, s6
	s_xor_b32 s0, s0, s7
	s_sub_i32 s10, s0, s7
	s_load_dwordx2 s[0:1], s[4:5], 0x50
	s_abs_i32 s20, s10
	v_cvt_f32_u32_e32 v1, s20
	s_sub_i32 s11, 0, s20
	v_rcp_iflag_f32_e32 v1, v1
	v_mul_f32_e32 v1, 0x4f7ffffe, v1
	v_cvt_u32_f32_e32 v1, v1
	v_readfirstlane_b32 s7, v1
	s_mul_i32 s11, s11, s7
	s_mul_hi_u32 s11, s7, s11
	s_add_i32 s7, s7, s11
	s_waitcnt lgkmcnt(0)
	s_cmp_eq_u64 s[0:1], 0
	s_mul_hi_u32 s22, s21, s7
	s_cbranch_scc1 .LBB46_3
; %bb.2:
	s_ashr_i32 s7, s6, 31
	s_lshl_b64 s[12:13], s[6:7], 2
	s_add_u32 s0, s0, s12
	s_addc_u32 s1, s1, s13
	s_load_dword s39, s[0:1], 0x0
.LBB46_3:
	s_load_dwordx4 s[12:15], s[4:5], 0x58
	v_lshlrev_b32_e32 v67, 4, v0
	s_ashr_i32 s0, s6, 31
	s_ashr_i32 s1, s10, 31
	s_lshl_b32 s10, s6, 6
	s_mov_b32 s7, exec_lo
	v_cmpx_gt_u32_e32 16, v0
	s_cbranch_execz .LBB46_5
; %bb.4:
	s_load_dwordx2 s[16:17], s[4:5], 0x18
	s_waitcnt lgkmcnt(0)
	s_mul_i32 s18, s12, s26
	s_ashr_i32 s19, s18, 31
	s_lshl_b64 s[18:19], s[18:19], 2
	s_add_u32 s12, s16, s18
	s_addc_u32 s15, s17, s19
	s_ashr_i32 s11, s10, 31
	s_lshl_b64 s[16:17], s[10:11], 2
	s_add_u32 s16, s12, s16
	s_addc_u32 s17, s15, s17
	global_load_dwordx4 v[1:4], v67, s[16:17]
	s_waitcnt vmcnt(0)
	ds_write_b128 v67, v[1:4]
.LBB46_5:
	s_or_b32 exec_lo, exec_lo, s7
	s_load_dwordx4 s[16:19], s[4:5], 0x78
	s_mul_i32 s7, s22, s20
	s_xor_b32 s0, s0, s1
	s_sub_i32 s1, s21, s7
	s_add_i32 s7, s22, 1
	s_sub_i32 s11, s1, s20
	s_cmp_ge_u32 s1, s20
	s_mov_b32 s21, -1
	s_cselect_b32 s7, s7, s22
	s_cselect_b32 s1, s11, s1
	s_add_i32 s11, s7, 1
	s_cmp_ge_u32 s1, s20
                                        ; implicit-def: $sgpr33
	s_cselect_b32 s1, s11, s7
	s_load_dword s7, s[4:5], 0x88
	s_xor_b32 s1, s1, s0
	s_add_i32 s20, s27, -1
	s_sub_i32 s1, s1, s0
	s_waitcnt lgkmcnt(0)
	s_abs_i32 s15, s20
	s_abs_i32 s11, s19
	s_barrier
	v_cvt_f32_u32_e32 v1, s11
	s_sub_i32 s0, 0, s11
	buffer_gl0_inv
	v_rcp_iflag_f32_e32 v1, v1
	v_mul_f32_e32 v1, 0x4f7ffffe, v1
	v_cvt_u32_f32_e32 v1, v1
	v_readfirstlane_b32 s12, v1
	s_mul_i32 s0, s0, s12
	s_mul_hi_u32 s0, s12, s0
	s_add_i32 s12, s12, s0
	s_cmp_lt_i32 s7, 0
	s_mul_hi_u32 s0, s15, s12
	s_cbranch_scc0 .LBB46_7
; %bb.6:
	s_mul_i32 s2, s16, s2
	s_mov_b32 s21, 0
	s_add_i32 s2, s1, s2
	s_mul_i32 s2, s2, s7
	s_sub_i32 s33, 1, s2
.LBB46_7:
	s_load_dwordx2 s[28:29], s[4:5], 0x38
	s_ashr_i32 s2, s20, 31
	s_andn2_b32 vcc_lo, exec_lo, s21
	s_ashr_i32 s19, s19, 31
	s_cbranch_vccnz .LBB46_9
; %bb.8:
	s_mul_i32 s16, s9, s16
	s_add_i32 s16, s16, s6
	s_mul_i32 s7, s16, s7
	s_add_i32 s33, s7, 1
.LBB46_9:
	s_clause 0x4
	s_load_dword s16, s[4:5], 0x48
	s_load_dwordx2 s[34:35], s[4:5], 0x28
	s_load_dword s7, s[4:5], 0x98
	s_load_dwordx4 s[20:23], s[4:5], 0x0
	s_load_dwordx2 s[24:25], s[4:5], 0x10
	s_mul_i32 s30, s0, s11
	s_xor_b32 s2, s2, s19
	s_sub_i32 s15, s15, s30
	s_add_i32 s36, s0, 1
	v_lshrrev_b32_e32 v72, 5, v0
	v_and_b32_e32 v73, 31, v0
	v_mov_b32_e32 v71, 0xff7fffff
	s_mul_i32 s14, s1, s14
	v_lshl_add_u32 v74, v72, 5, s37
	v_lshlrev_b32_e32 v68, 2, v73
	s_waitcnt lgkmcnt(0)
	s_mul_i32 s30, s16, s26
	s_sub_i32 s16, s15, s11
	s_ashr_i32 s31, s30, 31
	s_cmp_ge_u32 s15, s11
	s_cselect_b32 s0, s36, s0
	s_cselect_b32 s15, s16, s15
	s_add_i32 s16, s0, 1
	s_cmp_ge_u32 s15, s11
	s_cselect_b32 s0, s16, s0
	s_add_i32 s15, s27, 31
	s_lshl_b32 s40, s8, 4
	s_ashr_i32 s16, s15, 31
	v_add_nc_u32_e32 v69, s40, v72
	s_lshr_b32 s16, s16, 27
	s_add_i32 s15, s15, s16
	s_add_i32 s16, s40, 16
	s_ashr_i32 s36, s15, 5
	s_xor_b32 s15, s0, s2
	s_min_i32 s16, s16, s36
	v_ashrrev_i32_e32 v70, 31, v69
	v_cmp_gt_i32_e64 s0, s16, v69
	s_sub_i32 s38, s15, s2
	s_and_saveexec_b32 s41, s0
	s_cbranch_execz .LBB46_17
; %bb.10:
	s_load_dwordx2 s[42:43], s[4:5], 0x20
	s_ashr_i32 s15, s14, 31
	s_sub_i32 s4, s38, s17
	s_lshl_b64 s[44:45], s[14:15], 2
	v_mov_b32_e32 v61, 0
	v_lshlrev_b32_e32 v80, 4, v73
	v_lshlrev_b64 v[65:66], 2, v[69:70]
	v_subrev_nc_u32_e32 v78, s27, v73
	v_lshl_or_b32 v79, v72, 7, v68
	v_cmp_neq_f32_e64 vcc_lo, s39, 0
	v_lshl_add_u32 v75, v72, 5, s37
	v_mov_b32_e32 v76, 0xff7fffff
	v_mov_b32_e32 v71, 0xff7fffff
	;; [unrolled: 1-line block ×3, first 2 shown]
	v_add_nc_u32_e32 v78, 1, v78
	v_add_nc_u32_e32 v79, 0x120, v79
	s_waitcnt lgkmcnt(0)
	s_add_u32 s1, s42, s44
	s_addc_u32 s2, s43, s45
	s_abs_i32 s5, s18
	s_lshl_b64 s[42:43], s[30:31], 2
	v_cvt_f32_u32_e32 v1, s5
	s_sub_i32 s15, 0, s5
	v_add_co_u32 v80, s1, s1, v80
	v_rcp_iflag_f32_e32 v17, v1
	ds_read_b128 v[1:4], v61
	ds_read_b128 v[5:8], v61 offset:16
	ds_read_b128 v[9:12], v61 offset:32
	ds_read_b128 v[13:16], v61 offset:48
	v_mul_f32_e32 v33, 0x4f7ffffe, v17
	ds_read_b128 v[17:20], v61 offset:64
	ds_read_b128 v[21:24], v61 offset:80
	;; [unrolled: 1-line block ×4, first 2 shown]
	v_cvt_u32_f32_e32 v82, v33
	ds_read_b128 v[33:36], v61 offset:128
	ds_read_b128 v[37:40], v61 offset:144
	;; [unrolled: 1-line block ×8, first 2 shown]
	v_mul_lo_u32 v81, s15, v82
	s_mov_b32 s15, 0
	v_mul_hi_u32 v83, v82, v81
	v_add_co_ci_u32_e64 v81, null, s2, 0, s1
	s_add_u32 s1, s28, s42
	s_addc_u32 s2, s29, s43
	v_add_co_u32 v65, s1, s1, v65
	v_add_co_ci_u32_e64 v66, null, s2, v66, s1
	v_add_nc_u32_e32 v82, v82, v83
	s_mov_b32 s42, s13
	s_branch .LBB46_12
.LBB46_11:                              ;   in Loop: Header=BB46_12 Depth=1
	s_or_b32 exec_lo, exec_lo, s2
	v_add_nc_u32_e32 v77, 4, v77
	v_add_co_u32 v65, s2, v65, 16
	v_add_co_ci_u32_e64 v66, null, 0, v66, s2
	v_cmp_le_i32_e64 s1, s16, v77
	v_add_nc_u32_e32 v75, 0x80, v75
	v_add_nc_u32_e32 v79, 0x200, v79
	s_or_b32 s15, s1, s15
	s_andn2_b32 exec_lo, exec_lo, s15
	s_cbranch_execz .LBB46_16
.LBB46_12:                              ; =>This Inner Loop Header: Depth=1
	v_sub_nc_u32_e32 v83, 0, v75
	v_max_i32_e32 v83, v75, v83
	v_mul_hi_u32 v84, v83, s12
	v_mul_lo_u32 v85, v84, s11
	v_sub_nc_u32_e32 v83, v83, v85
	v_add_nc_u32_e32 v85, 1, v84
	v_subrev_nc_u32_e32 v86, s11, v83
	v_cmp_le_u32_e64 s1, s11, v83
	v_cndmask_b32_e64 v84, v84, v85, s1
	v_cndmask_b32_e64 v83, v83, v86, s1
	v_ashrrev_i32_e32 v85, 31, v75
	v_add_nc_u32_e32 v86, 1, v84
	v_cmp_le_u32_e64 s1, s11, v83
	v_xor_b32_e32 v85, s19, v85
	v_cndmask_b32_e64 v83, v84, v86, s1
	v_xor_b32_e32 v83, v83, v85
	v_sub_nc_u32_e32 v83, v83, v85
	v_add_nc_u32_e32 v84, s33, v83
	v_cmp_ge_i32_e64 s2, s4, v83
	v_sub_nc_u32_e32 v85, 0, v84
	v_max_i32_e32 v85, v84, v85
	v_ashrrev_i32_e32 v84, 31, v84
	v_mul_hi_u32 v86, v85, v82
	v_mul_lo_u32 v86, v86, s5
	v_sub_nc_u32_e32 v85, v85, v86
	v_subrev_nc_u32_e32 v86, s5, v85
	v_cmp_le_u32_e64 s1, s5, v85
	v_cndmask_b32_e64 v85, v85, v86, s1
	v_subrev_nc_u32_e32 v86, s5, v85
	v_cmp_le_u32_e64 s1, s5, v85
	v_cndmask_b32_e64 v85, v85, v86, s1
	v_xor_b32_e32 v85, v85, v84
	v_sub_nc_u32_e32 v84, v85, v84
	v_cmp_ne_u32_e64 s1, 0, v84
	s_and_b32 s1, s1, s2
	s_and_saveexec_b32 s2, s1
	s_xor_b32 s1, exec_lo, s2
; %bb.13:                               ;   in Loop: Header=BB46_12 Depth=1
	ds_write_b32 v79, v76
; %bb.14:                               ;   in Loop: Header=BB46_12 Depth=1
	s_andn2_saveexec_b32 s2, s1
	s_cbranch_execz .LBB46_11
; %bb.15:                               ;   in Loop: Header=BB46_12 Depth=1
	global_load_dword v83, v[65:66], off
	s_waitcnt vmcnt(0)
	v_mad_i64_i32 v[83:84], null, v83, s42, 0
	v_lshlrev_b64 v[83:84], 2, v[83:84]
	v_add_co_u32 v111, s1, v80, v83
	v_add_co_ci_u32_e64 v112, null, v81, v84, s1
	s_clause 0x3
	global_load_dwordx4 v[83:86], v[111:112], off offset:512
	global_load_dwordx4 v[87:90], v[111:112], off
	global_load_dwordx4 v[91:94], v[111:112], off offset:1024
	global_load_dwordx4 v[95:98], v[111:112], off offset:1536
	v_add_co_u32 v107, s1, v111, 0x1000
	v_add_co_ci_u32_e64 v108, null, 0, v112, s1
	v_add_co_u32 v109, s1, 0x800, v111
	v_add_co_ci_u32_e64 v110, null, 0, v112, s1
	global_load_dwordx4 v[99:102], v[107:108], off offset:-2048
	v_add_co_u32 v113, s1, 0x1000, v111
	global_load_dwordx4 v[103:106], v[109:110], off offset:512
	v_add_co_ci_u32_e64 v114, null, 0, v112, s1
	v_add_co_u32 v111, s1, 0x1800, v111
	v_add_co_ci_u32_e64 v112, null, 0, v112, s1
	s_waitcnt vmcnt(5) lgkmcnt(14)
	v_mul_f32_e32 v115, v5, v83
	v_mul_f32_e32 v116, v6, v84
	;; [unrolled: 1-line block ×4, first 2 shown]
	global_load_dwordx4 v[83:86], v[109:110], off offset:1024
	s_waitcnt vmcnt(5)
	v_fmac_f32_e32 v115, v1, v87
	v_fmac_f32_e32 v116, v2, v88
	;; [unrolled: 1-line block ×4, first 2 shown]
	s_clause 0x1
	global_load_dwordx4 v[87:90], v[109:110], off offset:1536
	global_load_dwordx4 v[107:110], v[107:108], off
	s_waitcnt vmcnt(6) lgkmcnt(13)
	v_fmac_f32_e32 v115, v9, v91
	v_fmac_f32_e32 v116, v10, v92
	v_fmac_f32_e32 v117, v11, v93
	v_fmac_f32_e32 v118, v12, v94
	global_load_dwordx4 v[91:94], v[113:114], off offset:512
	s_waitcnt vmcnt(6) lgkmcnt(12)
	v_fmac_f32_e32 v115, v13, v95
	v_fmac_f32_e32 v116, v14, v96
	v_fmac_f32_e32 v117, v15, v97
	v_fmac_f32_e32 v118, v16, v98
	global_load_dwordx4 v[95:98], v[113:114], off offset:1024
	;; [unrolled: 6-line block ×3, first 2 shown]
	s_waitcnt vmcnt(6) lgkmcnt(10)
	v_fmac_f32_e32 v115, v21, v103
	v_fmac_f32_e32 v116, v22, v104
	;; [unrolled: 1-line block ×4, first 2 shown]
	global_load_dwordx4 v[103:106], v[111:112], off
	s_waitcnt vmcnt(6) lgkmcnt(9)
	v_fmac_f32_e32 v115, v25, v83
	v_fmac_f32_e32 v116, v26, v84
	v_fmac_f32_e32 v117, v27, v85
	v_fmac_f32_e32 v118, v28, v86
	global_load_dwordx4 v[83:86], v[111:112], off offset:512
	s_waitcnt vmcnt(6) lgkmcnt(8)
	v_fmac_f32_e32 v115, v29, v87
	v_fmac_f32_e32 v116, v30, v88
	v_fmac_f32_e32 v117, v31, v89
	v_fmac_f32_e32 v118, v32, v90
	global_load_dwordx4 v[87:90], v[111:112], off offset:1024
	;; [unrolled: 6-line block ×3, first 2 shown]
	s_waitcnt vmcnt(6) lgkmcnt(6)
	v_fmac_f32_e32 v115, v37, v91
	v_fmac_f32_e32 v116, v38, v92
	v_fmac_f32_e32 v117, v39, v93
	v_fmac_f32_e32 v118, v40, v94
	s_waitcnt vmcnt(5) lgkmcnt(5)
	v_fmac_f32_e32 v115, v41, v95
	v_fmac_f32_e32 v116, v42, v96
	v_fmac_f32_e32 v117, v43, v97
	v_fmac_f32_e32 v118, v44, v98
	;; [unrolled: 5-line block ×4, first 2 shown]
	s_waitcnt vmcnt(2) lgkmcnt(2)
	v_fmac_f32_e32 v115, v53, v83
	v_fmac_f32_e32 v116, v54, v84
	;; [unrolled: 1-line block ×3, first 2 shown]
	v_add_nc_u32_e32 v83, v78, v75
	v_fmac_f32_e32 v118, v56, v86
	s_waitcnt vmcnt(1) lgkmcnt(1)
	v_fmac_f32_e32 v115, v57, v87
	v_fmac_f32_e32 v116, v58, v88
	v_fmac_f32_e32 v117, v59, v89
	v_cvt_f32_i32_e32 v83, v83
	v_fmac_f32_e32 v118, v60, v90
	s_waitcnt vmcnt(0) lgkmcnt(0)
	v_fmac_f32_e32 v115, v61, v107
	v_fmac_f32_e32 v116, v62, v108
	;; [unrolled: 1-line block ×3, first 2 shown]
	v_mul_f32_e32 v83, s39, v83
	v_fmac_f32_e32 v118, v64, v110
	v_max_f32_e32 v85, v71, v71
	v_add_f32_e32 v84, v115, v116
	v_cndmask_b32_e32 v83, 0, v83, vcc_lo
	v_add_f32_e32 v84, v117, v84
	v_add_f32_e32 v84, v118, v84
	v_fmac_f32_e32 v83, s3, v84
	v_add_nc_u32_e32 v84, v73, v75
	v_max_f32_e32 v85, v85, v83
	v_cmp_gt_i32_e64 s1, s27, v84
	v_cndmask_b32_e64 v83, 0, v83, s1
	v_cndmask_b32_e64 v71, v71, v85, s1
	ds_write_b32 v79, v83
	s_branch .LBB46_11
.LBB46_16:
	s_or_b32 exec_lo, exec_lo, s15
.LBB46_17:
	s_or_b32 exec_lo, exec_lo, s41
	s_waitcnt lgkmcnt(15)
	v_mbcnt_lo_u32_b32 v1, -1, 0
	s_waitcnt lgkmcnt(14)
	v_max_f32_e32 v5, v71, v71
	v_xor_b32_e32 v2, 16, v1
	v_xor_b32_e32 v4, 8, v1
	v_cmp_gt_i32_e32 vcc_lo, 32, v2
	v_cndmask_b32_e32 v2, v1, v2, vcc_lo
	v_cmp_gt_i32_e32 vcc_lo, 32, v4
	v_lshlrev_b32_e32 v2, 2, v2
	v_cndmask_b32_e32 v4, v1, v4, vcc_lo
	ds_bpermute_b32 v3, v2, v71
	s_waitcnt lgkmcnt(0)
	v_max_f32_e32 v6, v3, v3
	v_lshlrev_b32_e32 v3, 2, v4
	v_max_f32_e32 v4, v5, v6
	v_xor_b32_e32 v6, 4, v1
	ds_bpermute_b32 v5, v3, v4
	v_cmp_gt_i32_e32 vcc_lo, 32, v6
	v_cndmask_b32_e32 v6, v1, v6, vcc_lo
	v_lshlrev_b32_e32 v77, 2, v6
	v_xor_b32_e32 v6, 2, v1
	v_cmp_gt_i32_e32 vcc_lo, 32, v6
	s_waitcnt lgkmcnt(0)
	v_max_f32_e32 v5, v5, v5
	v_cndmask_b32_e32 v6, v1, v6, vcc_lo
	v_max_f32_e32 v4, v4, v5
	v_lshlrev_b32_e32 v76, 2, v6
	v_xor_b32_e32 v6, 1, v1
	ds_bpermute_b32 v5, v77, v4
	v_cmp_gt_i32_e32 vcc_lo, 32, v6
	v_cndmask_b32_e32 v6, v1, v6, vcc_lo
	v_cmp_eq_u32_e32 vcc_lo, 0, v73
	v_lshlrev_b32_e32 v75, 2, v6
	s_waitcnt lgkmcnt(0)
	v_max_f32_e32 v5, v5, v5
	v_max_f32_e32 v4, v4, v5
	ds_bpermute_b32 v5, v76, v4
	s_waitcnt lgkmcnt(0)
	v_max_f32_e32 v5, v5, v5
	v_max_f32_e32 v1, v4, v5
	v_lshlrev_b32_e32 v5, 2, v72
	ds_bpermute_b32 v4, v75, v1
	s_and_saveexec_b32 s1, vcc_lo
	s_cbranch_execz .LBB46_19
; %bb.18:
	s_waitcnt lgkmcnt(0)
	v_max_f32_e32 v4, v4, v4
	v_max_f32_e32 v1, v1, v1
	;; [unrolled: 1-line block ×3, first 2 shown]
	ds_write_b32 v5, v1 offset:256
.LBB46_19:
	s_or_b32 exec_lo, exec_lo, s1
	v_cmp_gt_u32_e64 s1, 4, v73
	v_mov_b32_e32 v1, 0xff7fffff
	s_waitcnt lgkmcnt(0)
	s_barrier
	buffer_gl0_inv
	s_and_saveexec_b32 s2, s1
; %bb.20:
	ds_read_b32 v1, v68 offset:256
; %bb.21:
	s_or_b32 exec_lo, exec_lo, s2
	s_waitcnt lgkmcnt(0)
	ds_bpermute_b32 v4, v76, v1
	v_max_f32_e32 v1, v1, v1
	v_mov_b32_e32 v6, 0
	s_sub_i32 s2, s16, s40
	s_lshl_b32 s2, s2, 5
	s_add_i32 s2, s2, s37
	s_min_i32 s2, s2, s27
	s_sub_i32 s4, s2, s37
	v_cmp_gt_i32_e64 s2, s4, v0
	s_waitcnt lgkmcnt(0)
	v_max_f32_e32 v4, v4, v4
	v_max_f32_e32 v1, v1, v4
	ds_bpermute_b32 v4, v75, v1
	s_waitcnt lgkmcnt(0)
	v_max_f32_e32 v4, v4, v4
	v_max_f32_e32 v1, v1, v4
	v_lshl_add_u32 v4, v0, 2, 0x120
	ds_bpermute_b32 v1, v6, v1
	s_and_saveexec_b32 s5, s2
	s_cbranch_execz .LBB46_25
; %bb.22:
	v_lshl_add_u32 v7, v0, 2, 0x120
	v_mov_b32_e32 v6, 0
	v_mov_b32_e32 v8, v0
	s_mov_b32 s15, 0
	.p2align	6
.LBB46_23:                              ; =>This Inner Loop Header: Depth=1
	ds_read_b32 v9, v7
	v_add_nc_u32_e32 v8, 0x80, v8
	v_cmp_le_i32_e64 s3, s4, v8
	s_or_b32 s15, s3, s15
	s_waitcnt lgkmcnt(0)
	v_sub_f32_e32 v9, v9, v1
	v_mul_f32_e32 v9, 0x3fb8aa3b, v9
	v_exp_f32_e32 v9, v9
	ds_write_b32 v7, v9
	v_add_f32_e32 v6, v6, v9
	v_add_nc_u32_e32 v7, 0x200, v7
	s_andn2_b32 exec_lo, exec_lo, s15
	s_cbranch_execnz .LBB46_23
; %bb.24:
	s_or_b32 exec_lo, exec_lo, s15
.LBB46_25:
	s_or_b32 exec_lo, exec_lo, s5
	ds_bpermute_b32 v2, v2, v6
	s_waitcnt lgkmcnt(0)
	v_add_f32_e32 v2, v6, v2
	ds_bpermute_b32 v3, v3, v2
	s_waitcnt lgkmcnt(0)
	v_add_f32_e32 v2, v2, v3
	ds_bpermute_b32 v3, v77, v2
	s_waitcnt lgkmcnt(0)
	v_add_f32_e32 v2, v2, v3
	ds_bpermute_b32 v3, v76, v2
	s_waitcnt lgkmcnt(0)
	v_add_f32_e32 v2, v2, v3
	ds_bpermute_b32 v3, v75, v2
	s_waitcnt lgkmcnt(0)
	v_add_f32_e32 v2, v2, v3
	s_and_saveexec_b32 s3, vcc_lo
; %bb.26:
	ds_write_b32 v5, v2 offset:272
; %bb.27:
	s_or_b32 exec_lo, exec_lo, s3
	s_waitcnt lgkmcnt(0)
	s_barrier
	buffer_gl0_inv
	s_and_saveexec_b32 s3, s1
; %bb.28:
	ds_read_b32 v2, v68 offset:272
; %bb.29:
	s_or_b32 exec_lo, exec_lo, s3
	s_waitcnt lgkmcnt(0)
	ds_bpermute_b32 v3, v76, v2
	s_waitcnt lgkmcnt(0)
	v_add_f32_e32 v2, v2, v3
	ds_bpermute_b32 v3, v75, v2
	s_waitcnt lgkmcnt(0)
	v_add_f32_e32 v2, v2, v3
	v_mov_b32_e32 v3, 0
	ds_bpermute_b32 v2, v3, v2
	s_and_saveexec_b32 s1, s2
	s_cbranch_execz .LBB46_32
; %bb.30:
	s_waitcnt lgkmcnt(0)
	v_add_f32_e32 v3, 0x358637bd, v2
	s_mov_b32 s2, 0
	v_div_scale_f32 v5, null, v3, v3, 1.0
	v_div_scale_f32 v8, vcc_lo, 1.0, v3, 1.0
	v_rcp_f32_e32 v6, v5
	v_fma_f32 v7, -v5, v6, 1.0
	v_fmac_f32_e32 v6, v7, v6
	v_mul_f32_e32 v7, v8, v6
	v_fma_f32 v9, -v5, v7, v8
	v_fmac_f32_e32 v7, v9, v6
	v_fma_f32 v5, -v5, v7, v8
	v_div_fmas_f32 v5, v5, v6, v7
	v_div_fixup_f32 v3, v5, v3, 1.0
	v_mov_b32_e32 v5, v0
.LBB46_31:                              ; =>This Inner Loop Header: Depth=1
	ds_read_b32 v6, v4
	v_add_nc_u32_e32 v5, 0x80, v5
	v_cmp_le_i32_e32 vcc_lo, s4, v5
	s_or_b32 s2, vcc_lo, s2
	s_waitcnt lgkmcnt(0)
	v_mul_f32_e32 v6, v3, v6
	ds_write_b32 v4, v6
	v_add_nc_u32_e32 v4, 0x200, v4
	s_andn2_b32 exec_lo, exec_lo, s2
	s_cbranch_execnz .LBB46_31
.LBB46_32:
	s_or_b32 exec_lo, exec_lo, s1
	s_mul_i32 s1, s7, s26
	s_waitcnt lgkmcnt(0)
	s_mul_i32 s2, s1, s9
	s_mov_b32 s1, exec_lo
	s_barrier
	buffer_gl0_inv
	v_cmpx_eq_u32_e32 0, v0
	s_cbranch_execz .LBB46_34
; %bb.33:
	s_ashr_i32 s3, s2, 31
	s_mul_i32 s40, s7, s6
	s_lshl_b64 s[4:5], s[2:3], 2
	v_mov_b32_e32 v3, 0
	s_add_u32 s3, s22, s4
	s_addc_u32 s6, s23, s5
	s_ashr_i32 s41, s40, 31
	s_lshl_b64 s[22:23], s[40:41], 2
	s_add_u32 s3, s3, s22
	s_addc_u32 s6, s6, s23
	s_ashr_i32 s9, s8, 31
	s_lshl_b64 s[40:41], s[8:9], 2
	s_add_u32 s42, s3, s40
	s_addc_u32 s43, s6, s41
	s_add_u32 s3, s20, s4
	s_addc_u32 s4, s21, s5
	;; [unrolled: 2-line block ×4, first 2 shown]
	global_store_dword v3, v1, s[42:43]
	global_store_dword v3, v2, s[4:5]
.LBB46_34:
	s_or_b32 exec_lo, exec_lo, s1
	v_mov_b32_e32 v94, 0
	v_and_b32_e32 v78, 7, v0
	v_mov_b32_e32 v93, 0
	v_mov_b32_e32 v92, 0
	v_mov_b32_e32 v91, 0
	v_mov_b32_e32 v90, 0
	v_mov_b32_e32 v89, 0
	v_mov_b32_e32 v88, 0
	v_mov_b32_e32 v87, 0
	v_mov_b32_e32 v86, 0
	v_mov_b32_e32 v85, 0
	v_mov_b32_e32 v84, 0
	v_mov_b32_e32 v83, 0
	v_mov_b32_e32 v82, 0
	v_mov_b32_e32 v81, 0
	v_mov_b32_e32 v80, 0
	v_mov_b32_e32 v79, 0
	s_and_saveexec_b32 s1, s0
	s_cbranch_execz .LBB46_72
; %bb.35:
	s_ashr_i32 s15, s14, 31
	s_sub_i32 s3, s38, s17
	s_lshl_b64 s[4:5], s[14:15], 2
	v_lshlrev_b32_e32 v4, 2, v0
	s_add_u32 s0, s34, s4
	s_addc_u32 s5, s35, s5
	s_abs_i32 s4, s18
	v_and_b32_e32 v5, 0x1f0, v67
	v_cvt_f32_u32_e32 v3, s4
	s_sub_i32 s6, 0, s4
	v_and_b32_e32 v95, 28, v4
	v_lshlrev_b32_e32 v6, 4, v78
	v_lshlrev_b64 v[1:2], 2, v[69:70]
	v_rcp_iflag_f32_e32 v3, v3
	s_lshl_b64 s[14:15], s[30:31], 2
	v_add_co_u32 v96, s0, s0, v5
	s_add_i32 s36, s36, -1
	v_lshl_or_b32 v6, v72, 7, v6
	v_add_co_ci_u32_e64 v97, null, s5, 0, s0
	s_add_u32 s0, s28, s14
	s_addc_u32 s5, s29, s15
	v_mul_f32_e32 v3, 0x4f7ffffe, v3
	v_add_co_u32 v70, vcc_lo, s0, v1
	v_mov_b32_e32 v79, 0
	v_mov_b32_e32 v80, 0
	v_cvt_u32_f32_e32 v3, v3
	v_mov_b32_e32 v81, 0
	v_mov_b32_e32 v82, 0
	;; [unrolled: 1-line block ×4, first 2 shown]
	v_mul_lo_u32 v4, s6, v3
	v_mov_b32_e32 v85, 0
	v_mov_b32_e32 v86, 0
	;; [unrolled: 1-line block ×7, first 2 shown]
	v_mul_hi_u32 v4, v3, v4
	v_mov_b32_e32 v92, 0
	v_mov_b32_e32 v93, 0
	v_add_nc_u32_e32 v98, 0x120, v6
	v_add_co_ci_u32_e64 v71, null, s5, v2, vcc_lo
	v_mov_b32_e32 v94, 0
	s_mov_b32 s6, s13
	v_add_nc_u32_e32 v99, v3, v4
	s_mov_b32 s5, 0
	s_branch .LBB46_38
.LBB46_36:                              ;   in Loop: Header=BB46_38 Depth=1
	s_or_b32 exec_lo, exec_lo, s0
	s_waitcnt vmcnt(1) lgkmcnt(0)
	v_mul_f32_e32 v65, v1, v65
	v_mul_f32_e32 v61, v1, v61
	;; [unrolled: 1-line block ×15, first 2 shown]
	s_waitcnt vmcnt(0)
	v_mul_f32_e32 v1, v1, v53
	v_fmac_f32_e32 v65, v2, v66
	v_fmac_f32_e32 v61, v2, v62
	;; [unrolled: 1-line block ×48, first 2 shown]
	v_add_f32_e32 v80, v80, v65
	v_add_f32_e32 v81, v81, v61
	;; [unrolled: 1-line block ×16, first 2 shown]
.LBB46_37:                              ;   in Loop: Header=BB46_38 Depth=1
	s_or_b32 exec_lo, exec_lo, s9
	v_add_nc_u32_e32 v69, 4, v69
	v_add_co_u32 v70, s0, v70, 16
	v_add_co_ci_u32_e64 v71, null, 0, v71, s0
	v_cmp_le_i32_e32 vcc_lo, s16, v69
	v_add_nc_u32_e32 v74, 0x80, v74
	v_add_nc_u32_e32 v98, 0x200, v98
	s_or_b32 s5, vcc_lo, s5
	s_andn2_b32 exec_lo, exec_lo, s5
	s_cbranch_execz .LBB46_71
.LBB46_38:                              ; =>This Inner Loop Header: Depth=1
	v_sub_nc_u32_e32 v1, 0, v74
	v_max_i32_e32 v1, v74, v1
	v_mul_hi_u32 v2, v1, s12
	v_mul_lo_u32 v3, v2, s11
	v_sub_nc_u32_e32 v1, v1, v3
	v_add_nc_u32_e32 v3, 1, v2
	v_subrev_nc_u32_e32 v4, s11, v1
	v_cmp_le_u32_e32 vcc_lo, s11, v1
	v_cndmask_b32_e32 v2, v2, v3, vcc_lo
	v_cndmask_b32_e32 v1, v1, v4, vcc_lo
	v_ashrrev_i32_e32 v3, 31, v74
	v_add_nc_u32_e32 v4, 1, v2
	v_cmp_le_u32_e32 vcc_lo, s11, v1
	v_xor_b32_e32 v3, s19, v3
	v_cndmask_b32_e32 v1, v2, v4, vcc_lo
	v_xor_b32_e32 v1, v1, v3
	v_sub_nc_u32_e32 v1, v1, v3
	v_add_nc_u32_e32 v2, s33, v1
	v_cmp_lt_i32_e64 s0, s3, v1
	v_sub_nc_u32_e32 v3, 0, v2
	v_max_i32_e32 v3, v2, v3
	v_ashrrev_i32_e32 v2, 31, v2
	v_mul_hi_u32 v4, v3, v99
	v_mul_lo_u32 v4, v4, s4
	v_sub_nc_u32_e32 v3, v3, v4
	v_subrev_nc_u32_e32 v4, s4, v3
	v_cmp_le_u32_e32 vcc_lo, s4, v3
	v_cndmask_b32_e32 v3, v3, v4, vcc_lo
	v_subrev_nc_u32_e32 v4, s4, v3
	v_cmp_le_u32_e32 vcc_lo, s4, v3
	v_cndmask_b32_e32 v3, v3, v4, vcc_lo
	v_xor_b32_e32 v3, v3, v2
	v_sub_nc_u32_e32 v2, v3, v2
	v_cmp_eq_u32_e32 vcc_lo, 0, v2
	s_or_b32 s0, vcc_lo, s0
	s_and_saveexec_b32 s9, s0
	s_cbranch_execz .LBB46_37
; %bb.39:                               ;   in Loop: Header=BB46_38 Depth=1
	global_load_dword v1, v[70:71], off
	v_add_nc_u32_e32 v100, v95, v74
	v_add_nc_u32_e32 v103, 1, v100
	;; [unrolled: 1-line block ×4, first 2 shown]
	s_waitcnt vmcnt(0)
	v_mad_i64_i32 v[1:2], null, v1, s6, 0
	v_lshlrev_b64 v[1:2], 2, v[1:2]
	v_add_co_u32 v53, vcc_lo, v96, v1
	v_add_co_ci_u32_e64 v54, null, v97, v2, vcc_lo
	ds_read_b128 v[1:4], v98
	v_cmp_eq_u32_e32 vcc_lo, s36, v69
	global_load_dwordx4 v[5:8], v[53:54], off
	s_and_saveexec_b32 s13, vcc_lo
	s_cbranch_execnz .LBB46_58
; %bb.40:                               ;   in Loop: Header=BB46_38 Depth=1
	s_or_b32 exec_lo, exec_lo, s13
	global_load_dwordx4 v[9:12], v[53:54], off offset:512
	s_and_saveexec_b32 s13, vcc_lo
	s_cbranch_execnz .LBB46_59
.LBB46_41:                              ;   in Loop: Header=BB46_38 Depth=1
	s_or_b32 exec_lo, exec_lo, s13
	global_load_dwordx4 v[13:16], v[53:54], off offset:1024
	s_and_saveexec_b32 s13, vcc_lo
	s_cbranch_execnz .LBB46_60
.LBB46_42:                              ;   in Loop: Header=BB46_38 Depth=1
	s_or_b32 exec_lo, exec_lo, s13
	global_load_dwordx4 v[17:20], v[53:54], off offset:1536
	s_and_saveexec_b32 s13, vcc_lo
	s_cbranch_execz .LBB46_44
.LBB46_43:                              ;   in Loop: Header=BB46_38 Depth=1
	v_cmp_gt_i32_e64 s0, s27, v100
	s_waitcnt vmcnt(0)
	v_cndmask_b32_e64 v17, 0, v17, s0
	v_cmp_gt_i32_e64 s0, s27, v103
	v_cndmask_b32_e64 v18, 0, v18, s0
	v_cmp_gt_i32_e64 s0, s27, v102
	;; [unrolled: 2-line block ×3, first 2 shown]
	v_cndmask_b32_e64 v20, 0, v20, s0
.LBB46_44:                              ;   in Loop: Header=BB46_38 Depth=1
	s_or_b32 exec_lo, exec_lo, s13
	v_add_co_u32 v33, s0, 0x800, v53
	v_add_co_ci_u32_e64 v34, null, 0, v54, s0
	global_load_dwordx4 v[21:24], v[33:34], off
	s_and_saveexec_b32 s13, vcc_lo
	s_cbranch_execnz .LBB46_61
; %bb.45:                               ;   in Loop: Header=BB46_38 Depth=1
	s_or_b32 exec_lo, exec_lo, s13
	global_load_dwordx4 v[25:28], v[33:34], off offset:512
	s_and_saveexec_b32 s13, vcc_lo
	s_cbranch_execnz .LBB46_62
.LBB46_46:                              ;   in Loop: Header=BB46_38 Depth=1
	s_or_b32 exec_lo, exec_lo, s13
	global_load_dwordx4 v[29:32], v[33:34], off offset:1024
	s_and_saveexec_b32 s13, vcc_lo
	s_cbranch_execnz .LBB46_63
.LBB46_47:                              ;   in Loop: Header=BB46_38 Depth=1
	s_or_b32 exec_lo, exec_lo, s13
	global_load_dwordx4 v[33:36], v[33:34], off offset:1536
	s_and_saveexec_b32 s13, vcc_lo
	s_cbranch_execz .LBB46_49
.LBB46_48:                              ;   in Loop: Header=BB46_38 Depth=1
	v_cmp_gt_i32_e64 s0, s27, v100
	s_waitcnt vmcnt(0)
	v_cndmask_b32_e64 v33, 0, v33, s0
	v_cmp_gt_i32_e64 s0, s27, v103
	v_cndmask_b32_e64 v34, 0, v34, s0
	v_cmp_gt_i32_e64 s0, s27, v102
	v_cndmask_b32_e64 v35, 0, v35, s0
	v_cmp_gt_i32_e64 s0, s27, v101
	v_cndmask_b32_e64 v36, 0, v36, s0
.LBB46_49:                              ;   in Loop: Header=BB46_38 Depth=1
	s_or_b32 exec_lo, exec_lo, s13
	v_add_co_u32 v49, s0, 0x1000, v53
	v_add_co_ci_u32_e64 v50, null, 0, v54, s0
	global_load_dwordx4 v[37:40], v[49:50], off
	s_and_saveexec_b32 s13, vcc_lo
	s_cbranch_execnz .LBB46_64
; %bb.50:                               ;   in Loop: Header=BB46_38 Depth=1
	s_or_b32 exec_lo, exec_lo, s13
	global_load_dwordx4 v[41:44], v[49:50], off offset:512
	s_and_saveexec_b32 s13, vcc_lo
	s_cbranch_execnz .LBB46_65
.LBB46_51:                              ;   in Loop: Header=BB46_38 Depth=1
	s_or_b32 exec_lo, exec_lo, s13
	global_load_dwordx4 v[45:48], v[49:50], off offset:1024
	s_and_saveexec_b32 s13, vcc_lo
	s_cbranch_execnz .LBB46_66
.LBB46_52:                              ;   in Loop: Header=BB46_38 Depth=1
	s_or_b32 exec_lo, exec_lo, s13
	global_load_dwordx4 v[49:52], v[49:50], off offset:1536
	s_and_saveexec_b32 s13, vcc_lo
	s_cbranch_execz .LBB46_54
.LBB46_53:                              ;   in Loop: Header=BB46_38 Depth=1
	v_cmp_gt_i32_e64 s0, s27, v100
	s_waitcnt vmcnt(0)
	v_cndmask_b32_e64 v49, 0, v49, s0
	v_cmp_gt_i32_e64 s0, s27, v103
	v_cndmask_b32_e64 v50, 0, v50, s0
	v_cmp_gt_i32_e64 s0, s27, v102
	;; [unrolled: 2-line block ×3, first 2 shown]
	v_cndmask_b32_e64 v52, 0, v52, s0
.LBB46_54:                              ;   in Loop: Header=BB46_38 Depth=1
	s_or_b32 exec_lo, exec_lo, s13
	v_add_co_u32 v53, s0, 0x1800, v53
	v_add_co_ci_u32_e64 v54, null, 0, v54, s0
	global_load_dwordx4 v[57:60], v[53:54], off
	s_and_saveexec_b32 s13, vcc_lo
	s_cbranch_execnz .LBB46_67
; %bb.55:                               ;   in Loop: Header=BB46_38 Depth=1
	s_or_b32 exec_lo, exec_lo, s13
	global_load_dwordx4 v[61:64], v[53:54], off offset:512
	s_and_saveexec_b32 s13, vcc_lo
	s_cbranch_execnz .LBB46_68
.LBB46_56:                              ;   in Loop: Header=BB46_38 Depth=1
	s_or_b32 exec_lo, exec_lo, s13
	global_load_dwordx4 v[65:68], v[53:54], off offset:1024
	s_and_saveexec_b32 s13, vcc_lo
	s_cbranch_execnz .LBB46_69
.LBB46_57:                              ;   in Loop: Header=BB46_38 Depth=1
	s_or_b32 exec_lo, exec_lo, s13
	global_load_dwordx4 v[53:56], v[53:54], off offset:1536
	s_and_saveexec_b32 s0, vcc_lo
	s_cbranch_execz .LBB46_36
	s_branch .LBB46_70
.LBB46_58:                              ;   in Loop: Header=BB46_38 Depth=1
	v_cmp_gt_i32_e64 s0, s27, v100
	s_waitcnt vmcnt(0)
	v_cndmask_b32_e64 v5, 0, v5, s0
	v_cmp_gt_i32_e64 s0, s27, v103
	v_cndmask_b32_e64 v6, 0, v6, s0
	v_cmp_gt_i32_e64 s0, s27, v102
	;; [unrolled: 2-line block ×3, first 2 shown]
	v_cndmask_b32_e64 v8, 0, v8, s0
	s_or_b32 exec_lo, exec_lo, s13
	global_load_dwordx4 v[9:12], v[53:54], off offset:512
	s_and_saveexec_b32 s13, vcc_lo
	s_cbranch_execz .LBB46_41
.LBB46_59:                              ;   in Loop: Header=BB46_38 Depth=1
	v_cmp_gt_i32_e64 s0, s27, v100
	s_waitcnt vmcnt(0)
	v_cndmask_b32_e64 v9, 0, v9, s0
	v_cmp_gt_i32_e64 s0, s27, v103
	v_cndmask_b32_e64 v10, 0, v10, s0
	v_cmp_gt_i32_e64 s0, s27, v102
	;; [unrolled: 2-line block ×3, first 2 shown]
	v_cndmask_b32_e64 v12, 0, v12, s0
	s_or_b32 exec_lo, exec_lo, s13
	global_load_dwordx4 v[13:16], v[53:54], off offset:1024
	s_and_saveexec_b32 s13, vcc_lo
	s_cbranch_execz .LBB46_42
.LBB46_60:                              ;   in Loop: Header=BB46_38 Depth=1
	v_cmp_gt_i32_e64 s0, s27, v100
	s_waitcnt vmcnt(0)
	v_cndmask_b32_e64 v13, 0, v13, s0
	v_cmp_gt_i32_e64 s0, s27, v103
	v_cndmask_b32_e64 v14, 0, v14, s0
	v_cmp_gt_i32_e64 s0, s27, v102
	;; [unrolled: 2-line block ×3, first 2 shown]
	v_cndmask_b32_e64 v16, 0, v16, s0
	s_or_b32 exec_lo, exec_lo, s13
	global_load_dwordx4 v[17:20], v[53:54], off offset:1536
	s_and_saveexec_b32 s13, vcc_lo
	s_cbranch_execnz .LBB46_43
	s_branch .LBB46_44
.LBB46_61:                              ;   in Loop: Header=BB46_38 Depth=1
	v_cmp_gt_i32_e64 s0, s27, v100
	s_waitcnt vmcnt(0)
	v_cndmask_b32_e64 v21, 0, v21, s0
	v_cmp_gt_i32_e64 s0, s27, v103
	v_cndmask_b32_e64 v22, 0, v22, s0
	v_cmp_gt_i32_e64 s0, s27, v102
	;; [unrolled: 2-line block ×3, first 2 shown]
	v_cndmask_b32_e64 v24, 0, v24, s0
	s_or_b32 exec_lo, exec_lo, s13
	global_load_dwordx4 v[25:28], v[33:34], off offset:512
	s_and_saveexec_b32 s13, vcc_lo
	s_cbranch_execz .LBB46_46
.LBB46_62:                              ;   in Loop: Header=BB46_38 Depth=1
	v_cmp_gt_i32_e64 s0, s27, v100
	s_waitcnt vmcnt(0)
	v_cndmask_b32_e64 v25, 0, v25, s0
	v_cmp_gt_i32_e64 s0, s27, v103
	v_cndmask_b32_e64 v26, 0, v26, s0
	v_cmp_gt_i32_e64 s0, s27, v102
	;; [unrolled: 2-line block ×3, first 2 shown]
	v_cndmask_b32_e64 v28, 0, v28, s0
	s_or_b32 exec_lo, exec_lo, s13
	global_load_dwordx4 v[29:32], v[33:34], off offset:1024
	s_and_saveexec_b32 s13, vcc_lo
	s_cbranch_execz .LBB46_47
.LBB46_63:                              ;   in Loop: Header=BB46_38 Depth=1
	v_cmp_gt_i32_e64 s0, s27, v100
	s_waitcnt vmcnt(0)
	v_cndmask_b32_e64 v29, 0, v29, s0
	v_cmp_gt_i32_e64 s0, s27, v103
	v_cndmask_b32_e64 v30, 0, v30, s0
	v_cmp_gt_i32_e64 s0, s27, v102
	;; [unrolled: 2-line block ×3, first 2 shown]
	v_cndmask_b32_e64 v32, 0, v32, s0
	s_or_b32 exec_lo, exec_lo, s13
	global_load_dwordx4 v[33:36], v[33:34], off offset:1536
	s_and_saveexec_b32 s13, vcc_lo
	s_cbranch_execnz .LBB46_48
	s_branch .LBB46_49
.LBB46_64:                              ;   in Loop: Header=BB46_38 Depth=1
	v_cmp_gt_i32_e64 s0, s27, v100
	s_waitcnt vmcnt(0)
	v_cndmask_b32_e64 v37, 0, v37, s0
	v_cmp_gt_i32_e64 s0, s27, v103
	v_cndmask_b32_e64 v38, 0, v38, s0
	v_cmp_gt_i32_e64 s0, s27, v102
	;; [unrolled: 2-line block ×3, first 2 shown]
	v_cndmask_b32_e64 v40, 0, v40, s0
	s_or_b32 exec_lo, exec_lo, s13
	global_load_dwordx4 v[41:44], v[49:50], off offset:512
	s_and_saveexec_b32 s13, vcc_lo
	s_cbranch_execz .LBB46_51
.LBB46_65:                              ;   in Loop: Header=BB46_38 Depth=1
	v_cmp_gt_i32_e64 s0, s27, v100
	s_waitcnt vmcnt(0)
	v_cndmask_b32_e64 v41, 0, v41, s0
	v_cmp_gt_i32_e64 s0, s27, v103
	v_cndmask_b32_e64 v42, 0, v42, s0
	v_cmp_gt_i32_e64 s0, s27, v102
	;; [unrolled: 2-line block ×3, first 2 shown]
	v_cndmask_b32_e64 v44, 0, v44, s0
	s_or_b32 exec_lo, exec_lo, s13
	global_load_dwordx4 v[45:48], v[49:50], off offset:1024
	s_and_saveexec_b32 s13, vcc_lo
	s_cbranch_execz .LBB46_52
.LBB46_66:                              ;   in Loop: Header=BB46_38 Depth=1
	v_cmp_gt_i32_e64 s0, s27, v100
	s_waitcnt vmcnt(0)
	v_cndmask_b32_e64 v45, 0, v45, s0
	v_cmp_gt_i32_e64 s0, s27, v103
	v_cndmask_b32_e64 v46, 0, v46, s0
	v_cmp_gt_i32_e64 s0, s27, v102
	;; [unrolled: 2-line block ×3, first 2 shown]
	v_cndmask_b32_e64 v48, 0, v48, s0
	s_or_b32 exec_lo, exec_lo, s13
	global_load_dwordx4 v[49:52], v[49:50], off offset:1536
	s_and_saveexec_b32 s13, vcc_lo
	s_cbranch_execnz .LBB46_53
	s_branch .LBB46_54
.LBB46_67:                              ;   in Loop: Header=BB46_38 Depth=1
	v_cmp_gt_i32_e64 s0, s27, v100
	s_waitcnt vmcnt(0)
	v_cndmask_b32_e64 v57, 0, v57, s0
	v_cmp_gt_i32_e64 s0, s27, v103
	v_cndmask_b32_e64 v58, 0, v58, s0
	v_cmp_gt_i32_e64 s0, s27, v102
	;; [unrolled: 2-line block ×3, first 2 shown]
	v_cndmask_b32_e64 v60, 0, v60, s0
	s_or_b32 exec_lo, exec_lo, s13
	global_load_dwordx4 v[61:64], v[53:54], off offset:512
	s_and_saveexec_b32 s13, vcc_lo
	s_cbranch_execz .LBB46_56
.LBB46_68:                              ;   in Loop: Header=BB46_38 Depth=1
	v_cmp_gt_i32_e64 s0, s27, v100
	s_waitcnt vmcnt(0)
	v_cndmask_b32_e64 v61, 0, v61, s0
	v_cmp_gt_i32_e64 s0, s27, v103
	v_cndmask_b32_e64 v62, 0, v62, s0
	v_cmp_gt_i32_e64 s0, s27, v102
	;; [unrolled: 2-line block ×3, first 2 shown]
	v_cndmask_b32_e64 v64, 0, v64, s0
	s_or_b32 exec_lo, exec_lo, s13
	global_load_dwordx4 v[65:68], v[53:54], off offset:1024
	s_and_saveexec_b32 s13, vcc_lo
	s_cbranch_execz .LBB46_57
.LBB46_69:                              ;   in Loop: Header=BB46_38 Depth=1
	v_cmp_gt_i32_e64 s0, s27, v100
	s_waitcnt vmcnt(0)
	v_cndmask_b32_e64 v65, 0, v65, s0
	v_cmp_gt_i32_e64 s0, s27, v103
	v_cndmask_b32_e64 v66, 0, v66, s0
	v_cmp_gt_i32_e64 s0, s27, v102
	v_cndmask_b32_e64 v67, 0, v67, s0
	v_cmp_gt_i32_e64 s0, s27, v101
	v_cndmask_b32_e64 v68, 0, v68, s0
	s_or_b32 exec_lo, exec_lo, s13
	global_load_dwordx4 v[53:56], v[53:54], off offset:1536
	s_and_saveexec_b32 s0, vcc_lo
	s_cbranch_execz .LBB46_36
.LBB46_70:                              ;   in Loop: Header=BB46_38 Depth=1
	v_cmp_gt_i32_e32 vcc_lo, s27, v100
	s_waitcnt vmcnt(0)
	v_cndmask_b32_e32 v53, 0, v53, vcc_lo
	v_cmp_gt_i32_e32 vcc_lo, s27, v103
	v_cndmask_b32_e32 v54, 0, v54, vcc_lo
	v_cmp_gt_i32_e32 vcc_lo, s27, v102
	;; [unrolled: 2-line block ×3, first 2 shown]
	v_cndmask_b32_e32 v56, 0, v56, vcc_lo
	s_branch .LBB46_36
.LBB46_71:
	s_or_b32 exec_lo, exec_lo, s5
.LBB46_72:
	s_or_b32 exec_lo, exec_lo, s1
	ds_bpermute_b32 v1, v77, v94
	ds_bpermute_b32 v5, v77, v90
	;; [unrolled: 1-line block ×16, first 2 shown]
	s_mov_b32 s0, exec_lo
	s_waitcnt lgkmcnt(0)
	s_waitcnt_vscnt null, 0x0
	s_barrier
	buffer_gl0_inv
	v_add_f32_e32 v1, v94, v1
	v_add_f32_e32 v5, v90, v5
	;; [unrolled: 1-line block ×5, first 2 shown]
	ds_bpermute_b32 v17, v76, v1
	ds_bpermute_b32 v21, v76, v5
	;; [unrolled: 1-line block ×3, first 2 shown]
	v_add_f32_e32 v3, v92, v3
	v_add_f32_e32 v4, v91, v4
	;; [unrolled: 1-line block ×10, first 2 shown]
	ds_bpermute_b32 v26, v76, v10
	v_add_f32_e32 v16, v79, v16
	ds_bpermute_b32 v18, v76, v2
	ds_bpermute_b32 v19, v76, v3
	;; [unrolled: 1-line block ×8, first 2 shown]
	s_waitcnt lgkmcnt(11)
	v_add_f32_e32 v1, v1, v17
	ds_bpermute_b32 v17, v76, v13
	s_waitcnt lgkmcnt(11)
	v_add_f32_e32 v5, v5, v21
	ds_bpermute_b32 v21, v76, v14
	;; [unrolled: 3-line block ×3, first 2 shown]
	ds_bpermute_b32 v29, v76, v16
	ds_bpermute_b32 v30, v75, v6
	s_waitcnt lgkmcnt(13)
	v_add_f32_e32 v10, v10, v26
	s_waitcnt lgkmcnt(12)
	v_add_f32_e32 v2, v2, v18
	;; [unrolled: 2-line block ×9, first 2 shown]
	ds_bpermute_b32 v18, v75, v1
	s_waitcnt lgkmcnt(5)
	v_add_f32_e32 v13, v13, v17
	ds_bpermute_b32 v17, v75, v10
	s_waitcnt lgkmcnt(5)
	v_add_f32_e32 v14, v14, v21
	;; [unrolled: 3-line block ×3, first 2 shown]
	s_waitcnt lgkmcnt(4)
	v_add_f32_e32 v16, v16, v29
	ds_bpermute_b32 v20, v75, v3
	ds_bpermute_b32 v23, v75, v4
	;; [unrolled: 1-line block ×12, first 2 shown]
	s_waitcnt lgkmcnt(15)
	v_add_f32_e32 v6, v6, v30
	s_waitcnt lgkmcnt(14)
	v_add_f32_e32 v1, v1, v18
	;; [unrolled: 2-line block ×3, first 2 shown]
	v_lshrrev_b32_e32 v17, 3, v73
	s_waitcnt lgkmcnt(12)
	v_add_f32_e32 v2, v2, v19
	v_lshlrev_b32_e32 v19, 8, v72
	s_waitcnt lgkmcnt(11)
	v_add_f32_e32 v3, v3, v20
	s_waitcnt lgkmcnt(10)
	v_add_f32_e32 v4, v4, v23
	s_waitcnt lgkmcnt(9)
	v_add_f32_e32 v5, v5, v24
	s_waitcnt lgkmcnt(8)
	v_add_f32_e32 v7, v7, v31
	s_waitcnt lgkmcnt(7)
	v_add_f32_e32 v8, v8, v25
	s_waitcnt lgkmcnt(6)
	v_add_f32_e32 v9, v9, v26
	s_waitcnt lgkmcnt(5)
	v_add_f32_e32 v11, v11, v27
	s_waitcnt lgkmcnt(4)
	v_add_f32_e32 v12, v12, v28
	s_waitcnt lgkmcnt(3)
	v_add_f32_e32 v13, v13, v21
	s_waitcnt lgkmcnt(2)
	v_add_f32_e32 v14, v14, v22
	v_and_b32_e32 v20, 0x3c7, v0
	s_waitcnt lgkmcnt(1)
	v_add_f32_e32 v15, v15, v29
	s_waitcnt lgkmcnt(0)
	v_add_f32_e32 v16, v16, v32
	v_lshl_add_u32 v18, v17, 2, 0x120
	v_cmpx_eq_u32_e32 64, v20
	s_cbranch_execz .LBB46_74
; %bb.73:
	v_add_nc_u32_e32 v20, v18, v19
	v_add_nc_u32_e32 v21, 0xfffffe00, v20
	;; [unrolled: 1-line block ×7, first 2 shown]
	ds_write_b32 v21, v1
	ds_write_b32 v22, v2
	;; [unrolled: 1-line block ×6, first 2 shown]
	v_add_nc_u32_e32 v21, 0xfffffe60, v20
	v_add_nc_u32_e32 v22, 0xfffffe70, v20
	;; [unrolled: 1-line block ×5, first 2 shown]
	ds_write_b32 v21, v7
	ds_write_b32 v22, v8
	;; [unrolled: 1-line block ×5, first 2 shown]
	v_add_nc_u32_e32 v21, 0xfffffeb0, v20
	v_add_nc_u32_e32 v22, 0xfffffec0, v20
	;; [unrolled: 1-line block ×5, first 2 shown]
	ds_write_b32 v21, v12
	ds_write_b32 v22, v13
	;; [unrolled: 1-line block ×5, first 2 shown]
.LBB46_74:
	s_or_b32 exec_lo, exec_lo, s0
	v_lshlrev_b32_e32 v17, 2, v17
	s_mov_b32 s1, exec_lo
	v_cmp_eq_u32_e32 vcc_lo, 0, v78
	s_waitcnt lgkmcnt(0)
	s_barrier
	v_add3_u32 v17, 0x120, v19, v17
	buffer_gl0_inv
	v_cmpx_gt_u32_e32 64, v0
	s_cbranch_execz .LBB46_93
; %bb.75:
	s_and_saveexec_b32 s0, vcc_lo
	s_cbranch_execnz .LBB46_117
; %bb.76:
	s_or_b32 exec_lo, exec_lo, s0
	s_and_saveexec_b32 s0, vcc_lo
	s_cbranch_execnz .LBB46_118
.LBB46_77:
	s_or_b32 exec_lo, exec_lo, s0
	s_and_saveexec_b32 s0, vcc_lo
	s_cbranch_execnz .LBB46_119
.LBB46_78:
	s_or_b32 exec_lo, exec_lo, s0
	s_and_saveexec_b32 s0, vcc_lo
	s_cbranch_execnz .LBB46_120
.LBB46_79:
	s_or_b32 exec_lo, exec_lo, s0
	s_and_saveexec_b32 s0, vcc_lo
	s_cbranch_execnz .LBB46_121
.LBB46_80:
	s_or_b32 exec_lo, exec_lo, s0
	s_and_saveexec_b32 s0, vcc_lo
	s_cbranch_execnz .LBB46_122
.LBB46_81:
	s_or_b32 exec_lo, exec_lo, s0
	s_and_saveexec_b32 s0, vcc_lo
	s_cbranch_execnz .LBB46_123
.LBB46_82:
	s_or_b32 exec_lo, exec_lo, s0
	s_and_saveexec_b32 s0, vcc_lo
	s_cbranch_execnz .LBB46_124
.LBB46_83:
	s_or_b32 exec_lo, exec_lo, s0
	s_and_saveexec_b32 s0, vcc_lo
	s_cbranch_execnz .LBB46_125
.LBB46_84:
	s_or_b32 exec_lo, exec_lo, s0
	s_and_saveexec_b32 s0, vcc_lo
	s_cbranch_execnz .LBB46_126
.LBB46_85:
	s_or_b32 exec_lo, exec_lo, s0
	s_and_saveexec_b32 s0, vcc_lo
	s_cbranch_execnz .LBB46_127
.LBB46_86:
	s_or_b32 exec_lo, exec_lo, s0
	s_and_saveexec_b32 s0, vcc_lo
	s_cbranch_execnz .LBB46_128
.LBB46_87:
	s_or_b32 exec_lo, exec_lo, s0
	s_and_saveexec_b32 s0, vcc_lo
	s_cbranch_execnz .LBB46_129
.LBB46_88:
	s_or_b32 exec_lo, exec_lo, s0
	s_and_saveexec_b32 s0, vcc_lo
	s_cbranch_execnz .LBB46_130
.LBB46_89:
	s_or_b32 exec_lo, exec_lo, s0
	s_and_saveexec_b32 s0, vcc_lo
	s_cbranch_execnz .LBB46_131
.LBB46_90:
	s_or_b32 exec_lo, exec_lo, s0
	s_and_saveexec_b32 s0, vcc_lo
	s_cbranch_execz .LBB46_92
.LBB46_91:
	ds_read_b32 v19, v17 offset:240
	s_waitcnt lgkmcnt(0)
	v_add_f32_e32 v16, v16, v19
.LBB46_92:
	s_or_b32 exec_lo, exec_lo, s0
.LBB46_93:
	s_or_b32 exec_lo, exec_lo, s1
	v_and_b32_e32 v19, 0x3e7, v0
	s_mov_b32 s1, exec_lo
	s_barrier
	buffer_gl0_inv
	v_cmpx_eq_u32_e32 32, v19
	s_cbranch_execz .LBB46_95
; %bb.94:
	ds_write2_b32 v18, v1, v2 offset1:4
	ds_write2_b32 v18, v3, v4 offset0:8 offset1:12
	ds_write2_b32 v18, v5, v6 offset0:16 offset1:20
	;; [unrolled: 1-line block ×7, first 2 shown]
.LBB46_95:
	s_or_b32 exec_lo, exec_lo, s1
	s_mov_b32 s1, exec_lo
	s_waitcnt lgkmcnt(0)
	s_barrier
	buffer_gl0_inv
	v_cmpx_gt_u32_e32 32, v0
	s_cbranch_execz .LBB46_114
; %bb.96:
	s_and_saveexec_b32 s0, vcc_lo
	s_cbranch_execnz .LBB46_132
; %bb.97:
	s_or_b32 exec_lo, exec_lo, s0
	s_and_saveexec_b32 s0, vcc_lo
	s_cbranch_execnz .LBB46_133
.LBB46_98:
	s_or_b32 exec_lo, exec_lo, s0
	s_and_saveexec_b32 s0, vcc_lo
	s_cbranch_execnz .LBB46_134
.LBB46_99:
	s_or_b32 exec_lo, exec_lo, s0
	s_and_saveexec_b32 s0, vcc_lo
	s_cbranch_execnz .LBB46_135
.LBB46_100:
	s_or_b32 exec_lo, exec_lo, s0
	s_and_saveexec_b32 s0, vcc_lo
	s_cbranch_execnz .LBB46_136
.LBB46_101:
	s_or_b32 exec_lo, exec_lo, s0
	s_and_saveexec_b32 s0, vcc_lo
	s_cbranch_execnz .LBB46_137
.LBB46_102:
	s_or_b32 exec_lo, exec_lo, s0
	s_and_saveexec_b32 s0, vcc_lo
	s_cbranch_execnz .LBB46_138
.LBB46_103:
	s_or_b32 exec_lo, exec_lo, s0
	s_and_saveexec_b32 s0, vcc_lo
	s_cbranch_execnz .LBB46_139
.LBB46_104:
	s_or_b32 exec_lo, exec_lo, s0
	s_and_saveexec_b32 s0, vcc_lo
	s_cbranch_execnz .LBB46_140
.LBB46_105:
	s_or_b32 exec_lo, exec_lo, s0
	s_and_saveexec_b32 s0, vcc_lo
	s_cbranch_execnz .LBB46_141
.LBB46_106:
	s_or_b32 exec_lo, exec_lo, s0
	s_and_saveexec_b32 s0, vcc_lo
	s_cbranch_execnz .LBB46_142
.LBB46_107:
	s_or_b32 exec_lo, exec_lo, s0
	s_and_saveexec_b32 s0, vcc_lo
	s_cbranch_execnz .LBB46_143
.LBB46_108:
	s_or_b32 exec_lo, exec_lo, s0
	s_and_saveexec_b32 s0, vcc_lo
	s_cbranch_execnz .LBB46_144
.LBB46_109:
	s_or_b32 exec_lo, exec_lo, s0
	s_and_saveexec_b32 s0, vcc_lo
	s_cbranch_execnz .LBB46_145
.LBB46_110:
	s_or_b32 exec_lo, exec_lo, s0
	s_and_saveexec_b32 s0, vcc_lo
	s_cbranch_execnz .LBB46_146
.LBB46_111:
	s_or_b32 exec_lo, exec_lo, s0
	s_and_saveexec_b32 s0, vcc_lo
	s_cbranch_execz .LBB46_113
.LBB46_112:
	ds_read_b32 v17, v17 offset:240
	s_waitcnt lgkmcnt(0)
	v_add_f32_e32 v16, v16, v17
.LBB46_113:
	s_or_b32 exec_lo, exec_lo, s0
.LBB46_114:
	s_or_b32 exec_lo, exec_lo, s1
	s_barrier
	buffer_gl0_inv
	s_mov_b32 s0, exec_lo
	v_cmpx_eq_u32_e32 0, v19
	s_cbranch_execz .LBB46_116
; %bb.115:
	s_lshl_b32 s0, s2, 6
	s_mul_i32 s2, s7, s10
	s_ashr_i32 s1, s0, 31
	v_lshrrev_b32_e32 v0, 1, v0
	s_lshl_b64 s[0:1], s[0:1], 2
	s_add_u32 s4, s24, s0
	s_addc_u32 s5, s25, s1
	s_ashr_i32 s3, s2, 31
	s_lshl_b64 s[0:1], s[2:3], 2
	s_add_u32 s2, s4, s0
	s_addc_u32 s3, s5, s1
	s_lshl_b32 s0, s8, 6
	s_ashr_i32 s1, s0, 31
	s_lshl_b64 s[0:1], s[0:1], 2
	s_add_u32 s0, s2, s0
	s_addc_u32 s1, s3, s1
	global_store_dword v0, v1, s[0:1]
	global_store_dword v0, v2, s[0:1] offset:16
	global_store_dword v0, v3, s[0:1] offset:32
	;; [unrolled: 1-line block ×15, first 2 shown]
.LBB46_116:
	s_endpgm
.LBB46_117:
	ds_read_b32 v19, v17
	s_waitcnt lgkmcnt(0)
	v_add_f32_e32 v1, v1, v19
	s_or_b32 exec_lo, exec_lo, s0
	s_and_saveexec_b32 s0, vcc_lo
	s_cbranch_execz .LBB46_77
.LBB46_118:
	ds_read_b32 v19, v17 offset:16
	s_waitcnt lgkmcnt(0)
	v_add_f32_e32 v2, v2, v19
	s_or_b32 exec_lo, exec_lo, s0
	s_and_saveexec_b32 s0, vcc_lo
	s_cbranch_execz .LBB46_78
.LBB46_119:
	ds_read_b32 v19, v17 offset:32
	s_waitcnt lgkmcnt(0)
	v_add_f32_e32 v3, v3, v19
	s_or_b32 exec_lo, exec_lo, s0
	s_and_saveexec_b32 s0, vcc_lo
	s_cbranch_execz .LBB46_79
.LBB46_120:
	ds_read_b32 v19, v17 offset:48
	s_waitcnt lgkmcnt(0)
	v_add_f32_e32 v4, v4, v19
	s_or_b32 exec_lo, exec_lo, s0
	s_and_saveexec_b32 s0, vcc_lo
	s_cbranch_execz .LBB46_80
.LBB46_121:
	ds_read_b32 v19, v17 offset:64
	s_waitcnt lgkmcnt(0)
	v_add_f32_e32 v5, v5, v19
	s_or_b32 exec_lo, exec_lo, s0
	s_and_saveexec_b32 s0, vcc_lo
	s_cbranch_execz .LBB46_81
.LBB46_122:
	ds_read_b32 v19, v17 offset:80
	s_waitcnt lgkmcnt(0)
	v_add_f32_e32 v6, v6, v19
	s_or_b32 exec_lo, exec_lo, s0
	s_and_saveexec_b32 s0, vcc_lo
	s_cbranch_execz .LBB46_82
.LBB46_123:
	ds_read_b32 v19, v17 offset:96
	s_waitcnt lgkmcnt(0)
	v_add_f32_e32 v7, v7, v19
	s_or_b32 exec_lo, exec_lo, s0
	s_and_saveexec_b32 s0, vcc_lo
	s_cbranch_execz .LBB46_83
.LBB46_124:
	ds_read_b32 v19, v17 offset:112
	s_waitcnt lgkmcnt(0)
	v_add_f32_e32 v8, v8, v19
	s_or_b32 exec_lo, exec_lo, s0
	s_and_saveexec_b32 s0, vcc_lo
	s_cbranch_execz .LBB46_84
.LBB46_125:
	ds_read_b32 v19, v17 offset:128
	s_waitcnt lgkmcnt(0)
	v_add_f32_e32 v9, v9, v19
	s_or_b32 exec_lo, exec_lo, s0
	s_and_saveexec_b32 s0, vcc_lo
	s_cbranch_execz .LBB46_85
.LBB46_126:
	ds_read_b32 v19, v17 offset:144
	s_waitcnt lgkmcnt(0)
	v_add_f32_e32 v10, v10, v19
	s_or_b32 exec_lo, exec_lo, s0
	s_and_saveexec_b32 s0, vcc_lo
	s_cbranch_execz .LBB46_86
.LBB46_127:
	ds_read_b32 v19, v17 offset:160
	s_waitcnt lgkmcnt(0)
	v_add_f32_e32 v11, v11, v19
	s_or_b32 exec_lo, exec_lo, s0
	s_and_saveexec_b32 s0, vcc_lo
	s_cbranch_execz .LBB46_87
.LBB46_128:
	ds_read_b32 v19, v17 offset:176
	s_waitcnt lgkmcnt(0)
	v_add_f32_e32 v12, v12, v19
	s_or_b32 exec_lo, exec_lo, s0
	s_and_saveexec_b32 s0, vcc_lo
	s_cbranch_execz .LBB46_88
.LBB46_129:
	ds_read_b32 v19, v17 offset:192
	s_waitcnt lgkmcnt(0)
	v_add_f32_e32 v13, v13, v19
	s_or_b32 exec_lo, exec_lo, s0
	s_and_saveexec_b32 s0, vcc_lo
	s_cbranch_execz .LBB46_89
.LBB46_130:
	ds_read_b32 v19, v17 offset:208
	s_waitcnt lgkmcnt(0)
	v_add_f32_e32 v14, v14, v19
	s_or_b32 exec_lo, exec_lo, s0
	s_and_saveexec_b32 s0, vcc_lo
	s_cbranch_execz .LBB46_90
.LBB46_131:
	ds_read_b32 v19, v17 offset:224
	s_waitcnt lgkmcnt(0)
	v_add_f32_e32 v15, v15, v19
	s_or_b32 exec_lo, exec_lo, s0
	s_and_saveexec_b32 s0, vcc_lo
	s_cbranch_execnz .LBB46_91
	s_branch .LBB46_92
.LBB46_132:
	ds_read_b32 v18, v17
	s_waitcnt lgkmcnt(0)
	v_add_f32_e32 v1, v1, v18
	s_or_b32 exec_lo, exec_lo, s0
	s_and_saveexec_b32 s0, vcc_lo
	s_cbranch_execz .LBB46_98
.LBB46_133:
	ds_read_b32 v18, v17 offset:16
	s_waitcnt lgkmcnt(0)
	v_add_f32_e32 v2, v2, v18
	s_or_b32 exec_lo, exec_lo, s0
	s_and_saveexec_b32 s0, vcc_lo
	s_cbranch_execz .LBB46_99
.LBB46_134:
	ds_read_b32 v18, v17 offset:32
	s_waitcnt lgkmcnt(0)
	v_add_f32_e32 v3, v3, v18
	s_or_b32 exec_lo, exec_lo, s0
	s_and_saveexec_b32 s0, vcc_lo
	s_cbranch_execz .LBB46_100
.LBB46_135:
	ds_read_b32 v18, v17 offset:48
	s_waitcnt lgkmcnt(0)
	v_add_f32_e32 v4, v4, v18
	s_or_b32 exec_lo, exec_lo, s0
	s_and_saveexec_b32 s0, vcc_lo
	s_cbranch_execz .LBB46_101
.LBB46_136:
	ds_read_b32 v18, v17 offset:64
	s_waitcnt lgkmcnt(0)
	v_add_f32_e32 v5, v5, v18
	s_or_b32 exec_lo, exec_lo, s0
	s_and_saveexec_b32 s0, vcc_lo
	s_cbranch_execz .LBB46_102
.LBB46_137:
	ds_read_b32 v18, v17 offset:80
	s_waitcnt lgkmcnt(0)
	v_add_f32_e32 v6, v6, v18
	s_or_b32 exec_lo, exec_lo, s0
	s_and_saveexec_b32 s0, vcc_lo
	s_cbranch_execz .LBB46_103
.LBB46_138:
	ds_read_b32 v18, v17 offset:96
	s_waitcnt lgkmcnt(0)
	v_add_f32_e32 v7, v7, v18
	s_or_b32 exec_lo, exec_lo, s0
	s_and_saveexec_b32 s0, vcc_lo
	s_cbranch_execz .LBB46_104
.LBB46_139:
	ds_read_b32 v18, v17 offset:112
	s_waitcnt lgkmcnt(0)
	v_add_f32_e32 v8, v8, v18
	s_or_b32 exec_lo, exec_lo, s0
	s_and_saveexec_b32 s0, vcc_lo
	s_cbranch_execz .LBB46_105
.LBB46_140:
	ds_read_b32 v18, v17 offset:128
	s_waitcnt lgkmcnt(0)
	v_add_f32_e32 v9, v9, v18
	s_or_b32 exec_lo, exec_lo, s0
	s_and_saveexec_b32 s0, vcc_lo
	s_cbranch_execz .LBB46_106
.LBB46_141:
	ds_read_b32 v18, v17 offset:144
	s_waitcnt lgkmcnt(0)
	v_add_f32_e32 v10, v10, v18
	s_or_b32 exec_lo, exec_lo, s0
	s_and_saveexec_b32 s0, vcc_lo
	s_cbranch_execz .LBB46_107
.LBB46_142:
	ds_read_b32 v18, v17 offset:160
	s_waitcnt lgkmcnt(0)
	v_add_f32_e32 v11, v11, v18
	s_or_b32 exec_lo, exec_lo, s0
	s_and_saveexec_b32 s0, vcc_lo
	s_cbranch_execz .LBB46_108
.LBB46_143:
	ds_read_b32 v18, v17 offset:176
	s_waitcnt lgkmcnt(0)
	v_add_f32_e32 v12, v12, v18
	s_or_b32 exec_lo, exec_lo, s0
	s_and_saveexec_b32 s0, vcc_lo
	s_cbranch_execz .LBB46_109
.LBB46_144:
	ds_read_b32 v18, v17 offset:192
	s_waitcnt lgkmcnt(0)
	v_add_f32_e32 v13, v13, v18
	s_or_b32 exec_lo, exec_lo, s0
	s_and_saveexec_b32 s0, vcc_lo
	s_cbranch_execz .LBB46_110
.LBB46_145:
	ds_read_b32 v18, v17 offset:208
	s_waitcnt lgkmcnt(0)
	v_add_f32_e32 v14, v14, v18
	s_or_b32 exec_lo, exec_lo, s0
	s_and_saveexec_b32 s0, vcc_lo
	s_cbranch_execz .LBB46_111
.LBB46_146:
	ds_read_b32 v18, v17 offset:224
	s_waitcnt lgkmcnt(0)
	v_add_f32_e32 v15, v15, v18
	s_or_b32 exec_lo, exec_lo, s0
	s_and_saveexec_b32 s0, vcc_lo
	s_cbranch_execnz .LBB46_112
	s_branch .LBB46_113
	.section	.rodata,"a",@progbits
	.p2align	6, 0x0
	.amdhsa_kernel _ZN4vllm25paged_attention_v2_kernelIffLi64ELi32ELi128ELNS_18Fp8KVCacheDataTypeE0ELb1ELi512EEEvPfS2_PT_PKS3_PKT0_S9_ifPKiSB_iPKfiiiSD_SD_iiiii
		.amdhsa_group_segment_fixed_size 288
		.amdhsa_private_segment_fixed_size 0
		.amdhsa_kernarg_size 400
		.amdhsa_user_sgpr_count 6
		.amdhsa_user_sgpr_private_segment_buffer 1
		.amdhsa_user_sgpr_dispatch_ptr 0
		.amdhsa_user_sgpr_queue_ptr 0
		.amdhsa_user_sgpr_kernarg_segment_ptr 1
		.amdhsa_user_sgpr_dispatch_id 0
		.amdhsa_user_sgpr_flat_scratch_init 0
		.amdhsa_user_sgpr_private_segment_size 0
		.amdhsa_wavefront_size32 1
		.amdhsa_uses_dynamic_stack 0
		.amdhsa_system_sgpr_private_segment_wavefront_offset 0
		.amdhsa_system_sgpr_workgroup_id_x 1
		.amdhsa_system_sgpr_workgroup_id_y 1
		.amdhsa_system_sgpr_workgroup_id_z 1
		.amdhsa_system_sgpr_workgroup_info 0
		.amdhsa_system_vgpr_workitem_id 0
		.amdhsa_next_free_vgpr 119
		.amdhsa_next_free_sgpr 46
		.amdhsa_reserve_vcc 1
		.amdhsa_reserve_flat_scratch 0
		.amdhsa_float_round_mode_32 0
		.amdhsa_float_round_mode_16_64 0
		.amdhsa_float_denorm_mode_32 3
		.amdhsa_float_denorm_mode_16_64 3
		.amdhsa_dx10_clamp 1
		.amdhsa_ieee_mode 1
		.amdhsa_fp16_overflow 0
		.amdhsa_workgroup_processor_mode 1
		.amdhsa_memory_ordered 1
		.amdhsa_forward_progress 1
		.amdhsa_shared_vgpr_count 0
		.amdhsa_exception_fp_ieee_invalid_op 0
		.amdhsa_exception_fp_denorm_src 0
		.amdhsa_exception_fp_ieee_div_zero 0
		.amdhsa_exception_fp_ieee_overflow 0
		.amdhsa_exception_fp_ieee_underflow 0
		.amdhsa_exception_fp_ieee_inexact 0
		.amdhsa_exception_int_div_zero 0
	.end_amdhsa_kernel
	.section	.text._ZN4vllm25paged_attention_v2_kernelIffLi64ELi32ELi128ELNS_18Fp8KVCacheDataTypeE0ELb1ELi512EEEvPfS2_PT_PKS3_PKT0_S9_ifPKiSB_iPKfiiiSD_SD_iiiii,"axG",@progbits,_ZN4vllm25paged_attention_v2_kernelIffLi64ELi32ELi128ELNS_18Fp8KVCacheDataTypeE0ELb1ELi512EEEvPfS2_PT_PKS3_PKT0_S9_ifPKiSB_iPKfiiiSD_SD_iiiii,comdat
.Lfunc_end46:
	.size	_ZN4vllm25paged_attention_v2_kernelIffLi64ELi32ELi128ELNS_18Fp8KVCacheDataTypeE0ELb1ELi512EEEvPfS2_PT_PKS3_PKT0_S9_ifPKiSB_iPKfiiiSD_SD_iiiii, .Lfunc_end46-_ZN4vllm25paged_attention_v2_kernelIffLi64ELi32ELi128ELNS_18Fp8KVCacheDataTypeE0ELb1ELi512EEEvPfS2_PT_PKS3_PKT0_S9_ifPKiSB_iPKfiiiSD_SD_iiiii
                                        ; -- End function
	.set _ZN4vllm25paged_attention_v2_kernelIffLi64ELi32ELi128ELNS_18Fp8KVCacheDataTypeE0ELb1ELi512EEEvPfS2_PT_PKS3_PKT0_S9_ifPKiSB_iPKfiiiSD_SD_iiiii.num_vgpr, 119
	.set _ZN4vllm25paged_attention_v2_kernelIffLi64ELi32ELi128ELNS_18Fp8KVCacheDataTypeE0ELb1ELi512EEEvPfS2_PT_PKS3_PKT0_S9_ifPKiSB_iPKfiiiSD_SD_iiiii.num_agpr, 0
	.set _ZN4vllm25paged_attention_v2_kernelIffLi64ELi32ELi128ELNS_18Fp8KVCacheDataTypeE0ELb1ELi512EEEvPfS2_PT_PKS3_PKT0_S9_ifPKiSB_iPKfiiiSD_SD_iiiii.numbered_sgpr, 46
	.set _ZN4vllm25paged_attention_v2_kernelIffLi64ELi32ELi128ELNS_18Fp8KVCacheDataTypeE0ELb1ELi512EEEvPfS2_PT_PKS3_PKT0_S9_ifPKiSB_iPKfiiiSD_SD_iiiii.num_named_barrier, 0
	.set _ZN4vllm25paged_attention_v2_kernelIffLi64ELi32ELi128ELNS_18Fp8KVCacheDataTypeE0ELb1ELi512EEEvPfS2_PT_PKS3_PKT0_S9_ifPKiSB_iPKfiiiSD_SD_iiiii.private_seg_size, 0
	.set _ZN4vllm25paged_attention_v2_kernelIffLi64ELi32ELi128ELNS_18Fp8KVCacheDataTypeE0ELb1ELi512EEEvPfS2_PT_PKS3_PKT0_S9_ifPKiSB_iPKfiiiSD_SD_iiiii.uses_vcc, 1
	.set _ZN4vllm25paged_attention_v2_kernelIffLi64ELi32ELi128ELNS_18Fp8KVCacheDataTypeE0ELb1ELi512EEEvPfS2_PT_PKS3_PKT0_S9_ifPKiSB_iPKfiiiSD_SD_iiiii.uses_flat_scratch, 0
	.set _ZN4vllm25paged_attention_v2_kernelIffLi64ELi32ELi128ELNS_18Fp8KVCacheDataTypeE0ELb1ELi512EEEvPfS2_PT_PKS3_PKT0_S9_ifPKiSB_iPKfiiiSD_SD_iiiii.has_dyn_sized_stack, 0
	.set _ZN4vllm25paged_attention_v2_kernelIffLi64ELi32ELi128ELNS_18Fp8KVCacheDataTypeE0ELb1ELi512EEEvPfS2_PT_PKS3_PKT0_S9_ifPKiSB_iPKfiiiSD_SD_iiiii.has_recursion, 0
	.set _ZN4vllm25paged_attention_v2_kernelIffLi64ELi32ELi128ELNS_18Fp8KVCacheDataTypeE0ELb1ELi512EEEvPfS2_PT_PKS3_PKT0_S9_ifPKiSB_iPKfiiiSD_SD_iiiii.has_indirect_call, 0
	.section	.AMDGPU.csdata,"",@progbits
; Kernel info:
; codeLenInByte = 8452
; TotalNumSgprs: 48
; NumVgprs: 119
; ScratchSize: 0
; MemoryBound: 0
; FloatMode: 240
; IeeeMode: 1
; LDSByteSize: 288 bytes/workgroup (compile time only)
; SGPRBlocks: 0
; VGPRBlocks: 14
; NumSGPRsForWavesPerEU: 48
; NumVGPRsForWavesPerEU: 119
; Occupancy: 8
; WaveLimiterHint : 1
; COMPUTE_PGM_RSRC2:SCRATCH_EN: 0
; COMPUTE_PGM_RSRC2:USER_SGPR: 6
; COMPUTE_PGM_RSRC2:TRAP_HANDLER: 0
; COMPUTE_PGM_RSRC2:TGID_X_EN: 1
; COMPUTE_PGM_RSRC2:TGID_Y_EN: 1
; COMPUTE_PGM_RSRC2:TGID_Z_EN: 1
; COMPUTE_PGM_RSRC2:TIDIG_COMP_CNT: 0
	.section	.text._ZN4vllm25paged_attention_v2_kernelIffLi80ELi32ELi128ELNS_18Fp8KVCacheDataTypeE0ELb1ELi512EEEvPfS2_PT_PKS3_PKT0_S9_ifPKiSB_iPKfiiiSD_SD_iiiii,"axG",@progbits,_ZN4vllm25paged_attention_v2_kernelIffLi80ELi32ELi128ELNS_18Fp8KVCacheDataTypeE0ELb1ELi512EEEvPfS2_PT_PKS3_PKT0_S9_ifPKiSB_iPKfiiiSD_SD_iiiii,comdat
	.protected	_ZN4vllm25paged_attention_v2_kernelIffLi80ELi32ELi128ELNS_18Fp8KVCacheDataTypeE0ELb1ELi512EEEvPfS2_PT_PKS3_PKT0_S9_ifPKiSB_iPKfiiiSD_SD_iiiii ; -- Begin function _ZN4vllm25paged_attention_v2_kernelIffLi80ELi32ELi128ELNS_18Fp8KVCacheDataTypeE0ELb1ELi512EEEvPfS2_PT_PKS3_PKT0_S9_ifPKiSB_iPKfiiiSD_SD_iiiii
	.globl	_ZN4vllm25paged_attention_v2_kernelIffLi80ELi32ELi128ELNS_18Fp8KVCacheDataTypeE0ELb1ELi512EEEvPfS2_PT_PKS3_PKT0_S9_ifPKiSB_iPKfiiiSD_SD_iiiii
	.p2align	8
	.type	_ZN4vllm25paged_attention_v2_kernelIffLi80ELi32ELi128ELNS_18Fp8KVCacheDataTypeE0ELb1ELi512EEEvPfS2_PT_PKS3_PKT0_S9_ifPKiSB_iPKfiiiSD_SD_iiiii,@function
_ZN4vllm25paged_attention_v2_kernelIffLi80ELi32ELi128ELNS_18Fp8KVCacheDataTypeE0ELb1ELi512EEEvPfS2_PT_PKS3_PKT0_S9_ifPKiSB_iPKfiiiSD_SD_iiiii: ; @_ZN4vllm25paged_attention_v2_kernelIffLi80ELi32ELi128ELNS_18Fp8KVCacheDataTypeE0ELb1ELi512EEEvPfS2_PT_PKS3_PKT0_S9_ifPKiSB_iPKfiiiSD_SD_iiiii
; %bb.0:
	s_load_dwordx2 s[0:1], s[4:5], 0x40
	s_mov_b32 s26, s7
	s_ashr_i32 s27, s7, 31
	s_lshl_b64 s[2:3], s[26:27], 2
	s_waitcnt lgkmcnt(0)
	s_add_u32 s0, s0, s2
	s_addc_u32 s1, s1, s3
	s_lshl_b32 s37, s8, 9
	s_load_dword s27, s[0:1], 0x0
	s_waitcnt lgkmcnt(0)
	s_cmp_ge_i32 s37, s27
	s_cbranch_scc1 .LBB47_132
; %bb.1:
	s_clause 0x1
	s_load_dword s9, s[4:5], 0x90
	s_load_dwordx2 s[2:3], s[4:5], 0x30
	s_mov_b32 s39, 0
	s_waitcnt lgkmcnt(0)
	s_abs_i32 s10, s9
	s_abs_i32 s0, s2
	v_cvt_f32_u32_e32 v1, s0
	s_sub_i32 s7, 0, s0
	v_rcp_iflag_f32_e32 v1, v1
	v_mul_f32_e32 v1, 0x4f7ffffe, v1
	v_cvt_u32_f32_e32 v1, v1
	v_readfirstlane_b32 s1, v1
	s_mul_i32 s7, s7, s1
	s_mul_hi_u32 s7, s1, s7
	s_add_i32 s1, s1, s7
	s_xor_b32 s7, s9, s2
	s_mul_hi_u32 s1, s10, s1
	s_ashr_i32 s7, s7, 31
	s_mul_i32 s11, s1, s0
	s_sub_i32 s10, s10, s11
	s_add_i32 s11, s1, 1
	s_sub_i32 s12, s10, s0
	s_cmp_ge_u32 s10, s0
	s_cselect_b32 s1, s11, s1
	s_cselect_b32 s10, s12, s10
	s_add_i32 s11, s1, 1
	s_cmp_ge_u32 s10, s0
	s_cselect_b32 s0, s11, s1
	s_abs_i32 s21, s6
	s_xor_b32 s0, s0, s7
	s_sub_i32 s10, s0, s7
	s_load_dwordx2 s[0:1], s[4:5], 0x50
	s_abs_i32 s20, s10
	v_cvt_f32_u32_e32 v1, s20
	s_sub_i32 s11, 0, s20
	v_rcp_iflag_f32_e32 v1, v1
	v_mul_f32_e32 v1, 0x4f7ffffe, v1
	v_cvt_u32_f32_e32 v1, v1
	v_readfirstlane_b32 s7, v1
	s_mul_i32 s11, s11, s7
	s_mul_hi_u32 s11, s7, s11
	s_add_i32 s7, s7, s11
	s_waitcnt lgkmcnt(0)
	s_cmp_eq_u64 s[0:1], 0
	s_mul_hi_u32 s22, s21, s7
	s_cbranch_scc1 .LBB47_3
; %bb.2:
	s_ashr_i32 s7, s6, 31
	s_lshl_b64 s[12:13], s[6:7], 2
	s_add_u32 s0, s0, s12
	s_addc_u32 s1, s1, s13
	s_load_dword s39, s[0:1], 0x0
.LBB47_3:
	s_load_dwordx4 s[12:15], s[4:5], 0x58
	v_lshlrev_b32_e32 v87, 4, v0
	s_ashr_i32 s0, s6, 31
	s_ashr_i32 s1, s10, 31
	s_mul_i32 s10, s6, 0x50
	s_mov_b32 s7, exec_lo
	v_cmpx_gt_u32_e32 20, v0
	s_cbranch_execz .LBB47_5
; %bb.4:
	s_load_dwordx2 s[16:17], s[4:5], 0x18
	s_waitcnt lgkmcnt(0)
	s_mul_i32 s18, s12, s26
	s_ashr_i32 s19, s18, 31
	s_lshl_b64 s[18:19], s[18:19], 2
	s_add_u32 s12, s16, s18
	s_addc_u32 s15, s17, s19
	s_ashr_i32 s11, s10, 31
	s_lshl_b64 s[16:17], s[10:11], 2
	s_add_u32 s16, s12, s16
	s_addc_u32 s17, s15, s17
	global_load_dwordx4 v[1:4], v87, s[16:17]
	s_waitcnt vmcnt(0)
	ds_write_b128 v87, v[1:4]
.LBB47_5:
	s_or_b32 exec_lo, exec_lo, s7
	s_load_dwordx4 s[16:19], s[4:5], 0x78
	s_mul_i32 s7, s22, s20
	s_xor_b32 s0, s0, s1
	s_sub_i32 s1, s21, s7
	s_add_i32 s7, s22, 1
	s_sub_i32 s11, s1, s20
	s_cmp_ge_u32 s1, s20
	s_mov_b32 s21, -1
	s_cselect_b32 s7, s7, s22
	s_cselect_b32 s1, s11, s1
	s_add_i32 s11, s7, 1
	s_cmp_ge_u32 s1, s20
                                        ; implicit-def: $sgpr33
	s_cselect_b32 s1, s11, s7
	s_load_dword s7, s[4:5], 0x88
	s_xor_b32 s1, s1, s0
	s_add_i32 s20, s27, -1
	s_sub_i32 s1, s1, s0
	s_waitcnt lgkmcnt(0)
	s_abs_i32 s15, s20
	s_abs_i32 s11, s19
	s_barrier
	v_cvt_f32_u32_e32 v1, s11
	s_sub_i32 s0, 0, s11
	buffer_gl0_inv
	v_rcp_iflag_f32_e32 v1, v1
	v_mul_f32_e32 v1, 0x4f7ffffe, v1
	v_cvt_u32_f32_e32 v1, v1
	v_readfirstlane_b32 s12, v1
	s_mul_i32 s0, s0, s12
	s_mul_hi_u32 s0, s12, s0
	s_add_i32 s12, s12, s0
	s_cmp_lt_i32 s7, 0
	s_mul_hi_u32 s0, s15, s12
	s_cbranch_scc0 .LBB47_7
; %bb.6:
	s_mul_i32 s2, s16, s2
	s_mov_b32 s21, 0
	s_add_i32 s2, s1, s2
	s_mul_i32 s2, s2, s7
	s_sub_i32 s33, 1, s2
.LBB47_7:
	s_load_dwordx2 s[28:29], s[4:5], 0x38
	s_ashr_i32 s2, s20, 31
	s_andn2_b32 vcc_lo, exec_lo, s21
	s_ashr_i32 s19, s19, 31
	s_cbranch_vccnz .LBB47_9
; %bb.8:
	s_mul_i32 s16, s9, s16
	s_add_i32 s16, s16, s6
	s_mul_i32 s7, s16, s7
	s_add_i32 s33, s7, 1
.LBB47_9:
	s_clause 0x4
	s_load_dword s16, s[4:5], 0x48
	s_load_dwordx2 s[34:35], s[4:5], 0x28
	s_load_dword s7, s[4:5], 0x98
	s_load_dwordx4 s[20:23], s[4:5], 0x0
	s_load_dwordx2 s[24:25], s[4:5], 0x10
	s_mul_i32 s30, s0, s11
	s_xor_b32 s2, s2, s19
	s_sub_i32 s15, s15, s30
	s_add_i32 s36, s0, 1
	v_lshrrev_b32_e32 v88, 5, v0
	v_and_b32_e32 v89, 31, v0
	v_mov_b32_e32 v91, 0xff7fffff
	s_mul_i32 s14, s1, s14
	v_lshl_add_u32 v90, v88, 5, s37
	v_lshlrev_b32_e32 v94, 2, v89
	s_waitcnt lgkmcnt(0)
	s_mul_i32 s30, s16, s26
	s_sub_i32 s16, s15, s11
	s_ashr_i32 s31, s30, 31
	s_cmp_ge_u32 s15, s11
	s_cselect_b32 s0, s36, s0
	s_cselect_b32 s15, s16, s15
	s_add_i32 s16, s0, 1
	s_cmp_ge_u32 s15, s11
	s_cselect_b32 s0, s16, s0
	s_add_i32 s15, s27, 31
	s_lshl_b32 s40, s8, 4
	s_ashr_i32 s16, s15, 31
	v_add_nc_u32_e32 v85, s40, v88
	s_lshr_b32 s16, s16, 27
	s_add_i32 s15, s15, s16
	s_add_i32 s16, s40, 16
	s_ashr_i32 s36, s15, 5
	s_xor_b32 s15, s0, s2
	s_min_i32 s16, s16, s36
	v_ashrrev_i32_e32 v86, 31, v85
	v_cmp_gt_i32_e64 s0, s16, v85
	s_sub_i32 s38, s15, s2
	s_and_saveexec_b32 s41, s0
	s_cbranch_execz .LBB47_17
; %bb.10:
	s_load_dwordx2 s[42:43], s[4:5], 0x20
	s_ashr_i32 s15, s14, 31
	s_sub_i32 s4, s38, s17
	s_lshl_b64 s[44:45], s[14:15], 2
	v_mov_b32_e32 v77, 0
	v_subrev_nc_u32_e32 v84, s27, v89
	v_lshlrev_b32_e32 v83, 4, v89
	v_lshlrev_b64 v[81:82], 2, v[85:86]
	v_lshl_or_b32 v97, v88, 7, v94
	v_cmp_neq_f32_e64 vcc_lo, s39, 0
	v_add_nc_u32_e32 v96, 1, v84
	v_lshl_add_u32 v92, v88, 5, s37
	v_mov_b32_e32 v93, 0xff7fffff
	v_mov_b32_e32 v91, 0xff7fffff
	;; [unrolled: 1-line block ×3, first 2 shown]
	v_add_nc_u32_e32 v97, 0x160, v97
	s_waitcnt lgkmcnt(0)
	s_add_u32 s1, s42, s44
	s_addc_u32 s2, s43, s45
	s_abs_i32 s5, s18
	s_lshl_b64 s[42:43], s[30:31], 2
	v_cvt_f32_u32_e32 v1, s5
	s_sub_i32 s15, 0, s5
	v_rcp_iflag_f32_e32 v33, v1
	ds_read_b128 v[1:4], v77
	ds_read_b128 v[5:8], v77 offset:16
	ds_read_b128 v[9:12], v77 offset:32
	;; [unrolled: 1-line block ×7, first 2 shown]
	v_mul_f32_e32 v49, 0x4f7ffffe, v33
	ds_read_b128 v[33:36], v77 offset:128
	ds_read_b128 v[37:40], v77 offset:144
	;; [unrolled: 1-line block ×4, first 2 shown]
	v_cvt_u32_f32_e32 v100, v49
	ds_read_b128 v[49:52], v77 offset:192
	ds_read_b128 v[53:56], v77 offset:208
	;; [unrolled: 1-line block ×8, first 2 shown]
	v_mul_lo_u32 v98, s15, v100
	s_mov_b32 s15, 0
	v_mul_hi_u32 v84, v100, v98
	v_add_co_u32 v98, s1, s1, v83
	v_add_co_ci_u32_e64 v99, null, s2, 0, s1
	s_add_u32 s1, s28, s42
	s_addc_u32 s2, s29, s43
	v_add_co_u32 v81, s1, s1, v81
	v_add_co_ci_u32_e64 v82, null, s2, v82, s1
	v_add_nc_u32_e32 v100, v100, v84
	s_mov_b32 s42, s13
	s_branch .LBB47_12
.LBB47_11:                              ;   in Loop: Header=BB47_12 Depth=1
	s_or_b32 exec_lo, exec_lo, s2
	v_add_nc_u32_e32 v95, 4, v95
	v_add_co_u32 v81, s2, v81, 16
	v_add_co_ci_u32_e64 v82, null, 0, v82, s2
	v_cmp_le_i32_e64 s1, s16, v95
	v_add_nc_u32_e32 v92, 0x80, v92
	v_add_nc_u32_e32 v97, 0x200, v97
	s_or_b32 s15, s1, s15
	s_andn2_b32 exec_lo, exec_lo, s15
	s_cbranch_execz .LBB47_16
.LBB47_12:                              ; =>This Inner Loop Header: Depth=1
	v_sub_nc_u32_e32 v83, 0, v92
	v_max_i32_e32 v83, v92, v83
	v_mul_hi_u32 v84, v83, s12
	v_mul_lo_u32 v101, v84, s11
	v_sub_nc_u32_e32 v83, v83, v101
	v_add_nc_u32_e32 v101, 1, v84
	v_subrev_nc_u32_e32 v102, s11, v83
	v_cmp_le_u32_e64 s1, s11, v83
	v_cndmask_b32_e64 v84, v84, v101, s1
	v_cndmask_b32_e64 v83, v83, v102, s1
	v_ashrrev_i32_e32 v101, 31, v92
	v_add_nc_u32_e32 v102, 1, v84
	v_cmp_le_u32_e64 s1, s11, v83
	v_xor_b32_e32 v101, s19, v101
	v_cndmask_b32_e64 v83, v84, v102, s1
	v_xor_b32_e32 v83, v83, v101
	v_sub_nc_u32_e32 v83, v83, v101
	v_add_nc_u32_e32 v84, s33, v83
	v_cmp_ge_i32_e64 s2, s4, v83
	v_sub_nc_u32_e32 v101, 0, v84
	v_max_i32_e32 v101, v84, v101
	v_ashrrev_i32_e32 v84, 31, v84
	v_mul_hi_u32 v102, v101, v100
	v_mul_lo_u32 v102, v102, s5
	v_sub_nc_u32_e32 v101, v101, v102
	v_subrev_nc_u32_e32 v102, s5, v101
	v_cmp_le_u32_e64 s1, s5, v101
	v_cndmask_b32_e64 v101, v101, v102, s1
	v_subrev_nc_u32_e32 v102, s5, v101
	v_cmp_le_u32_e64 s1, s5, v101
	v_cndmask_b32_e64 v101, v101, v102, s1
	v_xor_b32_e32 v101, v101, v84
	v_sub_nc_u32_e32 v84, v101, v84
	v_cmp_ne_u32_e64 s1, 0, v84
	s_and_b32 s1, s1, s2
	s_and_saveexec_b32 s2, s1
	s_xor_b32 s1, exec_lo, s2
; %bb.13:                               ;   in Loop: Header=BB47_12 Depth=1
	ds_write_b32 v97, v93
; %bb.14:                               ;   in Loop: Header=BB47_12 Depth=1
	s_andn2_saveexec_b32 s2, s1
	s_cbranch_execz .LBB47_11
; %bb.15:                               ;   in Loop: Header=BB47_12 Depth=1
	global_load_dword v83, v[81:82], off
	s_waitcnt vmcnt(0)
	v_mad_i64_i32 v[83:84], null, v83, s42, 0
	v_lshlrev_b64 v[83:84], 2, v[83:84]
	v_add_co_u32 v83, s1, v98, v83
	v_add_co_ci_u32_e64 v84, null, v99, v84, s1
	v_add_co_u32 v109, s1, v83, 0x1000
	global_load_dwordx4 v[103:106], v[83:84], off offset:512
	v_add_co_ci_u32_e64 v110, null, 0, v84, s1
	v_add_co_u32 v111, s1, 0x800, v83
	v_add_co_ci_u32_e64 v112, null, 0, v84, s1
	s_waitcnt vmcnt(0) lgkmcnt(18)
	v_mul_f32_e32 v102, v7, v105
	v_mul_f32_e32 v101, v8, v106
	global_load_dwordx4 v[105:108], v[83:84], off
	v_mul_f32_e32 v103, v5, v103
	v_mul_f32_e32 v104, v6, v104
	s_waitcnt vmcnt(0)
	v_fmac_f32_e32 v103, v1, v105
	v_fmac_f32_e32 v104, v2, v106
	;; [unrolled: 1-line block ×4, first 2 shown]
	global_load_dwordx4 v[105:108], v[83:84], off offset:1024
	s_waitcnt vmcnt(0) lgkmcnt(17)
	v_fmac_f32_e32 v103, v9, v105
	v_fmac_f32_e32 v104, v10, v106
	;; [unrolled: 1-line block ×4, first 2 shown]
	global_load_dwordx4 v[105:108], v[83:84], off offset:1536
	s_waitcnt vmcnt(0) lgkmcnt(16)
	v_fmac_f32_e32 v103, v13, v105
	v_fmac_f32_e32 v104, v14, v106
	;; [unrolled: 1-line block ×4, first 2 shown]
	global_load_dwordx4 v[105:108], v[109:110], off offset:-2048
	s_waitcnt vmcnt(0) lgkmcnt(15)
	v_fmac_f32_e32 v103, v17, v105
	v_fmac_f32_e32 v104, v18, v106
	v_fmac_f32_e32 v102, v19, v107
	v_fmac_f32_e32 v101, v20, v108
	global_load_dwordx4 v[105:108], v[111:112], off offset:512
	s_waitcnt vmcnt(0) lgkmcnt(14)
	v_fmac_f32_e32 v103, v21, v105
	v_fmac_f32_e32 v104, v22, v106
	v_fmac_f32_e32 v102, v23, v107
	v_fmac_f32_e32 v101, v24, v108
	global_load_dwordx4 v[105:108], v[111:112], off offset:1024
	;; [unrolled: 6-line block ×3, first 2 shown]
	s_waitcnt vmcnt(0) lgkmcnt(12)
	v_fmac_f32_e32 v103, v29, v105
	v_fmac_f32_e32 v104, v30, v106
	;; [unrolled: 1-line block ×4, first 2 shown]
	global_load_dwordx4 v[105:108], v[109:110], off
	v_add_co_u32 v109, s1, 0x1000, v83
	v_add_co_ci_u32_e64 v110, null, 0, v84, s1
	s_waitcnt vmcnt(0) lgkmcnt(11)
	v_fmac_f32_e32 v103, v33, v105
	v_fmac_f32_e32 v104, v34, v106
	v_fmac_f32_e32 v102, v35, v107
	v_fmac_f32_e32 v101, v36, v108
	global_load_dwordx4 v[105:108], v[109:110], off offset:512
	s_waitcnt vmcnt(0) lgkmcnt(10)
	v_fmac_f32_e32 v103, v37, v105
	v_fmac_f32_e32 v104, v38, v106
	v_fmac_f32_e32 v102, v39, v107
	v_fmac_f32_e32 v101, v40, v108
	global_load_dwordx4 v[105:108], v[109:110], off offset:1024
	;; [unrolled: 6-line block ×3, first 2 shown]
	v_add_co_u32 v109, s1, v83, 0x2000
	v_add_co_ci_u32_e64 v110, null, 0, v84, s1
	v_add_co_u32 v111, s1, 0x1800, v83
	v_add_co_ci_u32_e64 v112, null, 0, v84, s1
	;; [unrolled: 2-line block ×3, first 2 shown]
	s_waitcnt vmcnt(0) lgkmcnt(8)
	v_fmac_f32_e32 v103, v45, v105
	v_fmac_f32_e32 v104, v46, v106
	;; [unrolled: 1-line block ×4, first 2 shown]
	global_load_dwordx4 v[105:108], v[109:110], off offset:-2048
	s_waitcnt vmcnt(0) lgkmcnt(7)
	v_fmac_f32_e32 v103, v49, v105
	v_fmac_f32_e32 v104, v50, v106
	v_fmac_f32_e32 v102, v51, v107
	v_fmac_f32_e32 v101, v52, v108
	global_load_dwordx4 v[105:108], v[111:112], off offset:512
	s_waitcnt vmcnt(0) lgkmcnt(6)
	v_fmac_f32_e32 v103, v53, v105
	v_fmac_f32_e32 v104, v54, v106
	v_fmac_f32_e32 v102, v55, v107
	v_fmac_f32_e32 v101, v56, v108
	global_load_dwordx4 v[105:108], v[111:112], off offset:1024
	;; [unrolled: 6-line block ×3, first 2 shown]
	s_waitcnt vmcnt(0) lgkmcnt(4)
	v_fmac_f32_e32 v103, v61, v105
	v_fmac_f32_e32 v104, v62, v106
	;; [unrolled: 1-line block ×4, first 2 shown]
	global_load_dwordx4 v[105:108], v[109:110], off
	s_waitcnt vmcnt(0) lgkmcnt(3)
	v_fmac_f32_e32 v103, v65, v105
	v_fmac_f32_e32 v104, v66, v106
	;; [unrolled: 1-line block ×4, first 2 shown]
	global_load_dwordx4 v[105:108], v[83:84], off offset:512
	s_waitcnt vmcnt(0) lgkmcnt(2)
	v_fmac_f32_e32 v103, v69, v105
	v_fmac_f32_e32 v104, v70, v106
	;; [unrolled: 1-line block ×4, first 2 shown]
	s_clause 0x1
	global_load_dwordx4 v[105:108], v[83:84], off offset:1024
	global_load_dwordx4 v[109:112], v[83:84], off offset:1536
	v_add_nc_u32_e32 v83, v96, v92
	v_cvt_f32_i32_e32 v83, v83
	v_mul_f32_e32 v83, s39, v83
	v_cndmask_b32_e32 v83, 0, v83, vcc_lo
	s_waitcnt vmcnt(1) lgkmcnt(1)
	v_fmac_f32_e32 v103, v73, v105
	v_fmac_f32_e32 v104, v74, v106
	;; [unrolled: 1-line block ×4, first 2 shown]
	s_waitcnt vmcnt(0) lgkmcnt(0)
	v_fmac_f32_e32 v103, v77, v109
	v_fmac_f32_e32 v104, v78, v110
	;; [unrolled: 1-line block ×4, first 2 shown]
	v_add_f32_e32 v84, v103, v104
	v_add_f32_e32 v84, v102, v84
	v_add_nc_u32_e32 v102, v89, v92
	v_add_f32_e32 v84, v101, v84
	v_max_f32_e32 v101, v91, v91
	v_cmp_gt_i32_e64 s1, s27, v102
	v_fmac_f32_e32 v83, s3, v84
	v_max_f32_e32 v84, v101, v83
	v_cndmask_b32_e64 v83, 0, v83, s1
	v_cndmask_b32_e64 v91, v91, v84, s1
	ds_write_b32 v97, v83
	s_branch .LBB47_11
.LBB47_16:
	s_or_b32 exec_lo, exec_lo, s15
.LBB47_17:
	s_or_b32 exec_lo, exec_lo, s41
	s_waitcnt lgkmcnt(19)
	v_mbcnt_lo_u32_b32 v1, -1, 0
	s_waitcnt lgkmcnt(18)
	v_max_f32_e32 v5, v91, v91
	v_xor_b32_e32 v2, 16, v1
	v_xor_b32_e32 v4, 8, v1
	v_cmp_gt_i32_e32 vcc_lo, 32, v2
	v_cndmask_b32_e32 v2, v1, v2, vcc_lo
	v_cmp_gt_i32_e32 vcc_lo, 32, v4
	v_lshlrev_b32_e32 v2, 2, v2
	v_cndmask_b32_e32 v4, v1, v4, vcc_lo
	ds_bpermute_b32 v3, v2, v91
	s_waitcnt lgkmcnt(0)
	v_max_f32_e32 v6, v3, v3
	v_lshlrev_b32_e32 v3, 2, v4
	v_max_f32_e32 v4, v5, v6
	v_xor_b32_e32 v6, 4, v1
	ds_bpermute_b32 v5, v3, v4
	v_cmp_gt_i32_e32 vcc_lo, 32, v6
	v_cndmask_b32_e32 v6, v1, v6, vcc_lo
	v_lshlrev_b32_e32 v93, 2, v6
	v_xor_b32_e32 v6, 2, v1
	v_cmp_gt_i32_e32 vcc_lo, 32, v6
	s_waitcnt lgkmcnt(0)
	v_max_f32_e32 v5, v5, v5
	v_cndmask_b32_e32 v6, v1, v6, vcc_lo
	v_max_f32_e32 v4, v4, v5
	v_lshlrev_b32_e32 v92, 2, v6
	v_xor_b32_e32 v6, 1, v1
	ds_bpermute_b32 v5, v93, v4
	v_cmp_gt_i32_e32 vcc_lo, 32, v6
	v_cndmask_b32_e32 v6, v1, v6, vcc_lo
	v_cmp_eq_u32_e32 vcc_lo, 0, v89
	v_lshlrev_b32_e32 v91, 2, v6
	s_waitcnt lgkmcnt(0)
	v_max_f32_e32 v5, v5, v5
	v_max_f32_e32 v4, v4, v5
	ds_bpermute_b32 v5, v92, v4
	s_waitcnt lgkmcnt(0)
	v_max_f32_e32 v5, v5, v5
	v_max_f32_e32 v1, v4, v5
	v_lshlrev_b32_e32 v5, 2, v88
	ds_bpermute_b32 v4, v91, v1
	s_and_saveexec_b32 s1, vcc_lo
	s_cbranch_execz .LBB47_19
; %bb.18:
	s_waitcnt lgkmcnt(0)
	v_max_f32_e32 v4, v4, v4
	v_max_f32_e32 v1, v1, v1
	;; [unrolled: 1-line block ×3, first 2 shown]
	ds_write_b32 v5, v1 offset:320
.LBB47_19:
	s_or_b32 exec_lo, exec_lo, s1
	v_cmp_gt_u32_e64 s1, 4, v89
	v_mov_b32_e32 v1, 0xff7fffff
	s_waitcnt lgkmcnt(0)
	s_barrier
	buffer_gl0_inv
	s_and_saveexec_b32 s2, s1
; %bb.20:
	ds_read_b32 v1, v94 offset:320
; %bb.21:
	s_or_b32 exec_lo, exec_lo, s2
	s_waitcnt lgkmcnt(0)
	ds_bpermute_b32 v4, v92, v1
	v_max_f32_e32 v1, v1, v1
	v_mov_b32_e32 v6, 0
	s_sub_i32 s2, s16, s40
	s_lshl_b32 s2, s2, 5
	s_add_i32 s2, s2, s37
	s_min_i32 s2, s2, s27
	s_sub_i32 s4, s2, s37
	v_cmp_gt_i32_e64 s2, s4, v0
	s_waitcnt lgkmcnt(0)
	v_max_f32_e32 v4, v4, v4
	v_max_f32_e32 v1, v1, v4
	ds_bpermute_b32 v4, v91, v1
	s_waitcnt lgkmcnt(0)
	v_max_f32_e32 v4, v4, v4
	v_max_f32_e32 v1, v1, v4
	v_lshl_add_u32 v4, v0, 2, 0x160
	ds_bpermute_b32 v1, v6, v1
	s_and_saveexec_b32 s5, s2
	s_cbranch_execz .LBB47_25
; %bb.22:
	v_lshl_add_u32 v7, v0, 2, 0x160
	v_mov_b32_e32 v6, 0
	v_mov_b32_e32 v8, v0
	s_mov_b32 s15, 0
	.p2align	6
.LBB47_23:                              ; =>This Inner Loop Header: Depth=1
	ds_read_b32 v9, v7
	v_add_nc_u32_e32 v8, 0x80, v8
	v_cmp_le_i32_e64 s3, s4, v8
	s_or_b32 s15, s3, s15
	s_waitcnt lgkmcnt(0)
	v_sub_f32_e32 v9, v9, v1
	v_mul_f32_e32 v9, 0x3fb8aa3b, v9
	v_exp_f32_e32 v9, v9
	ds_write_b32 v7, v9
	v_add_f32_e32 v6, v6, v9
	v_add_nc_u32_e32 v7, 0x200, v7
	s_andn2_b32 exec_lo, exec_lo, s15
	s_cbranch_execnz .LBB47_23
; %bb.24:
	s_or_b32 exec_lo, exec_lo, s15
.LBB47_25:
	s_or_b32 exec_lo, exec_lo, s5
	ds_bpermute_b32 v2, v2, v6
	s_waitcnt lgkmcnt(0)
	v_add_f32_e32 v2, v6, v2
	ds_bpermute_b32 v3, v3, v2
	s_waitcnt lgkmcnt(0)
	v_add_f32_e32 v2, v2, v3
	;; [unrolled: 3-line block ×5, first 2 shown]
	s_and_saveexec_b32 s3, vcc_lo
; %bb.26:
	ds_write_b32 v5, v2 offset:336
; %bb.27:
	s_or_b32 exec_lo, exec_lo, s3
	s_waitcnt lgkmcnt(0)
	s_barrier
	buffer_gl0_inv
	s_and_saveexec_b32 s3, s1
; %bb.28:
	ds_read_b32 v2, v94 offset:336
; %bb.29:
	s_or_b32 exec_lo, exec_lo, s3
	s_waitcnt lgkmcnt(0)
	ds_bpermute_b32 v3, v92, v2
	s_waitcnt lgkmcnt(0)
	v_add_f32_e32 v2, v2, v3
	ds_bpermute_b32 v3, v91, v2
	s_waitcnt lgkmcnt(0)
	v_add_f32_e32 v2, v2, v3
	v_mov_b32_e32 v3, 0
	ds_bpermute_b32 v2, v3, v2
	s_and_saveexec_b32 s1, s2
	s_cbranch_execz .LBB47_32
; %bb.30:
	s_waitcnt lgkmcnt(0)
	v_add_f32_e32 v3, 0x358637bd, v2
	s_mov_b32 s2, 0
	v_div_scale_f32 v5, null, v3, v3, 1.0
	v_div_scale_f32 v8, vcc_lo, 1.0, v3, 1.0
	v_rcp_f32_e32 v6, v5
	v_fma_f32 v7, -v5, v6, 1.0
	v_fmac_f32_e32 v6, v7, v6
	v_mul_f32_e32 v7, v8, v6
	v_fma_f32 v9, -v5, v7, v8
	v_fmac_f32_e32 v7, v9, v6
	v_fma_f32 v5, -v5, v7, v8
	v_div_fmas_f32 v5, v5, v6, v7
	v_div_fixup_f32 v3, v5, v3, 1.0
	v_mov_b32_e32 v5, v0
.LBB47_31:                              ; =>This Inner Loop Header: Depth=1
	ds_read_b32 v6, v4
	v_add_nc_u32_e32 v5, 0x80, v5
	v_cmp_le_i32_e32 vcc_lo, s4, v5
	s_or_b32 s2, vcc_lo, s2
	s_waitcnt lgkmcnt(0)
	v_mul_f32_e32 v6, v3, v6
	ds_write_b32 v4, v6
	v_add_nc_u32_e32 v4, 0x200, v4
	s_andn2_b32 exec_lo, exec_lo, s2
	s_cbranch_execnz .LBB47_31
.LBB47_32:
	s_or_b32 exec_lo, exec_lo, s1
	s_mul_i32 s1, s7, s26
	s_waitcnt lgkmcnt(0)
	s_mul_i32 s2, s1, s9
	s_mov_b32 s1, exec_lo
	s_barrier
	buffer_gl0_inv
	v_cmpx_eq_u32_e32 0, v0
	s_cbranch_execz .LBB47_34
; %bb.33:
	s_ashr_i32 s3, s2, 31
	s_mul_i32 s40, s7, s6
	s_lshl_b64 s[4:5], s[2:3], 2
	v_mov_b32_e32 v3, 0
	s_add_u32 s3, s22, s4
	s_addc_u32 s6, s23, s5
	s_ashr_i32 s41, s40, 31
	s_lshl_b64 s[22:23], s[40:41], 2
	s_add_u32 s3, s3, s22
	s_addc_u32 s6, s6, s23
	s_ashr_i32 s9, s8, 31
	s_lshl_b64 s[40:41], s[8:9], 2
	s_add_u32 s42, s3, s40
	s_addc_u32 s43, s6, s41
	s_add_u32 s3, s20, s4
	s_addc_u32 s4, s21, s5
	s_add_u32 s3, s3, s22
	s_addc_u32 s5, s4, s23
	s_add_u32 s4, s3, s40
	s_addc_u32 s5, s5, s41
	global_store_dword v3, v1, s[42:43]
	global_store_dword v3, v2, s[4:5]
.LBB47_34:
	s_or_b32 exec_lo, exec_lo, s1
	v_mov_b32_e32 v113, 0
	v_and_b32_e32 v94, 7, v0
	v_mov_b32_e32 v114, 0
	v_mov_b32_e32 v112, 0
	;; [unrolled: 1-line block ×19, first 2 shown]
	s_and_saveexec_b32 s1, s0
	s_cbranch_execz .LBB47_80
; %bb.35:
	s_ashr_i32 s15, s14, 31
	s_sub_i32 s3, s38, s17
	s_lshl_b64 s[4:5], s[14:15], 2
	v_lshlrev_b32_e32 v3, 2, v0
	s_add_u32 s0, s34, s4
	s_addc_u32 s6, s35, s5
	s_abs_i32 s4, s18
	v_and_b32_e32 v5, 0x1f0, v87
	v_cvt_f32_u32_e32 v4, s4
	s_sub_i32 s5, 0, s4
	v_and_b32_e32 v115, 28, v3
	v_lshlrev_b32_e32 v6, 4, v94
	v_lshlrev_b64 v[1:2], 2, v[85:86]
	v_rcp_iflag_f32_e32 v4, v4
	s_lshl_b64 s[14:15], s[30:31], 2
	v_add_co_u32 v116, s0, s0, v5
	v_lshl_or_b32 v6, v88, 7, v6
	v_add_co_ci_u32_e64 v117, null, s6, 0, s0
	v_mov_b32_e32 v95, 0
	v_mov_b32_e32 v96, 0
	;; [unrolled: 1-line block ×3, first 2 shown]
	v_mul_f32_e32 v4, 0x4f7ffffe, v4
	v_mov_b32_e32 v98, 0
	v_mov_b32_e32 v99, 0
	;; [unrolled: 1-line block ×4, first 2 shown]
	v_cvt_u32_f32_e32 v4, v4
	v_mov_b32_e32 v102, 0
	v_mov_b32_e32 v103, 0
	v_mov_b32_e32 v104, 0
	v_mov_b32_e32 v105, 0
	v_mul_lo_u32 v3, s5, v4
	s_add_i32 s5, s36, -1
	s_add_u32 s0, s28, s14
	s_addc_u32 s6, s29, s15
	v_add_co_u32 v86, vcc_lo, s0, v1
	v_mov_b32_e32 v106, 0
	v_mov_b32_e32 v107, 0
	v_mul_hi_u32 v3, v4, v3
	v_mov_b32_e32 v108, 0
	v_mov_b32_e32 v109, 0
	;; [unrolled: 1-line block ×3, first 2 shown]
	v_add_nc_u32_e32 v118, 0x160, v6
	v_add_co_ci_u32_e64 v87, null, s6, v2, vcc_lo
	v_mov_b32_e32 v111, 0
	v_add_nc_u32_e32 v119, v4, v3
	v_mov_b32_e32 v112, 0
	v_mov_b32_e32 v114, 0
	;; [unrolled: 1-line block ×3, first 2 shown]
	s_mov_b32 s9, s13
	s_mov_b32 s6, 0
	s_branch .LBB47_38
.LBB47_36:                              ;   in Loop: Header=BB47_38 Depth=1
	s_or_b32 exec_lo, exec_lo, s0
	s_waitcnt vmcnt(1) lgkmcnt(0)
	v_mul_f32_e32 v81, v1, v81
	v_mul_f32_e32 v77, v1, v77
	;; [unrolled: 1-line block ×19, first 2 shown]
	s_waitcnt vmcnt(0)
	v_mul_f32_e32 v1, v1, v65
	v_fmac_f32_e32 v81, v2, v82
	v_fmac_f32_e32 v77, v2, v78
	;; [unrolled: 1-line block ×60, first 2 shown]
	v_add_f32_e32 v96, v96, v81
	v_add_f32_e32 v97, v97, v77
	;; [unrolled: 1-line block ×20, first 2 shown]
.LBB47_37:                              ;   in Loop: Header=BB47_38 Depth=1
	s_or_b32 exec_lo, exec_lo, s13
	v_add_nc_u32_e32 v85, 4, v85
	v_add_co_u32 v86, s0, v86, 16
	v_add_co_ci_u32_e64 v87, null, 0, v87, s0
	v_cmp_le_i32_e32 vcc_lo, s16, v85
	v_add_nc_u32_e32 v90, 0x80, v90
	v_add_nc_u32_e32 v118, 0x200, v118
	s_or_b32 s6, vcc_lo, s6
	s_andn2_b32 exec_lo, exec_lo, s6
	s_cbranch_execz .LBB47_79
.LBB47_38:                              ; =>This Inner Loop Header: Depth=1
	v_sub_nc_u32_e32 v1, 0, v90
	v_max_i32_e32 v1, v90, v1
	v_mul_hi_u32 v2, v1, s12
	v_mul_lo_u32 v3, v2, s11
	v_sub_nc_u32_e32 v1, v1, v3
	v_add_nc_u32_e32 v3, 1, v2
	v_subrev_nc_u32_e32 v4, s11, v1
	v_cmp_le_u32_e32 vcc_lo, s11, v1
	v_cndmask_b32_e32 v2, v2, v3, vcc_lo
	v_cndmask_b32_e32 v1, v1, v4, vcc_lo
	v_ashrrev_i32_e32 v3, 31, v90
	v_add_nc_u32_e32 v4, 1, v2
	v_cmp_le_u32_e32 vcc_lo, s11, v1
	v_xor_b32_e32 v3, s19, v3
	v_cndmask_b32_e32 v1, v2, v4, vcc_lo
	v_xor_b32_e32 v1, v1, v3
	v_sub_nc_u32_e32 v1, v1, v3
	v_add_nc_u32_e32 v2, s33, v1
	v_cmp_lt_i32_e64 s0, s3, v1
	v_sub_nc_u32_e32 v3, 0, v2
	v_max_i32_e32 v3, v2, v3
	v_ashrrev_i32_e32 v2, 31, v2
	v_mul_hi_u32 v4, v3, v119
	v_mul_lo_u32 v4, v4, s4
	v_sub_nc_u32_e32 v3, v3, v4
	v_subrev_nc_u32_e32 v4, s4, v3
	v_cmp_le_u32_e32 vcc_lo, s4, v3
	v_cndmask_b32_e32 v3, v3, v4, vcc_lo
	v_subrev_nc_u32_e32 v4, s4, v3
	v_cmp_le_u32_e32 vcc_lo, s4, v3
	v_cndmask_b32_e32 v3, v3, v4, vcc_lo
	v_xor_b32_e32 v3, v3, v2
	v_sub_nc_u32_e32 v2, v3, v2
	v_cmp_eq_u32_e32 vcc_lo, 0, v2
	s_or_b32 s0, vcc_lo, s0
	s_and_saveexec_b32 s13, s0
	s_cbranch_execz .LBB47_37
; %bb.39:                               ;   in Loop: Header=BB47_38 Depth=1
	global_load_dword v1, v[86:87], off
	v_add_nc_u32_e32 v120, v115, v90
	v_add_nc_u32_e32 v123, 1, v120
	;; [unrolled: 1-line block ×4, first 2 shown]
	s_waitcnt vmcnt(0)
	v_mad_i64_i32 v[1:2], null, v1, s9, 0
	v_lshlrev_b64 v[1:2], 2, v[1:2]
	v_add_co_u32 v65, vcc_lo, v116, v1
	v_add_co_ci_u32_e64 v66, null, v117, v2, vcc_lo
	ds_read_b128 v[1:4], v118
	v_cmp_eq_u32_e32 vcc_lo, s5, v85
	global_load_dwordx4 v[5:8], v[65:66], off
	s_and_saveexec_b32 s14, vcc_lo
	s_cbranch_execnz .LBB47_63
; %bb.40:                               ;   in Loop: Header=BB47_38 Depth=1
	s_or_b32 exec_lo, exec_lo, s14
	global_load_dwordx4 v[9:12], v[65:66], off offset:512
	s_and_saveexec_b32 s14, vcc_lo
	s_cbranch_execnz .LBB47_64
.LBB47_41:                              ;   in Loop: Header=BB47_38 Depth=1
	s_or_b32 exec_lo, exec_lo, s14
	global_load_dwordx4 v[13:16], v[65:66], off offset:1024
	s_and_saveexec_b32 s14, vcc_lo
	s_cbranch_execnz .LBB47_65
.LBB47_42:                              ;   in Loop: Header=BB47_38 Depth=1
	s_or_b32 exec_lo, exec_lo, s14
	global_load_dwordx4 v[17:20], v[65:66], off offset:1536
	s_and_saveexec_b32 s14, vcc_lo
	s_cbranch_execz .LBB47_44
.LBB47_43:                              ;   in Loop: Header=BB47_38 Depth=1
	v_cmp_gt_i32_e64 s0, s27, v120
	s_waitcnt vmcnt(0)
	v_cndmask_b32_e64 v17, 0, v17, s0
	v_cmp_gt_i32_e64 s0, s27, v123
	v_cndmask_b32_e64 v18, 0, v18, s0
	v_cmp_gt_i32_e64 s0, s27, v122
	;; [unrolled: 2-line block ×3, first 2 shown]
	v_cndmask_b32_e64 v20, 0, v20, s0
.LBB47_44:                              ;   in Loop: Header=BB47_38 Depth=1
	s_or_b32 exec_lo, exec_lo, s14
	v_add_co_u32 v33, s0, 0x800, v65
	v_add_co_ci_u32_e64 v34, null, 0, v66, s0
	global_load_dwordx4 v[21:24], v[33:34], off
	s_and_saveexec_b32 s14, vcc_lo
	s_cbranch_execnz .LBB47_66
; %bb.45:                               ;   in Loop: Header=BB47_38 Depth=1
	s_or_b32 exec_lo, exec_lo, s14
	global_load_dwordx4 v[25:28], v[33:34], off offset:512
	s_and_saveexec_b32 s14, vcc_lo
	s_cbranch_execnz .LBB47_67
.LBB47_46:                              ;   in Loop: Header=BB47_38 Depth=1
	s_or_b32 exec_lo, exec_lo, s14
	global_load_dwordx4 v[29:32], v[33:34], off offset:1024
	s_and_saveexec_b32 s14, vcc_lo
	s_cbranch_execnz .LBB47_68
.LBB47_47:                              ;   in Loop: Header=BB47_38 Depth=1
	s_or_b32 exec_lo, exec_lo, s14
	global_load_dwordx4 v[33:36], v[33:34], off offset:1536
	s_and_saveexec_b32 s14, vcc_lo
	s_cbranch_execz .LBB47_49
.LBB47_48:                              ;   in Loop: Header=BB47_38 Depth=1
	v_cmp_gt_i32_e64 s0, s27, v120
	s_waitcnt vmcnt(0)
	v_cndmask_b32_e64 v33, 0, v33, s0
	v_cmp_gt_i32_e64 s0, s27, v123
	v_cndmask_b32_e64 v34, 0, v34, s0
	v_cmp_gt_i32_e64 s0, s27, v122
	;; [unrolled: 2-line block ×3, first 2 shown]
	v_cndmask_b32_e64 v36, 0, v36, s0
.LBB47_49:                              ;   in Loop: Header=BB47_38 Depth=1
	s_or_b32 exec_lo, exec_lo, s14
	v_add_co_u32 v49, s0, 0x1000, v65
	v_add_co_ci_u32_e64 v50, null, 0, v66, s0
	global_load_dwordx4 v[37:40], v[49:50], off
	s_and_saveexec_b32 s14, vcc_lo
	s_cbranch_execnz .LBB47_69
; %bb.50:                               ;   in Loop: Header=BB47_38 Depth=1
	s_or_b32 exec_lo, exec_lo, s14
	global_load_dwordx4 v[41:44], v[49:50], off offset:512
	s_and_saveexec_b32 s14, vcc_lo
	s_cbranch_execnz .LBB47_70
.LBB47_51:                              ;   in Loop: Header=BB47_38 Depth=1
	s_or_b32 exec_lo, exec_lo, s14
	global_load_dwordx4 v[45:48], v[49:50], off offset:1024
	s_and_saveexec_b32 s14, vcc_lo
	s_cbranch_execnz .LBB47_71
.LBB47_52:                              ;   in Loop: Header=BB47_38 Depth=1
	s_or_b32 exec_lo, exec_lo, s14
	global_load_dwordx4 v[49:52], v[49:50], off offset:1536
	s_and_saveexec_b32 s14, vcc_lo
	s_cbranch_execz .LBB47_54
.LBB47_53:                              ;   in Loop: Header=BB47_38 Depth=1
	v_cmp_gt_i32_e64 s0, s27, v120
	s_waitcnt vmcnt(0)
	v_cndmask_b32_e64 v49, 0, v49, s0
	v_cmp_gt_i32_e64 s0, s27, v123
	v_cndmask_b32_e64 v50, 0, v50, s0
	v_cmp_gt_i32_e64 s0, s27, v122
	v_cndmask_b32_e64 v51, 0, v51, s0
	v_cmp_gt_i32_e64 s0, s27, v121
	v_cndmask_b32_e64 v52, 0, v52, s0
.LBB47_54:                              ;   in Loop: Header=BB47_38 Depth=1
	s_or_b32 exec_lo, exec_lo, s14
	v_add_co_u32 v67, s0, 0x1800, v65
	v_add_co_ci_u32_e64 v68, null, 0, v66, s0
	global_load_dwordx4 v[53:56], v[67:68], off
	s_and_saveexec_b32 s14, vcc_lo
	s_cbranch_execnz .LBB47_72
; %bb.55:                               ;   in Loop: Header=BB47_38 Depth=1
	s_or_b32 exec_lo, exec_lo, s14
	global_load_dwordx4 v[57:60], v[67:68], off offset:512
	s_and_saveexec_b32 s14, vcc_lo
	s_cbranch_execnz .LBB47_73
.LBB47_56:                              ;   in Loop: Header=BB47_38 Depth=1
	s_or_b32 exec_lo, exec_lo, s14
	global_load_dwordx4 v[61:64], v[67:68], off offset:1024
	s_and_saveexec_b32 s14, vcc_lo
	s_cbranch_execnz .LBB47_74
.LBB47_57:                              ;   in Loop: Header=BB47_38 Depth=1
	s_or_b32 exec_lo, exec_lo, s14
	global_load_dwordx4 v[69:72], v[67:68], off offset:1536
	s_and_saveexec_b32 s14, vcc_lo
	s_cbranch_execz .LBB47_59
.LBB47_58:                              ;   in Loop: Header=BB47_38 Depth=1
	v_cmp_gt_i32_e64 s0, s27, v120
	s_waitcnt vmcnt(0)
	v_cndmask_b32_e64 v69, 0, v69, s0
	v_cmp_gt_i32_e64 s0, s27, v123
	v_cndmask_b32_e64 v70, 0, v70, s0
	v_cmp_gt_i32_e64 s0, s27, v122
	;; [unrolled: 2-line block ×3, first 2 shown]
	v_cndmask_b32_e64 v72, 0, v72, s0
.LBB47_59:                              ;   in Loop: Header=BB47_38 Depth=1
	s_or_b32 exec_lo, exec_lo, s14
	v_add_co_u32 v65, s0, 0x2000, v65
	v_add_co_ci_u32_e64 v66, null, 0, v66, s0
	global_load_dwordx4 v[73:76], v[65:66], off
	s_and_saveexec_b32 s14, vcc_lo
	s_cbranch_execnz .LBB47_75
; %bb.60:                               ;   in Loop: Header=BB47_38 Depth=1
	s_or_b32 exec_lo, exec_lo, s14
	global_load_dwordx4 v[77:80], v[65:66], off offset:512
	s_and_saveexec_b32 s14, vcc_lo
	s_cbranch_execnz .LBB47_76
.LBB47_61:                              ;   in Loop: Header=BB47_38 Depth=1
	s_or_b32 exec_lo, exec_lo, s14
	global_load_dwordx4 v[81:84], v[65:66], off offset:1024
	s_and_saveexec_b32 s14, vcc_lo
	s_cbranch_execnz .LBB47_77
.LBB47_62:                              ;   in Loop: Header=BB47_38 Depth=1
	s_or_b32 exec_lo, exec_lo, s14
	global_load_dwordx4 v[65:68], v[65:66], off offset:1536
	s_and_saveexec_b32 s0, vcc_lo
	s_cbranch_execz .LBB47_36
	s_branch .LBB47_78
.LBB47_63:                              ;   in Loop: Header=BB47_38 Depth=1
	v_cmp_gt_i32_e64 s0, s27, v120
	s_waitcnt vmcnt(0)
	v_cndmask_b32_e64 v5, 0, v5, s0
	v_cmp_gt_i32_e64 s0, s27, v123
	v_cndmask_b32_e64 v6, 0, v6, s0
	v_cmp_gt_i32_e64 s0, s27, v122
	;; [unrolled: 2-line block ×3, first 2 shown]
	v_cndmask_b32_e64 v8, 0, v8, s0
	s_or_b32 exec_lo, exec_lo, s14
	global_load_dwordx4 v[9:12], v[65:66], off offset:512
	s_and_saveexec_b32 s14, vcc_lo
	s_cbranch_execz .LBB47_41
.LBB47_64:                              ;   in Loop: Header=BB47_38 Depth=1
	v_cmp_gt_i32_e64 s0, s27, v120
	s_waitcnt vmcnt(0)
	v_cndmask_b32_e64 v9, 0, v9, s0
	v_cmp_gt_i32_e64 s0, s27, v123
	v_cndmask_b32_e64 v10, 0, v10, s0
	v_cmp_gt_i32_e64 s0, s27, v122
	;; [unrolled: 2-line block ×3, first 2 shown]
	v_cndmask_b32_e64 v12, 0, v12, s0
	s_or_b32 exec_lo, exec_lo, s14
	global_load_dwordx4 v[13:16], v[65:66], off offset:1024
	s_and_saveexec_b32 s14, vcc_lo
	s_cbranch_execz .LBB47_42
.LBB47_65:                              ;   in Loop: Header=BB47_38 Depth=1
	v_cmp_gt_i32_e64 s0, s27, v120
	s_waitcnt vmcnt(0)
	v_cndmask_b32_e64 v13, 0, v13, s0
	v_cmp_gt_i32_e64 s0, s27, v123
	v_cndmask_b32_e64 v14, 0, v14, s0
	v_cmp_gt_i32_e64 s0, s27, v122
	;; [unrolled: 2-line block ×3, first 2 shown]
	v_cndmask_b32_e64 v16, 0, v16, s0
	s_or_b32 exec_lo, exec_lo, s14
	global_load_dwordx4 v[17:20], v[65:66], off offset:1536
	s_and_saveexec_b32 s14, vcc_lo
	s_cbranch_execnz .LBB47_43
	s_branch .LBB47_44
.LBB47_66:                              ;   in Loop: Header=BB47_38 Depth=1
	v_cmp_gt_i32_e64 s0, s27, v120
	s_waitcnt vmcnt(0)
	v_cndmask_b32_e64 v21, 0, v21, s0
	v_cmp_gt_i32_e64 s0, s27, v123
	v_cndmask_b32_e64 v22, 0, v22, s0
	v_cmp_gt_i32_e64 s0, s27, v122
	;; [unrolled: 2-line block ×3, first 2 shown]
	v_cndmask_b32_e64 v24, 0, v24, s0
	s_or_b32 exec_lo, exec_lo, s14
	global_load_dwordx4 v[25:28], v[33:34], off offset:512
	s_and_saveexec_b32 s14, vcc_lo
	s_cbranch_execz .LBB47_46
.LBB47_67:                              ;   in Loop: Header=BB47_38 Depth=1
	v_cmp_gt_i32_e64 s0, s27, v120
	s_waitcnt vmcnt(0)
	v_cndmask_b32_e64 v25, 0, v25, s0
	v_cmp_gt_i32_e64 s0, s27, v123
	v_cndmask_b32_e64 v26, 0, v26, s0
	v_cmp_gt_i32_e64 s0, s27, v122
	;; [unrolled: 2-line block ×3, first 2 shown]
	v_cndmask_b32_e64 v28, 0, v28, s0
	s_or_b32 exec_lo, exec_lo, s14
	global_load_dwordx4 v[29:32], v[33:34], off offset:1024
	s_and_saveexec_b32 s14, vcc_lo
	s_cbranch_execz .LBB47_47
.LBB47_68:                              ;   in Loop: Header=BB47_38 Depth=1
	v_cmp_gt_i32_e64 s0, s27, v120
	s_waitcnt vmcnt(0)
	v_cndmask_b32_e64 v29, 0, v29, s0
	v_cmp_gt_i32_e64 s0, s27, v123
	v_cndmask_b32_e64 v30, 0, v30, s0
	v_cmp_gt_i32_e64 s0, s27, v122
	;; [unrolled: 2-line block ×3, first 2 shown]
	v_cndmask_b32_e64 v32, 0, v32, s0
	s_or_b32 exec_lo, exec_lo, s14
	global_load_dwordx4 v[33:36], v[33:34], off offset:1536
	s_and_saveexec_b32 s14, vcc_lo
	s_cbranch_execnz .LBB47_48
	s_branch .LBB47_49
.LBB47_69:                              ;   in Loop: Header=BB47_38 Depth=1
	v_cmp_gt_i32_e64 s0, s27, v120
	s_waitcnt vmcnt(0)
	v_cndmask_b32_e64 v37, 0, v37, s0
	v_cmp_gt_i32_e64 s0, s27, v123
	v_cndmask_b32_e64 v38, 0, v38, s0
	v_cmp_gt_i32_e64 s0, s27, v122
	;; [unrolled: 2-line block ×3, first 2 shown]
	v_cndmask_b32_e64 v40, 0, v40, s0
	s_or_b32 exec_lo, exec_lo, s14
	global_load_dwordx4 v[41:44], v[49:50], off offset:512
	s_and_saveexec_b32 s14, vcc_lo
	s_cbranch_execz .LBB47_51
.LBB47_70:                              ;   in Loop: Header=BB47_38 Depth=1
	v_cmp_gt_i32_e64 s0, s27, v120
	s_waitcnt vmcnt(0)
	v_cndmask_b32_e64 v41, 0, v41, s0
	v_cmp_gt_i32_e64 s0, s27, v123
	v_cndmask_b32_e64 v42, 0, v42, s0
	v_cmp_gt_i32_e64 s0, s27, v122
	;; [unrolled: 2-line block ×3, first 2 shown]
	v_cndmask_b32_e64 v44, 0, v44, s0
	s_or_b32 exec_lo, exec_lo, s14
	global_load_dwordx4 v[45:48], v[49:50], off offset:1024
	s_and_saveexec_b32 s14, vcc_lo
	s_cbranch_execz .LBB47_52
.LBB47_71:                              ;   in Loop: Header=BB47_38 Depth=1
	v_cmp_gt_i32_e64 s0, s27, v120
	s_waitcnt vmcnt(0)
	v_cndmask_b32_e64 v45, 0, v45, s0
	v_cmp_gt_i32_e64 s0, s27, v123
	v_cndmask_b32_e64 v46, 0, v46, s0
	v_cmp_gt_i32_e64 s0, s27, v122
	v_cndmask_b32_e64 v47, 0, v47, s0
	v_cmp_gt_i32_e64 s0, s27, v121
	v_cndmask_b32_e64 v48, 0, v48, s0
	s_or_b32 exec_lo, exec_lo, s14
	global_load_dwordx4 v[49:52], v[49:50], off offset:1536
	s_and_saveexec_b32 s14, vcc_lo
	s_cbranch_execnz .LBB47_53
	s_branch .LBB47_54
.LBB47_72:                              ;   in Loop: Header=BB47_38 Depth=1
	v_cmp_gt_i32_e64 s0, s27, v120
	s_waitcnt vmcnt(0)
	v_cndmask_b32_e64 v53, 0, v53, s0
	v_cmp_gt_i32_e64 s0, s27, v123
	v_cndmask_b32_e64 v54, 0, v54, s0
	v_cmp_gt_i32_e64 s0, s27, v122
	;; [unrolled: 2-line block ×3, first 2 shown]
	v_cndmask_b32_e64 v56, 0, v56, s0
	s_or_b32 exec_lo, exec_lo, s14
	global_load_dwordx4 v[57:60], v[67:68], off offset:512
	s_and_saveexec_b32 s14, vcc_lo
	s_cbranch_execz .LBB47_56
.LBB47_73:                              ;   in Loop: Header=BB47_38 Depth=1
	v_cmp_gt_i32_e64 s0, s27, v120
	s_waitcnt vmcnt(0)
	v_cndmask_b32_e64 v57, 0, v57, s0
	v_cmp_gt_i32_e64 s0, s27, v123
	v_cndmask_b32_e64 v58, 0, v58, s0
	v_cmp_gt_i32_e64 s0, s27, v122
	;; [unrolled: 2-line block ×3, first 2 shown]
	v_cndmask_b32_e64 v60, 0, v60, s0
	s_or_b32 exec_lo, exec_lo, s14
	global_load_dwordx4 v[61:64], v[67:68], off offset:1024
	s_and_saveexec_b32 s14, vcc_lo
	s_cbranch_execz .LBB47_57
.LBB47_74:                              ;   in Loop: Header=BB47_38 Depth=1
	v_cmp_gt_i32_e64 s0, s27, v120
	s_waitcnt vmcnt(0)
	v_cndmask_b32_e64 v61, 0, v61, s0
	v_cmp_gt_i32_e64 s0, s27, v123
	v_cndmask_b32_e64 v62, 0, v62, s0
	v_cmp_gt_i32_e64 s0, s27, v122
	v_cndmask_b32_e64 v63, 0, v63, s0
	v_cmp_gt_i32_e64 s0, s27, v121
	v_cndmask_b32_e64 v64, 0, v64, s0
	s_or_b32 exec_lo, exec_lo, s14
	global_load_dwordx4 v[69:72], v[67:68], off offset:1536
	s_and_saveexec_b32 s14, vcc_lo
	s_cbranch_execnz .LBB47_58
	s_branch .LBB47_59
.LBB47_75:                              ;   in Loop: Header=BB47_38 Depth=1
	v_cmp_gt_i32_e64 s0, s27, v120
	s_waitcnt vmcnt(0)
	v_cndmask_b32_e64 v73, 0, v73, s0
	v_cmp_gt_i32_e64 s0, s27, v123
	v_cndmask_b32_e64 v74, 0, v74, s0
	v_cmp_gt_i32_e64 s0, s27, v122
	v_cndmask_b32_e64 v75, 0, v75, s0
	v_cmp_gt_i32_e64 s0, s27, v121
	v_cndmask_b32_e64 v76, 0, v76, s0
	s_or_b32 exec_lo, exec_lo, s14
	global_load_dwordx4 v[77:80], v[65:66], off offset:512
	s_and_saveexec_b32 s14, vcc_lo
	s_cbranch_execz .LBB47_61
.LBB47_76:                              ;   in Loop: Header=BB47_38 Depth=1
	v_cmp_gt_i32_e64 s0, s27, v120
	s_waitcnt vmcnt(0)
	v_cndmask_b32_e64 v77, 0, v77, s0
	v_cmp_gt_i32_e64 s0, s27, v123
	v_cndmask_b32_e64 v78, 0, v78, s0
	v_cmp_gt_i32_e64 s0, s27, v122
	;; [unrolled: 2-line block ×3, first 2 shown]
	v_cndmask_b32_e64 v80, 0, v80, s0
	s_or_b32 exec_lo, exec_lo, s14
	global_load_dwordx4 v[81:84], v[65:66], off offset:1024
	s_and_saveexec_b32 s14, vcc_lo
	s_cbranch_execz .LBB47_62
.LBB47_77:                              ;   in Loop: Header=BB47_38 Depth=1
	v_cmp_gt_i32_e64 s0, s27, v120
	s_waitcnt vmcnt(0)
	v_cndmask_b32_e64 v81, 0, v81, s0
	v_cmp_gt_i32_e64 s0, s27, v123
	v_cndmask_b32_e64 v82, 0, v82, s0
	v_cmp_gt_i32_e64 s0, s27, v122
	;; [unrolled: 2-line block ×3, first 2 shown]
	v_cndmask_b32_e64 v84, 0, v84, s0
	s_or_b32 exec_lo, exec_lo, s14
	global_load_dwordx4 v[65:68], v[65:66], off offset:1536
	s_and_saveexec_b32 s0, vcc_lo
	s_cbranch_execz .LBB47_36
.LBB47_78:                              ;   in Loop: Header=BB47_38 Depth=1
	v_cmp_gt_i32_e32 vcc_lo, s27, v120
	s_waitcnt vmcnt(0)
	v_cndmask_b32_e32 v65, 0, v65, vcc_lo
	v_cmp_gt_i32_e32 vcc_lo, s27, v123
	v_cndmask_b32_e32 v66, 0, v66, vcc_lo
	v_cmp_gt_i32_e32 vcc_lo, s27, v122
	;; [unrolled: 2-line block ×3, first 2 shown]
	v_cndmask_b32_e32 v68, 0, v68, vcc_lo
	s_branch .LBB47_36
.LBB47_79:
	s_or_b32 exec_lo, exec_lo, s6
.LBB47_80:
	s_or_b32 exec_lo, exec_lo, s1
	ds_bpermute_b32 v7, v93, v108
	ds_bpermute_b32 v8, v93, v107
	;; [unrolled: 1-line block ×19, first 2 shown]
	s_mov_b32 s0, exec_lo
	s_waitcnt lgkmcnt(18)
	v_add_f32_e32 v7, v108, v7
	s_waitcnt lgkmcnt(17)
	v_add_f32_e32 v8, v107, v8
	;; [unrolled: 2-line block ×5, first 2 shown]
	ds_bpermute_b32 v18, v92, v7
	ds_bpermute_b32 v27, v92, v8
	;; [unrolled: 1-line block ×4, first 2 shown]
	s_waitcnt lgkmcnt(17)
	v_add_f32_e32 v21, v101, v21
	s_waitcnt lgkmcnt(16)
	v_add_f32_e32 v1, v113, v1
	;; [unrolled: 2-line block ×6, first 2 shown]
	ds_bpermute_b32 v14, v92, v3
	s_waitcnt lgkmcnt(12)
	v_add_f32_e32 v11, v104, v11
	s_waitcnt lgkmcnt(11)
	v_add_f32_e32 v19, v103, v19
	;; [unrolled: 2-line block ×6, first 2 shown]
	ds_bpermute_b32 v33, v92, v21
	s_waitcnt lgkmcnt(7)
	v_add_f32_e32 v25, v97, v25
	s_waitcnt lgkmcnt(6)
	v_add_f32_e32 v26, v96, v26
	;; [unrolled: 2-line block ×3, first 2 shown]
	ds_bpermute_b32 v18, v93, v95
	ds_bpermute_b32 v12, v92, v1
	;; [unrolled: 1-line block ×6, first 2 shown]
	s_waitcnt lgkmcnt(10)
	v_add_f32_e32 v8, v8, v27
	ds_bpermute_b32 v27, v92, v11
	ds_bpermute_b32 v31, v92, v19
	;; [unrolled: 1-line block ×6, first 2 shown]
	s_waitcnt lgkmcnt(15)
	v_add_f32_e32 v9, v9, v28
	ds_bpermute_b32 v28, v92, v25
	s_waitcnt lgkmcnt(15)
	v_add_f32_e32 v10, v10, v29
	ds_bpermute_b32 v29, v92, v26
	s_waitcnt lgkmcnt(15)
	v_add_f32_e32 v3, v3, v14
	s_waitcnt lgkmcnt(14)
	v_add_f32_e32 v21, v21, v33
	ds_bpermute_b32 v30, v91, v7
	s_waitcnt lgkmcnt(14)
	v_add_f32_e32 v18, v95, v18
	s_waitcnt lgkmcnt(13)
	v_add_f32_e32 v1, v1, v12
	;; [unrolled: 2-line block ×5, first 2 shown]
	ds_bpermute_b32 v37, v92, v18
	s_waitcnt lgkmcnt(10)
	v_add_f32_e32 v6, v6, v17
	ds_bpermute_b32 v14, v91, v3
	s_waitcnt lgkmcnt(10)
	v_add_f32_e32 v11, v11, v27
	s_waitcnt lgkmcnt(9)
	v_add_f32_e32 v19, v19, v31
	;; [unrolled: 2-line block ×6, first 2 shown]
	ds_bpermute_b32 v34, v91, v21
	s_waitcnt lgkmcnt(5)
	v_add_f32_e32 v25, v25, v28
	s_waitcnt lgkmcnt(4)
	v_add_f32_e32 v26, v26, v29
	ds_bpermute_b32 v12, v91, v1
	ds_bpermute_b32 v13, v91, v2
	;; [unrolled: 1-line block ×8, first 2 shown]
	s_waitcnt lgkmcnt(10)
	v_add_f32_e32 v29, v18, v37
	ds_bpermute_b32 v39, v91, v11
	ds_bpermute_b32 v32, v91, v19
	;; [unrolled: 1-line block ×9, first 2 shown]
	s_waitcnt lgkmcnt(18)
	v_add_f32_e32 v3, v3, v14
	s_waitcnt lgkmcnt(17)
	v_add_f32_e32 v14, v21, v34
	v_lshrrev_b32_e32 v21, 3, v89
	s_waitcnt lgkmcnt(16)
	v_add_f32_e32 v1, v1, v12
	s_waitcnt lgkmcnt(15)
	v_add_f32_e32 v2, v2, v13
	s_waitcnt lgkmcnt(14)
	v_add_f32_e32 v4, v4, v15
	s_waitcnt lgkmcnt(13)
	v_add_f32_e32 v5, v5, v16
	s_waitcnt lgkmcnt(12)
	v_add_f32_e32 v6, v6, v17
	v_add_f32_e32 v7, v7, v30
	s_waitcnt lgkmcnt(11)
	v_add_f32_e32 v8, v8, v27
	s_waitcnt lgkmcnt(10)
	;; [unrolled: 2-line block ×10, first 2 shown]
	v_add_f32_e32 v18, v25, v18
	v_and_b32_e32 v24, 0x3c7, v0
	s_waitcnt lgkmcnt(1)
	v_add_f32_e32 v19, v26, v37
	s_waitcnt lgkmcnt(0)
	v_add_f32_e32 v20, v29, v40
	v_lshl_add_u32 v22, v21, 2, 0x160
	v_mul_u32_u24_e32 v23, 0x140, v88
	s_waitcnt_vscnt null, 0x0
	s_barrier
	buffer_gl0_inv
	v_cmpx_eq_u32_e32 64, v24
	s_cbranch_execz .LBB47_82
; %bb.81:
	v_add_nc_u32_e32 v24, v22, v23
	v_add_nc_u32_e32 v25, 0xfffffd80, v24
	v_add_nc_u32_e32 v26, 0xfffffd90, v24
	v_add_nc_u32_e32 v27, 0xfffffda0, v24
	v_add_nc_u32_e32 v28, 0xfffffdb0, v24
	v_add_nc_u32_e32 v29, 0xfffffdc0, v24
	ds_write_b32 v25, v1
	ds_write_b32 v26, v2
	ds_write_b32 v27, v3
	ds_write_b32 v28, v4
	ds_write_b32 v29, v5
	v_add_nc_u32_e32 v25, 0xfffffdd0, v24
	v_add_nc_u32_e32 v26, 0xfffffde0, v24
	v_add_nc_u32_e32 v27, 0xfffffdf0, v24
	v_add_nc_u32_e32 v28, 0xfffffe00, v24
	v_add_nc_u32_e32 v29, 0xfffffe10, v24
	ds_write_b32 v25, v6
	ds_write_b32 v26, v7
	ds_write_b32 v27, v8
	ds_write_b32 v28, v9
	ds_write_b32 v29, v10
	v_add_nc_u32_e32 v25, 0xfffffe20, v24
	v_add_nc_u32_e32 v26, 0xfffffe30, v24
	v_add_nc_u32_e32 v27, 0xfffffe40, v24
	v_add_nc_u32_e32 v28, 0xfffffe50, v24
	v_add_nc_u32_e32 v29, 0xfffffe60, v24
	;; [unrolled: 10-line block ×3, first 2 shown]
	ds_write_b32 v25, v16
	ds_write_b32 v26, v17
	;; [unrolled: 1-line block ×5, first 2 shown]
.LBB47_82:
	s_or_b32 exec_lo, exec_lo, s0
	v_lshlrev_b32_e32 v21, 2, v21
	s_mov_b32 s1, exec_lo
	v_cmp_eq_u32_e32 vcc_lo, 0, v94
	s_waitcnt lgkmcnt(0)
	s_barrier
	v_add3_u32 v21, 0x160, v23, v21
	buffer_gl0_inv
	v_cmpx_gt_u32_e32 64, v0
	s_cbranch_execz .LBB47_105
; %bb.83:
	s_and_saveexec_b32 s0, vcc_lo
	s_cbranch_execnz .LBB47_133
; %bb.84:
	s_or_b32 exec_lo, exec_lo, s0
	s_and_saveexec_b32 s0, vcc_lo
	s_cbranch_execnz .LBB47_134
.LBB47_85:
	s_or_b32 exec_lo, exec_lo, s0
	s_and_saveexec_b32 s0, vcc_lo
	s_cbranch_execnz .LBB47_135
.LBB47_86:
	s_or_b32 exec_lo, exec_lo, s0
	s_and_saveexec_b32 s0, vcc_lo
	s_cbranch_execnz .LBB47_136
.LBB47_87:
	s_or_b32 exec_lo, exec_lo, s0
	s_and_saveexec_b32 s0, vcc_lo
	s_cbranch_execnz .LBB47_137
.LBB47_88:
	s_or_b32 exec_lo, exec_lo, s0
	s_and_saveexec_b32 s0, vcc_lo
	s_cbranch_execnz .LBB47_138
.LBB47_89:
	s_or_b32 exec_lo, exec_lo, s0
	s_and_saveexec_b32 s0, vcc_lo
	s_cbranch_execnz .LBB47_139
.LBB47_90:
	s_or_b32 exec_lo, exec_lo, s0
	s_and_saveexec_b32 s0, vcc_lo
	s_cbranch_execnz .LBB47_140
.LBB47_91:
	s_or_b32 exec_lo, exec_lo, s0
	s_and_saveexec_b32 s0, vcc_lo
	s_cbranch_execnz .LBB47_141
.LBB47_92:
	s_or_b32 exec_lo, exec_lo, s0
	s_and_saveexec_b32 s0, vcc_lo
	s_cbranch_execnz .LBB47_142
.LBB47_93:
	s_or_b32 exec_lo, exec_lo, s0
	s_and_saveexec_b32 s0, vcc_lo
	s_cbranch_execnz .LBB47_143
.LBB47_94:
	s_or_b32 exec_lo, exec_lo, s0
	s_and_saveexec_b32 s0, vcc_lo
	s_cbranch_execnz .LBB47_144
.LBB47_95:
	s_or_b32 exec_lo, exec_lo, s0
	s_and_saveexec_b32 s0, vcc_lo
	s_cbranch_execnz .LBB47_145
.LBB47_96:
	s_or_b32 exec_lo, exec_lo, s0
	s_and_saveexec_b32 s0, vcc_lo
	s_cbranch_execnz .LBB47_146
.LBB47_97:
	s_or_b32 exec_lo, exec_lo, s0
	s_and_saveexec_b32 s0, vcc_lo
	s_cbranch_execnz .LBB47_147
.LBB47_98:
	s_or_b32 exec_lo, exec_lo, s0
	s_and_saveexec_b32 s0, vcc_lo
	s_cbranch_execnz .LBB47_148
.LBB47_99:
	s_or_b32 exec_lo, exec_lo, s0
	s_and_saveexec_b32 s0, vcc_lo
	s_cbranch_execnz .LBB47_149
.LBB47_100:
	s_or_b32 exec_lo, exec_lo, s0
	s_and_saveexec_b32 s0, vcc_lo
	s_cbranch_execnz .LBB47_150
.LBB47_101:
	s_or_b32 exec_lo, exec_lo, s0
	s_and_saveexec_b32 s0, vcc_lo
	s_cbranch_execnz .LBB47_151
.LBB47_102:
	s_or_b32 exec_lo, exec_lo, s0
	s_and_saveexec_b32 s0, vcc_lo
	s_cbranch_execz .LBB47_104
.LBB47_103:
	ds_read_b32 v23, v21 offset:304
	s_waitcnt lgkmcnt(0)
	v_add_f32_e32 v20, v20, v23
.LBB47_104:
	s_or_b32 exec_lo, exec_lo, s0
.LBB47_105:
	s_or_b32 exec_lo, exec_lo, s1
	v_and_b32_e32 v23, 0x3e7, v0
	s_mov_b32 s1, exec_lo
	s_barrier
	buffer_gl0_inv
	v_cmpx_eq_u32_e32 32, v23
	s_cbranch_execz .LBB47_107
; %bb.106:
	ds_write2_b32 v22, v1, v2 offset1:4
	ds_write2_b32 v22, v3, v4 offset0:8 offset1:12
	ds_write2_b32 v22, v5, v6 offset0:16 offset1:20
	;; [unrolled: 1-line block ×9, first 2 shown]
.LBB47_107:
	s_or_b32 exec_lo, exec_lo, s1
	s_mov_b32 s1, exec_lo
	s_waitcnt lgkmcnt(0)
	s_barrier
	buffer_gl0_inv
	v_cmpx_gt_u32_e32 32, v0
	s_cbranch_execz .LBB47_130
; %bb.108:
	s_and_saveexec_b32 s0, vcc_lo
	s_cbranch_execnz .LBB47_152
; %bb.109:
	s_or_b32 exec_lo, exec_lo, s0
	s_and_saveexec_b32 s0, vcc_lo
	s_cbranch_execnz .LBB47_153
.LBB47_110:
	s_or_b32 exec_lo, exec_lo, s0
	s_and_saveexec_b32 s0, vcc_lo
	s_cbranch_execnz .LBB47_154
.LBB47_111:
	s_or_b32 exec_lo, exec_lo, s0
	s_and_saveexec_b32 s0, vcc_lo
	s_cbranch_execnz .LBB47_155
.LBB47_112:
	s_or_b32 exec_lo, exec_lo, s0
	s_and_saveexec_b32 s0, vcc_lo
	s_cbranch_execnz .LBB47_156
.LBB47_113:
	s_or_b32 exec_lo, exec_lo, s0
	s_and_saveexec_b32 s0, vcc_lo
	s_cbranch_execnz .LBB47_157
.LBB47_114:
	s_or_b32 exec_lo, exec_lo, s0
	s_and_saveexec_b32 s0, vcc_lo
	s_cbranch_execnz .LBB47_158
.LBB47_115:
	s_or_b32 exec_lo, exec_lo, s0
	s_and_saveexec_b32 s0, vcc_lo
	s_cbranch_execnz .LBB47_159
.LBB47_116:
	s_or_b32 exec_lo, exec_lo, s0
	s_and_saveexec_b32 s0, vcc_lo
	s_cbranch_execnz .LBB47_160
.LBB47_117:
	s_or_b32 exec_lo, exec_lo, s0
	s_and_saveexec_b32 s0, vcc_lo
	s_cbranch_execnz .LBB47_161
.LBB47_118:
	s_or_b32 exec_lo, exec_lo, s0
	s_and_saveexec_b32 s0, vcc_lo
	s_cbranch_execnz .LBB47_162
.LBB47_119:
	s_or_b32 exec_lo, exec_lo, s0
	s_and_saveexec_b32 s0, vcc_lo
	s_cbranch_execnz .LBB47_163
.LBB47_120:
	s_or_b32 exec_lo, exec_lo, s0
	s_and_saveexec_b32 s0, vcc_lo
	s_cbranch_execnz .LBB47_164
.LBB47_121:
	s_or_b32 exec_lo, exec_lo, s0
	s_and_saveexec_b32 s0, vcc_lo
	s_cbranch_execnz .LBB47_165
.LBB47_122:
	s_or_b32 exec_lo, exec_lo, s0
	s_and_saveexec_b32 s0, vcc_lo
	s_cbranch_execnz .LBB47_166
.LBB47_123:
	s_or_b32 exec_lo, exec_lo, s0
	s_and_saveexec_b32 s0, vcc_lo
	s_cbranch_execnz .LBB47_167
.LBB47_124:
	s_or_b32 exec_lo, exec_lo, s0
	s_and_saveexec_b32 s0, vcc_lo
	s_cbranch_execnz .LBB47_168
.LBB47_125:
	s_or_b32 exec_lo, exec_lo, s0
	s_and_saveexec_b32 s0, vcc_lo
	s_cbranch_execnz .LBB47_169
.LBB47_126:
	s_or_b32 exec_lo, exec_lo, s0
	s_and_saveexec_b32 s0, vcc_lo
	s_cbranch_execnz .LBB47_170
.LBB47_127:
	s_or_b32 exec_lo, exec_lo, s0
	s_and_saveexec_b32 s0, vcc_lo
	s_cbranch_execz .LBB47_129
.LBB47_128:
	ds_read_b32 v21, v21 offset:304
	s_waitcnt lgkmcnt(0)
	v_add_f32_e32 v20, v20, v21
.LBB47_129:
	s_or_b32 exec_lo, exec_lo, s0
.LBB47_130:
	s_or_b32 exec_lo, exec_lo, s1
	s_barrier
	buffer_gl0_inv
	s_mov_b32 s0, exec_lo
	v_cmpx_eq_u32_e32 0, v23
	s_cbranch_execz .LBB47_132
; %bb.131:
	s_mul_i32 s0, s2, 0x50
	s_mul_i32 s2, s7, s10
	s_ashr_i32 s1, s0, 31
	v_lshrrev_b32_e32 v0, 1, v0
	s_lshl_b64 s[0:1], s[0:1], 2
	s_add_u32 s4, s24, s0
	s_addc_u32 s5, s25, s1
	s_ashr_i32 s3, s2, 31
	s_lshl_b64 s[0:1], s[2:3], 2
	s_mul_i32 s2, s8, 0x50
	s_add_u32 s4, s4, s0
	s_addc_u32 s5, s5, s1
	s_ashr_i32 s3, s2, 31
	s_lshl_b64 s[0:1], s[2:3], 2
	s_add_u32 s0, s4, s0
	s_addc_u32 s1, s5, s1
	global_store_dword v0, v1, s[0:1]
	global_store_dword v0, v2, s[0:1] offset:16
	global_store_dword v0, v3, s[0:1] offset:32
	;; [unrolled: 1-line block ×19, first 2 shown]
.LBB47_132:
	s_endpgm
.LBB47_133:
	ds_read_b32 v23, v21
	s_waitcnt lgkmcnt(0)
	v_add_f32_e32 v1, v1, v23
	s_or_b32 exec_lo, exec_lo, s0
	s_and_saveexec_b32 s0, vcc_lo
	s_cbranch_execz .LBB47_85
.LBB47_134:
	ds_read_b32 v23, v21 offset:16
	s_waitcnt lgkmcnt(0)
	v_add_f32_e32 v2, v2, v23
	s_or_b32 exec_lo, exec_lo, s0
	s_and_saveexec_b32 s0, vcc_lo
	s_cbranch_execz .LBB47_86
.LBB47_135:
	ds_read_b32 v23, v21 offset:32
	s_waitcnt lgkmcnt(0)
	v_add_f32_e32 v3, v3, v23
	s_or_b32 exec_lo, exec_lo, s0
	s_and_saveexec_b32 s0, vcc_lo
	s_cbranch_execz .LBB47_87
.LBB47_136:
	ds_read_b32 v23, v21 offset:48
	s_waitcnt lgkmcnt(0)
	v_add_f32_e32 v4, v4, v23
	s_or_b32 exec_lo, exec_lo, s0
	s_and_saveexec_b32 s0, vcc_lo
	s_cbranch_execz .LBB47_88
.LBB47_137:
	ds_read_b32 v23, v21 offset:64
	s_waitcnt lgkmcnt(0)
	v_add_f32_e32 v5, v5, v23
	s_or_b32 exec_lo, exec_lo, s0
	s_and_saveexec_b32 s0, vcc_lo
	s_cbranch_execz .LBB47_89
.LBB47_138:
	ds_read_b32 v23, v21 offset:80
	s_waitcnt lgkmcnt(0)
	v_add_f32_e32 v6, v6, v23
	s_or_b32 exec_lo, exec_lo, s0
	s_and_saveexec_b32 s0, vcc_lo
	s_cbranch_execz .LBB47_90
.LBB47_139:
	ds_read_b32 v23, v21 offset:96
	s_waitcnt lgkmcnt(0)
	v_add_f32_e32 v7, v7, v23
	s_or_b32 exec_lo, exec_lo, s0
	s_and_saveexec_b32 s0, vcc_lo
	s_cbranch_execz .LBB47_91
.LBB47_140:
	ds_read_b32 v23, v21 offset:112
	s_waitcnt lgkmcnt(0)
	v_add_f32_e32 v8, v8, v23
	s_or_b32 exec_lo, exec_lo, s0
	s_and_saveexec_b32 s0, vcc_lo
	s_cbranch_execz .LBB47_92
.LBB47_141:
	ds_read_b32 v23, v21 offset:128
	s_waitcnt lgkmcnt(0)
	v_add_f32_e32 v9, v9, v23
	s_or_b32 exec_lo, exec_lo, s0
	s_and_saveexec_b32 s0, vcc_lo
	s_cbranch_execz .LBB47_93
.LBB47_142:
	ds_read_b32 v23, v21 offset:144
	s_waitcnt lgkmcnt(0)
	v_add_f32_e32 v10, v10, v23
	s_or_b32 exec_lo, exec_lo, s0
	s_and_saveexec_b32 s0, vcc_lo
	s_cbranch_execz .LBB47_94
.LBB47_143:
	ds_read_b32 v23, v21 offset:160
	s_waitcnt lgkmcnt(0)
	v_add_f32_e32 v11, v11, v23
	s_or_b32 exec_lo, exec_lo, s0
	s_and_saveexec_b32 s0, vcc_lo
	s_cbranch_execz .LBB47_95
.LBB47_144:
	ds_read_b32 v23, v21 offset:176
	s_waitcnt lgkmcnt(0)
	v_add_f32_e32 v12, v12, v23
	s_or_b32 exec_lo, exec_lo, s0
	s_and_saveexec_b32 s0, vcc_lo
	s_cbranch_execz .LBB47_96
.LBB47_145:
	ds_read_b32 v23, v21 offset:192
	s_waitcnt lgkmcnt(0)
	v_add_f32_e32 v13, v13, v23
	s_or_b32 exec_lo, exec_lo, s0
	s_and_saveexec_b32 s0, vcc_lo
	s_cbranch_execz .LBB47_97
.LBB47_146:
	ds_read_b32 v23, v21 offset:208
	s_waitcnt lgkmcnt(0)
	v_add_f32_e32 v14, v14, v23
	s_or_b32 exec_lo, exec_lo, s0
	s_and_saveexec_b32 s0, vcc_lo
	s_cbranch_execz .LBB47_98
.LBB47_147:
	ds_read_b32 v23, v21 offset:224
	s_waitcnt lgkmcnt(0)
	v_add_f32_e32 v15, v15, v23
	s_or_b32 exec_lo, exec_lo, s0
	s_and_saveexec_b32 s0, vcc_lo
	s_cbranch_execz .LBB47_99
.LBB47_148:
	ds_read_b32 v23, v21 offset:240
	s_waitcnt lgkmcnt(0)
	v_add_f32_e32 v16, v16, v23
	s_or_b32 exec_lo, exec_lo, s0
	s_and_saveexec_b32 s0, vcc_lo
	s_cbranch_execz .LBB47_100
.LBB47_149:
	ds_read_b32 v23, v21 offset:256
	s_waitcnt lgkmcnt(0)
	v_add_f32_e32 v17, v17, v23
	s_or_b32 exec_lo, exec_lo, s0
	s_and_saveexec_b32 s0, vcc_lo
	s_cbranch_execz .LBB47_101
.LBB47_150:
	ds_read_b32 v23, v21 offset:272
	s_waitcnt lgkmcnt(0)
	v_add_f32_e32 v18, v18, v23
	s_or_b32 exec_lo, exec_lo, s0
	s_and_saveexec_b32 s0, vcc_lo
	s_cbranch_execz .LBB47_102
.LBB47_151:
	ds_read_b32 v23, v21 offset:288
	s_waitcnt lgkmcnt(0)
	v_add_f32_e32 v19, v19, v23
	s_or_b32 exec_lo, exec_lo, s0
	s_and_saveexec_b32 s0, vcc_lo
	s_cbranch_execnz .LBB47_103
	s_branch .LBB47_104
.LBB47_152:
	ds_read_b32 v22, v21
	s_waitcnt lgkmcnt(0)
	v_add_f32_e32 v1, v1, v22
	s_or_b32 exec_lo, exec_lo, s0
	s_and_saveexec_b32 s0, vcc_lo
	s_cbranch_execz .LBB47_110
.LBB47_153:
	ds_read_b32 v22, v21 offset:16
	s_waitcnt lgkmcnt(0)
	v_add_f32_e32 v2, v2, v22
	s_or_b32 exec_lo, exec_lo, s0
	s_and_saveexec_b32 s0, vcc_lo
	s_cbranch_execz .LBB47_111
.LBB47_154:
	ds_read_b32 v22, v21 offset:32
	s_waitcnt lgkmcnt(0)
	v_add_f32_e32 v3, v3, v22
	s_or_b32 exec_lo, exec_lo, s0
	s_and_saveexec_b32 s0, vcc_lo
	s_cbranch_execz .LBB47_112
.LBB47_155:
	ds_read_b32 v22, v21 offset:48
	s_waitcnt lgkmcnt(0)
	v_add_f32_e32 v4, v4, v22
	s_or_b32 exec_lo, exec_lo, s0
	s_and_saveexec_b32 s0, vcc_lo
	s_cbranch_execz .LBB47_113
.LBB47_156:
	ds_read_b32 v22, v21 offset:64
	s_waitcnt lgkmcnt(0)
	v_add_f32_e32 v5, v5, v22
	s_or_b32 exec_lo, exec_lo, s0
	s_and_saveexec_b32 s0, vcc_lo
	s_cbranch_execz .LBB47_114
.LBB47_157:
	ds_read_b32 v22, v21 offset:80
	s_waitcnt lgkmcnt(0)
	v_add_f32_e32 v6, v6, v22
	s_or_b32 exec_lo, exec_lo, s0
	s_and_saveexec_b32 s0, vcc_lo
	s_cbranch_execz .LBB47_115
.LBB47_158:
	ds_read_b32 v22, v21 offset:96
	s_waitcnt lgkmcnt(0)
	v_add_f32_e32 v7, v7, v22
	s_or_b32 exec_lo, exec_lo, s0
	s_and_saveexec_b32 s0, vcc_lo
	s_cbranch_execz .LBB47_116
.LBB47_159:
	ds_read_b32 v22, v21 offset:112
	s_waitcnt lgkmcnt(0)
	v_add_f32_e32 v8, v8, v22
	s_or_b32 exec_lo, exec_lo, s0
	s_and_saveexec_b32 s0, vcc_lo
	s_cbranch_execz .LBB47_117
.LBB47_160:
	ds_read_b32 v22, v21 offset:128
	s_waitcnt lgkmcnt(0)
	v_add_f32_e32 v9, v9, v22
	s_or_b32 exec_lo, exec_lo, s0
	s_and_saveexec_b32 s0, vcc_lo
	s_cbranch_execz .LBB47_118
.LBB47_161:
	ds_read_b32 v22, v21 offset:144
	s_waitcnt lgkmcnt(0)
	v_add_f32_e32 v10, v10, v22
	s_or_b32 exec_lo, exec_lo, s0
	s_and_saveexec_b32 s0, vcc_lo
	s_cbranch_execz .LBB47_119
.LBB47_162:
	ds_read_b32 v22, v21 offset:160
	s_waitcnt lgkmcnt(0)
	v_add_f32_e32 v11, v11, v22
	s_or_b32 exec_lo, exec_lo, s0
	s_and_saveexec_b32 s0, vcc_lo
	s_cbranch_execz .LBB47_120
.LBB47_163:
	ds_read_b32 v22, v21 offset:176
	s_waitcnt lgkmcnt(0)
	v_add_f32_e32 v12, v12, v22
	s_or_b32 exec_lo, exec_lo, s0
	s_and_saveexec_b32 s0, vcc_lo
	s_cbranch_execz .LBB47_121
.LBB47_164:
	ds_read_b32 v22, v21 offset:192
	s_waitcnt lgkmcnt(0)
	v_add_f32_e32 v13, v13, v22
	s_or_b32 exec_lo, exec_lo, s0
	s_and_saveexec_b32 s0, vcc_lo
	s_cbranch_execz .LBB47_122
.LBB47_165:
	ds_read_b32 v22, v21 offset:208
	s_waitcnt lgkmcnt(0)
	v_add_f32_e32 v14, v14, v22
	s_or_b32 exec_lo, exec_lo, s0
	s_and_saveexec_b32 s0, vcc_lo
	s_cbranch_execz .LBB47_123
.LBB47_166:
	ds_read_b32 v22, v21 offset:224
	s_waitcnt lgkmcnt(0)
	v_add_f32_e32 v15, v15, v22
	s_or_b32 exec_lo, exec_lo, s0
	s_and_saveexec_b32 s0, vcc_lo
	s_cbranch_execz .LBB47_124
.LBB47_167:
	ds_read_b32 v22, v21 offset:240
	s_waitcnt lgkmcnt(0)
	v_add_f32_e32 v16, v16, v22
	s_or_b32 exec_lo, exec_lo, s0
	s_and_saveexec_b32 s0, vcc_lo
	s_cbranch_execz .LBB47_125
.LBB47_168:
	ds_read_b32 v22, v21 offset:256
	s_waitcnt lgkmcnt(0)
	v_add_f32_e32 v17, v17, v22
	s_or_b32 exec_lo, exec_lo, s0
	s_and_saveexec_b32 s0, vcc_lo
	s_cbranch_execz .LBB47_126
.LBB47_169:
	ds_read_b32 v22, v21 offset:272
	s_waitcnt lgkmcnt(0)
	v_add_f32_e32 v18, v18, v22
	s_or_b32 exec_lo, exec_lo, s0
	s_and_saveexec_b32 s0, vcc_lo
	s_cbranch_execz .LBB47_127
.LBB47_170:
	ds_read_b32 v22, v21 offset:288
	s_waitcnt lgkmcnt(0)
	v_add_f32_e32 v19, v19, v22
	s_or_b32 exec_lo, exec_lo, s0
	s_and_saveexec_b32 s0, vcc_lo
	s_cbranch_execnz .LBB47_128
	s_branch .LBB47_129
	.section	.rodata,"a",@progbits
	.p2align	6, 0x0
	.amdhsa_kernel _ZN4vllm25paged_attention_v2_kernelIffLi80ELi32ELi128ELNS_18Fp8KVCacheDataTypeE0ELb1ELi512EEEvPfS2_PT_PKS3_PKT0_S9_ifPKiSB_iPKfiiiSD_SD_iiiii
		.amdhsa_group_segment_fixed_size 352
		.amdhsa_private_segment_fixed_size 0
		.amdhsa_kernarg_size 400
		.amdhsa_user_sgpr_count 6
		.amdhsa_user_sgpr_private_segment_buffer 1
		.amdhsa_user_sgpr_dispatch_ptr 0
		.amdhsa_user_sgpr_queue_ptr 0
		.amdhsa_user_sgpr_kernarg_segment_ptr 1
		.amdhsa_user_sgpr_dispatch_id 0
		.amdhsa_user_sgpr_flat_scratch_init 0
		.amdhsa_user_sgpr_private_segment_size 0
		.amdhsa_wavefront_size32 1
		.amdhsa_uses_dynamic_stack 0
		.amdhsa_system_sgpr_private_segment_wavefront_offset 0
		.amdhsa_system_sgpr_workgroup_id_x 1
		.amdhsa_system_sgpr_workgroup_id_y 1
		.amdhsa_system_sgpr_workgroup_id_z 1
		.amdhsa_system_sgpr_workgroup_info 0
		.amdhsa_system_vgpr_workitem_id 0
		.amdhsa_next_free_vgpr 124
		.amdhsa_next_free_sgpr 46
		.amdhsa_reserve_vcc 1
		.amdhsa_reserve_flat_scratch 0
		.amdhsa_float_round_mode_32 0
		.amdhsa_float_round_mode_16_64 0
		.amdhsa_float_denorm_mode_32 3
		.amdhsa_float_denorm_mode_16_64 3
		.amdhsa_dx10_clamp 1
		.amdhsa_ieee_mode 1
		.amdhsa_fp16_overflow 0
		.amdhsa_workgroup_processor_mode 1
		.amdhsa_memory_ordered 1
		.amdhsa_forward_progress 1
		.amdhsa_shared_vgpr_count 0
		.amdhsa_exception_fp_ieee_invalid_op 0
		.amdhsa_exception_fp_denorm_src 0
		.amdhsa_exception_fp_ieee_div_zero 0
		.amdhsa_exception_fp_ieee_overflow 0
		.amdhsa_exception_fp_ieee_underflow 0
		.amdhsa_exception_fp_ieee_inexact 0
		.amdhsa_exception_int_div_zero 0
	.end_amdhsa_kernel
	.section	.text._ZN4vllm25paged_attention_v2_kernelIffLi80ELi32ELi128ELNS_18Fp8KVCacheDataTypeE0ELb1ELi512EEEvPfS2_PT_PKS3_PKT0_S9_ifPKiSB_iPKfiiiSD_SD_iiiii,"axG",@progbits,_ZN4vllm25paged_attention_v2_kernelIffLi80ELi32ELi128ELNS_18Fp8KVCacheDataTypeE0ELb1ELi512EEEvPfS2_PT_PKS3_PKT0_S9_ifPKiSB_iPKfiiiSD_SD_iiiii,comdat
.Lfunc_end47:
	.size	_ZN4vllm25paged_attention_v2_kernelIffLi80ELi32ELi128ELNS_18Fp8KVCacheDataTypeE0ELb1ELi512EEEvPfS2_PT_PKS3_PKT0_S9_ifPKiSB_iPKfiiiSD_SD_iiiii, .Lfunc_end47-_ZN4vllm25paged_attention_v2_kernelIffLi80ELi32ELi128ELNS_18Fp8KVCacheDataTypeE0ELb1ELi512EEEvPfS2_PT_PKS3_PKT0_S9_ifPKiSB_iPKfiiiSD_SD_iiiii
                                        ; -- End function
	.set _ZN4vllm25paged_attention_v2_kernelIffLi80ELi32ELi128ELNS_18Fp8KVCacheDataTypeE0ELb1ELi512EEEvPfS2_PT_PKS3_PKT0_S9_ifPKiSB_iPKfiiiSD_SD_iiiii.num_vgpr, 124
	.set _ZN4vllm25paged_attention_v2_kernelIffLi80ELi32ELi128ELNS_18Fp8KVCacheDataTypeE0ELb1ELi512EEEvPfS2_PT_PKS3_PKT0_S9_ifPKiSB_iPKfiiiSD_SD_iiiii.num_agpr, 0
	.set _ZN4vllm25paged_attention_v2_kernelIffLi80ELi32ELi128ELNS_18Fp8KVCacheDataTypeE0ELb1ELi512EEEvPfS2_PT_PKS3_PKT0_S9_ifPKiSB_iPKfiiiSD_SD_iiiii.numbered_sgpr, 46
	.set _ZN4vllm25paged_attention_v2_kernelIffLi80ELi32ELi128ELNS_18Fp8KVCacheDataTypeE0ELb1ELi512EEEvPfS2_PT_PKS3_PKT0_S9_ifPKiSB_iPKfiiiSD_SD_iiiii.num_named_barrier, 0
	.set _ZN4vllm25paged_attention_v2_kernelIffLi80ELi32ELi128ELNS_18Fp8KVCacheDataTypeE0ELb1ELi512EEEvPfS2_PT_PKS3_PKT0_S9_ifPKiSB_iPKfiiiSD_SD_iiiii.private_seg_size, 0
	.set _ZN4vllm25paged_attention_v2_kernelIffLi80ELi32ELi128ELNS_18Fp8KVCacheDataTypeE0ELb1ELi512EEEvPfS2_PT_PKS3_PKT0_S9_ifPKiSB_iPKfiiiSD_SD_iiiii.uses_vcc, 1
	.set _ZN4vllm25paged_attention_v2_kernelIffLi80ELi32ELi128ELNS_18Fp8KVCacheDataTypeE0ELb1ELi512EEEvPfS2_PT_PKS3_PKT0_S9_ifPKiSB_iPKfiiiSD_SD_iiiii.uses_flat_scratch, 0
	.set _ZN4vllm25paged_attention_v2_kernelIffLi80ELi32ELi128ELNS_18Fp8KVCacheDataTypeE0ELb1ELi512EEEvPfS2_PT_PKS3_PKT0_S9_ifPKiSB_iPKfiiiSD_SD_iiiii.has_dyn_sized_stack, 0
	.set _ZN4vllm25paged_attention_v2_kernelIffLi80ELi32ELi128ELNS_18Fp8KVCacheDataTypeE0ELb1ELi512EEEvPfS2_PT_PKS3_PKT0_S9_ifPKiSB_iPKfiiiSD_SD_iiiii.has_recursion, 0
	.set _ZN4vllm25paged_attention_v2_kernelIffLi80ELi32ELi128ELNS_18Fp8KVCacheDataTypeE0ELb1ELi512EEEvPfS2_PT_PKS3_PKT0_S9_ifPKiSB_iPKfiiiSD_SD_iiiii.has_indirect_call, 0
	.section	.AMDGPU.csdata,"",@progbits
; Kernel info:
; codeLenInByte = 9884
; TotalNumSgprs: 48
; NumVgprs: 124
; ScratchSize: 0
; MemoryBound: 0
; FloatMode: 240
; IeeeMode: 1
; LDSByteSize: 352 bytes/workgroup (compile time only)
; SGPRBlocks: 0
; VGPRBlocks: 15
; NumSGPRsForWavesPerEU: 48
; NumVGPRsForWavesPerEU: 124
; Occupancy: 8
; WaveLimiterHint : 1
; COMPUTE_PGM_RSRC2:SCRATCH_EN: 0
; COMPUTE_PGM_RSRC2:USER_SGPR: 6
; COMPUTE_PGM_RSRC2:TRAP_HANDLER: 0
; COMPUTE_PGM_RSRC2:TGID_X_EN: 1
; COMPUTE_PGM_RSRC2:TGID_Y_EN: 1
; COMPUTE_PGM_RSRC2:TGID_Z_EN: 1
; COMPUTE_PGM_RSRC2:TIDIG_COMP_CNT: 0
	.section	.text._ZN4vllm25paged_attention_v2_kernelIffLi96ELi32ELi128ELNS_18Fp8KVCacheDataTypeE0ELb1ELi512EEEvPfS2_PT_PKS3_PKT0_S9_ifPKiSB_iPKfiiiSD_SD_iiiii,"axG",@progbits,_ZN4vllm25paged_attention_v2_kernelIffLi96ELi32ELi128ELNS_18Fp8KVCacheDataTypeE0ELb1ELi512EEEvPfS2_PT_PKS3_PKT0_S9_ifPKiSB_iPKfiiiSD_SD_iiiii,comdat
	.protected	_ZN4vllm25paged_attention_v2_kernelIffLi96ELi32ELi128ELNS_18Fp8KVCacheDataTypeE0ELb1ELi512EEEvPfS2_PT_PKS3_PKT0_S9_ifPKiSB_iPKfiiiSD_SD_iiiii ; -- Begin function _ZN4vllm25paged_attention_v2_kernelIffLi96ELi32ELi128ELNS_18Fp8KVCacheDataTypeE0ELb1ELi512EEEvPfS2_PT_PKS3_PKT0_S9_ifPKiSB_iPKfiiiSD_SD_iiiii
	.globl	_ZN4vllm25paged_attention_v2_kernelIffLi96ELi32ELi128ELNS_18Fp8KVCacheDataTypeE0ELb1ELi512EEEvPfS2_PT_PKS3_PKT0_S9_ifPKiSB_iPKfiiiSD_SD_iiiii
	.p2align	8
	.type	_ZN4vllm25paged_attention_v2_kernelIffLi96ELi32ELi128ELNS_18Fp8KVCacheDataTypeE0ELb1ELi512EEEvPfS2_PT_PKS3_PKT0_S9_ifPKiSB_iPKfiiiSD_SD_iiiii,@function
_ZN4vllm25paged_attention_v2_kernelIffLi96ELi32ELi128ELNS_18Fp8KVCacheDataTypeE0ELb1ELi512EEEvPfS2_PT_PKS3_PKT0_S9_ifPKiSB_iPKfiiiSD_SD_iiiii: ; @_ZN4vllm25paged_attention_v2_kernelIffLi96ELi32ELi128ELNS_18Fp8KVCacheDataTypeE0ELb1ELi512EEEvPfS2_PT_PKS3_PKT0_S9_ifPKiSB_iPKfiiiSD_SD_iiiii
; %bb.0:
	s_mov_b64 s[50:51], s[2:3]
	s_mov_b64 s[48:49], s[0:1]
	s_load_dwordx2 s[0:1], s[4:5], 0x40
	s_add_u32 s48, s48, s9
	s_addc_u32 s49, s49, 0
	s_mov_b32 s26, s7
	s_ashr_i32 s27, s7, 31
	s_lshl_b64 s[2:3], s[26:27], 2
	s_waitcnt lgkmcnt(0)
	s_add_u32 s0, s0, s2
	s_addc_u32 s1, s1, s3
	s_lshl_b32 s37, s8, 9
	s_load_dword s27, s[0:1], 0x0
	s_waitcnt lgkmcnt(0)
	s_cmp_ge_i32 s37, s27
	s_cbranch_scc1 .LBB48_148
; %bb.1:
	s_clause 0x1
	s_load_dword s9, s[4:5], 0x90
	s_load_dwordx2 s[2:3], s[4:5], 0x30
	v_mov_b32_e32 v47, v0
	s_mov_b32 s39, 0
	s_waitcnt lgkmcnt(0)
	s_abs_i32 s10, s9
	s_abs_i32 s0, s2
	v_cvt_f32_u32_e32 v0, s0
	s_sub_i32 s7, 0, s0
	v_rcp_iflag_f32_e32 v0, v0
	v_mul_f32_e32 v0, 0x4f7ffffe, v0
	v_cvt_u32_f32_e32 v0, v0
	v_readfirstlane_b32 s1, v0
	s_mul_i32 s7, s7, s1
	s_mul_hi_u32 s7, s1, s7
	s_add_i32 s1, s1, s7
	s_xor_b32 s7, s9, s2
	s_mul_hi_u32 s1, s10, s1
	s_ashr_i32 s7, s7, 31
	s_mul_i32 s11, s1, s0
	s_sub_i32 s10, s10, s11
	s_add_i32 s11, s1, 1
	s_sub_i32 s12, s10, s0
	s_cmp_ge_u32 s10, s0
	s_cselect_b32 s1, s11, s1
	s_cselect_b32 s10, s12, s10
	s_add_i32 s11, s1, 1
	s_cmp_ge_u32 s10, s0
	s_cselect_b32 s0, s11, s1
	s_abs_i32 s21, s6
	s_xor_b32 s0, s0, s7
	s_sub_i32 s10, s0, s7
	s_load_dwordx2 s[0:1], s[4:5], 0x50
	s_abs_i32 s20, s10
	v_cvt_f32_u32_e32 v0, s20
	s_sub_i32 s11, 0, s20
	v_rcp_iflag_f32_e32 v0, v0
	v_mul_f32_e32 v0, 0x4f7ffffe, v0
	v_cvt_u32_f32_e32 v0, v0
	v_readfirstlane_b32 s7, v0
	s_mul_i32 s11, s11, s7
	s_mul_hi_u32 s11, s7, s11
	s_add_i32 s7, s7, s11
	s_waitcnt lgkmcnt(0)
	s_cmp_eq_u64 s[0:1], 0
	s_mul_hi_u32 s22, s21, s7
	s_cbranch_scc1 .LBB48_3
; %bb.2:
	s_ashr_i32 s7, s6, 31
	s_lshl_b64 s[12:13], s[6:7], 2
	s_add_u32 s0, s0, s12
	s_addc_u32 s1, s1, s13
	s_load_dword s39, s[0:1], 0x0
.LBB48_3:
	s_load_dwordx4 s[12:15], s[4:5], 0x58
	v_lshlrev_b32_e32 v103, 4, v47
	s_ashr_i32 s0, s6, 31
	s_ashr_i32 s1, s10, 31
	s_mul_i32 s10, s6, 0x60
	s_mov_b32 s7, exec_lo
	v_cmpx_gt_u32_e32 24, v47
	s_cbranch_execz .LBB48_5
; %bb.4:
	s_load_dwordx2 s[16:17], s[4:5], 0x18
	s_waitcnt lgkmcnt(0)
	s_mul_i32 s18, s12, s26
	s_ashr_i32 s19, s18, 31
	s_lshl_b64 s[18:19], s[18:19], 2
	s_add_u32 s12, s16, s18
	s_addc_u32 s15, s17, s19
	s_ashr_i32 s11, s10, 31
	s_lshl_b64 s[16:17], s[10:11], 2
	s_add_u32 s16, s12, s16
	s_addc_u32 s17, s15, s17
	global_load_dwordx4 v[0:3], v103, s[16:17]
	s_waitcnt vmcnt(0)
	ds_write_b128 v103, v[0:3]
.LBB48_5:
	s_or_b32 exec_lo, exec_lo, s7
	s_load_dwordx4 s[16:19], s[4:5], 0x78
	s_mul_i32 s7, s22, s20
	s_xor_b32 s0, s0, s1
	s_sub_i32 s1, s21, s7
	s_add_i32 s7, s22, 1
	s_sub_i32 s11, s1, s20
	s_cmp_ge_u32 s1, s20
	s_mov_b32 s21, -1
	s_cselect_b32 s7, s7, s22
	s_cselect_b32 s1, s11, s1
	s_add_i32 s11, s7, 1
	s_cmp_ge_u32 s1, s20
                                        ; implicit-def: $sgpr33
	s_cselect_b32 s1, s11, s7
	s_load_dword s7, s[4:5], 0x88
	s_xor_b32 s1, s1, s0
	s_add_i32 s20, s27, -1
	s_sub_i32 s1, s1, s0
	s_waitcnt lgkmcnt(0)
	s_abs_i32 s15, s20
	s_abs_i32 s11, s19
	s_barrier
	v_cvt_f32_u32_e32 v0, s11
	s_sub_i32 s0, 0, s11
	buffer_gl0_inv
	v_rcp_iflag_f32_e32 v0, v0
	v_mul_f32_e32 v0, 0x4f7ffffe, v0
	v_cvt_u32_f32_e32 v0, v0
	v_readfirstlane_b32 s12, v0
	s_mul_i32 s0, s0, s12
	s_mul_hi_u32 s0, s12, s0
	s_add_i32 s12, s12, s0
	s_cmp_lt_i32 s7, 0
	s_mul_hi_u32 s0, s15, s12
	s_cbranch_scc0 .LBB48_7
; %bb.6:
	s_mul_i32 s2, s16, s2
	s_mov_b32 s21, 0
	s_add_i32 s2, s1, s2
	s_mul_i32 s2, s2, s7
	s_sub_i32 s33, 1, s2
.LBB48_7:
	s_load_dwordx2 s[28:29], s[4:5], 0x38
	s_ashr_i32 s2, s20, 31
	s_andn2_b32 vcc_lo, exec_lo, s21
	s_ashr_i32 s19, s19, 31
	s_cbranch_vccnz .LBB48_9
; %bb.8:
	s_mul_i32 s16, s9, s16
	s_add_i32 s16, s16, s6
	s_mul_i32 s7, s16, s7
	s_add_i32 s33, s7, 1
.LBB48_9:
	s_clause 0x4
	s_load_dword s16, s[4:5], 0x48
	s_load_dwordx2 s[34:35], s[4:5], 0x28
	s_load_dword s7, s[4:5], 0x98
	s_load_dwordx4 s[20:23], s[4:5], 0x0
	s_load_dwordx2 s[24:25], s[4:5], 0x10
	s_mul_i32 s30, s0, s11
	s_xor_b32 s2, s2, s19
	s_sub_i32 s15, s15, s30
	s_add_i32 s36, s0, 1
	v_lshrrev_b32_e32 v48, 5, v47
	v_and_b32_e32 v0, 31, v47
	v_mov_b32_e32 v104, 0xff7fffff
	s_mul_i32 s14, s1, s14
	v_lshl_add_u32 v106, v48, 5, s37
	buffer_store_dword v0, off, s[48:51], 0 offset:36 ; 4-byte Folded Spill
	v_lshlrev_b32_e32 v0, 2, v0
	s_waitcnt lgkmcnt(0)
	s_mul_i32 s30, s16, s26
	s_sub_i32 s16, s15, s11
	s_ashr_i32 s31, s30, 31
	s_cmp_ge_u32 s15, s11
	s_cselect_b32 s0, s36, s0
	s_cselect_b32 s15, s16, s15
	s_add_i32 s16, s0, 1
	s_cmp_ge_u32 s15, s11
	s_cselect_b32 s0, s16, s0
	s_add_i32 s15, s27, 31
	s_lshl_b32 s40, s8, 4
	s_ashr_i32 s16, s15, 31
	v_add_nc_u32_e32 v101, s40, v48
	s_lshr_b32 s16, s16, 27
	s_add_i32 s15, s15, s16
	s_add_i32 s16, s40, 16
	s_ashr_i32 s36, s15, 5
	s_xor_b32 s15, s0, s2
	s_min_i32 s16, s16, s36
	v_ashrrev_i32_e32 v102, 31, v101
	v_cmp_gt_i32_e64 s0, s16, v101
	s_sub_i32 s38, s15, s2
	s_and_saveexec_b32 s41, s0
	s_cbranch_execz .LBB48_17
; %bb.10:
	buffer_load_dword v1, off, s[48:51], 0 offset:36 ; 4-byte Folded Reload
	s_load_dwordx2 s[42:43], s[4:5], 0x20
	s_ashr_i32 s15, s14, 31
	s_sub_i32 s4, s38, s17
	s_lshl_b64 s[44:45], s[14:15], 2
	v_mov_b32_e32 v93, 0
	v_mov_b32_e32 v125, v47
	v_lshl_add_u32 v105, v48, 5, s37
	v_mov_b32_e32 v126, v48
	v_lshl_or_b32 v109, v48, 7, v0
	v_lshlrev_b64 v[97:98], 2, v[101:102]
	v_cmp_neq_f32_e64 vcc_lo, s39, 0
	v_mov_b32_e32 v104, 0xff7fffff
	v_mov_b32_e32 v107, v101
	v_add_nc_u32_e32 v109, 0x1a0, v109
	s_waitcnt lgkmcnt(0)
	s_add_u32 s1, s42, s44
	s_addc_u32 s2, s43, s45
	s_abs_i32 s5, s18
	s_lshl_b64 s[42:43], s[30:31], 2
	v_cvt_f32_u32_e32 v9, s5
	s_sub_i32 s15, 0, s5
	v_rcp_iflag_f32_e32 v49, v9
	v_mul_f32_e32 v65, 0x4f7ffffe, v49
	v_cvt_u32_f32_e32 v112, v65
	v_mul_lo_u32 v110, s15, v112
	s_mov_b32 s15, 0
	s_waitcnt vmcnt(0)
	v_lshlrev_b32_e32 v99, 4, v1
	v_subrev_nc_u32_e32 v100, s27, v1
	ds_read_b128 v[1:4], v93
	ds_read_b128 v[5:8], v93 offset:16
	ds_read_b128 v[9:12], v93 offset:32
	;; [unrolled: 1-line block ×23, first 2 shown]
	v_add_nc_u32_e32 v108, 1, v100
	v_mul_hi_u32 v100, v112, v110
	v_add_co_u32 v110, s1, s1, v99
	v_add_co_ci_u32_e64 v111, null, s2, 0, s1
	s_add_u32 s1, s28, s42
	s_addc_u32 s2, s29, s43
	v_add_co_u32 v97, s1, s1, v97
	v_add_co_ci_u32_e64 v98, null, s2, v98, s1
	v_add_nc_u32_e32 v112, v112, v100
	s_mov_b32 s42, s13
	s_branch .LBB48_12
.LBB48_11:                              ;   in Loop: Header=BB48_12 Depth=1
	s_or_b32 exec_lo, exec_lo, s2
	v_add_nc_u32_e32 v107, 4, v107
	v_add_co_u32 v97, s2, v97, 16
	v_add_co_ci_u32_e64 v98, null, 0, v98, s2
	v_cmp_le_i32_e64 s1, s16, v107
	v_add_nc_u32_e32 v105, 0x80, v105
	v_add_nc_u32_e32 v109, 0x200, v109
	s_or_b32 s15, s1, s15
	s_andn2_b32 exec_lo, exec_lo, s15
	s_cbranch_execz .LBB48_16
.LBB48_12:                              ; =>This Inner Loop Header: Depth=1
	v_sub_nc_u32_e32 v99, 0, v105
	v_max_i32_e32 v99, v105, v99
	v_mul_hi_u32 v100, v99, s12
	v_mul_lo_u32 v113, v100, s11
	v_sub_nc_u32_e32 v99, v99, v113
	v_add_nc_u32_e32 v113, 1, v100
	v_subrev_nc_u32_e32 v114, s11, v99
	v_cmp_le_u32_e64 s1, s11, v99
	v_cndmask_b32_e64 v100, v100, v113, s1
	v_cndmask_b32_e64 v99, v99, v114, s1
	v_ashrrev_i32_e32 v113, 31, v105
	v_add_nc_u32_e32 v114, 1, v100
	v_cmp_le_u32_e64 s1, s11, v99
	v_xor_b32_e32 v113, s19, v113
	v_cndmask_b32_e64 v99, v100, v114, s1
	v_xor_b32_e32 v99, v99, v113
	v_sub_nc_u32_e32 v99, v99, v113
	v_add_nc_u32_e32 v100, s33, v99
	v_cmp_ge_i32_e64 s2, s4, v99
	v_sub_nc_u32_e32 v113, 0, v100
	v_max_i32_e32 v113, v100, v113
	v_ashrrev_i32_e32 v100, 31, v100
	v_mul_hi_u32 v114, v113, v112
	v_mul_lo_u32 v114, v114, s5
	v_sub_nc_u32_e32 v113, v113, v114
	v_subrev_nc_u32_e32 v114, s5, v113
	v_cmp_le_u32_e64 s1, s5, v113
	v_cndmask_b32_e64 v113, v113, v114, s1
	v_subrev_nc_u32_e32 v114, s5, v113
	v_cmp_le_u32_e64 s1, s5, v113
	v_cndmask_b32_e64 v113, v113, v114, s1
	v_xor_b32_e32 v113, v113, v100
	v_sub_nc_u32_e32 v100, v113, v100
	v_cmp_ne_u32_e64 s1, 0, v100
	s_and_b32 s1, s1, s2
	s_and_saveexec_b32 s2, s1
	s_xor_b32 s1, exec_lo, s2
; %bb.13:                               ;   in Loop: Header=BB48_12 Depth=1
	v_mov_b32_e32 v99, 0xff7fffff
	ds_write_b32 v109, v99
; %bb.14:                               ;   in Loop: Header=BB48_12 Depth=1
	s_andn2_saveexec_b32 s2, s1
	s_cbranch_execz .LBB48_11
; %bb.15:                               ;   in Loop: Header=BB48_12 Depth=1
	global_load_dword v99, v[97:98], off
	s_waitcnt vmcnt(0)
	v_mad_i64_i32 v[99:100], null, v99, s42, 0
	v_lshlrev_b64 v[99:100], 2, v[99:100]
	v_add_co_u32 v99, s1, v110, v99
	v_add_co_ci_u32_e64 v100, null, v111, v100, s1
	v_add_co_u32 v121, s1, v99, 0x1000
	global_load_dwordx4 v[114:117], v[99:100], off offset:512
	v_add_co_ci_u32_e64 v122, null, 0, v100, s1
	v_add_co_u32 v123, s1, 0x800, v99
	v_add_co_ci_u32_e64 v124, null, 0, v100, s1
	s_waitcnt vmcnt(0) lgkmcnt(22)
	v_mul_f32_e32 v113, v8, v117
	global_load_dwordx4 v[117:120], v[99:100], off
	v_mul_f32_e32 v114, v5, v114
	v_mul_f32_e32 v115, v6, v115
	;; [unrolled: 1-line block ×3, first 2 shown]
	s_waitcnt vmcnt(0)
	v_fmac_f32_e32 v114, v1, v117
	v_fmac_f32_e32 v115, v2, v118
	;; [unrolled: 1-line block ×4, first 2 shown]
	global_load_dwordx4 v[117:120], v[99:100], off offset:1024
	s_waitcnt vmcnt(0) lgkmcnt(21)
	v_fmac_f32_e32 v114, v9, v117
	v_fmac_f32_e32 v115, v10, v118
	;; [unrolled: 1-line block ×4, first 2 shown]
	global_load_dwordx4 v[117:120], v[99:100], off offset:1536
	s_waitcnt vmcnt(0) lgkmcnt(20)
	v_fmac_f32_e32 v114, v13, v117
	v_fmac_f32_e32 v115, v14, v118
	;; [unrolled: 1-line block ×4, first 2 shown]
	global_load_dwordx4 v[117:120], v[121:122], off offset:-2048
	s_waitcnt vmcnt(0) lgkmcnt(19)
	v_fmac_f32_e32 v114, v17, v117
	v_fmac_f32_e32 v115, v18, v118
	v_fmac_f32_e32 v116, v19, v119
	v_fmac_f32_e32 v113, v20, v120
	global_load_dwordx4 v[117:120], v[123:124], off offset:512
	s_waitcnt vmcnt(0) lgkmcnt(18)
	v_fmac_f32_e32 v114, v21, v117
	v_fmac_f32_e32 v115, v22, v118
	v_fmac_f32_e32 v116, v23, v119
	v_fmac_f32_e32 v113, v24, v120
	global_load_dwordx4 v[117:120], v[123:124], off offset:1024
	;; [unrolled: 6-line block ×3, first 2 shown]
	s_waitcnt vmcnt(0) lgkmcnt(16)
	v_fmac_f32_e32 v114, v29, v117
	v_fmac_f32_e32 v115, v30, v118
	;; [unrolled: 1-line block ×4, first 2 shown]
	global_load_dwordx4 v[117:120], v[121:122], off
	v_add_co_u32 v121, s1, 0x1000, v99
	v_add_co_ci_u32_e64 v122, null, 0, v100, s1
	s_waitcnt vmcnt(0) lgkmcnt(15)
	v_fmac_f32_e32 v114, v33, v117
	v_fmac_f32_e32 v115, v34, v118
	v_fmac_f32_e32 v116, v35, v119
	v_fmac_f32_e32 v113, v36, v120
	global_load_dwordx4 v[117:120], v[121:122], off offset:512
	s_waitcnt vmcnt(0) lgkmcnt(14)
	v_fmac_f32_e32 v114, v37, v117
	v_fmac_f32_e32 v115, v38, v118
	v_fmac_f32_e32 v116, v39, v119
	v_fmac_f32_e32 v113, v40, v120
	global_load_dwordx4 v[117:120], v[121:122], off offset:1024
	;; [unrolled: 6-line block ×3, first 2 shown]
	v_add_co_u32 v121, s1, v99, 0x2000
	v_add_co_ci_u32_e64 v122, null, 0, v100, s1
	v_add_co_u32 v123, s1, 0x1800, v99
	v_add_co_ci_u32_e64 v124, null, 0, v100, s1
	s_waitcnt vmcnt(0) lgkmcnt(12)
	v_fmac_f32_e32 v114, v45, v117
	v_fmac_f32_e32 v115, v46, v118
	;; [unrolled: 1-line block ×4, first 2 shown]
	global_load_dwordx4 v[117:120], v[121:122], off offset:-2048
	s_waitcnt vmcnt(0) lgkmcnt(11)
	v_fmac_f32_e32 v114, v49, v117
	v_fmac_f32_e32 v115, v50, v118
	v_fmac_f32_e32 v116, v51, v119
	v_fmac_f32_e32 v113, v52, v120
	global_load_dwordx4 v[117:120], v[123:124], off offset:512
	s_waitcnt vmcnt(0) lgkmcnt(10)
	v_fmac_f32_e32 v114, v53, v117
	v_fmac_f32_e32 v115, v54, v118
	v_fmac_f32_e32 v116, v55, v119
	v_fmac_f32_e32 v113, v56, v120
	global_load_dwordx4 v[117:120], v[123:124], off offset:1024
	;; [unrolled: 6-line block ×3, first 2 shown]
	s_waitcnt vmcnt(0) lgkmcnt(8)
	v_fmac_f32_e32 v114, v61, v117
	v_fmac_f32_e32 v115, v62, v118
	;; [unrolled: 1-line block ×4, first 2 shown]
	global_load_dwordx4 v[117:120], v[121:122], off
	v_add_co_u32 v121, s1, 0x2000, v99
	v_add_co_ci_u32_e64 v122, null, 0, v100, s1
	v_add_co_u32 v99, s1, 0x2800, v99
	v_add_co_ci_u32_e64 v100, null, 0, v100, s1
	s_waitcnt vmcnt(0) lgkmcnt(7)
	v_fmac_f32_e32 v114, v65, v117
	v_fmac_f32_e32 v115, v66, v118
	v_fmac_f32_e32 v116, v67, v119
	v_fmac_f32_e32 v113, v68, v120
	global_load_dwordx4 v[117:120], v[121:122], off offset:512
	s_waitcnt vmcnt(0) lgkmcnt(6)
	v_fmac_f32_e32 v114, v69, v117
	v_fmac_f32_e32 v115, v70, v118
	v_fmac_f32_e32 v116, v71, v119
	v_fmac_f32_e32 v113, v72, v120
	global_load_dwordx4 v[117:120], v[121:122], off offset:1024
	;; [unrolled: 6-line block ×3, first 2 shown]
	s_waitcnt vmcnt(0) lgkmcnt(4)
	v_fmac_f32_e32 v114, v77, v117
	v_fmac_f32_e32 v115, v78, v118
	;; [unrolled: 1-line block ×4, first 2 shown]
	global_load_dwordx4 v[117:120], v[99:100], off
	s_waitcnt vmcnt(0) lgkmcnt(3)
	v_fmac_f32_e32 v114, v81, v117
	v_fmac_f32_e32 v115, v82, v118
	v_fmac_f32_e32 v116, v83, v119
	v_fmac_f32_e32 v113, v84, v120
	global_load_dwordx4 v[117:120], v[99:100], off offset:512
	s_waitcnt vmcnt(0) lgkmcnt(2)
	v_fmac_f32_e32 v114, v85, v117
	v_fmac_f32_e32 v115, v86, v118
	v_fmac_f32_e32 v116, v87, v119
	v_fmac_f32_e32 v113, v88, v120
	global_load_dwordx4 v[117:120], v[99:100], off offset:1024
	;; [unrolled: 6-line block ×3, first 2 shown]
	buffer_load_dword v100, off, s[48:51], 0 offset:36 ; 4-byte Folded Reload
	s_waitcnt vmcnt(1) lgkmcnt(0)
	v_fmac_f32_e32 v114, v93, v117
	s_waitcnt vmcnt(0)
	v_add_nc_u32_e32 v100, v100, v105
	v_fmac_f32_e32 v115, v94, v118
	v_fmac_f32_e32 v116, v95, v119
	;; [unrolled: 1-line block ×3, first 2 shown]
	v_cmp_gt_i32_e64 s1, s27, v100
	v_add_nc_u32_e32 v100, v108, v105
	v_add_f32_e32 v99, v114, v115
	v_cvt_f32_i32_e32 v100, v100
	v_add_f32_e32 v99, v116, v99
	v_mul_f32_e32 v100, s39, v100
	v_add_f32_e32 v99, v113, v99
	v_cndmask_b32_e32 v100, 0, v100, vcc_lo
	v_fmac_f32_e32 v100, s3, v99
	v_max_f32_e32 v99, v104, v104
	v_max_f32_e32 v99, v99, v100
	v_cndmask_b32_e64 v104, v104, v99, s1
	v_cndmask_b32_e64 v99, 0, v100, s1
	ds_write_b32 v109, v99
	s_branch .LBB48_11
.LBB48_16:
	s_or_b32 exec_lo, exec_lo, s15
	s_waitcnt lgkmcnt(12)
	v_mov_b32_e32 v47, v125
	v_mov_b32_e32 v48, v126
.LBB48_17:
	s_or_b32 exec_lo, exec_lo, s41
	v_mbcnt_lo_u32_b32 v1, -1, 0
	v_max_f32_e32 v5, v104, v104
	v_xor_b32_e32 v2, 16, v1
	v_xor_b32_e32 v4, 8, v1
	v_cmp_gt_i32_e32 vcc_lo, 32, v2
	v_cndmask_b32_e32 v2, v1, v2, vcc_lo
	v_cmp_gt_i32_e32 vcc_lo, 32, v4
	v_lshlrev_b32_e32 v2, 2, v2
	v_cndmask_b32_e32 v4, v1, v4, vcc_lo
	ds_bpermute_b32 v3, v2, v104
	s_waitcnt lgkmcnt(0)
	v_max_f32_e32 v6, v3, v3
	v_lshlrev_b32_e32 v3, 2, v4
	v_max_f32_e32 v4, v5, v6
	v_xor_b32_e32 v6, 4, v1
	ds_bpermute_b32 v5, v3, v4
	v_cmp_gt_i32_e32 vcc_lo, 32, v6
	v_cndmask_b32_e32 v6, v1, v6, vcc_lo
	v_lshlrev_b32_e32 v109, 2, v6
	v_xor_b32_e32 v6, 2, v1
	v_cmp_gt_i32_e32 vcc_lo, 32, v6
	s_waitcnt lgkmcnt(0)
	v_max_f32_e32 v5, v5, v5
	v_cndmask_b32_e32 v6, v1, v6, vcc_lo
	v_max_f32_e32 v4, v4, v5
	v_lshlrev_b32_e32 v108, 2, v6
	v_xor_b32_e32 v6, 1, v1
	ds_bpermute_b32 v5, v109, v4
	v_cmp_gt_i32_e32 vcc_lo, 32, v6
	v_cndmask_b32_e32 v6, v1, v6, vcc_lo
	v_lshlrev_b32_e32 v107, 2, v6
	s_waitcnt lgkmcnt(0)
	v_max_f32_e32 v5, v5, v5
	v_max_f32_e32 v4, v4, v5
	ds_bpermute_b32 v5, v108, v4
	s_waitcnt lgkmcnt(0)
	v_max_f32_e32 v5, v5, v5
	v_max_f32_e32 v1, v4, v5
	buffer_load_dword v5, off, s[48:51], 0 offset:36 ; 4-byte Folded Reload
	ds_bpermute_b32 v4, v107, v1
	s_waitcnt vmcnt(0)
	v_cmp_eq_u32_e32 vcc_lo, 0, v5
	v_lshlrev_b32_e32 v5, 2, v48
	s_and_saveexec_b32 s1, vcc_lo
	s_cbranch_execz .LBB48_19
; %bb.18:
	s_waitcnt lgkmcnt(0)
	v_max_f32_e32 v4, v4, v4
	v_max_f32_e32 v1, v1, v1
	;; [unrolled: 1-line block ×3, first 2 shown]
	ds_write_b32 v5, v1 offset:384
.LBB48_19:
	s_or_b32 exec_lo, exec_lo, s1
	buffer_load_dword v1, off, s[48:51], 0 offset:36 ; 4-byte Folded Reload
	s_waitcnt vmcnt(0) lgkmcnt(0)
	s_waitcnt_vscnt null, 0x0
	s_barrier
	buffer_gl0_inv
	v_cmp_gt_u32_e64 s1, 4, v1
	v_mov_b32_e32 v1, 0xff7fffff
	s_and_saveexec_b32 s2, s1
; %bb.20:
	ds_read_b32 v1, v0 offset:384
; %bb.21:
	s_or_b32 exec_lo, exec_lo, s2
	s_waitcnt lgkmcnt(0)
	ds_bpermute_b32 v4, v108, v1
	v_max_f32_e32 v1, v1, v1
	v_mov_b32_e32 v6, 0
	s_sub_i32 s2, s16, s40
	s_lshl_b32 s2, s2, 5
	s_add_i32 s2, s2, s37
	s_min_i32 s2, s2, s27
	s_sub_i32 s4, s2, s37
	v_cmp_gt_i32_e64 s2, s4, v47
	s_waitcnt lgkmcnt(0)
	v_max_f32_e32 v4, v4, v4
	v_max_f32_e32 v1, v1, v4
	ds_bpermute_b32 v4, v107, v1
	s_waitcnt lgkmcnt(0)
	v_max_f32_e32 v4, v4, v4
	v_max_f32_e32 v1, v1, v4
	v_lshl_add_u32 v4, v47, 2, 0x1a0
	ds_bpermute_b32 v1, v6, v1
	s_and_saveexec_b32 s5, s2
	s_cbranch_execz .LBB48_25
; %bb.22:
	v_lshl_add_u32 v7, v47, 2, 0x1a0
	v_mov_b32_e32 v6, 0
	v_mov_b32_e32 v8, v47
	s_mov_b32 s15, 0
	.p2align	6
.LBB48_23:                              ; =>This Inner Loop Header: Depth=1
	ds_read_b32 v9, v7
	v_add_nc_u32_e32 v8, 0x80, v8
	v_cmp_le_i32_e64 s3, s4, v8
	s_or_b32 s15, s3, s15
	s_waitcnt lgkmcnt(0)
	v_sub_f32_e32 v9, v9, v1
	v_mul_f32_e32 v9, 0x3fb8aa3b, v9
	v_exp_f32_e32 v9, v9
	ds_write_b32 v7, v9
	v_add_f32_e32 v6, v6, v9
	v_add_nc_u32_e32 v7, 0x200, v7
	s_andn2_b32 exec_lo, exec_lo, s15
	s_cbranch_execnz .LBB48_23
; %bb.24:
	s_or_b32 exec_lo, exec_lo, s15
.LBB48_25:
	s_or_b32 exec_lo, exec_lo, s5
	ds_bpermute_b32 v2, v2, v6
	s_waitcnt lgkmcnt(0)
	v_add_f32_e32 v2, v6, v2
	ds_bpermute_b32 v3, v3, v2
	s_waitcnt lgkmcnt(0)
	v_add_f32_e32 v2, v2, v3
	;; [unrolled: 3-line block ×5, first 2 shown]
	s_and_saveexec_b32 s3, vcc_lo
; %bb.26:
	ds_write_b32 v5, v2 offset:400
; %bb.27:
	s_or_b32 exec_lo, exec_lo, s3
	s_waitcnt lgkmcnt(0)
	s_barrier
	buffer_gl0_inv
	s_and_saveexec_b32 s3, s1
; %bb.28:
	ds_read_b32 v2, v0 offset:400
; %bb.29:
	s_or_b32 exec_lo, exec_lo, s3
	s_waitcnt lgkmcnt(0)
	ds_bpermute_b32 v0, v108, v2
	s_waitcnt lgkmcnt(0)
	v_add_f32_e32 v0, v2, v0
	ds_bpermute_b32 v2, v107, v0
	s_waitcnt lgkmcnt(0)
	v_add_f32_e32 v0, v0, v2
	v_mov_b32_e32 v2, 0
	ds_bpermute_b32 v0, v2, v0
	s_and_saveexec_b32 s1, s2
	s_cbranch_execz .LBB48_32
; %bb.30:
	s_waitcnt lgkmcnt(0)
	v_add_f32_e32 v2, 0x358637bd, v0
	s_mov_b32 s2, 0
	v_div_scale_f32 v3, null, v2, v2, 1.0
	v_div_scale_f32 v7, vcc_lo, 1.0, v2, 1.0
	v_rcp_f32_e32 v5, v3
	v_fma_f32 v6, -v3, v5, 1.0
	v_fmac_f32_e32 v5, v6, v5
	v_mul_f32_e32 v6, v7, v5
	v_fma_f32 v8, -v3, v6, v7
	v_fmac_f32_e32 v6, v8, v5
	v_fma_f32 v3, -v3, v6, v7
	v_div_fmas_f32 v3, v3, v5, v6
	v_div_fixup_f32 v2, v3, v2, 1.0
	v_mov_b32_e32 v3, v47
.LBB48_31:                              ; =>This Inner Loop Header: Depth=1
	ds_read_b32 v5, v4
	v_add_nc_u32_e32 v3, 0x80, v3
	v_cmp_le_i32_e32 vcc_lo, s4, v3
	s_or_b32 s2, vcc_lo, s2
	s_waitcnt lgkmcnt(0)
	v_mul_f32_e32 v5, v2, v5
	ds_write_b32 v4, v5
	v_add_nc_u32_e32 v4, 0x200, v4
	s_andn2_b32 exec_lo, exec_lo, s2
	s_cbranch_execnz .LBB48_31
.LBB48_32:
	s_or_b32 exec_lo, exec_lo, s1
	s_mul_i32 s1, s7, s26
	s_waitcnt lgkmcnt(0)
	s_mul_i32 s2, s1, s9
	s_mov_b32 s1, exec_lo
	s_barrier
	buffer_gl0_inv
	v_cmpx_eq_u32_e32 0, v47
	s_cbranch_execz .LBB48_34
; %bb.33:
	s_ashr_i32 s3, s2, 31
	s_mul_i32 s40, s7, s6
	s_lshl_b64 s[4:5], s[2:3], 2
	v_mov_b32_e32 v2, 0
	s_add_u32 s3, s22, s4
	s_addc_u32 s6, s23, s5
	s_ashr_i32 s41, s40, 31
	s_lshl_b64 s[22:23], s[40:41], 2
	s_add_u32 s3, s3, s22
	s_addc_u32 s6, s6, s23
	s_ashr_i32 s9, s8, 31
	s_lshl_b64 s[40:41], s[8:9], 2
	s_add_u32 s42, s3, s40
	s_addc_u32 s43, s6, s41
	s_add_u32 s3, s20, s4
	s_addc_u32 s4, s21, s5
	;; [unrolled: 2-line block ×4, first 2 shown]
	global_store_dword v2, v1, s[42:43]
	global_store_dword v2, v0, s[4:5]
.LBB48_34:
	s_or_b32 exec_lo, exec_lo, s1
	v_mov_b32_e32 v19, 0
	v_and_b32_e32 v49, 7, v47
	v_mov_b32_e32 v20, 0
	v_mov_b32_e32 v0, 0
	;; [unrolled: 1-line block ×23, first 2 shown]
	s_and_saveexec_b32 s1, s0
	s_cbranch_execz .LBB48_88
; %bb.35:
	s_ashr_i32 s15, s14, 31
	s_sub_i32 s3, s38, s17
	s_lshl_b64 s[4:5], s[14:15], 2
	v_lshlrev_b32_e32 v2, 2, v47
	s_add_u32 s0, s34, s4
	s_addc_u32 s6, s35, s5
	s_abs_i32 s4, s18
	v_and_b32_e32 v4, 0x1f0, v103
	v_cvt_f32_u32_e32 v3, s4
	v_and_b32_e32 v2, 28, v2
	s_sub_i32 s5, 0, s4
	v_lshlrev_b64 v[0:1], 2, v[101:102]
	v_add_co_u32 v4, s0, s0, v4
	v_rcp_iflag_f32_e32 v3, v3
	buffer_store_dword v2, off, s[48:51], 0 offset:40 ; 4-byte Folded Spill
	v_lshlrev_b32_e32 v5, 4, v49
	s_lshl_b64 s[14:15], s[30:31], 2
	buffer_store_dword v4, off, s[48:51], 0 offset:44 ; 4-byte Folded Spill
	v_add_co_ci_u32_e64 v4, null, s6, 0, s0
	v_lshl_or_b32 v5, v48, 7, v5
	v_mov_b32_e32 v119, 0
	v_mov_b32_e32 v120, 0
	v_mul_f32_e32 v3, 0x4f7ffffe, v3
	v_mov_b32_e32 v121, 0
	v_mov_b32_e32 v122, 0
	;; [unrolled: 1-line block ×4, first 2 shown]
	v_cvt_u32_f32_e32 v3, v3
	v_mov_b32_e32 v125, 0
	v_mov_b32_e32 v126, 0
	;; [unrolled: 1-line block ×4, first 2 shown]
	v_mul_lo_u32 v2, s5, v3
	s_add_i32 s5, s36, -1
	s_add_u32 s0, s28, s14
	s_addc_u32 s6, s29, s15
	v_add_co_u32 v102, vcc_lo, s0, v0
	v_mov_b32_e32 v104, 0
	v_mov_b32_e32 v105, 0
	v_mul_hi_u32 v2, v3, v2
	v_mov_b32_e32 v111, 0
	v_mov_b32_e32 v23, 0
	;; [unrolled: 1-line block ×4, first 2 shown]
	v_add_nc_u32_e32 v114, 0x1a0, v5
	v_add_co_ci_u32_e64 v103, null, s6, v1, vcc_lo
	v_add_nc_u32_e32 v0, v3, v2
	v_mov_b32_e32 v24, 0
	v_mov_b32_e32 v26, 0
	;; [unrolled: 1-line block ×4, first 2 shown]
	buffer_store_dword v0, off, s[48:51], 0 ; 4-byte Folded Spill
	v_mov_b32_e32 v18, 0
	v_mov_b32_e32 v0, 0
	;; [unrolled: 1-line block ×4, first 2 shown]
	s_mov_b32 s9, s13
	s_mov_b32 s6, 0
	buffer_store_dword v47, off, s[48:51], 0 offset:52 ; 4-byte Folded Spill
	buffer_store_dword v49, off, s[48:51], 0 offset:60 ; 4-byte Folded Spill
	;; [unrolled: 1-line block ×4, first 2 shown]
	s_branch .LBB48_38
.LBB48_36:                              ;   in Loop: Header=BB48_38 Depth=1
	s_or_b32 exec_lo, exec_lo, s0
	s_waitcnt vmcnt(19) lgkmcnt(0)
	v_mul_f32_e32 v21, v1, v21
	s_waitcnt vmcnt(18)
	v_mul_f32_e32 v25, v1, v25
	v_mul_f32_e32 v17, v1, v17
	s_waitcnt vmcnt(1)
	v_mul_f32_e32 v97, v1, v97
	v_mul_f32_e32 v93, v1, v93
	v_fmac_f32_e32 v21, v2, v22
	v_fmac_f32_e32 v25, v2, v26
	;; [unrolled: 1-line block ×3, first 2 shown]
	v_mul_f32_e32 v89, v1, v89
	v_mul_f32_e32 v85, v1, v85
	v_fmac_f32_e32 v21, v3, v23
	v_fmac_f32_e32 v25, v3, v27
	;; [unrolled: 1-line block ×3, first 2 shown]
	v_mov_b32_e32 v23, v0
	v_mul_f32_e32 v81, v1, v81
	v_fmac_f32_e32 v21, v4, v24
	s_clause 0x4
	buffer_load_dword v24, off, s[48:51], 0 offset:4
	buffer_load_dword v26, off, s[48:51], 0 offset:8
	;; [unrolled: 1-line block ×5, first 2 shown]
	v_fmac_f32_e32 v25, v4, v28
	v_fmac_f32_e32 v17, v4, v20
	v_mul_f32_e32 v77, v1, v77
	v_mul_f32_e32 v73, v1, v73
	;; [unrolled: 1-line block ×15, first 2 shown]
	s_waitcnt vmcnt(5)
	v_mul_f32_e32 v1, v1, v69
	v_fmac_f32_e32 v97, v2, v98
	v_fmac_f32_e32 v93, v2, v94
	;; [unrolled: 1-line block ×63, first 2 shown]
	v_add_f32_e32 v120, v120, v97
	v_add_f32_e32 v121, v121, v93
	v_add_f32_e32 v122, v122, v89
	v_add_f32_e32 v123, v123, v85
	v_add_f32_e32 v124, v124, v81
	v_add_f32_e32 v125, v125, v77
	v_add_f32_e32 v126, v126, v73
	v_add_f32_e32 v127, v127, v65
	v_add_f32_e32 v110, v110, v61
	v_add_f32_e32 v104, v104, v57
	v_add_f32_e32 v105, v105, v53
	v_add_f32_e32 v111, v111, v49
	v_add_f32_e32 v23, v23, v45
	v_add_f32_e32 v112, v112, v41
	v_add_f32_e32 v113, v113, v37
	v_add_f32_e32 v119, v119, v1
	s_clause 0x1
	buffer_load_dword v0, off, s[48:51], 0 offset:24
	buffer_load_dword v20, off, s[48:51], 0 offset:32
	s_waitcnt vmcnt(6)
	v_add_f32_e32 v24, v24, v33
	s_waitcnt vmcnt(5)
	v_add_f32_e32 v26, v26, v29
	;; [unrolled: 2-line block ×3, first 2 shown]
	buffer_load_dword v25, off, s[48:51], 0 offset:16 ; 4-byte Folded Reload
	s_waitcnt vmcnt(4)
	v_add_f32_e32 v18, v18, v17
	s_waitcnt vmcnt(3)
	v_add_f32_e32 v19, v19, v5
	;; [unrolled: 2-line block ×5, first 2 shown]
.LBB48_37:                              ;   in Loop: Header=BB48_38 Depth=1
	s_or_b32 exec_lo, exec_lo, s13
	v_add_nc_u32_e32 v101, 4, v101
	v_add_co_u32 v102, s0, v102, 16
	v_add_co_ci_u32_e64 v103, null, 0, v103, s0
	v_cmp_le_i32_e32 vcc_lo, s16, v101
	v_add_nc_u32_e32 v106, 0x80, v106
	v_add_nc_u32_e32 v114, 0x200, v114
	s_or_b32 s6, vcc_lo, s6
	s_andn2_b32 exec_lo, exec_lo, s6
	s_cbranch_execz .LBB48_87
.LBB48_38:                              ; =>This Inner Loop Header: Depth=1
	v_sub_nc_u32_e32 v1, 0, v106
	v_max_i32_e32 v1, v106, v1
	v_mul_hi_u32 v2, v1, s12
	v_mul_lo_u32 v3, v2, s11
	v_sub_nc_u32_e32 v1, v1, v3
	v_add_nc_u32_e32 v3, 1, v2
	v_subrev_nc_u32_e32 v4, s11, v1
	v_cmp_le_u32_e32 vcc_lo, s11, v1
	v_cndmask_b32_e32 v2, v2, v3, vcc_lo
	v_cndmask_b32_e32 v1, v1, v4, vcc_lo
	v_ashrrev_i32_e32 v3, 31, v106
	v_add_nc_u32_e32 v4, 1, v2
	v_cmp_le_u32_e32 vcc_lo, s11, v1
	v_xor_b32_e32 v3, s19, v3
	v_cndmask_b32_e32 v1, v2, v4, vcc_lo
	buffer_load_dword v4, off, s[48:51], 0  ; 4-byte Folded Reload
	v_xor_b32_e32 v1, v1, v3
	v_sub_nc_u32_e32 v1, v1, v3
	v_add_nc_u32_e32 v2, s33, v1
	v_cmp_lt_i32_e64 s0, s3, v1
	v_sub_nc_u32_e32 v3, 0, v2
	v_max_i32_e32 v3, v2, v3
	v_ashrrev_i32_e32 v2, 31, v2
	s_waitcnt vmcnt(0)
	v_mul_hi_u32 v4, v3, v4
	v_mul_lo_u32 v4, v4, s4
	v_sub_nc_u32_e32 v3, v3, v4
	v_subrev_nc_u32_e32 v4, s4, v3
	v_cmp_le_u32_e32 vcc_lo, s4, v3
	v_cndmask_b32_e32 v3, v3, v4, vcc_lo
	v_subrev_nc_u32_e32 v4, s4, v3
	v_cmp_le_u32_e32 vcc_lo, s4, v3
	v_cndmask_b32_e32 v3, v3, v4, vcc_lo
	v_xor_b32_e32 v3, v3, v2
	v_sub_nc_u32_e32 v2, v3, v2
	v_cmp_eq_u32_e32 vcc_lo, 0, v2
	s_or_b32 s0, vcc_lo, s0
	s_and_saveexec_b32 s13, s0
	s_cbranch_execz .LBB48_37
; %bb.39:                               ;   in Loop: Header=BB48_38 Depth=1
	buffer_store_dword v20, off, s[48:51], 0 offset:32 ; 4-byte Folded Spill
	buffer_store_dword v19, off, s[48:51], 0 offset:28 ; 4-byte Folded Spill
	;; [unrolled: 1-line block ×8, first 2 shown]
	global_load_dword v1, v[102:103], off
	s_clause 0x1
	buffer_load_dword v3, off, s[48:51], 0 offset:44
	buffer_load_dword v9, off, s[48:51], 0 offset:40
	v_mov_b32_e32 v0, v23
	s_waitcnt vmcnt(2)
	v_mad_i64_i32 v[1:2], null, v1, s9, 0
	s_waitcnt vmcnt(0)
	v_add_nc_u32_e32 v117, v9, v106
	v_add_nc_u32_e32 v115, 1, v117
	v_lshlrev_b64 v[1:2], 2, v[1:2]
	v_add_nc_u32_e32 v118, 2, v117
	v_add_nc_u32_e32 v116, 3, v117
	v_add_co_u32 v69, vcc_lo, v3, v1
	buffer_load_dword v1, off, s[48:51], 0 offset:48 ; 4-byte Folded Reload
	s_waitcnt vmcnt(0)
	v_add_co_ci_u32_e64 v70, null, v1, v2, vcc_lo
	ds_read_b128 v[1:4], v114
	v_cmp_eq_u32_e32 vcc_lo, s5, v101
	global_load_dwordx4 v[5:8], v[69:70], off
	s_and_saveexec_b32 s14, vcc_lo
	s_cbranch_execnz .LBB48_68
; %bb.40:                               ;   in Loop: Header=BB48_38 Depth=1
	s_or_b32 exec_lo, exec_lo, s14
	global_load_dwordx4 v[9:12], v[69:70], off offset:512
	s_and_saveexec_b32 s14, vcc_lo
	s_cbranch_execnz .LBB48_69
.LBB48_41:                              ;   in Loop: Header=BB48_38 Depth=1
	s_or_b32 exec_lo, exec_lo, s14
	global_load_dwordx4 v[13:16], v[69:70], off offset:1024
	s_and_saveexec_b32 s14, vcc_lo
	s_cbranch_execnz .LBB48_70
.LBB48_42:                              ;   in Loop: Header=BB48_38 Depth=1
	s_or_b32 exec_lo, exec_lo, s14
	global_load_dwordx4 v[17:20], v[69:70], off offset:1536
	s_and_saveexec_b32 s14, vcc_lo
	s_cbranch_execz .LBB48_44
.LBB48_43:                              ;   in Loop: Header=BB48_38 Depth=1
	v_cmp_gt_i32_e64 s0, s27, v117
	s_waitcnt vmcnt(0)
	v_cndmask_b32_e64 v17, 0, v17, s0
	v_cmp_gt_i32_e64 s0, s27, v115
	v_cndmask_b32_e64 v18, 0, v18, s0
	v_cmp_gt_i32_e64 s0, s27, v118
	;; [unrolled: 2-line block ×3, first 2 shown]
	v_cndmask_b32_e64 v20, 0, v20, s0
.LBB48_44:                              ;   in Loop: Header=BB48_38 Depth=1
	s_or_b32 exec_lo, exec_lo, s14
	v_add_co_u32 v33, s0, 0x800, v69
	v_add_co_ci_u32_e64 v34, null, 0, v70, s0
	global_load_dwordx4 v[21:24], v[33:34], off
	s_and_saveexec_b32 s14, vcc_lo
	s_cbranch_execnz .LBB48_71
; %bb.45:                               ;   in Loop: Header=BB48_38 Depth=1
	s_or_b32 exec_lo, exec_lo, s14
	global_load_dwordx4 v[25:28], v[33:34], off offset:512
	s_and_saveexec_b32 s14, vcc_lo
	s_cbranch_execnz .LBB48_72
.LBB48_46:                              ;   in Loop: Header=BB48_38 Depth=1
	s_or_b32 exec_lo, exec_lo, s14
	global_load_dwordx4 v[29:32], v[33:34], off offset:1024
	s_and_saveexec_b32 s14, vcc_lo
	s_cbranch_execnz .LBB48_73
.LBB48_47:                              ;   in Loop: Header=BB48_38 Depth=1
	s_or_b32 exec_lo, exec_lo, s14
	global_load_dwordx4 v[33:36], v[33:34], off offset:1536
	s_and_saveexec_b32 s14, vcc_lo
	s_cbranch_execz .LBB48_49
.LBB48_48:                              ;   in Loop: Header=BB48_38 Depth=1
	v_cmp_gt_i32_e64 s0, s27, v117
	s_waitcnt vmcnt(0)
	v_cndmask_b32_e64 v33, 0, v33, s0
	v_cmp_gt_i32_e64 s0, s27, v115
	v_cndmask_b32_e64 v34, 0, v34, s0
	v_cmp_gt_i32_e64 s0, s27, v118
	v_cndmask_b32_e64 v35, 0, v35, s0
	v_cmp_gt_i32_e64 s0, s27, v116
	v_cndmask_b32_e64 v36, 0, v36, s0
.LBB48_49:                              ;   in Loop: Header=BB48_38 Depth=1
	s_or_b32 exec_lo, exec_lo, s14
	v_add_co_u32 v49, s0, 0x1000, v69
	v_add_co_ci_u32_e64 v50, null, 0, v70, s0
	global_load_dwordx4 v[37:40], v[49:50], off
	s_and_saveexec_b32 s14, vcc_lo
	s_cbranch_execnz .LBB48_74
; %bb.50:                               ;   in Loop: Header=BB48_38 Depth=1
	s_or_b32 exec_lo, exec_lo, s14
	global_load_dwordx4 v[41:44], v[49:50], off offset:512
	s_and_saveexec_b32 s14, vcc_lo
	s_cbranch_execnz .LBB48_75
.LBB48_51:                              ;   in Loop: Header=BB48_38 Depth=1
	s_or_b32 exec_lo, exec_lo, s14
	global_load_dwordx4 v[45:48], v[49:50], off offset:1024
	s_and_saveexec_b32 s14, vcc_lo
	s_cbranch_execnz .LBB48_76
.LBB48_52:                              ;   in Loop: Header=BB48_38 Depth=1
	s_or_b32 exec_lo, exec_lo, s14
	global_load_dwordx4 v[49:52], v[49:50], off offset:1536
	s_and_saveexec_b32 s14, vcc_lo
	s_cbranch_execz .LBB48_54
.LBB48_53:                              ;   in Loop: Header=BB48_38 Depth=1
	v_cmp_gt_i32_e64 s0, s27, v117
	s_waitcnt vmcnt(0)
	v_cndmask_b32_e64 v49, 0, v49, s0
	v_cmp_gt_i32_e64 s0, s27, v115
	v_cndmask_b32_e64 v50, 0, v50, s0
	v_cmp_gt_i32_e64 s0, s27, v118
	;; [unrolled: 2-line block ×3, first 2 shown]
	v_cndmask_b32_e64 v52, 0, v52, s0
.LBB48_54:                              ;   in Loop: Header=BB48_38 Depth=1
	s_or_b32 exec_lo, exec_lo, s14
	v_add_co_u32 v65, s0, 0x1800, v69
	v_add_co_ci_u32_e64 v66, null, 0, v70, s0
	global_load_dwordx4 v[53:56], v[65:66], off
	s_and_saveexec_b32 s14, vcc_lo
	s_cbranch_execnz .LBB48_77
; %bb.55:                               ;   in Loop: Header=BB48_38 Depth=1
	s_or_b32 exec_lo, exec_lo, s14
	global_load_dwordx4 v[57:60], v[65:66], off offset:512
	s_and_saveexec_b32 s14, vcc_lo
	s_cbranch_execnz .LBB48_78
.LBB48_56:                              ;   in Loop: Header=BB48_38 Depth=1
	s_or_b32 exec_lo, exec_lo, s14
	global_load_dwordx4 v[61:64], v[65:66], off offset:1024
	s_and_saveexec_b32 s14, vcc_lo
	s_cbranch_execnz .LBB48_79
.LBB48_57:                              ;   in Loop: Header=BB48_38 Depth=1
	s_or_b32 exec_lo, exec_lo, s14
	global_load_dwordx4 v[65:68], v[65:66], off offset:1536
	s_and_saveexec_b32 s14, vcc_lo
	s_cbranch_execz .LBB48_59
.LBB48_58:                              ;   in Loop: Header=BB48_38 Depth=1
	v_cmp_gt_i32_e64 s0, s27, v117
	s_waitcnt vmcnt(0)
	v_cndmask_b32_e64 v65, 0, v65, s0
	v_cmp_gt_i32_e64 s0, s27, v115
	v_cndmask_b32_e64 v66, 0, v66, s0
	v_cmp_gt_i32_e64 s0, s27, v118
	;; [unrolled: 2-line block ×3, first 2 shown]
	v_cndmask_b32_e64 v68, 0, v68, s0
.LBB48_59:                              ;   in Loop: Header=BB48_38 Depth=1
	s_or_b32 exec_lo, exec_lo, s14
	v_add_co_u32 v71, s0, 0x2000, v69
	v_add_co_ci_u32_e64 v72, null, 0, v70, s0
	global_load_dwordx4 v[73:76], v[71:72], off
	s_and_saveexec_b32 s14, vcc_lo
	s_cbranch_execnz .LBB48_80
; %bb.60:                               ;   in Loop: Header=BB48_38 Depth=1
	s_or_b32 exec_lo, exec_lo, s14
	global_load_dwordx4 v[77:80], v[71:72], off offset:512
	s_and_saveexec_b32 s14, vcc_lo
	s_cbranch_execnz .LBB48_81
.LBB48_61:                              ;   in Loop: Header=BB48_38 Depth=1
	s_or_b32 exec_lo, exec_lo, s14
	global_load_dwordx4 v[81:84], v[71:72], off offset:1024
	s_and_saveexec_b32 s14, vcc_lo
	s_cbranch_execnz .LBB48_82
.LBB48_62:                              ;   in Loop: Header=BB48_38 Depth=1
	s_or_b32 exec_lo, exec_lo, s14
	global_load_dwordx4 v[85:88], v[71:72], off offset:1536
	s_and_saveexec_b32 s14, vcc_lo
	s_cbranch_execz .LBB48_64
.LBB48_63:                              ;   in Loop: Header=BB48_38 Depth=1
	v_cmp_gt_i32_e64 s0, s27, v117
	s_waitcnt vmcnt(0)
	v_cndmask_b32_e64 v85, 0, v85, s0
	v_cmp_gt_i32_e64 s0, s27, v115
	v_cndmask_b32_e64 v86, 0, v86, s0
	v_cmp_gt_i32_e64 s0, s27, v118
	;; [unrolled: 2-line block ×3, first 2 shown]
	v_cndmask_b32_e64 v88, 0, v88, s0
.LBB48_64:                              ;   in Loop: Header=BB48_38 Depth=1
	s_or_b32 exec_lo, exec_lo, s14
	v_add_co_u32 v69, s0, 0x2800, v69
	v_add_co_ci_u32_e64 v70, null, 0, v70, s0
	global_load_dwordx4 v[89:92], v[69:70], off
	s_and_saveexec_b32 s14, vcc_lo
	s_cbranch_execnz .LBB48_83
; %bb.65:                               ;   in Loop: Header=BB48_38 Depth=1
	s_or_b32 exec_lo, exec_lo, s14
	global_load_dwordx4 v[93:96], v[69:70], off offset:512
	s_and_saveexec_b32 s14, vcc_lo
	s_cbranch_execnz .LBB48_84
.LBB48_66:                              ;   in Loop: Header=BB48_38 Depth=1
	s_or_b32 exec_lo, exec_lo, s14
	global_load_dwordx4 v[97:100], v[69:70], off offset:1024
	s_and_saveexec_b32 s14, vcc_lo
	s_cbranch_execnz .LBB48_85
.LBB48_67:                              ;   in Loop: Header=BB48_38 Depth=1
	s_or_b32 exec_lo, exec_lo, s14
	global_load_dwordx4 v[69:72], v[69:70], off offset:1536
	s_and_saveexec_b32 s0, vcc_lo
	s_cbranch_execz .LBB48_36
	s_branch .LBB48_86
.LBB48_68:                              ;   in Loop: Header=BB48_38 Depth=1
	v_cmp_gt_i32_e64 s0, s27, v117
	s_waitcnt vmcnt(0)
	v_cndmask_b32_e64 v5, 0, v5, s0
	v_cmp_gt_i32_e64 s0, s27, v115
	v_cndmask_b32_e64 v6, 0, v6, s0
	v_cmp_gt_i32_e64 s0, s27, v118
	;; [unrolled: 2-line block ×3, first 2 shown]
	v_cndmask_b32_e64 v8, 0, v8, s0
	s_or_b32 exec_lo, exec_lo, s14
	global_load_dwordx4 v[9:12], v[69:70], off offset:512
	s_and_saveexec_b32 s14, vcc_lo
	s_cbranch_execz .LBB48_41
.LBB48_69:                              ;   in Loop: Header=BB48_38 Depth=1
	v_cmp_gt_i32_e64 s0, s27, v117
	s_waitcnt vmcnt(0)
	v_cndmask_b32_e64 v9, 0, v9, s0
	v_cmp_gt_i32_e64 s0, s27, v115
	v_cndmask_b32_e64 v10, 0, v10, s0
	v_cmp_gt_i32_e64 s0, s27, v118
	;; [unrolled: 2-line block ×3, first 2 shown]
	v_cndmask_b32_e64 v12, 0, v12, s0
	s_or_b32 exec_lo, exec_lo, s14
	global_load_dwordx4 v[13:16], v[69:70], off offset:1024
	s_and_saveexec_b32 s14, vcc_lo
	s_cbranch_execz .LBB48_42
.LBB48_70:                              ;   in Loop: Header=BB48_38 Depth=1
	v_cmp_gt_i32_e64 s0, s27, v117
	s_waitcnt vmcnt(0)
	v_cndmask_b32_e64 v13, 0, v13, s0
	v_cmp_gt_i32_e64 s0, s27, v115
	v_cndmask_b32_e64 v14, 0, v14, s0
	v_cmp_gt_i32_e64 s0, s27, v118
	;; [unrolled: 2-line block ×3, first 2 shown]
	v_cndmask_b32_e64 v16, 0, v16, s0
	s_or_b32 exec_lo, exec_lo, s14
	global_load_dwordx4 v[17:20], v[69:70], off offset:1536
	s_and_saveexec_b32 s14, vcc_lo
	s_cbranch_execnz .LBB48_43
	s_branch .LBB48_44
.LBB48_71:                              ;   in Loop: Header=BB48_38 Depth=1
	v_cmp_gt_i32_e64 s0, s27, v117
	s_waitcnt vmcnt(0)
	v_cndmask_b32_e64 v21, 0, v21, s0
	v_cmp_gt_i32_e64 s0, s27, v115
	v_cndmask_b32_e64 v22, 0, v22, s0
	v_cmp_gt_i32_e64 s0, s27, v118
	;; [unrolled: 2-line block ×3, first 2 shown]
	v_cndmask_b32_e64 v24, 0, v24, s0
	s_or_b32 exec_lo, exec_lo, s14
	global_load_dwordx4 v[25:28], v[33:34], off offset:512
	s_and_saveexec_b32 s14, vcc_lo
	s_cbranch_execz .LBB48_46
.LBB48_72:                              ;   in Loop: Header=BB48_38 Depth=1
	v_cmp_gt_i32_e64 s0, s27, v117
	s_waitcnt vmcnt(0)
	v_cndmask_b32_e64 v25, 0, v25, s0
	v_cmp_gt_i32_e64 s0, s27, v115
	v_cndmask_b32_e64 v26, 0, v26, s0
	v_cmp_gt_i32_e64 s0, s27, v118
	;; [unrolled: 2-line block ×3, first 2 shown]
	v_cndmask_b32_e64 v28, 0, v28, s0
	s_or_b32 exec_lo, exec_lo, s14
	global_load_dwordx4 v[29:32], v[33:34], off offset:1024
	s_and_saveexec_b32 s14, vcc_lo
	s_cbranch_execz .LBB48_47
.LBB48_73:                              ;   in Loop: Header=BB48_38 Depth=1
	v_cmp_gt_i32_e64 s0, s27, v117
	s_waitcnt vmcnt(0)
	v_cndmask_b32_e64 v29, 0, v29, s0
	v_cmp_gt_i32_e64 s0, s27, v115
	v_cndmask_b32_e64 v30, 0, v30, s0
	v_cmp_gt_i32_e64 s0, s27, v118
	;; [unrolled: 2-line block ×3, first 2 shown]
	v_cndmask_b32_e64 v32, 0, v32, s0
	s_or_b32 exec_lo, exec_lo, s14
	global_load_dwordx4 v[33:36], v[33:34], off offset:1536
	s_and_saveexec_b32 s14, vcc_lo
	s_cbranch_execnz .LBB48_48
	s_branch .LBB48_49
.LBB48_74:                              ;   in Loop: Header=BB48_38 Depth=1
	v_cmp_gt_i32_e64 s0, s27, v117
	s_waitcnt vmcnt(0)
	v_cndmask_b32_e64 v37, 0, v37, s0
	v_cmp_gt_i32_e64 s0, s27, v115
	v_cndmask_b32_e64 v38, 0, v38, s0
	v_cmp_gt_i32_e64 s0, s27, v118
	;; [unrolled: 2-line block ×3, first 2 shown]
	v_cndmask_b32_e64 v40, 0, v40, s0
	s_or_b32 exec_lo, exec_lo, s14
	global_load_dwordx4 v[41:44], v[49:50], off offset:512
	s_and_saveexec_b32 s14, vcc_lo
	s_cbranch_execz .LBB48_51
.LBB48_75:                              ;   in Loop: Header=BB48_38 Depth=1
	v_cmp_gt_i32_e64 s0, s27, v117
	s_waitcnt vmcnt(0)
	v_cndmask_b32_e64 v41, 0, v41, s0
	v_cmp_gt_i32_e64 s0, s27, v115
	v_cndmask_b32_e64 v42, 0, v42, s0
	v_cmp_gt_i32_e64 s0, s27, v118
	;; [unrolled: 2-line block ×3, first 2 shown]
	v_cndmask_b32_e64 v44, 0, v44, s0
	s_or_b32 exec_lo, exec_lo, s14
	global_load_dwordx4 v[45:48], v[49:50], off offset:1024
	s_and_saveexec_b32 s14, vcc_lo
	s_cbranch_execz .LBB48_52
.LBB48_76:                              ;   in Loop: Header=BB48_38 Depth=1
	v_cmp_gt_i32_e64 s0, s27, v117
	s_waitcnt vmcnt(0)
	v_cndmask_b32_e64 v45, 0, v45, s0
	v_cmp_gt_i32_e64 s0, s27, v115
	v_cndmask_b32_e64 v46, 0, v46, s0
	v_cmp_gt_i32_e64 s0, s27, v118
	;; [unrolled: 2-line block ×3, first 2 shown]
	v_cndmask_b32_e64 v48, 0, v48, s0
	s_or_b32 exec_lo, exec_lo, s14
	global_load_dwordx4 v[49:52], v[49:50], off offset:1536
	s_and_saveexec_b32 s14, vcc_lo
	s_cbranch_execnz .LBB48_53
	s_branch .LBB48_54
.LBB48_77:                              ;   in Loop: Header=BB48_38 Depth=1
	v_cmp_gt_i32_e64 s0, s27, v117
	s_waitcnt vmcnt(0)
	v_cndmask_b32_e64 v53, 0, v53, s0
	v_cmp_gt_i32_e64 s0, s27, v115
	v_cndmask_b32_e64 v54, 0, v54, s0
	v_cmp_gt_i32_e64 s0, s27, v118
	;; [unrolled: 2-line block ×3, first 2 shown]
	v_cndmask_b32_e64 v56, 0, v56, s0
	s_or_b32 exec_lo, exec_lo, s14
	global_load_dwordx4 v[57:60], v[65:66], off offset:512
	s_and_saveexec_b32 s14, vcc_lo
	s_cbranch_execz .LBB48_56
.LBB48_78:                              ;   in Loop: Header=BB48_38 Depth=1
	v_cmp_gt_i32_e64 s0, s27, v117
	s_waitcnt vmcnt(0)
	v_cndmask_b32_e64 v57, 0, v57, s0
	v_cmp_gt_i32_e64 s0, s27, v115
	v_cndmask_b32_e64 v58, 0, v58, s0
	v_cmp_gt_i32_e64 s0, s27, v118
	v_cndmask_b32_e64 v59, 0, v59, s0
	v_cmp_gt_i32_e64 s0, s27, v116
	v_cndmask_b32_e64 v60, 0, v60, s0
	s_or_b32 exec_lo, exec_lo, s14
	global_load_dwordx4 v[61:64], v[65:66], off offset:1024
	s_and_saveexec_b32 s14, vcc_lo
	s_cbranch_execz .LBB48_57
.LBB48_79:                              ;   in Loop: Header=BB48_38 Depth=1
	v_cmp_gt_i32_e64 s0, s27, v117
	s_waitcnt vmcnt(0)
	v_cndmask_b32_e64 v61, 0, v61, s0
	v_cmp_gt_i32_e64 s0, s27, v115
	v_cndmask_b32_e64 v62, 0, v62, s0
	v_cmp_gt_i32_e64 s0, s27, v118
	;; [unrolled: 2-line block ×3, first 2 shown]
	v_cndmask_b32_e64 v64, 0, v64, s0
	s_or_b32 exec_lo, exec_lo, s14
	global_load_dwordx4 v[65:68], v[65:66], off offset:1536
	s_and_saveexec_b32 s14, vcc_lo
	s_cbranch_execnz .LBB48_58
	s_branch .LBB48_59
.LBB48_80:                              ;   in Loop: Header=BB48_38 Depth=1
	v_cmp_gt_i32_e64 s0, s27, v117
	s_waitcnt vmcnt(0)
	v_cndmask_b32_e64 v73, 0, v73, s0
	v_cmp_gt_i32_e64 s0, s27, v115
	v_cndmask_b32_e64 v74, 0, v74, s0
	v_cmp_gt_i32_e64 s0, s27, v118
	v_cndmask_b32_e64 v75, 0, v75, s0
	v_cmp_gt_i32_e64 s0, s27, v116
	v_cndmask_b32_e64 v76, 0, v76, s0
	s_or_b32 exec_lo, exec_lo, s14
	global_load_dwordx4 v[77:80], v[71:72], off offset:512
	s_and_saveexec_b32 s14, vcc_lo
	s_cbranch_execz .LBB48_61
.LBB48_81:                              ;   in Loop: Header=BB48_38 Depth=1
	v_cmp_gt_i32_e64 s0, s27, v117
	s_waitcnt vmcnt(0)
	v_cndmask_b32_e64 v77, 0, v77, s0
	v_cmp_gt_i32_e64 s0, s27, v115
	v_cndmask_b32_e64 v78, 0, v78, s0
	v_cmp_gt_i32_e64 s0, s27, v118
	;; [unrolled: 2-line block ×3, first 2 shown]
	v_cndmask_b32_e64 v80, 0, v80, s0
	s_or_b32 exec_lo, exec_lo, s14
	global_load_dwordx4 v[81:84], v[71:72], off offset:1024
	s_and_saveexec_b32 s14, vcc_lo
	s_cbranch_execz .LBB48_62
.LBB48_82:                              ;   in Loop: Header=BB48_38 Depth=1
	v_cmp_gt_i32_e64 s0, s27, v117
	s_waitcnt vmcnt(0)
	v_cndmask_b32_e64 v81, 0, v81, s0
	v_cmp_gt_i32_e64 s0, s27, v115
	v_cndmask_b32_e64 v82, 0, v82, s0
	v_cmp_gt_i32_e64 s0, s27, v118
	;; [unrolled: 2-line block ×3, first 2 shown]
	v_cndmask_b32_e64 v84, 0, v84, s0
	s_or_b32 exec_lo, exec_lo, s14
	global_load_dwordx4 v[85:88], v[71:72], off offset:1536
	s_and_saveexec_b32 s14, vcc_lo
	s_cbranch_execnz .LBB48_63
	s_branch .LBB48_64
.LBB48_83:                              ;   in Loop: Header=BB48_38 Depth=1
	v_cmp_gt_i32_e64 s0, s27, v117
	s_waitcnt vmcnt(0)
	v_cndmask_b32_e64 v89, 0, v89, s0
	v_cmp_gt_i32_e64 s0, s27, v115
	v_cndmask_b32_e64 v90, 0, v90, s0
	v_cmp_gt_i32_e64 s0, s27, v118
	;; [unrolled: 2-line block ×3, first 2 shown]
	v_cndmask_b32_e64 v92, 0, v92, s0
	s_or_b32 exec_lo, exec_lo, s14
	global_load_dwordx4 v[93:96], v[69:70], off offset:512
	s_and_saveexec_b32 s14, vcc_lo
	s_cbranch_execz .LBB48_66
.LBB48_84:                              ;   in Loop: Header=BB48_38 Depth=1
	v_cmp_gt_i32_e64 s0, s27, v117
	s_waitcnt vmcnt(0)
	v_cndmask_b32_e64 v93, 0, v93, s0
	v_cmp_gt_i32_e64 s0, s27, v115
	v_cndmask_b32_e64 v94, 0, v94, s0
	v_cmp_gt_i32_e64 s0, s27, v118
	;; [unrolled: 2-line block ×3, first 2 shown]
	v_cndmask_b32_e64 v96, 0, v96, s0
	s_or_b32 exec_lo, exec_lo, s14
	global_load_dwordx4 v[97:100], v[69:70], off offset:1024
	s_and_saveexec_b32 s14, vcc_lo
	s_cbranch_execz .LBB48_67
.LBB48_85:                              ;   in Loop: Header=BB48_38 Depth=1
	v_cmp_gt_i32_e64 s0, s27, v117
	s_waitcnt vmcnt(0)
	v_cndmask_b32_e64 v97, 0, v97, s0
	v_cmp_gt_i32_e64 s0, s27, v115
	v_cndmask_b32_e64 v98, 0, v98, s0
	v_cmp_gt_i32_e64 s0, s27, v118
	;; [unrolled: 2-line block ×3, first 2 shown]
	v_cndmask_b32_e64 v100, 0, v100, s0
	s_or_b32 exec_lo, exec_lo, s14
	global_load_dwordx4 v[69:72], v[69:70], off offset:1536
	s_and_saveexec_b32 s0, vcc_lo
	s_cbranch_execz .LBB48_36
.LBB48_86:                              ;   in Loop: Header=BB48_38 Depth=1
	v_cmp_gt_i32_e32 vcc_lo, s27, v117
	s_waitcnt vmcnt(0)
	v_cndmask_b32_e32 v69, 0, v69, vcc_lo
	v_cmp_gt_i32_e32 vcc_lo, s27, v115
	v_cndmask_b32_e32 v70, 0, v70, vcc_lo
	v_cmp_gt_i32_e32 vcc_lo, s27, v118
	;; [unrolled: 2-line block ×3, first 2 shown]
	v_cndmask_b32_e32 v72, 0, v72, vcc_lo
	s_branch .LBB48_36
.LBB48_87:
	s_or_b32 exec_lo, exec_lo, s6
	s_clause 0x2
	buffer_load_dword v47, off, s[48:51], 0 offset:52
	buffer_load_dword v48, off, s[48:51], 0 offset:56
	;; [unrolled: 1-line block ×3, first 2 shown]
.LBB48_88:
	s_or_b32 exec_lo, exec_lo, s1
	ds_bpermute_b32 v1, v109, v19
	ds_bpermute_b32 v2, v109, v20
	;; [unrolled: 1-line block ×20, first 2 shown]
	s_waitcnt lgkmcnt(19)
	v_add_f32_e32 v1, v19, v1
	s_waitcnt lgkmcnt(18)
	v_add_f32_e32 v2, v20, v2
	;; [unrolled: 2-line block ×5, first 2 shown]
	ds_bpermute_b32 v18, v108, v1
	ds_bpermute_b32 v19, v108, v2
	;; [unrolled: 1-line block ×3, first 2 shown]
	s_waitcnt lgkmcnt(17)
	v_add_f32_e32 v13, v105, v13
	s_waitcnt lgkmcnt(16)
	v_add_f32_e32 v31, v122, v31
	ds_bpermute_b32 v37, v108, v22
	ds_bpermute_b32 v21, v108, v3
	s_waitcnt lgkmcnt(17)
	v_add_f32_e32 v11, v23, v11
	ds_bpermute_b32 v4, v109, v125
	ds_bpermute_b32 v39, v108, v31
	s_waitcnt lgkmcnt(18)
	v_add_f32_e32 v5, v25, v5
	s_waitcnt lgkmcnt(17)
	v_add_f32_e32 v12, v111, v12
	ds_bpermute_b32 v29, v108, v11
	s_waitcnt lgkmcnt(17)
	v_add_f32_e32 v14, v104, v14
	s_waitcnt lgkmcnt(16)
	v_add_f32_e32 v6, v27, v6
	ds_bpermute_b32 v23, v108, v5
	ds_bpermute_b32 v32, v108, v12
	s_waitcnt lgkmcnt(17)
	v_add_f32_e32 v7, v26, v7
	s_waitcnt lgkmcnt(16)
	v_add_f32_e32 v8, v24, v8
	;; [unrolled: 2-line block ×6, first 2 shown]
	v_add_f32_e32 v10, v112, v10
	ds_bpermute_b32 v24, v108, v6
	ds_bpermute_b32 v0, v107, v1
	;; [unrolled: 1-line block ×4, first 2 shown]
	s_waitcnt lgkmcnt(10)
	v_add_f32_e32 v22, v22, v37
	s_waitcnt lgkmcnt(7)
	v_add_f32_e32 v31, v31, v39
	v_add_f32_e32 v3, v3, v21
	;; [unrolled: 1-line block ×3, first 2 shown]
	s_waitcnt lgkmcnt(6)
	v_add_f32_e32 v11, v11, v29
	ds_bpermute_b32 v39, v107, v22
	ds_bpermute_b32 v29, v108, v14
	;; [unrolled: 1-line block ×3, first 2 shown]
	v_add_f32_e32 v16, v127, v16
	v_add_f32_e32 v17, v126, v17
	;; [unrolled: 1-line block ×4, first 2 shown]
	ds_bpermute_b32 v25, v108, v7
	ds_bpermute_b32 v26, v108, v8
	;; [unrolled: 1-line block ×4, first 2 shown]
	s_waitcnt lgkmcnt(12)
	v_add_f32_e32 v5, v5, v23
	s_waitcnt lgkmcnt(9)
	v_add_f32_e32 v0, v1, v0
	;; [unrolled: 2-line block ×4, first 2 shown]
	ds_bpermute_b32 v18, v109, v121
	ds_bpermute_b32 v19, v108, v13
	ds_bpermute_b32 v20, v109, v120
	v_add_f32_e32 v12, v12, v32
	ds_bpermute_b32 v32, v108, v15
	ds_bpermute_b32 v34, v108, v16
	;; [unrolled: 1-line block ×3, first 2 shown]
	s_waitcnt lgkmcnt(10)
	v_add_f32_e32 v3, v3, v21
	ds_bpermute_b32 v21, v109, v119
	ds_bpermute_b32 v36, v108, v4
	;; [unrolled: 1-line block ×3, first 2 shown]
	v_add_f32_e32 v14, v14, v29
	ds_bpermute_b32 v23, v107, v5
	v_add_f32_e32 v6, v6, v24
	s_waitcnt lgkmcnt(13)
	v_add_f32_e32 v7, v7, v25
	s_waitcnt lgkmcnt(12)
	;; [unrolled: 2-line block ×4, first 2 shown]
	v_add_f32_e32 v10, v10, v28
	ds_bpermute_b32 v24, v107, v6
	ds_bpermute_b32 v25, v107, v7
	s_waitcnt lgkmcnt(11)
	v_add_f32_e32 v18, v121, v18
	s_waitcnt lgkmcnt(10)
	v_add_f32_e32 v13, v13, v19
	;; [unrolled: 2-line block ×3, first 2 shown]
	ds_bpermute_b32 v26, v107, v8
	s_waitcnt lgkmcnt(9)
	v_add_f32_e32 v15, v15, v32
	ds_bpermute_b32 v19, v108, v18
	s_waitcnt lgkmcnt(9)
	v_add_f32_e32 v16, v16, v34
	;; [unrolled: 3-line block ×3, first 2 shown]
	v_add_f32_e32 v17, v17, v35
	s_waitcnt lgkmcnt(7)
	v_add_f32_e32 v36, v4, v36
	s_waitcnt lgkmcnt(6)
	v_add_f32_e32 v30, v30, v38
	ds_bpermute_b32 v27, v107, v9
	ds_bpermute_b32 v40, v108, v21
	;; [unrolled: 1-line block ×13, first 2 shown]
	s_waitcnt lgkmcnt(14)
	v_add_f32_e32 v44, v18, v19
	v_add_f32_e32 v18, v22, v39
	buffer_load_dword v22, off, s[48:51], 0 offset:36 ; 4-byte Folded Reload
	s_waitcnt lgkmcnt(13)
	v_add_f32_e32 v29, v20, v29
	v_add_f32_e32 v4, v5, v23
	;; [unrolled: 1-line block ×5, first 2 shown]
	s_waitcnt lgkmcnt(11)
	v_add_f32_e32 v40, v21, v40
	ds_bpermute_b32 v21, v107, v44
	ds_bpermute_b32 v23, v107, v29
	v_add_f32_e32 v8, v9, v27
	s_waitcnt lgkmcnt(12)
	v_add_f32_e32 v9, v10, v28
	ds_bpermute_b32 v46, v107, v40
	s_waitcnt lgkmcnt(12)
	v_add_f32_e32 v10, v11, v33
	s_waitcnt lgkmcnt(11)
	v_add_f32_e32 v11, v12, v32
	;; [unrolled: 2-line block ×10, first 2 shown]
	s_waitcnt vmcnt(3)
	v_and_b32_e32 v27, 0x3c7, v47
	s_waitcnt vmcnt(2)
	v_mul_u32_u24_e32 v26, 0x180, v48
	s_mov_b32 s0, exec_lo
	s_waitcnt vmcnt(0) lgkmcnt(0)
	s_waitcnt_vscnt null, 0x0
	s_barrier
	v_add_f32_e32 v21, v44, v21
	buffer_gl0_inv
	v_lshrrev_b32_e32 v24, 3, v22
	v_add_f32_e32 v22, v29, v23
	v_add_f32_e32 v23, v40, v46
	v_lshl_add_u32 v25, v24, 2, 0x1a0
	v_cmpx_eq_u32_e32 64, v27
	s_cbranch_execz .LBB48_90
; %bb.89:
	v_add_nc_u32_e32 v27, v25, v26
	v_add_nc_u32_e32 v28, 0xfffffd00, v27
	;; [unrolled: 1-line block ×7, first 2 shown]
	ds_write_b32 v28, v0
	ds_write_b32 v29, v1
	;; [unrolled: 1-line block ×4, first 2 shown]
	v_add_nc_u32_e32 v28, 0xfffffd60, v27
	v_add_nc_u32_e32 v29, 0xfffffd70, v27
	v_add_nc_u32_e32 v30, 0xfffffd80, v27
	ds_write_b32 v32, v4
	ds_write_b32 v33, v5
	ds_write_b32 v28, v6
	ds_write_b32 v29, v7
	ds_write_b32 v30, v8
	v_add_nc_u32_e32 v28, 0xfffffd90, v27
	v_add_nc_u32_e32 v29, 0xfffffda0, v27
	v_add_nc_u32_e32 v30, 0xfffffdb0, v27
	v_add_nc_u32_e32 v31, 0xfffffdc0, v27
	v_add_nc_u32_e32 v32, 0xfffffdd0, v27
	ds_write_b32 v28, v9
	ds_write_b32 v29, v10
	ds_write_b32 v30, v11
	ds_write_b32 v31, v12
	ds_write_b32 v32, v13
	v_add_nc_u32_e32 v28, 0xfffffde0, v27
	v_add_nc_u32_e32 v29, 0xfffffdf0, v27
	;; [unrolled: 10-line block ×3, first 2 shown]
	v_add_nc_u32_e32 v30, 0xfffffe50, v27
	v_add_nc_u32_e32 v31, 0xfffffe60, v27
	;; [unrolled: 1-line block ×3, first 2 shown]
	ds_write_b32 v28, v19
	ds_write_b32 v29, v20
	;; [unrolled: 1-line block ×5, first 2 shown]
.LBB48_90:
	s_or_b32 exec_lo, exec_lo, s0
	v_lshlrev_b32_e32 v24, 2, v24
	s_mov_b32 s1, exec_lo
	v_cmp_eq_u32_e32 vcc_lo, 0, v49
	s_waitcnt lgkmcnt(0)
	s_barrier
	v_add3_u32 v24, 0x1a0, v26, v24
	buffer_gl0_inv
	v_cmpx_gt_u32_e32 64, v47
	s_cbranch_execz .LBB48_117
; %bb.91:
	s_and_saveexec_b32 s0, vcc_lo
	s_cbranch_execnz .LBB48_149
; %bb.92:
	s_or_b32 exec_lo, exec_lo, s0
	s_and_saveexec_b32 s0, vcc_lo
	s_cbranch_execnz .LBB48_150
.LBB48_93:
	s_or_b32 exec_lo, exec_lo, s0
	s_and_saveexec_b32 s0, vcc_lo
	s_cbranch_execnz .LBB48_151
.LBB48_94:
	s_or_b32 exec_lo, exec_lo, s0
	s_and_saveexec_b32 s0, vcc_lo
	s_cbranch_execnz .LBB48_152
.LBB48_95:
	s_or_b32 exec_lo, exec_lo, s0
	s_and_saveexec_b32 s0, vcc_lo
	s_cbranch_execnz .LBB48_153
.LBB48_96:
	s_or_b32 exec_lo, exec_lo, s0
	s_and_saveexec_b32 s0, vcc_lo
	s_cbranch_execnz .LBB48_154
.LBB48_97:
	s_or_b32 exec_lo, exec_lo, s0
	s_and_saveexec_b32 s0, vcc_lo
	s_cbranch_execnz .LBB48_155
.LBB48_98:
	s_or_b32 exec_lo, exec_lo, s0
	s_and_saveexec_b32 s0, vcc_lo
	s_cbranch_execnz .LBB48_156
.LBB48_99:
	s_or_b32 exec_lo, exec_lo, s0
	s_and_saveexec_b32 s0, vcc_lo
	s_cbranch_execnz .LBB48_157
.LBB48_100:
	s_or_b32 exec_lo, exec_lo, s0
	s_and_saveexec_b32 s0, vcc_lo
	s_cbranch_execnz .LBB48_158
.LBB48_101:
	s_or_b32 exec_lo, exec_lo, s0
	s_and_saveexec_b32 s0, vcc_lo
	s_cbranch_execnz .LBB48_159
.LBB48_102:
	s_or_b32 exec_lo, exec_lo, s0
	s_and_saveexec_b32 s0, vcc_lo
	s_cbranch_execnz .LBB48_160
.LBB48_103:
	s_or_b32 exec_lo, exec_lo, s0
	s_and_saveexec_b32 s0, vcc_lo
	s_cbranch_execnz .LBB48_161
.LBB48_104:
	s_or_b32 exec_lo, exec_lo, s0
	s_and_saveexec_b32 s0, vcc_lo
	s_cbranch_execnz .LBB48_162
.LBB48_105:
	s_or_b32 exec_lo, exec_lo, s0
	s_and_saveexec_b32 s0, vcc_lo
	s_cbranch_execnz .LBB48_163
.LBB48_106:
	s_or_b32 exec_lo, exec_lo, s0
	s_and_saveexec_b32 s0, vcc_lo
	s_cbranch_execnz .LBB48_164
.LBB48_107:
	s_or_b32 exec_lo, exec_lo, s0
	s_and_saveexec_b32 s0, vcc_lo
	s_cbranch_execnz .LBB48_165
.LBB48_108:
	s_or_b32 exec_lo, exec_lo, s0
	s_and_saveexec_b32 s0, vcc_lo
	s_cbranch_execnz .LBB48_166
.LBB48_109:
	s_or_b32 exec_lo, exec_lo, s0
	s_and_saveexec_b32 s0, vcc_lo
	s_cbranch_execnz .LBB48_167
.LBB48_110:
	s_or_b32 exec_lo, exec_lo, s0
	s_and_saveexec_b32 s0, vcc_lo
	s_cbranch_execnz .LBB48_168
.LBB48_111:
	s_or_b32 exec_lo, exec_lo, s0
	s_and_saveexec_b32 s0, vcc_lo
	s_cbranch_execnz .LBB48_169
.LBB48_112:
	s_or_b32 exec_lo, exec_lo, s0
	s_and_saveexec_b32 s0, vcc_lo
	s_cbranch_execnz .LBB48_170
.LBB48_113:
	s_or_b32 exec_lo, exec_lo, s0
	s_and_saveexec_b32 s0, vcc_lo
	s_cbranch_execnz .LBB48_171
.LBB48_114:
	s_or_b32 exec_lo, exec_lo, s0
	s_and_saveexec_b32 s0, vcc_lo
	s_cbranch_execz .LBB48_116
.LBB48_115:
	ds_read_b32 v26, v24 offset:368
	s_waitcnt lgkmcnt(0)
	v_add_f32_e32 v23, v23, v26
.LBB48_116:
	s_or_b32 exec_lo, exec_lo, s0
.LBB48_117:
	s_or_b32 exec_lo, exec_lo, s1
	v_and_b32_e32 v26, 0x3e7, v47
	s_mov_b32 s1, exec_lo
	s_barrier
	buffer_gl0_inv
	v_cmpx_eq_u32_e32 32, v26
	s_cbranch_execz .LBB48_119
; %bb.118:
	ds_write2_b32 v25, v0, v1 offset1:4
	ds_write2_b32 v25, v2, v3 offset0:8 offset1:12
	ds_write2_b32 v25, v4, v5 offset0:16 offset1:20
	;; [unrolled: 1-line block ×11, first 2 shown]
.LBB48_119:
	s_or_b32 exec_lo, exec_lo, s1
	s_mov_b32 s1, exec_lo
	s_waitcnt lgkmcnt(0)
	s_barrier
	buffer_gl0_inv
	v_cmpx_gt_u32_e32 32, v47
	s_cbranch_execz .LBB48_146
; %bb.120:
	s_and_saveexec_b32 s0, vcc_lo
	s_cbranch_execnz .LBB48_172
; %bb.121:
	s_or_b32 exec_lo, exec_lo, s0
	s_and_saveexec_b32 s0, vcc_lo
	s_cbranch_execnz .LBB48_173
.LBB48_122:
	s_or_b32 exec_lo, exec_lo, s0
	s_and_saveexec_b32 s0, vcc_lo
	s_cbranch_execnz .LBB48_174
.LBB48_123:
	s_or_b32 exec_lo, exec_lo, s0
	s_and_saveexec_b32 s0, vcc_lo
	s_cbranch_execnz .LBB48_175
.LBB48_124:
	s_or_b32 exec_lo, exec_lo, s0
	s_and_saveexec_b32 s0, vcc_lo
	s_cbranch_execnz .LBB48_176
.LBB48_125:
	s_or_b32 exec_lo, exec_lo, s0
	s_and_saveexec_b32 s0, vcc_lo
	s_cbranch_execnz .LBB48_177
.LBB48_126:
	s_or_b32 exec_lo, exec_lo, s0
	s_and_saveexec_b32 s0, vcc_lo
	s_cbranch_execnz .LBB48_178
.LBB48_127:
	s_or_b32 exec_lo, exec_lo, s0
	s_and_saveexec_b32 s0, vcc_lo
	s_cbranch_execnz .LBB48_179
.LBB48_128:
	s_or_b32 exec_lo, exec_lo, s0
	s_and_saveexec_b32 s0, vcc_lo
	s_cbranch_execnz .LBB48_180
.LBB48_129:
	s_or_b32 exec_lo, exec_lo, s0
	s_and_saveexec_b32 s0, vcc_lo
	s_cbranch_execnz .LBB48_181
.LBB48_130:
	s_or_b32 exec_lo, exec_lo, s0
	s_and_saveexec_b32 s0, vcc_lo
	s_cbranch_execnz .LBB48_182
.LBB48_131:
	s_or_b32 exec_lo, exec_lo, s0
	s_and_saveexec_b32 s0, vcc_lo
	s_cbranch_execnz .LBB48_183
.LBB48_132:
	s_or_b32 exec_lo, exec_lo, s0
	s_and_saveexec_b32 s0, vcc_lo
	s_cbranch_execnz .LBB48_184
.LBB48_133:
	s_or_b32 exec_lo, exec_lo, s0
	s_and_saveexec_b32 s0, vcc_lo
	s_cbranch_execnz .LBB48_185
.LBB48_134:
	s_or_b32 exec_lo, exec_lo, s0
	s_and_saveexec_b32 s0, vcc_lo
	s_cbranch_execnz .LBB48_186
.LBB48_135:
	s_or_b32 exec_lo, exec_lo, s0
	s_and_saveexec_b32 s0, vcc_lo
	s_cbranch_execnz .LBB48_187
.LBB48_136:
	s_or_b32 exec_lo, exec_lo, s0
	s_and_saveexec_b32 s0, vcc_lo
	s_cbranch_execnz .LBB48_188
.LBB48_137:
	s_or_b32 exec_lo, exec_lo, s0
	s_and_saveexec_b32 s0, vcc_lo
	s_cbranch_execnz .LBB48_189
.LBB48_138:
	s_or_b32 exec_lo, exec_lo, s0
	s_and_saveexec_b32 s0, vcc_lo
	s_cbranch_execnz .LBB48_190
.LBB48_139:
	s_or_b32 exec_lo, exec_lo, s0
	s_and_saveexec_b32 s0, vcc_lo
	s_cbranch_execnz .LBB48_191
.LBB48_140:
	s_or_b32 exec_lo, exec_lo, s0
	s_and_saveexec_b32 s0, vcc_lo
	s_cbranch_execnz .LBB48_192
.LBB48_141:
	s_or_b32 exec_lo, exec_lo, s0
	s_and_saveexec_b32 s0, vcc_lo
	s_cbranch_execnz .LBB48_193
.LBB48_142:
	s_or_b32 exec_lo, exec_lo, s0
	s_and_saveexec_b32 s0, vcc_lo
	s_cbranch_execnz .LBB48_194
.LBB48_143:
	s_or_b32 exec_lo, exec_lo, s0
	s_and_saveexec_b32 s0, vcc_lo
	s_cbranch_execz .LBB48_145
.LBB48_144:
	ds_read_b32 v24, v24 offset:368
	s_waitcnt lgkmcnt(0)
	v_add_f32_e32 v23, v23, v24
.LBB48_145:
	s_or_b32 exec_lo, exec_lo, s0
.LBB48_146:
	s_or_b32 exec_lo, exec_lo, s1
	s_barrier
	buffer_gl0_inv
	s_mov_b32 s0, exec_lo
	v_cmpx_eq_u32_e32 0, v26
	s_cbranch_execz .LBB48_148
; %bb.147:
	s_mul_i32 s0, s2, 0x60
	s_mul_i32 s2, s7, s10
	s_ashr_i32 s1, s0, 31
	v_lshrrev_b32_e32 v24, 1, v47
	s_lshl_b64 s[0:1], s[0:1], 2
	s_add_u32 s4, s24, s0
	s_addc_u32 s5, s25, s1
	s_ashr_i32 s3, s2, 31
	s_lshl_b64 s[0:1], s[2:3], 2
	s_mul_i32 s2, s8, 0x60
	s_add_u32 s4, s4, s0
	s_addc_u32 s5, s5, s1
	s_ashr_i32 s3, s2, 31
	s_lshl_b64 s[0:1], s[2:3], 2
	s_add_u32 s0, s4, s0
	s_addc_u32 s1, s5, s1
	global_store_dword v24, v0, s[0:1]
	global_store_dword v24, v1, s[0:1] offset:16
	global_store_dword v24, v2, s[0:1] offset:32
	;; [unrolled: 1-line block ×23, first 2 shown]
.LBB48_148:
	s_endpgm
.LBB48_149:
	ds_read_b32 v26, v24
	s_waitcnt lgkmcnt(0)
	v_add_f32_e32 v0, v0, v26
	s_or_b32 exec_lo, exec_lo, s0
	s_and_saveexec_b32 s0, vcc_lo
	s_cbranch_execz .LBB48_93
.LBB48_150:
	ds_read_b32 v26, v24 offset:16
	s_waitcnt lgkmcnt(0)
	v_add_f32_e32 v1, v1, v26
	s_or_b32 exec_lo, exec_lo, s0
	s_and_saveexec_b32 s0, vcc_lo
	s_cbranch_execz .LBB48_94
.LBB48_151:
	ds_read_b32 v26, v24 offset:32
	s_waitcnt lgkmcnt(0)
	v_add_f32_e32 v2, v2, v26
	s_or_b32 exec_lo, exec_lo, s0
	s_and_saveexec_b32 s0, vcc_lo
	s_cbranch_execz .LBB48_95
.LBB48_152:
	ds_read_b32 v26, v24 offset:48
	s_waitcnt lgkmcnt(0)
	v_add_f32_e32 v3, v3, v26
	s_or_b32 exec_lo, exec_lo, s0
	s_and_saveexec_b32 s0, vcc_lo
	s_cbranch_execz .LBB48_96
.LBB48_153:
	ds_read_b32 v26, v24 offset:64
	s_waitcnt lgkmcnt(0)
	v_add_f32_e32 v4, v4, v26
	s_or_b32 exec_lo, exec_lo, s0
	s_and_saveexec_b32 s0, vcc_lo
	s_cbranch_execz .LBB48_97
.LBB48_154:
	ds_read_b32 v26, v24 offset:80
	s_waitcnt lgkmcnt(0)
	v_add_f32_e32 v5, v5, v26
	s_or_b32 exec_lo, exec_lo, s0
	s_and_saveexec_b32 s0, vcc_lo
	s_cbranch_execz .LBB48_98
.LBB48_155:
	ds_read_b32 v26, v24 offset:96
	s_waitcnt lgkmcnt(0)
	v_add_f32_e32 v6, v6, v26
	s_or_b32 exec_lo, exec_lo, s0
	s_and_saveexec_b32 s0, vcc_lo
	s_cbranch_execz .LBB48_99
.LBB48_156:
	ds_read_b32 v26, v24 offset:112
	s_waitcnt lgkmcnt(0)
	v_add_f32_e32 v7, v7, v26
	s_or_b32 exec_lo, exec_lo, s0
	s_and_saveexec_b32 s0, vcc_lo
	s_cbranch_execz .LBB48_100
.LBB48_157:
	ds_read_b32 v26, v24 offset:128
	s_waitcnt lgkmcnt(0)
	v_add_f32_e32 v8, v8, v26
	s_or_b32 exec_lo, exec_lo, s0
	s_and_saveexec_b32 s0, vcc_lo
	s_cbranch_execz .LBB48_101
.LBB48_158:
	ds_read_b32 v26, v24 offset:144
	s_waitcnt lgkmcnt(0)
	v_add_f32_e32 v9, v9, v26
	s_or_b32 exec_lo, exec_lo, s0
	s_and_saveexec_b32 s0, vcc_lo
	s_cbranch_execz .LBB48_102
.LBB48_159:
	ds_read_b32 v26, v24 offset:160
	s_waitcnt lgkmcnt(0)
	v_add_f32_e32 v10, v10, v26
	s_or_b32 exec_lo, exec_lo, s0
	s_and_saveexec_b32 s0, vcc_lo
	s_cbranch_execz .LBB48_103
.LBB48_160:
	ds_read_b32 v26, v24 offset:176
	s_waitcnt lgkmcnt(0)
	v_add_f32_e32 v11, v11, v26
	s_or_b32 exec_lo, exec_lo, s0
	s_and_saveexec_b32 s0, vcc_lo
	s_cbranch_execz .LBB48_104
.LBB48_161:
	ds_read_b32 v26, v24 offset:192
	s_waitcnt lgkmcnt(0)
	v_add_f32_e32 v12, v12, v26
	s_or_b32 exec_lo, exec_lo, s0
	s_and_saveexec_b32 s0, vcc_lo
	s_cbranch_execz .LBB48_105
.LBB48_162:
	ds_read_b32 v26, v24 offset:208
	s_waitcnt lgkmcnt(0)
	v_add_f32_e32 v13, v13, v26
	s_or_b32 exec_lo, exec_lo, s0
	s_and_saveexec_b32 s0, vcc_lo
	s_cbranch_execz .LBB48_106
.LBB48_163:
	ds_read_b32 v26, v24 offset:224
	s_waitcnt lgkmcnt(0)
	v_add_f32_e32 v14, v14, v26
	s_or_b32 exec_lo, exec_lo, s0
	s_and_saveexec_b32 s0, vcc_lo
	s_cbranch_execz .LBB48_107
.LBB48_164:
	ds_read_b32 v26, v24 offset:240
	s_waitcnt lgkmcnt(0)
	v_add_f32_e32 v15, v15, v26
	s_or_b32 exec_lo, exec_lo, s0
	s_and_saveexec_b32 s0, vcc_lo
	s_cbranch_execz .LBB48_108
.LBB48_165:
	ds_read_b32 v26, v24 offset:256
	s_waitcnt lgkmcnt(0)
	v_add_f32_e32 v16, v16, v26
	s_or_b32 exec_lo, exec_lo, s0
	s_and_saveexec_b32 s0, vcc_lo
	s_cbranch_execz .LBB48_109
.LBB48_166:
	ds_read_b32 v26, v24 offset:272
	s_waitcnt lgkmcnt(0)
	v_add_f32_e32 v17, v17, v26
	s_or_b32 exec_lo, exec_lo, s0
	s_and_saveexec_b32 s0, vcc_lo
	s_cbranch_execz .LBB48_110
.LBB48_167:
	ds_read_b32 v26, v24 offset:288
	s_waitcnt lgkmcnt(0)
	v_add_f32_e32 v18, v18, v26
	s_or_b32 exec_lo, exec_lo, s0
	s_and_saveexec_b32 s0, vcc_lo
	s_cbranch_execz .LBB48_111
.LBB48_168:
	ds_read_b32 v26, v24 offset:304
	s_waitcnt lgkmcnt(0)
	v_add_f32_e32 v19, v19, v26
	s_or_b32 exec_lo, exec_lo, s0
	s_and_saveexec_b32 s0, vcc_lo
	s_cbranch_execz .LBB48_112
.LBB48_169:
	ds_read_b32 v26, v24 offset:320
	s_waitcnt lgkmcnt(0)
	v_add_f32_e32 v20, v20, v26
	s_or_b32 exec_lo, exec_lo, s0
	s_and_saveexec_b32 s0, vcc_lo
	s_cbranch_execz .LBB48_113
.LBB48_170:
	ds_read_b32 v26, v24 offset:336
	s_waitcnt lgkmcnt(0)
	v_add_f32_e32 v21, v21, v26
	s_or_b32 exec_lo, exec_lo, s0
	s_and_saveexec_b32 s0, vcc_lo
	s_cbranch_execz .LBB48_114
.LBB48_171:
	ds_read_b32 v26, v24 offset:352
	s_waitcnt lgkmcnt(0)
	v_add_f32_e32 v22, v22, v26
	s_or_b32 exec_lo, exec_lo, s0
	s_and_saveexec_b32 s0, vcc_lo
	s_cbranch_execnz .LBB48_115
	s_branch .LBB48_116
.LBB48_172:
	ds_read_b32 v25, v24
	s_waitcnt lgkmcnt(0)
	v_add_f32_e32 v0, v0, v25
	s_or_b32 exec_lo, exec_lo, s0
	s_and_saveexec_b32 s0, vcc_lo
	s_cbranch_execz .LBB48_122
.LBB48_173:
	ds_read_b32 v25, v24 offset:16
	s_waitcnt lgkmcnt(0)
	v_add_f32_e32 v1, v1, v25
	s_or_b32 exec_lo, exec_lo, s0
	s_and_saveexec_b32 s0, vcc_lo
	s_cbranch_execz .LBB48_123
.LBB48_174:
	ds_read_b32 v25, v24 offset:32
	s_waitcnt lgkmcnt(0)
	v_add_f32_e32 v2, v2, v25
	s_or_b32 exec_lo, exec_lo, s0
	s_and_saveexec_b32 s0, vcc_lo
	s_cbranch_execz .LBB48_124
.LBB48_175:
	ds_read_b32 v25, v24 offset:48
	s_waitcnt lgkmcnt(0)
	v_add_f32_e32 v3, v3, v25
	s_or_b32 exec_lo, exec_lo, s0
	s_and_saveexec_b32 s0, vcc_lo
	s_cbranch_execz .LBB48_125
.LBB48_176:
	ds_read_b32 v25, v24 offset:64
	s_waitcnt lgkmcnt(0)
	v_add_f32_e32 v4, v4, v25
	s_or_b32 exec_lo, exec_lo, s0
	s_and_saveexec_b32 s0, vcc_lo
	s_cbranch_execz .LBB48_126
.LBB48_177:
	ds_read_b32 v25, v24 offset:80
	s_waitcnt lgkmcnt(0)
	v_add_f32_e32 v5, v5, v25
	s_or_b32 exec_lo, exec_lo, s0
	s_and_saveexec_b32 s0, vcc_lo
	s_cbranch_execz .LBB48_127
.LBB48_178:
	ds_read_b32 v25, v24 offset:96
	s_waitcnt lgkmcnt(0)
	v_add_f32_e32 v6, v6, v25
	s_or_b32 exec_lo, exec_lo, s0
	s_and_saveexec_b32 s0, vcc_lo
	s_cbranch_execz .LBB48_128
.LBB48_179:
	ds_read_b32 v25, v24 offset:112
	s_waitcnt lgkmcnt(0)
	v_add_f32_e32 v7, v7, v25
	s_or_b32 exec_lo, exec_lo, s0
	s_and_saveexec_b32 s0, vcc_lo
	s_cbranch_execz .LBB48_129
.LBB48_180:
	ds_read_b32 v25, v24 offset:128
	s_waitcnt lgkmcnt(0)
	v_add_f32_e32 v8, v8, v25
	s_or_b32 exec_lo, exec_lo, s0
	s_and_saveexec_b32 s0, vcc_lo
	s_cbranch_execz .LBB48_130
.LBB48_181:
	ds_read_b32 v25, v24 offset:144
	s_waitcnt lgkmcnt(0)
	v_add_f32_e32 v9, v9, v25
	s_or_b32 exec_lo, exec_lo, s0
	s_and_saveexec_b32 s0, vcc_lo
	s_cbranch_execz .LBB48_131
.LBB48_182:
	ds_read_b32 v25, v24 offset:160
	s_waitcnt lgkmcnt(0)
	v_add_f32_e32 v10, v10, v25
	s_or_b32 exec_lo, exec_lo, s0
	s_and_saveexec_b32 s0, vcc_lo
	s_cbranch_execz .LBB48_132
.LBB48_183:
	ds_read_b32 v25, v24 offset:176
	s_waitcnt lgkmcnt(0)
	v_add_f32_e32 v11, v11, v25
	s_or_b32 exec_lo, exec_lo, s0
	s_and_saveexec_b32 s0, vcc_lo
	s_cbranch_execz .LBB48_133
.LBB48_184:
	ds_read_b32 v25, v24 offset:192
	s_waitcnt lgkmcnt(0)
	v_add_f32_e32 v12, v12, v25
	s_or_b32 exec_lo, exec_lo, s0
	s_and_saveexec_b32 s0, vcc_lo
	s_cbranch_execz .LBB48_134
.LBB48_185:
	ds_read_b32 v25, v24 offset:208
	s_waitcnt lgkmcnt(0)
	v_add_f32_e32 v13, v13, v25
	s_or_b32 exec_lo, exec_lo, s0
	s_and_saveexec_b32 s0, vcc_lo
	s_cbranch_execz .LBB48_135
.LBB48_186:
	ds_read_b32 v25, v24 offset:224
	s_waitcnt lgkmcnt(0)
	v_add_f32_e32 v14, v14, v25
	s_or_b32 exec_lo, exec_lo, s0
	s_and_saveexec_b32 s0, vcc_lo
	s_cbranch_execz .LBB48_136
.LBB48_187:
	ds_read_b32 v25, v24 offset:240
	s_waitcnt lgkmcnt(0)
	v_add_f32_e32 v15, v15, v25
	s_or_b32 exec_lo, exec_lo, s0
	s_and_saveexec_b32 s0, vcc_lo
	s_cbranch_execz .LBB48_137
.LBB48_188:
	ds_read_b32 v25, v24 offset:256
	s_waitcnt lgkmcnt(0)
	v_add_f32_e32 v16, v16, v25
	s_or_b32 exec_lo, exec_lo, s0
	s_and_saveexec_b32 s0, vcc_lo
	s_cbranch_execz .LBB48_138
.LBB48_189:
	ds_read_b32 v25, v24 offset:272
	s_waitcnt lgkmcnt(0)
	v_add_f32_e32 v17, v17, v25
	s_or_b32 exec_lo, exec_lo, s0
	s_and_saveexec_b32 s0, vcc_lo
	s_cbranch_execz .LBB48_139
.LBB48_190:
	ds_read_b32 v25, v24 offset:288
	s_waitcnt lgkmcnt(0)
	v_add_f32_e32 v18, v18, v25
	s_or_b32 exec_lo, exec_lo, s0
	s_and_saveexec_b32 s0, vcc_lo
	s_cbranch_execz .LBB48_140
.LBB48_191:
	ds_read_b32 v25, v24 offset:304
	s_waitcnt lgkmcnt(0)
	v_add_f32_e32 v19, v19, v25
	s_or_b32 exec_lo, exec_lo, s0
	s_and_saveexec_b32 s0, vcc_lo
	s_cbranch_execz .LBB48_141
.LBB48_192:
	ds_read_b32 v25, v24 offset:320
	s_waitcnt lgkmcnt(0)
	v_add_f32_e32 v20, v20, v25
	s_or_b32 exec_lo, exec_lo, s0
	s_and_saveexec_b32 s0, vcc_lo
	s_cbranch_execz .LBB48_142
.LBB48_193:
	ds_read_b32 v25, v24 offset:336
	s_waitcnt lgkmcnt(0)
	v_add_f32_e32 v21, v21, v25
	s_or_b32 exec_lo, exec_lo, s0
	s_and_saveexec_b32 s0, vcc_lo
	s_cbranch_execz .LBB48_143
.LBB48_194:
	ds_read_b32 v25, v24 offset:352
	s_waitcnt lgkmcnt(0)
	v_add_f32_e32 v22, v22, v25
	s_or_b32 exec_lo, exec_lo, s0
	s_and_saveexec_b32 s0, vcc_lo
	s_cbranch_execnz .LBB48_144
	s_branch .LBB48_145
	.section	.rodata,"a",@progbits
	.p2align	6, 0x0
	.amdhsa_kernel _ZN4vllm25paged_attention_v2_kernelIffLi96ELi32ELi128ELNS_18Fp8KVCacheDataTypeE0ELb1ELi512EEEvPfS2_PT_PKS3_PKT0_S9_ifPKiSB_iPKfiiiSD_SD_iiiii
		.amdhsa_group_segment_fixed_size 416
		.amdhsa_private_segment_fixed_size 68
		.amdhsa_kernarg_size 400
		.amdhsa_user_sgpr_count 6
		.amdhsa_user_sgpr_private_segment_buffer 1
		.amdhsa_user_sgpr_dispatch_ptr 0
		.amdhsa_user_sgpr_queue_ptr 0
		.amdhsa_user_sgpr_kernarg_segment_ptr 1
		.amdhsa_user_sgpr_dispatch_id 0
		.amdhsa_user_sgpr_flat_scratch_init 0
		.amdhsa_user_sgpr_private_segment_size 0
		.amdhsa_wavefront_size32 1
		.amdhsa_uses_dynamic_stack 0
		.amdhsa_system_sgpr_private_segment_wavefront_offset 1
		.amdhsa_system_sgpr_workgroup_id_x 1
		.amdhsa_system_sgpr_workgroup_id_y 1
		.amdhsa_system_sgpr_workgroup_id_z 1
		.amdhsa_system_sgpr_workgroup_info 0
		.amdhsa_system_vgpr_workitem_id 0
		.amdhsa_next_free_vgpr 128
		.amdhsa_next_free_sgpr 52
		.amdhsa_reserve_vcc 1
		.amdhsa_reserve_flat_scratch 0
		.amdhsa_float_round_mode_32 0
		.amdhsa_float_round_mode_16_64 0
		.amdhsa_float_denorm_mode_32 3
		.amdhsa_float_denorm_mode_16_64 3
		.amdhsa_dx10_clamp 1
		.amdhsa_ieee_mode 1
		.amdhsa_fp16_overflow 0
		.amdhsa_workgroup_processor_mode 1
		.amdhsa_memory_ordered 1
		.amdhsa_forward_progress 1
		.amdhsa_shared_vgpr_count 0
		.amdhsa_exception_fp_ieee_invalid_op 0
		.amdhsa_exception_fp_denorm_src 0
		.amdhsa_exception_fp_ieee_div_zero 0
		.amdhsa_exception_fp_ieee_overflow 0
		.amdhsa_exception_fp_ieee_underflow 0
		.amdhsa_exception_fp_ieee_inexact 0
		.amdhsa_exception_int_div_zero 0
	.end_amdhsa_kernel
	.section	.text._ZN4vllm25paged_attention_v2_kernelIffLi96ELi32ELi128ELNS_18Fp8KVCacheDataTypeE0ELb1ELi512EEEvPfS2_PT_PKS3_PKT0_S9_ifPKiSB_iPKfiiiSD_SD_iiiii,"axG",@progbits,_ZN4vllm25paged_attention_v2_kernelIffLi96ELi32ELi128ELNS_18Fp8KVCacheDataTypeE0ELb1ELi512EEEvPfS2_PT_PKS3_PKT0_S9_ifPKiSB_iPKfiiiSD_SD_iiiii,comdat
.Lfunc_end48:
	.size	_ZN4vllm25paged_attention_v2_kernelIffLi96ELi32ELi128ELNS_18Fp8KVCacheDataTypeE0ELb1ELi512EEEvPfS2_PT_PKS3_PKT0_S9_ifPKiSB_iPKfiiiSD_SD_iiiii, .Lfunc_end48-_ZN4vllm25paged_attention_v2_kernelIffLi96ELi32ELi128ELNS_18Fp8KVCacheDataTypeE0ELb1ELi512EEEvPfS2_PT_PKS3_PKT0_S9_ifPKiSB_iPKfiiiSD_SD_iiiii
                                        ; -- End function
	.set _ZN4vllm25paged_attention_v2_kernelIffLi96ELi32ELi128ELNS_18Fp8KVCacheDataTypeE0ELb1ELi512EEEvPfS2_PT_PKS3_PKT0_S9_ifPKiSB_iPKfiiiSD_SD_iiiii.num_vgpr, 128
	.set _ZN4vllm25paged_attention_v2_kernelIffLi96ELi32ELi128ELNS_18Fp8KVCacheDataTypeE0ELb1ELi512EEEvPfS2_PT_PKS3_PKT0_S9_ifPKiSB_iPKfiiiSD_SD_iiiii.num_agpr, 0
	.set _ZN4vllm25paged_attention_v2_kernelIffLi96ELi32ELi128ELNS_18Fp8KVCacheDataTypeE0ELb1ELi512EEEvPfS2_PT_PKS3_PKT0_S9_ifPKiSB_iPKfiiiSD_SD_iiiii.numbered_sgpr, 52
	.set _ZN4vllm25paged_attention_v2_kernelIffLi96ELi32ELi128ELNS_18Fp8KVCacheDataTypeE0ELb1ELi512EEEvPfS2_PT_PKS3_PKT0_S9_ifPKiSB_iPKfiiiSD_SD_iiiii.num_named_barrier, 0
	.set _ZN4vllm25paged_attention_v2_kernelIffLi96ELi32ELi128ELNS_18Fp8KVCacheDataTypeE0ELb1ELi512EEEvPfS2_PT_PKS3_PKT0_S9_ifPKiSB_iPKfiiiSD_SD_iiiii.private_seg_size, 68
	.set _ZN4vllm25paged_attention_v2_kernelIffLi96ELi32ELi128ELNS_18Fp8KVCacheDataTypeE0ELb1ELi512EEEvPfS2_PT_PKS3_PKT0_S9_ifPKiSB_iPKfiiiSD_SD_iiiii.uses_vcc, 1
	.set _ZN4vllm25paged_attention_v2_kernelIffLi96ELi32ELi128ELNS_18Fp8KVCacheDataTypeE0ELb1ELi512EEEvPfS2_PT_PKS3_PKT0_S9_ifPKiSB_iPKfiiiSD_SD_iiiii.uses_flat_scratch, 0
	.set _ZN4vllm25paged_attention_v2_kernelIffLi96ELi32ELi128ELNS_18Fp8KVCacheDataTypeE0ELb1ELi512EEEvPfS2_PT_PKS3_PKT0_S9_ifPKiSB_iPKfiiiSD_SD_iiiii.has_dyn_sized_stack, 0
	.set _ZN4vllm25paged_attention_v2_kernelIffLi96ELi32ELi128ELNS_18Fp8KVCacheDataTypeE0ELb1ELi512EEEvPfS2_PT_PKS3_PKT0_S9_ifPKiSB_iPKfiiiSD_SD_iiiii.has_recursion, 0
	.set _ZN4vllm25paged_attention_v2_kernelIffLi96ELi32ELi128ELNS_18Fp8KVCacheDataTypeE0ELb1ELi512EEEvPfS2_PT_PKS3_PKT0_S9_ifPKiSB_iPKfiiiSD_SD_iiiii.has_indirect_call, 0
	.section	.AMDGPU.csdata,"",@progbits
; Kernel info:
; codeLenInByte = 11508
; TotalNumSgprs: 54
; NumVgprs: 128
; ScratchSize: 68
; MemoryBound: 0
; FloatMode: 240
; IeeeMode: 1
; LDSByteSize: 416 bytes/workgroup (compile time only)
; SGPRBlocks: 0
; VGPRBlocks: 15
; NumSGPRsForWavesPerEU: 54
; NumVGPRsForWavesPerEU: 128
; Occupancy: 8
; WaveLimiterHint : 1
; COMPUTE_PGM_RSRC2:SCRATCH_EN: 1
; COMPUTE_PGM_RSRC2:USER_SGPR: 6
; COMPUTE_PGM_RSRC2:TRAP_HANDLER: 0
; COMPUTE_PGM_RSRC2:TGID_X_EN: 1
; COMPUTE_PGM_RSRC2:TGID_Y_EN: 1
; COMPUTE_PGM_RSRC2:TGID_Z_EN: 1
; COMPUTE_PGM_RSRC2:TIDIG_COMP_CNT: 0
	.section	.text._ZN4vllm25paged_attention_v2_kernelIffLi112ELi32ELi128ELNS_18Fp8KVCacheDataTypeE0ELb1ELi512EEEvPfS2_PT_PKS3_PKT0_S9_ifPKiSB_iPKfiiiSD_SD_iiiii,"axG",@progbits,_ZN4vllm25paged_attention_v2_kernelIffLi112ELi32ELi128ELNS_18Fp8KVCacheDataTypeE0ELb1ELi512EEEvPfS2_PT_PKS3_PKT0_S9_ifPKiSB_iPKfiiiSD_SD_iiiii,comdat
	.protected	_ZN4vllm25paged_attention_v2_kernelIffLi112ELi32ELi128ELNS_18Fp8KVCacheDataTypeE0ELb1ELi512EEEvPfS2_PT_PKS3_PKT0_S9_ifPKiSB_iPKfiiiSD_SD_iiiii ; -- Begin function _ZN4vllm25paged_attention_v2_kernelIffLi112ELi32ELi128ELNS_18Fp8KVCacheDataTypeE0ELb1ELi512EEEvPfS2_PT_PKS3_PKT0_S9_ifPKiSB_iPKfiiiSD_SD_iiiii
	.globl	_ZN4vllm25paged_attention_v2_kernelIffLi112ELi32ELi128ELNS_18Fp8KVCacheDataTypeE0ELb1ELi512EEEvPfS2_PT_PKS3_PKT0_S9_ifPKiSB_iPKfiiiSD_SD_iiiii
	.p2align	8
	.type	_ZN4vllm25paged_attention_v2_kernelIffLi112ELi32ELi128ELNS_18Fp8KVCacheDataTypeE0ELb1ELi512EEEvPfS2_PT_PKS3_PKT0_S9_ifPKiSB_iPKfiiiSD_SD_iiiii,@function
_ZN4vllm25paged_attention_v2_kernelIffLi112ELi32ELi128ELNS_18Fp8KVCacheDataTypeE0ELb1ELi512EEEvPfS2_PT_PKS3_PKT0_S9_ifPKiSB_iPKfiiiSD_SD_iiiii: ; @_ZN4vllm25paged_attention_v2_kernelIffLi112ELi32ELi128ELNS_18Fp8KVCacheDataTypeE0ELb1ELi512EEEvPfS2_PT_PKS3_PKT0_S9_ifPKiSB_iPKfiiiSD_SD_iiiii
; %bb.0:
	s_mov_b64 s[50:51], s[2:3]
	s_mov_b64 s[48:49], s[0:1]
	s_load_dwordx2 s[0:1], s[4:5], 0x40
	s_add_u32 s48, s48, s9
	s_addc_u32 s49, s49, 0
	s_mov_b32 s26, s7
	s_ashr_i32 s27, s7, 31
	s_lshl_b64 s[2:3], s[26:27], 2
	s_waitcnt lgkmcnt(0)
	s_add_u32 s0, s0, s2
	s_addc_u32 s1, s1, s3
	s_lshl_b32 s37, s8, 9
	s_load_dword s27, s[0:1], 0x0
	s_waitcnt lgkmcnt(0)
	s_cmp_ge_i32 s37, s27
	s_cbranch_scc1 .LBB49_164
; %bb.1:
	s_clause 0x1
	s_load_dword s9, s[4:5], 0x90
	s_load_dwordx2 s[2:3], s[4:5], 0x30
	v_mov_b32_e32 v51, v0
	s_mov_b32 s39, 0
	s_waitcnt lgkmcnt(0)
	s_abs_i32 s10, s9
	s_abs_i32 s0, s2
	v_cvt_f32_u32_e32 v0, s0
	s_sub_i32 s7, 0, s0
	v_rcp_iflag_f32_e32 v0, v0
	v_mul_f32_e32 v0, 0x4f7ffffe, v0
	v_cvt_u32_f32_e32 v0, v0
	v_readfirstlane_b32 s1, v0
	s_mul_i32 s7, s7, s1
	s_mul_hi_u32 s7, s1, s7
	s_add_i32 s1, s1, s7
	s_xor_b32 s7, s9, s2
	s_mul_hi_u32 s1, s10, s1
	s_ashr_i32 s7, s7, 31
	s_mul_i32 s11, s1, s0
	s_sub_i32 s10, s10, s11
	s_add_i32 s11, s1, 1
	s_sub_i32 s12, s10, s0
	s_cmp_ge_u32 s10, s0
	s_cselect_b32 s1, s11, s1
	s_cselect_b32 s10, s12, s10
	s_add_i32 s11, s1, 1
	s_cmp_ge_u32 s10, s0
	s_cselect_b32 s0, s11, s1
	s_abs_i32 s21, s6
	s_xor_b32 s0, s0, s7
	s_sub_i32 s10, s0, s7
	s_load_dwordx2 s[0:1], s[4:5], 0x50
	s_abs_i32 s20, s10
	v_cvt_f32_u32_e32 v0, s20
	s_sub_i32 s11, 0, s20
	v_rcp_iflag_f32_e32 v0, v0
	v_mul_f32_e32 v0, 0x4f7ffffe, v0
	v_cvt_u32_f32_e32 v0, v0
	v_readfirstlane_b32 s7, v0
	s_mul_i32 s11, s11, s7
	s_mul_hi_u32 s11, s7, s11
	s_add_i32 s7, s7, s11
	s_waitcnt lgkmcnt(0)
	s_cmp_eq_u64 s[0:1], 0
	s_mul_hi_u32 s22, s21, s7
	s_cbranch_scc1 .LBB49_3
; %bb.2:
	s_ashr_i32 s7, s6, 31
	s_lshl_b64 s[12:13], s[6:7], 2
	s_add_u32 s0, s0, s12
	s_addc_u32 s1, s1, s13
	s_load_dword s39, s[0:1], 0x0
.LBB49_3:
	s_load_dwordx4 s[12:15], s[4:5], 0x58
	v_lshlrev_b32_e32 v9, 4, v51
	s_ashr_i32 s0, s6, 31
	s_ashr_i32 s1, s10, 31
	s_mul_i32 s10, s6, 0x70
	s_mov_b32 s7, exec_lo
	v_cmpx_gt_u32_e32 28, v51
	s_cbranch_execz .LBB49_5
; %bb.4:
	s_load_dwordx2 s[16:17], s[4:5], 0x18
	s_waitcnt lgkmcnt(0)
	s_mul_i32 s18, s12, s26
	s_ashr_i32 s19, s18, 31
	s_lshl_b64 s[18:19], s[18:19], 2
	s_add_u32 s12, s16, s18
	s_addc_u32 s15, s17, s19
	s_ashr_i32 s11, s10, 31
	s_lshl_b64 s[16:17], s[10:11], 2
	s_add_u32 s16, s12, s16
	s_addc_u32 s17, s15, s17
	global_load_dwordx4 v[0:3], v9, s[16:17]
	s_waitcnt vmcnt(0)
	ds_write_b128 v9, v[0:3]
.LBB49_5:
	s_or_b32 exec_lo, exec_lo, s7
	s_load_dwordx4 s[16:19], s[4:5], 0x78
	s_mul_i32 s7, s22, s20
	s_xor_b32 s0, s0, s1
	s_sub_i32 s1, s21, s7
	s_add_i32 s7, s22, 1
	s_sub_i32 s11, s1, s20
	s_cmp_ge_u32 s1, s20
	s_mov_b32 s21, -1
	s_cselect_b32 s7, s7, s22
	s_cselect_b32 s1, s11, s1
	s_add_i32 s11, s7, 1
	s_cmp_ge_u32 s1, s20
                                        ; implicit-def: $sgpr33
	s_cselect_b32 s1, s11, s7
	s_load_dword s7, s[4:5], 0x88
	s_xor_b32 s1, s1, s0
	s_add_i32 s20, s27, -1
	s_sub_i32 s1, s1, s0
	s_waitcnt lgkmcnt(0)
	s_abs_i32 s15, s20
	s_abs_i32 s11, s19
	s_barrier
	v_cvt_f32_u32_e32 v0, s11
	s_sub_i32 s0, 0, s11
	buffer_gl0_inv
	v_rcp_iflag_f32_e32 v0, v0
	v_mul_f32_e32 v0, 0x4f7ffffe, v0
	v_cvt_u32_f32_e32 v0, v0
	v_readfirstlane_b32 s12, v0
	s_mul_i32 s0, s0, s12
	s_mul_hi_u32 s0, s12, s0
	s_add_i32 s12, s12, s0
	s_cmp_lt_i32 s7, 0
	s_mul_hi_u32 s0, s15, s12
	s_cbranch_scc0 .LBB49_7
; %bb.6:
	s_mul_i32 s2, s16, s2
	s_mov_b32 s21, 0
	s_add_i32 s2, s1, s2
	s_mul_i32 s2, s2, s7
	s_sub_i32 s33, 1, s2
.LBB49_7:
	s_load_dwordx2 s[28:29], s[4:5], 0x38
	s_ashr_i32 s2, s20, 31
	s_andn2_b32 vcc_lo, exec_lo, s21
	s_ashr_i32 s19, s19, 31
	s_cbranch_vccnz .LBB49_9
; %bb.8:
	s_mul_i32 s16, s9, s16
	s_add_i32 s16, s16, s6
	s_mul_i32 s7, s16, s7
	s_add_i32 s33, s7, 1
.LBB49_9:
	s_clause 0x4
	s_load_dword s16, s[4:5], 0x48
	s_load_dwordx2 s[34:35], s[4:5], 0x28
	s_load_dword s7, s[4:5], 0x98
	s_load_dwordx4 s[20:23], s[4:5], 0x0
	s_load_dwordx2 s[24:25], s[4:5], 0x10
	s_mul_i32 s30, s0, s11
	s_xor_b32 s2, s2, s19
	s_sub_i32 s15, s15, s30
	s_add_i32 s36, s0, 1
	v_lshrrev_b32_e32 v115, 5, v51
	v_and_b32_e32 v0, 31, v51
	v_mov_b32_e32 v124, 0xff7fffff
	s_mul_i32 s14, s1, s14
	v_lshl_add_u32 v122, v115, 5, s37
	v_lshlrev_b32_e32 v116, 2, v0
	buffer_store_dword v0, off, s[48:51], 0 offset:140 ; 4-byte Folded Spill
	s_waitcnt lgkmcnt(0)
	s_mul_i32 s30, s16, s26
	s_sub_i32 s16, s15, s11
	s_ashr_i32 s31, s30, 31
	s_cmp_ge_u32 s15, s11
	s_cselect_b32 s0, s36, s0
	s_cselect_b32 s15, s16, s15
	s_add_i32 s16, s0, 1
	s_cmp_ge_u32 s15, s11
	s_cselect_b32 s0, s16, s0
	s_add_i32 s15, s27, 31
	s_lshl_b32 s40, s8, 4
	s_ashr_i32 s16, s15, 31
	v_add_nc_u32_e32 v117, s40, v115
	s_lshr_b32 s16, s16, 27
	s_add_i32 s15, s15, s16
	s_add_i32 s16, s40, 16
	s_ashr_i32 s36, s15, 5
	s_xor_b32 s15, s0, s2
	s_min_i32 s16, s16, s36
	v_ashrrev_i32_e32 v118, 31, v117
	v_cmp_gt_i32_e64 s0, s16, v117
	s_sub_i32 s38, s15, s2
	s_mov_b32 s41, exec_lo
	s_and_b32 s1, s41, s0
	buffer_store_dword v51, off, s[48:51], 0 offset:156 ; 4-byte Folded Spill
	buffer_store_dword v115, off, s[48:51], 0 offset:160 ; 4-byte Folded Spill
	s_mov_b32 exec_lo, s1
	s_cbranch_execz .LBB49_17
; %bb.10:
	buffer_load_dword v2, off, s[48:51], 0 offset:140 ; 4-byte Folded Reload
	s_load_dwordx2 s[42:43], s[4:5], 0x20
	v_mov_b32_e32 v1, 0
	s_ashr_i32 s15, s14, 31
	s_sub_i32 s4, s38, s17
	s_lshl_b64 s[44:45], s[14:15], 2
	buffer_store_dword v9, off, s[48:51], 0 offset:44 ; 4-byte Folded Spill
	ds_read_b128 v[3:6], v1
	v_cmp_neq_f32_e64 vcc_lo, s39, 0
	v_lshl_add_u32 v125, v115, 5, s37
	v_mov_b32_e32 v124, 0xff7fffff
	v_mov_b32_e32 v119, v117
	s_mov_b32 s5, s13
	s_mov_b32 s15, 0
	s_waitcnt lgkmcnt(0)
	s_add_u32 s1, s42, s44
	s_addc_u32 s2, s43, s45
	s_abs_i32 s42, s18
	s_lshl_b64 s[44:45], s[30:31], 2
	s_waitcnt vmcnt(0)
	v_lshlrev_b32_e32 v0, 4, v2
	v_add_co_u32 v0, s1, s1, v0
	buffer_store_dword v0, off, s[48:51], 0 ; 4-byte Folded Spill
	v_add_co_ci_u32_e64 v0, null, s2, 0, s1
	s_sub_i32 s1, 0, s42
	buffer_store_dword v0, off, s[48:51], 0 offset:4 ; 4-byte Folded Spill
	v_cvt_f32_u32_e32 v0, s42
	buffer_store_dword v3, off, s[48:51], 0 offset:8 ; 4-byte Folded Spill
	buffer_store_dword v4, off, s[48:51], 0 offset:12 ; 4-byte Folded Spill
	;; [unrolled: 1-line block ×4, first 2 shown]
	ds_read_b128 v[3:6], v1 offset:16
	s_waitcnt lgkmcnt(0)
	buffer_store_dword v3, off, s[48:51], 0 offset:24 ; 4-byte Folded Spill
	buffer_store_dword v4, off, s[48:51], 0 offset:28 ; 4-byte Folded Spill
	;; [unrolled: 1-line block ×4, first 2 shown]
	v_rcp_iflag_f32_e32 v0, v0
	ds_read_b128 v[9:12], v1 offset:32
	ds_read_b128 v[13:16], v1 offset:48
	;; [unrolled: 1-line block ×26, first 2 shown]
	v_mul_f32_e32 v0, 0x4f7ffffe, v0
	v_cvt_u32_f32_e32 v0, v0
	v_mul_lo_u32 v1, s1, v0
	s_add_u32 s1, s28, s44
	s_addc_u32 s2, s29, s45
	v_mul_hi_u32 v1, v0, v1
	v_add_nc_u32_e32 v123, v0, v1
	v_lshlrev_b64 v[0:1], 2, v[117:118]
	v_add_co_u32 v113, s1, s1, v0
	v_subrev_nc_u32_e32 v0, s27, v2
	v_add_co_ci_u32_e64 v114, null, s2, v1, s1
	v_add_nc_u32_e32 v0, 1, v0
	buffer_store_dword v0, off, s[48:51], 0 offset:40 ; 4-byte Folded Spill
	buffer_store_dword v116, off, s[48:51], 0 offset:48 ; 4-byte Folded Spill
	v_lshl_or_b32 v0, v115, 7, v116
	v_add_nc_u32_e32 v127, 0x1e0, v0
	s_branch .LBB49_12
.LBB49_11:                              ;   in Loop: Header=BB49_12 Depth=1
	s_or_b32 exec_lo, exec_lo, s2
	v_add_nc_u32_e32 v119, 4, v119
	v_add_co_u32 v113, s1, v113, 16
	v_add_co_ci_u32_e64 v114, null, 0, v114, s1
	v_cmp_le_i32_e64 s1, s16, v119
	v_add_nc_u32_e32 v125, 0x80, v125
	v_add_nc_u32_e32 v127, 0x200, v127
	s_or_b32 s15, s1, s15
	s_andn2_b32 exec_lo, exec_lo, s15
	s_cbranch_execz .LBB49_16
.LBB49_12:                              ; =>This Inner Loop Header: Depth=1
	v_sub_nc_u32_e32 v0, 0, v125
	v_max_i32_e32 v0, v125, v0
	v_mul_hi_u32 v1, v0, s12
	v_mul_lo_u32 v2, v1, s11
	v_sub_nc_u32_e32 v0, v0, v2
	v_add_nc_u32_e32 v2, 1, v1
	v_subrev_nc_u32_e32 v3, s11, v0
	v_cmp_le_u32_e64 s1, s11, v0
	v_cndmask_b32_e64 v1, v1, v2, s1
	v_cndmask_b32_e64 v0, v0, v3, s1
	v_ashrrev_i32_e32 v2, 31, v125
	v_add_nc_u32_e32 v3, 1, v1
	v_cmp_le_u32_e64 s1, s11, v0
	v_xor_b32_e32 v2, s19, v2
	v_cndmask_b32_e64 v0, v1, v3, s1
	v_xor_b32_e32 v0, v0, v2
	v_sub_nc_u32_e32 v0, v0, v2
	v_add_nc_u32_e32 v1, s33, v0
	v_cmp_ge_i32_e64 s2, s4, v0
	v_sub_nc_u32_e32 v2, 0, v1
	v_max_i32_e32 v2, v1, v2
	v_ashrrev_i32_e32 v1, 31, v1
	v_mul_hi_u32 v3, v2, v123
	v_mul_lo_u32 v3, v3, s42
	v_sub_nc_u32_e32 v2, v2, v3
	v_subrev_nc_u32_e32 v3, s42, v2
	v_cmp_le_u32_e64 s1, s42, v2
	v_cndmask_b32_e64 v2, v2, v3, s1
	v_subrev_nc_u32_e32 v3, s42, v2
	v_cmp_le_u32_e64 s1, s42, v2
	v_cndmask_b32_e64 v2, v2, v3, s1
	v_xor_b32_e32 v2, v2, v1
	v_sub_nc_u32_e32 v1, v2, v1
	v_cmp_ne_u32_e64 s1, 0, v1
	s_and_b32 s1, s1, s2
	s_and_saveexec_b32 s2, s1
	s_xor_b32 s1, exec_lo, s2
; %bb.13:                               ;   in Loop: Header=BB49_12 Depth=1
	v_mov_b32_e32 v0, 0xff7fffff
	ds_write_b32 v127, v0
; %bb.14:                               ;   in Loop: Header=BB49_12 Depth=1
	s_andn2_saveexec_b32 s2, s1
	s_cbranch_execz .LBB49_11
; %bb.15:                               ;   in Loop: Header=BB49_12 Depth=1
	global_load_dword v0, v[113:114], off
	buffer_load_dword v2, off, s[48:51], 0  ; 4-byte Folded Reload
	s_waitcnt vmcnt(1)
	v_mad_i64_i32 v[0:1], null, v0, s5, 0
	v_lshlrev_b64 v[0:1], 2, v[0:1]
	s_waitcnt vmcnt(0)
	v_add_co_u32 v115, s1, v2, v0
	buffer_load_dword v0, off, s[48:51], 0 offset:4 ; 4-byte Folded Reload
	s_waitcnt vmcnt(0)
	v_add_co_ci_u32_e64 v116, null, v0, v1, s1
	global_load_dwordx4 v[0:3], v[115:116], off offset:512
	s_clause 0x3
	buffer_load_dword v4, off, s[48:51], 0 offset:24
	buffer_load_dword v5, off, s[48:51], 0 offset:28
	;; [unrolled: 1-line block ×4, first 2 shown]
	s_waitcnt vmcnt(3)
	v_mul_f32_e32 v120, v4, v0
	s_waitcnt vmcnt(2)
	v_mul_f32_e32 v121, v5, v1
	;; [unrolled: 2-line block ×4, first 2 shown]
	global_load_dwordx4 v[1:4], v[115:116], off
	s_clause 0x3
	buffer_load_dword v5, off, s[48:51], 0 offset:8
	buffer_load_dword v6, off, s[48:51], 0 offset:12
	;; [unrolled: 1-line block ×4, first 2 shown]
	s_waitcnt vmcnt(3)
	v_fmac_f32_e32 v120, v5, v1
	s_waitcnt vmcnt(2)
	v_fmac_f32_e32 v121, v6, v2
	;; [unrolled: 2-line block ×4, first 2 shown]
	global_load_dwordx4 v[1:4], v[115:116], off offset:1024
	v_add_co_u32 v5, s1, v115, 0x1000
	v_add_co_ci_u32_e64 v6, null, 0, v116, s1
	v_add_co_u32 v7, s1, 0x800, v115
	v_add_co_ci_u32_e64 v8, null, 0, v116, s1
	s_waitcnt vmcnt(0) lgkmcnt(25)
	v_fmac_f32_e32 v120, v9, v1
	v_fmac_f32_e32 v121, v10, v2
	v_fmac_f32_e32 v126, v11, v3
	v_fmac_f32_e32 v0, v12, v4
	global_load_dwordx4 v[1:4], v[115:116], off offset:1536
	s_waitcnt vmcnt(0) lgkmcnt(24)
	v_fmac_f32_e32 v120, v13, v1
	v_fmac_f32_e32 v121, v14, v2
	;; [unrolled: 1-line block ×4, first 2 shown]
	global_load_dwordx4 v[1:4], v[5:6], off offset:-2048
	s_waitcnt vmcnt(0) lgkmcnt(23)
	v_fmac_f32_e32 v120, v17, v1
	v_fmac_f32_e32 v121, v18, v2
	v_fmac_f32_e32 v126, v19, v3
	v_fmac_f32_e32 v0, v20, v4
	global_load_dwordx4 v[1:4], v[7:8], off offset:512
	s_waitcnt vmcnt(0) lgkmcnt(22)
	v_fmac_f32_e32 v120, v21, v1
	v_fmac_f32_e32 v121, v22, v2
	v_fmac_f32_e32 v126, v23, v3
	v_fmac_f32_e32 v0, v24, v4
	global_load_dwordx4 v[1:4], v[7:8], off offset:1024
	;; [unrolled: 6-line block ×3, first 2 shown]
	s_waitcnt vmcnt(0) lgkmcnt(20)
	v_fmac_f32_e32 v120, v29, v1
	v_fmac_f32_e32 v121, v30, v2
	v_fmac_f32_e32 v126, v31, v3
	v_fmac_f32_e32 v0, v32, v4
	global_load_dwordx4 v[1:4], v[5:6], off
	v_add_co_u32 v5, s1, 0x1000, v115
	v_add_co_ci_u32_e64 v6, null, 0, v116, s1
	s_waitcnt vmcnt(0) lgkmcnt(19)
	v_fmac_f32_e32 v120, v33, v1
	v_fmac_f32_e32 v121, v34, v2
	v_fmac_f32_e32 v126, v35, v3
	v_fmac_f32_e32 v0, v36, v4
	global_load_dwordx4 v[1:4], v[5:6], off offset:512
	s_waitcnt vmcnt(0) lgkmcnt(18)
	v_fmac_f32_e32 v120, v37, v1
	v_fmac_f32_e32 v121, v38, v2
	v_fmac_f32_e32 v126, v39, v3
	v_fmac_f32_e32 v0, v40, v4
	global_load_dwordx4 v[1:4], v[5:6], off offset:1024
	;; [unrolled: 6-line block ×3, first 2 shown]
	v_add_co_u32 v5, s1, v115, 0x2000
	v_add_co_ci_u32_e64 v6, null, 0, v116, s1
	v_add_co_u32 v7, s1, 0x1800, v115
	v_add_co_ci_u32_e64 v8, null, 0, v116, s1
	s_waitcnt vmcnt(0) lgkmcnt(16)
	v_fmac_f32_e32 v120, v45, v1
	v_fmac_f32_e32 v121, v46, v2
	;; [unrolled: 1-line block ×4, first 2 shown]
	global_load_dwordx4 v[1:4], v[5:6], off offset:-2048
	s_waitcnt vmcnt(0) lgkmcnt(15)
	v_fmac_f32_e32 v120, v49, v1
	v_fmac_f32_e32 v121, v50, v2
	v_fmac_f32_e32 v126, v51, v3
	v_fmac_f32_e32 v0, v52, v4
	global_load_dwordx4 v[1:4], v[7:8], off offset:512
	s_waitcnt vmcnt(0) lgkmcnt(14)
	v_fmac_f32_e32 v120, v53, v1
	v_fmac_f32_e32 v121, v54, v2
	v_fmac_f32_e32 v126, v55, v3
	v_fmac_f32_e32 v0, v56, v4
	global_load_dwordx4 v[1:4], v[7:8], off offset:1024
	;; [unrolled: 6-line block ×3, first 2 shown]
	s_waitcnt vmcnt(0) lgkmcnt(12)
	v_fmac_f32_e32 v120, v61, v1
	v_fmac_f32_e32 v121, v62, v2
	;; [unrolled: 1-line block ×4, first 2 shown]
	global_load_dwordx4 v[1:4], v[5:6], off
	v_add_co_u32 v5, s1, 0x2000, v115
	v_add_co_ci_u32_e64 v6, null, 0, v116, s1
	s_waitcnt vmcnt(0) lgkmcnt(11)
	v_fmac_f32_e32 v120, v65, v1
	v_fmac_f32_e32 v121, v66, v2
	v_fmac_f32_e32 v126, v67, v3
	v_fmac_f32_e32 v0, v68, v4
	global_load_dwordx4 v[1:4], v[5:6], off offset:512
	s_waitcnt vmcnt(0) lgkmcnt(10)
	v_fmac_f32_e32 v120, v69, v1
	v_fmac_f32_e32 v121, v70, v2
	v_fmac_f32_e32 v126, v71, v3
	v_fmac_f32_e32 v0, v72, v4
	global_load_dwordx4 v[1:4], v[5:6], off offset:1024
	;; [unrolled: 6-line block ×3, first 2 shown]
	v_add_co_u32 v5, s1, v115, 0x3000
	v_add_co_ci_u32_e64 v6, null, 0, v116, s1
	v_add_co_u32 v7, s1, 0x2800, v115
	v_add_co_ci_u32_e64 v8, null, 0, v116, s1
	s_waitcnt vmcnt(0) lgkmcnt(8)
	v_fmac_f32_e32 v120, v77, v1
	v_fmac_f32_e32 v121, v78, v2
	;; [unrolled: 1-line block ×4, first 2 shown]
	global_load_dwordx4 v[1:4], v[5:6], off offset:-2048
	s_waitcnt vmcnt(0) lgkmcnt(7)
	v_fmac_f32_e32 v120, v81, v1
	v_fmac_f32_e32 v121, v82, v2
	v_fmac_f32_e32 v126, v83, v3
	v_fmac_f32_e32 v0, v84, v4
	global_load_dwordx4 v[1:4], v[7:8], off offset:512
	s_waitcnt vmcnt(0) lgkmcnt(6)
	v_fmac_f32_e32 v120, v85, v1
	v_fmac_f32_e32 v121, v86, v2
	v_fmac_f32_e32 v126, v87, v3
	v_fmac_f32_e32 v0, v88, v4
	global_load_dwordx4 v[1:4], v[7:8], off offset:1024
	;; [unrolled: 6-line block ×3, first 2 shown]
	s_waitcnt vmcnt(0) lgkmcnt(4)
	v_fmac_f32_e32 v120, v93, v1
	v_fmac_f32_e32 v121, v94, v2
	;; [unrolled: 1-line block ×4, first 2 shown]
	global_load_dwordx4 v[1:4], v[5:6], off
	v_add_co_u32 v5, s1, 0x3000, v115
	v_add_co_ci_u32_e64 v6, null, 0, v116, s1
	s_waitcnt vmcnt(0) lgkmcnt(3)
	v_fmac_f32_e32 v120, v97, v1
	v_fmac_f32_e32 v121, v98, v2
	v_fmac_f32_e32 v126, v99, v3
	v_fmac_f32_e32 v0, v100, v4
	global_load_dwordx4 v[1:4], v[5:6], off offset:512
	s_waitcnt vmcnt(0) lgkmcnt(2)
	v_fmac_f32_e32 v120, v101, v1
	v_fmac_f32_e32 v121, v102, v2
	v_fmac_f32_e32 v126, v103, v3
	v_fmac_f32_e32 v0, v104, v4
	global_load_dwordx4 v[1:4], v[5:6], off offset:1024
	;; [unrolled: 6-line block ×3, first 2 shown]
	s_waitcnt vmcnt(0) lgkmcnt(0)
	v_fmac_f32_e32 v120, v109, v1
	v_fmac_f32_e32 v121, v110, v2
	;; [unrolled: 1-line block ×4, first 2 shown]
	buffer_load_dword v2, off, s[48:51], 0 offset:140 ; 4-byte Folded Reload
	v_add_f32_e32 v1, v120, v121
	v_add_f32_e32 v1, v126, v1
	;; [unrolled: 1-line block ×3, first 2 shown]
	buffer_load_dword v1, off, s[48:51], 0 offset:40 ; 4-byte Folded Reload
	s_waitcnt vmcnt(1)
	v_add_nc_u32_e32 v2, v2, v125
	v_cmp_gt_i32_e64 s1, s27, v2
	s_waitcnt vmcnt(0)
	v_add_nc_u32_e32 v1, v1, v125
	v_cvt_f32_i32_e32 v1, v1
	v_mul_f32_e32 v1, s39, v1
	v_cndmask_b32_e32 v1, 0, v1, vcc_lo
	v_fmac_f32_e32 v1, s3, v0
	v_max_f32_e32 v0, v124, v124
	v_max_f32_e32 v0, v0, v1
	v_cndmask_b32_e64 v124, v124, v0, s1
	v_cndmask_b32_e64 v0, 0, v1, s1
	ds_write_b32 v127, v0
	s_branch .LBB49_11
.LBB49_16:
	s_or_b32 exec_lo, exec_lo, s15
	s_waitcnt lgkmcnt(15)
	s_clause 0x3
	buffer_load_dword v51, off, s[48:51], 0 offset:156
	buffer_load_dword v115, off, s[48:51], 0 offset:160
	;; [unrolled: 1-line block ×4, first 2 shown]
.LBB49_17:
	s_or_b32 exec_lo, exec_lo, s41
	v_mbcnt_lo_u32_b32 v0, -1, 0
	v_max_f32_e32 v4, v124, v124
	v_xor_b32_e32 v1, 16, v0
	v_xor_b32_e32 v3, 8, v0
	v_cmp_gt_i32_e32 vcc_lo, 32, v1
	v_cndmask_b32_e32 v1, v0, v1, vcc_lo
	v_cmp_gt_i32_e32 vcc_lo, 32, v3
	v_lshlrev_b32_e32 v1, 2, v1
	v_cndmask_b32_e32 v3, v0, v3, vcc_lo
	ds_bpermute_b32 v2, v1, v124
	s_waitcnt lgkmcnt(0)
	v_max_f32_e32 v5, v2, v2
	v_lshlrev_b32_e32 v2, 2, v3
	v_max_f32_e32 v3, v4, v5
	v_xor_b32_e32 v5, 4, v0
	ds_bpermute_b32 v4, v2, v3
	v_cmp_gt_i32_e32 vcc_lo, 32, v5
	v_cndmask_b32_e32 v5, v0, v5, vcc_lo
	v_lshlrev_b32_e32 v125, 2, v5
	v_xor_b32_e32 v5, 2, v0
	v_cmp_gt_i32_e32 vcc_lo, 32, v5
	s_waitcnt lgkmcnt(0)
	v_max_f32_e32 v4, v4, v4
	v_cndmask_b32_e32 v5, v0, v5, vcc_lo
	v_max_f32_e32 v3, v3, v4
	v_lshlrev_b32_e32 v124, 2, v5
	v_xor_b32_e32 v5, 1, v0
	ds_bpermute_b32 v4, v125, v3
	v_cmp_gt_i32_e32 vcc_lo, 32, v5
	v_cndmask_b32_e32 v5, v0, v5, vcc_lo
	v_lshlrev_b32_e32 v123, 2, v5
	s_waitcnt lgkmcnt(0)
	v_max_f32_e32 v4, v4, v4
	v_max_f32_e32 v3, v3, v4
	ds_bpermute_b32 v4, v124, v3
	s_waitcnt lgkmcnt(0)
	v_max_f32_e32 v4, v4, v4
	v_max_f32_e32 v0, v3, v4
	buffer_load_dword v4, off, s[48:51], 0 offset:140 ; 4-byte Folded Reload
	ds_bpermute_b32 v3, v123, v0
	s_waitcnt vmcnt(0)
	v_cmp_eq_u32_e32 vcc_lo, 0, v4
	v_lshlrev_b32_e32 v4, 2, v115
	s_and_saveexec_b32 s1, vcc_lo
	s_cbranch_execz .LBB49_19
; %bb.18:
	s_waitcnt lgkmcnt(0)
	v_max_f32_e32 v3, v3, v3
	v_max_f32_e32 v0, v0, v0
	;; [unrolled: 1-line block ×3, first 2 shown]
	ds_write_b32 v4, v0 offset:448
.LBB49_19:
	s_or_b32 exec_lo, exec_lo, s1
	buffer_load_dword v0, off, s[48:51], 0 offset:140 ; 4-byte Folded Reload
	s_waitcnt vmcnt(0) lgkmcnt(0)
	s_waitcnt_vscnt null, 0x0
	s_barrier
	buffer_gl0_inv
	v_cmp_gt_u32_e64 s1, 4, v0
	v_mov_b32_e32 v0, 0xff7fffff
	s_and_saveexec_b32 s2, s1
; %bb.20:
	ds_read_b32 v0, v116 offset:448
; %bb.21:
	s_or_b32 exec_lo, exec_lo, s2
	s_waitcnt lgkmcnt(0)
	ds_bpermute_b32 v3, v124, v0
	v_max_f32_e32 v0, v0, v0
	v_mov_b32_e32 v5, 0
	s_sub_i32 s2, s16, s40
	s_lshl_b32 s2, s2, 5
	s_add_i32 s2, s2, s37
	s_min_i32 s2, s2, s27
	s_sub_i32 s4, s2, s37
	v_cmp_gt_i32_e64 s2, s4, v51
	s_waitcnt lgkmcnt(0)
	v_max_f32_e32 v3, v3, v3
	v_max_f32_e32 v0, v0, v3
	ds_bpermute_b32 v3, v123, v0
	s_waitcnt lgkmcnt(0)
	v_max_f32_e32 v3, v3, v3
	v_max_f32_e32 v0, v0, v3
	v_lshl_add_u32 v3, v51, 2, 0x1e0
	ds_bpermute_b32 v0, v5, v0
	s_and_saveexec_b32 s5, s2
	s_cbranch_execz .LBB49_25
; %bb.22:
	v_lshl_add_u32 v6, v51, 2, 0x1e0
	v_mov_b32_e32 v5, 0
	v_mov_b32_e32 v7, v51
	s_mov_b32 s15, 0
	.p2align	6
.LBB49_23:                              ; =>This Inner Loop Header: Depth=1
	ds_read_b32 v8, v6
	v_add_nc_u32_e32 v7, 0x80, v7
	v_cmp_le_i32_e64 s3, s4, v7
	s_or_b32 s15, s3, s15
	s_waitcnt lgkmcnt(0)
	v_sub_f32_e32 v8, v8, v0
	v_mul_f32_e32 v8, 0x3fb8aa3b, v8
	v_exp_f32_e32 v8, v8
	ds_write_b32 v6, v8
	v_add_f32_e32 v5, v5, v8
	v_add_nc_u32_e32 v6, 0x200, v6
	s_andn2_b32 exec_lo, exec_lo, s15
	s_cbranch_execnz .LBB49_23
; %bb.24:
	s_or_b32 exec_lo, exec_lo, s15
.LBB49_25:
	s_or_b32 exec_lo, exec_lo, s5
	ds_bpermute_b32 v1, v1, v5
	s_waitcnt lgkmcnt(0)
	v_add_f32_e32 v1, v5, v1
	ds_bpermute_b32 v2, v2, v1
	s_waitcnt lgkmcnt(0)
	v_add_f32_e32 v1, v1, v2
	;; [unrolled: 3-line block ×5, first 2 shown]
	s_and_saveexec_b32 s3, vcc_lo
; %bb.26:
	ds_write_b32 v4, v1 offset:464
; %bb.27:
	s_or_b32 exec_lo, exec_lo, s3
	s_waitcnt lgkmcnt(0)
	s_barrier
	buffer_gl0_inv
	s_and_saveexec_b32 s3, s1
; %bb.28:
	ds_read_b32 v1, v116 offset:464
; %bb.29:
	s_or_b32 exec_lo, exec_lo, s3
	s_waitcnt lgkmcnt(0)
	ds_bpermute_b32 v2, v124, v1
	s_waitcnt lgkmcnt(0)
	v_add_f32_e32 v1, v1, v2
	ds_bpermute_b32 v2, v123, v1
	s_waitcnt lgkmcnt(0)
	v_add_f32_e32 v1, v1, v2
	v_mov_b32_e32 v2, 0
	ds_bpermute_b32 v1, v2, v1
	s_and_saveexec_b32 s1, s2
	s_cbranch_execz .LBB49_32
; %bb.30:
	s_waitcnt lgkmcnt(0)
	v_add_f32_e32 v2, 0x358637bd, v1
	s_mov_b32 s2, 0
	v_div_scale_f32 v4, null, v2, v2, 1.0
	v_div_scale_f32 v7, vcc_lo, 1.0, v2, 1.0
	v_rcp_f32_e32 v5, v4
	v_fma_f32 v6, -v4, v5, 1.0
	v_fmac_f32_e32 v5, v6, v5
	v_mul_f32_e32 v6, v7, v5
	v_fma_f32 v8, -v4, v6, v7
	v_fmac_f32_e32 v6, v8, v5
	v_fma_f32 v4, -v4, v6, v7
	v_div_fmas_f32 v4, v4, v5, v6
	v_div_fixup_f32 v2, v4, v2, 1.0
	v_mov_b32_e32 v4, v51
.LBB49_31:                              ; =>This Inner Loop Header: Depth=1
	ds_read_b32 v5, v3
	v_add_nc_u32_e32 v4, 0x80, v4
	v_cmp_le_i32_e32 vcc_lo, s4, v4
	s_or_b32 s2, vcc_lo, s2
	s_waitcnt lgkmcnt(0)
	v_mul_f32_e32 v5, v2, v5
	ds_write_b32 v3, v5
	v_add_nc_u32_e32 v3, 0x200, v3
	s_andn2_b32 exec_lo, exec_lo, s2
	s_cbranch_execnz .LBB49_31
.LBB49_32:
	s_or_b32 exec_lo, exec_lo, s1
	s_mul_i32 s1, s7, s26
	s_waitcnt lgkmcnt(0)
	s_mul_i32 s2, s1, s9
	s_mov_b32 s1, exec_lo
	s_barrier
	buffer_gl0_inv
	v_cmpx_eq_u32_e32 0, v51
	s_cbranch_execz .LBB49_34
; %bb.33:
	s_ashr_i32 s3, s2, 31
	s_mul_i32 s40, s7, s6
	s_lshl_b64 s[4:5], s[2:3], 2
	v_mov_b32_e32 v2, 0
	s_add_u32 s3, s22, s4
	s_addc_u32 s6, s23, s5
	s_ashr_i32 s41, s40, 31
	s_lshl_b64 s[22:23], s[40:41], 2
	s_add_u32 s3, s3, s22
	s_addc_u32 s6, s6, s23
	s_ashr_i32 s9, s8, 31
	s_lshl_b64 s[40:41], s[8:9], 2
	s_add_u32 s42, s3, s40
	s_addc_u32 s43, s6, s41
	s_add_u32 s3, s20, s4
	s_addc_u32 s4, s21, s5
	s_add_u32 s3, s3, s22
	s_addc_u32 s5, s4, s23
	s_add_u32 s4, s3, s40
	s_addc_u32 s5, s5, s41
	global_store_dword v2, v0, s[42:43]
	global_store_dword v2, v1, s[4:5]
.LBB49_34:
	s_or_b32 exec_lo, exec_lo, s1
	v_mov_b32_e32 v13, 0
	v_and_b32_e32 v52, 7, v51
	v_mov_b32_e32 v17, 0
	v_mov_b32_e32 v16, 0
	;; [unrolled: 1-line block ×27, first 2 shown]
	s_and_saveexec_b32 s1, s0
	s_cbranch_execz .LBB49_96
; %bb.35:
	v_mov_b32_e32 v6, 0
	s_ashr_i32 s15, s14, 31
	s_sub_i32 s3, s38, s17
	s_lshl_b64 s[4:5], s[14:15], 2
	v_lshlrev_b32_e32 v2, 2, v51
	buffer_store_dword v6, off, s[48:51], 0 ; 4-byte Folded Spill
	v_mov_b32_e32 v6, 0
	s_add_u32 s0, s34, s4
	s_addc_u32 s6, s35, s5
	s_abs_i32 s4, s18
	v_and_b32_e32 v2, 28, v2
	buffer_store_dword v6, off, s[48:51], 0 offset:4 ; 4-byte Folded Spill
	v_mov_b32_e32 v6, 0
	v_cvt_f32_u32_e32 v3, s4
	s_sub_i32 s5, 0, s4
	buffer_store_dword v2, off, s[48:51], 0 offset:144 ; 4-byte Folded Spill
	v_and_b32_e32 v4, 0x1f0, v9
	buffer_store_dword v6, off, s[48:51], 0 offset:8 ; 4-byte Folded Spill
	v_mov_b32_e32 v6, 0
	v_rcp_iflag_f32_e32 v3, v3
	v_lshlrev_b64 v[0:1], 2, v[117:118]
	v_add_co_u32 v4, s0, s0, v4
	buffer_store_dword v6, off, s[48:51], 0 offset:24 ; 4-byte Folded Spill
	v_mov_b32_e32 v6, 0
	s_lshl_b64 s[14:15], s[30:31], 2
	buffer_store_dword v4, off, s[48:51], 0 offset:148 ; 4-byte Folded Spill
	v_add_co_ci_u32_e64 v4, null, s6, 0, s0
	buffer_store_dword v6, off, s[48:51], 0 offset:40 ; 4-byte Folded Spill
	v_mov_b32_e32 v6, 0
	v_mul_f32_e32 v3, 0x4f7ffffe, v3
	v_lshlrev_b32_e32 v5, 4, v52
	v_mov_b32_e32 v44, 0
	v_mov_b32_e32 v8, 0
	buffer_store_dword v6, off, s[48:51], 0 offset:44 ; 4-byte Folded Spill
	v_mov_b32_e32 v6, 0
	v_cvt_u32_f32_e32 v3, v3
	v_lshl_or_b32 v5, v115, 7, v5
	v_mov_b32_e32 v7, 0
	v_mov_b32_e32 v11, 0
	buffer_store_dword v6, off, s[48:51], 0 offset:48 ; 4-byte Folded Spill
	v_mov_b32_e32 v6, 0
	v_mul_lo_u32 v2, s5, v3
	s_add_i32 s5, s36, -1
	s_add_u32 s0, s28, s14
	s_addc_u32 s6, s29, s15
	buffer_store_dword v6, off, s[48:51], 0 offset:52 ; 4-byte Folded Spill
	v_mov_b32_e32 v6, 0
	v_add_co_u32 v118, vcc_lo, s0, v0
	v_mul_hi_u32 v2, v3, v2
	v_add_nc_u32_e32 v121, 0x1e0, v5
	buffer_store_dword v6, off, s[48:51], 0 offset:56 ; 4-byte Folded Spill
	v_mov_b32_e32 v6, 0
	v_add_co_ci_u32_e64 v119, null, s6, v1, vcc_lo
	v_mov_b32_e32 v12, 0
	v_mov_b32_e32 v14, 0
	buffer_store_dword v6, off, s[48:51], 0 offset:60 ; 4-byte Folded Spill
	v_mov_b32_e32 v6, 0
	v_add_nc_u32_e32 v0, v3, v2
	v_mov_b32_e32 v15, 0
	v_mov_b32_e32 v16, 0
	;; [unrolled: 1-line block ×3, first 2 shown]
	buffer_store_dword v6, off, s[48:51], 0 offset:64 ; 4-byte Folded Spill
	v_mov_b32_e32 v6, 0
	buffer_store_dword v0, off, s[48:51], 0 offset:96 ; 4-byte Folded Spill
	v_mov_b32_e32 v0, 0
	v_mov_b32_e32 v13, 0
	s_mov_b32 s9, s13
	buffer_store_dword v6, off, s[48:51], 0 offset:68 ; 4-byte Folded Spill
	v_mov_b32_e32 v6, 0
	buffer_store_dword v0, off, s[48:51], 0 offset:84 ; 4-byte Folded Spill
	v_mov_b32_e32 v0, 0
	s_mov_b32 s6, 0
	buffer_store_dword v52, off, s[48:51], 0 offset:164 ; 4-byte Folded Spill
	buffer_store_dword v6, off, s[48:51], 0 offset:72 ; 4-byte Folded Spill
	v_mov_b32_e32 v6, 0
	buffer_store_dword v0, off, s[48:51], 0 offset:88 ; 4-byte Folded Spill
	v_mov_b32_e32 v0, 0
	buffer_store_dword v4, off, s[48:51], 0 offset:152 ; 4-byte Folded Spill
	buffer_store_dword v6, off, s[48:51], 0 offset:76 ; 4-byte Folded Spill
	v_mov_b32_e32 v6, 0
	buffer_store_dword v0, off, s[48:51], 0 offset:92 ; 4-byte Folded Spill
	buffer_store_dword v6, off, s[48:51], 0 offset:80 ; 4-byte Folded Spill
	s_branch .LBB49_38
.LBB49_36:                              ;   in Loop: Header=BB49_38 Depth=1
	s_or_b32 exec_lo, exec_lo, s0
	s_waitcnt vmcnt(27) lgkmcnt(0)
	v_mul_f32_e32 v5, v1, v5
	s_waitcnt vmcnt(1)
	v_mul_f32_e32 v0, v1, v113
	v_mul_f32_e32 v41, v1, v41
	;; [unrolled: 1-line block ×4, first 2 shown]
	v_fmac_f32_e32 v5, v2, v6
	buffer_load_dword v6, off, s[48:51], 0  ; 4-byte Folded Reload
	v_fmac_f32_e32 v0, v2, v114
	v_fmac_f32_e32 v41, v2, v42
	;; [unrolled: 1-line block ×12, first 2 shown]
	buffer_load_dword v44, off, s[48:51], 0 offset:100 ; 4-byte Folded Reload
	v_fmac_f32_e32 v109, v4, v112
	v_fmac_f32_e32 v105, v4, v108
	v_mul_f32_e32 v101, v1, v101
	v_mul_f32_e32 v9, v1, v9
	;; [unrolled: 1-line block ×5, first 2 shown]
	v_fmac_f32_e32 v101, v2, v102
	v_fmac_f32_e32 v9, v2, v10
	;; [unrolled: 1-line block ×9, first 2 shown]
	v_mul_f32_e32 v89, v1, v89
	v_fmac_f32_e32 v101, v4, v104
	v_fmac_f32_e32 v9, v4, v12
	;; [unrolled: 1-line block ×6, first 2 shown]
	v_mul_f32_e32 v85, v1, v85
	v_mul_f32_e32 v77, v1, v77
	;; [unrolled: 1-line block ×3, first 2 shown]
	v_fmac_f32_e32 v89, v3, v91
	v_fmac_f32_e32 v13, v4, v16
	;; [unrolled: 1-line block ×4, first 2 shown]
	v_mul_f32_e32 v17, v1, v17
	v_fmac_f32_e32 v89, v4, v92
	v_fmac_f32_e32 v73, v2, v74
	;; [unrolled: 1-line block ×5, first 2 shown]
	v_mul_f32_e32 v69, v1, v69
	v_fmac_f32_e32 v73, v3, v75
	v_fmac_f32_e32 v85, v4, v88
	;; [unrolled: 1-line block ×6, first 2 shown]
	v_mul_f32_e32 v65, v1, v65
	v_mul_f32_e32 v61, v1, v61
	v_fmac_f32_e32 v17, v4, v20
	v_fmac_f32_e32 v69, v3, v71
	v_mul_f32_e32 v57, v1, v57
	v_fmac_f32_e32 v65, v2, v66
	v_fmac_f32_e32 v61, v2, v62
	;; [unrolled: 3-line block ×3, first 2 shown]
	v_fmac_f32_e32 v65, v3, v67
	v_fmac_f32_e32 v61, v3, v63
	;; [unrolled: 1-line block ×3, first 2 shown]
	v_mul_f32_e32 v49, v1, v49
	v_fmac_f32_e32 v57, v3, v59
	v_fmac_f32_e32 v65, v4, v68
	;; [unrolled: 1-line block ×6, first 2 shown]
	v_mul_f32_e32 v45, v1, v45
	v_mul_f32_e32 v37, v1, v37
	v_fmac_f32_e32 v53, v4, v56
	v_fmac_f32_e32 v49, v3, v51
	v_mul_f32_e32 v33, v1, v33
	v_fmac_f32_e32 v45, v2, v46
	v_mul_f32_e32 v29, v1, v29
	v_mul_f32_e32 v25, v1, v25
	v_fmac_f32_e32 v49, v4, v52
	v_mul_f32_e32 v21, v1, v21
	v_fmac_f32_e32 v45, v3, v47
	v_fmac_f32_e32 v37, v2, v38
	;; [unrolled: 1-line block ×17, first 2 shown]
	s_clause 0x6
	buffer_load_dword v8, off, s[48:51], 0 offset:104
	buffer_load_dword v7, off, s[48:51], 0 offset:108
	;; [unrolled: 1-line block ×7, first 2 shown]
	s_waitcnt vmcnt(8)
	v_add_f32_e32 v6, v6, v0
	buffer_load_dword v0, off, s[48:51], 0 offset:4 ; 4-byte Folded Reload
	buffer_store_dword v6, off, s[48:51], 0 ; 4-byte Folded Spill
	s_waitcnt vmcnt(7)
	v_add_f32_e32 v8, v8, v37
	s_waitcnt vmcnt(6)
	v_add_f32_e32 v7, v7, v33
	;; [unrolled: 2-line block ×7, first 2 shown]
	s_clause 0x1
	buffer_load_dword v13, off, s[48:51], 0 offset:132
	buffer_load_dword v17, off, s[48:51], 0 offset:136
	s_waitcnt vmcnt(2)
	v_add_f32_e32 v0, v0, v109
	buffer_store_dword v0, off, s[48:51], 0 offset:4 ; 4-byte Folded Spill
	buffer_load_dword v0, off, s[48:51], 0 offset:8 ; 4-byte Folded Reload
	s_waitcnt vmcnt(2)
	v_add_f32_e32 v13, v13, v5
	s_waitcnt vmcnt(1)
	v_add_f32_e32 v17, v17, v9
	;; [unrolled: 2-line block ×3, first 2 shown]
	buffer_store_dword v0, off, s[48:51], 0 offset:8 ; 4-byte Folded Spill
	buffer_load_dword v0, off, s[48:51], 0 offset:24 ; 4-byte Folded Reload
	s_waitcnt vmcnt(0)
	v_add_f32_e32 v0, v0, v101
	buffer_store_dword v0, off, s[48:51], 0 offset:24 ; 4-byte Folded Spill
	buffer_load_dword v0, off, s[48:51], 0 offset:40 ; 4-byte Folded Reload
	s_waitcnt vmcnt(0)
	v_add_f32_e32 v0, v0, v97
	;; [unrolled: 4-line block ×15, first 2 shown]
	buffer_store_dword v0, off, s[48:51], 0 offset:92 ; 4-byte Folded Spill
	v_mul_f32_e32 v0, v1, v81
	v_fmac_f32_e32 v0, v2, v82
	v_fmac_f32_e32 v0, v3, v83
	;; [unrolled: 1-line block ×3, first 2 shown]
	v_add_f32_e32 v44, v44, v0
.LBB49_37:                              ;   in Loop: Header=BB49_38 Depth=1
	s_or_b32 exec_lo, exec_lo, s13
	v_add_nc_u32_e32 v117, 4, v117
	v_add_co_u32 v118, s0, v118, 16
	v_add_co_ci_u32_e64 v119, null, 0, v119, s0
	v_cmp_le_i32_e32 vcc_lo, s16, v117
	v_add_nc_u32_e32 v122, 0x80, v122
	v_add_nc_u32_e32 v121, 0x200, v121
	s_or_b32 s6, vcc_lo, s6
	s_andn2_b32 exec_lo, exec_lo, s6
	s_cbranch_execz .LBB49_95
.LBB49_38:                              ; =>This Inner Loop Header: Depth=1
	v_sub_nc_u32_e32 v0, 0, v122
	v_max_i32_e32 v0, v122, v0
	v_mul_hi_u32 v1, v0, s12
	v_mul_lo_u32 v2, v1, s11
	v_sub_nc_u32_e32 v0, v0, v2
	v_add_nc_u32_e32 v2, 1, v1
	v_subrev_nc_u32_e32 v3, s11, v0
	v_cmp_le_u32_e32 vcc_lo, s11, v0
	v_cndmask_b32_e32 v1, v1, v2, vcc_lo
	v_cndmask_b32_e32 v0, v0, v3, vcc_lo
	v_ashrrev_i32_e32 v2, 31, v122
	v_add_nc_u32_e32 v3, 1, v1
	v_cmp_le_u32_e32 vcc_lo, s11, v0
	v_xor_b32_e32 v2, s19, v2
	v_cndmask_b32_e32 v0, v1, v3, vcc_lo
	buffer_load_dword v3, off, s[48:51], 0 offset:96 ; 4-byte Folded Reload
	v_xor_b32_e32 v0, v0, v2
	v_sub_nc_u32_e32 v0, v0, v2
	v_add_nc_u32_e32 v1, s33, v0
	v_cmp_lt_i32_e64 s0, s3, v0
	v_sub_nc_u32_e32 v2, 0, v1
	v_max_i32_e32 v2, v1, v2
	v_ashrrev_i32_e32 v1, 31, v1
	s_waitcnt vmcnt(0)
	v_mul_hi_u32 v3, v2, v3
	v_mul_lo_u32 v3, v3, s4
	v_sub_nc_u32_e32 v2, v2, v3
	v_subrev_nc_u32_e32 v3, s4, v2
	v_cmp_le_u32_e32 vcc_lo, s4, v2
	v_cndmask_b32_e32 v2, v2, v3, vcc_lo
	v_subrev_nc_u32_e32 v3, s4, v2
	v_cmp_le_u32_e32 vcc_lo, s4, v2
	v_cndmask_b32_e32 v2, v2, v3, vcc_lo
	v_xor_b32_e32 v2, v2, v1
	v_sub_nc_u32_e32 v1, v2, v1
	v_cmp_eq_u32_e32 vcc_lo, 0, v1
	s_or_b32 s0, vcc_lo, s0
	s_and_saveexec_b32 s13, s0
	s_cbranch_execz .LBB49_37
; %bb.39:                               ;   in Loop: Header=BB49_38 Depth=1
	buffer_store_dword v17, off, s[48:51], 0 offset:136 ; 4-byte Folded Spill
	buffer_store_dword v13, off, s[48:51], 0 offset:132 ; 4-byte Folded Spill
	buffer_store_dword v16, off, s[48:51], 0 offset:128 ; 4-byte Folded Spill
	buffer_store_dword v15, off, s[48:51], 0 offset:124 ; 4-byte Folded Spill
	buffer_store_dword v14, off, s[48:51], 0 offset:120 ; 4-byte Folded Spill
	buffer_store_dword v12, off, s[48:51], 0 offset:116 ; 4-byte Folded Spill
	buffer_store_dword v11, off, s[48:51], 0 offset:112 ; 4-byte Folded Spill
	buffer_store_dword v7, off, s[48:51], 0 offset:108 ; 4-byte Folded Spill
	buffer_store_dword v8, off, s[48:51], 0 offset:104 ; 4-byte Folded Spill
	buffer_store_dword v44, off, s[48:51], 0 offset:100 ; 4-byte Folded Spill
	global_load_dword v0, v[118:119], off
	buffer_load_dword v2, off, s[48:51], 0 offset:148 ; 4-byte Folded Reload
	s_waitcnt vmcnt(1)
	v_mad_i64_i32 v[0:1], null, v0, s9, 0
	v_lshlrev_b64 v[0:1], 2, v[0:1]
	s_waitcnt vmcnt(0)
	v_add_co_u32 v81, vcc_lo, v2, v0
	buffer_load_dword v0, off, s[48:51], 0 offset:152 ; 4-byte Folded Reload
	s_waitcnt vmcnt(0)
	v_add_co_ci_u32_e64 v82, null, v0, v1, vcc_lo
	buffer_load_dword v0, off, s[48:51], 0 offset:144 ; 4-byte Folded Reload
	ds_read_b128 v[1:4], v121
	v_cmp_eq_u32_e32 vcc_lo, s5, v117
	global_load_dwordx4 v[5:8], v[81:82], off
	s_waitcnt vmcnt(1)
	v_add_nc_u32_e32 v0, v0, v122
	v_add_nc_u32_e32 v120, 1, v0
	;; [unrolled: 1-line block ×4, first 2 shown]
	s_and_saveexec_b32 s14, vcc_lo
	s_cbranch_execnz .LBB49_73
; %bb.40:                               ;   in Loop: Header=BB49_38 Depth=1
	s_or_b32 exec_lo, exec_lo, s14
	global_load_dwordx4 v[9:12], v[81:82], off offset:512
	s_and_saveexec_b32 s14, vcc_lo
	s_cbranch_execnz .LBB49_74
.LBB49_41:                              ;   in Loop: Header=BB49_38 Depth=1
	s_or_b32 exec_lo, exec_lo, s14
	global_load_dwordx4 v[13:16], v[81:82], off offset:1024
	s_and_saveexec_b32 s14, vcc_lo
	s_cbranch_execnz .LBB49_75
.LBB49_42:                              ;   in Loop: Header=BB49_38 Depth=1
	s_or_b32 exec_lo, exec_lo, s14
	global_load_dwordx4 v[17:20], v[81:82], off offset:1536
	s_and_saveexec_b32 s14, vcc_lo
	s_cbranch_execz .LBB49_44
.LBB49_43:                              ;   in Loop: Header=BB49_38 Depth=1
	v_cmp_gt_i32_e64 s0, s27, v0
	s_waitcnt vmcnt(0)
	v_cndmask_b32_e64 v17, 0, v17, s0
	v_cmp_gt_i32_e64 s0, s27, v120
	v_cndmask_b32_e64 v18, 0, v18, s0
	v_cmp_gt_i32_e64 s0, s27, v126
	;; [unrolled: 2-line block ×3, first 2 shown]
	v_cndmask_b32_e64 v20, 0, v20, s0
.LBB49_44:                              ;   in Loop: Header=BB49_38 Depth=1
	s_or_b32 exec_lo, exec_lo, s14
	v_add_co_u32 v33, s0, 0x800, v81
	v_add_co_ci_u32_e64 v34, null, 0, v82, s0
	global_load_dwordx4 v[21:24], v[33:34], off
	s_and_saveexec_b32 s14, vcc_lo
	s_cbranch_execnz .LBB49_76
; %bb.45:                               ;   in Loop: Header=BB49_38 Depth=1
	s_or_b32 exec_lo, exec_lo, s14
	global_load_dwordx4 v[25:28], v[33:34], off offset:512
	s_and_saveexec_b32 s14, vcc_lo
	s_cbranch_execnz .LBB49_77
.LBB49_46:                              ;   in Loop: Header=BB49_38 Depth=1
	s_or_b32 exec_lo, exec_lo, s14
	global_load_dwordx4 v[29:32], v[33:34], off offset:1024
	s_and_saveexec_b32 s14, vcc_lo
	s_cbranch_execnz .LBB49_78
.LBB49_47:                              ;   in Loop: Header=BB49_38 Depth=1
	s_or_b32 exec_lo, exec_lo, s14
	global_load_dwordx4 v[33:36], v[33:34], off offset:1536
	s_and_saveexec_b32 s14, vcc_lo
	s_cbranch_execz .LBB49_49
.LBB49_48:                              ;   in Loop: Header=BB49_38 Depth=1
	v_cmp_gt_i32_e64 s0, s27, v0
	s_waitcnt vmcnt(0)
	v_cndmask_b32_e64 v33, 0, v33, s0
	v_cmp_gt_i32_e64 s0, s27, v120
	v_cndmask_b32_e64 v34, 0, v34, s0
	v_cmp_gt_i32_e64 s0, s27, v126
	;; [unrolled: 2-line block ×3, first 2 shown]
	v_cndmask_b32_e64 v36, 0, v36, s0
.LBB49_49:                              ;   in Loop: Header=BB49_38 Depth=1
	s_or_b32 exec_lo, exec_lo, s14
	v_add_co_u32 v49, s0, 0x1000, v81
	v_add_co_ci_u32_e64 v50, null, 0, v82, s0
	global_load_dwordx4 v[37:40], v[49:50], off
	s_and_saveexec_b32 s14, vcc_lo
	s_cbranch_execnz .LBB49_79
; %bb.50:                               ;   in Loop: Header=BB49_38 Depth=1
	s_or_b32 exec_lo, exec_lo, s14
	global_load_dwordx4 v[41:44], v[49:50], off offset:512
	s_and_saveexec_b32 s14, vcc_lo
	s_cbranch_execnz .LBB49_80
.LBB49_51:                              ;   in Loop: Header=BB49_38 Depth=1
	s_or_b32 exec_lo, exec_lo, s14
	global_load_dwordx4 v[45:48], v[49:50], off offset:1024
	s_and_saveexec_b32 s14, vcc_lo
	s_cbranch_execnz .LBB49_81
.LBB49_52:                              ;   in Loop: Header=BB49_38 Depth=1
	s_or_b32 exec_lo, exec_lo, s14
	global_load_dwordx4 v[49:52], v[49:50], off offset:1536
	s_and_saveexec_b32 s14, vcc_lo
	s_cbranch_execz .LBB49_54
.LBB49_53:                              ;   in Loop: Header=BB49_38 Depth=1
	v_cmp_gt_i32_e64 s0, s27, v0
	s_waitcnt vmcnt(0)
	v_cndmask_b32_e64 v49, 0, v49, s0
	v_cmp_gt_i32_e64 s0, s27, v120
	v_cndmask_b32_e64 v50, 0, v50, s0
	v_cmp_gt_i32_e64 s0, s27, v126
	;; [unrolled: 2-line block ×3, first 2 shown]
	v_cndmask_b32_e64 v52, 0, v52, s0
.LBB49_54:                              ;   in Loop: Header=BB49_38 Depth=1
	s_or_b32 exec_lo, exec_lo, s14
	v_add_co_u32 v65, s0, 0x1800, v81
	v_add_co_ci_u32_e64 v66, null, 0, v82, s0
	global_load_dwordx4 v[53:56], v[65:66], off
	s_and_saveexec_b32 s14, vcc_lo
	s_cbranch_execnz .LBB49_82
; %bb.55:                               ;   in Loop: Header=BB49_38 Depth=1
	s_or_b32 exec_lo, exec_lo, s14
	global_load_dwordx4 v[57:60], v[65:66], off offset:512
	s_and_saveexec_b32 s14, vcc_lo
	s_cbranch_execnz .LBB49_83
.LBB49_56:                              ;   in Loop: Header=BB49_38 Depth=1
	s_or_b32 exec_lo, exec_lo, s14
	global_load_dwordx4 v[61:64], v[65:66], off offset:1024
	s_and_saveexec_b32 s14, vcc_lo
	s_cbranch_execnz .LBB49_84
.LBB49_57:                              ;   in Loop: Header=BB49_38 Depth=1
	s_or_b32 exec_lo, exec_lo, s14
	global_load_dwordx4 v[65:68], v[65:66], off offset:1536
	s_and_saveexec_b32 s14, vcc_lo
	s_cbranch_execz .LBB49_59
.LBB49_58:                              ;   in Loop: Header=BB49_38 Depth=1
	v_cmp_gt_i32_e64 s0, s27, v0
	s_waitcnt vmcnt(0)
	v_cndmask_b32_e64 v65, 0, v65, s0
	v_cmp_gt_i32_e64 s0, s27, v120
	v_cndmask_b32_e64 v66, 0, v66, s0
	v_cmp_gt_i32_e64 s0, s27, v126
	;; [unrolled: 2-line block ×3, first 2 shown]
	v_cndmask_b32_e64 v68, 0, v68, s0
.LBB49_59:                              ;   in Loop: Header=BB49_38 Depth=1
	s_or_b32 exec_lo, exec_lo, s14
	v_add_co_u32 v83, s0, 0x2000, v81
	v_add_co_ci_u32_e64 v84, null, 0, v82, s0
	global_load_dwordx4 v[69:72], v[83:84], off
	s_and_saveexec_b32 s14, vcc_lo
	s_cbranch_execnz .LBB49_85
; %bb.60:                               ;   in Loop: Header=BB49_38 Depth=1
	s_or_b32 exec_lo, exec_lo, s14
	global_load_dwordx4 v[73:76], v[83:84], off offset:512
	s_and_saveexec_b32 s14, vcc_lo
	s_cbranch_execnz .LBB49_86
.LBB49_61:                              ;   in Loop: Header=BB49_38 Depth=1
	s_or_b32 exec_lo, exec_lo, s14
	global_load_dwordx4 v[77:80], v[83:84], off offset:1024
	s_and_saveexec_b32 s14, vcc_lo
	s_cbranch_execnz .LBB49_87
.LBB49_62:                              ;   in Loop: Header=BB49_38 Depth=1
	s_or_b32 exec_lo, exec_lo, s14
	global_load_dwordx4 v[85:88], v[83:84], off offset:1536
	s_and_saveexec_b32 s14, vcc_lo
	s_cbranch_execz .LBB49_64
.LBB49_63:                              ;   in Loop: Header=BB49_38 Depth=1
	v_cmp_gt_i32_e64 s0, s27, v0
	s_waitcnt vmcnt(0)
	v_cndmask_b32_e64 v85, 0, v85, s0
	v_cmp_gt_i32_e64 s0, s27, v120
	v_cndmask_b32_e64 v86, 0, v86, s0
	v_cmp_gt_i32_e64 s0, s27, v126
	;; [unrolled: 2-line block ×3, first 2 shown]
	v_cndmask_b32_e64 v88, 0, v88, s0
.LBB49_64:                              ;   in Loop: Header=BB49_38 Depth=1
	s_or_b32 exec_lo, exec_lo, s14
	v_add_co_u32 v83, s0, 0x2800, v81
	v_add_co_ci_u32_e64 v84, null, 0, v82, s0
	global_load_dwordx4 v[89:92], v[83:84], off
	s_and_saveexec_b32 s14, vcc_lo
	s_cbranch_execnz .LBB49_88
; %bb.65:                               ;   in Loop: Header=BB49_38 Depth=1
	s_or_b32 exec_lo, exec_lo, s14
	global_load_dwordx4 v[93:96], v[83:84], off offset:512
	s_and_saveexec_b32 s14, vcc_lo
	s_cbranch_execnz .LBB49_89
.LBB49_66:                              ;   in Loop: Header=BB49_38 Depth=1
	s_or_b32 exec_lo, exec_lo, s14
	global_load_dwordx4 v[97:100], v[83:84], off offset:1024
	s_and_saveexec_b32 s14, vcc_lo
	s_cbranch_execnz .LBB49_90
.LBB49_67:                              ;   in Loop: Header=BB49_38 Depth=1
	s_or_b32 exec_lo, exec_lo, s14
	global_load_dwordx4 v[101:104], v[83:84], off offset:1536
	s_and_saveexec_b32 s14, vcc_lo
	s_cbranch_execz .LBB49_69
.LBB49_68:                              ;   in Loop: Header=BB49_38 Depth=1
	v_cmp_gt_i32_e64 s0, s27, v0
	s_waitcnt vmcnt(0)
	v_cndmask_b32_e64 v101, 0, v101, s0
	v_cmp_gt_i32_e64 s0, s27, v120
	v_cndmask_b32_e64 v102, 0, v102, s0
	v_cmp_gt_i32_e64 s0, s27, v126
	;; [unrolled: 2-line block ×3, first 2 shown]
	v_cndmask_b32_e64 v104, 0, v104, s0
.LBB49_69:                              ;   in Loop: Header=BB49_38 Depth=1
	s_or_b32 exec_lo, exec_lo, s14
	v_add_co_u32 v81, s0, 0x3000, v81
	v_add_co_ci_u32_e64 v82, null, 0, v82, s0
	global_load_dwordx4 v[105:108], v[81:82], off
	s_and_saveexec_b32 s14, vcc_lo
	s_cbranch_execnz .LBB49_91
; %bb.70:                               ;   in Loop: Header=BB49_38 Depth=1
	s_or_b32 exec_lo, exec_lo, s14
	global_load_dwordx4 v[109:112], v[81:82], off offset:512
	s_and_saveexec_b32 s14, vcc_lo
	s_cbranch_execnz .LBB49_92
.LBB49_71:                              ;   in Loop: Header=BB49_38 Depth=1
	s_or_b32 exec_lo, exec_lo, s14
	global_load_dwordx4 v[113:116], v[81:82], off offset:1024
	s_and_saveexec_b32 s14, vcc_lo
	s_cbranch_execnz .LBB49_93
.LBB49_72:                              ;   in Loop: Header=BB49_38 Depth=1
	s_or_b32 exec_lo, exec_lo, s14
	global_load_dwordx4 v[81:84], v[81:82], off offset:1536
	s_and_saveexec_b32 s0, vcc_lo
	s_cbranch_execz .LBB49_36
	s_branch .LBB49_94
.LBB49_73:                              ;   in Loop: Header=BB49_38 Depth=1
	v_cmp_gt_i32_e64 s0, s27, v0
	s_waitcnt vmcnt(0)
	v_cndmask_b32_e64 v5, 0, v5, s0
	v_cmp_gt_i32_e64 s0, s27, v120
	v_cndmask_b32_e64 v6, 0, v6, s0
	v_cmp_gt_i32_e64 s0, s27, v126
	;; [unrolled: 2-line block ×3, first 2 shown]
	v_cndmask_b32_e64 v8, 0, v8, s0
	s_or_b32 exec_lo, exec_lo, s14
	global_load_dwordx4 v[9:12], v[81:82], off offset:512
	s_and_saveexec_b32 s14, vcc_lo
	s_cbranch_execz .LBB49_41
.LBB49_74:                              ;   in Loop: Header=BB49_38 Depth=1
	v_cmp_gt_i32_e64 s0, s27, v0
	s_waitcnt vmcnt(0)
	v_cndmask_b32_e64 v9, 0, v9, s0
	v_cmp_gt_i32_e64 s0, s27, v120
	v_cndmask_b32_e64 v10, 0, v10, s0
	v_cmp_gt_i32_e64 s0, s27, v126
	;; [unrolled: 2-line block ×3, first 2 shown]
	v_cndmask_b32_e64 v12, 0, v12, s0
	s_or_b32 exec_lo, exec_lo, s14
	global_load_dwordx4 v[13:16], v[81:82], off offset:1024
	s_and_saveexec_b32 s14, vcc_lo
	s_cbranch_execz .LBB49_42
.LBB49_75:                              ;   in Loop: Header=BB49_38 Depth=1
	v_cmp_gt_i32_e64 s0, s27, v0
	s_waitcnt vmcnt(0)
	v_cndmask_b32_e64 v13, 0, v13, s0
	v_cmp_gt_i32_e64 s0, s27, v120
	v_cndmask_b32_e64 v14, 0, v14, s0
	v_cmp_gt_i32_e64 s0, s27, v126
	;; [unrolled: 2-line block ×3, first 2 shown]
	v_cndmask_b32_e64 v16, 0, v16, s0
	s_or_b32 exec_lo, exec_lo, s14
	global_load_dwordx4 v[17:20], v[81:82], off offset:1536
	s_and_saveexec_b32 s14, vcc_lo
	s_cbranch_execnz .LBB49_43
	s_branch .LBB49_44
.LBB49_76:                              ;   in Loop: Header=BB49_38 Depth=1
	v_cmp_gt_i32_e64 s0, s27, v0
	s_waitcnt vmcnt(0)
	v_cndmask_b32_e64 v21, 0, v21, s0
	v_cmp_gt_i32_e64 s0, s27, v120
	v_cndmask_b32_e64 v22, 0, v22, s0
	v_cmp_gt_i32_e64 s0, s27, v126
	;; [unrolled: 2-line block ×3, first 2 shown]
	v_cndmask_b32_e64 v24, 0, v24, s0
	s_or_b32 exec_lo, exec_lo, s14
	global_load_dwordx4 v[25:28], v[33:34], off offset:512
	s_and_saveexec_b32 s14, vcc_lo
	s_cbranch_execz .LBB49_46
.LBB49_77:                              ;   in Loop: Header=BB49_38 Depth=1
	v_cmp_gt_i32_e64 s0, s27, v0
	s_waitcnt vmcnt(0)
	v_cndmask_b32_e64 v25, 0, v25, s0
	v_cmp_gt_i32_e64 s0, s27, v120
	v_cndmask_b32_e64 v26, 0, v26, s0
	v_cmp_gt_i32_e64 s0, s27, v126
	;; [unrolled: 2-line block ×3, first 2 shown]
	v_cndmask_b32_e64 v28, 0, v28, s0
	s_or_b32 exec_lo, exec_lo, s14
	global_load_dwordx4 v[29:32], v[33:34], off offset:1024
	s_and_saveexec_b32 s14, vcc_lo
	s_cbranch_execz .LBB49_47
.LBB49_78:                              ;   in Loop: Header=BB49_38 Depth=1
	v_cmp_gt_i32_e64 s0, s27, v0
	s_waitcnt vmcnt(0)
	v_cndmask_b32_e64 v29, 0, v29, s0
	v_cmp_gt_i32_e64 s0, s27, v120
	v_cndmask_b32_e64 v30, 0, v30, s0
	v_cmp_gt_i32_e64 s0, s27, v126
	;; [unrolled: 2-line block ×3, first 2 shown]
	v_cndmask_b32_e64 v32, 0, v32, s0
	s_or_b32 exec_lo, exec_lo, s14
	global_load_dwordx4 v[33:36], v[33:34], off offset:1536
	s_and_saveexec_b32 s14, vcc_lo
	s_cbranch_execnz .LBB49_48
	s_branch .LBB49_49
.LBB49_79:                              ;   in Loop: Header=BB49_38 Depth=1
	v_cmp_gt_i32_e64 s0, s27, v0
	s_waitcnt vmcnt(0)
	v_cndmask_b32_e64 v37, 0, v37, s0
	v_cmp_gt_i32_e64 s0, s27, v120
	v_cndmask_b32_e64 v38, 0, v38, s0
	v_cmp_gt_i32_e64 s0, s27, v126
	;; [unrolled: 2-line block ×3, first 2 shown]
	v_cndmask_b32_e64 v40, 0, v40, s0
	s_or_b32 exec_lo, exec_lo, s14
	global_load_dwordx4 v[41:44], v[49:50], off offset:512
	s_and_saveexec_b32 s14, vcc_lo
	s_cbranch_execz .LBB49_51
.LBB49_80:                              ;   in Loop: Header=BB49_38 Depth=1
	v_cmp_gt_i32_e64 s0, s27, v0
	s_waitcnt vmcnt(0)
	v_cndmask_b32_e64 v41, 0, v41, s0
	v_cmp_gt_i32_e64 s0, s27, v120
	v_cndmask_b32_e64 v42, 0, v42, s0
	v_cmp_gt_i32_e64 s0, s27, v126
	;; [unrolled: 2-line block ×3, first 2 shown]
	v_cndmask_b32_e64 v44, 0, v44, s0
	s_or_b32 exec_lo, exec_lo, s14
	global_load_dwordx4 v[45:48], v[49:50], off offset:1024
	s_and_saveexec_b32 s14, vcc_lo
	s_cbranch_execz .LBB49_52
.LBB49_81:                              ;   in Loop: Header=BB49_38 Depth=1
	v_cmp_gt_i32_e64 s0, s27, v0
	s_waitcnt vmcnt(0)
	v_cndmask_b32_e64 v45, 0, v45, s0
	v_cmp_gt_i32_e64 s0, s27, v120
	v_cndmask_b32_e64 v46, 0, v46, s0
	v_cmp_gt_i32_e64 s0, s27, v126
	;; [unrolled: 2-line block ×3, first 2 shown]
	v_cndmask_b32_e64 v48, 0, v48, s0
	s_or_b32 exec_lo, exec_lo, s14
	global_load_dwordx4 v[49:52], v[49:50], off offset:1536
	s_and_saveexec_b32 s14, vcc_lo
	s_cbranch_execnz .LBB49_53
	s_branch .LBB49_54
.LBB49_82:                              ;   in Loop: Header=BB49_38 Depth=1
	v_cmp_gt_i32_e64 s0, s27, v0
	s_waitcnt vmcnt(0)
	v_cndmask_b32_e64 v53, 0, v53, s0
	v_cmp_gt_i32_e64 s0, s27, v120
	v_cndmask_b32_e64 v54, 0, v54, s0
	v_cmp_gt_i32_e64 s0, s27, v126
	;; [unrolled: 2-line block ×3, first 2 shown]
	v_cndmask_b32_e64 v56, 0, v56, s0
	s_or_b32 exec_lo, exec_lo, s14
	global_load_dwordx4 v[57:60], v[65:66], off offset:512
	s_and_saveexec_b32 s14, vcc_lo
	s_cbranch_execz .LBB49_56
.LBB49_83:                              ;   in Loop: Header=BB49_38 Depth=1
	v_cmp_gt_i32_e64 s0, s27, v0
	s_waitcnt vmcnt(0)
	v_cndmask_b32_e64 v57, 0, v57, s0
	v_cmp_gt_i32_e64 s0, s27, v120
	v_cndmask_b32_e64 v58, 0, v58, s0
	v_cmp_gt_i32_e64 s0, s27, v126
	;; [unrolled: 2-line block ×3, first 2 shown]
	v_cndmask_b32_e64 v60, 0, v60, s0
	s_or_b32 exec_lo, exec_lo, s14
	global_load_dwordx4 v[61:64], v[65:66], off offset:1024
	s_and_saveexec_b32 s14, vcc_lo
	s_cbranch_execz .LBB49_57
.LBB49_84:                              ;   in Loop: Header=BB49_38 Depth=1
	v_cmp_gt_i32_e64 s0, s27, v0
	s_waitcnt vmcnt(0)
	v_cndmask_b32_e64 v61, 0, v61, s0
	v_cmp_gt_i32_e64 s0, s27, v120
	v_cndmask_b32_e64 v62, 0, v62, s0
	v_cmp_gt_i32_e64 s0, s27, v126
	;; [unrolled: 2-line block ×3, first 2 shown]
	v_cndmask_b32_e64 v64, 0, v64, s0
	s_or_b32 exec_lo, exec_lo, s14
	global_load_dwordx4 v[65:68], v[65:66], off offset:1536
	s_and_saveexec_b32 s14, vcc_lo
	s_cbranch_execnz .LBB49_58
	s_branch .LBB49_59
.LBB49_85:                              ;   in Loop: Header=BB49_38 Depth=1
	v_cmp_gt_i32_e64 s0, s27, v0
	s_waitcnt vmcnt(0)
	v_cndmask_b32_e64 v69, 0, v69, s0
	v_cmp_gt_i32_e64 s0, s27, v120
	v_cndmask_b32_e64 v70, 0, v70, s0
	v_cmp_gt_i32_e64 s0, s27, v126
	;; [unrolled: 2-line block ×3, first 2 shown]
	v_cndmask_b32_e64 v72, 0, v72, s0
	s_or_b32 exec_lo, exec_lo, s14
	global_load_dwordx4 v[73:76], v[83:84], off offset:512
	s_and_saveexec_b32 s14, vcc_lo
	s_cbranch_execz .LBB49_61
.LBB49_86:                              ;   in Loop: Header=BB49_38 Depth=1
	v_cmp_gt_i32_e64 s0, s27, v0
	s_waitcnt vmcnt(0)
	v_cndmask_b32_e64 v73, 0, v73, s0
	v_cmp_gt_i32_e64 s0, s27, v120
	v_cndmask_b32_e64 v74, 0, v74, s0
	v_cmp_gt_i32_e64 s0, s27, v126
	;; [unrolled: 2-line block ×3, first 2 shown]
	v_cndmask_b32_e64 v76, 0, v76, s0
	s_or_b32 exec_lo, exec_lo, s14
	global_load_dwordx4 v[77:80], v[83:84], off offset:1024
	s_and_saveexec_b32 s14, vcc_lo
	s_cbranch_execz .LBB49_62
.LBB49_87:                              ;   in Loop: Header=BB49_38 Depth=1
	v_cmp_gt_i32_e64 s0, s27, v0
	s_waitcnt vmcnt(0)
	v_cndmask_b32_e64 v77, 0, v77, s0
	v_cmp_gt_i32_e64 s0, s27, v120
	v_cndmask_b32_e64 v78, 0, v78, s0
	v_cmp_gt_i32_e64 s0, s27, v126
	;; [unrolled: 2-line block ×3, first 2 shown]
	v_cndmask_b32_e64 v80, 0, v80, s0
	s_or_b32 exec_lo, exec_lo, s14
	global_load_dwordx4 v[85:88], v[83:84], off offset:1536
	s_and_saveexec_b32 s14, vcc_lo
	s_cbranch_execnz .LBB49_63
	s_branch .LBB49_64
.LBB49_88:                              ;   in Loop: Header=BB49_38 Depth=1
	v_cmp_gt_i32_e64 s0, s27, v0
	s_waitcnt vmcnt(0)
	v_cndmask_b32_e64 v89, 0, v89, s0
	v_cmp_gt_i32_e64 s0, s27, v120
	v_cndmask_b32_e64 v90, 0, v90, s0
	v_cmp_gt_i32_e64 s0, s27, v126
	;; [unrolled: 2-line block ×3, first 2 shown]
	v_cndmask_b32_e64 v92, 0, v92, s0
	s_or_b32 exec_lo, exec_lo, s14
	global_load_dwordx4 v[93:96], v[83:84], off offset:512
	s_and_saveexec_b32 s14, vcc_lo
	s_cbranch_execz .LBB49_66
.LBB49_89:                              ;   in Loop: Header=BB49_38 Depth=1
	v_cmp_gt_i32_e64 s0, s27, v0
	s_waitcnt vmcnt(0)
	v_cndmask_b32_e64 v93, 0, v93, s0
	v_cmp_gt_i32_e64 s0, s27, v120
	v_cndmask_b32_e64 v94, 0, v94, s0
	v_cmp_gt_i32_e64 s0, s27, v126
	;; [unrolled: 2-line block ×3, first 2 shown]
	v_cndmask_b32_e64 v96, 0, v96, s0
	s_or_b32 exec_lo, exec_lo, s14
	global_load_dwordx4 v[97:100], v[83:84], off offset:1024
	s_and_saveexec_b32 s14, vcc_lo
	s_cbranch_execz .LBB49_67
.LBB49_90:                              ;   in Loop: Header=BB49_38 Depth=1
	v_cmp_gt_i32_e64 s0, s27, v0
	s_waitcnt vmcnt(0)
	v_cndmask_b32_e64 v97, 0, v97, s0
	v_cmp_gt_i32_e64 s0, s27, v120
	v_cndmask_b32_e64 v98, 0, v98, s0
	v_cmp_gt_i32_e64 s0, s27, v126
	;; [unrolled: 2-line block ×3, first 2 shown]
	v_cndmask_b32_e64 v100, 0, v100, s0
	s_or_b32 exec_lo, exec_lo, s14
	global_load_dwordx4 v[101:104], v[83:84], off offset:1536
	s_and_saveexec_b32 s14, vcc_lo
	s_cbranch_execnz .LBB49_68
	s_branch .LBB49_69
.LBB49_91:                              ;   in Loop: Header=BB49_38 Depth=1
	v_cmp_gt_i32_e64 s0, s27, v0
	s_waitcnt vmcnt(0)
	v_cndmask_b32_e64 v105, 0, v105, s0
	v_cmp_gt_i32_e64 s0, s27, v120
	v_cndmask_b32_e64 v106, 0, v106, s0
	v_cmp_gt_i32_e64 s0, s27, v126
	;; [unrolled: 2-line block ×3, first 2 shown]
	v_cndmask_b32_e64 v108, 0, v108, s0
	s_or_b32 exec_lo, exec_lo, s14
	global_load_dwordx4 v[109:112], v[81:82], off offset:512
	s_and_saveexec_b32 s14, vcc_lo
	s_cbranch_execz .LBB49_71
.LBB49_92:                              ;   in Loop: Header=BB49_38 Depth=1
	v_cmp_gt_i32_e64 s0, s27, v0
	s_waitcnt vmcnt(0)
	v_cndmask_b32_e64 v109, 0, v109, s0
	v_cmp_gt_i32_e64 s0, s27, v120
	v_cndmask_b32_e64 v110, 0, v110, s0
	v_cmp_gt_i32_e64 s0, s27, v126
	;; [unrolled: 2-line block ×3, first 2 shown]
	v_cndmask_b32_e64 v112, 0, v112, s0
	s_or_b32 exec_lo, exec_lo, s14
	global_load_dwordx4 v[113:116], v[81:82], off offset:1024
	s_and_saveexec_b32 s14, vcc_lo
	s_cbranch_execz .LBB49_72
.LBB49_93:                              ;   in Loop: Header=BB49_38 Depth=1
	v_cmp_gt_i32_e64 s0, s27, v0
	s_waitcnt vmcnt(0)
	v_cndmask_b32_e64 v113, 0, v113, s0
	v_cmp_gt_i32_e64 s0, s27, v120
	v_cndmask_b32_e64 v114, 0, v114, s0
	v_cmp_gt_i32_e64 s0, s27, v126
	;; [unrolled: 2-line block ×3, first 2 shown]
	v_cndmask_b32_e64 v116, 0, v116, s0
	s_or_b32 exec_lo, exec_lo, s14
	global_load_dwordx4 v[81:84], v[81:82], off offset:1536
	s_and_saveexec_b32 s0, vcc_lo
	s_cbranch_execz .LBB49_36
.LBB49_94:                              ;   in Loop: Header=BB49_38 Depth=1
	v_cmp_gt_i32_e32 vcc_lo, s27, v0
	s_waitcnt vmcnt(0)
	v_cndmask_b32_e32 v81, 0, v81, vcc_lo
	v_cmp_gt_i32_e32 vcc_lo, s27, v120
	v_cndmask_b32_e32 v82, 0, v82, vcc_lo
	v_cmp_gt_i32_e32 vcc_lo, s27, v126
	;; [unrolled: 2-line block ×3, first 2 shown]
	v_cndmask_b32_e32 v84, 0, v84, vcc_lo
	s_branch .LBB49_36
.LBB49_95:
	s_or_b32 exec_lo, exec_lo, s6
	s_clause 0x14
	buffer_load_dword v51, off, s[48:51], 0 offset:156
	buffer_load_dword v115, off, s[48:51], 0 offset:160
	;; [unrolled: 1-line block ×3, first 2 shown]
	buffer_load_dword v45, off, s[48:51], 0
	buffer_load_dword v43, off, s[48:51], 0 offset:4
	buffer_load_dword v40, off, s[48:51], 0 offset:8
	;; [unrolled: 1-line block ×17, first 2 shown]
.LBB49_96:
	s_or_b32 exec_lo, exec_lo, s1
	ds_bpermute_b32 v0, v125, v13
	ds_bpermute_b32 v3, v125, v15
	;; [unrolled: 1-line block ×6, first 2 shown]
	v_mov_b32_e32 v10, v7
	ds_bpermute_b32 v7, v125, v7
	v_mov_b32_e32 v21, v8
	ds_bpermute_b32 v8, v125, v8
	s_waitcnt vmcnt(0)
	ds_bpermute_b32 v9, v125, v20
	ds_bpermute_b32 v18, v125, v28
	ds_bpermute_b32 v19, v125, v27
	ds_bpermute_b32 v22, v125, v29
	ds_bpermute_b32 v1, v125, v17
	ds_bpermute_b32 v34, v125, v45
	ds_bpermute_b32 v35, v125, v44
	s_mov_b32 s0, exec_lo
	s_waitcnt lgkmcnt(14)
	v_add_f32_e32 v0, v13, v0
	s_waitcnt lgkmcnt(13)
	v_add_f32_e32 v3, v15, v3
	;; [unrolled: 2-line block ×6, first 2 shown]
	ds_bpermute_b32 v13, v124, v3
	s_waitcnt lgkmcnt(9)
	v_add_f32_e32 v7, v10, v7
	ds_bpermute_b32 v10, v124, v0
	ds_bpermute_b32 v14, v124, v4
	;; [unrolled: 1-line block ×4, first 2 shown]
	s_waitcnt lgkmcnt(12)
	v_add_f32_e32 v8, v21, v8
	s_waitcnt lgkmcnt(11)
	v_add_f32_e32 v9, v20, v9
	ds_bpermute_b32 v20, v125, v25
	ds_bpermute_b32 v21, v125, v26
	s_waitcnt lgkmcnt(12)
	v_add_f32_e32 v18, v28, v18
	s_waitcnt lgkmcnt(11)
	v_add_f32_e32 v19, v27, v19
	;; [unrolled: 2-line block ×4, first 2 shown]
	ds_bpermute_b32 v17, v124, v7
	ds_bpermute_b32 v23, v124, v8
	;; [unrolled: 1-line block ×5, first 2 shown]
	s_waitcnt lgkmcnt(13)
	v_add_f32_e32 v34, v45, v34
	s_waitcnt lgkmcnt(11)
	v_add_f32_e32 v3, v3, v13
	v_add_f32_e32 v35, v44, v35
	s_waitcnt lgkmcnt(10)
	v_add_f32_e32 v0, v0, v10
	s_waitcnt lgkmcnt(9)
	;; [unrolled: 2-line block ×4, first 2 shown]
	v_add_f32_e32 v6, v6, v16
	ds_bpermute_b32 v13, v123, v3
	ds_bpermute_b32 v10, v123, v0
	;; [unrolled: 1-line block ×5, first 2 shown]
	s_waitcnt lgkmcnt(11)
	v_add_f32_e32 v20, v25, v20
	ds_bpermute_b32 v25, v125, v30
	s_waitcnt lgkmcnt(11)
	v_add_f32_e32 v21, v26, v21
	ds_bpermute_b32 v26, v124, v18
	;; [unrolled: 3-line block ×4, first 2 shown]
	ds_bpermute_b32 v23, v125, v37
	ds_bpermute_b32 v17, v123, v7
	;; [unrolled: 1-line block ×3, first 2 shown]
	s_waitcnt lgkmcnt(12)
	v_add_f32_e32 v1, v1, v11
	v_add_f32_e32 v2, v2, v12
	ds_bpermute_b32 v44, v124, v35
	s_waitcnt lgkmcnt(12)
	v_add_f32_e32 v3, v3, v13
	s_waitcnt lgkmcnt(11)
	v_add_f32_e32 v0, v0, v10
	;; [unrolled: 2-line block ×5, first 2 shown]
	ds_bpermute_b32 v10, v125, v31
	ds_bpermute_b32 v13, v124, v22
	;; [unrolled: 1-line block ×3, first 2 shown]
	s_waitcnt lgkmcnt(9)
	v_add_f32_e32 v15, v18, v26
	v_add_f32_e32 v16, v19, v27
	v_add_f32_e32 v18, v30, v25
	ds_bpermute_b32 v19, v125, v36
	ds_bpermute_b32 v27, v125, v38
	s_waitcnt lgkmcnt(9)
	v_add_f32_e32 v21, v21, v29
	s_waitcnt lgkmcnt(7)
	v_add_f32_e32 v7, v7, v17
	ds_bpermute_b32 v25, v124, v18
	v_add_f32_e32 v17, v20, v28
	ds_bpermute_b32 v20, v123, v15
	ds_bpermute_b32 v28, v125, v42
	;; [unrolled: 1-line block ×4, first 2 shown]
	v_add_f32_e32 v23, v37, v23
	ds_bpermute_b32 v11, v123, v1
	ds_bpermute_b32 v12, v123, v2
	s_waitcnt lgkmcnt(13)
	v_add_f32_e32 v9, v9, v24
	s_waitcnt lgkmcnt(11)
	v_add_f32_e32 v10, v31, v10
	;; [unrolled: 2-line block ×4, first 2 shown]
	ds_bpermute_b32 v14, v125, v43
	ds_bpermute_b32 v31, v125, v40
	;; [unrolled: 1-line block ×3, first 2 shown]
	s_waitcnt lgkmcnt(11)
	v_add_f32_e32 v19, v36, v19
	ds_bpermute_b32 v36, v124, v13
	s_waitcnt lgkmcnt(11)
	v_add_f32_e32 v27, v38, v27
	ds_bpermute_b32 v38, v124, v23
	;; [unrolled: 3-line block ×3, first 2 shown]
	ds_bpermute_b32 v32, v123, v21
	s_waitcnt lgkmcnt(11)
	v_add_f32_e32 v28, v42, v28
	s_waitcnt lgkmcnt(10)
	v_add_f32_e32 v29, v41, v29
	;; [unrolled: 2-line block ×3, first 2 shown]
	ds_bpermute_b32 v39, v124, v27
	v_add_f32_e32 v35, v35, v44
	s_waitcnt lgkmcnt(9)
	v_add_f32_e32 v1, v1, v11
	ds_bpermute_b32 v41, v124, v29
	ds_bpermute_b32 v42, v124, v30
	s_waitcnt lgkmcnt(10)
	v_add_f32_e32 v2, v2, v12
	ds_bpermute_b32 v11, v123, v8
	s_waitcnt lgkmcnt(10)
	v_add_f32_e32 v14, v43, v14
	s_waitcnt lgkmcnt(9)
	v_add_f32_e32 v31, v40, v31
	;; [unrolled: 2-line block ×3, first 2 shown]
	ds_bpermute_b32 v40, v124, v28
	s_waitcnt lgkmcnt(8)
	v_add_f32_e32 v36, v13, v36
	ds_bpermute_b32 v10, v124, v14
	ds_bpermute_b32 v43, v124, v31
	ds_bpermute_b32 v13, v124, v34
	s_waitcnt lgkmcnt(9)
	v_add_f32_e32 v19, v19, v25
	ds_bpermute_b32 v25, v123, v18
	v_add_f32_e32 v23, v23, v38
	ds_bpermute_b32 v12, v123, v9
	ds_bpermute_b32 v24, v123, v16
	s_waitcnt lgkmcnt(10)
	v_add_f32_e32 v27, v27, v39
	ds_bpermute_b32 v26, v123, v17
	ds_bpermute_b32 v37, v123, v22
	s_waitcnt lgkmcnt(11)
	v_add_f32_e32 v29, v29, v41
	s_waitcnt lgkmcnt(10)
	v_add_f32_e32 v30, v30, v42
	ds_bpermute_b32 v38, v123, v33
	ds_bpermute_b32 v45, v123, v36
	;; [unrolled: 1-line block ×5, first 2 shown]
	s_waitcnt lgkmcnt(13)
	v_add_f32_e32 v28, v28, v40
	ds_bpermute_b32 v40, v123, v27
	s_waitcnt lgkmcnt(13)
	v_add_f32_e32 v47, v14, v10
	v_add_f32_e32 v10, v15, v20
	s_waitcnt lgkmcnt(12)
	v_add_f32_e32 v31, v31, v43
	ds_bpermute_b32 v41, v123, v28
	s_waitcnt lgkmcnt(11)
	v_add_f32_e32 v15, v18, v25
	buffer_load_dword v25, off, s[48:51], 0 offset:140 ; 4-byte Folded Reload
	v_add_f32_e32 v34, v34, v13
	ds_bpermute_b32 v43, v123, v30
	ds_bpermute_b32 v48, v123, v31
	;; [unrolled: 1-line block ×5, first 2 shown]
	v_add_f32_e32 v13, v21, v32
	v_add_f32_e32 v8, v8, v11
	s_waitcnt lgkmcnt(15)
	v_add_f32_e32 v9, v9, v12
	s_waitcnt lgkmcnt(14)
	v_add_f32_e32 v11, v16, v24
	s_waitcnt lgkmcnt(13)
	v_add_f32_e32 v12, v17, v26
	s_waitcnt lgkmcnt(12)
	v_add_f32_e32 v14, v22, v37
	s_waitcnt lgkmcnt(11)
	v_add_f32_e32 v16, v33, v38
	s_waitcnt lgkmcnt(10)
	v_add_f32_e32 v17, v36, v45
	s_waitcnt lgkmcnt(9)
	v_add_f32_e32 v18, v19, v46
	s_waitcnt lgkmcnt(8)
	v_add_f32_e32 v19, v23, v39
	s_waitcnt lgkmcnt(6)
	v_add_f32_e32 v20, v27, v40
	s_waitcnt lgkmcnt(5)
	v_add_f32_e32 v21, v28, v41
	v_add_f32_e32 v22, v29, v42
	s_waitcnt vmcnt(0) lgkmcnt(0)
	s_waitcnt_vscnt null, 0x0
	s_barrier
	v_add_f32_e32 v23, v30, v43
	v_add_f32_e32 v24, v31, v48
	v_and_b32_e32 v31, 0x3c7, v51
	v_add_f32_e32 v27, v35, v50
	v_add_f32_e32 v26, v34, v49
	v_mul_u32_u24_e32 v30, 0x1c0, v115
	buffer_gl0_inv
	v_lshrrev_b32_e32 v28, 3, v25
	v_add_f32_e32 v25, v47, v44
	v_lshl_add_u32 v29, v28, 2, 0x1e0
	v_cmpx_eq_u32_e32 64, v31
	s_cbranch_execz .LBB49_98
; %bb.97:
	v_add_nc_u32_e32 v31, v29, v30
	v_add_nc_u32_e32 v32, 0xfffffc80, v31
	;; [unrolled: 1-line block ×8, first 2 shown]
	ds_write_b32 v32, v0
	ds_write_b32 v33, v1
	ds_write_b32 v34, v2
	v_add_nc_u32_e32 v32, 0xfffffcf0, v31
	ds_write_b32 v35, v3
	ds_write_b32 v36, v4
	ds_write_b32 v37, v5
	ds_write_b32 v38, v6
	ds_write_b32 v32, v7
	v_add_nc_u32_e32 v32, 0xfffffd00, v31
	v_add_nc_u32_e32 v33, 0xfffffd10, v31
	v_add_nc_u32_e32 v34, 0xfffffd20, v31
	v_add_nc_u32_e32 v35, 0xfffffd30, v31
	v_add_nc_u32_e32 v36, 0xfffffd40, v31
	ds_write_b32 v32, v8
	ds_write_b32 v33, v9
	ds_write_b32 v34, v10
	ds_write_b32 v35, v11
	ds_write_b32 v36, v12
	v_add_nc_u32_e32 v32, 0xfffffd50, v31
	v_add_nc_u32_e32 v33, 0xfffffd60, v31
	v_add_nc_u32_e32 v34, 0xfffffd70, v31
	v_add_nc_u32_e32 v35, 0xfffffd80, v31
	;; [unrolled: 10-line block ×4, first 2 shown]
	v_add_nc_u32_e32 v31, 0xfffffe30, v31
	ds_write_b32 v32, v23
	ds_write_b32 v33, v24
	;; [unrolled: 1-line block ×5, first 2 shown]
.LBB49_98:
	s_or_b32 exec_lo, exec_lo, s0
	v_lshlrev_b32_e32 v28, 2, v28
	s_mov_b32 s1, exec_lo
	v_cmp_eq_u32_e32 vcc_lo, 0, v52
	s_waitcnt lgkmcnt(0)
	s_barrier
	v_add3_u32 v28, 0x1e0, v30, v28
	buffer_gl0_inv
	v_cmpx_gt_u32_e32 64, v51
	s_cbranch_execz .LBB49_129
; %bb.99:
	s_and_saveexec_b32 s0, vcc_lo
	s_cbranch_execnz .LBB49_165
; %bb.100:
	s_or_b32 exec_lo, exec_lo, s0
	s_and_saveexec_b32 s0, vcc_lo
	s_cbranch_execnz .LBB49_166
.LBB49_101:
	s_or_b32 exec_lo, exec_lo, s0
	s_and_saveexec_b32 s0, vcc_lo
	s_cbranch_execnz .LBB49_167
.LBB49_102:
	s_or_b32 exec_lo, exec_lo, s0
	s_and_saveexec_b32 s0, vcc_lo
	s_cbranch_execnz .LBB49_168
.LBB49_103:
	s_or_b32 exec_lo, exec_lo, s0
	s_and_saveexec_b32 s0, vcc_lo
	s_cbranch_execnz .LBB49_169
.LBB49_104:
	s_or_b32 exec_lo, exec_lo, s0
	s_and_saveexec_b32 s0, vcc_lo
	s_cbranch_execnz .LBB49_170
.LBB49_105:
	s_or_b32 exec_lo, exec_lo, s0
	s_and_saveexec_b32 s0, vcc_lo
	s_cbranch_execnz .LBB49_171
.LBB49_106:
	s_or_b32 exec_lo, exec_lo, s0
	s_and_saveexec_b32 s0, vcc_lo
	s_cbranch_execnz .LBB49_172
.LBB49_107:
	s_or_b32 exec_lo, exec_lo, s0
	s_and_saveexec_b32 s0, vcc_lo
	s_cbranch_execnz .LBB49_173
.LBB49_108:
	s_or_b32 exec_lo, exec_lo, s0
	s_and_saveexec_b32 s0, vcc_lo
	s_cbranch_execnz .LBB49_174
.LBB49_109:
	s_or_b32 exec_lo, exec_lo, s0
	s_and_saveexec_b32 s0, vcc_lo
	s_cbranch_execnz .LBB49_175
.LBB49_110:
	s_or_b32 exec_lo, exec_lo, s0
	s_and_saveexec_b32 s0, vcc_lo
	s_cbranch_execnz .LBB49_176
.LBB49_111:
	s_or_b32 exec_lo, exec_lo, s0
	s_and_saveexec_b32 s0, vcc_lo
	s_cbranch_execnz .LBB49_177
.LBB49_112:
	s_or_b32 exec_lo, exec_lo, s0
	s_and_saveexec_b32 s0, vcc_lo
	s_cbranch_execnz .LBB49_178
.LBB49_113:
	s_or_b32 exec_lo, exec_lo, s0
	s_and_saveexec_b32 s0, vcc_lo
	s_cbranch_execnz .LBB49_179
.LBB49_114:
	s_or_b32 exec_lo, exec_lo, s0
	s_and_saveexec_b32 s0, vcc_lo
	s_cbranch_execnz .LBB49_180
.LBB49_115:
	s_or_b32 exec_lo, exec_lo, s0
	s_and_saveexec_b32 s0, vcc_lo
	s_cbranch_execnz .LBB49_181
.LBB49_116:
	s_or_b32 exec_lo, exec_lo, s0
	s_and_saveexec_b32 s0, vcc_lo
	s_cbranch_execnz .LBB49_182
.LBB49_117:
	s_or_b32 exec_lo, exec_lo, s0
	s_and_saveexec_b32 s0, vcc_lo
	s_cbranch_execnz .LBB49_183
.LBB49_118:
	s_or_b32 exec_lo, exec_lo, s0
	s_and_saveexec_b32 s0, vcc_lo
	s_cbranch_execnz .LBB49_184
.LBB49_119:
	s_or_b32 exec_lo, exec_lo, s0
	s_and_saveexec_b32 s0, vcc_lo
	s_cbranch_execnz .LBB49_185
.LBB49_120:
	s_or_b32 exec_lo, exec_lo, s0
	s_and_saveexec_b32 s0, vcc_lo
	s_cbranch_execnz .LBB49_186
.LBB49_121:
	s_or_b32 exec_lo, exec_lo, s0
	s_and_saveexec_b32 s0, vcc_lo
	s_cbranch_execnz .LBB49_187
.LBB49_122:
	s_or_b32 exec_lo, exec_lo, s0
	s_and_saveexec_b32 s0, vcc_lo
	s_cbranch_execnz .LBB49_188
.LBB49_123:
	s_or_b32 exec_lo, exec_lo, s0
	s_and_saveexec_b32 s0, vcc_lo
	s_cbranch_execnz .LBB49_189
.LBB49_124:
	s_or_b32 exec_lo, exec_lo, s0
	s_and_saveexec_b32 s0, vcc_lo
	s_cbranch_execnz .LBB49_190
.LBB49_125:
	s_or_b32 exec_lo, exec_lo, s0
	s_and_saveexec_b32 s0, vcc_lo
	s_cbranch_execnz .LBB49_191
.LBB49_126:
	s_or_b32 exec_lo, exec_lo, s0
	s_and_saveexec_b32 s0, vcc_lo
	s_cbranch_execz .LBB49_128
.LBB49_127:
	ds_read_b32 v30, v28 offset:432
	s_waitcnt lgkmcnt(0)
	v_add_f32_e32 v27, v27, v30
.LBB49_128:
	s_or_b32 exec_lo, exec_lo, s0
.LBB49_129:
	s_or_b32 exec_lo, exec_lo, s1
	v_and_b32_e32 v30, 0x3e7, v51
	s_mov_b32 s1, exec_lo
	s_barrier
	buffer_gl0_inv
	v_cmpx_eq_u32_e32 32, v30
	s_cbranch_execz .LBB49_131
; %bb.130:
	ds_write2_b32 v29, v0, v1 offset1:4
	ds_write2_b32 v29, v2, v3 offset0:8 offset1:12
	ds_write2_b32 v29, v4, v5 offset0:16 offset1:20
	;; [unrolled: 1-line block ×13, first 2 shown]
.LBB49_131:
	s_or_b32 exec_lo, exec_lo, s1
	s_mov_b32 s1, exec_lo
	s_waitcnt lgkmcnt(0)
	s_barrier
	buffer_gl0_inv
	v_cmpx_gt_u32_e32 32, v51
	s_cbranch_execz .LBB49_162
; %bb.132:
	s_and_saveexec_b32 s0, vcc_lo
	s_cbranch_execnz .LBB49_192
; %bb.133:
	s_or_b32 exec_lo, exec_lo, s0
	s_and_saveexec_b32 s0, vcc_lo
	s_cbranch_execnz .LBB49_193
.LBB49_134:
	s_or_b32 exec_lo, exec_lo, s0
	s_and_saveexec_b32 s0, vcc_lo
	s_cbranch_execnz .LBB49_194
.LBB49_135:
	s_or_b32 exec_lo, exec_lo, s0
	s_and_saveexec_b32 s0, vcc_lo
	s_cbranch_execnz .LBB49_195
.LBB49_136:
	s_or_b32 exec_lo, exec_lo, s0
	s_and_saveexec_b32 s0, vcc_lo
	s_cbranch_execnz .LBB49_196
.LBB49_137:
	s_or_b32 exec_lo, exec_lo, s0
	s_and_saveexec_b32 s0, vcc_lo
	s_cbranch_execnz .LBB49_197
.LBB49_138:
	s_or_b32 exec_lo, exec_lo, s0
	s_and_saveexec_b32 s0, vcc_lo
	s_cbranch_execnz .LBB49_198
.LBB49_139:
	s_or_b32 exec_lo, exec_lo, s0
	s_and_saveexec_b32 s0, vcc_lo
	s_cbranch_execnz .LBB49_199
.LBB49_140:
	s_or_b32 exec_lo, exec_lo, s0
	s_and_saveexec_b32 s0, vcc_lo
	s_cbranch_execnz .LBB49_200
.LBB49_141:
	s_or_b32 exec_lo, exec_lo, s0
	s_and_saveexec_b32 s0, vcc_lo
	s_cbranch_execnz .LBB49_201
.LBB49_142:
	s_or_b32 exec_lo, exec_lo, s0
	s_and_saveexec_b32 s0, vcc_lo
	s_cbranch_execnz .LBB49_202
.LBB49_143:
	s_or_b32 exec_lo, exec_lo, s0
	s_and_saveexec_b32 s0, vcc_lo
	s_cbranch_execnz .LBB49_203
.LBB49_144:
	s_or_b32 exec_lo, exec_lo, s0
	s_and_saveexec_b32 s0, vcc_lo
	s_cbranch_execnz .LBB49_204
.LBB49_145:
	s_or_b32 exec_lo, exec_lo, s0
	s_and_saveexec_b32 s0, vcc_lo
	s_cbranch_execnz .LBB49_205
.LBB49_146:
	s_or_b32 exec_lo, exec_lo, s0
	s_and_saveexec_b32 s0, vcc_lo
	s_cbranch_execnz .LBB49_206
.LBB49_147:
	s_or_b32 exec_lo, exec_lo, s0
	s_and_saveexec_b32 s0, vcc_lo
	s_cbranch_execnz .LBB49_207
.LBB49_148:
	s_or_b32 exec_lo, exec_lo, s0
	s_and_saveexec_b32 s0, vcc_lo
	s_cbranch_execnz .LBB49_208
.LBB49_149:
	s_or_b32 exec_lo, exec_lo, s0
	s_and_saveexec_b32 s0, vcc_lo
	s_cbranch_execnz .LBB49_209
.LBB49_150:
	s_or_b32 exec_lo, exec_lo, s0
	s_and_saveexec_b32 s0, vcc_lo
	s_cbranch_execnz .LBB49_210
.LBB49_151:
	s_or_b32 exec_lo, exec_lo, s0
	s_and_saveexec_b32 s0, vcc_lo
	s_cbranch_execnz .LBB49_211
.LBB49_152:
	s_or_b32 exec_lo, exec_lo, s0
	s_and_saveexec_b32 s0, vcc_lo
	s_cbranch_execnz .LBB49_212
.LBB49_153:
	s_or_b32 exec_lo, exec_lo, s0
	s_and_saveexec_b32 s0, vcc_lo
	s_cbranch_execnz .LBB49_213
.LBB49_154:
	s_or_b32 exec_lo, exec_lo, s0
	s_and_saveexec_b32 s0, vcc_lo
	s_cbranch_execnz .LBB49_214
.LBB49_155:
	s_or_b32 exec_lo, exec_lo, s0
	s_and_saveexec_b32 s0, vcc_lo
	s_cbranch_execnz .LBB49_215
.LBB49_156:
	s_or_b32 exec_lo, exec_lo, s0
	s_and_saveexec_b32 s0, vcc_lo
	s_cbranch_execnz .LBB49_216
.LBB49_157:
	s_or_b32 exec_lo, exec_lo, s0
	s_and_saveexec_b32 s0, vcc_lo
	s_cbranch_execnz .LBB49_217
.LBB49_158:
	s_or_b32 exec_lo, exec_lo, s0
	s_and_saveexec_b32 s0, vcc_lo
	s_cbranch_execnz .LBB49_218
.LBB49_159:
	s_or_b32 exec_lo, exec_lo, s0
	s_and_saveexec_b32 s0, vcc_lo
	s_cbranch_execz .LBB49_161
.LBB49_160:
	ds_read_b32 v28, v28 offset:432
	s_waitcnt lgkmcnt(0)
	v_add_f32_e32 v27, v27, v28
.LBB49_161:
	s_or_b32 exec_lo, exec_lo, s0
.LBB49_162:
	s_or_b32 exec_lo, exec_lo, s1
	s_barrier
	buffer_gl0_inv
	s_mov_b32 s0, exec_lo
	v_cmpx_eq_u32_e32 0, v30
	s_cbranch_execz .LBB49_164
; %bb.163:
	s_mul_i32 s0, s2, 0x70
	s_mul_i32 s2, s7, s10
	s_ashr_i32 s1, s0, 31
	v_lshrrev_b32_e32 v28, 1, v51
	s_lshl_b64 s[0:1], s[0:1], 2
	s_add_u32 s4, s24, s0
	s_addc_u32 s5, s25, s1
	s_ashr_i32 s3, s2, 31
	s_lshl_b64 s[0:1], s[2:3], 2
	s_mul_i32 s2, s8, 0x70
	s_add_u32 s4, s4, s0
	s_addc_u32 s5, s5, s1
	s_ashr_i32 s3, s2, 31
	s_lshl_b64 s[0:1], s[2:3], 2
	s_add_u32 s0, s4, s0
	s_addc_u32 s1, s5, s1
	global_store_dword v28, v0, s[0:1]
	global_store_dword v28, v1, s[0:1] offset:16
	global_store_dword v28, v2, s[0:1] offset:32
	;; [unrolled: 1-line block ×27, first 2 shown]
.LBB49_164:
	s_endpgm
.LBB49_165:
	ds_read_b32 v30, v28
	s_waitcnt lgkmcnt(0)
	v_add_f32_e32 v0, v0, v30
	s_or_b32 exec_lo, exec_lo, s0
	s_and_saveexec_b32 s0, vcc_lo
	s_cbranch_execz .LBB49_101
.LBB49_166:
	ds_read_b32 v30, v28 offset:16
	s_waitcnt lgkmcnt(0)
	v_add_f32_e32 v1, v1, v30
	s_or_b32 exec_lo, exec_lo, s0
	s_and_saveexec_b32 s0, vcc_lo
	s_cbranch_execz .LBB49_102
.LBB49_167:
	ds_read_b32 v30, v28 offset:32
	s_waitcnt lgkmcnt(0)
	v_add_f32_e32 v2, v2, v30
	s_or_b32 exec_lo, exec_lo, s0
	s_and_saveexec_b32 s0, vcc_lo
	s_cbranch_execz .LBB49_103
.LBB49_168:
	ds_read_b32 v30, v28 offset:48
	s_waitcnt lgkmcnt(0)
	v_add_f32_e32 v3, v3, v30
	s_or_b32 exec_lo, exec_lo, s0
	s_and_saveexec_b32 s0, vcc_lo
	s_cbranch_execz .LBB49_104
.LBB49_169:
	ds_read_b32 v30, v28 offset:64
	s_waitcnt lgkmcnt(0)
	v_add_f32_e32 v4, v4, v30
	s_or_b32 exec_lo, exec_lo, s0
	s_and_saveexec_b32 s0, vcc_lo
	s_cbranch_execz .LBB49_105
.LBB49_170:
	ds_read_b32 v30, v28 offset:80
	s_waitcnt lgkmcnt(0)
	v_add_f32_e32 v5, v5, v30
	s_or_b32 exec_lo, exec_lo, s0
	s_and_saveexec_b32 s0, vcc_lo
	s_cbranch_execz .LBB49_106
.LBB49_171:
	ds_read_b32 v30, v28 offset:96
	s_waitcnt lgkmcnt(0)
	v_add_f32_e32 v6, v6, v30
	s_or_b32 exec_lo, exec_lo, s0
	s_and_saveexec_b32 s0, vcc_lo
	s_cbranch_execz .LBB49_107
.LBB49_172:
	ds_read_b32 v30, v28 offset:112
	s_waitcnt lgkmcnt(0)
	v_add_f32_e32 v7, v7, v30
	s_or_b32 exec_lo, exec_lo, s0
	s_and_saveexec_b32 s0, vcc_lo
	s_cbranch_execz .LBB49_108
.LBB49_173:
	ds_read_b32 v30, v28 offset:128
	s_waitcnt lgkmcnt(0)
	v_add_f32_e32 v8, v8, v30
	s_or_b32 exec_lo, exec_lo, s0
	s_and_saveexec_b32 s0, vcc_lo
	s_cbranch_execz .LBB49_109
.LBB49_174:
	ds_read_b32 v30, v28 offset:144
	s_waitcnt lgkmcnt(0)
	v_add_f32_e32 v9, v9, v30
	s_or_b32 exec_lo, exec_lo, s0
	s_and_saveexec_b32 s0, vcc_lo
	s_cbranch_execz .LBB49_110
.LBB49_175:
	ds_read_b32 v30, v28 offset:160
	s_waitcnt lgkmcnt(0)
	v_add_f32_e32 v10, v10, v30
	s_or_b32 exec_lo, exec_lo, s0
	s_and_saveexec_b32 s0, vcc_lo
	s_cbranch_execz .LBB49_111
.LBB49_176:
	ds_read_b32 v30, v28 offset:176
	s_waitcnt lgkmcnt(0)
	v_add_f32_e32 v11, v11, v30
	s_or_b32 exec_lo, exec_lo, s0
	s_and_saveexec_b32 s0, vcc_lo
	s_cbranch_execz .LBB49_112
.LBB49_177:
	ds_read_b32 v30, v28 offset:192
	s_waitcnt lgkmcnt(0)
	v_add_f32_e32 v12, v12, v30
	s_or_b32 exec_lo, exec_lo, s0
	s_and_saveexec_b32 s0, vcc_lo
	s_cbranch_execz .LBB49_113
.LBB49_178:
	ds_read_b32 v30, v28 offset:208
	s_waitcnt lgkmcnt(0)
	v_add_f32_e32 v13, v13, v30
	s_or_b32 exec_lo, exec_lo, s0
	s_and_saveexec_b32 s0, vcc_lo
	s_cbranch_execz .LBB49_114
.LBB49_179:
	ds_read_b32 v30, v28 offset:224
	s_waitcnt lgkmcnt(0)
	v_add_f32_e32 v14, v14, v30
	s_or_b32 exec_lo, exec_lo, s0
	s_and_saveexec_b32 s0, vcc_lo
	s_cbranch_execz .LBB49_115
.LBB49_180:
	ds_read_b32 v30, v28 offset:240
	s_waitcnt lgkmcnt(0)
	v_add_f32_e32 v15, v15, v30
	s_or_b32 exec_lo, exec_lo, s0
	s_and_saveexec_b32 s0, vcc_lo
	s_cbranch_execz .LBB49_116
.LBB49_181:
	ds_read_b32 v30, v28 offset:256
	s_waitcnt lgkmcnt(0)
	v_add_f32_e32 v16, v16, v30
	s_or_b32 exec_lo, exec_lo, s0
	s_and_saveexec_b32 s0, vcc_lo
	s_cbranch_execz .LBB49_117
.LBB49_182:
	ds_read_b32 v30, v28 offset:272
	s_waitcnt lgkmcnt(0)
	v_add_f32_e32 v17, v17, v30
	s_or_b32 exec_lo, exec_lo, s0
	s_and_saveexec_b32 s0, vcc_lo
	s_cbranch_execz .LBB49_118
.LBB49_183:
	ds_read_b32 v30, v28 offset:288
	s_waitcnt lgkmcnt(0)
	v_add_f32_e32 v18, v18, v30
	s_or_b32 exec_lo, exec_lo, s0
	s_and_saveexec_b32 s0, vcc_lo
	s_cbranch_execz .LBB49_119
.LBB49_184:
	ds_read_b32 v30, v28 offset:304
	s_waitcnt lgkmcnt(0)
	v_add_f32_e32 v19, v19, v30
	s_or_b32 exec_lo, exec_lo, s0
	s_and_saveexec_b32 s0, vcc_lo
	s_cbranch_execz .LBB49_120
.LBB49_185:
	ds_read_b32 v30, v28 offset:320
	s_waitcnt lgkmcnt(0)
	v_add_f32_e32 v20, v20, v30
	s_or_b32 exec_lo, exec_lo, s0
	s_and_saveexec_b32 s0, vcc_lo
	s_cbranch_execz .LBB49_121
.LBB49_186:
	ds_read_b32 v30, v28 offset:336
	s_waitcnt lgkmcnt(0)
	v_add_f32_e32 v21, v21, v30
	s_or_b32 exec_lo, exec_lo, s0
	s_and_saveexec_b32 s0, vcc_lo
	s_cbranch_execz .LBB49_122
.LBB49_187:
	ds_read_b32 v30, v28 offset:352
	s_waitcnt lgkmcnt(0)
	v_add_f32_e32 v22, v22, v30
	s_or_b32 exec_lo, exec_lo, s0
	s_and_saveexec_b32 s0, vcc_lo
	s_cbranch_execz .LBB49_123
.LBB49_188:
	ds_read_b32 v30, v28 offset:368
	s_waitcnt lgkmcnt(0)
	v_add_f32_e32 v23, v23, v30
	s_or_b32 exec_lo, exec_lo, s0
	s_and_saveexec_b32 s0, vcc_lo
	s_cbranch_execz .LBB49_124
.LBB49_189:
	ds_read_b32 v30, v28 offset:384
	s_waitcnt lgkmcnt(0)
	v_add_f32_e32 v24, v24, v30
	s_or_b32 exec_lo, exec_lo, s0
	s_and_saveexec_b32 s0, vcc_lo
	s_cbranch_execz .LBB49_125
.LBB49_190:
	ds_read_b32 v30, v28 offset:400
	s_waitcnt lgkmcnt(0)
	v_add_f32_e32 v25, v25, v30
	s_or_b32 exec_lo, exec_lo, s0
	s_and_saveexec_b32 s0, vcc_lo
	s_cbranch_execz .LBB49_126
.LBB49_191:
	ds_read_b32 v30, v28 offset:416
	s_waitcnt lgkmcnt(0)
	v_add_f32_e32 v26, v26, v30
	s_or_b32 exec_lo, exec_lo, s0
	s_and_saveexec_b32 s0, vcc_lo
	s_cbranch_execnz .LBB49_127
	s_branch .LBB49_128
.LBB49_192:
	ds_read_b32 v29, v28
	s_waitcnt lgkmcnt(0)
	v_add_f32_e32 v0, v0, v29
	s_or_b32 exec_lo, exec_lo, s0
	s_and_saveexec_b32 s0, vcc_lo
	s_cbranch_execz .LBB49_134
.LBB49_193:
	ds_read_b32 v29, v28 offset:16
	s_waitcnt lgkmcnt(0)
	v_add_f32_e32 v1, v1, v29
	s_or_b32 exec_lo, exec_lo, s0
	s_and_saveexec_b32 s0, vcc_lo
	s_cbranch_execz .LBB49_135
.LBB49_194:
	ds_read_b32 v29, v28 offset:32
	s_waitcnt lgkmcnt(0)
	v_add_f32_e32 v2, v2, v29
	s_or_b32 exec_lo, exec_lo, s0
	s_and_saveexec_b32 s0, vcc_lo
	s_cbranch_execz .LBB49_136
.LBB49_195:
	ds_read_b32 v29, v28 offset:48
	s_waitcnt lgkmcnt(0)
	v_add_f32_e32 v3, v3, v29
	s_or_b32 exec_lo, exec_lo, s0
	s_and_saveexec_b32 s0, vcc_lo
	s_cbranch_execz .LBB49_137
.LBB49_196:
	ds_read_b32 v29, v28 offset:64
	s_waitcnt lgkmcnt(0)
	v_add_f32_e32 v4, v4, v29
	s_or_b32 exec_lo, exec_lo, s0
	s_and_saveexec_b32 s0, vcc_lo
	s_cbranch_execz .LBB49_138
.LBB49_197:
	ds_read_b32 v29, v28 offset:80
	s_waitcnt lgkmcnt(0)
	v_add_f32_e32 v5, v5, v29
	s_or_b32 exec_lo, exec_lo, s0
	s_and_saveexec_b32 s0, vcc_lo
	s_cbranch_execz .LBB49_139
.LBB49_198:
	ds_read_b32 v29, v28 offset:96
	s_waitcnt lgkmcnt(0)
	v_add_f32_e32 v6, v6, v29
	s_or_b32 exec_lo, exec_lo, s0
	s_and_saveexec_b32 s0, vcc_lo
	s_cbranch_execz .LBB49_140
.LBB49_199:
	ds_read_b32 v29, v28 offset:112
	s_waitcnt lgkmcnt(0)
	v_add_f32_e32 v7, v7, v29
	s_or_b32 exec_lo, exec_lo, s0
	s_and_saveexec_b32 s0, vcc_lo
	s_cbranch_execz .LBB49_141
.LBB49_200:
	ds_read_b32 v29, v28 offset:128
	s_waitcnt lgkmcnt(0)
	v_add_f32_e32 v8, v8, v29
	s_or_b32 exec_lo, exec_lo, s0
	s_and_saveexec_b32 s0, vcc_lo
	s_cbranch_execz .LBB49_142
.LBB49_201:
	ds_read_b32 v29, v28 offset:144
	s_waitcnt lgkmcnt(0)
	v_add_f32_e32 v9, v9, v29
	s_or_b32 exec_lo, exec_lo, s0
	s_and_saveexec_b32 s0, vcc_lo
	s_cbranch_execz .LBB49_143
.LBB49_202:
	ds_read_b32 v29, v28 offset:160
	s_waitcnt lgkmcnt(0)
	v_add_f32_e32 v10, v10, v29
	s_or_b32 exec_lo, exec_lo, s0
	s_and_saveexec_b32 s0, vcc_lo
	s_cbranch_execz .LBB49_144
.LBB49_203:
	ds_read_b32 v29, v28 offset:176
	s_waitcnt lgkmcnt(0)
	v_add_f32_e32 v11, v11, v29
	s_or_b32 exec_lo, exec_lo, s0
	s_and_saveexec_b32 s0, vcc_lo
	s_cbranch_execz .LBB49_145
.LBB49_204:
	ds_read_b32 v29, v28 offset:192
	s_waitcnt lgkmcnt(0)
	v_add_f32_e32 v12, v12, v29
	s_or_b32 exec_lo, exec_lo, s0
	s_and_saveexec_b32 s0, vcc_lo
	s_cbranch_execz .LBB49_146
.LBB49_205:
	ds_read_b32 v29, v28 offset:208
	s_waitcnt lgkmcnt(0)
	v_add_f32_e32 v13, v13, v29
	s_or_b32 exec_lo, exec_lo, s0
	s_and_saveexec_b32 s0, vcc_lo
	s_cbranch_execz .LBB49_147
.LBB49_206:
	ds_read_b32 v29, v28 offset:224
	s_waitcnt lgkmcnt(0)
	v_add_f32_e32 v14, v14, v29
	s_or_b32 exec_lo, exec_lo, s0
	s_and_saveexec_b32 s0, vcc_lo
	s_cbranch_execz .LBB49_148
.LBB49_207:
	ds_read_b32 v29, v28 offset:240
	s_waitcnt lgkmcnt(0)
	v_add_f32_e32 v15, v15, v29
	s_or_b32 exec_lo, exec_lo, s0
	s_and_saveexec_b32 s0, vcc_lo
	s_cbranch_execz .LBB49_149
.LBB49_208:
	ds_read_b32 v29, v28 offset:256
	s_waitcnt lgkmcnt(0)
	v_add_f32_e32 v16, v16, v29
	s_or_b32 exec_lo, exec_lo, s0
	s_and_saveexec_b32 s0, vcc_lo
	s_cbranch_execz .LBB49_150
.LBB49_209:
	ds_read_b32 v29, v28 offset:272
	s_waitcnt lgkmcnt(0)
	v_add_f32_e32 v17, v17, v29
	s_or_b32 exec_lo, exec_lo, s0
	s_and_saveexec_b32 s0, vcc_lo
	s_cbranch_execz .LBB49_151
.LBB49_210:
	ds_read_b32 v29, v28 offset:288
	s_waitcnt lgkmcnt(0)
	v_add_f32_e32 v18, v18, v29
	s_or_b32 exec_lo, exec_lo, s0
	s_and_saveexec_b32 s0, vcc_lo
	s_cbranch_execz .LBB49_152
.LBB49_211:
	ds_read_b32 v29, v28 offset:304
	s_waitcnt lgkmcnt(0)
	v_add_f32_e32 v19, v19, v29
	s_or_b32 exec_lo, exec_lo, s0
	s_and_saveexec_b32 s0, vcc_lo
	s_cbranch_execz .LBB49_153
.LBB49_212:
	ds_read_b32 v29, v28 offset:320
	s_waitcnt lgkmcnt(0)
	v_add_f32_e32 v20, v20, v29
	s_or_b32 exec_lo, exec_lo, s0
	s_and_saveexec_b32 s0, vcc_lo
	s_cbranch_execz .LBB49_154
.LBB49_213:
	ds_read_b32 v29, v28 offset:336
	s_waitcnt lgkmcnt(0)
	v_add_f32_e32 v21, v21, v29
	s_or_b32 exec_lo, exec_lo, s0
	s_and_saveexec_b32 s0, vcc_lo
	s_cbranch_execz .LBB49_155
.LBB49_214:
	ds_read_b32 v29, v28 offset:352
	s_waitcnt lgkmcnt(0)
	v_add_f32_e32 v22, v22, v29
	s_or_b32 exec_lo, exec_lo, s0
	s_and_saveexec_b32 s0, vcc_lo
	s_cbranch_execz .LBB49_156
.LBB49_215:
	ds_read_b32 v29, v28 offset:368
	s_waitcnt lgkmcnt(0)
	v_add_f32_e32 v23, v23, v29
	s_or_b32 exec_lo, exec_lo, s0
	s_and_saveexec_b32 s0, vcc_lo
	s_cbranch_execz .LBB49_157
.LBB49_216:
	ds_read_b32 v29, v28 offset:384
	s_waitcnt lgkmcnt(0)
	v_add_f32_e32 v24, v24, v29
	s_or_b32 exec_lo, exec_lo, s0
	s_and_saveexec_b32 s0, vcc_lo
	s_cbranch_execz .LBB49_158
.LBB49_217:
	ds_read_b32 v29, v28 offset:400
	s_waitcnt lgkmcnt(0)
	v_add_f32_e32 v25, v25, v29
	s_or_b32 exec_lo, exec_lo, s0
	s_and_saveexec_b32 s0, vcc_lo
	s_cbranch_execz .LBB49_159
.LBB49_218:
	ds_read_b32 v29, v28 offset:416
	s_waitcnt lgkmcnt(0)
	v_add_f32_e32 v26, v26, v29
	s_or_b32 exec_lo, exec_lo, s0
	s_and_saveexec_b32 s0, vcc_lo
	s_cbranch_execnz .LBB49_160
	s_branch .LBB49_161
	.section	.rodata,"a",@progbits
	.p2align	6, 0x0
	.amdhsa_kernel _ZN4vllm25paged_attention_v2_kernelIffLi112ELi32ELi128ELNS_18Fp8KVCacheDataTypeE0ELb1ELi512EEEvPfS2_PT_PKS3_PKT0_S9_ifPKiSB_iPKfiiiSD_SD_iiiii
		.amdhsa_group_segment_fixed_size 480
		.amdhsa_private_segment_fixed_size 172
		.amdhsa_kernarg_size 400
		.amdhsa_user_sgpr_count 6
		.amdhsa_user_sgpr_private_segment_buffer 1
		.amdhsa_user_sgpr_dispatch_ptr 0
		.amdhsa_user_sgpr_queue_ptr 0
		.amdhsa_user_sgpr_kernarg_segment_ptr 1
		.amdhsa_user_sgpr_dispatch_id 0
		.amdhsa_user_sgpr_flat_scratch_init 0
		.amdhsa_user_sgpr_private_segment_size 0
		.amdhsa_wavefront_size32 1
		.amdhsa_uses_dynamic_stack 0
		.amdhsa_system_sgpr_private_segment_wavefront_offset 1
		.amdhsa_system_sgpr_workgroup_id_x 1
		.amdhsa_system_sgpr_workgroup_id_y 1
		.amdhsa_system_sgpr_workgroup_id_z 1
		.amdhsa_system_sgpr_workgroup_info 0
		.amdhsa_system_vgpr_workitem_id 0
		.amdhsa_next_free_vgpr 128
		.amdhsa_next_free_sgpr 52
		.amdhsa_reserve_vcc 1
		.amdhsa_reserve_flat_scratch 0
		.amdhsa_float_round_mode_32 0
		.amdhsa_float_round_mode_16_64 0
		.amdhsa_float_denorm_mode_32 3
		.amdhsa_float_denorm_mode_16_64 3
		.amdhsa_dx10_clamp 1
		.amdhsa_ieee_mode 1
		.amdhsa_fp16_overflow 0
		.amdhsa_workgroup_processor_mode 1
		.amdhsa_memory_ordered 1
		.amdhsa_forward_progress 1
		.amdhsa_shared_vgpr_count 0
		.amdhsa_exception_fp_ieee_invalid_op 0
		.amdhsa_exception_fp_denorm_src 0
		.amdhsa_exception_fp_ieee_div_zero 0
		.amdhsa_exception_fp_ieee_overflow 0
		.amdhsa_exception_fp_ieee_underflow 0
		.amdhsa_exception_fp_ieee_inexact 0
		.amdhsa_exception_int_div_zero 0
	.end_amdhsa_kernel
	.section	.text._ZN4vllm25paged_attention_v2_kernelIffLi112ELi32ELi128ELNS_18Fp8KVCacheDataTypeE0ELb1ELi512EEEvPfS2_PT_PKS3_PKT0_S9_ifPKiSB_iPKfiiiSD_SD_iiiii,"axG",@progbits,_ZN4vllm25paged_attention_v2_kernelIffLi112ELi32ELi128ELNS_18Fp8KVCacheDataTypeE0ELb1ELi512EEEvPfS2_PT_PKS3_PKT0_S9_ifPKiSB_iPKfiiiSD_SD_iiiii,comdat
.Lfunc_end49:
	.size	_ZN4vllm25paged_attention_v2_kernelIffLi112ELi32ELi128ELNS_18Fp8KVCacheDataTypeE0ELb1ELi512EEEvPfS2_PT_PKS3_PKT0_S9_ifPKiSB_iPKfiiiSD_SD_iiiii, .Lfunc_end49-_ZN4vllm25paged_attention_v2_kernelIffLi112ELi32ELi128ELNS_18Fp8KVCacheDataTypeE0ELb1ELi512EEEvPfS2_PT_PKS3_PKT0_S9_ifPKiSB_iPKfiiiSD_SD_iiiii
                                        ; -- End function
	.set _ZN4vllm25paged_attention_v2_kernelIffLi112ELi32ELi128ELNS_18Fp8KVCacheDataTypeE0ELb1ELi512EEEvPfS2_PT_PKS3_PKT0_S9_ifPKiSB_iPKfiiiSD_SD_iiiii.num_vgpr, 128
	.set _ZN4vllm25paged_attention_v2_kernelIffLi112ELi32ELi128ELNS_18Fp8KVCacheDataTypeE0ELb1ELi512EEEvPfS2_PT_PKS3_PKT0_S9_ifPKiSB_iPKfiiiSD_SD_iiiii.num_agpr, 0
	.set _ZN4vllm25paged_attention_v2_kernelIffLi112ELi32ELi128ELNS_18Fp8KVCacheDataTypeE0ELb1ELi512EEEvPfS2_PT_PKS3_PKT0_S9_ifPKiSB_iPKfiiiSD_SD_iiiii.numbered_sgpr, 52
	.set _ZN4vllm25paged_attention_v2_kernelIffLi112ELi32ELi128ELNS_18Fp8KVCacheDataTypeE0ELb1ELi512EEEvPfS2_PT_PKS3_PKT0_S9_ifPKiSB_iPKfiiiSD_SD_iiiii.num_named_barrier, 0
	.set _ZN4vllm25paged_attention_v2_kernelIffLi112ELi32ELi128ELNS_18Fp8KVCacheDataTypeE0ELb1ELi512EEEvPfS2_PT_PKS3_PKT0_S9_ifPKiSB_iPKfiiiSD_SD_iiiii.private_seg_size, 172
	.set _ZN4vllm25paged_attention_v2_kernelIffLi112ELi32ELi128ELNS_18Fp8KVCacheDataTypeE0ELb1ELi512EEEvPfS2_PT_PKS3_PKT0_S9_ifPKiSB_iPKfiiiSD_SD_iiiii.uses_vcc, 1
	.set _ZN4vllm25paged_attention_v2_kernelIffLi112ELi32ELi128ELNS_18Fp8KVCacheDataTypeE0ELb1ELi512EEEvPfS2_PT_PKS3_PKT0_S9_ifPKiSB_iPKfiiiSD_SD_iiiii.uses_flat_scratch, 0
	.set _ZN4vllm25paged_attention_v2_kernelIffLi112ELi32ELi128ELNS_18Fp8KVCacheDataTypeE0ELb1ELi512EEEvPfS2_PT_PKS3_PKT0_S9_ifPKiSB_iPKfiiiSD_SD_iiiii.has_dyn_sized_stack, 0
	.set _ZN4vllm25paged_attention_v2_kernelIffLi112ELi32ELi128ELNS_18Fp8KVCacheDataTypeE0ELb1ELi512EEEvPfS2_PT_PKS3_PKT0_S9_ifPKiSB_iPKfiiiSD_SD_iiiii.has_recursion, 0
	.set _ZN4vllm25paged_attention_v2_kernelIffLi112ELi32ELi128ELNS_18Fp8KVCacheDataTypeE0ELb1ELi512EEEvPfS2_PT_PKS3_PKT0_S9_ifPKiSB_iPKfiiiSD_SD_iiiii.has_indirect_call, 0
	.section	.AMDGPU.csdata,"",@progbits
; Kernel info:
; codeLenInByte = 13856
; TotalNumSgprs: 54
; NumVgprs: 128
; ScratchSize: 172
; MemoryBound: 0
; FloatMode: 240
; IeeeMode: 1
; LDSByteSize: 480 bytes/workgroup (compile time only)
; SGPRBlocks: 0
; VGPRBlocks: 15
; NumSGPRsForWavesPerEU: 54
; NumVGPRsForWavesPerEU: 128
; Occupancy: 8
; WaveLimiterHint : 1
; COMPUTE_PGM_RSRC2:SCRATCH_EN: 1
; COMPUTE_PGM_RSRC2:USER_SGPR: 6
; COMPUTE_PGM_RSRC2:TRAP_HANDLER: 0
; COMPUTE_PGM_RSRC2:TGID_X_EN: 1
; COMPUTE_PGM_RSRC2:TGID_Y_EN: 1
; COMPUTE_PGM_RSRC2:TGID_Z_EN: 1
; COMPUTE_PGM_RSRC2:TIDIG_COMP_CNT: 0
	.section	.text._ZN4vllm25paged_attention_v2_kernelIffLi120ELi32ELi128ELNS_18Fp8KVCacheDataTypeE0ELb1ELi512EEEvPfS2_PT_PKS3_PKT0_S9_ifPKiSB_iPKfiiiSD_SD_iiiii,"axG",@progbits,_ZN4vllm25paged_attention_v2_kernelIffLi120ELi32ELi128ELNS_18Fp8KVCacheDataTypeE0ELb1ELi512EEEvPfS2_PT_PKS3_PKT0_S9_ifPKiSB_iPKfiiiSD_SD_iiiii,comdat
	.protected	_ZN4vllm25paged_attention_v2_kernelIffLi120ELi32ELi128ELNS_18Fp8KVCacheDataTypeE0ELb1ELi512EEEvPfS2_PT_PKS3_PKT0_S9_ifPKiSB_iPKfiiiSD_SD_iiiii ; -- Begin function _ZN4vllm25paged_attention_v2_kernelIffLi120ELi32ELi128ELNS_18Fp8KVCacheDataTypeE0ELb1ELi512EEEvPfS2_PT_PKS3_PKT0_S9_ifPKiSB_iPKfiiiSD_SD_iiiii
	.globl	_ZN4vllm25paged_attention_v2_kernelIffLi120ELi32ELi128ELNS_18Fp8KVCacheDataTypeE0ELb1ELi512EEEvPfS2_PT_PKS3_PKT0_S9_ifPKiSB_iPKfiiiSD_SD_iiiii
	.p2align	8
	.type	_ZN4vllm25paged_attention_v2_kernelIffLi120ELi32ELi128ELNS_18Fp8KVCacheDataTypeE0ELb1ELi512EEEvPfS2_PT_PKS3_PKT0_S9_ifPKiSB_iPKfiiiSD_SD_iiiii,@function
_ZN4vllm25paged_attention_v2_kernelIffLi120ELi32ELi128ELNS_18Fp8KVCacheDataTypeE0ELb1ELi512EEEvPfS2_PT_PKS3_PKT0_S9_ifPKiSB_iPKfiiiSD_SD_iiiii: ; @_ZN4vllm25paged_attention_v2_kernelIffLi120ELi32ELi128ELNS_18Fp8KVCacheDataTypeE0ELb1ELi512EEEvPfS2_PT_PKS3_PKT0_S9_ifPKiSB_iPKfiiiSD_SD_iiiii
; %bb.0:
	s_mov_b64 s[50:51], s[2:3]
	s_mov_b64 s[48:49], s[0:1]
	s_load_dwordx2 s[0:1], s[4:5], 0x40
	s_add_u32 s48, s48, s9
	s_addc_u32 s49, s49, 0
	s_mov_b32 s26, s7
	s_ashr_i32 s27, s7, 31
	s_lshl_b64 s[2:3], s[26:27], 2
	s_waitcnt lgkmcnt(0)
	s_add_u32 s0, s0, s2
	s_addc_u32 s1, s1, s3
	s_lshl_b32 s37, s8, 9
	s_load_dword s27, s[0:1], 0x0
	s_waitcnt lgkmcnt(0)
	s_cmp_ge_i32 s37, s27
	s_cbranch_scc1 .LBB50_172
; %bb.1:
	s_clause 0x1
	s_load_dword s9, s[4:5], 0x90
	s_load_dwordx2 s[2:3], s[4:5], 0x30
	v_mov_b32_e32 v54, v0
	s_mov_b32 s39, 0
	s_waitcnt lgkmcnt(0)
	s_abs_i32 s10, s9
	s_abs_i32 s0, s2
	v_cvt_f32_u32_e32 v0, s0
	s_sub_i32 s7, 0, s0
	v_rcp_iflag_f32_e32 v0, v0
	v_mul_f32_e32 v0, 0x4f7ffffe, v0
	v_cvt_u32_f32_e32 v0, v0
	v_readfirstlane_b32 s1, v0
	s_mul_i32 s7, s7, s1
	s_mul_hi_u32 s7, s1, s7
	s_add_i32 s1, s1, s7
	s_xor_b32 s7, s9, s2
	s_mul_hi_u32 s1, s10, s1
	s_ashr_i32 s7, s7, 31
	s_mul_i32 s11, s1, s0
	s_sub_i32 s10, s10, s11
	s_add_i32 s11, s1, 1
	s_sub_i32 s12, s10, s0
	s_cmp_ge_u32 s10, s0
	s_cselect_b32 s1, s11, s1
	s_cselect_b32 s10, s12, s10
	s_add_i32 s11, s1, 1
	s_cmp_ge_u32 s10, s0
	s_cselect_b32 s0, s11, s1
	s_abs_i32 s21, s6
	s_xor_b32 s0, s0, s7
	s_sub_i32 s10, s0, s7
	s_load_dwordx2 s[0:1], s[4:5], 0x50
	s_abs_i32 s20, s10
	v_cvt_f32_u32_e32 v0, s20
	s_sub_i32 s11, 0, s20
	v_rcp_iflag_f32_e32 v0, v0
	v_mul_f32_e32 v0, 0x4f7ffffe, v0
	v_cvt_u32_f32_e32 v0, v0
	v_readfirstlane_b32 s7, v0
	s_mul_i32 s11, s11, s7
	s_mul_hi_u32 s11, s7, s11
	s_add_i32 s7, s7, s11
	s_waitcnt lgkmcnt(0)
	s_cmp_eq_u64 s[0:1], 0
	s_mul_hi_u32 s22, s21, s7
	s_cbranch_scc1 .LBB50_3
; %bb.2:
	s_ashr_i32 s7, s6, 31
	s_lshl_b64 s[12:13], s[6:7], 2
	s_add_u32 s0, s0, s12
	s_addc_u32 s1, s1, s13
	s_load_dword s39, s[0:1], 0x0
.LBB50_3:
	s_load_dwordx4 s[12:15], s[4:5], 0x58
	v_lshlrev_b32_e32 v9, 4, v54
	s_ashr_i32 s0, s6, 31
	s_ashr_i32 s1, s10, 31
	s_mul_i32 s10, s6, 0x78
	s_mov_b32 s7, exec_lo
	v_cmpx_gt_u32_e32 30, v54
	s_cbranch_execz .LBB50_5
; %bb.4:
	s_load_dwordx2 s[16:17], s[4:5], 0x18
	s_waitcnt lgkmcnt(0)
	s_mul_i32 s18, s12, s26
	s_ashr_i32 s19, s18, 31
	s_lshl_b64 s[18:19], s[18:19], 2
	s_add_u32 s12, s16, s18
	s_addc_u32 s15, s17, s19
	s_ashr_i32 s11, s10, 31
	s_lshl_b64 s[16:17], s[10:11], 2
	s_add_u32 s16, s12, s16
	s_addc_u32 s17, s15, s17
	global_load_dwordx4 v[0:3], v9, s[16:17]
	s_waitcnt vmcnt(0)
	ds_write_b128 v9, v[0:3]
.LBB50_5:
	s_or_b32 exec_lo, exec_lo, s7
	s_load_dwordx4 s[16:19], s[4:5], 0x78
	s_mul_i32 s7, s22, s20
	s_xor_b32 s0, s0, s1
	s_sub_i32 s1, s21, s7
	s_add_i32 s7, s22, 1
	s_sub_i32 s11, s1, s20
	s_cmp_ge_u32 s1, s20
	s_mov_b32 s21, -1
	s_cselect_b32 s7, s7, s22
	s_cselect_b32 s1, s11, s1
	s_add_i32 s11, s7, 1
	s_cmp_ge_u32 s1, s20
                                        ; implicit-def: $sgpr33
	s_cselect_b32 s1, s11, s7
	s_load_dword s7, s[4:5], 0x88
	s_xor_b32 s1, s1, s0
	s_add_i32 s20, s27, -1
	s_sub_i32 s1, s1, s0
	s_waitcnt lgkmcnt(0)
	s_abs_i32 s15, s20
	s_abs_i32 s11, s19
	s_barrier
	v_cvt_f32_u32_e32 v0, s11
	s_sub_i32 s0, 0, s11
	buffer_gl0_inv
	v_rcp_iflag_f32_e32 v0, v0
	v_mul_f32_e32 v0, 0x4f7ffffe, v0
	v_cvt_u32_f32_e32 v0, v0
	v_readfirstlane_b32 s12, v0
	s_mul_i32 s0, s0, s12
	s_mul_hi_u32 s0, s12, s0
	s_add_i32 s12, s12, s0
	s_cmp_lt_i32 s7, 0
	s_mul_hi_u32 s0, s15, s12
	s_cbranch_scc0 .LBB50_7
; %bb.6:
	s_mul_i32 s2, s16, s2
	s_mov_b32 s21, 0
	s_add_i32 s2, s1, s2
	s_mul_i32 s2, s2, s7
	s_sub_i32 s33, 1, s2
.LBB50_7:
	s_load_dwordx2 s[28:29], s[4:5], 0x38
	s_ashr_i32 s2, s20, 31
	s_andn2_b32 vcc_lo, exec_lo, s21
	s_ashr_i32 s19, s19, 31
	s_cbranch_vccnz .LBB50_9
; %bb.8:
	s_mul_i32 s16, s9, s16
	s_add_i32 s16, s16, s6
	s_mul_i32 s7, s16, s7
	s_add_i32 s33, s7, 1
.LBB50_9:
	s_clause 0x4
	s_load_dword s16, s[4:5], 0x48
	s_load_dwordx2 s[34:35], s[4:5], 0x28
	s_load_dword s7, s[4:5], 0x98
	s_load_dwordx4 s[20:23], s[4:5], 0x0
	s_load_dwordx2 s[24:25], s[4:5], 0x10
	s_mul_i32 s30, s0, s11
	s_xor_b32 s2, s2, s19
	s_sub_i32 s15, s15, s30
	s_add_i32 s36, s0, 1
	v_lshrrev_b32_e32 v123, 5, v54
	v_and_b32_e32 v0, 31, v54
	v_mov_b32_e32 v127, 0xff7fffff
	s_mul_i32 s14, s1, s14
	buffer_store_dword v0, off, s[48:51], 0 offset:188 ; 4-byte Folded Spill
	v_lshlrev_b32_e32 v10, 2, v0
	s_waitcnt lgkmcnt(0)
	s_mul_i32 s30, s16, s26
	s_sub_i32 s16, s15, s11
	s_ashr_i32 s31, s30, 31
	s_cmp_ge_u32 s15, s11
	s_cselect_b32 s0, s36, s0
	s_cselect_b32 s15, s16, s15
	s_add_i32 s16, s0, 1
	s_cmp_ge_u32 s15, s11
	s_cselect_b32 s0, s16, s0
	s_lshl_b32 s40, s8, 4
	s_add_i32 s15, s27, 31
	v_add_nc_u32_e32 v0, s40, v123
	s_ashr_i32 s16, s15, 31
	s_lshr_b32 s16, s16, 27
	v_ashrrev_i32_e32 v1, 31, v0
	s_add_i32 s15, s15, s16
	s_add_i32 s16, s40, 16
	s_ashr_i32 s36, s15, 5
	buffer_store_dword v0, off, s[48:51], 0 ; 4-byte Folded Spill
	buffer_store_dword v1, off, s[48:51], 0 offset:4 ; 4-byte Folded Spill
	s_min_i32 s16, s16, s36
	s_xor_b32 s15, s0, s2
	s_sub_i32 s38, s15, s2
	v_cmp_gt_i32_e64 s0, s16, v0
	v_lshl_add_u32 v0, v123, 5, s37
	buffer_store_dword v0, off, s[48:51], 0 offset:8 ; 4-byte Folded Spill
	s_mov_b32 s41, exec_lo
	s_and_b32 s1, s41, s0
	buffer_store_dword v54, off, s[48:51], 0 offset:204 ; 4-byte Folded Spill
	buffer_store_dword v123, off, s[48:51], 0 offset:208 ; 4-byte Folded Spill
	s_mov_b32 exec_lo, s1
	s_cbranch_execz .LBB50_17
; %bb.10:
	buffer_load_dword v2, off, s[48:51], 0 offset:188 ; 4-byte Folded Reload
	s_load_dwordx2 s[42:43], s[4:5], 0x20
	v_mov_b32_e32 v1, 0
	s_ashr_i32 s15, s14, 31
	s_sub_i32 s4, s38, s17
	s_lshl_b64 s[44:45], s[14:15], 2
	buffer_store_dword v9, off, s[48:51], 0 offset:88 ; 4-byte Folded Spill
	ds_read_b128 v[3:6], v1
	v_cmp_neq_f32_e64 vcc_lo, s39, 0
	v_lshl_add_u32 v126, v123, 5, s37
	v_mov_b32_e32 v127, 0xff7fffff
	s_mov_b32 s5, s13
	s_mov_b32 s15, 0
	s_waitcnt lgkmcnt(0)
	s_add_u32 s1, s42, s44
	s_addc_u32 s2, s43, s45
	s_abs_i32 s42, s18
	s_lshl_b64 s[44:45], s[30:31], 2
	s_waitcnt vmcnt(0)
	v_lshlrev_b32_e32 v0, 4, v2
	v_add_co_u32 v0, s1, s1, v0
	buffer_store_dword v0, off, s[48:51], 0 offset:12 ; 4-byte Folded Spill
	v_add_co_ci_u32_e64 v0, null, s2, 0, s1
	s_sub_i32 s1, 0, s42
	buffer_store_dword v0, off, s[48:51], 0 offset:28 ; 4-byte Folded Spill
	buffer_store_dword v3, off, s[48:51], 0 offset:32 ; 4-byte Folded Spill
	;; [unrolled: 1-line block ×5, first 2 shown]
	ds_read_b128 v[3:6], v1 offset:16
	v_cvt_f32_u32_e32 v0, s42
	s_waitcnt lgkmcnt(0)
	buffer_store_dword v3, off, s[48:51], 0 offset:48 ; 4-byte Folded Spill
	buffer_store_dword v4, off, s[48:51], 0 offset:52 ; 4-byte Folded Spill
	;; [unrolled: 1-line block ×4, first 2 shown]
	ds_read_b128 v[3:6], v1 offset:32
	v_rcp_iflag_f32_e32 v0, v0
	s_waitcnt lgkmcnt(0)
	buffer_store_dword v3, off, s[48:51], 0 offset:64 ; 4-byte Folded Spill
	buffer_store_dword v4, off, s[48:51], 0 offset:68 ; 4-byte Folded Spill
	;; [unrolled: 1-line block ×4, first 2 shown]
	ds_read_b128 v[13:16], v1 offset:48
	ds_read_b128 v[17:20], v1 offset:64
	;; [unrolled: 1-line block ×27, first 2 shown]
	s_clause 0x1
	buffer_load_dword v3, off, s[48:51], 0
	buffer_load_dword v4, off, s[48:51], 0 offset:4
	v_mul_f32_e32 v0, 0x4f7ffffe, v0
	v_mov_b32_e32 v5, v10
	v_cvt_u32_f32_e32 v0, v0
	v_mul_lo_u32 v1, s1, v0
	s_add_u32 s1, s28, s44
	s_addc_u32 s2, s29, s45
	v_mul_hi_u32 v1, v0, v1
	v_add_nc_u32_e32 v6, v0, v1
	s_waitcnt vmcnt(0)
	v_lshlrev_b64 v[0:1], 2, v[3:4]
	v_add_co_u32 v121, s1, s1, v0
	v_subrev_nc_u32_e32 v0, s27, v2
	v_add_co_ci_u32_e64 v122, null, s2, v1, s1
	v_mov_b32_e32 v1, v3
	v_add_nc_u32_e32 v0, 1, v0
	buffer_store_dword v0, off, s[48:51], 0 offset:84 ; 4-byte Folded Spill
	buffer_store_dword v5, off, s[48:51], 0 offset:92 ; 4-byte Folded Spill
	v_lshl_or_b32 v0, v123, 7, v5
	buffer_store_dword v6, off, s[48:51], 0 offset:80 ; 4-byte Folded Spill
	v_add_nc_u32_e32 v0, 0x200, v0
	s_branch .LBB50_12
.LBB50_11:                              ;   in Loop: Header=BB50_12 Depth=1
	s_or_b32 exec_lo, exec_lo, s2
	v_add_nc_u32_e32 v1, 4, v1
	v_add_co_u32 v121, s1, v121, 16
	v_add_co_ci_u32_e64 v122, null, 0, v122, s1
	v_cmp_le_i32_e64 s1, s16, v1
	v_add_nc_u32_e32 v126, 0x80, v126
	v_add_nc_u32_e32 v0, 0x200, v0
	s_or_b32 s15, s1, s15
	s_andn2_b32 exec_lo, exec_lo, s15
	s_cbranch_execz .LBB50_16
.LBB50_12:                              ; =>This Inner Loop Header: Depth=1
	v_sub_nc_u32_e32 v2, 0, v126
	v_max_i32_e32 v2, v126, v2
	v_mul_hi_u32 v3, v2, s12
	v_mul_lo_u32 v4, v3, s11
	v_sub_nc_u32_e32 v2, v2, v4
	v_add_nc_u32_e32 v4, 1, v3
	v_subrev_nc_u32_e32 v5, s11, v2
	v_cmp_le_u32_e64 s1, s11, v2
	v_cndmask_b32_e64 v3, v3, v4, s1
	v_cndmask_b32_e64 v2, v2, v5, s1
	v_ashrrev_i32_e32 v4, 31, v126
	v_add_nc_u32_e32 v5, 1, v3
	v_cmp_le_u32_e64 s1, s11, v2
	v_xor_b32_e32 v4, s19, v4
	v_cndmask_b32_e64 v2, v3, v5, s1
	v_xor_b32_e32 v2, v2, v4
	v_sub_nc_u32_e32 v2, v2, v4
	v_add_nc_u32_e32 v3, s33, v2
	v_cmp_ge_i32_e64 s2, s4, v2
	v_sub_nc_u32_e32 v4, 0, v3
	v_max_i32_e32 v4, v3, v4
	v_ashrrev_i32_e32 v3, 31, v3
	v_mul_hi_u32 v5, v4, v6
	v_mul_lo_u32 v5, v5, s42
	v_sub_nc_u32_e32 v4, v4, v5
	v_subrev_nc_u32_e32 v5, s42, v4
	v_cmp_le_u32_e64 s1, s42, v4
	v_cndmask_b32_e64 v4, v4, v5, s1
	v_subrev_nc_u32_e32 v5, s42, v4
	v_cmp_le_u32_e64 s1, s42, v4
	v_cndmask_b32_e64 v4, v4, v5, s1
	v_xor_b32_e32 v4, v4, v3
	v_sub_nc_u32_e32 v3, v4, v3
	v_cmp_ne_u32_e64 s1, 0, v3
	s_and_b32 s1, s1, s2
	s_and_saveexec_b32 s2, s1
	s_xor_b32 s1, exec_lo, s2
; %bb.13:                               ;   in Loop: Header=BB50_12 Depth=1
	v_mov_b32_e32 v2, 0xff7fffff
	ds_write_b32 v0, v2
; %bb.14:                               ;   in Loop: Header=BB50_12 Depth=1
	s_andn2_saveexec_b32 s2, s1
	s_cbranch_execz .LBB50_11
; %bb.15:                               ;   in Loop: Header=BB50_12 Depth=1
	global_load_dword v2, v[121:122], off
	buffer_load_dword v4, off, s[48:51], 0 offset:12 ; 4-byte Folded Reload
	s_waitcnt vmcnt(1)
	v_mad_i64_i32 v[2:3], null, v2, s5, 0
	v_lshlrev_b64 v[2:3], 2, v[2:3]
	s_waitcnt vmcnt(0)
	v_add_co_u32 v123, s1, v4, v2
	buffer_load_dword v2, off, s[48:51], 0 offset:28 ; 4-byte Folded Reload
	s_waitcnt vmcnt(0)
	v_add_co_ci_u32_e64 v124, null, v2, v3, s1
	global_load_dwordx4 v[5:8], v[123:124], off offset:512
	s_clause 0x3
	buffer_load_dword v9, off, s[48:51], 0 offset:48
	buffer_load_dword v10, off, s[48:51], 0 offset:52
	;; [unrolled: 1-line block ×4, first 2 shown]
	s_waitcnt vmcnt(3)
	v_mul_f32_e32 v3, v9, v5
	s_waitcnt vmcnt(2)
	v_mul_f32_e32 v4, v10, v6
	;; [unrolled: 2-line block ×4, first 2 shown]
	global_load_dwordx4 v[5:8], v[123:124], off
	s_clause 0x3
	buffer_load_dword v9, off, s[48:51], 0 offset:32
	buffer_load_dword v10, off, s[48:51], 0 offset:36
	;; [unrolled: 1-line block ×4, first 2 shown]
	s_waitcnt vmcnt(3)
	v_fmac_f32_e32 v3, v9, v5
	s_waitcnt vmcnt(2)
	v_fmac_f32_e32 v4, v10, v6
	;; [unrolled: 2-line block ×4, first 2 shown]
	global_load_dwordx4 v[5:8], v[123:124], off offset:1024
	s_clause 0x3
	buffer_load_dword v9, off, s[48:51], 0 offset:64
	buffer_load_dword v10, off, s[48:51], 0 offset:68
	;; [unrolled: 1-line block ×4, first 2 shown]
	s_waitcnt vmcnt(3)
	v_fmac_f32_e32 v3, v9, v5
	s_waitcnt vmcnt(2)
	v_fmac_f32_e32 v4, v10, v6
	;; [unrolled: 2-line block ×4, first 2 shown]
	global_load_dwordx4 v[5:8], v[123:124], off offset:1536
	v_add_co_u32 v9, s1, v123, 0x1000
	v_add_co_ci_u32_e64 v10, null, 0, v124, s1
	v_add_co_u32 v11, s1, 0x800, v123
	v_add_co_ci_u32_e64 v12, null, 0, v124, s1
	s_waitcnt vmcnt(0) lgkmcnt(26)
	v_fmac_f32_e32 v3, v13, v5
	v_fmac_f32_e32 v4, v14, v6
	v_fmac_f32_e32 v125, v15, v7
	v_fmac_f32_e32 v2, v16, v8
	global_load_dwordx4 v[5:8], v[9:10], off offset:-2048
	s_waitcnt vmcnt(0) lgkmcnt(25)
	v_fmac_f32_e32 v3, v17, v5
	v_fmac_f32_e32 v4, v18, v6
	v_fmac_f32_e32 v125, v19, v7
	v_fmac_f32_e32 v2, v20, v8
	global_load_dwordx4 v[5:8], v[11:12], off offset:512
	s_waitcnt vmcnt(0) lgkmcnt(24)
	v_fmac_f32_e32 v3, v21, v5
	v_fmac_f32_e32 v4, v22, v6
	v_fmac_f32_e32 v125, v23, v7
	v_fmac_f32_e32 v2, v24, v8
	global_load_dwordx4 v[5:8], v[11:12], off offset:1024
	s_waitcnt vmcnt(0) lgkmcnt(23)
	v_fmac_f32_e32 v3, v25, v5
	v_fmac_f32_e32 v4, v26, v6
	v_fmac_f32_e32 v125, v27, v7
	v_fmac_f32_e32 v2, v28, v8
	global_load_dwordx4 v[5:8], v[11:12], off offset:1536
	s_waitcnt vmcnt(0) lgkmcnt(22)
	v_fmac_f32_e32 v3, v29, v5
	v_fmac_f32_e32 v4, v30, v6
	v_fmac_f32_e32 v125, v31, v7
	v_fmac_f32_e32 v2, v32, v8
	global_load_dwordx4 v[5:8], v[9:10], off
	v_add_co_u32 v9, s1, 0x1000, v123
	v_add_co_ci_u32_e64 v10, null, 0, v124, s1
	s_waitcnt vmcnt(0) lgkmcnt(21)
	v_fmac_f32_e32 v3, v33, v5
	v_fmac_f32_e32 v4, v34, v6
	v_fmac_f32_e32 v125, v35, v7
	v_fmac_f32_e32 v2, v36, v8
	global_load_dwordx4 v[5:8], v[9:10], off offset:512
	s_waitcnt vmcnt(0) lgkmcnt(20)
	v_fmac_f32_e32 v3, v37, v5
	v_fmac_f32_e32 v4, v38, v6
	v_fmac_f32_e32 v125, v39, v7
	v_fmac_f32_e32 v2, v40, v8
	global_load_dwordx4 v[5:8], v[9:10], off offset:1024
	s_waitcnt vmcnt(0) lgkmcnt(19)
	v_fmac_f32_e32 v3, v41, v5
	v_fmac_f32_e32 v4, v42, v6
	v_fmac_f32_e32 v125, v43, v7
	v_fmac_f32_e32 v2, v44, v8
	global_load_dwordx4 v[5:8], v[9:10], off offset:1536
	v_add_co_u32 v9, s1, v123, 0x2000
	v_add_co_ci_u32_e64 v10, null, 0, v124, s1
	v_add_co_u32 v11, s1, 0x1800, v123
	v_add_co_ci_u32_e64 v12, null, 0, v124, s1
	s_waitcnt vmcnt(0) lgkmcnt(18)
	v_fmac_f32_e32 v3, v45, v5
	v_fmac_f32_e32 v4, v46, v6
	v_fmac_f32_e32 v125, v47, v7
	v_fmac_f32_e32 v2, v48, v8
	global_load_dwordx4 v[5:8], v[9:10], off offset:-2048
	s_waitcnt vmcnt(0) lgkmcnt(17)
	v_fmac_f32_e32 v3, v49, v5
	v_fmac_f32_e32 v4, v50, v6
	v_fmac_f32_e32 v125, v51, v7
	v_fmac_f32_e32 v2, v52, v8
	global_load_dwordx4 v[5:8], v[11:12], off offset:512
	s_waitcnt vmcnt(0) lgkmcnt(16)
	v_fmac_f32_e32 v3, v53, v5
	v_fmac_f32_e32 v4, v54, v6
	v_fmac_f32_e32 v125, v55, v7
	v_fmac_f32_e32 v2, v56, v8
	global_load_dwordx4 v[5:8], v[11:12], off offset:1024
	s_waitcnt vmcnt(0) lgkmcnt(15)
	v_fmac_f32_e32 v3, v57, v5
	v_fmac_f32_e32 v4, v58, v6
	v_fmac_f32_e32 v125, v59, v7
	v_fmac_f32_e32 v2, v60, v8
	global_load_dwordx4 v[5:8], v[11:12], off offset:1536
	s_waitcnt vmcnt(0) lgkmcnt(14)
	v_fmac_f32_e32 v3, v61, v5
	v_fmac_f32_e32 v4, v62, v6
	v_fmac_f32_e32 v125, v63, v7
	v_fmac_f32_e32 v2, v64, v8
	global_load_dwordx4 v[5:8], v[9:10], off
	v_add_co_u32 v9, s1, 0x2000, v123
	v_add_co_ci_u32_e64 v10, null, 0, v124, s1
	s_waitcnt vmcnt(0) lgkmcnt(13)
	v_fmac_f32_e32 v3, v65, v5
	v_fmac_f32_e32 v4, v66, v6
	v_fmac_f32_e32 v125, v67, v7
	v_fmac_f32_e32 v2, v68, v8
	global_load_dwordx4 v[5:8], v[9:10], off offset:512
	s_waitcnt vmcnt(0) lgkmcnt(12)
	v_fmac_f32_e32 v3, v69, v5
	v_fmac_f32_e32 v4, v70, v6
	v_fmac_f32_e32 v125, v71, v7
	v_fmac_f32_e32 v2, v72, v8
	global_load_dwordx4 v[5:8], v[9:10], off offset:1024
	s_waitcnt vmcnt(0) lgkmcnt(11)
	v_fmac_f32_e32 v3, v73, v5
	v_fmac_f32_e32 v4, v74, v6
	v_fmac_f32_e32 v125, v75, v7
	v_fmac_f32_e32 v2, v76, v8
	;; [unrolled: 54-line block ×3, first 2 shown]
	global_load_dwordx4 v[5:8], v[9:10], off offset:1536
	v_add_co_u32 v9, s1, 0x3800, v123
	v_add_co_ci_u32_e64 v10, null, 0, v124, s1
	s_waitcnt vmcnt(0) lgkmcnt(2)
	v_fmac_f32_e32 v3, v109, v5
	v_fmac_f32_e32 v4, v110, v6
	;; [unrolled: 1-line block ×4, first 2 shown]
	global_load_dwordx4 v[5:8], v[9:10], off
	s_waitcnt vmcnt(0) lgkmcnt(1)
	v_fmac_f32_e32 v3, v113, v5
	v_fmac_f32_e32 v4, v114, v6
	;; [unrolled: 1-line block ×4, first 2 shown]
	global_load_dwordx4 v[5:8], v[9:10], off offset:512
	s_waitcnt vmcnt(0) lgkmcnt(0)
	v_fmac_f32_e32 v3, v117, v5
	v_fmac_f32_e32 v4, v118, v6
	v_fmac_f32_e32 v125, v119, v7
	v_fmac_f32_e32 v2, v120, v8
	buffer_load_dword v6, off, s[48:51], 0 offset:80 ; 4-byte Folded Reload
	v_add_f32_e32 v3, v3, v4
	buffer_load_dword v4, off, s[48:51], 0 offset:188 ; 4-byte Folded Reload
	v_add_f32_e32 v3, v125, v3
	v_add_f32_e32 v2, v2, v3
	buffer_load_dword v3, off, s[48:51], 0 offset:84 ; 4-byte Folded Reload
	s_waitcnt vmcnt(1)
	v_add_nc_u32_e32 v4, v4, v126
	v_cmp_gt_i32_e64 s1, s27, v4
	s_waitcnt vmcnt(0)
	v_add_nc_u32_e32 v3, v3, v126
	v_cvt_f32_i32_e32 v3, v3
	v_mul_f32_e32 v3, s39, v3
	v_cndmask_b32_e32 v3, 0, v3, vcc_lo
	v_fmac_f32_e32 v3, s3, v2
	v_max_f32_e32 v2, v127, v127
	v_max_f32_e32 v2, v2, v3
	v_cndmask_b32_e64 v127, v127, v2, s1
	v_cndmask_b32_e64 v2, 0, v3, s1
	ds_write_b32 v0, v2
	s_branch .LBB50_11
.LBB50_16:
	s_or_b32 exec_lo, exec_lo, s15
	s_waitcnt lgkmcnt(16)
	s_clause 0x3
	buffer_load_dword v54, off, s[48:51], 0 offset:204
	buffer_load_dword v123, off, s[48:51], 0 offset:208
	;; [unrolled: 1-line block ×4, first 2 shown]
.LBB50_17:
	s_or_b32 exec_lo, exec_lo, s41
	v_mbcnt_lo_u32_b32 v0, -1, 0
	v_max_f32_e32 v4, v127, v127
	v_xor_b32_e32 v1, 16, v0
	v_xor_b32_e32 v3, 8, v0
	v_cmp_gt_i32_e32 vcc_lo, 32, v1
	v_cndmask_b32_e32 v1, v0, v1, vcc_lo
	v_cmp_gt_i32_e32 vcc_lo, 32, v3
	v_lshlrev_b32_e32 v1, 2, v1
	v_cndmask_b32_e32 v3, v0, v3, vcc_lo
	ds_bpermute_b32 v2, v1, v127
	s_waitcnt lgkmcnt(0)
	v_max_f32_e32 v5, v2, v2
	v_lshlrev_b32_e32 v2, 2, v3
	v_max_f32_e32 v3, v4, v5
	v_xor_b32_e32 v5, 4, v0
	ds_bpermute_b32 v4, v2, v3
	v_cmp_gt_i32_e32 vcc_lo, 32, v5
	v_cndmask_b32_e32 v5, v0, v5, vcc_lo
	v_lshlrev_b32_e32 v37, 2, v5
	v_xor_b32_e32 v5, 2, v0
	v_cmp_gt_i32_e32 vcc_lo, 32, v5
	s_waitcnt lgkmcnt(0)
	v_max_f32_e32 v4, v4, v4
	v_cndmask_b32_e32 v5, v0, v5, vcc_lo
	v_max_f32_e32 v3, v3, v4
	v_lshlrev_b32_e32 v46, 2, v5
	v_xor_b32_e32 v5, 1, v0
	ds_bpermute_b32 v4, v37, v3
	v_cmp_gt_i32_e32 vcc_lo, 32, v5
	v_cndmask_b32_e32 v5, v0, v5, vcc_lo
	v_lshlrev_b32_e32 v53, 2, v5
	s_waitcnt lgkmcnt(0)
	v_max_f32_e32 v4, v4, v4
	v_max_f32_e32 v3, v3, v4
	ds_bpermute_b32 v4, v46, v3
	s_waitcnt lgkmcnt(0)
	v_max_f32_e32 v4, v4, v4
	v_max_f32_e32 v0, v3, v4
	buffer_load_dword v4, off, s[48:51], 0 offset:188 ; 4-byte Folded Reload
	ds_bpermute_b32 v3, v53, v0
	s_waitcnt vmcnt(0)
	v_cmp_eq_u32_e32 vcc_lo, 0, v4
	v_lshlrev_b32_e32 v4, 2, v123
	s_and_saveexec_b32 s1, vcc_lo
	s_cbranch_execz .LBB50_19
; %bb.18:
	s_waitcnt lgkmcnt(0)
	v_max_f32_e32 v3, v3, v3
	v_max_f32_e32 v0, v0, v0
	;; [unrolled: 1-line block ×3, first 2 shown]
	ds_write_b32 v4, v0 offset:480
.LBB50_19:
	s_or_b32 exec_lo, exec_lo, s1
	buffer_load_dword v0, off, s[48:51], 0 offset:188 ; 4-byte Folded Reload
	s_waitcnt vmcnt(0) lgkmcnt(0)
	s_waitcnt_vscnt null, 0x0
	s_barrier
	buffer_gl0_inv
	v_cmp_gt_u32_e64 s1, 4, v0
	v_mov_b32_e32 v0, 0xff7fffff
	s_and_saveexec_b32 s2, s1
; %bb.20:
	ds_read_b32 v0, v10 offset:480
; %bb.21:
	s_or_b32 exec_lo, exec_lo, s2
	s_waitcnt lgkmcnt(0)
	ds_bpermute_b32 v3, v46, v0
	v_max_f32_e32 v0, v0, v0
	v_mov_b32_e32 v5, 0
	s_sub_i32 s2, s16, s40
	s_lshl_b32 s2, s2, 5
	s_add_i32 s2, s2, s37
	s_min_i32 s2, s2, s27
	s_sub_i32 s4, s2, s37
	v_cmp_gt_i32_e64 s2, s4, v54
	s_waitcnt lgkmcnt(0)
	v_max_f32_e32 v3, v3, v3
	v_max_f32_e32 v0, v0, v3
	ds_bpermute_b32 v3, v53, v0
	s_waitcnt lgkmcnt(0)
	v_max_f32_e32 v3, v3, v3
	v_max_f32_e32 v0, v0, v3
	v_lshl_add_u32 v3, v54, 2, 0x200
	ds_bpermute_b32 v0, v5, v0
	s_and_saveexec_b32 s5, s2
	s_cbranch_execz .LBB50_25
; %bb.22:
	v_lshl_add_u32 v6, v54, 2, 0x200
	v_mov_b32_e32 v5, 0
	v_mov_b32_e32 v7, v54
	s_mov_b32 s15, 0
	.p2align	6
.LBB50_23:                              ; =>This Inner Loop Header: Depth=1
	ds_read_b32 v8, v6
	v_add_nc_u32_e32 v7, 0x80, v7
	v_cmp_le_i32_e64 s3, s4, v7
	s_or_b32 s15, s3, s15
	s_waitcnt lgkmcnt(0)
	v_sub_f32_e32 v8, v8, v0
	v_mul_f32_e32 v8, 0x3fb8aa3b, v8
	v_exp_f32_e32 v8, v8
	ds_write_b32 v6, v8
	v_add_f32_e32 v5, v5, v8
	v_add_nc_u32_e32 v6, 0x200, v6
	s_andn2_b32 exec_lo, exec_lo, s15
	s_cbranch_execnz .LBB50_23
; %bb.24:
	s_or_b32 exec_lo, exec_lo, s15
.LBB50_25:
	s_or_b32 exec_lo, exec_lo, s5
	ds_bpermute_b32 v1, v1, v5
	s_waitcnt lgkmcnt(0)
	v_add_f32_e32 v1, v5, v1
	ds_bpermute_b32 v2, v2, v1
	s_waitcnt lgkmcnt(0)
	v_add_f32_e32 v1, v1, v2
	;; [unrolled: 3-line block ×5, first 2 shown]
	s_and_saveexec_b32 s3, vcc_lo
; %bb.26:
	ds_write_b32 v4, v1 offset:496
; %bb.27:
	s_or_b32 exec_lo, exec_lo, s3
	s_waitcnt lgkmcnt(0)
	s_barrier
	buffer_gl0_inv
	s_and_saveexec_b32 s3, s1
; %bb.28:
	ds_read_b32 v1, v10 offset:496
; %bb.29:
	s_or_b32 exec_lo, exec_lo, s3
	s_waitcnt lgkmcnt(0)
	ds_bpermute_b32 v2, v46, v1
	s_waitcnt lgkmcnt(0)
	v_add_f32_e32 v1, v1, v2
	ds_bpermute_b32 v2, v53, v1
	s_waitcnt lgkmcnt(0)
	v_add_f32_e32 v1, v1, v2
	v_mov_b32_e32 v2, 0
	ds_bpermute_b32 v1, v2, v1
	s_and_saveexec_b32 s1, s2
	s_cbranch_execz .LBB50_32
; %bb.30:
	s_waitcnt lgkmcnt(0)
	v_add_f32_e32 v2, 0x358637bd, v1
	s_mov_b32 s2, 0
	v_div_scale_f32 v4, null, v2, v2, 1.0
	v_div_scale_f32 v7, vcc_lo, 1.0, v2, 1.0
	v_rcp_f32_e32 v5, v4
	v_fma_f32 v6, -v4, v5, 1.0
	v_fmac_f32_e32 v5, v6, v5
	v_mul_f32_e32 v6, v7, v5
	v_fma_f32 v8, -v4, v6, v7
	v_fmac_f32_e32 v6, v8, v5
	v_fma_f32 v4, -v4, v6, v7
	v_div_fmas_f32 v4, v4, v5, v6
	v_div_fixup_f32 v2, v4, v2, 1.0
	v_mov_b32_e32 v4, v54
.LBB50_31:                              ; =>This Inner Loop Header: Depth=1
	ds_read_b32 v5, v3
	v_add_nc_u32_e32 v4, 0x80, v4
	v_cmp_le_i32_e32 vcc_lo, s4, v4
	s_or_b32 s2, vcc_lo, s2
	s_waitcnt lgkmcnt(0)
	v_mul_f32_e32 v5, v2, v5
	ds_write_b32 v3, v5
	v_add_nc_u32_e32 v3, 0x200, v3
	s_andn2_b32 exec_lo, exec_lo, s2
	s_cbranch_execnz .LBB50_31
.LBB50_32:
	s_or_b32 exec_lo, exec_lo, s1
	s_mul_i32 s1, s7, s26
	s_waitcnt lgkmcnt(0)
	s_mul_i32 s2, s1, s9
	s_mov_b32 s1, exec_lo
	s_barrier
	buffer_gl0_inv
	v_cmpx_eq_u32_e32 0, v54
	s_cbranch_execz .LBB50_34
; %bb.33:
	s_ashr_i32 s3, s2, 31
	s_mul_i32 s40, s7, s6
	s_lshl_b64 s[4:5], s[2:3], 2
	v_mov_b32_e32 v2, 0
	s_add_u32 s3, s22, s4
	s_addc_u32 s6, s23, s5
	s_ashr_i32 s41, s40, 31
	s_lshl_b64 s[22:23], s[40:41], 2
	s_add_u32 s3, s3, s22
	s_addc_u32 s6, s6, s23
	s_ashr_i32 s9, s8, 31
	s_lshl_b64 s[40:41], s[8:9], 2
	s_add_u32 s42, s3, s40
	s_addc_u32 s43, s6, s41
	s_add_u32 s3, s20, s4
	s_addc_u32 s4, s21, s5
	;; [unrolled: 2-line block ×4, first 2 shown]
	global_store_dword v2, v0, s[42:43]
	global_store_dword v2, v1, s[4:5]
.LBB50_34:
	s_or_b32 exec_lo, exec_lo, s1
	v_mov_b32_e32 v20, 0
	v_and_b32_e32 v55, 7, v54
	v_mov_b32_e32 v22, 0
	v_mov_b32_e32 v17, 0
	v_mov_b32_e32 v19, 0
	v_mov_b32_e32 v18, 0
	v_mov_b32_e32 v16, 0
	v_mov_b32_e32 v6, 0
	v_mov_b32_e32 v7, 0
	v_mov_b32_e32 v8, 0
	v_mov_b32_e32 v21, 0
	v_mov_b32_e32 v31, 0
	v_mov_b32_e32 v30, 0
	v_mov_b32_e32 v29, 0
	v_mov_b32_e32 v27, 0
	v_mov_b32_e32 v28, 0
	v_mov_b32_e32 v36, 0
	v_mov_b32_e32 v34, 0
	v_mov_b32_e32 v32, 0
	v_mov_b32_e32 v33, 0
	v_mov_b32_e32 v35, 0
	v_mov_b32_e32 v38, 0
	v_mov_b32_e32 v39, 0
	v_mov_b32_e32 v40, 0
	v_mov_b32_e32 v44, 0
	v_mov_b32_e32 v43, 0
	v_mov_b32_e32 v41, 0
	v_mov_b32_e32 v42, 0
	v_mov_b32_e32 v45, 0
	v_mov_b32_e32 v48, 0
	v_mov_b32_e32 v47, 0
	s_and_saveexec_b32 s1, s0
	s_cbranch_execz .LBB50_100
; %bb.35:
	buffer_store_dword v37, off, s[48:51], 0 offset:220 ; 4-byte Folded Spill
	buffer_store_dword v46, off, s[48:51], 0 offset:216 ; 4-byte Folded Spill
	;; [unrolled: 1-line block ×3, first 2 shown]
	s_clause 0x1
	buffer_load_dword v1, off, s[48:51], 0
	buffer_load_dword v2, off, s[48:51], 0 offset:4
	s_ashr_i32 s15, s14, 31
	s_sub_i32 s3, s38, s17
	s_lshl_b64 s[4:5], s[14:15], 2
	v_lshlrev_b32_e32 v0, 2, v54
	s_add_u32 s0, s34, s4
	s_addc_u32 s6, s35, s5
	s_abs_i32 s4, s18
	v_and_b32_e32 v4, 0x1f0, v9
	v_cvt_f32_u32_e32 v3, s4
	v_and_b32_e32 v0, 28, v0
	s_sub_i32 s5, 0, s4
	s_lshl_b64 s[14:15], s[30:31], 2
	v_add_co_u32 v4, s0, s0, v4
	v_rcp_iflag_f32_e32 v3, v3
	buffer_store_dword v0, off, s[48:51], 0 offset:192 ; 4-byte Folded Spill
	v_mov_b32_e32 v6, 0
	buffer_store_dword v4, off, s[48:51], 0 offset:196 ; 4-byte Folded Spill
	v_add_co_ci_u32_e64 v4, null, s6, 0, s0
	v_lshlrev_b32_e32 v5, 4, v55
	buffer_store_dword v6, off, s[48:51], 0 offset:28 ; 4-byte Folded Spill
	v_mov_b32_e32 v6, 0
	buffer_store_dword v4, off, s[48:51], 0 offset:200 ; 4-byte Folded Spill
	v_mul_f32_e32 v3, 0x4f7ffffe, v3
	v_lshl_or_b32 v5, v123, 7, v5
	v_mov_b32_e32 v47, 0
	buffer_store_dword v6, off, s[48:51], 0 offset:32 ; 4-byte Folded Spill
	v_mov_b32_e32 v6, 0
	v_cvt_u32_f32_e32 v3, v3
	v_mov_b32_e32 v8, 0
	v_mov_b32_e32 v7, 0
	;; [unrolled: 1-line block ×3, first 2 shown]
	buffer_store_dword v6, off, s[48:51], 0 offset:48 ; 4-byte Folded Spill
	v_mul_lo_u32 v0, s5, v3
	s_add_i32 s5, s36, -1
	s_add_u32 s0, s28, s14
	v_mov_b32_e32 v6, 0
	s_addc_u32 s6, s29, s15
	v_mov_b32_e32 v19, 0
	v_mov_b32_e32 v17, 0
	;; [unrolled: 1-line block ×3, first 2 shown]
	v_mul_hi_u32 v4, v3, v0
	buffer_store_dword v6, off, s[48:51], 0 offset:64 ; 4-byte Folded Spill
	v_mov_b32_e32 v6, 0
	v_add_nc_u32_e32 v0, 0x200, v5
	v_mov_b32_e32 v20, 0
	s_mov_b32 s9, s13
	buffer_store_dword v55, off, s[48:51], 0 offset:224 ; 4-byte Folded Spill
	buffer_store_dword v6, off, s[48:51], 0 offset:80 ; 4-byte Folded Spill
	v_mov_b32_e32 v6, 0
	buffer_store_dword v6, off, s[48:51], 0 offset:84 ; 4-byte Folded Spill
	v_mov_b32_e32 v6, 0
	;; [unrolled: 2-line block ×11, first 2 shown]
	s_waitcnt vmcnt(0)
	v_lshlrev_b64 v[1:2], 2, v[1:2]
	v_add_co_u32 v126, vcc_lo, s0, v1
	v_add_nc_u32_e32 v1, v3, v4
	v_add_co_ci_u32_e64 v127, null, s6, v2, vcc_lo
	s_mov_b32 s6, 0
	buffer_store_dword v1, off, s[48:51], 0 offset:148 ; 4-byte Folded Spill
	v_mov_b32_e32 v1, 0
	buffer_store_dword v1, off, s[48:51], 0 offset:124 ; 4-byte Folded Spill
	v_mov_b32_e32 v1, 0
	;; [unrolled: 2-line block ×6, first 2 shown]
	buffer_store_dword v1, off, s[48:51], 0 offset:144 ; 4-byte Folded Spill
	buffer_load_dword v1, off, s[48:51], 0 offset:8 ; 4-byte Folded Reload
	s_branch .LBB50_38
.LBB50_36:                              ;   in Loop: Header=BB50_38 Depth=1
	s_or_b32 exec_lo, exec_lo, s0
	s_waitcnt vmcnt(5) lgkmcnt(0)
	v_mul_f32_e32 v105, v1, v105
	v_mul_f32_e32 v9, v1, v9
	s_waitcnt vmcnt(4)
	v_mul_f32_e32 v8, v1, v109
	s_waitcnt vmcnt(1)
	v_mul_f32_e32 v5, v1, v121
	v_mul_f32_e32 v45, v1, v45
	v_fmac_f32_e32 v105, v2, v106
	v_fmac_f32_e32 v9, v2, v10
	v_mul_f32_e32 v6, v1, v117
	v_fmac_f32_e32 v5, v2, v122
	v_fmac_f32_e32 v45, v2, v46
	;; [unrolled: 1-line block ×8, first 2 shown]
	s_clause 0x5
	buffer_load_dword v106, off, s[48:51], 0 offset:12
	buffer_load_dword v107, off, s[48:51], 0 offset:16
	;; [unrolled: 1-line block ×6, first 2 shown]
	v_fmac_f32_e32 v5, v4, v124
	v_fmac_f32_e32 v6, v3, v119
	v_mul_f32_e32 v17, v1, v17
	v_mul_f32_e32 v7, v1, v113
	v_fmac_f32_e32 v8, v2, v110
	v_mul_f32_e32 v101, v1, v101
	v_fmac_f32_e32 v6, v4, v120
	v_fmac_f32_e32 v17, v2, v18
	;; [unrolled: 1-line block ×5, first 2 shown]
	v_mul_f32_e32 v97, v1, v97
	v_fmac_f32_e32 v17, v3, v19
	v_fmac_f32_e32 v7, v3, v115
	;; [unrolled: 1-line block ×7, first 2 shown]
	v_mul_f32_e32 v93, v1, v93
	v_fmac_f32_e32 v101, v4, v104
	v_fmac_f32_e32 v97, v3, v99
	v_mul_f32_e32 v89, v1, v89
	v_mul_f32_e32 v21, v1, v21
	v_fmac_f32_e32 v93, v2, v94
	v_mul_f32_e32 v85, v1, v85
	v_fmac_f32_e32 v97, v4, v100
	v_fmac_f32_e32 v89, v2, v90
	;; [unrolled: 1-line block ×5, first 2 shown]
	v_mul_f32_e32 v77, v1, v77
	v_fmac_f32_e32 v89, v3, v91
	v_mul_f32_e32 v73, v1, v73
	v_fmac_f32_e32 v93, v4, v96
	v_fmac_f32_e32 v85, v3, v87
	;; [unrolled: 1-line block ×5, first 2 shown]
	v_mul_f32_e32 v69, v1, v69
	v_fmac_f32_e32 v85, v4, v88
	v_fmac_f32_e32 v77, v3, v79
	v_mul_f32_e32 v65, v1, v65
	v_fmac_f32_e32 v73, v3, v75
	v_fmac_f32_e32 v69, v2, v70
	;; [unrolled: 3-line block ×3, first 2 shown]
	v_fmac_f32_e32 v73, v4, v76
	v_fmac_f32_e32 v69, v3, v71
	;; [unrolled: 1-line block ×3, first 2 shown]
	v_mul_f32_e32 v57, v1, v57
	v_fmac_f32_e32 v65, v3, v67
	v_mul_f32_e32 v53, v1, v53
	v_fmac_f32_e32 v69, v4, v72
	v_fmac_f32_e32 v61, v3, v63
	;; [unrolled: 1-line block ×5, first 2 shown]
	v_mul_f32_e32 v49, v1, v49
	v_fmac_f32_e32 v61, v4, v64
	v_fmac_f32_e32 v57, v3, v59
	v_fmac_f32_e32 v45, v4, v48
	v_fmac_f32_e32 v53, v3, v55
	v_fmac_f32_e32 v49, v2, v50
	v_mul_f32_e32 v41, v1, v41
	v_fmac_f32_e32 v57, v4, v60
	v_mul_f32_e32 v37, v1, v37
	v_fmac_f32_e32 v53, v4, v56
	v_fmac_f32_e32 v49, v3, v51
	;; [unrolled: 1-line block ×3, first 2 shown]
	v_mul_f32_e32 v33, v1, v33
	v_mul_f32_e32 v29, v1, v29
	;; [unrolled: 1-line block ×3, first 2 shown]
	v_fmac_f32_e32 v49, v4, v52
	v_fmac_f32_e32 v41, v3, v43
	v_mul_f32_e32 v13, v1, v13
	v_fmac_f32_e32 v37, v2, v38
	v_fmac_f32_e32 v33, v2, v34
	;; [unrolled: 1-line block ×19, first 2 shown]
	s_clause 0x3
	buffer_load_dword v18, off, s[48:51], 0 offset:168
	buffer_load_dword v19, off, s[48:51], 0 offset:172
	;; [unrolled: 1-line block ×4, first 2 shown]
	s_waitcnt vmcnt(9)
	v_mul_f32_e32 v10, v1, v106
	v_mul_f32_e32 v1, v1, v81
	s_waitcnt vmcnt(5)
	v_add_f32_e32 v11, v11, v5
	buffer_load_dword v5, off, s[48:51], 0 offset:32 ; 4-byte Folded Reload
	v_fmac_f32_e32 v10, v2, v107
	v_fmac_f32_e32 v1, v2, v82
	buffer_store_dword v11, off, s[48:51], 0 offset:28 ; 4-byte Folded Spill
	v_fmac_f32_e32 v10, v3, v108
	v_fmac_f32_e32 v1, v3, v83
	;; [unrolled: 1-line block ×4, first 2 shown]
	s_waitcnt vmcnt(5)
	v_add_f32_e32 v47, v47, v1
	s_waitcnt vmcnt(4)
	v_add_f32_e32 v18, v18, v21
	;; [unrolled: 2-line block ×3, first 2 shown]
	buffer_load_dword v17, off, s[48:51], 0 offset:176 ; 4-byte Folded Reload
	s_waitcnt vmcnt(3)
	v_add_f32_e32 v20, v20, v10
	s_waitcnt vmcnt(2)
	v_add_f32_e32 v22, v22, v9
	;; [unrolled: 2-line block ×3, first 2 shown]
	buffer_load_dword v6, off, s[48:51], 0 offset:164 ; 4-byte Folded Reload
	buffer_store_dword v5, off, s[48:51], 0 offset:32 ; 4-byte Folded Spill
	buffer_load_dword v5, off, s[48:51], 0 offset:48 ; 4-byte Folded Reload
	s_waitcnt vmcnt(2)
	v_add_f32_e32 v17, v17, v13
	s_waitcnt vmcnt(1)
	v_add_f32_e32 v6, v6, v29
	;; [unrolled: 2-line block ×3, first 2 shown]
	buffer_load_dword v7, off, s[48:51], 0 offset:160 ; 4-byte Folded Reload
	buffer_store_dword v5, off, s[48:51], 0 offset:48 ; 4-byte Folded Spill
	buffer_load_dword v5, off, s[48:51], 0 offset:64 ; 4-byte Folded Reload
	s_waitcnt vmcnt(1)
	v_add_f32_e32 v7, v7, v33
	s_waitcnt vmcnt(0)
	v_add_f32_e32 v5, v5, v8
	buffer_load_dword v8, off, s[48:51], 0 offset:156 ; 4-byte Folded Reload
	buffer_store_dword v5, off, s[48:51], 0 offset:64 ; 4-byte Folded Spill
	buffer_load_dword v5, off, s[48:51], 0 offset:80 ; 4-byte Folded Reload
	s_waitcnt vmcnt(1)
	v_add_f32_e32 v8, v8, v37
	s_waitcnt vmcnt(0)
	v_add_f32_e32 v5, v5, v105
	buffer_store_dword v5, off, s[48:51], 0 offset:80 ; 4-byte Folded Spill
	buffer_load_dword v5, off, s[48:51], 0 offset:84 ; 4-byte Folded Reload
	s_waitcnt vmcnt(0)
	v_add_f32_e32 v5, v5, v101
	buffer_store_dword v5, off, s[48:51], 0 offset:84 ; 4-byte Folded Spill
	buffer_load_dword v5, off, s[48:51], 0 offset:88 ; 4-byte Folded Reload
	;; [unrolled: 4-line block ×16, first 2 shown]
	s_waitcnt vmcnt(0)
	v_add_f32_e32 v5, v5, v25
	buffer_store_dword v5, off, s[48:51], 0 offset:144 ; 4-byte Folded Spill
.LBB50_37:                              ;   in Loop: Header=BB50_38 Depth=1
	s_or_b32 exec_lo, exec_lo, s13
	s_clause 0x1
	buffer_load_dword v1, off, s[48:51], 0
	buffer_load_dword v2, off, s[48:51], 0 offset:4
	v_add_co_u32 v126, s0, v126, 16
	v_add_co_ci_u32_e64 v127, null, 0, v127, s0
	v_add_nc_u32_e32 v0, 0x200, v0
	s_waitcnt vmcnt(0)
	v_mov_b32_e32 v2, v1
	v_add_nc_u32_e32 v2, 4, v2
	v_mov_b32_e32 v1, v2
	buffer_store_dword v1, off, s[48:51], 0 ; 4-byte Folded Spill
	buffer_store_dword v2, off, s[48:51], 0 offset:4 ; 4-byte Folded Spill
	buffer_load_dword v1, off, s[48:51], 0 offset:8 ; 4-byte Folded Reload
	v_cmp_le_i32_e32 vcc_lo, s16, v2
	s_waitcnt vmcnt(0)
	v_add_nc_u32_e32 v1, 0x80, v1
	s_or_b32 s6, vcc_lo, s6
	s_andn2_b32 exec_lo, exec_lo, s6
	s_cbranch_execz .LBB50_99
.LBB50_38:                              ; =>This Inner Loop Header: Depth=1
	s_waitcnt vmcnt(0)
	v_mov_b32_e32 v5, v1
	v_sub_nc_u32_e32 v1, 0, v5
	buffer_store_dword v5, off, s[48:51], 0 offset:8 ; 4-byte Folded Spill
	v_max_i32_e32 v1, v5, v1
	v_mul_hi_u32 v2, v1, s12
	v_mul_lo_u32 v3, v2, s11
	v_sub_nc_u32_e32 v1, v1, v3
	v_add_nc_u32_e32 v3, 1, v2
	v_subrev_nc_u32_e32 v4, s11, v1
	v_cmp_le_u32_e32 vcc_lo, s11, v1
	v_cndmask_b32_e32 v2, v2, v3, vcc_lo
	v_cndmask_b32_e32 v1, v1, v4, vcc_lo
	v_ashrrev_i32_e32 v3, 31, v5
	v_add_nc_u32_e32 v4, 1, v2
	v_cmp_le_u32_e32 vcc_lo, s11, v1
	v_xor_b32_e32 v3, s19, v3
	v_cndmask_b32_e32 v1, v2, v4, vcc_lo
	buffer_load_dword v4, off, s[48:51], 0 offset:148 ; 4-byte Folded Reload
	v_xor_b32_e32 v1, v1, v3
	v_sub_nc_u32_e32 v1, v1, v3
	v_add_nc_u32_e32 v2, s33, v1
	v_cmp_lt_i32_e64 s0, s3, v1
	v_sub_nc_u32_e32 v3, 0, v2
	v_max_i32_e32 v3, v2, v3
	v_ashrrev_i32_e32 v2, 31, v2
	s_waitcnt vmcnt(0)
	v_mul_hi_u32 v4, v3, v4
	v_mul_lo_u32 v4, v4, s4
	v_sub_nc_u32_e32 v3, v3, v4
	v_subrev_nc_u32_e32 v4, s4, v3
	v_cmp_le_u32_e32 vcc_lo, s4, v3
	v_cndmask_b32_e32 v3, v3, v4, vcc_lo
	v_subrev_nc_u32_e32 v4, s4, v3
	v_cmp_le_u32_e32 vcc_lo, s4, v3
	v_cndmask_b32_e32 v3, v3, v4, vcc_lo
	v_xor_b32_e32 v3, v3, v2
	v_sub_nc_u32_e32 v2, v3, v2
	v_cmp_eq_u32_e32 vcc_lo, 0, v2
	s_or_b32 s0, vcc_lo, s0
	s_and_saveexec_b32 s13, s0
	s_cbranch_execz .LBB50_37
; %bb.39:                               ;   in Loop: Header=BB50_38 Depth=1
	buffer_store_dword v22, off, s[48:51], 0 offset:184 ; 4-byte Folded Spill
	buffer_store_dword v20, off, s[48:51], 0 offset:180 ; 4-byte Folded Spill
	buffer_store_dword v17, off, s[48:51], 0 offset:176 ; 4-byte Folded Spill
	buffer_store_dword v19, off, s[48:51], 0 offset:172 ; 4-byte Folded Spill
	buffer_store_dword v18, off, s[48:51], 0 offset:168 ; 4-byte Folded Spill
	buffer_store_dword v6, off, s[48:51], 0 offset:164 ; 4-byte Folded Spill
	buffer_store_dword v7, off, s[48:51], 0 offset:160 ; 4-byte Folded Spill
	buffer_store_dword v47, off, s[48:51], 0 offset:152 ; 4-byte Folded Spill
	global_load_dword v1, v[126:127], off
	buffer_load_dword v3, off, s[48:51], 0 offset:196 ; 4-byte Folded Reload
	s_waitcnt vmcnt(1)
	v_mad_i64_i32 v[1:2], null, v1, s9, 0
	v_lshlrev_b64 v[1:2], 2, v[1:2]
	s_waitcnt vmcnt(0)
	v_add_co_u32 v81, vcc_lo, v3, v1
	buffer_load_dword v1, off, s[48:51], 0 offset:200 ; 4-byte Folded Reload
	s_waitcnt vmcnt(0)
	v_add_co_ci_u32_e64 v82, null, v1, v2, vcc_lo
	global_load_dwordx4 v[1:4], v[81:82], off
	s_waitcnt vmcnt(0)
	buffer_store_dword v1, off, s[48:51], 0 offset:12 ; 4-byte Folded Spill
	buffer_store_dword v2, off, s[48:51], 0 offset:16 ; 4-byte Folded Spill
	;; [unrolled: 1-line block ×4, first 2 shown]
	ds_read_b128 v[1:4], v0
	s_clause 0x1
	buffer_load_dword v5, off, s[48:51], 0 offset:8
	buffer_load_dword v6, off, s[48:51], 0 offset:192
	s_waitcnt vmcnt(0)
	v_add_nc_u32_e32 v5, v6, v5
	s_clause 0x1
	buffer_load_dword v6, off, s[48:51], 0
	buffer_load_dword v7, off, s[48:51], 0 offset:4
	s_waitcnt vmcnt(0)
	v_add_nc_u32_e32 v7, 1, v5
	v_add_nc_u32_e32 v125, 3, v5
	v_cmp_eq_u32_e32 vcc_lo, s5, v6
	v_add_nc_u32_e32 v6, 2, v5
	s_and_saveexec_b32 s14, vcc_lo
	s_cbranch_execnz .LBB50_78
; %bb.40:                               ;   in Loop: Header=BB50_38 Depth=1
	s_or_b32 exec_lo, exec_lo, s14
	global_load_dwordx4 v[9:12], v[81:82], off offset:512
	s_and_saveexec_b32 s14, vcc_lo
	s_cbranch_execnz .LBB50_79
.LBB50_41:                              ;   in Loop: Header=BB50_38 Depth=1
	s_or_b32 exec_lo, exec_lo, s14
	global_load_dwordx4 v[13:16], v[81:82], off offset:1024
	s_and_saveexec_b32 s14, vcc_lo
	s_cbranch_execnz .LBB50_80
.LBB50_42:                              ;   in Loop: Header=BB50_38 Depth=1
	s_or_b32 exec_lo, exec_lo, s14
	global_load_dwordx4 v[17:20], v[81:82], off offset:1536
	s_and_saveexec_b32 s14, vcc_lo
	s_cbranch_execz .LBB50_44
.LBB50_43:                              ;   in Loop: Header=BB50_38 Depth=1
	v_cmp_gt_i32_e64 s0, s27, v5
	s_waitcnt vmcnt(0)
	v_cndmask_b32_e64 v17, 0, v17, s0
	v_cmp_gt_i32_e64 s0, s27, v7
	v_cndmask_b32_e64 v18, 0, v18, s0
	v_cmp_gt_i32_e64 s0, s27, v6
	;; [unrolled: 2-line block ×3, first 2 shown]
	v_cndmask_b32_e64 v20, 0, v20, s0
.LBB50_44:                              ;   in Loop: Header=BB50_38 Depth=1
	s_or_b32 exec_lo, exec_lo, s14
	v_add_co_u32 v33, s0, 0x800, v81
	v_add_co_ci_u32_e64 v34, null, 0, v82, s0
	global_load_dwordx4 v[21:24], v[33:34], off
	s_and_saveexec_b32 s14, vcc_lo
	s_cbranch_execnz .LBB50_81
; %bb.45:                               ;   in Loop: Header=BB50_38 Depth=1
	s_or_b32 exec_lo, exec_lo, s14
	global_load_dwordx4 v[25:28], v[33:34], off offset:512
	s_and_saveexec_b32 s14, vcc_lo
	s_cbranch_execnz .LBB50_82
.LBB50_46:                              ;   in Loop: Header=BB50_38 Depth=1
	s_or_b32 exec_lo, exec_lo, s14
	global_load_dwordx4 v[29:32], v[33:34], off offset:1024
	s_and_saveexec_b32 s14, vcc_lo
	s_cbranch_execnz .LBB50_83
.LBB50_47:                              ;   in Loop: Header=BB50_38 Depth=1
	s_or_b32 exec_lo, exec_lo, s14
	global_load_dwordx4 v[33:36], v[33:34], off offset:1536
	s_and_saveexec_b32 s14, vcc_lo
	s_cbranch_execz .LBB50_49
.LBB50_48:                              ;   in Loop: Header=BB50_38 Depth=1
	v_cmp_gt_i32_e64 s0, s27, v5
	s_waitcnt vmcnt(0)
	v_cndmask_b32_e64 v33, 0, v33, s0
	v_cmp_gt_i32_e64 s0, s27, v7
	v_cndmask_b32_e64 v34, 0, v34, s0
	v_cmp_gt_i32_e64 s0, s27, v6
	v_cndmask_b32_e64 v35, 0, v35, s0
	v_cmp_gt_i32_e64 s0, s27, v125
	v_cndmask_b32_e64 v36, 0, v36, s0
.LBB50_49:                              ;   in Loop: Header=BB50_38 Depth=1
	s_or_b32 exec_lo, exec_lo, s14
	v_add_co_u32 v49, s0, 0x1000, v81
	v_add_co_ci_u32_e64 v50, null, 0, v82, s0
	global_load_dwordx4 v[37:40], v[49:50], off
	s_and_saveexec_b32 s14, vcc_lo
	s_cbranch_execnz .LBB50_84
; %bb.50:                               ;   in Loop: Header=BB50_38 Depth=1
	s_or_b32 exec_lo, exec_lo, s14
	global_load_dwordx4 v[41:44], v[49:50], off offset:512
	s_and_saveexec_b32 s14, vcc_lo
	s_cbranch_execnz .LBB50_85
.LBB50_51:                              ;   in Loop: Header=BB50_38 Depth=1
	s_or_b32 exec_lo, exec_lo, s14
	global_load_dwordx4 v[45:48], v[49:50], off offset:1024
	s_and_saveexec_b32 s14, vcc_lo
	s_cbranch_execnz .LBB50_86
.LBB50_52:                              ;   in Loop: Header=BB50_38 Depth=1
	s_or_b32 exec_lo, exec_lo, s14
	global_load_dwordx4 v[49:52], v[49:50], off offset:1536
	s_and_saveexec_b32 s14, vcc_lo
	s_cbranch_execz .LBB50_54
.LBB50_53:                              ;   in Loop: Header=BB50_38 Depth=1
	v_cmp_gt_i32_e64 s0, s27, v5
	s_waitcnt vmcnt(0)
	v_cndmask_b32_e64 v49, 0, v49, s0
	v_cmp_gt_i32_e64 s0, s27, v7
	v_cndmask_b32_e64 v50, 0, v50, s0
	v_cmp_gt_i32_e64 s0, s27, v6
	;; [unrolled: 2-line block ×3, first 2 shown]
	v_cndmask_b32_e64 v52, 0, v52, s0
.LBB50_54:                              ;   in Loop: Header=BB50_38 Depth=1
	s_or_b32 exec_lo, exec_lo, s14
	v_add_co_u32 v65, s0, 0x1800, v81
	v_add_co_ci_u32_e64 v66, null, 0, v82, s0
	global_load_dwordx4 v[53:56], v[65:66], off
	s_and_saveexec_b32 s14, vcc_lo
	s_cbranch_execnz .LBB50_87
; %bb.55:                               ;   in Loop: Header=BB50_38 Depth=1
	s_or_b32 exec_lo, exec_lo, s14
	global_load_dwordx4 v[57:60], v[65:66], off offset:512
	s_and_saveexec_b32 s14, vcc_lo
	s_cbranch_execnz .LBB50_88
.LBB50_56:                              ;   in Loop: Header=BB50_38 Depth=1
	s_or_b32 exec_lo, exec_lo, s14
	global_load_dwordx4 v[61:64], v[65:66], off offset:1024
	s_and_saveexec_b32 s14, vcc_lo
	s_cbranch_execnz .LBB50_89
.LBB50_57:                              ;   in Loop: Header=BB50_38 Depth=1
	s_or_b32 exec_lo, exec_lo, s14
	global_load_dwordx4 v[65:68], v[65:66], off offset:1536
	s_and_saveexec_b32 s14, vcc_lo
	s_cbranch_execz .LBB50_59
.LBB50_58:                              ;   in Loop: Header=BB50_38 Depth=1
	v_cmp_gt_i32_e64 s0, s27, v5
	s_waitcnt vmcnt(0)
	v_cndmask_b32_e64 v65, 0, v65, s0
	v_cmp_gt_i32_e64 s0, s27, v7
	v_cndmask_b32_e64 v66, 0, v66, s0
	v_cmp_gt_i32_e64 s0, s27, v6
	v_cndmask_b32_e64 v67, 0, v67, s0
	v_cmp_gt_i32_e64 s0, s27, v125
	v_cndmask_b32_e64 v68, 0, v68, s0
.LBB50_59:                              ;   in Loop: Header=BB50_38 Depth=1
	s_or_b32 exec_lo, exec_lo, s14
	v_add_co_u32 v83, s0, 0x2000, v81
	v_add_co_ci_u32_e64 v84, null, 0, v82, s0
	global_load_dwordx4 v[69:72], v[83:84], off
	s_and_saveexec_b32 s14, vcc_lo
	s_cbranch_execnz .LBB50_90
; %bb.60:                               ;   in Loop: Header=BB50_38 Depth=1
	s_or_b32 exec_lo, exec_lo, s14
	global_load_dwordx4 v[73:76], v[83:84], off offset:512
	s_and_saveexec_b32 s14, vcc_lo
	s_cbranch_execnz .LBB50_91
.LBB50_61:                              ;   in Loop: Header=BB50_38 Depth=1
	s_or_b32 exec_lo, exec_lo, s14
	global_load_dwordx4 v[77:80], v[83:84], off offset:1024
	s_and_saveexec_b32 s14, vcc_lo
	s_cbranch_execnz .LBB50_92
.LBB50_62:                              ;   in Loop: Header=BB50_38 Depth=1
	s_or_b32 exec_lo, exec_lo, s14
	global_load_dwordx4 v[85:88], v[83:84], off offset:1536
	s_and_saveexec_b32 s14, vcc_lo
	s_cbranch_execz .LBB50_64
.LBB50_63:                              ;   in Loop: Header=BB50_38 Depth=1
	v_cmp_gt_i32_e64 s0, s27, v5
	s_waitcnt vmcnt(0)
	v_cndmask_b32_e64 v85, 0, v85, s0
	v_cmp_gt_i32_e64 s0, s27, v7
	v_cndmask_b32_e64 v86, 0, v86, s0
	v_cmp_gt_i32_e64 s0, s27, v6
	;; [unrolled: 2-line block ×3, first 2 shown]
	v_cndmask_b32_e64 v88, 0, v88, s0
.LBB50_64:                              ;   in Loop: Header=BB50_38 Depth=1
	s_or_b32 exec_lo, exec_lo, s14
	v_add_co_u32 v83, s0, 0x2800, v81
	v_add_co_ci_u32_e64 v84, null, 0, v82, s0
	global_load_dwordx4 v[89:92], v[83:84], off
	s_and_saveexec_b32 s14, vcc_lo
	s_cbranch_execnz .LBB50_93
; %bb.65:                               ;   in Loop: Header=BB50_38 Depth=1
	s_or_b32 exec_lo, exec_lo, s14
	global_load_dwordx4 v[93:96], v[83:84], off offset:512
	s_and_saveexec_b32 s14, vcc_lo
	s_cbranch_execnz .LBB50_94
.LBB50_66:                              ;   in Loop: Header=BB50_38 Depth=1
	s_or_b32 exec_lo, exec_lo, s14
	global_load_dwordx4 v[97:100], v[83:84], off offset:1024
	s_and_saveexec_b32 s14, vcc_lo
	s_cbranch_execnz .LBB50_95
.LBB50_67:                              ;   in Loop: Header=BB50_38 Depth=1
	s_or_b32 exec_lo, exec_lo, s14
	global_load_dwordx4 v[101:104], v[83:84], off offset:1536
	s_and_saveexec_b32 s14, vcc_lo
	s_cbranch_execz .LBB50_69
.LBB50_68:                              ;   in Loop: Header=BB50_38 Depth=1
	v_cmp_gt_i32_e64 s0, s27, v5
	s_waitcnt vmcnt(0)
	v_cndmask_b32_e64 v101, 0, v101, s0
	v_cmp_gt_i32_e64 s0, s27, v7
	v_cndmask_b32_e64 v102, 0, v102, s0
	v_cmp_gt_i32_e64 s0, s27, v6
	;; [unrolled: 2-line block ×3, first 2 shown]
	v_cndmask_b32_e64 v104, 0, v104, s0
.LBB50_69:                              ;   in Loop: Header=BB50_38 Depth=1
	s_or_b32 exec_lo, exec_lo, s14
	v_add_co_u32 v83, s0, 0x3000, v81
	v_add_co_ci_u32_e64 v84, null, 0, v82, s0
	global_load_dwordx4 v[105:108], v[83:84], off
	s_and_saveexec_b32 s14, vcc_lo
	s_cbranch_execnz .LBB50_96
; %bb.70:                               ;   in Loop: Header=BB50_38 Depth=1
	s_or_b32 exec_lo, exec_lo, s14
	global_load_dwordx4 v[109:112], v[83:84], off offset:512
	s_and_saveexec_b32 s14, vcc_lo
	s_cbranch_execnz .LBB50_97
.LBB50_71:                              ;   in Loop: Header=BB50_38 Depth=1
	s_or_b32 exec_lo, exec_lo, s14
	global_load_dwordx4 v[113:116], v[83:84], off offset:1024
	s_and_saveexec_b32 s14, vcc_lo
	s_cbranch_execnz .LBB50_98
.LBB50_72:                              ;   in Loop: Header=BB50_38 Depth=1
	s_or_b32 exec_lo, exec_lo, s14
	global_load_dwordx4 v[117:120], v[83:84], off offset:1536
	s_and_saveexec_b32 s14, vcc_lo
	s_cbranch_execz .LBB50_74
.LBB50_73:                              ;   in Loop: Header=BB50_38 Depth=1
	v_cmp_gt_i32_e64 s0, s27, v5
	s_waitcnt vmcnt(0)
	v_cndmask_b32_e64 v117, 0, v117, s0
	v_cmp_gt_i32_e64 s0, s27, v7
	v_cndmask_b32_e64 v118, 0, v118, s0
	v_cmp_gt_i32_e64 s0, s27, v6
	v_cndmask_b32_e64 v119, 0, v119, s0
	v_cmp_gt_i32_e64 s0, s27, v125
	v_cndmask_b32_e64 v120, 0, v120, s0
.LBB50_74:                              ;   in Loop: Header=BB50_38 Depth=1
	s_or_b32 exec_lo, exec_lo, s14
	v_add_co_u32 v81, s0, 0x3800, v81
	v_add_co_ci_u32_e64 v82, null, 0, v82, s0
	global_load_dwordx4 v[121:124], v[81:82], off
	s_and_saveexec_b32 s14, vcc_lo
	s_cbranch_execz .LBB50_76
; %bb.75:                               ;   in Loop: Header=BB50_38 Depth=1
	v_cmp_gt_i32_e64 s0, s27, v5
	s_waitcnt vmcnt(0)
	v_cndmask_b32_e64 v121, 0, v121, s0
	v_cmp_gt_i32_e64 s0, s27, v7
	v_cndmask_b32_e64 v122, 0, v122, s0
	v_cmp_gt_i32_e64 s0, s27, v6
	;; [unrolled: 2-line block ×3, first 2 shown]
	v_cndmask_b32_e64 v124, 0, v124, s0
.LBB50_76:                              ;   in Loop: Header=BB50_38 Depth=1
	s_or_b32 exec_lo, exec_lo, s14
	global_load_dwordx4 v[81:84], v[81:82], off offset:512
	buffer_store_dword v8, off, s[48:51], 0 offset:156 ; 4-byte Folded Spill
	s_and_saveexec_b32 s0, vcc_lo
	s_cbranch_execz .LBB50_36
; %bb.77:                               ;   in Loop: Header=BB50_38 Depth=1
	v_cmp_gt_i32_e32 vcc_lo, s27, v5
	s_waitcnt vmcnt(0)
	v_cndmask_b32_e32 v81, 0, v81, vcc_lo
	v_cmp_gt_i32_e32 vcc_lo, s27, v7
	v_cndmask_b32_e32 v82, 0, v82, vcc_lo
	v_cmp_gt_i32_e32 vcc_lo, s27, v6
	;; [unrolled: 2-line block ×3, first 2 shown]
	v_cndmask_b32_e32 v84, 0, v84, vcc_lo
	s_branch .LBB50_36
.LBB50_78:                              ;   in Loop: Header=BB50_38 Depth=1
	s_clause 0x3
	buffer_load_dword v9, off, s[48:51], 0 offset:12
	buffer_load_dword v10, off, s[48:51], 0 offset:16
	;; [unrolled: 1-line block ×4, first 2 shown]
	v_cmp_gt_i32_e64 s0, s27, v5
	s_waitcnt vmcnt(3)
	v_cndmask_b32_e64 v9, 0, v9, s0
	v_cmp_gt_i32_e64 s0, s27, v7
	s_waitcnt vmcnt(2)
	v_cndmask_b32_e64 v10, 0, v10, s0
	;; [unrolled: 3-line block ×4, first 2 shown]
	buffer_store_dword v9, off, s[48:51], 0 offset:12 ; 4-byte Folded Spill
	buffer_store_dword v10, off, s[48:51], 0 offset:16 ; 4-byte Folded Spill
	;; [unrolled: 1-line block ×4, first 2 shown]
	s_or_b32 exec_lo, exec_lo, s14
	global_load_dwordx4 v[9:12], v[81:82], off offset:512
	s_and_saveexec_b32 s14, vcc_lo
	s_cbranch_execz .LBB50_41
.LBB50_79:                              ;   in Loop: Header=BB50_38 Depth=1
	v_cmp_gt_i32_e64 s0, s27, v5
	s_waitcnt vmcnt(0)
	v_cndmask_b32_e64 v9, 0, v9, s0
	v_cmp_gt_i32_e64 s0, s27, v7
	v_cndmask_b32_e64 v10, 0, v10, s0
	v_cmp_gt_i32_e64 s0, s27, v6
	;; [unrolled: 2-line block ×3, first 2 shown]
	v_cndmask_b32_e64 v12, 0, v12, s0
	s_or_b32 exec_lo, exec_lo, s14
	global_load_dwordx4 v[13:16], v[81:82], off offset:1024
	s_and_saveexec_b32 s14, vcc_lo
	s_cbranch_execz .LBB50_42
.LBB50_80:                              ;   in Loop: Header=BB50_38 Depth=1
	v_cmp_gt_i32_e64 s0, s27, v5
	s_waitcnt vmcnt(0)
	v_cndmask_b32_e64 v13, 0, v13, s0
	v_cmp_gt_i32_e64 s0, s27, v7
	v_cndmask_b32_e64 v14, 0, v14, s0
	v_cmp_gt_i32_e64 s0, s27, v6
	;; [unrolled: 2-line block ×3, first 2 shown]
	v_cndmask_b32_e64 v16, 0, v16, s0
	s_or_b32 exec_lo, exec_lo, s14
	global_load_dwordx4 v[17:20], v[81:82], off offset:1536
	s_and_saveexec_b32 s14, vcc_lo
	s_cbranch_execnz .LBB50_43
	s_branch .LBB50_44
.LBB50_81:                              ;   in Loop: Header=BB50_38 Depth=1
	v_cmp_gt_i32_e64 s0, s27, v5
	s_waitcnt vmcnt(0)
	v_cndmask_b32_e64 v21, 0, v21, s0
	v_cmp_gt_i32_e64 s0, s27, v7
	v_cndmask_b32_e64 v22, 0, v22, s0
	v_cmp_gt_i32_e64 s0, s27, v6
	v_cndmask_b32_e64 v23, 0, v23, s0
	v_cmp_gt_i32_e64 s0, s27, v125
	v_cndmask_b32_e64 v24, 0, v24, s0
	s_or_b32 exec_lo, exec_lo, s14
	global_load_dwordx4 v[25:28], v[33:34], off offset:512
	s_and_saveexec_b32 s14, vcc_lo
	s_cbranch_execz .LBB50_46
.LBB50_82:                              ;   in Loop: Header=BB50_38 Depth=1
	v_cmp_gt_i32_e64 s0, s27, v5
	s_waitcnt vmcnt(0)
	v_cndmask_b32_e64 v25, 0, v25, s0
	v_cmp_gt_i32_e64 s0, s27, v7
	v_cndmask_b32_e64 v26, 0, v26, s0
	v_cmp_gt_i32_e64 s0, s27, v6
	;; [unrolled: 2-line block ×3, first 2 shown]
	v_cndmask_b32_e64 v28, 0, v28, s0
	s_or_b32 exec_lo, exec_lo, s14
	global_load_dwordx4 v[29:32], v[33:34], off offset:1024
	s_and_saveexec_b32 s14, vcc_lo
	s_cbranch_execz .LBB50_47
.LBB50_83:                              ;   in Loop: Header=BB50_38 Depth=1
	v_cmp_gt_i32_e64 s0, s27, v5
	s_waitcnt vmcnt(0)
	v_cndmask_b32_e64 v29, 0, v29, s0
	v_cmp_gt_i32_e64 s0, s27, v7
	v_cndmask_b32_e64 v30, 0, v30, s0
	v_cmp_gt_i32_e64 s0, s27, v6
	;; [unrolled: 2-line block ×3, first 2 shown]
	v_cndmask_b32_e64 v32, 0, v32, s0
	s_or_b32 exec_lo, exec_lo, s14
	global_load_dwordx4 v[33:36], v[33:34], off offset:1536
	s_and_saveexec_b32 s14, vcc_lo
	s_cbranch_execnz .LBB50_48
	s_branch .LBB50_49
.LBB50_84:                              ;   in Loop: Header=BB50_38 Depth=1
	v_cmp_gt_i32_e64 s0, s27, v5
	s_waitcnt vmcnt(0)
	v_cndmask_b32_e64 v37, 0, v37, s0
	v_cmp_gt_i32_e64 s0, s27, v7
	v_cndmask_b32_e64 v38, 0, v38, s0
	v_cmp_gt_i32_e64 s0, s27, v6
	;; [unrolled: 2-line block ×3, first 2 shown]
	v_cndmask_b32_e64 v40, 0, v40, s0
	s_or_b32 exec_lo, exec_lo, s14
	global_load_dwordx4 v[41:44], v[49:50], off offset:512
	s_and_saveexec_b32 s14, vcc_lo
	s_cbranch_execz .LBB50_51
.LBB50_85:                              ;   in Loop: Header=BB50_38 Depth=1
	v_cmp_gt_i32_e64 s0, s27, v5
	s_waitcnt vmcnt(0)
	v_cndmask_b32_e64 v41, 0, v41, s0
	v_cmp_gt_i32_e64 s0, s27, v7
	v_cndmask_b32_e64 v42, 0, v42, s0
	v_cmp_gt_i32_e64 s0, s27, v6
	;; [unrolled: 2-line block ×3, first 2 shown]
	v_cndmask_b32_e64 v44, 0, v44, s0
	s_or_b32 exec_lo, exec_lo, s14
	global_load_dwordx4 v[45:48], v[49:50], off offset:1024
	s_and_saveexec_b32 s14, vcc_lo
	s_cbranch_execz .LBB50_52
.LBB50_86:                              ;   in Loop: Header=BB50_38 Depth=1
	v_cmp_gt_i32_e64 s0, s27, v5
	s_waitcnt vmcnt(0)
	v_cndmask_b32_e64 v45, 0, v45, s0
	v_cmp_gt_i32_e64 s0, s27, v7
	v_cndmask_b32_e64 v46, 0, v46, s0
	v_cmp_gt_i32_e64 s0, s27, v6
	;; [unrolled: 2-line block ×3, first 2 shown]
	v_cndmask_b32_e64 v48, 0, v48, s0
	s_or_b32 exec_lo, exec_lo, s14
	global_load_dwordx4 v[49:52], v[49:50], off offset:1536
	s_and_saveexec_b32 s14, vcc_lo
	s_cbranch_execnz .LBB50_53
	s_branch .LBB50_54
.LBB50_87:                              ;   in Loop: Header=BB50_38 Depth=1
	v_cmp_gt_i32_e64 s0, s27, v5
	s_waitcnt vmcnt(0)
	v_cndmask_b32_e64 v53, 0, v53, s0
	v_cmp_gt_i32_e64 s0, s27, v7
	v_cndmask_b32_e64 v54, 0, v54, s0
	v_cmp_gt_i32_e64 s0, s27, v6
	v_cndmask_b32_e64 v55, 0, v55, s0
	v_cmp_gt_i32_e64 s0, s27, v125
	v_cndmask_b32_e64 v56, 0, v56, s0
	s_or_b32 exec_lo, exec_lo, s14
	global_load_dwordx4 v[57:60], v[65:66], off offset:512
	s_and_saveexec_b32 s14, vcc_lo
	s_cbranch_execz .LBB50_56
.LBB50_88:                              ;   in Loop: Header=BB50_38 Depth=1
	v_cmp_gt_i32_e64 s0, s27, v5
	s_waitcnt vmcnt(0)
	v_cndmask_b32_e64 v57, 0, v57, s0
	v_cmp_gt_i32_e64 s0, s27, v7
	v_cndmask_b32_e64 v58, 0, v58, s0
	v_cmp_gt_i32_e64 s0, s27, v6
	;; [unrolled: 2-line block ×3, first 2 shown]
	v_cndmask_b32_e64 v60, 0, v60, s0
	s_or_b32 exec_lo, exec_lo, s14
	global_load_dwordx4 v[61:64], v[65:66], off offset:1024
	s_and_saveexec_b32 s14, vcc_lo
	s_cbranch_execz .LBB50_57
.LBB50_89:                              ;   in Loop: Header=BB50_38 Depth=1
	v_cmp_gt_i32_e64 s0, s27, v5
	s_waitcnt vmcnt(0)
	v_cndmask_b32_e64 v61, 0, v61, s0
	v_cmp_gt_i32_e64 s0, s27, v7
	v_cndmask_b32_e64 v62, 0, v62, s0
	v_cmp_gt_i32_e64 s0, s27, v6
	;; [unrolled: 2-line block ×3, first 2 shown]
	v_cndmask_b32_e64 v64, 0, v64, s0
	s_or_b32 exec_lo, exec_lo, s14
	global_load_dwordx4 v[65:68], v[65:66], off offset:1536
	s_and_saveexec_b32 s14, vcc_lo
	s_cbranch_execnz .LBB50_58
	s_branch .LBB50_59
.LBB50_90:                              ;   in Loop: Header=BB50_38 Depth=1
	v_cmp_gt_i32_e64 s0, s27, v5
	s_waitcnt vmcnt(0)
	v_cndmask_b32_e64 v69, 0, v69, s0
	v_cmp_gt_i32_e64 s0, s27, v7
	v_cndmask_b32_e64 v70, 0, v70, s0
	v_cmp_gt_i32_e64 s0, s27, v6
	;; [unrolled: 2-line block ×3, first 2 shown]
	v_cndmask_b32_e64 v72, 0, v72, s0
	s_or_b32 exec_lo, exec_lo, s14
	global_load_dwordx4 v[73:76], v[83:84], off offset:512
	s_and_saveexec_b32 s14, vcc_lo
	s_cbranch_execz .LBB50_61
.LBB50_91:                              ;   in Loop: Header=BB50_38 Depth=1
	v_cmp_gt_i32_e64 s0, s27, v5
	s_waitcnt vmcnt(0)
	v_cndmask_b32_e64 v73, 0, v73, s0
	v_cmp_gt_i32_e64 s0, s27, v7
	v_cndmask_b32_e64 v74, 0, v74, s0
	v_cmp_gt_i32_e64 s0, s27, v6
	;; [unrolled: 2-line block ×3, first 2 shown]
	v_cndmask_b32_e64 v76, 0, v76, s0
	s_or_b32 exec_lo, exec_lo, s14
	global_load_dwordx4 v[77:80], v[83:84], off offset:1024
	s_and_saveexec_b32 s14, vcc_lo
	s_cbranch_execz .LBB50_62
.LBB50_92:                              ;   in Loop: Header=BB50_38 Depth=1
	v_cmp_gt_i32_e64 s0, s27, v5
	s_waitcnt vmcnt(0)
	v_cndmask_b32_e64 v77, 0, v77, s0
	v_cmp_gt_i32_e64 s0, s27, v7
	v_cndmask_b32_e64 v78, 0, v78, s0
	v_cmp_gt_i32_e64 s0, s27, v6
	;; [unrolled: 2-line block ×3, first 2 shown]
	v_cndmask_b32_e64 v80, 0, v80, s0
	s_or_b32 exec_lo, exec_lo, s14
	global_load_dwordx4 v[85:88], v[83:84], off offset:1536
	s_and_saveexec_b32 s14, vcc_lo
	s_cbranch_execnz .LBB50_63
	s_branch .LBB50_64
.LBB50_93:                              ;   in Loop: Header=BB50_38 Depth=1
	v_cmp_gt_i32_e64 s0, s27, v5
	s_waitcnt vmcnt(0)
	v_cndmask_b32_e64 v89, 0, v89, s0
	v_cmp_gt_i32_e64 s0, s27, v7
	v_cndmask_b32_e64 v90, 0, v90, s0
	v_cmp_gt_i32_e64 s0, s27, v6
	;; [unrolled: 2-line block ×3, first 2 shown]
	v_cndmask_b32_e64 v92, 0, v92, s0
	s_or_b32 exec_lo, exec_lo, s14
	global_load_dwordx4 v[93:96], v[83:84], off offset:512
	s_and_saveexec_b32 s14, vcc_lo
	s_cbranch_execz .LBB50_66
.LBB50_94:                              ;   in Loop: Header=BB50_38 Depth=1
	v_cmp_gt_i32_e64 s0, s27, v5
	s_waitcnt vmcnt(0)
	v_cndmask_b32_e64 v93, 0, v93, s0
	v_cmp_gt_i32_e64 s0, s27, v7
	v_cndmask_b32_e64 v94, 0, v94, s0
	v_cmp_gt_i32_e64 s0, s27, v6
	;; [unrolled: 2-line block ×3, first 2 shown]
	v_cndmask_b32_e64 v96, 0, v96, s0
	s_or_b32 exec_lo, exec_lo, s14
	global_load_dwordx4 v[97:100], v[83:84], off offset:1024
	s_and_saveexec_b32 s14, vcc_lo
	s_cbranch_execz .LBB50_67
.LBB50_95:                              ;   in Loop: Header=BB50_38 Depth=1
	v_cmp_gt_i32_e64 s0, s27, v5
	s_waitcnt vmcnt(0)
	v_cndmask_b32_e64 v97, 0, v97, s0
	v_cmp_gt_i32_e64 s0, s27, v7
	v_cndmask_b32_e64 v98, 0, v98, s0
	v_cmp_gt_i32_e64 s0, s27, v6
	;; [unrolled: 2-line block ×3, first 2 shown]
	v_cndmask_b32_e64 v100, 0, v100, s0
	s_or_b32 exec_lo, exec_lo, s14
	global_load_dwordx4 v[101:104], v[83:84], off offset:1536
	s_and_saveexec_b32 s14, vcc_lo
	s_cbranch_execnz .LBB50_68
	s_branch .LBB50_69
.LBB50_96:                              ;   in Loop: Header=BB50_38 Depth=1
	v_cmp_gt_i32_e64 s0, s27, v5
	s_waitcnt vmcnt(0)
	v_cndmask_b32_e64 v105, 0, v105, s0
	v_cmp_gt_i32_e64 s0, s27, v7
	v_cndmask_b32_e64 v106, 0, v106, s0
	v_cmp_gt_i32_e64 s0, s27, v6
	;; [unrolled: 2-line block ×3, first 2 shown]
	v_cndmask_b32_e64 v108, 0, v108, s0
	s_or_b32 exec_lo, exec_lo, s14
	global_load_dwordx4 v[109:112], v[83:84], off offset:512
	s_and_saveexec_b32 s14, vcc_lo
	s_cbranch_execz .LBB50_71
.LBB50_97:                              ;   in Loop: Header=BB50_38 Depth=1
	v_cmp_gt_i32_e64 s0, s27, v5
	s_waitcnt vmcnt(0)
	v_cndmask_b32_e64 v109, 0, v109, s0
	v_cmp_gt_i32_e64 s0, s27, v7
	v_cndmask_b32_e64 v110, 0, v110, s0
	v_cmp_gt_i32_e64 s0, s27, v6
	;; [unrolled: 2-line block ×3, first 2 shown]
	v_cndmask_b32_e64 v112, 0, v112, s0
	s_or_b32 exec_lo, exec_lo, s14
	global_load_dwordx4 v[113:116], v[83:84], off offset:1024
	s_and_saveexec_b32 s14, vcc_lo
	s_cbranch_execz .LBB50_72
.LBB50_98:                              ;   in Loop: Header=BB50_38 Depth=1
	v_cmp_gt_i32_e64 s0, s27, v5
	s_waitcnt vmcnt(0)
	v_cndmask_b32_e64 v113, 0, v113, s0
	v_cmp_gt_i32_e64 s0, s27, v7
	v_cndmask_b32_e64 v114, 0, v114, s0
	v_cmp_gt_i32_e64 s0, s27, v6
	;; [unrolled: 2-line block ×3, first 2 shown]
	v_cndmask_b32_e64 v116, 0, v116, s0
	s_or_b32 exec_lo, exec_lo, s14
	global_load_dwordx4 v[117:120], v[83:84], off offset:1536
	s_and_saveexec_b32 s14, vcc_lo
	s_cbranch_execnz .LBB50_73
	s_branch .LBB50_74
.LBB50_99:
	s_or_b32 exec_lo, exec_lo, s6
	s_clause 0x1a
	buffer_load_dword v54, off, s[48:51], 0 offset:204
	buffer_load_dword v123, off, s[48:51], 0 offset:208
	;; [unrolled: 1-line block ×27, first 2 shown]
.LBB50_100:
	s_or_b32 exec_lo, exec_lo, s1
	s_waitcnt vmcnt(22)
	ds_bpermute_b32 v0, v37, v20
	v_mov_b32_e32 v13, v8
	ds_bpermute_b32 v8, v37, v8
	ds_bpermute_b32 v1, v37, v22
	v_mov_b32_e32 v14, v7
	ds_bpermute_b32 v7, v37, v7
	s_waitcnt vmcnt(1)
	ds_bpermute_b32 v9, v37, v21
	ds_bpermute_b32 v23, v37, v28
	;; [unrolled: 1-line block ×7, first 2 shown]
	s_waitcnt vmcnt(0)
	ds_bpermute_b32 v5, v37, v16
	v_mov_b32_e32 v15, v6
	ds_bpermute_b32 v6, v37, v6
	ds_bpermute_b32 v26, v37, v34
	;; [unrolled: 1-line block ×4, first 2 shown]
	s_mov_b32 s0, exec_lo
	s_waitcnt lgkmcnt(15)
	v_add_f32_e32 v0, v20, v0
	s_waitcnt lgkmcnt(14)
	v_add_f32_e32 v8, v13, v8
	;; [unrolled: 2-line block ×4, first 2 shown]
	ds_bpermute_b32 v13, v46, v0
	s_waitcnt lgkmcnt(12)
	v_add_f32_e32 v9, v21, v9
	ds_bpermute_b32 v14, v46, v1
	ds_bpermute_b32 v21, v37, v27
	s_waitcnt lgkmcnt(13)
	v_add_f32_e32 v23, v28, v23
	s_waitcnt lgkmcnt(12)
	v_add_f32_e32 v11, v30, v11
	ds_bpermute_b32 v25, v46, v9
	s_waitcnt lgkmcnt(11)
	v_add_f32_e32 v3, v19, v3
	s_waitcnt lgkmcnt(10)
	v_add_f32_e32 v2, v17, v2
	;; [unrolled: 2-line block ×5, first 2 shown]
	ds_bpermute_b32 v16, v46, v3
	ds_bpermute_b32 v15, v46, v2
	;; [unrolled: 1-line block ×5, first 2 shown]
	s_waitcnt lgkmcnt(10)
	v_add_f32_e32 v10, v31, v10
	ds_bpermute_b32 v31, v46, v23
	ds_bpermute_b32 v18, v46, v5
	s_waitcnt lgkmcnt(10)
	v_add_f32_e32 v0, v0, v13
	ds_bpermute_b32 v19, v46, v6
	s_waitcnt lgkmcnt(10)
	v_add_f32_e32 v1, v1, v14
	s_waitcnt lgkmcnt(9)
	v_add_f32_e32 v21, v27, v21
	ds_bpermute_b32 v27, v46, v11
	ds_bpermute_b32 v13, v53, v0
	s_waitcnt lgkmcnt(10)
	v_add_f32_e32 v9, v9, v25
	ds_bpermute_b32 v14, v53, v1
	ds_bpermute_b32 v30, v46, v21
	v_add_f32_e32 v12, v29, v12
	ds_bpermute_b32 v25, v46, v10
	ds_bpermute_b32 v28, v53, v9
	s_waitcnt lgkmcnt(13)
	v_add_f32_e32 v3, v3, v16
	s_waitcnt lgkmcnt(12)
	v_add_f32_e32 v2, v2, v15
	;; [unrolled: 2-line block ×5, first 2 shown]
	ds_bpermute_b32 v16, v53, v3
	ds_bpermute_b32 v15, v53, v2
	;; [unrolled: 1-line block ×5, first 2 shown]
	s_waitcnt lgkmcnt(13)
	v_add_f32_e32 v23, v23, v31
	ds_bpermute_b32 v31, v37, v43
	s_waitcnt lgkmcnt(11)
	v_add_f32_e32 v11, v11, v27
	s_waitcnt lgkmcnt(10)
	v_add_f32_e32 v0, v0, v13
	ds_bpermute_b32 v13, v37, v32
	s_waitcnt lgkmcnt(10)
	v_add_f32_e32 v1, v1, v14
	v_add_f32_e32 v14, v36, v24
	ds_bpermute_b32 v24, v37, v38
	s_waitcnt lgkmcnt(10)
	v_add_f32_e32 v21, v21, v30
	s_waitcnt lgkmcnt(8)
	v_add_f32_e32 v9, v9, v28
	ds_bpermute_b32 v30, v37, v40
	ds_bpermute_b32 v36, v37, v48
	v_add_f32_e32 v5, v5, v18
	ds_bpermute_b32 v27, v53, v21
	v_add_f32_e32 v6, v6, v19
	s_waitcnt lgkmcnt(10)
	v_add_f32_e32 v3, v3, v16
	v_add_f32_e32 v16, v34, v26
	s_waitcnt lgkmcnt(9)
	v_add_f32_e32 v2, v2, v15
	s_waitcnt lgkmcnt(8)
	;; [unrolled: 2-line block ×4, first 2 shown]
	v_add_f32_e32 v8, v8, v22
	ds_bpermute_b32 v15, v46, v14
	ds_bpermute_b32 v17, v37, v33
	;; [unrolled: 1-line block ×3, first 2 shown]
	s_waitcnt lgkmcnt(7)
	v_add_f32_e32 v13, v32, v13
	ds_bpermute_b32 v22, v37, v35
	ds_bpermute_b32 v26, v37, v39
	s_waitcnt lgkmcnt(8)
	v_add_f32_e32 v24, v38, v24
	ds_bpermute_b32 v32, v37, v41
	ds_bpermute_b32 v28, v46, v13
	s_waitcnt lgkmcnt(9)
	v_add_f32_e32 v30, v40, v30
	v_add_f32_e32 v31, v43, v31
	s_waitcnt lgkmcnt(8)
	v_add_f32_e32 v36, v48, v36
	ds_bpermute_b32 v29, v46, v12
	ds_bpermute_b32 v18, v53, v5
	;; [unrolled: 1-line block ×4, first 2 shown]
	v_add_f32_e32 v10, v10, v25
	s_waitcnt lgkmcnt(10)
	v_add_f32_e32 v15, v14, v15
	ds_bpermute_b32 v14, v37, v44
	s_waitcnt lgkmcnt(10)
	v_add_f32_e32 v17, v33, v17
	ds_bpermute_b32 v33, v37, v42
	s_waitcnt lgkmcnt(10)
	v_add_f32_e32 v16, v16, v20
	s_waitcnt lgkmcnt(9)
	v_add_f32_e32 v20, v35, v22
	ds_bpermute_b32 v22, v37, v45
	ds_bpermute_b32 v37, v37, v47
	s_waitcnt lgkmcnt(8)
	v_add_f32_e32 v28, v13, v28
	ds_bpermute_b32 v13, v46, v24
	ds_bpermute_b32 v35, v46, v17
	;; [unrolled: 1-line block ×3, first 2 shown]
	v_add_f32_e32 v26, v39, v26
	v_add_f32_e32 v32, v41, v32
	ds_bpermute_b32 v41, v46, v30
	s_waitcnt lgkmcnt(11)
	v_add_f32_e32 v12, v12, v29
	s_waitcnt lgkmcnt(8)
	v_add_f32_e32 v31, v31, v43
	ds_bpermute_b32 v40, v46, v26
	v_add_f32_e32 v5, v5, v18
	v_add_f32_e32 v6, v6, v19
	ds_bpermute_b32 v18, v53, v10
	s_waitcnt lgkmcnt(9)
	v_add_f32_e32 v14, v44, v14
	ds_bpermute_b32 v44, v46, v32
	s_waitcnt lgkmcnt(9)
	v_add_f32_e32 v33, v42, v33
	ds_bpermute_b32 v19, v53, v11
	ds_bpermute_b32 v25, v53, v12
	s_waitcnt lgkmcnt(10)
	v_add_f32_e32 v22, v45, v22
	s_waitcnt lgkmcnt(9)
	v_add_f32_e32 v37, v47, v37
	ds_bpermute_b32 v42, v46, v14
	s_waitcnt lgkmcnt(9)
	v_add_f32_e32 v24, v24, v13
	v_add_f32_e32 v13, v21, v27
	buffer_load_dword v27, off, s[48:51], 0 offset:188 ; 4-byte Folded Reload
	ds_bpermute_b32 v45, v46, v33
	s_waitcnt lgkmcnt(9)
	v_add_f32_e32 v35, v17, v35
	ds_bpermute_b32 v17, v46, v22
	s_waitcnt lgkmcnt(9)
	v_add_f32_e32 v20, v20, v38
	ds_bpermute_b32 v38, v46, v36
	ds_bpermute_b32 v46, v46, v37
	s_waitcnt lgkmcnt(10)
	v_add_f32_e32 v30, v30, v41
	s_waitcnt lgkmcnt(9)
	v_add_f32_e32 v26, v26, v40
	ds_bpermute_b32 v29, v53, v23
	ds_bpermute_b32 v34, v53, v15
	s_waitcnt lgkmcnt(9)
	v_add_f32_e32 v32, v32, v44
	ds_bpermute_b32 v43, v53, v30
	ds_bpermute_b32 v39, v53, v16
	ds_bpermute_b32 v47, v53, v28
	ds_bpermute_b32 v40, v53, v35
	ds_bpermute_b32 v48, v53, v20
	s_waitcnt lgkmcnt(11)
	v_add_f32_e32 v42, v14, v42
	ds_bpermute_b32 v49, v53, v24
	ds_bpermute_b32 v41, v53, v26
	;; [unrolled: 1-line block ×3, first 2 shown]
	s_waitcnt lgkmcnt(13)
	v_add_f32_e32 v33, v33, v45
	ds_bpermute_b32 v44, v53, v42
	s_waitcnt lgkmcnt(13)
	v_add_f32_e32 v51, v22, v17
	ds_bpermute_b32 v45, v53, v31
	s_waitcnt lgkmcnt(13)
	v_add_f32_e32 v36, v36, v38
	s_waitcnt lgkmcnt(12)
	v_add_f32_e32 v37, v37, v46
	ds_bpermute_b32 v52, v53, v33
	ds_bpermute_b32 v38, v53, v51
	v_add_f32_e32 v10, v10, v18
	ds_bpermute_b32 v46, v53, v36
	ds_bpermute_b32 v53, v53, v37
	s_waitcnt lgkmcnt(13)
	v_add_f32_e32 v22, v30, v43
	v_add_f32_e32 v11, v11, v19
	;; [unrolled: 1-line block ×5, first 2 shown]
	s_waitcnt lgkmcnt(12)
	v_add_f32_e32 v16, v16, v39
	s_waitcnt lgkmcnt(11)
	v_add_f32_e32 v17, v28, v47
	;; [unrolled: 2-line block ×8, first 2 shown]
	v_add_f32_e32 v25, v32, v50
	v_mul_u32_u24_e32 v32, 0x1e0, v123
	s_waitcnt lgkmcnt(3)
	v_add_f32_e32 v26, v33, v52
	v_and_b32_e32 v33, 0x3c7, v54
	s_waitcnt vmcnt(0) lgkmcnt(0)
	s_waitcnt_vscnt null, 0x0
	v_add_f32_e32 v28, v36, v46
	v_add_f32_e32 v29, v37, v53
	s_barrier
	buffer_gl0_inv
	v_lshrrev_b32_e32 v30, 3, v27
	v_add_f32_e32 v27, v51, v38
	v_lshl_add_u32 v31, v30, 2, 0x200
	v_cmpx_eq_u32_e32 64, v33
	s_cbranch_execz .LBB50_102
; %bb.101:
	v_add_nc_u32_e32 v33, v31, v32
	v_add_nc_u32_e32 v34, 0xfffffc40, v33
	;; [unrolled: 1-line block ×6, first 2 shown]
	ds_write_b32 v34, v0
	ds_write_b32 v35, v1
	ds_write_b32 v36, v2
	ds_write_b32 v37, v3
	ds_write_b32 v38, v4
	v_add_nc_u32_e32 v34, 0xfffffc90, v33
	v_add_nc_u32_e32 v35, 0xfffffca0, v33
	v_add_nc_u32_e32 v36, 0xfffffcb0, v33
	v_add_nc_u32_e32 v37, 0xfffffcc0, v33
	v_add_nc_u32_e32 v38, 0xfffffcd0, v33
	ds_write_b32 v34, v5
	ds_write_b32 v35, v6
	ds_write_b32 v36, v7
	ds_write_b32 v37, v8
	ds_write_b32 v38, v9
	v_add_nc_u32_e32 v34, 0xfffffce0, v33
	v_add_nc_u32_e32 v35, 0xfffffcf0, v33
	v_add_nc_u32_e32 v36, 0xfffffd00, v33
	v_add_nc_u32_e32 v37, 0xfffffd10, v33
	v_add_nc_u32_e32 v38, 0xfffffd20, v33
	;; [unrolled: 10-line block ×5, first 2 shown]
	ds_write_b32 v34, v25
	ds_write_b32 v35, v26
	;; [unrolled: 1-line block ×5, first 2 shown]
.LBB50_102:
	s_or_b32 exec_lo, exec_lo, s0
	v_lshlrev_b32_e32 v30, 2, v30
	s_mov_b32 s1, exec_lo
	v_cmp_eq_u32_e32 vcc_lo, 0, v55
	s_waitcnt lgkmcnt(0)
	s_barrier
	v_add3_u32 v30, 0x200, v32, v30
	buffer_gl0_inv
	v_cmpx_gt_u32_e32 64, v54
	s_cbranch_execz .LBB50_135
; %bb.103:
	s_and_saveexec_b32 s0, vcc_lo
	s_cbranch_execnz .LBB50_173
; %bb.104:
	s_or_b32 exec_lo, exec_lo, s0
	s_and_saveexec_b32 s0, vcc_lo
	s_cbranch_execnz .LBB50_174
.LBB50_105:
	s_or_b32 exec_lo, exec_lo, s0
	s_and_saveexec_b32 s0, vcc_lo
	s_cbranch_execnz .LBB50_175
.LBB50_106:
	s_or_b32 exec_lo, exec_lo, s0
	s_and_saveexec_b32 s0, vcc_lo
	s_cbranch_execnz .LBB50_176
.LBB50_107:
	s_or_b32 exec_lo, exec_lo, s0
	s_and_saveexec_b32 s0, vcc_lo
	s_cbranch_execnz .LBB50_177
.LBB50_108:
	s_or_b32 exec_lo, exec_lo, s0
	s_and_saveexec_b32 s0, vcc_lo
	s_cbranch_execnz .LBB50_178
.LBB50_109:
	s_or_b32 exec_lo, exec_lo, s0
	s_and_saveexec_b32 s0, vcc_lo
	s_cbranch_execnz .LBB50_179
.LBB50_110:
	s_or_b32 exec_lo, exec_lo, s0
	s_and_saveexec_b32 s0, vcc_lo
	s_cbranch_execnz .LBB50_180
.LBB50_111:
	s_or_b32 exec_lo, exec_lo, s0
	s_and_saveexec_b32 s0, vcc_lo
	s_cbranch_execnz .LBB50_181
.LBB50_112:
	s_or_b32 exec_lo, exec_lo, s0
	s_and_saveexec_b32 s0, vcc_lo
	s_cbranch_execnz .LBB50_182
.LBB50_113:
	s_or_b32 exec_lo, exec_lo, s0
	s_and_saveexec_b32 s0, vcc_lo
	s_cbranch_execnz .LBB50_183
.LBB50_114:
	s_or_b32 exec_lo, exec_lo, s0
	s_and_saveexec_b32 s0, vcc_lo
	s_cbranch_execnz .LBB50_184
.LBB50_115:
	s_or_b32 exec_lo, exec_lo, s0
	s_and_saveexec_b32 s0, vcc_lo
	s_cbranch_execnz .LBB50_185
.LBB50_116:
	s_or_b32 exec_lo, exec_lo, s0
	s_and_saveexec_b32 s0, vcc_lo
	s_cbranch_execnz .LBB50_186
.LBB50_117:
	s_or_b32 exec_lo, exec_lo, s0
	s_and_saveexec_b32 s0, vcc_lo
	s_cbranch_execnz .LBB50_187
.LBB50_118:
	s_or_b32 exec_lo, exec_lo, s0
	s_and_saveexec_b32 s0, vcc_lo
	s_cbranch_execnz .LBB50_188
.LBB50_119:
	s_or_b32 exec_lo, exec_lo, s0
	s_and_saveexec_b32 s0, vcc_lo
	s_cbranch_execnz .LBB50_189
.LBB50_120:
	s_or_b32 exec_lo, exec_lo, s0
	s_and_saveexec_b32 s0, vcc_lo
	s_cbranch_execnz .LBB50_190
.LBB50_121:
	s_or_b32 exec_lo, exec_lo, s0
	s_and_saveexec_b32 s0, vcc_lo
	s_cbranch_execnz .LBB50_191
.LBB50_122:
	s_or_b32 exec_lo, exec_lo, s0
	s_and_saveexec_b32 s0, vcc_lo
	s_cbranch_execnz .LBB50_192
.LBB50_123:
	s_or_b32 exec_lo, exec_lo, s0
	s_and_saveexec_b32 s0, vcc_lo
	s_cbranch_execnz .LBB50_193
.LBB50_124:
	s_or_b32 exec_lo, exec_lo, s0
	s_and_saveexec_b32 s0, vcc_lo
	s_cbranch_execnz .LBB50_194
.LBB50_125:
	s_or_b32 exec_lo, exec_lo, s0
	s_and_saveexec_b32 s0, vcc_lo
	s_cbranch_execnz .LBB50_195
.LBB50_126:
	s_or_b32 exec_lo, exec_lo, s0
	s_and_saveexec_b32 s0, vcc_lo
	s_cbranch_execnz .LBB50_196
.LBB50_127:
	s_or_b32 exec_lo, exec_lo, s0
	s_and_saveexec_b32 s0, vcc_lo
	s_cbranch_execnz .LBB50_197
.LBB50_128:
	s_or_b32 exec_lo, exec_lo, s0
	s_and_saveexec_b32 s0, vcc_lo
	s_cbranch_execnz .LBB50_198
.LBB50_129:
	s_or_b32 exec_lo, exec_lo, s0
	s_and_saveexec_b32 s0, vcc_lo
	s_cbranch_execnz .LBB50_199
.LBB50_130:
	s_or_b32 exec_lo, exec_lo, s0
	s_and_saveexec_b32 s0, vcc_lo
	s_cbranch_execnz .LBB50_200
.LBB50_131:
	s_or_b32 exec_lo, exec_lo, s0
	s_and_saveexec_b32 s0, vcc_lo
	s_cbranch_execnz .LBB50_201
.LBB50_132:
	s_or_b32 exec_lo, exec_lo, s0
	s_and_saveexec_b32 s0, vcc_lo
	s_cbranch_execz .LBB50_134
.LBB50_133:
	ds_read_b32 v32, v30 offset:464
	s_waitcnt lgkmcnt(0)
	v_add_f32_e32 v29, v29, v32
.LBB50_134:
	s_or_b32 exec_lo, exec_lo, s0
.LBB50_135:
	s_or_b32 exec_lo, exec_lo, s1
	v_and_b32_e32 v32, 0x3e7, v54
	s_mov_b32 s1, exec_lo
	s_barrier
	buffer_gl0_inv
	v_cmpx_eq_u32_e32 32, v32
	s_cbranch_execz .LBB50_137
; %bb.136:
	ds_write2_b32 v31, v0, v1 offset1:4
	ds_write2_b32 v31, v2, v3 offset0:8 offset1:12
	ds_write2_b32 v31, v4, v5 offset0:16 offset1:20
	;; [unrolled: 1-line block ×14, first 2 shown]
.LBB50_137:
	s_or_b32 exec_lo, exec_lo, s1
	s_mov_b32 s1, exec_lo
	s_waitcnt lgkmcnt(0)
	s_barrier
	buffer_gl0_inv
	v_cmpx_gt_u32_e32 32, v54
	s_cbranch_execz .LBB50_170
; %bb.138:
	s_and_saveexec_b32 s0, vcc_lo
	s_cbranch_execnz .LBB50_202
; %bb.139:
	s_or_b32 exec_lo, exec_lo, s0
	s_and_saveexec_b32 s0, vcc_lo
	s_cbranch_execnz .LBB50_203
.LBB50_140:
	s_or_b32 exec_lo, exec_lo, s0
	s_and_saveexec_b32 s0, vcc_lo
	s_cbranch_execnz .LBB50_204
.LBB50_141:
	s_or_b32 exec_lo, exec_lo, s0
	s_and_saveexec_b32 s0, vcc_lo
	s_cbranch_execnz .LBB50_205
.LBB50_142:
	s_or_b32 exec_lo, exec_lo, s0
	s_and_saveexec_b32 s0, vcc_lo
	s_cbranch_execnz .LBB50_206
.LBB50_143:
	s_or_b32 exec_lo, exec_lo, s0
	s_and_saveexec_b32 s0, vcc_lo
	s_cbranch_execnz .LBB50_207
.LBB50_144:
	s_or_b32 exec_lo, exec_lo, s0
	s_and_saveexec_b32 s0, vcc_lo
	s_cbranch_execnz .LBB50_208
.LBB50_145:
	s_or_b32 exec_lo, exec_lo, s0
	s_and_saveexec_b32 s0, vcc_lo
	s_cbranch_execnz .LBB50_209
.LBB50_146:
	s_or_b32 exec_lo, exec_lo, s0
	s_and_saveexec_b32 s0, vcc_lo
	s_cbranch_execnz .LBB50_210
.LBB50_147:
	s_or_b32 exec_lo, exec_lo, s0
	s_and_saveexec_b32 s0, vcc_lo
	s_cbranch_execnz .LBB50_211
.LBB50_148:
	s_or_b32 exec_lo, exec_lo, s0
	s_and_saveexec_b32 s0, vcc_lo
	s_cbranch_execnz .LBB50_212
.LBB50_149:
	s_or_b32 exec_lo, exec_lo, s0
	s_and_saveexec_b32 s0, vcc_lo
	s_cbranch_execnz .LBB50_213
.LBB50_150:
	s_or_b32 exec_lo, exec_lo, s0
	s_and_saveexec_b32 s0, vcc_lo
	s_cbranch_execnz .LBB50_214
.LBB50_151:
	s_or_b32 exec_lo, exec_lo, s0
	s_and_saveexec_b32 s0, vcc_lo
	s_cbranch_execnz .LBB50_215
.LBB50_152:
	s_or_b32 exec_lo, exec_lo, s0
	s_and_saveexec_b32 s0, vcc_lo
	s_cbranch_execnz .LBB50_216
.LBB50_153:
	s_or_b32 exec_lo, exec_lo, s0
	s_and_saveexec_b32 s0, vcc_lo
	s_cbranch_execnz .LBB50_217
.LBB50_154:
	s_or_b32 exec_lo, exec_lo, s0
	s_and_saveexec_b32 s0, vcc_lo
	s_cbranch_execnz .LBB50_218
.LBB50_155:
	s_or_b32 exec_lo, exec_lo, s0
	s_and_saveexec_b32 s0, vcc_lo
	s_cbranch_execnz .LBB50_219
.LBB50_156:
	s_or_b32 exec_lo, exec_lo, s0
	s_and_saveexec_b32 s0, vcc_lo
	s_cbranch_execnz .LBB50_220
.LBB50_157:
	s_or_b32 exec_lo, exec_lo, s0
	s_and_saveexec_b32 s0, vcc_lo
	s_cbranch_execnz .LBB50_221
.LBB50_158:
	s_or_b32 exec_lo, exec_lo, s0
	s_and_saveexec_b32 s0, vcc_lo
	s_cbranch_execnz .LBB50_222
.LBB50_159:
	s_or_b32 exec_lo, exec_lo, s0
	s_and_saveexec_b32 s0, vcc_lo
	s_cbranch_execnz .LBB50_223
.LBB50_160:
	s_or_b32 exec_lo, exec_lo, s0
	s_and_saveexec_b32 s0, vcc_lo
	s_cbranch_execnz .LBB50_224
.LBB50_161:
	s_or_b32 exec_lo, exec_lo, s0
	s_and_saveexec_b32 s0, vcc_lo
	s_cbranch_execnz .LBB50_225
.LBB50_162:
	s_or_b32 exec_lo, exec_lo, s0
	s_and_saveexec_b32 s0, vcc_lo
	s_cbranch_execnz .LBB50_226
.LBB50_163:
	s_or_b32 exec_lo, exec_lo, s0
	s_and_saveexec_b32 s0, vcc_lo
	s_cbranch_execnz .LBB50_227
.LBB50_164:
	s_or_b32 exec_lo, exec_lo, s0
	s_and_saveexec_b32 s0, vcc_lo
	s_cbranch_execnz .LBB50_228
.LBB50_165:
	s_or_b32 exec_lo, exec_lo, s0
	s_and_saveexec_b32 s0, vcc_lo
	s_cbranch_execnz .LBB50_229
.LBB50_166:
	s_or_b32 exec_lo, exec_lo, s0
	s_and_saveexec_b32 s0, vcc_lo
	s_cbranch_execnz .LBB50_230
.LBB50_167:
	s_or_b32 exec_lo, exec_lo, s0
	s_and_saveexec_b32 s0, vcc_lo
	s_cbranch_execz .LBB50_169
.LBB50_168:
	ds_read_b32 v30, v30 offset:464
	s_waitcnt lgkmcnt(0)
	v_add_f32_e32 v29, v29, v30
.LBB50_169:
	s_or_b32 exec_lo, exec_lo, s0
.LBB50_170:
	s_or_b32 exec_lo, exec_lo, s1
	s_barrier
	buffer_gl0_inv
	s_mov_b32 s0, exec_lo
	v_cmpx_eq_u32_e32 0, v32
	s_cbranch_execz .LBB50_172
; %bb.171:
	s_mul_i32 s0, s2, 0x78
	s_mul_i32 s2, s7, s10
	s_ashr_i32 s1, s0, 31
	v_lshrrev_b32_e32 v30, 1, v54
	s_lshl_b64 s[0:1], s[0:1], 2
	s_add_u32 s4, s24, s0
	s_addc_u32 s5, s25, s1
	s_ashr_i32 s3, s2, 31
	s_lshl_b64 s[0:1], s[2:3], 2
	s_mul_i32 s2, s8, 0x78
	s_add_u32 s4, s4, s0
	s_addc_u32 s5, s5, s1
	s_ashr_i32 s3, s2, 31
	s_lshl_b64 s[0:1], s[2:3], 2
	s_add_u32 s0, s4, s0
	s_addc_u32 s1, s5, s1
	global_store_dword v30, v0, s[0:1]
	global_store_dword v30, v1, s[0:1] offset:16
	global_store_dword v30, v2, s[0:1] offset:32
	global_store_dword v30, v3, s[0:1] offset:48
	global_store_dword v30, v4, s[0:1] offset:64
	global_store_dword v30, v5, s[0:1] offset:80
	global_store_dword v30, v6, s[0:1] offset:96
	global_store_dword v30, v7, s[0:1] offset:112
	global_store_dword v30, v8, s[0:1] offset:128
	global_store_dword v30, v9, s[0:1] offset:144
	global_store_dword v30, v10, s[0:1] offset:160
	global_store_dword v30, v11, s[0:1] offset:176
	global_store_dword v30, v12, s[0:1] offset:192
	global_store_dword v30, v13, s[0:1] offset:208
	global_store_dword v30, v14, s[0:1] offset:224
	global_store_dword v30, v15, s[0:1] offset:240
	global_store_dword v30, v16, s[0:1] offset:256
	global_store_dword v30, v17, s[0:1] offset:272
	global_store_dword v30, v18, s[0:1] offset:288
	global_store_dword v30, v19, s[0:1] offset:304
	global_store_dword v30, v20, s[0:1] offset:320
	global_store_dword v30, v21, s[0:1] offset:336
	global_store_dword v30, v22, s[0:1] offset:352
	global_store_dword v30, v23, s[0:1] offset:368
	global_store_dword v30, v24, s[0:1] offset:384
	global_store_dword v30, v25, s[0:1] offset:400
	global_store_dword v30, v26, s[0:1] offset:416
	global_store_dword v30, v27, s[0:1] offset:432
	global_store_dword v30, v28, s[0:1] offset:448
	global_store_dword v30, v29, s[0:1] offset:464
.LBB50_172:
	s_endpgm
.LBB50_173:
	ds_read_b32 v32, v30
	s_waitcnt lgkmcnt(0)
	v_add_f32_e32 v0, v0, v32
	s_or_b32 exec_lo, exec_lo, s0
	s_and_saveexec_b32 s0, vcc_lo
	s_cbranch_execz .LBB50_105
.LBB50_174:
	ds_read_b32 v32, v30 offset:16
	s_waitcnt lgkmcnt(0)
	v_add_f32_e32 v1, v1, v32
	s_or_b32 exec_lo, exec_lo, s0
	s_and_saveexec_b32 s0, vcc_lo
	s_cbranch_execz .LBB50_106
.LBB50_175:
	ds_read_b32 v32, v30 offset:32
	s_waitcnt lgkmcnt(0)
	v_add_f32_e32 v2, v2, v32
	s_or_b32 exec_lo, exec_lo, s0
	s_and_saveexec_b32 s0, vcc_lo
	s_cbranch_execz .LBB50_107
.LBB50_176:
	ds_read_b32 v32, v30 offset:48
	s_waitcnt lgkmcnt(0)
	v_add_f32_e32 v3, v3, v32
	s_or_b32 exec_lo, exec_lo, s0
	s_and_saveexec_b32 s0, vcc_lo
	s_cbranch_execz .LBB50_108
.LBB50_177:
	ds_read_b32 v32, v30 offset:64
	s_waitcnt lgkmcnt(0)
	v_add_f32_e32 v4, v4, v32
	s_or_b32 exec_lo, exec_lo, s0
	s_and_saveexec_b32 s0, vcc_lo
	s_cbranch_execz .LBB50_109
.LBB50_178:
	ds_read_b32 v32, v30 offset:80
	s_waitcnt lgkmcnt(0)
	v_add_f32_e32 v5, v5, v32
	s_or_b32 exec_lo, exec_lo, s0
	s_and_saveexec_b32 s0, vcc_lo
	s_cbranch_execz .LBB50_110
.LBB50_179:
	ds_read_b32 v32, v30 offset:96
	s_waitcnt lgkmcnt(0)
	v_add_f32_e32 v6, v6, v32
	s_or_b32 exec_lo, exec_lo, s0
	s_and_saveexec_b32 s0, vcc_lo
	s_cbranch_execz .LBB50_111
.LBB50_180:
	ds_read_b32 v32, v30 offset:112
	s_waitcnt lgkmcnt(0)
	v_add_f32_e32 v7, v7, v32
	s_or_b32 exec_lo, exec_lo, s0
	s_and_saveexec_b32 s0, vcc_lo
	s_cbranch_execz .LBB50_112
.LBB50_181:
	ds_read_b32 v32, v30 offset:128
	s_waitcnt lgkmcnt(0)
	v_add_f32_e32 v8, v8, v32
	s_or_b32 exec_lo, exec_lo, s0
	s_and_saveexec_b32 s0, vcc_lo
	s_cbranch_execz .LBB50_113
.LBB50_182:
	ds_read_b32 v32, v30 offset:144
	s_waitcnt lgkmcnt(0)
	v_add_f32_e32 v9, v9, v32
	s_or_b32 exec_lo, exec_lo, s0
	s_and_saveexec_b32 s0, vcc_lo
	s_cbranch_execz .LBB50_114
.LBB50_183:
	ds_read_b32 v32, v30 offset:160
	s_waitcnt lgkmcnt(0)
	v_add_f32_e32 v10, v10, v32
	s_or_b32 exec_lo, exec_lo, s0
	s_and_saveexec_b32 s0, vcc_lo
	s_cbranch_execz .LBB50_115
.LBB50_184:
	ds_read_b32 v32, v30 offset:176
	s_waitcnt lgkmcnt(0)
	v_add_f32_e32 v11, v11, v32
	s_or_b32 exec_lo, exec_lo, s0
	s_and_saveexec_b32 s0, vcc_lo
	s_cbranch_execz .LBB50_116
.LBB50_185:
	ds_read_b32 v32, v30 offset:192
	s_waitcnt lgkmcnt(0)
	v_add_f32_e32 v12, v12, v32
	s_or_b32 exec_lo, exec_lo, s0
	s_and_saveexec_b32 s0, vcc_lo
	s_cbranch_execz .LBB50_117
.LBB50_186:
	ds_read_b32 v32, v30 offset:208
	s_waitcnt lgkmcnt(0)
	v_add_f32_e32 v13, v13, v32
	s_or_b32 exec_lo, exec_lo, s0
	s_and_saveexec_b32 s0, vcc_lo
	s_cbranch_execz .LBB50_118
.LBB50_187:
	ds_read_b32 v32, v30 offset:224
	s_waitcnt lgkmcnt(0)
	v_add_f32_e32 v14, v14, v32
	s_or_b32 exec_lo, exec_lo, s0
	s_and_saveexec_b32 s0, vcc_lo
	s_cbranch_execz .LBB50_119
.LBB50_188:
	ds_read_b32 v32, v30 offset:240
	s_waitcnt lgkmcnt(0)
	v_add_f32_e32 v15, v15, v32
	s_or_b32 exec_lo, exec_lo, s0
	s_and_saveexec_b32 s0, vcc_lo
	s_cbranch_execz .LBB50_120
.LBB50_189:
	ds_read_b32 v32, v30 offset:256
	s_waitcnt lgkmcnt(0)
	v_add_f32_e32 v16, v16, v32
	s_or_b32 exec_lo, exec_lo, s0
	s_and_saveexec_b32 s0, vcc_lo
	s_cbranch_execz .LBB50_121
.LBB50_190:
	ds_read_b32 v32, v30 offset:272
	s_waitcnt lgkmcnt(0)
	v_add_f32_e32 v17, v17, v32
	s_or_b32 exec_lo, exec_lo, s0
	s_and_saveexec_b32 s0, vcc_lo
	s_cbranch_execz .LBB50_122
.LBB50_191:
	ds_read_b32 v32, v30 offset:288
	s_waitcnt lgkmcnt(0)
	v_add_f32_e32 v18, v18, v32
	s_or_b32 exec_lo, exec_lo, s0
	s_and_saveexec_b32 s0, vcc_lo
	s_cbranch_execz .LBB50_123
.LBB50_192:
	ds_read_b32 v32, v30 offset:304
	s_waitcnt lgkmcnt(0)
	v_add_f32_e32 v19, v19, v32
	s_or_b32 exec_lo, exec_lo, s0
	s_and_saveexec_b32 s0, vcc_lo
	s_cbranch_execz .LBB50_124
.LBB50_193:
	ds_read_b32 v32, v30 offset:320
	s_waitcnt lgkmcnt(0)
	v_add_f32_e32 v20, v20, v32
	s_or_b32 exec_lo, exec_lo, s0
	s_and_saveexec_b32 s0, vcc_lo
	s_cbranch_execz .LBB50_125
.LBB50_194:
	ds_read_b32 v32, v30 offset:336
	s_waitcnt lgkmcnt(0)
	v_add_f32_e32 v21, v21, v32
	s_or_b32 exec_lo, exec_lo, s0
	s_and_saveexec_b32 s0, vcc_lo
	s_cbranch_execz .LBB50_126
.LBB50_195:
	ds_read_b32 v32, v30 offset:352
	s_waitcnt lgkmcnt(0)
	v_add_f32_e32 v22, v22, v32
	s_or_b32 exec_lo, exec_lo, s0
	s_and_saveexec_b32 s0, vcc_lo
	s_cbranch_execz .LBB50_127
.LBB50_196:
	ds_read_b32 v32, v30 offset:368
	s_waitcnt lgkmcnt(0)
	v_add_f32_e32 v23, v23, v32
	s_or_b32 exec_lo, exec_lo, s0
	s_and_saveexec_b32 s0, vcc_lo
	s_cbranch_execz .LBB50_128
.LBB50_197:
	ds_read_b32 v32, v30 offset:384
	s_waitcnt lgkmcnt(0)
	v_add_f32_e32 v24, v24, v32
	s_or_b32 exec_lo, exec_lo, s0
	s_and_saveexec_b32 s0, vcc_lo
	s_cbranch_execz .LBB50_129
.LBB50_198:
	ds_read_b32 v32, v30 offset:400
	s_waitcnt lgkmcnt(0)
	v_add_f32_e32 v25, v25, v32
	s_or_b32 exec_lo, exec_lo, s0
	s_and_saveexec_b32 s0, vcc_lo
	s_cbranch_execz .LBB50_130
.LBB50_199:
	ds_read_b32 v32, v30 offset:416
	s_waitcnt lgkmcnt(0)
	v_add_f32_e32 v26, v26, v32
	s_or_b32 exec_lo, exec_lo, s0
	s_and_saveexec_b32 s0, vcc_lo
	s_cbranch_execz .LBB50_131
.LBB50_200:
	ds_read_b32 v32, v30 offset:432
	s_waitcnt lgkmcnt(0)
	v_add_f32_e32 v27, v27, v32
	s_or_b32 exec_lo, exec_lo, s0
	s_and_saveexec_b32 s0, vcc_lo
	s_cbranch_execz .LBB50_132
.LBB50_201:
	ds_read_b32 v32, v30 offset:448
	s_waitcnt lgkmcnt(0)
	v_add_f32_e32 v28, v28, v32
	s_or_b32 exec_lo, exec_lo, s0
	s_and_saveexec_b32 s0, vcc_lo
	s_cbranch_execnz .LBB50_133
	s_branch .LBB50_134
.LBB50_202:
	ds_read_b32 v31, v30
	s_waitcnt lgkmcnt(0)
	v_add_f32_e32 v0, v0, v31
	s_or_b32 exec_lo, exec_lo, s0
	s_and_saveexec_b32 s0, vcc_lo
	s_cbranch_execz .LBB50_140
.LBB50_203:
	ds_read_b32 v31, v30 offset:16
	s_waitcnt lgkmcnt(0)
	v_add_f32_e32 v1, v1, v31
	s_or_b32 exec_lo, exec_lo, s0
	s_and_saveexec_b32 s0, vcc_lo
	s_cbranch_execz .LBB50_141
.LBB50_204:
	ds_read_b32 v31, v30 offset:32
	s_waitcnt lgkmcnt(0)
	v_add_f32_e32 v2, v2, v31
	s_or_b32 exec_lo, exec_lo, s0
	s_and_saveexec_b32 s0, vcc_lo
	s_cbranch_execz .LBB50_142
.LBB50_205:
	ds_read_b32 v31, v30 offset:48
	s_waitcnt lgkmcnt(0)
	v_add_f32_e32 v3, v3, v31
	s_or_b32 exec_lo, exec_lo, s0
	s_and_saveexec_b32 s0, vcc_lo
	s_cbranch_execz .LBB50_143
.LBB50_206:
	ds_read_b32 v31, v30 offset:64
	s_waitcnt lgkmcnt(0)
	v_add_f32_e32 v4, v4, v31
	s_or_b32 exec_lo, exec_lo, s0
	s_and_saveexec_b32 s0, vcc_lo
	s_cbranch_execz .LBB50_144
.LBB50_207:
	ds_read_b32 v31, v30 offset:80
	s_waitcnt lgkmcnt(0)
	v_add_f32_e32 v5, v5, v31
	s_or_b32 exec_lo, exec_lo, s0
	s_and_saveexec_b32 s0, vcc_lo
	s_cbranch_execz .LBB50_145
.LBB50_208:
	ds_read_b32 v31, v30 offset:96
	s_waitcnt lgkmcnt(0)
	v_add_f32_e32 v6, v6, v31
	s_or_b32 exec_lo, exec_lo, s0
	s_and_saveexec_b32 s0, vcc_lo
	s_cbranch_execz .LBB50_146
.LBB50_209:
	ds_read_b32 v31, v30 offset:112
	s_waitcnt lgkmcnt(0)
	v_add_f32_e32 v7, v7, v31
	s_or_b32 exec_lo, exec_lo, s0
	s_and_saveexec_b32 s0, vcc_lo
	s_cbranch_execz .LBB50_147
.LBB50_210:
	ds_read_b32 v31, v30 offset:128
	s_waitcnt lgkmcnt(0)
	v_add_f32_e32 v8, v8, v31
	s_or_b32 exec_lo, exec_lo, s0
	s_and_saveexec_b32 s0, vcc_lo
	s_cbranch_execz .LBB50_148
.LBB50_211:
	ds_read_b32 v31, v30 offset:144
	s_waitcnt lgkmcnt(0)
	v_add_f32_e32 v9, v9, v31
	s_or_b32 exec_lo, exec_lo, s0
	s_and_saveexec_b32 s0, vcc_lo
	s_cbranch_execz .LBB50_149
.LBB50_212:
	ds_read_b32 v31, v30 offset:160
	s_waitcnt lgkmcnt(0)
	v_add_f32_e32 v10, v10, v31
	s_or_b32 exec_lo, exec_lo, s0
	s_and_saveexec_b32 s0, vcc_lo
	s_cbranch_execz .LBB50_150
.LBB50_213:
	ds_read_b32 v31, v30 offset:176
	s_waitcnt lgkmcnt(0)
	v_add_f32_e32 v11, v11, v31
	s_or_b32 exec_lo, exec_lo, s0
	s_and_saveexec_b32 s0, vcc_lo
	s_cbranch_execz .LBB50_151
.LBB50_214:
	ds_read_b32 v31, v30 offset:192
	s_waitcnt lgkmcnt(0)
	v_add_f32_e32 v12, v12, v31
	s_or_b32 exec_lo, exec_lo, s0
	s_and_saveexec_b32 s0, vcc_lo
	s_cbranch_execz .LBB50_152
.LBB50_215:
	ds_read_b32 v31, v30 offset:208
	s_waitcnt lgkmcnt(0)
	v_add_f32_e32 v13, v13, v31
	s_or_b32 exec_lo, exec_lo, s0
	s_and_saveexec_b32 s0, vcc_lo
	s_cbranch_execz .LBB50_153
.LBB50_216:
	ds_read_b32 v31, v30 offset:224
	s_waitcnt lgkmcnt(0)
	v_add_f32_e32 v14, v14, v31
	s_or_b32 exec_lo, exec_lo, s0
	s_and_saveexec_b32 s0, vcc_lo
	s_cbranch_execz .LBB50_154
.LBB50_217:
	ds_read_b32 v31, v30 offset:240
	s_waitcnt lgkmcnt(0)
	v_add_f32_e32 v15, v15, v31
	s_or_b32 exec_lo, exec_lo, s0
	s_and_saveexec_b32 s0, vcc_lo
	s_cbranch_execz .LBB50_155
.LBB50_218:
	ds_read_b32 v31, v30 offset:256
	s_waitcnt lgkmcnt(0)
	v_add_f32_e32 v16, v16, v31
	s_or_b32 exec_lo, exec_lo, s0
	s_and_saveexec_b32 s0, vcc_lo
	s_cbranch_execz .LBB50_156
.LBB50_219:
	ds_read_b32 v31, v30 offset:272
	s_waitcnt lgkmcnt(0)
	v_add_f32_e32 v17, v17, v31
	s_or_b32 exec_lo, exec_lo, s0
	s_and_saveexec_b32 s0, vcc_lo
	s_cbranch_execz .LBB50_157
.LBB50_220:
	ds_read_b32 v31, v30 offset:288
	s_waitcnt lgkmcnt(0)
	v_add_f32_e32 v18, v18, v31
	s_or_b32 exec_lo, exec_lo, s0
	s_and_saveexec_b32 s0, vcc_lo
	s_cbranch_execz .LBB50_158
.LBB50_221:
	ds_read_b32 v31, v30 offset:304
	s_waitcnt lgkmcnt(0)
	v_add_f32_e32 v19, v19, v31
	s_or_b32 exec_lo, exec_lo, s0
	s_and_saveexec_b32 s0, vcc_lo
	s_cbranch_execz .LBB50_159
.LBB50_222:
	ds_read_b32 v31, v30 offset:320
	s_waitcnt lgkmcnt(0)
	v_add_f32_e32 v20, v20, v31
	s_or_b32 exec_lo, exec_lo, s0
	s_and_saveexec_b32 s0, vcc_lo
	s_cbranch_execz .LBB50_160
.LBB50_223:
	ds_read_b32 v31, v30 offset:336
	s_waitcnt lgkmcnt(0)
	v_add_f32_e32 v21, v21, v31
	s_or_b32 exec_lo, exec_lo, s0
	s_and_saveexec_b32 s0, vcc_lo
	s_cbranch_execz .LBB50_161
.LBB50_224:
	ds_read_b32 v31, v30 offset:352
	s_waitcnt lgkmcnt(0)
	v_add_f32_e32 v22, v22, v31
	s_or_b32 exec_lo, exec_lo, s0
	s_and_saveexec_b32 s0, vcc_lo
	s_cbranch_execz .LBB50_162
.LBB50_225:
	ds_read_b32 v31, v30 offset:368
	s_waitcnt lgkmcnt(0)
	v_add_f32_e32 v23, v23, v31
	s_or_b32 exec_lo, exec_lo, s0
	s_and_saveexec_b32 s0, vcc_lo
	s_cbranch_execz .LBB50_163
.LBB50_226:
	ds_read_b32 v31, v30 offset:384
	s_waitcnt lgkmcnt(0)
	v_add_f32_e32 v24, v24, v31
	s_or_b32 exec_lo, exec_lo, s0
	s_and_saveexec_b32 s0, vcc_lo
	s_cbranch_execz .LBB50_164
.LBB50_227:
	ds_read_b32 v31, v30 offset:400
	s_waitcnt lgkmcnt(0)
	v_add_f32_e32 v25, v25, v31
	s_or_b32 exec_lo, exec_lo, s0
	s_and_saveexec_b32 s0, vcc_lo
	s_cbranch_execz .LBB50_165
.LBB50_228:
	ds_read_b32 v31, v30 offset:416
	s_waitcnt lgkmcnt(0)
	v_add_f32_e32 v26, v26, v31
	s_or_b32 exec_lo, exec_lo, s0
	s_and_saveexec_b32 s0, vcc_lo
	s_cbranch_execz .LBB50_166
.LBB50_229:
	ds_read_b32 v31, v30 offset:432
	s_waitcnt lgkmcnt(0)
	v_add_f32_e32 v27, v27, v31
	s_or_b32 exec_lo, exec_lo, s0
	s_and_saveexec_b32 s0, vcc_lo
	s_cbranch_execz .LBB50_167
.LBB50_230:
	ds_read_b32 v31, v30 offset:448
	s_waitcnt lgkmcnt(0)
	v_add_f32_e32 v28, v28, v31
	s_or_b32 exec_lo, exec_lo, s0
	s_and_saveexec_b32 s0, vcc_lo
	s_cbranch_execnz .LBB50_168
	s_branch .LBB50_169
	.section	.rodata,"a",@progbits
	.p2align	6, 0x0
	.amdhsa_kernel _ZN4vllm25paged_attention_v2_kernelIffLi120ELi32ELi128ELNS_18Fp8KVCacheDataTypeE0ELb1ELi512EEEvPfS2_PT_PKS3_PKT0_S9_ifPKiSB_iPKfiiiSD_SD_iiiii
		.amdhsa_group_segment_fixed_size 512
		.amdhsa_private_segment_fixed_size 232
		.amdhsa_kernarg_size 400
		.amdhsa_user_sgpr_count 6
		.amdhsa_user_sgpr_private_segment_buffer 1
		.amdhsa_user_sgpr_dispatch_ptr 0
		.amdhsa_user_sgpr_queue_ptr 0
		.amdhsa_user_sgpr_kernarg_segment_ptr 1
		.amdhsa_user_sgpr_dispatch_id 0
		.amdhsa_user_sgpr_flat_scratch_init 0
		.amdhsa_user_sgpr_private_segment_size 0
		.amdhsa_wavefront_size32 1
		.amdhsa_uses_dynamic_stack 0
		.amdhsa_system_sgpr_private_segment_wavefront_offset 1
		.amdhsa_system_sgpr_workgroup_id_x 1
		.amdhsa_system_sgpr_workgroup_id_y 1
		.amdhsa_system_sgpr_workgroup_id_z 1
		.amdhsa_system_sgpr_workgroup_info 0
		.amdhsa_system_vgpr_workitem_id 0
		.amdhsa_next_free_vgpr 128
		.amdhsa_next_free_sgpr 52
		.amdhsa_reserve_vcc 1
		.amdhsa_reserve_flat_scratch 0
		.amdhsa_float_round_mode_32 0
		.amdhsa_float_round_mode_16_64 0
		.amdhsa_float_denorm_mode_32 3
		.amdhsa_float_denorm_mode_16_64 3
		.amdhsa_dx10_clamp 1
		.amdhsa_ieee_mode 1
		.amdhsa_fp16_overflow 0
		.amdhsa_workgroup_processor_mode 1
		.amdhsa_memory_ordered 1
		.amdhsa_forward_progress 1
		.amdhsa_shared_vgpr_count 0
		.amdhsa_exception_fp_ieee_invalid_op 0
		.amdhsa_exception_fp_denorm_src 0
		.amdhsa_exception_fp_ieee_div_zero 0
		.amdhsa_exception_fp_ieee_overflow 0
		.amdhsa_exception_fp_ieee_underflow 0
		.amdhsa_exception_fp_ieee_inexact 0
		.amdhsa_exception_int_div_zero 0
	.end_amdhsa_kernel
	.section	.text._ZN4vllm25paged_attention_v2_kernelIffLi120ELi32ELi128ELNS_18Fp8KVCacheDataTypeE0ELb1ELi512EEEvPfS2_PT_PKS3_PKT0_S9_ifPKiSB_iPKfiiiSD_SD_iiiii,"axG",@progbits,_ZN4vllm25paged_attention_v2_kernelIffLi120ELi32ELi128ELNS_18Fp8KVCacheDataTypeE0ELb1ELi512EEEvPfS2_PT_PKS3_PKT0_S9_ifPKiSB_iPKfiiiSD_SD_iiiii,comdat
.Lfunc_end50:
	.size	_ZN4vllm25paged_attention_v2_kernelIffLi120ELi32ELi128ELNS_18Fp8KVCacheDataTypeE0ELb1ELi512EEEvPfS2_PT_PKS3_PKT0_S9_ifPKiSB_iPKfiiiSD_SD_iiiii, .Lfunc_end50-_ZN4vllm25paged_attention_v2_kernelIffLi120ELi32ELi128ELNS_18Fp8KVCacheDataTypeE0ELb1ELi512EEEvPfS2_PT_PKS3_PKT0_S9_ifPKiSB_iPKfiiiSD_SD_iiiii
                                        ; -- End function
	.set _ZN4vllm25paged_attention_v2_kernelIffLi120ELi32ELi128ELNS_18Fp8KVCacheDataTypeE0ELb1ELi512EEEvPfS2_PT_PKS3_PKT0_S9_ifPKiSB_iPKfiiiSD_SD_iiiii.num_vgpr, 128
	.set _ZN4vllm25paged_attention_v2_kernelIffLi120ELi32ELi128ELNS_18Fp8KVCacheDataTypeE0ELb1ELi512EEEvPfS2_PT_PKS3_PKT0_S9_ifPKiSB_iPKfiiiSD_SD_iiiii.num_agpr, 0
	.set _ZN4vllm25paged_attention_v2_kernelIffLi120ELi32ELi128ELNS_18Fp8KVCacheDataTypeE0ELb1ELi512EEEvPfS2_PT_PKS3_PKT0_S9_ifPKiSB_iPKfiiiSD_SD_iiiii.numbered_sgpr, 52
	.set _ZN4vllm25paged_attention_v2_kernelIffLi120ELi32ELi128ELNS_18Fp8KVCacheDataTypeE0ELb1ELi512EEEvPfS2_PT_PKS3_PKT0_S9_ifPKiSB_iPKfiiiSD_SD_iiiii.num_named_barrier, 0
	.set _ZN4vllm25paged_attention_v2_kernelIffLi120ELi32ELi128ELNS_18Fp8KVCacheDataTypeE0ELb1ELi512EEEvPfS2_PT_PKS3_PKT0_S9_ifPKiSB_iPKfiiiSD_SD_iiiii.private_seg_size, 232
	.set _ZN4vllm25paged_attention_v2_kernelIffLi120ELi32ELi128ELNS_18Fp8KVCacheDataTypeE0ELb1ELi512EEEvPfS2_PT_PKS3_PKT0_S9_ifPKiSB_iPKfiiiSD_SD_iiiii.uses_vcc, 1
	.set _ZN4vllm25paged_attention_v2_kernelIffLi120ELi32ELi128ELNS_18Fp8KVCacheDataTypeE0ELb1ELi512EEEvPfS2_PT_PKS3_PKT0_S9_ifPKiSB_iPKfiiiSD_SD_iiiii.uses_flat_scratch, 0
	.set _ZN4vllm25paged_attention_v2_kernelIffLi120ELi32ELi128ELNS_18Fp8KVCacheDataTypeE0ELb1ELi512EEEvPfS2_PT_PKS3_PKT0_S9_ifPKiSB_iPKfiiiSD_SD_iiiii.has_dyn_sized_stack, 0
	.set _ZN4vllm25paged_attention_v2_kernelIffLi120ELi32ELi128ELNS_18Fp8KVCacheDataTypeE0ELb1ELi512EEEvPfS2_PT_PKS3_PKT0_S9_ifPKiSB_iPKfiiiSD_SD_iiiii.has_recursion, 0
	.set _ZN4vllm25paged_attention_v2_kernelIffLi120ELi32ELi128ELNS_18Fp8KVCacheDataTypeE0ELb1ELi512EEEvPfS2_PT_PKS3_PKT0_S9_ifPKiSB_iPKfiiiSD_SD_iiiii.has_indirect_call, 0
	.section	.AMDGPU.csdata,"",@progbits
; Kernel info:
; codeLenInByte = 15116
; TotalNumSgprs: 54
; NumVgprs: 128
; ScratchSize: 232
; MemoryBound: 0
; FloatMode: 240
; IeeeMode: 1
; LDSByteSize: 512 bytes/workgroup (compile time only)
; SGPRBlocks: 0
; VGPRBlocks: 15
; NumSGPRsForWavesPerEU: 54
; NumVGPRsForWavesPerEU: 128
; Occupancy: 8
; WaveLimiterHint : 1
; COMPUTE_PGM_RSRC2:SCRATCH_EN: 1
; COMPUTE_PGM_RSRC2:USER_SGPR: 6
; COMPUTE_PGM_RSRC2:TRAP_HANDLER: 0
; COMPUTE_PGM_RSRC2:TGID_X_EN: 1
; COMPUTE_PGM_RSRC2:TGID_Y_EN: 1
; COMPUTE_PGM_RSRC2:TGID_Z_EN: 1
; COMPUTE_PGM_RSRC2:TIDIG_COMP_CNT: 0
	.section	.text._ZN4vllm25paged_attention_v2_kernelIffLi128ELi32ELi128ELNS_18Fp8KVCacheDataTypeE0ELb1ELi512EEEvPfS2_PT_PKS3_PKT0_S9_ifPKiSB_iPKfiiiSD_SD_iiiii,"axG",@progbits,_ZN4vllm25paged_attention_v2_kernelIffLi128ELi32ELi128ELNS_18Fp8KVCacheDataTypeE0ELb1ELi512EEEvPfS2_PT_PKS3_PKT0_S9_ifPKiSB_iPKfiiiSD_SD_iiiii,comdat
	.protected	_ZN4vllm25paged_attention_v2_kernelIffLi128ELi32ELi128ELNS_18Fp8KVCacheDataTypeE0ELb1ELi512EEEvPfS2_PT_PKS3_PKT0_S9_ifPKiSB_iPKfiiiSD_SD_iiiii ; -- Begin function _ZN4vllm25paged_attention_v2_kernelIffLi128ELi32ELi128ELNS_18Fp8KVCacheDataTypeE0ELb1ELi512EEEvPfS2_PT_PKS3_PKT0_S9_ifPKiSB_iPKfiiiSD_SD_iiiii
	.globl	_ZN4vllm25paged_attention_v2_kernelIffLi128ELi32ELi128ELNS_18Fp8KVCacheDataTypeE0ELb1ELi512EEEvPfS2_PT_PKS3_PKT0_S9_ifPKiSB_iPKfiiiSD_SD_iiiii
	.p2align	8
	.type	_ZN4vllm25paged_attention_v2_kernelIffLi128ELi32ELi128ELNS_18Fp8KVCacheDataTypeE0ELb1ELi512EEEvPfS2_PT_PKS3_PKT0_S9_ifPKiSB_iPKfiiiSD_SD_iiiii,@function
_ZN4vllm25paged_attention_v2_kernelIffLi128ELi32ELi128ELNS_18Fp8KVCacheDataTypeE0ELb1ELi512EEEvPfS2_PT_PKS3_PKT0_S9_ifPKiSB_iPKfiiiSD_SD_iiiii: ; @_ZN4vllm25paged_attention_v2_kernelIffLi128ELi32ELi128ELNS_18Fp8KVCacheDataTypeE0ELb1ELi512EEEvPfS2_PT_PKS3_PKT0_S9_ifPKiSB_iPKfiiiSD_SD_iiiii
; %bb.0:
	s_mov_b64 s[50:51], s[2:3]
	s_mov_b64 s[48:49], s[0:1]
	s_load_dwordx2 s[0:1], s[4:5], 0x40
	s_add_u32 s48, s48, s9
	s_addc_u32 s49, s49, 0
	s_mov_b32 s26, s7
	s_ashr_i32 s27, s7, 31
	s_lshl_b64 s[2:3], s[26:27], 2
	s_waitcnt lgkmcnt(0)
	s_add_u32 s0, s0, s2
	s_addc_u32 s1, s1, s3
	s_lshl_b32 s38, s8, 9
	s_load_dword s27, s[0:1], 0x0
	s_waitcnt lgkmcnt(0)
	s_cmp_ge_i32 s38, s27
	s_cbranch_scc1 .LBB51_180
; %bb.1:
	s_clause 0x1
	s_load_dword s9, s[4:5], 0x90
	s_load_dwordx2 s[36:37], s[4:5], 0x30
	v_mov_b32_e32 v55, v0
	s_mov_b32 s40, 0
	s_waitcnt lgkmcnt(0)
	s_abs_i32 s3, s9
	s_abs_i32 s0, s36
	v_cvt_f32_u32_e32 v0, s0
	s_sub_i32 s2, 0, s0
	v_rcp_iflag_f32_e32 v0, v0
	v_mul_f32_e32 v0, 0x4f7ffffe, v0
	v_cvt_u32_f32_e32 v0, v0
	v_readfirstlane_b32 s1, v0
	s_mul_i32 s2, s2, s1
	s_mul_hi_u32 s2, s1, s2
	s_add_i32 s1, s1, s2
	s_xor_b32 s2, s9, s36
	s_mul_hi_u32 s1, s3, s1
	s_ashr_i32 s2, s2, 31
	s_mul_i32 s7, s1, s0
	s_sub_i32 s3, s3, s7
	s_add_i32 s7, s1, 1
	s_sub_i32 s10, s3, s0
	s_cmp_ge_u32 s3, s0
	s_cselect_b32 s1, s7, s1
	s_cselect_b32 s3, s10, s3
	s_add_i32 s7, s1, 1
	s_cmp_ge_u32 s3, s0
	s_cselect_b32 s0, s7, s1
	s_xor_b32 s0, s0, s2
	s_sub_i32 s10, s0, s2
	s_load_dwordx2 s[0:1], s[4:5], 0x50
	s_abs_i32 s2, s10
	v_cvt_f32_u32_e32 v0, s2
	s_sub_i32 s3, 0, s2
	v_rcp_iflag_f32_e32 v0, v0
	v_mul_f32_e32 v0, 0x4f7ffffe, v0
	v_cvt_u32_f32_e32 v0, v0
	v_readfirstlane_b32 s7, v0
	s_mul_i32 s3, s3, s7
	s_mul_hi_u32 s11, s7, s3
	s_abs_i32 s3, s6
	s_add_i32 s7, s7, s11
	s_waitcnt lgkmcnt(0)
	s_cmp_eq_u64 s[0:1], 0
	s_mul_hi_u32 s20, s3, s7
	s_cbranch_scc1 .LBB51_3
; %bb.2:
	s_ashr_i32 s7, s6, 31
	s_lshl_b64 s[12:13], s[6:7], 2
	s_add_u32 s0, s0, s12
	s_addc_u32 s1, s1, s13
	s_load_dword s40, s[0:1], 0x0
.LBB51_3:
	s_load_dwordx4 s[12:15], s[4:5], 0x58
	v_cmp_gt_u32_e64 s0, 32, v55
	s_ashr_i32 s1, s6, 31
	s_ashr_i32 s7, s10, 31
	s_lshl_b32 s10, s6, 7
	s_waitcnt lgkmcnt(0)
	s_and_saveexec_b32 s15, s0
	s_cbranch_execz .LBB51_5
; %bb.4:
	s_load_dwordx2 s[16:17], s[4:5], 0x18
	s_mul_i32 s18, s12, s26
	v_lshlrev_b32_e32 v4, 4, v55
	s_ashr_i32 s19, s18, 31
	s_lshl_b64 s[18:19], s[18:19], 2
	s_waitcnt lgkmcnt(0)
	s_add_u32 s12, s16, s18
	s_addc_u32 s18, s17, s19
	s_ashr_i32 s11, s10, 31
	s_lshl_b64 s[16:17], s[10:11], 2
	s_add_u32 s16, s12, s16
	s_addc_u32 s17, s18, s17
	global_load_dwordx4 v[0:3], v4, s[16:17]
	s_waitcnt vmcnt(0)
	ds_write_b128 v4, v[0:3]
.LBB51_5:
	s_or_b32 exec_lo, exec_lo, s15
	s_load_dwordx4 s[16:19], s[4:5], 0x78
	s_mul_i32 s11, s20, s2
	s_xor_b32 s1, s1, s7
	s_sub_i32 s3, s3, s11
	s_add_i32 s7, s20, 1
	s_sub_i32 s11, s3, s2
	s_cmp_ge_u32 s3, s2
                                        ; implicit-def: $sgpr33
	s_cselect_b32 s7, s7, s20
	s_cselect_b32 s3, s11, s3
	s_add_i32 s11, s7, 1
	s_cmp_ge_u32 s3, s2
	s_mov_b32 s20, -1
	s_cselect_b32 s2, s11, s7
	s_load_dword s7, s[4:5], 0x88
	s_xor_b32 s2, s2, s1
	s_add_i32 s15, s27, -1
	s_sub_i32 s2, s2, s1
	s_abs_i32 s3, s15
	s_waitcnt lgkmcnt(0)
	s_abs_i32 s11, s19
	s_barrier
	v_cvt_f32_u32_e32 v0, s11
	s_sub_i32 s1, 0, s11
	buffer_gl0_inv
	v_rcp_iflag_f32_e32 v0, v0
	v_mul_f32_e32 v0, 0x4f7ffffe, v0
	v_cvt_u32_f32_e32 v0, v0
	v_readfirstlane_b32 s12, v0
	s_mul_i32 s1, s1, s12
	s_mul_hi_u32 s1, s12, s1
	s_add_i32 s12, s12, s1
	s_cmp_lt_i32 s7, 0
	s_mul_hi_u32 s1, s3, s12
	s_cbranch_scc0 .LBB51_7
; %bb.6:
	s_mul_i32 s20, s16, s36
	s_add_i32 s20, s2, s20
	s_mul_i32 s20, s20, s7
	s_sub_i32 s33, 1, s20
	s_mov_b32 s20, 0
.LBB51_7:
	s_load_dwordx2 s[28:29], s[4:5], 0x38
	s_ashr_i32 s15, s15, 31
	s_andn2_b32 vcc_lo, exec_lo, s20
	s_ashr_i32 s19, s19, 31
	s_cbranch_vccnz .LBB51_9
; %bb.8:
	s_mul_i32 s16, s9, s16
	s_add_i32 s16, s16, s6
	s_mul_i32 s7, s16, s7
	s_add_i32 s33, s7, 1
.LBB51_9:
	s_clause 0x4
	s_load_dword s16, s[4:5], 0x48
	s_load_dwordx2 s[34:35], s[4:5], 0x28
	s_load_dword s7, s[4:5], 0x98
	s_load_dwordx4 s[20:23], s[4:5], 0x0
	s_load_dwordx2 s[24:25], s[4:5], 0x10
	s_mul_i32 s30, s1, s11
	s_xor_b32 s15, s15, s19
	s_sub_i32 s3, s3, s30
	s_add_i32 s36, s1, 1
	v_lshrrev_b32_e32 v125, 5, v55
	v_and_b32_e32 v0, 31, v55
	v_mov_b32_e32 v126, 0xff7fffff
	s_mul_i32 s14, s2, s14
	buffer_store_dword v0, off, s[48:51], 0 offset:252 ; 4-byte Folded Spill
	v_lshlrev_b32_e32 v10, 2, v0
	s_waitcnt lgkmcnt(0)
	s_mul_i32 s30, s16, s26
	s_sub_i32 s16, s3, s11
	s_ashr_i32 s31, s30, 31
	s_cmp_ge_u32 s3, s11
	s_cselect_b32 s1, s36, s1
	s_cselect_b32 s3, s16, s3
	s_add_i32 s16, s1, 1
	s_cmp_ge_u32 s3, s11
	s_cselect_b32 s1, s16, s1
	s_lshl_b32 s41, s8, 4
	s_add_i32 s3, s27, 31
	v_add_nc_u32_e32 v0, s41, v125
	s_ashr_i32 s16, s3, 31
	s_lshr_b32 s16, s16, 27
	v_ashrrev_i32_e32 v1, 31, v0
	s_add_i32 s3, s3, s16
	s_add_i32 s16, s41, 16
	s_ashr_i32 s36, s3, 5
	buffer_store_dword v0, off, s[48:51], 0 ; 4-byte Folded Spill
	buffer_store_dword v1, off, s[48:51], 0 offset:4 ; 4-byte Folded Spill
	s_min_i32 s16, s16, s36
	s_xor_b32 s3, s1, s15
	s_sub_i32 s39, s3, s15
	v_cmp_gt_i32_e64 s1, s16, v0
	v_lshl_add_u32 v0, v125, 5, s38
	buffer_store_dword v0, off, s[48:51], 0 offset:8 ; 4-byte Folded Spill
	s_mov_b32 s42, exec_lo
	s_and_b32 s2, s42, s1
	buffer_store_dword v55, off, s[48:51], 0 offset:268 ; 4-byte Folded Spill
	buffer_store_dword v125, off, s[48:51], 0 offset:272 ; 4-byte Folded Spill
	s_mov_b32 exec_lo, s2
	s_cbranch_execz .LBB51_17
; %bb.10:
	buffer_load_dword v7, off, s[48:51], 0 offset:252 ; 4-byte Folded Reload
	s_load_dwordx2 s[2:3], s[4:5], 0x20
	v_mov_b32_e32 v1, 0
	s_ashr_i32 s15, s14, 31
	s_sub_i32 s4, s39, s17
	s_lshl_b64 s[44:45], s[14:15], 2
	v_cmp_neq_f32_e64 vcc_lo, s40, 0
	ds_read_b128 v[2:5], v1
	v_lshl_add_u32 v127, v125, 5, s38
	v_mov_b32_e32 v126, 0xff7fffff
	s_mov_b32 s5, s13
	s_mov_b32 s15, 0
	s_waitcnt lgkmcnt(0)
	s_add_u32 s2, s2, s44
	s_addc_u32 s3, s3, s45
	s_abs_i32 s43, s18
	s_waitcnt vmcnt(0)
	v_lshlrev_b32_e32 v0, 4, v7
	v_add_co_u32 v0, s2, s2, v0
	buffer_store_dword v0, off, s[48:51], 0 offset:12 ; 4-byte Folded Spill
	v_add_co_ci_u32_e64 v0, null, s3, 0, s2
	s_sub_i32 s2, 0, s43
	buffer_store_dword v0, off, s[48:51], 0 offset:28 ; 4-byte Folded Spill
	buffer_store_dword v2, off, s[48:51], 0 offset:44 ; 4-byte Folded Spill
	;; [unrolled: 1-line block ×5, first 2 shown]
	ds_read_b128 v[2:5], v1 offset:16
	v_cvt_f32_u32_e32 v0, s43
	s_waitcnt lgkmcnt(0)
	buffer_store_dword v2, off, s[48:51], 0 offset:60 ; 4-byte Folded Spill
	buffer_store_dword v3, off, s[48:51], 0 offset:64 ; 4-byte Folded Spill
	;; [unrolled: 1-line block ×4, first 2 shown]
	ds_read_b128 v[2:5], v1 offset:32
	v_rcp_iflag_f32_e32 v0, v0
	s_waitcnt lgkmcnt(0)
	buffer_store_dword v2, off, s[48:51], 0 offset:76 ; 4-byte Folded Spill
	buffer_store_dword v3, off, s[48:51], 0 offset:80 ; 4-byte Folded Spill
	;; [unrolled: 1-line block ×4, first 2 shown]
	ds_read_b128 v[2:5], v1 offset:48
	v_mul_f32_e32 v0, 0x4f7ffffe, v0
	s_waitcnt lgkmcnt(0)
	buffer_store_dword v2, off, s[48:51], 0 offset:92 ; 4-byte Folded Spill
	buffer_store_dword v3, off, s[48:51], 0 offset:96 ; 4-byte Folded Spill
	;; [unrolled: 1-line block ×4, first 2 shown]
	ds_read_b128 v[2:5], v1 offset:64
	v_cvt_u32_f32_e32 v0, v0
	s_waitcnt lgkmcnt(0)
	buffer_store_dword v2, off, s[48:51], 0 offset:108 ; 4-byte Folded Spill
	buffer_store_dword v3, off, s[48:51], 0 offset:112 ; 4-byte Folded Spill
	;; [unrolled: 1-line block ×4, first 2 shown]
	ds_read_b128 v[2:5], v1 offset:80
	s_waitcnt lgkmcnt(0)
	buffer_store_dword v2, off, s[48:51], 0 offset:124 ; 4-byte Folded Spill
	buffer_store_dword v3, off, s[48:51], 0 offset:128 ; 4-byte Folded Spill
	;; [unrolled: 1-line block ×4, first 2 shown]
	ds_read_b128 v[25:28], v1 offset:96
	ds_read_b128 v[29:32], v1 offset:112
	;; [unrolled: 1-line block ×26, first 2 shown]
	s_clause 0x1
	buffer_load_dword v8, off, s[48:51], 0
	buffer_load_dword v9, off, s[48:51], 0 offset:4
	v_mul_lo_u32 v5, s2, v0
	s_lshl_b64 s[2:3], s[30:31], 2
	s_add_u32 s2, s28, s2
	s_addc_u32 s3, s29, s3
	v_mul_hi_u32 v5, v0, v5
	v_add_nc_u32_e32 v11, v0, v5
	v_subrev_nc_u32_e32 v0, s27, v7
	v_add_nc_u32_e32 v0, 1, v0
	buffer_store_dword v0, off, s[48:51], 0 offset:144 ; 4-byte Folded Spill
	buffer_store_dword v10, off, s[48:51], 0 offset:148 ; 4-byte Folded Spill
	v_lshl_or_b32 v0, v125, 7, v10
	buffer_store_dword v11, off, s[48:51], 0 offset:140 ; 4-byte Folded Spill
	v_add_nc_u32_e32 v0, 0x220, v0
	s_waitcnt vmcnt(1)
	v_mov_b32_e32 v125, v8
	s_waitcnt vmcnt(0)
	v_lshlrev_b64 v[5:6], 2, v[8:9]
	v_add_co_u32 v5, s2, s2, v5
	v_add_co_ci_u32_e64 v6, null, s3, v6, s2
	s_branch .LBB51_12
.LBB51_11:                              ;   in Loop: Header=BB51_12 Depth=1
	s_or_b32 exec_lo, exec_lo, s3
	v_add_nc_u32_e32 v125, 4, v125
	v_add_co_u32 v5, s2, v5, 16
	v_add_co_ci_u32_e64 v6, null, 0, v6, s2
	v_cmp_le_i32_e64 s2, s16, v125
	v_add_nc_u32_e32 v127, 0x80, v127
	v_add_nc_u32_e32 v0, 0x200, v0
	s_or_b32 s15, s2, s15
	s_andn2_b32 exec_lo, exec_lo, s15
	s_cbranch_execz .LBB51_16
.LBB51_12:                              ; =>This Inner Loop Header: Depth=1
	v_sub_nc_u32_e32 v7, 0, v127
	v_max_i32_e32 v7, v127, v7
	v_mul_hi_u32 v8, v7, s12
	v_mul_lo_u32 v9, v8, s11
	v_sub_nc_u32_e32 v7, v7, v9
	v_add_nc_u32_e32 v9, 1, v8
	v_subrev_nc_u32_e32 v10, s11, v7
	v_cmp_le_u32_e64 s2, s11, v7
	v_cndmask_b32_e64 v8, v8, v9, s2
	v_cndmask_b32_e64 v7, v7, v10, s2
	v_ashrrev_i32_e32 v9, 31, v127
	v_add_nc_u32_e32 v10, 1, v8
	v_cmp_le_u32_e64 s2, s11, v7
	v_xor_b32_e32 v9, s19, v9
	v_cndmask_b32_e64 v7, v8, v10, s2
	v_xor_b32_e32 v7, v7, v9
	v_sub_nc_u32_e32 v7, v7, v9
	v_add_nc_u32_e32 v8, s33, v7
	v_cmp_ge_i32_e64 s3, s4, v7
	v_sub_nc_u32_e32 v9, 0, v8
	v_max_i32_e32 v9, v8, v9
	v_ashrrev_i32_e32 v8, 31, v8
	v_mul_hi_u32 v10, v9, v11
	v_mul_lo_u32 v10, v10, s43
	v_sub_nc_u32_e32 v9, v9, v10
	v_subrev_nc_u32_e32 v10, s43, v9
	v_cmp_le_u32_e64 s2, s43, v9
	v_cndmask_b32_e64 v9, v9, v10, s2
	v_subrev_nc_u32_e32 v10, s43, v9
	v_cmp_le_u32_e64 s2, s43, v9
	v_cndmask_b32_e64 v9, v9, v10, s2
	v_xor_b32_e32 v9, v9, v8
	v_sub_nc_u32_e32 v8, v9, v8
	v_cmp_ne_u32_e64 s2, 0, v8
	s_and_b32 s2, s2, s3
	s_and_saveexec_b32 s3, s2
	s_xor_b32 s2, exec_lo, s3
; %bb.13:                               ;   in Loop: Header=BB51_12 Depth=1
	v_mov_b32_e32 v7, 0xff7fffff
	ds_write_b32 v0, v7
; %bb.14:                               ;   in Loop: Header=BB51_12 Depth=1
	s_andn2_saveexec_b32 s3, s2
	s_cbranch_execz .LBB51_11
; %bb.15:                               ;   in Loop: Header=BB51_12 Depth=1
	global_load_dword v7, v[5:6], off
	buffer_load_dword v9, off, s[48:51], 0 offset:12 ; 4-byte Folded Reload
	s_waitcnt vmcnt(1)
	v_mad_i64_i32 v[7:8], null, v7, s5, 0
	v_lshlrev_b64 v[7:8], 2, v[7:8]
	s_waitcnt vmcnt(0)
	v_add_co_u32 v7, s2, v9, v7
	buffer_load_dword v9, off, s[48:51], 0 offset:28 ; 4-byte Folded Reload
	s_waitcnt vmcnt(0)
	v_add_co_ci_u32_e64 v8, null, v9, v8, s2
	global_load_dwordx4 v[13:16], v[7:8], off offset:512
	s_clause 0x3
	buffer_load_dword v17, off, s[48:51], 0 offset:60
	buffer_load_dword v18, off, s[48:51], 0 offset:64
	;; [unrolled: 1-line block ×4, first 2 shown]
	s_waitcnt vmcnt(3)
	v_mul_f32_e32 v10, v17, v13
	s_waitcnt vmcnt(2)
	v_mul_f32_e32 v11, v18, v14
	;; [unrolled: 2-line block ×4, first 2 shown]
	global_load_dwordx4 v[13:16], v[7:8], off
	s_clause 0x3
	buffer_load_dword v17, off, s[48:51], 0 offset:44
	buffer_load_dword v18, off, s[48:51], 0 offset:48
	buffer_load_dword v19, off, s[48:51], 0 offset:52
	buffer_load_dword v20, off, s[48:51], 0 offset:56
	s_waitcnt vmcnt(3)
	v_fmac_f32_e32 v10, v17, v13
	s_waitcnt vmcnt(2)
	v_fmac_f32_e32 v11, v18, v14
	;; [unrolled: 2-line block ×4, first 2 shown]
	global_load_dwordx4 v[13:16], v[7:8], off offset:1024
	s_clause 0x3
	buffer_load_dword v17, off, s[48:51], 0 offset:76
	buffer_load_dword v18, off, s[48:51], 0 offset:80
	;; [unrolled: 1-line block ×4, first 2 shown]
	s_waitcnt vmcnt(3)
	v_fmac_f32_e32 v10, v17, v13
	s_waitcnt vmcnt(2)
	v_fmac_f32_e32 v11, v18, v14
	s_waitcnt vmcnt(1)
	v_fmac_f32_e32 v12, v19, v15
	s_waitcnt vmcnt(0)
	v_fmac_f32_e32 v9, v20, v16
	global_load_dwordx4 v[13:16], v[7:8], off offset:1536
	s_clause 0x3
	buffer_load_dword v17, off, s[48:51], 0 offset:92
	buffer_load_dword v18, off, s[48:51], 0 offset:96
	;; [unrolled: 1-line block ×4, first 2 shown]
	s_waitcnt vmcnt(3)
	v_fmac_f32_e32 v10, v17, v13
	v_add_co_u32 v17, s2, v7, 0x1000
	s_waitcnt vmcnt(2)
	v_fmac_f32_e32 v11, v18, v14
	v_add_co_ci_u32_e64 v18, null, 0, v8, s2
	s_waitcnt vmcnt(1)
	v_fmac_f32_e32 v12, v19, v15
	s_waitcnt vmcnt(0)
	v_fmac_f32_e32 v9, v20, v16
	global_load_dwordx4 v[13:16], v[17:18], off offset:-2048
	s_clause 0x3
	buffer_load_dword v19, off, s[48:51], 0 offset:108
	buffer_load_dword v20, off, s[48:51], 0 offset:112
	;; [unrolled: 1-line block ×4, first 2 shown]
	s_waitcnt vmcnt(3)
	v_fmac_f32_e32 v10, v19, v13
	v_add_co_u32 v19, s2, 0x800, v7
	s_waitcnt vmcnt(2)
	v_fmac_f32_e32 v11, v20, v14
	v_add_co_ci_u32_e64 v20, null, 0, v8, s2
	s_waitcnt vmcnt(1)
	v_fmac_f32_e32 v12, v21, v15
	s_waitcnt vmcnt(0)
	v_fmac_f32_e32 v9, v22, v16
	global_load_dwordx4 v[13:16], v[19:20], off offset:512
	s_clause 0x3
	buffer_load_dword v21, off, s[48:51], 0 offset:124
	buffer_load_dword v22, off, s[48:51], 0 offset:128
	;; [unrolled: 1-line block ×4, first 2 shown]
	s_waitcnt vmcnt(3)
	v_fmac_f32_e32 v10, v21, v13
	s_waitcnt vmcnt(2)
	v_fmac_f32_e32 v11, v22, v14
	;; [unrolled: 2-line block ×4, first 2 shown]
	global_load_dwordx4 v[13:16], v[19:20], off offset:1024
	s_waitcnt vmcnt(0) lgkmcnt(25)
	v_fmac_f32_e32 v10, v25, v13
	v_fmac_f32_e32 v11, v26, v14
	;; [unrolled: 1-line block ×4, first 2 shown]
	global_load_dwordx4 v[13:16], v[19:20], off offset:1536
	s_waitcnt vmcnt(0) lgkmcnt(24)
	v_fmac_f32_e32 v10, v29, v13
	v_fmac_f32_e32 v11, v30, v14
	;; [unrolled: 1-line block ×4, first 2 shown]
	global_load_dwordx4 v[13:16], v[17:18], off
	v_add_co_u32 v17, s2, 0x1000, v7
	v_add_co_ci_u32_e64 v18, null, 0, v8, s2
	s_waitcnt vmcnt(0) lgkmcnt(23)
	v_fmac_f32_e32 v10, v33, v13
	v_fmac_f32_e32 v11, v34, v14
	v_fmac_f32_e32 v12, v35, v15
	v_fmac_f32_e32 v9, v36, v16
	global_load_dwordx4 v[13:16], v[17:18], off offset:512
	s_waitcnt vmcnt(0) lgkmcnt(22)
	v_fmac_f32_e32 v10, v37, v13
	v_fmac_f32_e32 v11, v38, v14
	v_fmac_f32_e32 v12, v39, v15
	v_fmac_f32_e32 v9, v40, v16
	global_load_dwordx4 v[13:16], v[17:18], off offset:1024
	;; [unrolled: 6-line block ×3, first 2 shown]
	v_add_co_u32 v17, s2, v7, 0x2000
	v_add_co_ci_u32_e64 v18, null, 0, v8, s2
	v_add_co_u32 v19, s2, 0x1800, v7
	v_add_co_ci_u32_e64 v20, null, 0, v8, s2
	s_waitcnt vmcnt(0) lgkmcnt(20)
	v_fmac_f32_e32 v10, v45, v13
	v_fmac_f32_e32 v11, v46, v14
	;; [unrolled: 1-line block ×4, first 2 shown]
	global_load_dwordx4 v[13:16], v[17:18], off offset:-2048
	s_waitcnt vmcnt(0) lgkmcnt(19)
	v_fmac_f32_e32 v10, v49, v13
	v_fmac_f32_e32 v11, v50, v14
	v_fmac_f32_e32 v12, v51, v15
	v_fmac_f32_e32 v9, v52, v16
	global_load_dwordx4 v[13:16], v[19:20], off offset:512
	s_waitcnt vmcnt(0) lgkmcnt(18)
	v_fmac_f32_e32 v10, v53, v13
	v_fmac_f32_e32 v11, v54, v14
	v_fmac_f32_e32 v12, v55, v15
	v_fmac_f32_e32 v9, v56, v16
	global_load_dwordx4 v[13:16], v[19:20], off offset:1024
	;; [unrolled: 6-line block ×3, first 2 shown]
	s_waitcnt vmcnt(0) lgkmcnt(16)
	v_fmac_f32_e32 v10, v61, v13
	v_fmac_f32_e32 v11, v62, v14
	;; [unrolled: 1-line block ×4, first 2 shown]
	global_load_dwordx4 v[13:16], v[17:18], off
	v_add_co_u32 v17, s2, 0x2000, v7
	v_add_co_ci_u32_e64 v18, null, 0, v8, s2
	s_waitcnt vmcnt(0) lgkmcnt(15)
	v_fmac_f32_e32 v10, v65, v13
	v_fmac_f32_e32 v11, v66, v14
	v_fmac_f32_e32 v12, v67, v15
	v_fmac_f32_e32 v9, v68, v16
	global_load_dwordx4 v[13:16], v[17:18], off offset:512
	s_waitcnt vmcnt(0) lgkmcnt(14)
	v_fmac_f32_e32 v10, v69, v13
	v_fmac_f32_e32 v11, v70, v14
	v_fmac_f32_e32 v12, v71, v15
	v_fmac_f32_e32 v9, v72, v16
	global_load_dwordx4 v[13:16], v[17:18], off offset:1024
	;; [unrolled: 6-line block ×3, first 2 shown]
	v_add_co_u32 v17, s2, v7, 0x3000
	v_add_co_ci_u32_e64 v18, null, 0, v8, s2
	v_add_co_u32 v19, s2, 0x2800, v7
	v_add_co_ci_u32_e64 v20, null, 0, v8, s2
	s_waitcnt vmcnt(0) lgkmcnt(12)
	v_fmac_f32_e32 v10, v77, v13
	v_fmac_f32_e32 v11, v78, v14
	;; [unrolled: 1-line block ×4, first 2 shown]
	global_load_dwordx4 v[13:16], v[17:18], off offset:-2048
	s_waitcnt vmcnt(0) lgkmcnt(11)
	v_fmac_f32_e32 v10, v81, v13
	v_fmac_f32_e32 v11, v82, v14
	v_fmac_f32_e32 v12, v83, v15
	v_fmac_f32_e32 v9, v84, v16
	global_load_dwordx4 v[13:16], v[19:20], off offset:512
	s_waitcnt vmcnt(0) lgkmcnt(10)
	v_fmac_f32_e32 v10, v85, v13
	v_fmac_f32_e32 v11, v86, v14
	v_fmac_f32_e32 v12, v87, v15
	v_fmac_f32_e32 v9, v88, v16
	global_load_dwordx4 v[13:16], v[19:20], off offset:1024
	;; [unrolled: 6-line block ×3, first 2 shown]
	s_waitcnt vmcnt(0) lgkmcnt(8)
	v_fmac_f32_e32 v10, v93, v13
	v_fmac_f32_e32 v11, v94, v14
	;; [unrolled: 1-line block ×4, first 2 shown]
	global_load_dwordx4 v[13:16], v[17:18], off
	v_add_co_u32 v17, s2, 0x3000, v7
	v_add_co_ci_u32_e64 v18, null, 0, v8, s2
	v_add_co_u32 v7, s2, 0x3800, v7
	v_add_co_ci_u32_e64 v8, null, 0, v8, s2
	s_waitcnt vmcnt(0) lgkmcnt(7)
	v_fmac_f32_e32 v10, v97, v13
	v_fmac_f32_e32 v11, v98, v14
	v_fmac_f32_e32 v12, v99, v15
	v_fmac_f32_e32 v9, v100, v16
	global_load_dwordx4 v[13:16], v[17:18], off offset:512
	s_waitcnt vmcnt(0) lgkmcnt(6)
	v_fmac_f32_e32 v10, v101, v13
	v_fmac_f32_e32 v11, v102, v14
	v_fmac_f32_e32 v12, v103, v15
	v_fmac_f32_e32 v9, v104, v16
	global_load_dwordx4 v[13:16], v[17:18], off offset:1024
	;; [unrolled: 6-line block ×3, first 2 shown]
	s_waitcnt vmcnt(0) lgkmcnt(4)
	v_fmac_f32_e32 v10, v109, v13
	v_fmac_f32_e32 v11, v110, v14
	;; [unrolled: 1-line block ×4, first 2 shown]
	global_load_dwordx4 v[13:16], v[7:8], off
	s_waitcnt vmcnt(0) lgkmcnt(3)
	v_fmac_f32_e32 v10, v113, v13
	v_fmac_f32_e32 v11, v114, v14
	v_fmac_f32_e32 v12, v115, v15
	v_fmac_f32_e32 v9, v116, v16
	global_load_dwordx4 v[13:16], v[7:8], off offset:512
	s_waitcnt vmcnt(0) lgkmcnt(2)
	v_fmac_f32_e32 v10, v117, v13
	v_fmac_f32_e32 v11, v118, v14
	v_fmac_f32_e32 v12, v119, v15
	v_fmac_f32_e32 v9, v120, v16
	global_load_dwordx4 v[13:16], v[7:8], off offset:1024
	;; [unrolled: 6-line block ×3, first 2 shown]
	buffer_load_dword v8, off, s[48:51], 0 offset:252 ; 4-byte Folded Reload
	s_waitcnt vmcnt(1) lgkmcnt(0)
	v_fmac_f32_e32 v10, v1, v13
	v_fmac_f32_e32 v11, v2, v14
	s_waitcnt vmcnt(0)
	v_add_nc_u32_e32 v8, v8, v127
	v_fmac_f32_e32 v12, v3, v15
	v_fmac_f32_e32 v9, v4, v16
	v_add_f32_e32 v7, v10, v11
	buffer_load_dword v11, off, s[48:51], 0 offset:140 ; 4-byte Folded Reload
	v_cmp_gt_i32_e64 s2, s27, v8
	buffer_load_dword v8, off, s[48:51], 0 offset:144 ; 4-byte Folded Reload
	v_add_f32_e32 v7, v12, v7
	v_add_f32_e32 v7, v9, v7
	s_waitcnt vmcnt(0)
	v_add_nc_u32_e32 v8, v8, v127
	v_cvt_f32_i32_e32 v8, v8
	v_mul_f32_e32 v8, s40, v8
	v_cndmask_b32_e32 v8, 0, v8, vcc_lo
	v_fmac_f32_e32 v8, s37, v7
	v_max_f32_e32 v7, v126, v126
	v_max_f32_e32 v7, v7, v8
	v_cndmask_b32_e64 v126, v126, v7, s2
	v_cndmask_b32_e64 v7, 0, v8, s2
	ds_write_b32 v0, v7
	s_branch .LBB51_11
.LBB51_16:
	s_or_b32 exec_lo, exec_lo, s15
	s_waitcnt lgkmcnt(18)
	s_clause 0x2
	buffer_load_dword v55, off, s[48:51], 0 offset:268
	buffer_load_dword v125, off, s[48:51], 0 offset:272
	;; [unrolled: 1-line block ×3, first 2 shown]
.LBB51_17:
	s_or_b32 exec_lo, exec_lo, s42
	v_mbcnt_lo_u32_b32 v0, -1, 0
	s_waitcnt lgkmcnt(0)
	v_max_f32_e32 v4, v126, v126
	v_xor_b32_e32 v1, 16, v0
	v_xor_b32_e32 v3, 8, v0
	v_cmp_gt_i32_e32 vcc_lo, 32, v1
	v_cndmask_b32_e32 v1, v0, v1, vcc_lo
	v_cmp_gt_i32_e32 vcc_lo, 32, v3
	v_lshlrev_b32_e32 v1, 2, v1
	v_cndmask_b32_e32 v3, v0, v3, vcc_lo
	ds_bpermute_b32 v2, v1, v126
	s_waitcnt lgkmcnt(0)
	v_max_f32_e32 v5, v2, v2
	v_lshlrev_b32_e32 v2, 2, v3
	v_max_f32_e32 v3, v4, v5
	v_xor_b32_e32 v5, 4, v0
	ds_bpermute_b32 v4, v2, v3
	v_cmp_gt_i32_e32 vcc_lo, 32, v5
	v_cndmask_b32_e32 v5, v0, v5, vcc_lo
	v_lshlrev_b32_e32 v39, 2, v5
	v_xor_b32_e32 v5, 2, v0
	v_cmp_gt_i32_e32 vcc_lo, 32, v5
	s_waitcnt lgkmcnt(0)
	v_max_f32_e32 v4, v4, v4
	v_cndmask_b32_e32 v5, v0, v5, vcc_lo
	v_max_f32_e32 v3, v3, v4
	v_lshlrev_b32_e32 v48, 2, v5
	v_xor_b32_e32 v5, 1, v0
	ds_bpermute_b32 v4, v39, v3
	v_cmp_gt_i32_e32 vcc_lo, 32, v5
	v_cndmask_b32_e32 v5, v0, v5, vcc_lo
	v_lshlrev_b32_e32 v54, 2, v5
	s_waitcnt lgkmcnt(0)
	v_max_f32_e32 v4, v4, v4
	v_max_f32_e32 v3, v3, v4
	ds_bpermute_b32 v4, v48, v3
	s_waitcnt lgkmcnt(0)
	v_max_f32_e32 v4, v4, v4
	v_max_f32_e32 v0, v3, v4
	buffer_load_dword v4, off, s[48:51], 0 offset:252 ; 4-byte Folded Reload
	ds_bpermute_b32 v3, v54, v0
	s_waitcnt vmcnt(0)
	v_cmp_eq_u32_e32 vcc_lo, 0, v4
	v_lshlrev_b32_e32 v4, 2, v125
	s_and_saveexec_b32 s2, vcc_lo
	s_cbranch_execz .LBB51_19
; %bb.18:
	s_waitcnt lgkmcnt(0)
	v_max_f32_e32 v3, v3, v3
	v_max_f32_e32 v0, v0, v0
	;; [unrolled: 1-line block ×3, first 2 shown]
	ds_write_b32 v4, v0 offset:512
.LBB51_19:
	s_or_b32 exec_lo, exec_lo, s2
	buffer_load_dword v0, off, s[48:51], 0 offset:252 ; 4-byte Folded Reload
	s_waitcnt vmcnt(0) lgkmcnt(0)
	s_waitcnt_vscnt null, 0x0
	s_barrier
	buffer_gl0_inv
	v_cmp_gt_u32_e64 s2, 4, v0
	v_mov_b32_e32 v0, 0xff7fffff
	s_and_saveexec_b32 s3, s2
; %bb.20:
	ds_read_b32 v0, v10 offset:512
; %bb.21:
	s_or_b32 exec_lo, exec_lo, s3
	s_waitcnt lgkmcnt(0)
	ds_bpermute_b32 v3, v48, v0
	v_max_f32_e32 v0, v0, v0
	v_mov_b32_e32 v5, 0
	s_sub_i32 s3, s16, s41
	s_lshl_b32 s3, s3, 5
	s_add_i32 s3, s3, s38
	s_min_i32 s3, s3, s27
	s_sub_i32 s5, s3, s38
	v_cmp_gt_i32_e64 s3, s5, v55
	s_waitcnt lgkmcnt(0)
	v_max_f32_e32 v3, v3, v3
	v_max_f32_e32 v0, v0, v3
	ds_bpermute_b32 v3, v54, v0
	s_waitcnt lgkmcnt(0)
	v_max_f32_e32 v3, v3, v3
	v_max_f32_e32 v0, v0, v3
	v_lshl_add_u32 v3, v55, 2, 0x220
	ds_bpermute_b32 v0, v5, v0
	s_and_saveexec_b32 s15, s3
	s_cbranch_execz .LBB51_25
; %bb.22:
	v_lshl_add_u32 v6, v55, 2, 0x220
	v_mov_b32_e32 v5, 0
	v_mov_b32_e32 v7, v55
	s_mov_b32 s37, 0
	.p2align	6
.LBB51_23:                              ; =>This Inner Loop Header: Depth=1
	ds_read_b32 v8, v6
	v_add_nc_u32_e32 v7, 0x80, v7
	v_cmp_le_i32_e64 s4, s5, v7
	s_or_b32 s37, s4, s37
	s_waitcnt lgkmcnt(0)
	v_sub_f32_e32 v8, v8, v0
	v_mul_f32_e32 v8, 0x3fb8aa3b, v8
	v_exp_f32_e32 v8, v8
	ds_write_b32 v6, v8
	v_add_f32_e32 v5, v5, v8
	v_add_nc_u32_e32 v6, 0x200, v6
	s_andn2_b32 exec_lo, exec_lo, s37
	s_cbranch_execnz .LBB51_23
; %bb.24:
	s_or_b32 exec_lo, exec_lo, s37
.LBB51_25:
	s_or_b32 exec_lo, exec_lo, s15
	ds_bpermute_b32 v1, v1, v5
	s_waitcnt lgkmcnt(0)
	v_add_f32_e32 v1, v5, v1
	ds_bpermute_b32 v2, v2, v1
	s_waitcnt lgkmcnt(0)
	v_add_f32_e32 v1, v1, v2
	;; [unrolled: 3-line block ×5, first 2 shown]
	s_and_saveexec_b32 s4, vcc_lo
; %bb.26:
	ds_write_b32 v4, v1 offset:528
; %bb.27:
	s_or_b32 exec_lo, exec_lo, s4
	s_waitcnt lgkmcnt(0)
	s_barrier
	buffer_gl0_inv
	s_and_saveexec_b32 s4, s2
; %bb.28:
	ds_read_b32 v1, v10 offset:528
; %bb.29:
	s_or_b32 exec_lo, exec_lo, s4
	s_waitcnt lgkmcnt(0)
	ds_bpermute_b32 v2, v48, v1
	s_waitcnt lgkmcnt(0)
	v_add_f32_e32 v1, v1, v2
	ds_bpermute_b32 v2, v54, v1
	s_waitcnt lgkmcnt(0)
	v_add_f32_e32 v1, v1, v2
	v_mov_b32_e32 v2, 0
	ds_bpermute_b32 v1, v2, v1
	s_and_saveexec_b32 s2, s3
	s_cbranch_execz .LBB51_32
; %bb.30:
	s_waitcnt lgkmcnt(0)
	v_add_f32_e32 v2, 0x358637bd, v1
	s_mov_b32 s3, 0
	v_div_scale_f32 v4, null, v2, v2, 1.0
	v_div_scale_f32 v7, vcc_lo, 1.0, v2, 1.0
	v_rcp_f32_e32 v5, v4
	v_fma_f32 v6, -v4, v5, 1.0
	v_fmac_f32_e32 v5, v6, v5
	v_mul_f32_e32 v6, v7, v5
	v_fma_f32 v8, -v4, v6, v7
	v_fmac_f32_e32 v6, v8, v5
	v_fma_f32 v4, -v4, v6, v7
	v_div_fmas_f32 v4, v4, v5, v6
	v_div_fixup_f32 v2, v4, v2, 1.0
	v_mov_b32_e32 v4, v55
.LBB51_31:                              ; =>This Inner Loop Header: Depth=1
	ds_read_b32 v5, v3
	v_add_nc_u32_e32 v4, 0x80, v4
	v_cmp_le_i32_e32 vcc_lo, s5, v4
	s_or_b32 s3, vcc_lo, s3
	s_waitcnt lgkmcnt(0)
	v_mul_f32_e32 v5, v2, v5
	ds_write_b32 v3, v5
	v_add_nc_u32_e32 v3, 0x200, v3
	s_andn2_b32 exec_lo, exec_lo, s3
	s_cbranch_execnz .LBB51_31
.LBB51_32:
	s_or_b32 exec_lo, exec_lo, s2
	s_mul_i32 s2, s7, s26
	s_mov_b32 s4, exec_lo
	s_mul_i32 s2, s2, s9
	s_waitcnt lgkmcnt(0)
	s_barrier
	buffer_gl0_inv
	v_cmpx_eq_u32_e32 0, v55
	s_cbranch_execz .LBB51_34
; %bb.33:
	s_ashr_i32 s3, s2, 31
	s_mul_i32 s42, s7, s6
	s_lshl_b64 s[40:41], s[2:3], 2
	v_mov_b32_e32 v2, 0
	s_add_u32 s3, s22, s40
	s_addc_u32 s5, s23, s41
	s_ashr_i32 s43, s42, 31
	s_lshl_b64 s[22:23], s[42:43], 2
	s_add_u32 s3, s3, s22
	s_addc_u32 s5, s5, s23
	s_ashr_i32 s9, s8, 31
	s_lshl_b64 s[42:43], s[8:9], 2
	s_add_u32 s44, s3, s42
	s_addc_u32 s45, s5, s43
	s_add_u32 s3, s20, s40
	s_addc_u32 s5, s21, s41
	;; [unrolled: 2-line block ×4, first 2 shown]
	global_store_dword v2, v0, s[44:45]
	global_store_dword v2, v1, s[20:21]
.LBB51_34:
	s_or_b32 exec_lo, exec_lo, s4
	v_mov_b32_e32 v18, 0
	v_and_b32_e32 v56, 7, v55
	v_mov_b32_e32 v37, 0
	v_mov_b32_e32 v17, 0
	;; [unrolled: 1-line block ×31, first 2 shown]
	s_and_saveexec_b32 s3, s1
	s_cbranch_execz .LBB51_104
; %bb.35:
	buffer_store_dword v39, off, s[48:51], 0 offset:284 ; 4-byte Folded Spill
	buffer_store_dword v48, off, s[48:51], 0 offset:280 ; 4-byte Folded Spill
	;; [unrolled: 1-line block ×3, first 2 shown]
	s_clause 0x1
	buffer_load_dword v1, off, s[48:51], 0
	buffer_load_dword v2, off, s[48:51], 0 offset:4
	s_ashr_i32 s15, s14, 31
	s_sub_i32 s4, s39, s17
	s_lshl_b64 s[14:15], s[14:15], 2
	v_lshlrev_b32_e32 v0, 2, v55
	s_add_u32 s5, s34, s14
	s_addc_u32 s6, s35, s15
	s_abs_i32 s9, s18
	s_lshl_b64 s[20:21], s[30:31], 2
	v_cvt_f32_u32_e32 v3, s9
	v_and_b32_e32 v5, 28, v0
	s_sub_i32 s1, 0, s9
	s_add_i32 s14, s36, -1
	v_lshlrev_b32_e32 v4, 4, v56
	v_rcp_iflag_f32_e32 v3, v3
	buffer_store_dword v5, off, s[48:51], 0 offset:256 ; 4-byte Folded Spill
	v_and_b32_e32 v6, 0x7c, v0
	v_or_b32_e32 v7, 0xf80, v0
	v_lshl_or_b32 v4, v125, 7, v4
	v_mov_b32_e32 v49, 0
	v_mov_b32_e32 v50, 0
	;; [unrolled: 1-line block ×4, first 2 shown]
	v_add_nc_u32_e32 v0, 0x220, v4
	v_mul_f32_e32 v3, 0x4f7ffffe, v3
	v_lshlrev_b32_e32 v4, 2, v6
	v_mov_b32_e32 v43, 0
	v_mov_b32_e32 v46, 0
	;; [unrolled: 1-line block ×3, first 2 shown]
	v_cvt_u32_f32_e32 v3, v3
	v_mov_b32_e32 v42, 0
	v_mov_b32_e32 v52, 0
	;; [unrolled: 1-line block ×4, first 2 shown]
	v_mul_lo_u32 v5, s1, v3
	s_add_u32 s1, s28, s20
	s_addc_u32 s15, s29, s21
	v_mov_b32_e32 v35, 0
	v_mov_b32_e32 v31, 0
	;; [unrolled: 1-line block ×5, first 2 shown]
	v_mul_hi_u32 v5, v3, v5
	v_mov_b32_e32 v58, 0
	buffer_store_dword v4, off, s[48:51], 0 offset:260 ; 4-byte Folded Spill
	v_lshlrev_b32_e32 v4, 2, v7
	v_mov_b32_e32 v59, 0
	v_mov_b32_e32 v30, 0
	;; [unrolled: 1-line block ×15, first 2 shown]
	buffer_store_dword v56, off, s[48:51], 0 offset:288 ; 4-byte Folded Spill
	buffer_store_dword v4, off, s[48:51], 0 offset:264 ; 4-byte Folded Spill
	s_waitcnt vmcnt(0)
	v_lshlrev_b64 v[1:2], 2, v[1:2]
	v_add_co_u32 v126, vcc_lo, s1, v1
	v_add_nc_u32_e32 v1, v3, v5
	v_add_co_ci_u32_e64 v127, null, s15, v2, vcc_lo
	s_mov_b32 s15, s13
	s_mov_b32 s13, 0
	buffer_store_dword v1, off, s[48:51], 0 offset:60 ; 4-byte Folded Spill
	buffer_load_dword v1, off, s[48:51], 0 offset:8 ; 4-byte Folded Reload
	s_branch .LBB51_38
.LBB51_36:                              ;   in Loop: Header=BB51_38 Depth=1
	s_or_b32 exec_lo, exec_lo, s1
	s_waitcnt lgkmcnt(0)
	v_mul_f32_e32 v77, v1, v77
	v_mul_f32_e32 v16, v1, v81
	;; [unrolled: 1-line block ×5, first 2 shown]
	v_fmac_f32_e32 v77, v2, v78
	v_mul_f32_e32 v57, v1, v57
	v_fmac_f32_e32 v17, v2, v18
	v_fmac_f32_e32 v25, v2, v26
	;; [unrolled: 1-line block ×6, first 2 shown]
	v_mul_f32_e32 v29, v1, v29
	v_fmac_f32_e32 v25, v3, v27
	v_fmac_f32_e32 v77, v4, v80
	s_clause 0x3
	buffer_load_dword v78, off, s[48:51], 0 offset:44
	buffer_load_dword v79, off, s[48:51], 0 offset:48
	;; [unrolled: 1-line block ×4, first 2 shown]
	v_fmac_f32_e32 v21, v3, v23
	v_fmac_f32_e32 v57, v3, v59
	;; [unrolled: 1-line block ×4, first 2 shown]
	v_mul_f32_e32 v37, v1, v37
	v_fmac_f32_e32 v21, v4, v24
	v_mul_f32_e32 v33, v1, v33
	v_fmac_f32_e32 v29, v3, v31
	v_fmac_f32_e32 v17, v4, v20
	;; [unrolled: 1-line block ×3, first 2 shown]
	v_mul_f32_e32 v49, v1, v49
	v_fmac_f32_e32 v33, v2, v34
	v_fmac_f32_e32 v29, v4, v32
	v_mul_f32_e32 v41, v1, v41
	v_fmac_f32_e32 v37, v3, v39
	v_fmac_f32_e32 v49, v2, v50
	v_fmac_f32_e32 v33, v3, v35
	v_mul_f32_e32 v45, v1, v45
	v_fmac_f32_e32 v41, v2, v42
	v_fmac_f32_e32 v37, v4, v40
	;; [unrolled: 1-line block ×6, first 2 shown]
	v_mul_f32_e32 v9, v1, v9
	v_fmac_f32_e32 v49, v4, v52
	v_mul_f32_e32 v5, v1, v5
	v_fmac_f32_e32 v45, v3, v47
	v_fmac_f32_e32 v41, v4, v44
	;; [unrolled: 1-line block ×3, first 2 shown]
	v_mul_f32_e32 v10, v1, v109
	v_fmac_f32_e32 v5, v2, v6
	v_mul_f32_e32 v6, v1, v121
	v_mul_f32_e32 v13, v1, v97
	v_fmac_f32_e32 v9, v3, v11
	v_mul_f32_e32 v11, v1, v105
	v_fmac_f32_e32 v5, v3, v7
	v_mul_f32_e32 v7, v1, v117
	v_mul_f32_e32 v14, v1, v93
	v_fmac_f32_e32 v9, v4, v12
	v_mul_f32_e32 v12, v1, v101
	v_fmac_f32_e32 v5, v4, v8
	v_mul_f32_e32 v8, v1, v113
	v_mul_f32_e32 v15, v1, v85
	;; [unrolled: 1-line block ×7, first 2 shown]
	v_fmac_f32_e32 v6, v2, v122
	v_fmac_f32_e32 v7, v2, v118
	;; [unrolled: 1-line block ×47, first 2 shown]
	s_waitcnt vmcnt(3)
	v_mul_f32_e32 v18, v1, v78
	s_waitcnt vmcnt(2)
	v_fmac_f32_e32 v18, v2, v79
	s_waitcnt vmcnt(1)
	v_fmac_f32_e32 v18, v3, v80
	s_waitcnt vmcnt(0)
	v_fmac_f32_e32 v18, v4, v81
	s_clause 0x3
	buffer_load_dword v78, off, s[48:51], 0 offset:28
	buffer_load_dword v79, off, s[48:51], 0 offset:32
	;; [unrolled: 1-line block ×4, first 2 shown]
	s_waitcnt vmcnt(3)
	v_mul_f32_e32 v19, v1, v78
	s_waitcnt vmcnt(2)
	v_fmac_f32_e32 v19, v2, v79
	s_waitcnt vmcnt(1)
	v_fmac_f32_e32 v19, v3, v80
	;; [unrolled: 2-line block ×3, first 2 shown]
	s_clause 0x1b
	buffer_load_dword v78, off, s[48:51], 0 offset:12
	buffer_load_dword v79, off, s[48:51], 0 offset:16
	;; [unrolled: 1-line block ×28, first 2 shown]
	s_waitcnt vmcnt(27)
	v_mul_f32_e32 v20, v1, v78
	v_mul_f32_e32 v1, v1, v89
	s_waitcnt vmcnt(23)
	v_add_f32_e32 v58, v58, v65
	v_fmac_f32_e32 v20, v2, v79
	v_fmac_f32_e32 v1, v2, v90
	s_waitcnt vmcnt(22)
	v_add_f32_e32 v59, v59, v61
	s_waitcnt vmcnt(19)
	v_add_f32_e32 v22, v22, v49
	buffer_load_dword v49, off, s[48:51], 0 offset:76 ; 4-byte Folded Reload
	v_fmac_f32_e32 v20, v3, v80
	s_waitcnt vmcnt(17)
	v_add_f32_e32 v26, v26, v37
	buffer_load_dword v37, off, s[48:51], 0 offset:248 ; 4-byte Folded Reload
	s_waitcnt vmcnt(17)
	v_add_f32_e32 v28, v28, v33
	buffer_load_dword v33, off, s[48:51], 0 offset:224 ; 4-byte Folded Reload
	v_fmac_f32_e32 v1, v3, v91
	v_fmac_f32_e32 v20, v4, v81
	s_waitcnt vmcnt(17)
	v_add_f32_e32 v50, v50, v9
	s_waitcnt vmcnt(16)
	v_add_f32_e32 v47, v47, v5
	;; [unrolled: 2-line block ×3, first 2 shown]
	v_fmac_f32_e32 v1, v4, v92
	s_waitcnt vmcnt(14)
	v_add_f32_e32 v43, v43, v7
	s_waitcnt vmcnt(13)
	v_add_f32_e32 v46, v46, v8
	;; [unrolled: 2-line block ×12, first 2 shown]
	v_add_f32_e32 v30, v30, v57
	v_add_f32_e32 v27, v27, v53
	;; [unrolled: 1-line block ×4, first 2 shown]
	s_waitcnt vmcnt(2)
	v_add_f32_e32 v49, v49, v1
	s_waitcnt vmcnt(1)
	v_add_f32_e32 v37, v37, v19
	;; [unrolled: 2-line block ×3, first 2 shown]
	buffer_load_dword v29, off, s[48:51], 0 offset:228 ; 4-byte Folded Reload
	s_waitcnt vmcnt(0)
	v_add_f32_e32 v29, v29, v25
	buffer_load_dword v25, off, s[48:51], 0 offset:232 ; 4-byte Folded Reload
	s_waitcnt vmcnt(0)
	v_add_f32_e32 v25, v25, v21
	;; [unrolled: 3-line block ×5, first 2 shown]
.LBB51_37:                              ;   in Loop: Header=BB51_38 Depth=1
	s_or_b32 exec_lo, exec_lo, s17
	s_clause 0x1
	buffer_load_dword v1, off, s[48:51], 0
	buffer_load_dword v2, off, s[48:51], 0 offset:4
	v_add_co_u32 v126, s1, v126, 16
	v_add_co_ci_u32_e64 v127, null, 0, v127, s1
	v_add_nc_u32_e32 v0, 0x200, v0
	s_waitcnt vmcnt(0)
	v_mov_b32_e32 v2, v1
	v_add_nc_u32_e32 v2, 4, v2
	v_mov_b32_e32 v1, v2
	buffer_store_dword v1, off, s[48:51], 0 ; 4-byte Folded Spill
	buffer_store_dword v2, off, s[48:51], 0 offset:4 ; 4-byte Folded Spill
	buffer_load_dword v1, off, s[48:51], 0 offset:8 ; 4-byte Folded Reload
	v_cmp_le_i32_e32 vcc_lo, s16, v2
	s_waitcnt vmcnt(0)
	v_add_nc_u32_e32 v1, 0x80, v1
	s_or_b32 s13, vcc_lo, s13
	s_andn2_b32 exec_lo, exec_lo, s13
	s_cbranch_execz .LBB51_103
.LBB51_38:                              ; =>This Inner Loop Header: Depth=1
	s_waitcnt vmcnt(0)
	v_mov_b32_e32 v5, v1
	v_sub_nc_u32_e32 v1, 0, v5
	buffer_store_dword v5, off, s[48:51], 0 offset:8 ; 4-byte Folded Spill
	v_max_i32_e32 v1, v5, v1
	v_mul_hi_u32 v2, v1, s12
	v_mul_lo_u32 v3, v2, s11
	v_sub_nc_u32_e32 v1, v1, v3
	v_add_nc_u32_e32 v3, 1, v2
	v_subrev_nc_u32_e32 v4, s11, v1
	v_cmp_le_u32_e32 vcc_lo, s11, v1
	v_cndmask_b32_e32 v2, v2, v3, vcc_lo
	v_cndmask_b32_e32 v1, v1, v4, vcc_lo
	v_ashrrev_i32_e32 v3, 31, v5
	v_add_nc_u32_e32 v4, 1, v2
	v_cmp_le_u32_e32 vcc_lo, s11, v1
	v_xor_b32_e32 v3, s19, v3
	v_cndmask_b32_e32 v1, v2, v4, vcc_lo
	buffer_load_dword v4, off, s[48:51], 0 offset:60 ; 4-byte Folded Reload
	v_xor_b32_e32 v1, v1, v3
	v_sub_nc_u32_e32 v1, v1, v3
	v_add_nc_u32_e32 v2, s33, v1
	v_cmp_lt_i32_e64 s1, s4, v1
	v_sub_nc_u32_e32 v3, 0, v2
	v_max_i32_e32 v3, v2, v3
	v_ashrrev_i32_e32 v2, 31, v2
	s_waitcnt vmcnt(0)
	v_mul_hi_u32 v4, v3, v4
	v_mul_lo_u32 v4, v4, s9
	v_sub_nc_u32_e32 v3, v3, v4
	v_subrev_nc_u32_e32 v4, s9, v3
	v_cmp_le_u32_e32 vcc_lo, s9, v3
	v_cndmask_b32_e32 v3, v3, v4, vcc_lo
	v_subrev_nc_u32_e32 v4, s9, v3
	v_cmp_le_u32_e32 vcc_lo, s9, v3
	v_cndmask_b32_e32 v3, v3, v4, vcc_lo
	v_xor_b32_e32 v3, v3, v2
	v_sub_nc_u32_e32 v2, v3, v2
	v_cmp_eq_u32_e32 vcc_lo, 0, v2
	s_or_b32 s1, vcc_lo, s1
	s_and_saveexec_b32 s17, s1
	s_cbranch_execz .LBB51_37
; %bb.39:                               ;   in Loop: Header=BB51_38 Depth=1
	buffer_store_dword v37, off, s[48:51], 0 offset:248 ; 4-byte Folded Spill
	buffer_store_dword v18, off, s[48:51], 0 offset:244 ; 4-byte Folded Spill
	;; [unrolled: 1-line block ×32, first 2 shown]
	global_load_dword v1, v[126:127], off
	s_waitcnt vmcnt(0)
	v_mad_i64_i32 v[1:2], null, v1, s15, 0
	v_lshlrev_b64 v[1:2], 2, v[1:2]
	v_add_co_u32 v16, vcc_lo, s5, v1
	buffer_load_dword v1, off, s[48:51], 0 offset:260 ; 4-byte Folded Reload
	v_add_co_ci_u32_e64 v89, null, s6, v2, vcc_lo
	s_waitcnt vmcnt(0)
	v_add_co_u32 v5, vcc_lo, v16, v1
	v_add_co_ci_u32_e64 v6, null, 0, v89, vcc_lo
	global_load_dwordx4 v[1:4], v[5:6], off
	s_waitcnt vmcnt(0)
	buffer_store_dword v1, off, s[48:51], 0 offset:12 ; 4-byte Folded Spill
	buffer_store_dword v2, off, s[48:51], 0 offset:16 ; 4-byte Folded Spill
	;; [unrolled: 1-line block ×4, first 2 shown]
	ds_read_b128 v[1:4], v0
	s_clause 0x1
	buffer_load_dword v7, off, s[48:51], 0 offset:8
	buffer_load_dword v8, off, s[48:51], 0 offset:256
	s_waitcnt vmcnt(0)
	v_add_nc_u32_e32 v13, v8, v7
	s_clause 0x1
	buffer_load_dword v7, off, s[48:51], 0
	buffer_load_dword v8, off, s[48:51], 0 offset:4
	v_add_nc_u32_e32 v15, 1, v13
	v_add_nc_u32_e32 v14, 2, v13
	;; [unrolled: 1-line block ×3, first 2 shown]
	s_waitcnt vmcnt(1)
	v_cmp_eq_u32_e32 vcc_lo, s14, v7
	s_and_saveexec_b32 s18, vcc_lo
	s_cbranch_execz .LBB51_41
; %bb.40:                               ;   in Loop: Header=BB51_38 Depth=1
	s_clause 0x3
	buffer_load_dword v7, off, s[48:51], 0 offset:12
	buffer_load_dword v8, off, s[48:51], 0 offset:16
	;; [unrolled: 1-line block ×4, first 2 shown]
	v_cmp_gt_i32_e64 s1, s27, v13
	s_waitcnt vmcnt(3)
	v_cndmask_b32_e64 v7, 0, v7, s1
	v_cmp_gt_i32_e64 s1, s27, v15
	s_waitcnt vmcnt(2)
	v_cndmask_b32_e64 v8, 0, v8, s1
	;; [unrolled: 3-line block ×4, first 2 shown]
	buffer_store_dword v7, off, s[48:51], 0 offset:12 ; 4-byte Folded Spill
	buffer_store_dword v8, off, s[48:51], 0 offset:16 ; 4-byte Folded Spill
	;; [unrolled: 1-line block ×4, first 2 shown]
.LBB51_41:                              ;   in Loop: Header=BB51_38 Depth=1
	s_or_b32 exec_lo, exec_lo, s18
	global_load_dwordx4 v[7:10], v[5:6], off offset:512
	s_waitcnt vmcnt(0)
	buffer_store_dword v7, off, s[48:51], 0 offset:28 ; 4-byte Folded Spill
	buffer_store_dword v8, off, s[48:51], 0 offset:32 ; 4-byte Folded Spill
	;; [unrolled: 1-line block ×4, first 2 shown]
	s_and_saveexec_b32 s18, vcc_lo
	s_cbranch_execz .LBB51_43
; %bb.42:                               ;   in Loop: Header=BB51_38 Depth=1
	s_clause 0x3
	buffer_load_dword v7, off, s[48:51], 0 offset:28
	buffer_load_dword v8, off, s[48:51], 0 offset:32
	;; [unrolled: 1-line block ×4, first 2 shown]
	v_cmp_gt_i32_e64 s1, s27, v13
	s_waitcnt vmcnt(3)
	v_cndmask_b32_e64 v7, 0, v7, s1
	v_cmp_gt_i32_e64 s1, s27, v15
	s_waitcnt vmcnt(2)
	v_cndmask_b32_e64 v8, 0, v8, s1
	;; [unrolled: 3-line block ×4, first 2 shown]
	buffer_store_dword v7, off, s[48:51], 0 offset:28 ; 4-byte Folded Spill
	buffer_store_dword v8, off, s[48:51], 0 offset:32 ; 4-byte Folded Spill
	;; [unrolled: 1-line block ×4, first 2 shown]
.LBB51_43:                              ;   in Loop: Header=BB51_38 Depth=1
	s_or_b32 exec_lo, exec_lo, s18
	global_load_dwordx4 v[7:10], v[5:6], off offset:1024
	s_waitcnt vmcnt(0)
	buffer_store_dword v7, off, s[48:51], 0 offset:44 ; 4-byte Folded Spill
	buffer_store_dword v8, off, s[48:51], 0 offset:48 ; 4-byte Folded Spill
	;; [unrolled: 1-line block ×4, first 2 shown]
	s_and_saveexec_b32 s18, vcc_lo
	s_cbranch_execz .LBB51_45
; %bb.44:                               ;   in Loop: Header=BB51_38 Depth=1
	s_clause 0x3
	buffer_load_dword v7, off, s[48:51], 0 offset:44
	buffer_load_dword v8, off, s[48:51], 0 offset:48
	;; [unrolled: 1-line block ×4, first 2 shown]
	v_cmp_gt_i32_e64 s1, s27, v13
	s_waitcnt vmcnt(3)
	v_cndmask_b32_e64 v7, 0, v7, s1
	v_cmp_gt_i32_e64 s1, s27, v15
	s_waitcnt vmcnt(2)
	v_cndmask_b32_e64 v8, 0, v8, s1
	;; [unrolled: 3-line block ×4, first 2 shown]
	buffer_store_dword v7, off, s[48:51], 0 offset:44 ; 4-byte Folded Spill
	buffer_store_dword v8, off, s[48:51], 0 offset:48 ; 4-byte Folded Spill
	;; [unrolled: 1-line block ×4, first 2 shown]
.LBB51_45:                              ;   in Loop: Header=BB51_38 Depth=1
	s_or_b32 exec_lo, exec_lo, s18
	global_load_dwordx4 v[17:20], v[5:6], off offset:1536
	s_and_saveexec_b32 s18, vcc_lo
	s_cbranch_execz .LBB51_47
; %bb.46:                               ;   in Loop: Header=BB51_38 Depth=1
	v_cmp_gt_i32_e64 s1, s27, v13
	s_waitcnt vmcnt(0)
	v_cndmask_b32_e64 v17, 0, v17, s1
	v_cmp_gt_i32_e64 s1, s27, v15
	v_cndmask_b32_e64 v18, 0, v18, s1
	v_cmp_gt_i32_e64 s1, s27, v14
	;; [unrolled: 2-line block ×3, first 2 shown]
	v_cndmask_b32_e64 v20, 0, v20, s1
.LBB51_47:                              ;   in Loop: Header=BB51_38 Depth=1
	s_or_b32 exec_lo, exec_lo, s18
	v_add_co_u32 v7, s1, 0x800, v5
	v_add_co_ci_u32_e64 v8, null, 0, v6, s1
	global_load_dwordx4 v[21:24], v[7:8], off
	s_and_saveexec_b32 s18, vcc_lo
	s_cbranch_execnz .LBB51_83
; %bb.48:                               ;   in Loop: Header=BB51_38 Depth=1
	s_or_b32 exec_lo, exec_lo, s18
	global_load_dwordx4 v[25:28], v[7:8], off offset:512
	s_and_saveexec_b32 s18, vcc_lo
	s_cbranch_execnz .LBB51_84
.LBB51_49:                              ;   in Loop: Header=BB51_38 Depth=1
	s_or_b32 exec_lo, exec_lo, s18
	global_load_dwordx4 v[29:32], v[7:8], off offset:1024
	s_and_saveexec_b32 s18, vcc_lo
	s_cbranch_execnz .LBB51_85
.LBB51_50:                              ;   in Loop: Header=BB51_38 Depth=1
	s_or_b32 exec_lo, exec_lo, s18
	global_load_dwordx4 v[33:36], v[7:8], off offset:1536
	s_and_saveexec_b32 s18, vcc_lo
	s_cbranch_execz .LBB51_52
.LBB51_51:                              ;   in Loop: Header=BB51_38 Depth=1
	v_cmp_gt_i32_e64 s1, s27, v13
	s_waitcnt vmcnt(0)
	v_cndmask_b32_e64 v33, 0, v33, s1
	v_cmp_gt_i32_e64 s1, s27, v15
	v_cndmask_b32_e64 v34, 0, v34, s1
	v_cmp_gt_i32_e64 s1, s27, v14
	;; [unrolled: 2-line block ×3, first 2 shown]
	v_cndmask_b32_e64 v36, 0, v36, s1
.LBB51_52:                              ;   in Loop: Header=BB51_38 Depth=1
	s_or_b32 exec_lo, exec_lo, s18
	v_add_co_u32 v7, s1, 0x1000, v5
	v_add_co_ci_u32_e64 v8, null, 0, v6, s1
	global_load_dwordx4 v[37:40], v[7:8], off
	s_and_saveexec_b32 s18, vcc_lo
	s_cbranch_execnz .LBB51_86
; %bb.53:                               ;   in Loop: Header=BB51_38 Depth=1
	s_or_b32 exec_lo, exec_lo, s18
	global_load_dwordx4 v[41:44], v[7:8], off offset:512
	s_and_saveexec_b32 s18, vcc_lo
	s_cbranch_execnz .LBB51_87
.LBB51_54:                              ;   in Loop: Header=BB51_38 Depth=1
	s_or_b32 exec_lo, exec_lo, s18
	global_load_dwordx4 v[45:48], v[7:8], off offset:1024
	s_and_saveexec_b32 s18, vcc_lo
	s_cbranch_execnz .LBB51_88
.LBB51_55:                              ;   in Loop: Header=BB51_38 Depth=1
	s_or_b32 exec_lo, exec_lo, s18
	global_load_dwordx4 v[49:52], v[7:8], off offset:1536
	s_and_saveexec_b32 s18, vcc_lo
	s_cbranch_execz .LBB51_57
.LBB51_56:                              ;   in Loop: Header=BB51_38 Depth=1
	v_cmp_gt_i32_e64 s1, s27, v13
	s_waitcnt vmcnt(0)
	v_cndmask_b32_e64 v49, 0, v49, s1
	v_cmp_gt_i32_e64 s1, s27, v15
	v_cndmask_b32_e64 v50, 0, v50, s1
	v_cmp_gt_i32_e64 s1, s27, v14
	;; [unrolled: 2-line block ×3, first 2 shown]
	v_cndmask_b32_e64 v52, 0, v52, s1
.LBB51_57:                              ;   in Loop: Header=BB51_38 Depth=1
	s_or_b32 exec_lo, exec_lo, s18
	v_add_co_u32 v7, s1, 0x1800, v5
	v_add_co_ci_u32_e64 v8, null, 0, v6, s1
	global_load_dwordx4 v[53:56], v[7:8], off
	s_and_saveexec_b32 s18, vcc_lo
	s_cbranch_execnz .LBB51_89
; %bb.58:                               ;   in Loop: Header=BB51_38 Depth=1
	s_or_b32 exec_lo, exec_lo, s18
	global_load_dwordx4 v[57:60], v[7:8], off offset:512
	s_and_saveexec_b32 s18, vcc_lo
	s_cbranch_execnz .LBB51_90
.LBB51_59:                              ;   in Loop: Header=BB51_38 Depth=1
	s_or_b32 exec_lo, exec_lo, s18
	global_load_dwordx4 v[61:64], v[7:8], off offset:1024
	s_and_saveexec_b32 s18, vcc_lo
	s_cbranch_execnz .LBB51_91
.LBB51_60:                              ;   in Loop: Header=BB51_38 Depth=1
	s_or_b32 exec_lo, exec_lo, s18
	global_load_dwordx4 v[65:68], v[7:8], off offset:1536
	s_and_saveexec_b32 s18, vcc_lo
	s_cbranch_execz .LBB51_62
.LBB51_61:                              ;   in Loop: Header=BB51_38 Depth=1
	v_cmp_gt_i32_e64 s1, s27, v13
	s_waitcnt vmcnt(0)
	v_cndmask_b32_e64 v65, 0, v65, s1
	v_cmp_gt_i32_e64 s1, s27, v15
	v_cndmask_b32_e64 v66, 0, v66, s1
	v_cmp_gt_i32_e64 s1, s27, v14
	;; [unrolled: 2-line block ×3, first 2 shown]
	v_cndmask_b32_e64 v68, 0, v68, s1
.LBB51_62:                              ;   in Loop: Header=BB51_38 Depth=1
	s_or_b32 exec_lo, exec_lo, s18
	v_add_co_u32 v7, s1, 0x2000, v5
	v_add_co_ci_u32_e64 v8, null, 0, v6, s1
	global_load_dwordx4 v[69:72], v[7:8], off
	s_and_saveexec_b32 s18, vcc_lo
	s_cbranch_execnz .LBB51_92
; %bb.63:                               ;   in Loop: Header=BB51_38 Depth=1
	s_or_b32 exec_lo, exec_lo, s18
	global_load_dwordx4 v[73:76], v[7:8], off offset:512
	s_and_saveexec_b32 s18, vcc_lo
	s_cbranch_execnz .LBB51_93
.LBB51_64:                              ;   in Loop: Header=BB51_38 Depth=1
	s_or_b32 exec_lo, exec_lo, s18
	global_load_dwordx4 v[77:80], v[7:8], off offset:1024
	s_and_saveexec_b32 s18, vcc_lo
	s_cbranch_execnz .LBB51_94
.LBB51_65:                              ;   in Loop: Header=BB51_38 Depth=1
	s_or_b32 exec_lo, exec_lo, s18
	global_load_dwordx4 v[81:84], v[7:8], off offset:1536
	s_and_saveexec_b32 s18, vcc_lo
	s_cbranch_execz .LBB51_67
.LBB51_66:                              ;   in Loop: Header=BB51_38 Depth=1
	v_cmp_gt_i32_e64 s1, s27, v13
	s_waitcnt vmcnt(0)
	v_cndmask_b32_e64 v81, 0, v81, s1
	v_cmp_gt_i32_e64 s1, s27, v15
	v_cndmask_b32_e64 v82, 0, v82, s1
	v_cmp_gt_i32_e64 s1, s27, v14
	;; [unrolled: 2-line block ×3, first 2 shown]
	v_cndmask_b32_e64 v84, 0, v84, s1
.LBB51_67:                              ;   in Loop: Header=BB51_38 Depth=1
	s_or_b32 exec_lo, exec_lo, s18
	v_add_co_u32 v7, s1, 0x2800, v5
	v_add_co_ci_u32_e64 v8, null, 0, v6, s1
	global_load_dwordx4 v[85:88], v[7:8], off
	s_and_saveexec_b32 s18, vcc_lo
	s_cbranch_execnz .LBB51_95
; %bb.68:                               ;   in Loop: Header=BB51_38 Depth=1
	s_or_b32 exec_lo, exec_lo, s18
	global_load_dwordx4 v[93:96], v[7:8], off offset:512
	s_and_saveexec_b32 s18, vcc_lo
	s_cbranch_execnz .LBB51_96
.LBB51_69:                              ;   in Loop: Header=BB51_38 Depth=1
	s_or_b32 exec_lo, exec_lo, s18
	global_load_dwordx4 v[97:100], v[7:8], off offset:1024
	s_and_saveexec_b32 s18, vcc_lo
	s_cbranch_execnz .LBB51_97
.LBB51_70:                              ;   in Loop: Header=BB51_38 Depth=1
	s_or_b32 exec_lo, exec_lo, s18
	global_load_dwordx4 v[101:104], v[7:8], off offset:1536
	s_and_saveexec_b32 s18, vcc_lo
	s_cbranch_execz .LBB51_72
.LBB51_71:                              ;   in Loop: Header=BB51_38 Depth=1
	v_cmp_gt_i32_e64 s1, s27, v13
	s_waitcnt vmcnt(0)
	v_cndmask_b32_e64 v101, 0, v101, s1
	v_cmp_gt_i32_e64 s1, s27, v15
	v_cndmask_b32_e64 v102, 0, v102, s1
	v_cmp_gt_i32_e64 s1, s27, v14
	;; [unrolled: 2-line block ×3, first 2 shown]
	v_cndmask_b32_e64 v104, 0, v104, s1
.LBB51_72:                              ;   in Loop: Header=BB51_38 Depth=1
	s_or_b32 exec_lo, exec_lo, s18
	v_add_co_u32 v7, s1, 0x3000, v5
	v_add_co_ci_u32_e64 v8, null, 0, v6, s1
	global_load_dwordx4 v[105:108], v[7:8], off
	s_and_saveexec_b32 s18, vcc_lo
	s_cbranch_execnz .LBB51_98
; %bb.73:                               ;   in Loop: Header=BB51_38 Depth=1
	s_or_b32 exec_lo, exec_lo, s18
	global_load_dwordx4 v[109:112], v[7:8], off offset:512
	s_and_saveexec_b32 s18, vcc_lo
	s_cbranch_execnz .LBB51_99
.LBB51_74:                              ;   in Loop: Header=BB51_38 Depth=1
	s_or_b32 exec_lo, exec_lo, s18
	global_load_dwordx4 v[113:116], v[7:8], off offset:1024
	s_and_saveexec_b32 s18, vcc_lo
	s_cbranch_execnz .LBB51_100
.LBB51_75:                              ;   in Loop: Header=BB51_38 Depth=1
	s_or_b32 exec_lo, exec_lo, s18
	global_load_dwordx4 v[117:120], v[7:8], off offset:1536
	s_and_saveexec_b32 s18, vcc_lo
	s_cbranch_execz .LBB51_77
.LBB51_76:                              ;   in Loop: Header=BB51_38 Depth=1
	v_cmp_gt_i32_e64 s1, s27, v13
	s_waitcnt vmcnt(0)
	v_cndmask_b32_e64 v117, 0, v117, s1
	v_cmp_gt_i32_e64 s1, s27, v15
	v_cndmask_b32_e64 v118, 0, v118, s1
	v_cmp_gt_i32_e64 s1, s27, v14
	;; [unrolled: 2-line block ×3, first 2 shown]
	v_cndmask_b32_e64 v120, 0, v120, s1
.LBB51_77:                              ;   in Loop: Header=BB51_38 Depth=1
	s_or_b32 exec_lo, exec_lo, s18
	v_add_co_u32 v9, s1, 0x3800, v5
	v_add_co_ci_u32_e64 v10, null, 0, v6, s1
	global_load_dwordx4 v[121:124], v[9:10], off
	s_and_saveexec_b32 s18, vcc_lo
	s_cbranch_execnz .LBB51_101
; %bb.78:                               ;   in Loop: Header=BB51_38 Depth=1
	s_or_b32 exec_lo, exec_lo, s18
	global_load_dwordx4 v[5:8], v[9:10], off offset:512
	s_and_saveexec_b32 s18, vcc_lo
	s_cbranch_execnz .LBB51_102
.LBB51_79:                              ;   in Loop: Header=BB51_38 Depth=1
	s_or_b32 exec_lo, exec_lo, s18
	global_load_dwordx4 v[9:12], v[9:10], off offset:1024
	s_and_saveexec_b32 s18, vcc_lo
	s_cbranch_execz .LBB51_81
.LBB51_80:                              ;   in Loop: Header=BB51_38 Depth=1
	v_cmp_gt_i32_e64 s1, s27, v13
	s_waitcnt vmcnt(0)
	v_cndmask_b32_e64 v9, 0, v9, s1
	v_cmp_gt_i32_e64 s1, s27, v15
	v_cndmask_b32_e64 v10, 0, v10, s1
	v_cmp_gt_i32_e64 s1, s27, v14
	;; [unrolled: 2-line block ×3, first 2 shown]
	v_cndmask_b32_e64 v12, 0, v12, s1
.LBB51_81:                              ;   in Loop: Header=BB51_38 Depth=1
	s_or_b32 exec_lo, exec_lo, s18
	buffer_load_dword v90, off, s[48:51], 0 offset:264 ; 4-byte Folded Reload
	s_waitcnt vmcnt(0)
	v_add_co_u32 v90, s1, v16, v90
	v_add_co_ci_u32_e64 v91, null, 0, v89, s1
	global_load_dwordx4 v[89:92], v[90:91], off
	s_and_saveexec_b32 s1, vcc_lo
	s_cbranch_execz .LBB51_36
; %bb.82:                               ;   in Loop: Header=BB51_38 Depth=1
	v_cmp_gt_i32_e32 vcc_lo, s27, v13
	s_waitcnt vmcnt(0)
	v_cndmask_b32_e32 v89, 0, v89, vcc_lo
	v_cmp_gt_i32_e32 vcc_lo, s27, v15
	v_cndmask_b32_e32 v90, 0, v90, vcc_lo
	v_cmp_gt_i32_e32 vcc_lo, s27, v14
	;; [unrolled: 2-line block ×3, first 2 shown]
	v_cndmask_b32_e32 v92, 0, v92, vcc_lo
	s_branch .LBB51_36
.LBB51_83:                              ;   in Loop: Header=BB51_38 Depth=1
	v_cmp_gt_i32_e64 s1, s27, v13
	s_waitcnt vmcnt(0)
	v_cndmask_b32_e64 v21, 0, v21, s1
	v_cmp_gt_i32_e64 s1, s27, v15
	v_cndmask_b32_e64 v22, 0, v22, s1
	v_cmp_gt_i32_e64 s1, s27, v14
	;; [unrolled: 2-line block ×3, first 2 shown]
	v_cndmask_b32_e64 v24, 0, v24, s1
	s_or_b32 exec_lo, exec_lo, s18
	global_load_dwordx4 v[25:28], v[7:8], off offset:512
	s_and_saveexec_b32 s18, vcc_lo
	s_cbranch_execz .LBB51_49
.LBB51_84:                              ;   in Loop: Header=BB51_38 Depth=1
	v_cmp_gt_i32_e64 s1, s27, v13
	s_waitcnt vmcnt(0)
	v_cndmask_b32_e64 v25, 0, v25, s1
	v_cmp_gt_i32_e64 s1, s27, v15
	v_cndmask_b32_e64 v26, 0, v26, s1
	v_cmp_gt_i32_e64 s1, s27, v14
	;; [unrolled: 2-line block ×3, first 2 shown]
	v_cndmask_b32_e64 v28, 0, v28, s1
	s_or_b32 exec_lo, exec_lo, s18
	global_load_dwordx4 v[29:32], v[7:8], off offset:1024
	s_and_saveexec_b32 s18, vcc_lo
	s_cbranch_execz .LBB51_50
.LBB51_85:                              ;   in Loop: Header=BB51_38 Depth=1
	v_cmp_gt_i32_e64 s1, s27, v13
	s_waitcnt vmcnt(0)
	v_cndmask_b32_e64 v29, 0, v29, s1
	v_cmp_gt_i32_e64 s1, s27, v15
	v_cndmask_b32_e64 v30, 0, v30, s1
	v_cmp_gt_i32_e64 s1, s27, v14
	;; [unrolled: 2-line block ×3, first 2 shown]
	v_cndmask_b32_e64 v32, 0, v32, s1
	s_or_b32 exec_lo, exec_lo, s18
	global_load_dwordx4 v[33:36], v[7:8], off offset:1536
	s_and_saveexec_b32 s18, vcc_lo
	s_cbranch_execnz .LBB51_51
	s_branch .LBB51_52
.LBB51_86:                              ;   in Loop: Header=BB51_38 Depth=1
	v_cmp_gt_i32_e64 s1, s27, v13
	s_waitcnt vmcnt(0)
	v_cndmask_b32_e64 v37, 0, v37, s1
	v_cmp_gt_i32_e64 s1, s27, v15
	v_cndmask_b32_e64 v38, 0, v38, s1
	v_cmp_gt_i32_e64 s1, s27, v14
	;; [unrolled: 2-line block ×3, first 2 shown]
	v_cndmask_b32_e64 v40, 0, v40, s1
	s_or_b32 exec_lo, exec_lo, s18
	global_load_dwordx4 v[41:44], v[7:8], off offset:512
	s_and_saveexec_b32 s18, vcc_lo
	s_cbranch_execz .LBB51_54
.LBB51_87:                              ;   in Loop: Header=BB51_38 Depth=1
	v_cmp_gt_i32_e64 s1, s27, v13
	s_waitcnt vmcnt(0)
	v_cndmask_b32_e64 v41, 0, v41, s1
	v_cmp_gt_i32_e64 s1, s27, v15
	v_cndmask_b32_e64 v42, 0, v42, s1
	v_cmp_gt_i32_e64 s1, s27, v14
	;; [unrolled: 2-line block ×3, first 2 shown]
	v_cndmask_b32_e64 v44, 0, v44, s1
	s_or_b32 exec_lo, exec_lo, s18
	global_load_dwordx4 v[45:48], v[7:8], off offset:1024
	s_and_saveexec_b32 s18, vcc_lo
	s_cbranch_execz .LBB51_55
.LBB51_88:                              ;   in Loop: Header=BB51_38 Depth=1
	v_cmp_gt_i32_e64 s1, s27, v13
	s_waitcnt vmcnt(0)
	v_cndmask_b32_e64 v45, 0, v45, s1
	v_cmp_gt_i32_e64 s1, s27, v15
	v_cndmask_b32_e64 v46, 0, v46, s1
	v_cmp_gt_i32_e64 s1, s27, v14
	;; [unrolled: 2-line block ×3, first 2 shown]
	v_cndmask_b32_e64 v48, 0, v48, s1
	s_or_b32 exec_lo, exec_lo, s18
	global_load_dwordx4 v[49:52], v[7:8], off offset:1536
	s_and_saveexec_b32 s18, vcc_lo
	s_cbranch_execnz .LBB51_56
	s_branch .LBB51_57
.LBB51_89:                              ;   in Loop: Header=BB51_38 Depth=1
	v_cmp_gt_i32_e64 s1, s27, v13
	s_waitcnt vmcnt(0)
	v_cndmask_b32_e64 v53, 0, v53, s1
	v_cmp_gt_i32_e64 s1, s27, v15
	v_cndmask_b32_e64 v54, 0, v54, s1
	v_cmp_gt_i32_e64 s1, s27, v14
	;; [unrolled: 2-line block ×3, first 2 shown]
	v_cndmask_b32_e64 v56, 0, v56, s1
	s_or_b32 exec_lo, exec_lo, s18
	global_load_dwordx4 v[57:60], v[7:8], off offset:512
	s_and_saveexec_b32 s18, vcc_lo
	s_cbranch_execz .LBB51_59
.LBB51_90:                              ;   in Loop: Header=BB51_38 Depth=1
	v_cmp_gt_i32_e64 s1, s27, v13
	s_waitcnt vmcnt(0)
	v_cndmask_b32_e64 v57, 0, v57, s1
	v_cmp_gt_i32_e64 s1, s27, v15
	v_cndmask_b32_e64 v58, 0, v58, s1
	v_cmp_gt_i32_e64 s1, s27, v14
	;; [unrolled: 2-line block ×3, first 2 shown]
	v_cndmask_b32_e64 v60, 0, v60, s1
	s_or_b32 exec_lo, exec_lo, s18
	global_load_dwordx4 v[61:64], v[7:8], off offset:1024
	s_and_saveexec_b32 s18, vcc_lo
	s_cbranch_execz .LBB51_60
.LBB51_91:                              ;   in Loop: Header=BB51_38 Depth=1
	v_cmp_gt_i32_e64 s1, s27, v13
	s_waitcnt vmcnt(0)
	v_cndmask_b32_e64 v61, 0, v61, s1
	v_cmp_gt_i32_e64 s1, s27, v15
	v_cndmask_b32_e64 v62, 0, v62, s1
	v_cmp_gt_i32_e64 s1, s27, v14
	;; [unrolled: 2-line block ×3, first 2 shown]
	v_cndmask_b32_e64 v64, 0, v64, s1
	s_or_b32 exec_lo, exec_lo, s18
	global_load_dwordx4 v[65:68], v[7:8], off offset:1536
	s_and_saveexec_b32 s18, vcc_lo
	s_cbranch_execnz .LBB51_61
	s_branch .LBB51_62
.LBB51_92:                              ;   in Loop: Header=BB51_38 Depth=1
	v_cmp_gt_i32_e64 s1, s27, v13
	s_waitcnt vmcnt(0)
	v_cndmask_b32_e64 v69, 0, v69, s1
	v_cmp_gt_i32_e64 s1, s27, v15
	v_cndmask_b32_e64 v70, 0, v70, s1
	v_cmp_gt_i32_e64 s1, s27, v14
	;; [unrolled: 2-line block ×3, first 2 shown]
	v_cndmask_b32_e64 v72, 0, v72, s1
	s_or_b32 exec_lo, exec_lo, s18
	global_load_dwordx4 v[73:76], v[7:8], off offset:512
	s_and_saveexec_b32 s18, vcc_lo
	s_cbranch_execz .LBB51_64
.LBB51_93:                              ;   in Loop: Header=BB51_38 Depth=1
	v_cmp_gt_i32_e64 s1, s27, v13
	s_waitcnt vmcnt(0)
	v_cndmask_b32_e64 v73, 0, v73, s1
	v_cmp_gt_i32_e64 s1, s27, v15
	v_cndmask_b32_e64 v74, 0, v74, s1
	v_cmp_gt_i32_e64 s1, s27, v14
	v_cndmask_b32_e64 v75, 0, v75, s1
	v_cmp_gt_i32_e64 s1, s27, v125
	v_cndmask_b32_e64 v76, 0, v76, s1
	s_or_b32 exec_lo, exec_lo, s18
	global_load_dwordx4 v[77:80], v[7:8], off offset:1024
	s_and_saveexec_b32 s18, vcc_lo
	s_cbranch_execz .LBB51_65
.LBB51_94:                              ;   in Loop: Header=BB51_38 Depth=1
	v_cmp_gt_i32_e64 s1, s27, v13
	s_waitcnt vmcnt(0)
	v_cndmask_b32_e64 v77, 0, v77, s1
	v_cmp_gt_i32_e64 s1, s27, v15
	v_cndmask_b32_e64 v78, 0, v78, s1
	v_cmp_gt_i32_e64 s1, s27, v14
	;; [unrolled: 2-line block ×3, first 2 shown]
	v_cndmask_b32_e64 v80, 0, v80, s1
	s_or_b32 exec_lo, exec_lo, s18
	global_load_dwordx4 v[81:84], v[7:8], off offset:1536
	s_and_saveexec_b32 s18, vcc_lo
	s_cbranch_execnz .LBB51_66
	s_branch .LBB51_67
.LBB51_95:                              ;   in Loop: Header=BB51_38 Depth=1
	v_cmp_gt_i32_e64 s1, s27, v13
	s_waitcnt vmcnt(0)
	v_cndmask_b32_e64 v85, 0, v85, s1
	v_cmp_gt_i32_e64 s1, s27, v15
	v_cndmask_b32_e64 v86, 0, v86, s1
	v_cmp_gt_i32_e64 s1, s27, v14
	;; [unrolled: 2-line block ×3, first 2 shown]
	v_cndmask_b32_e64 v88, 0, v88, s1
	s_or_b32 exec_lo, exec_lo, s18
	global_load_dwordx4 v[93:96], v[7:8], off offset:512
	s_and_saveexec_b32 s18, vcc_lo
	s_cbranch_execz .LBB51_69
.LBB51_96:                              ;   in Loop: Header=BB51_38 Depth=1
	v_cmp_gt_i32_e64 s1, s27, v13
	s_waitcnt vmcnt(0)
	v_cndmask_b32_e64 v93, 0, v93, s1
	v_cmp_gt_i32_e64 s1, s27, v15
	v_cndmask_b32_e64 v94, 0, v94, s1
	v_cmp_gt_i32_e64 s1, s27, v14
	;; [unrolled: 2-line block ×3, first 2 shown]
	v_cndmask_b32_e64 v96, 0, v96, s1
	s_or_b32 exec_lo, exec_lo, s18
	global_load_dwordx4 v[97:100], v[7:8], off offset:1024
	s_and_saveexec_b32 s18, vcc_lo
	s_cbranch_execz .LBB51_70
.LBB51_97:                              ;   in Loop: Header=BB51_38 Depth=1
	v_cmp_gt_i32_e64 s1, s27, v13
	s_waitcnt vmcnt(0)
	v_cndmask_b32_e64 v97, 0, v97, s1
	v_cmp_gt_i32_e64 s1, s27, v15
	v_cndmask_b32_e64 v98, 0, v98, s1
	v_cmp_gt_i32_e64 s1, s27, v14
	;; [unrolled: 2-line block ×3, first 2 shown]
	v_cndmask_b32_e64 v100, 0, v100, s1
	s_or_b32 exec_lo, exec_lo, s18
	global_load_dwordx4 v[101:104], v[7:8], off offset:1536
	s_and_saveexec_b32 s18, vcc_lo
	s_cbranch_execnz .LBB51_71
	s_branch .LBB51_72
.LBB51_98:                              ;   in Loop: Header=BB51_38 Depth=1
	v_cmp_gt_i32_e64 s1, s27, v13
	s_waitcnt vmcnt(0)
	v_cndmask_b32_e64 v105, 0, v105, s1
	v_cmp_gt_i32_e64 s1, s27, v15
	v_cndmask_b32_e64 v106, 0, v106, s1
	v_cmp_gt_i32_e64 s1, s27, v14
	;; [unrolled: 2-line block ×3, first 2 shown]
	v_cndmask_b32_e64 v108, 0, v108, s1
	s_or_b32 exec_lo, exec_lo, s18
	global_load_dwordx4 v[109:112], v[7:8], off offset:512
	s_and_saveexec_b32 s18, vcc_lo
	s_cbranch_execz .LBB51_74
.LBB51_99:                              ;   in Loop: Header=BB51_38 Depth=1
	v_cmp_gt_i32_e64 s1, s27, v13
	s_waitcnt vmcnt(0)
	v_cndmask_b32_e64 v109, 0, v109, s1
	v_cmp_gt_i32_e64 s1, s27, v15
	v_cndmask_b32_e64 v110, 0, v110, s1
	v_cmp_gt_i32_e64 s1, s27, v14
	;; [unrolled: 2-line block ×3, first 2 shown]
	v_cndmask_b32_e64 v112, 0, v112, s1
	s_or_b32 exec_lo, exec_lo, s18
	global_load_dwordx4 v[113:116], v[7:8], off offset:1024
	s_and_saveexec_b32 s18, vcc_lo
	s_cbranch_execz .LBB51_75
.LBB51_100:                             ;   in Loop: Header=BB51_38 Depth=1
	v_cmp_gt_i32_e64 s1, s27, v13
	s_waitcnt vmcnt(0)
	v_cndmask_b32_e64 v113, 0, v113, s1
	v_cmp_gt_i32_e64 s1, s27, v15
	v_cndmask_b32_e64 v114, 0, v114, s1
	v_cmp_gt_i32_e64 s1, s27, v14
	;; [unrolled: 2-line block ×3, first 2 shown]
	v_cndmask_b32_e64 v116, 0, v116, s1
	s_or_b32 exec_lo, exec_lo, s18
	global_load_dwordx4 v[117:120], v[7:8], off offset:1536
	s_and_saveexec_b32 s18, vcc_lo
	s_cbranch_execnz .LBB51_76
	s_branch .LBB51_77
.LBB51_101:                             ;   in Loop: Header=BB51_38 Depth=1
	v_cmp_gt_i32_e64 s1, s27, v13
	s_waitcnt vmcnt(0)
	v_cndmask_b32_e64 v121, 0, v121, s1
	v_cmp_gt_i32_e64 s1, s27, v15
	v_cndmask_b32_e64 v122, 0, v122, s1
	v_cmp_gt_i32_e64 s1, s27, v14
	;; [unrolled: 2-line block ×3, first 2 shown]
	v_cndmask_b32_e64 v124, 0, v124, s1
	s_or_b32 exec_lo, exec_lo, s18
	global_load_dwordx4 v[5:8], v[9:10], off offset:512
	s_and_saveexec_b32 s18, vcc_lo
	s_cbranch_execz .LBB51_79
.LBB51_102:                             ;   in Loop: Header=BB51_38 Depth=1
	v_cmp_gt_i32_e64 s1, s27, v13
	s_waitcnt vmcnt(0)
	v_cndmask_b32_e64 v5, 0, v5, s1
	v_cmp_gt_i32_e64 s1, s27, v15
	v_cndmask_b32_e64 v6, 0, v6, s1
	v_cmp_gt_i32_e64 s1, s27, v14
	;; [unrolled: 2-line block ×3, first 2 shown]
	v_cndmask_b32_e64 v8, 0, v8, s1
	s_or_b32 exec_lo, exec_lo, s18
	global_load_dwordx4 v[9:12], v[9:10], off offset:1024
	s_and_saveexec_b32 s18, vcc_lo
	s_cbranch_execnz .LBB51_80
	s_branch .LBB51_81
.LBB51_103:
	s_or_b32 exec_lo, exec_lo, s13
	s_clause 0x5
	buffer_load_dword v55, off, s[48:51], 0 offset:268
	buffer_load_dword v125, off, s[48:51], 0 offset:272
	;; [unrolled: 1-line block ×6, first 2 shown]
.LBB51_104:
	s_or_b32 exec_lo, exec_lo, s3
	s_waitcnt vmcnt(1)
	ds_bpermute_b32 v4, v39, v25
	ds_bpermute_b32 v3, v39, v21
	;; [unrolled: 1-line block ×17, first 2 shown]
	s_mov_b32 s1, exec_lo
	s_waitcnt lgkmcnt(16)
	v_add_f32_e32 v4, v25, v4
	s_waitcnt lgkmcnt(15)
	v_add_f32_e32 v3, v21, v3
	s_waitcnt lgkmcnt(14)
	v_add_f32_e32 v11, v22, v11
	s_waitcnt lgkmcnt(13)
	v_add_f32_e32 v5, v29, v5
	s_waitcnt lgkmcnt(12)
	v_add_f32_e32 v15, v58, v15
	ds_bpermute_b32 v21, v48, v4
	ds_bpermute_b32 v20, v48, v3
	;; [unrolled: 1-line block ×3, first 2 shown]
	s_waitcnt lgkmcnt(14)
	v_add_f32_e32 v14, v59, v14
	s_waitcnt lgkmcnt(13)
	v_add_f32_e32 v0, v18, v0
	;; [unrolled: 2-line block ×6, first 2 shown]
	ds_bpermute_b32 v17, v48, v0
	ds_bpermute_b32 v18, v48, v1
	s_waitcnt lgkmcnt(10)
	v_add_f32_e32 v9, v24, v9
	s_waitcnt lgkmcnt(9)
	v_add_f32_e32 v10, v23, v10
	ds_bpermute_b32 v23, v48, v6
	ds_bpermute_b32 v24, v48, v7
	s_waitcnt lgkmcnt(10)
	v_add_f32_e32 v12, v27, v12
	ds_bpermute_b32 v27, v48, v9
	s_waitcnt lgkmcnt(10)
	v_add_f32_e32 v13, v30, v13
	s_waitcnt lgkmcnt(9)
	v_add_f32_e32 v8, v26, v8
	ds_bpermute_b32 v26, v39, v34
	s_waitcnt lgkmcnt(8)
	v_add_f32_e32 v4, v4, v21
	s_waitcnt lgkmcnt(7)
	v_add_f32_e32 v3, v3, v20
	s_waitcnt lgkmcnt(6)
	v_add_f32_e32 v11, v11, v29
	ds_bpermute_b32 v29, v39, v31
	ds_bpermute_b32 v28, v48, v10
	;; [unrolled: 1-line block ×6, first 2 shown]
	s_waitcnt lgkmcnt(11)
	v_add_f32_e32 v0, v0, v17
	s_waitcnt lgkmcnt(10)
	v_add_f32_e32 v1, v1, v18
	ds_bpermute_b32 v30, v48, v12
	ds_bpermute_b32 v33, v39, v46
	s_waitcnt lgkmcnt(11)
	v_add_f32_e32 v6, v6, v23
	ds_bpermute_b32 v17, v54, v0
	ds_bpermute_b32 v18, v54, v1
	s_waitcnt lgkmcnt(12)
	v_add_f32_e32 v7, v7, v24
	s_waitcnt lgkmcnt(11)
	v_add_f32_e32 v9, v9, v27
	ds_bpermute_b32 v23, v54, v6
	ds_bpermute_b32 v25, v48, v8
	v_add_f32_e32 v16, v36, v16
	ds_bpermute_b32 v24, v54, v7
	ds_bpermute_b32 v27, v54, v9
	s_waitcnt lgkmcnt(12)
	v_add_f32_e32 v10, v10, v28
	s_waitcnt lgkmcnt(11)
	v_add_f32_e32 v4, v4, v21
	ds_bpermute_b32 v21, v48, v15
	s_waitcnt lgkmcnt(11)
	v_add_f32_e32 v3, v3, v20
	ds_bpermute_b32 v20, v48, v14
	ds_bpermute_b32 v28, v54, v10
	s_waitcnt lgkmcnt(12)
	v_add_f32_e32 v5, v5, v22
	s_waitcnt lgkmcnt(11)
	v_add_f32_e32 v2, v2, v19
	;; [unrolled: 2-line block ×6, first 2 shown]
	ds_bpermute_b32 v17, v48, v13
	ds_bpermute_b32 v18, v39, v32
	s_waitcnt lgkmcnt(8)
	v_add_f32_e32 v6, v6, v23
	v_add_f32_e32 v23, v34, v26
	ds_bpermute_b32 v34, v39, v43
	s_waitcnt lgkmcnt(7)
	v_add_f32_e32 v7, v7, v24
	s_waitcnt lgkmcnt(6)
	v_add_f32_e32 v9, v9, v27
	ds_bpermute_b32 v27, v39, v38
	ds_bpermute_b32 v24, v48, v23
	;; [unrolled: 1-line block ×3, first 2 shown]
	s_waitcnt lgkmcnt(8)
	v_add_f32_e32 v15, v15, v21
	ds_bpermute_b32 v21, v39, v40
	s_waitcnt lgkmcnt(8)
	v_add_f32_e32 v14, v14, v20
	v_add_f32_e32 v20, v31, v29
	s_waitcnt lgkmcnt(7)
	v_add_f32_e32 v10, v10, v28
	ds_bpermute_b32 v29, v54, v15
	ds_bpermute_b32 v28, v39, v52
	;; [unrolled: 1-line block ×4, first 2 shown]
	v_add_f32_e32 v8, v8, v25
	s_waitcnt lgkmcnt(10)
	v_add_f32_e32 v13, v13, v17
	s_waitcnt lgkmcnt(9)
	v_add_f32_e32 v17, v32, v18
	ds_bpermute_b32 v18, v39, v35
	ds_bpermute_b32 v32, v39, v42
	s_waitcnt lgkmcnt(10)
	v_add_f32_e32 v34, v43, v34
	ds_bpermute_b32 v45, v48, v33
	ds_bpermute_b32 v26, v48, v17
	;; [unrolled: 1-line block ×3, first 2 shown]
	s_waitcnt lgkmcnt(11)
	v_add_f32_e32 v23, v23, v24
	ds_bpermute_b32 v24, v39, v51
	s_waitcnt lgkmcnt(11)
	v_add_f32_e32 v5, v5, v22
	s_waitcnt lgkmcnt(10)
	v_add_f32_e32 v21, v40, v21
	ds_bpermute_b32 v22, v48, v16
	ds_bpermute_b32 v46, v48, v34
	;; [unrolled: 1-line block ×3, first 2 shown]
	s_waitcnt lgkmcnt(12)
	v_add_f32_e32 v15, v15, v29
	buffer_load_dword v29, off, s[48:51], 0 offset:252 ; 4-byte Folded Reload
	s_waitcnt lgkmcnt(11)
	v_add_f32_e32 v28, v52, v28
	s_waitcnt lgkmcnt(9)
	v_add_f32_e32 v20, v20, v30
	ds_bpermute_b32 v30, v48, v21
	v_add_f32_e32 v2, v2, v19
	ds_bpermute_b32 v19, v54, v11
	s_waitcnt lgkmcnt(10)
	v_add_f32_e32 v18, v35, v18
	ds_bpermute_b32 v35, v39, v44
	s_waitcnt lgkmcnt(10)
	;; [unrolled: 3-line block ×3, first 2 shown]
	v_add_f32_e32 v26, v17, v26
	v_add_f32_e32 v17, v38, v27
	ds_bpermute_b32 v27, v39, v47
	ds_bpermute_b32 v38, v39, v50
	;; [unrolled: 1-line block ×5, first 2 shown]
	s_waitcnt lgkmcnt(12)
	v_add_f32_e32 v24, v51, v24
	ds_bpermute_b32 v43, v48, v32
	s_waitcnt lgkmcnt(12)
	v_add_f32_e32 v16, v16, v22
	v_add_f32_e32 v33, v33, v45
	s_waitcnt lgkmcnt(11)
	v_add_f32_e32 v34, v34, v46
	v_add_f32_e32 v8, v8, v25
	s_waitcnt lgkmcnt(9)
	v_add_f32_e32 v30, v21, v30
	ds_bpermute_b32 v25, v54, v13
	s_waitcnt lgkmcnt(9)
	v_add_f32_e32 v11, v11, v19
	ds_bpermute_b32 v19, v54, v12
	s_waitcnt lgkmcnt(9)
	v_add_f32_e32 v35, v44, v35
	ds_bpermute_b32 v44, v48, v24
	s_waitcnt lgkmcnt(9)
	v_add_f32_e32 v28, v28, v42
	ds_bpermute_b32 v22, v54, v14
	ds_bpermute_b32 v31, v54, v16
	s_waitcnt lgkmcnt(10)
	v_add_f32_e32 v27, v47, v27
	s_waitcnt lgkmcnt(9)
	v_add_f32_e32 v38, v50, v38
	;; [unrolled: 2-line block ×3, first 2 shown]
	ds_bpermute_b32 v47, v48, v35
	s_waitcnt lgkmcnt(8)
	v_add_f32_e32 v37, v18, v37
	ds_bpermute_b32 v18, v48, v27
	s_waitcnt lgkmcnt(8)
	v_add_f32_e32 v40, v17, v40
	ds_bpermute_b32 v17, v48, v38
	ds_bpermute_b32 v48, v48, v39
	s_waitcnt lgkmcnt(9)
	v_add_f32_e32 v32, v32, v43
	ds_bpermute_b32 v41, v54, v26
	ds_bpermute_b32 v21, v54, v20
	;; [unrolled: 1-line block ×6, first 2 shown]
	s_waitcnt lgkmcnt(12)
	v_add_f32_e32 v44, v24, v44
	ds_bpermute_b32 v24, v54, v32
	ds_bpermute_b32 v46, v54, v33
	v_add_f32_e32 v12, v12, v19
	v_add_f32_e32 v13, v13, v25
	ds_bpermute_b32 v45, v54, v44
	s_waitcnt lgkmcnt(14)
	v_add_f32_e32 v14, v14, v22
	s_waitcnt lgkmcnt(12)
	v_add_f32_e32 v35, v35, v47
	ds_bpermute_b32 v47, v54, v34
	s_waitcnt lgkmcnt(12)
	v_add_f32_e32 v51, v27, v18
	v_add_f32_e32 v16, v16, v31
	s_waitcnt lgkmcnt(11)
	v_add_f32_e32 v38, v38, v17
	s_waitcnt lgkmcnt(10)
	v_add_f32_e32 v39, v39, v48
	ds_bpermute_b32 v52, v54, v35
	ds_bpermute_b32 v48, v54, v51
	v_add_f32_e32 v17, v23, v36
	ds_bpermute_b32 v53, v54, v38
	ds_bpermute_b32 v54, v54, v39
	s_waitcnt lgkmcnt(13)
	v_add_f32_e32 v18, v26, v41
	s_waitcnt lgkmcnt(12)
	v_add_f32_e32 v19, v20, v21
	;; [unrolled: 2-line block ×4, first 2 shown]
	v_add_f32_e32 v21, v40, v49
	v_add_f32_e32 v22, v30, v50
	;; [unrolled: 1-line block ×3, first 2 shown]
	s_waitcnt lgkmcnt(5)
	v_add_f32_e32 v25, v44, v45
	v_add_f32_e32 v26, v33, v46
	s_waitcnt vmcnt(0) lgkmcnt(0)
	s_waitcnt_vscnt null, 0x0
	v_add_f32_e32 v27, v34, v47
	v_lshlrev_b32_e32 v34, 9, v125
	s_barrier
	buffer_gl0_inv
	v_add_f32_e32 v28, v35, v52
	v_and_b32_e32 v35, 0x3c7, v55
	v_add_f32_e32 v30, v38, v53
	v_add_f32_e32 v31, v39, v54
	v_lshrrev_b32_e32 v32, 3, v29
	v_add_f32_e32 v29, v51, v48
	v_lshl_add_u32 v33, v32, 2, 0x220
	v_cmpx_eq_u32_e32 64, v35
	s_cbranch_execz .LBB51_106
; %bb.105:
	v_add_nc_u32_e32 v35, v33, v34
	v_add_nc_u32_e32 v36, 0xfffffc00, v35
	;; [unrolled: 1-line block ×8, first 2 shown]
	ds_write_b32 v36, v0
	ds_write_b32 v37, v1
	;; [unrolled: 1-line block ×7, first 2 shown]
	v_add_nc_u32_e32 v36, 0xfffffc70, v35
	v_add_nc_u32_e32 v37, 0xfffffc80, v35
	v_add_nc_u32_e32 v38, 0xfffffc90, v35
	v_add_nc_u32_e32 v39, 0xfffffca0, v35
	v_add_nc_u32_e32 v40, 0xfffffcb0, v35
	ds_write_b32 v36, v7
	ds_write_b32 v37, v8
	ds_write_b32 v38, v9
	ds_write_b32 v39, v10
	ds_write_b32 v40, v11
	v_add_nc_u32_e32 v36, 0xfffffcc0, v35
	v_add_nc_u32_e32 v37, 0xfffffcd0, v35
	v_add_nc_u32_e32 v38, 0xfffffce0, v35
	v_add_nc_u32_e32 v39, 0xfffffcf0, v35
	v_add_nc_u32_e32 v40, 0xfffffd00, v35
	ds_write_b32 v36, v12
	ds_write_b32 v37, v13
	ds_write_b32 v38, v14
	ds_write_b32 v39, v15
	ds_write_b32 v40, v16
	;; [unrolled: 10-line block ×5, first 2 shown]
.LBB51_106:
	s_or_b32 exec_lo, exec_lo, s1
	v_lshlrev_b32_e32 v32, 2, v32
	s_mov_b32 s3, exec_lo
	v_cmp_eq_u32_e32 vcc_lo, 0, v56
	s_waitcnt lgkmcnt(0)
	s_barrier
	v_add3_u32 v32, 0x220, v34, v32
	buffer_gl0_inv
	v_cmpx_gt_u32_e32 64, v55
	s_cbranch_execz .LBB51_141
; %bb.107:
	s_and_saveexec_b32 s1, vcc_lo
	s_cbranch_execnz .LBB51_181
; %bb.108:
	s_or_b32 exec_lo, exec_lo, s1
	s_and_saveexec_b32 s1, vcc_lo
	s_cbranch_execnz .LBB51_182
.LBB51_109:
	s_or_b32 exec_lo, exec_lo, s1
	s_and_saveexec_b32 s1, vcc_lo
	s_cbranch_execnz .LBB51_183
.LBB51_110:
	s_or_b32 exec_lo, exec_lo, s1
	s_and_saveexec_b32 s1, vcc_lo
	s_cbranch_execnz .LBB51_184
.LBB51_111:
	s_or_b32 exec_lo, exec_lo, s1
	s_and_saveexec_b32 s1, vcc_lo
	s_cbranch_execnz .LBB51_185
.LBB51_112:
	s_or_b32 exec_lo, exec_lo, s1
	s_and_saveexec_b32 s1, vcc_lo
	s_cbranch_execnz .LBB51_186
.LBB51_113:
	s_or_b32 exec_lo, exec_lo, s1
	s_and_saveexec_b32 s1, vcc_lo
	s_cbranch_execnz .LBB51_187
.LBB51_114:
	s_or_b32 exec_lo, exec_lo, s1
	s_and_saveexec_b32 s1, vcc_lo
	s_cbranch_execnz .LBB51_188
.LBB51_115:
	s_or_b32 exec_lo, exec_lo, s1
	s_and_saveexec_b32 s1, vcc_lo
	s_cbranch_execnz .LBB51_189
.LBB51_116:
	s_or_b32 exec_lo, exec_lo, s1
	s_and_saveexec_b32 s1, vcc_lo
	s_cbranch_execnz .LBB51_190
.LBB51_117:
	s_or_b32 exec_lo, exec_lo, s1
	s_and_saveexec_b32 s1, vcc_lo
	s_cbranch_execnz .LBB51_191
.LBB51_118:
	s_or_b32 exec_lo, exec_lo, s1
	s_and_saveexec_b32 s1, vcc_lo
	s_cbranch_execnz .LBB51_192
.LBB51_119:
	s_or_b32 exec_lo, exec_lo, s1
	s_and_saveexec_b32 s1, vcc_lo
	s_cbranch_execnz .LBB51_193
.LBB51_120:
	s_or_b32 exec_lo, exec_lo, s1
	s_and_saveexec_b32 s1, vcc_lo
	s_cbranch_execnz .LBB51_194
.LBB51_121:
	s_or_b32 exec_lo, exec_lo, s1
	s_and_saveexec_b32 s1, vcc_lo
	s_cbranch_execnz .LBB51_195
.LBB51_122:
	s_or_b32 exec_lo, exec_lo, s1
	s_and_saveexec_b32 s1, vcc_lo
	s_cbranch_execnz .LBB51_196
.LBB51_123:
	s_or_b32 exec_lo, exec_lo, s1
	s_and_saveexec_b32 s1, vcc_lo
	s_cbranch_execnz .LBB51_197
.LBB51_124:
	s_or_b32 exec_lo, exec_lo, s1
	s_and_saveexec_b32 s1, vcc_lo
	s_cbranch_execnz .LBB51_198
.LBB51_125:
	s_or_b32 exec_lo, exec_lo, s1
	s_and_saveexec_b32 s1, vcc_lo
	s_cbranch_execnz .LBB51_199
.LBB51_126:
	s_or_b32 exec_lo, exec_lo, s1
	s_and_saveexec_b32 s1, vcc_lo
	s_cbranch_execnz .LBB51_200
.LBB51_127:
	s_or_b32 exec_lo, exec_lo, s1
	s_and_saveexec_b32 s1, vcc_lo
	s_cbranch_execnz .LBB51_201
.LBB51_128:
	s_or_b32 exec_lo, exec_lo, s1
	s_and_saveexec_b32 s1, vcc_lo
	s_cbranch_execnz .LBB51_202
.LBB51_129:
	s_or_b32 exec_lo, exec_lo, s1
	s_and_saveexec_b32 s1, vcc_lo
	s_cbranch_execnz .LBB51_203
.LBB51_130:
	s_or_b32 exec_lo, exec_lo, s1
	s_and_saveexec_b32 s1, vcc_lo
	s_cbranch_execnz .LBB51_204
.LBB51_131:
	s_or_b32 exec_lo, exec_lo, s1
	s_and_saveexec_b32 s1, vcc_lo
	s_cbranch_execnz .LBB51_205
.LBB51_132:
	s_or_b32 exec_lo, exec_lo, s1
	s_and_saveexec_b32 s1, vcc_lo
	s_cbranch_execnz .LBB51_206
.LBB51_133:
	s_or_b32 exec_lo, exec_lo, s1
	s_and_saveexec_b32 s1, vcc_lo
	s_cbranch_execnz .LBB51_207
.LBB51_134:
	s_or_b32 exec_lo, exec_lo, s1
	s_and_saveexec_b32 s1, vcc_lo
	s_cbranch_execnz .LBB51_208
.LBB51_135:
	s_or_b32 exec_lo, exec_lo, s1
	s_and_saveexec_b32 s1, vcc_lo
	s_cbranch_execnz .LBB51_209
.LBB51_136:
	s_or_b32 exec_lo, exec_lo, s1
	s_and_saveexec_b32 s1, vcc_lo
	s_cbranch_execnz .LBB51_210
.LBB51_137:
	s_or_b32 exec_lo, exec_lo, s1
	s_and_saveexec_b32 s1, vcc_lo
	s_cbranch_execnz .LBB51_211
.LBB51_138:
	s_or_b32 exec_lo, exec_lo, s1
	s_and_saveexec_b32 s1, vcc_lo
	s_cbranch_execz .LBB51_140
.LBB51_139:
	ds_read_b32 v34, v32 offset:496
	s_waitcnt lgkmcnt(0)
	v_add_f32_e32 v31, v31, v34
.LBB51_140:
	s_or_b32 exec_lo, exec_lo, s1
.LBB51_141:
	s_or_b32 exec_lo, exec_lo, s3
	v_and_b32_e32 v34, 0x3e7, v55
	s_mov_b32 s3, exec_lo
	s_barrier
	buffer_gl0_inv
	v_cmpx_eq_u32_e32 32, v34
	s_cbranch_execz .LBB51_143
; %bb.142:
	ds_write2_b32 v33, v0, v1 offset1:4
	ds_write2_b32 v33, v2, v3 offset0:8 offset1:12
	ds_write2_b32 v33, v4, v5 offset0:16 offset1:20
	;; [unrolled: 1-line block ×15, first 2 shown]
.LBB51_143:
	s_or_b32 exec_lo, exec_lo, s3
	s_waitcnt lgkmcnt(0)
	s_barrier
	buffer_gl0_inv
	s_and_saveexec_b32 s1, s0
	s_cbranch_execz .LBB51_178
; %bb.144:
	s_and_saveexec_b32 s0, vcc_lo
	s_cbranch_execnz .LBB51_212
; %bb.145:
	s_or_b32 exec_lo, exec_lo, s0
	s_and_saveexec_b32 s0, vcc_lo
	s_cbranch_execnz .LBB51_213
.LBB51_146:
	s_or_b32 exec_lo, exec_lo, s0
	s_and_saveexec_b32 s0, vcc_lo
	s_cbranch_execnz .LBB51_214
.LBB51_147:
	s_or_b32 exec_lo, exec_lo, s0
	s_and_saveexec_b32 s0, vcc_lo
	s_cbranch_execnz .LBB51_215
.LBB51_148:
	s_or_b32 exec_lo, exec_lo, s0
	s_and_saveexec_b32 s0, vcc_lo
	s_cbranch_execnz .LBB51_216
.LBB51_149:
	s_or_b32 exec_lo, exec_lo, s0
	s_and_saveexec_b32 s0, vcc_lo
	s_cbranch_execnz .LBB51_217
.LBB51_150:
	s_or_b32 exec_lo, exec_lo, s0
	s_and_saveexec_b32 s0, vcc_lo
	s_cbranch_execnz .LBB51_218
.LBB51_151:
	s_or_b32 exec_lo, exec_lo, s0
	s_and_saveexec_b32 s0, vcc_lo
	s_cbranch_execnz .LBB51_219
.LBB51_152:
	s_or_b32 exec_lo, exec_lo, s0
	s_and_saveexec_b32 s0, vcc_lo
	s_cbranch_execnz .LBB51_220
.LBB51_153:
	s_or_b32 exec_lo, exec_lo, s0
	s_and_saveexec_b32 s0, vcc_lo
	s_cbranch_execnz .LBB51_221
.LBB51_154:
	s_or_b32 exec_lo, exec_lo, s0
	s_and_saveexec_b32 s0, vcc_lo
	s_cbranch_execnz .LBB51_222
.LBB51_155:
	s_or_b32 exec_lo, exec_lo, s0
	s_and_saveexec_b32 s0, vcc_lo
	s_cbranch_execnz .LBB51_223
.LBB51_156:
	s_or_b32 exec_lo, exec_lo, s0
	s_and_saveexec_b32 s0, vcc_lo
	s_cbranch_execnz .LBB51_224
.LBB51_157:
	s_or_b32 exec_lo, exec_lo, s0
	s_and_saveexec_b32 s0, vcc_lo
	s_cbranch_execnz .LBB51_225
.LBB51_158:
	s_or_b32 exec_lo, exec_lo, s0
	s_and_saveexec_b32 s0, vcc_lo
	s_cbranch_execnz .LBB51_226
.LBB51_159:
	s_or_b32 exec_lo, exec_lo, s0
	s_and_saveexec_b32 s0, vcc_lo
	s_cbranch_execnz .LBB51_227
.LBB51_160:
	s_or_b32 exec_lo, exec_lo, s0
	s_and_saveexec_b32 s0, vcc_lo
	s_cbranch_execnz .LBB51_228
.LBB51_161:
	s_or_b32 exec_lo, exec_lo, s0
	s_and_saveexec_b32 s0, vcc_lo
	s_cbranch_execnz .LBB51_229
.LBB51_162:
	s_or_b32 exec_lo, exec_lo, s0
	s_and_saveexec_b32 s0, vcc_lo
	s_cbranch_execnz .LBB51_230
.LBB51_163:
	s_or_b32 exec_lo, exec_lo, s0
	s_and_saveexec_b32 s0, vcc_lo
	s_cbranch_execnz .LBB51_231
.LBB51_164:
	s_or_b32 exec_lo, exec_lo, s0
	s_and_saveexec_b32 s0, vcc_lo
	s_cbranch_execnz .LBB51_232
.LBB51_165:
	s_or_b32 exec_lo, exec_lo, s0
	s_and_saveexec_b32 s0, vcc_lo
	s_cbranch_execnz .LBB51_233
.LBB51_166:
	s_or_b32 exec_lo, exec_lo, s0
	s_and_saveexec_b32 s0, vcc_lo
	s_cbranch_execnz .LBB51_234
.LBB51_167:
	s_or_b32 exec_lo, exec_lo, s0
	s_and_saveexec_b32 s0, vcc_lo
	s_cbranch_execnz .LBB51_235
.LBB51_168:
	s_or_b32 exec_lo, exec_lo, s0
	s_and_saveexec_b32 s0, vcc_lo
	s_cbranch_execnz .LBB51_236
.LBB51_169:
	s_or_b32 exec_lo, exec_lo, s0
	s_and_saveexec_b32 s0, vcc_lo
	s_cbranch_execnz .LBB51_237
.LBB51_170:
	s_or_b32 exec_lo, exec_lo, s0
	s_and_saveexec_b32 s0, vcc_lo
	s_cbranch_execnz .LBB51_238
.LBB51_171:
	s_or_b32 exec_lo, exec_lo, s0
	s_and_saveexec_b32 s0, vcc_lo
	s_cbranch_execnz .LBB51_239
.LBB51_172:
	s_or_b32 exec_lo, exec_lo, s0
	s_and_saveexec_b32 s0, vcc_lo
	s_cbranch_execnz .LBB51_240
.LBB51_173:
	s_or_b32 exec_lo, exec_lo, s0
	s_and_saveexec_b32 s0, vcc_lo
	s_cbranch_execnz .LBB51_241
.LBB51_174:
	s_or_b32 exec_lo, exec_lo, s0
	s_and_saveexec_b32 s0, vcc_lo
	s_cbranch_execnz .LBB51_242
.LBB51_175:
	s_or_b32 exec_lo, exec_lo, s0
	s_and_saveexec_b32 s0, vcc_lo
	s_cbranch_execz .LBB51_177
.LBB51_176:
	ds_read_b32 v32, v32 offset:496
	s_waitcnt lgkmcnt(0)
	v_add_f32_e32 v31, v31, v32
.LBB51_177:
	s_or_b32 exec_lo, exec_lo, s0
.LBB51_178:
	s_or_b32 exec_lo, exec_lo, s1
	s_barrier
	buffer_gl0_inv
	s_mov_b32 s0, exec_lo
	v_cmpx_eq_u32_e32 0, v34
	s_cbranch_execz .LBB51_180
; %bb.179:
	s_lshl_b32 s0, s2, 7
	s_mul_i32 s2, s7, s10
	s_ashr_i32 s1, s0, 31
	v_lshrrev_b32_e32 v32, 1, v55
	s_lshl_b64 s[0:1], s[0:1], 2
	s_add_u32 s4, s24, s0
	s_addc_u32 s5, s25, s1
	s_ashr_i32 s3, s2, 31
	s_lshl_b64 s[0:1], s[2:3], 2
	s_add_u32 s2, s4, s0
	s_addc_u32 s3, s5, s1
	s_lshl_b32 s0, s8, 7
	s_ashr_i32 s1, s0, 31
	s_lshl_b64 s[0:1], s[0:1], 2
	s_add_u32 s0, s2, s0
	s_addc_u32 s1, s3, s1
	global_store_dword v32, v0, s[0:1]
	global_store_dword v32, v1, s[0:1] offset:16
	global_store_dword v32, v2, s[0:1] offset:32
	;; [unrolled: 1-line block ×31, first 2 shown]
.LBB51_180:
	s_endpgm
.LBB51_181:
	ds_read_b32 v34, v32
	s_waitcnt lgkmcnt(0)
	v_add_f32_e32 v0, v0, v34
	s_or_b32 exec_lo, exec_lo, s1
	s_and_saveexec_b32 s1, vcc_lo
	s_cbranch_execz .LBB51_109
.LBB51_182:
	ds_read_b32 v34, v32 offset:16
	s_waitcnt lgkmcnt(0)
	v_add_f32_e32 v1, v1, v34
	s_or_b32 exec_lo, exec_lo, s1
	s_and_saveexec_b32 s1, vcc_lo
	s_cbranch_execz .LBB51_110
.LBB51_183:
	ds_read_b32 v34, v32 offset:32
	s_waitcnt lgkmcnt(0)
	v_add_f32_e32 v2, v2, v34
	s_or_b32 exec_lo, exec_lo, s1
	s_and_saveexec_b32 s1, vcc_lo
	s_cbranch_execz .LBB51_111
.LBB51_184:
	ds_read_b32 v34, v32 offset:48
	s_waitcnt lgkmcnt(0)
	v_add_f32_e32 v3, v3, v34
	s_or_b32 exec_lo, exec_lo, s1
	s_and_saveexec_b32 s1, vcc_lo
	s_cbranch_execz .LBB51_112
.LBB51_185:
	ds_read_b32 v34, v32 offset:64
	s_waitcnt lgkmcnt(0)
	v_add_f32_e32 v4, v4, v34
	s_or_b32 exec_lo, exec_lo, s1
	s_and_saveexec_b32 s1, vcc_lo
	s_cbranch_execz .LBB51_113
.LBB51_186:
	ds_read_b32 v34, v32 offset:80
	s_waitcnt lgkmcnt(0)
	v_add_f32_e32 v5, v5, v34
	s_or_b32 exec_lo, exec_lo, s1
	s_and_saveexec_b32 s1, vcc_lo
	s_cbranch_execz .LBB51_114
.LBB51_187:
	ds_read_b32 v34, v32 offset:96
	s_waitcnt lgkmcnt(0)
	v_add_f32_e32 v6, v6, v34
	s_or_b32 exec_lo, exec_lo, s1
	s_and_saveexec_b32 s1, vcc_lo
	s_cbranch_execz .LBB51_115
.LBB51_188:
	ds_read_b32 v34, v32 offset:112
	s_waitcnt lgkmcnt(0)
	v_add_f32_e32 v7, v7, v34
	s_or_b32 exec_lo, exec_lo, s1
	s_and_saveexec_b32 s1, vcc_lo
	s_cbranch_execz .LBB51_116
.LBB51_189:
	ds_read_b32 v34, v32 offset:128
	s_waitcnt lgkmcnt(0)
	v_add_f32_e32 v8, v8, v34
	s_or_b32 exec_lo, exec_lo, s1
	s_and_saveexec_b32 s1, vcc_lo
	s_cbranch_execz .LBB51_117
.LBB51_190:
	ds_read_b32 v34, v32 offset:144
	s_waitcnt lgkmcnt(0)
	v_add_f32_e32 v9, v9, v34
	s_or_b32 exec_lo, exec_lo, s1
	s_and_saveexec_b32 s1, vcc_lo
	s_cbranch_execz .LBB51_118
.LBB51_191:
	ds_read_b32 v34, v32 offset:160
	s_waitcnt lgkmcnt(0)
	v_add_f32_e32 v10, v10, v34
	s_or_b32 exec_lo, exec_lo, s1
	s_and_saveexec_b32 s1, vcc_lo
	s_cbranch_execz .LBB51_119
.LBB51_192:
	ds_read_b32 v34, v32 offset:176
	s_waitcnt lgkmcnt(0)
	v_add_f32_e32 v11, v11, v34
	s_or_b32 exec_lo, exec_lo, s1
	s_and_saveexec_b32 s1, vcc_lo
	s_cbranch_execz .LBB51_120
.LBB51_193:
	ds_read_b32 v34, v32 offset:192
	s_waitcnt lgkmcnt(0)
	v_add_f32_e32 v12, v12, v34
	s_or_b32 exec_lo, exec_lo, s1
	s_and_saveexec_b32 s1, vcc_lo
	s_cbranch_execz .LBB51_121
.LBB51_194:
	ds_read_b32 v34, v32 offset:208
	s_waitcnt lgkmcnt(0)
	v_add_f32_e32 v13, v13, v34
	s_or_b32 exec_lo, exec_lo, s1
	s_and_saveexec_b32 s1, vcc_lo
	s_cbranch_execz .LBB51_122
.LBB51_195:
	ds_read_b32 v34, v32 offset:224
	s_waitcnt lgkmcnt(0)
	v_add_f32_e32 v14, v14, v34
	s_or_b32 exec_lo, exec_lo, s1
	s_and_saveexec_b32 s1, vcc_lo
	s_cbranch_execz .LBB51_123
.LBB51_196:
	ds_read_b32 v34, v32 offset:240
	s_waitcnt lgkmcnt(0)
	v_add_f32_e32 v15, v15, v34
	s_or_b32 exec_lo, exec_lo, s1
	s_and_saveexec_b32 s1, vcc_lo
	s_cbranch_execz .LBB51_124
.LBB51_197:
	ds_read_b32 v34, v32 offset:256
	s_waitcnt lgkmcnt(0)
	v_add_f32_e32 v16, v16, v34
	s_or_b32 exec_lo, exec_lo, s1
	s_and_saveexec_b32 s1, vcc_lo
	s_cbranch_execz .LBB51_125
.LBB51_198:
	ds_read_b32 v34, v32 offset:272
	s_waitcnt lgkmcnt(0)
	v_add_f32_e32 v17, v17, v34
	s_or_b32 exec_lo, exec_lo, s1
	s_and_saveexec_b32 s1, vcc_lo
	s_cbranch_execz .LBB51_126
.LBB51_199:
	ds_read_b32 v34, v32 offset:288
	s_waitcnt lgkmcnt(0)
	v_add_f32_e32 v18, v18, v34
	s_or_b32 exec_lo, exec_lo, s1
	s_and_saveexec_b32 s1, vcc_lo
	s_cbranch_execz .LBB51_127
.LBB51_200:
	ds_read_b32 v34, v32 offset:304
	s_waitcnt lgkmcnt(0)
	v_add_f32_e32 v19, v19, v34
	s_or_b32 exec_lo, exec_lo, s1
	s_and_saveexec_b32 s1, vcc_lo
	s_cbranch_execz .LBB51_128
.LBB51_201:
	ds_read_b32 v34, v32 offset:320
	s_waitcnt lgkmcnt(0)
	v_add_f32_e32 v20, v20, v34
	s_or_b32 exec_lo, exec_lo, s1
	s_and_saveexec_b32 s1, vcc_lo
	s_cbranch_execz .LBB51_129
.LBB51_202:
	ds_read_b32 v34, v32 offset:336
	s_waitcnt lgkmcnt(0)
	v_add_f32_e32 v21, v21, v34
	s_or_b32 exec_lo, exec_lo, s1
	s_and_saveexec_b32 s1, vcc_lo
	s_cbranch_execz .LBB51_130
.LBB51_203:
	ds_read_b32 v34, v32 offset:352
	s_waitcnt lgkmcnt(0)
	v_add_f32_e32 v22, v22, v34
	s_or_b32 exec_lo, exec_lo, s1
	s_and_saveexec_b32 s1, vcc_lo
	s_cbranch_execz .LBB51_131
.LBB51_204:
	ds_read_b32 v34, v32 offset:368
	s_waitcnt lgkmcnt(0)
	v_add_f32_e32 v23, v23, v34
	s_or_b32 exec_lo, exec_lo, s1
	s_and_saveexec_b32 s1, vcc_lo
	s_cbranch_execz .LBB51_132
.LBB51_205:
	ds_read_b32 v34, v32 offset:384
	s_waitcnt lgkmcnt(0)
	v_add_f32_e32 v24, v24, v34
	s_or_b32 exec_lo, exec_lo, s1
	s_and_saveexec_b32 s1, vcc_lo
	s_cbranch_execz .LBB51_133
.LBB51_206:
	ds_read_b32 v34, v32 offset:400
	s_waitcnt lgkmcnt(0)
	v_add_f32_e32 v25, v25, v34
	s_or_b32 exec_lo, exec_lo, s1
	s_and_saveexec_b32 s1, vcc_lo
	s_cbranch_execz .LBB51_134
.LBB51_207:
	ds_read_b32 v34, v32 offset:416
	s_waitcnt lgkmcnt(0)
	v_add_f32_e32 v26, v26, v34
	s_or_b32 exec_lo, exec_lo, s1
	s_and_saveexec_b32 s1, vcc_lo
	s_cbranch_execz .LBB51_135
.LBB51_208:
	ds_read_b32 v34, v32 offset:432
	s_waitcnt lgkmcnt(0)
	v_add_f32_e32 v27, v27, v34
	s_or_b32 exec_lo, exec_lo, s1
	s_and_saveexec_b32 s1, vcc_lo
	s_cbranch_execz .LBB51_136
.LBB51_209:
	ds_read_b32 v34, v32 offset:448
	s_waitcnt lgkmcnt(0)
	v_add_f32_e32 v28, v28, v34
	s_or_b32 exec_lo, exec_lo, s1
	s_and_saveexec_b32 s1, vcc_lo
	s_cbranch_execz .LBB51_137
.LBB51_210:
	ds_read_b32 v34, v32 offset:464
	s_waitcnt lgkmcnt(0)
	v_add_f32_e32 v29, v29, v34
	s_or_b32 exec_lo, exec_lo, s1
	s_and_saveexec_b32 s1, vcc_lo
	s_cbranch_execz .LBB51_138
.LBB51_211:
	ds_read_b32 v34, v32 offset:480
	s_waitcnt lgkmcnt(0)
	v_add_f32_e32 v30, v30, v34
	s_or_b32 exec_lo, exec_lo, s1
	s_and_saveexec_b32 s1, vcc_lo
	s_cbranch_execnz .LBB51_139
	s_branch .LBB51_140
.LBB51_212:
	ds_read_b32 v33, v32
	s_waitcnt lgkmcnt(0)
	v_add_f32_e32 v0, v0, v33
	s_or_b32 exec_lo, exec_lo, s0
	s_and_saveexec_b32 s0, vcc_lo
	s_cbranch_execz .LBB51_146
.LBB51_213:
	ds_read_b32 v33, v32 offset:16
	s_waitcnt lgkmcnt(0)
	v_add_f32_e32 v1, v1, v33
	s_or_b32 exec_lo, exec_lo, s0
	s_and_saveexec_b32 s0, vcc_lo
	s_cbranch_execz .LBB51_147
.LBB51_214:
	ds_read_b32 v33, v32 offset:32
	s_waitcnt lgkmcnt(0)
	v_add_f32_e32 v2, v2, v33
	s_or_b32 exec_lo, exec_lo, s0
	s_and_saveexec_b32 s0, vcc_lo
	s_cbranch_execz .LBB51_148
.LBB51_215:
	ds_read_b32 v33, v32 offset:48
	s_waitcnt lgkmcnt(0)
	v_add_f32_e32 v3, v3, v33
	s_or_b32 exec_lo, exec_lo, s0
	s_and_saveexec_b32 s0, vcc_lo
	s_cbranch_execz .LBB51_149
.LBB51_216:
	ds_read_b32 v33, v32 offset:64
	s_waitcnt lgkmcnt(0)
	v_add_f32_e32 v4, v4, v33
	s_or_b32 exec_lo, exec_lo, s0
	s_and_saveexec_b32 s0, vcc_lo
	s_cbranch_execz .LBB51_150
.LBB51_217:
	ds_read_b32 v33, v32 offset:80
	s_waitcnt lgkmcnt(0)
	v_add_f32_e32 v5, v5, v33
	s_or_b32 exec_lo, exec_lo, s0
	s_and_saveexec_b32 s0, vcc_lo
	s_cbranch_execz .LBB51_151
.LBB51_218:
	ds_read_b32 v33, v32 offset:96
	s_waitcnt lgkmcnt(0)
	v_add_f32_e32 v6, v6, v33
	s_or_b32 exec_lo, exec_lo, s0
	s_and_saveexec_b32 s0, vcc_lo
	s_cbranch_execz .LBB51_152
.LBB51_219:
	ds_read_b32 v33, v32 offset:112
	s_waitcnt lgkmcnt(0)
	v_add_f32_e32 v7, v7, v33
	s_or_b32 exec_lo, exec_lo, s0
	s_and_saveexec_b32 s0, vcc_lo
	s_cbranch_execz .LBB51_153
.LBB51_220:
	ds_read_b32 v33, v32 offset:128
	s_waitcnt lgkmcnt(0)
	v_add_f32_e32 v8, v8, v33
	s_or_b32 exec_lo, exec_lo, s0
	s_and_saveexec_b32 s0, vcc_lo
	s_cbranch_execz .LBB51_154
.LBB51_221:
	ds_read_b32 v33, v32 offset:144
	s_waitcnt lgkmcnt(0)
	v_add_f32_e32 v9, v9, v33
	s_or_b32 exec_lo, exec_lo, s0
	s_and_saveexec_b32 s0, vcc_lo
	s_cbranch_execz .LBB51_155
.LBB51_222:
	ds_read_b32 v33, v32 offset:160
	s_waitcnt lgkmcnt(0)
	v_add_f32_e32 v10, v10, v33
	s_or_b32 exec_lo, exec_lo, s0
	s_and_saveexec_b32 s0, vcc_lo
	s_cbranch_execz .LBB51_156
.LBB51_223:
	ds_read_b32 v33, v32 offset:176
	s_waitcnt lgkmcnt(0)
	v_add_f32_e32 v11, v11, v33
	s_or_b32 exec_lo, exec_lo, s0
	s_and_saveexec_b32 s0, vcc_lo
	s_cbranch_execz .LBB51_157
.LBB51_224:
	ds_read_b32 v33, v32 offset:192
	s_waitcnt lgkmcnt(0)
	v_add_f32_e32 v12, v12, v33
	s_or_b32 exec_lo, exec_lo, s0
	s_and_saveexec_b32 s0, vcc_lo
	s_cbranch_execz .LBB51_158
.LBB51_225:
	ds_read_b32 v33, v32 offset:208
	s_waitcnt lgkmcnt(0)
	v_add_f32_e32 v13, v13, v33
	s_or_b32 exec_lo, exec_lo, s0
	s_and_saveexec_b32 s0, vcc_lo
	s_cbranch_execz .LBB51_159
.LBB51_226:
	ds_read_b32 v33, v32 offset:224
	s_waitcnt lgkmcnt(0)
	v_add_f32_e32 v14, v14, v33
	s_or_b32 exec_lo, exec_lo, s0
	s_and_saveexec_b32 s0, vcc_lo
	s_cbranch_execz .LBB51_160
.LBB51_227:
	ds_read_b32 v33, v32 offset:240
	s_waitcnt lgkmcnt(0)
	v_add_f32_e32 v15, v15, v33
	s_or_b32 exec_lo, exec_lo, s0
	s_and_saveexec_b32 s0, vcc_lo
	s_cbranch_execz .LBB51_161
.LBB51_228:
	ds_read_b32 v33, v32 offset:256
	s_waitcnt lgkmcnt(0)
	v_add_f32_e32 v16, v16, v33
	s_or_b32 exec_lo, exec_lo, s0
	s_and_saveexec_b32 s0, vcc_lo
	s_cbranch_execz .LBB51_162
.LBB51_229:
	ds_read_b32 v33, v32 offset:272
	s_waitcnt lgkmcnt(0)
	v_add_f32_e32 v17, v17, v33
	s_or_b32 exec_lo, exec_lo, s0
	s_and_saveexec_b32 s0, vcc_lo
	s_cbranch_execz .LBB51_163
.LBB51_230:
	ds_read_b32 v33, v32 offset:288
	s_waitcnt lgkmcnt(0)
	v_add_f32_e32 v18, v18, v33
	s_or_b32 exec_lo, exec_lo, s0
	s_and_saveexec_b32 s0, vcc_lo
	s_cbranch_execz .LBB51_164
.LBB51_231:
	ds_read_b32 v33, v32 offset:304
	s_waitcnt lgkmcnt(0)
	v_add_f32_e32 v19, v19, v33
	s_or_b32 exec_lo, exec_lo, s0
	s_and_saveexec_b32 s0, vcc_lo
	s_cbranch_execz .LBB51_165
.LBB51_232:
	ds_read_b32 v33, v32 offset:320
	s_waitcnt lgkmcnt(0)
	v_add_f32_e32 v20, v20, v33
	s_or_b32 exec_lo, exec_lo, s0
	s_and_saveexec_b32 s0, vcc_lo
	s_cbranch_execz .LBB51_166
.LBB51_233:
	ds_read_b32 v33, v32 offset:336
	s_waitcnt lgkmcnt(0)
	v_add_f32_e32 v21, v21, v33
	s_or_b32 exec_lo, exec_lo, s0
	s_and_saveexec_b32 s0, vcc_lo
	s_cbranch_execz .LBB51_167
.LBB51_234:
	ds_read_b32 v33, v32 offset:352
	s_waitcnt lgkmcnt(0)
	v_add_f32_e32 v22, v22, v33
	s_or_b32 exec_lo, exec_lo, s0
	s_and_saveexec_b32 s0, vcc_lo
	s_cbranch_execz .LBB51_168
.LBB51_235:
	ds_read_b32 v33, v32 offset:368
	s_waitcnt lgkmcnt(0)
	v_add_f32_e32 v23, v23, v33
	s_or_b32 exec_lo, exec_lo, s0
	s_and_saveexec_b32 s0, vcc_lo
	s_cbranch_execz .LBB51_169
.LBB51_236:
	ds_read_b32 v33, v32 offset:384
	s_waitcnt lgkmcnt(0)
	v_add_f32_e32 v24, v24, v33
	s_or_b32 exec_lo, exec_lo, s0
	s_and_saveexec_b32 s0, vcc_lo
	s_cbranch_execz .LBB51_170
.LBB51_237:
	ds_read_b32 v33, v32 offset:400
	s_waitcnt lgkmcnt(0)
	v_add_f32_e32 v25, v25, v33
	s_or_b32 exec_lo, exec_lo, s0
	s_and_saveexec_b32 s0, vcc_lo
	s_cbranch_execz .LBB51_171
.LBB51_238:
	ds_read_b32 v33, v32 offset:416
	s_waitcnt lgkmcnt(0)
	v_add_f32_e32 v26, v26, v33
	s_or_b32 exec_lo, exec_lo, s0
	s_and_saveexec_b32 s0, vcc_lo
	s_cbranch_execz .LBB51_172
.LBB51_239:
	ds_read_b32 v33, v32 offset:432
	s_waitcnt lgkmcnt(0)
	v_add_f32_e32 v27, v27, v33
	s_or_b32 exec_lo, exec_lo, s0
	s_and_saveexec_b32 s0, vcc_lo
	s_cbranch_execz .LBB51_173
.LBB51_240:
	ds_read_b32 v33, v32 offset:448
	s_waitcnt lgkmcnt(0)
	v_add_f32_e32 v28, v28, v33
	s_or_b32 exec_lo, exec_lo, s0
	s_and_saveexec_b32 s0, vcc_lo
	s_cbranch_execz .LBB51_174
.LBB51_241:
	ds_read_b32 v33, v32 offset:464
	s_waitcnt lgkmcnt(0)
	v_add_f32_e32 v29, v29, v33
	s_or_b32 exec_lo, exec_lo, s0
	s_and_saveexec_b32 s0, vcc_lo
	s_cbranch_execz .LBB51_175
.LBB51_242:
	ds_read_b32 v33, v32 offset:480
	s_waitcnt lgkmcnt(0)
	v_add_f32_e32 v30, v30, v33
	s_or_b32 exec_lo, exec_lo, s0
	s_and_saveexec_b32 s0, vcc_lo
	s_cbranch_execnz .LBB51_176
	s_branch .LBB51_177
	.section	.rodata,"a",@progbits
	.p2align	6, 0x0
	.amdhsa_kernel _ZN4vllm25paged_attention_v2_kernelIffLi128ELi32ELi128ELNS_18Fp8KVCacheDataTypeE0ELb1ELi512EEEvPfS2_PT_PKS3_PKT0_S9_ifPKiSB_iPKfiiiSD_SD_iiiii
		.amdhsa_group_segment_fixed_size 544
		.amdhsa_private_segment_fixed_size 296
		.amdhsa_kernarg_size 400
		.amdhsa_user_sgpr_count 6
		.amdhsa_user_sgpr_private_segment_buffer 1
		.amdhsa_user_sgpr_dispatch_ptr 0
		.amdhsa_user_sgpr_queue_ptr 0
		.amdhsa_user_sgpr_kernarg_segment_ptr 1
		.amdhsa_user_sgpr_dispatch_id 0
		.amdhsa_user_sgpr_flat_scratch_init 0
		.amdhsa_user_sgpr_private_segment_size 0
		.amdhsa_wavefront_size32 1
		.amdhsa_uses_dynamic_stack 0
		.amdhsa_system_sgpr_private_segment_wavefront_offset 1
		.amdhsa_system_sgpr_workgroup_id_x 1
		.amdhsa_system_sgpr_workgroup_id_y 1
		.amdhsa_system_sgpr_workgroup_id_z 1
		.amdhsa_system_sgpr_workgroup_info 0
		.amdhsa_system_vgpr_workitem_id 0
		.amdhsa_next_free_vgpr 128
		.amdhsa_next_free_sgpr 52
		.amdhsa_reserve_vcc 1
		.amdhsa_reserve_flat_scratch 0
		.amdhsa_float_round_mode_32 0
		.amdhsa_float_round_mode_16_64 0
		.amdhsa_float_denorm_mode_32 3
		.amdhsa_float_denorm_mode_16_64 3
		.amdhsa_dx10_clamp 1
		.amdhsa_ieee_mode 1
		.amdhsa_fp16_overflow 0
		.amdhsa_workgroup_processor_mode 1
		.amdhsa_memory_ordered 1
		.amdhsa_forward_progress 1
		.amdhsa_shared_vgpr_count 0
		.amdhsa_exception_fp_ieee_invalid_op 0
		.amdhsa_exception_fp_denorm_src 0
		.amdhsa_exception_fp_ieee_div_zero 0
		.amdhsa_exception_fp_ieee_overflow 0
		.amdhsa_exception_fp_ieee_underflow 0
		.amdhsa_exception_fp_ieee_inexact 0
		.amdhsa_exception_int_div_zero 0
	.end_amdhsa_kernel
	.section	.text._ZN4vllm25paged_attention_v2_kernelIffLi128ELi32ELi128ELNS_18Fp8KVCacheDataTypeE0ELb1ELi512EEEvPfS2_PT_PKS3_PKT0_S9_ifPKiSB_iPKfiiiSD_SD_iiiii,"axG",@progbits,_ZN4vllm25paged_attention_v2_kernelIffLi128ELi32ELi128ELNS_18Fp8KVCacheDataTypeE0ELb1ELi512EEEvPfS2_PT_PKS3_PKT0_S9_ifPKiSB_iPKfiiiSD_SD_iiiii,comdat
.Lfunc_end51:
	.size	_ZN4vllm25paged_attention_v2_kernelIffLi128ELi32ELi128ELNS_18Fp8KVCacheDataTypeE0ELb1ELi512EEEvPfS2_PT_PKS3_PKT0_S9_ifPKiSB_iPKfiiiSD_SD_iiiii, .Lfunc_end51-_ZN4vllm25paged_attention_v2_kernelIffLi128ELi32ELi128ELNS_18Fp8KVCacheDataTypeE0ELb1ELi512EEEvPfS2_PT_PKS3_PKT0_S9_ifPKiSB_iPKfiiiSD_SD_iiiii
                                        ; -- End function
	.set _ZN4vllm25paged_attention_v2_kernelIffLi128ELi32ELi128ELNS_18Fp8KVCacheDataTypeE0ELb1ELi512EEEvPfS2_PT_PKS3_PKT0_S9_ifPKiSB_iPKfiiiSD_SD_iiiii.num_vgpr, 128
	.set _ZN4vllm25paged_attention_v2_kernelIffLi128ELi32ELi128ELNS_18Fp8KVCacheDataTypeE0ELb1ELi512EEEvPfS2_PT_PKS3_PKT0_S9_ifPKiSB_iPKfiiiSD_SD_iiiii.num_agpr, 0
	.set _ZN4vllm25paged_attention_v2_kernelIffLi128ELi32ELi128ELNS_18Fp8KVCacheDataTypeE0ELb1ELi512EEEvPfS2_PT_PKS3_PKT0_S9_ifPKiSB_iPKfiiiSD_SD_iiiii.numbered_sgpr, 52
	.set _ZN4vllm25paged_attention_v2_kernelIffLi128ELi32ELi128ELNS_18Fp8KVCacheDataTypeE0ELb1ELi512EEEvPfS2_PT_PKS3_PKT0_S9_ifPKiSB_iPKfiiiSD_SD_iiiii.num_named_barrier, 0
	.set _ZN4vllm25paged_attention_v2_kernelIffLi128ELi32ELi128ELNS_18Fp8KVCacheDataTypeE0ELb1ELi512EEEvPfS2_PT_PKS3_PKT0_S9_ifPKiSB_iPKfiiiSD_SD_iiiii.private_seg_size, 296
	.set _ZN4vllm25paged_attention_v2_kernelIffLi128ELi32ELi128ELNS_18Fp8KVCacheDataTypeE0ELb1ELi512EEEvPfS2_PT_PKS3_PKT0_S9_ifPKiSB_iPKfiiiSD_SD_iiiii.uses_vcc, 1
	.set _ZN4vllm25paged_attention_v2_kernelIffLi128ELi32ELi128ELNS_18Fp8KVCacheDataTypeE0ELb1ELi512EEEvPfS2_PT_PKS3_PKT0_S9_ifPKiSB_iPKfiiiSD_SD_iiiii.uses_flat_scratch, 0
	.set _ZN4vllm25paged_attention_v2_kernelIffLi128ELi32ELi128ELNS_18Fp8KVCacheDataTypeE0ELb1ELi512EEEvPfS2_PT_PKS3_PKT0_S9_ifPKiSB_iPKfiiiSD_SD_iiiii.has_dyn_sized_stack, 0
	.set _ZN4vllm25paged_attention_v2_kernelIffLi128ELi32ELi128ELNS_18Fp8KVCacheDataTypeE0ELb1ELi512EEEvPfS2_PT_PKS3_PKT0_S9_ifPKiSB_iPKfiiiSD_SD_iiiii.has_recursion, 0
	.set _ZN4vllm25paged_attention_v2_kernelIffLi128ELi32ELi128ELNS_18Fp8KVCacheDataTypeE0ELb1ELi512EEEvPfS2_PT_PKS3_PKT0_S9_ifPKiSB_iPKfiiiSD_SD_iiiii.has_indirect_call, 0
	.section	.AMDGPU.csdata,"",@progbits
; Kernel info:
; codeLenInByte = 15904
; TotalNumSgprs: 54
; NumVgprs: 128
; ScratchSize: 296
; MemoryBound: 0
; FloatMode: 240
; IeeeMode: 1
; LDSByteSize: 544 bytes/workgroup (compile time only)
; SGPRBlocks: 0
; VGPRBlocks: 15
; NumSGPRsForWavesPerEU: 54
; NumVGPRsForWavesPerEU: 128
; Occupancy: 8
; WaveLimiterHint : 1
; COMPUTE_PGM_RSRC2:SCRATCH_EN: 1
; COMPUTE_PGM_RSRC2:USER_SGPR: 6
; COMPUTE_PGM_RSRC2:TRAP_HANDLER: 0
; COMPUTE_PGM_RSRC2:TGID_X_EN: 1
; COMPUTE_PGM_RSRC2:TGID_Y_EN: 1
; COMPUTE_PGM_RSRC2:TGID_Z_EN: 1
; COMPUTE_PGM_RSRC2:TIDIG_COMP_CNT: 0
	.section	.text._ZN4vllm25paged_attention_v2_kernelIffLi192ELi32ELi128ELNS_18Fp8KVCacheDataTypeE0ELb1ELi512EEEvPfS2_PT_PKS3_PKT0_S9_ifPKiSB_iPKfiiiSD_SD_iiiii,"axG",@progbits,_ZN4vllm25paged_attention_v2_kernelIffLi192ELi32ELi128ELNS_18Fp8KVCacheDataTypeE0ELb1ELi512EEEvPfS2_PT_PKS3_PKT0_S9_ifPKiSB_iPKfiiiSD_SD_iiiii,comdat
	.protected	_ZN4vllm25paged_attention_v2_kernelIffLi192ELi32ELi128ELNS_18Fp8KVCacheDataTypeE0ELb1ELi512EEEvPfS2_PT_PKS3_PKT0_S9_ifPKiSB_iPKfiiiSD_SD_iiiii ; -- Begin function _ZN4vllm25paged_attention_v2_kernelIffLi192ELi32ELi128ELNS_18Fp8KVCacheDataTypeE0ELb1ELi512EEEvPfS2_PT_PKS3_PKT0_S9_ifPKiSB_iPKfiiiSD_SD_iiiii
	.globl	_ZN4vllm25paged_attention_v2_kernelIffLi192ELi32ELi128ELNS_18Fp8KVCacheDataTypeE0ELb1ELi512EEEvPfS2_PT_PKS3_PKT0_S9_ifPKiSB_iPKfiiiSD_SD_iiiii
	.p2align	8
	.type	_ZN4vllm25paged_attention_v2_kernelIffLi192ELi32ELi128ELNS_18Fp8KVCacheDataTypeE0ELb1ELi512EEEvPfS2_PT_PKS3_PKT0_S9_ifPKiSB_iPKfiiiSD_SD_iiiii,@function
_ZN4vllm25paged_attention_v2_kernelIffLi192ELi32ELi128ELNS_18Fp8KVCacheDataTypeE0ELb1ELi512EEEvPfS2_PT_PKS3_PKT0_S9_ifPKiSB_iPKfiiiSD_SD_iiiii: ; @_ZN4vllm25paged_attention_v2_kernelIffLi192ELi32ELi128ELNS_18Fp8KVCacheDataTypeE0ELb1ELi512EEEvPfS2_PT_PKS3_PKT0_S9_ifPKiSB_iPKfiiiSD_SD_iiiii
; %bb.0:
	s_mov_b64 s[50:51], s[2:3]
	s_mov_b64 s[48:49], s[0:1]
	s_load_dwordx2 s[0:1], s[4:5], 0x40
	s_add_u32 s48, s48, s9
	s_addc_u32 s49, s49, 0
	s_mov_b32 s26, s7
	s_ashr_i32 s27, s7, 31
	buffer_store_dword v0, off, s[48:51], 0 offset:564 ; 4-byte Folded Spill
	s_lshl_b64 s[2:3], s[26:27], 2
	s_waitcnt lgkmcnt(0)
	s_add_u32 s0, s0, s2
	s_addc_u32 s1, s1, s3
	s_lshl_b32 s36, s8, 9
	s_load_dword s27, s[0:1], 0x0
	s_waitcnt lgkmcnt(0)
	s_cmp_ge_i32 s36, s27
	s_cbranch_scc1 .LBB52_245
; %bb.1:
	s_clause 0x1
	s_load_dword s9, s[4:5], 0x90
	s_load_dwordx2 s[2:3], s[4:5], 0x30
	s_mov_b32 s39, 0
	s_waitcnt lgkmcnt(0)
	s_abs_i32 s10, s9
	s_abs_i32 s0, s2
	v_cvt_f32_u32_e32 v0, s0
	s_sub_i32 s7, 0, s0
	v_rcp_iflag_f32_e32 v0, v0
	v_mul_f32_e32 v0, 0x4f7ffffe, v0
	v_cvt_u32_f32_e32 v0, v0
	v_readfirstlane_b32 s1, v0
	s_mul_i32 s7, s7, s1
	s_mul_hi_u32 s7, s1, s7
	s_add_i32 s1, s1, s7
	s_xor_b32 s7, s9, s2
	s_mul_hi_u32 s1, s10, s1
	s_ashr_i32 s7, s7, 31
	s_mul_i32 s11, s1, s0
	s_sub_i32 s10, s10, s11
	s_add_i32 s11, s1, 1
	s_sub_i32 s12, s10, s0
	s_cmp_ge_u32 s10, s0
	s_cselect_b32 s1, s11, s1
	s_cselect_b32 s10, s12, s10
	s_add_i32 s11, s1, 1
	s_cmp_ge_u32 s10, s0
	s_cselect_b32 s0, s11, s1
	s_abs_i32 s21, s6
	s_xor_b32 s0, s0, s7
	s_sub_i32 s10, s0, s7
	s_load_dwordx2 s[0:1], s[4:5], 0x50
	s_abs_i32 s20, s10
	v_cvt_f32_u32_e32 v0, s20
	s_sub_i32 s11, 0, s20
	v_rcp_iflag_f32_e32 v0, v0
	v_mul_f32_e32 v0, 0x4f7ffffe, v0
	v_cvt_u32_f32_e32 v0, v0
	v_readfirstlane_b32 s7, v0
	s_mul_i32 s11, s11, s7
	s_mul_hi_u32 s11, s7, s11
	s_add_i32 s7, s7, s11
	s_waitcnt lgkmcnt(0)
	s_cmp_eq_u64 s[0:1], 0
	s_mul_hi_u32 s22, s21, s7
	s_cbranch_scc1 .LBB52_3
; %bb.2:
	s_ashr_i32 s7, s6, 31
	s_lshl_b64 s[12:13], s[6:7], 2
	s_add_u32 s0, s0, s12
	s_addc_u32 s1, s1, s13
	s_load_dword s39, s[0:1], 0x0
.LBB52_3:
	buffer_load_dword v0, off, s[48:51], 0 offset:564 ; 4-byte Folded Reload
	s_load_dwordx4 s[12:15], s[4:5], 0x58
	s_ashr_i32 s0, s6, 31
	s_ashr_i32 s1, s10, 31
	s_mul_i32 s10, s6, 0xc0
	s_mov_b32 s7, exec_lo
	s_waitcnt vmcnt(0)
	v_cmpx_gt_u32_e32 48, v0
	s_cbranch_execz .LBB52_5
; %bb.4:
	buffer_load_dword v0, off, s[48:51], 0 offset:564 ; 4-byte Folded Reload
	s_load_dwordx2 s[16:17], s[4:5], 0x18
	s_waitcnt lgkmcnt(0)
	s_mul_i32 s18, s12, s26
	s_ashr_i32 s19, s18, 31
	s_lshl_b64 s[18:19], s[18:19], 2
	s_add_u32 s12, s16, s18
	s_addc_u32 s15, s17, s19
	s_ashr_i32 s11, s10, 31
	s_lshl_b64 s[16:17], s[10:11], 2
	s_add_u32 s16, s12, s16
	s_addc_u32 s17, s15, s17
	s_waitcnt vmcnt(0)
	v_lshlrev_b32_e32 v4, 4, v0
	global_load_dwordx4 v[0:3], v4, s[16:17]
	s_waitcnt vmcnt(0)
	ds_write_b128 v4, v[0:3]
.LBB52_5:
	s_or_b32 exec_lo, exec_lo, s7
	s_load_dwordx4 s[16:19], s[4:5], 0x78
	s_mul_i32 s7, s22, s20
	s_xor_b32 s0, s0, s1
	s_sub_i32 s1, s21, s7
	s_add_i32 s7, s22, 1
	s_sub_i32 s11, s1, s20
	s_cmp_ge_u32 s1, s20
	s_mov_b32 s21, -1
	s_cselect_b32 s7, s7, s22
	s_cselect_b32 s1, s11, s1
	s_add_i32 s11, s7, 1
	s_cmp_ge_u32 s1, s20
                                        ; implicit-def: $sgpr33
	s_cselect_b32 s1, s11, s7
	s_load_dword s7, s[4:5], 0x88
	s_xor_b32 s1, s1, s0
	s_add_i32 s20, s27, -1
	s_sub_i32 s1, s1, s0
	s_waitcnt lgkmcnt(0)
	s_abs_i32 s15, s20
	s_waitcnt_vscnt null, 0x0
	s_abs_i32 s11, s19
	s_barrier
	v_cvt_f32_u32_e32 v0, s11
	s_sub_i32 s0, 0, s11
	buffer_gl0_inv
	v_rcp_iflag_f32_e32 v0, v0
	v_mul_f32_e32 v0, 0x4f7ffffe, v0
	v_cvt_u32_f32_e32 v0, v0
	v_readfirstlane_b32 s12, v0
	s_mul_i32 s0, s0, s12
	s_mul_hi_u32 s0, s12, s0
	s_add_i32 s12, s12, s0
	s_cmp_lt_i32 s7, 0
	s_mul_hi_u32 s0, s15, s12
	s_cbranch_scc0 .LBB52_7
; %bb.6:
	s_mul_i32 s2, s16, s2
	s_mov_b32 s21, 0
	s_add_i32 s2, s1, s2
	s_mul_i32 s2, s2, s7
	s_sub_i32 s33, 1, s2
.LBB52_7:
	s_load_dwordx2 s[28:29], s[4:5], 0x38
	s_ashr_i32 s2, s20, 31
	s_andn2_b32 vcc_lo, exec_lo, s21
	s_ashr_i32 s19, s19, 31
	s_cbranch_vccnz .LBB52_9
; %bb.8:
	s_mul_i32 s16, s9, s16
	s_add_i32 s16, s16, s6
	s_mul_i32 s7, s16, s7
	s_add_i32 s33, s7, 1
.LBB52_9:
	s_mul_i32 s20, s0, s11
	s_clause 0x2
	s_load_dword s16, s[4:5], 0x48
	s_load_dwordx2 s[30:31], s[4:5], 0x28
	s_load_dword s7, s[4:5], 0x98
	s_sub_i32 s15, s15, s20
	s_clause 0x1
	s_load_dwordx4 s[20:23], s[4:5], 0x0
	s_load_dwordx2 s[24:25], s[4:5], 0x10
	buffer_load_dword v0, off, s[48:51], 0 offset:564 ; 4-byte Folded Reload
	s_xor_b32 s2, s2, s19
	s_add_i32 s37, s0, 1
	v_mov_b32_e32 v71, 0xff7fffff
	s_mul_i32 s14, s1, s14
	s_waitcnt lgkmcnt(0)
	s_mul_i32 s34, s16, s26
	s_sub_i32 s16, s15, s11
	s_ashr_i32 s35, s34, 31
	s_cmp_ge_u32 s15, s11
	s_cselect_b32 s0, s37, s0
	s_cselect_b32 s15, s16, s15
	s_add_i32 s16, s0, 1
	s_cmp_ge_u32 s15, s11
	s_cselect_b32 s0, s16, s0
	s_lshl_b32 s40, s8, 4
	s_add_i32 s15, s27, 31
	s_add_i32 s38, s40, 16
	s_ashr_i32 s16, s15, 31
	s_lshr_b32 s16, s16, 27
	s_add_i32 s15, s15, s16
	s_ashr_i32 s37, s15, 5
	s_xor_b32 s15, s0, s2
	s_min_i32 s16, s38, s37
	s_sub_i32 s38, s15, s2
	s_waitcnt vmcnt(0)
	v_lshrrev_b32_e32 v1, 5, v0
	v_and_b32_e32 v0, 31, v0
	v_add_nc_u32_e32 v2, s40, v1
	buffer_store_dword v1, off, s[48:51], 0 offset:588 ; 4-byte Folded Spill
	v_lshlrev_b32_e32 v72, 2, v0
	v_mov_b32_e32 v1, v2
	buffer_store_dword v1, off, s[48:51], 0 ; 4-byte Folded Spill
	buffer_store_dword v2, off, s[48:51], 0 offset:4 ; 4-byte Folded Spill
	buffer_store_dword v0, off, s[48:51], 0 offset:568 ; 4-byte Folded Spill
	v_cmp_gt_i32_e64 s0, s16, v2
	s_and_saveexec_b32 s41, s0
	s_cbranch_execz .LBB52_17
; %bb.10:
	buffer_load_dword v71, off, s[48:51], 0 offset:568 ; 4-byte Folded Reload
	s_load_dwordx2 s[42:43], s[4:5], 0x20
	s_ashr_i32 s15, s14, 31
	s_sub_i32 s4, s38, s17
	s_lshl_b64 s[44:45], s[14:15], 2
	v_mov_b32_e32 v65, 0
	v_cmp_neq_f32_e64 vcc_lo, s39, 0
	s_mov_b32 s5, s13
	s_mov_b32 s15, 0
	s_waitcnt lgkmcnt(0)
	s_add_u32 s1, s42, s44
	s_addc_u32 s2, s43, s45
	s_abs_i32 s42, s18
	s_lshl_b64 s[44:45], s[34:35], 2
	s_waitcnt vmcnt(0)
	v_lshlrev_b32_e32 v0, 4, v71
	v_add_co_u32 v0, s1, s1, v0
	buffer_store_dword v0, off, s[48:51], 0 offset:8 ; 4-byte Folded Spill
	v_add_co_ci_u32_e64 v0, null, s2, 0, s1
	s_sub_i32 s1, 0, s42
	buffer_store_dword v0, off, s[48:51], 0 offset:24 ; 4-byte Folded Spill
	ds_read_b128 v[0:3], v65
	s_waitcnt lgkmcnt(0)
	buffer_store_dword v0, off, s[48:51], 0 offset:40 ; 4-byte Folded Spill
	buffer_store_dword v1, off, s[48:51], 0 offset:44 ; 4-byte Folded Spill
	buffer_store_dword v2, off, s[48:51], 0 offset:48 ; 4-byte Folded Spill
	buffer_store_dword v3, off, s[48:51], 0 offset:52 ; 4-byte Folded Spill
	ds_read_b128 v[0:3], v65 offset:16
	s_waitcnt lgkmcnt(0)
	buffer_store_dword v0, off, s[48:51], 0 offset:56 ; 4-byte Folded Spill
	buffer_store_dword v1, off, s[48:51], 0 offset:60 ; 4-byte Folded Spill
	buffer_store_dword v2, off, s[48:51], 0 offset:64 ; 4-byte Folded Spill
	buffer_store_dword v3, off, s[48:51], 0 offset:68 ; 4-byte Folded Spill
	ds_read_b128 v[0:3], v65 offset:32
	;; [unrolled: 6-line block ×21, first 2 shown]
	s_waitcnt lgkmcnt(0)
	buffer_store_dword v0, off, s[48:51], 0 offset:376 ; 4-byte Folded Spill
	buffer_store_dword v1, off, s[48:51], 0 offset:380 ; 4-byte Folded Spill
	;; [unrolled: 1-line block ×4, first 2 shown]
	v_cvt_f32_u32_e32 v0, s42
	ds_read_b128 v[89:92], v65 offset:352
	ds_read_b128 v[93:96], v65 offset:368
	;; [unrolled: 1-line block ×26, first 2 shown]
	v_rcp_iflag_f32_e32 v0, v0
	v_mul_f32_e32 v0, 0x4f7ffffe, v0
	v_cvt_u32_f32_e32 v0, v0
	v_mul_lo_u32 v69, s1, v0
	s_add_u32 s1, s28, s44
	s_addc_u32 s2, s29, s45
	v_mul_hi_u32 v69, v0, v69
	v_add_nc_u32_e32 v75, v0, v69
	s_clause 0x1
	buffer_load_dword v69, off, s[48:51], 0
	buffer_load_dword v70, off, s[48:51], 0 offset:4
	s_waitcnt vmcnt(1)
	v_mov_b32_e32 v73, v69
	v_ashrrev_i32_e32 v74, 31, v73
	v_mov_b32_e32 v125, v73
	s_waitcnt vmcnt(0)
	v_lshlrev_b64 v[69:70], 2, v[73:74]
	v_add_co_u32 v126, s1, s1, v69
	v_add_co_ci_u32_e64 v127, null, s2, v70, s1
	buffer_load_dword v70, off, s[48:51], 0 offset:588 ; 4-byte Folded Reload
	v_subrev_nc_u32_e32 v69, s27, v71
	v_mov_b32_e32 v71, 0xff7fffff
	v_add_nc_u32_e32 v69, 1, v69
	buffer_store_dword v69, off, s[48:51], 0 offset:396 ; 4-byte Folded Spill
	buffer_store_dword v72, off, s[48:51], 0 offset:400 ; 4-byte Folded Spill
	s_waitcnt vmcnt(0)
	v_lshl_or_b32 v69, v70, 7, v72
	v_lshl_add_u32 v0, v70, 5, s36
	v_add_nc_u32_e32 v72, 0x320, v69
	v_mov_b32_e32 v69, v73
	buffer_store_dword v69, off, s[48:51], 0 ; 4-byte Folded Spill
	buffer_store_dword v70, off, s[48:51], 0 offset:4 ; 4-byte Folded Spill
	buffer_store_dword v75, off, s[48:51], 0 offset:392 ; 4-byte Folded Spill
	s_branch .LBB52_12
.LBB52_11:                              ;   in Loop: Header=BB52_12 Depth=1
	s_or_b32 exec_lo, exec_lo, s2
	v_add_nc_u32_e32 v125, 4, v125
	v_add_co_u32 v126, s1, v126, 16
	v_add_co_ci_u32_e64 v127, null, 0, v127, s1
	v_cmp_le_i32_e64 s1, s16, v125
	v_add_nc_u32_e32 v0, 0x80, v0
	v_add_nc_u32_e32 v72, 0x200, v72
	s_or_b32 s15, s1, s15
	s_andn2_b32 exec_lo, exec_lo, s15
	s_cbranch_execz .LBB52_16
.LBB52_12:                              ; =>This Inner Loop Header: Depth=1
	v_sub_nc_u32_e32 v69, 0, v0
	v_max_i32_e32 v69, v0, v69
	v_mul_hi_u32 v70, v69, s12
	v_mul_lo_u32 v73, v70, s11
	v_sub_nc_u32_e32 v69, v69, v73
	v_add_nc_u32_e32 v73, 1, v70
	v_subrev_nc_u32_e32 v74, s11, v69
	v_cmp_le_u32_e64 s1, s11, v69
	v_cndmask_b32_e64 v70, v70, v73, s1
	v_cndmask_b32_e64 v69, v69, v74, s1
	v_ashrrev_i32_e32 v73, 31, v0
	v_add_nc_u32_e32 v74, 1, v70
	v_cmp_le_u32_e64 s1, s11, v69
	v_xor_b32_e32 v73, s19, v73
	v_cndmask_b32_e64 v69, v70, v74, s1
	v_xor_b32_e32 v69, v69, v73
	v_sub_nc_u32_e32 v69, v69, v73
	v_add_nc_u32_e32 v70, s33, v69
	v_cmp_ge_i32_e64 s2, s4, v69
	v_sub_nc_u32_e32 v73, 0, v70
	v_max_i32_e32 v73, v70, v73
	v_ashrrev_i32_e32 v70, 31, v70
	v_mul_hi_u32 v74, v73, v75
	v_mul_lo_u32 v74, v74, s42
	v_sub_nc_u32_e32 v73, v73, v74
	v_subrev_nc_u32_e32 v74, s42, v73
	v_cmp_le_u32_e64 s1, s42, v73
	v_cndmask_b32_e64 v73, v73, v74, s1
	v_subrev_nc_u32_e32 v74, s42, v73
	v_cmp_le_u32_e64 s1, s42, v73
	v_cndmask_b32_e64 v73, v73, v74, s1
	v_xor_b32_e32 v73, v73, v70
	v_sub_nc_u32_e32 v70, v73, v70
	v_cmp_ne_u32_e64 s1, 0, v70
	s_and_b32 s1, s1, s2
	s_and_saveexec_b32 s2, s1
	s_xor_b32 s1, exec_lo, s2
; %bb.13:                               ;   in Loop: Header=BB52_12 Depth=1
	v_mov_b32_e32 v69, 0xff7fffff
	ds_write_b32 v72, v69
; %bb.14:                               ;   in Loop: Header=BB52_12 Depth=1
	s_andn2_saveexec_b32 s2, s1
	s_cbranch_execz .LBB52_11
; %bb.15:                               ;   in Loop: Header=BB52_12 Depth=1
	global_load_dword v69, v[126:127], off
	buffer_load_dword v73, off, s[48:51], 0 offset:8 ; 4-byte Folded Reload
	s_waitcnt vmcnt(1)
	v_mad_i64_i32 v[69:70], null, v69, s5, 0
	v_lshlrev_b64 v[69:70], 2, v[69:70]
	s_waitcnt vmcnt(0)
	v_add_co_u32 v69, s1, v73, v69
	buffer_load_dword v73, off, s[48:51], 0 offset:24 ; 4-byte Folded Reload
	s_waitcnt vmcnt(0)
	v_add_co_ci_u32_e64 v70, null, v73, v70, s1
	global_load_dwordx4 v[77:80], v[69:70], off offset:512
	s_clause 0x3
	buffer_load_dword v81, off, s[48:51], 0 offset:56
	buffer_load_dword v82, off, s[48:51], 0 offset:60
	;; [unrolled: 1-line block ×4, first 2 shown]
	s_waitcnt vmcnt(3)
	v_mul_f32_e32 v74, v81, v77
	s_waitcnt vmcnt(2)
	v_mul_f32_e32 v75, v82, v78
	;; [unrolled: 2-line block ×4, first 2 shown]
	global_load_dwordx4 v[77:80], v[69:70], off
	s_clause 0x3
	buffer_load_dword v81, off, s[48:51], 0 offset:40
	buffer_load_dword v82, off, s[48:51], 0 offset:44
	buffer_load_dword v83, off, s[48:51], 0 offset:48
	buffer_load_dword v84, off, s[48:51], 0 offset:52
	s_waitcnt vmcnt(3)
	v_fmac_f32_e32 v74, v81, v77
	s_waitcnt vmcnt(2)
	v_fmac_f32_e32 v75, v82, v78
	;; [unrolled: 2-line block ×4, first 2 shown]
	global_load_dwordx4 v[77:80], v[69:70], off offset:1024
	s_clause 0x3
	buffer_load_dword v81, off, s[48:51], 0 offset:72
	buffer_load_dword v82, off, s[48:51], 0 offset:76
	;; [unrolled: 1-line block ×4, first 2 shown]
	s_waitcnt vmcnt(3)
	v_fmac_f32_e32 v74, v81, v77
	s_waitcnt vmcnt(2)
	v_fmac_f32_e32 v75, v82, v78
	;; [unrolled: 2-line block ×4, first 2 shown]
	global_load_dwordx4 v[77:80], v[69:70], off offset:1536
	s_clause 0x3
	buffer_load_dword v81, off, s[48:51], 0 offset:88
	buffer_load_dword v82, off, s[48:51], 0 offset:92
	;; [unrolled: 1-line block ×4, first 2 shown]
	s_waitcnt vmcnt(3)
	v_fmac_f32_e32 v74, v81, v77
	v_add_co_u32 v81, s1, v69, 0x1000
	s_waitcnt vmcnt(2)
	v_fmac_f32_e32 v75, v82, v78
	v_add_co_ci_u32_e64 v82, null, 0, v70, s1
	s_waitcnt vmcnt(1)
	v_fmac_f32_e32 v76, v83, v79
	s_waitcnt vmcnt(0)
	v_fmac_f32_e32 v73, v84, v80
	global_load_dwordx4 v[77:80], v[81:82], off offset:-2048
	s_clause 0x3
	buffer_load_dword v83, off, s[48:51], 0 offset:104
	buffer_load_dword v84, off, s[48:51], 0 offset:108
	;; [unrolled: 1-line block ×4, first 2 shown]
	s_waitcnt vmcnt(3)
	v_fmac_f32_e32 v74, v83, v77
	v_add_co_u32 v83, s1, 0x800, v69
	s_waitcnt vmcnt(2)
	v_fmac_f32_e32 v75, v84, v78
	v_add_co_ci_u32_e64 v84, null, 0, v70, s1
	s_waitcnt vmcnt(1)
	v_fmac_f32_e32 v76, v85, v79
	s_waitcnt vmcnt(0)
	v_fmac_f32_e32 v73, v86, v80
	global_load_dwordx4 v[77:80], v[83:84], off offset:512
	s_clause 0x3
	buffer_load_dword v85, off, s[48:51], 0 offset:120
	buffer_load_dword v86, off, s[48:51], 0 offset:124
	buffer_load_dword v87, off, s[48:51], 0 offset:128
	buffer_load_dword v88, off, s[48:51], 0 offset:132
	s_waitcnt vmcnt(3)
	v_fmac_f32_e32 v74, v85, v77
	s_waitcnt vmcnt(2)
	v_fmac_f32_e32 v75, v86, v78
	s_waitcnt vmcnt(1)
	v_fmac_f32_e32 v76, v87, v79
	s_waitcnt vmcnt(0)
	v_fmac_f32_e32 v73, v88, v80
	global_load_dwordx4 v[77:80], v[83:84], off offset:1024
	s_clause 0x3
	buffer_load_dword v85, off, s[48:51], 0 offset:136
	buffer_load_dword v86, off, s[48:51], 0 offset:140
	buffer_load_dword v87, off, s[48:51], 0 offset:144
	buffer_load_dword v88, off, s[48:51], 0 offset:148
	s_waitcnt vmcnt(3)
	v_fmac_f32_e32 v74, v85, v77
	s_waitcnt vmcnt(2)
	v_fmac_f32_e32 v75, v86, v78
	;; [unrolled: 14-line block ×3, first 2 shown]
	s_waitcnt vmcnt(1)
	v_fmac_f32_e32 v76, v85, v79
	s_waitcnt vmcnt(0)
	v_fmac_f32_e32 v73, v86, v80
	global_load_dwordx4 v[77:80], v[81:82], off
	s_clause 0x3
	buffer_load_dword v81, off, s[48:51], 0 offset:168
	buffer_load_dword v82, off, s[48:51], 0 offset:172
	;; [unrolled: 1-line block ×4, first 2 shown]
	s_waitcnt vmcnt(3)
	v_fmac_f32_e32 v74, v81, v77
	v_add_co_u32 v81, s1, 0x1000, v69
	s_waitcnt vmcnt(2)
	v_fmac_f32_e32 v75, v82, v78
	v_add_co_ci_u32_e64 v82, null, 0, v70, s1
	s_waitcnt vmcnt(1)
	v_fmac_f32_e32 v76, v83, v79
	s_waitcnt vmcnt(0)
	v_fmac_f32_e32 v73, v84, v80
	global_load_dwordx4 v[77:80], v[81:82], off offset:512
	s_clause 0x3
	buffer_load_dword v83, off, s[48:51], 0 offset:184
	buffer_load_dword v84, off, s[48:51], 0 offset:188
	;; [unrolled: 1-line block ×4, first 2 shown]
	s_waitcnt vmcnt(3)
	v_fmac_f32_e32 v74, v83, v77
	s_waitcnt vmcnt(2)
	v_fmac_f32_e32 v75, v84, v78
	;; [unrolled: 2-line block ×4, first 2 shown]
	global_load_dwordx4 v[77:80], v[81:82], off offset:1024
	s_clause 0x3
	buffer_load_dword v83, off, s[48:51], 0 offset:200
	buffer_load_dword v84, off, s[48:51], 0 offset:204
	;; [unrolled: 1-line block ×4, first 2 shown]
	s_waitcnt vmcnt(3)
	v_fmac_f32_e32 v74, v83, v77
	s_waitcnt vmcnt(2)
	v_fmac_f32_e32 v75, v84, v78
	;; [unrolled: 2-line block ×4, first 2 shown]
	global_load_dwordx4 v[77:80], v[81:82], off offset:1536
	s_clause 0x3
	buffer_load_dword v81, off, s[48:51], 0 offset:216
	buffer_load_dword v82, off, s[48:51], 0 offset:220
	;; [unrolled: 1-line block ×4, first 2 shown]
	s_waitcnt vmcnt(3)
	v_fmac_f32_e32 v74, v81, v77
	v_add_co_u32 v81, s1, v69, 0x2000
	s_waitcnt vmcnt(2)
	v_fmac_f32_e32 v75, v82, v78
	v_add_co_ci_u32_e64 v82, null, 0, v70, s1
	s_waitcnt vmcnt(1)
	v_fmac_f32_e32 v76, v83, v79
	s_waitcnt vmcnt(0)
	v_fmac_f32_e32 v73, v84, v80
	global_load_dwordx4 v[77:80], v[81:82], off offset:-2048
	s_clause 0x3
	buffer_load_dword v83, off, s[48:51], 0 offset:232
	buffer_load_dword v84, off, s[48:51], 0 offset:236
	;; [unrolled: 1-line block ×4, first 2 shown]
	s_waitcnt vmcnt(3)
	v_fmac_f32_e32 v74, v83, v77
	v_add_co_u32 v83, s1, 0x1800, v69
	s_waitcnt vmcnt(2)
	v_fmac_f32_e32 v75, v84, v78
	v_add_co_ci_u32_e64 v84, null, 0, v70, s1
	s_waitcnt vmcnt(1)
	v_fmac_f32_e32 v76, v85, v79
	s_waitcnt vmcnt(0)
	v_fmac_f32_e32 v73, v86, v80
	global_load_dwordx4 v[77:80], v[83:84], off offset:512
	s_clause 0x3
	buffer_load_dword v85, off, s[48:51], 0 offset:248
	buffer_load_dword v86, off, s[48:51], 0 offset:252
	buffer_load_dword v87, off, s[48:51], 0 offset:256
	buffer_load_dword v88, off, s[48:51], 0 offset:260
	s_waitcnt vmcnt(3)
	v_fmac_f32_e32 v74, v85, v77
	s_waitcnt vmcnt(2)
	v_fmac_f32_e32 v75, v86, v78
	s_waitcnt vmcnt(1)
	v_fmac_f32_e32 v76, v87, v79
	s_waitcnt vmcnt(0)
	v_fmac_f32_e32 v73, v88, v80
	global_load_dwordx4 v[77:80], v[83:84], off offset:1024
	s_clause 0x3
	buffer_load_dword v85, off, s[48:51], 0 offset:264
	buffer_load_dword v86, off, s[48:51], 0 offset:268
	buffer_load_dword v87, off, s[48:51], 0 offset:272
	buffer_load_dword v88, off, s[48:51], 0 offset:276
	s_waitcnt vmcnt(3)
	v_fmac_f32_e32 v74, v85, v77
	s_waitcnt vmcnt(2)
	v_fmac_f32_e32 v75, v86, v78
	s_waitcnt vmcnt(1)
	v_fmac_f32_e32 v76, v87, v79
	s_waitcnt vmcnt(0)
	v_fmac_f32_e32 v73, v88, v80
	global_load_dwordx4 v[77:80], v[83:84], off offset:1536
	s_clause 0x3
	buffer_load_dword v83, off, s[48:51], 0 offset:280
	buffer_load_dword v84, off, s[48:51], 0 offset:284
	buffer_load_dword v85, off, s[48:51], 0 offset:288
	buffer_load_dword v86, off, s[48:51], 0 offset:292
	s_waitcnt vmcnt(3)
	v_fmac_f32_e32 v74, v83, v77
	s_waitcnt vmcnt(2)
	v_fmac_f32_e32 v75, v84, v78
	s_waitcnt vmcnt(1)
	v_fmac_f32_e32 v76, v85, v79
	s_waitcnt vmcnt(0)
	v_fmac_f32_e32 v73, v86, v80
	global_load_dwordx4 v[77:80], v[81:82], off
	s_clause 0x3
	buffer_load_dword v81, off, s[48:51], 0 offset:296
	buffer_load_dword v82, off, s[48:51], 0 offset:300
	;; [unrolled: 1-line block ×4, first 2 shown]
	s_waitcnt vmcnt(3)
	v_fmac_f32_e32 v74, v81, v77
	v_add_co_u32 v81, s1, 0x2000, v69
	s_waitcnt vmcnt(2)
	v_fmac_f32_e32 v75, v82, v78
	v_add_co_ci_u32_e64 v82, null, 0, v70, s1
	s_waitcnt vmcnt(1)
	v_fmac_f32_e32 v76, v83, v79
	s_waitcnt vmcnt(0)
	v_fmac_f32_e32 v73, v84, v80
	global_load_dwordx4 v[77:80], v[81:82], off offset:512
	s_clause 0x3
	buffer_load_dword v83, off, s[48:51], 0 offset:312
	buffer_load_dword v84, off, s[48:51], 0 offset:316
	buffer_load_dword v85, off, s[48:51], 0 offset:320
	buffer_load_dword v86, off, s[48:51], 0 offset:324
	s_waitcnt vmcnt(3)
	v_fmac_f32_e32 v74, v83, v77
	s_waitcnt vmcnt(2)
	v_fmac_f32_e32 v75, v84, v78
	;; [unrolled: 2-line block ×4, first 2 shown]
	global_load_dwordx4 v[77:80], v[81:82], off offset:1024
	s_clause 0x3
	buffer_load_dword v83, off, s[48:51], 0 offset:328
	buffer_load_dword v84, off, s[48:51], 0 offset:332
	;; [unrolled: 1-line block ×4, first 2 shown]
	s_waitcnt vmcnt(3)
	v_fmac_f32_e32 v74, v83, v77
	s_waitcnt vmcnt(2)
	v_fmac_f32_e32 v75, v84, v78
	;; [unrolled: 2-line block ×4, first 2 shown]
	global_load_dwordx4 v[77:80], v[81:82], off offset:1536
	s_clause 0x3
	buffer_load_dword v81, off, s[48:51], 0 offset:344
	buffer_load_dword v82, off, s[48:51], 0 offset:348
	;; [unrolled: 1-line block ×4, first 2 shown]
	s_waitcnt vmcnt(3)
	v_fmac_f32_e32 v74, v81, v77
	v_add_co_u32 v81, s1, v69, 0x3000
	s_waitcnt vmcnt(2)
	v_fmac_f32_e32 v75, v82, v78
	v_add_co_ci_u32_e64 v82, null, 0, v70, s1
	s_waitcnt vmcnt(1)
	v_fmac_f32_e32 v76, v83, v79
	s_waitcnt vmcnt(0)
	v_fmac_f32_e32 v73, v84, v80
	global_load_dwordx4 v[77:80], v[81:82], off offset:-2048
	s_clause 0x3
	buffer_load_dword v83, off, s[48:51], 0 offset:360
	buffer_load_dword v84, off, s[48:51], 0 offset:364
	;; [unrolled: 1-line block ×4, first 2 shown]
	s_waitcnt vmcnt(3)
	v_fmac_f32_e32 v74, v83, v77
	v_add_co_u32 v83, s1, 0x2800, v69
	s_waitcnt vmcnt(2)
	v_fmac_f32_e32 v75, v84, v78
	v_add_co_ci_u32_e64 v84, null, 0, v70, s1
	s_waitcnt vmcnt(1)
	v_fmac_f32_e32 v76, v85, v79
	s_waitcnt vmcnt(0)
	v_fmac_f32_e32 v73, v86, v80
	global_load_dwordx4 v[77:80], v[83:84], off offset:512
	s_clause 0x3
	buffer_load_dword v85, off, s[48:51], 0 offset:376
	buffer_load_dword v86, off, s[48:51], 0 offset:380
	;; [unrolled: 1-line block ×4, first 2 shown]
	s_waitcnt vmcnt(3)
	v_fmac_f32_e32 v74, v85, v77
	s_waitcnt vmcnt(2)
	v_fmac_f32_e32 v75, v86, v78
	;; [unrolled: 2-line block ×4, first 2 shown]
	global_load_dwordx4 v[77:80], v[83:84], off offset:1024
	s_waitcnt vmcnt(0) lgkmcnt(25)
	v_fmac_f32_e32 v74, v89, v77
	v_fmac_f32_e32 v75, v90, v78
	;; [unrolled: 1-line block ×4, first 2 shown]
	global_load_dwordx4 v[77:80], v[83:84], off offset:1536
	s_waitcnt vmcnt(0) lgkmcnt(24)
	v_fmac_f32_e32 v74, v93, v77
	v_fmac_f32_e32 v75, v94, v78
	;; [unrolled: 1-line block ×4, first 2 shown]
	global_load_dwordx4 v[77:80], v[81:82], off
	v_add_co_u32 v81, s1, 0x3000, v69
	v_add_co_ci_u32_e64 v82, null, 0, v70, s1
	s_waitcnt vmcnt(0) lgkmcnt(23)
	v_fmac_f32_e32 v74, v97, v77
	v_fmac_f32_e32 v75, v98, v78
	v_fmac_f32_e32 v76, v99, v79
	v_fmac_f32_e32 v73, v100, v80
	global_load_dwordx4 v[77:80], v[81:82], off offset:512
	s_waitcnt vmcnt(0) lgkmcnt(22)
	v_fmac_f32_e32 v74, v101, v77
	v_fmac_f32_e32 v75, v102, v78
	v_fmac_f32_e32 v76, v103, v79
	v_fmac_f32_e32 v73, v104, v80
	global_load_dwordx4 v[77:80], v[81:82], off offset:1024
	s_waitcnt vmcnt(0) lgkmcnt(21)
	v_fmac_f32_e32 v74, v105, v77
	v_fmac_f32_e32 v75, v106, v78
	v_fmac_f32_e32 v76, v107, v79
	v_fmac_f32_e32 v73, v108, v80
	global_load_dwordx4 v[77:80], v[81:82], off offset:1536
	v_add_co_u32 v81, s1, v69, 0x4000
	v_add_co_ci_u32_e64 v82, null, 0, v70, s1
	v_add_co_u32 v83, s1, 0x3800, v69
	v_add_co_ci_u32_e64 v84, null, 0, v70, s1
	s_waitcnt vmcnt(0) lgkmcnt(20)
	v_fmac_f32_e32 v74, v109, v77
	v_fmac_f32_e32 v75, v110, v78
	;; [unrolled: 1-line block ×4, first 2 shown]
	global_load_dwordx4 v[77:80], v[81:82], off offset:-2048
	s_waitcnt vmcnt(0) lgkmcnt(19)
	v_fmac_f32_e32 v74, v113, v77
	v_fmac_f32_e32 v75, v114, v78
	v_fmac_f32_e32 v76, v115, v79
	v_fmac_f32_e32 v73, v116, v80
	global_load_dwordx4 v[77:80], v[83:84], off offset:512
	s_waitcnt vmcnt(0) lgkmcnt(18)
	v_fmac_f32_e32 v74, v117, v77
	v_fmac_f32_e32 v75, v118, v78
	v_fmac_f32_e32 v76, v119, v79
	v_fmac_f32_e32 v73, v120, v80
	global_load_dwordx4 v[77:80], v[83:84], off offset:1024
	;; [unrolled: 6-line block ×3, first 2 shown]
	s_waitcnt vmcnt(0) lgkmcnt(16)
	v_fmac_f32_e32 v74, v1, v77
	v_fmac_f32_e32 v75, v2, v78
	;; [unrolled: 1-line block ×4, first 2 shown]
	global_load_dwordx4 v[77:80], v[81:82], off
	v_add_co_u32 v81, s1, 0x4000, v69
	v_add_co_ci_u32_e64 v82, null, 0, v70, s1
	s_waitcnt vmcnt(0) lgkmcnt(15)
	v_fmac_f32_e32 v74, v5, v77
	v_fmac_f32_e32 v75, v6, v78
	v_fmac_f32_e32 v76, v7, v79
	v_fmac_f32_e32 v73, v8, v80
	global_load_dwordx4 v[77:80], v[81:82], off offset:512
	s_waitcnt vmcnt(0) lgkmcnt(14)
	v_fmac_f32_e32 v74, v9, v77
	v_fmac_f32_e32 v75, v10, v78
	v_fmac_f32_e32 v76, v11, v79
	v_fmac_f32_e32 v73, v12, v80
	global_load_dwordx4 v[77:80], v[81:82], off offset:1024
	s_waitcnt vmcnt(0) lgkmcnt(13)
	v_fmac_f32_e32 v74, v13, v77
	v_fmac_f32_e32 v75, v14, v78
	v_fmac_f32_e32 v76, v15, v79
	v_fmac_f32_e32 v73, v16, v80
	global_load_dwordx4 v[77:80], v[81:82], off offset:1536
	v_add_co_u32 v81, s1, v69, 0x5000
	v_add_co_ci_u32_e64 v82, null, 0, v70, s1
	v_add_co_u32 v83, s1, 0x4800, v69
	v_add_co_ci_u32_e64 v84, null, 0, v70, s1
	s_waitcnt vmcnt(0) lgkmcnt(12)
	v_fmac_f32_e32 v74, v17, v77
	v_fmac_f32_e32 v75, v18, v78
	;; [unrolled: 1-line block ×4, first 2 shown]
	global_load_dwordx4 v[77:80], v[81:82], off offset:-2048
	s_waitcnt vmcnt(0) lgkmcnt(11)
	v_fmac_f32_e32 v74, v21, v77
	v_fmac_f32_e32 v75, v22, v78
	v_fmac_f32_e32 v76, v23, v79
	v_fmac_f32_e32 v73, v24, v80
	global_load_dwordx4 v[77:80], v[83:84], off offset:512
	s_waitcnt vmcnt(0) lgkmcnt(10)
	v_fmac_f32_e32 v74, v25, v77
	v_fmac_f32_e32 v75, v26, v78
	v_fmac_f32_e32 v76, v27, v79
	v_fmac_f32_e32 v73, v28, v80
	global_load_dwordx4 v[77:80], v[83:84], off offset:1024
	;; [unrolled: 6-line block ×3, first 2 shown]
	s_waitcnt vmcnt(0) lgkmcnt(8)
	v_fmac_f32_e32 v74, v33, v77
	v_fmac_f32_e32 v75, v34, v78
	v_fmac_f32_e32 v76, v35, v79
	v_fmac_f32_e32 v73, v36, v80
	global_load_dwordx4 v[77:80], v[81:82], off
	v_add_co_u32 v81, s1, 0x5000, v69
	v_add_co_ci_u32_e64 v82, null, 0, v70, s1
	v_add_co_u32 v69, s1, 0x5800, v69
	v_add_co_ci_u32_e64 v70, null, 0, v70, s1
	s_waitcnt vmcnt(0) lgkmcnt(7)
	v_fmac_f32_e32 v74, v37, v77
	v_fmac_f32_e32 v75, v38, v78
	v_fmac_f32_e32 v76, v39, v79
	v_fmac_f32_e32 v73, v40, v80
	global_load_dwordx4 v[77:80], v[81:82], off offset:512
	s_waitcnt vmcnt(0) lgkmcnt(6)
	v_fmac_f32_e32 v74, v41, v77
	v_fmac_f32_e32 v75, v42, v78
	v_fmac_f32_e32 v76, v43, v79
	v_fmac_f32_e32 v73, v44, v80
	global_load_dwordx4 v[77:80], v[81:82], off offset:1024
	;; [unrolled: 6-line block ×3, first 2 shown]
	s_waitcnt vmcnt(0) lgkmcnt(4)
	v_fmac_f32_e32 v74, v49, v77
	v_fmac_f32_e32 v75, v50, v78
	;; [unrolled: 1-line block ×4, first 2 shown]
	global_load_dwordx4 v[77:80], v[69:70], off
	s_waitcnt vmcnt(0) lgkmcnt(3)
	v_fmac_f32_e32 v74, v53, v77
	v_fmac_f32_e32 v75, v54, v78
	v_fmac_f32_e32 v76, v55, v79
	v_fmac_f32_e32 v73, v56, v80
	global_load_dwordx4 v[77:80], v[69:70], off offset:512
	s_waitcnt vmcnt(0) lgkmcnt(2)
	v_fmac_f32_e32 v74, v57, v77
	v_fmac_f32_e32 v75, v58, v78
	v_fmac_f32_e32 v76, v59, v79
	v_fmac_f32_e32 v73, v60, v80
	global_load_dwordx4 v[77:80], v[69:70], off offset:1024
	;; [unrolled: 6-line block ×3, first 2 shown]
	buffer_load_dword v70, off, s[48:51], 0 offset:568 ; 4-byte Folded Reload
	s_waitcnt vmcnt(1) lgkmcnt(0)
	v_fmac_f32_e32 v74, v65, v77
	v_fmac_f32_e32 v75, v66, v78
	s_waitcnt vmcnt(0)
	v_add_nc_u32_e32 v70, v70, v0
	v_fmac_f32_e32 v76, v67, v79
	v_fmac_f32_e32 v73, v68, v80
	v_add_f32_e32 v69, v74, v75
	buffer_load_dword v75, off, s[48:51], 0 offset:392 ; 4-byte Folded Reload
	v_cmp_gt_i32_e64 s1, s27, v70
	buffer_load_dword v70, off, s[48:51], 0 offset:396 ; 4-byte Folded Reload
	v_add_f32_e32 v69, v76, v69
	v_add_f32_e32 v69, v73, v69
	s_waitcnt vmcnt(0)
	v_add_nc_u32_e32 v70, v70, v0
	v_cvt_f32_i32_e32 v70, v70
	v_mul_f32_e32 v70, s39, v70
	v_cndmask_b32_e32 v70, 0, v70, vcc_lo
	v_fmac_f32_e32 v70, s3, v69
	v_max_f32_e32 v69, v71, v71
	v_max_f32_e32 v69, v69, v70
	v_cndmask_b32_e64 v71, v71, v69, s1
	v_cndmask_b32_e64 v69, 0, v70, s1
	ds_write_b32 v72, v69
	s_branch .LBB52_11
.LBB52_16:
	s_or_b32 exec_lo, exec_lo, s15
	buffer_load_dword v72, off, s[48:51], 0 offset:400 ; 4-byte Folded Reload
.LBB52_17:
	s_or_b32 exec_lo, exec_lo, s41
	v_mbcnt_lo_u32_b32 v0, -1, 0
	s_waitcnt lgkmcnt(16)
	v_max_f32_e32 v4, v71, v71
	v_xor_b32_e32 v1, 16, v0
	v_xor_b32_e32 v3, 8, v0
	v_cmp_gt_i32_e32 vcc_lo, 32, v1
	v_cndmask_b32_e32 v1, v0, v1, vcc_lo
	v_cmp_gt_i32_e32 vcc_lo, 32, v3
	v_lshlrev_b32_e32 v1, 2, v1
	v_cndmask_b32_e32 v3, v0, v3, vcc_lo
	ds_bpermute_b32 v2, v1, v71
	s_waitcnt lgkmcnt(0)
	v_max_f32_e32 v5, v2, v2
	v_lshlrev_b32_e32 v2, 2, v3
	v_max_f32_e32 v3, v4, v5
	v_xor_b32_e32 v5, 4, v0
	ds_bpermute_b32 v4, v2, v3
	v_cmp_gt_i32_e32 vcc_lo, 32, v5
	v_cndmask_b32_e32 v5, v0, v5, vcc_lo
	v_lshlrev_b32_e32 v5, 2, v5
	buffer_store_dword v5, off, s[48:51], 0 offset:596 ; 4-byte Folded Spill
	s_waitcnt lgkmcnt(0)
	v_max_f32_e32 v4, v4, v4
	v_max_f32_e32 v3, v3, v4
	ds_bpermute_b32 v4, v5, v3
	v_xor_b32_e32 v5, 2, v0
	v_cmp_gt_i32_e32 vcc_lo, 32, v5
	v_cndmask_b32_e32 v5, v0, v5, vcc_lo
	v_lshlrev_b32_e32 v5, 2, v5
	s_waitcnt lgkmcnt(0)
	v_max_f32_e32 v4, v4, v4
	buffer_store_dword v5, off, s[48:51], 0 offset:584 ; 4-byte Folded Spill
	v_max_f32_e32 v3, v3, v4
	ds_bpermute_b32 v4, v5, v3
	v_xor_b32_e32 v5, 1, v0
	v_cmp_gt_i32_e32 vcc_lo, 32, v5
	v_cndmask_b32_e32 v5, v0, v5, vcc_lo
	v_lshlrev_b32_e32 v5, 2, v5
	s_waitcnt lgkmcnt(0)
	v_max_f32_e32 v4, v4, v4
	v_max_f32_e32 v0, v3, v4
	buffer_load_dword v4, off, s[48:51], 0 offset:568 ; 4-byte Folded Reload
	ds_bpermute_b32 v3, v5, v0
	s_waitcnt vmcnt(0)
	v_cmp_eq_u32_e32 vcc_lo, 0, v4
	buffer_load_dword v4, off, s[48:51], 0 offset:588 ; 4-byte Folded Reload
	s_waitcnt vmcnt(0)
	v_lshlrev_b32_e32 v4, 2, v4
	s_and_saveexec_b32 s1, vcc_lo
	s_cbranch_execz .LBB52_19
; %bb.18:
	s_waitcnt lgkmcnt(0)
	v_max_f32_e32 v3, v3, v3
	v_max_f32_e32 v0, v0, v0
	;; [unrolled: 1-line block ×3, first 2 shown]
	ds_write_b32 v4, v0 offset:768
.LBB52_19:
	s_or_b32 exec_lo, exec_lo, s1
	buffer_load_dword v0, off, s[48:51], 0 offset:568 ; 4-byte Folded Reload
	s_waitcnt vmcnt(0) lgkmcnt(0)
	s_waitcnt_vscnt null, 0x0
	s_barrier
	buffer_gl0_inv
	v_cmp_gt_u32_e64 s1, 4, v0
	v_mov_b32_e32 v0, 0xff7fffff
	s_and_saveexec_b32 s2, s1
; %bb.20:
	ds_read_b32 v0, v72 offset:768
; %bb.21:
	s_or_b32 exec_lo, exec_lo, s2
	buffer_load_dword v3, off, s[48:51], 0 offset:584 ; 4-byte Folded Reload
	buffer_store_dword v5, off, s[48:51], 0 offset:592 ; 4-byte Folded Spill
	s_sub_i32 s2, s16, s40
	s_lshl_b32 s2, s2, 5
	s_add_i32 s2, s2, s36
	s_min_i32 s2, s2, s27
	s_sub_i32 s4, s2, s36
	s_waitcnt vmcnt(0) lgkmcnt(0)
	ds_bpermute_b32 v3, v3, v0
	v_max_f32_e32 v0, v0, v0
	s_waitcnt lgkmcnt(0)
	v_max_f32_e32 v3, v3, v3
	v_max_f32_e32 v0, v0, v3
	ds_bpermute_b32 v3, v5, v0
	v_mov_b32_e32 v5, 0
	s_waitcnt lgkmcnt(0)
	v_max_f32_e32 v3, v3, v3
	v_max_f32_e32 v0, v0, v3
	buffer_load_dword v3, off, s[48:51], 0 offset:564 ; 4-byte Folded Reload
	ds_bpermute_b32 v0, v5, v0
	s_waitcnt vmcnt(0)
	v_cmp_gt_i32_e64 s2, s4, v3
	v_lshl_add_u32 v3, v3, 2, 0x320
	s_and_saveexec_b32 s5, s2
	s_cbranch_execz .LBB52_25
; %bb.22:
	buffer_load_dword v7, off, s[48:51], 0 offset:564 ; 4-byte Folded Reload
	v_mov_b32_e32 v5, 0
	s_mov_b32 s15, 0
	s_waitcnt vmcnt(0)
	v_lshl_add_u32 v6, v7, 2, 0x320
	.p2align	6
.LBB52_23:                              ; =>This Inner Loop Header: Depth=1
	ds_read_b32 v8, v6
	v_add_nc_u32_e32 v7, 0x80, v7
	v_cmp_le_i32_e64 s3, s4, v7
	s_or_b32 s15, s3, s15
	s_waitcnt lgkmcnt(0)
	v_sub_f32_e32 v8, v8, v0
	v_mul_f32_e32 v8, 0x3fb8aa3b, v8
	v_exp_f32_e32 v8, v8
	ds_write_b32 v6, v8
	v_add_f32_e32 v5, v5, v8
	v_add_nc_u32_e32 v6, 0x200, v6
	s_andn2_b32 exec_lo, exec_lo, s15
	s_cbranch_execnz .LBB52_23
; %bb.24:
	s_or_b32 exec_lo, exec_lo, s15
.LBB52_25:
	s_or_b32 exec_lo, exec_lo, s5
	ds_bpermute_b32 v1, v1, v5
	s_waitcnt lgkmcnt(0)
	v_add_f32_e32 v1, v5, v1
	buffer_load_dword v5, off, s[48:51], 0 offset:592 ; 4-byte Folded Reload
	ds_bpermute_b32 v2, v2, v1
	s_waitcnt lgkmcnt(0)
	v_add_f32_e32 v1, v1, v2
	buffer_load_dword v2, off, s[48:51], 0 offset:596 ; 4-byte Folded Reload
	s_waitcnt vmcnt(0)
	ds_bpermute_b32 v2, v2, v1
	s_waitcnt lgkmcnt(0)
	v_add_f32_e32 v1, v1, v2
	buffer_load_dword v2, off, s[48:51], 0 offset:584 ; 4-byte Folded Reload
	s_waitcnt vmcnt(0)
	ds_bpermute_b32 v2, v2, v1
	s_waitcnt lgkmcnt(0)
	v_add_f32_e32 v1, v1, v2
	ds_bpermute_b32 v2, v5, v1
	s_waitcnt lgkmcnt(0)
	v_add_f32_e32 v1, v1, v2
	s_and_saveexec_b32 s3, vcc_lo
; %bb.26:
	ds_write_b32 v4, v1 offset:784
; %bb.27:
	s_or_b32 exec_lo, exec_lo, s3
	s_waitcnt lgkmcnt(0)
	s_waitcnt_vscnt null, 0x0
	s_barrier
	buffer_gl0_inv
	s_and_saveexec_b32 s3, s1
; %bb.28:
	ds_read_b32 v1, v72 offset:784
; %bb.29:
	s_or_b32 exec_lo, exec_lo, s3
	buffer_load_dword v2, off, s[48:51], 0 offset:584 ; 4-byte Folded Reload
	s_waitcnt vmcnt(0) lgkmcnt(0)
	ds_bpermute_b32 v2, v2, v1
	s_waitcnt lgkmcnt(0)
	v_add_f32_e32 v1, v1, v2
	ds_bpermute_b32 v2, v5, v1
	s_waitcnt lgkmcnt(0)
	v_add_f32_e32 v1, v1, v2
	v_mov_b32_e32 v2, 0
	ds_bpermute_b32 v1, v2, v1
	s_and_saveexec_b32 s1, s2
	s_cbranch_execz .LBB52_32
; %bb.30:
	s_waitcnt lgkmcnt(0)
	v_add_f32_e32 v2, 0x358637bd, v1
	s_mov_b32 s2, 0
	v_div_scale_f32 v4, null, v2, v2, 1.0
	v_div_scale_f32 v7, vcc_lo, 1.0, v2, 1.0
	v_rcp_f32_e32 v5, v4
	v_fma_f32 v6, -v4, v5, 1.0
	v_fmac_f32_e32 v5, v6, v5
	v_mul_f32_e32 v6, v7, v5
	v_fma_f32 v8, -v4, v6, v7
	v_fmac_f32_e32 v6, v8, v5
	v_fma_f32 v4, -v4, v6, v7
	v_div_fmas_f32 v4, v4, v5, v6
	v_div_fixup_f32 v2, v4, v2, 1.0
	buffer_load_dword v4, off, s[48:51], 0 offset:564 ; 4-byte Folded Reload
.LBB52_31:                              ; =>This Inner Loop Header: Depth=1
	ds_read_b32 v5, v3
	s_waitcnt vmcnt(0)
	v_add_nc_u32_e32 v4, 0x80, v4
	v_cmp_le_i32_e32 vcc_lo, s4, v4
	s_or_b32 s2, vcc_lo, s2
	s_waitcnt lgkmcnt(0)
	v_mul_f32_e32 v5, v2, v5
	ds_write_b32 v3, v5
	v_add_nc_u32_e32 v3, 0x200, v3
	s_andn2_b32 exec_lo, exec_lo, s2
	s_cbranch_execnz .LBB52_31
.LBB52_32:
	s_or_b32 exec_lo, exec_lo, s1
	s_waitcnt lgkmcnt(0)
	buffer_load_dword v2, off, s[48:51], 0 offset:564 ; 4-byte Folded Reload
	s_mul_i32 s1, s7, s26
	s_barrier
	s_mul_i32 s2, s1, s9
	s_mov_b32 s1, exec_lo
	s_waitcnt vmcnt(0)
	buffer_gl0_inv
	v_cmpx_eq_u32_e32 0, v2
	s_cbranch_execz .LBB52_34
; %bb.33:
	s_ashr_i32 s3, s2, 31
	s_mul_i32 s40, s7, s6
	s_lshl_b64 s[4:5], s[2:3], 2
	v_mov_b32_e32 v2, 0
	s_add_u32 s3, s22, s4
	s_addc_u32 s6, s23, s5
	s_ashr_i32 s41, s40, 31
	s_lshl_b64 s[22:23], s[40:41], 2
	s_add_u32 s3, s3, s22
	s_addc_u32 s6, s6, s23
	s_ashr_i32 s9, s8, 31
	s_lshl_b64 s[40:41], s[8:9], 2
	s_add_u32 s42, s3, s40
	s_addc_u32 s43, s6, s41
	s_add_u32 s3, s20, s4
	s_addc_u32 s4, s21, s5
	;; [unrolled: 2-line block ×4, first 2 shown]
	global_store_dword v2, v0, s[42:43]
	global_store_dword v2, v1, s[4:5]
.LBB52_34:
	s_or_b32 exec_lo, exec_lo, s1
	v_mov_b32_e32 v0, 0
	v_mov_b32_e32 v1, 0
	v_mov_b32_e32 v8, 0
	v_mov_b32_e32 v7, 0
	v_mov_b32_e32 v18, 0
	buffer_store_dword v0, off, s[48:51], 0 offset:516 ; 4-byte Folded Spill
	v_mov_b32_e32 v0, 0
	v_mov_b32_e32 v6, 0
	;; [unrolled: 1-line block ×5, first 2 shown]
	buffer_store_dword v0, off, s[48:51], 0 offset:512 ; 4-byte Folded Spill
	v_mov_b32_e32 v0, 0
	v_mov_b32_e32 v9, 0
	;; [unrolled: 1-line block ×3, first 2 shown]
	buffer_store_dword v0, off, s[48:51], 0 offset:508 ; 4-byte Folded Spill
	v_mov_b32_e32 v0, 0
	buffer_store_dword v0, off, s[48:51], 0 offset:504 ; 4-byte Folded Spill
	v_mov_b32_e32 v0, 0
	;; [unrolled: 2-line block ×35, first 2 shown]
	buffer_store_dword v0, off, s[48:51], 0 offset:296 ; 4-byte Folded Spill
	s_and_saveexec_b32 s1, s0
	s_cbranch_execz .LBB52_136
; %bb.35:
	buffer_load_dword v1, off, s[48:51], 0 offset:564 ; 4-byte Folded Reload
	v_mov_b32_e32 v2, 0
	s_lshl_b32 s0, s36, 2
	s_lshl_b64 s[4:5], s[34:35], 2
	s_sub_i32 s3, 0x320, s0
	s_add_u32 s4, s28, s4
	buffer_store_dword v2, off, s[48:51], 0 offset:296 ; 4-byte Folded Spill
	v_mov_b32_e32 v2, 0
	s_addc_u32 s5, s29, s5
	s_ashr_i32 s15, s14, 31
	s_sub_i32 s6, s38, s17
	s_lshl_b64 s[14:15], s[14:15], 2
	buffer_store_dword v2, off, s[48:51], 0 offset:312 ; 4-byte Folded Spill
	v_mov_b32_e32 v2, 0
	s_add_u32 s9, s30, s14
	s_addc_u32 s14, s31, s15
	s_abs_i32 s15, s18
	v_mov_b32_e32 v3, 0
	buffer_store_dword v2, off, s[48:51], 0 offset:328 ; 4-byte Folded Spill
	v_mov_b32_e32 v2, 0
	v_cvt_f32_u32_e32 v0, s15
	s_sub_i32 s0, 0, s15
	buffer_store_dword v3, off, s[48:51], 0 offset:436 ; 4-byte Folded Spill
	v_mov_b32_e32 v3, 0
	buffer_store_dword v2, off, s[48:51], 0 offset:344 ; 4-byte Folded Spill
	v_mov_b32_e32 v2, 0
	v_rcp_iflag_f32_e32 v0, v0
	v_mov_b32_e32 v5, 0
	buffer_store_dword v3, off, s[48:51], 0 offset:440 ; 4-byte Folded Spill
	v_mov_b32_e32 v3, 0
	buffer_store_dword v2, off, s[48:51], 0 offset:360 ; 4-byte Folded Spill
	;; [unrolled: 2-line block ×5, first 2 shown]
	v_mov_b32_e32 v2, 0
	v_mul_f32_e32 v0, 0x4f7ffffe, v0
	buffer_store_dword v5, off, s[48:51], 0 offset:464 ; 4-byte Folded Spill
	buffer_store_dword v3, off, s[48:51], 0 offset:448 ; 4-byte Folded Spill
	v_mov_b32_e32 v3, 0
	buffer_store_dword v2, off, s[48:51], 0 offset:392 ; 4-byte Folded Spill
	v_mov_b32_e32 v2, 0
	v_cvt_u32_f32_e32 v0, v0
	v_mov_b32_e32 v57, 0
	buffer_store_dword v3, off, s[48:51], 0 offset:452 ; 4-byte Folded Spill
	v_mov_b32_e32 v3, 0
	buffer_store_dword v2, off, s[48:51], 0 offset:396 ; 4-byte Folded Spill
	v_mov_b32_e32 v2, 0
	v_mov_b32_e32 v9, 0
	;; [unrolled: 1-line block ×3, first 2 shown]
	buffer_store_dword v3, off, s[48:51], 0 offset:456 ; 4-byte Folded Spill
	v_mov_b32_e32 v17, 0
	buffer_store_dword v2, off, s[48:51], 0 offset:400 ; 4-byte Folded Spill
	v_mov_b32_e32 v2, 0
	v_mov_b32_e32 v5, 0
	;; [unrolled: 1-line block ×5, first 2 shown]
	buffer_store_dword v2, off, s[48:51], 0 offset:404 ; 4-byte Folded Spill
	v_mov_b32_e32 v2, 0
	v_mov_b32_e32 v8, 0
	s_add_i32 s18, s37, -1
	s_mov_b32 s17, 0
	buffer_store_dword v2, off, s[48:51], 0 offset:408 ; 4-byte Folded Spill
	v_mov_b32_e32 v2, 0
	buffer_store_dword v2, off, s[48:51], 0 offset:412 ; 4-byte Folded Spill
	v_mov_b32_e32 v2, 0
	;; [unrolled: 2-line block ×6, first 2 shown]
	buffer_store_dword v2, off, s[48:51], 0 offset:432 ; 4-byte Folded Spill
	v_mul_lo_u32 v2, s0, v0
	v_mul_hi_u32 v2, v0, v2
	v_add_nc_u32_e32 v0, v0, v2
	buffer_store_dword v0, off, s[48:51], 0 offset:524 ; 4-byte Folded Spill
	v_mov_b32_e32 v0, 0
	buffer_store_dword v0, off, s[48:51], 0 offset:468 ; 4-byte Folded Spill
	v_mov_b32_e32 v0, 0
	buffer_store_dword v0, off, s[48:51], 0 offset:472 ; 4-byte Folded Spill
	v_mov_b32_e32 v0, 0
	buffer_store_dword v0, off, s[48:51], 0 offset:476 ; 4-byte Folded Spill
	v_mov_b32_e32 v0, 0
	buffer_store_dword v0, off, s[48:51], 0 offset:480 ; 4-byte Folded Spill
	v_mov_b32_e32 v0, 0
	buffer_store_dword v0, off, s[48:51], 0 offset:484 ; 4-byte Folded Spill
	v_mov_b32_e32 v0, 0
	buffer_store_dword v0, off, s[48:51], 0 offset:488 ; 4-byte Folded Spill
	v_mov_b32_e32 v0, 0
	buffer_store_dword v0, off, s[48:51], 0 offset:492 ; 4-byte Folded Spill
	v_mov_b32_e32 v0, 0
	buffer_store_dword v0, off, s[48:51], 0 offset:496 ; 4-byte Folded Spill
	v_mov_b32_e32 v0, 0
	buffer_store_dword v0, off, s[48:51], 0 offset:500 ; 4-byte Folded Spill
	v_mov_b32_e32 v0, 0
	buffer_store_dword v0, off, s[48:51], 0 offset:504 ; 4-byte Folded Spill
	v_mov_b32_e32 v0, 0
	buffer_store_dword v0, off, s[48:51], 0 offset:508 ; 4-byte Folded Spill
	v_mov_b32_e32 v0, 0
	buffer_store_dword v0, off, s[48:51], 0 offset:512 ; 4-byte Folded Spill
	v_mov_b32_e32 v0, 0
	buffer_store_dword v0, off, s[48:51], 0 offset:516 ; 4-byte Folded Spill
	v_mov_b32_e32 v0, 0
	buffer_store_dword v0, off, s[48:51], 0 offset:520 ; 4-byte Folded Spill
	s_waitcnt vmcnt(0)
	v_lshlrev_b32_e32 v1, 2, v1
	v_and_b32_e32 v3, 0x7c, v1
	v_or_b32_e32 v4, 0xf80, v1
	v_and_b32_e32 v1, 28, v1
	buffer_store_dword v1, off, s[48:51], 0 offset:572 ; 4-byte Folded Spill
	v_lshlrev_b32_e32 v1, 2, v3
	buffer_store_dword v1, off, s[48:51], 0 offset:576 ; 4-byte Folded Spill
	v_lshlrev_b32_e32 v1, 2, v4
	buffer_store_dword v1, off, s[48:51], 0 offset:580 ; 4-byte Folded Spill
	s_clause 0x1
	buffer_load_dword v0, off, s[48:51], 0
	buffer_load_dword v1, off, s[48:51], 0 offset:4
	s_branch .LBB52_38
.LBB52_36:                              ;   in Loop: Header=BB52_38 Depth=1
	s_or_b32 exec_lo, exec_lo, s0
	s_waitcnt vmcnt(2) lgkmcnt(0)
	v_mul_f32_e32 v69, v5, v69
	s_waitcnt vmcnt(1)
	v_mul_f32_e32 v0, v5, v73
	v_mul_f32_e32 v25, v5, v25
	;; [unrolled: 1-line block ×4, first 2 shown]
	v_fmac_f32_e32 v69, v6, v70
	v_mul_f32_e32 v37, v5, v37
	v_fmac_f32_e32 v25, v6, v26
	v_fmac_f32_e32 v29, v6, v30
	;; [unrolled: 1-line block ×9, first 2 shown]
	s_clause 0x3
	buffer_load_dword v70, off, s[48:51], 0 offset:280
	buffer_load_dword v71, off, s[48:51], 0 offset:284
	buffer_load_dword v72, off, s[48:51], 0 offset:288
	buffer_load_dword v73, off, s[48:51], 0 offset:292
	v_fmac_f32_e32 v25, v8, v28
	v_fmac_f32_e32 v29, v8, v32
	;; [unrolled: 1-line block ×4, first 2 shown]
	v_mul_f32_e32 v41, v5, v41
	v_fmac_f32_e32 v0, v6, v74
	v_mul_f32_e32 v65, v5, v65
	v_mul_f32_e32 v61, v5, v61
	v_fmac_f32_e32 v37, v8, v40
	v_fmac_f32_e32 v41, v6, v42
	;; [unrolled: 1-line block ×5, first 2 shown]
	v_mul_f32_e32 v57, v5, v57
	v_fmac_f32_e32 v41, v7, v43
	v_fmac_f32_e32 v0, v8, v76
	;; [unrolled: 1-line block ×6, first 2 shown]
	v_mul_f32_e32 v53, v5, v53
	v_fmac_f32_e32 v65, v8, v68
	v_fmac_f32_e32 v61, v8, v64
	;; [unrolled: 1-line block ×3, first 2 shown]
	v_mul_f32_e32 v49, v5, v49
	v_fmac_f32_e32 v53, v6, v54
	v_mul_f32_e32 v45, v5, v45
	v_mul_f32_e32 v21, v5, v21
	v_fmac_f32_e32 v57, v8, v60
	v_fmac_f32_e32 v49, v6, v50
	v_fmac_f32_e32 v53, v7, v55
	v_fmac_f32_e32 v45, v6, v46
	v_fmac_f32_e32 v21, v6, v22
	v_mul_f32_e32 v13, v5, v13
	v_fmac_f32_e32 v49, v7, v51
	v_fmac_f32_e32 v53, v8, v56
	;; [unrolled: 1-line block ×6, first 2 shown]
	v_mul_f32_e32 v9, v5, v9
	v_fmac_f32_e32 v45, v8, v48
	v_fmac_f32_e32 v21, v8, v24
	;; [unrolled: 1-line block ×3, first 2 shown]
	v_mul_f32_e32 v1, v5, v1
	v_fmac_f32_e32 v9, v6, v10
	v_mul_f32_e32 v10, v5, v109
	v_mul_f32_e32 v14, v5, v97
	v_fmac_f32_e32 v13, v8, v16
	v_fmac_f32_e32 v1, v6, v2
	;; [unrolled: 1-line block ×3, first 2 shown]
	v_mul_f32_e32 v2, v5, v121
	v_fmac_f32_e32 v10, v6, v110
	v_mul_f32_e32 v11, v5, v105
	v_fmac_f32_e32 v1, v7, v3
	v_fmac_f32_e32 v9, v8, v12
	;; [unrolled: 1-line block ×3, first 2 shown]
	v_mul_f32_e32 v3, v5, v117
	v_fmac_f32_e32 v10, v7, v111
	v_fmac_f32_e32 v1, v8, v4
	v_mul_f32_e32 v4, v5, v113
	v_fmac_f32_e32 v2, v7, v123
	v_fmac_f32_e32 v3, v6, v118
	;; [unrolled: 1-line block ×7, first 2 shown]
	v_mul_f32_e32 v12, v5, v101
	v_fmac_f32_e32 v11, v7, v107
	v_fmac_f32_e32 v4, v7, v115
	;; [unrolled: 1-line block ×8, first 2 shown]
	v_mul_f32_e32 v15, v5, v93
	v_fmac_f32_e32 v12, v7, v103
	v_mul_f32_e32 v16, v5, v89
	v_mul_f32_e32 v22, v5, v85
	v_fmac_f32_e32 v14, v8, v100
	v_fmac_f32_e32 v15, v6, v94
	;; [unrolled: 1-line block ×5, first 2 shown]
	v_mul_f32_e32 v23, v5, v81
	v_fmac_f32_e32 v15, v7, v95
	v_mul_f32_e32 v24, v5, v77
	v_fmac_f32_e32 v16, v7, v91
	v_fmac_f32_e32 v22, v7, v87
	v_fmac_f32_e32 v23, v6, v82
	v_fmac_f32_e32 v15, v8, v96
	v_fmac_f32_e32 v24, v6, v78
	v_fmac_f32_e32 v16, v8, v92
	v_fmac_f32_e32 v22, v8, v88
	v_fmac_f32_e32 v23, v7, v83
	v_fmac_f32_e32 v24, v7, v79
	v_fmac_f32_e32 v23, v8, v84
	v_fmac_f32_e32 v24, v8, v80
	s_waitcnt vmcnt(3)
	v_mul_f32_e32 v26, v5, v70
	s_waitcnt vmcnt(2)
	v_fmac_f32_e32 v26, v6, v71
	s_waitcnt vmcnt(1)
	v_fmac_f32_e32 v26, v7, v72
	s_waitcnt vmcnt(0)
	v_fmac_f32_e32 v26, v8, v73
	s_clause 0x3
	buffer_load_dword v70, off, s[48:51], 0 offset:264
	buffer_load_dword v71, off, s[48:51], 0 offset:268
	buffer_load_dword v72, off, s[48:51], 0 offset:272
	buffer_load_dword v73, off, s[48:51], 0 offset:276
	s_waitcnt vmcnt(3)
	v_mul_f32_e32 v27, v5, v70
	s_waitcnt vmcnt(2)
	v_fmac_f32_e32 v27, v6, v71
	s_waitcnt vmcnt(1)
	v_fmac_f32_e32 v27, v7, v72
	s_waitcnt vmcnt(0)
	v_fmac_f32_e32 v27, v8, v73
	s_clause 0x3
	buffer_load_dword v70, off, s[48:51], 0 offset:248
	buffer_load_dword v71, off, s[48:51], 0 offset:252
	buffer_load_dword v72, off, s[48:51], 0 offset:256
	buffer_load_dword v73, off, s[48:51], 0 offset:260
	;; [unrolled: 13-line block ×13, first 2 shown]
	buffer_load_dword v44, off, s[48:51], 0 offset:296
	s_waitcnt vmcnt(4)
	v_mul_f32_e32 v43, v5, v70
	s_waitcnt vmcnt(0)
	v_add_f32_e32 v44, v44, v0
	buffer_load_dword v0, off, s[48:51], 0 offset:312 ; 4-byte Folded Reload
	v_fmac_f32_e32 v43, v6, v71
	buffer_store_dword v44, off, s[48:51], 0 offset:296 ; 4-byte Folded Spill
	v_fmac_f32_e32 v43, v7, v72
	v_fmac_f32_e32 v43, v8, v73
	s_waitcnt vmcnt(0)
	v_add_f32_e32 v0, v0, v69
	buffer_store_dword v0, off, s[48:51], 0 offset:312 ; 4-byte Folded Spill
	buffer_load_dword v0, off, s[48:51], 0 offset:328 ; 4-byte Folded Reload
	s_waitcnt vmcnt(0)
	v_add_f32_e32 v0, v0, v65
	buffer_store_dword v0, off, s[48:51], 0 offset:328 ; 4-byte Folded Spill
	buffer_load_dword v0, off, s[48:51], 0 offset:344 ; 4-byte Folded Reload
	s_waitcnt vmcnt(0)
	v_add_f32_e32 v0, v0, v61
	buffer_store_dword v0, off, s[48:51], 0 offset:344 ; 4-byte Folded Spill
	buffer_load_dword v0, off, s[48:51], 0 offset:360 ; 4-byte Folded Reload
	s_waitcnt vmcnt(0)
	v_add_f32_e32 v0, v0, v57
	buffer_store_dword v0, off, s[48:51], 0 offset:360 ; 4-byte Folded Spill
	buffer_load_dword v0, off, s[48:51], 0 offset:376 ; 4-byte Folded Reload
	s_waitcnt vmcnt(0)
	v_add_f32_e32 v0, v0, v53
	buffer_store_dword v0, off, s[48:51], 0 offset:376 ; 4-byte Folded Spill
	buffer_load_dword v0, off, s[48:51], 0 offset:392 ; 4-byte Folded Reload
	s_waitcnt vmcnt(0)
	v_add_f32_e32 v0, v0, v49
	buffer_store_dword v0, off, s[48:51], 0 offset:392 ; 4-byte Folded Spill
	buffer_load_dword v0, off, s[48:51], 0 offset:396 ; 4-byte Folded Reload
	s_waitcnt vmcnt(0)
	v_add_f32_e32 v0, v0, v45
	buffer_store_dword v0, off, s[48:51], 0 offset:396 ; 4-byte Folded Spill
	buffer_load_dword v0, off, s[48:51], 0 offset:400 ; 4-byte Folded Reload
	s_waitcnt vmcnt(0)
	v_add_f32_e32 v0, v0, v41
	buffer_store_dword v0, off, s[48:51], 0 offset:400 ; 4-byte Folded Spill
	buffer_load_dword v0, off, s[48:51], 0 offset:404 ; 4-byte Folded Reload
	s_waitcnt vmcnt(0)
	v_add_f32_e32 v0, v0, v37
	buffer_store_dword v0, off, s[48:51], 0 offset:404 ; 4-byte Folded Spill
	buffer_load_dword v0, off, s[48:51], 0 offset:408 ; 4-byte Folded Reload
	s_waitcnt vmcnt(0)
	v_add_f32_e32 v0, v0, v33
	buffer_store_dword v0, off, s[48:51], 0 offset:408 ; 4-byte Folded Spill
	buffer_load_dword v0, off, s[48:51], 0 offset:412 ; 4-byte Folded Reload
	s_waitcnt vmcnt(0)
	v_add_f32_e32 v0, v0, v29
	buffer_store_dword v0, off, s[48:51], 0 offset:412 ; 4-byte Folded Spill
	buffer_load_dword v0, off, s[48:51], 0 offset:416 ; 4-byte Folded Reload
	s_waitcnt vmcnt(0)
	v_add_f32_e32 v0, v0, v25
	buffer_store_dword v0, off, s[48:51], 0 offset:416 ; 4-byte Folded Spill
	buffer_load_dword v0, off, s[48:51], 0 offset:420 ; 4-byte Folded Reload
	s_waitcnt vmcnt(0)
	v_add_f32_e32 v0, v0, v21
	buffer_store_dword v0, off, s[48:51], 0 offset:420 ; 4-byte Folded Spill
	buffer_load_dword v0, off, s[48:51], 0 offset:424 ; 4-byte Folded Reload
	s_waitcnt vmcnt(0)
	v_add_f32_e32 v0, v0, v13
	buffer_store_dword v0, off, s[48:51], 0 offset:424 ; 4-byte Folded Spill
	buffer_load_dword v0, off, s[48:51], 0 offset:532 ; 4-byte Folded Reload
	s_waitcnt vmcnt(0)
	v_add_f32_e32 v9, v0, v9
	buffer_load_dword v0, off, s[48:51], 0 offset:428 ; 4-byte Folded Reload
	s_waitcnt vmcnt(0)
	v_add_f32_e32 v0, v0, v1
	buffer_store_dword v0, off, s[48:51], 0 offset:428 ; 4-byte Folded Spill
	buffer_load_dword v0, off, s[48:51], 0 offset:432 ; 4-byte Folded Reload
	s_waitcnt vmcnt(0)
	v_add_f32_e32 v0, v0, v2
	buffer_store_dword v0, off, s[48:51], 0 offset:432 ; 4-byte Folded Spill
	;; [unrolled: 4-line block ×3, first 2 shown]
	buffer_load_dword v0, off, s[48:51], 0 offset:440 ; 4-byte Folded Reload
	s_waitcnt vmcnt(0)
	v_add_f32_e32 v0, v0, v4
	v_mul_f32_e32 v4, v5, v17
	buffer_store_dword v0, off, s[48:51], 0 offset:440 ; 4-byte Folded Spill
	buffer_load_dword v0, off, s[48:51], 0 offset:536 ; 4-byte Folded Reload
	v_fmac_f32_e32 v4, v6, v18
	v_fmac_f32_e32 v4, v7, v19
	;; [unrolled: 1-line block ×3, first 2 shown]
	s_waitcnt vmcnt(0)
	v_add_f32_e32 v10, v0, v10
	buffer_load_dword v0, off, s[48:51], 0 offset:444 ; 4-byte Folded Reload
	s_waitcnt vmcnt(0)
	v_add_f32_e32 v0, v0, v11
	buffer_store_dword v0, off, s[48:51], 0 offset:444 ; 4-byte Folded Spill
	buffer_load_dword v0, off, s[48:51], 0 offset:448 ; 4-byte Folded Reload
	s_waitcnt vmcnt(0)
	v_add_f32_e32 v0, v0, v12
	buffer_store_dword v0, off, s[48:51], 0 offset:448 ; 4-byte Folded Spill
	;; [unrolled: 4-line block ×19, first 2 shown]
	s_clause 0x7
	buffer_load_dword v0, off, s[48:51], 0 offset:56
	buffer_load_dword v1, off, s[48:51], 0 offset:60
	;; [unrolled: 1-line block ×8, first 2 shown]
	s_waitcnt vmcnt(7)
	v_mul_f32_e32 v0, v5, v0
	s_waitcnt vmcnt(6)
	v_fmac_f32_e32 v0, v6, v1
	s_waitcnt vmcnt(3)
	v_mul_f32_e32 v1, v5, v24
	s_clause 0x9
	buffer_load_dword v21, off, s[48:51], 0 offset:24
	buffer_load_dword v22, off, s[48:51], 0 offset:28
	;; [unrolled: 1-line block ×10, first 2 shown]
	v_fmac_f32_e32 v0, v7, v2
	s_waitcnt vmcnt(12)
	v_fmac_f32_e32 v1, v6, v25
	v_fmac_f32_e32 v0, v8, v3
	s_waitcnt vmcnt(11)
	v_fmac_f32_e32 v1, v7, v26
	s_waitcnt vmcnt(10)
	;; [unrolled: 2-line block ×3, first 2 shown]
	v_mul_f32_e32 v2, v5, v21
	s_waitcnt vmcnt(5)
	v_mul_f32_e32 v3, v5, v11
	buffer_load_dword v5, off, s[48:51], 0 offset:544 ; 4-byte Folded Reload
	v_fmac_f32_e32 v2, v6, v22
	s_waitcnt vmcnt(5)
	v_fmac_f32_e32 v3, v6, v12
	buffer_load_dword v6, off, s[48:51], 0 offset:548 ; 4-byte Folded Reload
	v_fmac_f32_e32 v2, v7, v23
	s_waitcnt vmcnt(5)
	v_fmac_f32_e32 v3, v7, v13
	;; [unrolled: 4-line block ×3, first 2 shown]
	s_clause 0x1
	buffer_load_dword v8, off, s[48:51], 0 offset:560
	buffer_load_dword v57, off, s[48:51], 0 offset:528
	s_waitcnt vmcnt(5)
	v_add_f32_e32 v18, v18, v0
	buffer_load_dword v0, off, s[48:51], 0 offset:520 ; 4-byte Folded Reload
	v_add_f32_e32 v17, v17, v40
	s_waitcnt vmcnt(5)
	v_add_f32_e32 v5, v5, v42
	s_waitcnt vmcnt(4)
	;; [unrolled: 2-line block ×6, first 2 shown]
	v_add_f32_e32 v0, v0, v3
	buffer_store_dword v0, off, s[48:51], 0 offset:520 ; 4-byte Folded Spill
.LBB52_37:                              ;   in Loop: Header=BB52_38 Depth=1
	s_or_b32 exec_lo, exec_lo, s20
	s_clause 0x1
	buffer_load_dword v0, off, s[48:51], 0
	buffer_load_dword v1, off, s[48:51], 0 offset:4
	s_waitcnt vmcnt(1)
	v_add_nc_u32_e32 v0, 4, v0
	v_cmp_le_i32_e32 vcc_lo, s16, v0
	s_or_b32 s17, vcc_lo, s17
	s_andn2_b32 exec_lo, exec_lo, s17
	s_cbranch_execz .LBB52_135
.LBB52_38:                              ; =>This Inner Loop Header: Depth=1
	s_waitcnt vmcnt(0)
	v_mov_b32_e32 v1, v0
	v_lshlrev_b32_e32 v0, 5, v0
	buffer_store_dword v1, off, s[48:51], 0 ; 4-byte Folded Spill
	buffer_store_dword v2, off, s[48:51], 0 offset:4 ; 4-byte Folded Spill
	v_sub_nc_u32_e32 v1, 0, v0
	v_max_i32_e32 v1, v0, v1
	v_mul_hi_u32 v2, v1, s12
	v_mul_lo_u32 v3, v2, s11
	v_sub_nc_u32_e32 v1, v1, v3
	v_add_nc_u32_e32 v3, 1, v2
	v_subrev_nc_u32_e32 v4, s11, v1
	v_cmp_le_u32_e32 vcc_lo, s11, v1
	v_cndmask_b32_e32 v2, v2, v3, vcc_lo
	v_cndmask_b32_e32 v1, v1, v4, vcc_lo
	v_ashrrev_i32_e32 v3, 31, v0
	v_add_nc_u32_e32 v4, 1, v2
	v_cmp_le_u32_e32 vcc_lo, s11, v1
	v_xor_b32_e32 v3, s19, v3
	v_cndmask_b32_e32 v1, v2, v4, vcc_lo
	buffer_load_dword v4, off, s[48:51], 0 offset:524 ; 4-byte Folded Reload
	v_xor_b32_e32 v1, v1, v3
	v_sub_nc_u32_e32 v1, v1, v3
	v_add_nc_u32_e32 v2, s33, v1
	v_cmp_lt_i32_e64 s0, s6, v1
	v_sub_nc_u32_e32 v3, 0, v2
	v_max_i32_e32 v3, v2, v3
	v_ashrrev_i32_e32 v2, 31, v2
	s_waitcnt vmcnt(0)
	v_mul_hi_u32 v4, v3, v4
	v_mul_lo_u32 v4, v4, s15
	v_sub_nc_u32_e32 v3, v3, v4
	v_subrev_nc_u32_e32 v4, s15, v3
	v_cmp_le_u32_e32 vcc_lo, s15, v3
	v_cndmask_b32_e32 v3, v3, v4, vcc_lo
	v_subrev_nc_u32_e32 v4, s15, v3
	v_cmp_le_u32_e32 vcc_lo, s15, v3
	v_cndmask_b32_e32 v3, v3, v4, vcc_lo
	v_xor_b32_e32 v3, v3, v2
	v_sub_nc_u32_e32 v2, v3, v2
	v_cmp_eq_u32_e32 vcc_lo, 0, v2
	s_or_b32 s0, vcc_lo, s0
	s_and_saveexec_b32 s20, s0
	s_cbranch_execz .LBB52_37
; %bb.39:                               ;   in Loop: Header=BB52_38 Depth=1
	buffer_store_dword v8, off, s[48:51], 0 offset:560 ; 4-byte Folded Spill
	buffer_store_dword v7, off, s[48:51], 0 offset:556 ; 4-byte Folded Spill
	;; [unrolled: 1-line block ×9, first 2 shown]
	s_clause 0x1
	buffer_load_dword v1, off, s[48:51], 0
	buffer_load_dword v2, off, s[48:51], 0 offset:4
	s_waitcnt vmcnt(1)
	v_mov_b32_e32 v3, v1
	v_ashrrev_i32_e32 v4, 31, v3
	s_waitcnt vmcnt(0)
	v_lshlrev_b64 v[1:2], 2, v[3:4]
	v_add_co_u32 v1, vcc_lo, s4, v1
	v_add_co_ci_u32_e64 v2, null, s5, v2, vcc_lo
	global_load_dword v1, v[1:2], off
	s_waitcnt vmcnt(0)
	v_mad_i64_i32 v[1:2], null, v1, s13, 0
	v_lshlrev_b64 v[1:2], 2, v[1:2]
	v_add_co_u32 v9, vcc_lo, s9, v1
	buffer_load_dword v1, off, s[48:51], 0 offset:576 ; 4-byte Folded Reload
	v_add_co_ci_u32_e64 v10, null, s14, v2, vcc_lo
	s_waitcnt vmcnt(0)
	v_add_co_u32 v17, vcc_lo, v9, v1
	v_add_co_ci_u32_e64 v18, null, 0, v10, vcc_lo
	v_cmp_eq_u32_e32 vcc_lo, s18, v3
	global_load_dwordx4 v[4:7], v[17:18], off
	s_waitcnt vmcnt(0)
	buffer_store_dword v4, off, s[48:51], 0 offset:8 ; 4-byte Folded Spill
	buffer_store_dword v5, off, s[48:51], 0 offset:12 ; 4-byte Folded Spill
	;; [unrolled: 1-line block ×4, first 2 shown]
	buffer_load_dword v1, off, s[48:51], 0 offset:572 ; 4-byte Folded Reload
	s_waitcnt vmcnt(0)
	v_or_b32_e32 v126, v0, v1
	v_lshl_add_u32 v0, v126, 2, s3
	v_or_b32_e32 v125, 1, v126
	v_or_b32_e32 v127, 2, v126
	ds_read_b128 v[5:8], v0
	v_mov_b32_e32 v0, v3
	buffer_store_dword v0, off, s[48:51], 0 ; 4-byte Folded Spill
	buffer_store_dword v1, off, s[48:51], 0 offset:4 ; 4-byte Folded Spill
	v_or_b32_e32 v0, 3, v126
	s_and_saveexec_b32 s21, vcc_lo
	s_cbranch_execz .LBB52_41
; %bb.40:                               ;   in Loop: Header=BB52_38 Depth=1
	s_clause 0x3
	buffer_load_dword v1, off, s[48:51], 0 offset:8
	buffer_load_dword v2, off, s[48:51], 0 offset:12
	buffer_load_dword v3, off, s[48:51], 0 offset:16
	buffer_load_dword v4, off, s[48:51], 0 offset:20
	v_cmp_gt_i32_e64 s0, s27, v126
	s_waitcnt vmcnt(3)
	v_cndmask_b32_e64 v1, 0, v1, s0
	v_cmp_gt_i32_e64 s0, s27, v125
	s_waitcnt vmcnt(2)
	v_cndmask_b32_e64 v2, 0, v2, s0
	v_cmp_gt_i32_e64 s0, s27, v127
	s_waitcnt vmcnt(1)
	v_cndmask_b32_e64 v3, 0, v3, s0
	v_cmp_gt_i32_e64 s0, s27, v0
	s_waitcnt vmcnt(0)
	v_cndmask_b32_e64 v4, 0, v4, s0
	buffer_store_dword v1, off, s[48:51], 0 offset:8 ; 4-byte Folded Spill
	buffer_store_dword v2, off, s[48:51], 0 offset:12 ; 4-byte Folded Spill
	buffer_store_dword v3, off, s[48:51], 0 offset:16 ; 4-byte Folded Spill
	buffer_store_dword v4, off, s[48:51], 0 offset:20 ; 4-byte Folded Spill
.LBB52_41:                              ;   in Loop: Header=BB52_38 Depth=1
	s_or_b32 exec_lo, exec_lo, s21
	global_load_dwordx4 v[1:4], v[17:18], off offset:512
	s_waitcnt vmcnt(0)
	buffer_store_dword v1, off, s[48:51], 0 offset:24 ; 4-byte Folded Spill
	buffer_store_dword v2, off, s[48:51], 0 offset:28 ; 4-byte Folded Spill
	buffer_store_dword v3, off, s[48:51], 0 offset:32 ; 4-byte Folded Spill
	buffer_store_dword v4, off, s[48:51], 0 offset:36 ; 4-byte Folded Spill
	s_and_saveexec_b32 s21, vcc_lo
	s_cbranch_execz .LBB52_43
; %bb.42:                               ;   in Loop: Header=BB52_38 Depth=1
	s_clause 0x3
	buffer_load_dword v1, off, s[48:51], 0 offset:24
	buffer_load_dword v2, off, s[48:51], 0 offset:28
	buffer_load_dword v3, off, s[48:51], 0 offset:32
	buffer_load_dword v4, off, s[48:51], 0 offset:36
	v_cmp_gt_i32_e64 s0, s27, v126
	s_waitcnt vmcnt(3)
	v_cndmask_b32_e64 v1, 0, v1, s0
	v_cmp_gt_i32_e64 s0, s27, v125
	s_waitcnt vmcnt(2)
	v_cndmask_b32_e64 v2, 0, v2, s0
	v_cmp_gt_i32_e64 s0, s27, v127
	s_waitcnt vmcnt(1)
	v_cndmask_b32_e64 v3, 0, v3, s0
	v_cmp_gt_i32_e64 s0, s27, v0
	s_waitcnt vmcnt(0)
	v_cndmask_b32_e64 v4, 0, v4, s0
	buffer_store_dword v1, off, s[48:51], 0 offset:24 ; 4-byte Folded Spill
	buffer_store_dword v2, off, s[48:51], 0 offset:28 ; 4-byte Folded Spill
	buffer_store_dword v3, off, s[48:51], 0 offset:32 ; 4-byte Folded Spill
	buffer_store_dword v4, off, s[48:51], 0 offset:36 ; 4-byte Folded Spill
.LBB52_43:                              ;   in Loop: Header=BB52_38 Depth=1
	s_or_b32 exec_lo, exec_lo, s21
	global_load_dwordx4 v[1:4], v[17:18], off offset:1024
	s_waitcnt vmcnt(0)
	buffer_store_dword v1, off, s[48:51], 0 offset:40 ; 4-byte Folded Spill
	buffer_store_dword v2, off, s[48:51], 0 offset:44 ; 4-byte Folded Spill
	buffer_store_dword v3, off, s[48:51], 0 offset:48 ; 4-byte Folded Spill
	buffer_store_dword v4, off, s[48:51], 0 offset:52 ; 4-byte Folded Spill
	;; [unrolled: 32-line block ×3, first 2 shown]
	s_and_saveexec_b32 s21, vcc_lo
	s_cbranch_execz .LBB52_47
; %bb.46:                               ;   in Loop: Header=BB52_38 Depth=1
	s_clause 0x3
	buffer_load_dword v1, off, s[48:51], 0 offset:56
	buffer_load_dword v2, off, s[48:51], 0 offset:60
	;; [unrolled: 1-line block ×4, first 2 shown]
	v_cmp_gt_i32_e64 s0, s27, v126
	s_waitcnt vmcnt(3)
	v_cndmask_b32_e64 v1, 0, v1, s0
	v_cmp_gt_i32_e64 s0, s27, v125
	s_waitcnt vmcnt(2)
	v_cndmask_b32_e64 v2, 0, v2, s0
	;; [unrolled: 3-line block ×4, first 2 shown]
	buffer_store_dword v1, off, s[48:51], 0 offset:56 ; 4-byte Folded Spill
	buffer_store_dword v2, off, s[48:51], 0 offset:60 ; 4-byte Folded Spill
	;; [unrolled: 1-line block ×4, first 2 shown]
.LBB52_47:                              ;   in Loop: Header=BB52_38 Depth=1
	s_or_b32 exec_lo, exec_lo, s21
	v_add_co_u32 v1, s0, 0x800, v17
	v_add_co_ci_u32_e64 v2, null, 0, v18, s0
	global_load_dwordx4 v[11:14], v[1:2], off
	s_waitcnt vmcnt(0)
	buffer_store_dword v11, off, s[48:51], 0 offset:72 ; 4-byte Folded Spill
	buffer_store_dword v12, off, s[48:51], 0 offset:76 ; 4-byte Folded Spill
	buffer_store_dword v13, off, s[48:51], 0 offset:80 ; 4-byte Folded Spill
	buffer_store_dword v14, off, s[48:51], 0 offset:84 ; 4-byte Folded Spill
	s_and_saveexec_b32 s21, vcc_lo
	s_cbranch_execz .LBB52_49
; %bb.48:                               ;   in Loop: Header=BB52_38 Depth=1
	s_clause 0x3
	buffer_load_dword v11, off, s[48:51], 0 offset:72
	buffer_load_dword v12, off, s[48:51], 0 offset:76
	buffer_load_dword v13, off, s[48:51], 0 offset:80
	buffer_load_dword v14, off, s[48:51], 0 offset:84
	v_cmp_gt_i32_e64 s0, s27, v126
	s_waitcnt vmcnt(3)
	v_cndmask_b32_e64 v11, 0, v11, s0
	v_cmp_gt_i32_e64 s0, s27, v125
	s_waitcnt vmcnt(2)
	v_cndmask_b32_e64 v12, 0, v12, s0
	v_cmp_gt_i32_e64 s0, s27, v127
	s_waitcnt vmcnt(1)
	v_cndmask_b32_e64 v13, 0, v13, s0
	v_cmp_gt_i32_e64 s0, s27, v0
	s_waitcnt vmcnt(0)
	v_cndmask_b32_e64 v14, 0, v14, s0
	buffer_store_dword v11, off, s[48:51], 0 offset:72 ; 4-byte Folded Spill
	buffer_store_dword v12, off, s[48:51], 0 offset:76 ; 4-byte Folded Spill
	buffer_store_dword v13, off, s[48:51], 0 offset:80 ; 4-byte Folded Spill
	buffer_store_dword v14, off, s[48:51], 0 offset:84 ; 4-byte Folded Spill
.LBB52_49:                              ;   in Loop: Header=BB52_38 Depth=1
	s_or_b32 exec_lo, exec_lo, s21
	global_load_dwordx4 v[11:14], v[1:2], off offset:512
	s_waitcnt vmcnt(0)
	buffer_store_dword v11, off, s[48:51], 0 offset:88 ; 4-byte Folded Spill
	buffer_store_dword v12, off, s[48:51], 0 offset:92 ; 4-byte Folded Spill
	buffer_store_dword v13, off, s[48:51], 0 offset:96 ; 4-byte Folded Spill
	buffer_store_dword v14, off, s[48:51], 0 offset:100 ; 4-byte Folded Spill
	s_and_saveexec_b32 s21, vcc_lo
	s_cbranch_execz .LBB52_51
; %bb.50:                               ;   in Loop: Header=BB52_38 Depth=1
	s_clause 0x3
	buffer_load_dword v11, off, s[48:51], 0 offset:88
	buffer_load_dword v12, off, s[48:51], 0 offset:92
	buffer_load_dword v13, off, s[48:51], 0 offset:96
	buffer_load_dword v14, off, s[48:51], 0 offset:100
	v_cmp_gt_i32_e64 s0, s27, v126
	s_waitcnt vmcnt(3)
	v_cndmask_b32_e64 v11, 0, v11, s0
	v_cmp_gt_i32_e64 s0, s27, v125
	s_waitcnt vmcnt(2)
	v_cndmask_b32_e64 v12, 0, v12, s0
	v_cmp_gt_i32_e64 s0, s27, v127
	s_waitcnt vmcnt(1)
	v_cndmask_b32_e64 v13, 0, v13, s0
	v_cmp_gt_i32_e64 s0, s27, v0
	s_waitcnt vmcnt(0)
	v_cndmask_b32_e64 v14, 0, v14, s0
	buffer_store_dword v11, off, s[48:51], 0 offset:88 ; 4-byte Folded Spill
	buffer_store_dword v12, off, s[48:51], 0 offset:92 ; 4-byte Folded Spill
	buffer_store_dword v13, off, s[48:51], 0 offset:96 ; 4-byte Folded Spill
	buffer_store_dword v14, off, s[48:51], 0 offset:100 ; 4-byte Folded Spill
.LBB52_51:                              ;   in Loop: Header=BB52_38 Depth=1
	s_or_b32 exec_lo, exec_lo, s21
	global_load_dwordx4 v[11:14], v[1:2], off offset:1024
	;; [unrolled: 32-line block ×3, first 2 shown]
	s_waitcnt vmcnt(0)
	buffer_store_dword v1, off, s[48:51], 0 offset:120 ; 4-byte Folded Spill
	buffer_store_dword v2, off, s[48:51], 0 offset:124 ; 4-byte Folded Spill
	;; [unrolled: 1-line block ×4, first 2 shown]
	s_and_saveexec_b32 s21, vcc_lo
	s_cbranch_execz .LBB52_55
; %bb.54:                               ;   in Loop: Header=BB52_38 Depth=1
	s_clause 0x3
	buffer_load_dword v1, off, s[48:51], 0 offset:120
	buffer_load_dword v2, off, s[48:51], 0 offset:124
	;; [unrolled: 1-line block ×4, first 2 shown]
	v_cmp_gt_i32_e64 s0, s27, v126
	s_waitcnt vmcnt(3)
	v_cndmask_b32_e64 v1, 0, v1, s0
	v_cmp_gt_i32_e64 s0, s27, v125
	s_waitcnt vmcnt(2)
	v_cndmask_b32_e64 v2, 0, v2, s0
	;; [unrolled: 3-line block ×4, first 2 shown]
	buffer_store_dword v1, off, s[48:51], 0 offset:120 ; 4-byte Folded Spill
	buffer_store_dword v2, off, s[48:51], 0 offset:124 ; 4-byte Folded Spill
	;; [unrolled: 1-line block ×4, first 2 shown]
.LBB52_55:                              ;   in Loop: Header=BB52_38 Depth=1
	s_or_b32 exec_lo, exec_lo, s21
	v_add_co_u32 v1, s0, 0x1000, v17
	v_add_co_ci_u32_e64 v2, null, 0, v18, s0
	global_load_dwordx4 v[11:14], v[1:2], off
	s_waitcnt vmcnt(0)
	buffer_store_dword v11, off, s[48:51], 0 offset:136 ; 4-byte Folded Spill
	buffer_store_dword v12, off, s[48:51], 0 offset:140 ; 4-byte Folded Spill
	buffer_store_dword v13, off, s[48:51], 0 offset:144 ; 4-byte Folded Spill
	buffer_store_dword v14, off, s[48:51], 0 offset:148 ; 4-byte Folded Spill
	s_and_saveexec_b32 s21, vcc_lo
	s_cbranch_execz .LBB52_57
; %bb.56:                               ;   in Loop: Header=BB52_38 Depth=1
	s_clause 0x3
	buffer_load_dword v11, off, s[48:51], 0 offset:136
	buffer_load_dword v12, off, s[48:51], 0 offset:140
	buffer_load_dword v13, off, s[48:51], 0 offset:144
	buffer_load_dword v14, off, s[48:51], 0 offset:148
	v_cmp_gt_i32_e64 s0, s27, v126
	s_waitcnt vmcnt(3)
	v_cndmask_b32_e64 v11, 0, v11, s0
	v_cmp_gt_i32_e64 s0, s27, v125
	s_waitcnt vmcnt(2)
	v_cndmask_b32_e64 v12, 0, v12, s0
	v_cmp_gt_i32_e64 s0, s27, v127
	s_waitcnt vmcnt(1)
	v_cndmask_b32_e64 v13, 0, v13, s0
	v_cmp_gt_i32_e64 s0, s27, v0
	s_waitcnt vmcnt(0)
	v_cndmask_b32_e64 v14, 0, v14, s0
	buffer_store_dword v11, off, s[48:51], 0 offset:136 ; 4-byte Folded Spill
	buffer_store_dword v12, off, s[48:51], 0 offset:140 ; 4-byte Folded Spill
	buffer_store_dword v13, off, s[48:51], 0 offset:144 ; 4-byte Folded Spill
	buffer_store_dword v14, off, s[48:51], 0 offset:148 ; 4-byte Folded Spill
.LBB52_57:                              ;   in Loop: Header=BB52_38 Depth=1
	s_or_b32 exec_lo, exec_lo, s21
	global_load_dwordx4 v[11:14], v[1:2], off offset:512
	s_waitcnt vmcnt(0)
	buffer_store_dword v11, off, s[48:51], 0 offset:152 ; 4-byte Folded Spill
	buffer_store_dword v12, off, s[48:51], 0 offset:156 ; 4-byte Folded Spill
	buffer_store_dword v13, off, s[48:51], 0 offset:160 ; 4-byte Folded Spill
	buffer_store_dword v14, off, s[48:51], 0 offset:164 ; 4-byte Folded Spill
	s_and_saveexec_b32 s21, vcc_lo
	s_cbranch_execz .LBB52_59
; %bb.58:                               ;   in Loop: Header=BB52_38 Depth=1
	s_clause 0x3
	buffer_load_dword v11, off, s[48:51], 0 offset:152
	buffer_load_dword v12, off, s[48:51], 0 offset:156
	buffer_load_dword v13, off, s[48:51], 0 offset:160
	buffer_load_dword v14, off, s[48:51], 0 offset:164
	v_cmp_gt_i32_e64 s0, s27, v126
	s_waitcnt vmcnt(3)
	v_cndmask_b32_e64 v11, 0, v11, s0
	v_cmp_gt_i32_e64 s0, s27, v125
	s_waitcnt vmcnt(2)
	v_cndmask_b32_e64 v12, 0, v12, s0
	v_cmp_gt_i32_e64 s0, s27, v127
	s_waitcnt vmcnt(1)
	v_cndmask_b32_e64 v13, 0, v13, s0
	v_cmp_gt_i32_e64 s0, s27, v0
	s_waitcnt vmcnt(0)
	v_cndmask_b32_e64 v14, 0, v14, s0
	buffer_store_dword v11, off, s[48:51], 0 offset:152 ; 4-byte Folded Spill
	buffer_store_dword v12, off, s[48:51], 0 offset:156 ; 4-byte Folded Spill
	buffer_store_dword v13, off, s[48:51], 0 offset:160 ; 4-byte Folded Spill
	buffer_store_dword v14, off, s[48:51], 0 offset:164 ; 4-byte Folded Spill
.LBB52_59:                              ;   in Loop: Header=BB52_38 Depth=1
	s_or_b32 exec_lo, exec_lo, s21
	global_load_dwordx4 v[11:14], v[1:2], off offset:1024
	s_waitcnt vmcnt(0)
	buffer_store_dword v11, off, s[48:51], 0 offset:168 ; 4-byte Folded Spill
	buffer_store_dword v12, off, s[48:51], 0 offset:172 ; 4-byte Folded Spill
	buffer_store_dword v13, off, s[48:51], 0 offset:176 ; 4-byte Folded Spill
	buffer_store_dword v14, off, s[48:51], 0 offset:180 ; 4-byte Folded Spill
	s_and_saveexec_b32 s21, vcc_lo
	s_cbranch_execz .LBB52_61
; %bb.60:                               ;   in Loop: Header=BB52_38 Depth=1
	s_clause 0x3
	buffer_load_dword v11, off, s[48:51], 0 offset:168
	buffer_load_dword v12, off, s[48:51], 0 offset:172
	buffer_load_dword v13, off, s[48:51], 0 offset:176
	buffer_load_dword v14, off, s[48:51], 0 offset:180
	v_cmp_gt_i32_e64 s0, s27, v126
	s_waitcnt vmcnt(3)
	v_cndmask_b32_e64 v11, 0, v11, s0
	v_cmp_gt_i32_e64 s0, s27, v125
	s_waitcnt vmcnt(2)
	v_cndmask_b32_e64 v12, 0, v12, s0
	v_cmp_gt_i32_e64 s0, s27, v127
	s_waitcnt vmcnt(1)
	v_cndmask_b32_e64 v13, 0, v13, s0
	v_cmp_gt_i32_e64 s0, s27, v0
	s_waitcnt vmcnt(0)
	v_cndmask_b32_e64 v14, 0, v14, s0
	buffer_store_dword v11, off, s[48:51], 0 offset:168 ; 4-byte Folded Spill
	buffer_store_dword v12, off, s[48:51], 0 offset:172 ; 4-byte Folded Spill
	buffer_store_dword v13, off, s[48:51], 0 offset:176 ; 4-byte Folded Spill
	buffer_store_dword v14, off, s[48:51], 0 offset:180 ; 4-byte Folded Spill
.LBB52_61:                              ;   in Loop: Header=BB52_38 Depth=1
	s_or_b32 exec_lo, exec_lo, s21
	global_load_dwordx4 v[1:4], v[1:2], off offset:1536
	s_waitcnt vmcnt(0)
	buffer_store_dword v1, off, s[48:51], 0 offset:184 ; 4-byte Folded Spill
	buffer_store_dword v2, off, s[48:51], 0 offset:188 ; 4-byte Folded Spill
	;; [unrolled: 1-line block ×4, first 2 shown]
	s_and_saveexec_b32 s21, vcc_lo
	s_cbranch_execz .LBB52_63
; %bb.62:                               ;   in Loop: Header=BB52_38 Depth=1
	s_clause 0x3
	buffer_load_dword v1, off, s[48:51], 0 offset:184
	buffer_load_dword v2, off, s[48:51], 0 offset:188
	;; [unrolled: 1-line block ×4, first 2 shown]
	v_cmp_gt_i32_e64 s0, s27, v126
	s_waitcnt vmcnt(3)
	v_cndmask_b32_e64 v1, 0, v1, s0
	v_cmp_gt_i32_e64 s0, s27, v125
	s_waitcnt vmcnt(2)
	v_cndmask_b32_e64 v2, 0, v2, s0
	;; [unrolled: 3-line block ×4, first 2 shown]
	buffer_store_dword v1, off, s[48:51], 0 offset:184 ; 4-byte Folded Spill
	buffer_store_dword v2, off, s[48:51], 0 offset:188 ; 4-byte Folded Spill
	;; [unrolled: 1-line block ×4, first 2 shown]
.LBB52_63:                              ;   in Loop: Header=BB52_38 Depth=1
	s_or_b32 exec_lo, exec_lo, s21
	v_add_co_u32 v1, s0, 0x1800, v17
	v_add_co_ci_u32_e64 v2, null, 0, v18, s0
	global_load_dwordx4 v[11:14], v[1:2], off
	s_waitcnt vmcnt(0)
	buffer_store_dword v11, off, s[48:51], 0 offset:200 ; 4-byte Folded Spill
	buffer_store_dword v12, off, s[48:51], 0 offset:204 ; 4-byte Folded Spill
	buffer_store_dword v13, off, s[48:51], 0 offset:208 ; 4-byte Folded Spill
	buffer_store_dword v14, off, s[48:51], 0 offset:212 ; 4-byte Folded Spill
	s_and_saveexec_b32 s21, vcc_lo
	s_cbranch_execz .LBB52_65
; %bb.64:                               ;   in Loop: Header=BB52_38 Depth=1
	s_clause 0x3
	buffer_load_dword v11, off, s[48:51], 0 offset:200
	buffer_load_dword v12, off, s[48:51], 0 offset:204
	buffer_load_dword v13, off, s[48:51], 0 offset:208
	buffer_load_dword v14, off, s[48:51], 0 offset:212
	v_cmp_gt_i32_e64 s0, s27, v126
	s_waitcnt vmcnt(3)
	v_cndmask_b32_e64 v11, 0, v11, s0
	v_cmp_gt_i32_e64 s0, s27, v125
	s_waitcnt vmcnt(2)
	v_cndmask_b32_e64 v12, 0, v12, s0
	v_cmp_gt_i32_e64 s0, s27, v127
	s_waitcnt vmcnt(1)
	v_cndmask_b32_e64 v13, 0, v13, s0
	v_cmp_gt_i32_e64 s0, s27, v0
	s_waitcnt vmcnt(0)
	v_cndmask_b32_e64 v14, 0, v14, s0
	buffer_store_dword v11, off, s[48:51], 0 offset:200 ; 4-byte Folded Spill
	buffer_store_dword v12, off, s[48:51], 0 offset:204 ; 4-byte Folded Spill
	buffer_store_dword v13, off, s[48:51], 0 offset:208 ; 4-byte Folded Spill
	buffer_store_dword v14, off, s[48:51], 0 offset:212 ; 4-byte Folded Spill
.LBB52_65:                              ;   in Loop: Header=BB52_38 Depth=1
	s_or_b32 exec_lo, exec_lo, s21
	global_load_dwordx4 v[11:14], v[1:2], off offset:512
	s_waitcnt vmcnt(0)
	buffer_store_dword v11, off, s[48:51], 0 offset:216 ; 4-byte Folded Spill
	buffer_store_dword v12, off, s[48:51], 0 offset:220 ; 4-byte Folded Spill
	buffer_store_dword v13, off, s[48:51], 0 offset:224 ; 4-byte Folded Spill
	buffer_store_dword v14, off, s[48:51], 0 offset:228 ; 4-byte Folded Spill
	s_and_saveexec_b32 s21, vcc_lo
	s_cbranch_execz .LBB52_67
; %bb.66:                               ;   in Loop: Header=BB52_38 Depth=1
	s_clause 0x3
	buffer_load_dword v11, off, s[48:51], 0 offset:216
	buffer_load_dword v12, off, s[48:51], 0 offset:220
	buffer_load_dword v13, off, s[48:51], 0 offset:224
	buffer_load_dword v14, off, s[48:51], 0 offset:228
	v_cmp_gt_i32_e64 s0, s27, v126
	s_waitcnt vmcnt(3)
	v_cndmask_b32_e64 v11, 0, v11, s0
	v_cmp_gt_i32_e64 s0, s27, v125
	s_waitcnt vmcnt(2)
	v_cndmask_b32_e64 v12, 0, v12, s0
	v_cmp_gt_i32_e64 s0, s27, v127
	s_waitcnt vmcnt(1)
	v_cndmask_b32_e64 v13, 0, v13, s0
	v_cmp_gt_i32_e64 s0, s27, v0
	s_waitcnt vmcnt(0)
	v_cndmask_b32_e64 v14, 0, v14, s0
	buffer_store_dword v11, off, s[48:51], 0 offset:216 ; 4-byte Folded Spill
	buffer_store_dword v12, off, s[48:51], 0 offset:220 ; 4-byte Folded Spill
	buffer_store_dword v13, off, s[48:51], 0 offset:224 ; 4-byte Folded Spill
	buffer_store_dword v14, off, s[48:51], 0 offset:228 ; 4-byte Folded Spill
.LBB52_67:                              ;   in Loop: Header=BB52_38 Depth=1
	s_or_b32 exec_lo, exec_lo, s21
	global_load_dwordx4 v[11:14], v[1:2], off offset:1024
	;; [unrolled: 32-line block ×3, first 2 shown]
	s_waitcnt vmcnt(0)
	buffer_store_dword v1, off, s[48:51], 0 offset:248 ; 4-byte Folded Spill
	buffer_store_dword v2, off, s[48:51], 0 offset:252 ; 4-byte Folded Spill
	;; [unrolled: 1-line block ×4, first 2 shown]
	s_and_saveexec_b32 s21, vcc_lo
	s_cbranch_execz .LBB52_71
; %bb.70:                               ;   in Loop: Header=BB52_38 Depth=1
	s_clause 0x3
	buffer_load_dword v1, off, s[48:51], 0 offset:248
	buffer_load_dword v2, off, s[48:51], 0 offset:252
	;; [unrolled: 1-line block ×4, first 2 shown]
	v_cmp_gt_i32_e64 s0, s27, v126
	s_waitcnt vmcnt(3)
	v_cndmask_b32_e64 v1, 0, v1, s0
	v_cmp_gt_i32_e64 s0, s27, v125
	s_waitcnt vmcnt(2)
	v_cndmask_b32_e64 v2, 0, v2, s0
	;; [unrolled: 3-line block ×4, first 2 shown]
	buffer_store_dword v1, off, s[48:51], 0 offset:248 ; 4-byte Folded Spill
	buffer_store_dword v2, off, s[48:51], 0 offset:252 ; 4-byte Folded Spill
	buffer_store_dword v3, off, s[48:51], 0 offset:256 ; 4-byte Folded Spill
	buffer_store_dword v4, off, s[48:51], 0 offset:260 ; 4-byte Folded Spill
.LBB52_71:                              ;   in Loop: Header=BB52_38 Depth=1
	s_or_b32 exec_lo, exec_lo, s21
	v_add_co_u32 v1, s0, 0x2000, v17
	v_add_co_ci_u32_e64 v2, null, 0, v18, s0
	global_load_dwordx4 v[11:14], v[1:2], off
	s_waitcnt vmcnt(0)
	buffer_store_dword v11, off, s[48:51], 0 offset:264 ; 4-byte Folded Spill
	buffer_store_dword v12, off, s[48:51], 0 offset:268 ; 4-byte Folded Spill
	;; [unrolled: 1-line block ×4, first 2 shown]
	s_and_saveexec_b32 s21, vcc_lo
	s_cbranch_execz .LBB52_73
; %bb.72:                               ;   in Loop: Header=BB52_38 Depth=1
	s_clause 0x3
	buffer_load_dword v11, off, s[48:51], 0 offset:264
	buffer_load_dword v12, off, s[48:51], 0 offset:268
	;; [unrolled: 1-line block ×4, first 2 shown]
	v_cmp_gt_i32_e64 s0, s27, v126
	s_waitcnt vmcnt(3)
	v_cndmask_b32_e64 v11, 0, v11, s0
	v_cmp_gt_i32_e64 s0, s27, v125
	s_waitcnt vmcnt(2)
	v_cndmask_b32_e64 v12, 0, v12, s0
	;; [unrolled: 3-line block ×4, first 2 shown]
	buffer_store_dword v11, off, s[48:51], 0 offset:264 ; 4-byte Folded Spill
	buffer_store_dword v12, off, s[48:51], 0 offset:268 ; 4-byte Folded Spill
	;; [unrolled: 1-line block ×4, first 2 shown]
.LBB52_73:                              ;   in Loop: Header=BB52_38 Depth=1
	s_or_b32 exec_lo, exec_lo, s21
	global_load_dwordx4 v[11:14], v[1:2], off offset:512
	s_waitcnt vmcnt(0)
	buffer_store_dword v11, off, s[48:51], 0 offset:280 ; 4-byte Folded Spill
	buffer_store_dword v12, off, s[48:51], 0 offset:284 ; 4-byte Folded Spill
	;; [unrolled: 1-line block ×4, first 2 shown]
	s_and_saveexec_b32 s21, vcc_lo
	s_cbranch_execnz .LBB52_112
; %bb.74:                               ;   in Loop: Header=BB52_38 Depth=1
	s_or_b32 exec_lo, exec_lo, s21
	global_load_dwordx4 v[77:80], v[1:2], off offset:1024
	s_and_saveexec_b32 s21, vcc_lo
	s_cbranch_execnz .LBB52_113
.LBB52_75:                              ;   in Loop: Header=BB52_38 Depth=1
	s_or_b32 exec_lo, exec_lo, s21
	global_load_dwordx4 v[81:84], v[1:2], off offset:1536
	s_and_saveexec_b32 s21, vcc_lo
	s_cbranch_execz .LBB52_77
.LBB52_76:                              ;   in Loop: Header=BB52_38 Depth=1
	v_cmp_gt_i32_e64 s0, s27, v126
	s_waitcnt vmcnt(0)
	v_cndmask_b32_e64 v81, 0, v81, s0
	v_cmp_gt_i32_e64 s0, s27, v125
	v_cndmask_b32_e64 v82, 0, v82, s0
	v_cmp_gt_i32_e64 s0, s27, v127
	;; [unrolled: 2-line block ×3, first 2 shown]
	v_cndmask_b32_e64 v84, 0, v84, s0
.LBB52_77:                              ;   in Loop: Header=BB52_38 Depth=1
	s_or_b32 exec_lo, exec_lo, s21
	v_add_co_u32 v1, s0, 0x2800, v17
	v_add_co_ci_u32_e64 v2, null, 0, v18, s0
	global_load_dwordx4 v[85:88], v[1:2], off
	s_and_saveexec_b32 s21, vcc_lo
	s_cbranch_execnz .LBB52_114
; %bb.78:                               ;   in Loop: Header=BB52_38 Depth=1
	s_or_b32 exec_lo, exec_lo, s21
	global_load_dwordx4 v[89:92], v[1:2], off offset:512
	s_and_saveexec_b32 s21, vcc_lo
	s_cbranch_execnz .LBB52_115
.LBB52_79:                              ;   in Loop: Header=BB52_38 Depth=1
	s_or_b32 exec_lo, exec_lo, s21
	global_load_dwordx4 v[93:96], v[1:2], off offset:1024
	s_and_saveexec_b32 s21, vcc_lo
	s_cbranch_execnz .LBB52_116
.LBB52_80:                              ;   in Loop: Header=BB52_38 Depth=1
	s_or_b32 exec_lo, exec_lo, s21
	global_load_dwordx4 v[97:100], v[1:2], off offset:1536
	s_and_saveexec_b32 s21, vcc_lo
	s_cbranch_execz .LBB52_82
.LBB52_81:                              ;   in Loop: Header=BB52_38 Depth=1
	v_cmp_gt_i32_e64 s0, s27, v126
	s_waitcnt vmcnt(0)
	v_cndmask_b32_e64 v97, 0, v97, s0
	v_cmp_gt_i32_e64 s0, s27, v125
	v_cndmask_b32_e64 v98, 0, v98, s0
	v_cmp_gt_i32_e64 s0, s27, v127
	;; [unrolled: 2-line block ×3, first 2 shown]
	v_cndmask_b32_e64 v100, 0, v100, s0
.LBB52_82:                              ;   in Loop: Header=BB52_38 Depth=1
	s_or_b32 exec_lo, exec_lo, s21
	v_add_co_u32 v1, s0, 0x3000, v17
	v_add_co_ci_u32_e64 v2, null, 0, v18, s0
	global_load_dwordx4 v[101:104], v[1:2], off
	s_and_saveexec_b32 s21, vcc_lo
	s_cbranch_execnz .LBB52_117
; %bb.83:                               ;   in Loop: Header=BB52_38 Depth=1
	s_or_b32 exec_lo, exec_lo, s21
	global_load_dwordx4 v[105:108], v[1:2], off offset:512
	s_and_saveexec_b32 s21, vcc_lo
	s_cbranch_execnz .LBB52_118
.LBB52_84:                              ;   in Loop: Header=BB52_38 Depth=1
	s_or_b32 exec_lo, exec_lo, s21
	global_load_dwordx4 v[109:112], v[1:2], off offset:1024
	s_and_saveexec_b32 s21, vcc_lo
	s_cbranch_execnz .LBB52_119
.LBB52_85:                              ;   in Loop: Header=BB52_38 Depth=1
	s_or_b32 exec_lo, exec_lo, s21
	global_load_dwordx4 v[113:116], v[1:2], off offset:1536
	s_and_saveexec_b32 s21, vcc_lo
	s_cbranch_execz .LBB52_87
.LBB52_86:                              ;   in Loop: Header=BB52_38 Depth=1
	v_cmp_gt_i32_e64 s0, s27, v126
	s_waitcnt vmcnt(0)
	v_cndmask_b32_e64 v113, 0, v113, s0
	v_cmp_gt_i32_e64 s0, s27, v125
	v_cndmask_b32_e64 v114, 0, v114, s0
	v_cmp_gt_i32_e64 s0, s27, v127
	;; [unrolled: 2-line block ×3, first 2 shown]
	v_cndmask_b32_e64 v116, 0, v116, s0
.LBB52_87:                              ;   in Loop: Header=BB52_38 Depth=1
	s_or_b32 exec_lo, exec_lo, s21
	v_add_co_u32 v1, s0, 0x3800, v17
	v_add_co_ci_u32_e64 v2, null, 0, v18, s0
	global_load_dwordx4 v[117:120], v[1:2], off
	s_and_saveexec_b32 s21, vcc_lo
	s_cbranch_execnz .LBB52_120
; %bb.88:                               ;   in Loop: Header=BB52_38 Depth=1
	s_or_b32 exec_lo, exec_lo, s21
	global_load_dwordx4 v[121:124], v[1:2], off offset:512
	s_and_saveexec_b32 s21, vcc_lo
	s_cbranch_execnz .LBB52_121
.LBB52_89:                              ;   in Loop: Header=BB52_38 Depth=1
	s_or_b32 exec_lo, exec_lo, s21
	global_load_dwordx4 v[1:4], v[1:2], off offset:1024
	s_and_saveexec_b32 s21, vcc_lo
	s_cbranch_execz .LBB52_91
.LBB52_90:                              ;   in Loop: Header=BB52_38 Depth=1
	v_cmp_gt_i32_e64 s0, s27, v126
	s_waitcnt vmcnt(0)
	v_cndmask_b32_e64 v1, 0, v1, s0
	v_cmp_gt_i32_e64 s0, s27, v125
	v_cndmask_b32_e64 v2, 0, v2, s0
	v_cmp_gt_i32_e64 s0, s27, v127
	;; [unrolled: 2-line block ×3, first 2 shown]
	v_cndmask_b32_e64 v4, 0, v4, s0
.LBB52_91:                              ;   in Loop: Header=BB52_38 Depth=1
	s_or_b32 exec_lo, exec_lo, s21
	buffer_load_dword v11, off, s[48:51], 0 offset:580 ; 4-byte Folded Reload
	s_waitcnt vmcnt(0)
	v_add_co_u32 v9, s0, v9, v11
	v_add_co_ci_u32_e64 v10, null, 0, v10, s0
	global_load_dwordx4 v[9:12], v[9:10], off
	s_and_saveexec_b32 s21, vcc_lo
	s_cbranch_execz .LBB52_93
; %bb.92:                               ;   in Loop: Header=BB52_38 Depth=1
	v_cmp_gt_i32_e64 s0, s27, v126
	s_waitcnt vmcnt(0)
	v_cndmask_b32_e64 v9, 0, v9, s0
	v_cmp_gt_i32_e64 s0, s27, v125
	v_cndmask_b32_e64 v10, 0, v10, s0
	v_cmp_gt_i32_e64 s0, s27, v127
	;; [unrolled: 2-line block ×3, first 2 shown]
	v_cndmask_b32_e64 v12, 0, v12, s0
.LBB52_93:                              ;   in Loop: Header=BB52_38 Depth=1
	s_or_b32 exec_lo, exec_lo, s21
	v_add_co_u32 v19, s0, 0x4000, v17
	v_add_co_ci_u32_e64 v20, null, 0, v18, s0
	global_load_dwordx4 v[13:16], v[19:20], off
	s_and_saveexec_b32 s21, vcc_lo
	s_cbranch_execnz .LBB52_122
; %bb.94:                               ;   in Loop: Header=BB52_38 Depth=1
	s_or_b32 exec_lo, exec_lo, s21
	global_load_dwordx4 v[21:24], v[19:20], off offset:512
	s_and_saveexec_b32 s21, vcc_lo
	s_cbranch_execnz .LBB52_123
.LBB52_95:                              ;   in Loop: Header=BB52_38 Depth=1
	s_or_b32 exec_lo, exec_lo, s21
	global_load_dwordx4 v[25:28], v[19:20], off offset:1024
	s_and_saveexec_b32 s21, vcc_lo
	s_cbranch_execnz .LBB52_124
.LBB52_96:                              ;   in Loop: Header=BB52_38 Depth=1
	s_or_b32 exec_lo, exec_lo, s21
	global_load_dwordx4 v[29:32], v[19:20], off offset:1536
	s_and_saveexec_b32 s21, vcc_lo
	s_cbranch_execz .LBB52_98
.LBB52_97:                              ;   in Loop: Header=BB52_38 Depth=1
	v_cmp_gt_i32_e64 s0, s27, v126
	s_waitcnt vmcnt(0)
	v_cndmask_b32_e64 v29, 0, v29, s0
	v_cmp_gt_i32_e64 s0, s27, v125
	v_cndmask_b32_e64 v30, 0, v30, s0
	v_cmp_gt_i32_e64 s0, s27, v127
	;; [unrolled: 2-line block ×3, first 2 shown]
	v_cndmask_b32_e64 v32, 0, v32, s0
.LBB52_98:                              ;   in Loop: Header=BB52_38 Depth=1
	s_or_b32 exec_lo, exec_lo, s21
	v_add_co_u32 v19, s0, 0x4800, v17
	v_add_co_ci_u32_e64 v20, null, 0, v18, s0
	global_load_dwordx4 v[33:36], v[19:20], off
	s_and_saveexec_b32 s21, vcc_lo
	s_cbranch_execnz .LBB52_125
; %bb.99:                               ;   in Loop: Header=BB52_38 Depth=1
	s_or_b32 exec_lo, exec_lo, s21
	global_load_dwordx4 v[37:40], v[19:20], off offset:512
	s_and_saveexec_b32 s21, vcc_lo
	s_cbranch_execnz .LBB52_126
.LBB52_100:                             ;   in Loop: Header=BB52_38 Depth=1
	s_or_b32 exec_lo, exec_lo, s21
	global_load_dwordx4 v[41:44], v[19:20], off offset:1024
	s_and_saveexec_b32 s21, vcc_lo
	s_cbranch_execnz .LBB52_127
.LBB52_101:                             ;   in Loop: Header=BB52_38 Depth=1
	s_or_b32 exec_lo, exec_lo, s21
	global_load_dwordx4 v[45:48], v[19:20], off offset:1536
	s_and_saveexec_b32 s21, vcc_lo
	s_cbranch_execz .LBB52_103
.LBB52_102:                             ;   in Loop: Header=BB52_38 Depth=1
	v_cmp_gt_i32_e64 s0, s27, v126
	s_waitcnt vmcnt(0)
	v_cndmask_b32_e64 v45, 0, v45, s0
	v_cmp_gt_i32_e64 s0, s27, v125
	v_cndmask_b32_e64 v46, 0, v46, s0
	v_cmp_gt_i32_e64 s0, s27, v127
	;; [unrolled: 2-line block ×3, first 2 shown]
	v_cndmask_b32_e64 v48, 0, v48, s0
.LBB52_103:                             ;   in Loop: Header=BB52_38 Depth=1
	s_or_b32 exec_lo, exec_lo, s21
	v_add_co_u32 v19, s0, 0x5000, v17
	v_add_co_ci_u32_e64 v20, null, 0, v18, s0
	global_load_dwordx4 v[49:52], v[19:20], off
	s_and_saveexec_b32 s21, vcc_lo
	s_cbranch_execnz .LBB52_128
; %bb.104:                              ;   in Loop: Header=BB52_38 Depth=1
	s_or_b32 exec_lo, exec_lo, s21
	global_load_dwordx4 v[53:56], v[19:20], off offset:512
	s_and_saveexec_b32 s21, vcc_lo
	s_cbranch_execnz .LBB52_129
.LBB52_105:                             ;   in Loop: Header=BB52_38 Depth=1
	s_or_b32 exec_lo, exec_lo, s21
	global_load_dwordx4 v[57:60], v[19:20], off offset:1024
	s_and_saveexec_b32 s21, vcc_lo
	s_cbranch_execnz .LBB52_130
.LBB52_106:                             ;   in Loop: Header=BB52_38 Depth=1
	s_or_b32 exec_lo, exec_lo, s21
	global_load_dwordx4 v[61:64], v[19:20], off offset:1536
	s_and_saveexec_b32 s21, vcc_lo
	s_cbranch_execz .LBB52_108
.LBB52_107:                             ;   in Loop: Header=BB52_38 Depth=1
	v_cmp_gt_i32_e64 s0, s27, v126
	s_waitcnt vmcnt(0)
	v_cndmask_b32_e64 v61, 0, v61, s0
	v_cmp_gt_i32_e64 s0, s27, v125
	v_cndmask_b32_e64 v62, 0, v62, s0
	v_cmp_gt_i32_e64 s0, s27, v127
	;; [unrolled: 2-line block ×3, first 2 shown]
	v_cndmask_b32_e64 v64, 0, v64, s0
.LBB52_108:                             ;   in Loop: Header=BB52_38 Depth=1
	s_or_b32 exec_lo, exec_lo, s21
	v_add_co_u32 v17, s0, 0x5800, v17
	v_add_co_ci_u32_e64 v18, null, 0, v18, s0
	global_load_dwordx4 v[65:68], v[17:18], off
	s_and_saveexec_b32 s21, vcc_lo
	s_cbranch_execnz .LBB52_131
; %bb.109:                              ;   in Loop: Header=BB52_38 Depth=1
	s_or_b32 exec_lo, exec_lo, s21
	global_load_dwordx4 v[69:72], v[17:18], off offset:512
	s_and_saveexec_b32 s21, vcc_lo
	s_cbranch_execnz .LBB52_132
.LBB52_110:                             ;   in Loop: Header=BB52_38 Depth=1
	s_or_b32 exec_lo, exec_lo, s21
	global_load_dwordx4 v[73:76], v[17:18], off offset:1024
	s_and_saveexec_b32 s21, vcc_lo
	s_cbranch_execnz .LBB52_133
.LBB52_111:                             ;   in Loop: Header=BB52_38 Depth=1
	s_or_b32 exec_lo, exec_lo, s21
	global_load_dwordx4 v[17:20], v[17:18], off offset:1536
	s_and_saveexec_b32 s0, vcc_lo
	s_cbranch_execz .LBB52_36
	s_branch .LBB52_134
.LBB52_112:                             ;   in Loop: Header=BB52_38 Depth=1
	s_clause 0x3
	buffer_load_dword v11, off, s[48:51], 0 offset:280
	buffer_load_dword v12, off, s[48:51], 0 offset:284
	;; [unrolled: 1-line block ×4, first 2 shown]
	v_cmp_gt_i32_e64 s0, s27, v126
	s_waitcnt vmcnt(3)
	v_cndmask_b32_e64 v11, 0, v11, s0
	v_cmp_gt_i32_e64 s0, s27, v125
	s_waitcnt vmcnt(2)
	v_cndmask_b32_e64 v12, 0, v12, s0
	;; [unrolled: 3-line block ×4, first 2 shown]
	buffer_store_dword v11, off, s[48:51], 0 offset:280 ; 4-byte Folded Spill
	buffer_store_dword v12, off, s[48:51], 0 offset:284 ; 4-byte Folded Spill
	;; [unrolled: 1-line block ×4, first 2 shown]
	s_or_b32 exec_lo, exec_lo, s21
	global_load_dwordx4 v[77:80], v[1:2], off offset:1024
	s_and_saveexec_b32 s21, vcc_lo
	s_cbranch_execz .LBB52_75
.LBB52_113:                             ;   in Loop: Header=BB52_38 Depth=1
	v_cmp_gt_i32_e64 s0, s27, v126
	s_waitcnt vmcnt(0)
	v_cndmask_b32_e64 v77, 0, v77, s0
	v_cmp_gt_i32_e64 s0, s27, v125
	v_cndmask_b32_e64 v78, 0, v78, s0
	v_cmp_gt_i32_e64 s0, s27, v127
	;; [unrolled: 2-line block ×3, first 2 shown]
	v_cndmask_b32_e64 v80, 0, v80, s0
	s_or_b32 exec_lo, exec_lo, s21
	global_load_dwordx4 v[81:84], v[1:2], off offset:1536
	s_and_saveexec_b32 s21, vcc_lo
	s_cbranch_execnz .LBB52_76
	s_branch .LBB52_77
.LBB52_114:                             ;   in Loop: Header=BB52_38 Depth=1
	v_cmp_gt_i32_e64 s0, s27, v126
	s_waitcnt vmcnt(0)
	v_cndmask_b32_e64 v85, 0, v85, s0
	v_cmp_gt_i32_e64 s0, s27, v125
	v_cndmask_b32_e64 v86, 0, v86, s0
	v_cmp_gt_i32_e64 s0, s27, v127
	v_cndmask_b32_e64 v87, 0, v87, s0
	v_cmp_gt_i32_e64 s0, s27, v0
	v_cndmask_b32_e64 v88, 0, v88, s0
	s_or_b32 exec_lo, exec_lo, s21
	global_load_dwordx4 v[89:92], v[1:2], off offset:512
	s_and_saveexec_b32 s21, vcc_lo
	s_cbranch_execz .LBB52_79
.LBB52_115:                             ;   in Loop: Header=BB52_38 Depth=1
	v_cmp_gt_i32_e64 s0, s27, v126
	s_waitcnt vmcnt(0)
	v_cndmask_b32_e64 v89, 0, v89, s0
	v_cmp_gt_i32_e64 s0, s27, v125
	v_cndmask_b32_e64 v90, 0, v90, s0
	v_cmp_gt_i32_e64 s0, s27, v127
	;; [unrolled: 2-line block ×3, first 2 shown]
	v_cndmask_b32_e64 v92, 0, v92, s0
	s_or_b32 exec_lo, exec_lo, s21
	global_load_dwordx4 v[93:96], v[1:2], off offset:1024
	s_and_saveexec_b32 s21, vcc_lo
	s_cbranch_execz .LBB52_80
.LBB52_116:                             ;   in Loop: Header=BB52_38 Depth=1
	v_cmp_gt_i32_e64 s0, s27, v126
	s_waitcnt vmcnt(0)
	v_cndmask_b32_e64 v93, 0, v93, s0
	v_cmp_gt_i32_e64 s0, s27, v125
	v_cndmask_b32_e64 v94, 0, v94, s0
	v_cmp_gt_i32_e64 s0, s27, v127
	;; [unrolled: 2-line block ×3, first 2 shown]
	v_cndmask_b32_e64 v96, 0, v96, s0
	s_or_b32 exec_lo, exec_lo, s21
	global_load_dwordx4 v[97:100], v[1:2], off offset:1536
	s_and_saveexec_b32 s21, vcc_lo
	s_cbranch_execnz .LBB52_81
	s_branch .LBB52_82
.LBB52_117:                             ;   in Loop: Header=BB52_38 Depth=1
	v_cmp_gt_i32_e64 s0, s27, v126
	s_waitcnt vmcnt(0)
	v_cndmask_b32_e64 v101, 0, v101, s0
	v_cmp_gt_i32_e64 s0, s27, v125
	v_cndmask_b32_e64 v102, 0, v102, s0
	v_cmp_gt_i32_e64 s0, s27, v127
	;; [unrolled: 2-line block ×3, first 2 shown]
	v_cndmask_b32_e64 v104, 0, v104, s0
	s_or_b32 exec_lo, exec_lo, s21
	global_load_dwordx4 v[105:108], v[1:2], off offset:512
	s_and_saveexec_b32 s21, vcc_lo
	s_cbranch_execz .LBB52_84
.LBB52_118:                             ;   in Loop: Header=BB52_38 Depth=1
	v_cmp_gt_i32_e64 s0, s27, v126
	s_waitcnt vmcnt(0)
	v_cndmask_b32_e64 v105, 0, v105, s0
	v_cmp_gt_i32_e64 s0, s27, v125
	v_cndmask_b32_e64 v106, 0, v106, s0
	v_cmp_gt_i32_e64 s0, s27, v127
	;; [unrolled: 2-line block ×3, first 2 shown]
	v_cndmask_b32_e64 v108, 0, v108, s0
	s_or_b32 exec_lo, exec_lo, s21
	global_load_dwordx4 v[109:112], v[1:2], off offset:1024
	s_and_saveexec_b32 s21, vcc_lo
	s_cbranch_execz .LBB52_85
.LBB52_119:                             ;   in Loop: Header=BB52_38 Depth=1
	v_cmp_gt_i32_e64 s0, s27, v126
	s_waitcnt vmcnt(0)
	v_cndmask_b32_e64 v109, 0, v109, s0
	v_cmp_gt_i32_e64 s0, s27, v125
	v_cndmask_b32_e64 v110, 0, v110, s0
	v_cmp_gt_i32_e64 s0, s27, v127
	;; [unrolled: 2-line block ×3, first 2 shown]
	v_cndmask_b32_e64 v112, 0, v112, s0
	s_or_b32 exec_lo, exec_lo, s21
	global_load_dwordx4 v[113:116], v[1:2], off offset:1536
	s_and_saveexec_b32 s21, vcc_lo
	s_cbranch_execnz .LBB52_86
	s_branch .LBB52_87
.LBB52_120:                             ;   in Loop: Header=BB52_38 Depth=1
	v_cmp_gt_i32_e64 s0, s27, v126
	s_waitcnt vmcnt(0)
	v_cndmask_b32_e64 v117, 0, v117, s0
	v_cmp_gt_i32_e64 s0, s27, v125
	v_cndmask_b32_e64 v118, 0, v118, s0
	v_cmp_gt_i32_e64 s0, s27, v127
	;; [unrolled: 2-line block ×3, first 2 shown]
	v_cndmask_b32_e64 v120, 0, v120, s0
	s_or_b32 exec_lo, exec_lo, s21
	global_load_dwordx4 v[121:124], v[1:2], off offset:512
	s_and_saveexec_b32 s21, vcc_lo
	s_cbranch_execz .LBB52_89
.LBB52_121:                             ;   in Loop: Header=BB52_38 Depth=1
	v_cmp_gt_i32_e64 s0, s27, v126
	s_waitcnt vmcnt(0)
	v_cndmask_b32_e64 v121, 0, v121, s0
	v_cmp_gt_i32_e64 s0, s27, v125
	v_cndmask_b32_e64 v122, 0, v122, s0
	v_cmp_gt_i32_e64 s0, s27, v127
	;; [unrolled: 2-line block ×3, first 2 shown]
	v_cndmask_b32_e64 v124, 0, v124, s0
	s_or_b32 exec_lo, exec_lo, s21
	global_load_dwordx4 v[1:4], v[1:2], off offset:1024
	s_and_saveexec_b32 s21, vcc_lo
	s_cbranch_execnz .LBB52_90
	s_branch .LBB52_91
.LBB52_122:                             ;   in Loop: Header=BB52_38 Depth=1
	v_cmp_gt_i32_e64 s0, s27, v126
	s_waitcnt vmcnt(0)
	v_cndmask_b32_e64 v13, 0, v13, s0
	v_cmp_gt_i32_e64 s0, s27, v125
	v_cndmask_b32_e64 v14, 0, v14, s0
	v_cmp_gt_i32_e64 s0, s27, v127
	;; [unrolled: 2-line block ×3, first 2 shown]
	v_cndmask_b32_e64 v16, 0, v16, s0
	s_or_b32 exec_lo, exec_lo, s21
	global_load_dwordx4 v[21:24], v[19:20], off offset:512
	s_and_saveexec_b32 s21, vcc_lo
	s_cbranch_execz .LBB52_95
.LBB52_123:                             ;   in Loop: Header=BB52_38 Depth=1
	v_cmp_gt_i32_e64 s0, s27, v126
	s_waitcnt vmcnt(0)
	v_cndmask_b32_e64 v21, 0, v21, s0
	v_cmp_gt_i32_e64 s0, s27, v125
	v_cndmask_b32_e64 v22, 0, v22, s0
	v_cmp_gt_i32_e64 s0, s27, v127
	;; [unrolled: 2-line block ×3, first 2 shown]
	v_cndmask_b32_e64 v24, 0, v24, s0
	s_or_b32 exec_lo, exec_lo, s21
	global_load_dwordx4 v[25:28], v[19:20], off offset:1024
	s_and_saveexec_b32 s21, vcc_lo
	s_cbranch_execz .LBB52_96
.LBB52_124:                             ;   in Loop: Header=BB52_38 Depth=1
	v_cmp_gt_i32_e64 s0, s27, v126
	s_waitcnt vmcnt(0)
	v_cndmask_b32_e64 v25, 0, v25, s0
	v_cmp_gt_i32_e64 s0, s27, v125
	v_cndmask_b32_e64 v26, 0, v26, s0
	v_cmp_gt_i32_e64 s0, s27, v127
	;; [unrolled: 2-line block ×3, first 2 shown]
	v_cndmask_b32_e64 v28, 0, v28, s0
	s_or_b32 exec_lo, exec_lo, s21
	global_load_dwordx4 v[29:32], v[19:20], off offset:1536
	s_and_saveexec_b32 s21, vcc_lo
	s_cbranch_execnz .LBB52_97
	s_branch .LBB52_98
.LBB52_125:                             ;   in Loop: Header=BB52_38 Depth=1
	v_cmp_gt_i32_e64 s0, s27, v126
	s_waitcnt vmcnt(0)
	v_cndmask_b32_e64 v33, 0, v33, s0
	v_cmp_gt_i32_e64 s0, s27, v125
	v_cndmask_b32_e64 v34, 0, v34, s0
	v_cmp_gt_i32_e64 s0, s27, v127
	;; [unrolled: 2-line block ×3, first 2 shown]
	v_cndmask_b32_e64 v36, 0, v36, s0
	s_or_b32 exec_lo, exec_lo, s21
	global_load_dwordx4 v[37:40], v[19:20], off offset:512
	s_and_saveexec_b32 s21, vcc_lo
	s_cbranch_execz .LBB52_100
.LBB52_126:                             ;   in Loop: Header=BB52_38 Depth=1
	v_cmp_gt_i32_e64 s0, s27, v126
	s_waitcnt vmcnt(0)
	v_cndmask_b32_e64 v37, 0, v37, s0
	v_cmp_gt_i32_e64 s0, s27, v125
	v_cndmask_b32_e64 v38, 0, v38, s0
	v_cmp_gt_i32_e64 s0, s27, v127
	;; [unrolled: 2-line block ×3, first 2 shown]
	v_cndmask_b32_e64 v40, 0, v40, s0
	s_or_b32 exec_lo, exec_lo, s21
	global_load_dwordx4 v[41:44], v[19:20], off offset:1024
	s_and_saveexec_b32 s21, vcc_lo
	s_cbranch_execz .LBB52_101
.LBB52_127:                             ;   in Loop: Header=BB52_38 Depth=1
	v_cmp_gt_i32_e64 s0, s27, v126
	s_waitcnt vmcnt(0)
	v_cndmask_b32_e64 v41, 0, v41, s0
	v_cmp_gt_i32_e64 s0, s27, v125
	v_cndmask_b32_e64 v42, 0, v42, s0
	v_cmp_gt_i32_e64 s0, s27, v127
	;; [unrolled: 2-line block ×3, first 2 shown]
	v_cndmask_b32_e64 v44, 0, v44, s0
	s_or_b32 exec_lo, exec_lo, s21
	global_load_dwordx4 v[45:48], v[19:20], off offset:1536
	s_and_saveexec_b32 s21, vcc_lo
	s_cbranch_execnz .LBB52_102
	s_branch .LBB52_103
.LBB52_128:                             ;   in Loop: Header=BB52_38 Depth=1
	v_cmp_gt_i32_e64 s0, s27, v126
	s_waitcnt vmcnt(0)
	v_cndmask_b32_e64 v49, 0, v49, s0
	v_cmp_gt_i32_e64 s0, s27, v125
	v_cndmask_b32_e64 v50, 0, v50, s0
	v_cmp_gt_i32_e64 s0, s27, v127
	;; [unrolled: 2-line block ×3, first 2 shown]
	v_cndmask_b32_e64 v52, 0, v52, s0
	s_or_b32 exec_lo, exec_lo, s21
	global_load_dwordx4 v[53:56], v[19:20], off offset:512
	s_and_saveexec_b32 s21, vcc_lo
	s_cbranch_execz .LBB52_105
.LBB52_129:                             ;   in Loop: Header=BB52_38 Depth=1
	v_cmp_gt_i32_e64 s0, s27, v126
	s_waitcnt vmcnt(0)
	v_cndmask_b32_e64 v53, 0, v53, s0
	v_cmp_gt_i32_e64 s0, s27, v125
	v_cndmask_b32_e64 v54, 0, v54, s0
	v_cmp_gt_i32_e64 s0, s27, v127
	;; [unrolled: 2-line block ×3, first 2 shown]
	v_cndmask_b32_e64 v56, 0, v56, s0
	s_or_b32 exec_lo, exec_lo, s21
	global_load_dwordx4 v[57:60], v[19:20], off offset:1024
	s_and_saveexec_b32 s21, vcc_lo
	s_cbranch_execz .LBB52_106
.LBB52_130:                             ;   in Loop: Header=BB52_38 Depth=1
	v_cmp_gt_i32_e64 s0, s27, v126
	s_waitcnt vmcnt(0)
	v_cndmask_b32_e64 v57, 0, v57, s0
	v_cmp_gt_i32_e64 s0, s27, v125
	v_cndmask_b32_e64 v58, 0, v58, s0
	v_cmp_gt_i32_e64 s0, s27, v127
	;; [unrolled: 2-line block ×3, first 2 shown]
	v_cndmask_b32_e64 v60, 0, v60, s0
	s_or_b32 exec_lo, exec_lo, s21
	global_load_dwordx4 v[61:64], v[19:20], off offset:1536
	s_and_saveexec_b32 s21, vcc_lo
	s_cbranch_execnz .LBB52_107
	s_branch .LBB52_108
.LBB52_131:                             ;   in Loop: Header=BB52_38 Depth=1
	v_cmp_gt_i32_e64 s0, s27, v126
	s_waitcnt vmcnt(0)
	v_cndmask_b32_e64 v65, 0, v65, s0
	v_cmp_gt_i32_e64 s0, s27, v125
	v_cndmask_b32_e64 v66, 0, v66, s0
	v_cmp_gt_i32_e64 s0, s27, v127
	;; [unrolled: 2-line block ×3, first 2 shown]
	v_cndmask_b32_e64 v68, 0, v68, s0
	s_or_b32 exec_lo, exec_lo, s21
	global_load_dwordx4 v[69:72], v[17:18], off offset:512
	s_and_saveexec_b32 s21, vcc_lo
	s_cbranch_execz .LBB52_110
.LBB52_132:                             ;   in Loop: Header=BB52_38 Depth=1
	v_cmp_gt_i32_e64 s0, s27, v126
	s_waitcnt vmcnt(0)
	v_cndmask_b32_e64 v69, 0, v69, s0
	v_cmp_gt_i32_e64 s0, s27, v125
	v_cndmask_b32_e64 v70, 0, v70, s0
	v_cmp_gt_i32_e64 s0, s27, v127
	;; [unrolled: 2-line block ×3, first 2 shown]
	v_cndmask_b32_e64 v72, 0, v72, s0
	s_or_b32 exec_lo, exec_lo, s21
	global_load_dwordx4 v[73:76], v[17:18], off offset:1024
	s_and_saveexec_b32 s21, vcc_lo
	s_cbranch_execz .LBB52_111
.LBB52_133:                             ;   in Loop: Header=BB52_38 Depth=1
	v_cmp_gt_i32_e64 s0, s27, v126
	s_waitcnt vmcnt(0)
	v_cndmask_b32_e64 v73, 0, v73, s0
	v_cmp_gt_i32_e64 s0, s27, v125
	v_cndmask_b32_e64 v74, 0, v74, s0
	v_cmp_gt_i32_e64 s0, s27, v127
	;; [unrolled: 2-line block ×3, first 2 shown]
	v_cndmask_b32_e64 v76, 0, v76, s0
	s_or_b32 exec_lo, exec_lo, s21
	global_load_dwordx4 v[17:20], v[17:18], off offset:1536
	s_and_saveexec_b32 s0, vcc_lo
	s_cbranch_execz .LBB52_36
.LBB52_134:                             ;   in Loop: Header=BB52_38 Depth=1
	v_cmp_gt_i32_e32 vcc_lo, s27, v126
	s_waitcnt vmcnt(0)
	v_cndmask_b32_e32 v17, 0, v17, vcc_lo
	v_cmp_gt_i32_e32 vcc_lo, s27, v125
	v_cndmask_b32_e32 v18, 0, v18, vcc_lo
	v_cmp_gt_i32_e32 vcc_lo, s27, v127
	;; [unrolled: 2-line block ×3, first 2 shown]
	v_cndmask_b32_e32 v20, 0, v20, vcc_lo
	s_branch .LBB52_36
.LBB52_135:
	s_or_b32 exec_lo, exec_lo, s17
	buffer_load_dword v1, off, s[48:51], 0 offset:520 ; 4-byte Folded Reload
.LBB52_136:
	s_or_b32 exec_lo, exec_lo, s1
	s_clause 0xe
	buffer_load_dword v56, off, s[48:51], 0 offset:596
	buffer_load_dword v25, off, s[48:51], 0 offset:516
	buffer_load_dword v23, off, s[48:51], 0 offset:508
	buffer_load_dword v22, off, s[48:51], 0 offset:504
	buffer_load_dword v66, off, s[48:51], 0 offset:584
	buffer_load_dword v71, off, s[48:51], 0 offset:592
	buffer_load_dword v24, off, s[48:51], 0 offset:512
	buffer_load_dword v31, off, s[48:51], 0 offset:500
	buffer_load_dword v30, off, s[48:51], 0 offset:496
	buffer_load_dword v39, off, s[48:51], 0 offset:492
	buffer_load_dword v38, off, s[48:51], 0 offset:488
	buffer_load_dword v37, off, s[48:51], 0 offset:484
	buffer_load_dword v36, off, s[48:51], 0 offset:480
	buffer_load_dword v35, off, s[48:51], 0 offset:476
	buffer_load_dword v34, off, s[48:51], 0 offset:472
	s_waitcnt vmcnt(15)
	v_mov_b32_e32 v21, v1
	v_mov_b32_e32 v20, v8
	;; [unrolled: 1-line block ×8, first 2 shown]
	s_clause 0x12
	buffer_load_dword v45, off, s[48:51], 0 offset:428
	buffer_load_dword v50, off, s[48:51], 0 offset:424
	;; [unrolled: 1-line block ×19, first 2 shown]
	v_mov_b32_e32 v49, v41
	v_mov_b32_e32 v65, v57
	s_mov_b32 s1, exec_lo
	s_waitcnt vmcnt(33)
	ds_bpermute_b32 v0, v56, v1
	ds_bpermute_b32 v1, v56, v8
	;; [unrolled: 1-line block ×5, first 2 shown]
	s_waitcnt vmcnt(30)
	ds_bpermute_b32 v10, v56, v22
	ds_bpermute_b32 v4, v56, v6
	;; [unrolled: 1-line block ×4, first 2 shown]
	s_waitcnt vmcnt(25)
	ds_bpermute_b32 v12, v56, v30
	ds_bpermute_b32 v8, v56, v24
	;; [unrolled: 1-line block ×3, first 2 shown]
	s_waitcnt vmcnt(22)
	ds_bpermute_b32 v15, v56, v37
	ds_bpermute_b32 v14, v56, v38
	;; [unrolled: 1-line block ×4, first 2 shown]
	s_waitcnt vmcnt(20)
	ds_bpermute_b32 v17, v56, v35
	ds_bpermute_b32 v16, v56, v36
	s_waitcnt lgkmcnt(17)
	v_add_f32_e32 v0, v21, v0
	s_waitcnt lgkmcnt(16)
	v_add_f32_e32 v1, v20, v1
	;; [unrolled: 2-line block ×5, first 2 shown]
	ds_bpermute_b32 v18, v66, v0
	ds_bpermute_b32 v19, v66, v1
	;; [unrolled: 1-line block ×3, first 2 shown]
	s_waitcnt lgkmcnt(15)
	v_add_f32_e32 v10, v22, v10
	s_waitcnt lgkmcnt(14)
	v_add_f32_e32 v4, v28, v4
	;; [unrolled: 2-line block ×4, first 2 shown]
	ds_bpermute_b32 v23, v66, v5
	ds_bpermute_b32 v28, v66, v10
	s_waitcnt lgkmcnt(13)
	v_add_f32_e32 v12, v30, v12
	s_waitcnt lgkmcnt(12)
	v_add_f32_e32 v8, v24, v8
	ds_bpermute_b32 v24, v66, v6
	s_waitcnt lgkmcnt(12)
	v_add_f32_e32 v11, v31, v11
	s_waitcnt lgkmcnt(11)
	v_add_f32_e32 v15, v37, v15
	ds_bpermute_b32 v31, v66, v12
	buffer_load_dword v37, off, s[48:51], 0 offset:456 ; 4-byte Folded Reload
	s_waitcnt lgkmcnt(11)
	v_add_f32_e32 v14, v38, v14
	ds_bpermute_b32 v30, v66, v11
	buffer_load_dword v38, off, s[48:51], 0 offset:444 ; 4-byte Folded Reload
	ds_bpermute_b32 v21, v66, v3
	s_waitcnt lgkmcnt(8)
	v_add_f32_e32 v0, v0, v18
	s_waitcnt lgkmcnt(7)
	v_add_f32_e32 v18, v1, v19
	;; [unrolled: 2-line block ×3, first 2 shown]
	v_add_f32_e32 v7, v25, v7
	ds_bpermute_b32 v26, v66, v8
	ds_bpermute_b32 v1, v71, v0
	;; [unrolled: 1-line block ×3, first 2 shown]
	s_waitcnt lgkmcnt(8)
	v_add_f32_e32 v23, v5, v23
	s_waitcnt lgkmcnt(7)
	v_add_f32_e32 v28, v10, v28
	ds_bpermute_b32 v25, v66, v7
	ds_bpermute_b32 v27, v66, v9
	s_waitcnt lgkmcnt(8)
	v_add_f32_e32 v24, v6, v24
	ds_bpermute_b32 v6, v71, v23
	ds_bpermute_b32 v32, v71, v28
	;; [unrolled: 1-line block ×3, first 2 shown]
	v_add_f32_e32 v13, v39, v13
	v_add_f32_e32 v17, v35, v17
	;; [unrolled: 1-line block ×3, first 2 shown]
	v_mov_b32_e32 v39, v33
	s_waitcnt lgkmcnt(8)
	v_add_f32_e32 v20, v3, v21
	ds_bpermute_b32 v3, v71, v19
	s_waitcnt vmcnt(12)
	ds_bpermute_b32 v36, v56, v42
	ds_bpermute_b32 v21, v71, v20
	s_waitcnt lgkmcnt(9)
	v_add_f32_e32 v1, v0, v1
	s_waitcnt lgkmcnt(8)
	v_add_f32_e32 v2, v18, v2
	v_add_f32_e32 v18, v12, v31
	buffer_load_dword v31, off, s[48:51], 0 offset:468 ; 4-byte Folded Reload
	ds_bpermute_b32 v29, v56, v34
	v_add_f32_e32 v0, v11, v30
	s_waitcnt lgkmcnt(8)
	v_add_f32_e32 v25, v7, v25
	s_waitcnt lgkmcnt(6)
	;; [unrolled: 2-line block ×3, first 2 shown]
	v_add_f32_e32 v11, v28, v32
	buffer_load_dword v32, off, s[48:51], 0 offset:460 ; 4-byte Folded Reload
	v_add_f32_e32 v26, v8, v26
	v_add_f32_e32 v27, v9, v27
	s_waitcnt lgkmcnt(4)
	v_add_f32_e32 v22, v4, v22
	ds_bpermute_b32 v7, v71, v24
	ds_bpermute_b32 v8, v71, v25
	;; [unrolled: 1-line block ×4, first 2 shown]
	s_waitcnt lgkmcnt(7)
	v_add_f32_e32 v3, v19, v3
	ds_bpermute_b32 v12, v71, v0
	s_waitcnt lgkmcnt(6)
	v_add_f32_e32 v4, v20, v21
	ds_bpermute_b32 v19, v66, v13
	ds_bpermute_b32 v20, v71, v18
	ds_bpermute_b32 v21, v66, v14
	ds_bpermute_b32 v30, v66, v15
	s_waitcnt lgkmcnt(9)
	v_add_f32_e32 v23, v34, v29
	buffer_load_dword v34, off, s[48:51], 0 offset:464 ; 4-byte Folded Reload
	ds_bpermute_b32 v5, v71, v22
	s_waitcnt lgkmcnt(9)
	v_add_f32_e32 v7, v24, v7
	s_waitcnt lgkmcnt(8)
	v_add_f32_e32 v8, v25, v8
	;; [unrolled: 2-line block ×4, first 2 shown]
	ds_bpermute_b32 v25, v66, v17
	ds_bpermute_b32 v26, v66, v23
	s_waitcnt lgkmcnt(7)
	v_add_f32_e32 v12, v0, v12
	s_waitcnt lgkmcnt(6)
	v_add_f32_e32 v19, v13, v19
	;; [unrolled: 2-line block ×5, first 2 shown]
	ds_bpermute_b32 v30, v56, v40
	ds_bpermute_b32 v14, v71, v19
	s_waitcnt lgkmcnt(4)
	v_add_f32_e32 v5, v22, v5
	ds_bpermute_b32 v22, v66, v16
	ds_bpermute_b32 v21, v71, v0
	;; [unrolled: 1-line block ×4, first 2 shown]
	s_waitcnt lgkmcnt(7)
	v_add_f32_e32 v25, v17, v25
	s_waitcnt lgkmcnt(6)
	v_add_f32_e32 v23, v23, v26
	;; [unrolled: 2-line block ×5, first 2 shown]
	ds_bpermute_b32 v43, v56, v52
	s_waitcnt vmcnt(4)
	ds_bpermute_b32 v15, v56, v37
	s_waitcnt vmcnt(3)
	ds_bpermute_b32 v16, v56, v38
	s_waitcnt lgkmcnt(1)
	v_add_f32_e32 v37, v37, v15
	v_add_f32_e32 v15, v0, v21
	;; [unrolled: 1-line block ×3, first 2 shown]
	s_waitcnt lgkmcnt(0)
	v_add_f32_e32 v38, v38, v16
	v_add_f32_e32 v16, v18, v29
	ds_bpermute_b32 v21, v66, v37
	ds_bpermute_b32 v30, v66, v20
	;; [unrolled: 1-line block ×3, first 2 shown]
	s_waitcnt vmcnt(2)
	ds_bpermute_b32 v24, v56, v31
	s_waitcnt vmcnt(1)
	ds_bpermute_b32 v28, v56, v32
	s_waitcnt lgkmcnt(3)
	v_add_f32_e32 v30, v20, v30
	s_waitcnt lgkmcnt(2)
	v_add_f32_e32 v29, v38, v29
	s_waitcnt lgkmcnt(1)
	v_add_f32_e32 v24, v31, v24
	ds_bpermute_b32 v31, v56, v33
	s_waitcnt vmcnt(0)
	ds_bpermute_b32 v27, v56, v34
	ds_bpermute_b32 v33, v71, v23
	;; [unrolled: 1-line block ×3, first 2 shown]
	s_waitcnt lgkmcnt(3)
	v_add_f32_e32 v31, v39, v31
	s_waitcnt lgkmcnt(2)
	v_add_f32_e32 v26, v34, v27
	v_add_f32_e32 v27, v32, v28
	ds_bpermute_b32 v32, v71, v25
	ds_bpermute_b32 v39, v66, v0
	;; [unrolled: 1-line block ×4, first 2 shown]
	s_waitcnt lgkmcnt(5)
	v_add_f32_e32 v19, v23, v33
	ds_bpermute_b32 v28, v71, v22
	ds_bpermute_b32 v35, v66, v27
	s_waitcnt lgkmcnt(6)
	v_add_f32_e32 v24, v24, v17
	s_waitcnt lgkmcnt(5)
	v_add_f32_e32 v18, v25, v32
	v_add_f32_e32 v25, v42, v36
	;; [unrolled: 1-line block ×3, first 2 shown]
	s_waitcnt lgkmcnt(2)
	v_add_f32_e32 v23, v26, v34
	ds_bpermute_b32 v26, v56, v44
	ds_bpermute_b32 v37, v56, v50
	v_add_f32_e32 v0, v0, v39
	ds_bpermute_b32 v33, v66, v25
	v_add_f32_e32 v31, v31, v40
	s_waitcnt lgkmcnt(4)
	v_add_f32_e32 v17, v22, v28
	s_waitcnt lgkmcnt(3)
	v_add_f32_e32 v27, v27, v35
	ds_bpermute_b32 v40, v71, v0
	ds_bpermute_b32 v28, v56, v46
	ds_bpermute_b32 v22, v71, v24
	ds_bpermute_b32 v32, v56, v45
	ds_bpermute_b32 v34, v71, v23
	ds_bpermute_b32 v35, v71, v27
	ds_bpermute_b32 v21, v56, v41
	ds_bpermute_b32 v38, v71, v36
	ds_bpermute_b32 v39, v71, v30
	ds_bpermute_b32 v41, v71, v29
	ds_bpermute_b32 v42, v71, v31
	s_waitcnt lgkmcnt(13)
	v_add_f32_e32 v44, v44, v26
	s_waitcnt lgkmcnt(12)
	v_add_f32_e32 v37, v50, v37
	buffer_load_dword v50, off, s[48:51], 0 offset:412 ; 4-byte Folded Reload
	ds_bpermute_b32 v26, v56, v51
	s_waitcnt lgkmcnt(12)
	v_add_f32_e32 v33, v25, v33
	s_waitcnt lgkmcnt(11)
	v_add_f32_e32 v25, v0, v40
	;; [unrolled: 2-line block ×5, first 2 shown]
	ds_bpermute_b32 v45, v66, v44
	s_waitcnt lgkmcnt(7)
	v_add_f32_e32 v22, v27, v35
	ds_bpermute_b32 v46, v66, v28
	s_waitcnt lgkmcnt(7)
	v_add_f32_e32 v49, v49, v21
	v_add_f32_e32 v21, v23, v34
	s_waitcnt lgkmcnt(6)
	v_add_f32_e32 v23, v36, v38
	ds_bpermute_b32 v35, v66, v37
	s_waitcnt lgkmcnt(6)
	v_add_f32_e32 v24, v30, v39
	v_add_f32_e32 v30, v52, v43
	ds_bpermute_b32 v47, v66, v32
	ds_bpermute_b32 v34, v66, v49
	;; [unrolled: 1-line block ×3, first 2 shown]
	s_waitcnt lgkmcnt(6)
	v_add_f32_e32 v0, v51, v26
	buffer_load_dword v51, off, s[48:51], 0 offset:408 ; 4-byte Folded Reload
	v_add_f32_e32 v26, v29, v41
	ds_bpermute_b32 v29, v66, v30
	v_add_f32_e32 v27, v31, v42
	ds_bpermute_b32 v38, v66, v0
	ds_bpermute_b32 v43, v56, v54
	s_waitcnt lgkmcnt(8)
	v_add_f32_e32 v31, v44, v45
	ds_bpermute_b32 v44, v56, v67
	s_waitcnt lgkmcnt(8)
	v_add_f32_e32 v39, v28, v46
	ds_bpermute_b32 v46, v56, v58
	ds_bpermute_b32 v40, v71, v31
	s_waitcnt lgkmcnt(9)
	v_add_f32_e32 v35, v37, v35
	ds_bpermute_b32 v37, v56, v68
	ds_bpermute_b32 v41, v71, v39
	s_waitcnt lgkmcnt(10)
	v_add_f32_e32 v32, v32, v47
	s_waitcnt lgkmcnt(9)
	v_add_f32_e32 v34, v49, v34
	;; [unrolled: 2-line block ×3, first 2 shown]
	ds_bpermute_b32 v48, v71, v35
	ds_bpermute_b32 v42, v71, v32
	s_waitcnt lgkmcnt(9)
	v_add_f32_e32 v49, v30, v29
	ds_bpermute_b32 v29, v56, v59
	s_waitcnt lgkmcnt(9)
	v_add_f32_e32 v38, v0, v38
	ds_bpermute_b32 v0, v56, v63
	ds_bpermute_b32 v30, v56, v62
	;; [unrolled: 1-line block ×3, first 2 shown]
	s_waitcnt lgkmcnt(10)
	v_add_f32_e32 v44, v67, v44
	ds_bpermute_b32 v53, v71, v38
	s_waitcnt lgkmcnt(10)
	v_add_f32_e32 v46, v58, v46
	ds_bpermute_b32 v52, v71, v49
	v_add_f32_e32 v43, v54, v43
	ds_bpermute_b32 v54, v56, v64
	s_waitcnt lgkmcnt(10)
	v_add_f32_e32 v37, v68, v37
	ds_bpermute_b32 v58, v66, v44
	s_waitcnt lgkmcnt(7)
	;; [unrolled: 3-line block ×3, first 2 shown]
	v_add_f32_e32 v0, v63, v0
	s_waitcnt lgkmcnt(6)
	v_add_f32_e32 v30, v62, v30
	ds_bpermute_b32 v62, v66, v30
	s_waitcnt lgkmcnt(3)
	v_add_f32_e32 v54, v64, v54
	s_waitcnt lgkmcnt(2)
	v_add_f32_e32 v44, v44, v58
	;; [unrolled: 2-line block ×3, first 2 shown]
	ds_bpermute_b32 v67, v71, v46
	s_waitcnt lgkmcnt(1)
	v_add_f32_e32 v62, v30, v62
	v_add_f32_e32 v30, v39, v41
	ds_bpermute_b32 v68, v71, v62
	s_waitcnt vmcnt(1)
	ds_bpermute_b32 v36, v56, v50
	s_waitcnt lgkmcnt(0)
	v_add_f32_e32 v36, v50, v36
	ds_bpermute_b32 v50, v56, v60
	s_waitcnt vmcnt(0)
	ds_bpermute_b32 v33, v56, v51
	ds_bpermute_b32 v47, v66, v36
	s_waitcnt lgkmcnt(2)
	v_add_f32_e32 v50, v60, v50
	s_waitcnt lgkmcnt(1)
	v_add_f32_e32 v33, v51, v33
	ds_bpermute_b32 v51, v56, v61
	ds_bpermute_b32 v56, v56, v57
	s_waitcnt lgkmcnt(2)
	v_add_f32_e32 v36, v36, v47
	ds_bpermute_b32 v47, v66, v37
	ds_bpermute_b32 v63, v66, v50
	;; [unrolled: 1-line block ×5, first 2 shown]
	s_waitcnt lgkmcnt(6)
	v_add_f32_e32 v51, v61, v51
	ds_bpermute_b32 v61, v66, v0
	s_waitcnt lgkmcnt(6)
	v_add_f32_e32 v56, v65, v56
	s_waitcnt lgkmcnt(5)
	v_add_f32_e32 v47, v37, v47
	;; [unrolled: 2-line block ×3, first 2 shown]
	ds_bpermute_b32 v64, v66, v51
	s_waitcnt lgkmcnt(4)
	v_add_f32_e32 v55, v33, v55
	ds_bpermute_b32 v33, v66, v54
	ds_bpermute_b32 v59, v71, v47
	s_waitcnt lgkmcnt(5)
	v_add_f32_e32 v43, v43, v57
	ds_bpermute_b32 v57, v66, v56
	ds_bpermute_b32 v66, v71, v44
	;; [unrolled: 1-line block ×3, first 2 shown]
	s_waitcnt lgkmcnt(7)
	v_add_f32_e32 v60, v29, v60
	v_add_f32_e32 v29, v31, v40
	;; [unrolled: 1-line block ×3, first 2 shown]
	ds_bpermute_b32 v65, v71, v36
	ds_bpermute_b32 v37, v71, v55
	;; [unrolled: 1-line block ×3, first 2 shown]
	buffer_load_dword v46, off, s[48:51], 0 offset:568 ; 4-byte Folded Reload
	ds_bpermute_b32 v63, v71, v60
	s_waitcnt lgkmcnt(10)
	v_add_f32_e32 v61, v0, v61
	v_add_f32_e32 v0, v34, v45
	;; [unrolled: 1-line block ×4, first 2 shown]
	s_waitcnt lgkmcnt(9)
	v_add_f32_e32 v51, v51, v64
	ds_bpermute_b32 v64, v71, v61
	s_waitcnt lgkmcnt(9)
	v_add_f32_e32 v54, v54, v33
	s_waitcnt lgkmcnt(8)
	v_add_f32_e32 v38, v47, v59
	buffer_load_dword v47, off, s[48:51], 0 offset:564 ; 4-byte Folded Reload
	s_waitcnt lgkmcnt(7)
	v_add_f32_e32 v56, v56, v57
	s_waitcnt lgkmcnt(6)
	v_add_f32_e32 v39, v44, v66
	s_waitcnt lgkmcnt(5)
	v_add_f32_e32 v44, v50, v69
	buffer_load_dword v50, off, s[48:51], 0 offset:588 ; 4-byte Folded Reload
	ds_bpermute_b32 v70, v71, v51
	ds_bpermute_b32 v57, v71, v54
	;; [unrolled: 1-line block ×3, first 2 shown]
	v_add_f32_e32 v32, v35, v48
	v_add_f32_e32 v33, v49, v52
	s_waitcnt lgkmcnt(7)
	v_add_f32_e32 v35, v36, v65
	s_waitcnt lgkmcnt(6)
	;; [unrolled: 2-line block ×4, first 2 shown]
	v_add_f32_e32 v41, v60, v63
	v_add_f32_e32 v43, v62, v68
	s_waitcnt vmcnt(0) lgkmcnt(0)
	s_waitcnt_vscnt null, 0x0
	s_barrier
	v_add_f32_e32 v42, v61, v64
	buffer_gl0_inv
	v_add_f32_e32 v45, v51, v70
	v_lshrrev_b32_e32 v48, 3, v46
	v_add_f32_e32 v46, v54, v57
	v_and_b32_e32 v49, 7, v47
	v_and_b32_e32 v51, 0x3c0, v47
	v_add_f32_e32 v47, v56, v71
	v_mul_u32_u24_e32 v50, 0x300, v50
	v_cmp_eq_u32_e32 vcc_lo, 0, v49
	v_lshl_add_u32 v49, v48, 2, 0x320
	v_cmpx_eq_u32_e32 64, v51
	s_cbranch_execz .LBB52_139
; %bb.137:
	s_and_b32 exec_lo, exec_lo, vcc_lo
	s_cbranch_execz .LBB52_139
; %bb.138:
	v_add_nc_u32_e32 v51, v49, v50
	v_add_nc_u32_e32 v52, 0xfffffa00, v51
	;; [unrolled: 1-line block ×8, first 2 shown]
	ds_write_b32 v52, v1
	ds_write_b32 v53, v2
	;; [unrolled: 1-line block ×3, first 2 shown]
	v_add_nc_u32_e32 v52, 0xfffffa70, v51
	ds_write_b32 v55, v4
	ds_write_b32 v56, v5
	ds_write_b32 v57, v6
	ds_write_b32 v58, v7
	ds_write_b32 v52, v8
	v_add_nc_u32_e32 v52, 0xfffffa80, v51
	v_add_nc_u32_e32 v53, 0xfffffa90, v51
	v_add_nc_u32_e32 v54, 0xfffffaa0, v51
	v_add_nc_u32_e32 v55, 0xfffffab0, v51
	v_add_nc_u32_e32 v56, 0xfffffac0, v51
	ds_write_b32 v52, v9
	ds_write_b32 v53, v10
	ds_write_b32 v54, v11
	ds_write_b32 v55, v12
	ds_write_b32 v56, v13
	v_add_nc_u32_e32 v52, 0xfffffad0, v51
	v_add_nc_u32_e32 v53, 0xfffffae0, v51
	v_add_nc_u32_e32 v54, 0xfffffaf0, v51
	v_add_nc_u32_e32 v55, 0xfffffb00, v51
	;; [unrolled: 10-line block ×8, first 2 shown]
	v_add_nc_u32_e32 v51, 0xfffffcf0, v51
	ds_write_b32 v52, v43
	ds_write_b32 v53, v44
	;; [unrolled: 1-line block ×5, first 2 shown]
.LBB52_139:
	s_or_b32 exec_lo, exec_lo, s1
	v_lshlrev_b32_e32 v48, 2, v48
	s_mov_b32 s1, exec_lo
	v_add3_u32 v48, 0x320, v50, v48
	buffer_load_dword v50, off, s[48:51], 0 offset:564 ; 4-byte Folded Reload
	s_waitcnt vmcnt(0) lgkmcnt(0)
	s_barrier
	buffer_gl0_inv
	v_cmpx_gt_u32_e32 64, v50
	s_cbranch_execz .LBB52_190
; %bb.140:
	s_and_saveexec_b32 s0, vcc_lo
	s_cbranch_execnz .LBB52_246
; %bb.141:
	s_or_b32 exec_lo, exec_lo, s0
	s_and_saveexec_b32 s0, vcc_lo
	s_cbranch_execnz .LBB52_247
.LBB52_142:
	s_or_b32 exec_lo, exec_lo, s0
	s_and_saveexec_b32 s0, vcc_lo
	s_cbranch_execnz .LBB52_248
.LBB52_143:
	s_or_b32 exec_lo, exec_lo, s0
	s_and_saveexec_b32 s0, vcc_lo
	s_cbranch_execnz .LBB52_249
.LBB52_144:
	s_or_b32 exec_lo, exec_lo, s0
	s_and_saveexec_b32 s0, vcc_lo
	s_cbranch_execnz .LBB52_250
.LBB52_145:
	s_or_b32 exec_lo, exec_lo, s0
	s_and_saveexec_b32 s0, vcc_lo
	s_cbranch_execnz .LBB52_251
.LBB52_146:
	s_or_b32 exec_lo, exec_lo, s0
	s_and_saveexec_b32 s0, vcc_lo
	s_cbranch_execnz .LBB52_252
.LBB52_147:
	s_or_b32 exec_lo, exec_lo, s0
	s_and_saveexec_b32 s0, vcc_lo
	s_cbranch_execnz .LBB52_253
.LBB52_148:
	s_or_b32 exec_lo, exec_lo, s0
	s_and_saveexec_b32 s0, vcc_lo
	s_cbranch_execnz .LBB52_254
.LBB52_149:
	s_or_b32 exec_lo, exec_lo, s0
	s_and_saveexec_b32 s0, vcc_lo
	s_cbranch_execnz .LBB52_255
.LBB52_150:
	s_or_b32 exec_lo, exec_lo, s0
	s_and_saveexec_b32 s0, vcc_lo
	s_cbranch_execnz .LBB52_256
.LBB52_151:
	s_or_b32 exec_lo, exec_lo, s0
	s_and_saveexec_b32 s0, vcc_lo
	s_cbranch_execnz .LBB52_257
.LBB52_152:
	s_or_b32 exec_lo, exec_lo, s0
	s_and_saveexec_b32 s0, vcc_lo
	s_cbranch_execnz .LBB52_258
.LBB52_153:
	s_or_b32 exec_lo, exec_lo, s0
	s_and_saveexec_b32 s0, vcc_lo
	s_cbranch_execnz .LBB52_259
.LBB52_154:
	s_or_b32 exec_lo, exec_lo, s0
	s_and_saveexec_b32 s0, vcc_lo
	s_cbranch_execnz .LBB52_260
.LBB52_155:
	s_or_b32 exec_lo, exec_lo, s0
	s_and_saveexec_b32 s0, vcc_lo
	s_cbranch_execnz .LBB52_261
.LBB52_156:
	s_or_b32 exec_lo, exec_lo, s0
	s_and_saveexec_b32 s0, vcc_lo
	s_cbranch_execnz .LBB52_262
.LBB52_157:
	s_or_b32 exec_lo, exec_lo, s0
	s_and_saveexec_b32 s0, vcc_lo
	s_cbranch_execnz .LBB52_263
.LBB52_158:
	s_or_b32 exec_lo, exec_lo, s0
	s_and_saveexec_b32 s0, vcc_lo
	s_cbranch_execnz .LBB52_264
.LBB52_159:
	s_or_b32 exec_lo, exec_lo, s0
	s_and_saveexec_b32 s0, vcc_lo
	s_cbranch_execnz .LBB52_265
.LBB52_160:
	s_or_b32 exec_lo, exec_lo, s0
	s_and_saveexec_b32 s0, vcc_lo
	s_cbranch_execnz .LBB52_266
.LBB52_161:
	s_or_b32 exec_lo, exec_lo, s0
	s_and_saveexec_b32 s0, vcc_lo
	s_cbranch_execnz .LBB52_267
.LBB52_162:
	s_or_b32 exec_lo, exec_lo, s0
	s_and_saveexec_b32 s0, vcc_lo
	s_cbranch_execnz .LBB52_268
.LBB52_163:
	s_or_b32 exec_lo, exec_lo, s0
	s_and_saveexec_b32 s0, vcc_lo
	s_cbranch_execnz .LBB52_269
.LBB52_164:
	s_or_b32 exec_lo, exec_lo, s0
	s_and_saveexec_b32 s0, vcc_lo
	s_cbranch_execnz .LBB52_270
.LBB52_165:
	s_or_b32 exec_lo, exec_lo, s0
	s_and_saveexec_b32 s0, vcc_lo
	s_cbranch_execnz .LBB52_271
.LBB52_166:
	s_or_b32 exec_lo, exec_lo, s0
	s_and_saveexec_b32 s0, vcc_lo
	s_cbranch_execnz .LBB52_272
.LBB52_167:
	s_or_b32 exec_lo, exec_lo, s0
	s_and_saveexec_b32 s0, vcc_lo
	s_cbranch_execnz .LBB52_273
.LBB52_168:
	s_or_b32 exec_lo, exec_lo, s0
	s_and_saveexec_b32 s0, vcc_lo
	s_cbranch_execnz .LBB52_274
.LBB52_169:
	s_or_b32 exec_lo, exec_lo, s0
	s_and_saveexec_b32 s0, vcc_lo
	s_cbranch_execnz .LBB52_275
.LBB52_170:
	s_or_b32 exec_lo, exec_lo, s0
	s_and_saveexec_b32 s0, vcc_lo
	s_cbranch_execnz .LBB52_276
.LBB52_171:
	s_or_b32 exec_lo, exec_lo, s0
	s_and_saveexec_b32 s0, vcc_lo
	s_cbranch_execnz .LBB52_277
.LBB52_172:
	s_or_b32 exec_lo, exec_lo, s0
	s_and_saveexec_b32 s0, vcc_lo
	s_cbranch_execnz .LBB52_278
.LBB52_173:
	s_or_b32 exec_lo, exec_lo, s0
	s_and_saveexec_b32 s0, vcc_lo
	s_cbranch_execnz .LBB52_279
.LBB52_174:
	s_or_b32 exec_lo, exec_lo, s0
	s_and_saveexec_b32 s0, vcc_lo
	s_cbranch_execnz .LBB52_280
.LBB52_175:
	s_or_b32 exec_lo, exec_lo, s0
	s_and_saveexec_b32 s0, vcc_lo
	s_cbranch_execnz .LBB52_281
.LBB52_176:
	s_or_b32 exec_lo, exec_lo, s0
	s_and_saveexec_b32 s0, vcc_lo
	s_cbranch_execnz .LBB52_282
.LBB52_177:
	s_or_b32 exec_lo, exec_lo, s0
	s_and_saveexec_b32 s0, vcc_lo
	s_cbranch_execnz .LBB52_283
.LBB52_178:
	s_or_b32 exec_lo, exec_lo, s0
	s_and_saveexec_b32 s0, vcc_lo
	s_cbranch_execnz .LBB52_284
.LBB52_179:
	s_or_b32 exec_lo, exec_lo, s0
	s_and_saveexec_b32 s0, vcc_lo
	s_cbranch_execnz .LBB52_285
.LBB52_180:
	s_or_b32 exec_lo, exec_lo, s0
	s_and_saveexec_b32 s0, vcc_lo
	s_cbranch_execnz .LBB52_286
.LBB52_181:
	s_or_b32 exec_lo, exec_lo, s0
	s_and_saveexec_b32 s0, vcc_lo
	s_cbranch_execnz .LBB52_287
.LBB52_182:
	s_or_b32 exec_lo, exec_lo, s0
	s_and_saveexec_b32 s0, vcc_lo
	s_cbranch_execnz .LBB52_288
.LBB52_183:
	s_or_b32 exec_lo, exec_lo, s0
	s_and_saveexec_b32 s0, vcc_lo
	s_cbranch_execnz .LBB52_289
.LBB52_184:
	s_or_b32 exec_lo, exec_lo, s0
	s_and_saveexec_b32 s0, vcc_lo
	s_cbranch_execnz .LBB52_290
.LBB52_185:
	s_or_b32 exec_lo, exec_lo, s0
	s_and_saveexec_b32 s0, vcc_lo
	s_cbranch_execnz .LBB52_291
.LBB52_186:
	s_or_b32 exec_lo, exec_lo, s0
	s_and_saveexec_b32 s0, vcc_lo
	s_cbranch_execnz .LBB52_292
.LBB52_187:
	s_or_b32 exec_lo, exec_lo, s0
	s_and_saveexec_b32 s0, vcc_lo
	s_cbranch_execz .LBB52_189
.LBB52_188:
	ds_read_b32 v50, v48 offset:752
	s_waitcnt lgkmcnt(0)
	v_add_f32_e32 v47, v47, v50
.LBB52_189:
	s_or_b32 exec_lo, exec_lo, s0
.LBB52_190:
	s_or_b32 exec_lo, exec_lo, s1
	buffer_load_dword v50, off, s[48:51], 0 offset:564 ; 4-byte Folded Reload
	s_mov_b32 s1, exec_lo
	s_waitcnt vmcnt(0)
	s_barrier
	buffer_gl0_inv
	v_and_b32_e32 v50, 0x3e7, v50
	v_cmpx_eq_u32_e32 32, v50
	s_cbranch_execz .LBB52_192
; %bb.191:
	ds_write2_b32 v49, v1, v2 offset1:4
	ds_write2_b32 v49, v3, v4 offset0:8 offset1:12
	ds_write2_b32 v49, v5, v6 offset0:16 offset1:20
	ds_write2_b32 v49, v7, v8 offset0:24 offset1:28
	ds_write2_b32 v49, v9, v10 offset0:32 offset1:36
	ds_write2_b32 v49, v11, v12 offset0:40 offset1:44
	ds_write2_b32 v49, v13, v14 offset0:48 offset1:52
	ds_write2_b32 v49, v15, v16 offset0:56 offset1:60
	ds_write2_b32 v49, v17, v18 offset0:64 offset1:68
	ds_write2_b32 v49, v19, v20 offset0:72 offset1:76
	ds_write2_b32 v49, v21, v22 offset0:80 offset1:84
	ds_write2_b32 v49, v23, v24 offset0:88 offset1:92
	ds_write2_b32 v49, v25, v26 offset0:96 offset1:100
	ds_write2_b32 v49, v27, v28 offset0:104 offset1:108
	ds_write2_b32 v49, v29, v30 offset0:112 offset1:116
	ds_write2_b32 v49, v31, v0 offset0:120 offset1:124
	ds_write2_b32 v49, v32, v33 offset0:128 offset1:132
	ds_write2_b32 v49, v34, v35 offset0:136 offset1:140
	ds_write2_b32 v49, v36, v37 offset0:144 offset1:148
	ds_write2_b32 v49, v38, v39 offset0:152 offset1:156
	ds_write2_b32 v49, v40, v41 offset0:160 offset1:164
	ds_write2_b32 v49, v42, v43 offset0:168 offset1:172
	ds_write2_b32 v49, v44, v45 offset0:176 offset1:180
	ds_write2_b32 v49, v46, v47 offset0:184 offset1:188
.LBB52_192:
	s_or_b32 exec_lo, exec_lo, s1
	buffer_load_dword v49, off, s[48:51], 0 offset:564 ; 4-byte Folded Reload
	s_mov_b32 s1, exec_lo
	s_waitcnt vmcnt(0) lgkmcnt(0)
	s_barrier
	buffer_gl0_inv
	v_cmpx_gt_u32_e32 32, v49
	s_cbranch_execz .LBB52_243
; %bb.193:
	s_and_saveexec_b32 s0, vcc_lo
	s_cbranch_execnz .LBB52_293
; %bb.194:
	s_or_b32 exec_lo, exec_lo, s0
	s_and_saveexec_b32 s0, vcc_lo
	s_cbranch_execnz .LBB52_294
.LBB52_195:
	s_or_b32 exec_lo, exec_lo, s0
	s_and_saveexec_b32 s0, vcc_lo
	s_cbranch_execnz .LBB52_295
.LBB52_196:
	s_or_b32 exec_lo, exec_lo, s0
	s_and_saveexec_b32 s0, vcc_lo
	s_cbranch_execnz .LBB52_296
.LBB52_197:
	s_or_b32 exec_lo, exec_lo, s0
	s_and_saveexec_b32 s0, vcc_lo
	s_cbranch_execnz .LBB52_297
.LBB52_198:
	s_or_b32 exec_lo, exec_lo, s0
	s_and_saveexec_b32 s0, vcc_lo
	s_cbranch_execnz .LBB52_298
.LBB52_199:
	s_or_b32 exec_lo, exec_lo, s0
	s_and_saveexec_b32 s0, vcc_lo
	s_cbranch_execnz .LBB52_299
.LBB52_200:
	s_or_b32 exec_lo, exec_lo, s0
	s_and_saveexec_b32 s0, vcc_lo
	s_cbranch_execnz .LBB52_300
.LBB52_201:
	s_or_b32 exec_lo, exec_lo, s0
	s_and_saveexec_b32 s0, vcc_lo
	s_cbranch_execnz .LBB52_301
.LBB52_202:
	s_or_b32 exec_lo, exec_lo, s0
	s_and_saveexec_b32 s0, vcc_lo
	s_cbranch_execnz .LBB52_302
.LBB52_203:
	s_or_b32 exec_lo, exec_lo, s0
	s_and_saveexec_b32 s0, vcc_lo
	s_cbranch_execnz .LBB52_303
.LBB52_204:
	s_or_b32 exec_lo, exec_lo, s0
	s_and_saveexec_b32 s0, vcc_lo
	s_cbranch_execnz .LBB52_304
.LBB52_205:
	s_or_b32 exec_lo, exec_lo, s0
	s_and_saveexec_b32 s0, vcc_lo
	s_cbranch_execnz .LBB52_305
.LBB52_206:
	s_or_b32 exec_lo, exec_lo, s0
	s_and_saveexec_b32 s0, vcc_lo
	s_cbranch_execnz .LBB52_306
.LBB52_207:
	s_or_b32 exec_lo, exec_lo, s0
	s_and_saveexec_b32 s0, vcc_lo
	s_cbranch_execnz .LBB52_307
.LBB52_208:
	s_or_b32 exec_lo, exec_lo, s0
	s_and_saveexec_b32 s0, vcc_lo
	s_cbranch_execnz .LBB52_308
.LBB52_209:
	s_or_b32 exec_lo, exec_lo, s0
	s_and_saveexec_b32 s0, vcc_lo
	s_cbranch_execnz .LBB52_309
.LBB52_210:
	s_or_b32 exec_lo, exec_lo, s0
	s_and_saveexec_b32 s0, vcc_lo
	s_cbranch_execnz .LBB52_310
.LBB52_211:
	s_or_b32 exec_lo, exec_lo, s0
	s_and_saveexec_b32 s0, vcc_lo
	s_cbranch_execnz .LBB52_311
.LBB52_212:
	s_or_b32 exec_lo, exec_lo, s0
	s_and_saveexec_b32 s0, vcc_lo
	s_cbranch_execnz .LBB52_312
.LBB52_213:
	s_or_b32 exec_lo, exec_lo, s0
	s_and_saveexec_b32 s0, vcc_lo
	s_cbranch_execnz .LBB52_313
.LBB52_214:
	s_or_b32 exec_lo, exec_lo, s0
	s_and_saveexec_b32 s0, vcc_lo
	s_cbranch_execnz .LBB52_314
.LBB52_215:
	s_or_b32 exec_lo, exec_lo, s0
	s_and_saveexec_b32 s0, vcc_lo
	s_cbranch_execnz .LBB52_315
.LBB52_216:
	s_or_b32 exec_lo, exec_lo, s0
	s_and_saveexec_b32 s0, vcc_lo
	s_cbranch_execnz .LBB52_316
.LBB52_217:
	s_or_b32 exec_lo, exec_lo, s0
	s_and_saveexec_b32 s0, vcc_lo
	s_cbranch_execnz .LBB52_317
.LBB52_218:
	s_or_b32 exec_lo, exec_lo, s0
	s_and_saveexec_b32 s0, vcc_lo
	s_cbranch_execnz .LBB52_318
.LBB52_219:
	s_or_b32 exec_lo, exec_lo, s0
	s_and_saveexec_b32 s0, vcc_lo
	s_cbranch_execnz .LBB52_319
.LBB52_220:
	s_or_b32 exec_lo, exec_lo, s0
	s_and_saveexec_b32 s0, vcc_lo
	s_cbranch_execnz .LBB52_320
.LBB52_221:
	s_or_b32 exec_lo, exec_lo, s0
	s_and_saveexec_b32 s0, vcc_lo
	s_cbranch_execnz .LBB52_321
.LBB52_222:
	s_or_b32 exec_lo, exec_lo, s0
	s_and_saveexec_b32 s0, vcc_lo
	s_cbranch_execnz .LBB52_322
.LBB52_223:
	s_or_b32 exec_lo, exec_lo, s0
	s_and_saveexec_b32 s0, vcc_lo
	s_cbranch_execnz .LBB52_323
.LBB52_224:
	s_or_b32 exec_lo, exec_lo, s0
	s_and_saveexec_b32 s0, vcc_lo
	s_cbranch_execnz .LBB52_324
.LBB52_225:
	s_or_b32 exec_lo, exec_lo, s0
	s_and_saveexec_b32 s0, vcc_lo
	s_cbranch_execnz .LBB52_325
.LBB52_226:
	s_or_b32 exec_lo, exec_lo, s0
	s_and_saveexec_b32 s0, vcc_lo
	s_cbranch_execnz .LBB52_326
.LBB52_227:
	s_or_b32 exec_lo, exec_lo, s0
	s_and_saveexec_b32 s0, vcc_lo
	s_cbranch_execnz .LBB52_327
.LBB52_228:
	s_or_b32 exec_lo, exec_lo, s0
	s_and_saveexec_b32 s0, vcc_lo
	s_cbranch_execnz .LBB52_328
.LBB52_229:
	s_or_b32 exec_lo, exec_lo, s0
	s_and_saveexec_b32 s0, vcc_lo
	s_cbranch_execnz .LBB52_329
.LBB52_230:
	s_or_b32 exec_lo, exec_lo, s0
	s_and_saveexec_b32 s0, vcc_lo
	s_cbranch_execnz .LBB52_330
.LBB52_231:
	s_or_b32 exec_lo, exec_lo, s0
	s_and_saveexec_b32 s0, vcc_lo
	s_cbranch_execnz .LBB52_331
.LBB52_232:
	s_or_b32 exec_lo, exec_lo, s0
	s_and_saveexec_b32 s0, vcc_lo
	s_cbranch_execnz .LBB52_332
.LBB52_233:
	s_or_b32 exec_lo, exec_lo, s0
	s_and_saveexec_b32 s0, vcc_lo
	s_cbranch_execnz .LBB52_333
.LBB52_234:
	s_or_b32 exec_lo, exec_lo, s0
	s_and_saveexec_b32 s0, vcc_lo
	s_cbranch_execnz .LBB52_334
.LBB52_235:
	s_or_b32 exec_lo, exec_lo, s0
	s_and_saveexec_b32 s0, vcc_lo
	s_cbranch_execnz .LBB52_335
.LBB52_236:
	s_or_b32 exec_lo, exec_lo, s0
	s_and_saveexec_b32 s0, vcc_lo
	s_cbranch_execnz .LBB52_336
.LBB52_237:
	s_or_b32 exec_lo, exec_lo, s0
	s_and_saveexec_b32 s0, vcc_lo
	s_cbranch_execnz .LBB52_337
.LBB52_238:
	s_or_b32 exec_lo, exec_lo, s0
	s_and_saveexec_b32 s0, vcc_lo
	s_cbranch_execnz .LBB52_338
.LBB52_239:
	s_or_b32 exec_lo, exec_lo, s0
	s_and_saveexec_b32 s0, vcc_lo
	s_cbranch_execnz .LBB52_339
.LBB52_240:
	s_or_b32 exec_lo, exec_lo, s0
	s_and_saveexec_b32 s0, vcc_lo
	s_cbranch_execz .LBB52_242
.LBB52_241:
	ds_read_b32 v48, v48 offset:752
	s_waitcnt lgkmcnt(0)
	v_add_f32_e32 v47, v47, v48
.LBB52_242:
	s_or_b32 exec_lo, exec_lo, s0
.LBB52_243:
	s_or_b32 exec_lo, exec_lo, s1
	s_barrier
	buffer_gl0_inv
	s_mov_b32 s0, exec_lo
	v_cmpx_eq_u32_e32 0, v50
	s_cbranch_execz .LBB52_245
; %bb.244:
	buffer_load_dword v48, off, s[48:51], 0 offset:564 ; 4-byte Folded Reload
	s_mul_i32 s0, s2, 0xc0
	s_mul_i32 s2, s7, s10
	s_ashr_i32 s1, s0, 31
	s_lshl_b64 s[0:1], s[0:1], 2
	s_add_u32 s4, s24, s0
	s_addc_u32 s5, s25, s1
	s_ashr_i32 s3, s2, 31
	s_lshl_b64 s[0:1], s[2:3], 2
	s_mul_i32 s2, s8, 0xc0
	s_add_u32 s4, s4, s0
	s_addc_u32 s5, s5, s1
	s_ashr_i32 s3, s2, 31
	s_lshl_b64 s[0:1], s[2:3], 2
	s_add_u32 s0, s4, s0
	s_addc_u32 s1, s5, s1
	s_waitcnt vmcnt(0)
	v_lshrrev_b32_e32 v48, 1, v48
	global_store_dword v48, v1, s[0:1]
	global_store_dword v48, v2, s[0:1] offset:16
	global_store_dword v48, v3, s[0:1] offset:32
	;; [unrolled: 1-line block ×47, first 2 shown]
.LBB52_245:
	s_endpgm
.LBB52_246:
	ds_read_b32 v50, v48
	s_waitcnt lgkmcnt(0)
	v_add_f32_e32 v1, v1, v50
	s_or_b32 exec_lo, exec_lo, s0
	s_and_saveexec_b32 s0, vcc_lo
	s_cbranch_execz .LBB52_142
.LBB52_247:
	ds_read_b32 v50, v48 offset:16
	s_waitcnt lgkmcnt(0)
	v_add_f32_e32 v2, v2, v50
	s_or_b32 exec_lo, exec_lo, s0
	s_and_saveexec_b32 s0, vcc_lo
	s_cbranch_execz .LBB52_143
.LBB52_248:
	ds_read_b32 v50, v48 offset:32
	s_waitcnt lgkmcnt(0)
	v_add_f32_e32 v3, v3, v50
	s_or_b32 exec_lo, exec_lo, s0
	s_and_saveexec_b32 s0, vcc_lo
	s_cbranch_execz .LBB52_144
.LBB52_249:
	ds_read_b32 v50, v48 offset:48
	s_waitcnt lgkmcnt(0)
	v_add_f32_e32 v4, v4, v50
	s_or_b32 exec_lo, exec_lo, s0
	s_and_saveexec_b32 s0, vcc_lo
	s_cbranch_execz .LBB52_145
.LBB52_250:
	ds_read_b32 v50, v48 offset:64
	s_waitcnt lgkmcnt(0)
	v_add_f32_e32 v5, v5, v50
	s_or_b32 exec_lo, exec_lo, s0
	s_and_saveexec_b32 s0, vcc_lo
	s_cbranch_execz .LBB52_146
.LBB52_251:
	ds_read_b32 v50, v48 offset:80
	s_waitcnt lgkmcnt(0)
	v_add_f32_e32 v6, v6, v50
	s_or_b32 exec_lo, exec_lo, s0
	s_and_saveexec_b32 s0, vcc_lo
	s_cbranch_execz .LBB52_147
.LBB52_252:
	ds_read_b32 v50, v48 offset:96
	s_waitcnt lgkmcnt(0)
	v_add_f32_e32 v7, v7, v50
	s_or_b32 exec_lo, exec_lo, s0
	s_and_saveexec_b32 s0, vcc_lo
	s_cbranch_execz .LBB52_148
.LBB52_253:
	ds_read_b32 v50, v48 offset:112
	s_waitcnt lgkmcnt(0)
	v_add_f32_e32 v8, v8, v50
	s_or_b32 exec_lo, exec_lo, s0
	s_and_saveexec_b32 s0, vcc_lo
	s_cbranch_execz .LBB52_149
.LBB52_254:
	ds_read_b32 v50, v48 offset:128
	s_waitcnt lgkmcnt(0)
	v_add_f32_e32 v9, v9, v50
	s_or_b32 exec_lo, exec_lo, s0
	s_and_saveexec_b32 s0, vcc_lo
	s_cbranch_execz .LBB52_150
.LBB52_255:
	ds_read_b32 v50, v48 offset:144
	s_waitcnt lgkmcnt(0)
	v_add_f32_e32 v10, v10, v50
	s_or_b32 exec_lo, exec_lo, s0
	s_and_saveexec_b32 s0, vcc_lo
	s_cbranch_execz .LBB52_151
.LBB52_256:
	ds_read_b32 v50, v48 offset:160
	s_waitcnt lgkmcnt(0)
	v_add_f32_e32 v11, v11, v50
	s_or_b32 exec_lo, exec_lo, s0
	s_and_saveexec_b32 s0, vcc_lo
	s_cbranch_execz .LBB52_152
.LBB52_257:
	ds_read_b32 v50, v48 offset:176
	s_waitcnt lgkmcnt(0)
	v_add_f32_e32 v12, v12, v50
	s_or_b32 exec_lo, exec_lo, s0
	s_and_saveexec_b32 s0, vcc_lo
	s_cbranch_execz .LBB52_153
.LBB52_258:
	ds_read_b32 v50, v48 offset:192
	s_waitcnt lgkmcnt(0)
	v_add_f32_e32 v13, v13, v50
	s_or_b32 exec_lo, exec_lo, s0
	s_and_saveexec_b32 s0, vcc_lo
	s_cbranch_execz .LBB52_154
.LBB52_259:
	ds_read_b32 v50, v48 offset:208
	s_waitcnt lgkmcnt(0)
	v_add_f32_e32 v14, v14, v50
	s_or_b32 exec_lo, exec_lo, s0
	s_and_saveexec_b32 s0, vcc_lo
	s_cbranch_execz .LBB52_155
.LBB52_260:
	ds_read_b32 v50, v48 offset:224
	s_waitcnt lgkmcnt(0)
	v_add_f32_e32 v15, v15, v50
	s_or_b32 exec_lo, exec_lo, s0
	s_and_saveexec_b32 s0, vcc_lo
	s_cbranch_execz .LBB52_156
.LBB52_261:
	ds_read_b32 v50, v48 offset:240
	s_waitcnt lgkmcnt(0)
	v_add_f32_e32 v16, v16, v50
	s_or_b32 exec_lo, exec_lo, s0
	s_and_saveexec_b32 s0, vcc_lo
	s_cbranch_execz .LBB52_157
.LBB52_262:
	ds_read_b32 v50, v48 offset:256
	s_waitcnt lgkmcnt(0)
	v_add_f32_e32 v17, v17, v50
	s_or_b32 exec_lo, exec_lo, s0
	s_and_saveexec_b32 s0, vcc_lo
	s_cbranch_execz .LBB52_158
.LBB52_263:
	ds_read_b32 v50, v48 offset:272
	s_waitcnt lgkmcnt(0)
	v_add_f32_e32 v18, v18, v50
	s_or_b32 exec_lo, exec_lo, s0
	s_and_saveexec_b32 s0, vcc_lo
	s_cbranch_execz .LBB52_159
.LBB52_264:
	ds_read_b32 v50, v48 offset:288
	s_waitcnt lgkmcnt(0)
	v_add_f32_e32 v19, v19, v50
	s_or_b32 exec_lo, exec_lo, s0
	s_and_saveexec_b32 s0, vcc_lo
	s_cbranch_execz .LBB52_160
.LBB52_265:
	ds_read_b32 v50, v48 offset:304
	s_waitcnt lgkmcnt(0)
	v_add_f32_e32 v20, v20, v50
	s_or_b32 exec_lo, exec_lo, s0
	s_and_saveexec_b32 s0, vcc_lo
	s_cbranch_execz .LBB52_161
.LBB52_266:
	ds_read_b32 v50, v48 offset:320
	s_waitcnt lgkmcnt(0)
	v_add_f32_e32 v21, v21, v50
	s_or_b32 exec_lo, exec_lo, s0
	s_and_saveexec_b32 s0, vcc_lo
	s_cbranch_execz .LBB52_162
.LBB52_267:
	ds_read_b32 v50, v48 offset:336
	s_waitcnt lgkmcnt(0)
	v_add_f32_e32 v22, v22, v50
	s_or_b32 exec_lo, exec_lo, s0
	s_and_saveexec_b32 s0, vcc_lo
	s_cbranch_execz .LBB52_163
.LBB52_268:
	ds_read_b32 v50, v48 offset:352
	s_waitcnt lgkmcnt(0)
	v_add_f32_e32 v23, v23, v50
	s_or_b32 exec_lo, exec_lo, s0
	s_and_saveexec_b32 s0, vcc_lo
	s_cbranch_execz .LBB52_164
.LBB52_269:
	ds_read_b32 v50, v48 offset:368
	s_waitcnt lgkmcnt(0)
	v_add_f32_e32 v24, v24, v50
	s_or_b32 exec_lo, exec_lo, s0
	s_and_saveexec_b32 s0, vcc_lo
	s_cbranch_execz .LBB52_165
.LBB52_270:
	ds_read_b32 v50, v48 offset:384
	s_waitcnt lgkmcnt(0)
	v_add_f32_e32 v25, v25, v50
	s_or_b32 exec_lo, exec_lo, s0
	s_and_saveexec_b32 s0, vcc_lo
	s_cbranch_execz .LBB52_166
.LBB52_271:
	ds_read_b32 v50, v48 offset:400
	s_waitcnt lgkmcnt(0)
	v_add_f32_e32 v26, v26, v50
	s_or_b32 exec_lo, exec_lo, s0
	s_and_saveexec_b32 s0, vcc_lo
	s_cbranch_execz .LBB52_167
.LBB52_272:
	ds_read_b32 v50, v48 offset:416
	s_waitcnt lgkmcnt(0)
	v_add_f32_e32 v27, v27, v50
	s_or_b32 exec_lo, exec_lo, s0
	s_and_saveexec_b32 s0, vcc_lo
	s_cbranch_execz .LBB52_168
.LBB52_273:
	ds_read_b32 v50, v48 offset:432
	s_waitcnt lgkmcnt(0)
	v_add_f32_e32 v28, v28, v50
	s_or_b32 exec_lo, exec_lo, s0
	s_and_saveexec_b32 s0, vcc_lo
	s_cbranch_execz .LBB52_169
.LBB52_274:
	ds_read_b32 v50, v48 offset:448
	s_waitcnt lgkmcnt(0)
	v_add_f32_e32 v29, v29, v50
	s_or_b32 exec_lo, exec_lo, s0
	s_and_saveexec_b32 s0, vcc_lo
	s_cbranch_execz .LBB52_170
.LBB52_275:
	ds_read_b32 v50, v48 offset:464
	s_waitcnt lgkmcnt(0)
	v_add_f32_e32 v30, v30, v50
	s_or_b32 exec_lo, exec_lo, s0
	s_and_saveexec_b32 s0, vcc_lo
	s_cbranch_execz .LBB52_171
.LBB52_276:
	ds_read_b32 v50, v48 offset:480
	s_waitcnt lgkmcnt(0)
	v_add_f32_e32 v31, v31, v50
	s_or_b32 exec_lo, exec_lo, s0
	s_and_saveexec_b32 s0, vcc_lo
	s_cbranch_execz .LBB52_172
.LBB52_277:
	ds_read_b32 v50, v48 offset:496
	s_waitcnt lgkmcnt(0)
	v_add_f32_e32 v0, v0, v50
	s_or_b32 exec_lo, exec_lo, s0
	s_and_saveexec_b32 s0, vcc_lo
	s_cbranch_execz .LBB52_173
.LBB52_278:
	ds_read_b32 v50, v48 offset:512
	s_waitcnt lgkmcnt(0)
	v_add_f32_e32 v32, v32, v50
	s_or_b32 exec_lo, exec_lo, s0
	s_and_saveexec_b32 s0, vcc_lo
	s_cbranch_execz .LBB52_174
.LBB52_279:
	ds_read_b32 v50, v48 offset:528
	s_waitcnt lgkmcnt(0)
	v_add_f32_e32 v33, v33, v50
	s_or_b32 exec_lo, exec_lo, s0
	s_and_saveexec_b32 s0, vcc_lo
	s_cbranch_execz .LBB52_175
.LBB52_280:
	ds_read_b32 v50, v48 offset:544
	s_waitcnt lgkmcnt(0)
	v_add_f32_e32 v34, v34, v50
	s_or_b32 exec_lo, exec_lo, s0
	s_and_saveexec_b32 s0, vcc_lo
	s_cbranch_execz .LBB52_176
.LBB52_281:
	ds_read_b32 v50, v48 offset:560
	s_waitcnt lgkmcnt(0)
	v_add_f32_e32 v35, v35, v50
	s_or_b32 exec_lo, exec_lo, s0
	s_and_saveexec_b32 s0, vcc_lo
	s_cbranch_execz .LBB52_177
.LBB52_282:
	ds_read_b32 v50, v48 offset:576
	s_waitcnt lgkmcnt(0)
	v_add_f32_e32 v36, v36, v50
	s_or_b32 exec_lo, exec_lo, s0
	s_and_saveexec_b32 s0, vcc_lo
	s_cbranch_execz .LBB52_178
.LBB52_283:
	ds_read_b32 v50, v48 offset:592
	s_waitcnt lgkmcnt(0)
	v_add_f32_e32 v37, v37, v50
	s_or_b32 exec_lo, exec_lo, s0
	s_and_saveexec_b32 s0, vcc_lo
	s_cbranch_execz .LBB52_179
.LBB52_284:
	ds_read_b32 v50, v48 offset:608
	s_waitcnt lgkmcnt(0)
	v_add_f32_e32 v38, v38, v50
	s_or_b32 exec_lo, exec_lo, s0
	s_and_saveexec_b32 s0, vcc_lo
	s_cbranch_execz .LBB52_180
.LBB52_285:
	ds_read_b32 v50, v48 offset:624
	s_waitcnt lgkmcnt(0)
	v_add_f32_e32 v39, v39, v50
	s_or_b32 exec_lo, exec_lo, s0
	s_and_saveexec_b32 s0, vcc_lo
	s_cbranch_execz .LBB52_181
.LBB52_286:
	ds_read_b32 v50, v48 offset:640
	s_waitcnt lgkmcnt(0)
	v_add_f32_e32 v40, v40, v50
	s_or_b32 exec_lo, exec_lo, s0
	s_and_saveexec_b32 s0, vcc_lo
	s_cbranch_execz .LBB52_182
.LBB52_287:
	ds_read_b32 v50, v48 offset:656
	s_waitcnt lgkmcnt(0)
	v_add_f32_e32 v41, v41, v50
	s_or_b32 exec_lo, exec_lo, s0
	s_and_saveexec_b32 s0, vcc_lo
	s_cbranch_execz .LBB52_183
.LBB52_288:
	ds_read_b32 v50, v48 offset:672
	s_waitcnt lgkmcnt(0)
	v_add_f32_e32 v42, v42, v50
	s_or_b32 exec_lo, exec_lo, s0
	s_and_saveexec_b32 s0, vcc_lo
	s_cbranch_execz .LBB52_184
.LBB52_289:
	ds_read_b32 v50, v48 offset:688
	s_waitcnt lgkmcnt(0)
	v_add_f32_e32 v43, v43, v50
	s_or_b32 exec_lo, exec_lo, s0
	s_and_saveexec_b32 s0, vcc_lo
	s_cbranch_execz .LBB52_185
.LBB52_290:
	ds_read_b32 v50, v48 offset:704
	s_waitcnt lgkmcnt(0)
	v_add_f32_e32 v44, v44, v50
	s_or_b32 exec_lo, exec_lo, s0
	s_and_saveexec_b32 s0, vcc_lo
	s_cbranch_execz .LBB52_186
.LBB52_291:
	ds_read_b32 v50, v48 offset:720
	s_waitcnt lgkmcnt(0)
	v_add_f32_e32 v45, v45, v50
	s_or_b32 exec_lo, exec_lo, s0
	s_and_saveexec_b32 s0, vcc_lo
	s_cbranch_execz .LBB52_187
.LBB52_292:
	ds_read_b32 v50, v48 offset:736
	s_waitcnt lgkmcnt(0)
	v_add_f32_e32 v46, v46, v50
	s_or_b32 exec_lo, exec_lo, s0
	s_and_saveexec_b32 s0, vcc_lo
	s_cbranch_execnz .LBB52_188
	s_branch .LBB52_189
.LBB52_293:
	ds_read_b32 v49, v48
	s_waitcnt lgkmcnt(0)
	v_add_f32_e32 v1, v1, v49
	s_or_b32 exec_lo, exec_lo, s0
	s_and_saveexec_b32 s0, vcc_lo
	s_cbranch_execz .LBB52_195
.LBB52_294:
	ds_read_b32 v49, v48 offset:16
	s_waitcnt lgkmcnt(0)
	v_add_f32_e32 v2, v2, v49
	s_or_b32 exec_lo, exec_lo, s0
	s_and_saveexec_b32 s0, vcc_lo
	s_cbranch_execz .LBB52_196
.LBB52_295:
	ds_read_b32 v49, v48 offset:32
	s_waitcnt lgkmcnt(0)
	v_add_f32_e32 v3, v3, v49
	s_or_b32 exec_lo, exec_lo, s0
	s_and_saveexec_b32 s0, vcc_lo
	s_cbranch_execz .LBB52_197
.LBB52_296:
	ds_read_b32 v49, v48 offset:48
	s_waitcnt lgkmcnt(0)
	v_add_f32_e32 v4, v4, v49
	s_or_b32 exec_lo, exec_lo, s0
	s_and_saveexec_b32 s0, vcc_lo
	s_cbranch_execz .LBB52_198
.LBB52_297:
	ds_read_b32 v49, v48 offset:64
	s_waitcnt lgkmcnt(0)
	v_add_f32_e32 v5, v5, v49
	s_or_b32 exec_lo, exec_lo, s0
	s_and_saveexec_b32 s0, vcc_lo
	s_cbranch_execz .LBB52_199
.LBB52_298:
	ds_read_b32 v49, v48 offset:80
	s_waitcnt lgkmcnt(0)
	v_add_f32_e32 v6, v6, v49
	s_or_b32 exec_lo, exec_lo, s0
	s_and_saveexec_b32 s0, vcc_lo
	s_cbranch_execz .LBB52_200
.LBB52_299:
	ds_read_b32 v49, v48 offset:96
	s_waitcnt lgkmcnt(0)
	v_add_f32_e32 v7, v7, v49
	s_or_b32 exec_lo, exec_lo, s0
	s_and_saveexec_b32 s0, vcc_lo
	s_cbranch_execz .LBB52_201
.LBB52_300:
	ds_read_b32 v49, v48 offset:112
	s_waitcnt lgkmcnt(0)
	v_add_f32_e32 v8, v8, v49
	s_or_b32 exec_lo, exec_lo, s0
	s_and_saveexec_b32 s0, vcc_lo
	s_cbranch_execz .LBB52_202
.LBB52_301:
	ds_read_b32 v49, v48 offset:128
	s_waitcnt lgkmcnt(0)
	v_add_f32_e32 v9, v9, v49
	s_or_b32 exec_lo, exec_lo, s0
	s_and_saveexec_b32 s0, vcc_lo
	s_cbranch_execz .LBB52_203
.LBB52_302:
	ds_read_b32 v49, v48 offset:144
	s_waitcnt lgkmcnt(0)
	v_add_f32_e32 v10, v10, v49
	s_or_b32 exec_lo, exec_lo, s0
	s_and_saveexec_b32 s0, vcc_lo
	s_cbranch_execz .LBB52_204
.LBB52_303:
	ds_read_b32 v49, v48 offset:160
	s_waitcnt lgkmcnt(0)
	v_add_f32_e32 v11, v11, v49
	s_or_b32 exec_lo, exec_lo, s0
	s_and_saveexec_b32 s0, vcc_lo
	s_cbranch_execz .LBB52_205
.LBB52_304:
	ds_read_b32 v49, v48 offset:176
	s_waitcnt lgkmcnt(0)
	v_add_f32_e32 v12, v12, v49
	s_or_b32 exec_lo, exec_lo, s0
	s_and_saveexec_b32 s0, vcc_lo
	s_cbranch_execz .LBB52_206
.LBB52_305:
	ds_read_b32 v49, v48 offset:192
	s_waitcnt lgkmcnt(0)
	v_add_f32_e32 v13, v13, v49
	s_or_b32 exec_lo, exec_lo, s0
	s_and_saveexec_b32 s0, vcc_lo
	s_cbranch_execz .LBB52_207
.LBB52_306:
	ds_read_b32 v49, v48 offset:208
	s_waitcnt lgkmcnt(0)
	v_add_f32_e32 v14, v14, v49
	s_or_b32 exec_lo, exec_lo, s0
	s_and_saveexec_b32 s0, vcc_lo
	s_cbranch_execz .LBB52_208
.LBB52_307:
	ds_read_b32 v49, v48 offset:224
	s_waitcnt lgkmcnt(0)
	v_add_f32_e32 v15, v15, v49
	s_or_b32 exec_lo, exec_lo, s0
	s_and_saveexec_b32 s0, vcc_lo
	s_cbranch_execz .LBB52_209
.LBB52_308:
	ds_read_b32 v49, v48 offset:240
	s_waitcnt lgkmcnt(0)
	v_add_f32_e32 v16, v16, v49
	s_or_b32 exec_lo, exec_lo, s0
	s_and_saveexec_b32 s0, vcc_lo
	s_cbranch_execz .LBB52_210
.LBB52_309:
	ds_read_b32 v49, v48 offset:256
	s_waitcnt lgkmcnt(0)
	v_add_f32_e32 v17, v17, v49
	s_or_b32 exec_lo, exec_lo, s0
	s_and_saveexec_b32 s0, vcc_lo
	s_cbranch_execz .LBB52_211
.LBB52_310:
	ds_read_b32 v49, v48 offset:272
	s_waitcnt lgkmcnt(0)
	v_add_f32_e32 v18, v18, v49
	s_or_b32 exec_lo, exec_lo, s0
	s_and_saveexec_b32 s0, vcc_lo
	s_cbranch_execz .LBB52_212
.LBB52_311:
	ds_read_b32 v49, v48 offset:288
	s_waitcnt lgkmcnt(0)
	v_add_f32_e32 v19, v19, v49
	s_or_b32 exec_lo, exec_lo, s0
	s_and_saveexec_b32 s0, vcc_lo
	s_cbranch_execz .LBB52_213
.LBB52_312:
	ds_read_b32 v49, v48 offset:304
	s_waitcnt lgkmcnt(0)
	v_add_f32_e32 v20, v20, v49
	s_or_b32 exec_lo, exec_lo, s0
	s_and_saveexec_b32 s0, vcc_lo
	s_cbranch_execz .LBB52_214
.LBB52_313:
	ds_read_b32 v49, v48 offset:320
	s_waitcnt lgkmcnt(0)
	v_add_f32_e32 v21, v21, v49
	s_or_b32 exec_lo, exec_lo, s0
	s_and_saveexec_b32 s0, vcc_lo
	s_cbranch_execz .LBB52_215
.LBB52_314:
	ds_read_b32 v49, v48 offset:336
	s_waitcnt lgkmcnt(0)
	v_add_f32_e32 v22, v22, v49
	s_or_b32 exec_lo, exec_lo, s0
	s_and_saveexec_b32 s0, vcc_lo
	s_cbranch_execz .LBB52_216
.LBB52_315:
	ds_read_b32 v49, v48 offset:352
	s_waitcnt lgkmcnt(0)
	v_add_f32_e32 v23, v23, v49
	s_or_b32 exec_lo, exec_lo, s0
	s_and_saveexec_b32 s0, vcc_lo
	s_cbranch_execz .LBB52_217
.LBB52_316:
	ds_read_b32 v49, v48 offset:368
	s_waitcnt lgkmcnt(0)
	v_add_f32_e32 v24, v24, v49
	s_or_b32 exec_lo, exec_lo, s0
	s_and_saveexec_b32 s0, vcc_lo
	s_cbranch_execz .LBB52_218
.LBB52_317:
	ds_read_b32 v49, v48 offset:384
	s_waitcnt lgkmcnt(0)
	v_add_f32_e32 v25, v25, v49
	s_or_b32 exec_lo, exec_lo, s0
	s_and_saveexec_b32 s0, vcc_lo
	s_cbranch_execz .LBB52_219
.LBB52_318:
	ds_read_b32 v49, v48 offset:400
	s_waitcnt lgkmcnt(0)
	v_add_f32_e32 v26, v26, v49
	s_or_b32 exec_lo, exec_lo, s0
	s_and_saveexec_b32 s0, vcc_lo
	s_cbranch_execz .LBB52_220
.LBB52_319:
	ds_read_b32 v49, v48 offset:416
	s_waitcnt lgkmcnt(0)
	v_add_f32_e32 v27, v27, v49
	s_or_b32 exec_lo, exec_lo, s0
	s_and_saveexec_b32 s0, vcc_lo
	s_cbranch_execz .LBB52_221
.LBB52_320:
	ds_read_b32 v49, v48 offset:432
	s_waitcnt lgkmcnt(0)
	v_add_f32_e32 v28, v28, v49
	s_or_b32 exec_lo, exec_lo, s0
	s_and_saveexec_b32 s0, vcc_lo
	s_cbranch_execz .LBB52_222
.LBB52_321:
	ds_read_b32 v49, v48 offset:448
	s_waitcnt lgkmcnt(0)
	v_add_f32_e32 v29, v29, v49
	s_or_b32 exec_lo, exec_lo, s0
	s_and_saveexec_b32 s0, vcc_lo
	s_cbranch_execz .LBB52_223
.LBB52_322:
	ds_read_b32 v49, v48 offset:464
	s_waitcnt lgkmcnt(0)
	v_add_f32_e32 v30, v30, v49
	s_or_b32 exec_lo, exec_lo, s0
	s_and_saveexec_b32 s0, vcc_lo
	s_cbranch_execz .LBB52_224
.LBB52_323:
	ds_read_b32 v49, v48 offset:480
	s_waitcnt lgkmcnt(0)
	v_add_f32_e32 v31, v31, v49
	s_or_b32 exec_lo, exec_lo, s0
	s_and_saveexec_b32 s0, vcc_lo
	s_cbranch_execz .LBB52_225
.LBB52_324:
	ds_read_b32 v49, v48 offset:496
	s_waitcnt lgkmcnt(0)
	v_add_f32_e32 v0, v0, v49
	s_or_b32 exec_lo, exec_lo, s0
	s_and_saveexec_b32 s0, vcc_lo
	s_cbranch_execz .LBB52_226
.LBB52_325:
	ds_read_b32 v49, v48 offset:512
	s_waitcnt lgkmcnt(0)
	v_add_f32_e32 v32, v32, v49
	s_or_b32 exec_lo, exec_lo, s0
	s_and_saveexec_b32 s0, vcc_lo
	s_cbranch_execz .LBB52_227
.LBB52_326:
	ds_read_b32 v49, v48 offset:528
	s_waitcnt lgkmcnt(0)
	v_add_f32_e32 v33, v33, v49
	s_or_b32 exec_lo, exec_lo, s0
	s_and_saveexec_b32 s0, vcc_lo
	s_cbranch_execz .LBB52_228
.LBB52_327:
	ds_read_b32 v49, v48 offset:544
	s_waitcnt lgkmcnt(0)
	v_add_f32_e32 v34, v34, v49
	s_or_b32 exec_lo, exec_lo, s0
	s_and_saveexec_b32 s0, vcc_lo
	s_cbranch_execz .LBB52_229
.LBB52_328:
	ds_read_b32 v49, v48 offset:560
	s_waitcnt lgkmcnt(0)
	v_add_f32_e32 v35, v35, v49
	s_or_b32 exec_lo, exec_lo, s0
	s_and_saveexec_b32 s0, vcc_lo
	s_cbranch_execz .LBB52_230
.LBB52_329:
	ds_read_b32 v49, v48 offset:576
	s_waitcnt lgkmcnt(0)
	v_add_f32_e32 v36, v36, v49
	s_or_b32 exec_lo, exec_lo, s0
	s_and_saveexec_b32 s0, vcc_lo
	s_cbranch_execz .LBB52_231
.LBB52_330:
	ds_read_b32 v49, v48 offset:592
	s_waitcnt lgkmcnt(0)
	v_add_f32_e32 v37, v37, v49
	s_or_b32 exec_lo, exec_lo, s0
	s_and_saveexec_b32 s0, vcc_lo
	s_cbranch_execz .LBB52_232
.LBB52_331:
	ds_read_b32 v49, v48 offset:608
	s_waitcnt lgkmcnt(0)
	v_add_f32_e32 v38, v38, v49
	s_or_b32 exec_lo, exec_lo, s0
	s_and_saveexec_b32 s0, vcc_lo
	s_cbranch_execz .LBB52_233
.LBB52_332:
	ds_read_b32 v49, v48 offset:624
	s_waitcnt lgkmcnt(0)
	v_add_f32_e32 v39, v39, v49
	s_or_b32 exec_lo, exec_lo, s0
	s_and_saveexec_b32 s0, vcc_lo
	s_cbranch_execz .LBB52_234
.LBB52_333:
	ds_read_b32 v49, v48 offset:640
	s_waitcnt lgkmcnt(0)
	v_add_f32_e32 v40, v40, v49
	s_or_b32 exec_lo, exec_lo, s0
	s_and_saveexec_b32 s0, vcc_lo
	s_cbranch_execz .LBB52_235
.LBB52_334:
	ds_read_b32 v49, v48 offset:656
	s_waitcnt lgkmcnt(0)
	v_add_f32_e32 v41, v41, v49
	s_or_b32 exec_lo, exec_lo, s0
	s_and_saveexec_b32 s0, vcc_lo
	s_cbranch_execz .LBB52_236
.LBB52_335:
	ds_read_b32 v49, v48 offset:672
	s_waitcnt lgkmcnt(0)
	v_add_f32_e32 v42, v42, v49
	s_or_b32 exec_lo, exec_lo, s0
	s_and_saveexec_b32 s0, vcc_lo
	s_cbranch_execz .LBB52_237
.LBB52_336:
	ds_read_b32 v49, v48 offset:688
	s_waitcnt lgkmcnt(0)
	v_add_f32_e32 v43, v43, v49
	s_or_b32 exec_lo, exec_lo, s0
	s_and_saveexec_b32 s0, vcc_lo
	s_cbranch_execz .LBB52_238
.LBB52_337:
	ds_read_b32 v49, v48 offset:704
	s_waitcnt lgkmcnt(0)
	v_add_f32_e32 v44, v44, v49
	s_or_b32 exec_lo, exec_lo, s0
	s_and_saveexec_b32 s0, vcc_lo
	s_cbranch_execz .LBB52_239
.LBB52_338:
	ds_read_b32 v49, v48 offset:720
	s_waitcnt lgkmcnt(0)
	v_add_f32_e32 v45, v45, v49
	s_or_b32 exec_lo, exec_lo, s0
	s_and_saveexec_b32 s0, vcc_lo
	s_cbranch_execz .LBB52_240
.LBB52_339:
	ds_read_b32 v49, v48 offset:736
	s_waitcnt lgkmcnt(0)
	v_add_f32_e32 v46, v46, v49
	s_or_b32 exec_lo, exec_lo, s0
	s_and_saveexec_b32 s0, vcc_lo
	s_cbranch_execnz .LBB52_241
	s_branch .LBB52_242
	.section	.rodata,"a",@progbits
	.p2align	6, 0x0
	.amdhsa_kernel _ZN4vllm25paged_attention_v2_kernelIffLi192ELi32ELi128ELNS_18Fp8KVCacheDataTypeE0ELb1ELi512EEEvPfS2_PT_PKS3_PKT0_S9_ifPKiSB_iPKfiiiSD_SD_iiiii
		.amdhsa_group_segment_fixed_size 800
		.amdhsa_private_segment_fixed_size 604
		.amdhsa_kernarg_size 400
		.amdhsa_user_sgpr_count 6
		.amdhsa_user_sgpr_private_segment_buffer 1
		.amdhsa_user_sgpr_dispatch_ptr 0
		.amdhsa_user_sgpr_queue_ptr 0
		.amdhsa_user_sgpr_kernarg_segment_ptr 1
		.amdhsa_user_sgpr_dispatch_id 0
		.amdhsa_user_sgpr_flat_scratch_init 0
		.amdhsa_user_sgpr_private_segment_size 0
		.amdhsa_wavefront_size32 1
		.amdhsa_uses_dynamic_stack 0
		.amdhsa_system_sgpr_private_segment_wavefront_offset 1
		.amdhsa_system_sgpr_workgroup_id_x 1
		.amdhsa_system_sgpr_workgroup_id_y 1
		.amdhsa_system_sgpr_workgroup_id_z 1
		.amdhsa_system_sgpr_workgroup_info 0
		.amdhsa_system_vgpr_workitem_id 0
		.amdhsa_next_free_vgpr 128
		.amdhsa_next_free_sgpr 52
		.amdhsa_reserve_vcc 1
		.amdhsa_reserve_flat_scratch 0
		.amdhsa_float_round_mode_32 0
		.amdhsa_float_round_mode_16_64 0
		.amdhsa_float_denorm_mode_32 3
		.amdhsa_float_denorm_mode_16_64 3
		.amdhsa_dx10_clamp 1
		.amdhsa_ieee_mode 1
		.amdhsa_fp16_overflow 0
		.amdhsa_workgroup_processor_mode 1
		.amdhsa_memory_ordered 1
		.amdhsa_forward_progress 1
		.amdhsa_shared_vgpr_count 0
		.amdhsa_exception_fp_ieee_invalid_op 0
		.amdhsa_exception_fp_denorm_src 0
		.amdhsa_exception_fp_ieee_div_zero 0
		.amdhsa_exception_fp_ieee_overflow 0
		.amdhsa_exception_fp_ieee_underflow 0
		.amdhsa_exception_fp_ieee_inexact 0
		.amdhsa_exception_int_div_zero 0
	.end_amdhsa_kernel
	.section	.text._ZN4vllm25paged_attention_v2_kernelIffLi192ELi32ELi128ELNS_18Fp8KVCacheDataTypeE0ELb1ELi512EEEvPfS2_PT_PKS3_PKT0_S9_ifPKiSB_iPKfiiiSD_SD_iiiii,"axG",@progbits,_ZN4vllm25paged_attention_v2_kernelIffLi192ELi32ELi128ELNS_18Fp8KVCacheDataTypeE0ELb1ELi512EEEvPfS2_PT_PKS3_PKT0_S9_ifPKiSB_iPKfiiiSD_SD_iiiii,comdat
.Lfunc_end52:
	.size	_ZN4vllm25paged_attention_v2_kernelIffLi192ELi32ELi128ELNS_18Fp8KVCacheDataTypeE0ELb1ELi512EEEvPfS2_PT_PKS3_PKT0_S9_ifPKiSB_iPKfiiiSD_SD_iiiii, .Lfunc_end52-_ZN4vllm25paged_attention_v2_kernelIffLi192ELi32ELi128ELNS_18Fp8KVCacheDataTypeE0ELb1ELi512EEEvPfS2_PT_PKS3_PKT0_S9_ifPKiSB_iPKfiiiSD_SD_iiiii
                                        ; -- End function
	.set _ZN4vllm25paged_attention_v2_kernelIffLi192ELi32ELi128ELNS_18Fp8KVCacheDataTypeE0ELb1ELi512EEEvPfS2_PT_PKS3_PKT0_S9_ifPKiSB_iPKfiiiSD_SD_iiiii.num_vgpr, 128
	.set _ZN4vllm25paged_attention_v2_kernelIffLi192ELi32ELi128ELNS_18Fp8KVCacheDataTypeE0ELb1ELi512EEEvPfS2_PT_PKS3_PKT0_S9_ifPKiSB_iPKfiiiSD_SD_iiiii.num_agpr, 0
	.set _ZN4vllm25paged_attention_v2_kernelIffLi192ELi32ELi128ELNS_18Fp8KVCacheDataTypeE0ELb1ELi512EEEvPfS2_PT_PKS3_PKT0_S9_ifPKiSB_iPKfiiiSD_SD_iiiii.numbered_sgpr, 52
	.set _ZN4vllm25paged_attention_v2_kernelIffLi192ELi32ELi128ELNS_18Fp8KVCacheDataTypeE0ELb1ELi512EEEvPfS2_PT_PKS3_PKT0_S9_ifPKiSB_iPKfiiiSD_SD_iiiii.num_named_barrier, 0
	.set _ZN4vllm25paged_attention_v2_kernelIffLi192ELi32ELi128ELNS_18Fp8KVCacheDataTypeE0ELb1ELi512EEEvPfS2_PT_PKS3_PKT0_S9_ifPKiSB_iPKfiiiSD_SD_iiiii.private_seg_size, 604
	.set _ZN4vllm25paged_attention_v2_kernelIffLi192ELi32ELi128ELNS_18Fp8KVCacheDataTypeE0ELb1ELi512EEEvPfS2_PT_PKS3_PKT0_S9_ifPKiSB_iPKfiiiSD_SD_iiiii.uses_vcc, 1
	.set _ZN4vllm25paged_attention_v2_kernelIffLi192ELi32ELi128ELNS_18Fp8KVCacheDataTypeE0ELb1ELi512EEEvPfS2_PT_PKS3_PKT0_S9_ifPKiSB_iPKfiiiSD_SD_iiiii.uses_flat_scratch, 0
	.set _ZN4vllm25paged_attention_v2_kernelIffLi192ELi32ELi128ELNS_18Fp8KVCacheDataTypeE0ELb1ELi512EEEvPfS2_PT_PKS3_PKT0_S9_ifPKiSB_iPKfiiiSD_SD_iiiii.has_dyn_sized_stack, 0
	.set _ZN4vllm25paged_attention_v2_kernelIffLi192ELi32ELi128ELNS_18Fp8KVCacheDataTypeE0ELb1ELi512EEEvPfS2_PT_PKS3_PKT0_S9_ifPKiSB_iPKfiiiSD_SD_iiiii.has_recursion, 0
	.set _ZN4vllm25paged_attention_v2_kernelIffLi192ELi32ELi128ELNS_18Fp8KVCacheDataTypeE0ELb1ELi512EEEvPfS2_PT_PKS3_PKT0_S9_ifPKiSB_iPKfiiiSD_SD_iiiii.has_indirect_call, 0
	.section	.AMDGPU.csdata,"",@progbits
; Kernel info:
; codeLenInByte = 26412
; TotalNumSgprs: 54
; NumVgprs: 128
; ScratchSize: 604
; MemoryBound: 0
; FloatMode: 240
; IeeeMode: 1
; LDSByteSize: 800 bytes/workgroup (compile time only)
; SGPRBlocks: 0
; VGPRBlocks: 15
; NumSGPRsForWavesPerEU: 54
; NumVGPRsForWavesPerEU: 128
; Occupancy: 8
; WaveLimiterHint : 1
; COMPUTE_PGM_RSRC2:SCRATCH_EN: 1
; COMPUTE_PGM_RSRC2:USER_SGPR: 6
; COMPUTE_PGM_RSRC2:TRAP_HANDLER: 0
; COMPUTE_PGM_RSRC2:TGID_X_EN: 1
; COMPUTE_PGM_RSRC2:TGID_Y_EN: 1
; COMPUTE_PGM_RSRC2:TGID_Z_EN: 1
; COMPUTE_PGM_RSRC2:TIDIG_COMP_CNT: 0
	.section	.text._ZN4vllm25paged_attention_v2_kernelIffLi256ELi32ELi128ELNS_18Fp8KVCacheDataTypeE0ELb1ELi512EEEvPfS2_PT_PKS3_PKT0_S9_ifPKiSB_iPKfiiiSD_SD_iiiii,"axG",@progbits,_ZN4vllm25paged_attention_v2_kernelIffLi256ELi32ELi128ELNS_18Fp8KVCacheDataTypeE0ELb1ELi512EEEvPfS2_PT_PKS3_PKT0_S9_ifPKiSB_iPKfiiiSD_SD_iiiii,comdat
	.protected	_ZN4vllm25paged_attention_v2_kernelIffLi256ELi32ELi128ELNS_18Fp8KVCacheDataTypeE0ELb1ELi512EEEvPfS2_PT_PKS3_PKT0_S9_ifPKiSB_iPKfiiiSD_SD_iiiii ; -- Begin function _ZN4vllm25paged_attention_v2_kernelIffLi256ELi32ELi128ELNS_18Fp8KVCacheDataTypeE0ELb1ELi512EEEvPfS2_PT_PKS3_PKT0_S9_ifPKiSB_iPKfiiiSD_SD_iiiii
	.globl	_ZN4vllm25paged_attention_v2_kernelIffLi256ELi32ELi128ELNS_18Fp8KVCacheDataTypeE0ELb1ELi512EEEvPfS2_PT_PKS3_PKT0_S9_ifPKiSB_iPKfiiiSD_SD_iiiii
	.p2align	8
	.type	_ZN4vllm25paged_attention_v2_kernelIffLi256ELi32ELi128ELNS_18Fp8KVCacheDataTypeE0ELb1ELi512EEEvPfS2_PT_PKS3_PKT0_S9_ifPKiSB_iPKfiiiSD_SD_iiiii,@function
_ZN4vllm25paged_attention_v2_kernelIffLi256ELi32ELi128ELNS_18Fp8KVCacheDataTypeE0ELb1ELi512EEEvPfS2_PT_PKS3_PKT0_S9_ifPKiSB_iPKfiiiSD_SD_iiiii: ; @_ZN4vllm25paged_attention_v2_kernelIffLi256ELi32ELi128ELNS_18Fp8KVCacheDataTypeE0ELb1ELi512EEEvPfS2_PT_PKS3_PKT0_S9_ifPKiSB_iPKfiiiSD_SD_iiiii
; %bb.0:
	s_mov_b64 s[50:51], s[2:3]
	s_mov_b64 s[48:49], s[0:1]
	s_load_dwordx2 s[0:1], s[4:5], 0x40
	s_add_u32 s48, s48, s9
	s_addc_u32 s49, s49, 0
	s_mov_b32 s26, s7
	s_ashr_i32 s27, s7, 31
	buffer_store_dword v0, off, s[48:51], 0 offset:888 ; 4-byte Folded Spill
	s_lshl_b64 s[2:3], s[26:27], 2
	s_waitcnt lgkmcnt(0)
	s_add_u32 s0, s0, s2
	s_addc_u32 s1, s1, s3
	s_lshl_b32 s38, s8, 9
	s_load_dword s27, s[0:1], 0x0
	s_waitcnt lgkmcnt(0)
	s_cmp_ge_i32 s38, s27
	s_cbranch_scc1 .LBB53_309
; %bb.1:
	s_clause 0x1
	s_load_dword s9, s[4:5], 0x90
	s_load_dwordx2 s[36:37], s[4:5], 0x30
	s_mov_b32 s40, 0
	s_waitcnt lgkmcnt(0)
	s_abs_i32 s3, s9
	s_abs_i32 s0, s36
	v_cvt_f32_u32_e32 v0, s0
	s_sub_i32 s2, 0, s0
	v_rcp_iflag_f32_e32 v0, v0
	v_mul_f32_e32 v0, 0x4f7ffffe, v0
	v_cvt_u32_f32_e32 v0, v0
	v_readfirstlane_b32 s1, v0
	s_mul_i32 s2, s2, s1
	s_mul_hi_u32 s2, s1, s2
	s_add_i32 s1, s1, s2
	s_xor_b32 s2, s9, s36
	s_mul_hi_u32 s1, s3, s1
	s_ashr_i32 s2, s2, 31
	s_mul_i32 s7, s1, s0
	s_sub_i32 s3, s3, s7
	s_add_i32 s7, s1, 1
	s_sub_i32 s10, s3, s0
	s_cmp_ge_u32 s3, s0
	s_cselect_b32 s1, s7, s1
	s_cselect_b32 s3, s10, s3
	s_add_i32 s7, s1, 1
	s_cmp_ge_u32 s3, s0
	s_cselect_b32 s0, s7, s1
	s_xor_b32 s0, s0, s2
	s_sub_i32 s10, s0, s2
	s_load_dwordx2 s[0:1], s[4:5], 0x50
	s_abs_i32 s2, s10
	v_cvt_f32_u32_e32 v0, s2
	s_sub_i32 s3, 0, s2
	v_rcp_iflag_f32_e32 v0, v0
	v_mul_f32_e32 v0, 0x4f7ffffe, v0
	v_cvt_u32_f32_e32 v0, v0
	v_readfirstlane_b32 s7, v0
	s_mul_i32 s3, s3, s7
	s_mul_hi_u32 s11, s7, s3
	s_abs_i32 s3, s6
	s_add_i32 s7, s7, s11
	s_waitcnt lgkmcnt(0)
	s_cmp_eq_u64 s[0:1], 0
	s_mul_hi_u32 s20, s3, s7
	s_cbranch_scc1 .LBB53_3
; %bb.2:
	s_ashr_i32 s7, s6, 31
	s_lshl_b64 s[12:13], s[6:7], 2
	s_add_u32 s0, s0, s12
	s_addc_u32 s1, s1, s13
	s_load_dword s40, s[0:1], 0x0
.LBB53_3:
	buffer_load_dword v0, off, s[48:51], 0 offset:888 ; 4-byte Folded Reload
	s_load_dwordx4 s[12:15], s[4:5], 0x58
	s_ashr_i32 s1, s6, 31
	s_ashr_i32 s7, s10, 31
	s_lshl_b32 s10, s6, 8
	s_waitcnt vmcnt(0)
	v_cmp_gt_u32_e64 s0, 64, v0
	s_waitcnt lgkmcnt(0)
	s_and_saveexec_b32 s15, s0
	s_cbranch_execz .LBB53_5
; %bb.4:
	buffer_load_dword v0, off, s[48:51], 0 offset:888 ; 4-byte Folded Reload
	s_load_dwordx2 s[16:17], s[4:5], 0x18
	s_mul_i32 s18, s12, s26
	s_ashr_i32 s19, s18, 31
	s_lshl_b64 s[18:19], s[18:19], 2
	s_waitcnt lgkmcnt(0)
	s_add_u32 s12, s16, s18
	s_addc_u32 s18, s17, s19
	s_ashr_i32 s11, s10, 31
	s_lshl_b64 s[16:17], s[10:11], 2
	s_add_u32 s16, s12, s16
	s_addc_u32 s17, s18, s17
	s_waitcnt vmcnt(0)
	v_lshlrev_b32_e32 v4, 4, v0
	global_load_dwordx4 v[0:3], v4, s[16:17]
	s_waitcnt vmcnt(0)
	ds_write_b128 v4, v[0:3]
.LBB53_5:
	s_or_b32 exec_lo, exec_lo, s15
	s_load_dwordx4 s[16:19], s[4:5], 0x78
	s_mul_i32 s11, s20, s2
	s_xor_b32 s1, s1, s7
	s_sub_i32 s3, s3, s11
	s_add_i32 s7, s20, 1
	s_sub_i32 s11, s3, s2
	s_cmp_ge_u32 s3, s2
	s_mov_b32 s21, -1
	s_cselect_b32 s7, s7, s20
	s_cselect_b32 s3, s11, s3
	s_add_i32 s11, s7, 1
	s_cmp_ge_u32 s3, s2
	s_load_dword s3, s[4:5], 0x88
	s_cselect_b32 s2, s11, s7
	s_add_i32 s7, s27, -1
	s_xor_b32 s2, s2, s1
	s_abs_i32 s15, s7
	s_sub_i32 s2, s2, s1
	s_waitcnt lgkmcnt(0)
	s_waitcnt_vscnt null, 0x0
	s_barrier
	s_abs_i32 s11, s19
	buffer_gl0_inv
	v_cvt_f32_u32_e32 v0, s11
	s_sub_i32 s1, 0, s11
                                        ; implicit-def: $sgpr33
	v_rcp_iflag_f32_e32 v0, v0
	v_mul_f32_e32 v0, 0x4f7ffffe, v0
	v_cvt_u32_f32_e32 v0, v0
	v_readfirstlane_b32 s12, v0
	s_mul_i32 s1, s1, s12
	s_mul_hi_u32 s1, s12, s1
	s_add_i32 s12, s12, s1
	s_cmp_lt_i32 s3, 0
	s_mul_hi_u32 s1, s15, s12
	s_cbranch_scc0 .LBB53_7
; %bb.6:
	s_mul_i32 s20, s16, s36
	s_mov_b32 s21, 0
	s_add_i32 s20, s2, s20
	s_mul_i32 s20, s20, s3
	s_sub_i32 s33, 1, s20
.LBB53_7:
	s_load_dwordx2 s[28:29], s[4:5], 0x38
	s_ashr_i32 s20, s7, 31
	s_andn2_b32 vcc_lo, exec_lo, s21
	s_ashr_i32 s19, s19, 31
	s_cbranch_vccnz .LBB53_9
; %bb.8:
	s_mul_i32 s7, s9, s16
	s_add_i32 s7, s7, s6
	s_mul_i32 s3, s7, s3
	s_add_i32 s33, s3, 1
.LBB53_9:
	s_clause 0x2
	s_load_dword s3, s[4:5], 0x48
	s_load_dwordx2 s[30:31], s[4:5], 0x28
	s_load_dword s7, s[4:5], 0x98
	s_xor_b32 s39, s20, s19
	s_clause 0x1
	s_load_dwordx4 s[20:23], s[4:5], 0x0
	s_load_dwordx2 s[24:25], s[4:5], 0x10
	buffer_load_dword v0, off, s[48:51], 0 offset:888 ; 4-byte Folded Reload
	s_mul_i32 s16, s1, s11
	s_add_i32 s36, s1, 1
	s_sub_i32 s15, s15, s16
	s_mul_i32 s14, s2, s14
	s_waitcnt lgkmcnt(0)
	s_mul_i32 s34, s3, s26
	s_sub_i32 s3, s15, s11
	s_ashr_i32 s35, s34, 31
	s_cmp_ge_u32 s15, s11
	s_cselect_b32 s1, s36, s1
	s_cselect_b32 s3, s3, s15
	s_add_i32 s15, s1, 1
	s_cmp_ge_u32 s3, s11
	s_cselect_b32 s1, s15, s1
	s_lshl_b32 s41, s8, 4
	s_add_i32 s3, s27, 31
	s_add_i32 s16, s41, 16
	s_ashr_i32 s15, s3, 31
	s_lshr_b32 s15, s15, 27
	s_add_i32 s3, s3, s15
	s_ashr_i32 s36, s3, 5
	s_xor_b32 s3, s1, s39
	s_min_i32 s16, s16, s36
	s_sub_i32 s39, s3, s39
	s_waitcnt vmcnt(0)
	v_lshrrev_b32_e32 v1, 5, v0
	v_and_b32_e32 v2, 31, v0
	v_mov_b32_e32 v0, 0xff7fffff
	v_add_nc_u32_e32 v3, s41, v1
	buffer_store_dword v1, off, s[48:51], 0 offset:912 ; 4-byte Folded Spill
	v_mov_b32_e32 v1, v3
	v_cmp_gt_i32_e64 s1, s16, v3
	buffer_store_dword v1, off, s[48:51], 0 ; 4-byte Folded Spill
	buffer_store_dword v2, off, s[48:51], 0 offset:4 ; 4-byte Folded Spill
	v_lshlrev_b32_e32 v15, 2, v2
	buffer_store_dword v2, off, s[48:51], 0 offset:884 ; 4-byte Folded Spill
	s_and_saveexec_b32 s42, s1
	s_cbranch_execz .LBB53_17
; %bb.10:
	buffer_load_dword v12, off, s[48:51], 0 offset:884 ; 4-byte Folded Reload
	s_load_dwordx2 s[2:3], s[4:5], 0x20
	s_ashr_i32 s15, s14, 31
	s_sub_i32 s4, s39, s17
	s_lshl_b64 s[44:45], s[14:15], 2
	v_mov_b32_e32 v5, 0
	v_cmp_neq_f32_e64 vcc_lo, s40, 0
	s_mov_b32 s5, s13
	s_mov_b32 s15, 0
	s_waitcnt lgkmcnt(0)
	s_add_u32 s2, s2, s44
	s_addc_u32 s3, s3, s45
	s_abs_i32 s43, s18
	s_waitcnt vmcnt(0)
	v_lshlrev_b32_e32 v0, 4, v12
	v_add_co_u32 v0, s2, s2, v0
	buffer_store_dword v0, off, s[48:51], 0 offset:8 ; 4-byte Folded Spill
	v_add_co_ci_u32_e64 v0, null, s3, 0, s2
	s_sub_i32 s2, 0, s43
	buffer_store_dword v0, off, s[48:51], 0 offset:24 ; 4-byte Folded Spill
	ds_read_b128 v[0:3], v5
	s_waitcnt lgkmcnt(0)
	buffer_store_dword v0, off, s[48:51], 0 offset:40 ; 4-byte Folded Spill
	buffer_store_dword v1, off, s[48:51], 0 offset:44 ; 4-byte Folded Spill
	buffer_store_dword v2, off, s[48:51], 0 offset:48 ; 4-byte Folded Spill
	buffer_store_dword v3, off, s[48:51], 0 offset:52 ; 4-byte Folded Spill
	ds_read_b128 v[0:3], v5 offset:16
	s_waitcnt lgkmcnt(0)
	buffer_store_dword v0, off, s[48:51], 0 offset:56 ; 4-byte Folded Spill
	buffer_store_dword v1, off, s[48:51], 0 offset:60 ; 4-byte Folded Spill
	buffer_store_dword v2, off, s[48:51], 0 offset:64 ; 4-byte Folded Spill
	buffer_store_dword v3, off, s[48:51], 0 offset:68 ; 4-byte Folded Spill
	ds_read_b128 v[0:3], v5 offset:32
	;; [unrolled: 6-line block ×37, first 2 shown]
	s_waitcnt lgkmcnt(0)
	buffer_store_dword v0, off, s[48:51], 0 offset:632 ; 4-byte Folded Spill
	buffer_store_dword v1, off, s[48:51], 0 offset:636 ; 4-byte Folded Spill
	;; [unrolled: 1-line block ×4, first 2 shown]
	v_cvt_f32_u32_e32 v0, s43
	ds_read_b128 v[29:32], v5 offset:608
	ds_read_b128 v[33:36], v5 offset:624
	;; [unrolled: 1-line block ×26, first 2 shown]
	v_rcp_iflag_f32_e32 v0, v0
	v_mul_f32_e32 v0, 0x4f7ffffe, v0
	v_cvt_u32_f32_e32 v0, v0
	v_mul_lo_u32 v9, s2, v0
	s_lshl_b64 s[2:3], s[34:35], 2
	s_add_u32 s2, s28, s2
	s_addc_u32 s3, s29, s3
	v_mul_hi_u32 v9, v0, v9
	v_add_nc_u32_e32 v16, v0, v9
	s_clause 0x1
	buffer_load_dword v9, off, s[48:51], 0
	buffer_load_dword v10, off, s[48:51], 0 offset:4
	v_subrev_nc_u32_e32 v0, s27, v12
	v_add_nc_u32_e32 v0, 1, v0
	s_waitcnt vmcnt(1)
	v_mov_b32_e32 v13, v9
	v_ashrrev_i32_e32 v14, 31, v13
	v_mov_b32_e32 v125, v13
	s_waitcnt vmcnt(0)
	v_lshlrev_b64 v[9:10], 2, v[13:14]
	v_add_co_u32 v126, s2, s2, v9
	buffer_load_dword v9, off, s[48:51], 0 offset:912 ; 4-byte Folded Reload
	buffer_store_dword v0, off, s[48:51], 0 offset:652 ; 4-byte Folded Spill
	buffer_store_dword v15, off, s[48:51], 0 offset:656 ; 4-byte Folded Spill
	v_add_co_ci_u32_e64 v127, null, s3, v10, s2
	s_waitcnt vmcnt(0)
	v_lshl_or_b32 v0, v9, 7, v15
	v_lshl_add_u32 v11, v9, 5, s38
	v_mov_b32_e32 v9, v13
	buffer_store_dword v9, off, s[48:51], 0 ; 4-byte Folded Spill
	buffer_store_dword v10, off, s[48:51], 0 offset:4 ; 4-byte Folded Spill
	v_add_nc_u32_e32 v12, 0x420, v0
	v_mov_b32_e32 v0, 0xff7fffff
	buffer_store_dword v16, off, s[48:51], 0 offset:648 ; 4-byte Folded Spill
	s_branch .LBB53_12
.LBB53_11:                              ;   in Loop: Header=BB53_12 Depth=1
	s_or_b32 exec_lo, exec_lo, s3
	v_add_nc_u32_e32 v125, 4, v125
	v_add_co_u32 v126, s2, v126, 16
	v_add_co_ci_u32_e64 v127, null, 0, v127, s2
	v_cmp_le_i32_e64 s2, s16, v125
	v_add_nc_u32_e32 v11, 0x80, v11
	v_add_nc_u32_e32 v12, 0x200, v12
	s_or_b32 s15, s2, s15
	s_andn2_b32 exec_lo, exec_lo, s15
	s_cbranch_execz .LBB53_16
.LBB53_12:                              ; =>This Inner Loop Header: Depth=1
	v_sub_nc_u32_e32 v9, 0, v11
	v_max_i32_e32 v9, v11, v9
	v_mul_hi_u32 v10, v9, s12
	v_mul_lo_u32 v13, v10, s11
	v_sub_nc_u32_e32 v9, v9, v13
	v_add_nc_u32_e32 v13, 1, v10
	v_subrev_nc_u32_e32 v14, s11, v9
	v_cmp_le_u32_e64 s2, s11, v9
	v_cndmask_b32_e64 v10, v10, v13, s2
	v_cndmask_b32_e64 v9, v9, v14, s2
	v_ashrrev_i32_e32 v13, 31, v11
	v_add_nc_u32_e32 v14, 1, v10
	v_cmp_le_u32_e64 s2, s11, v9
	v_xor_b32_e32 v13, s19, v13
	v_cndmask_b32_e64 v9, v10, v14, s2
	v_xor_b32_e32 v9, v9, v13
	v_sub_nc_u32_e32 v9, v9, v13
	v_add_nc_u32_e32 v10, s33, v9
	v_cmp_ge_i32_e64 s3, s4, v9
	v_sub_nc_u32_e32 v13, 0, v10
	v_max_i32_e32 v13, v10, v13
	v_ashrrev_i32_e32 v10, 31, v10
	v_mul_hi_u32 v14, v13, v16
	v_mul_lo_u32 v14, v14, s43
	v_sub_nc_u32_e32 v13, v13, v14
	v_subrev_nc_u32_e32 v14, s43, v13
	v_cmp_le_u32_e64 s2, s43, v13
	v_cndmask_b32_e64 v13, v13, v14, s2
	v_subrev_nc_u32_e32 v14, s43, v13
	v_cmp_le_u32_e64 s2, s43, v13
	v_cndmask_b32_e64 v13, v13, v14, s2
	v_xor_b32_e32 v13, v13, v10
	v_sub_nc_u32_e32 v10, v13, v10
	v_cmp_ne_u32_e64 s2, 0, v10
	s_and_b32 s2, s2, s3
	s_and_saveexec_b32 s3, s2
	s_xor_b32 s2, exec_lo, s3
; %bb.13:                               ;   in Loop: Header=BB53_12 Depth=1
	v_mov_b32_e32 v9, 0xff7fffff
	ds_write_b32 v12, v9
; %bb.14:                               ;   in Loop: Header=BB53_12 Depth=1
	s_andn2_saveexec_b32 s3, s2
	s_cbranch_execz .LBB53_11
; %bb.15:                               ;   in Loop: Header=BB53_12 Depth=1
	global_load_dword v9, v[126:127], off
	buffer_load_dword v13, off, s[48:51], 0 offset:8 ; 4-byte Folded Reload
	s_waitcnt vmcnt(1)
	v_mad_i64_i32 v[9:10], null, v9, s5, 0
	v_lshlrev_b64 v[9:10], 2, v[9:10]
	s_waitcnt vmcnt(0)
	v_add_co_u32 v9, s2, v13, v9
	buffer_load_dword v13, off, s[48:51], 0 offset:24 ; 4-byte Folded Reload
	s_waitcnt vmcnt(0)
	v_add_co_ci_u32_e64 v10, null, v13, v10, s2
	global_load_dwordx4 v[17:20], v[9:10], off offset:512
	s_clause 0x3
	buffer_load_dword v21, off, s[48:51], 0 offset:56
	buffer_load_dword v22, off, s[48:51], 0 offset:60
	;; [unrolled: 1-line block ×4, first 2 shown]
	s_waitcnt vmcnt(3)
	v_mul_f32_e32 v14, v21, v17
	s_waitcnt vmcnt(2)
	v_mul_f32_e32 v15, v22, v18
	;; [unrolled: 2-line block ×4, first 2 shown]
	global_load_dwordx4 v[17:20], v[9:10], off
	s_clause 0x3
	buffer_load_dword v21, off, s[48:51], 0 offset:40
	buffer_load_dword v22, off, s[48:51], 0 offset:44
	;; [unrolled: 1-line block ×4, first 2 shown]
	s_waitcnt vmcnt(3)
	v_fmac_f32_e32 v14, v21, v17
	s_waitcnt vmcnt(2)
	v_fmac_f32_e32 v15, v22, v18
	;; [unrolled: 2-line block ×4, first 2 shown]
	global_load_dwordx4 v[17:20], v[9:10], off offset:1024
	s_clause 0x3
	buffer_load_dword v21, off, s[48:51], 0 offset:72
	buffer_load_dword v22, off, s[48:51], 0 offset:76
	;; [unrolled: 1-line block ×4, first 2 shown]
	s_waitcnt vmcnt(3)
	v_fmac_f32_e32 v14, v21, v17
	s_waitcnt vmcnt(2)
	v_fmac_f32_e32 v15, v22, v18
	;; [unrolled: 2-line block ×4, first 2 shown]
	global_load_dwordx4 v[17:20], v[9:10], off offset:1536
	s_clause 0x3
	buffer_load_dword v21, off, s[48:51], 0 offset:88
	buffer_load_dword v22, off, s[48:51], 0 offset:92
	;; [unrolled: 1-line block ×4, first 2 shown]
	s_waitcnt vmcnt(3)
	v_fmac_f32_e32 v14, v21, v17
	v_add_co_u32 v21, s2, v9, 0x1000
	s_waitcnt vmcnt(2)
	v_fmac_f32_e32 v15, v22, v18
	v_add_co_ci_u32_e64 v22, null, 0, v10, s2
	s_waitcnt vmcnt(1)
	v_fmac_f32_e32 v16, v23, v19
	s_waitcnt vmcnt(0)
	v_fmac_f32_e32 v13, v24, v20
	global_load_dwordx4 v[17:20], v[21:22], off offset:-2048
	s_clause 0x3
	buffer_load_dword v23, off, s[48:51], 0 offset:104
	buffer_load_dword v24, off, s[48:51], 0 offset:108
	;; [unrolled: 1-line block ×4, first 2 shown]
	s_waitcnt vmcnt(3)
	v_fmac_f32_e32 v14, v23, v17
	v_add_co_u32 v23, s2, 0x800, v9
	s_waitcnt vmcnt(2)
	v_fmac_f32_e32 v15, v24, v18
	v_add_co_ci_u32_e64 v24, null, 0, v10, s2
	s_waitcnt vmcnt(1)
	v_fmac_f32_e32 v16, v25, v19
	s_waitcnt vmcnt(0)
	v_fmac_f32_e32 v13, v26, v20
	global_load_dwordx4 v[17:20], v[23:24], off offset:512
	s_clause 0x3
	buffer_load_dword v25, off, s[48:51], 0 offset:120
	buffer_load_dword v26, off, s[48:51], 0 offset:124
	buffer_load_dword v27, off, s[48:51], 0 offset:128
	buffer_load_dword v28, off, s[48:51], 0 offset:132
	s_waitcnt vmcnt(3)
	v_fmac_f32_e32 v14, v25, v17
	s_waitcnt vmcnt(2)
	v_fmac_f32_e32 v15, v26, v18
	s_waitcnt vmcnt(1)
	v_fmac_f32_e32 v16, v27, v19
	s_waitcnt vmcnt(0)
	v_fmac_f32_e32 v13, v28, v20
	global_load_dwordx4 v[17:20], v[23:24], off offset:1024
	s_clause 0x3
	buffer_load_dword v25, off, s[48:51], 0 offset:136
	buffer_load_dword v26, off, s[48:51], 0 offset:140
	buffer_load_dword v27, off, s[48:51], 0 offset:144
	buffer_load_dword v28, off, s[48:51], 0 offset:148
	s_waitcnt vmcnt(3)
	v_fmac_f32_e32 v14, v25, v17
	s_waitcnt vmcnt(2)
	v_fmac_f32_e32 v15, v26, v18
	;; [unrolled: 14-line block ×3, first 2 shown]
	s_waitcnt vmcnt(1)
	v_fmac_f32_e32 v16, v25, v19
	s_waitcnt vmcnt(0)
	v_fmac_f32_e32 v13, v26, v20
	global_load_dwordx4 v[17:20], v[21:22], off
	s_clause 0x3
	buffer_load_dword v21, off, s[48:51], 0 offset:168
	buffer_load_dword v22, off, s[48:51], 0 offset:172
	;; [unrolled: 1-line block ×4, first 2 shown]
	s_waitcnt vmcnt(3)
	v_fmac_f32_e32 v14, v21, v17
	v_add_co_u32 v21, s2, 0x1000, v9
	s_waitcnt vmcnt(2)
	v_fmac_f32_e32 v15, v22, v18
	v_add_co_ci_u32_e64 v22, null, 0, v10, s2
	s_waitcnt vmcnt(1)
	v_fmac_f32_e32 v16, v23, v19
	s_waitcnt vmcnt(0)
	v_fmac_f32_e32 v13, v24, v20
	global_load_dwordx4 v[17:20], v[21:22], off offset:512
	s_clause 0x3
	buffer_load_dword v23, off, s[48:51], 0 offset:184
	buffer_load_dword v24, off, s[48:51], 0 offset:188
	;; [unrolled: 1-line block ×4, first 2 shown]
	s_waitcnt vmcnt(3)
	v_fmac_f32_e32 v14, v23, v17
	s_waitcnt vmcnt(2)
	v_fmac_f32_e32 v15, v24, v18
	s_waitcnt vmcnt(1)
	v_fmac_f32_e32 v16, v25, v19
	s_waitcnt vmcnt(0)
	v_fmac_f32_e32 v13, v26, v20
	global_load_dwordx4 v[17:20], v[21:22], off offset:1024
	s_clause 0x3
	buffer_load_dword v23, off, s[48:51], 0 offset:200
	buffer_load_dword v24, off, s[48:51], 0 offset:204
	;; [unrolled: 1-line block ×4, first 2 shown]
	s_waitcnt vmcnt(3)
	v_fmac_f32_e32 v14, v23, v17
	s_waitcnt vmcnt(2)
	v_fmac_f32_e32 v15, v24, v18
	;; [unrolled: 2-line block ×4, first 2 shown]
	global_load_dwordx4 v[17:20], v[21:22], off offset:1536
	s_clause 0x3
	buffer_load_dword v21, off, s[48:51], 0 offset:216
	buffer_load_dword v22, off, s[48:51], 0 offset:220
	buffer_load_dword v23, off, s[48:51], 0 offset:224
	buffer_load_dword v24, off, s[48:51], 0 offset:228
	s_waitcnt vmcnt(3)
	v_fmac_f32_e32 v14, v21, v17
	v_add_co_u32 v21, s2, v9, 0x2000
	s_waitcnt vmcnt(2)
	v_fmac_f32_e32 v15, v22, v18
	v_add_co_ci_u32_e64 v22, null, 0, v10, s2
	s_waitcnt vmcnt(1)
	v_fmac_f32_e32 v16, v23, v19
	s_waitcnt vmcnt(0)
	v_fmac_f32_e32 v13, v24, v20
	global_load_dwordx4 v[17:20], v[21:22], off offset:-2048
	s_clause 0x3
	buffer_load_dword v23, off, s[48:51], 0 offset:232
	buffer_load_dword v24, off, s[48:51], 0 offset:236
	;; [unrolled: 1-line block ×4, first 2 shown]
	s_waitcnt vmcnt(3)
	v_fmac_f32_e32 v14, v23, v17
	v_add_co_u32 v23, s2, 0x1800, v9
	s_waitcnt vmcnt(2)
	v_fmac_f32_e32 v15, v24, v18
	v_add_co_ci_u32_e64 v24, null, 0, v10, s2
	s_waitcnt vmcnt(1)
	v_fmac_f32_e32 v16, v25, v19
	s_waitcnt vmcnt(0)
	v_fmac_f32_e32 v13, v26, v20
	global_load_dwordx4 v[17:20], v[23:24], off offset:512
	s_clause 0x3
	buffer_load_dword v25, off, s[48:51], 0 offset:248
	buffer_load_dword v26, off, s[48:51], 0 offset:252
	buffer_load_dword v27, off, s[48:51], 0 offset:256
	buffer_load_dword v28, off, s[48:51], 0 offset:260
	s_waitcnt vmcnt(3)
	v_fmac_f32_e32 v14, v25, v17
	s_waitcnt vmcnt(2)
	v_fmac_f32_e32 v15, v26, v18
	s_waitcnt vmcnt(1)
	v_fmac_f32_e32 v16, v27, v19
	s_waitcnt vmcnt(0)
	v_fmac_f32_e32 v13, v28, v20
	global_load_dwordx4 v[17:20], v[23:24], off offset:1024
	s_clause 0x3
	buffer_load_dword v25, off, s[48:51], 0 offset:264
	buffer_load_dword v26, off, s[48:51], 0 offset:268
	buffer_load_dword v27, off, s[48:51], 0 offset:272
	buffer_load_dword v28, off, s[48:51], 0 offset:276
	s_waitcnt vmcnt(3)
	v_fmac_f32_e32 v14, v25, v17
	s_waitcnt vmcnt(2)
	v_fmac_f32_e32 v15, v26, v18
	;; [unrolled: 14-line block ×3, first 2 shown]
	s_waitcnt vmcnt(1)
	v_fmac_f32_e32 v16, v25, v19
	s_waitcnt vmcnt(0)
	v_fmac_f32_e32 v13, v26, v20
	global_load_dwordx4 v[17:20], v[21:22], off
	s_clause 0x3
	buffer_load_dword v21, off, s[48:51], 0 offset:296
	buffer_load_dword v22, off, s[48:51], 0 offset:300
	;; [unrolled: 1-line block ×4, first 2 shown]
	s_waitcnt vmcnt(3)
	v_fmac_f32_e32 v14, v21, v17
	v_add_co_u32 v21, s2, 0x2000, v9
	s_waitcnt vmcnt(2)
	v_fmac_f32_e32 v15, v22, v18
	v_add_co_ci_u32_e64 v22, null, 0, v10, s2
	s_waitcnt vmcnt(1)
	v_fmac_f32_e32 v16, v23, v19
	s_waitcnt vmcnt(0)
	v_fmac_f32_e32 v13, v24, v20
	global_load_dwordx4 v[17:20], v[21:22], off offset:512
	s_clause 0x3
	buffer_load_dword v23, off, s[48:51], 0 offset:312
	buffer_load_dword v24, off, s[48:51], 0 offset:316
	;; [unrolled: 1-line block ×4, first 2 shown]
	s_waitcnt vmcnt(3)
	v_fmac_f32_e32 v14, v23, v17
	s_waitcnt vmcnt(2)
	v_fmac_f32_e32 v15, v24, v18
	;; [unrolled: 2-line block ×4, first 2 shown]
	global_load_dwordx4 v[17:20], v[21:22], off offset:1024
	s_clause 0x3
	buffer_load_dword v23, off, s[48:51], 0 offset:328
	buffer_load_dword v24, off, s[48:51], 0 offset:332
	;; [unrolled: 1-line block ×4, first 2 shown]
	s_waitcnt vmcnt(3)
	v_fmac_f32_e32 v14, v23, v17
	s_waitcnt vmcnt(2)
	v_fmac_f32_e32 v15, v24, v18
	;; [unrolled: 2-line block ×4, first 2 shown]
	global_load_dwordx4 v[17:20], v[21:22], off offset:1536
	s_clause 0x3
	buffer_load_dword v21, off, s[48:51], 0 offset:344
	buffer_load_dword v22, off, s[48:51], 0 offset:348
	;; [unrolled: 1-line block ×4, first 2 shown]
	s_waitcnt vmcnt(3)
	v_fmac_f32_e32 v14, v21, v17
	v_add_co_u32 v21, s2, v9, 0x3000
	s_waitcnt vmcnt(2)
	v_fmac_f32_e32 v15, v22, v18
	v_add_co_ci_u32_e64 v22, null, 0, v10, s2
	s_waitcnt vmcnt(1)
	v_fmac_f32_e32 v16, v23, v19
	s_waitcnt vmcnt(0)
	v_fmac_f32_e32 v13, v24, v20
	global_load_dwordx4 v[17:20], v[21:22], off offset:-2048
	s_clause 0x3
	buffer_load_dword v23, off, s[48:51], 0 offset:360
	buffer_load_dword v24, off, s[48:51], 0 offset:364
	;; [unrolled: 1-line block ×4, first 2 shown]
	s_waitcnt vmcnt(3)
	v_fmac_f32_e32 v14, v23, v17
	v_add_co_u32 v23, s2, 0x2800, v9
	s_waitcnt vmcnt(2)
	v_fmac_f32_e32 v15, v24, v18
	v_add_co_ci_u32_e64 v24, null, 0, v10, s2
	s_waitcnt vmcnt(1)
	v_fmac_f32_e32 v16, v25, v19
	s_waitcnt vmcnt(0)
	v_fmac_f32_e32 v13, v26, v20
	global_load_dwordx4 v[17:20], v[23:24], off offset:512
	s_clause 0x3
	buffer_load_dword v25, off, s[48:51], 0 offset:376
	buffer_load_dword v26, off, s[48:51], 0 offset:380
	buffer_load_dword v27, off, s[48:51], 0 offset:384
	buffer_load_dword v28, off, s[48:51], 0 offset:388
	s_waitcnt vmcnt(3)
	v_fmac_f32_e32 v14, v25, v17
	s_waitcnt vmcnt(2)
	v_fmac_f32_e32 v15, v26, v18
	s_waitcnt vmcnt(1)
	v_fmac_f32_e32 v16, v27, v19
	s_waitcnt vmcnt(0)
	v_fmac_f32_e32 v13, v28, v20
	global_load_dwordx4 v[17:20], v[23:24], off offset:1024
	s_clause 0x3
	buffer_load_dword v25, off, s[48:51], 0 offset:392
	buffer_load_dword v26, off, s[48:51], 0 offset:396
	buffer_load_dword v27, off, s[48:51], 0 offset:400
	buffer_load_dword v28, off, s[48:51], 0 offset:404
	s_waitcnt vmcnt(3)
	v_fmac_f32_e32 v14, v25, v17
	s_waitcnt vmcnt(2)
	v_fmac_f32_e32 v15, v26, v18
	;; [unrolled: 14-line block ×3, first 2 shown]
	s_waitcnt vmcnt(1)
	v_fmac_f32_e32 v16, v25, v19
	s_waitcnt vmcnt(0)
	v_fmac_f32_e32 v13, v26, v20
	global_load_dwordx4 v[17:20], v[21:22], off
	s_clause 0x3
	buffer_load_dword v21, off, s[48:51], 0 offset:424
	buffer_load_dword v22, off, s[48:51], 0 offset:428
	buffer_load_dword v23, off, s[48:51], 0 offset:432
	buffer_load_dword v24, off, s[48:51], 0 offset:436
	s_waitcnt vmcnt(3)
	v_fmac_f32_e32 v14, v21, v17
	v_add_co_u32 v21, s2, 0x3000, v9
	s_waitcnt vmcnt(2)
	v_fmac_f32_e32 v15, v22, v18
	v_add_co_ci_u32_e64 v22, null, 0, v10, s2
	s_waitcnt vmcnt(1)
	v_fmac_f32_e32 v16, v23, v19
	s_waitcnt vmcnt(0)
	v_fmac_f32_e32 v13, v24, v20
	global_load_dwordx4 v[17:20], v[21:22], off offset:512
	s_clause 0x3
	buffer_load_dword v23, off, s[48:51], 0 offset:440
	buffer_load_dword v24, off, s[48:51], 0 offset:444
	;; [unrolled: 1-line block ×4, first 2 shown]
	s_waitcnt vmcnt(3)
	v_fmac_f32_e32 v14, v23, v17
	s_waitcnt vmcnt(2)
	v_fmac_f32_e32 v15, v24, v18
	;; [unrolled: 2-line block ×4, first 2 shown]
	global_load_dwordx4 v[17:20], v[21:22], off offset:1024
	s_clause 0x3
	buffer_load_dword v23, off, s[48:51], 0 offset:456
	buffer_load_dword v24, off, s[48:51], 0 offset:460
	;; [unrolled: 1-line block ×4, first 2 shown]
	s_waitcnt vmcnt(3)
	v_fmac_f32_e32 v14, v23, v17
	s_waitcnt vmcnt(2)
	v_fmac_f32_e32 v15, v24, v18
	;; [unrolled: 2-line block ×4, first 2 shown]
	global_load_dwordx4 v[17:20], v[21:22], off offset:1536
	s_clause 0x3
	buffer_load_dword v21, off, s[48:51], 0 offset:472
	buffer_load_dword v22, off, s[48:51], 0 offset:476
	;; [unrolled: 1-line block ×4, first 2 shown]
	s_waitcnt vmcnt(3)
	v_fmac_f32_e32 v14, v21, v17
	v_add_co_u32 v21, s2, v9, 0x4000
	s_waitcnt vmcnt(2)
	v_fmac_f32_e32 v15, v22, v18
	v_add_co_ci_u32_e64 v22, null, 0, v10, s2
	s_waitcnt vmcnt(1)
	v_fmac_f32_e32 v16, v23, v19
	s_waitcnt vmcnt(0)
	v_fmac_f32_e32 v13, v24, v20
	global_load_dwordx4 v[17:20], v[21:22], off offset:-2048
	s_clause 0x3
	buffer_load_dword v23, off, s[48:51], 0 offset:488
	buffer_load_dword v24, off, s[48:51], 0 offset:492
	;; [unrolled: 1-line block ×4, first 2 shown]
	s_waitcnt vmcnt(3)
	v_fmac_f32_e32 v14, v23, v17
	v_add_co_u32 v23, s2, 0x3800, v9
	s_waitcnt vmcnt(2)
	v_fmac_f32_e32 v15, v24, v18
	v_add_co_ci_u32_e64 v24, null, 0, v10, s2
	s_waitcnt vmcnt(1)
	v_fmac_f32_e32 v16, v25, v19
	s_waitcnt vmcnt(0)
	v_fmac_f32_e32 v13, v26, v20
	global_load_dwordx4 v[17:20], v[23:24], off offset:512
	s_clause 0x3
	buffer_load_dword v25, off, s[48:51], 0 offset:504
	buffer_load_dword v26, off, s[48:51], 0 offset:508
	buffer_load_dword v27, off, s[48:51], 0 offset:512
	buffer_load_dword v28, off, s[48:51], 0 offset:516
	s_waitcnt vmcnt(3)
	v_fmac_f32_e32 v14, v25, v17
	s_waitcnt vmcnt(2)
	v_fmac_f32_e32 v15, v26, v18
	s_waitcnt vmcnt(1)
	v_fmac_f32_e32 v16, v27, v19
	s_waitcnt vmcnt(0)
	v_fmac_f32_e32 v13, v28, v20
	global_load_dwordx4 v[17:20], v[23:24], off offset:1024
	s_clause 0x3
	buffer_load_dword v25, off, s[48:51], 0 offset:520
	buffer_load_dword v26, off, s[48:51], 0 offset:524
	buffer_load_dword v27, off, s[48:51], 0 offset:528
	buffer_load_dword v28, off, s[48:51], 0 offset:532
	s_waitcnt vmcnt(3)
	v_fmac_f32_e32 v14, v25, v17
	s_waitcnt vmcnt(2)
	v_fmac_f32_e32 v15, v26, v18
	;; [unrolled: 14-line block ×3, first 2 shown]
	s_waitcnt vmcnt(1)
	v_fmac_f32_e32 v16, v25, v19
	s_waitcnt vmcnt(0)
	v_fmac_f32_e32 v13, v26, v20
	global_load_dwordx4 v[17:20], v[21:22], off
	s_clause 0x3
	buffer_load_dword v21, off, s[48:51], 0 offset:552
	buffer_load_dword v22, off, s[48:51], 0 offset:556
	;; [unrolled: 1-line block ×4, first 2 shown]
	s_waitcnt vmcnt(3)
	v_fmac_f32_e32 v14, v21, v17
	v_add_co_u32 v21, s2, 0x4000, v9
	s_waitcnt vmcnt(2)
	v_fmac_f32_e32 v15, v22, v18
	v_add_co_ci_u32_e64 v22, null, 0, v10, s2
	s_waitcnt vmcnt(1)
	v_fmac_f32_e32 v16, v23, v19
	s_waitcnt vmcnt(0)
	v_fmac_f32_e32 v13, v24, v20
	global_load_dwordx4 v[17:20], v[21:22], off offset:512
	s_clause 0x3
	buffer_load_dword v23, off, s[48:51], 0 offset:568
	buffer_load_dword v24, off, s[48:51], 0 offset:572
	;; [unrolled: 1-line block ×4, first 2 shown]
	s_waitcnt vmcnt(3)
	v_fmac_f32_e32 v14, v23, v17
	s_waitcnt vmcnt(2)
	v_fmac_f32_e32 v15, v24, v18
	;; [unrolled: 2-line block ×4, first 2 shown]
	global_load_dwordx4 v[17:20], v[21:22], off offset:1024
	s_clause 0x3
	buffer_load_dword v23, off, s[48:51], 0 offset:584
	buffer_load_dword v24, off, s[48:51], 0 offset:588
	;; [unrolled: 1-line block ×4, first 2 shown]
	s_waitcnt vmcnt(3)
	v_fmac_f32_e32 v14, v23, v17
	s_waitcnt vmcnt(2)
	v_fmac_f32_e32 v15, v24, v18
	;; [unrolled: 2-line block ×4, first 2 shown]
	global_load_dwordx4 v[17:20], v[21:22], off offset:1536
	s_clause 0x3
	buffer_load_dword v21, off, s[48:51], 0 offset:600
	buffer_load_dword v22, off, s[48:51], 0 offset:604
	;; [unrolled: 1-line block ×4, first 2 shown]
	s_waitcnt vmcnt(3)
	v_fmac_f32_e32 v14, v21, v17
	v_add_co_u32 v21, s2, v9, 0x5000
	s_waitcnt vmcnt(2)
	v_fmac_f32_e32 v15, v22, v18
	v_add_co_ci_u32_e64 v22, null, 0, v10, s2
	s_waitcnt vmcnt(1)
	v_fmac_f32_e32 v16, v23, v19
	s_waitcnt vmcnt(0)
	v_fmac_f32_e32 v13, v24, v20
	global_load_dwordx4 v[17:20], v[21:22], off offset:-2048
	s_clause 0x3
	buffer_load_dword v23, off, s[48:51], 0 offset:616
	buffer_load_dword v24, off, s[48:51], 0 offset:620
	;; [unrolled: 1-line block ×4, first 2 shown]
	s_waitcnt vmcnt(3)
	v_fmac_f32_e32 v14, v23, v17
	v_add_co_u32 v23, s2, 0x4800, v9
	s_waitcnt vmcnt(2)
	v_fmac_f32_e32 v15, v24, v18
	v_add_co_ci_u32_e64 v24, null, 0, v10, s2
	s_waitcnt vmcnt(1)
	v_fmac_f32_e32 v16, v25, v19
	s_waitcnt vmcnt(0)
	v_fmac_f32_e32 v13, v26, v20
	global_load_dwordx4 v[17:20], v[23:24], off offset:512
	s_clause 0x3
	buffer_load_dword v25, off, s[48:51], 0 offset:632
	buffer_load_dword v26, off, s[48:51], 0 offset:636
	;; [unrolled: 1-line block ×4, first 2 shown]
	s_waitcnt vmcnt(3)
	v_fmac_f32_e32 v14, v25, v17
	s_waitcnt vmcnt(2)
	v_fmac_f32_e32 v15, v26, v18
	;; [unrolled: 2-line block ×4, first 2 shown]
	global_load_dwordx4 v[17:20], v[23:24], off offset:1024
	s_waitcnt vmcnt(0) lgkmcnt(25)
	v_fmac_f32_e32 v14, v29, v17
	v_fmac_f32_e32 v15, v30, v18
	;; [unrolled: 1-line block ×4, first 2 shown]
	global_load_dwordx4 v[17:20], v[23:24], off offset:1536
	s_waitcnt vmcnt(0) lgkmcnt(24)
	v_fmac_f32_e32 v14, v33, v17
	v_fmac_f32_e32 v15, v34, v18
	;; [unrolled: 1-line block ×4, first 2 shown]
	global_load_dwordx4 v[17:20], v[21:22], off
	v_add_co_u32 v21, s2, 0x5000, v9
	v_add_co_ci_u32_e64 v22, null, 0, v10, s2
	s_waitcnt vmcnt(0) lgkmcnt(23)
	v_fmac_f32_e32 v14, v37, v17
	v_fmac_f32_e32 v15, v38, v18
	v_fmac_f32_e32 v16, v39, v19
	v_fmac_f32_e32 v13, v40, v20
	global_load_dwordx4 v[17:20], v[21:22], off offset:512
	s_waitcnt vmcnt(0) lgkmcnt(22)
	v_fmac_f32_e32 v14, v41, v17
	v_fmac_f32_e32 v15, v42, v18
	v_fmac_f32_e32 v16, v43, v19
	v_fmac_f32_e32 v13, v44, v20
	global_load_dwordx4 v[17:20], v[21:22], off offset:1024
	;; [unrolled: 6-line block ×3, first 2 shown]
	v_add_co_u32 v21, s2, v9, 0x6000
	v_add_co_ci_u32_e64 v22, null, 0, v10, s2
	v_add_co_u32 v23, s2, 0x5800, v9
	v_add_co_ci_u32_e64 v24, null, 0, v10, s2
	s_waitcnt vmcnt(0) lgkmcnt(20)
	v_fmac_f32_e32 v14, v49, v17
	v_fmac_f32_e32 v15, v50, v18
	;; [unrolled: 1-line block ×4, first 2 shown]
	global_load_dwordx4 v[17:20], v[21:22], off offset:-2048
	s_waitcnt vmcnt(0) lgkmcnt(19)
	v_fmac_f32_e32 v14, v53, v17
	v_fmac_f32_e32 v15, v54, v18
	v_fmac_f32_e32 v16, v55, v19
	v_fmac_f32_e32 v13, v56, v20
	global_load_dwordx4 v[17:20], v[23:24], off offset:512
	s_waitcnt vmcnt(0) lgkmcnt(18)
	v_fmac_f32_e32 v14, v57, v17
	v_fmac_f32_e32 v15, v58, v18
	v_fmac_f32_e32 v16, v59, v19
	v_fmac_f32_e32 v13, v60, v20
	global_load_dwordx4 v[17:20], v[23:24], off offset:1024
	;; [unrolled: 6-line block ×3, first 2 shown]
	s_waitcnt vmcnt(0) lgkmcnt(16)
	v_fmac_f32_e32 v14, v65, v17
	v_fmac_f32_e32 v15, v66, v18
	;; [unrolled: 1-line block ×4, first 2 shown]
	global_load_dwordx4 v[17:20], v[21:22], off
	v_add_co_u32 v21, s2, 0x6000, v9
	v_add_co_ci_u32_e64 v22, null, 0, v10, s2
	s_waitcnt vmcnt(0) lgkmcnt(15)
	v_fmac_f32_e32 v14, v69, v17
	v_fmac_f32_e32 v15, v70, v18
	v_fmac_f32_e32 v16, v71, v19
	v_fmac_f32_e32 v13, v72, v20
	global_load_dwordx4 v[17:20], v[21:22], off offset:512
	s_waitcnt vmcnt(0) lgkmcnt(14)
	v_fmac_f32_e32 v14, v73, v17
	v_fmac_f32_e32 v15, v74, v18
	v_fmac_f32_e32 v16, v75, v19
	v_fmac_f32_e32 v13, v20, v76
	global_load_dwordx4 v[17:20], v[21:22], off offset:1024
	;; [unrolled: 6-line block ×3, first 2 shown]
	v_add_co_u32 v21, s2, v9, 0x7000
	v_add_co_ci_u32_e64 v22, null, 0, v10, s2
	v_add_co_u32 v23, s2, 0x6800, v9
	v_add_co_ci_u32_e64 v24, null, 0, v10, s2
	s_waitcnt vmcnt(0) lgkmcnt(12)
	v_fmac_f32_e32 v14, v17, v81
	v_fmac_f32_e32 v15, v18, v82
	;; [unrolled: 1-line block ×4, first 2 shown]
	global_load_dwordx4 v[17:20], v[21:22], off offset:-2048
	s_waitcnt vmcnt(0) lgkmcnt(11)
	v_fmac_f32_e32 v14, v17, v85
	v_fmac_f32_e32 v15, v18, v86
	v_fmac_f32_e32 v16, v19, v87
	v_fmac_f32_e32 v13, v20, v88
	global_load_dwordx4 v[17:20], v[23:24], off offset:512
	s_waitcnt vmcnt(0) lgkmcnt(10)
	v_fmac_f32_e32 v14, v17, v89
	v_fmac_f32_e32 v15, v18, v90
	v_fmac_f32_e32 v16, v19, v91
	v_fmac_f32_e32 v13, v20, v92
	global_load_dwordx4 v[17:20], v[23:24], off offset:1024
	;; [unrolled: 6-line block ×3, first 2 shown]
	s_waitcnt vmcnt(0) lgkmcnt(8)
	v_fmac_f32_e32 v14, v17, v97
	v_fmac_f32_e32 v15, v18, v98
	;; [unrolled: 1-line block ×4, first 2 shown]
	global_load_dwordx4 v[17:20], v[21:22], off
	v_add_co_u32 v21, s2, 0x7000, v9
	v_add_co_ci_u32_e64 v22, null, 0, v10, s2
	v_add_co_u32 v9, s2, 0x7800, v9
	v_add_co_ci_u32_e64 v10, null, 0, v10, s2
	s_waitcnt vmcnt(0) lgkmcnt(7)
	v_fmac_f32_e32 v14, v17, v101
	v_fmac_f32_e32 v15, v18, v102
	v_fmac_f32_e32 v16, v19, v103
	v_fmac_f32_e32 v13, v20, v104
	global_load_dwordx4 v[17:20], v[21:22], off offset:512
	s_waitcnt vmcnt(0) lgkmcnt(6)
	v_fmac_f32_e32 v14, v17, v105
	v_fmac_f32_e32 v15, v18, v106
	v_fmac_f32_e32 v16, v19, v107
	v_fmac_f32_e32 v13, v20, v108
	global_load_dwordx4 v[17:20], v[21:22], off offset:1024
	s_waitcnt vmcnt(0) lgkmcnt(5)
	v_fmac_f32_e32 v14, v17, v109
	v_fmac_f32_e32 v15, v18, v110
	v_fmac_f32_e32 v16, v19, v111
	v_fmac_f32_e32 v13, v20, v112
	global_load_dwordx4 v[17:20], v[21:22], off offset:1536
	s_waitcnt vmcnt(0) lgkmcnt(4)
	v_fmac_f32_e32 v14, v17, v113
	v_fmac_f32_e32 v15, v18, v114
	;; [unrolled: 1-line block ×4, first 2 shown]
	global_load_dwordx4 v[17:20], v[9:10], off
	s_waitcnt vmcnt(0) lgkmcnt(3)
	v_fmac_f32_e32 v14, v17, v117
	v_fmac_f32_e32 v15, v18, v118
	v_fmac_f32_e32 v16, v19, v119
	v_fmac_f32_e32 v13, v20, v120
	global_load_dwordx4 v[17:20], v[9:10], off offset:512
	s_waitcnt vmcnt(0) lgkmcnt(2)
	v_fmac_f32_e32 v14, v17, v121
	v_fmac_f32_e32 v15, v18, v122
	v_fmac_f32_e32 v16, v19, v123
	v_fmac_f32_e32 v13, v20, v124
	global_load_dwordx4 v[17:20], v[9:10], off offset:1024
	;; [unrolled: 6-line block ×3, first 2 shown]
	s_waitcnt vmcnt(0) lgkmcnt(0)
	v_fmac_f32_e32 v14, v17, v5
	v_fmac_f32_e32 v15, v18, v6
	;; [unrolled: 1-line block ×4, first 2 shown]
	v_add_f32_e32 v9, v14, v15
	v_add_f32_e32 v9, v16, v9
	s_clause 0x1
	buffer_load_dword v16, off, s[48:51], 0 offset:648
	buffer_load_dword v10, off, s[48:51], 0 offset:884
	v_add_f32_e32 v9, v13, v9
	s_waitcnt vmcnt(0)
	v_add_nc_u32_e32 v10, v10, v11
	v_cmp_gt_i32_e64 s2, s27, v10
	buffer_load_dword v10, off, s[48:51], 0 offset:652 ; 4-byte Folded Reload
	s_waitcnt vmcnt(0)
	v_add_nc_u32_e32 v10, v10, v11
	v_cvt_f32_i32_e32 v10, v10
	v_mul_f32_e32 v10, s40, v10
	v_cndmask_b32_e32 v10, 0, v10, vcc_lo
	v_fmac_f32_e32 v10, s37, v9
	v_max_f32_e32 v9, v0, v0
	v_max_f32_e32 v9, v9, v10
	v_cndmask_b32_e64 v0, v0, v9, s2
	v_cndmask_b32_e64 v9, 0, v10, s2
	ds_write_b32 v12, v9
	s_branch .LBB53_11
.LBB53_16:
	s_or_b32 exec_lo, exec_lo, s15
	buffer_load_dword v15, off, s[48:51], 0 offset:656 ; 4-byte Folded Reload
.LBB53_17:
	s_or_b32 exec_lo, exec_lo, s42
	s_waitcnt lgkmcnt(1)
	v_mbcnt_lo_u32_b32 v3, -1, 0
	v_xor_b32_e32 v1, 16, v3
	v_xor_b32_e32 v4, 8, v3
	v_cmp_gt_i32_e32 vcc_lo, 32, v1
	v_cndmask_b32_e32 v1, v3, v1, vcc_lo
	v_cmp_gt_i32_e32 vcc_lo, 32, v4
	v_lshlrev_b32_e32 v1, 2, v1
	v_cndmask_b32_e32 v4, v3, v4, vcc_lo
	ds_bpermute_b32 v2, v1, v0
	v_max_f32_e32 v0, v0, v0
	s_waitcnt lgkmcnt(0)
	v_max_f32_e32 v5, v2, v2
	v_lshlrev_b32_e32 v2, 2, v4
	v_max_f32_e32 v0, v0, v5
	v_xor_b32_e32 v5, 4, v3
	ds_bpermute_b32 v4, v2, v0
	v_cmp_gt_i32_e32 vcc_lo, 32, v5
	v_cndmask_b32_e32 v5, v3, v5, vcc_lo
	v_lshlrev_b32_e32 v5, 2, v5
	buffer_store_dword v5, off, s[48:51], 0 offset:920 ; 4-byte Folded Spill
	s_waitcnt lgkmcnt(0)
	v_max_f32_e32 v4, v4, v4
	v_max_f32_e32 v0, v0, v4
	ds_bpermute_b32 v4, v5, v0
	v_xor_b32_e32 v5, 2, v3
	v_cmp_gt_i32_e32 vcc_lo, 32, v5
	v_cndmask_b32_e32 v5, v3, v5, vcc_lo
	v_lshlrev_b32_e32 v5, 2, v5
	s_waitcnt lgkmcnt(0)
	v_max_f32_e32 v4, v4, v4
	buffer_store_dword v5, off, s[48:51], 0 offset:908 ; 4-byte Folded Spill
	v_max_f32_e32 v0, v0, v4
	ds_bpermute_b32 v4, v5, v0
	v_xor_b32_e32 v5, 1, v3
	v_cmp_gt_i32_e32 vcc_lo, 32, v5
	v_cndmask_b32_e32 v3, v3, v5, vcc_lo
	v_lshlrev_b32_e32 v5, 2, v3
	s_waitcnt lgkmcnt(0)
	v_max_f32_e32 v4, v4, v4
	v_max_f32_e32 v0, v0, v4
	buffer_load_dword v4, off, s[48:51], 0 offset:884 ; 4-byte Folded Reload
	ds_bpermute_b32 v3, v5, v0
	s_waitcnt vmcnt(0)
	v_cmp_eq_u32_e32 vcc_lo, 0, v4
	buffer_load_dword v4, off, s[48:51], 0 offset:912 ; 4-byte Folded Reload
	s_waitcnt vmcnt(0)
	v_lshlrev_b32_e32 v4, 2, v4
	s_and_saveexec_b32 s2, vcc_lo
	s_cbranch_execz .LBB53_19
; %bb.18:
	s_waitcnt lgkmcnt(0)
	v_max_f32_e32 v3, v3, v3
	v_max_f32_e32 v0, v0, v0
	;; [unrolled: 1-line block ×3, first 2 shown]
	ds_write_b32 v4, v0 offset:1024
.LBB53_19:
	s_or_b32 exec_lo, exec_lo, s2
	buffer_load_dword v0, off, s[48:51], 0 offset:884 ; 4-byte Folded Reload
	s_waitcnt vmcnt(0) lgkmcnt(0)
	s_waitcnt_vscnt null, 0x0
	s_barrier
	buffer_gl0_inv
	v_cmp_gt_u32_e64 s2, 4, v0
	v_mov_b32_e32 v0, 0xff7fffff
	s_and_saveexec_b32 s3, s2
; %bb.20:
	ds_read_b32 v0, v15 offset:1024
; %bb.21:
	s_or_b32 exec_lo, exec_lo, s3
	buffer_load_dword v3, off, s[48:51], 0 offset:908 ; 4-byte Folded Reload
	buffer_store_dword v5, off, s[48:51], 0 offset:916 ; 4-byte Folded Spill
	s_sub_i32 s3, s16, s41
	s_lshl_b32 s3, s3, 5
	s_add_i32 s3, s3, s38
	s_min_i32 s3, s3, s27
	s_sub_i32 s5, s3, s38
	s_waitcnt vmcnt(0) lgkmcnt(0)
	ds_bpermute_b32 v3, v3, v0
	v_max_f32_e32 v0, v0, v0
	s_waitcnt lgkmcnt(0)
	v_max_f32_e32 v3, v3, v3
	v_max_f32_e32 v0, v0, v3
	ds_bpermute_b32 v3, v5, v0
	v_mov_b32_e32 v5, 0
	s_waitcnt lgkmcnt(0)
	v_max_f32_e32 v3, v3, v3
	v_max_f32_e32 v0, v0, v3
	buffer_load_dword v3, off, s[48:51], 0 offset:888 ; 4-byte Folded Reload
	ds_bpermute_b32 v0, v5, v0
	s_waitcnt vmcnt(0)
	v_cmp_gt_i32_e64 s3, s5, v3
	v_lshl_add_u32 v3, v3, 2, 0x420
	s_and_saveexec_b32 s15, s3
	s_cbranch_execz .LBB53_25
; %bb.22:
	buffer_load_dword v7, off, s[48:51], 0 offset:888 ; 4-byte Folded Reload
	v_mov_b32_e32 v5, 0
	s_mov_b32 s37, 0
	s_waitcnt vmcnt(0)
	v_lshl_add_u32 v6, v7, 2, 0x420
	.p2align	6
.LBB53_23:                              ; =>This Inner Loop Header: Depth=1
	ds_read_b32 v8, v6
	v_add_nc_u32_e32 v7, 0x80, v7
	v_cmp_le_i32_e64 s4, s5, v7
	s_or_b32 s37, s4, s37
	s_waitcnt lgkmcnt(0)
	v_sub_f32_e32 v8, v8, v0
	v_mul_f32_e32 v8, 0x3fb8aa3b, v8
	v_exp_f32_e32 v8, v8
	ds_write_b32 v6, v8
	v_add_f32_e32 v5, v5, v8
	v_add_nc_u32_e32 v6, 0x200, v6
	s_andn2_b32 exec_lo, exec_lo, s37
	s_cbranch_execnz .LBB53_23
; %bb.24:
	s_or_b32 exec_lo, exec_lo, s37
.LBB53_25:
	s_or_b32 exec_lo, exec_lo, s15
	ds_bpermute_b32 v1, v1, v5
	s_waitcnt lgkmcnt(0)
	v_add_f32_e32 v1, v5, v1
	buffer_load_dword v5, off, s[48:51], 0 offset:916 ; 4-byte Folded Reload
	ds_bpermute_b32 v2, v2, v1
	s_waitcnt lgkmcnt(0)
	v_add_f32_e32 v1, v1, v2
	buffer_load_dword v2, off, s[48:51], 0 offset:920 ; 4-byte Folded Reload
	s_waitcnt vmcnt(0)
	ds_bpermute_b32 v2, v2, v1
	s_waitcnt lgkmcnt(0)
	v_add_f32_e32 v1, v1, v2
	buffer_load_dword v2, off, s[48:51], 0 offset:908 ; 4-byte Folded Reload
	s_waitcnt vmcnt(0)
	ds_bpermute_b32 v2, v2, v1
	s_waitcnt lgkmcnt(0)
	v_add_f32_e32 v1, v1, v2
	ds_bpermute_b32 v2, v5, v1
	s_waitcnt lgkmcnt(0)
	v_add_f32_e32 v1, v1, v2
	s_and_saveexec_b32 s4, vcc_lo
; %bb.26:
	ds_write_b32 v4, v1 offset:1040
; %bb.27:
	s_or_b32 exec_lo, exec_lo, s4
	s_waitcnt lgkmcnt(0)
	s_waitcnt_vscnt null, 0x0
	s_barrier
	buffer_gl0_inv
	s_and_saveexec_b32 s4, s2
; %bb.28:
	ds_read_b32 v1, v15 offset:1040
; %bb.29:
	s_or_b32 exec_lo, exec_lo, s4
	buffer_load_dword v2, off, s[48:51], 0 offset:908 ; 4-byte Folded Reload
	s_waitcnt vmcnt(0) lgkmcnt(0)
	ds_bpermute_b32 v2, v2, v1
	s_waitcnt lgkmcnt(0)
	v_add_f32_e32 v1, v1, v2
	ds_bpermute_b32 v2, v5, v1
	s_waitcnt lgkmcnt(0)
	v_add_f32_e32 v1, v1, v2
	v_mov_b32_e32 v2, 0
	ds_bpermute_b32 v1, v2, v1
	s_and_saveexec_b32 s2, s3
	s_cbranch_execz .LBB53_32
; %bb.30:
	s_waitcnt lgkmcnt(0)
	v_add_f32_e32 v2, 0x358637bd, v1
	s_mov_b32 s3, 0
	v_div_scale_f32 v4, null, v2, v2, 1.0
	v_div_scale_f32 v7, vcc_lo, 1.0, v2, 1.0
	v_rcp_f32_e32 v5, v4
	v_fma_f32 v6, -v4, v5, 1.0
	v_fmac_f32_e32 v5, v6, v5
	v_mul_f32_e32 v6, v7, v5
	v_fma_f32 v8, -v4, v6, v7
	v_fmac_f32_e32 v6, v8, v5
	v_fma_f32 v4, -v4, v6, v7
	v_div_fmas_f32 v4, v4, v5, v6
	v_div_fixup_f32 v2, v4, v2, 1.0
	buffer_load_dword v4, off, s[48:51], 0 offset:888 ; 4-byte Folded Reload
.LBB53_31:                              ; =>This Inner Loop Header: Depth=1
	ds_read_b32 v5, v3
	s_waitcnt vmcnt(0)
	v_add_nc_u32_e32 v4, 0x80, v4
	v_cmp_le_i32_e32 vcc_lo, s5, v4
	s_or_b32 s3, vcc_lo, s3
	s_waitcnt lgkmcnt(0)
	v_mul_f32_e32 v5, v2, v5
	ds_write_b32 v3, v5
	v_add_nc_u32_e32 v3, 0x200, v3
	s_andn2_b32 exec_lo, exec_lo, s3
	s_cbranch_execnz .LBB53_31
.LBB53_32:
	s_or_b32 exec_lo, exec_lo, s2
	s_waitcnt lgkmcnt(0)
	buffer_load_dword v2, off, s[48:51], 0 offset:888 ; 4-byte Folded Reload
	s_mul_i32 s2, s7, s26
	s_mov_b32 s4, exec_lo
	s_mul_i32 s2, s2, s9
	s_barrier
	s_waitcnt vmcnt(0)
	buffer_gl0_inv
	v_cmpx_eq_u32_e32 0, v2
	s_cbranch_execz .LBB53_34
; %bb.33:
	s_ashr_i32 s3, s2, 31
	s_mul_i32 s42, s7, s6
	s_lshl_b64 s[40:41], s[2:3], 2
	v_mov_b32_e32 v2, 0
	s_add_u32 s3, s22, s40
	s_addc_u32 s5, s23, s41
	s_ashr_i32 s43, s42, 31
	s_lshl_b64 s[22:23], s[42:43], 2
	s_add_u32 s3, s3, s22
	s_addc_u32 s5, s5, s23
	s_ashr_i32 s9, s8, 31
	s_lshl_b64 s[42:43], s[8:9], 2
	s_add_u32 s44, s3, s42
	s_addc_u32 s45, s5, s43
	s_add_u32 s3, s20, s40
	s_addc_u32 s5, s21, s41
	;; [unrolled: 2-line block ×4, first 2 shown]
	global_store_dword v2, v0, s[44:45]
	global_store_dword v2, v1, s[20:21]
.LBB53_34:
	s_or_b32 exec_lo, exec_lo, s4
	v_mov_b32_e32 v0, 0
	v_mov_b32_e32 v20, 0
	;; [unrolled: 1-line block ×5, first 2 shown]
	buffer_store_dword v0, off, s[48:51], 0 offset:844 ; 4-byte Folded Spill
	v_mov_b32_e32 v0, 0
	v_mov_b32_e32 v4, 0
	;; [unrolled: 1-line block ×5, first 2 shown]
	buffer_store_dword v0, off, s[48:51], 0 offset:840 ; 4-byte Folded Spill
	v_mov_b32_e32 v0, 0
	buffer_store_dword v0, off, s[48:51], 0 offset:836 ; 4-byte Folded Spill
	v_mov_b32_e32 v0, 0
	;; [unrolled: 2-line block ×54, first 2 shown]
	buffer_store_dword v0, off, s[48:51], 0 offset:552 ; 4-byte Folded Spill
	s_and_saveexec_b32 s3, s1
	s_cbranch_execz .LBB53_168
; %bb.35:
	buffer_load_dword v1, off, s[48:51], 0 offset:888 ; 4-byte Folded Reload
	v_mov_b32_e32 v2, 0
	s_lshl_b32 s1, s38, 2
	s_lshl_b64 s[20:21], s[34:35], 2
	s_sub_i32 s4, 0x420, s1
	s_add_u32 s5, s28, s20
	buffer_store_dword v2, off, s[48:51], 0 offset:552 ; 4-byte Folded Spill
	v_mov_b32_e32 v2, 0
	s_addc_u32 s6, s29, s21
	s_ashr_i32 s15, s14, 31
	s_sub_i32 s9, s39, s17
	s_lshl_b64 s[14:15], s[14:15], 2
	buffer_store_dword v2, off, s[48:51], 0 offset:568 ; 4-byte Folded Spill
	v_mov_b32_e32 v2, 0
	s_add_u32 s14, s30, s14
	s_addc_u32 s15, s31, s15
	s_abs_i32 s17, s18
	v_mov_b32_e32 v3, 0
	buffer_store_dword v2, off, s[48:51], 0 offset:584 ; 4-byte Folded Spill
	v_mov_b32_e32 v2, 0
	v_cvt_f32_u32_e32 v0, s17
	s_sub_i32 s1, 0, s17
	buffer_store_dword v3, off, s[48:51], 0 offset:688 ; 4-byte Folded Spill
	v_mov_b32_e32 v3, 0
	buffer_store_dword v2, off, s[48:51], 0 offset:600 ; 4-byte Folded Spill
	v_mov_b32_e32 v2, 0
	v_rcp_iflag_f32_e32 v0, v0
	v_mov_b32_e32 v6, 0
	buffer_store_dword v3, off, s[48:51], 0 offset:692 ; 4-byte Folded Spill
	v_mov_b32_e32 v3, 0
	buffer_store_dword v2, off, s[48:51], 0 offset:616 ; 4-byte Folded Spill
	v_mov_b32_e32 v2, 0
	buffer_store_dword v6, off, s[48:51], 0 offset:712 ; 4-byte Folded Spill
	v_mov_b32_e32 v81, 0
	buffer_store_dword v3, off, s[48:51], 0 offset:696 ; 4-byte Folded Spill
	v_mov_b32_e32 v3, 0
	buffer_store_dword v2, off, s[48:51], 0 offset:632 ; 4-byte Folded Spill
	v_mov_b32_e32 v2, 0
	v_mul_f32_e32 v0, 0x4f7ffffe, v0
	v_mov_b32_e32 v9, 0
	buffer_store_dword v3, off, s[48:51], 0 offset:700 ; 4-byte Folded Spill
	v_mov_b32_e32 v3, 0
	buffer_store_dword v2, off, s[48:51], 0 offset:648 ; 4-byte Folded Spill
	v_mov_b32_e32 v2, 0
	v_cvt_u32_f32_e32 v0, v0
	v_mov_b32_e32 v10, 0
	buffer_store_dword v3, off, s[48:51], 0 offset:704 ; 4-byte Folded Spill
	v_mov_b32_e32 v3, 0
	buffer_store_dword v2, off, s[48:51], 0 offset:652 ; 4-byte Folded Spill
	v_mov_b32_e32 v2, 0
	v_mov_b32_e32 v17, 0
	;; [unrolled: 1-line block ×3, first 2 shown]
	buffer_store_dword v3, off, s[48:51], 0 offset:708 ; 4-byte Folded Spill
	v_mov_b32_e32 v19, 0
	buffer_store_dword v2, off, s[48:51], 0 offset:656 ; 4-byte Folded Spill
	v_mov_b32_e32 v2, 0
	v_mov_b32_e32 v20, 0
	s_add_i32 s20, s36, -1
	s_mov_b32 s18, 0
	buffer_store_dword v2, off, s[48:51], 0 offset:660 ; 4-byte Folded Spill
	v_mov_b32_e32 v2, 0
	buffer_store_dword v2, off, s[48:51], 0 offset:664 ; 4-byte Folded Spill
	v_mov_b32_e32 v2, 0
	;; [unrolled: 2-line block ×6, first 2 shown]
	buffer_store_dword v2, off, s[48:51], 0 offset:684 ; 4-byte Folded Spill
	v_mul_lo_u32 v2, s1, v0
	v_mul_hi_u32 v2, v0, v2
	v_add_nc_u32_e32 v0, v0, v2
	buffer_store_dword v0, off, s[48:51], 0 offset:852 ; 4-byte Folded Spill
	v_mov_b32_e32 v0, 0
	buffer_store_dword v0, off, s[48:51], 0 offset:716 ; 4-byte Folded Spill
	v_mov_b32_e32 v0, 0
	;; [unrolled: 2-line block ×34, first 2 shown]
	s_waitcnt vmcnt(0)
	v_lshlrev_b32_e32 v1, 2, v1
	buffer_store_dword v0, off, s[48:51], 0 offset:848 ; 4-byte Folded Spill
	v_and_b32_e32 v3, 0x7c, v1
	v_or_b32_e32 v4, 0xf80, v1
	v_or_b32_e32 v5, 0x1f80, v1
	v_and_b32_e32 v1, 28, v1
	buffer_store_dword v1, off, s[48:51], 0 offset:892 ; 4-byte Folded Spill
	v_lshlrev_b32_e32 v1, 2, v3
	buffer_store_dword v1, off, s[48:51], 0 offset:896 ; 4-byte Folded Spill
	v_lshlrev_b32_e32 v1, 2, v4
	;; [unrolled: 2-line block ×3, first 2 shown]
	buffer_store_dword v1, off, s[48:51], 0 offset:904 ; 4-byte Folded Spill
	s_clause 0x1
	buffer_load_dword v0, off, s[48:51], 0
	buffer_load_dword v1, off, s[48:51], 0 offset:4
	s_branch .LBB53_38
.LBB53_36:                              ;   in Loop: Header=BB53_38 Depth=1
	s_or_b32 exec_lo, exec_lo, s1
	s_waitcnt lgkmcnt(0)
	v_mul_f32_e32 v0, v5, v17
	v_mul_f32_e32 v65, v5, v65
	;; [unrolled: 1-line block ×5, first 2 shown]
	v_fmac_f32_e32 v0, v6, v18
	v_fmac_f32_e32 v65, v6, v66
	;; [unrolled: 1-line block ×11, first 2 shown]
	v_mul_f32_e32 v20, v5, v69
	v_fmac_f32_e32 v65, v8, v68
	s_clause 0x3
	buffer_load_dword v66, off, s[48:51], 0 offset:536
	buffer_load_dword v67, off, s[48:51], 0 offset:540
	;; [unrolled: 1-line block ×4, first 2 shown]
	v_fmac_f32_e32 v21, v8, v24
	v_fmac_f32_e32 v25, v8, v28
	;; [unrolled: 1-line block ×3, first 2 shown]
	v_mul_f32_e32 v33, v5, v33
	v_mul_f32_e32 v37, v5, v37
	v_mul_f32_e32 v41, v5, v41
	v_mul_f32_e32 v45, v5, v45
	v_mul_f32_e32 v49, v5, v49
	v_fmac_f32_e32 v33, v6, v34
	v_fmac_f32_e32 v37, v6, v38
	;; [unrolled: 1-line block ×15, first 2 shown]
	v_mul_f32_e32 v13, v5, v13
	v_mul_f32_e32 v9, v5, v9
	;; [unrolled: 1-line block ×5, first 2 shown]
	v_fmac_f32_e32 v13, v6, v14
	v_fmac_f32_e32 v9, v6, v10
	;; [unrolled: 1-line block ×3, first 2 shown]
	v_mul_f32_e32 v2, v5, v121
	v_mul_f32_e32 v10, v5, v109
	v_fmac_f32_e32 v13, v7, v15
	v_fmac_f32_e32 v9, v7, v11
	;; [unrolled: 1-line block ×4, first 2 shown]
	v_mul_f32_e32 v3, v5, v117
	v_fmac_f32_e32 v13, v8, v16
	v_fmac_f32_e32 v9, v8, v12
	;; [unrolled: 1-line block ×5, first 2 shown]
	v_mul_f32_e32 v4, v5, v113
	v_fmac_f32_e32 v10, v6, v110
	v_mul_f32_e32 v11, v5, v105
	v_fmac_f32_e32 v2, v8, v124
	v_fmac_f32_e32 v3, v7, v119
	;; [unrolled: 1-line block ×5, first 2 shown]
	v_mul_f32_e32 v12, v5, v101
	v_fmac_f32_e32 v3, v8, v120
	v_fmac_f32_e32 v4, v7, v115
	;; [unrolled: 1-line block ×5, first 2 shown]
	v_mul_f32_e32 v14, v5, v97
	v_fmac_f32_e32 v4, v8, v116
	v_mul_f32_e32 v15, v5, v93
	v_fmac_f32_e32 v11, v8, v108
	v_fmac_f32_e32 v12, v7, v103
	;; [unrolled: 1-line block ×3, first 2 shown]
	v_mul_f32_e32 v16, v5, v89
	v_fmac_f32_e32 v15, v6, v94
	v_fmac_f32_e32 v17, v6, v86
	;; [unrolled: 1-line block ×13, first 2 shown]
	v_mul_f32_e32 v19, v5, v73
	v_fmac_f32_e32 v16, v8, v92
	v_fmac_f32_e32 v20, v6, v70
	v_mul_f32_e32 v61, v5, v61
	v_fmac_f32_e32 v18, v8, v80
	v_fmac_f32_e32 v19, v6, v74
	;; [unrolled: 3-line block ×4, first 2 shown]
	v_fmac_f32_e32 v20, v8, v72
	v_fmac_f32_e32 v61, v7, v63
	;; [unrolled: 1-line block ×9, first 2 shown]
	s_waitcnt vmcnt(3)
	v_mul_f32_e32 v22, v5, v66
	s_waitcnt vmcnt(2)
	v_fmac_f32_e32 v22, v6, v67
	s_waitcnt vmcnt(1)
	v_fmac_f32_e32 v22, v7, v68
	s_waitcnt vmcnt(0)
	v_fmac_f32_e32 v22, v8, v69
	s_clause 0x3
	buffer_load_dword v66, off, s[48:51], 0 offset:520
	buffer_load_dword v67, off, s[48:51], 0 offset:524
	buffer_load_dword v68, off, s[48:51], 0 offset:528
	buffer_load_dword v69, off, s[48:51], 0 offset:532
	s_waitcnt vmcnt(3)
	v_mul_f32_e32 v23, v5, v66
	s_waitcnt vmcnt(2)
	v_fmac_f32_e32 v23, v6, v67
	s_waitcnt vmcnt(1)
	v_fmac_f32_e32 v23, v7, v68
	s_waitcnt vmcnt(0)
	v_fmac_f32_e32 v23, v8, v69
	s_clause 0x3
	buffer_load_dword v66, off, s[48:51], 0 offset:504
	buffer_load_dword v67, off, s[48:51], 0 offset:508
	buffer_load_dword v68, off, s[48:51], 0 offset:512
	buffer_load_dword v69, off, s[48:51], 0 offset:516
	;; [unrolled: 13-line block ×22, first 2 shown]
	buffer_load_dword v52, off, s[48:51], 0 offset:552
	s_waitcnt vmcnt(4)
	v_mul_f32_e32 v51, v5, v66
	s_waitcnt vmcnt(0)
	v_add_f32_e32 v52, v52, v0
	buffer_load_dword v0, off, s[48:51], 0 offset:568 ; 4-byte Folded Reload
	v_fmac_f32_e32 v51, v6, v67
	buffer_store_dword v52, off, s[48:51], 0 offset:552 ; 4-byte Folded Spill
	v_fmac_f32_e32 v51, v7, v68
	v_fmac_f32_e32 v51, v8, v69
	s_waitcnt vmcnt(0)
	v_add_f32_e32 v0, v0, v13
	buffer_store_dword v0, off, s[48:51], 0 offset:568 ; 4-byte Folded Spill
	buffer_load_dword v0, off, s[48:51], 0 offset:860 ; 4-byte Folded Reload
	s_waitcnt vmcnt(0)
	v_add_f32_e32 v9, v0, v9
	buffer_load_dword v0, off, s[48:51], 0 offset:584 ; 4-byte Folded Reload
	s_waitcnt vmcnt(0)
	v_add_f32_e32 v0, v0, v1
	buffer_store_dword v0, off, s[48:51], 0 offset:584 ; 4-byte Folded Spill
	buffer_load_dword v0, off, s[48:51], 0 offset:600 ; 4-byte Folded Reload
	s_waitcnt vmcnt(0)
	v_add_f32_e32 v0, v0, v2
	buffer_store_dword v0, off, s[48:51], 0 offset:600 ; 4-byte Folded Spill
	buffer_load_dword v0, off, s[48:51], 0 offset:616 ; 4-byte Folded Reload
	s_waitcnt vmcnt(0)
	v_add_f32_e32 v0, v0, v3
	buffer_store_dword v0, off, s[48:51], 0 offset:616 ; 4-byte Folded Spill
	buffer_load_dword v0, off, s[48:51], 0 offset:632 ; 4-byte Folded Reload
	s_waitcnt vmcnt(0)
	v_add_f32_e32 v0, v0, v4
	buffer_store_dword v0, off, s[48:51], 0 offset:632 ; 4-byte Folded Spill
	buffer_load_dword v0, off, s[48:51], 0 offset:864 ; 4-byte Folded Reload
	s_waitcnt vmcnt(0)
	v_add_f32_e32 v10, v0, v10
	buffer_load_dword v0, off, s[48:51], 0 offset:648 ; 4-byte Folded Reload
	s_waitcnt vmcnt(0)
	v_add_f32_e32 v0, v0, v11
	buffer_store_dword v0, off, s[48:51], 0 offset:648 ; 4-byte Folded Spill
	buffer_load_dword v0, off, s[48:51], 0 offset:652 ; 4-byte Folded Reload
	s_waitcnt vmcnt(0)
	v_add_f32_e32 v0, v0, v12
	buffer_store_dword v0, off, s[48:51], 0 offset:652 ; 4-byte Folded Spill
	;; [unrolled: 4-line block ×38, first 2 shown]
	s_clause 0x7
	buffer_load_dword v11, off, s[48:51], 0 offset:168
	buffer_load_dword v12, off, s[48:51], 0 offset:172
	;; [unrolled: 1-line block ×8, first 2 shown]
	s_waitcnt vmcnt(7)
	v_mul_f32_e32 v0, v5, v11
	s_waitcnt vmcnt(3)
	v_mul_f32_e32 v1, v5, v1
	v_fmac_f32_e32 v0, v6, v12
	s_waitcnt vmcnt(2)
	v_fmac_f32_e32 v1, v6, v2
	buffer_load_dword v2, off, s[48:51], 0 offset:800 ; 4-byte Folded Reload
	v_fmac_f32_e32 v0, v7, v13
	s_waitcnt vmcnt(2)
	v_fmac_f32_e32 v1, v7, v3
	v_fmac_f32_e32 v0, v8, v14
	s_waitcnt vmcnt(1)
	v_fmac_f32_e32 v1, v8, v4
	s_waitcnt vmcnt(0)
	v_add_f32_e32 v2, v2, v44
	buffer_store_dword v2, off, s[48:51], 0 offset:800 ; 4-byte Folded Spill
	buffer_load_dword v2, off, s[48:51], 0 offset:804 ; 4-byte Folded Reload
	s_waitcnt vmcnt(0)
	v_add_f32_e32 v2, v2, v46
	buffer_store_dword v2, off, s[48:51], 0 offset:804 ; 4-byte Folded Spill
	buffer_load_dword v2, off, s[48:51], 0 offset:808 ; 4-byte Folded Reload
	;; [unrolled: 4-line block ×6, first 2 shown]
	s_waitcnt vmcnt(0)
	v_add_f32_e32 v2, v2, v0
	buffer_load_dword v0, off, s[48:51], 0 offset:828 ; 4-byte Folded Reload
	buffer_store_dword v2, off, s[48:51], 0 offset:824 ; 4-byte Folded Spill
	s_waitcnt vmcnt(0)
	v_add_f32_e32 v0, v0, v1
	buffer_store_dword v0, off, s[48:51], 0 offset:828 ; 4-byte Folded Spill
	s_clause 0x3
	buffer_load_dword v23, off, s[48:51], 0 offset:136
	buffer_load_dword v24, off, s[48:51], 0 offset:140
	;; [unrolled: 1-line block ×4, first 2 shown]
	s_waitcnt vmcnt(3)
	v_mul_f32_e32 v0, v5, v23
	s_clause 0x3
	buffer_load_dword v20, off, s[48:51], 0 offset:120
	buffer_load_dword v21, off, s[48:51], 0 offset:124
	buffer_load_dword v22, off, s[48:51], 0 offset:128
	buffer_load_dword v23, off, s[48:51], 0 offset:132
	s_waitcnt vmcnt(6)
	v_fmac_f32_e32 v0, v6, v24
	s_waitcnt vmcnt(5)
	v_fmac_f32_e32 v0, v7, v25
	s_waitcnt vmcnt(4)
	v_fmac_f32_e32 v0, v8, v26
	s_waitcnt vmcnt(3)
	v_mul_f32_e32 v1, v5, v20
	s_clause 0x3
	buffer_load_dword v17, off, s[48:51], 0 offset:104
	buffer_load_dword v18, off, s[48:51], 0 offset:108
	buffer_load_dword v19, off, s[48:51], 0 offset:112
	buffer_load_dword v20, off, s[48:51], 0 offset:116
	s_waitcnt vmcnt(6)
	v_fmac_f32_e32 v1, v6, v21
	s_waitcnt vmcnt(5)
	v_fmac_f32_e32 v1, v7, v22
	s_waitcnt vmcnt(4)
	v_fmac_f32_e32 v1, v8, v23
	;; [unrolled: 13-line block ×4, first 2 shown]
	s_waitcnt vmcnt(3)
	v_mul_f32_e32 v4, v5, v11
	buffer_load_dword v11, off, s[48:51], 0 offset:832 ; 4-byte Folded Reload
	s_waitcnt vmcnt(3)
	v_fmac_f32_e32 v4, v6, v12
	s_waitcnt vmcnt(2)
	v_fmac_f32_e32 v4, v7, v13
	;; [unrolled: 2-line block ×3, first 2 shown]
	s_waitcnt vmcnt(0)
	v_add_f32_e32 v11, v11, v0
	buffer_load_dword v0, off, s[48:51], 0 offset:836 ; 4-byte Folded Reload
	buffer_store_dword v11, off, s[48:51], 0 offset:832 ; 4-byte Folded Spill
	s_waitcnt vmcnt(0)
	v_add_f32_e32 v0, v0, v1
	buffer_store_dword v0, off, s[48:51], 0 offset:836 ; 4-byte Folded Spill
	buffer_load_dword v0, off, s[48:51], 0 offset:840 ; 4-byte Folded Reload
	s_waitcnt vmcnt(0)
	v_add_f32_e32 v0, v0, v2
	buffer_store_dword v0, off, s[48:51], 0 offset:840 ; 4-byte Folded Spill
	buffer_load_dword v0, off, s[48:51], 0 offset:844 ; 4-byte Folded Reload
	;; [unrolled: 4-line block ×3, first 2 shown]
	s_waitcnt vmcnt(0)
	v_add_f32_e32 v0, v0, v4
	v_mul_f32_e32 v4, v5, v81
	buffer_store_dword v0, off, s[48:51], 0 offset:848 ; 4-byte Folded Spill
	s_clause 0x3
	buffer_load_dword v20, off, s[48:51], 0 offset:56
	buffer_load_dword v21, off, s[48:51], 0 offset:60
	;; [unrolled: 1-line block ×4, first 2 shown]
	v_fmac_f32_e32 v4, v6, v82
	v_fmac_f32_e32 v4, v7, v83
	;; [unrolled: 1-line block ×3, first 2 shown]
	s_waitcnt vmcnt(3)
	v_mul_f32_e32 v0, v5, v20
	s_clause 0x3
	buffer_load_dword v17, off, s[48:51], 0 offset:40
	buffer_load_dword v18, off, s[48:51], 0 offset:44
	;; [unrolled: 1-line block ×4, first 2 shown]
	s_waitcnt vmcnt(6)
	v_fmac_f32_e32 v0, v6, v21
	s_waitcnt vmcnt(5)
	v_fmac_f32_e32 v0, v7, v22
	;; [unrolled: 2-line block ×3, first 2 shown]
	s_waitcnt vmcnt(3)
	v_mul_f32_e32 v1, v5, v17
	s_clause 0x3
	buffer_load_dword v14, off, s[48:51], 0 offset:24
	buffer_load_dword v15, off, s[48:51], 0 offset:28
	;; [unrolled: 1-line block ×4, first 2 shown]
	s_waitcnt vmcnt(6)
	v_fmac_f32_e32 v1, v6, v18
	s_waitcnt vmcnt(5)
	v_fmac_f32_e32 v1, v7, v19
	;; [unrolled: 2-line block ×3, first 2 shown]
	s_waitcnt vmcnt(3)
	v_mul_f32_e32 v2, v5, v14
	s_clause 0x7
	buffer_load_dword v11, off, s[48:51], 0 offset:8
	buffer_load_dword v12, off, s[48:51], 0 offset:12
	;; [unrolled: 1-line block ×8, first 2 shown]
	s_waitcnt vmcnt(10)
	v_fmac_f32_e32 v2, v6, v15
	s_waitcnt vmcnt(9)
	v_fmac_f32_e32 v2, v7, v16
	;; [unrolled: 2-line block ×3, first 2 shown]
	buffer_load_dword v17, off, s[48:51], 0 offset:868 ; 4-byte Folded Reload
	s_waitcnt vmcnt(8)
	v_mul_f32_e32 v3, v5, v11
	s_waitcnt vmcnt(4)
	v_add_f32_e32 v18, v18, v1
	v_fmac_f32_e32 v3, v6, v12
	s_waitcnt vmcnt(3)
	v_add_f32_e32 v19, v19, v2
	s_waitcnt vmcnt(1)
	v_add_f32_e32 v81, v81, v4
	v_fmac_f32_e32 v3, v7, v13
	v_fmac_f32_e32 v3, v8, v14
	s_waitcnt vmcnt(0)
	v_add_f32_e32 v17, v17, v0
	v_add_f32_e32 v20, v20, v3
.LBB53_37:                              ;   in Loop: Header=BB53_38 Depth=1
	s_or_b32 exec_lo, exec_lo, s21
	s_clause 0x1
	buffer_load_dword v0, off, s[48:51], 0
	buffer_load_dword v1, off, s[48:51], 0 offset:4
	s_waitcnt vmcnt(1)
	v_add_nc_u32_e32 v0, 4, v0
	v_cmp_le_i32_e32 vcc_lo, s16, v0
	s_or_b32 s18, vcc_lo, s18
	s_andn2_b32 exec_lo, exec_lo, s18
	s_cbranch_execz .LBB53_167
.LBB53_38:                              ; =>This Inner Loop Header: Depth=1
	s_waitcnt vmcnt(0)
	v_mov_b32_e32 v1, v0
	v_lshlrev_b32_e32 v0, 5, v0
	buffer_store_dword v1, off, s[48:51], 0 ; 4-byte Folded Spill
	buffer_store_dword v2, off, s[48:51], 0 offset:4 ; 4-byte Folded Spill
	v_sub_nc_u32_e32 v1, 0, v0
	v_max_i32_e32 v1, v0, v1
	v_mul_hi_u32 v2, v1, s12
	v_mul_lo_u32 v3, v2, s11
	v_sub_nc_u32_e32 v1, v1, v3
	v_add_nc_u32_e32 v3, 1, v2
	v_subrev_nc_u32_e32 v4, s11, v1
	v_cmp_le_u32_e32 vcc_lo, s11, v1
	v_cndmask_b32_e32 v2, v2, v3, vcc_lo
	v_cndmask_b32_e32 v1, v1, v4, vcc_lo
	v_ashrrev_i32_e32 v3, 31, v0
	v_add_nc_u32_e32 v4, 1, v2
	v_cmp_le_u32_e32 vcc_lo, s11, v1
	v_xor_b32_e32 v3, s19, v3
	v_cndmask_b32_e32 v1, v2, v4, vcc_lo
	buffer_load_dword v4, off, s[48:51], 0 offset:852 ; 4-byte Folded Reload
	v_xor_b32_e32 v1, v1, v3
	v_sub_nc_u32_e32 v1, v1, v3
	v_add_nc_u32_e32 v2, s33, v1
	v_cmp_lt_i32_e64 s1, s9, v1
	v_sub_nc_u32_e32 v3, 0, v2
	v_max_i32_e32 v3, v2, v3
	v_ashrrev_i32_e32 v2, 31, v2
	s_waitcnt vmcnt(0)
	v_mul_hi_u32 v4, v3, v4
	v_mul_lo_u32 v4, v4, s17
	v_sub_nc_u32_e32 v3, v3, v4
	v_subrev_nc_u32_e32 v4, s17, v3
	v_cmp_le_u32_e32 vcc_lo, s17, v3
	v_cndmask_b32_e32 v3, v3, v4, vcc_lo
	v_subrev_nc_u32_e32 v4, s17, v3
	v_cmp_le_u32_e32 vcc_lo, s17, v3
	v_cndmask_b32_e32 v3, v3, v4, vcc_lo
	v_xor_b32_e32 v3, v3, v2
	v_sub_nc_u32_e32 v2, v3, v2
	v_cmp_eq_u32_e32 vcc_lo, 0, v2
	s_or_b32 s1, vcc_lo, s1
	s_and_saveexec_b32 s21, s1
	s_cbranch_execz .LBB53_37
; %bb.39:                               ;   in Loop: Header=BB53_38 Depth=1
	buffer_store_dword v20, off, s[48:51], 0 offset:880 ; 4-byte Folded Spill
	buffer_store_dword v19, off, s[48:51], 0 offset:876 ; 4-byte Folded Spill
	;; [unrolled: 1-line block ×7, first 2 shown]
	s_clause 0x1
	buffer_load_dword v1, off, s[48:51], 0
	buffer_load_dword v2, off, s[48:51], 0 offset:4
	s_waitcnt vmcnt(1)
	v_mov_b32_e32 v3, v1
	v_ashrrev_i32_e32 v4, 31, v3
	s_waitcnt vmcnt(0)
	v_lshlrev_b64 v[1:2], 2, v[3:4]
	v_add_co_u32 v1, vcc_lo, s5, v1
	v_add_co_ci_u32_e64 v2, null, s6, v2, vcc_lo
	global_load_dword v1, v[1:2], off
	s_waitcnt vmcnt(0)
	v_mad_i64_i32 v[1:2], null, v1, s13, 0
	v_lshlrev_b64 v[1:2], 2, v[1:2]
	v_add_co_u32 v81, vcc_lo, s14, v1
	buffer_load_dword v1, off, s[48:51], 0 offset:896 ; 4-byte Folded Reload
	v_add_co_ci_u32_e64 v82, null, s15, v2, vcc_lo
	s_waitcnt vmcnt(0)
	v_add_co_u32 v9, vcc_lo, v81, v1
	v_add_co_ci_u32_e64 v10, null, 0, v82, vcc_lo
	v_cmp_eq_u32_e32 vcc_lo, s20, v3
	global_load_dwordx4 v[4:7], v[9:10], off
	s_waitcnt vmcnt(0)
	buffer_store_dword v4, off, s[48:51], 0 offset:8 ; 4-byte Folded Spill
	buffer_store_dword v5, off, s[48:51], 0 offset:12 ; 4-byte Folded Spill
	;; [unrolled: 1-line block ×4, first 2 shown]
	buffer_load_dword v1, off, s[48:51], 0 offset:892 ; 4-byte Folded Reload
	s_waitcnt vmcnt(0)
	v_or_b32_e32 v126, v0, v1
	v_lshl_add_u32 v0, v126, 2, s4
	v_or_b32_e32 v125, 1, v126
	v_or_b32_e32 v127, 2, v126
	ds_read_b128 v[5:8], v0
	v_mov_b32_e32 v0, v3
	buffer_store_dword v0, off, s[48:51], 0 ; 4-byte Folded Spill
	buffer_store_dword v1, off, s[48:51], 0 offset:4 ; 4-byte Folded Spill
	v_or_b32_e32 v0, 3, v126
	s_and_saveexec_b32 s22, vcc_lo
	s_cbranch_execz .LBB53_41
; %bb.40:                               ;   in Loop: Header=BB53_38 Depth=1
	s_clause 0x3
	buffer_load_dword v1, off, s[48:51], 0 offset:8
	buffer_load_dword v2, off, s[48:51], 0 offset:12
	buffer_load_dword v3, off, s[48:51], 0 offset:16
	buffer_load_dword v4, off, s[48:51], 0 offset:20
	v_cmp_gt_i32_e64 s1, s27, v126
	s_waitcnt vmcnt(3)
	v_cndmask_b32_e64 v1, 0, v1, s1
	v_cmp_gt_i32_e64 s1, s27, v125
	s_waitcnt vmcnt(2)
	v_cndmask_b32_e64 v2, 0, v2, s1
	v_cmp_gt_i32_e64 s1, s27, v127
	s_waitcnt vmcnt(1)
	v_cndmask_b32_e64 v3, 0, v3, s1
	v_cmp_gt_i32_e64 s1, s27, v0
	s_waitcnt vmcnt(0)
	v_cndmask_b32_e64 v4, 0, v4, s1
	buffer_store_dword v1, off, s[48:51], 0 offset:8 ; 4-byte Folded Spill
	buffer_store_dword v2, off, s[48:51], 0 offset:12 ; 4-byte Folded Spill
	buffer_store_dword v3, off, s[48:51], 0 offset:16 ; 4-byte Folded Spill
	buffer_store_dword v4, off, s[48:51], 0 offset:20 ; 4-byte Folded Spill
.LBB53_41:                              ;   in Loop: Header=BB53_38 Depth=1
	s_or_b32 exec_lo, exec_lo, s22
	global_load_dwordx4 v[1:4], v[9:10], off offset:512
	s_waitcnt vmcnt(0)
	buffer_store_dword v1, off, s[48:51], 0 offset:24 ; 4-byte Folded Spill
	buffer_store_dword v2, off, s[48:51], 0 offset:28 ; 4-byte Folded Spill
	buffer_store_dword v3, off, s[48:51], 0 offset:32 ; 4-byte Folded Spill
	buffer_store_dword v4, off, s[48:51], 0 offset:36 ; 4-byte Folded Spill
	s_and_saveexec_b32 s22, vcc_lo
	s_cbranch_execz .LBB53_43
; %bb.42:                               ;   in Loop: Header=BB53_38 Depth=1
	s_clause 0x3
	buffer_load_dword v1, off, s[48:51], 0 offset:24
	buffer_load_dword v2, off, s[48:51], 0 offset:28
	buffer_load_dword v3, off, s[48:51], 0 offset:32
	buffer_load_dword v4, off, s[48:51], 0 offset:36
	v_cmp_gt_i32_e64 s1, s27, v126
	s_waitcnt vmcnt(3)
	v_cndmask_b32_e64 v1, 0, v1, s1
	v_cmp_gt_i32_e64 s1, s27, v125
	s_waitcnt vmcnt(2)
	v_cndmask_b32_e64 v2, 0, v2, s1
	v_cmp_gt_i32_e64 s1, s27, v127
	s_waitcnt vmcnt(1)
	v_cndmask_b32_e64 v3, 0, v3, s1
	v_cmp_gt_i32_e64 s1, s27, v0
	s_waitcnt vmcnt(0)
	v_cndmask_b32_e64 v4, 0, v4, s1
	buffer_store_dword v1, off, s[48:51], 0 offset:24 ; 4-byte Folded Spill
	buffer_store_dword v2, off, s[48:51], 0 offset:28 ; 4-byte Folded Spill
	buffer_store_dword v3, off, s[48:51], 0 offset:32 ; 4-byte Folded Spill
	buffer_store_dword v4, off, s[48:51], 0 offset:36 ; 4-byte Folded Spill
.LBB53_43:                              ;   in Loop: Header=BB53_38 Depth=1
	s_or_b32 exec_lo, exec_lo, s22
	global_load_dwordx4 v[1:4], v[9:10], off offset:1024
	s_waitcnt vmcnt(0)
	buffer_store_dword v1, off, s[48:51], 0 offset:40 ; 4-byte Folded Spill
	buffer_store_dword v2, off, s[48:51], 0 offset:44 ; 4-byte Folded Spill
	buffer_store_dword v3, off, s[48:51], 0 offset:48 ; 4-byte Folded Spill
	buffer_store_dword v4, off, s[48:51], 0 offset:52 ; 4-byte Folded Spill
	;; [unrolled: 32-line block ×3, first 2 shown]
	s_and_saveexec_b32 s22, vcc_lo
	s_cbranch_execz .LBB53_47
; %bb.46:                               ;   in Loop: Header=BB53_38 Depth=1
	s_clause 0x3
	buffer_load_dword v1, off, s[48:51], 0 offset:56
	buffer_load_dword v2, off, s[48:51], 0 offset:60
	;; [unrolled: 1-line block ×4, first 2 shown]
	v_cmp_gt_i32_e64 s1, s27, v126
	s_waitcnt vmcnt(3)
	v_cndmask_b32_e64 v1, 0, v1, s1
	v_cmp_gt_i32_e64 s1, s27, v125
	s_waitcnt vmcnt(2)
	v_cndmask_b32_e64 v2, 0, v2, s1
	;; [unrolled: 3-line block ×4, first 2 shown]
	buffer_store_dword v1, off, s[48:51], 0 offset:56 ; 4-byte Folded Spill
	buffer_store_dword v2, off, s[48:51], 0 offset:60 ; 4-byte Folded Spill
	;; [unrolled: 1-line block ×4, first 2 shown]
.LBB53_47:                              ;   in Loop: Header=BB53_38 Depth=1
	s_or_b32 exec_lo, exec_lo, s22
	v_add_co_u32 v1, s1, 0x800, v9
	v_add_co_ci_u32_e64 v2, null, 0, v10, s1
	global_load_dwordx4 v[11:14], v[1:2], off
	s_waitcnt vmcnt(0)
	buffer_store_dword v11, off, s[48:51], 0 offset:72 ; 4-byte Folded Spill
	buffer_store_dword v12, off, s[48:51], 0 offset:76 ; 4-byte Folded Spill
	buffer_store_dword v13, off, s[48:51], 0 offset:80 ; 4-byte Folded Spill
	buffer_store_dword v14, off, s[48:51], 0 offset:84 ; 4-byte Folded Spill
	s_and_saveexec_b32 s22, vcc_lo
	s_cbranch_execz .LBB53_49
; %bb.48:                               ;   in Loop: Header=BB53_38 Depth=1
	s_clause 0x3
	buffer_load_dword v11, off, s[48:51], 0 offset:72
	buffer_load_dword v12, off, s[48:51], 0 offset:76
	buffer_load_dword v13, off, s[48:51], 0 offset:80
	buffer_load_dword v14, off, s[48:51], 0 offset:84
	v_cmp_gt_i32_e64 s1, s27, v126
	s_waitcnt vmcnt(3)
	v_cndmask_b32_e64 v11, 0, v11, s1
	v_cmp_gt_i32_e64 s1, s27, v125
	s_waitcnt vmcnt(2)
	v_cndmask_b32_e64 v12, 0, v12, s1
	v_cmp_gt_i32_e64 s1, s27, v127
	s_waitcnt vmcnt(1)
	v_cndmask_b32_e64 v13, 0, v13, s1
	v_cmp_gt_i32_e64 s1, s27, v0
	s_waitcnt vmcnt(0)
	v_cndmask_b32_e64 v14, 0, v14, s1
	buffer_store_dword v11, off, s[48:51], 0 offset:72 ; 4-byte Folded Spill
	buffer_store_dword v12, off, s[48:51], 0 offset:76 ; 4-byte Folded Spill
	buffer_store_dword v13, off, s[48:51], 0 offset:80 ; 4-byte Folded Spill
	buffer_store_dword v14, off, s[48:51], 0 offset:84 ; 4-byte Folded Spill
.LBB53_49:                              ;   in Loop: Header=BB53_38 Depth=1
	s_or_b32 exec_lo, exec_lo, s22
	global_load_dwordx4 v[11:14], v[1:2], off offset:512
	s_waitcnt vmcnt(0)
	buffer_store_dword v11, off, s[48:51], 0 offset:88 ; 4-byte Folded Spill
	buffer_store_dword v12, off, s[48:51], 0 offset:92 ; 4-byte Folded Spill
	buffer_store_dword v13, off, s[48:51], 0 offset:96 ; 4-byte Folded Spill
	buffer_store_dword v14, off, s[48:51], 0 offset:100 ; 4-byte Folded Spill
	s_and_saveexec_b32 s22, vcc_lo
	s_cbranch_execz .LBB53_51
; %bb.50:                               ;   in Loop: Header=BB53_38 Depth=1
	s_clause 0x3
	buffer_load_dword v11, off, s[48:51], 0 offset:88
	buffer_load_dword v12, off, s[48:51], 0 offset:92
	buffer_load_dword v13, off, s[48:51], 0 offset:96
	buffer_load_dword v14, off, s[48:51], 0 offset:100
	v_cmp_gt_i32_e64 s1, s27, v126
	s_waitcnt vmcnt(3)
	v_cndmask_b32_e64 v11, 0, v11, s1
	v_cmp_gt_i32_e64 s1, s27, v125
	s_waitcnt vmcnt(2)
	v_cndmask_b32_e64 v12, 0, v12, s1
	v_cmp_gt_i32_e64 s1, s27, v127
	s_waitcnt vmcnt(1)
	v_cndmask_b32_e64 v13, 0, v13, s1
	v_cmp_gt_i32_e64 s1, s27, v0
	s_waitcnt vmcnt(0)
	v_cndmask_b32_e64 v14, 0, v14, s1
	buffer_store_dword v11, off, s[48:51], 0 offset:88 ; 4-byte Folded Spill
	buffer_store_dword v12, off, s[48:51], 0 offset:92 ; 4-byte Folded Spill
	buffer_store_dword v13, off, s[48:51], 0 offset:96 ; 4-byte Folded Spill
	buffer_store_dword v14, off, s[48:51], 0 offset:100 ; 4-byte Folded Spill
.LBB53_51:                              ;   in Loop: Header=BB53_38 Depth=1
	s_or_b32 exec_lo, exec_lo, s22
	global_load_dwordx4 v[11:14], v[1:2], off offset:1024
	;; [unrolled: 32-line block ×3, first 2 shown]
	s_waitcnt vmcnt(0)
	buffer_store_dword v1, off, s[48:51], 0 offset:120 ; 4-byte Folded Spill
	buffer_store_dword v2, off, s[48:51], 0 offset:124 ; 4-byte Folded Spill
	;; [unrolled: 1-line block ×4, first 2 shown]
	s_and_saveexec_b32 s22, vcc_lo
	s_cbranch_execz .LBB53_55
; %bb.54:                               ;   in Loop: Header=BB53_38 Depth=1
	s_clause 0x3
	buffer_load_dword v1, off, s[48:51], 0 offset:120
	buffer_load_dword v2, off, s[48:51], 0 offset:124
	;; [unrolled: 1-line block ×4, first 2 shown]
	v_cmp_gt_i32_e64 s1, s27, v126
	s_waitcnt vmcnt(3)
	v_cndmask_b32_e64 v1, 0, v1, s1
	v_cmp_gt_i32_e64 s1, s27, v125
	s_waitcnt vmcnt(2)
	v_cndmask_b32_e64 v2, 0, v2, s1
	;; [unrolled: 3-line block ×4, first 2 shown]
	buffer_store_dword v1, off, s[48:51], 0 offset:120 ; 4-byte Folded Spill
	buffer_store_dword v2, off, s[48:51], 0 offset:124 ; 4-byte Folded Spill
	;; [unrolled: 1-line block ×4, first 2 shown]
.LBB53_55:                              ;   in Loop: Header=BB53_38 Depth=1
	s_or_b32 exec_lo, exec_lo, s22
	v_add_co_u32 v1, s1, 0x1000, v9
	v_add_co_ci_u32_e64 v2, null, 0, v10, s1
	global_load_dwordx4 v[11:14], v[1:2], off
	s_waitcnt vmcnt(0)
	buffer_store_dword v11, off, s[48:51], 0 offset:136 ; 4-byte Folded Spill
	buffer_store_dword v12, off, s[48:51], 0 offset:140 ; 4-byte Folded Spill
	buffer_store_dword v13, off, s[48:51], 0 offset:144 ; 4-byte Folded Spill
	buffer_store_dword v14, off, s[48:51], 0 offset:148 ; 4-byte Folded Spill
	s_and_saveexec_b32 s22, vcc_lo
	s_cbranch_execz .LBB53_57
; %bb.56:                               ;   in Loop: Header=BB53_38 Depth=1
	s_clause 0x3
	buffer_load_dword v11, off, s[48:51], 0 offset:136
	buffer_load_dword v12, off, s[48:51], 0 offset:140
	buffer_load_dword v13, off, s[48:51], 0 offset:144
	buffer_load_dword v14, off, s[48:51], 0 offset:148
	v_cmp_gt_i32_e64 s1, s27, v126
	s_waitcnt vmcnt(3)
	v_cndmask_b32_e64 v11, 0, v11, s1
	v_cmp_gt_i32_e64 s1, s27, v125
	s_waitcnt vmcnt(2)
	v_cndmask_b32_e64 v12, 0, v12, s1
	v_cmp_gt_i32_e64 s1, s27, v127
	s_waitcnt vmcnt(1)
	v_cndmask_b32_e64 v13, 0, v13, s1
	v_cmp_gt_i32_e64 s1, s27, v0
	s_waitcnt vmcnt(0)
	v_cndmask_b32_e64 v14, 0, v14, s1
	buffer_store_dword v11, off, s[48:51], 0 offset:136 ; 4-byte Folded Spill
	buffer_store_dword v12, off, s[48:51], 0 offset:140 ; 4-byte Folded Spill
	buffer_store_dword v13, off, s[48:51], 0 offset:144 ; 4-byte Folded Spill
	buffer_store_dword v14, off, s[48:51], 0 offset:148 ; 4-byte Folded Spill
.LBB53_57:                              ;   in Loop: Header=BB53_38 Depth=1
	s_or_b32 exec_lo, exec_lo, s22
	global_load_dwordx4 v[11:14], v[1:2], off offset:512
	s_waitcnt vmcnt(0)
	buffer_store_dword v11, off, s[48:51], 0 offset:152 ; 4-byte Folded Spill
	buffer_store_dword v12, off, s[48:51], 0 offset:156 ; 4-byte Folded Spill
	buffer_store_dword v13, off, s[48:51], 0 offset:160 ; 4-byte Folded Spill
	buffer_store_dword v14, off, s[48:51], 0 offset:164 ; 4-byte Folded Spill
	s_and_saveexec_b32 s22, vcc_lo
	s_cbranch_execz .LBB53_59
; %bb.58:                               ;   in Loop: Header=BB53_38 Depth=1
	s_clause 0x3
	buffer_load_dword v11, off, s[48:51], 0 offset:152
	buffer_load_dword v12, off, s[48:51], 0 offset:156
	buffer_load_dword v13, off, s[48:51], 0 offset:160
	buffer_load_dword v14, off, s[48:51], 0 offset:164
	v_cmp_gt_i32_e64 s1, s27, v126
	s_waitcnt vmcnt(3)
	v_cndmask_b32_e64 v11, 0, v11, s1
	v_cmp_gt_i32_e64 s1, s27, v125
	s_waitcnt vmcnt(2)
	v_cndmask_b32_e64 v12, 0, v12, s1
	v_cmp_gt_i32_e64 s1, s27, v127
	s_waitcnt vmcnt(1)
	v_cndmask_b32_e64 v13, 0, v13, s1
	v_cmp_gt_i32_e64 s1, s27, v0
	s_waitcnt vmcnt(0)
	v_cndmask_b32_e64 v14, 0, v14, s1
	buffer_store_dword v11, off, s[48:51], 0 offset:152 ; 4-byte Folded Spill
	buffer_store_dword v12, off, s[48:51], 0 offset:156 ; 4-byte Folded Spill
	buffer_store_dword v13, off, s[48:51], 0 offset:160 ; 4-byte Folded Spill
	buffer_store_dword v14, off, s[48:51], 0 offset:164 ; 4-byte Folded Spill
.LBB53_59:                              ;   in Loop: Header=BB53_38 Depth=1
	s_or_b32 exec_lo, exec_lo, s22
	global_load_dwordx4 v[11:14], v[1:2], off offset:1024
	s_waitcnt vmcnt(0)
	buffer_store_dword v11, off, s[48:51], 0 offset:168 ; 4-byte Folded Spill
	buffer_store_dword v12, off, s[48:51], 0 offset:172 ; 4-byte Folded Spill
	buffer_store_dword v13, off, s[48:51], 0 offset:176 ; 4-byte Folded Spill
	buffer_store_dword v14, off, s[48:51], 0 offset:180 ; 4-byte Folded Spill
	s_and_saveexec_b32 s22, vcc_lo
	s_cbranch_execz .LBB53_61
; %bb.60:                               ;   in Loop: Header=BB53_38 Depth=1
	s_clause 0x3
	buffer_load_dword v11, off, s[48:51], 0 offset:168
	buffer_load_dword v12, off, s[48:51], 0 offset:172
	buffer_load_dword v13, off, s[48:51], 0 offset:176
	buffer_load_dword v14, off, s[48:51], 0 offset:180
	v_cmp_gt_i32_e64 s1, s27, v126
	s_waitcnt vmcnt(3)
	v_cndmask_b32_e64 v11, 0, v11, s1
	v_cmp_gt_i32_e64 s1, s27, v125
	s_waitcnt vmcnt(2)
	v_cndmask_b32_e64 v12, 0, v12, s1
	v_cmp_gt_i32_e64 s1, s27, v127
	s_waitcnt vmcnt(1)
	v_cndmask_b32_e64 v13, 0, v13, s1
	v_cmp_gt_i32_e64 s1, s27, v0
	s_waitcnt vmcnt(0)
	v_cndmask_b32_e64 v14, 0, v14, s1
	buffer_store_dword v11, off, s[48:51], 0 offset:168 ; 4-byte Folded Spill
	buffer_store_dword v12, off, s[48:51], 0 offset:172 ; 4-byte Folded Spill
	buffer_store_dword v13, off, s[48:51], 0 offset:176 ; 4-byte Folded Spill
	buffer_store_dword v14, off, s[48:51], 0 offset:180 ; 4-byte Folded Spill
.LBB53_61:                              ;   in Loop: Header=BB53_38 Depth=1
	s_or_b32 exec_lo, exec_lo, s22
	global_load_dwordx4 v[1:4], v[1:2], off offset:1536
	s_waitcnt vmcnt(0)
	buffer_store_dword v1, off, s[48:51], 0 offset:184 ; 4-byte Folded Spill
	buffer_store_dword v2, off, s[48:51], 0 offset:188 ; 4-byte Folded Spill
	;; [unrolled: 1-line block ×4, first 2 shown]
	s_and_saveexec_b32 s22, vcc_lo
	s_cbranch_execz .LBB53_63
; %bb.62:                               ;   in Loop: Header=BB53_38 Depth=1
	s_clause 0x3
	buffer_load_dword v1, off, s[48:51], 0 offset:184
	buffer_load_dword v2, off, s[48:51], 0 offset:188
	;; [unrolled: 1-line block ×4, first 2 shown]
	v_cmp_gt_i32_e64 s1, s27, v126
	s_waitcnt vmcnt(3)
	v_cndmask_b32_e64 v1, 0, v1, s1
	v_cmp_gt_i32_e64 s1, s27, v125
	s_waitcnt vmcnt(2)
	v_cndmask_b32_e64 v2, 0, v2, s1
	;; [unrolled: 3-line block ×4, first 2 shown]
	buffer_store_dword v1, off, s[48:51], 0 offset:184 ; 4-byte Folded Spill
	buffer_store_dword v2, off, s[48:51], 0 offset:188 ; 4-byte Folded Spill
	buffer_store_dword v3, off, s[48:51], 0 offset:192 ; 4-byte Folded Spill
	buffer_store_dword v4, off, s[48:51], 0 offset:196 ; 4-byte Folded Spill
.LBB53_63:                              ;   in Loop: Header=BB53_38 Depth=1
	s_or_b32 exec_lo, exec_lo, s22
	v_add_co_u32 v1, s1, 0x1800, v9
	v_add_co_ci_u32_e64 v2, null, 0, v10, s1
	global_load_dwordx4 v[11:14], v[1:2], off
	s_waitcnt vmcnt(0)
	buffer_store_dword v11, off, s[48:51], 0 offset:200 ; 4-byte Folded Spill
	buffer_store_dword v12, off, s[48:51], 0 offset:204 ; 4-byte Folded Spill
	buffer_store_dword v13, off, s[48:51], 0 offset:208 ; 4-byte Folded Spill
	buffer_store_dword v14, off, s[48:51], 0 offset:212 ; 4-byte Folded Spill
	s_and_saveexec_b32 s22, vcc_lo
	s_cbranch_execz .LBB53_65
; %bb.64:                               ;   in Loop: Header=BB53_38 Depth=1
	s_clause 0x3
	buffer_load_dword v11, off, s[48:51], 0 offset:200
	buffer_load_dword v12, off, s[48:51], 0 offset:204
	buffer_load_dword v13, off, s[48:51], 0 offset:208
	buffer_load_dword v14, off, s[48:51], 0 offset:212
	v_cmp_gt_i32_e64 s1, s27, v126
	s_waitcnt vmcnt(3)
	v_cndmask_b32_e64 v11, 0, v11, s1
	v_cmp_gt_i32_e64 s1, s27, v125
	s_waitcnt vmcnt(2)
	v_cndmask_b32_e64 v12, 0, v12, s1
	v_cmp_gt_i32_e64 s1, s27, v127
	s_waitcnt vmcnt(1)
	v_cndmask_b32_e64 v13, 0, v13, s1
	v_cmp_gt_i32_e64 s1, s27, v0
	s_waitcnt vmcnt(0)
	v_cndmask_b32_e64 v14, 0, v14, s1
	buffer_store_dword v11, off, s[48:51], 0 offset:200 ; 4-byte Folded Spill
	buffer_store_dword v12, off, s[48:51], 0 offset:204 ; 4-byte Folded Spill
	buffer_store_dword v13, off, s[48:51], 0 offset:208 ; 4-byte Folded Spill
	buffer_store_dword v14, off, s[48:51], 0 offset:212 ; 4-byte Folded Spill
.LBB53_65:                              ;   in Loop: Header=BB53_38 Depth=1
	s_or_b32 exec_lo, exec_lo, s22
	global_load_dwordx4 v[11:14], v[1:2], off offset:512
	s_waitcnt vmcnt(0)
	buffer_store_dword v11, off, s[48:51], 0 offset:216 ; 4-byte Folded Spill
	buffer_store_dword v12, off, s[48:51], 0 offset:220 ; 4-byte Folded Spill
	buffer_store_dword v13, off, s[48:51], 0 offset:224 ; 4-byte Folded Spill
	buffer_store_dword v14, off, s[48:51], 0 offset:228 ; 4-byte Folded Spill
	s_and_saveexec_b32 s22, vcc_lo
	s_cbranch_execz .LBB53_67
; %bb.66:                               ;   in Loop: Header=BB53_38 Depth=1
	s_clause 0x3
	buffer_load_dword v11, off, s[48:51], 0 offset:216
	buffer_load_dword v12, off, s[48:51], 0 offset:220
	buffer_load_dword v13, off, s[48:51], 0 offset:224
	buffer_load_dword v14, off, s[48:51], 0 offset:228
	v_cmp_gt_i32_e64 s1, s27, v126
	s_waitcnt vmcnt(3)
	v_cndmask_b32_e64 v11, 0, v11, s1
	v_cmp_gt_i32_e64 s1, s27, v125
	s_waitcnt vmcnt(2)
	v_cndmask_b32_e64 v12, 0, v12, s1
	v_cmp_gt_i32_e64 s1, s27, v127
	s_waitcnt vmcnt(1)
	v_cndmask_b32_e64 v13, 0, v13, s1
	v_cmp_gt_i32_e64 s1, s27, v0
	s_waitcnt vmcnt(0)
	v_cndmask_b32_e64 v14, 0, v14, s1
	buffer_store_dword v11, off, s[48:51], 0 offset:216 ; 4-byte Folded Spill
	buffer_store_dword v12, off, s[48:51], 0 offset:220 ; 4-byte Folded Spill
	buffer_store_dword v13, off, s[48:51], 0 offset:224 ; 4-byte Folded Spill
	buffer_store_dword v14, off, s[48:51], 0 offset:228 ; 4-byte Folded Spill
.LBB53_67:                              ;   in Loop: Header=BB53_38 Depth=1
	s_or_b32 exec_lo, exec_lo, s22
	global_load_dwordx4 v[11:14], v[1:2], off offset:1024
	;; [unrolled: 32-line block ×3, first 2 shown]
	s_waitcnt vmcnt(0)
	buffer_store_dword v1, off, s[48:51], 0 offset:248 ; 4-byte Folded Spill
	buffer_store_dword v2, off, s[48:51], 0 offset:252 ; 4-byte Folded Spill
	;; [unrolled: 1-line block ×4, first 2 shown]
	s_and_saveexec_b32 s22, vcc_lo
	s_cbranch_execz .LBB53_71
; %bb.70:                               ;   in Loop: Header=BB53_38 Depth=1
	s_clause 0x3
	buffer_load_dword v1, off, s[48:51], 0 offset:248
	buffer_load_dword v2, off, s[48:51], 0 offset:252
	;; [unrolled: 1-line block ×4, first 2 shown]
	v_cmp_gt_i32_e64 s1, s27, v126
	s_waitcnt vmcnt(3)
	v_cndmask_b32_e64 v1, 0, v1, s1
	v_cmp_gt_i32_e64 s1, s27, v125
	s_waitcnt vmcnt(2)
	v_cndmask_b32_e64 v2, 0, v2, s1
	;; [unrolled: 3-line block ×4, first 2 shown]
	buffer_store_dword v1, off, s[48:51], 0 offset:248 ; 4-byte Folded Spill
	buffer_store_dword v2, off, s[48:51], 0 offset:252 ; 4-byte Folded Spill
	;; [unrolled: 1-line block ×4, first 2 shown]
.LBB53_71:                              ;   in Loop: Header=BB53_38 Depth=1
	s_or_b32 exec_lo, exec_lo, s22
	v_add_co_u32 v1, s1, 0x2000, v9
	v_add_co_ci_u32_e64 v2, null, 0, v10, s1
	global_load_dwordx4 v[11:14], v[1:2], off
	s_waitcnt vmcnt(0)
	buffer_store_dword v11, off, s[48:51], 0 offset:264 ; 4-byte Folded Spill
	buffer_store_dword v12, off, s[48:51], 0 offset:268 ; 4-byte Folded Spill
	buffer_store_dword v13, off, s[48:51], 0 offset:272 ; 4-byte Folded Spill
	buffer_store_dword v14, off, s[48:51], 0 offset:276 ; 4-byte Folded Spill
	s_and_saveexec_b32 s22, vcc_lo
	s_cbranch_execz .LBB53_73
; %bb.72:                               ;   in Loop: Header=BB53_38 Depth=1
	s_clause 0x3
	buffer_load_dword v11, off, s[48:51], 0 offset:264
	buffer_load_dword v12, off, s[48:51], 0 offset:268
	buffer_load_dword v13, off, s[48:51], 0 offset:272
	buffer_load_dword v14, off, s[48:51], 0 offset:276
	v_cmp_gt_i32_e64 s1, s27, v126
	s_waitcnt vmcnt(3)
	v_cndmask_b32_e64 v11, 0, v11, s1
	v_cmp_gt_i32_e64 s1, s27, v125
	s_waitcnt vmcnt(2)
	v_cndmask_b32_e64 v12, 0, v12, s1
	v_cmp_gt_i32_e64 s1, s27, v127
	s_waitcnt vmcnt(1)
	v_cndmask_b32_e64 v13, 0, v13, s1
	v_cmp_gt_i32_e64 s1, s27, v0
	s_waitcnt vmcnt(0)
	v_cndmask_b32_e64 v14, 0, v14, s1
	buffer_store_dword v11, off, s[48:51], 0 offset:264 ; 4-byte Folded Spill
	buffer_store_dword v12, off, s[48:51], 0 offset:268 ; 4-byte Folded Spill
	buffer_store_dword v13, off, s[48:51], 0 offset:272 ; 4-byte Folded Spill
	buffer_store_dword v14, off, s[48:51], 0 offset:276 ; 4-byte Folded Spill
.LBB53_73:                              ;   in Loop: Header=BB53_38 Depth=1
	s_or_b32 exec_lo, exec_lo, s22
	global_load_dwordx4 v[11:14], v[1:2], off offset:512
	s_waitcnt vmcnt(0)
	buffer_store_dword v11, off, s[48:51], 0 offset:280 ; 4-byte Folded Spill
	buffer_store_dword v12, off, s[48:51], 0 offset:284 ; 4-byte Folded Spill
	buffer_store_dword v13, off, s[48:51], 0 offset:288 ; 4-byte Folded Spill
	buffer_store_dword v14, off, s[48:51], 0 offset:292 ; 4-byte Folded Spill
	s_and_saveexec_b32 s22, vcc_lo
	s_cbranch_execz .LBB53_75
; %bb.74:                               ;   in Loop: Header=BB53_38 Depth=1
	s_clause 0x3
	buffer_load_dword v11, off, s[48:51], 0 offset:280
	buffer_load_dword v12, off, s[48:51], 0 offset:284
	buffer_load_dword v13, off, s[48:51], 0 offset:288
	buffer_load_dword v14, off, s[48:51], 0 offset:292
	v_cmp_gt_i32_e64 s1, s27, v126
	s_waitcnt vmcnt(3)
	v_cndmask_b32_e64 v11, 0, v11, s1
	v_cmp_gt_i32_e64 s1, s27, v125
	s_waitcnt vmcnt(2)
	v_cndmask_b32_e64 v12, 0, v12, s1
	v_cmp_gt_i32_e64 s1, s27, v127
	s_waitcnt vmcnt(1)
	v_cndmask_b32_e64 v13, 0, v13, s1
	v_cmp_gt_i32_e64 s1, s27, v0
	s_waitcnt vmcnt(0)
	v_cndmask_b32_e64 v14, 0, v14, s1
	buffer_store_dword v11, off, s[48:51], 0 offset:280 ; 4-byte Folded Spill
	buffer_store_dword v12, off, s[48:51], 0 offset:284 ; 4-byte Folded Spill
	buffer_store_dword v13, off, s[48:51], 0 offset:288 ; 4-byte Folded Spill
	buffer_store_dword v14, off, s[48:51], 0 offset:292 ; 4-byte Folded Spill
.LBB53_75:                              ;   in Loop: Header=BB53_38 Depth=1
	s_or_b32 exec_lo, exec_lo, s22
	global_load_dwordx4 v[11:14], v[1:2], off offset:1024
	;; [unrolled: 32-line block ×3, first 2 shown]
	s_waitcnt vmcnt(0)
	buffer_store_dword v1, off, s[48:51], 0 offset:312 ; 4-byte Folded Spill
	buffer_store_dword v2, off, s[48:51], 0 offset:316 ; 4-byte Folded Spill
	;; [unrolled: 1-line block ×4, first 2 shown]
	s_and_saveexec_b32 s22, vcc_lo
	s_cbranch_execz .LBB53_79
; %bb.78:                               ;   in Loop: Header=BB53_38 Depth=1
	s_clause 0x3
	buffer_load_dword v1, off, s[48:51], 0 offset:312
	buffer_load_dword v2, off, s[48:51], 0 offset:316
	;; [unrolled: 1-line block ×4, first 2 shown]
	v_cmp_gt_i32_e64 s1, s27, v126
	s_waitcnt vmcnt(3)
	v_cndmask_b32_e64 v1, 0, v1, s1
	v_cmp_gt_i32_e64 s1, s27, v125
	s_waitcnt vmcnt(2)
	v_cndmask_b32_e64 v2, 0, v2, s1
	;; [unrolled: 3-line block ×4, first 2 shown]
	buffer_store_dword v1, off, s[48:51], 0 offset:312 ; 4-byte Folded Spill
	buffer_store_dword v2, off, s[48:51], 0 offset:316 ; 4-byte Folded Spill
	;; [unrolled: 1-line block ×4, first 2 shown]
.LBB53_79:                              ;   in Loop: Header=BB53_38 Depth=1
	s_or_b32 exec_lo, exec_lo, s22
	v_add_co_u32 v1, s1, 0x2800, v9
	v_add_co_ci_u32_e64 v2, null, 0, v10, s1
	global_load_dwordx4 v[11:14], v[1:2], off
	s_waitcnt vmcnt(0)
	buffer_store_dword v11, off, s[48:51], 0 offset:328 ; 4-byte Folded Spill
	buffer_store_dword v12, off, s[48:51], 0 offset:332 ; 4-byte Folded Spill
	buffer_store_dword v13, off, s[48:51], 0 offset:336 ; 4-byte Folded Spill
	buffer_store_dword v14, off, s[48:51], 0 offset:340 ; 4-byte Folded Spill
	s_and_saveexec_b32 s22, vcc_lo
	s_cbranch_execz .LBB53_81
; %bb.80:                               ;   in Loop: Header=BB53_38 Depth=1
	s_clause 0x3
	buffer_load_dword v11, off, s[48:51], 0 offset:328
	buffer_load_dword v12, off, s[48:51], 0 offset:332
	buffer_load_dword v13, off, s[48:51], 0 offset:336
	buffer_load_dword v14, off, s[48:51], 0 offset:340
	v_cmp_gt_i32_e64 s1, s27, v126
	s_waitcnt vmcnt(3)
	v_cndmask_b32_e64 v11, 0, v11, s1
	v_cmp_gt_i32_e64 s1, s27, v125
	s_waitcnt vmcnt(2)
	v_cndmask_b32_e64 v12, 0, v12, s1
	v_cmp_gt_i32_e64 s1, s27, v127
	s_waitcnt vmcnt(1)
	v_cndmask_b32_e64 v13, 0, v13, s1
	v_cmp_gt_i32_e64 s1, s27, v0
	s_waitcnt vmcnt(0)
	v_cndmask_b32_e64 v14, 0, v14, s1
	buffer_store_dword v11, off, s[48:51], 0 offset:328 ; 4-byte Folded Spill
	buffer_store_dword v12, off, s[48:51], 0 offset:332 ; 4-byte Folded Spill
	buffer_store_dword v13, off, s[48:51], 0 offset:336 ; 4-byte Folded Spill
	buffer_store_dword v14, off, s[48:51], 0 offset:340 ; 4-byte Folded Spill
.LBB53_81:                              ;   in Loop: Header=BB53_38 Depth=1
	s_or_b32 exec_lo, exec_lo, s22
	global_load_dwordx4 v[11:14], v[1:2], off offset:512
	s_waitcnt vmcnt(0)
	buffer_store_dword v11, off, s[48:51], 0 offset:344 ; 4-byte Folded Spill
	buffer_store_dword v12, off, s[48:51], 0 offset:348 ; 4-byte Folded Spill
	buffer_store_dword v13, off, s[48:51], 0 offset:352 ; 4-byte Folded Spill
	buffer_store_dword v14, off, s[48:51], 0 offset:356 ; 4-byte Folded Spill
	s_and_saveexec_b32 s22, vcc_lo
	s_cbranch_execz .LBB53_83
; %bb.82:                               ;   in Loop: Header=BB53_38 Depth=1
	s_clause 0x3
	buffer_load_dword v11, off, s[48:51], 0 offset:344
	buffer_load_dword v12, off, s[48:51], 0 offset:348
	buffer_load_dword v13, off, s[48:51], 0 offset:352
	buffer_load_dword v14, off, s[48:51], 0 offset:356
	v_cmp_gt_i32_e64 s1, s27, v126
	s_waitcnt vmcnt(3)
	v_cndmask_b32_e64 v11, 0, v11, s1
	v_cmp_gt_i32_e64 s1, s27, v125
	s_waitcnt vmcnt(2)
	v_cndmask_b32_e64 v12, 0, v12, s1
	v_cmp_gt_i32_e64 s1, s27, v127
	s_waitcnt vmcnt(1)
	v_cndmask_b32_e64 v13, 0, v13, s1
	v_cmp_gt_i32_e64 s1, s27, v0
	s_waitcnt vmcnt(0)
	v_cndmask_b32_e64 v14, 0, v14, s1
	buffer_store_dword v11, off, s[48:51], 0 offset:344 ; 4-byte Folded Spill
	buffer_store_dword v12, off, s[48:51], 0 offset:348 ; 4-byte Folded Spill
	buffer_store_dword v13, off, s[48:51], 0 offset:352 ; 4-byte Folded Spill
	buffer_store_dword v14, off, s[48:51], 0 offset:356 ; 4-byte Folded Spill
.LBB53_83:                              ;   in Loop: Header=BB53_38 Depth=1
	s_or_b32 exec_lo, exec_lo, s22
	global_load_dwordx4 v[11:14], v[1:2], off offset:1024
	;; [unrolled: 32-line block ×3, first 2 shown]
	s_waitcnt vmcnt(0)
	buffer_store_dword v1, off, s[48:51], 0 offset:376 ; 4-byte Folded Spill
	buffer_store_dword v2, off, s[48:51], 0 offset:380 ; 4-byte Folded Spill
	;; [unrolled: 1-line block ×4, first 2 shown]
	s_and_saveexec_b32 s22, vcc_lo
	s_cbranch_execz .LBB53_87
; %bb.86:                               ;   in Loop: Header=BB53_38 Depth=1
	s_clause 0x3
	buffer_load_dword v1, off, s[48:51], 0 offset:376
	buffer_load_dword v2, off, s[48:51], 0 offset:380
	;; [unrolled: 1-line block ×4, first 2 shown]
	v_cmp_gt_i32_e64 s1, s27, v126
	s_waitcnt vmcnt(3)
	v_cndmask_b32_e64 v1, 0, v1, s1
	v_cmp_gt_i32_e64 s1, s27, v125
	s_waitcnt vmcnt(2)
	v_cndmask_b32_e64 v2, 0, v2, s1
	;; [unrolled: 3-line block ×4, first 2 shown]
	buffer_store_dword v1, off, s[48:51], 0 offset:376 ; 4-byte Folded Spill
	buffer_store_dword v2, off, s[48:51], 0 offset:380 ; 4-byte Folded Spill
	;; [unrolled: 1-line block ×4, first 2 shown]
.LBB53_87:                              ;   in Loop: Header=BB53_38 Depth=1
	s_or_b32 exec_lo, exec_lo, s22
	v_add_co_u32 v1, s1, 0x3000, v9
	v_add_co_ci_u32_e64 v2, null, 0, v10, s1
	global_load_dwordx4 v[11:14], v[1:2], off
	s_waitcnt vmcnt(0)
	buffer_store_dword v11, off, s[48:51], 0 offset:392 ; 4-byte Folded Spill
	buffer_store_dword v12, off, s[48:51], 0 offset:396 ; 4-byte Folded Spill
	buffer_store_dword v13, off, s[48:51], 0 offset:400 ; 4-byte Folded Spill
	buffer_store_dword v14, off, s[48:51], 0 offset:404 ; 4-byte Folded Spill
	s_and_saveexec_b32 s22, vcc_lo
	s_cbranch_execz .LBB53_89
; %bb.88:                               ;   in Loop: Header=BB53_38 Depth=1
	s_clause 0x3
	buffer_load_dword v11, off, s[48:51], 0 offset:392
	buffer_load_dword v12, off, s[48:51], 0 offset:396
	buffer_load_dword v13, off, s[48:51], 0 offset:400
	buffer_load_dword v14, off, s[48:51], 0 offset:404
	v_cmp_gt_i32_e64 s1, s27, v126
	s_waitcnt vmcnt(3)
	v_cndmask_b32_e64 v11, 0, v11, s1
	v_cmp_gt_i32_e64 s1, s27, v125
	s_waitcnt vmcnt(2)
	v_cndmask_b32_e64 v12, 0, v12, s1
	v_cmp_gt_i32_e64 s1, s27, v127
	s_waitcnt vmcnt(1)
	v_cndmask_b32_e64 v13, 0, v13, s1
	v_cmp_gt_i32_e64 s1, s27, v0
	s_waitcnt vmcnt(0)
	v_cndmask_b32_e64 v14, 0, v14, s1
	buffer_store_dword v11, off, s[48:51], 0 offset:392 ; 4-byte Folded Spill
	buffer_store_dword v12, off, s[48:51], 0 offset:396 ; 4-byte Folded Spill
	buffer_store_dword v13, off, s[48:51], 0 offset:400 ; 4-byte Folded Spill
	buffer_store_dword v14, off, s[48:51], 0 offset:404 ; 4-byte Folded Spill
.LBB53_89:                              ;   in Loop: Header=BB53_38 Depth=1
	s_or_b32 exec_lo, exec_lo, s22
	global_load_dwordx4 v[11:14], v[1:2], off offset:512
	s_waitcnt vmcnt(0)
	buffer_store_dword v11, off, s[48:51], 0 offset:408 ; 4-byte Folded Spill
	buffer_store_dword v12, off, s[48:51], 0 offset:412 ; 4-byte Folded Spill
	buffer_store_dword v13, off, s[48:51], 0 offset:416 ; 4-byte Folded Spill
	buffer_store_dword v14, off, s[48:51], 0 offset:420 ; 4-byte Folded Spill
	s_and_saveexec_b32 s22, vcc_lo
	s_cbranch_execz .LBB53_91
; %bb.90:                               ;   in Loop: Header=BB53_38 Depth=1
	s_clause 0x3
	buffer_load_dword v11, off, s[48:51], 0 offset:408
	buffer_load_dword v12, off, s[48:51], 0 offset:412
	buffer_load_dword v13, off, s[48:51], 0 offset:416
	buffer_load_dword v14, off, s[48:51], 0 offset:420
	v_cmp_gt_i32_e64 s1, s27, v126
	s_waitcnt vmcnt(3)
	v_cndmask_b32_e64 v11, 0, v11, s1
	v_cmp_gt_i32_e64 s1, s27, v125
	s_waitcnt vmcnt(2)
	v_cndmask_b32_e64 v12, 0, v12, s1
	v_cmp_gt_i32_e64 s1, s27, v127
	s_waitcnt vmcnt(1)
	v_cndmask_b32_e64 v13, 0, v13, s1
	v_cmp_gt_i32_e64 s1, s27, v0
	s_waitcnt vmcnt(0)
	v_cndmask_b32_e64 v14, 0, v14, s1
	buffer_store_dword v11, off, s[48:51], 0 offset:408 ; 4-byte Folded Spill
	buffer_store_dword v12, off, s[48:51], 0 offset:412 ; 4-byte Folded Spill
	buffer_store_dword v13, off, s[48:51], 0 offset:416 ; 4-byte Folded Spill
	buffer_store_dword v14, off, s[48:51], 0 offset:420 ; 4-byte Folded Spill
.LBB53_91:                              ;   in Loop: Header=BB53_38 Depth=1
	s_or_b32 exec_lo, exec_lo, s22
	global_load_dwordx4 v[11:14], v[1:2], off offset:1024
	;; [unrolled: 32-line block ×3, first 2 shown]
	s_waitcnt vmcnt(0)
	buffer_store_dword v1, off, s[48:51], 0 offset:440 ; 4-byte Folded Spill
	buffer_store_dword v2, off, s[48:51], 0 offset:444 ; 4-byte Folded Spill
	;; [unrolled: 1-line block ×4, first 2 shown]
	s_and_saveexec_b32 s22, vcc_lo
	s_cbranch_execz .LBB53_95
; %bb.94:                               ;   in Loop: Header=BB53_38 Depth=1
	s_clause 0x3
	buffer_load_dword v1, off, s[48:51], 0 offset:440
	buffer_load_dword v2, off, s[48:51], 0 offset:444
	;; [unrolled: 1-line block ×4, first 2 shown]
	v_cmp_gt_i32_e64 s1, s27, v126
	s_waitcnt vmcnt(3)
	v_cndmask_b32_e64 v1, 0, v1, s1
	v_cmp_gt_i32_e64 s1, s27, v125
	s_waitcnt vmcnt(2)
	v_cndmask_b32_e64 v2, 0, v2, s1
	v_cmp_gt_i32_e64 s1, s27, v127
	s_waitcnt vmcnt(1)
	v_cndmask_b32_e64 v3, 0, v3, s1
	v_cmp_gt_i32_e64 s1, s27, v0
	s_waitcnt vmcnt(0)
	v_cndmask_b32_e64 v4, 0, v4, s1
	buffer_store_dword v1, off, s[48:51], 0 offset:440 ; 4-byte Folded Spill
	buffer_store_dword v2, off, s[48:51], 0 offset:444 ; 4-byte Folded Spill
	;; [unrolled: 1-line block ×4, first 2 shown]
.LBB53_95:                              ;   in Loop: Header=BB53_38 Depth=1
	s_or_b32 exec_lo, exec_lo, s22
	v_add_co_u32 v1, s1, 0x3800, v9
	v_add_co_ci_u32_e64 v2, null, 0, v10, s1
	global_load_dwordx4 v[11:14], v[1:2], off
	s_waitcnt vmcnt(0)
	buffer_store_dword v11, off, s[48:51], 0 offset:456 ; 4-byte Folded Spill
	buffer_store_dword v12, off, s[48:51], 0 offset:460 ; 4-byte Folded Spill
	;; [unrolled: 1-line block ×4, first 2 shown]
	s_and_saveexec_b32 s22, vcc_lo
	s_cbranch_execz .LBB53_97
; %bb.96:                               ;   in Loop: Header=BB53_38 Depth=1
	s_clause 0x3
	buffer_load_dword v11, off, s[48:51], 0 offset:456
	buffer_load_dword v12, off, s[48:51], 0 offset:460
	;; [unrolled: 1-line block ×4, first 2 shown]
	v_cmp_gt_i32_e64 s1, s27, v126
	s_waitcnt vmcnt(3)
	v_cndmask_b32_e64 v11, 0, v11, s1
	v_cmp_gt_i32_e64 s1, s27, v125
	s_waitcnt vmcnt(2)
	v_cndmask_b32_e64 v12, 0, v12, s1
	;; [unrolled: 3-line block ×4, first 2 shown]
	buffer_store_dword v11, off, s[48:51], 0 offset:456 ; 4-byte Folded Spill
	buffer_store_dword v12, off, s[48:51], 0 offset:460 ; 4-byte Folded Spill
	;; [unrolled: 1-line block ×4, first 2 shown]
.LBB53_97:                              ;   in Loop: Header=BB53_38 Depth=1
	s_or_b32 exec_lo, exec_lo, s22
	global_load_dwordx4 v[11:14], v[1:2], off offset:512
	s_waitcnt vmcnt(0)
	buffer_store_dword v11, off, s[48:51], 0 offset:472 ; 4-byte Folded Spill
	buffer_store_dword v12, off, s[48:51], 0 offset:476 ; 4-byte Folded Spill
	;; [unrolled: 1-line block ×4, first 2 shown]
	s_and_saveexec_b32 s22, vcc_lo
	s_cbranch_execz .LBB53_99
; %bb.98:                               ;   in Loop: Header=BB53_38 Depth=1
	s_clause 0x3
	buffer_load_dword v11, off, s[48:51], 0 offset:472
	buffer_load_dword v12, off, s[48:51], 0 offset:476
	;; [unrolled: 1-line block ×4, first 2 shown]
	v_cmp_gt_i32_e64 s1, s27, v126
	s_waitcnt vmcnt(3)
	v_cndmask_b32_e64 v11, 0, v11, s1
	v_cmp_gt_i32_e64 s1, s27, v125
	s_waitcnt vmcnt(2)
	v_cndmask_b32_e64 v12, 0, v12, s1
	;; [unrolled: 3-line block ×4, first 2 shown]
	buffer_store_dword v11, off, s[48:51], 0 offset:472 ; 4-byte Folded Spill
	buffer_store_dword v12, off, s[48:51], 0 offset:476 ; 4-byte Folded Spill
	;; [unrolled: 1-line block ×4, first 2 shown]
.LBB53_99:                              ;   in Loop: Header=BB53_38 Depth=1
	s_or_b32 exec_lo, exec_lo, s22
	global_load_dwordx4 v[1:4], v[1:2], off offset:1024
	s_waitcnt vmcnt(0)
	buffer_store_dword v1, off, s[48:51], 0 offset:488 ; 4-byte Folded Spill
	buffer_store_dword v2, off, s[48:51], 0 offset:492 ; 4-byte Folded Spill
	;; [unrolled: 1-line block ×4, first 2 shown]
	s_and_saveexec_b32 s22, vcc_lo
	s_cbranch_execz .LBB53_101
; %bb.100:                              ;   in Loop: Header=BB53_38 Depth=1
	s_clause 0x3
	buffer_load_dword v1, off, s[48:51], 0 offset:488
	buffer_load_dword v2, off, s[48:51], 0 offset:492
	;; [unrolled: 1-line block ×4, first 2 shown]
	v_cmp_gt_i32_e64 s1, s27, v126
	s_waitcnt vmcnt(3)
	v_cndmask_b32_e64 v1, 0, v1, s1
	v_cmp_gt_i32_e64 s1, s27, v125
	s_waitcnt vmcnt(2)
	v_cndmask_b32_e64 v2, 0, v2, s1
	;; [unrolled: 3-line block ×4, first 2 shown]
	buffer_store_dword v1, off, s[48:51], 0 offset:488 ; 4-byte Folded Spill
	buffer_store_dword v2, off, s[48:51], 0 offset:492 ; 4-byte Folded Spill
	;; [unrolled: 1-line block ×4, first 2 shown]
.LBB53_101:                             ;   in Loop: Header=BB53_38 Depth=1
	s_or_b32 exec_lo, exec_lo, s22
	buffer_load_dword v1, off, s[48:51], 0 offset:900 ; 4-byte Folded Reload
	s_waitcnt vmcnt(0)
	v_add_co_u32 v1, s1, v81, v1
	v_add_co_ci_u32_e64 v2, null, 0, v82, s1
	global_load_dwordx4 v[1:4], v[1:2], off
	s_waitcnt vmcnt(0)
	buffer_store_dword v1, off, s[48:51], 0 offset:504 ; 4-byte Folded Spill
	buffer_store_dword v2, off, s[48:51], 0 offset:508 ; 4-byte Folded Spill
	;; [unrolled: 1-line block ×4, first 2 shown]
	s_and_saveexec_b32 s22, vcc_lo
	s_cbranch_execz .LBB53_103
; %bb.102:                              ;   in Loop: Header=BB53_38 Depth=1
	s_clause 0x3
	buffer_load_dword v1, off, s[48:51], 0 offset:504
	buffer_load_dword v2, off, s[48:51], 0 offset:508
	;; [unrolled: 1-line block ×4, first 2 shown]
	v_cmp_gt_i32_e64 s1, s27, v126
	s_waitcnt vmcnt(3)
	v_cndmask_b32_e64 v1, 0, v1, s1
	v_cmp_gt_i32_e64 s1, s27, v125
	s_waitcnt vmcnt(2)
	v_cndmask_b32_e64 v2, 0, v2, s1
	v_cmp_gt_i32_e64 s1, s27, v127
	s_waitcnt vmcnt(1)
	v_cndmask_b32_e64 v3, 0, v3, s1
	v_cmp_gt_i32_e64 s1, s27, v0
	s_waitcnt vmcnt(0)
	v_cndmask_b32_e64 v4, 0, v4, s1
	buffer_store_dword v1, off, s[48:51], 0 offset:504 ; 4-byte Folded Spill
	buffer_store_dword v2, off, s[48:51], 0 offset:508 ; 4-byte Folded Spill
	;; [unrolled: 1-line block ×4, first 2 shown]
.LBB53_103:                             ;   in Loop: Header=BB53_38 Depth=1
	s_or_b32 exec_lo, exec_lo, s22
	v_add_co_u32 v1, s1, 0x4000, v9
	v_add_co_ci_u32_e64 v2, null, 0, v10, s1
	global_load_dwordx4 v[11:14], v[1:2], off
	s_waitcnt vmcnt(0)
	buffer_store_dword v11, off, s[48:51], 0 offset:520 ; 4-byte Folded Spill
	buffer_store_dword v12, off, s[48:51], 0 offset:524 ; 4-byte Folded Spill
	;; [unrolled: 1-line block ×4, first 2 shown]
	s_and_saveexec_b32 s22, vcc_lo
	s_cbranch_execz .LBB53_105
; %bb.104:                              ;   in Loop: Header=BB53_38 Depth=1
	s_clause 0x3
	buffer_load_dword v11, off, s[48:51], 0 offset:520
	buffer_load_dword v12, off, s[48:51], 0 offset:524
	;; [unrolled: 1-line block ×4, first 2 shown]
	v_cmp_gt_i32_e64 s1, s27, v126
	s_waitcnt vmcnt(3)
	v_cndmask_b32_e64 v11, 0, v11, s1
	v_cmp_gt_i32_e64 s1, s27, v125
	s_waitcnt vmcnt(2)
	v_cndmask_b32_e64 v12, 0, v12, s1
	v_cmp_gt_i32_e64 s1, s27, v127
	s_waitcnt vmcnt(1)
	v_cndmask_b32_e64 v13, 0, v13, s1
	v_cmp_gt_i32_e64 s1, s27, v0
	s_waitcnt vmcnt(0)
	v_cndmask_b32_e64 v14, 0, v14, s1
	buffer_store_dword v11, off, s[48:51], 0 offset:520 ; 4-byte Folded Spill
	buffer_store_dword v12, off, s[48:51], 0 offset:524 ; 4-byte Folded Spill
	;; [unrolled: 1-line block ×4, first 2 shown]
.LBB53_105:                             ;   in Loop: Header=BB53_38 Depth=1
	s_or_b32 exec_lo, exec_lo, s22
	global_load_dwordx4 v[11:14], v[1:2], off offset:512
	s_waitcnt vmcnt(0)
	buffer_store_dword v11, off, s[48:51], 0 offset:536 ; 4-byte Folded Spill
	buffer_store_dword v12, off, s[48:51], 0 offset:540 ; 4-byte Folded Spill
	;; [unrolled: 1-line block ×4, first 2 shown]
	s_and_saveexec_b32 s22, vcc_lo
	s_cbranch_execnz .LBB53_145
; %bb.106:                              ;   in Loop: Header=BB53_38 Depth=1
	s_or_b32 exec_lo, exec_lo, s22
	global_load_dwordx4 v[21:24], v[1:2], off offset:1024
	s_and_saveexec_b32 s22, vcc_lo
	s_cbranch_execnz .LBB53_146
.LBB53_107:                             ;   in Loop: Header=BB53_38 Depth=1
	s_or_b32 exec_lo, exec_lo, s22
	global_load_dwordx4 v[25:28], v[1:2], off offset:1536
	s_and_saveexec_b32 s22, vcc_lo
	s_cbranch_execz .LBB53_109
.LBB53_108:                             ;   in Loop: Header=BB53_38 Depth=1
	v_cmp_gt_i32_e64 s1, s27, v126
	s_waitcnt vmcnt(0)
	v_cndmask_b32_e64 v25, 0, v25, s1
	v_cmp_gt_i32_e64 s1, s27, v125
	v_cndmask_b32_e64 v26, 0, v26, s1
	v_cmp_gt_i32_e64 s1, s27, v127
	;; [unrolled: 2-line block ×3, first 2 shown]
	v_cndmask_b32_e64 v28, 0, v28, s1
.LBB53_109:                             ;   in Loop: Header=BB53_38 Depth=1
	s_or_b32 exec_lo, exec_lo, s22
	v_add_co_u32 v1, s1, 0x4800, v9
	v_add_co_ci_u32_e64 v2, null, 0, v10, s1
	global_load_dwordx4 v[29:32], v[1:2], off
	s_and_saveexec_b32 s22, vcc_lo
	s_cbranch_execnz .LBB53_147
; %bb.110:                              ;   in Loop: Header=BB53_38 Depth=1
	s_or_b32 exec_lo, exec_lo, s22
	global_load_dwordx4 v[33:36], v[1:2], off offset:512
	s_and_saveexec_b32 s22, vcc_lo
	s_cbranch_execnz .LBB53_148
.LBB53_111:                             ;   in Loop: Header=BB53_38 Depth=1
	s_or_b32 exec_lo, exec_lo, s22
	global_load_dwordx4 v[37:40], v[1:2], off offset:1024
	s_and_saveexec_b32 s22, vcc_lo
	s_cbranch_execnz .LBB53_149
.LBB53_112:                             ;   in Loop: Header=BB53_38 Depth=1
	s_or_b32 exec_lo, exec_lo, s22
	global_load_dwordx4 v[41:44], v[1:2], off offset:1536
	s_and_saveexec_b32 s22, vcc_lo
	s_cbranch_execz .LBB53_114
.LBB53_113:                             ;   in Loop: Header=BB53_38 Depth=1
	v_cmp_gt_i32_e64 s1, s27, v126
	s_waitcnt vmcnt(0)
	v_cndmask_b32_e64 v41, 0, v41, s1
	v_cmp_gt_i32_e64 s1, s27, v125
	v_cndmask_b32_e64 v42, 0, v42, s1
	v_cmp_gt_i32_e64 s1, s27, v127
	v_cndmask_b32_e64 v43, 0, v43, s1
	v_cmp_gt_i32_e64 s1, s27, v0
	v_cndmask_b32_e64 v44, 0, v44, s1
.LBB53_114:                             ;   in Loop: Header=BB53_38 Depth=1
	s_or_b32 exec_lo, exec_lo, s22
	v_add_co_u32 v1, s1, 0x5000, v9
	v_add_co_ci_u32_e64 v2, null, 0, v10, s1
	global_load_dwordx4 v[45:48], v[1:2], off
	s_and_saveexec_b32 s22, vcc_lo
	s_cbranch_execnz .LBB53_150
; %bb.115:                              ;   in Loop: Header=BB53_38 Depth=1
	s_or_b32 exec_lo, exec_lo, s22
	global_load_dwordx4 v[49:52], v[1:2], off offset:512
	s_and_saveexec_b32 s22, vcc_lo
	s_cbranch_execnz .LBB53_151
.LBB53_116:                             ;   in Loop: Header=BB53_38 Depth=1
	s_or_b32 exec_lo, exec_lo, s22
	global_load_dwordx4 v[53:56], v[1:2], off offset:1024
	s_and_saveexec_b32 s22, vcc_lo
	s_cbranch_execnz .LBB53_152
.LBB53_117:                             ;   in Loop: Header=BB53_38 Depth=1
	s_or_b32 exec_lo, exec_lo, s22
	global_load_dwordx4 v[57:60], v[1:2], off offset:1536
	s_and_saveexec_b32 s22, vcc_lo
	s_cbranch_execz .LBB53_119
.LBB53_118:                             ;   in Loop: Header=BB53_38 Depth=1
	v_cmp_gt_i32_e64 s1, s27, v126
	s_waitcnt vmcnt(0)
	v_cndmask_b32_e64 v57, 0, v57, s1
	v_cmp_gt_i32_e64 s1, s27, v125
	v_cndmask_b32_e64 v58, 0, v58, s1
	v_cmp_gt_i32_e64 s1, s27, v127
	;; [unrolled: 2-line block ×3, first 2 shown]
	v_cndmask_b32_e64 v60, 0, v60, s1
.LBB53_119:                             ;   in Loop: Header=BB53_38 Depth=1
	s_or_b32 exec_lo, exec_lo, s22
	v_add_co_u32 v1, s1, 0x5800, v9
	v_add_co_ci_u32_e64 v2, null, 0, v10, s1
	global_load_dwordx4 v[61:64], v[1:2], off
	s_and_saveexec_b32 s22, vcc_lo
	s_cbranch_execnz .LBB53_153
; %bb.120:                              ;   in Loop: Header=BB53_38 Depth=1
	s_or_b32 exec_lo, exec_lo, s22
	global_load_dwordx4 v[65:68], v[1:2], off offset:512
	s_and_saveexec_b32 s22, vcc_lo
	s_cbranch_execnz .LBB53_154
.LBB53_121:                             ;   in Loop: Header=BB53_38 Depth=1
	s_or_b32 exec_lo, exec_lo, s22
	global_load_dwordx4 v[69:72], v[1:2], off offset:1024
	s_and_saveexec_b32 s22, vcc_lo
	s_cbranch_execnz .LBB53_155
.LBB53_122:                             ;   in Loop: Header=BB53_38 Depth=1
	s_or_b32 exec_lo, exec_lo, s22
	global_load_dwordx4 v[73:76], v[1:2], off offset:1536
	s_and_saveexec_b32 s22, vcc_lo
	s_cbranch_execz .LBB53_124
.LBB53_123:                             ;   in Loop: Header=BB53_38 Depth=1
	v_cmp_gt_i32_e64 s1, s27, v126
	s_waitcnt vmcnt(0)
	v_cndmask_b32_e64 v73, 0, v73, s1
	v_cmp_gt_i32_e64 s1, s27, v125
	v_cndmask_b32_e64 v74, 0, v74, s1
	v_cmp_gt_i32_e64 s1, s27, v127
	;; [unrolled: 2-line block ×3, first 2 shown]
	v_cndmask_b32_e64 v76, 0, v76, s1
.LBB53_124:                             ;   in Loop: Header=BB53_38 Depth=1
	s_or_b32 exec_lo, exec_lo, s22
	v_add_co_u32 v1, s1, 0x6000, v9
	v_add_co_ci_u32_e64 v2, null, 0, v10, s1
	global_load_dwordx4 v[77:80], v[1:2], off
	s_and_saveexec_b32 s22, vcc_lo
	s_cbranch_execnz .LBB53_156
; %bb.125:                              ;   in Loop: Header=BB53_38 Depth=1
	s_or_b32 exec_lo, exec_lo, s22
	global_load_dwordx4 v[85:88], v[1:2], off offset:512
	s_and_saveexec_b32 s22, vcc_lo
	s_cbranch_execnz .LBB53_157
.LBB53_126:                             ;   in Loop: Header=BB53_38 Depth=1
	s_or_b32 exec_lo, exec_lo, s22
	global_load_dwordx4 v[89:92], v[1:2], off offset:1024
	s_and_saveexec_b32 s22, vcc_lo
	s_cbranch_execnz .LBB53_158
.LBB53_127:                             ;   in Loop: Header=BB53_38 Depth=1
	s_or_b32 exec_lo, exec_lo, s22
	global_load_dwordx4 v[93:96], v[1:2], off offset:1536
	s_and_saveexec_b32 s22, vcc_lo
	s_cbranch_execz .LBB53_129
.LBB53_128:                             ;   in Loop: Header=BB53_38 Depth=1
	v_cmp_gt_i32_e64 s1, s27, v126
	s_waitcnt vmcnt(0)
	v_cndmask_b32_e64 v93, 0, v93, s1
	v_cmp_gt_i32_e64 s1, s27, v125
	v_cndmask_b32_e64 v94, 0, v94, s1
	v_cmp_gt_i32_e64 s1, s27, v127
	;; [unrolled: 2-line block ×3, first 2 shown]
	v_cndmask_b32_e64 v96, 0, v96, s1
.LBB53_129:                             ;   in Loop: Header=BB53_38 Depth=1
	s_or_b32 exec_lo, exec_lo, s22
	v_add_co_u32 v1, s1, 0x6800, v9
	v_add_co_ci_u32_e64 v2, null, 0, v10, s1
	global_load_dwordx4 v[97:100], v[1:2], off
	s_and_saveexec_b32 s22, vcc_lo
	s_cbranch_execnz .LBB53_159
; %bb.130:                              ;   in Loop: Header=BB53_38 Depth=1
	s_or_b32 exec_lo, exec_lo, s22
	global_load_dwordx4 v[101:104], v[1:2], off offset:512
	s_and_saveexec_b32 s22, vcc_lo
	s_cbranch_execnz .LBB53_160
.LBB53_131:                             ;   in Loop: Header=BB53_38 Depth=1
	s_or_b32 exec_lo, exec_lo, s22
	global_load_dwordx4 v[105:108], v[1:2], off offset:1024
	s_and_saveexec_b32 s22, vcc_lo
	s_cbranch_execnz .LBB53_161
.LBB53_132:                             ;   in Loop: Header=BB53_38 Depth=1
	s_or_b32 exec_lo, exec_lo, s22
	global_load_dwordx4 v[109:112], v[1:2], off offset:1536
	s_and_saveexec_b32 s22, vcc_lo
	s_cbranch_execz .LBB53_134
.LBB53_133:                             ;   in Loop: Header=BB53_38 Depth=1
	v_cmp_gt_i32_e64 s1, s27, v126
	s_waitcnt vmcnt(0)
	v_cndmask_b32_e64 v109, 0, v109, s1
	v_cmp_gt_i32_e64 s1, s27, v125
	v_cndmask_b32_e64 v110, 0, v110, s1
	v_cmp_gt_i32_e64 s1, s27, v127
	;; [unrolled: 2-line block ×3, first 2 shown]
	v_cndmask_b32_e64 v112, 0, v112, s1
.LBB53_134:                             ;   in Loop: Header=BB53_38 Depth=1
	s_or_b32 exec_lo, exec_lo, s22
	v_add_co_u32 v1, s1, 0x7000, v9
	v_add_co_ci_u32_e64 v2, null, 0, v10, s1
	global_load_dwordx4 v[113:116], v[1:2], off
	s_and_saveexec_b32 s22, vcc_lo
	s_cbranch_execnz .LBB53_162
; %bb.135:                              ;   in Loop: Header=BB53_38 Depth=1
	s_or_b32 exec_lo, exec_lo, s22
	global_load_dwordx4 v[117:120], v[1:2], off offset:512
	s_and_saveexec_b32 s22, vcc_lo
	s_cbranch_execnz .LBB53_163
.LBB53_136:                             ;   in Loop: Header=BB53_38 Depth=1
	s_or_b32 exec_lo, exec_lo, s22
	global_load_dwordx4 v[121:124], v[1:2], off offset:1024
	s_and_saveexec_b32 s22, vcc_lo
	s_cbranch_execnz .LBB53_164
.LBB53_137:                             ;   in Loop: Header=BB53_38 Depth=1
	s_or_b32 exec_lo, exec_lo, s22
	global_load_dwordx4 v[1:4], v[1:2], off offset:1536
	s_and_saveexec_b32 s22, vcc_lo
	s_cbranch_execz .LBB53_139
.LBB53_138:                             ;   in Loop: Header=BB53_38 Depth=1
	v_cmp_gt_i32_e64 s1, s27, v126
	s_waitcnt vmcnt(0)
	v_cndmask_b32_e64 v1, 0, v1, s1
	v_cmp_gt_i32_e64 s1, s27, v125
	v_cndmask_b32_e64 v2, 0, v2, s1
	v_cmp_gt_i32_e64 s1, s27, v127
	;; [unrolled: 2-line block ×3, first 2 shown]
	v_cndmask_b32_e64 v4, 0, v4, s1
.LBB53_139:                             ;   in Loop: Header=BB53_38 Depth=1
	s_or_b32 exec_lo, exec_lo, s22
	v_add_co_u32 v17, s1, 0x7800, v9
	v_add_co_ci_u32_e64 v18, null, 0, v10, s1
	global_load_dwordx4 v[9:12], v[17:18], off
	s_and_saveexec_b32 s22, vcc_lo
	s_cbranch_execnz .LBB53_165
; %bb.140:                              ;   in Loop: Header=BB53_38 Depth=1
	s_or_b32 exec_lo, exec_lo, s22
	global_load_dwordx4 v[13:16], v[17:18], off offset:512
	s_and_saveexec_b32 s22, vcc_lo
	s_cbranch_execnz .LBB53_166
.LBB53_141:                             ;   in Loop: Header=BB53_38 Depth=1
	s_or_b32 exec_lo, exec_lo, s22
	global_load_dwordx4 v[17:20], v[17:18], off offset:1024
	s_and_saveexec_b32 s22, vcc_lo
	s_cbranch_execz .LBB53_143
.LBB53_142:                             ;   in Loop: Header=BB53_38 Depth=1
	v_cmp_gt_i32_e64 s1, s27, v126
	s_waitcnt vmcnt(0)
	v_cndmask_b32_e64 v17, 0, v17, s1
	v_cmp_gt_i32_e64 s1, s27, v125
	v_cndmask_b32_e64 v18, 0, v18, s1
	v_cmp_gt_i32_e64 s1, s27, v127
	;; [unrolled: 2-line block ×3, first 2 shown]
	v_cndmask_b32_e64 v20, 0, v20, s1
.LBB53_143:                             ;   in Loop: Header=BB53_38 Depth=1
	s_or_b32 exec_lo, exec_lo, s22
	buffer_load_dword v83, off, s[48:51], 0 offset:904 ; 4-byte Folded Reload
	s_waitcnt vmcnt(0)
	v_add_co_u32 v81, s1, v81, v83
	v_add_co_ci_u32_e64 v82, null, 0, v82, s1
	global_load_dwordx4 v[81:84], v[81:82], off
	s_and_saveexec_b32 s1, vcc_lo
	s_cbranch_execz .LBB53_36
; %bb.144:                              ;   in Loop: Header=BB53_38 Depth=1
	v_cmp_gt_i32_e32 vcc_lo, s27, v126
	s_waitcnt vmcnt(0)
	v_cndmask_b32_e32 v81, 0, v81, vcc_lo
	v_cmp_gt_i32_e32 vcc_lo, s27, v125
	v_cndmask_b32_e32 v82, 0, v82, vcc_lo
	v_cmp_gt_i32_e32 vcc_lo, s27, v127
	;; [unrolled: 2-line block ×3, first 2 shown]
	v_cndmask_b32_e32 v84, 0, v84, vcc_lo
	s_branch .LBB53_36
.LBB53_145:                             ;   in Loop: Header=BB53_38 Depth=1
	s_clause 0x3
	buffer_load_dword v11, off, s[48:51], 0 offset:536
	buffer_load_dword v12, off, s[48:51], 0 offset:540
	;; [unrolled: 1-line block ×4, first 2 shown]
	v_cmp_gt_i32_e64 s1, s27, v126
	s_waitcnt vmcnt(3)
	v_cndmask_b32_e64 v11, 0, v11, s1
	v_cmp_gt_i32_e64 s1, s27, v125
	s_waitcnt vmcnt(2)
	v_cndmask_b32_e64 v12, 0, v12, s1
	;; [unrolled: 3-line block ×4, first 2 shown]
	buffer_store_dword v11, off, s[48:51], 0 offset:536 ; 4-byte Folded Spill
	buffer_store_dword v12, off, s[48:51], 0 offset:540 ; 4-byte Folded Spill
	;; [unrolled: 1-line block ×4, first 2 shown]
	s_or_b32 exec_lo, exec_lo, s22
	global_load_dwordx4 v[21:24], v[1:2], off offset:1024
	s_and_saveexec_b32 s22, vcc_lo
	s_cbranch_execz .LBB53_107
.LBB53_146:                             ;   in Loop: Header=BB53_38 Depth=1
	v_cmp_gt_i32_e64 s1, s27, v126
	s_waitcnt vmcnt(0)
	v_cndmask_b32_e64 v21, 0, v21, s1
	v_cmp_gt_i32_e64 s1, s27, v125
	v_cndmask_b32_e64 v22, 0, v22, s1
	v_cmp_gt_i32_e64 s1, s27, v127
	;; [unrolled: 2-line block ×3, first 2 shown]
	v_cndmask_b32_e64 v24, 0, v24, s1
	s_or_b32 exec_lo, exec_lo, s22
	global_load_dwordx4 v[25:28], v[1:2], off offset:1536
	s_and_saveexec_b32 s22, vcc_lo
	s_cbranch_execnz .LBB53_108
	s_branch .LBB53_109
.LBB53_147:                             ;   in Loop: Header=BB53_38 Depth=1
	v_cmp_gt_i32_e64 s1, s27, v126
	s_waitcnt vmcnt(0)
	v_cndmask_b32_e64 v29, 0, v29, s1
	v_cmp_gt_i32_e64 s1, s27, v125
	v_cndmask_b32_e64 v30, 0, v30, s1
	v_cmp_gt_i32_e64 s1, s27, v127
	;; [unrolled: 2-line block ×3, first 2 shown]
	v_cndmask_b32_e64 v32, 0, v32, s1
	s_or_b32 exec_lo, exec_lo, s22
	global_load_dwordx4 v[33:36], v[1:2], off offset:512
	s_and_saveexec_b32 s22, vcc_lo
	s_cbranch_execz .LBB53_111
.LBB53_148:                             ;   in Loop: Header=BB53_38 Depth=1
	v_cmp_gt_i32_e64 s1, s27, v126
	s_waitcnt vmcnt(0)
	v_cndmask_b32_e64 v33, 0, v33, s1
	v_cmp_gt_i32_e64 s1, s27, v125
	v_cndmask_b32_e64 v34, 0, v34, s1
	v_cmp_gt_i32_e64 s1, s27, v127
	;; [unrolled: 2-line block ×3, first 2 shown]
	v_cndmask_b32_e64 v36, 0, v36, s1
	s_or_b32 exec_lo, exec_lo, s22
	global_load_dwordx4 v[37:40], v[1:2], off offset:1024
	s_and_saveexec_b32 s22, vcc_lo
	s_cbranch_execz .LBB53_112
.LBB53_149:                             ;   in Loop: Header=BB53_38 Depth=1
	v_cmp_gt_i32_e64 s1, s27, v126
	s_waitcnt vmcnt(0)
	v_cndmask_b32_e64 v37, 0, v37, s1
	v_cmp_gt_i32_e64 s1, s27, v125
	v_cndmask_b32_e64 v38, 0, v38, s1
	v_cmp_gt_i32_e64 s1, s27, v127
	v_cndmask_b32_e64 v39, 0, v39, s1
	v_cmp_gt_i32_e64 s1, s27, v0
	v_cndmask_b32_e64 v40, 0, v40, s1
	s_or_b32 exec_lo, exec_lo, s22
	global_load_dwordx4 v[41:44], v[1:2], off offset:1536
	s_and_saveexec_b32 s22, vcc_lo
	s_cbranch_execnz .LBB53_113
	s_branch .LBB53_114
.LBB53_150:                             ;   in Loop: Header=BB53_38 Depth=1
	v_cmp_gt_i32_e64 s1, s27, v126
	s_waitcnt vmcnt(0)
	v_cndmask_b32_e64 v45, 0, v45, s1
	v_cmp_gt_i32_e64 s1, s27, v125
	v_cndmask_b32_e64 v46, 0, v46, s1
	v_cmp_gt_i32_e64 s1, s27, v127
	v_cndmask_b32_e64 v47, 0, v47, s1
	v_cmp_gt_i32_e64 s1, s27, v0
	v_cndmask_b32_e64 v48, 0, v48, s1
	s_or_b32 exec_lo, exec_lo, s22
	global_load_dwordx4 v[49:52], v[1:2], off offset:512
	s_and_saveexec_b32 s22, vcc_lo
	s_cbranch_execz .LBB53_116
.LBB53_151:                             ;   in Loop: Header=BB53_38 Depth=1
	v_cmp_gt_i32_e64 s1, s27, v126
	s_waitcnt vmcnt(0)
	v_cndmask_b32_e64 v49, 0, v49, s1
	v_cmp_gt_i32_e64 s1, s27, v125
	v_cndmask_b32_e64 v50, 0, v50, s1
	v_cmp_gt_i32_e64 s1, s27, v127
	;; [unrolled: 2-line block ×3, first 2 shown]
	v_cndmask_b32_e64 v52, 0, v52, s1
	s_or_b32 exec_lo, exec_lo, s22
	global_load_dwordx4 v[53:56], v[1:2], off offset:1024
	s_and_saveexec_b32 s22, vcc_lo
	s_cbranch_execz .LBB53_117
.LBB53_152:                             ;   in Loop: Header=BB53_38 Depth=1
	v_cmp_gt_i32_e64 s1, s27, v126
	s_waitcnt vmcnt(0)
	v_cndmask_b32_e64 v53, 0, v53, s1
	v_cmp_gt_i32_e64 s1, s27, v125
	v_cndmask_b32_e64 v54, 0, v54, s1
	v_cmp_gt_i32_e64 s1, s27, v127
	;; [unrolled: 2-line block ×3, first 2 shown]
	v_cndmask_b32_e64 v56, 0, v56, s1
	s_or_b32 exec_lo, exec_lo, s22
	global_load_dwordx4 v[57:60], v[1:2], off offset:1536
	s_and_saveexec_b32 s22, vcc_lo
	s_cbranch_execnz .LBB53_118
	s_branch .LBB53_119
.LBB53_153:                             ;   in Loop: Header=BB53_38 Depth=1
	v_cmp_gt_i32_e64 s1, s27, v126
	s_waitcnt vmcnt(0)
	v_cndmask_b32_e64 v61, 0, v61, s1
	v_cmp_gt_i32_e64 s1, s27, v125
	v_cndmask_b32_e64 v62, 0, v62, s1
	v_cmp_gt_i32_e64 s1, s27, v127
	;; [unrolled: 2-line block ×3, first 2 shown]
	v_cndmask_b32_e64 v64, 0, v64, s1
	s_or_b32 exec_lo, exec_lo, s22
	global_load_dwordx4 v[65:68], v[1:2], off offset:512
	s_and_saveexec_b32 s22, vcc_lo
	s_cbranch_execz .LBB53_121
.LBB53_154:                             ;   in Loop: Header=BB53_38 Depth=1
	v_cmp_gt_i32_e64 s1, s27, v126
	s_waitcnt vmcnt(0)
	v_cndmask_b32_e64 v65, 0, v65, s1
	v_cmp_gt_i32_e64 s1, s27, v125
	v_cndmask_b32_e64 v66, 0, v66, s1
	v_cmp_gt_i32_e64 s1, s27, v127
	;; [unrolled: 2-line block ×3, first 2 shown]
	v_cndmask_b32_e64 v68, 0, v68, s1
	s_or_b32 exec_lo, exec_lo, s22
	global_load_dwordx4 v[69:72], v[1:2], off offset:1024
	s_and_saveexec_b32 s22, vcc_lo
	s_cbranch_execz .LBB53_122
.LBB53_155:                             ;   in Loop: Header=BB53_38 Depth=1
	v_cmp_gt_i32_e64 s1, s27, v126
	s_waitcnt vmcnt(0)
	v_cndmask_b32_e64 v69, 0, v69, s1
	v_cmp_gt_i32_e64 s1, s27, v125
	v_cndmask_b32_e64 v70, 0, v70, s1
	v_cmp_gt_i32_e64 s1, s27, v127
	;; [unrolled: 2-line block ×3, first 2 shown]
	v_cndmask_b32_e64 v72, 0, v72, s1
	s_or_b32 exec_lo, exec_lo, s22
	global_load_dwordx4 v[73:76], v[1:2], off offset:1536
	s_and_saveexec_b32 s22, vcc_lo
	s_cbranch_execnz .LBB53_123
	s_branch .LBB53_124
.LBB53_156:                             ;   in Loop: Header=BB53_38 Depth=1
	v_cmp_gt_i32_e64 s1, s27, v126
	s_waitcnt vmcnt(0)
	v_cndmask_b32_e64 v77, 0, v77, s1
	v_cmp_gt_i32_e64 s1, s27, v125
	v_cndmask_b32_e64 v78, 0, v78, s1
	v_cmp_gt_i32_e64 s1, s27, v127
	;; [unrolled: 2-line block ×3, first 2 shown]
	v_cndmask_b32_e64 v80, 0, v80, s1
	s_or_b32 exec_lo, exec_lo, s22
	global_load_dwordx4 v[85:88], v[1:2], off offset:512
	s_and_saveexec_b32 s22, vcc_lo
	s_cbranch_execz .LBB53_126
.LBB53_157:                             ;   in Loop: Header=BB53_38 Depth=1
	v_cmp_gt_i32_e64 s1, s27, v126
	s_waitcnt vmcnt(0)
	v_cndmask_b32_e64 v85, 0, v85, s1
	v_cmp_gt_i32_e64 s1, s27, v125
	v_cndmask_b32_e64 v86, 0, v86, s1
	v_cmp_gt_i32_e64 s1, s27, v127
	;; [unrolled: 2-line block ×3, first 2 shown]
	v_cndmask_b32_e64 v88, 0, v88, s1
	s_or_b32 exec_lo, exec_lo, s22
	global_load_dwordx4 v[89:92], v[1:2], off offset:1024
	s_and_saveexec_b32 s22, vcc_lo
	s_cbranch_execz .LBB53_127
.LBB53_158:                             ;   in Loop: Header=BB53_38 Depth=1
	v_cmp_gt_i32_e64 s1, s27, v126
	s_waitcnt vmcnt(0)
	v_cndmask_b32_e64 v89, 0, v89, s1
	v_cmp_gt_i32_e64 s1, s27, v125
	v_cndmask_b32_e64 v90, 0, v90, s1
	v_cmp_gt_i32_e64 s1, s27, v127
	;; [unrolled: 2-line block ×3, first 2 shown]
	v_cndmask_b32_e64 v92, 0, v92, s1
	s_or_b32 exec_lo, exec_lo, s22
	global_load_dwordx4 v[93:96], v[1:2], off offset:1536
	s_and_saveexec_b32 s22, vcc_lo
	s_cbranch_execnz .LBB53_128
	s_branch .LBB53_129
.LBB53_159:                             ;   in Loop: Header=BB53_38 Depth=1
	v_cmp_gt_i32_e64 s1, s27, v126
	s_waitcnt vmcnt(0)
	v_cndmask_b32_e64 v97, 0, v97, s1
	v_cmp_gt_i32_e64 s1, s27, v125
	v_cndmask_b32_e64 v98, 0, v98, s1
	v_cmp_gt_i32_e64 s1, s27, v127
	;; [unrolled: 2-line block ×3, first 2 shown]
	v_cndmask_b32_e64 v100, 0, v100, s1
	s_or_b32 exec_lo, exec_lo, s22
	global_load_dwordx4 v[101:104], v[1:2], off offset:512
	s_and_saveexec_b32 s22, vcc_lo
	s_cbranch_execz .LBB53_131
.LBB53_160:                             ;   in Loop: Header=BB53_38 Depth=1
	v_cmp_gt_i32_e64 s1, s27, v126
	s_waitcnt vmcnt(0)
	v_cndmask_b32_e64 v101, 0, v101, s1
	v_cmp_gt_i32_e64 s1, s27, v125
	v_cndmask_b32_e64 v102, 0, v102, s1
	v_cmp_gt_i32_e64 s1, s27, v127
	;; [unrolled: 2-line block ×3, first 2 shown]
	v_cndmask_b32_e64 v104, 0, v104, s1
	s_or_b32 exec_lo, exec_lo, s22
	global_load_dwordx4 v[105:108], v[1:2], off offset:1024
	s_and_saveexec_b32 s22, vcc_lo
	s_cbranch_execz .LBB53_132
.LBB53_161:                             ;   in Loop: Header=BB53_38 Depth=1
	v_cmp_gt_i32_e64 s1, s27, v126
	s_waitcnt vmcnt(0)
	v_cndmask_b32_e64 v105, 0, v105, s1
	v_cmp_gt_i32_e64 s1, s27, v125
	v_cndmask_b32_e64 v106, 0, v106, s1
	v_cmp_gt_i32_e64 s1, s27, v127
	;; [unrolled: 2-line block ×3, first 2 shown]
	v_cndmask_b32_e64 v108, 0, v108, s1
	s_or_b32 exec_lo, exec_lo, s22
	global_load_dwordx4 v[109:112], v[1:2], off offset:1536
	s_and_saveexec_b32 s22, vcc_lo
	s_cbranch_execnz .LBB53_133
	s_branch .LBB53_134
.LBB53_162:                             ;   in Loop: Header=BB53_38 Depth=1
	v_cmp_gt_i32_e64 s1, s27, v126
	s_waitcnt vmcnt(0)
	v_cndmask_b32_e64 v113, 0, v113, s1
	v_cmp_gt_i32_e64 s1, s27, v125
	v_cndmask_b32_e64 v114, 0, v114, s1
	v_cmp_gt_i32_e64 s1, s27, v127
	;; [unrolled: 2-line block ×3, first 2 shown]
	v_cndmask_b32_e64 v116, 0, v116, s1
	s_or_b32 exec_lo, exec_lo, s22
	global_load_dwordx4 v[117:120], v[1:2], off offset:512
	s_and_saveexec_b32 s22, vcc_lo
	s_cbranch_execz .LBB53_136
.LBB53_163:                             ;   in Loop: Header=BB53_38 Depth=1
	v_cmp_gt_i32_e64 s1, s27, v126
	s_waitcnt vmcnt(0)
	v_cndmask_b32_e64 v117, 0, v117, s1
	v_cmp_gt_i32_e64 s1, s27, v125
	v_cndmask_b32_e64 v118, 0, v118, s1
	v_cmp_gt_i32_e64 s1, s27, v127
	;; [unrolled: 2-line block ×3, first 2 shown]
	v_cndmask_b32_e64 v120, 0, v120, s1
	s_or_b32 exec_lo, exec_lo, s22
	global_load_dwordx4 v[121:124], v[1:2], off offset:1024
	s_and_saveexec_b32 s22, vcc_lo
	s_cbranch_execz .LBB53_137
.LBB53_164:                             ;   in Loop: Header=BB53_38 Depth=1
	v_cmp_gt_i32_e64 s1, s27, v126
	s_waitcnt vmcnt(0)
	v_cndmask_b32_e64 v121, 0, v121, s1
	v_cmp_gt_i32_e64 s1, s27, v125
	v_cndmask_b32_e64 v122, 0, v122, s1
	v_cmp_gt_i32_e64 s1, s27, v127
	;; [unrolled: 2-line block ×3, first 2 shown]
	v_cndmask_b32_e64 v124, 0, v124, s1
	s_or_b32 exec_lo, exec_lo, s22
	global_load_dwordx4 v[1:4], v[1:2], off offset:1536
	s_and_saveexec_b32 s22, vcc_lo
	s_cbranch_execnz .LBB53_138
	s_branch .LBB53_139
.LBB53_165:                             ;   in Loop: Header=BB53_38 Depth=1
	v_cmp_gt_i32_e64 s1, s27, v126
	s_waitcnt vmcnt(0)
	v_cndmask_b32_e64 v9, 0, v9, s1
	v_cmp_gt_i32_e64 s1, s27, v125
	v_cndmask_b32_e64 v10, 0, v10, s1
	v_cmp_gt_i32_e64 s1, s27, v127
	;; [unrolled: 2-line block ×3, first 2 shown]
	v_cndmask_b32_e64 v12, 0, v12, s1
	s_or_b32 exec_lo, exec_lo, s22
	global_load_dwordx4 v[13:16], v[17:18], off offset:512
	s_and_saveexec_b32 s22, vcc_lo
	s_cbranch_execz .LBB53_141
.LBB53_166:                             ;   in Loop: Header=BB53_38 Depth=1
	v_cmp_gt_i32_e64 s1, s27, v126
	s_waitcnt vmcnt(0)
	v_cndmask_b32_e64 v13, 0, v13, s1
	v_cmp_gt_i32_e64 s1, s27, v125
	v_cndmask_b32_e64 v14, 0, v14, s1
	v_cmp_gt_i32_e64 s1, s27, v127
	;; [unrolled: 2-line block ×3, first 2 shown]
	v_cndmask_b32_e64 v16, 0, v16, s1
	s_or_b32 exec_lo, exec_lo, s22
	global_load_dwordx4 v[17:20], v[17:18], off offset:1024
	s_and_saveexec_b32 s22, vcc_lo
	s_cbranch_execnz .LBB53_142
	s_branch .LBB53_143
.LBB53_167:
	s_or_b32 exec_lo, exec_lo, s18
	buffer_load_dword v4, off, s[48:51], 0 offset:848 ; 4-byte Folded Reload
.LBB53_168:
	s_or_b32 exec_lo, exec_lo, s3
	s_clause 0x11
	buffer_load_dword v72, off, s[48:51], 0 offset:920
	buffer_load_dword v82, off, s[48:51], 0 offset:908
	;; [unrolled: 1-line block ×18, first 2 shown]
	v_mov_b32_e32 v64, v10
	s_clause 0x5
	buffer_load_dword v48, off, s[48:51], 0 offset:748
	buffer_load_dword v47, off, s[48:51], 0 offset:744
	;; [unrolled: 1-line block ×6, first 2 shown]
	s_waitcnt vmcnt(24)
	v_mov_b32_e32 v16, v4
	v_mov_b32_e32 v66, v9
	s_clause 0xd
	buffer_load_dword v62, off, s[48:51], 0 offset:684
	buffer_load_dword v61, off, s[48:51], 0 offset:680
	;; [unrolled: 1-line block ×14, first 2 shown]
	v_mov_b32_e32 v76, v66
	v_mov_b32_e32 v73, v64
	s_mov_b32 s3, exec_lo
	s_clause 0xc
	buffer_load_dword v39, off, s[48:51], 0 offset:776
	buffer_load_dword v45, off, s[48:51], 0 offset:772
	;; [unrolled: 1-line block ×13, first 2 shown]
	s_waitcnt vmcnt(50)
	ds_bpermute_b32 v0, v72, v20
	ds_bpermute_b32 v1, v72, v19
	;; [unrolled: 1-line block ×3, first 2 shown]
	s_waitcnt vmcnt(47)
	ds_bpermute_b32 v5, v72, v29
	s_waitcnt vmcnt(46)
	ds_bpermute_b32 v6, v72, v28
	;; [unrolled: 2-line block ×4, first 2 shown]
	ds_bpermute_b32 v4, v72, v4
	s_waitcnt vmcnt(42)
	ds_bpermute_b32 v10, v72, v24
	s_waitcnt vmcnt(41)
	;; [unrolled: 2-line block ×4, first 2 shown]
	ds_bpermute_b32 v13, v72, v21
	ds_bpermute_b32 v3, v72, v17
	;; [unrolled: 1-line block ×3, first 2 shown]
	s_waitcnt vmcnt(38)
	ds_bpermute_b32 v14, v72, v38
	s_waitcnt vmcnt(37)
	ds_bpermute_b32 v15, v72, v37
	;; [unrolled: 2-line block ×3, first 2 shown]
	ds_bpermute_b32 v66, v72, v66
	s_waitcnt lgkmcnt(17)
	v_add_f32_e32 v0, v20, v0
	s_waitcnt lgkmcnt(16)
	v_add_f32_e32 v1, v19, v1
	;; [unrolled: 2-line block ×12, first 2 shown]
	ds_bpermute_b32 v21, v82, v5
	ds_bpermute_b32 v22, v82, v6
	ds_bpermute_b32 v23, v82, v7
	ds_bpermute_b32 v24, v82, v8
	ds_bpermute_b32 v26, v82, v10
	ds_bpermute_b32 v16, v82, v0
	s_waitcnt lgkmcnt(11)
	v_add_f32_e32 v3, v17, v3
	ds_bpermute_b32 v17, v82, v1
	ds_bpermute_b32 v18, v82, v2
	;; [unrolled: 1-line block ×5, first 2 shown]
	s_waitcnt lgkmcnt(15)
	v_add_f32_e32 v9, v25, v9
	ds_bpermute_b32 v29, v72, v35
	ds_bpermute_b32 v31, v82, v12
	;; [unrolled: 1-line block ×5, first 2 shown]
	s_waitcnt lgkmcnt(18)
	v_add_f32_e32 v15, v37, v15
	s_waitcnt lgkmcnt(16)
	v_add_f32_e32 v66, v76, v66
	;; [unrolled: 2-line block ×7, first 2 shown]
	ds_bpermute_b32 v6, v87, v21
	s_waitcnt lgkmcnt(11)
	v_add_f32_e32 v0, v0, v16
	ds_bpermute_b32 v8, v87, v23
	s_waitcnt lgkmcnt(11)
	v_add_f32_e32 v16, v1, v17
	s_waitcnt lgkmcnt(10)
	v_add_f32_e32 v17, v2, v18
	ds_bpermute_b32 v7, v87, v22
	ds_bpermute_b32 v1, v87, v0
	s_waitcnt lgkmcnt(9)
	v_add_f32_e32 v18, v3, v19
	v_add_f32_e32 v19, v4, v20
	ds_bpermute_b32 v3, v87, v17
	ds_bpermute_b32 v2, v87, v16
	s_waitcnt lgkmcnt(10)
	v_add_f32_e32 v29, v35, v29
	ds_bpermute_b32 v4, v87, v18
	ds_bpermute_b32 v20, v87, v19
	s_waitcnt lgkmcnt(8)
	v_add_f32_e32 v25, v9, v25
	ds_bpermute_b32 v9, v87, v24
	s_waitcnt lgkmcnt(8)
	v_add_f32_e32 v6, v21, v6
	v_add_f32_e32 v21, v34, v30
	buffer_load_dword v34, off, s[48:51], 0 offset:784 ; 4-byte Folded Reload
	s_waitcnt vmcnt(34)
	ds_bpermute_b32 v10, v72, v33
	s_waitcnt lgkmcnt(8)
	v_add_f32_e32 v8, v23, v8
	s_waitcnt lgkmcnt(7)
	v_add_f32_e32 v7, v22, v7
	;; [unrolled: 2-line block ×3, first 2 shown]
	v_add_f32_e32 v0, v11, v27
	v_add_f32_e32 v27, v36, v28
	s_waitcnt lgkmcnt(5)
	v_add_f32_e32 v3, v17, v3
	ds_bpermute_b32 v22, v82, v29
	s_waitcnt lgkmcnt(5)
	v_add_f32_e32 v2, v16, v2
	ds_bpermute_b32 v17, v87, v0
	s_waitcnt lgkmcnt(5)
	v_add_f32_e32 v4, v18, v4
	s_waitcnt lgkmcnt(4)
	v_add_f32_e32 v5, v19, v20
	v_add_f32_e32 v18, v12, v31
	;; [unrolled: 1-line block ×4, first 2 shown]
	ds_bpermute_b32 v11, v87, v25
	ds_bpermute_b32 v16, v87, v26
	ds_bpermute_b32 v13, v87, v18
	ds_bpermute_b32 v28, v82, v20
	ds_bpermute_b32 v14, v87, v19
	s_waitcnt lgkmcnt(7)
	v_add_f32_e32 v23, v33, v10
	buffer_load_dword v33, off, s[48:51], 0 offset:780 ; 4-byte Folded Reload
	ds_bpermute_b32 v31, v82, v15
	ds_bpermute_b32 v30, v82, v21
	;; [unrolled: 1-line block ×3, first 2 shown]
	v_add_f32_e32 v9, v24, v9
	s_waitcnt vmcnt(13)
	ds_bpermute_b32 v24, v72, v45
	s_waitcnt lgkmcnt(10)
	v_add_f32_e32 v22, v29, v22
	s_waitcnt vmcnt(11)
	ds_bpermute_b32 v29, v72, v44
	s_waitcnt lgkmcnt(10)
	v_add_f32_e32 v12, v0, v17
	s_waitcnt vmcnt(8)
	ds_bpermute_b32 v36, v72, v41
	s_waitcnt lgkmcnt(10)
	v_add_f32_e32 v10, v25, v11
	s_waitcnt lgkmcnt(9)
	v_add_f32_e32 v11, v26, v16
	s_waitcnt lgkmcnt(8)
	;; [unrolled: 2-line block ×4, first 2 shown]
	v_add_f32_e32 v14, v19, v14
	ds_bpermute_b32 v16, v82, v23
	ds_bpermute_b32 v25, v72, v40
	s_waitcnt lgkmcnt(7)
	v_add_f32_e32 v19, v15, v31
	ds_bpermute_b32 v15, v72, v39
	ds_bpermute_b32 v26, v87, v18
	;; [unrolled: 1-line block ×3, first 2 shown]
	s_waitcnt lgkmcnt(9)
	v_add_f32_e32 v21, v21, v30
	s_waitcnt lgkmcnt(8)
	v_add_f32_e32 v20, v27, v32
	ds_bpermute_b32 v27, v87, v19
	ds_bpermute_b32 v30, v72, v43
	s_waitcnt lgkmcnt(8)
	v_add_f32_e32 v29, v44, v29
	ds_bpermute_b32 v32, v87, v21
	ds_bpermute_b32 v28, v87, v20
	v_add_f32_e32 v24, v45, v24
	s_waitcnt lgkmcnt(8)
	v_add_f32_e32 v23, v23, v16
	s_waitcnt lgkmcnt(7)
	;; [unrolled: 2-line block ×5, first 2 shown]
	v_add_f32_e32 v18, v22, v31
	ds_bpermute_b32 v35, v87, v23
	ds_bpermute_b32 v40, v82, v25
	s_waitcnt lgkmcnt(5)
	v_add_f32_e32 v16, v19, v27
	s_waitcnt lgkmcnt(4)
	v_add_f32_e32 v30, v43, v30
	ds_bpermute_b32 v27, v82, v24
	s_waitcnt lgkmcnt(4)
	v_add_f32_e32 v19, v21, v32
	ds_bpermute_b32 v21, v82, v29
	ds_bpermute_b32 v26, v82, v39
	ds_bpermute_b32 v22, v82, v30
	s_waitcnt lgkmcnt(4)
	v_add_f32_e32 v25, v25, v40
	s_waitcnt lgkmcnt(3)
	v_add_f32_e32 v24, v24, v27
	;; [unrolled: 2-line block ×5, first 2 shown]
	ds_bpermute_b32 v40, v87, v24
	ds_bpermute_b32 v44, v87, v29
	;; [unrolled: 1-line block ×4, first 2 shown]
	s_waitcnt lgkmcnt(3)
	v_add_f32_e32 v24, v24, v40
	s_waitcnt vmcnt(1)
	ds_bpermute_b32 v0, v72, v34
	s_waitcnt lgkmcnt(0)
	v_add_f32_e32 v0, v34, v0
	ds_bpermute_b32 v34, v72, v42
	s_waitcnt vmcnt(0)
	ds_bpermute_b32 v17, v72, v33
	ds_bpermute_b32 v37, v82, v0
	s_waitcnt lgkmcnt(1)
	v_add_f32_e32 v33, v33, v17
	v_add_f32_e32 v17, v20, v28
	;; [unrolled: 1-line block ×3, first 2 shown]
	s_waitcnt lgkmcnt(0)
	v_add_f32_e32 v0, v0, v37
	v_add_f32_e32 v20, v23, v35
	ds_bpermute_b32 v38, v82, v33
	v_add_f32_e32 v23, v41, v36
	ds_bpermute_b32 v32, v82, v28
	ds_bpermute_b32 v37, v87, v0
	;; [unrolled: 1-line block ×7, first 2 shown]
	s_waitcnt lgkmcnt(7)
	v_add_f32_e32 v31, v33, v38
	ds_bpermute_b32 v38, v72, v52
	ds_bpermute_b32 v33, v72, v48
	s_waitcnt lgkmcnt(7)
	v_add_f32_e32 v21, v0, v37
	v_add_f32_e32 v28, v28, v32
	ds_bpermute_b32 v27, v87, v31
	s_waitcnt lgkmcnt(3)
	v_add_f32_e32 v25, v25, v41
	s_waitcnt lgkmcnt(2)
	v_add_f32_e32 v38, v52, v38
	buffer_load_dword v52, off, s[48:51], 0 offset:724 ; 4-byte Folded Reload
	ds_bpermute_b32 v43, v72, v50
	s_waitcnt lgkmcnt(2)
	v_add_f32_e32 v32, v48, v33
	s_waitcnt lgkmcnt(1)
	v_add_f32_e32 v22, v31, v27
	v_add_f32_e32 v31, v51, v42
	buffer_load_dword v51, off, s[48:51], 0 offset:720 ; 4-byte Folded Reload
	v_add_f32_e32 v33, v23, v34
	v_add_f32_e32 v34, v47, v35
	;; [unrolled: 1-line block ×3, first 2 shown]
	ds_bpermute_b32 v36, v87, v28
	ds_bpermute_b32 v46, v82, v32
	;; [unrolled: 1-line block ×5, first 2 shown]
	v_add_f32_e32 v23, v26, v39
	ds_bpermute_b32 v0, v82, v38
	v_add_f32_e32 v26, v29, v44
	v_add_f32_e32 v27, v30, v45
	ds_bpermute_b32 v40, v82, v31
	s_waitcnt lgkmcnt(7)
	v_add_f32_e32 v37, v50, v43
	buffer_load_dword v50, off, s[48:51], 0 offset:716 ; 4-byte Folded Reload
	ds_bpermute_b32 v43, v72, v59
	ds_bpermute_b32 v41, v82, v37
	s_waitcnt lgkmcnt(8)
	v_add_f32_e32 v28, v28, v36
	ds_bpermute_b32 v36, v72, v60
	s_waitcnt lgkmcnt(7)
	v_add_f32_e32 v29, v33, v47
	s_waitcnt lgkmcnt(6)
	v_add_f32_e32 v33, v34, v48
	v_add_f32_e32 v32, v32, v46
	ds_bpermute_b32 v46, v72, v55
	s_waitcnt lgkmcnt(6)
	v_add_f32_e32 v34, v35, v49
	s_waitcnt lgkmcnt(5)
	v_add_f32_e32 v0, v38, v0
	ds_bpermute_b32 v44, v87, v33
	ds_bpermute_b32 v47, v72, v56
	;; [unrolled: 1-line block ×4, first 2 shown]
	s_waitcnt lgkmcnt(8)
	v_add_f32_e32 v40, v31, v40
	ds_bpermute_b32 v49, v87, v0
	s_waitcnt lgkmcnt(8)
	v_add_f32_e32 v43, v59, v43
	ds_bpermute_b32 v59, v72, v68
	s_waitcnt lgkmcnt(8)
	v_add_f32_e32 v37, v37, v41
	s_waitcnt lgkmcnt(7)
	v_add_f32_e32 v36, v60, v36
	buffer_load_dword v60, off, s[48:51], 0 offset:688 ; 4-byte Folded Reload
	ds_bpermute_b32 v54, v72, v57
	s_waitcnt lgkmcnt(6)
	v_add_f32_e32 v31, v33, v44
	v_add_f32_e32 v44, v55, v46
	s_waitcnt lgkmcnt(5)
	v_add_f32_e32 v47, v56, v47
	ds_bpermute_b32 v55, v82, v43
	ds_bpermute_b32 v46, v82, v36
	s_waitcnt lgkmcnt(4)
	v_add_f32_e32 v33, v0, v49
	ds_bpermute_b32 v56, v82, v44
	ds_bpermute_b32 v49, v72, v62
	s_waitcnt lgkmcnt(5)
	v_add_f32_e32 v59, v68, v59
	s_waitcnt lgkmcnt(3)
	v_add_f32_e32 v43, v43, v55
	ds_bpermute_b32 v55, v72, v65
	s_waitcnt lgkmcnt(3)
	v_add_f32_e32 v46, v36, v46
	s_waitcnt lgkmcnt(2)
	v_add_f32_e32 v44, v44, v56
	;; [unrolled: 2-line block ×4, first 2 shown]
	buffer_load_dword v65, off, s[48:51], 0 offset:660 ; 4-byte Folded Reload
	s_waitcnt vmcnt(4)
	ds_bpermute_b32 v39, v72, v52
	s_waitcnt vmcnt(3)
	ds_bpermute_b32 v30, v72, v51
	s_waitcnt lgkmcnt(1)
	v_add_f32_e32 v38, v52, v39
	ds_bpermute_b32 v39, v72, v58
	s_waitcnt vmcnt(2)
	ds_bpermute_b32 v42, v72, v50
	s_waitcnt lgkmcnt(2)
	v_add_f32_e32 v48, v51, v30
	ds_bpermute_b32 v41, v82, v38
	ds_bpermute_b32 v51, v87, v37
	v_add_f32_e32 v30, v32, v35
	v_add_f32_e32 v32, v34, v45
	ds_bpermute_b32 v52, v82, v48
	ds_bpermute_b32 v45, v82, v47
	s_waitcnt lgkmcnt(5)
	v_add_f32_e32 v39, v58, v39
	s_waitcnt lgkmcnt(4)
	v_add_f32_e32 v42, v50, v42
	ds_bpermute_b32 v50, v87, v40
	s_waitcnt lgkmcnt(4)
	v_add_f32_e32 v38, v38, v41
	ds_bpermute_b32 v41, v82, v39
	;; [unrolled: 3-line block ×3, first 2 shown]
	s_waitcnt lgkmcnt(4)
	v_add_f32_e32 v37, v48, v52
	s_waitcnt lgkmcnt(3)
	v_add_f32_e32 v45, v47, v45
	ds_bpermute_b32 v47, v87, v44
	ds_bpermute_b32 v0, v87, v38
	s_waitcnt vmcnt(1)
	ds_bpermute_b32 v48, v72, v60
	ds_bpermute_b32 v52, v87, v37
	;; [unrolled: 1-line block ×3, first 2 shown]
	s_waitcnt lgkmcnt(7)
	v_add_f32_e32 v34, v40, v50
	v_add_f32_e32 v40, v57, v54
	ds_bpermute_b32 v50, v72, v61
	ds_bpermute_b32 v54, v72, v69
	s_waitcnt lgkmcnt(8)
	v_add_f32_e32 v56, v39, v41
	ds_bpermute_b32 v41, v87, v43
	ds_bpermute_b32 v51, v82, v40
	s_waitcnt lgkmcnt(9)
	;; [unrolled: 4-line block ×4, first 2 shown]
	v_add_f32_e32 v37, v37, v52
	ds_bpermute_b32 v52, v82, v55
	v_add_f32_e32 v48, v60, v48
	ds_bpermute_b32 v60, v72, v67
	s_waitcnt lgkmcnt(9)
	v_add_f32_e32 v50, v61, v50
	s_waitcnt lgkmcnt(8)
	v_add_f32_e32 v54, v69, v54
	ds_bpermute_b32 v61, v82, v48
	s_waitcnt lgkmcnt(7)
	v_add_f32_e32 v51, v40, v51
	v_add_f32_e32 v40, v43, v41
	;; [unrolled: 1-line block ×3, first 2 shown]
	ds_bpermute_b32 v62, v82, v50
	s_waitcnt lgkmcnt(7)
	v_add_f32_e32 v39, v46, v39
	ds_bpermute_b32 v46, v82, v54
	s_waitcnt lgkmcnt(5)
	v_add_f32_e32 v38, v42, v53
	v_add_f32_e32 v42, v56, v57
	;; [unrolled: 1-line block ×3, first 2 shown]
	ds_bpermute_b32 v45, v82, v59
	ds_bpermute_b32 v63, v87, v51
	v_add_f32_e32 v49, v49, v0
	s_waitcnt lgkmcnt(6)
	v_add_f32_e32 v52, v55, v52
	ds_bpermute_b32 v55, v72, v64
	s_waitcnt lgkmcnt(6)
	v_add_f32_e32 v47, v67, v60
	buffer_load_dword v67, off, s[48:51], 0 offset:656 ; 4-byte Folded Reload
	ds_bpermute_b32 v60, v72, v70
	ds_bpermute_b32 v64, v87, v52
	;; [unrolled: 1-line block ×3, first 2 shown]
	s_waitcnt vmcnt(1)
	ds_bpermute_b32 v53, v72, v65
	ds_bpermute_b32 v56, v82, v47
	s_waitcnt lgkmcnt(10)
	v_add_f32_e32 v48, v48, v61
	s_waitcnt lgkmcnt(9)
	v_add_f32_e32 v50, v50, v62
	ds_bpermute_b32 v62, v72, v74
	s_waitcnt lgkmcnt(9)
	v_add_f32_e32 v54, v54, v46
	ds_bpermute_b32 v58, v87, v50
	;; [unrolled: 3-line block ×5, first 2 shown]
	ds_bpermute_b32 v51, v87, v48
	s_waitcnt lgkmcnt(10)
	v_add_f32_e32 v60, v70, v60
	ds_bpermute_b32 v70, v72, v80
	s_waitcnt lgkmcnt(8)
	v_add_f32_e32 v46, v65, v53
	;; [unrolled: 3-line block ×3, first 2 shown]
	ds_bpermute_b32 v47, v72, v79
	ds_bpermute_b32 v65, v72, v78
	s_waitcnt lgkmcnt(9)
	v_add_f32_e32 v62, v74, v62
	ds_bpermute_b32 v73, v82, v60
	ds_bpermute_b32 v74, v82, v55
	;; [unrolled: 1-line block ×4, first 2 shown]
	s_waitcnt lgkmcnt(11)
	v_add_f32_e32 v45, v75, v45
	ds_bpermute_b32 v75, v82, v62
	ds_bpermute_b32 v76, v82, v45
	s_waitcnt lgkmcnt(9)
	v_add_f32_e32 v70, v80, v70
	s_waitcnt lgkmcnt(8)
	v_add_f32_e32 v53, v83, v53
	;; [unrolled: 2-line block ×3, first 2 shown]
	ds_bpermute_b32 v79, v82, v66
	s_waitcnt lgkmcnt(7)
	v_add_f32_e32 v65, v78, v65
	s_waitcnt lgkmcnt(6)
	v_add_f32_e32 v60, v60, v73
	;; [unrolled: 2-line block ×4, first 2 shown]
	ds_bpermute_b32 v46, v82, v53
	ds_bpermute_b32 v78, v82, v65
	;; [unrolled: 1-line block ×3, first 2 shown]
	s_waitcnt lgkmcnt(5)
	v_add_f32_e32 v62, v62, v75
	ds_bpermute_b32 v83, v87, v55
	s_waitcnt lgkmcnt(5)
	v_add_f32_e32 v76, v45, v76
	ds_bpermute_b32 v84, v87, v62
	v_add_f32_e32 v45, v49, v57
	v_add_f32_e32 v49, v59, v68
	s_waitcnt lgkmcnt(5)
	v_add_f32_e32 v66, v66, v79
	ds_bpermute_b32 v85, v87, v66
	s_waitcnt lgkmcnt(4)
	v_add_f32_e32 v65, v65, v78
	ds_bpermute_b32 v78, v87, v76
	s_waitcnt lgkmcnt(3)
	v_add_f32_e32 v55, v55, v83
	s_waitcnt lgkmcnt(0)
	v_add_f32_e32 v57, v76, v78
	s_waitcnt vmcnt(0)
	ds_bpermute_b32 v0, v72, v67
	s_waitcnt lgkmcnt(0)
	v_add_f32_e32 v0, v67, v0
	ds_bpermute_b32 v67, v72, v77
	ds_bpermute_b32 v72, v72, v81
	;; [unrolled: 1-line block ×3, first 2 shown]
	s_waitcnt lgkmcnt(2)
	v_add_f32_e32 v67, v77, v67
	s_waitcnt lgkmcnt(1)
	v_add_f32_e32 v72, v81, v72
	ds_bpermute_b32 v77, v82, v47
	ds_bpermute_b32 v81, v87, v63
	s_waitcnt lgkmcnt(2)
	v_add_f32_e32 v71, v0, v71
	ds_bpermute_b32 v80, v82, v67
	ds_bpermute_b32 v0, v82, v70
	;; [unrolled: 1-line block ×3, first 2 shown]
	v_add_f32_e32 v82, v53, v46
	v_add_f32_e32 v46, v50, v58
	v_add_f32_e32 v50, v56, v69
	v_add_f32_e32 v56, v62, v84
	ds_bpermute_b32 v53, v87, v71
	ds_bpermute_b32 v75, v87, v82
	s_waitcnt lgkmcnt(6)
	v_add_f32_e32 v77, v47, v77
	v_add_f32_e32 v47, v54, v61
	s_waitcnt lgkmcnt(4)
	v_add_f32_e32 v67, v67, v80
	s_waitcnt lgkmcnt(3)
	v_add_f32_e32 v70, v70, v0
	v_add_f32_e32 v0, v48, v51
	;; [unrolled: 1-line block ×4, first 2 shown]
	buffer_load_dword v63, off, s[48:51], 0 offset:888 ; 4-byte Folded Reload
	ds_bpermute_b32 v80, v87, v65
	s_waitcnt lgkmcnt(3)
	v_add_f32_e32 v72, v72, v73
	ds_bpermute_b32 v79, v87, v77
	s_waitcnt lgkmcnt(3)
	v_add_f32_e32 v52, v71, v53
	v_add_f32_e32 v53, v60, v74
	;; [unrolled: 1-line block ×3, first 2 shown]
	s_clause 0x1
	buffer_load_dword v66, off, s[48:51], 0 offset:912
	buffer_load_dword v62, off, s[48:51], 0 offset:884
	ds_bpermute_b32 v86, v87, v67
	ds_bpermute_b32 v73, v87, v70
	;; [unrolled: 1-line block ×3, first 2 shown]
	s_waitcnt lgkmcnt(5)
	v_add_f32_e32 v54, v82, v75
	s_waitcnt vmcnt(0) lgkmcnt(0)
	s_waitcnt_vscnt null, 0x0
	s_barrier
	buffer_gl0_inv
	v_add_f32_e32 v59, v65, v80
	v_add_f32_e32 v58, v77, v79
	;; [unrolled: 1-line block ×3, first 2 shown]
	v_and_b32_e32 v65, 7, v63
	v_and_b32_e32 v67, 0x3c0, v63
	v_add_f32_e32 v63, v72, v87
	v_cmp_eq_u32_e32 vcc_lo, 0, v65
	v_lshlrev_b32_e32 v66, 10, v66
	v_lshrrev_b32_e32 v64, 3, v62
	v_add_f32_e32 v62, v70, v73
	v_lshl_add_u32 v65, v64, 2, 0x420
	v_cmpx_eq_u32_e32 64, v67
	s_cbranch_execz .LBB53_171
; %bb.169:
	s_and_b32 exec_lo, exec_lo, vcc_lo
	s_cbranch_execz .LBB53_171
; %bb.170:
	v_add_nc_u32_e32 v67, v65, v66
	v_add_nc_u32_e32 v68, 0xfffff800, v67
	;; [unrolled: 1-line block ×7, first 2 shown]
	ds_write_b32 v68, v1
	ds_write_b32 v69, v2
	;; [unrolled: 1-line block ×4, first 2 shown]
	v_add_nc_u32_e32 v68, 0xfffff860, v67
	v_add_nc_u32_e32 v69, 0xfffff870, v67
	v_add_nc_u32_e32 v70, 0xfffff880, v67
	ds_write_b32 v72, v5
	ds_write_b32 v73, v6
	ds_write_b32 v68, v7
	ds_write_b32 v69, v8
	ds_write_b32 v70, v9
	v_add_nc_u32_e32 v68, 0xfffff890, v67
	v_add_nc_u32_e32 v69, 0xfffff8a0, v67
	v_add_nc_u32_e32 v70, 0xfffff8b0, v67
	v_add_nc_u32_e32 v71, 0xfffff8c0, v67
	v_add_nc_u32_e32 v72, 0xfffff8d0, v67
	ds_write_b32 v68, v10
	ds_write_b32 v69, v11
	ds_write_b32 v70, v12
	ds_write_b32 v71, v13
	ds_write_b32 v72, v14
	v_add_nc_u32_e32 v68, 0xfffff8e0, v67
	v_add_nc_u32_e32 v69, 0xfffff8f0, v67
	;; [unrolled: 10-line block ×11, first 2 shown]
	v_add_nc_u32_e32 v70, 0xfffffbd0, v67
	v_add_nc_u32_e32 v71, 0xfffffbe0, v67
	;; [unrolled: 1-line block ×3, first 2 shown]
	ds_write_b32 v68, v59
	ds_write_b32 v69, v60
	;; [unrolled: 1-line block ×5, first 2 shown]
.LBB53_171:
	s_or_b32 exec_lo, exec_lo, s3
	v_lshlrev_b32_e32 v64, 2, v64
	s_waitcnt lgkmcnt(0)
	s_barrier
	buffer_gl0_inv
	v_add3_u32 v64, 0x420, v66, v64
	s_and_saveexec_b32 s1, s0
	s_cbranch_execz .LBB53_238
; %bb.172:
	s_and_saveexec_b32 s0, vcc_lo
	s_cbranch_execnz .LBB53_310
; %bb.173:
	s_or_b32 exec_lo, exec_lo, s0
	s_and_saveexec_b32 s0, vcc_lo
	s_cbranch_execnz .LBB53_311
.LBB53_174:
	s_or_b32 exec_lo, exec_lo, s0
	s_and_saveexec_b32 s0, vcc_lo
	s_cbranch_execnz .LBB53_312
.LBB53_175:
	s_or_b32 exec_lo, exec_lo, s0
	s_and_saveexec_b32 s0, vcc_lo
	s_cbranch_execnz .LBB53_313
.LBB53_176:
	s_or_b32 exec_lo, exec_lo, s0
	s_and_saveexec_b32 s0, vcc_lo
	s_cbranch_execnz .LBB53_314
.LBB53_177:
	s_or_b32 exec_lo, exec_lo, s0
	s_and_saveexec_b32 s0, vcc_lo
	s_cbranch_execnz .LBB53_315
.LBB53_178:
	s_or_b32 exec_lo, exec_lo, s0
	s_and_saveexec_b32 s0, vcc_lo
	s_cbranch_execnz .LBB53_316
.LBB53_179:
	s_or_b32 exec_lo, exec_lo, s0
	s_and_saveexec_b32 s0, vcc_lo
	s_cbranch_execnz .LBB53_317
.LBB53_180:
	s_or_b32 exec_lo, exec_lo, s0
	s_and_saveexec_b32 s0, vcc_lo
	s_cbranch_execnz .LBB53_318
.LBB53_181:
	s_or_b32 exec_lo, exec_lo, s0
	s_and_saveexec_b32 s0, vcc_lo
	s_cbranch_execnz .LBB53_319
.LBB53_182:
	s_or_b32 exec_lo, exec_lo, s0
	s_and_saveexec_b32 s0, vcc_lo
	s_cbranch_execnz .LBB53_320
.LBB53_183:
	s_or_b32 exec_lo, exec_lo, s0
	s_and_saveexec_b32 s0, vcc_lo
	s_cbranch_execnz .LBB53_321
.LBB53_184:
	s_or_b32 exec_lo, exec_lo, s0
	s_and_saveexec_b32 s0, vcc_lo
	s_cbranch_execnz .LBB53_322
.LBB53_185:
	s_or_b32 exec_lo, exec_lo, s0
	s_and_saveexec_b32 s0, vcc_lo
	s_cbranch_execnz .LBB53_323
.LBB53_186:
	s_or_b32 exec_lo, exec_lo, s0
	s_and_saveexec_b32 s0, vcc_lo
	s_cbranch_execnz .LBB53_324
.LBB53_187:
	s_or_b32 exec_lo, exec_lo, s0
	s_and_saveexec_b32 s0, vcc_lo
	s_cbranch_execnz .LBB53_325
.LBB53_188:
	s_or_b32 exec_lo, exec_lo, s0
	s_and_saveexec_b32 s0, vcc_lo
	s_cbranch_execnz .LBB53_326
.LBB53_189:
	s_or_b32 exec_lo, exec_lo, s0
	s_and_saveexec_b32 s0, vcc_lo
	s_cbranch_execnz .LBB53_327
.LBB53_190:
	s_or_b32 exec_lo, exec_lo, s0
	s_and_saveexec_b32 s0, vcc_lo
	s_cbranch_execnz .LBB53_328
.LBB53_191:
	s_or_b32 exec_lo, exec_lo, s0
	s_and_saveexec_b32 s0, vcc_lo
	s_cbranch_execnz .LBB53_329
.LBB53_192:
	s_or_b32 exec_lo, exec_lo, s0
	s_and_saveexec_b32 s0, vcc_lo
	s_cbranch_execnz .LBB53_330
.LBB53_193:
	s_or_b32 exec_lo, exec_lo, s0
	s_and_saveexec_b32 s0, vcc_lo
	s_cbranch_execnz .LBB53_331
.LBB53_194:
	s_or_b32 exec_lo, exec_lo, s0
	s_and_saveexec_b32 s0, vcc_lo
	s_cbranch_execnz .LBB53_332
.LBB53_195:
	s_or_b32 exec_lo, exec_lo, s0
	s_and_saveexec_b32 s0, vcc_lo
	s_cbranch_execnz .LBB53_333
.LBB53_196:
	s_or_b32 exec_lo, exec_lo, s0
	s_and_saveexec_b32 s0, vcc_lo
	s_cbranch_execnz .LBB53_334
.LBB53_197:
	s_or_b32 exec_lo, exec_lo, s0
	s_and_saveexec_b32 s0, vcc_lo
	s_cbranch_execnz .LBB53_335
.LBB53_198:
	s_or_b32 exec_lo, exec_lo, s0
	s_and_saveexec_b32 s0, vcc_lo
	s_cbranch_execnz .LBB53_336
.LBB53_199:
	s_or_b32 exec_lo, exec_lo, s0
	s_and_saveexec_b32 s0, vcc_lo
	s_cbranch_execnz .LBB53_337
.LBB53_200:
	s_or_b32 exec_lo, exec_lo, s0
	s_and_saveexec_b32 s0, vcc_lo
	s_cbranch_execnz .LBB53_338
.LBB53_201:
	s_or_b32 exec_lo, exec_lo, s0
	s_and_saveexec_b32 s0, vcc_lo
	s_cbranch_execnz .LBB53_339
.LBB53_202:
	s_or_b32 exec_lo, exec_lo, s0
	s_and_saveexec_b32 s0, vcc_lo
	s_cbranch_execnz .LBB53_340
.LBB53_203:
	s_or_b32 exec_lo, exec_lo, s0
	s_and_saveexec_b32 s0, vcc_lo
	s_cbranch_execnz .LBB53_341
.LBB53_204:
	s_or_b32 exec_lo, exec_lo, s0
	s_and_saveexec_b32 s0, vcc_lo
	s_cbranch_execnz .LBB53_342
.LBB53_205:
	s_or_b32 exec_lo, exec_lo, s0
	s_and_saveexec_b32 s0, vcc_lo
	s_cbranch_execnz .LBB53_343
.LBB53_206:
	s_or_b32 exec_lo, exec_lo, s0
	s_and_saveexec_b32 s0, vcc_lo
	s_cbranch_execnz .LBB53_344
.LBB53_207:
	s_or_b32 exec_lo, exec_lo, s0
	s_and_saveexec_b32 s0, vcc_lo
	s_cbranch_execnz .LBB53_345
.LBB53_208:
	s_or_b32 exec_lo, exec_lo, s0
	s_and_saveexec_b32 s0, vcc_lo
	s_cbranch_execnz .LBB53_346
.LBB53_209:
	s_or_b32 exec_lo, exec_lo, s0
	s_and_saveexec_b32 s0, vcc_lo
	s_cbranch_execnz .LBB53_347
.LBB53_210:
	s_or_b32 exec_lo, exec_lo, s0
	s_and_saveexec_b32 s0, vcc_lo
	s_cbranch_execnz .LBB53_348
.LBB53_211:
	s_or_b32 exec_lo, exec_lo, s0
	s_and_saveexec_b32 s0, vcc_lo
	s_cbranch_execnz .LBB53_349
.LBB53_212:
	s_or_b32 exec_lo, exec_lo, s0
	s_and_saveexec_b32 s0, vcc_lo
	s_cbranch_execnz .LBB53_350
.LBB53_213:
	s_or_b32 exec_lo, exec_lo, s0
	s_and_saveexec_b32 s0, vcc_lo
	s_cbranch_execnz .LBB53_351
.LBB53_214:
	s_or_b32 exec_lo, exec_lo, s0
	s_and_saveexec_b32 s0, vcc_lo
	s_cbranch_execnz .LBB53_352
.LBB53_215:
	s_or_b32 exec_lo, exec_lo, s0
	s_and_saveexec_b32 s0, vcc_lo
	s_cbranch_execnz .LBB53_353
.LBB53_216:
	s_or_b32 exec_lo, exec_lo, s0
	s_and_saveexec_b32 s0, vcc_lo
	s_cbranch_execnz .LBB53_354
.LBB53_217:
	s_or_b32 exec_lo, exec_lo, s0
	s_and_saveexec_b32 s0, vcc_lo
	s_cbranch_execnz .LBB53_355
.LBB53_218:
	s_or_b32 exec_lo, exec_lo, s0
	s_and_saveexec_b32 s0, vcc_lo
	s_cbranch_execnz .LBB53_356
.LBB53_219:
	s_or_b32 exec_lo, exec_lo, s0
	s_and_saveexec_b32 s0, vcc_lo
	s_cbranch_execnz .LBB53_357
.LBB53_220:
	s_or_b32 exec_lo, exec_lo, s0
	s_and_saveexec_b32 s0, vcc_lo
	s_cbranch_execnz .LBB53_358
.LBB53_221:
	s_or_b32 exec_lo, exec_lo, s0
	s_and_saveexec_b32 s0, vcc_lo
	s_cbranch_execnz .LBB53_359
.LBB53_222:
	s_or_b32 exec_lo, exec_lo, s0
	s_and_saveexec_b32 s0, vcc_lo
	s_cbranch_execnz .LBB53_360
.LBB53_223:
	s_or_b32 exec_lo, exec_lo, s0
	s_and_saveexec_b32 s0, vcc_lo
	s_cbranch_execnz .LBB53_361
.LBB53_224:
	s_or_b32 exec_lo, exec_lo, s0
	s_and_saveexec_b32 s0, vcc_lo
	s_cbranch_execnz .LBB53_362
.LBB53_225:
	s_or_b32 exec_lo, exec_lo, s0
	s_and_saveexec_b32 s0, vcc_lo
	s_cbranch_execnz .LBB53_363
.LBB53_226:
	s_or_b32 exec_lo, exec_lo, s0
	s_and_saveexec_b32 s0, vcc_lo
	s_cbranch_execnz .LBB53_364
.LBB53_227:
	s_or_b32 exec_lo, exec_lo, s0
	s_and_saveexec_b32 s0, vcc_lo
	s_cbranch_execnz .LBB53_365
.LBB53_228:
	s_or_b32 exec_lo, exec_lo, s0
	s_and_saveexec_b32 s0, vcc_lo
	s_cbranch_execnz .LBB53_366
.LBB53_229:
	s_or_b32 exec_lo, exec_lo, s0
	s_and_saveexec_b32 s0, vcc_lo
	s_cbranch_execnz .LBB53_367
.LBB53_230:
	s_or_b32 exec_lo, exec_lo, s0
	s_and_saveexec_b32 s0, vcc_lo
	s_cbranch_execnz .LBB53_368
.LBB53_231:
	s_or_b32 exec_lo, exec_lo, s0
	s_and_saveexec_b32 s0, vcc_lo
	s_cbranch_execnz .LBB53_369
.LBB53_232:
	s_or_b32 exec_lo, exec_lo, s0
	s_and_saveexec_b32 s0, vcc_lo
	s_cbranch_execnz .LBB53_370
.LBB53_233:
	s_or_b32 exec_lo, exec_lo, s0
	s_and_saveexec_b32 s0, vcc_lo
	s_cbranch_execnz .LBB53_371
.LBB53_234:
	s_or_b32 exec_lo, exec_lo, s0
	s_and_saveexec_b32 s0, vcc_lo
	s_cbranch_execnz .LBB53_372
.LBB53_235:
	s_or_b32 exec_lo, exec_lo, s0
	s_and_saveexec_b32 s0, vcc_lo
	s_cbranch_execz .LBB53_237
.LBB53_236:
	ds_read_b32 v66, v64 offset:1008
	s_waitcnt lgkmcnt(0)
	v_add_f32_e32 v63, v63, v66
.LBB53_237:
	s_or_b32 exec_lo, exec_lo, s0
.LBB53_238:
	s_or_b32 exec_lo, exec_lo, s1
	buffer_load_dword v66, off, s[48:51], 0 offset:888 ; 4-byte Folded Reload
	s_mov_b32 s1, exec_lo
	s_waitcnt vmcnt(0)
	s_barrier
	buffer_gl0_inv
	v_and_b32_e32 v66, 0x3e7, v66
	v_cmpx_eq_u32_e32 32, v66
	s_cbranch_execz .LBB53_240
; %bb.239:
	ds_write2_b32 v65, v1, v2 offset1:4
	ds_write2_b32 v65, v3, v4 offset0:8 offset1:12
	ds_write2_b32 v65, v5, v6 offset0:16 offset1:20
	;; [unrolled: 1-line block ×31, first 2 shown]
.LBB53_240:
	s_or_b32 exec_lo, exec_lo, s1
	buffer_load_dword v65, off, s[48:51], 0 offset:888 ; 4-byte Folded Reload
	s_mov_b32 s1, exec_lo
	s_waitcnt vmcnt(0) lgkmcnt(0)
	s_barrier
	buffer_gl0_inv
	v_cmpx_gt_u32_e32 32, v65
	s_cbranch_execz .LBB53_307
; %bb.241:
	s_and_saveexec_b32 s0, vcc_lo
	s_cbranch_execnz .LBB53_373
; %bb.242:
	s_or_b32 exec_lo, exec_lo, s0
	s_and_saveexec_b32 s0, vcc_lo
	s_cbranch_execnz .LBB53_374
.LBB53_243:
	s_or_b32 exec_lo, exec_lo, s0
	s_and_saveexec_b32 s0, vcc_lo
	s_cbranch_execnz .LBB53_375
.LBB53_244:
	s_or_b32 exec_lo, exec_lo, s0
	s_and_saveexec_b32 s0, vcc_lo
	s_cbranch_execnz .LBB53_376
.LBB53_245:
	s_or_b32 exec_lo, exec_lo, s0
	s_and_saveexec_b32 s0, vcc_lo
	s_cbranch_execnz .LBB53_377
.LBB53_246:
	s_or_b32 exec_lo, exec_lo, s0
	s_and_saveexec_b32 s0, vcc_lo
	s_cbranch_execnz .LBB53_378
.LBB53_247:
	s_or_b32 exec_lo, exec_lo, s0
	s_and_saveexec_b32 s0, vcc_lo
	s_cbranch_execnz .LBB53_379
.LBB53_248:
	s_or_b32 exec_lo, exec_lo, s0
	s_and_saveexec_b32 s0, vcc_lo
	s_cbranch_execnz .LBB53_380
.LBB53_249:
	s_or_b32 exec_lo, exec_lo, s0
	s_and_saveexec_b32 s0, vcc_lo
	s_cbranch_execnz .LBB53_381
.LBB53_250:
	s_or_b32 exec_lo, exec_lo, s0
	s_and_saveexec_b32 s0, vcc_lo
	s_cbranch_execnz .LBB53_382
.LBB53_251:
	s_or_b32 exec_lo, exec_lo, s0
	s_and_saveexec_b32 s0, vcc_lo
	s_cbranch_execnz .LBB53_383
.LBB53_252:
	s_or_b32 exec_lo, exec_lo, s0
	s_and_saveexec_b32 s0, vcc_lo
	s_cbranch_execnz .LBB53_384
.LBB53_253:
	s_or_b32 exec_lo, exec_lo, s0
	s_and_saveexec_b32 s0, vcc_lo
	s_cbranch_execnz .LBB53_385
.LBB53_254:
	s_or_b32 exec_lo, exec_lo, s0
	s_and_saveexec_b32 s0, vcc_lo
	s_cbranch_execnz .LBB53_386
.LBB53_255:
	s_or_b32 exec_lo, exec_lo, s0
	s_and_saveexec_b32 s0, vcc_lo
	s_cbranch_execnz .LBB53_387
.LBB53_256:
	s_or_b32 exec_lo, exec_lo, s0
	s_and_saveexec_b32 s0, vcc_lo
	s_cbranch_execnz .LBB53_388
.LBB53_257:
	s_or_b32 exec_lo, exec_lo, s0
	s_and_saveexec_b32 s0, vcc_lo
	s_cbranch_execnz .LBB53_389
.LBB53_258:
	s_or_b32 exec_lo, exec_lo, s0
	s_and_saveexec_b32 s0, vcc_lo
	s_cbranch_execnz .LBB53_390
.LBB53_259:
	s_or_b32 exec_lo, exec_lo, s0
	s_and_saveexec_b32 s0, vcc_lo
	s_cbranch_execnz .LBB53_391
.LBB53_260:
	s_or_b32 exec_lo, exec_lo, s0
	s_and_saveexec_b32 s0, vcc_lo
	s_cbranch_execnz .LBB53_392
.LBB53_261:
	s_or_b32 exec_lo, exec_lo, s0
	s_and_saveexec_b32 s0, vcc_lo
	s_cbranch_execnz .LBB53_393
.LBB53_262:
	s_or_b32 exec_lo, exec_lo, s0
	s_and_saveexec_b32 s0, vcc_lo
	s_cbranch_execnz .LBB53_394
.LBB53_263:
	s_or_b32 exec_lo, exec_lo, s0
	s_and_saveexec_b32 s0, vcc_lo
	s_cbranch_execnz .LBB53_395
.LBB53_264:
	s_or_b32 exec_lo, exec_lo, s0
	s_and_saveexec_b32 s0, vcc_lo
	s_cbranch_execnz .LBB53_396
.LBB53_265:
	s_or_b32 exec_lo, exec_lo, s0
	s_and_saveexec_b32 s0, vcc_lo
	s_cbranch_execnz .LBB53_397
.LBB53_266:
	s_or_b32 exec_lo, exec_lo, s0
	s_and_saveexec_b32 s0, vcc_lo
	s_cbranch_execnz .LBB53_398
.LBB53_267:
	s_or_b32 exec_lo, exec_lo, s0
	s_and_saveexec_b32 s0, vcc_lo
	s_cbranch_execnz .LBB53_399
.LBB53_268:
	s_or_b32 exec_lo, exec_lo, s0
	s_and_saveexec_b32 s0, vcc_lo
	s_cbranch_execnz .LBB53_400
.LBB53_269:
	s_or_b32 exec_lo, exec_lo, s0
	s_and_saveexec_b32 s0, vcc_lo
	s_cbranch_execnz .LBB53_401
.LBB53_270:
	s_or_b32 exec_lo, exec_lo, s0
	s_and_saveexec_b32 s0, vcc_lo
	s_cbranch_execnz .LBB53_402
.LBB53_271:
	s_or_b32 exec_lo, exec_lo, s0
	s_and_saveexec_b32 s0, vcc_lo
	s_cbranch_execnz .LBB53_403
.LBB53_272:
	s_or_b32 exec_lo, exec_lo, s0
	s_and_saveexec_b32 s0, vcc_lo
	s_cbranch_execnz .LBB53_404
.LBB53_273:
	s_or_b32 exec_lo, exec_lo, s0
	s_and_saveexec_b32 s0, vcc_lo
	s_cbranch_execnz .LBB53_405
.LBB53_274:
	s_or_b32 exec_lo, exec_lo, s0
	s_and_saveexec_b32 s0, vcc_lo
	s_cbranch_execnz .LBB53_406
.LBB53_275:
	s_or_b32 exec_lo, exec_lo, s0
	s_and_saveexec_b32 s0, vcc_lo
	s_cbranch_execnz .LBB53_407
.LBB53_276:
	s_or_b32 exec_lo, exec_lo, s0
	s_and_saveexec_b32 s0, vcc_lo
	s_cbranch_execnz .LBB53_408
.LBB53_277:
	s_or_b32 exec_lo, exec_lo, s0
	s_and_saveexec_b32 s0, vcc_lo
	s_cbranch_execnz .LBB53_409
.LBB53_278:
	s_or_b32 exec_lo, exec_lo, s0
	s_and_saveexec_b32 s0, vcc_lo
	s_cbranch_execnz .LBB53_410
.LBB53_279:
	s_or_b32 exec_lo, exec_lo, s0
	s_and_saveexec_b32 s0, vcc_lo
	s_cbranch_execnz .LBB53_411
.LBB53_280:
	s_or_b32 exec_lo, exec_lo, s0
	s_and_saveexec_b32 s0, vcc_lo
	s_cbranch_execnz .LBB53_412
.LBB53_281:
	s_or_b32 exec_lo, exec_lo, s0
	s_and_saveexec_b32 s0, vcc_lo
	s_cbranch_execnz .LBB53_413
.LBB53_282:
	s_or_b32 exec_lo, exec_lo, s0
	s_and_saveexec_b32 s0, vcc_lo
	s_cbranch_execnz .LBB53_414
.LBB53_283:
	s_or_b32 exec_lo, exec_lo, s0
	s_and_saveexec_b32 s0, vcc_lo
	s_cbranch_execnz .LBB53_415
.LBB53_284:
	s_or_b32 exec_lo, exec_lo, s0
	s_and_saveexec_b32 s0, vcc_lo
	s_cbranch_execnz .LBB53_416
.LBB53_285:
	s_or_b32 exec_lo, exec_lo, s0
	s_and_saveexec_b32 s0, vcc_lo
	s_cbranch_execnz .LBB53_417
.LBB53_286:
	s_or_b32 exec_lo, exec_lo, s0
	s_and_saveexec_b32 s0, vcc_lo
	s_cbranch_execnz .LBB53_418
.LBB53_287:
	s_or_b32 exec_lo, exec_lo, s0
	s_and_saveexec_b32 s0, vcc_lo
	s_cbranch_execnz .LBB53_419
.LBB53_288:
	s_or_b32 exec_lo, exec_lo, s0
	s_and_saveexec_b32 s0, vcc_lo
	s_cbranch_execnz .LBB53_420
.LBB53_289:
	s_or_b32 exec_lo, exec_lo, s0
	s_and_saveexec_b32 s0, vcc_lo
	s_cbranch_execnz .LBB53_421
.LBB53_290:
	s_or_b32 exec_lo, exec_lo, s0
	s_and_saveexec_b32 s0, vcc_lo
	s_cbranch_execnz .LBB53_422
.LBB53_291:
	s_or_b32 exec_lo, exec_lo, s0
	s_and_saveexec_b32 s0, vcc_lo
	s_cbranch_execnz .LBB53_423
.LBB53_292:
	s_or_b32 exec_lo, exec_lo, s0
	s_and_saveexec_b32 s0, vcc_lo
	s_cbranch_execnz .LBB53_424
.LBB53_293:
	s_or_b32 exec_lo, exec_lo, s0
	s_and_saveexec_b32 s0, vcc_lo
	s_cbranch_execnz .LBB53_425
.LBB53_294:
	s_or_b32 exec_lo, exec_lo, s0
	s_and_saveexec_b32 s0, vcc_lo
	s_cbranch_execnz .LBB53_426
.LBB53_295:
	s_or_b32 exec_lo, exec_lo, s0
	s_and_saveexec_b32 s0, vcc_lo
	s_cbranch_execnz .LBB53_427
.LBB53_296:
	s_or_b32 exec_lo, exec_lo, s0
	s_and_saveexec_b32 s0, vcc_lo
	s_cbranch_execnz .LBB53_428
.LBB53_297:
	s_or_b32 exec_lo, exec_lo, s0
	s_and_saveexec_b32 s0, vcc_lo
	s_cbranch_execnz .LBB53_429
.LBB53_298:
	s_or_b32 exec_lo, exec_lo, s0
	s_and_saveexec_b32 s0, vcc_lo
	s_cbranch_execnz .LBB53_430
.LBB53_299:
	s_or_b32 exec_lo, exec_lo, s0
	s_and_saveexec_b32 s0, vcc_lo
	s_cbranch_execnz .LBB53_431
.LBB53_300:
	s_or_b32 exec_lo, exec_lo, s0
	s_and_saveexec_b32 s0, vcc_lo
	s_cbranch_execnz .LBB53_432
.LBB53_301:
	s_or_b32 exec_lo, exec_lo, s0
	s_and_saveexec_b32 s0, vcc_lo
	s_cbranch_execnz .LBB53_433
.LBB53_302:
	s_or_b32 exec_lo, exec_lo, s0
	s_and_saveexec_b32 s0, vcc_lo
	s_cbranch_execnz .LBB53_434
.LBB53_303:
	s_or_b32 exec_lo, exec_lo, s0
	s_and_saveexec_b32 s0, vcc_lo
	s_cbranch_execnz .LBB53_435
.LBB53_304:
	s_or_b32 exec_lo, exec_lo, s0
	s_and_saveexec_b32 s0, vcc_lo
	s_cbranch_execz .LBB53_306
.LBB53_305:
	ds_read_b32 v64, v64 offset:1008
	s_waitcnt lgkmcnt(0)
	v_add_f32_e32 v63, v63, v64
.LBB53_306:
	s_or_b32 exec_lo, exec_lo, s0
.LBB53_307:
	s_or_b32 exec_lo, exec_lo, s1
	s_barrier
	buffer_gl0_inv
	s_mov_b32 s0, exec_lo
	v_cmpx_eq_u32_e32 0, v66
	s_cbranch_execz .LBB53_309
; %bb.308:
	buffer_load_dword v64, off, s[48:51], 0 offset:888 ; 4-byte Folded Reload
	s_lshl_b32 s0, s2, 8
	s_mul_i32 s2, s7, s10
	s_ashr_i32 s1, s0, 31
	s_lshl_b64 s[0:1], s[0:1], 2
	s_add_u32 s4, s24, s0
	s_addc_u32 s5, s25, s1
	s_ashr_i32 s3, s2, 31
	s_lshl_b64 s[0:1], s[2:3], 2
	s_add_u32 s2, s4, s0
	s_addc_u32 s3, s5, s1
	s_lshl_b32 s0, s8, 8
	s_ashr_i32 s1, s0, 31
	s_lshl_b64 s[0:1], s[0:1], 2
	s_add_u32 s0, s2, s0
	s_addc_u32 s1, s3, s1
	s_waitcnt vmcnt(0)
	v_lshrrev_b32_e32 v64, 1, v64
	global_store_dword v64, v1, s[0:1]
	global_store_dword v64, v2, s[0:1] offset:16
	global_store_dword v64, v3, s[0:1] offset:32
	;; [unrolled: 1-line block ×63, first 2 shown]
.LBB53_309:
	s_endpgm
.LBB53_310:
	ds_read_b32 v66, v64
	s_waitcnt lgkmcnt(0)
	v_add_f32_e32 v1, v1, v66
	s_or_b32 exec_lo, exec_lo, s0
	s_and_saveexec_b32 s0, vcc_lo
	s_cbranch_execz .LBB53_174
.LBB53_311:
	ds_read_b32 v66, v64 offset:16
	s_waitcnt lgkmcnt(0)
	v_add_f32_e32 v2, v2, v66
	s_or_b32 exec_lo, exec_lo, s0
	s_and_saveexec_b32 s0, vcc_lo
	s_cbranch_execz .LBB53_175
.LBB53_312:
	ds_read_b32 v66, v64 offset:32
	s_waitcnt lgkmcnt(0)
	v_add_f32_e32 v3, v3, v66
	s_or_b32 exec_lo, exec_lo, s0
	s_and_saveexec_b32 s0, vcc_lo
	s_cbranch_execz .LBB53_176
.LBB53_313:
	ds_read_b32 v66, v64 offset:48
	s_waitcnt lgkmcnt(0)
	v_add_f32_e32 v4, v4, v66
	s_or_b32 exec_lo, exec_lo, s0
	s_and_saveexec_b32 s0, vcc_lo
	s_cbranch_execz .LBB53_177
.LBB53_314:
	ds_read_b32 v66, v64 offset:64
	s_waitcnt lgkmcnt(0)
	v_add_f32_e32 v5, v5, v66
	s_or_b32 exec_lo, exec_lo, s0
	s_and_saveexec_b32 s0, vcc_lo
	s_cbranch_execz .LBB53_178
.LBB53_315:
	ds_read_b32 v66, v64 offset:80
	s_waitcnt lgkmcnt(0)
	v_add_f32_e32 v6, v6, v66
	s_or_b32 exec_lo, exec_lo, s0
	s_and_saveexec_b32 s0, vcc_lo
	s_cbranch_execz .LBB53_179
.LBB53_316:
	ds_read_b32 v66, v64 offset:96
	s_waitcnt lgkmcnt(0)
	v_add_f32_e32 v7, v7, v66
	s_or_b32 exec_lo, exec_lo, s0
	s_and_saveexec_b32 s0, vcc_lo
	s_cbranch_execz .LBB53_180
.LBB53_317:
	ds_read_b32 v66, v64 offset:112
	s_waitcnt lgkmcnt(0)
	v_add_f32_e32 v8, v8, v66
	s_or_b32 exec_lo, exec_lo, s0
	s_and_saveexec_b32 s0, vcc_lo
	s_cbranch_execz .LBB53_181
.LBB53_318:
	ds_read_b32 v66, v64 offset:128
	s_waitcnt lgkmcnt(0)
	v_add_f32_e32 v9, v9, v66
	s_or_b32 exec_lo, exec_lo, s0
	s_and_saveexec_b32 s0, vcc_lo
	s_cbranch_execz .LBB53_182
.LBB53_319:
	ds_read_b32 v66, v64 offset:144
	s_waitcnt lgkmcnt(0)
	v_add_f32_e32 v10, v10, v66
	s_or_b32 exec_lo, exec_lo, s0
	s_and_saveexec_b32 s0, vcc_lo
	s_cbranch_execz .LBB53_183
.LBB53_320:
	ds_read_b32 v66, v64 offset:160
	s_waitcnt lgkmcnt(0)
	v_add_f32_e32 v11, v11, v66
	s_or_b32 exec_lo, exec_lo, s0
	s_and_saveexec_b32 s0, vcc_lo
	s_cbranch_execz .LBB53_184
.LBB53_321:
	ds_read_b32 v66, v64 offset:176
	s_waitcnt lgkmcnt(0)
	v_add_f32_e32 v12, v12, v66
	s_or_b32 exec_lo, exec_lo, s0
	s_and_saveexec_b32 s0, vcc_lo
	s_cbranch_execz .LBB53_185
.LBB53_322:
	ds_read_b32 v66, v64 offset:192
	s_waitcnt lgkmcnt(0)
	v_add_f32_e32 v13, v13, v66
	s_or_b32 exec_lo, exec_lo, s0
	s_and_saveexec_b32 s0, vcc_lo
	s_cbranch_execz .LBB53_186
.LBB53_323:
	ds_read_b32 v66, v64 offset:208
	s_waitcnt lgkmcnt(0)
	v_add_f32_e32 v14, v14, v66
	s_or_b32 exec_lo, exec_lo, s0
	s_and_saveexec_b32 s0, vcc_lo
	s_cbranch_execz .LBB53_187
.LBB53_324:
	ds_read_b32 v66, v64 offset:224
	s_waitcnt lgkmcnt(0)
	v_add_f32_e32 v15, v15, v66
	s_or_b32 exec_lo, exec_lo, s0
	s_and_saveexec_b32 s0, vcc_lo
	s_cbranch_execz .LBB53_188
.LBB53_325:
	ds_read_b32 v66, v64 offset:240
	s_waitcnt lgkmcnt(0)
	v_add_f32_e32 v16, v16, v66
	s_or_b32 exec_lo, exec_lo, s0
	s_and_saveexec_b32 s0, vcc_lo
	s_cbranch_execz .LBB53_189
.LBB53_326:
	ds_read_b32 v66, v64 offset:256
	s_waitcnt lgkmcnt(0)
	v_add_f32_e32 v17, v17, v66
	s_or_b32 exec_lo, exec_lo, s0
	s_and_saveexec_b32 s0, vcc_lo
	s_cbranch_execz .LBB53_190
.LBB53_327:
	ds_read_b32 v66, v64 offset:272
	s_waitcnt lgkmcnt(0)
	v_add_f32_e32 v18, v18, v66
	s_or_b32 exec_lo, exec_lo, s0
	s_and_saveexec_b32 s0, vcc_lo
	s_cbranch_execz .LBB53_191
.LBB53_328:
	ds_read_b32 v66, v64 offset:288
	s_waitcnt lgkmcnt(0)
	v_add_f32_e32 v19, v19, v66
	s_or_b32 exec_lo, exec_lo, s0
	s_and_saveexec_b32 s0, vcc_lo
	s_cbranch_execz .LBB53_192
.LBB53_329:
	ds_read_b32 v66, v64 offset:304
	s_waitcnt lgkmcnt(0)
	v_add_f32_e32 v20, v20, v66
	s_or_b32 exec_lo, exec_lo, s0
	s_and_saveexec_b32 s0, vcc_lo
	s_cbranch_execz .LBB53_193
.LBB53_330:
	ds_read_b32 v66, v64 offset:320
	s_waitcnt lgkmcnt(0)
	v_add_f32_e32 v21, v21, v66
	s_or_b32 exec_lo, exec_lo, s0
	s_and_saveexec_b32 s0, vcc_lo
	s_cbranch_execz .LBB53_194
.LBB53_331:
	ds_read_b32 v66, v64 offset:336
	s_waitcnt lgkmcnt(0)
	v_add_f32_e32 v22, v22, v66
	s_or_b32 exec_lo, exec_lo, s0
	s_and_saveexec_b32 s0, vcc_lo
	s_cbranch_execz .LBB53_195
.LBB53_332:
	ds_read_b32 v66, v64 offset:352
	s_waitcnt lgkmcnt(0)
	v_add_f32_e32 v23, v23, v66
	s_or_b32 exec_lo, exec_lo, s0
	s_and_saveexec_b32 s0, vcc_lo
	s_cbranch_execz .LBB53_196
.LBB53_333:
	ds_read_b32 v66, v64 offset:368
	s_waitcnt lgkmcnt(0)
	v_add_f32_e32 v24, v24, v66
	s_or_b32 exec_lo, exec_lo, s0
	s_and_saveexec_b32 s0, vcc_lo
	s_cbranch_execz .LBB53_197
.LBB53_334:
	ds_read_b32 v66, v64 offset:384
	s_waitcnt lgkmcnt(0)
	v_add_f32_e32 v25, v25, v66
	s_or_b32 exec_lo, exec_lo, s0
	s_and_saveexec_b32 s0, vcc_lo
	s_cbranch_execz .LBB53_198
.LBB53_335:
	ds_read_b32 v66, v64 offset:400
	s_waitcnt lgkmcnt(0)
	v_add_f32_e32 v26, v26, v66
	s_or_b32 exec_lo, exec_lo, s0
	s_and_saveexec_b32 s0, vcc_lo
	s_cbranch_execz .LBB53_199
.LBB53_336:
	ds_read_b32 v66, v64 offset:416
	s_waitcnt lgkmcnt(0)
	v_add_f32_e32 v27, v27, v66
	s_or_b32 exec_lo, exec_lo, s0
	s_and_saveexec_b32 s0, vcc_lo
	s_cbranch_execz .LBB53_200
.LBB53_337:
	ds_read_b32 v66, v64 offset:432
	s_waitcnt lgkmcnt(0)
	v_add_f32_e32 v28, v28, v66
	s_or_b32 exec_lo, exec_lo, s0
	s_and_saveexec_b32 s0, vcc_lo
	s_cbranch_execz .LBB53_201
.LBB53_338:
	ds_read_b32 v66, v64 offset:448
	s_waitcnt lgkmcnt(0)
	v_add_f32_e32 v29, v29, v66
	s_or_b32 exec_lo, exec_lo, s0
	s_and_saveexec_b32 s0, vcc_lo
	s_cbranch_execz .LBB53_202
.LBB53_339:
	ds_read_b32 v66, v64 offset:464
	s_waitcnt lgkmcnt(0)
	v_add_f32_e32 v30, v30, v66
	s_or_b32 exec_lo, exec_lo, s0
	s_and_saveexec_b32 s0, vcc_lo
	s_cbranch_execz .LBB53_203
.LBB53_340:
	ds_read_b32 v66, v64 offset:480
	s_waitcnt lgkmcnt(0)
	v_add_f32_e32 v31, v31, v66
	s_or_b32 exec_lo, exec_lo, s0
	s_and_saveexec_b32 s0, vcc_lo
	s_cbranch_execz .LBB53_204
.LBB53_341:
	ds_read_b32 v66, v64 offset:496
	s_waitcnt lgkmcnt(0)
	v_add_f32_e32 v32, v32, v66
	s_or_b32 exec_lo, exec_lo, s0
	s_and_saveexec_b32 s0, vcc_lo
	s_cbranch_execz .LBB53_205
.LBB53_342:
	ds_read_b32 v66, v64 offset:512
	s_waitcnt lgkmcnt(0)
	v_add_f32_e32 v33, v33, v66
	s_or_b32 exec_lo, exec_lo, s0
	s_and_saveexec_b32 s0, vcc_lo
	s_cbranch_execz .LBB53_206
.LBB53_343:
	ds_read_b32 v66, v64 offset:528
	s_waitcnt lgkmcnt(0)
	v_add_f32_e32 v34, v34, v66
	s_or_b32 exec_lo, exec_lo, s0
	s_and_saveexec_b32 s0, vcc_lo
	s_cbranch_execz .LBB53_207
.LBB53_344:
	ds_read_b32 v66, v64 offset:544
	s_waitcnt lgkmcnt(0)
	v_add_f32_e32 v35, v35, v66
	s_or_b32 exec_lo, exec_lo, s0
	s_and_saveexec_b32 s0, vcc_lo
	s_cbranch_execz .LBB53_208
.LBB53_345:
	ds_read_b32 v66, v64 offset:560
	s_waitcnt lgkmcnt(0)
	v_add_f32_e32 v36, v36, v66
	s_or_b32 exec_lo, exec_lo, s0
	s_and_saveexec_b32 s0, vcc_lo
	s_cbranch_execz .LBB53_209
.LBB53_346:
	ds_read_b32 v66, v64 offset:576
	s_waitcnt lgkmcnt(0)
	v_add_f32_e32 v37, v37, v66
	s_or_b32 exec_lo, exec_lo, s0
	s_and_saveexec_b32 s0, vcc_lo
	s_cbranch_execz .LBB53_210
.LBB53_347:
	ds_read_b32 v66, v64 offset:592
	s_waitcnt lgkmcnt(0)
	v_add_f32_e32 v38, v38, v66
	s_or_b32 exec_lo, exec_lo, s0
	s_and_saveexec_b32 s0, vcc_lo
	s_cbranch_execz .LBB53_211
.LBB53_348:
	ds_read_b32 v66, v64 offset:608
	s_waitcnt lgkmcnt(0)
	v_add_f32_e32 v39, v39, v66
	s_or_b32 exec_lo, exec_lo, s0
	s_and_saveexec_b32 s0, vcc_lo
	s_cbranch_execz .LBB53_212
.LBB53_349:
	ds_read_b32 v66, v64 offset:624
	s_waitcnt lgkmcnt(0)
	v_add_f32_e32 v40, v40, v66
	s_or_b32 exec_lo, exec_lo, s0
	s_and_saveexec_b32 s0, vcc_lo
	s_cbranch_execz .LBB53_213
.LBB53_350:
	ds_read_b32 v66, v64 offset:640
	s_waitcnt lgkmcnt(0)
	v_add_f32_e32 v41, v41, v66
	s_or_b32 exec_lo, exec_lo, s0
	s_and_saveexec_b32 s0, vcc_lo
	s_cbranch_execz .LBB53_214
.LBB53_351:
	ds_read_b32 v66, v64 offset:656
	s_waitcnt lgkmcnt(0)
	v_add_f32_e32 v42, v42, v66
	s_or_b32 exec_lo, exec_lo, s0
	s_and_saveexec_b32 s0, vcc_lo
	s_cbranch_execz .LBB53_215
.LBB53_352:
	ds_read_b32 v66, v64 offset:672
	s_waitcnt lgkmcnt(0)
	v_add_f32_e32 v43, v43, v66
	s_or_b32 exec_lo, exec_lo, s0
	s_and_saveexec_b32 s0, vcc_lo
	s_cbranch_execz .LBB53_216
.LBB53_353:
	ds_read_b32 v66, v64 offset:688
	s_waitcnt lgkmcnt(0)
	v_add_f32_e32 v44, v44, v66
	s_or_b32 exec_lo, exec_lo, s0
	s_and_saveexec_b32 s0, vcc_lo
	s_cbranch_execz .LBB53_217
.LBB53_354:
	ds_read_b32 v66, v64 offset:704
	s_waitcnt lgkmcnt(0)
	v_add_f32_e32 v0, v0, v66
	s_or_b32 exec_lo, exec_lo, s0
	s_and_saveexec_b32 s0, vcc_lo
	s_cbranch_execz .LBB53_218
.LBB53_355:
	ds_read_b32 v66, v64 offset:720
	s_waitcnt lgkmcnt(0)
	v_add_f32_e32 v45, v45, v66
	s_or_b32 exec_lo, exec_lo, s0
	s_and_saveexec_b32 s0, vcc_lo
	s_cbranch_execz .LBB53_219
.LBB53_356:
	ds_read_b32 v66, v64 offset:736
	s_waitcnt lgkmcnt(0)
	v_add_f32_e32 v46, v46, v66
	s_or_b32 exec_lo, exec_lo, s0
	s_and_saveexec_b32 s0, vcc_lo
	s_cbranch_execz .LBB53_220
.LBB53_357:
	ds_read_b32 v66, v64 offset:752
	s_waitcnt lgkmcnt(0)
	v_add_f32_e32 v47, v47, v66
	s_or_b32 exec_lo, exec_lo, s0
	s_and_saveexec_b32 s0, vcc_lo
	s_cbranch_execz .LBB53_221
.LBB53_358:
	ds_read_b32 v66, v64 offset:768
	s_waitcnt lgkmcnt(0)
	v_add_f32_e32 v48, v48, v66
	s_or_b32 exec_lo, exec_lo, s0
	s_and_saveexec_b32 s0, vcc_lo
	s_cbranch_execz .LBB53_222
.LBB53_359:
	ds_read_b32 v66, v64 offset:784
	s_waitcnt lgkmcnt(0)
	v_add_f32_e32 v49, v49, v66
	s_or_b32 exec_lo, exec_lo, s0
	s_and_saveexec_b32 s0, vcc_lo
	s_cbranch_execz .LBB53_223
.LBB53_360:
	ds_read_b32 v66, v64 offset:800
	s_waitcnt lgkmcnt(0)
	v_add_f32_e32 v50, v50, v66
	s_or_b32 exec_lo, exec_lo, s0
	s_and_saveexec_b32 s0, vcc_lo
	s_cbranch_execz .LBB53_224
.LBB53_361:
	ds_read_b32 v66, v64 offset:816
	s_waitcnt lgkmcnt(0)
	v_add_f32_e32 v51, v51, v66
	s_or_b32 exec_lo, exec_lo, s0
	s_and_saveexec_b32 s0, vcc_lo
	s_cbranch_execz .LBB53_225
.LBB53_362:
	ds_read_b32 v66, v64 offset:832
	s_waitcnt lgkmcnt(0)
	v_add_f32_e32 v52, v52, v66
	s_or_b32 exec_lo, exec_lo, s0
	s_and_saveexec_b32 s0, vcc_lo
	s_cbranch_execz .LBB53_226
.LBB53_363:
	ds_read_b32 v66, v64 offset:848
	s_waitcnt lgkmcnt(0)
	v_add_f32_e32 v53, v53, v66
	s_or_b32 exec_lo, exec_lo, s0
	s_and_saveexec_b32 s0, vcc_lo
	s_cbranch_execz .LBB53_227
.LBB53_364:
	ds_read_b32 v66, v64 offset:864
	s_waitcnt lgkmcnt(0)
	v_add_f32_e32 v54, v54, v66
	s_or_b32 exec_lo, exec_lo, s0
	s_and_saveexec_b32 s0, vcc_lo
	s_cbranch_execz .LBB53_228
.LBB53_365:
	ds_read_b32 v66, v64 offset:880
	s_waitcnt lgkmcnt(0)
	v_add_f32_e32 v55, v55, v66
	s_or_b32 exec_lo, exec_lo, s0
	s_and_saveexec_b32 s0, vcc_lo
	s_cbranch_execz .LBB53_229
.LBB53_366:
	ds_read_b32 v66, v64 offset:896
	s_waitcnt lgkmcnt(0)
	v_add_f32_e32 v56, v56, v66
	s_or_b32 exec_lo, exec_lo, s0
	s_and_saveexec_b32 s0, vcc_lo
	s_cbranch_execz .LBB53_230
.LBB53_367:
	ds_read_b32 v66, v64 offset:912
	s_waitcnt lgkmcnt(0)
	v_add_f32_e32 v57, v57, v66
	s_or_b32 exec_lo, exec_lo, s0
	s_and_saveexec_b32 s0, vcc_lo
	s_cbranch_execz .LBB53_231
.LBB53_368:
	ds_read_b32 v66, v64 offset:928
	s_waitcnt lgkmcnt(0)
	v_add_f32_e32 v58, v58, v66
	s_or_b32 exec_lo, exec_lo, s0
	s_and_saveexec_b32 s0, vcc_lo
	s_cbranch_execz .LBB53_232
.LBB53_369:
	ds_read_b32 v66, v64 offset:944
	s_waitcnt lgkmcnt(0)
	v_add_f32_e32 v59, v59, v66
	s_or_b32 exec_lo, exec_lo, s0
	s_and_saveexec_b32 s0, vcc_lo
	s_cbranch_execz .LBB53_233
.LBB53_370:
	ds_read_b32 v66, v64 offset:960
	s_waitcnt lgkmcnt(0)
	v_add_f32_e32 v60, v60, v66
	s_or_b32 exec_lo, exec_lo, s0
	s_and_saveexec_b32 s0, vcc_lo
	s_cbranch_execz .LBB53_234
.LBB53_371:
	ds_read_b32 v66, v64 offset:976
	s_waitcnt lgkmcnt(0)
	v_add_f32_e32 v61, v61, v66
	s_or_b32 exec_lo, exec_lo, s0
	s_and_saveexec_b32 s0, vcc_lo
	s_cbranch_execz .LBB53_235
.LBB53_372:
	ds_read_b32 v66, v64 offset:992
	s_waitcnt lgkmcnt(0)
	v_add_f32_e32 v62, v62, v66
	s_or_b32 exec_lo, exec_lo, s0
	s_and_saveexec_b32 s0, vcc_lo
	s_cbranch_execnz .LBB53_236
	s_branch .LBB53_237
.LBB53_373:
	ds_read_b32 v65, v64
	s_waitcnt lgkmcnt(0)
	v_add_f32_e32 v1, v1, v65
	s_or_b32 exec_lo, exec_lo, s0
	s_and_saveexec_b32 s0, vcc_lo
	s_cbranch_execz .LBB53_243
.LBB53_374:
	ds_read_b32 v65, v64 offset:16
	s_waitcnt lgkmcnt(0)
	v_add_f32_e32 v2, v2, v65
	s_or_b32 exec_lo, exec_lo, s0
	s_and_saveexec_b32 s0, vcc_lo
	s_cbranch_execz .LBB53_244
.LBB53_375:
	ds_read_b32 v65, v64 offset:32
	s_waitcnt lgkmcnt(0)
	v_add_f32_e32 v3, v3, v65
	s_or_b32 exec_lo, exec_lo, s0
	s_and_saveexec_b32 s0, vcc_lo
	s_cbranch_execz .LBB53_245
.LBB53_376:
	ds_read_b32 v65, v64 offset:48
	s_waitcnt lgkmcnt(0)
	v_add_f32_e32 v4, v4, v65
	s_or_b32 exec_lo, exec_lo, s0
	s_and_saveexec_b32 s0, vcc_lo
	s_cbranch_execz .LBB53_246
.LBB53_377:
	ds_read_b32 v65, v64 offset:64
	s_waitcnt lgkmcnt(0)
	v_add_f32_e32 v5, v5, v65
	s_or_b32 exec_lo, exec_lo, s0
	s_and_saveexec_b32 s0, vcc_lo
	s_cbranch_execz .LBB53_247
.LBB53_378:
	ds_read_b32 v65, v64 offset:80
	s_waitcnt lgkmcnt(0)
	v_add_f32_e32 v6, v6, v65
	s_or_b32 exec_lo, exec_lo, s0
	s_and_saveexec_b32 s0, vcc_lo
	s_cbranch_execz .LBB53_248
.LBB53_379:
	ds_read_b32 v65, v64 offset:96
	s_waitcnt lgkmcnt(0)
	v_add_f32_e32 v7, v7, v65
	s_or_b32 exec_lo, exec_lo, s0
	s_and_saveexec_b32 s0, vcc_lo
	s_cbranch_execz .LBB53_249
.LBB53_380:
	ds_read_b32 v65, v64 offset:112
	s_waitcnt lgkmcnt(0)
	v_add_f32_e32 v8, v8, v65
	s_or_b32 exec_lo, exec_lo, s0
	s_and_saveexec_b32 s0, vcc_lo
	s_cbranch_execz .LBB53_250
.LBB53_381:
	ds_read_b32 v65, v64 offset:128
	s_waitcnt lgkmcnt(0)
	v_add_f32_e32 v9, v9, v65
	s_or_b32 exec_lo, exec_lo, s0
	s_and_saveexec_b32 s0, vcc_lo
	s_cbranch_execz .LBB53_251
.LBB53_382:
	ds_read_b32 v65, v64 offset:144
	s_waitcnt lgkmcnt(0)
	v_add_f32_e32 v10, v10, v65
	s_or_b32 exec_lo, exec_lo, s0
	s_and_saveexec_b32 s0, vcc_lo
	s_cbranch_execz .LBB53_252
.LBB53_383:
	ds_read_b32 v65, v64 offset:160
	s_waitcnt lgkmcnt(0)
	v_add_f32_e32 v11, v11, v65
	s_or_b32 exec_lo, exec_lo, s0
	s_and_saveexec_b32 s0, vcc_lo
	s_cbranch_execz .LBB53_253
.LBB53_384:
	ds_read_b32 v65, v64 offset:176
	s_waitcnt lgkmcnt(0)
	v_add_f32_e32 v12, v12, v65
	s_or_b32 exec_lo, exec_lo, s0
	s_and_saveexec_b32 s0, vcc_lo
	s_cbranch_execz .LBB53_254
.LBB53_385:
	ds_read_b32 v65, v64 offset:192
	s_waitcnt lgkmcnt(0)
	v_add_f32_e32 v13, v13, v65
	s_or_b32 exec_lo, exec_lo, s0
	s_and_saveexec_b32 s0, vcc_lo
	s_cbranch_execz .LBB53_255
.LBB53_386:
	ds_read_b32 v65, v64 offset:208
	s_waitcnt lgkmcnt(0)
	v_add_f32_e32 v14, v14, v65
	s_or_b32 exec_lo, exec_lo, s0
	s_and_saveexec_b32 s0, vcc_lo
	s_cbranch_execz .LBB53_256
.LBB53_387:
	ds_read_b32 v65, v64 offset:224
	s_waitcnt lgkmcnt(0)
	v_add_f32_e32 v15, v15, v65
	s_or_b32 exec_lo, exec_lo, s0
	s_and_saveexec_b32 s0, vcc_lo
	s_cbranch_execz .LBB53_257
.LBB53_388:
	ds_read_b32 v65, v64 offset:240
	s_waitcnt lgkmcnt(0)
	v_add_f32_e32 v16, v16, v65
	s_or_b32 exec_lo, exec_lo, s0
	s_and_saveexec_b32 s0, vcc_lo
	s_cbranch_execz .LBB53_258
.LBB53_389:
	ds_read_b32 v65, v64 offset:256
	s_waitcnt lgkmcnt(0)
	v_add_f32_e32 v17, v17, v65
	s_or_b32 exec_lo, exec_lo, s0
	s_and_saveexec_b32 s0, vcc_lo
	s_cbranch_execz .LBB53_259
.LBB53_390:
	ds_read_b32 v65, v64 offset:272
	s_waitcnt lgkmcnt(0)
	v_add_f32_e32 v18, v18, v65
	s_or_b32 exec_lo, exec_lo, s0
	s_and_saveexec_b32 s0, vcc_lo
	s_cbranch_execz .LBB53_260
.LBB53_391:
	ds_read_b32 v65, v64 offset:288
	s_waitcnt lgkmcnt(0)
	v_add_f32_e32 v19, v19, v65
	s_or_b32 exec_lo, exec_lo, s0
	s_and_saveexec_b32 s0, vcc_lo
	s_cbranch_execz .LBB53_261
.LBB53_392:
	ds_read_b32 v65, v64 offset:304
	s_waitcnt lgkmcnt(0)
	v_add_f32_e32 v20, v20, v65
	s_or_b32 exec_lo, exec_lo, s0
	s_and_saveexec_b32 s0, vcc_lo
	s_cbranch_execz .LBB53_262
.LBB53_393:
	ds_read_b32 v65, v64 offset:320
	s_waitcnt lgkmcnt(0)
	v_add_f32_e32 v21, v21, v65
	s_or_b32 exec_lo, exec_lo, s0
	s_and_saveexec_b32 s0, vcc_lo
	s_cbranch_execz .LBB53_263
.LBB53_394:
	ds_read_b32 v65, v64 offset:336
	s_waitcnt lgkmcnt(0)
	v_add_f32_e32 v22, v22, v65
	s_or_b32 exec_lo, exec_lo, s0
	s_and_saveexec_b32 s0, vcc_lo
	s_cbranch_execz .LBB53_264
.LBB53_395:
	ds_read_b32 v65, v64 offset:352
	s_waitcnt lgkmcnt(0)
	v_add_f32_e32 v23, v23, v65
	s_or_b32 exec_lo, exec_lo, s0
	s_and_saveexec_b32 s0, vcc_lo
	s_cbranch_execz .LBB53_265
.LBB53_396:
	ds_read_b32 v65, v64 offset:368
	s_waitcnt lgkmcnt(0)
	v_add_f32_e32 v24, v24, v65
	s_or_b32 exec_lo, exec_lo, s0
	s_and_saveexec_b32 s0, vcc_lo
	s_cbranch_execz .LBB53_266
.LBB53_397:
	ds_read_b32 v65, v64 offset:384
	s_waitcnt lgkmcnt(0)
	v_add_f32_e32 v25, v25, v65
	s_or_b32 exec_lo, exec_lo, s0
	s_and_saveexec_b32 s0, vcc_lo
	s_cbranch_execz .LBB53_267
.LBB53_398:
	ds_read_b32 v65, v64 offset:400
	s_waitcnt lgkmcnt(0)
	v_add_f32_e32 v26, v26, v65
	s_or_b32 exec_lo, exec_lo, s0
	s_and_saveexec_b32 s0, vcc_lo
	s_cbranch_execz .LBB53_268
.LBB53_399:
	ds_read_b32 v65, v64 offset:416
	s_waitcnt lgkmcnt(0)
	v_add_f32_e32 v27, v27, v65
	s_or_b32 exec_lo, exec_lo, s0
	s_and_saveexec_b32 s0, vcc_lo
	s_cbranch_execz .LBB53_269
.LBB53_400:
	ds_read_b32 v65, v64 offset:432
	s_waitcnt lgkmcnt(0)
	v_add_f32_e32 v28, v28, v65
	s_or_b32 exec_lo, exec_lo, s0
	s_and_saveexec_b32 s0, vcc_lo
	s_cbranch_execz .LBB53_270
.LBB53_401:
	ds_read_b32 v65, v64 offset:448
	s_waitcnt lgkmcnt(0)
	v_add_f32_e32 v29, v29, v65
	s_or_b32 exec_lo, exec_lo, s0
	s_and_saveexec_b32 s0, vcc_lo
	s_cbranch_execz .LBB53_271
.LBB53_402:
	ds_read_b32 v65, v64 offset:464
	s_waitcnt lgkmcnt(0)
	v_add_f32_e32 v30, v30, v65
	s_or_b32 exec_lo, exec_lo, s0
	s_and_saveexec_b32 s0, vcc_lo
	s_cbranch_execz .LBB53_272
.LBB53_403:
	ds_read_b32 v65, v64 offset:480
	s_waitcnt lgkmcnt(0)
	v_add_f32_e32 v31, v31, v65
	s_or_b32 exec_lo, exec_lo, s0
	s_and_saveexec_b32 s0, vcc_lo
	s_cbranch_execz .LBB53_273
.LBB53_404:
	ds_read_b32 v65, v64 offset:496
	s_waitcnt lgkmcnt(0)
	v_add_f32_e32 v32, v32, v65
	s_or_b32 exec_lo, exec_lo, s0
	s_and_saveexec_b32 s0, vcc_lo
	s_cbranch_execz .LBB53_274
.LBB53_405:
	ds_read_b32 v65, v64 offset:512
	s_waitcnt lgkmcnt(0)
	v_add_f32_e32 v33, v33, v65
	s_or_b32 exec_lo, exec_lo, s0
	s_and_saveexec_b32 s0, vcc_lo
	s_cbranch_execz .LBB53_275
.LBB53_406:
	ds_read_b32 v65, v64 offset:528
	s_waitcnt lgkmcnt(0)
	v_add_f32_e32 v34, v34, v65
	s_or_b32 exec_lo, exec_lo, s0
	s_and_saveexec_b32 s0, vcc_lo
	s_cbranch_execz .LBB53_276
.LBB53_407:
	ds_read_b32 v65, v64 offset:544
	s_waitcnt lgkmcnt(0)
	v_add_f32_e32 v35, v35, v65
	s_or_b32 exec_lo, exec_lo, s0
	s_and_saveexec_b32 s0, vcc_lo
	s_cbranch_execz .LBB53_277
.LBB53_408:
	ds_read_b32 v65, v64 offset:560
	s_waitcnt lgkmcnt(0)
	v_add_f32_e32 v36, v36, v65
	s_or_b32 exec_lo, exec_lo, s0
	s_and_saveexec_b32 s0, vcc_lo
	s_cbranch_execz .LBB53_278
.LBB53_409:
	ds_read_b32 v65, v64 offset:576
	s_waitcnt lgkmcnt(0)
	v_add_f32_e32 v37, v37, v65
	s_or_b32 exec_lo, exec_lo, s0
	s_and_saveexec_b32 s0, vcc_lo
	s_cbranch_execz .LBB53_279
.LBB53_410:
	ds_read_b32 v65, v64 offset:592
	s_waitcnt lgkmcnt(0)
	v_add_f32_e32 v38, v38, v65
	s_or_b32 exec_lo, exec_lo, s0
	s_and_saveexec_b32 s0, vcc_lo
	s_cbranch_execz .LBB53_280
.LBB53_411:
	ds_read_b32 v65, v64 offset:608
	s_waitcnt lgkmcnt(0)
	v_add_f32_e32 v39, v39, v65
	s_or_b32 exec_lo, exec_lo, s0
	s_and_saveexec_b32 s0, vcc_lo
	s_cbranch_execz .LBB53_281
.LBB53_412:
	ds_read_b32 v65, v64 offset:624
	s_waitcnt lgkmcnt(0)
	v_add_f32_e32 v40, v40, v65
	s_or_b32 exec_lo, exec_lo, s0
	s_and_saveexec_b32 s0, vcc_lo
	s_cbranch_execz .LBB53_282
.LBB53_413:
	ds_read_b32 v65, v64 offset:640
	s_waitcnt lgkmcnt(0)
	v_add_f32_e32 v41, v41, v65
	s_or_b32 exec_lo, exec_lo, s0
	s_and_saveexec_b32 s0, vcc_lo
	s_cbranch_execz .LBB53_283
.LBB53_414:
	ds_read_b32 v65, v64 offset:656
	s_waitcnt lgkmcnt(0)
	v_add_f32_e32 v42, v42, v65
	s_or_b32 exec_lo, exec_lo, s0
	s_and_saveexec_b32 s0, vcc_lo
	s_cbranch_execz .LBB53_284
.LBB53_415:
	ds_read_b32 v65, v64 offset:672
	s_waitcnt lgkmcnt(0)
	v_add_f32_e32 v43, v43, v65
	s_or_b32 exec_lo, exec_lo, s0
	s_and_saveexec_b32 s0, vcc_lo
	s_cbranch_execz .LBB53_285
.LBB53_416:
	ds_read_b32 v65, v64 offset:688
	s_waitcnt lgkmcnt(0)
	v_add_f32_e32 v44, v44, v65
	s_or_b32 exec_lo, exec_lo, s0
	s_and_saveexec_b32 s0, vcc_lo
	s_cbranch_execz .LBB53_286
.LBB53_417:
	ds_read_b32 v65, v64 offset:704
	s_waitcnt lgkmcnt(0)
	v_add_f32_e32 v0, v0, v65
	s_or_b32 exec_lo, exec_lo, s0
	s_and_saveexec_b32 s0, vcc_lo
	s_cbranch_execz .LBB53_287
.LBB53_418:
	ds_read_b32 v65, v64 offset:720
	s_waitcnt lgkmcnt(0)
	v_add_f32_e32 v45, v45, v65
	s_or_b32 exec_lo, exec_lo, s0
	s_and_saveexec_b32 s0, vcc_lo
	s_cbranch_execz .LBB53_288
.LBB53_419:
	ds_read_b32 v65, v64 offset:736
	s_waitcnt lgkmcnt(0)
	v_add_f32_e32 v46, v46, v65
	s_or_b32 exec_lo, exec_lo, s0
	s_and_saveexec_b32 s0, vcc_lo
	s_cbranch_execz .LBB53_289
.LBB53_420:
	ds_read_b32 v65, v64 offset:752
	s_waitcnt lgkmcnt(0)
	v_add_f32_e32 v47, v47, v65
	s_or_b32 exec_lo, exec_lo, s0
	s_and_saveexec_b32 s0, vcc_lo
	s_cbranch_execz .LBB53_290
.LBB53_421:
	ds_read_b32 v65, v64 offset:768
	s_waitcnt lgkmcnt(0)
	v_add_f32_e32 v48, v48, v65
	s_or_b32 exec_lo, exec_lo, s0
	s_and_saveexec_b32 s0, vcc_lo
	s_cbranch_execz .LBB53_291
.LBB53_422:
	ds_read_b32 v65, v64 offset:784
	s_waitcnt lgkmcnt(0)
	v_add_f32_e32 v49, v49, v65
	s_or_b32 exec_lo, exec_lo, s0
	s_and_saveexec_b32 s0, vcc_lo
	s_cbranch_execz .LBB53_292
.LBB53_423:
	ds_read_b32 v65, v64 offset:800
	s_waitcnt lgkmcnt(0)
	v_add_f32_e32 v50, v50, v65
	s_or_b32 exec_lo, exec_lo, s0
	s_and_saveexec_b32 s0, vcc_lo
	s_cbranch_execz .LBB53_293
.LBB53_424:
	ds_read_b32 v65, v64 offset:816
	s_waitcnt lgkmcnt(0)
	v_add_f32_e32 v51, v51, v65
	s_or_b32 exec_lo, exec_lo, s0
	s_and_saveexec_b32 s0, vcc_lo
	s_cbranch_execz .LBB53_294
.LBB53_425:
	ds_read_b32 v65, v64 offset:832
	s_waitcnt lgkmcnt(0)
	v_add_f32_e32 v52, v52, v65
	s_or_b32 exec_lo, exec_lo, s0
	s_and_saveexec_b32 s0, vcc_lo
	s_cbranch_execz .LBB53_295
.LBB53_426:
	ds_read_b32 v65, v64 offset:848
	s_waitcnt lgkmcnt(0)
	v_add_f32_e32 v53, v53, v65
	s_or_b32 exec_lo, exec_lo, s0
	s_and_saveexec_b32 s0, vcc_lo
	s_cbranch_execz .LBB53_296
.LBB53_427:
	ds_read_b32 v65, v64 offset:864
	s_waitcnt lgkmcnt(0)
	v_add_f32_e32 v54, v54, v65
	s_or_b32 exec_lo, exec_lo, s0
	s_and_saveexec_b32 s0, vcc_lo
	s_cbranch_execz .LBB53_297
.LBB53_428:
	ds_read_b32 v65, v64 offset:880
	s_waitcnt lgkmcnt(0)
	v_add_f32_e32 v55, v55, v65
	s_or_b32 exec_lo, exec_lo, s0
	s_and_saveexec_b32 s0, vcc_lo
	s_cbranch_execz .LBB53_298
.LBB53_429:
	ds_read_b32 v65, v64 offset:896
	s_waitcnt lgkmcnt(0)
	v_add_f32_e32 v56, v56, v65
	s_or_b32 exec_lo, exec_lo, s0
	s_and_saveexec_b32 s0, vcc_lo
	s_cbranch_execz .LBB53_299
.LBB53_430:
	ds_read_b32 v65, v64 offset:912
	s_waitcnt lgkmcnt(0)
	v_add_f32_e32 v57, v57, v65
	s_or_b32 exec_lo, exec_lo, s0
	s_and_saveexec_b32 s0, vcc_lo
	s_cbranch_execz .LBB53_300
.LBB53_431:
	ds_read_b32 v65, v64 offset:928
	s_waitcnt lgkmcnt(0)
	v_add_f32_e32 v58, v58, v65
	s_or_b32 exec_lo, exec_lo, s0
	s_and_saveexec_b32 s0, vcc_lo
	s_cbranch_execz .LBB53_301
.LBB53_432:
	ds_read_b32 v65, v64 offset:944
	s_waitcnt lgkmcnt(0)
	v_add_f32_e32 v59, v59, v65
	s_or_b32 exec_lo, exec_lo, s0
	s_and_saveexec_b32 s0, vcc_lo
	s_cbranch_execz .LBB53_302
.LBB53_433:
	ds_read_b32 v65, v64 offset:960
	s_waitcnt lgkmcnt(0)
	v_add_f32_e32 v60, v60, v65
	s_or_b32 exec_lo, exec_lo, s0
	s_and_saveexec_b32 s0, vcc_lo
	s_cbranch_execz .LBB53_303
.LBB53_434:
	ds_read_b32 v65, v64 offset:976
	s_waitcnt lgkmcnt(0)
	v_add_f32_e32 v61, v61, v65
	s_or_b32 exec_lo, exec_lo, s0
	s_and_saveexec_b32 s0, vcc_lo
	s_cbranch_execz .LBB53_304
.LBB53_435:
	ds_read_b32 v65, v64 offset:992
	s_waitcnt lgkmcnt(0)
	v_add_f32_e32 v62, v62, v65
	s_or_b32 exec_lo, exec_lo, s0
	s_and_saveexec_b32 s0, vcc_lo
	s_cbranch_execnz .LBB53_305
	s_branch .LBB53_306
	.section	.rodata,"a",@progbits
	.p2align	6, 0x0
	.amdhsa_kernel _ZN4vllm25paged_attention_v2_kernelIffLi256ELi32ELi128ELNS_18Fp8KVCacheDataTypeE0ELb1ELi512EEEvPfS2_PT_PKS3_PKT0_S9_ifPKiSB_iPKfiiiSD_SD_iiiii
		.amdhsa_group_segment_fixed_size 1056
		.amdhsa_private_segment_fixed_size 928
		.amdhsa_kernarg_size 400
		.amdhsa_user_sgpr_count 6
		.amdhsa_user_sgpr_private_segment_buffer 1
		.amdhsa_user_sgpr_dispatch_ptr 0
		.amdhsa_user_sgpr_queue_ptr 0
		.amdhsa_user_sgpr_kernarg_segment_ptr 1
		.amdhsa_user_sgpr_dispatch_id 0
		.amdhsa_user_sgpr_flat_scratch_init 0
		.amdhsa_user_sgpr_private_segment_size 0
		.amdhsa_wavefront_size32 1
		.amdhsa_uses_dynamic_stack 0
		.amdhsa_system_sgpr_private_segment_wavefront_offset 1
		.amdhsa_system_sgpr_workgroup_id_x 1
		.amdhsa_system_sgpr_workgroup_id_y 1
		.amdhsa_system_sgpr_workgroup_id_z 1
		.amdhsa_system_sgpr_workgroup_info 0
		.amdhsa_system_vgpr_workitem_id 0
		.amdhsa_next_free_vgpr 128
		.amdhsa_next_free_sgpr 52
		.amdhsa_reserve_vcc 1
		.amdhsa_reserve_flat_scratch 0
		.amdhsa_float_round_mode_32 0
		.amdhsa_float_round_mode_16_64 0
		.amdhsa_float_denorm_mode_32 3
		.amdhsa_float_denorm_mode_16_64 3
		.amdhsa_dx10_clamp 1
		.amdhsa_ieee_mode 1
		.amdhsa_fp16_overflow 0
		.amdhsa_workgroup_processor_mode 1
		.amdhsa_memory_ordered 1
		.amdhsa_forward_progress 1
		.amdhsa_shared_vgpr_count 0
		.amdhsa_exception_fp_ieee_invalid_op 0
		.amdhsa_exception_fp_denorm_src 0
		.amdhsa_exception_fp_ieee_div_zero 0
		.amdhsa_exception_fp_ieee_overflow 0
		.amdhsa_exception_fp_ieee_underflow 0
		.amdhsa_exception_fp_ieee_inexact 0
		.amdhsa_exception_int_div_zero 0
	.end_amdhsa_kernel
	.section	.text._ZN4vllm25paged_attention_v2_kernelIffLi256ELi32ELi128ELNS_18Fp8KVCacheDataTypeE0ELb1ELi512EEEvPfS2_PT_PKS3_PKT0_S9_ifPKiSB_iPKfiiiSD_SD_iiiii,"axG",@progbits,_ZN4vllm25paged_attention_v2_kernelIffLi256ELi32ELi128ELNS_18Fp8KVCacheDataTypeE0ELb1ELi512EEEvPfS2_PT_PKS3_PKT0_S9_ifPKiSB_iPKfiiiSD_SD_iiiii,comdat
.Lfunc_end53:
	.size	_ZN4vllm25paged_attention_v2_kernelIffLi256ELi32ELi128ELNS_18Fp8KVCacheDataTypeE0ELb1ELi512EEEvPfS2_PT_PKS3_PKT0_S9_ifPKiSB_iPKfiiiSD_SD_iiiii, .Lfunc_end53-_ZN4vllm25paged_attention_v2_kernelIffLi256ELi32ELi128ELNS_18Fp8KVCacheDataTypeE0ELb1ELi512EEEvPfS2_PT_PKS3_PKT0_S9_ifPKiSB_iPKfiiiSD_SD_iiiii
                                        ; -- End function
	.set _ZN4vllm25paged_attention_v2_kernelIffLi256ELi32ELi128ELNS_18Fp8KVCacheDataTypeE0ELb1ELi512EEEvPfS2_PT_PKS3_PKT0_S9_ifPKiSB_iPKfiiiSD_SD_iiiii.num_vgpr, 128
	.set _ZN4vllm25paged_attention_v2_kernelIffLi256ELi32ELi128ELNS_18Fp8KVCacheDataTypeE0ELb1ELi512EEEvPfS2_PT_PKS3_PKT0_S9_ifPKiSB_iPKfiiiSD_SD_iiiii.num_agpr, 0
	.set _ZN4vllm25paged_attention_v2_kernelIffLi256ELi32ELi128ELNS_18Fp8KVCacheDataTypeE0ELb1ELi512EEEvPfS2_PT_PKS3_PKT0_S9_ifPKiSB_iPKfiiiSD_SD_iiiii.numbered_sgpr, 52
	.set _ZN4vllm25paged_attention_v2_kernelIffLi256ELi32ELi128ELNS_18Fp8KVCacheDataTypeE0ELb1ELi512EEEvPfS2_PT_PKS3_PKT0_S9_ifPKiSB_iPKfiiiSD_SD_iiiii.num_named_barrier, 0
	.set _ZN4vllm25paged_attention_v2_kernelIffLi256ELi32ELi128ELNS_18Fp8KVCacheDataTypeE0ELb1ELi512EEEvPfS2_PT_PKS3_PKT0_S9_ifPKiSB_iPKfiiiSD_SD_iiiii.private_seg_size, 928
	.set _ZN4vllm25paged_attention_v2_kernelIffLi256ELi32ELi128ELNS_18Fp8KVCacheDataTypeE0ELb1ELi512EEEvPfS2_PT_PKS3_PKT0_S9_ifPKiSB_iPKfiiiSD_SD_iiiii.uses_vcc, 1
	.set _ZN4vllm25paged_attention_v2_kernelIffLi256ELi32ELi128ELNS_18Fp8KVCacheDataTypeE0ELb1ELi512EEEvPfS2_PT_PKS3_PKT0_S9_ifPKiSB_iPKfiiiSD_SD_iiiii.uses_flat_scratch, 0
	.set _ZN4vllm25paged_attention_v2_kernelIffLi256ELi32ELi128ELNS_18Fp8KVCacheDataTypeE0ELb1ELi512EEEvPfS2_PT_PKS3_PKT0_S9_ifPKiSB_iPKfiiiSD_SD_iiiii.has_dyn_sized_stack, 0
	.set _ZN4vllm25paged_attention_v2_kernelIffLi256ELi32ELi128ELNS_18Fp8KVCacheDataTypeE0ELb1ELi512EEEvPfS2_PT_PKS3_PKT0_S9_ifPKiSB_iPKfiiiSD_SD_iiiii.has_recursion, 0
	.set _ZN4vllm25paged_attention_v2_kernelIffLi256ELi32ELi128ELNS_18Fp8KVCacheDataTypeE0ELb1ELi512EEEvPfS2_PT_PKS3_PKT0_S9_ifPKiSB_iPKfiiiSD_SD_iiiii.has_indirect_call, 0
	.section	.AMDGPU.csdata,"",@progbits
; Kernel info:
; codeLenInByte = 36320
; TotalNumSgprs: 54
; NumVgprs: 128
; ScratchSize: 928
; MemoryBound: 0
; FloatMode: 240
; IeeeMode: 1
; LDSByteSize: 1056 bytes/workgroup (compile time only)
; SGPRBlocks: 0
; VGPRBlocks: 15
; NumSGPRsForWavesPerEU: 54
; NumVGPRsForWavesPerEU: 128
; Occupancy: 8
; WaveLimiterHint : 1
; COMPUTE_PGM_RSRC2:SCRATCH_EN: 1
; COMPUTE_PGM_RSRC2:USER_SGPR: 6
; COMPUTE_PGM_RSRC2:TRAP_HANDLER: 0
; COMPUTE_PGM_RSRC2:TGID_X_EN: 1
; COMPUTE_PGM_RSRC2:TGID_Y_EN: 1
; COMPUTE_PGM_RSRC2:TGID_Z_EN: 1
; COMPUTE_PGM_RSRC2:TIDIG_COMP_CNT: 0
	.section	.text._ZN4vllm25paged_attention_v2_kernelIffLi32ELi32ELi128ELNS_18Fp8KVCacheDataTypeE0ELb0ELi512EEEvPfS2_PT_PKS3_PKT0_S9_ifPKiSB_iPKfiiiSD_SD_iiiii,"axG",@progbits,_ZN4vllm25paged_attention_v2_kernelIffLi32ELi32ELi128ELNS_18Fp8KVCacheDataTypeE0ELb0ELi512EEEvPfS2_PT_PKS3_PKT0_S9_ifPKiSB_iPKfiiiSD_SD_iiiii,comdat
	.protected	_ZN4vllm25paged_attention_v2_kernelIffLi32ELi32ELi128ELNS_18Fp8KVCacheDataTypeE0ELb0ELi512EEEvPfS2_PT_PKS3_PKT0_S9_ifPKiSB_iPKfiiiSD_SD_iiiii ; -- Begin function _ZN4vllm25paged_attention_v2_kernelIffLi32ELi32ELi128ELNS_18Fp8KVCacheDataTypeE0ELb0ELi512EEEvPfS2_PT_PKS3_PKT0_S9_ifPKiSB_iPKfiiiSD_SD_iiiii
	.globl	_ZN4vllm25paged_attention_v2_kernelIffLi32ELi32ELi128ELNS_18Fp8KVCacheDataTypeE0ELb0ELi512EEEvPfS2_PT_PKS3_PKT0_S9_ifPKiSB_iPKfiiiSD_SD_iiiii
	.p2align	8
	.type	_ZN4vllm25paged_attention_v2_kernelIffLi32ELi32ELi128ELNS_18Fp8KVCacheDataTypeE0ELb0ELi512EEEvPfS2_PT_PKS3_PKT0_S9_ifPKiSB_iPKfiiiSD_SD_iiiii,@function
_ZN4vllm25paged_attention_v2_kernelIffLi32ELi32ELi128ELNS_18Fp8KVCacheDataTypeE0ELb0ELi512EEEvPfS2_PT_PKS3_PKT0_S9_ifPKiSB_iPKfiiiSD_SD_iiiii: ; @_ZN4vllm25paged_attention_v2_kernelIffLi32ELi32ELi128ELNS_18Fp8KVCacheDataTypeE0ELb0ELi512EEEvPfS2_PT_PKS3_PKT0_S9_ifPKiSB_iPKfiiiSD_SD_iiiii
; %bb.0:
	s_load_dwordx2 s[0:1], s[4:5], 0x40
	s_mov_b32 s24, s7
	s_ashr_i32 s25, s7, 31
	s_lshl_b64 s[2:3], s[24:25], 2
	s_waitcnt lgkmcnt(0)
	s_add_u32 s0, s0, s2
	s_addc_u32 s1, s1, s3
	s_lshl_b32 s30, s8, 9
	s_load_dword s25, s[0:1], 0x0
	s_waitcnt lgkmcnt(0)
	s_cmp_ge_i32 s30, s25
	s_cbranch_scc1 .LBB54_74
; %bb.1:
	s_clause 0x1
	s_load_dword s9, s[4:5], 0x90
	s_load_dwordx2 s[2:3], s[4:5], 0x30
	s_mov_b32 s33, 0
	s_waitcnt lgkmcnt(0)
	s_abs_i32 s10, s9
	s_abs_i32 s0, s2
	s_xor_b32 s2, s9, s2
	v_cvt_f32_u32_e32 v1, s0
	s_sub_i32 s7, 0, s0
	s_ashr_i32 s2, s2, 31
	v_rcp_iflag_f32_e32 v1, v1
	v_mul_f32_e32 v1, 0x4f7ffffe, v1
	v_cvt_u32_f32_e32 v1, v1
	v_readfirstlane_b32 s1, v1
	s_mul_i32 s7, s7, s1
	s_mul_hi_u32 s7, s1, s7
	s_add_i32 s1, s1, s7
	s_mul_hi_u32 s1, s10, s1
	s_mul_i32 s7, s1, s0
	s_sub_i32 s7, s10, s7
	s_add_i32 s10, s1, 1
	s_sub_i32 s11, s7, s0
	s_cmp_ge_u32 s7, s0
	s_cselect_b32 s1, s10, s1
	s_cselect_b32 s7, s11, s7
	s_add_i32 s10, s1, 1
	s_cmp_ge_u32 s7, s0
	s_cselect_b32 s0, s10, s1
	s_abs_i32 s29, s6
	s_xor_b32 s0, s0, s2
	s_sub_i32 s10, s0, s2
	s_load_dwordx2 s[0:1], s[4:5], 0x50
	s_abs_i32 s2, s10
	v_cvt_f32_u32_e32 v1, s2
	s_sub_i32 s11, 0, s2
	v_rcp_iflag_f32_e32 v1, v1
	v_mul_f32_e32 v1, 0x4f7ffffe, v1
	v_cvt_u32_f32_e32 v1, v1
	v_readfirstlane_b32 s7, v1
	s_mul_i32 s11, s11, s7
	s_mul_hi_u32 s11, s7, s11
	s_add_i32 s7, s7, s11
	s_waitcnt lgkmcnt(0)
	s_cmp_eq_u64 s[0:1], 0
	s_mul_hi_u32 s28, s29, s7
	s_cbranch_scc1 .LBB54_3
; %bb.2:
	s_ashr_i32 s7, s6, 31
	s_lshl_b64 s[12:13], s[6:7], 2
	s_add_u32 s0, s0, s12
	s_addc_u32 s1, s1, s13
	s_load_dword s33, s[0:1], 0x0
.LBB54_3:
	s_clause 0x1
	s_load_dwordx2 s[22:23], s[4:5], 0x38
	s_load_dwordx4 s[12:15], s[4:5], 0x58
	v_lshlrev_b32_e32 v35, 4, v0
	s_ashr_i32 s0, s6, 31
	s_ashr_i32 s1, s10, 31
	s_lshl_b32 s10, s6, 5
	s_mov_b32 s7, exec_lo
	v_cmpx_gt_u32_e32 8, v0
	s_cbranch_execz .LBB54_5
; %bb.4:
	s_load_dwordx2 s[16:17], s[4:5], 0x18
	s_waitcnt lgkmcnt(0)
	s_mul_i32 s18, s12, s24
	s_ashr_i32 s19, s18, 31
	s_lshl_b64 s[18:19], s[18:19], 2
	s_add_u32 s12, s16, s18
	s_addc_u32 s15, s17, s19
	s_ashr_i32 s11, s10, 31
	s_lshl_b64 s[16:17], s[10:11], 2
	s_add_u32 s16, s12, s16
	s_addc_u32 s17, s15, s17
	global_load_dwordx4 v[1:4], v35, s[16:17]
	s_waitcnt vmcnt(0)
	ds_write_b128 v35, v[1:4]
.LBB54_5:
	s_or_b32 exec_lo, exec_lo, s7
	s_add_i32 s7, s25, 31
	s_clause 0x1
	s_load_dwordx4 s[16:19], s[4:5], 0x0
	s_load_dwordx2 s[20:21], s[4:5], 0x10
	s_ashr_i32 s11, s7, 31
	s_lshl_b32 s31, s8, 4
	s_lshr_b32 s11, s11, 27
	s_mul_i32 s34, s28, s2
	s_add_i32 s7, s7, s11
	s_add_i32 s11, s31, 16
	s_waitcnt lgkmcnt(0)
	s_ashr_i32 s12, s7, 5
	s_clause 0x2
	s_load_dwordx2 s[26:27], s[4:5], 0x28
	s_load_dword s7, s[4:5], 0x98
	s_load_dword s15, s[4:5], 0x48
	s_xor_b32 s0, s0, s1
	s_sub_i32 s1, s29, s34
	s_min_i32 s11, s11, s12
	s_add_i32 s29, s28, 1
	s_sub_i32 s34, s1, s2
	s_cmp_ge_u32 s1, s2
	v_lshrrev_b32_e32 v40, 5, v0
	s_cselect_b32 s28, s29, s28
	s_cselect_b32 s1, s34, s1
	s_add_i32 s29, s28, 1
	s_cmp_ge_u32 s1, s2
	v_add_nc_u32_e32 v37, s31, v40
	v_and_b32_e32 v41, 31, v0
	s_cselect_b32 s1, s29, s28
	v_mov_b32_e32 v39, 0xff7fffff
	s_xor_b32 s1, s1, s0
	v_ashrrev_i32_e32 v38, 31, v37
	s_sub_i32 s1, s1, s0
	v_cmp_gt_i32_e64 s0, s11, v37
	v_lshlrev_b32_e32 v36, 2, v41
	s_waitcnt lgkmcnt(0)
	s_mul_i32 s28, s15, s24
	s_mul_i32 s14, s1, s14
	s_ashr_i32 s29, s28, 31
	s_barrier
	buffer_gl0_inv
	s_and_saveexec_b32 s34, s0
	s_cbranch_execz .LBB54_9
; %bb.6:
	s_load_dwordx2 s[4:5], s[4:5], 0x20
	v_mov_b32_e32 v29, 0
	s_ashr_i32 s15, s14, 31
	v_lshlrev_b32_e32 v33, 4, v41
	v_lshlrev_b32_e32 v34, 5, v40
	ds_read_b128 v[1:4], v29
	ds_read_b128 v[5:8], v29 offset:16
	ds_read_b128 v[9:12], v29 offset:32
	;; [unrolled: 1-line block ×7, first 2 shown]
	s_lshl_b64 s[36:37], s[14:15], 2
	v_lshl_or_b32 v39, v40, 7, v36
	v_add3_u32 v42, s30, v34, v41
	v_cmp_neq_f32_e64 vcc_lo, s33, 0
	v_mov_b32_e32 v46, v37
	s_mov_b32 s15, s13
	v_add_nc_u32_e32 v45, 0xa0, v39
	v_mov_b32_e32 v39, 0xff7fffff
	s_waitcnt lgkmcnt(0)
	s_add_u32 s1, s4, s36
	s_addc_u32 s2, s5, s37
	v_add_co_u32 v43, s1, s1, v33
	v_lshlrev_b64 v[33:34], 2, v[37:38]
	s_lshl_b64 s[36:37], s[28:29], 2
	s_sub_i32 s4, 1, s25
	v_add_co_ci_u32_e64 v44, null, s2, 0, s1
	s_add_u32 s1, s22, s36
	s_addc_u32 s2, s23, s37
	v_add_co_u32 v33, s1, s1, v33
	v_add_co_ci_u32_e64 v34, null, s2, v34, s1
	s_mov_b32 s5, 0
.LBB54_7:                               ; =>This Inner Loop Header: Depth=1
	global_load_dword v47, v[33:34], off
	v_add_nc_u32_e32 v46, 4, v46
	v_cmp_le_i32_e64 s2, s11, v46
	s_or_b32 s5, s2, s5
	s_waitcnt vmcnt(0)
	v_mad_i64_i32 v[47:48], null, v47, s15, 0
	v_lshlrev_b64 v[47:48], 2, v[47:48]
	v_add_co_u32 v59, s1, v43, v47
	v_add_co_ci_u32_e64 v60, null, v44, v48, s1
	s_clause 0x2
	global_load_dwordx4 v[47:50], v[59:60], off offset:512
	global_load_dwordx4 v[51:54], v[59:60], off
	global_load_dwordx4 v[55:58], v[59:60], off offset:1024
	s_waitcnt vmcnt(2)
	v_mul_f32_e32 v63, v5, v47
	v_mul_f32_e32 v64, v6, v48
	;; [unrolled: 1-line block ×4, first 2 shown]
	global_load_dwordx4 v[47:50], v[59:60], off offset:1536
	v_add_co_u32 v59, s1, 0x800, v59
	v_add_co_ci_u32_e64 v60, null, 0, v60, s1
	s_waitcnt vmcnt(2)
	v_fmac_f32_e32 v63, v1, v51
	v_fmac_f32_e32 v64, v2, v52
	;; [unrolled: 1-line block ×4, first 2 shown]
	global_load_dwordx4 v[51:54], v[59:60], off
	s_waitcnt vmcnt(2)
	v_fmac_f32_e32 v63, v9, v55
	v_fmac_f32_e32 v64, v10, v56
	;; [unrolled: 1-line block ×4, first 2 shown]
	global_load_dwordx4 v[55:58], v[59:60], off offset:512
	v_add_co_u32 v33, s1, v33, 16
	v_add_co_ci_u32_e64 v34, null, 0, v34, s1
	v_cmp_gt_i32_e64 s1, s25, v42
	s_waitcnt vmcnt(2)
	v_fmac_f32_e32 v63, v13, v47
	v_fmac_f32_e32 v64, v14, v48
	;; [unrolled: 1-line block ×4, first 2 shown]
	s_clause 0x1
	global_load_dwordx4 v[47:50], v[59:60], off offset:1024
	global_load_dwordx4 v[59:62], v[59:60], off offset:1536
	s_waitcnt vmcnt(3)
	v_fmac_f32_e32 v63, v17, v51
	v_fmac_f32_e32 v64, v18, v52
	;; [unrolled: 1-line block ×4, first 2 shown]
	v_add_nc_u32_e32 v51, s4, v42
	s_waitcnt vmcnt(2)
	v_fmac_f32_e32 v63, v21, v55
	v_fmac_f32_e32 v64, v22, v56
	;; [unrolled: 1-line block ×4, first 2 shown]
	v_cvt_f32_i32_e32 v51, v51
	v_max_f32_e32 v52, v39, v39
	v_add_nc_u32_e32 v42, 0x80, v42
	s_waitcnt vmcnt(1)
	v_fmac_f32_e32 v63, v25, v47
	v_fmac_f32_e32 v64, v26, v48
	;; [unrolled: 1-line block ×4, first 2 shown]
	v_mul_f32_e32 v48, s33, v51
	s_waitcnt vmcnt(0)
	v_fmac_f32_e32 v63, v29, v59
	v_fmac_f32_e32 v64, v30, v60
	;; [unrolled: 1-line block ×4, first 2 shown]
	v_cndmask_b32_e32 v48, 0, v48, vcc_lo
	v_add_f32_e32 v47, v63, v64
	v_add_f32_e32 v47, v65, v47
	;; [unrolled: 1-line block ×3, first 2 shown]
	v_fmac_f32_e32 v48, s3, v47
	v_max_f32_e32 v47, v52, v48
	v_cndmask_b32_e64 v48, 0, v48, s1
	v_cndmask_b32_e64 v39, v39, v47, s1
	ds_write_b32 v45, v48
	v_add_nc_u32_e32 v45, 0x200, v45
	s_andn2_b32 exec_lo, exec_lo, s5
	s_cbranch_execnz .LBB54_7
; %bb.8:
	s_or_b32 exec_lo, exec_lo, s5
.LBB54_9:
	s_or_b32 exec_lo, exec_lo, s34
	v_mbcnt_lo_u32_b32 v1, -1, 0
	v_max_f32_e32 v5, v39, v39
	v_xor_b32_e32 v2, 16, v1
	v_xor_b32_e32 v4, 8, v1
	v_cmp_gt_i32_e32 vcc_lo, 32, v2
	v_cndmask_b32_e32 v2, v1, v2, vcc_lo
	v_cmp_gt_i32_e32 vcc_lo, 32, v4
	v_lshlrev_b32_e32 v2, 2, v2
	v_cndmask_b32_e32 v4, v1, v4, vcc_lo
	ds_bpermute_b32 v3, v2, v39
	s_waitcnt lgkmcnt(0)
	v_max_f32_e32 v6, v3, v3
	v_lshlrev_b32_e32 v3, 2, v4
	v_max_f32_e32 v4, v5, v6
	v_xor_b32_e32 v6, 4, v1
	ds_bpermute_b32 v5, v3, v4
	v_cmp_gt_i32_e32 vcc_lo, 32, v6
	v_cndmask_b32_e32 v6, v1, v6, vcc_lo
	v_lshlrev_b32_e32 v44, 2, v6
	v_xor_b32_e32 v6, 2, v1
	v_cmp_gt_i32_e32 vcc_lo, 32, v6
	s_waitcnt lgkmcnt(0)
	v_max_f32_e32 v5, v5, v5
	v_cndmask_b32_e32 v6, v1, v6, vcc_lo
	v_max_f32_e32 v4, v4, v5
	v_lshlrev_b32_e32 v43, 2, v6
	v_xor_b32_e32 v6, 1, v1
	ds_bpermute_b32 v5, v44, v4
	v_cmp_gt_i32_e32 vcc_lo, 32, v6
	v_cndmask_b32_e32 v6, v1, v6, vcc_lo
	v_cmp_eq_u32_e32 vcc_lo, 0, v41
	v_lshlrev_b32_e32 v42, 2, v6
	s_waitcnt lgkmcnt(0)
	v_max_f32_e32 v5, v5, v5
	v_max_f32_e32 v4, v4, v5
	ds_bpermute_b32 v5, v43, v4
	s_waitcnt lgkmcnt(0)
	v_max_f32_e32 v5, v5, v5
	v_max_f32_e32 v1, v4, v5
	v_lshlrev_b32_e32 v5, 2, v40
	ds_bpermute_b32 v4, v42, v1
	s_and_saveexec_b32 s1, vcc_lo
	s_cbranch_execz .LBB54_11
; %bb.10:
	s_waitcnt lgkmcnt(0)
	v_max_f32_e32 v4, v4, v4
	v_max_f32_e32 v1, v1, v1
	;; [unrolled: 1-line block ×3, first 2 shown]
	ds_write_b32 v5, v1 offset:128
.LBB54_11:
	s_or_b32 exec_lo, exec_lo, s1
	v_cmp_gt_u32_e64 s1, 4, v41
	v_mov_b32_e32 v1, 0xff7fffff
	s_waitcnt lgkmcnt(0)
	s_barrier
	buffer_gl0_inv
	s_and_saveexec_b32 s2, s1
; %bb.12:
	ds_read_b32 v1, v36 offset:128
; %bb.13:
	s_or_b32 exec_lo, exec_lo, s2
	s_waitcnt lgkmcnt(0)
	ds_bpermute_b32 v4, v43, v1
	v_max_f32_e32 v1, v1, v1
	v_mov_b32_e32 v6, 0
	s_sub_i32 s2, s11, s31
	s_lshl_b32 s2, s2, 5
	s_add_i32 s2, s2, s30
	s_min_i32 s2, s2, s25
	s_sub_i32 s4, s2, s30
	v_cmp_gt_i32_e64 s2, s4, v0
	s_waitcnt lgkmcnt(0)
	v_max_f32_e32 v4, v4, v4
	v_max_f32_e32 v1, v1, v4
	ds_bpermute_b32 v4, v42, v1
	s_waitcnt lgkmcnt(0)
	v_max_f32_e32 v4, v4, v4
	v_max_f32_e32 v1, v1, v4
	v_lshl_add_u32 v4, v0, 2, 0xa0
	ds_bpermute_b32 v1, v6, v1
	s_and_saveexec_b32 s5, s2
	s_cbranch_execz .LBB54_17
; %bb.14:
	v_lshl_add_u32 v7, v0, 2, 0xa0
	v_mov_b32_e32 v6, 0
	v_mov_b32_e32 v8, v0
	s_mov_b32 s15, 0
	.p2align	6
.LBB54_15:                              ; =>This Inner Loop Header: Depth=1
	ds_read_b32 v9, v7
	v_add_nc_u32_e32 v8, 0x80, v8
	v_cmp_le_i32_e64 s3, s4, v8
	s_or_b32 s15, s3, s15
	s_waitcnt lgkmcnt(0)
	v_sub_f32_e32 v9, v9, v1
	v_mul_f32_e32 v9, 0x3fb8aa3b, v9
	v_exp_f32_e32 v9, v9
	ds_write_b32 v7, v9
	v_add_f32_e32 v6, v6, v9
	v_add_nc_u32_e32 v7, 0x200, v7
	s_andn2_b32 exec_lo, exec_lo, s15
	s_cbranch_execnz .LBB54_15
; %bb.16:
	s_or_b32 exec_lo, exec_lo, s15
.LBB54_17:
	s_or_b32 exec_lo, exec_lo, s5
	ds_bpermute_b32 v2, v2, v6
	s_waitcnt lgkmcnt(0)
	v_add_f32_e32 v2, v6, v2
	ds_bpermute_b32 v3, v3, v2
	s_waitcnt lgkmcnt(0)
	v_add_f32_e32 v2, v2, v3
	;; [unrolled: 3-line block ×5, first 2 shown]
	s_and_saveexec_b32 s3, vcc_lo
; %bb.18:
	ds_write_b32 v5, v2 offset:144
; %bb.19:
	s_or_b32 exec_lo, exec_lo, s3
	s_waitcnt lgkmcnt(0)
	s_barrier
	buffer_gl0_inv
	s_and_saveexec_b32 s3, s1
; %bb.20:
	ds_read_b32 v2, v36 offset:144
; %bb.21:
	s_or_b32 exec_lo, exec_lo, s3
	s_waitcnt lgkmcnt(0)
	ds_bpermute_b32 v3, v43, v2
	s_waitcnt lgkmcnt(0)
	v_add_f32_e32 v2, v2, v3
	ds_bpermute_b32 v3, v42, v2
	s_waitcnt lgkmcnt(0)
	v_add_f32_e32 v2, v2, v3
	v_mov_b32_e32 v3, 0
	ds_bpermute_b32 v2, v3, v2
	s_and_saveexec_b32 s1, s2
	s_cbranch_execz .LBB54_24
; %bb.22:
	s_waitcnt lgkmcnt(0)
	v_add_f32_e32 v3, 0x358637bd, v2
	s_mov_b32 s2, 0
	v_div_scale_f32 v5, null, v3, v3, 1.0
	v_div_scale_f32 v8, vcc_lo, 1.0, v3, 1.0
	v_rcp_f32_e32 v6, v5
	v_fma_f32 v7, -v5, v6, 1.0
	v_fmac_f32_e32 v6, v7, v6
	v_mul_f32_e32 v7, v8, v6
	v_fma_f32 v9, -v5, v7, v8
	v_fmac_f32_e32 v7, v9, v6
	v_fma_f32 v5, -v5, v7, v8
	v_div_fmas_f32 v5, v5, v6, v7
	v_div_fixup_f32 v3, v5, v3, 1.0
	v_mov_b32_e32 v5, v0
.LBB54_23:                              ; =>This Inner Loop Header: Depth=1
	ds_read_b32 v6, v4
	v_add_nc_u32_e32 v5, 0x80, v5
	v_cmp_le_i32_e32 vcc_lo, s4, v5
	s_or_b32 s2, vcc_lo, s2
	s_waitcnt lgkmcnt(0)
	v_mul_f32_e32 v6, v3, v6
	ds_write_b32 v4, v6
	v_add_nc_u32_e32 v4, 0x200, v4
	s_andn2_b32 exec_lo, exec_lo, s2
	s_cbranch_execnz .LBB54_23
.LBB54_24:
	s_or_b32 exec_lo, exec_lo, s1
	s_mul_i32 s1, s7, s24
	s_waitcnt lgkmcnt(0)
	s_mul_i32 s2, s1, s9
	s_mov_b32 s1, exec_lo
	s_barrier
	buffer_gl0_inv
	v_cmpx_eq_u32_e32 0, v0
	s_cbranch_execz .LBB54_26
; %bb.25:
	s_ashr_i32 s3, s2, 31
	s_mul_i32 s34, s7, s6
	s_lshl_b64 s[4:5], s[2:3], 2
	v_mov_b32_e32 v3, 0
	s_add_u32 s3, s18, s4
	s_addc_u32 s6, s19, s5
	s_ashr_i32 s35, s34, 31
	s_lshl_b64 s[18:19], s[34:35], 2
	s_add_u32 s3, s3, s18
	s_addc_u32 s6, s6, s19
	s_ashr_i32 s9, s8, 31
	s_lshl_b64 s[34:35], s[8:9], 2
	s_add_u32 s36, s3, s34
	s_addc_u32 s37, s6, s35
	s_add_u32 s3, s16, s4
	s_addc_u32 s4, s17, s5
	s_add_u32 s3, s3, s18
	s_addc_u32 s5, s4, s19
	s_add_u32 s4, s3, s34
	s_addc_u32 s5, s5, s35
	global_store_dword v3, v1, s[36:37]
	global_store_dword v3, v2, s[4:5]
.LBB54_26:
	s_or_b32 exec_lo, exec_lo, s1
	v_mov_b32_e32 v51, 0
	v_and_b32_e32 v45, 7, v0
	v_mov_b32_e32 v53, 0
	v_mov_b32_e32 v52, 0
	;; [unrolled: 1-line block ×7, first 2 shown]
	s_and_saveexec_b32 s1, s0
	s_cbranch_execz .LBB54_46
; %bb.27:
	v_lshlrev_b32_e32 v1, 2, v0
	v_lshlrev_b32_e32 v2, 4, v45
	v_lshl_add_u32 v4, v40, 5, s30
	s_ashr_i32 s15, s14, 31
	v_and_b32_e32 v3, 0x1f0, v35
	v_and_b32_e32 v1, 28, v1
	s_lshl_b64 s[4:5], s[14:15], 2
	v_lshl_or_b32 v5, v40, 7, v2
	s_add_u32 s0, s26, s4
	s_addc_u32 s3, s27, s5
	v_add3_u32 v56, v4, v1, 3
	v_lshlrev_b64 v[1:2], 2, v[37:38]
	v_add_co_u32 v54, s0, s0, v3
	s_lshl_b64 s[4:5], s[28:29], 2
	s_add_i32 s12, s12, -1
	v_add_co_ci_u32_e64 v55, null, s3, 0, s0
	s_add_u32 s0, s22, s4
	s_addc_u32 s3, s23, s5
	v_add_co_u32 v38, vcc_lo, s0, v1
	v_mov_b32_e32 v46, 0
	v_add_nc_u32_e32 v57, 0xa0, v5
	v_add_co_ci_u32_e64 v39, null, s3, v2, vcc_lo
	v_mov_b32_e32 v47, 0
	v_mov_b32_e32 v48, 0
	;; [unrolled: 1-line block ×7, first 2 shown]
	s_mov_b32 s4, s13
	s_mov_b32 s3, 0
	s_branch .LBB54_29
.LBB54_28:                              ;   in Loop: Header=BB54_29 Depth=1
	s_or_b32 exec_lo, exec_lo, s0
	s_waitcnt vmcnt(1) lgkmcnt(0)
	v_mul_f32_e32 v29, v1, v29
	v_mul_f32_e32 v25, v1, v25
	;; [unrolled: 1-line block ×7, first 2 shown]
	s_waitcnt vmcnt(0)
	v_mul_f32_e32 v1, v1, v33
	v_fmac_f32_e32 v29, v2, v30
	v_fmac_f32_e32 v25, v2, v26
	;; [unrolled: 1-line block ×16, first 2 shown]
	v_add_nc_u32_e32 v37, 4, v37
	v_fmac_f32_e32 v29, v4, v32
	v_fmac_f32_e32 v25, v4, v28
	v_fmac_f32_e32 v21, v4, v24
	v_fmac_f32_e32 v17, v4, v20
	v_fmac_f32_e32 v13, v4, v16
	v_fmac_f32_e32 v9, v4, v12
	v_fmac_f32_e32 v5, v4, v8
	v_fmac_f32_e32 v1, v4, v36
	v_cmp_le_i32_e32 vcc_lo, s11, v37
	v_add_co_u32 v38, s0, v38, 16
	v_add_f32_e32 v47, v47, v29
	v_add_f32_e32 v48, v48, v25
	;; [unrolled: 1-line block ×8, first 2 shown]
	v_add_nc_u32_e32 v56, 0x80, v56
	v_add_nc_u32_e32 v57, 0x200, v57
	v_add_co_ci_u32_e64 v39, null, 0, v39, s0
	s_or_b32 s3, vcc_lo, s3
	s_andn2_b32 exec_lo, exec_lo, s3
	s_cbranch_execz .LBB54_45
.LBB54_29:                              ; =>This Inner Loop Header: Depth=1
	global_load_dword v1, v[38:39], off
	v_add_nc_u32_e32 v58, -3, v56
	v_add_nc_u32_e32 v60, -2, v56
	;; [unrolled: 1-line block ×3, first 2 shown]
	s_waitcnt vmcnt(0)
	v_mad_i64_i32 v[1:2], null, v1, s4, 0
	v_lshlrev_b64 v[1:2], 2, v[1:2]
	v_add_co_u32 v21, vcc_lo, v54, v1
	v_add_co_ci_u32_e64 v22, null, v55, v2, vcc_lo
	ds_read_b128 v[1:4], v57
	v_cmp_eq_u32_e32 vcc_lo, s12, v37
	global_load_dwordx4 v[5:8], v[21:22], off
	s_and_saveexec_b32 s5, vcc_lo
	s_cbranch_execnz .LBB54_38
; %bb.30:                               ;   in Loop: Header=BB54_29 Depth=1
	s_or_b32 exec_lo, exec_lo, s5
	global_load_dwordx4 v[9:12], v[21:22], off offset:512
	s_and_saveexec_b32 s5, vcc_lo
	s_cbranch_execnz .LBB54_39
.LBB54_31:                              ;   in Loop: Header=BB54_29 Depth=1
	s_or_b32 exec_lo, exec_lo, s5
	global_load_dwordx4 v[13:16], v[21:22], off offset:1024
	s_and_saveexec_b32 s5, vcc_lo
	s_cbranch_execnz .LBB54_40
.LBB54_32:                              ;   in Loop: Header=BB54_29 Depth=1
	s_or_b32 exec_lo, exec_lo, s5
	global_load_dwordx4 v[17:20], v[21:22], off offset:1536
	s_and_saveexec_b32 s5, vcc_lo
	s_cbranch_execz .LBB54_34
.LBB54_33:                              ;   in Loop: Header=BB54_29 Depth=1
	v_cmp_gt_i32_e64 s0, s25, v58
	s_waitcnt vmcnt(0)
	v_cndmask_b32_e64 v17, 0, v17, s0
	v_cmp_gt_i32_e64 s0, s25, v60
	v_cndmask_b32_e64 v18, 0, v18, s0
	v_cmp_gt_i32_e64 s0, s25, v59
	;; [unrolled: 2-line block ×3, first 2 shown]
	v_cndmask_b32_e64 v20, 0, v20, s0
.LBB54_34:                              ;   in Loop: Header=BB54_29 Depth=1
	s_or_b32 exec_lo, exec_lo, s5
	v_add_co_u32 v33, s0, 0x800, v21
	v_add_co_ci_u32_e64 v34, null, 0, v22, s0
	global_load_dwordx4 v[21:24], v[33:34], off
	s_and_saveexec_b32 s5, vcc_lo
	s_cbranch_execnz .LBB54_41
; %bb.35:                               ;   in Loop: Header=BB54_29 Depth=1
	s_or_b32 exec_lo, exec_lo, s5
	global_load_dwordx4 v[25:28], v[33:34], off offset:512
	s_and_saveexec_b32 s5, vcc_lo
	s_cbranch_execnz .LBB54_42
.LBB54_36:                              ;   in Loop: Header=BB54_29 Depth=1
	s_or_b32 exec_lo, exec_lo, s5
	global_load_dwordx4 v[29:32], v[33:34], off offset:1024
	s_and_saveexec_b32 s5, vcc_lo
	s_cbranch_execnz .LBB54_43
.LBB54_37:                              ;   in Loop: Header=BB54_29 Depth=1
	s_or_b32 exec_lo, exec_lo, s5
	global_load_dwordx4 v[33:36], v[33:34], off offset:1536
	s_and_saveexec_b32 s0, vcc_lo
	s_cbranch_execz .LBB54_28
	s_branch .LBB54_44
.LBB54_38:                              ;   in Loop: Header=BB54_29 Depth=1
	v_cmp_gt_i32_e64 s0, s25, v58
	s_waitcnt vmcnt(0)
	v_cndmask_b32_e64 v5, 0, v5, s0
	v_cmp_gt_i32_e64 s0, s25, v60
	v_cndmask_b32_e64 v6, 0, v6, s0
	v_cmp_gt_i32_e64 s0, s25, v59
	;; [unrolled: 2-line block ×3, first 2 shown]
	v_cndmask_b32_e64 v8, 0, v8, s0
	s_or_b32 exec_lo, exec_lo, s5
	global_load_dwordx4 v[9:12], v[21:22], off offset:512
	s_and_saveexec_b32 s5, vcc_lo
	s_cbranch_execz .LBB54_31
.LBB54_39:                              ;   in Loop: Header=BB54_29 Depth=1
	v_cmp_gt_i32_e64 s0, s25, v58
	s_waitcnt vmcnt(0)
	v_cndmask_b32_e64 v9, 0, v9, s0
	v_cmp_gt_i32_e64 s0, s25, v60
	v_cndmask_b32_e64 v10, 0, v10, s0
	v_cmp_gt_i32_e64 s0, s25, v59
	;; [unrolled: 2-line block ×3, first 2 shown]
	v_cndmask_b32_e64 v12, 0, v12, s0
	s_or_b32 exec_lo, exec_lo, s5
	global_load_dwordx4 v[13:16], v[21:22], off offset:1024
	s_and_saveexec_b32 s5, vcc_lo
	s_cbranch_execz .LBB54_32
.LBB54_40:                              ;   in Loop: Header=BB54_29 Depth=1
	v_cmp_gt_i32_e64 s0, s25, v58
	s_waitcnt vmcnt(0)
	v_cndmask_b32_e64 v13, 0, v13, s0
	v_cmp_gt_i32_e64 s0, s25, v60
	v_cndmask_b32_e64 v14, 0, v14, s0
	v_cmp_gt_i32_e64 s0, s25, v59
	;; [unrolled: 2-line block ×3, first 2 shown]
	v_cndmask_b32_e64 v16, 0, v16, s0
	s_or_b32 exec_lo, exec_lo, s5
	global_load_dwordx4 v[17:20], v[21:22], off offset:1536
	s_and_saveexec_b32 s5, vcc_lo
	s_cbranch_execnz .LBB54_33
	s_branch .LBB54_34
.LBB54_41:                              ;   in Loop: Header=BB54_29 Depth=1
	v_cmp_gt_i32_e64 s0, s25, v58
	s_waitcnt vmcnt(0)
	v_cndmask_b32_e64 v21, 0, v21, s0
	v_cmp_gt_i32_e64 s0, s25, v60
	v_cndmask_b32_e64 v22, 0, v22, s0
	v_cmp_gt_i32_e64 s0, s25, v59
	;; [unrolled: 2-line block ×3, first 2 shown]
	v_cndmask_b32_e64 v24, 0, v24, s0
	s_or_b32 exec_lo, exec_lo, s5
	global_load_dwordx4 v[25:28], v[33:34], off offset:512
	s_and_saveexec_b32 s5, vcc_lo
	s_cbranch_execz .LBB54_36
.LBB54_42:                              ;   in Loop: Header=BB54_29 Depth=1
	v_cmp_gt_i32_e64 s0, s25, v58
	s_waitcnt vmcnt(0)
	v_cndmask_b32_e64 v25, 0, v25, s0
	v_cmp_gt_i32_e64 s0, s25, v60
	v_cndmask_b32_e64 v26, 0, v26, s0
	v_cmp_gt_i32_e64 s0, s25, v59
	;; [unrolled: 2-line block ×3, first 2 shown]
	v_cndmask_b32_e64 v28, 0, v28, s0
	s_or_b32 exec_lo, exec_lo, s5
	global_load_dwordx4 v[29:32], v[33:34], off offset:1024
	s_and_saveexec_b32 s5, vcc_lo
	s_cbranch_execz .LBB54_37
.LBB54_43:                              ;   in Loop: Header=BB54_29 Depth=1
	v_cmp_gt_i32_e64 s0, s25, v58
	s_waitcnt vmcnt(0)
	v_cndmask_b32_e64 v29, 0, v29, s0
	v_cmp_gt_i32_e64 s0, s25, v60
	v_cndmask_b32_e64 v30, 0, v30, s0
	v_cmp_gt_i32_e64 s0, s25, v59
	;; [unrolled: 2-line block ×3, first 2 shown]
	v_cndmask_b32_e64 v32, 0, v32, s0
	s_or_b32 exec_lo, exec_lo, s5
	global_load_dwordx4 v[33:36], v[33:34], off offset:1536
	s_and_saveexec_b32 s0, vcc_lo
	s_cbranch_execz .LBB54_28
.LBB54_44:                              ;   in Loop: Header=BB54_29 Depth=1
	v_cmp_gt_i32_e32 vcc_lo, s25, v58
	s_waitcnt vmcnt(0)
	v_cndmask_b32_e32 v33, 0, v33, vcc_lo
	v_cmp_gt_i32_e32 vcc_lo, s25, v60
	v_cndmask_b32_e32 v34, 0, v34, vcc_lo
	v_cmp_gt_i32_e32 vcc_lo, s25, v59
	;; [unrolled: 2-line block ×3, first 2 shown]
	v_cndmask_b32_e32 v36, 0, v36, vcc_lo
	s_branch .LBB54_28
.LBB54_45:
	s_or_b32 exec_lo, exec_lo, s3
.LBB54_46:
	s_or_b32 exec_lo, exec_lo, s1
	ds_bpermute_b32 v1, v44, v51
	ds_bpermute_b32 v2, v44, v53
	;; [unrolled: 1-line block ×8, first 2 shown]
	v_and_b32_e32 v19, 0x3c7, v0
	s_mov_b32 s0, exec_lo
	s_waitcnt lgkmcnt(0)
	s_waitcnt_vscnt null, 0x0
	s_barrier
	buffer_gl0_inv
	v_add_f32_e32 v1, v51, v1
	v_add_f32_e32 v2, v53, v2
	;; [unrolled: 1-line block ×8, first 2 shown]
	ds_bpermute_b32 v9, v43, v1
	ds_bpermute_b32 v10, v43, v2
	;; [unrolled: 1-line block ×8, first 2 shown]
	s_waitcnt lgkmcnt(7)
	v_add_f32_e32 v1, v1, v9
	s_waitcnt lgkmcnt(6)
	v_add_f32_e32 v2, v2, v10
	;; [unrolled: 2-line block ×8, first 2 shown]
	ds_bpermute_b32 v11, v42, v1
	ds_bpermute_b32 v12, v42, v2
	;; [unrolled: 1-line block ×8, first 2 shown]
	v_lshrrev_b32_e32 v9, 3, v41
	v_lshl_add_u32 v10, v9, 2, 0xa0
	s_waitcnt lgkmcnt(7)
	v_add_f32_e32 v1, v1, v11
	s_waitcnt lgkmcnt(6)
	v_add_f32_e32 v2, v2, v12
	;; [unrolled: 2-line block ×8, first 2 shown]
	v_cmpx_eq_u32_e32 64, v19
	s_cbranch_execz .LBB54_48
; %bb.47:
	v_lshl_add_u32 v11, v40, 7, v10
	v_add_nc_u32_e32 v12, 0xffffff00, v11
	v_add_nc_u32_e32 v15, 0xffffff30, v11
	;; [unrolled: 1-line block ×8, first 2 shown]
	ds_write_b32 v12, v1
	ds_write_b32 v13, v2
	;; [unrolled: 1-line block ×8, first 2 shown]
.LBB54_48:
	s_or_b32 exec_lo, exec_lo, s0
	v_and_b32_e32 v11, 0x3e0, v0
	v_lshlrev_b32_e32 v9, 2, v9
	s_mov_b32 s1, exec_lo
	v_cmp_eq_u32_e32 vcc_lo, 0, v45
	s_waitcnt lgkmcnt(0)
	v_lshlrev_b32_e32 v11, 2, v11
	s_barrier
	buffer_gl0_inv
	v_add3_u32 v9, 0xa0, v11, v9
	v_cmpx_gt_u32_e32 64, v0
	s_cbranch_execz .LBB54_59
; %bb.49:
	s_and_saveexec_b32 s0, vcc_lo
	s_cbranch_execnz .LBB54_75
; %bb.50:
	s_or_b32 exec_lo, exec_lo, s0
	s_and_saveexec_b32 s0, vcc_lo
	s_cbranch_execnz .LBB54_76
.LBB54_51:
	s_or_b32 exec_lo, exec_lo, s0
	s_and_saveexec_b32 s0, vcc_lo
	s_cbranch_execnz .LBB54_77
.LBB54_52:
	s_or_b32 exec_lo, exec_lo, s0
	s_and_saveexec_b32 s0, vcc_lo
	s_cbranch_execnz .LBB54_78
.LBB54_53:
	s_or_b32 exec_lo, exec_lo, s0
	s_and_saveexec_b32 s0, vcc_lo
	s_cbranch_execnz .LBB54_79
.LBB54_54:
	s_or_b32 exec_lo, exec_lo, s0
	s_and_saveexec_b32 s0, vcc_lo
	s_cbranch_execnz .LBB54_80
.LBB54_55:
	s_or_b32 exec_lo, exec_lo, s0
	s_and_saveexec_b32 s0, vcc_lo
	s_cbranch_execnz .LBB54_81
.LBB54_56:
	s_or_b32 exec_lo, exec_lo, s0
	s_and_saveexec_b32 s0, vcc_lo
	s_cbranch_execz .LBB54_58
.LBB54_57:
	ds_read_b32 v11, v9 offset:112
	s_waitcnt lgkmcnt(0)
	v_add_f32_e32 v8, v8, v11
.LBB54_58:
	s_or_b32 exec_lo, exec_lo, s0
.LBB54_59:
	s_or_b32 exec_lo, exec_lo, s1
	v_and_b32_e32 v11, 0x3e7, v0
	s_mov_b32 s1, exec_lo
	s_barrier
	buffer_gl0_inv
	v_cmpx_eq_u32_e32 32, v11
	s_cbranch_execz .LBB54_61
; %bb.60:
	ds_write2_b32 v10, v1, v2 offset1:4
	ds_write2_b32 v10, v3, v4 offset0:8 offset1:12
	ds_write2_b32 v10, v5, v6 offset0:16 offset1:20
	ds_write2_b32 v10, v7, v8 offset0:24 offset1:28
.LBB54_61:
	s_or_b32 exec_lo, exec_lo, s1
	s_mov_b32 s1, exec_lo
	s_waitcnt lgkmcnt(0)
	s_barrier
	buffer_gl0_inv
	v_cmpx_gt_u32_e32 32, v0
	s_cbranch_execz .LBB54_72
; %bb.62:
	s_and_saveexec_b32 s0, vcc_lo
	s_cbranch_execnz .LBB54_82
; %bb.63:
	s_or_b32 exec_lo, exec_lo, s0
	s_and_saveexec_b32 s0, vcc_lo
	s_cbranch_execnz .LBB54_83
.LBB54_64:
	s_or_b32 exec_lo, exec_lo, s0
	s_and_saveexec_b32 s0, vcc_lo
	s_cbranch_execnz .LBB54_84
.LBB54_65:
	s_or_b32 exec_lo, exec_lo, s0
	s_and_saveexec_b32 s0, vcc_lo
	s_cbranch_execnz .LBB54_85
.LBB54_66:
	s_or_b32 exec_lo, exec_lo, s0
	s_and_saveexec_b32 s0, vcc_lo
	s_cbranch_execnz .LBB54_86
.LBB54_67:
	s_or_b32 exec_lo, exec_lo, s0
	s_and_saveexec_b32 s0, vcc_lo
	s_cbranch_execnz .LBB54_87
.LBB54_68:
	s_or_b32 exec_lo, exec_lo, s0
	s_and_saveexec_b32 s0, vcc_lo
	s_cbranch_execnz .LBB54_88
.LBB54_69:
	s_or_b32 exec_lo, exec_lo, s0
	s_and_saveexec_b32 s0, vcc_lo
	s_cbranch_execz .LBB54_71
.LBB54_70:
	ds_read_b32 v9, v9 offset:112
	s_waitcnt lgkmcnt(0)
	v_add_f32_e32 v8, v8, v9
.LBB54_71:
	s_or_b32 exec_lo, exec_lo, s0
.LBB54_72:
	s_or_b32 exec_lo, exec_lo, s1
	s_barrier
	buffer_gl0_inv
	s_mov_b32 s0, exec_lo
	v_cmpx_eq_u32_e32 0, v11
	s_cbranch_execz .LBB54_74
; %bb.73:
	s_lshl_b32 s0, s2, 5
	s_mul_i32 s2, s7, s10
	s_ashr_i32 s1, s0, 31
	v_lshrrev_b32_e32 v0, 1, v0
	s_lshl_b64 s[0:1], s[0:1], 2
	s_add_u32 s4, s20, s0
	s_addc_u32 s5, s21, s1
	s_ashr_i32 s3, s2, 31
	s_lshl_b64 s[0:1], s[2:3], 2
	s_add_u32 s2, s4, s0
	s_addc_u32 s3, s5, s1
	s_lshl_b32 s0, s8, 5
	s_ashr_i32 s1, s0, 31
	s_lshl_b64 s[0:1], s[0:1], 2
	s_add_u32 s0, s2, s0
	s_addc_u32 s1, s3, s1
	global_store_dword v0, v1, s[0:1]
	global_store_dword v0, v2, s[0:1] offset:16
	global_store_dword v0, v3, s[0:1] offset:32
	;; [unrolled: 1-line block ×7, first 2 shown]
.LBB54_74:
	s_endpgm
.LBB54_75:
	ds_read_b32 v11, v9
	s_waitcnt lgkmcnt(0)
	v_add_f32_e32 v1, v1, v11
	s_or_b32 exec_lo, exec_lo, s0
	s_and_saveexec_b32 s0, vcc_lo
	s_cbranch_execz .LBB54_51
.LBB54_76:
	ds_read_b32 v11, v9 offset:16
	s_waitcnt lgkmcnt(0)
	v_add_f32_e32 v2, v2, v11
	s_or_b32 exec_lo, exec_lo, s0
	s_and_saveexec_b32 s0, vcc_lo
	s_cbranch_execz .LBB54_52
.LBB54_77:
	ds_read_b32 v11, v9 offset:32
	s_waitcnt lgkmcnt(0)
	v_add_f32_e32 v3, v3, v11
	s_or_b32 exec_lo, exec_lo, s0
	s_and_saveexec_b32 s0, vcc_lo
	s_cbranch_execz .LBB54_53
.LBB54_78:
	ds_read_b32 v11, v9 offset:48
	s_waitcnt lgkmcnt(0)
	v_add_f32_e32 v4, v4, v11
	s_or_b32 exec_lo, exec_lo, s0
	s_and_saveexec_b32 s0, vcc_lo
	s_cbranch_execz .LBB54_54
.LBB54_79:
	ds_read_b32 v11, v9 offset:64
	s_waitcnt lgkmcnt(0)
	v_add_f32_e32 v5, v5, v11
	s_or_b32 exec_lo, exec_lo, s0
	s_and_saveexec_b32 s0, vcc_lo
	s_cbranch_execz .LBB54_55
.LBB54_80:
	ds_read_b32 v11, v9 offset:80
	s_waitcnt lgkmcnt(0)
	v_add_f32_e32 v6, v6, v11
	s_or_b32 exec_lo, exec_lo, s0
	s_and_saveexec_b32 s0, vcc_lo
	s_cbranch_execz .LBB54_56
.LBB54_81:
	ds_read_b32 v11, v9 offset:96
	s_waitcnt lgkmcnt(0)
	v_add_f32_e32 v7, v7, v11
	s_or_b32 exec_lo, exec_lo, s0
	s_and_saveexec_b32 s0, vcc_lo
	s_cbranch_execnz .LBB54_57
	s_branch .LBB54_58
.LBB54_82:
	ds_read_b32 v10, v9
	s_waitcnt lgkmcnt(0)
	v_add_f32_e32 v1, v1, v10
	s_or_b32 exec_lo, exec_lo, s0
	s_and_saveexec_b32 s0, vcc_lo
	s_cbranch_execz .LBB54_64
.LBB54_83:
	ds_read_b32 v10, v9 offset:16
	s_waitcnt lgkmcnt(0)
	v_add_f32_e32 v2, v2, v10
	s_or_b32 exec_lo, exec_lo, s0
	s_and_saveexec_b32 s0, vcc_lo
	s_cbranch_execz .LBB54_65
.LBB54_84:
	ds_read_b32 v10, v9 offset:32
	s_waitcnt lgkmcnt(0)
	v_add_f32_e32 v3, v3, v10
	s_or_b32 exec_lo, exec_lo, s0
	s_and_saveexec_b32 s0, vcc_lo
	s_cbranch_execz .LBB54_66
.LBB54_85:
	ds_read_b32 v10, v9 offset:48
	s_waitcnt lgkmcnt(0)
	v_add_f32_e32 v4, v4, v10
	s_or_b32 exec_lo, exec_lo, s0
	s_and_saveexec_b32 s0, vcc_lo
	s_cbranch_execz .LBB54_67
.LBB54_86:
	ds_read_b32 v10, v9 offset:64
	s_waitcnt lgkmcnt(0)
	v_add_f32_e32 v5, v5, v10
	s_or_b32 exec_lo, exec_lo, s0
	s_and_saveexec_b32 s0, vcc_lo
	s_cbranch_execz .LBB54_68
.LBB54_87:
	ds_read_b32 v10, v9 offset:80
	s_waitcnt lgkmcnt(0)
	v_add_f32_e32 v6, v6, v10
	s_or_b32 exec_lo, exec_lo, s0
	s_and_saveexec_b32 s0, vcc_lo
	s_cbranch_execz .LBB54_69
.LBB54_88:
	ds_read_b32 v10, v9 offset:96
	s_waitcnt lgkmcnt(0)
	v_add_f32_e32 v7, v7, v10
	s_or_b32 exec_lo, exec_lo, s0
	s_and_saveexec_b32 s0, vcc_lo
	s_cbranch_execnz .LBB54_70
	s_branch .LBB54_71
	.section	.rodata,"a",@progbits
	.p2align	6, 0x0
	.amdhsa_kernel _ZN4vllm25paged_attention_v2_kernelIffLi32ELi32ELi128ELNS_18Fp8KVCacheDataTypeE0ELb0ELi512EEEvPfS2_PT_PKS3_PKT0_S9_ifPKiSB_iPKfiiiSD_SD_iiiii
		.amdhsa_group_segment_fixed_size 160
		.amdhsa_private_segment_fixed_size 0
		.amdhsa_kernarg_size 400
		.amdhsa_user_sgpr_count 6
		.amdhsa_user_sgpr_private_segment_buffer 1
		.amdhsa_user_sgpr_dispatch_ptr 0
		.amdhsa_user_sgpr_queue_ptr 0
		.amdhsa_user_sgpr_kernarg_segment_ptr 1
		.amdhsa_user_sgpr_dispatch_id 0
		.amdhsa_user_sgpr_flat_scratch_init 0
		.amdhsa_user_sgpr_private_segment_size 0
		.amdhsa_wavefront_size32 1
		.amdhsa_uses_dynamic_stack 0
		.amdhsa_system_sgpr_private_segment_wavefront_offset 0
		.amdhsa_system_sgpr_workgroup_id_x 1
		.amdhsa_system_sgpr_workgroup_id_y 1
		.amdhsa_system_sgpr_workgroup_id_z 1
		.amdhsa_system_sgpr_workgroup_info 0
		.amdhsa_system_vgpr_workitem_id 0
		.amdhsa_next_free_vgpr 67
		.amdhsa_next_free_sgpr 38
		.amdhsa_reserve_vcc 1
		.amdhsa_reserve_flat_scratch 0
		.amdhsa_float_round_mode_32 0
		.amdhsa_float_round_mode_16_64 0
		.amdhsa_float_denorm_mode_32 3
		.amdhsa_float_denorm_mode_16_64 3
		.amdhsa_dx10_clamp 1
		.amdhsa_ieee_mode 1
		.amdhsa_fp16_overflow 0
		.amdhsa_workgroup_processor_mode 1
		.amdhsa_memory_ordered 1
		.amdhsa_forward_progress 1
		.amdhsa_shared_vgpr_count 0
		.amdhsa_exception_fp_ieee_invalid_op 0
		.amdhsa_exception_fp_denorm_src 0
		.amdhsa_exception_fp_ieee_div_zero 0
		.amdhsa_exception_fp_ieee_overflow 0
		.amdhsa_exception_fp_ieee_underflow 0
		.amdhsa_exception_fp_ieee_inexact 0
		.amdhsa_exception_int_div_zero 0
	.end_amdhsa_kernel
	.section	.text._ZN4vllm25paged_attention_v2_kernelIffLi32ELi32ELi128ELNS_18Fp8KVCacheDataTypeE0ELb0ELi512EEEvPfS2_PT_PKS3_PKT0_S9_ifPKiSB_iPKfiiiSD_SD_iiiii,"axG",@progbits,_ZN4vllm25paged_attention_v2_kernelIffLi32ELi32ELi128ELNS_18Fp8KVCacheDataTypeE0ELb0ELi512EEEvPfS2_PT_PKS3_PKT0_S9_ifPKiSB_iPKfiiiSD_SD_iiiii,comdat
.Lfunc_end54:
	.size	_ZN4vllm25paged_attention_v2_kernelIffLi32ELi32ELi128ELNS_18Fp8KVCacheDataTypeE0ELb0ELi512EEEvPfS2_PT_PKS3_PKT0_S9_ifPKiSB_iPKfiiiSD_SD_iiiii, .Lfunc_end54-_ZN4vllm25paged_attention_v2_kernelIffLi32ELi32ELi128ELNS_18Fp8KVCacheDataTypeE0ELb0ELi512EEEvPfS2_PT_PKS3_PKT0_S9_ifPKiSB_iPKfiiiSD_SD_iiiii
                                        ; -- End function
	.set _ZN4vllm25paged_attention_v2_kernelIffLi32ELi32ELi128ELNS_18Fp8KVCacheDataTypeE0ELb0ELi512EEEvPfS2_PT_PKS3_PKT0_S9_ifPKiSB_iPKfiiiSD_SD_iiiii.num_vgpr, 67
	.set _ZN4vllm25paged_attention_v2_kernelIffLi32ELi32ELi128ELNS_18Fp8KVCacheDataTypeE0ELb0ELi512EEEvPfS2_PT_PKS3_PKT0_S9_ifPKiSB_iPKfiiiSD_SD_iiiii.num_agpr, 0
	.set _ZN4vllm25paged_attention_v2_kernelIffLi32ELi32ELi128ELNS_18Fp8KVCacheDataTypeE0ELb0ELi512EEEvPfS2_PT_PKS3_PKT0_S9_ifPKiSB_iPKfiiiSD_SD_iiiii.numbered_sgpr, 38
	.set _ZN4vllm25paged_attention_v2_kernelIffLi32ELi32ELi128ELNS_18Fp8KVCacheDataTypeE0ELb0ELi512EEEvPfS2_PT_PKS3_PKT0_S9_ifPKiSB_iPKfiiiSD_SD_iiiii.num_named_barrier, 0
	.set _ZN4vllm25paged_attention_v2_kernelIffLi32ELi32ELi128ELNS_18Fp8KVCacheDataTypeE0ELb0ELi512EEEvPfS2_PT_PKS3_PKT0_S9_ifPKiSB_iPKfiiiSD_SD_iiiii.private_seg_size, 0
	.set _ZN4vllm25paged_attention_v2_kernelIffLi32ELi32ELi128ELNS_18Fp8KVCacheDataTypeE0ELb0ELi512EEEvPfS2_PT_PKS3_PKT0_S9_ifPKiSB_iPKfiiiSD_SD_iiiii.uses_vcc, 1
	.set _ZN4vllm25paged_attention_v2_kernelIffLi32ELi32ELi128ELNS_18Fp8KVCacheDataTypeE0ELb0ELi512EEEvPfS2_PT_PKS3_PKT0_S9_ifPKiSB_iPKfiiiSD_SD_iiiii.uses_flat_scratch, 0
	.set _ZN4vllm25paged_attention_v2_kernelIffLi32ELi32ELi128ELNS_18Fp8KVCacheDataTypeE0ELb0ELi512EEEvPfS2_PT_PKS3_PKT0_S9_ifPKiSB_iPKfiiiSD_SD_iiiii.has_dyn_sized_stack, 0
	.set _ZN4vllm25paged_attention_v2_kernelIffLi32ELi32ELi128ELNS_18Fp8KVCacheDataTypeE0ELb0ELi512EEEvPfS2_PT_PKS3_PKT0_S9_ifPKiSB_iPKfiiiSD_SD_iiiii.has_recursion, 0
	.set _ZN4vllm25paged_attention_v2_kernelIffLi32ELi32ELi128ELNS_18Fp8KVCacheDataTypeE0ELb0ELi512EEEvPfS2_PT_PKS3_PKT0_S9_ifPKiSB_iPKfiiiSD_SD_iiiii.has_indirect_call, 0
	.section	.AMDGPU.csdata,"",@progbits
; Kernel info:
; codeLenInByte = 5044
; TotalNumSgprs: 40
; NumVgprs: 67
; ScratchSize: 0
; MemoryBound: 0
; FloatMode: 240
; IeeeMode: 1
; LDSByteSize: 160 bytes/workgroup (compile time only)
; SGPRBlocks: 0
; VGPRBlocks: 8
; NumSGPRsForWavesPerEU: 40
; NumVGPRsForWavesPerEU: 67
; Occupancy: 12
; WaveLimiterHint : 1
; COMPUTE_PGM_RSRC2:SCRATCH_EN: 0
; COMPUTE_PGM_RSRC2:USER_SGPR: 6
; COMPUTE_PGM_RSRC2:TRAP_HANDLER: 0
; COMPUTE_PGM_RSRC2:TGID_X_EN: 1
; COMPUTE_PGM_RSRC2:TGID_Y_EN: 1
; COMPUTE_PGM_RSRC2:TGID_Z_EN: 1
; COMPUTE_PGM_RSRC2:TIDIG_COMP_CNT: 0
	.section	.text._ZN4vllm25paged_attention_v2_kernelIffLi64ELi32ELi128ELNS_18Fp8KVCacheDataTypeE0ELb0ELi512EEEvPfS2_PT_PKS3_PKT0_S9_ifPKiSB_iPKfiiiSD_SD_iiiii,"axG",@progbits,_ZN4vllm25paged_attention_v2_kernelIffLi64ELi32ELi128ELNS_18Fp8KVCacheDataTypeE0ELb0ELi512EEEvPfS2_PT_PKS3_PKT0_S9_ifPKiSB_iPKfiiiSD_SD_iiiii,comdat
	.protected	_ZN4vllm25paged_attention_v2_kernelIffLi64ELi32ELi128ELNS_18Fp8KVCacheDataTypeE0ELb0ELi512EEEvPfS2_PT_PKS3_PKT0_S9_ifPKiSB_iPKfiiiSD_SD_iiiii ; -- Begin function _ZN4vllm25paged_attention_v2_kernelIffLi64ELi32ELi128ELNS_18Fp8KVCacheDataTypeE0ELb0ELi512EEEvPfS2_PT_PKS3_PKT0_S9_ifPKiSB_iPKfiiiSD_SD_iiiii
	.globl	_ZN4vllm25paged_attention_v2_kernelIffLi64ELi32ELi128ELNS_18Fp8KVCacheDataTypeE0ELb0ELi512EEEvPfS2_PT_PKS3_PKT0_S9_ifPKiSB_iPKfiiiSD_SD_iiiii
	.p2align	8
	.type	_ZN4vllm25paged_attention_v2_kernelIffLi64ELi32ELi128ELNS_18Fp8KVCacheDataTypeE0ELb0ELi512EEEvPfS2_PT_PKS3_PKT0_S9_ifPKiSB_iPKfiiiSD_SD_iiiii,@function
_ZN4vllm25paged_attention_v2_kernelIffLi64ELi32ELi128ELNS_18Fp8KVCacheDataTypeE0ELb0ELi512EEEvPfS2_PT_PKS3_PKT0_S9_ifPKiSB_iPKfiiiSD_SD_iiiii: ; @_ZN4vllm25paged_attention_v2_kernelIffLi64ELi32ELi128ELNS_18Fp8KVCacheDataTypeE0ELb0ELi512EEEvPfS2_PT_PKS3_PKT0_S9_ifPKiSB_iPKfiiiSD_SD_iiiii
; %bb.0:
	s_load_dwordx2 s[0:1], s[4:5], 0x40
	s_mov_b32 s24, s7
	s_ashr_i32 s25, s7, 31
	s_lshl_b64 s[2:3], s[24:25], 2
	s_waitcnt lgkmcnt(0)
	s_add_u32 s0, s0, s2
	s_addc_u32 s1, s1, s3
	s_lshl_b32 s30, s8, 9
	s_load_dword s25, s[0:1], 0x0
	s_waitcnt lgkmcnt(0)
	s_cmp_ge_i32 s30, s25
	s_cbranch_scc1 .LBB55_106
; %bb.1:
	s_clause 0x1
	s_load_dword s9, s[4:5], 0x90
	s_load_dwordx2 s[2:3], s[4:5], 0x30
	s_mov_b32 s33, 0
	s_waitcnt lgkmcnt(0)
	s_abs_i32 s10, s9
	s_abs_i32 s0, s2
	s_xor_b32 s2, s9, s2
	v_cvt_f32_u32_e32 v1, s0
	s_sub_i32 s7, 0, s0
	s_ashr_i32 s2, s2, 31
	v_rcp_iflag_f32_e32 v1, v1
	v_mul_f32_e32 v1, 0x4f7ffffe, v1
	v_cvt_u32_f32_e32 v1, v1
	v_readfirstlane_b32 s1, v1
	s_mul_i32 s7, s7, s1
	s_mul_hi_u32 s7, s1, s7
	s_add_i32 s1, s1, s7
	s_mul_hi_u32 s1, s10, s1
	s_mul_i32 s7, s1, s0
	s_sub_i32 s7, s10, s7
	s_add_i32 s10, s1, 1
	s_sub_i32 s11, s7, s0
	s_cmp_ge_u32 s7, s0
	s_cselect_b32 s1, s10, s1
	s_cselect_b32 s7, s11, s7
	s_add_i32 s10, s1, 1
	s_cmp_ge_u32 s7, s0
	s_cselect_b32 s0, s10, s1
	s_abs_i32 s29, s6
	s_xor_b32 s0, s0, s2
	s_sub_i32 s10, s0, s2
	s_load_dwordx2 s[0:1], s[4:5], 0x50
	s_abs_i32 s2, s10
	v_cvt_f32_u32_e32 v1, s2
	s_sub_i32 s11, 0, s2
	v_rcp_iflag_f32_e32 v1, v1
	v_mul_f32_e32 v1, 0x4f7ffffe, v1
	v_cvt_u32_f32_e32 v1, v1
	v_readfirstlane_b32 s7, v1
	s_mul_i32 s11, s11, s7
	s_mul_hi_u32 s11, s7, s11
	s_add_i32 s7, s7, s11
	s_waitcnt lgkmcnt(0)
	s_cmp_eq_u64 s[0:1], 0
	s_mul_hi_u32 s28, s29, s7
	s_cbranch_scc1 .LBB55_3
; %bb.2:
	s_ashr_i32 s7, s6, 31
	s_lshl_b64 s[12:13], s[6:7], 2
	s_add_u32 s0, s0, s12
	s_addc_u32 s1, s1, s13
	s_load_dword s33, s[0:1], 0x0
.LBB55_3:
	s_clause 0x1
	s_load_dwordx2 s[22:23], s[4:5], 0x38
	s_load_dwordx4 s[12:15], s[4:5], 0x58
	v_lshlrev_b32_e32 v67, 4, v0
	s_ashr_i32 s0, s6, 31
	s_ashr_i32 s1, s10, 31
	s_lshl_b32 s10, s6, 6
	s_mov_b32 s7, exec_lo
	v_cmpx_gt_u32_e32 16, v0
	s_cbranch_execz .LBB55_5
; %bb.4:
	s_load_dwordx2 s[16:17], s[4:5], 0x18
	s_waitcnt lgkmcnt(0)
	s_mul_i32 s18, s12, s24
	s_ashr_i32 s19, s18, 31
	s_lshl_b64 s[18:19], s[18:19], 2
	s_add_u32 s12, s16, s18
	s_addc_u32 s15, s17, s19
	s_ashr_i32 s11, s10, 31
	s_lshl_b64 s[16:17], s[10:11], 2
	s_add_u32 s16, s12, s16
	s_addc_u32 s17, s15, s17
	global_load_dwordx4 v[1:4], v67, s[16:17]
	s_waitcnt vmcnt(0)
	ds_write_b128 v67, v[1:4]
.LBB55_5:
	s_or_b32 exec_lo, exec_lo, s7
	s_add_i32 s7, s25, 31
	s_clause 0x1
	s_load_dwordx4 s[16:19], s[4:5], 0x0
	s_load_dwordx2 s[20:21], s[4:5], 0x10
	s_ashr_i32 s11, s7, 31
	s_lshl_b32 s31, s8, 4
	s_lshr_b32 s11, s11, 27
	s_mul_i32 s34, s28, s2
	s_add_i32 s7, s7, s11
	s_add_i32 s11, s31, 16
	s_waitcnt lgkmcnt(0)
	s_ashr_i32 s12, s7, 5
	s_clause 0x2
	s_load_dwordx2 s[26:27], s[4:5], 0x28
	s_load_dword s7, s[4:5], 0x98
	s_load_dword s15, s[4:5], 0x48
	s_xor_b32 s0, s0, s1
	s_sub_i32 s1, s29, s34
	s_min_i32 s11, s11, s12
	s_add_i32 s29, s28, 1
	s_sub_i32 s34, s1, s2
	s_cmp_ge_u32 s1, s2
	v_lshrrev_b32_e32 v72, 5, v0
	s_cselect_b32 s28, s29, s28
	s_cselect_b32 s1, s34, s1
	s_add_i32 s29, s28, 1
	s_cmp_ge_u32 s1, s2
	v_add_nc_u32_e32 v69, s31, v72
	v_and_b32_e32 v73, 31, v0
	s_cselect_b32 s1, s29, s28
	v_mov_b32_e32 v71, 0xff7fffff
	s_xor_b32 s1, s1, s0
	v_ashrrev_i32_e32 v70, 31, v69
	s_sub_i32 s1, s1, s0
	v_cmp_gt_i32_e64 s0, s11, v69
	v_lshlrev_b32_e32 v68, 2, v73
	s_waitcnt lgkmcnt(0)
	s_mul_i32 s28, s15, s24
	s_mul_i32 s14, s1, s14
	s_ashr_i32 s29, s28, 31
	s_barrier
	buffer_gl0_inv
	s_and_saveexec_b32 s34, s0
	s_cbranch_execz .LBB55_9
; %bb.6:
	s_load_dwordx2 s[4:5], s[4:5], 0x20
	v_mov_b32_e32 v61, 0
	s_ashr_i32 s15, s14, 31
	v_lshlrev_b32_e32 v49, 4, v73
	s_lshl_b64 s[36:37], s[14:15], 2
	ds_read_b128 v[1:4], v61
	ds_read_b128 v[5:8], v61 offset:16
	ds_read_b128 v[9:12], v61 offset:32
	;; [unrolled: 1-line block ×11, first 2 shown]
	v_lshlrev_b32_e32 v65, 5, v72
	v_lshl_or_b32 v71, v72, 7, v68
	v_cmp_neq_f32_e64 vcc_lo, s33, 0
	v_mov_b32_e32 v78, v69
	s_mov_b32 s15, s13
	v_add3_u32 v76, s30, v65, v73
	v_lshlrev_b64 v[65:66], 2, v[69:70]
	v_add_nc_u32_e32 v77, 0x120, v71
	v_mov_b32_e32 v71, 0xff7fffff
	s_waitcnt lgkmcnt(0)
	s_add_u32 s1, s4, s36
	s_addc_u32 s2, s5, s37
	v_add_co_u32 v74, s1, s1, v49
	ds_read_b128 v[49:52], v61 offset:192
	ds_read_b128 v[53:56], v61 offset:208
	;; [unrolled: 1-line block ×4, first 2 shown]
	s_lshl_b64 s[36:37], s[28:29], 2
	s_sub_i32 s4, 1, s25
	v_add_co_ci_u32_e64 v75, null, s2, 0, s1
	s_add_u32 s1, s22, s36
	s_addc_u32 s2, s23, s37
	v_add_co_u32 v65, s1, s1, v65
	v_add_co_ci_u32_e64 v66, null, s2, v66, s1
	s_mov_b32 s5, 0
.LBB55_7:                               ; =>This Inner Loop Header: Depth=1
	global_load_dword v79, v[65:66], off
	v_add_nc_u32_e32 v78, 4, v78
	v_cmp_le_i32_e64 s2, s11, v78
	s_or_b32 s5, s2, s5
	s_waitcnt vmcnt(0)
	v_mad_i64_i32 v[79:80], null, v79, s15, 0
	v_lshlrev_b64 v[79:80], 2, v[79:80]
	v_add_co_u32 v95, s1, v74, v79
	v_add_co_ci_u32_e64 v96, null, v75, v80, s1
	s_clause 0x3
	global_load_dwordx4 v[79:82], v[95:96], off offset:512
	global_load_dwordx4 v[83:86], v[95:96], off
	global_load_dwordx4 v[87:90], v[95:96], off offset:1024
	global_load_dwordx4 v[91:94], v[95:96], off offset:1536
	v_add_co_u32 v103, s1, v95, 0x1000
	v_add_co_ci_u32_e64 v104, null, 0, v96, s1
	v_add_co_u32 v105, s1, 0x800, v95
	v_add_co_ci_u32_e64 v106, null, 0, v96, s1
	;; [unrolled: 2-line block ×4, first 2 shown]
	s_clause 0x1
	global_load_dwordx4 v[95:98], v[103:104], off offset:-2048
	global_load_dwordx4 v[99:102], v[105:106], off offset:512
	v_add_co_u32 v65, s1, v65, 16
	v_add_co_ci_u32_e64 v66, null, 0, v66, s1
	v_cmp_gt_i32_e64 s1, s25, v76
	s_waitcnt vmcnt(5)
	v_mul_f32_e32 v111, v5, v79
	v_mul_f32_e32 v112, v6, v80
	v_mul_f32_e32 v113, v7, v81
	v_mul_f32_e32 v114, v8, v82
	global_load_dwordx4 v[79:82], v[105:106], off offset:1024
	s_waitcnt vmcnt(5)
	v_fmac_f32_e32 v111, v1, v83
	v_fmac_f32_e32 v112, v2, v84
	;; [unrolled: 1-line block ×4, first 2 shown]
	s_clause 0x1
	global_load_dwordx4 v[83:86], v[105:106], off offset:1536
	global_load_dwordx4 v[103:106], v[103:104], off
	s_waitcnt vmcnt(6)
	v_fmac_f32_e32 v111, v9, v87
	v_fmac_f32_e32 v112, v10, v88
	v_fmac_f32_e32 v113, v11, v89
	v_fmac_f32_e32 v114, v12, v90
	global_load_dwordx4 v[87:90], v[107:108], off offset:512
	s_waitcnt vmcnt(6)
	v_fmac_f32_e32 v111, v13, v91
	v_fmac_f32_e32 v112, v14, v92
	v_fmac_f32_e32 v113, v15, v93
	v_fmac_f32_e32 v114, v16, v94
	global_load_dwordx4 v[91:94], v[107:108], off offset:1024
	;; [unrolled: 6-line block ×3, first 2 shown]
	s_waitcnt vmcnt(6)
	v_fmac_f32_e32 v111, v21, v99
	v_fmac_f32_e32 v112, v22, v100
	v_fmac_f32_e32 v113, v23, v101
	v_fmac_f32_e32 v114, v24, v102
	global_load_dwordx4 v[99:102], v[109:110], off
	s_waitcnt vmcnt(6)
	v_fmac_f32_e32 v111, v25, v79
	v_fmac_f32_e32 v112, v26, v80
	;; [unrolled: 1-line block ×4, first 2 shown]
	global_load_dwordx4 v[79:82], v[109:110], off offset:512
	s_waitcnt vmcnt(6)
	v_fmac_f32_e32 v111, v29, v83
	v_fmac_f32_e32 v112, v30, v84
	v_fmac_f32_e32 v113, v31, v85
	v_fmac_f32_e32 v114, v32, v86
	s_clause 0x1
	global_load_dwordx4 v[83:86], v[109:110], off offset:1024
	global_load_dwordx4 v[107:110], v[109:110], off offset:1536
	s_waitcnt vmcnt(7)
	v_fmac_f32_e32 v111, v33, v103
	v_fmac_f32_e32 v112, v34, v104
	;; [unrolled: 1-line block ×4, first 2 shown]
	v_add_nc_u32_e32 v103, s4, v76
	s_waitcnt vmcnt(6)
	v_fmac_f32_e32 v111, v37, v87
	v_fmac_f32_e32 v112, v38, v88
	;; [unrolled: 1-line block ×4, first 2 shown]
	v_cvt_f32_i32_e32 v103, v103
	s_waitcnt vmcnt(5)
	v_fmac_f32_e32 v111, v41, v91
	v_fmac_f32_e32 v112, v42, v92
	;; [unrolled: 1-line block ×4, first 2 shown]
	v_max_f32_e32 v104, v71, v71
	s_waitcnt vmcnt(4)
	v_fmac_f32_e32 v111, v45, v95
	v_fmac_f32_e32 v112, v46, v96
	v_fmac_f32_e32 v113, v47, v97
	v_fmac_f32_e32 v114, v48, v98
	v_add_nc_u32_e32 v76, 0x80, v76
	s_waitcnt vmcnt(3) lgkmcnt(3)
	v_fmac_f32_e32 v111, v49, v99
	v_fmac_f32_e32 v112, v50, v100
	;; [unrolled: 1-line block ×4, first 2 shown]
	s_waitcnt vmcnt(2) lgkmcnt(2)
	v_fmac_f32_e32 v111, v53, v79
	v_fmac_f32_e32 v112, v54, v80
	;; [unrolled: 1-line block ×4, first 2 shown]
	v_mul_f32_e32 v80, s33, v103
	s_waitcnt vmcnt(1) lgkmcnt(1)
	v_fmac_f32_e32 v111, v57, v83
	v_fmac_f32_e32 v112, v58, v84
	;; [unrolled: 1-line block ×4, first 2 shown]
	v_cndmask_b32_e32 v80, 0, v80, vcc_lo
	s_waitcnt vmcnt(0) lgkmcnt(0)
	v_fmac_f32_e32 v111, v61, v107
	v_fmac_f32_e32 v112, v62, v108
	;; [unrolled: 1-line block ×4, first 2 shown]
	v_add_f32_e32 v79, v111, v112
	v_add_f32_e32 v79, v113, v79
	;; [unrolled: 1-line block ×3, first 2 shown]
	v_fmac_f32_e32 v80, s3, v79
	v_max_f32_e32 v79, v104, v80
	v_cndmask_b32_e64 v80, 0, v80, s1
	v_cndmask_b32_e64 v71, v71, v79, s1
	ds_write_b32 v77, v80
	v_add_nc_u32_e32 v77, 0x200, v77
	s_andn2_b32 exec_lo, exec_lo, s5
	s_cbranch_execnz .LBB55_7
; %bb.8:
	s_or_b32 exec_lo, exec_lo, s5
.LBB55_9:
	s_or_b32 exec_lo, exec_lo, s34
	v_mbcnt_lo_u32_b32 v1, -1, 0
	v_max_f32_e32 v5, v71, v71
	v_xor_b32_e32 v2, 16, v1
	v_xor_b32_e32 v4, 8, v1
	v_cmp_gt_i32_e32 vcc_lo, 32, v2
	v_cndmask_b32_e32 v2, v1, v2, vcc_lo
	v_cmp_gt_i32_e32 vcc_lo, 32, v4
	v_lshlrev_b32_e32 v2, 2, v2
	v_cndmask_b32_e32 v4, v1, v4, vcc_lo
	ds_bpermute_b32 v3, v2, v71
	s_waitcnt lgkmcnt(0)
	v_max_f32_e32 v6, v3, v3
	v_lshlrev_b32_e32 v3, 2, v4
	v_max_f32_e32 v4, v5, v6
	v_xor_b32_e32 v6, 4, v1
	ds_bpermute_b32 v5, v3, v4
	v_cmp_gt_i32_e32 vcc_lo, 32, v6
	v_cndmask_b32_e32 v6, v1, v6, vcc_lo
	v_lshlrev_b32_e32 v76, 2, v6
	v_xor_b32_e32 v6, 2, v1
	v_cmp_gt_i32_e32 vcc_lo, 32, v6
	s_waitcnt lgkmcnt(0)
	v_max_f32_e32 v5, v5, v5
	v_cndmask_b32_e32 v6, v1, v6, vcc_lo
	v_max_f32_e32 v4, v4, v5
	v_lshlrev_b32_e32 v75, 2, v6
	v_xor_b32_e32 v6, 1, v1
	ds_bpermute_b32 v5, v76, v4
	v_cmp_gt_i32_e32 vcc_lo, 32, v6
	v_cndmask_b32_e32 v6, v1, v6, vcc_lo
	v_cmp_eq_u32_e32 vcc_lo, 0, v73
	v_lshlrev_b32_e32 v74, 2, v6
	s_waitcnt lgkmcnt(0)
	v_max_f32_e32 v5, v5, v5
	v_max_f32_e32 v4, v4, v5
	ds_bpermute_b32 v5, v75, v4
	s_waitcnt lgkmcnt(0)
	v_max_f32_e32 v5, v5, v5
	v_max_f32_e32 v1, v4, v5
	v_lshlrev_b32_e32 v5, 2, v72
	ds_bpermute_b32 v4, v74, v1
	s_and_saveexec_b32 s1, vcc_lo
	s_cbranch_execz .LBB55_11
; %bb.10:
	s_waitcnt lgkmcnt(0)
	v_max_f32_e32 v4, v4, v4
	v_max_f32_e32 v1, v1, v1
	;; [unrolled: 1-line block ×3, first 2 shown]
	ds_write_b32 v5, v1 offset:256
.LBB55_11:
	s_or_b32 exec_lo, exec_lo, s1
	v_cmp_gt_u32_e64 s1, 4, v73
	v_mov_b32_e32 v1, 0xff7fffff
	s_waitcnt lgkmcnt(0)
	s_barrier
	buffer_gl0_inv
	s_and_saveexec_b32 s2, s1
; %bb.12:
	ds_read_b32 v1, v68 offset:256
; %bb.13:
	s_or_b32 exec_lo, exec_lo, s2
	s_waitcnt lgkmcnt(0)
	ds_bpermute_b32 v4, v75, v1
	v_max_f32_e32 v1, v1, v1
	v_mov_b32_e32 v6, 0
	s_sub_i32 s2, s11, s31
	s_lshl_b32 s2, s2, 5
	s_add_i32 s2, s2, s30
	s_min_i32 s2, s2, s25
	s_sub_i32 s4, s2, s30
	v_cmp_gt_i32_e64 s2, s4, v0
	s_waitcnt lgkmcnt(0)
	v_max_f32_e32 v4, v4, v4
	v_max_f32_e32 v1, v1, v4
	ds_bpermute_b32 v4, v74, v1
	s_waitcnt lgkmcnt(0)
	v_max_f32_e32 v4, v4, v4
	v_max_f32_e32 v1, v1, v4
	v_lshl_add_u32 v4, v0, 2, 0x120
	ds_bpermute_b32 v1, v6, v1
	s_and_saveexec_b32 s5, s2
	s_cbranch_execz .LBB55_17
; %bb.14:
	v_lshl_add_u32 v7, v0, 2, 0x120
	v_mov_b32_e32 v6, 0
	v_mov_b32_e32 v8, v0
	s_mov_b32 s15, 0
	.p2align	6
.LBB55_15:                              ; =>This Inner Loop Header: Depth=1
	ds_read_b32 v9, v7
	v_add_nc_u32_e32 v8, 0x80, v8
	v_cmp_le_i32_e64 s3, s4, v8
	s_or_b32 s15, s3, s15
	s_waitcnt lgkmcnt(0)
	v_sub_f32_e32 v9, v9, v1
	v_mul_f32_e32 v9, 0x3fb8aa3b, v9
	v_exp_f32_e32 v9, v9
	ds_write_b32 v7, v9
	v_add_f32_e32 v6, v6, v9
	v_add_nc_u32_e32 v7, 0x200, v7
	s_andn2_b32 exec_lo, exec_lo, s15
	s_cbranch_execnz .LBB55_15
; %bb.16:
	s_or_b32 exec_lo, exec_lo, s15
.LBB55_17:
	s_or_b32 exec_lo, exec_lo, s5
	ds_bpermute_b32 v2, v2, v6
	s_waitcnt lgkmcnt(0)
	v_add_f32_e32 v2, v6, v2
	ds_bpermute_b32 v3, v3, v2
	s_waitcnt lgkmcnt(0)
	v_add_f32_e32 v2, v2, v3
	;; [unrolled: 3-line block ×5, first 2 shown]
	s_and_saveexec_b32 s3, vcc_lo
; %bb.18:
	ds_write_b32 v5, v2 offset:272
; %bb.19:
	s_or_b32 exec_lo, exec_lo, s3
	s_waitcnt lgkmcnt(0)
	s_barrier
	buffer_gl0_inv
	s_and_saveexec_b32 s3, s1
; %bb.20:
	ds_read_b32 v2, v68 offset:272
; %bb.21:
	s_or_b32 exec_lo, exec_lo, s3
	s_waitcnt lgkmcnt(0)
	ds_bpermute_b32 v3, v75, v2
	s_waitcnt lgkmcnt(0)
	v_add_f32_e32 v2, v2, v3
	ds_bpermute_b32 v3, v74, v2
	s_waitcnt lgkmcnt(0)
	v_add_f32_e32 v2, v2, v3
	v_mov_b32_e32 v3, 0
	ds_bpermute_b32 v2, v3, v2
	s_and_saveexec_b32 s1, s2
	s_cbranch_execz .LBB55_24
; %bb.22:
	s_waitcnt lgkmcnt(0)
	v_add_f32_e32 v3, 0x358637bd, v2
	s_mov_b32 s2, 0
	v_div_scale_f32 v5, null, v3, v3, 1.0
	v_div_scale_f32 v8, vcc_lo, 1.0, v3, 1.0
	v_rcp_f32_e32 v6, v5
	v_fma_f32 v7, -v5, v6, 1.0
	v_fmac_f32_e32 v6, v7, v6
	v_mul_f32_e32 v7, v8, v6
	v_fma_f32 v9, -v5, v7, v8
	v_fmac_f32_e32 v7, v9, v6
	v_fma_f32 v5, -v5, v7, v8
	v_div_fmas_f32 v5, v5, v6, v7
	v_div_fixup_f32 v3, v5, v3, 1.0
	v_mov_b32_e32 v5, v0
.LBB55_23:                              ; =>This Inner Loop Header: Depth=1
	ds_read_b32 v6, v4
	v_add_nc_u32_e32 v5, 0x80, v5
	v_cmp_le_i32_e32 vcc_lo, s4, v5
	s_or_b32 s2, vcc_lo, s2
	s_waitcnt lgkmcnt(0)
	v_mul_f32_e32 v6, v3, v6
	ds_write_b32 v4, v6
	v_add_nc_u32_e32 v4, 0x200, v4
	s_andn2_b32 exec_lo, exec_lo, s2
	s_cbranch_execnz .LBB55_23
.LBB55_24:
	s_or_b32 exec_lo, exec_lo, s1
	s_mul_i32 s1, s7, s24
	s_waitcnt lgkmcnt(0)
	s_mul_i32 s4, s1, s9
	s_mov_b32 s1, exec_lo
	s_barrier
	buffer_gl0_inv
	v_cmpx_eq_u32_e32 0, v0
	s_cbranch_execz .LBB55_26
; %bb.25:
	s_ashr_i32 s5, s4, 31
	s_mul_i32 s34, s7, s6
	s_lshl_b64 s[2:3], s[4:5], 2
	v_mov_b32_e32 v3, 0
	s_add_u32 s5, s18, s2
	s_addc_u32 s6, s19, s3
	s_ashr_i32 s35, s34, 31
	s_lshl_b64 s[18:19], s[34:35], 2
	s_add_u32 s5, s5, s18
	s_addc_u32 s6, s6, s19
	s_ashr_i32 s9, s8, 31
	s_lshl_b64 s[34:35], s[8:9], 2
	s_add_u32 s36, s5, s34
	s_addc_u32 s37, s6, s35
	s_add_u32 s2, s16, s2
	s_addc_u32 s3, s17, s3
	;; [unrolled: 2-line block ×4, first 2 shown]
	global_store_dword v3, v1, s[36:37]
	global_store_dword v3, v2, s[2:3]
.LBB55_26:
	s_or_b32 exec_lo, exec_lo, s1
	v_mov_b32_e32 v91, 0
	v_and_b32_e32 v77, 7, v0
	v_mov_b32_e32 v93, 0
	v_mov_b32_e32 v92, 0
	v_mov_b32_e32 v90, 0
	v_mov_b32_e32 v89, 0
	v_mov_b32_e32 v88, 0
	v_mov_b32_e32 v87, 0
	v_mov_b32_e32 v86, 0
	v_mov_b32_e32 v85, 0
	v_mov_b32_e32 v84, 0
	v_mov_b32_e32 v83, 0
	v_mov_b32_e32 v82, 0
	v_mov_b32_e32 v81, 0
	v_mov_b32_e32 v80, 0
	v_mov_b32_e32 v79, 0
	v_mov_b32_e32 v78, 0
	s_and_saveexec_b32 s5, s0
	s_cbranch_execz .LBB55_62
; %bb.27:
	v_lshlrev_b32_e32 v1, 2, v0
	s_ashr_i32 s15, s14, 31
	v_lshlrev_b32_e32 v2, 4, v77
	v_and_b32_e32 v3, 0x1f0, v67
	v_lshl_add_u32 v4, v72, 5, s30
	v_and_b32_e32 v1, 28, v1
	s_lshl_b64 s[0:1], s[14:15], 2
	v_lshl_or_b32 v5, v72, 7, v2
	s_add_u32 s0, s26, s0
	s_addc_u32 s1, s27, s1
	v_add_co_u32 v94, s0, s0, v3
	v_add3_u32 v96, v4, v1, 3
	v_lshlrev_b64 v[1:2], 2, v[69:70]
	v_add_co_ci_u32_e64 v95, null, s1, 0, s0
	s_lshl_b64 s[0:1], s[28:29], 2
	s_add_i32 s12, s12, -1
	s_add_u32 s0, s22, s0
	s_addc_u32 s1, s23, s1
	v_add_co_u32 v70, vcc_lo, s0, v1
	v_mov_b32_e32 v78, 0
	v_add_nc_u32_e32 v97, 0x120, v5
	v_add_co_ci_u32_e64 v71, null, s1, v2, vcc_lo
	v_mov_b32_e32 v79, 0
	v_mov_b32_e32 v80, 0
	;; [unrolled: 1-line block ×15, first 2 shown]
	s_mov_b32 s9, s13
	s_mov_b32 s6, 0
	s_branch .LBB55_29
.LBB55_28:                              ;   in Loop: Header=BB55_29 Depth=1
	s_or_b32 exec_lo, exec_lo, s0
	s_waitcnt vmcnt(1) lgkmcnt(0)
	v_mul_f32_e32 v65, v1, v65
	v_mul_f32_e32 v61, v1, v61
	;; [unrolled: 1-line block ×15, first 2 shown]
	s_waitcnt vmcnt(0)
	v_mul_f32_e32 v1, v1, v53
	v_fmac_f32_e32 v65, v2, v66
	v_fmac_f32_e32 v61, v2, v62
	v_fmac_f32_e32 v57, v2, v58
	v_fmac_f32_e32 v49, v2, v50
	v_fmac_f32_e32 v45, v2, v46
	v_fmac_f32_e32 v41, v2, v42
	v_fmac_f32_e32 v37, v2, v38
	v_fmac_f32_e32 v33, v2, v34
	v_fmac_f32_e32 v29, v2, v30
	v_fmac_f32_e32 v25, v2, v26
	v_fmac_f32_e32 v21, v2, v22
	v_fmac_f32_e32 v17, v2, v18
	v_fmac_f32_e32 v13, v2, v14
	v_fmac_f32_e32 v9, v2, v10
	v_fmac_f32_e32 v5, v2, v6
	v_fmac_f32_e32 v1, v2, v54
	v_fmac_f32_e32 v65, v3, v67
	v_fmac_f32_e32 v61, v3, v63
	v_fmac_f32_e32 v57, v3, v59
	v_fmac_f32_e32 v49, v3, v51
	v_fmac_f32_e32 v45, v3, v47
	v_fmac_f32_e32 v41, v3, v43
	v_fmac_f32_e32 v37, v3, v39
	v_fmac_f32_e32 v33, v3, v35
	v_fmac_f32_e32 v29, v3, v31
	v_fmac_f32_e32 v25, v3, v27
	v_fmac_f32_e32 v21, v3, v23
	v_fmac_f32_e32 v17, v3, v19
	v_fmac_f32_e32 v13, v3, v15
	v_fmac_f32_e32 v9, v3, v11
	v_fmac_f32_e32 v5, v3, v7
	v_fmac_f32_e32 v1, v3, v55
	v_add_nc_u32_e32 v69, 4, v69
	v_fmac_f32_e32 v65, v4, v68
	v_fmac_f32_e32 v61, v4, v64
	;; [unrolled: 1-line block ×16, first 2 shown]
	v_cmp_le_i32_e32 vcc_lo, s11, v69
	v_add_co_u32 v70, s0, v70, 16
	v_add_f32_e32 v79, v79, v65
	v_add_f32_e32 v80, v80, v61
	;; [unrolled: 1-line block ×16, first 2 shown]
	v_add_nc_u32_e32 v96, 0x80, v96
	v_add_nc_u32_e32 v97, 0x200, v97
	v_add_co_ci_u32_e64 v71, null, 0, v71, s0
	s_or_b32 s6, vcc_lo, s6
	s_andn2_b32 exec_lo, exec_lo, s6
	s_cbranch_execz .LBB55_61
.LBB55_29:                              ; =>This Inner Loop Header: Depth=1
	global_load_dword v1, v[70:71], off
	v_add_nc_u32_e32 v98, -3, v96
	v_add_nc_u32_e32 v100, -2, v96
	;; [unrolled: 1-line block ×3, first 2 shown]
	s_waitcnt vmcnt(0)
	v_mad_i64_i32 v[1:2], null, v1, s9, 0
	v_lshlrev_b64 v[1:2], 2, v[1:2]
	v_add_co_u32 v53, vcc_lo, v94, v1
	v_add_co_ci_u32_e64 v54, null, v95, v2, vcc_lo
	ds_read_b128 v[1:4], v97
	v_cmp_eq_u32_e32 vcc_lo, s12, v69
	global_load_dwordx4 v[5:8], v[53:54], off
	s_and_saveexec_b32 s1, vcc_lo
	s_cbranch_execnz .LBB55_48
; %bb.30:                               ;   in Loop: Header=BB55_29 Depth=1
	s_or_b32 exec_lo, exec_lo, s1
	global_load_dwordx4 v[9:12], v[53:54], off offset:512
	s_and_saveexec_b32 s1, vcc_lo
	s_cbranch_execnz .LBB55_49
.LBB55_31:                              ;   in Loop: Header=BB55_29 Depth=1
	s_or_b32 exec_lo, exec_lo, s1
	global_load_dwordx4 v[13:16], v[53:54], off offset:1024
	s_and_saveexec_b32 s1, vcc_lo
	s_cbranch_execnz .LBB55_50
.LBB55_32:                              ;   in Loop: Header=BB55_29 Depth=1
	s_or_b32 exec_lo, exec_lo, s1
	global_load_dwordx4 v[17:20], v[53:54], off offset:1536
	s_and_saveexec_b32 s1, vcc_lo
	s_cbranch_execz .LBB55_34
.LBB55_33:                              ;   in Loop: Header=BB55_29 Depth=1
	v_cmp_gt_i32_e64 s0, s25, v98
	s_waitcnt vmcnt(0)
	v_cndmask_b32_e64 v17, 0, v17, s0
	v_cmp_gt_i32_e64 s0, s25, v100
	v_cndmask_b32_e64 v18, 0, v18, s0
	v_cmp_gt_i32_e64 s0, s25, v99
	;; [unrolled: 2-line block ×3, first 2 shown]
	v_cndmask_b32_e64 v20, 0, v20, s0
.LBB55_34:                              ;   in Loop: Header=BB55_29 Depth=1
	s_or_b32 exec_lo, exec_lo, s1
	v_add_co_u32 v33, s0, 0x800, v53
	v_add_co_ci_u32_e64 v34, null, 0, v54, s0
	global_load_dwordx4 v[21:24], v[33:34], off
	s_and_saveexec_b32 s1, vcc_lo
	s_cbranch_execnz .LBB55_51
; %bb.35:                               ;   in Loop: Header=BB55_29 Depth=1
	s_or_b32 exec_lo, exec_lo, s1
	global_load_dwordx4 v[25:28], v[33:34], off offset:512
	s_and_saveexec_b32 s1, vcc_lo
	s_cbranch_execnz .LBB55_52
.LBB55_36:                              ;   in Loop: Header=BB55_29 Depth=1
	s_or_b32 exec_lo, exec_lo, s1
	global_load_dwordx4 v[29:32], v[33:34], off offset:1024
	s_and_saveexec_b32 s1, vcc_lo
	s_cbranch_execnz .LBB55_53
.LBB55_37:                              ;   in Loop: Header=BB55_29 Depth=1
	s_or_b32 exec_lo, exec_lo, s1
	global_load_dwordx4 v[33:36], v[33:34], off offset:1536
	s_and_saveexec_b32 s1, vcc_lo
	s_cbranch_execz .LBB55_39
.LBB55_38:                              ;   in Loop: Header=BB55_29 Depth=1
	v_cmp_gt_i32_e64 s0, s25, v98
	s_waitcnt vmcnt(0)
	v_cndmask_b32_e64 v33, 0, v33, s0
	v_cmp_gt_i32_e64 s0, s25, v100
	v_cndmask_b32_e64 v34, 0, v34, s0
	v_cmp_gt_i32_e64 s0, s25, v99
	;; [unrolled: 2-line block ×3, first 2 shown]
	v_cndmask_b32_e64 v36, 0, v36, s0
.LBB55_39:                              ;   in Loop: Header=BB55_29 Depth=1
	s_or_b32 exec_lo, exec_lo, s1
	v_add_co_u32 v49, s0, 0x1000, v53
	v_add_co_ci_u32_e64 v50, null, 0, v54, s0
	global_load_dwordx4 v[37:40], v[49:50], off
	s_and_saveexec_b32 s1, vcc_lo
	s_cbranch_execnz .LBB55_54
; %bb.40:                               ;   in Loop: Header=BB55_29 Depth=1
	s_or_b32 exec_lo, exec_lo, s1
	global_load_dwordx4 v[41:44], v[49:50], off offset:512
	s_and_saveexec_b32 s1, vcc_lo
	s_cbranch_execnz .LBB55_55
.LBB55_41:                              ;   in Loop: Header=BB55_29 Depth=1
	s_or_b32 exec_lo, exec_lo, s1
	global_load_dwordx4 v[45:48], v[49:50], off offset:1024
	s_and_saveexec_b32 s1, vcc_lo
	s_cbranch_execnz .LBB55_56
.LBB55_42:                              ;   in Loop: Header=BB55_29 Depth=1
	s_or_b32 exec_lo, exec_lo, s1
	global_load_dwordx4 v[49:52], v[49:50], off offset:1536
	s_and_saveexec_b32 s1, vcc_lo
	s_cbranch_execz .LBB55_44
.LBB55_43:                              ;   in Loop: Header=BB55_29 Depth=1
	v_cmp_gt_i32_e64 s0, s25, v98
	s_waitcnt vmcnt(0)
	v_cndmask_b32_e64 v49, 0, v49, s0
	v_cmp_gt_i32_e64 s0, s25, v100
	v_cndmask_b32_e64 v50, 0, v50, s0
	v_cmp_gt_i32_e64 s0, s25, v99
	;; [unrolled: 2-line block ×3, first 2 shown]
	v_cndmask_b32_e64 v52, 0, v52, s0
.LBB55_44:                              ;   in Loop: Header=BB55_29 Depth=1
	s_or_b32 exec_lo, exec_lo, s1
	v_add_co_u32 v53, s0, 0x1800, v53
	v_add_co_ci_u32_e64 v54, null, 0, v54, s0
	global_load_dwordx4 v[57:60], v[53:54], off
	s_and_saveexec_b32 s1, vcc_lo
	s_cbranch_execnz .LBB55_57
; %bb.45:                               ;   in Loop: Header=BB55_29 Depth=1
	s_or_b32 exec_lo, exec_lo, s1
	global_load_dwordx4 v[61:64], v[53:54], off offset:512
	s_and_saveexec_b32 s1, vcc_lo
	s_cbranch_execnz .LBB55_58
.LBB55_46:                              ;   in Loop: Header=BB55_29 Depth=1
	s_or_b32 exec_lo, exec_lo, s1
	global_load_dwordx4 v[65:68], v[53:54], off offset:1024
	s_and_saveexec_b32 s13, vcc_lo
	s_cbranch_execnz .LBB55_59
.LBB55_47:                              ;   in Loop: Header=BB55_29 Depth=1
	s_or_b32 exec_lo, exec_lo, s13
	global_load_dwordx4 v[53:56], v[53:54], off offset:1536
	s_and_saveexec_b32 s0, vcc_lo
	s_cbranch_execz .LBB55_28
	s_branch .LBB55_60
.LBB55_48:                              ;   in Loop: Header=BB55_29 Depth=1
	v_cmp_gt_i32_e64 s0, s25, v98
	s_waitcnt vmcnt(0)
	v_cndmask_b32_e64 v5, 0, v5, s0
	v_cmp_gt_i32_e64 s0, s25, v100
	v_cndmask_b32_e64 v6, 0, v6, s0
	v_cmp_gt_i32_e64 s0, s25, v99
	;; [unrolled: 2-line block ×3, first 2 shown]
	v_cndmask_b32_e64 v8, 0, v8, s0
	s_or_b32 exec_lo, exec_lo, s1
	global_load_dwordx4 v[9:12], v[53:54], off offset:512
	s_and_saveexec_b32 s1, vcc_lo
	s_cbranch_execz .LBB55_31
.LBB55_49:                              ;   in Loop: Header=BB55_29 Depth=1
	v_cmp_gt_i32_e64 s0, s25, v98
	s_waitcnt vmcnt(0)
	v_cndmask_b32_e64 v9, 0, v9, s0
	v_cmp_gt_i32_e64 s0, s25, v100
	v_cndmask_b32_e64 v10, 0, v10, s0
	v_cmp_gt_i32_e64 s0, s25, v99
	;; [unrolled: 2-line block ×3, first 2 shown]
	v_cndmask_b32_e64 v12, 0, v12, s0
	s_or_b32 exec_lo, exec_lo, s1
	global_load_dwordx4 v[13:16], v[53:54], off offset:1024
	s_and_saveexec_b32 s1, vcc_lo
	s_cbranch_execz .LBB55_32
.LBB55_50:                              ;   in Loop: Header=BB55_29 Depth=1
	v_cmp_gt_i32_e64 s0, s25, v98
	s_waitcnt vmcnt(0)
	v_cndmask_b32_e64 v13, 0, v13, s0
	v_cmp_gt_i32_e64 s0, s25, v100
	v_cndmask_b32_e64 v14, 0, v14, s0
	v_cmp_gt_i32_e64 s0, s25, v99
	;; [unrolled: 2-line block ×3, first 2 shown]
	v_cndmask_b32_e64 v16, 0, v16, s0
	s_or_b32 exec_lo, exec_lo, s1
	global_load_dwordx4 v[17:20], v[53:54], off offset:1536
	s_and_saveexec_b32 s1, vcc_lo
	s_cbranch_execnz .LBB55_33
	s_branch .LBB55_34
.LBB55_51:                              ;   in Loop: Header=BB55_29 Depth=1
	v_cmp_gt_i32_e64 s0, s25, v98
	s_waitcnt vmcnt(0)
	v_cndmask_b32_e64 v21, 0, v21, s0
	v_cmp_gt_i32_e64 s0, s25, v100
	v_cndmask_b32_e64 v22, 0, v22, s0
	v_cmp_gt_i32_e64 s0, s25, v99
	v_cndmask_b32_e64 v23, 0, v23, s0
	v_cmp_gt_i32_e64 s0, s25, v96
	v_cndmask_b32_e64 v24, 0, v24, s0
	s_or_b32 exec_lo, exec_lo, s1
	global_load_dwordx4 v[25:28], v[33:34], off offset:512
	s_and_saveexec_b32 s1, vcc_lo
	s_cbranch_execz .LBB55_36
.LBB55_52:                              ;   in Loop: Header=BB55_29 Depth=1
	v_cmp_gt_i32_e64 s0, s25, v98
	s_waitcnt vmcnt(0)
	v_cndmask_b32_e64 v25, 0, v25, s0
	v_cmp_gt_i32_e64 s0, s25, v100
	v_cndmask_b32_e64 v26, 0, v26, s0
	v_cmp_gt_i32_e64 s0, s25, v99
	;; [unrolled: 2-line block ×3, first 2 shown]
	v_cndmask_b32_e64 v28, 0, v28, s0
	s_or_b32 exec_lo, exec_lo, s1
	global_load_dwordx4 v[29:32], v[33:34], off offset:1024
	s_and_saveexec_b32 s1, vcc_lo
	s_cbranch_execz .LBB55_37
.LBB55_53:                              ;   in Loop: Header=BB55_29 Depth=1
	v_cmp_gt_i32_e64 s0, s25, v98
	s_waitcnt vmcnt(0)
	v_cndmask_b32_e64 v29, 0, v29, s0
	v_cmp_gt_i32_e64 s0, s25, v100
	v_cndmask_b32_e64 v30, 0, v30, s0
	v_cmp_gt_i32_e64 s0, s25, v99
	;; [unrolled: 2-line block ×3, first 2 shown]
	v_cndmask_b32_e64 v32, 0, v32, s0
	s_or_b32 exec_lo, exec_lo, s1
	global_load_dwordx4 v[33:36], v[33:34], off offset:1536
	s_and_saveexec_b32 s1, vcc_lo
	s_cbranch_execnz .LBB55_38
	s_branch .LBB55_39
.LBB55_54:                              ;   in Loop: Header=BB55_29 Depth=1
	v_cmp_gt_i32_e64 s0, s25, v98
	s_waitcnt vmcnt(0)
	v_cndmask_b32_e64 v37, 0, v37, s0
	v_cmp_gt_i32_e64 s0, s25, v100
	v_cndmask_b32_e64 v38, 0, v38, s0
	v_cmp_gt_i32_e64 s0, s25, v99
	;; [unrolled: 2-line block ×3, first 2 shown]
	v_cndmask_b32_e64 v40, 0, v40, s0
	s_or_b32 exec_lo, exec_lo, s1
	global_load_dwordx4 v[41:44], v[49:50], off offset:512
	s_and_saveexec_b32 s1, vcc_lo
	s_cbranch_execz .LBB55_41
.LBB55_55:                              ;   in Loop: Header=BB55_29 Depth=1
	v_cmp_gt_i32_e64 s0, s25, v98
	s_waitcnt vmcnt(0)
	v_cndmask_b32_e64 v41, 0, v41, s0
	v_cmp_gt_i32_e64 s0, s25, v100
	v_cndmask_b32_e64 v42, 0, v42, s0
	v_cmp_gt_i32_e64 s0, s25, v99
	;; [unrolled: 2-line block ×3, first 2 shown]
	v_cndmask_b32_e64 v44, 0, v44, s0
	s_or_b32 exec_lo, exec_lo, s1
	global_load_dwordx4 v[45:48], v[49:50], off offset:1024
	s_and_saveexec_b32 s1, vcc_lo
	s_cbranch_execz .LBB55_42
.LBB55_56:                              ;   in Loop: Header=BB55_29 Depth=1
	v_cmp_gt_i32_e64 s0, s25, v98
	s_waitcnt vmcnt(0)
	v_cndmask_b32_e64 v45, 0, v45, s0
	v_cmp_gt_i32_e64 s0, s25, v100
	v_cndmask_b32_e64 v46, 0, v46, s0
	v_cmp_gt_i32_e64 s0, s25, v99
	;; [unrolled: 2-line block ×3, first 2 shown]
	v_cndmask_b32_e64 v48, 0, v48, s0
	s_or_b32 exec_lo, exec_lo, s1
	global_load_dwordx4 v[49:52], v[49:50], off offset:1536
	s_and_saveexec_b32 s1, vcc_lo
	s_cbranch_execnz .LBB55_43
	s_branch .LBB55_44
.LBB55_57:                              ;   in Loop: Header=BB55_29 Depth=1
	v_cmp_gt_i32_e64 s0, s25, v98
	s_waitcnt vmcnt(0)
	v_cndmask_b32_e64 v57, 0, v57, s0
	v_cmp_gt_i32_e64 s0, s25, v100
	v_cndmask_b32_e64 v58, 0, v58, s0
	v_cmp_gt_i32_e64 s0, s25, v99
	;; [unrolled: 2-line block ×3, first 2 shown]
	v_cndmask_b32_e64 v60, 0, v60, s0
	s_or_b32 exec_lo, exec_lo, s1
	global_load_dwordx4 v[61:64], v[53:54], off offset:512
	s_and_saveexec_b32 s1, vcc_lo
	s_cbranch_execz .LBB55_46
.LBB55_58:                              ;   in Loop: Header=BB55_29 Depth=1
	v_cmp_gt_i32_e64 s0, s25, v98
	s_waitcnt vmcnt(0)
	v_cndmask_b32_e64 v61, 0, v61, s0
	v_cmp_gt_i32_e64 s0, s25, v100
	v_cndmask_b32_e64 v62, 0, v62, s0
	v_cmp_gt_i32_e64 s0, s25, v99
	;; [unrolled: 2-line block ×3, first 2 shown]
	v_cndmask_b32_e64 v64, 0, v64, s0
	s_or_b32 exec_lo, exec_lo, s1
	global_load_dwordx4 v[65:68], v[53:54], off offset:1024
	s_and_saveexec_b32 s13, vcc_lo
	s_cbranch_execz .LBB55_47
.LBB55_59:                              ;   in Loop: Header=BB55_29 Depth=1
	v_cmp_gt_i32_e64 s0, s25, v98
	v_cmp_gt_i32_e64 s1, s25, v100
	;; [unrolled: 1-line block ×4, first 2 shown]
	s_waitcnt vmcnt(0)
	v_cndmask_b32_e64 v65, 0, v65, s0
	v_cndmask_b32_e64 v66, 0, v66, s1
	;; [unrolled: 1-line block ×4, first 2 shown]
	s_or_b32 exec_lo, exec_lo, s13
	global_load_dwordx4 v[53:56], v[53:54], off offset:1536
	s_and_saveexec_b32 s0, vcc_lo
	s_cbranch_execz .LBB55_28
.LBB55_60:                              ;   in Loop: Header=BB55_29 Depth=1
	v_cmp_gt_i32_e32 vcc_lo, s25, v98
	s_waitcnt vmcnt(0)
	v_cndmask_b32_e32 v53, 0, v53, vcc_lo
	v_cmp_gt_i32_e32 vcc_lo, s25, v100
	v_cndmask_b32_e32 v54, 0, v54, vcc_lo
	v_cmp_gt_i32_e32 vcc_lo, s25, v99
	;; [unrolled: 2-line block ×3, first 2 shown]
	v_cndmask_b32_e32 v56, 0, v56, vcc_lo
	s_branch .LBB55_28
.LBB55_61:
	s_or_b32 exec_lo, exec_lo, s6
.LBB55_62:
	s_or_b32 exec_lo, exec_lo, s5
	ds_bpermute_b32 v1, v76, v91
	ds_bpermute_b32 v5, v76, v89
	ds_bpermute_b32 v6, v76, v88
	ds_bpermute_b32 v10, v76, v84
	ds_bpermute_b32 v2, v76, v93
	ds_bpermute_b32 v3, v76, v92
	ds_bpermute_b32 v4, v76, v90
	ds_bpermute_b32 v7, v76, v87
	ds_bpermute_b32 v8, v76, v86
	ds_bpermute_b32 v9, v76, v85
	ds_bpermute_b32 v11, v76, v83
	ds_bpermute_b32 v12, v76, v82
	ds_bpermute_b32 v13, v76, v81
	ds_bpermute_b32 v14, v76, v80
	ds_bpermute_b32 v15, v76, v79
	ds_bpermute_b32 v16, v76, v78
	s_mov_b32 s0, exec_lo
	s_waitcnt lgkmcnt(0)
	s_waitcnt_vscnt null, 0x0
	s_barrier
	buffer_gl0_inv
	v_add_f32_e32 v1, v91, v1
	v_add_f32_e32 v5, v89, v5
	;; [unrolled: 1-line block ×5, first 2 shown]
	ds_bpermute_b32 v17, v75, v1
	ds_bpermute_b32 v21, v75, v5
	;; [unrolled: 1-line block ×3, first 2 shown]
	v_add_f32_e32 v3, v92, v3
	v_add_f32_e32 v4, v90, v4
	;; [unrolled: 1-line block ×10, first 2 shown]
	ds_bpermute_b32 v26, v75, v10
	v_add_f32_e32 v16, v78, v16
	ds_bpermute_b32 v18, v75, v2
	ds_bpermute_b32 v19, v75, v3
	;; [unrolled: 1-line block ×8, first 2 shown]
	s_waitcnt lgkmcnt(11)
	v_add_f32_e32 v1, v1, v17
	ds_bpermute_b32 v17, v75, v13
	s_waitcnt lgkmcnt(11)
	v_add_f32_e32 v5, v5, v21
	ds_bpermute_b32 v21, v75, v14
	;; [unrolled: 3-line block ×3, first 2 shown]
	ds_bpermute_b32 v29, v75, v16
	ds_bpermute_b32 v30, v74, v6
	s_waitcnt lgkmcnt(13)
	v_add_f32_e32 v10, v10, v26
	s_waitcnt lgkmcnt(12)
	v_add_f32_e32 v2, v2, v18
	;; [unrolled: 2-line block ×9, first 2 shown]
	ds_bpermute_b32 v18, v74, v1
	s_waitcnt lgkmcnt(5)
	v_add_f32_e32 v13, v13, v17
	ds_bpermute_b32 v17, v74, v10
	s_waitcnt lgkmcnt(5)
	v_add_f32_e32 v14, v14, v21
	;; [unrolled: 3-line block ×3, first 2 shown]
	s_waitcnt lgkmcnt(4)
	v_add_f32_e32 v16, v16, v29
	ds_bpermute_b32 v20, v74, v3
	ds_bpermute_b32 v23, v74, v4
	;; [unrolled: 1-line block ×12, first 2 shown]
	s_waitcnt lgkmcnt(15)
	v_add_f32_e32 v6, v6, v30
	s_waitcnt lgkmcnt(14)
	v_add_f32_e32 v1, v1, v18
	;; [unrolled: 2-line block ×3, first 2 shown]
	v_lshrrev_b32_e32 v17, 3, v73
	s_waitcnt lgkmcnt(12)
	v_add_f32_e32 v2, v2, v19
	v_lshlrev_b32_e32 v19, 8, v72
	s_waitcnt lgkmcnt(11)
	v_add_f32_e32 v3, v3, v20
	s_waitcnt lgkmcnt(10)
	v_add_f32_e32 v4, v4, v23
	;; [unrolled: 2-line block ×10, first 2 shown]
	v_and_b32_e32 v20, 0x3c7, v0
	s_waitcnt lgkmcnt(1)
	v_add_f32_e32 v15, v15, v29
	s_waitcnt lgkmcnt(0)
	v_add_f32_e32 v16, v16, v32
	v_lshl_add_u32 v18, v17, 2, 0x120
	v_cmpx_eq_u32_e32 64, v20
	s_cbranch_execz .LBB55_64
; %bb.63:
	v_add_nc_u32_e32 v20, v18, v19
	v_add_nc_u32_e32 v21, 0xfffffe00, v20
	;; [unrolled: 1-line block ×7, first 2 shown]
	ds_write_b32 v21, v1
	ds_write_b32 v22, v2
	;; [unrolled: 1-line block ×6, first 2 shown]
	v_add_nc_u32_e32 v21, 0xfffffe60, v20
	v_add_nc_u32_e32 v22, 0xfffffe70, v20
	;; [unrolled: 1-line block ×5, first 2 shown]
	ds_write_b32 v21, v7
	ds_write_b32 v22, v8
	ds_write_b32 v23, v9
	ds_write_b32 v24, v10
	ds_write_b32 v25, v11
	v_add_nc_u32_e32 v21, 0xfffffeb0, v20
	v_add_nc_u32_e32 v22, 0xfffffec0, v20
	;; [unrolled: 1-line block ×5, first 2 shown]
	ds_write_b32 v21, v12
	ds_write_b32 v22, v13
	;; [unrolled: 1-line block ×5, first 2 shown]
.LBB55_64:
	s_or_b32 exec_lo, exec_lo, s0
	v_lshlrev_b32_e32 v17, 2, v17
	s_mov_b32 s1, exec_lo
	v_cmp_eq_u32_e32 vcc_lo, 0, v77
	s_waitcnt lgkmcnt(0)
	s_barrier
	v_add3_u32 v17, 0x120, v19, v17
	buffer_gl0_inv
	v_cmpx_gt_u32_e32 64, v0
	s_cbranch_execz .LBB55_83
; %bb.65:
	s_and_saveexec_b32 s0, vcc_lo
	s_cbranch_execnz .LBB55_107
; %bb.66:
	s_or_b32 exec_lo, exec_lo, s0
	s_and_saveexec_b32 s0, vcc_lo
	s_cbranch_execnz .LBB55_108
.LBB55_67:
	s_or_b32 exec_lo, exec_lo, s0
	s_and_saveexec_b32 s0, vcc_lo
	s_cbranch_execnz .LBB55_109
.LBB55_68:
	s_or_b32 exec_lo, exec_lo, s0
	s_and_saveexec_b32 s0, vcc_lo
	s_cbranch_execnz .LBB55_110
.LBB55_69:
	s_or_b32 exec_lo, exec_lo, s0
	s_and_saveexec_b32 s0, vcc_lo
	s_cbranch_execnz .LBB55_111
.LBB55_70:
	s_or_b32 exec_lo, exec_lo, s0
	s_and_saveexec_b32 s0, vcc_lo
	s_cbranch_execnz .LBB55_112
.LBB55_71:
	s_or_b32 exec_lo, exec_lo, s0
	s_and_saveexec_b32 s0, vcc_lo
	s_cbranch_execnz .LBB55_113
.LBB55_72:
	s_or_b32 exec_lo, exec_lo, s0
	s_and_saveexec_b32 s0, vcc_lo
	s_cbranch_execnz .LBB55_114
.LBB55_73:
	s_or_b32 exec_lo, exec_lo, s0
	s_and_saveexec_b32 s0, vcc_lo
	s_cbranch_execnz .LBB55_115
.LBB55_74:
	s_or_b32 exec_lo, exec_lo, s0
	s_and_saveexec_b32 s0, vcc_lo
	s_cbranch_execnz .LBB55_116
.LBB55_75:
	s_or_b32 exec_lo, exec_lo, s0
	s_and_saveexec_b32 s0, vcc_lo
	s_cbranch_execnz .LBB55_117
.LBB55_76:
	s_or_b32 exec_lo, exec_lo, s0
	s_and_saveexec_b32 s0, vcc_lo
	s_cbranch_execnz .LBB55_118
.LBB55_77:
	s_or_b32 exec_lo, exec_lo, s0
	s_and_saveexec_b32 s0, vcc_lo
	s_cbranch_execnz .LBB55_119
.LBB55_78:
	s_or_b32 exec_lo, exec_lo, s0
	s_and_saveexec_b32 s0, vcc_lo
	s_cbranch_execnz .LBB55_120
.LBB55_79:
	s_or_b32 exec_lo, exec_lo, s0
	s_and_saveexec_b32 s0, vcc_lo
	s_cbranch_execnz .LBB55_121
.LBB55_80:
	s_or_b32 exec_lo, exec_lo, s0
	s_and_saveexec_b32 s0, vcc_lo
	s_cbranch_execz .LBB55_82
.LBB55_81:
	ds_read_b32 v19, v17 offset:240
	s_waitcnt lgkmcnt(0)
	v_add_f32_e32 v16, v16, v19
.LBB55_82:
	s_or_b32 exec_lo, exec_lo, s0
.LBB55_83:
	s_or_b32 exec_lo, exec_lo, s1
	v_and_b32_e32 v19, 0x3e7, v0
	s_mov_b32 s1, exec_lo
	s_barrier
	buffer_gl0_inv
	v_cmpx_eq_u32_e32 32, v19
	s_cbranch_execz .LBB55_85
; %bb.84:
	ds_write2_b32 v18, v1, v2 offset1:4
	ds_write2_b32 v18, v3, v4 offset0:8 offset1:12
	ds_write2_b32 v18, v5, v6 offset0:16 offset1:20
	;; [unrolled: 1-line block ×7, first 2 shown]
.LBB55_85:
	s_or_b32 exec_lo, exec_lo, s1
	s_mov_b32 s1, exec_lo
	s_waitcnt lgkmcnt(0)
	s_barrier
	buffer_gl0_inv
	v_cmpx_gt_u32_e32 32, v0
	s_cbranch_execz .LBB55_104
; %bb.86:
	s_and_saveexec_b32 s0, vcc_lo
	s_cbranch_execnz .LBB55_122
; %bb.87:
	s_or_b32 exec_lo, exec_lo, s0
	s_and_saveexec_b32 s0, vcc_lo
	s_cbranch_execnz .LBB55_123
.LBB55_88:
	s_or_b32 exec_lo, exec_lo, s0
	s_and_saveexec_b32 s0, vcc_lo
	s_cbranch_execnz .LBB55_124
.LBB55_89:
	s_or_b32 exec_lo, exec_lo, s0
	s_and_saveexec_b32 s0, vcc_lo
	s_cbranch_execnz .LBB55_125
.LBB55_90:
	s_or_b32 exec_lo, exec_lo, s0
	s_and_saveexec_b32 s0, vcc_lo
	s_cbranch_execnz .LBB55_126
.LBB55_91:
	s_or_b32 exec_lo, exec_lo, s0
	s_and_saveexec_b32 s0, vcc_lo
	s_cbranch_execnz .LBB55_127
.LBB55_92:
	s_or_b32 exec_lo, exec_lo, s0
	s_and_saveexec_b32 s0, vcc_lo
	s_cbranch_execnz .LBB55_128
.LBB55_93:
	s_or_b32 exec_lo, exec_lo, s0
	s_and_saveexec_b32 s0, vcc_lo
	s_cbranch_execnz .LBB55_129
.LBB55_94:
	s_or_b32 exec_lo, exec_lo, s0
	s_and_saveexec_b32 s0, vcc_lo
	s_cbranch_execnz .LBB55_130
.LBB55_95:
	s_or_b32 exec_lo, exec_lo, s0
	s_and_saveexec_b32 s0, vcc_lo
	s_cbranch_execnz .LBB55_131
.LBB55_96:
	s_or_b32 exec_lo, exec_lo, s0
	s_and_saveexec_b32 s0, vcc_lo
	s_cbranch_execnz .LBB55_132
.LBB55_97:
	s_or_b32 exec_lo, exec_lo, s0
	s_and_saveexec_b32 s0, vcc_lo
	s_cbranch_execnz .LBB55_133
.LBB55_98:
	s_or_b32 exec_lo, exec_lo, s0
	s_and_saveexec_b32 s0, vcc_lo
	s_cbranch_execnz .LBB55_134
.LBB55_99:
	s_or_b32 exec_lo, exec_lo, s0
	s_and_saveexec_b32 s0, vcc_lo
	s_cbranch_execnz .LBB55_135
.LBB55_100:
	s_or_b32 exec_lo, exec_lo, s0
	s_and_saveexec_b32 s0, vcc_lo
	s_cbranch_execnz .LBB55_136
.LBB55_101:
	s_or_b32 exec_lo, exec_lo, s0
	s_and_saveexec_b32 s0, vcc_lo
	s_cbranch_execz .LBB55_103
.LBB55_102:
	ds_read_b32 v17, v17 offset:240
	s_waitcnt lgkmcnt(0)
	v_add_f32_e32 v16, v16, v17
.LBB55_103:
	s_or_b32 exec_lo, exec_lo, s0
.LBB55_104:
	s_or_b32 exec_lo, exec_lo, s1
	s_barrier
	buffer_gl0_inv
	s_mov_b32 s0, exec_lo
	v_cmpx_eq_u32_e32 0, v19
	s_cbranch_execz .LBB55_106
; %bb.105:
	s_lshl_b32 s0, s4, 6
	s_mul_i32 s2, s7, s10
	s_ashr_i32 s1, s0, 31
	v_lshrrev_b32_e32 v0, 1, v0
	s_lshl_b64 s[0:1], s[0:1], 2
	s_add_u32 s4, s20, s0
	s_addc_u32 s5, s21, s1
	s_ashr_i32 s3, s2, 31
	s_lshl_b64 s[0:1], s[2:3], 2
	s_add_u32 s2, s4, s0
	s_addc_u32 s3, s5, s1
	s_lshl_b32 s0, s8, 6
	s_ashr_i32 s1, s0, 31
	s_lshl_b64 s[0:1], s[0:1], 2
	s_add_u32 s0, s2, s0
	s_addc_u32 s1, s3, s1
	global_store_dword v0, v1, s[0:1]
	global_store_dword v0, v2, s[0:1] offset:16
	global_store_dword v0, v3, s[0:1] offset:32
	;; [unrolled: 1-line block ×15, first 2 shown]
.LBB55_106:
	s_endpgm
.LBB55_107:
	ds_read_b32 v19, v17
	s_waitcnt lgkmcnt(0)
	v_add_f32_e32 v1, v1, v19
	s_or_b32 exec_lo, exec_lo, s0
	s_and_saveexec_b32 s0, vcc_lo
	s_cbranch_execz .LBB55_67
.LBB55_108:
	ds_read_b32 v19, v17 offset:16
	s_waitcnt lgkmcnt(0)
	v_add_f32_e32 v2, v2, v19
	s_or_b32 exec_lo, exec_lo, s0
	s_and_saveexec_b32 s0, vcc_lo
	s_cbranch_execz .LBB55_68
.LBB55_109:
	ds_read_b32 v19, v17 offset:32
	s_waitcnt lgkmcnt(0)
	v_add_f32_e32 v3, v3, v19
	s_or_b32 exec_lo, exec_lo, s0
	s_and_saveexec_b32 s0, vcc_lo
	s_cbranch_execz .LBB55_69
.LBB55_110:
	ds_read_b32 v19, v17 offset:48
	s_waitcnt lgkmcnt(0)
	v_add_f32_e32 v4, v4, v19
	s_or_b32 exec_lo, exec_lo, s0
	s_and_saveexec_b32 s0, vcc_lo
	s_cbranch_execz .LBB55_70
.LBB55_111:
	ds_read_b32 v19, v17 offset:64
	s_waitcnt lgkmcnt(0)
	v_add_f32_e32 v5, v5, v19
	s_or_b32 exec_lo, exec_lo, s0
	s_and_saveexec_b32 s0, vcc_lo
	s_cbranch_execz .LBB55_71
.LBB55_112:
	ds_read_b32 v19, v17 offset:80
	s_waitcnt lgkmcnt(0)
	v_add_f32_e32 v6, v6, v19
	s_or_b32 exec_lo, exec_lo, s0
	s_and_saveexec_b32 s0, vcc_lo
	s_cbranch_execz .LBB55_72
.LBB55_113:
	ds_read_b32 v19, v17 offset:96
	s_waitcnt lgkmcnt(0)
	v_add_f32_e32 v7, v7, v19
	s_or_b32 exec_lo, exec_lo, s0
	s_and_saveexec_b32 s0, vcc_lo
	s_cbranch_execz .LBB55_73
.LBB55_114:
	ds_read_b32 v19, v17 offset:112
	s_waitcnt lgkmcnt(0)
	v_add_f32_e32 v8, v8, v19
	s_or_b32 exec_lo, exec_lo, s0
	s_and_saveexec_b32 s0, vcc_lo
	s_cbranch_execz .LBB55_74
.LBB55_115:
	ds_read_b32 v19, v17 offset:128
	s_waitcnt lgkmcnt(0)
	v_add_f32_e32 v9, v9, v19
	s_or_b32 exec_lo, exec_lo, s0
	s_and_saveexec_b32 s0, vcc_lo
	s_cbranch_execz .LBB55_75
.LBB55_116:
	ds_read_b32 v19, v17 offset:144
	s_waitcnt lgkmcnt(0)
	v_add_f32_e32 v10, v10, v19
	s_or_b32 exec_lo, exec_lo, s0
	s_and_saveexec_b32 s0, vcc_lo
	s_cbranch_execz .LBB55_76
.LBB55_117:
	ds_read_b32 v19, v17 offset:160
	s_waitcnt lgkmcnt(0)
	v_add_f32_e32 v11, v11, v19
	s_or_b32 exec_lo, exec_lo, s0
	s_and_saveexec_b32 s0, vcc_lo
	s_cbranch_execz .LBB55_77
.LBB55_118:
	ds_read_b32 v19, v17 offset:176
	s_waitcnt lgkmcnt(0)
	v_add_f32_e32 v12, v12, v19
	s_or_b32 exec_lo, exec_lo, s0
	s_and_saveexec_b32 s0, vcc_lo
	s_cbranch_execz .LBB55_78
.LBB55_119:
	ds_read_b32 v19, v17 offset:192
	s_waitcnt lgkmcnt(0)
	v_add_f32_e32 v13, v13, v19
	s_or_b32 exec_lo, exec_lo, s0
	s_and_saveexec_b32 s0, vcc_lo
	s_cbranch_execz .LBB55_79
.LBB55_120:
	ds_read_b32 v19, v17 offset:208
	s_waitcnt lgkmcnt(0)
	v_add_f32_e32 v14, v14, v19
	s_or_b32 exec_lo, exec_lo, s0
	s_and_saveexec_b32 s0, vcc_lo
	s_cbranch_execz .LBB55_80
.LBB55_121:
	ds_read_b32 v19, v17 offset:224
	s_waitcnt lgkmcnt(0)
	v_add_f32_e32 v15, v15, v19
	s_or_b32 exec_lo, exec_lo, s0
	s_and_saveexec_b32 s0, vcc_lo
	s_cbranch_execnz .LBB55_81
	s_branch .LBB55_82
.LBB55_122:
	ds_read_b32 v18, v17
	s_waitcnt lgkmcnt(0)
	v_add_f32_e32 v1, v1, v18
	s_or_b32 exec_lo, exec_lo, s0
	s_and_saveexec_b32 s0, vcc_lo
	s_cbranch_execz .LBB55_88
.LBB55_123:
	ds_read_b32 v18, v17 offset:16
	s_waitcnt lgkmcnt(0)
	v_add_f32_e32 v2, v2, v18
	s_or_b32 exec_lo, exec_lo, s0
	s_and_saveexec_b32 s0, vcc_lo
	s_cbranch_execz .LBB55_89
.LBB55_124:
	ds_read_b32 v18, v17 offset:32
	s_waitcnt lgkmcnt(0)
	v_add_f32_e32 v3, v3, v18
	s_or_b32 exec_lo, exec_lo, s0
	s_and_saveexec_b32 s0, vcc_lo
	s_cbranch_execz .LBB55_90
.LBB55_125:
	ds_read_b32 v18, v17 offset:48
	s_waitcnt lgkmcnt(0)
	v_add_f32_e32 v4, v4, v18
	s_or_b32 exec_lo, exec_lo, s0
	s_and_saveexec_b32 s0, vcc_lo
	s_cbranch_execz .LBB55_91
.LBB55_126:
	ds_read_b32 v18, v17 offset:64
	s_waitcnt lgkmcnt(0)
	v_add_f32_e32 v5, v5, v18
	s_or_b32 exec_lo, exec_lo, s0
	s_and_saveexec_b32 s0, vcc_lo
	s_cbranch_execz .LBB55_92
.LBB55_127:
	ds_read_b32 v18, v17 offset:80
	s_waitcnt lgkmcnt(0)
	v_add_f32_e32 v6, v6, v18
	s_or_b32 exec_lo, exec_lo, s0
	s_and_saveexec_b32 s0, vcc_lo
	s_cbranch_execz .LBB55_93
.LBB55_128:
	ds_read_b32 v18, v17 offset:96
	s_waitcnt lgkmcnt(0)
	v_add_f32_e32 v7, v7, v18
	s_or_b32 exec_lo, exec_lo, s0
	s_and_saveexec_b32 s0, vcc_lo
	s_cbranch_execz .LBB55_94
.LBB55_129:
	ds_read_b32 v18, v17 offset:112
	s_waitcnt lgkmcnt(0)
	v_add_f32_e32 v8, v8, v18
	s_or_b32 exec_lo, exec_lo, s0
	s_and_saveexec_b32 s0, vcc_lo
	s_cbranch_execz .LBB55_95
.LBB55_130:
	ds_read_b32 v18, v17 offset:128
	s_waitcnt lgkmcnt(0)
	v_add_f32_e32 v9, v9, v18
	s_or_b32 exec_lo, exec_lo, s0
	s_and_saveexec_b32 s0, vcc_lo
	s_cbranch_execz .LBB55_96
.LBB55_131:
	ds_read_b32 v18, v17 offset:144
	s_waitcnt lgkmcnt(0)
	v_add_f32_e32 v10, v10, v18
	s_or_b32 exec_lo, exec_lo, s0
	s_and_saveexec_b32 s0, vcc_lo
	s_cbranch_execz .LBB55_97
.LBB55_132:
	ds_read_b32 v18, v17 offset:160
	s_waitcnt lgkmcnt(0)
	v_add_f32_e32 v11, v11, v18
	s_or_b32 exec_lo, exec_lo, s0
	s_and_saveexec_b32 s0, vcc_lo
	s_cbranch_execz .LBB55_98
.LBB55_133:
	ds_read_b32 v18, v17 offset:176
	s_waitcnt lgkmcnt(0)
	v_add_f32_e32 v12, v12, v18
	s_or_b32 exec_lo, exec_lo, s0
	s_and_saveexec_b32 s0, vcc_lo
	s_cbranch_execz .LBB55_99
.LBB55_134:
	ds_read_b32 v18, v17 offset:192
	s_waitcnt lgkmcnt(0)
	v_add_f32_e32 v13, v13, v18
	s_or_b32 exec_lo, exec_lo, s0
	s_and_saveexec_b32 s0, vcc_lo
	s_cbranch_execz .LBB55_100
.LBB55_135:
	ds_read_b32 v18, v17 offset:208
	s_waitcnt lgkmcnt(0)
	v_add_f32_e32 v14, v14, v18
	s_or_b32 exec_lo, exec_lo, s0
	s_and_saveexec_b32 s0, vcc_lo
	s_cbranch_execz .LBB55_101
.LBB55_136:
	ds_read_b32 v18, v17 offset:224
	s_waitcnt lgkmcnt(0)
	v_add_f32_e32 v15, v15, v18
	s_or_b32 exec_lo, exec_lo, s0
	s_and_saveexec_b32 s0, vcc_lo
	s_cbranch_execnz .LBB55_102
	s_branch .LBB55_103
	.section	.rodata,"a",@progbits
	.p2align	6, 0x0
	.amdhsa_kernel _ZN4vllm25paged_attention_v2_kernelIffLi64ELi32ELi128ELNS_18Fp8KVCacheDataTypeE0ELb0ELi512EEEvPfS2_PT_PKS3_PKT0_S9_ifPKiSB_iPKfiiiSD_SD_iiiii
		.amdhsa_group_segment_fixed_size 288
		.amdhsa_private_segment_fixed_size 0
		.amdhsa_kernarg_size 400
		.amdhsa_user_sgpr_count 6
		.amdhsa_user_sgpr_private_segment_buffer 1
		.amdhsa_user_sgpr_dispatch_ptr 0
		.amdhsa_user_sgpr_queue_ptr 0
		.amdhsa_user_sgpr_kernarg_segment_ptr 1
		.amdhsa_user_sgpr_dispatch_id 0
		.amdhsa_user_sgpr_flat_scratch_init 0
		.amdhsa_user_sgpr_private_segment_size 0
		.amdhsa_wavefront_size32 1
		.amdhsa_uses_dynamic_stack 0
		.amdhsa_system_sgpr_private_segment_wavefront_offset 0
		.amdhsa_system_sgpr_workgroup_id_x 1
		.amdhsa_system_sgpr_workgroup_id_y 1
		.amdhsa_system_sgpr_workgroup_id_z 1
		.amdhsa_system_sgpr_workgroup_info 0
		.amdhsa_system_vgpr_workitem_id 0
		.amdhsa_next_free_vgpr 115
		.amdhsa_next_free_sgpr 38
		.amdhsa_reserve_vcc 1
		.amdhsa_reserve_flat_scratch 0
		.amdhsa_float_round_mode_32 0
		.amdhsa_float_round_mode_16_64 0
		.amdhsa_float_denorm_mode_32 3
		.amdhsa_float_denorm_mode_16_64 3
		.amdhsa_dx10_clamp 1
		.amdhsa_ieee_mode 1
		.amdhsa_fp16_overflow 0
		.amdhsa_workgroup_processor_mode 1
		.amdhsa_memory_ordered 1
		.amdhsa_forward_progress 1
		.amdhsa_shared_vgpr_count 0
		.amdhsa_exception_fp_ieee_invalid_op 0
		.amdhsa_exception_fp_denorm_src 0
		.amdhsa_exception_fp_ieee_div_zero 0
		.amdhsa_exception_fp_ieee_overflow 0
		.amdhsa_exception_fp_ieee_underflow 0
		.amdhsa_exception_fp_ieee_inexact 0
		.amdhsa_exception_int_div_zero 0
	.end_amdhsa_kernel
	.section	.text._ZN4vllm25paged_attention_v2_kernelIffLi64ELi32ELi128ELNS_18Fp8KVCacheDataTypeE0ELb0ELi512EEEvPfS2_PT_PKS3_PKT0_S9_ifPKiSB_iPKfiiiSD_SD_iiiii,"axG",@progbits,_ZN4vllm25paged_attention_v2_kernelIffLi64ELi32ELi128ELNS_18Fp8KVCacheDataTypeE0ELb0ELi512EEEvPfS2_PT_PKS3_PKT0_S9_ifPKiSB_iPKfiiiSD_SD_iiiii,comdat
.Lfunc_end55:
	.size	_ZN4vllm25paged_attention_v2_kernelIffLi64ELi32ELi128ELNS_18Fp8KVCacheDataTypeE0ELb0ELi512EEEvPfS2_PT_PKS3_PKT0_S9_ifPKiSB_iPKfiiiSD_SD_iiiii, .Lfunc_end55-_ZN4vllm25paged_attention_v2_kernelIffLi64ELi32ELi128ELNS_18Fp8KVCacheDataTypeE0ELb0ELi512EEEvPfS2_PT_PKS3_PKT0_S9_ifPKiSB_iPKfiiiSD_SD_iiiii
                                        ; -- End function
	.set _ZN4vllm25paged_attention_v2_kernelIffLi64ELi32ELi128ELNS_18Fp8KVCacheDataTypeE0ELb0ELi512EEEvPfS2_PT_PKS3_PKT0_S9_ifPKiSB_iPKfiiiSD_SD_iiiii.num_vgpr, 115
	.set _ZN4vllm25paged_attention_v2_kernelIffLi64ELi32ELi128ELNS_18Fp8KVCacheDataTypeE0ELb0ELi512EEEvPfS2_PT_PKS3_PKT0_S9_ifPKiSB_iPKfiiiSD_SD_iiiii.num_agpr, 0
	.set _ZN4vllm25paged_attention_v2_kernelIffLi64ELi32ELi128ELNS_18Fp8KVCacheDataTypeE0ELb0ELi512EEEvPfS2_PT_PKS3_PKT0_S9_ifPKiSB_iPKfiiiSD_SD_iiiii.numbered_sgpr, 38
	.set _ZN4vllm25paged_attention_v2_kernelIffLi64ELi32ELi128ELNS_18Fp8KVCacheDataTypeE0ELb0ELi512EEEvPfS2_PT_PKS3_PKT0_S9_ifPKiSB_iPKfiiiSD_SD_iiiii.num_named_barrier, 0
	.set _ZN4vllm25paged_attention_v2_kernelIffLi64ELi32ELi128ELNS_18Fp8KVCacheDataTypeE0ELb0ELi512EEEvPfS2_PT_PKS3_PKT0_S9_ifPKiSB_iPKfiiiSD_SD_iiiii.private_seg_size, 0
	.set _ZN4vllm25paged_attention_v2_kernelIffLi64ELi32ELi128ELNS_18Fp8KVCacheDataTypeE0ELb0ELi512EEEvPfS2_PT_PKS3_PKT0_S9_ifPKiSB_iPKfiiiSD_SD_iiiii.uses_vcc, 1
	.set _ZN4vllm25paged_attention_v2_kernelIffLi64ELi32ELi128ELNS_18Fp8KVCacheDataTypeE0ELb0ELi512EEEvPfS2_PT_PKS3_PKT0_S9_ifPKiSB_iPKfiiiSD_SD_iiiii.uses_flat_scratch, 0
	.set _ZN4vllm25paged_attention_v2_kernelIffLi64ELi32ELi128ELNS_18Fp8KVCacheDataTypeE0ELb0ELi512EEEvPfS2_PT_PKS3_PKT0_S9_ifPKiSB_iPKfiiiSD_SD_iiiii.has_dyn_sized_stack, 0
	.set _ZN4vllm25paged_attention_v2_kernelIffLi64ELi32ELi128ELNS_18Fp8KVCacheDataTypeE0ELb0ELi512EEEvPfS2_PT_PKS3_PKT0_S9_ifPKiSB_iPKfiiiSD_SD_iiiii.has_recursion, 0
	.set _ZN4vllm25paged_attention_v2_kernelIffLi64ELi32ELi128ELNS_18Fp8KVCacheDataTypeE0ELb0ELi512EEEvPfS2_PT_PKS3_PKT0_S9_ifPKiSB_iPKfiiiSD_SD_iiiii.has_indirect_call, 0
	.section	.AMDGPU.csdata,"",@progbits
; Kernel info:
; codeLenInByte = 7728
; TotalNumSgprs: 40
; NumVgprs: 115
; ScratchSize: 0
; MemoryBound: 0
; FloatMode: 240
; IeeeMode: 1
; LDSByteSize: 288 bytes/workgroup (compile time only)
; SGPRBlocks: 0
; VGPRBlocks: 14
; NumSGPRsForWavesPerEU: 40
; NumVGPRsForWavesPerEU: 115
; Occupancy: 8
; WaveLimiterHint : 1
; COMPUTE_PGM_RSRC2:SCRATCH_EN: 0
; COMPUTE_PGM_RSRC2:USER_SGPR: 6
; COMPUTE_PGM_RSRC2:TRAP_HANDLER: 0
; COMPUTE_PGM_RSRC2:TGID_X_EN: 1
; COMPUTE_PGM_RSRC2:TGID_Y_EN: 1
; COMPUTE_PGM_RSRC2:TGID_Z_EN: 1
; COMPUTE_PGM_RSRC2:TIDIG_COMP_CNT: 0
	.section	.text._ZN4vllm25paged_attention_v2_kernelIffLi80ELi32ELi128ELNS_18Fp8KVCacheDataTypeE0ELb0ELi512EEEvPfS2_PT_PKS3_PKT0_S9_ifPKiSB_iPKfiiiSD_SD_iiiii,"axG",@progbits,_ZN4vllm25paged_attention_v2_kernelIffLi80ELi32ELi128ELNS_18Fp8KVCacheDataTypeE0ELb0ELi512EEEvPfS2_PT_PKS3_PKT0_S9_ifPKiSB_iPKfiiiSD_SD_iiiii,comdat
	.protected	_ZN4vllm25paged_attention_v2_kernelIffLi80ELi32ELi128ELNS_18Fp8KVCacheDataTypeE0ELb0ELi512EEEvPfS2_PT_PKS3_PKT0_S9_ifPKiSB_iPKfiiiSD_SD_iiiii ; -- Begin function _ZN4vllm25paged_attention_v2_kernelIffLi80ELi32ELi128ELNS_18Fp8KVCacheDataTypeE0ELb0ELi512EEEvPfS2_PT_PKS3_PKT0_S9_ifPKiSB_iPKfiiiSD_SD_iiiii
	.globl	_ZN4vllm25paged_attention_v2_kernelIffLi80ELi32ELi128ELNS_18Fp8KVCacheDataTypeE0ELb0ELi512EEEvPfS2_PT_PKS3_PKT0_S9_ifPKiSB_iPKfiiiSD_SD_iiiii
	.p2align	8
	.type	_ZN4vllm25paged_attention_v2_kernelIffLi80ELi32ELi128ELNS_18Fp8KVCacheDataTypeE0ELb0ELi512EEEvPfS2_PT_PKS3_PKT0_S9_ifPKiSB_iPKfiiiSD_SD_iiiii,@function
_ZN4vllm25paged_attention_v2_kernelIffLi80ELi32ELi128ELNS_18Fp8KVCacheDataTypeE0ELb0ELi512EEEvPfS2_PT_PKS3_PKT0_S9_ifPKiSB_iPKfiiiSD_SD_iiiii: ; @_ZN4vllm25paged_attention_v2_kernelIffLi80ELi32ELi128ELNS_18Fp8KVCacheDataTypeE0ELb0ELi512EEEvPfS2_PT_PKS3_PKT0_S9_ifPKiSB_iPKfiiiSD_SD_iiiii
; %bb.0:
	s_load_dwordx2 s[0:1], s[4:5], 0x40
	s_mov_b32 s24, s7
	s_ashr_i32 s25, s7, 31
	s_lshl_b64 s[2:3], s[24:25], 2
	s_waitcnt lgkmcnt(0)
	s_add_u32 s0, s0, s2
	s_addc_u32 s1, s1, s3
	s_lshl_b32 s30, s8, 9
	s_load_dword s25, s[0:1], 0x0
	s_waitcnt lgkmcnt(0)
	s_cmp_ge_i32 s30, s25
	s_cbranch_scc1 .LBB56_122
; %bb.1:
	s_clause 0x1
	s_load_dword s9, s[4:5], 0x90
	s_load_dwordx2 s[2:3], s[4:5], 0x30
	s_mov_b32 s33, 0
	s_waitcnt lgkmcnt(0)
	s_abs_i32 s10, s9
	s_abs_i32 s0, s2
	s_xor_b32 s2, s9, s2
	v_cvt_f32_u32_e32 v1, s0
	s_sub_i32 s7, 0, s0
	s_ashr_i32 s2, s2, 31
	v_rcp_iflag_f32_e32 v1, v1
	v_mul_f32_e32 v1, 0x4f7ffffe, v1
	v_cvt_u32_f32_e32 v1, v1
	v_readfirstlane_b32 s1, v1
	s_mul_i32 s7, s7, s1
	s_mul_hi_u32 s7, s1, s7
	s_add_i32 s1, s1, s7
	s_mul_hi_u32 s1, s10, s1
	s_mul_i32 s7, s1, s0
	s_sub_i32 s7, s10, s7
	s_add_i32 s10, s1, 1
	s_sub_i32 s11, s7, s0
	s_cmp_ge_u32 s7, s0
	s_cselect_b32 s1, s10, s1
	s_cselect_b32 s7, s11, s7
	s_add_i32 s10, s1, 1
	s_cmp_ge_u32 s7, s0
	s_cselect_b32 s0, s10, s1
	s_abs_i32 s29, s6
	s_xor_b32 s0, s0, s2
	s_sub_i32 s10, s0, s2
	s_load_dwordx2 s[0:1], s[4:5], 0x50
	s_abs_i32 s2, s10
	v_cvt_f32_u32_e32 v1, s2
	s_sub_i32 s11, 0, s2
	v_rcp_iflag_f32_e32 v1, v1
	v_mul_f32_e32 v1, 0x4f7ffffe, v1
	v_cvt_u32_f32_e32 v1, v1
	v_readfirstlane_b32 s7, v1
	s_mul_i32 s11, s11, s7
	s_mul_hi_u32 s11, s7, s11
	s_add_i32 s7, s7, s11
	s_waitcnt lgkmcnt(0)
	s_cmp_eq_u64 s[0:1], 0
	s_mul_hi_u32 s28, s29, s7
	s_cbranch_scc1 .LBB56_3
; %bb.2:
	s_ashr_i32 s7, s6, 31
	s_lshl_b64 s[12:13], s[6:7], 2
	s_add_u32 s0, s0, s12
	s_addc_u32 s1, s1, s13
	s_load_dword s33, s[0:1], 0x0
.LBB56_3:
	s_clause 0x1
	s_load_dwordx2 s[22:23], s[4:5], 0x38
	s_load_dwordx4 s[12:15], s[4:5], 0x58
	v_lshlrev_b32_e32 v87, 4, v0
	s_ashr_i32 s0, s6, 31
	s_ashr_i32 s1, s10, 31
	s_mul_i32 s10, s6, 0x50
	s_mov_b32 s7, exec_lo
	v_cmpx_gt_u32_e32 20, v0
	s_cbranch_execz .LBB56_5
; %bb.4:
	s_load_dwordx2 s[16:17], s[4:5], 0x18
	s_waitcnt lgkmcnt(0)
	s_mul_i32 s18, s12, s24
	s_ashr_i32 s19, s18, 31
	s_lshl_b64 s[18:19], s[18:19], 2
	s_add_u32 s12, s16, s18
	s_addc_u32 s15, s17, s19
	s_ashr_i32 s11, s10, 31
	s_lshl_b64 s[16:17], s[10:11], 2
	s_add_u32 s16, s12, s16
	s_addc_u32 s17, s15, s17
	global_load_dwordx4 v[1:4], v87, s[16:17]
	s_waitcnt vmcnt(0)
	ds_write_b128 v87, v[1:4]
.LBB56_5:
	s_or_b32 exec_lo, exec_lo, s7
	s_add_i32 s7, s25, 31
	s_clause 0x1
	s_load_dwordx4 s[16:19], s[4:5], 0x0
	s_load_dwordx2 s[20:21], s[4:5], 0x10
	s_ashr_i32 s11, s7, 31
	s_lshl_b32 s31, s8, 4
	s_lshr_b32 s11, s11, 27
	s_mul_i32 s34, s28, s2
	s_add_i32 s7, s7, s11
	s_add_i32 s11, s31, 16
	s_waitcnt lgkmcnt(0)
	s_ashr_i32 s12, s7, 5
	s_clause 0x2
	s_load_dwordx2 s[26:27], s[4:5], 0x28
	s_load_dword s7, s[4:5], 0x98
	s_load_dword s15, s[4:5], 0x48
	s_xor_b32 s0, s0, s1
	s_sub_i32 s1, s29, s34
	s_min_i32 s11, s11, s12
	s_add_i32 s29, s28, 1
	s_sub_i32 s34, s1, s2
	s_cmp_ge_u32 s1, s2
	v_lshrrev_b32_e32 v88, 5, v0
	s_cselect_b32 s28, s29, s28
	s_cselect_b32 s1, s34, s1
	s_add_i32 s29, s28, 1
	s_cmp_ge_u32 s1, s2
	v_add_nc_u32_e32 v85, s31, v88
	v_and_b32_e32 v89, 31, v0
	s_cselect_b32 s1, s29, s28
	v_mov_b32_e32 v90, 0xff7fffff
	s_xor_b32 s1, s1, s0
	v_ashrrev_i32_e32 v86, 31, v85
	s_sub_i32 s1, s1, s0
	v_cmp_gt_i32_e64 s0, s11, v85
	v_lshlrev_b32_e32 v93, 2, v89
	s_waitcnt lgkmcnt(0)
	s_mul_i32 s28, s15, s24
	s_mul_i32 s14, s1, s14
	s_ashr_i32 s29, s28, 31
	s_barrier
	buffer_gl0_inv
	s_and_saveexec_b32 s34, s0
	s_cbranch_execz .LBB56_9
; %bb.6:
	s_load_dwordx2 s[4:5], s[4:5], 0x20
	v_mov_b32_e32 v77, 0
	s_ashr_i32 s15, s14, 31
	v_lshlrev_b32_e32 v49, 4, v89
	s_lshl_b64 s[36:37], s[14:15], 2
	ds_read_b128 v[1:4], v77
	ds_read_b128 v[5:8], v77 offset:16
	ds_read_b128 v[9:12], v77 offset:32
	;; [unrolled: 1-line block ×11, first 2 shown]
	v_lshlrev_b32_e32 v81, 5, v88
	v_lshl_or_b32 v83, v88, 7, v93
	v_cmp_neq_f32_e64 vcc_lo, s33, 0
	v_mov_b32_e32 v90, 0xff7fffff
	v_mov_b32_e32 v96, v85
	v_add3_u32 v94, s30, v81, v89
	v_lshlrev_b64 v[81:82], 2, v[85:86]
	v_add_nc_u32_e32 v95, 0x160, v83
	s_mov_b32 s15, s13
	s_waitcnt lgkmcnt(0)
	s_add_u32 s1, s4, s36
	s_addc_u32 s2, s5, s37
	v_add_co_u32 v91, s1, s1, v49
	ds_read_b128 v[49:52], v77 offset:192
	ds_read_b128 v[53:56], v77 offset:208
	;; [unrolled: 1-line block ×8, first 2 shown]
	s_lshl_b64 s[36:37], s[28:29], 2
	s_sub_i32 s4, 1, s25
	v_add_co_ci_u32_e64 v92, null, s2, 0, s1
	s_add_u32 s1, s22, s36
	s_addc_u32 s2, s23, s37
	v_add_co_u32 v81, s1, s1, v81
	v_add_co_ci_u32_e64 v82, null, s2, v82, s1
	s_mov_b32 s5, 0
.LBB56_7:                               ; =>This Inner Loop Header: Depth=1
	global_load_dword v83, v[81:82], off
	v_add_nc_u32_e32 v96, 4, v96
	v_add_co_u32 v81, s2, v81, 16
	v_add_co_ci_u32_e64 v82, null, 0, v82, s2
	v_cmp_le_i32_e64 s2, s11, v96
	s_or_b32 s5, s2, s5
	s_waitcnt vmcnt(0)
	v_mad_i64_i32 v[83:84], null, v83, s15, 0
	v_lshlrev_b64 v[83:84], 2, v[83:84]
	v_add_co_u32 v83, s1, v91, v83
	v_add_co_ci_u32_e64 v84, null, v92, v84, s1
	v_add_co_u32 v105, s1, v83, 0x1000
	global_load_dwordx4 v[99:102], v[83:84], off offset:512
	v_add_co_ci_u32_e64 v106, null, 0, v84, s1
	v_add_co_u32 v107, s1, 0x800, v83
	v_add_co_ci_u32_e64 v108, null, 0, v84, s1
	s_waitcnt vmcnt(0)
	v_mul_f32_e32 v98, v7, v101
	v_mul_f32_e32 v97, v8, v102
	global_load_dwordx4 v[101:104], v[83:84], off
	v_mul_f32_e32 v99, v5, v99
	v_mul_f32_e32 v100, v6, v100
	s_waitcnt vmcnt(0)
	v_fmac_f32_e32 v99, v1, v101
	v_fmac_f32_e32 v100, v2, v102
	v_fmac_f32_e32 v98, v3, v103
	v_fmac_f32_e32 v97, v4, v104
	global_load_dwordx4 v[101:104], v[83:84], off offset:1024
	s_waitcnt vmcnt(0)
	v_fmac_f32_e32 v99, v9, v101
	v_fmac_f32_e32 v100, v10, v102
	;; [unrolled: 1-line block ×4, first 2 shown]
	global_load_dwordx4 v[101:104], v[83:84], off offset:1536
	s_waitcnt vmcnt(0)
	v_fmac_f32_e32 v99, v13, v101
	v_fmac_f32_e32 v100, v14, v102
	;; [unrolled: 1-line block ×4, first 2 shown]
	global_load_dwordx4 v[101:104], v[105:106], off offset:-2048
	s_waitcnt vmcnt(0)
	v_fmac_f32_e32 v99, v17, v101
	v_fmac_f32_e32 v100, v18, v102
	v_fmac_f32_e32 v98, v19, v103
	v_fmac_f32_e32 v97, v20, v104
	global_load_dwordx4 v[101:104], v[107:108], off offset:512
	s_waitcnt vmcnt(0)
	v_fmac_f32_e32 v99, v21, v101
	v_fmac_f32_e32 v100, v22, v102
	v_fmac_f32_e32 v98, v23, v103
	v_fmac_f32_e32 v97, v24, v104
	global_load_dwordx4 v[101:104], v[107:108], off offset:1024
	;; [unrolled: 6-line block ×3, first 2 shown]
	v_add_co_u32 v107, s1, 0x1000, v83
	v_add_co_ci_u32_e64 v108, null, 0, v84, s1
	s_waitcnt vmcnt(0)
	v_fmac_f32_e32 v99, v29, v101
	v_fmac_f32_e32 v100, v30, v102
	;; [unrolled: 1-line block ×4, first 2 shown]
	global_load_dwordx4 v[101:104], v[105:106], off
	v_add_co_u32 v105, s1, v83, 0x2000
	v_add_co_ci_u32_e64 v106, null, 0, v84, s1
	s_waitcnt vmcnt(0)
	v_fmac_f32_e32 v99, v33, v101
	v_fmac_f32_e32 v100, v34, v102
	v_fmac_f32_e32 v98, v35, v103
	v_fmac_f32_e32 v97, v36, v104
	global_load_dwordx4 v[101:104], v[107:108], off offset:512
	s_waitcnt vmcnt(0)
	v_fmac_f32_e32 v99, v37, v101
	v_fmac_f32_e32 v100, v38, v102
	v_fmac_f32_e32 v98, v39, v103
	v_fmac_f32_e32 v97, v40, v104
	global_load_dwordx4 v[101:104], v[107:108], off offset:1024
	;; [unrolled: 6-line block ×3, first 2 shown]
	v_add_co_u32 v107, s1, 0x1800, v83
	v_add_co_ci_u32_e64 v108, null, 0, v84, s1
	v_add_co_u32 v83, s1, 0x2000, v83
	v_add_co_ci_u32_e64 v84, null, 0, v84, s1
	v_cmp_gt_i32_e64 s1, s25, v94
	s_waitcnt vmcnt(0)
	v_fmac_f32_e32 v99, v45, v101
	v_fmac_f32_e32 v100, v46, v102
	v_fmac_f32_e32 v98, v47, v103
	v_fmac_f32_e32 v97, v48, v104
	global_load_dwordx4 v[101:104], v[105:106], off offset:-2048
	s_waitcnt vmcnt(0) lgkmcnt(7)
	v_fmac_f32_e32 v99, v49, v101
	v_fmac_f32_e32 v100, v50, v102
	v_fmac_f32_e32 v98, v51, v103
	v_fmac_f32_e32 v97, v52, v104
	global_load_dwordx4 v[101:104], v[107:108], off offset:512
	s_waitcnt vmcnt(0) lgkmcnt(6)
	v_fmac_f32_e32 v99, v53, v101
	v_fmac_f32_e32 v100, v54, v102
	v_fmac_f32_e32 v98, v55, v103
	v_fmac_f32_e32 v97, v56, v104
	global_load_dwordx4 v[101:104], v[107:108], off offset:1024
	;; [unrolled: 6-line block ×3, first 2 shown]
	s_waitcnt vmcnt(0) lgkmcnt(4)
	v_fmac_f32_e32 v99, v61, v101
	v_fmac_f32_e32 v100, v62, v102
	;; [unrolled: 1-line block ×4, first 2 shown]
	global_load_dwordx4 v[101:104], v[105:106], off
	s_waitcnt vmcnt(0) lgkmcnt(3)
	v_fmac_f32_e32 v99, v65, v101
	v_fmac_f32_e32 v100, v66, v102
	;; [unrolled: 1-line block ×4, first 2 shown]
	global_load_dwordx4 v[101:104], v[83:84], off offset:512
	s_waitcnt vmcnt(0) lgkmcnt(2)
	v_fmac_f32_e32 v99, v69, v101
	v_fmac_f32_e32 v100, v70, v102
	;; [unrolled: 1-line block ×4, first 2 shown]
	s_clause 0x1
	global_load_dwordx4 v[101:104], v[83:84], off offset:1024
	global_load_dwordx4 v[105:108], v[83:84], off offset:1536
	v_add_nc_u32_e32 v83, s4, v94
	v_add_nc_u32_e32 v94, 0x80, v94
	v_cvt_f32_i32_e32 v83, v83
	v_mul_f32_e32 v83, s33, v83
	v_cndmask_b32_e32 v83, 0, v83, vcc_lo
	s_waitcnt vmcnt(1) lgkmcnt(1)
	v_fmac_f32_e32 v99, v73, v101
	v_fmac_f32_e32 v100, v74, v102
	;; [unrolled: 1-line block ×4, first 2 shown]
	s_waitcnt vmcnt(0) lgkmcnt(0)
	v_fmac_f32_e32 v99, v77, v105
	v_fmac_f32_e32 v100, v78, v106
	;; [unrolled: 1-line block ×4, first 2 shown]
	v_add_f32_e32 v84, v99, v100
	v_add_f32_e32 v84, v98, v84
	v_max_f32_e32 v98, v90, v90
	v_add_f32_e32 v84, v97, v84
	v_fmac_f32_e32 v83, s3, v84
	v_max_f32_e32 v84, v98, v83
	v_cndmask_b32_e64 v83, 0, v83, s1
	v_cndmask_b32_e64 v90, v90, v84, s1
	ds_write_b32 v95, v83
	v_add_nc_u32_e32 v95, 0x200, v95
	s_andn2_b32 exec_lo, exec_lo, s5
	s_cbranch_execnz .LBB56_7
; %bb.8:
	s_or_b32 exec_lo, exec_lo, s5
.LBB56_9:
	s_or_b32 exec_lo, exec_lo, s34
	v_mbcnt_lo_u32_b32 v1, -1, 0
	v_max_f32_e32 v5, v90, v90
	v_xor_b32_e32 v2, 16, v1
	v_xor_b32_e32 v4, 8, v1
	v_cmp_gt_i32_e32 vcc_lo, 32, v2
	v_cndmask_b32_e32 v2, v1, v2, vcc_lo
	v_cmp_gt_i32_e32 vcc_lo, 32, v4
	v_lshlrev_b32_e32 v2, 2, v2
	v_cndmask_b32_e32 v4, v1, v4, vcc_lo
	ds_bpermute_b32 v3, v2, v90
	s_waitcnt lgkmcnt(0)
	v_max_f32_e32 v6, v3, v3
	v_lshlrev_b32_e32 v3, 2, v4
	v_max_f32_e32 v4, v5, v6
	v_xor_b32_e32 v6, 4, v1
	ds_bpermute_b32 v5, v3, v4
	v_cmp_gt_i32_e32 vcc_lo, 32, v6
	v_cndmask_b32_e32 v6, v1, v6, vcc_lo
	v_lshlrev_b32_e32 v92, 2, v6
	v_xor_b32_e32 v6, 2, v1
	v_cmp_gt_i32_e32 vcc_lo, 32, v6
	s_waitcnt lgkmcnt(0)
	v_max_f32_e32 v5, v5, v5
	v_cndmask_b32_e32 v6, v1, v6, vcc_lo
	v_max_f32_e32 v4, v4, v5
	v_lshlrev_b32_e32 v91, 2, v6
	v_xor_b32_e32 v6, 1, v1
	ds_bpermute_b32 v5, v92, v4
	v_cmp_gt_i32_e32 vcc_lo, 32, v6
	v_cndmask_b32_e32 v6, v1, v6, vcc_lo
	v_cmp_eq_u32_e32 vcc_lo, 0, v89
	v_lshlrev_b32_e32 v90, 2, v6
	s_waitcnt lgkmcnt(0)
	v_max_f32_e32 v5, v5, v5
	v_max_f32_e32 v4, v4, v5
	ds_bpermute_b32 v5, v91, v4
	s_waitcnt lgkmcnt(0)
	v_max_f32_e32 v5, v5, v5
	v_max_f32_e32 v1, v4, v5
	v_lshlrev_b32_e32 v5, 2, v88
	ds_bpermute_b32 v4, v90, v1
	s_and_saveexec_b32 s1, vcc_lo
	s_cbranch_execz .LBB56_11
; %bb.10:
	s_waitcnt lgkmcnt(0)
	v_max_f32_e32 v4, v4, v4
	v_max_f32_e32 v1, v1, v1
	;; [unrolled: 1-line block ×3, first 2 shown]
	ds_write_b32 v5, v1 offset:320
.LBB56_11:
	s_or_b32 exec_lo, exec_lo, s1
	v_cmp_gt_u32_e64 s1, 4, v89
	v_mov_b32_e32 v1, 0xff7fffff
	s_waitcnt lgkmcnt(0)
	s_barrier
	buffer_gl0_inv
	s_and_saveexec_b32 s2, s1
; %bb.12:
	ds_read_b32 v1, v93 offset:320
; %bb.13:
	s_or_b32 exec_lo, exec_lo, s2
	s_waitcnt lgkmcnt(0)
	ds_bpermute_b32 v4, v91, v1
	v_max_f32_e32 v1, v1, v1
	v_mov_b32_e32 v6, 0
	s_sub_i32 s2, s11, s31
	s_lshl_b32 s2, s2, 5
	s_add_i32 s2, s2, s30
	s_min_i32 s2, s2, s25
	s_sub_i32 s4, s2, s30
	v_cmp_gt_i32_e64 s2, s4, v0
	s_waitcnt lgkmcnt(0)
	v_max_f32_e32 v4, v4, v4
	v_max_f32_e32 v1, v1, v4
	ds_bpermute_b32 v4, v90, v1
	s_waitcnt lgkmcnt(0)
	v_max_f32_e32 v4, v4, v4
	v_max_f32_e32 v1, v1, v4
	v_lshl_add_u32 v4, v0, 2, 0x160
	ds_bpermute_b32 v1, v6, v1
	s_and_saveexec_b32 s5, s2
	s_cbranch_execz .LBB56_17
; %bb.14:
	v_lshl_add_u32 v7, v0, 2, 0x160
	v_mov_b32_e32 v6, 0
	v_mov_b32_e32 v8, v0
	s_mov_b32 s15, 0
	.p2align	6
.LBB56_15:                              ; =>This Inner Loop Header: Depth=1
	ds_read_b32 v9, v7
	v_add_nc_u32_e32 v8, 0x80, v8
	v_cmp_le_i32_e64 s3, s4, v8
	s_or_b32 s15, s3, s15
	s_waitcnt lgkmcnt(0)
	v_sub_f32_e32 v9, v9, v1
	v_mul_f32_e32 v9, 0x3fb8aa3b, v9
	v_exp_f32_e32 v9, v9
	ds_write_b32 v7, v9
	v_add_f32_e32 v6, v6, v9
	v_add_nc_u32_e32 v7, 0x200, v7
	s_andn2_b32 exec_lo, exec_lo, s15
	s_cbranch_execnz .LBB56_15
; %bb.16:
	s_or_b32 exec_lo, exec_lo, s15
.LBB56_17:
	s_or_b32 exec_lo, exec_lo, s5
	ds_bpermute_b32 v2, v2, v6
	s_waitcnt lgkmcnt(0)
	v_add_f32_e32 v2, v6, v2
	ds_bpermute_b32 v3, v3, v2
	s_waitcnt lgkmcnt(0)
	v_add_f32_e32 v2, v2, v3
	;; [unrolled: 3-line block ×5, first 2 shown]
	s_and_saveexec_b32 s3, vcc_lo
; %bb.18:
	ds_write_b32 v5, v2 offset:336
; %bb.19:
	s_or_b32 exec_lo, exec_lo, s3
	s_waitcnt lgkmcnt(0)
	s_barrier
	buffer_gl0_inv
	s_and_saveexec_b32 s3, s1
; %bb.20:
	ds_read_b32 v2, v93 offset:336
; %bb.21:
	s_or_b32 exec_lo, exec_lo, s3
	s_waitcnt lgkmcnt(0)
	ds_bpermute_b32 v3, v91, v2
	s_waitcnt lgkmcnt(0)
	v_add_f32_e32 v2, v2, v3
	ds_bpermute_b32 v3, v90, v2
	s_waitcnt lgkmcnt(0)
	v_add_f32_e32 v2, v2, v3
	v_mov_b32_e32 v3, 0
	ds_bpermute_b32 v2, v3, v2
	s_and_saveexec_b32 s1, s2
	s_cbranch_execz .LBB56_24
; %bb.22:
	s_waitcnt lgkmcnt(0)
	v_add_f32_e32 v3, 0x358637bd, v2
	s_mov_b32 s2, 0
	v_div_scale_f32 v5, null, v3, v3, 1.0
	v_div_scale_f32 v8, vcc_lo, 1.0, v3, 1.0
	v_rcp_f32_e32 v6, v5
	v_fma_f32 v7, -v5, v6, 1.0
	v_fmac_f32_e32 v6, v7, v6
	v_mul_f32_e32 v7, v8, v6
	v_fma_f32 v9, -v5, v7, v8
	v_fmac_f32_e32 v7, v9, v6
	v_fma_f32 v5, -v5, v7, v8
	v_div_fmas_f32 v5, v5, v6, v7
	v_div_fixup_f32 v3, v5, v3, 1.0
	v_mov_b32_e32 v5, v0
.LBB56_23:                              ; =>This Inner Loop Header: Depth=1
	ds_read_b32 v6, v4
	v_add_nc_u32_e32 v5, 0x80, v5
	v_cmp_le_i32_e32 vcc_lo, s4, v5
	s_or_b32 s2, vcc_lo, s2
	s_waitcnt lgkmcnt(0)
	v_mul_f32_e32 v6, v3, v6
	ds_write_b32 v4, v6
	v_add_nc_u32_e32 v4, 0x200, v4
	s_andn2_b32 exec_lo, exec_lo, s2
	s_cbranch_execnz .LBB56_23
.LBB56_24:
	s_or_b32 exec_lo, exec_lo, s1
	s_mul_i32 s1, s7, s24
	s_waitcnt lgkmcnt(0)
	s_mul_i32 s4, s1, s9
	s_mov_b32 s1, exec_lo
	s_barrier
	buffer_gl0_inv
	v_cmpx_eq_u32_e32 0, v0
	s_cbranch_execz .LBB56_26
; %bb.25:
	s_ashr_i32 s5, s4, 31
	s_mul_i32 s34, s7, s6
	s_lshl_b64 s[2:3], s[4:5], 2
	v_mov_b32_e32 v3, 0
	s_add_u32 s5, s18, s2
	s_addc_u32 s6, s19, s3
	s_ashr_i32 s35, s34, 31
	s_lshl_b64 s[18:19], s[34:35], 2
	s_add_u32 s5, s5, s18
	s_addc_u32 s6, s6, s19
	s_ashr_i32 s9, s8, 31
	s_lshl_b64 s[34:35], s[8:9], 2
	s_add_u32 s36, s5, s34
	s_addc_u32 s37, s6, s35
	s_add_u32 s2, s16, s2
	s_addc_u32 s3, s17, s3
	;; [unrolled: 2-line block ×4, first 2 shown]
	global_store_dword v3, v1, s[36:37]
	global_store_dword v3, v2, s[2:3]
.LBB56_26:
	s_or_b32 exec_lo, exec_lo, s1
	v_mov_b32_e32 v111, 0
	v_and_b32_e32 v93, 7, v0
	v_mov_b32_e32 v113, 0
	v_mov_b32_e32 v112, 0
	;; [unrolled: 1-line block ×19, first 2 shown]
	s_and_saveexec_b32 s5, s0
	s_cbranch_execz .LBB56_70
; %bb.27:
	v_lshlrev_b32_e32 v1, 2, v0
	s_ashr_i32 s15, s14, 31
	v_lshlrev_b32_e32 v2, 4, v93
	v_and_b32_e32 v3, 0x1f0, v87
	v_lshl_add_u32 v4, v88, 5, s30
	v_and_b32_e32 v1, 28, v1
	s_lshl_b64 s[0:1], s[14:15], 2
	v_lshl_or_b32 v5, v88, 7, v2
	s_add_u32 s0, s26, s0
	s_addc_u32 s1, s27, s1
	v_add_co_u32 v114, s0, s0, v3
	v_add3_u32 v116, v4, v1, 3
	v_lshlrev_b64 v[1:2], 2, v[85:86]
	v_add_co_ci_u32_e64 v115, null, s1, 0, s0
	s_lshl_b64 s[0:1], s[28:29], 2
	s_add_i32 s12, s12, -1
	s_add_u32 s0, s22, s0
	s_addc_u32 s1, s23, s1
	v_add_co_u32 v86, vcc_lo, s0, v1
	v_mov_b32_e32 v94, 0
	v_add_nc_u32_e32 v117, 0x160, v5
	v_add_co_ci_u32_e64 v87, null, s1, v2, vcc_lo
	v_mov_b32_e32 v95, 0
	v_mov_b32_e32 v96, 0
	;; [unrolled: 1-line block ×19, first 2 shown]
	s_mov_b32 s9, s13
	s_mov_b32 s6, 0
	s_branch .LBB56_29
.LBB56_28:                              ;   in Loop: Header=BB56_29 Depth=1
	s_or_b32 exec_lo, exec_lo, s0
	s_waitcnt vmcnt(1) lgkmcnt(0)
	v_mul_f32_e32 v81, v1, v81
	v_mul_f32_e32 v77, v1, v77
	;; [unrolled: 1-line block ×19, first 2 shown]
	s_waitcnt vmcnt(0)
	v_mul_f32_e32 v1, v1, v65
	v_fmac_f32_e32 v81, v2, v82
	v_fmac_f32_e32 v77, v2, v78
	;; [unrolled: 1-line block ×40, first 2 shown]
	v_add_nc_u32_e32 v85, 4, v85
	v_fmac_f32_e32 v81, v4, v84
	v_fmac_f32_e32 v77, v4, v80
	;; [unrolled: 1-line block ×20, first 2 shown]
	v_cmp_le_i32_e32 vcc_lo, s11, v85
	v_add_co_u32 v86, s0, v86, 16
	v_add_f32_e32 v95, v95, v81
	v_add_f32_e32 v96, v96, v77
	;; [unrolled: 1-line block ×20, first 2 shown]
	v_add_nc_u32_e32 v116, 0x80, v116
	v_add_nc_u32_e32 v117, 0x200, v117
	v_add_co_ci_u32_e64 v87, null, 0, v87, s0
	s_or_b32 s6, vcc_lo, s6
	s_andn2_b32 exec_lo, exec_lo, s6
	s_cbranch_execz .LBB56_69
.LBB56_29:                              ; =>This Inner Loop Header: Depth=1
	global_load_dword v1, v[86:87], off
	v_add_nc_u32_e32 v118, -3, v116
	v_add_nc_u32_e32 v120, -2, v116
	;; [unrolled: 1-line block ×3, first 2 shown]
	s_waitcnt vmcnt(0)
	v_mad_i64_i32 v[1:2], null, v1, s9, 0
	v_lshlrev_b64 v[1:2], 2, v[1:2]
	v_add_co_u32 v65, vcc_lo, v114, v1
	v_add_co_ci_u32_e64 v66, null, v115, v2, vcc_lo
	ds_read_b128 v[1:4], v117
	v_cmp_eq_u32_e32 vcc_lo, s12, v85
	global_load_dwordx4 v[5:8], v[65:66], off
	s_and_saveexec_b32 s1, vcc_lo
	s_cbranch_execnz .LBB56_53
; %bb.30:                               ;   in Loop: Header=BB56_29 Depth=1
	s_or_b32 exec_lo, exec_lo, s1
	global_load_dwordx4 v[9:12], v[65:66], off offset:512
	s_and_saveexec_b32 s1, vcc_lo
	s_cbranch_execnz .LBB56_54
.LBB56_31:                              ;   in Loop: Header=BB56_29 Depth=1
	s_or_b32 exec_lo, exec_lo, s1
	global_load_dwordx4 v[13:16], v[65:66], off offset:1024
	s_and_saveexec_b32 s1, vcc_lo
	s_cbranch_execnz .LBB56_55
.LBB56_32:                              ;   in Loop: Header=BB56_29 Depth=1
	s_or_b32 exec_lo, exec_lo, s1
	global_load_dwordx4 v[17:20], v[65:66], off offset:1536
	s_and_saveexec_b32 s1, vcc_lo
	s_cbranch_execz .LBB56_34
.LBB56_33:                              ;   in Loop: Header=BB56_29 Depth=1
	v_cmp_gt_i32_e64 s0, s25, v118
	s_waitcnt vmcnt(0)
	v_cndmask_b32_e64 v17, 0, v17, s0
	v_cmp_gt_i32_e64 s0, s25, v120
	v_cndmask_b32_e64 v18, 0, v18, s0
	v_cmp_gt_i32_e64 s0, s25, v119
	;; [unrolled: 2-line block ×3, first 2 shown]
	v_cndmask_b32_e64 v20, 0, v20, s0
.LBB56_34:                              ;   in Loop: Header=BB56_29 Depth=1
	s_or_b32 exec_lo, exec_lo, s1
	v_add_co_u32 v33, s0, 0x800, v65
	v_add_co_ci_u32_e64 v34, null, 0, v66, s0
	global_load_dwordx4 v[21:24], v[33:34], off
	s_and_saveexec_b32 s1, vcc_lo
	s_cbranch_execnz .LBB56_56
; %bb.35:                               ;   in Loop: Header=BB56_29 Depth=1
	s_or_b32 exec_lo, exec_lo, s1
	global_load_dwordx4 v[25:28], v[33:34], off offset:512
	s_and_saveexec_b32 s1, vcc_lo
	s_cbranch_execnz .LBB56_57
.LBB56_36:                              ;   in Loop: Header=BB56_29 Depth=1
	s_or_b32 exec_lo, exec_lo, s1
	global_load_dwordx4 v[29:32], v[33:34], off offset:1024
	s_and_saveexec_b32 s1, vcc_lo
	s_cbranch_execnz .LBB56_58
.LBB56_37:                              ;   in Loop: Header=BB56_29 Depth=1
	s_or_b32 exec_lo, exec_lo, s1
	global_load_dwordx4 v[33:36], v[33:34], off offset:1536
	s_and_saveexec_b32 s1, vcc_lo
	s_cbranch_execz .LBB56_39
.LBB56_38:                              ;   in Loop: Header=BB56_29 Depth=1
	v_cmp_gt_i32_e64 s0, s25, v118
	s_waitcnt vmcnt(0)
	v_cndmask_b32_e64 v33, 0, v33, s0
	v_cmp_gt_i32_e64 s0, s25, v120
	v_cndmask_b32_e64 v34, 0, v34, s0
	v_cmp_gt_i32_e64 s0, s25, v119
	;; [unrolled: 2-line block ×3, first 2 shown]
	v_cndmask_b32_e64 v36, 0, v36, s0
.LBB56_39:                              ;   in Loop: Header=BB56_29 Depth=1
	s_or_b32 exec_lo, exec_lo, s1
	v_add_co_u32 v49, s0, 0x1000, v65
	v_add_co_ci_u32_e64 v50, null, 0, v66, s0
	global_load_dwordx4 v[37:40], v[49:50], off
	s_and_saveexec_b32 s1, vcc_lo
	s_cbranch_execnz .LBB56_59
; %bb.40:                               ;   in Loop: Header=BB56_29 Depth=1
	s_or_b32 exec_lo, exec_lo, s1
	global_load_dwordx4 v[41:44], v[49:50], off offset:512
	s_and_saveexec_b32 s1, vcc_lo
	s_cbranch_execnz .LBB56_60
.LBB56_41:                              ;   in Loop: Header=BB56_29 Depth=1
	s_or_b32 exec_lo, exec_lo, s1
	global_load_dwordx4 v[45:48], v[49:50], off offset:1024
	s_and_saveexec_b32 s1, vcc_lo
	s_cbranch_execnz .LBB56_61
.LBB56_42:                              ;   in Loop: Header=BB56_29 Depth=1
	s_or_b32 exec_lo, exec_lo, s1
	global_load_dwordx4 v[49:52], v[49:50], off offset:1536
	s_and_saveexec_b32 s1, vcc_lo
	s_cbranch_execz .LBB56_44
.LBB56_43:                              ;   in Loop: Header=BB56_29 Depth=1
	v_cmp_gt_i32_e64 s0, s25, v118
	s_waitcnt vmcnt(0)
	v_cndmask_b32_e64 v49, 0, v49, s0
	v_cmp_gt_i32_e64 s0, s25, v120
	v_cndmask_b32_e64 v50, 0, v50, s0
	v_cmp_gt_i32_e64 s0, s25, v119
	;; [unrolled: 2-line block ×3, first 2 shown]
	v_cndmask_b32_e64 v52, 0, v52, s0
.LBB56_44:                              ;   in Loop: Header=BB56_29 Depth=1
	s_or_b32 exec_lo, exec_lo, s1
	v_add_co_u32 v67, s0, 0x1800, v65
	v_add_co_ci_u32_e64 v68, null, 0, v66, s0
	global_load_dwordx4 v[53:56], v[67:68], off
	s_and_saveexec_b32 s1, vcc_lo
	s_cbranch_execnz .LBB56_62
; %bb.45:                               ;   in Loop: Header=BB56_29 Depth=1
	s_or_b32 exec_lo, exec_lo, s1
	global_load_dwordx4 v[57:60], v[67:68], off offset:512
	s_and_saveexec_b32 s1, vcc_lo
	s_cbranch_execnz .LBB56_63
.LBB56_46:                              ;   in Loop: Header=BB56_29 Depth=1
	s_or_b32 exec_lo, exec_lo, s1
	global_load_dwordx4 v[61:64], v[67:68], off offset:1024
	s_and_saveexec_b32 s1, vcc_lo
	s_cbranch_execnz .LBB56_64
.LBB56_47:                              ;   in Loop: Header=BB56_29 Depth=1
	s_or_b32 exec_lo, exec_lo, s1
	global_load_dwordx4 v[69:72], v[67:68], off offset:1536
	s_and_saveexec_b32 s1, vcc_lo
	s_cbranch_execz .LBB56_49
.LBB56_48:                              ;   in Loop: Header=BB56_29 Depth=1
	v_cmp_gt_i32_e64 s0, s25, v118
	s_waitcnt vmcnt(0)
	v_cndmask_b32_e64 v69, 0, v69, s0
	v_cmp_gt_i32_e64 s0, s25, v120
	v_cndmask_b32_e64 v70, 0, v70, s0
	v_cmp_gt_i32_e64 s0, s25, v119
	;; [unrolled: 2-line block ×3, first 2 shown]
	v_cndmask_b32_e64 v72, 0, v72, s0
.LBB56_49:                              ;   in Loop: Header=BB56_29 Depth=1
	s_or_b32 exec_lo, exec_lo, s1
	v_add_co_u32 v65, s0, 0x2000, v65
	v_add_co_ci_u32_e64 v66, null, 0, v66, s0
	global_load_dwordx4 v[73:76], v[65:66], off
	s_and_saveexec_b32 s1, vcc_lo
	s_cbranch_execnz .LBB56_65
; %bb.50:                               ;   in Loop: Header=BB56_29 Depth=1
	s_or_b32 exec_lo, exec_lo, s1
	global_load_dwordx4 v[77:80], v[65:66], off offset:512
	s_and_saveexec_b32 s13, vcc_lo
	s_cbranch_execnz .LBB56_66
.LBB56_51:                              ;   in Loop: Header=BB56_29 Depth=1
	s_or_b32 exec_lo, exec_lo, s13
	global_load_dwordx4 v[81:84], v[65:66], off offset:1024
	s_and_saveexec_b32 s1, vcc_lo
	s_cbranch_execnz .LBB56_67
.LBB56_52:                              ;   in Loop: Header=BB56_29 Depth=1
	s_or_b32 exec_lo, exec_lo, s1
	global_load_dwordx4 v[65:68], v[65:66], off offset:1536
	s_and_saveexec_b32 s0, vcc_lo
	s_cbranch_execz .LBB56_28
	s_branch .LBB56_68
.LBB56_53:                              ;   in Loop: Header=BB56_29 Depth=1
	v_cmp_gt_i32_e64 s0, s25, v118
	s_waitcnt vmcnt(0)
	v_cndmask_b32_e64 v5, 0, v5, s0
	v_cmp_gt_i32_e64 s0, s25, v120
	v_cndmask_b32_e64 v6, 0, v6, s0
	v_cmp_gt_i32_e64 s0, s25, v119
	;; [unrolled: 2-line block ×3, first 2 shown]
	v_cndmask_b32_e64 v8, 0, v8, s0
	s_or_b32 exec_lo, exec_lo, s1
	global_load_dwordx4 v[9:12], v[65:66], off offset:512
	s_and_saveexec_b32 s1, vcc_lo
	s_cbranch_execz .LBB56_31
.LBB56_54:                              ;   in Loop: Header=BB56_29 Depth=1
	v_cmp_gt_i32_e64 s0, s25, v118
	s_waitcnt vmcnt(0)
	v_cndmask_b32_e64 v9, 0, v9, s0
	v_cmp_gt_i32_e64 s0, s25, v120
	v_cndmask_b32_e64 v10, 0, v10, s0
	v_cmp_gt_i32_e64 s0, s25, v119
	;; [unrolled: 2-line block ×3, first 2 shown]
	v_cndmask_b32_e64 v12, 0, v12, s0
	s_or_b32 exec_lo, exec_lo, s1
	global_load_dwordx4 v[13:16], v[65:66], off offset:1024
	s_and_saveexec_b32 s1, vcc_lo
	s_cbranch_execz .LBB56_32
.LBB56_55:                              ;   in Loop: Header=BB56_29 Depth=1
	v_cmp_gt_i32_e64 s0, s25, v118
	s_waitcnt vmcnt(0)
	v_cndmask_b32_e64 v13, 0, v13, s0
	v_cmp_gt_i32_e64 s0, s25, v120
	v_cndmask_b32_e64 v14, 0, v14, s0
	v_cmp_gt_i32_e64 s0, s25, v119
	;; [unrolled: 2-line block ×3, first 2 shown]
	v_cndmask_b32_e64 v16, 0, v16, s0
	s_or_b32 exec_lo, exec_lo, s1
	global_load_dwordx4 v[17:20], v[65:66], off offset:1536
	s_and_saveexec_b32 s1, vcc_lo
	s_cbranch_execnz .LBB56_33
	s_branch .LBB56_34
.LBB56_56:                              ;   in Loop: Header=BB56_29 Depth=1
	v_cmp_gt_i32_e64 s0, s25, v118
	s_waitcnt vmcnt(0)
	v_cndmask_b32_e64 v21, 0, v21, s0
	v_cmp_gt_i32_e64 s0, s25, v120
	v_cndmask_b32_e64 v22, 0, v22, s0
	v_cmp_gt_i32_e64 s0, s25, v119
	;; [unrolled: 2-line block ×3, first 2 shown]
	v_cndmask_b32_e64 v24, 0, v24, s0
	s_or_b32 exec_lo, exec_lo, s1
	global_load_dwordx4 v[25:28], v[33:34], off offset:512
	s_and_saveexec_b32 s1, vcc_lo
	s_cbranch_execz .LBB56_36
.LBB56_57:                              ;   in Loop: Header=BB56_29 Depth=1
	v_cmp_gt_i32_e64 s0, s25, v118
	s_waitcnt vmcnt(0)
	v_cndmask_b32_e64 v25, 0, v25, s0
	v_cmp_gt_i32_e64 s0, s25, v120
	v_cndmask_b32_e64 v26, 0, v26, s0
	v_cmp_gt_i32_e64 s0, s25, v119
	;; [unrolled: 2-line block ×3, first 2 shown]
	v_cndmask_b32_e64 v28, 0, v28, s0
	s_or_b32 exec_lo, exec_lo, s1
	global_load_dwordx4 v[29:32], v[33:34], off offset:1024
	s_and_saveexec_b32 s1, vcc_lo
	s_cbranch_execz .LBB56_37
.LBB56_58:                              ;   in Loop: Header=BB56_29 Depth=1
	v_cmp_gt_i32_e64 s0, s25, v118
	s_waitcnt vmcnt(0)
	v_cndmask_b32_e64 v29, 0, v29, s0
	v_cmp_gt_i32_e64 s0, s25, v120
	v_cndmask_b32_e64 v30, 0, v30, s0
	v_cmp_gt_i32_e64 s0, s25, v119
	;; [unrolled: 2-line block ×3, first 2 shown]
	v_cndmask_b32_e64 v32, 0, v32, s0
	s_or_b32 exec_lo, exec_lo, s1
	global_load_dwordx4 v[33:36], v[33:34], off offset:1536
	s_and_saveexec_b32 s1, vcc_lo
	s_cbranch_execnz .LBB56_38
	s_branch .LBB56_39
.LBB56_59:                              ;   in Loop: Header=BB56_29 Depth=1
	v_cmp_gt_i32_e64 s0, s25, v118
	s_waitcnt vmcnt(0)
	v_cndmask_b32_e64 v37, 0, v37, s0
	v_cmp_gt_i32_e64 s0, s25, v120
	v_cndmask_b32_e64 v38, 0, v38, s0
	v_cmp_gt_i32_e64 s0, s25, v119
	;; [unrolled: 2-line block ×3, first 2 shown]
	v_cndmask_b32_e64 v40, 0, v40, s0
	s_or_b32 exec_lo, exec_lo, s1
	global_load_dwordx4 v[41:44], v[49:50], off offset:512
	s_and_saveexec_b32 s1, vcc_lo
	s_cbranch_execz .LBB56_41
.LBB56_60:                              ;   in Loop: Header=BB56_29 Depth=1
	v_cmp_gt_i32_e64 s0, s25, v118
	s_waitcnt vmcnt(0)
	v_cndmask_b32_e64 v41, 0, v41, s0
	v_cmp_gt_i32_e64 s0, s25, v120
	v_cndmask_b32_e64 v42, 0, v42, s0
	v_cmp_gt_i32_e64 s0, s25, v119
	v_cndmask_b32_e64 v43, 0, v43, s0
	v_cmp_gt_i32_e64 s0, s25, v116
	v_cndmask_b32_e64 v44, 0, v44, s0
	s_or_b32 exec_lo, exec_lo, s1
	global_load_dwordx4 v[45:48], v[49:50], off offset:1024
	s_and_saveexec_b32 s1, vcc_lo
	s_cbranch_execz .LBB56_42
.LBB56_61:                              ;   in Loop: Header=BB56_29 Depth=1
	v_cmp_gt_i32_e64 s0, s25, v118
	s_waitcnt vmcnt(0)
	v_cndmask_b32_e64 v45, 0, v45, s0
	v_cmp_gt_i32_e64 s0, s25, v120
	v_cndmask_b32_e64 v46, 0, v46, s0
	v_cmp_gt_i32_e64 s0, s25, v119
	;; [unrolled: 2-line block ×3, first 2 shown]
	v_cndmask_b32_e64 v48, 0, v48, s0
	s_or_b32 exec_lo, exec_lo, s1
	global_load_dwordx4 v[49:52], v[49:50], off offset:1536
	s_and_saveexec_b32 s1, vcc_lo
	s_cbranch_execnz .LBB56_43
	s_branch .LBB56_44
.LBB56_62:                              ;   in Loop: Header=BB56_29 Depth=1
	v_cmp_gt_i32_e64 s0, s25, v118
	s_waitcnt vmcnt(0)
	v_cndmask_b32_e64 v53, 0, v53, s0
	v_cmp_gt_i32_e64 s0, s25, v120
	v_cndmask_b32_e64 v54, 0, v54, s0
	v_cmp_gt_i32_e64 s0, s25, v119
	;; [unrolled: 2-line block ×3, first 2 shown]
	v_cndmask_b32_e64 v56, 0, v56, s0
	s_or_b32 exec_lo, exec_lo, s1
	global_load_dwordx4 v[57:60], v[67:68], off offset:512
	s_and_saveexec_b32 s1, vcc_lo
	s_cbranch_execz .LBB56_46
.LBB56_63:                              ;   in Loop: Header=BB56_29 Depth=1
	v_cmp_gt_i32_e64 s0, s25, v118
	s_waitcnt vmcnt(0)
	v_cndmask_b32_e64 v57, 0, v57, s0
	v_cmp_gt_i32_e64 s0, s25, v120
	v_cndmask_b32_e64 v58, 0, v58, s0
	v_cmp_gt_i32_e64 s0, s25, v119
	;; [unrolled: 2-line block ×3, first 2 shown]
	v_cndmask_b32_e64 v60, 0, v60, s0
	s_or_b32 exec_lo, exec_lo, s1
	global_load_dwordx4 v[61:64], v[67:68], off offset:1024
	s_and_saveexec_b32 s1, vcc_lo
	s_cbranch_execz .LBB56_47
.LBB56_64:                              ;   in Loop: Header=BB56_29 Depth=1
	v_cmp_gt_i32_e64 s0, s25, v118
	s_waitcnt vmcnt(0)
	v_cndmask_b32_e64 v61, 0, v61, s0
	v_cmp_gt_i32_e64 s0, s25, v120
	v_cndmask_b32_e64 v62, 0, v62, s0
	v_cmp_gt_i32_e64 s0, s25, v119
	;; [unrolled: 2-line block ×3, first 2 shown]
	v_cndmask_b32_e64 v64, 0, v64, s0
	s_or_b32 exec_lo, exec_lo, s1
	global_load_dwordx4 v[69:72], v[67:68], off offset:1536
	s_and_saveexec_b32 s1, vcc_lo
	s_cbranch_execnz .LBB56_48
	s_branch .LBB56_49
.LBB56_65:                              ;   in Loop: Header=BB56_29 Depth=1
	v_cmp_gt_i32_e64 s0, s25, v118
	s_waitcnt vmcnt(0)
	v_cndmask_b32_e64 v73, 0, v73, s0
	v_cmp_gt_i32_e64 s0, s25, v120
	v_cndmask_b32_e64 v74, 0, v74, s0
	v_cmp_gt_i32_e64 s0, s25, v119
	v_cndmask_b32_e64 v75, 0, v75, s0
	v_cmp_gt_i32_e64 s0, s25, v116
	v_cndmask_b32_e64 v76, 0, v76, s0
	s_or_b32 exec_lo, exec_lo, s1
	global_load_dwordx4 v[77:80], v[65:66], off offset:512
	s_and_saveexec_b32 s13, vcc_lo
	s_cbranch_execz .LBB56_51
.LBB56_66:                              ;   in Loop: Header=BB56_29 Depth=1
	v_cmp_gt_i32_e64 s0, s25, v118
	v_cmp_gt_i32_e64 s1, s25, v120
	;; [unrolled: 1-line block ×4, first 2 shown]
	s_waitcnt vmcnt(0)
	v_cndmask_b32_e64 v77, 0, v77, s0
	v_cndmask_b32_e64 v78, 0, v78, s1
	;; [unrolled: 1-line block ×4, first 2 shown]
	s_or_b32 exec_lo, exec_lo, s13
	global_load_dwordx4 v[81:84], v[65:66], off offset:1024
	s_and_saveexec_b32 s1, vcc_lo
	s_cbranch_execz .LBB56_52
.LBB56_67:                              ;   in Loop: Header=BB56_29 Depth=1
	v_cmp_gt_i32_e64 s0, s25, v118
	s_waitcnt vmcnt(0)
	v_cndmask_b32_e64 v81, 0, v81, s0
	v_cmp_gt_i32_e64 s0, s25, v120
	v_cndmask_b32_e64 v82, 0, v82, s0
	v_cmp_gt_i32_e64 s0, s25, v119
	;; [unrolled: 2-line block ×3, first 2 shown]
	v_cndmask_b32_e64 v84, 0, v84, s0
	s_or_b32 exec_lo, exec_lo, s1
	global_load_dwordx4 v[65:68], v[65:66], off offset:1536
	s_and_saveexec_b32 s0, vcc_lo
	s_cbranch_execz .LBB56_28
.LBB56_68:                              ;   in Loop: Header=BB56_29 Depth=1
	v_cmp_gt_i32_e32 vcc_lo, s25, v118
	s_waitcnt vmcnt(0)
	v_cndmask_b32_e32 v65, 0, v65, vcc_lo
	v_cmp_gt_i32_e32 vcc_lo, s25, v120
	v_cndmask_b32_e32 v66, 0, v66, vcc_lo
	v_cmp_gt_i32_e32 vcc_lo, s25, v119
	;; [unrolled: 2-line block ×3, first 2 shown]
	v_cndmask_b32_e32 v68, 0, v68, vcc_lo
	s_branch .LBB56_28
.LBB56_69:
	s_or_b32 exec_lo, exec_lo, s6
.LBB56_70:
	s_or_b32 exec_lo, exec_lo, s5
	ds_bpermute_b32 v7, v92, v107
	ds_bpermute_b32 v8, v92, v106
	;; [unrolled: 1-line block ×19, first 2 shown]
	s_mov_b32 s0, exec_lo
	s_waitcnt lgkmcnt(18)
	v_add_f32_e32 v7, v107, v7
	s_waitcnt lgkmcnt(17)
	v_add_f32_e32 v8, v106, v8
	;; [unrolled: 2-line block ×5, first 2 shown]
	ds_bpermute_b32 v18, v91, v7
	ds_bpermute_b32 v27, v91, v8
	;; [unrolled: 1-line block ×4, first 2 shown]
	s_waitcnt lgkmcnt(17)
	v_add_f32_e32 v21, v100, v21
	s_waitcnt lgkmcnt(16)
	v_add_f32_e32 v1, v111, v1
	;; [unrolled: 2-line block ×6, first 2 shown]
	ds_bpermute_b32 v14, v91, v3
	s_waitcnt lgkmcnt(12)
	v_add_f32_e32 v11, v103, v11
	s_waitcnt lgkmcnt(11)
	v_add_f32_e32 v19, v102, v19
	;; [unrolled: 2-line block ×6, first 2 shown]
	ds_bpermute_b32 v33, v91, v21
	s_waitcnt lgkmcnt(7)
	v_add_f32_e32 v25, v96, v25
	s_waitcnt lgkmcnt(6)
	v_add_f32_e32 v26, v95, v26
	s_waitcnt lgkmcnt(5)
	v_add_f32_e32 v7, v7, v18
	ds_bpermute_b32 v18, v92, v94
	ds_bpermute_b32 v12, v91, v1
	;; [unrolled: 1-line block ×6, first 2 shown]
	s_waitcnt lgkmcnt(10)
	v_add_f32_e32 v8, v8, v27
	ds_bpermute_b32 v27, v91, v11
	ds_bpermute_b32 v31, v91, v19
	;; [unrolled: 1-line block ×6, first 2 shown]
	s_waitcnt lgkmcnt(15)
	v_add_f32_e32 v9, v9, v28
	ds_bpermute_b32 v28, v91, v25
	s_waitcnt lgkmcnt(15)
	v_add_f32_e32 v10, v10, v29
	ds_bpermute_b32 v29, v91, v26
	s_waitcnt lgkmcnt(15)
	v_add_f32_e32 v3, v3, v14
	s_waitcnt lgkmcnt(14)
	v_add_f32_e32 v21, v21, v33
	ds_bpermute_b32 v30, v90, v7
	s_waitcnt lgkmcnt(14)
	v_add_f32_e32 v18, v94, v18
	s_waitcnt lgkmcnt(13)
	v_add_f32_e32 v1, v1, v12
	;; [unrolled: 2-line block ×5, first 2 shown]
	ds_bpermute_b32 v37, v91, v18
	s_waitcnt lgkmcnt(10)
	v_add_f32_e32 v6, v6, v17
	ds_bpermute_b32 v14, v90, v3
	s_waitcnt lgkmcnt(10)
	v_add_f32_e32 v11, v11, v27
	s_waitcnt lgkmcnt(9)
	v_add_f32_e32 v19, v19, v31
	;; [unrolled: 2-line block ×6, first 2 shown]
	ds_bpermute_b32 v34, v90, v21
	s_waitcnt lgkmcnt(5)
	v_add_f32_e32 v25, v25, v28
	s_waitcnt lgkmcnt(4)
	v_add_f32_e32 v26, v26, v29
	ds_bpermute_b32 v12, v90, v1
	ds_bpermute_b32 v13, v90, v2
	;; [unrolled: 1-line block ×8, first 2 shown]
	s_waitcnt lgkmcnt(10)
	v_add_f32_e32 v29, v18, v37
	ds_bpermute_b32 v39, v90, v11
	ds_bpermute_b32 v32, v90, v19
	;; [unrolled: 1-line block ×9, first 2 shown]
	s_waitcnt lgkmcnt(18)
	v_add_f32_e32 v3, v3, v14
	s_waitcnt lgkmcnt(17)
	v_add_f32_e32 v14, v21, v34
	v_lshrrev_b32_e32 v21, 3, v89
	s_waitcnt lgkmcnt(16)
	v_add_f32_e32 v1, v1, v12
	s_waitcnt lgkmcnt(15)
	v_add_f32_e32 v2, v2, v13
	;; [unrolled: 2-line block ×5, first 2 shown]
	v_add_f32_e32 v7, v7, v30
	s_waitcnt lgkmcnt(11)
	v_add_f32_e32 v8, v8, v27
	s_waitcnt lgkmcnt(10)
	;; [unrolled: 2-line block ×10, first 2 shown]
	v_add_f32_e32 v18, v25, v18
	v_and_b32_e32 v24, 0x3c7, v0
	s_waitcnt lgkmcnt(1)
	v_add_f32_e32 v19, v26, v37
	s_waitcnt lgkmcnt(0)
	v_add_f32_e32 v20, v29, v40
	v_lshl_add_u32 v22, v21, 2, 0x160
	v_mul_u32_u24_e32 v23, 0x140, v88
	s_waitcnt_vscnt null, 0x0
	s_barrier
	buffer_gl0_inv
	v_cmpx_eq_u32_e32 64, v24
	s_cbranch_execz .LBB56_72
; %bb.71:
	v_add_nc_u32_e32 v24, v22, v23
	v_add_nc_u32_e32 v25, 0xfffffd80, v24
	;; [unrolled: 1-line block ×6, first 2 shown]
	ds_write_b32 v25, v1
	ds_write_b32 v26, v2
	ds_write_b32 v27, v3
	ds_write_b32 v28, v4
	ds_write_b32 v29, v5
	v_add_nc_u32_e32 v25, 0xfffffdd0, v24
	v_add_nc_u32_e32 v26, 0xfffffde0, v24
	v_add_nc_u32_e32 v27, 0xfffffdf0, v24
	v_add_nc_u32_e32 v28, 0xfffffe00, v24
	v_add_nc_u32_e32 v29, 0xfffffe10, v24
	ds_write_b32 v25, v6
	ds_write_b32 v26, v7
	ds_write_b32 v27, v8
	ds_write_b32 v28, v9
	ds_write_b32 v29, v10
	v_add_nc_u32_e32 v25, 0xfffffe20, v24
	v_add_nc_u32_e32 v26, 0xfffffe30, v24
	v_add_nc_u32_e32 v27, 0xfffffe40, v24
	v_add_nc_u32_e32 v28, 0xfffffe50, v24
	v_add_nc_u32_e32 v29, 0xfffffe60, v24
	;; [unrolled: 10-line block ×3, first 2 shown]
	ds_write_b32 v25, v16
	ds_write_b32 v26, v17
	;; [unrolled: 1-line block ×5, first 2 shown]
.LBB56_72:
	s_or_b32 exec_lo, exec_lo, s0
	v_lshlrev_b32_e32 v21, 2, v21
	s_mov_b32 s1, exec_lo
	v_cmp_eq_u32_e32 vcc_lo, 0, v93
	s_waitcnt lgkmcnt(0)
	s_barrier
	v_add3_u32 v21, 0x160, v23, v21
	buffer_gl0_inv
	v_cmpx_gt_u32_e32 64, v0
	s_cbranch_execz .LBB56_95
; %bb.73:
	s_and_saveexec_b32 s0, vcc_lo
	s_cbranch_execnz .LBB56_123
; %bb.74:
	s_or_b32 exec_lo, exec_lo, s0
	s_and_saveexec_b32 s0, vcc_lo
	s_cbranch_execnz .LBB56_124
.LBB56_75:
	s_or_b32 exec_lo, exec_lo, s0
	s_and_saveexec_b32 s0, vcc_lo
	s_cbranch_execnz .LBB56_125
.LBB56_76:
	s_or_b32 exec_lo, exec_lo, s0
	s_and_saveexec_b32 s0, vcc_lo
	s_cbranch_execnz .LBB56_126
.LBB56_77:
	s_or_b32 exec_lo, exec_lo, s0
	s_and_saveexec_b32 s0, vcc_lo
	s_cbranch_execnz .LBB56_127
.LBB56_78:
	s_or_b32 exec_lo, exec_lo, s0
	s_and_saveexec_b32 s0, vcc_lo
	s_cbranch_execnz .LBB56_128
.LBB56_79:
	s_or_b32 exec_lo, exec_lo, s0
	s_and_saveexec_b32 s0, vcc_lo
	s_cbranch_execnz .LBB56_129
.LBB56_80:
	s_or_b32 exec_lo, exec_lo, s0
	s_and_saveexec_b32 s0, vcc_lo
	s_cbranch_execnz .LBB56_130
.LBB56_81:
	s_or_b32 exec_lo, exec_lo, s0
	s_and_saveexec_b32 s0, vcc_lo
	s_cbranch_execnz .LBB56_131
.LBB56_82:
	s_or_b32 exec_lo, exec_lo, s0
	s_and_saveexec_b32 s0, vcc_lo
	s_cbranch_execnz .LBB56_132
.LBB56_83:
	s_or_b32 exec_lo, exec_lo, s0
	s_and_saveexec_b32 s0, vcc_lo
	s_cbranch_execnz .LBB56_133
.LBB56_84:
	s_or_b32 exec_lo, exec_lo, s0
	s_and_saveexec_b32 s0, vcc_lo
	s_cbranch_execnz .LBB56_134
.LBB56_85:
	s_or_b32 exec_lo, exec_lo, s0
	s_and_saveexec_b32 s0, vcc_lo
	s_cbranch_execnz .LBB56_135
.LBB56_86:
	s_or_b32 exec_lo, exec_lo, s0
	s_and_saveexec_b32 s0, vcc_lo
	s_cbranch_execnz .LBB56_136
.LBB56_87:
	s_or_b32 exec_lo, exec_lo, s0
	s_and_saveexec_b32 s0, vcc_lo
	s_cbranch_execnz .LBB56_137
.LBB56_88:
	s_or_b32 exec_lo, exec_lo, s0
	s_and_saveexec_b32 s0, vcc_lo
	s_cbranch_execnz .LBB56_138
.LBB56_89:
	s_or_b32 exec_lo, exec_lo, s0
	s_and_saveexec_b32 s0, vcc_lo
	s_cbranch_execnz .LBB56_139
.LBB56_90:
	s_or_b32 exec_lo, exec_lo, s0
	s_and_saveexec_b32 s0, vcc_lo
	s_cbranch_execnz .LBB56_140
.LBB56_91:
	s_or_b32 exec_lo, exec_lo, s0
	s_and_saveexec_b32 s0, vcc_lo
	s_cbranch_execnz .LBB56_141
.LBB56_92:
	s_or_b32 exec_lo, exec_lo, s0
	s_and_saveexec_b32 s0, vcc_lo
	s_cbranch_execz .LBB56_94
.LBB56_93:
	ds_read_b32 v23, v21 offset:304
	s_waitcnt lgkmcnt(0)
	v_add_f32_e32 v20, v20, v23
.LBB56_94:
	s_or_b32 exec_lo, exec_lo, s0
.LBB56_95:
	s_or_b32 exec_lo, exec_lo, s1
	v_and_b32_e32 v23, 0x3e7, v0
	s_mov_b32 s1, exec_lo
	s_barrier
	buffer_gl0_inv
	v_cmpx_eq_u32_e32 32, v23
	s_cbranch_execz .LBB56_97
; %bb.96:
	ds_write2_b32 v22, v1, v2 offset1:4
	ds_write2_b32 v22, v3, v4 offset0:8 offset1:12
	ds_write2_b32 v22, v5, v6 offset0:16 offset1:20
	;; [unrolled: 1-line block ×9, first 2 shown]
.LBB56_97:
	s_or_b32 exec_lo, exec_lo, s1
	s_mov_b32 s1, exec_lo
	s_waitcnt lgkmcnt(0)
	s_barrier
	buffer_gl0_inv
	v_cmpx_gt_u32_e32 32, v0
	s_cbranch_execz .LBB56_120
; %bb.98:
	s_and_saveexec_b32 s0, vcc_lo
	s_cbranch_execnz .LBB56_142
; %bb.99:
	s_or_b32 exec_lo, exec_lo, s0
	s_and_saveexec_b32 s0, vcc_lo
	s_cbranch_execnz .LBB56_143
.LBB56_100:
	s_or_b32 exec_lo, exec_lo, s0
	s_and_saveexec_b32 s0, vcc_lo
	s_cbranch_execnz .LBB56_144
.LBB56_101:
	s_or_b32 exec_lo, exec_lo, s0
	s_and_saveexec_b32 s0, vcc_lo
	s_cbranch_execnz .LBB56_145
.LBB56_102:
	s_or_b32 exec_lo, exec_lo, s0
	s_and_saveexec_b32 s0, vcc_lo
	s_cbranch_execnz .LBB56_146
.LBB56_103:
	s_or_b32 exec_lo, exec_lo, s0
	s_and_saveexec_b32 s0, vcc_lo
	s_cbranch_execnz .LBB56_147
.LBB56_104:
	s_or_b32 exec_lo, exec_lo, s0
	s_and_saveexec_b32 s0, vcc_lo
	s_cbranch_execnz .LBB56_148
.LBB56_105:
	s_or_b32 exec_lo, exec_lo, s0
	s_and_saveexec_b32 s0, vcc_lo
	s_cbranch_execnz .LBB56_149
.LBB56_106:
	s_or_b32 exec_lo, exec_lo, s0
	s_and_saveexec_b32 s0, vcc_lo
	s_cbranch_execnz .LBB56_150
.LBB56_107:
	s_or_b32 exec_lo, exec_lo, s0
	s_and_saveexec_b32 s0, vcc_lo
	s_cbranch_execnz .LBB56_151
.LBB56_108:
	s_or_b32 exec_lo, exec_lo, s0
	s_and_saveexec_b32 s0, vcc_lo
	s_cbranch_execnz .LBB56_152
.LBB56_109:
	s_or_b32 exec_lo, exec_lo, s0
	s_and_saveexec_b32 s0, vcc_lo
	s_cbranch_execnz .LBB56_153
.LBB56_110:
	s_or_b32 exec_lo, exec_lo, s0
	s_and_saveexec_b32 s0, vcc_lo
	s_cbranch_execnz .LBB56_154
.LBB56_111:
	s_or_b32 exec_lo, exec_lo, s0
	s_and_saveexec_b32 s0, vcc_lo
	s_cbranch_execnz .LBB56_155
.LBB56_112:
	s_or_b32 exec_lo, exec_lo, s0
	s_and_saveexec_b32 s0, vcc_lo
	s_cbranch_execnz .LBB56_156
.LBB56_113:
	s_or_b32 exec_lo, exec_lo, s0
	s_and_saveexec_b32 s0, vcc_lo
	s_cbranch_execnz .LBB56_157
.LBB56_114:
	s_or_b32 exec_lo, exec_lo, s0
	s_and_saveexec_b32 s0, vcc_lo
	s_cbranch_execnz .LBB56_158
.LBB56_115:
	s_or_b32 exec_lo, exec_lo, s0
	s_and_saveexec_b32 s0, vcc_lo
	s_cbranch_execnz .LBB56_159
.LBB56_116:
	s_or_b32 exec_lo, exec_lo, s0
	s_and_saveexec_b32 s0, vcc_lo
	s_cbranch_execnz .LBB56_160
.LBB56_117:
	s_or_b32 exec_lo, exec_lo, s0
	s_and_saveexec_b32 s0, vcc_lo
	s_cbranch_execz .LBB56_119
.LBB56_118:
	ds_read_b32 v21, v21 offset:304
	s_waitcnt lgkmcnt(0)
	v_add_f32_e32 v20, v20, v21
.LBB56_119:
	s_or_b32 exec_lo, exec_lo, s0
.LBB56_120:
	s_or_b32 exec_lo, exec_lo, s1
	s_barrier
	buffer_gl0_inv
	s_mov_b32 s0, exec_lo
	v_cmpx_eq_u32_e32 0, v23
	s_cbranch_execz .LBB56_122
; %bb.121:
	s_mul_i32 s0, s4, 0x50
	s_mul_i32 s2, s7, s10
	s_ashr_i32 s1, s0, 31
	v_lshrrev_b32_e32 v0, 1, v0
	s_lshl_b64 s[0:1], s[0:1], 2
	s_add_u32 s4, s20, s0
	s_addc_u32 s5, s21, s1
	s_ashr_i32 s3, s2, 31
	s_lshl_b64 s[0:1], s[2:3], 2
	s_mul_i32 s2, s8, 0x50
	s_add_u32 s4, s4, s0
	s_addc_u32 s5, s5, s1
	s_ashr_i32 s3, s2, 31
	s_lshl_b64 s[0:1], s[2:3], 2
	s_add_u32 s0, s4, s0
	s_addc_u32 s1, s5, s1
	global_store_dword v0, v1, s[0:1]
	global_store_dword v0, v2, s[0:1] offset:16
	global_store_dword v0, v3, s[0:1] offset:32
	;; [unrolled: 1-line block ×19, first 2 shown]
.LBB56_122:
	s_endpgm
.LBB56_123:
	ds_read_b32 v23, v21
	s_waitcnt lgkmcnt(0)
	v_add_f32_e32 v1, v1, v23
	s_or_b32 exec_lo, exec_lo, s0
	s_and_saveexec_b32 s0, vcc_lo
	s_cbranch_execz .LBB56_75
.LBB56_124:
	ds_read_b32 v23, v21 offset:16
	s_waitcnt lgkmcnt(0)
	v_add_f32_e32 v2, v2, v23
	s_or_b32 exec_lo, exec_lo, s0
	s_and_saveexec_b32 s0, vcc_lo
	s_cbranch_execz .LBB56_76
.LBB56_125:
	ds_read_b32 v23, v21 offset:32
	s_waitcnt lgkmcnt(0)
	v_add_f32_e32 v3, v3, v23
	s_or_b32 exec_lo, exec_lo, s0
	s_and_saveexec_b32 s0, vcc_lo
	s_cbranch_execz .LBB56_77
.LBB56_126:
	ds_read_b32 v23, v21 offset:48
	s_waitcnt lgkmcnt(0)
	v_add_f32_e32 v4, v4, v23
	s_or_b32 exec_lo, exec_lo, s0
	s_and_saveexec_b32 s0, vcc_lo
	s_cbranch_execz .LBB56_78
.LBB56_127:
	ds_read_b32 v23, v21 offset:64
	s_waitcnt lgkmcnt(0)
	v_add_f32_e32 v5, v5, v23
	s_or_b32 exec_lo, exec_lo, s0
	s_and_saveexec_b32 s0, vcc_lo
	s_cbranch_execz .LBB56_79
.LBB56_128:
	ds_read_b32 v23, v21 offset:80
	s_waitcnt lgkmcnt(0)
	v_add_f32_e32 v6, v6, v23
	s_or_b32 exec_lo, exec_lo, s0
	s_and_saveexec_b32 s0, vcc_lo
	s_cbranch_execz .LBB56_80
.LBB56_129:
	ds_read_b32 v23, v21 offset:96
	s_waitcnt lgkmcnt(0)
	v_add_f32_e32 v7, v7, v23
	s_or_b32 exec_lo, exec_lo, s0
	s_and_saveexec_b32 s0, vcc_lo
	s_cbranch_execz .LBB56_81
.LBB56_130:
	ds_read_b32 v23, v21 offset:112
	s_waitcnt lgkmcnt(0)
	v_add_f32_e32 v8, v8, v23
	s_or_b32 exec_lo, exec_lo, s0
	s_and_saveexec_b32 s0, vcc_lo
	s_cbranch_execz .LBB56_82
.LBB56_131:
	ds_read_b32 v23, v21 offset:128
	s_waitcnt lgkmcnt(0)
	v_add_f32_e32 v9, v9, v23
	s_or_b32 exec_lo, exec_lo, s0
	s_and_saveexec_b32 s0, vcc_lo
	s_cbranch_execz .LBB56_83
.LBB56_132:
	ds_read_b32 v23, v21 offset:144
	s_waitcnt lgkmcnt(0)
	v_add_f32_e32 v10, v10, v23
	s_or_b32 exec_lo, exec_lo, s0
	s_and_saveexec_b32 s0, vcc_lo
	s_cbranch_execz .LBB56_84
.LBB56_133:
	ds_read_b32 v23, v21 offset:160
	s_waitcnt lgkmcnt(0)
	v_add_f32_e32 v11, v11, v23
	s_or_b32 exec_lo, exec_lo, s0
	s_and_saveexec_b32 s0, vcc_lo
	s_cbranch_execz .LBB56_85
.LBB56_134:
	ds_read_b32 v23, v21 offset:176
	s_waitcnt lgkmcnt(0)
	v_add_f32_e32 v12, v12, v23
	s_or_b32 exec_lo, exec_lo, s0
	s_and_saveexec_b32 s0, vcc_lo
	s_cbranch_execz .LBB56_86
.LBB56_135:
	ds_read_b32 v23, v21 offset:192
	s_waitcnt lgkmcnt(0)
	v_add_f32_e32 v13, v13, v23
	s_or_b32 exec_lo, exec_lo, s0
	s_and_saveexec_b32 s0, vcc_lo
	s_cbranch_execz .LBB56_87
.LBB56_136:
	ds_read_b32 v23, v21 offset:208
	s_waitcnt lgkmcnt(0)
	v_add_f32_e32 v14, v14, v23
	s_or_b32 exec_lo, exec_lo, s0
	s_and_saveexec_b32 s0, vcc_lo
	s_cbranch_execz .LBB56_88
.LBB56_137:
	ds_read_b32 v23, v21 offset:224
	s_waitcnt lgkmcnt(0)
	v_add_f32_e32 v15, v15, v23
	s_or_b32 exec_lo, exec_lo, s0
	s_and_saveexec_b32 s0, vcc_lo
	s_cbranch_execz .LBB56_89
.LBB56_138:
	ds_read_b32 v23, v21 offset:240
	s_waitcnt lgkmcnt(0)
	v_add_f32_e32 v16, v16, v23
	s_or_b32 exec_lo, exec_lo, s0
	s_and_saveexec_b32 s0, vcc_lo
	s_cbranch_execz .LBB56_90
.LBB56_139:
	ds_read_b32 v23, v21 offset:256
	s_waitcnt lgkmcnt(0)
	v_add_f32_e32 v17, v17, v23
	s_or_b32 exec_lo, exec_lo, s0
	s_and_saveexec_b32 s0, vcc_lo
	s_cbranch_execz .LBB56_91
.LBB56_140:
	ds_read_b32 v23, v21 offset:272
	s_waitcnt lgkmcnt(0)
	v_add_f32_e32 v18, v18, v23
	s_or_b32 exec_lo, exec_lo, s0
	s_and_saveexec_b32 s0, vcc_lo
	s_cbranch_execz .LBB56_92
.LBB56_141:
	ds_read_b32 v23, v21 offset:288
	s_waitcnt lgkmcnt(0)
	v_add_f32_e32 v19, v19, v23
	s_or_b32 exec_lo, exec_lo, s0
	s_and_saveexec_b32 s0, vcc_lo
	s_cbranch_execnz .LBB56_93
	s_branch .LBB56_94
.LBB56_142:
	ds_read_b32 v22, v21
	s_waitcnt lgkmcnt(0)
	v_add_f32_e32 v1, v1, v22
	s_or_b32 exec_lo, exec_lo, s0
	s_and_saveexec_b32 s0, vcc_lo
	s_cbranch_execz .LBB56_100
.LBB56_143:
	ds_read_b32 v22, v21 offset:16
	s_waitcnt lgkmcnt(0)
	v_add_f32_e32 v2, v2, v22
	s_or_b32 exec_lo, exec_lo, s0
	s_and_saveexec_b32 s0, vcc_lo
	s_cbranch_execz .LBB56_101
.LBB56_144:
	ds_read_b32 v22, v21 offset:32
	s_waitcnt lgkmcnt(0)
	v_add_f32_e32 v3, v3, v22
	s_or_b32 exec_lo, exec_lo, s0
	s_and_saveexec_b32 s0, vcc_lo
	s_cbranch_execz .LBB56_102
.LBB56_145:
	ds_read_b32 v22, v21 offset:48
	s_waitcnt lgkmcnt(0)
	v_add_f32_e32 v4, v4, v22
	s_or_b32 exec_lo, exec_lo, s0
	s_and_saveexec_b32 s0, vcc_lo
	s_cbranch_execz .LBB56_103
.LBB56_146:
	ds_read_b32 v22, v21 offset:64
	s_waitcnt lgkmcnt(0)
	v_add_f32_e32 v5, v5, v22
	s_or_b32 exec_lo, exec_lo, s0
	s_and_saveexec_b32 s0, vcc_lo
	s_cbranch_execz .LBB56_104
.LBB56_147:
	ds_read_b32 v22, v21 offset:80
	s_waitcnt lgkmcnt(0)
	v_add_f32_e32 v6, v6, v22
	s_or_b32 exec_lo, exec_lo, s0
	s_and_saveexec_b32 s0, vcc_lo
	s_cbranch_execz .LBB56_105
.LBB56_148:
	ds_read_b32 v22, v21 offset:96
	s_waitcnt lgkmcnt(0)
	v_add_f32_e32 v7, v7, v22
	s_or_b32 exec_lo, exec_lo, s0
	s_and_saveexec_b32 s0, vcc_lo
	s_cbranch_execz .LBB56_106
.LBB56_149:
	ds_read_b32 v22, v21 offset:112
	s_waitcnt lgkmcnt(0)
	v_add_f32_e32 v8, v8, v22
	s_or_b32 exec_lo, exec_lo, s0
	s_and_saveexec_b32 s0, vcc_lo
	s_cbranch_execz .LBB56_107
.LBB56_150:
	ds_read_b32 v22, v21 offset:128
	s_waitcnt lgkmcnt(0)
	v_add_f32_e32 v9, v9, v22
	s_or_b32 exec_lo, exec_lo, s0
	s_and_saveexec_b32 s0, vcc_lo
	s_cbranch_execz .LBB56_108
.LBB56_151:
	ds_read_b32 v22, v21 offset:144
	s_waitcnt lgkmcnt(0)
	v_add_f32_e32 v10, v10, v22
	s_or_b32 exec_lo, exec_lo, s0
	s_and_saveexec_b32 s0, vcc_lo
	s_cbranch_execz .LBB56_109
.LBB56_152:
	ds_read_b32 v22, v21 offset:160
	s_waitcnt lgkmcnt(0)
	v_add_f32_e32 v11, v11, v22
	s_or_b32 exec_lo, exec_lo, s0
	s_and_saveexec_b32 s0, vcc_lo
	s_cbranch_execz .LBB56_110
.LBB56_153:
	ds_read_b32 v22, v21 offset:176
	s_waitcnt lgkmcnt(0)
	v_add_f32_e32 v12, v12, v22
	s_or_b32 exec_lo, exec_lo, s0
	s_and_saveexec_b32 s0, vcc_lo
	s_cbranch_execz .LBB56_111
.LBB56_154:
	ds_read_b32 v22, v21 offset:192
	s_waitcnt lgkmcnt(0)
	v_add_f32_e32 v13, v13, v22
	s_or_b32 exec_lo, exec_lo, s0
	s_and_saveexec_b32 s0, vcc_lo
	s_cbranch_execz .LBB56_112
.LBB56_155:
	ds_read_b32 v22, v21 offset:208
	s_waitcnt lgkmcnt(0)
	v_add_f32_e32 v14, v14, v22
	s_or_b32 exec_lo, exec_lo, s0
	s_and_saveexec_b32 s0, vcc_lo
	s_cbranch_execz .LBB56_113
.LBB56_156:
	ds_read_b32 v22, v21 offset:224
	s_waitcnt lgkmcnt(0)
	v_add_f32_e32 v15, v15, v22
	s_or_b32 exec_lo, exec_lo, s0
	s_and_saveexec_b32 s0, vcc_lo
	s_cbranch_execz .LBB56_114
.LBB56_157:
	ds_read_b32 v22, v21 offset:240
	s_waitcnt lgkmcnt(0)
	v_add_f32_e32 v16, v16, v22
	s_or_b32 exec_lo, exec_lo, s0
	s_and_saveexec_b32 s0, vcc_lo
	s_cbranch_execz .LBB56_115
.LBB56_158:
	ds_read_b32 v22, v21 offset:256
	s_waitcnt lgkmcnt(0)
	v_add_f32_e32 v17, v17, v22
	s_or_b32 exec_lo, exec_lo, s0
	s_and_saveexec_b32 s0, vcc_lo
	s_cbranch_execz .LBB56_116
.LBB56_159:
	ds_read_b32 v22, v21 offset:272
	s_waitcnt lgkmcnt(0)
	v_add_f32_e32 v18, v18, v22
	s_or_b32 exec_lo, exec_lo, s0
	s_and_saveexec_b32 s0, vcc_lo
	s_cbranch_execz .LBB56_117
.LBB56_160:
	ds_read_b32 v22, v21 offset:288
	s_waitcnt lgkmcnt(0)
	v_add_f32_e32 v19, v19, v22
	s_or_b32 exec_lo, exec_lo, s0
	s_and_saveexec_b32 s0, vcc_lo
	s_cbranch_execnz .LBB56_118
	s_branch .LBB56_119
	.section	.rodata,"a",@progbits
	.p2align	6, 0x0
	.amdhsa_kernel _ZN4vllm25paged_attention_v2_kernelIffLi80ELi32ELi128ELNS_18Fp8KVCacheDataTypeE0ELb0ELi512EEEvPfS2_PT_PKS3_PKT0_S9_ifPKiSB_iPKfiiiSD_SD_iiiii
		.amdhsa_group_segment_fixed_size 352
		.amdhsa_private_segment_fixed_size 0
		.amdhsa_kernarg_size 400
		.amdhsa_user_sgpr_count 6
		.amdhsa_user_sgpr_private_segment_buffer 1
		.amdhsa_user_sgpr_dispatch_ptr 0
		.amdhsa_user_sgpr_queue_ptr 0
		.amdhsa_user_sgpr_kernarg_segment_ptr 1
		.amdhsa_user_sgpr_dispatch_id 0
		.amdhsa_user_sgpr_flat_scratch_init 0
		.amdhsa_user_sgpr_private_segment_size 0
		.amdhsa_wavefront_size32 1
		.amdhsa_uses_dynamic_stack 0
		.amdhsa_system_sgpr_private_segment_wavefront_offset 0
		.amdhsa_system_sgpr_workgroup_id_x 1
		.amdhsa_system_sgpr_workgroup_id_y 1
		.amdhsa_system_sgpr_workgroup_id_z 1
		.amdhsa_system_sgpr_workgroup_info 0
		.amdhsa_system_vgpr_workitem_id 0
		.amdhsa_next_free_vgpr 121
		.amdhsa_next_free_sgpr 38
		.amdhsa_reserve_vcc 1
		.amdhsa_reserve_flat_scratch 0
		.amdhsa_float_round_mode_32 0
		.amdhsa_float_round_mode_16_64 0
		.amdhsa_float_denorm_mode_32 3
		.amdhsa_float_denorm_mode_16_64 3
		.amdhsa_dx10_clamp 1
		.amdhsa_ieee_mode 1
		.amdhsa_fp16_overflow 0
		.amdhsa_workgroup_processor_mode 1
		.amdhsa_memory_ordered 1
		.amdhsa_forward_progress 1
		.amdhsa_shared_vgpr_count 0
		.amdhsa_exception_fp_ieee_invalid_op 0
		.amdhsa_exception_fp_denorm_src 0
		.amdhsa_exception_fp_ieee_div_zero 0
		.amdhsa_exception_fp_ieee_overflow 0
		.amdhsa_exception_fp_ieee_underflow 0
		.amdhsa_exception_fp_ieee_inexact 0
		.amdhsa_exception_int_div_zero 0
	.end_amdhsa_kernel
	.section	.text._ZN4vllm25paged_attention_v2_kernelIffLi80ELi32ELi128ELNS_18Fp8KVCacheDataTypeE0ELb0ELi512EEEvPfS2_PT_PKS3_PKT0_S9_ifPKiSB_iPKfiiiSD_SD_iiiii,"axG",@progbits,_ZN4vllm25paged_attention_v2_kernelIffLi80ELi32ELi128ELNS_18Fp8KVCacheDataTypeE0ELb0ELi512EEEvPfS2_PT_PKS3_PKT0_S9_ifPKiSB_iPKfiiiSD_SD_iiiii,comdat
.Lfunc_end56:
	.size	_ZN4vllm25paged_attention_v2_kernelIffLi80ELi32ELi128ELNS_18Fp8KVCacheDataTypeE0ELb0ELi512EEEvPfS2_PT_PKS3_PKT0_S9_ifPKiSB_iPKfiiiSD_SD_iiiii, .Lfunc_end56-_ZN4vllm25paged_attention_v2_kernelIffLi80ELi32ELi128ELNS_18Fp8KVCacheDataTypeE0ELb0ELi512EEEvPfS2_PT_PKS3_PKT0_S9_ifPKiSB_iPKfiiiSD_SD_iiiii
                                        ; -- End function
	.set _ZN4vllm25paged_attention_v2_kernelIffLi80ELi32ELi128ELNS_18Fp8KVCacheDataTypeE0ELb0ELi512EEEvPfS2_PT_PKS3_PKT0_S9_ifPKiSB_iPKfiiiSD_SD_iiiii.num_vgpr, 121
	.set _ZN4vllm25paged_attention_v2_kernelIffLi80ELi32ELi128ELNS_18Fp8KVCacheDataTypeE0ELb0ELi512EEEvPfS2_PT_PKS3_PKT0_S9_ifPKiSB_iPKfiiiSD_SD_iiiii.num_agpr, 0
	.set _ZN4vllm25paged_attention_v2_kernelIffLi80ELi32ELi128ELNS_18Fp8KVCacheDataTypeE0ELb0ELi512EEEvPfS2_PT_PKS3_PKT0_S9_ifPKiSB_iPKfiiiSD_SD_iiiii.numbered_sgpr, 38
	.set _ZN4vllm25paged_attention_v2_kernelIffLi80ELi32ELi128ELNS_18Fp8KVCacheDataTypeE0ELb0ELi512EEEvPfS2_PT_PKS3_PKT0_S9_ifPKiSB_iPKfiiiSD_SD_iiiii.num_named_barrier, 0
	.set _ZN4vllm25paged_attention_v2_kernelIffLi80ELi32ELi128ELNS_18Fp8KVCacheDataTypeE0ELb0ELi512EEEvPfS2_PT_PKS3_PKT0_S9_ifPKiSB_iPKfiiiSD_SD_iiiii.private_seg_size, 0
	.set _ZN4vllm25paged_attention_v2_kernelIffLi80ELi32ELi128ELNS_18Fp8KVCacheDataTypeE0ELb0ELi512EEEvPfS2_PT_PKS3_PKT0_S9_ifPKiSB_iPKfiiiSD_SD_iiiii.uses_vcc, 1
	.set _ZN4vllm25paged_attention_v2_kernelIffLi80ELi32ELi128ELNS_18Fp8KVCacheDataTypeE0ELb0ELi512EEEvPfS2_PT_PKS3_PKT0_S9_ifPKiSB_iPKfiiiSD_SD_iiiii.uses_flat_scratch, 0
	.set _ZN4vllm25paged_attention_v2_kernelIffLi80ELi32ELi128ELNS_18Fp8KVCacheDataTypeE0ELb0ELi512EEEvPfS2_PT_PKS3_PKT0_S9_ifPKiSB_iPKfiiiSD_SD_iiiii.has_dyn_sized_stack, 0
	.set _ZN4vllm25paged_attention_v2_kernelIffLi80ELi32ELi128ELNS_18Fp8KVCacheDataTypeE0ELb0ELi512EEEvPfS2_PT_PKS3_PKT0_S9_ifPKiSB_iPKfiiiSD_SD_iiiii.has_recursion, 0
	.set _ZN4vllm25paged_attention_v2_kernelIffLi80ELi32ELi128ELNS_18Fp8KVCacheDataTypeE0ELb0ELi512EEEvPfS2_PT_PKS3_PKT0_S9_ifPKiSB_iPKfiiiSD_SD_iiiii.has_indirect_call, 0
	.section	.AMDGPU.csdata,"",@progbits
; Kernel info:
; codeLenInByte = 9160
; TotalNumSgprs: 40
; NumVgprs: 121
; ScratchSize: 0
; MemoryBound: 0
; FloatMode: 240
; IeeeMode: 1
; LDSByteSize: 352 bytes/workgroup (compile time only)
; SGPRBlocks: 0
; VGPRBlocks: 15
; NumSGPRsForWavesPerEU: 40
; NumVGPRsForWavesPerEU: 121
; Occupancy: 8
; WaveLimiterHint : 1
; COMPUTE_PGM_RSRC2:SCRATCH_EN: 0
; COMPUTE_PGM_RSRC2:USER_SGPR: 6
; COMPUTE_PGM_RSRC2:TRAP_HANDLER: 0
; COMPUTE_PGM_RSRC2:TGID_X_EN: 1
; COMPUTE_PGM_RSRC2:TGID_Y_EN: 1
; COMPUTE_PGM_RSRC2:TGID_Z_EN: 1
; COMPUTE_PGM_RSRC2:TIDIG_COMP_CNT: 0
	.section	.text._ZN4vllm25paged_attention_v2_kernelIffLi96ELi32ELi128ELNS_18Fp8KVCacheDataTypeE0ELb0ELi512EEEvPfS2_PT_PKS3_PKT0_S9_ifPKiSB_iPKfiiiSD_SD_iiiii,"axG",@progbits,_ZN4vllm25paged_attention_v2_kernelIffLi96ELi32ELi128ELNS_18Fp8KVCacheDataTypeE0ELb0ELi512EEEvPfS2_PT_PKS3_PKT0_S9_ifPKiSB_iPKfiiiSD_SD_iiiii,comdat
	.protected	_ZN4vllm25paged_attention_v2_kernelIffLi96ELi32ELi128ELNS_18Fp8KVCacheDataTypeE0ELb0ELi512EEEvPfS2_PT_PKS3_PKT0_S9_ifPKiSB_iPKfiiiSD_SD_iiiii ; -- Begin function _ZN4vllm25paged_attention_v2_kernelIffLi96ELi32ELi128ELNS_18Fp8KVCacheDataTypeE0ELb0ELi512EEEvPfS2_PT_PKS3_PKT0_S9_ifPKiSB_iPKfiiiSD_SD_iiiii
	.globl	_ZN4vllm25paged_attention_v2_kernelIffLi96ELi32ELi128ELNS_18Fp8KVCacheDataTypeE0ELb0ELi512EEEvPfS2_PT_PKS3_PKT0_S9_ifPKiSB_iPKfiiiSD_SD_iiiii
	.p2align	8
	.type	_ZN4vllm25paged_attention_v2_kernelIffLi96ELi32ELi128ELNS_18Fp8KVCacheDataTypeE0ELb0ELi512EEEvPfS2_PT_PKS3_PKT0_S9_ifPKiSB_iPKfiiiSD_SD_iiiii,@function
_ZN4vllm25paged_attention_v2_kernelIffLi96ELi32ELi128ELNS_18Fp8KVCacheDataTypeE0ELb0ELi512EEEvPfS2_PT_PKS3_PKT0_S9_ifPKiSB_iPKfiiiSD_SD_iiiii: ; @_ZN4vllm25paged_attention_v2_kernelIffLi96ELi32ELi128ELNS_18Fp8KVCacheDataTypeE0ELb0ELi512EEEvPfS2_PT_PKS3_PKT0_S9_ifPKiSB_iPKfiiiSD_SD_iiiii
; %bb.0:
	s_mov_b64 s[42:43], s[2:3]
	s_mov_b64 s[40:41], s[0:1]
	s_load_dwordx2 s[0:1], s[4:5], 0x40
	s_add_u32 s40, s40, s9
	s_addc_u32 s41, s41, 0
	s_mov_b32 s24, s7
	s_ashr_i32 s25, s7, 31
	s_lshl_b64 s[2:3], s[24:25], 2
	s_waitcnt lgkmcnt(0)
	s_add_u32 s0, s0, s2
	s_addc_u32 s1, s1, s3
	s_lshl_b32 s30, s8, 9
	s_load_dword s25, s[0:1], 0x0
	s_waitcnt lgkmcnt(0)
	s_cmp_ge_i32 s30, s25
	s_cbranch_scc1 .LBB57_138
; %bb.1:
	s_clause 0x1
	s_load_dword s9, s[4:5], 0x90
	s_load_dwordx2 s[2:3], s[4:5], 0x30
	v_mov_b32_e32 v47, v0
	s_mov_b32 s33, 0
	s_waitcnt lgkmcnt(0)
	s_abs_i32 s10, s9
	s_abs_i32 s0, s2
	s_xor_b32 s2, s9, s2
	v_cvt_f32_u32_e32 v0, s0
	s_sub_i32 s7, 0, s0
	s_ashr_i32 s2, s2, 31
	v_rcp_iflag_f32_e32 v0, v0
	v_mul_f32_e32 v0, 0x4f7ffffe, v0
	v_cvt_u32_f32_e32 v0, v0
	v_readfirstlane_b32 s1, v0
	s_mul_i32 s7, s7, s1
	s_mul_hi_u32 s7, s1, s7
	s_add_i32 s1, s1, s7
	s_mul_hi_u32 s1, s10, s1
	s_mul_i32 s7, s1, s0
	s_sub_i32 s7, s10, s7
	s_add_i32 s10, s1, 1
	s_sub_i32 s11, s7, s0
	s_cmp_ge_u32 s7, s0
	s_cselect_b32 s1, s10, s1
	s_cselect_b32 s7, s11, s7
	s_add_i32 s10, s1, 1
	s_cmp_ge_u32 s7, s0
	s_cselect_b32 s0, s10, s1
	s_abs_i32 s29, s6
	s_xor_b32 s0, s0, s2
	s_sub_i32 s10, s0, s2
	s_load_dwordx2 s[0:1], s[4:5], 0x50
	s_abs_i32 s2, s10
	v_cvt_f32_u32_e32 v0, s2
	s_sub_i32 s11, 0, s2
	v_rcp_iflag_f32_e32 v0, v0
	v_mul_f32_e32 v0, 0x4f7ffffe, v0
	v_cvt_u32_f32_e32 v0, v0
	v_readfirstlane_b32 s7, v0
	s_mul_i32 s11, s11, s7
	s_mul_hi_u32 s11, s7, s11
	s_add_i32 s7, s7, s11
	s_waitcnt lgkmcnt(0)
	s_cmp_eq_u64 s[0:1], 0
	s_mul_hi_u32 s28, s29, s7
	s_cbranch_scc1 .LBB57_3
; %bb.2:
	s_ashr_i32 s7, s6, 31
	s_lshl_b64 s[12:13], s[6:7], 2
	s_add_u32 s0, s0, s12
	s_addc_u32 s1, s1, s13
	s_load_dword s33, s[0:1], 0x0
.LBB57_3:
	s_clause 0x1
	s_load_dwordx2 s[22:23], s[4:5], 0x38
	s_load_dwordx4 s[12:15], s[4:5], 0x58
	v_lshlrev_b32_e32 v101, 4, v47
	s_ashr_i32 s0, s6, 31
	s_ashr_i32 s1, s10, 31
	s_mul_i32 s10, s6, 0x60
	s_mov_b32 s7, exec_lo
	v_cmpx_gt_u32_e32 24, v47
	s_cbranch_execz .LBB57_5
; %bb.4:
	s_load_dwordx2 s[16:17], s[4:5], 0x18
	s_waitcnt lgkmcnt(0)
	s_mul_i32 s18, s12, s24
	s_ashr_i32 s19, s18, 31
	s_lshl_b64 s[18:19], s[18:19], 2
	s_add_u32 s12, s16, s18
	s_addc_u32 s15, s17, s19
	s_ashr_i32 s11, s10, 31
	s_lshl_b64 s[16:17], s[10:11], 2
	s_add_u32 s16, s12, s16
	s_addc_u32 s17, s15, s17
	global_load_dwordx4 v[0:3], v101, s[16:17]
	s_waitcnt vmcnt(0)
	ds_write_b128 v101, v[0:3]
.LBB57_5:
	s_or_b32 exec_lo, exec_lo, s7
	s_add_i32 s7, s25, 31
	s_clause 0x1
	s_load_dwordx4 s[16:19], s[4:5], 0x0
	s_load_dwordx2 s[20:21], s[4:5], 0x10
	s_ashr_i32 s11, s7, 31
	s_lshl_b32 s31, s8, 4
	s_lshr_b32 s11, s11, 27
	s_mul_i32 s34, s28, s2
	s_add_i32 s7, s7, s11
	s_add_i32 s11, s31, 16
	s_waitcnt lgkmcnt(0)
	s_ashr_i32 s12, s7, 5
	s_clause 0x2
	s_load_dwordx2 s[26:27], s[4:5], 0x28
	s_load_dword s7, s[4:5], 0x98
	s_load_dword s15, s[4:5], 0x48
	s_xor_b32 s0, s0, s1
	s_sub_i32 s1, s29, s34
	s_min_i32 s11, s11, s12
	s_add_i32 s29, s28, 1
	s_sub_i32 s34, s1, s2
	s_cmp_ge_u32 s1, s2
	v_lshrrev_b32_e32 v98, 5, v47
	s_cselect_b32 s28, s29, s28
	s_cselect_b32 s1, s34, s1
	s_add_i32 s29, s28, 1
	s_cmp_ge_u32 s1, s2
	v_add_nc_u32_e32 v65, s31, v98
	v_and_b32_e32 v100, 31, v47
	s_cselect_b32 s1, s29, s28
	v_mov_b32_e32 v102, 0xff7fffff
	s_xor_b32 s1, s1, s0
	v_ashrrev_i32_e32 v66, 31, v65
	s_sub_i32 s1, s1, s0
	v_cmp_gt_i32_e64 s0, s11, v65
	v_lshlrev_b32_e32 v0, 2, v100
	s_waitcnt lgkmcnt(0)
	s_mul_i32 s28, s15, s24
	s_mul_i32 s14, s1, s14
	s_ashr_i32 s29, s28, 31
	s_barrier
	buffer_gl0_inv
	s_and_saveexec_b32 s34, s0
	s_cbranch_execz .LBB57_9
; %bb.6:
	s_load_dwordx2 s[4:5], s[4:5], 0x20
	v_mov_b32_e32 v93, 0
	s_ashr_i32 s15, s14, 31
	v_lshlrev_b32_e32 v49, 4, v100
	v_mov_b32_e32 v120, v47
	s_lshl_b64 s[36:37], s[14:15], 2
	ds_read_b128 v[1:4], v93
	ds_read_b128 v[5:8], v93 offset:16
	ds_read_b128 v[9:12], v93 offset:32
	;; [unrolled: 1-line block ×11, first 2 shown]
	v_mov_b32_e32 v108, v66
	v_mov_b32_e32 v107, v65
	v_lshlrev_b32_e32 v97, 5, v98
	v_mov_b32_e32 v121, v98
	v_lshl_or_b32 v99, v98, 7, v0
	v_mov_b32_e32 v124, v108
	v_cmp_neq_f32_e64 vcc_lo, s33, 0
	v_add3_u32 v105, s30, v97, v100
	v_lshlrev_b64 v[97:98], 2, v[107:108]
	v_mov_b32_e32 v122, v100
	v_add_nc_u32_e32 v106, 0x1a0, v99
	v_mov_b32_e32 v102, 0xff7fffff
	v_mov_b32_e32 v123, v107
	s_waitcnt lgkmcnt(0)
	s_add_u32 s1, s4, s36
	s_addc_u32 s2, s5, s37
	v_add_co_u32 v103, s1, s1, v49
	ds_read_b128 v[49:52], v93 offset:192
	ds_read_b128 v[53:56], v93 offset:208
	;; [unrolled: 1-line block ×12, first 2 shown]
	s_lshl_b64 s[36:37], s[28:29], 2
	s_sub_i32 s4, 1, s25
	v_add_co_ci_u32_e64 v104, null, s2, 0, s1
	s_add_u32 s1, s22, s36
	s_addc_u32 s2, s23, s37
	v_add_co_u32 v97, s1, s1, v97
	v_add_co_ci_u32_e64 v98, null, s2, v98, s1
	s_mov_b32 s15, s13
	s_mov_b32 s5, 0
.LBB57_7:                               ; =>This Inner Loop Header: Depth=1
	global_load_dword v99, v[97:98], off
	v_add_nc_u32_e32 v107, 4, v107
	v_cmp_le_i32_e64 s2, s11, v107
	s_or_b32 s5, s2, s5
	s_waitcnt vmcnt(0)
	v_mad_i64_i32 v[99:100], null, v99, s15, 0
	v_lshlrev_b64 v[99:100], 2, v[99:100]
	v_add_co_u32 v99, s1, v103, v99
	v_add_co_ci_u32_e64 v100, null, v104, v100, s1
	v_add_co_u32 v116, s1, v99, 0x1000
	global_load_dwordx4 v[110:113], v[99:100], off offset:512
	v_add_co_ci_u32_e64 v117, null, 0, v100, s1
	v_add_co_u32 v118, s1, 0x800, v99
	v_add_co_ci_u32_e64 v119, null, 0, v100, s1
	s_waitcnt vmcnt(0)
	v_mul_f32_e32 v109, v7, v112
	v_mul_f32_e32 v108, v8, v113
	global_load_dwordx4 v[112:115], v[99:100], off
	v_mul_f32_e32 v110, v5, v110
	v_mul_f32_e32 v111, v6, v111
	s_waitcnt vmcnt(0)
	v_fmac_f32_e32 v110, v1, v112
	v_fmac_f32_e32 v111, v2, v113
	;; [unrolled: 1-line block ×4, first 2 shown]
	global_load_dwordx4 v[112:115], v[99:100], off offset:1024
	s_waitcnt vmcnt(0)
	v_fmac_f32_e32 v110, v9, v112
	v_fmac_f32_e32 v111, v10, v113
	;; [unrolled: 1-line block ×4, first 2 shown]
	global_load_dwordx4 v[112:115], v[99:100], off offset:1536
	s_waitcnt vmcnt(0)
	v_fmac_f32_e32 v110, v13, v112
	v_fmac_f32_e32 v111, v14, v113
	v_fmac_f32_e32 v109, v15, v114
	v_fmac_f32_e32 v108, v16, v115
	global_load_dwordx4 v[112:115], v[116:117], off offset:-2048
	s_waitcnt vmcnt(0)
	v_fmac_f32_e32 v110, v17, v112
	v_fmac_f32_e32 v111, v18, v113
	v_fmac_f32_e32 v109, v19, v114
	v_fmac_f32_e32 v108, v20, v115
	global_load_dwordx4 v[112:115], v[118:119], off offset:512
	s_waitcnt vmcnt(0)
	v_fmac_f32_e32 v110, v21, v112
	v_fmac_f32_e32 v111, v22, v113
	v_fmac_f32_e32 v109, v23, v114
	v_fmac_f32_e32 v108, v24, v115
	global_load_dwordx4 v[112:115], v[118:119], off offset:1024
	;; [unrolled: 6-line block ×3, first 2 shown]
	s_waitcnt vmcnt(0)
	v_fmac_f32_e32 v110, v29, v112
	v_fmac_f32_e32 v111, v30, v113
	v_fmac_f32_e32 v109, v31, v114
	v_fmac_f32_e32 v108, v32, v115
	global_load_dwordx4 v[112:115], v[116:117], off
	v_add_co_u32 v116, s1, 0x1000, v99
	v_add_co_ci_u32_e64 v117, null, 0, v100, s1
	s_waitcnt vmcnt(0)
	v_fmac_f32_e32 v110, v33, v112
	v_fmac_f32_e32 v111, v34, v113
	v_fmac_f32_e32 v109, v35, v114
	v_fmac_f32_e32 v108, v36, v115
	global_load_dwordx4 v[112:115], v[116:117], off offset:512
	s_waitcnt vmcnt(0)
	v_fmac_f32_e32 v110, v37, v112
	v_fmac_f32_e32 v111, v38, v113
	v_fmac_f32_e32 v109, v39, v114
	v_fmac_f32_e32 v108, v40, v115
	global_load_dwordx4 v[112:115], v[116:117], off offset:1024
	;; [unrolled: 6-line block ×3, first 2 shown]
	v_add_co_u32 v116, s1, v99, 0x2000
	v_add_co_ci_u32_e64 v117, null, 0, v100, s1
	v_add_co_u32 v118, s1, 0x1800, v99
	v_add_co_ci_u32_e64 v119, null, 0, v100, s1
	s_waitcnt vmcnt(0)
	v_fmac_f32_e32 v110, v45, v112
	v_fmac_f32_e32 v111, v46, v113
	;; [unrolled: 1-line block ×4, first 2 shown]
	global_load_dwordx4 v[112:115], v[116:117], off offset:-2048
	s_waitcnt vmcnt(0) lgkmcnt(11)
	v_fmac_f32_e32 v110, v49, v112
	v_fmac_f32_e32 v111, v50, v113
	v_fmac_f32_e32 v109, v51, v114
	v_fmac_f32_e32 v108, v52, v115
	global_load_dwordx4 v[112:115], v[118:119], off offset:512
	s_waitcnt vmcnt(0) lgkmcnt(10)
	v_fmac_f32_e32 v110, v53, v112
	v_fmac_f32_e32 v111, v54, v113
	v_fmac_f32_e32 v109, v55, v114
	v_fmac_f32_e32 v108, v56, v115
	global_load_dwordx4 v[112:115], v[118:119], off offset:1024
	;; [unrolled: 6-line block ×3, first 2 shown]
	s_waitcnt vmcnt(0) lgkmcnt(8)
	v_fmac_f32_e32 v110, v61, v112
	v_fmac_f32_e32 v111, v62, v113
	;; [unrolled: 1-line block ×4, first 2 shown]
	global_load_dwordx4 v[112:115], v[116:117], off
	v_add_co_u32 v116, s1, 0x2000, v99
	v_add_co_ci_u32_e64 v117, null, 0, v100, s1
	v_add_co_u32 v99, s1, 0x2800, v99
	v_add_co_ci_u32_e64 v100, null, 0, v100, s1
	v_cmp_gt_i32_e64 s1, s25, v105
	s_waitcnt vmcnt(0) lgkmcnt(7)
	v_fmac_f32_e32 v110, v65, v112
	v_fmac_f32_e32 v111, v66, v113
	v_fmac_f32_e32 v109, v67, v114
	v_fmac_f32_e32 v108, v68, v115
	global_load_dwordx4 v[112:115], v[116:117], off offset:512
	s_waitcnt vmcnt(0) lgkmcnt(6)
	v_fmac_f32_e32 v110, v69, v112
	v_fmac_f32_e32 v111, v70, v113
	v_fmac_f32_e32 v109, v71, v114
	v_fmac_f32_e32 v108, v72, v115
	global_load_dwordx4 v[112:115], v[116:117], off offset:1024
	;; [unrolled: 6-line block ×3, first 2 shown]
	s_waitcnt vmcnt(0) lgkmcnt(4)
	v_fmac_f32_e32 v110, v77, v112
	v_fmac_f32_e32 v111, v78, v113
	;; [unrolled: 1-line block ×4, first 2 shown]
	global_load_dwordx4 v[112:115], v[99:100], off
	s_waitcnt vmcnt(0) lgkmcnt(3)
	v_fmac_f32_e32 v110, v81, v112
	v_fmac_f32_e32 v111, v82, v113
	v_fmac_f32_e32 v109, v83, v114
	v_fmac_f32_e32 v108, v84, v115
	global_load_dwordx4 v[112:115], v[99:100], off offset:512
	s_waitcnt vmcnt(0) lgkmcnt(2)
	v_fmac_f32_e32 v110, v85, v112
	v_fmac_f32_e32 v111, v86, v113
	v_fmac_f32_e32 v109, v87, v114
	v_fmac_f32_e32 v108, v88, v115
	global_load_dwordx4 v[112:115], v[99:100], off offset:1024
	;; [unrolled: 6-line block ×3, first 2 shown]
	v_add_nc_u32_e32 v100, s4, v105
	v_add_nc_u32_e32 v105, 0x80, v105
	v_cvt_f32_i32_e32 v100, v100
	v_mul_f32_e32 v100, s33, v100
	v_cndmask_b32_e32 v100, 0, v100, vcc_lo
	s_waitcnt vmcnt(0) lgkmcnt(0)
	v_fmac_f32_e32 v110, v93, v112
	v_fmac_f32_e32 v111, v94, v113
	;; [unrolled: 1-line block ×4, first 2 shown]
	v_add_f32_e32 v99, v110, v111
	v_add_f32_e32 v99, v109, v99
	;; [unrolled: 1-line block ×3, first 2 shown]
	v_fmac_f32_e32 v100, s3, v99
	v_max_f32_e32 v99, v102, v102
	v_max_f32_e32 v99, v99, v100
	v_cndmask_b32_e64 v102, v102, v99, s1
	v_cndmask_b32_e64 v99, 0, v100, s1
	v_add_co_u32 v97, s1, v97, 16
	v_add_co_ci_u32_e64 v98, null, 0, v98, s1
	ds_write_b32 v106, v99
	v_add_nc_u32_e32 v106, 0x200, v106
	s_andn2_b32 exec_lo, exec_lo, s5
	s_cbranch_execnz .LBB57_7
; %bb.8:
	s_or_b32 exec_lo, exec_lo, s5
	v_mov_b32_e32 v65, v123
	v_mov_b32_e32 v47, v120
	;; [unrolled: 1-line block ×5, first 2 shown]
.LBB57_9:
	s_or_b32 exec_lo, exec_lo, s34
	v_mbcnt_lo_u32_b32 v1, -1, 0
	v_max_f32_e32 v5, v102, v102
	v_xor_b32_e32 v2, 16, v1
	v_xor_b32_e32 v4, 8, v1
	v_cmp_gt_i32_e32 vcc_lo, 32, v2
	v_cndmask_b32_e32 v2, v1, v2, vcc_lo
	v_cmp_gt_i32_e32 vcc_lo, 32, v4
	v_lshlrev_b32_e32 v2, 2, v2
	v_cndmask_b32_e32 v4, v1, v4, vcc_lo
	ds_bpermute_b32 v3, v2, v102
	s_waitcnt lgkmcnt(0)
	v_max_f32_e32 v6, v3, v3
	v_lshlrev_b32_e32 v3, 2, v4
	v_max_f32_e32 v4, v5, v6
	v_xor_b32_e32 v6, 4, v1
	ds_bpermute_b32 v5, v3, v4
	v_cmp_gt_i32_e32 vcc_lo, 32, v6
	v_cndmask_b32_e32 v6, v1, v6, vcc_lo
	v_lshlrev_b32_e32 v33, 2, v6
	v_xor_b32_e32 v6, 2, v1
	v_cmp_gt_i32_e32 vcc_lo, 32, v6
	s_waitcnt lgkmcnt(0)
	v_max_f32_e32 v5, v5, v5
	v_cndmask_b32_e32 v6, v1, v6, vcc_lo
	v_max_f32_e32 v4, v4, v5
	v_lshlrev_b32_e32 v40, 2, v6
	v_xor_b32_e32 v6, 1, v1
	ds_bpermute_b32 v5, v33, v4
	v_cmp_gt_i32_e32 vcc_lo, 32, v6
	v_cndmask_b32_e32 v6, v1, v6, vcc_lo
	v_cmp_eq_u32_e32 vcc_lo, 0, v100
	v_lshlrev_b32_e32 v46, 2, v6
	s_waitcnt lgkmcnt(0)
	v_max_f32_e32 v5, v5, v5
	v_max_f32_e32 v4, v4, v5
	ds_bpermute_b32 v5, v40, v4
	s_waitcnt lgkmcnt(0)
	v_max_f32_e32 v5, v5, v5
	v_max_f32_e32 v1, v4, v5
	v_lshlrev_b32_e32 v5, 2, v98
	ds_bpermute_b32 v4, v46, v1
	s_and_saveexec_b32 s1, vcc_lo
	s_cbranch_execz .LBB57_11
; %bb.10:
	s_waitcnt lgkmcnt(0)
	v_max_f32_e32 v4, v4, v4
	v_max_f32_e32 v1, v1, v1
	;; [unrolled: 1-line block ×3, first 2 shown]
	ds_write_b32 v5, v1 offset:384
.LBB57_11:
	s_or_b32 exec_lo, exec_lo, s1
	v_cmp_gt_u32_e64 s1, 4, v100
	v_mov_b32_e32 v1, 0xff7fffff
	s_waitcnt lgkmcnt(0)
	s_barrier
	buffer_gl0_inv
	s_and_saveexec_b32 s2, s1
; %bb.12:
	ds_read_b32 v1, v0 offset:384
; %bb.13:
	s_or_b32 exec_lo, exec_lo, s2
	s_waitcnt lgkmcnt(0)
	ds_bpermute_b32 v4, v40, v1
	v_max_f32_e32 v1, v1, v1
	v_mov_b32_e32 v6, 0
	s_sub_i32 s2, s11, s31
	s_lshl_b32 s2, s2, 5
	s_add_i32 s2, s2, s30
	s_min_i32 s2, s2, s25
	s_sub_i32 s4, s2, s30
	v_cmp_gt_i32_e64 s2, s4, v47
	s_waitcnt lgkmcnt(0)
	v_max_f32_e32 v4, v4, v4
	v_max_f32_e32 v1, v1, v4
	ds_bpermute_b32 v4, v46, v1
	s_waitcnt lgkmcnt(0)
	v_max_f32_e32 v4, v4, v4
	v_max_f32_e32 v1, v1, v4
	v_lshl_add_u32 v4, v47, 2, 0x1a0
	ds_bpermute_b32 v1, v6, v1
	s_and_saveexec_b32 s5, s2
	s_cbranch_execz .LBB57_17
; %bb.14:
	v_lshl_add_u32 v7, v47, 2, 0x1a0
	v_mov_b32_e32 v6, 0
	v_mov_b32_e32 v8, v47
	s_mov_b32 s15, 0
	.p2align	6
.LBB57_15:                              ; =>This Inner Loop Header: Depth=1
	ds_read_b32 v9, v7
	v_add_nc_u32_e32 v8, 0x80, v8
	v_cmp_le_i32_e64 s3, s4, v8
	s_or_b32 s15, s3, s15
	s_waitcnt lgkmcnt(0)
	v_sub_f32_e32 v9, v9, v1
	v_mul_f32_e32 v9, 0x3fb8aa3b, v9
	v_exp_f32_e32 v9, v9
	ds_write_b32 v7, v9
	v_add_f32_e32 v6, v6, v9
	v_add_nc_u32_e32 v7, 0x200, v7
	s_andn2_b32 exec_lo, exec_lo, s15
	s_cbranch_execnz .LBB57_15
; %bb.16:
	s_or_b32 exec_lo, exec_lo, s15
.LBB57_17:
	s_or_b32 exec_lo, exec_lo, s5
	ds_bpermute_b32 v2, v2, v6
	s_waitcnt lgkmcnt(0)
	v_add_f32_e32 v2, v6, v2
	ds_bpermute_b32 v3, v3, v2
	s_waitcnt lgkmcnt(0)
	v_add_f32_e32 v2, v2, v3
	;; [unrolled: 3-line block ×5, first 2 shown]
	s_and_saveexec_b32 s3, vcc_lo
; %bb.18:
	ds_write_b32 v5, v2 offset:400
; %bb.19:
	s_or_b32 exec_lo, exec_lo, s3
	s_waitcnt lgkmcnt(0)
	s_barrier
	buffer_gl0_inv
	s_and_saveexec_b32 s3, s1
; %bb.20:
	ds_read_b32 v2, v0 offset:400
; %bb.21:
	s_or_b32 exec_lo, exec_lo, s3
	s_waitcnt lgkmcnt(0)
	ds_bpermute_b32 v0, v40, v2
	s_waitcnt lgkmcnt(0)
	v_add_f32_e32 v0, v2, v0
	ds_bpermute_b32 v2, v46, v0
	s_waitcnt lgkmcnt(0)
	v_add_f32_e32 v0, v0, v2
	v_mov_b32_e32 v2, 0
	ds_bpermute_b32 v0, v2, v0
	s_and_saveexec_b32 s1, s2
	s_cbranch_execz .LBB57_24
; %bb.22:
	s_waitcnt lgkmcnt(0)
	v_add_f32_e32 v2, 0x358637bd, v0
	s_mov_b32 s2, 0
	v_div_scale_f32 v3, null, v2, v2, 1.0
	v_div_scale_f32 v7, vcc_lo, 1.0, v2, 1.0
	v_rcp_f32_e32 v5, v3
	v_fma_f32 v6, -v3, v5, 1.0
	v_fmac_f32_e32 v5, v6, v5
	v_mul_f32_e32 v6, v7, v5
	v_fma_f32 v8, -v3, v6, v7
	v_fmac_f32_e32 v6, v8, v5
	v_fma_f32 v3, -v3, v6, v7
	v_div_fmas_f32 v3, v3, v5, v6
	v_div_fixup_f32 v2, v3, v2, 1.0
	v_mov_b32_e32 v3, v47
.LBB57_23:                              ; =>This Inner Loop Header: Depth=1
	ds_read_b32 v5, v4
	v_add_nc_u32_e32 v3, 0x80, v3
	v_cmp_le_i32_e32 vcc_lo, s4, v3
	s_or_b32 s2, vcc_lo, s2
	s_waitcnt lgkmcnt(0)
	v_mul_f32_e32 v5, v2, v5
	ds_write_b32 v4, v5
	v_add_nc_u32_e32 v4, 0x200, v4
	s_andn2_b32 exec_lo, exec_lo, s2
	s_cbranch_execnz .LBB57_23
.LBB57_24:
	s_or_b32 exec_lo, exec_lo, s1
	s_mul_i32 s1, s7, s24
	s_waitcnt lgkmcnt(0)
	s_mul_i32 s2, s1, s9
	s_mov_b32 s1, exec_lo
	s_barrier
	buffer_gl0_inv
	v_cmpx_eq_u32_e32 0, v47
	s_cbranch_execz .LBB57_26
; %bb.25:
	s_ashr_i32 s3, s2, 31
	s_mul_i32 s34, s7, s6
	s_lshl_b64 s[4:5], s[2:3], 2
	v_mov_b32_e32 v2, 0
	s_add_u32 s3, s18, s4
	s_addc_u32 s6, s19, s5
	s_ashr_i32 s35, s34, 31
	s_lshl_b64 s[18:19], s[34:35], 2
	s_add_u32 s3, s3, s18
	s_addc_u32 s6, s6, s19
	s_ashr_i32 s9, s8, 31
	s_lshl_b64 s[34:35], s[8:9], 2
	s_add_u32 s36, s3, s34
	s_addc_u32 s37, s6, s35
	s_add_u32 s3, s16, s4
	s_addc_u32 s4, s17, s5
	s_add_u32 s3, s3, s18
	s_addc_u32 s5, s4, s19
	s_add_u32 s4, s3, s34
	s_addc_u32 s5, s5, s35
	global_store_dword v2, v1, s[36:37]
	global_store_dword v2, v0, s[4:5]
.LBB57_26:
	s_or_b32 exec_lo, exec_lo, s1
	v_mov_b32_e32 v5, 0
	v_and_b32_e32 v48, 7, v47
	v_mov_b32_e32 v9, 0
	v_mov_b32_e32 v106, 0
	;; [unrolled: 1-line block ×23, first 2 shown]
	s_and_saveexec_b32 s1, s0
	s_cbranch_execz .LBB57_78
; %bb.27:
	s_ashr_i32 s15, s14, 31
	v_lshlrev_b32_e32 v1, 4, v48
	v_and_b32_e32 v2, 0x1f0, v101
	s_lshl_b64 s[4:5], s[14:15], 2
	v_lshlrev_b32_e32 v0, 2, v47
	s_add_u32 s0, s26, s4
	v_lshl_or_b32 v4, v98, 7, v1
	v_add_co_u32 v1, s0, s0, v2
	s_addc_u32 s4, s27, s5
	buffer_store_dword v33, off, s[40:43], 0 offset:48 ; 4-byte Folded Spill
	buffer_store_dword v40, off, s[40:43], 0 offset:44 ; 4-byte Folded Spill
	buffer_store_dword v46, off, s[40:43], 0 offset:40 ; 4-byte Folded Spill
	buffer_store_dword v100, off, s[40:43], 0 offset:36 ; 4-byte Folded Spill
	buffer_store_dword v47, off, s[40:43], 0 offset:28 ; 4-byte Folded Spill
	v_and_b32_e32 v0, 28, v0
	v_lshl_add_u32 v3, v98, 5, s30
	buffer_store_dword v1, off, s[40:43], 0 offset:20 ; 4-byte Folded Spill
	v_add_co_ci_u32_e64 v1, null, s4, 0, s0
	s_lshl_b64 s[4:5], s[28:29], 2
	v_add3_u32 v107, v3, v0, 3
	s_add_i32 s3, s12, -1
	buffer_store_dword v1, off, s[40:43], 0 offset:24 ; 4-byte Folded Spill
	v_lshlrev_b64 v[0:1], 2, v[65:66]
	s_add_u32 s0, s22, s4
	s_addc_u32 s4, s23, s5
	v_mov_b32_e32 v41, 0
	v_add_nc_u32_e32 v101, 0x1a0, v4
	v_mov_b32_e32 v113, 0
	v_add_co_u32 v102, vcc_lo, s0, v0
	v_add_co_ci_u32_e64 v103, null, s4, v1, vcc_lo
	v_mov_b32_e32 v114, 0
	v_mov_b32_e32 v115, 0
	v_mov_b32_e32 v116, 0
	v_mov_b32_e32 v117, 0
	v_mov_b32_e32 v118, 0
	v_mov_b32_e32 v119, 0
	v_mov_b32_e32 v120, 0
	v_mov_b32_e32 v121, 0
	v_mov_b32_e32 v122, 0
	v_mov_b32_e32 v123, 0
	v_mov_b32_e32 v124, 0
	v_mov_b32_e32 v125, 0
	v_mov_b32_e32 v126, 0
	v_mov_b32_e32 v127, 0
	v_mov_b32_e32 v109, 0
	v_mov_b32_e32 v104, 0
	v_mov_b32_e32 v105, 0
	v_mov_b32_e32 v0, 0
	v_mov_b32_e32 v108, 0
	v_mov_b32_e32 v106, 0
	v_mov_b32_e32 v9, 0
	v_mov_b32_e32 v5, 0
	s_mov_b32 s5, s13
	s_mov_b32 s4, 0
	buffer_store_dword v48, off, s[40:43], 0 offset:52 ; 4-byte Folded Spill
	buffer_store_dword v98, off, s[40:43], 0 offset:32 ; 4-byte Folded Spill
	s_branch .LBB57_29
.LBB57_28:                              ;   in Loop: Header=BB57_29 Depth=1
	s_or_b32 exec_lo, exec_lo, s0
	s_waitcnt vmcnt(8) lgkmcnt(0)
	v_mul_f32_e32 v65, v1, v65
	v_mul_f32_e32 v41, v1, v41
	;; [unrolled: 1-line block ×4, first 2 shown]
	s_waitcnt vmcnt(1)
	v_mul_f32_e32 v97, v1, v97
	v_fmac_f32_e32 v65, v2, v66
	v_fmac_f32_e32 v41, v2, v42
	;; [unrolled: 1-line block ×3, first 2 shown]
	buffer_load_dword v10, off, s[40:43], 0 offset:16 ; 4-byte Folded Reload
	v_fmac_f32_e32 v5, v2, v6
	v_fmac_f32_e32 v65, v3, v67
	;; [unrolled: 1-line block ×3, first 2 shown]
	buffer_load_dword v6, off, s[40:43], 0 offset:12 ; 4-byte Folded Reload
	v_mul_f32_e32 v93, v1, v93
	v_mul_f32_e32 v89, v1, v89
	v_fmac_f32_e32 v65, v4, v68
	v_fmac_f32_e32 v41, v4, v44
	v_mul_f32_e32 v85, v1, v85
	v_mul_f32_e32 v81, v1, v81
	;; [unrolled: 1-line block ×3, first 2 shown]
	v_add_f32_e32 v120, v120, v65
	v_add_f32_e32 v126, v126, v41
	s_clause 0x2
	buffer_load_dword v41, off, s[40:43], 0 offset:8
	buffer_load_dword v65, off, s[40:43], 0
	buffer_load_dword v66, off, s[40:43], 0 offset:4
	v_mul_f32_e32 v73, v1, v73
	v_mul_f32_e32 v61, v1, v61
	;; [unrolled: 1-line block ×13, first 2 shown]
	s_waitcnt vmcnt(5)
	v_mul_f32_e32 v1, v1, v69
	v_fmac_f32_e32 v97, v2, v98
	v_fmac_f32_e32 v93, v2, v94
	;; [unrolled: 1-line block ×64, first 2 shown]
	v_add_co_u32 v102, vcc_lo, v102, 16
	v_add_co_ci_u32_e64 v103, null, 0, v103, vcc_lo
	v_add_f32_e32 v113, v113, v97
	v_add_f32_e32 v114, v114, v93
	;; [unrolled: 1-line block ×19, first 2 shown]
	v_add_nc_u32_e32 v107, 0x80, v107
	v_add_nc_u32_e32 v101, 0x200, v101
	s_waitcnt vmcnt(4)
	v_add_f32_e32 v9, v10, v9
	s_waitcnt vmcnt(3)
	v_add_f32_e32 v5, v6, v5
	s_waitcnt vmcnt(1)
	v_add_nc_u32_e32 v65, 4, v65
	v_add_f32_e32 v41, v41, v1
	v_cmp_le_i32_e32 vcc_lo, s11, v65
	s_or_b32 s4, vcc_lo, s4
	s_andn2_b32 exec_lo, exec_lo, s4
	s_cbranch_execz .LBB57_77
.LBB57_29:                              ; =>This Inner Loop Header: Depth=1
	buffer_store_dword v9, off, s[40:43], 0 offset:16 ; 4-byte Folded Spill
	buffer_store_dword v5, off, s[40:43], 0 offset:12 ; 4-byte Folded Spill
	;; [unrolled: 1-line block ×3, first 2 shown]
	global_load_dword v1, v[102:103], off
	buffer_load_dword v3, off, s[40:43], 0 offset:20 ; 4-byte Folded Reload
	v_add_nc_u32_e32 v110, -3, v107
	v_mov_b32_e32 v9, v65
	v_add_nc_u32_e32 v112, -2, v107
	v_add_nc_u32_e32 v111, -1, v107
	s_waitcnt vmcnt(1)
	v_mad_i64_i32 v[1:2], null, v1, s5, 0
	v_lshlrev_b64 v[1:2], 2, v[1:2]
	s_waitcnt vmcnt(0)
	v_add_co_u32 v69, vcc_lo, v3, v1
	buffer_load_dword v1, off, s[40:43], 0 offset:24 ; 4-byte Folded Reload
	s_waitcnt vmcnt(0)
	v_add_co_ci_u32_e64 v70, null, v1, v2, vcc_lo
	ds_read_b128 v[1:4], v101
	v_cmp_eq_u32_e32 vcc_lo, s3, v65
	global_load_dwordx4 v[5:8], v[69:70], off
	buffer_store_dword v9, off, s[40:43], 0 ; 4-byte Folded Spill
	buffer_store_dword v10, off, s[40:43], 0 offset:4 ; 4-byte Folded Spill
	s_and_saveexec_b32 s6, vcc_lo
	s_cbranch_execnz .LBB57_58
; %bb.30:                               ;   in Loop: Header=BB57_29 Depth=1
	s_or_b32 exec_lo, exec_lo, s6
	global_load_dwordx4 v[9:12], v[69:70], off offset:512
	s_and_saveexec_b32 s6, vcc_lo
	s_cbranch_execnz .LBB57_59
.LBB57_31:                              ;   in Loop: Header=BB57_29 Depth=1
	s_or_b32 exec_lo, exec_lo, s6
	global_load_dwordx4 v[13:16], v[69:70], off offset:1024
	s_and_saveexec_b32 s6, vcc_lo
	s_cbranch_execnz .LBB57_60
.LBB57_32:                              ;   in Loop: Header=BB57_29 Depth=1
	s_or_b32 exec_lo, exec_lo, s6
	global_load_dwordx4 v[17:20], v[69:70], off offset:1536
	s_and_saveexec_b32 s6, vcc_lo
	s_cbranch_execz .LBB57_34
.LBB57_33:                              ;   in Loop: Header=BB57_29 Depth=1
	v_cmp_gt_i32_e64 s0, s25, v110
	s_waitcnt vmcnt(0)
	v_cndmask_b32_e64 v17, 0, v17, s0
	v_cmp_gt_i32_e64 s0, s25, v112
	v_cndmask_b32_e64 v18, 0, v18, s0
	v_cmp_gt_i32_e64 s0, s25, v111
	;; [unrolled: 2-line block ×3, first 2 shown]
	v_cndmask_b32_e64 v20, 0, v20, s0
.LBB57_34:                              ;   in Loop: Header=BB57_29 Depth=1
	s_or_b32 exec_lo, exec_lo, s6
	v_add_co_u32 v33, s0, 0x800, v69
	v_add_co_ci_u32_e64 v34, null, 0, v70, s0
	global_load_dwordx4 v[21:24], v[33:34], off
	s_and_saveexec_b32 s6, vcc_lo
	s_cbranch_execnz .LBB57_61
; %bb.35:                               ;   in Loop: Header=BB57_29 Depth=1
	s_or_b32 exec_lo, exec_lo, s6
	global_load_dwordx4 v[25:28], v[33:34], off offset:512
	s_and_saveexec_b32 s6, vcc_lo
	s_cbranch_execnz .LBB57_62
.LBB57_36:                              ;   in Loop: Header=BB57_29 Depth=1
	s_or_b32 exec_lo, exec_lo, s6
	global_load_dwordx4 v[29:32], v[33:34], off offset:1024
	s_and_saveexec_b32 s6, vcc_lo
	s_cbranch_execnz .LBB57_63
.LBB57_37:                              ;   in Loop: Header=BB57_29 Depth=1
	s_or_b32 exec_lo, exec_lo, s6
	global_load_dwordx4 v[33:36], v[33:34], off offset:1536
	s_and_saveexec_b32 s6, vcc_lo
	s_cbranch_execz .LBB57_39
.LBB57_38:                              ;   in Loop: Header=BB57_29 Depth=1
	v_cmp_gt_i32_e64 s0, s25, v110
	s_waitcnt vmcnt(0)
	v_cndmask_b32_e64 v33, 0, v33, s0
	v_cmp_gt_i32_e64 s0, s25, v112
	v_cndmask_b32_e64 v34, 0, v34, s0
	v_cmp_gt_i32_e64 s0, s25, v111
	;; [unrolled: 2-line block ×3, first 2 shown]
	v_cndmask_b32_e64 v36, 0, v36, s0
.LBB57_39:                              ;   in Loop: Header=BB57_29 Depth=1
	s_or_b32 exec_lo, exec_lo, s6
	v_add_co_u32 v49, s0, 0x1000, v69
	v_add_co_ci_u32_e64 v50, null, 0, v70, s0
	global_load_dwordx4 v[37:40], v[49:50], off
	s_and_saveexec_b32 s6, vcc_lo
	s_cbranch_execnz .LBB57_64
; %bb.40:                               ;   in Loop: Header=BB57_29 Depth=1
	s_or_b32 exec_lo, exec_lo, s6
	global_load_dwordx4 v[41:44], v[49:50], off offset:512
	s_and_saveexec_b32 s6, vcc_lo
	s_cbranch_execnz .LBB57_65
.LBB57_41:                              ;   in Loop: Header=BB57_29 Depth=1
	s_or_b32 exec_lo, exec_lo, s6
	global_load_dwordx4 v[45:48], v[49:50], off offset:1024
	s_and_saveexec_b32 s6, vcc_lo
	s_cbranch_execnz .LBB57_66
.LBB57_42:                              ;   in Loop: Header=BB57_29 Depth=1
	s_or_b32 exec_lo, exec_lo, s6
	global_load_dwordx4 v[49:52], v[49:50], off offset:1536
	s_and_saveexec_b32 s6, vcc_lo
	s_cbranch_execz .LBB57_44
.LBB57_43:                              ;   in Loop: Header=BB57_29 Depth=1
	v_cmp_gt_i32_e64 s0, s25, v110
	s_waitcnt vmcnt(0)
	v_cndmask_b32_e64 v49, 0, v49, s0
	v_cmp_gt_i32_e64 s0, s25, v112
	v_cndmask_b32_e64 v50, 0, v50, s0
	v_cmp_gt_i32_e64 s0, s25, v111
	;; [unrolled: 2-line block ×3, first 2 shown]
	v_cndmask_b32_e64 v52, 0, v52, s0
.LBB57_44:                              ;   in Loop: Header=BB57_29 Depth=1
	s_or_b32 exec_lo, exec_lo, s6
	v_add_co_u32 v65, s0, 0x1800, v69
	v_add_co_ci_u32_e64 v66, null, 0, v70, s0
	global_load_dwordx4 v[53:56], v[65:66], off
	s_and_saveexec_b32 s6, vcc_lo
	s_cbranch_execnz .LBB57_67
; %bb.45:                               ;   in Loop: Header=BB57_29 Depth=1
	s_or_b32 exec_lo, exec_lo, s6
	global_load_dwordx4 v[57:60], v[65:66], off offset:512
	s_and_saveexec_b32 s6, vcc_lo
	s_cbranch_execnz .LBB57_68
.LBB57_46:                              ;   in Loop: Header=BB57_29 Depth=1
	s_or_b32 exec_lo, exec_lo, s6
	global_load_dwordx4 v[61:64], v[65:66], off offset:1024
	s_and_saveexec_b32 s6, vcc_lo
	s_cbranch_execnz .LBB57_69
.LBB57_47:                              ;   in Loop: Header=BB57_29 Depth=1
	s_or_b32 exec_lo, exec_lo, s6
	global_load_dwordx4 v[65:68], v[65:66], off offset:1536
	s_and_saveexec_b32 s6, vcc_lo
	s_cbranch_execz .LBB57_49
.LBB57_48:                              ;   in Loop: Header=BB57_29 Depth=1
	v_cmp_gt_i32_e64 s0, s25, v110
	s_waitcnt vmcnt(0)
	v_cndmask_b32_e64 v65, 0, v65, s0
	v_cmp_gt_i32_e64 s0, s25, v112
	v_cndmask_b32_e64 v66, 0, v66, s0
	v_cmp_gt_i32_e64 s0, s25, v111
	;; [unrolled: 2-line block ×3, first 2 shown]
	v_cndmask_b32_e64 v68, 0, v68, s0
.LBB57_49:                              ;   in Loop: Header=BB57_29 Depth=1
	s_or_b32 exec_lo, exec_lo, s6
	v_add_co_u32 v71, s0, 0x2000, v69
	v_add_co_ci_u32_e64 v72, null, 0, v70, s0
	global_load_dwordx4 v[73:76], v[71:72], off
	s_and_saveexec_b32 s6, vcc_lo
	s_cbranch_execnz .LBB57_70
; %bb.50:                               ;   in Loop: Header=BB57_29 Depth=1
	s_or_b32 exec_lo, exec_lo, s6
	global_load_dwordx4 v[77:80], v[71:72], off offset:512
	s_and_saveexec_b32 s6, vcc_lo
	s_cbranch_execnz .LBB57_71
.LBB57_51:                              ;   in Loop: Header=BB57_29 Depth=1
	s_or_b32 exec_lo, exec_lo, s6
	global_load_dwordx4 v[81:84], v[71:72], off offset:1024
	s_and_saveexec_b32 s6, vcc_lo
	s_cbranch_execnz .LBB57_72
.LBB57_52:                              ;   in Loop: Header=BB57_29 Depth=1
	s_or_b32 exec_lo, exec_lo, s6
	global_load_dwordx4 v[85:88], v[71:72], off offset:1536
	s_and_saveexec_b32 s6, vcc_lo
	s_cbranch_execz .LBB57_54
.LBB57_53:                              ;   in Loop: Header=BB57_29 Depth=1
	v_cmp_gt_i32_e64 s0, s25, v110
	s_waitcnt vmcnt(0)
	v_cndmask_b32_e64 v85, 0, v85, s0
	v_cmp_gt_i32_e64 s0, s25, v112
	v_cndmask_b32_e64 v86, 0, v86, s0
	v_cmp_gt_i32_e64 s0, s25, v111
	;; [unrolled: 2-line block ×3, first 2 shown]
	v_cndmask_b32_e64 v88, 0, v88, s0
.LBB57_54:                              ;   in Loop: Header=BB57_29 Depth=1
	s_or_b32 exec_lo, exec_lo, s6
	v_add_co_u32 v69, s0, 0x2800, v69
	v_add_co_ci_u32_e64 v70, null, 0, v70, s0
	global_load_dwordx4 v[89:92], v[69:70], off
	s_and_saveexec_b32 s6, vcc_lo
	s_cbranch_execnz .LBB57_73
; %bb.55:                               ;   in Loop: Header=BB57_29 Depth=1
	s_or_b32 exec_lo, exec_lo, s6
	global_load_dwordx4 v[93:96], v[69:70], off offset:512
	s_and_saveexec_b32 s6, vcc_lo
	s_cbranch_execnz .LBB57_74
.LBB57_56:                              ;   in Loop: Header=BB57_29 Depth=1
	s_or_b32 exec_lo, exec_lo, s6
	global_load_dwordx4 v[97:100], v[69:70], off offset:1024
	s_and_saveexec_b32 s6, vcc_lo
	s_cbranch_execnz .LBB57_75
.LBB57_57:                              ;   in Loop: Header=BB57_29 Depth=1
	s_or_b32 exec_lo, exec_lo, s6
	global_load_dwordx4 v[69:72], v[69:70], off offset:1536
	s_and_saveexec_b32 s0, vcc_lo
	s_cbranch_execz .LBB57_28
	s_branch .LBB57_76
.LBB57_58:                              ;   in Loop: Header=BB57_29 Depth=1
	v_cmp_gt_i32_e64 s0, s25, v110
	s_waitcnt vmcnt(0)
	v_cndmask_b32_e64 v5, 0, v5, s0
	v_cmp_gt_i32_e64 s0, s25, v112
	v_cndmask_b32_e64 v6, 0, v6, s0
	v_cmp_gt_i32_e64 s0, s25, v111
	;; [unrolled: 2-line block ×3, first 2 shown]
	v_cndmask_b32_e64 v8, 0, v8, s0
	s_or_b32 exec_lo, exec_lo, s6
	global_load_dwordx4 v[9:12], v[69:70], off offset:512
	s_and_saveexec_b32 s6, vcc_lo
	s_cbranch_execz .LBB57_31
.LBB57_59:                              ;   in Loop: Header=BB57_29 Depth=1
	v_cmp_gt_i32_e64 s0, s25, v110
	s_waitcnt vmcnt(0)
	v_cndmask_b32_e64 v9, 0, v9, s0
	v_cmp_gt_i32_e64 s0, s25, v112
	v_cndmask_b32_e64 v10, 0, v10, s0
	v_cmp_gt_i32_e64 s0, s25, v111
	;; [unrolled: 2-line block ×3, first 2 shown]
	v_cndmask_b32_e64 v12, 0, v12, s0
	s_or_b32 exec_lo, exec_lo, s6
	global_load_dwordx4 v[13:16], v[69:70], off offset:1024
	s_and_saveexec_b32 s6, vcc_lo
	s_cbranch_execz .LBB57_32
.LBB57_60:                              ;   in Loop: Header=BB57_29 Depth=1
	v_cmp_gt_i32_e64 s0, s25, v110
	s_waitcnt vmcnt(0)
	v_cndmask_b32_e64 v13, 0, v13, s0
	v_cmp_gt_i32_e64 s0, s25, v112
	v_cndmask_b32_e64 v14, 0, v14, s0
	v_cmp_gt_i32_e64 s0, s25, v111
	;; [unrolled: 2-line block ×3, first 2 shown]
	v_cndmask_b32_e64 v16, 0, v16, s0
	s_or_b32 exec_lo, exec_lo, s6
	global_load_dwordx4 v[17:20], v[69:70], off offset:1536
	s_and_saveexec_b32 s6, vcc_lo
	s_cbranch_execnz .LBB57_33
	s_branch .LBB57_34
.LBB57_61:                              ;   in Loop: Header=BB57_29 Depth=1
	v_cmp_gt_i32_e64 s0, s25, v110
	s_waitcnt vmcnt(0)
	v_cndmask_b32_e64 v21, 0, v21, s0
	v_cmp_gt_i32_e64 s0, s25, v112
	v_cndmask_b32_e64 v22, 0, v22, s0
	v_cmp_gt_i32_e64 s0, s25, v111
	;; [unrolled: 2-line block ×3, first 2 shown]
	v_cndmask_b32_e64 v24, 0, v24, s0
	s_or_b32 exec_lo, exec_lo, s6
	global_load_dwordx4 v[25:28], v[33:34], off offset:512
	s_and_saveexec_b32 s6, vcc_lo
	s_cbranch_execz .LBB57_36
.LBB57_62:                              ;   in Loop: Header=BB57_29 Depth=1
	v_cmp_gt_i32_e64 s0, s25, v110
	s_waitcnt vmcnt(0)
	v_cndmask_b32_e64 v25, 0, v25, s0
	v_cmp_gt_i32_e64 s0, s25, v112
	v_cndmask_b32_e64 v26, 0, v26, s0
	v_cmp_gt_i32_e64 s0, s25, v111
	;; [unrolled: 2-line block ×3, first 2 shown]
	v_cndmask_b32_e64 v28, 0, v28, s0
	s_or_b32 exec_lo, exec_lo, s6
	global_load_dwordx4 v[29:32], v[33:34], off offset:1024
	s_and_saveexec_b32 s6, vcc_lo
	s_cbranch_execz .LBB57_37
.LBB57_63:                              ;   in Loop: Header=BB57_29 Depth=1
	v_cmp_gt_i32_e64 s0, s25, v110
	s_waitcnt vmcnt(0)
	v_cndmask_b32_e64 v29, 0, v29, s0
	v_cmp_gt_i32_e64 s0, s25, v112
	v_cndmask_b32_e64 v30, 0, v30, s0
	v_cmp_gt_i32_e64 s0, s25, v111
	;; [unrolled: 2-line block ×3, first 2 shown]
	v_cndmask_b32_e64 v32, 0, v32, s0
	s_or_b32 exec_lo, exec_lo, s6
	global_load_dwordx4 v[33:36], v[33:34], off offset:1536
	s_and_saveexec_b32 s6, vcc_lo
	s_cbranch_execnz .LBB57_38
	s_branch .LBB57_39
.LBB57_64:                              ;   in Loop: Header=BB57_29 Depth=1
	v_cmp_gt_i32_e64 s0, s25, v110
	s_waitcnt vmcnt(0)
	v_cndmask_b32_e64 v37, 0, v37, s0
	v_cmp_gt_i32_e64 s0, s25, v112
	v_cndmask_b32_e64 v38, 0, v38, s0
	v_cmp_gt_i32_e64 s0, s25, v111
	;; [unrolled: 2-line block ×3, first 2 shown]
	v_cndmask_b32_e64 v40, 0, v40, s0
	s_or_b32 exec_lo, exec_lo, s6
	global_load_dwordx4 v[41:44], v[49:50], off offset:512
	s_and_saveexec_b32 s6, vcc_lo
	s_cbranch_execz .LBB57_41
.LBB57_65:                              ;   in Loop: Header=BB57_29 Depth=1
	v_cmp_gt_i32_e64 s0, s25, v110
	s_waitcnt vmcnt(0)
	v_cndmask_b32_e64 v41, 0, v41, s0
	v_cmp_gt_i32_e64 s0, s25, v112
	v_cndmask_b32_e64 v42, 0, v42, s0
	v_cmp_gt_i32_e64 s0, s25, v111
	;; [unrolled: 2-line block ×3, first 2 shown]
	v_cndmask_b32_e64 v44, 0, v44, s0
	s_or_b32 exec_lo, exec_lo, s6
	global_load_dwordx4 v[45:48], v[49:50], off offset:1024
	s_and_saveexec_b32 s6, vcc_lo
	s_cbranch_execz .LBB57_42
.LBB57_66:                              ;   in Loop: Header=BB57_29 Depth=1
	v_cmp_gt_i32_e64 s0, s25, v110
	s_waitcnt vmcnt(0)
	v_cndmask_b32_e64 v45, 0, v45, s0
	v_cmp_gt_i32_e64 s0, s25, v112
	v_cndmask_b32_e64 v46, 0, v46, s0
	v_cmp_gt_i32_e64 s0, s25, v111
	;; [unrolled: 2-line block ×3, first 2 shown]
	v_cndmask_b32_e64 v48, 0, v48, s0
	s_or_b32 exec_lo, exec_lo, s6
	global_load_dwordx4 v[49:52], v[49:50], off offset:1536
	s_and_saveexec_b32 s6, vcc_lo
	s_cbranch_execnz .LBB57_43
	s_branch .LBB57_44
.LBB57_67:                              ;   in Loop: Header=BB57_29 Depth=1
	v_cmp_gt_i32_e64 s0, s25, v110
	s_waitcnt vmcnt(0)
	v_cndmask_b32_e64 v53, 0, v53, s0
	v_cmp_gt_i32_e64 s0, s25, v112
	v_cndmask_b32_e64 v54, 0, v54, s0
	v_cmp_gt_i32_e64 s0, s25, v111
	;; [unrolled: 2-line block ×3, first 2 shown]
	v_cndmask_b32_e64 v56, 0, v56, s0
	s_or_b32 exec_lo, exec_lo, s6
	global_load_dwordx4 v[57:60], v[65:66], off offset:512
	s_and_saveexec_b32 s6, vcc_lo
	s_cbranch_execz .LBB57_46
.LBB57_68:                              ;   in Loop: Header=BB57_29 Depth=1
	v_cmp_gt_i32_e64 s0, s25, v110
	s_waitcnt vmcnt(0)
	v_cndmask_b32_e64 v57, 0, v57, s0
	v_cmp_gt_i32_e64 s0, s25, v112
	v_cndmask_b32_e64 v58, 0, v58, s0
	v_cmp_gt_i32_e64 s0, s25, v111
	v_cndmask_b32_e64 v59, 0, v59, s0
	v_cmp_gt_i32_e64 s0, s25, v107
	v_cndmask_b32_e64 v60, 0, v60, s0
	s_or_b32 exec_lo, exec_lo, s6
	global_load_dwordx4 v[61:64], v[65:66], off offset:1024
	s_and_saveexec_b32 s6, vcc_lo
	s_cbranch_execz .LBB57_47
.LBB57_69:                              ;   in Loop: Header=BB57_29 Depth=1
	v_cmp_gt_i32_e64 s0, s25, v110
	s_waitcnt vmcnt(0)
	v_cndmask_b32_e64 v61, 0, v61, s0
	v_cmp_gt_i32_e64 s0, s25, v112
	v_cndmask_b32_e64 v62, 0, v62, s0
	v_cmp_gt_i32_e64 s0, s25, v111
	;; [unrolled: 2-line block ×3, first 2 shown]
	v_cndmask_b32_e64 v64, 0, v64, s0
	s_or_b32 exec_lo, exec_lo, s6
	global_load_dwordx4 v[65:68], v[65:66], off offset:1536
	s_and_saveexec_b32 s6, vcc_lo
	s_cbranch_execnz .LBB57_48
	s_branch .LBB57_49
.LBB57_70:                              ;   in Loop: Header=BB57_29 Depth=1
	v_cmp_gt_i32_e64 s0, s25, v110
	s_waitcnt vmcnt(0)
	v_cndmask_b32_e64 v73, 0, v73, s0
	v_cmp_gt_i32_e64 s0, s25, v112
	v_cndmask_b32_e64 v74, 0, v74, s0
	v_cmp_gt_i32_e64 s0, s25, v111
	;; [unrolled: 2-line block ×3, first 2 shown]
	v_cndmask_b32_e64 v76, 0, v76, s0
	s_or_b32 exec_lo, exec_lo, s6
	global_load_dwordx4 v[77:80], v[71:72], off offset:512
	s_and_saveexec_b32 s6, vcc_lo
	s_cbranch_execz .LBB57_51
.LBB57_71:                              ;   in Loop: Header=BB57_29 Depth=1
	v_cmp_gt_i32_e64 s0, s25, v110
	s_waitcnt vmcnt(0)
	v_cndmask_b32_e64 v77, 0, v77, s0
	v_cmp_gt_i32_e64 s0, s25, v112
	v_cndmask_b32_e64 v78, 0, v78, s0
	v_cmp_gt_i32_e64 s0, s25, v111
	v_cndmask_b32_e64 v79, 0, v79, s0
	v_cmp_gt_i32_e64 s0, s25, v107
	v_cndmask_b32_e64 v80, 0, v80, s0
	s_or_b32 exec_lo, exec_lo, s6
	global_load_dwordx4 v[81:84], v[71:72], off offset:1024
	s_and_saveexec_b32 s6, vcc_lo
	s_cbranch_execz .LBB57_52
.LBB57_72:                              ;   in Loop: Header=BB57_29 Depth=1
	v_cmp_gt_i32_e64 s0, s25, v110
	s_waitcnt vmcnt(0)
	v_cndmask_b32_e64 v81, 0, v81, s0
	v_cmp_gt_i32_e64 s0, s25, v112
	v_cndmask_b32_e64 v82, 0, v82, s0
	v_cmp_gt_i32_e64 s0, s25, v111
	;; [unrolled: 2-line block ×3, first 2 shown]
	v_cndmask_b32_e64 v84, 0, v84, s0
	s_or_b32 exec_lo, exec_lo, s6
	global_load_dwordx4 v[85:88], v[71:72], off offset:1536
	s_and_saveexec_b32 s6, vcc_lo
	s_cbranch_execnz .LBB57_53
	s_branch .LBB57_54
.LBB57_73:                              ;   in Loop: Header=BB57_29 Depth=1
	v_cmp_gt_i32_e64 s0, s25, v110
	s_waitcnt vmcnt(0)
	v_cndmask_b32_e64 v89, 0, v89, s0
	v_cmp_gt_i32_e64 s0, s25, v112
	v_cndmask_b32_e64 v90, 0, v90, s0
	v_cmp_gt_i32_e64 s0, s25, v111
	;; [unrolled: 2-line block ×3, first 2 shown]
	v_cndmask_b32_e64 v92, 0, v92, s0
	s_or_b32 exec_lo, exec_lo, s6
	global_load_dwordx4 v[93:96], v[69:70], off offset:512
	s_and_saveexec_b32 s6, vcc_lo
	s_cbranch_execz .LBB57_56
.LBB57_74:                              ;   in Loop: Header=BB57_29 Depth=1
	v_cmp_gt_i32_e64 s0, s25, v110
	s_waitcnt vmcnt(0)
	v_cndmask_b32_e64 v93, 0, v93, s0
	v_cmp_gt_i32_e64 s0, s25, v112
	v_cndmask_b32_e64 v94, 0, v94, s0
	v_cmp_gt_i32_e64 s0, s25, v111
	;; [unrolled: 2-line block ×3, first 2 shown]
	v_cndmask_b32_e64 v96, 0, v96, s0
	s_or_b32 exec_lo, exec_lo, s6
	global_load_dwordx4 v[97:100], v[69:70], off offset:1024
	s_and_saveexec_b32 s6, vcc_lo
	s_cbranch_execz .LBB57_57
.LBB57_75:                              ;   in Loop: Header=BB57_29 Depth=1
	v_cmp_gt_i32_e64 s0, s25, v110
	s_waitcnt vmcnt(0)
	v_cndmask_b32_e64 v97, 0, v97, s0
	v_cmp_gt_i32_e64 s0, s25, v112
	v_cndmask_b32_e64 v98, 0, v98, s0
	v_cmp_gt_i32_e64 s0, s25, v111
	;; [unrolled: 2-line block ×3, first 2 shown]
	v_cndmask_b32_e64 v100, 0, v100, s0
	s_or_b32 exec_lo, exec_lo, s6
	global_load_dwordx4 v[69:72], v[69:70], off offset:1536
	s_and_saveexec_b32 s0, vcc_lo
	s_cbranch_execz .LBB57_28
.LBB57_76:                              ;   in Loop: Header=BB57_29 Depth=1
	v_cmp_gt_i32_e32 vcc_lo, s25, v110
	s_waitcnt vmcnt(0)
	v_cndmask_b32_e32 v69, 0, v69, vcc_lo
	v_cmp_gt_i32_e32 vcc_lo, s25, v112
	v_cndmask_b32_e32 v70, 0, v70, vcc_lo
	v_cmp_gt_i32_e32 vcc_lo, s25, v111
	;; [unrolled: 2-line block ×3, first 2 shown]
	v_cndmask_b32_e32 v72, 0, v72, vcc_lo
	s_branch .LBB57_28
.LBB57_77:
	s_or_b32 exec_lo, exec_lo, s4
	s_clause 0x6
	buffer_load_dword v47, off, s[40:43], 0 offset:28
	buffer_load_dword v98, off, s[40:43], 0 offset:32
	;; [unrolled: 1-line block ×7, first 2 shown]
	v_mov_b32_e32 v23, v0
.LBB57_78:
	s_or_b32 exec_lo, exec_lo, s1
	s_waitcnt vmcnt(1)
	ds_bpermute_b32 v1, v33, v5
	ds_bpermute_b32 v2, v33, v9
	;; [unrolled: 1-line block ×4, first 2 shown]
	v_mov_b32_e32 v0, v5
	v_mov_b32_e32 v18, v9
	ds_bpermute_b32 v11, v33, v125
	ds_bpermute_b32 v5, v33, v23
	;; [unrolled: 1-line block ×14, first 2 shown]
	s_waitcnt lgkmcnt(17)
	v_add_f32_e32 v1, v0, v1
	s_waitcnt lgkmcnt(16)
	v_add_f32_e32 v2, v18, v2
	;; [unrolled: 2-line block ×4, first 2 shown]
	ds_bpermute_b32 v4, v33, v118
	ds_bpermute_b32 v18, v40, v1
	;; [unrolled: 1-line block ×5, first 2 shown]
	s_waitcnt lgkmcnt(18)
	v_add_f32_e32 v11, v125, v11
	s_waitcnt lgkmcnt(17)
	v_add_f32_e32 v5, v23, v5
	ds_bpermute_b32 v30, v33, v116
	s_waitcnt lgkmcnt(17)
	v_add_f32_e32 v12, v124, v12
	ds_bpermute_b32 v31, v33, v115
	ds_bpermute_b32 v29, v40, v11
	s_waitcnt lgkmcnt(18)
	v_add_f32_e32 v13, v123, v13
	s_waitcnt lgkmcnt(17)
	v_add_f32_e32 v14, v122, v14
	ds_bpermute_b32 v23, v40, v5
	ds_bpermute_b32 v32, v40, v12
	s_waitcnt lgkmcnt(18)
	v_add_f32_e32 v6, v105, v6
	s_waitcnt lgkmcnt(17)
	v_add_f32_e32 v7, v104, v7
	;; [unrolled: 2-line block ×5, first 2 shown]
	ds_bpermute_b32 v24, v40, v6
	s_waitcnt lgkmcnt(9)
	v_add_f32_e32 v1, v1, v18
	s_waitcnt lgkmcnt(8)
	v_add_f32_e32 v2, v2, v19
	;; [unrolled: 2-line block ×4, first 2 shown]
	v_add_f32_e32 v15, v121, v15
	ds_bpermute_b32 v0, v46, v1
	ds_bpermute_b32 v19, v46, v2
	;; [unrolled: 1-line block ×4, first 2 shown]
	s_waitcnt lgkmcnt(7)
	v_add_f32_e32 v11, v11, v29
	ds_bpermute_b32 v29, v40, v14
	v_add_f32_e32 v16, v120, v16
	v_add_f32_e32 v17, v119, v17
	;; [unrolled: 1-line block ×6, first 2 shown]
	ds_bpermute_b32 v25, v40, v7
	ds_bpermute_b32 v26, v40, v8
	;; [unrolled: 1-line block ×4, first 2 shown]
	s_waitcnt lgkmcnt(11)
	v_add_f32_e32 v5, v5, v23
	s_waitcnt lgkmcnt(10)
	v_add_f32_e32 v12, v12, v32
	ds_bpermute_b32 v32, v40, v15
	ds_bpermute_b32 v34, v40, v16
	s_waitcnt lgkmcnt(10)
	v_add_f32_e32 v0, v1, v0
	s_waitcnt lgkmcnt(9)
	v_add_f32_e32 v1, v2, v19
	;; [unrolled: 2-line block ×4, first 2 shown]
	ds_bpermute_b32 v18, v33, v114
	ds_bpermute_b32 v20, v33, v113
	;; [unrolled: 1-line block ×9, first 2 shown]
	s_waitcnt lgkmcnt(15)
	v_add_f32_e32 v14, v14, v29
	ds_bpermute_b32 v23, v46, v5
	v_add_f32_e32 v6, v6, v24
	s_waitcnt lgkmcnt(15)
	v_add_f32_e32 v7, v7, v25
	s_waitcnt lgkmcnt(14)
	;; [unrolled: 2-line block ×4, first 2 shown]
	v_add_f32_e32 v10, v10, v28
	ds_bpermute_b32 v24, v46, v6
	s_waitcnt lgkmcnt(12)
	v_add_f32_e32 v15, v15, v32
	s_waitcnt lgkmcnt(11)
	v_add_f32_e32 v16, v16, v34
	ds_bpermute_b32 v25, v46, v7
	s_waitcnt lgkmcnt(11)
	v_add_f32_e32 v18, v114, v18
	s_waitcnt lgkmcnt(10)
	v_add_f32_e32 v20, v113, v20
	;; [unrolled: 2-line block ×5, first 2 shown]
	ds_bpermute_b32 v19, v40, v18
	ds_bpermute_b32 v29, v40, v20
	;; [unrolled: 1-line block ×3, first 2 shown]
	s_waitcnt lgkmcnt(9)
	v_add_f32_e32 v36, v4, v36
	s_waitcnt lgkmcnt(8)
	v_add_f32_e32 v22, v22, v37
	;; [unrolled: 2-line block ×4, first 2 shown]
	ds_bpermute_b32 v26, v46, v8
	ds_bpermute_b32 v27, v46, v9
	;; [unrolled: 1-line block ×13, first 2 shown]
	s_waitcnt lgkmcnt(15)
	v_add_f32_e32 v44, v18, v19
	s_waitcnt lgkmcnt(14)
	v_add_f32_e32 v29, v20, v29
	;; [unrolled: 2-line block ×3, first 2 shown]
	ds_bpermute_b32 v45, v46, v31
	v_add_f32_e32 v4, v5, v23
	ds_bpermute_b32 v21, v46, v44
	ds_bpermute_b32 v23, v46, v29
	;; [unrolled: 1-line block ×3, first 2 shown]
	v_add_f32_e32 v5, v6, v24
	v_lshrrev_b32_e32 v24, 3, v100
	v_add_f32_e32 v6, v7, v25
	s_waitcnt lgkmcnt(16)
	v_add_f32_e32 v7, v8, v26
	s_waitcnt lgkmcnt(15)
	;; [unrolled: 2-line block ×15, first 2 shown]
	v_add_f32_e32 v21, v44, v21
	v_and_b32_e32 v27, 0x3c7, v47
	s_waitcnt lgkmcnt(1)
	v_add_f32_e32 v22, v29, v23
	s_waitcnt lgkmcnt(0)
	v_add_f32_e32 v23, v40, v46
	v_lshl_add_u32 v25, v24, 2, 0x1a0
	v_mul_u32_u24_e32 v26, 0x180, v98
	s_mov_b32 s0, exec_lo
	s_waitcnt vmcnt(0)
	s_waitcnt_vscnt null, 0x0
	s_barrier
	buffer_gl0_inv
	v_cmpx_eq_u32_e32 64, v27
	s_cbranch_execz .LBB57_80
; %bb.79:
	v_add_nc_u32_e32 v27, v25, v26
	v_add_nc_u32_e32 v28, 0xfffffd00, v27
	;; [unrolled: 1-line block ×7, first 2 shown]
	ds_write_b32 v28, v0
	ds_write_b32 v29, v1
	;; [unrolled: 1-line block ×4, first 2 shown]
	v_add_nc_u32_e32 v28, 0xfffffd60, v27
	v_add_nc_u32_e32 v29, 0xfffffd70, v27
	v_add_nc_u32_e32 v30, 0xfffffd80, v27
	ds_write_b32 v32, v4
	ds_write_b32 v33, v5
	ds_write_b32 v28, v6
	ds_write_b32 v29, v7
	ds_write_b32 v30, v8
	v_add_nc_u32_e32 v28, 0xfffffd90, v27
	v_add_nc_u32_e32 v29, 0xfffffda0, v27
	v_add_nc_u32_e32 v30, 0xfffffdb0, v27
	v_add_nc_u32_e32 v31, 0xfffffdc0, v27
	v_add_nc_u32_e32 v32, 0xfffffdd0, v27
	ds_write_b32 v28, v9
	ds_write_b32 v29, v10
	ds_write_b32 v30, v11
	ds_write_b32 v31, v12
	ds_write_b32 v32, v13
	v_add_nc_u32_e32 v28, 0xfffffde0, v27
	v_add_nc_u32_e32 v29, 0xfffffdf0, v27
	;; [unrolled: 10-line block ×3, first 2 shown]
	v_add_nc_u32_e32 v30, 0xfffffe50, v27
	v_add_nc_u32_e32 v31, 0xfffffe60, v27
	;; [unrolled: 1-line block ×3, first 2 shown]
	ds_write_b32 v28, v19
	ds_write_b32 v29, v20
	;; [unrolled: 1-line block ×5, first 2 shown]
.LBB57_80:
	s_or_b32 exec_lo, exec_lo, s0
	v_lshlrev_b32_e32 v24, 2, v24
	s_mov_b32 s1, exec_lo
	v_cmp_eq_u32_e32 vcc_lo, 0, v48
	s_waitcnt lgkmcnt(0)
	s_barrier
	v_add3_u32 v24, 0x1a0, v26, v24
	buffer_gl0_inv
	v_cmpx_gt_u32_e32 64, v47
	s_cbranch_execz .LBB57_107
; %bb.81:
	s_and_saveexec_b32 s0, vcc_lo
	s_cbranch_execnz .LBB57_139
; %bb.82:
	s_or_b32 exec_lo, exec_lo, s0
	s_and_saveexec_b32 s0, vcc_lo
	s_cbranch_execnz .LBB57_140
.LBB57_83:
	s_or_b32 exec_lo, exec_lo, s0
	s_and_saveexec_b32 s0, vcc_lo
	s_cbranch_execnz .LBB57_141
.LBB57_84:
	s_or_b32 exec_lo, exec_lo, s0
	s_and_saveexec_b32 s0, vcc_lo
	s_cbranch_execnz .LBB57_142
.LBB57_85:
	s_or_b32 exec_lo, exec_lo, s0
	s_and_saveexec_b32 s0, vcc_lo
	s_cbranch_execnz .LBB57_143
.LBB57_86:
	s_or_b32 exec_lo, exec_lo, s0
	s_and_saveexec_b32 s0, vcc_lo
	s_cbranch_execnz .LBB57_144
.LBB57_87:
	s_or_b32 exec_lo, exec_lo, s0
	s_and_saveexec_b32 s0, vcc_lo
	s_cbranch_execnz .LBB57_145
.LBB57_88:
	s_or_b32 exec_lo, exec_lo, s0
	s_and_saveexec_b32 s0, vcc_lo
	s_cbranch_execnz .LBB57_146
.LBB57_89:
	s_or_b32 exec_lo, exec_lo, s0
	s_and_saveexec_b32 s0, vcc_lo
	s_cbranch_execnz .LBB57_147
.LBB57_90:
	s_or_b32 exec_lo, exec_lo, s0
	s_and_saveexec_b32 s0, vcc_lo
	s_cbranch_execnz .LBB57_148
.LBB57_91:
	s_or_b32 exec_lo, exec_lo, s0
	s_and_saveexec_b32 s0, vcc_lo
	s_cbranch_execnz .LBB57_149
.LBB57_92:
	s_or_b32 exec_lo, exec_lo, s0
	s_and_saveexec_b32 s0, vcc_lo
	s_cbranch_execnz .LBB57_150
.LBB57_93:
	s_or_b32 exec_lo, exec_lo, s0
	s_and_saveexec_b32 s0, vcc_lo
	s_cbranch_execnz .LBB57_151
.LBB57_94:
	s_or_b32 exec_lo, exec_lo, s0
	s_and_saveexec_b32 s0, vcc_lo
	s_cbranch_execnz .LBB57_152
.LBB57_95:
	s_or_b32 exec_lo, exec_lo, s0
	s_and_saveexec_b32 s0, vcc_lo
	s_cbranch_execnz .LBB57_153
.LBB57_96:
	s_or_b32 exec_lo, exec_lo, s0
	s_and_saveexec_b32 s0, vcc_lo
	s_cbranch_execnz .LBB57_154
.LBB57_97:
	s_or_b32 exec_lo, exec_lo, s0
	s_and_saveexec_b32 s0, vcc_lo
	s_cbranch_execnz .LBB57_155
.LBB57_98:
	s_or_b32 exec_lo, exec_lo, s0
	s_and_saveexec_b32 s0, vcc_lo
	s_cbranch_execnz .LBB57_156
.LBB57_99:
	s_or_b32 exec_lo, exec_lo, s0
	s_and_saveexec_b32 s0, vcc_lo
	s_cbranch_execnz .LBB57_157
.LBB57_100:
	s_or_b32 exec_lo, exec_lo, s0
	s_and_saveexec_b32 s0, vcc_lo
	s_cbranch_execnz .LBB57_158
.LBB57_101:
	s_or_b32 exec_lo, exec_lo, s0
	s_and_saveexec_b32 s0, vcc_lo
	s_cbranch_execnz .LBB57_159
.LBB57_102:
	s_or_b32 exec_lo, exec_lo, s0
	s_and_saveexec_b32 s0, vcc_lo
	s_cbranch_execnz .LBB57_160
.LBB57_103:
	s_or_b32 exec_lo, exec_lo, s0
	s_and_saveexec_b32 s0, vcc_lo
	s_cbranch_execnz .LBB57_161
.LBB57_104:
	s_or_b32 exec_lo, exec_lo, s0
	s_and_saveexec_b32 s0, vcc_lo
	s_cbranch_execz .LBB57_106
.LBB57_105:
	ds_read_b32 v26, v24 offset:368
	s_waitcnt lgkmcnt(0)
	v_add_f32_e32 v23, v23, v26
.LBB57_106:
	s_or_b32 exec_lo, exec_lo, s0
.LBB57_107:
	s_or_b32 exec_lo, exec_lo, s1
	v_and_b32_e32 v26, 0x3e7, v47
	s_mov_b32 s1, exec_lo
	s_barrier
	buffer_gl0_inv
	v_cmpx_eq_u32_e32 32, v26
	s_cbranch_execz .LBB57_109
; %bb.108:
	ds_write2_b32 v25, v0, v1 offset1:4
	ds_write2_b32 v25, v2, v3 offset0:8 offset1:12
	ds_write2_b32 v25, v4, v5 offset0:16 offset1:20
	;; [unrolled: 1-line block ×11, first 2 shown]
.LBB57_109:
	s_or_b32 exec_lo, exec_lo, s1
	s_mov_b32 s1, exec_lo
	s_waitcnt lgkmcnt(0)
	s_barrier
	buffer_gl0_inv
	v_cmpx_gt_u32_e32 32, v47
	s_cbranch_execz .LBB57_136
; %bb.110:
	s_and_saveexec_b32 s0, vcc_lo
	s_cbranch_execnz .LBB57_162
; %bb.111:
	s_or_b32 exec_lo, exec_lo, s0
	s_and_saveexec_b32 s0, vcc_lo
	s_cbranch_execnz .LBB57_163
.LBB57_112:
	s_or_b32 exec_lo, exec_lo, s0
	s_and_saveexec_b32 s0, vcc_lo
	s_cbranch_execnz .LBB57_164
.LBB57_113:
	s_or_b32 exec_lo, exec_lo, s0
	s_and_saveexec_b32 s0, vcc_lo
	s_cbranch_execnz .LBB57_165
.LBB57_114:
	s_or_b32 exec_lo, exec_lo, s0
	s_and_saveexec_b32 s0, vcc_lo
	s_cbranch_execnz .LBB57_166
.LBB57_115:
	s_or_b32 exec_lo, exec_lo, s0
	s_and_saveexec_b32 s0, vcc_lo
	s_cbranch_execnz .LBB57_167
.LBB57_116:
	s_or_b32 exec_lo, exec_lo, s0
	s_and_saveexec_b32 s0, vcc_lo
	s_cbranch_execnz .LBB57_168
.LBB57_117:
	s_or_b32 exec_lo, exec_lo, s0
	s_and_saveexec_b32 s0, vcc_lo
	s_cbranch_execnz .LBB57_169
.LBB57_118:
	s_or_b32 exec_lo, exec_lo, s0
	s_and_saveexec_b32 s0, vcc_lo
	s_cbranch_execnz .LBB57_170
.LBB57_119:
	s_or_b32 exec_lo, exec_lo, s0
	s_and_saveexec_b32 s0, vcc_lo
	s_cbranch_execnz .LBB57_171
.LBB57_120:
	s_or_b32 exec_lo, exec_lo, s0
	s_and_saveexec_b32 s0, vcc_lo
	s_cbranch_execnz .LBB57_172
.LBB57_121:
	s_or_b32 exec_lo, exec_lo, s0
	s_and_saveexec_b32 s0, vcc_lo
	s_cbranch_execnz .LBB57_173
.LBB57_122:
	s_or_b32 exec_lo, exec_lo, s0
	s_and_saveexec_b32 s0, vcc_lo
	s_cbranch_execnz .LBB57_174
.LBB57_123:
	s_or_b32 exec_lo, exec_lo, s0
	s_and_saveexec_b32 s0, vcc_lo
	s_cbranch_execnz .LBB57_175
.LBB57_124:
	s_or_b32 exec_lo, exec_lo, s0
	s_and_saveexec_b32 s0, vcc_lo
	s_cbranch_execnz .LBB57_176
.LBB57_125:
	s_or_b32 exec_lo, exec_lo, s0
	s_and_saveexec_b32 s0, vcc_lo
	s_cbranch_execnz .LBB57_177
.LBB57_126:
	s_or_b32 exec_lo, exec_lo, s0
	s_and_saveexec_b32 s0, vcc_lo
	s_cbranch_execnz .LBB57_178
.LBB57_127:
	s_or_b32 exec_lo, exec_lo, s0
	s_and_saveexec_b32 s0, vcc_lo
	s_cbranch_execnz .LBB57_179
.LBB57_128:
	s_or_b32 exec_lo, exec_lo, s0
	s_and_saveexec_b32 s0, vcc_lo
	s_cbranch_execnz .LBB57_180
.LBB57_129:
	s_or_b32 exec_lo, exec_lo, s0
	s_and_saveexec_b32 s0, vcc_lo
	s_cbranch_execnz .LBB57_181
.LBB57_130:
	s_or_b32 exec_lo, exec_lo, s0
	s_and_saveexec_b32 s0, vcc_lo
	s_cbranch_execnz .LBB57_182
.LBB57_131:
	s_or_b32 exec_lo, exec_lo, s0
	s_and_saveexec_b32 s0, vcc_lo
	s_cbranch_execnz .LBB57_183
.LBB57_132:
	s_or_b32 exec_lo, exec_lo, s0
	s_and_saveexec_b32 s0, vcc_lo
	s_cbranch_execnz .LBB57_184
.LBB57_133:
	s_or_b32 exec_lo, exec_lo, s0
	s_and_saveexec_b32 s0, vcc_lo
	s_cbranch_execz .LBB57_135
.LBB57_134:
	ds_read_b32 v24, v24 offset:368
	s_waitcnt lgkmcnt(0)
	v_add_f32_e32 v23, v23, v24
.LBB57_135:
	s_or_b32 exec_lo, exec_lo, s0
.LBB57_136:
	s_or_b32 exec_lo, exec_lo, s1
	s_barrier
	buffer_gl0_inv
	s_mov_b32 s0, exec_lo
	v_cmpx_eq_u32_e32 0, v26
	s_cbranch_execz .LBB57_138
; %bb.137:
	s_mul_i32 s0, s2, 0x60
	s_mul_i32 s2, s7, s10
	s_ashr_i32 s1, s0, 31
	v_lshrrev_b32_e32 v24, 1, v47
	s_lshl_b64 s[0:1], s[0:1], 2
	s_add_u32 s4, s20, s0
	s_addc_u32 s5, s21, s1
	s_ashr_i32 s3, s2, 31
	s_lshl_b64 s[0:1], s[2:3], 2
	s_mul_i32 s2, s8, 0x60
	s_add_u32 s4, s4, s0
	s_addc_u32 s5, s5, s1
	s_ashr_i32 s3, s2, 31
	s_lshl_b64 s[0:1], s[2:3], 2
	s_add_u32 s0, s4, s0
	s_addc_u32 s1, s5, s1
	global_store_dword v24, v0, s[0:1]
	global_store_dword v24, v1, s[0:1] offset:16
	global_store_dword v24, v2, s[0:1] offset:32
	;; [unrolled: 1-line block ×23, first 2 shown]
.LBB57_138:
	s_endpgm
.LBB57_139:
	ds_read_b32 v26, v24
	s_waitcnt lgkmcnt(0)
	v_add_f32_e32 v0, v0, v26
	s_or_b32 exec_lo, exec_lo, s0
	s_and_saveexec_b32 s0, vcc_lo
	s_cbranch_execz .LBB57_83
.LBB57_140:
	ds_read_b32 v26, v24 offset:16
	s_waitcnt lgkmcnt(0)
	v_add_f32_e32 v1, v1, v26
	s_or_b32 exec_lo, exec_lo, s0
	s_and_saveexec_b32 s0, vcc_lo
	s_cbranch_execz .LBB57_84
.LBB57_141:
	ds_read_b32 v26, v24 offset:32
	s_waitcnt lgkmcnt(0)
	v_add_f32_e32 v2, v2, v26
	s_or_b32 exec_lo, exec_lo, s0
	s_and_saveexec_b32 s0, vcc_lo
	s_cbranch_execz .LBB57_85
.LBB57_142:
	ds_read_b32 v26, v24 offset:48
	s_waitcnt lgkmcnt(0)
	v_add_f32_e32 v3, v3, v26
	s_or_b32 exec_lo, exec_lo, s0
	s_and_saveexec_b32 s0, vcc_lo
	s_cbranch_execz .LBB57_86
.LBB57_143:
	ds_read_b32 v26, v24 offset:64
	s_waitcnt lgkmcnt(0)
	v_add_f32_e32 v4, v4, v26
	s_or_b32 exec_lo, exec_lo, s0
	s_and_saveexec_b32 s0, vcc_lo
	s_cbranch_execz .LBB57_87
.LBB57_144:
	ds_read_b32 v26, v24 offset:80
	s_waitcnt lgkmcnt(0)
	v_add_f32_e32 v5, v5, v26
	s_or_b32 exec_lo, exec_lo, s0
	s_and_saveexec_b32 s0, vcc_lo
	s_cbranch_execz .LBB57_88
.LBB57_145:
	ds_read_b32 v26, v24 offset:96
	s_waitcnt lgkmcnt(0)
	v_add_f32_e32 v6, v6, v26
	s_or_b32 exec_lo, exec_lo, s0
	s_and_saveexec_b32 s0, vcc_lo
	s_cbranch_execz .LBB57_89
.LBB57_146:
	ds_read_b32 v26, v24 offset:112
	s_waitcnt lgkmcnt(0)
	v_add_f32_e32 v7, v7, v26
	s_or_b32 exec_lo, exec_lo, s0
	s_and_saveexec_b32 s0, vcc_lo
	s_cbranch_execz .LBB57_90
.LBB57_147:
	ds_read_b32 v26, v24 offset:128
	s_waitcnt lgkmcnt(0)
	v_add_f32_e32 v8, v8, v26
	s_or_b32 exec_lo, exec_lo, s0
	s_and_saveexec_b32 s0, vcc_lo
	s_cbranch_execz .LBB57_91
.LBB57_148:
	ds_read_b32 v26, v24 offset:144
	s_waitcnt lgkmcnt(0)
	v_add_f32_e32 v9, v9, v26
	s_or_b32 exec_lo, exec_lo, s0
	s_and_saveexec_b32 s0, vcc_lo
	s_cbranch_execz .LBB57_92
.LBB57_149:
	ds_read_b32 v26, v24 offset:160
	s_waitcnt lgkmcnt(0)
	v_add_f32_e32 v10, v10, v26
	s_or_b32 exec_lo, exec_lo, s0
	s_and_saveexec_b32 s0, vcc_lo
	s_cbranch_execz .LBB57_93
.LBB57_150:
	ds_read_b32 v26, v24 offset:176
	s_waitcnt lgkmcnt(0)
	v_add_f32_e32 v11, v11, v26
	s_or_b32 exec_lo, exec_lo, s0
	s_and_saveexec_b32 s0, vcc_lo
	s_cbranch_execz .LBB57_94
.LBB57_151:
	ds_read_b32 v26, v24 offset:192
	s_waitcnt lgkmcnt(0)
	v_add_f32_e32 v12, v12, v26
	s_or_b32 exec_lo, exec_lo, s0
	s_and_saveexec_b32 s0, vcc_lo
	s_cbranch_execz .LBB57_95
.LBB57_152:
	ds_read_b32 v26, v24 offset:208
	s_waitcnt lgkmcnt(0)
	v_add_f32_e32 v13, v13, v26
	s_or_b32 exec_lo, exec_lo, s0
	s_and_saveexec_b32 s0, vcc_lo
	s_cbranch_execz .LBB57_96
.LBB57_153:
	ds_read_b32 v26, v24 offset:224
	s_waitcnt lgkmcnt(0)
	v_add_f32_e32 v14, v14, v26
	s_or_b32 exec_lo, exec_lo, s0
	s_and_saveexec_b32 s0, vcc_lo
	s_cbranch_execz .LBB57_97
.LBB57_154:
	ds_read_b32 v26, v24 offset:240
	s_waitcnt lgkmcnt(0)
	v_add_f32_e32 v15, v15, v26
	s_or_b32 exec_lo, exec_lo, s0
	s_and_saveexec_b32 s0, vcc_lo
	s_cbranch_execz .LBB57_98
.LBB57_155:
	ds_read_b32 v26, v24 offset:256
	s_waitcnt lgkmcnt(0)
	v_add_f32_e32 v16, v16, v26
	s_or_b32 exec_lo, exec_lo, s0
	s_and_saveexec_b32 s0, vcc_lo
	s_cbranch_execz .LBB57_99
.LBB57_156:
	ds_read_b32 v26, v24 offset:272
	s_waitcnt lgkmcnt(0)
	v_add_f32_e32 v17, v17, v26
	s_or_b32 exec_lo, exec_lo, s0
	s_and_saveexec_b32 s0, vcc_lo
	s_cbranch_execz .LBB57_100
.LBB57_157:
	ds_read_b32 v26, v24 offset:288
	s_waitcnt lgkmcnt(0)
	v_add_f32_e32 v18, v18, v26
	s_or_b32 exec_lo, exec_lo, s0
	s_and_saveexec_b32 s0, vcc_lo
	s_cbranch_execz .LBB57_101
.LBB57_158:
	ds_read_b32 v26, v24 offset:304
	s_waitcnt lgkmcnt(0)
	v_add_f32_e32 v19, v19, v26
	s_or_b32 exec_lo, exec_lo, s0
	s_and_saveexec_b32 s0, vcc_lo
	s_cbranch_execz .LBB57_102
.LBB57_159:
	ds_read_b32 v26, v24 offset:320
	s_waitcnt lgkmcnt(0)
	v_add_f32_e32 v20, v20, v26
	s_or_b32 exec_lo, exec_lo, s0
	s_and_saveexec_b32 s0, vcc_lo
	s_cbranch_execz .LBB57_103
.LBB57_160:
	ds_read_b32 v26, v24 offset:336
	s_waitcnt lgkmcnt(0)
	v_add_f32_e32 v21, v21, v26
	s_or_b32 exec_lo, exec_lo, s0
	s_and_saveexec_b32 s0, vcc_lo
	s_cbranch_execz .LBB57_104
.LBB57_161:
	ds_read_b32 v26, v24 offset:352
	s_waitcnt lgkmcnt(0)
	v_add_f32_e32 v22, v22, v26
	s_or_b32 exec_lo, exec_lo, s0
	s_and_saveexec_b32 s0, vcc_lo
	s_cbranch_execnz .LBB57_105
	s_branch .LBB57_106
.LBB57_162:
	ds_read_b32 v25, v24
	s_waitcnt lgkmcnt(0)
	v_add_f32_e32 v0, v0, v25
	s_or_b32 exec_lo, exec_lo, s0
	s_and_saveexec_b32 s0, vcc_lo
	s_cbranch_execz .LBB57_112
.LBB57_163:
	ds_read_b32 v25, v24 offset:16
	s_waitcnt lgkmcnt(0)
	v_add_f32_e32 v1, v1, v25
	s_or_b32 exec_lo, exec_lo, s0
	s_and_saveexec_b32 s0, vcc_lo
	s_cbranch_execz .LBB57_113
.LBB57_164:
	ds_read_b32 v25, v24 offset:32
	s_waitcnt lgkmcnt(0)
	v_add_f32_e32 v2, v2, v25
	s_or_b32 exec_lo, exec_lo, s0
	s_and_saveexec_b32 s0, vcc_lo
	s_cbranch_execz .LBB57_114
.LBB57_165:
	ds_read_b32 v25, v24 offset:48
	s_waitcnt lgkmcnt(0)
	v_add_f32_e32 v3, v3, v25
	s_or_b32 exec_lo, exec_lo, s0
	s_and_saveexec_b32 s0, vcc_lo
	s_cbranch_execz .LBB57_115
.LBB57_166:
	ds_read_b32 v25, v24 offset:64
	s_waitcnt lgkmcnt(0)
	v_add_f32_e32 v4, v4, v25
	s_or_b32 exec_lo, exec_lo, s0
	s_and_saveexec_b32 s0, vcc_lo
	s_cbranch_execz .LBB57_116
.LBB57_167:
	ds_read_b32 v25, v24 offset:80
	s_waitcnt lgkmcnt(0)
	v_add_f32_e32 v5, v5, v25
	s_or_b32 exec_lo, exec_lo, s0
	s_and_saveexec_b32 s0, vcc_lo
	s_cbranch_execz .LBB57_117
.LBB57_168:
	ds_read_b32 v25, v24 offset:96
	s_waitcnt lgkmcnt(0)
	v_add_f32_e32 v6, v6, v25
	s_or_b32 exec_lo, exec_lo, s0
	s_and_saveexec_b32 s0, vcc_lo
	s_cbranch_execz .LBB57_118
.LBB57_169:
	ds_read_b32 v25, v24 offset:112
	s_waitcnt lgkmcnt(0)
	v_add_f32_e32 v7, v7, v25
	s_or_b32 exec_lo, exec_lo, s0
	s_and_saveexec_b32 s0, vcc_lo
	s_cbranch_execz .LBB57_119
.LBB57_170:
	ds_read_b32 v25, v24 offset:128
	s_waitcnt lgkmcnt(0)
	v_add_f32_e32 v8, v8, v25
	s_or_b32 exec_lo, exec_lo, s0
	s_and_saveexec_b32 s0, vcc_lo
	s_cbranch_execz .LBB57_120
.LBB57_171:
	ds_read_b32 v25, v24 offset:144
	s_waitcnt lgkmcnt(0)
	v_add_f32_e32 v9, v9, v25
	s_or_b32 exec_lo, exec_lo, s0
	s_and_saveexec_b32 s0, vcc_lo
	s_cbranch_execz .LBB57_121
.LBB57_172:
	ds_read_b32 v25, v24 offset:160
	s_waitcnt lgkmcnt(0)
	v_add_f32_e32 v10, v10, v25
	s_or_b32 exec_lo, exec_lo, s0
	s_and_saveexec_b32 s0, vcc_lo
	s_cbranch_execz .LBB57_122
.LBB57_173:
	ds_read_b32 v25, v24 offset:176
	s_waitcnt lgkmcnt(0)
	v_add_f32_e32 v11, v11, v25
	s_or_b32 exec_lo, exec_lo, s0
	s_and_saveexec_b32 s0, vcc_lo
	s_cbranch_execz .LBB57_123
.LBB57_174:
	ds_read_b32 v25, v24 offset:192
	s_waitcnt lgkmcnt(0)
	v_add_f32_e32 v12, v12, v25
	s_or_b32 exec_lo, exec_lo, s0
	s_and_saveexec_b32 s0, vcc_lo
	s_cbranch_execz .LBB57_124
.LBB57_175:
	ds_read_b32 v25, v24 offset:208
	s_waitcnt lgkmcnt(0)
	v_add_f32_e32 v13, v13, v25
	s_or_b32 exec_lo, exec_lo, s0
	s_and_saveexec_b32 s0, vcc_lo
	s_cbranch_execz .LBB57_125
.LBB57_176:
	ds_read_b32 v25, v24 offset:224
	s_waitcnt lgkmcnt(0)
	v_add_f32_e32 v14, v14, v25
	s_or_b32 exec_lo, exec_lo, s0
	s_and_saveexec_b32 s0, vcc_lo
	s_cbranch_execz .LBB57_126
.LBB57_177:
	ds_read_b32 v25, v24 offset:240
	s_waitcnt lgkmcnt(0)
	v_add_f32_e32 v15, v15, v25
	s_or_b32 exec_lo, exec_lo, s0
	s_and_saveexec_b32 s0, vcc_lo
	s_cbranch_execz .LBB57_127
.LBB57_178:
	ds_read_b32 v25, v24 offset:256
	s_waitcnt lgkmcnt(0)
	v_add_f32_e32 v16, v16, v25
	s_or_b32 exec_lo, exec_lo, s0
	s_and_saveexec_b32 s0, vcc_lo
	s_cbranch_execz .LBB57_128
.LBB57_179:
	ds_read_b32 v25, v24 offset:272
	s_waitcnt lgkmcnt(0)
	v_add_f32_e32 v17, v17, v25
	s_or_b32 exec_lo, exec_lo, s0
	s_and_saveexec_b32 s0, vcc_lo
	s_cbranch_execz .LBB57_129
.LBB57_180:
	ds_read_b32 v25, v24 offset:288
	s_waitcnt lgkmcnt(0)
	v_add_f32_e32 v18, v18, v25
	s_or_b32 exec_lo, exec_lo, s0
	s_and_saveexec_b32 s0, vcc_lo
	s_cbranch_execz .LBB57_130
.LBB57_181:
	ds_read_b32 v25, v24 offset:304
	s_waitcnt lgkmcnt(0)
	v_add_f32_e32 v19, v19, v25
	s_or_b32 exec_lo, exec_lo, s0
	s_and_saveexec_b32 s0, vcc_lo
	s_cbranch_execz .LBB57_131
.LBB57_182:
	ds_read_b32 v25, v24 offset:320
	s_waitcnt lgkmcnt(0)
	v_add_f32_e32 v20, v20, v25
	s_or_b32 exec_lo, exec_lo, s0
	s_and_saveexec_b32 s0, vcc_lo
	s_cbranch_execz .LBB57_132
.LBB57_183:
	ds_read_b32 v25, v24 offset:336
	s_waitcnt lgkmcnt(0)
	v_add_f32_e32 v21, v21, v25
	s_or_b32 exec_lo, exec_lo, s0
	s_and_saveexec_b32 s0, vcc_lo
	s_cbranch_execz .LBB57_133
.LBB57_184:
	ds_read_b32 v25, v24 offset:352
	s_waitcnt lgkmcnt(0)
	v_add_f32_e32 v22, v22, v25
	s_or_b32 exec_lo, exec_lo, s0
	s_and_saveexec_b32 s0, vcc_lo
	s_cbranch_execnz .LBB57_134
	s_branch .LBB57_135
	.section	.rodata,"a",@progbits
	.p2align	6, 0x0
	.amdhsa_kernel _ZN4vllm25paged_attention_v2_kernelIffLi96ELi32ELi128ELNS_18Fp8KVCacheDataTypeE0ELb0ELi512EEEvPfS2_PT_PKS3_PKT0_S9_ifPKiSB_iPKfiiiSD_SD_iiiii
		.amdhsa_group_segment_fixed_size 416
		.amdhsa_private_segment_fixed_size 60
		.amdhsa_kernarg_size 400
		.amdhsa_user_sgpr_count 6
		.amdhsa_user_sgpr_private_segment_buffer 1
		.amdhsa_user_sgpr_dispatch_ptr 0
		.amdhsa_user_sgpr_queue_ptr 0
		.amdhsa_user_sgpr_kernarg_segment_ptr 1
		.amdhsa_user_sgpr_dispatch_id 0
		.amdhsa_user_sgpr_flat_scratch_init 0
		.amdhsa_user_sgpr_private_segment_size 0
		.amdhsa_wavefront_size32 1
		.amdhsa_uses_dynamic_stack 0
		.amdhsa_system_sgpr_private_segment_wavefront_offset 1
		.amdhsa_system_sgpr_workgroup_id_x 1
		.amdhsa_system_sgpr_workgroup_id_y 1
		.amdhsa_system_sgpr_workgroup_id_z 1
		.amdhsa_system_sgpr_workgroup_info 0
		.amdhsa_system_vgpr_workitem_id 0
		.amdhsa_next_free_vgpr 128
		.amdhsa_next_free_sgpr 44
		.amdhsa_reserve_vcc 1
		.amdhsa_reserve_flat_scratch 0
		.amdhsa_float_round_mode_32 0
		.amdhsa_float_round_mode_16_64 0
		.amdhsa_float_denorm_mode_32 3
		.amdhsa_float_denorm_mode_16_64 3
		.amdhsa_dx10_clamp 1
		.amdhsa_ieee_mode 1
		.amdhsa_fp16_overflow 0
		.amdhsa_workgroup_processor_mode 1
		.amdhsa_memory_ordered 1
		.amdhsa_forward_progress 1
		.amdhsa_shared_vgpr_count 0
		.amdhsa_exception_fp_ieee_invalid_op 0
		.amdhsa_exception_fp_denorm_src 0
		.amdhsa_exception_fp_ieee_div_zero 0
		.amdhsa_exception_fp_ieee_overflow 0
		.amdhsa_exception_fp_ieee_underflow 0
		.amdhsa_exception_fp_ieee_inexact 0
		.amdhsa_exception_int_div_zero 0
	.end_amdhsa_kernel
	.section	.text._ZN4vllm25paged_attention_v2_kernelIffLi96ELi32ELi128ELNS_18Fp8KVCacheDataTypeE0ELb0ELi512EEEvPfS2_PT_PKS3_PKT0_S9_ifPKiSB_iPKfiiiSD_SD_iiiii,"axG",@progbits,_ZN4vllm25paged_attention_v2_kernelIffLi96ELi32ELi128ELNS_18Fp8KVCacheDataTypeE0ELb0ELi512EEEvPfS2_PT_PKS3_PKT0_S9_ifPKiSB_iPKfiiiSD_SD_iiiii,comdat
.Lfunc_end57:
	.size	_ZN4vllm25paged_attention_v2_kernelIffLi96ELi32ELi128ELNS_18Fp8KVCacheDataTypeE0ELb0ELi512EEEvPfS2_PT_PKS3_PKT0_S9_ifPKiSB_iPKfiiiSD_SD_iiiii, .Lfunc_end57-_ZN4vllm25paged_attention_v2_kernelIffLi96ELi32ELi128ELNS_18Fp8KVCacheDataTypeE0ELb0ELi512EEEvPfS2_PT_PKS3_PKT0_S9_ifPKiSB_iPKfiiiSD_SD_iiiii
                                        ; -- End function
	.set _ZN4vllm25paged_attention_v2_kernelIffLi96ELi32ELi128ELNS_18Fp8KVCacheDataTypeE0ELb0ELi512EEEvPfS2_PT_PKS3_PKT0_S9_ifPKiSB_iPKfiiiSD_SD_iiiii.num_vgpr, 128
	.set _ZN4vllm25paged_attention_v2_kernelIffLi96ELi32ELi128ELNS_18Fp8KVCacheDataTypeE0ELb0ELi512EEEvPfS2_PT_PKS3_PKT0_S9_ifPKiSB_iPKfiiiSD_SD_iiiii.num_agpr, 0
	.set _ZN4vllm25paged_attention_v2_kernelIffLi96ELi32ELi128ELNS_18Fp8KVCacheDataTypeE0ELb0ELi512EEEvPfS2_PT_PKS3_PKT0_S9_ifPKiSB_iPKfiiiSD_SD_iiiii.numbered_sgpr, 44
	.set _ZN4vllm25paged_attention_v2_kernelIffLi96ELi32ELi128ELNS_18Fp8KVCacheDataTypeE0ELb0ELi512EEEvPfS2_PT_PKS3_PKT0_S9_ifPKiSB_iPKfiiiSD_SD_iiiii.num_named_barrier, 0
	.set _ZN4vllm25paged_attention_v2_kernelIffLi96ELi32ELi128ELNS_18Fp8KVCacheDataTypeE0ELb0ELi512EEEvPfS2_PT_PKS3_PKT0_S9_ifPKiSB_iPKfiiiSD_SD_iiiii.private_seg_size, 60
	.set _ZN4vllm25paged_attention_v2_kernelIffLi96ELi32ELi128ELNS_18Fp8KVCacheDataTypeE0ELb0ELi512EEEvPfS2_PT_PKS3_PKT0_S9_ifPKiSB_iPKfiiiSD_SD_iiiii.uses_vcc, 1
	.set _ZN4vllm25paged_attention_v2_kernelIffLi96ELi32ELi128ELNS_18Fp8KVCacheDataTypeE0ELb0ELi512EEEvPfS2_PT_PKS3_PKT0_S9_ifPKiSB_iPKfiiiSD_SD_iiiii.uses_flat_scratch, 0
	.set _ZN4vllm25paged_attention_v2_kernelIffLi96ELi32ELi128ELNS_18Fp8KVCacheDataTypeE0ELb0ELi512EEEvPfS2_PT_PKS3_PKT0_S9_ifPKiSB_iPKfiiiSD_SD_iiiii.has_dyn_sized_stack, 0
	.set _ZN4vllm25paged_attention_v2_kernelIffLi96ELi32ELi128ELNS_18Fp8KVCacheDataTypeE0ELb0ELi512EEEvPfS2_PT_PKS3_PKT0_S9_ifPKiSB_iPKfiiiSD_SD_iiiii.has_recursion, 0
	.set _ZN4vllm25paged_attention_v2_kernelIffLi96ELi32ELi128ELNS_18Fp8KVCacheDataTypeE0ELb0ELi512EEEvPfS2_PT_PKS3_PKT0_S9_ifPKiSB_iPKfiiiSD_SD_iiiii.has_indirect_call, 0
	.section	.AMDGPU.csdata,"",@progbits
; Kernel info:
; codeLenInByte = 10764
; TotalNumSgprs: 46
; NumVgprs: 128
; ScratchSize: 60
; MemoryBound: 0
; FloatMode: 240
; IeeeMode: 1
; LDSByteSize: 416 bytes/workgroup (compile time only)
; SGPRBlocks: 0
; VGPRBlocks: 15
; NumSGPRsForWavesPerEU: 46
; NumVGPRsForWavesPerEU: 128
; Occupancy: 8
; WaveLimiterHint : 1
; COMPUTE_PGM_RSRC2:SCRATCH_EN: 1
; COMPUTE_PGM_RSRC2:USER_SGPR: 6
; COMPUTE_PGM_RSRC2:TRAP_HANDLER: 0
; COMPUTE_PGM_RSRC2:TGID_X_EN: 1
; COMPUTE_PGM_RSRC2:TGID_Y_EN: 1
; COMPUTE_PGM_RSRC2:TGID_Z_EN: 1
; COMPUTE_PGM_RSRC2:TIDIG_COMP_CNT: 0
	.section	.text._ZN4vllm25paged_attention_v2_kernelIffLi112ELi32ELi128ELNS_18Fp8KVCacheDataTypeE0ELb0ELi512EEEvPfS2_PT_PKS3_PKT0_S9_ifPKiSB_iPKfiiiSD_SD_iiiii,"axG",@progbits,_ZN4vllm25paged_attention_v2_kernelIffLi112ELi32ELi128ELNS_18Fp8KVCacheDataTypeE0ELb0ELi512EEEvPfS2_PT_PKS3_PKT0_S9_ifPKiSB_iPKfiiiSD_SD_iiiii,comdat
	.protected	_ZN4vllm25paged_attention_v2_kernelIffLi112ELi32ELi128ELNS_18Fp8KVCacheDataTypeE0ELb0ELi512EEEvPfS2_PT_PKS3_PKT0_S9_ifPKiSB_iPKfiiiSD_SD_iiiii ; -- Begin function _ZN4vllm25paged_attention_v2_kernelIffLi112ELi32ELi128ELNS_18Fp8KVCacheDataTypeE0ELb0ELi512EEEvPfS2_PT_PKS3_PKT0_S9_ifPKiSB_iPKfiiiSD_SD_iiiii
	.globl	_ZN4vllm25paged_attention_v2_kernelIffLi112ELi32ELi128ELNS_18Fp8KVCacheDataTypeE0ELb0ELi512EEEvPfS2_PT_PKS3_PKT0_S9_ifPKiSB_iPKfiiiSD_SD_iiiii
	.p2align	8
	.type	_ZN4vllm25paged_attention_v2_kernelIffLi112ELi32ELi128ELNS_18Fp8KVCacheDataTypeE0ELb0ELi512EEEvPfS2_PT_PKS3_PKT0_S9_ifPKiSB_iPKfiiiSD_SD_iiiii,@function
_ZN4vllm25paged_attention_v2_kernelIffLi112ELi32ELi128ELNS_18Fp8KVCacheDataTypeE0ELb0ELi512EEEvPfS2_PT_PKS3_PKT0_S9_ifPKiSB_iPKfiiiSD_SD_iiiii: ; @_ZN4vllm25paged_attention_v2_kernelIffLi112ELi32ELi128ELNS_18Fp8KVCacheDataTypeE0ELb0ELi512EEEvPfS2_PT_PKS3_PKT0_S9_ifPKiSB_iPKfiiiSD_SD_iiiii
; %bb.0:
	s_mov_b64 s[42:43], s[2:3]
	s_mov_b64 s[40:41], s[0:1]
	s_load_dwordx2 s[0:1], s[4:5], 0x40
	s_add_u32 s40, s40, s9
	s_addc_u32 s41, s41, 0
	s_mov_b32 s24, s7
	s_ashr_i32 s25, s7, 31
	s_lshl_b64 s[2:3], s[24:25], 2
	s_waitcnt lgkmcnt(0)
	s_add_u32 s0, s0, s2
	s_addc_u32 s1, s1, s3
	s_lshl_b32 s30, s8, 9
	s_load_dword s25, s[0:1], 0x0
	s_waitcnt lgkmcnt(0)
	s_cmp_ge_i32 s30, s25
	s_cbranch_scc1 .LBB58_154
; %bb.1:
	s_clause 0x1
	s_load_dword s9, s[4:5], 0x90
	s_load_dwordx2 s[2:3], s[4:5], 0x30
	v_mov_b32_e32 v51, v0
	s_mov_b32 s33, 0
	s_waitcnt lgkmcnt(0)
	s_abs_i32 s10, s9
	s_abs_i32 s0, s2
	s_xor_b32 s2, s9, s2
	v_cvt_f32_u32_e32 v0, s0
	s_sub_i32 s7, 0, s0
	s_ashr_i32 s2, s2, 31
	v_rcp_iflag_f32_e32 v0, v0
	v_mul_f32_e32 v0, 0x4f7ffffe, v0
	v_cvt_u32_f32_e32 v0, v0
	v_readfirstlane_b32 s1, v0
	s_mul_i32 s7, s7, s1
	s_mul_hi_u32 s7, s1, s7
	s_add_i32 s1, s1, s7
	s_mul_hi_u32 s1, s10, s1
	s_mul_i32 s7, s1, s0
	s_sub_i32 s7, s10, s7
	s_add_i32 s10, s1, 1
	s_sub_i32 s11, s7, s0
	s_cmp_ge_u32 s7, s0
	s_cselect_b32 s1, s10, s1
	s_cselect_b32 s7, s11, s7
	s_add_i32 s10, s1, 1
	s_cmp_ge_u32 s7, s0
	s_cselect_b32 s0, s10, s1
	s_abs_i32 s29, s6
	s_xor_b32 s0, s0, s2
	s_sub_i32 s10, s0, s2
	s_load_dwordx2 s[0:1], s[4:5], 0x50
	s_abs_i32 s2, s10
	v_cvt_f32_u32_e32 v0, s2
	s_sub_i32 s11, 0, s2
	v_rcp_iflag_f32_e32 v0, v0
	v_mul_f32_e32 v0, 0x4f7ffffe, v0
	v_cvt_u32_f32_e32 v0, v0
	v_readfirstlane_b32 s7, v0
	s_mul_i32 s11, s11, s7
	s_mul_hi_u32 s11, s7, s11
	s_add_i32 s7, s7, s11
	s_waitcnt lgkmcnt(0)
	s_cmp_eq_u64 s[0:1], 0
	s_mul_hi_u32 s28, s29, s7
	s_cbranch_scc1 .LBB58_3
; %bb.2:
	s_ashr_i32 s7, s6, 31
	s_lshl_b64 s[12:13], s[6:7], 2
	s_add_u32 s0, s0, s12
	s_addc_u32 s1, s1, s13
	s_load_dword s33, s[0:1], 0x0
.LBB58_3:
	s_clause 0x1
	s_load_dwordx2 s[22:23], s[4:5], 0x38
	s_load_dwordx4 s[12:15], s[4:5], 0x58
	v_lshlrev_b32_e32 v10, 4, v51
	s_ashr_i32 s0, s6, 31
	s_ashr_i32 s1, s10, 31
	s_mul_i32 s10, s6, 0x70
	s_mov_b32 s7, exec_lo
	v_cmpx_gt_u32_e32 28, v51
	s_cbranch_execz .LBB58_5
; %bb.4:
	s_load_dwordx2 s[16:17], s[4:5], 0x18
	s_waitcnt lgkmcnt(0)
	s_mul_i32 s18, s12, s24
	s_ashr_i32 s19, s18, 31
	s_lshl_b64 s[18:19], s[18:19], 2
	s_add_u32 s12, s16, s18
	s_addc_u32 s15, s17, s19
	s_ashr_i32 s11, s10, 31
	s_lshl_b64 s[16:17], s[10:11], 2
	s_add_u32 s16, s12, s16
	s_addc_u32 s17, s15, s17
	global_load_dwordx4 v[0:3], v10, s[16:17]
	s_waitcnt vmcnt(0)
	ds_write_b128 v10, v[0:3]
.LBB58_5:
	s_or_b32 exec_lo, exec_lo, s7
	s_add_i32 s7, s25, 31
	s_clause 0x1
	s_load_dwordx4 s[16:19], s[4:5], 0x0
	s_load_dwordx2 s[20:21], s[4:5], 0x10
	s_ashr_i32 s11, s7, 31
	s_lshl_b32 s31, s8, 4
	s_lshr_b32 s11, s11, 27
	s_mul_i32 s34, s28, s2
	s_add_i32 s7, s7, s11
	s_add_i32 s11, s31, 16
	s_waitcnt lgkmcnt(0)
	s_ashr_i32 s12, s7, 5
	s_clause 0x2
	s_load_dwordx2 s[26:27], s[4:5], 0x28
	s_load_dword s7, s[4:5], 0x98
	s_load_dword s15, s[4:5], 0x48
	s_xor_b32 s0, s0, s1
	s_sub_i32 s1, s29, s34
	s_min_i32 s11, s11, s12
	s_add_i32 s29, s28, 1
	s_sub_i32 s34, s1, s2
	s_cmp_ge_u32 s1, s2
	v_lshrrev_b32_e32 v52, 5, v51
	s_cselect_b32 s28, s29, s28
	s_cselect_b32 s1, s34, s1
	s_add_i32 s29, s28, 1
	s_cmp_ge_u32 s1, s2
	v_add_nc_u32_e32 v77, s31, v52
	v_and_b32_e32 v115, 31, v51
	s_cselect_b32 s1, s29, s28
	v_mov_b32_e32 v118, 0xff7fffff
	s_xor_b32 s1, s1, s0
	v_ashrrev_i32_e32 v78, 31, v77
	s_sub_i32 s1, s1, s0
	v_cmp_gt_i32_e64 s0, s11, v77
	v_lshlrev_b32_e32 v9, 2, v115
	s_waitcnt lgkmcnt(0)
	s_mul_i32 s28, s15, s24
	s_mul_i32 s14, s1, s14
	s_ashr_i32 s29, s28, 31
	s_barrier
	buffer_gl0_inv
	s_mov_b32 s34, exec_lo
	s_and_b32 s1, s34, s0
	buffer_store_dword v51, off, s[40:43], 0 offset:132 ; 4-byte Folded Spill
	buffer_store_dword v52, off, s[40:43], 0 offset:136 ; 4-byte Folded Spill
	;; [unrolled: 1-line block ×3, first 2 shown]
	s_mov_b32 exec_lo, s1
	s_cbranch_execz .LBB58_9
; %bb.6:
	v_mov_b32_e32 v2, 0
	buffer_store_dword v9, off, s[40:43], 0 offset:48 ; 4-byte Folded Spill
	v_lshl_or_b32 v5, v52, 7, v9
	s_load_dwordx2 s[36:37], s[4:5], 0x20
	buffer_store_dword v10, off, s[40:43], 0 offset:44 ; 4-byte Folded Spill
	ds_read_b128 v[6:9], v2
	s_ashr_i32 s15, s14, 31
	v_lshlrev_b64 v[0:1], 2, v[77:78]
	s_lshl_b64 s[38:39], s[14:15], 2
	v_lshlrev_b32_e32 v3, 4, v115
	v_lshlrev_b32_e32 v4, 5, v52
	v_add_nc_u32_e32 v122, 0x1e0, v5
	v_mov_b32_e32 v118, 0xff7fffff
	s_mov_b32 s4, s13
	s_mov_b32 s5, 0
	v_add3_u32 v121, s30, v4, v115
	s_waitcnt lgkmcnt(0)
	buffer_store_dword v6, off, s[40:43], 0 offset:8 ; 4-byte Folded Spill
	buffer_store_dword v7, off, s[40:43], 0 offset:12 ; 4-byte Folded Spill
	;; [unrolled: 1-line block ×4, first 2 shown]
	ds_read_b128 v[6:9], v2 offset:16
	s_add_u32 s1, s36, s38
	s_addc_u32 s2, s37, s39
	s_lshl_b64 s[36:37], s[28:29], 2
	s_sub_i32 s15, 1, s25
	s_add_u32 s35, s22, s36
	s_addc_u32 s36, s23, s37
	v_add_co_u32 v113, vcc_lo, s35, v0
	v_add_co_u32 v0, s1, s1, v3
	v_add_co_ci_u32_e64 v114, null, s36, v1, vcc_lo
	v_add_co_ci_u32_e64 v117, null, s2, 0, s1
	v_cmp_neq_f32_e64 vcc_lo, s33, 0
	s_waitcnt lgkmcnt(0)
	buffer_store_dword v6, off, s[40:43], 0 offset:24 ; 4-byte Folded Spill
	buffer_store_dword v7, off, s[40:43], 0 offset:28 ; 4-byte Folded Spill
	;; [unrolled: 1-line block ×4, first 2 shown]
	v_mov_b32_e32 v7, v77
	v_mov_b32_e32 v8, v78
	ds_read_b128 v[9:12], v2 offset:32
	ds_read_b128 v[13:16], v2 offset:48
	;; [unrolled: 1-line block ×26, first 2 shown]
	buffer_store_dword v0, off, s[40:43], 0 offset:40 ; 4-byte Folded Spill
	buffer_store_dword v7, off, s[40:43], 0 ; 4-byte Folded Spill
	buffer_store_dword v8, off, s[40:43], 0 offset:4 ; 4-byte Folded Spill
	v_mov_b32_e32 v123, v7
.LBB58_7:                               ; =>This Inner Loop Header: Depth=1
	global_load_dword v0, v[113:114], off
	buffer_load_dword v2, off, s[40:43], 0 offset:40 ; 4-byte Folded Reload
	v_add_nc_u32_e32 v123, 4, v123
	v_cmp_le_i32_e64 s2, s11, v123
	s_or_b32 s5, s2, s5
	s_waitcnt vmcnt(1)
	v_mad_i64_i32 v[0:1], null, v0, s4, 0
	v_lshlrev_b64 v[0:1], 2, v[0:1]
	s_waitcnt vmcnt(0)
	v_add_co_u32 v115, s1, v2, v0
	v_add_co_ci_u32_e64 v116, null, v117, v1, s1
	v_add_co_u32 v119, s1, v115, 0x1000
	global_load_dwordx4 v[0:3], v[115:116], off offset:512
	s_clause 0x3
	buffer_load_dword v4, off, s[40:43], 0 offset:24
	buffer_load_dword v5, off, s[40:43], 0 offset:28
	;; [unrolled: 1-line block ×4, first 2 shown]
	v_add_co_ci_u32_e64 v120, null, 0, v116, s1
	s_waitcnt vmcnt(3)
	v_mul_f32_e32 v126, v4, v0
	s_waitcnt vmcnt(2)
	v_mul_f32_e32 v127, v5, v1
	;; [unrolled: 2-line block ×4, first 2 shown]
	global_load_dwordx4 v[0:3], v[115:116], off
	s_clause 0x3
	buffer_load_dword v4, off, s[40:43], 0 offset:8
	buffer_load_dword v5, off, s[40:43], 0 offset:12
	buffer_load_dword v6, off, s[40:43], 0 offset:16
	buffer_load_dword v7, off, s[40:43], 0 offset:20
	s_waitcnt vmcnt(3)
	v_fmac_f32_e32 v126, v4, v0
	s_waitcnt vmcnt(2)
	v_fmac_f32_e32 v127, v5, v1
	;; [unrolled: 2-line block ×4, first 2 shown]
	global_load_dwordx4 v[0:3], v[115:116], off offset:1024
	v_add_co_u32 v4, s1, 0x800, v115
	v_add_co_ci_u32_e64 v5, null, 0, v116, s1
	s_waitcnt vmcnt(0) lgkmcnt(25)
	v_fmac_f32_e32 v126, v9, v0
	v_fmac_f32_e32 v127, v10, v1
	;; [unrolled: 1-line block ×4, first 2 shown]
	global_load_dwordx4 v[0:3], v[115:116], off offset:1536
	s_waitcnt vmcnt(0) lgkmcnt(24)
	v_fmac_f32_e32 v126, v13, v0
	v_fmac_f32_e32 v127, v14, v1
	;; [unrolled: 1-line block ×4, first 2 shown]
	global_load_dwordx4 v[0:3], v[119:120], off offset:-2048
	s_waitcnt vmcnt(0) lgkmcnt(23)
	v_fmac_f32_e32 v126, v17, v0
	v_fmac_f32_e32 v127, v18, v1
	v_fmac_f32_e32 v125, v19, v2
	v_fmac_f32_e32 v124, v20, v3
	global_load_dwordx4 v[0:3], v[4:5], off offset:512
	s_waitcnt vmcnt(0) lgkmcnt(22)
	v_fmac_f32_e32 v126, v21, v0
	v_fmac_f32_e32 v127, v22, v1
	v_fmac_f32_e32 v125, v23, v2
	v_fmac_f32_e32 v124, v24, v3
	global_load_dwordx4 v[0:3], v[4:5], off offset:1024
	;; [unrolled: 6-line block ×3, first 2 shown]
	v_add_co_u32 v4, s1, 0x1000, v115
	v_add_co_ci_u32_e64 v5, null, 0, v116, s1
	s_waitcnt vmcnt(0) lgkmcnt(20)
	v_fmac_f32_e32 v126, v29, v0
	v_fmac_f32_e32 v127, v30, v1
	;; [unrolled: 1-line block ×4, first 2 shown]
	global_load_dwordx4 v[0:3], v[119:120], off
	s_waitcnt vmcnt(0) lgkmcnt(19)
	v_fmac_f32_e32 v126, v33, v0
	v_fmac_f32_e32 v127, v34, v1
	v_fmac_f32_e32 v125, v35, v2
	v_fmac_f32_e32 v124, v36, v3
	global_load_dwordx4 v[0:3], v[4:5], off offset:512
	s_waitcnt vmcnt(0) lgkmcnt(18)
	v_fmac_f32_e32 v126, v37, v0
	v_fmac_f32_e32 v127, v38, v1
	v_fmac_f32_e32 v125, v39, v2
	v_fmac_f32_e32 v124, v40, v3
	global_load_dwordx4 v[0:3], v[4:5], off offset:1024
	;; [unrolled: 6-line block ×3, first 2 shown]
	v_add_co_u32 v4, s1, v115, 0x2000
	v_add_co_ci_u32_e64 v5, null, 0, v116, s1
	v_add_co_u32 v7, s1, 0x1800, v115
	v_add_co_ci_u32_e64 v8, null, 0, v116, s1
	s_waitcnt vmcnt(0) lgkmcnt(16)
	v_fmac_f32_e32 v126, v45, v0
	v_fmac_f32_e32 v127, v46, v1
	;; [unrolled: 1-line block ×4, first 2 shown]
	global_load_dwordx4 v[0:3], v[4:5], off offset:-2048
	s_waitcnt vmcnt(0) lgkmcnt(15)
	v_fmac_f32_e32 v126, v49, v0
	v_fmac_f32_e32 v127, v50, v1
	v_fmac_f32_e32 v125, v51, v2
	v_fmac_f32_e32 v124, v52, v3
	global_load_dwordx4 v[0:3], v[7:8], off offset:512
	s_waitcnt vmcnt(0) lgkmcnt(14)
	v_fmac_f32_e32 v126, v53, v0
	v_fmac_f32_e32 v127, v54, v1
	v_fmac_f32_e32 v125, v55, v2
	v_fmac_f32_e32 v124, v56, v3
	global_load_dwordx4 v[0:3], v[7:8], off offset:1024
	;; [unrolled: 6-line block ×3, first 2 shown]
	s_waitcnt vmcnt(0) lgkmcnt(12)
	v_fmac_f32_e32 v126, v61, v0
	v_fmac_f32_e32 v127, v62, v1
	;; [unrolled: 1-line block ×4, first 2 shown]
	global_load_dwordx4 v[0:3], v[4:5], off
	v_add_co_u32 v4, s1, 0x2000, v115
	v_add_co_ci_u32_e64 v5, null, 0, v116, s1
	s_waitcnt vmcnt(0) lgkmcnt(11)
	v_fmac_f32_e32 v126, v65, v0
	v_fmac_f32_e32 v127, v66, v1
	v_fmac_f32_e32 v125, v67, v2
	v_fmac_f32_e32 v124, v68, v3
	global_load_dwordx4 v[0:3], v[4:5], off offset:512
	s_waitcnt vmcnt(0) lgkmcnt(10)
	v_fmac_f32_e32 v126, v69, v0
	v_fmac_f32_e32 v127, v70, v1
	v_fmac_f32_e32 v125, v71, v2
	v_fmac_f32_e32 v124, v72, v3
	global_load_dwordx4 v[0:3], v[4:5], off offset:1024
	;; [unrolled: 6-line block ×3, first 2 shown]
	v_add_co_u32 v4, s1, v115, 0x3000
	v_add_co_ci_u32_e64 v5, null, 0, v116, s1
	v_add_co_u32 v7, s1, 0x2800, v115
	v_add_co_ci_u32_e64 v8, null, 0, v116, s1
	s_waitcnt vmcnt(0) lgkmcnt(8)
	v_fmac_f32_e32 v126, v77, v0
	v_fmac_f32_e32 v127, v78, v1
	v_fmac_f32_e32 v125, v79, v2
	v_fmac_f32_e32 v124, v80, v3
	global_load_dwordx4 v[0:3], v[4:5], off offset:-2048
	s_waitcnt vmcnt(0) lgkmcnt(7)
	v_fmac_f32_e32 v126, v81, v0
	v_fmac_f32_e32 v127, v82, v1
	v_fmac_f32_e32 v125, v83, v2
	v_fmac_f32_e32 v124, v84, v3
	global_load_dwordx4 v[0:3], v[7:8], off offset:512
	s_waitcnt vmcnt(0) lgkmcnt(6)
	v_fmac_f32_e32 v126, v85, v0
	v_fmac_f32_e32 v127, v86, v1
	v_fmac_f32_e32 v125, v87, v2
	v_fmac_f32_e32 v124, v88, v3
	global_load_dwordx4 v[0:3], v[7:8], off offset:1024
	;; [unrolled: 6-line block ×3, first 2 shown]
	s_waitcnt vmcnt(0) lgkmcnt(4)
	v_fmac_f32_e32 v126, v93, v0
	v_fmac_f32_e32 v127, v94, v1
	;; [unrolled: 1-line block ×4, first 2 shown]
	global_load_dwordx4 v[0:3], v[4:5], off
	v_add_co_u32 v4, s1, 0x3000, v115
	v_add_co_ci_u32_e64 v5, null, 0, v116, s1
	v_cmp_gt_i32_e64 s1, s25, v121
	s_waitcnt vmcnt(0) lgkmcnt(3)
	v_fmac_f32_e32 v126, v97, v0
	v_fmac_f32_e32 v127, v98, v1
	v_fmac_f32_e32 v125, v99, v2
	v_fmac_f32_e32 v124, v100, v3
	global_load_dwordx4 v[0:3], v[4:5], off offset:512
	s_waitcnt vmcnt(0) lgkmcnt(2)
	v_fmac_f32_e32 v126, v101, v0
	v_fmac_f32_e32 v127, v102, v1
	v_fmac_f32_e32 v125, v103, v2
	v_fmac_f32_e32 v124, v104, v3
	global_load_dwordx4 v[0:3], v[4:5], off offset:1024
	;; [unrolled: 6-line block ×3, first 2 shown]
	s_waitcnt vmcnt(0) lgkmcnt(0)
	v_fmac_f32_e32 v126, v109, v0
	v_fmac_f32_e32 v127, v110, v1
	v_add_nc_u32_e32 v1, s15, v121
	v_fmac_f32_e32 v125, v111, v2
	v_fmac_f32_e32 v124, v112, v3
	v_add_nc_u32_e32 v121, 0x80, v121
	v_add_f32_e32 v0, v126, v127
	v_cvt_f32_i32_e32 v1, v1
	v_add_f32_e32 v0, v125, v0
	v_mul_f32_e32 v1, s33, v1
	v_add_f32_e32 v0, v124, v0
	v_cndmask_b32_e32 v1, 0, v1, vcc_lo
	v_fmac_f32_e32 v1, s3, v0
	v_max_f32_e32 v0, v118, v118
	v_max_f32_e32 v0, v0, v1
	v_cndmask_b32_e64 v118, v118, v0, s1
	v_cndmask_b32_e64 v0, 0, v1, s1
	v_add_co_u32 v113, s1, v113, 16
	v_add_co_ci_u32_e64 v114, null, 0, v114, s1
	ds_write_b32 v122, v0
	v_add_nc_u32_e32 v122, 0x200, v122
	s_andn2_b32 exec_lo, exec_lo, s5
	s_cbranch_execnz .LBB58_7
; %bb.8:
	s_or_b32 exec_lo, exec_lo, s5
	s_clause 0x6
	buffer_load_dword v51, off, s[40:43], 0 offset:132
	buffer_load_dword v52, off, s[40:43], 0 offset:136
	;; [unrolled: 1-line block ×3, first 2 shown]
	buffer_load_dword v77, off, s[40:43], 0
	buffer_load_dword v78, off, s[40:43], 0 offset:4
	buffer_load_dword v10, off, s[40:43], 0 offset:44
	;; [unrolled: 1-line block ×3, first 2 shown]
.LBB58_9:
	s_or_b32 exec_lo, exec_lo, s34
	v_mbcnt_lo_u32_b32 v0, -1, 0
	v_max_f32_e32 v4, v118, v118
	v_xor_b32_e32 v1, 16, v0
	v_xor_b32_e32 v3, 8, v0
	v_xor_b32_e32 v5, 4, v0
	v_cmp_gt_i32_e32 vcc_lo, 32, v1
	v_cndmask_b32_e32 v1, v0, v1, vcc_lo
	v_cmp_gt_i32_e32 vcc_lo, 32, v3
	v_lshlrev_b32_e32 v2, 2, v1
	v_cndmask_b32_e32 v3, v0, v3, vcc_lo
	v_cmp_gt_i32_e32 vcc_lo, 32, v5
	ds_bpermute_b32 v1, v2, v118
	v_lshlrev_b32_e32 v3, 2, v3
	v_cndmask_b32_e32 v5, v0, v5, vcc_lo
	v_lshlrev_b32_e32 v35, 2, v5
	v_xor_b32_e32 v5, 2, v0
	v_cmp_gt_i32_e32 vcc_lo, 32, v5
	v_cndmask_b32_e32 v5, v0, v5, vcc_lo
	s_waitcnt lgkmcnt(0)
	v_max_f32_e32 v1, v1, v1
	v_lshlrev_b32_e32 v44, 2, v5
	v_xor_b32_e32 v5, 1, v0
	v_max_f32_e32 v1, v4, v1
	v_cmp_gt_i32_e32 vcc_lo, 32, v5
	ds_bpermute_b32 v4, v3, v1
	v_cndmask_b32_e32 v0, v0, v5, vcc_lo
	s_waitcnt vmcnt(4)
	v_cmp_eq_u32_e32 vcc_lo, 0, v115
	v_lshlrev_b32_e32 v5, 2, v52
	v_lshlrev_b32_e32 v50, 2, v0
	s_waitcnt lgkmcnt(0)
	v_max_f32_e32 v4, v4, v4
	v_max_f32_e32 v1, v1, v4
	ds_bpermute_b32 v4, v35, v1
	s_waitcnt lgkmcnt(0)
	v_max_f32_e32 v4, v4, v4
	v_max_f32_e32 v1, v1, v4
	ds_bpermute_b32 v4, v44, v1
	;; [unrolled: 4-line block ×3, first 2 shown]
	s_and_saveexec_b32 s1, vcc_lo
	s_cbranch_execz .LBB58_11
; %bb.10:
	s_waitcnt lgkmcnt(0)
	v_max_f32_e32 v0, v4, v4
	v_max_f32_e32 v1, v1, v1
	;; [unrolled: 1-line block ×3, first 2 shown]
	ds_write_b32 v5, v0 offset:448
.LBB58_11:
	s_or_b32 exec_lo, exec_lo, s1
	v_cmp_gt_u32_e64 s1, 4, v115
	v_mov_b32_e32 v1, 0xff7fffff
	s_waitcnt vmcnt(0) lgkmcnt(0)
	s_waitcnt_vscnt null, 0x0
	s_barrier
	buffer_gl0_inv
	s_and_saveexec_b32 s2, s1
; %bb.12:
	ds_read_b32 v1, v9 offset:448
; %bb.13:
	s_or_b32 exec_lo, exec_lo, s2
	s_waitcnt lgkmcnt(0)
	ds_bpermute_b32 v0, v44, v1
	v_max_f32_e32 v1, v1, v1
	v_mov_b32_e32 v6, 0
	s_sub_i32 s2, s11, s31
	v_lshl_add_u32 v4, v51, 2, 0x1e0
	s_lshl_b32 s2, s2, 5
	s_add_i32 s2, s2, s30
	s_min_i32 s2, s2, s25
	s_sub_i32 s4, s2, s30
	v_cmp_gt_i32_e64 s2, s4, v51
	s_waitcnt lgkmcnt(0)
	v_max_f32_e32 v0, v0, v0
	v_max_f32_e32 v0, v1, v0
	ds_bpermute_b32 v1, v50, v0
	s_waitcnt lgkmcnt(0)
	v_max_f32_e32 v1, v1, v1
	v_max_f32_e32 v0, v0, v1
	ds_bpermute_b32 v1, v6, v0
	s_and_saveexec_b32 s5, s2
	s_cbranch_execz .LBB58_17
; %bb.14:
	v_lshl_add_u32 v7, v51, 2, 0x1e0
	v_mov_b32_e32 v6, 0
	v_mov_b32_e32 v8, v51
	s_mov_b32 s15, 0
	.p2align	6
.LBB58_15:                              ; =>This Inner Loop Header: Depth=1
	ds_read_b32 v0, v7
	v_add_nc_u32_e32 v8, 0x80, v8
	v_cmp_le_i32_e64 s3, s4, v8
	s_or_b32 s15, s3, s15
	s_waitcnt lgkmcnt(0)
	v_sub_f32_e32 v0, v0, v1
	v_mul_f32_e32 v0, 0x3fb8aa3b, v0
	v_exp_f32_e32 v0, v0
	ds_write_b32 v7, v0
	v_add_f32_e32 v6, v6, v0
	v_add_nc_u32_e32 v7, 0x200, v7
	s_andn2_b32 exec_lo, exec_lo, s15
	s_cbranch_execnz .LBB58_15
; %bb.16:
	s_or_b32 exec_lo, exec_lo, s15
.LBB58_17:
	s_or_b32 exec_lo, exec_lo, s5
	ds_bpermute_b32 v0, v2, v6
	s_waitcnt lgkmcnt(0)
	v_add_f32_e32 v0, v6, v0
	ds_bpermute_b32 v2, v3, v0
	s_waitcnt lgkmcnt(0)
	v_add_f32_e32 v0, v0, v2
	;; [unrolled: 3-line block ×5, first 2 shown]
	s_and_saveexec_b32 s3, vcc_lo
; %bb.18:
	ds_write_b32 v5, v2 offset:464
; %bb.19:
	s_or_b32 exec_lo, exec_lo, s3
	s_waitcnt lgkmcnt(0)
	s_barrier
	buffer_gl0_inv
	s_and_saveexec_b32 s3, s1
; %bb.20:
	ds_read_b32 v2, v9 offset:464
; %bb.21:
	s_or_b32 exec_lo, exec_lo, s3
	s_waitcnt lgkmcnt(0)
	ds_bpermute_b32 v0, v44, v2
	s_waitcnt lgkmcnt(0)
	v_add_f32_e32 v0, v2, v0
	ds_bpermute_b32 v2, v50, v0
	s_waitcnt lgkmcnt(0)
	v_add_f32_e32 v0, v0, v2
	v_mov_b32_e32 v2, 0
	ds_bpermute_b32 v0, v2, v0
	s_and_saveexec_b32 s1, s2
	s_cbranch_execz .LBB58_24
; %bb.22:
	s_waitcnt lgkmcnt(0)
	v_add_f32_e32 v2, 0x358637bd, v0
	s_mov_b32 s2, 0
	v_div_scale_f32 v3, null, v2, v2, 1.0
	v_div_scale_f32 v7, vcc_lo, 1.0, v2, 1.0
	v_rcp_f32_e32 v5, v3
	v_fma_f32 v6, -v3, v5, 1.0
	v_fmac_f32_e32 v5, v6, v5
	v_mul_f32_e32 v6, v7, v5
	v_fma_f32 v8, -v3, v6, v7
	v_fmac_f32_e32 v6, v8, v5
	v_fma_f32 v3, -v3, v6, v7
	v_div_fmas_f32 v3, v3, v5, v6
	v_div_fixup_f32 v2, v3, v2, 1.0
	v_mov_b32_e32 v3, v51
.LBB58_23:                              ; =>This Inner Loop Header: Depth=1
	ds_read_b32 v5, v4
	v_add_nc_u32_e32 v3, 0x80, v3
	v_cmp_le_i32_e32 vcc_lo, s4, v3
	s_or_b32 s2, vcc_lo, s2
	s_waitcnt lgkmcnt(0)
	v_mul_f32_e32 v5, v2, v5
	ds_write_b32 v4, v5
	v_add_nc_u32_e32 v4, 0x200, v4
	s_andn2_b32 exec_lo, exec_lo, s2
	s_cbranch_execnz .LBB58_23
.LBB58_24:
	s_or_b32 exec_lo, exec_lo, s1
	s_mul_i32 s1, s7, s24
	s_waitcnt lgkmcnt(0)
	s_mul_i32 s2, s1, s9
	s_mov_b32 s1, exec_lo
	s_barrier
	buffer_gl0_inv
	v_cmpx_eq_u32_e32 0, v51
	s_cbranch_execz .LBB58_26
; %bb.25:
	s_ashr_i32 s3, s2, 31
	s_mul_i32 s34, s7, s6
	s_lshl_b64 s[4:5], s[2:3], 2
	v_mov_b32_e32 v2, 0
	s_add_u32 s3, s18, s4
	s_addc_u32 s6, s19, s5
	s_ashr_i32 s35, s34, 31
	s_lshl_b64 s[18:19], s[34:35], 2
	s_add_u32 s3, s3, s18
	s_addc_u32 s6, s6, s19
	s_ashr_i32 s9, s8, 31
	s_lshl_b64 s[34:35], s[8:9], 2
	s_add_u32 s36, s3, s34
	s_addc_u32 s37, s6, s35
	s_add_u32 s3, s16, s4
	s_addc_u32 s4, s17, s5
	;; [unrolled: 2-line block ×4, first 2 shown]
	global_store_dword v2, v1, s[36:37]
	global_store_dword v2, v0, s[4:5]
.LBB58_26:
	s_or_b32 exec_lo, exec_lo, s1
	v_mov_b32_e32 v5, 0
	v_and_b32_e32 v53, 7, v51
	v_mov_b32_e32 v9, 0
	v_mov_b32_e32 v120, 0
	;; [unrolled: 1-line block ×27, first 2 shown]
	s_and_saveexec_b32 s1, s0
	s_cbranch_execz .LBB58_86
; %bb.27:
	s_ashr_i32 s15, s14, 31
	v_lshlrev_b32_e32 v1, 4, v53
	v_and_b32_e32 v2, 0x1f0, v10
	s_lshl_b64 s[4:5], s[14:15], 2
	v_lshlrev_b32_e32 v0, 2, v51
	s_add_u32 s0, s26, s4
	v_lshl_or_b32 v4, v52, 7, v1
	v_add_co_u32 v1, s0, s0, v2
	s_addc_u32 s4, s27, s5
	buffer_store_dword v35, off, s[40:43], 0 offset:152 ; 4-byte Folded Spill
	buffer_store_dword v44, off, s[40:43], 0 offset:148 ; 4-byte Folded Spill
	;; [unrolled: 1-line block ×3, first 2 shown]
	v_and_b32_e32 v0, 28, v0
	v_lshl_add_u32 v3, v52, 5, s30
	buffer_store_dword v1, off, s[40:43], 0 offset:124 ; 4-byte Folded Spill
	v_add_co_ci_u32_e64 v1, null, s4, 0, s0
	s_lshl_b64 s[4:5], s[28:29], 2
	v_add3_u32 v123, v3, v0, 3
	s_add_i32 s3, s12, -1
	buffer_store_dword v1, off, s[40:43], 0 offset:128 ; 4-byte Folded Spill
	v_lshlrev_b64 v[0:1], 2, v[77:78]
	s_add_u32 s0, s22, s4
	s_addc_u32 s4, s23, s5
	v_mov_b32_e32 v45, 0
	v_add_nc_u32_e32 v117, 0x1e0, v4
	v_mov_b32_e32 v121, 0
	v_add_co_u32 v118, vcc_lo, s0, v0
	v_mov_b32_e32 v0, 0
	v_add_co_ci_u32_e64 v119, null, s4, v1, vcc_lo
	v_mov_b32_e32 v124, 0
	v_mov_b32_e32 v122, 0
	buffer_store_dword v0, off, s[40:43], 0 offset:8 ; 4-byte Folded Spill
	v_mov_b32_e32 v0, 0
	v_mov_b32_e32 v120, 0
	v_mov_b32_e32 v9, 0
	v_mov_b32_e32 v5, 0
	s_mov_b32 s5, s13
	buffer_store_dword v0, off, s[40:43], 0 offset:24 ; 4-byte Folded Spill
	v_mov_b32_e32 v0, 0
	s_mov_b32 s4, 0
	buffer_store_dword v53, off, s[40:43], 0 offset:156 ; 4-byte Folded Spill
	buffer_store_dword v0, off, s[40:43], 0 offset:40 ; 4-byte Folded Spill
	v_mov_b32_e32 v0, 0
	buffer_store_dword v0, off, s[40:43], 0 offset:44 ; 4-byte Folded Spill
	v_mov_b32_e32 v0, 0
	;; [unrolled: 2-line block ×18, first 2 shown]
	s_branch .LBB58_29
.LBB58_28:                              ;   in Loop: Header=BB58_29 Depth=1
	s_or_b32 exec_lo, exec_lo, s0
	s_waitcnt vmcnt(1) lgkmcnt(0)
	v_mul_f32_e32 v113, v1, v113
	v_mul_f32_e32 v109, v1, v109
	;; [unrolled: 1-line block ×20, first 2 shown]
	v_fmac_f32_e32 v113, v2, v114
	buffer_load_dword v114, off, s[40:43], 0 offset:8 ; 4-byte Folded Reload
	v_fmac_f32_e32 v109, v2, v110
	buffer_load_dword v110, off, s[40:43], 0 offset:24 ; 4-byte Folded Reload
	;; [unrolled: 2-line block ×20, first 2 shown]
	v_fmac_f32_e32 v113, v3, v115
	v_fmac_f32_e32 v109, v3, v111
	;; [unrolled: 1-line block ×40, first 2 shown]
	v_mul_f32_e32 v5, v1, v5
	v_mul_f32_e32 v9, v1, v9
	;; [unrolled: 1-line block ×5, first 2 shown]
	v_fmac_f32_e32 v5, v2, v6
	buffer_load_dword v6, off, s[40:43], 0 offset:116 ; 4-byte Folded Reload
	v_fmac_f32_e32 v9, v2, v10
	buffer_load_dword v10, off, s[40:43], 0 offset:120 ; 4-byte Folded Reload
	v_mul_f32_e32 v17, v1, v17
	v_mul_f32_e32 v13, v1, v13
	s_waitcnt vmcnt(22)
	v_mul_f32_e32 v1, v1, v81
	v_fmac_f32_e32 v29, v2, v30
	v_fmac_f32_e32 v25, v2, v26
	;; [unrolled: 1-line block ×22, first 2 shown]
	v_add_co_u32 v118, vcc_lo, v118, 16
	v_add_co_ci_u32_e64 v119, null, 0, v119, vcc_lo
	v_add_f32_e32 v121, v121, v29
	v_add_f32_e32 v124, v124, v25
	;; [unrolled: 1-line block ×5, first 2 shown]
	v_add_nc_u32_e32 v123, 0x80, v123
	v_add_nc_u32_e32 v117, 0x200, v117
	s_waitcnt vmcnt(21)
	v_add_f32_e32 v114, v114, v113
	s_waitcnt vmcnt(20)
	v_add_f32_e32 v110, v110, v109
	s_waitcnt vmcnt(19)
	v_add_f32_e32 v106, v106, v105
	buffer_store_dword v114, off, s[40:43], 0 offset:8 ; 4-byte Folded Spill
	s_waitcnt vmcnt(18)
	v_add_f32_e32 v102, v102, v101
	buffer_store_dword v110, off, s[40:43], 0 offset:24 ; 4-byte Folded Spill
	s_waitcnt vmcnt(17)
	v_add_f32_e32 v98, v98, v97
	buffer_store_dword v106, off, s[40:43], 0 offset:40 ; 4-byte Folded Spill
	s_waitcnt vmcnt(16)
	v_add_f32_e32 v94, v94, v93
	buffer_store_dword v102, off, s[40:43], 0 offset:44 ; 4-byte Folded Spill
	s_waitcnt vmcnt(15)
	v_add_f32_e32 v90, v90, v89
	buffer_store_dword v98, off, s[40:43], 0 offset:48 ; 4-byte Folded Spill
	s_waitcnt vmcnt(14)
	v_add_f32_e32 v86, v86, v85
	buffer_store_dword v94, off, s[40:43], 0 offset:52 ; 4-byte Folded Spill
	s_waitcnt vmcnt(13)
	v_add_f32_e32 v78, v78, v77
	buffer_store_dword v90, off, s[40:43], 0 offset:56 ; 4-byte Folded Spill
	s_waitcnt vmcnt(12)
	v_add_f32_e32 v74, v74, v73
	buffer_store_dword v86, off, s[40:43], 0 offset:60 ; 4-byte Folded Spill
	s_waitcnt vmcnt(11)
	v_add_f32_e32 v70, v70, v69
	buffer_store_dword v78, off, s[40:43], 0 offset:64 ; 4-byte Folded Spill
	s_waitcnt vmcnt(10)
	v_add_f32_e32 v66, v66, v65
	buffer_store_dword v74, off, s[40:43], 0 offset:68 ; 4-byte Folded Spill
	s_waitcnt vmcnt(9)
	v_add_f32_e32 v62, v62, v61
	buffer_store_dword v70, off, s[40:43], 0 offset:72 ; 4-byte Folded Spill
	s_waitcnt vmcnt(8)
	v_add_f32_e32 v58, v58, v57
	buffer_store_dword v66, off, s[40:43], 0 offset:76 ; 4-byte Folded Spill
	s_waitcnt vmcnt(7)
	v_add_f32_e32 v54, v54, v53
	buffer_store_dword v62, off, s[40:43], 0 offset:80 ; 4-byte Folded Spill
	s_waitcnt vmcnt(6)
	v_add_f32_e32 v50, v50, v49
	buffer_store_dword v58, off, s[40:43], 0 offset:84 ; 4-byte Folded Spill
	s_waitcnt vmcnt(5)
	v_add_f32_e32 v46, v46, v45
	buffer_store_dword v54, off, s[40:43], 0 offset:88 ; 4-byte Folded Spill
	s_waitcnt vmcnt(4)
	v_add_f32_e32 v42, v42, v41
	buffer_store_dword v50, off, s[40:43], 0 offset:92 ; 4-byte Folded Spill
	s_waitcnt vmcnt(3)
	v_add_f32_e32 v38, v38, v37
	buffer_store_dword v46, off, s[40:43], 0 offset:96 ; 4-byte Folded Spill
	s_waitcnt vmcnt(2)
	v_add_f32_e32 v34, v34, v33
	buffer_store_dword v42, off, s[40:43], 0 offset:100 ; 4-byte Folded Spill
	buffer_load_dword v45, off, s[40:43], 0 offset:112 ; 4-byte Folded Reload
	buffer_store_dword v38, off, s[40:43], 0 offset:104 ; 4-byte Folded Spill
	buffer_store_dword v34, off, s[40:43], 0 offset:108 ; 4-byte Folded Spill
	s_clause 0x1
	buffer_load_dword v77, off, s[40:43], 0
	buffer_load_dword v78, off, s[40:43], 0 offset:4
	s_waitcnt vmcnt(4)
	v_add_f32_e32 v5, v6, v5
	s_waitcnt vmcnt(3)
	v_add_f32_e32 v9, v10, v9
	;; [unrolled: 2-line block ×3, first 2 shown]
	s_waitcnt vmcnt(1)
	v_add_nc_u32_e32 v77, 4, v77
	v_cmp_le_i32_e32 vcc_lo, s11, v77
	s_or_b32 s4, vcc_lo, s4
	s_andn2_b32 exec_lo, exec_lo, s4
	s_cbranch_execz .LBB58_85
.LBB58_29:                              ; =>This Inner Loop Header: Depth=1
	buffer_store_dword v9, off, s[40:43], 0 offset:120 ; 4-byte Folded Spill
	buffer_store_dword v5, off, s[40:43], 0 offset:116 ; 4-byte Folded Spill
	;; [unrolled: 1-line block ×3, first 2 shown]
	global_load_dword v1, v[118:119], off
	buffer_load_dword v3, off, s[40:43], 0 offset:124 ; 4-byte Folded Reload
	v_add_nc_u32_e32 v126, -3, v123
	v_mov_b32_e32 v9, v77
	v_add_nc_u32_e32 v125, -2, v123
	v_add_nc_u32_e32 v127, -1, v123
	s_waitcnt vmcnt(1)
	v_mad_i64_i32 v[1:2], null, v1, s5, 0
	v_lshlrev_b64 v[1:2], 2, v[1:2]
	s_waitcnt vmcnt(0)
	v_add_co_u32 v81, vcc_lo, v3, v1
	buffer_load_dword v1, off, s[40:43], 0 offset:128 ; 4-byte Folded Reload
	s_waitcnt vmcnt(0)
	v_add_co_ci_u32_e64 v82, null, v1, v2, vcc_lo
	ds_read_b128 v[1:4], v117
	v_cmp_eq_u32_e32 vcc_lo, s3, v77
	global_load_dwordx4 v[5:8], v[81:82], off
	buffer_store_dword v9, off, s[40:43], 0 ; 4-byte Folded Spill
	buffer_store_dword v10, off, s[40:43], 0 offset:4 ; 4-byte Folded Spill
	s_and_saveexec_b32 s6, vcc_lo
	s_cbranch_execnz .LBB58_63
; %bb.30:                               ;   in Loop: Header=BB58_29 Depth=1
	s_or_b32 exec_lo, exec_lo, s6
	global_load_dwordx4 v[9:12], v[81:82], off offset:512
	s_and_saveexec_b32 s6, vcc_lo
	s_cbranch_execnz .LBB58_64
.LBB58_31:                              ;   in Loop: Header=BB58_29 Depth=1
	s_or_b32 exec_lo, exec_lo, s6
	global_load_dwordx4 v[13:16], v[81:82], off offset:1024
	s_and_saveexec_b32 s6, vcc_lo
	s_cbranch_execnz .LBB58_65
.LBB58_32:                              ;   in Loop: Header=BB58_29 Depth=1
	s_or_b32 exec_lo, exec_lo, s6
	global_load_dwordx4 v[17:20], v[81:82], off offset:1536
	s_and_saveexec_b32 s6, vcc_lo
	s_cbranch_execz .LBB58_34
.LBB58_33:                              ;   in Loop: Header=BB58_29 Depth=1
	v_cmp_gt_i32_e64 s0, s25, v126
	s_waitcnt vmcnt(0)
	v_cndmask_b32_e64 v17, 0, v17, s0
	v_cmp_gt_i32_e64 s0, s25, v125
	v_cndmask_b32_e64 v18, 0, v18, s0
	v_cmp_gt_i32_e64 s0, s25, v127
	;; [unrolled: 2-line block ×3, first 2 shown]
	v_cndmask_b32_e64 v20, 0, v20, s0
.LBB58_34:                              ;   in Loop: Header=BB58_29 Depth=1
	s_or_b32 exec_lo, exec_lo, s6
	v_add_co_u32 v33, s0, 0x800, v81
	v_add_co_ci_u32_e64 v34, null, 0, v82, s0
	global_load_dwordx4 v[21:24], v[33:34], off
	s_and_saveexec_b32 s6, vcc_lo
	s_cbranch_execnz .LBB58_66
; %bb.35:                               ;   in Loop: Header=BB58_29 Depth=1
	s_or_b32 exec_lo, exec_lo, s6
	global_load_dwordx4 v[25:28], v[33:34], off offset:512
	s_and_saveexec_b32 s6, vcc_lo
	s_cbranch_execnz .LBB58_67
.LBB58_36:                              ;   in Loop: Header=BB58_29 Depth=1
	s_or_b32 exec_lo, exec_lo, s6
	global_load_dwordx4 v[29:32], v[33:34], off offset:1024
	s_and_saveexec_b32 s6, vcc_lo
	s_cbranch_execnz .LBB58_68
.LBB58_37:                              ;   in Loop: Header=BB58_29 Depth=1
	s_or_b32 exec_lo, exec_lo, s6
	global_load_dwordx4 v[33:36], v[33:34], off offset:1536
	s_and_saveexec_b32 s6, vcc_lo
	s_cbranch_execz .LBB58_39
.LBB58_38:                              ;   in Loop: Header=BB58_29 Depth=1
	v_cmp_gt_i32_e64 s0, s25, v126
	s_waitcnt vmcnt(0)
	v_cndmask_b32_e64 v33, 0, v33, s0
	v_cmp_gt_i32_e64 s0, s25, v125
	v_cndmask_b32_e64 v34, 0, v34, s0
	v_cmp_gt_i32_e64 s0, s25, v127
	;; [unrolled: 2-line block ×3, first 2 shown]
	v_cndmask_b32_e64 v36, 0, v36, s0
.LBB58_39:                              ;   in Loop: Header=BB58_29 Depth=1
	s_or_b32 exec_lo, exec_lo, s6
	v_add_co_u32 v49, s0, 0x1000, v81
	v_add_co_ci_u32_e64 v50, null, 0, v82, s0
	global_load_dwordx4 v[37:40], v[49:50], off
	s_and_saveexec_b32 s6, vcc_lo
	s_cbranch_execnz .LBB58_69
; %bb.40:                               ;   in Loop: Header=BB58_29 Depth=1
	s_or_b32 exec_lo, exec_lo, s6
	global_load_dwordx4 v[41:44], v[49:50], off offset:512
	s_and_saveexec_b32 s6, vcc_lo
	s_cbranch_execnz .LBB58_70
.LBB58_41:                              ;   in Loop: Header=BB58_29 Depth=1
	s_or_b32 exec_lo, exec_lo, s6
	global_load_dwordx4 v[45:48], v[49:50], off offset:1024
	s_and_saveexec_b32 s6, vcc_lo
	s_cbranch_execnz .LBB58_71
.LBB58_42:                              ;   in Loop: Header=BB58_29 Depth=1
	s_or_b32 exec_lo, exec_lo, s6
	global_load_dwordx4 v[49:52], v[49:50], off offset:1536
	s_and_saveexec_b32 s6, vcc_lo
	s_cbranch_execz .LBB58_44
.LBB58_43:                              ;   in Loop: Header=BB58_29 Depth=1
	v_cmp_gt_i32_e64 s0, s25, v126
	s_waitcnt vmcnt(0)
	v_cndmask_b32_e64 v49, 0, v49, s0
	v_cmp_gt_i32_e64 s0, s25, v125
	v_cndmask_b32_e64 v50, 0, v50, s0
	v_cmp_gt_i32_e64 s0, s25, v127
	;; [unrolled: 2-line block ×3, first 2 shown]
	v_cndmask_b32_e64 v52, 0, v52, s0
.LBB58_44:                              ;   in Loop: Header=BB58_29 Depth=1
	s_or_b32 exec_lo, exec_lo, s6
	v_add_co_u32 v65, s0, 0x1800, v81
	v_add_co_ci_u32_e64 v66, null, 0, v82, s0
	global_load_dwordx4 v[53:56], v[65:66], off
	s_and_saveexec_b32 s6, vcc_lo
	s_cbranch_execnz .LBB58_72
; %bb.45:                               ;   in Loop: Header=BB58_29 Depth=1
	s_or_b32 exec_lo, exec_lo, s6
	global_load_dwordx4 v[57:60], v[65:66], off offset:512
	s_and_saveexec_b32 s6, vcc_lo
	s_cbranch_execnz .LBB58_73
.LBB58_46:                              ;   in Loop: Header=BB58_29 Depth=1
	s_or_b32 exec_lo, exec_lo, s6
	global_load_dwordx4 v[61:64], v[65:66], off offset:1024
	s_and_saveexec_b32 s6, vcc_lo
	s_cbranch_execnz .LBB58_74
.LBB58_47:                              ;   in Loop: Header=BB58_29 Depth=1
	s_or_b32 exec_lo, exec_lo, s6
	global_load_dwordx4 v[65:68], v[65:66], off offset:1536
	s_and_saveexec_b32 s6, vcc_lo
	s_cbranch_execz .LBB58_49
.LBB58_48:                              ;   in Loop: Header=BB58_29 Depth=1
	v_cmp_gt_i32_e64 s0, s25, v126
	s_waitcnt vmcnt(0)
	v_cndmask_b32_e64 v65, 0, v65, s0
	v_cmp_gt_i32_e64 s0, s25, v125
	v_cndmask_b32_e64 v66, 0, v66, s0
	v_cmp_gt_i32_e64 s0, s25, v127
	;; [unrolled: 2-line block ×3, first 2 shown]
	v_cndmask_b32_e64 v68, 0, v68, s0
.LBB58_49:                              ;   in Loop: Header=BB58_29 Depth=1
	s_or_b32 exec_lo, exec_lo, s6
	v_add_co_u32 v83, s0, 0x2000, v81
	v_add_co_ci_u32_e64 v84, null, 0, v82, s0
	global_load_dwordx4 v[69:72], v[83:84], off
	s_and_saveexec_b32 s6, vcc_lo
	s_cbranch_execnz .LBB58_75
; %bb.50:                               ;   in Loop: Header=BB58_29 Depth=1
	s_or_b32 exec_lo, exec_lo, s6
	global_load_dwordx4 v[73:76], v[83:84], off offset:512
	s_and_saveexec_b32 s6, vcc_lo
	s_cbranch_execnz .LBB58_76
.LBB58_51:                              ;   in Loop: Header=BB58_29 Depth=1
	s_or_b32 exec_lo, exec_lo, s6
	global_load_dwordx4 v[77:80], v[83:84], off offset:1024
	s_and_saveexec_b32 s6, vcc_lo
	s_cbranch_execnz .LBB58_77
.LBB58_52:                              ;   in Loop: Header=BB58_29 Depth=1
	s_or_b32 exec_lo, exec_lo, s6
	global_load_dwordx4 v[85:88], v[83:84], off offset:1536
	s_and_saveexec_b32 s6, vcc_lo
	s_cbranch_execz .LBB58_54
.LBB58_53:                              ;   in Loop: Header=BB58_29 Depth=1
	v_cmp_gt_i32_e64 s0, s25, v126
	s_waitcnt vmcnt(0)
	v_cndmask_b32_e64 v85, 0, v85, s0
	v_cmp_gt_i32_e64 s0, s25, v125
	v_cndmask_b32_e64 v86, 0, v86, s0
	v_cmp_gt_i32_e64 s0, s25, v127
	;; [unrolled: 2-line block ×3, first 2 shown]
	v_cndmask_b32_e64 v88, 0, v88, s0
.LBB58_54:                              ;   in Loop: Header=BB58_29 Depth=1
	s_or_b32 exec_lo, exec_lo, s6
	v_add_co_u32 v83, s0, 0x2800, v81
	v_add_co_ci_u32_e64 v84, null, 0, v82, s0
	global_load_dwordx4 v[89:92], v[83:84], off
	s_and_saveexec_b32 s6, vcc_lo
	s_cbranch_execnz .LBB58_78
; %bb.55:                               ;   in Loop: Header=BB58_29 Depth=1
	s_or_b32 exec_lo, exec_lo, s6
	global_load_dwordx4 v[93:96], v[83:84], off offset:512
	s_and_saveexec_b32 s6, vcc_lo
	s_cbranch_execnz .LBB58_79
.LBB58_56:                              ;   in Loop: Header=BB58_29 Depth=1
	s_or_b32 exec_lo, exec_lo, s6
	global_load_dwordx4 v[97:100], v[83:84], off offset:1024
	s_and_saveexec_b32 s6, vcc_lo
	s_cbranch_execnz .LBB58_80
.LBB58_57:                              ;   in Loop: Header=BB58_29 Depth=1
	s_or_b32 exec_lo, exec_lo, s6
	global_load_dwordx4 v[101:104], v[83:84], off offset:1536
	s_and_saveexec_b32 s6, vcc_lo
	s_cbranch_execz .LBB58_59
.LBB58_58:                              ;   in Loop: Header=BB58_29 Depth=1
	v_cmp_gt_i32_e64 s0, s25, v126
	s_waitcnt vmcnt(0)
	v_cndmask_b32_e64 v101, 0, v101, s0
	v_cmp_gt_i32_e64 s0, s25, v125
	v_cndmask_b32_e64 v102, 0, v102, s0
	v_cmp_gt_i32_e64 s0, s25, v127
	;; [unrolled: 2-line block ×3, first 2 shown]
	v_cndmask_b32_e64 v104, 0, v104, s0
.LBB58_59:                              ;   in Loop: Header=BB58_29 Depth=1
	s_or_b32 exec_lo, exec_lo, s6
	v_add_co_u32 v81, s0, 0x3000, v81
	v_add_co_ci_u32_e64 v82, null, 0, v82, s0
	global_load_dwordx4 v[105:108], v[81:82], off
	s_and_saveexec_b32 s6, vcc_lo
	s_cbranch_execnz .LBB58_81
; %bb.60:                               ;   in Loop: Header=BB58_29 Depth=1
	s_or_b32 exec_lo, exec_lo, s6
	global_load_dwordx4 v[109:112], v[81:82], off offset:512
	s_and_saveexec_b32 s6, vcc_lo
	s_cbranch_execnz .LBB58_82
.LBB58_61:                              ;   in Loop: Header=BB58_29 Depth=1
	s_or_b32 exec_lo, exec_lo, s6
	global_load_dwordx4 v[113:116], v[81:82], off offset:1024
	s_and_saveexec_b32 s6, vcc_lo
	s_cbranch_execnz .LBB58_83
.LBB58_62:                              ;   in Loop: Header=BB58_29 Depth=1
	s_or_b32 exec_lo, exec_lo, s6
	global_load_dwordx4 v[81:84], v[81:82], off offset:1536
	s_and_saveexec_b32 s0, vcc_lo
	s_cbranch_execz .LBB58_28
	s_branch .LBB58_84
.LBB58_63:                              ;   in Loop: Header=BB58_29 Depth=1
	v_cmp_gt_i32_e64 s0, s25, v126
	s_waitcnt vmcnt(0)
	v_cndmask_b32_e64 v5, 0, v5, s0
	v_cmp_gt_i32_e64 s0, s25, v125
	v_cndmask_b32_e64 v6, 0, v6, s0
	v_cmp_gt_i32_e64 s0, s25, v127
	;; [unrolled: 2-line block ×3, first 2 shown]
	v_cndmask_b32_e64 v8, 0, v8, s0
	s_or_b32 exec_lo, exec_lo, s6
	global_load_dwordx4 v[9:12], v[81:82], off offset:512
	s_and_saveexec_b32 s6, vcc_lo
	s_cbranch_execz .LBB58_31
.LBB58_64:                              ;   in Loop: Header=BB58_29 Depth=1
	v_cmp_gt_i32_e64 s0, s25, v126
	s_waitcnt vmcnt(0)
	v_cndmask_b32_e64 v9, 0, v9, s0
	v_cmp_gt_i32_e64 s0, s25, v125
	v_cndmask_b32_e64 v10, 0, v10, s0
	v_cmp_gt_i32_e64 s0, s25, v127
	;; [unrolled: 2-line block ×3, first 2 shown]
	v_cndmask_b32_e64 v12, 0, v12, s0
	s_or_b32 exec_lo, exec_lo, s6
	global_load_dwordx4 v[13:16], v[81:82], off offset:1024
	s_and_saveexec_b32 s6, vcc_lo
	s_cbranch_execz .LBB58_32
.LBB58_65:                              ;   in Loop: Header=BB58_29 Depth=1
	v_cmp_gt_i32_e64 s0, s25, v126
	s_waitcnt vmcnt(0)
	v_cndmask_b32_e64 v13, 0, v13, s0
	v_cmp_gt_i32_e64 s0, s25, v125
	v_cndmask_b32_e64 v14, 0, v14, s0
	v_cmp_gt_i32_e64 s0, s25, v127
	;; [unrolled: 2-line block ×3, first 2 shown]
	v_cndmask_b32_e64 v16, 0, v16, s0
	s_or_b32 exec_lo, exec_lo, s6
	global_load_dwordx4 v[17:20], v[81:82], off offset:1536
	s_and_saveexec_b32 s6, vcc_lo
	s_cbranch_execnz .LBB58_33
	s_branch .LBB58_34
.LBB58_66:                              ;   in Loop: Header=BB58_29 Depth=1
	v_cmp_gt_i32_e64 s0, s25, v126
	s_waitcnt vmcnt(0)
	v_cndmask_b32_e64 v21, 0, v21, s0
	v_cmp_gt_i32_e64 s0, s25, v125
	v_cndmask_b32_e64 v22, 0, v22, s0
	v_cmp_gt_i32_e64 s0, s25, v127
	v_cndmask_b32_e64 v23, 0, v23, s0
	v_cmp_gt_i32_e64 s0, s25, v123
	v_cndmask_b32_e64 v24, 0, v24, s0
	s_or_b32 exec_lo, exec_lo, s6
	global_load_dwordx4 v[25:28], v[33:34], off offset:512
	s_and_saveexec_b32 s6, vcc_lo
	s_cbranch_execz .LBB58_36
.LBB58_67:                              ;   in Loop: Header=BB58_29 Depth=1
	v_cmp_gt_i32_e64 s0, s25, v126
	s_waitcnt vmcnt(0)
	v_cndmask_b32_e64 v25, 0, v25, s0
	v_cmp_gt_i32_e64 s0, s25, v125
	v_cndmask_b32_e64 v26, 0, v26, s0
	v_cmp_gt_i32_e64 s0, s25, v127
	v_cndmask_b32_e64 v27, 0, v27, s0
	v_cmp_gt_i32_e64 s0, s25, v123
	v_cndmask_b32_e64 v28, 0, v28, s0
	s_or_b32 exec_lo, exec_lo, s6
	global_load_dwordx4 v[29:32], v[33:34], off offset:1024
	s_and_saveexec_b32 s6, vcc_lo
	s_cbranch_execz .LBB58_37
.LBB58_68:                              ;   in Loop: Header=BB58_29 Depth=1
	v_cmp_gt_i32_e64 s0, s25, v126
	s_waitcnt vmcnt(0)
	v_cndmask_b32_e64 v29, 0, v29, s0
	v_cmp_gt_i32_e64 s0, s25, v125
	v_cndmask_b32_e64 v30, 0, v30, s0
	v_cmp_gt_i32_e64 s0, s25, v127
	;; [unrolled: 2-line block ×3, first 2 shown]
	v_cndmask_b32_e64 v32, 0, v32, s0
	s_or_b32 exec_lo, exec_lo, s6
	global_load_dwordx4 v[33:36], v[33:34], off offset:1536
	s_and_saveexec_b32 s6, vcc_lo
	s_cbranch_execnz .LBB58_38
	s_branch .LBB58_39
.LBB58_69:                              ;   in Loop: Header=BB58_29 Depth=1
	v_cmp_gt_i32_e64 s0, s25, v126
	s_waitcnt vmcnt(0)
	v_cndmask_b32_e64 v37, 0, v37, s0
	v_cmp_gt_i32_e64 s0, s25, v125
	v_cndmask_b32_e64 v38, 0, v38, s0
	v_cmp_gt_i32_e64 s0, s25, v127
	;; [unrolled: 2-line block ×3, first 2 shown]
	v_cndmask_b32_e64 v40, 0, v40, s0
	s_or_b32 exec_lo, exec_lo, s6
	global_load_dwordx4 v[41:44], v[49:50], off offset:512
	s_and_saveexec_b32 s6, vcc_lo
	s_cbranch_execz .LBB58_41
.LBB58_70:                              ;   in Loop: Header=BB58_29 Depth=1
	v_cmp_gt_i32_e64 s0, s25, v126
	s_waitcnt vmcnt(0)
	v_cndmask_b32_e64 v41, 0, v41, s0
	v_cmp_gt_i32_e64 s0, s25, v125
	v_cndmask_b32_e64 v42, 0, v42, s0
	v_cmp_gt_i32_e64 s0, s25, v127
	;; [unrolled: 2-line block ×3, first 2 shown]
	v_cndmask_b32_e64 v44, 0, v44, s0
	s_or_b32 exec_lo, exec_lo, s6
	global_load_dwordx4 v[45:48], v[49:50], off offset:1024
	s_and_saveexec_b32 s6, vcc_lo
	s_cbranch_execz .LBB58_42
.LBB58_71:                              ;   in Loop: Header=BB58_29 Depth=1
	v_cmp_gt_i32_e64 s0, s25, v126
	s_waitcnt vmcnt(0)
	v_cndmask_b32_e64 v45, 0, v45, s0
	v_cmp_gt_i32_e64 s0, s25, v125
	v_cndmask_b32_e64 v46, 0, v46, s0
	v_cmp_gt_i32_e64 s0, s25, v127
	;; [unrolled: 2-line block ×3, first 2 shown]
	v_cndmask_b32_e64 v48, 0, v48, s0
	s_or_b32 exec_lo, exec_lo, s6
	global_load_dwordx4 v[49:52], v[49:50], off offset:1536
	s_and_saveexec_b32 s6, vcc_lo
	s_cbranch_execnz .LBB58_43
	s_branch .LBB58_44
.LBB58_72:                              ;   in Loop: Header=BB58_29 Depth=1
	v_cmp_gt_i32_e64 s0, s25, v126
	s_waitcnt vmcnt(0)
	v_cndmask_b32_e64 v53, 0, v53, s0
	v_cmp_gt_i32_e64 s0, s25, v125
	v_cndmask_b32_e64 v54, 0, v54, s0
	v_cmp_gt_i32_e64 s0, s25, v127
	;; [unrolled: 2-line block ×3, first 2 shown]
	v_cndmask_b32_e64 v56, 0, v56, s0
	s_or_b32 exec_lo, exec_lo, s6
	global_load_dwordx4 v[57:60], v[65:66], off offset:512
	s_and_saveexec_b32 s6, vcc_lo
	s_cbranch_execz .LBB58_46
.LBB58_73:                              ;   in Loop: Header=BB58_29 Depth=1
	v_cmp_gt_i32_e64 s0, s25, v126
	s_waitcnt vmcnt(0)
	v_cndmask_b32_e64 v57, 0, v57, s0
	v_cmp_gt_i32_e64 s0, s25, v125
	v_cndmask_b32_e64 v58, 0, v58, s0
	v_cmp_gt_i32_e64 s0, s25, v127
	;; [unrolled: 2-line block ×3, first 2 shown]
	v_cndmask_b32_e64 v60, 0, v60, s0
	s_or_b32 exec_lo, exec_lo, s6
	global_load_dwordx4 v[61:64], v[65:66], off offset:1024
	s_and_saveexec_b32 s6, vcc_lo
	s_cbranch_execz .LBB58_47
.LBB58_74:                              ;   in Loop: Header=BB58_29 Depth=1
	v_cmp_gt_i32_e64 s0, s25, v126
	s_waitcnt vmcnt(0)
	v_cndmask_b32_e64 v61, 0, v61, s0
	v_cmp_gt_i32_e64 s0, s25, v125
	v_cndmask_b32_e64 v62, 0, v62, s0
	v_cmp_gt_i32_e64 s0, s25, v127
	;; [unrolled: 2-line block ×3, first 2 shown]
	v_cndmask_b32_e64 v64, 0, v64, s0
	s_or_b32 exec_lo, exec_lo, s6
	global_load_dwordx4 v[65:68], v[65:66], off offset:1536
	s_and_saveexec_b32 s6, vcc_lo
	s_cbranch_execnz .LBB58_48
	s_branch .LBB58_49
.LBB58_75:                              ;   in Loop: Header=BB58_29 Depth=1
	v_cmp_gt_i32_e64 s0, s25, v126
	s_waitcnt vmcnt(0)
	v_cndmask_b32_e64 v69, 0, v69, s0
	v_cmp_gt_i32_e64 s0, s25, v125
	v_cndmask_b32_e64 v70, 0, v70, s0
	v_cmp_gt_i32_e64 s0, s25, v127
	;; [unrolled: 2-line block ×3, first 2 shown]
	v_cndmask_b32_e64 v72, 0, v72, s0
	s_or_b32 exec_lo, exec_lo, s6
	global_load_dwordx4 v[73:76], v[83:84], off offset:512
	s_and_saveexec_b32 s6, vcc_lo
	s_cbranch_execz .LBB58_51
.LBB58_76:                              ;   in Loop: Header=BB58_29 Depth=1
	v_cmp_gt_i32_e64 s0, s25, v126
	s_waitcnt vmcnt(0)
	v_cndmask_b32_e64 v73, 0, v73, s0
	v_cmp_gt_i32_e64 s0, s25, v125
	v_cndmask_b32_e64 v74, 0, v74, s0
	v_cmp_gt_i32_e64 s0, s25, v127
	;; [unrolled: 2-line block ×3, first 2 shown]
	v_cndmask_b32_e64 v76, 0, v76, s0
	s_or_b32 exec_lo, exec_lo, s6
	global_load_dwordx4 v[77:80], v[83:84], off offset:1024
	s_and_saveexec_b32 s6, vcc_lo
	s_cbranch_execz .LBB58_52
.LBB58_77:                              ;   in Loop: Header=BB58_29 Depth=1
	v_cmp_gt_i32_e64 s0, s25, v126
	s_waitcnt vmcnt(0)
	v_cndmask_b32_e64 v77, 0, v77, s0
	v_cmp_gt_i32_e64 s0, s25, v125
	v_cndmask_b32_e64 v78, 0, v78, s0
	v_cmp_gt_i32_e64 s0, s25, v127
	;; [unrolled: 2-line block ×3, first 2 shown]
	v_cndmask_b32_e64 v80, 0, v80, s0
	s_or_b32 exec_lo, exec_lo, s6
	global_load_dwordx4 v[85:88], v[83:84], off offset:1536
	s_and_saveexec_b32 s6, vcc_lo
	s_cbranch_execnz .LBB58_53
	s_branch .LBB58_54
.LBB58_78:                              ;   in Loop: Header=BB58_29 Depth=1
	v_cmp_gt_i32_e64 s0, s25, v126
	s_waitcnt vmcnt(0)
	v_cndmask_b32_e64 v89, 0, v89, s0
	v_cmp_gt_i32_e64 s0, s25, v125
	v_cndmask_b32_e64 v90, 0, v90, s0
	v_cmp_gt_i32_e64 s0, s25, v127
	;; [unrolled: 2-line block ×3, first 2 shown]
	v_cndmask_b32_e64 v92, 0, v92, s0
	s_or_b32 exec_lo, exec_lo, s6
	global_load_dwordx4 v[93:96], v[83:84], off offset:512
	s_and_saveexec_b32 s6, vcc_lo
	s_cbranch_execz .LBB58_56
.LBB58_79:                              ;   in Loop: Header=BB58_29 Depth=1
	v_cmp_gt_i32_e64 s0, s25, v126
	s_waitcnt vmcnt(0)
	v_cndmask_b32_e64 v93, 0, v93, s0
	v_cmp_gt_i32_e64 s0, s25, v125
	v_cndmask_b32_e64 v94, 0, v94, s0
	v_cmp_gt_i32_e64 s0, s25, v127
	;; [unrolled: 2-line block ×3, first 2 shown]
	v_cndmask_b32_e64 v96, 0, v96, s0
	s_or_b32 exec_lo, exec_lo, s6
	global_load_dwordx4 v[97:100], v[83:84], off offset:1024
	s_and_saveexec_b32 s6, vcc_lo
	s_cbranch_execz .LBB58_57
.LBB58_80:                              ;   in Loop: Header=BB58_29 Depth=1
	v_cmp_gt_i32_e64 s0, s25, v126
	s_waitcnt vmcnt(0)
	v_cndmask_b32_e64 v97, 0, v97, s0
	v_cmp_gt_i32_e64 s0, s25, v125
	v_cndmask_b32_e64 v98, 0, v98, s0
	v_cmp_gt_i32_e64 s0, s25, v127
	;; [unrolled: 2-line block ×3, first 2 shown]
	v_cndmask_b32_e64 v100, 0, v100, s0
	s_or_b32 exec_lo, exec_lo, s6
	global_load_dwordx4 v[101:104], v[83:84], off offset:1536
	s_and_saveexec_b32 s6, vcc_lo
	s_cbranch_execnz .LBB58_58
	s_branch .LBB58_59
.LBB58_81:                              ;   in Loop: Header=BB58_29 Depth=1
	v_cmp_gt_i32_e64 s0, s25, v126
	s_waitcnt vmcnt(0)
	v_cndmask_b32_e64 v105, 0, v105, s0
	v_cmp_gt_i32_e64 s0, s25, v125
	v_cndmask_b32_e64 v106, 0, v106, s0
	v_cmp_gt_i32_e64 s0, s25, v127
	;; [unrolled: 2-line block ×3, first 2 shown]
	v_cndmask_b32_e64 v108, 0, v108, s0
	s_or_b32 exec_lo, exec_lo, s6
	global_load_dwordx4 v[109:112], v[81:82], off offset:512
	s_and_saveexec_b32 s6, vcc_lo
	s_cbranch_execz .LBB58_61
.LBB58_82:                              ;   in Loop: Header=BB58_29 Depth=1
	v_cmp_gt_i32_e64 s0, s25, v126
	s_waitcnt vmcnt(0)
	v_cndmask_b32_e64 v109, 0, v109, s0
	v_cmp_gt_i32_e64 s0, s25, v125
	v_cndmask_b32_e64 v110, 0, v110, s0
	v_cmp_gt_i32_e64 s0, s25, v127
	;; [unrolled: 2-line block ×3, first 2 shown]
	v_cndmask_b32_e64 v112, 0, v112, s0
	s_or_b32 exec_lo, exec_lo, s6
	global_load_dwordx4 v[113:116], v[81:82], off offset:1024
	s_and_saveexec_b32 s6, vcc_lo
	s_cbranch_execz .LBB58_62
.LBB58_83:                              ;   in Loop: Header=BB58_29 Depth=1
	v_cmp_gt_i32_e64 s0, s25, v126
	s_waitcnt vmcnt(0)
	v_cndmask_b32_e64 v113, 0, v113, s0
	v_cmp_gt_i32_e64 s0, s25, v125
	v_cndmask_b32_e64 v114, 0, v114, s0
	v_cmp_gt_i32_e64 s0, s25, v127
	;; [unrolled: 2-line block ×3, first 2 shown]
	v_cndmask_b32_e64 v116, 0, v116, s0
	s_or_b32 exec_lo, exec_lo, s6
	global_load_dwordx4 v[81:84], v[81:82], off offset:1536
	s_and_saveexec_b32 s0, vcc_lo
	s_cbranch_execz .LBB58_28
.LBB58_84:                              ;   in Loop: Header=BB58_29 Depth=1
	v_cmp_gt_i32_e32 vcc_lo, s25, v126
	s_waitcnt vmcnt(0)
	v_cndmask_b32_e32 v81, 0, v81, vcc_lo
	v_cmp_gt_i32_e32 vcc_lo, s25, v125
	v_cndmask_b32_e32 v82, 0, v82, vcc_lo
	v_cmp_gt_i32_e32 vcc_lo, s25, v127
	;; [unrolled: 2-line block ×3, first 2 shown]
	v_cndmask_b32_e32 v84, 0, v84, vcc_lo
	s_branch .LBB58_28
.LBB58_85:
	s_or_b32 exec_lo, exec_lo, s4
	s_clause 0x1a
	buffer_load_dword v51, off, s[40:43], 0 offset:132
	buffer_load_dword v52, off, s[40:43], 0 offset:136
	;; [unrolled: 1-line block ×27, first 2 shown]
	v_mov_b32_e32 v12, v0
.LBB58_86:
	s_or_b32 exec_lo, exec_lo, s1
	s_waitcnt vmcnt(21)
	ds_bpermute_b32 v1, v35, v5
	ds_bpermute_b32 v2, v35, v9
	;; [unrolled: 1-line block ×4, first 2 shown]
	v_mov_b32_e32 v0, v5
	ds_bpermute_b32 v5, v35, v122
	ds_bpermute_b32 v6, v35, v124
	ds_bpermute_b32 v7, v35, v121
	s_waitcnt vmcnt(0)
	ds_bpermute_b32 v8, v35, v13
	v_mov_b32_e32 v14, v9
	ds_bpermute_b32 v10, v35, v20
	ds_bpermute_b32 v9, v35, v21
	;; [unrolled: 1-line block ×6, first 2 shown]
	s_mov_b32 s0, exec_lo
	s_waitcnt lgkmcnt(0)
	s_waitcnt_vscnt null, 0x0
	s_barrier
	buffer_gl0_inv
	v_add_f32_e32 v1, v0, v1
	v_add_f32_e32 v2, v14, v2
	;; [unrolled: 1-line block ×8, first 2 shown]
	ds_bpermute_b32 v8, v44, v1
	ds_bpermute_b32 v11, v44, v2
	;; [unrolled: 1-line block ×7, first 2 shown]
	v_add_f32_e32 v10, v20, v10
	ds_bpermute_b32 v20, v35, v25
	ds_bpermute_b32 v15, v44, v5
	v_add_f32_e32 v9, v21, v9
	ds_bpermute_b32 v21, v35, v26
	v_add_f32_e32 v19, v27, v19
	v_add_f32_e32 v18, v28, v18
	;; [unrolled: 1-line block ×3, first 2 shown]
	ds_bpermute_b32 v23, v44, v9
	v_add_f32_e32 v34, v46, v34
	ds_bpermute_b32 v27, v44, v19
	ds_bpermute_b32 v24, v44, v10
	s_waitcnt lgkmcnt(12)
	v_add_f32_e32 v1, v1, v8
	s_waitcnt lgkmcnt(11)
	v_add_f32_e32 v2, v2, v11
	;; [unrolled: 2-line block ×6, first 2 shown]
	ds_bpermute_b32 v0, v50, v1
	ds_bpermute_b32 v11, v50, v2
	;; [unrolled: 1-line block ×6, first 2 shown]
	s_waitcnt lgkmcnt(12)
	v_add_f32_e32 v7, v7, v17
	s_waitcnt lgkmcnt(11)
	v_add_f32_e32 v20, v25, v20
	s_waitcnt lgkmcnt(10)
	v_add_f32_e32 v5, v5, v15
	s_waitcnt lgkmcnt(9)
	v_add_f32_e32 v21, v26, v21
	ds_bpermute_b32 v25, v35, v30
	ds_bpermute_b32 v17, v50, v7
	;; [unrolled: 1-line block ×6, first 2 shown]
	s_waitcnt lgkmcnt(14)
	v_add_f32_e32 v9, v9, v23
	ds_bpermute_b32 v23, v35, v37
	s_waitcnt lgkmcnt(13)
	v_add_f32_e32 v10, v10, v24
	s_waitcnt lgkmcnt(12)
	v_add_f32_e32 v0, v1, v0
	;; [unrolled: 2-line block ×6, first 2 shown]
	ds_bpermute_b32 v8, v35, v31
	ds_bpermute_b32 v13, v44, v22
	;; [unrolled: 1-line block ×3, first 2 shown]
	s_waitcnt lgkmcnt(10)
	v_add_f32_e32 v6, v6, v16
	v_add_f32_e32 v16, v19, v27
	ds_bpermute_b32 v19, v35, v36
	s_waitcnt lgkmcnt(9)
	v_add_f32_e32 v7, v7, v17
	s_waitcnt lgkmcnt(8)
	v_add_f32_e32 v17, v20, v28
	ds_bpermute_b32 v28, v35, v39
	s_waitcnt lgkmcnt(8)
	v_add_f32_e32 v5, v5, v15
	s_waitcnt lgkmcnt(7)
	v_add_f32_e32 v15, v18, v26
	v_add_f32_e32 v18, v30, v25
	ds_bpermute_b32 v27, v35, v38
	s_waitcnt lgkmcnt(7)
	v_add_f32_e32 v21, v21, v29
	ds_bpermute_b32 v29, v35, v42
	ds_bpermute_b32 v30, v35, v41
	;; [unrolled: 1-line block ×3, first 2 shown]
	s_waitcnt lgkmcnt(9)
	v_add_f32_e32 v23, v37, v23
	ds_bpermute_b32 v32, v50, v21
	ds_bpermute_b32 v11, v50, v9
	s_waitcnt lgkmcnt(10)
	v_add_f32_e32 v8, v31, v8
	ds_bpermute_b32 v31, v35, v40
	s_waitcnt lgkmcnt(10)
	v_add_f32_e32 v22, v22, v13
	s_waitcnt lgkmcnt(9)
	v_add_f32_e32 v13, v33, v14
	ds_bpermute_b32 v14, v35, v43
	ds_bpermute_b32 v35, v35, v45
	ds_bpermute_b32 v33, v44, v8
	s_waitcnt lgkmcnt(11)
	v_add_f32_e32 v19, v36, v19
	ds_bpermute_b32 v36, v44, v13
	s_waitcnt lgkmcnt(11)
	v_add_f32_e32 v28, v39, v28
	ds_bpermute_b32 v12, v50, v10
	ds_bpermute_b32 v20, v50, v15
	s_waitcnt lgkmcnt(12)
	v_add_f32_e32 v27, v38, v27
	ds_bpermute_b32 v38, v44, v23
	s_waitcnt lgkmcnt(12)
	v_add_f32_e32 v29, v42, v29
	s_waitcnt lgkmcnt(11)
	v_add_f32_e32 v30, v41, v30
	;; [unrolled: 2-line block ×3, first 2 shown]
	ds_bpermute_b32 v25, v44, v19
	ds_bpermute_b32 v39, v44, v27
	;; [unrolled: 1-line block ×4, first 2 shown]
	s_waitcnt lgkmcnt(11)
	v_add_f32_e32 v31, v40, v31
	ds_bpermute_b32 v40, v44, v28
	ds_bpermute_b32 v24, v50, v16
	s_waitcnt lgkmcnt(12)
	v_add_f32_e32 v14, v43, v14
	s_waitcnt lgkmcnt(11)
	v_add_f32_e32 v35, v45, v35
	ds_bpermute_b32 v43, v44, v31
	s_waitcnt lgkmcnt(11)
	v_add_f32_e32 v33, v8, v33
	s_waitcnt lgkmcnt(10)
	v_add_f32_e32 v36, v13, v36
	ds_bpermute_b32 v8, v44, v14
	ds_bpermute_b32 v13, v44, v34
	;; [unrolled: 1-line block ×4, first 2 shown]
	s_waitcnt lgkmcnt(11)
	v_add_f32_e32 v23, v23, v38
	ds_bpermute_b32 v37, v50, v22
	ds_bpermute_b32 v38, v50, v33
	;; [unrolled: 1-line block ×3, first 2 shown]
	s_waitcnt lgkmcnt(13)
	v_add_f32_e32 v19, v19, v25
	s_waitcnt lgkmcnt(12)
	v_add_f32_e32 v27, v27, v39
	;; [unrolled: 2-line block ×4, first 2 shown]
	ds_bpermute_b32 v25, v50, v18
	s_waitcnt lgkmcnt(10)
	v_add_f32_e32 v28, v28, v40
	ds_bpermute_b32 v46, v50, v19
	ds_bpermute_b32 v39, v50, v23
	;; [unrolled: 1-line block ×3, first 2 shown]
	s_waitcnt lgkmcnt(11)
	v_add_f32_e32 v31, v31, v43
	ds_bpermute_b32 v41, v50, v28
	ds_bpermute_b32 v42, v50, v29
	s_waitcnt lgkmcnt(12)
	v_add_f32_e32 v47, v14, v8
	s_waitcnt lgkmcnt(11)
	v_add_f32_e32 v34, v34, v13
	;; [unrolled: 2-line block ×3, first 2 shown]
	ds_bpermute_b32 v43, v50, v30
	ds_bpermute_b32 v48, v50, v31
	;; [unrolled: 1-line block ×5, first 2 shown]
	v_add_f32_e32 v13, v21, v32
	v_add_f32_e32 v8, v9, v11
	;; [unrolled: 1-line block ×5, first 2 shown]
	s_waitcnt lgkmcnt(14)
	v_add_f32_e32 v12, v17, v26
	s_waitcnt lgkmcnt(13)
	v_add_f32_e32 v14, v22, v37
	;; [unrolled: 2-line block ×3, first 2 shown]
	v_add_f32_e32 v16, v33, v38
	v_add_f32_e32 v17, v36, v45
	s_waitcnt lgkmcnt(6)
	v_add_f32_e32 v21, v28, v41
	v_lshrrev_b32_e32 v28, 3, v115
	v_add_f32_e32 v18, v19, v46
	v_add_f32_e32 v19, v23, v39
	;; [unrolled: 1-line block ×3, first 2 shown]
	s_waitcnt lgkmcnt(5)
	v_add_f32_e32 v22, v29, v42
	s_waitcnt lgkmcnt(4)
	v_add_f32_e32 v23, v30, v43
	;; [unrolled: 2-line block ×4, first 2 shown]
	v_and_b32_e32 v31, 0x3c7, v51
	s_waitcnt lgkmcnt(1)
	v_add_f32_e32 v26, v34, v49
	s_waitcnt lgkmcnt(0)
	v_add_f32_e32 v27, v35, v50
	v_lshl_add_u32 v29, v28, 2, 0x1e0
	v_mul_u32_u24_e32 v30, 0x1c0, v52
	v_cmpx_eq_u32_e32 64, v31
	s_cbranch_execz .LBB58_88
; %bb.87:
	v_add_nc_u32_e32 v31, v29, v30
	v_add_nc_u32_e32 v32, 0xfffffc80, v31
	;; [unrolled: 1-line block ×8, first 2 shown]
	ds_write_b32 v32, v0
	ds_write_b32 v33, v1
	;; [unrolled: 1-line block ×3, first 2 shown]
	v_add_nc_u32_e32 v32, 0xfffffcf0, v31
	ds_write_b32 v35, v3
	ds_write_b32 v36, v4
	ds_write_b32 v37, v5
	ds_write_b32 v38, v6
	ds_write_b32 v32, v7
	v_add_nc_u32_e32 v32, 0xfffffd00, v31
	v_add_nc_u32_e32 v33, 0xfffffd10, v31
	v_add_nc_u32_e32 v34, 0xfffffd20, v31
	v_add_nc_u32_e32 v35, 0xfffffd30, v31
	v_add_nc_u32_e32 v36, 0xfffffd40, v31
	ds_write_b32 v32, v8
	ds_write_b32 v33, v9
	ds_write_b32 v34, v10
	ds_write_b32 v35, v11
	ds_write_b32 v36, v12
	v_add_nc_u32_e32 v32, 0xfffffd50, v31
	v_add_nc_u32_e32 v33, 0xfffffd60, v31
	v_add_nc_u32_e32 v34, 0xfffffd70, v31
	v_add_nc_u32_e32 v35, 0xfffffd80, v31
	v_add_nc_u32_e32 v36, 0xfffffd90, v31
	ds_write_b32 v32, v13
	ds_write_b32 v33, v14
	ds_write_b32 v34, v15
	ds_write_b32 v35, v16
	ds_write_b32 v36, v17
	v_add_nc_u32_e32 v32, 0xfffffda0, v31
	v_add_nc_u32_e32 v33, 0xfffffdb0, v31
	v_add_nc_u32_e32 v34, 0xfffffdc0, v31
	v_add_nc_u32_e32 v35, 0xfffffdd0, v31
	v_add_nc_u32_e32 v36, 0xfffffde0, v31
	ds_write_b32 v32, v18
	ds_write_b32 v33, v19
	ds_write_b32 v34, v20
	ds_write_b32 v35, v21
	ds_write_b32 v36, v22
	v_add_nc_u32_e32 v32, 0xfffffdf0, v31
	v_add_nc_u32_e32 v33, 0xfffffe00, v31
	v_add_nc_u32_e32 v34, 0xfffffe10, v31
	v_add_nc_u32_e32 v35, 0xfffffe20, v31
	v_add_nc_u32_e32 v31, 0xfffffe30, v31
	ds_write_b32 v32, v23
	ds_write_b32 v33, v24
	;; [unrolled: 1-line block ×5, first 2 shown]
.LBB58_88:
	s_or_b32 exec_lo, exec_lo, s0
	v_lshlrev_b32_e32 v28, 2, v28
	s_mov_b32 s1, exec_lo
	v_cmp_eq_u32_e32 vcc_lo, 0, v53
	s_waitcnt lgkmcnt(0)
	s_barrier
	v_add3_u32 v28, 0x1e0, v30, v28
	buffer_gl0_inv
	v_cmpx_gt_u32_e32 64, v51
	s_cbranch_execz .LBB58_119
; %bb.89:
	s_and_saveexec_b32 s0, vcc_lo
	s_cbranch_execnz .LBB58_155
; %bb.90:
	s_or_b32 exec_lo, exec_lo, s0
	s_and_saveexec_b32 s0, vcc_lo
	s_cbranch_execnz .LBB58_156
.LBB58_91:
	s_or_b32 exec_lo, exec_lo, s0
	s_and_saveexec_b32 s0, vcc_lo
	s_cbranch_execnz .LBB58_157
.LBB58_92:
	s_or_b32 exec_lo, exec_lo, s0
	s_and_saveexec_b32 s0, vcc_lo
	s_cbranch_execnz .LBB58_158
.LBB58_93:
	s_or_b32 exec_lo, exec_lo, s0
	s_and_saveexec_b32 s0, vcc_lo
	s_cbranch_execnz .LBB58_159
.LBB58_94:
	s_or_b32 exec_lo, exec_lo, s0
	s_and_saveexec_b32 s0, vcc_lo
	s_cbranch_execnz .LBB58_160
.LBB58_95:
	s_or_b32 exec_lo, exec_lo, s0
	s_and_saveexec_b32 s0, vcc_lo
	s_cbranch_execnz .LBB58_161
.LBB58_96:
	s_or_b32 exec_lo, exec_lo, s0
	s_and_saveexec_b32 s0, vcc_lo
	s_cbranch_execnz .LBB58_162
.LBB58_97:
	s_or_b32 exec_lo, exec_lo, s0
	s_and_saveexec_b32 s0, vcc_lo
	s_cbranch_execnz .LBB58_163
.LBB58_98:
	s_or_b32 exec_lo, exec_lo, s0
	s_and_saveexec_b32 s0, vcc_lo
	s_cbranch_execnz .LBB58_164
.LBB58_99:
	s_or_b32 exec_lo, exec_lo, s0
	s_and_saveexec_b32 s0, vcc_lo
	s_cbranch_execnz .LBB58_165
.LBB58_100:
	s_or_b32 exec_lo, exec_lo, s0
	s_and_saveexec_b32 s0, vcc_lo
	s_cbranch_execnz .LBB58_166
.LBB58_101:
	s_or_b32 exec_lo, exec_lo, s0
	s_and_saveexec_b32 s0, vcc_lo
	s_cbranch_execnz .LBB58_167
.LBB58_102:
	s_or_b32 exec_lo, exec_lo, s0
	s_and_saveexec_b32 s0, vcc_lo
	s_cbranch_execnz .LBB58_168
.LBB58_103:
	s_or_b32 exec_lo, exec_lo, s0
	s_and_saveexec_b32 s0, vcc_lo
	s_cbranch_execnz .LBB58_169
.LBB58_104:
	s_or_b32 exec_lo, exec_lo, s0
	s_and_saveexec_b32 s0, vcc_lo
	s_cbranch_execnz .LBB58_170
.LBB58_105:
	s_or_b32 exec_lo, exec_lo, s0
	s_and_saveexec_b32 s0, vcc_lo
	s_cbranch_execnz .LBB58_171
.LBB58_106:
	s_or_b32 exec_lo, exec_lo, s0
	s_and_saveexec_b32 s0, vcc_lo
	s_cbranch_execnz .LBB58_172
.LBB58_107:
	s_or_b32 exec_lo, exec_lo, s0
	s_and_saveexec_b32 s0, vcc_lo
	s_cbranch_execnz .LBB58_173
.LBB58_108:
	s_or_b32 exec_lo, exec_lo, s0
	s_and_saveexec_b32 s0, vcc_lo
	s_cbranch_execnz .LBB58_174
.LBB58_109:
	s_or_b32 exec_lo, exec_lo, s0
	s_and_saveexec_b32 s0, vcc_lo
	s_cbranch_execnz .LBB58_175
.LBB58_110:
	s_or_b32 exec_lo, exec_lo, s0
	s_and_saveexec_b32 s0, vcc_lo
	s_cbranch_execnz .LBB58_176
.LBB58_111:
	s_or_b32 exec_lo, exec_lo, s0
	s_and_saveexec_b32 s0, vcc_lo
	s_cbranch_execnz .LBB58_177
.LBB58_112:
	s_or_b32 exec_lo, exec_lo, s0
	s_and_saveexec_b32 s0, vcc_lo
	s_cbranch_execnz .LBB58_178
.LBB58_113:
	s_or_b32 exec_lo, exec_lo, s0
	s_and_saveexec_b32 s0, vcc_lo
	s_cbranch_execnz .LBB58_179
.LBB58_114:
	s_or_b32 exec_lo, exec_lo, s0
	s_and_saveexec_b32 s0, vcc_lo
	s_cbranch_execnz .LBB58_180
.LBB58_115:
	s_or_b32 exec_lo, exec_lo, s0
	s_and_saveexec_b32 s0, vcc_lo
	s_cbranch_execnz .LBB58_181
.LBB58_116:
	s_or_b32 exec_lo, exec_lo, s0
	s_and_saveexec_b32 s0, vcc_lo
	s_cbranch_execz .LBB58_118
.LBB58_117:
	ds_read_b32 v30, v28 offset:432
	s_waitcnt lgkmcnt(0)
	v_add_f32_e32 v27, v27, v30
.LBB58_118:
	s_or_b32 exec_lo, exec_lo, s0
.LBB58_119:
	s_or_b32 exec_lo, exec_lo, s1
	v_and_b32_e32 v30, 0x3e7, v51
	s_mov_b32 s1, exec_lo
	s_barrier
	buffer_gl0_inv
	v_cmpx_eq_u32_e32 32, v30
	s_cbranch_execz .LBB58_121
; %bb.120:
	ds_write2_b32 v29, v0, v1 offset1:4
	ds_write2_b32 v29, v2, v3 offset0:8 offset1:12
	ds_write2_b32 v29, v4, v5 offset0:16 offset1:20
	;; [unrolled: 1-line block ×13, first 2 shown]
.LBB58_121:
	s_or_b32 exec_lo, exec_lo, s1
	s_mov_b32 s1, exec_lo
	s_waitcnt lgkmcnt(0)
	s_barrier
	buffer_gl0_inv
	v_cmpx_gt_u32_e32 32, v51
	s_cbranch_execz .LBB58_152
; %bb.122:
	s_and_saveexec_b32 s0, vcc_lo
	s_cbranch_execnz .LBB58_182
; %bb.123:
	s_or_b32 exec_lo, exec_lo, s0
	s_and_saveexec_b32 s0, vcc_lo
	s_cbranch_execnz .LBB58_183
.LBB58_124:
	s_or_b32 exec_lo, exec_lo, s0
	s_and_saveexec_b32 s0, vcc_lo
	s_cbranch_execnz .LBB58_184
.LBB58_125:
	s_or_b32 exec_lo, exec_lo, s0
	s_and_saveexec_b32 s0, vcc_lo
	s_cbranch_execnz .LBB58_185
.LBB58_126:
	s_or_b32 exec_lo, exec_lo, s0
	s_and_saveexec_b32 s0, vcc_lo
	s_cbranch_execnz .LBB58_186
.LBB58_127:
	s_or_b32 exec_lo, exec_lo, s0
	s_and_saveexec_b32 s0, vcc_lo
	s_cbranch_execnz .LBB58_187
.LBB58_128:
	s_or_b32 exec_lo, exec_lo, s0
	s_and_saveexec_b32 s0, vcc_lo
	s_cbranch_execnz .LBB58_188
.LBB58_129:
	s_or_b32 exec_lo, exec_lo, s0
	s_and_saveexec_b32 s0, vcc_lo
	s_cbranch_execnz .LBB58_189
.LBB58_130:
	s_or_b32 exec_lo, exec_lo, s0
	s_and_saveexec_b32 s0, vcc_lo
	s_cbranch_execnz .LBB58_190
.LBB58_131:
	s_or_b32 exec_lo, exec_lo, s0
	s_and_saveexec_b32 s0, vcc_lo
	s_cbranch_execnz .LBB58_191
.LBB58_132:
	s_or_b32 exec_lo, exec_lo, s0
	s_and_saveexec_b32 s0, vcc_lo
	s_cbranch_execnz .LBB58_192
.LBB58_133:
	s_or_b32 exec_lo, exec_lo, s0
	s_and_saveexec_b32 s0, vcc_lo
	s_cbranch_execnz .LBB58_193
.LBB58_134:
	s_or_b32 exec_lo, exec_lo, s0
	s_and_saveexec_b32 s0, vcc_lo
	s_cbranch_execnz .LBB58_194
.LBB58_135:
	s_or_b32 exec_lo, exec_lo, s0
	s_and_saveexec_b32 s0, vcc_lo
	s_cbranch_execnz .LBB58_195
.LBB58_136:
	s_or_b32 exec_lo, exec_lo, s0
	s_and_saveexec_b32 s0, vcc_lo
	s_cbranch_execnz .LBB58_196
.LBB58_137:
	s_or_b32 exec_lo, exec_lo, s0
	s_and_saveexec_b32 s0, vcc_lo
	s_cbranch_execnz .LBB58_197
.LBB58_138:
	s_or_b32 exec_lo, exec_lo, s0
	s_and_saveexec_b32 s0, vcc_lo
	s_cbranch_execnz .LBB58_198
.LBB58_139:
	s_or_b32 exec_lo, exec_lo, s0
	s_and_saveexec_b32 s0, vcc_lo
	s_cbranch_execnz .LBB58_199
.LBB58_140:
	s_or_b32 exec_lo, exec_lo, s0
	s_and_saveexec_b32 s0, vcc_lo
	s_cbranch_execnz .LBB58_200
.LBB58_141:
	s_or_b32 exec_lo, exec_lo, s0
	s_and_saveexec_b32 s0, vcc_lo
	s_cbranch_execnz .LBB58_201
.LBB58_142:
	s_or_b32 exec_lo, exec_lo, s0
	s_and_saveexec_b32 s0, vcc_lo
	s_cbranch_execnz .LBB58_202
.LBB58_143:
	s_or_b32 exec_lo, exec_lo, s0
	s_and_saveexec_b32 s0, vcc_lo
	s_cbranch_execnz .LBB58_203
.LBB58_144:
	s_or_b32 exec_lo, exec_lo, s0
	s_and_saveexec_b32 s0, vcc_lo
	s_cbranch_execnz .LBB58_204
.LBB58_145:
	s_or_b32 exec_lo, exec_lo, s0
	s_and_saveexec_b32 s0, vcc_lo
	s_cbranch_execnz .LBB58_205
.LBB58_146:
	s_or_b32 exec_lo, exec_lo, s0
	s_and_saveexec_b32 s0, vcc_lo
	s_cbranch_execnz .LBB58_206
.LBB58_147:
	s_or_b32 exec_lo, exec_lo, s0
	s_and_saveexec_b32 s0, vcc_lo
	s_cbranch_execnz .LBB58_207
.LBB58_148:
	s_or_b32 exec_lo, exec_lo, s0
	s_and_saveexec_b32 s0, vcc_lo
	s_cbranch_execnz .LBB58_208
.LBB58_149:
	s_or_b32 exec_lo, exec_lo, s0
	s_and_saveexec_b32 s0, vcc_lo
	s_cbranch_execz .LBB58_151
.LBB58_150:
	ds_read_b32 v28, v28 offset:432
	s_waitcnt lgkmcnt(0)
	v_add_f32_e32 v27, v27, v28
.LBB58_151:
	s_or_b32 exec_lo, exec_lo, s0
.LBB58_152:
	s_or_b32 exec_lo, exec_lo, s1
	s_barrier
	buffer_gl0_inv
	s_mov_b32 s0, exec_lo
	v_cmpx_eq_u32_e32 0, v30
	s_cbranch_execz .LBB58_154
; %bb.153:
	s_mul_i32 s0, s2, 0x70
	s_mul_i32 s2, s7, s10
	s_ashr_i32 s1, s0, 31
	v_lshrrev_b32_e32 v28, 1, v51
	s_lshl_b64 s[0:1], s[0:1], 2
	s_add_u32 s4, s20, s0
	s_addc_u32 s5, s21, s1
	s_ashr_i32 s3, s2, 31
	s_lshl_b64 s[0:1], s[2:3], 2
	s_mul_i32 s2, s8, 0x70
	s_add_u32 s4, s4, s0
	s_addc_u32 s5, s5, s1
	s_ashr_i32 s3, s2, 31
	s_lshl_b64 s[0:1], s[2:3], 2
	s_add_u32 s0, s4, s0
	s_addc_u32 s1, s5, s1
	global_store_dword v28, v0, s[0:1]
	global_store_dword v28, v1, s[0:1] offset:16
	global_store_dword v28, v2, s[0:1] offset:32
	;; [unrolled: 1-line block ×27, first 2 shown]
.LBB58_154:
	s_endpgm
.LBB58_155:
	ds_read_b32 v30, v28
	s_waitcnt lgkmcnt(0)
	v_add_f32_e32 v0, v0, v30
	s_or_b32 exec_lo, exec_lo, s0
	s_and_saveexec_b32 s0, vcc_lo
	s_cbranch_execz .LBB58_91
.LBB58_156:
	ds_read_b32 v30, v28 offset:16
	s_waitcnt lgkmcnt(0)
	v_add_f32_e32 v1, v1, v30
	s_or_b32 exec_lo, exec_lo, s0
	s_and_saveexec_b32 s0, vcc_lo
	s_cbranch_execz .LBB58_92
.LBB58_157:
	ds_read_b32 v30, v28 offset:32
	s_waitcnt lgkmcnt(0)
	v_add_f32_e32 v2, v2, v30
	s_or_b32 exec_lo, exec_lo, s0
	s_and_saveexec_b32 s0, vcc_lo
	s_cbranch_execz .LBB58_93
.LBB58_158:
	ds_read_b32 v30, v28 offset:48
	s_waitcnt lgkmcnt(0)
	v_add_f32_e32 v3, v3, v30
	s_or_b32 exec_lo, exec_lo, s0
	s_and_saveexec_b32 s0, vcc_lo
	s_cbranch_execz .LBB58_94
.LBB58_159:
	ds_read_b32 v30, v28 offset:64
	s_waitcnt lgkmcnt(0)
	v_add_f32_e32 v4, v4, v30
	s_or_b32 exec_lo, exec_lo, s0
	s_and_saveexec_b32 s0, vcc_lo
	s_cbranch_execz .LBB58_95
.LBB58_160:
	ds_read_b32 v30, v28 offset:80
	s_waitcnt lgkmcnt(0)
	v_add_f32_e32 v5, v5, v30
	s_or_b32 exec_lo, exec_lo, s0
	s_and_saveexec_b32 s0, vcc_lo
	s_cbranch_execz .LBB58_96
.LBB58_161:
	ds_read_b32 v30, v28 offset:96
	s_waitcnt lgkmcnt(0)
	v_add_f32_e32 v6, v6, v30
	s_or_b32 exec_lo, exec_lo, s0
	s_and_saveexec_b32 s0, vcc_lo
	s_cbranch_execz .LBB58_97
.LBB58_162:
	ds_read_b32 v30, v28 offset:112
	s_waitcnt lgkmcnt(0)
	v_add_f32_e32 v7, v7, v30
	s_or_b32 exec_lo, exec_lo, s0
	s_and_saveexec_b32 s0, vcc_lo
	s_cbranch_execz .LBB58_98
.LBB58_163:
	ds_read_b32 v30, v28 offset:128
	s_waitcnt lgkmcnt(0)
	v_add_f32_e32 v8, v8, v30
	s_or_b32 exec_lo, exec_lo, s0
	s_and_saveexec_b32 s0, vcc_lo
	s_cbranch_execz .LBB58_99
.LBB58_164:
	ds_read_b32 v30, v28 offset:144
	s_waitcnt lgkmcnt(0)
	v_add_f32_e32 v9, v9, v30
	s_or_b32 exec_lo, exec_lo, s0
	s_and_saveexec_b32 s0, vcc_lo
	s_cbranch_execz .LBB58_100
.LBB58_165:
	ds_read_b32 v30, v28 offset:160
	s_waitcnt lgkmcnt(0)
	v_add_f32_e32 v10, v10, v30
	s_or_b32 exec_lo, exec_lo, s0
	s_and_saveexec_b32 s0, vcc_lo
	s_cbranch_execz .LBB58_101
.LBB58_166:
	ds_read_b32 v30, v28 offset:176
	s_waitcnt lgkmcnt(0)
	v_add_f32_e32 v11, v11, v30
	s_or_b32 exec_lo, exec_lo, s0
	s_and_saveexec_b32 s0, vcc_lo
	s_cbranch_execz .LBB58_102
.LBB58_167:
	ds_read_b32 v30, v28 offset:192
	s_waitcnt lgkmcnt(0)
	v_add_f32_e32 v12, v12, v30
	s_or_b32 exec_lo, exec_lo, s0
	s_and_saveexec_b32 s0, vcc_lo
	s_cbranch_execz .LBB58_103
.LBB58_168:
	ds_read_b32 v30, v28 offset:208
	s_waitcnt lgkmcnt(0)
	v_add_f32_e32 v13, v13, v30
	s_or_b32 exec_lo, exec_lo, s0
	s_and_saveexec_b32 s0, vcc_lo
	s_cbranch_execz .LBB58_104
.LBB58_169:
	ds_read_b32 v30, v28 offset:224
	s_waitcnt lgkmcnt(0)
	v_add_f32_e32 v14, v14, v30
	s_or_b32 exec_lo, exec_lo, s0
	s_and_saveexec_b32 s0, vcc_lo
	s_cbranch_execz .LBB58_105
.LBB58_170:
	ds_read_b32 v30, v28 offset:240
	s_waitcnt lgkmcnt(0)
	v_add_f32_e32 v15, v15, v30
	s_or_b32 exec_lo, exec_lo, s0
	s_and_saveexec_b32 s0, vcc_lo
	s_cbranch_execz .LBB58_106
.LBB58_171:
	ds_read_b32 v30, v28 offset:256
	s_waitcnt lgkmcnt(0)
	v_add_f32_e32 v16, v16, v30
	s_or_b32 exec_lo, exec_lo, s0
	s_and_saveexec_b32 s0, vcc_lo
	s_cbranch_execz .LBB58_107
.LBB58_172:
	ds_read_b32 v30, v28 offset:272
	s_waitcnt lgkmcnt(0)
	v_add_f32_e32 v17, v17, v30
	s_or_b32 exec_lo, exec_lo, s0
	s_and_saveexec_b32 s0, vcc_lo
	s_cbranch_execz .LBB58_108
.LBB58_173:
	ds_read_b32 v30, v28 offset:288
	s_waitcnt lgkmcnt(0)
	v_add_f32_e32 v18, v18, v30
	s_or_b32 exec_lo, exec_lo, s0
	s_and_saveexec_b32 s0, vcc_lo
	s_cbranch_execz .LBB58_109
.LBB58_174:
	ds_read_b32 v30, v28 offset:304
	s_waitcnt lgkmcnt(0)
	v_add_f32_e32 v19, v19, v30
	s_or_b32 exec_lo, exec_lo, s0
	s_and_saveexec_b32 s0, vcc_lo
	s_cbranch_execz .LBB58_110
.LBB58_175:
	ds_read_b32 v30, v28 offset:320
	s_waitcnt lgkmcnt(0)
	v_add_f32_e32 v20, v20, v30
	s_or_b32 exec_lo, exec_lo, s0
	s_and_saveexec_b32 s0, vcc_lo
	s_cbranch_execz .LBB58_111
.LBB58_176:
	ds_read_b32 v30, v28 offset:336
	s_waitcnt lgkmcnt(0)
	v_add_f32_e32 v21, v21, v30
	s_or_b32 exec_lo, exec_lo, s0
	s_and_saveexec_b32 s0, vcc_lo
	s_cbranch_execz .LBB58_112
.LBB58_177:
	ds_read_b32 v30, v28 offset:352
	s_waitcnt lgkmcnt(0)
	v_add_f32_e32 v22, v22, v30
	s_or_b32 exec_lo, exec_lo, s0
	s_and_saveexec_b32 s0, vcc_lo
	s_cbranch_execz .LBB58_113
.LBB58_178:
	ds_read_b32 v30, v28 offset:368
	s_waitcnt lgkmcnt(0)
	v_add_f32_e32 v23, v23, v30
	s_or_b32 exec_lo, exec_lo, s0
	s_and_saveexec_b32 s0, vcc_lo
	s_cbranch_execz .LBB58_114
.LBB58_179:
	ds_read_b32 v30, v28 offset:384
	s_waitcnt lgkmcnt(0)
	v_add_f32_e32 v24, v24, v30
	s_or_b32 exec_lo, exec_lo, s0
	s_and_saveexec_b32 s0, vcc_lo
	s_cbranch_execz .LBB58_115
.LBB58_180:
	ds_read_b32 v30, v28 offset:400
	s_waitcnt lgkmcnt(0)
	v_add_f32_e32 v25, v25, v30
	s_or_b32 exec_lo, exec_lo, s0
	s_and_saveexec_b32 s0, vcc_lo
	s_cbranch_execz .LBB58_116
.LBB58_181:
	ds_read_b32 v30, v28 offset:416
	s_waitcnt lgkmcnt(0)
	v_add_f32_e32 v26, v26, v30
	s_or_b32 exec_lo, exec_lo, s0
	s_and_saveexec_b32 s0, vcc_lo
	s_cbranch_execnz .LBB58_117
	s_branch .LBB58_118
.LBB58_182:
	ds_read_b32 v29, v28
	s_waitcnt lgkmcnt(0)
	v_add_f32_e32 v0, v0, v29
	s_or_b32 exec_lo, exec_lo, s0
	s_and_saveexec_b32 s0, vcc_lo
	s_cbranch_execz .LBB58_124
.LBB58_183:
	ds_read_b32 v29, v28 offset:16
	s_waitcnt lgkmcnt(0)
	v_add_f32_e32 v1, v1, v29
	s_or_b32 exec_lo, exec_lo, s0
	s_and_saveexec_b32 s0, vcc_lo
	s_cbranch_execz .LBB58_125
.LBB58_184:
	ds_read_b32 v29, v28 offset:32
	s_waitcnt lgkmcnt(0)
	v_add_f32_e32 v2, v2, v29
	s_or_b32 exec_lo, exec_lo, s0
	s_and_saveexec_b32 s0, vcc_lo
	s_cbranch_execz .LBB58_126
.LBB58_185:
	ds_read_b32 v29, v28 offset:48
	s_waitcnt lgkmcnt(0)
	v_add_f32_e32 v3, v3, v29
	s_or_b32 exec_lo, exec_lo, s0
	s_and_saveexec_b32 s0, vcc_lo
	s_cbranch_execz .LBB58_127
.LBB58_186:
	ds_read_b32 v29, v28 offset:64
	s_waitcnt lgkmcnt(0)
	v_add_f32_e32 v4, v4, v29
	s_or_b32 exec_lo, exec_lo, s0
	s_and_saveexec_b32 s0, vcc_lo
	s_cbranch_execz .LBB58_128
.LBB58_187:
	ds_read_b32 v29, v28 offset:80
	s_waitcnt lgkmcnt(0)
	v_add_f32_e32 v5, v5, v29
	s_or_b32 exec_lo, exec_lo, s0
	s_and_saveexec_b32 s0, vcc_lo
	s_cbranch_execz .LBB58_129
.LBB58_188:
	ds_read_b32 v29, v28 offset:96
	s_waitcnt lgkmcnt(0)
	v_add_f32_e32 v6, v6, v29
	s_or_b32 exec_lo, exec_lo, s0
	s_and_saveexec_b32 s0, vcc_lo
	s_cbranch_execz .LBB58_130
.LBB58_189:
	ds_read_b32 v29, v28 offset:112
	s_waitcnt lgkmcnt(0)
	v_add_f32_e32 v7, v7, v29
	s_or_b32 exec_lo, exec_lo, s0
	s_and_saveexec_b32 s0, vcc_lo
	s_cbranch_execz .LBB58_131
.LBB58_190:
	ds_read_b32 v29, v28 offset:128
	s_waitcnt lgkmcnt(0)
	v_add_f32_e32 v8, v8, v29
	s_or_b32 exec_lo, exec_lo, s0
	s_and_saveexec_b32 s0, vcc_lo
	s_cbranch_execz .LBB58_132
.LBB58_191:
	ds_read_b32 v29, v28 offset:144
	s_waitcnt lgkmcnt(0)
	v_add_f32_e32 v9, v9, v29
	s_or_b32 exec_lo, exec_lo, s0
	s_and_saveexec_b32 s0, vcc_lo
	s_cbranch_execz .LBB58_133
.LBB58_192:
	ds_read_b32 v29, v28 offset:160
	s_waitcnt lgkmcnt(0)
	v_add_f32_e32 v10, v10, v29
	s_or_b32 exec_lo, exec_lo, s0
	s_and_saveexec_b32 s0, vcc_lo
	s_cbranch_execz .LBB58_134
.LBB58_193:
	ds_read_b32 v29, v28 offset:176
	s_waitcnt lgkmcnt(0)
	v_add_f32_e32 v11, v11, v29
	s_or_b32 exec_lo, exec_lo, s0
	s_and_saveexec_b32 s0, vcc_lo
	s_cbranch_execz .LBB58_135
.LBB58_194:
	ds_read_b32 v29, v28 offset:192
	s_waitcnt lgkmcnt(0)
	v_add_f32_e32 v12, v12, v29
	s_or_b32 exec_lo, exec_lo, s0
	s_and_saveexec_b32 s0, vcc_lo
	s_cbranch_execz .LBB58_136
.LBB58_195:
	ds_read_b32 v29, v28 offset:208
	s_waitcnt lgkmcnt(0)
	v_add_f32_e32 v13, v13, v29
	s_or_b32 exec_lo, exec_lo, s0
	s_and_saveexec_b32 s0, vcc_lo
	s_cbranch_execz .LBB58_137
.LBB58_196:
	ds_read_b32 v29, v28 offset:224
	s_waitcnt lgkmcnt(0)
	v_add_f32_e32 v14, v14, v29
	s_or_b32 exec_lo, exec_lo, s0
	s_and_saveexec_b32 s0, vcc_lo
	s_cbranch_execz .LBB58_138
.LBB58_197:
	ds_read_b32 v29, v28 offset:240
	s_waitcnt lgkmcnt(0)
	v_add_f32_e32 v15, v15, v29
	s_or_b32 exec_lo, exec_lo, s0
	s_and_saveexec_b32 s0, vcc_lo
	s_cbranch_execz .LBB58_139
.LBB58_198:
	ds_read_b32 v29, v28 offset:256
	s_waitcnt lgkmcnt(0)
	v_add_f32_e32 v16, v16, v29
	s_or_b32 exec_lo, exec_lo, s0
	s_and_saveexec_b32 s0, vcc_lo
	s_cbranch_execz .LBB58_140
.LBB58_199:
	ds_read_b32 v29, v28 offset:272
	s_waitcnt lgkmcnt(0)
	v_add_f32_e32 v17, v17, v29
	s_or_b32 exec_lo, exec_lo, s0
	s_and_saveexec_b32 s0, vcc_lo
	s_cbranch_execz .LBB58_141
.LBB58_200:
	ds_read_b32 v29, v28 offset:288
	s_waitcnt lgkmcnt(0)
	v_add_f32_e32 v18, v18, v29
	s_or_b32 exec_lo, exec_lo, s0
	s_and_saveexec_b32 s0, vcc_lo
	s_cbranch_execz .LBB58_142
.LBB58_201:
	ds_read_b32 v29, v28 offset:304
	s_waitcnt lgkmcnt(0)
	v_add_f32_e32 v19, v19, v29
	s_or_b32 exec_lo, exec_lo, s0
	s_and_saveexec_b32 s0, vcc_lo
	s_cbranch_execz .LBB58_143
.LBB58_202:
	ds_read_b32 v29, v28 offset:320
	s_waitcnt lgkmcnt(0)
	v_add_f32_e32 v20, v20, v29
	s_or_b32 exec_lo, exec_lo, s0
	s_and_saveexec_b32 s0, vcc_lo
	s_cbranch_execz .LBB58_144
.LBB58_203:
	ds_read_b32 v29, v28 offset:336
	s_waitcnt lgkmcnt(0)
	v_add_f32_e32 v21, v21, v29
	s_or_b32 exec_lo, exec_lo, s0
	s_and_saveexec_b32 s0, vcc_lo
	s_cbranch_execz .LBB58_145
.LBB58_204:
	ds_read_b32 v29, v28 offset:352
	s_waitcnt lgkmcnt(0)
	v_add_f32_e32 v22, v22, v29
	s_or_b32 exec_lo, exec_lo, s0
	s_and_saveexec_b32 s0, vcc_lo
	s_cbranch_execz .LBB58_146
.LBB58_205:
	ds_read_b32 v29, v28 offset:368
	s_waitcnt lgkmcnt(0)
	v_add_f32_e32 v23, v23, v29
	s_or_b32 exec_lo, exec_lo, s0
	s_and_saveexec_b32 s0, vcc_lo
	s_cbranch_execz .LBB58_147
.LBB58_206:
	ds_read_b32 v29, v28 offset:384
	s_waitcnt lgkmcnt(0)
	v_add_f32_e32 v24, v24, v29
	s_or_b32 exec_lo, exec_lo, s0
	s_and_saveexec_b32 s0, vcc_lo
	s_cbranch_execz .LBB58_148
.LBB58_207:
	ds_read_b32 v29, v28 offset:400
	s_waitcnt lgkmcnt(0)
	v_add_f32_e32 v25, v25, v29
	s_or_b32 exec_lo, exec_lo, s0
	s_and_saveexec_b32 s0, vcc_lo
	s_cbranch_execz .LBB58_149
.LBB58_208:
	ds_read_b32 v29, v28 offset:416
	s_waitcnt lgkmcnt(0)
	v_add_f32_e32 v26, v26, v29
	s_or_b32 exec_lo, exec_lo, s0
	s_and_saveexec_b32 s0, vcc_lo
	s_cbranch_execnz .LBB58_150
	s_branch .LBB58_151
	.section	.rodata,"a",@progbits
	.p2align	6, 0x0
	.amdhsa_kernel _ZN4vllm25paged_attention_v2_kernelIffLi112ELi32ELi128ELNS_18Fp8KVCacheDataTypeE0ELb0ELi512EEEvPfS2_PT_PKS3_PKT0_S9_ifPKiSB_iPKfiiiSD_SD_iiiii
		.amdhsa_group_segment_fixed_size 480
		.amdhsa_private_segment_fixed_size 164
		.amdhsa_kernarg_size 400
		.amdhsa_user_sgpr_count 6
		.amdhsa_user_sgpr_private_segment_buffer 1
		.amdhsa_user_sgpr_dispatch_ptr 0
		.amdhsa_user_sgpr_queue_ptr 0
		.amdhsa_user_sgpr_kernarg_segment_ptr 1
		.amdhsa_user_sgpr_dispatch_id 0
		.amdhsa_user_sgpr_flat_scratch_init 0
		.amdhsa_user_sgpr_private_segment_size 0
		.amdhsa_wavefront_size32 1
		.amdhsa_uses_dynamic_stack 0
		.amdhsa_system_sgpr_private_segment_wavefront_offset 1
		.amdhsa_system_sgpr_workgroup_id_x 1
		.amdhsa_system_sgpr_workgroup_id_y 1
		.amdhsa_system_sgpr_workgroup_id_z 1
		.amdhsa_system_sgpr_workgroup_info 0
		.amdhsa_system_vgpr_workitem_id 0
		.amdhsa_next_free_vgpr 128
		.amdhsa_next_free_sgpr 44
		.amdhsa_reserve_vcc 1
		.amdhsa_reserve_flat_scratch 0
		.amdhsa_float_round_mode_32 0
		.amdhsa_float_round_mode_16_64 0
		.amdhsa_float_denorm_mode_32 3
		.amdhsa_float_denorm_mode_16_64 3
		.amdhsa_dx10_clamp 1
		.amdhsa_ieee_mode 1
		.amdhsa_fp16_overflow 0
		.amdhsa_workgroup_processor_mode 1
		.amdhsa_memory_ordered 1
		.amdhsa_forward_progress 1
		.amdhsa_shared_vgpr_count 0
		.amdhsa_exception_fp_ieee_invalid_op 0
		.amdhsa_exception_fp_denorm_src 0
		.amdhsa_exception_fp_ieee_div_zero 0
		.amdhsa_exception_fp_ieee_overflow 0
		.amdhsa_exception_fp_ieee_underflow 0
		.amdhsa_exception_fp_ieee_inexact 0
		.amdhsa_exception_int_div_zero 0
	.end_amdhsa_kernel
	.section	.text._ZN4vllm25paged_attention_v2_kernelIffLi112ELi32ELi128ELNS_18Fp8KVCacheDataTypeE0ELb0ELi512EEEvPfS2_PT_PKS3_PKT0_S9_ifPKiSB_iPKfiiiSD_SD_iiiii,"axG",@progbits,_ZN4vllm25paged_attention_v2_kernelIffLi112ELi32ELi128ELNS_18Fp8KVCacheDataTypeE0ELb0ELi512EEEvPfS2_PT_PKS3_PKT0_S9_ifPKiSB_iPKfiiiSD_SD_iiiii,comdat
.Lfunc_end58:
	.size	_ZN4vllm25paged_attention_v2_kernelIffLi112ELi32ELi128ELNS_18Fp8KVCacheDataTypeE0ELb0ELi512EEEvPfS2_PT_PKS3_PKT0_S9_ifPKiSB_iPKfiiiSD_SD_iiiii, .Lfunc_end58-_ZN4vllm25paged_attention_v2_kernelIffLi112ELi32ELi128ELNS_18Fp8KVCacheDataTypeE0ELb0ELi512EEEvPfS2_PT_PKS3_PKT0_S9_ifPKiSB_iPKfiiiSD_SD_iiiii
                                        ; -- End function
	.set _ZN4vllm25paged_attention_v2_kernelIffLi112ELi32ELi128ELNS_18Fp8KVCacheDataTypeE0ELb0ELi512EEEvPfS2_PT_PKS3_PKT0_S9_ifPKiSB_iPKfiiiSD_SD_iiiii.num_vgpr, 128
	.set _ZN4vllm25paged_attention_v2_kernelIffLi112ELi32ELi128ELNS_18Fp8KVCacheDataTypeE0ELb0ELi512EEEvPfS2_PT_PKS3_PKT0_S9_ifPKiSB_iPKfiiiSD_SD_iiiii.num_agpr, 0
	.set _ZN4vllm25paged_attention_v2_kernelIffLi112ELi32ELi128ELNS_18Fp8KVCacheDataTypeE0ELb0ELi512EEEvPfS2_PT_PKS3_PKT0_S9_ifPKiSB_iPKfiiiSD_SD_iiiii.numbered_sgpr, 44
	.set _ZN4vllm25paged_attention_v2_kernelIffLi112ELi32ELi128ELNS_18Fp8KVCacheDataTypeE0ELb0ELi512EEEvPfS2_PT_PKS3_PKT0_S9_ifPKiSB_iPKfiiiSD_SD_iiiii.num_named_barrier, 0
	.set _ZN4vllm25paged_attention_v2_kernelIffLi112ELi32ELi128ELNS_18Fp8KVCacheDataTypeE0ELb0ELi512EEEvPfS2_PT_PKS3_PKT0_S9_ifPKiSB_iPKfiiiSD_SD_iiiii.private_seg_size, 164
	.set _ZN4vllm25paged_attention_v2_kernelIffLi112ELi32ELi128ELNS_18Fp8KVCacheDataTypeE0ELb0ELi512EEEvPfS2_PT_PKS3_PKT0_S9_ifPKiSB_iPKfiiiSD_SD_iiiii.uses_vcc, 1
	.set _ZN4vllm25paged_attention_v2_kernelIffLi112ELi32ELi128ELNS_18Fp8KVCacheDataTypeE0ELb0ELi512EEEvPfS2_PT_PKS3_PKT0_S9_ifPKiSB_iPKfiiiSD_SD_iiiii.uses_flat_scratch, 0
	.set _ZN4vllm25paged_attention_v2_kernelIffLi112ELi32ELi128ELNS_18Fp8KVCacheDataTypeE0ELb0ELi512EEEvPfS2_PT_PKS3_PKT0_S9_ifPKiSB_iPKfiiiSD_SD_iiiii.has_dyn_sized_stack, 0
	.set _ZN4vllm25paged_attention_v2_kernelIffLi112ELi32ELi128ELNS_18Fp8KVCacheDataTypeE0ELb0ELi512EEEvPfS2_PT_PKS3_PKT0_S9_ifPKiSB_iPKfiiiSD_SD_iiiii.has_recursion, 0
	.set _ZN4vllm25paged_attention_v2_kernelIffLi112ELi32ELi128ELNS_18Fp8KVCacheDataTypeE0ELb0ELi512EEEvPfS2_PT_PKS3_PKT0_S9_ifPKiSB_iPKfiiiSD_SD_iiiii.has_indirect_call, 0
	.section	.AMDGPU.csdata,"",@progbits
; Kernel info:
; codeLenInByte = 13088
; TotalNumSgprs: 46
; NumVgprs: 128
; ScratchSize: 164
; MemoryBound: 0
; FloatMode: 240
; IeeeMode: 1
; LDSByteSize: 480 bytes/workgroup (compile time only)
; SGPRBlocks: 0
; VGPRBlocks: 15
; NumSGPRsForWavesPerEU: 46
; NumVGPRsForWavesPerEU: 128
; Occupancy: 8
; WaveLimiterHint : 1
; COMPUTE_PGM_RSRC2:SCRATCH_EN: 1
; COMPUTE_PGM_RSRC2:USER_SGPR: 6
; COMPUTE_PGM_RSRC2:TRAP_HANDLER: 0
; COMPUTE_PGM_RSRC2:TGID_X_EN: 1
; COMPUTE_PGM_RSRC2:TGID_Y_EN: 1
; COMPUTE_PGM_RSRC2:TGID_Z_EN: 1
; COMPUTE_PGM_RSRC2:TIDIG_COMP_CNT: 0
	.section	.text._ZN4vllm25paged_attention_v2_kernelIffLi120ELi32ELi128ELNS_18Fp8KVCacheDataTypeE0ELb0ELi512EEEvPfS2_PT_PKS3_PKT0_S9_ifPKiSB_iPKfiiiSD_SD_iiiii,"axG",@progbits,_ZN4vllm25paged_attention_v2_kernelIffLi120ELi32ELi128ELNS_18Fp8KVCacheDataTypeE0ELb0ELi512EEEvPfS2_PT_PKS3_PKT0_S9_ifPKiSB_iPKfiiiSD_SD_iiiii,comdat
	.protected	_ZN4vllm25paged_attention_v2_kernelIffLi120ELi32ELi128ELNS_18Fp8KVCacheDataTypeE0ELb0ELi512EEEvPfS2_PT_PKS3_PKT0_S9_ifPKiSB_iPKfiiiSD_SD_iiiii ; -- Begin function _ZN4vllm25paged_attention_v2_kernelIffLi120ELi32ELi128ELNS_18Fp8KVCacheDataTypeE0ELb0ELi512EEEvPfS2_PT_PKS3_PKT0_S9_ifPKiSB_iPKfiiiSD_SD_iiiii
	.globl	_ZN4vllm25paged_attention_v2_kernelIffLi120ELi32ELi128ELNS_18Fp8KVCacheDataTypeE0ELb0ELi512EEEvPfS2_PT_PKS3_PKT0_S9_ifPKiSB_iPKfiiiSD_SD_iiiii
	.p2align	8
	.type	_ZN4vllm25paged_attention_v2_kernelIffLi120ELi32ELi128ELNS_18Fp8KVCacheDataTypeE0ELb0ELi512EEEvPfS2_PT_PKS3_PKT0_S9_ifPKiSB_iPKfiiiSD_SD_iiiii,@function
_ZN4vllm25paged_attention_v2_kernelIffLi120ELi32ELi128ELNS_18Fp8KVCacheDataTypeE0ELb0ELi512EEEvPfS2_PT_PKS3_PKT0_S9_ifPKiSB_iPKfiiiSD_SD_iiiii: ; @_ZN4vllm25paged_attention_v2_kernelIffLi120ELi32ELi128ELNS_18Fp8KVCacheDataTypeE0ELb0ELi512EEEvPfS2_PT_PKS3_PKT0_S9_ifPKiSB_iPKfiiiSD_SD_iiiii
; %bb.0:
	s_mov_b64 s[42:43], s[2:3]
	s_mov_b64 s[40:41], s[0:1]
	s_load_dwordx2 s[0:1], s[4:5], 0x40
	s_add_u32 s40, s40, s9
	s_addc_u32 s41, s41, 0
	s_mov_b32 s24, s7
	s_ashr_i32 s25, s7, 31
	s_lshl_b64 s[2:3], s[24:25], 2
	s_waitcnt lgkmcnt(0)
	s_add_u32 s0, s0, s2
	s_addc_u32 s1, s1, s3
	s_lshl_b32 s30, s8, 9
	s_load_dword s25, s[0:1], 0x0
	s_waitcnt lgkmcnt(0)
	s_cmp_ge_i32 s30, s25
	s_cbranch_scc1 .LBB59_162
; %bb.1:
	s_clause 0x1
	s_load_dword s9, s[4:5], 0x90
	s_load_dwordx2 s[2:3], s[4:5], 0x30
	v_mov_b32_e32 v54, v0
	s_mov_b32 s33, 0
	s_waitcnt lgkmcnt(0)
	s_abs_i32 s10, s9
	s_abs_i32 s0, s2
	s_xor_b32 s2, s9, s2
	v_cvt_f32_u32_e32 v0, s0
	s_sub_i32 s7, 0, s0
	s_ashr_i32 s2, s2, 31
	v_rcp_iflag_f32_e32 v0, v0
	v_mul_f32_e32 v0, 0x4f7ffffe, v0
	v_cvt_u32_f32_e32 v0, v0
	v_readfirstlane_b32 s1, v0
	s_mul_i32 s7, s7, s1
	s_mul_hi_u32 s7, s1, s7
	s_add_i32 s1, s1, s7
	s_mul_hi_u32 s1, s10, s1
	s_mul_i32 s7, s1, s0
	s_sub_i32 s7, s10, s7
	s_add_i32 s10, s1, 1
	s_sub_i32 s11, s7, s0
	s_cmp_ge_u32 s7, s0
	s_cselect_b32 s1, s10, s1
	s_cselect_b32 s7, s11, s7
	s_add_i32 s10, s1, 1
	s_cmp_ge_u32 s7, s0
	s_cselect_b32 s0, s10, s1
	s_abs_i32 s29, s6
	s_xor_b32 s0, s0, s2
	s_sub_i32 s10, s0, s2
	s_load_dwordx2 s[0:1], s[4:5], 0x50
	s_abs_i32 s2, s10
	v_cvt_f32_u32_e32 v0, s2
	s_sub_i32 s11, 0, s2
	v_rcp_iflag_f32_e32 v0, v0
	v_mul_f32_e32 v0, 0x4f7ffffe, v0
	v_cvt_u32_f32_e32 v0, v0
	v_readfirstlane_b32 s7, v0
	s_mul_i32 s11, s11, s7
	s_mul_hi_u32 s11, s7, s11
	s_add_i32 s7, s7, s11
	s_waitcnt lgkmcnt(0)
	s_cmp_eq_u64 s[0:1], 0
	s_mul_hi_u32 s28, s29, s7
	s_cbranch_scc1 .LBB59_3
; %bb.2:
	s_ashr_i32 s7, s6, 31
	s_lshl_b64 s[12:13], s[6:7], 2
	s_add_u32 s0, s0, s12
	s_addc_u32 s1, s1, s13
	s_load_dword s33, s[0:1], 0x0
.LBB59_3:
	s_clause 0x1
	s_load_dwordx2 s[22:23], s[4:5], 0x38
	s_load_dwordx4 s[12:15], s[4:5], 0x58
	v_lshlrev_b32_e32 v11, 4, v54
	s_ashr_i32 s0, s6, 31
	s_ashr_i32 s1, s10, 31
	s_mul_i32 s10, s6, 0x78
	s_mov_b32 s7, exec_lo
	v_cmpx_gt_u32_e32 30, v54
	s_cbranch_execz .LBB59_5
; %bb.4:
	s_load_dwordx2 s[16:17], s[4:5], 0x18
	s_waitcnt lgkmcnt(0)
	s_mul_i32 s18, s12, s24
	s_ashr_i32 s19, s18, 31
	s_lshl_b64 s[18:19], s[18:19], 2
	s_add_u32 s12, s16, s18
	s_addc_u32 s15, s17, s19
	s_ashr_i32 s11, s10, 31
	s_lshl_b64 s[16:17], s[10:11], 2
	s_add_u32 s16, s12, s16
	s_addc_u32 s17, s15, s17
	global_load_dwordx4 v[0:3], v11, s[16:17]
	s_waitcnt vmcnt(0)
	ds_write_b128 v11, v[0:3]
.LBB59_5:
	s_or_b32 exec_lo, exec_lo, s7
	s_add_i32 s7, s25, 31
	s_clause 0x1
	s_load_dwordx4 s[16:19], s[4:5], 0x0
	s_load_dwordx2 s[20:21], s[4:5], 0x10
	s_ashr_i32 s11, s7, 31
	s_lshl_b32 s31, s8, 4
	s_lshr_b32 s11, s11, 27
	s_mul_i32 s34, s28, s2
	s_add_i32 s7, s7, s11
	s_add_i32 s11, s31, 16
	s_waitcnt lgkmcnt(0)
	s_ashr_i32 s12, s7, 5
	s_clause 0x2
	s_load_dwordx2 s[26:27], s[4:5], 0x28
	s_load_dword s7, s[4:5], 0x98
	s_load_dword s15, s[4:5], 0x48
	s_xor_b32 s0, s0, s1
	s_sub_i32 s1, s29, s34
	s_min_i32 s11, s11, s12
	s_add_i32 s29, s28, 1
	s_sub_i32 s34, s1, s2
	s_cmp_ge_u32 s1, s2
	v_lshrrev_b32_e32 v121, 5, v54
	s_cselect_b32 s28, s29, s28
	s_cselect_b32 s1, s34, s1
	s_add_i32 s29, s28, 1
	s_cmp_ge_u32 s1, s2
	v_add_nc_u32_e32 v9, s31, v121
	v_and_b32_e32 v122, 31, v54
	s_cselect_b32 s1, s29, s28
	v_mov_b32_e32 v126, 0xff7fffff
	s_xor_b32 s1, s1, s0
	v_ashrrev_i32_e32 v10, 31, v9
	s_sub_i32 s1, s1, s0
	v_cmp_gt_i32_e64 s0, s11, v9
	v_lshlrev_b32_e32 v12, 2, v122
	s_waitcnt lgkmcnt(0)
	s_mul_i32 s28, s15, s24
	s_mul_i32 s14, s1, s14
	s_ashr_i32 s29, s28, 31
	s_barrier
	buffer_gl0_inv
	s_mov_b32 s34, exec_lo
	s_and_b32 s1, s34, s0
	buffer_store_dword v54, off, s[40:43], 0 offset:184 ; 4-byte Folded Spill
	buffer_store_dword v121, off, s[40:43], 0 offset:188 ; 4-byte Folded Spill
	buffer_store_dword v122, off, s[40:43], 0 offset:192 ; 4-byte Folded Spill
	s_mov_b32 exec_lo, s1
	s_cbranch_execz .LBB59_9
; %bb.6:
	s_load_dwordx2 s[36:37], s[4:5], 0x20
	v_mov_b32_e32 v1, 0
	s_ashr_i32 s15, s14, 31
	v_lshlrev_b32_e32 v0, 4, v122
	s_lshl_b64 s[38:39], s[14:15], 2
	buffer_store_dword v11, off, s[40:43], 0 offset:76 ; 4-byte Folded Spill
	ds_read_b128 v[2:5], v1
	v_cmp_neq_f32_e64 vcc_lo, s33, 0
	v_mov_b32_e32 v126, 0xff7fffff
	s_mov_b32 s4, s13
	s_mov_b32 s5, 0
	s_waitcnt lgkmcnt(0)
	s_add_u32 s1, s36, s38
	s_addc_u32 s2, s37, s39
	v_add_co_u32 v0, s1, s1, v0
	s_lshl_b64 s[36:37], s[28:29], 2
	s_sub_i32 s15, 1, s25
	buffer_store_dword v0, off, s[40:43], 0 ; 4-byte Folded Spill
	v_add_co_ci_u32_e64 v0, null, s2, 0, s1
	s_add_u32 s1, s22, s36
	s_addc_u32 s2, s23, s37
	buffer_store_dword v0, off, s[40:43], 0 offset:24 ; 4-byte Folded Spill
	buffer_store_dword v2, off, s[40:43], 0 offset:28 ; 4-byte Folded Spill
	;; [unrolled: 1-line block ×5, first 2 shown]
	ds_read_b128 v[2:5], v1 offset:16
	v_lshlrev_b32_e32 v0, 5, v121
	s_waitcnt lgkmcnt(0)
	buffer_store_dword v2, off, s[40:43], 0 offset:44 ; 4-byte Folded Spill
	buffer_store_dword v3, off, s[40:43], 0 offset:48 ; 4-byte Folded Spill
	;; [unrolled: 1-line block ×4, first 2 shown]
	ds_read_b128 v[2:5], v1 offset:32
	v_add3_u32 v0, s30, v0, v122
	s_waitcnt lgkmcnt(0)
	buffer_store_dword v2, off, s[40:43], 0 offset:60 ; 4-byte Folded Spill
	buffer_store_dword v3, off, s[40:43], 0 offset:64 ; 4-byte Folded Spill
	;; [unrolled: 1-line block ×4, first 2 shown]
	ds_read_b128 v[13:16], v1 offset:48
	ds_read_b128 v[17:20], v1 offset:64
	;; [unrolled: 1-line block ×27, first 2 shown]
	v_lshl_or_b32 v1, v121, 7, v12
	buffer_store_dword v12, off, s[40:43], 0 offset:80 ; 4-byte Folded Spill
	v_add_nc_u32_e32 v125, 0x200, v1
	v_lshlrev_b64 v[1:2], 2, v[9:10]
	buffer_store_dword v9, off, s[40:43], 0 offset:16 ; 4-byte Folded Spill
	buffer_store_dword v10, off, s[40:43], 0 offset:20 ; 4-byte Folded Spill
	v_add_co_u32 v121, s1, s1, v1
	v_add_co_ci_u32_e64 v122, null, s2, v2, s1
	v_mov_b32_e32 v127, v9
.LBB59_7:                               ; =>This Inner Loop Header: Depth=1
	global_load_dword v1, v[121:122], off
	buffer_load_dword v3, off, s[40:43], 0  ; 4-byte Folded Reload
	v_add_nc_u32_e32 v127, 4, v127
	v_cmp_le_i32_e64 s2, s11, v127
	s_or_b32 s5, s2, s5
	s_waitcnt vmcnt(1)
	v_mad_i64_i32 v[1:2], null, v1, s4, 0
	v_lshlrev_b64 v[1:2], 2, v[1:2]
	s_waitcnt vmcnt(0)
	v_add_co_u32 v123, s1, v3, v1
	buffer_load_dword v1, off, s[40:43], 0 offset:24 ; 4-byte Folded Reload
	s_waitcnt vmcnt(0)
	v_add_co_ci_u32_e64 v124, null, v1, v2, s1
	global_load_dwordx4 v[1:4], v[123:124], off offset:512
	s_clause 0x3
	buffer_load_dword v5, off, s[40:43], 0 offset:44
	buffer_load_dword v6, off, s[40:43], 0 offset:48
	;; [unrolled: 1-line block ×4, first 2 shown]
	s_waitcnt vmcnt(3)
	v_mul_f32_e32 v1, v5, v1
	s_waitcnt vmcnt(2)
	v_mul_f32_e32 v2, v6, v2
	;; [unrolled: 2-line block ×4, first 2 shown]
	global_load_dwordx4 v[5:8], v[123:124], off
	s_clause 0x3
	buffer_load_dword v9, off, s[40:43], 0 offset:28
	buffer_load_dword v10, off, s[40:43], 0 offset:32
	buffer_load_dword v11, off, s[40:43], 0 offset:36
	buffer_load_dword v12, off, s[40:43], 0 offset:40
	s_waitcnt vmcnt(3)
	v_fmac_f32_e32 v1, v9, v5
	s_waitcnt vmcnt(2)
	v_fmac_f32_e32 v2, v10, v6
	s_waitcnt vmcnt(1)
	v_fmac_f32_e32 v3, v11, v7
	s_waitcnt vmcnt(0)
	v_fmac_f32_e32 v4, v12, v8
	global_load_dwordx4 v[5:8], v[123:124], off offset:1024
	s_clause 0x3
	buffer_load_dword v9, off, s[40:43], 0 offset:60
	buffer_load_dword v10, off, s[40:43], 0 offset:64
	;; [unrolled: 1-line block ×4, first 2 shown]
	s_waitcnt vmcnt(3)
	v_fmac_f32_e32 v1, v9, v5
	s_waitcnt vmcnt(2)
	v_fmac_f32_e32 v2, v10, v6
	;; [unrolled: 2-line block ×4, first 2 shown]
	global_load_dwordx4 v[5:8], v[123:124], off offset:1536
	v_add_co_u32 v9, s1, v123, 0x1000
	v_add_co_ci_u32_e64 v10, null, 0, v124, s1
	v_add_co_u32 v11, s1, 0x800, v123
	v_add_co_ci_u32_e64 v12, null, 0, v124, s1
	s_waitcnt vmcnt(0) lgkmcnt(26)
	v_fmac_f32_e32 v1, v13, v5
	v_fmac_f32_e32 v2, v14, v6
	v_fmac_f32_e32 v3, v15, v7
	v_fmac_f32_e32 v4, v16, v8
	global_load_dwordx4 v[5:8], v[9:10], off offset:-2048
	s_waitcnt vmcnt(0) lgkmcnt(25)
	v_fmac_f32_e32 v1, v17, v5
	v_fmac_f32_e32 v2, v18, v6
	v_fmac_f32_e32 v3, v19, v7
	v_fmac_f32_e32 v4, v20, v8
	global_load_dwordx4 v[5:8], v[11:12], off offset:512
	s_waitcnt vmcnt(0) lgkmcnt(24)
	v_fmac_f32_e32 v1, v21, v5
	v_fmac_f32_e32 v2, v22, v6
	v_fmac_f32_e32 v3, v23, v7
	v_fmac_f32_e32 v4, v24, v8
	global_load_dwordx4 v[5:8], v[11:12], off offset:1024
	s_waitcnt vmcnt(0) lgkmcnt(23)
	v_fmac_f32_e32 v1, v25, v5
	v_fmac_f32_e32 v2, v26, v6
	v_fmac_f32_e32 v3, v27, v7
	v_fmac_f32_e32 v4, v28, v8
	global_load_dwordx4 v[5:8], v[11:12], off offset:1536
	s_waitcnt vmcnt(0) lgkmcnt(22)
	v_fmac_f32_e32 v1, v29, v5
	v_fmac_f32_e32 v2, v30, v6
	v_fmac_f32_e32 v3, v31, v7
	v_fmac_f32_e32 v4, v32, v8
	global_load_dwordx4 v[5:8], v[9:10], off
	v_add_co_u32 v9, s1, 0x1000, v123
	v_add_co_ci_u32_e64 v10, null, 0, v124, s1
	s_waitcnt vmcnt(0) lgkmcnt(21)
	v_fmac_f32_e32 v1, v33, v5
	v_fmac_f32_e32 v2, v34, v6
	v_fmac_f32_e32 v3, v35, v7
	v_fmac_f32_e32 v4, v36, v8
	global_load_dwordx4 v[5:8], v[9:10], off offset:512
	s_waitcnt vmcnt(0) lgkmcnt(20)
	v_fmac_f32_e32 v1, v37, v5
	v_fmac_f32_e32 v2, v38, v6
	v_fmac_f32_e32 v3, v39, v7
	v_fmac_f32_e32 v4, v40, v8
	global_load_dwordx4 v[5:8], v[9:10], off offset:1024
	s_waitcnt vmcnt(0) lgkmcnt(19)
	v_fmac_f32_e32 v1, v41, v5
	v_fmac_f32_e32 v2, v42, v6
	v_fmac_f32_e32 v3, v43, v7
	v_fmac_f32_e32 v4, v44, v8
	global_load_dwordx4 v[5:8], v[9:10], off offset:1536
	v_add_co_u32 v9, s1, v123, 0x2000
	v_add_co_ci_u32_e64 v10, null, 0, v124, s1
	v_add_co_u32 v11, s1, 0x1800, v123
	v_add_co_ci_u32_e64 v12, null, 0, v124, s1
	s_waitcnt vmcnt(0) lgkmcnt(18)
	v_fmac_f32_e32 v1, v45, v5
	v_fmac_f32_e32 v2, v46, v6
	v_fmac_f32_e32 v3, v47, v7
	v_fmac_f32_e32 v4, v48, v8
	global_load_dwordx4 v[5:8], v[9:10], off offset:-2048
	s_waitcnt vmcnt(0) lgkmcnt(17)
	v_fmac_f32_e32 v1, v49, v5
	v_fmac_f32_e32 v2, v50, v6
	v_fmac_f32_e32 v3, v51, v7
	v_fmac_f32_e32 v4, v52, v8
	global_load_dwordx4 v[5:8], v[11:12], off offset:512
	s_waitcnt vmcnt(0) lgkmcnt(16)
	v_fmac_f32_e32 v1, v53, v5
	v_fmac_f32_e32 v2, v54, v6
	v_fmac_f32_e32 v3, v55, v7
	v_fmac_f32_e32 v4, v56, v8
	global_load_dwordx4 v[5:8], v[11:12], off offset:1024
	s_waitcnt vmcnt(0) lgkmcnt(15)
	v_fmac_f32_e32 v1, v57, v5
	v_fmac_f32_e32 v2, v58, v6
	v_fmac_f32_e32 v3, v59, v7
	v_fmac_f32_e32 v4, v60, v8
	global_load_dwordx4 v[5:8], v[11:12], off offset:1536
	s_waitcnt vmcnt(0) lgkmcnt(14)
	v_fmac_f32_e32 v1, v61, v5
	v_fmac_f32_e32 v2, v62, v6
	v_fmac_f32_e32 v3, v63, v7
	v_fmac_f32_e32 v4, v64, v8
	global_load_dwordx4 v[5:8], v[9:10], off
	v_add_co_u32 v9, s1, 0x2000, v123
	v_add_co_ci_u32_e64 v10, null, 0, v124, s1
	s_waitcnt vmcnt(0) lgkmcnt(13)
	v_fmac_f32_e32 v1, v65, v5
	v_fmac_f32_e32 v2, v66, v6
	v_fmac_f32_e32 v3, v67, v7
	v_fmac_f32_e32 v4, v68, v8
	global_load_dwordx4 v[5:8], v[9:10], off offset:512
	s_waitcnt vmcnt(0) lgkmcnt(12)
	v_fmac_f32_e32 v1, v69, v5
	v_fmac_f32_e32 v2, v70, v6
	v_fmac_f32_e32 v3, v71, v7
	v_fmac_f32_e32 v4, v72, v8
	global_load_dwordx4 v[5:8], v[9:10], off offset:1024
	s_waitcnt vmcnt(0) lgkmcnt(11)
	v_fmac_f32_e32 v1, v73, v5
	v_fmac_f32_e32 v2, v74, v6
	v_fmac_f32_e32 v3, v75, v7
	v_fmac_f32_e32 v4, v76, v8
	;; [unrolled: 54-line block ×3, first 2 shown]
	global_load_dwordx4 v[5:8], v[9:10], off offset:1536
	v_add_co_u32 v9, s1, 0x3800, v123
	v_add_co_ci_u32_e64 v10, null, 0, v124, s1
	v_cmp_gt_i32_e64 s1, s25, v0
	s_waitcnt vmcnt(0) lgkmcnt(2)
	v_fmac_f32_e32 v1, v109, v5
	v_fmac_f32_e32 v2, v110, v6
	;; [unrolled: 1-line block ×4, first 2 shown]
	global_load_dwordx4 v[5:8], v[9:10], off
	s_waitcnt vmcnt(0) lgkmcnt(1)
	v_fmac_f32_e32 v1, v113, v5
	v_fmac_f32_e32 v2, v114, v6
	;; [unrolled: 1-line block ×4, first 2 shown]
	global_load_dwordx4 v[5:8], v[9:10], off offset:512
	s_waitcnt vmcnt(0) lgkmcnt(0)
	v_fmac_f32_e32 v1, v117, v5
	v_fmac_f32_e32 v2, v118, v6
	;; [unrolled: 1-line block ×4, first 2 shown]
	v_add_f32_e32 v1, v1, v2
	v_add_nc_u32_e32 v2, s15, v0
	v_add_nc_u32_e32 v0, 0x80, v0
	v_add_f32_e32 v1, v3, v1
	v_cvt_f32_i32_e32 v2, v2
	v_add_f32_e32 v1, v4, v1
	v_mul_f32_e32 v2, s33, v2
	v_cndmask_b32_e32 v2, 0, v2, vcc_lo
	v_fmac_f32_e32 v2, s3, v1
	v_max_f32_e32 v1, v126, v126
	v_max_f32_e32 v1, v1, v2
	v_cndmask_b32_e64 v126, v126, v1, s1
	v_cndmask_b32_e64 v1, 0, v2, s1
	v_add_co_u32 v121, s1, v121, 16
	v_add_co_ci_u32_e64 v122, null, 0, v122, s1
	ds_write_b32 v125, v1
	v_add_nc_u32_e32 v125, 0x200, v125
	s_andn2_b32 exec_lo, exec_lo, s5
	s_cbranch_execnz .LBB59_7
; %bb.8:
	s_or_b32 exec_lo, exec_lo, s5
	s_clause 0x6
	buffer_load_dword v54, off, s[40:43], 0 offset:184
	buffer_load_dword v121, off, s[40:43], 0 offset:188
	buffer_load_dword v122, off, s[40:43], 0 offset:192
	buffer_load_dword v9, off, s[40:43], 0 offset:16
	buffer_load_dword v10, off, s[40:43], 0 offset:20
	buffer_load_dword v11, off, s[40:43], 0 offset:76
	buffer_load_dword v12, off, s[40:43], 0 offset:80
.LBB59_9:
	s_or_b32 exec_lo, exec_lo, s34
	v_mbcnt_lo_u32_b32 v0, -1, 0
	v_max_f32_e32 v4, v126, v126
	v_xor_b32_e32 v1, 16, v0
	v_xor_b32_e32 v3, 8, v0
	v_cmp_gt_i32_e32 vcc_lo, 32, v1
	v_cndmask_b32_e32 v1, v0, v1, vcc_lo
	v_cmp_gt_i32_e32 vcc_lo, 32, v3
	v_lshlrev_b32_e32 v1, 2, v1
	v_cndmask_b32_e32 v3, v0, v3, vcc_lo
	ds_bpermute_b32 v2, v1, v126
	s_waitcnt lgkmcnt(0)
	v_max_f32_e32 v5, v2, v2
	v_lshlrev_b32_e32 v2, 2, v3
	v_max_f32_e32 v3, v4, v5
	v_xor_b32_e32 v5, 4, v0
	ds_bpermute_b32 v4, v2, v3
	v_cmp_gt_i32_e32 vcc_lo, 32, v5
	v_cndmask_b32_e32 v5, v0, v5, vcc_lo
	v_lshlrev_b32_e32 v37, 2, v5
	v_xor_b32_e32 v5, 2, v0
	v_cmp_gt_i32_e32 vcc_lo, 32, v5
	s_waitcnt lgkmcnt(0)
	v_max_f32_e32 v4, v4, v4
	v_cndmask_b32_e32 v5, v0, v5, vcc_lo
	v_max_f32_e32 v3, v3, v4
	v_lshlrev_b32_e32 v46, 2, v5
	v_xor_b32_e32 v5, 1, v0
	ds_bpermute_b32 v4, v37, v3
	v_cmp_gt_i32_e32 vcc_lo, 32, v5
	v_cndmask_b32_e32 v5, v0, v5, vcc_lo
	s_waitcnt vmcnt(4)
	v_cmp_eq_u32_e32 vcc_lo, 0, v122
	v_lshlrev_b32_e32 v53, 2, v5
	s_waitcnt lgkmcnt(0)
	v_max_f32_e32 v4, v4, v4
	v_max_f32_e32 v3, v3, v4
	ds_bpermute_b32 v4, v46, v3
	s_waitcnt lgkmcnt(0)
	v_max_f32_e32 v4, v4, v4
	v_max_f32_e32 v0, v3, v4
	v_lshlrev_b32_e32 v4, 2, v121
	ds_bpermute_b32 v3, v53, v0
	s_and_saveexec_b32 s1, vcc_lo
	s_cbranch_execz .LBB59_11
; %bb.10:
	s_waitcnt lgkmcnt(0)
	v_max_f32_e32 v3, v3, v3
	v_max_f32_e32 v0, v0, v0
	;; [unrolled: 1-line block ×3, first 2 shown]
	ds_write_b32 v4, v0 offset:480
.LBB59_11:
	s_or_b32 exec_lo, exec_lo, s1
	v_cmp_gt_u32_e64 s1, 4, v122
	v_mov_b32_e32 v0, 0xff7fffff
	s_waitcnt vmcnt(0) lgkmcnt(0)
	s_waitcnt_vscnt null, 0x0
	s_barrier
	buffer_gl0_inv
	s_and_saveexec_b32 s2, s1
; %bb.12:
	ds_read_b32 v0, v12 offset:480
; %bb.13:
	s_or_b32 exec_lo, exec_lo, s2
	s_waitcnt lgkmcnt(0)
	ds_bpermute_b32 v3, v46, v0
	v_max_f32_e32 v0, v0, v0
	v_mov_b32_e32 v5, 0
	s_sub_i32 s2, s11, s31
	s_lshl_b32 s2, s2, 5
	s_add_i32 s2, s2, s30
	s_min_i32 s2, s2, s25
	s_sub_i32 s4, s2, s30
	v_cmp_gt_i32_e64 s2, s4, v54
	s_waitcnt lgkmcnt(0)
	v_max_f32_e32 v3, v3, v3
	v_max_f32_e32 v0, v0, v3
	ds_bpermute_b32 v3, v53, v0
	s_waitcnt lgkmcnt(0)
	v_max_f32_e32 v3, v3, v3
	v_max_f32_e32 v0, v0, v3
	v_lshl_add_u32 v3, v54, 2, 0x200
	ds_bpermute_b32 v0, v5, v0
	s_and_saveexec_b32 s5, s2
	s_cbranch_execz .LBB59_17
; %bb.14:
	v_lshl_add_u32 v6, v54, 2, 0x200
	v_mov_b32_e32 v5, 0
	v_mov_b32_e32 v7, v54
	s_mov_b32 s15, 0
	.p2align	6
.LBB59_15:                              ; =>This Inner Loop Header: Depth=1
	ds_read_b32 v8, v6
	v_add_nc_u32_e32 v7, 0x80, v7
	v_cmp_le_i32_e64 s3, s4, v7
	s_or_b32 s15, s3, s15
	s_waitcnt lgkmcnt(0)
	v_sub_f32_e32 v8, v8, v0
	v_mul_f32_e32 v8, 0x3fb8aa3b, v8
	v_exp_f32_e32 v8, v8
	ds_write_b32 v6, v8
	v_add_f32_e32 v5, v5, v8
	v_add_nc_u32_e32 v6, 0x200, v6
	s_andn2_b32 exec_lo, exec_lo, s15
	s_cbranch_execnz .LBB59_15
; %bb.16:
	s_or_b32 exec_lo, exec_lo, s15
.LBB59_17:
	s_or_b32 exec_lo, exec_lo, s5
	ds_bpermute_b32 v1, v1, v5
	s_waitcnt lgkmcnt(0)
	v_add_f32_e32 v1, v5, v1
	ds_bpermute_b32 v2, v2, v1
	s_waitcnt lgkmcnt(0)
	v_add_f32_e32 v1, v1, v2
	ds_bpermute_b32 v2, v37, v1
	s_waitcnt lgkmcnt(0)
	v_add_f32_e32 v1, v1, v2
	ds_bpermute_b32 v2, v46, v1
	s_waitcnt lgkmcnt(0)
	v_add_f32_e32 v1, v1, v2
	ds_bpermute_b32 v2, v53, v1
	s_waitcnt lgkmcnt(0)
	v_add_f32_e32 v1, v1, v2
	s_and_saveexec_b32 s3, vcc_lo
; %bb.18:
	ds_write_b32 v4, v1 offset:496
; %bb.19:
	s_or_b32 exec_lo, exec_lo, s3
	s_waitcnt lgkmcnt(0)
	s_barrier
	buffer_gl0_inv
	s_and_saveexec_b32 s3, s1
; %bb.20:
	ds_read_b32 v1, v12 offset:496
; %bb.21:
	s_or_b32 exec_lo, exec_lo, s3
	s_waitcnt lgkmcnt(0)
	ds_bpermute_b32 v2, v46, v1
	s_waitcnt lgkmcnt(0)
	v_add_f32_e32 v1, v1, v2
	ds_bpermute_b32 v2, v53, v1
	s_waitcnt lgkmcnt(0)
	v_add_f32_e32 v1, v1, v2
	v_mov_b32_e32 v2, 0
	ds_bpermute_b32 v1, v2, v1
	s_and_saveexec_b32 s1, s2
	s_cbranch_execz .LBB59_24
; %bb.22:
	s_waitcnt lgkmcnt(0)
	v_add_f32_e32 v2, 0x358637bd, v1
	s_mov_b32 s2, 0
	v_div_scale_f32 v4, null, v2, v2, 1.0
	v_div_scale_f32 v7, vcc_lo, 1.0, v2, 1.0
	v_rcp_f32_e32 v5, v4
	v_fma_f32 v6, -v4, v5, 1.0
	v_fmac_f32_e32 v5, v6, v5
	v_mul_f32_e32 v6, v7, v5
	v_fma_f32 v8, -v4, v6, v7
	v_fmac_f32_e32 v6, v8, v5
	v_fma_f32 v4, -v4, v6, v7
	v_div_fmas_f32 v4, v4, v5, v6
	v_div_fixup_f32 v2, v4, v2, 1.0
	v_mov_b32_e32 v4, v54
.LBB59_23:                              ; =>This Inner Loop Header: Depth=1
	ds_read_b32 v5, v3
	v_add_nc_u32_e32 v4, 0x80, v4
	v_cmp_le_i32_e32 vcc_lo, s4, v4
	s_or_b32 s2, vcc_lo, s2
	s_waitcnt lgkmcnt(0)
	v_mul_f32_e32 v5, v2, v5
	ds_write_b32 v3, v5
	v_add_nc_u32_e32 v3, 0x200, v3
	s_andn2_b32 exec_lo, exec_lo, s2
	s_cbranch_execnz .LBB59_23
.LBB59_24:
	s_or_b32 exec_lo, exec_lo, s1
	s_mul_i32 s1, s7, s24
	s_waitcnt lgkmcnt(0)
	s_mul_i32 s2, s1, s9
	s_mov_b32 s1, exec_lo
	s_barrier
	buffer_gl0_inv
	v_cmpx_eq_u32_e32 0, v54
	s_cbranch_execz .LBB59_26
; %bb.25:
	s_ashr_i32 s3, s2, 31
	s_mul_i32 s34, s7, s6
	s_lshl_b64 s[4:5], s[2:3], 2
	v_mov_b32_e32 v2, 0
	s_add_u32 s3, s18, s4
	s_addc_u32 s6, s19, s5
	s_ashr_i32 s35, s34, 31
	s_lshl_b64 s[18:19], s[34:35], 2
	s_add_u32 s3, s3, s18
	s_addc_u32 s6, s6, s19
	s_ashr_i32 s9, s8, 31
	s_lshl_b64 s[34:35], s[8:9], 2
	s_add_u32 s36, s3, s34
	s_addc_u32 s37, s6, s35
	s_add_u32 s3, s16, s4
	s_addc_u32 s4, s17, s5
	;; [unrolled: 2-line block ×4, first 2 shown]
	global_store_dword v2, v0, s[36:37]
	global_store_dword v2, v1, s[4:5]
.LBB59_26:
	s_or_b32 exec_lo, exec_lo, s1
	v_mov_b32_e32 v19, 0
	v_and_b32_e32 v55, 7, v54
	v_mov_b32_e32 v22, 0
	v_mov_b32_e32 v6, 0
	v_mov_b32_e32 v18, 0
	v_mov_b32_e32 v17, 0
	v_mov_b32_e32 v5, 0
	v_mov_b32_e32 v15, 0
	v_mov_b32_e32 v14, 0
	v_mov_b32_e32 v13, 0
	v_mov_b32_e32 v21, 0
	v_mov_b32_e32 v31, 0
	v_mov_b32_e32 v30, 0
	v_mov_b32_e32 v29, 0
	v_mov_b32_e32 v27, 0
	v_mov_b32_e32 v28, 0
	v_mov_b32_e32 v36, 0
	v_mov_b32_e32 v34, 0
	v_mov_b32_e32 v32, 0
	v_mov_b32_e32 v33, 0
	v_mov_b32_e32 v35, 0
	v_mov_b32_e32 v38, 0
	v_mov_b32_e32 v39, 0
	v_mov_b32_e32 v40, 0
	v_mov_b32_e32 v44, 0
	v_mov_b32_e32 v43, 0
	v_mov_b32_e32 v41, 0
	v_mov_b32_e32 v42, 0
	v_mov_b32_e32 v45, 0
	v_mov_b32_e32 v48, 0
	v_mov_b32_e32 v47, 0
	s_and_saveexec_b32 s1, s0
	s_cbranch_execz .LBB59_90
; %bb.27:
	s_ashr_i32 s15, s14, 31
	v_lshlrev_b32_e32 v1, 4, v55
	v_and_b32_e32 v2, 0x1f0, v11
	s_lshl_b64 s[4:5], s[14:15], 2
	v_lshlrev_b32_e32 v0, 2, v54
	s_add_u32 s0, s26, s4
	v_lshl_or_b32 v4, v121, 7, v1
	v_add_co_u32 v1, s0, s0, v2
	s_addc_u32 s4, s27, s5
	buffer_store_dword v37, off, s[40:43], 0 offset:204 ; 4-byte Folded Spill
	buffer_store_dword v46, off, s[40:43], 0 offset:200 ; 4-byte Folded Spill
	;; [unrolled: 1-line block ×3, first 2 shown]
	v_and_b32_e32 v0, 28, v0
	v_lshl_add_u32 v3, v121, 5, s30
	buffer_store_dword v1, off, s[40:43], 0 offset:176 ; 4-byte Folded Spill
	v_add_co_ci_u32_e64 v1, null, s4, 0, s0
	s_lshl_b64 s[4:5], s[28:29], 2
	v_add3_u32 v125, v3, v0, 3
	s_add_i32 s3, s12, -1
	buffer_store_dword v1, off, s[40:43], 0 offset:180 ; 4-byte Folded Spill
	v_lshlrev_b64 v[0:1], 2, v[9:10]
	s_add_u32 s0, s22, s4
	s_addc_u32 s4, s23, s5
	v_mov_b32_e32 v47, 0
	v_add_nc_u32_e32 v3, 0x200, v4
	v_mov_b32_e32 v5, 0
	v_add_co_u32 v126, vcc_lo, s0, v0
	v_mov_b32_e32 v0, 0
	v_add_co_ci_u32_e64 v127, null, s4, v1, vcc_lo
	v_mov_b32_e32 v6, 0
	v_mov_b32_e32 v7, 0
	buffer_store_dword v0, off, s[40:43], 0 offset:24 ; 4-byte Folded Spill
	v_mov_b32_e32 v0, 0
	v_mov_b32_e32 v8, 0
	s_mov_b32 s5, s13
	s_mov_b32 s4, 0
	buffer_store_dword v55, off, s[40:43], 0 offset:208 ; 4-byte Folded Spill
	buffer_store_dword v0, off, s[40:43], 0 offset:28 ; 4-byte Folded Spill
	v_mov_b32_e32 v0, 0
	buffer_store_dword v0, off, s[40:43], 0 offset:44 ; 4-byte Folded Spill
	v_mov_b32_e32 v0, 0
	buffer_store_dword v0, off, s[40:43], 0 offset:60 ; 4-byte Folded Spill
	v_mov_b32_e32 v0, 0
	buffer_store_dword v0, off, s[40:43], 0 offset:76 ; 4-byte Folded Spill
	v_mov_b32_e32 v0, 0
	buffer_store_dword v0, off, s[40:43], 0 offset:80 ; 4-byte Folded Spill
	v_mov_b32_e32 v0, 0
	buffer_store_dword v0, off, s[40:43], 0 offset:84 ; 4-byte Folded Spill
	v_mov_b32_e32 v0, 0
	buffer_store_dword v0, off, s[40:43], 0 offset:88 ; 4-byte Folded Spill
	v_mov_b32_e32 v0, 0
	buffer_store_dword v0, off, s[40:43], 0 offset:92 ; 4-byte Folded Spill
	v_mov_b32_e32 v0, 0
	buffer_store_dword v0, off, s[40:43], 0 offset:96 ; 4-byte Folded Spill
	v_mov_b32_e32 v0, 0
	buffer_store_dword v0, off, s[40:43], 0 offset:100 ; 4-byte Folded Spill
	v_mov_b32_e32 v0, 0
	buffer_store_dword v0, off, s[40:43], 0 offset:104 ; 4-byte Folded Spill
	v_mov_b32_e32 v0, 0
	buffer_store_dword v0, off, s[40:43], 0 offset:108 ; 4-byte Folded Spill
	v_mov_b32_e32 v0, 0
	buffer_store_dword v0, off, s[40:43], 0 offset:112 ; 4-byte Folded Spill
	v_mov_b32_e32 v0, 0
	buffer_store_dword v0, off, s[40:43], 0 offset:116 ; 4-byte Folded Spill
	v_mov_b32_e32 v0, 0
	buffer_store_dword v0, off, s[40:43], 0 offset:120 ; 4-byte Folded Spill
	v_mov_b32_e32 v0, 0
	buffer_store_dword v0, off, s[40:43], 0 offset:124 ; 4-byte Folded Spill
	v_mov_b32_e32 v0, 0
	buffer_store_dword v0, off, s[40:43], 0 offset:128 ; 4-byte Folded Spill
	v_mov_b32_e32 v0, 0
	buffer_store_dword v0, off, s[40:43], 0 offset:132 ; 4-byte Folded Spill
	v_mov_b32_e32 v0, 0
	buffer_store_dword v0, off, s[40:43], 0 offset:136 ; 4-byte Folded Spill
	v_mov_b32_e32 v0, 0
	buffer_store_dword v0, off, s[40:43], 0 offset:140 ; 4-byte Folded Spill
	v_mov_b32_e32 v0, 0
	buffer_store_dword v0, off, s[40:43], 0 offset:144 ; 4-byte Folded Spill
	v_mov_b32_e32 v0, 0
	buffer_store_dword v0, off, s[40:43], 0 offset:148 ; 4-byte Folded Spill
	v_mov_b32_e32 v0, 0
	buffer_store_dword v0, off, s[40:43], 0 offset:152 ; 4-byte Folded Spill
	v_mov_b32_e32 v0, 0
	buffer_store_dword v0, off, s[40:43], 0 offset:156 ; 4-byte Folded Spill
	s_branch .LBB59_29
.LBB59_28:                              ;   in Loop: Header=BB59_29 Depth=1
	s_or_b32 exec_lo, exec_lo, s0
	s_clause 0x1
	buffer_load_dword v5, off, s[40:43], 0 offset:24
	buffer_load_dword v6, off, s[40:43], 0 offset:152
	s_waitcnt vmcnt(3) lgkmcnt(0)
	v_mul_f32_e32 v0, v1, v121
	v_add_co_u32 v126, vcc_lo, v126, 16
	v_add_co_ci_u32_e64 v127, null, 0, v127, vcc_lo
	v_fmac_f32_e32 v0, v2, v122
	v_add_nc_u32_e32 v125, 0x80, v125
	v_fmac_f32_e32 v0, v3, v123
	v_fmac_f32_e32 v0, v4, v124
	s_waitcnt vmcnt(1)
	v_add_f32_e32 v5, v5, v0
	v_mul_f32_e32 v0, v1, v117
	buffer_store_dword v5, off, s[40:43], 0 offset:24 ; 4-byte Folded Spill
	buffer_load_dword v5, off, s[40:43], 0 offset:28 ; 4-byte Folded Reload
	v_fmac_f32_e32 v0, v2, v118
	v_fmac_f32_e32 v0, v3, v119
	v_fmac_f32_e32 v0, v4, v120
	s_waitcnt vmcnt(0)
	v_add_f32_e32 v5, v5, v0
	v_mul_f32_e32 v0, v1, v113
	buffer_store_dword v5, off, s[40:43], 0 offset:28 ; 4-byte Folded Spill
	buffer_load_dword v5, off, s[40:43], 0 offset:44 ; 4-byte Folded Reload
	v_fmac_f32_e32 v0, v2, v114
	;; [unrolled: 8-line block ×23, first 2 shown]
	v_fmac_f32_e32 v0, v3, v27
	v_fmac_f32_e32 v0, v4, v28
	s_waitcnt vmcnt(0)
	v_add_f32_e32 v5, v5, v0
	v_mul_f32_e32 v0, v1, v21
	v_fmac_f32_e32 v0, v2, v22
	v_fmac_f32_e32 v0, v3, v23
	;; [unrolled: 1-line block ×3, first 2 shown]
	v_add_f32_e32 v6, v6, v0
	v_mul_f32_e32 v0, v1, v17
	buffer_store_dword v6, off, s[40:43], 0 offset:152 ; 4-byte Folded Spill
	buffer_load_dword v6, off, s[40:43], 0 offset:156 ; 4-byte Folded Reload
	v_fmac_f32_e32 v0, v2, v18
	v_fmac_f32_e32 v0, v3, v19
	;; [unrolled: 1-line block ×3, first 2 shown]
	s_waitcnt vmcnt(0)
	v_add_f32_e32 v6, v6, v0
	v_mul_f32_e32 v0, v1, v13
	buffer_store_dword v6, off, s[40:43], 0 offset:156 ; 4-byte Folded Spill
	buffer_load_dword v6, off, s[40:43], 0 offset:168 ; 4-byte Folded Reload
	v_fmac_f32_e32 v0, v2, v14
	v_fmac_f32_e32 v0, v3, v15
	;; [unrolled: 1-line block ×3, first 2 shown]
	s_waitcnt vmcnt(0)
	v_add_f32_e32 v6, v6, v0
	v_mul_f32_e32 v0, v1, v9
	v_fmac_f32_e32 v0, v2, v10
	v_fmac_f32_e32 v0, v3, v11
	;; [unrolled: 1-line block ×3, first 2 shown]
	s_clause 0x4
	buffer_load_dword v9, off, s[40:43], 0
	buffer_load_dword v10, off, s[40:43], 0 offset:4
	buffer_load_dword v11, off, s[40:43], 0 offset:8
	buffer_load_dword v12, off, s[40:43], 0 offset:12
	buffer_load_dword v47, off, s[40:43], 0 offset:160
	v_add_f32_e32 v7, v7, v0
	s_waitcnt vmcnt(4)
	v_mul_f32_e32 v0, v1, v9
	s_waitcnt vmcnt(3)
	v_fmac_f32_e32 v0, v2, v10
	s_clause 0x1
	buffer_load_dword v9, off, s[40:43], 0 offset:16
	buffer_load_dword v10, off, s[40:43], 0 offset:20
	s_waitcnt vmcnt(4)
	v_fmac_f32_e32 v0, v3, v11
	s_waitcnt vmcnt(3)
	v_fmac_f32_e32 v0, v4, v12
	v_add_f32_e32 v8, v8, v0
	v_mul_f32_e32 v0, v1, v89
	v_fmac_f32_e32 v0, v2, v90
	v_fmac_f32_e32 v0, v3, v91
	buffer_load_dword v3, off, s[40:43], 0 offset:172 ; 4-byte Folded Reload
	v_fmac_f32_e32 v0, v4, v92
	s_waitcnt vmcnt(3)
	v_add_f32_e32 v47, v47, v0
	s_waitcnt vmcnt(2)
	v_add_nc_u32_e32 v9, 4, v9
	v_cmp_le_i32_e32 vcc_lo, s11, v9
	s_or_b32 s4, vcc_lo, s4
	s_waitcnt vmcnt(0)
	v_add_nc_u32_e32 v3, 0x200, v3
	s_andn2_b32 exec_lo, exec_lo, s4
	s_cbranch_execz .LBB59_89
.LBB59_29:                              ; =>This Inner Loop Header: Depth=1
	buffer_store_dword v6, off, s[40:43], 0 offset:168 ; 4-byte Folded Spill
	buffer_store_dword v5, off, s[40:43], 0 offset:164 ; 4-byte Folded Spill
	;; [unrolled: 1-line block ×3, first 2 shown]
	global_load_dword v0, v[126:127], off
	buffer_load_dword v2, off, s[40:43], 0 offset:176 ; 4-byte Folded Reload
	v_mov_b32_e32 v5, v9
	s_waitcnt vmcnt(1)
	v_mad_i64_i32 v[0:1], null, v0, s5, 0
	v_lshlrev_b64 v[0:1], 2, v[0:1]
	s_waitcnt vmcnt(0)
	v_add_co_u32 v89, vcc_lo, v2, v0
	buffer_load_dword v0, off, s[40:43], 0 offset:180 ; 4-byte Folded Reload
	s_waitcnt vmcnt(0)
	v_add_co_ci_u32_e64 v90, null, v0, v1, vcc_lo
	v_add_nc_u32_e32 v0, -3, v125
	v_cmp_eq_u32_e32 vcc_lo, s3, v9
	global_load_dwordx4 v[10:13], v[89:90], off
	s_waitcnt vmcnt(0)
	buffer_store_dword v10, off, s[40:43], 0 ; 4-byte Folded Spill
	buffer_store_dword v11, off, s[40:43], 0 offset:4 ; 4-byte Folded Spill
	buffer_store_dword v12, off, s[40:43], 0 offset:8 ; 4-byte Folded Spill
	;; [unrolled: 1-line block ×4, first 2 shown]
	ds_read_b128 v[1:4], v3
	buffer_store_dword v5, off, s[40:43], 0 offset:16 ; 4-byte Folded Spill
	buffer_store_dword v6, off, s[40:43], 0 offset:20 ; 4-byte Folded Spill
	v_add_nc_u32_e32 v6, -2, v125
	v_add_nc_u32_e32 v5, -1, v125
	s_and_saveexec_b32 s6, vcc_lo
	s_cbranch_execnz .LBB59_68
; %bb.30:                               ;   in Loop: Header=BB59_29 Depth=1
	s_or_b32 exec_lo, exec_lo, s6
	global_load_dwordx4 v[9:12], v[89:90], off offset:512
	s_and_saveexec_b32 s6, vcc_lo
	s_cbranch_execnz .LBB59_69
.LBB59_31:                              ;   in Loop: Header=BB59_29 Depth=1
	s_or_b32 exec_lo, exec_lo, s6
	global_load_dwordx4 v[13:16], v[89:90], off offset:1024
	s_and_saveexec_b32 s6, vcc_lo
	s_cbranch_execnz .LBB59_70
.LBB59_32:                              ;   in Loop: Header=BB59_29 Depth=1
	s_or_b32 exec_lo, exec_lo, s6
	global_load_dwordx4 v[17:20], v[89:90], off offset:1536
	s_and_saveexec_b32 s6, vcc_lo
	s_cbranch_execz .LBB59_34
.LBB59_33:                              ;   in Loop: Header=BB59_29 Depth=1
	v_cmp_gt_i32_e64 s0, s25, v0
	s_waitcnt vmcnt(0)
	v_cndmask_b32_e64 v17, 0, v17, s0
	v_cmp_gt_i32_e64 s0, s25, v6
	v_cndmask_b32_e64 v18, 0, v18, s0
	v_cmp_gt_i32_e64 s0, s25, v5
	;; [unrolled: 2-line block ×3, first 2 shown]
	v_cndmask_b32_e64 v20, 0, v20, s0
.LBB59_34:                              ;   in Loop: Header=BB59_29 Depth=1
	s_or_b32 exec_lo, exec_lo, s6
	v_add_co_u32 v33, s0, 0x800, v89
	v_add_co_ci_u32_e64 v34, null, 0, v90, s0
	global_load_dwordx4 v[21:24], v[33:34], off
	s_and_saveexec_b32 s6, vcc_lo
	s_cbranch_execnz .LBB59_71
; %bb.35:                               ;   in Loop: Header=BB59_29 Depth=1
	s_or_b32 exec_lo, exec_lo, s6
	global_load_dwordx4 v[25:28], v[33:34], off offset:512
	s_and_saveexec_b32 s6, vcc_lo
	s_cbranch_execnz .LBB59_72
.LBB59_36:                              ;   in Loop: Header=BB59_29 Depth=1
	s_or_b32 exec_lo, exec_lo, s6
	global_load_dwordx4 v[29:32], v[33:34], off offset:1024
	s_and_saveexec_b32 s6, vcc_lo
	s_cbranch_execnz .LBB59_73
.LBB59_37:                              ;   in Loop: Header=BB59_29 Depth=1
	s_or_b32 exec_lo, exec_lo, s6
	global_load_dwordx4 v[33:36], v[33:34], off offset:1536
	s_and_saveexec_b32 s6, vcc_lo
	s_cbranch_execz .LBB59_39
.LBB59_38:                              ;   in Loop: Header=BB59_29 Depth=1
	v_cmp_gt_i32_e64 s0, s25, v0
	s_waitcnt vmcnt(0)
	v_cndmask_b32_e64 v33, 0, v33, s0
	v_cmp_gt_i32_e64 s0, s25, v6
	v_cndmask_b32_e64 v34, 0, v34, s0
	v_cmp_gt_i32_e64 s0, s25, v5
	;; [unrolled: 2-line block ×3, first 2 shown]
	v_cndmask_b32_e64 v36, 0, v36, s0
.LBB59_39:                              ;   in Loop: Header=BB59_29 Depth=1
	s_or_b32 exec_lo, exec_lo, s6
	v_add_co_u32 v49, s0, 0x1000, v89
	v_add_co_ci_u32_e64 v50, null, 0, v90, s0
	global_load_dwordx4 v[37:40], v[49:50], off
	s_and_saveexec_b32 s6, vcc_lo
	s_cbranch_execnz .LBB59_74
; %bb.40:                               ;   in Loop: Header=BB59_29 Depth=1
	s_or_b32 exec_lo, exec_lo, s6
	global_load_dwordx4 v[41:44], v[49:50], off offset:512
	s_and_saveexec_b32 s6, vcc_lo
	s_cbranch_execnz .LBB59_75
.LBB59_41:                              ;   in Loop: Header=BB59_29 Depth=1
	s_or_b32 exec_lo, exec_lo, s6
	global_load_dwordx4 v[45:48], v[49:50], off offset:1024
	s_and_saveexec_b32 s6, vcc_lo
	s_cbranch_execnz .LBB59_76
.LBB59_42:                              ;   in Loop: Header=BB59_29 Depth=1
	s_or_b32 exec_lo, exec_lo, s6
	global_load_dwordx4 v[49:52], v[49:50], off offset:1536
	s_and_saveexec_b32 s6, vcc_lo
	s_cbranch_execz .LBB59_44
.LBB59_43:                              ;   in Loop: Header=BB59_29 Depth=1
	v_cmp_gt_i32_e64 s0, s25, v0
	s_waitcnt vmcnt(0)
	v_cndmask_b32_e64 v49, 0, v49, s0
	v_cmp_gt_i32_e64 s0, s25, v6
	v_cndmask_b32_e64 v50, 0, v50, s0
	v_cmp_gt_i32_e64 s0, s25, v5
	;; [unrolled: 2-line block ×3, first 2 shown]
	v_cndmask_b32_e64 v52, 0, v52, s0
.LBB59_44:                              ;   in Loop: Header=BB59_29 Depth=1
	s_or_b32 exec_lo, exec_lo, s6
	v_add_co_u32 v65, s0, 0x1800, v89
	v_add_co_ci_u32_e64 v66, null, 0, v90, s0
	global_load_dwordx4 v[53:56], v[65:66], off
	s_and_saveexec_b32 s6, vcc_lo
	s_cbranch_execnz .LBB59_77
; %bb.45:                               ;   in Loop: Header=BB59_29 Depth=1
	s_or_b32 exec_lo, exec_lo, s6
	global_load_dwordx4 v[57:60], v[65:66], off offset:512
	s_and_saveexec_b32 s6, vcc_lo
	s_cbranch_execnz .LBB59_78
.LBB59_46:                              ;   in Loop: Header=BB59_29 Depth=1
	s_or_b32 exec_lo, exec_lo, s6
	global_load_dwordx4 v[61:64], v[65:66], off offset:1024
	s_and_saveexec_b32 s6, vcc_lo
	s_cbranch_execnz .LBB59_79
.LBB59_47:                              ;   in Loop: Header=BB59_29 Depth=1
	s_or_b32 exec_lo, exec_lo, s6
	global_load_dwordx4 v[65:68], v[65:66], off offset:1536
	s_and_saveexec_b32 s6, vcc_lo
	s_cbranch_execz .LBB59_49
.LBB59_48:                              ;   in Loop: Header=BB59_29 Depth=1
	v_cmp_gt_i32_e64 s0, s25, v0
	s_waitcnt vmcnt(0)
	v_cndmask_b32_e64 v65, 0, v65, s0
	v_cmp_gt_i32_e64 s0, s25, v6
	v_cndmask_b32_e64 v66, 0, v66, s0
	v_cmp_gt_i32_e64 s0, s25, v5
	v_cndmask_b32_e64 v67, 0, v67, s0
	v_cmp_gt_i32_e64 s0, s25, v125
	v_cndmask_b32_e64 v68, 0, v68, s0
.LBB59_49:                              ;   in Loop: Header=BB59_29 Depth=1
	s_or_b32 exec_lo, exec_lo, s6
	v_add_co_u32 v81, s0, 0x2000, v89
	v_add_co_ci_u32_e64 v82, null, 0, v90, s0
	global_load_dwordx4 v[69:72], v[81:82], off
	s_and_saveexec_b32 s6, vcc_lo
	s_cbranch_execnz .LBB59_80
; %bb.50:                               ;   in Loop: Header=BB59_29 Depth=1
	s_or_b32 exec_lo, exec_lo, s6
	global_load_dwordx4 v[73:76], v[81:82], off offset:512
	s_and_saveexec_b32 s6, vcc_lo
	s_cbranch_execnz .LBB59_81
.LBB59_51:                              ;   in Loop: Header=BB59_29 Depth=1
	s_or_b32 exec_lo, exec_lo, s6
	global_load_dwordx4 v[77:80], v[81:82], off offset:1024
	s_and_saveexec_b32 s6, vcc_lo
	s_cbranch_execnz .LBB59_82
.LBB59_52:                              ;   in Loop: Header=BB59_29 Depth=1
	s_or_b32 exec_lo, exec_lo, s6
	global_load_dwordx4 v[81:84], v[81:82], off offset:1536
	s_and_saveexec_b32 s6, vcc_lo
	s_cbranch_execz .LBB59_54
.LBB59_53:                              ;   in Loop: Header=BB59_29 Depth=1
	v_cmp_gt_i32_e64 s0, s25, v0
	s_waitcnt vmcnt(0)
	v_cndmask_b32_e64 v81, 0, v81, s0
	v_cmp_gt_i32_e64 s0, s25, v6
	v_cndmask_b32_e64 v82, 0, v82, s0
	v_cmp_gt_i32_e64 s0, s25, v5
	;; [unrolled: 2-line block ×3, first 2 shown]
	v_cndmask_b32_e64 v84, 0, v84, s0
.LBB59_54:                              ;   in Loop: Header=BB59_29 Depth=1
	s_or_b32 exec_lo, exec_lo, s6
	v_add_co_u32 v91, s0, 0x2800, v89
	v_add_co_ci_u32_e64 v92, null, 0, v90, s0
	global_load_dwordx4 v[85:88], v[91:92], off
	s_and_saveexec_b32 s6, vcc_lo
	s_cbranch_execnz .LBB59_83
; %bb.55:                               ;   in Loop: Header=BB59_29 Depth=1
	s_or_b32 exec_lo, exec_lo, s6
	global_load_dwordx4 v[93:96], v[91:92], off offset:512
	s_and_saveexec_b32 s6, vcc_lo
	s_cbranch_execnz .LBB59_84
.LBB59_56:                              ;   in Loop: Header=BB59_29 Depth=1
	s_or_b32 exec_lo, exec_lo, s6
	global_load_dwordx4 v[97:100], v[91:92], off offset:1024
	s_and_saveexec_b32 s6, vcc_lo
	s_cbranch_execnz .LBB59_85
.LBB59_57:                              ;   in Loop: Header=BB59_29 Depth=1
	s_or_b32 exec_lo, exec_lo, s6
	global_load_dwordx4 v[101:104], v[91:92], off offset:1536
	s_and_saveexec_b32 s6, vcc_lo
	s_cbranch_execz .LBB59_59
.LBB59_58:                              ;   in Loop: Header=BB59_29 Depth=1
	v_cmp_gt_i32_e64 s0, s25, v0
	s_waitcnt vmcnt(0)
	v_cndmask_b32_e64 v101, 0, v101, s0
	v_cmp_gt_i32_e64 s0, s25, v6
	v_cndmask_b32_e64 v102, 0, v102, s0
	v_cmp_gt_i32_e64 s0, s25, v5
	;; [unrolled: 2-line block ×3, first 2 shown]
	v_cndmask_b32_e64 v104, 0, v104, s0
.LBB59_59:                              ;   in Loop: Header=BB59_29 Depth=1
	s_or_b32 exec_lo, exec_lo, s6
	v_add_co_u32 v91, s0, 0x3000, v89
	v_add_co_ci_u32_e64 v92, null, 0, v90, s0
	global_load_dwordx4 v[105:108], v[91:92], off
	s_and_saveexec_b32 s6, vcc_lo
	s_cbranch_execnz .LBB59_86
; %bb.60:                               ;   in Loop: Header=BB59_29 Depth=1
	s_or_b32 exec_lo, exec_lo, s6
	global_load_dwordx4 v[109:112], v[91:92], off offset:512
	s_and_saveexec_b32 s6, vcc_lo
	s_cbranch_execnz .LBB59_87
.LBB59_61:                              ;   in Loop: Header=BB59_29 Depth=1
	s_or_b32 exec_lo, exec_lo, s6
	global_load_dwordx4 v[113:116], v[91:92], off offset:1024
	s_and_saveexec_b32 s6, vcc_lo
	s_cbranch_execnz .LBB59_88
.LBB59_62:                              ;   in Loop: Header=BB59_29 Depth=1
	s_or_b32 exec_lo, exec_lo, s6
	global_load_dwordx4 v[117:120], v[91:92], off offset:1536
	s_and_saveexec_b32 s6, vcc_lo
	s_cbranch_execz .LBB59_64
.LBB59_63:                              ;   in Loop: Header=BB59_29 Depth=1
	v_cmp_gt_i32_e64 s0, s25, v0
	s_waitcnt vmcnt(0)
	v_cndmask_b32_e64 v117, 0, v117, s0
	v_cmp_gt_i32_e64 s0, s25, v6
	v_cndmask_b32_e64 v118, 0, v118, s0
	v_cmp_gt_i32_e64 s0, s25, v5
	;; [unrolled: 2-line block ×3, first 2 shown]
	v_cndmask_b32_e64 v120, 0, v120, s0
.LBB59_64:                              ;   in Loop: Header=BB59_29 Depth=1
	s_or_b32 exec_lo, exec_lo, s6
	v_add_co_u32 v89, s0, 0x3800, v89
	v_add_co_ci_u32_e64 v90, null, 0, v90, s0
	global_load_dwordx4 v[121:124], v[89:90], off
	s_and_saveexec_b32 s6, vcc_lo
	s_cbranch_execz .LBB59_66
; %bb.65:                               ;   in Loop: Header=BB59_29 Depth=1
	v_cmp_gt_i32_e64 s0, s25, v0
	s_waitcnt vmcnt(0)
	v_cndmask_b32_e64 v121, 0, v121, s0
	v_cmp_gt_i32_e64 s0, s25, v6
	v_cndmask_b32_e64 v122, 0, v122, s0
	v_cmp_gt_i32_e64 s0, s25, v5
	;; [unrolled: 2-line block ×3, first 2 shown]
	v_cndmask_b32_e64 v124, 0, v124, s0
.LBB59_66:                              ;   in Loop: Header=BB59_29 Depth=1
	s_or_b32 exec_lo, exec_lo, s6
	global_load_dwordx4 v[89:92], v[89:90], off offset:512
	s_and_saveexec_b32 s0, vcc_lo
	s_cbranch_execz .LBB59_28
; %bb.67:                               ;   in Loop: Header=BB59_29 Depth=1
	v_cmp_gt_i32_e32 vcc_lo, s25, v0
	s_waitcnt vmcnt(0)
	v_cndmask_b32_e32 v89, 0, v89, vcc_lo
	v_cmp_gt_i32_e32 vcc_lo, s25, v6
	v_cndmask_b32_e32 v90, 0, v90, vcc_lo
	v_cmp_gt_i32_e32 vcc_lo, s25, v5
	;; [unrolled: 2-line block ×3, first 2 shown]
	v_cndmask_b32_e32 v92, 0, v92, vcc_lo
	s_branch .LBB59_28
.LBB59_68:                              ;   in Loop: Header=BB59_29 Depth=1
	s_clause 0x3
	buffer_load_dword v9, off, s[40:43], 0
	buffer_load_dword v10, off, s[40:43], 0 offset:4
	buffer_load_dword v11, off, s[40:43], 0 offset:8
	;; [unrolled: 1-line block ×3, first 2 shown]
	v_cmp_gt_i32_e64 s0, s25, v0
	s_waitcnt vmcnt(3)
	v_cndmask_b32_e64 v9, 0, v9, s0
	v_cmp_gt_i32_e64 s0, s25, v6
	s_waitcnt vmcnt(2)
	v_cndmask_b32_e64 v10, 0, v10, s0
	;; [unrolled: 3-line block ×4, first 2 shown]
	buffer_store_dword v9, off, s[40:43], 0 ; 4-byte Folded Spill
	buffer_store_dword v10, off, s[40:43], 0 offset:4 ; 4-byte Folded Spill
	buffer_store_dword v11, off, s[40:43], 0 offset:8 ; 4-byte Folded Spill
	;; [unrolled: 1-line block ×3, first 2 shown]
	s_or_b32 exec_lo, exec_lo, s6
	global_load_dwordx4 v[9:12], v[89:90], off offset:512
	s_and_saveexec_b32 s6, vcc_lo
	s_cbranch_execz .LBB59_31
.LBB59_69:                              ;   in Loop: Header=BB59_29 Depth=1
	v_cmp_gt_i32_e64 s0, s25, v0
	s_waitcnt vmcnt(0)
	v_cndmask_b32_e64 v9, 0, v9, s0
	v_cmp_gt_i32_e64 s0, s25, v6
	v_cndmask_b32_e64 v10, 0, v10, s0
	v_cmp_gt_i32_e64 s0, s25, v5
	;; [unrolled: 2-line block ×3, first 2 shown]
	v_cndmask_b32_e64 v12, 0, v12, s0
	s_or_b32 exec_lo, exec_lo, s6
	global_load_dwordx4 v[13:16], v[89:90], off offset:1024
	s_and_saveexec_b32 s6, vcc_lo
	s_cbranch_execz .LBB59_32
.LBB59_70:                              ;   in Loop: Header=BB59_29 Depth=1
	v_cmp_gt_i32_e64 s0, s25, v0
	s_waitcnt vmcnt(0)
	v_cndmask_b32_e64 v13, 0, v13, s0
	v_cmp_gt_i32_e64 s0, s25, v6
	v_cndmask_b32_e64 v14, 0, v14, s0
	v_cmp_gt_i32_e64 s0, s25, v5
	;; [unrolled: 2-line block ×3, first 2 shown]
	v_cndmask_b32_e64 v16, 0, v16, s0
	s_or_b32 exec_lo, exec_lo, s6
	global_load_dwordx4 v[17:20], v[89:90], off offset:1536
	s_and_saveexec_b32 s6, vcc_lo
	s_cbranch_execnz .LBB59_33
	s_branch .LBB59_34
.LBB59_71:                              ;   in Loop: Header=BB59_29 Depth=1
	v_cmp_gt_i32_e64 s0, s25, v0
	s_waitcnt vmcnt(0)
	v_cndmask_b32_e64 v21, 0, v21, s0
	v_cmp_gt_i32_e64 s0, s25, v6
	v_cndmask_b32_e64 v22, 0, v22, s0
	v_cmp_gt_i32_e64 s0, s25, v5
	;; [unrolled: 2-line block ×3, first 2 shown]
	v_cndmask_b32_e64 v24, 0, v24, s0
	s_or_b32 exec_lo, exec_lo, s6
	global_load_dwordx4 v[25:28], v[33:34], off offset:512
	s_and_saveexec_b32 s6, vcc_lo
	s_cbranch_execz .LBB59_36
.LBB59_72:                              ;   in Loop: Header=BB59_29 Depth=1
	v_cmp_gt_i32_e64 s0, s25, v0
	s_waitcnt vmcnt(0)
	v_cndmask_b32_e64 v25, 0, v25, s0
	v_cmp_gt_i32_e64 s0, s25, v6
	v_cndmask_b32_e64 v26, 0, v26, s0
	v_cmp_gt_i32_e64 s0, s25, v5
	;; [unrolled: 2-line block ×3, first 2 shown]
	v_cndmask_b32_e64 v28, 0, v28, s0
	s_or_b32 exec_lo, exec_lo, s6
	global_load_dwordx4 v[29:32], v[33:34], off offset:1024
	s_and_saveexec_b32 s6, vcc_lo
	s_cbranch_execz .LBB59_37
.LBB59_73:                              ;   in Loop: Header=BB59_29 Depth=1
	v_cmp_gt_i32_e64 s0, s25, v0
	s_waitcnt vmcnt(0)
	v_cndmask_b32_e64 v29, 0, v29, s0
	v_cmp_gt_i32_e64 s0, s25, v6
	v_cndmask_b32_e64 v30, 0, v30, s0
	v_cmp_gt_i32_e64 s0, s25, v5
	;; [unrolled: 2-line block ×3, first 2 shown]
	v_cndmask_b32_e64 v32, 0, v32, s0
	s_or_b32 exec_lo, exec_lo, s6
	global_load_dwordx4 v[33:36], v[33:34], off offset:1536
	s_and_saveexec_b32 s6, vcc_lo
	s_cbranch_execnz .LBB59_38
	s_branch .LBB59_39
.LBB59_74:                              ;   in Loop: Header=BB59_29 Depth=1
	v_cmp_gt_i32_e64 s0, s25, v0
	s_waitcnt vmcnt(0)
	v_cndmask_b32_e64 v37, 0, v37, s0
	v_cmp_gt_i32_e64 s0, s25, v6
	v_cndmask_b32_e64 v38, 0, v38, s0
	v_cmp_gt_i32_e64 s0, s25, v5
	;; [unrolled: 2-line block ×3, first 2 shown]
	v_cndmask_b32_e64 v40, 0, v40, s0
	s_or_b32 exec_lo, exec_lo, s6
	global_load_dwordx4 v[41:44], v[49:50], off offset:512
	s_and_saveexec_b32 s6, vcc_lo
	s_cbranch_execz .LBB59_41
.LBB59_75:                              ;   in Loop: Header=BB59_29 Depth=1
	v_cmp_gt_i32_e64 s0, s25, v0
	s_waitcnt vmcnt(0)
	v_cndmask_b32_e64 v41, 0, v41, s0
	v_cmp_gt_i32_e64 s0, s25, v6
	v_cndmask_b32_e64 v42, 0, v42, s0
	v_cmp_gt_i32_e64 s0, s25, v5
	;; [unrolled: 2-line block ×3, first 2 shown]
	v_cndmask_b32_e64 v44, 0, v44, s0
	s_or_b32 exec_lo, exec_lo, s6
	global_load_dwordx4 v[45:48], v[49:50], off offset:1024
	s_and_saveexec_b32 s6, vcc_lo
	s_cbranch_execz .LBB59_42
.LBB59_76:                              ;   in Loop: Header=BB59_29 Depth=1
	v_cmp_gt_i32_e64 s0, s25, v0
	s_waitcnt vmcnt(0)
	v_cndmask_b32_e64 v45, 0, v45, s0
	v_cmp_gt_i32_e64 s0, s25, v6
	v_cndmask_b32_e64 v46, 0, v46, s0
	v_cmp_gt_i32_e64 s0, s25, v5
	;; [unrolled: 2-line block ×3, first 2 shown]
	v_cndmask_b32_e64 v48, 0, v48, s0
	s_or_b32 exec_lo, exec_lo, s6
	global_load_dwordx4 v[49:52], v[49:50], off offset:1536
	s_and_saveexec_b32 s6, vcc_lo
	s_cbranch_execnz .LBB59_43
	s_branch .LBB59_44
.LBB59_77:                              ;   in Loop: Header=BB59_29 Depth=1
	v_cmp_gt_i32_e64 s0, s25, v0
	s_waitcnt vmcnt(0)
	v_cndmask_b32_e64 v53, 0, v53, s0
	v_cmp_gt_i32_e64 s0, s25, v6
	v_cndmask_b32_e64 v54, 0, v54, s0
	v_cmp_gt_i32_e64 s0, s25, v5
	;; [unrolled: 2-line block ×3, first 2 shown]
	v_cndmask_b32_e64 v56, 0, v56, s0
	s_or_b32 exec_lo, exec_lo, s6
	global_load_dwordx4 v[57:60], v[65:66], off offset:512
	s_and_saveexec_b32 s6, vcc_lo
	s_cbranch_execz .LBB59_46
.LBB59_78:                              ;   in Loop: Header=BB59_29 Depth=1
	v_cmp_gt_i32_e64 s0, s25, v0
	s_waitcnt vmcnt(0)
	v_cndmask_b32_e64 v57, 0, v57, s0
	v_cmp_gt_i32_e64 s0, s25, v6
	v_cndmask_b32_e64 v58, 0, v58, s0
	v_cmp_gt_i32_e64 s0, s25, v5
	;; [unrolled: 2-line block ×3, first 2 shown]
	v_cndmask_b32_e64 v60, 0, v60, s0
	s_or_b32 exec_lo, exec_lo, s6
	global_load_dwordx4 v[61:64], v[65:66], off offset:1024
	s_and_saveexec_b32 s6, vcc_lo
	s_cbranch_execz .LBB59_47
.LBB59_79:                              ;   in Loop: Header=BB59_29 Depth=1
	v_cmp_gt_i32_e64 s0, s25, v0
	s_waitcnt vmcnt(0)
	v_cndmask_b32_e64 v61, 0, v61, s0
	v_cmp_gt_i32_e64 s0, s25, v6
	v_cndmask_b32_e64 v62, 0, v62, s0
	v_cmp_gt_i32_e64 s0, s25, v5
	;; [unrolled: 2-line block ×3, first 2 shown]
	v_cndmask_b32_e64 v64, 0, v64, s0
	s_or_b32 exec_lo, exec_lo, s6
	global_load_dwordx4 v[65:68], v[65:66], off offset:1536
	s_and_saveexec_b32 s6, vcc_lo
	s_cbranch_execnz .LBB59_48
	s_branch .LBB59_49
.LBB59_80:                              ;   in Loop: Header=BB59_29 Depth=1
	v_cmp_gt_i32_e64 s0, s25, v0
	s_waitcnt vmcnt(0)
	v_cndmask_b32_e64 v69, 0, v69, s0
	v_cmp_gt_i32_e64 s0, s25, v6
	v_cndmask_b32_e64 v70, 0, v70, s0
	v_cmp_gt_i32_e64 s0, s25, v5
	;; [unrolled: 2-line block ×3, first 2 shown]
	v_cndmask_b32_e64 v72, 0, v72, s0
	s_or_b32 exec_lo, exec_lo, s6
	global_load_dwordx4 v[73:76], v[81:82], off offset:512
	s_and_saveexec_b32 s6, vcc_lo
	s_cbranch_execz .LBB59_51
.LBB59_81:                              ;   in Loop: Header=BB59_29 Depth=1
	v_cmp_gt_i32_e64 s0, s25, v0
	s_waitcnt vmcnt(0)
	v_cndmask_b32_e64 v73, 0, v73, s0
	v_cmp_gt_i32_e64 s0, s25, v6
	v_cndmask_b32_e64 v74, 0, v74, s0
	v_cmp_gt_i32_e64 s0, s25, v5
	;; [unrolled: 2-line block ×3, first 2 shown]
	v_cndmask_b32_e64 v76, 0, v76, s0
	s_or_b32 exec_lo, exec_lo, s6
	global_load_dwordx4 v[77:80], v[81:82], off offset:1024
	s_and_saveexec_b32 s6, vcc_lo
	s_cbranch_execz .LBB59_52
.LBB59_82:                              ;   in Loop: Header=BB59_29 Depth=1
	v_cmp_gt_i32_e64 s0, s25, v0
	s_waitcnt vmcnt(0)
	v_cndmask_b32_e64 v77, 0, v77, s0
	v_cmp_gt_i32_e64 s0, s25, v6
	v_cndmask_b32_e64 v78, 0, v78, s0
	v_cmp_gt_i32_e64 s0, s25, v5
	;; [unrolled: 2-line block ×3, first 2 shown]
	v_cndmask_b32_e64 v80, 0, v80, s0
	s_or_b32 exec_lo, exec_lo, s6
	global_load_dwordx4 v[81:84], v[81:82], off offset:1536
	s_and_saveexec_b32 s6, vcc_lo
	s_cbranch_execnz .LBB59_53
	s_branch .LBB59_54
.LBB59_83:                              ;   in Loop: Header=BB59_29 Depth=1
	v_cmp_gt_i32_e64 s0, s25, v0
	s_waitcnt vmcnt(0)
	v_cndmask_b32_e64 v85, 0, v85, s0
	v_cmp_gt_i32_e64 s0, s25, v6
	v_cndmask_b32_e64 v86, 0, v86, s0
	v_cmp_gt_i32_e64 s0, s25, v5
	;; [unrolled: 2-line block ×3, first 2 shown]
	v_cndmask_b32_e64 v88, 0, v88, s0
	s_or_b32 exec_lo, exec_lo, s6
	global_load_dwordx4 v[93:96], v[91:92], off offset:512
	s_and_saveexec_b32 s6, vcc_lo
	s_cbranch_execz .LBB59_56
.LBB59_84:                              ;   in Loop: Header=BB59_29 Depth=1
	v_cmp_gt_i32_e64 s0, s25, v0
	s_waitcnt vmcnt(0)
	v_cndmask_b32_e64 v93, 0, v93, s0
	v_cmp_gt_i32_e64 s0, s25, v6
	v_cndmask_b32_e64 v94, 0, v94, s0
	v_cmp_gt_i32_e64 s0, s25, v5
	;; [unrolled: 2-line block ×3, first 2 shown]
	v_cndmask_b32_e64 v96, 0, v96, s0
	s_or_b32 exec_lo, exec_lo, s6
	global_load_dwordx4 v[97:100], v[91:92], off offset:1024
	s_and_saveexec_b32 s6, vcc_lo
	s_cbranch_execz .LBB59_57
.LBB59_85:                              ;   in Loop: Header=BB59_29 Depth=1
	v_cmp_gt_i32_e64 s0, s25, v0
	s_waitcnt vmcnt(0)
	v_cndmask_b32_e64 v97, 0, v97, s0
	v_cmp_gt_i32_e64 s0, s25, v6
	v_cndmask_b32_e64 v98, 0, v98, s0
	v_cmp_gt_i32_e64 s0, s25, v5
	;; [unrolled: 2-line block ×3, first 2 shown]
	v_cndmask_b32_e64 v100, 0, v100, s0
	s_or_b32 exec_lo, exec_lo, s6
	global_load_dwordx4 v[101:104], v[91:92], off offset:1536
	s_and_saveexec_b32 s6, vcc_lo
	s_cbranch_execnz .LBB59_58
	s_branch .LBB59_59
.LBB59_86:                              ;   in Loop: Header=BB59_29 Depth=1
	v_cmp_gt_i32_e64 s0, s25, v0
	s_waitcnt vmcnt(0)
	v_cndmask_b32_e64 v105, 0, v105, s0
	v_cmp_gt_i32_e64 s0, s25, v6
	v_cndmask_b32_e64 v106, 0, v106, s0
	v_cmp_gt_i32_e64 s0, s25, v5
	;; [unrolled: 2-line block ×3, first 2 shown]
	v_cndmask_b32_e64 v108, 0, v108, s0
	s_or_b32 exec_lo, exec_lo, s6
	global_load_dwordx4 v[109:112], v[91:92], off offset:512
	s_and_saveexec_b32 s6, vcc_lo
	s_cbranch_execz .LBB59_61
.LBB59_87:                              ;   in Loop: Header=BB59_29 Depth=1
	v_cmp_gt_i32_e64 s0, s25, v0
	s_waitcnt vmcnt(0)
	v_cndmask_b32_e64 v109, 0, v109, s0
	v_cmp_gt_i32_e64 s0, s25, v6
	v_cndmask_b32_e64 v110, 0, v110, s0
	v_cmp_gt_i32_e64 s0, s25, v5
	;; [unrolled: 2-line block ×3, first 2 shown]
	v_cndmask_b32_e64 v112, 0, v112, s0
	s_or_b32 exec_lo, exec_lo, s6
	global_load_dwordx4 v[113:116], v[91:92], off offset:1024
	s_and_saveexec_b32 s6, vcc_lo
	s_cbranch_execz .LBB59_62
.LBB59_88:                              ;   in Loop: Header=BB59_29 Depth=1
	v_cmp_gt_i32_e64 s0, s25, v0
	s_waitcnt vmcnt(0)
	v_cndmask_b32_e64 v113, 0, v113, s0
	v_cmp_gt_i32_e64 s0, s25, v6
	v_cndmask_b32_e64 v114, 0, v114, s0
	v_cmp_gt_i32_e64 s0, s25, v5
	;; [unrolled: 2-line block ×3, first 2 shown]
	v_cndmask_b32_e64 v116, 0, v116, s0
	s_or_b32 exec_lo, exec_lo, s6
	global_load_dwordx4 v[117:120], v[91:92], off offset:1536
	s_and_saveexec_b32 s6, vcc_lo
	s_cbranch_execnz .LBB59_63
	s_branch .LBB59_64
.LBB59_89:
	s_or_b32 exec_lo, exec_lo, s4
	s_clause 0x1f
	buffer_load_dword v54, off, s[40:43], 0 offset:184
	buffer_load_dword v121, off, s[40:43], 0 offset:188
	;; [unrolled: 1-line block ×32, first 2 shown]
	v_mov_b32_e32 v19, v8
	v_mov_b32_e32 v22, v7
.LBB59_90:
	s_or_b32 exec_lo, exec_lo, s1
	s_waitcnt vmcnt(26)
	ds_bpermute_b32 v1, v37, v22
	s_waitcnt vmcnt(0)
	ds_bpermute_b32 v3, v37, v18
	ds_bpermute_b32 v0, v37, v19
	;; [unrolled: 1-line block ×4, first 2 shown]
	v_mov_b32_e32 v16, v5
	ds_bpermute_b32 v5, v37, v5
	ds_bpermute_b32 v7, v37, v14
	;; [unrolled: 1-line block ×3, first 2 shown]
	v_mov_b32_e32 v20, v6
	ds_bpermute_b32 v6, v37, v15
	ds_bpermute_b32 v9, v37, v21
	;; [unrolled: 1-line block ×8, first 2 shown]
	s_mov_b32 s0, exec_lo
	s_waitcnt lgkmcnt(0)
	s_waitcnt_vscnt null, 0x0
	v_add_f32_e32 v1, v22, v1
	v_add_f32_e32 v3, v18, v3
	;; [unrolled: 1-line block ×5, first 2 shown]
	s_barrier
	v_add_f32_e32 v5, v16, v5
	v_add_f32_e32 v7, v14, v7
	;; [unrolled: 1-line block ×3, first 2 shown]
	ds_bpermute_b32 v14, v46, v1
	ds_bpermute_b32 v16, v46, v3
	v_add_f32_e32 v6, v15, v6
	ds_bpermute_b32 v13, v46, v0
	ds_bpermute_b32 v15, v46, v2
	;; [unrolled: 1-line block ×5, first 2 shown]
	v_add_f32_e32 v9, v21, v9
	ds_bpermute_b32 v21, v37, v27
	v_add_f32_e32 v11, v30, v11
	v_add_f32_e32 v23, v28, v23
	;; [unrolled: 1-line block ×3, first 2 shown]
	ds_bpermute_b32 v25, v46, v9
	ds_bpermute_b32 v18, v46, v5
	;; [unrolled: 1-line block ×4, first 2 shown]
	v_add_f32_e32 v12, v29, v12
	s_waitcnt lgkmcnt(0)
	buffer_gl0_inv
	v_add_f32_e32 v1, v1, v14
	v_add_f32_e32 v3, v3, v16
	ds_bpermute_b32 v29, v46, v12
	v_add_f32_e32 v0, v0, v13
	v_add_f32_e32 v2, v2, v15
	;; [unrolled: 1-line block ×4, first 2 shown]
	ds_bpermute_b32 v14, v53, v1
	ds_bpermute_b32 v16, v53, v3
	v_add_f32_e32 v8, v8, v22
	ds_bpermute_b32 v13, v53, v0
	ds_bpermute_b32 v15, v53, v2
	;; [unrolled: 1-line block ×5, first 2 shown]
	v_add_f32_e32 v21, v27, v21
	v_add_f32_e32 v9, v9, v25
	;; [unrolled: 1-line block ×3, first 2 shown]
	ds_bpermute_b32 v31, v37, v43
	v_add_f32_e32 v5, v5, v18
	ds_bpermute_b32 v30, v46, v21
	ds_bpermute_b32 v28, v53, v9
	v_add_f32_e32 v6, v6, v19
	ds_bpermute_b32 v25, v46, v10
	ds_bpermute_b32 v27, v46, v11
	;; [unrolled: 1-line block ×3, first 2 shown]
	s_waitcnt lgkmcnt(13)
	v_add_f32_e32 v12, v12, v29
	s_waitcnt lgkmcnt(12)
	v_add_f32_e32 v1, v1, v14
	;; [unrolled: 2-line block ×3, first 2 shown]
	v_add_f32_e32 v14, v36, v24
	v_add_f32_e32 v16, v34, v26
	s_waitcnt lgkmcnt(10)
	v_add_f32_e32 v0, v0, v13
	s_waitcnt lgkmcnt(9)
	v_add_f32_e32 v2, v2, v15
	ds_bpermute_b32 v13, v37, v32
	s_waitcnt lgkmcnt(9)
	v_add_f32_e32 v4, v4, v17
	s_waitcnt lgkmcnt(8)
	v_add_f32_e32 v7, v7, v20
	;; [unrolled: 2-line block ×3, first 2 shown]
	ds_bpermute_b32 v15, v46, v14
	ds_bpermute_b32 v17, v37, v33
	;; [unrolled: 1-line block ×5, first 2 shown]
	s_waitcnt lgkmcnt(10)
	v_add_f32_e32 v21, v21, v30
	ds_bpermute_b32 v30, v37, v40
	ds_bpermute_b32 v26, v37, v39
	;; [unrolled: 1-line block ×3, first 2 shown]
	s_waitcnt lgkmcnt(12)
	v_add_f32_e32 v9, v9, v28
	v_add_f32_e32 v31, v43, v31
	ds_bpermute_b32 v19, v53, v6
	s_waitcnt lgkmcnt(12)
	v_add_f32_e32 v10, v10, v25
	s_waitcnt lgkmcnt(11)
	v_add_f32_e32 v11, v11, v27
	;; [unrolled: 2-line block ×3, first 2 shown]
	ds_bpermute_b32 v43, v46, v31
	s_waitcnt lgkmcnt(10)
	v_add_f32_e32 v13, v32, v13
	ds_bpermute_b32 v32, v37, v41
	ds_bpermute_b32 v18, v53, v10
	;; [unrolled: 1-line block ×3, first 2 shown]
	s_waitcnt lgkmcnt(12)
	v_add_f32_e32 v15, v14, v15
	ds_bpermute_b32 v14, v37, v44
	s_waitcnt lgkmcnt(12)
	v_add_f32_e32 v17, v33, v17
	ds_bpermute_b32 v33, v37, v42
	s_waitcnt lgkmcnt(12)
	v_add_f32_e32 v16, v16, v20
	s_waitcnt lgkmcnt(11)
	v_add_f32_e32 v20, v35, v22
	ds_bpermute_b32 v22, v37, v45
	ds_bpermute_b32 v37, v37, v47
	;; [unrolled: 1-line block ×4, first 2 shown]
	s_waitcnt lgkmcnt(14)
	v_add_f32_e32 v24, v38, v24
	ds_bpermute_b32 v38, v46, v20
	s_waitcnt lgkmcnt(14)
	v_add_f32_e32 v30, v40, v30
	s_waitcnt lgkmcnt(13)
	v_add_f32_e32 v26, v39, v26
	;; [unrolled: 2-line block ×4, first 2 shown]
	v_add_f32_e32 v6, v6, v19
	s_waitcnt lgkmcnt(9)
	v_add_f32_e32 v32, v41, v32
	ds_bpermute_b32 v41, v46, v30
	ds_bpermute_b32 v40, v46, v26
	;; [unrolled: 1-line block ×3, first 2 shown]
	s_waitcnt lgkmcnt(9)
	v_add_f32_e32 v14, v44, v14
	ds_bpermute_b32 v44, v46, v32
	s_waitcnt lgkmcnt(9)
	v_add_f32_e32 v33, v42, v33
	ds_bpermute_b32 v27, v53, v21
	ds_bpermute_b32 v29, v53, v23
	s_waitcnt lgkmcnt(10)
	v_add_f32_e32 v22, v45, v22
	s_waitcnt lgkmcnt(9)
	v_add_f32_e32 v37, v47, v37
	;; [unrolled: 2-line block ×3, first 2 shown]
	ds_bpermute_b32 v13, v46, v24
	ds_bpermute_b32 v42, v46, v14
	;; [unrolled: 1-line block ×3, first 2 shown]
	s_waitcnt lgkmcnt(10)
	v_add_f32_e32 v35, v17, v35
	ds_bpermute_b32 v17, v46, v22
	s_waitcnt lgkmcnt(10)
	v_add_f32_e32 v20, v20, v38
	ds_bpermute_b32 v38, v46, v36
	ds_bpermute_b32 v46, v46, v37
	;; [unrolled: 1-line block ×3, first 2 shown]
	s_waitcnt lgkmcnt(12)
	v_add_f32_e32 v30, v30, v41
	s_waitcnt lgkmcnt(11)
	v_add_f32_e32 v26, v26, v40
	ds_bpermute_b32 v39, v53, v16
	ds_bpermute_b32 v47, v53, v28
	s_waitcnt lgkmcnt(11)
	v_add_f32_e32 v32, v32, v44
	ds_bpermute_b32 v43, v53, v30
	ds_bpermute_b32 v40, v53, v35
	;; [unrolled: 1-line block ×5, first 2 shown]
	v_add_f32_e32 v10, v10, v18
	s_waitcnt lgkmcnt(13)
	v_add_f32_e32 v24, v24, v13
	s_waitcnt lgkmcnt(12)
	;; [unrolled: 2-line block ×3, first 2 shown]
	v_add_f32_e32 v33, v33, v45
	ds_bpermute_b32 v45, v53, v31
	s_waitcnt lgkmcnt(11)
	v_add_f32_e32 v51, v22, v17
	ds_bpermute_b32 v49, v53, v24
	s_waitcnt lgkmcnt(11)
	v_add_f32_e32 v36, v36, v38
	s_waitcnt lgkmcnt(10)
	v_add_f32_e32 v37, v37, v46
	ds_bpermute_b32 v44, v53, v42
	ds_bpermute_b32 v52, v53, v33
	;; [unrolled: 1-line block ×5, first 2 shown]
	v_add_f32_e32 v11, v11, v19
	s_waitcnt lgkmcnt(11)
	v_add_f32_e32 v22, v30, v43
	v_lshrrev_b32_e32 v30, 3, v122
	v_add_f32_e32 v12, v12, v25
	v_add_f32_e32 v13, v21, v27
	;; [unrolled: 1-line block ×6, first 2 shown]
	s_waitcnt lgkmcnt(10)
	v_add_f32_e32 v18, v35, v40
	s_waitcnt lgkmcnt(9)
	v_add_f32_e32 v19, v20, v48
	;; [unrolled: 2-line block ×4, first 2 shown]
	v_add_f32_e32 v24, v31, v45
	v_add_f32_e32 v25, v32, v50
	s_waitcnt lgkmcnt(4)
	v_add_f32_e32 v23, v42, v44
	s_waitcnt lgkmcnt(3)
	v_add_f32_e32 v26, v33, v52
	s_waitcnt lgkmcnt(2)
	v_add_f32_e32 v27, v51, v38
	v_and_b32_e32 v33, 0x3c7, v54
	s_waitcnt lgkmcnt(1)
	v_add_f32_e32 v28, v36, v46
	s_waitcnt lgkmcnt(0)
	v_add_f32_e32 v29, v37, v53
	v_lshl_add_u32 v31, v30, 2, 0x200
	v_mul_u32_u24_e32 v32, 0x1e0, v121
	v_cmpx_eq_u32_e32 64, v33
	s_cbranch_execz .LBB59_92
; %bb.91:
	v_add_nc_u32_e32 v33, v31, v32
	v_add_nc_u32_e32 v34, 0xfffffc40, v33
	;; [unrolled: 1-line block ×6, first 2 shown]
	ds_write_b32 v34, v0
	ds_write_b32 v35, v1
	ds_write_b32 v36, v2
	ds_write_b32 v37, v3
	ds_write_b32 v38, v4
	v_add_nc_u32_e32 v34, 0xfffffc90, v33
	v_add_nc_u32_e32 v35, 0xfffffca0, v33
	v_add_nc_u32_e32 v36, 0xfffffcb0, v33
	v_add_nc_u32_e32 v37, 0xfffffcc0, v33
	v_add_nc_u32_e32 v38, 0xfffffcd0, v33
	ds_write_b32 v34, v5
	ds_write_b32 v35, v6
	ds_write_b32 v36, v7
	ds_write_b32 v37, v8
	ds_write_b32 v38, v9
	v_add_nc_u32_e32 v34, 0xfffffce0, v33
	v_add_nc_u32_e32 v35, 0xfffffcf0, v33
	v_add_nc_u32_e32 v36, 0xfffffd00, v33
	v_add_nc_u32_e32 v37, 0xfffffd10, v33
	v_add_nc_u32_e32 v38, 0xfffffd20, v33
	ds_write_b32 v34, v10
	ds_write_b32 v35, v11
	ds_write_b32 v36, v12
	ds_write_b32 v37, v13
	ds_write_b32 v38, v14
	v_add_nc_u32_e32 v34, 0xfffffd30, v33
	v_add_nc_u32_e32 v35, 0xfffffd40, v33
	v_add_nc_u32_e32 v36, 0xfffffd50, v33
	v_add_nc_u32_e32 v37, 0xfffffd60, v33
	v_add_nc_u32_e32 v38, 0xfffffd70, v33
	ds_write_b32 v34, v15
	ds_write_b32 v35, v16
	ds_write_b32 v36, v17
	ds_write_b32 v37, v18
	ds_write_b32 v38, v19
	v_add_nc_u32_e32 v34, 0xfffffd80, v33
	v_add_nc_u32_e32 v35, 0xfffffd90, v33
	v_add_nc_u32_e32 v36, 0xfffffda0, v33
	v_add_nc_u32_e32 v37, 0xfffffdb0, v33
	v_add_nc_u32_e32 v38, 0xfffffdc0, v33
	ds_write_b32 v34, v20
	ds_write_b32 v35, v21
	ds_write_b32 v36, v22
	ds_write_b32 v37, v23
	ds_write_b32 v38, v24
	v_add_nc_u32_e32 v34, 0xfffffdd0, v33
	v_add_nc_u32_e32 v35, 0xfffffde0, v33
	v_add_nc_u32_e32 v36, 0xfffffdf0, v33
	v_add_nc_u32_e32 v37, 0xfffffe00, v33
	v_add_nc_u32_e32 v33, 0xfffffe10, v33
	ds_write_b32 v34, v25
	ds_write_b32 v35, v26
	;; [unrolled: 1-line block ×5, first 2 shown]
.LBB59_92:
	s_or_b32 exec_lo, exec_lo, s0
	v_lshlrev_b32_e32 v30, 2, v30
	s_mov_b32 s1, exec_lo
	v_cmp_eq_u32_e32 vcc_lo, 0, v55
	s_waitcnt lgkmcnt(0)
	s_barrier
	v_add3_u32 v30, 0x200, v32, v30
	buffer_gl0_inv
	v_cmpx_gt_u32_e32 64, v54
	s_cbranch_execz .LBB59_125
; %bb.93:
	s_and_saveexec_b32 s0, vcc_lo
	s_cbranch_execnz .LBB59_163
; %bb.94:
	s_or_b32 exec_lo, exec_lo, s0
	s_and_saveexec_b32 s0, vcc_lo
	s_cbranch_execnz .LBB59_164
.LBB59_95:
	s_or_b32 exec_lo, exec_lo, s0
	s_and_saveexec_b32 s0, vcc_lo
	s_cbranch_execnz .LBB59_165
.LBB59_96:
	s_or_b32 exec_lo, exec_lo, s0
	s_and_saveexec_b32 s0, vcc_lo
	s_cbranch_execnz .LBB59_166
.LBB59_97:
	s_or_b32 exec_lo, exec_lo, s0
	s_and_saveexec_b32 s0, vcc_lo
	s_cbranch_execnz .LBB59_167
.LBB59_98:
	s_or_b32 exec_lo, exec_lo, s0
	s_and_saveexec_b32 s0, vcc_lo
	s_cbranch_execnz .LBB59_168
.LBB59_99:
	s_or_b32 exec_lo, exec_lo, s0
	s_and_saveexec_b32 s0, vcc_lo
	s_cbranch_execnz .LBB59_169
.LBB59_100:
	s_or_b32 exec_lo, exec_lo, s0
	s_and_saveexec_b32 s0, vcc_lo
	s_cbranch_execnz .LBB59_170
.LBB59_101:
	s_or_b32 exec_lo, exec_lo, s0
	s_and_saveexec_b32 s0, vcc_lo
	s_cbranch_execnz .LBB59_171
.LBB59_102:
	s_or_b32 exec_lo, exec_lo, s0
	s_and_saveexec_b32 s0, vcc_lo
	s_cbranch_execnz .LBB59_172
.LBB59_103:
	s_or_b32 exec_lo, exec_lo, s0
	s_and_saveexec_b32 s0, vcc_lo
	s_cbranch_execnz .LBB59_173
.LBB59_104:
	s_or_b32 exec_lo, exec_lo, s0
	s_and_saveexec_b32 s0, vcc_lo
	s_cbranch_execnz .LBB59_174
.LBB59_105:
	s_or_b32 exec_lo, exec_lo, s0
	s_and_saveexec_b32 s0, vcc_lo
	s_cbranch_execnz .LBB59_175
.LBB59_106:
	s_or_b32 exec_lo, exec_lo, s0
	s_and_saveexec_b32 s0, vcc_lo
	s_cbranch_execnz .LBB59_176
.LBB59_107:
	s_or_b32 exec_lo, exec_lo, s0
	s_and_saveexec_b32 s0, vcc_lo
	s_cbranch_execnz .LBB59_177
.LBB59_108:
	s_or_b32 exec_lo, exec_lo, s0
	s_and_saveexec_b32 s0, vcc_lo
	s_cbranch_execnz .LBB59_178
.LBB59_109:
	s_or_b32 exec_lo, exec_lo, s0
	s_and_saveexec_b32 s0, vcc_lo
	s_cbranch_execnz .LBB59_179
.LBB59_110:
	s_or_b32 exec_lo, exec_lo, s0
	s_and_saveexec_b32 s0, vcc_lo
	s_cbranch_execnz .LBB59_180
.LBB59_111:
	s_or_b32 exec_lo, exec_lo, s0
	s_and_saveexec_b32 s0, vcc_lo
	s_cbranch_execnz .LBB59_181
.LBB59_112:
	s_or_b32 exec_lo, exec_lo, s0
	s_and_saveexec_b32 s0, vcc_lo
	s_cbranch_execnz .LBB59_182
.LBB59_113:
	s_or_b32 exec_lo, exec_lo, s0
	s_and_saveexec_b32 s0, vcc_lo
	s_cbranch_execnz .LBB59_183
.LBB59_114:
	s_or_b32 exec_lo, exec_lo, s0
	s_and_saveexec_b32 s0, vcc_lo
	s_cbranch_execnz .LBB59_184
.LBB59_115:
	s_or_b32 exec_lo, exec_lo, s0
	s_and_saveexec_b32 s0, vcc_lo
	s_cbranch_execnz .LBB59_185
.LBB59_116:
	s_or_b32 exec_lo, exec_lo, s0
	s_and_saveexec_b32 s0, vcc_lo
	s_cbranch_execnz .LBB59_186
.LBB59_117:
	s_or_b32 exec_lo, exec_lo, s0
	s_and_saveexec_b32 s0, vcc_lo
	s_cbranch_execnz .LBB59_187
.LBB59_118:
	s_or_b32 exec_lo, exec_lo, s0
	s_and_saveexec_b32 s0, vcc_lo
	s_cbranch_execnz .LBB59_188
.LBB59_119:
	s_or_b32 exec_lo, exec_lo, s0
	s_and_saveexec_b32 s0, vcc_lo
	s_cbranch_execnz .LBB59_189
.LBB59_120:
	s_or_b32 exec_lo, exec_lo, s0
	s_and_saveexec_b32 s0, vcc_lo
	s_cbranch_execnz .LBB59_190
.LBB59_121:
	s_or_b32 exec_lo, exec_lo, s0
	s_and_saveexec_b32 s0, vcc_lo
	s_cbranch_execnz .LBB59_191
.LBB59_122:
	s_or_b32 exec_lo, exec_lo, s0
	s_and_saveexec_b32 s0, vcc_lo
	s_cbranch_execz .LBB59_124
.LBB59_123:
	ds_read_b32 v32, v30 offset:464
	s_waitcnt lgkmcnt(0)
	v_add_f32_e32 v29, v29, v32
.LBB59_124:
	s_or_b32 exec_lo, exec_lo, s0
.LBB59_125:
	s_or_b32 exec_lo, exec_lo, s1
	v_and_b32_e32 v32, 0x3e7, v54
	s_mov_b32 s1, exec_lo
	s_barrier
	buffer_gl0_inv
	v_cmpx_eq_u32_e32 32, v32
	s_cbranch_execz .LBB59_127
; %bb.126:
	ds_write2_b32 v31, v0, v1 offset1:4
	ds_write2_b32 v31, v2, v3 offset0:8 offset1:12
	ds_write2_b32 v31, v4, v5 offset0:16 offset1:20
	;; [unrolled: 1-line block ×14, first 2 shown]
.LBB59_127:
	s_or_b32 exec_lo, exec_lo, s1
	s_mov_b32 s1, exec_lo
	s_waitcnt lgkmcnt(0)
	s_barrier
	buffer_gl0_inv
	v_cmpx_gt_u32_e32 32, v54
	s_cbranch_execz .LBB59_160
; %bb.128:
	s_and_saveexec_b32 s0, vcc_lo
	s_cbranch_execnz .LBB59_192
; %bb.129:
	s_or_b32 exec_lo, exec_lo, s0
	s_and_saveexec_b32 s0, vcc_lo
	s_cbranch_execnz .LBB59_193
.LBB59_130:
	s_or_b32 exec_lo, exec_lo, s0
	s_and_saveexec_b32 s0, vcc_lo
	s_cbranch_execnz .LBB59_194
.LBB59_131:
	s_or_b32 exec_lo, exec_lo, s0
	s_and_saveexec_b32 s0, vcc_lo
	s_cbranch_execnz .LBB59_195
.LBB59_132:
	s_or_b32 exec_lo, exec_lo, s0
	s_and_saveexec_b32 s0, vcc_lo
	s_cbranch_execnz .LBB59_196
.LBB59_133:
	s_or_b32 exec_lo, exec_lo, s0
	s_and_saveexec_b32 s0, vcc_lo
	s_cbranch_execnz .LBB59_197
.LBB59_134:
	s_or_b32 exec_lo, exec_lo, s0
	s_and_saveexec_b32 s0, vcc_lo
	s_cbranch_execnz .LBB59_198
.LBB59_135:
	s_or_b32 exec_lo, exec_lo, s0
	s_and_saveexec_b32 s0, vcc_lo
	s_cbranch_execnz .LBB59_199
.LBB59_136:
	s_or_b32 exec_lo, exec_lo, s0
	s_and_saveexec_b32 s0, vcc_lo
	s_cbranch_execnz .LBB59_200
.LBB59_137:
	s_or_b32 exec_lo, exec_lo, s0
	s_and_saveexec_b32 s0, vcc_lo
	s_cbranch_execnz .LBB59_201
.LBB59_138:
	s_or_b32 exec_lo, exec_lo, s0
	s_and_saveexec_b32 s0, vcc_lo
	s_cbranch_execnz .LBB59_202
.LBB59_139:
	s_or_b32 exec_lo, exec_lo, s0
	s_and_saveexec_b32 s0, vcc_lo
	s_cbranch_execnz .LBB59_203
.LBB59_140:
	s_or_b32 exec_lo, exec_lo, s0
	s_and_saveexec_b32 s0, vcc_lo
	s_cbranch_execnz .LBB59_204
.LBB59_141:
	s_or_b32 exec_lo, exec_lo, s0
	s_and_saveexec_b32 s0, vcc_lo
	s_cbranch_execnz .LBB59_205
.LBB59_142:
	s_or_b32 exec_lo, exec_lo, s0
	s_and_saveexec_b32 s0, vcc_lo
	s_cbranch_execnz .LBB59_206
.LBB59_143:
	s_or_b32 exec_lo, exec_lo, s0
	s_and_saveexec_b32 s0, vcc_lo
	s_cbranch_execnz .LBB59_207
.LBB59_144:
	s_or_b32 exec_lo, exec_lo, s0
	s_and_saveexec_b32 s0, vcc_lo
	s_cbranch_execnz .LBB59_208
.LBB59_145:
	s_or_b32 exec_lo, exec_lo, s0
	s_and_saveexec_b32 s0, vcc_lo
	s_cbranch_execnz .LBB59_209
.LBB59_146:
	s_or_b32 exec_lo, exec_lo, s0
	s_and_saveexec_b32 s0, vcc_lo
	s_cbranch_execnz .LBB59_210
.LBB59_147:
	s_or_b32 exec_lo, exec_lo, s0
	s_and_saveexec_b32 s0, vcc_lo
	s_cbranch_execnz .LBB59_211
.LBB59_148:
	s_or_b32 exec_lo, exec_lo, s0
	s_and_saveexec_b32 s0, vcc_lo
	s_cbranch_execnz .LBB59_212
.LBB59_149:
	s_or_b32 exec_lo, exec_lo, s0
	s_and_saveexec_b32 s0, vcc_lo
	s_cbranch_execnz .LBB59_213
.LBB59_150:
	s_or_b32 exec_lo, exec_lo, s0
	s_and_saveexec_b32 s0, vcc_lo
	s_cbranch_execnz .LBB59_214
.LBB59_151:
	s_or_b32 exec_lo, exec_lo, s0
	s_and_saveexec_b32 s0, vcc_lo
	s_cbranch_execnz .LBB59_215
.LBB59_152:
	s_or_b32 exec_lo, exec_lo, s0
	s_and_saveexec_b32 s0, vcc_lo
	s_cbranch_execnz .LBB59_216
.LBB59_153:
	s_or_b32 exec_lo, exec_lo, s0
	s_and_saveexec_b32 s0, vcc_lo
	s_cbranch_execnz .LBB59_217
.LBB59_154:
	s_or_b32 exec_lo, exec_lo, s0
	s_and_saveexec_b32 s0, vcc_lo
	s_cbranch_execnz .LBB59_218
.LBB59_155:
	s_or_b32 exec_lo, exec_lo, s0
	s_and_saveexec_b32 s0, vcc_lo
	s_cbranch_execnz .LBB59_219
.LBB59_156:
	s_or_b32 exec_lo, exec_lo, s0
	s_and_saveexec_b32 s0, vcc_lo
	s_cbranch_execnz .LBB59_220
.LBB59_157:
	s_or_b32 exec_lo, exec_lo, s0
	s_and_saveexec_b32 s0, vcc_lo
	s_cbranch_execz .LBB59_159
.LBB59_158:
	ds_read_b32 v30, v30 offset:464
	s_waitcnt lgkmcnt(0)
	v_add_f32_e32 v29, v29, v30
.LBB59_159:
	s_or_b32 exec_lo, exec_lo, s0
.LBB59_160:
	s_or_b32 exec_lo, exec_lo, s1
	s_barrier
	buffer_gl0_inv
	s_mov_b32 s0, exec_lo
	v_cmpx_eq_u32_e32 0, v32
	s_cbranch_execz .LBB59_162
; %bb.161:
	s_mul_i32 s0, s2, 0x78
	s_mul_i32 s2, s7, s10
	s_ashr_i32 s1, s0, 31
	v_lshrrev_b32_e32 v30, 1, v54
	s_lshl_b64 s[0:1], s[0:1], 2
	s_add_u32 s4, s20, s0
	s_addc_u32 s5, s21, s1
	s_ashr_i32 s3, s2, 31
	s_lshl_b64 s[0:1], s[2:3], 2
	s_mul_i32 s2, s8, 0x78
	s_add_u32 s4, s4, s0
	s_addc_u32 s5, s5, s1
	s_ashr_i32 s3, s2, 31
	s_lshl_b64 s[0:1], s[2:3], 2
	s_add_u32 s0, s4, s0
	s_addc_u32 s1, s5, s1
	global_store_dword v30, v0, s[0:1]
	global_store_dword v30, v1, s[0:1] offset:16
	global_store_dword v30, v2, s[0:1] offset:32
	;; [unrolled: 1-line block ×29, first 2 shown]
.LBB59_162:
	s_endpgm
.LBB59_163:
	ds_read_b32 v32, v30
	s_waitcnt lgkmcnt(0)
	v_add_f32_e32 v0, v0, v32
	s_or_b32 exec_lo, exec_lo, s0
	s_and_saveexec_b32 s0, vcc_lo
	s_cbranch_execz .LBB59_95
.LBB59_164:
	ds_read_b32 v32, v30 offset:16
	s_waitcnt lgkmcnt(0)
	v_add_f32_e32 v1, v1, v32
	s_or_b32 exec_lo, exec_lo, s0
	s_and_saveexec_b32 s0, vcc_lo
	s_cbranch_execz .LBB59_96
.LBB59_165:
	ds_read_b32 v32, v30 offset:32
	s_waitcnt lgkmcnt(0)
	v_add_f32_e32 v2, v2, v32
	s_or_b32 exec_lo, exec_lo, s0
	s_and_saveexec_b32 s0, vcc_lo
	s_cbranch_execz .LBB59_97
.LBB59_166:
	ds_read_b32 v32, v30 offset:48
	s_waitcnt lgkmcnt(0)
	v_add_f32_e32 v3, v3, v32
	s_or_b32 exec_lo, exec_lo, s0
	s_and_saveexec_b32 s0, vcc_lo
	s_cbranch_execz .LBB59_98
.LBB59_167:
	ds_read_b32 v32, v30 offset:64
	s_waitcnt lgkmcnt(0)
	v_add_f32_e32 v4, v4, v32
	s_or_b32 exec_lo, exec_lo, s0
	s_and_saveexec_b32 s0, vcc_lo
	s_cbranch_execz .LBB59_99
.LBB59_168:
	ds_read_b32 v32, v30 offset:80
	s_waitcnt lgkmcnt(0)
	v_add_f32_e32 v5, v5, v32
	s_or_b32 exec_lo, exec_lo, s0
	s_and_saveexec_b32 s0, vcc_lo
	s_cbranch_execz .LBB59_100
.LBB59_169:
	ds_read_b32 v32, v30 offset:96
	s_waitcnt lgkmcnt(0)
	v_add_f32_e32 v6, v6, v32
	s_or_b32 exec_lo, exec_lo, s0
	s_and_saveexec_b32 s0, vcc_lo
	s_cbranch_execz .LBB59_101
.LBB59_170:
	ds_read_b32 v32, v30 offset:112
	s_waitcnt lgkmcnt(0)
	v_add_f32_e32 v7, v7, v32
	s_or_b32 exec_lo, exec_lo, s0
	s_and_saveexec_b32 s0, vcc_lo
	s_cbranch_execz .LBB59_102
.LBB59_171:
	ds_read_b32 v32, v30 offset:128
	s_waitcnt lgkmcnt(0)
	v_add_f32_e32 v8, v8, v32
	s_or_b32 exec_lo, exec_lo, s0
	s_and_saveexec_b32 s0, vcc_lo
	s_cbranch_execz .LBB59_103
.LBB59_172:
	ds_read_b32 v32, v30 offset:144
	s_waitcnt lgkmcnt(0)
	v_add_f32_e32 v9, v9, v32
	s_or_b32 exec_lo, exec_lo, s0
	s_and_saveexec_b32 s0, vcc_lo
	s_cbranch_execz .LBB59_104
.LBB59_173:
	ds_read_b32 v32, v30 offset:160
	s_waitcnt lgkmcnt(0)
	v_add_f32_e32 v10, v10, v32
	s_or_b32 exec_lo, exec_lo, s0
	s_and_saveexec_b32 s0, vcc_lo
	s_cbranch_execz .LBB59_105
.LBB59_174:
	ds_read_b32 v32, v30 offset:176
	s_waitcnt lgkmcnt(0)
	v_add_f32_e32 v11, v11, v32
	s_or_b32 exec_lo, exec_lo, s0
	s_and_saveexec_b32 s0, vcc_lo
	s_cbranch_execz .LBB59_106
.LBB59_175:
	ds_read_b32 v32, v30 offset:192
	s_waitcnt lgkmcnt(0)
	v_add_f32_e32 v12, v12, v32
	s_or_b32 exec_lo, exec_lo, s0
	s_and_saveexec_b32 s0, vcc_lo
	s_cbranch_execz .LBB59_107
.LBB59_176:
	ds_read_b32 v32, v30 offset:208
	s_waitcnt lgkmcnt(0)
	v_add_f32_e32 v13, v13, v32
	s_or_b32 exec_lo, exec_lo, s0
	s_and_saveexec_b32 s0, vcc_lo
	s_cbranch_execz .LBB59_108
.LBB59_177:
	ds_read_b32 v32, v30 offset:224
	s_waitcnt lgkmcnt(0)
	v_add_f32_e32 v14, v14, v32
	s_or_b32 exec_lo, exec_lo, s0
	s_and_saveexec_b32 s0, vcc_lo
	s_cbranch_execz .LBB59_109
.LBB59_178:
	ds_read_b32 v32, v30 offset:240
	s_waitcnt lgkmcnt(0)
	v_add_f32_e32 v15, v15, v32
	s_or_b32 exec_lo, exec_lo, s0
	s_and_saveexec_b32 s0, vcc_lo
	s_cbranch_execz .LBB59_110
.LBB59_179:
	ds_read_b32 v32, v30 offset:256
	s_waitcnt lgkmcnt(0)
	v_add_f32_e32 v16, v16, v32
	s_or_b32 exec_lo, exec_lo, s0
	s_and_saveexec_b32 s0, vcc_lo
	s_cbranch_execz .LBB59_111
.LBB59_180:
	ds_read_b32 v32, v30 offset:272
	s_waitcnt lgkmcnt(0)
	v_add_f32_e32 v17, v17, v32
	s_or_b32 exec_lo, exec_lo, s0
	s_and_saveexec_b32 s0, vcc_lo
	s_cbranch_execz .LBB59_112
.LBB59_181:
	ds_read_b32 v32, v30 offset:288
	s_waitcnt lgkmcnt(0)
	v_add_f32_e32 v18, v18, v32
	s_or_b32 exec_lo, exec_lo, s0
	s_and_saveexec_b32 s0, vcc_lo
	s_cbranch_execz .LBB59_113
.LBB59_182:
	ds_read_b32 v32, v30 offset:304
	s_waitcnt lgkmcnt(0)
	v_add_f32_e32 v19, v19, v32
	s_or_b32 exec_lo, exec_lo, s0
	s_and_saveexec_b32 s0, vcc_lo
	s_cbranch_execz .LBB59_114
.LBB59_183:
	ds_read_b32 v32, v30 offset:320
	s_waitcnt lgkmcnt(0)
	v_add_f32_e32 v20, v20, v32
	s_or_b32 exec_lo, exec_lo, s0
	s_and_saveexec_b32 s0, vcc_lo
	s_cbranch_execz .LBB59_115
.LBB59_184:
	ds_read_b32 v32, v30 offset:336
	s_waitcnt lgkmcnt(0)
	v_add_f32_e32 v21, v21, v32
	s_or_b32 exec_lo, exec_lo, s0
	s_and_saveexec_b32 s0, vcc_lo
	s_cbranch_execz .LBB59_116
.LBB59_185:
	ds_read_b32 v32, v30 offset:352
	s_waitcnt lgkmcnt(0)
	v_add_f32_e32 v22, v22, v32
	s_or_b32 exec_lo, exec_lo, s0
	s_and_saveexec_b32 s0, vcc_lo
	s_cbranch_execz .LBB59_117
.LBB59_186:
	ds_read_b32 v32, v30 offset:368
	s_waitcnt lgkmcnt(0)
	v_add_f32_e32 v23, v23, v32
	s_or_b32 exec_lo, exec_lo, s0
	s_and_saveexec_b32 s0, vcc_lo
	s_cbranch_execz .LBB59_118
.LBB59_187:
	ds_read_b32 v32, v30 offset:384
	s_waitcnt lgkmcnt(0)
	v_add_f32_e32 v24, v24, v32
	s_or_b32 exec_lo, exec_lo, s0
	s_and_saveexec_b32 s0, vcc_lo
	s_cbranch_execz .LBB59_119
.LBB59_188:
	ds_read_b32 v32, v30 offset:400
	s_waitcnt lgkmcnt(0)
	v_add_f32_e32 v25, v25, v32
	s_or_b32 exec_lo, exec_lo, s0
	s_and_saveexec_b32 s0, vcc_lo
	s_cbranch_execz .LBB59_120
.LBB59_189:
	ds_read_b32 v32, v30 offset:416
	s_waitcnt lgkmcnt(0)
	v_add_f32_e32 v26, v26, v32
	s_or_b32 exec_lo, exec_lo, s0
	s_and_saveexec_b32 s0, vcc_lo
	s_cbranch_execz .LBB59_121
.LBB59_190:
	ds_read_b32 v32, v30 offset:432
	s_waitcnt lgkmcnt(0)
	v_add_f32_e32 v27, v27, v32
	s_or_b32 exec_lo, exec_lo, s0
	s_and_saveexec_b32 s0, vcc_lo
	s_cbranch_execz .LBB59_122
.LBB59_191:
	ds_read_b32 v32, v30 offset:448
	s_waitcnt lgkmcnt(0)
	v_add_f32_e32 v28, v28, v32
	s_or_b32 exec_lo, exec_lo, s0
	s_and_saveexec_b32 s0, vcc_lo
	s_cbranch_execnz .LBB59_123
	s_branch .LBB59_124
.LBB59_192:
	ds_read_b32 v31, v30
	s_waitcnt lgkmcnt(0)
	v_add_f32_e32 v0, v0, v31
	s_or_b32 exec_lo, exec_lo, s0
	s_and_saveexec_b32 s0, vcc_lo
	s_cbranch_execz .LBB59_130
.LBB59_193:
	ds_read_b32 v31, v30 offset:16
	s_waitcnt lgkmcnt(0)
	v_add_f32_e32 v1, v1, v31
	s_or_b32 exec_lo, exec_lo, s0
	s_and_saveexec_b32 s0, vcc_lo
	s_cbranch_execz .LBB59_131
.LBB59_194:
	ds_read_b32 v31, v30 offset:32
	s_waitcnt lgkmcnt(0)
	v_add_f32_e32 v2, v2, v31
	s_or_b32 exec_lo, exec_lo, s0
	s_and_saveexec_b32 s0, vcc_lo
	s_cbranch_execz .LBB59_132
.LBB59_195:
	ds_read_b32 v31, v30 offset:48
	s_waitcnt lgkmcnt(0)
	v_add_f32_e32 v3, v3, v31
	s_or_b32 exec_lo, exec_lo, s0
	s_and_saveexec_b32 s0, vcc_lo
	s_cbranch_execz .LBB59_133
.LBB59_196:
	ds_read_b32 v31, v30 offset:64
	s_waitcnt lgkmcnt(0)
	v_add_f32_e32 v4, v4, v31
	s_or_b32 exec_lo, exec_lo, s0
	s_and_saveexec_b32 s0, vcc_lo
	s_cbranch_execz .LBB59_134
.LBB59_197:
	ds_read_b32 v31, v30 offset:80
	s_waitcnt lgkmcnt(0)
	v_add_f32_e32 v5, v5, v31
	s_or_b32 exec_lo, exec_lo, s0
	s_and_saveexec_b32 s0, vcc_lo
	s_cbranch_execz .LBB59_135
.LBB59_198:
	ds_read_b32 v31, v30 offset:96
	s_waitcnt lgkmcnt(0)
	v_add_f32_e32 v6, v6, v31
	s_or_b32 exec_lo, exec_lo, s0
	s_and_saveexec_b32 s0, vcc_lo
	s_cbranch_execz .LBB59_136
.LBB59_199:
	ds_read_b32 v31, v30 offset:112
	s_waitcnt lgkmcnt(0)
	v_add_f32_e32 v7, v7, v31
	s_or_b32 exec_lo, exec_lo, s0
	s_and_saveexec_b32 s0, vcc_lo
	s_cbranch_execz .LBB59_137
.LBB59_200:
	ds_read_b32 v31, v30 offset:128
	s_waitcnt lgkmcnt(0)
	v_add_f32_e32 v8, v8, v31
	s_or_b32 exec_lo, exec_lo, s0
	s_and_saveexec_b32 s0, vcc_lo
	s_cbranch_execz .LBB59_138
.LBB59_201:
	ds_read_b32 v31, v30 offset:144
	s_waitcnt lgkmcnt(0)
	v_add_f32_e32 v9, v9, v31
	s_or_b32 exec_lo, exec_lo, s0
	s_and_saveexec_b32 s0, vcc_lo
	s_cbranch_execz .LBB59_139
.LBB59_202:
	ds_read_b32 v31, v30 offset:160
	s_waitcnt lgkmcnt(0)
	v_add_f32_e32 v10, v10, v31
	s_or_b32 exec_lo, exec_lo, s0
	s_and_saveexec_b32 s0, vcc_lo
	s_cbranch_execz .LBB59_140
.LBB59_203:
	ds_read_b32 v31, v30 offset:176
	s_waitcnt lgkmcnt(0)
	v_add_f32_e32 v11, v11, v31
	s_or_b32 exec_lo, exec_lo, s0
	s_and_saveexec_b32 s0, vcc_lo
	s_cbranch_execz .LBB59_141
.LBB59_204:
	ds_read_b32 v31, v30 offset:192
	s_waitcnt lgkmcnt(0)
	v_add_f32_e32 v12, v12, v31
	s_or_b32 exec_lo, exec_lo, s0
	s_and_saveexec_b32 s0, vcc_lo
	s_cbranch_execz .LBB59_142
.LBB59_205:
	ds_read_b32 v31, v30 offset:208
	s_waitcnt lgkmcnt(0)
	v_add_f32_e32 v13, v13, v31
	s_or_b32 exec_lo, exec_lo, s0
	s_and_saveexec_b32 s0, vcc_lo
	s_cbranch_execz .LBB59_143
.LBB59_206:
	ds_read_b32 v31, v30 offset:224
	s_waitcnt lgkmcnt(0)
	v_add_f32_e32 v14, v14, v31
	s_or_b32 exec_lo, exec_lo, s0
	s_and_saveexec_b32 s0, vcc_lo
	s_cbranch_execz .LBB59_144
.LBB59_207:
	ds_read_b32 v31, v30 offset:240
	s_waitcnt lgkmcnt(0)
	v_add_f32_e32 v15, v15, v31
	s_or_b32 exec_lo, exec_lo, s0
	s_and_saveexec_b32 s0, vcc_lo
	s_cbranch_execz .LBB59_145
.LBB59_208:
	ds_read_b32 v31, v30 offset:256
	s_waitcnt lgkmcnt(0)
	v_add_f32_e32 v16, v16, v31
	s_or_b32 exec_lo, exec_lo, s0
	s_and_saveexec_b32 s0, vcc_lo
	s_cbranch_execz .LBB59_146
.LBB59_209:
	ds_read_b32 v31, v30 offset:272
	s_waitcnt lgkmcnt(0)
	v_add_f32_e32 v17, v17, v31
	s_or_b32 exec_lo, exec_lo, s0
	s_and_saveexec_b32 s0, vcc_lo
	s_cbranch_execz .LBB59_147
.LBB59_210:
	ds_read_b32 v31, v30 offset:288
	s_waitcnt lgkmcnt(0)
	v_add_f32_e32 v18, v18, v31
	s_or_b32 exec_lo, exec_lo, s0
	s_and_saveexec_b32 s0, vcc_lo
	s_cbranch_execz .LBB59_148
.LBB59_211:
	ds_read_b32 v31, v30 offset:304
	s_waitcnt lgkmcnt(0)
	v_add_f32_e32 v19, v19, v31
	s_or_b32 exec_lo, exec_lo, s0
	s_and_saveexec_b32 s0, vcc_lo
	s_cbranch_execz .LBB59_149
.LBB59_212:
	ds_read_b32 v31, v30 offset:320
	s_waitcnt lgkmcnt(0)
	v_add_f32_e32 v20, v20, v31
	s_or_b32 exec_lo, exec_lo, s0
	s_and_saveexec_b32 s0, vcc_lo
	s_cbranch_execz .LBB59_150
.LBB59_213:
	ds_read_b32 v31, v30 offset:336
	s_waitcnt lgkmcnt(0)
	v_add_f32_e32 v21, v21, v31
	s_or_b32 exec_lo, exec_lo, s0
	s_and_saveexec_b32 s0, vcc_lo
	s_cbranch_execz .LBB59_151
.LBB59_214:
	ds_read_b32 v31, v30 offset:352
	s_waitcnt lgkmcnt(0)
	v_add_f32_e32 v22, v22, v31
	s_or_b32 exec_lo, exec_lo, s0
	s_and_saveexec_b32 s0, vcc_lo
	s_cbranch_execz .LBB59_152
.LBB59_215:
	ds_read_b32 v31, v30 offset:368
	s_waitcnt lgkmcnt(0)
	v_add_f32_e32 v23, v23, v31
	s_or_b32 exec_lo, exec_lo, s0
	s_and_saveexec_b32 s0, vcc_lo
	s_cbranch_execz .LBB59_153
.LBB59_216:
	ds_read_b32 v31, v30 offset:384
	s_waitcnt lgkmcnt(0)
	v_add_f32_e32 v24, v24, v31
	s_or_b32 exec_lo, exec_lo, s0
	s_and_saveexec_b32 s0, vcc_lo
	s_cbranch_execz .LBB59_154
.LBB59_217:
	ds_read_b32 v31, v30 offset:400
	s_waitcnt lgkmcnt(0)
	v_add_f32_e32 v25, v25, v31
	s_or_b32 exec_lo, exec_lo, s0
	s_and_saveexec_b32 s0, vcc_lo
	s_cbranch_execz .LBB59_155
.LBB59_218:
	ds_read_b32 v31, v30 offset:416
	s_waitcnt lgkmcnt(0)
	v_add_f32_e32 v26, v26, v31
	s_or_b32 exec_lo, exec_lo, s0
	s_and_saveexec_b32 s0, vcc_lo
	s_cbranch_execz .LBB59_156
.LBB59_219:
	ds_read_b32 v31, v30 offset:432
	s_waitcnt lgkmcnt(0)
	v_add_f32_e32 v27, v27, v31
	s_or_b32 exec_lo, exec_lo, s0
	s_and_saveexec_b32 s0, vcc_lo
	s_cbranch_execz .LBB59_157
.LBB59_220:
	ds_read_b32 v31, v30 offset:448
	s_waitcnt lgkmcnt(0)
	v_add_f32_e32 v28, v28, v31
	s_or_b32 exec_lo, exec_lo, s0
	s_and_saveexec_b32 s0, vcc_lo
	s_cbranch_execnz .LBB59_158
	s_branch .LBB59_159
	.section	.rodata,"a",@progbits
	.p2align	6, 0x0
	.amdhsa_kernel _ZN4vllm25paged_attention_v2_kernelIffLi120ELi32ELi128ELNS_18Fp8KVCacheDataTypeE0ELb0ELi512EEEvPfS2_PT_PKS3_PKT0_S9_ifPKiSB_iPKfiiiSD_SD_iiiii
		.amdhsa_group_segment_fixed_size 512
		.amdhsa_private_segment_fixed_size 216
		.amdhsa_kernarg_size 400
		.amdhsa_user_sgpr_count 6
		.amdhsa_user_sgpr_private_segment_buffer 1
		.amdhsa_user_sgpr_dispatch_ptr 0
		.amdhsa_user_sgpr_queue_ptr 0
		.amdhsa_user_sgpr_kernarg_segment_ptr 1
		.amdhsa_user_sgpr_dispatch_id 0
		.amdhsa_user_sgpr_flat_scratch_init 0
		.amdhsa_user_sgpr_private_segment_size 0
		.amdhsa_wavefront_size32 1
		.amdhsa_uses_dynamic_stack 0
		.amdhsa_system_sgpr_private_segment_wavefront_offset 1
		.amdhsa_system_sgpr_workgroup_id_x 1
		.amdhsa_system_sgpr_workgroup_id_y 1
		.amdhsa_system_sgpr_workgroup_id_z 1
		.amdhsa_system_sgpr_workgroup_info 0
		.amdhsa_system_vgpr_workitem_id 0
		.amdhsa_next_free_vgpr 128
		.amdhsa_next_free_sgpr 44
		.amdhsa_reserve_vcc 1
		.amdhsa_reserve_flat_scratch 0
		.amdhsa_float_round_mode_32 0
		.amdhsa_float_round_mode_16_64 0
		.amdhsa_float_denorm_mode_32 3
		.amdhsa_float_denorm_mode_16_64 3
		.amdhsa_dx10_clamp 1
		.amdhsa_ieee_mode 1
		.amdhsa_fp16_overflow 0
		.amdhsa_workgroup_processor_mode 1
		.amdhsa_memory_ordered 1
		.amdhsa_forward_progress 1
		.amdhsa_shared_vgpr_count 0
		.amdhsa_exception_fp_ieee_invalid_op 0
		.amdhsa_exception_fp_denorm_src 0
		.amdhsa_exception_fp_ieee_div_zero 0
		.amdhsa_exception_fp_ieee_overflow 0
		.amdhsa_exception_fp_ieee_underflow 0
		.amdhsa_exception_fp_ieee_inexact 0
		.amdhsa_exception_int_div_zero 0
	.end_amdhsa_kernel
	.section	.text._ZN4vllm25paged_attention_v2_kernelIffLi120ELi32ELi128ELNS_18Fp8KVCacheDataTypeE0ELb0ELi512EEEvPfS2_PT_PKS3_PKT0_S9_ifPKiSB_iPKfiiiSD_SD_iiiii,"axG",@progbits,_ZN4vllm25paged_attention_v2_kernelIffLi120ELi32ELi128ELNS_18Fp8KVCacheDataTypeE0ELb0ELi512EEEvPfS2_PT_PKS3_PKT0_S9_ifPKiSB_iPKfiiiSD_SD_iiiii,comdat
.Lfunc_end59:
	.size	_ZN4vllm25paged_attention_v2_kernelIffLi120ELi32ELi128ELNS_18Fp8KVCacheDataTypeE0ELb0ELi512EEEvPfS2_PT_PKS3_PKT0_S9_ifPKiSB_iPKfiiiSD_SD_iiiii, .Lfunc_end59-_ZN4vllm25paged_attention_v2_kernelIffLi120ELi32ELi128ELNS_18Fp8KVCacheDataTypeE0ELb0ELi512EEEvPfS2_PT_PKS3_PKT0_S9_ifPKiSB_iPKfiiiSD_SD_iiiii
                                        ; -- End function
	.set _ZN4vllm25paged_attention_v2_kernelIffLi120ELi32ELi128ELNS_18Fp8KVCacheDataTypeE0ELb0ELi512EEEvPfS2_PT_PKS3_PKT0_S9_ifPKiSB_iPKfiiiSD_SD_iiiii.num_vgpr, 128
	.set _ZN4vllm25paged_attention_v2_kernelIffLi120ELi32ELi128ELNS_18Fp8KVCacheDataTypeE0ELb0ELi512EEEvPfS2_PT_PKS3_PKT0_S9_ifPKiSB_iPKfiiiSD_SD_iiiii.num_agpr, 0
	.set _ZN4vllm25paged_attention_v2_kernelIffLi120ELi32ELi128ELNS_18Fp8KVCacheDataTypeE0ELb0ELi512EEEvPfS2_PT_PKS3_PKT0_S9_ifPKiSB_iPKfiiiSD_SD_iiiii.numbered_sgpr, 44
	.set _ZN4vllm25paged_attention_v2_kernelIffLi120ELi32ELi128ELNS_18Fp8KVCacheDataTypeE0ELb0ELi512EEEvPfS2_PT_PKS3_PKT0_S9_ifPKiSB_iPKfiiiSD_SD_iiiii.num_named_barrier, 0
	.set _ZN4vllm25paged_attention_v2_kernelIffLi120ELi32ELi128ELNS_18Fp8KVCacheDataTypeE0ELb0ELi512EEEvPfS2_PT_PKS3_PKT0_S9_ifPKiSB_iPKfiiiSD_SD_iiiii.private_seg_size, 216
	.set _ZN4vllm25paged_attention_v2_kernelIffLi120ELi32ELi128ELNS_18Fp8KVCacheDataTypeE0ELb0ELi512EEEvPfS2_PT_PKS3_PKT0_S9_ifPKiSB_iPKfiiiSD_SD_iiiii.uses_vcc, 1
	.set _ZN4vllm25paged_attention_v2_kernelIffLi120ELi32ELi128ELNS_18Fp8KVCacheDataTypeE0ELb0ELi512EEEvPfS2_PT_PKS3_PKT0_S9_ifPKiSB_iPKfiiiSD_SD_iiiii.uses_flat_scratch, 0
	.set _ZN4vllm25paged_attention_v2_kernelIffLi120ELi32ELi128ELNS_18Fp8KVCacheDataTypeE0ELb0ELi512EEEvPfS2_PT_PKS3_PKT0_S9_ifPKiSB_iPKfiiiSD_SD_iiiii.has_dyn_sized_stack, 0
	.set _ZN4vllm25paged_attention_v2_kernelIffLi120ELi32ELi128ELNS_18Fp8KVCacheDataTypeE0ELb0ELi512EEEvPfS2_PT_PKS3_PKT0_S9_ifPKiSB_iPKfiiiSD_SD_iiiii.has_recursion, 0
	.set _ZN4vllm25paged_attention_v2_kernelIffLi120ELi32ELi128ELNS_18Fp8KVCacheDataTypeE0ELb0ELi512EEEvPfS2_PT_PKS3_PKT0_S9_ifPKiSB_iPKfiiiSD_SD_iiiii.has_indirect_call, 0
	.section	.AMDGPU.csdata,"",@progbits
; Kernel info:
; codeLenInByte = 14096
; TotalNumSgprs: 46
; NumVgprs: 128
; ScratchSize: 216
; MemoryBound: 0
; FloatMode: 240
; IeeeMode: 1
; LDSByteSize: 512 bytes/workgroup (compile time only)
; SGPRBlocks: 0
; VGPRBlocks: 15
; NumSGPRsForWavesPerEU: 46
; NumVGPRsForWavesPerEU: 128
; Occupancy: 8
; WaveLimiterHint : 1
; COMPUTE_PGM_RSRC2:SCRATCH_EN: 1
; COMPUTE_PGM_RSRC2:USER_SGPR: 6
; COMPUTE_PGM_RSRC2:TRAP_HANDLER: 0
; COMPUTE_PGM_RSRC2:TGID_X_EN: 1
; COMPUTE_PGM_RSRC2:TGID_Y_EN: 1
; COMPUTE_PGM_RSRC2:TGID_Z_EN: 1
; COMPUTE_PGM_RSRC2:TIDIG_COMP_CNT: 0
	.section	.text._ZN4vllm25paged_attention_v2_kernelIffLi128ELi32ELi128ELNS_18Fp8KVCacheDataTypeE0ELb0ELi512EEEvPfS2_PT_PKS3_PKT0_S9_ifPKiSB_iPKfiiiSD_SD_iiiii,"axG",@progbits,_ZN4vllm25paged_attention_v2_kernelIffLi128ELi32ELi128ELNS_18Fp8KVCacheDataTypeE0ELb0ELi512EEEvPfS2_PT_PKS3_PKT0_S9_ifPKiSB_iPKfiiiSD_SD_iiiii,comdat
	.protected	_ZN4vllm25paged_attention_v2_kernelIffLi128ELi32ELi128ELNS_18Fp8KVCacheDataTypeE0ELb0ELi512EEEvPfS2_PT_PKS3_PKT0_S9_ifPKiSB_iPKfiiiSD_SD_iiiii ; -- Begin function _ZN4vllm25paged_attention_v2_kernelIffLi128ELi32ELi128ELNS_18Fp8KVCacheDataTypeE0ELb0ELi512EEEvPfS2_PT_PKS3_PKT0_S9_ifPKiSB_iPKfiiiSD_SD_iiiii
	.globl	_ZN4vllm25paged_attention_v2_kernelIffLi128ELi32ELi128ELNS_18Fp8KVCacheDataTypeE0ELb0ELi512EEEvPfS2_PT_PKS3_PKT0_S9_ifPKiSB_iPKfiiiSD_SD_iiiii
	.p2align	8
	.type	_ZN4vllm25paged_attention_v2_kernelIffLi128ELi32ELi128ELNS_18Fp8KVCacheDataTypeE0ELb0ELi512EEEvPfS2_PT_PKS3_PKT0_S9_ifPKiSB_iPKfiiiSD_SD_iiiii,@function
_ZN4vllm25paged_attention_v2_kernelIffLi128ELi32ELi128ELNS_18Fp8KVCacheDataTypeE0ELb0ELi512EEEvPfS2_PT_PKS3_PKT0_S9_ifPKiSB_iPKfiiiSD_SD_iiiii: ; @_ZN4vllm25paged_attention_v2_kernelIffLi128ELi32ELi128ELNS_18Fp8KVCacheDataTypeE0ELb0ELi512EEEvPfS2_PT_PKS3_PKT0_S9_ifPKiSB_iPKfiiiSD_SD_iiiii
; %bb.0:
	s_mov_b64 s[42:43], s[2:3]
	s_mov_b64 s[40:41], s[0:1]
	s_load_dwordx2 s[0:1], s[4:5], 0x40
	s_add_u32 s40, s40, s9
	s_addc_u32 s41, s41, 0
	s_mov_b32 s24, s7
	s_ashr_i32 s25, s7, 31
	s_lshl_b64 s[2:3], s[24:25], 2
	s_waitcnt lgkmcnt(0)
	s_add_u32 s0, s0, s2
	s_addc_u32 s1, s1, s3
	s_lshl_b32 s33, s8, 9
	s_load_dword s25, s[0:1], 0x0
	s_waitcnt lgkmcnt(0)
	s_cmp_ge_i32 s33, s25
	s_cbranch_scc1 .LBB60_170
; %bb.1:
	s_clause 0x1
	s_load_dword s9, s[4:5], 0x90
	s_load_dwordx2 s[30:31], s[4:5], 0x30
	v_mov_b32_e32 v55, v0
	s_mov_b32 s34, 0
	s_waitcnt lgkmcnt(0)
	s_abs_i32 s3, s9
	s_abs_i32 s0, s30
	v_cvt_f32_u32_e32 v0, s0
	s_sub_i32 s2, 0, s0
	v_rcp_iflag_f32_e32 v0, v0
	v_mul_f32_e32 v0, 0x4f7ffffe, v0
	v_cvt_u32_f32_e32 v0, v0
	v_readfirstlane_b32 s1, v0
	s_mul_i32 s2, s2, s1
	s_mul_hi_u32 s2, s1, s2
	s_add_i32 s1, s1, s2
	s_xor_b32 s2, s9, s30
	s_mul_hi_u32 s1, s3, s1
	s_ashr_i32 s2, s2, 31
	s_mul_i32 s7, s1, s0
	s_sub_i32 s3, s3, s7
	s_add_i32 s7, s1, 1
	s_sub_i32 s10, s3, s0
	s_cmp_ge_u32 s3, s0
	s_cselect_b32 s1, s7, s1
	s_cselect_b32 s3, s10, s3
	s_add_i32 s7, s1, 1
	s_cmp_ge_u32 s3, s0
	s_cselect_b32 s0, s7, s1
	s_abs_i32 s28, s6
	s_xor_b32 s0, s0, s2
	s_sub_i32 s10, s0, s2
	s_load_dwordx2 s[0:1], s[4:5], 0x50
	s_abs_i32 s2, s10
	v_cvt_f32_u32_e32 v0, s2
	s_sub_i32 s7, 0, s2
	v_rcp_iflag_f32_e32 v0, v0
	v_mul_f32_e32 v0, 0x4f7ffffe, v0
	v_cvt_u32_f32_e32 v0, v0
	v_readfirstlane_b32 s3, v0
	s_mul_i32 s7, s7, s3
	s_mul_hi_u32 s7, s3, s7
	s_add_i32 s3, s3, s7
	s_waitcnt lgkmcnt(0)
	s_cmp_eq_u64 s[0:1], 0
	s_mul_hi_u32 s3, s28, s3
	s_cbranch_scc1 .LBB60_3
; %bb.2:
	s_ashr_i32 s7, s6, 31
	s_lshl_b64 s[12:13], s[6:7], 2
	s_add_u32 s0, s0, s12
	s_addc_u32 s1, s1, s13
	s_load_dword s34, s[0:1], 0x0
.LBB60_3:
	s_clause 0x1
	s_load_dwordx2 s[22:23], s[4:5], 0x38
	s_load_dwordx4 s[12:15], s[4:5], 0x58
	v_cmp_gt_u32_e64 s0, 32, v55
	s_ashr_i32 s1, s6, 31
	s_waitcnt lgkmcnt(0)
	s_ashr_i32 s15, s10, 31
	s_lshl_b32 s10, s6, 7
	s_and_saveexec_b32 s7, s0
	s_cbranch_execz .LBB60_5
; %bb.4:
	s_load_dwordx2 s[16:17], s[4:5], 0x18
	s_mul_i32 s18, s12, s24
	v_lshlrev_b32_e32 v4, 4, v55
	s_ashr_i32 s19, s18, 31
	s_lshl_b64 s[18:19], s[18:19], 2
	s_waitcnt lgkmcnt(0)
	s_add_u32 s12, s16, s18
	s_addc_u32 s18, s17, s19
	s_ashr_i32 s11, s10, 31
	s_lshl_b64 s[16:17], s[10:11], 2
	s_add_u32 s16, s12, s16
	s_addc_u32 s17, s18, s17
	global_load_dwordx4 v[0:3], v4, s[16:17]
	s_waitcnt vmcnt(0)
	ds_write_b128 v4, v[0:3]
.LBB60_5:
	s_or_b32 exec_lo, exec_lo, s7
	s_add_i32 s7, s25, 31
	s_clause 0x1
	s_load_dwordx4 s[16:19], s[4:5], 0x0
	s_load_dwordx2 s[20:21], s[4:5], 0x10
	s_ashr_i32 s11, s7, 31
	s_lshl_b32 s30, s8, 4
	s_lshr_b32 s11, s11, 27
	s_mul_i32 s35, s3, s2
	s_add_i32 s7, s7, s11
	s_add_i32 s11, s30, 16
	s_ashr_i32 s12, s7, 5
	s_clause 0x2
	s_load_dwordx2 s[26:27], s[4:5], 0x28
	s_load_dword s7, s[4:5], 0x98
	s_load_dword s29, s[4:5], 0x48
	s_xor_b32 s1, s1, s15
	s_sub_i32 s15, s28, s35
	s_min_i32 s11, s11, s12
	s_add_i32 s28, s3, 1
	s_sub_i32 s35, s15, s2
	s_cmp_ge_u32 s15, s2
	v_lshrrev_b32_e32 v125, 5, v55
	s_cselect_b32 s3, s28, s3
	s_cselect_b32 s15, s35, s15
	s_add_i32 s28, s3, 1
	s_cmp_ge_u32 s15, s2
	v_add_nc_u32_e32 v9, s30, v125
	v_and_b32_e32 v126, 31, v55
	s_cselect_b32 s2, s28, s3
	v_mov_b32_e32 v7, 0xff7fffff
	s_xor_b32 s2, s2, s1
	v_ashrrev_i32_e32 v10, 31, v9
	s_sub_i32 s2, s2, s1
	v_cmp_gt_i32_e64 s1, s11, v9
	v_lshlrev_b32_e32 v11, 2, v126
	s_waitcnt lgkmcnt(0)
	s_mul_i32 s28, s29, s24
	s_mul_i32 s14, s2, s14
	s_ashr_i32 s29, s28, 31
	s_barrier
	buffer_gl0_inv
	s_mov_b32 s35, exec_lo
	s_and_b32 s2, s35, s1
	buffer_store_dword v55, off, s[40:43], 0 offset:256 ; 4-byte Folded Spill
	buffer_store_dword v125, off, s[40:43], 0 offset:260 ; 4-byte Folded Spill
	;; [unrolled: 1-line block ×3, first 2 shown]
	s_mov_b32 exec_lo, s2
	s_cbranch_execz .LBB60_9
; %bb.6:
	s_load_dwordx2 s[2:3], s[4:5], 0x20
	v_mov_b32_e32 v1, 0
	s_ashr_i32 s15, s14, 31
	v_lshlrev_b32_e32 v0, 4, v126
	s_lshl_b64 s[36:37], s[14:15], 2
	v_cmp_neq_f32_e64 vcc_lo, s34, 0
	ds_read_b128 v[2:5], v1
	v_mov_b32_e32 v7, 0xff7fffff
	s_mov_b32 s4, s13
	s_mov_b32 s5, 0
	s_waitcnt lgkmcnt(0)
	s_add_u32 s2, s2, s36
	s_addc_u32 s3, s3, s37
	v_add_co_u32 v0, s2, s2, v0
	s_sub_i32 s15, 1, s25
	buffer_store_dword v0, off, s[40:43], 0 ; 4-byte Folded Spill
	v_add_co_ci_u32_e64 v0, null, s3, 0, s2
	s_lshl_b64 s[2:3], s[28:29], 2
	s_add_u32 s2, s22, s2
	buffer_store_dword v0, off, s[40:43], 0 offset:16 ; 4-byte Folded Spill
	buffer_store_dword v2, off, s[40:43], 0 offset:32 ; 4-byte Folded Spill
	;; [unrolled: 1-line block ×5, first 2 shown]
	ds_read_b128 v[2:5], v1 offset:16
	v_lshlrev_b32_e32 v0, 5, v125
	s_addc_u32 s3, s23, s3
	s_waitcnt lgkmcnt(0)
	buffer_store_dword v2, off, s[40:43], 0 offset:56 ; 4-byte Folded Spill
	buffer_store_dword v3, off, s[40:43], 0 offset:60 ; 4-byte Folded Spill
	;; [unrolled: 1-line block ×4, first 2 shown]
	ds_read_b128 v[2:5], v1 offset:32
	v_add3_u32 v127, s33, v0, v126
	v_lshl_or_b32 v0, v125, 7, v11
	s_waitcnt lgkmcnt(0)
	buffer_store_dword v2, off, s[40:43], 0 offset:72 ; 4-byte Folded Spill
	buffer_store_dword v3, off, s[40:43], 0 offset:76 ; 4-byte Folded Spill
	;; [unrolled: 1-line block ×4, first 2 shown]
	ds_read_b128 v[2:5], v1 offset:48
	v_add_nc_u32_e32 v0, 0x220, v0
	s_waitcnt lgkmcnt(0)
	buffer_store_dword v2, off, s[40:43], 0 offset:88 ; 4-byte Folded Spill
	buffer_store_dword v3, off, s[40:43], 0 offset:92 ; 4-byte Folded Spill
	buffer_store_dword v4, off, s[40:43], 0 offset:96 ; 4-byte Folded Spill
	buffer_store_dword v5, off, s[40:43], 0 offset:100 ; 4-byte Folded Spill
	ds_read_b128 v[2:5], v1 offset:64
	s_waitcnt lgkmcnt(0)
	buffer_store_dword v2, off, s[40:43], 0 offset:104 ; 4-byte Folded Spill
	buffer_store_dword v3, off, s[40:43], 0 offset:108 ; 4-byte Folded Spill
	buffer_store_dword v4, off, s[40:43], 0 offset:112 ; 4-byte Folded Spill
	buffer_store_dword v5, off, s[40:43], 0 offset:116 ; 4-byte Folded Spill
	ds_read_b128 v[2:5], v1 offset:80
	;; [unrolled: 6-line block ×3, first 2 shown]
	ds_read_b128 v[29:32], v1 offset:112
	ds_read_b128 v[33:36], v1 offset:128
	;; [unrolled: 1-line block ×25, first 2 shown]
	buffer_store_dword v11, off, s[40:43], 0 offset:136 ; 4-byte Folded Spill
	v_lshlrev_b64 v[5:6], 2, v[9:10]
	buffer_store_dword v9, off, s[40:43], 0 offset:48 ; 4-byte Folded Spill
	buffer_store_dword v10, off, s[40:43], 0 offset:52 ; 4-byte Folded Spill
	v_add_co_u32 v125, s2, s2, v5
	v_add_co_ci_u32_e64 v126, null, s3, v6, s2
	v_mov_b32_e32 v8, v9
.LBB60_7:                               ; =>This Inner Loop Header: Depth=1
	global_load_dword v5, v[125:126], off
	buffer_load_dword v9, off, s[40:43], 0  ; 4-byte Folded Reload
	v_add_nc_u32_e32 v8, 4, v8
	v_cmp_le_i32_e64 s3, s11, v8
	s_or_b32 s5, s3, s5
	s_waitcnt vmcnt(1)
	v_mad_i64_i32 v[5:6], null, v5, s4, 0
	v_lshlrev_b64 v[5:6], 2, v[5:6]
	s_waitcnt vmcnt(0)
	v_add_co_u32 v5, s2, v9, v5
	buffer_load_dword v9, off, s[40:43], 0 offset:16 ; 4-byte Folded Reload
	s_waitcnt vmcnt(0)
	v_add_co_ci_u32_e64 v6, null, v9, v6, s2
	global_load_dwordx4 v[9:12], v[5:6], off offset:512
	s_clause 0x3
	buffer_load_dword v13, off, s[40:43], 0 offset:56
	buffer_load_dword v14, off, s[40:43], 0 offset:60
	;; [unrolled: 1-line block ×4, first 2 shown]
	s_waitcnt vmcnt(3)
	v_mul_f32_e32 v9, v13, v9
	s_waitcnt vmcnt(2)
	v_mul_f32_e32 v10, v14, v10
	;; [unrolled: 2-line block ×4, first 2 shown]
	global_load_dwordx4 v[13:16], v[5:6], off
	s_clause 0x3
	buffer_load_dword v17, off, s[40:43], 0 offset:32
	buffer_load_dword v18, off, s[40:43], 0 offset:36
	;; [unrolled: 1-line block ×4, first 2 shown]
	s_waitcnt vmcnt(3)
	v_fmac_f32_e32 v9, v17, v13
	s_waitcnt vmcnt(2)
	v_fmac_f32_e32 v10, v18, v14
	;; [unrolled: 2-line block ×4, first 2 shown]
	global_load_dwordx4 v[13:16], v[5:6], off offset:1024
	s_clause 0x3
	buffer_load_dword v17, off, s[40:43], 0 offset:72
	buffer_load_dword v18, off, s[40:43], 0 offset:76
	;; [unrolled: 1-line block ×4, first 2 shown]
	s_waitcnt vmcnt(3)
	v_fmac_f32_e32 v9, v17, v13
	s_waitcnt vmcnt(2)
	v_fmac_f32_e32 v10, v18, v14
	;; [unrolled: 2-line block ×4, first 2 shown]
	global_load_dwordx4 v[13:16], v[5:6], off offset:1536
	s_clause 0x3
	buffer_load_dword v17, off, s[40:43], 0 offset:88
	buffer_load_dword v18, off, s[40:43], 0 offset:92
	;; [unrolled: 1-line block ×4, first 2 shown]
	s_waitcnt vmcnt(3)
	v_fmac_f32_e32 v9, v17, v13
	v_add_co_u32 v17, s2, v5, 0x1000
	s_waitcnt vmcnt(2)
	v_fmac_f32_e32 v10, v18, v14
	v_add_co_ci_u32_e64 v18, null, 0, v6, s2
	s_waitcnt vmcnt(1)
	v_fmac_f32_e32 v11, v19, v15
	s_waitcnt vmcnt(0)
	v_fmac_f32_e32 v12, v20, v16
	global_load_dwordx4 v[13:16], v[17:18], off offset:-2048
	s_clause 0x3
	buffer_load_dword v19, off, s[40:43], 0 offset:104
	buffer_load_dword v20, off, s[40:43], 0 offset:108
	;; [unrolled: 1-line block ×4, first 2 shown]
	s_waitcnt vmcnt(3)
	v_fmac_f32_e32 v9, v19, v13
	v_add_co_u32 v19, s2, 0x800, v5
	s_waitcnt vmcnt(2)
	v_fmac_f32_e32 v10, v20, v14
	v_add_co_ci_u32_e64 v20, null, 0, v6, s2
	s_waitcnt vmcnt(1)
	v_fmac_f32_e32 v11, v21, v15
	s_waitcnt vmcnt(0)
	v_fmac_f32_e32 v12, v22, v16
	global_load_dwordx4 v[13:16], v[19:20], off offset:512
	s_clause 0x3
	buffer_load_dword v21, off, s[40:43], 0 offset:120
	buffer_load_dword v22, off, s[40:43], 0 offset:124
	;; [unrolled: 1-line block ×4, first 2 shown]
	s_waitcnt vmcnt(3)
	v_fmac_f32_e32 v9, v21, v13
	s_waitcnt vmcnt(2)
	v_fmac_f32_e32 v10, v22, v14
	;; [unrolled: 2-line block ×4, first 2 shown]
	global_load_dwordx4 v[13:16], v[19:20], off offset:1024
	s_waitcnt vmcnt(0) lgkmcnt(25)
	v_fmac_f32_e32 v9, v25, v13
	v_fmac_f32_e32 v10, v26, v14
	;; [unrolled: 1-line block ×4, first 2 shown]
	global_load_dwordx4 v[13:16], v[19:20], off offset:1536
	s_waitcnt vmcnt(0) lgkmcnt(24)
	v_fmac_f32_e32 v9, v29, v13
	v_fmac_f32_e32 v10, v30, v14
	;; [unrolled: 1-line block ×4, first 2 shown]
	global_load_dwordx4 v[13:16], v[17:18], off
	v_add_co_u32 v17, s2, 0x1000, v5
	v_add_co_ci_u32_e64 v18, null, 0, v6, s2
	s_waitcnt vmcnt(0) lgkmcnt(23)
	v_fmac_f32_e32 v9, v33, v13
	v_fmac_f32_e32 v10, v34, v14
	v_fmac_f32_e32 v11, v35, v15
	v_fmac_f32_e32 v12, v36, v16
	global_load_dwordx4 v[13:16], v[17:18], off offset:512
	s_waitcnt vmcnt(0) lgkmcnt(22)
	v_fmac_f32_e32 v9, v37, v13
	v_fmac_f32_e32 v10, v38, v14
	v_fmac_f32_e32 v11, v39, v15
	v_fmac_f32_e32 v12, v40, v16
	global_load_dwordx4 v[13:16], v[17:18], off offset:1024
	;; [unrolled: 6-line block ×3, first 2 shown]
	v_add_co_u32 v17, s2, v5, 0x2000
	v_add_co_ci_u32_e64 v18, null, 0, v6, s2
	v_add_co_u32 v19, s2, 0x1800, v5
	v_add_co_ci_u32_e64 v20, null, 0, v6, s2
	s_waitcnt vmcnt(0) lgkmcnt(20)
	v_fmac_f32_e32 v9, v45, v13
	v_fmac_f32_e32 v10, v46, v14
	;; [unrolled: 1-line block ×4, first 2 shown]
	global_load_dwordx4 v[13:16], v[17:18], off offset:-2048
	s_waitcnt vmcnt(0) lgkmcnt(19)
	v_fmac_f32_e32 v9, v49, v13
	v_fmac_f32_e32 v10, v50, v14
	v_fmac_f32_e32 v11, v51, v15
	v_fmac_f32_e32 v12, v52, v16
	global_load_dwordx4 v[13:16], v[19:20], off offset:512
	s_waitcnt vmcnt(0) lgkmcnt(18)
	v_fmac_f32_e32 v9, v53, v13
	v_fmac_f32_e32 v10, v54, v14
	v_fmac_f32_e32 v11, v55, v15
	v_fmac_f32_e32 v12, v56, v16
	global_load_dwordx4 v[13:16], v[19:20], off offset:1024
	;; [unrolled: 6-line block ×3, first 2 shown]
	s_waitcnt vmcnt(0) lgkmcnt(16)
	v_fmac_f32_e32 v9, v61, v13
	v_fmac_f32_e32 v10, v62, v14
	;; [unrolled: 1-line block ×4, first 2 shown]
	global_load_dwordx4 v[13:16], v[17:18], off
	v_add_co_u32 v17, s2, 0x2000, v5
	v_add_co_ci_u32_e64 v18, null, 0, v6, s2
	s_waitcnt vmcnt(0) lgkmcnt(15)
	v_fmac_f32_e32 v9, v65, v13
	v_fmac_f32_e32 v10, v66, v14
	v_fmac_f32_e32 v11, v67, v15
	v_fmac_f32_e32 v12, v68, v16
	global_load_dwordx4 v[13:16], v[17:18], off offset:512
	s_waitcnt vmcnt(0) lgkmcnt(14)
	v_fmac_f32_e32 v9, v69, v13
	v_fmac_f32_e32 v10, v70, v14
	v_fmac_f32_e32 v11, v71, v15
	v_fmac_f32_e32 v12, v72, v16
	global_load_dwordx4 v[13:16], v[17:18], off offset:1024
	;; [unrolled: 6-line block ×3, first 2 shown]
	v_add_co_u32 v17, s2, v5, 0x3000
	v_add_co_ci_u32_e64 v18, null, 0, v6, s2
	v_add_co_u32 v19, s2, 0x2800, v5
	v_add_co_ci_u32_e64 v20, null, 0, v6, s2
	s_waitcnt vmcnt(0) lgkmcnt(12)
	v_fmac_f32_e32 v9, v77, v13
	v_fmac_f32_e32 v10, v78, v14
	;; [unrolled: 1-line block ×4, first 2 shown]
	global_load_dwordx4 v[13:16], v[17:18], off offset:-2048
	s_waitcnt vmcnt(0) lgkmcnt(11)
	v_fmac_f32_e32 v9, v81, v13
	v_fmac_f32_e32 v10, v82, v14
	v_fmac_f32_e32 v11, v83, v15
	v_fmac_f32_e32 v12, v84, v16
	global_load_dwordx4 v[13:16], v[19:20], off offset:512
	s_waitcnt vmcnt(0) lgkmcnt(10)
	v_fmac_f32_e32 v9, v85, v13
	v_fmac_f32_e32 v10, v86, v14
	v_fmac_f32_e32 v11, v87, v15
	v_fmac_f32_e32 v12, v88, v16
	global_load_dwordx4 v[13:16], v[19:20], off offset:1024
	;; [unrolled: 6-line block ×3, first 2 shown]
	s_waitcnt vmcnt(0) lgkmcnt(8)
	v_fmac_f32_e32 v9, v93, v13
	v_fmac_f32_e32 v10, v94, v14
	;; [unrolled: 1-line block ×4, first 2 shown]
	global_load_dwordx4 v[13:16], v[17:18], off
	v_add_co_u32 v17, s2, 0x3000, v5
	v_add_co_ci_u32_e64 v18, null, 0, v6, s2
	v_add_co_u32 v5, s2, 0x3800, v5
	v_add_co_ci_u32_e64 v6, null, 0, v6, s2
	v_cmp_gt_i32_e64 s2, s25, v127
	s_waitcnt vmcnt(0) lgkmcnt(7)
	v_fmac_f32_e32 v9, v97, v13
	v_fmac_f32_e32 v10, v98, v14
	v_fmac_f32_e32 v11, v99, v15
	v_fmac_f32_e32 v12, v100, v16
	global_load_dwordx4 v[13:16], v[17:18], off offset:512
	s_waitcnt vmcnt(0) lgkmcnt(6)
	v_fmac_f32_e32 v9, v101, v13
	v_fmac_f32_e32 v10, v102, v14
	v_fmac_f32_e32 v11, v103, v15
	v_fmac_f32_e32 v12, v104, v16
	global_load_dwordx4 v[13:16], v[17:18], off offset:1024
	;; [unrolled: 6-line block ×3, first 2 shown]
	s_waitcnt vmcnt(0) lgkmcnt(4)
	v_fmac_f32_e32 v9, v109, v13
	v_fmac_f32_e32 v10, v110, v14
	;; [unrolled: 1-line block ×4, first 2 shown]
	global_load_dwordx4 v[13:16], v[5:6], off
	s_waitcnt vmcnt(0) lgkmcnt(3)
	v_fmac_f32_e32 v9, v113, v13
	v_fmac_f32_e32 v10, v114, v14
	v_fmac_f32_e32 v11, v115, v15
	v_fmac_f32_e32 v12, v116, v16
	global_load_dwordx4 v[13:16], v[5:6], off offset:512
	s_waitcnt vmcnt(0) lgkmcnt(2)
	v_fmac_f32_e32 v9, v117, v13
	v_fmac_f32_e32 v10, v118, v14
	v_fmac_f32_e32 v11, v119, v15
	v_fmac_f32_e32 v12, v120, v16
	global_load_dwordx4 v[13:16], v[5:6], off offset:1024
	;; [unrolled: 6-line block ×3, first 2 shown]
	v_add_nc_u32_e32 v6, s15, v127
	v_add_nc_u32_e32 v127, 0x80, v127
	v_cvt_f32_i32_e32 v6, v6
	v_mul_f32_e32 v6, s34, v6
	v_cndmask_b32_e32 v6, 0, v6, vcc_lo
	s_waitcnt vmcnt(0) lgkmcnt(0)
	v_fmac_f32_e32 v9, v1, v13
	v_fmac_f32_e32 v10, v2, v14
	v_fmac_f32_e32 v11, v3, v15
	v_fmac_f32_e32 v12, v4, v16
	v_add_f32_e32 v5, v9, v10
	v_add_f32_e32 v5, v11, v5
	;; [unrolled: 1-line block ×3, first 2 shown]
	v_fmac_f32_e32 v6, s31, v5
	v_max_f32_e32 v5, v7, v7
	v_max_f32_e32 v5, v5, v6
	v_cndmask_b32_e64 v6, 0, v6, s2
	v_cndmask_b32_e64 v7, v7, v5, s2
	v_add_co_u32 v125, s2, v125, 16
	ds_write_b32 v0, v6
	v_add_co_ci_u32_e64 v126, null, 0, v126, s2
	v_add_nc_u32_e32 v0, 0x200, v0
	s_andn2_b32 exec_lo, exec_lo, s5
	s_cbranch_execnz .LBB60_7
; %bb.8:
	s_or_b32 exec_lo, exec_lo, s5
	s_clause 0x5
	buffer_load_dword v55, off, s[40:43], 0 offset:256
	buffer_load_dword v125, off, s[40:43], 0 offset:260
	;; [unrolled: 1-line block ×6, first 2 shown]
.LBB60_9:
	s_or_b32 exec_lo, exec_lo, s35
	v_mbcnt_lo_u32_b32 v0, -1, 0
	v_max_f32_e32 v4, v7, v7
	v_xor_b32_e32 v1, 16, v0
	v_xor_b32_e32 v3, 8, v0
	v_cmp_gt_i32_e32 vcc_lo, 32, v1
	v_cndmask_b32_e32 v1, v0, v1, vcc_lo
	v_cmp_gt_i32_e32 vcc_lo, 32, v3
	v_lshlrev_b32_e32 v1, 2, v1
	v_cndmask_b32_e32 v3, v0, v3, vcc_lo
	ds_bpermute_b32 v2, v1, v7
	s_waitcnt lgkmcnt(0)
	v_max_f32_e32 v5, v2, v2
	v_lshlrev_b32_e32 v2, 2, v3
	v_max_f32_e32 v3, v4, v5
	v_xor_b32_e32 v5, 4, v0
	ds_bpermute_b32 v4, v2, v3
	v_cmp_gt_i32_e32 vcc_lo, 32, v5
	v_cndmask_b32_e32 v5, v0, v5, vcc_lo
	v_lshlrev_b32_e32 v39, 2, v5
	v_xor_b32_e32 v5, 2, v0
	v_cmp_gt_i32_e32 vcc_lo, 32, v5
	s_waitcnt lgkmcnt(0)
	v_max_f32_e32 v4, v4, v4
	v_cndmask_b32_e32 v5, v0, v5, vcc_lo
	v_max_f32_e32 v3, v3, v4
	v_lshlrev_b32_e32 v48, 2, v5
	v_xor_b32_e32 v5, 1, v0
	ds_bpermute_b32 v4, v39, v3
	v_cmp_gt_i32_e32 vcc_lo, 32, v5
	v_cndmask_b32_e32 v5, v0, v5, vcc_lo
	s_waitcnt vmcnt(3)
	v_cmp_eq_u32_e32 vcc_lo, 0, v126
	v_lshlrev_b32_e32 v54, 2, v5
	s_waitcnt lgkmcnt(0)
	v_max_f32_e32 v4, v4, v4
	v_max_f32_e32 v3, v3, v4
	ds_bpermute_b32 v4, v48, v3
	s_waitcnt lgkmcnt(0)
	v_max_f32_e32 v4, v4, v4
	v_max_f32_e32 v0, v3, v4
	v_lshlrev_b32_e32 v4, 2, v125
	ds_bpermute_b32 v3, v54, v0
	s_and_saveexec_b32 s2, vcc_lo
	s_cbranch_execz .LBB60_11
; %bb.10:
	s_waitcnt lgkmcnt(0)
	v_max_f32_e32 v3, v3, v3
	v_max_f32_e32 v0, v0, v0
	;; [unrolled: 1-line block ×3, first 2 shown]
	ds_write_b32 v4, v0 offset:512
.LBB60_11:
	s_or_b32 exec_lo, exec_lo, s2
	v_cmp_gt_u32_e64 s2, 4, v126
	v_mov_b32_e32 v0, 0xff7fffff
	s_waitcnt vmcnt(0) lgkmcnt(0)
	s_waitcnt_vscnt null, 0x0
	s_barrier
	buffer_gl0_inv
	s_and_saveexec_b32 s3, s2
; %bb.12:
	ds_read_b32 v0, v11 offset:512
; %bb.13:
	s_or_b32 exec_lo, exec_lo, s3
	s_waitcnt lgkmcnt(0)
	ds_bpermute_b32 v3, v48, v0
	v_max_f32_e32 v0, v0, v0
	v_mov_b32_e32 v5, 0
	s_sub_i32 s3, s11, s30
	s_lshl_b32 s3, s3, 5
	s_add_i32 s3, s3, s33
	s_min_i32 s3, s3, s25
	s_sub_i32 s5, s3, s33
	v_cmp_gt_i32_e64 s3, s5, v55
	s_waitcnt lgkmcnt(0)
	v_max_f32_e32 v3, v3, v3
	v_max_f32_e32 v0, v0, v3
	ds_bpermute_b32 v3, v54, v0
	s_waitcnt lgkmcnt(0)
	v_max_f32_e32 v3, v3, v3
	v_max_f32_e32 v0, v0, v3
	v_lshl_add_u32 v3, v55, 2, 0x220
	ds_bpermute_b32 v0, v5, v0
	s_and_saveexec_b32 s15, s3
	s_cbranch_execz .LBB60_17
; %bb.14:
	v_lshl_add_u32 v6, v55, 2, 0x220
	v_mov_b32_e32 v5, 0
	v_mov_b32_e32 v7, v55
	s_mov_b32 s30, 0
	.p2align	6
.LBB60_15:                              ; =>This Inner Loop Header: Depth=1
	ds_read_b32 v8, v6
	v_add_nc_u32_e32 v7, 0x80, v7
	v_cmp_le_i32_e64 s4, s5, v7
	s_or_b32 s30, s4, s30
	s_waitcnt lgkmcnt(0)
	v_sub_f32_e32 v8, v8, v0
	v_mul_f32_e32 v8, 0x3fb8aa3b, v8
	v_exp_f32_e32 v8, v8
	ds_write_b32 v6, v8
	v_add_f32_e32 v5, v5, v8
	v_add_nc_u32_e32 v6, 0x200, v6
	s_andn2_b32 exec_lo, exec_lo, s30
	s_cbranch_execnz .LBB60_15
; %bb.16:
	s_or_b32 exec_lo, exec_lo, s30
.LBB60_17:
	s_or_b32 exec_lo, exec_lo, s15
	ds_bpermute_b32 v1, v1, v5
	s_waitcnt lgkmcnt(0)
	v_add_f32_e32 v1, v5, v1
	ds_bpermute_b32 v2, v2, v1
	s_waitcnt lgkmcnt(0)
	v_add_f32_e32 v1, v1, v2
	;; [unrolled: 3-line block ×5, first 2 shown]
	s_and_saveexec_b32 s4, vcc_lo
; %bb.18:
	ds_write_b32 v4, v1 offset:528
; %bb.19:
	s_or_b32 exec_lo, exec_lo, s4
	s_waitcnt lgkmcnt(0)
	s_barrier
	buffer_gl0_inv
	s_and_saveexec_b32 s4, s2
; %bb.20:
	ds_read_b32 v1, v11 offset:528
; %bb.21:
	s_or_b32 exec_lo, exec_lo, s4
	s_waitcnt lgkmcnt(0)
	ds_bpermute_b32 v2, v48, v1
	s_waitcnt lgkmcnt(0)
	v_add_f32_e32 v1, v1, v2
	ds_bpermute_b32 v2, v54, v1
	s_waitcnt lgkmcnt(0)
	v_add_f32_e32 v1, v1, v2
	v_mov_b32_e32 v2, 0
	ds_bpermute_b32 v1, v2, v1
	s_and_saveexec_b32 s2, s3
	s_cbranch_execz .LBB60_24
; %bb.22:
	s_waitcnt lgkmcnt(0)
	v_add_f32_e32 v2, 0x358637bd, v1
	s_mov_b32 s3, 0
	v_div_scale_f32 v4, null, v2, v2, 1.0
	v_div_scale_f32 v7, vcc_lo, 1.0, v2, 1.0
	v_rcp_f32_e32 v5, v4
	v_fma_f32 v6, -v4, v5, 1.0
	v_fmac_f32_e32 v5, v6, v5
	v_mul_f32_e32 v6, v7, v5
	v_fma_f32 v8, -v4, v6, v7
	v_fmac_f32_e32 v6, v8, v5
	v_fma_f32 v4, -v4, v6, v7
	v_div_fmas_f32 v4, v4, v5, v6
	v_div_fixup_f32 v2, v4, v2, 1.0
	v_mov_b32_e32 v4, v55
.LBB60_23:                              ; =>This Inner Loop Header: Depth=1
	ds_read_b32 v5, v3
	v_add_nc_u32_e32 v4, 0x80, v4
	v_cmp_le_i32_e32 vcc_lo, s5, v4
	s_or_b32 s3, vcc_lo, s3
	s_waitcnt lgkmcnt(0)
	v_mul_f32_e32 v5, v2, v5
	ds_write_b32 v3, v5
	v_add_nc_u32_e32 v3, 0x200, v3
	s_andn2_b32 exec_lo, exec_lo, s3
	s_cbranch_execnz .LBB60_23
.LBB60_24:
	s_or_b32 exec_lo, exec_lo, s2
	s_mul_i32 s2, s7, s24
	s_mov_b32 s4, exec_lo
	s_mul_i32 s2, s2, s9
	s_waitcnt lgkmcnt(0)
	s_barrier
	buffer_gl0_inv
	v_cmpx_eq_u32_e32 0, v55
	s_cbranch_execz .LBB60_26
; %bb.25:
	s_ashr_i32 s3, s2, 31
	s_mul_i32 s34, s7, s6
	s_lshl_b64 s[30:31], s[2:3], 2
	v_mov_b32_e32 v2, 0
	s_add_u32 s3, s18, s30
	s_addc_u32 s5, s19, s31
	s_ashr_i32 s35, s34, 31
	s_lshl_b64 s[18:19], s[34:35], 2
	s_add_u32 s3, s3, s18
	s_addc_u32 s5, s5, s19
	s_ashr_i32 s9, s8, 31
	s_lshl_b64 s[34:35], s[8:9], 2
	s_add_u32 s36, s3, s34
	s_addc_u32 s37, s5, s35
	s_add_u32 s3, s16, s30
	s_addc_u32 s5, s17, s31
	;; [unrolled: 2-line block ×4, first 2 shown]
	global_store_dword v2, v0, s[36:37]
	global_store_dword v2, v1, s[16:17]
.LBB60_26:
	s_or_b32 exec_lo, exec_lo, s4
	v_mov_b32_e32 v20, 0
	v_and_b32_e32 v56, 7, v55
	v_mov_b32_e32 v29, 0
	v_mov_b32_e32 v28, 0
	;; [unrolled: 1-line block ×31, first 2 shown]
	s_and_saveexec_b32 s3, s1
	s_cbranch_execz .LBB60_94
; %bb.27:
	v_lshlrev_b32_e32 v0, 2, v55
	v_lshlrev_b32_e32 v2, 4, v56
	v_lshl_add_u32 v4, v125, 5, s33
	v_mov_b32_e32 v5, 0
	s_ashr_i32 s15, s14, 31
	v_and_b32_e32 v1, 28, v0
	s_lshl_b64 s[4:5], s[14:15], 2
	buffer_store_dword v39, off, s[40:43], 0 offset:276 ; 4-byte Folded Spill
	buffer_store_dword v48, off, s[40:43], 0 offset:272 ; 4-byte Folded Spill
	;; [unrolled: 1-line block ×3, first 2 shown]
	v_and_b32_e32 v3, 0x7c, v0
	buffer_store_dword v5, off, s[40:43], 0 offset:56 ; 4-byte Folded Spill
	v_lshl_or_b32 v2, v125, 7, v2
	v_or_b32_e32 v5, 0xf80, v0
	v_add3_u32 v125, v4, v1, 3
	v_lshlrev_b64 v[0:1], 2, v[9:10]
	s_add_u32 s4, s26, s4
	s_addc_u32 s5, s27, s5
	s_lshl_b64 s[14:15], s[28:29], 2
	s_add_i32 s6, s12, -1
	s_add_u32 s1, s22, s14
	s_addc_u32 s9, s23, s15
	v_add_co_u32 v126, vcc_lo, s1, v0
	v_lshlrev_b32_e32 v0, 2, v3
	v_add_nc_u32_e32 v2, 0x220, v2
	v_add_co_ci_u32_e64 v127, null, s9, v1, vcc_lo
	v_mov_b32_e32 v7, 0
	buffer_store_dword v0, off, s[40:43], 0 offset:248 ; 4-byte Folded Spill
	v_lshlrev_b32_e32 v0, 2, v5
	v_mov_b32_e32 v6, 0
	v_mov_b32_e32 v5, 0
	s_mov_b32 s12, s13
	s_mov_b32 s9, 0
	buffer_store_dword v0, off, s[40:43], 0 offset:252 ; 4-byte Folded Spill
	v_mov_b32_e32 v0, 0
	buffer_store_dword v56, off, s[40:43], 0 offset:280 ; 4-byte Folded Spill
	buffer_store_dword v0, off, s[40:43], 0 offset:72 ; 4-byte Folded Spill
	v_mov_b32_e32 v0, 0
	buffer_store_dword v0, off, s[40:43], 0 offset:88 ; 4-byte Folded Spill
	v_mov_b32_e32 v0, 0
	;; [unrolled: 2-line block ×27, first 2 shown]
	buffer_store_dword v0, off, s[40:43], 0 offset:220 ; 4-byte Folded Spill
	s_branch .LBB60_29
.LBB60_28:                              ;   in Loop: Header=BB60_29 Depth=1
	s_or_b32 exec_lo, exec_lo, s1
	s_waitcnt lgkmcnt(0)
	v_mul_f32_e32 v0, v1, v9
	buffer_load_dword v9, off, s[40:43], 0 offset:72 ; 4-byte Folded Reload
	v_add_co_u32 v126, vcc_lo, v126, 16
	v_add_co_ci_u32_e64 v127, null, 0, v127, vcc_lo
	v_fmac_f32_e32 v0, v2, v10
	v_add_nc_u32_e32 v125, 0x80, v125
	v_fmac_f32_e32 v0, v3, v11
	v_fmac_f32_e32 v0, v4, v12
	s_waitcnt vmcnt(0)
	v_add_f32_e32 v9, v9, v0
	v_mul_f32_e32 v0, v1, v5
	buffer_load_dword v5, off, s[40:43], 0 offset:88 ; 4-byte Folded Reload
	buffer_store_dword v9, off, s[40:43], 0 offset:72 ; 4-byte Folded Spill
	v_fmac_f32_e32 v0, v2, v6
	buffer_load_dword v6, off, s[40:43], 0 offset:236 ; 4-byte Folded Reload
	v_fmac_f32_e32 v0, v3, v7
	buffer_load_dword v7, off, s[40:43], 0 offset:232 ; 4-byte Folded Reload
	;; [unrolled: 2-line block ×3, first 2 shown]
	s_waitcnt vmcnt(3)
	v_add_f32_e32 v5, v5, v0
	v_mul_f32_e32 v0, v1, v121
	buffer_store_dword v5, off, s[40:43], 0 offset:88 ; 4-byte Folded Spill
	buffer_load_dword v5, off, s[40:43], 0 offset:104 ; 4-byte Folded Reload
	v_fmac_f32_e32 v0, v2, v122
	v_fmac_f32_e32 v0, v3, v123
	v_fmac_f32_e32 v0, v4, v124
	s_waitcnt vmcnt(0)
	v_add_f32_e32 v5, v5, v0
	v_mul_f32_e32 v0, v1, v117
	buffer_store_dword v5, off, s[40:43], 0 offset:104 ; 4-byte Folded Spill
	buffer_load_dword v5, off, s[40:43], 0 offset:120 ; 4-byte Folded Reload
	v_fmac_f32_e32 v0, v2, v118
	v_fmac_f32_e32 v0, v3, v119
	v_fmac_f32_e32 v0, v4, v120
	s_waitcnt vmcnt(0)
	v_add_f32_e32 v5, v5, v0
	v_mul_f32_e32 v0, v1, v113
	buffer_store_dword v5, off, s[40:43], 0 offset:120 ; 4-byte Folded Spill
	buffer_load_dword v5, off, s[40:43], 0 offset:136 ; 4-byte Folded Reload
	v_fmac_f32_e32 v0, v2, v114
	v_fmac_f32_e32 v0, v3, v115
	v_fmac_f32_e32 v0, v4, v116
	s_waitcnt vmcnt(0)
	v_add_f32_e32 v5, v5, v0
	v_mul_f32_e32 v0, v1, v109
	buffer_store_dword v5, off, s[40:43], 0 offset:136 ; 4-byte Folded Spill
	buffer_load_dword v5, off, s[40:43], 0 offset:140 ; 4-byte Folded Reload
	v_fmac_f32_e32 v0, v2, v110
	v_fmac_f32_e32 v0, v3, v111
	v_fmac_f32_e32 v0, v4, v112
	s_waitcnt vmcnt(0)
	v_add_f32_e32 v5, v5, v0
	v_mul_f32_e32 v0, v1, v105
	buffer_store_dword v5, off, s[40:43], 0 offset:140 ; 4-byte Folded Spill
	buffer_load_dword v5, off, s[40:43], 0 offset:144 ; 4-byte Folded Reload
	v_fmac_f32_e32 v0, v2, v106
	v_fmac_f32_e32 v0, v3, v107
	v_fmac_f32_e32 v0, v4, v108
	s_waitcnt vmcnt(0)
	v_add_f32_e32 v5, v5, v0
	v_mul_f32_e32 v0, v1, v101
	buffer_store_dword v5, off, s[40:43], 0 offset:144 ; 4-byte Folded Spill
	buffer_load_dword v5, off, s[40:43], 0 offset:148 ; 4-byte Folded Reload
	v_fmac_f32_e32 v0, v2, v102
	v_fmac_f32_e32 v0, v3, v103
	v_fmac_f32_e32 v0, v4, v104
	s_waitcnt vmcnt(0)
	v_add_f32_e32 v5, v5, v0
	v_mul_f32_e32 v0, v1, v97
	buffer_store_dword v5, off, s[40:43], 0 offset:148 ; 4-byte Folded Spill
	buffer_load_dword v5, off, s[40:43], 0 offset:152 ; 4-byte Folded Reload
	v_fmac_f32_e32 v0, v2, v98
	v_fmac_f32_e32 v0, v3, v99
	v_fmac_f32_e32 v0, v4, v100
	s_waitcnt vmcnt(0)
	v_add_f32_e32 v5, v5, v0
	v_mul_f32_e32 v0, v1, v89
	buffer_store_dword v5, off, s[40:43], 0 offset:152 ; 4-byte Folded Spill
	buffer_load_dword v5, off, s[40:43], 0 offset:156 ; 4-byte Folded Reload
	v_fmac_f32_e32 v0, v2, v90
	v_fmac_f32_e32 v0, v3, v91
	v_fmac_f32_e32 v0, v4, v92
	s_waitcnt vmcnt(0)
	v_add_f32_e32 v5, v5, v0
	v_mul_f32_e32 v0, v1, v85
	buffer_store_dword v5, off, s[40:43], 0 offset:156 ; 4-byte Folded Spill
	buffer_load_dword v5, off, s[40:43], 0 offset:160 ; 4-byte Folded Reload
	v_fmac_f32_e32 v0, v2, v86
	v_fmac_f32_e32 v0, v3, v87
	v_fmac_f32_e32 v0, v4, v88
	s_waitcnt vmcnt(0)
	v_add_f32_e32 v5, v5, v0
	v_mul_f32_e32 v0, v1, v81
	buffer_store_dword v5, off, s[40:43], 0 offset:160 ; 4-byte Folded Spill
	buffer_load_dword v5, off, s[40:43], 0 offset:164 ; 4-byte Folded Reload
	v_fmac_f32_e32 v0, v2, v82
	v_fmac_f32_e32 v0, v3, v83
	v_fmac_f32_e32 v0, v4, v84
	s_waitcnt vmcnt(0)
	v_add_f32_e32 v5, v5, v0
	v_mul_f32_e32 v0, v1, v77
	buffer_store_dword v5, off, s[40:43], 0 offset:164 ; 4-byte Folded Spill
	buffer_load_dword v5, off, s[40:43], 0 offset:168 ; 4-byte Folded Reload
	v_fmac_f32_e32 v0, v2, v78
	v_fmac_f32_e32 v0, v3, v79
	v_fmac_f32_e32 v0, v4, v80
	s_waitcnt vmcnt(0)
	v_add_f32_e32 v5, v5, v0
	v_mul_f32_e32 v0, v1, v73
	buffer_store_dword v5, off, s[40:43], 0 offset:168 ; 4-byte Folded Spill
	buffer_load_dword v5, off, s[40:43], 0 offset:172 ; 4-byte Folded Reload
	v_fmac_f32_e32 v0, v2, v74
	v_fmac_f32_e32 v0, v3, v75
	v_fmac_f32_e32 v0, v4, v76
	s_waitcnt vmcnt(0)
	v_add_f32_e32 v5, v5, v0
	v_mul_f32_e32 v0, v1, v69
	buffer_store_dword v5, off, s[40:43], 0 offset:172 ; 4-byte Folded Spill
	buffer_load_dword v5, off, s[40:43], 0 offset:176 ; 4-byte Folded Reload
	v_fmac_f32_e32 v0, v2, v70
	v_fmac_f32_e32 v0, v3, v71
	v_fmac_f32_e32 v0, v4, v72
	s_waitcnt vmcnt(0)
	v_add_f32_e32 v5, v5, v0
	v_mul_f32_e32 v0, v1, v65
	buffer_store_dword v5, off, s[40:43], 0 offset:176 ; 4-byte Folded Spill
	buffer_load_dword v5, off, s[40:43], 0 offset:180 ; 4-byte Folded Reload
	v_fmac_f32_e32 v0, v2, v66
	v_fmac_f32_e32 v0, v3, v67
	v_fmac_f32_e32 v0, v4, v68
	s_waitcnt vmcnt(0)
	v_add_f32_e32 v5, v5, v0
	v_mul_f32_e32 v0, v1, v61
	buffer_store_dword v5, off, s[40:43], 0 offset:180 ; 4-byte Folded Spill
	buffer_load_dword v5, off, s[40:43], 0 offset:184 ; 4-byte Folded Reload
	v_fmac_f32_e32 v0, v2, v62
	v_fmac_f32_e32 v0, v3, v63
	v_fmac_f32_e32 v0, v4, v64
	s_waitcnt vmcnt(0)
	v_add_f32_e32 v5, v5, v0
	v_mul_f32_e32 v0, v1, v57
	buffer_store_dword v5, off, s[40:43], 0 offset:184 ; 4-byte Folded Spill
	buffer_load_dword v5, off, s[40:43], 0 offset:188 ; 4-byte Folded Reload
	v_fmac_f32_e32 v0, v2, v58
	v_fmac_f32_e32 v0, v3, v59
	v_fmac_f32_e32 v0, v4, v60
	s_waitcnt vmcnt(0)
	v_add_f32_e32 v5, v5, v0
	v_mul_f32_e32 v0, v1, v53
	buffer_store_dword v5, off, s[40:43], 0 offset:188 ; 4-byte Folded Spill
	buffer_load_dword v5, off, s[40:43], 0 offset:192 ; 4-byte Folded Reload
	v_fmac_f32_e32 v0, v2, v54
	v_fmac_f32_e32 v0, v3, v55
	v_fmac_f32_e32 v0, v4, v56
	s_waitcnt vmcnt(0)
	v_add_f32_e32 v5, v5, v0
	v_mul_f32_e32 v0, v1, v49
	buffer_store_dword v5, off, s[40:43], 0 offset:192 ; 4-byte Folded Spill
	buffer_load_dword v5, off, s[40:43], 0 offset:196 ; 4-byte Folded Reload
	v_fmac_f32_e32 v0, v2, v50
	v_fmac_f32_e32 v0, v3, v51
	v_fmac_f32_e32 v0, v4, v52
	s_waitcnt vmcnt(0)
	v_add_f32_e32 v5, v5, v0
	v_mul_f32_e32 v0, v1, v45
	buffer_store_dword v5, off, s[40:43], 0 offset:196 ; 4-byte Folded Spill
	buffer_load_dword v5, off, s[40:43], 0 offset:200 ; 4-byte Folded Reload
	v_fmac_f32_e32 v0, v2, v46
	v_fmac_f32_e32 v0, v3, v47
	v_fmac_f32_e32 v0, v4, v48
	s_waitcnt vmcnt(0)
	v_add_f32_e32 v5, v5, v0
	v_mul_f32_e32 v0, v1, v41
	buffer_store_dword v5, off, s[40:43], 0 offset:200 ; 4-byte Folded Spill
	buffer_load_dword v5, off, s[40:43], 0 offset:204 ; 4-byte Folded Reload
	v_fmac_f32_e32 v0, v2, v42
	v_fmac_f32_e32 v0, v3, v43
	v_fmac_f32_e32 v0, v4, v44
	s_waitcnt vmcnt(0)
	v_add_f32_e32 v5, v5, v0
	v_mul_f32_e32 v0, v1, v37
	buffer_store_dword v5, off, s[40:43], 0 offset:204 ; 4-byte Folded Spill
	buffer_load_dword v5, off, s[40:43], 0 offset:208 ; 4-byte Folded Reload
	v_fmac_f32_e32 v0, v2, v38
	v_fmac_f32_e32 v0, v3, v39
	v_fmac_f32_e32 v0, v4, v40
	s_waitcnt vmcnt(0)
	v_add_f32_e32 v5, v5, v0
	v_mul_f32_e32 v0, v1, v33
	buffer_store_dword v5, off, s[40:43], 0 offset:208 ; 4-byte Folded Spill
	buffer_load_dword v5, off, s[40:43], 0 offset:240 ; 4-byte Folded Reload
	v_fmac_f32_e32 v0, v2, v34
	v_fmac_f32_e32 v0, v3, v35
	v_fmac_f32_e32 v0, v4, v36
	v_add_f32_e32 v7, v7, v0
	v_mul_f32_e32 v0, v1, v29
	v_fmac_f32_e32 v0, v2, v30
	v_fmac_f32_e32 v0, v3, v31
	;; [unrolled: 1-line block ×3, first 2 shown]
	v_add_f32_e32 v6, v6, v0
	v_mul_f32_e32 v0, v1, v25
	v_fmac_f32_e32 v0, v2, v26
	v_fmac_f32_e32 v0, v3, v27
	;; [unrolled: 1-line block ×3, first 2 shown]
	s_waitcnt vmcnt(0)
	v_add_f32_e32 v5, v5, v0
	v_mul_f32_e32 v0, v1, v21
	v_fmac_f32_e32 v0, v2, v22
	v_fmac_f32_e32 v0, v3, v23
	;; [unrolled: 1-line block ×3, first 2 shown]
	v_add_f32_e32 v8, v8, v0
	v_mul_f32_e32 v0, v1, v17
	buffer_store_dword v8, off, s[40:43], 0 offset:212 ; 4-byte Folded Spill
	buffer_load_dword v8, off, s[40:43], 0 offset:216 ; 4-byte Folded Reload
	v_fmac_f32_e32 v0, v2, v18
	v_fmac_f32_e32 v0, v3, v19
	;; [unrolled: 1-line block ×3, first 2 shown]
	s_waitcnt vmcnt(0)
	v_add_f32_e32 v8, v8, v0
	buffer_store_dword v8, off, s[40:43], 0 offset:216 ; 4-byte Folded Spill
	s_clause 0x3
	buffer_load_dword v8, off, s[40:43], 0 offset:32
	buffer_load_dword v9, off, s[40:43], 0 offset:36
	;; [unrolled: 1-line block ×4, first 2 shown]
	s_waitcnt vmcnt(3)
	v_mul_f32_e32 v0, v1, v8
	buffer_load_dword v8, off, s[40:43], 0 offset:224 ; 4-byte Folded Reload
	s_waitcnt vmcnt(3)
	v_fmac_f32_e32 v0, v2, v9
	s_waitcnt vmcnt(2)
	v_fmac_f32_e32 v0, v3, v10
	;; [unrolled: 2-line block ×3, first 2 shown]
	s_waitcnt vmcnt(0)
	v_add_f32_e32 v8, v8, v0
	buffer_store_dword v8, off, s[40:43], 0 offset:224 ; 4-byte Folded Spill
	s_clause 0x3
	buffer_load_dword v8, off, s[40:43], 0 offset:16
	buffer_load_dword v9, off, s[40:43], 0 offset:20
	;; [unrolled: 1-line block ×4, first 2 shown]
	s_waitcnt vmcnt(3)
	v_mul_f32_e32 v0, v1, v8
	buffer_load_dword v8, off, s[40:43], 0 offset:228 ; 4-byte Folded Reload
	s_waitcnt vmcnt(3)
	v_fmac_f32_e32 v0, v2, v9
	s_waitcnt vmcnt(2)
	v_fmac_f32_e32 v0, v3, v10
	;; [unrolled: 2-line block ×3, first 2 shown]
	s_waitcnt vmcnt(0)
	v_add_f32_e32 v8, v8, v0
	buffer_store_dword v8, off, s[40:43], 0 offset:228 ; 4-byte Folded Spill
	s_clause 0x3
	buffer_load_dword v8, off, s[40:43], 0
	buffer_load_dword v9, off, s[40:43], 0 offset:4
	buffer_load_dword v10, off, s[40:43], 0 offset:8
	buffer_load_dword v11, off, s[40:43], 0 offset:12
	s_waitcnt vmcnt(3)
	v_mul_f32_e32 v0, v1, v8
	buffer_load_dword v8, off, s[40:43], 0 offset:220 ; 4-byte Folded Reload
	s_waitcnt vmcnt(3)
	v_fmac_f32_e32 v0, v2, v9
	s_waitcnt vmcnt(2)
	v_fmac_f32_e32 v0, v3, v10
	;; [unrolled: 2-line block ×3, first 2 shown]
	s_waitcnt vmcnt(0)
	v_add_f32_e32 v8, v8, v0
	v_mul_f32_e32 v0, v1, v93
	buffer_load_dword v1, off, s[40:43], 0 offset:56 ; 4-byte Folded Reload
	buffer_store_dword v8, off, s[40:43], 0 offset:220 ; 4-byte Folded Spill
	v_fmac_f32_e32 v0, v2, v94
	v_fmac_f32_e32 v0, v3, v95
	;; [unrolled: 1-line block ×3, first 2 shown]
	s_waitcnt vmcnt(0)
	v_add_f32_e32 v1, v1, v0
	buffer_store_dword v1, off, s[40:43], 0 offset:56 ; 4-byte Folded Spill
	s_clause 0x2
	buffer_load_dword v9, off, s[40:43], 0 offset:48
	buffer_load_dword v10, off, s[40:43], 0 offset:52
	;; [unrolled: 1-line block ×3, first 2 shown]
	s_waitcnt vmcnt(2)
	v_add_nc_u32_e32 v9, 4, v9
	s_waitcnt vmcnt(0)
	v_add_nc_u32_e32 v2, 0x200, v2
	v_cmp_le_i32_e32 vcc_lo, s11, v9
	s_or_b32 s9, vcc_lo, s9
	s_andn2_b32 exec_lo, exec_lo, s9
	s_cbranch_execz .LBB60_93
.LBB60_29:                              ; =>This Inner Loop Header: Depth=1
	buffer_store_dword v5, off, s[40:43], 0 offset:240 ; 4-byte Folded Spill
	buffer_store_dword v6, off, s[40:43], 0 offset:236 ; 4-byte Folded Spill
	;; [unrolled: 1-line block ×3, first 2 shown]
	global_load_dword v0, v[126:127], off
	v_mov_b32_e32 v7, v9
	v_add_nc_u32_e32 v14, -2, v125
	s_waitcnt vmcnt(0)
	v_mad_i64_i32 v[0:1], null, v0, s12, 0
	v_lshlrev_b64 v[0:1], 2, v[0:1]
	v_add_co_u32 v15, vcc_lo, s4, v0
	buffer_load_dword v0, off, s[40:43], 0 offset:248 ; 4-byte Folded Reload
	v_add_co_ci_u32_e64 v16, null, s5, v1, vcc_lo
	s_waitcnt vmcnt(0)
	v_add_co_u32 v5, vcc_lo, v15, v0
	v_add_co_ci_u32_e64 v6, null, 0, v16, vcc_lo
	v_add_nc_u32_e32 v0, -3, v125
	v_cmp_eq_u32_e32 vcc_lo, s6, v9
	global_load_dwordx4 v[10:13], v[5:6], off
	s_waitcnt vmcnt(0)
	buffer_store_dword v10, off, s[40:43], 0 ; 4-byte Folded Spill
	buffer_store_dword v11, off, s[40:43], 0 offset:4 ; 4-byte Folded Spill
	buffer_store_dword v12, off, s[40:43], 0 offset:8 ; 4-byte Folded Spill
	;; [unrolled: 1-line block ×4, first 2 shown]
	ds_read_b128 v[1:4], v2
	v_add_nc_u32_e32 v13, -1, v125
	buffer_store_dword v7, off, s[40:43], 0 offset:48 ; 4-byte Folded Spill
	buffer_store_dword v8, off, s[40:43], 0 offset:52 ; 4-byte Folded Spill
	s_and_saveexec_b32 s13, vcc_lo
	s_cbranch_execz .LBB60_31
; %bb.30:                               ;   in Loop: Header=BB60_29 Depth=1
	s_clause 0x3
	buffer_load_dword v7, off, s[40:43], 0
	buffer_load_dword v8, off, s[40:43], 0 offset:4
	buffer_load_dword v9, off, s[40:43], 0 offset:8
	;; [unrolled: 1-line block ×3, first 2 shown]
	v_cmp_gt_i32_e64 s1, s25, v0
	s_waitcnt vmcnt(3)
	v_cndmask_b32_e64 v7, 0, v7, s1
	v_cmp_gt_i32_e64 s1, s25, v14
	s_waitcnt vmcnt(2)
	v_cndmask_b32_e64 v8, 0, v8, s1
	;; [unrolled: 3-line block ×4, first 2 shown]
	buffer_store_dword v7, off, s[40:43], 0 ; 4-byte Folded Spill
	buffer_store_dword v8, off, s[40:43], 0 offset:4 ; 4-byte Folded Spill
	buffer_store_dword v9, off, s[40:43], 0 offset:8 ; 4-byte Folded Spill
	;; [unrolled: 1-line block ×3, first 2 shown]
.LBB60_31:                              ;   in Loop: Header=BB60_29 Depth=1
	s_or_b32 exec_lo, exec_lo, s13
	global_load_dwordx4 v[7:10], v[5:6], off offset:512
	s_waitcnt vmcnt(0)
	buffer_store_dword v7, off, s[40:43], 0 offset:16 ; 4-byte Folded Spill
	buffer_store_dword v8, off, s[40:43], 0 offset:20 ; 4-byte Folded Spill
	;; [unrolled: 1-line block ×4, first 2 shown]
	s_and_saveexec_b32 s13, vcc_lo
	s_cbranch_execz .LBB60_33
; %bb.32:                               ;   in Loop: Header=BB60_29 Depth=1
	s_clause 0x3
	buffer_load_dword v7, off, s[40:43], 0 offset:16
	buffer_load_dword v8, off, s[40:43], 0 offset:20
	;; [unrolled: 1-line block ×4, first 2 shown]
	v_cmp_gt_i32_e64 s1, s25, v0
	s_waitcnt vmcnt(3)
	v_cndmask_b32_e64 v7, 0, v7, s1
	v_cmp_gt_i32_e64 s1, s25, v14
	s_waitcnt vmcnt(2)
	v_cndmask_b32_e64 v8, 0, v8, s1
	;; [unrolled: 3-line block ×4, first 2 shown]
	buffer_store_dword v7, off, s[40:43], 0 offset:16 ; 4-byte Folded Spill
	buffer_store_dword v8, off, s[40:43], 0 offset:20 ; 4-byte Folded Spill
	;; [unrolled: 1-line block ×4, first 2 shown]
.LBB60_33:                              ;   in Loop: Header=BB60_29 Depth=1
	s_or_b32 exec_lo, exec_lo, s13
	global_load_dwordx4 v[7:10], v[5:6], off offset:1024
	s_waitcnt vmcnt(0)
	buffer_store_dword v7, off, s[40:43], 0 offset:32 ; 4-byte Folded Spill
	buffer_store_dword v8, off, s[40:43], 0 offset:36 ; 4-byte Folded Spill
	;; [unrolled: 1-line block ×4, first 2 shown]
	s_and_saveexec_b32 s13, vcc_lo
	s_cbranch_execz .LBB60_35
; %bb.34:                               ;   in Loop: Header=BB60_29 Depth=1
	s_clause 0x3
	buffer_load_dword v7, off, s[40:43], 0 offset:32
	buffer_load_dword v8, off, s[40:43], 0 offset:36
	;; [unrolled: 1-line block ×4, first 2 shown]
	v_cmp_gt_i32_e64 s1, s25, v0
	s_waitcnt vmcnt(3)
	v_cndmask_b32_e64 v7, 0, v7, s1
	v_cmp_gt_i32_e64 s1, s25, v14
	s_waitcnt vmcnt(2)
	v_cndmask_b32_e64 v8, 0, v8, s1
	;; [unrolled: 3-line block ×4, first 2 shown]
	buffer_store_dword v7, off, s[40:43], 0 offset:32 ; 4-byte Folded Spill
	buffer_store_dword v8, off, s[40:43], 0 offset:36 ; 4-byte Folded Spill
	;; [unrolled: 1-line block ×4, first 2 shown]
.LBB60_35:                              ;   in Loop: Header=BB60_29 Depth=1
	s_or_b32 exec_lo, exec_lo, s13
	global_load_dwordx4 v[17:20], v[5:6], off offset:1536
	s_and_saveexec_b32 s13, vcc_lo
	s_cbranch_execz .LBB60_37
; %bb.36:                               ;   in Loop: Header=BB60_29 Depth=1
	v_cmp_gt_i32_e64 s1, s25, v0
	s_waitcnt vmcnt(0)
	v_cndmask_b32_e64 v17, 0, v17, s1
	v_cmp_gt_i32_e64 s1, s25, v14
	v_cndmask_b32_e64 v18, 0, v18, s1
	v_cmp_gt_i32_e64 s1, s25, v13
	;; [unrolled: 2-line block ×3, first 2 shown]
	v_cndmask_b32_e64 v20, 0, v20, s1
.LBB60_37:                              ;   in Loop: Header=BB60_29 Depth=1
	s_or_b32 exec_lo, exec_lo, s13
	v_add_co_u32 v7, s1, 0x800, v5
	v_add_co_ci_u32_e64 v8, null, 0, v6, s1
	global_load_dwordx4 v[21:24], v[7:8], off
	s_and_saveexec_b32 s13, vcc_lo
	s_cbranch_execnz .LBB60_73
; %bb.38:                               ;   in Loop: Header=BB60_29 Depth=1
	s_or_b32 exec_lo, exec_lo, s13
	global_load_dwordx4 v[25:28], v[7:8], off offset:512
	s_and_saveexec_b32 s13, vcc_lo
	s_cbranch_execnz .LBB60_74
.LBB60_39:                              ;   in Loop: Header=BB60_29 Depth=1
	s_or_b32 exec_lo, exec_lo, s13
	global_load_dwordx4 v[29:32], v[7:8], off offset:1024
	s_and_saveexec_b32 s13, vcc_lo
	s_cbranch_execnz .LBB60_75
.LBB60_40:                              ;   in Loop: Header=BB60_29 Depth=1
	s_or_b32 exec_lo, exec_lo, s13
	global_load_dwordx4 v[33:36], v[7:8], off offset:1536
	s_and_saveexec_b32 s13, vcc_lo
	s_cbranch_execz .LBB60_42
.LBB60_41:                              ;   in Loop: Header=BB60_29 Depth=1
	v_cmp_gt_i32_e64 s1, s25, v0
	s_waitcnt vmcnt(0)
	v_cndmask_b32_e64 v33, 0, v33, s1
	v_cmp_gt_i32_e64 s1, s25, v14
	v_cndmask_b32_e64 v34, 0, v34, s1
	v_cmp_gt_i32_e64 s1, s25, v13
	;; [unrolled: 2-line block ×3, first 2 shown]
	v_cndmask_b32_e64 v36, 0, v36, s1
.LBB60_42:                              ;   in Loop: Header=BB60_29 Depth=1
	s_or_b32 exec_lo, exec_lo, s13
	v_add_co_u32 v7, s1, 0x1000, v5
	v_add_co_ci_u32_e64 v8, null, 0, v6, s1
	global_load_dwordx4 v[37:40], v[7:8], off
	s_and_saveexec_b32 s13, vcc_lo
	s_cbranch_execnz .LBB60_76
; %bb.43:                               ;   in Loop: Header=BB60_29 Depth=1
	s_or_b32 exec_lo, exec_lo, s13
	global_load_dwordx4 v[41:44], v[7:8], off offset:512
	s_and_saveexec_b32 s13, vcc_lo
	s_cbranch_execnz .LBB60_77
.LBB60_44:                              ;   in Loop: Header=BB60_29 Depth=1
	s_or_b32 exec_lo, exec_lo, s13
	global_load_dwordx4 v[45:48], v[7:8], off offset:1024
	s_and_saveexec_b32 s13, vcc_lo
	s_cbranch_execnz .LBB60_78
.LBB60_45:                              ;   in Loop: Header=BB60_29 Depth=1
	s_or_b32 exec_lo, exec_lo, s13
	global_load_dwordx4 v[49:52], v[7:8], off offset:1536
	s_and_saveexec_b32 s13, vcc_lo
	s_cbranch_execz .LBB60_47
.LBB60_46:                              ;   in Loop: Header=BB60_29 Depth=1
	v_cmp_gt_i32_e64 s1, s25, v0
	s_waitcnt vmcnt(0)
	v_cndmask_b32_e64 v49, 0, v49, s1
	v_cmp_gt_i32_e64 s1, s25, v14
	v_cndmask_b32_e64 v50, 0, v50, s1
	v_cmp_gt_i32_e64 s1, s25, v13
	;; [unrolled: 2-line block ×3, first 2 shown]
	v_cndmask_b32_e64 v52, 0, v52, s1
.LBB60_47:                              ;   in Loop: Header=BB60_29 Depth=1
	s_or_b32 exec_lo, exec_lo, s13
	v_add_co_u32 v7, s1, 0x1800, v5
	v_add_co_ci_u32_e64 v8, null, 0, v6, s1
	global_load_dwordx4 v[53:56], v[7:8], off
	s_and_saveexec_b32 s13, vcc_lo
	s_cbranch_execnz .LBB60_79
; %bb.48:                               ;   in Loop: Header=BB60_29 Depth=1
	s_or_b32 exec_lo, exec_lo, s13
	global_load_dwordx4 v[57:60], v[7:8], off offset:512
	s_and_saveexec_b32 s13, vcc_lo
	s_cbranch_execnz .LBB60_80
.LBB60_49:                              ;   in Loop: Header=BB60_29 Depth=1
	s_or_b32 exec_lo, exec_lo, s13
	global_load_dwordx4 v[61:64], v[7:8], off offset:1024
	s_and_saveexec_b32 s13, vcc_lo
	s_cbranch_execnz .LBB60_81
.LBB60_50:                              ;   in Loop: Header=BB60_29 Depth=1
	s_or_b32 exec_lo, exec_lo, s13
	global_load_dwordx4 v[65:68], v[7:8], off offset:1536
	s_and_saveexec_b32 s13, vcc_lo
	s_cbranch_execz .LBB60_52
.LBB60_51:                              ;   in Loop: Header=BB60_29 Depth=1
	v_cmp_gt_i32_e64 s1, s25, v0
	s_waitcnt vmcnt(0)
	v_cndmask_b32_e64 v65, 0, v65, s1
	v_cmp_gt_i32_e64 s1, s25, v14
	v_cndmask_b32_e64 v66, 0, v66, s1
	v_cmp_gt_i32_e64 s1, s25, v13
	;; [unrolled: 2-line block ×3, first 2 shown]
	v_cndmask_b32_e64 v68, 0, v68, s1
.LBB60_52:                              ;   in Loop: Header=BB60_29 Depth=1
	s_or_b32 exec_lo, exec_lo, s13
	v_add_co_u32 v7, s1, 0x2000, v5
	v_add_co_ci_u32_e64 v8, null, 0, v6, s1
	global_load_dwordx4 v[69:72], v[7:8], off
	s_and_saveexec_b32 s13, vcc_lo
	s_cbranch_execnz .LBB60_82
; %bb.53:                               ;   in Loop: Header=BB60_29 Depth=1
	s_or_b32 exec_lo, exec_lo, s13
	global_load_dwordx4 v[73:76], v[7:8], off offset:512
	s_and_saveexec_b32 s13, vcc_lo
	s_cbranch_execnz .LBB60_83
.LBB60_54:                              ;   in Loop: Header=BB60_29 Depth=1
	s_or_b32 exec_lo, exec_lo, s13
	global_load_dwordx4 v[77:80], v[7:8], off offset:1024
	s_and_saveexec_b32 s13, vcc_lo
	s_cbranch_execnz .LBB60_84
.LBB60_55:                              ;   in Loop: Header=BB60_29 Depth=1
	s_or_b32 exec_lo, exec_lo, s13
	global_load_dwordx4 v[81:84], v[7:8], off offset:1536
	s_and_saveexec_b32 s13, vcc_lo
	s_cbranch_execz .LBB60_57
.LBB60_56:                              ;   in Loop: Header=BB60_29 Depth=1
	v_cmp_gt_i32_e64 s1, s25, v0
	s_waitcnt vmcnt(0)
	v_cndmask_b32_e64 v81, 0, v81, s1
	v_cmp_gt_i32_e64 s1, s25, v14
	v_cndmask_b32_e64 v82, 0, v82, s1
	v_cmp_gt_i32_e64 s1, s25, v13
	;; [unrolled: 2-line block ×3, first 2 shown]
	v_cndmask_b32_e64 v84, 0, v84, s1
.LBB60_57:                              ;   in Loop: Header=BB60_29 Depth=1
	s_or_b32 exec_lo, exec_lo, s13
	v_add_co_u32 v7, s1, 0x2800, v5
	v_add_co_ci_u32_e64 v8, null, 0, v6, s1
	global_load_dwordx4 v[85:88], v[7:8], off
	s_and_saveexec_b32 s13, vcc_lo
	s_cbranch_execnz .LBB60_85
; %bb.58:                               ;   in Loop: Header=BB60_29 Depth=1
	s_or_b32 exec_lo, exec_lo, s13
	global_load_dwordx4 v[89:92], v[7:8], off offset:512
	s_and_saveexec_b32 s13, vcc_lo
	s_cbranch_execnz .LBB60_86
.LBB60_59:                              ;   in Loop: Header=BB60_29 Depth=1
	s_or_b32 exec_lo, exec_lo, s13
	global_load_dwordx4 v[97:100], v[7:8], off offset:1024
	s_and_saveexec_b32 s13, vcc_lo
	s_cbranch_execnz .LBB60_87
.LBB60_60:                              ;   in Loop: Header=BB60_29 Depth=1
	s_or_b32 exec_lo, exec_lo, s13
	global_load_dwordx4 v[101:104], v[7:8], off offset:1536
	s_and_saveexec_b32 s13, vcc_lo
	s_cbranch_execz .LBB60_62
.LBB60_61:                              ;   in Loop: Header=BB60_29 Depth=1
	v_cmp_gt_i32_e64 s1, s25, v0
	s_waitcnt vmcnt(0)
	v_cndmask_b32_e64 v101, 0, v101, s1
	v_cmp_gt_i32_e64 s1, s25, v14
	v_cndmask_b32_e64 v102, 0, v102, s1
	v_cmp_gt_i32_e64 s1, s25, v13
	;; [unrolled: 2-line block ×3, first 2 shown]
	v_cndmask_b32_e64 v104, 0, v104, s1
.LBB60_62:                              ;   in Loop: Header=BB60_29 Depth=1
	s_or_b32 exec_lo, exec_lo, s13
	v_add_co_u32 v7, s1, 0x3000, v5
	v_add_co_ci_u32_e64 v8, null, 0, v6, s1
	global_load_dwordx4 v[105:108], v[7:8], off
	s_and_saveexec_b32 s13, vcc_lo
	s_cbranch_execnz .LBB60_88
; %bb.63:                               ;   in Loop: Header=BB60_29 Depth=1
	s_or_b32 exec_lo, exec_lo, s13
	global_load_dwordx4 v[109:112], v[7:8], off offset:512
	s_and_saveexec_b32 s13, vcc_lo
	s_cbranch_execnz .LBB60_89
.LBB60_64:                              ;   in Loop: Header=BB60_29 Depth=1
	s_or_b32 exec_lo, exec_lo, s13
	global_load_dwordx4 v[113:116], v[7:8], off offset:1024
	s_and_saveexec_b32 s13, vcc_lo
	s_cbranch_execnz .LBB60_90
.LBB60_65:                              ;   in Loop: Header=BB60_29 Depth=1
	s_or_b32 exec_lo, exec_lo, s13
	global_load_dwordx4 v[117:120], v[7:8], off offset:1536
	s_and_saveexec_b32 s13, vcc_lo
	s_cbranch_execz .LBB60_67
.LBB60_66:                              ;   in Loop: Header=BB60_29 Depth=1
	v_cmp_gt_i32_e64 s1, s25, v0
	s_waitcnt vmcnt(0)
	v_cndmask_b32_e64 v117, 0, v117, s1
	v_cmp_gt_i32_e64 s1, s25, v14
	v_cndmask_b32_e64 v118, 0, v118, s1
	v_cmp_gt_i32_e64 s1, s25, v13
	;; [unrolled: 2-line block ×3, first 2 shown]
	v_cndmask_b32_e64 v120, 0, v120, s1
.LBB60_67:                              ;   in Loop: Header=BB60_29 Depth=1
	s_or_b32 exec_lo, exec_lo, s13
	v_add_co_u32 v9, s1, 0x3800, v5
	v_add_co_ci_u32_e64 v10, null, 0, v6, s1
	global_load_dwordx4 v[121:124], v[9:10], off
	s_and_saveexec_b32 s13, vcc_lo
	s_cbranch_execnz .LBB60_91
; %bb.68:                               ;   in Loop: Header=BB60_29 Depth=1
	s_or_b32 exec_lo, exec_lo, s13
	global_load_dwordx4 v[5:8], v[9:10], off offset:512
	s_and_saveexec_b32 s13, vcc_lo
	s_cbranch_execnz .LBB60_92
.LBB60_69:                              ;   in Loop: Header=BB60_29 Depth=1
	s_or_b32 exec_lo, exec_lo, s13
	global_load_dwordx4 v[9:12], v[9:10], off offset:1024
	s_and_saveexec_b32 s13, vcc_lo
	s_cbranch_execz .LBB60_71
.LBB60_70:                              ;   in Loop: Header=BB60_29 Depth=1
	v_cmp_gt_i32_e64 s1, s25, v0
	s_waitcnt vmcnt(0)
	v_cndmask_b32_e64 v9, 0, v9, s1
	v_cmp_gt_i32_e64 s1, s25, v14
	v_cndmask_b32_e64 v10, 0, v10, s1
	v_cmp_gt_i32_e64 s1, s25, v13
	;; [unrolled: 2-line block ×3, first 2 shown]
	v_cndmask_b32_e64 v12, 0, v12, s1
.LBB60_71:                              ;   in Loop: Header=BB60_29 Depth=1
	s_or_b32 exec_lo, exec_lo, s13
	buffer_load_dword v93, off, s[40:43], 0 offset:252 ; 4-byte Folded Reload
	s_waitcnt vmcnt(0)
	v_add_co_u32 v15, s1, v15, v93
	v_add_co_ci_u32_e64 v16, null, 0, v16, s1
	global_load_dwordx4 v[93:96], v[15:16], off
	s_and_saveexec_b32 s1, vcc_lo
	s_cbranch_execz .LBB60_28
; %bb.72:                               ;   in Loop: Header=BB60_29 Depth=1
	v_cmp_gt_i32_e32 vcc_lo, s25, v0
	s_waitcnt vmcnt(0)
	v_cndmask_b32_e32 v93, 0, v93, vcc_lo
	v_cmp_gt_i32_e32 vcc_lo, s25, v14
	v_cndmask_b32_e32 v94, 0, v94, vcc_lo
	v_cmp_gt_i32_e32 vcc_lo, s25, v13
	v_cndmask_b32_e32 v95, 0, v95, vcc_lo
	v_cmp_gt_i32_e32 vcc_lo, s25, v125
	v_cndmask_b32_e32 v96, 0, v96, vcc_lo
	s_branch .LBB60_28
.LBB60_73:                              ;   in Loop: Header=BB60_29 Depth=1
	v_cmp_gt_i32_e64 s1, s25, v0
	s_waitcnt vmcnt(0)
	v_cndmask_b32_e64 v21, 0, v21, s1
	v_cmp_gt_i32_e64 s1, s25, v14
	v_cndmask_b32_e64 v22, 0, v22, s1
	v_cmp_gt_i32_e64 s1, s25, v13
	;; [unrolled: 2-line block ×3, first 2 shown]
	v_cndmask_b32_e64 v24, 0, v24, s1
	s_or_b32 exec_lo, exec_lo, s13
	global_load_dwordx4 v[25:28], v[7:8], off offset:512
	s_and_saveexec_b32 s13, vcc_lo
	s_cbranch_execz .LBB60_39
.LBB60_74:                              ;   in Loop: Header=BB60_29 Depth=1
	v_cmp_gt_i32_e64 s1, s25, v0
	s_waitcnt vmcnt(0)
	v_cndmask_b32_e64 v25, 0, v25, s1
	v_cmp_gt_i32_e64 s1, s25, v14
	v_cndmask_b32_e64 v26, 0, v26, s1
	v_cmp_gt_i32_e64 s1, s25, v13
	;; [unrolled: 2-line block ×3, first 2 shown]
	v_cndmask_b32_e64 v28, 0, v28, s1
	s_or_b32 exec_lo, exec_lo, s13
	global_load_dwordx4 v[29:32], v[7:8], off offset:1024
	s_and_saveexec_b32 s13, vcc_lo
	s_cbranch_execz .LBB60_40
.LBB60_75:                              ;   in Loop: Header=BB60_29 Depth=1
	v_cmp_gt_i32_e64 s1, s25, v0
	s_waitcnt vmcnt(0)
	v_cndmask_b32_e64 v29, 0, v29, s1
	v_cmp_gt_i32_e64 s1, s25, v14
	v_cndmask_b32_e64 v30, 0, v30, s1
	v_cmp_gt_i32_e64 s1, s25, v13
	;; [unrolled: 2-line block ×3, first 2 shown]
	v_cndmask_b32_e64 v32, 0, v32, s1
	s_or_b32 exec_lo, exec_lo, s13
	global_load_dwordx4 v[33:36], v[7:8], off offset:1536
	s_and_saveexec_b32 s13, vcc_lo
	s_cbranch_execnz .LBB60_41
	s_branch .LBB60_42
.LBB60_76:                              ;   in Loop: Header=BB60_29 Depth=1
	v_cmp_gt_i32_e64 s1, s25, v0
	s_waitcnt vmcnt(0)
	v_cndmask_b32_e64 v37, 0, v37, s1
	v_cmp_gt_i32_e64 s1, s25, v14
	v_cndmask_b32_e64 v38, 0, v38, s1
	v_cmp_gt_i32_e64 s1, s25, v13
	;; [unrolled: 2-line block ×3, first 2 shown]
	v_cndmask_b32_e64 v40, 0, v40, s1
	s_or_b32 exec_lo, exec_lo, s13
	global_load_dwordx4 v[41:44], v[7:8], off offset:512
	s_and_saveexec_b32 s13, vcc_lo
	s_cbranch_execz .LBB60_44
.LBB60_77:                              ;   in Loop: Header=BB60_29 Depth=1
	v_cmp_gt_i32_e64 s1, s25, v0
	s_waitcnt vmcnt(0)
	v_cndmask_b32_e64 v41, 0, v41, s1
	v_cmp_gt_i32_e64 s1, s25, v14
	v_cndmask_b32_e64 v42, 0, v42, s1
	v_cmp_gt_i32_e64 s1, s25, v13
	v_cndmask_b32_e64 v43, 0, v43, s1
	v_cmp_gt_i32_e64 s1, s25, v125
	v_cndmask_b32_e64 v44, 0, v44, s1
	s_or_b32 exec_lo, exec_lo, s13
	global_load_dwordx4 v[45:48], v[7:8], off offset:1024
	s_and_saveexec_b32 s13, vcc_lo
	s_cbranch_execz .LBB60_45
.LBB60_78:                              ;   in Loop: Header=BB60_29 Depth=1
	v_cmp_gt_i32_e64 s1, s25, v0
	s_waitcnt vmcnt(0)
	v_cndmask_b32_e64 v45, 0, v45, s1
	v_cmp_gt_i32_e64 s1, s25, v14
	v_cndmask_b32_e64 v46, 0, v46, s1
	v_cmp_gt_i32_e64 s1, s25, v13
	;; [unrolled: 2-line block ×3, first 2 shown]
	v_cndmask_b32_e64 v48, 0, v48, s1
	s_or_b32 exec_lo, exec_lo, s13
	global_load_dwordx4 v[49:52], v[7:8], off offset:1536
	s_and_saveexec_b32 s13, vcc_lo
	s_cbranch_execnz .LBB60_46
	s_branch .LBB60_47
.LBB60_79:                              ;   in Loop: Header=BB60_29 Depth=1
	v_cmp_gt_i32_e64 s1, s25, v0
	s_waitcnt vmcnt(0)
	v_cndmask_b32_e64 v53, 0, v53, s1
	v_cmp_gt_i32_e64 s1, s25, v14
	v_cndmask_b32_e64 v54, 0, v54, s1
	v_cmp_gt_i32_e64 s1, s25, v13
	v_cndmask_b32_e64 v55, 0, v55, s1
	v_cmp_gt_i32_e64 s1, s25, v125
	v_cndmask_b32_e64 v56, 0, v56, s1
	s_or_b32 exec_lo, exec_lo, s13
	global_load_dwordx4 v[57:60], v[7:8], off offset:512
	s_and_saveexec_b32 s13, vcc_lo
	s_cbranch_execz .LBB60_49
.LBB60_80:                              ;   in Loop: Header=BB60_29 Depth=1
	v_cmp_gt_i32_e64 s1, s25, v0
	s_waitcnt vmcnt(0)
	v_cndmask_b32_e64 v57, 0, v57, s1
	v_cmp_gt_i32_e64 s1, s25, v14
	v_cndmask_b32_e64 v58, 0, v58, s1
	v_cmp_gt_i32_e64 s1, s25, v13
	;; [unrolled: 2-line block ×3, first 2 shown]
	v_cndmask_b32_e64 v60, 0, v60, s1
	s_or_b32 exec_lo, exec_lo, s13
	global_load_dwordx4 v[61:64], v[7:8], off offset:1024
	s_and_saveexec_b32 s13, vcc_lo
	s_cbranch_execz .LBB60_50
.LBB60_81:                              ;   in Loop: Header=BB60_29 Depth=1
	v_cmp_gt_i32_e64 s1, s25, v0
	s_waitcnt vmcnt(0)
	v_cndmask_b32_e64 v61, 0, v61, s1
	v_cmp_gt_i32_e64 s1, s25, v14
	v_cndmask_b32_e64 v62, 0, v62, s1
	v_cmp_gt_i32_e64 s1, s25, v13
	;; [unrolled: 2-line block ×3, first 2 shown]
	v_cndmask_b32_e64 v64, 0, v64, s1
	s_or_b32 exec_lo, exec_lo, s13
	global_load_dwordx4 v[65:68], v[7:8], off offset:1536
	s_and_saveexec_b32 s13, vcc_lo
	s_cbranch_execnz .LBB60_51
	s_branch .LBB60_52
.LBB60_82:                              ;   in Loop: Header=BB60_29 Depth=1
	v_cmp_gt_i32_e64 s1, s25, v0
	s_waitcnt vmcnt(0)
	v_cndmask_b32_e64 v69, 0, v69, s1
	v_cmp_gt_i32_e64 s1, s25, v14
	v_cndmask_b32_e64 v70, 0, v70, s1
	v_cmp_gt_i32_e64 s1, s25, v13
	;; [unrolled: 2-line block ×3, first 2 shown]
	v_cndmask_b32_e64 v72, 0, v72, s1
	s_or_b32 exec_lo, exec_lo, s13
	global_load_dwordx4 v[73:76], v[7:8], off offset:512
	s_and_saveexec_b32 s13, vcc_lo
	s_cbranch_execz .LBB60_54
.LBB60_83:                              ;   in Loop: Header=BB60_29 Depth=1
	v_cmp_gt_i32_e64 s1, s25, v0
	s_waitcnt vmcnt(0)
	v_cndmask_b32_e64 v73, 0, v73, s1
	v_cmp_gt_i32_e64 s1, s25, v14
	v_cndmask_b32_e64 v74, 0, v74, s1
	v_cmp_gt_i32_e64 s1, s25, v13
	;; [unrolled: 2-line block ×3, first 2 shown]
	v_cndmask_b32_e64 v76, 0, v76, s1
	s_or_b32 exec_lo, exec_lo, s13
	global_load_dwordx4 v[77:80], v[7:8], off offset:1024
	s_and_saveexec_b32 s13, vcc_lo
	s_cbranch_execz .LBB60_55
.LBB60_84:                              ;   in Loop: Header=BB60_29 Depth=1
	v_cmp_gt_i32_e64 s1, s25, v0
	s_waitcnt vmcnt(0)
	v_cndmask_b32_e64 v77, 0, v77, s1
	v_cmp_gt_i32_e64 s1, s25, v14
	v_cndmask_b32_e64 v78, 0, v78, s1
	v_cmp_gt_i32_e64 s1, s25, v13
	v_cndmask_b32_e64 v79, 0, v79, s1
	v_cmp_gt_i32_e64 s1, s25, v125
	v_cndmask_b32_e64 v80, 0, v80, s1
	s_or_b32 exec_lo, exec_lo, s13
	global_load_dwordx4 v[81:84], v[7:8], off offset:1536
	s_and_saveexec_b32 s13, vcc_lo
	s_cbranch_execnz .LBB60_56
	s_branch .LBB60_57
.LBB60_85:                              ;   in Loop: Header=BB60_29 Depth=1
	v_cmp_gt_i32_e64 s1, s25, v0
	s_waitcnt vmcnt(0)
	v_cndmask_b32_e64 v85, 0, v85, s1
	v_cmp_gt_i32_e64 s1, s25, v14
	v_cndmask_b32_e64 v86, 0, v86, s1
	v_cmp_gt_i32_e64 s1, s25, v13
	;; [unrolled: 2-line block ×3, first 2 shown]
	v_cndmask_b32_e64 v88, 0, v88, s1
	s_or_b32 exec_lo, exec_lo, s13
	global_load_dwordx4 v[89:92], v[7:8], off offset:512
	s_and_saveexec_b32 s13, vcc_lo
	s_cbranch_execz .LBB60_59
.LBB60_86:                              ;   in Loop: Header=BB60_29 Depth=1
	v_cmp_gt_i32_e64 s1, s25, v0
	s_waitcnt vmcnt(0)
	v_cndmask_b32_e64 v89, 0, v89, s1
	v_cmp_gt_i32_e64 s1, s25, v14
	v_cndmask_b32_e64 v90, 0, v90, s1
	v_cmp_gt_i32_e64 s1, s25, v13
	;; [unrolled: 2-line block ×3, first 2 shown]
	v_cndmask_b32_e64 v92, 0, v92, s1
	s_or_b32 exec_lo, exec_lo, s13
	global_load_dwordx4 v[97:100], v[7:8], off offset:1024
	s_and_saveexec_b32 s13, vcc_lo
	s_cbranch_execz .LBB60_60
.LBB60_87:                              ;   in Loop: Header=BB60_29 Depth=1
	v_cmp_gt_i32_e64 s1, s25, v0
	s_waitcnt vmcnt(0)
	v_cndmask_b32_e64 v97, 0, v97, s1
	v_cmp_gt_i32_e64 s1, s25, v14
	v_cndmask_b32_e64 v98, 0, v98, s1
	v_cmp_gt_i32_e64 s1, s25, v13
	;; [unrolled: 2-line block ×3, first 2 shown]
	v_cndmask_b32_e64 v100, 0, v100, s1
	s_or_b32 exec_lo, exec_lo, s13
	global_load_dwordx4 v[101:104], v[7:8], off offset:1536
	s_and_saveexec_b32 s13, vcc_lo
	s_cbranch_execnz .LBB60_61
	s_branch .LBB60_62
.LBB60_88:                              ;   in Loop: Header=BB60_29 Depth=1
	v_cmp_gt_i32_e64 s1, s25, v0
	s_waitcnt vmcnt(0)
	v_cndmask_b32_e64 v105, 0, v105, s1
	v_cmp_gt_i32_e64 s1, s25, v14
	v_cndmask_b32_e64 v106, 0, v106, s1
	v_cmp_gt_i32_e64 s1, s25, v13
	;; [unrolled: 2-line block ×3, first 2 shown]
	v_cndmask_b32_e64 v108, 0, v108, s1
	s_or_b32 exec_lo, exec_lo, s13
	global_load_dwordx4 v[109:112], v[7:8], off offset:512
	s_and_saveexec_b32 s13, vcc_lo
	s_cbranch_execz .LBB60_64
.LBB60_89:                              ;   in Loop: Header=BB60_29 Depth=1
	v_cmp_gt_i32_e64 s1, s25, v0
	s_waitcnt vmcnt(0)
	v_cndmask_b32_e64 v109, 0, v109, s1
	v_cmp_gt_i32_e64 s1, s25, v14
	v_cndmask_b32_e64 v110, 0, v110, s1
	v_cmp_gt_i32_e64 s1, s25, v13
	;; [unrolled: 2-line block ×3, first 2 shown]
	v_cndmask_b32_e64 v112, 0, v112, s1
	s_or_b32 exec_lo, exec_lo, s13
	global_load_dwordx4 v[113:116], v[7:8], off offset:1024
	s_and_saveexec_b32 s13, vcc_lo
	s_cbranch_execz .LBB60_65
.LBB60_90:                              ;   in Loop: Header=BB60_29 Depth=1
	v_cmp_gt_i32_e64 s1, s25, v0
	s_waitcnt vmcnt(0)
	v_cndmask_b32_e64 v113, 0, v113, s1
	v_cmp_gt_i32_e64 s1, s25, v14
	v_cndmask_b32_e64 v114, 0, v114, s1
	v_cmp_gt_i32_e64 s1, s25, v13
	;; [unrolled: 2-line block ×3, first 2 shown]
	v_cndmask_b32_e64 v116, 0, v116, s1
	s_or_b32 exec_lo, exec_lo, s13
	global_load_dwordx4 v[117:120], v[7:8], off offset:1536
	s_and_saveexec_b32 s13, vcc_lo
	s_cbranch_execnz .LBB60_66
	s_branch .LBB60_67
.LBB60_91:                              ;   in Loop: Header=BB60_29 Depth=1
	v_cmp_gt_i32_e64 s1, s25, v0
	s_waitcnt vmcnt(0)
	v_cndmask_b32_e64 v121, 0, v121, s1
	v_cmp_gt_i32_e64 s1, s25, v14
	v_cndmask_b32_e64 v122, 0, v122, s1
	v_cmp_gt_i32_e64 s1, s25, v13
	;; [unrolled: 2-line block ×3, first 2 shown]
	v_cndmask_b32_e64 v124, 0, v124, s1
	s_or_b32 exec_lo, exec_lo, s13
	global_load_dwordx4 v[5:8], v[9:10], off offset:512
	s_and_saveexec_b32 s13, vcc_lo
	s_cbranch_execz .LBB60_69
.LBB60_92:                              ;   in Loop: Header=BB60_29 Depth=1
	v_cmp_gt_i32_e64 s1, s25, v0
	s_waitcnt vmcnt(0)
	v_cndmask_b32_e64 v5, 0, v5, s1
	v_cmp_gt_i32_e64 s1, s25, v14
	v_cndmask_b32_e64 v6, 0, v6, s1
	v_cmp_gt_i32_e64 s1, s25, v13
	;; [unrolled: 2-line block ×3, first 2 shown]
	v_cndmask_b32_e64 v8, 0, v8, s1
	s_or_b32 exec_lo, exec_lo, s13
	global_load_dwordx4 v[9:12], v[9:10], off offset:1024
	s_and_saveexec_b32 s13, vcc_lo
	s_cbranch_execnz .LBB60_70
	s_branch .LBB60_71
.LBB60_93:
	s_or_b32 exec_lo, exec_lo, s9
	s_clause 0x23
	buffer_load_dword v55, off, s[40:43], 0 offset:256
	buffer_load_dword v125, off, s[40:43], 0 offset:260
	;; [unrolled: 1-line block ×36, first 2 shown]
.LBB60_94:
	s_or_b32 exec_lo, exec_lo, s3
	s_waitcnt vmcnt(2)
	ds_bpermute_b32 v0, v39, v20
	s_waitcnt vmcnt(0)
	ds_bpermute_b32 v1, v39, v29
	ds_bpermute_b32 v4, v39, v18
	v_mov_b32_e32 v17, v5
	ds_bpermute_b32 v5, v39, v5
	ds_bpermute_b32 v11, v39, v21
	v_mov_b32_e32 v26, v6
	;; [unrolled: 3-line block ×3, first 2 shown]
	ds_bpermute_b32 v7, v39, v7
	ds_bpermute_b32 v9, v39, v23
	;; [unrolled: 1-line block ×10, first 2 shown]
	s_waitcnt lgkmcnt(16)
	v_add_f32_e32 v0, v20, v0
	s_waitcnt lgkmcnt(15)
	v_add_f32_e32 v1, v29, v1
	;; [unrolled: 2-line block ×3, first 2 shown]
	s_mov_b32 s1, exec_lo
	s_waitcnt lgkmcnt(13)
	v_add_f32_e32 v5, v17, v5
	ds_bpermute_b32 v17, v48, v0
	ds_bpermute_b32 v18, v48, v1
	s_waitcnt lgkmcnt(14)
	v_add_f32_e32 v11, v21, v11
	ds_bpermute_b32 v21, v48, v4
	s_waitcnt lgkmcnt(14)
	v_add_f32_e32 v6, v26, v6
	s_waitcnt lgkmcnt(13)
	v_add_f32_e32 v3, v19, v3
	;; [unrolled: 2-line block ×5, first 2 shown]
	ds_bpermute_b32 v23, v48, v6
	ds_bpermute_b32 v20, v48, v3
	;; [unrolled: 1-line block ×3, first 2 shown]
	s_waitcnt lgkmcnt(12)
	v_add_f32_e32 v12, v27, v12
	ds_bpermute_b32 v27, v48, v9
	s_waitcnt lgkmcnt(12)
	v_add_f32_e32 v10, v22, v10
	s_waitcnt lgkmcnt(11)
	v_add_f32_e32 v13, v30, v13
	;; [unrolled: 2-line block ×3, first 2 shown]
	ds_bpermute_b32 v26, v39, v33
	ds_bpermute_b32 v29, v48, v11
	;; [unrolled: 1-line block ×3, first 2 shown]
	s_waitcnt lgkmcnt(9)
	v_add_f32_e32 v0, v0, v17
	s_waitcnt lgkmcnt(8)
	v_add_f32_e32 v1, v1, v18
	v_add_f32_e32 v15, v36, v15
	s_waitcnt lgkmcnt(7)
	v_add_f32_e32 v4, v4, v21
	v_add_f32_e32 v14, v38, v14
	ds_bpermute_b32 v17, v54, v0
	ds_bpermute_b32 v18, v54, v1
	;; [unrolled: 1-line block ×4, first 2 shown]
	s_waitcnt lgkmcnt(10)
	v_add_f32_e32 v6, v6, v23
	s_waitcnt lgkmcnt(9)
	v_add_f32_e32 v3, v3, v20
	;; [unrolled: 2-line block ×3, first 2 shown]
	ds_bpermute_b32 v19, v48, v2
	s_waitcnt lgkmcnt(8)
	v_add_f32_e32 v9, v9, v27
	ds_bpermute_b32 v23, v54, v6
	ds_bpermute_b32 v20, v54, v3
	;; [unrolled: 1-line block ×5, first 2 shown]
	s_waitcnt lgkmcnt(10)
	v_add_f32_e32 v10, v10, v28
	v_add_f32_e32 v11, v11, v29
	ds_bpermute_b32 v29, v39, v31
	v_add_f32_e32 v16, v34, v16
	ds_bpermute_b32 v34, v39, v43
	ds_bpermute_b32 v28, v54, v10
	s_waitcnt lgkmcnt(12)
	v_add_f32_e32 v0, v0, v17
	s_waitcnt lgkmcnt(11)
	v_add_f32_e32 v1, v1, v18
	ds_bpermute_b32 v17, v48, v13
	ds_bpermute_b32 v18, v39, v32
	s_waitcnt lgkmcnt(11)
	v_add_f32_e32 v4, v4, v21
	ds_bpermute_b32 v21, v48, v15
	v_add_f32_e32 v5, v5, v22
	ds_bpermute_b32 v38, v39, v50
	ds_bpermute_b32 v25, v48, v8
	s_waitcnt lgkmcnt(12)
	v_add_f32_e32 v6, v6, v23
	v_add_f32_e32 v23, v33, v26
	s_waitcnt lgkmcnt(11)
	v_add_f32_e32 v3, v3, v20
	ds_bpermute_b32 v20, v48, v14
	s_waitcnt lgkmcnt(11)
	v_add_f32_e32 v7, v7, v24
	s_waitcnt lgkmcnt(9)
	v_add_f32_e32 v9, v9, v27
	ds_bpermute_b32 v24, v48, v23
	ds_bpermute_b32 v27, v39, v37
	;; [unrolled: 1-line block ×3, first 2 shown]
	v_add_f32_e32 v2, v2, v19
	s_waitcnt lgkmcnt(9)
	v_add_f32_e32 v10, v10, v28
	ds_bpermute_b32 v28, v39, v41
	ds_bpermute_b32 v22, v54, v5
	s_waitcnt lgkmcnt(10)
	v_add_f32_e32 v13, v13, v17
	s_waitcnt lgkmcnt(9)
	v_add_f32_e32 v17, v32, v18
	ds_bpermute_b32 v18, v39, v35
	s_waitcnt lgkmcnt(9)
	v_add_f32_e32 v15, v15, v21
	ds_bpermute_b32 v21, v39, v40
	ds_bpermute_b32 v32, v39, v42
	;; [unrolled: 1-line block ×3, first 2 shown]
	v_add_f32_e32 v12, v12, v30
	ds_bpermute_b32 v19, v54, v2
	v_add_f32_e32 v34, v43, v34
	s_waitcnt lgkmcnt(10)
	v_add_f32_e32 v14, v14, v20
	v_add_f32_e32 v20, v31, v29
	;; [unrolled: 1-line block ×3, first 2 shown]
	s_waitcnt lgkmcnt(9)
	v_add_f32_e32 v23, v23, v24
	ds_bpermute_b32 v24, v39, v46
	s_waitcnt lgkmcnt(8)
	v_add_f32_e32 v33, v45, v33
	ds_bpermute_b32 v30, v48, v20
	v_add_f32_e32 v8, v8, v25
	s_waitcnt lgkmcnt(8)
	v_add_f32_e32 v28, v41, v28
	s_waitcnt lgkmcnt(7)
	v_add_f32_e32 v5, v5, v22
	ds_bpermute_b32 v22, v48, v16
	ds_bpermute_b32 v45, v48, v33
	s_waitcnt lgkmcnt(8)
	v_add_f32_e32 v18, v35, v18
	ds_bpermute_b32 v35, v39, v44
	s_waitcnt lgkmcnt(8)
	v_add_f32_e32 v21, v40, v21
	s_waitcnt lgkmcnt(7)
	v_add_f32_e32 v32, v42, v32
	;; [unrolled: 2-line block ×3, first 2 shown]
	v_add_f32_e32 v17, v37, v27
	ds_bpermute_b32 v27, v39, v47
	ds_bpermute_b32 v39, v39, v49
	;; [unrolled: 1-line block ×6, first 2 shown]
	s_waitcnt lgkmcnt(10)
	v_add_f32_e32 v24, v46, v24
	ds_bpermute_b32 v46, v48, v34
	s_waitcnt lgkmcnt(10)
	v_add_f32_e32 v20, v20, v30
	ds_bpermute_b32 v30, v48, v21
	ds_bpermute_b32 v25, v54, v8
	v_add_f32_e32 v2, v2, v19
	ds_bpermute_b32 v19, v54, v11
	s_waitcnt lgkmcnt(12)
	v_add_f32_e32 v16, v16, v22
	s_waitcnt lgkmcnt(11)
	v_add_f32_e32 v33, v33, v45
	;; [unrolled: 2-line block ×3, first 2 shown]
	ds_bpermute_b32 v44, v48, v24
	ds_bpermute_b32 v22, v54, v14
	;; [unrolled: 1-line block ×4, first 2 shown]
	s_waitcnt lgkmcnt(13)
	v_add_f32_e32 v27, v47, v27
	s_waitcnt lgkmcnt(12)
	v_add_f32_e32 v39, v49, v39
	ds_bpermute_b32 v47, v48, v35
	s_waitcnt lgkmcnt(12)
	v_add_f32_e32 v37, v18, v37
	s_waitcnt lgkmcnt(10)
	v_add_f32_e32 v40, v17, v40
	ds_bpermute_b32 v18, v48, v27
	ds_bpermute_b32 v17, v48, v38
	;; [unrolled: 1-line block ×3, first 2 shown]
	v_add_f32_e32 v32, v32, v43
	s_waitcnt lgkmcnt(10)
	v_add_f32_e32 v30, v21, v30
	v_add_f32_e32 v28, v28, v42
	;; [unrolled: 1-line block ×3, first 2 shown]
	s_waitcnt lgkmcnt(9)
	v_add_f32_e32 v8, v8, v25
	s_waitcnt lgkmcnt(8)
	v_add_f32_e32 v11, v11, v19
	ds_bpermute_b32 v19, v54, v12
	ds_bpermute_b32 v25, v54, v13
	s_waitcnt lgkmcnt(9)
	v_add_f32_e32 v44, v24, v44
	ds_bpermute_b32 v24, v54, v32
	ds_bpermute_b32 v36, v54, v23
	;; [unrolled: 1-line block ×5, first 2 shown]
	s_waitcnt lgkmcnt(10)
	v_add_f32_e32 v35, v35, v47
	ds_bpermute_b32 v49, v54, v40
	ds_bpermute_b32 v50, v54, v30
	s_waitcnt lgkmcnt(11)
	v_add_f32_e32 v51, v27, v18
	s_waitcnt lgkmcnt(10)
	v_add_f32_e32 v38, v38, v17
	;; [unrolled: 2-line block ×3, first 2 shown]
	ds_bpermute_b32 v43, v54, v28
	ds_bpermute_b32 v45, v54, v44
	;; [unrolled: 1-line block ×8, first 2 shown]
	s_waitcnt lgkmcnt(16)
	v_add_f32_e32 v12, v12, v19
	s_waitcnt lgkmcnt(14)
	v_add_f32_e32 v24, v32, v24
	v_lshrrev_b32_e32 v32, 3, v126
	v_add_f32_e32 v13, v13, v25
	v_add_f32_e32 v14, v14, v22
	;; [unrolled: 1-line block ×4, first 2 shown]
	s_waitcnt lgkmcnt(13)
	v_add_f32_e32 v17, v23, v36
	s_waitcnt lgkmcnt(12)
	v_add_f32_e32 v18, v26, v41
	;; [unrolled: 2-line block ×12, first 2 shown]
	v_and_b32_e32 v35, 0x3c7, v55
	s_waitcnt lgkmcnt(1)
	v_add_f32_e32 v30, v38, v53
	s_waitcnt lgkmcnt(0)
	v_add_f32_e32 v31, v39, v54
	v_lshl_add_u32 v33, v32, 2, 0x220
	v_lshlrev_b32_e32 v34, 9, v125
	s_waitcnt_vscnt null, 0x0
	s_barrier
	buffer_gl0_inv
	v_cmpx_eq_u32_e32 64, v35
	s_cbranch_execz .LBB60_96
; %bb.95:
	v_add_nc_u32_e32 v35, v33, v34
	v_add_nc_u32_e32 v36, 0xfffffc00, v35
	;; [unrolled: 1-line block ×8, first 2 shown]
	ds_write_b32 v36, v0
	ds_write_b32 v37, v1
	;; [unrolled: 1-line block ×7, first 2 shown]
	v_add_nc_u32_e32 v36, 0xfffffc70, v35
	v_add_nc_u32_e32 v37, 0xfffffc80, v35
	v_add_nc_u32_e32 v38, 0xfffffc90, v35
	v_add_nc_u32_e32 v39, 0xfffffca0, v35
	v_add_nc_u32_e32 v40, 0xfffffcb0, v35
	ds_write_b32 v36, v7
	ds_write_b32 v37, v8
	ds_write_b32 v38, v9
	ds_write_b32 v39, v10
	ds_write_b32 v40, v11
	v_add_nc_u32_e32 v36, 0xfffffcc0, v35
	v_add_nc_u32_e32 v37, 0xfffffcd0, v35
	v_add_nc_u32_e32 v38, 0xfffffce0, v35
	v_add_nc_u32_e32 v39, 0xfffffcf0, v35
	v_add_nc_u32_e32 v40, 0xfffffd00, v35
	ds_write_b32 v36, v12
	ds_write_b32 v37, v13
	ds_write_b32 v38, v14
	ds_write_b32 v39, v15
	ds_write_b32 v40, v16
	v_add_nc_u32_e32 v36, 0xfffffd10, v35
	v_add_nc_u32_e32 v37, 0xfffffd20, v35
	v_add_nc_u32_e32 v38, 0xfffffd30, v35
	v_add_nc_u32_e32 v39, 0xfffffd40, v35
	v_add_nc_u32_e32 v40, 0xfffffd50, v35
	ds_write_b32 v36, v17
	ds_write_b32 v37, v18
	ds_write_b32 v38, v19
	ds_write_b32 v39, v20
	ds_write_b32 v40, v21
	v_add_nc_u32_e32 v36, 0xfffffd60, v35
	v_add_nc_u32_e32 v37, 0xfffffd70, v35
	v_add_nc_u32_e32 v38, 0xfffffd80, v35
	v_add_nc_u32_e32 v39, 0xfffffd90, v35
	v_add_nc_u32_e32 v40, 0xfffffda0, v35
	ds_write_b32 v36, v22
	ds_write_b32 v37, v23
	ds_write_b32 v38, v24
	ds_write_b32 v39, v25
	ds_write_b32 v40, v26
	v_add_nc_u32_e32 v36, 0xfffffdb0, v35
	v_add_nc_u32_e32 v37, 0xfffffdc0, v35
	v_add_nc_u32_e32 v38, 0xfffffdd0, v35
	v_add_nc_u32_e32 v39, 0xfffffde0, v35
	v_add_nc_u32_e32 v35, 0xfffffdf0, v35
	ds_write_b32 v36, v27
	ds_write_b32 v37, v28
	ds_write_b32 v38, v29
	ds_write_b32 v39, v30
	ds_write_b32 v35, v31
.LBB60_96:
	s_or_b32 exec_lo, exec_lo, s1
	v_lshlrev_b32_e32 v32, 2, v32
	s_mov_b32 s3, exec_lo
	v_cmp_eq_u32_e32 vcc_lo, 0, v56
	s_waitcnt lgkmcnt(0)
	s_barrier
	v_add3_u32 v32, 0x220, v34, v32
	buffer_gl0_inv
	v_cmpx_gt_u32_e32 64, v55
	s_cbranch_execz .LBB60_131
; %bb.97:
	s_and_saveexec_b32 s1, vcc_lo
	s_cbranch_execnz .LBB60_171
; %bb.98:
	s_or_b32 exec_lo, exec_lo, s1
	s_and_saveexec_b32 s1, vcc_lo
	s_cbranch_execnz .LBB60_172
.LBB60_99:
	s_or_b32 exec_lo, exec_lo, s1
	s_and_saveexec_b32 s1, vcc_lo
	s_cbranch_execnz .LBB60_173
.LBB60_100:
	s_or_b32 exec_lo, exec_lo, s1
	s_and_saveexec_b32 s1, vcc_lo
	s_cbranch_execnz .LBB60_174
.LBB60_101:
	s_or_b32 exec_lo, exec_lo, s1
	s_and_saveexec_b32 s1, vcc_lo
	s_cbranch_execnz .LBB60_175
.LBB60_102:
	s_or_b32 exec_lo, exec_lo, s1
	s_and_saveexec_b32 s1, vcc_lo
	s_cbranch_execnz .LBB60_176
.LBB60_103:
	s_or_b32 exec_lo, exec_lo, s1
	s_and_saveexec_b32 s1, vcc_lo
	s_cbranch_execnz .LBB60_177
.LBB60_104:
	s_or_b32 exec_lo, exec_lo, s1
	s_and_saveexec_b32 s1, vcc_lo
	s_cbranch_execnz .LBB60_178
.LBB60_105:
	s_or_b32 exec_lo, exec_lo, s1
	s_and_saveexec_b32 s1, vcc_lo
	s_cbranch_execnz .LBB60_179
.LBB60_106:
	s_or_b32 exec_lo, exec_lo, s1
	s_and_saveexec_b32 s1, vcc_lo
	s_cbranch_execnz .LBB60_180
.LBB60_107:
	s_or_b32 exec_lo, exec_lo, s1
	s_and_saveexec_b32 s1, vcc_lo
	s_cbranch_execnz .LBB60_181
.LBB60_108:
	s_or_b32 exec_lo, exec_lo, s1
	s_and_saveexec_b32 s1, vcc_lo
	s_cbranch_execnz .LBB60_182
.LBB60_109:
	s_or_b32 exec_lo, exec_lo, s1
	s_and_saveexec_b32 s1, vcc_lo
	s_cbranch_execnz .LBB60_183
.LBB60_110:
	s_or_b32 exec_lo, exec_lo, s1
	s_and_saveexec_b32 s1, vcc_lo
	s_cbranch_execnz .LBB60_184
.LBB60_111:
	s_or_b32 exec_lo, exec_lo, s1
	s_and_saveexec_b32 s1, vcc_lo
	s_cbranch_execnz .LBB60_185
.LBB60_112:
	s_or_b32 exec_lo, exec_lo, s1
	s_and_saveexec_b32 s1, vcc_lo
	s_cbranch_execnz .LBB60_186
.LBB60_113:
	s_or_b32 exec_lo, exec_lo, s1
	s_and_saveexec_b32 s1, vcc_lo
	s_cbranch_execnz .LBB60_187
.LBB60_114:
	s_or_b32 exec_lo, exec_lo, s1
	s_and_saveexec_b32 s1, vcc_lo
	s_cbranch_execnz .LBB60_188
.LBB60_115:
	s_or_b32 exec_lo, exec_lo, s1
	s_and_saveexec_b32 s1, vcc_lo
	s_cbranch_execnz .LBB60_189
.LBB60_116:
	s_or_b32 exec_lo, exec_lo, s1
	s_and_saveexec_b32 s1, vcc_lo
	s_cbranch_execnz .LBB60_190
.LBB60_117:
	s_or_b32 exec_lo, exec_lo, s1
	s_and_saveexec_b32 s1, vcc_lo
	s_cbranch_execnz .LBB60_191
.LBB60_118:
	s_or_b32 exec_lo, exec_lo, s1
	s_and_saveexec_b32 s1, vcc_lo
	s_cbranch_execnz .LBB60_192
.LBB60_119:
	s_or_b32 exec_lo, exec_lo, s1
	s_and_saveexec_b32 s1, vcc_lo
	s_cbranch_execnz .LBB60_193
.LBB60_120:
	s_or_b32 exec_lo, exec_lo, s1
	s_and_saveexec_b32 s1, vcc_lo
	s_cbranch_execnz .LBB60_194
.LBB60_121:
	s_or_b32 exec_lo, exec_lo, s1
	s_and_saveexec_b32 s1, vcc_lo
	s_cbranch_execnz .LBB60_195
.LBB60_122:
	s_or_b32 exec_lo, exec_lo, s1
	s_and_saveexec_b32 s1, vcc_lo
	s_cbranch_execnz .LBB60_196
.LBB60_123:
	s_or_b32 exec_lo, exec_lo, s1
	s_and_saveexec_b32 s1, vcc_lo
	s_cbranch_execnz .LBB60_197
.LBB60_124:
	s_or_b32 exec_lo, exec_lo, s1
	s_and_saveexec_b32 s1, vcc_lo
	s_cbranch_execnz .LBB60_198
.LBB60_125:
	s_or_b32 exec_lo, exec_lo, s1
	s_and_saveexec_b32 s1, vcc_lo
	s_cbranch_execnz .LBB60_199
.LBB60_126:
	s_or_b32 exec_lo, exec_lo, s1
	s_and_saveexec_b32 s1, vcc_lo
	s_cbranch_execnz .LBB60_200
.LBB60_127:
	s_or_b32 exec_lo, exec_lo, s1
	s_and_saveexec_b32 s1, vcc_lo
	s_cbranch_execnz .LBB60_201
.LBB60_128:
	s_or_b32 exec_lo, exec_lo, s1
	s_and_saveexec_b32 s1, vcc_lo
	s_cbranch_execz .LBB60_130
.LBB60_129:
	ds_read_b32 v34, v32 offset:496
	s_waitcnt lgkmcnt(0)
	v_add_f32_e32 v31, v31, v34
.LBB60_130:
	s_or_b32 exec_lo, exec_lo, s1
.LBB60_131:
	s_or_b32 exec_lo, exec_lo, s3
	v_and_b32_e32 v34, 0x3e7, v55
	s_mov_b32 s3, exec_lo
	s_barrier
	buffer_gl0_inv
	v_cmpx_eq_u32_e32 32, v34
	s_cbranch_execz .LBB60_133
; %bb.132:
	ds_write2_b32 v33, v0, v1 offset1:4
	ds_write2_b32 v33, v2, v3 offset0:8 offset1:12
	ds_write2_b32 v33, v4, v5 offset0:16 offset1:20
	;; [unrolled: 1-line block ×15, first 2 shown]
.LBB60_133:
	s_or_b32 exec_lo, exec_lo, s3
	s_waitcnt lgkmcnt(0)
	s_barrier
	buffer_gl0_inv
	s_and_saveexec_b32 s1, s0
	s_cbranch_execz .LBB60_168
; %bb.134:
	s_and_saveexec_b32 s0, vcc_lo
	s_cbranch_execnz .LBB60_202
; %bb.135:
	s_or_b32 exec_lo, exec_lo, s0
	s_and_saveexec_b32 s0, vcc_lo
	s_cbranch_execnz .LBB60_203
.LBB60_136:
	s_or_b32 exec_lo, exec_lo, s0
	s_and_saveexec_b32 s0, vcc_lo
	s_cbranch_execnz .LBB60_204
.LBB60_137:
	s_or_b32 exec_lo, exec_lo, s0
	s_and_saveexec_b32 s0, vcc_lo
	s_cbranch_execnz .LBB60_205
.LBB60_138:
	s_or_b32 exec_lo, exec_lo, s0
	s_and_saveexec_b32 s0, vcc_lo
	s_cbranch_execnz .LBB60_206
.LBB60_139:
	s_or_b32 exec_lo, exec_lo, s0
	s_and_saveexec_b32 s0, vcc_lo
	s_cbranch_execnz .LBB60_207
.LBB60_140:
	s_or_b32 exec_lo, exec_lo, s0
	s_and_saveexec_b32 s0, vcc_lo
	s_cbranch_execnz .LBB60_208
.LBB60_141:
	s_or_b32 exec_lo, exec_lo, s0
	s_and_saveexec_b32 s0, vcc_lo
	s_cbranch_execnz .LBB60_209
.LBB60_142:
	s_or_b32 exec_lo, exec_lo, s0
	s_and_saveexec_b32 s0, vcc_lo
	s_cbranch_execnz .LBB60_210
.LBB60_143:
	s_or_b32 exec_lo, exec_lo, s0
	s_and_saveexec_b32 s0, vcc_lo
	s_cbranch_execnz .LBB60_211
.LBB60_144:
	s_or_b32 exec_lo, exec_lo, s0
	s_and_saveexec_b32 s0, vcc_lo
	s_cbranch_execnz .LBB60_212
.LBB60_145:
	s_or_b32 exec_lo, exec_lo, s0
	s_and_saveexec_b32 s0, vcc_lo
	s_cbranch_execnz .LBB60_213
.LBB60_146:
	s_or_b32 exec_lo, exec_lo, s0
	s_and_saveexec_b32 s0, vcc_lo
	s_cbranch_execnz .LBB60_214
.LBB60_147:
	s_or_b32 exec_lo, exec_lo, s0
	s_and_saveexec_b32 s0, vcc_lo
	s_cbranch_execnz .LBB60_215
.LBB60_148:
	s_or_b32 exec_lo, exec_lo, s0
	s_and_saveexec_b32 s0, vcc_lo
	s_cbranch_execnz .LBB60_216
.LBB60_149:
	s_or_b32 exec_lo, exec_lo, s0
	s_and_saveexec_b32 s0, vcc_lo
	s_cbranch_execnz .LBB60_217
.LBB60_150:
	s_or_b32 exec_lo, exec_lo, s0
	s_and_saveexec_b32 s0, vcc_lo
	s_cbranch_execnz .LBB60_218
.LBB60_151:
	s_or_b32 exec_lo, exec_lo, s0
	s_and_saveexec_b32 s0, vcc_lo
	s_cbranch_execnz .LBB60_219
.LBB60_152:
	s_or_b32 exec_lo, exec_lo, s0
	s_and_saveexec_b32 s0, vcc_lo
	s_cbranch_execnz .LBB60_220
.LBB60_153:
	s_or_b32 exec_lo, exec_lo, s0
	s_and_saveexec_b32 s0, vcc_lo
	s_cbranch_execnz .LBB60_221
.LBB60_154:
	s_or_b32 exec_lo, exec_lo, s0
	s_and_saveexec_b32 s0, vcc_lo
	s_cbranch_execnz .LBB60_222
.LBB60_155:
	s_or_b32 exec_lo, exec_lo, s0
	s_and_saveexec_b32 s0, vcc_lo
	s_cbranch_execnz .LBB60_223
.LBB60_156:
	s_or_b32 exec_lo, exec_lo, s0
	s_and_saveexec_b32 s0, vcc_lo
	s_cbranch_execnz .LBB60_224
.LBB60_157:
	s_or_b32 exec_lo, exec_lo, s0
	s_and_saveexec_b32 s0, vcc_lo
	s_cbranch_execnz .LBB60_225
.LBB60_158:
	s_or_b32 exec_lo, exec_lo, s0
	s_and_saveexec_b32 s0, vcc_lo
	s_cbranch_execnz .LBB60_226
.LBB60_159:
	s_or_b32 exec_lo, exec_lo, s0
	s_and_saveexec_b32 s0, vcc_lo
	s_cbranch_execnz .LBB60_227
.LBB60_160:
	s_or_b32 exec_lo, exec_lo, s0
	s_and_saveexec_b32 s0, vcc_lo
	s_cbranch_execnz .LBB60_228
.LBB60_161:
	s_or_b32 exec_lo, exec_lo, s0
	s_and_saveexec_b32 s0, vcc_lo
	s_cbranch_execnz .LBB60_229
.LBB60_162:
	s_or_b32 exec_lo, exec_lo, s0
	s_and_saveexec_b32 s0, vcc_lo
	s_cbranch_execnz .LBB60_230
.LBB60_163:
	s_or_b32 exec_lo, exec_lo, s0
	s_and_saveexec_b32 s0, vcc_lo
	s_cbranch_execnz .LBB60_231
.LBB60_164:
	s_or_b32 exec_lo, exec_lo, s0
	s_and_saveexec_b32 s0, vcc_lo
	s_cbranch_execnz .LBB60_232
.LBB60_165:
	s_or_b32 exec_lo, exec_lo, s0
	s_and_saveexec_b32 s0, vcc_lo
	s_cbranch_execz .LBB60_167
.LBB60_166:
	ds_read_b32 v32, v32 offset:496
	s_waitcnt lgkmcnt(0)
	v_add_f32_e32 v31, v31, v32
.LBB60_167:
	s_or_b32 exec_lo, exec_lo, s0
.LBB60_168:
	s_or_b32 exec_lo, exec_lo, s1
	s_barrier
	buffer_gl0_inv
	s_mov_b32 s0, exec_lo
	v_cmpx_eq_u32_e32 0, v34
	s_cbranch_execz .LBB60_170
; %bb.169:
	s_lshl_b32 s0, s2, 7
	s_mul_i32 s2, s7, s10
	s_ashr_i32 s1, s0, 31
	v_lshrrev_b32_e32 v32, 1, v55
	s_lshl_b64 s[0:1], s[0:1], 2
	s_add_u32 s4, s20, s0
	s_addc_u32 s5, s21, s1
	s_ashr_i32 s3, s2, 31
	s_lshl_b64 s[0:1], s[2:3], 2
	s_add_u32 s2, s4, s0
	s_addc_u32 s3, s5, s1
	s_lshl_b32 s0, s8, 7
	s_ashr_i32 s1, s0, 31
	s_lshl_b64 s[0:1], s[0:1], 2
	s_add_u32 s0, s2, s0
	s_addc_u32 s1, s3, s1
	global_store_dword v32, v0, s[0:1]
	global_store_dword v32, v1, s[0:1] offset:16
	global_store_dword v32, v2, s[0:1] offset:32
	;; [unrolled: 1-line block ×31, first 2 shown]
.LBB60_170:
	s_endpgm
.LBB60_171:
	ds_read_b32 v34, v32
	s_waitcnt lgkmcnt(0)
	v_add_f32_e32 v0, v0, v34
	s_or_b32 exec_lo, exec_lo, s1
	s_and_saveexec_b32 s1, vcc_lo
	s_cbranch_execz .LBB60_99
.LBB60_172:
	ds_read_b32 v34, v32 offset:16
	s_waitcnt lgkmcnt(0)
	v_add_f32_e32 v1, v1, v34
	s_or_b32 exec_lo, exec_lo, s1
	s_and_saveexec_b32 s1, vcc_lo
	s_cbranch_execz .LBB60_100
.LBB60_173:
	ds_read_b32 v34, v32 offset:32
	s_waitcnt lgkmcnt(0)
	v_add_f32_e32 v2, v2, v34
	s_or_b32 exec_lo, exec_lo, s1
	s_and_saveexec_b32 s1, vcc_lo
	s_cbranch_execz .LBB60_101
.LBB60_174:
	ds_read_b32 v34, v32 offset:48
	s_waitcnt lgkmcnt(0)
	v_add_f32_e32 v3, v3, v34
	s_or_b32 exec_lo, exec_lo, s1
	s_and_saveexec_b32 s1, vcc_lo
	s_cbranch_execz .LBB60_102
.LBB60_175:
	ds_read_b32 v34, v32 offset:64
	s_waitcnt lgkmcnt(0)
	v_add_f32_e32 v4, v4, v34
	s_or_b32 exec_lo, exec_lo, s1
	s_and_saveexec_b32 s1, vcc_lo
	s_cbranch_execz .LBB60_103
.LBB60_176:
	ds_read_b32 v34, v32 offset:80
	s_waitcnt lgkmcnt(0)
	v_add_f32_e32 v5, v5, v34
	s_or_b32 exec_lo, exec_lo, s1
	s_and_saveexec_b32 s1, vcc_lo
	s_cbranch_execz .LBB60_104
.LBB60_177:
	ds_read_b32 v34, v32 offset:96
	s_waitcnt lgkmcnt(0)
	v_add_f32_e32 v6, v6, v34
	s_or_b32 exec_lo, exec_lo, s1
	s_and_saveexec_b32 s1, vcc_lo
	s_cbranch_execz .LBB60_105
.LBB60_178:
	ds_read_b32 v34, v32 offset:112
	s_waitcnt lgkmcnt(0)
	v_add_f32_e32 v7, v7, v34
	s_or_b32 exec_lo, exec_lo, s1
	s_and_saveexec_b32 s1, vcc_lo
	s_cbranch_execz .LBB60_106
.LBB60_179:
	ds_read_b32 v34, v32 offset:128
	s_waitcnt lgkmcnt(0)
	v_add_f32_e32 v8, v8, v34
	s_or_b32 exec_lo, exec_lo, s1
	s_and_saveexec_b32 s1, vcc_lo
	s_cbranch_execz .LBB60_107
.LBB60_180:
	ds_read_b32 v34, v32 offset:144
	s_waitcnt lgkmcnt(0)
	v_add_f32_e32 v9, v9, v34
	s_or_b32 exec_lo, exec_lo, s1
	s_and_saveexec_b32 s1, vcc_lo
	s_cbranch_execz .LBB60_108
.LBB60_181:
	ds_read_b32 v34, v32 offset:160
	s_waitcnt lgkmcnt(0)
	v_add_f32_e32 v10, v10, v34
	s_or_b32 exec_lo, exec_lo, s1
	s_and_saveexec_b32 s1, vcc_lo
	s_cbranch_execz .LBB60_109
.LBB60_182:
	ds_read_b32 v34, v32 offset:176
	s_waitcnt lgkmcnt(0)
	v_add_f32_e32 v11, v11, v34
	s_or_b32 exec_lo, exec_lo, s1
	s_and_saveexec_b32 s1, vcc_lo
	s_cbranch_execz .LBB60_110
.LBB60_183:
	ds_read_b32 v34, v32 offset:192
	s_waitcnt lgkmcnt(0)
	v_add_f32_e32 v12, v12, v34
	s_or_b32 exec_lo, exec_lo, s1
	s_and_saveexec_b32 s1, vcc_lo
	s_cbranch_execz .LBB60_111
.LBB60_184:
	ds_read_b32 v34, v32 offset:208
	s_waitcnt lgkmcnt(0)
	v_add_f32_e32 v13, v13, v34
	s_or_b32 exec_lo, exec_lo, s1
	s_and_saveexec_b32 s1, vcc_lo
	s_cbranch_execz .LBB60_112
.LBB60_185:
	ds_read_b32 v34, v32 offset:224
	s_waitcnt lgkmcnt(0)
	v_add_f32_e32 v14, v14, v34
	s_or_b32 exec_lo, exec_lo, s1
	s_and_saveexec_b32 s1, vcc_lo
	s_cbranch_execz .LBB60_113
.LBB60_186:
	ds_read_b32 v34, v32 offset:240
	s_waitcnt lgkmcnt(0)
	v_add_f32_e32 v15, v15, v34
	s_or_b32 exec_lo, exec_lo, s1
	s_and_saveexec_b32 s1, vcc_lo
	s_cbranch_execz .LBB60_114
.LBB60_187:
	ds_read_b32 v34, v32 offset:256
	s_waitcnt lgkmcnt(0)
	v_add_f32_e32 v16, v16, v34
	s_or_b32 exec_lo, exec_lo, s1
	s_and_saveexec_b32 s1, vcc_lo
	s_cbranch_execz .LBB60_115
.LBB60_188:
	ds_read_b32 v34, v32 offset:272
	s_waitcnt lgkmcnt(0)
	v_add_f32_e32 v17, v17, v34
	s_or_b32 exec_lo, exec_lo, s1
	s_and_saveexec_b32 s1, vcc_lo
	s_cbranch_execz .LBB60_116
.LBB60_189:
	ds_read_b32 v34, v32 offset:288
	s_waitcnt lgkmcnt(0)
	v_add_f32_e32 v18, v18, v34
	s_or_b32 exec_lo, exec_lo, s1
	s_and_saveexec_b32 s1, vcc_lo
	s_cbranch_execz .LBB60_117
.LBB60_190:
	ds_read_b32 v34, v32 offset:304
	s_waitcnt lgkmcnt(0)
	v_add_f32_e32 v19, v19, v34
	s_or_b32 exec_lo, exec_lo, s1
	s_and_saveexec_b32 s1, vcc_lo
	s_cbranch_execz .LBB60_118
.LBB60_191:
	ds_read_b32 v34, v32 offset:320
	s_waitcnt lgkmcnt(0)
	v_add_f32_e32 v20, v20, v34
	s_or_b32 exec_lo, exec_lo, s1
	s_and_saveexec_b32 s1, vcc_lo
	s_cbranch_execz .LBB60_119
.LBB60_192:
	ds_read_b32 v34, v32 offset:336
	s_waitcnt lgkmcnt(0)
	v_add_f32_e32 v21, v21, v34
	s_or_b32 exec_lo, exec_lo, s1
	s_and_saveexec_b32 s1, vcc_lo
	s_cbranch_execz .LBB60_120
.LBB60_193:
	ds_read_b32 v34, v32 offset:352
	s_waitcnt lgkmcnt(0)
	v_add_f32_e32 v22, v22, v34
	s_or_b32 exec_lo, exec_lo, s1
	s_and_saveexec_b32 s1, vcc_lo
	s_cbranch_execz .LBB60_121
.LBB60_194:
	ds_read_b32 v34, v32 offset:368
	s_waitcnt lgkmcnt(0)
	v_add_f32_e32 v23, v23, v34
	s_or_b32 exec_lo, exec_lo, s1
	s_and_saveexec_b32 s1, vcc_lo
	s_cbranch_execz .LBB60_122
.LBB60_195:
	ds_read_b32 v34, v32 offset:384
	s_waitcnt lgkmcnt(0)
	v_add_f32_e32 v24, v24, v34
	s_or_b32 exec_lo, exec_lo, s1
	s_and_saveexec_b32 s1, vcc_lo
	s_cbranch_execz .LBB60_123
.LBB60_196:
	ds_read_b32 v34, v32 offset:400
	s_waitcnt lgkmcnt(0)
	v_add_f32_e32 v25, v25, v34
	s_or_b32 exec_lo, exec_lo, s1
	s_and_saveexec_b32 s1, vcc_lo
	s_cbranch_execz .LBB60_124
.LBB60_197:
	ds_read_b32 v34, v32 offset:416
	s_waitcnt lgkmcnt(0)
	v_add_f32_e32 v26, v26, v34
	s_or_b32 exec_lo, exec_lo, s1
	s_and_saveexec_b32 s1, vcc_lo
	s_cbranch_execz .LBB60_125
.LBB60_198:
	ds_read_b32 v34, v32 offset:432
	s_waitcnt lgkmcnt(0)
	v_add_f32_e32 v27, v27, v34
	s_or_b32 exec_lo, exec_lo, s1
	s_and_saveexec_b32 s1, vcc_lo
	s_cbranch_execz .LBB60_126
.LBB60_199:
	ds_read_b32 v34, v32 offset:448
	s_waitcnt lgkmcnt(0)
	v_add_f32_e32 v28, v28, v34
	s_or_b32 exec_lo, exec_lo, s1
	s_and_saveexec_b32 s1, vcc_lo
	s_cbranch_execz .LBB60_127
.LBB60_200:
	ds_read_b32 v34, v32 offset:464
	s_waitcnt lgkmcnt(0)
	v_add_f32_e32 v29, v29, v34
	s_or_b32 exec_lo, exec_lo, s1
	s_and_saveexec_b32 s1, vcc_lo
	s_cbranch_execz .LBB60_128
.LBB60_201:
	ds_read_b32 v34, v32 offset:480
	s_waitcnt lgkmcnt(0)
	v_add_f32_e32 v30, v30, v34
	s_or_b32 exec_lo, exec_lo, s1
	s_and_saveexec_b32 s1, vcc_lo
	s_cbranch_execnz .LBB60_129
	s_branch .LBB60_130
.LBB60_202:
	ds_read_b32 v33, v32
	s_waitcnt lgkmcnt(0)
	v_add_f32_e32 v0, v0, v33
	s_or_b32 exec_lo, exec_lo, s0
	s_and_saveexec_b32 s0, vcc_lo
	s_cbranch_execz .LBB60_136
.LBB60_203:
	ds_read_b32 v33, v32 offset:16
	s_waitcnt lgkmcnt(0)
	v_add_f32_e32 v1, v1, v33
	s_or_b32 exec_lo, exec_lo, s0
	s_and_saveexec_b32 s0, vcc_lo
	s_cbranch_execz .LBB60_137
.LBB60_204:
	ds_read_b32 v33, v32 offset:32
	s_waitcnt lgkmcnt(0)
	v_add_f32_e32 v2, v2, v33
	s_or_b32 exec_lo, exec_lo, s0
	s_and_saveexec_b32 s0, vcc_lo
	s_cbranch_execz .LBB60_138
.LBB60_205:
	ds_read_b32 v33, v32 offset:48
	s_waitcnt lgkmcnt(0)
	v_add_f32_e32 v3, v3, v33
	s_or_b32 exec_lo, exec_lo, s0
	s_and_saveexec_b32 s0, vcc_lo
	s_cbranch_execz .LBB60_139
.LBB60_206:
	ds_read_b32 v33, v32 offset:64
	s_waitcnt lgkmcnt(0)
	v_add_f32_e32 v4, v4, v33
	s_or_b32 exec_lo, exec_lo, s0
	s_and_saveexec_b32 s0, vcc_lo
	s_cbranch_execz .LBB60_140
.LBB60_207:
	ds_read_b32 v33, v32 offset:80
	s_waitcnt lgkmcnt(0)
	v_add_f32_e32 v5, v5, v33
	s_or_b32 exec_lo, exec_lo, s0
	s_and_saveexec_b32 s0, vcc_lo
	s_cbranch_execz .LBB60_141
.LBB60_208:
	ds_read_b32 v33, v32 offset:96
	s_waitcnt lgkmcnt(0)
	v_add_f32_e32 v6, v6, v33
	s_or_b32 exec_lo, exec_lo, s0
	s_and_saveexec_b32 s0, vcc_lo
	s_cbranch_execz .LBB60_142
.LBB60_209:
	ds_read_b32 v33, v32 offset:112
	s_waitcnt lgkmcnt(0)
	v_add_f32_e32 v7, v7, v33
	s_or_b32 exec_lo, exec_lo, s0
	s_and_saveexec_b32 s0, vcc_lo
	s_cbranch_execz .LBB60_143
.LBB60_210:
	ds_read_b32 v33, v32 offset:128
	s_waitcnt lgkmcnt(0)
	v_add_f32_e32 v8, v8, v33
	s_or_b32 exec_lo, exec_lo, s0
	s_and_saveexec_b32 s0, vcc_lo
	s_cbranch_execz .LBB60_144
.LBB60_211:
	ds_read_b32 v33, v32 offset:144
	s_waitcnt lgkmcnt(0)
	v_add_f32_e32 v9, v9, v33
	s_or_b32 exec_lo, exec_lo, s0
	s_and_saveexec_b32 s0, vcc_lo
	s_cbranch_execz .LBB60_145
.LBB60_212:
	ds_read_b32 v33, v32 offset:160
	s_waitcnt lgkmcnt(0)
	v_add_f32_e32 v10, v10, v33
	s_or_b32 exec_lo, exec_lo, s0
	s_and_saveexec_b32 s0, vcc_lo
	s_cbranch_execz .LBB60_146
.LBB60_213:
	ds_read_b32 v33, v32 offset:176
	s_waitcnt lgkmcnt(0)
	v_add_f32_e32 v11, v11, v33
	s_or_b32 exec_lo, exec_lo, s0
	s_and_saveexec_b32 s0, vcc_lo
	s_cbranch_execz .LBB60_147
.LBB60_214:
	ds_read_b32 v33, v32 offset:192
	s_waitcnt lgkmcnt(0)
	v_add_f32_e32 v12, v12, v33
	s_or_b32 exec_lo, exec_lo, s0
	s_and_saveexec_b32 s0, vcc_lo
	s_cbranch_execz .LBB60_148
.LBB60_215:
	ds_read_b32 v33, v32 offset:208
	s_waitcnt lgkmcnt(0)
	v_add_f32_e32 v13, v13, v33
	s_or_b32 exec_lo, exec_lo, s0
	s_and_saveexec_b32 s0, vcc_lo
	s_cbranch_execz .LBB60_149
.LBB60_216:
	ds_read_b32 v33, v32 offset:224
	s_waitcnt lgkmcnt(0)
	v_add_f32_e32 v14, v14, v33
	s_or_b32 exec_lo, exec_lo, s0
	s_and_saveexec_b32 s0, vcc_lo
	s_cbranch_execz .LBB60_150
.LBB60_217:
	ds_read_b32 v33, v32 offset:240
	s_waitcnt lgkmcnt(0)
	v_add_f32_e32 v15, v15, v33
	s_or_b32 exec_lo, exec_lo, s0
	s_and_saveexec_b32 s0, vcc_lo
	s_cbranch_execz .LBB60_151
.LBB60_218:
	ds_read_b32 v33, v32 offset:256
	s_waitcnt lgkmcnt(0)
	v_add_f32_e32 v16, v16, v33
	s_or_b32 exec_lo, exec_lo, s0
	s_and_saveexec_b32 s0, vcc_lo
	s_cbranch_execz .LBB60_152
.LBB60_219:
	ds_read_b32 v33, v32 offset:272
	s_waitcnt lgkmcnt(0)
	v_add_f32_e32 v17, v17, v33
	s_or_b32 exec_lo, exec_lo, s0
	s_and_saveexec_b32 s0, vcc_lo
	s_cbranch_execz .LBB60_153
.LBB60_220:
	ds_read_b32 v33, v32 offset:288
	s_waitcnt lgkmcnt(0)
	v_add_f32_e32 v18, v18, v33
	s_or_b32 exec_lo, exec_lo, s0
	s_and_saveexec_b32 s0, vcc_lo
	s_cbranch_execz .LBB60_154
.LBB60_221:
	ds_read_b32 v33, v32 offset:304
	s_waitcnt lgkmcnt(0)
	v_add_f32_e32 v19, v19, v33
	s_or_b32 exec_lo, exec_lo, s0
	s_and_saveexec_b32 s0, vcc_lo
	s_cbranch_execz .LBB60_155
.LBB60_222:
	ds_read_b32 v33, v32 offset:320
	s_waitcnt lgkmcnt(0)
	v_add_f32_e32 v20, v20, v33
	s_or_b32 exec_lo, exec_lo, s0
	s_and_saveexec_b32 s0, vcc_lo
	s_cbranch_execz .LBB60_156
.LBB60_223:
	ds_read_b32 v33, v32 offset:336
	s_waitcnt lgkmcnt(0)
	v_add_f32_e32 v21, v21, v33
	s_or_b32 exec_lo, exec_lo, s0
	s_and_saveexec_b32 s0, vcc_lo
	s_cbranch_execz .LBB60_157
.LBB60_224:
	ds_read_b32 v33, v32 offset:352
	s_waitcnt lgkmcnt(0)
	v_add_f32_e32 v22, v22, v33
	s_or_b32 exec_lo, exec_lo, s0
	s_and_saveexec_b32 s0, vcc_lo
	s_cbranch_execz .LBB60_158
.LBB60_225:
	ds_read_b32 v33, v32 offset:368
	s_waitcnt lgkmcnt(0)
	v_add_f32_e32 v23, v23, v33
	s_or_b32 exec_lo, exec_lo, s0
	s_and_saveexec_b32 s0, vcc_lo
	s_cbranch_execz .LBB60_159
.LBB60_226:
	ds_read_b32 v33, v32 offset:384
	s_waitcnt lgkmcnt(0)
	v_add_f32_e32 v24, v24, v33
	s_or_b32 exec_lo, exec_lo, s0
	s_and_saveexec_b32 s0, vcc_lo
	s_cbranch_execz .LBB60_160
.LBB60_227:
	ds_read_b32 v33, v32 offset:400
	s_waitcnt lgkmcnt(0)
	v_add_f32_e32 v25, v25, v33
	s_or_b32 exec_lo, exec_lo, s0
	s_and_saveexec_b32 s0, vcc_lo
	s_cbranch_execz .LBB60_161
.LBB60_228:
	ds_read_b32 v33, v32 offset:416
	s_waitcnt lgkmcnt(0)
	v_add_f32_e32 v26, v26, v33
	s_or_b32 exec_lo, exec_lo, s0
	s_and_saveexec_b32 s0, vcc_lo
	s_cbranch_execz .LBB60_162
.LBB60_229:
	ds_read_b32 v33, v32 offset:432
	s_waitcnt lgkmcnt(0)
	v_add_f32_e32 v27, v27, v33
	s_or_b32 exec_lo, exec_lo, s0
	s_and_saveexec_b32 s0, vcc_lo
	s_cbranch_execz .LBB60_163
.LBB60_230:
	ds_read_b32 v33, v32 offset:448
	s_waitcnt lgkmcnt(0)
	v_add_f32_e32 v28, v28, v33
	s_or_b32 exec_lo, exec_lo, s0
	s_and_saveexec_b32 s0, vcc_lo
	s_cbranch_execz .LBB60_164
.LBB60_231:
	ds_read_b32 v33, v32 offset:464
	s_waitcnt lgkmcnt(0)
	v_add_f32_e32 v29, v29, v33
	s_or_b32 exec_lo, exec_lo, s0
	s_and_saveexec_b32 s0, vcc_lo
	s_cbranch_execz .LBB60_165
.LBB60_232:
	ds_read_b32 v33, v32 offset:480
	s_waitcnt lgkmcnt(0)
	v_add_f32_e32 v30, v30, v33
	s_or_b32 exec_lo, exec_lo, s0
	s_and_saveexec_b32 s0, vcc_lo
	s_cbranch_execnz .LBB60_166
	s_branch .LBB60_167
	.section	.rodata,"a",@progbits
	.p2align	6, 0x0
	.amdhsa_kernel _ZN4vllm25paged_attention_v2_kernelIffLi128ELi32ELi128ELNS_18Fp8KVCacheDataTypeE0ELb0ELi512EEEvPfS2_PT_PKS3_PKT0_S9_ifPKiSB_iPKfiiiSD_SD_iiiii
		.amdhsa_group_segment_fixed_size 544
		.amdhsa_private_segment_fixed_size 288
		.amdhsa_kernarg_size 400
		.amdhsa_user_sgpr_count 6
		.amdhsa_user_sgpr_private_segment_buffer 1
		.amdhsa_user_sgpr_dispatch_ptr 0
		.amdhsa_user_sgpr_queue_ptr 0
		.amdhsa_user_sgpr_kernarg_segment_ptr 1
		.amdhsa_user_sgpr_dispatch_id 0
		.amdhsa_user_sgpr_flat_scratch_init 0
		.amdhsa_user_sgpr_private_segment_size 0
		.amdhsa_wavefront_size32 1
		.amdhsa_uses_dynamic_stack 0
		.amdhsa_system_sgpr_private_segment_wavefront_offset 1
		.amdhsa_system_sgpr_workgroup_id_x 1
		.amdhsa_system_sgpr_workgroup_id_y 1
		.amdhsa_system_sgpr_workgroup_id_z 1
		.amdhsa_system_sgpr_workgroup_info 0
		.amdhsa_system_vgpr_workitem_id 0
		.amdhsa_next_free_vgpr 128
		.amdhsa_next_free_sgpr 44
		.amdhsa_reserve_vcc 1
		.amdhsa_reserve_flat_scratch 0
		.amdhsa_float_round_mode_32 0
		.amdhsa_float_round_mode_16_64 0
		.amdhsa_float_denorm_mode_32 3
		.amdhsa_float_denorm_mode_16_64 3
		.amdhsa_dx10_clamp 1
		.amdhsa_ieee_mode 1
		.amdhsa_fp16_overflow 0
		.amdhsa_workgroup_processor_mode 1
		.amdhsa_memory_ordered 1
		.amdhsa_forward_progress 1
		.amdhsa_shared_vgpr_count 0
		.amdhsa_exception_fp_ieee_invalid_op 0
		.amdhsa_exception_fp_denorm_src 0
		.amdhsa_exception_fp_ieee_div_zero 0
		.amdhsa_exception_fp_ieee_overflow 0
		.amdhsa_exception_fp_ieee_underflow 0
		.amdhsa_exception_fp_ieee_inexact 0
		.amdhsa_exception_int_div_zero 0
	.end_amdhsa_kernel
	.section	.text._ZN4vllm25paged_attention_v2_kernelIffLi128ELi32ELi128ELNS_18Fp8KVCacheDataTypeE0ELb0ELi512EEEvPfS2_PT_PKS3_PKT0_S9_ifPKiSB_iPKfiiiSD_SD_iiiii,"axG",@progbits,_ZN4vllm25paged_attention_v2_kernelIffLi128ELi32ELi128ELNS_18Fp8KVCacheDataTypeE0ELb0ELi512EEEvPfS2_PT_PKS3_PKT0_S9_ifPKiSB_iPKfiiiSD_SD_iiiii,comdat
.Lfunc_end60:
	.size	_ZN4vllm25paged_attention_v2_kernelIffLi128ELi32ELi128ELNS_18Fp8KVCacheDataTypeE0ELb0ELi512EEEvPfS2_PT_PKS3_PKT0_S9_ifPKiSB_iPKfiiiSD_SD_iiiii, .Lfunc_end60-_ZN4vllm25paged_attention_v2_kernelIffLi128ELi32ELi128ELNS_18Fp8KVCacheDataTypeE0ELb0ELi512EEEvPfS2_PT_PKS3_PKT0_S9_ifPKiSB_iPKfiiiSD_SD_iiiii
                                        ; -- End function
	.set _ZN4vllm25paged_attention_v2_kernelIffLi128ELi32ELi128ELNS_18Fp8KVCacheDataTypeE0ELb0ELi512EEEvPfS2_PT_PKS3_PKT0_S9_ifPKiSB_iPKfiiiSD_SD_iiiii.num_vgpr, 128
	.set _ZN4vllm25paged_attention_v2_kernelIffLi128ELi32ELi128ELNS_18Fp8KVCacheDataTypeE0ELb0ELi512EEEvPfS2_PT_PKS3_PKT0_S9_ifPKiSB_iPKfiiiSD_SD_iiiii.num_agpr, 0
	.set _ZN4vllm25paged_attention_v2_kernelIffLi128ELi32ELi128ELNS_18Fp8KVCacheDataTypeE0ELb0ELi512EEEvPfS2_PT_PKS3_PKT0_S9_ifPKiSB_iPKfiiiSD_SD_iiiii.numbered_sgpr, 44
	.set _ZN4vllm25paged_attention_v2_kernelIffLi128ELi32ELi128ELNS_18Fp8KVCacheDataTypeE0ELb0ELi512EEEvPfS2_PT_PKS3_PKT0_S9_ifPKiSB_iPKfiiiSD_SD_iiiii.num_named_barrier, 0
	.set _ZN4vllm25paged_attention_v2_kernelIffLi128ELi32ELi128ELNS_18Fp8KVCacheDataTypeE0ELb0ELi512EEEvPfS2_PT_PKS3_PKT0_S9_ifPKiSB_iPKfiiiSD_SD_iiiii.private_seg_size, 288
	.set _ZN4vllm25paged_attention_v2_kernelIffLi128ELi32ELi128ELNS_18Fp8KVCacheDataTypeE0ELb0ELi512EEEvPfS2_PT_PKS3_PKT0_S9_ifPKiSB_iPKfiiiSD_SD_iiiii.uses_vcc, 1
	.set _ZN4vllm25paged_attention_v2_kernelIffLi128ELi32ELi128ELNS_18Fp8KVCacheDataTypeE0ELb0ELi512EEEvPfS2_PT_PKS3_PKT0_S9_ifPKiSB_iPKfiiiSD_SD_iiiii.uses_flat_scratch, 0
	.set _ZN4vllm25paged_attention_v2_kernelIffLi128ELi32ELi128ELNS_18Fp8KVCacheDataTypeE0ELb0ELi512EEEvPfS2_PT_PKS3_PKT0_S9_ifPKiSB_iPKfiiiSD_SD_iiiii.has_dyn_sized_stack, 0
	.set _ZN4vllm25paged_attention_v2_kernelIffLi128ELi32ELi128ELNS_18Fp8KVCacheDataTypeE0ELb0ELi512EEEvPfS2_PT_PKS3_PKT0_S9_ifPKiSB_iPKfiiiSD_SD_iiiii.has_recursion, 0
	.set _ZN4vllm25paged_attention_v2_kernelIffLi128ELi32ELi128ELNS_18Fp8KVCacheDataTypeE0ELb0ELi512EEEvPfS2_PT_PKS3_PKT0_S9_ifPKiSB_iPKfiiiSD_SD_iiiii.has_indirect_call, 0
	.section	.AMDGPU.csdata,"",@progbits
; Kernel info:
; codeLenInByte = 15488
; TotalNumSgprs: 46
; NumVgprs: 128
; ScratchSize: 288
; MemoryBound: 0
; FloatMode: 240
; IeeeMode: 1
; LDSByteSize: 544 bytes/workgroup (compile time only)
; SGPRBlocks: 0
; VGPRBlocks: 15
; NumSGPRsForWavesPerEU: 46
; NumVGPRsForWavesPerEU: 128
; Occupancy: 8
; WaveLimiterHint : 1
; COMPUTE_PGM_RSRC2:SCRATCH_EN: 1
; COMPUTE_PGM_RSRC2:USER_SGPR: 6
; COMPUTE_PGM_RSRC2:TRAP_HANDLER: 0
; COMPUTE_PGM_RSRC2:TGID_X_EN: 1
; COMPUTE_PGM_RSRC2:TGID_Y_EN: 1
; COMPUTE_PGM_RSRC2:TGID_Z_EN: 1
; COMPUTE_PGM_RSRC2:TIDIG_COMP_CNT: 0
	.section	.text._ZN4vllm25paged_attention_v2_kernelIffLi192ELi32ELi128ELNS_18Fp8KVCacheDataTypeE0ELb0ELi512EEEvPfS2_PT_PKS3_PKT0_S9_ifPKiSB_iPKfiiiSD_SD_iiiii,"axG",@progbits,_ZN4vllm25paged_attention_v2_kernelIffLi192ELi32ELi128ELNS_18Fp8KVCacheDataTypeE0ELb0ELi512EEEvPfS2_PT_PKS3_PKT0_S9_ifPKiSB_iPKfiiiSD_SD_iiiii,comdat
	.protected	_ZN4vllm25paged_attention_v2_kernelIffLi192ELi32ELi128ELNS_18Fp8KVCacheDataTypeE0ELb0ELi512EEEvPfS2_PT_PKS3_PKT0_S9_ifPKiSB_iPKfiiiSD_SD_iiiii ; -- Begin function _ZN4vllm25paged_attention_v2_kernelIffLi192ELi32ELi128ELNS_18Fp8KVCacheDataTypeE0ELb0ELi512EEEvPfS2_PT_PKS3_PKT0_S9_ifPKiSB_iPKfiiiSD_SD_iiiii
	.globl	_ZN4vllm25paged_attention_v2_kernelIffLi192ELi32ELi128ELNS_18Fp8KVCacheDataTypeE0ELb0ELi512EEEvPfS2_PT_PKS3_PKT0_S9_ifPKiSB_iPKfiiiSD_SD_iiiii
	.p2align	8
	.type	_ZN4vllm25paged_attention_v2_kernelIffLi192ELi32ELi128ELNS_18Fp8KVCacheDataTypeE0ELb0ELi512EEEvPfS2_PT_PKS3_PKT0_S9_ifPKiSB_iPKfiiiSD_SD_iiiii,@function
_ZN4vllm25paged_attention_v2_kernelIffLi192ELi32ELi128ELNS_18Fp8KVCacheDataTypeE0ELb0ELi512EEEvPfS2_PT_PKS3_PKT0_S9_ifPKiSB_iPKfiiiSD_SD_iiiii: ; @_ZN4vllm25paged_attention_v2_kernelIffLi192ELi32ELi128ELNS_18Fp8KVCacheDataTypeE0ELb0ELi512EEEvPfS2_PT_PKS3_PKT0_S9_ifPKiSB_iPKfiiiSD_SD_iiiii
; %bb.0:
	s_mov_b64 s[42:43], s[2:3]
	s_mov_b64 s[40:41], s[0:1]
	s_load_dwordx2 s[0:1], s[4:5], 0x40
	s_add_u32 s40, s40, s9
	s_addc_u32 s41, s41, 0
	s_mov_b32 s24, s7
	s_ashr_i32 s25, s7, 31
	s_lshl_b64 s[2:3], s[24:25], 2
	s_waitcnt lgkmcnt(0)
	s_add_u32 s0, s0, s2
	s_addc_u32 s1, s1, s3
	s_lshl_b32 s30, s8, 9
	s_load_dword s25, s[0:1], 0x0
	s_waitcnt lgkmcnt(0)
	s_cmp_ge_i32 s30, s25
	s_cbranch_scc1 .LBB61_235
; %bb.1:
	s_clause 0x1
	s_load_dword s9, s[4:5], 0x90
	s_load_dwordx2 s[2:3], s[4:5], 0x30
	v_mov_b32_e32 v72, v0
	s_mov_b32 s33, 0
	s_waitcnt lgkmcnt(0)
	s_abs_i32 s10, s9
	s_abs_i32 s0, s2
	s_xor_b32 s2, s9, s2
	v_cvt_f32_u32_e32 v0, s0
	s_sub_i32 s7, 0, s0
	s_ashr_i32 s2, s2, 31
	v_rcp_iflag_f32_e32 v0, v0
	v_mul_f32_e32 v0, 0x4f7ffffe, v0
	v_cvt_u32_f32_e32 v0, v0
	v_readfirstlane_b32 s1, v0
	s_mul_i32 s7, s7, s1
	s_mul_hi_u32 s7, s1, s7
	s_add_i32 s1, s1, s7
	s_mul_hi_u32 s1, s10, s1
	s_mul_i32 s7, s1, s0
	s_sub_i32 s7, s10, s7
	s_add_i32 s10, s1, 1
	s_sub_i32 s11, s7, s0
	s_cmp_ge_u32 s7, s0
	s_cselect_b32 s1, s10, s1
	s_cselect_b32 s7, s11, s7
	s_add_i32 s10, s1, 1
	s_cmp_ge_u32 s7, s0
	s_cselect_b32 s0, s10, s1
	s_abs_i32 s29, s6
	s_xor_b32 s0, s0, s2
	s_sub_i32 s10, s0, s2
	s_load_dwordx2 s[0:1], s[4:5], 0x50
	s_abs_i32 s2, s10
	v_cvt_f32_u32_e32 v0, s2
	s_sub_i32 s11, 0, s2
	v_rcp_iflag_f32_e32 v0, v0
	v_mul_f32_e32 v0, 0x4f7ffffe, v0
	v_cvt_u32_f32_e32 v0, v0
	v_readfirstlane_b32 s7, v0
	s_mul_i32 s11, s11, s7
	s_mul_hi_u32 s11, s7, s11
	s_add_i32 s7, s7, s11
	s_waitcnt lgkmcnt(0)
	s_cmp_eq_u64 s[0:1], 0
	s_mul_hi_u32 s28, s29, s7
	s_cbranch_scc1 .LBB61_3
; %bb.2:
	s_ashr_i32 s7, s6, 31
	s_lshl_b64 s[12:13], s[6:7], 2
	s_add_u32 s0, s0, s12
	s_addc_u32 s1, s1, s13
	s_load_dword s33, s[0:1], 0x0
.LBB61_3:
	s_clause 0x1
	s_load_dwordx2 s[22:23], s[4:5], 0x38
	s_load_dwordx4 s[12:15], s[4:5], 0x58
	s_ashr_i32 s0, s6, 31
	s_ashr_i32 s1, s10, 31
	s_mul_i32 s10, s6, 0xc0
	s_mov_b32 s7, exec_lo
	v_cmpx_gt_u32_e32 48, v72
	s_cbranch_execz .LBB61_5
; %bb.4:
	s_load_dwordx2 s[16:17], s[4:5], 0x18
	s_waitcnt lgkmcnt(0)
	s_mul_i32 s18, s12, s24
	v_lshlrev_b32_e32 v4, 4, v72
	s_ashr_i32 s19, s18, 31
	s_lshl_b64 s[18:19], s[18:19], 2
	s_add_u32 s12, s16, s18
	s_addc_u32 s15, s17, s19
	s_ashr_i32 s11, s10, 31
	s_lshl_b64 s[16:17], s[10:11], 2
	s_add_u32 s16, s12, s16
	s_addc_u32 s17, s15, s17
	global_load_dwordx4 v[0:3], v4, s[16:17]
	s_waitcnt vmcnt(0)
	ds_write_b128 v4, v[0:3]
.LBB61_5:
	s_or_b32 exec_lo, exec_lo, s7
	s_add_i32 s7, s25, 31
	s_clause 0x1
	s_load_dwordx4 s[16:19], s[4:5], 0x0
	s_load_dwordx2 s[20:21], s[4:5], 0x10
	s_ashr_i32 s11, s7, 31
	s_lshl_b32 s31, s8, 4
	s_lshr_b32 s11, s11, 27
	s_mul_i32 s34, s28, s2
	s_add_i32 s7, s7, s11
	s_add_i32 s11, s31, 16
	s_waitcnt lgkmcnt(0)
	s_ashr_i32 s12, s7, 5
	s_clause 0x2
	s_load_dwordx2 s[26:27], s[4:5], 0x28
	s_load_dword s7, s[4:5], 0x98
	s_load_dword s15, s[4:5], 0x48
	s_xor_b32 s0, s0, s1
	s_sub_i32 s1, s29, s34
	s_min_i32 s11, s11, s12
	s_add_i32 s29, s28, 1
	s_sub_i32 s34, s1, s2
	s_cmp_ge_u32 s1, s2
	v_lshrrev_b32_e32 v73, 5, v72
	s_cselect_b32 s28, s29, s28
	s_cselect_b32 s1, s34, s1
	s_add_i32 s29, s28, 1
	s_cmp_ge_u32 s1, s2
	v_add_nc_u32_e32 v9, s31, v73
	v_and_b32_e32 v74, 31, v72
	s_cselect_b32 s1, s29, s28
	v_mov_b32_e32 v71, 0xff7fffff
	s_xor_b32 s1, s1, s0
	v_ashrrev_i32_e32 v10, 31, v9
	s_sub_i32 s1, s1, s0
	v_cmp_gt_i32_e64 s0, s11, v9
	v_lshlrev_b32_e32 v69, 2, v74
	s_waitcnt lgkmcnt(0)
	s_mul_i32 s28, s15, s24
	s_mul_i32 s14, s1, s14
	s_ashr_i32 s29, s28, 31
	s_barrier
	buffer_gl0_inv
	s_mov_b32 s34, exec_lo
	s_and_b32 s1, s34, s0
	buffer_store_dword v72, off, s[40:43], 0 offset:580 ; 4-byte Folded Spill
	buffer_store_dword v73, off, s[40:43], 0 offset:584 ; 4-byte Folded Spill
	;; [unrolled: 1-line block ×3, first 2 shown]
	s_mov_b32 exec_lo, s1
	s_cbranch_execz .LBB61_9
; %bb.6:
	s_load_dwordx2 s[36:37], s[4:5], 0x20
	s_ashr_i32 s15, s14, 31
	v_lshlrev_b32_e32 v0, 4, v74
	s_lshl_b64 s[38:39], s[14:15], 2
	v_mov_b32_e32 v65, 0
	v_mov_b32_e32 v76, v10
	;; [unrolled: 1-line block ×3, first 2 shown]
	v_cmp_neq_f32_e64 vcc_lo, s33, 0
	v_mov_b32_e32 v71, 0xff7fffff
	s_mov_b32 s4, s13
	s_mov_b32 s5, 0
	s_waitcnt lgkmcnt(0)
	s_add_u32 s1, s36, s38
	s_addc_u32 s2, s37, s39
	v_add_co_u32 v0, s1, s1, v0
	s_lshl_b64 s[36:37], s[28:29], 2
	s_sub_i32 s15, 1, s25
	buffer_store_dword v0, off, s[40:43], 0 ; 4-byte Folded Spill
	v_add_co_ci_u32_e64 v0, null, s2, 0, s1
	s_add_u32 s1, s22, s36
	s_addc_u32 s2, s23, s37
	buffer_store_dword v0, off, s[40:43], 0 offset:16 ; 4-byte Folded Spill
	ds_read_b128 v[0:3], v65
	s_waitcnt lgkmcnt(0)
	buffer_store_dword v0, off, s[40:43], 0 offset:32 ; 4-byte Folded Spill
	buffer_store_dword v1, off, s[40:43], 0 offset:36 ; 4-byte Folded Spill
	buffer_store_dword v2, off, s[40:43], 0 offset:40 ; 4-byte Folded Spill
	buffer_store_dword v3, off, s[40:43], 0 offset:44 ; 4-byte Folded Spill
	ds_read_b128 v[0:3], v65 offset:16
	s_waitcnt lgkmcnt(0)
	buffer_store_dword v0, off, s[40:43], 0 offset:48 ; 4-byte Folded Spill
	buffer_store_dword v1, off, s[40:43], 0 offset:52 ; 4-byte Folded Spill
	buffer_store_dword v2, off, s[40:43], 0 offset:56 ; 4-byte Folded Spill
	buffer_store_dword v3, off, s[40:43], 0 offset:60 ; 4-byte Folded Spill
	ds_read_b128 v[0:3], v65 offset:32
	;; [unrolled: 6-line block ×21, first 2 shown]
	s_waitcnt lgkmcnt(0)
	buffer_store_dword v0, off, s[40:43], 0 offset:376 ; 4-byte Folded Spill
	buffer_store_dword v1, off, s[40:43], 0 offset:380 ; 4-byte Folded Spill
	;; [unrolled: 1-line block ×4, first 2 shown]
	v_lshlrev_b32_e32 v0, 5, v73
	ds_read_b128 v[89:92], v65 offset:352
	ds_read_b128 v[93:96], v65 offset:368
	ds_read_b128 v[97:100], v65 offset:384
	ds_read_b128 v[101:104], v65 offset:400
	ds_read_b128 v[105:108], v65 offset:416
	ds_read_b128 v[109:112], v65 offset:432
	ds_read_b128 v[113:116], v65 offset:448
	ds_read_b128 v[117:120], v65 offset:464
	ds_read_b128 v[121:124], v65 offset:480
	ds_read_b128 v[1:4], v65 offset:496
	ds_read_b128 v[5:8], v65 offset:512
	ds_read_b128 v[9:12], v65 offset:528
	ds_read_b128 v[13:16], v65 offset:544
	ds_read_b128 v[17:20], v65 offset:560
	ds_read_b128 v[21:24], v65 offset:576
	ds_read_b128 v[25:28], v65 offset:592
	ds_read_b128 v[29:32], v65 offset:608
	ds_read_b128 v[33:36], v65 offset:624
	ds_read_b128 v[37:40], v65 offset:640
	ds_read_b128 v[41:44], v65 offset:656
	ds_read_b128 v[45:48], v65 offset:672
	ds_read_b128 v[49:52], v65 offset:688
	ds_read_b128 v[53:56], v65 offset:704
	ds_read_b128 v[57:60], v65 offset:720
	ds_read_b128 v[61:64], v65 offset:736
	ds_read_b128 v[65:68], v65 offset:752
	buffer_store_dword v69, off, s[40:43], 0 offset:392 ; 4-byte Folded Spill
	v_add3_u32 v127, s30, v0, v74
	v_lshl_or_b32 v0, v73, 7, v69
	v_lshlrev_b64 v[69:70], 2, v[75:76]
	buffer_store_dword v75, off, s[40:43], 0 offset:288 ; 4-byte Folded Spill
	buffer_store_dword v76, off, s[40:43], 0 offset:292 ; 4-byte Folded Spill
	v_add_nc_u32_e32 v0, 0x320, v0
	v_add_co_u32 v125, s1, s1, v69
	v_add_co_ci_u32_e64 v126, null, s2, v70, s1
	v_mov_b32_e32 v72, v75
.LBB61_7:                               ; =>This Inner Loop Header: Depth=1
	global_load_dword v69, v[125:126], off
	buffer_load_dword v73, off, s[40:43], 0 ; 4-byte Folded Reload
	v_add_nc_u32_e32 v72, 4, v72
	v_cmp_le_i32_e64 s2, s11, v72
	s_or_b32 s5, s2, s5
	s_waitcnt vmcnt(1)
	v_mad_i64_i32 v[69:70], null, v69, s4, 0
	v_lshlrev_b64 v[69:70], 2, v[69:70]
	s_waitcnt vmcnt(0)
	v_add_co_u32 v69, s1, v73, v69
	buffer_load_dword v73, off, s[40:43], 0 offset:16 ; 4-byte Folded Reload
	s_waitcnt vmcnt(0)
	v_add_co_ci_u32_e64 v70, null, v73, v70, s1
	global_load_dwordx4 v[73:76], v[69:70], off offset:512
	s_clause 0x3
	buffer_load_dword v77, off, s[40:43], 0 offset:48
	buffer_load_dword v78, off, s[40:43], 0 offset:52
	;; [unrolled: 1-line block ×4, first 2 shown]
	s_waitcnt vmcnt(3)
	v_mul_f32_e32 v73, v77, v73
	s_waitcnt vmcnt(2)
	v_mul_f32_e32 v74, v78, v74
	;; [unrolled: 2-line block ×4, first 2 shown]
	global_load_dwordx4 v[77:80], v[69:70], off
	s_clause 0x3
	buffer_load_dword v81, off, s[40:43], 0 offset:32
	buffer_load_dword v82, off, s[40:43], 0 offset:36
	;; [unrolled: 1-line block ×4, first 2 shown]
	s_waitcnt vmcnt(3)
	v_fmac_f32_e32 v73, v81, v77
	s_waitcnt vmcnt(2)
	v_fmac_f32_e32 v74, v82, v78
	;; [unrolled: 2-line block ×4, first 2 shown]
	global_load_dwordx4 v[77:80], v[69:70], off offset:1024
	s_clause 0x3
	buffer_load_dword v81, off, s[40:43], 0 offset:64
	buffer_load_dword v82, off, s[40:43], 0 offset:68
	;; [unrolled: 1-line block ×4, first 2 shown]
	s_waitcnt vmcnt(3)
	v_fmac_f32_e32 v73, v81, v77
	s_waitcnt vmcnt(2)
	v_fmac_f32_e32 v74, v82, v78
	;; [unrolled: 2-line block ×4, first 2 shown]
	global_load_dwordx4 v[77:80], v[69:70], off offset:1536
	s_clause 0x3
	buffer_load_dword v81, off, s[40:43], 0 offset:80
	buffer_load_dword v82, off, s[40:43], 0 offset:84
	;; [unrolled: 1-line block ×4, first 2 shown]
	s_waitcnt vmcnt(3)
	v_fmac_f32_e32 v73, v81, v77
	v_add_co_u32 v81, s1, v69, 0x1000
	s_waitcnt vmcnt(2)
	v_fmac_f32_e32 v74, v82, v78
	v_add_co_ci_u32_e64 v82, null, 0, v70, s1
	s_waitcnt vmcnt(1)
	v_fmac_f32_e32 v75, v83, v79
	s_waitcnt vmcnt(0)
	v_fmac_f32_e32 v76, v84, v80
	global_load_dwordx4 v[77:80], v[81:82], off offset:-2048
	s_clause 0x3
	buffer_load_dword v83, off, s[40:43], 0 offset:96
	buffer_load_dword v84, off, s[40:43], 0 offset:100
	;; [unrolled: 1-line block ×4, first 2 shown]
	s_waitcnt vmcnt(3)
	v_fmac_f32_e32 v73, v83, v77
	v_add_co_u32 v83, s1, 0x800, v69
	s_waitcnt vmcnt(2)
	v_fmac_f32_e32 v74, v84, v78
	v_add_co_ci_u32_e64 v84, null, 0, v70, s1
	s_waitcnt vmcnt(1)
	v_fmac_f32_e32 v75, v85, v79
	s_waitcnt vmcnt(0)
	v_fmac_f32_e32 v76, v86, v80
	global_load_dwordx4 v[77:80], v[83:84], off offset:512
	s_clause 0x3
	buffer_load_dword v85, off, s[40:43], 0 offset:112
	buffer_load_dword v86, off, s[40:43], 0 offset:116
	buffer_load_dword v87, off, s[40:43], 0 offset:120
	buffer_load_dword v88, off, s[40:43], 0 offset:124
	s_waitcnt vmcnt(3)
	v_fmac_f32_e32 v73, v85, v77
	s_waitcnt vmcnt(2)
	v_fmac_f32_e32 v74, v86, v78
	s_waitcnt vmcnt(1)
	v_fmac_f32_e32 v75, v87, v79
	s_waitcnt vmcnt(0)
	v_fmac_f32_e32 v76, v88, v80
	global_load_dwordx4 v[77:80], v[83:84], off offset:1024
	s_clause 0x3
	buffer_load_dword v85, off, s[40:43], 0 offset:128
	buffer_load_dword v86, off, s[40:43], 0 offset:132
	buffer_load_dword v87, off, s[40:43], 0 offset:136
	buffer_load_dword v88, off, s[40:43], 0 offset:140
	s_waitcnt vmcnt(3)
	v_fmac_f32_e32 v73, v85, v77
	s_waitcnt vmcnt(2)
	v_fmac_f32_e32 v74, v86, v78
	;; [unrolled: 14-line block ×3, first 2 shown]
	s_waitcnt vmcnt(1)
	v_fmac_f32_e32 v75, v85, v79
	s_waitcnt vmcnt(0)
	v_fmac_f32_e32 v76, v86, v80
	global_load_dwordx4 v[77:80], v[81:82], off
	s_clause 0x3
	buffer_load_dword v81, off, s[40:43], 0 offset:160
	buffer_load_dword v82, off, s[40:43], 0 offset:164
	;; [unrolled: 1-line block ×4, first 2 shown]
	s_waitcnt vmcnt(3)
	v_fmac_f32_e32 v73, v81, v77
	v_add_co_u32 v81, s1, 0x1000, v69
	s_waitcnt vmcnt(2)
	v_fmac_f32_e32 v74, v82, v78
	v_add_co_ci_u32_e64 v82, null, 0, v70, s1
	s_waitcnt vmcnt(1)
	v_fmac_f32_e32 v75, v83, v79
	s_waitcnt vmcnt(0)
	v_fmac_f32_e32 v76, v84, v80
	global_load_dwordx4 v[77:80], v[81:82], off offset:512
	s_clause 0x3
	buffer_load_dword v83, off, s[40:43], 0 offset:176
	buffer_load_dword v84, off, s[40:43], 0 offset:180
	;; [unrolled: 1-line block ×4, first 2 shown]
	s_waitcnt vmcnt(3)
	v_fmac_f32_e32 v73, v83, v77
	s_waitcnt vmcnt(2)
	v_fmac_f32_e32 v74, v84, v78
	;; [unrolled: 2-line block ×4, first 2 shown]
	global_load_dwordx4 v[77:80], v[81:82], off offset:1024
	s_clause 0x3
	buffer_load_dword v83, off, s[40:43], 0 offset:192
	buffer_load_dword v84, off, s[40:43], 0 offset:196
	;; [unrolled: 1-line block ×4, first 2 shown]
	s_waitcnt vmcnt(3)
	v_fmac_f32_e32 v73, v83, v77
	s_waitcnt vmcnt(2)
	v_fmac_f32_e32 v74, v84, v78
	s_waitcnt vmcnt(1)
	v_fmac_f32_e32 v75, v85, v79
	s_waitcnt vmcnt(0)
	v_fmac_f32_e32 v76, v86, v80
	global_load_dwordx4 v[77:80], v[81:82], off offset:1536
	s_clause 0x3
	buffer_load_dword v81, off, s[40:43], 0 offset:208
	buffer_load_dword v82, off, s[40:43], 0 offset:212
	buffer_load_dword v83, off, s[40:43], 0 offset:216
	buffer_load_dword v84, off, s[40:43], 0 offset:220
	s_waitcnt vmcnt(3)
	v_fmac_f32_e32 v73, v81, v77
	v_add_co_u32 v81, s1, v69, 0x2000
	s_waitcnt vmcnt(2)
	v_fmac_f32_e32 v74, v82, v78
	v_add_co_ci_u32_e64 v82, null, 0, v70, s1
	s_waitcnt vmcnt(1)
	v_fmac_f32_e32 v75, v83, v79
	s_waitcnt vmcnt(0)
	v_fmac_f32_e32 v76, v84, v80
	global_load_dwordx4 v[77:80], v[81:82], off offset:-2048
	s_clause 0x3
	buffer_load_dword v83, off, s[40:43], 0 offset:224
	buffer_load_dword v84, off, s[40:43], 0 offset:228
	;; [unrolled: 1-line block ×4, first 2 shown]
	s_waitcnt vmcnt(3)
	v_fmac_f32_e32 v73, v83, v77
	v_add_co_u32 v83, s1, 0x1800, v69
	s_waitcnt vmcnt(2)
	v_fmac_f32_e32 v74, v84, v78
	v_add_co_ci_u32_e64 v84, null, 0, v70, s1
	s_waitcnt vmcnt(1)
	v_fmac_f32_e32 v75, v85, v79
	s_waitcnt vmcnt(0)
	v_fmac_f32_e32 v76, v86, v80
	global_load_dwordx4 v[77:80], v[83:84], off offset:512
	s_clause 0x3
	buffer_load_dword v85, off, s[40:43], 0 offset:240
	buffer_load_dword v86, off, s[40:43], 0 offset:244
	buffer_load_dword v87, off, s[40:43], 0 offset:248
	buffer_load_dword v88, off, s[40:43], 0 offset:252
	s_waitcnt vmcnt(3)
	v_fmac_f32_e32 v73, v85, v77
	s_waitcnt vmcnt(2)
	v_fmac_f32_e32 v74, v86, v78
	s_waitcnt vmcnt(1)
	v_fmac_f32_e32 v75, v87, v79
	s_waitcnt vmcnt(0)
	v_fmac_f32_e32 v76, v88, v80
	global_load_dwordx4 v[77:80], v[83:84], off offset:1024
	s_clause 0x3
	buffer_load_dword v85, off, s[40:43], 0 offset:256
	buffer_load_dword v86, off, s[40:43], 0 offset:260
	buffer_load_dword v87, off, s[40:43], 0 offset:264
	buffer_load_dword v88, off, s[40:43], 0 offset:268
	s_waitcnt vmcnt(3)
	v_fmac_f32_e32 v73, v85, v77
	s_waitcnt vmcnt(2)
	v_fmac_f32_e32 v74, v86, v78
	;; [unrolled: 14-line block ×3, first 2 shown]
	s_waitcnt vmcnt(1)
	v_fmac_f32_e32 v75, v85, v79
	s_waitcnt vmcnt(0)
	v_fmac_f32_e32 v76, v86, v80
	global_load_dwordx4 v[77:80], v[81:82], off
	s_clause 0x3
	buffer_load_dword v81, off, s[40:43], 0 offset:296
	buffer_load_dword v82, off, s[40:43], 0 offset:300
	;; [unrolled: 1-line block ×4, first 2 shown]
	s_waitcnt vmcnt(3)
	v_fmac_f32_e32 v73, v81, v77
	v_add_co_u32 v81, s1, 0x2000, v69
	s_waitcnt vmcnt(2)
	v_fmac_f32_e32 v74, v82, v78
	v_add_co_ci_u32_e64 v82, null, 0, v70, s1
	s_waitcnt vmcnt(1)
	v_fmac_f32_e32 v75, v83, v79
	s_waitcnt vmcnt(0)
	v_fmac_f32_e32 v76, v84, v80
	global_load_dwordx4 v[77:80], v[81:82], off offset:512
	s_clause 0x3
	buffer_load_dword v83, off, s[40:43], 0 offset:312
	buffer_load_dword v84, off, s[40:43], 0 offset:316
	;; [unrolled: 1-line block ×4, first 2 shown]
	s_waitcnt vmcnt(3)
	v_fmac_f32_e32 v73, v83, v77
	s_waitcnt vmcnt(2)
	v_fmac_f32_e32 v74, v84, v78
	;; [unrolled: 2-line block ×4, first 2 shown]
	global_load_dwordx4 v[77:80], v[81:82], off offset:1024
	s_clause 0x3
	buffer_load_dword v83, off, s[40:43], 0 offset:328
	buffer_load_dword v84, off, s[40:43], 0 offset:332
	;; [unrolled: 1-line block ×4, first 2 shown]
	s_waitcnt vmcnt(3)
	v_fmac_f32_e32 v73, v83, v77
	s_waitcnt vmcnt(2)
	v_fmac_f32_e32 v74, v84, v78
	;; [unrolled: 2-line block ×4, first 2 shown]
	global_load_dwordx4 v[77:80], v[81:82], off offset:1536
	s_clause 0x3
	buffer_load_dword v81, off, s[40:43], 0 offset:344
	buffer_load_dword v82, off, s[40:43], 0 offset:348
	;; [unrolled: 1-line block ×4, first 2 shown]
	s_waitcnt vmcnt(3)
	v_fmac_f32_e32 v73, v81, v77
	v_add_co_u32 v81, s1, v69, 0x3000
	s_waitcnt vmcnt(2)
	v_fmac_f32_e32 v74, v82, v78
	v_add_co_ci_u32_e64 v82, null, 0, v70, s1
	s_waitcnt vmcnt(1)
	v_fmac_f32_e32 v75, v83, v79
	s_waitcnt vmcnt(0)
	v_fmac_f32_e32 v76, v84, v80
	global_load_dwordx4 v[77:80], v[81:82], off offset:-2048
	s_clause 0x3
	buffer_load_dword v83, off, s[40:43], 0 offset:360
	buffer_load_dword v84, off, s[40:43], 0 offset:364
	;; [unrolled: 1-line block ×4, first 2 shown]
	s_waitcnt vmcnt(3)
	v_fmac_f32_e32 v73, v83, v77
	v_add_co_u32 v83, s1, 0x2800, v69
	s_waitcnt vmcnt(2)
	v_fmac_f32_e32 v74, v84, v78
	v_add_co_ci_u32_e64 v84, null, 0, v70, s1
	s_waitcnt vmcnt(1)
	v_fmac_f32_e32 v75, v85, v79
	s_waitcnt vmcnt(0)
	v_fmac_f32_e32 v76, v86, v80
	global_load_dwordx4 v[77:80], v[83:84], off offset:512
	s_clause 0x3
	buffer_load_dword v85, off, s[40:43], 0 offset:376
	buffer_load_dword v86, off, s[40:43], 0 offset:380
	;; [unrolled: 1-line block ×4, first 2 shown]
	s_waitcnt vmcnt(3)
	v_fmac_f32_e32 v73, v85, v77
	s_waitcnt vmcnt(2)
	v_fmac_f32_e32 v74, v86, v78
	;; [unrolled: 2-line block ×4, first 2 shown]
	global_load_dwordx4 v[77:80], v[83:84], off offset:1024
	s_waitcnt vmcnt(0) lgkmcnt(25)
	v_fmac_f32_e32 v73, v89, v77
	v_fmac_f32_e32 v74, v90, v78
	;; [unrolled: 1-line block ×4, first 2 shown]
	global_load_dwordx4 v[77:80], v[83:84], off offset:1536
	s_waitcnt vmcnt(0) lgkmcnt(24)
	v_fmac_f32_e32 v73, v93, v77
	v_fmac_f32_e32 v74, v94, v78
	;; [unrolled: 1-line block ×4, first 2 shown]
	global_load_dwordx4 v[77:80], v[81:82], off
	v_add_co_u32 v81, s1, 0x3000, v69
	v_add_co_ci_u32_e64 v82, null, 0, v70, s1
	s_waitcnt vmcnt(0) lgkmcnt(23)
	v_fmac_f32_e32 v73, v97, v77
	v_fmac_f32_e32 v74, v98, v78
	v_fmac_f32_e32 v75, v99, v79
	v_fmac_f32_e32 v76, v100, v80
	global_load_dwordx4 v[77:80], v[81:82], off offset:512
	s_waitcnt vmcnt(0) lgkmcnt(22)
	v_fmac_f32_e32 v73, v101, v77
	v_fmac_f32_e32 v74, v102, v78
	v_fmac_f32_e32 v75, v103, v79
	v_fmac_f32_e32 v76, v104, v80
	global_load_dwordx4 v[77:80], v[81:82], off offset:1024
	;; [unrolled: 6-line block ×3, first 2 shown]
	v_add_co_u32 v81, s1, v69, 0x4000
	v_add_co_ci_u32_e64 v82, null, 0, v70, s1
	v_add_co_u32 v83, s1, 0x3800, v69
	v_add_co_ci_u32_e64 v84, null, 0, v70, s1
	s_waitcnt vmcnt(0) lgkmcnt(20)
	v_fmac_f32_e32 v73, v109, v77
	v_fmac_f32_e32 v74, v110, v78
	;; [unrolled: 1-line block ×4, first 2 shown]
	global_load_dwordx4 v[77:80], v[81:82], off offset:-2048
	s_waitcnt vmcnt(0) lgkmcnt(19)
	v_fmac_f32_e32 v73, v113, v77
	v_fmac_f32_e32 v74, v114, v78
	v_fmac_f32_e32 v75, v115, v79
	v_fmac_f32_e32 v76, v116, v80
	global_load_dwordx4 v[77:80], v[83:84], off offset:512
	s_waitcnt vmcnt(0) lgkmcnt(18)
	v_fmac_f32_e32 v73, v117, v77
	v_fmac_f32_e32 v74, v118, v78
	v_fmac_f32_e32 v75, v119, v79
	v_fmac_f32_e32 v76, v120, v80
	global_load_dwordx4 v[77:80], v[83:84], off offset:1024
	;; [unrolled: 6-line block ×3, first 2 shown]
	s_waitcnt vmcnt(0) lgkmcnt(16)
	v_fmac_f32_e32 v73, v1, v77
	v_fmac_f32_e32 v74, v2, v78
	;; [unrolled: 1-line block ×4, first 2 shown]
	global_load_dwordx4 v[77:80], v[81:82], off
	v_add_co_u32 v81, s1, 0x4000, v69
	v_add_co_ci_u32_e64 v82, null, 0, v70, s1
	s_waitcnt vmcnt(0) lgkmcnt(15)
	v_fmac_f32_e32 v73, v5, v77
	v_fmac_f32_e32 v74, v6, v78
	v_fmac_f32_e32 v75, v7, v79
	v_fmac_f32_e32 v76, v8, v80
	global_load_dwordx4 v[77:80], v[81:82], off offset:512
	s_waitcnt vmcnt(0) lgkmcnt(14)
	v_fmac_f32_e32 v73, v9, v77
	v_fmac_f32_e32 v74, v10, v78
	v_fmac_f32_e32 v75, v11, v79
	v_fmac_f32_e32 v76, v12, v80
	global_load_dwordx4 v[77:80], v[81:82], off offset:1024
	;; [unrolled: 6-line block ×3, first 2 shown]
	v_add_co_u32 v81, s1, v69, 0x5000
	v_add_co_ci_u32_e64 v82, null, 0, v70, s1
	v_add_co_u32 v83, s1, 0x4800, v69
	v_add_co_ci_u32_e64 v84, null, 0, v70, s1
	s_waitcnt vmcnt(0) lgkmcnt(12)
	v_fmac_f32_e32 v73, v17, v77
	v_fmac_f32_e32 v74, v18, v78
	;; [unrolled: 1-line block ×4, first 2 shown]
	global_load_dwordx4 v[77:80], v[81:82], off offset:-2048
	s_waitcnt vmcnt(0) lgkmcnt(11)
	v_fmac_f32_e32 v73, v21, v77
	v_fmac_f32_e32 v74, v22, v78
	v_fmac_f32_e32 v75, v23, v79
	v_fmac_f32_e32 v76, v24, v80
	global_load_dwordx4 v[77:80], v[83:84], off offset:512
	s_waitcnt vmcnt(0) lgkmcnt(10)
	v_fmac_f32_e32 v73, v25, v77
	v_fmac_f32_e32 v74, v26, v78
	v_fmac_f32_e32 v75, v27, v79
	v_fmac_f32_e32 v76, v28, v80
	global_load_dwordx4 v[77:80], v[83:84], off offset:1024
	;; [unrolled: 6-line block ×3, first 2 shown]
	s_waitcnt vmcnt(0) lgkmcnt(8)
	v_fmac_f32_e32 v73, v33, v77
	v_fmac_f32_e32 v74, v34, v78
	;; [unrolled: 1-line block ×4, first 2 shown]
	global_load_dwordx4 v[77:80], v[81:82], off
	v_add_co_u32 v81, s1, 0x5000, v69
	v_add_co_ci_u32_e64 v82, null, 0, v70, s1
	v_add_co_u32 v69, s1, 0x5800, v69
	v_add_co_ci_u32_e64 v70, null, 0, v70, s1
	v_cmp_gt_i32_e64 s1, s25, v127
	s_waitcnt vmcnt(0) lgkmcnt(7)
	v_fmac_f32_e32 v73, v37, v77
	v_fmac_f32_e32 v74, v38, v78
	v_fmac_f32_e32 v75, v39, v79
	v_fmac_f32_e32 v76, v40, v80
	global_load_dwordx4 v[77:80], v[81:82], off offset:512
	s_waitcnt vmcnt(0) lgkmcnt(6)
	v_fmac_f32_e32 v73, v41, v77
	v_fmac_f32_e32 v74, v42, v78
	v_fmac_f32_e32 v75, v43, v79
	v_fmac_f32_e32 v76, v44, v80
	global_load_dwordx4 v[77:80], v[81:82], off offset:1024
	;; [unrolled: 6-line block ×3, first 2 shown]
	s_waitcnt vmcnt(0) lgkmcnt(4)
	v_fmac_f32_e32 v73, v49, v77
	v_fmac_f32_e32 v74, v50, v78
	;; [unrolled: 1-line block ×4, first 2 shown]
	global_load_dwordx4 v[77:80], v[69:70], off
	s_waitcnt vmcnt(0) lgkmcnt(3)
	v_fmac_f32_e32 v73, v53, v77
	v_fmac_f32_e32 v74, v54, v78
	v_fmac_f32_e32 v75, v55, v79
	v_fmac_f32_e32 v76, v56, v80
	global_load_dwordx4 v[77:80], v[69:70], off offset:512
	s_waitcnt vmcnt(0) lgkmcnt(2)
	v_fmac_f32_e32 v73, v57, v77
	v_fmac_f32_e32 v74, v58, v78
	v_fmac_f32_e32 v75, v59, v79
	v_fmac_f32_e32 v76, v60, v80
	global_load_dwordx4 v[77:80], v[69:70], off offset:1024
	;; [unrolled: 6-line block ×3, first 2 shown]
	v_add_nc_u32_e32 v70, s15, v127
	v_add_nc_u32_e32 v127, 0x80, v127
	v_cvt_f32_i32_e32 v70, v70
	v_mul_f32_e32 v70, s33, v70
	v_cndmask_b32_e32 v70, 0, v70, vcc_lo
	s_waitcnt vmcnt(0) lgkmcnt(0)
	v_fmac_f32_e32 v73, v65, v77
	v_fmac_f32_e32 v74, v66, v78
	;; [unrolled: 1-line block ×4, first 2 shown]
	v_add_f32_e32 v69, v73, v74
	v_add_f32_e32 v69, v75, v69
	;; [unrolled: 1-line block ×3, first 2 shown]
	v_fmac_f32_e32 v70, s3, v69
	v_max_f32_e32 v69, v71, v71
	v_max_f32_e32 v69, v69, v70
	v_cndmask_b32_e64 v70, 0, v70, s1
	v_cndmask_b32_e64 v71, v71, v69, s1
	v_add_co_u32 v125, s1, v125, 16
	ds_write_b32 v0, v70
	v_add_co_ci_u32_e64 v126, null, 0, v126, s1
	v_add_nc_u32_e32 v0, 0x200, v0
	s_andn2_b32 exec_lo, exec_lo, s5
	s_cbranch_execnz .LBB61_7
; %bb.8:
	s_or_b32 exec_lo, exec_lo, s5
	s_clause 0x5
	buffer_load_dword v72, off, s[40:43], 0 offset:580
	buffer_load_dword v73, off, s[40:43], 0 offset:584
	;; [unrolled: 1-line block ×6, first 2 shown]
.LBB61_9:
	s_or_b32 exec_lo, exec_lo, s34
	v_mbcnt_lo_u32_b32 v0, -1, 0
	v_max_f32_e32 v4, v71, v71
	v_xor_b32_e32 v1, 16, v0
	v_xor_b32_e32 v3, 8, v0
	v_cmp_gt_i32_e32 vcc_lo, 32, v1
	v_cndmask_b32_e32 v1, v0, v1, vcc_lo
	v_cmp_gt_i32_e32 vcc_lo, 32, v3
	v_lshlrev_b32_e32 v1, 2, v1
	v_cndmask_b32_e32 v3, v0, v3, vcc_lo
	ds_bpermute_b32 v2, v1, v71
	s_waitcnt lgkmcnt(0)
	v_max_f32_e32 v5, v2, v2
	v_lshlrev_b32_e32 v2, 2, v3
	v_max_f32_e32 v3, v4, v5
	v_xor_b32_e32 v5, 4, v0
	ds_bpermute_b32 v4, v2, v3
	v_cmp_gt_i32_e32 vcc_lo, 32, v5
	v_cndmask_b32_e32 v5, v0, v5, vcc_lo
	v_lshlrev_b32_e32 v55, 2, v5
	v_xor_b32_e32 v5, 2, v0
	v_cmp_gt_i32_e32 vcc_lo, 32, v5
	s_waitcnt lgkmcnt(0)
	v_max_f32_e32 v4, v4, v4
	v_cndmask_b32_e32 v5, v0, v5, vcc_lo
	v_max_f32_e32 v3, v3, v4
	v_lshlrev_b32_e32 v65, 2, v5
	v_xor_b32_e32 v5, 1, v0
	ds_bpermute_b32 v4, v55, v3
	v_cmp_gt_i32_e32 vcc_lo, 32, v5
	v_cndmask_b32_e32 v5, v0, v5, vcc_lo
	s_waitcnt vmcnt(3)
	v_cmp_eq_u32_e32 vcc_lo, 0, v74
	v_lshlrev_b32_e32 v70, 2, v5
	s_waitcnt lgkmcnt(0)
	v_max_f32_e32 v4, v4, v4
	v_max_f32_e32 v3, v3, v4
	ds_bpermute_b32 v4, v65, v3
	s_waitcnt lgkmcnt(0)
	v_max_f32_e32 v4, v4, v4
	v_max_f32_e32 v0, v3, v4
	v_lshlrev_b32_e32 v4, 2, v73
	ds_bpermute_b32 v3, v70, v0
	s_and_saveexec_b32 s1, vcc_lo
	s_cbranch_execz .LBB61_11
; %bb.10:
	s_waitcnt lgkmcnt(0)
	v_max_f32_e32 v3, v3, v3
	v_max_f32_e32 v0, v0, v0
	;; [unrolled: 1-line block ×3, first 2 shown]
	ds_write_b32 v4, v0 offset:768
.LBB61_11:
	s_or_b32 exec_lo, exec_lo, s1
	v_cmp_gt_u32_e64 s1, 4, v74
	v_mov_b32_e32 v0, 0xff7fffff
	s_waitcnt vmcnt(0) lgkmcnt(0)
	s_waitcnt_vscnt null, 0x0
	s_barrier
	buffer_gl0_inv
	s_and_saveexec_b32 s2, s1
; %bb.12:
	ds_read_b32 v0, v69 offset:768
; %bb.13:
	s_or_b32 exec_lo, exec_lo, s2
	s_waitcnt lgkmcnt(0)
	ds_bpermute_b32 v3, v65, v0
	v_max_f32_e32 v0, v0, v0
	v_mov_b32_e32 v5, 0
	s_sub_i32 s2, s11, s31
	s_lshl_b32 s2, s2, 5
	s_add_i32 s2, s2, s30
	s_min_i32 s2, s2, s25
	s_sub_i32 s4, s2, s30
	v_cmp_gt_i32_e64 s2, s4, v72
	s_waitcnt lgkmcnt(0)
	v_max_f32_e32 v3, v3, v3
	v_max_f32_e32 v0, v0, v3
	ds_bpermute_b32 v3, v70, v0
	s_waitcnt lgkmcnt(0)
	v_max_f32_e32 v3, v3, v3
	v_max_f32_e32 v0, v0, v3
	v_lshl_add_u32 v3, v72, 2, 0x320
	ds_bpermute_b32 v0, v5, v0
	s_and_saveexec_b32 s5, s2
	s_cbranch_execz .LBB61_17
; %bb.14:
	v_lshl_add_u32 v6, v72, 2, 0x320
	v_mov_b32_e32 v5, 0
	v_mov_b32_e32 v7, v72
	s_mov_b32 s15, 0
	.p2align	6
.LBB61_15:                              ; =>This Inner Loop Header: Depth=1
	ds_read_b32 v8, v6
	v_add_nc_u32_e32 v7, 0x80, v7
	v_cmp_le_i32_e64 s3, s4, v7
	s_or_b32 s15, s3, s15
	s_waitcnt lgkmcnt(0)
	v_sub_f32_e32 v8, v8, v0
	v_mul_f32_e32 v8, 0x3fb8aa3b, v8
	v_exp_f32_e32 v8, v8
	ds_write_b32 v6, v8
	v_add_f32_e32 v5, v5, v8
	v_add_nc_u32_e32 v6, 0x200, v6
	s_andn2_b32 exec_lo, exec_lo, s15
	s_cbranch_execnz .LBB61_15
; %bb.16:
	s_or_b32 exec_lo, exec_lo, s15
.LBB61_17:
	s_or_b32 exec_lo, exec_lo, s5
	ds_bpermute_b32 v1, v1, v5
	s_waitcnt lgkmcnt(0)
	v_add_f32_e32 v1, v5, v1
	ds_bpermute_b32 v2, v2, v1
	s_waitcnt lgkmcnt(0)
	v_add_f32_e32 v1, v1, v2
	;; [unrolled: 3-line block ×5, first 2 shown]
	s_and_saveexec_b32 s3, vcc_lo
; %bb.18:
	ds_write_b32 v4, v1 offset:784
; %bb.19:
	s_or_b32 exec_lo, exec_lo, s3
	s_waitcnt lgkmcnt(0)
	s_barrier
	buffer_gl0_inv
	s_and_saveexec_b32 s3, s1
; %bb.20:
	ds_read_b32 v1, v69 offset:784
; %bb.21:
	s_or_b32 exec_lo, exec_lo, s3
	s_waitcnt lgkmcnt(0)
	ds_bpermute_b32 v2, v65, v1
	s_waitcnt lgkmcnt(0)
	v_add_f32_e32 v1, v1, v2
	ds_bpermute_b32 v2, v70, v1
	s_waitcnt lgkmcnt(0)
	v_add_f32_e32 v1, v1, v2
	v_mov_b32_e32 v2, 0
	ds_bpermute_b32 v1, v2, v1
	s_and_saveexec_b32 s1, s2
	s_cbranch_execz .LBB61_24
; %bb.22:
	s_waitcnt lgkmcnt(0)
	v_add_f32_e32 v2, 0x358637bd, v1
	s_mov_b32 s2, 0
	v_div_scale_f32 v4, null, v2, v2, 1.0
	v_div_scale_f32 v7, vcc_lo, 1.0, v2, 1.0
	v_rcp_f32_e32 v5, v4
	v_fma_f32 v6, -v4, v5, 1.0
	v_fmac_f32_e32 v5, v6, v5
	v_mul_f32_e32 v6, v7, v5
	v_fma_f32 v8, -v4, v6, v7
	v_fmac_f32_e32 v6, v8, v5
	v_fma_f32 v4, -v4, v6, v7
	v_div_fmas_f32 v4, v4, v5, v6
	v_div_fixup_f32 v2, v4, v2, 1.0
	v_mov_b32_e32 v4, v72
.LBB61_23:                              ; =>This Inner Loop Header: Depth=1
	ds_read_b32 v5, v3
	v_add_nc_u32_e32 v4, 0x80, v4
	v_cmp_le_i32_e32 vcc_lo, s4, v4
	s_or_b32 s2, vcc_lo, s2
	s_waitcnt lgkmcnt(0)
	v_mul_f32_e32 v5, v2, v5
	ds_write_b32 v3, v5
	v_add_nc_u32_e32 v3, 0x200, v3
	s_andn2_b32 exec_lo, exec_lo, s2
	s_cbranch_execnz .LBB61_23
.LBB61_24:
	s_or_b32 exec_lo, exec_lo, s1
	s_mul_i32 s1, s7, s24
	s_waitcnt lgkmcnt(0)
	s_mul_i32 s2, s1, s9
	s_mov_b32 s1, exec_lo
	s_barrier
	buffer_gl0_inv
	v_cmpx_eq_u32_e32 0, v72
	s_cbranch_execz .LBB61_26
; %bb.25:
	s_ashr_i32 s3, s2, 31
	s_mul_i32 s34, s7, s6
	s_lshl_b64 s[4:5], s[2:3], 2
	v_mov_b32_e32 v2, 0
	s_add_u32 s3, s18, s4
	s_addc_u32 s6, s19, s5
	s_ashr_i32 s35, s34, 31
	s_lshl_b64 s[18:19], s[34:35], 2
	s_add_u32 s3, s3, s18
	s_addc_u32 s6, s6, s19
	s_ashr_i32 s9, s8, 31
	s_lshl_b64 s[34:35], s[8:9], 2
	s_add_u32 s36, s3, s34
	s_addc_u32 s37, s6, s35
	s_add_u32 s3, s16, s4
	s_addc_u32 s4, s17, s5
	;; [unrolled: 2-line block ×4, first 2 shown]
	global_store_dword v2, v0, s[36:37]
	global_store_dword v2, v1, s[4:5]
.LBB61_26:
	s_or_b32 exec_lo, exec_lo, s1
	v_mov_b32_e32 v18, 0
	v_and_b32_e32 v71, 7, v72
	v_mov_b32_e32 v20, 0
	v_mov_b32_e32 v19, 0
	;; [unrolled: 1-line block ×47, first 2 shown]
	s_and_saveexec_b32 s1, s0
	s_cbranch_execz .LBB61_126
; %bb.27:
	v_lshlrev_b32_e32 v0, 2, v72
	v_lshl_add_u32 v4, v73, 5, s30
	v_mov_b32_e32 v5, 0
	s_ashr_i32 s15, s14, 31
	buffer_store_dword v55, off, s[40:43], 0 offset:600 ; 4-byte Folded Spill
	buffer_store_dword v65, off, s[40:43], 0 offset:596 ; 4-byte Folded Spill
	;; [unrolled: 1-line block ×3, first 2 shown]
	v_and_b32_e32 v1, 28, v0
	s_lshl_b64 s[4:5], s[14:15], 2
	v_and_b32_e32 v3, 0x7c, v0
	buffer_store_dword v5, off, s[40:43], 0 offset:296 ; 4-byte Folded Spill
	v_or_b32_e32 v5, 0xf80, v0
	v_add3_u32 v125, v4, v1, 3
	v_lshlrev_b64 v[0:1], 2, v[9:10]
	s_add_u32 s3, s26, s4
	s_addc_u32 s4, s27, s5
	s_lshl_b64 s[14:15], s[28:29], 2
	s_add_i32 s5, s12, -1
	s_add_u32 s0, s22, s14
	v_lshlrev_b32_e32 v2, 4, v71
	v_add_co_u32 v7, vcc_lo, s0, v0
	v_lshlrev_b32_e32 v0, 2, v3
	s_addc_u32 s6, s23, s15
	v_lshl_or_b32 v2, v73, 7, v2
	v_add_co_ci_u32_e64 v8, null, s6, v1, vcc_lo
	buffer_store_dword v0, off, s[40:43], 0 offset:572 ; 4-byte Folded Spill
	v_lshlrev_b32_e32 v0, 2, v5
	v_add_nc_u32_e32 v2, 0x320, v2
	v_mov_b32_e32 v6, 0
	v_mov_b32_e32 v5, 0
	s_mov_b32 s9, s13
	buffer_store_dword v0, off, s[40:43], 0 offset:576 ; 4-byte Folded Spill
	v_mov_b32_e32 v0, 0
	s_mov_b32 s6, 0
	buffer_store_dword v71, off, s[40:43], 0 offset:604 ; 4-byte Folded Spill
	buffer_store_dword v0, off, s[40:43], 0 offset:312 ; 4-byte Folded Spill
	v_mov_b32_e32 v0, 0
	buffer_store_dword v0, off, s[40:43], 0 offset:328 ; 4-byte Folded Spill
	v_mov_b32_e32 v0, 0
	;; [unrolled: 2-line block ×44, first 2 shown]
	buffer_store_dword v0, off, s[40:43], 0 offset:540 ; 4-byte Folded Spill
	s_branch .LBB61_29
.LBB61_28:                              ;   in Loop: Header=BB61_29 Depth=1
	s_or_b32 exec_lo, exec_lo, s0
	s_waitcnt vmcnt(1) lgkmcnt(0)
	v_mul_f32_e32 v0, v1, v73
	buffer_load_dword v73, off, s[40:43], 0 offset:312 ; 4-byte Folded Reload
	v_add_nc_u32_e32 v125, 0x80, v125
	v_fmac_f32_e32 v0, v2, v74
	v_fmac_f32_e32 v0, v3, v75
	v_fmac_f32_e32 v0, v4, v76
	s_waitcnt vmcnt(0)
	v_add_f32_e32 v73, v73, v0
	v_mul_f32_e32 v0, v1, v69
	buffer_load_dword v69, off, s[40:43], 0 offset:328 ; 4-byte Folded Reload
	buffer_store_dword v73, off, s[40:43], 0 offset:312 ; 4-byte Folded Spill
	v_fmac_f32_e32 v0, v2, v70
	v_fmac_f32_e32 v0, v3, v71
	v_fmac_f32_e32 v0, v4, v72
	s_waitcnt vmcnt(0)
	v_add_f32_e32 v69, v69, v0
	v_mul_f32_e32 v0, v1, v65
	buffer_load_dword v65, off, s[40:43], 0 offset:344 ; 4-byte Folded Reload
	buffer_store_dword v69, off, s[40:43], 0 offset:328 ; 4-byte Folded Spill
	;; [unrolled: 8-line block ×16, first 2 shown]
	v_fmac_f32_e32 v0, v2, v6
	v_fmac_f32_e32 v0, v3, v7
	v_fmac_f32_e32 v0, v4, v8
	s_waitcnt vmcnt(0)
	v_add_f32_e32 v5, v5, v0
	v_mul_f32_e32 v0, v1, v121
	buffer_store_dword v5, off, s[40:43], 0 offset:436 ; 4-byte Folded Spill
	buffer_load_dword v5, off, s[40:43], 0 offset:440 ; 4-byte Folded Reload
	v_fmac_f32_e32 v0, v2, v122
	v_fmac_f32_e32 v0, v3, v123
	v_fmac_f32_e32 v0, v4, v124
	s_waitcnt vmcnt(0)
	v_add_f32_e32 v5, v5, v0
	v_mul_f32_e32 v0, v1, v117
	buffer_store_dword v5, off, s[40:43], 0 offset:440 ; 4-byte Folded Spill
	buffer_load_dword v5, off, s[40:43], 0 offset:444 ; 4-byte Folded Reload
	;; [unrolled: 8-line block ×12, first 2 shown]
	v_fmac_f32_e32 v0, v2, v78
	v_fmac_f32_e32 v0, v3, v79
	;; [unrolled: 1-line block ×3, first 2 shown]
	s_waitcnt vmcnt(0)
	v_add_f32_e32 v5, v5, v0
	buffer_store_dword v5, off, s[40:43], 0 offset:484 ; 4-byte Folded Spill
	s_clause 0x3
	buffer_load_dword v5, off, s[40:43], 0 offset:272
	buffer_load_dword v6, off, s[40:43], 0 offset:276
	buffer_load_dword v7, off, s[40:43], 0 offset:280
	buffer_load_dword v8, off, s[40:43], 0 offset:284
	s_waitcnt vmcnt(3)
	v_mul_f32_e32 v0, v1, v5
	buffer_load_dword v5, off, s[40:43], 0 offset:488 ; 4-byte Folded Reload
	s_waitcnt vmcnt(3)
	v_fmac_f32_e32 v0, v2, v6
	s_waitcnt vmcnt(2)
	v_fmac_f32_e32 v0, v3, v7
	s_waitcnt vmcnt(1)
	v_fmac_f32_e32 v0, v4, v8
	s_waitcnt vmcnt(0)
	v_add_f32_e32 v5, v5, v0
	buffer_store_dword v5, off, s[40:43], 0 offset:488 ; 4-byte Folded Spill
	s_clause 0x3
	buffer_load_dword v5, off, s[40:43], 0 offset:256
	buffer_load_dword v6, off, s[40:43], 0 offset:260
	buffer_load_dword v7, off, s[40:43], 0 offset:264
	buffer_load_dword v8, off, s[40:43], 0 offset:268
	s_waitcnt vmcnt(3)
	v_mul_f32_e32 v0, v1, v5
	buffer_load_dword v5, off, s[40:43], 0 offset:492 ; 4-byte Folded Reload
	s_waitcnt vmcnt(3)
	v_fmac_f32_e32 v0, v2, v6
	s_waitcnt vmcnt(2)
	v_fmac_f32_e32 v0, v3, v7
	s_waitcnt vmcnt(1)
	v_fmac_f32_e32 v0, v4, v8
	;; [unrolled: 17-line block ×11, first 2 shown]
	s_waitcnt vmcnt(0)
	v_add_f32_e32 v5, v5, v0
	buffer_store_dword v5, off, s[40:43], 0 offset:528 ; 4-byte Folded Spill
	s_clause 0x3
	buffer_load_dword v5, off, s[40:43], 0 offset:96
	buffer_load_dword v6, off, s[40:43], 0 offset:100
	;; [unrolled: 1-line block ×4, first 2 shown]
	s_waitcnt vmcnt(3)
	v_mul_f32_e32 v0, v1, v5
	s_waitcnt vmcnt(2)
	v_fmac_f32_e32 v0, v2, v6
	buffer_load_dword v6, off, s[40:43], 0 offset:552 ; 4-byte Folded Reload
	s_waitcnt vmcnt(2)
	v_fmac_f32_e32 v0, v3, v7
	s_waitcnt vmcnt(1)
	v_fmac_f32_e32 v0, v4, v8
	s_clause 0x4
	buffer_load_dword v7, off, s[40:43], 0 offset:80
	buffer_load_dword v8, off, s[40:43], 0 offset:84
	;; [unrolled: 1-line block ×5, first 2 shown]
	s_waitcnt vmcnt(5)
	v_add_f32_e32 v6, v6, v0
	s_waitcnt vmcnt(4)
	v_mul_f32_e32 v0, v1, v7
	s_waitcnt vmcnt(3)
	v_fmac_f32_e32 v0, v2, v8
	s_waitcnt vmcnt(2)
	v_fmac_f32_e32 v0, v3, v9
	;; [unrolled: 2-line block ×3, first 2 shown]
	s_clause 0x3
	buffer_load_dword v7, off, s[40:43], 0 offset:64
	buffer_load_dword v8, off, s[40:43], 0 offset:68
	;; [unrolled: 1-line block ×4, first 2 shown]
	s_waitcnt vmcnt(4)
	v_add_f32_e32 v5, v5, v0
	s_waitcnt vmcnt(3)
	v_mul_f32_e32 v0, v1, v7
	buffer_load_dword v7, off, s[40:43], 0 offset:532 ; 4-byte Folded Reload
	s_waitcnt vmcnt(3)
	v_fmac_f32_e32 v0, v2, v8
	s_waitcnt vmcnt(2)
	v_fmac_f32_e32 v0, v3, v9
	s_waitcnt vmcnt(1)
	v_fmac_f32_e32 v0, v4, v10
	s_waitcnt vmcnt(0)
	v_add_f32_e32 v7, v7, v0
	buffer_store_dword v7, off, s[40:43], 0 offset:532 ; 4-byte Folded Spill
	s_clause 0x3
	buffer_load_dword v7, off, s[40:43], 0 offset:48
	buffer_load_dword v8, off, s[40:43], 0 offset:52
	buffer_load_dword v9, off, s[40:43], 0 offset:56
	buffer_load_dword v10, off, s[40:43], 0 offset:60
	s_waitcnt vmcnt(3)
	v_mul_f32_e32 v0, v1, v7
	buffer_load_dword v7, off, s[40:43], 0 offset:536 ; 4-byte Folded Reload
	s_waitcnt vmcnt(3)
	v_fmac_f32_e32 v0, v2, v8
	s_waitcnt vmcnt(2)
	v_fmac_f32_e32 v0, v3, v9
	s_waitcnt vmcnt(1)
	v_fmac_f32_e32 v0, v4, v10
	s_waitcnt vmcnt(0)
	v_add_f32_e32 v7, v7, v0
	buffer_store_dword v7, off, s[40:43], 0 offset:536 ; 4-byte Folded Spill
	s_clause 0x3
	buffer_load_dword v7, off, s[40:43], 0 offset:32
	buffer_load_dword v8, off, s[40:43], 0 offset:36
	buffer_load_dword v9, off, s[40:43], 0 offset:40
	buffer_load_dword v10, off, s[40:43], 0 offset:44
	;; [unrolled: 17-line block ×3, first 2 shown]
	s_waitcnt vmcnt(3)
	v_mul_f32_e32 v0, v1, v7
	buffer_load_dword v7, off, s[40:43], 0 offset:548 ; 4-byte Folded Reload
	s_waitcnt vmcnt(3)
	v_fmac_f32_e32 v0, v2, v8
	s_waitcnt vmcnt(2)
	v_fmac_f32_e32 v0, v3, v9
	;; [unrolled: 2-line block ×3, first 2 shown]
	s_waitcnt vmcnt(0)
	v_add_f32_e32 v7, v7, v0
	buffer_store_dword v7, off, s[40:43], 0 offset:548 ; 4-byte Folded Spill
	s_clause 0x3
	buffer_load_dword v7, off, s[40:43], 0
	buffer_load_dword v8, off, s[40:43], 0 offset:4
	buffer_load_dword v9, off, s[40:43], 0 offset:8
	;; [unrolled: 1-line block ×3, first 2 shown]
	s_waitcnt vmcnt(3)
	v_mul_f32_e32 v0, v1, v7
	buffer_load_dword v7, off, s[40:43], 0 offset:540 ; 4-byte Folded Reload
	s_waitcnt vmcnt(3)
	v_fmac_f32_e32 v0, v2, v8
	s_waitcnt vmcnt(2)
	v_fmac_f32_e32 v0, v3, v9
	;; [unrolled: 2-line block ×3, first 2 shown]
	s_waitcnt vmcnt(0)
	v_add_f32_e32 v7, v7, v0
	v_mul_f32_e32 v0, v1, v17
	buffer_load_dword v1, off, s[40:43], 0 offset:296 ; 4-byte Folded Reload
	buffer_store_dword v7, off, s[40:43], 0 offset:540 ; 4-byte Folded Spill
	v_fmac_f32_e32 v0, v2, v18
	v_fmac_f32_e32 v0, v3, v19
	;; [unrolled: 1-line block ×3, first 2 shown]
	s_waitcnt vmcnt(0)
	v_add_f32_e32 v1, v1, v0
	buffer_store_dword v1, off, s[40:43], 0 offset:296 ; 4-byte Folded Spill
	s_clause 0x4
	buffer_load_dword v9, off, s[40:43], 0 offset:288
	buffer_load_dword v10, off, s[40:43], 0 offset:292
	;; [unrolled: 1-line block ×5, first 2 shown]
	s_waitcnt vmcnt(4)
	v_add_nc_u32_e32 v9, 4, v9
	s_waitcnt vmcnt(1)
	v_add_co_u32 v7, vcc_lo, v7, 16
	s_waitcnt vmcnt(0)
	v_add_co_ci_u32_e64 v8, null, 0, v8, vcc_lo
	v_cmp_le_i32_e32 vcc_lo, s11, v9
	v_add_nc_u32_e32 v2, 0x200, v2
	s_or_b32 s6, vcc_lo, s6
	s_andn2_b32 exec_lo, exec_lo, s6
	s_cbranch_execz .LBB61_125
.LBB61_29:                              ; =>This Inner Loop Header: Depth=1
	buffer_store_dword v5, off, s[40:43], 0 offset:556 ; 4-byte Folded Spill
	buffer_store_dword v6, off, s[40:43], 0 offset:552 ; 4-byte Folded Spill
	buffer_store_dword v7, off, s[40:43], 0 offset:564 ; 4-byte Folded Spill
	buffer_store_dword v8, off, s[40:43], 0 offset:568 ; 4-byte Folded Spill
	v_mov_b32_e32 v6, v9
	v_add_nc_u32_e32 v127, -2, v125
	v_add_nc_u32_e32 v126, -1, v125
	v_mov_b32_e32 v5, v6
	global_load_dword v0, v[7:8], off
	s_waitcnt vmcnt(0)
	v_mad_i64_i32 v[0:1], null, v0, s9, 0
	v_lshlrev_b64 v[0:1], 2, v[0:1]
	v_add_co_u32 v9, vcc_lo, s3, v0
	buffer_load_dword v0, off, s[40:43], 0 offset:572 ; 4-byte Folded Reload
	v_add_co_ci_u32_e64 v10, null, s4, v1, vcc_lo
	s_waitcnt vmcnt(0)
	v_add_co_u32 v17, vcc_lo, v9, v0
	v_add_co_ci_u32_e64 v18, null, 0, v10, vcc_lo
	v_add_nc_u32_e32 v0, -3, v125
	global_load_dwordx4 v[11:14], v[17:18], off
	s_waitcnt vmcnt(0)
	buffer_store_dword v11, off, s[40:43], 0 ; 4-byte Folded Spill
	buffer_store_dword v12, off, s[40:43], 0 offset:4 ; 4-byte Folded Spill
	buffer_store_dword v13, off, s[40:43], 0 offset:8 ; 4-byte Folded Spill
	;; [unrolled: 1-line block ×4, first 2 shown]
	ds_read_b128 v[1:4], v2
	buffer_store_dword v5, off, s[40:43], 0 offset:288 ; 4-byte Folded Spill
	buffer_store_dword v6, off, s[40:43], 0 offset:292 ; 4-byte Folded Spill
	v_cmp_eq_u32_e32 vcc_lo, s5, v6
	s_and_saveexec_b32 s12, vcc_lo
	s_cbranch_execz .LBB61_31
; %bb.30:                               ;   in Loop: Header=BB61_29 Depth=1
	s_clause 0x3
	buffer_load_dword v5, off, s[40:43], 0
	buffer_load_dword v6, off, s[40:43], 0 offset:4
	buffer_load_dword v7, off, s[40:43], 0 offset:8
	;; [unrolled: 1-line block ×3, first 2 shown]
	v_cmp_gt_i32_e64 s0, s25, v0
	s_waitcnt vmcnt(3)
	v_cndmask_b32_e64 v5, 0, v5, s0
	v_cmp_gt_i32_e64 s0, s25, v127
	s_waitcnt vmcnt(2)
	v_cndmask_b32_e64 v6, 0, v6, s0
	;; [unrolled: 3-line block ×4, first 2 shown]
	buffer_store_dword v5, off, s[40:43], 0 ; 4-byte Folded Spill
	buffer_store_dword v6, off, s[40:43], 0 offset:4 ; 4-byte Folded Spill
	buffer_store_dword v7, off, s[40:43], 0 offset:8 ; 4-byte Folded Spill
	;; [unrolled: 1-line block ×3, first 2 shown]
.LBB61_31:                              ;   in Loop: Header=BB61_29 Depth=1
	s_or_b32 exec_lo, exec_lo, s12
	global_load_dwordx4 v[5:8], v[17:18], off offset:512
	s_waitcnt vmcnt(0)
	buffer_store_dword v5, off, s[40:43], 0 offset:16 ; 4-byte Folded Spill
	buffer_store_dword v6, off, s[40:43], 0 offset:20 ; 4-byte Folded Spill
	buffer_store_dword v7, off, s[40:43], 0 offset:24 ; 4-byte Folded Spill
	buffer_store_dword v8, off, s[40:43], 0 offset:28 ; 4-byte Folded Spill
	s_and_saveexec_b32 s12, vcc_lo
	s_cbranch_execz .LBB61_33
; %bb.32:                               ;   in Loop: Header=BB61_29 Depth=1
	s_clause 0x3
	buffer_load_dword v5, off, s[40:43], 0 offset:16
	buffer_load_dword v6, off, s[40:43], 0 offset:20
	buffer_load_dword v7, off, s[40:43], 0 offset:24
	buffer_load_dword v8, off, s[40:43], 0 offset:28
	v_cmp_gt_i32_e64 s0, s25, v0
	s_waitcnt vmcnt(3)
	v_cndmask_b32_e64 v5, 0, v5, s0
	v_cmp_gt_i32_e64 s0, s25, v127
	s_waitcnt vmcnt(2)
	v_cndmask_b32_e64 v6, 0, v6, s0
	v_cmp_gt_i32_e64 s0, s25, v126
	s_waitcnt vmcnt(1)
	v_cndmask_b32_e64 v7, 0, v7, s0
	v_cmp_gt_i32_e64 s0, s25, v125
	s_waitcnt vmcnt(0)
	v_cndmask_b32_e64 v8, 0, v8, s0
	buffer_store_dword v5, off, s[40:43], 0 offset:16 ; 4-byte Folded Spill
	buffer_store_dword v6, off, s[40:43], 0 offset:20 ; 4-byte Folded Spill
	buffer_store_dword v7, off, s[40:43], 0 offset:24 ; 4-byte Folded Spill
	buffer_store_dword v8, off, s[40:43], 0 offset:28 ; 4-byte Folded Spill
.LBB61_33:                              ;   in Loop: Header=BB61_29 Depth=1
	s_or_b32 exec_lo, exec_lo, s12
	global_load_dwordx4 v[5:8], v[17:18], off offset:1024
	s_waitcnt vmcnt(0)
	buffer_store_dword v5, off, s[40:43], 0 offset:32 ; 4-byte Folded Spill
	buffer_store_dword v6, off, s[40:43], 0 offset:36 ; 4-byte Folded Spill
	buffer_store_dword v7, off, s[40:43], 0 offset:40 ; 4-byte Folded Spill
	buffer_store_dword v8, off, s[40:43], 0 offset:44 ; 4-byte Folded Spill
	s_and_saveexec_b32 s12, vcc_lo
	s_cbranch_execz .LBB61_35
; %bb.34:                               ;   in Loop: Header=BB61_29 Depth=1
	s_clause 0x3
	buffer_load_dword v5, off, s[40:43], 0 offset:32
	buffer_load_dword v6, off, s[40:43], 0 offset:36
	buffer_load_dword v7, off, s[40:43], 0 offset:40
	buffer_load_dword v8, off, s[40:43], 0 offset:44
	v_cmp_gt_i32_e64 s0, s25, v0
	s_waitcnt vmcnt(3)
	v_cndmask_b32_e64 v5, 0, v5, s0
	v_cmp_gt_i32_e64 s0, s25, v127
	s_waitcnt vmcnt(2)
	v_cndmask_b32_e64 v6, 0, v6, s0
	v_cmp_gt_i32_e64 s0, s25, v126
	s_waitcnt vmcnt(1)
	v_cndmask_b32_e64 v7, 0, v7, s0
	v_cmp_gt_i32_e64 s0, s25, v125
	s_waitcnt vmcnt(0)
	v_cndmask_b32_e64 v8, 0, v8, s0
	buffer_store_dword v5, off, s[40:43], 0 offset:32 ; 4-byte Folded Spill
	buffer_store_dword v6, off, s[40:43], 0 offset:36 ; 4-byte Folded Spill
	buffer_store_dword v7, off, s[40:43], 0 offset:40 ; 4-byte Folded Spill
	buffer_store_dword v8, off, s[40:43], 0 offset:44 ; 4-byte Folded Spill
.LBB61_35:                              ;   in Loop: Header=BB61_29 Depth=1
	;; [unrolled: 32-line block ×3, first 2 shown]
	s_or_b32 exec_lo, exec_lo, s12
	v_add_co_u32 v5, s0, 0x800, v17
	v_add_co_ci_u32_e64 v6, null, 0, v18, s0
	global_load_dwordx4 v[11:14], v[5:6], off
	s_waitcnt vmcnt(0)
	buffer_store_dword v11, off, s[40:43], 0 offset:64 ; 4-byte Folded Spill
	buffer_store_dword v12, off, s[40:43], 0 offset:68 ; 4-byte Folded Spill
	buffer_store_dword v13, off, s[40:43], 0 offset:72 ; 4-byte Folded Spill
	buffer_store_dword v14, off, s[40:43], 0 offset:76 ; 4-byte Folded Spill
	s_and_saveexec_b32 s12, vcc_lo
	s_cbranch_execz .LBB61_39
; %bb.38:                               ;   in Loop: Header=BB61_29 Depth=1
	s_clause 0x3
	buffer_load_dword v11, off, s[40:43], 0 offset:64
	buffer_load_dword v12, off, s[40:43], 0 offset:68
	buffer_load_dword v13, off, s[40:43], 0 offset:72
	buffer_load_dword v14, off, s[40:43], 0 offset:76
	v_cmp_gt_i32_e64 s0, s25, v0
	s_waitcnt vmcnt(3)
	v_cndmask_b32_e64 v11, 0, v11, s0
	v_cmp_gt_i32_e64 s0, s25, v127
	s_waitcnt vmcnt(2)
	v_cndmask_b32_e64 v12, 0, v12, s0
	v_cmp_gt_i32_e64 s0, s25, v126
	s_waitcnt vmcnt(1)
	v_cndmask_b32_e64 v13, 0, v13, s0
	v_cmp_gt_i32_e64 s0, s25, v125
	s_waitcnt vmcnt(0)
	v_cndmask_b32_e64 v14, 0, v14, s0
	buffer_store_dword v11, off, s[40:43], 0 offset:64 ; 4-byte Folded Spill
	buffer_store_dword v12, off, s[40:43], 0 offset:68 ; 4-byte Folded Spill
	buffer_store_dword v13, off, s[40:43], 0 offset:72 ; 4-byte Folded Spill
	buffer_store_dword v14, off, s[40:43], 0 offset:76 ; 4-byte Folded Spill
.LBB61_39:                              ;   in Loop: Header=BB61_29 Depth=1
	s_or_b32 exec_lo, exec_lo, s12
	global_load_dwordx4 v[11:14], v[5:6], off offset:512
	s_waitcnt vmcnt(0)
	buffer_store_dword v11, off, s[40:43], 0 offset:80 ; 4-byte Folded Spill
	buffer_store_dword v12, off, s[40:43], 0 offset:84 ; 4-byte Folded Spill
	buffer_store_dword v13, off, s[40:43], 0 offset:88 ; 4-byte Folded Spill
	buffer_store_dword v14, off, s[40:43], 0 offset:92 ; 4-byte Folded Spill
	s_and_saveexec_b32 s12, vcc_lo
	s_cbranch_execz .LBB61_41
; %bb.40:                               ;   in Loop: Header=BB61_29 Depth=1
	s_clause 0x3
	buffer_load_dword v11, off, s[40:43], 0 offset:80
	buffer_load_dword v12, off, s[40:43], 0 offset:84
	buffer_load_dword v13, off, s[40:43], 0 offset:88
	buffer_load_dword v14, off, s[40:43], 0 offset:92
	v_cmp_gt_i32_e64 s0, s25, v0
	s_waitcnt vmcnt(3)
	v_cndmask_b32_e64 v11, 0, v11, s0
	v_cmp_gt_i32_e64 s0, s25, v127
	s_waitcnt vmcnt(2)
	v_cndmask_b32_e64 v12, 0, v12, s0
	v_cmp_gt_i32_e64 s0, s25, v126
	s_waitcnt vmcnt(1)
	v_cndmask_b32_e64 v13, 0, v13, s0
	v_cmp_gt_i32_e64 s0, s25, v125
	s_waitcnt vmcnt(0)
	v_cndmask_b32_e64 v14, 0, v14, s0
	buffer_store_dword v11, off, s[40:43], 0 offset:80 ; 4-byte Folded Spill
	buffer_store_dword v12, off, s[40:43], 0 offset:84 ; 4-byte Folded Spill
	buffer_store_dword v13, off, s[40:43], 0 offset:88 ; 4-byte Folded Spill
	buffer_store_dword v14, off, s[40:43], 0 offset:92 ; 4-byte Folded Spill
.LBB61_41:                              ;   in Loop: Header=BB61_29 Depth=1
	s_or_b32 exec_lo, exec_lo, s12
	global_load_dwordx4 v[11:14], v[5:6], off offset:1024
	;; [unrolled: 32-line block ×3, first 2 shown]
	s_waitcnt vmcnt(0)
	buffer_store_dword v5, off, s[40:43], 0 offset:112 ; 4-byte Folded Spill
	buffer_store_dword v6, off, s[40:43], 0 offset:116 ; 4-byte Folded Spill
	;; [unrolled: 1-line block ×4, first 2 shown]
	s_and_saveexec_b32 s12, vcc_lo
	s_cbranch_execz .LBB61_45
; %bb.44:                               ;   in Loop: Header=BB61_29 Depth=1
	s_clause 0x3
	buffer_load_dword v5, off, s[40:43], 0 offset:112
	buffer_load_dword v6, off, s[40:43], 0 offset:116
	;; [unrolled: 1-line block ×4, first 2 shown]
	v_cmp_gt_i32_e64 s0, s25, v0
	s_waitcnt vmcnt(3)
	v_cndmask_b32_e64 v5, 0, v5, s0
	v_cmp_gt_i32_e64 s0, s25, v127
	s_waitcnt vmcnt(2)
	v_cndmask_b32_e64 v6, 0, v6, s0
	;; [unrolled: 3-line block ×4, first 2 shown]
	buffer_store_dword v5, off, s[40:43], 0 offset:112 ; 4-byte Folded Spill
	buffer_store_dword v6, off, s[40:43], 0 offset:116 ; 4-byte Folded Spill
	;; [unrolled: 1-line block ×4, first 2 shown]
.LBB61_45:                              ;   in Loop: Header=BB61_29 Depth=1
	s_or_b32 exec_lo, exec_lo, s12
	v_add_co_u32 v5, s0, 0x1000, v17
	v_add_co_ci_u32_e64 v6, null, 0, v18, s0
	global_load_dwordx4 v[11:14], v[5:6], off
	s_waitcnt vmcnt(0)
	buffer_store_dword v11, off, s[40:43], 0 offset:128 ; 4-byte Folded Spill
	buffer_store_dword v12, off, s[40:43], 0 offset:132 ; 4-byte Folded Spill
	buffer_store_dword v13, off, s[40:43], 0 offset:136 ; 4-byte Folded Spill
	buffer_store_dword v14, off, s[40:43], 0 offset:140 ; 4-byte Folded Spill
	s_and_saveexec_b32 s12, vcc_lo
	s_cbranch_execz .LBB61_47
; %bb.46:                               ;   in Loop: Header=BB61_29 Depth=1
	s_clause 0x3
	buffer_load_dword v11, off, s[40:43], 0 offset:128
	buffer_load_dword v12, off, s[40:43], 0 offset:132
	buffer_load_dword v13, off, s[40:43], 0 offset:136
	buffer_load_dword v14, off, s[40:43], 0 offset:140
	v_cmp_gt_i32_e64 s0, s25, v0
	s_waitcnt vmcnt(3)
	v_cndmask_b32_e64 v11, 0, v11, s0
	v_cmp_gt_i32_e64 s0, s25, v127
	s_waitcnt vmcnt(2)
	v_cndmask_b32_e64 v12, 0, v12, s0
	v_cmp_gt_i32_e64 s0, s25, v126
	s_waitcnt vmcnt(1)
	v_cndmask_b32_e64 v13, 0, v13, s0
	v_cmp_gt_i32_e64 s0, s25, v125
	s_waitcnt vmcnt(0)
	v_cndmask_b32_e64 v14, 0, v14, s0
	buffer_store_dword v11, off, s[40:43], 0 offset:128 ; 4-byte Folded Spill
	buffer_store_dword v12, off, s[40:43], 0 offset:132 ; 4-byte Folded Spill
	buffer_store_dword v13, off, s[40:43], 0 offset:136 ; 4-byte Folded Spill
	buffer_store_dword v14, off, s[40:43], 0 offset:140 ; 4-byte Folded Spill
.LBB61_47:                              ;   in Loop: Header=BB61_29 Depth=1
	s_or_b32 exec_lo, exec_lo, s12
	global_load_dwordx4 v[11:14], v[5:6], off offset:512
	s_waitcnt vmcnt(0)
	buffer_store_dword v11, off, s[40:43], 0 offset:144 ; 4-byte Folded Spill
	buffer_store_dword v12, off, s[40:43], 0 offset:148 ; 4-byte Folded Spill
	buffer_store_dword v13, off, s[40:43], 0 offset:152 ; 4-byte Folded Spill
	buffer_store_dword v14, off, s[40:43], 0 offset:156 ; 4-byte Folded Spill
	s_and_saveexec_b32 s12, vcc_lo
	s_cbranch_execz .LBB61_49
; %bb.48:                               ;   in Loop: Header=BB61_29 Depth=1
	s_clause 0x3
	buffer_load_dword v11, off, s[40:43], 0 offset:144
	buffer_load_dword v12, off, s[40:43], 0 offset:148
	buffer_load_dword v13, off, s[40:43], 0 offset:152
	buffer_load_dword v14, off, s[40:43], 0 offset:156
	v_cmp_gt_i32_e64 s0, s25, v0
	s_waitcnt vmcnt(3)
	v_cndmask_b32_e64 v11, 0, v11, s0
	v_cmp_gt_i32_e64 s0, s25, v127
	s_waitcnt vmcnt(2)
	v_cndmask_b32_e64 v12, 0, v12, s0
	v_cmp_gt_i32_e64 s0, s25, v126
	s_waitcnt vmcnt(1)
	v_cndmask_b32_e64 v13, 0, v13, s0
	v_cmp_gt_i32_e64 s0, s25, v125
	s_waitcnt vmcnt(0)
	v_cndmask_b32_e64 v14, 0, v14, s0
	buffer_store_dword v11, off, s[40:43], 0 offset:144 ; 4-byte Folded Spill
	buffer_store_dword v12, off, s[40:43], 0 offset:148 ; 4-byte Folded Spill
	buffer_store_dword v13, off, s[40:43], 0 offset:152 ; 4-byte Folded Spill
	buffer_store_dword v14, off, s[40:43], 0 offset:156 ; 4-byte Folded Spill
.LBB61_49:                              ;   in Loop: Header=BB61_29 Depth=1
	s_or_b32 exec_lo, exec_lo, s12
	global_load_dwordx4 v[11:14], v[5:6], off offset:1024
	;; [unrolled: 32-line block ×3, first 2 shown]
	s_waitcnt vmcnt(0)
	buffer_store_dword v5, off, s[40:43], 0 offset:176 ; 4-byte Folded Spill
	buffer_store_dword v6, off, s[40:43], 0 offset:180 ; 4-byte Folded Spill
	;; [unrolled: 1-line block ×4, first 2 shown]
	s_and_saveexec_b32 s12, vcc_lo
	s_cbranch_execz .LBB61_53
; %bb.52:                               ;   in Loop: Header=BB61_29 Depth=1
	s_clause 0x3
	buffer_load_dword v5, off, s[40:43], 0 offset:176
	buffer_load_dword v6, off, s[40:43], 0 offset:180
	;; [unrolled: 1-line block ×4, first 2 shown]
	v_cmp_gt_i32_e64 s0, s25, v0
	s_waitcnt vmcnt(3)
	v_cndmask_b32_e64 v5, 0, v5, s0
	v_cmp_gt_i32_e64 s0, s25, v127
	s_waitcnt vmcnt(2)
	v_cndmask_b32_e64 v6, 0, v6, s0
	;; [unrolled: 3-line block ×4, first 2 shown]
	buffer_store_dword v5, off, s[40:43], 0 offset:176 ; 4-byte Folded Spill
	buffer_store_dword v6, off, s[40:43], 0 offset:180 ; 4-byte Folded Spill
	;; [unrolled: 1-line block ×4, first 2 shown]
.LBB61_53:                              ;   in Loop: Header=BB61_29 Depth=1
	s_or_b32 exec_lo, exec_lo, s12
	v_add_co_u32 v5, s0, 0x1800, v17
	v_add_co_ci_u32_e64 v6, null, 0, v18, s0
	global_load_dwordx4 v[11:14], v[5:6], off
	s_waitcnt vmcnt(0)
	buffer_store_dword v11, off, s[40:43], 0 offset:192 ; 4-byte Folded Spill
	buffer_store_dword v12, off, s[40:43], 0 offset:196 ; 4-byte Folded Spill
	buffer_store_dword v13, off, s[40:43], 0 offset:200 ; 4-byte Folded Spill
	buffer_store_dword v14, off, s[40:43], 0 offset:204 ; 4-byte Folded Spill
	s_and_saveexec_b32 s12, vcc_lo
	s_cbranch_execz .LBB61_55
; %bb.54:                               ;   in Loop: Header=BB61_29 Depth=1
	s_clause 0x3
	buffer_load_dword v11, off, s[40:43], 0 offset:192
	buffer_load_dword v12, off, s[40:43], 0 offset:196
	buffer_load_dword v13, off, s[40:43], 0 offset:200
	buffer_load_dword v14, off, s[40:43], 0 offset:204
	v_cmp_gt_i32_e64 s0, s25, v0
	s_waitcnt vmcnt(3)
	v_cndmask_b32_e64 v11, 0, v11, s0
	v_cmp_gt_i32_e64 s0, s25, v127
	s_waitcnt vmcnt(2)
	v_cndmask_b32_e64 v12, 0, v12, s0
	v_cmp_gt_i32_e64 s0, s25, v126
	s_waitcnt vmcnt(1)
	v_cndmask_b32_e64 v13, 0, v13, s0
	v_cmp_gt_i32_e64 s0, s25, v125
	s_waitcnt vmcnt(0)
	v_cndmask_b32_e64 v14, 0, v14, s0
	buffer_store_dword v11, off, s[40:43], 0 offset:192 ; 4-byte Folded Spill
	buffer_store_dword v12, off, s[40:43], 0 offset:196 ; 4-byte Folded Spill
	buffer_store_dword v13, off, s[40:43], 0 offset:200 ; 4-byte Folded Spill
	buffer_store_dword v14, off, s[40:43], 0 offset:204 ; 4-byte Folded Spill
.LBB61_55:                              ;   in Loop: Header=BB61_29 Depth=1
	s_or_b32 exec_lo, exec_lo, s12
	global_load_dwordx4 v[11:14], v[5:6], off offset:512
	s_waitcnt vmcnt(0)
	buffer_store_dword v11, off, s[40:43], 0 offset:208 ; 4-byte Folded Spill
	buffer_store_dword v12, off, s[40:43], 0 offset:212 ; 4-byte Folded Spill
	buffer_store_dword v13, off, s[40:43], 0 offset:216 ; 4-byte Folded Spill
	buffer_store_dword v14, off, s[40:43], 0 offset:220 ; 4-byte Folded Spill
	s_and_saveexec_b32 s12, vcc_lo
	s_cbranch_execz .LBB61_57
; %bb.56:                               ;   in Loop: Header=BB61_29 Depth=1
	s_clause 0x3
	buffer_load_dword v11, off, s[40:43], 0 offset:208
	buffer_load_dword v12, off, s[40:43], 0 offset:212
	buffer_load_dword v13, off, s[40:43], 0 offset:216
	buffer_load_dword v14, off, s[40:43], 0 offset:220
	v_cmp_gt_i32_e64 s0, s25, v0
	s_waitcnt vmcnt(3)
	v_cndmask_b32_e64 v11, 0, v11, s0
	v_cmp_gt_i32_e64 s0, s25, v127
	s_waitcnt vmcnt(2)
	v_cndmask_b32_e64 v12, 0, v12, s0
	v_cmp_gt_i32_e64 s0, s25, v126
	s_waitcnt vmcnt(1)
	v_cndmask_b32_e64 v13, 0, v13, s0
	v_cmp_gt_i32_e64 s0, s25, v125
	s_waitcnt vmcnt(0)
	v_cndmask_b32_e64 v14, 0, v14, s0
	buffer_store_dword v11, off, s[40:43], 0 offset:208 ; 4-byte Folded Spill
	buffer_store_dword v12, off, s[40:43], 0 offset:212 ; 4-byte Folded Spill
	buffer_store_dword v13, off, s[40:43], 0 offset:216 ; 4-byte Folded Spill
	buffer_store_dword v14, off, s[40:43], 0 offset:220 ; 4-byte Folded Spill
.LBB61_57:                              ;   in Loop: Header=BB61_29 Depth=1
	s_or_b32 exec_lo, exec_lo, s12
	global_load_dwordx4 v[11:14], v[5:6], off offset:1024
	;; [unrolled: 32-line block ×3, first 2 shown]
	s_waitcnt vmcnt(0)
	buffer_store_dword v5, off, s[40:43], 0 offset:240 ; 4-byte Folded Spill
	buffer_store_dword v6, off, s[40:43], 0 offset:244 ; 4-byte Folded Spill
	;; [unrolled: 1-line block ×4, first 2 shown]
	s_and_saveexec_b32 s12, vcc_lo
	s_cbranch_execz .LBB61_61
; %bb.60:                               ;   in Loop: Header=BB61_29 Depth=1
	s_clause 0x3
	buffer_load_dword v5, off, s[40:43], 0 offset:240
	buffer_load_dword v6, off, s[40:43], 0 offset:244
	;; [unrolled: 1-line block ×4, first 2 shown]
	v_cmp_gt_i32_e64 s0, s25, v0
	s_waitcnt vmcnt(3)
	v_cndmask_b32_e64 v5, 0, v5, s0
	v_cmp_gt_i32_e64 s0, s25, v127
	s_waitcnt vmcnt(2)
	v_cndmask_b32_e64 v6, 0, v6, s0
	;; [unrolled: 3-line block ×4, first 2 shown]
	buffer_store_dword v5, off, s[40:43], 0 offset:240 ; 4-byte Folded Spill
	buffer_store_dword v6, off, s[40:43], 0 offset:244 ; 4-byte Folded Spill
	;; [unrolled: 1-line block ×4, first 2 shown]
.LBB61_61:                              ;   in Loop: Header=BB61_29 Depth=1
	s_or_b32 exec_lo, exec_lo, s12
	v_add_co_u32 v5, s0, 0x2000, v17
	v_add_co_ci_u32_e64 v6, null, 0, v18, s0
	global_load_dwordx4 v[11:14], v[5:6], off
	s_waitcnt vmcnt(0)
	buffer_store_dword v11, off, s[40:43], 0 offset:256 ; 4-byte Folded Spill
	buffer_store_dword v12, off, s[40:43], 0 offset:260 ; 4-byte Folded Spill
	;; [unrolled: 1-line block ×4, first 2 shown]
	s_and_saveexec_b32 s12, vcc_lo
	s_cbranch_execz .LBB61_63
; %bb.62:                               ;   in Loop: Header=BB61_29 Depth=1
	s_clause 0x3
	buffer_load_dword v11, off, s[40:43], 0 offset:256
	buffer_load_dword v12, off, s[40:43], 0 offset:260
	;; [unrolled: 1-line block ×4, first 2 shown]
	v_cmp_gt_i32_e64 s0, s25, v0
	s_waitcnt vmcnt(3)
	v_cndmask_b32_e64 v11, 0, v11, s0
	v_cmp_gt_i32_e64 s0, s25, v127
	s_waitcnt vmcnt(2)
	v_cndmask_b32_e64 v12, 0, v12, s0
	;; [unrolled: 3-line block ×4, first 2 shown]
	buffer_store_dword v11, off, s[40:43], 0 offset:256 ; 4-byte Folded Spill
	buffer_store_dword v12, off, s[40:43], 0 offset:260 ; 4-byte Folded Spill
	;; [unrolled: 1-line block ×4, first 2 shown]
.LBB61_63:                              ;   in Loop: Header=BB61_29 Depth=1
	s_or_b32 exec_lo, exec_lo, s12
	global_load_dwordx4 v[11:14], v[5:6], off offset:512
	s_waitcnt vmcnt(0)
	buffer_store_dword v11, off, s[40:43], 0 offset:272 ; 4-byte Folded Spill
	buffer_store_dword v12, off, s[40:43], 0 offset:276 ; 4-byte Folded Spill
	;; [unrolled: 1-line block ×4, first 2 shown]
	s_and_saveexec_b32 s12, vcc_lo
	s_cbranch_execnz .LBB61_102
; %bb.64:                               ;   in Loop: Header=BB61_29 Depth=1
	s_or_b32 exec_lo, exec_lo, s12
	global_load_dwordx4 v[77:80], v[5:6], off offset:1024
	s_and_saveexec_b32 s12, vcc_lo
	s_cbranch_execnz .LBB61_103
.LBB61_65:                              ;   in Loop: Header=BB61_29 Depth=1
	s_or_b32 exec_lo, exec_lo, s12
	global_load_dwordx4 v[81:84], v[5:6], off offset:1536
	s_and_saveexec_b32 s12, vcc_lo
	s_cbranch_execz .LBB61_67
.LBB61_66:                              ;   in Loop: Header=BB61_29 Depth=1
	v_cmp_gt_i32_e64 s0, s25, v0
	s_waitcnt vmcnt(0)
	v_cndmask_b32_e64 v81, 0, v81, s0
	v_cmp_gt_i32_e64 s0, s25, v127
	v_cndmask_b32_e64 v82, 0, v82, s0
	v_cmp_gt_i32_e64 s0, s25, v126
	;; [unrolled: 2-line block ×3, first 2 shown]
	v_cndmask_b32_e64 v84, 0, v84, s0
.LBB61_67:                              ;   in Loop: Header=BB61_29 Depth=1
	s_or_b32 exec_lo, exec_lo, s12
	v_add_co_u32 v5, s0, 0x2800, v17
	v_add_co_ci_u32_e64 v6, null, 0, v18, s0
	global_load_dwordx4 v[85:88], v[5:6], off
	s_and_saveexec_b32 s12, vcc_lo
	s_cbranch_execnz .LBB61_104
; %bb.68:                               ;   in Loop: Header=BB61_29 Depth=1
	s_or_b32 exec_lo, exec_lo, s12
	global_load_dwordx4 v[89:92], v[5:6], off offset:512
	s_and_saveexec_b32 s12, vcc_lo
	s_cbranch_execnz .LBB61_105
.LBB61_69:                              ;   in Loop: Header=BB61_29 Depth=1
	s_or_b32 exec_lo, exec_lo, s12
	global_load_dwordx4 v[93:96], v[5:6], off offset:1024
	s_and_saveexec_b32 s12, vcc_lo
	s_cbranch_execnz .LBB61_106
.LBB61_70:                              ;   in Loop: Header=BB61_29 Depth=1
	s_or_b32 exec_lo, exec_lo, s12
	global_load_dwordx4 v[97:100], v[5:6], off offset:1536
	s_and_saveexec_b32 s12, vcc_lo
	s_cbranch_execz .LBB61_72
.LBB61_71:                              ;   in Loop: Header=BB61_29 Depth=1
	v_cmp_gt_i32_e64 s0, s25, v0
	s_waitcnt vmcnt(0)
	v_cndmask_b32_e64 v97, 0, v97, s0
	v_cmp_gt_i32_e64 s0, s25, v127
	v_cndmask_b32_e64 v98, 0, v98, s0
	v_cmp_gt_i32_e64 s0, s25, v126
	;; [unrolled: 2-line block ×3, first 2 shown]
	v_cndmask_b32_e64 v100, 0, v100, s0
.LBB61_72:                              ;   in Loop: Header=BB61_29 Depth=1
	s_or_b32 exec_lo, exec_lo, s12
	v_add_co_u32 v5, s0, 0x3000, v17
	v_add_co_ci_u32_e64 v6, null, 0, v18, s0
	global_load_dwordx4 v[101:104], v[5:6], off
	s_and_saveexec_b32 s12, vcc_lo
	s_cbranch_execnz .LBB61_107
; %bb.73:                               ;   in Loop: Header=BB61_29 Depth=1
	s_or_b32 exec_lo, exec_lo, s12
	global_load_dwordx4 v[105:108], v[5:6], off offset:512
	s_and_saveexec_b32 s12, vcc_lo
	s_cbranch_execnz .LBB61_108
.LBB61_74:                              ;   in Loop: Header=BB61_29 Depth=1
	s_or_b32 exec_lo, exec_lo, s12
	global_load_dwordx4 v[109:112], v[5:6], off offset:1024
	s_and_saveexec_b32 s12, vcc_lo
	s_cbranch_execnz .LBB61_109
.LBB61_75:                              ;   in Loop: Header=BB61_29 Depth=1
	s_or_b32 exec_lo, exec_lo, s12
	global_load_dwordx4 v[113:116], v[5:6], off offset:1536
	s_and_saveexec_b32 s12, vcc_lo
	s_cbranch_execz .LBB61_77
.LBB61_76:                              ;   in Loop: Header=BB61_29 Depth=1
	v_cmp_gt_i32_e64 s0, s25, v0
	s_waitcnt vmcnt(0)
	v_cndmask_b32_e64 v113, 0, v113, s0
	v_cmp_gt_i32_e64 s0, s25, v127
	v_cndmask_b32_e64 v114, 0, v114, s0
	v_cmp_gt_i32_e64 s0, s25, v126
	;; [unrolled: 2-line block ×3, first 2 shown]
	v_cndmask_b32_e64 v116, 0, v116, s0
.LBB61_77:                              ;   in Loop: Header=BB61_29 Depth=1
	s_or_b32 exec_lo, exec_lo, s12
	v_add_co_u32 v5, s0, 0x3800, v17
	v_add_co_ci_u32_e64 v6, null, 0, v18, s0
	global_load_dwordx4 v[117:120], v[5:6], off
	s_and_saveexec_b32 s12, vcc_lo
	s_cbranch_execnz .LBB61_110
; %bb.78:                               ;   in Loop: Header=BB61_29 Depth=1
	s_or_b32 exec_lo, exec_lo, s12
	global_load_dwordx4 v[121:124], v[5:6], off offset:512
	s_and_saveexec_b32 s12, vcc_lo
	s_cbranch_execnz .LBB61_111
.LBB61_79:                              ;   in Loop: Header=BB61_29 Depth=1
	s_or_b32 exec_lo, exec_lo, s12
	global_load_dwordx4 v[5:8], v[5:6], off offset:1024
	s_and_saveexec_b32 s12, vcc_lo
	s_cbranch_execz .LBB61_81
.LBB61_80:                              ;   in Loop: Header=BB61_29 Depth=1
	v_cmp_gt_i32_e64 s0, s25, v0
	s_waitcnt vmcnt(0)
	v_cndmask_b32_e64 v5, 0, v5, s0
	v_cmp_gt_i32_e64 s0, s25, v127
	v_cndmask_b32_e64 v6, 0, v6, s0
	v_cmp_gt_i32_e64 s0, s25, v126
	v_cndmask_b32_e64 v7, 0, v7, s0
	v_cmp_gt_i32_e64 s0, s25, v125
	v_cndmask_b32_e64 v8, 0, v8, s0
.LBB61_81:                              ;   in Loop: Header=BB61_29 Depth=1
	s_or_b32 exec_lo, exec_lo, s12
	buffer_load_dword v11, off, s[40:43], 0 offset:576 ; 4-byte Folded Reload
	s_waitcnt vmcnt(0)
	v_add_co_u32 v9, s0, v9, v11
	v_add_co_ci_u32_e64 v10, null, 0, v10, s0
	global_load_dwordx4 v[9:12], v[9:10], off
	s_and_saveexec_b32 s12, vcc_lo
	s_cbranch_execz .LBB61_83
; %bb.82:                               ;   in Loop: Header=BB61_29 Depth=1
	v_cmp_gt_i32_e64 s0, s25, v0
	s_waitcnt vmcnt(0)
	v_cndmask_b32_e64 v9, 0, v9, s0
	v_cmp_gt_i32_e64 s0, s25, v127
	v_cndmask_b32_e64 v10, 0, v10, s0
	v_cmp_gt_i32_e64 s0, s25, v126
	;; [unrolled: 2-line block ×3, first 2 shown]
	v_cndmask_b32_e64 v12, 0, v12, s0
.LBB61_83:                              ;   in Loop: Header=BB61_29 Depth=1
	s_or_b32 exec_lo, exec_lo, s12
	v_add_co_u32 v19, s0, 0x4000, v17
	v_add_co_ci_u32_e64 v20, null, 0, v18, s0
	global_load_dwordx4 v[13:16], v[19:20], off
	s_and_saveexec_b32 s12, vcc_lo
	s_cbranch_execnz .LBB61_112
; %bb.84:                               ;   in Loop: Header=BB61_29 Depth=1
	s_or_b32 exec_lo, exec_lo, s12
	global_load_dwordx4 v[21:24], v[19:20], off offset:512
	s_and_saveexec_b32 s12, vcc_lo
	s_cbranch_execnz .LBB61_113
.LBB61_85:                              ;   in Loop: Header=BB61_29 Depth=1
	s_or_b32 exec_lo, exec_lo, s12
	global_load_dwordx4 v[25:28], v[19:20], off offset:1024
	s_and_saveexec_b32 s12, vcc_lo
	s_cbranch_execnz .LBB61_114
.LBB61_86:                              ;   in Loop: Header=BB61_29 Depth=1
	s_or_b32 exec_lo, exec_lo, s12
	global_load_dwordx4 v[29:32], v[19:20], off offset:1536
	s_and_saveexec_b32 s12, vcc_lo
	s_cbranch_execz .LBB61_88
.LBB61_87:                              ;   in Loop: Header=BB61_29 Depth=1
	v_cmp_gt_i32_e64 s0, s25, v0
	s_waitcnt vmcnt(0)
	v_cndmask_b32_e64 v29, 0, v29, s0
	v_cmp_gt_i32_e64 s0, s25, v127
	v_cndmask_b32_e64 v30, 0, v30, s0
	v_cmp_gt_i32_e64 s0, s25, v126
	;; [unrolled: 2-line block ×3, first 2 shown]
	v_cndmask_b32_e64 v32, 0, v32, s0
.LBB61_88:                              ;   in Loop: Header=BB61_29 Depth=1
	s_or_b32 exec_lo, exec_lo, s12
	v_add_co_u32 v19, s0, 0x4800, v17
	v_add_co_ci_u32_e64 v20, null, 0, v18, s0
	global_load_dwordx4 v[33:36], v[19:20], off
	s_and_saveexec_b32 s12, vcc_lo
	s_cbranch_execnz .LBB61_115
; %bb.89:                               ;   in Loop: Header=BB61_29 Depth=1
	s_or_b32 exec_lo, exec_lo, s12
	global_load_dwordx4 v[37:40], v[19:20], off offset:512
	s_and_saveexec_b32 s12, vcc_lo
	s_cbranch_execnz .LBB61_116
.LBB61_90:                              ;   in Loop: Header=BB61_29 Depth=1
	s_or_b32 exec_lo, exec_lo, s12
	global_load_dwordx4 v[41:44], v[19:20], off offset:1024
	s_and_saveexec_b32 s12, vcc_lo
	s_cbranch_execnz .LBB61_117
.LBB61_91:                              ;   in Loop: Header=BB61_29 Depth=1
	s_or_b32 exec_lo, exec_lo, s12
	global_load_dwordx4 v[45:48], v[19:20], off offset:1536
	s_and_saveexec_b32 s12, vcc_lo
	s_cbranch_execz .LBB61_93
.LBB61_92:                              ;   in Loop: Header=BB61_29 Depth=1
	v_cmp_gt_i32_e64 s0, s25, v0
	s_waitcnt vmcnt(0)
	v_cndmask_b32_e64 v45, 0, v45, s0
	v_cmp_gt_i32_e64 s0, s25, v127
	v_cndmask_b32_e64 v46, 0, v46, s0
	v_cmp_gt_i32_e64 s0, s25, v126
	;; [unrolled: 2-line block ×3, first 2 shown]
	v_cndmask_b32_e64 v48, 0, v48, s0
.LBB61_93:                              ;   in Loop: Header=BB61_29 Depth=1
	s_or_b32 exec_lo, exec_lo, s12
	v_add_co_u32 v19, s0, 0x5000, v17
	v_add_co_ci_u32_e64 v20, null, 0, v18, s0
	global_load_dwordx4 v[49:52], v[19:20], off
	s_and_saveexec_b32 s12, vcc_lo
	s_cbranch_execnz .LBB61_118
; %bb.94:                               ;   in Loop: Header=BB61_29 Depth=1
	s_or_b32 exec_lo, exec_lo, s12
	global_load_dwordx4 v[53:56], v[19:20], off offset:512
	s_and_saveexec_b32 s12, vcc_lo
	s_cbranch_execnz .LBB61_119
.LBB61_95:                              ;   in Loop: Header=BB61_29 Depth=1
	s_or_b32 exec_lo, exec_lo, s12
	global_load_dwordx4 v[57:60], v[19:20], off offset:1024
	s_and_saveexec_b32 s12, vcc_lo
	s_cbranch_execnz .LBB61_120
.LBB61_96:                              ;   in Loop: Header=BB61_29 Depth=1
	s_or_b32 exec_lo, exec_lo, s12
	global_load_dwordx4 v[61:64], v[19:20], off offset:1536
	s_and_saveexec_b32 s12, vcc_lo
	s_cbranch_execz .LBB61_98
.LBB61_97:                              ;   in Loop: Header=BB61_29 Depth=1
	v_cmp_gt_i32_e64 s0, s25, v0
	s_waitcnt vmcnt(0)
	v_cndmask_b32_e64 v61, 0, v61, s0
	v_cmp_gt_i32_e64 s0, s25, v127
	v_cndmask_b32_e64 v62, 0, v62, s0
	v_cmp_gt_i32_e64 s0, s25, v126
	;; [unrolled: 2-line block ×3, first 2 shown]
	v_cndmask_b32_e64 v64, 0, v64, s0
.LBB61_98:                              ;   in Loop: Header=BB61_29 Depth=1
	s_or_b32 exec_lo, exec_lo, s12
	v_add_co_u32 v17, s0, 0x5800, v17
	v_add_co_ci_u32_e64 v18, null, 0, v18, s0
	global_load_dwordx4 v[65:68], v[17:18], off
	s_and_saveexec_b32 s12, vcc_lo
	s_cbranch_execnz .LBB61_121
; %bb.99:                               ;   in Loop: Header=BB61_29 Depth=1
	s_or_b32 exec_lo, exec_lo, s12
	global_load_dwordx4 v[69:72], v[17:18], off offset:512
	s_and_saveexec_b32 s12, vcc_lo
	s_cbranch_execnz .LBB61_122
.LBB61_100:                             ;   in Loop: Header=BB61_29 Depth=1
	s_or_b32 exec_lo, exec_lo, s12
	global_load_dwordx4 v[73:76], v[17:18], off offset:1024
	s_and_saveexec_b32 s12, vcc_lo
	s_cbranch_execnz .LBB61_123
.LBB61_101:                             ;   in Loop: Header=BB61_29 Depth=1
	s_or_b32 exec_lo, exec_lo, s12
	global_load_dwordx4 v[17:20], v[17:18], off offset:1536
	s_and_saveexec_b32 s0, vcc_lo
	s_cbranch_execz .LBB61_28
	s_branch .LBB61_124
.LBB61_102:                             ;   in Loop: Header=BB61_29 Depth=1
	s_clause 0x3
	buffer_load_dword v11, off, s[40:43], 0 offset:272
	buffer_load_dword v12, off, s[40:43], 0 offset:276
	;; [unrolled: 1-line block ×4, first 2 shown]
	v_cmp_gt_i32_e64 s0, s25, v0
	s_waitcnt vmcnt(3)
	v_cndmask_b32_e64 v11, 0, v11, s0
	v_cmp_gt_i32_e64 s0, s25, v127
	s_waitcnt vmcnt(2)
	v_cndmask_b32_e64 v12, 0, v12, s0
	;; [unrolled: 3-line block ×4, first 2 shown]
	buffer_store_dword v11, off, s[40:43], 0 offset:272 ; 4-byte Folded Spill
	buffer_store_dword v12, off, s[40:43], 0 offset:276 ; 4-byte Folded Spill
	;; [unrolled: 1-line block ×4, first 2 shown]
	s_or_b32 exec_lo, exec_lo, s12
	global_load_dwordx4 v[77:80], v[5:6], off offset:1024
	s_and_saveexec_b32 s12, vcc_lo
	s_cbranch_execz .LBB61_65
.LBB61_103:                             ;   in Loop: Header=BB61_29 Depth=1
	v_cmp_gt_i32_e64 s0, s25, v0
	s_waitcnt vmcnt(0)
	v_cndmask_b32_e64 v77, 0, v77, s0
	v_cmp_gt_i32_e64 s0, s25, v127
	v_cndmask_b32_e64 v78, 0, v78, s0
	v_cmp_gt_i32_e64 s0, s25, v126
	v_cndmask_b32_e64 v79, 0, v79, s0
	v_cmp_gt_i32_e64 s0, s25, v125
	v_cndmask_b32_e64 v80, 0, v80, s0
	s_or_b32 exec_lo, exec_lo, s12
	global_load_dwordx4 v[81:84], v[5:6], off offset:1536
	s_and_saveexec_b32 s12, vcc_lo
	s_cbranch_execnz .LBB61_66
	s_branch .LBB61_67
.LBB61_104:                             ;   in Loop: Header=BB61_29 Depth=1
	v_cmp_gt_i32_e64 s0, s25, v0
	s_waitcnt vmcnt(0)
	v_cndmask_b32_e64 v85, 0, v85, s0
	v_cmp_gt_i32_e64 s0, s25, v127
	v_cndmask_b32_e64 v86, 0, v86, s0
	v_cmp_gt_i32_e64 s0, s25, v126
	;; [unrolled: 2-line block ×3, first 2 shown]
	v_cndmask_b32_e64 v88, 0, v88, s0
	s_or_b32 exec_lo, exec_lo, s12
	global_load_dwordx4 v[89:92], v[5:6], off offset:512
	s_and_saveexec_b32 s12, vcc_lo
	s_cbranch_execz .LBB61_69
.LBB61_105:                             ;   in Loop: Header=BB61_29 Depth=1
	v_cmp_gt_i32_e64 s0, s25, v0
	s_waitcnt vmcnt(0)
	v_cndmask_b32_e64 v89, 0, v89, s0
	v_cmp_gt_i32_e64 s0, s25, v127
	v_cndmask_b32_e64 v90, 0, v90, s0
	v_cmp_gt_i32_e64 s0, s25, v126
	;; [unrolled: 2-line block ×3, first 2 shown]
	v_cndmask_b32_e64 v92, 0, v92, s0
	s_or_b32 exec_lo, exec_lo, s12
	global_load_dwordx4 v[93:96], v[5:6], off offset:1024
	s_and_saveexec_b32 s12, vcc_lo
	s_cbranch_execz .LBB61_70
.LBB61_106:                             ;   in Loop: Header=BB61_29 Depth=1
	v_cmp_gt_i32_e64 s0, s25, v0
	s_waitcnt vmcnt(0)
	v_cndmask_b32_e64 v93, 0, v93, s0
	v_cmp_gt_i32_e64 s0, s25, v127
	v_cndmask_b32_e64 v94, 0, v94, s0
	v_cmp_gt_i32_e64 s0, s25, v126
	;; [unrolled: 2-line block ×3, first 2 shown]
	v_cndmask_b32_e64 v96, 0, v96, s0
	s_or_b32 exec_lo, exec_lo, s12
	global_load_dwordx4 v[97:100], v[5:6], off offset:1536
	s_and_saveexec_b32 s12, vcc_lo
	s_cbranch_execnz .LBB61_71
	s_branch .LBB61_72
.LBB61_107:                             ;   in Loop: Header=BB61_29 Depth=1
	v_cmp_gt_i32_e64 s0, s25, v0
	s_waitcnt vmcnt(0)
	v_cndmask_b32_e64 v101, 0, v101, s0
	v_cmp_gt_i32_e64 s0, s25, v127
	v_cndmask_b32_e64 v102, 0, v102, s0
	v_cmp_gt_i32_e64 s0, s25, v126
	;; [unrolled: 2-line block ×3, first 2 shown]
	v_cndmask_b32_e64 v104, 0, v104, s0
	s_or_b32 exec_lo, exec_lo, s12
	global_load_dwordx4 v[105:108], v[5:6], off offset:512
	s_and_saveexec_b32 s12, vcc_lo
	s_cbranch_execz .LBB61_74
.LBB61_108:                             ;   in Loop: Header=BB61_29 Depth=1
	v_cmp_gt_i32_e64 s0, s25, v0
	s_waitcnt vmcnt(0)
	v_cndmask_b32_e64 v105, 0, v105, s0
	v_cmp_gt_i32_e64 s0, s25, v127
	v_cndmask_b32_e64 v106, 0, v106, s0
	v_cmp_gt_i32_e64 s0, s25, v126
	;; [unrolled: 2-line block ×3, first 2 shown]
	v_cndmask_b32_e64 v108, 0, v108, s0
	s_or_b32 exec_lo, exec_lo, s12
	global_load_dwordx4 v[109:112], v[5:6], off offset:1024
	s_and_saveexec_b32 s12, vcc_lo
	s_cbranch_execz .LBB61_75
.LBB61_109:                             ;   in Loop: Header=BB61_29 Depth=1
	v_cmp_gt_i32_e64 s0, s25, v0
	s_waitcnt vmcnt(0)
	v_cndmask_b32_e64 v109, 0, v109, s0
	v_cmp_gt_i32_e64 s0, s25, v127
	v_cndmask_b32_e64 v110, 0, v110, s0
	v_cmp_gt_i32_e64 s0, s25, v126
	;; [unrolled: 2-line block ×3, first 2 shown]
	v_cndmask_b32_e64 v112, 0, v112, s0
	s_or_b32 exec_lo, exec_lo, s12
	global_load_dwordx4 v[113:116], v[5:6], off offset:1536
	s_and_saveexec_b32 s12, vcc_lo
	s_cbranch_execnz .LBB61_76
	s_branch .LBB61_77
.LBB61_110:                             ;   in Loop: Header=BB61_29 Depth=1
	v_cmp_gt_i32_e64 s0, s25, v0
	s_waitcnt vmcnt(0)
	v_cndmask_b32_e64 v117, 0, v117, s0
	v_cmp_gt_i32_e64 s0, s25, v127
	v_cndmask_b32_e64 v118, 0, v118, s0
	v_cmp_gt_i32_e64 s0, s25, v126
	;; [unrolled: 2-line block ×3, first 2 shown]
	v_cndmask_b32_e64 v120, 0, v120, s0
	s_or_b32 exec_lo, exec_lo, s12
	global_load_dwordx4 v[121:124], v[5:6], off offset:512
	s_and_saveexec_b32 s12, vcc_lo
	s_cbranch_execz .LBB61_79
.LBB61_111:                             ;   in Loop: Header=BB61_29 Depth=1
	v_cmp_gt_i32_e64 s0, s25, v0
	s_waitcnt vmcnt(0)
	v_cndmask_b32_e64 v121, 0, v121, s0
	v_cmp_gt_i32_e64 s0, s25, v127
	v_cndmask_b32_e64 v122, 0, v122, s0
	v_cmp_gt_i32_e64 s0, s25, v126
	;; [unrolled: 2-line block ×3, first 2 shown]
	v_cndmask_b32_e64 v124, 0, v124, s0
	s_or_b32 exec_lo, exec_lo, s12
	global_load_dwordx4 v[5:8], v[5:6], off offset:1024
	s_and_saveexec_b32 s12, vcc_lo
	s_cbranch_execnz .LBB61_80
	s_branch .LBB61_81
.LBB61_112:                             ;   in Loop: Header=BB61_29 Depth=1
	v_cmp_gt_i32_e64 s0, s25, v0
	s_waitcnt vmcnt(0)
	v_cndmask_b32_e64 v13, 0, v13, s0
	v_cmp_gt_i32_e64 s0, s25, v127
	v_cndmask_b32_e64 v14, 0, v14, s0
	v_cmp_gt_i32_e64 s0, s25, v126
	;; [unrolled: 2-line block ×3, first 2 shown]
	v_cndmask_b32_e64 v16, 0, v16, s0
	s_or_b32 exec_lo, exec_lo, s12
	global_load_dwordx4 v[21:24], v[19:20], off offset:512
	s_and_saveexec_b32 s12, vcc_lo
	s_cbranch_execz .LBB61_85
.LBB61_113:                             ;   in Loop: Header=BB61_29 Depth=1
	v_cmp_gt_i32_e64 s0, s25, v0
	s_waitcnt vmcnt(0)
	v_cndmask_b32_e64 v21, 0, v21, s0
	v_cmp_gt_i32_e64 s0, s25, v127
	v_cndmask_b32_e64 v22, 0, v22, s0
	v_cmp_gt_i32_e64 s0, s25, v126
	;; [unrolled: 2-line block ×3, first 2 shown]
	v_cndmask_b32_e64 v24, 0, v24, s0
	s_or_b32 exec_lo, exec_lo, s12
	global_load_dwordx4 v[25:28], v[19:20], off offset:1024
	s_and_saveexec_b32 s12, vcc_lo
	s_cbranch_execz .LBB61_86
.LBB61_114:                             ;   in Loop: Header=BB61_29 Depth=1
	v_cmp_gt_i32_e64 s0, s25, v0
	s_waitcnt vmcnt(0)
	v_cndmask_b32_e64 v25, 0, v25, s0
	v_cmp_gt_i32_e64 s0, s25, v127
	v_cndmask_b32_e64 v26, 0, v26, s0
	v_cmp_gt_i32_e64 s0, s25, v126
	;; [unrolled: 2-line block ×3, first 2 shown]
	v_cndmask_b32_e64 v28, 0, v28, s0
	s_or_b32 exec_lo, exec_lo, s12
	global_load_dwordx4 v[29:32], v[19:20], off offset:1536
	s_and_saveexec_b32 s12, vcc_lo
	s_cbranch_execnz .LBB61_87
	s_branch .LBB61_88
.LBB61_115:                             ;   in Loop: Header=BB61_29 Depth=1
	v_cmp_gt_i32_e64 s0, s25, v0
	s_waitcnt vmcnt(0)
	v_cndmask_b32_e64 v33, 0, v33, s0
	v_cmp_gt_i32_e64 s0, s25, v127
	v_cndmask_b32_e64 v34, 0, v34, s0
	v_cmp_gt_i32_e64 s0, s25, v126
	;; [unrolled: 2-line block ×3, first 2 shown]
	v_cndmask_b32_e64 v36, 0, v36, s0
	s_or_b32 exec_lo, exec_lo, s12
	global_load_dwordx4 v[37:40], v[19:20], off offset:512
	s_and_saveexec_b32 s12, vcc_lo
	s_cbranch_execz .LBB61_90
.LBB61_116:                             ;   in Loop: Header=BB61_29 Depth=1
	v_cmp_gt_i32_e64 s0, s25, v0
	s_waitcnt vmcnt(0)
	v_cndmask_b32_e64 v37, 0, v37, s0
	v_cmp_gt_i32_e64 s0, s25, v127
	v_cndmask_b32_e64 v38, 0, v38, s0
	v_cmp_gt_i32_e64 s0, s25, v126
	;; [unrolled: 2-line block ×3, first 2 shown]
	v_cndmask_b32_e64 v40, 0, v40, s0
	s_or_b32 exec_lo, exec_lo, s12
	global_load_dwordx4 v[41:44], v[19:20], off offset:1024
	s_and_saveexec_b32 s12, vcc_lo
	s_cbranch_execz .LBB61_91
.LBB61_117:                             ;   in Loop: Header=BB61_29 Depth=1
	v_cmp_gt_i32_e64 s0, s25, v0
	s_waitcnt vmcnt(0)
	v_cndmask_b32_e64 v41, 0, v41, s0
	v_cmp_gt_i32_e64 s0, s25, v127
	v_cndmask_b32_e64 v42, 0, v42, s0
	v_cmp_gt_i32_e64 s0, s25, v126
	;; [unrolled: 2-line block ×3, first 2 shown]
	v_cndmask_b32_e64 v44, 0, v44, s0
	s_or_b32 exec_lo, exec_lo, s12
	global_load_dwordx4 v[45:48], v[19:20], off offset:1536
	s_and_saveexec_b32 s12, vcc_lo
	s_cbranch_execnz .LBB61_92
	s_branch .LBB61_93
.LBB61_118:                             ;   in Loop: Header=BB61_29 Depth=1
	v_cmp_gt_i32_e64 s0, s25, v0
	s_waitcnt vmcnt(0)
	v_cndmask_b32_e64 v49, 0, v49, s0
	v_cmp_gt_i32_e64 s0, s25, v127
	v_cndmask_b32_e64 v50, 0, v50, s0
	v_cmp_gt_i32_e64 s0, s25, v126
	;; [unrolled: 2-line block ×3, first 2 shown]
	v_cndmask_b32_e64 v52, 0, v52, s0
	s_or_b32 exec_lo, exec_lo, s12
	global_load_dwordx4 v[53:56], v[19:20], off offset:512
	s_and_saveexec_b32 s12, vcc_lo
	s_cbranch_execz .LBB61_95
.LBB61_119:                             ;   in Loop: Header=BB61_29 Depth=1
	v_cmp_gt_i32_e64 s0, s25, v0
	s_waitcnt vmcnt(0)
	v_cndmask_b32_e64 v53, 0, v53, s0
	v_cmp_gt_i32_e64 s0, s25, v127
	v_cndmask_b32_e64 v54, 0, v54, s0
	v_cmp_gt_i32_e64 s0, s25, v126
	;; [unrolled: 2-line block ×3, first 2 shown]
	v_cndmask_b32_e64 v56, 0, v56, s0
	s_or_b32 exec_lo, exec_lo, s12
	global_load_dwordx4 v[57:60], v[19:20], off offset:1024
	s_and_saveexec_b32 s12, vcc_lo
	s_cbranch_execz .LBB61_96
.LBB61_120:                             ;   in Loop: Header=BB61_29 Depth=1
	v_cmp_gt_i32_e64 s0, s25, v0
	s_waitcnt vmcnt(0)
	v_cndmask_b32_e64 v57, 0, v57, s0
	v_cmp_gt_i32_e64 s0, s25, v127
	v_cndmask_b32_e64 v58, 0, v58, s0
	v_cmp_gt_i32_e64 s0, s25, v126
	;; [unrolled: 2-line block ×3, first 2 shown]
	v_cndmask_b32_e64 v60, 0, v60, s0
	s_or_b32 exec_lo, exec_lo, s12
	global_load_dwordx4 v[61:64], v[19:20], off offset:1536
	s_and_saveexec_b32 s12, vcc_lo
	s_cbranch_execnz .LBB61_97
	s_branch .LBB61_98
.LBB61_121:                             ;   in Loop: Header=BB61_29 Depth=1
	v_cmp_gt_i32_e64 s0, s25, v0
	s_waitcnt vmcnt(0)
	v_cndmask_b32_e64 v65, 0, v65, s0
	v_cmp_gt_i32_e64 s0, s25, v127
	v_cndmask_b32_e64 v66, 0, v66, s0
	v_cmp_gt_i32_e64 s0, s25, v126
	;; [unrolled: 2-line block ×3, first 2 shown]
	v_cndmask_b32_e64 v68, 0, v68, s0
	s_or_b32 exec_lo, exec_lo, s12
	global_load_dwordx4 v[69:72], v[17:18], off offset:512
	s_and_saveexec_b32 s12, vcc_lo
	s_cbranch_execz .LBB61_100
.LBB61_122:                             ;   in Loop: Header=BB61_29 Depth=1
	v_cmp_gt_i32_e64 s0, s25, v0
	s_waitcnt vmcnt(0)
	v_cndmask_b32_e64 v69, 0, v69, s0
	v_cmp_gt_i32_e64 s0, s25, v127
	v_cndmask_b32_e64 v70, 0, v70, s0
	v_cmp_gt_i32_e64 s0, s25, v126
	;; [unrolled: 2-line block ×3, first 2 shown]
	v_cndmask_b32_e64 v72, 0, v72, s0
	s_or_b32 exec_lo, exec_lo, s12
	global_load_dwordx4 v[73:76], v[17:18], off offset:1024
	s_and_saveexec_b32 s12, vcc_lo
	s_cbranch_execz .LBB61_101
.LBB61_123:                             ;   in Loop: Header=BB61_29 Depth=1
	v_cmp_gt_i32_e64 s0, s25, v0
	s_waitcnt vmcnt(0)
	v_cndmask_b32_e64 v73, 0, v73, s0
	v_cmp_gt_i32_e64 s0, s25, v127
	v_cndmask_b32_e64 v74, 0, v74, s0
	v_cmp_gt_i32_e64 s0, s25, v126
	;; [unrolled: 2-line block ×3, first 2 shown]
	v_cndmask_b32_e64 v76, 0, v76, s0
	s_or_b32 exec_lo, exec_lo, s12
	global_load_dwordx4 v[17:20], v[17:18], off offset:1536
	s_and_saveexec_b32 s0, vcc_lo
	s_cbranch_execz .LBB61_28
.LBB61_124:                             ;   in Loop: Header=BB61_29 Depth=1
	v_cmp_gt_i32_e32 vcc_lo, s25, v0
	s_waitcnt vmcnt(0)
	v_cndmask_b32_e32 v17, 0, v17, vcc_lo
	v_cmp_gt_i32_e32 vcc_lo, s25, v127
	v_cndmask_b32_e32 v18, 0, v18, vcc_lo
	v_cmp_gt_i32_e32 vcc_lo, s25, v126
	;; [unrolled: 2-line block ×3, first 2 shown]
	v_cndmask_b32_e32 v20, 0, v20, vcc_lo
	s_branch .LBB61_28
.LBB61_125:
	s_or_b32 exec_lo, exec_lo, s6
	s_clause 0x34
	buffer_load_dword v72, off, s[40:43], 0 offset:580
	buffer_load_dword v73, off, s[40:43], 0 offset:584
	;; [unrolled: 1-line block ×53, first 2 shown]
.LBB61_126:
	s_or_b32 exec_lo, exec_lo, s1
	s_waitcnt vmcnt(2)
	ds_bpermute_b32 v0, v55, v18
	s_waitcnt vmcnt(0)
	ds_bpermute_b32 v1, v55, v20
	ds_bpermute_b32 v2, v55, v19
	;; [unrolled: 1-line block ×3, first 2 shown]
	v_mov_b32_e32 v56, v5
	ds_bpermute_b32 v5, v55, v5
	v_mov_b32_e32 v29, v6
	ds_bpermute_b32 v6, v55, v6
	ds_bpermute_b32 v3, v55, v17
	;; [unrolled: 1-line block ×12, first 2 shown]
	s_mov_b32 s1, exec_lo
	s_waitcnt lgkmcnt(16)
	v_add_f32_e32 v0, v18, v0
	s_waitcnt lgkmcnt(15)
	v_add_f32_e32 v1, v20, v1
	;; [unrolled: 2-line block ×4, first 2 shown]
	ds_bpermute_b32 v22, v55, v35
	ds_bpermute_b32 v18, v65, v0
	;; [unrolled: 1-line block ×3, first 2 shown]
	s_waitcnt lgkmcnt(15)
	v_add_f32_e32 v5, v56, v5
	s_waitcnt lgkmcnt(14)
	v_add_f32_e32 v6, v29, v6
	;; [unrolled: 2-line block ×3, first 2 shown]
	ds_bpermute_b32 v20, v65, v2
	s_waitcnt lgkmcnt(13)
	v_add_f32_e32 v7, v23, v7
	ds_bpermute_b32 v23, v65, v4
	s_waitcnt lgkmcnt(13)
	v_add_f32_e32 v11, v25, v11
	s_waitcnt lgkmcnt(12)
	v_add_f32_e32 v12, v24, v12
	ds_bpermute_b32 v24, v65, v5
	ds_bpermute_b32 v25, v65, v6
	;; [unrolled: 1-line block ×3, first 2 shown]
	s_waitcnt lgkmcnt(14)
	v_add_f32_e32 v8, v28, v8
	s_waitcnt lgkmcnt(13)
	v_add_f32_e32 v10, v26, v10
	ds_bpermute_b32 v26, v65, v7
	s_waitcnt lgkmcnt(13)
	v_add_f32_e32 v9, v27, v9
	s_waitcnt lgkmcnt(12)
	v_add_f32_e32 v14, v30, v14
	ds_bpermute_b32 v27, v65, v8
	ds_bpermute_b32 v30, v65, v12
	s_waitcnt lgkmcnt(9)
	v_add_f32_e32 v0, v0, v18
	s_waitcnt lgkmcnt(8)
	v_add_f32_e32 v1, v1, v19
	ds_bpermute_b32 v18, v65, v10
	ds_bpermute_b32 v28, v65, v9
	v_add_f32_e32 v13, v31, v13
	ds_bpermute_b32 v19, v70, v0
	s_waitcnt lgkmcnt(10)
	v_add_f32_e32 v2, v2, v20
	s_waitcnt lgkmcnt(9)
	v_add_f32_e32 v4, v4, v23
	ds_bpermute_b32 v23, v65, v11
	ds_bpermute_b32 v20, v70, v1
	s_waitcnt lgkmcnt(10)
	v_add_f32_e32 v5, v5, v24
	s_waitcnt lgkmcnt(9)
	v_add_f32_e32 v6, v6, v25
	s_waitcnt lgkmcnt(8)
	v_add_f32_e32 v3, v3, v21
	ds_bpermute_b32 v21, v70, v2
	ds_bpermute_b32 v17, v55, v36
	s_waitcnt lgkmcnt(9)
	v_add_f32_e32 v7, v7, v26
	ds_bpermute_b32 v24, v70, v5
	ds_bpermute_b32 v25, v70, v6
	s_waitcnt lgkmcnt(10)
	v_add_f32_e32 v8, v8, v27
	;; [unrolled: 4-line block ×3, first 2 shown]
	s_waitcnt lgkmcnt(10)
	v_add_f32_e32 v10, v10, v18
	ds_bpermute_b32 v18, v65, v13
	ds_bpermute_b32 v27, v70, v8
	s_waitcnt lgkmcnt(10)
	v_add_f32_e32 v0, v0, v19
	ds_bpermute_b32 v19, v65, v14
	v_add_f32_e32 v15, v47, v15
	s_waitcnt lgkmcnt(10)
	v_add_f32_e32 v11, v11, v23
	v_add_f32_e32 v16, v46, v16
	v_add_f32_e32 v9, v9, v28
	s_waitcnt lgkmcnt(9)
	v_add_f32_e32 v1, v1, v20
	ds_bpermute_b32 v20, v70, v10
	s_waitcnt lgkmcnt(9)
	v_add_f32_e32 v2, v2, v21
	ds_bpermute_b32 v21, v70, v11
	ds_bpermute_b32 v23, v70, v12
	s_waitcnt lgkmcnt(9)
	v_add_f32_e32 v5, v5, v24
	ds_bpermute_b32 v24, v65, v15
	s_waitcnt lgkmcnt(9)
	v_add_f32_e32 v6, v6, v25
	ds_bpermute_b32 v25, v65, v16
	v_add_f32_e32 v22, v35, v22
	ds_bpermute_b32 v28, v70, v9
	v_add_f32_e32 v17, v36, v17
	s_waitcnt lgkmcnt(9)
	v_add_f32_e32 v7, v7, v26
	s_waitcnt lgkmcnt(8)
	v_add_f32_e32 v13, v13, v18
	ds_bpermute_b32 v18, v65, v22
	s_waitcnt lgkmcnt(7)
	v_add_f32_e32 v14, v14, v19
	ds_bpermute_b32 v19, v55, v34
	ds_bpermute_b32 v26, v55, v33
	;; [unrolled: 1-line block ×3, first 2 shown]
	v_add_f32_e32 v3, v3, v29
	ds_bpermute_b32 v29, v65, v17
	v_add_f32_e32 v8, v8, v27
	ds_bpermute_b32 v27, v55, v32
	s_waitcnt lgkmcnt(11)
	v_add_f32_e32 v10, v10, v20
	s_waitcnt lgkmcnt(10)
	v_add_f32_e32 v11, v11, v21
	;; [unrolled: 2-line block ×3, first 2 shown]
	ds_bpermute_b32 v20, v70, v13
	ds_bpermute_b32 v21, v70, v14
	;; [unrolled: 1-line block ×3, first 2 shown]
	s_waitcnt lgkmcnt(11)
	v_add_f32_e32 v15, v15, v24
	ds_bpermute_b32 v24, v55, v41
	s_waitcnt lgkmcnt(11)
	v_add_f32_e32 v16, v16, v25
	ds_bpermute_b32 v25, v55, v40
	;; [unrolled: 3-line block ×3, first 2 shown]
	ds_bpermute_b32 v30, v55, v37
	s_waitcnt lgkmcnt(12)
	v_add_f32_e32 v18, v22, v18
	s_waitcnt lgkmcnt(11)
	v_add_f32_e32 v19, v34, v19
	;; [unrolled: 2-line block ×5, first 2 shown]
	ds_bpermute_b32 v29, v70, v15
	ds_bpermute_b32 v31, v70, v16
	s_waitcnt lgkmcnt(9)
	v_add_f32_e32 v27, v32, v27
	ds_bpermute_b32 v32, v70, v18
	ds_bpermute_b32 v34, v65, v19
	ds_bpermute_b32 v35, v65, v26
	s_waitcnt lgkmcnt(11)
	v_add_f32_e32 v13, v13, v20
	s_waitcnt lgkmcnt(9)
	v_add_f32_e32 v23, v42, v23
	v_add_f32_e32 v14, v14, v21
	s_waitcnt lgkmcnt(8)
	v_add_f32_e32 v20, v41, v24
	ds_bpermute_b32 v22, v70, v17
	s_waitcnt lgkmcnt(8)
	v_add_f32_e32 v21, v40, v25
	ds_bpermute_b32 v33, v55, v38
	ds_bpermute_b32 v36, v65, v27
	;; [unrolled: 1-line block ×3, first 2 shown]
	s_waitcnt lgkmcnt(10)
	v_add_f32_e32 v25, v39, v28
	ds_bpermute_b32 v28, v65, v20
	s_waitcnt lgkmcnt(10)
	v_add_f32_e32 v30, v37, v30
	ds_bpermute_b32 v37, v65, v21
	v_cmp_eq_u32_e32 vcc_lo, 0, v71
	s_waitcnt lgkmcnt(10)
	v_add_f32_e32 v15, v15, v29
	ds_bpermute_b32 v29, v65, v25
	s_waitcnt lgkmcnt(10)
	v_add_f32_e32 v16, v16, v31
	ds_bpermute_b32 v31, v65, v30
	s_waitcnt lgkmcnt(10)
	v_add_f32_e32 v18, v18, v32
	s_waitcnt lgkmcnt(9)
	v_add_f32_e32 v19, v19, v34
	;; [unrolled: 2-line block ×3, first 2 shown]
	ds_bpermute_b32 v32, v55, v45
	ds_bpermute_b32 v34, v55, v44
	;; [unrolled: 1-line block ×3, first 2 shown]
	s_waitcnt lgkmcnt(10)
	v_add_f32_e32 v17, v17, v22
	s_waitcnt lgkmcnt(0)
	s_waitcnt_vscnt null, 0x0
	v_add_f32_e32 v22, v38, v33
	v_add_f32_e32 v27, v27, v36
	ds_bpermute_b32 v36, v70, v19
	v_add_f32_e32 v23, v23, v24
	v_add_f32_e32 v24, v20, v28
	ds_bpermute_b32 v20, v55, v54
	v_add_f32_e32 v28, v21, v37
	ds_bpermute_b32 v33, v65, v22
	ds_bpermute_b32 v38, v70, v26
	;; [unrolled: 1-line block ×3, first 2 shown]
	v_add_f32_e32 v25, v25, v29
	ds_bpermute_b32 v21, v55, v49
	v_add_f32_e32 v29, v30, v31
	ds_bpermute_b32 v30, v55, v48
	ds_bpermute_b32 v31, v70, v23
	;; [unrolled: 1-line block ×4, first 2 shown]
	v_add_f32_e32 v32, v45, v32
	v_add_f32_e32 v34, v44, v34
	;; [unrolled: 1-line block ×3, first 2 shown]
	ds_bpermute_b32 v43, v55, v51
	ds_bpermute_b32 v41, v70, v25
	;; [unrolled: 1-line block ×5, first 2 shown]
	s_waitcnt lgkmcnt(14)
	v_add_f32_e32 v19, v19, v36
	s_waitcnt lgkmcnt(13)
	v_add_f32_e32 v36, v54, v20
	;; [unrolled: 2-line block ×4, first 2 shown]
	ds_bpermute_b32 v47, v65, v35
	s_barrier
	s_waitcnt lgkmcnt(10)
	v_add_f32_e32 v38, v49, v21
	v_add_f32_e32 v21, v27, v39
	s_waitcnt lgkmcnt(9)
	v_add_f32_e32 v30, v48, v30
	ds_bpermute_b32 v39, v65, v36
	ds_bpermute_b32 v48, v55, v50
	s_waitcnt lgkmcnt(10)
	v_add_f32_e32 v22, v23, v31
	s_waitcnt lgkmcnt(9)
	v_add_f32_e32 v23, v24, v37
	;; [unrolled: 2-line block ×3, first 2 shown]
	ds_bpermute_b32 v45, v70, v33
	s_waitcnt lgkmcnt(8)
	v_add_f32_e32 v28, v51, v43
	ds_bpermute_b32 v49, v65, v38
	ds_bpermute_b32 v31, v65, v30
	s_waitcnt lgkmcnt(9)
	v_add_f32_e32 v25, v25, v41
	s_waitcnt lgkmcnt(8)
	v_add_f32_e32 v26, v29, v42
	;; [unrolled: 2-line block ×4, first 2 shown]
	ds_bpermute_b32 v34, v65, v28
	ds_bpermute_b32 v37, v55, v52
	;; [unrolled: 1-line block ×6, first 2 shown]
	s_waitcnt lgkmcnt(0)
	buffer_gl0_inv
	v_add_f32_e32 v36, v36, v39
	v_add_f32_e32 v39, v50, v48
	;; [unrolled: 1-line block ×6, first 2 shown]
	ds_bpermute_b32 v30, v55, v67
	ds_bpermute_b32 v31, v65, v39
	;; [unrolled: 1-line block ×5, first 2 shown]
	v_add_f32_e32 v34, v28, v34
	ds_bpermute_b32 v28, v55, v61
	v_add_f32_e32 v37, v52, v37
	ds_bpermute_b32 v52, v55, v62
	;; [unrolled: 2-line block ×3, first 2 shown]
	ds_bpermute_b32 v55, v55, v64
	ds_bpermute_b32 v56, v65, v37
	v_add_f32_e32 v43, v57, v43
	ds_bpermute_b32 v57, v65, v41
	v_add_f32_e32 v51, v60, v51
	ds_bpermute_b32 v35, v70, v29
	ds_bpermute_b32 v48, v70, v38
	;; [unrolled: 1-line block ×4, first 2 shown]
	s_waitcnt lgkmcnt(14)
	v_add_f32_e32 v30, v67, v30
	s_waitcnt lgkmcnt(13)
	v_add_f32_e32 v39, v39, v31
	;; [unrolled: 2-line block ×5, first 2 shown]
	ds_bpermute_b32 v45, v65, v43
	s_waitcnt lgkmcnt(10)
	v_add_f32_e32 v28, v61, v28
	ds_bpermute_b32 v58, v65, v30
	s_waitcnt lgkmcnt(10)
	v_add_f32_e32 v52, v62, v52
	;; [unrolled: 3-line block ×3, first 2 shown]
	s_waitcnt lgkmcnt(9)
	v_add_f32_e32 v55, v64, v55
	ds_bpermute_b32 v60, v65, v47
	ds_bpermute_b32 v61, v65, v49
	;; [unrolled: 1-line block ×5, first 2 shown]
	s_waitcnt lgkmcnt(13)
	v_add_f32_e32 v37, v37, v56
	ds_bpermute_b32 v56, v65, v53
	s_waitcnt lgkmcnt(13)
	v_add_f32_e32 v41, v41, v57
	ds_bpermute_b32 v57, v65, v55
	ds_bpermute_b32 v50, v70, v44
	;; [unrolled: 1-line block ×5, first 2 shown]
	s_waitcnt lgkmcnt(13)
	v_add_f32_e32 v43, v43, v45
	ds_bpermute_b32 v45, v70, v37
	s_waitcnt lgkmcnt(13)
	v_add_f32_e32 v58, v30, v58
	v_add_f32_e32 v30, v33, v42
	s_waitcnt lgkmcnt(12)
	v_add_f32_e32 v59, v31, v59
	ds_bpermute_b32 v67, v70, v43
	v_add_f32_e32 v31, v36, v46
	s_waitcnt lgkmcnt(12)
	v_add_f32_e32 v47, v47, v60
	s_waitcnt lgkmcnt(11)
	;; [unrolled: 2-line block ×5, first 2 shown]
	v_add_f32_e32 v52, v52, v64
	ds_bpermute_b32 v60, v70, v58
	s_waitcnt lgkmcnt(8)
	v_add_f32_e32 v53, v53, v56
	ds_bpermute_b32 v61, v70, v59
	s_waitcnt lgkmcnt(8)
	v_add_f32_e32 v55, v55, v57
	ds_bpermute_b32 v62, v70, v47
	ds_bpermute_b32 v68, v70, v49
	;; [unrolled: 1-line block ×7, first 2 shown]
	v_add_f32_e32 v28, v29, v35
	v_add_f32_e32 v29, v32, v40
	;; [unrolled: 1-line block ×3, first 2 shown]
	v_lshrrev_b32_e32 v48, 3, v74
	s_waitcnt lgkmcnt(14)
	v_add_f32_e32 v33, v44, v50
	s_waitcnt lgkmcnt(13)
	v_add_f32_e32 v34, v34, v54
	;; [unrolled: 2-line block ×4, first 2 shown]
	v_add_f32_e32 v37, v41, v66
	s_waitcnt lgkmcnt(9)
	v_add_f32_e32 v38, v43, v67
	s_waitcnt lgkmcnt(8)
	;; [unrolled: 2-line block ×3, first 2 shown]
	v_add_f32_e32 v40, v59, v61
	v_mul_u32_u24_e32 v50, 0x300, v73
	s_waitcnt lgkmcnt(6)
	v_add_f32_e32 v41, v47, v62
	s_waitcnt lgkmcnt(5)
	v_add_f32_e32 v42, v49, v68
	s_waitcnt lgkmcnt(4)
	v_add_f32_e32 v43, v51, v64
	s_waitcnt lgkmcnt(3)
	v_add_f32_e32 v44, v63, v56
	s_waitcnt lgkmcnt(2)
	v_add_f32_e32 v45, v52, v57
	s_waitcnt lgkmcnt(1)
	v_add_f32_e32 v46, v53, v69
	v_and_b32_e32 v51, 0x3c0, v72
	s_waitcnt lgkmcnt(0)
	v_add_f32_e32 v47, v55, v70
	v_lshl_add_u32 v49, v48, 2, 0x320
	v_cmpx_eq_u32_e32 64, v51
	s_cbranch_execz .LBB61_129
; %bb.127:
	s_and_b32 exec_lo, exec_lo, vcc_lo
	s_cbranch_execz .LBB61_129
; %bb.128:
	v_add_nc_u32_e32 v51, v49, v50
	v_add_nc_u32_e32 v52, 0xfffffa00, v51
	;; [unrolled: 1-line block ×8, first 2 shown]
	ds_write_b32 v52, v0
	ds_write_b32 v53, v1
	;; [unrolled: 1-line block ×3, first 2 shown]
	v_add_nc_u32_e32 v52, 0xfffffa70, v51
	ds_write_b32 v55, v3
	ds_write_b32 v56, v4
	ds_write_b32 v57, v5
	ds_write_b32 v58, v6
	ds_write_b32 v52, v7
	v_add_nc_u32_e32 v52, 0xfffffa80, v51
	v_add_nc_u32_e32 v53, 0xfffffa90, v51
	v_add_nc_u32_e32 v54, 0xfffffaa0, v51
	v_add_nc_u32_e32 v55, 0xfffffab0, v51
	v_add_nc_u32_e32 v56, 0xfffffac0, v51
	ds_write_b32 v52, v8
	ds_write_b32 v53, v9
	ds_write_b32 v54, v10
	ds_write_b32 v55, v11
	ds_write_b32 v56, v12
	v_add_nc_u32_e32 v52, 0xfffffad0, v51
	v_add_nc_u32_e32 v53, 0xfffffae0, v51
	v_add_nc_u32_e32 v54, 0xfffffaf0, v51
	v_add_nc_u32_e32 v55, 0xfffffb00, v51
	;; [unrolled: 10-line block ×8, first 2 shown]
	v_add_nc_u32_e32 v51, 0xfffffcf0, v51
	ds_write_b32 v52, v43
	ds_write_b32 v53, v44
	;; [unrolled: 1-line block ×5, first 2 shown]
.LBB61_129:
	s_or_b32 exec_lo, exec_lo, s1
	v_lshlrev_b32_e32 v48, 2, v48
	s_mov_b32 s1, exec_lo
	s_waitcnt lgkmcnt(0)
	s_barrier
	buffer_gl0_inv
	v_add3_u32 v48, 0x320, v50, v48
	v_cmpx_gt_u32_e32 64, v72
	s_cbranch_execz .LBB61_180
; %bb.130:
	s_and_saveexec_b32 s0, vcc_lo
	s_cbranch_execnz .LBB61_236
; %bb.131:
	s_or_b32 exec_lo, exec_lo, s0
	s_and_saveexec_b32 s0, vcc_lo
	s_cbranch_execnz .LBB61_237
.LBB61_132:
	s_or_b32 exec_lo, exec_lo, s0
	s_and_saveexec_b32 s0, vcc_lo
	s_cbranch_execnz .LBB61_238
.LBB61_133:
	s_or_b32 exec_lo, exec_lo, s0
	s_and_saveexec_b32 s0, vcc_lo
	s_cbranch_execnz .LBB61_239
.LBB61_134:
	s_or_b32 exec_lo, exec_lo, s0
	s_and_saveexec_b32 s0, vcc_lo
	s_cbranch_execnz .LBB61_240
.LBB61_135:
	s_or_b32 exec_lo, exec_lo, s0
	s_and_saveexec_b32 s0, vcc_lo
	s_cbranch_execnz .LBB61_241
.LBB61_136:
	s_or_b32 exec_lo, exec_lo, s0
	s_and_saveexec_b32 s0, vcc_lo
	s_cbranch_execnz .LBB61_242
.LBB61_137:
	s_or_b32 exec_lo, exec_lo, s0
	s_and_saveexec_b32 s0, vcc_lo
	s_cbranch_execnz .LBB61_243
.LBB61_138:
	s_or_b32 exec_lo, exec_lo, s0
	s_and_saveexec_b32 s0, vcc_lo
	s_cbranch_execnz .LBB61_244
.LBB61_139:
	s_or_b32 exec_lo, exec_lo, s0
	s_and_saveexec_b32 s0, vcc_lo
	s_cbranch_execnz .LBB61_245
.LBB61_140:
	s_or_b32 exec_lo, exec_lo, s0
	s_and_saveexec_b32 s0, vcc_lo
	s_cbranch_execnz .LBB61_246
.LBB61_141:
	s_or_b32 exec_lo, exec_lo, s0
	s_and_saveexec_b32 s0, vcc_lo
	s_cbranch_execnz .LBB61_247
.LBB61_142:
	s_or_b32 exec_lo, exec_lo, s0
	s_and_saveexec_b32 s0, vcc_lo
	s_cbranch_execnz .LBB61_248
.LBB61_143:
	s_or_b32 exec_lo, exec_lo, s0
	s_and_saveexec_b32 s0, vcc_lo
	s_cbranch_execnz .LBB61_249
.LBB61_144:
	s_or_b32 exec_lo, exec_lo, s0
	s_and_saveexec_b32 s0, vcc_lo
	s_cbranch_execnz .LBB61_250
.LBB61_145:
	s_or_b32 exec_lo, exec_lo, s0
	s_and_saveexec_b32 s0, vcc_lo
	s_cbranch_execnz .LBB61_251
.LBB61_146:
	s_or_b32 exec_lo, exec_lo, s0
	s_and_saveexec_b32 s0, vcc_lo
	s_cbranch_execnz .LBB61_252
.LBB61_147:
	s_or_b32 exec_lo, exec_lo, s0
	s_and_saveexec_b32 s0, vcc_lo
	s_cbranch_execnz .LBB61_253
.LBB61_148:
	s_or_b32 exec_lo, exec_lo, s0
	s_and_saveexec_b32 s0, vcc_lo
	s_cbranch_execnz .LBB61_254
.LBB61_149:
	s_or_b32 exec_lo, exec_lo, s0
	s_and_saveexec_b32 s0, vcc_lo
	s_cbranch_execnz .LBB61_255
.LBB61_150:
	s_or_b32 exec_lo, exec_lo, s0
	s_and_saveexec_b32 s0, vcc_lo
	s_cbranch_execnz .LBB61_256
.LBB61_151:
	s_or_b32 exec_lo, exec_lo, s0
	s_and_saveexec_b32 s0, vcc_lo
	s_cbranch_execnz .LBB61_257
.LBB61_152:
	s_or_b32 exec_lo, exec_lo, s0
	s_and_saveexec_b32 s0, vcc_lo
	s_cbranch_execnz .LBB61_258
.LBB61_153:
	s_or_b32 exec_lo, exec_lo, s0
	s_and_saveexec_b32 s0, vcc_lo
	s_cbranch_execnz .LBB61_259
.LBB61_154:
	s_or_b32 exec_lo, exec_lo, s0
	s_and_saveexec_b32 s0, vcc_lo
	s_cbranch_execnz .LBB61_260
.LBB61_155:
	s_or_b32 exec_lo, exec_lo, s0
	s_and_saveexec_b32 s0, vcc_lo
	s_cbranch_execnz .LBB61_261
.LBB61_156:
	s_or_b32 exec_lo, exec_lo, s0
	s_and_saveexec_b32 s0, vcc_lo
	s_cbranch_execnz .LBB61_262
.LBB61_157:
	s_or_b32 exec_lo, exec_lo, s0
	s_and_saveexec_b32 s0, vcc_lo
	s_cbranch_execnz .LBB61_263
.LBB61_158:
	s_or_b32 exec_lo, exec_lo, s0
	s_and_saveexec_b32 s0, vcc_lo
	s_cbranch_execnz .LBB61_264
.LBB61_159:
	s_or_b32 exec_lo, exec_lo, s0
	s_and_saveexec_b32 s0, vcc_lo
	s_cbranch_execnz .LBB61_265
.LBB61_160:
	s_or_b32 exec_lo, exec_lo, s0
	s_and_saveexec_b32 s0, vcc_lo
	s_cbranch_execnz .LBB61_266
.LBB61_161:
	s_or_b32 exec_lo, exec_lo, s0
	s_and_saveexec_b32 s0, vcc_lo
	s_cbranch_execnz .LBB61_267
.LBB61_162:
	s_or_b32 exec_lo, exec_lo, s0
	s_and_saveexec_b32 s0, vcc_lo
	s_cbranch_execnz .LBB61_268
.LBB61_163:
	s_or_b32 exec_lo, exec_lo, s0
	s_and_saveexec_b32 s0, vcc_lo
	s_cbranch_execnz .LBB61_269
.LBB61_164:
	s_or_b32 exec_lo, exec_lo, s0
	s_and_saveexec_b32 s0, vcc_lo
	s_cbranch_execnz .LBB61_270
.LBB61_165:
	s_or_b32 exec_lo, exec_lo, s0
	s_and_saveexec_b32 s0, vcc_lo
	s_cbranch_execnz .LBB61_271
.LBB61_166:
	s_or_b32 exec_lo, exec_lo, s0
	s_and_saveexec_b32 s0, vcc_lo
	s_cbranch_execnz .LBB61_272
.LBB61_167:
	s_or_b32 exec_lo, exec_lo, s0
	s_and_saveexec_b32 s0, vcc_lo
	s_cbranch_execnz .LBB61_273
.LBB61_168:
	s_or_b32 exec_lo, exec_lo, s0
	s_and_saveexec_b32 s0, vcc_lo
	s_cbranch_execnz .LBB61_274
.LBB61_169:
	s_or_b32 exec_lo, exec_lo, s0
	s_and_saveexec_b32 s0, vcc_lo
	s_cbranch_execnz .LBB61_275
.LBB61_170:
	s_or_b32 exec_lo, exec_lo, s0
	s_and_saveexec_b32 s0, vcc_lo
	s_cbranch_execnz .LBB61_276
.LBB61_171:
	s_or_b32 exec_lo, exec_lo, s0
	s_and_saveexec_b32 s0, vcc_lo
	s_cbranch_execnz .LBB61_277
.LBB61_172:
	s_or_b32 exec_lo, exec_lo, s0
	s_and_saveexec_b32 s0, vcc_lo
	s_cbranch_execnz .LBB61_278
.LBB61_173:
	s_or_b32 exec_lo, exec_lo, s0
	s_and_saveexec_b32 s0, vcc_lo
	s_cbranch_execnz .LBB61_279
.LBB61_174:
	s_or_b32 exec_lo, exec_lo, s0
	s_and_saveexec_b32 s0, vcc_lo
	s_cbranch_execnz .LBB61_280
.LBB61_175:
	s_or_b32 exec_lo, exec_lo, s0
	s_and_saveexec_b32 s0, vcc_lo
	s_cbranch_execnz .LBB61_281
.LBB61_176:
	s_or_b32 exec_lo, exec_lo, s0
	s_and_saveexec_b32 s0, vcc_lo
	s_cbranch_execnz .LBB61_282
.LBB61_177:
	s_or_b32 exec_lo, exec_lo, s0
	s_and_saveexec_b32 s0, vcc_lo
	s_cbranch_execz .LBB61_179
.LBB61_178:
	ds_read_b32 v50, v48 offset:752
	s_waitcnt lgkmcnt(0)
	v_add_f32_e32 v47, v47, v50
.LBB61_179:
	s_or_b32 exec_lo, exec_lo, s0
.LBB61_180:
	s_or_b32 exec_lo, exec_lo, s1
	v_and_b32_e32 v50, 0x3e7, v72
	s_mov_b32 s1, exec_lo
	s_barrier
	buffer_gl0_inv
	v_cmpx_eq_u32_e32 32, v50
	s_cbranch_execz .LBB61_182
; %bb.181:
	ds_write2_b32 v49, v0, v1 offset1:4
	ds_write2_b32 v49, v2, v3 offset0:8 offset1:12
	ds_write2_b32 v49, v4, v5 offset0:16 offset1:20
	;; [unrolled: 1-line block ×23, first 2 shown]
.LBB61_182:
	s_or_b32 exec_lo, exec_lo, s1
	s_mov_b32 s1, exec_lo
	s_waitcnt lgkmcnt(0)
	s_barrier
	buffer_gl0_inv
	v_cmpx_gt_u32_e32 32, v72
	s_cbranch_execz .LBB61_233
; %bb.183:
	s_and_saveexec_b32 s0, vcc_lo
	s_cbranch_execnz .LBB61_283
; %bb.184:
	s_or_b32 exec_lo, exec_lo, s0
	s_and_saveexec_b32 s0, vcc_lo
	s_cbranch_execnz .LBB61_284
.LBB61_185:
	s_or_b32 exec_lo, exec_lo, s0
	s_and_saveexec_b32 s0, vcc_lo
	s_cbranch_execnz .LBB61_285
.LBB61_186:
	s_or_b32 exec_lo, exec_lo, s0
	s_and_saveexec_b32 s0, vcc_lo
	s_cbranch_execnz .LBB61_286
.LBB61_187:
	s_or_b32 exec_lo, exec_lo, s0
	s_and_saveexec_b32 s0, vcc_lo
	s_cbranch_execnz .LBB61_287
.LBB61_188:
	s_or_b32 exec_lo, exec_lo, s0
	s_and_saveexec_b32 s0, vcc_lo
	s_cbranch_execnz .LBB61_288
.LBB61_189:
	s_or_b32 exec_lo, exec_lo, s0
	s_and_saveexec_b32 s0, vcc_lo
	s_cbranch_execnz .LBB61_289
.LBB61_190:
	s_or_b32 exec_lo, exec_lo, s0
	s_and_saveexec_b32 s0, vcc_lo
	s_cbranch_execnz .LBB61_290
.LBB61_191:
	s_or_b32 exec_lo, exec_lo, s0
	s_and_saveexec_b32 s0, vcc_lo
	s_cbranch_execnz .LBB61_291
.LBB61_192:
	s_or_b32 exec_lo, exec_lo, s0
	s_and_saveexec_b32 s0, vcc_lo
	s_cbranch_execnz .LBB61_292
.LBB61_193:
	s_or_b32 exec_lo, exec_lo, s0
	s_and_saveexec_b32 s0, vcc_lo
	s_cbranch_execnz .LBB61_293
.LBB61_194:
	s_or_b32 exec_lo, exec_lo, s0
	s_and_saveexec_b32 s0, vcc_lo
	s_cbranch_execnz .LBB61_294
.LBB61_195:
	s_or_b32 exec_lo, exec_lo, s0
	s_and_saveexec_b32 s0, vcc_lo
	s_cbranch_execnz .LBB61_295
.LBB61_196:
	s_or_b32 exec_lo, exec_lo, s0
	s_and_saveexec_b32 s0, vcc_lo
	s_cbranch_execnz .LBB61_296
.LBB61_197:
	s_or_b32 exec_lo, exec_lo, s0
	s_and_saveexec_b32 s0, vcc_lo
	s_cbranch_execnz .LBB61_297
.LBB61_198:
	s_or_b32 exec_lo, exec_lo, s0
	s_and_saveexec_b32 s0, vcc_lo
	s_cbranch_execnz .LBB61_298
.LBB61_199:
	s_or_b32 exec_lo, exec_lo, s0
	s_and_saveexec_b32 s0, vcc_lo
	s_cbranch_execnz .LBB61_299
.LBB61_200:
	s_or_b32 exec_lo, exec_lo, s0
	s_and_saveexec_b32 s0, vcc_lo
	s_cbranch_execnz .LBB61_300
.LBB61_201:
	s_or_b32 exec_lo, exec_lo, s0
	s_and_saveexec_b32 s0, vcc_lo
	s_cbranch_execnz .LBB61_301
.LBB61_202:
	s_or_b32 exec_lo, exec_lo, s0
	s_and_saveexec_b32 s0, vcc_lo
	s_cbranch_execnz .LBB61_302
.LBB61_203:
	s_or_b32 exec_lo, exec_lo, s0
	s_and_saveexec_b32 s0, vcc_lo
	s_cbranch_execnz .LBB61_303
.LBB61_204:
	s_or_b32 exec_lo, exec_lo, s0
	s_and_saveexec_b32 s0, vcc_lo
	s_cbranch_execnz .LBB61_304
.LBB61_205:
	s_or_b32 exec_lo, exec_lo, s0
	s_and_saveexec_b32 s0, vcc_lo
	s_cbranch_execnz .LBB61_305
.LBB61_206:
	s_or_b32 exec_lo, exec_lo, s0
	s_and_saveexec_b32 s0, vcc_lo
	s_cbranch_execnz .LBB61_306
.LBB61_207:
	s_or_b32 exec_lo, exec_lo, s0
	s_and_saveexec_b32 s0, vcc_lo
	s_cbranch_execnz .LBB61_307
.LBB61_208:
	s_or_b32 exec_lo, exec_lo, s0
	s_and_saveexec_b32 s0, vcc_lo
	s_cbranch_execnz .LBB61_308
.LBB61_209:
	s_or_b32 exec_lo, exec_lo, s0
	s_and_saveexec_b32 s0, vcc_lo
	s_cbranch_execnz .LBB61_309
.LBB61_210:
	s_or_b32 exec_lo, exec_lo, s0
	s_and_saveexec_b32 s0, vcc_lo
	s_cbranch_execnz .LBB61_310
.LBB61_211:
	s_or_b32 exec_lo, exec_lo, s0
	s_and_saveexec_b32 s0, vcc_lo
	s_cbranch_execnz .LBB61_311
.LBB61_212:
	s_or_b32 exec_lo, exec_lo, s0
	s_and_saveexec_b32 s0, vcc_lo
	s_cbranch_execnz .LBB61_312
.LBB61_213:
	s_or_b32 exec_lo, exec_lo, s0
	s_and_saveexec_b32 s0, vcc_lo
	s_cbranch_execnz .LBB61_313
.LBB61_214:
	s_or_b32 exec_lo, exec_lo, s0
	s_and_saveexec_b32 s0, vcc_lo
	s_cbranch_execnz .LBB61_314
.LBB61_215:
	s_or_b32 exec_lo, exec_lo, s0
	s_and_saveexec_b32 s0, vcc_lo
	s_cbranch_execnz .LBB61_315
.LBB61_216:
	s_or_b32 exec_lo, exec_lo, s0
	s_and_saveexec_b32 s0, vcc_lo
	s_cbranch_execnz .LBB61_316
.LBB61_217:
	s_or_b32 exec_lo, exec_lo, s0
	s_and_saveexec_b32 s0, vcc_lo
	s_cbranch_execnz .LBB61_317
.LBB61_218:
	s_or_b32 exec_lo, exec_lo, s0
	s_and_saveexec_b32 s0, vcc_lo
	s_cbranch_execnz .LBB61_318
.LBB61_219:
	s_or_b32 exec_lo, exec_lo, s0
	s_and_saveexec_b32 s0, vcc_lo
	s_cbranch_execnz .LBB61_319
.LBB61_220:
	s_or_b32 exec_lo, exec_lo, s0
	s_and_saveexec_b32 s0, vcc_lo
	s_cbranch_execnz .LBB61_320
.LBB61_221:
	s_or_b32 exec_lo, exec_lo, s0
	s_and_saveexec_b32 s0, vcc_lo
	s_cbranch_execnz .LBB61_321
.LBB61_222:
	s_or_b32 exec_lo, exec_lo, s0
	s_and_saveexec_b32 s0, vcc_lo
	s_cbranch_execnz .LBB61_322
.LBB61_223:
	s_or_b32 exec_lo, exec_lo, s0
	s_and_saveexec_b32 s0, vcc_lo
	s_cbranch_execnz .LBB61_323
.LBB61_224:
	s_or_b32 exec_lo, exec_lo, s0
	s_and_saveexec_b32 s0, vcc_lo
	s_cbranch_execnz .LBB61_324
.LBB61_225:
	s_or_b32 exec_lo, exec_lo, s0
	s_and_saveexec_b32 s0, vcc_lo
	s_cbranch_execnz .LBB61_325
.LBB61_226:
	s_or_b32 exec_lo, exec_lo, s0
	s_and_saveexec_b32 s0, vcc_lo
	s_cbranch_execnz .LBB61_326
.LBB61_227:
	s_or_b32 exec_lo, exec_lo, s0
	s_and_saveexec_b32 s0, vcc_lo
	s_cbranch_execnz .LBB61_327
.LBB61_228:
	s_or_b32 exec_lo, exec_lo, s0
	s_and_saveexec_b32 s0, vcc_lo
	s_cbranch_execnz .LBB61_328
.LBB61_229:
	s_or_b32 exec_lo, exec_lo, s0
	s_and_saveexec_b32 s0, vcc_lo
	s_cbranch_execnz .LBB61_329
.LBB61_230:
	s_or_b32 exec_lo, exec_lo, s0
	s_and_saveexec_b32 s0, vcc_lo
	s_cbranch_execz .LBB61_232
.LBB61_231:
	ds_read_b32 v48, v48 offset:752
	s_waitcnt lgkmcnt(0)
	v_add_f32_e32 v47, v47, v48
.LBB61_232:
	s_or_b32 exec_lo, exec_lo, s0
.LBB61_233:
	s_or_b32 exec_lo, exec_lo, s1
	s_barrier
	buffer_gl0_inv
	s_mov_b32 s0, exec_lo
	v_cmpx_eq_u32_e32 0, v50
	s_cbranch_execz .LBB61_235
; %bb.234:
	s_mul_i32 s0, s2, 0xc0
	s_mul_i32 s2, s7, s10
	s_ashr_i32 s1, s0, 31
	v_lshrrev_b32_e32 v48, 1, v72
	s_lshl_b64 s[0:1], s[0:1], 2
	s_add_u32 s4, s20, s0
	s_addc_u32 s5, s21, s1
	s_ashr_i32 s3, s2, 31
	s_lshl_b64 s[0:1], s[2:3], 2
	s_mul_i32 s2, s8, 0xc0
	s_add_u32 s4, s4, s0
	s_addc_u32 s5, s5, s1
	s_ashr_i32 s3, s2, 31
	s_lshl_b64 s[0:1], s[2:3], 2
	s_add_u32 s0, s4, s0
	s_addc_u32 s1, s5, s1
	global_store_dword v48, v0, s[0:1]
	global_store_dword v48, v1, s[0:1] offset:16
	global_store_dword v48, v2, s[0:1] offset:32
	global_store_dword v48, v3, s[0:1] offset:48
	global_store_dword v48, v4, s[0:1] offset:64
	global_store_dword v48, v5, s[0:1] offset:80
	global_store_dword v48, v6, s[0:1] offset:96
	global_store_dword v48, v7, s[0:1] offset:112
	global_store_dword v48, v8, s[0:1] offset:128
	global_store_dword v48, v9, s[0:1] offset:144
	global_store_dword v48, v10, s[0:1] offset:160
	global_store_dword v48, v11, s[0:1] offset:176
	global_store_dword v48, v12, s[0:1] offset:192
	global_store_dword v48, v13, s[0:1] offset:208
	global_store_dword v48, v14, s[0:1] offset:224
	global_store_dword v48, v15, s[0:1] offset:240
	global_store_dword v48, v16, s[0:1] offset:256
	global_store_dword v48, v17, s[0:1] offset:272
	global_store_dword v48, v18, s[0:1] offset:288
	global_store_dword v48, v19, s[0:1] offset:304
	global_store_dword v48, v20, s[0:1] offset:320
	global_store_dword v48, v21, s[0:1] offset:336
	global_store_dword v48, v22, s[0:1] offset:352
	global_store_dword v48, v23, s[0:1] offset:368
	global_store_dword v48, v24, s[0:1] offset:384
	global_store_dword v48, v25, s[0:1] offset:400
	global_store_dword v48, v26, s[0:1] offset:416
	global_store_dword v48, v27, s[0:1] offset:432
	global_store_dword v48, v28, s[0:1] offset:448
	global_store_dword v48, v29, s[0:1] offset:464
	global_store_dword v48, v30, s[0:1] offset:480
	global_store_dword v48, v31, s[0:1] offset:496
	global_store_dword v48, v32, s[0:1] offset:512
	global_store_dword v48, v33, s[0:1] offset:528
	global_store_dword v48, v34, s[0:1] offset:544
	global_store_dword v48, v35, s[0:1] offset:560
	global_store_dword v48, v36, s[0:1] offset:576
	global_store_dword v48, v37, s[0:1] offset:592
	global_store_dword v48, v38, s[0:1] offset:608
	global_store_dword v48, v39, s[0:1] offset:624
	global_store_dword v48, v40, s[0:1] offset:640
	global_store_dword v48, v41, s[0:1] offset:656
	global_store_dword v48, v42, s[0:1] offset:672
	global_store_dword v48, v43, s[0:1] offset:688
	global_store_dword v48, v44, s[0:1] offset:704
	global_store_dword v48, v45, s[0:1] offset:720
	global_store_dword v48, v46, s[0:1] offset:736
	global_store_dword v48, v47, s[0:1] offset:752
.LBB61_235:
	s_endpgm
.LBB61_236:
	ds_read_b32 v50, v48
	s_waitcnt lgkmcnt(0)
	v_add_f32_e32 v0, v0, v50
	s_or_b32 exec_lo, exec_lo, s0
	s_and_saveexec_b32 s0, vcc_lo
	s_cbranch_execz .LBB61_132
.LBB61_237:
	ds_read_b32 v50, v48 offset:16
	s_waitcnt lgkmcnt(0)
	v_add_f32_e32 v1, v1, v50
	s_or_b32 exec_lo, exec_lo, s0
	s_and_saveexec_b32 s0, vcc_lo
	s_cbranch_execz .LBB61_133
.LBB61_238:
	ds_read_b32 v50, v48 offset:32
	s_waitcnt lgkmcnt(0)
	v_add_f32_e32 v2, v2, v50
	s_or_b32 exec_lo, exec_lo, s0
	s_and_saveexec_b32 s0, vcc_lo
	s_cbranch_execz .LBB61_134
.LBB61_239:
	ds_read_b32 v50, v48 offset:48
	s_waitcnt lgkmcnt(0)
	v_add_f32_e32 v3, v3, v50
	s_or_b32 exec_lo, exec_lo, s0
	s_and_saveexec_b32 s0, vcc_lo
	s_cbranch_execz .LBB61_135
.LBB61_240:
	ds_read_b32 v50, v48 offset:64
	s_waitcnt lgkmcnt(0)
	v_add_f32_e32 v4, v4, v50
	s_or_b32 exec_lo, exec_lo, s0
	s_and_saveexec_b32 s0, vcc_lo
	s_cbranch_execz .LBB61_136
.LBB61_241:
	ds_read_b32 v50, v48 offset:80
	s_waitcnt lgkmcnt(0)
	v_add_f32_e32 v5, v5, v50
	s_or_b32 exec_lo, exec_lo, s0
	s_and_saveexec_b32 s0, vcc_lo
	s_cbranch_execz .LBB61_137
.LBB61_242:
	ds_read_b32 v50, v48 offset:96
	s_waitcnt lgkmcnt(0)
	v_add_f32_e32 v6, v6, v50
	s_or_b32 exec_lo, exec_lo, s0
	s_and_saveexec_b32 s0, vcc_lo
	s_cbranch_execz .LBB61_138
.LBB61_243:
	ds_read_b32 v50, v48 offset:112
	s_waitcnt lgkmcnt(0)
	v_add_f32_e32 v7, v7, v50
	s_or_b32 exec_lo, exec_lo, s0
	s_and_saveexec_b32 s0, vcc_lo
	s_cbranch_execz .LBB61_139
.LBB61_244:
	ds_read_b32 v50, v48 offset:128
	s_waitcnt lgkmcnt(0)
	v_add_f32_e32 v8, v8, v50
	s_or_b32 exec_lo, exec_lo, s0
	s_and_saveexec_b32 s0, vcc_lo
	s_cbranch_execz .LBB61_140
.LBB61_245:
	ds_read_b32 v50, v48 offset:144
	s_waitcnt lgkmcnt(0)
	v_add_f32_e32 v9, v9, v50
	s_or_b32 exec_lo, exec_lo, s0
	s_and_saveexec_b32 s0, vcc_lo
	s_cbranch_execz .LBB61_141
.LBB61_246:
	ds_read_b32 v50, v48 offset:160
	s_waitcnt lgkmcnt(0)
	v_add_f32_e32 v10, v10, v50
	s_or_b32 exec_lo, exec_lo, s0
	s_and_saveexec_b32 s0, vcc_lo
	s_cbranch_execz .LBB61_142
.LBB61_247:
	ds_read_b32 v50, v48 offset:176
	s_waitcnt lgkmcnt(0)
	v_add_f32_e32 v11, v11, v50
	s_or_b32 exec_lo, exec_lo, s0
	s_and_saveexec_b32 s0, vcc_lo
	s_cbranch_execz .LBB61_143
.LBB61_248:
	ds_read_b32 v50, v48 offset:192
	s_waitcnt lgkmcnt(0)
	v_add_f32_e32 v12, v12, v50
	s_or_b32 exec_lo, exec_lo, s0
	s_and_saveexec_b32 s0, vcc_lo
	s_cbranch_execz .LBB61_144
.LBB61_249:
	ds_read_b32 v50, v48 offset:208
	s_waitcnt lgkmcnt(0)
	v_add_f32_e32 v13, v13, v50
	s_or_b32 exec_lo, exec_lo, s0
	s_and_saveexec_b32 s0, vcc_lo
	s_cbranch_execz .LBB61_145
.LBB61_250:
	ds_read_b32 v50, v48 offset:224
	s_waitcnt lgkmcnt(0)
	v_add_f32_e32 v14, v14, v50
	s_or_b32 exec_lo, exec_lo, s0
	s_and_saveexec_b32 s0, vcc_lo
	s_cbranch_execz .LBB61_146
.LBB61_251:
	ds_read_b32 v50, v48 offset:240
	s_waitcnt lgkmcnt(0)
	v_add_f32_e32 v15, v15, v50
	s_or_b32 exec_lo, exec_lo, s0
	s_and_saveexec_b32 s0, vcc_lo
	s_cbranch_execz .LBB61_147
.LBB61_252:
	ds_read_b32 v50, v48 offset:256
	s_waitcnt lgkmcnt(0)
	v_add_f32_e32 v16, v16, v50
	s_or_b32 exec_lo, exec_lo, s0
	s_and_saveexec_b32 s0, vcc_lo
	s_cbranch_execz .LBB61_148
.LBB61_253:
	ds_read_b32 v50, v48 offset:272
	s_waitcnt lgkmcnt(0)
	v_add_f32_e32 v17, v17, v50
	s_or_b32 exec_lo, exec_lo, s0
	s_and_saveexec_b32 s0, vcc_lo
	s_cbranch_execz .LBB61_149
.LBB61_254:
	ds_read_b32 v50, v48 offset:288
	s_waitcnt lgkmcnt(0)
	v_add_f32_e32 v18, v18, v50
	s_or_b32 exec_lo, exec_lo, s0
	s_and_saveexec_b32 s0, vcc_lo
	s_cbranch_execz .LBB61_150
.LBB61_255:
	ds_read_b32 v50, v48 offset:304
	s_waitcnt lgkmcnt(0)
	v_add_f32_e32 v19, v19, v50
	s_or_b32 exec_lo, exec_lo, s0
	s_and_saveexec_b32 s0, vcc_lo
	s_cbranch_execz .LBB61_151
.LBB61_256:
	ds_read_b32 v50, v48 offset:320
	s_waitcnt lgkmcnt(0)
	v_add_f32_e32 v20, v20, v50
	s_or_b32 exec_lo, exec_lo, s0
	s_and_saveexec_b32 s0, vcc_lo
	s_cbranch_execz .LBB61_152
.LBB61_257:
	ds_read_b32 v50, v48 offset:336
	s_waitcnt lgkmcnt(0)
	v_add_f32_e32 v21, v21, v50
	s_or_b32 exec_lo, exec_lo, s0
	s_and_saveexec_b32 s0, vcc_lo
	s_cbranch_execz .LBB61_153
.LBB61_258:
	ds_read_b32 v50, v48 offset:352
	s_waitcnt lgkmcnt(0)
	v_add_f32_e32 v22, v22, v50
	s_or_b32 exec_lo, exec_lo, s0
	s_and_saveexec_b32 s0, vcc_lo
	s_cbranch_execz .LBB61_154
.LBB61_259:
	ds_read_b32 v50, v48 offset:368
	s_waitcnt lgkmcnt(0)
	v_add_f32_e32 v23, v23, v50
	s_or_b32 exec_lo, exec_lo, s0
	s_and_saveexec_b32 s0, vcc_lo
	s_cbranch_execz .LBB61_155
.LBB61_260:
	ds_read_b32 v50, v48 offset:384
	s_waitcnt lgkmcnt(0)
	v_add_f32_e32 v24, v24, v50
	s_or_b32 exec_lo, exec_lo, s0
	s_and_saveexec_b32 s0, vcc_lo
	s_cbranch_execz .LBB61_156
.LBB61_261:
	ds_read_b32 v50, v48 offset:400
	s_waitcnt lgkmcnt(0)
	v_add_f32_e32 v25, v25, v50
	s_or_b32 exec_lo, exec_lo, s0
	s_and_saveexec_b32 s0, vcc_lo
	s_cbranch_execz .LBB61_157
.LBB61_262:
	ds_read_b32 v50, v48 offset:416
	s_waitcnt lgkmcnt(0)
	v_add_f32_e32 v26, v26, v50
	s_or_b32 exec_lo, exec_lo, s0
	s_and_saveexec_b32 s0, vcc_lo
	s_cbranch_execz .LBB61_158
.LBB61_263:
	ds_read_b32 v50, v48 offset:432
	s_waitcnt lgkmcnt(0)
	v_add_f32_e32 v27, v27, v50
	s_or_b32 exec_lo, exec_lo, s0
	s_and_saveexec_b32 s0, vcc_lo
	s_cbranch_execz .LBB61_159
.LBB61_264:
	ds_read_b32 v50, v48 offset:448
	s_waitcnt lgkmcnt(0)
	v_add_f32_e32 v28, v28, v50
	s_or_b32 exec_lo, exec_lo, s0
	s_and_saveexec_b32 s0, vcc_lo
	s_cbranch_execz .LBB61_160
.LBB61_265:
	ds_read_b32 v50, v48 offset:464
	s_waitcnt lgkmcnt(0)
	v_add_f32_e32 v29, v29, v50
	s_or_b32 exec_lo, exec_lo, s0
	s_and_saveexec_b32 s0, vcc_lo
	s_cbranch_execz .LBB61_161
.LBB61_266:
	ds_read_b32 v50, v48 offset:480
	s_waitcnt lgkmcnt(0)
	v_add_f32_e32 v30, v30, v50
	s_or_b32 exec_lo, exec_lo, s0
	s_and_saveexec_b32 s0, vcc_lo
	s_cbranch_execz .LBB61_162
.LBB61_267:
	ds_read_b32 v50, v48 offset:496
	s_waitcnt lgkmcnt(0)
	v_add_f32_e32 v31, v31, v50
	s_or_b32 exec_lo, exec_lo, s0
	s_and_saveexec_b32 s0, vcc_lo
	s_cbranch_execz .LBB61_163
.LBB61_268:
	ds_read_b32 v50, v48 offset:512
	s_waitcnt lgkmcnt(0)
	v_add_f32_e32 v32, v32, v50
	s_or_b32 exec_lo, exec_lo, s0
	s_and_saveexec_b32 s0, vcc_lo
	s_cbranch_execz .LBB61_164
.LBB61_269:
	ds_read_b32 v50, v48 offset:528
	s_waitcnt lgkmcnt(0)
	v_add_f32_e32 v33, v33, v50
	s_or_b32 exec_lo, exec_lo, s0
	s_and_saveexec_b32 s0, vcc_lo
	s_cbranch_execz .LBB61_165
.LBB61_270:
	ds_read_b32 v50, v48 offset:544
	s_waitcnt lgkmcnt(0)
	v_add_f32_e32 v34, v34, v50
	s_or_b32 exec_lo, exec_lo, s0
	s_and_saveexec_b32 s0, vcc_lo
	s_cbranch_execz .LBB61_166
.LBB61_271:
	ds_read_b32 v50, v48 offset:560
	s_waitcnt lgkmcnt(0)
	v_add_f32_e32 v35, v35, v50
	s_or_b32 exec_lo, exec_lo, s0
	s_and_saveexec_b32 s0, vcc_lo
	s_cbranch_execz .LBB61_167
.LBB61_272:
	ds_read_b32 v50, v48 offset:576
	s_waitcnt lgkmcnt(0)
	v_add_f32_e32 v36, v36, v50
	s_or_b32 exec_lo, exec_lo, s0
	s_and_saveexec_b32 s0, vcc_lo
	s_cbranch_execz .LBB61_168
.LBB61_273:
	ds_read_b32 v50, v48 offset:592
	s_waitcnt lgkmcnt(0)
	v_add_f32_e32 v37, v37, v50
	s_or_b32 exec_lo, exec_lo, s0
	s_and_saveexec_b32 s0, vcc_lo
	s_cbranch_execz .LBB61_169
.LBB61_274:
	ds_read_b32 v50, v48 offset:608
	s_waitcnt lgkmcnt(0)
	v_add_f32_e32 v38, v38, v50
	s_or_b32 exec_lo, exec_lo, s0
	s_and_saveexec_b32 s0, vcc_lo
	s_cbranch_execz .LBB61_170
.LBB61_275:
	ds_read_b32 v50, v48 offset:624
	s_waitcnt lgkmcnt(0)
	v_add_f32_e32 v39, v39, v50
	s_or_b32 exec_lo, exec_lo, s0
	s_and_saveexec_b32 s0, vcc_lo
	s_cbranch_execz .LBB61_171
.LBB61_276:
	ds_read_b32 v50, v48 offset:640
	s_waitcnt lgkmcnt(0)
	v_add_f32_e32 v40, v40, v50
	s_or_b32 exec_lo, exec_lo, s0
	s_and_saveexec_b32 s0, vcc_lo
	s_cbranch_execz .LBB61_172
.LBB61_277:
	ds_read_b32 v50, v48 offset:656
	s_waitcnt lgkmcnt(0)
	v_add_f32_e32 v41, v41, v50
	s_or_b32 exec_lo, exec_lo, s0
	s_and_saveexec_b32 s0, vcc_lo
	s_cbranch_execz .LBB61_173
.LBB61_278:
	ds_read_b32 v50, v48 offset:672
	s_waitcnt lgkmcnt(0)
	v_add_f32_e32 v42, v42, v50
	s_or_b32 exec_lo, exec_lo, s0
	s_and_saveexec_b32 s0, vcc_lo
	s_cbranch_execz .LBB61_174
.LBB61_279:
	ds_read_b32 v50, v48 offset:688
	s_waitcnt lgkmcnt(0)
	v_add_f32_e32 v43, v43, v50
	s_or_b32 exec_lo, exec_lo, s0
	s_and_saveexec_b32 s0, vcc_lo
	s_cbranch_execz .LBB61_175
.LBB61_280:
	ds_read_b32 v50, v48 offset:704
	s_waitcnt lgkmcnt(0)
	v_add_f32_e32 v44, v44, v50
	s_or_b32 exec_lo, exec_lo, s0
	s_and_saveexec_b32 s0, vcc_lo
	s_cbranch_execz .LBB61_176
.LBB61_281:
	ds_read_b32 v50, v48 offset:720
	s_waitcnt lgkmcnt(0)
	v_add_f32_e32 v45, v45, v50
	s_or_b32 exec_lo, exec_lo, s0
	s_and_saveexec_b32 s0, vcc_lo
	s_cbranch_execz .LBB61_177
.LBB61_282:
	ds_read_b32 v50, v48 offset:736
	s_waitcnt lgkmcnt(0)
	v_add_f32_e32 v46, v46, v50
	s_or_b32 exec_lo, exec_lo, s0
	s_and_saveexec_b32 s0, vcc_lo
	s_cbranch_execnz .LBB61_178
	s_branch .LBB61_179
.LBB61_283:
	ds_read_b32 v49, v48
	s_waitcnt lgkmcnt(0)
	v_add_f32_e32 v0, v0, v49
	s_or_b32 exec_lo, exec_lo, s0
	s_and_saveexec_b32 s0, vcc_lo
	s_cbranch_execz .LBB61_185
.LBB61_284:
	ds_read_b32 v49, v48 offset:16
	s_waitcnt lgkmcnt(0)
	v_add_f32_e32 v1, v1, v49
	s_or_b32 exec_lo, exec_lo, s0
	s_and_saveexec_b32 s0, vcc_lo
	s_cbranch_execz .LBB61_186
.LBB61_285:
	ds_read_b32 v49, v48 offset:32
	s_waitcnt lgkmcnt(0)
	v_add_f32_e32 v2, v2, v49
	s_or_b32 exec_lo, exec_lo, s0
	s_and_saveexec_b32 s0, vcc_lo
	s_cbranch_execz .LBB61_187
.LBB61_286:
	ds_read_b32 v49, v48 offset:48
	s_waitcnt lgkmcnt(0)
	v_add_f32_e32 v3, v3, v49
	s_or_b32 exec_lo, exec_lo, s0
	s_and_saveexec_b32 s0, vcc_lo
	s_cbranch_execz .LBB61_188
.LBB61_287:
	ds_read_b32 v49, v48 offset:64
	s_waitcnt lgkmcnt(0)
	v_add_f32_e32 v4, v4, v49
	s_or_b32 exec_lo, exec_lo, s0
	s_and_saveexec_b32 s0, vcc_lo
	s_cbranch_execz .LBB61_189
.LBB61_288:
	ds_read_b32 v49, v48 offset:80
	s_waitcnt lgkmcnt(0)
	v_add_f32_e32 v5, v5, v49
	s_or_b32 exec_lo, exec_lo, s0
	s_and_saveexec_b32 s0, vcc_lo
	s_cbranch_execz .LBB61_190
.LBB61_289:
	ds_read_b32 v49, v48 offset:96
	s_waitcnt lgkmcnt(0)
	v_add_f32_e32 v6, v6, v49
	s_or_b32 exec_lo, exec_lo, s0
	s_and_saveexec_b32 s0, vcc_lo
	s_cbranch_execz .LBB61_191
.LBB61_290:
	ds_read_b32 v49, v48 offset:112
	s_waitcnt lgkmcnt(0)
	v_add_f32_e32 v7, v7, v49
	s_or_b32 exec_lo, exec_lo, s0
	s_and_saveexec_b32 s0, vcc_lo
	s_cbranch_execz .LBB61_192
.LBB61_291:
	ds_read_b32 v49, v48 offset:128
	s_waitcnt lgkmcnt(0)
	v_add_f32_e32 v8, v8, v49
	s_or_b32 exec_lo, exec_lo, s0
	s_and_saveexec_b32 s0, vcc_lo
	s_cbranch_execz .LBB61_193
.LBB61_292:
	ds_read_b32 v49, v48 offset:144
	s_waitcnt lgkmcnt(0)
	v_add_f32_e32 v9, v9, v49
	s_or_b32 exec_lo, exec_lo, s0
	s_and_saveexec_b32 s0, vcc_lo
	s_cbranch_execz .LBB61_194
.LBB61_293:
	ds_read_b32 v49, v48 offset:160
	s_waitcnt lgkmcnt(0)
	v_add_f32_e32 v10, v10, v49
	s_or_b32 exec_lo, exec_lo, s0
	s_and_saveexec_b32 s0, vcc_lo
	s_cbranch_execz .LBB61_195
.LBB61_294:
	ds_read_b32 v49, v48 offset:176
	s_waitcnt lgkmcnt(0)
	v_add_f32_e32 v11, v11, v49
	s_or_b32 exec_lo, exec_lo, s0
	s_and_saveexec_b32 s0, vcc_lo
	s_cbranch_execz .LBB61_196
.LBB61_295:
	ds_read_b32 v49, v48 offset:192
	s_waitcnt lgkmcnt(0)
	v_add_f32_e32 v12, v12, v49
	s_or_b32 exec_lo, exec_lo, s0
	s_and_saveexec_b32 s0, vcc_lo
	s_cbranch_execz .LBB61_197
.LBB61_296:
	ds_read_b32 v49, v48 offset:208
	s_waitcnt lgkmcnt(0)
	v_add_f32_e32 v13, v13, v49
	s_or_b32 exec_lo, exec_lo, s0
	s_and_saveexec_b32 s0, vcc_lo
	s_cbranch_execz .LBB61_198
.LBB61_297:
	ds_read_b32 v49, v48 offset:224
	s_waitcnt lgkmcnt(0)
	v_add_f32_e32 v14, v14, v49
	s_or_b32 exec_lo, exec_lo, s0
	s_and_saveexec_b32 s0, vcc_lo
	s_cbranch_execz .LBB61_199
.LBB61_298:
	ds_read_b32 v49, v48 offset:240
	s_waitcnt lgkmcnt(0)
	v_add_f32_e32 v15, v15, v49
	s_or_b32 exec_lo, exec_lo, s0
	s_and_saveexec_b32 s0, vcc_lo
	s_cbranch_execz .LBB61_200
.LBB61_299:
	ds_read_b32 v49, v48 offset:256
	s_waitcnt lgkmcnt(0)
	v_add_f32_e32 v16, v16, v49
	s_or_b32 exec_lo, exec_lo, s0
	s_and_saveexec_b32 s0, vcc_lo
	s_cbranch_execz .LBB61_201
.LBB61_300:
	ds_read_b32 v49, v48 offset:272
	s_waitcnt lgkmcnt(0)
	v_add_f32_e32 v17, v17, v49
	s_or_b32 exec_lo, exec_lo, s0
	s_and_saveexec_b32 s0, vcc_lo
	s_cbranch_execz .LBB61_202
.LBB61_301:
	ds_read_b32 v49, v48 offset:288
	s_waitcnt lgkmcnt(0)
	v_add_f32_e32 v18, v18, v49
	s_or_b32 exec_lo, exec_lo, s0
	s_and_saveexec_b32 s0, vcc_lo
	s_cbranch_execz .LBB61_203
.LBB61_302:
	ds_read_b32 v49, v48 offset:304
	s_waitcnt lgkmcnt(0)
	v_add_f32_e32 v19, v19, v49
	s_or_b32 exec_lo, exec_lo, s0
	s_and_saveexec_b32 s0, vcc_lo
	s_cbranch_execz .LBB61_204
.LBB61_303:
	ds_read_b32 v49, v48 offset:320
	s_waitcnt lgkmcnt(0)
	v_add_f32_e32 v20, v20, v49
	s_or_b32 exec_lo, exec_lo, s0
	s_and_saveexec_b32 s0, vcc_lo
	s_cbranch_execz .LBB61_205
.LBB61_304:
	ds_read_b32 v49, v48 offset:336
	s_waitcnt lgkmcnt(0)
	v_add_f32_e32 v21, v21, v49
	s_or_b32 exec_lo, exec_lo, s0
	s_and_saveexec_b32 s0, vcc_lo
	s_cbranch_execz .LBB61_206
.LBB61_305:
	ds_read_b32 v49, v48 offset:352
	s_waitcnt lgkmcnt(0)
	v_add_f32_e32 v22, v22, v49
	s_or_b32 exec_lo, exec_lo, s0
	s_and_saveexec_b32 s0, vcc_lo
	s_cbranch_execz .LBB61_207
.LBB61_306:
	ds_read_b32 v49, v48 offset:368
	s_waitcnt lgkmcnt(0)
	v_add_f32_e32 v23, v23, v49
	s_or_b32 exec_lo, exec_lo, s0
	s_and_saveexec_b32 s0, vcc_lo
	s_cbranch_execz .LBB61_208
.LBB61_307:
	ds_read_b32 v49, v48 offset:384
	s_waitcnt lgkmcnt(0)
	v_add_f32_e32 v24, v24, v49
	s_or_b32 exec_lo, exec_lo, s0
	s_and_saveexec_b32 s0, vcc_lo
	s_cbranch_execz .LBB61_209
.LBB61_308:
	ds_read_b32 v49, v48 offset:400
	s_waitcnt lgkmcnt(0)
	v_add_f32_e32 v25, v25, v49
	s_or_b32 exec_lo, exec_lo, s0
	s_and_saveexec_b32 s0, vcc_lo
	s_cbranch_execz .LBB61_210
.LBB61_309:
	ds_read_b32 v49, v48 offset:416
	s_waitcnt lgkmcnt(0)
	v_add_f32_e32 v26, v26, v49
	s_or_b32 exec_lo, exec_lo, s0
	s_and_saveexec_b32 s0, vcc_lo
	s_cbranch_execz .LBB61_211
.LBB61_310:
	ds_read_b32 v49, v48 offset:432
	s_waitcnt lgkmcnt(0)
	v_add_f32_e32 v27, v27, v49
	s_or_b32 exec_lo, exec_lo, s0
	s_and_saveexec_b32 s0, vcc_lo
	s_cbranch_execz .LBB61_212
.LBB61_311:
	ds_read_b32 v49, v48 offset:448
	s_waitcnt lgkmcnt(0)
	v_add_f32_e32 v28, v28, v49
	s_or_b32 exec_lo, exec_lo, s0
	s_and_saveexec_b32 s0, vcc_lo
	s_cbranch_execz .LBB61_213
.LBB61_312:
	ds_read_b32 v49, v48 offset:464
	s_waitcnt lgkmcnt(0)
	v_add_f32_e32 v29, v29, v49
	s_or_b32 exec_lo, exec_lo, s0
	s_and_saveexec_b32 s0, vcc_lo
	s_cbranch_execz .LBB61_214
.LBB61_313:
	ds_read_b32 v49, v48 offset:480
	s_waitcnt lgkmcnt(0)
	v_add_f32_e32 v30, v30, v49
	s_or_b32 exec_lo, exec_lo, s0
	s_and_saveexec_b32 s0, vcc_lo
	s_cbranch_execz .LBB61_215
.LBB61_314:
	ds_read_b32 v49, v48 offset:496
	s_waitcnt lgkmcnt(0)
	v_add_f32_e32 v31, v31, v49
	s_or_b32 exec_lo, exec_lo, s0
	s_and_saveexec_b32 s0, vcc_lo
	s_cbranch_execz .LBB61_216
.LBB61_315:
	ds_read_b32 v49, v48 offset:512
	s_waitcnt lgkmcnt(0)
	v_add_f32_e32 v32, v32, v49
	s_or_b32 exec_lo, exec_lo, s0
	s_and_saveexec_b32 s0, vcc_lo
	s_cbranch_execz .LBB61_217
.LBB61_316:
	ds_read_b32 v49, v48 offset:528
	s_waitcnt lgkmcnt(0)
	v_add_f32_e32 v33, v33, v49
	s_or_b32 exec_lo, exec_lo, s0
	s_and_saveexec_b32 s0, vcc_lo
	s_cbranch_execz .LBB61_218
.LBB61_317:
	ds_read_b32 v49, v48 offset:544
	s_waitcnt lgkmcnt(0)
	v_add_f32_e32 v34, v34, v49
	s_or_b32 exec_lo, exec_lo, s0
	s_and_saveexec_b32 s0, vcc_lo
	s_cbranch_execz .LBB61_219
.LBB61_318:
	ds_read_b32 v49, v48 offset:560
	s_waitcnt lgkmcnt(0)
	v_add_f32_e32 v35, v35, v49
	s_or_b32 exec_lo, exec_lo, s0
	s_and_saveexec_b32 s0, vcc_lo
	s_cbranch_execz .LBB61_220
.LBB61_319:
	ds_read_b32 v49, v48 offset:576
	s_waitcnt lgkmcnt(0)
	v_add_f32_e32 v36, v36, v49
	s_or_b32 exec_lo, exec_lo, s0
	s_and_saveexec_b32 s0, vcc_lo
	s_cbranch_execz .LBB61_221
.LBB61_320:
	ds_read_b32 v49, v48 offset:592
	s_waitcnt lgkmcnt(0)
	v_add_f32_e32 v37, v37, v49
	s_or_b32 exec_lo, exec_lo, s0
	s_and_saveexec_b32 s0, vcc_lo
	s_cbranch_execz .LBB61_222
.LBB61_321:
	ds_read_b32 v49, v48 offset:608
	s_waitcnt lgkmcnt(0)
	v_add_f32_e32 v38, v38, v49
	s_or_b32 exec_lo, exec_lo, s0
	s_and_saveexec_b32 s0, vcc_lo
	s_cbranch_execz .LBB61_223
.LBB61_322:
	ds_read_b32 v49, v48 offset:624
	s_waitcnt lgkmcnt(0)
	v_add_f32_e32 v39, v39, v49
	s_or_b32 exec_lo, exec_lo, s0
	s_and_saveexec_b32 s0, vcc_lo
	s_cbranch_execz .LBB61_224
.LBB61_323:
	ds_read_b32 v49, v48 offset:640
	s_waitcnt lgkmcnt(0)
	v_add_f32_e32 v40, v40, v49
	s_or_b32 exec_lo, exec_lo, s0
	s_and_saveexec_b32 s0, vcc_lo
	s_cbranch_execz .LBB61_225
.LBB61_324:
	ds_read_b32 v49, v48 offset:656
	s_waitcnt lgkmcnt(0)
	v_add_f32_e32 v41, v41, v49
	s_or_b32 exec_lo, exec_lo, s0
	s_and_saveexec_b32 s0, vcc_lo
	s_cbranch_execz .LBB61_226
.LBB61_325:
	ds_read_b32 v49, v48 offset:672
	s_waitcnt lgkmcnt(0)
	v_add_f32_e32 v42, v42, v49
	s_or_b32 exec_lo, exec_lo, s0
	s_and_saveexec_b32 s0, vcc_lo
	s_cbranch_execz .LBB61_227
.LBB61_326:
	ds_read_b32 v49, v48 offset:688
	s_waitcnt lgkmcnt(0)
	v_add_f32_e32 v43, v43, v49
	s_or_b32 exec_lo, exec_lo, s0
	s_and_saveexec_b32 s0, vcc_lo
	s_cbranch_execz .LBB61_228
.LBB61_327:
	ds_read_b32 v49, v48 offset:704
	s_waitcnt lgkmcnt(0)
	v_add_f32_e32 v44, v44, v49
	s_or_b32 exec_lo, exec_lo, s0
	s_and_saveexec_b32 s0, vcc_lo
	s_cbranch_execz .LBB61_229
.LBB61_328:
	ds_read_b32 v49, v48 offset:720
	s_waitcnt lgkmcnt(0)
	v_add_f32_e32 v45, v45, v49
	s_or_b32 exec_lo, exec_lo, s0
	s_and_saveexec_b32 s0, vcc_lo
	s_cbranch_execz .LBB61_230
.LBB61_329:
	ds_read_b32 v49, v48 offset:736
	s_waitcnt lgkmcnt(0)
	v_add_f32_e32 v46, v46, v49
	s_or_b32 exec_lo, exec_lo, s0
	s_and_saveexec_b32 s0, vcc_lo
	s_cbranch_execnz .LBB61_231
	s_branch .LBB61_232
	.section	.rodata,"a",@progbits
	.p2align	6, 0x0
	.amdhsa_kernel _ZN4vllm25paged_attention_v2_kernelIffLi192ELi32ELi128ELNS_18Fp8KVCacheDataTypeE0ELb0ELi512EEEvPfS2_PT_PKS3_PKT0_S9_ifPKiSB_iPKfiiiSD_SD_iiiii
		.amdhsa_group_segment_fixed_size 800
		.amdhsa_private_segment_fixed_size 612
		.amdhsa_kernarg_size 400
		.amdhsa_user_sgpr_count 6
		.amdhsa_user_sgpr_private_segment_buffer 1
		.amdhsa_user_sgpr_dispatch_ptr 0
		.amdhsa_user_sgpr_queue_ptr 0
		.amdhsa_user_sgpr_kernarg_segment_ptr 1
		.amdhsa_user_sgpr_dispatch_id 0
		.amdhsa_user_sgpr_flat_scratch_init 0
		.amdhsa_user_sgpr_private_segment_size 0
		.amdhsa_wavefront_size32 1
		.amdhsa_uses_dynamic_stack 0
		.amdhsa_system_sgpr_private_segment_wavefront_offset 1
		.amdhsa_system_sgpr_workgroup_id_x 1
		.amdhsa_system_sgpr_workgroup_id_y 1
		.amdhsa_system_sgpr_workgroup_id_z 1
		.amdhsa_system_sgpr_workgroup_info 0
		.amdhsa_system_vgpr_workitem_id 0
		.amdhsa_next_free_vgpr 128
		.amdhsa_next_free_sgpr 44
		.amdhsa_reserve_vcc 1
		.amdhsa_reserve_flat_scratch 0
		.amdhsa_float_round_mode_32 0
		.amdhsa_float_round_mode_16_64 0
		.amdhsa_float_denorm_mode_32 3
		.amdhsa_float_denorm_mode_16_64 3
		.amdhsa_dx10_clamp 1
		.amdhsa_ieee_mode 1
		.amdhsa_fp16_overflow 0
		.amdhsa_workgroup_processor_mode 1
		.amdhsa_memory_ordered 1
		.amdhsa_forward_progress 1
		.amdhsa_shared_vgpr_count 0
		.amdhsa_exception_fp_ieee_invalid_op 0
		.amdhsa_exception_fp_denorm_src 0
		.amdhsa_exception_fp_ieee_div_zero 0
		.amdhsa_exception_fp_ieee_overflow 0
		.amdhsa_exception_fp_ieee_underflow 0
		.amdhsa_exception_fp_ieee_inexact 0
		.amdhsa_exception_int_div_zero 0
	.end_amdhsa_kernel
	.section	.text._ZN4vllm25paged_attention_v2_kernelIffLi192ELi32ELi128ELNS_18Fp8KVCacheDataTypeE0ELb0ELi512EEEvPfS2_PT_PKS3_PKT0_S9_ifPKiSB_iPKfiiiSD_SD_iiiii,"axG",@progbits,_ZN4vllm25paged_attention_v2_kernelIffLi192ELi32ELi128ELNS_18Fp8KVCacheDataTypeE0ELb0ELi512EEEvPfS2_PT_PKS3_PKT0_S9_ifPKiSB_iPKfiiiSD_SD_iiiii,comdat
.Lfunc_end61:
	.size	_ZN4vllm25paged_attention_v2_kernelIffLi192ELi32ELi128ELNS_18Fp8KVCacheDataTypeE0ELb0ELi512EEEvPfS2_PT_PKS3_PKT0_S9_ifPKiSB_iPKfiiiSD_SD_iiiii, .Lfunc_end61-_ZN4vllm25paged_attention_v2_kernelIffLi192ELi32ELi128ELNS_18Fp8KVCacheDataTypeE0ELb0ELi512EEEvPfS2_PT_PKS3_PKT0_S9_ifPKiSB_iPKfiiiSD_SD_iiiii
                                        ; -- End function
	.set _ZN4vllm25paged_attention_v2_kernelIffLi192ELi32ELi128ELNS_18Fp8KVCacheDataTypeE0ELb0ELi512EEEvPfS2_PT_PKS3_PKT0_S9_ifPKiSB_iPKfiiiSD_SD_iiiii.num_vgpr, 128
	.set _ZN4vllm25paged_attention_v2_kernelIffLi192ELi32ELi128ELNS_18Fp8KVCacheDataTypeE0ELb0ELi512EEEvPfS2_PT_PKS3_PKT0_S9_ifPKiSB_iPKfiiiSD_SD_iiiii.num_agpr, 0
	.set _ZN4vllm25paged_attention_v2_kernelIffLi192ELi32ELi128ELNS_18Fp8KVCacheDataTypeE0ELb0ELi512EEEvPfS2_PT_PKS3_PKT0_S9_ifPKiSB_iPKfiiiSD_SD_iiiii.numbered_sgpr, 44
	.set _ZN4vllm25paged_attention_v2_kernelIffLi192ELi32ELi128ELNS_18Fp8KVCacheDataTypeE0ELb0ELi512EEEvPfS2_PT_PKS3_PKT0_S9_ifPKiSB_iPKfiiiSD_SD_iiiii.num_named_barrier, 0
	.set _ZN4vllm25paged_attention_v2_kernelIffLi192ELi32ELi128ELNS_18Fp8KVCacheDataTypeE0ELb0ELi512EEEvPfS2_PT_PKS3_PKT0_S9_ifPKiSB_iPKfiiiSD_SD_iiiii.private_seg_size, 612
	.set _ZN4vllm25paged_attention_v2_kernelIffLi192ELi32ELi128ELNS_18Fp8KVCacheDataTypeE0ELb0ELi512EEEvPfS2_PT_PKS3_PKT0_S9_ifPKiSB_iPKfiiiSD_SD_iiiii.uses_vcc, 1
	.set _ZN4vllm25paged_attention_v2_kernelIffLi192ELi32ELi128ELNS_18Fp8KVCacheDataTypeE0ELb0ELi512EEEvPfS2_PT_PKS3_PKT0_S9_ifPKiSB_iPKfiiiSD_SD_iiiii.uses_flat_scratch, 0
	.set _ZN4vllm25paged_attention_v2_kernelIffLi192ELi32ELi128ELNS_18Fp8KVCacheDataTypeE0ELb0ELi512EEEvPfS2_PT_PKS3_PKT0_S9_ifPKiSB_iPKfiiiSD_SD_iiiii.has_dyn_sized_stack, 0
	.set _ZN4vllm25paged_attention_v2_kernelIffLi192ELi32ELi128ELNS_18Fp8KVCacheDataTypeE0ELb0ELi512EEEvPfS2_PT_PKS3_PKT0_S9_ifPKiSB_iPKfiiiSD_SD_iiiii.has_recursion, 0
	.set _ZN4vllm25paged_attention_v2_kernelIffLi192ELi32ELi128ELNS_18Fp8KVCacheDataTypeE0ELb0ELi512EEEvPfS2_PT_PKS3_PKT0_S9_ifPKiSB_iPKfiiiSD_SD_iiiii.has_indirect_call, 0
	.section	.AMDGPU.csdata,"",@progbits
; Kernel info:
; codeLenInByte = 25140
; TotalNumSgprs: 46
; NumVgprs: 128
; ScratchSize: 612
; MemoryBound: 0
; FloatMode: 240
; IeeeMode: 1
; LDSByteSize: 800 bytes/workgroup (compile time only)
; SGPRBlocks: 0
; VGPRBlocks: 15
; NumSGPRsForWavesPerEU: 46
; NumVGPRsForWavesPerEU: 128
; Occupancy: 8
; WaveLimiterHint : 1
; COMPUTE_PGM_RSRC2:SCRATCH_EN: 1
; COMPUTE_PGM_RSRC2:USER_SGPR: 6
; COMPUTE_PGM_RSRC2:TRAP_HANDLER: 0
; COMPUTE_PGM_RSRC2:TGID_X_EN: 1
; COMPUTE_PGM_RSRC2:TGID_Y_EN: 1
; COMPUTE_PGM_RSRC2:TGID_Z_EN: 1
; COMPUTE_PGM_RSRC2:TIDIG_COMP_CNT: 0
	.section	.text._ZN4vllm25paged_attention_v2_kernelIffLi256ELi32ELi128ELNS_18Fp8KVCacheDataTypeE0ELb0ELi512EEEvPfS2_PT_PKS3_PKT0_S9_ifPKiSB_iPKfiiiSD_SD_iiiii,"axG",@progbits,_ZN4vllm25paged_attention_v2_kernelIffLi256ELi32ELi128ELNS_18Fp8KVCacheDataTypeE0ELb0ELi512EEEvPfS2_PT_PKS3_PKT0_S9_ifPKiSB_iPKfiiiSD_SD_iiiii,comdat
	.protected	_ZN4vllm25paged_attention_v2_kernelIffLi256ELi32ELi128ELNS_18Fp8KVCacheDataTypeE0ELb0ELi512EEEvPfS2_PT_PKS3_PKT0_S9_ifPKiSB_iPKfiiiSD_SD_iiiii ; -- Begin function _ZN4vllm25paged_attention_v2_kernelIffLi256ELi32ELi128ELNS_18Fp8KVCacheDataTypeE0ELb0ELi512EEEvPfS2_PT_PKS3_PKT0_S9_ifPKiSB_iPKfiiiSD_SD_iiiii
	.globl	_ZN4vllm25paged_attention_v2_kernelIffLi256ELi32ELi128ELNS_18Fp8KVCacheDataTypeE0ELb0ELi512EEEvPfS2_PT_PKS3_PKT0_S9_ifPKiSB_iPKfiiiSD_SD_iiiii
	.p2align	8
	.type	_ZN4vllm25paged_attention_v2_kernelIffLi256ELi32ELi128ELNS_18Fp8KVCacheDataTypeE0ELb0ELi512EEEvPfS2_PT_PKS3_PKT0_S9_ifPKiSB_iPKfiiiSD_SD_iiiii,@function
_ZN4vllm25paged_attention_v2_kernelIffLi256ELi32ELi128ELNS_18Fp8KVCacheDataTypeE0ELb0ELi512EEEvPfS2_PT_PKS3_PKT0_S9_ifPKiSB_iPKfiiiSD_SD_iiiii: ; @_ZN4vllm25paged_attention_v2_kernelIffLi256ELi32ELi128ELNS_18Fp8KVCacheDataTypeE0ELb0ELi512EEEvPfS2_PT_PKS3_PKT0_S9_ifPKiSB_iPKfiiiSD_SD_iiiii
; %bb.0:
	s_mov_b64 s[42:43], s[2:3]
	s_mov_b64 s[40:41], s[0:1]
	s_load_dwordx2 s[0:1], s[4:5], 0x40
	s_add_u32 s40, s40, s9
	s_addc_u32 s41, s41, 0
	s_mov_b32 s26, s7
	s_ashr_i32 s27, s7, 31
	s_lshl_b64 s[2:3], s[26:27], 2
	s_waitcnt lgkmcnt(0)
	s_add_u32 s0, s0, s2
	s_addc_u32 s1, s1, s3
	s_lshl_b32 s33, s8, 9
	s_load_dword s27, s[0:1], 0x0
	s_waitcnt lgkmcnt(0)
	s_cmp_ge_i32 s33, s27
	s_cbranch_scc1 .LBB62_299
; %bb.1:
	s_clause 0x1
	s_load_dword s9, s[4:5], 0x90
	s_load_dwordx2 s[30:31], s[4:5], 0x30
	s_mov_b32 s34, 0
	s_waitcnt lgkmcnt(0)
	s_abs_i32 s3, s9
	s_abs_i32 s0, s30
	v_cvt_f32_u32_e32 v1, s0
	s_sub_i32 s2, 0, s0
	v_rcp_iflag_f32_e32 v1, v1
	v_mul_f32_e32 v1, 0x4f7ffffe, v1
	v_cvt_u32_f32_e32 v1, v1
	v_readfirstlane_b32 s1, v1
	s_mul_i32 s2, s2, s1
	s_mul_hi_u32 s2, s1, s2
	s_add_i32 s1, s1, s2
	s_xor_b32 s2, s9, s30
	s_mul_hi_u32 s1, s3, s1
	s_ashr_i32 s2, s2, 31
	s_mul_i32 s7, s1, s0
	s_sub_i32 s3, s3, s7
	s_add_i32 s7, s1, 1
	s_sub_i32 s10, s3, s0
	s_cmp_ge_u32 s3, s0
	s_cselect_b32 s1, s7, s1
	s_cselect_b32 s3, s10, s3
	s_add_i32 s7, s1, 1
	s_cmp_ge_u32 s3, s0
	s_cselect_b32 s0, s7, s1
	s_abs_i32 s28, s6
	s_xor_b32 s0, s0, s2
	s_sub_i32 s10, s0, s2
	s_load_dwordx2 s[0:1], s[4:5], 0x50
	s_abs_i32 s2, s10
	v_cvt_f32_u32_e32 v1, s2
	s_sub_i32 s7, 0, s2
	v_rcp_iflag_f32_e32 v1, v1
	v_mul_f32_e32 v1, 0x4f7ffffe, v1
	v_cvt_u32_f32_e32 v1, v1
	v_readfirstlane_b32 s3, v1
	s_mul_i32 s7, s7, s3
	s_mul_hi_u32 s7, s3, s7
	s_add_i32 s3, s3, s7
	s_waitcnt lgkmcnt(0)
	s_cmp_eq_u64 s[0:1], 0
	s_mul_hi_u32 s3, s28, s3
	s_cbranch_scc1 .LBB62_3
; %bb.2:
	s_ashr_i32 s7, s6, 31
	s_lshl_b64 s[12:13], s[6:7], 2
	s_add_u32 s0, s0, s12
	s_addc_u32 s1, s1, s13
	s_load_dword s34, s[0:1], 0x0
.LBB62_3:
	s_clause 0x1
	s_load_dwordx2 s[24:25], s[4:5], 0x38
	s_load_dwordx4 s[12:15], s[4:5], 0x58
	v_cmp_gt_u32_e64 s0, 64, v0
	s_ashr_i32 s1, s6, 31
	s_waitcnt lgkmcnt(0)
	s_ashr_i32 s15, s10, 31
	s_lshl_b32 s10, s6, 8
	s_mov_b32 s7, exec_lo
	s_and_b32 s11, s7, s0
	buffer_store_dword v0, off, s[40:43], 0 offset:896 ; 4-byte Folded Spill
	s_mov_b32 exec_lo, s11
	s_cbranch_execz .LBB62_5
; %bb.4:
	s_load_dwordx2 s[16:17], s[4:5], 0x18
	s_mul_i32 s18, s12, s26
	v_lshlrev_b32_e32 v4, 4, v0
	s_ashr_i32 s19, s18, 31
	s_lshl_b64 s[18:19], s[18:19], 2
	s_waitcnt lgkmcnt(0)
	s_add_u32 s12, s16, s18
	s_addc_u32 s18, s17, s19
	s_ashr_i32 s11, s10, 31
	s_lshl_b64 s[16:17], s[10:11], 2
	s_add_u32 s16, s12, s16
	s_addc_u32 s17, s18, s17
	global_load_dwordx4 v[0:3], v4, s[16:17]
	s_waitcnt vmcnt(0)
	ds_write_b128 v4, v[0:3]
	buffer_load_dword v0, off, s[40:43], 0 offset:896 ; 4-byte Folded Reload
.LBB62_5:
	s_or_b32 exec_lo, exec_lo, s7
	s_add_i32 s7, s27, 31
	s_clause 0x1
	s_load_dwordx4 s[16:19], s[4:5], 0x0
	s_load_dwordx2 s[20:21], s[4:5], 0x10
	s_ashr_i32 s11, s7, 31
	s_lshl_b32 s12, s8, 4
	s_lshr_b32 s11, s11, 27
	s_mul_i32 s35, s3, s2
	s_add_i32 s7, s7, s11
	s_add_i32 s11, s12, 16
	s_ashr_i32 s30, s7, 5
	s_clause 0x2
	s_load_dwordx2 s[22:23], s[4:5], 0x28
	s_load_dword s7, s[4:5], 0x98
	s_load_dword s29, s[4:5], 0x48
	s_xor_b32 s1, s1, s15
	s_sub_i32 s15, s28, s35
	s_min_i32 s11, s11, s30
	s_add_i32 s28, s3, 1
	s_sub_i32 s35, s15, s2
	s_cmp_ge_u32 s15, s2
	s_waitcnt vmcnt(0)
	v_lshrrev_b32_e32 v1, 5, v0
	s_cselect_b32 s3, s28, s3
	s_cselect_b32 s15, s35, s15
	s_add_i32 s28, s3, 1
	s_cmp_ge_u32 s15, s2
	v_add_nc_u32_e32 v12, s12, v1
	v_and_b32_e32 v0, 31, v0
	s_cselect_b32 s2, s28, s3
	v_mov_b32_e32 v11, 0xff7fffff
	s_xor_b32 s2, s2, s1
	buffer_store_dword v1, off, s[40:43], 0 offset:908 ; 4-byte Folded Spill
	s_sub_i32 s2, s2, s1
	v_cmp_gt_i32_e64 s1, s11, v12
	v_lshlrev_b32_e32 v13, 2, v0
	s_waitcnt lgkmcnt(0)
	s_mul_i32 s28, s29, s26
	s_mul_i32 s14, s2, s14
	s_ashr_i32 s29, s28, 31
	s_waitcnt_vscnt null, 0x0
	buffer_store_dword v0, off, s[40:43], 0 offset:904 ; 4-byte Folded Spill
	s_barrier
	s_waitcnt_vscnt null, 0x0
	buffer_gl0_inv
	s_and_saveexec_b32 s35, s1
	s_cbranch_execz .LBB62_9
; %bb.6:
	buffer_load_dword v10, off, s[40:43], 0 offset:904 ; 4-byte Folded Reload
	s_load_dwordx2 s[2:3], s[4:5], 0x20
	s_ashr_i32 s15, s14, 31
	v_mov_b32_e32 v5, 0
	s_lshl_b64 s[36:37], s[14:15], 2
	v_cmp_neq_f32_e64 vcc_lo, s34, 0
	v_mov_b32_e32 v11, 0xff7fffff
	s_mov_b32 s4, s13
	s_mov_b32 s5, 0
	s_waitcnt lgkmcnt(0)
	s_add_u32 s2, s2, s36
	s_addc_u32 s3, s3, s37
	s_sub_i32 s15, 1, s27
	s_waitcnt vmcnt(0)
	v_lshlrev_b32_e32 v0, 4, v10
	v_add_co_u32 v0, s2, s2, v0
	buffer_store_dword v0, off, s[40:43], 0 ; 4-byte Folded Spill
	v_add_co_ci_u32_e64 v0, null, s3, 0, s2
	s_lshl_b64 s[2:3], s[28:29], 2
	s_add_u32 s2, s24, s2
	buffer_store_dword v0, off, s[40:43], 0 offset:16 ; 4-byte Folded Spill
	ds_read_b128 v[0:3], v5
	s_addc_u32 s3, s25, s3
	s_waitcnt lgkmcnt(0)
	buffer_store_dword v0, off, s[40:43], 0 offset:32 ; 4-byte Folded Spill
	buffer_store_dword v1, off, s[40:43], 0 offset:36 ; 4-byte Folded Spill
	buffer_store_dword v2, off, s[40:43], 0 offset:40 ; 4-byte Folded Spill
	buffer_store_dword v3, off, s[40:43], 0 offset:44 ; 4-byte Folded Spill
	ds_read_b128 v[0:3], v5 offset:16
	s_waitcnt lgkmcnt(0)
	buffer_store_dword v0, off, s[40:43], 0 offset:48 ; 4-byte Folded Spill
	buffer_store_dword v1, off, s[40:43], 0 offset:52 ; 4-byte Folded Spill
	buffer_store_dword v2, off, s[40:43], 0 offset:56 ; 4-byte Folded Spill
	buffer_store_dword v3, off, s[40:43], 0 offset:60 ; 4-byte Folded Spill
	ds_read_b128 v[0:3], v5 offset:32
	;; [unrolled: 6-line block ×38, first 2 shown]
	ds_read_b128 v[33:36], v5 offset:624
	ds_read_b128 v[37:40], v5 offset:640
	;; [unrolled: 1-line block ×25, first 2 shown]
	buffer_load_dword v9, off, s[40:43], 0 offset:908 ; 4-byte Folded Reload
	buffer_store_dword v13, off, s[40:43], 0 offset:648 ; 4-byte Folded Spill
	s_waitcnt vmcnt(0)
	v_lshlrev_b32_e32 v0, 5, v9
	v_add3_u32 v125, s33, v0, v10
	v_lshl_or_b32 v0, v9, 7, v13
	v_ashrrev_i32_e32 v13, 31, v12
	v_add_nc_u32_e32 v0, 0x420, v0
	v_lshlrev_b64 v[9:10], 2, v[12:13]
	v_add_co_u32 v126, s2, s2, v9
	v_add_co_ci_u32_e64 v127, null, s3, v10, s2
	v_mov_b32_e32 v9, v12
	buffer_store_dword v9, off, s[40:43], 0 offset:544 ; 4-byte Folded Spill
	buffer_store_dword v10, off, s[40:43], 0 offset:548 ; 4-byte Folded Spill
.LBB62_7:                               ; =>This Inner Loop Header: Depth=1
	global_load_dword v9, v[126:127], off
	buffer_load_dword v13, off, s[40:43], 0 ; 4-byte Folded Reload
	v_add_nc_u32_e32 v12, 4, v12
	v_cmp_le_i32_e64 s3, s11, v12
	s_or_b32 s5, s3, s5
	s_waitcnt vmcnt(1)
	v_mad_i64_i32 v[9:10], null, v9, s4, 0
	v_lshlrev_b64 v[9:10], 2, v[9:10]
	s_waitcnt vmcnt(0)
	v_add_co_u32 v9, s2, v13, v9
	buffer_load_dword v13, off, s[40:43], 0 offset:16 ; 4-byte Folded Reload
	s_waitcnt vmcnt(0)
	v_add_co_ci_u32_e64 v10, null, v13, v10, s2
	global_load_dwordx4 v[13:16], v[9:10], off offset:512
	s_clause 0x3
	buffer_load_dword v17, off, s[40:43], 0 offset:48
	buffer_load_dword v18, off, s[40:43], 0 offset:52
	;; [unrolled: 1-line block ×4, first 2 shown]
	s_waitcnt vmcnt(3)
	v_mul_f32_e32 v13, v17, v13
	s_waitcnt vmcnt(2)
	v_mul_f32_e32 v14, v18, v14
	;; [unrolled: 2-line block ×4, first 2 shown]
	global_load_dwordx4 v[17:20], v[9:10], off
	s_clause 0x3
	buffer_load_dword v21, off, s[40:43], 0 offset:32
	buffer_load_dword v22, off, s[40:43], 0 offset:36
	;; [unrolled: 1-line block ×4, first 2 shown]
	s_waitcnt vmcnt(3)
	v_fmac_f32_e32 v13, v21, v17
	s_waitcnt vmcnt(2)
	v_fmac_f32_e32 v14, v22, v18
	;; [unrolled: 2-line block ×4, first 2 shown]
	global_load_dwordx4 v[17:20], v[9:10], off offset:1024
	s_clause 0x3
	buffer_load_dword v21, off, s[40:43], 0 offset:64
	buffer_load_dword v22, off, s[40:43], 0 offset:68
	;; [unrolled: 1-line block ×4, first 2 shown]
	s_waitcnt vmcnt(3)
	v_fmac_f32_e32 v13, v21, v17
	s_waitcnt vmcnt(2)
	v_fmac_f32_e32 v14, v22, v18
	;; [unrolled: 2-line block ×4, first 2 shown]
	global_load_dwordx4 v[17:20], v[9:10], off offset:1536
	s_clause 0x3
	buffer_load_dword v21, off, s[40:43], 0 offset:80
	buffer_load_dword v22, off, s[40:43], 0 offset:84
	;; [unrolled: 1-line block ×4, first 2 shown]
	s_waitcnt vmcnt(3)
	v_fmac_f32_e32 v13, v21, v17
	v_add_co_u32 v21, s2, v9, 0x1000
	s_waitcnt vmcnt(2)
	v_fmac_f32_e32 v14, v22, v18
	v_add_co_ci_u32_e64 v22, null, 0, v10, s2
	s_waitcnt vmcnt(1)
	v_fmac_f32_e32 v15, v23, v19
	s_waitcnt vmcnt(0)
	v_fmac_f32_e32 v16, v24, v20
	global_load_dwordx4 v[17:20], v[21:22], off offset:-2048
	s_clause 0x3
	buffer_load_dword v23, off, s[40:43], 0 offset:96
	buffer_load_dword v24, off, s[40:43], 0 offset:100
	;; [unrolled: 1-line block ×4, first 2 shown]
	s_waitcnt vmcnt(3)
	v_fmac_f32_e32 v13, v23, v17
	v_add_co_u32 v23, s2, 0x800, v9
	s_waitcnt vmcnt(2)
	v_fmac_f32_e32 v14, v24, v18
	v_add_co_ci_u32_e64 v24, null, 0, v10, s2
	s_waitcnt vmcnt(1)
	v_fmac_f32_e32 v15, v25, v19
	s_waitcnt vmcnt(0)
	v_fmac_f32_e32 v16, v26, v20
	global_load_dwordx4 v[17:20], v[23:24], off offset:512
	s_clause 0x3
	buffer_load_dword v25, off, s[40:43], 0 offset:112
	buffer_load_dword v26, off, s[40:43], 0 offset:116
	buffer_load_dword v27, off, s[40:43], 0 offset:120
	buffer_load_dword v28, off, s[40:43], 0 offset:124
	s_waitcnt vmcnt(3)
	v_fmac_f32_e32 v13, v25, v17
	s_waitcnt vmcnt(2)
	v_fmac_f32_e32 v14, v26, v18
	s_waitcnt vmcnt(1)
	v_fmac_f32_e32 v15, v27, v19
	s_waitcnt vmcnt(0)
	v_fmac_f32_e32 v16, v28, v20
	global_load_dwordx4 v[17:20], v[23:24], off offset:1024
	s_clause 0x3
	buffer_load_dword v25, off, s[40:43], 0 offset:128
	buffer_load_dword v26, off, s[40:43], 0 offset:132
	buffer_load_dword v27, off, s[40:43], 0 offset:136
	buffer_load_dword v28, off, s[40:43], 0 offset:140
	s_waitcnt vmcnt(3)
	v_fmac_f32_e32 v13, v25, v17
	s_waitcnt vmcnt(2)
	v_fmac_f32_e32 v14, v26, v18
	s_waitcnt vmcnt(1)
	v_fmac_f32_e32 v15, v27, v19
	s_waitcnt vmcnt(0)
	v_fmac_f32_e32 v16, v28, v20
	global_load_dwordx4 v[17:20], v[23:24], off offset:1536
	s_clause 0x3
	buffer_load_dword v23, off, s[40:43], 0 offset:144
	buffer_load_dword v24, off, s[40:43], 0 offset:148
	buffer_load_dword v25, off, s[40:43], 0 offset:152
	buffer_load_dword v26, off, s[40:43], 0 offset:156
	s_waitcnt vmcnt(3)
	v_fmac_f32_e32 v13, v23, v17
	s_waitcnt vmcnt(2)
	v_fmac_f32_e32 v14, v24, v18
	s_waitcnt vmcnt(1)
	v_fmac_f32_e32 v15, v25, v19
	s_waitcnt vmcnt(0)
	v_fmac_f32_e32 v16, v26, v20
	global_load_dwordx4 v[17:20], v[21:22], off
	s_clause 0x3
	buffer_load_dword v21, off, s[40:43], 0 offset:160
	buffer_load_dword v22, off, s[40:43], 0 offset:164
	;; [unrolled: 1-line block ×4, first 2 shown]
	s_waitcnt vmcnt(3)
	v_fmac_f32_e32 v13, v21, v17
	v_add_co_u32 v21, s2, 0x1000, v9
	s_waitcnt vmcnt(2)
	v_fmac_f32_e32 v14, v22, v18
	v_add_co_ci_u32_e64 v22, null, 0, v10, s2
	s_waitcnt vmcnt(1)
	v_fmac_f32_e32 v15, v23, v19
	s_waitcnt vmcnt(0)
	v_fmac_f32_e32 v16, v24, v20
	global_load_dwordx4 v[17:20], v[21:22], off offset:512
	s_clause 0x3
	buffer_load_dword v23, off, s[40:43], 0 offset:176
	buffer_load_dword v24, off, s[40:43], 0 offset:180
	;; [unrolled: 1-line block ×4, first 2 shown]
	s_waitcnt vmcnt(3)
	v_fmac_f32_e32 v13, v23, v17
	s_waitcnt vmcnt(2)
	v_fmac_f32_e32 v14, v24, v18
	;; [unrolled: 2-line block ×4, first 2 shown]
	global_load_dwordx4 v[17:20], v[21:22], off offset:1024
	s_clause 0x3
	buffer_load_dword v23, off, s[40:43], 0 offset:192
	buffer_load_dword v24, off, s[40:43], 0 offset:196
	;; [unrolled: 1-line block ×4, first 2 shown]
	s_waitcnt vmcnt(3)
	v_fmac_f32_e32 v13, v23, v17
	s_waitcnt vmcnt(2)
	v_fmac_f32_e32 v14, v24, v18
	;; [unrolled: 2-line block ×4, first 2 shown]
	global_load_dwordx4 v[17:20], v[21:22], off offset:1536
	s_clause 0x3
	buffer_load_dword v21, off, s[40:43], 0 offset:208
	buffer_load_dword v22, off, s[40:43], 0 offset:212
	;; [unrolled: 1-line block ×4, first 2 shown]
	s_waitcnt vmcnt(3)
	v_fmac_f32_e32 v13, v21, v17
	v_add_co_u32 v21, s2, v9, 0x2000
	s_waitcnt vmcnt(2)
	v_fmac_f32_e32 v14, v22, v18
	v_add_co_ci_u32_e64 v22, null, 0, v10, s2
	s_waitcnt vmcnt(1)
	v_fmac_f32_e32 v15, v23, v19
	s_waitcnt vmcnt(0)
	v_fmac_f32_e32 v16, v24, v20
	global_load_dwordx4 v[17:20], v[21:22], off offset:-2048
	s_clause 0x3
	buffer_load_dword v23, off, s[40:43], 0 offset:224
	buffer_load_dword v24, off, s[40:43], 0 offset:228
	;; [unrolled: 1-line block ×4, first 2 shown]
	s_waitcnt vmcnt(3)
	v_fmac_f32_e32 v13, v23, v17
	v_add_co_u32 v23, s2, 0x1800, v9
	s_waitcnt vmcnt(2)
	v_fmac_f32_e32 v14, v24, v18
	v_add_co_ci_u32_e64 v24, null, 0, v10, s2
	s_waitcnt vmcnt(1)
	v_fmac_f32_e32 v15, v25, v19
	s_waitcnt vmcnt(0)
	v_fmac_f32_e32 v16, v26, v20
	global_load_dwordx4 v[17:20], v[23:24], off offset:512
	s_clause 0x3
	buffer_load_dword v25, off, s[40:43], 0 offset:240
	buffer_load_dword v26, off, s[40:43], 0 offset:244
	buffer_load_dword v27, off, s[40:43], 0 offset:248
	buffer_load_dword v28, off, s[40:43], 0 offset:252
	s_waitcnt vmcnt(3)
	v_fmac_f32_e32 v13, v25, v17
	s_waitcnt vmcnt(2)
	v_fmac_f32_e32 v14, v26, v18
	s_waitcnt vmcnt(1)
	v_fmac_f32_e32 v15, v27, v19
	s_waitcnt vmcnt(0)
	v_fmac_f32_e32 v16, v28, v20
	global_load_dwordx4 v[17:20], v[23:24], off offset:1024
	s_clause 0x3
	buffer_load_dword v25, off, s[40:43], 0 offset:256
	buffer_load_dword v26, off, s[40:43], 0 offset:260
	buffer_load_dword v27, off, s[40:43], 0 offset:264
	buffer_load_dword v28, off, s[40:43], 0 offset:268
	s_waitcnt vmcnt(3)
	v_fmac_f32_e32 v13, v25, v17
	s_waitcnt vmcnt(2)
	v_fmac_f32_e32 v14, v26, v18
	s_waitcnt vmcnt(1)
	v_fmac_f32_e32 v15, v27, v19
	s_waitcnt vmcnt(0)
	v_fmac_f32_e32 v16, v28, v20
	global_load_dwordx4 v[17:20], v[23:24], off offset:1536
	s_clause 0x3
	buffer_load_dword v23, off, s[40:43], 0 offset:272
	buffer_load_dword v24, off, s[40:43], 0 offset:276
	buffer_load_dword v25, off, s[40:43], 0 offset:280
	buffer_load_dword v26, off, s[40:43], 0 offset:284
	s_waitcnt vmcnt(3)
	v_fmac_f32_e32 v13, v23, v17
	s_waitcnt vmcnt(2)
	v_fmac_f32_e32 v14, v24, v18
	s_waitcnt vmcnt(1)
	v_fmac_f32_e32 v15, v25, v19
	s_waitcnt vmcnt(0)
	v_fmac_f32_e32 v16, v26, v20
	global_load_dwordx4 v[17:20], v[21:22], off
	s_clause 0x3
	buffer_load_dword v21, off, s[40:43], 0 offset:288
	buffer_load_dword v22, off, s[40:43], 0 offset:292
	;; [unrolled: 1-line block ×4, first 2 shown]
	s_waitcnt vmcnt(3)
	v_fmac_f32_e32 v13, v21, v17
	v_add_co_u32 v21, s2, 0x2000, v9
	s_waitcnt vmcnt(2)
	v_fmac_f32_e32 v14, v22, v18
	v_add_co_ci_u32_e64 v22, null, 0, v10, s2
	s_waitcnt vmcnt(1)
	v_fmac_f32_e32 v15, v23, v19
	s_waitcnt vmcnt(0)
	v_fmac_f32_e32 v16, v24, v20
	global_load_dwordx4 v[17:20], v[21:22], off offset:512
	s_clause 0x3
	buffer_load_dword v23, off, s[40:43], 0 offset:304
	buffer_load_dword v24, off, s[40:43], 0 offset:308
	;; [unrolled: 1-line block ×4, first 2 shown]
	s_waitcnt vmcnt(3)
	v_fmac_f32_e32 v13, v23, v17
	s_waitcnt vmcnt(2)
	v_fmac_f32_e32 v14, v24, v18
	;; [unrolled: 2-line block ×4, first 2 shown]
	global_load_dwordx4 v[17:20], v[21:22], off offset:1024
	s_clause 0x3
	buffer_load_dword v23, off, s[40:43], 0 offset:320
	buffer_load_dword v24, off, s[40:43], 0 offset:324
	;; [unrolled: 1-line block ×4, first 2 shown]
	s_waitcnt vmcnt(3)
	v_fmac_f32_e32 v13, v23, v17
	s_waitcnt vmcnt(2)
	v_fmac_f32_e32 v14, v24, v18
	;; [unrolled: 2-line block ×4, first 2 shown]
	global_load_dwordx4 v[17:20], v[21:22], off offset:1536
	s_clause 0x3
	buffer_load_dword v21, off, s[40:43], 0 offset:336
	buffer_load_dword v22, off, s[40:43], 0 offset:340
	;; [unrolled: 1-line block ×4, first 2 shown]
	s_waitcnt vmcnt(3)
	v_fmac_f32_e32 v13, v21, v17
	v_add_co_u32 v21, s2, v9, 0x3000
	s_waitcnt vmcnt(2)
	v_fmac_f32_e32 v14, v22, v18
	v_add_co_ci_u32_e64 v22, null, 0, v10, s2
	s_waitcnt vmcnt(1)
	v_fmac_f32_e32 v15, v23, v19
	s_waitcnt vmcnt(0)
	v_fmac_f32_e32 v16, v24, v20
	global_load_dwordx4 v[17:20], v[21:22], off offset:-2048
	s_clause 0x3
	buffer_load_dword v23, off, s[40:43], 0 offset:352
	buffer_load_dword v24, off, s[40:43], 0 offset:356
	;; [unrolled: 1-line block ×4, first 2 shown]
	s_waitcnt vmcnt(3)
	v_fmac_f32_e32 v13, v23, v17
	v_add_co_u32 v23, s2, 0x2800, v9
	s_waitcnt vmcnt(2)
	v_fmac_f32_e32 v14, v24, v18
	v_add_co_ci_u32_e64 v24, null, 0, v10, s2
	s_waitcnt vmcnt(1)
	v_fmac_f32_e32 v15, v25, v19
	s_waitcnt vmcnt(0)
	v_fmac_f32_e32 v16, v26, v20
	global_load_dwordx4 v[17:20], v[23:24], off offset:512
	s_clause 0x3
	buffer_load_dword v25, off, s[40:43], 0 offset:368
	buffer_load_dword v26, off, s[40:43], 0 offset:372
	buffer_load_dword v27, off, s[40:43], 0 offset:376
	buffer_load_dword v28, off, s[40:43], 0 offset:380
	s_waitcnt vmcnt(3)
	v_fmac_f32_e32 v13, v25, v17
	s_waitcnt vmcnt(2)
	v_fmac_f32_e32 v14, v26, v18
	s_waitcnt vmcnt(1)
	v_fmac_f32_e32 v15, v27, v19
	s_waitcnt vmcnt(0)
	v_fmac_f32_e32 v16, v28, v20
	global_load_dwordx4 v[17:20], v[23:24], off offset:1024
	s_clause 0x3
	buffer_load_dword v25, off, s[40:43], 0 offset:384
	buffer_load_dword v26, off, s[40:43], 0 offset:388
	buffer_load_dword v27, off, s[40:43], 0 offset:392
	buffer_load_dword v28, off, s[40:43], 0 offset:396
	s_waitcnt vmcnt(3)
	v_fmac_f32_e32 v13, v25, v17
	s_waitcnt vmcnt(2)
	v_fmac_f32_e32 v14, v26, v18
	;; [unrolled: 14-line block ×3, first 2 shown]
	s_waitcnt vmcnt(1)
	v_fmac_f32_e32 v15, v25, v19
	s_waitcnt vmcnt(0)
	v_fmac_f32_e32 v16, v26, v20
	global_load_dwordx4 v[17:20], v[21:22], off
	s_clause 0x3
	buffer_load_dword v21, off, s[40:43], 0 offset:416
	buffer_load_dword v22, off, s[40:43], 0 offset:420
	;; [unrolled: 1-line block ×4, first 2 shown]
	s_waitcnt vmcnt(3)
	v_fmac_f32_e32 v13, v21, v17
	v_add_co_u32 v21, s2, 0x3000, v9
	s_waitcnt vmcnt(2)
	v_fmac_f32_e32 v14, v22, v18
	v_add_co_ci_u32_e64 v22, null, 0, v10, s2
	s_waitcnt vmcnt(1)
	v_fmac_f32_e32 v15, v23, v19
	s_waitcnt vmcnt(0)
	v_fmac_f32_e32 v16, v24, v20
	global_load_dwordx4 v[17:20], v[21:22], off offset:512
	s_clause 0x3
	buffer_load_dword v23, off, s[40:43], 0 offset:432
	buffer_load_dword v24, off, s[40:43], 0 offset:436
	buffer_load_dword v25, off, s[40:43], 0 offset:440
	buffer_load_dword v26, off, s[40:43], 0 offset:444
	s_waitcnt vmcnt(3)
	v_fmac_f32_e32 v13, v23, v17
	s_waitcnt vmcnt(2)
	v_fmac_f32_e32 v14, v24, v18
	;; [unrolled: 2-line block ×4, first 2 shown]
	global_load_dwordx4 v[17:20], v[21:22], off offset:1024
	s_clause 0x3
	buffer_load_dword v23, off, s[40:43], 0 offset:448
	buffer_load_dword v24, off, s[40:43], 0 offset:452
	;; [unrolled: 1-line block ×4, first 2 shown]
	s_waitcnt vmcnt(3)
	v_fmac_f32_e32 v13, v23, v17
	s_waitcnt vmcnt(2)
	v_fmac_f32_e32 v14, v24, v18
	;; [unrolled: 2-line block ×4, first 2 shown]
	global_load_dwordx4 v[17:20], v[21:22], off offset:1536
	s_clause 0x3
	buffer_load_dword v21, off, s[40:43], 0 offset:464
	buffer_load_dword v22, off, s[40:43], 0 offset:468
	;; [unrolled: 1-line block ×4, first 2 shown]
	s_waitcnt vmcnt(3)
	v_fmac_f32_e32 v13, v21, v17
	v_add_co_u32 v21, s2, v9, 0x4000
	s_waitcnt vmcnt(2)
	v_fmac_f32_e32 v14, v22, v18
	v_add_co_ci_u32_e64 v22, null, 0, v10, s2
	s_waitcnt vmcnt(1)
	v_fmac_f32_e32 v15, v23, v19
	s_waitcnt vmcnt(0)
	v_fmac_f32_e32 v16, v24, v20
	global_load_dwordx4 v[17:20], v[21:22], off offset:-2048
	s_clause 0x3
	buffer_load_dword v23, off, s[40:43], 0 offset:480
	buffer_load_dword v24, off, s[40:43], 0 offset:484
	;; [unrolled: 1-line block ×4, first 2 shown]
	s_waitcnt vmcnt(3)
	v_fmac_f32_e32 v13, v23, v17
	v_add_co_u32 v23, s2, 0x3800, v9
	s_waitcnt vmcnt(2)
	v_fmac_f32_e32 v14, v24, v18
	v_add_co_ci_u32_e64 v24, null, 0, v10, s2
	s_waitcnt vmcnt(1)
	v_fmac_f32_e32 v15, v25, v19
	s_waitcnt vmcnt(0)
	v_fmac_f32_e32 v16, v26, v20
	global_load_dwordx4 v[17:20], v[23:24], off offset:512
	s_clause 0x3
	buffer_load_dword v25, off, s[40:43], 0 offset:496
	buffer_load_dword v26, off, s[40:43], 0 offset:500
	buffer_load_dword v27, off, s[40:43], 0 offset:504
	buffer_load_dword v28, off, s[40:43], 0 offset:508
	s_waitcnt vmcnt(3)
	v_fmac_f32_e32 v13, v25, v17
	s_waitcnt vmcnt(2)
	v_fmac_f32_e32 v14, v26, v18
	s_waitcnt vmcnt(1)
	v_fmac_f32_e32 v15, v27, v19
	s_waitcnt vmcnt(0)
	v_fmac_f32_e32 v16, v28, v20
	global_load_dwordx4 v[17:20], v[23:24], off offset:1024
	s_clause 0x3
	buffer_load_dword v25, off, s[40:43], 0 offset:512
	buffer_load_dword v26, off, s[40:43], 0 offset:516
	buffer_load_dword v27, off, s[40:43], 0 offset:520
	buffer_load_dword v28, off, s[40:43], 0 offset:524
	s_waitcnt vmcnt(3)
	v_fmac_f32_e32 v13, v25, v17
	s_waitcnt vmcnt(2)
	v_fmac_f32_e32 v14, v26, v18
	;; [unrolled: 14-line block ×3, first 2 shown]
	s_waitcnt vmcnt(1)
	v_fmac_f32_e32 v15, v25, v19
	s_waitcnt vmcnt(0)
	v_fmac_f32_e32 v16, v26, v20
	global_load_dwordx4 v[17:20], v[21:22], off
	s_clause 0x3
	buffer_load_dword v21, off, s[40:43], 0 offset:552
	buffer_load_dword v22, off, s[40:43], 0 offset:556
	;; [unrolled: 1-line block ×4, first 2 shown]
	s_waitcnt vmcnt(3)
	v_fmac_f32_e32 v13, v21, v17
	v_add_co_u32 v21, s2, 0x4000, v9
	s_waitcnt vmcnt(2)
	v_fmac_f32_e32 v14, v22, v18
	v_add_co_ci_u32_e64 v22, null, 0, v10, s2
	s_waitcnt vmcnt(1)
	v_fmac_f32_e32 v15, v23, v19
	s_waitcnt vmcnt(0)
	v_fmac_f32_e32 v16, v24, v20
	global_load_dwordx4 v[17:20], v[21:22], off offset:512
	s_clause 0x3
	buffer_load_dword v23, off, s[40:43], 0 offset:568
	buffer_load_dword v24, off, s[40:43], 0 offset:572
	;; [unrolled: 1-line block ×4, first 2 shown]
	s_waitcnt vmcnt(3)
	v_fmac_f32_e32 v13, v23, v17
	s_waitcnt vmcnt(2)
	v_fmac_f32_e32 v14, v24, v18
	;; [unrolled: 2-line block ×4, first 2 shown]
	global_load_dwordx4 v[17:20], v[21:22], off offset:1024
	s_clause 0x3
	buffer_load_dword v23, off, s[40:43], 0 offset:584
	buffer_load_dword v24, off, s[40:43], 0 offset:588
	;; [unrolled: 1-line block ×4, first 2 shown]
	s_waitcnt vmcnt(3)
	v_fmac_f32_e32 v13, v23, v17
	s_waitcnt vmcnt(2)
	v_fmac_f32_e32 v14, v24, v18
	;; [unrolled: 2-line block ×4, first 2 shown]
	global_load_dwordx4 v[17:20], v[21:22], off offset:1536
	s_clause 0x3
	buffer_load_dword v21, off, s[40:43], 0 offset:600
	buffer_load_dword v22, off, s[40:43], 0 offset:604
	;; [unrolled: 1-line block ×4, first 2 shown]
	s_waitcnt vmcnt(3)
	v_fmac_f32_e32 v13, v21, v17
	v_add_co_u32 v21, s2, v9, 0x5000
	s_waitcnt vmcnt(2)
	v_fmac_f32_e32 v14, v22, v18
	v_add_co_ci_u32_e64 v22, null, 0, v10, s2
	s_waitcnt vmcnt(1)
	v_fmac_f32_e32 v15, v23, v19
	s_waitcnt vmcnt(0)
	v_fmac_f32_e32 v16, v24, v20
	global_load_dwordx4 v[17:20], v[21:22], off offset:-2048
	s_clause 0x3
	buffer_load_dword v23, off, s[40:43], 0 offset:616
	buffer_load_dword v24, off, s[40:43], 0 offset:620
	;; [unrolled: 1-line block ×4, first 2 shown]
	s_waitcnt vmcnt(3)
	v_fmac_f32_e32 v13, v23, v17
	v_add_co_u32 v23, s2, 0x4800, v9
	s_waitcnt vmcnt(2)
	v_fmac_f32_e32 v14, v24, v18
	v_add_co_ci_u32_e64 v24, null, 0, v10, s2
	s_waitcnt vmcnt(1)
	v_fmac_f32_e32 v15, v25, v19
	s_waitcnt vmcnt(0)
	v_fmac_f32_e32 v16, v26, v20
	global_load_dwordx4 v[17:20], v[23:24], off offset:512
	s_clause 0x3
	buffer_load_dword v25, off, s[40:43], 0 offset:632
	buffer_load_dword v26, off, s[40:43], 0 offset:636
	;; [unrolled: 1-line block ×4, first 2 shown]
	s_waitcnt vmcnt(3)
	v_fmac_f32_e32 v13, v25, v17
	s_waitcnt vmcnt(2)
	v_fmac_f32_e32 v14, v26, v18
	;; [unrolled: 2-line block ×4, first 2 shown]
	global_load_dwordx4 v[17:20], v[23:24], off offset:1024
	s_waitcnt vmcnt(0) lgkmcnt(25)
	v_fmac_f32_e32 v13, v29, v17
	v_fmac_f32_e32 v14, v30, v18
	;; [unrolled: 1-line block ×4, first 2 shown]
	global_load_dwordx4 v[17:20], v[23:24], off offset:1536
	s_waitcnt vmcnt(0) lgkmcnt(24)
	v_fmac_f32_e32 v13, v33, v17
	v_fmac_f32_e32 v14, v34, v18
	;; [unrolled: 1-line block ×4, first 2 shown]
	global_load_dwordx4 v[17:20], v[21:22], off
	v_add_co_u32 v21, s2, 0x5000, v9
	v_add_co_ci_u32_e64 v22, null, 0, v10, s2
	s_waitcnt vmcnt(0) lgkmcnt(23)
	v_fmac_f32_e32 v13, v37, v17
	v_fmac_f32_e32 v14, v38, v18
	v_fmac_f32_e32 v15, v39, v19
	v_fmac_f32_e32 v16, v40, v20
	global_load_dwordx4 v[17:20], v[21:22], off offset:512
	s_waitcnt vmcnt(0) lgkmcnt(22)
	v_fmac_f32_e32 v13, v41, v17
	v_fmac_f32_e32 v14, v42, v18
	v_fmac_f32_e32 v15, v43, v19
	v_fmac_f32_e32 v16, v44, v20
	global_load_dwordx4 v[17:20], v[21:22], off offset:1024
	;; [unrolled: 6-line block ×3, first 2 shown]
	v_add_co_u32 v21, s2, v9, 0x6000
	v_add_co_ci_u32_e64 v22, null, 0, v10, s2
	v_add_co_u32 v23, s2, 0x5800, v9
	v_add_co_ci_u32_e64 v24, null, 0, v10, s2
	s_waitcnt vmcnt(0) lgkmcnt(20)
	v_fmac_f32_e32 v13, v49, v17
	v_fmac_f32_e32 v14, v50, v18
	;; [unrolled: 1-line block ×4, first 2 shown]
	global_load_dwordx4 v[17:20], v[21:22], off offset:-2048
	s_waitcnt vmcnt(0) lgkmcnt(19)
	v_fmac_f32_e32 v13, v53, v17
	v_fmac_f32_e32 v14, v54, v18
	v_fmac_f32_e32 v15, v55, v19
	v_fmac_f32_e32 v16, v56, v20
	global_load_dwordx4 v[17:20], v[23:24], off offset:512
	s_waitcnt vmcnt(0) lgkmcnt(18)
	v_fmac_f32_e32 v13, v57, v17
	v_fmac_f32_e32 v14, v58, v18
	v_fmac_f32_e32 v15, v59, v19
	v_fmac_f32_e32 v16, v60, v20
	global_load_dwordx4 v[17:20], v[23:24], off offset:1024
	;; [unrolled: 6-line block ×3, first 2 shown]
	s_waitcnt vmcnt(0) lgkmcnt(16)
	v_fmac_f32_e32 v13, v65, v17
	v_fmac_f32_e32 v14, v66, v18
	;; [unrolled: 1-line block ×4, first 2 shown]
	global_load_dwordx4 v[17:20], v[21:22], off
	v_add_co_u32 v21, s2, 0x6000, v9
	v_add_co_ci_u32_e64 v22, null, 0, v10, s2
	s_waitcnt vmcnt(0) lgkmcnt(15)
	v_fmac_f32_e32 v13, v69, v17
	v_fmac_f32_e32 v14, v70, v18
	v_fmac_f32_e32 v15, v71, v19
	v_fmac_f32_e32 v16, v72, v20
	global_load_dwordx4 v[17:20], v[21:22], off offset:512
	s_waitcnt vmcnt(0) lgkmcnt(14)
	v_fmac_f32_e32 v13, v73, v17
	v_fmac_f32_e32 v14, v74, v18
	v_fmac_f32_e32 v15, v75, v19
	v_fmac_f32_e32 v16, v20, v76
	global_load_dwordx4 v[17:20], v[21:22], off offset:1024
	;; [unrolled: 6-line block ×3, first 2 shown]
	v_add_co_u32 v21, s2, v9, 0x7000
	v_add_co_ci_u32_e64 v22, null, 0, v10, s2
	v_add_co_u32 v23, s2, 0x6800, v9
	v_add_co_ci_u32_e64 v24, null, 0, v10, s2
	s_waitcnt vmcnt(0) lgkmcnt(12)
	v_fmac_f32_e32 v13, v17, v81
	v_fmac_f32_e32 v14, v18, v82
	;; [unrolled: 1-line block ×4, first 2 shown]
	global_load_dwordx4 v[17:20], v[21:22], off offset:-2048
	s_waitcnt vmcnt(0) lgkmcnt(11)
	v_fmac_f32_e32 v13, v17, v85
	v_fmac_f32_e32 v14, v18, v86
	v_fmac_f32_e32 v15, v19, v87
	v_fmac_f32_e32 v16, v20, v88
	global_load_dwordx4 v[17:20], v[23:24], off offset:512
	s_waitcnt vmcnt(0) lgkmcnt(10)
	v_fmac_f32_e32 v13, v17, v89
	v_fmac_f32_e32 v14, v18, v90
	v_fmac_f32_e32 v15, v19, v91
	v_fmac_f32_e32 v16, v20, v92
	global_load_dwordx4 v[17:20], v[23:24], off offset:1024
	;; [unrolled: 6-line block ×3, first 2 shown]
	s_waitcnt vmcnt(0) lgkmcnt(8)
	v_fmac_f32_e32 v13, v17, v97
	v_fmac_f32_e32 v14, v18, v98
	;; [unrolled: 1-line block ×4, first 2 shown]
	global_load_dwordx4 v[17:20], v[21:22], off
	v_add_co_u32 v21, s2, 0x7000, v9
	v_add_co_ci_u32_e64 v22, null, 0, v10, s2
	v_add_co_u32 v9, s2, 0x7800, v9
	v_add_co_ci_u32_e64 v10, null, 0, v10, s2
	v_cmp_gt_i32_e64 s2, s27, v125
	s_waitcnt vmcnt(0) lgkmcnt(7)
	v_fmac_f32_e32 v13, v17, v101
	v_fmac_f32_e32 v14, v18, v102
	v_fmac_f32_e32 v15, v19, v103
	v_fmac_f32_e32 v16, v20, v104
	global_load_dwordx4 v[17:20], v[21:22], off offset:512
	s_waitcnt vmcnt(0) lgkmcnt(6)
	v_fmac_f32_e32 v13, v17, v105
	v_fmac_f32_e32 v14, v18, v106
	v_fmac_f32_e32 v15, v19, v107
	v_fmac_f32_e32 v16, v20, v108
	global_load_dwordx4 v[17:20], v[21:22], off offset:1024
	;; [unrolled: 6-line block ×3, first 2 shown]
	s_waitcnt vmcnt(0) lgkmcnt(4)
	v_fmac_f32_e32 v13, v17, v113
	v_fmac_f32_e32 v14, v18, v114
	;; [unrolled: 1-line block ×4, first 2 shown]
	global_load_dwordx4 v[17:20], v[9:10], off
	s_waitcnt vmcnt(0) lgkmcnt(3)
	v_fmac_f32_e32 v13, v17, v117
	v_fmac_f32_e32 v14, v18, v118
	v_fmac_f32_e32 v15, v19, v119
	v_fmac_f32_e32 v16, v20, v120
	global_load_dwordx4 v[17:20], v[9:10], off offset:512
	s_waitcnt vmcnt(0) lgkmcnt(2)
	v_fmac_f32_e32 v13, v17, v121
	v_fmac_f32_e32 v14, v18, v122
	v_fmac_f32_e32 v15, v19, v123
	v_fmac_f32_e32 v16, v20, v124
	global_load_dwordx4 v[17:20], v[9:10], off offset:1024
	;; [unrolled: 6-line block ×3, first 2 shown]
	v_add_nc_u32_e32 v10, s15, v125
	v_add_nc_u32_e32 v125, 0x80, v125
	v_cvt_f32_i32_e32 v10, v10
	v_mul_f32_e32 v10, s34, v10
	v_cndmask_b32_e32 v10, 0, v10, vcc_lo
	s_waitcnt vmcnt(0) lgkmcnt(0)
	v_fmac_f32_e32 v13, v17, v5
	v_fmac_f32_e32 v14, v18, v6
	;; [unrolled: 1-line block ×4, first 2 shown]
	v_add_f32_e32 v9, v13, v14
	v_add_f32_e32 v9, v15, v9
	;; [unrolled: 1-line block ×3, first 2 shown]
	v_fmac_f32_e32 v10, s31, v9
	v_max_f32_e32 v9, v11, v11
	v_max_f32_e32 v9, v9, v10
	v_cndmask_b32_e64 v10, 0, v10, s2
	v_cndmask_b32_e64 v11, v11, v9, s2
	v_add_co_u32 v126, s2, v126, 16
	ds_write_b32 v0, v10
	v_add_co_ci_u32_e64 v127, null, 0, v127, s2
	v_add_nc_u32_e32 v0, 0x200, v0
	s_andn2_b32 exec_lo, exec_lo, s5
	s_cbranch_execnz .LBB62_7
; %bb.8:
	s_or_b32 exec_lo, exec_lo, s5
	s_clause 0x2
	buffer_load_dword v12, off, s[40:43], 0 offset:544
	buffer_load_dword v13, off, s[40:43], 0 offset:548
	;; [unrolled: 1-line block ×3, first 2 shown]
.LBB62_9:
	s_or_b32 exec_lo, exec_lo, s35
	v_mbcnt_lo_u32_b32 v0, -1, 0
	v_max_f32_e32 v4, v11, v11
	v_xor_b32_e32 v1, 16, v0
	v_xor_b32_e32 v3, 8, v0
	v_cmp_gt_i32_e32 vcc_lo, 32, v1
	v_cndmask_b32_e32 v1, v0, v1, vcc_lo
	v_cmp_gt_i32_e32 vcc_lo, 32, v3
	v_lshlrev_b32_e32 v1, 2, v1
	v_cndmask_b32_e32 v3, v0, v3, vcc_lo
	ds_bpermute_b32 v2, v1, v11
	s_waitcnt lgkmcnt(0)
	v_max_f32_e32 v5, v2, v2
	v_lshlrev_b32_e32 v2, 2, v3
	v_max_f32_e32 v3, v4, v5
	v_xor_b32_e32 v5, 4, v0
	ds_bpermute_b32 v4, v2, v3
	v_cmp_gt_i32_e32 vcc_lo, 32, v5
	v_cndmask_b32_e32 v5, v0, v5, vcc_lo
	v_lshlrev_b32_e32 v5, 2, v5
	buffer_store_dword v5, off, s[40:43], 0 offset:916 ; 4-byte Folded Spill
	s_waitcnt lgkmcnt(0)
	v_max_f32_e32 v4, v4, v4
	v_max_f32_e32 v3, v3, v4
	ds_bpermute_b32 v4, v5, v3
	v_xor_b32_e32 v5, 2, v0
	v_cmp_gt_i32_e32 vcc_lo, 32, v5
	v_cndmask_b32_e32 v5, v0, v5, vcc_lo
	v_lshlrev_b32_e32 v5, 2, v5
	s_waitcnt lgkmcnt(0)
	v_max_f32_e32 v4, v4, v4
	buffer_store_dword v5, off, s[40:43], 0 offset:900 ; 4-byte Folded Spill
	v_max_f32_e32 v3, v3, v4
	ds_bpermute_b32 v4, v5, v3
	v_xor_b32_e32 v5, 1, v0
	v_cmp_gt_i32_e32 vcc_lo, 32, v5
	v_cndmask_b32_e32 v5, v0, v5, vcc_lo
	v_lshlrev_b32_e32 v5, 2, v5
	s_waitcnt lgkmcnt(0)
	v_max_f32_e32 v4, v4, v4
	v_max_f32_e32 v0, v3, v4
	buffer_load_dword v4, off, s[40:43], 0 offset:904 ; 4-byte Folded Reload
	ds_bpermute_b32 v3, v5, v0
	s_waitcnt vmcnt(0)
	v_cmp_eq_u32_e32 vcc_lo, 0, v4
	buffer_load_dword v4, off, s[40:43], 0 offset:908 ; 4-byte Folded Reload
	s_waitcnt vmcnt(0)
	v_lshlrev_b32_e32 v4, 2, v4
	s_and_saveexec_b32 s2, vcc_lo
	s_cbranch_execz .LBB62_11
; %bb.10:
	s_waitcnt lgkmcnt(0)
	v_max_f32_e32 v3, v3, v3
	v_max_f32_e32 v0, v0, v0
	;; [unrolled: 1-line block ×3, first 2 shown]
	ds_write_b32 v4, v0 offset:1024
.LBB62_11:
	s_or_b32 exec_lo, exec_lo, s2
	buffer_load_dword v0, off, s[40:43], 0 offset:904 ; 4-byte Folded Reload
	s_waitcnt vmcnt(0) lgkmcnt(0)
	s_waitcnt_vscnt null, 0x0
	s_barrier
	buffer_gl0_inv
	v_cmp_gt_u32_e64 s2, 4, v0
	v_mov_b32_e32 v0, 0xff7fffff
	s_and_saveexec_b32 s3, s2
; %bb.12:
	ds_read_b32 v0, v13 offset:1024
; %bb.13:
	s_or_b32 exec_lo, exec_lo, s3
	buffer_load_dword v3, off, s[40:43], 0 offset:900 ; 4-byte Folded Reload
	buffer_store_dword v5, off, s[40:43], 0 offset:912 ; 4-byte Folded Spill
	s_sub_i32 s3, s11, s12
	s_lshl_b32 s3, s3, 5
	s_add_i32 s3, s3, s33
	s_min_i32 s3, s3, s27
	s_sub_i32 s5, s3, s33
	s_waitcnt vmcnt(0) lgkmcnt(0)
	ds_bpermute_b32 v3, v3, v0
	v_max_f32_e32 v0, v0, v0
	s_waitcnt lgkmcnt(0)
	v_max_f32_e32 v3, v3, v3
	v_max_f32_e32 v0, v0, v3
	ds_bpermute_b32 v3, v5, v0
	v_mov_b32_e32 v5, 0
	s_waitcnt lgkmcnt(0)
	v_max_f32_e32 v3, v3, v3
	v_max_f32_e32 v0, v0, v3
	buffer_load_dword v3, off, s[40:43], 0 offset:896 ; 4-byte Folded Reload
	ds_bpermute_b32 v0, v5, v0
	s_waitcnt vmcnt(0)
	v_cmp_gt_i32_e64 s3, s5, v3
	v_lshl_add_u32 v3, v3, 2, 0x420
	s_and_saveexec_b32 s12, s3
	s_cbranch_execz .LBB62_17
; %bb.14:
	buffer_load_dword v7, off, s[40:43], 0 offset:896 ; 4-byte Folded Reload
	v_mov_b32_e32 v5, 0
	s_mov_b32 s15, 0
	s_waitcnt vmcnt(0)
	v_lshl_add_u32 v6, v7, 2, 0x420
	.p2align	6
.LBB62_15:                              ; =>This Inner Loop Header: Depth=1
	ds_read_b32 v8, v6
	v_add_nc_u32_e32 v7, 0x80, v7
	v_cmp_le_i32_e64 s4, s5, v7
	s_or_b32 s15, s4, s15
	s_waitcnt lgkmcnt(0)
	v_sub_f32_e32 v8, v8, v0
	v_mul_f32_e32 v8, 0x3fb8aa3b, v8
	v_exp_f32_e32 v8, v8
	ds_write_b32 v6, v8
	v_add_f32_e32 v5, v5, v8
	v_add_nc_u32_e32 v6, 0x200, v6
	s_andn2_b32 exec_lo, exec_lo, s15
	s_cbranch_execnz .LBB62_15
; %bb.16:
	s_or_b32 exec_lo, exec_lo, s15
.LBB62_17:
	s_or_b32 exec_lo, exec_lo, s12
	ds_bpermute_b32 v1, v1, v5
	s_waitcnt lgkmcnt(0)
	v_add_f32_e32 v1, v5, v1
	buffer_load_dword v5, off, s[40:43], 0 offset:912 ; 4-byte Folded Reload
	ds_bpermute_b32 v2, v2, v1
	s_waitcnt lgkmcnt(0)
	v_add_f32_e32 v1, v1, v2
	buffer_load_dword v2, off, s[40:43], 0 offset:916 ; 4-byte Folded Reload
	s_waitcnt vmcnt(0)
	ds_bpermute_b32 v2, v2, v1
	s_waitcnt lgkmcnt(0)
	v_add_f32_e32 v1, v1, v2
	buffer_load_dword v2, off, s[40:43], 0 offset:900 ; 4-byte Folded Reload
	s_waitcnt vmcnt(0)
	ds_bpermute_b32 v2, v2, v1
	s_waitcnt lgkmcnt(0)
	v_add_f32_e32 v1, v1, v2
	ds_bpermute_b32 v2, v5, v1
	s_waitcnt lgkmcnt(0)
	v_add_f32_e32 v1, v1, v2
	s_and_saveexec_b32 s4, vcc_lo
; %bb.18:
	ds_write_b32 v4, v1 offset:1040
; %bb.19:
	s_or_b32 exec_lo, exec_lo, s4
	s_waitcnt lgkmcnt(0)
	s_waitcnt_vscnt null, 0x0
	s_barrier
	buffer_gl0_inv
	s_and_saveexec_b32 s4, s2
; %bb.20:
	ds_read_b32 v1, v13 offset:1040
; %bb.21:
	s_or_b32 exec_lo, exec_lo, s4
	buffer_load_dword v2, off, s[40:43], 0 offset:900 ; 4-byte Folded Reload
	s_waitcnt vmcnt(0) lgkmcnt(0)
	ds_bpermute_b32 v2, v2, v1
	s_waitcnt lgkmcnt(0)
	v_add_f32_e32 v1, v1, v2
	ds_bpermute_b32 v2, v5, v1
	s_waitcnt lgkmcnt(0)
	v_add_f32_e32 v1, v1, v2
	v_mov_b32_e32 v2, 0
	ds_bpermute_b32 v1, v2, v1
	s_and_saveexec_b32 s2, s3
	s_cbranch_execz .LBB62_24
; %bb.22:
	s_waitcnt lgkmcnt(0)
	v_add_f32_e32 v2, 0x358637bd, v1
	s_mov_b32 s3, 0
	v_div_scale_f32 v4, null, v2, v2, 1.0
	v_div_scale_f32 v7, vcc_lo, 1.0, v2, 1.0
	v_rcp_f32_e32 v5, v4
	v_fma_f32 v6, -v4, v5, 1.0
	v_fmac_f32_e32 v5, v6, v5
	v_mul_f32_e32 v6, v7, v5
	v_fma_f32 v8, -v4, v6, v7
	v_fmac_f32_e32 v6, v8, v5
	v_fma_f32 v4, -v4, v6, v7
	v_div_fmas_f32 v4, v4, v5, v6
	v_div_fixup_f32 v2, v4, v2, 1.0
	buffer_load_dword v4, off, s[40:43], 0 offset:896 ; 4-byte Folded Reload
.LBB62_23:                              ; =>This Inner Loop Header: Depth=1
	ds_read_b32 v5, v3
	s_waitcnt vmcnt(0)
	v_add_nc_u32_e32 v4, 0x80, v4
	v_cmp_le_i32_e32 vcc_lo, s5, v4
	s_or_b32 s3, vcc_lo, s3
	s_waitcnt lgkmcnt(0)
	v_mul_f32_e32 v5, v2, v5
	ds_write_b32 v3, v5
	v_add_nc_u32_e32 v3, 0x200, v3
	s_andn2_b32 exec_lo, exec_lo, s3
	s_cbranch_execnz .LBB62_23
.LBB62_24:
	s_or_b32 exec_lo, exec_lo, s2
	s_waitcnt lgkmcnt(0)
	buffer_load_dword v2, off, s[40:43], 0 offset:896 ; 4-byte Folded Reload
	s_mul_i32 s2, s7, s26
	s_mov_b32 s4, exec_lo
	s_mul_i32 s2, s2, s9
	s_barrier
	s_waitcnt vmcnt(0)
	buffer_gl0_inv
	v_cmpx_eq_u32_e32 0, v2
	s_cbranch_execz .LBB62_26
; %bb.25:
	s_ashr_i32 s3, s2, 31
	s_mul_i32 s36, s7, s6
	s_lshl_b64 s[34:35], s[2:3], 2
	v_mov_b32_e32 v2, 0
	s_add_u32 s3, s18, s34
	s_addc_u32 s5, s19, s35
	s_ashr_i32 s37, s36, 31
	s_lshl_b64 s[18:19], s[36:37], 2
	s_add_u32 s3, s3, s18
	s_addc_u32 s5, s5, s19
	s_ashr_i32 s9, s8, 31
	s_lshl_b64 s[36:37], s[8:9], 2
	s_add_u32 s38, s3, s36
	s_addc_u32 s39, s5, s37
	s_add_u32 s3, s16, s34
	s_addc_u32 s5, s17, s35
	;; [unrolled: 2-line block ×4, first 2 shown]
	global_store_dword v2, v0, s[38:39]
	global_store_dword v2, v1, s[16:17]
.LBB62_26:
	s_or_b32 exec_lo, exec_lo, s4
	v_mov_b32_e32 v24, 0
	v_mov_b32_e32 v25, 0
	;; [unrolled: 1-line block ×64, first 2 shown]
	s_and_saveexec_b32 s3, s1
	s_cbranch_execz .LBB62_158
; %bb.27:
	buffer_load_dword v0, off, s[40:43], 0 offset:896 ; 4-byte Folded Reload
	s_lshl_b64 s[4:5], s[28:29], 2
	s_mov_b32 s9, s13
	s_add_u32 s4, s24, s4
	s_addc_u32 s5, s25, s5
	s_ashr_i32 s15, s14, 31
	s_lshl_b32 s1, s33, 2
	s_lshl_b64 s[12:13], s[14:15], 2
	v_mov_b32_e32 v81, 0
	v_mov_b32_e32 v9, 0
	;; [unrolled: 1-line block ×7, first 2 shown]
	s_sub_i32 s6, 0x420, s1
	s_add_u32 s12, s22, s12
	s_addc_u32 s13, s23, s13
	s_add_i32 s15, s30, -1
	s_mov_b32 s14, 0
	s_waitcnt vmcnt(0)
	v_lshlrev_b32_e32 v0, 2, v0
	v_and_b32_e32 v1, 28, v0
	v_or_b32_e32 v2, 0xf80, v0
	buffer_store_dword v1, off, s[40:43], 0 offset:880 ; 4-byte Folded Spill
	v_and_b32_e32 v1, 0x7c, v0
	v_or_b32_e32 v0, 0x1f80, v0
	v_lshlrev_b32_e32 v1, 2, v1
	v_lshlrev_b32_e32 v0, 2, v0
	buffer_store_dword v1, off, s[40:43], 0 offset:884 ; 4-byte Folded Spill
	buffer_store_dword v0, off, s[40:43], 0 offset:892 ; 4-byte Folded Spill
	v_mov_b32_e32 v0, 0
	v_lshlrev_b32_e32 v1, 2, v2
	buffer_store_dword v0, off, s[40:43], 0 offset:552 ; 4-byte Folded Spill
	v_mov_b32_e32 v0, 0
	buffer_store_dword v1, off, s[40:43], 0 offset:888 ; 4-byte Folded Spill
	buffer_store_dword v0, off, s[40:43], 0 offset:568 ; 4-byte Folded Spill
	v_mov_b32_e32 v0, 0
	buffer_store_dword v0, off, s[40:43], 0 offset:584 ; 4-byte Folded Spill
	v_mov_b32_e32 v0, 0
	;; [unrolled: 2-line block ×55, first 2 shown]
	buffer_store_dword v0, off, s[40:43], 0 offset:848 ; 4-byte Folded Spill
	s_branch .LBB62_29
.LBB62_28:                              ;   in Loop: Header=BB62_29 Depth=1
	s_or_b32 exec_lo, exec_lo, s1
	s_waitcnt lgkmcnt(0)
	v_mul_f32_e32 v0, v5, v17
	v_mul_f32_e32 v65, v5, v65
	;; [unrolled: 1-line block ×5, first 2 shown]
	v_fmac_f32_e32 v0, v6, v18
	v_fmac_f32_e32 v65, v6, v66
	;; [unrolled: 1-line block ×11, first 2 shown]
	v_mul_f32_e32 v20, v5, v69
	v_fmac_f32_e32 v65, v8, v68
	s_clause 0x3
	buffer_load_dword v66, off, s[40:43], 0 offset:528
	buffer_load_dword v67, off, s[40:43], 0 offset:532
	;; [unrolled: 1-line block ×4, first 2 shown]
	v_fmac_f32_e32 v21, v8, v24
	v_fmac_f32_e32 v25, v8, v28
	v_fmac_f32_e32 v29, v8, v32
	v_mul_f32_e32 v33, v5, v33
	v_mul_f32_e32 v37, v5, v37
	;; [unrolled: 1-line block ×5, first 2 shown]
	v_fmac_f32_e32 v33, v6, v34
	v_fmac_f32_e32 v37, v6, v38
	;; [unrolled: 1-line block ×15, first 2 shown]
	v_mul_f32_e32 v13, v5, v13
	v_mul_f32_e32 v9, v5, v9
	;; [unrolled: 1-line block ×5, first 2 shown]
	v_fmac_f32_e32 v13, v6, v14
	v_fmac_f32_e32 v9, v6, v10
	;; [unrolled: 1-line block ×3, first 2 shown]
	v_mul_f32_e32 v2, v5, v121
	v_mul_f32_e32 v10, v5, v109
	v_fmac_f32_e32 v13, v7, v15
	v_fmac_f32_e32 v9, v7, v11
	;; [unrolled: 1-line block ×4, first 2 shown]
	v_mul_f32_e32 v3, v5, v117
	v_fmac_f32_e32 v13, v8, v16
	v_fmac_f32_e32 v9, v8, v12
	;; [unrolled: 1-line block ×5, first 2 shown]
	v_mul_f32_e32 v4, v5, v113
	v_fmac_f32_e32 v10, v6, v110
	v_mul_f32_e32 v11, v5, v105
	v_fmac_f32_e32 v2, v8, v124
	v_fmac_f32_e32 v3, v7, v119
	;; [unrolled: 1-line block ×5, first 2 shown]
	v_mul_f32_e32 v12, v5, v101
	v_fmac_f32_e32 v3, v8, v120
	v_fmac_f32_e32 v4, v7, v115
	;; [unrolled: 1-line block ×5, first 2 shown]
	v_mul_f32_e32 v14, v5, v97
	v_fmac_f32_e32 v4, v8, v116
	v_mul_f32_e32 v15, v5, v93
	v_fmac_f32_e32 v11, v8, v108
	v_fmac_f32_e32 v12, v7, v103
	;; [unrolled: 1-line block ×3, first 2 shown]
	v_mul_f32_e32 v16, v5, v89
	v_fmac_f32_e32 v15, v6, v94
	v_fmac_f32_e32 v17, v6, v86
	v_fmac_f32_e32 v12, v8, v104
	v_fmac_f32_e32 v14, v7, v99
	v_fmac_f32_e32 v16, v6, v90
	v_fmac_f32_e32 v15, v7, v95
	v_fmac_f32_e32 v17, v7, v87
	v_fmac_f32_e32 v18, v6, v78
	v_fmac_f32_e32 v14, v8, v100
	v_fmac_f32_e32 v16, v7, v91
	v_fmac_f32_e32 v15, v8, v96
	v_fmac_f32_e32 v17, v8, v88
	v_fmac_f32_e32 v18, v7, v79
	v_mul_f32_e32 v19, v5, v73
	v_fmac_f32_e32 v16, v8, v92
	v_fmac_f32_e32 v20, v6, v70
	v_mul_f32_e32 v61, v5, v61
	v_fmac_f32_e32 v18, v8, v80
	v_fmac_f32_e32 v19, v6, v74
	;; [unrolled: 3-line block ×4, first 2 shown]
	v_fmac_f32_e32 v20, v8, v72
	v_fmac_f32_e32 v61, v7, v63
	v_fmac_f32_e32 v53, v6, v54
	v_fmac_f32_e32 v19, v8, v76
	v_fmac_f32_e32 v57, v7, v59
	v_fmac_f32_e32 v61, v8, v64
	v_fmac_f32_e32 v53, v7, v55
	v_fmac_f32_e32 v57, v8, v60
	v_fmac_f32_e32 v53, v8, v56
	s_waitcnt vmcnt(3)
	v_mul_f32_e32 v22, v5, v66
	s_waitcnt vmcnt(2)
	v_fmac_f32_e32 v22, v6, v67
	s_waitcnt vmcnt(1)
	v_fmac_f32_e32 v22, v7, v68
	s_waitcnt vmcnt(0)
	v_fmac_f32_e32 v22, v8, v69
	s_clause 0x3
	buffer_load_dword v66, off, s[40:43], 0 offset:512
	buffer_load_dword v67, off, s[40:43], 0 offset:516
	buffer_load_dword v68, off, s[40:43], 0 offset:520
	buffer_load_dword v69, off, s[40:43], 0 offset:524
	s_waitcnt vmcnt(3)
	v_mul_f32_e32 v23, v5, v66
	s_waitcnt vmcnt(2)
	v_fmac_f32_e32 v23, v6, v67
	s_waitcnt vmcnt(1)
	v_fmac_f32_e32 v23, v7, v68
	s_waitcnt vmcnt(0)
	v_fmac_f32_e32 v23, v8, v69
	s_clause 0x3
	buffer_load_dword v66, off, s[40:43], 0 offset:496
	buffer_load_dword v67, off, s[40:43], 0 offset:500
	buffer_load_dword v68, off, s[40:43], 0 offset:504
	buffer_load_dword v69, off, s[40:43], 0 offset:508
	;; [unrolled: 13-line block ×22, first 2 shown]
	buffer_load_dword v52, off, s[40:43], 0 offset:552
	s_waitcnt vmcnt(4)
	v_mul_f32_e32 v51, v5, v66
	s_waitcnt vmcnt(0)
	v_add_f32_e32 v52, v52, v0
	buffer_load_dword v0, off, s[40:43], 0 offset:568 ; 4-byte Folded Reload
	v_fmac_f32_e32 v51, v6, v67
	buffer_store_dword v52, off, s[40:43], 0 offset:552 ; 4-byte Folded Spill
	v_fmac_f32_e32 v51, v7, v68
	v_fmac_f32_e32 v51, v8, v69
	s_waitcnt vmcnt(0)
	v_add_f32_e32 v0, v0, v13
	buffer_store_dword v0, off, s[40:43], 0 offset:568 ; 4-byte Folded Spill
	buffer_load_dword v0, off, s[40:43], 0 offset:584 ; 4-byte Folded Reload
	s_waitcnt vmcnt(0)
	v_add_f32_e32 v0, v0, v9
	buffer_store_dword v0, off, s[40:43], 0 offset:584 ; 4-byte Folded Spill
	buffer_load_dword v0, off, s[40:43], 0 offset:600 ; 4-byte Folded Reload
	;; [unrolled: 4-line block ×46, first 2 shown]
	s_waitcnt vmcnt(0)
	v_add_f32_e32 v0, v0, v46
	buffer_store_dword v0, off, s[40:43], 0 offset:812 ; 4-byte Folded Spill
	s_clause 0x7
	buffer_load_dword v9, off, s[40:43], 0 offset:160
	buffer_load_dword v10, off, s[40:43], 0 offset:164
	;; [unrolled: 1-line block ×8, first 2 shown]
	s_waitcnt vmcnt(7)
	v_mul_f32_e32 v0, v5, v9
	s_waitcnt vmcnt(3)
	v_mul_f32_e32 v1, v5, v1
	v_fmac_f32_e32 v0, v6, v10
	s_waitcnt vmcnt(2)
	v_fmac_f32_e32 v1, v6, v2
	buffer_load_dword v2, off, s[40:43], 0 offset:816 ; 4-byte Folded Reload
	v_fmac_f32_e32 v0, v7, v11
	s_waitcnt vmcnt(2)
	v_fmac_f32_e32 v1, v7, v3
	v_fmac_f32_e32 v0, v8, v12
	s_waitcnt vmcnt(1)
	v_fmac_f32_e32 v1, v8, v4
	s_waitcnt vmcnt(0)
	v_add_f32_e32 v2, v2, v47
	buffer_store_dword v2, off, s[40:43], 0 offset:816 ; 4-byte Folded Spill
	s_clause 0x6
	buffer_load_dword v22, off, s[40:43], 0 offset:128
	buffer_load_dword v23, off, s[40:43], 0 offset:132
	;; [unrolled: 1-line block ×7, first 2 shown]
	s_waitcnt vmcnt(6)
	v_mul_f32_e32 v2, v5, v22
	s_waitcnt vmcnt(2)
	v_add_f32_e32 v9, v9, v48
	s_waitcnt vmcnt(1)
	v_add_f32_e32 v3, v3, v51
	v_fmac_f32_e32 v2, v6, v23
	buffer_store_dword v3, off, s[40:43], 0 offset:820 ; 4-byte Folded Spill
	buffer_load_dword v3, off, s[40:43], 0 offset:824 ; 4-byte Folded Reload
	v_fmac_f32_e32 v2, v7, v24
	s_waitcnt vmcnt(1)
	v_add_f32_e32 v10, v10, v50
	v_fmac_f32_e32 v2, v8, v25
	s_waitcnt vmcnt(0)
	v_add_f32_e32 v3, v3, v0
	buffer_load_dword v0, off, s[40:43], 0 offset:828 ; 4-byte Folded Reload
	buffer_store_dword v3, off, s[40:43], 0 offset:824 ; 4-byte Folded Spill
	s_waitcnt vmcnt(0)
	v_add_f32_e32 v0, v0, v1
	buffer_store_dword v0, off, s[40:43], 0 offset:828 ; 4-byte Folded Spill
	s_clause 0x7
	buffer_load_dword v17, off, s[40:43], 0 offset:112
	buffer_load_dword v18, off, s[40:43], 0 offset:116
	;; [unrolled: 1-line block ×8, first 2 shown]
	s_waitcnt vmcnt(7)
	v_mul_f32_e32 v0, v5, v17
	s_clause 0x3
	buffer_load_dword v14, off, s[40:43], 0 offset:80
	buffer_load_dword v15, off, s[40:43], 0 offset:84
	;; [unrolled: 1-line block ×4, first 2 shown]
	s_waitcnt vmcnt(7)
	v_mul_f32_e32 v1, v5, v21
	v_fmac_f32_e32 v0, v6, v18
	s_waitcnt vmcnt(6)
	v_fmac_f32_e32 v1, v6, v22
	v_fmac_f32_e32 v0, v7, v19
	s_waitcnt vmcnt(5)
	v_fmac_f32_e32 v1, v7, v23
	;; [unrolled: 3-line block ×3, first 2 shown]
	s_waitcnt vmcnt(3)
	v_mul_f32_e32 v3, v5, v14
	s_clause 0x3
	buffer_load_dword v11, off, s[40:43], 0 offset:64
	buffer_load_dword v12, off, s[40:43], 0 offset:68
	;; [unrolled: 1-line block ×4, first 2 shown]
	s_waitcnt vmcnt(6)
	v_fmac_f32_e32 v3, v6, v15
	s_waitcnt vmcnt(5)
	v_fmac_f32_e32 v3, v7, v16
	;; [unrolled: 2-line block ×3, first 2 shown]
	s_waitcnt vmcnt(3)
	v_mul_f32_e32 v4, v5, v11
	buffer_load_dword v11, off, s[40:43], 0 offset:832 ; 4-byte Folded Reload
	s_waitcnt vmcnt(3)
	v_fmac_f32_e32 v4, v6, v12
	s_waitcnt vmcnt(2)
	v_fmac_f32_e32 v4, v7, v13
	;; [unrolled: 2-line block ×3, first 2 shown]
	s_waitcnt vmcnt(0)
	v_add_f32_e32 v11, v11, v2
	buffer_store_dword v11, off, s[40:43], 0 offset:832 ; 4-byte Folded Spill
	s_clause 0x4
	buffer_load_dword v20, off, s[40:43], 0 offset:48
	buffer_load_dword v21, off, s[40:43], 0 offset:52
	;; [unrolled: 1-line block ×5, first 2 shown]
	s_waitcnt vmcnt(4)
	v_mul_f32_e32 v2, v5, v20
	s_waitcnt vmcnt(0)
	v_add_f32_e32 v11, v11, v0
	buffer_load_dword v0, off, s[40:43], 0 offset:840 ; 4-byte Folded Reload
	v_fmac_f32_e32 v2, v6, v21
	buffer_store_dword v11, off, s[40:43], 0 offset:836 ; 4-byte Folded Spill
	v_fmac_f32_e32 v2, v7, v22
	v_fmac_f32_e32 v2, v8, v23
	s_waitcnt vmcnt(0)
	v_add_f32_e32 v0, v0, v1
	buffer_store_dword v0, off, s[40:43], 0 offset:840 ; 4-byte Folded Spill
	buffer_load_dword v0, off, s[40:43], 0 offset:844 ; 4-byte Folded Reload
	s_waitcnt vmcnt(0)
	v_add_f32_e32 v0, v0, v3
	buffer_store_dword v0, off, s[40:43], 0 offset:844 ; 4-byte Folded Spill
	buffer_load_dword v0, off, s[40:43], 0 offset:848 ; 4-byte Folded Reload
	s_waitcnt vmcnt(0)
	v_add_f32_e32 v0, v0, v4
	v_mul_f32_e32 v4, v5, v81
	buffer_store_dword v0, off, s[40:43], 0 offset:848 ; 4-byte Folded Spill
	s_clause 0x7
	buffer_load_dword v18, off, s[40:43], 0 offset:32
	buffer_load_dword v19, off, s[40:43], 0 offset:36
	;; [unrolled: 1-line block ×8, first 2 shown]
	v_fmac_f32_e32 v4, v6, v82
	v_fmac_f32_e32 v4, v7, v83
	;; [unrolled: 1-line block ×3, first 2 shown]
	s_waitcnt vmcnt(7)
	v_mul_f32_e32 v0, v5, v18
	s_waitcnt vmcnt(3)
	v_mul_f32_e32 v1, v5, v14
	s_clause 0x3
	buffer_load_dword v11, off, s[40:43], 0
	buffer_load_dword v12, off, s[40:43], 0 offset:4
	buffer_load_dword v13, off, s[40:43], 0 offset:8
	;; [unrolled: 1-line block ×3, first 2 shown]
	v_fmac_f32_e32 v0, v6, v19
	s_waitcnt vmcnt(6)
	v_fmac_f32_e32 v1, v6, v15
	v_fmac_f32_e32 v0, v7, v20
	buffer_load_dword v20, off, s[40:43], 0 offset:864 ; 4-byte Folded Reload
	s_waitcnt vmcnt(6)
	v_fmac_f32_e32 v1, v7, v16
	v_fmac_f32_e32 v0, v8, v21
	s_waitcnt vmcnt(5)
	v_fmac_f32_e32 v1, v8, v17
	s_waitcnt vmcnt(4)
	v_mul_f32_e32 v3, v5, v11
	s_waitcnt vmcnt(3)
	v_fmac_f32_e32 v3, v6, v12
	s_waitcnt vmcnt(2)
	v_fmac_f32_e32 v3, v7, v13
	s_clause 0x5
	buffer_load_dword v12, off, s[40:43], 0 offset:544
	buffer_load_dword v13, off, s[40:43], 0 offset:548
	;; [unrolled: 1-line block ×6, first 2 shown]
	s_waitcnt vmcnt(7)
	v_fmac_f32_e32 v3, v8, v14
	s_waitcnt vmcnt(6)
	v_add_f32_e32 v20, v20, v2
	s_waitcnt vmcnt(5)
	v_add_nc_u32_e32 v12, 4, v12
	s_waitcnt vmcnt(3)
	v_add_f32_e32 v23, v23, v0
	s_waitcnt vmcnt(2)
	v_add_f32_e32 v25, v25, v1
	;; [unrolled: 2-line block ×3, first 2 shown]
	v_cmp_le_i32_e32 vcc_lo, s11, v12
	s_waitcnt vmcnt(0)
	v_add_f32_e32 v81, v81, v4
	s_or_b32 s14, vcc_lo, s14
	s_andn2_b32 exec_lo, exec_lo, s14
	s_cbranch_execz .LBB62_157
.LBB62_29:                              ; =>This Inner Loop Header: Depth=1
	v_ashrrev_i32_e32 v13, 31, v12
	buffer_store_dword v25, off, s[40:43], 0 offset:876 ; 4-byte Folded Spill
	buffer_store_dword v24, off, s[40:43], 0 offset:872 ; 4-byte Folded Spill
	;; [unrolled: 1-line block ×7, first 2 shown]
	v_lshlrev_b64 v[0:1], 2, v[12:13]
	v_add_co_u32 v0, vcc_lo, s4, v0
	v_add_co_ci_u32_e64 v1, null, s5, v1, vcc_lo
	global_load_dword v0, v[0:1], off
	s_waitcnt vmcnt(0)
	v_mad_i64_i32 v[0:1], null, v0, s9, 0
	v_lshlrev_b64 v[0:1], 2, v[0:1]
	v_add_co_u32 v81, vcc_lo, s12, v0
	buffer_load_dword v0, off, s[40:43], 0 offset:884 ; 4-byte Folded Reload
	v_add_co_ci_u32_e64 v82, null, s13, v1, vcc_lo
	s_waitcnt vmcnt(0)
	v_add_co_u32 v9, vcc_lo, v81, v0
	v_add_co_ci_u32_e64 v10, null, 0, v82, vcc_lo
	v_cmp_eq_u32_e32 vcc_lo, s15, v12
	global_load_dwordx4 v[0:3], v[9:10], off
	s_waitcnt vmcnt(0)
	buffer_store_dword v0, off, s[40:43], 0 ; 4-byte Folded Spill
	buffer_store_dword v1, off, s[40:43], 0 offset:4 ; 4-byte Folded Spill
	buffer_store_dword v2, off, s[40:43], 0 offset:8 ; 4-byte Folded Spill
	;; [unrolled: 1-line block ×3, first 2 shown]
	buffer_load_dword v0, off, s[40:43], 0 offset:880 ; 4-byte Folded Reload
	s_waitcnt vmcnt(0)
	v_lshl_or_b32 v126, v12, 5, v0
	v_lshl_add_u32 v0, v126, 2, s6
	v_or_b32_e32 v125, 1, v126
	v_or_b32_e32 v127, 2, v126
	ds_read_b128 v[5:8], v0
	v_mov_b32_e32 v0, v12
	buffer_store_dword v0, off, s[40:43], 0 offset:544 ; 4-byte Folded Spill
	buffer_store_dword v1, off, s[40:43], 0 offset:548 ; 4-byte Folded Spill
	v_or_b32_e32 v0, 3, v126
	s_and_saveexec_b32 s16, vcc_lo
	s_cbranch_execz .LBB62_31
; %bb.30:                               ;   in Loop: Header=BB62_29 Depth=1
	s_clause 0x3
	buffer_load_dword v1, off, s[40:43], 0
	buffer_load_dword v2, off, s[40:43], 0 offset:4
	buffer_load_dword v3, off, s[40:43], 0 offset:8
	;; [unrolled: 1-line block ×3, first 2 shown]
	v_cmp_gt_i32_e64 s1, s27, v126
	s_waitcnt vmcnt(3)
	v_cndmask_b32_e64 v1, 0, v1, s1
	v_cmp_gt_i32_e64 s1, s27, v125
	s_waitcnt vmcnt(2)
	v_cndmask_b32_e64 v2, 0, v2, s1
	;; [unrolled: 3-line block ×4, first 2 shown]
	buffer_store_dword v1, off, s[40:43], 0 ; 4-byte Folded Spill
	buffer_store_dword v2, off, s[40:43], 0 offset:4 ; 4-byte Folded Spill
	buffer_store_dword v3, off, s[40:43], 0 offset:8 ; 4-byte Folded Spill
	;; [unrolled: 1-line block ×3, first 2 shown]
.LBB62_31:                              ;   in Loop: Header=BB62_29 Depth=1
	s_or_b32 exec_lo, exec_lo, s16
	global_load_dwordx4 v[1:4], v[9:10], off offset:512
	s_waitcnt vmcnt(0)
	buffer_store_dword v1, off, s[40:43], 0 offset:16 ; 4-byte Folded Spill
	buffer_store_dword v2, off, s[40:43], 0 offset:20 ; 4-byte Folded Spill
	buffer_store_dword v3, off, s[40:43], 0 offset:24 ; 4-byte Folded Spill
	buffer_store_dword v4, off, s[40:43], 0 offset:28 ; 4-byte Folded Spill
	s_and_saveexec_b32 s16, vcc_lo
	s_cbranch_execz .LBB62_33
; %bb.32:                               ;   in Loop: Header=BB62_29 Depth=1
	s_clause 0x3
	buffer_load_dword v1, off, s[40:43], 0 offset:16
	buffer_load_dword v2, off, s[40:43], 0 offset:20
	buffer_load_dword v3, off, s[40:43], 0 offset:24
	buffer_load_dword v4, off, s[40:43], 0 offset:28
	v_cmp_gt_i32_e64 s1, s27, v126
	s_waitcnt vmcnt(3)
	v_cndmask_b32_e64 v1, 0, v1, s1
	v_cmp_gt_i32_e64 s1, s27, v125
	s_waitcnt vmcnt(2)
	v_cndmask_b32_e64 v2, 0, v2, s1
	v_cmp_gt_i32_e64 s1, s27, v127
	s_waitcnt vmcnt(1)
	v_cndmask_b32_e64 v3, 0, v3, s1
	v_cmp_gt_i32_e64 s1, s27, v0
	s_waitcnt vmcnt(0)
	v_cndmask_b32_e64 v4, 0, v4, s1
	buffer_store_dword v1, off, s[40:43], 0 offset:16 ; 4-byte Folded Spill
	buffer_store_dword v2, off, s[40:43], 0 offset:20 ; 4-byte Folded Spill
	buffer_store_dword v3, off, s[40:43], 0 offset:24 ; 4-byte Folded Spill
	buffer_store_dword v4, off, s[40:43], 0 offset:28 ; 4-byte Folded Spill
.LBB62_33:                              ;   in Loop: Header=BB62_29 Depth=1
	s_or_b32 exec_lo, exec_lo, s16
	global_load_dwordx4 v[1:4], v[9:10], off offset:1024
	s_waitcnt vmcnt(0)
	buffer_store_dword v1, off, s[40:43], 0 offset:32 ; 4-byte Folded Spill
	buffer_store_dword v2, off, s[40:43], 0 offset:36 ; 4-byte Folded Spill
	buffer_store_dword v3, off, s[40:43], 0 offset:40 ; 4-byte Folded Spill
	buffer_store_dword v4, off, s[40:43], 0 offset:44 ; 4-byte Folded Spill
	s_and_saveexec_b32 s16, vcc_lo
	s_cbranch_execz .LBB62_35
; %bb.34:                               ;   in Loop: Header=BB62_29 Depth=1
	s_clause 0x3
	buffer_load_dword v1, off, s[40:43], 0 offset:32
	buffer_load_dword v2, off, s[40:43], 0 offset:36
	buffer_load_dword v3, off, s[40:43], 0 offset:40
	buffer_load_dword v4, off, s[40:43], 0 offset:44
	v_cmp_gt_i32_e64 s1, s27, v126
	s_waitcnt vmcnt(3)
	v_cndmask_b32_e64 v1, 0, v1, s1
	v_cmp_gt_i32_e64 s1, s27, v125
	s_waitcnt vmcnt(2)
	v_cndmask_b32_e64 v2, 0, v2, s1
	v_cmp_gt_i32_e64 s1, s27, v127
	s_waitcnt vmcnt(1)
	v_cndmask_b32_e64 v3, 0, v3, s1
	v_cmp_gt_i32_e64 s1, s27, v0
	s_waitcnt vmcnt(0)
	v_cndmask_b32_e64 v4, 0, v4, s1
	buffer_store_dword v1, off, s[40:43], 0 offset:32 ; 4-byte Folded Spill
	buffer_store_dword v2, off, s[40:43], 0 offset:36 ; 4-byte Folded Spill
	buffer_store_dword v3, off, s[40:43], 0 offset:40 ; 4-byte Folded Spill
	buffer_store_dword v4, off, s[40:43], 0 offset:44 ; 4-byte Folded Spill
.LBB62_35:                              ;   in Loop: Header=BB62_29 Depth=1
	;; [unrolled: 32-line block ×3, first 2 shown]
	s_or_b32 exec_lo, exec_lo, s16
	v_add_co_u32 v1, s1, 0x800, v9
	v_add_co_ci_u32_e64 v2, null, 0, v10, s1
	global_load_dwordx4 v[11:14], v[1:2], off
	s_waitcnt vmcnt(0)
	buffer_store_dword v11, off, s[40:43], 0 offset:64 ; 4-byte Folded Spill
	buffer_store_dword v12, off, s[40:43], 0 offset:68 ; 4-byte Folded Spill
	buffer_store_dword v13, off, s[40:43], 0 offset:72 ; 4-byte Folded Spill
	buffer_store_dword v14, off, s[40:43], 0 offset:76 ; 4-byte Folded Spill
	s_and_saveexec_b32 s16, vcc_lo
	s_cbranch_execz .LBB62_39
; %bb.38:                               ;   in Loop: Header=BB62_29 Depth=1
	s_clause 0x3
	buffer_load_dword v11, off, s[40:43], 0 offset:64
	buffer_load_dword v12, off, s[40:43], 0 offset:68
	buffer_load_dword v13, off, s[40:43], 0 offset:72
	buffer_load_dword v14, off, s[40:43], 0 offset:76
	v_cmp_gt_i32_e64 s1, s27, v126
	s_waitcnt vmcnt(3)
	v_cndmask_b32_e64 v11, 0, v11, s1
	v_cmp_gt_i32_e64 s1, s27, v125
	s_waitcnt vmcnt(2)
	v_cndmask_b32_e64 v12, 0, v12, s1
	v_cmp_gt_i32_e64 s1, s27, v127
	s_waitcnt vmcnt(1)
	v_cndmask_b32_e64 v13, 0, v13, s1
	v_cmp_gt_i32_e64 s1, s27, v0
	s_waitcnt vmcnt(0)
	v_cndmask_b32_e64 v14, 0, v14, s1
	buffer_store_dword v11, off, s[40:43], 0 offset:64 ; 4-byte Folded Spill
	buffer_store_dword v12, off, s[40:43], 0 offset:68 ; 4-byte Folded Spill
	buffer_store_dword v13, off, s[40:43], 0 offset:72 ; 4-byte Folded Spill
	buffer_store_dword v14, off, s[40:43], 0 offset:76 ; 4-byte Folded Spill
.LBB62_39:                              ;   in Loop: Header=BB62_29 Depth=1
	s_or_b32 exec_lo, exec_lo, s16
	global_load_dwordx4 v[11:14], v[1:2], off offset:512
	s_waitcnt vmcnt(0)
	buffer_store_dword v11, off, s[40:43], 0 offset:80 ; 4-byte Folded Spill
	buffer_store_dword v12, off, s[40:43], 0 offset:84 ; 4-byte Folded Spill
	buffer_store_dword v13, off, s[40:43], 0 offset:88 ; 4-byte Folded Spill
	buffer_store_dword v14, off, s[40:43], 0 offset:92 ; 4-byte Folded Spill
	s_and_saveexec_b32 s16, vcc_lo
	s_cbranch_execz .LBB62_41
; %bb.40:                               ;   in Loop: Header=BB62_29 Depth=1
	s_clause 0x3
	buffer_load_dword v11, off, s[40:43], 0 offset:80
	buffer_load_dword v12, off, s[40:43], 0 offset:84
	buffer_load_dword v13, off, s[40:43], 0 offset:88
	buffer_load_dword v14, off, s[40:43], 0 offset:92
	v_cmp_gt_i32_e64 s1, s27, v126
	s_waitcnt vmcnt(3)
	v_cndmask_b32_e64 v11, 0, v11, s1
	v_cmp_gt_i32_e64 s1, s27, v125
	s_waitcnt vmcnt(2)
	v_cndmask_b32_e64 v12, 0, v12, s1
	v_cmp_gt_i32_e64 s1, s27, v127
	s_waitcnt vmcnt(1)
	v_cndmask_b32_e64 v13, 0, v13, s1
	v_cmp_gt_i32_e64 s1, s27, v0
	s_waitcnt vmcnt(0)
	v_cndmask_b32_e64 v14, 0, v14, s1
	buffer_store_dword v11, off, s[40:43], 0 offset:80 ; 4-byte Folded Spill
	buffer_store_dword v12, off, s[40:43], 0 offset:84 ; 4-byte Folded Spill
	buffer_store_dword v13, off, s[40:43], 0 offset:88 ; 4-byte Folded Spill
	buffer_store_dword v14, off, s[40:43], 0 offset:92 ; 4-byte Folded Spill
.LBB62_41:                              ;   in Loop: Header=BB62_29 Depth=1
	s_or_b32 exec_lo, exec_lo, s16
	global_load_dwordx4 v[11:14], v[1:2], off offset:1024
	;; [unrolled: 32-line block ×3, first 2 shown]
	s_waitcnt vmcnt(0)
	buffer_store_dword v1, off, s[40:43], 0 offset:112 ; 4-byte Folded Spill
	buffer_store_dword v2, off, s[40:43], 0 offset:116 ; 4-byte Folded Spill
	;; [unrolled: 1-line block ×4, first 2 shown]
	s_and_saveexec_b32 s16, vcc_lo
	s_cbranch_execz .LBB62_45
; %bb.44:                               ;   in Loop: Header=BB62_29 Depth=1
	s_clause 0x3
	buffer_load_dword v1, off, s[40:43], 0 offset:112
	buffer_load_dword v2, off, s[40:43], 0 offset:116
	;; [unrolled: 1-line block ×4, first 2 shown]
	v_cmp_gt_i32_e64 s1, s27, v126
	s_waitcnt vmcnt(3)
	v_cndmask_b32_e64 v1, 0, v1, s1
	v_cmp_gt_i32_e64 s1, s27, v125
	s_waitcnt vmcnt(2)
	v_cndmask_b32_e64 v2, 0, v2, s1
	;; [unrolled: 3-line block ×4, first 2 shown]
	buffer_store_dword v1, off, s[40:43], 0 offset:112 ; 4-byte Folded Spill
	buffer_store_dword v2, off, s[40:43], 0 offset:116 ; 4-byte Folded Spill
	;; [unrolled: 1-line block ×4, first 2 shown]
.LBB62_45:                              ;   in Loop: Header=BB62_29 Depth=1
	s_or_b32 exec_lo, exec_lo, s16
	v_add_co_u32 v1, s1, 0x1000, v9
	v_add_co_ci_u32_e64 v2, null, 0, v10, s1
	global_load_dwordx4 v[11:14], v[1:2], off
	s_waitcnt vmcnt(0)
	buffer_store_dword v11, off, s[40:43], 0 offset:128 ; 4-byte Folded Spill
	buffer_store_dword v12, off, s[40:43], 0 offset:132 ; 4-byte Folded Spill
	buffer_store_dword v13, off, s[40:43], 0 offset:136 ; 4-byte Folded Spill
	buffer_store_dword v14, off, s[40:43], 0 offset:140 ; 4-byte Folded Spill
	s_and_saveexec_b32 s16, vcc_lo
	s_cbranch_execz .LBB62_47
; %bb.46:                               ;   in Loop: Header=BB62_29 Depth=1
	s_clause 0x3
	buffer_load_dword v11, off, s[40:43], 0 offset:128
	buffer_load_dword v12, off, s[40:43], 0 offset:132
	buffer_load_dword v13, off, s[40:43], 0 offset:136
	buffer_load_dword v14, off, s[40:43], 0 offset:140
	v_cmp_gt_i32_e64 s1, s27, v126
	s_waitcnt vmcnt(3)
	v_cndmask_b32_e64 v11, 0, v11, s1
	v_cmp_gt_i32_e64 s1, s27, v125
	s_waitcnt vmcnt(2)
	v_cndmask_b32_e64 v12, 0, v12, s1
	v_cmp_gt_i32_e64 s1, s27, v127
	s_waitcnt vmcnt(1)
	v_cndmask_b32_e64 v13, 0, v13, s1
	v_cmp_gt_i32_e64 s1, s27, v0
	s_waitcnt vmcnt(0)
	v_cndmask_b32_e64 v14, 0, v14, s1
	buffer_store_dword v11, off, s[40:43], 0 offset:128 ; 4-byte Folded Spill
	buffer_store_dword v12, off, s[40:43], 0 offset:132 ; 4-byte Folded Spill
	buffer_store_dword v13, off, s[40:43], 0 offset:136 ; 4-byte Folded Spill
	buffer_store_dword v14, off, s[40:43], 0 offset:140 ; 4-byte Folded Spill
.LBB62_47:                              ;   in Loop: Header=BB62_29 Depth=1
	s_or_b32 exec_lo, exec_lo, s16
	global_load_dwordx4 v[11:14], v[1:2], off offset:512
	s_waitcnt vmcnt(0)
	buffer_store_dword v11, off, s[40:43], 0 offset:144 ; 4-byte Folded Spill
	buffer_store_dword v12, off, s[40:43], 0 offset:148 ; 4-byte Folded Spill
	buffer_store_dword v13, off, s[40:43], 0 offset:152 ; 4-byte Folded Spill
	buffer_store_dword v14, off, s[40:43], 0 offset:156 ; 4-byte Folded Spill
	s_and_saveexec_b32 s16, vcc_lo
	s_cbranch_execz .LBB62_49
; %bb.48:                               ;   in Loop: Header=BB62_29 Depth=1
	s_clause 0x3
	buffer_load_dword v11, off, s[40:43], 0 offset:144
	buffer_load_dword v12, off, s[40:43], 0 offset:148
	buffer_load_dword v13, off, s[40:43], 0 offset:152
	buffer_load_dword v14, off, s[40:43], 0 offset:156
	v_cmp_gt_i32_e64 s1, s27, v126
	s_waitcnt vmcnt(3)
	v_cndmask_b32_e64 v11, 0, v11, s1
	v_cmp_gt_i32_e64 s1, s27, v125
	s_waitcnt vmcnt(2)
	v_cndmask_b32_e64 v12, 0, v12, s1
	v_cmp_gt_i32_e64 s1, s27, v127
	s_waitcnt vmcnt(1)
	v_cndmask_b32_e64 v13, 0, v13, s1
	v_cmp_gt_i32_e64 s1, s27, v0
	s_waitcnt vmcnt(0)
	v_cndmask_b32_e64 v14, 0, v14, s1
	buffer_store_dword v11, off, s[40:43], 0 offset:144 ; 4-byte Folded Spill
	buffer_store_dword v12, off, s[40:43], 0 offset:148 ; 4-byte Folded Spill
	buffer_store_dword v13, off, s[40:43], 0 offset:152 ; 4-byte Folded Spill
	buffer_store_dword v14, off, s[40:43], 0 offset:156 ; 4-byte Folded Spill
.LBB62_49:                              ;   in Loop: Header=BB62_29 Depth=1
	s_or_b32 exec_lo, exec_lo, s16
	global_load_dwordx4 v[11:14], v[1:2], off offset:1024
	;; [unrolled: 32-line block ×3, first 2 shown]
	s_waitcnt vmcnt(0)
	buffer_store_dword v1, off, s[40:43], 0 offset:176 ; 4-byte Folded Spill
	buffer_store_dword v2, off, s[40:43], 0 offset:180 ; 4-byte Folded Spill
	buffer_store_dword v3, off, s[40:43], 0 offset:184 ; 4-byte Folded Spill
	buffer_store_dword v4, off, s[40:43], 0 offset:188 ; 4-byte Folded Spill
	s_and_saveexec_b32 s16, vcc_lo
	s_cbranch_execz .LBB62_53
; %bb.52:                               ;   in Loop: Header=BB62_29 Depth=1
	s_clause 0x3
	buffer_load_dword v1, off, s[40:43], 0 offset:176
	buffer_load_dword v2, off, s[40:43], 0 offset:180
	buffer_load_dword v3, off, s[40:43], 0 offset:184
	buffer_load_dword v4, off, s[40:43], 0 offset:188
	v_cmp_gt_i32_e64 s1, s27, v126
	s_waitcnt vmcnt(3)
	v_cndmask_b32_e64 v1, 0, v1, s1
	v_cmp_gt_i32_e64 s1, s27, v125
	s_waitcnt vmcnt(2)
	v_cndmask_b32_e64 v2, 0, v2, s1
	;; [unrolled: 3-line block ×4, first 2 shown]
	buffer_store_dword v1, off, s[40:43], 0 offset:176 ; 4-byte Folded Spill
	buffer_store_dword v2, off, s[40:43], 0 offset:180 ; 4-byte Folded Spill
	;; [unrolled: 1-line block ×4, first 2 shown]
.LBB62_53:                              ;   in Loop: Header=BB62_29 Depth=1
	s_or_b32 exec_lo, exec_lo, s16
	v_add_co_u32 v1, s1, 0x1800, v9
	v_add_co_ci_u32_e64 v2, null, 0, v10, s1
	global_load_dwordx4 v[11:14], v[1:2], off
	s_waitcnt vmcnt(0)
	buffer_store_dword v11, off, s[40:43], 0 offset:192 ; 4-byte Folded Spill
	buffer_store_dword v12, off, s[40:43], 0 offset:196 ; 4-byte Folded Spill
	buffer_store_dword v13, off, s[40:43], 0 offset:200 ; 4-byte Folded Spill
	buffer_store_dword v14, off, s[40:43], 0 offset:204 ; 4-byte Folded Spill
	s_and_saveexec_b32 s16, vcc_lo
	s_cbranch_execz .LBB62_55
; %bb.54:                               ;   in Loop: Header=BB62_29 Depth=1
	s_clause 0x3
	buffer_load_dword v11, off, s[40:43], 0 offset:192
	buffer_load_dword v12, off, s[40:43], 0 offset:196
	buffer_load_dword v13, off, s[40:43], 0 offset:200
	buffer_load_dword v14, off, s[40:43], 0 offset:204
	v_cmp_gt_i32_e64 s1, s27, v126
	s_waitcnt vmcnt(3)
	v_cndmask_b32_e64 v11, 0, v11, s1
	v_cmp_gt_i32_e64 s1, s27, v125
	s_waitcnt vmcnt(2)
	v_cndmask_b32_e64 v12, 0, v12, s1
	v_cmp_gt_i32_e64 s1, s27, v127
	s_waitcnt vmcnt(1)
	v_cndmask_b32_e64 v13, 0, v13, s1
	v_cmp_gt_i32_e64 s1, s27, v0
	s_waitcnt vmcnt(0)
	v_cndmask_b32_e64 v14, 0, v14, s1
	buffer_store_dword v11, off, s[40:43], 0 offset:192 ; 4-byte Folded Spill
	buffer_store_dword v12, off, s[40:43], 0 offset:196 ; 4-byte Folded Spill
	buffer_store_dword v13, off, s[40:43], 0 offset:200 ; 4-byte Folded Spill
	buffer_store_dword v14, off, s[40:43], 0 offset:204 ; 4-byte Folded Spill
.LBB62_55:                              ;   in Loop: Header=BB62_29 Depth=1
	s_or_b32 exec_lo, exec_lo, s16
	global_load_dwordx4 v[11:14], v[1:2], off offset:512
	s_waitcnt vmcnt(0)
	buffer_store_dword v11, off, s[40:43], 0 offset:208 ; 4-byte Folded Spill
	buffer_store_dword v12, off, s[40:43], 0 offset:212 ; 4-byte Folded Spill
	buffer_store_dword v13, off, s[40:43], 0 offset:216 ; 4-byte Folded Spill
	buffer_store_dword v14, off, s[40:43], 0 offset:220 ; 4-byte Folded Spill
	s_and_saveexec_b32 s16, vcc_lo
	s_cbranch_execz .LBB62_57
; %bb.56:                               ;   in Loop: Header=BB62_29 Depth=1
	s_clause 0x3
	buffer_load_dword v11, off, s[40:43], 0 offset:208
	buffer_load_dword v12, off, s[40:43], 0 offset:212
	buffer_load_dword v13, off, s[40:43], 0 offset:216
	buffer_load_dword v14, off, s[40:43], 0 offset:220
	v_cmp_gt_i32_e64 s1, s27, v126
	s_waitcnt vmcnt(3)
	v_cndmask_b32_e64 v11, 0, v11, s1
	v_cmp_gt_i32_e64 s1, s27, v125
	s_waitcnt vmcnt(2)
	v_cndmask_b32_e64 v12, 0, v12, s1
	v_cmp_gt_i32_e64 s1, s27, v127
	s_waitcnt vmcnt(1)
	v_cndmask_b32_e64 v13, 0, v13, s1
	v_cmp_gt_i32_e64 s1, s27, v0
	s_waitcnt vmcnt(0)
	v_cndmask_b32_e64 v14, 0, v14, s1
	buffer_store_dword v11, off, s[40:43], 0 offset:208 ; 4-byte Folded Spill
	buffer_store_dword v12, off, s[40:43], 0 offset:212 ; 4-byte Folded Spill
	buffer_store_dword v13, off, s[40:43], 0 offset:216 ; 4-byte Folded Spill
	buffer_store_dword v14, off, s[40:43], 0 offset:220 ; 4-byte Folded Spill
.LBB62_57:                              ;   in Loop: Header=BB62_29 Depth=1
	s_or_b32 exec_lo, exec_lo, s16
	global_load_dwordx4 v[11:14], v[1:2], off offset:1024
	;; [unrolled: 32-line block ×3, first 2 shown]
	s_waitcnt vmcnt(0)
	buffer_store_dword v1, off, s[40:43], 0 offset:240 ; 4-byte Folded Spill
	buffer_store_dword v2, off, s[40:43], 0 offset:244 ; 4-byte Folded Spill
	;; [unrolled: 1-line block ×4, first 2 shown]
	s_and_saveexec_b32 s16, vcc_lo
	s_cbranch_execz .LBB62_61
; %bb.60:                               ;   in Loop: Header=BB62_29 Depth=1
	s_clause 0x3
	buffer_load_dword v1, off, s[40:43], 0 offset:240
	buffer_load_dword v2, off, s[40:43], 0 offset:244
	;; [unrolled: 1-line block ×4, first 2 shown]
	v_cmp_gt_i32_e64 s1, s27, v126
	s_waitcnt vmcnt(3)
	v_cndmask_b32_e64 v1, 0, v1, s1
	v_cmp_gt_i32_e64 s1, s27, v125
	s_waitcnt vmcnt(2)
	v_cndmask_b32_e64 v2, 0, v2, s1
	;; [unrolled: 3-line block ×4, first 2 shown]
	buffer_store_dword v1, off, s[40:43], 0 offset:240 ; 4-byte Folded Spill
	buffer_store_dword v2, off, s[40:43], 0 offset:244 ; 4-byte Folded Spill
	;; [unrolled: 1-line block ×4, first 2 shown]
.LBB62_61:                              ;   in Loop: Header=BB62_29 Depth=1
	s_or_b32 exec_lo, exec_lo, s16
	v_add_co_u32 v1, s1, 0x2000, v9
	v_add_co_ci_u32_e64 v2, null, 0, v10, s1
	global_load_dwordx4 v[11:14], v[1:2], off
	s_waitcnt vmcnt(0)
	buffer_store_dword v11, off, s[40:43], 0 offset:256 ; 4-byte Folded Spill
	buffer_store_dword v12, off, s[40:43], 0 offset:260 ; 4-byte Folded Spill
	buffer_store_dword v13, off, s[40:43], 0 offset:264 ; 4-byte Folded Spill
	buffer_store_dword v14, off, s[40:43], 0 offset:268 ; 4-byte Folded Spill
	s_and_saveexec_b32 s16, vcc_lo
	s_cbranch_execz .LBB62_63
; %bb.62:                               ;   in Loop: Header=BB62_29 Depth=1
	s_clause 0x3
	buffer_load_dword v11, off, s[40:43], 0 offset:256
	buffer_load_dword v12, off, s[40:43], 0 offset:260
	buffer_load_dword v13, off, s[40:43], 0 offset:264
	buffer_load_dword v14, off, s[40:43], 0 offset:268
	v_cmp_gt_i32_e64 s1, s27, v126
	s_waitcnt vmcnt(3)
	v_cndmask_b32_e64 v11, 0, v11, s1
	v_cmp_gt_i32_e64 s1, s27, v125
	s_waitcnt vmcnt(2)
	v_cndmask_b32_e64 v12, 0, v12, s1
	v_cmp_gt_i32_e64 s1, s27, v127
	s_waitcnt vmcnt(1)
	v_cndmask_b32_e64 v13, 0, v13, s1
	v_cmp_gt_i32_e64 s1, s27, v0
	s_waitcnt vmcnt(0)
	v_cndmask_b32_e64 v14, 0, v14, s1
	buffer_store_dword v11, off, s[40:43], 0 offset:256 ; 4-byte Folded Spill
	buffer_store_dword v12, off, s[40:43], 0 offset:260 ; 4-byte Folded Spill
	buffer_store_dword v13, off, s[40:43], 0 offset:264 ; 4-byte Folded Spill
	buffer_store_dword v14, off, s[40:43], 0 offset:268 ; 4-byte Folded Spill
.LBB62_63:                              ;   in Loop: Header=BB62_29 Depth=1
	s_or_b32 exec_lo, exec_lo, s16
	global_load_dwordx4 v[11:14], v[1:2], off offset:512
	s_waitcnt vmcnt(0)
	buffer_store_dword v11, off, s[40:43], 0 offset:272 ; 4-byte Folded Spill
	buffer_store_dword v12, off, s[40:43], 0 offset:276 ; 4-byte Folded Spill
	buffer_store_dword v13, off, s[40:43], 0 offset:280 ; 4-byte Folded Spill
	buffer_store_dword v14, off, s[40:43], 0 offset:284 ; 4-byte Folded Spill
	s_and_saveexec_b32 s16, vcc_lo
	s_cbranch_execz .LBB62_65
; %bb.64:                               ;   in Loop: Header=BB62_29 Depth=1
	s_clause 0x3
	buffer_load_dword v11, off, s[40:43], 0 offset:272
	buffer_load_dword v12, off, s[40:43], 0 offset:276
	buffer_load_dword v13, off, s[40:43], 0 offset:280
	buffer_load_dword v14, off, s[40:43], 0 offset:284
	v_cmp_gt_i32_e64 s1, s27, v126
	s_waitcnt vmcnt(3)
	v_cndmask_b32_e64 v11, 0, v11, s1
	v_cmp_gt_i32_e64 s1, s27, v125
	s_waitcnt vmcnt(2)
	v_cndmask_b32_e64 v12, 0, v12, s1
	v_cmp_gt_i32_e64 s1, s27, v127
	s_waitcnt vmcnt(1)
	v_cndmask_b32_e64 v13, 0, v13, s1
	v_cmp_gt_i32_e64 s1, s27, v0
	s_waitcnt vmcnt(0)
	v_cndmask_b32_e64 v14, 0, v14, s1
	buffer_store_dword v11, off, s[40:43], 0 offset:272 ; 4-byte Folded Spill
	buffer_store_dword v12, off, s[40:43], 0 offset:276 ; 4-byte Folded Spill
	buffer_store_dword v13, off, s[40:43], 0 offset:280 ; 4-byte Folded Spill
	buffer_store_dword v14, off, s[40:43], 0 offset:284 ; 4-byte Folded Spill
.LBB62_65:                              ;   in Loop: Header=BB62_29 Depth=1
	s_or_b32 exec_lo, exec_lo, s16
	global_load_dwordx4 v[11:14], v[1:2], off offset:1024
	;; [unrolled: 32-line block ×3, first 2 shown]
	s_waitcnt vmcnt(0)
	buffer_store_dword v1, off, s[40:43], 0 offset:304 ; 4-byte Folded Spill
	buffer_store_dword v2, off, s[40:43], 0 offset:308 ; 4-byte Folded Spill
	;; [unrolled: 1-line block ×4, first 2 shown]
	s_and_saveexec_b32 s16, vcc_lo
	s_cbranch_execz .LBB62_69
; %bb.68:                               ;   in Loop: Header=BB62_29 Depth=1
	s_clause 0x3
	buffer_load_dword v1, off, s[40:43], 0 offset:304
	buffer_load_dword v2, off, s[40:43], 0 offset:308
	;; [unrolled: 1-line block ×4, first 2 shown]
	v_cmp_gt_i32_e64 s1, s27, v126
	s_waitcnt vmcnt(3)
	v_cndmask_b32_e64 v1, 0, v1, s1
	v_cmp_gt_i32_e64 s1, s27, v125
	s_waitcnt vmcnt(2)
	v_cndmask_b32_e64 v2, 0, v2, s1
	;; [unrolled: 3-line block ×4, first 2 shown]
	buffer_store_dword v1, off, s[40:43], 0 offset:304 ; 4-byte Folded Spill
	buffer_store_dword v2, off, s[40:43], 0 offset:308 ; 4-byte Folded Spill
	;; [unrolled: 1-line block ×4, first 2 shown]
.LBB62_69:                              ;   in Loop: Header=BB62_29 Depth=1
	s_or_b32 exec_lo, exec_lo, s16
	v_add_co_u32 v1, s1, 0x2800, v9
	v_add_co_ci_u32_e64 v2, null, 0, v10, s1
	global_load_dwordx4 v[11:14], v[1:2], off
	s_waitcnt vmcnt(0)
	buffer_store_dword v11, off, s[40:43], 0 offset:320 ; 4-byte Folded Spill
	buffer_store_dword v12, off, s[40:43], 0 offset:324 ; 4-byte Folded Spill
	buffer_store_dword v13, off, s[40:43], 0 offset:328 ; 4-byte Folded Spill
	buffer_store_dword v14, off, s[40:43], 0 offset:332 ; 4-byte Folded Spill
	s_and_saveexec_b32 s16, vcc_lo
	s_cbranch_execz .LBB62_71
; %bb.70:                               ;   in Loop: Header=BB62_29 Depth=1
	s_clause 0x3
	buffer_load_dword v11, off, s[40:43], 0 offset:320
	buffer_load_dword v12, off, s[40:43], 0 offset:324
	buffer_load_dword v13, off, s[40:43], 0 offset:328
	buffer_load_dword v14, off, s[40:43], 0 offset:332
	v_cmp_gt_i32_e64 s1, s27, v126
	s_waitcnt vmcnt(3)
	v_cndmask_b32_e64 v11, 0, v11, s1
	v_cmp_gt_i32_e64 s1, s27, v125
	s_waitcnt vmcnt(2)
	v_cndmask_b32_e64 v12, 0, v12, s1
	v_cmp_gt_i32_e64 s1, s27, v127
	s_waitcnt vmcnt(1)
	v_cndmask_b32_e64 v13, 0, v13, s1
	v_cmp_gt_i32_e64 s1, s27, v0
	s_waitcnt vmcnt(0)
	v_cndmask_b32_e64 v14, 0, v14, s1
	buffer_store_dword v11, off, s[40:43], 0 offset:320 ; 4-byte Folded Spill
	buffer_store_dword v12, off, s[40:43], 0 offset:324 ; 4-byte Folded Spill
	buffer_store_dword v13, off, s[40:43], 0 offset:328 ; 4-byte Folded Spill
	buffer_store_dword v14, off, s[40:43], 0 offset:332 ; 4-byte Folded Spill
.LBB62_71:                              ;   in Loop: Header=BB62_29 Depth=1
	s_or_b32 exec_lo, exec_lo, s16
	global_load_dwordx4 v[11:14], v[1:2], off offset:512
	s_waitcnt vmcnt(0)
	buffer_store_dword v11, off, s[40:43], 0 offset:336 ; 4-byte Folded Spill
	buffer_store_dword v12, off, s[40:43], 0 offset:340 ; 4-byte Folded Spill
	buffer_store_dword v13, off, s[40:43], 0 offset:344 ; 4-byte Folded Spill
	buffer_store_dword v14, off, s[40:43], 0 offset:348 ; 4-byte Folded Spill
	s_and_saveexec_b32 s16, vcc_lo
	s_cbranch_execz .LBB62_73
; %bb.72:                               ;   in Loop: Header=BB62_29 Depth=1
	s_clause 0x3
	buffer_load_dword v11, off, s[40:43], 0 offset:336
	buffer_load_dword v12, off, s[40:43], 0 offset:340
	buffer_load_dword v13, off, s[40:43], 0 offset:344
	buffer_load_dword v14, off, s[40:43], 0 offset:348
	v_cmp_gt_i32_e64 s1, s27, v126
	s_waitcnt vmcnt(3)
	v_cndmask_b32_e64 v11, 0, v11, s1
	v_cmp_gt_i32_e64 s1, s27, v125
	s_waitcnt vmcnt(2)
	v_cndmask_b32_e64 v12, 0, v12, s1
	v_cmp_gt_i32_e64 s1, s27, v127
	s_waitcnt vmcnt(1)
	v_cndmask_b32_e64 v13, 0, v13, s1
	v_cmp_gt_i32_e64 s1, s27, v0
	s_waitcnt vmcnt(0)
	v_cndmask_b32_e64 v14, 0, v14, s1
	buffer_store_dword v11, off, s[40:43], 0 offset:336 ; 4-byte Folded Spill
	buffer_store_dword v12, off, s[40:43], 0 offset:340 ; 4-byte Folded Spill
	buffer_store_dword v13, off, s[40:43], 0 offset:344 ; 4-byte Folded Spill
	buffer_store_dword v14, off, s[40:43], 0 offset:348 ; 4-byte Folded Spill
.LBB62_73:                              ;   in Loop: Header=BB62_29 Depth=1
	s_or_b32 exec_lo, exec_lo, s16
	global_load_dwordx4 v[11:14], v[1:2], off offset:1024
	;; [unrolled: 32-line block ×3, first 2 shown]
	s_waitcnt vmcnt(0)
	buffer_store_dword v1, off, s[40:43], 0 offset:368 ; 4-byte Folded Spill
	buffer_store_dword v2, off, s[40:43], 0 offset:372 ; 4-byte Folded Spill
	;; [unrolled: 1-line block ×4, first 2 shown]
	s_and_saveexec_b32 s16, vcc_lo
	s_cbranch_execz .LBB62_77
; %bb.76:                               ;   in Loop: Header=BB62_29 Depth=1
	s_clause 0x3
	buffer_load_dword v1, off, s[40:43], 0 offset:368
	buffer_load_dword v2, off, s[40:43], 0 offset:372
	;; [unrolled: 1-line block ×4, first 2 shown]
	v_cmp_gt_i32_e64 s1, s27, v126
	s_waitcnt vmcnt(3)
	v_cndmask_b32_e64 v1, 0, v1, s1
	v_cmp_gt_i32_e64 s1, s27, v125
	s_waitcnt vmcnt(2)
	v_cndmask_b32_e64 v2, 0, v2, s1
	;; [unrolled: 3-line block ×4, first 2 shown]
	buffer_store_dword v1, off, s[40:43], 0 offset:368 ; 4-byte Folded Spill
	buffer_store_dword v2, off, s[40:43], 0 offset:372 ; 4-byte Folded Spill
	;; [unrolled: 1-line block ×4, first 2 shown]
.LBB62_77:                              ;   in Loop: Header=BB62_29 Depth=1
	s_or_b32 exec_lo, exec_lo, s16
	v_add_co_u32 v1, s1, 0x3000, v9
	v_add_co_ci_u32_e64 v2, null, 0, v10, s1
	global_load_dwordx4 v[11:14], v[1:2], off
	s_waitcnt vmcnt(0)
	buffer_store_dword v11, off, s[40:43], 0 offset:384 ; 4-byte Folded Spill
	buffer_store_dword v12, off, s[40:43], 0 offset:388 ; 4-byte Folded Spill
	buffer_store_dword v13, off, s[40:43], 0 offset:392 ; 4-byte Folded Spill
	buffer_store_dword v14, off, s[40:43], 0 offset:396 ; 4-byte Folded Spill
	s_and_saveexec_b32 s16, vcc_lo
	s_cbranch_execz .LBB62_79
; %bb.78:                               ;   in Loop: Header=BB62_29 Depth=1
	s_clause 0x3
	buffer_load_dword v11, off, s[40:43], 0 offset:384
	buffer_load_dword v12, off, s[40:43], 0 offset:388
	buffer_load_dword v13, off, s[40:43], 0 offset:392
	buffer_load_dword v14, off, s[40:43], 0 offset:396
	v_cmp_gt_i32_e64 s1, s27, v126
	s_waitcnt vmcnt(3)
	v_cndmask_b32_e64 v11, 0, v11, s1
	v_cmp_gt_i32_e64 s1, s27, v125
	s_waitcnt vmcnt(2)
	v_cndmask_b32_e64 v12, 0, v12, s1
	v_cmp_gt_i32_e64 s1, s27, v127
	s_waitcnt vmcnt(1)
	v_cndmask_b32_e64 v13, 0, v13, s1
	v_cmp_gt_i32_e64 s1, s27, v0
	s_waitcnt vmcnt(0)
	v_cndmask_b32_e64 v14, 0, v14, s1
	buffer_store_dword v11, off, s[40:43], 0 offset:384 ; 4-byte Folded Spill
	buffer_store_dword v12, off, s[40:43], 0 offset:388 ; 4-byte Folded Spill
	buffer_store_dword v13, off, s[40:43], 0 offset:392 ; 4-byte Folded Spill
	buffer_store_dword v14, off, s[40:43], 0 offset:396 ; 4-byte Folded Spill
.LBB62_79:                              ;   in Loop: Header=BB62_29 Depth=1
	s_or_b32 exec_lo, exec_lo, s16
	global_load_dwordx4 v[11:14], v[1:2], off offset:512
	s_waitcnt vmcnt(0)
	buffer_store_dword v11, off, s[40:43], 0 offset:400 ; 4-byte Folded Spill
	buffer_store_dword v12, off, s[40:43], 0 offset:404 ; 4-byte Folded Spill
	buffer_store_dword v13, off, s[40:43], 0 offset:408 ; 4-byte Folded Spill
	buffer_store_dword v14, off, s[40:43], 0 offset:412 ; 4-byte Folded Spill
	s_and_saveexec_b32 s16, vcc_lo
	s_cbranch_execz .LBB62_81
; %bb.80:                               ;   in Loop: Header=BB62_29 Depth=1
	s_clause 0x3
	buffer_load_dword v11, off, s[40:43], 0 offset:400
	buffer_load_dword v12, off, s[40:43], 0 offset:404
	buffer_load_dword v13, off, s[40:43], 0 offset:408
	buffer_load_dword v14, off, s[40:43], 0 offset:412
	v_cmp_gt_i32_e64 s1, s27, v126
	s_waitcnt vmcnt(3)
	v_cndmask_b32_e64 v11, 0, v11, s1
	v_cmp_gt_i32_e64 s1, s27, v125
	s_waitcnt vmcnt(2)
	v_cndmask_b32_e64 v12, 0, v12, s1
	v_cmp_gt_i32_e64 s1, s27, v127
	s_waitcnt vmcnt(1)
	v_cndmask_b32_e64 v13, 0, v13, s1
	v_cmp_gt_i32_e64 s1, s27, v0
	s_waitcnt vmcnt(0)
	v_cndmask_b32_e64 v14, 0, v14, s1
	buffer_store_dword v11, off, s[40:43], 0 offset:400 ; 4-byte Folded Spill
	buffer_store_dword v12, off, s[40:43], 0 offset:404 ; 4-byte Folded Spill
	buffer_store_dword v13, off, s[40:43], 0 offset:408 ; 4-byte Folded Spill
	buffer_store_dword v14, off, s[40:43], 0 offset:412 ; 4-byte Folded Spill
.LBB62_81:                              ;   in Loop: Header=BB62_29 Depth=1
	s_or_b32 exec_lo, exec_lo, s16
	global_load_dwordx4 v[11:14], v[1:2], off offset:1024
	s_waitcnt vmcnt(0)
	buffer_store_dword v11, off, s[40:43], 0 offset:416 ; 4-byte Folded Spill
	buffer_store_dword v12, off, s[40:43], 0 offset:420 ; 4-byte Folded Spill
	buffer_store_dword v13, off, s[40:43], 0 offset:424 ; 4-byte Folded Spill
	buffer_store_dword v14, off, s[40:43], 0 offset:428 ; 4-byte Folded Spill
	s_and_saveexec_b32 s16, vcc_lo
	s_cbranch_execz .LBB62_83
; %bb.82:                               ;   in Loop: Header=BB62_29 Depth=1
	s_clause 0x3
	buffer_load_dword v11, off, s[40:43], 0 offset:416
	buffer_load_dword v12, off, s[40:43], 0 offset:420
	buffer_load_dword v13, off, s[40:43], 0 offset:424
	buffer_load_dword v14, off, s[40:43], 0 offset:428
	v_cmp_gt_i32_e64 s1, s27, v126
	s_waitcnt vmcnt(3)
	v_cndmask_b32_e64 v11, 0, v11, s1
	v_cmp_gt_i32_e64 s1, s27, v125
	s_waitcnt vmcnt(2)
	v_cndmask_b32_e64 v12, 0, v12, s1
	v_cmp_gt_i32_e64 s1, s27, v127
	s_waitcnt vmcnt(1)
	v_cndmask_b32_e64 v13, 0, v13, s1
	v_cmp_gt_i32_e64 s1, s27, v0
	s_waitcnt vmcnt(0)
	v_cndmask_b32_e64 v14, 0, v14, s1
	buffer_store_dword v11, off, s[40:43], 0 offset:416 ; 4-byte Folded Spill
	buffer_store_dword v12, off, s[40:43], 0 offset:420 ; 4-byte Folded Spill
	buffer_store_dword v13, off, s[40:43], 0 offset:424 ; 4-byte Folded Spill
	buffer_store_dword v14, off, s[40:43], 0 offset:428 ; 4-byte Folded Spill
.LBB62_83:                              ;   in Loop: Header=BB62_29 Depth=1
	s_or_b32 exec_lo, exec_lo, s16
	global_load_dwordx4 v[1:4], v[1:2], off offset:1536
	s_waitcnt vmcnt(0)
	buffer_store_dword v1, off, s[40:43], 0 offset:432 ; 4-byte Folded Spill
	buffer_store_dword v2, off, s[40:43], 0 offset:436 ; 4-byte Folded Spill
	;; [unrolled: 1-line block ×4, first 2 shown]
	s_and_saveexec_b32 s16, vcc_lo
	s_cbranch_execz .LBB62_85
; %bb.84:                               ;   in Loop: Header=BB62_29 Depth=1
	s_clause 0x3
	buffer_load_dword v1, off, s[40:43], 0 offset:432
	buffer_load_dword v2, off, s[40:43], 0 offset:436
	;; [unrolled: 1-line block ×4, first 2 shown]
	v_cmp_gt_i32_e64 s1, s27, v126
	s_waitcnt vmcnt(3)
	v_cndmask_b32_e64 v1, 0, v1, s1
	v_cmp_gt_i32_e64 s1, s27, v125
	s_waitcnt vmcnt(2)
	v_cndmask_b32_e64 v2, 0, v2, s1
	;; [unrolled: 3-line block ×4, first 2 shown]
	buffer_store_dword v1, off, s[40:43], 0 offset:432 ; 4-byte Folded Spill
	buffer_store_dword v2, off, s[40:43], 0 offset:436 ; 4-byte Folded Spill
	;; [unrolled: 1-line block ×4, first 2 shown]
.LBB62_85:                              ;   in Loop: Header=BB62_29 Depth=1
	s_or_b32 exec_lo, exec_lo, s16
	v_add_co_u32 v1, s1, 0x3800, v9
	v_add_co_ci_u32_e64 v2, null, 0, v10, s1
	global_load_dwordx4 v[11:14], v[1:2], off
	s_waitcnt vmcnt(0)
	buffer_store_dword v11, off, s[40:43], 0 offset:448 ; 4-byte Folded Spill
	buffer_store_dword v12, off, s[40:43], 0 offset:452 ; 4-byte Folded Spill
	;; [unrolled: 1-line block ×4, first 2 shown]
	s_and_saveexec_b32 s16, vcc_lo
	s_cbranch_execz .LBB62_87
; %bb.86:                               ;   in Loop: Header=BB62_29 Depth=1
	s_clause 0x3
	buffer_load_dword v11, off, s[40:43], 0 offset:448
	buffer_load_dword v12, off, s[40:43], 0 offset:452
	;; [unrolled: 1-line block ×4, first 2 shown]
	v_cmp_gt_i32_e64 s1, s27, v126
	s_waitcnt vmcnt(3)
	v_cndmask_b32_e64 v11, 0, v11, s1
	v_cmp_gt_i32_e64 s1, s27, v125
	s_waitcnt vmcnt(2)
	v_cndmask_b32_e64 v12, 0, v12, s1
	;; [unrolled: 3-line block ×4, first 2 shown]
	buffer_store_dword v11, off, s[40:43], 0 offset:448 ; 4-byte Folded Spill
	buffer_store_dword v12, off, s[40:43], 0 offset:452 ; 4-byte Folded Spill
	;; [unrolled: 1-line block ×4, first 2 shown]
.LBB62_87:                              ;   in Loop: Header=BB62_29 Depth=1
	s_or_b32 exec_lo, exec_lo, s16
	global_load_dwordx4 v[11:14], v[1:2], off offset:512
	s_waitcnt vmcnt(0)
	buffer_store_dword v11, off, s[40:43], 0 offset:464 ; 4-byte Folded Spill
	buffer_store_dword v12, off, s[40:43], 0 offset:468 ; 4-byte Folded Spill
	;; [unrolled: 1-line block ×4, first 2 shown]
	s_and_saveexec_b32 s16, vcc_lo
	s_cbranch_execz .LBB62_89
; %bb.88:                               ;   in Loop: Header=BB62_29 Depth=1
	s_clause 0x3
	buffer_load_dword v11, off, s[40:43], 0 offset:464
	buffer_load_dword v12, off, s[40:43], 0 offset:468
	;; [unrolled: 1-line block ×4, first 2 shown]
	v_cmp_gt_i32_e64 s1, s27, v126
	s_waitcnt vmcnt(3)
	v_cndmask_b32_e64 v11, 0, v11, s1
	v_cmp_gt_i32_e64 s1, s27, v125
	s_waitcnt vmcnt(2)
	v_cndmask_b32_e64 v12, 0, v12, s1
	v_cmp_gt_i32_e64 s1, s27, v127
	s_waitcnt vmcnt(1)
	v_cndmask_b32_e64 v13, 0, v13, s1
	v_cmp_gt_i32_e64 s1, s27, v0
	s_waitcnt vmcnt(0)
	v_cndmask_b32_e64 v14, 0, v14, s1
	buffer_store_dword v11, off, s[40:43], 0 offset:464 ; 4-byte Folded Spill
	buffer_store_dword v12, off, s[40:43], 0 offset:468 ; 4-byte Folded Spill
	;; [unrolled: 1-line block ×4, first 2 shown]
.LBB62_89:                              ;   in Loop: Header=BB62_29 Depth=1
	s_or_b32 exec_lo, exec_lo, s16
	global_load_dwordx4 v[1:4], v[1:2], off offset:1024
	s_waitcnt vmcnt(0)
	buffer_store_dword v1, off, s[40:43], 0 offset:480 ; 4-byte Folded Spill
	buffer_store_dword v2, off, s[40:43], 0 offset:484 ; 4-byte Folded Spill
	;; [unrolled: 1-line block ×4, first 2 shown]
	s_and_saveexec_b32 s16, vcc_lo
	s_cbranch_execz .LBB62_91
; %bb.90:                               ;   in Loop: Header=BB62_29 Depth=1
	s_clause 0x3
	buffer_load_dword v1, off, s[40:43], 0 offset:480
	buffer_load_dword v2, off, s[40:43], 0 offset:484
	;; [unrolled: 1-line block ×4, first 2 shown]
	v_cmp_gt_i32_e64 s1, s27, v126
	s_waitcnt vmcnt(3)
	v_cndmask_b32_e64 v1, 0, v1, s1
	v_cmp_gt_i32_e64 s1, s27, v125
	s_waitcnt vmcnt(2)
	v_cndmask_b32_e64 v2, 0, v2, s1
	;; [unrolled: 3-line block ×4, first 2 shown]
	buffer_store_dword v1, off, s[40:43], 0 offset:480 ; 4-byte Folded Spill
	buffer_store_dword v2, off, s[40:43], 0 offset:484 ; 4-byte Folded Spill
	;; [unrolled: 1-line block ×4, first 2 shown]
.LBB62_91:                              ;   in Loop: Header=BB62_29 Depth=1
	s_or_b32 exec_lo, exec_lo, s16
	buffer_load_dword v1, off, s[40:43], 0 offset:888 ; 4-byte Folded Reload
	s_waitcnt vmcnt(0)
	v_add_co_u32 v1, s1, v81, v1
	v_add_co_ci_u32_e64 v2, null, 0, v82, s1
	global_load_dwordx4 v[1:4], v[1:2], off
	s_waitcnt vmcnt(0)
	buffer_store_dword v1, off, s[40:43], 0 offset:496 ; 4-byte Folded Spill
	buffer_store_dword v2, off, s[40:43], 0 offset:500 ; 4-byte Folded Spill
	buffer_store_dword v3, off, s[40:43], 0 offset:504 ; 4-byte Folded Spill
	buffer_store_dword v4, off, s[40:43], 0 offset:508 ; 4-byte Folded Spill
	s_and_saveexec_b32 s16, vcc_lo
	s_cbranch_execz .LBB62_93
; %bb.92:                               ;   in Loop: Header=BB62_29 Depth=1
	s_clause 0x3
	buffer_load_dword v1, off, s[40:43], 0 offset:496
	buffer_load_dword v2, off, s[40:43], 0 offset:500
	;; [unrolled: 1-line block ×4, first 2 shown]
	v_cmp_gt_i32_e64 s1, s27, v126
	s_waitcnt vmcnt(3)
	v_cndmask_b32_e64 v1, 0, v1, s1
	v_cmp_gt_i32_e64 s1, s27, v125
	s_waitcnt vmcnt(2)
	v_cndmask_b32_e64 v2, 0, v2, s1
	;; [unrolled: 3-line block ×4, first 2 shown]
	buffer_store_dword v1, off, s[40:43], 0 offset:496 ; 4-byte Folded Spill
	buffer_store_dword v2, off, s[40:43], 0 offset:500 ; 4-byte Folded Spill
	;; [unrolled: 1-line block ×4, first 2 shown]
.LBB62_93:                              ;   in Loop: Header=BB62_29 Depth=1
	s_or_b32 exec_lo, exec_lo, s16
	v_add_co_u32 v1, s1, 0x4000, v9
	v_add_co_ci_u32_e64 v2, null, 0, v10, s1
	global_load_dwordx4 v[11:14], v[1:2], off
	s_waitcnt vmcnt(0)
	buffer_store_dword v11, off, s[40:43], 0 offset:512 ; 4-byte Folded Spill
	buffer_store_dword v12, off, s[40:43], 0 offset:516 ; 4-byte Folded Spill
	;; [unrolled: 1-line block ×4, first 2 shown]
	s_and_saveexec_b32 s16, vcc_lo
	s_cbranch_execz .LBB62_95
; %bb.94:                               ;   in Loop: Header=BB62_29 Depth=1
	s_clause 0x3
	buffer_load_dword v11, off, s[40:43], 0 offset:512
	buffer_load_dword v12, off, s[40:43], 0 offset:516
	;; [unrolled: 1-line block ×4, first 2 shown]
	v_cmp_gt_i32_e64 s1, s27, v126
	s_waitcnt vmcnt(3)
	v_cndmask_b32_e64 v11, 0, v11, s1
	v_cmp_gt_i32_e64 s1, s27, v125
	s_waitcnt vmcnt(2)
	v_cndmask_b32_e64 v12, 0, v12, s1
	;; [unrolled: 3-line block ×4, first 2 shown]
	buffer_store_dword v11, off, s[40:43], 0 offset:512 ; 4-byte Folded Spill
	buffer_store_dword v12, off, s[40:43], 0 offset:516 ; 4-byte Folded Spill
	buffer_store_dword v13, off, s[40:43], 0 offset:520 ; 4-byte Folded Spill
	buffer_store_dword v14, off, s[40:43], 0 offset:524 ; 4-byte Folded Spill
.LBB62_95:                              ;   in Loop: Header=BB62_29 Depth=1
	s_or_b32 exec_lo, exec_lo, s16
	global_load_dwordx4 v[11:14], v[1:2], off offset:512
	s_waitcnt vmcnt(0)
	buffer_store_dword v11, off, s[40:43], 0 offset:528 ; 4-byte Folded Spill
	buffer_store_dword v12, off, s[40:43], 0 offset:532 ; 4-byte Folded Spill
	;; [unrolled: 1-line block ×4, first 2 shown]
	s_and_saveexec_b32 s16, vcc_lo
	s_cbranch_execnz .LBB62_135
; %bb.96:                               ;   in Loop: Header=BB62_29 Depth=1
	s_or_b32 exec_lo, exec_lo, s16
	global_load_dwordx4 v[21:24], v[1:2], off offset:1024
	s_and_saveexec_b32 s16, vcc_lo
	s_cbranch_execnz .LBB62_136
.LBB62_97:                              ;   in Loop: Header=BB62_29 Depth=1
	s_or_b32 exec_lo, exec_lo, s16
	global_load_dwordx4 v[25:28], v[1:2], off offset:1536
	s_and_saveexec_b32 s16, vcc_lo
	s_cbranch_execz .LBB62_99
.LBB62_98:                              ;   in Loop: Header=BB62_29 Depth=1
	v_cmp_gt_i32_e64 s1, s27, v126
	s_waitcnt vmcnt(0)
	v_cndmask_b32_e64 v25, 0, v25, s1
	v_cmp_gt_i32_e64 s1, s27, v125
	v_cndmask_b32_e64 v26, 0, v26, s1
	v_cmp_gt_i32_e64 s1, s27, v127
	;; [unrolled: 2-line block ×3, first 2 shown]
	v_cndmask_b32_e64 v28, 0, v28, s1
.LBB62_99:                              ;   in Loop: Header=BB62_29 Depth=1
	s_or_b32 exec_lo, exec_lo, s16
	v_add_co_u32 v1, s1, 0x4800, v9
	v_add_co_ci_u32_e64 v2, null, 0, v10, s1
	global_load_dwordx4 v[29:32], v[1:2], off
	s_and_saveexec_b32 s16, vcc_lo
	s_cbranch_execnz .LBB62_137
; %bb.100:                              ;   in Loop: Header=BB62_29 Depth=1
	s_or_b32 exec_lo, exec_lo, s16
	global_load_dwordx4 v[33:36], v[1:2], off offset:512
	s_and_saveexec_b32 s16, vcc_lo
	s_cbranch_execnz .LBB62_138
.LBB62_101:                             ;   in Loop: Header=BB62_29 Depth=1
	s_or_b32 exec_lo, exec_lo, s16
	global_load_dwordx4 v[37:40], v[1:2], off offset:1024
	s_and_saveexec_b32 s16, vcc_lo
	s_cbranch_execnz .LBB62_139
.LBB62_102:                             ;   in Loop: Header=BB62_29 Depth=1
	s_or_b32 exec_lo, exec_lo, s16
	global_load_dwordx4 v[41:44], v[1:2], off offset:1536
	s_and_saveexec_b32 s16, vcc_lo
	s_cbranch_execz .LBB62_104
.LBB62_103:                             ;   in Loop: Header=BB62_29 Depth=1
	v_cmp_gt_i32_e64 s1, s27, v126
	s_waitcnt vmcnt(0)
	v_cndmask_b32_e64 v41, 0, v41, s1
	v_cmp_gt_i32_e64 s1, s27, v125
	v_cndmask_b32_e64 v42, 0, v42, s1
	v_cmp_gt_i32_e64 s1, s27, v127
	;; [unrolled: 2-line block ×3, first 2 shown]
	v_cndmask_b32_e64 v44, 0, v44, s1
.LBB62_104:                             ;   in Loop: Header=BB62_29 Depth=1
	s_or_b32 exec_lo, exec_lo, s16
	v_add_co_u32 v1, s1, 0x5000, v9
	v_add_co_ci_u32_e64 v2, null, 0, v10, s1
	global_load_dwordx4 v[45:48], v[1:2], off
	s_and_saveexec_b32 s16, vcc_lo
	s_cbranch_execnz .LBB62_140
; %bb.105:                              ;   in Loop: Header=BB62_29 Depth=1
	s_or_b32 exec_lo, exec_lo, s16
	global_load_dwordx4 v[49:52], v[1:2], off offset:512
	s_and_saveexec_b32 s16, vcc_lo
	s_cbranch_execnz .LBB62_141
.LBB62_106:                             ;   in Loop: Header=BB62_29 Depth=1
	s_or_b32 exec_lo, exec_lo, s16
	global_load_dwordx4 v[53:56], v[1:2], off offset:1024
	s_and_saveexec_b32 s16, vcc_lo
	s_cbranch_execnz .LBB62_142
.LBB62_107:                             ;   in Loop: Header=BB62_29 Depth=1
	s_or_b32 exec_lo, exec_lo, s16
	global_load_dwordx4 v[57:60], v[1:2], off offset:1536
	s_and_saveexec_b32 s16, vcc_lo
	s_cbranch_execz .LBB62_109
.LBB62_108:                             ;   in Loop: Header=BB62_29 Depth=1
	v_cmp_gt_i32_e64 s1, s27, v126
	s_waitcnt vmcnt(0)
	v_cndmask_b32_e64 v57, 0, v57, s1
	v_cmp_gt_i32_e64 s1, s27, v125
	v_cndmask_b32_e64 v58, 0, v58, s1
	v_cmp_gt_i32_e64 s1, s27, v127
	;; [unrolled: 2-line block ×3, first 2 shown]
	v_cndmask_b32_e64 v60, 0, v60, s1
.LBB62_109:                             ;   in Loop: Header=BB62_29 Depth=1
	s_or_b32 exec_lo, exec_lo, s16
	v_add_co_u32 v1, s1, 0x5800, v9
	v_add_co_ci_u32_e64 v2, null, 0, v10, s1
	global_load_dwordx4 v[61:64], v[1:2], off
	s_and_saveexec_b32 s16, vcc_lo
	s_cbranch_execnz .LBB62_143
; %bb.110:                              ;   in Loop: Header=BB62_29 Depth=1
	s_or_b32 exec_lo, exec_lo, s16
	global_load_dwordx4 v[65:68], v[1:2], off offset:512
	s_and_saveexec_b32 s16, vcc_lo
	s_cbranch_execnz .LBB62_144
.LBB62_111:                             ;   in Loop: Header=BB62_29 Depth=1
	s_or_b32 exec_lo, exec_lo, s16
	global_load_dwordx4 v[69:72], v[1:2], off offset:1024
	s_and_saveexec_b32 s16, vcc_lo
	s_cbranch_execnz .LBB62_145
.LBB62_112:                             ;   in Loop: Header=BB62_29 Depth=1
	s_or_b32 exec_lo, exec_lo, s16
	global_load_dwordx4 v[73:76], v[1:2], off offset:1536
	s_and_saveexec_b32 s16, vcc_lo
	s_cbranch_execz .LBB62_114
.LBB62_113:                             ;   in Loop: Header=BB62_29 Depth=1
	v_cmp_gt_i32_e64 s1, s27, v126
	s_waitcnt vmcnt(0)
	v_cndmask_b32_e64 v73, 0, v73, s1
	v_cmp_gt_i32_e64 s1, s27, v125
	v_cndmask_b32_e64 v74, 0, v74, s1
	v_cmp_gt_i32_e64 s1, s27, v127
	v_cndmask_b32_e64 v75, 0, v75, s1
	v_cmp_gt_i32_e64 s1, s27, v0
	v_cndmask_b32_e64 v76, 0, v76, s1
.LBB62_114:                             ;   in Loop: Header=BB62_29 Depth=1
	s_or_b32 exec_lo, exec_lo, s16
	v_add_co_u32 v1, s1, 0x6000, v9
	v_add_co_ci_u32_e64 v2, null, 0, v10, s1
	global_load_dwordx4 v[77:80], v[1:2], off
	s_and_saveexec_b32 s16, vcc_lo
	s_cbranch_execnz .LBB62_146
; %bb.115:                              ;   in Loop: Header=BB62_29 Depth=1
	s_or_b32 exec_lo, exec_lo, s16
	global_load_dwordx4 v[85:88], v[1:2], off offset:512
	s_and_saveexec_b32 s16, vcc_lo
	s_cbranch_execnz .LBB62_147
.LBB62_116:                             ;   in Loop: Header=BB62_29 Depth=1
	s_or_b32 exec_lo, exec_lo, s16
	global_load_dwordx4 v[89:92], v[1:2], off offset:1024
	s_and_saveexec_b32 s16, vcc_lo
	s_cbranch_execnz .LBB62_148
.LBB62_117:                             ;   in Loop: Header=BB62_29 Depth=1
	s_or_b32 exec_lo, exec_lo, s16
	global_load_dwordx4 v[93:96], v[1:2], off offset:1536
	s_and_saveexec_b32 s16, vcc_lo
	s_cbranch_execz .LBB62_119
.LBB62_118:                             ;   in Loop: Header=BB62_29 Depth=1
	v_cmp_gt_i32_e64 s1, s27, v126
	s_waitcnt vmcnt(0)
	v_cndmask_b32_e64 v93, 0, v93, s1
	v_cmp_gt_i32_e64 s1, s27, v125
	v_cndmask_b32_e64 v94, 0, v94, s1
	v_cmp_gt_i32_e64 s1, s27, v127
	;; [unrolled: 2-line block ×3, first 2 shown]
	v_cndmask_b32_e64 v96, 0, v96, s1
.LBB62_119:                             ;   in Loop: Header=BB62_29 Depth=1
	s_or_b32 exec_lo, exec_lo, s16
	v_add_co_u32 v1, s1, 0x6800, v9
	v_add_co_ci_u32_e64 v2, null, 0, v10, s1
	global_load_dwordx4 v[97:100], v[1:2], off
	s_and_saveexec_b32 s16, vcc_lo
	s_cbranch_execnz .LBB62_149
; %bb.120:                              ;   in Loop: Header=BB62_29 Depth=1
	s_or_b32 exec_lo, exec_lo, s16
	global_load_dwordx4 v[101:104], v[1:2], off offset:512
	s_and_saveexec_b32 s16, vcc_lo
	s_cbranch_execnz .LBB62_150
.LBB62_121:                             ;   in Loop: Header=BB62_29 Depth=1
	s_or_b32 exec_lo, exec_lo, s16
	global_load_dwordx4 v[105:108], v[1:2], off offset:1024
	s_and_saveexec_b32 s16, vcc_lo
	s_cbranch_execnz .LBB62_151
.LBB62_122:                             ;   in Loop: Header=BB62_29 Depth=1
	s_or_b32 exec_lo, exec_lo, s16
	global_load_dwordx4 v[109:112], v[1:2], off offset:1536
	s_and_saveexec_b32 s16, vcc_lo
	s_cbranch_execz .LBB62_124
.LBB62_123:                             ;   in Loop: Header=BB62_29 Depth=1
	v_cmp_gt_i32_e64 s1, s27, v126
	s_waitcnt vmcnt(0)
	v_cndmask_b32_e64 v109, 0, v109, s1
	v_cmp_gt_i32_e64 s1, s27, v125
	v_cndmask_b32_e64 v110, 0, v110, s1
	v_cmp_gt_i32_e64 s1, s27, v127
	;; [unrolled: 2-line block ×3, first 2 shown]
	v_cndmask_b32_e64 v112, 0, v112, s1
.LBB62_124:                             ;   in Loop: Header=BB62_29 Depth=1
	s_or_b32 exec_lo, exec_lo, s16
	v_add_co_u32 v1, s1, 0x7000, v9
	v_add_co_ci_u32_e64 v2, null, 0, v10, s1
	global_load_dwordx4 v[113:116], v[1:2], off
	s_and_saveexec_b32 s16, vcc_lo
	s_cbranch_execnz .LBB62_152
; %bb.125:                              ;   in Loop: Header=BB62_29 Depth=1
	s_or_b32 exec_lo, exec_lo, s16
	global_load_dwordx4 v[117:120], v[1:2], off offset:512
	s_and_saveexec_b32 s16, vcc_lo
	s_cbranch_execnz .LBB62_153
.LBB62_126:                             ;   in Loop: Header=BB62_29 Depth=1
	s_or_b32 exec_lo, exec_lo, s16
	global_load_dwordx4 v[121:124], v[1:2], off offset:1024
	s_and_saveexec_b32 s16, vcc_lo
	s_cbranch_execnz .LBB62_154
.LBB62_127:                             ;   in Loop: Header=BB62_29 Depth=1
	s_or_b32 exec_lo, exec_lo, s16
	global_load_dwordx4 v[1:4], v[1:2], off offset:1536
	s_and_saveexec_b32 s16, vcc_lo
	s_cbranch_execz .LBB62_129
.LBB62_128:                             ;   in Loop: Header=BB62_29 Depth=1
	v_cmp_gt_i32_e64 s1, s27, v126
	s_waitcnt vmcnt(0)
	v_cndmask_b32_e64 v1, 0, v1, s1
	v_cmp_gt_i32_e64 s1, s27, v125
	v_cndmask_b32_e64 v2, 0, v2, s1
	v_cmp_gt_i32_e64 s1, s27, v127
	;; [unrolled: 2-line block ×3, first 2 shown]
	v_cndmask_b32_e64 v4, 0, v4, s1
.LBB62_129:                             ;   in Loop: Header=BB62_29 Depth=1
	s_or_b32 exec_lo, exec_lo, s16
	v_add_co_u32 v17, s1, 0x7800, v9
	v_add_co_ci_u32_e64 v18, null, 0, v10, s1
	global_load_dwordx4 v[9:12], v[17:18], off
	s_and_saveexec_b32 s16, vcc_lo
	s_cbranch_execnz .LBB62_155
; %bb.130:                              ;   in Loop: Header=BB62_29 Depth=1
	s_or_b32 exec_lo, exec_lo, s16
	global_load_dwordx4 v[13:16], v[17:18], off offset:512
	s_and_saveexec_b32 s16, vcc_lo
	s_cbranch_execnz .LBB62_156
.LBB62_131:                             ;   in Loop: Header=BB62_29 Depth=1
	s_or_b32 exec_lo, exec_lo, s16
	global_load_dwordx4 v[17:20], v[17:18], off offset:1024
	s_and_saveexec_b32 s16, vcc_lo
	s_cbranch_execz .LBB62_133
.LBB62_132:                             ;   in Loop: Header=BB62_29 Depth=1
	v_cmp_gt_i32_e64 s1, s27, v126
	s_waitcnt vmcnt(0)
	v_cndmask_b32_e64 v17, 0, v17, s1
	v_cmp_gt_i32_e64 s1, s27, v125
	v_cndmask_b32_e64 v18, 0, v18, s1
	v_cmp_gt_i32_e64 s1, s27, v127
	;; [unrolled: 2-line block ×3, first 2 shown]
	v_cndmask_b32_e64 v20, 0, v20, s1
.LBB62_133:                             ;   in Loop: Header=BB62_29 Depth=1
	s_or_b32 exec_lo, exec_lo, s16
	buffer_load_dword v83, off, s[40:43], 0 offset:892 ; 4-byte Folded Reload
	s_waitcnt vmcnt(0)
	v_add_co_u32 v81, s1, v81, v83
	v_add_co_ci_u32_e64 v82, null, 0, v82, s1
	global_load_dwordx4 v[81:84], v[81:82], off
	s_and_saveexec_b32 s1, vcc_lo
	s_cbranch_execz .LBB62_28
; %bb.134:                              ;   in Loop: Header=BB62_29 Depth=1
	v_cmp_gt_i32_e32 vcc_lo, s27, v126
	s_waitcnt vmcnt(0)
	v_cndmask_b32_e32 v81, 0, v81, vcc_lo
	v_cmp_gt_i32_e32 vcc_lo, s27, v125
	v_cndmask_b32_e32 v82, 0, v82, vcc_lo
	v_cmp_gt_i32_e32 vcc_lo, s27, v127
	;; [unrolled: 2-line block ×3, first 2 shown]
	v_cndmask_b32_e32 v84, 0, v84, vcc_lo
	s_branch .LBB62_28
.LBB62_135:                             ;   in Loop: Header=BB62_29 Depth=1
	s_clause 0x3
	buffer_load_dword v11, off, s[40:43], 0 offset:528
	buffer_load_dword v12, off, s[40:43], 0 offset:532
	;; [unrolled: 1-line block ×4, first 2 shown]
	v_cmp_gt_i32_e64 s1, s27, v126
	s_waitcnt vmcnt(3)
	v_cndmask_b32_e64 v11, 0, v11, s1
	v_cmp_gt_i32_e64 s1, s27, v125
	s_waitcnt vmcnt(2)
	v_cndmask_b32_e64 v12, 0, v12, s1
	;; [unrolled: 3-line block ×4, first 2 shown]
	buffer_store_dword v11, off, s[40:43], 0 offset:528 ; 4-byte Folded Spill
	buffer_store_dword v12, off, s[40:43], 0 offset:532 ; 4-byte Folded Spill
	;; [unrolled: 1-line block ×4, first 2 shown]
	s_or_b32 exec_lo, exec_lo, s16
	global_load_dwordx4 v[21:24], v[1:2], off offset:1024
	s_and_saveexec_b32 s16, vcc_lo
	s_cbranch_execz .LBB62_97
.LBB62_136:                             ;   in Loop: Header=BB62_29 Depth=1
	v_cmp_gt_i32_e64 s1, s27, v126
	s_waitcnt vmcnt(0)
	v_cndmask_b32_e64 v21, 0, v21, s1
	v_cmp_gt_i32_e64 s1, s27, v125
	v_cndmask_b32_e64 v22, 0, v22, s1
	v_cmp_gt_i32_e64 s1, s27, v127
	;; [unrolled: 2-line block ×3, first 2 shown]
	v_cndmask_b32_e64 v24, 0, v24, s1
	s_or_b32 exec_lo, exec_lo, s16
	global_load_dwordx4 v[25:28], v[1:2], off offset:1536
	s_and_saveexec_b32 s16, vcc_lo
	s_cbranch_execnz .LBB62_98
	s_branch .LBB62_99
.LBB62_137:                             ;   in Loop: Header=BB62_29 Depth=1
	v_cmp_gt_i32_e64 s1, s27, v126
	s_waitcnt vmcnt(0)
	v_cndmask_b32_e64 v29, 0, v29, s1
	v_cmp_gt_i32_e64 s1, s27, v125
	v_cndmask_b32_e64 v30, 0, v30, s1
	v_cmp_gt_i32_e64 s1, s27, v127
	;; [unrolled: 2-line block ×3, first 2 shown]
	v_cndmask_b32_e64 v32, 0, v32, s1
	s_or_b32 exec_lo, exec_lo, s16
	global_load_dwordx4 v[33:36], v[1:2], off offset:512
	s_and_saveexec_b32 s16, vcc_lo
	s_cbranch_execz .LBB62_101
.LBB62_138:                             ;   in Loop: Header=BB62_29 Depth=1
	v_cmp_gt_i32_e64 s1, s27, v126
	s_waitcnt vmcnt(0)
	v_cndmask_b32_e64 v33, 0, v33, s1
	v_cmp_gt_i32_e64 s1, s27, v125
	v_cndmask_b32_e64 v34, 0, v34, s1
	v_cmp_gt_i32_e64 s1, s27, v127
	;; [unrolled: 2-line block ×3, first 2 shown]
	v_cndmask_b32_e64 v36, 0, v36, s1
	s_or_b32 exec_lo, exec_lo, s16
	global_load_dwordx4 v[37:40], v[1:2], off offset:1024
	s_and_saveexec_b32 s16, vcc_lo
	s_cbranch_execz .LBB62_102
.LBB62_139:                             ;   in Loop: Header=BB62_29 Depth=1
	v_cmp_gt_i32_e64 s1, s27, v126
	s_waitcnt vmcnt(0)
	v_cndmask_b32_e64 v37, 0, v37, s1
	v_cmp_gt_i32_e64 s1, s27, v125
	v_cndmask_b32_e64 v38, 0, v38, s1
	v_cmp_gt_i32_e64 s1, s27, v127
	v_cndmask_b32_e64 v39, 0, v39, s1
	v_cmp_gt_i32_e64 s1, s27, v0
	v_cndmask_b32_e64 v40, 0, v40, s1
	s_or_b32 exec_lo, exec_lo, s16
	global_load_dwordx4 v[41:44], v[1:2], off offset:1536
	s_and_saveexec_b32 s16, vcc_lo
	s_cbranch_execnz .LBB62_103
	s_branch .LBB62_104
.LBB62_140:                             ;   in Loop: Header=BB62_29 Depth=1
	v_cmp_gt_i32_e64 s1, s27, v126
	s_waitcnt vmcnt(0)
	v_cndmask_b32_e64 v45, 0, v45, s1
	v_cmp_gt_i32_e64 s1, s27, v125
	v_cndmask_b32_e64 v46, 0, v46, s1
	v_cmp_gt_i32_e64 s1, s27, v127
	;; [unrolled: 2-line block ×3, first 2 shown]
	v_cndmask_b32_e64 v48, 0, v48, s1
	s_or_b32 exec_lo, exec_lo, s16
	global_load_dwordx4 v[49:52], v[1:2], off offset:512
	s_and_saveexec_b32 s16, vcc_lo
	s_cbranch_execz .LBB62_106
.LBB62_141:                             ;   in Loop: Header=BB62_29 Depth=1
	v_cmp_gt_i32_e64 s1, s27, v126
	s_waitcnt vmcnt(0)
	v_cndmask_b32_e64 v49, 0, v49, s1
	v_cmp_gt_i32_e64 s1, s27, v125
	v_cndmask_b32_e64 v50, 0, v50, s1
	v_cmp_gt_i32_e64 s1, s27, v127
	v_cndmask_b32_e64 v51, 0, v51, s1
	v_cmp_gt_i32_e64 s1, s27, v0
	v_cndmask_b32_e64 v52, 0, v52, s1
	s_or_b32 exec_lo, exec_lo, s16
	global_load_dwordx4 v[53:56], v[1:2], off offset:1024
	s_and_saveexec_b32 s16, vcc_lo
	s_cbranch_execz .LBB62_107
.LBB62_142:                             ;   in Loop: Header=BB62_29 Depth=1
	v_cmp_gt_i32_e64 s1, s27, v126
	s_waitcnt vmcnt(0)
	v_cndmask_b32_e64 v53, 0, v53, s1
	v_cmp_gt_i32_e64 s1, s27, v125
	v_cndmask_b32_e64 v54, 0, v54, s1
	v_cmp_gt_i32_e64 s1, s27, v127
	;; [unrolled: 2-line block ×3, first 2 shown]
	v_cndmask_b32_e64 v56, 0, v56, s1
	s_or_b32 exec_lo, exec_lo, s16
	global_load_dwordx4 v[57:60], v[1:2], off offset:1536
	s_and_saveexec_b32 s16, vcc_lo
	s_cbranch_execnz .LBB62_108
	s_branch .LBB62_109
.LBB62_143:                             ;   in Loop: Header=BB62_29 Depth=1
	v_cmp_gt_i32_e64 s1, s27, v126
	s_waitcnt vmcnt(0)
	v_cndmask_b32_e64 v61, 0, v61, s1
	v_cmp_gt_i32_e64 s1, s27, v125
	v_cndmask_b32_e64 v62, 0, v62, s1
	v_cmp_gt_i32_e64 s1, s27, v127
	;; [unrolled: 2-line block ×3, first 2 shown]
	v_cndmask_b32_e64 v64, 0, v64, s1
	s_or_b32 exec_lo, exec_lo, s16
	global_load_dwordx4 v[65:68], v[1:2], off offset:512
	s_and_saveexec_b32 s16, vcc_lo
	s_cbranch_execz .LBB62_111
.LBB62_144:                             ;   in Loop: Header=BB62_29 Depth=1
	v_cmp_gt_i32_e64 s1, s27, v126
	s_waitcnt vmcnt(0)
	v_cndmask_b32_e64 v65, 0, v65, s1
	v_cmp_gt_i32_e64 s1, s27, v125
	v_cndmask_b32_e64 v66, 0, v66, s1
	v_cmp_gt_i32_e64 s1, s27, v127
	;; [unrolled: 2-line block ×3, first 2 shown]
	v_cndmask_b32_e64 v68, 0, v68, s1
	s_or_b32 exec_lo, exec_lo, s16
	global_load_dwordx4 v[69:72], v[1:2], off offset:1024
	s_and_saveexec_b32 s16, vcc_lo
	s_cbranch_execz .LBB62_112
.LBB62_145:                             ;   in Loop: Header=BB62_29 Depth=1
	v_cmp_gt_i32_e64 s1, s27, v126
	s_waitcnt vmcnt(0)
	v_cndmask_b32_e64 v69, 0, v69, s1
	v_cmp_gt_i32_e64 s1, s27, v125
	v_cndmask_b32_e64 v70, 0, v70, s1
	v_cmp_gt_i32_e64 s1, s27, v127
	;; [unrolled: 2-line block ×3, first 2 shown]
	v_cndmask_b32_e64 v72, 0, v72, s1
	s_or_b32 exec_lo, exec_lo, s16
	global_load_dwordx4 v[73:76], v[1:2], off offset:1536
	s_and_saveexec_b32 s16, vcc_lo
	s_cbranch_execnz .LBB62_113
	s_branch .LBB62_114
.LBB62_146:                             ;   in Loop: Header=BB62_29 Depth=1
	v_cmp_gt_i32_e64 s1, s27, v126
	s_waitcnt vmcnt(0)
	v_cndmask_b32_e64 v77, 0, v77, s1
	v_cmp_gt_i32_e64 s1, s27, v125
	v_cndmask_b32_e64 v78, 0, v78, s1
	v_cmp_gt_i32_e64 s1, s27, v127
	;; [unrolled: 2-line block ×3, first 2 shown]
	v_cndmask_b32_e64 v80, 0, v80, s1
	s_or_b32 exec_lo, exec_lo, s16
	global_load_dwordx4 v[85:88], v[1:2], off offset:512
	s_and_saveexec_b32 s16, vcc_lo
	s_cbranch_execz .LBB62_116
.LBB62_147:                             ;   in Loop: Header=BB62_29 Depth=1
	v_cmp_gt_i32_e64 s1, s27, v126
	s_waitcnt vmcnt(0)
	v_cndmask_b32_e64 v85, 0, v85, s1
	v_cmp_gt_i32_e64 s1, s27, v125
	v_cndmask_b32_e64 v86, 0, v86, s1
	v_cmp_gt_i32_e64 s1, s27, v127
	;; [unrolled: 2-line block ×3, first 2 shown]
	v_cndmask_b32_e64 v88, 0, v88, s1
	s_or_b32 exec_lo, exec_lo, s16
	global_load_dwordx4 v[89:92], v[1:2], off offset:1024
	s_and_saveexec_b32 s16, vcc_lo
	s_cbranch_execz .LBB62_117
.LBB62_148:                             ;   in Loop: Header=BB62_29 Depth=1
	v_cmp_gt_i32_e64 s1, s27, v126
	s_waitcnt vmcnt(0)
	v_cndmask_b32_e64 v89, 0, v89, s1
	v_cmp_gt_i32_e64 s1, s27, v125
	v_cndmask_b32_e64 v90, 0, v90, s1
	v_cmp_gt_i32_e64 s1, s27, v127
	;; [unrolled: 2-line block ×3, first 2 shown]
	v_cndmask_b32_e64 v92, 0, v92, s1
	s_or_b32 exec_lo, exec_lo, s16
	global_load_dwordx4 v[93:96], v[1:2], off offset:1536
	s_and_saveexec_b32 s16, vcc_lo
	s_cbranch_execnz .LBB62_118
	s_branch .LBB62_119
.LBB62_149:                             ;   in Loop: Header=BB62_29 Depth=1
	v_cmp_gt_i32_e64 s1, s27, v126
	s_waitcnt vmcnt(0)
	v_cndmask_b32_e64 v97, 0, v97, s1
	v_cmp_gt_i32_e64 s1, s27, v125
	v_cndmask_b32_e64 v98, 0, v98, s1
	v_cmp_gt_i32_e64 s1, s27, v127
	;; [unrolled: 2-line block ×3, first 2 shown]
	v_cndmask_b32_e64 v100, 0, v100, s1
	s_or_b32 exec_lo, exec_lo, s16
	global_load_dwordx4 v[101:104], v[1:2], off offset:512
	s_and_saveexec_b32 s16, vcc_lo
	s_cbranch_execz .LBB62_121
.LBB62_150:                             ;   in Loop: Header=BB62_29 Depth=1
	v_cmp_gt_i32_e64 s1, s27, v126
	s_waitcnt vmcnt(0)
	v_cndmask_b32_e64 v101, 0, v101, s1
	v_cmp_gt_i32_e64 s1, s27, v125
	v_cndmask_b32_e64 v102, 0, v102, s1
	v_cmp_gt_i32_e64 s1, s27, v127
	;; [unrolled: 2-line block ×3, first 2 shown]
	v_cndmask_b32_e64 v104, 0, v104, s1
	s_or_b32 exec_lo, exec_lo, s16
	global_load_dwordx4 v[105:108], v[1:2], off offset:1024
	s_and_saveexec_b32 s16, vcc_lo
	s_cbranch_execz .LBB62_122
.LBB62_151:                             ;   in Loop: Header=BB62_29 Depth=1
	v_cmp_gt_i32_e64 s1, s27, v126
	s_waitcnt vmcnt(0)
	v_cndmask_b32_e64 v105, 0, v105, s1
	v_cmp_gt_i32_e64 s1, s27, v125
	v_cndmask_b32_e64 v106, 0, v106, s1
	v_cmp_gt_i32_e64 s1, s27, v127
	;; [unrolled: 2-line block ×3, first 2 shown]
	v_cndmask_b32_e64 v108, 0, v108, s1
	s_or_b32 exec_lo, exec_lo, s16
	global_load_dwordx4 v[109:112], v[1:2], off offset:1536
	s_and_saveexec_b32 s16, vcc_lo
	s_cbranch_execnz .LBB62_123
	s_branch .LBB62_124
.LBB62_152:                             ;   in Loop: Header=BB62_29 Depth=1
	v_cmp_gt_i32_e64 s1, s27, v126
	s_waitcnt vmcnt(0)
	v_cndmask_b32_e64 v113, 0, v113, s1
	v_cmp_gt_i32_e64 s1, s27, v125
	v_cndmask_b32_e64 v114, 0, v114, s1
	v_cmp_gt_i32_e64 s1, s27, v127
	;; [unrolled: 2-line block ×3, first 2 shown]
	v_cndmask_b32_e64 v116, 0, v116, s1
	s_or_b32 exec_lo, exec_lo, s16
	global_load_dwordx4 v[117:120], v[1:2], off offset:512
	s_and_saveexec_b32 s16, vcc_lo
	s_cbranch_execz .LBB62_126
.LBB62_153:                             ;   in Loop: Header=BB62_29 Depth=1
	v_cmp_gt_i32_e64 s1, s27, v126
	s_waitcnt vmcnt(0)
	v_cndmask_b32_e64 v117, 0, v117, s1
	v_cmp_gt_i32_e64 s1, s27, v125
	v_cndmask_b32_e64 v118, 0, v118, s1
	v_cmp_gt_i32_e64 s1, s27, v127
	;; [unrolled: 2-line block ×3, first 2 shown]
	v_cndmask_b32_e64 v120, 0, v120, s1
	s_or_b32 exec_lo, exec_lo, s16
	global_load_dwordx4 v[121:124], v[1:2], off offset:1024
	s_and_saveexec_b32 s16, vcc_lo
	s_cbranch_execz .LBB62_127
.LBB62_154:                             ;   in Loop: Header=BB62_29 Depth=1
	v_cmp_gt_i32_e64 s1, s27, v126
	s_waitcnt vmcnt(0)
	v_cndmask_b32_e64 v121, 0, v121, s1
	v_cmp_gt_i32_e64 s1, s27, v125
	v_cndmask_b32_e64 v122, 0, v122, s1
	v_cmp_gt_i32_e64 s1, s27, v127
	;; [unrolled: 2-line block ×3, first 2 shown]
	v_cndmask_b32_e64 v124, 0, v124, s1
	s_or_b32 exec_lo, exec_lo, s16
	global_load_dwordx4 v[1:4], v[1:2], off offset:1536
	s_and_saveexec_b32 s16, vcc_lo
	s_cbranch_execnz .LBB62_128
	s_branch .LBB62_129
.LBB62_155:                             ;   in Loop: Header=BB62_29 Depth=1
	v_cmp_gt_i32_e64 s1, s27, v126
	s_waitcnt vmcnt(0)
	v_cndmask_b32_e64 v9, 0, v9, s1
	v_cmp_gt_i32_e64 s1, s27, v125
	v_cndmask_b32_e64 v10, 0, v10, s1
	v_cmp_gt_i32_e64 s1, s27, v127
	;; [unrolled: 2-line block ×3, first 2 shown]
	v_cndmask_b32_e64 v12, 0, v12, s1
	s_or_b32 exec_lo, exec_lo, s16
	global_load_dwordx4 v[13:16], v[17:18], off offset:512
	s_and_saveexec_b32 s16, vcc_lo
	s_cbranch_execz .LBB62_131
.LBB62_156:                             ;   in Loop: Header=BB62_29 Depth=1
	v_cmp_gt_i32_e64 s1, s27, v126
	s_waitcnt vmcnt(0)
	v_cndmask_b32_e64 v13, 0, v13, s1
	v_cmp_gt_i32_e64 s1, s27, v125
	v_cndmask_b32_e64 v14, 0, v14, s1
	v_cmp_gt_i32_e64 s1, s27, v127
	;; [unrolled: 2-line block ×3, first 2 shown]
	v_cndmask_b32_e64 v16, 0, v16, s1
	s_or_b32 exec_lo, exec_lo, s16
	global_load_dwordx4 v[17:20], v[17:18], off offset:1024
	s_and_saveexec_b32 s16, vcc_lo
	s_cbranch_execnz .LBB62_132
	s_branch .LBB62_133
.LBB62_157:
	s_or_b32 exec_lo, exec_lo, s14
	s_clause 0x38
	buffer_load_dword v80, off, s[40:43], 0 offset:552
	buffer_load_dword v77, off, s[40:43], 0 offset:568
	;; [unrolled: 1-line block ×57, first 2 shown]
.LBB62_158:
	s_or_b32 exec_lo, exec_lo, s3
	s_clause 0x2
	buffer_load_dword v72, off, s[40:43], 0 offset:916
	buffer_load_dword v82, off, s[40:43], 0 offset:900
	;; [unrolled: 1-line block ×3, first 2 shown]
	v_mov_b32_e32 v12, v10
	v_mov_b32_e32 v13, v9
	s_waitcnt vmcnt(4)
	v_mov_b32_e32 v29, v5
	v_mov_b32_e32 v28, v6
	;; [unrolled: 1-line block ×6, first 2 shown]
	s_mov_b32 s3, exec_lo
	s_waitcnt vmcnt(2)
	ds_bpermute_b32 v1, v72, v25
	ds_bpermute_b32 v0, v72, v24
	;; [unrolled: 1-line block ×17, first 2 shown]
	s_waitcnt lgkmcnt(16)
	v_add_f32_e32 v1, v25, v1
	s_waitcnt lgkmcnt(15)
	v_add_f32_e32 v0, v24, v0
	;; [unrolled: 2-line block ×3, first 2 shown]
	v_mov_b32_e32 v24, v17
	s_waitcnt lgkmcnt(13)
	v_add_f32_e32 v2, v23, v2
	s_waitcnt vmcnt(1)
	ds_bpermute_b32 v17, v82, v1
	s_waitcnt lgkmcnt(13)
	v_add_f32_e32 v4, v19, v4
	v_mov_b32_e32 v23, v16
	ds_bpermute_b32 v16, v82, v0
	ds_bpermute_b32 v19, v82, v3
	v_mov_b32_e32 v25, v18
	ds_bpermute_b32 v18, v82, v2
	ds_bpermute_b32 v20, v82, v4
	s_waitcnt lgkmcnt(16)
	v_add_f32_e32 v5, v29, v5
	s_waitcnt lgkmcnt(15)
	v_add_f32_e32 v6, v28, v6
	;; [unrolled: 2-line block ×7, first 2 shown]
	ds_bpermute_b32 v21, v82, v5
	ds_bpermute_b32 v22, v82, v6
	s_waitcnt lgkmcnt(11)
	v_add_f32_e32 v9, v25, v9
	s_waitcnt lgkmcnt(10)
	v_add_f32_e32 v11, v23, v11
	ds_bpermute_b32 v23, v82, v7
	s_waitcnt lgkmcnt(7)
	v_add_f32_e32 v1, v1, v17
	ds_bpermute_b32 v24, v82, v8
	ds_bpermute_b32 v26, v82, v10
	s_waitcnt lgkmcnt(8)
	v_add_f32_e32 v0, v0, v16
	s_waitcnt lgkmcnt(7)
	v_add_f32_e32 v3, v3, v19
	s_waitcnt vmcnt(0)
	ds_bpermute_b32 v17, v88, v1
	ds_bpermute_b32 v25, v82, v9
	s_waitcnt lgkmcnt(8)
	v_add_f32_e32 v2, v2, v18
	s_waitcnt lgkmcnt(7)
	v_add_f32_e32 v4, v4, v20
	ds_bpermute_b32 v16, v88, v0
	ds_bpermute_b32 v19, v88, v3
	;; [unrolled: 1-line block ×9, first 2 shown]
	s_waitcnt lgkmcnt(15)
	v_add_f32_e32 v5, v5, v21
	s_waitcnt lgkmcnt(14)
	v_add_f32_e32 v6, v6, v22
	;; [unrolled: 2-line block ×5, first 2 shown]
	ds_bpermute_b32 v21, v88, v5
	ds_bpermute_b32 v22, v88, v6
	s_waitcnt lgkmcnt(12)
	v_add_f32_e32 v1, v1, v17
	ds_bpermute_b32 v17, v72, v33
	s_waitcnt lgkmcnt(12)
	v_add_f32_e32 v9, v9, v25
	;; [unrolled: 3-line block ×3, first 2 shown]
	s_waitcnt lgkmcnt(11)
	v_add_f32_e32 v3, v3, v19
	s_waitcnt lgkmcnt(10)
	v_add_f32_e32 v11, v11, v27
	ds_bpermute_b32 v16, v88, v8
	ds_bpermute_b32 v19, v88, v10
	s_waitcnt lgkmcnt(10)
	v_add_f32_e32 v12, v12, v31
	v_add_f32_e32 v14, v50, v14
	;; [unrolled: 1-line block ×4, first 2 shown]
	s_waitcnt lgkmcnt(9)
	v_add_f32_e32 v2, v2, v18
	s_waitcnt lgkmcnt(8)
	v_add_f32_e32 v4, v4, v20
	ds_bpermute_b32 v18, v88, v9
	ds_bpermute_b32 v20, v88, v11
	;; [unrolled: 1-line block ×6, first 2 shown]
	s_waitcnt lgkmcnt(12)
	v_add_f32_e32 v13, v13, v32
	v_add_f32_e32 v29, v37, v29
	s_waitcnt lgkmcnt(11)
	v_add_f32_e32 v5, v5, v21
	v_add_f32_e32 v21, v36, v30
	s_waitcnt lgkmcnt(10)
	v_add_f32_e32 v6, v6, v22
	ds_bpermute_b32 v26, v88, v13
	ds_bpermute_b32 v22, v82, v29
	s_waitcnt lgkmcnt(11)
	v_add_f32_e32 v17, v33, v17
	s_waitcnt lgkmcnt(10)
	v_add_f32_e32 v7, v7, v23
	ds_bpermute_b32 v23, v82, v21
	s_waitcnt lgkmcnt(10)
	v_add_f32_e32 v8, v8, v16
	s_waitcnt lgkmcnt(9)
	v_add_f32_e32 v10, v10, v19
	ds_bpermute_b32 v16, v82, v17
	ds_bpermute_b32 v19, v72, v35
	s_waitcnt lgkmcnt(10)
	v_add_f32_e32 v9, v9, v18
	s_waitcnt lgkmcnt(9)
	v_add_f32_e32 v11, v11, v20
	ds_bpermute_b32 v18, v72, v34
	s_waitcnt lgkmcnt(9)
	v_add_f32_e32 v12, v12, v25
	s_waitcnt lgkmcnt(8)
	v_add_f32_e32 v14, v14, v27
	;; [unrolled: 2-line block ×4, first 2 shown]
	ds_bpermute_b32 v24, v72, v46
	ds_bpermute_b32 v25, v72, v45
	;; [unrolled: 1-line block ×4, first 2 shown]
	s_waitcnt lgkmcnt(9)
	v_add_f32_e32 v13, v13, v26
	ds_bpermute_b32 v26, v72, v40
	s_waitcnt lgkmcnt(9)
	v_add_f32_e32 v22, v29, v22
	ds_bpermute_b32 v29, v88, v20
	;; [unrolled: 3-line block ×3, first 2 shown]
	ds_bpermute_b32 v30, v72, v43
	ds_bpermute_b32 v31, v88, v22
	s_waitcnt lgkmcnt(11)
	v_add_f32_e32 v32, v17, v16
	s_waitcnt lgkmcnt(10)
	v_add_f32_e32 v35, v35, v19
	ds_bpermute_b32 v19, v72, v42
	ds_bpermute_b32 v37, v72, v41
	;; [unrolled: 1-line block ×3, first 2 shown]
	s_waitcnt lgkmcnt(12)
	v_add_f32_e32 v34, v34, v18
	ds_bpermute_b32 v36, v88, v32
	ds_bpermute_b32 v39, v82, v35
	s_waitcnt lgkmcnt(13)
	v_add_f32_e32 v24, v46, v24
	s_waitcnt lgkmcnt(12)
	v_add_f32_e32 v25, v45, v25
	ds_bpermute_b32 v38, v82, v34
	s_waitcnt lgkmcnt(12)
	v_add_f32_e32 v14, v14, v27
	s_waitcnt lgkmcnt(11)
	v_add_f32_e32 v15, v15, v28
	ds_bpermute_b32 v27, v82, v24
	ds_bpermute_b32 v28, v82, v25
	s_waitcnt lgkmcnt(12)
	v_add_f32_e32 v26, v40, v26
	s_waitcnt lgkmcnt(11)
	v_add_f32_e32 v16, v20, v29
	;; [unrolled: 2-line block ×5, first 2 shown]
	ds_bpermute_b32 v40, v82, v26
	ds_bpermute_b32 v43, v72, v84
	s_waitcnt lgkmcnt(9)
	v_add_f32_e32 v22, v42, v19
	s_waitcnt lgkmcnt(8)
	v_add_f32_e32 v29, v41, v37
	;; [unrolled: 2-line block ×3, first 2 shown]
	ds_bpermute_b32 v20, v82, v23
	ds_bpermute_b32 v21, v82, v30
	s_waitcnt lgkmcnt(8)
	v_add_f32_e32 v19, v32, v36
	s_waitcnt lgkmcnt(7)
	v_add_f32_e32 v32, v35, v39
	ds_bpermute_b32 v33, v82, v22
	ds_bpermute_b32 v35, v82, v29
	;; [unrolled: 1-line block ×4, first 2 shown]
	s_waitcnt lgkmcnt(10)
	v_add_f32_e32 v31, v34, v38
	ds_bpermute_b32 v34, v72, v49
	s_waitcnt lgkmcnt(10)
	v_add_f32_e32 v24, v24, v27
	s_waitcnt lgkmcnt(9)
	v_add_f32_e32 v25, v25, v28
	ds_bpermute_b32 v28, v72, v51
	ds_bpermute_b32 v38, v88, v31
	;; [unrolled: 1-line block ×4, first 2 shown]
	s_waitcnt lgkmcnt(12)
	v_add_f32_e32 v26, v26, v40
	ds_bpermute_b32 v40, v88, v25
	ds_bpermute_b32 v44, v72, v71
	s_waitcnt lgkmcnt(12)
	v_add_f32_e32 v41, v23, v20
	s_waitcnt lgkmcnt(11)
	v_add_f32_e32 v30, v30, v21
	ds_bpermute_b32 v42, v88, v26
	s_waitcnt lgkmcnt(11)
	v_add_f32_e32 v33, v22, v33
	s_waitcnt lgkmcnt(10)
	v_add_f32_e32 v29, v29, v35
	;; [unrolled: 2-line block ×4, first 2 shown]
	ds_bpermute_b32 v45, v88, v41
	ds_bpermute_b32 v46, v88, v30
	s_waitcnt lgkmcnt(9)
	v_add_f32_e32 v34, v49, v34
	ds_bpermute_b32 v37, v88, v33
	ds_bpermute_b32 v49, v82, v35
	;; [unrolled: 1-line block ×3, first 2 shown]
	s_waitcnt lgkmcnt(11)
	v_add_f32_e32 v51, v51, v28
	ds_bpermute_b32 v47, v82, v34
	s_waitcnt lgkmcnt(11)
	v_add_f32_e32 v20, v31, v38
	s_waitcnt lgkmcnt(10)
	v_add_f32_e32 v21, v32, v27
	;; [unrolled: 2-line block ×3, first 2 shown]
	ds_bpermute_b32 v31, v82, v51
	v_add_f32_e32 v32, v84, v43
	ds_bpermute_b32 v39, v72, v63
	s_waitcnt lgkmcnt(10)
	v_add_f32_e32 v23, v25, v40
	s_waitcnt lgkmcnt(9)
	v_add_f32_e32 v38, v71, v44
	s_waitcnt lgkmcnt(8)
	v_add_f32_e32 v24, v26, v42
	ds_bpermute_b32 v40, v82, v32
	ds_bpermute_b32 v42, v72, v52
	;; [unrolled: 1-line block ×3, first 2 shown]
	s_waitcnt lgkmcnt(10)
	v_add_f32_e32 v25, v41, v45
	ds_bpermute_b32 v41, v82, v38
	s_waitcnt lgkmcnt(10)
	v_add_f32_e32 v26, v30, v46
	ds_bpermute_b32 v30, v72, v53
	s_waitcnt lgkmcnt(10)
	v_add_f32_e32 v27, v33, v37
	s_waitcnt lgkmcnt(9)
	v_add_f32_e32 v33, v35, v49
	;; [unrolled: 2-line block ×3, first 2 shown]
	ds_bpermute_b32 v36, v72, v62
	ds_bpermute_b32 v37, v72, v58
	s_waitcnt lgkmcnt(9)
	v_add_f32_e32 v34, v34, v47
	ds_bpermute_b32 v43, v88, v33
	ds_bpermute_b32 v45, v72, v54
	s_waitcnt lgkmcnt(10)
	v_add_f32_e32 v46, v51, v31
	s_waitcnt lgkmcnt(9)
	v_add_f32_e32 v39, v63, v39
	ds_bpermute_b32 v31, v72, v55
	ds_bpermute_b32 v47, v72, v56
	;; [unrolled: 1-line block ×3, first 2 shown]
	s_waitcnt lgkmcnt(11)
	v_add_f32_e32 v40, v32, v40
	ds_bpermute_b32 v32, v82, v39
	s_waitcnt lgkmcnt(11)
	v_add_f32_e32 v42, v52, v42
	s_waitcnt lgkmcnt(10)
	v_add_f32_e32 v28, v29, v48
	;; [unrolled: 2-line block ×3, first 2 shown]
	ds_bpermute_b32 v49, v88, v40
	s_waitcnt lgkmcnt(9)
	v_add_f32_e32 v41, v53, v30
	ds_bpermute_b32 v53, v72, v57
	ds_bpermute_b32 v29, v88, v34
	;; [unrolled: 1-line block ×3, first 2 shown]
	s_waitcnt lgkmcnt(11)
	v_add_f32_e32 v36, v62, v36
	s_waitcnt lgkmcnt(10)
	v_add_f32_e32 v37, v58, v37
	ds_bpermute_b32 v51, v82, v41
	s_waitcnt lgkmcnt(10)
	v_add_f32_e32 v30, v33, v43
	s_waitcnt lgkmcnt(9)
	v_add_f32_e32 v43, v54, v45
	ds_bpermute_b32 v45, v82, v36
	ds_bpermute_b32 v54, v82, v37
	s_waitcnt lgkmcnt(10)
	v_add_f32_e32 v55, v55, v31
	s_waitcnt lgkmcnt(9)
	v_add_f32_e32 v47, v56, v47
	ds_bpermute_b32 v50, v88, v38
	;; [unrolled: 6-line block ×3, first 2 shown]
	ds_bpermute_b32 v44, v82, v47
	s_waitcnt lgkmcnt(10)
	v_add_f32_e32 v33, v40, v49
	ds_bpermute_b32 v49, v72, v60
	ds_bpermute_b32 v58, v72, v69
	s_waitcnt lgkmcnt(10)
	v_add_f32_e32 v29, v34, v29
	s_waitcnt lgkmcnt(9)
	v_add_f32_e32 v32, v46, v48
	ds_bpermute_b32 v46, v72, v59
	ds_bpermute_b32 v56, v82, v43
	s_waitcnt lgkmcnt(10)
	v_add_f32_e32 v40, v41, v51
	v_add_f32_e32 v41, v57, v53
	ds_bpermute_b32 v48, v72, v61
	s_waitcnt lgkmcnt(10)
	v_add_f32_e32 v45, v36, v45
	s_waitcnt lgkmcnt(9)
	v_add_f32_e32 v53, v37, v54
	ds_bpermute_b32 v36, v72, v64
	ds_bpermute_b32 v37, v72, v65
	s_waitcnt lgkmcnt(10)
	v_add_f32_e32 v34, v38, v50
	ds_bpermute_b32 v38, v88, v35
	s_waitcnt lgkmcnt(10)
	v_add_f32_e32 v42, v42, v52
	;; [unrolled: 3-line block ×3, first 2 shown]
	s_waitcnt lgkmcnt(9)
	v_add_f32_e32 v44, v47, v44
	ds_bpermute_b32 v39, v88, v45
	ds_bpermute_b32 v47, v88, v53
	;; [unrolled: 1-line block ×5, first 2 shown]
	s_waitcnt lgkmcnt(13)
	v_add_f32_e32 v49, v60, v49
	s_waitcnt lgkmcnt(11)
	v_add_f32_e32 v46, v59, v46
	;; [unrolled: 2-line block ×3, first 2 shown]
	ds_bpermute_b32 v59, v72, v68
	ds_bpermute_b32 v56, v88, v54
	;; [unrolled: 1-line block ×4, first 2 shown]
	s_waitcnt lgkmcnt(12)
	v_add_f32_e32 v64, v64, v36
	s_waitcnt lgkmcnt(11)
	v_add_f32_e32 v65, v65, v37
	ds_bpermute_b32 v55, v88, v43
	s_waitcnt lgkmcnt(11)
	v_add_f32_e32 v35, v35, v38
	v_add_f32_e32 v48, v61, v48
	s_waitcnt lgkmcnt(10)
	v_add_f32_e32 v50, v41, v50
	s_waitcnt lgkmcnt(9)
	;; [unrolled: 2-line block ×3, first 2 shown]
	v_add_f32_e32 v39, v53, v47
	v_add_f32_e32 v47, v69, v58
	s_waitcnt lgkmcnt(7)
	v_add_f32_e32 v36, v40, v51
	s_waitcnt lgkmcnt(6)
	v_add_f32_e32 v37, v42, v52
	ds_bpermute_b32 v45, v82, v64
	ds_bpermute_b32 v51, v82, v65
	;; [unrolled: 1-line block ×3, first 2 shown]
	s_waitcnt lgkmcnt(8)
	v_add_f32_e32 v42, v44, v57
	ds_bpermute_b32 v44, v82, v47
	ds_bpermute_b32 v63, v88, v50
	s_waitcnt lgkmcnt(7)
	v_add_f32_e32 v49, v49, v62
	ds_bpermute_b32 v62, v72, v74
	v_add_f32_e32 v53, v68, v59
	s_waitcnt lgkmcnt(7)
	v_add_f32_e32 v46, v46, v60
	ds_bpermute_b32 v60, v72, v73
	s_waitcnt lgkmcnt(7)
	v_add_f32_e32 v40, v43, v55
	v_add_f32_e32 v41, v54, v56
	ds_bpermute_b32 v54, v82, v53
	ds_bpermute_b32 v58, v72, v70
	;; [unrolled: 1-line block ×5, first 2 shown]
	s_waitcnt lgkmcnt(11)
	v_add_f32_e32 v59, v64, v45
	s_waitcnt lgkmcnt(10)
	v_add_f32_e32 v51, v65, v51
	;; [unrolled: 2-line block ×3, first 2 shown]
	ds_bpermute_b32 v66, v72, v76
	s_waitcnt lgkmcnt(9)
	v_add_f32_e32 v65, v47, v44
	ds_bpermute_b32 v44, v72, v75
	s_waitcnt lgkmcnt(9)
	v_add_f32_e32 v43, v50, v63
	ds_bpermute_b32 v50, v72, v67
	ds_bpermute_b32 v47, v72, v79
	s_waitcnt lgkmcnt(10)
	v_add_f32_e32 v62, v74, v62
	ds_bpermute_b32 v52, v72, v83
	ds_bpermute_b32 v63, v82, v45
	s_waitcnt lgkmcnt(11)
	v_add_f32_e32 v60, v73, v60
	s_waitcnt lgkmcnt(10)
	v_add_f32_e32 v53, v53, v54
	ds_bpermute_b32 v54, v72, v78
	s_waitcnt lgkmcnt(10)
	v_add_f32_e32 v58, v70, v58
	ds_bpermute_b32 v70, v72, v80
	ds_bpermute_b32 v74, v82, v60
	s_waitcnt lgkmcnt(11)
	v_add_f32_e32 v48, v48, v61
	ds_bpermute_b32 v64, v88, v51
	ds_bpermute_b32 v73, v82, v58
	;; [unrolled: 1-line block ×4, first 2 shown]
	s_waitcnt lgkmcnt(12)
	v_add_f32_e32 v66, v76, v66
	ds_bpermute_b32 v56, v88, v48
	s_waitcnt lgkmcnt(12)
	v_add_f32_e32 v44, v75, v44
	ds_bpermute_b32 v75, v82, v62
	;; [unrolled: 3-line block ×3, first 2 shown]
	ds_bpermute_b32 v72, v72, v81
	s_waitcnt lgkmcnt(13)
	v_add_f32_e32 v47, v79, v47
	ds_bpermute_b32 v79, v82, v66
	s_waitcnt lgkmcnt(13)
	v_add_f32_e32 v52, v83, v52
	s_waitcnt lgkmcnt(12)
	v_add_f32_e32 v63, v45, v63
	ds_bpermute_b32 v71, v82, v50
	ds_bpermute_b32 v76, v82, v44
	s_waitcnt lgkmcnt(13)
	v_add_f32_e32 v54, v78, v54
	ds_bpermute_b32 v45, v82, v52
	s_waitcnt lgkmcnt(12)
	v_add_f32_e32 v60, v60, v74
	v_add_f32_e32 v70, v80, v70
	s_waitcnt lgkmcnt(10)
	v_add_f32_e32 v58, v58, v73
	ds_bpermute_b32 v78, v82, v54
	ds_bpermute_b32 v69, v88, v53
	;; [unrolled: 1-line block ×4, first 2 shown]
	s_waitcnt lgkmcnt(10)
	v_add_f32_e32 v62, v62, v75
	s_waitcnt lgkmcnt(9)
	v_add_f32_e32 v67, v77, v67
	;; [unrolled: 2-line block ×3, first 2 shown]
	ds_bpermute_b32 v81, v88, v63
	ds_bpermute_b32 v84, v88, v62
	s_waitcnt lgkmcnt(9)
	v_add_f32_e32 v66, v66, v79
	ds_bpermute_b32 v77, v82, v47
	ds_bpermute_b32 v80, v82, v67
	s_waitcnt lgkmcnt(10)
	v_add_f32_e32 v71, v50, v71
	ds_bpermute_b32 v50, v82, v70
	ds_bpermute_b32 v86, v88, v66
	;; [unrolled: 1-line block ×3, first 2 shown]
	s_waitcnt lgkmcnt(11)
	v_add_f32_e32 v82, v52, v45
	v_add_f32_e32 v45, v48, v56
	v_add_f32_e32 v48, v51, v64
	v_add_f32_e32 v76, v44, v76
	v_add_f32_e32 v44, v46, v55
	s_waitcnt lgkmcnt(8)
	v_add_f32_e32 v55, v60, v83
	v_add_f32_e32 v78, v54, v78
	ds_bpermute_b32 v52, v88, v71
	ds_bpermute_b32 v75, v88, v82
	;; [unrolled: 1-line block ×3, first 2 shown]
	v_add_f32_e32 v46, v49, v57
	s_waitcnt lgkmcnt(9)
	v_add_f32_e32 v51, v63, v81
	s_waitcnt lgkmcnt(8)
	v_add_f32_e32 v56, v62, v84
	s_clause 0x1
	buffer_load_dword v63, off, s[40:43], 0 offset:896
	buffer_load_dword v62, off, s[40:43], 0 offset:904
	s_waitcnt lgkmcnt(7)
	v_add_f32_e32 v77, v47, v77
	s_waitcnt lgkmcnt(6)
	v_add_f32_e32 v67, v67, v80
	;; [unrolled: 2-line block ×4, first 2 shown]
	buffer_load_dword v66, off, s[40:43], 0 offset:908 ; 4-byte Folded Reload
	s_waitcnt lgkmcnt(3)
	v_add_f32_e32 v72, v72, v73
	ds_bpermute_b32 v80, v88, v77
	ds_bpermute_b32 v85, v88, v78
	;; [unrolled: 1-line block ×5, first 2 shown]
	v_add_f32_e32 v49, v65, v68
	v_add_f32_e32 v47, v59, v61
	;; [unrolled: 1-line block ×3, first 2 shown]
	s_waitcnt lgkmcnt(7)
	v_add_f32_e32 v52, v71, v52
	v_add_f32_e32 v53, v58, v74
	s_waitcnt lgkmcnt(6)
	v_add_f32_e32 v54, v82, v75
	s_waitcnt lgkmcnt(5)
	v_add_f32_e32 v57, v76, v79
	s_waitcnt vmcnt(0) lgkmcnt(0)
	s_waitcnt_vscnt null, 0x0
	s_barrier
	buffer_gl0_inv
	v_add_f32_e32 v58, v77, v80
	v_add_f32_e32 v59, v78, v85
	v_add_f32_e32 v61, v67, v87
	v_and_b32_e32 v65, 7, v63
	v_lshrrev_b32_e32 v64, 3, v62
	v_add_f32_e32 v62, v70, v73
	v_and_b32_e32 v67, 0x3c0, v63
	v_add_f32_e32 v63, v72, v88
	v_cmp_eq_u32_e32 vcc_lo, 0, v65
	v_lshl_add_u32 v65, v64, 2, 0x420
	v_lshlrev_b32_e32 v66, 10, v66
	v_cmpx_eq_u32_e32 64, v67
	s_cbranch_execz .LBB62_161
; %bb.159:
	s_and_b32 exec_lo, exec_lo, vcc_lo
	s_cbranch_execz .LBB62_161
; %bb.160:
	v_add_nc_u32_e32 v67, v65, v66
	v_add_nc_u32_e32 v68, 0xfffff800, v67
	;; [unrolled: 1-line block ×7, first 2 shown]
	ds_write_b32 v68, v0
	ds_write_b32 v69, v1
	;; [unrolled: 1-line block ×4, first 2 shown]
	v_add_nc_u32_e32 v68, 0xfffff860, v67
	v_add_nc_u32_e32 v69, 0xfffff870, v67
	v_add_nc_u32_e32 v70, 0xfffff880, v67
	ds_write_b32 v72, v4
	ds_write_b32 v73, v5
	ds_write_b32 v68, v6
	ds_write_b32 v69, v7
	ds_write_b32 v70, v8
	v_add_nc_u32_e32 v68, 0xfffff890, v67
	v_add_nc_u32_e32 v69, 0xfffff8a0, v67
	v_add_nc_u32_e32 v70, 0xfffff8b0, v67
	v_add_nc_u32_e32 v71, 0xfffff8c0, v67
	v_add_nc_u32_e32 v72, 0xfffff8d0, v67
	ds_write_b32 v68, v9
	ds_write_b32 v69, v10
	ds_write_b32 v70, v11
	ds_write_b32 v71, v12
	ds_write_b32 v72, v13
	v_add_nc_u32_e32 v68, 0xfffff8e0, v67
	v_add_nc_u32_e32 v69, 0xfffff8f0, v67
	;; [unrolled: 10-line block ×11, first 2 shown]
	v_add_nc_u32_e32 v70, 0xfffffbd0, v67
	v_add_nc_u32_e32 v71, 0xfffffbe0, v67
	;; [unrolled: 1-line block ×3, first 2 shown]
	ds_write_b32 v68, v59
	ds_write_b32 v69, v60
	;; [unrolled: 1-line block ×5, first 2 shown]
.LBB62_161:
	s_or_b32 exec_lo, exec_lo, s3
	v_lshlrev_b32_e32 v64, 2, v64
	s_waitcnt lgkmcnt(0)
	s_barrier
	buffer_gl0_inv
	v_add3_u32 v64, 0x420, v66, v64
	s_and_saveexec_b32 s1, s0
	s_cbranch_execz .LBB62_228
; %bb.162:
	s_and_saveexec_b32 s0, vcc_lo
	s_cbranch_execnz .LBB62_300
; %bb.163:
	s_or_b32 exec_lo, exec_lo, s0
	s_and_saveexec_b32 s0, vcc_lo
	s_cbranch_execnz .LBB62_301
.LBB62_164:
	s_or_b32 exec_lo, exec_lo, s0
	s_and_saveexec_b32 s0, vcc_lo
	s_cbranch_execnz .LBB62_302
.LBB62_165:
	s_or_b32 exec_lo, exec_lo, s0
	s_and_saveexec_b32 s0, vcc_lo
	s_cbranch_execnz .LBB62_303
.LBB62_166:
	s_or_b32 exec_lo, exec_lo, s0
	s_and_saveexec_b32 s0, vcc_lo
	s_cbranch_execnz .LBB62_304
.LBB62_167:
	s_or_b32 exec_lo, exec_lo, s0
	s_and_saveexec_b32 s0, vcc_lo
	s_cbranch_execnz .LBB62_305
.LBB62_168:
	s_or_b32 exec_lo, exec_lo, s0
	s_and_saveexec_b32 s0, vcc_lo
	s_cbranch_execnz .LBB62_306
.LBB62_169:
	s_or_b32 exec_lo, exec_lo, s0
	s_and_saveexec_b32 s0, vcc_lo
	s_cbranch_execnz .LBB62_307
.LBB62_170:
	s_or_b32 exec_lo, exec_lo, s0
	s_and_saveexec_b32 s0, vcc_lo
	s_cbranch_execnz .LBB62_308
.LBB62_171:
	s_or_b32 exec_lo, exec_lo, s0
	s_and_saveexec_b32 s0, vcc_lo
	s_cbranch_execnz .LBB62_309
.LBB62_172:
	s_or_b32 exec_lo, exec_lo, s0
	s_and_saveexec_b32 s0, vcc_lo
	s_cbranch_execnz .LBB62_310
.LBB62_173:
	s_or_b32 exec_lo, exec_lo, s0
	s_and_saveexec_b32 s0, vcc_lo
	s_cbranch_execnz .LBB62_311
.LBB62_174:
	s_or_b32 exec_lo, exec_lo, s0
	s_and_saveexec_b32 s0, vcc_lo
	s_cbranch_execnz .LBB62_312
.LBB62_175:
	s_or_b32 exec_lo, exec_lo, s0
	s_and_saveexec_b32 s0, vcc_lo
	s_cbranch_execnz .LBB62_313
.LBB62_176:
	s_or_b32 exec_lo, exec_lo, s0
	s_and_saveexec_b32 s0, vcc_lo
	s_cbranch_execnz .LBB62_314
.LBB62_177:
	s_or_b32 exec_lo, exec_lo, s0
	s_and_saveexec_b32 s0, vcc_lo
	s_cbranch_execnz .LBB62_315
.LBB62_178:
	s_or_b32 exec_lo, exec_lo, s0
	s_and_saveexec_b32 s0, vcc_lo
	s_cbranch_execnz .LBB62_316
.LBB62_179:
	s_or_b32 exec_lo, exec_lo, s0
	s_and_saveexec_b32 s0, vcc_lo
	s_cbranch_execnz .LBB62_317
.LBB62_180:
	s_or_b32 exec_lo, exec_lo, s0
	s_and_saveexec_b32 s0, vcc_lo
	s_cbranch_execnz .LBB62_318
.LBB62_181:
	s_or_b32 exec_lo, exec_lo, s0
	s_and_saveexec_b32 s0, vcc_lo
	s_cbranch_execnz .LBB62_319
.LBB62_182:
	s_or_b32 exec_lo, exec_lo, s0
	s_and_saveexec_b32 s0, vcc_lo
	s_cbranch_execnz .LBB62_320
.LBB62_183:
	s_or_b32 exec_lo, exec_lo, s0
	s_and_saveexec_b32 s0, vcc_lo
	s_cbranch_execnz .LBB62_321
.LBB62_184:
	s_or_b32 exec_lo, exec_lo, s0
	s_and_saveexec_b32 s0, vcc_lo
	s_cbranch_execnz .LBB62_322
.LBB62_185:
	s_or_b32 exec_lo, exec_lo, s0
	s_and_saveexec_b32 s0, vcc_lo
	s_cbranch_execnz .LBB62_323
.LBB62_186:
	s_or_b32 exec_lo, exec_lo, s0
	s_and_saveexec_b32 s0, vcc_lo
	s_cbranch_execnz .LBB62_324
.LBB62_187:
	s_or_b32 exec_lo, exec_lo, s0
	s_and_saveexec_b32 s0, vcc_lo
	s_cbranch_execnz .LBB62_325
.LBB62_188:
	s_or_b32 exec_lo, exec_lo, s0
	s_and_saveexec_b32 s0, vcc_lo
	s_cbranch_execnz .LBB62_326
.LBB62_189:
	s_or_b32 exec_lo, exec_lo, s0
	s_and_saveexec_b32 s0, vcc_lo
	s_cbranch_execnz .LBB62_327
.LBB62_190:
	s_or_b32 exec_lo, exec_lo, s0
	s_and_saveexec_b32 s0, vcc_lo
	s_cbranch_execnz .LBB62_328
.LBB62_191:
	s_or_b32 exec_lo, exec_lo, s0
	s_and_saveexec_b32 s0, vcc_lo
	s_cbranch_execnz .LBB62_329
.LBB62_192:
	s_or_b32 exec_lo, exec_lo, s0
	s_and_saveexec_b32 s0, vcc_lo
	s_cbranch_execnz .LBB62_330
.LBB62_193:
	s_or_b32 exec_lo, exec_lo, s0
	s_and_saveexec_b32 s0, vcc_lo
	s_cbranch_execnz .LBB62_331
.LBB62_194:
	s_or_b32 exec_lo, exec_lo, s0
	s_and_saveexec_b32 s0, vcc_lo
	s_cbranch_execnz .LBB62_332
.LBB62_195:
	s_or_b32 exec_lo, exec_lo, s0
	s_and_saveexec_b32 s0, vcc_lo
	s_cbranch_execnz .LBB62_333
.LBB62_196:
	s_or_b32 exec_lo, exec_lo, s0
	s_and_saveexec_b32 s0, vcc_lo
	s_cbranch_execnz .LBB62_334
.LBB62_197:
	s_or_b32 exec_lo, exec_lo, s0
	s_and_saveexec_b32 s0, vcc_lo
	s_cbranch_execnz .LBB62_335
.LBB62_198:
	s_or_b32 exec_lo, exec_lo, s0
	s_and_saveexec_b32 s0, vcc_lo
	s_cbranch_execnz .LBB62_336
.LBB62_199:
	s_or_b32 exec_lo, exec_lo, s0
	s_and_saveexec_b32 s0, vcc_lo
	s_cbranch_execnz .LBB62_337
.LBB62_200:
	s_or_b32 exec_lo, exec_lo, s0
	s_and_saveexec_b32 s0, vcc_lo
	s_cbranch_execnz .LBB62_338
.LBB62_201:
	s_or_b32 exec_lo, exec_lo, s0
	s_and_saveexec_b32 s0, vcc_lo
	s_cbranch_execnz .LBB62_339
.LBB62_202:
	s_or_b32 exec_lo, exec_lo, s0
	s_and_saveexec_b32 s0, vcc_lo
	s_cbranch_execnz .LBB62_340
.LBB62_203:
	s_or_b32 exec_lo, exec_lo, s0
	s_and_saveexec_b32 s0, vcc_lo
	s_cbranch_execnz .LBB62_341
.LBB62_204:
	s_or_b32 exec_lo, exec_lo, s0
	s_and_saveexec_b32 s0, vcc_lo
	s_cbranch_execnz .LBB62_342
.LBB62_205:
	s_or_b32 exec_lo, exec_lo, s0
	s_and_saveexec_b32 s0, vcc_lo
	s_cbranch_execnz .LBB62_343
.LBB62_206:
	s_or_b32 exec_lo, exec_lo, s0
	s_and_saveexec_b32 s0, vcc_lo
	s_cbranch_execnz .LBB62_344
.LBB62_207:
	s_or_b32 exec_lo, exec_lo, s0
	s_and_saveexec_b32 s0, vcc_lo
	s_cbranch_execnz .LBB62_345
.LBB62_208:
	s_or_b32 exec_lo, exec_lo, s0
	s_and_saveexec_b32 s0, vcc_lo
	s_cbranch_execnz .LBB62_346
.LBB62_209:
	s_or_b32 exec_lo, exec_lo, s0
	s_and_saveexec_b32 s0, vcc_lo
	s_cbranch_execnz .LBB62_347
.LBB62_210:
	s_or_b32 exec_lo, exec_lo, s0
	s_and_saveexec_b32 s0, vcc_lo
	s_cbranch_execnz .LBB62_348
.LBB62_211:
	s_or_b32 exec_lo, exec_lo, s0
	s_and_saveexec_b32 s0, vcc_lo
	s_cbranch_execnz .LBB62_349
.LBB62_212:
	s_or_b32 exec_lo, exec_lo, s0
	s_and_saveexec_b32 s0, vcc_lo
	s_cbranch_execnz .LBB62_350
.LBB62_213:
	s_or_b32 exec_lo, exec_lo, s0
	s_and_saveexec_b32 s0, vcc_lo
	s_cbranch_execnz .LBB62_351
.LBB62_214:
	s_or_b32 exec_lo, exec_lo, s0
	s_and_saveexec_b32 s0, vcc_lo
	s_cbranch_execnz .LBB62_352
.LBB62_215:
	s_or_b32 exec_lo, exec_lo, s0
	s_and_saveexec_b32 s0, vcc_lo
	s_cbranch_execnz .LBB62_353
.LBB62_216:
	s_or_b32 exec_lo, exec_lo, s0
	s_and_saveexec_b32 s0, vcc_lo
	s_cbranch_execnz .LBB62_354
.LBB62_217:
	s_or_b32 exec_lo, exec_lo, s0
	s_and_saveexec_b32 s0, vcc_lo
	s_cbranch_execnz .LBB62_355
.LBB62_218:
	s_or_b32 exec_lo, exec_lo, s0
	s_and_saveexec_b32 s0, vcc_lo
	s_cbranch_execnz .LBB62_356
.LBB62_219:
	s_or_b32 exec_lo, exec_lo, s0
	s_and_saveexec_b32 s0, vcc_lo
	s_cbranch_execnz .LBB62_357
.LBB62_220:
	s_or_b32 exec_lo, exec_lo, s0
	s_and_saveexec_b32 s0, vcc_lo
	s_cbranch_execnz .LBB62_358
.LBB62_221:
	s_or_b32 exec_lo, exec_lo, s0
	s_and_saveexec_b32 s0, vcc_lo
	s_cbranch_execnz .LBB62_359
.LBB62_222:
	s_or_b32 exec_lo, exec_lo, s0
	s_and_saveexec_b32 s0, vcc_lo
	s_cbranch_execnz .LBB62_360
.LBB62_223:
	s_or_b32 exec_lo, exec_lo, s0
	s_and_saveexec_b32 s0, vcc_lo
	s_cbranch_execnz .LBB62_361
.LBB62_224:
	s_or_b32 exec_lo, exec_lo, s0
	s_and_saveexec_b32 s0, vcc_lo
	s_cbranch_execnz .LBB62_362
.LBB62_225:
	s_or_b32 exec_lo, exec_lo, s0
	s_and_saveexec_b32 s0, vcc_lo
	s_cbranch_execz .LBB62_227
.LBB62_226:
	ds_read_b32 v66, v64 offset:1008
	s_waitcnt lgkmcnt(0)
	v_add_f32_e32 v63, v63, v66
.LBB62_227:
	s_or_b32 exec_lo, exec_lo, s0
.LBB62_228:
	s_or_b32 exec_lo, exec_lo, s1
	buffer_load_dword v66, off, s[40:43], 0 offset:896 ; 4-byte Folded Reload
	s_mov_b32 s1, exec_lo
	s_waitcnt vmcnt(0)
	s_barrier
	buffer_gl0_inv
	v_and_b32_e32 v66, 0x3e7, v66
	v_cmpx_eq_u32_e32 32, v66
	s_cbranch_execz .LBB62_230
; %bb.229:
	ds_write2_b32 v65, v0, v1 offset1:4
	ds_write2_b32 v65, v2, v3 offset0:8 offset1:12
	ds_write2_b32 v65, v4, v5 offset0:16 offset1:20
	;; [unrolled: 1-line block ×31, first 2 shown]
.LBB62_230:
	s_or_b32 exec_lo, exec_lo, s1
	buffer_load_dword v65, off, s[40:43], 0 offset:896 ; 4-byte Folded Reload
	s_mov_b32 s1, exec_lo
	s_waitcnt vmcnt(0) lgkmcnt(0)
	s_barrier
	buffer_gl0_inv
	v_cmpx_gt_u32_e32 32, v65
	s_cbranch_execz .LBB62_297
; %bb.231:
	s_and_saveexec_b32 s0, vcc_lo
	s_cbranch_execnz .LBB62_363
; %bb.232:
	s_or_b32 exec_lo, exec_lo, s0
	s_and_saveexec_b32 s0, vcc_lo
	s_cbranch_execnz .LBB62_364
.LBB62_233:
	s_or_b32 exec_lo, exec_lo, s0
	s_and_saveexec_b32 s0, vcc_lo
	s_cbranch_execnz .LBB62_365
.LBB62_234:
	s_or_b32 exec_lo, exec_lo, s0
	s_and_saveexec_b32 s0, vcc_lo
	s_cbranch_execnz .LBB62_366
.LBB62_235:
	s_or_b32 exec_lo, exec_lo, s0
	s_and_saveexec_b32 s0, vcc_lo
	s_cbranch_execnz .LBB62_367
.LBB62_236:
	s_or_b32 exec_lo, exec_lo, s0
	s_and_saveexec_b32 s0, vcc_lo
	s_cbranch_execnz .LBB62_368
.LBB62_237:
	s_or_b32 exec_lo, exec_lo, s0
	s_and_saveexec_b32 s0, vcc_lo
	s_cbranch_execnz .LBB62_369
.LBB62_238:
	s_or_b32 exec_lo, exec_lo, s0
	s_and_saveexec_b32 s0, vcc_lo
	s_cbranch_execnz .LBB62_370
.LBB62_239:
	s_or_b32 exec_lo, exec_lo, s0
	s_and_saveexec_b32 s0, vcc_lo
	s_cbranch_execnz .LBB62_371
.LBB62_240:
	s_or_b32 exec_lo, exec_lo, s0
	s_and_saveexec_b32 s0, vcc_lo
	s_cbranch_execnz .LBB62_372
.LBB62_241:
	s_or_b32 exec_lo, exec_lo, s0
	s_and_saveexec_b32 s0, vcc_lo
	s_cbranch_execnz .LBB62_373
.LBB62_242:
	s_or_b32 exec_lo, exec_lo, s0
	s_and_saveexec_b32 s0, vcc_lo
	s_cbranch_execnz .LBB62_374
.LBB62_243:
	s_or_b32 exec_lo, exec_lo, s0
	s_and_saveexec_b32 s0, vcc_lo
	s_cbranch_execnz .LBB62_375
.LBB62_244:
	s_or_b32 exec_lo, exec_lo, s0
	s_and_saveexec_b32 s0, vcc_lo
	s_cbranch_execnz .LBB62_376
.LBB62_245:
	s_or_b32 exec_lo, exec_lo, s0
	s_and_saveexec_b32 s0, vcc_lo
	s_cbranch_execnz .LBB62_377
.LBB62_246:
	s_or_b32 exec_lo, exec_lo, s0
	s_and_saveexec_b32 s0, vcc_lo
	s_cbranch_execnz .LBB62_378
.LBB62_247:
	s_or_b32 exec_lo, exec_lo, s0
	s_and_saveexec_b32 s0, vcc_lo
	s_cbranch_execnz .LBB62_379
.LBB62_248:
	s_or_b32 exec_lo, exec_lo, s0
	s_and_saveexec_b32 s0, vcc_lo
	s_cbranch_execnz .LBB62_380
.LBB62_249:
	s_or_b32 exec_lo, exec_lo, s0
	s_and_saveexec_b32 s0, vcc_lo
	s_cbranch_execnz .LBB62_381
.LBB62_250:
	s_or_b32 exec_lo, exec_lo, s0
	s_and_saveexec_b32 s0, vcc_lo
	s_cbranch_execnz .LBB62_382
.LBB62_251:
	s_or_b32 exec_lo, exec_lo, s0
	s_and_saveexec_b32 s0, vcc_lo
	s_cbranch_execnz .LBB62_383
.LBB62_252:
	s_or_b32 exec_lo, exec_lo, s0
	s_and_saveexec_b32 s0, vcc_lo
	s_cbranch_execnz .LBB62_384
.LBB62_253:
	s_or_b32 exec_lo, exec_lo, s0
	s_and_saveexec_b32 s0, vcc_lo
	s_cbranch_execnz .LBB62_385
.LBB62_254:
	s_or_b32 exec_lo, exec_lo, s0
	s_and_saveexec_b32 s0, vcc_lo
	s_cbranch_execnz .LBB62_386
.LBB62_255:
	s_or_b32 exec_lo, exec_lo, s0
	s_and_saveexec_b32 s0, vcc_lo
	s_cbranch_execnz .LBB62_387
.LBB62_256:
	s_or_b32 exec_lo, exec_lo, s0
	s_and_saveexec_b32 s0, vcc_lo
	s_cbranch_execnz .LBB62_388
.LBB62_257:
	s_or_b32 exec_lo, exec_lo, s0
	s_and_saveexec_b32 s0, vcc_lo
	s_cbranch_execnz .LBB62_389
.LBB62_258:
	s_or_b32 exec_lo, exec_lo, s0
	s_and_saveexec_b32 s0, vcc_lo
	s_cbranch_execnz .LBB62_390
.LBB62_259:
	s_or_b32 exec_lo, exec_lo, s0
	s_and_saveexec_b32 s0, vcc_lo
	s_cbranch_execnz .LBB62_391
.LBB62_260:
	s_or_b32 exec_lo, exec_lo, s0
	s_and_saveexec_b32 s0, vcc_lo
	s_cbranch_execnz .LBB62_392
.LBB62_261:
	s_or_b32 exec_lo, exec_lo, s0
	s_and_saveexec_b32 s0, vcc_lo
	s_cbranch_execnz .LBB62_393
.LBB62_262:
	s_or_b32 exec_lo, exec_lo, s0
	s_and_saveexec_b32 s0, vcc_lo
	s_cbranch_execnz .LBB62_394
.LBB62_263:
	s_or_b32 exec_lo, exec_lo, s0
	s_and_saveexec_b32 s0, vcc_lo
	s_cbranch_execnz .LBB62_395
.LBB62_264:
	s_or_b32 exec_lo, exec_lo, s0
	s_and_saveexec_b32 s0, vcc_lo
	s_cbranch_execnz .LBB62_396
.LBB62_265:
	s_or_b32 exec_lo, exec_lo, s0
	s_and_saveexec_b32 s0, vcc_lo
	s_cbranch_execnz .LBB62_397
.LBB62_266:
	s_or_b32 exec_lo, exec_lo, s0
	s_and_saveexec_b32 s0, vcc_lo
	s_cbranch_execnz .LBB62_398
.LBB62_267:
	s_or_b32 exec_lo, exec_lo, s0
	s_and_saveexec_b32 s0, vcc_lo
	s_cbranch_execnz .LBB62_399
.LBB62_268:
	s_or_b32 exec_lo, exec_lo, s0
	s_and_saveexec_b32 s0, vcc_lo
	s_cbranch_execnz .LBB62_400
.LBB62_269:
	s_or_b32 exec_lo, exec_lo, s0
	s_and_saveexec_b32 s0, vcc_lo
	s_cbranch_execnz .LBB62_401
.LBB62_270:
	s_or_b32 exec_lo, exec_lo, s0
	s_and_saveexec_b32 s0, vcc_lo
	s_cbranch_execnz .LBB62_402
.LBB62_271:
	s_or_b32 exec_lo, exec_lo, s0
	s_and_saveexec_b32 s0, vcc_lo
	s_cbranch_execnz .LBB62_403
.LBB62_272:
	s_or_b32 exec_lo, exec_lo, s0
	s_and_saveexec_b32 s0, vcc_lo
	s_cbranch_execnz .LBB62_404
.LBB62_273:
	s_or_b32 exec_lo, exec_lo, s0
	s_and_saveexec_b32 s0, vcc_lo
	s_cbranch_execnz .LBB62_405
.LBB62_274:
	s_or_b32 exec_lo, exec_lo, s0
	s_and_saveexec_b32 s0, vcc_lo
	s_cbranch_execnz .LBB62_406
.LBB62_275:
	s_or_b32 exec_lo, exec_lo, s0
	s_and_saveexec_b32 s0, vcc_lo
	s_cbranch_execnz .LBB62_407
.LBB62_276:
	s_or_b32 exec_lo, exec_lo, s0
	s_and_saveexec_b32 s0, vcc_lo
	s_cbranch_execnz .LBB62_408
.LBB62_277:
	s_or_b32 exec_lo, exec_lo, s0
	s_and_saveexec_b32 s0, vcc_lo
	s_cbranch_execnz .LBB62_409
.LBB62_278:
	s_or_b32 exec_lo, exec_lo, s0
	s_and_saveexec_b32 s0, vcc_lo
	s_cbranch_execnz .LBB62_410
.LBB62_279:
	s_or_b32 exec_lo, exec_lo, s0
	s_and_saveexec_b32 s0, vcc_lo
	s_cbranch_execnz .LBB62_411
.LBB62_280:
	s_or_b32 exec_lo, exec_lo, s0
	s_and_saveexec_b32 s0, vcc_lo
	s_cbranch_execnz .LBB62_412
.LBB62_281:
	s_or_b32 exec_lo, exec_lo, s0
	s_and_saveexec_b32 s0, vcc_lo
	s_cbranch_execnz .LBB62_413
.LBB62_282:
	s_or_b32 exec_lo, exec_lo, s0
	s_and_saveexec_b32 s0, vcc_lo
	s_cbranch_execnz .LBB62_414
.LBB62_283:
	s_or_b32 exec_lo, exec_lo, s0
	s_and_saveexec_b32 s0, vcc_lo
	s_cbranch_execnz .LBB62_415
.LBB62_284:
	s_or_b32 exec_lo, exec_lo, s0
	s_and_saveexec_b32 s0, vcc_lo
	s_cbranch_execnz .LBB62_416
.LBB62_285:
	s_or_b32 exec_lo, exec_lo, s0
	s_and_saveexec_b32 s0, vcc_lo
	s_cbranch_execnz .LBB62_417
.LBB62_286:
	s_or_b32 exec_lo, exec_lo, s0
	s_and_saveexec_b32 s0, vcc_lo
	s_cbranch_execnz .LBB62_418
.LBB62_287:
	s_or_b32 exec_lo, exec_lo, s0
	s_and_saveexec_b32 s0, vcc_lo
	s_cbranch_execnz .LBB62_419
.LBB62_288:
	s_or_b32 exec_lo, exec_lo, s0
	s_and_saveexec_b32 s0, vcc_lo
	s_cbranch_execnz .LBB62_420
.LBB62_289:
	s_or_b32 exec_lo, exec_lo, s0
	s_and_saveexec_b32 s0, vcc_lo
	s_cbranch_execnz .LBB62_421
.LBB62_290:
	s_or_b32 exec_lo, exec_lo, s0
	s_and_saveexec_b32 s0, vcc_lo
	s_cbranch_execnz .LBB62_422
.LBB62_291:
	s_or_b32 exec_lo, exec_lo, s0
	s_and_saveexec_b32 s0, vcc_lo
	s_cbranch_execnz .LBB62_423
.LBB62_292:
	s_or_b32 exec_lo, exec_lo, s0
	s_and_saveexec_b32 s0, vcc_lo
	s_cbranch_execnz .LBB62_424
.LBB62_293:
	s_or_b32 exec_lo, exec_lo, s0
	s_and_saveexec_b32 s0, vcc_lo
	s_cbranch_execnz .LBB62_425
.LBB62_294:
	s_or_b32 exec_lo, exec_lo, s0
	s_and_saveexec_b32 s0, vcc_lo
	s_cbranch_execz .LBB62_296
.LBB62_295:
	ds_read_b32 v64, v64 offset:1008
	s_waitcnt lgkmcnt(0)
	v_add_f32_e32 v63, v63, v64
.LBB62_296:
	s_or_b32 exec_lo, exec_lo, s0
.LBB62_297:
	s_or_b32 exec_lo, exec_lo, s1
	s_barrier
	buffer_gl0_inv
	s_mov_b32 s0, exec_lo
	v_cmpx_eq_u32_e32 0, v66
	s_cbranch_execz .LBB62_299
; %bb.298:
	buffer_load_dword v64, off, s[40:43], 0 offset:896 ; 4-byte Folded Reload
	s_lshl_b32 s0, s2, 8
	s_mul_i32 s2, s7, s10
	s_ashr_i32 s1, s0, 31
	s_lshl_b64 s[0:1], s[0:1], 2
	s_add_u32 s4, s20, s0
	s_addc_u32 s5, s21, s1
	s_ashr_i32 s3, s2, 31
	s_lshl_b64 s[0:1], s[2:3], 2
	s_add_u32 s2, s4, s0
	s_addc_u32 s3, s5, s1
	s_lshl_b32 s0, s8, 8
	s_ashr_i32 s1, s0, 31
	s_lshl_b64 s[0:1], s[0:1], 2
	s_add_u32 s0, s2, s0
	s_addc_u32 s1, s3, s1
	s_waitcnt vmcnt(0)
	v_lshrrev_b32_e32 v64, 1, v64
	global_store_dword v64, v0, s[0:1]
	global_store_dword v64, v1, s[0:1] offset:16
	global_store_dword v64, v2, s[0:1] offset:32
	;; [unrolled: 1-line block ×63, first 2 shown]
.LBB62_299:
	s_endpgm
.LBB62_300:
	ds_read_b32 v66, v64
	s_waitcnt lgkmcnt(0)
	v_add_f32_e32 v0, v0, v66
	s_or_b32 exec_lo, exec_lo, s0
	s_and_saveexec_b32 s0, vcc_lo
	s_cbranch_execz .LBB62_164
.LBB62_301:
	ds_read_b32 v66, v64 offset:16
	s_waitcnt lgkmcnt(0)
	v_add_f32_e32 v1, v1, v66
	s_or_b32 exec_lo, exec_lo, s0
	s_and_saveexec_b32 s0, vcc_lo
	s_cbranch_execz .LBB62_165
.LBB62_302:
	ds_read_b32 v66, v64 offset:32
	s_waitcnt lgkmcnt(0)
	v_add_f32_e32 v2, v2, v66
	s_or_b32 exec_lo, exec_lo, s0
	s_and_saveexec_b32 s0, vcc_lo
	s_cbranch_execz .LBB62_166
.LBB62_303:
	ds_read_b32 v66, v64 offset:48
	s_waitcnt lgkmcnt(0)
	v_add_f32_e32 v3, v3, v66
	s_or_b32 exec_lo, exec_lo, s0
	s_and_saveexec_b32 s0, vcc_lo
	s_cbranch_execz .LBB62_167
.LBB62_304:
	ds_read_b32 v66, v64 offset:64
	s_waitcnt lgkmcnt(0)
	v_add_f32_e32 v4, v4, v66
	s_or_b32 exec_lo, exec_lo, s0
	s_and_saveexec_b32 s0, vcc_lo
	s_cbranch_execz .LBB62_168
.LBB62_305:
	ds_read_b32 v66, v64 offset:80
	s_waitcnt lgkmcnt(0)
	v_add_f32_e32 v5, v5, v66
	s_or_b32 exec_lo, exec_lo, s0
	s_and_saveexec_b32 s0, vcc_lo
	s_cbranch_execz .LBB62_169
.LBB62_306:
	ds_read_b32 v66, v64 offset:96
	s_waitcnt lgkmcnt(0)
	v_add_f32_e32 v6, v6, v66
	s_or_b32 exec_lo, exec_lo, s0
	s_and_saveexec_b32 s0, vcc_lo
	s_cbranch_execz .LBB62_170
.LBB62_307:
	ds_read_b32 v66, v64 offset:112
	s_waitcnt lgkmcnt(0)
	v_add_f32_e32 v7, v7, v66
	s_or_b32 exec_lo, exec_lo, s0
	s_and_saveexec_b32 s0, vcc_lo
	s_cbranch_execz .LBB62_171
.LBB62_308:
	ds_read_b32 v66, v64 offset:128
	s_waitcnt lgkmcnt(0)
	v_add_f32_e32 v8, v8, v66
	s_or_b32 exec_lo, exec_lo, s0
	s_and_saveexec_b32 s0, vcc_lo
	s_cbranch_execz .LBB62_172
.LBB62_309:
	ds_read_b32 v66, v64 offset:144
	s_waitcnt lgkmcnt(0)
	v_add_f32_e32 v9, v9, v66
	s_or_b32 exec_lo, exec_lo, s0
	s_and_saveexec_b32 s0, vcc_lo
	s_cbranch_execz .LBB62_173
.LBB62_310:
	ds_read_b32 v66, v64 offset:160
	s_waitcnt lgkmcnt(0)
	v_add_f32_e32 v10, v10, v66
	s_or_b32 exec_lo, exec_lo, s0
	s_and_saveexec_b32 s0, vcc_lo
	s_cbranch_execz .LBB62_174
.LBB62_311:
	ds_read_b32 v66, v64 offset:176
	s_waitcnt lgkmcnt(0)
	v_add_f32_e32 v11, v11, v66
	s_or_b32 exec_lo, exec_lo, s0
	s_and_saveexec_b32 s0, vcc_lo
	s_cbranch_execz .LBB62_175
.LBB62_312:
	ds_read_b32 v66, v64 offset:192
	s_waitcnt lgkmcnt(0)
	v_add_f32_e32 v12, v12, v66
	s_or_b32 exec_lo, exec_lo, s0
	s_and_saveexec_b32 s0, vcc_lo
	s_cbranch_execz .LBB62_176
.LBB62_313:
	ds_read_b32 v66, v64 offset:208
	s_waitcnt lgkmcnt(0)
	v_add_f32_e32 v13, v13, v66
	s_or_b32 exec_lo, exec_lo, s0
	s_and_saveexec_b32 s0, vcc_lo
	s_cbranch_execz .LBB62_177
.LBB62_314:
	ds_read_b32 v66, v64 offset:224
	s_waitcnt lgkmcnt(0)
	v_add_f32_e32 v14, v14, v66
	s_or_b32 exec_lo, exec_lo, s0
	s_and_saveexec_b32 s0, vcc_lo
	s_cbranch_execz .LBB62_178
.LBB62_315:
	ds_read_b32 v66, v64 offset:240
	s_waitcnt lgkmcnt(0)
	v_add_f32_e32 v15, v15, v66
	s_or_b32 exec_lo, exec_lo, s0
	s_and_saveexec_b32 s0, vcc_lo
	s_cbranch_execz .LBB62_179
.LBB62_316:
	ds_read_b32 v66, v64 offset:256
	s_waitcnt lgkmcnt(0)
	v_add_f32_e32 v16, v16, v66
	s_or_b32 exec_lo, exec_lo, s0
	s_and_saveexec_b32 s0, vcc_lo
	s_cbranch_execz .LBB62_180
.LBB62_317:
	ds_read_b32 v66, v64 offset:272
	s_waitcnt lgkmcnt(0)
	v_add_f32_e32 v17, v17, v66
	s_or_b32 exec_lo, exec_lo, s0
	s_and_saveexec_b32 s0, vcc_lo
	s_cbranch_execz .LBB62_181
.LBB62_318:
	ds_read_b32 v66, v64 offset:288
	s_waitcnt lgkmcnt(0)
	v_add_f32_e32 v18, v18, v66
	s_or_b32 exec_lo, exec_lo, s0
	s_and_saveexec_b32 s0, vcc_lo
	s_cbranch_execz .LBB62_182
.LBB62_319:
	ds_read_b32 v66, v64 offset:304
	s_waitcnt lgkmcnt(0)
	v_add_f32_e32 v19, v19, v66
	s_or_b32 exec_lo, exec_lo, s0
	s_and_saveexec_b32 s0, vcc_lo
	s_cbranch_execz .LBB62_183
.LBB62_320:
	ds_read_b32 v66, v64 offset:320
	s_waitcnt lgkmcnt(0)
	v_add_f32_e32 v20, v20, v66
	s_or_b32 exec_lo, exec_lo, s0
	s_and_saveexec_b32 s0, vcc_lo
	s_cbranch_execz .LBB62_184
.LBB62_321:
	ds_read_b32 v66, v64 offset:336
	s_waitcnt lgkmcnt(0)
	v_add_f32_e32 v21, v21, v66
	s_or_b32 exec_lo, exec_lo, s0
	s_and_saveexec_b32 s0, vcc_lo
	s_cbranch_execz .LBB62_185
.LBB62_322:
	ds_read_b32 v66, v64 offset:352
	s_waitcnt lgkmcnt(0)
	v_add_f32_e32 v22, v22, v66
	s_or_b32 exec_lo, exec_lo, s0
	s_and_saveexec_b32 s0, vcc_lo
	s_cbranch_execz .LBB62_186
.LBB62_323:
	ds_read_b32 v66, v64 offset:368
	s_waitcnt lgkmcnt(0)
	v_add_f32_e32 v23, v23, v66
	s_or_b32 exec_lo, exec_lo, s0
	s_and_saveexec_b32 s0, vcc_lo
	s_cbranch_execz .LBB62_187
.LBB62_324:
	ds_read_b32 v66, v64 offset:384
	s_waitcnt lgkmcnt(0)
	v_add_f32_e32 v24, v24, v66
	s_or_b32 exec_lo, exec_lo, s0
	s_and_saveexec_b32 s0, vcc_lo
	s_cbranch_execz .LBB62_188
.LBB62_325:
	ds_read_b32 v66, v64 offset:400
	s_waitcnt lgkmcnt(0)
	v_add_f32_e32 v25, v25, v66
	s_or_b32 exec_lo, exec_lo, s0
	s_and_saveexec_b32 s0, vcc_lo
	s_cbranch_execz .LBB62_189
.LBB62_326:
	ds_read_b32 v66, v64 offset:416
	s_waitcnt lgkmcnt(0)
	v_add_f32_e32 v26, v26, v66
	s_or_b32 exec_lo, exec_lo, s0
	s_and_saveexec_b32 s0, vcc_lo
	s_cbranch_execz .LBB62_190
.LBB62_327:
	ds_read_b32 v66, v64 offset:432
	s_waitcnt lgkmcnt(0)
	v_add_f32_e32 v27, v27, v66
	s_or_b32 exec_lo, exec_lo, s0
	s_and_saveexec_b32 s0, vcc_lo
	s_cbranch_execz .LBB62_191
.LBB62_328:
	ds_read_b32 v66, v64 offset:448
	s_waitcnt lgkmcnt(0)
	v_add_f32_e32 v28, v28, v66
	s_or_b32 exec_lo, exec_lo, s0
	s_and_saveexec_b32 s0, vcc_lo
	s_cbranch_execz .LBB62_192
.LBB62_329:
	ds_read_b32 v66, v64 offset:464
	s_waitcnt lgkmcnt(0)
	v_add_f32_e32 v29, v29, v66
	s_or_b32 exec_lo, exec_lo, s0
	s_and_saveexec_b32 s0, vcc_lo
	s_cbranch_execz .LBB62_193
.LBB62_330:
	ds_read_b32 v66, v64 offset:480
	s_waitcnt lgkmcnt(0)
	v_add_f32_e32 v30, v30, v66
	s_or_b32 exec_lo, exec_lo, s0
	s_and_saveexec_b32 s0, vcc_lo
	s_cbranch_execz .LBB62_194
.LBB62_331:
	ds_read_b32 v66, v64 offset:496
	s_waitcnt lgkmcnt(0)
	v_add_f32_e32 v31, v31, v66
	s_or_b32 exec_lo, exec_lo, s0
	s_and_saveexec_b32 s0, vcc_lo
	s_cbranch_execz .LBB62_195
.LBB62_332:
	ds_read_b32 v66, v64 offset:512
	s_waitcnt lgkmcnt(0)
	v_add_f32_e32 v32, v32, v66
	s_or_b32 exec_lo, exec_lo, s0
	s_and_saveexec_b32 s0, vcc_lo
	s_cbranch_execz .LBB62_196
.LBB62_333:
	ds_read_b32 v66, v64 offset:528
	s_waitcnt lgkmcnt(0)
	v_add_f32_e32 v33, v33, v66
	s_or_b32 exec_lo, exec_lo, s0
	s_and_saveexec_b32 s0, vcc_lo
	s_cbranch_execz .LBB62_197
.LBB62_334:
	ds_read_b32 v66, v64 offset:544
	s_waitcnt lgkmcnt(0)
	v_add_f32_e32 v34, v34, v66
	s_or_b32 exec_lo, exec_lo, s0
	s_and_saveexec_b32 s0, vcc_lo
	s_cbranch_execz .LBB62_198
.LBB62_335:
	ds_read_b32 v66, v64 offset:560
	s_waitcnt lgkmcnt(0)
	v_add_f32_e32 v35, v35, v66
	s_or_b32 exec_lo, exec_lo, s0
	s_and_saveexec_b32 s0, vcc_lo
	s_cbranch_execz .LBB62_199
.LBB62_336:
	ds_read_b32 v66, v64 offset:576
	s_waitcnt lgkmcnt(0)
	v_add_f32_e32 v36, v36, v66
	s_or_b32 exec_lo, exec_lo, s0
	s_and_saveexec_b32 s0, vcc_lo
	s_cbranch_execz .LBB62_200
.LBB62_337:
	ds_read_b32 v66, v64 offset:592
	s_waitcnt lgkmcnt(0)
	v_add_f32_e32 v37, v37, v66
	s_or_b32 exec_lo, exec_lo, s0
	s_and_saveexec_b32 s0, vcc_lo
	s_cbranch_execz .LBB62_201
.LBB62_338:
	ds_read_b32 v66, v64 offset:608
	s_waitcnt lgkmcnt(0)
	v_add_f32_e32 v38, v38, v66
	s_or_b32 exec_lo, exec_lo, s0
	s_and_saveexec_b32 s0, vcc_lo
	s_cbranch_execz .LBB62_202
.LBB62_339:
	ds_read_b32 v66, v64 offset:624
	s_waitcnt lgkmcnt(0)
	v_add_f32_e32 v39, v39, v66
	s_or_b32 exec_lo, exec_lo, s0
	s_and_saveexec_b32 s0, vcc_lo
	s_cbranch_execz .LBB62_203
.LBB62_340:
	ds_read_b32 v66, v64 offset:640
	s_waitcnt lgkmcnt(0)
	v_add_f32_e32 v40, v40, v66
	s_or_b32 exec_lo, exec_lo, s0
	s_and_saveexec_b32 s0, vcc_lo
	s_cbranch_execz .LBB62_204
.LBB62_341:
	ds_read_b32 v66, v64 offset:656
	s_waitcnt lgkmcnt(0)
	v_add_f32_e32 v41, v41, v66
	s_or_b32 exec_lo, exec_lo, s0
	s_and_saveexec_b32 s0, vcc_lo
	s_cbranch_execz .LBB62_205
.LBB62_342:
	ds_read_b32 v66, v64 offset:672
	s_waitcnt lgkmcnt(0)
	v_add_f32_e32 v42, v42, v66
	s_or_b32 exec_lo, exec_lo, s0
	s_and_saveexec_b32 s0, vcc_lo
	s_cbranch_execz .LBB62_206
.LBB62_343:
	ds_read_b32 v66, v64 offset:688
	s_waitcnt lgkmcnt(0)
	v_add_f32_e32 v43, v43, v66
	s_or_b32 exec_lo, exec_lo, s0
	s_and_saveexec_b32 s0, vcc_lo
	s_cbranch_execz .LBB62_207
.LBB62_344:
	ds_read_b32 v66, v64 offset:704
	s_waitcnt lgkmcnt(0)
	v_add_f32_e32 v44, v44, v66
	s_or_b32 exec_lo, exec_lo, s0
	s_and_saveexec_b32 s0, vcc_lo
	s_cbranch_execz .LBB62_208
.LBB62_345:
	ds_read_b32 v66, v64 offset:720
	s_waitcnt lgkmcnt(0)
	v_add_f32_e32 v45, v45, v66
	s_or_b32 exec_lo, exec_lo, s0
	s_and_saveexec_b32 s0, vcc_lo
	s_cbranch_execz .LBB62_209
.LBB62_346:
	ds_read_b32 v66, v64 offset:736
	s_waitcnt lgkmcnt(0)
	v_add_f32_e32 v46, v46, v66
	s_or_b32 exec_lo, exec_lo, s0
	s_and_saveexec_b32 s0, vcc_lo
	s_cbranch_execz .LBB62_210
.LBB62_347:
	ds_read_b32 v66, v64 offset:752
	s_waitcnt lgkmcnt(0)
	v_add_f32_e32 v47, v47, v66
	s_or_b32 exec_lo, exec_lo, s0
	s_and_saveexec_b32 s0, vcc_lo
	s_cbranch_execz .LBB62_211
.LBB62_348:
	ds_read_b32 v66, v64 offset:768
	s_waitcnt lgkmcnt(0)
	v_add_f32_e32 v48, v48, v66
	s_or_b32 exec_lo, exec_lo, s0
	s_and_saveexec_b32 s0, vcc_lo
	s_cbranch_execz .LBB62_212
.LBB62_349:
	ds_read_b32 v66, v64 offset:784
	s_waitcnt lgkmcnt(0)
	v_add_f32_e32 v49, v49, v66
	s_or_b32 exec_lo, exec_lo, s0
	s_and_saveexec_b32 s0, vcc_lo
	s_cbranch_execz .LBB62_213
.LBB62_350:
	ds_read_b32 v66, v64 offset:800
	s_waitcnt lgkmcnt(0)
	v_add_f32_e32 v50, v50, v66
	s_or_b32 exec_lo, exec_lo, s0
	s_and_saveexec_b32 s0, vcc_lo
	s_cbranch_execz .LBB62_214
.LBB62_351:
	ds_read_b32 v66, v64 offset:816
	s_waitcnt lgkmcnt(0)
	v_add_f32_e32 v51, v51, v66
	s_or_b32 exec_lo, exec_lo, s0
	s_and_saveexec_b32 s0, vcc_lo
	s_cbranch_execz .LBB62_215
.LBB62_352:
	ds_read_b32 v66, v64 offset:832
	s_waitcnt lgkmcnt(0)
	v_add_f32_e32 v52, v52, v66
	s_or_b32 exec_lo, exec_lo, s0
	s_and_saveexec_b32 s0, vcc_lo
	s_cbranch_execz .LBB62_216
.LBB62_353:
	ds_read_b32 v66, v64 offset:848
	s_waitcnt lgkmcnt(0)
	v_add_f32_e32 v53, v53, v66
	s_or_b32 exec_lo, exec_lo, s0
	s_and_saveexec_b32 s0, vcc_lo
	s_cbranch_execz .LBB62_217
.LBB62_354:
	ds_read_b32 v66, v64 offset:864
	s_waitcnt lgkmcnt(0)
	v_add_f32_e32 v54, v54, v66
	s_or_b32 exec_lo, exec_lo, s0
	s_and_saveexec_b32 s0, vcc_lo
	s_cbranch_execz .LBB62_218
.LBB62_355:
	ds_read_b32 v66, v64 offset:880
	s_waitcnt lgkmcnt(0)
	v_add_f32_e32 v55, v55, v66
	s_or_b32 exec_lo, exec_lo, s0
	s_and_saveexec_b32 s0, vcc_lo
	s_cbranch_execz .LBB62_219
.LBB62_356:
	ds_read_b32 v66, v64 offset:896
	s_waitcnt lgkmcnt(0)
	v_add_f32_e32 v56, v56, v66
	s_or_b32 exec_lo, exec_lo, s0
	s_and_saveexec_b32 s0, vcc_lo
	s_cbranch_execz .LBB62_220
.LBB62_357:
	ds_read_b32 v66, v64 offset:912
	s_waitcnt lgkmcnt(0)
	v_add_f32_e32 v57, v57, v66
	s_or_b32 exec_lo, exec_lo, s0
	s_and_saveexec_b32 s0, vcc_lo
	s_cbranch_execz .LBB62_221
.LBB62_358:
	ds_read_b32 v66, v64 offset:928
	s_waitcnt lgkmcnt(0)
	v_add_f32_e32 v58, v58, v66
	s_or_b32 exec_lo, exec_lo, s0
	s_and_saveexec_b32 s0, vcc_lo
	s_cbranch_execz .LBB62_222
.LBB62_359:
	ds_read_b32 v66, v64 offset:944
	s_waitcnt lgkmcnt(0)
	v_add_f32_e32 v59, v59, v66
	s_or_b32 exec_lo, exec_lo, s0
	s_and_saveexec_b32 s0, vcc_lo
	s_cbranch_execz .LBB62_223
.LBB62_360:
	ds_read_b32 v66, v64 offset:960
	s_waitcnt lgkmcnt(0)
	v_add_f32_e32 v60, v60, v66
	s_or_b32 exec_lo, exec_lo, s0
	s_and_saveexec_b32 s0, vcc_lo
	s_cbranch_execz .LBB62_224
.LBB62_361:
	ds_read_b32 v66, v64 offset:976
	s_waitcnt lgkmcnt(0)
	v_add_f32_e32 v61, v61, v66
	s_or_b32 exec_lo, exec_lo, s0
	s_and_saveexec_b32 s0, vcc_lo
	s_cbranch_execz .LBB62_225
.LBB62_362:
	ds_read_b32 v66, v64 offset:992
	s_waitcnt lgkmcnt(0)
	v_add_f32_e32 v62, v62, v66
	s_or_b32 exec_lo, exec_lo, s0
	s_and_saveexec_b32 s0, vcc_lo
	s_cbranch_execnz .LBB62_226
	s_branch .LBB62_227
.LBB62_363:
	ds_read_b32 v65, v64
	s_waitcnt lgkmcnt(0)
	v_add_f32_e32 v0, v0, v65
	s_or_b32 exec_lo, exec_lo, s0
	s_and_saveexec_b32 s0, vcc_lo
	s_cbranch_execz .LBB62_233
.LBB62_364:
	ds_read_b32 v65, v64 offset:16
	s_waitcnt lgkmcnt(0)
	v_add_f32_e32 v1, v1, v65
	s_or_b32 exec_lo, exec_lo, s0
	s_and_saveexec_b32 s0, vcc_lo
	s_cbranch_execz .LBB62_234
.LBB62_365:
	ds_read_b32 v65, v64 offset:32
	s_waitcnt lgkmcnt(0)
	v_add_f32_e32 v2, v2, v65
	s_or_b32 exec_lo, exec_lo, s0
	s_and_saveexec_b32 s0, vcc_lo
	s_cbranch_execz .LBB62_235
.LBB62_366:
	ds_read_b32 v65, v64 offset:48
	s_waitcnt lgkmcnt(0)
	v_add_f32_e32 v3, v3, v65
	s_or_b32 exec_lo, exec_lo, s0
	s_and_saveexec_b32 s0, vcc_lo
	s_cbranch_execz .LBB62_236
.LBB62_367:
	ds_read_b32 v65, v64 offset:64
	s_waitcnt lgkmcnt(0)
	v_add_f32_e32 v4, v4, v65
	s_or_b32 exec_lo, exec_lo, s0
	s_and_saveexec_b32 s0, vcc_lo
	s_cbranch_execz .LBB62_237
.LBB62_368:
	ds_read_b32 v65, v64 offset:80
	s_waitcnt lgkmcnt(0)
	v_add_f32_e32 v5, v5, v65
	s_or_b32 exec_lo, exec_lo, s0
	s_and_saveexec_b32 s0, vcc_lo
	s_cbranch_execz .LBB62_238
.LBB62_369:
	ds_read_b32 v65, v64 offset:96
	s_waitcnt lgkmcnt(0)
	v_add_f32_e32 v6, v6, v65
	s_or_b32 exec_lo, exec_lo, s0
	s_and_saveexec_b32 s0, vcc_lo
	s_cbranch_execz .LBB62_239
.LBB62_370:
	ds_read_b32 v65, v64 offset:112
	s_waitcnt lgkmcnt(0)
	v_add_f32_e32 v7, v7, v65
	s_or_b32 exec_lo, exec_lo, s0
	s_and_saveexec_b32 s0, vcc_lo
	s_cbranch_execz .LBB62_240
.LBB62_371:
	ds_read_b32 v65, v64 offset:128
	s_waitcnt lgkmcnt(0)
	v_add_f32_e32 v8, v8, v65
	s_or_b32 exec_lo, exec_lo, s0
	s_and_saveexec_b32 s0, vcc_lo
	s_cbranch_execz .LBB62_241
.LBB62_372:
	ds_read_b32 v65, v64 offset:144
	s_waitcnt lgkmcnt(0)
	v_add_f32_e32 v9, v9, v65
	s_or_b32 exec_lo, exec_lo, s0
	s_and_saveexec_b32 s0, vcc_lo
	s_cbranch_execz .LBB62_242
.LBB62_373:
	ds_read_b32 v65, v64 offset:160
	s_waitcnt lgkmcnt(0)
	v_add_f32_e32 v10, v10, v65
	s_or_b32 exec_lo, exec_lo, s0
	s_and_saveexec_b32 s0, vcc_lo
	s_cbranch_execz .LBB62_243
.LBB62_374:
	ds_read_b32 v65, v64 offset:176
	s_waitcnt lgkmcnt(0)
	v_add_f32_e32 v11, v11, v65
	s_or_b32 exec_lo, exec_lo, s0
	s_and_saveexec_b32 s0, vcc_lo
	s_cbranch_execz .LBB62_244
.LBB62_375:
	ds_read_b32 v65, v64 offset:192
	s_waitcnt lgkmcnt(0)
	v_add_f32_e32 v12, v12, v65
	s_or_b32 exec_lo, exec_lo, s0
	s_and_saveexec_b32 s0, vcc_lo
	s_cbranch_execz .LBB62_245
.LBB62_376:
	ds_read_b32 v65, v64 offset:208
	s_waitcnt lgkmcnt(0)
	v_add_f32_e32 v13, v13, v65
	s_or_b32 exec_lo, exec_lo, s0
	s_and_saveexec_b32 s0, vcc_lo
	s_cbranch_execz .LBB62_246
.LBB62_377:
	ds_read_b32 v65, v64 offset:224
	s_waitcnt lgkmcnt(0)
	v_add_f32_e32 v14, v14, v65
	s_or_b32 exec_lo, exec_lo, s0
	s_and_saveexec_b32 s0, vcc_lo
	s_cbranch_execz .LBB62_247
.LBB62_378:
	ds_read_b32 v65, v64 offset:240
	s_waitcnt lgkmcnt(0)
	v_add_f32_e32 v15, v15, v65
	s_or_b32 exec_lo, exec_lo, s0
	s_and_saveexec_b32 s0, vcc_lo
	s_cbranch_execz .LBB62_248
.LBB62_379:
	ds_read_b32 v65, v64 offset:256
	s_waitcnt lgkmcnt(0)
	v_add_f32_e32 v16, v16, v65
	s_or_b32 exec_lo, exec_lo, s0
	s_and_saveexec_b32 s0, vcc_lo
	s_cbranch_execz .LBB62_249
.LBB62_380:
	ds_read_b32 v65, v64 offset:272
	s_waitcnt lgkmcnt(0)
	v_add_f32_e32 v17, v17, v65
	s_or_b32 exec_lo, exec_lo, s0
	s_and_saveexec_b32 s0, vcc_lo
	s_cbranch_execz .LBB62_250
.LBB62_381:
	ds_read_b32 v65, v64 offset:288
	s_waitcnt lgkmcnt(0)
	v_add_f32_e32 v18, v18, v65
	s_or_b32 exec_lo, exec_lo, s0
	s_and_saveexec_b32 s0, vcc_lo
	s_cbranch_execz .LBB62_251
.LBB62_382:
	ds_read_b32 v65, v64 offset:304
	s_waitcnt lgkmcnt(0)
	v_add_f32_e32 v19, v19, v65
	s_or_b32 exec_lo, exec_lo, s0
	s_and_saveexec_b32 s0, vcc_lo
	s_cbranch_execz .LBB62_252
.LBB62_383:
	ds_read_b32 v65, v64 offset:320
	s_waitcnt lgkmcnt(0)
	v_add_f32_e32 v20, v20, v65
	s_or_b32 exec_lo, exec_lo, s0
	s_and_saveexec_b32 s0, vcc_lo
	s_cbranch_execz .LBB62_253
.LBB62_384:
	ds_read_b32 v65, v64 offset:336
	s_waitcnt lgkmcnt(0)
	v_add_f32_e32 v21, v21, v65
	s_or_b32 exec_lo, exec_lo, s0
	s_and_saveexec_b32 s0, vcc_lo
	s_cbranch_execz .LBB62_254
.LBB62_385:
	ds_read_b32 v65, v64 offset:352
	s_waitcnt lgkmcnt(0)
	v_add_f32_e32 v22, v22, v65
	s_or_b32 exec_lo, exec_lo, s0
	s_and_saveexec_b32 s0, vcc_lo
	s_cbranch_execz .LBB62_255
.LBB62_386:
	ds_read_b32 v65, v64 offset:368
	s_waitcnt lgkmcnt(0)
	v_add_f32_e32 v23, v23, v65
	s_or_b32 exec_lo, exec_lo, s0
	s_and_saveexec_b32 s0, vcc_lo
	s_cbranch_execz .LBB62_256
.LBB62_387:
	ds_read_b32 v65, v64 offset:384
	s_waitcnt lgkmcnt(0)
	v_add_f32_e32 v24, v24, v65
	s_or_b32 exec_lo, exec_lo, s0
	s_and_saveexec_b32 s0, vcc_lo
	s_cbranch_execz .LBB62_257
.LBB62_388:
	ds_read_b32 v65, v64 offset:400
	s_waitcnt lgkmcnt(0)
	v_add_f32_e32 v25, v25, v65
	s_or_b32 exec_lo, exec_lo, s0
	s_and_saveexec_b32 s0, vcc_lo
	s_cbranch_execz .LBB62_258
.LBB62_389:
	ds_read_b32 v65, v64 offset:416
	s_waitcnt lgkmcnt(0)
	v_add_f32_e32 v26, v26, v65
	s_or_b32 exec_lo, exec_lo, s0
	s_and_saveexec_b32 s0, vcc_lo
	s_cbranch_execz .LBB62_259
.LBB62_390:
	ds_read_b32 v65, v64 offset:432
	s_waitcnt lgkmcnt(0)
	v_add_f32_e32 v27, v27, v65
	s_or_b32 exec_lo, exec_lo, s0
	s_and_saveexec_b32 s0, vcc_lo
	s_cbranch_execz .LBB62_260
.LBB62_391:
	ds_read_b32 v65, v64 offset:448
	s_waitcnt lgkmcnt(0)
	v_add_f32_e32 v28, v28, v65
	s_or_b32 exec_lo, exec_lo, s0
	s_and_saveexec_b32 s0, vcc_lo
	s_cbranch_execz .LBB62_261
.LBB62_392:
	ds_read_b32 v65, v64 offset:464
	s_waitcnt lgkmcnt(0)
	v_add_f32_e32 v29, v29, v65
	s_or_b32 exec_lo, exec_lo, s0
	s_and_saveexec_b32 s0, vcc_lo
	s_cbranch_execz .LBB62_262
.LBB62_393:
	ds_read_b32 v65, v64 offset:480
	s_waitcnt lgkmcnt(0)
	v_add_f32_e32 v30, v30, v65
	s_or_b32 exec_lo, exec_lo, s0
	s_and_saveexec_b32 s0, vcc_lo
	s_cbranch_execz .LBB62_263
.LBB62_394:
	ds_read_b32 v65, v64 offset:496
	s_waitcnt lgkmcnt(0)
	v_add_f32_e32 v31, v31, v65
	s_or_b32 exec_lo, exec_lo, s0
	s_and_saveexec_b32 s0, vcc_lo
	s_cbranch_execz .LBB62_264
.LBB62_395:
	ds_read_b32 v65, v64 offset:512
	s_waitcnt lgkmcnt(0)
	v_add_f32_e32 v32, v32, v65
	s_or_b32 exec_lo, exec_lo, s0
	s_and_saveexec_b32 s0, vcc_lo
	s_cbranch_execz .LBB62_265
.LBB62_396:
	ds_read_b32 v65, v64 offset:528
	s_waitcnt lgkmcnt(0)
	v_add_f32_e32 v33, v33, v65
	s_or_b32 exec_lo, exec_lo, s0
	s_and_saveexec_b32 s0, vcc_lo
	s_cbranch_execz .LBB62_266
.LBB62_397:
	ds_read_b32 v65, v64 offset:544
	s_waitcnt lgkmcnt(0)
	v_add_f32_e32 v34, v34, v65
	s_or_b32 exec_lo, exec_lo, s0
	s_and_saveexec_b32 s0, vcc_lo
	s_cbranch_execz .LBB62_267
.LBB62_398:
	ds_read_b32 v65, v64 offset:560
	s_waitcnt lgkmcnt(0)
	v_add_f32_e32 v35, v35, v65
	s_or_b32 exec_lo, exec_lo, s0
	s_and_saveexec_b32 s0, vcc_lo
	s_cbranch_execz .LBB62_268
.LBB62_399:
	ds_read_b32 v65, v64 offset:576
	s_waitcnt lgkmcnt(0)
	v_add_f32_e32 v36, v36, v65
	s_or_b32 exec_lo, exec_lo, s0
	s_and_saveexec_b32 s0, vcc_lo
	s_cbranch_execz .LBB62_269
.LBB62_400:
	ds_read_b32 v65, v64 offset:592
	s_waitcnt lgkmcnt(0)
	v_add_f32_e32 v37, v37, v65
	s_or_b32 exec_lo, exec_lo, s0
	s_and_saveexec_b32 s0, vcc_lo
	s_cbranch_execz .LBB62_270
.LBB62_401:
	ds_read_b32 v65, v64 offset:608
	s_waitcnt lgkmcnt(0)
	v_add_f32_e32 v38, v38, v65
	s_or_b32 exec_lo, exec_lo, s0
	s_and_saveexec_b32 s0, vcc_lo
	s_cbranch_execz .LBB62_271
.LBB62_402:
	ds_read_b32 v65, v64 offset:624
	s_waitcnt lgkmcnt(0)
	v_add_f32_e32 v39, v39, v65
	s_or_b32 exec_lo, exec_lo, s0
	s_and_saveexec_b32 s0, vcc_lo
	s_cbranch_execz .LBB62_272
.LBB62_403:
	ds_read_b32 v65, v64 offset:640
	s_waitcnt lgkmcnt(0)
	v_add_f32_e32 v40, v40, v65
	s_or_b32 exec_lo, exec_lo, s0
	s_and_saveexec_b32 s0, vcc_lo
	s_cbranch_execz .LBB62_273
.LBB62_404:
	ds_read_b32 v65, v64 offset:656
	s_waitcnt lgkmcnt(0)
	v_add_f32_e32 v41, v41, v65
	s_or_b32 exec_lo, exec_lo, s0
	s_and_saveexec_b32 s0, vcc_lo
	s_cbranch_execz .LBB62_274
.LBB62_405:
	ds_read_b32 v65, v64 offset:672
	s_waitcnt lgkmcnt(0)
	v_add_f32_e32 v42, v42, v65
	s_or_b32 exec_lo, exec_lo, s0
	s_and_saveexec_b32 s0, vcc_lo
	s_cbranch_execz .LBB62_275
.LBB62_406:
	ds_read_b32 v65, v64 offset:688
	s_waitcnt lgkmcnt(0)
	v_add_f32_e32 v43, v43, v65
	s_or_b32 exec_lo, exec_lo, s0
	s_and_saveexec_b32 s0, vcc_lo
	s_cbranch_execz .LBB62_276
.LBB62_407:
	ds_read_b32 v65, v64 offset:704
	s_waitcnt lgkmcnt(0)
	v_add_f32_e32 v44, v44, v65
	s_or_b32 exec_lo, exec_lo, s0
	s_and_saveexec_b32 s0, vcc_lo
	s_cbranch_execz .LBB62_277
.LBB62_408:
	ds_read_b32 v65, v64 offset:720
	s_waitcnt lgkmcnt(0)
	v_add_f32_e32 v45, v45, v65
	s_or_b32 exec_lo, exec_lo, s0
	s_and_saveexec_b32 s0, vcc_lo
	s_cbranch_execz .LBB62_278
.LBB62_409:
	ds_read_b32 v65, v64 offset:736
	s_waitcnt lgkmcnt(0)
	v_add_f32_e32 v46, v46, v65
	s_or_b32 exec_lo, exec_lo, s0
	s_and_saveexec_b32 s0, vcc_lo
	s_cbranch_execz .LBB62_279
.LBB62_410:
	ds_read_b32 v65, v64 offset:752
	s_waitcnt lgkmcnt(0)
	v_add_f32_e32 v47, v47, v65
	s_or_b32 exec_lo, exec_lo, s0
	s_and_saveexec_b32 s0, vcc_lo
	s_cbranch_execz .LBB62_280
.LBB62_411:
	ds_read_b32 v65, v64 offset:768
	s_waitcnt lgkmcnt(0)
	v_add_f32_e32 v48, v48, v65
	s_or_b32 exec_lo, exec_lo, s0
	s_and_saveexec_b32 s0, vcc_lo
	s_cbranch_execz .LBB62_281
.LBB62_412:
	ds_read_b32 v65, v64 offset:784
	s_waitcnt lgkmcnt(0)
	v_add_f32_e32 v49, v49, v65
	s_or_b32 exec_lo, exec_lo, s0
	s_and_saveexec_b32 s0, vcc_lo
	s_cbranch_execz .LBB62_282
.LBB62_413:
	ds_read_b32 v65, v64 offset:800
	s_waitcnt lgkmcnt(0)
	v_add_f32_e32 v50, v50, v65
	s_or_b32 exec_lo, exec_lo, s0
	s_and_saveexec_b32 s0, vcc_lo
	s_cbranch_execz .LBB62_283
.LBB62_414:
	ds_read_b32 v65, v64 offset:816
	s_waitcnt lgkmcnt(0)
	v_add_f32_e32 v51, v51, v65
	s_or_b32 exec_lo, exec_lo, s0
	s_and_saveexec_b32 s0, vcc_lo
	s_cbranch_execz .LBB62_284
.LBB62_415:
	ds_read_b32 v65, v64 offset:832
	s_waitcnt lgkmcnt(0)
	v_add_f32_e32 v52, v52, v65
	s_or_b32 exec_lo, exec_lo, s0
	s_and_saveexec_b32 s0, vcc_lo
	s_cbranch_execz .LBB62_285
.LBB62_416:
	ds_read_b32 v65, v64 offset:848
	s_waitcnt lgkmcnt(0)
	v_add_f32_e32 v53, v53, v65
	s_or_b32 exec_lo, exec_lo, s0
	s_and_saveexec_b32 s0, vcc_lo
	s_cbranch_execz .LBB62_286
.LBB62_417:
	ds_read_b32 v65, v64 offset:864
	s_waitcnt lgkmcnt(0)
	v_add_f32_e32 v54, v54, v65
	s_or_b32 exec_lo, exec_lo, s0
	s_and_saveexec_b32 s0, vcc_lo
	s_cbranch_execz .LBB62_287
.LBB62_418:
	ds_read_b32 v65, v64 offset:880
	s_waitcnt lgkmcnt(0)
	v_add_f32_e32 v55, v55, v65
	s_or_b32 exec_lo, exec_lo, s0
	s_and_saveexec_b32 s0, vcc_lo
	s_cbranch_execz .LBB62_288
.LBB62_419:
	ds_read_b32 v65, v64 offset:896
	s_waitcnt lgkmcnt(0)
	v_add_f32_e32 v56, v56, v65
	s_or_b32 exec_lo, exec_lo, s0
	s_and_saveexec_b32 s0, vcc_lo
	s_cbranch_execz .LBB62_289
.LBB62_420:
	ds_read_b32 v65, v64 offset:912
	s_waitcnt lgkmcnt(0)
	v_add_f32_e32 v57, v57, v65
	s_or_b32 exec_lo, exec_lo, s0
	s_and_saveexec_b32 s0, vcc_lo
	s_cbranch_execz .LBB62_290
.LBB62_421:
	ds_read_b32 v65, v64 offset:928
	s_waitcnt lgkmcnt(0)
	v_add_f32_e32 v58, v58, v65
	s_or_b32 exec_lo, exec_lo, s0
	s_and_saveexec_b32 s0, vcc_lo
	s_cbranch_execz .LBB62_291
.LBB62_422:
	ds_read_b32 v65, v64 offset:944
	s_waitcnt lgkmcnt(0)
	v_add_f32_e32 v59, v59, v65
	s_or_b32 exec_lo, exec_lo, s0
	s_and_saveexec_b32 s0, vcc_lo
	s_cbranch_execz .LBB62_292
.LBB62_423:
	ds_read_b32 v65, v64 offset:960
	s_waitcnt lgkmcnt(0)
	v_add_f32_e32 v60, v60, v65
	s_or_b32 exec_lo, exec_lo, s0
	s_and_saveexec_b32 s0, vcc_lo
	s_cbranch_execz .LBB62_293
.LBB62_424:
	ds_read_b32 v65, v64 offset:976
	s_waitcnt lgkmcnt(0)
	v_add_f32_e32 v61, v61, v65
	s_or_b32 exec_lo, exec_lo, s0
	s_and_saveexec_b32 s0, vcc_lo
	s_cbranch_execz .LBB62_294
.LBB62_425:
	ds_read_b32 v65, v64 offset:992
	s_waitcnt lgkmcnt(0)
	v_add_f32_e32 v62, v62, v65
	s_or_b32 exec_lo, exec_lo, s0
	s_and_saveexec_b32 s0, vcc_lo
	s_cbranch_execnz .LBB62_295
	s_branch .LBB62_296
	.section	.rodata,"a",@progbits
	.p2align	6, 0x0
	.amdhsa_kernel _ZN4vllm25paged_attention_v2_kernelIffLi256ELi32ELi128ELNS_18Fp8KVCacheDataTypeE0ELb0ELi512EEEvPfS2_PT_PKS3_PKT0_S9_ifPKiSB_iPKfiiiSD_SD_iiiii
		.amdhsa_group_segment_fixed_size 1056
		.amdhsa_private_segment_fixed_size 924
		.amdhsa_kernarg_size 400
		.amdhsa_user_sgpr_count 6
		.amdhsa_user_sgpr_private_segment_buffer 1
		.amdhsa_user_sgpr_dispatch_ptr 0
		.amdhsa_user_sgpr_queue_ptr 0
		.amdhsa_user_sgpr_kernarg_segment_ptr 1
		.amdhsa_user_sgpr_dispatch_id 0
		.amdhsa_user_sgpr_flat_scratch_init 0
		.amdhsa_user_sgpr_private_segment_size 0
		.amdhsa_wavefront_size32 1
		.amdhsa_uses_dynamic_stack 0
		.amdhsa_system_sgpr_private_segment_wavefront_offset 1
		.amdhsa_system_sgpr_workgroup_id_x 1
		.amdhsa_system_sgpr_workgroup_id_y 1
		.amdhsa_system_sgpr_workgroup_id_z 1
		.amdhsa_system_sgpr_workgroup_info 0
		.amdhsa_system_vgpr_workitem_id 0
		.amdhsa_next_free_vgpr 128
		.amdhsa_next_free_sgpr 44
		.amdhsa_reserve_vcc 1
		.amdhsa_reserve_flat_scratch 0
		.amdhsa_float_round_mode_32 0
		.amdhsa_float_round_mode_16_64 0
		.amdhsa_float_denorm_mode_32 3
		.amdhsa_float_denorm_mode_16_64 3
		.amdhsa_dx10_clamp 1
		.amdhsa_ieee_mode 1
		.amdhsa_fp16_overflow 0
		.amdhsa_workgroup_processor_mode 1
		.amdhsa_memory_ordered 1
		.amdhsa_forward_progress 1
		.amdhsa_shared_vgpr_count 0
		.amdhsa_exception_fp_ieee_invalid_op 0
		.amdhsa_exception_fp_denorm_src 0
		.amdhsa_exception_fp_ieee_div_zero 0
		.amdhsa_exception_fp_ieee_overflow 0
		.amdhsa_exception_fp_ieee_underflow 0
		.amdhsa_exception_fp_ieee_inexact 0
		.amdhsa_exception_int_div_zero 0
	.end_amdhsa_kernel
	.section	.text._ZN4vllm25paged_attention_v2_kernelIffLi256ELi32ELi128ELNS_18Fp8KVCacheDataTypeE0ELb0ELi512EEEvPfS2_PT_PKS3_PKT0_S9_ifPKiSB_iPKfiiiSD_SD_iiiii,"axG",@progbits,_ZN4vllm25paged_attention_v2_kernelIffLi256ELi32ELi128ELNS_18Fp8KVCacheDataTypeE0ELb0ELi512EEEvPfS2_PT_PKS3_PKT0_S9_ifPKiSB_iPKfiiiSD_SD_iiiii,comdat
.Lfunc_end62:
	.size	_ZN4vllm25paged_attention_v2_kernelIffLi256ELi32ELi128ELNS_18Fp8KVCacheDataTypeE0ELb0ELi512EEEvPfS2_PT_PKS3_PKT0_S9_ifPKiSB_iPKfiiiSD_SD_iiiii, .Lfunc_end62-_ZN4vllm25paged_attention_v2_kernelIffLi256ELi32ELi128ELNS_18Fp8KVCacheDataTypeE0ELb0ELi512EEEvPfS2_PT_PKS3_PKT0_S9_ifPKiSB_iPKfiiiSD_SD_iiiii
                                        ; -- End function
	.set _ZN4vllm25paged_attention_v2_kernelIffLi256ELi32ELi128ELNS_18Fp8KVCacheDataTypeE0ELb0ELi512EEEvPfS2_PT_PKS3_PKT0_S9_ifPKiSB_iPKfiiiSD_SD_iiiii.num_vgpr, 128
	.set _ZN4vllm25paged_attention_v2_kernelIffLi256ELi32ELi128ELNS_18Fp8KVCacheDataTypeE0ELb0ELi512EEEvPfS2_PT_PKS3_PKT0_S9_ifPKiSB_iPKfiiiSD_SD_iiiii.num_agpr, 0
	.set _ZN4vllm25paged_attention_v2_kernelIffLi256ELi32ELi128ELNS_18Fp8KVCacheDataTypeE0ELb0ELi512EEEvPfS2_PT_PKS3_PKT0_S9_ifPKiSB_iPKfiiiSD_SD_iiiii.numbered_sgpr, 44
	.set _ZN4vllm25paged_attention_v2_kernelIffLi256ELi32ELi128ELNS_18Fp8KVCacheDataTypeE0ELb0ELi512EEEvPfS2_PT_PKS3_PKT0_S9_ifPKiSB_iPKfiiiSD_SD_iiiii.num_named_barrier, 0
	.set _ZN4vllm25paged_attention_v2_kernelIffLi256ELi32ELi128ELNS_18Fp8KVCacheDataTypeE0ELb0ELi512EEEvPfS2_PT_PKS3_PKT0_S9_ifPKiSB_iPKfiiiSD_SD_iiiii.private_seg_size, 924
	.set _ZN4vllm25paged_attention_v2_kernelIffLi256ELi32ELi128ELNS_18Fp8KVCacheDataTypeE0ELb0ELi512EEEvPfS2_PT_PKS3_PKT0_S9_ifPKiSB_iPKfiiiSD_SD_iiiii.uses_vcc, 1
	.set _ZN4vllm25paged_attention_v2_kernelIffLi256ELi32ELi128ELNS_18Fp8KVCacheDataTypeE0ELb0ELi512EEEvPfS2_PT_PKS3_PKT0_S9_ifPKiSB_iPKfiiiSD_SD_iiiii.uses_flat_scratch, 0
	.set _ZN4vllm25paged_attention_v2_kernelIffLi256ELi32ELi128ELNS_18Fp8KVCacheDataTypeE0ELb0ELi512EEEvPfS2_PT_PKS3_PKT0_S9_ifPKiSB_iPKfiiiSD_SD_iiiii.has_dyn_sized_stack, 0
	.set _ZN4vllm25paged_attention_v2_kernelIffLi256ELi32ELi128ELNS_18Fp8KVCacheDataTypeE0ELb0ELi512EEEvPfS2_PT_PKS3_PKT0_S9_ifPKiSB_iPKfiiiSD_SD_iiiii.has_recursion, 0
	.set _ZN4vllm25paged_attention_v2_kernelIffLi256ELi32ELi128ELNS_18Fp8KVCacheDataTypeE0ELb0ELi512EEEvPfS2_PT_PKS3_PKT0_S9_ifPKiSB_iPKfiiiSD_SD_iiiii.has_indirect_call, 0
	.section	.AMDGPU.csdata,"",@progbits
; Kernel info:
; codeLenInByte = 34960
; TotalNumSgprs: 46
; NumVgprs: 128
; ScratchSize: 924
; MemoryBound: 0
; FloatMode: 240
; IeeeMode: 1
; LDSByteSize: 1056 bytes/workgroup (compile time only)
; SGPRBlocks: 0
; VGPRBlocks: 15
; NumSGPRsForWavesPerEU: 46
; NumVGPRsForWavesPerEU: 128
; Occupancy: 8
; WaveLimiterHint : 1
; COMPUTE_PGM_RSRC2:SCRATCH_EN: 1
; COMPUTE_PGM_RSRC2:USER_SGPR: 6
; COMPUTE_PGM_RSRC2:TRAP_HANDLER: 0
; COMPUTE_PGM_RSRC2:TGID_X_EN: 1
; COMPUTE_PGM_RSRC2:TGID_Y_EN: 1
; COMPUTE_PGM_RSRC2:TGID_Z_EN: 1
; COMPUTE_PGM_RSRC2:TIDIG_COMP_CNT: 0
	.section	.text._ZN4vllm25paged_attention_v2_kernelIttLi32ELi8ELi128ELNS_18Fp8KVCacheDataTypeE0ELb1ELi512EEEvPfS2_PT_PKS3_PKT0_S9_ifPKiSB_iPKfiiiSD_SD_iiiii,"axG",@progbits,_ZN4vllm25paged_attention_v2_kernelIttLi32ELi8ELi128ELNS_18Fp8KVCacheDataTypeE0ELb1ELi512EEEvPfS2_PT_PKS3_PKT0_S9_ifPKiSB_iPKfiiiSD_SD_iiiii,comdat
	.protected	_ZN4vllm25paged_attention_v2_kernelIttLi32ELi8ELi128ELNS_18Fp8KVCacheDataTypeE0ELb1ELi512EEEvPfS2_PT_PKS3_PKT0_S9_ifPKiSB_iPKfiiiSD_SD_iiiii ; -- Begin function _ZN4vllm25paged_attention_v2_kernelIttLi32ELi8ELi128ELNS_18Fp8KVCacheDataTypeE0ELb1ELi512EEEvPfS2_PT_PKS3_PKT0_S9_ifPKiSB_iPKfiiiSD_SD_iiiii
	.globl	_ZN4vllm25paged_attention_v2_kernelIttLi32ELi8ELi128ELNS_18Fp8KVCacheDataTypeE0ELb1ELi512EEEvPfS2_PT_PKS3_PKT0_S9_ifPKiSB_iPKfiiiSD_SD_iiiii
	.p2align	8
	.type	_ZN4vllm25paged_attention_v2_kernelIttLi32ELi8ELi128ELNS_18Fp8KVCacheDataTypeE0ELb1ELi512EEEvPfS2_PT_PKS3_PKT0_S9_ifPKiSB_iPKfiiiSD_SD_iiiii,@function
_ZN4vllm25paged_attention_v2_kernelIttLi32ELi8ELi128ELNS_18Fp8KVCacheDataTypeE0ELb1ELi512EEEvPfS2_PT_PKS3_PKT0_S9_ifPKiSB_iPKfiiiSD_SD_iiiii: ; @_ZN4vllm25paged_attention_v2_kernelIttLi32ELi8ELi128ELNS_18Fp8KVCacheDataTypeE0ELb1ELi512EEEvPfS2_PT_PKS3_PKT0_S9_ifPKiSB_iPKfiiiSD_SD_iiiii
; %bb.0:
	s_load_dwordx2 s[0:1], s[4:5], 0x40
	s_mov_b32 s26, s7
	s_ashr_i32 s27, s7, 31
	s_lshl_b64 s[2:3], s[26:27], 2
	s_waitcnt lgkmcnt(0)
	s_add_u32 s0, s0, s2
	s_addc_u32 s1, s1, s3
	s_lshl_b32 s38, s8, 9
	s_load_dword s27, s[0:1], 0x0
	s_waitcnt lgkmcnt(0)
	s_cmp_ge_i32 s38, s27
	s_cbranch_scc1 .LBB63_56
; %bb.1:
	s_clause 0x1
	s_load_dword s9, s[4:5], 0x90
	s_load_dwordx2 s[36:37], s[4:5], 0x30
	s_mov_b32 s40, 0
	s_waitcnt lgkmcnt(0)
	s_abs_i32 s3, s9
	s_abs_i32 s0, s36
	v_cvt_f32_u32_e32 v1, s0
	s_sub_i32 s2, 0, s0
	v_rcp_iflag_f32_e32 v1, v1
	v_mul_f32_e32 v1, 0x4f7ffffe, v1
	v_cvt_u32_f32_e32 v1, v1
	v_readfirstlane_b32 s1, v1
	s_mul_i32 s2, s2, s1
	s_mul_hi_u32 s2, s1, s2
	s_add_i32 s1, s1, s2
	s_xor_b32 s2, s9, s36
	s_mul_hi_u32 s1, s3, s1
	s_ashr_i32 s2, s2, 31
	s_mul_i32 s7, s1, s0
	s_sub_i32 s3, s3, s7
	s_add_i32 s7, s1, 1
	s_sub_i32 s10, s3, s0
	s_cmp_ge_u32 s3, s0
	s_cselect_b32 s1, s7, s1
	s_cselect_b32 s3, s10, s3
	s_add_i32 s7, s1, 1
	s_cmp_ge_u32 s3, s0
	s_cselect_b32 s0, s7, s1
	s_xor_b32 s0, s0, s2
	s_sub_i32 s10, s0, s2
	s_load_dwordx2 s[0:1], s[4:5], 0x50
	s_abs_i32 s2, s10
	v_cvt_f32_u32_e32 v1, s2
	s_sub_i32 s3, 0, s2
	v_rcp_iflag_f32_e32 v1, v1
	v_mul_f32_e32 v1, 0x4f7ffffe, v1
	v_cvt_u32_f32_e32 v1, v1
	v_readfirstlane_b32 s7, v1
	s_mul_i32 s3, s3, s7
	s_mul_hi_u32 s11, s7, s3
	s_abs_i32 s3, s6
	s_add_i32 s7, s7, s11
	s_waitcnt lgkmcnt(0)
	s_cmp_eq_u64 s[0:1], 0
	s_mul_hi_u32 s20, s3, s7
	s_cbranch_scc1 .LBB63_3
; %bb.2:
	s_ashr_i32 s7, s6, 31
	s_lshl_b64 s[12:13], s[6:7], 2
	s_add_u32 s0, s0, s12
	s_addc_u32 s1, s1, s13
	s_load_dword s40, s[0:1], 0x0
.LBB63_3:
	s_load_dwordx4 s[12:15], s[4:5], 0x58
	v_and_b32_e32 v1, 3, v0
	v_lshlrev_b32_e32 v2, 2, v0
	s_ashr_i32 s0, s6, 31
	s_ashr_i32 s1, s10, 31
	s_lshl_b32 s10, s6, 5
	s_mov_b32 s7, exec_lo
	v_cmpx_gt_u32_e32 16, v0
	s_cbranch_execz .LBB63_5
; %bb.4:
	s_load_dwordx2 s[16:17], s[4:5], 0x18
	s_waitcnt lgkmcnt(0)
	s_mul_i32 s18, s12, s26
	v_and_b32_e32 v4, 0x3fc, v0
	s_ashr_i32 s19, s18, 31
	s_lshl_b64 s[18:19], s[18:19], 1
	v_lshl_add_u32 v4, v1, 4, v4
	s_add_u32 s12, s16, s18
	s_addc_u32 s15, s17, s19
	s_ashr_i32 s11, s10, 31
	s_lshl_b64 s[16:17], s[10:11], 1
	s_add_u32 s16, s12, s16
	s_addc_u32 s17, s15, s17
	global_load_dword v3, v2, s[16:17]
	s_waitcnt vmcnt(0)
	ds_write_b32 v4, v3
.LBB63_5:
	s_or_b32 exec_lo, exec_lo, s7
	s_load_dwordx4 s[16:19], s[4:5], 0x78
	s_mul_i32 s7, s20, s2
	s_xor_b32 s0, s0, s1
	s_sub_i32 s1, s3, s7
	s_add_i32 s3, s20, 1
	s_sub_i32 s7, s1, s2
	s_cmp_ge_u32 s1, s2
                                        ; implicit-def: $sgpr33
	s_cselect_b32 s3, s3, s20
	s_cselect_b32 s1, s7, s1
	s_add_i32 s7, s3, 1
	s_cmp_ge_u32 s1, s2
	s_mov_b32 s20, -1
	s_cselect_b32 s1, s7, s3
	s_load_dword s3, s[4:5], 0x88
	s_xor_b32 s1, s1, s0
	s_add_i32 s7, s27, -1
	s_sub_i32 s1, s1, s0
	s_abs_i32 s2, s7
	s_waitcnt lgkmcnt(0)
	s_abs_i32 s11, s19
	s_barrier
	v_cvt_f32_u32_e32 v3, s11
	s_sub_i32 s0, 0, s11
	buffer_gl0_inv
	v_rcp_iflag_f32_e32 v3, v3
	v_mul_f32_e32 v3, 0x4f7ffffe, v3
	v_cvt_u32_f32_e32 v3, v3
	v_readfirstlane_b32 s12, v3
	s_mul_i32 s0, s0, s12
	s_mul_hi_u32 s0, s12, s0
	s_add_i32 s12, s12, s0
	s_cmp_lt_i32 s3, 0
	s_mul_hi_u32 s0, s2, s12
	s_cbranch_scc0 .LBB63_7
; %bb.6:
	s_mul_i32 s15, s16, s36
	s_mov_b32 s20, 0
	s_add_i32 s15, s1, s15
	s_mul_i32 s15, s15, s3
	s_sub_i32 s33, 1, s15
.LBB63_7:
	s_load_dwordx2 s[28:29], s[4:5], 0x38
	s_ashr_i32 s15, s7, 31
	s_andn2_b32 vcc_lo, exec_lo, s20
	s_ashr_i32 s19, s19, 31
	s_cbranch_vccnz .LBB63_9
; %bb.8:
	s_mul_i32 s7, s9, s16
	s_add_i32 s7, s7, s6
	s_mul_i32 s3, s7, s3
	s_add_i32 s33, s3, 1
.LBB63_9:
	s_clause 0x4
	s_load_dword s3, s[4:5], 0x48
	s_load_dwordx2 s[34:35], s[4:5], 0x28
	s_load_dword s7, s[4:5], 0x98
	s_load_dwordx4 s[20:23], s[4:5], 0x0
	s_load_dwordx2 s[24:25], s[4:5], 0x10
	s_mul_i32 s16, s0, s11
	s_xor_b32 s15, s15, s19
	s_sub_i32 s2, s2, s16
	s_add_i32 s36, s0, 1
	v_lshrrev_b32_e32 v8, 5, v0
	v_mov_b32_e32 v4, 0xff7fffff
	v_mbcnt_lo_u32_b32 v3, -1, 0
	s_mul_i32 s14, s1, s14
	v_lshl_add_u32 v9, v8, 3, s38
	s_waitcnt lgkmcnt(0)
	s_mul_i32 s30, s3, s26
	s_sub_i32 s3, s2, s11
	s_ashr_i32 s31, s30, 31
	s_cmp_ge_u32 s2, s11
	s_cselect_b32 s0, s36, s0
	s_cselect_b32 s2, s3, s2
	s_add_i32 s3, s0, 1
	s_cmp_ge_u32 s2, s11
	s_cselect_b32 s0, s3, s0
	s_add_i32 s2, s27, 7
	s_lshl_b32 s41, s8, 6
	s_ashr_i32 s3, s2, 31
	v_or_b32_e32 v5, s41, v8
	s_lshr_b32 s3, s3, 29
	s_add_i32 s2, s2, s3
	s_add_i32 s3, s41, 64
	s_ashr_i32 s36, s2, 3
	s_xor_b32 s2, s0, s15
	s_min_i32 s16, s3, s36
	v_ashrrev_i32_e32 v6, 31, v5
	v_cmp_gt_i32_e64 s0, s16, v5
	s_sub_i32 s39, s2, s15
	s_and_saveexec_b32 s42, s0
	s_cbranch_execz .LBB63_21
; %bb.10:
	s_load_dwordx2 s[2:3], s[4:5], 0x20
	s_ashr_i32 s15, s14, 31
	s_sub_i32 s4, s39, s17
	s_lshl_b64 s[44:45], s[14:15], 1
	v_bfe_u32 v7, v0, 2, 3
	v_cmp_eq_u32_e32 vcc_lo, 0, v1
	v_and_b32_e32 v17, 12, v2
	v_lshlrev_b32_e32 v10, 4, v1
	v_lshlrev_b64 v[1:2], 2, v[5:6]
	v_lshlrev_b32_e32 v15, 2, v7
	v_subrev_nc_u32_e32 v18, s27, v7
	v_lshlrev_b32_e32 v21, 4, v7
	v_cmp_neq_f32_e64 s1, s40, 0
	v_lshl_add_u32 v11, v8, 3, s38
	v_lshl_or_b32 v19, v8, 5, v15
	v_add_nc_u32_e32 v15, 1, v18
	v_mov_b32_e32 v12, 0xff7fffff
	v_xor_b32_e32 v13, 2, v3
	v_xor_b32_e32 v14, 1, v3
	s_waitcnt lgkmcnt(0)
	s_add_u32 s15, s2, s44
	s_addc_u32 s43, s3, s45
	s_abs_i32 s5, s18
	v_cvt_f32_u32_e32 v4, s5
	s_sub_i32 s2, 0, s5
	v_rcp_iflag_f32_e32 v4, v4
	v_mul_f32_e32 v16, 0x4f7ffffe, v4
	v_mov_b32_e32 v4, 0xff7fffff
	v_cvt_u32_f32_e32 v20, v16
	v_add_nc_u32_e32 v16, 0x60, v19
	v_add_co_u32 v19, s15, s15, v21
	v_add_co_ci_u32_e64 v21, null, s43, 0, s15
	v_mul_lo_u32 v18, s2, v20
	s_lshl_b64 s[2:3], s[30:31], 2
	s_mov_b32 s15, 0
	s_add_u32 s2, s28, s2
	s_addc_u32 s3, s29, s3
	v_add_co_u32 v1, s2, s2, v1
	v_add_co_ci_u32_e64 v2, null, s3, v2, s2
	v_mul_hi_u32 v22, v20, v18
	v_add_co_u32 v17, s2, v19, v17
	v_add_co_ci_u32_e64 v18, null, 0, v21, s2
	s_mov_b32 s43, s13
	v_add_nc_u32_e32 v19, v20, v22
	v_mov_b32_e32 v20, v5
	s_branch .LBB63_13
.LBB63_11:                              ;   in Loop: Header=BB63_13 Depth=1
	s_or_b32 exec_lo, exec_lo, s44
.LBB63_12:                              ;   in Loop: Header=BB63_13 Depth=1
	s_or_b32 exec_lo, exec_lo, s3
	v_add_nc_u32_e32 v20, 4, v20
	v_add_co_u32 v1, s3, v1, 16
	v_add_co_ci_u32_e64 v2, null, 0, v2, s3
	v_cmp_le_i32_e64 s2, s16, v20
	v_add_nc_u32_e32 v11, 32, v11
	v_add_nc_u32_e32 v16, 0x80, v16
	s_or_b32 s15, s2, s15
	s_andn2_b32 exec_lo, exec_lo, s15
	s_cbranch_execz .LBB63_20
.LBB63_13:                              ; =>This Inner Loop Header: Depth=1
	v_sub_nc_u32_e32 v21, 0, v11
	v_max_i32_e32 v21, v11, v21
	s_waitcnt lgkmcnt(0)
	v_mul_hi_u32 v22, v21, s12
	v_mul_lo_u32 v23, v22, s11
	v_sub_nc_u32_e32 v21, v21, v23
	v_add_nc_u32_e32 v23, 1, v22
	v_subrev_nc_u32_e32 v24, s11, v21
	v_cmp_le_u32_e64 s2, s11, v21
	v_cndmask_b32_e64 v22, v22, v23, s2
	v_cndmask_b32_e64 v21, v21, v24, s2
	v_ashrrev_i32_e32 v23, 31, v11
	v_add_nc_u32_e32 v24, 1, v22
	v_cmp_le_u32_e64 s2, s11, v21
	v_xor_b32_e32 v23, s19, v23
	v_cndmask_b32_e64 v21, v22, v24, s2
	v_xor_b32_e32 v21, v21, v23
	v_sub_nc_u32_e32 v21, v21, v23
	v_add_nc_u32_e32 v22, s33, v21
	v_cmp_ge_i32_e64 s3, s4, v21
	v_sub_nc_u32_e32 v23, 0, v22
	v_max_i32_e32 v23, v22, v23
	v_ashrrev_i32_e32 v22, 31, v22
	v_mul_hi_u32 v24, v23, v19
	v_mul_lo_u32 v24, v24, s5
	v_sub_nc_u32_e32 v23, v23, v24
	v_subrev_nc_u32_e32 v24, s5, v23
	v_cmp_le_u32_e64 s2, s5, v23
	v_cndmask_b32_e64 v23, v23, v24, s2
	v_subrev_nc_u32_e32 v24, s5, v23
	v_cmp_le_u32_e64 s2, s5, v23
	v_cndmask_b32_e64 v23, v23, v24, s2
	v_xor_b32_e32 v23, v23, v22
	v_sub_nc_u32_e32 v22, v23, v22
	v_cmp_ne_u32_e64 s2, 0, v22
	s_and_b32 s2, s2, s3
	s_and_saveexec_b32 s3, s2
	s_xor_b32 s2, exec_lo, s3
	s_cbranch_execz .LBB63_17
; %bb.14:                               ;   in Loop: Header=BB63_13 Depth=1
	s_and_saveexec_b32 s3, vcc_lo
; %bb.15:                               ;   in Loop: Header=BB63_13 Depth=1
	ds_write_b32 v16, v12
; %bb.16:                               ;   in Loop: Header=BB63_13 Depth=1
	s_or_b32 exec_lo, exec_lo, s3
.LBB63_17:                              ;   in Loop: Header=BB63_13 Depth=1
	s_andn2_saveexec_b32 s3, s2
	s_cbranch_execz .LBB63_12
; %bb.18:                               ;   in Loop: Header=BB63_13 Depth=1
	global_load_dword v21, v[1:2], off
	s_waitcnt vmcnt(0)
	v_mad_i64_i32 v[21:22], null, v21, s43, 0
	v_lshlrev_b64 v[21:22], 1, v[21:22]
	v_add_co_u32 v21, s2, v17, v21
	v_add_co_ci_u32_e64 v22, null, v18, v22, s2
	v_cmp_gt_i32_e64 s2, 32, v13
	s_clause 0x3
	global_load_dword v23, v[21:22], off
	global_load_dword v24, v[21:22], off offset:128
	global_load_dword v25, v[21:22], off offset:256
	;; [unrolled: 1-line block ×3, first 2 shown]
	ds_read_b32 v22, v10
	s_waitcnt lgkmcnt(0)
	v_and_b32_e32 v26, 0xffff, v22
	v_lshrrev_b32_e32 v27, 16, v22
	;;#ASMSTART
	v_cvt_f32_f16 v22, v26;
	;;#ASMEND
	s_waitcnt vmcnt(3)
	v_and_b32_e32 v28, 0xffff, v23
	v_lshrrev_b32_e32 v29, 16, v23
	;;#ASMSTART
	v_cvt_f32_f16 v23, v27;
	;;#ASMEND
	;;#ASMSTART
	v_cvt_f32_f16 v26, v28;
	;;#ASMEND
	;; [unrolled: 3-line block ×3, first 2 shown]
	ds_read_b32 v28, v10 offset:4
	s_waitcnt vmcnt(2)
	v_and_b32_e32 v30, 0xffff, v24
	v_lshrrev_b32_e32 v31, 16, v24
	s_waitcnt vmcnt(1)
	v_and_b32_e32 v33, 0xffff, v25
	v_lshrrev_b32_e32 v34, 16, v25
	s_waitcnt lgkmcnt(0)
	v_and_b32_e32 v29, 0xffff, v28
	v_lshrrev_b32_e32 v28, 16, v28
	;;#ASMSTART
	v_cvt_f32_f16 v24, v29;
	;;#ASMEND
	;;#ASMSTART
	v_cvt_f32_f16 v28, v28;
	;;#ASMEND
	;; [unrolled: 3-line block ×4, first 2 shown]
	ds_read_b32 v31, v10 offset:8
	v_mul_f32_e32 v24, v24, v29
	v_mul_f32_e32 v28, v28, v30
	v_cndmask_b32_e64 v29, v3, v13, s2
	s_waitcnt vmcnt(0)
	v_lshrrev_b32_e32 v30, 16, v21
	v_cmp_gt_i32_e64 s2, 32, v14
	v_fmac_f32_e32 v24, v22, v26
	v_fmac_f32_e32 v28, v23, v27
	v_and_b32_e32 v26, 0xffff, v21
	s_waitcnt lgkmcnt(0)
	v_and_b32_e32 v32, 0xffff, v31
	v_lshrrev_b32_e32 v31, 16, v31
	;;#ASMSTART
	v_cvt_f32_f16 v25, v32;
	;;#ASMEND
	;;#ASMSTART
	v_cvt_f32_f16 v31, v31;
	;;#ASMEND
	;;#ASMSTART
	v_cvt_f32_f16 v32, v33;
	;;#ASMEND
	;;#ASMSTART
	v_cvt_f32_f16 v33, v34;
	;;#ASMEND
	ds_read_b32 v34, v10 offset:12
	v_fmac_f32_e32 v24, v25, v32
	v_fmac_f32_e32 v28, v31, v33
	s_waitcnt lgkmcnt(0)
	v_and_b32_e32 v22, 0xffff, v34
	v_lshrrev_b32_e32 v23, 16, v34
	;;#ASMSTART
	v_cvt_f32_f16 v21, v22;
	;;#ASMEND
	;;#ASMSTART
	v_cvt_f32_f16 v22, v23;
	;;#ASMEND
	;; [unrolled: 3-line block ×4, first 2 shown]
	v_fmac_f32_e32 v24, v21, v23
	v_fmac_f32_e32 v28, v22, v25
	v_lshlrev_b32_e32 v21, 2, v29
	v_cndmask_b32_e64 v23, v3, v14, s2
	v_add_f32_e32 v22, v24, v28
	ds_bpermute_b32 v21, v21, v22
	s_waitcnt lgkmcnt(0)
	v_add_f32_e32 v21, v22, v21
	v_lshlrev_b32_e32 v22, 2, v23
	ds_bpermute_b32 v22, v22, v21
	s_and_saveexec_b32 s44, vcc_lo
	s_cbranch_execz .LBB63_11
; %bb.19:                               ;   in Loop: Header=BB63_13 Depth=1
	v_add_nc_u32_e32 v23, v15, v11
	s_waitcnt lgkmcnt(0)
	v_add_f32_e32 v21, v21, v22
	v_cvt_f32_i32_e32 v23, v23
	v_mul_f32_e32 v23, s40, v23
	v_cndmask_b32_e64 v22, 0, v23, s1
	v_max_f32_e32 v23, v4, v4
	v_fmac_f32_e32 v22, s37, v21
	v_add_nc_u32_e32 v21, v7, v11
	v_max_f32_e32 v23, v23, v22
	v_cmp_gt_i32_e64 s2, s27, v21
	v_cndmask_b32_e64 v21, 0, v22, s2
	v_cndmask_b32_e64 v4, v4, v23, s2
	ds_write_b32 v16, v21
	s_branch .LBB63_11
.LBB63_20:
	s_or_b32 exec_lo, exec_lo, s15
.LBB63_21:
	s_or_b32 exec_lo, exec_lo, s42
	v_xor_b32_e32 v1, 16, v3
	v_xor_b32_e32 v7, 8, v3
	v_max_f32_e32 v10, v4, v4
	v_cmp_gt_i32_e32 vcc_lo, 32, v1
	v_cndmask_b32_e32 v1, v3, v1, vcc_lo
	v_cmp_gt_i32_e32 vcc_lo, 32, v7
	v_lshlrev_b32_e32 v2, 2, v1
	ds_bpermute_b32 v1, v2, v4
	v_cndmask_b32_e32 v4, v3, v7, vcc_lo
	v_lshlrev_b32_e32 v4, 2, v4
	s_waitcnt lgkmcnt(0)
	v_max_f32_e32 v1, v1, v1
	v_max_f32_e32 v1, v10, v1
	v_xor_b32_e32 v10, 4, v3
	ds_bpermute_b32 v7, v4, v1
	v_cmp_gt_i32_e32 vcc_lo, 32, v10
	v_cndmask_b32_e32 v10, v3, v10, vcc_lo
	v_lshlrev_b32_e32 v12, 2, v10
	v_and_b32_e32 v10, 31, v0
	v_cmp_eq_u32_e32 vcc_lo, 0, v10
	s_waitcnt lgkmcnt(0)
	v_max_f32_e32 v7, v7, v7
	v_max_f32_e32 v1, v1, v7
	v_lshlrev_b32_e32 v7, 2, v8
	ds_bpermute_b32 v11, v12, v1
	s_and_saveexec_b32 s1, vcc_lo
	s_cbranch_execz .LBB63_23
; %bb.22:
	s_waitcnt lgkmcnt(0)
	v_max_f32_e32 v11, v11, v11
	v_max_f32_e32 v1, v1, v1
	;; [unrolled: 1-line block ×3, first 2 shown]
	ds_write_b32 v7, v1 offset:64
.LBB63_23:
	s_or_b32 exec_lo, exec_lo, s1
	v_cmp_gt_u32_e64 s1, 4, v10
	v_mov_b32_e32 v1, 0xff7fffff
	s_waitcnt lgkmcnt(0)
	v_lshlrev_b32_e32 v11, 2, v10
	s_barrier
	buffer_gl0_inv
	s_and_saveexec_b32 s2, s1
; %bb.24:
	ds_read_b32 v1, v11 offset:64
; %bb.25:
	s_or_b32 exec_lo, exec_lo, s2
	v_xor_b32_e32 v13, 2, v3
	v_xor_b32_e32 v15, 1, v3
	v_cmp_gt_i32_e64 s2, 32, v13
	v_cndmask_b32_e64 v13, v3, v13, s2
	v_cmp_gt_i32_e64 s2, 32, v15
	v_lshlrev_b32_e32 v13, 2, v13
	v_cndmask_b32_e64 v3, v3, v15, s2
	s_sub_i32 s2, s16, s41
	s_lshl_b32 s2, s2, 3
	s_waitcnt lgkmcnt(0)
	ds_bpermute_b32 v14, v13, v1
	v_max_f32_e32 v1, v1, v1
	s_add_i32 s2, s2, s38
	s_min_i32 s2, s2, s27
	s_sub_i32 s4, s2, s38
	v_cmp_gt_i32_e64 s2, s4, v0
	s_waitcnt lgkmcnt(0)
	v_max_f32_e32 v15, v14, v14
	v_lshlrev_b32_e32 v14, 2, v3
	v_max_f32_e32 v1, v1, v15
	v_mov_b32_e32 v15, 0
	ds_bpermute_b32 v3, v14, v1
	s_waitcnt lgkmcnt(0)
	v_max_f32_e32 v3, v3, v3
	v_max_f32_e32 v1, v1, v3
	v_lshl_add_u32 v3, v0, 2, 0x60
	ds_bpermute_b32 v1, v15, v1
	s_and_saveexec_b32 s5, s2
	s_cbranch_execz .LBB63_29
; %bb.26:
	v_lshl_add_u32 v16, v0, 2, 0x60
	v_mov_b32_e32 v15, 0
	v_mov_b32_e32 v17, v0
	s_mov_b32 s15, 0
	.p2align	6
.LBB63_27:                              ; =>This Inner Loop Header: Depth=1
	ds_read_b32 v18, v16
	v_add_nc_u32_e32 v17, 0x80, v17
	v_cmp_le_i32_e64 s3, s4, v17
	s_or_b32 s15, s3, s15
	s_waitcnt lgkmcnt(0)
	v_sub_f32_e32 v18, v18, v1
	v_mul_f32_e32 v18, 0x3fb8aa3b, v18
	v_exp_f32_e32 v18, v18
	ds_write_b32 v16, v18
	v_add_f32_e32 v15, v15, v18
	v_add_nc_u32_e32 v16, 0x200, v16
	s_andn2_b32 exec_lo, exec_lo, s15
	s_cbranch_execnz .LBB63_27
; %bb.28:
	s_or_b32 exec_lo, exec_lo, s15
.LBB63_29:
	s_or_b32 exec_lo, exec_lo, s5
	ds_bpermute_b32 v2, v2, v15
	s_waitcnt lgkmcnt(0)
	v_add_f32_e32 v2, v15, v2
	ds_bpermute_b32 v4, v4, v2
	s_waitcnt lgkmcnt(0)
	v_add_f32_e32 v2, v2, v4
	;; [unrolled: 3-line block ×5, first 2 shown]
	s_and_saveexec_b32 s3, vcc_lo
; %bb.30:
	ds_write_b32 v7, v2 offset:80
; %bb.31:
	s_or_b32 exec_lo, exec_lo, s3
	s_waitcnt lgkmcnt(0)
	s_barrier
	buffer_gl0_inv
	s_and_saveexec_b32 s3, s1
; %bb.32:
	ds_read_b32 v2, v11 offset:80
; %bb.33:
	s_or_b32 exec_lo, exec_lo, s3
	s_waitcnt lgkmcnt(0)
	ds_bpermute_b32 v4, v13, v2
	s_waitcnt lgkmcnt(0)
	v_add_f32_e32 v2, v2, v4
	ds_bpermute_b32 v4, v14, v2
	s_waitcnt lgkmcnt(0)
	v_add_f32_e32 v2, v2, v4
	v_mov_b32_e32 v4, 0
	ds_bpermute_b32 v2, v4, v2
	s_and_saveexec_b32 s1, s2
	s_cbranch_execz .LBB63_36
; %bb.34:
	s_waitcnt lgkmcnt(0)
	v_add_f32_e32 v4, 0x358637bd, v2
	s_mov_b32 s2, 0
	v_div_scale_f32 v7, null, v4, v4, 1.0
	v_div_scale_f32 v13, vcc_lo, 1.0, v4, 1.0
	v_rcp_f32_e32 v11, v7
	v_fma_f32 v12, -v7, v11, 1.0
	v_fmac_f32_e32 v11, v12, v11
	v_mul_f32_e32 v12, v13, v11
	v_fma_f32 v14, -v7, v12, v13
	v_fmac_f32_e32 v12, v14, v11
	v_fma_f32 v7, -v7, v12, v13
	v_div_fmas_f32 v7, v7, v11, v12
	v_div_fixup_f32 v4, v7, v4, 1.0
	v_mov_b32_e32 v7, v0
.LBB63_35:                              ; =>This Inner Loop Header: Depth=1
	ds_read_b32 v11, v3
	v_add_nc_u32_e32 v7, 0x80, v7
	v_cmp_le_i32_e32 vcc_lo, s4, v7
	s_or_b32 s2, vcc_lo, s2
	s_waitcnt lgkmcnt(0)
	v_mul_f32_e32 v11, v4, v11
	ds_write_b32 v3, v11
	v_add_nc_u32_e32 v3, 0x200, v3
	s_andn2_b32 exec_lo, exec_lo, s2
	s_cbranch_execnz .LBB63_35
.LBB63_36:
	s_or_b32 exec_lo, exec_lo, s1
	s_mul_i32 s1, s7, s26
	s_waitcnt lgkmcnt(0)
	s_mul_i32 s2, s1, s9
	s_mov_b32 s1, exec_lo
	s_barrier
	buffer_gl0_inv
	v_cmpx_eq_u32_e32 0, v0
	s_cbranch_execz .LBB63_38
; %bb.37:
	s_ashr_i32 s3, s2, 31
	s_mul_i32 s40, s7, s6
	s_lshl_b64 s[4:5], s[2:3], 2
	v_mov_b32_e32 v3, 0
	s_add_u32 s3, s22, s4
	s_addc_u32 s6, s23, s5
	s_ashr_i32 s41, s40, 31
	s_lshl_b64 s[22:23], s[40:41], 2
	s_add_u32 s3, s3, s22
	s_addc_u32 s6, s6, s23
	s_ashr_i32 s9, s8, 31
	s_lshl_b64 s[40:41], s[8:9], 2
	s_add_u32 s42, s3, s40
	s_addc_u32 s43, s6, s41
	s_add_u32 s3, s20, s4
	s_addc_u32 s4, s21, s5
	;; [unrolled: 2-line block ×4, first 2 shown]
	global_store_dword v3, v1, s[42:43]
	global_store_dword v3, v2, s[4:5]
.LBB63_38:
	s_or_b32 exec_lo, exec_lo, s1
	v_mov_b32_e32 v11, 0
	s_and_saveexec_b32 s1, s0
	s_cbranch_execz .LBB63_46
; %bb.39:
	s_ashr_i32 s15, s14, 31
	s_sub_i32 s3, s39, s17
	s_lshl_b64 s[4:5], s[14:15], 1
	v_lshlrev_b32_e32 v7, 4, v10
	s_add_u32 s0, s34, s4
	s_addc_u32 s5, s35, s5
	s_abs_i32 s4, s18
	s_lshl_b64 s[14:15], s[30:31], 2
	v_cvt_f32_u32_e32 v1, s4
	s_sub_i32 s6, 0, s4
	v_add_co_u32 v14, s0, s0, v7
	s_add_i32 s36, s36, -1
	v_rcp_iflag_f32_e32 v1, v1
	v_add_co_ci_u32_e64 v15, null, s5, 0, s0
	s_add_u32 s0, s28, s14
	s_addc_u32 s5, s29, s15
	v_mov_b32_e32 v12, 0
	v_lshl_add_u32 v13, v8, 5, 0x60
	v_mov_b32_e32 v11, 0
	v_mul_f32_e32 v1, 0x4f7ffffe, v1
	v_cvt_u32_f32_e32 v3, v1
	v_lshlrev_b64 v[1:2], 2, v[5:6]
	v_mul_lo_u32 v4, s6, v3
	s_mov_b32 s6, s13
	v_add_co_u32 v6, vcc_lo, s0, v1
	v_add_co_ci_u32_e64 v7, null, s5, v2, vcc_lo
	s_mov_b32 s5, 0
	v_mul_hi_u32 v4, v3, v4
	v_add_nc_u32_e32 v16, v3, v4
	s_branch .LBB63_42
.LBB63_40:                              ;   in Loop: Header=BB63_42 Depth=1
	s_or_b32 exec_lo, exec_lo, s9
	v_and_b32_e32 v22, 0xffff, v22
	v_and_b32_e32 v23, 0xffff, v23
	v_lshlrev_b32_e32 v27, 16, v27
	v_and_b32_e32 v24, 0xffff, v24
	v_and_b32_e32 v21, 0xffff, v21
	v_lshl_or_b32 v19, v19, 16, v22
	v_lshl_or_b32 v20, v20, 16, v23
	v_lshlrev_b32_e32 v22, 16, v26
	v_lshlrev_b32_e32 v23, 16, v25
	v_and_or_b32 v1, 0xffff, v1, v27
	;;#ASMSTART
	v_pk_mul_f16 v1, v19, v1;

	;;#ASMEND
	v_lshl_or_b32 v18, v18, 16, v24
	v_and_or_b32 v2, 0xffff, v2, v22
	v_and_or_b32 v3, 0xffff, v3, v23
	v_lshl_or_b32 v17, v17, 16, v21
	;;#ASMSTART
	v_pk_mul_f16 v2, v20, v2;

	;;#ASMEND
	;;#ASMSTART
	v_pk_mul_f16 v3, v18, v3;

	;;#ASMEND
	;;#ASMSTART
	v_pk_mul_f16 v4, v17, v4;

	;;#ASMEND
	;;#ASMSTART
	v_pk_add_f16 v1, v1, v2;

	;;#ASMEND
	;;#ASMSTART
	v_pk_add_f16 v1, v1, v3;

	;;#ASMEND
	;; [unrolled: 4-line block ×3, first 2 shown]
	v_and_b32_e32 v2, 0xffff, v1
	v_lshrrev_b32_e32 v3, 16, v1
	;;#ASMSTART
	v_cvt_f32_f16 v1, v2;
	;;#ASMEND
	;;#ASMSTART
	v_cvt_f32_f16 v2, v3;
	;;#ASMEND
	v_add_f32_e32 v1, v1, v2
	v_add_f32_e32 v11, v11, v1
.LBB63_41:                              ;   in Loop: Header=BB63_42 Depth=1
	s_or_b32 exec_lo, exec_lo, s0
	v_add_nc_u32_e32 v5, 4, v5
	v_add_co_u32 v6, s0, v6, 16
	v_add_co_ci_u32_e64 v7, null, 0, v7, s0
	v_cmp_le_i32_e32 vcc_lo, s16, v5
	v_add_nc_u32_e32 v9, 32, v9
	v_add_nc_u32_e32 v13, 0x80, v13
	s_or_b32 s5, vcc_lo, s5
	s_andn2_b32 exec_lo, exec_lo, s5
	s_cbranch_execz .LBB63_45
.LBB63_42:                              ; =>This Inner Loop Header: Depth=1
	v_sub_nc_u32_e32 v1, 0, v9
	v_max_i32_e32 v1, v9, v1
	v_mul_hi_u32 v2, v1, s12
	v_mul_lo_u32 v3, v2, s11
	v_sub_nc_u32_e32 v1, v1, v3
	v_add_nc_u32_e32 v3, 1, v2
	v_subrev_nc_u32_e32 v4, s11, v1
	v_cmp_le_u32_e32 vcc_lo, s11, v1
	v_cndmask_b32_e32 v2, v2, v3, vcc_lo
	v_cndmask_b32_e32 v1, v1, v4, vcc_lo
	v_ashrrev_i32_e32 v3, 31, v9
	v_add_nc_u32_e32 v4, 1, v2
	v_cmp_le_u32_e32 vcc_lo, s11, v1
	v_xor_b32_e32 v3, s19, v3
	v_cndmask_b32_e32 v1, v2, v4, vcc_lo
	v_xor_b32_e32 v1, v1, v3
	v_sub_nc_u32_e32 v1, v1, v3
	v_add_nc_u32_e32 v2, s33, v1
	v_cmp_lt_i32_e64 s0, s3, v1
	v_sub_nc_u32_e32 v3, 0, v2
	v_max_i32_e32 v3, v2, v3
	v_ashrrev_i32_e32 v2, 31, v2
	v_mul_hi_u32 v4, v3, v16
	v_mul_lo_u32 v4, v4, s4
	v_sub_nc_u32_e32 v3, v3, v4
	v_subrev_nc_u32_e32 v4, s4, v3
	v_cmp_le_u32_e32 vcc_lo, s4, v3
	v_cndmask_b32_e32 v3, v3, v4, vcc_lo
	v_subrev_nc_u32_e32 v4, s4, v3
	v_cmp_le_u32_e32 vcc_lo, s4, v3
	v_cndmask_b32_e32 v3, v3, v4, vcc_lo
	v_xor_b32_e32 v3, v3, v2
	v_sub_nc_u32_e32 v2, v3, v2
	v_cmp_eq_u32_e32 vcc_lo, 0, v2
	s_or_b32 s9, vcc_lo, s0
	s_and_saveexec_b32 s0, s9
	s_cbranch_execz .LBB63_41
; %bb.43:                               ;   in Loop: Header=BB63_42 Depth=1
	global_load_dword v17, v[6:7], off
	ds_read2_b64 v[1:4], v13 offset1:1
	ds_read2_b64 v[24:27], v13 offset0:2 offset1:3
	s_mov_b32 s9, exec_lo
	s_waitcnt lgkmcnt(1)
	;;#ASMSTART
	v_cvt_f16_f32 v22, v1;

	;;#ASMEND
	;;#ASMSTART
	v_cvt_f16_f32 v19, v2;

	;;#ASMEND
	;; [unrolled: 4-line block ×4, first 2 shown]
	s_waitcnt lgkmcnt(0)
	;;#ASMSTART
	v_cvt_f16_f32 v24, v24;

	;;#ASMEND
	s_waitcnt vmcnt(0)
	v_mad_i64_i32 v[17:18], null, v17, s6, 0
	v_lshlrev_b64 v[17:18], 1, v[17:18]
	v_add_co_u32 v1, vcc_lo, v14, v17
	v_add_co_ci_u32_e64 v2, null, v15, v18, vcc_lo
	;;#ASMSTART
	v_cvt_f16_f32 v18, v25;

	;;#ASMEND
	;;#ASMSTART
	v_cvt_f16_f32 v21, v26;

	;;#ASMEND
	;; [unrolled: 4-line block ×3, first 2 shown]
	global_load_dwordx4 v[1:4], v[1:2], off
	s_waitcnt vmcnt(0)
	v_lshrrev_b32_e32 v27, 16, v1
	v_lshrrev_b32_e32 v26, 16, v2
	;; [unrolled: 1-line block ×3, first 2 shown]
	v_cmpx_eq_u32_e64 s36, v5
	s_cbranch_execz .LBB63_40
; %bb.44:                               ;   in Loop: Header=BB63_42 Depth=1
	v_add_nc_u32_e32 v28, 1, v9
	v_cmp_gt_i32_e32 vcc_lo, s27, v9
	v_add_nc_u32_e32 v29, 2, v9
	v_add_nc_u32_e32 v30, 3, v9
	v_and_b32_e32 v31, 0xffff0000, v4
	v_cndmask_b32_e32 v1, 0, v1, vcc_lo
	v_cmp_gt_i32_e32 vcc_lo, s27, v28
	v_add_nc_u32_e32 v28, 6, v9
	v_cndmask_b32_e32 v27, 0, v27, vcc_lo
	v_cmp_gt_i32_e32 vcc_lo, s27, v29
	v_add_nc_u32_e32 v29, 5, v9
	;; [unrolled: 3-line block ×4, first 2 shown]
	v_cndmask_b32_sdwa v4, v12, v4, vcc_lo dst_sel:DWORD dst_unused:UNUSED_PAD src0_sel:DWORD src1_sel:WORD_0
	v_cmp_gt_i32_e32 vcc_lo, s27, v30
	v_cndmask_b32_e32 v30, 0, v31, vcc_lo
	v_cmp_gt_i32_e32 vcc_lo, s27, v28
	v_or_b32_e32 v4, v4, v30
	v_cndmask_b32_e32 v3, 0, v3, vcc_lo
	v_cmp_gt_i32_e32 vcc_lo, s27, v29
	v_cndmask_b32_e32 v25, 0, v25, vcc_lo
	s_branch .LBB63_40
.LBB63_45:
	s_or_b32 exec_lo, exec_lo, s5
.LBB63_46:
	s_or_b32 exec_lo, exec_lo, s1
	v_and_b32_e32 v2, 0x3c0, v0
	v_lshl_add_u32 v1, v10, 2, 0x60
	s_mov_b32 s0, exec_lo
	s_waitcnt_vscnt null, 0x0
	s_barrier
	buffer_gl0_inv
	v_cmpx_eq_u32_e32 64, v2
; %bb.47:
	v_lshlrev_b32_e32 v2, 7, v8
	v_add3_u32 v2, v1, v2, 0xffffff00
	ds_write_b32 v2, v11
; %bb.48:
	s_or_b32 exec_lo, exec_lo, s0
	v_and_b32_e32 v3, 0x3e0, v0
	s_mov_b32 s0, exec_lo
	s_waitcnt lgkmcnt(0)
	s_barrier
	buffer_gl0_inv
	v_lshl_add_u32 v2, v3, 2, v1
	v_cmpx_gt_u32_e32 64, v0
	s_cbranch_execz .LBB63_50
; %bb.49:
	ds_read_b32 v4, v2
	s_waitcnt lgkmcnt(0)
	v_add_f32_e32 v11, v11, v4
.LBB63_50:
	s_or_b32 exec_lo, exec_lo, s0
	s_mov_b32 s0, exec_lo
	s_barrier
	buffer_gl0_inv
	v_cmpx_eq_u32_e32 32, v3
; %bb.51:
	ds_write_b32 v1, v11
; %bb.52:
	s_or_b32 exec_lo, exec_lo, s0
	v_cmp_gt_u32_e32 vcc_lo, 32, v0
	s_waitcnt lgkmcnt(0)
	s_barrier
	buffer_gl0_inv
	s_and_saveexec_b32 s0, vcc_lo
	s_cbranch_execz .LBB63_54
; %bb.53:
	ds_read_b32 v0, v2
	s_waitcnt lgkmcnt(0)
	v_add_f32_e32 v11, v11, v0
.LBB63_54:
	s_or_b32 exec_lo, exec_lo, s0
	s_barrier
	buffer_gl0_inv
	s_and_saveexec_b32 s0, vcc_lo
	s_cbranch_execz .LBB63_56
; %bb.55:
	s_lshl_b32 s0, s2, 5
	s_mul_i32 s2, s7, s10
	s_ashr_i32 s1, s0, 31
	v_lshlrev_b32_e32 v0, 1, v10
	s_lshl_b64 s[0:1], s[0:1], 1
	;;#ASMSTART
	v_cvt_f16_f32 v1, v11;

	;;#ASMEND
	s_add_u32 s4, s24, s0
	s_addc_u32 s5, s25, s1
	s_ashr_i32 s3, s2, 31
	s_lshl_b64 s[0:1], s[2:3], 1
	s_add_u32 s2, s4, s0
	s_addc_u32 s3, s5, s1
	s_lshl_b32 s0, s8, 5
	s_ashr_i32 s1, s0, 31
	s_lshl_b64 s[0:1], s[0:1], 1
	s_add_u32 s0, s2, s0
	s_addc_u32 s1, s3, s1
	global_store_short v0, v1, s[0:1]
.LBB63_56:
	s_endpgm
	.section	.rodata,"a",@progbits
	.p2align	6, 0x0
	.amdhsa_kernel _ZN4vllm25paged_attention_v2_kernelIttLi32ELi8ELi128ELNS_18Fp8KVCacheDataTypeE0ELb1ELi512EEEvPfS2_PT_PKS3_PKT0_S9_ifPKiSB_iPKfiiiSD_SD_iiiii
		.amdhsa_group_segment_fixed_size 96
		.amdhsa_private_segment_fixed_size 0
		.amdhsa_kernarg_size 400
		.amdhsa_user_sgpr_count 6
		.amdhsa_user_sgpr_private_segment_buffer 1
		.amdhsa_user_sgpr_dispatch_ptr 0
		.amdhsa_user_sgpr_queue_ptr 0
		.amdhsa_user_sgpr_kernarg_segment_ptr 1
		.amdhsa_user_sgpr_dispatch_id 0
		.amdhsa_user_sgpr_flat_scratch_init 0
		.amdhsa_user_sgpr_private_segment_size 0
		.amdhsa_wavefront_size32 1
		.amdhsa_uses_dynamic_stack 0
		.amdhsa_system_sgpr_private_segment_wavefront_offset 0
		.amdhsa_system_sgpr_workgroup_id_x 1
		.amdhsa_system_sgpr_workgroup_id_y 1
		.amdhsa_system_sgpr_workgroup_id_z 1
		.amdhsa_system_sgpr_workgroup_info 0
		.amdhsa_system_vgpr_workitem_id 0
		.amdhsa_next_free_vgpr 35
		.amdhsa_next_free_sgpr 46
		.amdhsa_reserve_vcc 1
		.amdhsa_reserve_flat_scratch 0
		.amdhsa_float_round_mode_32 0
		.amdhsa_float_round_mode_16_64 0
		.amdhsa_float_denorm_mode_32 3
		.amdhsa_float_denorm_mode_16_64 3
		.amdhsa_dx10_clamp 1
		.amdhsa_ieee_mode 1
		.amdhsa_fp16_overflow 0
		.amdhsa_workgroup_processor_mode 1
		.amdhsa_memory_ordered 1
		.amdhsa_forward_progress 1
		.amdhsa_shared_vgpr_count 0
		.amdhsa_exception_fp_ieee_invalid_op 0
		.amdhsa_exception_fp_denorm_src 0
		.amdhsa_exception_fp_ieee_div_zero 0
		.amdhsa_exception_fp_ieee_overflow 0
		.amdhsa_exception_fp_ieee_underflow 0
		.amdhsa_exception_fp_ieee_inexact 0
		.amdhsa_exception_int_div_zero 0
	.end_amdhsa_kernel
	.section	.text._ZN4vllm25paged_attention_v2_kernelIttLi32ELi8ELi128ELNS_18Fp8KVCacheDataTypeE0ELb1ELi512EEEvPfS2_PT_PKS3_PKT0_S9_ifPKiSB_iPKfiiiSD_SD_iiiii,"axG",@progbits,_ZN4vllm25paged_attention_v2_kernelIttLi32ELi8ELi128ELNS_18Fp8KVCacheDataTypeE0ELb1ELi512EEEvPfS2_PT_PKS3_PKT0_S9_ifPKiSB_iPKfiiiSD_SD_iiiii,comdat
.Lfunc_end63:
	.size	_ZN4vllm25paged_attention_v2_kernelIttLi32ELi8ELi128ELNS_18Fp8KVCacheDataTypeE0ELb1ELi512EEEvPfS2_PT_PKS3_PKT0_S9_ifPKiSB_iPKfiiiSD_SD_iiiii, .Lfunc_end63-_ZN4vllm25paged_attention_v2_kernelIttLi32ELi8ELi128ELNS_18Fp8KVCacheDataTypeE0ELb1ELi512EEEvPfS2_PT_PKS3_PKT0_S9_ifPKiSB_iPKfiiiSD_SD_iiiii
                                        ; -- End function
	.set _ZN4vllm25paged_attention_v2_kernelIttLi32ELi8ELi128ELNS_18Fp8KVCacheDataTypeE0ELb1ELi512EEEvPfS2_PT_PKS3_PKT0_S9_ifPKiSB_iPKfiiiSD_SD_iiiii.num_vgpr, 35
	.set _ZN4vllm25paged_attention_v2_kernelIttLi32ELi8ELi128ELNS_18Fp8KVCacheDataTypeE0ELb1ELi512EEEvPfS2_PT_PKS3_PKT0_S9_ifPKiSB_iPKfiiiSD_SD_iiiii.num_agpr, 0
	.set _ZN4vllm25paged_attention_v2_kernelIttLi32ELi8ELi128ELNS_18Fp8KVCacheDataTypeE0ELb1ELi512EEEvPfS2_PT_PKS3_PKT0_S9_ifPKiSB_iPKfiiiSD_SD_iiiii.numbered_sgpr, 46
	.set _ZN4vllm25paged_attention_v2_kernelIttLi32ELi8ELi128ELNS_18Fp8KVCacheDataTypeE0ELb1ELi512EEEvPfS2_PT_PKS3_PKT0_S9_ifPKiSB_iPKfiiiSD_SD_iiiii.num_named_barrier, 0
	.set _ZN4vllm25paged_attention_v2_kernelIttLi32ELi8ELi128ELNS_18Fp8KVCacheDataTypeE0ELb1ELi512EEEvPfS2_PT_PKS3_PKT0_S9_ifPKiSB_iPKfiiiSD_SD_iiiii.private_seg_size, 0
	.set _ZN4vllm25paged_attention_v2_kernelIttLi32ELi8ELi128ELNS_18Fp8KVCacheDataTypeE0ELb1ELi512EEEvPfS2_PT_PKS3_PKT0_S9_ifPKiSB_iPKfiiiSD_SD_iiiii.uses_vcc, 1
	.set _ZN4vllm25paged_attention_v2_kernelIttLi32ELi8ELi128ELNS_18Fp8KVCacheDataTypeE0ELb1ELi512EEEvPfS2_PT_PKS3_PKT0_S9_ifPKiSB_iPKfiiiSD_SD_iiiii.uses_flat_scratch, 0
	.set _ZN4vllm25paged_attention_v2_kernelIttLi32ELi8ELi128ELNS_18Fp8KVCacheDataTypeE0ELb1ELi512EEEvPfS2_PT_PKS3_PKT0_S9_ifPKiSB_iPKfiiiSD_SD_iiiii.has_dyn_sized_stack, 0
	.set _ZN4vllm25paged_attention_v2_kernelIttLi32ELi8ELi128ELNS_18Fp8KVCacheDataTypeE0ELb1ELi512EEEvPfS2_PT_PKS3_PKT0_S9_ifPKiSB_iPKfiiiSD_SD_iiiii.has_recursion, 0
	.set _ZN4vllm25paged_attention_v2_kernelIttLi32ELi8ELi128ELNS_18Fp8KVCacheDataTypeE0ELb1ELi512EEEvPfS2_PT_PKS3_PKT0_S9_ifPKiSB_iPKfiiiSD_SD_iiiii.has_indirect_call, 0
	.section	.AMDGPU.csdata,"",@progbits
; Kernel info:
; codeLenInByte = 4544
; TotalNumSgprs: 48
; NumVgprs: 35
; ScratchSize: 0
; MemoryBound: 0
; FloatMode: 240
; IeeeMode: 1
; LDSByteSize: 96 bytes/workgroup (compile time only)
; SGPRBlocks: 0
; VGPRBlocks: 4
; NumSGPRsForWavesPerEU: 48
; NumVGPRsForWavesPerEU: 35
; Occupancy: 16
; WaveLimiterHint : 1
; COMPUTE_PGM_RSRC2:SCRATCH_EN: 0
; COMPUTE_PGM_RSRC2:USER_SGPR: 6
; COMPUTE_PGM_RSRC2:TRAP_HANDLER: 0
; COMPUTE_PGM_RSRC2:TGID_X_EN: 1
; COMPUTE_PGM_RSRC2:TGID_Y_EN: 1
; COMPUTE_PGM_RSRC2:TGID_Z_EN: 1
; COMPUTE_PGM_RSRC2:TIDIG_COMP_CNT: 0
	.section	.text._ZN4vllm32paged_attention_v2_reduce_kernelItLi32ELi128ELi512EEEvPT_PKfS4_PKS1_PKii,"axG",@progbits,_ZN4vllm32paged_attention_v2_reduce_kernelItLi32ELi128ELi512EEEvPT_PKfS4_PKS1_PKii,comdat
	.protected	_ZN4vllm32paged_attention_v2_reduce_kernelItLi32ELi128ELi512EEEvPT_PKfS4_PKS1_PKii ; -- Begin function _ZN4vllm32paged_attention_v2_reduce_kernelItLi32ELi128ELi512EEEvPT_PKfS4_PKS1_PKii
	.globl	_ZN4vllm32paged_attention_v2_reduce_kernelItLi32ELi128ELi512EEEvPT_PKfS4_PKS1_PKii
	.p2align	8
	.type	_ZN4vllm32paged_attention_v2_reduce_kernelItLi32ELi128ELi512EEEvPT_PKfS4_PKS1_PKii,@function
_ZN4vllm32paged_attention_v2_reduce_kernelItLi32ELi128ELi512EEEvPT_PKfS4_PKS1_PKii: ; @_ZN4vllm32paged_attention_v2_reduce_kernelItLi32ELi128ELi512EEEvPT_PKfS4_PKS1_PKii
; %bb.0:
	s_load_dwordx4 s[8:11], s[4:5], 0x18
	s_add_u32 s14, s4, 48
	s_mov_b32 s12, s7
	s_addc_u32 s15, s5, 0
	s_ashr_i32 s13, s7, 31
	s_lshl_b64 s[0:1], s[12:13], 2
	s_waitcnt lgkmcnt(0)
	s_add_u32 s0, s10, s0
	s_addc_u32 s1, s11, s1
	s_load_dword s22, s[0:1], 0x0
	s_clause 0x2
	s_load_dwordx2 s[10:11], s[4:5], 0x0
	s_load_dword s7, s[4:5], 0x28
	s_load_dword s13, s[4:5], 0x30
	s_waitcnt lgkmcnt(0)
	s_add_i32 s0, s22, -1
	s_cmpk_gt_u32 s0, 0x1ff
	s_mov_b32 s0, -1
	s_cbranch_scc0 .LBB64_25
; %bb.1:
	s_load_dwordx2 s[2:3], s[4:5], 0x8
	s_add_i32 s0, s22, 0x1ff
	s_mul_i32 s20, s13, s12
	s_ashr_i32 s1, s0, 31
	v_mov_b32_e32 v4, 0xff7fffff
	s_lshr_b32 s1, s1, 23
	v_lshlrev_b32_e32 v3, 2, v0
	s_add_i32 s0, s0, s1
	s_mul_i32 s16, s20, s7
	s_ashr_i32 s21, s0, 9
	s_mul_i32 s18, s7, s6
	v_cmp_gt_i32_e32 vcc_lo, s21, v0
	s_ashr_i32 s17, s16, 31
	s_ashr_i32 s19, s18, 31
	s_and_saveexec_b32 s1, vcc_lo
	s_cbranch_execz .LBB64_5
; %bb.2:
	s_load_dword s0, s[14:15], 0xc
	s_load_dwordx2 s[24:25], s[4:5], 0x10
	s_lshl_b64 s[26:27], s[16:17], 2
	s_lshl_b64 s[28:29], s[18:19], 2
	v_add_nc_u32_e32 v5, 32, v3
	v_mov_b32_e32 v4, 0xff7fffff
	v_mov_b32_e32 v6, v0
	s_waitcnt lgkmcnt(0)
	s_and_b32 s4, s0, 0xffff
	s_add_u32 s0, s26, s28
	s_addc_u32 s5, s27, s29
	s_add_u32 s0, s24, s0
	s_addc_u32 s5, s25, s5
	v_add_co_u32 v1, s0, s0, v3
	v_add_co_ci_u32_e64 v2, null, s5, 0, s0
	s_mov_b32 s5, 0
	s_lshl_b32 s23, s4, 2
	.p2align	6
.LBB64_3:                               ; =>This Inner Loop Header: Depth=1
	global_load_dword v7, v[1:2], off
	v_add_nc_u32_e32 v6, s4, v6
	v_max_f32_e32 v4, v4, v4
	v_add_co_u32 v1, s0, v1, s23
	v_add_co_ci_u32_e64 v2, null, 0, v2, s0
	v_cmp_le_i32_e64 s0, s21, v6
	s_or_b32 s5, s0, s5
	s_waitcnt vmcnt(0)
	v_max_f32_e32 v8, v7, v7
	ds_write_b32 v5, v7
	v_add_nc_u32_e32 v5, s23, v5
	v_max_f32_e32 v4, v4, v8
	s_andn2_b32 exec_lo, exec_lo, s5
	s_cbranch_execnz .LBB64_3
; %bb.4:
	s_or_b32 exec_lo, exec_lo, s5
.LBB64_5:
	s_or_b32 exec_lo, exec_lo, s1
	v_mbcnt_lo_u32_b32 v1, -1, 0
	s_waitcnt lgkmcnt(0)
	s_barrier
	buffer_gl0_inv
	v_xor_b32_e32 v2, 16, v1
	v_xor_b32_e32 v5, 8, v1
	v_cmp_gt_i32_e64 s0, 32, v2
	v_cndmask_b32_e64 v2, v1, v2, s0
	v_cmp_gt_i32_e64 s0, 32, v5
	v_lshlrev_b32_e32 v6, 2, v2
	v_cndmask_b32_e64 v5, v1, v5, s0
	ds_bpermute_b32 v2, v6, v4
	v_max_f32_e32 v4, v4, v4
	v_lshlrev_b32_e32 v7, 2, v5
	v_xor_b32_e32 v5, 4, v1
	v_cmp_gt_i32_e64 s0, 32, v5
	v_cndmask_b32_e64 v5, v1, v5, s0
	v_lshlrev_b32_e32 v8, 2, v5
	v_xor_b32_e32 v5, 2, v1
	s_waitcnt lgkmcnt(0)
	v_max_f32_e32 v2, v2, v2
	v_cmp_gt_i32_e64 s0, 32, v5
	v_max_f32_e32 v2, v4, v2
	v_cndmask_b32_e64 v5, v1, v5, s0
	ds_bpermute_b32 v4, v7, v2
	s_waitcnt lgkmcnt(0)
	v_max_f32_e32 v4, v4, v4
	v_max_f32_e32 v2, v2, v4
	ds_bpermute_b32 v4, v8, v2
	s_waitcnt lgkmcnt(0)
	v_max_f32_e32 v9, v4, v4
	v_lshlrev_b32_e32 v4, 2, v5
	v_max_f32_e32 v2, v2, v9
	v_xor_b32_e32 v9, 1, v1
	ds_bpermute_b32 v5, v4, v2
	v_cmp_gt_i32_e64 s0, 32, v9
	v_cndmask_b32_e64 v1, v1, v9, s0
	v_lshrrev_b32_e32 v9, 5, v0
	v_lshlrev_b32_e32 v9, 2, v9
	s_waitcnt lgkmcnt(0)
	v_max_f32_e32 v5, v5, v5
	v_max_f32_e32 v2, v2, v5
	v_lshlrev_b32_e32 v5, 2, v1
	v_and_b32_e32 v1, 31, v0
	ds_bpermute_b32 v10, v5, v2
	v_cmp_eq_u32_e64 s0, 0, v1
	s_and_saveexec_b32 s1, s0
	s_cbranch_execz .LBB64_7
; %bb.6:
	s_waitcnt lgkmcnt(0)
	v_max_f32_e32 v10, v10, v10
	v_max_f32_e32 v2, v2, v2
	;; [unrolled: 1-line block ×3, first 2 shown]
	ds_write_b32 v9, v2
.LBB64_7:
	s_or_b32 exec_lo, exec_lo, s1
	v_cmp_gt_u32_e64 s1, 4, v1
	v_mov_b32_e32 v2, 0xff7fffff
	s_waitcnt lgkmcnt(0)
	v_lshlrev_b32_e32 v10, 2, v1
	s_barrier
	buffer_gl0_inv
	s_and_saveexec_b32 s4, s1
; %bb.8:
	ds_read_b32 v2, v10
; %bb.9:
	s_or_b32 exec_lo, exec_lo, s4
	s_waitcnt lgkmcnt(0)
	ds_bpermute_b32 v1, v4, v2
	v_max_f32_e32 v2, v2, v2
	v_mov_b32_e32 v11, 0
	s_lshl_b32 s4, s21, 2
	s_waitcnt lgkmcnt(0)
	v_max_f32_e32 v1, v1, v1
	v_max_f32_e32 v1, v2, v1
	ds_bpermute_b32 v2, v5, v1
	s_waitcnt lgkmcnt(0)
	v_max_f32_e32 v2, v2, v2
	v_max_f32_e32 v1, v1, v2
	ds_bpermute_b32 v12, v11, v1
	s_and_saveexec_b32 s5, vcc_lo
	s_cbranch_execz .LBB64_13
; %bb.10:
	s_load_dword s23, s[14:15], 0xc
	s_lshl_b64 s[24:25], s[16:17], 2
	s_lshl_b64 s[26:27], s[18:19], 2
	v_mov_b32_e32 v11, 0
	v_add_nc_u32_e32 v13, 32, v3
	s_waitcnt lgkmcnt(0)
	s_and_b32 s17, s23, 0xffff
	s_add_u32 s19, s24, s26
	s_addc_u32 s23, s25, s27
	s_add_u32 s2, s2, s19
	s_addc_u32 s3, s3, s23
	v_add_co_u32 v1, s2, s2, v3
	v_add_co_ci_u32_e64 v2, null, s3, 0, s2
	v_mov_b32_e32 v3, v0
	s_mov_b32 s3, 0
	s_lshl_b32 s19, s17, 2
	s_inst_prefetch 0x1
	.p2align	6
.LBB64_11:                              ; =>This Inner Loop Header: Depth=1
	global_load_dword v14, v[1:2], off
	ds_read_b32 v15, v13
	v_add_nc_u32_e32 v3, s17, v3
	s_waitcnt lgkmcnt(0)
	v_sub_f32_e32 v15, v15, v12
	v_mul_f32_e32 v16, 0x3fb8aa3b, v15
	v_cmp_ngt_f32_e32 vcc_lo, 0xc2ce8ed0, v15
	v_cmp_nlt_f32_e64 s2, 0x42b17218, v15
	v_fma_f32 v17, 0x3fb8aa3b, v15, -v16
	v_rndne_f32_e32 v18, v16
	v_fmac_f32_e32 v17, 0x32a5705f, v15
	v_sub_f32_e32 v16, v16, v18
	v_add_f32_e32 v16, v16, v17
	v_cvt_i32_f32_e32 v17, v18
	v_exp_f32_e32 v16, v16
	v_ldexp_f32 v16, v16, v17
	v_add_nc_u32_e32 v17, s4, v13
	v_add_nc_u32_e32 v13, s19, v13
	v_cndmask_b32_e32 v16, 0, v16, vcc_lo
	v_add_co_u32 v1, vcc_lo, v1, s19
	v_add_co_ci_u32_e64 v2, null, 0, v2, vcc_lo
	v_cndmask_b32_e64 v15, 0x7f800000, v16, s2
	v_cmp_le_i32_e32 vcc_lo, s21, v3
	s_or_b32 s3, vcc_lo, s3
	s_waitcnt vmcnt(0)
	v_mul_f32_e32 v16, v14, v15
	v_fmac_f32_e32 v11, v14, v15
	ds_write_b32 v17, v16
	s_andn2_b32 exec_lo, exec_lo, s3
	s_cbranch_execnz .LBB64_11
; %bb.12:
	s_inst_prefetch 0x2
	s_or_b32 exec_lo, exec_lo, s3
.LBB64_13:
	s_or_b32 exec_lo, exec_lo, s5
	ds_bpermute_b32 v1, v6, v11
	s_waitcnt lgkmcnt(0)
	s_barrier
	buffer_gl0_inv
	v_add_f32_e32 v1, v11, v1
	ds_bpermute_b32 v2, v7, v1
	s_waitcnt lgkmcnt(0)
	v_add_f32_e32 v1, v1, v2
	ds_bpermute_b32 v2, v8, v1
	s_waitcnt lgkmcnt(0)
	;; [unrolled: 3-line block ×4, first 2 shown]
	v_add_f32_e32 v1, v1, v2
	s_and_saveexec_b32 s2, s0
; %bb.14:
	ds_write_b32 v9, v1 offset:16
; %bb.15:
	s_or_b32 exec_lo, exec_lo, s2
	s_waitcnt lgkmcnt(0)
	s_barrier
	buffer_gl0_inv
	s_and_saveexec_b32 s0, s1
; %bb.16:
	ds_read_b32 v1, v10 offset:16
; %bb.17:
	s_or_b32 exec_lo, exec_lo, s0
	s_waitcnt lgkmcnt(0)
	ds_bpermute_b32 v2, v4, v1
	s_mov_b32 s0, exec_lo
	s_waitcnt lgkmcnt(0)
	v_add_f32_e32 v1, v1, v2
	ds_bpermute_b32 v2, v5, v1
	s_waitcnt lgkmcnt(0)
	v_add_f32_e32 v1, v1, v2
	v_mov_b32_e32 v2, 0
	ds_bpermute_b32 v2, v2, v1
	v_cmpx_gt_u32_e32 32, v0
	s_cbranch_execz .LBB64_24
; %bb.18:
	s_cmp_gt_i32 s22, 0
	s_mov_b32 s1, 0
	s_cbranch_scc1 .LBB64_20
; %bb.19:
	v_mov_b32_e32 v1, 0
	v_mov_b32_e32 v4, 0
	s_andn2_b32 vcc_lo, exec_lo, s1
	s_cbranch_vccz .LBB64_21
	s_branch .LBB64_23
.LBB64_20:
	v_mov_b32_e32 v4, 0
.LBB64_21:
	s_waitcnt lgkmcnt(0)
	v_add_f32_e32 v4, 0x358637bd, v2
	s_lshl_b32 s16, s16, 5
	s_lshl_b32 s18, s18, 5
	s_ashr_i32 s17, s16, 31
	s_ashr_i32 s19, s18, 31
	v_div_scale_f32 v2, null, v4, v4, 1.0
	v_div_scale_f32 v5, vcc_lo, 1.0, v4, 1.0
	s_add_i32 s2, s4, 32
	v_rcp_f32_e32 v3, v2
	s_lshl_b64 s[4:5], s[16:17], 1
	s_lshl_b64 s[16:17], s[18:19], 1
	s_max_i32 s1, s21, 1
	s_add_u32 s3, s4, s16
	s_addc_u32 s4, s5, s17
	s_add_u32 s3, s8, s3
	s_addc_u32 s4, s9, s4
	v_fma_f32 v1, -v2, v3, 1.0
	v_fmac_f32_e32 v3, v1, v3
	v_mov_b32_e32 v1, 0
	v_mul_f32_e32 v6, v5, v3
	v_fma_f32 v7, -v2, v6, v5
	v_fmac_f32_e32 v6, v7, v3
	v_lshlrev_b32_e32 v7, 1, v0
	v_fma_f32 v2, -v2, v6, v5
	v_div_fmas_f32 v5, v2, v3, v6
	v_add_co_u32 v2, s3, s3, v7
	v_add_co_ci_u32_e64 v3, null, s4, 0, s3
	v_div_fixup_f32 v5, v5, v4, 1.0
	v_mov_b32_e32 v4, v1
	.p2align	6
.LBB64_22:                              ; =>This Inner Loop Header: Depth=1
	v_mov_b32_e32 v6, s2
	global_load_ushort v7, v[2:3], off
	s_waitcnt vmcnt(0)
	;;#ASMSTART
	v_cvt_f32_f16 v7, v7;
	;;#ASMEND
	v_add_co_u32 v2, vcc_lo, v2, 64
	ds_read_b32 v6, v6
	v_add_co_ci_u32_e64 v3, null, 0, v3, vcc_lo
	s_add_i32 s1, s1, -1
	s_add_i32 s2, s2, 4
	s_cmp_eq_u32 s1, 0
	s_waitcnt lgkmcnt(0)
	v_mul_f32_e32 v6, v7, v6
	v_fmac_f32_e32 v4, v5, v6
	s_cbranch_scc0 .LBB64_22
.LBB64_23:
	s_lshl_b32 s2, s20, 5
	s_waitcnt lgkmcnt(0)
	v_lshlrev_b64 v[1:2], 1, v[0:1]
	s_ashr_i32 s3, s2, 31
	;;#ASMSTART
	v_cvt_f16_f32 v3, v4;

	;;#ASMEND
	s_lshl_b64 s[2:3], s[2:3], 1
	s_add_u32 s1, s10, s2
	s_addc_u32 s4, s11, s3
	s_lshl_b32 s2, s6, 5
	s_ashr_i32 s3, s2, 31
	s_lshl_b64 s[2:3], s[2:3], 1
	s_add_u32 s1, s1, s2
	s_addc_u32 s2, s4, s3
	v_add_co_u32 v1, vcc_lo, s1, v1
	v_add_co_ci_u32_e64 v2, null, s2, v2, vcc_lo
	global_store_short v[1:2], v3, off
.LBB64_24:
	s_or_b32 exec_lo, exec_lo, s0
	s_mov_b32 s0, 0
.LBB64_25:
	s_and_b32 vcc_lo, exec_lo, s0
	s_cbranch_vccz .LBB64_34
; %bb.26:
	s_mov_b32 s0, exec_lo
	v_cmpx_gt_u32_e32 32, v0
	s_cbranch_execz .LBB64_34
; %bb.27:
	s_load_dword s0, s[14:15], 0xc
	s_mul_i32 s13, s13, s12
	s_mul_i32 s1, s7, s6
	;; [unrolled: 1-line block ×3, first 2 shown]
	s_lshl_b32 s2, s6, 5
	s_lshl_b32 s12, s13, 5
	s_lshl_b32 s4, s1, 5
	s_lshl_b32 s6, s7, 5
	v_cmp_gt_u32_e32 vcc_lo, 29, v0
	s_ashr_i32 s3, s2, 31
	s_ashr_i32 s13, s12, 31
	;; [unrolled: 1-line block ×4, first 2 shown]
	s_waitcnt lgkmcnt(0)
	s_and_b32 s1, s0, 0xffff
	s_cmp_eq_u32 s1, 1
	s_cselect_b32 s0, -1, 0
	s_and_b32 s15, vcc_lo, s0
	s_mov_b32 s0, -1
	s_and_saveexec_b32 s14, s15
	s_cbranch_execz .LBB64_31
; %bb.28:
	s_lshl_b64 s[16:17], s[6:7], 1
	s_lshl_b64 s[18:19], s[4:5], 1
	v_lshlrev_b32_e32 v1, 1, v0
	s_add_u32 s0, s16, s18
	s_addc_u32 s15, s17, s19
	s_add_u32 s0, s8, s0
	s_addc_u32 s15, s9, s15
	s_lshl_b64 s[16:17], s[12:13], 1
	s_lshl_b64 s[18:19], s[2:3], 1
	v_add_co_u32 v2, s0, s0, v1
	v_add_co_ci_u32_e64 v3, null, s15, 0, s0
	s_add_u32 s0, s16, s18
	v_sub_nc_u32_e32 v5, 32, v0
	s_addc_u32 s15, s17, s19
	s_add_u32 s0, s10, s0
	s_addc_u32 s15, s11, s15
	v_add_co_u32 v4, s0, s0, v1
	v_and_b32_e32 v6, 60, v5
	v_add_co_ci_u32_e64 v7, null, s15, 0, s0
	v_add_co_u32 v1, vcc_lo, v2, 4
	v_add_co_ci_u32_e64 v2, null, 0, v3, vcc_lo
	v_add_co_u32 v3, vcc_lo, v4, 4
	v_add_co_ci_u32_e64 v4, null, 0, v7, vcc_lo
	v_mov_b32_e32 v7, v6
	s_mov_b32 s15, 0
	.p2align	6
.LBB64_29:                              ; =>This Inner Loop Header: Depth=1
	global_load_dwordx2 v[8:9], v[1:2], off offset:-4
	v_add_nc_u32_e32 v7, -4, v7
	v_add_co_u32 v1, vcc_lo, v1, 8
	v_add_co_ci_u32_e64 v2, null, 0, v2, vcc_lo
	v_cmp_eq_u32_e32 vcc_lo, 0, v7
	s_or_b32 s15, vcc_lo, s15
	s_waitcnt vmcnt(0)
	global_store_dwordx2 v[3:4], v[8:9], off offset:-4
	v_add_co_u32 v3, s0, v3, 8
	v_add_co_ci_u32_e64 v4, null, 0, v4, s0
	s_andn2_b32 exec_lo, exec_lo, s15
	s_cbranch_execnz .LBB64_29
; %bb.30:
	s_or_b32 exec_lo, exec_lo, s15
	v_cmp_ne_u32_e32 vcc_lo, v5, v6
	v_add_nc_u32_e32 v0, v0, v6
	s_orn2_b32 s0, vcc_lo, exec_lo
.LBB64_31:
	s_or_b32 exec_lo, exec_lo, s14
	s_and_b32 exec_lo, exec_lo, s0
	s_cbranch_execz .LBB64_34
; %bb.32:
	s_lshl_b64 s[12:13], s[12:13], 1
	v_lshlrev_b32_e32 v1, 1, v0
	s_add_u32 s0, s10, s12
	s_addc_u32 s10, s11, s13
	s_lshl_b64 s[2:3], s[2:3], 1
	v_mov_b32_e32 v2, 0
	s_add_u32 s2, s0, s2
	s_addc_u32 s3, s10, s3
	s_lshl_b64 s[6:7], s[6:7], 1
	s_add_u32 s0, s8, s6
	s_addc_u32 s6, s9, s7
	s_lshl_b64 s[4:5], s[4:5], 1
	s_add_u32 s4, s0, s4
	s_addc_u32 s5, s6, s5
	s_mov_b32 s6, 0
	s_lshl_b32 s7, s1, 1
	.p2align	6
.LBB64_33:                              ; =>This Inner Loop Header: Depth=1
	v_add_co_u32 v3, vcc_lo, s4, v1
	v_add_co_ci_u32_e64 v4, null, s5, v2, vcc_lo
	v_add_nc_u32_e32 v0, s1, v0
	global_load_ushort v5, v[3:4], off
	v_add_co_u32 v3, vcc_lo, s2, v1
	v_add_co_ci_u32_e64 v4, null, s3, v2, vcc_lo
	v_cmp_lt_u32_e32 vcc_lo, 31, v0
	v_add_co_u32 v1, s0, v1, s7
	v_add_co_ci_u32_e64 v2, null, 0, v2, s0
	s_or_b32 s6, vcc_lo, s6
	s_waitcnt vmcnt(0)
	global_store_short v[3:4], v5, off
	s_andn2_b32 exec_lo, exec_lo, s6
	s_cbranch_execnz .LBB64_33
.LBB64_34:
	s_endpgm
	.section	.rodata,"a",@progbits
	.p2align	6, 0x0
	.amdhsa_kernel _ZN4vllm32paged_attention_v2_reduce_kernelItLi32ELi128ELi512EEEvPT_PKfS4_PKS1_PKii
		.amdhsa_group_segment_fixed_size 32
		.amdhsa_private_segment_fixed_size 0
		.amdhsa_kernarg_size 304
		.amdhsa_user_sgpr_count 6
		.amdhsa_user_sgpr_private_segment_buffer 1
		.amdhsa_user_sgpr_dispatch_ptr 0
		.amdhsa_user_sgpr_queue_ptr 0
		.amdhsa_user_sgpr_kernarg_segment_ptr 1
		.amdhsa_user_sgpr_dispatch_id 0
		.amdhsa_user_sgpr_flat_scratch_init 0
		.amdhsa_user_sgpr_private_segment_size 0
		.amdhsa_wavefront_size32 1
		.amdhsa_uses_dynamic_stack 0
		.amdhsa_system_sgpr_private_segment_wavefront_offset 0
		.amdhsa_system_sgpr_workgroup_id_x 1
		.amdhsa_system_sgpr_workgroup_id_y 1
		.amdhsa_system_sgpr_workgroup_id_z 0
		.amdhsa_system_sgpr_workgroup_info 0
		.amdhsa_system_vgpr_workitem_id 0
		.amdhsa_next_free_vgpr 19
		.amdhsa_next_free_sgpr 30
		.amdhsa_reserve_vcc 1
		.amdhsa_reserve_flat_scratch 0
		.amdhsa_float_round_mode_32 0
		.amdhsa_float_round_mode_16_64 0
		.amdhsa_float_denorm_mode_32 3
		.amdhsa_float_denorm_mode_16_64 3
		.amdhsa_dx10_clamp 1
		.amdhsa_ieee_mode 1
		.amdhsa_fp16_overflow 0
		.amdhsa_workgroup_processor_mode 1
		.amdhsa_memory_ordered 1
		.amdhsa_forward_progress 1
		.amdhsa_shared_vgpr_count 0
		.amdhsa_exception_fp_ieee_invalid_op 0
		.amdhsa_exception_fp_denorm_src 0
		.amdhsa_exception_fp_ieee_div_zero 0
		.amdhsa_exception_fp_ieee_overflow 0
		.amdhsa_exception_fp_ieee_underflow 0
		.amdhsa_exception_fp_ieee_inexact 0
		.amdhsa_exception_int_div_zero 0
	.end_amdhsa_kernel
	.section	.text._ZN4vllm32paged_attention_v2_reduce_kernelItLi32ELi128ELi512EEEvPT_PKfS4_PKS1_PKii,"axG",@progbits,_ZN4vllm32paged_attention_v2_reduce_kernelItLi32ELi128ELi512EEEvPT_PKfS4_PKS1_PKii,comdat
.Lfunc_end64:
	.size	_ZN4vllm32paged_attention_v2_reduce_kernelItLi32ELi128ELi512EEEvPT_PKfS4_PKS1_PKii, .Lfunc_end64-_ZN4vllm32paged_attention_v2_reduce_kernelItLi32ELi128ELi512EEEvPT_PKfS4_PKS1_PKii
                                        ; -- End function
	.set _ZN4vllm32paged_attention_v2_reduce_kernelItLi32ELi128ELi512EEEvPT_PKfS4_PKS1_PKii.num_vgpr, 19
	.set _ZN4vllm32paged_attention_v2_reduce_kernelItLi32ELi128ELi512EEEvPT_PKfS4_PKS1_PKii.num_agpr, 0
	.set _ZN4vllm32paged_attention_v2_reduce_kernelItLi32ELi128ELi512EEEvPT_PKfS4_PKS1_PKii.numbered_sgpr, 30
	.set _ZN4vllm32paged_attention_v2_reduce_kernelItLi32ELi128ELi512EEEvPT_PKfS4_PKS1_PKii.num_named_barrier, 0
	.set _ZN4vllm32paged_attention_v2_reduce_kernelItLi32ELi128ELi512EEEvPT_PKfS4_PKS1_PKii.private_seg_size, 0
	.set _ZN4vllm32paged_attention_v2_reduce_kernelItLi32ELi128ELi512EEEvPT_PKfS4_PKS1_PKii.uses_vcc, 1
	.set _ZN4vllm32paged_attention_v2_reduce_kernelItLi32ELi128ELi512EEEvPT_PKfS4_PKS1_PKii.uses_flat_scratch, 0
	.set _ZN4vllm32paged_attention_v2_reduce_kernelItLi32ELi128ELi512EEEvPT_PKfS4_PKS1_PKii.has_dyn_sized_stack, 0
	.set _ZN4vllm32paged_attention_v2_reduce_kernelItLi32ELi128ELi512EEEvPT_PKfS4_PKS1_PKii.has_recursion, 0
	.set _ZN4vllm32paged_attention_v2_reduce_kernelItLi32ELi128ELi512EEEvPT_PKfS4_PKS1_PKii.has_indirect_call, 0
	.section	.AMDGPU.csdata,"",@progbits
; Kernel info:
; codeLenInByte = 2332
; TotalNumSgprs: 32
; NumVgprs: 19
; ScratchSize: 0
; MemoryBound: 0
; FloatMode: 240
; IeeeMode: 1
; LDSByteSize: 32 bytes/workgroup (compile time only)
; SGPRBlocks: 0
; VGPRBlocks: 2
; NumSGPRsForWavesPerEU: 32
; NumVGPRsForWavesPerEU: 19
; Occupancy: 16
; WaveLimiterHint : 0
; COMPUTE_PGM_RSRC2:SCRATCH_EN: 0
; COMPUTE_PGM_RSRC2:USER_SGPR: 6
; COMPUTE_PGM_RSRC2:TRAP_HANDLER: 0
; COMPUTE_PGM_RSRC2:TGID_X_EN: 1
; COMPUTE_PGM_RSRC2:TGID_Y_EN: 1
; COMPUTE_PGM_RSRC2:TGID_Z_EN: 0
; COMPUTE_PGM_RSRC2:TIDIG_COMP_CNT: 0
	.section	.text._ZN4vllm25paged_attention_v2_kernelIttLi64ELi8ELi128ELNS_18Fp8KVCacheDataTypeE0ELb1ELi512EEEvPfS2_PT_PKS3_PKT0_S9_ifPKiSB_iPKfiiiSD_SD_iiiii,"axG",@progbits,_ZN4vllm25paged_attention_v2_kernelIttLi64ELi8ELi128ELNS_18Fp8KVCacheDataTypeE0ELb1ELi512EEEvPfS2_PT_PKS3_PKT0_S9_ifPKiSB_iPKfiiiSD_SD_iiiii,comdat
	.protected	_ZN4vllm25paged_attention_v2_kernelIttLi64ELi8ELi128ELNS_18Fp8KVCacheDataTypeE0ELb1ELi512EEEvPfS2_PT_PKS3_PKT0_S9_ifPKiSB_iPKfiiiSD_SD_iiiii ; -- Begin function _ZN4vllm25paged_attention_v2_kernelIttLi64ELi8ELi128ELNS_18Fp8KVCacheDataTypeE0ELb1ELi512EEEvPfS2_PT_PKS3_PKT0_S9_ifPKiSB_iPKfiiiSD_SD_iiiii
	.globl	_ZN4vllm25paged_attention_v2_kernelIttLi64ELi8ELi128ELNS_18Fp8KVCacheDataTypeE0ELb1ELi512EEEvPfS2_PT_PKS3_PKT0_S9_ifPKiSB_iPKfiiiSD_SD_iiiii
	.p2align	8
	.type	_ZN4vllm25paged_attention_v2_kernelIttLi64ELi8ELi128ELNS_18Fp8KVCacheDataTypeE0ELb1ELi512EEEvPfS2_PT_PKS3_PKT0_S9_ifPKiSB_iPKfiiiSD_SD_iiiii,@function
_ZN4vllm25paged_attention_v2_kernelIttLi64ELi8ELi128ELNS_18Fp8KVCacheDataTypeE0ELb1ELi512EEEvPfS2_PT_PKS3_PKT0_S9_ifPKiSB_iPKfiiiSD_SD_iiiii: ; @_ZN4vllm25paged_attention_v2_kernelIttLi64ELi8ELi128ELNS_18Fp8KVCacheDataTypeE0ELb1ELi512EEEvPfS2_PT_PKS3_PKT0_S9_ifPKiSB_iPKfiiiSD_SD_iiiii
; %bb.0:
	s_load_dwordx2 s[0:1], s[4:5], 0x40
	s_mov_b32 s26, s7
	s_ashr_i32 s27, s7, 31
	s_lshl_b64 s[2:3], s[26:27], 2
	s_waitcnt lgkmcnt(0)
	s_add_u32 s0, s0, s2
	s_addc_u32 s1, s1, s3
	s_lshl_b32 s39, s8, 9
	s_load_dword s27, s[0:1], 0x0
	s_waitcnt lgkmcnt(0)
	s_cmp_ge_i32 s39, s27
	s_cbranch_scc1 .LBB65_58
; %bb.1:
	s_clause 0x1
	s_load_dword s9, s[4:5], 0x90
	s_load_dwordx2 s[36:37], s[4:5], 0x30
	s_mov_b32 s41, 0
	s_waitcnt lgkmcnt(0)
	s_abs_i32 s3, s9
	s_abs_i32 s0, s36
	v_cvt_f32_u32_e32 v1, s0
	s_sub_i32 s2, 0, s0
	v_rcp_iflag_f32_e32 v1, v1
	v_mul_f32_e32 v1, 0x4f7ffffe, v1
	v_cvt_u32_f32_e32 v1, v1
	v_readfirstlane_b32 s1, v1
	s_mul_i32 s2, s2, s1
	s_mul_hi_u32 s2, s1, s2
	s_add_i32 s1, s1, s2
	s_xor_b32 s2, s9, s36
	s_mul_hi_u32 s1, s3, s1
	s_ashr_i32 s2, s2, 31
	s_mul_i32 s7, s1, s0
	s_sub_i32 s3, s3, s7
	s_add_i32 s7, s1, 1
	s_sub_i32 s10, s3, s0
	s_cmp_ge_u32 s3, s0
	s_cselect_b32 s1, s7, s1
	s_cselect_b32 s3, s10, s3
	s_add_i32 s7, s1, 1
	s_cmp_ge_u32 s3, s0
	s_cselect_b32 s0, s7, s1
	s_xor_b32 s0, s0, s2
	s_sub_i32 s10, s0, s2
	s_load_dwordx2 s[0:1], s[4:5], 0x50
	s_abs_i32 s2, s10
	v_cvt_f32_u32_e32 v1, s2
	s_sub_i32 s3, 0, s2
	v_rcp_iflag_f32_e32 v1, v1
	v_mul_f32_e32 v1, 0x4f7ffffe, v1
	v_cvt_u32_f32_e32 v1, v1
	v_readfirstlane_b32 s7, v1
	s_mul_i32 s3, s3, s7
	s_mul_hi_u32 s11, s7, s3
	s_abs_i32 s3, s6
	s_add_i32 s7, s7, s11
	s_waitcnt lgkmcnt(0)
	s_cmp_eq_u64 s[0:1], 0
	s_mul_hi_u32 s20, s3, s7
	s_cbranch_scc1 .LBB65_3
; %bb.2:
	s_ashr_i32 s7, s6, 31
	s_lshl_b64 s[12:13], s[6:7], 2
	s_add_u32 s0, s0, s12
	s_addc_u32 s1, s1, s13
	s_load_dword s41, s[0:1], 0x0
.LBB65_3:
	s_load_dwordx4 s[12:15], s[4:5], 0x58
	v_and_b32_e32 v1, 3, v0
	v_cmp_gt_u32_e64 s0, 32, v0
	v_lshlrev_b32_e32 v2, 2, v0
	s_ashr_i32 s1, s6, 31
	s_ashr_i32 s7, s10, 31
	s_lshl_b32 s10, s6, 6
	s_waitcnt lgkmcnt(0)
	s_and_saveexec_b32 s15, s0
	s_cbranch_execz .LBB65_5
; %bb.4:
	s_load_dwordx2 s[16:17], s[4:5], 0x18
	s_mul_i32 s18, s12, s26
	v_and_b32_e32 v4, 0x3fc, v0
	s_ashr_i32 s19, s18, 31
	s_lshl_b64 s[18:19], s[18:19], 1
	v_lshl_add_u32 v4, v1, 5, v4
	s_waitcnt lgkmcnt(0)
	s_add_u32 s12, s16, s18
	s_addc_u32 s18, s17, s19
	s_ashr_i32 s11, s10, 31
	s_lshl_b64 s[16:17], s[10:11], 1
	s_add_u32 s16, s12, s16
	s_addc_u32 s17, s18, s17
	global_load_dword v3, v2, s[16:17]
	s_waitcnt vmcnt(0)
	ds_write_b32 v4, v3
.LBB65_5:
	s_or_b32 exec_lo, exec_lo, s15
	s_load_dwordx4 s[16:19], s[4:5], 0x78
	s_mul_i32 s11, s20, s2
	s_xor_b32 s1, s1, s7
	s_sub_i32 s3, s3, s11
	s_add_i32 s7, s20, 1
	s_sub_i32 s11, s3, s2
	s_cmp_ge_u32 s3, s2
	s_mov_b32 s15, -1
	s_cselect_b32 s7, s7, s20
	s_cselect_b32 s3, s11, s3
	s_add_i32 s11, s7, 1
	s_cmp_ge_u32 s3, s2
                                        ; implicit-def: $sgpr38
	s_cselect_b32 s2, s11, s7
	s_load_dword s7, s[4:5], 0x88
	s_xor_b32 s2, s2, s1
	s_add_i32 s12, s27, -1
	s_sub_i32 s2, s2, s1
	s_abs_i32 s3, s12
	s_waitcnt lgkmcnt(0)
	s_abs_i32 s11, s19
	s_barrier
	v_cvt_f32_u32_e32 v3, s11
	s_sub_i32 s1, 0, s11
	buffer_gl0_inv
	v_rcp_iflag_f32_e32 v3, v3
	v_mul_f32_e32 v3, 0x4f7ffffe, v3
	v_cvt_u32_f32_e32 v3, v3
	v_readfirstlane_b32 s33, v3
	s_mul_i32 s1, s1, s33
	s_mul_hi_u32 s1, s33, s1
	s_add_i32 s33, s33, s1
	s_cmp_lt_i32 s7, 0
	s_mul_hi_u32 s1, s3, s33
	s_cbranch_scc0 .LBB65_7
; %bb.6:
	s_mul_i32 s15, s16, s36
	s_add_i32 s15, s2, s15
	s_mul_i32 s15, s15, s7
	s_sub_i32 s38, 1, s15
	s_mov_b32 s15, 0
.LBB65_7:
	s_load_dwordx2 s[28:29], s[4:5], 0x38
	s_ashr_i32 s12, s12, 31
	s_andn2_b32 vcc_lo, exec_lo, s15
	s_ashr_i32 s19, s19, 31
	s_cbranch_vccnz .LBB65_9
; %bb.8:
	s_mul_i32 s15, s9, s16
	s_add_i32 s15, s15, s6
	s_mul_i32 s7, s15, s7
	s_add_i32 s38, s7, 1
.LBB65_9:
	s_clause 0x4
	s_load_dword s15, s[4:5], 0x48
	s_load_dwordx2 s[34:35], s[4:5], 0x28
	s_load_dword s7, s[4:5], 0x98
	s_load_dwordx4 s[20:23], s[4:5], 0x0
	s_load_dwordx2 s[24:25], s[4:5], 0x10
	s_xor_b32 s40, s12, s19
	s_mul_i32 s12, s1, s11
	s_add_i32 s16, s1, 1
	s_sub_i32 s3, s3, s12
	v_lshrrev_b32_e32 v10, 5, v0
	s_sub_i32 s12, s3, s11
	v_mov_b32_e32 v4, 0xff7fffff
	v_mbcnt_lo_u32_b32 v3, -1, 0
	s_mul_i32 s14, s2, s14
	v_lshl_add_u32 v11, v10, 3, s39
	s_waitcnt lgkmcnt(0)
	s_mul_i32 s30, s15, s26
	s_ashr_i32 s31, s30, 31
	s_cmp_ge_u32 s3, s11
	s_cselect_b32 s1, s16, s1
	s_cselect_b32 s3, s12, s3
	s_add_i32 s12, s1, 1
	s_cmp_ge_u32 s3, s11
	s_cselect_b32 s1, s12, s1
	s_add_i32 s3, s27, 7
	s_lshl_b32 s12, s8, 6
	s_ashr_i32 s15, s3, 31
	v_or_b32_e32 v5, s12, v10
	s_lshr_b32 s15, s15, 29
	s_add_i32 s3, s3, s15
	s_add_i32 s15, s12, 64
	s_ashr_i32 s36, s3, 3
	s_xor_b32 s3, s1, s40
	s_min_i32 s16, s15, s36
	v_ashrrev_i32_e32 v6, 31, v5
	v_cmp_gt_i32_e64 s1, s16, v5
	s_sub_i32 s40, s3, s40
	s_and_saveexec_b32 s42, s1
	s_cbranch_execz .LBB65_21
; %bb.10:
	s_load_dwordx2 s[2:3], s[4:5], 0x20
	s_ashr_i32 s15, s14, 31
	s_sub_i32 s5, s40, s17
	s_lshl_b64 s[44:45], s[14:15], 1
	v_bfe_u32 v7, v0, 2, 3
	v_cmp_eq_u32_e32 vcc_lo, 0, v1
	v_and_b32_e32 v17, 12, v2
	v_lshlrev_b32_e32 v8, 5, v1
	v_lshlrev_b64 v[1:2], 2, v[5:6]
	v_lshlrev_b32_e32 v15, 2, v7
	v_subrev_nc_u32_e32 v18, s27, v7
	v_lshlrev_b32_e32 v21, 4, v7
	v_lshl_add_u32 v9, v10, 3, s39
	v_mov_b32_e32 v12, 0xff7fffff
	v_lshl_or_b32 v19, v10, 5, v15
	v_add_nc_u32_e32 v15, 1, v18
	v_xor_b32_e32 v13, 2, v3
	v_xor_b32_e32 v14, 1, v3
	s_waitcnt lgkmcnt(0)
	s_add_u32 s4, s2, s44
	s_addc_u32 s3, s3, s45
	s_abs_i32 s15, s18
	s_lshl_b64 s[44:45], s[30:31], 2
	v_cvt_f32_u32_e32 v4, s15
	s_sub_i32 s43, 0, s15
	v_cmp_neq_f32_e64 s2, s41, 0
	v_rcp_iflag_f32_e32 v4, v4
	v_mul_f32_e32 v16, 0x4f7ffffe, v4
	v_mov_b32_e32 v4, 0xff7fffff
	v_cvt_u32_f32_e32 v20, v16
	v_add_nc_u32_e32 v16, 0xa0, v19
	v_add_co_u32 v19, s4, s4, v21
	v_add_co_ci_u32_e64 v21, null, s3, 0, s4
	v_mul_lo_u32 v18, s43, v20
	s_add_u32 s3, s28, s44
	s_addc_u32 s4, s29, s45
	v_add_co_u32 v1, s3, s3, v1
	v_add_co_ci_u32_e64 v2, null, s4, v2, s3
	v_add_co_u32 v17, s3, v19, v17
	v_mul_hi_u32 v22, v20, v18
	v_add_co_ci_u32_e64 v18, null, 0, v21, s3
	s_mov_b32 s43, 0
	s_mov_b32 s44, s13
	v_add_nc_u32_e32 v19, v20, v22
	v_mov_b32_e32 v20, v5
	s_branch .LBB65_13
.LBB65_11:                              ;   in Loop: Header=BB65_13 Depth=1
	s_or_b32 exec_lo, exec_lo, s45
.LBB65_12:                              ;   in Loop: Header=BB65_13 Depth=1
	s_or_b32 exec_lo, exec_lo, s4
	v_add_nc_u32_e32 v20, 4, v20
	v_add_co_u32 v1, s4, v1, 16
	v_add_co_ci_u32_e64 v2, null, 0, v2, s4
	v_cmp_le_i32_e64 s3, s16, v20
	v_add_nc_u32_e32 v9, 32, v9
	v_add_nc_u32_e32 v16, 0x80, v16
	s_or_b32 s43, s3, s43
	s_andn2_b32 exec_lo, exec_lo, s43
	s_cbranch_execz .LBB65_20
.LBB65_13:                              ; =>This Inner Loop Header: Depth=1
	v_sub_nc_u32_e32 v21, 0, v9
	v_max_i32_e32 v21, v9, v21
	s_waitcnt lgkmcnt(0)
	v_mul_hi_u32 v22, v21, s33
	v_mul_lo_u32 v23, v22, s11
	v_sub_nc_u32_e32 v21, v21, v23
	v_add_nc_u32_e32 v23, 1, v22
	v_subrev_nc_u32_e32 v24, s11, v21
	v_cmp_le_u32_e64 s3, s11, v21
	v_cndmask_b32_e64 v22, v22, v23, s3
	v_cndmask_b32_e64 v21, v21, v24, s3
	v_ashrrev_i32_e32 v23, 31, v9
	v_add_nc_u32_e32 v24, 1, v22
	v_cmp_le_u32_e64 s3, s11, v21
	v_xor_b32_e32 v23, s19, v23
	v_cndmask_b32_e64 v21, v22, v24, s3
	v_xor_b32_e32 v21, v21, v23
	v_sub_nc_u32_e32 v21, v21, v23
	v_add_nc_u32_e32 v22, s38, v21
	v_cmp_ge_i32_e64 s4, s5, v21
	v_sub_nc_u32_e32 v23, 0, v22
	v_max_i32_e32 v23, v22, v23
	v_ashrrev_i32_e32 v22, 31, v22
	v_mul_hi_u32 v24, v23, v19
	v_mul_lo_u32 v24, v24, s15
	v_sub_nc_u32_e32 v23, v23, v24
	v_subrev_nc_u32_e32 v24, s15, v23
	v_cmp_le_u32_e64 s3, s15, v23
	v_cndmask_b32_e64 v23, v23, v24, s3
	v_subrev_nc_u32_e32 v24, s15, v23
	v_cmp_le_u32_e64 s3, s15, v23
	v_cndmask_b32_e64 v23, v23, v24, s3
	v_xor_b32_e32 v23, v23, v22
	v_sub_nc_u32_e32 v22, v23, v22
	v_cmp_ne_u32_e64 s3, 0, v22
	s_and_b32 s3, s3, s4
	s_and_saveexec_b32 s4, s3
	s_xor_b32 s3, exec_lo, s4
	s_cbranch_execz .LBB65_17
; %bb.14:                               ;   in Loop: Header=BB65_13 Depth=1
	s_and_saveexec_b32 s4, vcc_lo
; %bb.15:                               ;   in Loop: Header=BB65_13 Depth=1
	ds_write_b32 v16, v12
; %bb.16:                               ;   in Loop: Header=BB65_13 Depth=1
	s_or_b32 exec_lo, exec_lo, s4
.LBB65_17:                              ;   in Loop: Header=BB65_13 Depth=1
	s_andn2_saveexec_b32 s4, s3
	s_cbranch_execz .LBB65_12
; %bb.18:                               ;   in Loop: Header=BB65_13 Depth=1
	global_load_dword v21, v[1:2], off
	s_waitcnt vmcnt(0)
	v_mad_i64_i32 v[21:22], null, v21, s44, 0
	v_lshlrev_b64 v[21:22], 1, v[21:22]
	v_add_co_u32 v21, s3, v17, v21
	v_add_co_ci_u32_e64 v22, null, v18, v22, s3
	v_cmp_gt_i32_e64 s3, 32, v13
	s_clause 0x7
	global_load_dword v23, v[21:22], off
	global_load_dword v24, v[21:22], off offset:128
	global_load_dword v25, v[21:22], off offset:256
	;; [unrolled: 1-line block ×7, first 2 shown]
	ds_read_b32 v22, v8
	s_waitcnt lgkmcnt(0)
	v_and_b32_e32 v30, 0xffff, v22
	v_lshrrev_b32_e32 v31, 16, v22
	;;#ASMSTART
	v_cvt_f32_f16 v22, v30;
	;;#ASMEND
	s_waitcnt vmcnt(7)
	v_and_b32_e32 v32, 0xffff, v23
	v_lshrrev_b32_e32 v33, 16, v23
	;;#ASMSTART
	v_cvt_f32_f16 v23, v31;
	;;#ASMEND
	;;#ASMSTART
	v_cvt_f32_f16 v30, v32;
	;;#ASMEND
	;; [unrolled: 3-line block ×3, first 2 shown]
	ds_read_b32 v32, v8 offset:4
	s_waitcnt vmcnt(6)
	v_and_b32_e32 v34, 0xffff, v24
	v_lshrrev_b32_e32 v35, 16, v24
	s_waitcnt vmcnt(5)
	v_and_b32_e32 v37, 0xffff, v25
	v_lshrrev_b32_e32 v38, 16, v25
	;; [unrolled: 3-line block ×5, first 2 shown]
	s_waitcnt vmcnt(1)
	v_lshrrev_b32_e32 v48, 16, v29
	v_and_b32_e32 v29, 0xffff, v29
	s_waitcnt lgkmcnt(0)
	v_and_b32_e32 v33, 0xffff, v32
	v_lshrrev_b32_e32 v32, 16, v32
	;;#ASMSTART
	v_cvt_f32_f16 v24, v33;
	;;#ASMEND
	;;#ASMSTART
	v_cvt_f32_f16 v32, v32;
	;;#ASMEND
	;; [unrolled: 3-line block ×4, first 2 shown]
	ds_read_b32 v35, v8 offset:8
	v_mul_f32_e32 v24, v24, v33
	v_mul_f32_e32 v32, v32, v34
	v_fmac_f32_e32 v24, v22, v30
	v_fmac_f32_e32 v32, v23, v31
	s_waitcnt lgkmcnt(0)
	v_and_b32_e32 v36, 0xffff, v35
	v_lshrrev_b32_e32 v35, 16, v35
	;;#ASMSTART
	v_cvt_f32_f16 v25, v36;
	;;#ASMEND
	;;#ASMSTART
	v_cvt_f32_f16 v35, v35;
	;;#ASMEND
	;;#ASMSTART
	v_cvt_f32_f16 v36, v37;
	;;#ASMEND
	;;#ASMSTART
	v_cvt_f32_f16 v37, v38;
	;;#ASMEND
	ds_read_b32 v38, v8 offset:12
	v_fmac_f32_e32 v24, v25, v36
	v_fmac_f32_e32 v32, v35, v37
	v_cndmask_b32_e64 v25, v3, v13, s3
	v_cmp_gt_i32_e64 s3, 32, v14
	s_waitcnt lgkmcnt(0)
	v_and_b32_e32 v39, 0xffff, v38
	v_lshrrev_b32_e32 v38, 16, v38
	;;#ASMSTART
	v_cvt_f32_f16 v26, v39;
	;;#ASMEND
	;;#ASMSTART
	v_cvt_f32_f16 v38, v38;
	;;#ASMEND
	;; [unrolled: 3-line block ×4, first 2 shown]
	ds_read_b32 v41, v8 offset:16
	v_fmac_f32_e32 v24, v26, v39
	v_fmac_f32_e32 v32, v38, v40
	s_waitcnt vmcnt(0)
	v_lshrrev_b32_e32 v26, 16, v21
	s_waitcnt lgkmcnt(0)
	v_and_b32_e32 v42, 0xffff, v41
	v_lshrrev_b32_e32 v41, 16, v41
	;;#ASMSTART
	v_cvt_f32_f16 v27, v42;
	;;#ASMEND
	;;#ASMSTART
	v_cvt_f32_f16 v41, v41;
	;;#ASMEND
	;;#ASMSTART
	v_cvt_f32_f16 v42, v43;
	;;#ASMEND
	;;#ASMSTART
	v_cvt_f32_f16 v43, v44;
	;;#ASMEND
	ds_read_b32 v44, v8 offset:20
	v_fmac_f32_e32 v24, v27, v42
	v_fmac_f32_e32 v32, v41, v43
	s_waitcnt lgkmcnt(0)
	v_and_b32_e32 v45, 0xffff, v44
	v_lshrrev_b32_e32 v44, 16, v44
	;;#ASMSTART
	v_cvt_f32_f16 v28, v45;
	;;#ASMEND
	;;#ASMSTART
	v_cvt_f32_f16 v44, v44;
	;;#ASMEND
	;;#ASMSTART
	v_cvt_f32_f16 v45, v46;
	;;#ASMEND
	;;#ASMSTART
	v_cvt_f32_f16 v46, v47;
	;;#ASMEND
	ds_read_b32 v47, v8 offset:24
	v_fmac_f32_e32 v24, v28, v45
	v_fmac_f32_e32 v32, v44, v46
	;; [unrolled: 18-line block ×3, first 2 shown]
	s_waitcnt lgkmcnt(0)
	v_and_b32_e32 v27, 0xffff, v31
	v_lshrrev_b32_e32 v28, 16, v31
	v_and_b32_e32 v31, 0xffff, v21
	;;#ASMSTART
	v_cvt_f32_f16 v21, v27;
	;;#ASMEND
	;;#ASMSTART
	v_cvt_f32_f16 v22, v28;
	;;#ASMEND
	;; [unrolled: 3-line block ×4, first 2 shown]
	v_fmac_f32_e32 v24, v21, v23
	v_fmac_f32_e32 v32, v22, v26
	v_lshlrev_b32_e32 v21, 2, v25
	v_cndmask_b32_e64 v23, v3, v14, s3
	v_add_f32_e32 v22, v24, v32
	ds_bpermute_b32 v21, v21, v22
	s_waitcnt lgkmcnt(0)
	v_add_f32_e32 v21, v22, v21
	v_lshlrev_b32_e32 v22, 2, v23
	ds_bpermute_b32 v22, v22, v21
	s_and_saveexec_b32 s45, vcc_lo
	s_cbranch_execz .LBB65_11
; %bb.19:                               ;   in Loop: Header=BB65_13 Depth=1
	v_add_nc_u32_e32 v23, v15, v9
	s_waitcnt lgkmcnt(0)
	v_add_f32_e32 v21, v21, v22
	v_cvt_f32_i32_e32 v23, v23
	v_mul_f32_e32 v23, s41, v23
	v_cndmask_b32_e64 v22, 0, v23, s2
	v_max_f32_e32 v23, v4, v4
	v_fmac_f32_e32 v22, s37, v21
	v_add_nc_u32_e32 v21, v7, v9
	v_max_f32_e32 v23, v23, v22
	v_cmp_gt_i32_e64 s3, s27, v21
	v_cndmask_b32_e64 v21, 0, v22, s3
	v_cndmask_b32_e64 v4, v4, v23, s3
	ds_write_b32 v16, v21
	s_branch .LBB65_11
.LBB65_20:
	s_or_b32 exec_lo, exec_lo, s43
.LBB65_21:
	s_or_b32 exec_lo, exec_lo, s42
	v_xor_b32_e32 v1, 16, v3
	v_xor_b32_e32 v7, 8, v3
	v_max_f32_e32 v8, v4, v4
	v_and_b32_e32 v12, 31, v0
	v_cmp_gt_i32_e32 vcc_lo, 32, v1
	v_cndmask_b32_e32 v1, v3, v1, vcc_lo
	v_cmp_gt_i32_e32 vcc_lo, 32, v7
	v_lshlrev_b32_e32 v2, 2, v1
	ds_bpermute_b32 v1, v2, v4
	v_cndmask_b32_e32 v4, v3, v7, vcc_lo
	v_lshlrev_b32_e32 v4, 2, v4
	s_waitcnt lgkmcnt(0)
	v_max_f32_e32 v1, v1, v1
	v_max_f32_e32 v1, v8, v1
	v_xor_b32_e32 v8, 4, v3
	ds_bpermute_b32 v7, v4, v1
	v_cmp_gt_i32_e32 vcc_lo, 32, v8
	v_cndmask_b32_e32 v8, v3, v8, vcc_lo
	v_cmp_eq_u32_e32 vcc_lo, 0, v12
	v_lshlrev_b32_e32 v9, 2, v8
	s_waitcnt lgkmcnt(0)
	v_max_f32_e32 v7, v7, v7
	v_max_f32_e32 v1, v1, v7
	v_lshlrev_b32_e32 v7, 2, v10
	ds_bpermute_b32 v8, v9, v1
	s_and_saveexec_b32 s2, vcc_lo
	s_cbranch_execz .LBB65_23
; %bb.22:
	s_waitcnt lgkmcnt(0)
	v_max_f32_e32 v8, v8, v8
	v_max_f32_e32 v1, v1, v1
	;; [unrolled: 1-line block ×3, first 2 shown]
	ds_write_b32 v7, v1 offset:128
.LBB65_23:
	s_or_b32 exec_lo, exec_lo, s2
	v_cmp_gt_u32_e64 s2, 4, v12
	v_mov_b32_e32 v1, 0xff7fffff
	s_waitcnt lgkmcnt(0)
	v_lshlrev_b32_e32 v8, 2, v12
	s_barrier
	buffer_gl0_inv
	s_and_saveexec_b32 s3, s2
; %bb.24:
	ds_read_b32 v1, v8 offset:128
; %bb.25:
	s_or_b32 exec_lo, exec_lo, s3
	v_xor_b32_e32 v13, 2, v3
	v_xor_b32_e32 v15, 1, v3
	v_cmp_gt_i32_e64 s3, 32, v13
	v_cndmask_b32_e64 v13, v3, v13, s3
	v_cmp_gt_i32_e64 s3, 32, v15
	v_lshlrev_b32_e32 v13, 2, v13
	v_cndmask_b32_e64 v3, v3, v15, s3
	s_sub_i32 s3, s16, s12
	s_lshl_b32 s3, s3, 3
	s_waitcnt lgkmcnt(0)
	ds_bpermute_b32 v14, v13, v1
	v_max_f32_e32 v1, v1, v1
	s_add_i32 s3, s3, s39
	s_min_i32 s3, s3, s27
	s_sub_i32 s5, s3, s39
	v_cmp_gt_i32_e64 s3, s5, v0
	s_waitcnt lgkmcnt(0)
	v_max_f32_e32 v15, v14, v14
	v_lshlrev_b32_e32 v14, 2, v3
	v_max_f32_e32 v1, v1, v15
	v_mov_b32_e32 v15, 0
	ds_bpermute_b32 v3, v14, v1
	s_waitcnt lgkmcnt(0)
	v_max_f32_e32 v3, v3, v3
	v_max_f32_e32 v1, v1, v3
	v_lshl_add_u32 v3, v0, 2, 0xa0
	ds_bpermute_b32 v1, v15, v1
	s_and_saveexec_b32 s15, s3
	s_cbranch_execz .LBB65_29
; %bb.26:
	v_lshl_add_u32 v16, v0, 2, 0xa0
	v_mov_b32_e32 v15, 0
	v_mov_b32_e32 v17, v0
	s_mov_b32 s37, 0
	.p2align	6
.LBB65_27:                              ; =>This Inner Loop Header: Depth=1
	ds_read_b32 v18, v16
	v_add_nc_u32_e32 v17, 0x80, v17
	v_cmp_le_i32_e64 s4, s5, v17
	s_or_b32 s37, s4, s37
	s_waitcnt lgkmcnt(0)
	v_sub_f32_e32 v18, v18, v1
	v_mul_f32_e32 v18, 0x3fb8aa3b, v18
	v_exp_f32_e32 v18, v18
	ds_write_b32 v16, v18
	v_add_f32_e32 v15, v15, v18
	v_add_nc_u32_e32 v16, 0x200, v16
	s_andn2_b32 exec_lo, exec_lo, s37
	s_cbranch_execnz .LBB65_27
; %bb.28:
	s_or_b32 exec_lo, exec_lo, s37
.LBB65_29:
	s_or_b32 exec_lo, exec_lo, s15
	ds_bpermute_b32 v2, v2, v15
	s_waitcnt lgkmcnt(0)
	v_add_f32_e32 v2, v15, v2
	ds_bpermute_b32 v4, v4, v2
	s_waitcnt lgkmcnt(0)
	v_add_f32_e32 v2, v2, v4
	;; [unrolled: 3-line block ×5, first 2 shown]
	s_and_saveexec_b32 s4, vcc_lo
; %bb.30:
	ds_write_b32 v7, v2 offset:144
; %bb.31:
	s_or_b32 exec_lo, exec_lo, s4
	s_waitcnt lgkmcnt(0)
	s_barrier
	buffer_gl0_inv
	s_and_saveexec_b32 s4, s2
; %bb.32:
	ds_read_b32 v2, v8 offset:144
; %bb.33:
	s_or_b32 exec_lo, exec_lo, s4
	s_waitcnt lgkmcnt(0)
	ds_bpermute_b32 v4, v13, v2
	s_waitcnt lgkmcnt(0)
	v_add_f32_e32 v2, v2, v4
	ds_bpermute_b32 v4, v14, v2
	s_waitcnt lgkmcnt(0)
	v_add_f32_e32 v2, v2, v4
	v_mov_b32_e32 v4, 0
	ds_bpermute_b32 v2, v4, v2
	s_and_saveexec_b32 s2, s3
	s_cbranch_execz .LBB65_36
; %bb.34:
	s_waitcnt lgkmcnt(0)
	v_add_f32_e32 v4, 0x358637bd, v2
	s_mov_b32 s3, 0
	v_div_scale_f32 v7, null, v4, v4, 1.0
	v_div_scale_f32 v13, vcc_lo, 1.0, v4, 1.0
	v_rcp_f32_e32 v8, v7
	v_fma_f32 v9, -v7, v8, 1.0
	v_fmac_f32_e32 v8, v9, v8
	v_mul_f32_e32 v9, v13, v8
	v_fma_f32 v14, -v7, v9, v13
	v_fmac_f32_e32 v9, v14, v8
	v_fma_f32 v7, -v7, v9, v13
	v_div_fmas_f32 v7, v7, v8, v9
	v_div_fixup_f32 v4, v7, v4, 1.0
	v_mov_b32_e32 v7, v0
.LBB65_35:                              ; =>This Inner Loop Header: Depth=1
	ds_read_b32 v8, v3
	v_add_nc_u32_e32 v7, 0x80, v7
	v_cmp_le_i32_e32 vcc_lo, s5, v7
	s_or_b32 s3, vcc_lo, s3
	s_waitcnt lgkmcnt(0)
	v_mul_f32_e32 v8, v4, v8
	ds_write_b32 v3, v8
	v_add_nc_u32_e32 v3, 0x200, v3
	s_andn2_b32 exec_lo, exec_lo, s3
	s_cbranch_execnz .LBB65_35
.LBB65_36:
	s_or_b32 exec_lo, exec_lo, s2
	s_mul_i32 s2, s7, s26
	s_waitcnt lgkmcnt(0)
	s_mul_i32 s4, s2, s9
	s_mov_b32 s2, exec_lo
	s_barrier
	buffer_gl0_inv
	v_cmpx_eq_u32_e32 0, v0
	s_cbranch_execz .LBB65_38
; %bb.37:
	s_ashr_i32 s5, s4, 31
	s_mul_i32 s44, s7, s6
	s_lshl_b64 s[42:43], s[4:5], 2
	v_mov_b32_e32 v3, 0
	s_add_u32 s3, s22, s42
	s_addc_u32 s5, s23, s43
	s_ashr_i32 s45, s44, 31
	s_lshl_b64 s[22:23], s[44:45], 2
	s_add_u32 s3, s3, s22
	s_addc_u32 s5, s5, s23
	s_ashr_i32 s9, s8, 31
	s_lshl_b64 s[8:9], s[8:9], 2
	s_add_u32 s44, s3, s8
	s_addc_u32 s45, s5, s9
	s_add_u32 s3, s20, s42
	s_addc_u32 s5, s21, s43
	;; [unrolled: 2-line block ×4, first 2 shown]
	global_store_dword v3, v1, s[44:45]
	global_store_dword v3, v2, s[8:9]
.LBB65_38:
	s_or_b32 exec_lo, exec_lo, s2
	v_mov_b32_e32 v14, 0
	v_mov_b32_e32 v13, 0
	s_and_saveexec_b32 s3, s1
	s_cbranch_execz .LBB65_48
; %bb.39:
	s_ashr_i32 s15, s14, 31
	s_sub_i32 s5, s40, s17
	s_lshl_b64 s[8:9], s[14:15], 1
	v_lshlrev_b32_e32 v7, 4, v12
	s_add_u32 s1, s34, s8
	s_addc_u32 s2, s35, s9
	s_abs_i32 s6, s18
	s_add_i32 s36, s36, -1
	v_cvt_f32_u32_e32 v1, s6
	s_sub_i32 s8, 0, s6
	v_add_co_u32 v17, s1, s1, v7
	v_add_co_ci_u32_e64 v18, null, s2, 0, s1
	v_rcp_iflag_f32_e32 v1, v1
	v_mov_b32_e32 v15, 0
	v_lshl_add_u32 v16, v10, 5, 0xa0
	v_mov_b32_e32 v13, 0
	v_mov_b32_e32 v14, 0
	v_mul_f32_e32 v1, 0x4f7ffffe, v1
	v_cvt_u32_f32_e32 v3, v1
	v_lshlrev_b64 v[1:2], 2, v[5:6]
	v_mul_lo_u32 v4, s8, v3
	s_lshl_b64 s[8:9], s[30:31], 2
	s_add_u32 s1, s28, s8
	s_addc_u32 s2, s29, s9
	v_add_co_u32 v6, vcc_lo, s1, v1
	v_add_co_ci_u32_e64 v7, null, s2, v2, vcc_lo
	v_mul_hi_u32 v4, v3, v4
	s_mov_b32 s9, s13
	s_mov_b32 s8, 0
	v_add_nc_u32_e32 v19, v3, v4
	s_branch .LBB65_42
.LBB65_40:                              ;   in Loop: Header=BB65_42 Depth=1
	s_or_b32 exec_lo, exec_lo, s2
	v_lshlrev_b32_e32 v20, 16, v33
	v_lshlrev_b32_e32 v9, 16, v9
	;; [unrolled: 1-line block ×3, first 2 shown]
	v_and_or_b32 v1, 0xffff, v1, v20
	v_and_or_b32 v2, 0xffff, v2, v9
	;; [unrolled: 1-line block ×3, first 2 shown]
	;;#ASMSTART
	v_pk_mul_f16 v1, v28, v1;

	;;#ASMEND
	;;#ASMSTART
	v_pk_mul_f16 v2, v27, v2;

	;;#ASMEND
	;; [unrolled: 4-line block ×4, first 2 shown]
	;;#ASMSTART
	v_pk_add_f16 v1, v1, v2;

	;;#ASMEND
	;;#ASMSTART
	v_pk_add_f16 v1, v1, v3;

	;;#ASMEND
	;; [unrolled: 4-line block ×3, first 2 shown]
	v_and_b32_e32 v2, 0xffff, v1
	v_lshrrev_b32_e32 v3, 16, v1
	;;#ASMSTART
	v_cvt_f32_f16 v2, v2;
	;;#ASMEND
	v_add_f32_e32 v1, v29, v32
	;;#ASMSTART
	v_cvt_f32_f16 v3, v3;
	;;#ASMEND
	v_add_f32_e32 v2, v2, v3
	v_add_f32_e32 v14, v14, v1
	;; [unrolled: 1-line block ×3, first 2 shown]
.LBB65_41:                              ;   in Loop: Header=BB65_42 Depth=1
	s_or_b32 exec_lo, exec_lo, s13
	v_add_nc_u32_e32 v5, 4, v5
	v_add_co_u32 v6, s1, v6, 16
	v_add_co_ci_u32_e64 v7, null, 0, v7, s1
	v_cmp_le_i32_e32 vcc_lo, s16, v5
	v_add_nc_u32_e32 v11, 32, v11
	v_add_nc_u32_e32 v16, 0x80, v16
	s_or_b32 s8, vcc_lo, s8
	s_andn2_b32 exec_lo, exec_lo, s8
	s_cbranch_execz .LBB65_47
.LBB65_42:                              ; =>This Inner Loop Header: Depth=1
	v_sub_nc_u32_e32 v1, 0, v11
	v_max_i32_e32 v1, v11, v1
	v_mul_hi_u32 v2, v1, s33
	v_mul_lo_u32 v3, v2, s11
	v_sub_nc_u32_e32 v1, v1, v3
	v_add_nc_u32_e32 v3, 1, v2
	v_subrev_nc_u32_e32 v4, s11, v1
	v_cmp_le_u32_e32 vcc_lo, s11, v1
	v_cndmask_b32_e32 v2, v2, v3, vcc_lo
	v_cndmask_b32_e32 v1, v1, v4, vcc_lo
	v_ashrrev_i32_e32 v3, 31, v11
	v_add_nc_u32_e32 v4, 1, v2
	v_cmp_le_u32_e32 vcc_lo, s11, v1
	v_xor_b32_e32 v3, s19, v3
	v_cndmask_b32_e32 v1, v2, v4, vcc_lo
	v_xor_b32_e32 v1, v1, v3
	v_sub_nc_u32_e32 v1, v1, v3
	v_add_nc_u32_e32 v2, s38, v1
	v_cmp_lt_i32_e64 s1, s5, v1
	v_sub_nc_u32_e32 v3, 0, v2
	v_max_i32_e32 v3, v2, v3
	v_ashrrev_i32_e32 v2, 31, v2
	v_mul_hi_u32 v4, v3, v19
	v_mul_lo_u32 v4, v4, s6
	v_sub_nc_u32_e32 v3, v3, v4
	v_subrev_nc_u32_e32 v4, s6, v3
	v_cmp_le_u32_e32 vcc_lo, s6, v3
	v_cndmask_b32_e32 v3, v3, v4, vcc_lo
	v_subrev_nc_u32_e32 v4, s6, v3
	v_cmp_le_u32_e32 vcc_lo, s6, v3
	v_cndmask_b32_e32 v3, v3, v4, vcc_lo
	v_xor_b32_e32 v3, v3, v2
	v_sub_nc_u32_e32 v2, v3, v2
	v_cmp_eq_u32_e32 vcc_lo, 0, v2
	s_or_b32 s1, vcc_lo, s1
	s_and_saveexec_b32 s13, s1
	s_cbranch_execz .LBB65_41
; %bb.43:                               ;   in Loop: Header=BB65_42 Depth=1
	global_load_dword v8, v[6:7], off
	ds_read2_b64 v[1:4], v16 offset1:1
	ds_read2_b64 v[20:23], v16 offset0:2 offset1:3
	v_cmp_eq_u32_e64 s1, s36, v5
	v_add_nc_u32_e32 v26, 1, v11
	v_add_nc_u32_e32 v24, 2, v11
	;; [unrolled: 1-line block ×3, first 2 shown]
	s_waitcnt lgkmcnt(1)
	;;#ASMSTART
	v_cvt_f16_f32 v28, v1;

	;;#ASMEND
	;;#ASMSTART
	v_cvt_f16_f32 v27, v2;

	;;#ASMEND
	;;#ASMSTART
	v_cvt_f16_f32 v33, v3;

	;;#ASMEND
	;;#ASMSTART
	v_cvt_f16_f32 v31, v4;

	;;#ASMEND
	s_waitcnt lgkmcnt(0)
	;;#ASMSTART
	v_cvt_f16_f32 v34, v20;

	;;#ASMEND
	;;#ASMSTART
	v_cvt_f16_f32 v30, v21;

	;;#ASMEND
	;; [unrolled: 4-line block ×4, first 2 shown]
	v_add_nc_u32_e32 v23, 3, v11
	v_add_nc_u32_e32 v21, 4, v11
	;; [unrolled: 1-line block ×4, first 2 shown]
	s_waitcnt vmcnt(0)
	v_mad_i64_i32 v[8:9], null, v8, s9, 0
	v_lshlrev_b64 v[8:9], 1, v[8:9]
	v_add_co_u32 v8, vcc_lo, v17, v8
	v_add_co_ci_u32_e64 v9, null, v18, v9, vcc_lo
	global_load_dwordx4 v[1:4], v[8:9], off
	s_waitcnt vmcnt(0)
	v_lshrrev_b32_e32 v37, 16, v1
	v_lshrrev_b32_e32 v36, 16, v2
	;; [unrolled: 1-line block ×3, first 2 shown]
	s_and_saveexec_b32 s14, s1
	s_cbranch_execz .LBB65_45
; %bb.44:                               ;   in Loop: Header=BB65_42 Depth=1
	v_cmp_gt_i32_e32 vcc_lo, s27, v11
	v_and_b32_e32 v38, 0xffff0000, v4
	v_cmp_gt_i32_e64 s2, s27, v24
	v_cndmask_b32_e32 v1, 0, v1, vcc_lo
	v_cmp_gt_i32_e32 vcc_lo, s27, v26
	v_cndmask_b32_e64 v2, 0, v2, s2
	v_cmp_gt_i32_e64 s2, s27, v23
	v_cndmask_b32_e32 v37, 0, v37, vcc_lo
	v_cmp_gt_i32_e32 vcc_lo, s27, v25
	v_cndmask_b32_e64 v36, 0, v36, s2
	v_cndmask_b32_sdwa v4, v15, v4, vcc_lo dst_sel:DWORD dst_unused:UNUSED_PAD src0_sel:DWORD src1_sel:WORD_0
	v_cmp_gt_i32_e32 vcc_lo, s27, v22
	v_cndmask_b32_e32 v38, 0, v38, vcc_lo
	v_cmp_gt_i32_e32 vcc_lo, s27, v21
	v_or_b32_e32 v4, v4, v38
	v_cndmask_b32_e32 v3, 0, v3, vcc_lo
	v_cmp_gt_i32_e32 vcc_lo, s27, v20
	v_cndmask_b32_e32 v35, 0, v35, vcc_lo
.LBB65_45:                              ;   in Loop: Header=BB65_42 Depth=1
	s_or_b32 exec_lo, exec_lo, s14
	v_and_b32_e32 v28, 0xffff, v28
	v_and_b32_e32 v33, 0xffff, v33
	v_lshlrev_b32_e32 v37, 16, v37
	v_and_b32_e32 v34, 0xffff, v34
	v_and_b32_e32 v32, 0xffff, v32
	v_lshl_or_b32 v28, v27, 16, v28
	v_lshl_or_b32 v27, v31, 16, v33
	v_lshlrev_b32_e32 v31, 16, v36
	v_lshlrev_b32_e32 v33, 16, v35
	v_and_or_b32 v1, 0xffff, v1, v37
	;;#ASMSTART
	v_pk_mul_f16 v1, v28, v1;

	;;#ASMEND
	v_lshl_or_b32 v30, v30, 16, v34
	v_and_or_b32 v2, 0xffff, v2, v31
	v_and_or_b32 v3, 0xffff, v3, v33
	v_lshl_or_b32 v31, v29, 16, v32
	;;#ASMSTART
	v_pk_mul_f16 v2, v27, v2;

	;;#ASMEND
	;;#ASMSTART
	v_pk_mul_f16 v3, v30, v3;

	;;#ASMEND
	;; [unrolled: 4-line block ×3, first 2 shown]
	;;#ASMSTART
	v_pk_add_f16 v1, v1, v2;

	;;#ASMEND
	;;#ASMSTART
	v_pk_add_f16 v1, v1, v3;

	;;#ASMEND
	;; [unrolled: 4-line block ×3, first 2 shown]
	v_and_b32_e32 v2, 0xffff, v1
	v_lshrrev_b32_e32 v1, 16, v1
	;;#ASMSTART
	v_cvt_f32_f16 v29, v2;
	;;#ASMEND
	;;#ASMSTART
	v_cvt_f32_f16 v32, v1;
	;;#ASMEND
	global_load_dwordx4 v[1:4], v[8:9], off offset:512
	s_waitcnt vmcnt(0)
	v_lshrrev_b32_e32 v33, 16, v1
	v_lshrrev_b32_e32 v9, 16, v2
	;; [unrolled: 1-line block ×3, first 2 shown]
	s_and_saveexec_b32 s2, s1
	s_cbranch_execz .LBB65_40
; %bb.46:                               ;   in Loop: Header=BB65_42 Depth=1
	v_cmp_gt_i32_e32 vcc_lo, s27, v11
	v_cmp_gt_i32_e64 s1, s27, v24
	v_cndmask_b32_e32 v1, 0, v1, vcc_lo
	v_cmp_gt_i32_e32 vcc_lo, s27, v26
	v_cndmask_b32_e64 v2, 0, v2, s1
	v_cmp_gt_i32_e64 s1, s27, v23
	v_and_b32_e32 v23, 0xffff0000, v4
	v_cndmask_b32_e32 v33, 0, v33, vcc_lo
	v_cmp_gt_i32_e32 vcc_lo, s27, v25
	v_cndmask_b32_e64 v9, 0, v9, s1
	v_cndmask_b32_sdwa v4, v15, v4, vcc_lo dst_sel:DWORD dst_unused:UNUSED_PAD src0_sel:DWORD src1_sel:WORD_0
	v_cmp_gt_i32_e32 vcc_lo, s27, v22
	v_cndmask_b32_e32 v22, 0, v23, vcc_lo
	v_cmp_gt_i32_e32 vcc_lo, s27, v21
	v_or_b32_e32 v4, v4, v22
	v_cndmask_b32_e32 v3, 0, v3, vcc_lo
	v_cmp_gt_i32_e32 vcc_lo, s27, v20
	v_cndmask_b32_e32 v8, 0, v8, vcc_lo
	s_branch .LBB65_40
.LBB65_47:
	s_or_b32 exec_lo, exec_lo, s8
.LBB65_48:
	s_or_b32 exec_lo, exec_lo, s3
	v_lshl_add_u32 v2, v12, 2, 0xa0
	v_and_b32_e32 v3, 0x3c0, v0
	s_mov_b32 s1, exec_lo
	s_waitcnt_vscnt null, 0x0
	s_barrier
	v_lshl_add_u32 v1, v10, 8, v2
	buffer_gl0_inv
	v_cmpx_eq_u32_e32 64, v3
	s_cbranch_execz .LBB65_50
; %bb.49:
	v_add_nc_u32_e32 v3, 0xfffffe00, v1
	v_add_nc_u32_e32 v4, 0xfffffe80, v1
	ds_write_b32 v3, v14
	ds_write_b32 v4, v13
.LBB65_50:
	s_or_b32 exec_lo, exec_lo, s1
	s_mov_b32 s1, exec_lo
	s_waitcnt lgkmcnt(0)
	s_barrier
	buffer_gl0_inv
	v_cmpx_gt_u32_e32 64, v0
	s_cbranch_execz .LBB65_52
; %bb.51:
	ds_read2_b32 v[3:4], v1 offset1:32
	s_waitcnt lgkmcnt(0)
	v_add_f32_e32 v14, v14, v3
	v_add_f32_e32 v13, v13, v4
.LBB65_52:
	s_or_b32 exec_lo, exec_lo, s1
	v_and_b32_e32 v3, 0x3e0, v0
	s_mov_b32 s1, exec_lo
	s_barrier
	buffer_gl0_inv
	v_cmpx_eq_u32_e32 32, v3
; %bb.53:
	ds_write2_b32 v2, v14, v13 offset1:32
; %bb.54:
	s_or_b32 exec_lo, exec_lo, s1
	s_waitcnt lgkmcnt(0)
	s_barrier
	buffer_gl0_inv
	s_and_saveexec_b32 s1, s0
	s_cbranch_execz .LBB65_56
; %bb.55:
	ds_read2_b32 v[1:2], v1 offset1:32
	s_waitcnt lgkmcnt(0)
	v_add_f32_e32 v14, v14, v1
	v_add_f32_e32 v13, v13, v2
.LBB65_56:
	s_or_b32 exec_lo, exec_lo, s1
	s_barrier
	buffer_gl0_inv
	s_and_saveexec_b32 s1, s0
	s_cbranch_execz .LBB65_58
; %bb.57:
	s_lshl_b32 s0, s4, 6
	s_mul_i32 s2, s7, s10
	s_ashr_i32 s1, s0, 31
	v_lshlrev_b32_e32 v0, 1, v0
	s_lshl_b64 s[0:1], s[0:1], 1
	;;#ASMSTART
	v_cvt_f16_f32 v1, v14;

	;;#ASMEND
	s_add_u32 s4, s24, s0
	s_addc_u32 s5, s25, s1
	s_ashr_i32 s3, s2, 31
	s_lshl_b64 s[0:1], s[2:3], 1
	s_add_u32 s2, s4, s0
	s_addc_u32 s3, s5, s1
	s_ashr_i32 s13, s12, 31
	s_lshl_b64 s[0:1], s[12:13], 1
	s_add_u32 s0, s2, s0
	s_addc_u32 s1, s3, s1
	global_store_short v0, v1, s[0:1]
	;;#ASMSTART
	v_cvt_f16_f32 v1, v13;

	;;#ASMEND
	global_store_short v0, v1, s[0:1] offset:64
.LBB65_58:
	s_endpgm
	.section	.rodata,"a",@progbits
	.p2align	6, 0x0
	.amdhsa_kernel _ZN4vllm25paged_attention_v2_kernelIttLi64ELi8ELi128ELNS_18Fp8KVCacheDataTypeE0ELb1ELi512EEEvPfS2_PT_PKS3_PKT0_S9_ifPKiSB_iPKfiiiSD_SD_iiiii
		.amdhsa_group_segment_fixed_size 160
		.amdhsa_private_segment_fixed_size 0
		.amdhsa_kernarg_size 400
		.amdhsa_user_sgpr_count 6
		.amdhsa_user_sgpr_private_segment_buffer 1
		.amdhsa_user_sgpr_dispatch_ptr 0
		.amdhsa_user_sgpr_queue_ptr 0
		.amdhsa_user_sgpr_kernarg_segment_ptr 1
		.amdhsa_user_sgpr_dispatch_id 0
		.amdhsa_user_sgpr_flat_scratch_init 0
		.amdhsa_user_sgpr_private_segment_size 0
		.amdhsa_wavefront_size32 1
		.amdhsa_uses_dynamic_stack 0
		.amdhsa_system_sgpr_private_segment_wavefront_offset 0
		.amdhsa_system_sgpr_workgroup_id_x 1
		.amdhsa_system_sgpr_workgroup_id_y 1
		.amdhsa_system_sgpr_workgroup_id_z 1
		.amdhsa_system_sgpr_workgroup_info 0
		.amdhsa_system_vgpr_workitem_id 0
		.amdhsa_next_free_vgpr 49
		.amdhsa_next_free_sgpr 46
		.amdhsa_reserve_vcc 1
		.amdhsa_reserve_flat_scratch 0
		.amdhsa_float_round_mode_32 0
		.amdhsa_float_round_mode_16_64 0
		.amdhsa_float_denorm_mode_32 3
		.amdhsa_float_denorm_mode_16_64 3
		.amdhsa_dx10_clamp 1
		.amdhsa_ieee_mode 1
		.amdhsa_fp16_overflow 0
		.amdhsa_workgroup_processor_mode 1
		.amdhsa_memory_ordered 1
		.amdhsa_forward_progress 1
		.amdhsa_shared_vgpr_count 0
		.amdhsa_exception_fp_ieee_invalid_op 0
		.amdhsa_exception_fp_denorm_src 0
		.amdhsa_exception_fp_ieee_div_zero 0
		.amdhsa_exception_fp_ieee_overflow 0
		.amdhsa_exception_fp_ieee_underflow 0
		.amdhsa_exception_fp_ieee_inexact 0
		.amdhsa_exception_int_div_zero 0
	.end_amdhsa_kernel
	.section	.text._ZN4vllm25paged_attention_v2_kernelIttLi64ELi8ELi128ELNS_18Fp8KVCacheDataTypeE0ELb1ELi512EEEvPfS2_PT_PKS3_PKT0_S9_ifPKiSB_iPKfiiiSD_SD_iiiii,"axG",@progbits,_ZN4vllm25paged_attention_v2_kernelIttLi64ELi8ELi128ELNS_18Fp8KVCacheDataTypeE0ELb1ELi512EEEvPfS2_PT_PKS3_PKT0_S9_ifPKiSB_iPKfiiiSD_SD_iiiii,comdat
.Lfunc_end65:
	.size	_ZN4vllm25paged_attention_v2_kernelIttLi64ELi8ELi128ELNS_18Fp8KVCacheDataTypeE0ELb1ELi512EEEvPfS2_PT_PKS3_PKT0_S9_ifPKiSB_iPKfiiiSD_SD_iiiii, .Lfunc_end65-_ZN4vllm25paged_attention_v2_kernelIttLi64ELi8ELi128ELNS_18Fp8KVCacheDataTypeE0ELb1ELi512EEEvPfS2_PT_PKS3_PKT0_S9_ifPKiSB_iPKfiiiSD_SD_iiiii
                                        ; -- End function
	.set _ZN4vllm25paged_attention_v2_kernelIttLi64ELi8ELi128ELNS_18Fp8KVCacheDataTypeE0ELb1ELi512EEEvPfS2_PT_PKS3_PKT0_S9_ifPKiSB_iPKfiiiSD_SD_iiiii.num_vgpr, 49
	.set _ZN4vllm25paged_attention_v2_kernelIttLi64ELi8ELi128ELNS_18Fp8KVCacheDataTypeE0ELb1ELi512EEEvPfS2_PT_PKS3_PKT0_S9_ifPKiSB_iPKfiiiSD_SD_iiiii.num_agpr, 0
	.set _ZN4vllm25paged_attention_v2_kernelIttLi64ELi8ELi128ELNS_18Fp8KVCacheDataTypeE0ELb1ELi512EEEvPfS2_PT_PKS3_PKT0_S9_ifPKiSB_iPKfiiiSD_SD_iiiii.numbered_sgpr, 46
	.set _ZN4vllm25paged_attention_v2_kernelIttLi64ELi8ELi128ELNS_18Fp8KVCacheDataTypeE0ELb1ELi512EEEvPfS2_PT_PKS3_PKT0_S9_ifPKiSB_iPKfiiiSD_SD_iiiii.num_named_barrier, 0
	.set _ZN4vllm25paged_attention_v2_kernelIttLi64ELi8ELi128ELNS_18Fp8KVCacheDataTypeE0ELb1ELi512EEEvPfS2_PT_PKS3_PKT0_S9_ifPKiSB_iPKfiiiSD_SD_iiiii.private_seg_size, 0
	.set _ZN4vllm25paged_attention_v2_kernelIttLi64ELi8ELi128ELNS_18Fp8KVCacheDataTypeE0ELb1ELi512EEEvPfS2_PT_PKS3_PKT0_S9_ifPKiSB_iPKfiiiSD_SD_iiiii.uses_vcc, 1
	.set _ZN4vllm25paged_attention_v2_kernelIttLi64ELi8ELi128ELNS_18Fp8KVCacheDataTypeE0ELb1ELi512EEEvPfS2_PT_PKS3_PKT0_S9_ifPKiSB_iPKfiiiSD_SD_iiiii.uses_flat_scratch, 0
	.set _ZN4vllm25paged_attention_v2_kernelIttLi64ELi8ELi128ELNS_18Fp8KVCacheDataTypeE0ELb1ELi512EEEvPfS2_PT_PKS3_PKT0_S9_ifPKiSB_iPKfiiiSD_SD_iiiii.has_dyn_sized_stack, 0
	.set _ZN4vllm25paged_attention_v2_kernelIttLi64ELi8ELi128ELNS_18Fp8KVCacheDataTypeE0ELb1ELi512EEEvPfS2_PT_PKS3_PKT0_S9_ifPKiSB_iPKfiiiSD_SD_iiiii.has_recursion, 0
	.set _ZN4vllm25paged_attention_v2_kernelIttLi64ELi8ELi128ELNS_18Fp8KVCacheDataTypeE0ELb1ELi512EEEvPfS2_PT_PKS3_PKT0_S9_ifPKiSB_iPKfiiiSD_SD_iiiii.has_indirect_call, 0
	.section	.AMDGPU.csdata,"",@progbits
; Kernel info:
; codeLenInByte = 5500
; TotalNumSgprs: 48
; NumVgprs: 49
; ScratchSize: 0
; MemoryBound: 0
; FloatMode: 240
; IeeeMode: 1
; LDSByteSize: 160 bytes/workgroup (compile time only)
; SGPRBlocks: 0
; VGPRBlocks: 6
; NumSGPRsForWavesPerEU: 48
; NumVGPRsForWavesPerEU: 49
; Occupancy: 16
; WaveLimiterHint : 1
; COMPUTE_PGM_RSRC2:SCRATCH_EN: 0
; COMPUTE_PGM_RSRC2:USER_SGPR: 6
; COMPUTE_PGM_RSRC2:TRAP_HANDLER: 0
; COMPUTE_PGM_RSRC2:TGID_X_EN: 1
; COMPUTE_PGM_RSRC2:TGID_Y_EN: 1
; COMPUTE_PGM_RSRC2:TGID_Z_EN: 1
; COMPUTE_PGM_RSRC2:TIDIG_COMP_CNT: 0
	.section	.text._ZN4vllm32paged_attention_v2_reduce_kernelItLi64ELi128ELi512EEEvPT_PKfS4_PKS1_PKii,"axG",@progbits,_ZN4vllm32paged_attention_v2_reduce_kernelItLi64ELi128ELi512EEEvPT_PKfS4_PKS1_PKii,comdat
	.protected	_ZN4vllm32paged_attention_v2_reduce_kernelItLi64ELi128ELi512EEEvPT_PKfS4_PKS1_PKii ; -- Begin function _ZN4vllm32paged_attention_v2_reduce_kernelItLi64ELi128ELi512EEEvPT_PKfS4_PKS1_PKii
	.globl	_ZN4vllm32paged_attention_v2_reduce_kernelItLi64ELi128ELi512EEEvPT_PKfS4_PKS1_PKii
	.p2align	8
	.type	_ZN4vllm32paged_attention_v2_reduce_kernelItLi64ELi128ELi512EEEvPT_PKfS4_PKS1_PKii,@function
_ZN4vllm32paged_attention_v2_reduce_kernelItLi64ELi128ELi512EEEvPT_PKfS4_PKS1_PKii: ; @_ZN4vllm32paged_attention_v2_reduce_kernelItLi64ELi128ELi512EEEvPT_PKfS4_PKS1_PKii
; %bb.0:
	s_load_dwordx4 s[8:11], s[4:5], 0x18
	s_add_u32 s14, s4, 48
	s_mov_b32 s12, s7
	s_addc_u32 s15, s5, 0
	s_ashr_i32 s13, s7, 31
	s_lshl_b64 s[0:1], s[12:13], 2
	s_waitcnt lgkmcnt(0)
	s_add_u32 s0, s10, s0
	s_addc_u32 s1, s11, s1
	s_load_dword s22, s[0:1], 0x0
	s_clause 0x2
	s_load_dwordx2 s[10:11], s[4:5], 0x0
	s_load_dword s7, s[4:5], 0x28
	s_load_dword s13, s[4:5], 0x30
	s_waitcnt lgkmcnt(0)
	s_add_i32 s0, s22, -1
	s_cmpk_gt_u32 s0, 0x1ff
	s_mov_b32 s0, -1
	s_cbranch_scc0 .LBB66_25
; %bb.1:
	s_load_dwordx2 s[2:3], s[4:5], 0x8
	s_add_i32 s0, s22, 0x1ff
	s_mul_i32 s20, s13, s12
	s_ashr_i32 s1, s0, 31
	v_mov_b32_e32 v4, 0xff7fffff
	s_lshr_b32 s1, s1, 23
	v_lshlrev_b32_e32 v3, 2, v0
	s_add_i32 s0, s0, s1
	s_mul_i32 s16, s20, s7
	s_ashr_i32 s21, s0, 9
	s_mul_i32 s18, s7, s6
	v_cmp_gt_i32_e32 vcc_lo, s21, v0
	s_ashr_i32 s17, s16, 31
	s_ashr_i32 s19, s18, 31
	s_and_saveexec_b32 s1, vcc_lo
	s_cbranch_execz .LBB66_5
; %bb.2:
	s_load_dword s0, s[14:15], 0xc
	s_load_dwordx2 s[24:25], s[4:5], 0x10
	s_lshl_b64 s[26:27], s[16:17], 2
	s_lshl_b64 s[28:29], s[18:19], 2
	v_add_nc_u32_e32 v5, 32, v3
	v_mov_b32_e32 v4, 0xff7fffff
	v_mov_b32_e32 v6, v0
	s_waitcnt lgkmcnt(0)
	s_and_b32 s4, s0, 0xffff
	s_add_u32 s0, s26, s28
	s_addc_u32 s5, s27, s29
	s_add_u32 s0, s24, s0
	s_addc_u32 s5, s25, s5
	v_add_co_u32 v1, s0, s0, v3
	v_add_co_ci_u32_e64 v2, null, s5, 0, s0
	s_mov_b32 s5, 0
	s_lshl_b32 s23, s4, 2
	.p2align	6
.LBB66_3:                               ; =>This Inner Loop Header: Depth=1
	global_load_dword v7, v[1:2], off
	v_add_nc_u32_e32 v6, s4, v6
	v_max_f32_e32 v4, v4, v4
	v_add_co_u32 v1, s0, v1, s23
	v_add_co_ci_u32_e64 v2, null, 0, v2, s0
	v_cmp_le_i32_e64 s0, s21, v6
	s_or_b32 s5, s0, s5
	s_waitcnt vmcnt(0)
	v_max_f32_e32 v8, v7, v7
	ds_write_b32 v5, v7
	v_add_nc_u32_e32 v5, s23, v5
	v_max_f32_e32 v4, v4, v8
	s_andn2_b32 exec_lo, exec_lo, s5
	s_cbranch_execnz .LBB66_3
; %bb.4:
	s_or_b32 exec_lo, exec_lo, s5
.LBB66_5:
	s_or_b32 exec_lo, exec_lo, s1
	v_mbcnt_lo_u32_b32 v1, -1, 0
	s_waitcnt lgkmcnt(0)
	s_barrier
	buffer_gl0_inv
	v_xor_b32_e32 v2, 16, v1
	v_xor_b32_e32 v5, 8, v1
	v_cmp_gt_i32_e64 s0, 32, v2
	v_cndmask_b32_e64 v2, v1, v2, s0
	v_cmp_gt_i32_e64 s0, 32, v5
	v_lshlrev_b32_e32 v6, 2, v2
	v_cndmask_b32_e64 v5, v1, v5, s0
	ds_bpermute_b32 v2, v6, v4
	v_max_f32_e32 v4, v4, v4
	v_lshlrev_b32_e32 v7, 2, v5
	v_xor_b32_e32 v5, 4, v1
	v_cmp_gt_i32_e64 s0, 32, v5
	v_cndmask_b32_e64 v5, v1, v5, s0
	v_lshlrev_b32_e32 v8, 2, v5
	v_xor_b32_e32 v5, 2, v1
	s_waitcnt lgkmcnt(0)
	v_max_f32_e32 v2, v2, v2
	v_cmp_gt_i32_e64 s0, 32, v5
	v_max_f32_e32 v2, v4, v2
	v_cndmask_b32_e64 v5, v1, v5, s0
	ds_bpermute_b32 v4, v7, v2
	s_waitcnt lgkmcnt(0)
	v_max_f32_e32 v4, v4, v4
	v_max_f32_e32 v2, v2, v4
	ds_bpermute_b32 v4, v8, v2
	s_waitcnt lgkmcnt(0)
	v_max_f32_e32 v9, v4, v4
	v_lshlrev_b32_e32 v4, 2, v5
	v_max_f32_e32 v2, v2, v9
	v_xor_b32_e32 v9, 1, v1
	ds_bpermute_b32 v5, v4, v2
	v_cmp_gt_i32_e64 s0, 32, v9
	v_cndmask_b32_e64 v1, v1, v9, s0
	v_lshrrev_b32_e32 v9, 5, v0
	v_lshlrev_b32_e32 v9, 2, v9
	s_waitcnt lgkmcnt(0)
	v_max_f32_e32 v5, v5, v5
	v_max_f32_e32 v2, v2, v5
	v_lshlrev_b32_e32 v5, 2, v1
	v_and_b32_e32 v1, 31, v0
	ds_bpermute_b32 v10, v5, v2
	v_cmp_eq_u32_e64 s0, 0, v1
	s_and_saveexec_b32 s1, s0
	s_cbranch_execz .LBB66_7
; %bb.6:
	s_waitcnt lgkmcnt(0)
	v_max_f32_e32 v10, v10, v10
	v_max_f32_e32 v2, v2, v2
	;; [unrolled: 1-line block ×3, first 2 shown]
	ds_write_b32 v9, v2
.LBB66_7:
	s_or_b32 exec_lo, exec_lo, s1
	v_cmp_gt_u32_e64 s1, 4, v1
	v_mov_b32_e32 v2, 0xff7fffff
	s_waitcnt lgkmcnt(0)
	v_lshlrev_b32_e32 v10, 2, v1
	s_barrier
	buffer_gl0_inv
	s_and_saveexec_b32 s4, s1
; %bb.8:
	ds_read_b32 v2, v10
; %bb.9:
	s_or_b32 exec_lo, exec_lo, s4
	s_waitcnt lgkmcnt(0)
	ds_bpermute_b32 v1, v4, v2
	v_max_f32_e32 v2, v2, v2
	v_mov_b32_e32 v11, 0
	s_lshl_b32 s4, s21, 2
	s_waitcnt lgkmcnt(0)
	v_max_f32_e32 v1, v1, v1
	v_max_f32_e32 v1, v2, v1
	ds_bpermute_b32 v2, v5, v1
	s_waitcnt lgkmcnt(0)
	v_max_f32_e32 v2, v2, v2
	v_max_f32_e32 v1, v1, v2
	ds_bpermute_b32 v12, v11, v1
	s_and_saveexec_b32 s5, vcc_lo
	s_cbranch_execz .LBB66_13
; %bb.10:
	s_load_dword s23, s[14:15], 0xc
	s_lshl_b64 s[24:25], s[16:17], 2
	s_lshl_b64 s[26:27], s[18:19], 2
	v_mov_b32_e32 v11, 0
	v_add_nc_u32_e32 v13, 32, v3
	s_waitcnt lgkmcnt(0)
	s_and_b32 s17, s23, 0xffff
	s_add_u32 s19, s24, s26
	s_addc_u32 s23, s25, s27
	s_add_u32 s2, s2, s19
	s_addc_u32 s3, s3, s23
	v_add_co_u32 v1, s2, s2, v3
	v_add_co_ci_u32_e64 v2, null, s3, 0, s2
	v_mov_b32_e32 v3, v0
	s_mov_b32 s3, 0
	s_lshl_b32 s19, s17, 2
	s_inst_prefetch 0x1
	.p2align	6
.LBB66_11:                              ; =>This Inner Loop Header: Depth=1
	global_load_dword v14, v[1:2], off
	ds_read_b32 v15, v13
	v_add_nc_u32_e32 v3, s17, v3
	s_waitcnt lgkmcnt(0)
	v_sub_f32_e32 v15, v15, v12
	v_mul_f32_e32 v16, 0x3fb8aa3b, v15
	v_cmp_ngt_f32_e32 vcc_lo, 0xc2ce8ed0, v15
	v_cmp_nlt_f32_e64 s2, 0x42b17218, v15
	v_fma_f32 v17, 0x3fb8aa3b, v15, -v16
	v_rndne_f32_e32 v18, v16
	v_fmac_f32_e32 v17, 0x32a5705f, v15
	v_sub_f32_e32 v16, v16, v18
	v_add_f32_e32 v16, v16, v17
	v_cvt_i32_f32_e32 v17, v18
	v_exp_f32_e32 v16, v16
	v_ldexp_f32 v16, v16, v17
	v_add_nc_u32_e32 v17, s4, v13
	v_add_nc_u32_e32 v13, s19, v13
	v_cndmask_b32_e32 v16, 0, v16, vcc_lo
	v_add_co_u32 v1, vcc_lo, v1, s19
	v_add_co_ci_u32_e64 v2, null, 0, v2, vcc_lo
	v_cndmask_b32_e64 v15, 0x7f800000, v16, s2
	v_cmp_le_i32_e32 vcc_lo, s21, v3
	s_or_b32 s3, vcc_lo, s3
	s_waitcnt vmcnt(0)
	v_mul_f32_e32 v16, v14, v15
	v_fmac_f32_e32 v11, v14, v15
	ds_write_b32 v17, v16
	s_andn2_b32 exec_lo, exec_lo, s3
	s_cbranch_execnz .LBB66_11
; %bb.12:
	s_inst_prefetch 0x2
	s_or_b32 exec_lo, exec_lo, s3
.LBB66_13:
	s_or_b32 exec_lo, exec_lo, s5
	ds_bpermute_b32 v1, v6, v11
	s_waitcnt lgkmcnt(0)
	s_barrier
	buffer_gl0_inv
	v_add_f32_e32 v1, v11, v1
	ds_bpermute_b32 v2, v7, v1
	s_waitcnt lgkmcnt(0)
	v_add_f32_e32 v1, v1, v2
	ds_bpermute_b32 v2, v8, v1
	s_waitcnt lgkmcnt(0)
	;; [unrolled: 3-line block ×4, first 2 shown]
	v_add_f32_e32 v1, v1, v2
	s_and_saveexec_b32 s2, s0
; %bb.14:
	ds_write_b32 v9, v1 offset:16
; %bb.15:
	s_or_b32 exec_lo, exec_lo, s2
	s_waitcnt lgkmcnt(0)
	s_barrier
	buffer_gl0_inv
	s_and_saveexec_b32 s0, s1
; %bb.16:
	ds_read_b32 v1, v10 offset:16
; %bb.17:
	s_or_b32 exec_lo, exec_lo, s0
	s_waitcnt lgkmcnt(0)
	ds_bpermute_b32 v2, v4, v1
	s_mov_b32 s0, exec_lo
	s_waitcnt lgkmcnt(0)
	v_add_f32_e32 v1, v1, v2
	ds_bpermute_b32 v2, v5, v1
	s_waitcnt lgkmcnt(0)
	v_add_f32_e32 v1, v1, v2
	v_mov_b32_e32 v2, 0
	ds_bpermute_b32 v2, v2, v1
	v_cmpx_gt_u32_e32 64, v0
	s_cbranch_execz .LBB66_24
; %bb.18:
	s_cmp_gt_i32 s22, 0
	s_mov_b32 s1, 0
	s_cbranch_scc1 .LBB66_20
; %bb.19:
	v_mov_b32_e32 v1, 0
	v_mov_b32_e32 v4, 0
	s_andn2_b32 vcc_lo, exec_lo, s1
	s_cbranch_vccz .LBB66_21
	s_branch .LBB66_23
.LBB66_20:
	v_mov_b32_e32 v4, 0
.LBB66_21:
	s_waitcnt lgkmcnt(0)
	v_add_f32_e32 v4, 0x358637bd, v2
	s_lshl_b32 s16, s16, 6
	s_lshl_b32 s18, s18, 6
	s_ashr_i32 s17, s16, 31
	s_ashr_i32 s19, s18, 31
	v_div_scale_f32 v2, null, v4, v4, 1.0
	v_div_scale_f32 v5, vcc_lo, 1.0, v4, 1.0
	s_add_i32 s2, s4, 32
	v_rcp_f32_e32 v3, v2
	s_lshl_b64 s[4:5], s[16:17], 1
	s_lshl_b64 s[16:17], s[18:19], 1
	s_max_i32 s1, s21, 1
	s_add_u32 s3, s4, s16
	s_addc_u32 s4, s5, s17
	s_add_u32 s3, s8, s3
	s_addc_u32 s4, s9, s4
	v_fma_f32 v1, -v2, v3, 1.0
	v_fmac_f32_e32 v3, v1, v3
	v_mov_b32_e32 v1, 0
	v_mul_f32_e32 v6, v5, v3
	v_fma_f32 v7, -v2, v6, v5
	v_fmac_f32_e32 v6, v7, v3
	v_lshlrev_b32_e32 v7, 1, v0
	v_fma_f32 v2, -v2, v6, v5
	v_div_fmas_f32 v5, v2, v3, v6
	v_add_co_u32 v2, s3, s3, v7
	v_add_co_ci_u32_e64 v3, null, s4, 0, s3
	v_div_fixup_f32 v5, v5, v4, 1.0
	v_mov_b32_e32 v4, v1
	.p2align	6
.LBB66_22:                              ; =>This Inner Loop Header: Depth=1
	v_mov_b32_e32 v6, s2
	global_load_ushort v7, v[2:3], off
	s_waitcnt vmcnt(0)
	;;#ASMSTART
	v_cvt_f32_f16 v7, v7;
	;;#ASMEND
	v_add_co_u32 v2, vcc_lo, 0x80, v2
	ds_read_b32 v6, v6
	v_add_co_ci_u32_e64 v3, null, 0, v3, vcc_lo
	s_add_i32 s1, s1, -1
	s_add_i32 s2, s2, 4
	s_cmp_eq_u32 s1, 0
	s_waitcnt lgkmcnt(0)
	v_mul_f32_e32 v6, v7, v6
	v_fmac_f32_e32 v4, v5, v6
	s_cbranch_scc0 .LBB66_22
.LBB66_23:
	s_lshl_b32 s2, s20, 6
	s_waitcnt lgkmcnt(0)
	v_lshlrev_b64 v[1:2], 1, v[0:1]
	s_ashr_i32 s3, s2, 31
	;;#ASMSTART
	v_cvt_f16_f32 v3, v4;

	;;#ASMEND
	s_lshl_b64 s[2:3], s[2:3], 1
	s_add_u32 s1, s10, s2
	s_addc_u32 s4, s11, s3
	s_lshl_b32 s2, s6, 6
	s_ashr_i32 s3, s2, 31
	s_lshl_b64 s[2:3], s[2:3], 1
	s_add_u32 s1, s1, s2
	s_addc_u32 s2, s4, s3
	v_add_co_u32 v1, vcc_lo, s1, v1
	v_add_co_ci_u32_e64 v2, null, s2, v2, vcc_lo
	global_store_short v[1:2], v3, off
.LBB66_24:
	s_or_b32 exec_lo, exec_lo, s0
	s_mov_b32 s0, 0
.LBB66_25:
	s_and_b32 vcc_lo, exec_lo, s0
	s_cbranch_vccz .LBB66_34
; %bb.26:
	s_mov_b32 s0, exec_lo
	v_cmpx_gt_u32_e32 64, v0
	s_cbranch_execz .LBB66_34
; %bb.27:
	s_load_dword s0, s[14:15], 0xc
	s_mul_i32 s13, s13, s12
	s_mul_i32 s1, s7, s6
	;; [unrolled: 1-line block ×3, first 2 shown]
	s_lshl_b32 s2, s6, 6
	s_lshl_b32 s12, s13, 6
	;; [unrolled: 1-line block ×4, first 2 shown]
	v_cmp_gt_u32_e32 vcc_lo, 61, v0
	s_ashr_i32 s3, s2, 31
	s_ashr_i32 s13, s12, 31
	;; [unrolled: 1-line block ×4, first 2 shown]
	s_waitcnt lgkmcnt(0)
	s_and_b32 s1, s0, 0xffff
	s_cmp_eq_u32 s1, 1
	s_cselect_b32 s0, -1, 0
	s_and_b32 s15, vcc_lo, s0
	s_mov_b32 s0, -1
	s_and_saveexec_b32 s14, s15
	s_cbranch_execz .LBB66_31
; %bb.28:
	s_lshl_b64 s[16:17], s[6:7], 1
	s_lshl_b64 s[18:19], s[4:5], 1
	v_lshlrev_b32_e32 v1, 1, v0
	s_add_u32 s0, s16, s18
	s_addc_u32 s15, s17, s19
	s_add_u32 s0, s8, s0
	s_addc_u32 s15, s9, s15
	s_lshl_b64 s[16:17], s[12:13], 1
	s_lshl_b64 s[18:19], s[2:3], 1
	v_add_co_u32 v2, s0, s0, v1
	v_add_co_ci_u32_e64 v3, null, s15, 0, s0
	s_add_u32 s0, s16, s18
	v_sub_nc_u32_e32 v5, 64, v0
	s_addc_u32 s15, s17, s19
	s_add_u32 s0, s10, s0
	s_addc_u32 s15, s11, s15
	v_add_co_u32 v4, s0, s0, v1
	v_and_b32_e32 v6, 0x7c, v5
	v_add_co_ci_u32_e64 v7, null, s15, 0, s0
	v_add_co_u32 v1, vcc_lo, v2, 4
	v_add_co_ci_u32_e64 v2, null, 0, v3, vcc_lo
	v_add_co_u32 v3, vcc_lo, v4, 4
	v_add_co_ci_u32_e64 v4, null, 0, v7, vcc_lo
	v_mov_b32_e32 v7, v6
	s_mov_b32 s15, 0
	.p2align	6
.LBB66_29:                              ; =>This Inner Loop Header: Depth=1
	global_load_dwordx2 v[8:9], v[1:2], off offset:-4
	v_add_nc_u32_e32 v7, -4, v7
	v_add_co_u32 v1, vcc_lo, v1, 8
	v_add_co_ci_u32_e64 v2, null, 0, v2, vcc_lo
	v_cmp_eq_u32_e32 vcc_lo, 0, v7
	s_or_b32 s15, vcc_lo, s15
	s_waitcnt vmcnt(0)
	global_store_dwordx2 v[3:4], v[8:9], off offset:-4
	v_add_co_u32 v3, s0, v3, 8
	v_add_co_ci_u32_e64 v4, null, 0, v4, s0
	s_andn2_b32 exec_lo, exec_lo, s15
	s_cbranch_execnz .LBB66_29
; %bb.30:
	s_or_b32 exec_lo, exec_lo, s15
	v_cmp_ne_u32_e32 vcc_lo, v5, v6
	v_add_nc_u32_e32 v0, v0, v6
	s_orn2_b32 s0, vcc_lo, exec_lo
.LBB66_31:
	s_or_b32 exec_lo, exec_lo, s14
	s_and_b32 exec_lo, exec_lo, s0
	s_cbranch_execz .LBB66_34
; %bb.32:
	s_lshl_b64 s[12:13], s[12:13], 1
	v_lshlrev_b32_e32 v1, 1, v0
	s_add_u32 s0, s10, s12
	s_addc_u32 s10, s11, s13
	s_lshl_b64 s[2:3], s[2:3], 1
	v_mov_b32_e32 v2, 0
	s_add_u32 s2, s0, s2
	s_addc_u32 s3, s10, s3
	s_lshl_b64 s[6:7], s[6:7], 1
	s_add_u32 s0, s8, s6
	s_addc_u32 s6, s9, s7
	s_lshl_b64 s[4:5], s[4:5], 1
	s_add_u32 s4, s0, s4
	s_addc_u32 s5, s6, s5
	s_mov_b32 s6, 0
	s_lshl_b32 s7, s1, 1
	.p2align	6
.LBB66_33:                              ; =>This Inner Loop Header: Depth=1
	v_add_co_u32 v3, vcc_lo, s4, v1
	v_add_co_ci_u32_e64 v4, null, s5, v2, vcc_lo
	v_add_nc_u32_e32 v0, s1, v0
	global_load_ushort v5, v[3:4], off
	v_add_co_u32 v3, vcc_lo, s2, v1
	v_add_co_ci_u32_e64 v4, null, s3, v2, vcc_lo
	v_cmp_lt_u32_e32 vcc_lo, 63, v0
	v_add_co_u32 v1, s0, v1, s7
	v_add_co_ci_u32_e64 v2, null, 0, v2, s0
	s_or_b32 s6, vcc_lo, s6
	s_waitcnt vmcnt(0)
	global_store_short v[3:4], v5, off
	s_andn2_b32 exec_lo, exec_lo, s6
	s_cbranch_execnz .LBB66_33
.LBB66_34:
	s_endpgm
	.section	.rodata,"a",@progbits
	.p2align	6, 0x0
	.amdhsa_kernel _ZN4vllm32paged_attention_v2_reduce_kernelItLi64ELi128ELi512EEEvPT_PKfS4_PKS1_PKii
		.amdhsa_group_segment_fixed_size 32
		.amdhsa_private_segment_fixed_size 0
		.amdhsa_kernarg_size 304
		.amdhsa_user_sgpr_count 6
		.amdhsa_user_sgpr_private_segment_buffer 1
		.amdhsa_user_sgpr_dispatch_ptr 0
		.amdhsa_user_sgpr_queue_ptr 0
		.amdhsa_user_sgpr_kernarg_segment_ptr 1
		.amdhsa_user_sgpr_dispatch_id 0
		.amdhsa_user_sgpr_flat_scratch_init 0
		.amdhsa_user_sgpr_private_segment_size 0
		.amdhsa_wavefront_size32 1
		.amdhsa_uses_dynamic_stack 0
		.amdhsa_system_sgpr_private_segment_wavefront_offset 0
		.amdhsa_system_sgpr_workgroup_id_x 1
		.amdhsa_system_sgpr_workgroup_id_y 1
		.amdhsa_system_sgpr_workgroup_id_z 0
		.amdhsa_system_sgpr_workgroup_info 0
		.amdhsa_system_vgpr_workitem_id 0
		.amdhsa_next_free_vgpr 19
		.amdhsa_next_free_sgpr 30
		.amdhsa_reserve_vcc 1
		.amdhsa_reserve_flat_scratch 0
		.amdhsa_float_round_mode_32 0
		.amdhsa_float_round_mode_16_64 0
		.amdhsa_float_denorm_mode_32 3
		.amdhsa_float_denorm_mode_16_64 3
		.amdhsa_dx10_clamp 1
		.amdhsa_ieee_mode 1
		.amdhsa_fp16_overflow 0
		.amdhsa_workgroup_processor_mode 1
		.amdhsa_memory_ordered 1
		.amdhsa_forward_progress 1
		.amdhsa_shared_vgpr_count 0
		.amdhsa_exception_fp_ieee_invalid_op 0
		.amdhsa_exception_fp_denorm_src 0
		.amdhsa_exception_fp_ieee_div_zero 0
		.amdhsa_exception_fp_ieee_overflow 0
		.amdhsa_exception_fp_ieee_underflow 0
		.amdhsa_exception_fp_ieee_inexact 0
		.amdhsa_exception_int_div_zero 0
	.end_amdhsa_kernel
	.section	.text._ZN4vllm32paged_attention_v2_reduce_kernelItLi64ELi128ELi512EEEvPT_PKfS4_PKS1_PKii,"axG",@progbits,_ZN4vllm32paged_attention_v2_reduce_kernelItLi64ELi128ELi512EEEvPT_PKfS4_PKS1_PKii,comdat
.Lfunc_end66:
	.size	_ZN4vllm32paged_attention_v2_reduce_kernelItLi64ELi128ELi512EEEvPT_PKfS4_PKS1_PKii, .Lfunc_end66-_ZN4vllm32paged_attention_v2_reduce_kernelItLi64ELi128ELi512EEEvPT_PKfS4_PKS1_PKii
                                        ; -- End function
	.set _ZN4vllm32paged_attention_v2_reduce_kernelItLi64ELi128ELi512EEEvPT_PKfS4_PKS1_PKii.num_vgpr, 19
	.set _ZN4vllm32paged_attention_v2_reduce_kernelItLi64ELi128ELi512EEEvPT_PKfS4_PKS1_PKii.num_agpr, 0
	.set _ZN4vllm32paged_attention_v2_reduce_kernelItLi64ELi128ELi512EEEvPT_PKfS4_PKS1_PKii.numbered_sgpr, 30
	.set _ZN4vllm32paged_attention_v2_reduce_kernelItLi64ELi128ELi512EEEvPT_PKfS4_PKS1_PKii.num_named_barrier, 0
	.set _ZN4vllm32paged_attention_v2_reduce_kernelItLi64ELi128ELi512EEEvPT_PKfS4_PKS1_PKii.private_seg_size, 0
	.set _ZN4vllm32paged_attention_v2_reduce_kernelItLi64ELi128ELi512EEEvPT_PKfS4_PKS1_PKii.uses_vcc, 1
	.set _ZN4vllm32paged_attention_v2_reduce_kernelItLi64ELi128ELi512EEEvPT_PKfS4_PKS1_PKii.uses_flat_scratch, 0
	.set _ZN4vllm32paged_attention_v2_reduce_kernelItLi64ELi128ELi512EEEvPT_PKfS4_PKS1_PKii.has_dyn_sized_stack, 0
	.set _ZN4vllm32paged_attention_v2_reduce_kernelItLi64ELi128ELi512EEEvPT_PKfS4_PKS1_PKii.has_recursion, 0
	.set _ZN4vllm32paged_attention_v2_reduce_kernelItLi64ELi128ELi512EEEvPT_PKfS4_PKS1_PKii.has_indirect_call, 0
	.section	.AMDGPU.csdata,"",@progbits
; Kernel info:
; codeLenInByte = 2332
; TotalNumSgprs: 32
; NumVgprs: 19
; ScratchSize: 0
; MemoryBound: 0
; FloatMode: 240
; IeeeMode: 1
; LDSByteSize: 32 bytes/workgroup (compile time only)
; SGPRBlocks: 0
; VGPRBlocks: 2
; NumSGPRsForWavesPerEU: 32
; NumVGPRsForWavesPerEU: 19
; Occupancy: 16
; WaveLimiterHint : 0
; COMPUTE_PGM_RSRC2:SCRATCH_EN: 0
; COMPUTE_PGM_RSRC2:USER_SGPR: 6
; COMPUTE_PGM_RSRC2:TRAP_HANDLER: 0
; COMPUTE_PGM_RSRC2:TGID_X_EN: 1
; COMPUTE_PGM_RSRC2:TGID_Y_EN: 1
; COMPUTE_PGM_RSRC2:TGID_Z_EN: 0
; COMPUTE_PGM_RSRC2:TIDIG_COMP_CNT: 0
	.section	.text._ZN4vllm25paged_attention_v2_kernelIttLi80ELi8ELi128ELNS_18Fp8KVCacheDataTypeE0ELb1ELi512EEEvPfS2_PT_PKS3_PKT0_S9_ifPKiSB_iPKfiiiSD_SD_iiiii,"axG",@progbits,_ZN4vllm25paged_attention_v2_kernelIttLi80ELi8ELi128ELNS_18Fp8KVCacheDataTypeE0ELb1ELi512EEEvPfS2_PT_PKS3_PKT0_S9_ifPKiSB_iPKfiiiSD_SD_iiiii,comdat
	.protected	_ZN4vllm25paged_attention_v2_kernelIttLi80ELi8ELi128ELNS_18Fp8KVCacheDataTypeE0ELb1ELi512EEEvPfS2_PT_PKS3_PKT0_S9_ifPKiSB_iPKfiiiSD_SD_iiiii ; -- Begin function _ZN4vllm25paged_attention_v2_kernelIttLi80ELi8ELi128ELNS_18Fp8KVCacheDataTypeE0ELb1ELi512EEEvPfS2_PT_PKS3_PKT0_S9_ifPKiSB_iPKfiiiSD_SD_iiiii
	.globl	_ZN4vllm25paged_attention_v2_kernelIttLi80ELi8ELi128ELNS_18Fp8KVCacheDataTypeE0ELb1ELi512EEEvPfS2_PT_PKS3_PKT0_S9_ifPKiSB_iPKfiiiSD_SD_iiiii
	.p2align	8
	.type	_ZN4vllm25paged_attention_v2_kernelIttLi80ELi8ELi128ELNS_18Fp8KVCacheDataTypeE0ELb1ELi512EEEvPfS2_PT_PKS3_PKT0_S9_ifPKiSB_iPKfiiiSD_SD_iiiii,@function
_ZN4vllm25paged_attention_v2_kernelIttLi80ELi8ELi128ELNS_18Fp8KVCacheDataTypeE0ELb1ELi512EEEvPfS2_PT_PKS3_PKT0_S9_ifPKiSB_iPKfiiiSD_SD_iiiii: ; @_ZN4vllm25paged_attention_v2_kernelIttLi80ELi8ELi128ELNS_18Fp8KVCacheDataTypeE0ELb1ELi512EEEvPfS2_PT_PKS3_PKT0_S9_ifPKiSB_iPKfiiiSD_SD_iiiii
; %bb.0:
	s_load_dwordx2 s[0:1], s[4:5], 0x40
	s_mov_b32 s26, s7
	s_ashr_i32 s27, s7, 31
	s_lshl_b64 s[2:3], s[26:27], 2
	s_waitcnt lgkmcnt(0)
	s_add_u32 s0, s0, s2
	s_addc_u32 s1, s1, s3
	s_lshl_b32 s38, s8, 9
	s_load_dword s27, s[0:1], 0x0
	s_waitcnt lgkmcnt(0)
	s_cmp_ge_i32 s38, s27
	s_cbranch_scc1 .LBB67_69
; %bb.1:
	s_clause 0x1
	s_load_dword s9, s[4:5], 0x90
	s_load_dwordx2 s[36:37], s[4:5], 0x30
	s_mov_b32 s40, 0
	s_waitcnt lgkmcnt(0)
	s_abs_i32 s3, s9
	s_abs_i32 s0, s36
	v_cvt_f32_u32_e32 v1, s0
	s_sub_i32 s2, 0, s0
	v_rcp_iflag_f32_e32 v1, v1
	v_mul_f32_e32 v1, 0x4f7ffffe, v1
	v_cvt_u32_f32_e32 v1, v1
	v_readfirstlane_b32 s1, v1
	s_mul_i32 s2, s2, s1
	s_mul_hi_u32 s2, s1, s2
	s_add_i32 s1, s1, s2
	s_xor_b32 s2, s9, s36
	s_mul_hi_u32 s1, s3, s1
	s_ashr_i32 s2, s2, 31
	s_mul_i32 s7, s1, s0
	s_sub_i32 s3, s3, s7
	s_add_i32 s7, s1, 1
	s_sub_i32 s10, s3, s0
	s_cmp_ge_u32 s3, s0
	s_cselect_b32 s1, s7, s1
	s_cselect_b32 s3, s10, s3
	s_add_i32 s7, s1, 1
	s_cmp_ge_u32 s3, s0
	s_cselect_b32 s0, s7, s1
	s_xor_b32 s0, s0, s2
	s_sub_i32 s10, s0, s2
	s_load_dwordx2 s[0:1], s[4:5], 0x50
	s_abs_i32 s2, s10
	v_cvt_f32_u32_e32 v1, s2
	s_sub_i32 s3, 0, s2
	v_rcp_iflag_f32_e32 v1, v1
	v_mul_f32_e32 v1, 0x4f7ffffe, v1
	v_cvt_u32_f32_e32 v1, v1
	v_readfirstlane_b32 s7, v1
	s_mul_i32 s3, s3, s7
	s_mul_hi_u32 s11, s7, s3
	s_abs_i32 s3, s6
	s_add_i32 s7, s7, s11
	s_waitcnt lgkmcnt(0)
	s_cmp_eq_u64 s[0:1], 0
	s_mul_hi_u32 s20, s3, s7
	s_cbranch_scc1 .LBB67_3
; %bb.2:
	s_ashr_i32 s7, s6, 31
	s_lshl_b64 s[12:13], s[6:7], 2
	s_add_u32 s0, s0, s12
	s_addc_u32 s1, s1, s13
	s_load_dword s40, s[0:1], 0x0
.LBB67_3:
	s_load_dwordx4 s[12:15], s[4:5], 0x58
	v_and_b32_e32 v1, 3, v0
	v_lshlrev_b32_e32 v2, 2, v0
	s_ashr_i32 s0, s6, 31
	s_ashr_i32 s1, s10, 31
	s_mul_i32 s10, s6, 0x50
	s_mov_b32 s7, exec_lo
	v_cmpx_gt_u32_e32 40, v0
	s_cbranch_execz .LBB67_5
; %bb.4:
	s_load_dwordx2 s[16:17], s[4:5], 0x18
	s_waitcnt lgkmcnt(0)
	s_mul_i32 s18, s12, s26
	v_and_b32_e32 v4, 0x3fc, v0
	s_ashr_i32 s19, s18, 31
	s_lshl_b64 s[18:19], s[18:19], 1
	v_mad_u32_u24 v4, v1, 40, v4
	s_add_u32 s12, s16, s18
	s_addc_u32 s15, s17, s19
	s_ashr_i32 s11, s10, 31
	s_lshl_b64 s[16:17], s[10:11], 1
	s_add_u32 s16, s12, s16
	s_addc_u32 s17, s15, s17
	global_load_dword v3, v2, s[16:17]
	s_waitcnt vmcnt(0)
	ds_write_b32 v4, v3
.LBB67_5:
	s_or_b32 exec_lo, exec_lo, s7
	s_load_dwordx4 s[16:19], s[4:5], 0x78
	s_mul_i32 s7, s20, s2
	s_xor_b32 s0, s0, s1
	s_sub_i32 s1, s3, s7
	s_add_i32 s3, s20, 1
	s_sub_i32 s7, s1, s2
	s_cmp_ge_u32 s1, s2
                                        ; implicit-def: $sgpr33
	s_cselect_b32 s3, s3, s20
	s_cselect_b32 s1, s7, s1
	s_add_i32 s7, s3, 1
	s_cmp_ge_u32 s1, s2
	s_mov_b32 s20, -1
	s_cselect_b32 s1, s7, s3
	s_load_dword s3, s[4:5], 0x88
	s_xor_b32 s1, s1, s0
	s_add_i32 s7, s27, -1
	s_sub_i32 s1, s1, s0
	s_abs_i32 s2, s7
	s_waitcnt lgkmcnt(0)
	s_abs_i32 s11, s19
	s_barrier
	v_cvt_f32_u32_e32 v3, s11
	s_sub_i32 s0, 0, s11
	buffer_gl0_inv
	v_rcp_iflag_f32_e32 v3, v3
	v_mul_f32_e32 v3, 0x4f7ffffe, v3
	v_cvt_u32_f32_e32 v3, v3
	v_readfirstlane_b32 s12, v3
	s_mul_i32 s0, s0, s12
	s_mul_hi_u32 s0, s12, s0
	s_add_i32 s12, s12, s0
	s_cmp_lt_i32 s3, 0
	s_mul_hi_u32 s0, s2, s12
	s_cbranch_scc0 .LBB67_7
; %bb.6:
	s_mul_i32 s15, s16, s36
	s_mov_b32 s20, 0
	s_add_i32 s15, s1, s15
	s_mul_i32 s15, s15, s3
	s_sub_i32 s33, 1, s15
.LBB67_7:
	s_load_dwordx2 s[28:29], s[4:5], 0x38
	s_ashr_i32 s15, s7, 31
	s_andn2_b32 vcc_lo, exec_lo, s20
	s_ashr_i32 s19, s19, 31
	s_cbranch_vccnz .LBB67_9
; %bb.8:
	s_mul_i32 s7, s9, s16
	s_add_i32 s7, s7, s6
	s_mul_i32 s3, s7, s3
	s_add_i32 s33, s3, 1
.LBB67_9:
	s_clause 0x4
	s_load_dword s3, s[4:5], 0x48
	s_load_dwordx2 s[34:35], s[4:5], 0x28
	s_load_dword s7, s[4:5], 0x98
	s_load_dwordx4 s[20:23], s[4:5], 0x0
	s_load_dwordx2 s[24:25], s[4:5], 0x10
	s_mul_i32 s16, s0, s11
	s_xor_b32 s15, s15, s19
	s_sub_i32 s2, s2, s16
	s_add_i32 s36, s0, 1
	v_lshrrev_b32_e32 v10, 5, v0
	v_mov_b32_e32 v4, 0xff7fffff
	v_mbcnt_lo_u32_b32 v3, -1, 0
	s_mul_i32 s14, s1, s14
	v_lshl_add_u32 v11, v10, 3, s38
	s_waitcnt lgkmcnt(0)
	s_mul_i32 s30, s3, s26
	s_sub_i32 s3, s2, s11
	s_ashr_i32 s31, s30, 31
	s_cmp_ge_u32 s2, s11
	s_cselect_b32 s0, s36, s0
	s_cselect_b32 s2, s3, s2
	s_add_i32 s3, s0, 1
	s_cmp_ge_u32 s2, s11
	s_cselect_b32 s0, s3, s0
	s_add_i32 s2, s27, 7
	s_lshl_b32 s41, s8, 6
	s_ashr_i32 s3, s2, 31
	v_or_b32_e32 v5, s41, v10
	s_lshr_b32 s3, s3, 29
	s_add_i32 s2, s2, s3
	s_add_i32 s3, s41, 64
	s_ashr_i32 s36, s2, 3
	s_xor_b32 s2, s0, s15
	s_min_i32 s16, s3, s36
	v_ashrrev_i32_e32 v6, 31, v5
	v_cmp_gt_i32_e64 s0, s16, v5
	s_sub_i32 s39, s2, s15
	s_and_saveexec_b32 s42, s0
	s_cbranch_execz .LBB67_21
; %bb.10:
	s_load_dwordx2 s[2:3], s[4:5], 0x20
	s_ashr_i32 s15, s14, 31
	s_sub_i32 s4, s39, s17
	s_lshl_b64 s[44:45], s[14:15], 1
	v_bfe_u32 v7, v0, 2, 3
	v_cmp_eq_u32_e32 vcc_lo, 0, v1
	v_and_b32_e32 v17, 12, v2
	v_mul_u32_u24_e32 v8, 40, v1
	v_lshlrev_b64 v[1:2], 2, v[5:6]
	v_lshlrev_b32_e32 v15, 2, v7
	v_subrev_nc_u32_e32 v18, s27, v7
	v_lshlrev_b32_e32 v21, 4, v7
	v_cmp_neq_f32_e64 s1, s40, 0
	v_lshl_add_u32 v9, v10, 3, s38
	v_lshl_or_b32 v19, v10, 5, v15
	v_add_nc_u32_e32 v15, 1, v18
	v_mov_b32_e32 v12, 0xff7fffff
	v_xor_b32_e32 v13, 2, v3
	v_xor_b32_e32 v14, 1, v3
	s_waitcnt lgkmcnt(0)
	s_add_u32 s15, s2, s44
	s_addc_u32 s43, s3, s45
	s_abs_i32 s5, s18
	v_cvt_f32_u32_e32 v4, s5
	s_sub_i32 s2, 0, s5
	v_rcp_iflag_f32_e32 v4, v4
	v_mul_f32_e32 v16, 0x4f7ffffe, v4
	v_mov_b32_e32 v4, 0xff7fffff
	v_cvt_u32_f32_e32 v20, v16
	v_add_nc_u32_e32 v16, 0xc0, v19
	v_add_co_u32 v19, s15, s15, v21
	v_add_co_ci_u32_e64 v21, null, s43, 0, s15
	v_mul_lo_u32 v18, s2, v20
	s_lshl_b64 s[2:3], s[30:31], 2
	s_mov_b32 s15, 0
	s_add_u32 s2, s28, s2
	s_addc_u32 s3, s29, s3
	v_add_co_u32 v1, s2, s2, v1
	v_add_co_ci_u32_e64 v2, null, s3, v2, s2
	v_mul_hi_u32 v22, v20, v18
	v_add_co_u32 v17, s2, v19, v17
	v_add_co_ci_u32_e64 v18, null, 0, v21, s2
	s_mov_b32 s43, s13
	v_add_nc_u32_e32 v19, v20, v22
	v_mov_b32_e32 v20, v5
	s_branch .LBB67_13
.LBB67_11:                              ;   in Loop: Header=BB67_13 Depth=1
	s_or_b32 exec_lo, exec_lo, s44
.LBB67_12:                              ;   in Loop: Header=BB67_13 Depth=1
	s_or_b32 exec_lo, exec_lo, s3
	v_add_nc_u32_e32 v20, 4, v20
	v_add_co_u32 v1, s3, v1, 16
	v_add_co_ci_u32_e64 v2, null, 0, v2, s3
	v_cmp_le_i32_e64 s2, s16, v20
	v_add_nc_u32_e32 v9, 32, v9
	v_add_nc_u32_e32 v16, 0x80, v16
	s_or_b32 s15, s2, s15
	s_andn2_b32 exec_lo, exec_lo, s15
	s_cbranch_execz .LBB67_20
.LBB67_13:                              ; =>This Inner Loop Header: Depth=1
	v_sub_nc_u32_e32 v21, 0, v9
	v_max_i32_e32 v21, v9, v21
	s_waitcnt lgkmcnt(0)
	v_mul_hi_u32 v22, v21, s12
	v_mul_lo_u32 v23, v22, s11
	v_sub_nc_u32_e32 v21, v21, v23
	v_add_nc_u32_e32 v23, 1, v22
	v_subrev_nc_u32_e32 v24, s11, v21
	v_cmp_le_u32_e64 s2, s11, v21
	v_cndmask_b32_e64 v22, v22, v23, s2
	v_cndmask_b32_e64 v21, v21, v24, s2
	v_ashrrev_i32_e32 v23, 31, v9
	v_add_nc_u32_e32 v24, 1, v22
	v_cmp_le_u32_e64 s2, s11, v21
	v_xor_b32_e32 v23, s19, v23
	v_cndmask_b32_e64 v21, v22, v24, s2
	v_xor_b32_e32 v21, v21, v23
	v_sub_nc_u32_e32 v21, v21, v23
	v_add_nc_u32_e32 v22, s33, v21
	v_cmp_ge_i32_e64 s3, s4, v21
	v_sub_nc_u32_e32 v23, 0, v22
	v_max_i32_e32 v23, v22, v23
	v_ashrrev_i32_e32 v22, 31, v22
	v_mul_hi_u32 v24, v23, v19
	v_mul_lo_u32 v24, v24, s5
	v_sub_nc_u32_e32 v23, v23, v24
	v_subrev_nc_u32_e32 v24, s5, v23
	v_cmp_le_u32_e64 s2, s5, v23
	v_cndmask_b32_e64 v23, v23, v24, s2
	v_subrev_nc_u32_e32 v24, s5, v23
	v_cmp_le_u32_e64 s2, s5, v23
	v_cndmask_b32_e64 v23, v23, v24, s2
	v_xor_b32_e32 v23, v23, v22
	v_sub_nc_u32_e32 v22, v23, v22
	v_cmp_ne_u32_e64 s2, 0, v22
	s_and_b32 s2, s2, s3
	s_and_saveexec_b32 s3, s2
	s_xor_b32 s2, exec_lo, s3
	s_cbranch_execz .LBB67_17
; %bb.14:                               ;   in Loop: Header=BB67_13 Depth=1
	s_and_saveexec_b32 s3, vcc_lo
; %bb.15:                               ;   in Loop: Header=BB67_13 Depth=1
	ds_write_b32 v16, v12
; %bb.16:                               ;   in Loop: Header=BB67_13 Depth=1
	s_or_b32 exec_lo, exec_lo, s3
.LBB67_17:                              ;   in Loop: Header=BB67_13 Depth=1
	s_andn2_saveexec_b32 s3, s2
	s_cbranch_execz .LBB67_12
; %bb.18:                               ;   in Loop: Header=BB67_13 Depth=1
	global_load_dword v21, v[1:2], off
	s_waitcnt vmcnt(0)
	v_mad_i64_i32 v[21:22], null, v21, s43, 0
	v_lshlrev_b64 v[21:22], 1, v[21:22]
	v_add_co_u32 v21, s2, v17, v21
	v_add_co_ci_u32_e64 v22, null, v18, v22, s2
	v_cmp_gt_i32_e64 s2, 32, v13
	s_clause 0x9
	global_load_dword v23, v[21:22], off
	global_load_dword v24, v[21:22], off offset:128
	global_load_dword v25, v[21:22], off offset:256
	;; [unrolled: 1-line block ×9, first 2 shown]
	ds_read_b32 v22, v8
	s_waitcnt lgkmcnt(0)
	v_and_b32_e32 v32, 0xffff, v22
	v_lshrrev_b32_e32 v33, 16, v22
	;;#ASMSTART
	v_cvt_f32_f16 v22, v32;
	;;#ASMEND
	s_waitcnt vmcnt(9)
	v_and_b32_e32 v34, 0xffff, v23
	v_lshrrev_b32_e32 v35, 16, v23
	;;#ASMSTART
	v_cvt_f32_f16 v23, v33;
	;;#ASMEND
	;;#ASMSTART
	v_cvt_f32_f16 v32, v34;
	;;#ASMEND
	;; [unrolled: 3-line block ×3, first 2 shown]
	ds_read_b32 v34, v8 offset:4
	s_waitcnt vmcnt(8)
	v_and_b32_e32 v36, 0xffff, v24
	v_lshrrev_b32_e32 v37, 16, v24
	s_waitcnt vmcnt(7)
	v_and_b32_e32 v39, 0xffff, v25
	v_lshrrev_b32_e32 v40, 16, v25
	;; [unrolled: 3-line block ×7, first 2 shown]
	s_waitcnt lgkmcnt(0)
	v_and_b32_e32 v35, 0xffff, v34
	v_lshrrev_b32_e32 v34, 16, v34
	;;#ASMSTART
	v_cvt_f32_f16 v24, v35;
	;;#ASMEND
	;;#ASMSTART
	v_cvt_f32_f16 v34, v34;
	;;#ASMEND
	;; [unrolled: 3-line block ×4, first 2 shown]
	ds_read_b32 v37, v8 offset:8
	v_mul_f32_e32 v24, v24, v35
	v_mul_f32_e32 v34, v34, v36
	v_fmac_f32_e32 v24, v22, v32
	v_fmac_f32_e32 v34, v23, v33
	s_waitcnt vmcnt(1)
	v_lshrrev_b32_e32 v32, 16, v31
	s_waitcnt lgkmcnt(0)
	v_and_b32_e32 v38, 0xffff, v37
	v_lshrrev_b32_e32 v37, 16, v37
	;;#ASMSTART
	v_cvt_f32_f16 v25, v38;
	;;#ASMEND
	;;#ASMSTART
	v_cvt_f32_f16 v37, v37;
	;;#ASMEND
	;; [unrolled: 3-line block ×4, first 2 shown]
	ds_read_b32 v40, v8 offset:12
	v_fmac_f32_e32 v24, v25, v38
	v_fmac_f32_e32 v34, v37, v39
	v_and_b32_e32 v25, 0xffff, v31
	s_waitcnt lgkmcnt(0)
	v_and_b32_e32 v41, 0xffff, v40
	v_lshrrev_b32_e32 v40, 16, v40
	;;#ASMSTART
	v_cvt_f32_f16 v26, v41;
	;;#ASMEND
	;;#ASMSTART
	v_cvt_f32_f16 v40, v40;
	;;#ASMEND
	;; [unrolled: 3-line block ×4, first 2 shown]
	ds_read_b32 v43, v8 offset:16
	v_fmac_f32_e32 v24, v26, v41
	v_fmac_f32_e32 v34, v40, v42
	s_waitcnt lgkmcnt(0)
	v_and_b32_e32 v44, 0xffff, v43
	v_lshrrev_b32_e32 v43, 16, v43
	;;#ASMSTART
	v_cvt_f32_f16 v27, v44;
	;;#ASMEND
	;;#ASMSTART
	v_cvt_f32_f16 v43, v43;
	;;#ASMEND
	;; [unrolled: 3-line block ×4, first 2 shown]
	ds_read_b32 v46, v8 offset:20
	v_fmac_f32_e32 v24, v27, v44
	v_fmac_f32_e32 v34, v43, v45
	v_cndmask_b32_e64 v27, v3, v13, s2
	v_cmp_gt_i32_e64 s2, 32, v14
	s_waitcnt lgkmcnt(0)
	v_and_b32_e32 v47, 0xffff, v46
	v_lshrrev_b32_e32 v46, 16, v46
	;;#ASMSTART
	v_cvt_f32_f16 v28, v47;
	;;#ASMEND
	;;#ASMSTART
	v_cvt_f32_f16 v46, v46;
	;;#ASMEND
	;; [unrolled: 3-line block ×4, first 2 shown]
	ds_read_b32 v49, v8 offset:24
	v_fmac_f32_e32 v24, v28, v47
	v_fmac_f32_e32 v34, v46, v48
	s_waitcnt vmcnt(0)
	v_lshrrev_b32_e32 v28, 16, v21
	s_waitcnt lgkmcnt(0)
	v_and_b32_e32 v50, 0xffff, v49
	v_lshrrev_b32_e32 v49, 16, v49
	;;#ASMSTART
	v_cvt_f32_f16 v29, v50;
	;;#ASMEND
	;;#ASMSTART
	v_cvt_f32_f16 v49, v49;
	;;#ASMEND
	;;#ASMSTART
	v_cvt_f32_f16 v50, v51;
	;;#ASMEND
	;;#ASMSTART
	v_cvt_f32_f16 v51, v52;
	;;#ASMEND
	ds_read_b32 v52, v8 offset:28
	v_fmac_f32_e32 v24, v29, v50
	v_fmac_f32_e32 v34, v49, v51
	s_waitcnt lgkmcnt(0)
	v_and_b32_e32 v53, 0xffff, v52
	v_lshrrev_b32_e32 v52, 16, v52
	;;#ASMSTART
	v_cvt_f32_f16 v30, v53;
	;;#ASMEND
	;;#ASMSTART
	v_cvt_f32_f16 v52, v52;
	;;#ASMEND
	;;#ASMSTART
	v_cvt_f32_f16 v53, v54;
	;;#ASMEND
	;;#ASMSTART
	v_cvt_f32_f16 v54, v55;
	;;#ASMEND
	ds_read_b32 v55, v8 offset:32
	v_fmac_f32_e32 v24, v30, v53
	v_fmac_f32_e32 v34, v52, v54
	;; [unrolled: 18-line block ×3, first 2 shown]
	s_waitcnt lgkmcnt(0)
	v_and_b32_e32 v29, 0xffff, v31
	v_lshrrev_b32_e32 v30, 16, v31
	v_and_b32_e32 v31, 0xffff, v21
	;;#ASMSTART
	v_cvt_f32_f16 v21, v29;
	;;#ASMEND
	;;#ASMSTART
	v_cvt_f32_f16 v22, v30;
	;;#ASMEND
	;; [unrolled: 3-line block ×4, first 2 shown]
	v_fmac_f32_e32 v24, v21, v23
	v_fmac_f32_e32 v34, v22, v25
	v_lshlrev_b32_e32 v21, 2, v27
	v_cndmask_b32_e64 v23, v3, v14, s2
	v_add_f32_e32 v22, v24, v34
	ds_bpermute_b32 v21, v21, v22
	s_waitcnt lgkmcnt(0)
	v_add_f32_e32 v21, v22, v21
	v_lshlrev_b32_e32 v22, 2, v23
	ds_bpermute_b32 v22, v22, v21
	s_and_saveexec_b32 s44, vcc_lo
	s_cbranch_execz .LBB67_11
; %bb.19:                               ;   in Loop: Header=BB67_13 Depth=1
	v_add_nc_u32_e32 v23, v15, v9
	s_waitcnt lgkmcnt(0)
	v_add_f32_e32 v21, v21, v22
	v_cvt_f32_i32_e32 v23, v23
	v_mul_f32_e32 v23, s40, v23
	v_cndmask_b32_e64 v22, 0, v23, s1
	v_max_f32_e32 v23, v4, v4
	v_fmac_f32_e32 v22, s37, v21
	v_add_nc_u32_e32 v21, v7, v9
	v_max_f32_e32 v23, v23, v22
	v_cmp_gt_i32_e64 s2, s27, v21
	v_cndmask_b32_e64 v21, 0, v22, s2
	v_cndmask_b32_e64 v4, v4, v23, s2
	ds_write_b32 v16, v21
	s_branch .LBB67_11
.LBB67_20:
	s_or_b32 exec_lo, exec_lo, s15
.LBB67_21:
	s_or_b32 exec_lo, exec_lo, s42
	v_xor_b32_e32 v1, 16, v3
	v_xor_b32_e32 v7, 8, v3
	v_max_f32_e32 v8, v4, v4
	v_and_b32_e32 v12, 31, v0
	v_cmp_gt_i32_e32 vcc_lo, 32, v1
	v_cndmask_b32_e32 v1, v3, v1, vcc_lo
	v_cmp_gt_i32_e32 vcc_lo, 32, v7
	v_lshlrev_b32_e32 v2, 2, v1
	ds_bpermute_b32 v1, v2, v4
	v_cndmask_b32_e32 v4, v3, v7, vcc_lo
	v_lshlrev_b32_e32 v4, 2, v4
	s_waitcnt lgkmcnt(0)
	v_max_f32_e32 v1, v1, v1
	v_max_f32_e32 v1, v8, v1
	v_xor_b32_e32 v8, 4, v3
	ds_bpermute_b32 v7, v4, v1
	v_cmp_gt_i32_e32 vcc_lo, 32, v8
	v_cndmask_b32_e32 v8, v3, v8, vcc_lo
	v_cmp_eq_u32_e32 vcc_lo, 0, v12
	v_lshlrev_b32_e32 v9, 2, v8
	s_waitcnt lgkmcnt(0)
	v_max_f32_e32 v7, v7, v7
	v_max_f32_e32 v1, v1, v7
	v_lshlrev_b32_e32 v7, 2, v10
	ds_bpermute_b32 v8, v9, v1
	s_and_saveexec_b32 s1, vcc_lo
	s_cbranch_execz .LBB67_23
; %bb.22:
	s_waitcnt lgkmcnt(0)
	v_max_f32_e32 v8, v8, v8
	v_max_f32_e32 v1, v1, v1
	;; [unrolled: 1-line block ×3, first 2 shown]
	ds_write_b32 v7, v1 offset:160
.LBB67_23:
	s_or_b32 exec_lo, exec_lo, s1
	v_cmp_gt_u32_e64 s1, 4, v12
	v_mov_b32_e32 v1, 0xff7fffff
	s_waitcnt lgkmcnt(0)
	v_lshlrev_b32_e32 v8, 2, v12
	s_barrier
	buffer_gl0_inv
	s_and_saveexec_b32 s2, s1
; %bb.24:
	ds_read_b32 v1, v8 offset:160
; %bb.25:
	s_or_b32 exec_lo, exec_lo, s2
	v_xor_b32_e32 v13, 2, v3
	v_xor_b32_e32 v15, 1, v3
	v_cmp_gt_i32_e64 s2, 32, v13
	v_cndmask_b32_e64 v13, v3, v13, s2
	v_cmp_gt_i32_e64 s2, 32, v15
	v_lshlrev_b32_e32 v14, 2, v13
	v_cndmask_b32_e64 v3, v3, v15, s2
	v_mov_b32_e32 v15, 0
	s_sub_i32 s2, s16, s41
	s_lshl_b32 s2, s2, 3
	s_waitcnt lgkmcnt(0)
	ds_bpermute_b32 v13, v14, v1
	v_max_f32_e32 v1, v1, v1
	v_lshlrev_b32_e32 v3, 2, v3
	s_add_i32 s2, s2, s38
	s_min_i32 s2, s2, s27
	s_sub_i32 s4, s2, s38
	v_cmp_gt_i32_e64 s2, s4, v0
	s_waitcnt lgkmcnt(0)
	v_max_f32_e32 v13, v13, v13
	v_max_f32_e32 v1, v1, v13
	ds_bpermute_b32 v13, v3, v1
	s_waitcnt lgkmcnt(0)
	v_max_f32_e32 v13, v13, v13
	v_max_f32_e32 v1, v1, v13
	v_lshl_add_u32 v13, v0, 2, 0xc0
	ds_bpermute_b32 v1, v15, v1
	s_and_saveexec_b32 s5, s2
	s_cbranch_execz .LBB67_29
; %bb.26:
	v_lshl_add_u32 v16, v0, 2, 0xc0
	v_mov_b32_e32 v15, 0
	v_mov_b32_e32 v17, v0
	s_mov_b32 s15, 0
	.p2align	6
.LBB67_27:                              ; =>This Inner Loop Header: Depth=1
	ds_read_b32 v18, v16
	v_add_nc_u32_e32 v17, 0x80, v17
	v_cmp_le_i32_e64 s3, s4, v17
	s_or_b32 s15, s3, s15
	s_waitcnt lgkmcnt(0)
	v_sub_f32_e32 v18, v18, v1
	v_mul_f32_e32 v18, 0x3fb8aa3b, v18
	v_exp_f32_e32 v18, v18
	ds_write_b32 v16, v18
	v_add_f32_e32 v15, v15, v18
	v_add_nc_u32_e32 v16, 0x200, v16
	s_andn2_b32 exec_lo, exec_lo, s15
	s_cbranch_execnz .LBB67_27
; %bb.28:
	s_or_b32 exec_lo, exec_lo, s15
.LBB67_29:
	s_or_b32 exec_lo, exec_lo, s5
	ds_bpermute_b32 v2, v2, v15
	s_waitcnt lgkmcnt(0)
	v_add_f32_e32 v2, v15, v2
	ds_bpermute_b32 v4, v4, v2
	s_waitcnt lgkmcnt(0)
	v_add_f32_e32 v2, v2, v4
	;; [unrolled: 3-line block ×5, first 2 shown]
	s_and_saveexec_b32 s3, vcc_lo
; %bb.30:
	ds_write_b32 v7, v2 offset:176
; %bb.31:
	s_or_b32 exec_lo, exec_lo, s3
	s_waitcnt lgkmcnt(0)
	s_barrier
	buffer_gl0_inv
	s_and_saveexec_b32 s3, s1
; %bb.32:
	ds_read_b32 v2, v8 offset:176
; %bb.33:
	s_or_b32 exec_lo, exec_lo, s3
	s_waitcnt lgkmcnt(0)
	ds_bpermute_b32 v4, v14, v2
	s_waitcnt lgkmcnt(0)
	v_add_f32_e32 v2, v2, v4
	ds_bpermute_b32 v3, v3, v2
	s_waitcnt lgkmcnt(0)
	v_add_f32_e32 v2, v2, v3
	v_mov_b32_e32 v3, 0
	ds_bpermute_b32 v2, v3, v2
	s_and_saveexec_b32 s1, s2
	s_cbranch_execz .LBB67_36
; %bb.34:
	s_waitcnt lgkmcnt(0)
	v_add_f32_e32 v4, 0x358637bd, v2
	s_mov_b32 s2, 0
	v_div_scale_f32 v3, null, v4, v4, 1.0
	v_div_scale_f32 v9, vcc_lo, 1.0, v4, 1.0
	v_rcp_f32_e32 v7, v3
	v_fma_f32 v8, -v3, v7, 1.0
	v_fmac_f32_e32 v7, v8, v7
	v_mul_f32_e32 v8, v9, v7
	v_fma_f32 v14, -v3, v8, v9
	v_fmac_f32_e32 v8, v14, v7
	v_fma_f32 v3, -v3, v8, v9
	v_div_fmas_f32 v7, v3, v7, v8
	v_mov_b32_e32 v3, v13
	v_div_fixup_f32 v4, v7, v4, 1.0
	v_mov_b32_e32 v7, v0
.LBB67_35:                              ; =>This Inner Loop Header: Depth=1
	ds_read_b32 v8, v3
	v_add_nc_u32_e32 v7, 0x80, v7
	v_cmp_le_i32_e32 vcc_lo, s4, v7
	s_or_b32 s2, vcc_lo, s2
	s_waitcnt lgkmcnt(0)
	v_mul_f32_e32 v8, v4, v8
	ds_write_b32 v3, v8
	v_add_nc_u32_e32 v3, 0x200, v3
	s_andn2_b32 exec_lo, exec_lo, s2
	s_cbranch_execnz .LBB67_35
.LBB67_36:
	s_or_b32 exec_lo, exec_lo, s1
	s_mul_i32 s1, s7, s26
	s_waitcnt lgkmcnt(0)
	s_mul_i32 s2, s1, s9
	s_mov_b32 s1, exec_lo
	s_barrier
	buffer_gl0_inv
	v_cmpx_eq_u32_e32 0, v0
	s_cbranch_execz .LBB67_38
; %bb.37:
	s_ashr_i32 s3, s2, 31
	s_mul_i32 s40, s7, s6
	s_lshl_b64 s[4:5], s[2:3], 2
	v_mov_b32_e32 v3, 0
	s_add_u32 s3, s22, s4
	s_addc_u32 s6, s23, s5
	s_ashr_i32 s41, s40, 31
	s_lshl_b64 s[22:23], s[40:41], 2
	s_add_u32 s3, s3, s22
	s_addc_u32 s6, s6, s23
	s_ashr_i32 s9, s8, 31
	s_lshl_b64 s[40:41], s[8:9], 2
	s_add_u32 s42, s3, s40
	s_addc_u32 s43, s6, s41
	s_add_u32 s3, s20, s4
	s_addc_u32 s4, s21, s5
	;; [unrolled: 2-line block ×4, first 2 shown]
	global_store_dword v3, v1, s[42:43]
	global_store_dword v3, v2, s[4:5]
.LBB67_38:
	s_or_b32 exec_lo, exec_lo, s1
	v_mov_b32_e32 v16, 0
	v_or_b32_e32 v17, 64, v12
	v_mov_b32_e32 v15, 0
	v_mov_b32_e32 v14, 0
	s_and_saveexec_b32 s3, s0
	s_cbranch_execz .LBB67_52
; %bb.39:
	s_ashr_i32 s15, s14, 31
	s_sub_i32 s4, s39, s17
	s_lshl_b64 s[0:1], s[14:15], 1
	v_lshlrev_b32_e32 v3, 3, v12
	s_add_u32 s5, s34, s0
	s_addc_u32 s6, s35, s1
	s_abs_i32 s9, s18
	s_lshl_b64 s[14:15], s[30:31], 2
	v_cvt_f32_u32_e32 v1, s9
	s_sub_i32 s1, 0, s9
	v_lshlrev_b32_e32 v20, 1, v3
	v_lshlrev_b32_e32 v7, 3, v17
	s_add_i32 s36, s36, -1
	v_rcp_iflag_f32_e32 v1, v1
	v_mov_b32_e32 v18, 0
	v_cmp_gt_u32_e64 s0, 0x50, v17
	v_lshl_add_u32 v19, v10, 5, 0xc0
	v_mov_b32_e32 v14, 0
	v_mov_b32_e32 v15, 0
	v_lshlrev_b32_e32 v21, 1, v7
	v_mov_b32_e32 v16, 0
	v_mul_f32_e32 v1, 0x4f7ffffe, v1
	v_cvt_u32_f32_e32 v4, v1
	v_lshlrev_b64 v[1:2], 2, v[5:6]
	v_mul_lo_u32 v8, s1, v4
	s_add_u32 s1, s28, s14
	s_addc_u32 s14, s29, s15
	v_add_co_u32 v6, vcc_lo, s1, v1
	v_add_co_ci_u32_e64 v7, null, s14, v2, vcc_lo
	s_mov_b32 s14, s13
	v_mul_hi_u32 v3, v4, v8
	s_mov_b32 s13, 0
	v_add_nc_u32_e32 v22, v4, v3
	s_branch .LBB67_43
.LBB67_40:                              ;   in Loop: Header=BB67_43 Depth=1
	s_or_b32 exec_lo, exec_lo, s18
	v_lshlrev_b32_e32 v31, 16, v31
	v_lshlrev_b32_e32 v24, 16, v24
	;; [unrolled: 1-line block ×3, first 2 shown]
	v_and_or_b32 v1, 0xffff, v1, v31
	v_and_or_b32 v2, 0xffff, v2, v24
	;; [unrolled: 1-line block ×3, first 2 shown]
	;;#ASMSTART
	v_pk_mul_f16 v1, v28, v1;

	;;#ASMEND
	;;#ASMSTART
	v_pk_mul_f16 v2, v27, v2;

	;;#ASMEND
	;; [unrolled: 4-line block ×4, first 2 shown]
	;;#ASMSTART
	v_pk_add_f16 v1, v1, v2;

	;;#ASMEND
	;;#ASMSTART
	v_pk_add_f16 v1, v1, v3;

	;;#ASMEND
	;; [unrolled: 4-line block ×3, first 2 shown]
	v_and_b32_e32 v2, 0xffff, v1
	v_lshrrev_b32_e32 v3, 16, v1
	;;#ASMSTART
	v_cvt_f32_f16 v1, v2;
	;;#ASMEND
	;;#ASMSTART
	v_cvt_f32_f16 v2, v3;
	;;#ASMEND
	v_add_f32_e32 v1, v1, v2
	v_add_f32_e32 v14, v14, v1
.LBB67_41:                              ;   in Loop: Header=BB67_43 Depth=1
	s_or_b32 exec_lo, exec_lo, s17
	v_add_f32_e32 v1, v25, v26
	v_add_f32_e32 v2, v8, v9
	;; [unrolled: 1-line block ×4, first 2 shown]
.LBB67_42:                              ;   in Loop: Header=BB67_43 Depth=1
	s_or_b32 exec_lo, exec_lo, s15
	v_add_nc_u32_e32 v5, 4, v5
	v_add_co_u32 v6, s1, v6, 16
	v_add_co_ci_u32_e64 v7, null, 0, v7, s1
	v_cmp_le_i32_e32 vcc_lo, s16, v5
	v_add_nc_u32_e32 v11, 32, v11
	v_add_nc_u32_e32 v19, 0x80, v19
	s_or_b32 s13, vcc_lo, s13
	s_andn2_b32 exec_lo, exec_lo, s13
	s_cbranch_execz .LBB67_51
.LBB67_43:                              ; =>This Inner Loop Header: Depth=1
	v_sub_nc_u32_e32 v1, 0, v11
	v_max_i32_e32 v1, v11, v1
	v_mul_hi_u32 v2, v1, s12
	v_mul_lo_u32 v3, v2, s11
	v_sub_nc_u32_e32 v1, v1, v3
	v_add_nc_u32_e32 v3, 1, v2
	v_subrev_nc_u32_e32 v4, s11, v1
	v_cmp_le_u32_e32 vcc_lo, s11, v1
	v_cndmask_b32_e32 v2, v2, v3, vcc_lo
	v_cndmask_b32_e32 v1, v1, v4, vcc_lo
	v_ashrrev_i32_e32 v3, 31, v11
	v_add_nc_u32_e32 v4, 1, v2
	v_cmp_le_u32_e32 vcc_lo, s11, v1
	v_xor_b32_e32 v3, s19, v3
	v_cndmask_b32_e32 v1, v2, v4, vcc_lo
	v_xor_b32_e32 v1, v1, v3
	v_sub_nc_u32_e32 v1, v1, v3
	v_add_nc_u32_e32 v2, s33, v1
	v_cmp_lt_i32_e64 s1, s4, v1
	v_sub_nc_u32_e32 v3, 0, v2
	v_max_i32_e32 v3, v2, v3
	v_ashrrev_i32_e32 v2, 31, v2
	v_mul_hi_u32 v4, v3, v22
	v_mul_lo_u32 v4, v4, s9
	v_sub_nc_u32_e32 v3, v3, v4
	v_subrev_nc_u32_e32 v4, s9, v3
	v_cmp_le_u32_e32 vcc_lo, s9, v3
	v_cndmask_b32_e32 v3, v3, v4, vcc_lo
	v_subrev_nc_u32_e32 v4, s9, v3
	v_cmp_le_u32_e32 vcc_lo, s9, v3
	v_cndmask_b32_e32 v3, v3, v4, vcc_lo
	v_xor_b32_e32 v3, v3, v2
	v_sub_nc_u32_e32 v2, v3, v2
	v_cmp_eq_u32_e32 vcc_lo, 0, v2
	s_or_b32 s1, vcc_lo, s1
	s_and_saveexec_b32 s15, s1
	s_cbranch_execz .LBB67_42
; %bb.44:                               ;   in Loop: Header=BB67_43 Depth=1
	global_load_dword v8, v[6:7], off
	ds_read2_b64 v[1:4], v19 offset1:1
	ds_read2_b64 v[32:35], v19 offset0:2 offset1:3
	s_waitcnt lgkmcnt(1)
	;;#ASMSTART
	v_cvt_f16_f32 v28, v1;

	;;#ASMEND
	;;#ASMSTART
	v_cvt_f16_f32 v25, v2;

	;;#ASMEND
	;; [unrolled: 4-line block ×4, first 2 shown]
	s_waitcnt lgkmcnt(0)
	;;#ASMSTART
	v_cvt_f16_f32 v32, v32;

	;;#ASMEND
	;;#ASMSTART
	v_cvt_f16_f32 v29, v33;

	;;#ASMEND
	;; [unrolled: 4-line block ×4, first 2 shown]
	v_cmp_eq_u32_e64 s1, s36, v5
	s_waitcnt vmcnt(0)
	v_mad_i64_i32 v[8:9], null, v8, s14, 0
	v_lshlrev_b64 v[8:9], 1, v[8:9]
	v_add_co_u32 v23, vcc_lo, s5, v8
	v_add_co_ci_u32_e64 v24, null, s6, v9, vcc_lo
	v_add_co_u32 v8, vcc_lo, v23, v20
	v_add_co_ci_u32_e64 v9, null, 0, v24, vcc_lo
	global_load_dwordx4 v[1:4], v[8:9], off
	s_waitcnt vmcnt(0)
	v_lshrrev_b32_e32 v35, 16, v1
	v_lshrrev_b32_e32 v34, 16, v2
	;; [unrolled: 1-line block ×3, first 2 shown]
	s_and_saveexec_b32 s17, s1
	s_cbranch_execz .LBB67_46
; %bb.45:                               ;   in Loop: Header=BB67_43 Depth=1
	v_add_nc_u32_e32 v36, 1, v11
	v_cmp_gt_i32_e32 vcc_lo, s27, v11
	v_add_nc_u32_e32 v37, 2, v11
	v_add_nc_u32_e32 v38, 3, v11
	v_and_b32_e32 v39, 0xffff0000, v4
	v_cndmask_b32_e32 v1, 0, v1, vcc_lo
	v_cmp_gt_i32_e32 vcc_lo, s27, v36
	v_add_nc_u32_e32 v36, 6, v11
	v_cndmask_b32_e32 v35, 0, v35, vcc_lo
	v_cmp_gt_i32_e32 vcc_lo, s27, v37
	v_add_nc_u32_e32 v37, 5, v11
	;; [unrolled: 3-line block ×4, first 2 shown]
	v_cndmask_b32_sdwa v4, v18, v4, vcc_lo dst_sel:DWORD dst_unused:UNUSED_PAD src0_sel:DWORD src1_sel:WORD_0
	v_cmp_gt_i32_e32 vcc_lo, s27, v38
	v_cndmask_b32_e32 v38, 0, v39, vcc_lo
	v_cmp_gt_i32_e32 vcc_lo, s27, v36
	v_or_b32_e32 v4, v4, v38
	v_cndmask_b32_e32 v3, 0, v3, vcc_lo
	v_cmp_gt_i32_e32 vcc_lo, s27, v37
	v_cndmask_b32_e32 v33, 0, v33, vcc_lo
.LBB67_46:                              ;   in Loop: Header=BB67_43 Depth=1
	s_or_b32 exec_lo, exec_lo, s17
	v_and_b32_e32 v28, 0xffff, v28
	v_and_b32_e32 v31, 0xffff, v31
	v_lshlrev_b32_e32 v35, 16, v35
	v_and_b32_e32 v32, 0xffff, v32
	v_and_b32_e32 v30, 0xffff, v30
	v_lshl_or_b32 v28, v25, 16, v28
	v_lshl_or_b32 v27, v27, 16, v31
	v_lshlrev_b32_e32 v25, 16, v34
	v_lshlrev_b32_e32 v31, 16, v33
	v_and_or_b32 v1, 0xffff, v1, v35
	;;#ASMSTART
	v_pk_mul_f16 v1, v28, v1;

	;;#ASMEND
	v_lshl_or_b32 v29, v29, 16, v32
	v_and_or_b32 v2, 0xffff, v2, v25
	v_and_or_b32 v3, 0xffff, v3, v31
	v_lshl_or_b32 v30, v26, 16, v30
	;;#ASMSTART
	v_pk_mul_f16 v2, v27, v2;

	;;#ASMEND
	;;#ASMSTART
	v_pk_mul_f16 v3, v29, v3;

	;;#ASMEND
	;; [unrolled: 4-line block ×3, first 2 shown]
	;;#ASMSTART
	v_pk_add_f16 v1, v1, v2;

	;;#ASMEND
	;;#ASMSTART
	v_pk_add_f16 v1, v1, v3;

	;;#ASMEND
	;; [unrolled: 4-line block ×3, first 2 shown]
	v_and_b32_e32 v2, 0xffff, v1
	v_lshrrev_b32_e32 v1, 16, v1
	;;#ASMSTART
	v_cvt_f32_f16 v25, v2;
	;;#ASMEND
	;;#ASMSTART
	v_cvt_f32_f16 v26, v1;
	;;#ASMEND
	global_load_dwordx4 v[1:4], v[8:9], off offset:512
	s_waitcnt vmcnt(0)
	v_lshrrev_b32_e32 v31, 16, v1
	v_lshrrev_b32_e32 v9, 16, v2
	v_lshrrev_b32_e32 v8, 16, v3
	s_and_saveexec_b32 s17, s1
	s_cbranch_execz .LBB67_48
; %bb.47:                               ;   in Loop: Header=BB67_43 Depth=1
	v_add_nc_u32_e32 v32, 1, v11
	v_cmp_gt_i32_e32 vcc_lo, s27, v11
	v_add_nc_u32_e32 v33, 2, v11
	v_add_nc_u32_e32 v34, 3, v11
	v_and_b32_e32 v35, 0xffff0000, v4
	v_cndmask_b32_e32 v1, 0, v1, vcc_lo
	v_cmp_gt_i32_e32 vcc_lo, s27, v32
	v_add_nc_u32_e32 v32, 6, v11
	v_cndmask_b32_e32 v31, 0, v31, vcc_lo
	v_cmp_gt_i32_e32 vcc_lo, s27, v33
	v_add_nc_u32_e32 v33, 5, v11
	;; [unrolled: 3-line block ×4, first 2 shown]
	v_cndmask_b32_sdwa v4, v18, v4, vcc_lo dst_sel:DWORD dst_unused:UNUSED_PAD src0_sel:DWORD src1_sel:WORD_0
	v_cmp_gt_i32_e32 vcc_lo, s27, v34
	v_cndmask_b32_e32 v34, 0, v35, vcc_lo
	v_cmp_gt_i32_e32 vcc_lo, s27, v32
	v_or_b32_e32 v4, v4, v34
	v_cndmask_b32_e32 v3, 0, v3, vcc_lo
	v_cmp_gt_i32_e32 vcc_lo, s27, v33
	v_cndmask_b32_e32 v8, 0, v8, vcc_lo
.LBB67_48:                              ;   in Loop: Header=BB67_43 Depth=1
	s_or_b32 exec_lo, exec_lo, s17
	v_lshlrev_b32_e32 v31, 16, v31
	v_lshlrev_b32_e32 v9, 16, v9
	v_lshlrev_b32_e32 v8, 16, v8
	v_and_or_b32 v1, 0xffff, v1, v31
	v_and_or_b32 v2, 0xffff, v2, v9
	;; [unrolled: 1-line block ×3, first 2 shown]
	;;#ASMSTART
	v_pk_mul_f16 v1, v28, v1;

	;;#ASMEND
	;;#ASMSTART
	v_pk_mul_f16 v2, v27, v2;

	;;#ASMEND
	;; [unrolled: 4-line block ×4, first 2 shown]
	;;#ASMSTART
	v_pk_add_f16 v1, v1, v2;

	;;#ASMEND
	;;#ASMSTART
	v_pk_add_f16 v1, v1, v3;

	;;#ASMEND
	;; [unrolled: 4-line block ×3, first 2 shown]
	v_and_b32_e32 v2, 0xffff, v1
	v_lshrrev_b32_e32 v1, 16, v1
	;;#ASMSTART
	v_cvt_f32_f16 v8, v2;
	;;#ASMEND
	;;#ASMSTART
	v_cvt_f32_f16 v9, v1;
	;;#ASMEND
	s_and_saveexec_b32 s17, s0
	s_cbranch_execz .LBB67_41
; %bb.49:                               ;   in Loop: Header=BB67_43 Depth=1
	v_add_co_u32 v1, vcc_lo, v23, v21
	v_add_co_ci_u32_e64 v2, null, 0, v24, vcc_lo
	global_load_dwordx4 v[1:4], v[1:2], off
	s_waitcnt vmcnt(0)
	v_lshrrev_b32_e32 v31, 16, v1
	v_lshrrev_b32_e32 v24, 16, v2
	;; [unrolled: 1-line block ×3, first 2 shown]
	s_and_saveexec_b32 s18, s1
	s_cbranch_execz .LBB67_40
; %bb.50:                               ;   in Loop: Header=BB67_43 Depth=1
	v_add_nc_u32_e32 v32, 1, v11
	v_cmp_gt_i32_e32 vcc_lo, s27, v11
	v_add_nc_u32_e32 v33, 2, v11
	v_add_nc_u32_e32 v34, 3, v11
	v_and_b32_e32 v35, 0xffff0000, v4
	v_cndmask_b32_e32 v1, 0, v1, vcc_lo
	v_cmp_gt_i32_e32 vcc_lo, s27, v32
	v_add_nc_u32_e32 v32, 6, v11
	v_cndmask_b32_e32 v31, 0, v31, vcc_lo
	v_cmp_gt_i32_e32 vcc_lo, s27, v33
	v_add_nc_u32_e32 v33, 5, v11
	;; [unrolled: 3-line block ×4, first 2 shown]
	v_cndmask_b32_sdwa v4, v18, v4, vcc_lo dst_sel:DWORD dst_unused:UNUSED_PAD src0_sel:DWORD src1_sel:WORD_0
	v_cmp_gt_i32_e32 vcc_lo, s27, v34
	v_cndmask_b32_e32 v34, 0, v35, vcc_lo
	v_cmp_gt_i32_e32 vcc_lo, s27, v32
	v_or_b32_e32 v4, v4, v34
	v_cndmask_b32_e32 v3, 0, v3, vcc_lo
	v_cmp_gt_i32_e32 vcc_lo, s27, v33
	v_cndmask_b32_e32 v23, 0, v23, vcc_lo
	s_branch .LBB67_40
.LBB67_51:
	s_or_b32 exec_lo, exec_lo, s13
.LBB67_52:
	s_or_b32 exec_lo, exec_lo, s3
	s_movk_i32 s0, 0x140
	v_and_b32_e32 v2, 0x3c0, v0
	v_mad_u32_u24 v1, v10, s0, 0xc0
	s_mov_b32 s0, exec_lo
	s_waitcnt_vscnt null, 0x0
	s_barrier
	buffer_gl0_inv
	v_cmpx_eq_u32_e32 64, v2
	s_cbranch_execz .LBB67_55
; %bb.53:
	v_add_nc_u32_e32 v2, 0xfffffd80, v1
	v_cmp_gt_u32_e32 vcc_lo, 0x50, v17
	v_lshl_add_u32 v3, v12, 2, v2
	ds_write2_b32 v3, v16, v15 offset1:32
	s_and_b32 exec_lo, exec_lo, vcc_lo
; %bb.54:
	v_lshl_add_u32 v2, v17, 2, v2
	ds_write_b32 v2, v14
.LBB67_55:
	s_or_b32 exec_lo, exec_lo, s0
	v_lshl_add_u32 v2, v12, 2, v1
	s_mov_b32 s0, exec_lo
	s_waitcnt lgkmcnt(0)
	s_barrier
	buffer_gl0_inv
	v_cmpx_gt_u32_e32 64, v0
	s_cbranch_execz .LBB67_59
; %bb.56:
	v_lshl_or_b32 v3, v0, 2, 0x80
	s_mov_b32 s1, exec_lo
	v_add_nc_u32_e32 v4, v1, v3
	ds_read_b32 v3, v2
	ds_read_b32 v4, v4
	v_cmpx_gt_u32_e32 0x50, v17
	s_cbranch_execz .LBB67_58
; %bb.57:
	ds_read_b32 v5, v2 offset:256
	s_waitcnt lgkmcnt(0)
	v_add_f32_e32 v14, v14, v5
.LBB67_58:
	s_or_b32 exec_lo, exec_lo, s1
	s_waitcnt lgkmcnt(1)
	v_add_f32_e32 v16, v16, v3
	s_waitcnt lgkmcnt(0)
	v_add_f32_e32 v15, v15, v4
.LBB67_59:
	s_or_b32 exec_lo, exec_lo, s0
	v_and_b32_e32 v3, 0x3e0, v0
	s_mov_b32 s0, exec_lo
	s_barrier
	buffer_gl0_inv
	v_cmpx_eq_u32_e32 32, v3
	s_cbranch_execz .LBB67_62
; %bb.60:
	v_lshl_add_u32 v3, v12, 2, 0xc0
	v_cmp_gt_u32_e32 vcc_lo, 0x50, v17
	ds_write_b32 v3, v16
	ds_write_b32 v13, v15
	s_and_b32 exec_lo, exec_lo, vcc_lo
; %bb.61:
	ds_write_b32 v3, v14 offset:256
.LBB67_62:
	s_or_b32 exec_lo, exec_lo, s0
	v_cmp_gt_u32_e32 vcc_lo, 32, v0
	v_or_b32_e32 v3, 64, v0
	s_waitcnt lgkmcnt(0)
	s_barrier
	buffer_gl0_inv
	s_and_saveexec_b32 s1, vcc_lo
	s_cbranch_execz .LBB67_66
; %bb.63:
	v_lshl_add_u32 v4, v0, 2, v1
	s_mov_b32 s3, exec_lo
	ds_read_b32 v1, v2
	ds_read_b32 v2, v4 offset:128
	v_cmpx_gt_u32_e32 0x50, v3
	s_cbranch_execz .LBB67_65
; %bb.64:
	ds_read_b32 v4, v4 offset:256
	s_waitcnt lgkmcnt(0)
	v_add_f32_e32 v14, v14, v4
.LBB67_65:
	s_or_b32 exec_lo, exec_lo, s3
	s_waitcnt lgkmcnt(1)
	v_add_f32_e32 v16, v16, v1
	s_waitcnt lgkmcnt(0)
	v_add_f32_e32 v15, v15, v2
.LBB67_66:
	s_or_b32 exec_lo, exec_lo, s1
	s_barrier
	buffer_gl0_inv
	s_and_saveexec_b32 s0, vcc_lo
	s_cbranch_execz .LBB67_69
; %bb.67:
	s_mul_i32 s0, s2, 0x50
	s_mul_i32 s2, s7, s10
	s_ashr_i32 s1, s0, 31
	v_lshlrev_b32_e32 v0, 1, v0
	s_lshl_b64 s[0:1], s[0:1], 1
	v_cmp_gt_u32_e32 vcc_lo, 0x50, v3
	s_add_u32 s4, s24, s0
	s_addc_u32 s5, s25, s1
	s_ashr_i32 s3, s2, 31
	;;#ASMSTART
	v_cvt_f16_f32 v1, v16;

	;;#ASMEND
	s_lshl_b64 s[0:1], s[2:3], 1
	s_mul_i32 s2, s8, 0x50
	s_add_u32 s4, s4, s0
	s_addc_u32 s5, s5, s1
	s_ashr_i32 s3, s2, 31
	s_lshl_b64 s[0:1], s[2:3], 1
	s_add_u32 s0, s4, s0
	s_addc_u32 s1, s5, s1
	global_store_short v0, v1, s[0:1]
	;;#ASMSTART
	v_cvt_f16_f32 v1, v15;

	;;#ASMEND
	global_store_short v0, v1, s[0:1] offset:64
	s_and_b32 exec_lo, exec_lo, vcc_lo
	s_cbranch_execz .LBB67_69
; %bb.68:
	v_add_co_u32 v0, s0, s0, v0
	v_add_co_ci_u32_e64 v1, null, s1, 0, s0
	;;#ASMSTART
	v_cvt_f16_f32 v2, v14;

	;;#ASMEND
	global_store_short v[0:1], v2, off offset:128
.LBB67_69:
	s_endpgm
	.section	.rodata,"a",@progbits
	.p2align	6, 0x0
	.amdhsa_kernel _ZN4vllm25paged_attention_v2_kernelIttLi80ELi8ELi128ELNS_18Fp8KVCacheDataTypeE0ELb1ELi512EEEvPfS2_PT_PKS3_PKT0_S9_ifPKiSB_iPKfiiiSD_SD_iiiii
		.amdhsa_group_segment_fixed_size 192
		.amdhsa_private_segment_fixed_size 0
		.amdhsa_kernarg_size 400
		.amdhsa_user_sgpr_count 6
		.amdhsa_user_sgpr_private_segment_buffer 1
		.amdhsa_user_sgpr_dispatch_ptr 0
		.amdhsa_user_sgpr_queue_ptr 0
		.amdhsa_user_sgpr_kernarg_segment_ptr 1
		.amdhsa_user_sgpr_dispatch_id 0
		.amdhsa_user_sgpr_flat_scratch_init 0
		.amdhsa_user_sgpr_private_segment_size 0
		.amdhsa_wavefront_size32 1
		.amdhsa_uses_dynamic_stack 0
		.amdhsa_system_sgpr_private_segment_wavefront_offset 0
		.amdhsa_system_sgpr_workgroup_id_x 1
		.amdhsa_system_sgpr_workgroup_id_y 1
		.amdhsa_system_sgpr_workgroup_id_z 1
		.amdhsa_system_sgpr_workgroup_info 0
		.amdhsa_system_vgpr_workitem_id 0
		.amdhsa_next_free_vgpr 56
		.amdhsa_next_free_sgpr 46
		.amdhsa_reserve_vcc 1
		.amdhsa_reserve_flat_scratch 0
		.amdhsa_float_round_mode_32 0
		.amdhsa_float_round_mode_16_64 0
		.amdhsa_float_denorm_mode_32 3
		.amdhsa_float_denorm_mode_16_64 3
		.amdhsa_dx10_clamp 1
		.amdhsa_ieee_mode 1
		.amdhsa_fp16_overflow 0
		.amdhsa_workgroup_processor_mode 1
		.amdhsa_memory_ordered 1
		.amdhsa_forward_progress 1
		.amdhsa_shared_vgpr_count 0
		.amdhsa_exception_fp_ieee_invalid_op 0
		.amdhsa_exception_fp_denorm_src 0
		.amdhsa_exception_fp_ieee_div_zero 0
		.amdhsa_exception_fp_ieee_overflow 0
		.amdhsa_exception_fp_ieee_underflow 0
		.amdhsa_exception_fp_ieee_inexact 0
		.amdhsa_exception_int_div_zero 0
	.end_amdhsa_kernel
	.section	.text._ZN4vllm25paged_attention_v2_kernelIttLi80ELi8ELi128ELNS_18Fp8KVCacheDataTypeE0ELb1ELi512EEEvPfS2_PT_PKS3_PKT0_S9_ifPKiSB_iPKfiiiSD_SD_iiiii,"axG",@progbits,_ZN4vllm25paged_attention_v2_kernelIttLi80ELi8ELi128ELNS_18Fp8KVCacheDataTypeE0ELb1ELi512EEEvPfS2_PT_PKS3_PKT0_S9_ifPKiSB_iPKfiiiSD_SD_iiiii,comdat
.Lfunc_end67:
	.size	_ZN4vllm25paged_attention_v2_kernelIttLi80ELi8ELi128ELNS_18Fp8KVCacheDataTypeE0ELb1ELi512EEEvPfS2_PT_PKS3_PKT0_S9_ifPKiSB_iPKfiiiSD_SD_iiiii, .Lfunc_end67-_ZN4vllm25paged_attention_v2_kernelIttLi80ELi8ELi128ELNS_18Fp8KVCacheDataTypeE0ELb1ELi512EEEvPfS2_PT_PKS3_PKT0_S9_ifPKiSB_iPKfiiiSD_SD_iiiii
                                        ; -- End function
	.set _ZN4vllm25paged_attention_v2_kernelIttLi80ELi8ELi128ELNS_18Fp8KVCacheDataTypeE0ELb1ELi512EEEvPfS2_PT_PKS3_PKT0_S9_ifPKiSB_iPKfiiiSD_SD_iiiii.num_vgpr, 56
	.set _ZN4vllm25paged_attention_v2_kernelIttLi80ELi8ELi128ELNS_18Fp8KVCacheDataTypeE0ELb1ELi512EEEvPfS2_PT_PKS3_PKT0_S9_ifPKiSB_iPKfiiiSD_SD_iiiii.num_agpr, 0
	.set _ZN4vllm25paged_attention_v2_kernelIttLi80ELi8ELi128ELNS_18Fp8KVCacheDataTypeE0ELb1ELi512EEEvPfS2_PT_PKS3_PKT0_S9_ifPKiSB_iPKfiiiSD_SD_iiiii.numbered_sgpr, 46
	.set _ZN4vllm25paged_attention_v2_kernelIttLi80ELi8ELi128ELNS_18Fp8KVCacheDataTypeE0ELb1ELi512EEEvPfS2_PT_PKS3_PKT0_S9_ifPKiSB_iPKfiiiSD_SD_iiiii.num_named_barrier, 0
	.set _ZN4vllm25paged_attention_v2_kernelIttLi80ELi8ELi128ELNS_18Fp8KVCacheDataTypeE0ELb1ELi512EEEvPfS2_PT_PKS3_PKT0_S9_ifPKiSB_iPKfiiiSD_SD_iiiii.private_seg_size, 0
	.set _ZN4vllm25paged_attention_v2_kernelIttLi80ELi8ELi128ELNS_18Fp8KVCacheDataTypeE0ELb1ELi512EEEvPfS2_PT_PKS3_PKT0_S9_ifPKiSB_iPKfiiiSD_SD_iiiii.uses_vcc, 1
	.set _ZN4vllm25paged_attention_v2_kernelIttLi80ELi8ELi128ELNS_18Fp8KVCacheDataTypeE0ELb1ELi512EEEvPfS2_PT_PKS3_PKT0_S9_ifPKiSB_iPKfiiiSD_SD_iiiii.uses_flat_scratch, 0
	.set _ZN4vllm25paged_attention_v2_kernelIttLi80ELi8ELi128ELNS_18Fp8KVCacheDataTypeE0ELb1ELi512EEEvPfS2_PT_PKS3_PKT0_S9_ifPKiSB_iPKfiiiSD_SD_iiiii.has_dyn_sized_stack, 0
	.set _ZN4vllm25paged_attention_v2_kernelIttLi80ELi8ELi128ELNS_18Fp8KVCacheDataTypeE0ELb1ELi512EEEvPfS2_PT_PKS3_PKT0_S9_ifPKiSB_iPKfiiiSD_SD_iiiii.has_recursion, 0
	.set _ZN4vllm25paged_attention_v2_kernelIttLi80ELi8ELi128ELNS_18Fp8KVCacheDataTypeE0ELb1ELi512EEEvPfS2_PT_PKS3_PKT0_S9_ifPKiSB_iPKfiiiSD_SD_iiiii.has_indirect_call, 0
	.section	.AMDGPU.csdata,"",@progbits
; Kernel info:
; codeLenInByte = 6544
; TotalNumSgprs: 48
; NumVgprs: 56
; ScratchSize: 0
; MemoryBound: 0
; FloatMode: 240
; IeeeMode: 1
; LDSByteSize: 192 bytes/workgroup (compile time only)
; SGPRBlocks: 0
; VGPRBlocks: 6
; NumSGPRsForWavesPerEU: 48
; NumVGPRsForWavesPerEU: 56
; Occupancy: 16
; WaveLimiterHint : 1
; COMPUTE_PGM_RSRC2:SCRATCH_EN: 0
; COMPUTE_PGM_RSRC2:USER_SGPR: 6
; COMPUTE_PGM_RSRC2:TRAP_HANDLER: 0
; COMPUTE_PGM_RSRC2:TGID_X_EN: 1
; COMPUTE_PGM_RSRC2:TGID_Y_EN: 1
; COMPUTE_PGM_RSRC2:TGID_Z_EN: 1
; COMPUTE_PGM_RSRC2:TIDIG_COMP_CNT: 0
	.section	.text._ZN4vllm32paged_attention_v2_reduce_kernelItLi80ELi128ELi512EEEvPT_PKfS4_PKS1_PKii,"axG",@progbits,_ZN4vllm32paged_attention_v2_reduce_kernelItLi80ELi128ELi512EEEvPT_PKfS4_PKS1_PKii,comdat
	.protected	_ZN4vllm32paged_attention_v2_reduce_kernelItLi80ELi128ELi512EEEvPT_PKfS4_PKS1_PKii ; -- Begin function _ZN4vllm32paged_attention_v2_reduce_kernelItLi80ELi128ELi512EEEvPT_PKfS4_PKS1_PKii
	.globl	_ZN4vllm32paged_attention_v2_reduce_kernelItLi80ELi128ELi512EEEvPT_PKfS4_PKS1_PKii
	.p2align	8
	.type	_ZN4vllm32paged_attention_v2_reduce_kernelItLi80ELi128ELi512EEEvPT_PKfS4_PKS1_PKii,@function
_ZN4vllm32paged_attention_v2_reduce_kernelItLi80ELi128ELi512EEEvPT_PKfS4_PKS1_PKii: ; @_ZN4vllm32paged_attention_v2_reduce_kernelItLi80ELi128ELi512EEEvPT_PKfS4_PKS1_PKii
; %bb.0:
	s_load_dwordx4 s[8:11], s[4:5], 0x18
	s_add_u32 s14, s4, 48
	s_mov_b32 s12, s7
	s_addc_u32 s15, s5, 0
	s_ashr_i32 s13, s7, 31
	s_lshl_b64 s[0:1], s[12:13], 2
	s_waitcnt lgkmcnt(0)
	s_add_u32 s0, s10, s0
	s_addc_u32 s1, s11, s1
	s_load_dword s22, s[0:1], 0x0
	s_clause 0x2
	s_load_dwordx2 s[10:11], s[4:5], 0x0
	s_load_dword s7, s[4:5], 0x28
	s_load_dword s13, s[4:5], 0x30
	s_waitcnt lgkmcnt(0)
	s_add_i32 s0, s22, -1
	s_cmpk_gt_u32 s0, 0x1ff
	s_mov_b32 s0, -1
	s_cbranch_scc0 .LBB68_25
; %bb.1:
	s_load_dwordx2 s[2:3], s[4:5], 0x8
	s_add_i32 s0, s22, 0x1ff
	s_mul_i32 s20, s13, s12
	s_ashr_i32 s1, s0, 31
	v_mov_b32_e32 v4, 0xff7fffff
	s_lshr_b32 s1, s1, 23
	v_lshlrev_b32_e32 v3, 2, v0
	s_add_i32 s0, s0, s1
	s_mul_i32 s16, s20, s7
	s_ashr_i32 s21, s0, 9
	s_mul_i32 s18, s7, s6
	v_cmp_gt_i32_e32 vcc_lo, s21, v0
	s_ashr_i32 s17, s16, 31
	s_ashr_i32 s19, s18, 31
	s_and_saveexec_b32 s1, vcc_lo
	s_cbranch_execz .LBB68_5
; %bb.2:
	s_load_dword s0, s[14:15], 0xc
	s_load_dwordx2 s[24:25], s[4:5], 0x10
	s_lshl_b64 s[26:27], s[16:17], 2
	s_lshl_b64 s[28:29], s[18:19], 2
	v_add_nc_u32_e32 v5, 32, v3
	v_mov_b32_e32 v4, 0xff7fffff
	v_mov_b32_e32 v6, v0
	s_waitcnt lgkmcnt(0)
	s_and_b32 s4, s0, 0xffff
	s_add_u32 s0, s26, s28
	s_addc_u32 s5, s27, s29
	s_add_u32 s0, s24, s0
	s_addc_u32 s5, s25, s5
	v_add_co_u32 v1, s0, s0, v3
	v_add_co_ci_u32_e64 v2, null, s5, 0, s0
	s_mov_b32 s5, 0
	s_lshl_b32 s23, s4, 2
	.p2align	6
.LBB68_3:                               ; =>This Inner Loop Header: Depth=1
	global_load_dword v7, v[1:2], off
	v_add_nc_u32_e32 v6, s4, v6
	v_max_f32_e32 v4, v4, v4
	v_add_co_u32 v1, s0, v1, s23
	v_add_co_ci_u32_e64 v2, null, 0, v2, s0
	v_cmp_le_i32_e64 s0, s21, v6
	s_or_b32 s5, s0, s5
	s_waitcnt vmcnt(0)
	v_max_f32_e32 v8, v7, v7
	ds_write_b32 v5, v7
	v_add_nc_u32_e32 v5, s23, v5
	v_max_f32_e32 v4, v4, v8
	s_andn2_b32 exec_lo, exec_lo, s5
	s_cbranch_execnz .LBB68_3
; %bb.4:
	s_or_b32 exec_lo, exec_lo, s5
.LBB68_5:
	s_or_b32 exec_lo, exec_lo, s1
	v_mbcnt_lo_u32_b32 v1, -1, 0
	s_waitcnt lgkmcnt(0)
	s_barrier
	buffer_gl0_inv
	v_xor_b32_e32 v2, 16, v1
	v_xor_b32_e32 v5, 8, v1
	v_cmp_gt_i32_e64 s0, 32, v2
	v_cndmask_b32_e64 v2, v1, v2, s0
	v_cmp_gt_i32_e64 s0, 32, v5
	v_lshlrev_b32_e32 v6, 2, v2
	v_cndmask_b32_e64 v5, v1, v5, s0
	ds_bpermute_b32 v2, v6, v4
	v_max_f32_e32 v4, v4, v4
	v_lshlrev_b32_e32 v7, 2, v5
	v_xor_b32_e32 v5, 4, v1
	v_cmp_gt_i32_e64 s0, 32, v5
	v_cndmask_b32_e64 v5, v1, v5, s0
	v_lshlrev_b32_e32 v8, 2, v5
	v_xor_b32_e32 v5, 2, v1
	s_waitcnt lgkmcnt(0)
	v_max_f32_e32 v2, v2, v2
	v_cmp_gt_i32_e64 s0, 32, v5
	v_max_f32_e32 v2, v4, v2
	v_cndmask_b32_e64 v5, v1, v5, s0
	ds_bpermute_b32 v4, v7, v2
	s_waitcnt lgkmcnt(0)
	v_max_f32_e32 v4, v4, v4
	v_max_f32_e32 v2, v2, v4
	ds_bpermute_b32 v4, v8, v2
	s_waitcnt lgkmcnt(0)
	v_max_f32_e32 v9, v4, v4
	v_lshlrev_b32_e32 v4, 2, v5
	v_max_f32_e32 v2, v2, v9
	v_xor_b32_e32 v9, 1, v1
	ds_bpermute_b32 v5, v4, v2
	v_cmp_gt_i32_e64 s0, 32, v9
	v_cndmask_b32_e64 v1, v1, v9, s0
	v_lshrrev_b32_e32 v9, 5, v0
	v_lshlrev_b32_e32 v9, 2, v9
	s_waitcnt lgkmcnt(0)
	v_max_f32_e32 v5, v5, v5
	v_max_f32_e32 v2, v2, v5
	v_lshlrev_b32_e32 v5, 2, v1
	v_and_b32_e32 v1, 31, v0
	ds_bpermute_b32 v10, v5, v2
	v_cmp_eq_u32_e64 s0, 0, v1
	s_and_saveexec_b32 s1, s0
	s_cbranch_execz .LBB68_7
; %bb.6:
	s_waitcnt lgkmcnt(0)
	v_max_f32_e32 v10, v10, v10
	v_max_f32_e32 v2, v2, v2
	;; [unrolled: 1-line block ×3, first 2 shown]
	ds_write_b32 v9, v2
.LBB68_7:
	s_or_b32 exec_lo, exec_lo, s1
	v_cmp_gt_u32_e64 s1, 4, v1
	v_mov_b32_e32 v2, 0xff7fffff
	s_waitcnt lgkmcnt(0)
	v_lshlrev_b32_e32 v10, 2, v1
	s_barrier
	buffer_gl0_inv
	s_and_saveexec_b32 s4, s1
; %bb.8:
	ds_read_b32 v2, v10
; %bb.9:
	s_or_b32 exec_lo, exec_lo, s4
	s_waitcnt lgkmcnt(0)
	ds_bpermute_b32 v1, v4, v2
	v_max_f32_e32 v2, v2, v2
	v_mov_b32_e32 v11, 0
	s_lshl_b32 s4, s21, 2
	s_waitcnt lgkmcnt(0)
	v_max_f32_e32 v1, v1, v1
	v_max_f32_e32 v1, v2, v1
	ds_bpermute_b32 v2, v5, v1
	s_waitcnt lgkmcnt(0)
	v_max_f32_e32 v2, v2, v2
	v_max_f32_e32 v1, v1, v2
	ds_bpermute_b32 v12, v11, v1
	s_and_saveexec_b32 s5, vcc_lo
	s_cbranch_execz .LBB68_13
; %bb.10:
	s_load_dword s23, s[14:15], 0xc
	s_lshl_b64 s[24:25], s[16:17], 2
	s_lshl_b64 s[26:27], s[18:19], 2
	v_mov_b32_e32 v11, 0
	v_add_nc_u32_e32 v13, 32, v3
	s_waitcnt lgkmcnt(0)
	s_and_b32 s17, s23, 0xffff
	s_add_u32 s19, s24, s26
	s_addc_u32 s23, s25, s27
	s_add_u32 s2, s2, s19
	s_addc_u32 s3, s3, s23
	v_add_co_u32 v1, s2, s2, v3
	v_add_co_ci_u32_e64 v2, null, s3, 0, s2
	v_mov_b32_e32 v3, v0
	s_mov_b32 s3, 0
	s_lshl_b32 s19, s17, 2
	s_inst_prefetch 0x1
	.p2align	6
.LBB68_11:                              ; =>This Inner Loop Header: Depth=1
	global_load_dword v14, v[1:2], off
	ds_read_b32 v15, v13
	v_add_nc_u32_e32 v3, s17, v3
	s_waitcnt lgkmcnt(0)
	v_sub_f32_e32 v15, v15, v12
	v_mul_f32_e32 v16, 0x3fb8aa3b, v15
	v_cmp_ngt_f32_e32 vcc_lo, 0xc2ce8ed0, v15
	v_cmp_nlt_f32_e64 s2, 0x42b17218, v15
	v_fma_f32 v17, 0x3fb8aa3b, v15, -v16
	v_rndne_f32_e32 v18, v16
	v_fmac_f32_e32 v17, 0x32a5705f, v15
	v_sub_f32_e32 v16, v16, v18
	v_add_f32_e32 v16, v16, v17
	v_cvt_i32_f32_e32 v17, v18
	v_exp_f32_e32 v16, v16
	v_ldexp_f32 v16, v16, v17
	v_add_nc_u32_e32 v17, s4, v13
	v_add_nc_u32_e32 v13, s19, v13
	v_cndmask_b32_e32 v16, 0, v16, vcc_lo
	v_add_co_u32 v1, vcc_lo, v1, s19
	v_add_co_ci_u32_e64 v2, null, 0, v2, vcc_lo
	v_cndmask_b32_e64 v15, 0x7f800000, v16, s2
	v_cmp_le_i32_e32 vcc_lo, s21, v3
	s_or_b32 s3, vcc_lo, s3
	s_waitcnt vmcnt(0)
	v_mul_f32_e32 v16, v14, v15
	v_fmac_f32_e32 v11, v14, v15
	ds_write_b32 v17, v16
	s_andn2_b32 exec_lo, exec_lo, s3
	s_cbranch_execnz .LBB68_11
; %bb.12:
	s_inst_prefetch 0x2
	s_or_b32 exec_lo, exec_lo, s3
.LBB68_13:
	s_or_b32 exec_lo, exec_lo, s5
	ds_bpermute_b32 v1, v6, v11
	s_waitcnt lgkmcnt(0)
	s_barrier
	buffer_gl0_inv
	v_add_f32_e32 v1, v11, v1
	ds_bpermute_b32 v2, v7, v1
	s_waitcnt lgkmcnt(0)
	v_add_f32_e32 v1, v1, v2
	ds_bpermute_b32 v2, v8, v1
	s_waitcnt lgkmcnt(0)
	;; [unrolled: 3-line block ×4, first 2 shown]
	v_add_f32_e32 v1, v1, v2
	s_and_saveexec_b32 s2, s0
; %bb.14:
	ds_write_b32 v9, v1 offset:16
; %bb.15:
	s_or_b32 exec_lo, exec_lo, s2
	s_waitcnt lgkmcnt(0)
	s_barrier
	buffer_gl0_inv
	s_and_saveexec_b32 s0, s1
; %bb.16:
	ds_read_b32 v1, v10 offset:16
; %bb.17:
	s_or_b32 exec_lo, exec_lo, s0
	s_waitcnt lgkmcnt(0)
	ds_bpermute_b32 v2, v4, v1
	s_mov_b32 s0, exec_lo
	s_waitcnt lgkmcnt(0)
	v_add_f32_e32 v1, v1, v2
	ds_bpermute_b32 v2, v5, v1
	s_waitcnt lgkmcnt(0)
	v_add_f32_e32 v1, v1, v2
	v_mov_b32_e32 v2, 0
	ds_bpermute_b32 v2, v2, v1
	v_cmpx_gt_u32_e32 0x50, v0
	s_cbranch_execz .LBB68_24
; %bb.18:
	s_cmp_gt_i32 s22, 0
	s_mov_b32 s1, 0
	s_cbranch_scc1 .LBB68_20
; %bb.19:
	v_mov_b32_e32 v1, 0
	v_mov_b32_e32 v4, 0
	s_andn2_b32 vcc_lo, exec_lo, s1
	s_cbranch_vccz .LBB68_21
	s_branch .LBB68_23
.LBB68_20:
	v_mov_b32_e32 v4, 0
.LBB68_21:
	s_waitcnt lgkmcnt(0)
	v_add_f32_e32 v4, 0x358637bd, v2
	s_mulk_i32 s16, 0x50
	s_mulk_i32 s18, 0x50
	s_ashr_i32 s17, s16, 31
	s_ashr_i32 s19, s18, 31
	v_div_scale_f32 v2, null, v4, v4, 1.0
	v_div_scale_f32 v5, vcc_lo, 1.0, v4, 1.0
	s_add_i32 s2, s4, 32
	v_rcp_f32_e32 v3, v2
	s_lshl_b64 s[4:5], s[16:17], 1
	s_lshl_b64 s[16:17], s[18:19], 1
	s_max_i32 s1, s21, 1
	s_add_u32 s3, s4, s16
	s_addc_u32 s4, s5, s17
	s_add_u32 s3, s8, s3
	s_addc_u32 s4, s9, s4
	v_fma_f32 v1, -v2, v3, 1.0
	v_fmac_f32_e32 v3, v1, v3
	v_mov_b32_e32 v1, 0
	v_mul_f32_e32 v6, v5, v3
	v_fma_f32 v7, -v2, v6, v5
	v_fmac_f32_e32 v6, v7, v3
	v_lshlrev_b32_e32 v7, 1, v0
	v_fma_f32 v2, -v2, v6, v5
	v_div_fmas_f32 v5, v2, v3, v6
	v_add_co_u32 v2, s3, s3, v7
	v_add_co_ci_u32_e64 v3, null, s4, 0, s3
	v_div_fixup_f32 v5, v5, v4, 1.0
	v_mov_b32_e32 v4, v1
	.p2align	6
.LBB68_22:                              ; =>This Inner Loop Header: Depth=1
	v_mov_b32_e32 v6, s2
	global_load_ushort v7, v[2:3], off
	s_waitcnt vmcnt(0)
	;;#ASMSTART
	v_cvt_f32_f16 v7, v7;
	;;#ASMEND
	v_add_co_u32 v2, vcc_lo, 0xa0, v2
	ds_read_b32 v6, v6
	v_add_co_ci_u32_e64 v3, null, 0, v3, vcc_lo
	s_add_i32 s1, s1, -1
	s_add_i32 s2, s2, 4
	s_cmp_eq_u32 s1, 0
	s_waitcnt lgkmcnt(0)
	v_mul_f32_e32 v6, v7, v6
	v_fmac_f32_e32 v4, v5, v6
	s_cbranch_scc0 .LBB68_22
.LBB68_23:
	s_mul_i32 s2, s20, 0x50
	s_mul_i32 s4, s6, 0x50
	s_ashr_i32 s3, s2, 31
	s_waitcnt lgkmcnt(0)
	v_lshlrev_b64 v[1:2], 1, v[0:1]
	s_lshl_b64 s[2:3], s[2:3], 1
	;;#ASMSTART
	v_cvt_f16_f32 v3, v4;

	;;#ASMEND
	s_add_u32 s1, s10, s2
	s_addc_u32 s16, s11, s3
	s_ashr_i32 s5, s4, 31
	s_lshl_b64 s[2:3], s[4:5], 1
	s_add_u32 s1, s1, s2
	s_addc_u32 s2, s16, s3
	v_add_co_u32 v1, vcc_lo, s1, v1
	v_add_co_ci_u32_e64 v2, null, s2, v2, vcc_lo
	global_store_short v[1:2], v3, off
.LBB68_24:
	s_or_b32 exec_lo, exec_lo, s0
	s_mov_b32 s0, 0
.LBB68_25:
	s_and_b32 vcc_lo, exec_lo, s0
	s_cbranch_vccz .LBB68_34
; %bb.26:
	s_mov_b32 s0, exec_lo
	v_cmpx_gt_u32_e32 0x50, v0
	s_cbranch_execz .LBB68_34
; %bb.27:
	s_load_dword s0, s[14:15], 0xc
	s_mul_i32 s1, s13, s12
	s_mul_i32 s4, s6, 0x50
	;; [unrolled: 1-line block ×5, first 2 shown]
	v_cmp_gt_u32_e32 vcc_lo, 0x4d, v0
	s_ashr_i32 s5, s4, 31
	s_ashr_i32 s13, s12, 31
	s_ashr_i32 s3, s2, 31
	s_ashr_i32 s7, s6, 31
	s_waitcnt lgkmcnt(0)
	s_and_b32 s1, s0, 0xffff
	s_cmp_eq_u32 s1, 1
	s_cselect_b32 s0, -1, 0
	s_and_b32 s15, vcc_lo, s0
	s_mov_b32 s0, -1
	s_and_saveexec_b32 s14, s15
	s_cbranch_execz .LBB68_31
; %bb.28:
	s_lshl_b64 s[16:17], s[6:7], 1
	s_lshl_b64 s[18:19], s[2:3], 1
	v_lshlrev_b32_e32 v1, 1, v0
	s_add_u32 s0, s16, s18
	s_addc_u32 s15, s17, s19
	s_add_u32 s0, s8, s0
	s_addc_u32 s15, s9, s15
	s_lshl_b64 s[16:17], s[12:13], 1
	s_lshl_b64 s[18:19], s[4:5], 1
	v_add_co_u32 v2, s0, s0, v1
	v_add_co_ci_u32_e64 v3, null, s15, 0, s0
	s_add_u32 s0, s16, s18
	v_sub_nc_u32_e32 v5, 0x50, v0
	s_addc_u32 s15, s17, s19
	s_add_u32 s0, s10, s0
	s_addc_u32 s15, s11, s15
	v_add_co_u32 v4, s0, s0, v1
	v_and_b32_e32 v6, 0x7c, v5
	v_add_co_ci_u32_e64 v7, null, s15, 0, s0
	v_add_co_u32 v1, vcc_lo, v2, 4
	v_add_co_ci_u32_e64 v2, null, 0, v3, vcc_lo
	v_add_co_u32 v3, vcc_lo, v4, 4
	v_add_co_ci_u32_e64 v4, null, 0, v7, vcc_lo
	v_mov_b32_e32 v7, v6
	s_mov_b32 s15, 0
	.p2align	6
.LBB68_29:                              ; =>This Inner Loop Header: Depth=1
	global_load_dwordx2 v[8:9], v[1:2], off offset:-4
	v_add_nc_u32_e32 v7, -4, v7
	v_add_co_u32 v1, vcc_lo, v1, 8
	v_add_co_ci_u32_e64 v2, null, 0, v2, vcc_lo
	v_cmp_eq_u32_e32 vcc_lo, 0, v7
	s_or_b32 s15, vcc_lo, s15
	s_waitcnt vmcnt(0)
	global_store_dwordx2 v[3:4], v[8:9], off offset:-4
	v_add_co_u32 v3, s0, v3, 8
	v_add_co_ci_u32_e64 v4, null, 0, v4, s0
	s_andn2_b32 exec_lo, exec_lo, s15
	s_cbranch_execnz .LBB68_29
; %bb.30:
	s_or_b32 exec_lo, exec_lo, s15
	v_cmp_ne_u32_e32 vcc_lo, v5, v6
	v_add_nc_u32_e32 v0, v0, v6
	s_orn2_b32 s0, vcc_lo, exec_lo
.LBB68_31:
	s_or_b32 exec_lo, exec_lo, s14
	s_and_b32 exec_lo, exec_lo, s0
	s_cbranch_execz .LBB68_34
; %bb.32:
	s_lshl_b64 s[12:13], s[12:13], 1
	v_lshlrev_b32_e32 v1, 1, v0
	s_add_u32 s0, s10, s12
	s_addc_u32 s10, s11, s13
	s_lshl_b64 s[4:5], s[4:5], 1
	v_mov_b32_e32 v2, 0
	s_add_u32 s4, s0, s4
	s_addc_u32 s5, s10, s5
	s_lshl_b64 s[6:7], s[6:7], 1
	s_add_u32 s0, s8, s6
	s_addc_u32 s6, s9, s7
	s_lshl_b64 s[2:3], s[2:3], 1
	s_add_u32 s2, s0, s2
	s_addc_u32 s3, s6, s3
	s_mov_b32 s6, 0
	s_lshl_b32 s7, s1, 1
	.p2align	6
.LBB68_33:                              ; =>This Inner Loop Header: Depth=1
	v_add_co_u32 v3, vcc_lo, s2, v1
	v_add_co_ci_u32_e64 v4, null, s3, v2, vcc_lo
	v_add_nc_u32_e32 v0, s1, v0
	global_load_ushort v5, v[3:4], off
	v_add_co_u32 v3, vcc_lo, s4, v1
	v_add_co_ci_u32_e64 v4, null, s5, v2, vcc_lo
	v_cmp_lt_u32_e32 vcc_lo, 0x4f, v0
	v_add_co_u32 v1, s0, v1, s7
	v_add_co_ci_u32_e64 v2, null, 0, v2, s0
	s_or_b32 s6, vcc_lo, s6
	s_waitcnt vmcnt(0)
	global_store_short v[3:4], v5, off
	s_andn2_b32 exec_lo, exec_lo, s6
	s_cbranch_execnz .LBB68_33
.LBB68_34:
	s_endpgm
	.section	.rodata,"a",@progbits
	.p2align	6, 0x0
	.amdhsa_kernel _ZN4vllm32paged_attention_v2_reduce_kernelItLi80ELi128ELi512EEEvPT_PKfS4_PKS1_PKii
		.amdhsa_group_segment_fixed_size 32
		.amdhsa_private_segment_fixed_size 0
		.amdhsa_kernarg_size 304
		.amdhsa_user_sgpr_count 6
		.amdhsa_user_sgpr_private_segment_buffer 1
		.amdhsa_user_sgpr_dispatch_ptr 0
		.amdhsa_user_sgpr_queue_ptr 0
		.amdhsa_user_sgpr_kernarg_segment_ptr 1
		.amdhsa_user_sgpr_dispatch_id 0
		.amdhsa_user_sgpr_flat_scratch_init 0
		.amdhsa_user_sgpr_private_segment_size 0
		.amdhsa_wavefront_size32 1
		.amdhsa_uses_dynamic_stack 0
		.amdhsa_system_sgpr_private_segment_wavefront_offset 0
		.amdhsa_system_sgpr_workgroup_id_x 1
		.amdhsa_system_sgpr_workgroup_id_y 1
		.amdhsa_system_sgpr_workgroup_id_z 0
		.amdhsa_system_sgpr_workgroup_info 0
		.amdhsa_system_vgpr_workitem_id 0
		.amdhsa_next_free_vgpr 19
		.amdhsa_next_free_sgpr 30
		.amdhsa_reserve_vcc 1
		.amdhsa_reserve_flat_scratch 0
		.amdhsa_float_round_mode_32 0
		.amdhsa_float_round_mode_16_64 0
		.amdhsa_float_denorm_mode_32 3
		.amdhsa_float_denorm_mode_16_64 3
		.amdhsa_dx10_clamp 1
		.amdhsa_ieee_mode 1
		.amdhsa_fp16_overflow 0
		.amdhsa_workgroup_processor_mode 1
		.amdhsa_memory_ordered 1
		.amdhsa_forward_progress 1
		.amdhsa_shared_vgpr_count 0
		.amdhsa_exception_fp_ieee_invalid_op 0
		.amdhsa_exception_fp_denorm_src 0
		.amdhsa_exception_fp_ieee_div_zero 0
		.amdhsa_exception_fp_ieee_overflow 0
		.amdhsa_exception_fp_ieee_underflow 0
		.amdhsa_exception_fp_ieee_inexact 0
		.amdhsa_exception_int_div_zero 0
	.end_amdhsa_kernel
	.section	.text._ZN4vllm32paged_attention_v2_reduce_kernelItLi80ELi128ELi512EEEvPT_PKfS4_PKS1_PKii,"axG",@progbits,_ZN4vllm32paged_attention_v2_reduce_kernelItLi80ELi128ELi512EEEvPT_PKfS4_PKS1_PKii,comdat
.Lfunc_end68:
	.size	_ZN4vllm32paged_attention_v2_reduce_kernelItLi80ELi128ELi512EEEvPT_PKfS4_PKS1_PKii, .Lfunc_end68-_ZN4vllm32paged_attention_v2_reduce_kernelItLi80ELi128ELi512EEEvPT_PKfS4_PKS1_PKii
                                        ; -- End function
	.set _ZN4vllm32paged_attention_v2_reduce_kernelItLi80ELi128ELi512EEEvPT_PKfS4_PKS1_PKii.num_vgpr, 19
	.set _ZN4vllm32paged_attention_v2_reduce_kernelItLi80ELi128ELi512EEEvPT_PKfS4_PKS1_PKii.num_agpr, 0
	.set _ZN4vllm32paged_attention_v2_reduce_kernelItLi80ELi128ELi512EEEvPT_PKfS4_PKS1_PKii.numbered_sgpr, 30
	.set _ZN4vllm32paged_attention_v2_reduce_kernelItLi80ELi128ELi512EEEvPT_PKfS4_PKS1_PKii.num_named_barrier, 0
	.set _ZN4vllm32paged_attention_v2_reduce_kernelItLi80ELi128ELi512EEEvPT_PKfS4_PKS1_PKii.private_seg_size, 0
	.set _ZN4vllm32paged_attention_v2_reduce_kernelItLi80ELi128ELi512EEEvPT_PKfS4_PKS1_PKii.uses_vcc, 1
	.set _ZN4vllm32paged_attention_v2_reduce_kernelItLi80ELi128ELi512EEEvPT_PKfS4_PKS1_PKii.uses_flat_scratch, 0
	.set _ZN4vllm32paged_attention_v2_reduce_kernelItLi80ELi128ELi512EEEvPT_PKfS4_PKS1_PKii.has_dyn_sized_stack, 0
	.set _ZN4vllm32paged_attention_v2_reduce_kernelItLi80ELi128ELi512EEEvPT_PKfS4_PKS1_PKii.has_recursion, 0
	.set _ZN4vllm32paged_attention_v2_reduce_kernelItLi80ELi128ELi512EEEvPT_PKfS4_PKS1_PKii.has_indirect_call, 0
	.section	.AMDGPU.csdata,"",@progbits
; Kernel info:
; codeLenInByte = 2400
; TotalNumSgprs: 32
; NumVgprs: 19
; ScratchSize: 0
; MemoryBound: 0
; FloatMode: 240
; IeeeMode: 1
; LDSByteSize: 32 bytes/workgroup (compile time only)
; SGPRBlocks: 0
; VGPRBlocks: 2
; NumSGPRsForWavesPerEU: 32
; NumVGPRsForWavesPerEU: 19
; Occupancy: 16
; WaveLimiterHint : 0
; COMPUTE_PGM_RSRC2:SCRATCH_EN: 0
; COMPUTE_PGM_RSRC2:USER_SGPR: 6
; COMPUTE_PGM_RSRC2:TRAP_HANDLER: 0
; COMPUTE_PGM_RSRC2:TGID_X_EN: 1
; COMPUTE_PGM_RSRC2:TGID_Y_EN: 1
; COMPUTE_PGM_RSRC2:TGID_Z_EN: 0
; COMPUTE_PGM_RSRC2:TIDIG_COMP_CNT: 0
	.section	.text._ZN4vllm25paged_attention_v2_kernelIttLi96ELi8ELi128ELNS_18Fp8KVCacheDataTypeE0ELb1ELi512EEEvPfS2_PT_PKS3_PKT0_S9_ifPKiSB_iPKfiiiSD_SD_iiiii,"axG",@progbits,_ZN4vllm25paged_attention_v2_kernelIttLi96ELi8ELi128ELNS_18Fp8KVCacheDataTypeE0ELb1ELi512EEEvPfS2_PT_PKS3_PKT0_S9_ifPKiSB_iPKfiiiSD_SD_iiiii,comdat
	.protected	_ZN4vllm25paged_attention_v2_kernelIttLi96ELi8ELi128ELNS_18Fp8KVCacheDataTypeE0ELb1ELi512EEEvPfS2_PT_PKS3_PKT0_S9_ifPKiSB_iPKfiiiSD_SD_iiiii ; -- Begin function _ZN4vllm25paged_attention_v2_kernelIttLi96ELi8ELi128ELNS_18Fp8KVCacheDataTypeE0ELb1ELi512EEEvPfS2_PT_PKS3_PKT0_S9_ifPKiSB_iPKfiiiSD_SD_iiiii
	.globl	_ZN4vllm25paged_attention_v2_kernelIttLi96ELi8ELi128ELNS_18Fp8KVCacheDataTypeE0ELb1ELi512EEEvPfS2_PT_PKS3_PKT0_S9_ifPKiSB_iPKfiiiSD_SD_iiiii
	.p2align	8
	.type	_ZN4vllm25paged_attention_v2_kernelIttLi96ELi8ELi128ELNS_18Fp8KVCacheDataTypeE0ELb1ELi512EEEvPfS2_PT_PKS3_PKT0_S9_ifPKiSB_iPKfiiiSD_SD_iiiii,@function
_ZN4vllm25paged_attention_v2_kernelIttLi96ELi8ELi128ELNS_18Fp8KVCacheDataTypeE0ELb1ELi512EEEvPfS2_PT_PKS3_PKT0_S9_ifPKiSB_iPKfiiiSD_SD_iiiii: ; @_ZN4vllm25paged_attention_v2_kernelIttLi96ELi8ELi128ELNS_18Fp8KVCacheDataTypeE0ELb1ELi512EEEvPfS2_PT_PKS3_PKT0_S9_ifPKiSB_iPKfiiiSD_SD_iiiii
; %bb.0:
	s_load_dwordx2 s[0:1], s[4:5], 0x40
	s_mov_b32 s26, s7
	s_ashr_i32 s27, s7, 31
	s_lshl_b64 s[2:3], s[26:27], 2
	s_waitcnt lgkmcnt(0)
	s_add_u32 s0, s0, s2
	s_addc_u32 s1, s1, s3
	s_lshl_b32 s38, s8, 9
	s_load_dword s27, s[0:1], 0x0
	s_waitcnt lgkmcnt(0)
	s_cmp_ge_i32 s38, s27
	s_cbranch_scc1 .LBB69_60
; %bb.1:
	s_clause 0x1
	s_load_dword s9, s[4:5], 0x90
	s_load_dwordx2 s[36:37], s[4:5], 0x30
	s_mov_b32 s40, 0
	s_waitcnt lgkmcnt(0)
	s_abs_i32 s3, s9
	s_abs_i32 s0, s36
	v_cvt_f32_u32_e32 v1, s0
	s_sub_i32 s2, 0, s0
	v_rcp_iflag_f32_e32 v1, v1
	v_mul_f32_e32 v1, 0x4f7ffffe, v1
	v_cvt_u32_f32_e32 v1, v1
	v_readfirstlane_b32 s1, v1
	s_mul_i32 s2, s2, s1
	s_mul_hi_u32 s2, s1, s2
	s_add_i32 s1, s1, s2
	s_xor_b32 s2, s9, s36
	s_mul_hi_u32 s1, s3, s1
	s_ashr_i32 s2, s2, 31
	s_mul_i32 s7, s1, s0
	s_sub_i32 s3, s3, s7
	s_add_i32 s7, s1, 1
	s_sub_i32 s10, s3, s0
	s_cmp_ge_u32 s3, s0
	s_cselect_b32 s1, s7, s1
	s_cselect_b32 s3, s10, s3
	s_add_i32 s7, s1, 1
	s_cmp_ge_u32 s3, s0
	s_cselect_b32 s0, s7, s1
	s_xor_b32 s0, s0, s2
	s_sub_i32 s10, s0, s2
	s_load_dwordx2 s[0:1], s[4:5], 0x50
	s_abs_i32 s2, s10
	v_cvt_f32_u32_e32 v1, s2
	s_sub_i32 s3, 0, s2
	v_rcp_iflag_f32_e32 v1, v1
	v_mul_f32_e32 v1, 0x4f7ffffe, v1
	v_cvt_u32_f32_e32 v1, v1
	v_readfirstlane_b32 s7, v1
	s_mul_i32 s3, s3, s7
	s_mul_hi_u32 s11, s7, s3
	s_abs_i32 s3, s6
	s_add_i32 s7, s7, s11
	s_waitcnt lgkmcnt(0)
	s_cmp_eq_u64 s[0:1], 0
	s_mul_hi_u32 s20, s3, s7
	s_cbranch_scc1 .LBB69_3
; %bb.2:
	s_ashr_i32 s7, s6, 31
	s_lshl_b64 s[12:13], s[6:7], 2
	s_add_u32 s0, s0, s12
	s_addc_u32 s1, s1, s13
	s_load_dword s40, s[0:1], 0x0
.LBB69_3:
	s_load_dwordx4 s[12:15], s[4:5], 0x58
	v_and_b32_e32 v1, 3, v0
	v_lshlrev_b32_e32 v2, 2, v0
	s_ashr_i32 s0, s6, 31
	s_ashr_i32 s1, s10, 31
	s_mul_i32 s10, s6, 0x60
	s_mov_b32 s7, exec_lo
	v_cmpx_gt_u32_e32 48, v0
	s_cbranch_execz .LBB69_5
; %bb.4:
	s_load_dwordx2 s[16:17], s[4:5], 0x18
	s_waitcnt lgkmcnt(0)
	s_mul_i32 s18, s12, s26
	v_and_b32_e32 v4, 0x3fc, v0
	s_ashr_i32 s19, s18, 31
	s_lshl_b64 s[18:19], s[18:19], 1
	v_mad_u32_u24 v4, v1, 48, v4
	s_add_u32 s12, s16, s18
	s_addc_u32 s15, s17, s19
	s_ashr_i32 s11, s10, 31
	s_lshl_b64 s[16:17], s[10:11], 1
	s_add_u32 s16, s12, s16
	s_addc_u32 s17, s15, s17
	global_load_dword v3, v2, s[16:17]
	s_waitcnt vmcnt(0)
	ds_write_b32 v4, v3
.LBB69_5:
	s_or_b32 exec_lo, exec_lo, s7
	s_load_dwordx4 s[16:19], s[4:5], 0x78
	s_mul_i32 s7, s20, s2
	s_xor_b32 s0, s0, s1
	s_sub_i32 s1, s3, s7
	s_add_i32 s3, s20, 1
	s_sub_i32 s7, s1, s2
	s_cmp_ge_u32 s1, s2
                                        ; implicit-def: $sgpr33
	s_cselect_b32 s3, s3, s20
	s_cselect_b32 s1, s7, s1
	s_add_i32 s7, s3, 1
	s_cmp_ge_u32 s1, s2
	s_mov_b32 s20, -1
	s_cselect_b32 s1, s7, s3
	s_load_dword s3, s[4:5], 0x88
	s_xor_b32 s1, s1, s0
	s_add_i32 s7, s27, -1
	s_sub_i32 s1, s1, s0
	s_abs_i32 s2, s7
	s_waitcnt lgkmcnt(0)
	s_abs_i32 s11, s19
	s_barrier
	v_cvt_f32_u32_e32 v3, s11
	s_sub_i32 s0, 0, s11
	buffer_gl0_inv
	v_rcp_iflag_f32_e32 v3, v3
	v_mul_f32_e32 v3, 0x4f7ffffe, v3
	v_cvt_u32_f32_e32 v3, v3
	v_readfirstlane_b32 s12, v3
	s_mul_i32 s0, s0, s12
	s_mul_hi_u32 s0, s12, s0
	s_add_i32 s12, s12, s0
	s_cmp_lt_i32 s3, 0
	s_mul_hi_u32 s0, s2, s12
	s_cbranch_scc0 .LBB69_7
; %bb.6:
	s_mul_i32 s15, s16, s36
	s_mov_b32 s20, 0
	s_add_i32 s15, s1, s15
	s_mul_i32 s15, s15, s3
	s_sub_i32 s33, 1, s15
.LBB69_7:
	s_load_dwordx2 s[28:29], s[4:5], 0x38
	s_ashr_i32 s15, s7, 31
	s_andn2_b32 vcc_lo, exec_lo, s20
	s_ashr_i32 s19, s19, 31
	s_cbranch_vccnz .LBB69_9
; %bb.8:
	s_mul_i32 s7, s9, s16
	s_add_i32 s7, s7, s6
	s_mul_i32 s3, s7, s3
	s_add_i32 s33, s3, 1
.LBB69_9:
	s_clause 0x4
	s_load_dword s3, s[4:5], 0x48
	s_load_dwordx2 s[34:35], s[4:5], 0x28
	s_load_dword s7, s[4:5], 0x98
	s_load_dwordx4 s[20:23], s[4:5], 0x0
	s_load_dwordx2 s[24:25], s[4:5], 0x10
	s_mul_i32 s16, s0, s11
	s_xor_b32 s15, s15, s19
	s_sub_i32 s2, s2, s16
	s_add_i32 s36, s0, 1
	v_lshrrev_b32_e32 v10, 5, v0
	v_mov_b32_e32 v4, 0xff7fffff
	v_mbcnt_lo_u32_b32 v3, -1, 0
	s_mul_i32 s14, s1, s14
	v_lshl_add_u32 v11, v10, 3, s38
	s_waitcnt lgkmcnt(0)
	s_mul_i32 s30, s3, s26
	s_sub_i32 s3, s2, s11
	s_ashr_i32 s31, s30, 31
	s_cmp_ge_u32 s2, s11
	s_cselect_b32 s0, s36, s0
	s_cselect_b32 s2, s3, s2
	s_add_i32 s3, s0, 1
	s_cmp_ge_u32 s2, s11
	s_cselect_b32 s0, s3, s0
	s_add_i32 s2, s27, 7
	s_lshl_b32 s41, s8, 6
	s_ashr_i32 s3, s2, 31
	v_or_b32_e32 v5, s41, v10
	s_lshr_b32 s3, s3, 29
	s_add_i32 s2, s2, s3
	s_add_i32 s3, s41, 64
	s_ashr_i32 s36, s2, 3
	s_xor_b32 s2, s0, s15
	s_min_i32 s16, s3, s36
	v_ashrrev_i32_e32 v6, 31, v5
	v_cmp_gt_i32_e64 s0, s16, v5
	s_sub_i32 s39, s2, s15
	s_and_saveexec_b32 s42, s0
	s_cbranch_execz .LBB69_21
; %bb.10:
	s_load_dwordx2 s[2:3], s[4:5], 0x20
	s_ashr_i32 s15, s14, 31
	s_sub_i32 s4, s39, s17
	s_lshl_b64 s[44:45], s[14:15], 1
	v_bfe_u32 v7, v0, 2, 3
	v_cmp_eq_u32_e32 vcc_lo, 0, v1
	v_and_b32_e32 v17, 12, v2
	v_mul_u32_u24_e32 v8, 48, v1
	v_lshlrev_b64 v[1:2], 2, v[5:6]
	v_lshlrev_b32_e32 v15, 2, v7
	v_subrev_nc_u32_e32 v18, s27, v7
	v_lshlrev_b32_e32 v21, 4, v7
	v_cmp_neq_f32_e64 s1, s40, 0
	v_lshl_add_u32 v9, v10, 3, s38
	v_lshl_or_b32 v19, v10, 5, v15
	v_add_nc_u32_e32 v15, 1, v18
	v_mov_b32_e32 v12, 0xff7fffff
	v_xor_b32_e32 v13, 2, v3
	v_xor_b32_e32 v14, 1, v3
	s_waitcnt lgkmcnt(0)
	s_add_u32 s15, s2, s44
	s_addc_u32 s43, s3, s45
	s_abs_i32 s5, s18
	v_cvt_f32_u32_e32 v4, s5
	s_sub_i32 s2, 0, s5
	v_rcp_iflag_f32_e32 v4, v4
	v_mul_f32_e32 v16, 0x4f7ffffe, v4
	v_mov_b32_e32 v4, 0xff7fffff
	v_cvt_u32_f32_e32 v20, v16
	v_add_nc_u32_e32 v16, 0xe0, v19
	v_add_co_u32 v19, s15, s15, v21
	v_add_co_ci_u32_e64 v21, null, s43, 0, s15
	v_mul_lo_u32 v18, s2, v20
	s_lshl_b64 s[2:3], s[30:31], 2
	s_mov_b32 s15, 0
	s_add_u32 s2, s28, s2
	s_addc_u32 s3, s29, s3
	v_add_co_u32 v1, s2, s2, v1
	v_add_co_ci_u32_e64 v2, null, s3, v2, s2
	v_mul_hi_u32 v22, v20, v18
	v_add_co_u32 v17, s2, v19, v17
	v_add_co_ci_u32_e64 v18, null, 0, v21, s2
	s_mov_b32 s43, s13
	v_add_nc_u32_e32 v19, v20, v22
	v_mov_b32_e32 v20, v5
	s_branch .LBB69_13
.LBB69_11:                              ;   in Loop: Header=BB69_13 Depth=1
	s_or_b32 exec_lo, exec_lo, s44
.LBB69_12:                              ;   in Loop: Header=BB69_13 Depth=1
	s_or_b32 exec_lo, exec_lo, s3
	v_add_nc_u32_e32 v20, 4, v20
	v_add_co_u32 v1, s3, v1, 16
	v_add_co_ci_u32_e64 v2, null, 0, v2, s3
	v_cmp_le_i32_e64 s2, s16, v20
	v_add_nc_u32_e32 v9, 32, v9
	v_add_nc_u32_e32 v16, 0x80, v16
	s_or_b32 s15, s2, s15
	s_andn2_b32 exec_lo, exec_lo, s15
	s_cbranch_execz .LBB69_20
.LBB69_13:                              ; =>This Inner Loop Header: Depth=1
	v_sub_nc_u32_e32 v21, 0, v9
	v_max_i32_e32 v21, v9, v21
	s_waitcnt lgkmcnt(0)
	v_mul_hi_u32 v22, v21, s12
	v_mul_lo_u32 v23, v22, s11
	v_sub_nc_u32_e32 v21, v21, v23
	v_add_nc_u32_e32 v23, 1, v22
	v_subrev_nc_u32_e32 v24, s11, v21
	v_cmp_le_u32_e64 s2, s11, v21
	v_cndmask_b32_e64 v22, v22, v23, s2
	v_cndmask_b32_e64 v21, v21, v24, s2
	v_ashrrev_i32_e32 v23, 31, v9
	v_add_nc_u32_e32 v24, 1, v22
	v_cmp_le_u32_e64 s2, s11, v21
	v_xor_b32_e32 v23, s19, v23
	v_cndmask_b32_e64 v21, v22, v24, s2
	v_xor_b32_e32 v21, v21, v23
	v_sub_nc_u32_e32 v21, v21, v23
	v_add_nc_u32_e32 v22, s33, v21
	v_cmp_ge_i32_e64 s3, s4, v21
	v_sub_nc_u32_e32 v23, 0, v22
	v_max_i32_e32 v23, v22, v23
	v_ashrrev_i32_e32 v22, 31, v22
	v_mul_hi_u32 v24, v23, v19
	v_mul_lo_u32 v24, v24, s5
	v_sub_nc_u32_e32 v23, v23, v24
	v_subrev_nc_u32_e32 v24, s5, v23
	v_cmp_le_u32_e64 s2, s5, v23
	v_cndmask_b32_e64 v23, v23, v24, s2
	v_subrev_nc_u32_e32 v24, s5, v23
	v_cmp_le_u32_e64 s2, s5, v23
	v_cndmask_b32_e64 v23, v23, v24, s2
	v_xor_b32_e32 v23, v23, v22
	v_sub_nc_u32_e32 v22, v23, v22
	v_cmp_ne_u32_e64 s2, 0, v22
	s_and_b32 s2, s2, s3
	s_and_saveexec_b32 s3, s2
	s_xor_b32 s2, exec_lo, s3
	s_cbranch_execz .LBB69_17
; %bb.14:                               ;   in Loop: Header=BB69_13 Depth=1
	s_and_saveexec_b32 s3, vcc_lo
; %bb.15:                               ;   in Loop: Header=BB69_13 Depth=1
	ds_write_b32 v16, v12
; %bb.16:                               ;   in Loop: Header=BB69_13 Depth=1
	s_or_b32 exec_lo, exec_lo, s3
.LBB69_17:                              ;   in Loop: Header=BB69_13 Depth=1
	s_andn2_saveexec_b32 s3, s2
	s_cbranch_execz .LBB69_12
; %bb.18:                               ;   in Loop: Header=BB69_13 Depth=1
	global_load_dword v21, v[1:2], off
	s_waitcnt vmcnt(0)
	v_mad_i64_i32 v[21:22], null, v21, s43, 0
	v_lshlrev_b64 v[21:22], 1, v[21:22]
	v_add_co_u32 v21, s2, v17, v21
	v_add_co_ci_u32_e64 v22, null, v18, v22, s2
	v_cmp_gt_i32_e64 s2, 32, v13
	s_clause 0xb
	global_load_dword v23, v[21:22], off
	global_load_dword v24, v[21:22], off offset:128
	global_load_dword v25, v[21:22], off offset:256
	;; [unrolled: 1-line block ×11, first 2 shown]
	ds_read_b32 v34, v8
	s_waitcnt lgkmcnt(0)
	v_and_b32_e32 v22, 0xffff, v34
	v_lshrrev_b32_e32 v34, 16, v34
	;;#ASMSTART
	v_cvt_f32_f16 v22, v22;
	;;#ASMEND
	s_waitcnt vmcnt(11)
	v_and_b32_e32 v35, 0xffff, v23
	v_lshrrev_b32_e32 v36, 16, v23
	;;#ASMSTART
	v_cvt_f32_f16 v23, v34;
	;;#ASMEND
	;;#ASMSTART
	v_cvt_f32_f16 v34, v35;
	;;#ASMEND
	;; [unrolled: 3-line block ×3, first 2 shown]
	ds_read_b32 v36, v8 offset:4
	s_waitcnt vmcnt(10)
	v_and_b32_e32 v38, 0xffff, v24
	v_lshrrev_b32_e32 v39, 16, v24
	s_waitcnt vmcnt(9)
	v_and_b32_e32 v41, 0xffff, v25
	v_lshrrev_b32_e32 v42, 16, v25
	s_waitcnt vmcnt(8)
	v_and_b32_e32 v44, 0xffff, v26
	v_lshrrev_b32_e32 v45, 16, v26
	s_waitcnt vmcnt(7)
	v_and_b32_e32 v47, 0xffff, v27
	v_lshrrev_b32_e32 v48, 16, v27
	s_waitcnt vmcnt(6)
	v_and_b32_e32 v50, 0xffff, v28
	v_lshrrev_b32_e32 v51, 16, v28
	s_waitcnt vmcnt(5)
	v_and_b32_e32 v53, 0xffff, v29
	v_lshrrev_b32_e32 v54, 16, v29
	s_waitcnt vmcnt(4)
	v_and_b32_e32 v56, 0xffff, v30
	v_lshrrev_b32_e32 v57, 16, v30
	s_waitcnt vmcnt(3)
	v_and_b32_e32 v59, 0xffff, v31
	v_lshrrev_b32_e32 v60, 16, v31
	s_waitcnt vmcnt(2)
	v_lshrrev_b32_e32 v61, 16, v32
	v_and_b32_e32 v63, 0xffff, v32
	s_waitcnt lgkmcnt(0)
	v_and_b32_e32 v37, 0xffff, v36
	v_lshrrev_b32_e32 v36, 16, v36
	;;#ASMSTART
	v_cvt_f32_f16 v24, v37;
	;;#ASMEND
	;;#ASMSTART
	v_cvt_f32_f16 v36, v36;
	;;#ASMEND
	;; [unrolled: 3-line block ×4, first 2 shown]
	ds_read_b32 v39, v8 offset:8
	v_mul_f32_e32 v24, v24, v37
	v_mul_f32_e32 v32, v36, v38
	v_fmac_f32_e32 v24, v22, v34
	v_fmac_f32_e32 v32, v23, v35
	s_waitcnt lgkmcnt(0)
	v_and_b32_e32 v40, 0xffff, v39
	v_lshrrev_b32_e32 v39, 16, v39
	;;#ASMSTART
	v_cvt_f32_f16 v25, v40;
	;;#ASMEND
	;;#ASMSTART
	v_cvt_f32_f16 v39, v39;
	;;#ASMEND
	;; [unrolled: 3-line block ×4, first 2 shown]
	ds_read_b32 v42, v8 offset:12
	v_fmac_f32_e32 v24, v25, v40
	v_fmac_f32_e32 v32, v39, v41
	s_waitcnt vmcnt(1)
	v_and_b32_e32 v25, 0xffff, v33
	s_waitcnt lgkmcnt(0)
	v_and_b32_e32 v43, 0xffff, v42
	v_lshrrev_b32_e32 v42, 16, v42
	;;#ASMSTART
	v_cvt_f32_f16 v26, v43;
	;;#ASMEND
	;;#ASMSTART
	v_cvt_f32_f16 v42, v42;
	;;#ASMEND
	;; [unrolled: 3-line block ×4, first 2 shown]
	ds_read_b32 v45, v8 offset:16
	v_fmac_f32_e32 v24, v26, v43
	v_fmac_f32_e32 v32, v42, v44
	v_lshrrev_b32_e32 v26, 16, v33
	s_waitcnt lgkmcnt(0)
	v_and_b32_e32 v46, 0xffff, v45
	v_lshrrev_b32_e32 v45, 16, v45
	;;#ASMSTART
	v_cvt_f32_f16 v27, v46;
	;;#ASMEND
	;;#ASMSTART
	v_cvt_f32_f16 v45, v45;
	;;#ASMEND
	;; [unrolled: 3-line block ×4, first 2 shown]
	ds_read_b32 v48, v8 offset:20
	v_fmac_f32_e32 v24, v27, v46
	v_fmac_f32_e32 v32, v45, v47
	s_waitcnt lgkmcnt(0)
	v_and_b32_e32 v49, 0xffff, v48
	v_lshrrev_b32_e32 v48, 16, v48
	;;#ASMSTART
	v_cvt_f32_f16 v28, v49;
	;;#ASMEND
	;;#ASMSTART
	v_cvt_f32_f16 v48, v48;
	;;#ASMEND
	;; [unrolled: 3-line block ×4, first 2 shown]
	ds_read_b32 v51, v8 offset:24
	v_fmac_f32_e32 v24, v28, v49
	v_fmac_f32_e32 v32, v48, v50
	v_cndmask_b32_e64 v28, v3, v13, s2
	v_cmp_gt_i32_e64 s2, 32, v14
	s_waitcnt lgkmcnt(0)
	v_and_b32_e32 v52, 0xffff, v51
	v_lshrrev_b32_e32 v51, 16, v51
	;;#ASMSTART
	v_cvt_f32_f16 v29, v52;
	;;#ASMEND
	;;#ASMSTART
	v_cvt_f32_f16 v51, v51;
	;;#ASMEND
	;; [unrolled: 3-line block ×4, first 2 shown]
	ds_read_b32 v54, v8 offset:28
	v_fmac_f32_e32 v24, v29, v52
	v_fmac_f32_e32 v32, v51, v53
	s_waitcnt vmcnt(0)
	v_lshrrev_b32_e32 v29, 16, v21
	s_waitcnt lgkmcnt(0)
	v_and_b32_e32 v55, 0xffff, v54
	v_lshrrev_b32_e32 v54, 16, v54
	;;#ASMSTART
	v_cvt_f32_f16 v30, v55;
	;;#ASMEND
	;;#ASMSTART
	v_cvt_f32_f16 v54, v54;
	;;#ASMEND
	;; [unrolled: 3-line block ×4, first 2 shown]
	ds_read_b32 v57, v8 offset:32
	v_fmac_f32_e32 v24, v30, v55
	v_fmac_f32_e32 v32, v54, v56
	s_waitcnt lgkmcnt(0)
	v_and_b32_e32 v58, 0xffff, v57
	v_lshrrev_b32_e32 v57, 16, v57
	;;#ASMSTART
	v_cvt_f32_f16 v31, v58;
	;;#ASMEND
	;;#ASMSTART
	v_cvt_f32_f16 v57, v57;
	;;#ASMEND
	;; [unrolled: 3-line block ×4, first 2 shown]
	ds_read_b32 v60, v8 offset:36
	v_fmac_f32_e32 v24, v31, v58
	v_fmac_f32_e32 v32, v57, v59
	v_and_b32_e32 v31, 0xffff, v21
	s_waitcnt lgkmcnt(0)
	v_and_b32_e32 v62, 0xffff, v60
	v_lshrrev_b32_e32 v60, 16, v60
	;;#ASMSTART
	v_cvt_f32_f16 v36, v62;
	;;#ASMEND
	;;#ASMSTART
	v_cvt_f32_f16 v37, v60;
	;;#ASMEND
	;; [unrolled: 3-line block ×4, first 2 shown]
	ds_read_b32 v61, v8 offset:40
	v_fmac_f32_e32 v24, v36, v38
	v_fmac_f32_e32 v32, v37, v60
	s_waitcnt lgkmcnt(0)
	v_and_b32_e32 v22, 0xffff, v61
	v_lshrrev_b32_e32 v23, 16, v61
	;;#ASMSTART
	v_cvt_f32_f16 v22, v22;
	;;#ASMEND
	;;#ASMSTART
	v_cvt_f32_f16 v23, v23;
	;;#ASMEND
	;; [unrolled: 3-line block ×4, first 2 shown]
	ds_read_b32 v27, v8 offset:44
	v_fmac_f32_e32 v24, v22, v25
	v_fmac_f32_e32 v32, v23, v26
	s_waitcnt lgkmcnt(0)
	v_and_b32_e32 v30, 0xffff, v27
	v_lshrrev_b32_e32 v27, 16, v27
	;;#ASMSTART
	v_cvt_f32_f16 v21, v30;
	;;#ASMEND
	;;#ASMSTART
	v_cvt_f32_f16 v22, v27;
	;;#ASMEND
	;; [unrolled: 3-line block ×4, first 2 shown]
	v_fmac_f32_e32 v24, v21, v23
	v_fmac_f32_e32 v32, v22, v25
	v_lshlrev_b32_e32 v21, 2, v28
	v_cndmask_b32_e64 v23, v3, v14, s2
	v_add_f32_e32 v22, v24, v32
	ds_bpermute_b32 v21, v21, v22
	s_waitcnt lgkmcnt(0)
	v_add_f32_e32 v21, v22, v21
	v_lshlrev_b32_e32 v22, 2, v23
	ds_bpermute_b32 v22, v22, v21
	s_and_saveexec_b32 s44, vcc_lo
	s_cbranch_execz .LBB69_11
; %bb.19:                               ;   in Loop: Header=BB69_13 Depth=1
	v_add_nc_u32_e32 v23, v15, v9
	s_waitcnt lgkmcnt(0)
	v_add_f32_e32 v21, v21, v22
	v_cvt_f32_i32_e32 v23, v23
	v_mul_f32_e32 v23, s40, v23
	v_cndmask_b32_e64 v22, 0, v23, s1
	v_max_f32_e32 v23, v4, v4
	v_fmac_f32_e32 v22, s37, v21
	v_add_nc_u32_e32 v21, v7, v9
	v_max_f32_e32 v23, v23, v22
	v_cmp_gt_i32_e64 s2, s27, v21
	v_cndmask_b32_e64 v21, 0, v22, s2
	v_cndmask_b32_e64 v4, v4, v23, s2
	ds_write_b32 v16, v21
	s_branch .LBB69_11
.LBB69_20:
	s_or_b32 exec_lo, exec_lo, s15
.LBB69_21:
	s_or_b32 exec_lo, exec_lo, s42
	v_xor_b32_e32 v1, 16, v3
	v_xor_b32_e32 v7, 8, v3
	v_max_f32_e32 v8, v4, v4
	v_and_b32_e32 v12, 31, v0
	v_cmp_gt_i32_e32 vcc_lo, 32, v1
	v_cndmask_b32_e32 v1, v3, v1, vcc_lo
	v_cmp_gt_i32_e32 vcc_lo, 32, v7
	v_lshlrev_b32_e32 v2, 2, v1
	ds_bpermute_b32 v1, v2, v4
	v_cndmask_b32_e32 v4, v3, v7, vcc_lo
	v_lshlrev_b32_e32 v4, 2, v4
	s_waitcnt lgkmcnt(0)
	v_max_f32_e32 v1, v1, v1
	v_max_f32_e32 v1, v8, v1
	v_xor_b32_e32 v8, 4, v3
	ds_bpermute_b32 v7, v4, v1
	v_cmp_gt_i32_e32 vcc_lo, 32, v8
	v_cndmask_b32_e32 v8, v3, v8, vcc_lo
	v_cmp_eq_u32_e32 vcc_lo, 0, v12
	v_lshlrev_b32_e32 v9, 2, v8
	s_waitcnt lgkmcnt(0)
	v_max_f32_e32 v7, v7, v7
	v_max_f32_e32 v1, v1, v7
	v_lshlrev_b32_e32 v7, 2, v10
	ds_bpermute_b32 v8, v9, v1
	s_and_saveexec_b32 s1, vcc_lo
	s_cbranch_execz .LBB69_23
; %bb.22:
	s_waitcnt lgkmcnt(0)
	v_max_f32_e32 v8, v8, v8
	v_max_f32_e32 v1, v1, v1
	;; [unrolled: 1-line block ×3, first 2 shown]
	ds_write_b32 v7, v1 offset:192
.LBB69_23:
	s_or_b32 exec_lo, exec_lo, s1
	v_cmp_gt_u32_e64 s1, 4, v12
	v_mov_b32_e32 v1, 0xff7fffff
	s_waitcnt lgkmcnt(0)
	v_lshlrev_b32_e32 v8, 2, v12
	s_barrier
	buffer_gl0_inv
	s_and_saveexec_b32 s2, s1
; %bb.24:
	ds_read_b32 v1, v8 offset:192
; %bb.25:
	s_or_b32 exec_lo, exec_lo, s2
	v_xor_b32_e32 v13, 2, v3
	v_xor_b32_e32 v15, 1, v3
	v_cmp_gt_i32_e64 s2, 32, v13
	v_cndmask_b32_e64 v13, v3, v13, s2
	v_cmp_gt_i32_e64 s2, 32, v15
	v_lshlrev_b32_e32 v13, 2, v13
	v_cndmask_b32_e64 v3, v3, v15, s2
	s_sub_i32 s2, s16, s41
	s_lshl_b32 s2, s2, 3
	s_waitcnt lgkmcnt(0)
	ds_bpermute_b32 v14, v13, v1
	v_max_f32_e32 v1, v1, v1
	s_add_i32 s2, s2, s38
	s_min_i32 s2, s2, s27
	s_sub_i32 s4, s2, s38
	v_cmp_gt_i32_e64 s2, s4, v0
	s_waitcnt lgkmcnt(0)
	v_max_f32_e32 v15, v14, v14
	v_lshlrev_b32_e32 v14, 2, v3
	v_max_f32_e32 v1, v1, v15
	v_mov_b32_e32 v15, 0
	ds_bpermute_b32 v3, v14, v1
	s_waitcnt lgkmcnt(0)
	v_max_f32_e32 v3, v3, v3
	v_max_f32_e32 v1, v1, v3
	v_lshl_add_u32 v3, v0, 2, 0xe0
	ds_bpermute_b32 v1, v15, v1
	s_and_saveexec_b32 s5, s2
	s_cbranch_execz .LBB69_29
; %bb.26:
	v_lshl_add_u32 v16, v0, 2, 0xe0
	v_mov_b32_e32 v15, 0
	v_mov_b32_e32 v17, v0
	s_mov_b32 s15, 0
	.p2align	6
.LBB69_27:                              ; =>This Inner Loop Header: Depth=1
	ds_read_b32 v18, v16
	v_add_nc_u32_e32 v17, 0x80, v17
	v_cmp_le_i32_e64 s3, s4, v17
	s_or_b32 s15, s3, s15
	s_waitcnt lgkmcnt(0)
	v_sub_f32_e32 v18, v18, v1
	v_mul_f32_e32 v18, 0x3fb8aa3b, v18
	v_exp_f32_e32 v18, v18
	ds_write_b32 v16, v18
	v_add_f32_e32 v15, v15, v18
	v_add_nc_u32_e32 v16, 0x200, v16
	s_andn2_b32 exec_lo, exec_lo, s15
	s_cbranch_execnz .LBB69_27
; %bb.28:
	s_or_b32 exec_lo, exec_lo, s15
.LBB69_29:
	s_or_b32 exec_lo, exec_lo, s5
	ds_bpermute_b32 v2, v2, v15
	s_waitcnt lgkmcnt(0)
	v_add_f32_e32 v2, v15, v2
	ds_bpermute_b32 v4, v4, v2
	s_waitcnt lgkmcnt(0)
	v_add_f32_e32 v2, v2, v4
	;; [unrolled: 3-line block ×5, first 2 shown]
	s_and_saveexec_b32 s3, vcc_lo
; %bb.30:
	ds_write_b32 v7, v2 offset:208
; %bb.31:
	s_or_b32 exec_lo, exec_lo, s3
	s_waitcnt lgkmcnt(0)
	s_barrier
	buffer_gl0_inv
	s_and_saveexec_b32 s3, s1
; %bb.32:
	ds_read_b32 v2, v8 offset:208
; %bb.33:
	s_or_b32 exec_lo, exec_lo, s3
	s_waitcnt lgkmcnt(0)
	ds_bpermute_b32 v4, v13, v2
	s_waitcnt lgkmcnt(0)
	v_add_f32_e32 v2, v2, v4
	ds_bpermute_b32 v4, v14, v2
	s_waitcnt lgkmcnt(0)
	v_add_f32_e32 v2, v2, v4
	v_mov_b32_e32 v4, 0
	ds_bpermute_b32 v2, v4, v2
	s_and_saveexec_b32 s1, s2
	s_cbranch_execz .LBB69_36
; %bb.34:
	s_waitcnt lgkmcnt(0)
	v_add_f32_e32 v4, 0x358637bd, v2
	s_mov_b32 s2, 0
	v_div_scale_f32 v7, null, v4, v4, 1.0
	v_div_scale_f32 v13, vcc_lo, 1.0, v4, 1.0
	v_rcp_f32_e32 v8, v7
	v_fma_f32 v9, -v7, v8, 1.0
	v_fmac_f32_e32 v8, v9, v8
	v_mul_f32_e32 v9, v13, v8
	v_fma_f32 v14, -v7, v9, v13
	v_fmac_f32_e32 v9, v14, v8
	v_fma_f32 v7, -v7, v9, v13
	v_div_fmas_f32 v7, v7, v8, v9
	v_div_fixup_f32 v4, v7, v4, 1.0
	v_mov_b32_e32 v7, v0
.LBB69_35:                              ; =>This Inner Loop Header: Depth=1
	ds_read_b32 v8, v3
	v_add_nc_u32_e32 v7, 0x80, v7
	v_cmp_le_i32_e32 vcc_lo, s4, v7
	s_or_b32 s2, vcc_lo, s2
	s_waitcnt lgkmcnt(0)
	v_mul_f32_e32 v8, v4, v8
	ds_write_b32 v3, v8
	v_add_nc_u32_e32 v3, 0x200, v3
	s_andn2_b32 exec_lo, exec_lo, s2
	s_cbranch_execnz .LBB69_35
.LBB69_36:
	s_or_b32 exec_lo, exec_lo, s1
	s_mul_i32 s1, s7, s26
	s_waitcnt lgkmcnt(0)
	s_mul_i32 s2, s1, s9
	s_mov_b32 s1, exec_lo
	s_barrier
	buffer_gl0_inv
	v_cmpx_eq_u32_e32 0, v0
	s_cbranch_execz .LBB69_38
; %bb.37:
	s_ashr_i32 s3, s2, 31
	s_mul_i32 s40, s7, s6
	s_lshl_b64 s[4:5], s[2:3], 2
	v_mov_b32_e32 v3, 0
	s_add_u32 s3, s22, s4
	s_addc_u32 s6, s23, s5
	s_ashr_i32 s41, s40, 31
	s_lshl_b64 s[22:23], s[40:41], 2
	s_add_u32 s3, s3, s22
	s_addc_u32 s6, s6, s23
	s_ashr_i32 s9, s8, 31
	s_lshl_b64 s[40:41], s[8:9], 2
	s_add_u32 s42, s3, s40
	s_addc_u32 s43, s6, s41
	s_add_u32 s3, s20, s4
	s_addc_u32 s4, s21, s5
	;; [unrolled: 2-line block ×4, first 2 shown]
	global_store_dword v3, v1, s[42:43]
	global_store_dword v3, v2, s[4:5]
.LBB69_38:
	s_or_b32 exec_lo, exec_lo, s1
	v_mov_b32_e32 v15, 0
	v_mov_b32_e32 v14, 0
	v_mov_b32_e32 v13, 0
	s_and_saveexec_b32 s3, s0
	s_cbranch_execz .LBB69_50
; %bb.39:
	s_ashr_i32 s15, s14, 31
	s_sub_i32 s4, s39, s17
	s_lshl_b64 s[0:1], s[14:15], 1
	v_lshlrev_b32_e32 v4, 4, v12
	s_add_u32 s6, s34, s0
	s_addc_u32 s9, s35, s1
	s_abs_i32 s5, s18
	s_add_i32 s36, s36, -1
	v_cvt_f32_u32_e32 v1, s5
	s_sub_i32 s0, 0, s5
	v_add_co_u32 v18, s6, s6, v4
	v_mov_b32_e32 v16, 0
	v_rcp_iflag_f32_e32 v1, v1
	v_lshl_add_u32 v17, v10, 5, 0xe0
	v_mov_b32_e32 v13, 0
	v_mov_b32_e32 v14, 0
	v_add_co_ci_u32_e64 v19, null, s9, 0, s6
	v_mov_b32_e32 v15, 0
	s_mov_b32 s9, s13
	s_mov_b32 s6, 0
	v_mul_f32_e32 v1, 0x4f7ffffe, v1
	v_cvt_u32_f32_e32 v3, v1
	v_lshlrev_b64 v[1:2], 2, v[5:6]
	v_mul_lo_u32 v7, s0, v3
	s_lshl_b64 s[0:1], s[30:31], 2
	s_add_u32 s0, s28, s0
	s_addc_u32 s1, s29, s1
	v_add_co_u32 v6, vcc_lo, s0, v1
	v_mul_hi_u32 v8, v3, v7
	v_add_co_ci_u32_e64 v7, null, s1, v2, vcc_lo
	v_add_nc_u32_e32 v20, v3, v8
	s_branch .LBB69_42
.LBB69_40:                              ;   in Loop: Header=BB69_42 Depth=1
	s_or_b32 exec_lo, exec_lo, s1
	v_lshlrev_b32_e32 v21, 16, v36
	v_lshlrev_b32_e32 v9, 16, v9
	;; [unrolled: 1-line block ×3, first 2 shown]
	v_and_or_b32 v1, 0xffff, v1, v21
	v_and_or_b32 v2, 0xffff, v2, v9
	;; [unrolled: 1-line block ×3, first 2 shown]
	;;#ASMSTART
	v_pk_mul_f16 v1, v29, v1;

	;;#ASMEND
	;;#ASMSTART
	v_pk_mul_f16 v2, v28, v2;

	;;#ASMEND
	;; [unrolled: 4-line block ×4, first 2 shown]
	;;#ASMSTART
	v_pk_add_f16 v1, v1, v2;

	;;#ASMEND
	;;#ASMSTART
	v_pk_add_f16 v1, v1, v3;

	;;#ASMEND
	;; [unrolled: 4-line block ×3, first 2 shown]
	v_and_b32_e32 v3, 0xffff, v1
	v_lshrrev_b32_e32 v4, 16, v1
	;;#ASMSTART
	v_cvt_f32_f16 v3, v3;
	;;#ASMEND
	v_add_f32_e32 v1, v34, v35
	v_add_f32_e32 v2, v30, v32
	;;#ASMSTART
	v_cvt_f32_f16 v4, v4;
	;;#ASMEND
	v_add_f32_e32 v3, v3, v4
	v_add_f32_e32 v14, v14, v1
	;; [unrolled: 1-line block ×4, first 2 shown]
.LBB69_41:                              ;   in Loop: Header=BB69_42 Depth=1
	s_or_b32 exec_lo, exec_lo, s13
	v_add_nc_u32_e32 v5, 4, v5
	v_add_co_u32 v6, s0, v6, 16
	v_add_co_ci_u32_e64 v7, null, 0, v7, s0
	v_cmp_le_i32_e32 vcc_lo, s16, v5
	v_add_nc_u32_e32 v11, 32, v11
	v_add_nc_u32_e32 v17, 0x80, v17
	s_or_b32 s6, vcc_lo, s6
	s_andn2_b32 exec_lo, exec_lo, s6
	s_cbranch_execz .LBB69_49
.LBB69_42:                              ; =>This Inner Loop Header: Depth=1
	v_sub_nc_u32_e32 v1, 0, v11
	v_max_i32_e32 v1, v11, v1
	v_mul_hi_u32 v2, v1, s12
	v_mul_lo_u32 v3, v2, s11
	v_sub_nc_u32_e32 v1, v1, v3
	v_add_nc_u32_e32 v3, 1, v2
	v_subrev_nc_u32_e32 v4, s11, v1
	v_cmp_le_u32_e32 vcc_lo, s11, v1
	v_cndmask_b32_e32 v2, v2, v3, vcc_lo
	v_cndmask_b32_e32 v1, v1, v4, vcc_lo
	v_ashrrev_i32_e32 v3, 31, v11
	v_add_nc_u32_e32 v4, 1, v2
	v_cmp_le_u32_e32 vcc_lo, s11, v1
	v_xor_b32_e32 v3, s19, v3
	v_cndmask_b32_e32 v1, v2, v4, vcc_lo
	v_xor_b32_e32 v1, v1, v3
	v_sub_nc_u32_e32 v1, v1, v3
	v_add_nc_u32_e32 v2, s33, v1
	v_cmp_lt_i32_e64 s0, s4, v1
	v_sub_nc_u32_e32 v3, 0, v2
	v_max_i32_e32 v3, v2, v3
	v_ashrrev_i32_e32 v2, 31, v2
	v_mul_hi_u32 v4, v3, v20
	v_mul_lo_u32 v4, v4, s5
	v_sub_nc_u32_e32 v3, v3, v4
	v_subrev_nc_u32_e32 v4, s5, v3
	v_cmp_le_u32_e32 vcc_lo, s5, v3
	v_cndmask_b32_e32 v3, v3, v4, vcc_lo
	v_subrev_nc_u32_e32 v4, s5, v3
	v_cmp_le_u32_e32 vcc_lo, s5, v3
	v_cndmask_b32_e32 v3, v3, v4, vcc_lo
	v_xor_b32_e32 v3, v3, v2
	v_sub_nc_u32_e32 v2, v3, v2
	v_cmp_eq_u32_e32 vcc_lo, 0, v2
	s_or_b32 s0, vcc_lo, s0
	s_and_saveexec_b32 s13, s0
	s_cbranch_execz .LBB69_41
; %bb.43:                               ;   in Loop: Header=BB69_42 Depth=1
	global_load_dword v8, v[6:7], off
	ds_read2_b64 v[1:4], v17 offset1:1
	ds_read2_b64 v[21:24], v17 offset0:2 offset1:3
	v_cmp_eq_u32_e64 s0, s36, v5
	v_add_nc_u32_e32 v27, 1, v11
	v_add_nc_u32_e32 v25, 2, v11
	;; [unrolled: 1-line block ×3, first 2 shown]
	s_waitcnt lgkmcnt(1)
	;;#ASMSTART
	v_cvt_f16_f32 v29, v1;

	;;#ASMEND
	;;#ASMSTART
	v_cvt_f16_f32 v28, v2;

	;;#ASMEND
	;; [unrolled: 4-line block ×4, first 2 shown]
	s_waitcnt lgkmcnt(0)
	;;#ASMSTART
	v_cvt_f16_f32 v35, v21;

	;;#ASMEND
	;;#ASMSTART
	v_cvt_f16_f32 v31, v22;

	;;#ASMEND
	;; [unrolled: 4-line block ×4, first 2 shown]
	v_add_nc_u32_e32 v24, 3, v11
	v_add_nc_u32_e32 v22, 4, v11
	;; [unrolled: 1-line block ×4, first 2 shown]
	s_waitcnt vmcnt(0)
	v_mad_i64_i32 v[8:9], null, v8, s9, 0
	v_lshlrev_b64 v[8:9], 1, v[8:9]
	v_add_co_u32 v8, vcc_lo, v18, v8
	v_add_co_ci_u32_e64 v9, null, v19, v9, vcc_lo
	global_load_dwordx4 v[1:4], v[8:9], off
	s_waitcnt vmcnt(0)
	v_lshrrev_b32_e32 v38, 16, v1
	v_lshrrev_b32_e32 v37, 16, v2
	;; [unrolled: 1-line block ×3, first 2 shown]
	s_and_saveexec_b32 s14, s0
	s_cbranch_execz .LBB69_45
; %bb.44:                               ;   in Loop: Header=BB69_42 Depth=1
	v_cmp_gt_i32_e32 vcc_lo, s27, v11
	v_and_b32_e32 v39, 0xffff0000, v4
	v_cmp_gt_i32_e64 s1, s27, v25
	v_cndmask_b32_e32 v1, 0, v1, vcc_lo
	v_cmp_gt_i32_e32 vcc_lo, s27, v27
	v_cndmask_b32_e64 v2, 0, v2, s1
	v_cmp_gt_i32_e64 s1, s27, v24
	v_cndmask_b32_e32 v38, 0, v38, vcc_lo
	v_cmp_gt_i32_e32 vcc_lo, s27, v26
	v_cndmask_b32_e64 v37, 0, v37, s1
	v_cndmask_b32_sdwa v4, v16, v4, vcc_lo dst_sel:DWORD dst_unused:UNUSED_PAD src0_sel:DWORD src1_sel:WORD_0
	v_cmp_gt_i32_e32 vcc_lo, s27, v23
	v_cndmask_b32_e32 v39, 0, v39, vcc_lo
	v_cmp_gt_i32_e32 vcc_lo, s27, v22
	v_or_b32_e32 v4, v4, v39
	v_cndmask_b32_e32 v3, 0, v3, vcc_lo
	v_cmp_gt_i32_e32 vcc_lo, s27, v21
	v_cndmask_b32_e32 v36, 0, v36, vcc_lo
.LBB69_45:                              ;   in Loop: Header=BB69_42 Depth=1
	s_or_b32 exec_lo, exec_lo, s14
	v_and_b32_e32 v29, 0xffff, v29
	v_and_b32_e32 v34, 0xffff, v34
	v_lshlrev_b32_e32 v38, 16, v38
	v_and_b32_e32 v35, 0xffff, v35
	v_and_b32_e32 v33, 0xffff, v33
	v_lshl_or_b32 v29, v28, 16, v29
	v_lshl_or_b32 v28, v32, 16, v34
	v_lshlrev_b32_e32 v32, 16, v37
	v_lshlrev_b32_e32 v34, 16, v36
	v_and_or_b32 v1, 0xffff, v1, v38
	;;#ASMSTART
	v_pk_mul_f16 v1, v29, v1;

	;;#ASMEND
	v_lshl_or_b32 v31, v31, 16, v35
	v_and_or_b32 v2, 0xffff, v2, v32
	v_and_or_b32 v3, 0xffff, v3, v34
	v_lshl_or_b32 v33, v30, 16, v33
	;;#ASMSTART
	v_pk_mul_f16 v2, v28, v2;

	;;#ASMEND
	;;#ASMSTART
	v_pk_mul_f16 v3, v31, v3;

	;;#ASMEND
	;; [unrolled: 4-line block ×3, first 2 shown]
	;;#ASMSTART
	v_pk_add_f16 v1, v1, v2;

	;;#ASMEND
	;;#ASMSTART
	v_pk_add_f16 v1, v1, v3;

	;;#ASMEND
	;; [unrolled: 4-line block ×3, first 2 shown]
	v_and_b32_e32 v2, 0xffff, v1
	v_lshrrev_b32_e32 v1, 16, v1
	;;#ASMSTART
	v_cvt_f32_f16 v30, v2;
	;;#ASMEND
	;;#ASMSTART
	v_cvt_f32_f16 v32, v1;
	;;#ASMEND
	global_load_dwordx4 v[1:4], v[8:9], off offset:512
	s_waitcnt vmcnt(0)
	v_lshrrev_b32_e32 v36, 16, v1
	v_lshrrev_b32_e32 v35, 16, v2
	;; [unrolled: 1-line block ×3, first 2 shown]
	s_and_saveexec_b32 s14, s0
	s_cbranch_execz .LBB69_47
; %bb.46:                               ;   in Loop: Header=BB69_42 Depth=1
	v_cmp_gt_i32_e32 vcc_lo, s27, v11
	v_and_b32_e32 v37, 0xffff0000, v4
	v_cmp_gt_i32_e64 s1, s27, v25
	v_cndmask_b32_e32 v1, 0, v1, vcc_lo
	v_cmp_gt_i32_e32 vcc_lo, s27, v27
	v_cndmask_b32_e64 v2, 0, v2, s1
	v_cmp_gt_i32_e64 s1, s27, v24
	v_cndmask_b32_e32 v36, 0, v36, vcc_lo
	v_cmp_gt_i32_e32 vcc_lo, s27, v26
	v_cndmask_b32_e64 v35, 0, v35, s1
	v_cndmask_b32_sdwa v4, v16, v4, vcc_lo dst_sel:DWORD dst_unused:UNUSED_PAD src0_sel:DWORD src1_sel:WORD_0
	v_cmp_gt_i32_e32 vcc_lo, s27, v23
	v_cndmask_b32_e32 v37, 0, v37, vcc_lo
	v_cmp_gt_i32_e32 vcc_lo, s27, v22
	v_or_b32_e32 v4, v4, v37
	v_cndmask_b32_e32 v3, 0, v3, vcc_lo
	v_cmp_gt_i32_e32 vcc_lo, s27, v21
	v_cndmask_b32_e32 v34, 0, v34, vcc_lo
.LBB69_47:                              ;   in Loop: Header=BB69_42 Depth=1
	s_or_b32 exec_lo, exec_lo, s14
	v_lshlrev_b32_e32 v36, 16, v36
	v_lshlrev_b32_e32 v35, 16, v35
	;; [unrolled: 1-line block ×3, first 2 shown]
	v_and_or_b32 v1, 0xffff, v1, v36
	v_and_or_b32 v2, 0xffff, v2, v35
	;; [unrolled: 1-line block ×3, first 2 shown]
	;;#ASMSTART
	v_pk_mul_f16 v1, v29, v1;

	;;#ASMEND
	;;#ASMSTART
	v_pk_mul_f16 v2, v28, v2;

	;;#ASMEND
	;; [unrolled: 4-line block ×4, first 2 shown]
	;;#ASMSTART
	v_pk_add_f16 v1, v1, v2;

	;;#ASMEND
	;;#ASMSTART
	v_pk_add_f16 v1, v1, v3;

	;;#ASMEND
	;; [unrolled: 4-line block ×3, first 2 shown]
	v_and_b32_e32 v2, 0xffff, v1
	v_lshrrev_b32_e32 v1, 16, v1
	;;#ASMSTART
	v_cvt_f32_f16 v34, v2;
	;;#ASMEND
	;;#ASMSTART
	v_cvt_f32_f16 v35, v1;
	;;#ASMEND
	global_load_dwordx4 v[1:4], v[8:9], off offset:1024
	s_waitcnt vmcnt(0)
	v_lshrrev_b32_e32 v36, 16, v1
	v_lshrrev_b32_e32 v9, 16, v2
	;; [unrolled: 1-line block ×3, first 2 shown]
	s_and_saveexec_b32 s1, s0
	s_cbranch_execz .LBB69_40
; %bb.48:                               ;   in Loop: Header=BB69_42 Depth=1
	v_cmp_gt_i32_e32 vcc_lo, s27, v11
	v_cmp_gt_i32_e64 s0, s27, v25
	v_cndmask_b32_e32 v1, 0, v1, vcc_lo
	v_cmp_gt_i32_e32 vcc_lo, s27, v27
	v_cndmask_b32_e64 v2, 0, v2, s0
	v_cmp_gt_i32_e64 s0, s27, v24
	v_and_b32_e32 v24, 0xffff0000, v4
	v_cndmask_b32_e32 v36, 0, v36, vcc_lo
	v_cmp_gt_i32_e32 vcc_lo, s27, v26
	v_cndmask_b32_e64 v9, 0, v9, s0
	v_cndmask_b32_sdwa v4, v16, v4, vcc_lo dst_sel:DWORD dst_unused:UNUSED_PAD src0_sel:DWORD src1_sel:WORD_0
	v_cmp_gt_i32_e32 vcc_lo, s27, v23
	v_cndmask_b32_e32 v23, 0, v24, vcc_lo
	v_cmp_gt_i32_e32 vcc_lo, s27, v22
	v_or_b32_e32 v4, v4, v23
	v_cndmask_b32_e32 v3, 0, v3, vcc_lo
	v_cmp_gt_i32_e32 vcc_lo, s27, v21
	v_cndmask_b32_e32 v8, 0, v8, vcc_lo
	s_branch .LBB69_40
.LBB69_49:
	s_or_b32 exec_lo, exec_lo, s6
.LBB69_50:
	s_or_b32 exec_lo, exec_lo, s3
	v_lshl_add_u32 v2, v12, 2, 0xe0
	v_and_b32_e32 v3, 0x3c0, v0
	s_mov_b32 s0, exec_lo
	s_waitcnt_vscnt null, 0x0
	s_barrier
	v_mad_u32_u24 v1, 0x180, v10, v2
	buffer_gl0_inv
	v_cmpx_eq_u32_e32 64, v3
	s_cbranch_execz .LBB69_52
; %bb.51:
	v_add_nc_u32_e32 v3, 0xfffffd00, v1
	v_add_nc_u32_e32 v4, 0xfffffd80, v1
	v_add_nc_u32_e32 v5, 0xfffffe00, v1
	ds_write_b32 v3, v15
	ds_write_b32 v4, v14
	;; [unrolled: 1-line block ×3, first 2 shown]
.LBB69_52:
	s_or_b32 exec_lo, exec_lo, s0
	s_mov_b32 s0, exec_lo
	s_waitcnt lgkmcnt(0)
	s_barrier
	buffer_gl0_inv
	v_cmpx_gt_u32_e32 64, v0
	s_cbranch_execz .LBB69_54
; %bb.53:
	ds_read2_b32 v[3:4], v1 offset1:32
	ds_read_b32 v5, v1 offset:256
	s_waitcnt lgkmcnt(1)
	v_add_f32_e32 v15, v15, v3
	v_add_f32_e32 v14, v14, v4
	s_waitcnt lgkmcnt(0)
	v_add_f32_e32 v13, v13, v5
.LBB69_54:
	s_or_b32 exec_lo, exec_lo, s0
	v_and_b32_e32 v3, 0x3e0, v0
	s_mov_b32 s0, exec_lo
	s_barrier
	buffer_gl0_inv
	v_cmpx_eq_u32_e32 32, v3
	s_cbranch_execz .LBB69_56
; %bb.55:
	ds_write2_b32 v2, v15, v14 offset1:32
	ds_write_b32 v2, v13 offset:256
.LBB69_56:
	s_or_b32 exec_lo, exec_lo, s0
	v_cmp_gt_u32_e32 vcc_lo, 32, v0
	s_waitcnt lgkmcnt(0)
	s_barrier
	buffer_gl0_inv
	s_and_saveexec_b32 s0, vcc_lo
	s_cbranch_execz .LBB69_58
; %bb.57:
	ds_read2_b32 v[2:3], v1 offset1:32
	ds_read_b32 v1, v1 offset:256
	s_waitcnt lgkmcnt(1)
	v_add_f32_e32 v15, v15, v2
	v_add_f32_e32 v14, v14, v3
	s_waitcnt lgkmcnt(0)
	v_add_f32_e32 v13, v13, v1
.LBB69_58:
	s_or_b32 exec_lo, exec_lo, s0
	s_barrier
	buffer_gl0_inv
	s_and_saveexec_b32 s0, vcc_lo
	s_cbranch_execz .LBB69_60
; %bb.59:
	s_mul_i32 s0, s2, 0x60
	s_mul_i32 s2, s7, s10
	s_ashr_i32 s1, s0, 31
	v_lshlrev_b32_e32 v0, 1, v0
	s_lshl_b64 s[0:1], s[0:1], 1
	;;#ASMSTART
	v_cvt_f16_f32 v1, v15;

	;;#ASMEND
	s_add_u32 s4, s24, s0
	s_addc_u32 s5, s25, s1
	s_ashr_i32 s3, s2, 31
	s_lshl_b64 s[0:1], s[2:3], 1
	s_mul_i32 s2, s8, 0x60
	s_add_u32 s4, s4, s0
	s_addc_u32 s5, s5, s1
	s_ashr_i32 s3, s2, 31
	s_lshl_b64 s[0:1], s[2:3], 1
	s_add_u32 s0, s4, s0
	s_addc_u32 s1, s5, s1
	global_store_short v0, v1, s[0:1]
	;;#ASMSTART
	v_cvt_f16_f32 v1, v14;

	;;#ASMEND
	global_store_short v0, v1, s[0:1] offset:64
	;;#ASMSTART
	v_cvt_f16_f32 v1, v13;

	;;#ASMEND
	global_store_short v0, v1, s[0:1] offset:128
.LBB69_60:
	s_endpgm
	.section	.rodata,"a",@progbits
	.p2align	6, 0x0
	.amdhsa_kernel _ZN4vllm25paged_attention_v2_kernelIttLi96ELi8ELi128ELNS_18Fp8KVCacheDataTypeE0ELb1ELi512EEEvPfS2_PT_PKS3_PKT0_S9_ifPKiSB_iPKfiiiSD_SD_iiiii
		.amdhsa_group_segment_fixed_size 224
		.amdhsa_private_segment_fixed_size 0
		.amdhsa_kernarg_size 400
		.amdhsa_user_sgpr_count 6
		.amdhsa_user_sgpr_private_segment_buffer 1
		.amdhsa_user_sgpr_dispatch_ptr 0
		.amdhsa_user_sgpr_queue_ptr 0
		.amdhsa_user_sgpr_kernarg_segment_ptr 1
		.amdhsa_user_sgpr_dispatch_id 0
		.amdhsa_user_sgpr_flat_scratch_init 0
		.amdhsa_user_sgpr_private_segment_size 0
		.amdhsa_wavefront_size32 1
		.amdhsa_uses_dynamic_stack 0
		.amdhsa_system_sgpr_private_segment_wavefront_offset 0
		.amdhsa_system_sgpr_workgroup_id_x 1
		.amdhsa_system_sgpr_workgroup_id_y 1
		.amdhsa_system_sgpr_workgroup_id_z 1
		.amdhsa_system_sgpr_workgroup_info 0
		.amdhsa_system_vgpr_workitem_id 0
		.amdhsa_next_free_vgpr 64
		.amdhsa_next_free_sgpr 46
		.amdhsa_reserve_vcc 1
		.amdhsa_reserve_flat_scratch 0
		.amdhsa_float_round_mode_32 0
		.amdhsa_float_round_mode_16_64 0
		.amdhsa_float_denorm_mode_32 3
		.amdhsa_float_denorm_mode_16_64 3
		.amdhsa_dx10_clamp 1
		.amdhsa_ieee_mode 1
		.amdhsa_fp16_overflow 0
		.amdhsa_workgroup_processor_mode 1
		.amdhsa_memory_ordered 1
		.amdhsa_forward_progress 1
		.amdhsa_shared_vgpr_count 0
		.amdhsa_exception_fp_ieee_invalid_op 0
		.amdhsa_exception_fp_denorm_src 0
		.amdhsa_exception_fp_ieee_div_zero 0
		.amdhsa_exception_fp_ieee_overflow 0
		.amdhsa_exception_fp_ieee_underflow 0
		.amdhsa_exception_fp_ieee_inexact 0
		.amdhsa_exception_int_div_zero 0
	.end_amdhsa_kernel
	.section	.text._ZN4vllm25paged_attention_v2_kernelIttLi96ELi8ELi128ELNS_18Fp8KVCacheDataTypeE0ELb1ELi512EEEvPfS2_PT_PKS3_PKT0_S9_ifPKiSB_iPKfiiiSD_SD_iiiii,"axG",@progbits,_ZN4vllm25paged_attention_v2_kernelIttLi96ELi8ELi128ELNS_18Fp8KVCacheDataTypeE0ELb1ELi512EEEvPfS2_PT_PKS3_PKT0_S9_ifPKiSB_iPKfiiiSD_SD_iiiii,comdat
.Lfunc_end69:
	.size	_ZN4vllm25paged_attention_v2_kernelIttLi96ELi8ELi128ELNS_18Fp8KVCacheDataTypeE0ELb1ELi512EEEvPfS2_PT_PKS3_PKT0_S9_ifPKiSB_iPKfiiiSD_SD_iiiii, .Lfunc_end69-_ZN4vllm25paged_attention_v2_kernelIttLi96ELi8ELi128ELNS_18Fp8KVCacheDataTypeE0ELb1ELi512EEEvPfS2_PT_PKS3_PKT0_S9_ifPKiSB_iPKfiiiSD_SD_iiiii
                                        ; -- End function
	.set _ZN4vllm25paged_attention_v2_kernelIttLi96ELi8ELi128ELNS_18Fp8KVCacheDataTypeE0ELb1ELi512EEEvPfS2_PT_PKS3_PKT0_S9_ifPKiSB_iPKfiiiSD_SD_iiiii.num_vgpr, 64
	.set _ZN4vllm25paged_attention_v2_kernelIttLi96ELi8ELi128ELNS_18Fp8KVCacheDataTypeE0ELb1ELi512EEEvPfS2_PT_PKS3_PKT0_S9_ifPKiSB_iPKfiiiSD_SD_iiiii.num_agpr, 0
	.set _ZN4vllm25paged_attention_v2_kernelIttLi96ELi8ELi128ELNS_18Fp8KVCacheDataTypeE0ELb1ELi512EEEvPfS2_PT_PKS3_PKT0_S9_ifPKiSB_iPKfiiiSD_SD_iiiii.numbered_sgpr, 46
	.set _ZN4vllm25paged_attention_v2_kernelIttLi96ELi8ELi128ELNS_18Fp8KVCacheDataTypeE0ELb1ELi512EEEvPfS2_PT_PKS3_PKT0_S9_ifPKiSB_iPKfiiiSD_SD_iiiii.num_named_barrier, 0
	.set _ZN4vllm25paged_attention_v2_kernelIttLi96ELi8ELi128ELNS_18Fp8KVCacheDataTypeE0ELb1ELi512EEEvPfS2_PT_PKS3_PKT0_S9_ifPKiSB_iPKfiiiSD_SD_iiiii.private_seg_size, 0
	.set _ZN4vllm25paged_attention_v2_kernelIttLi96ELi8ELi128ELNS_18Fp8KVCacheDataTypeE0ELb1ELi512EEEvPfS2_PT_PKS3_PKT0_S9_ifPKiSB_iPKfiiiSD_SD_iiiii.uses_vcc, 1
	.set _ZN4vllm25paged_attention_v2_kernelIttLi96ELi8ELi128ELNS_18Fp8KVCacheDataTypeE0ELb1ELi512EEEvPfS2_PT_PKS3_PKT0_S9_ifPKiSB_iPKfiiiSD_SD_iiiii.uses_flat_scratch, 0
	.set _ZN4vllm25paged_attention_v2_kernelIttLi96ELi8ELi128ELNS_18Fp8KVCacheDataTypeE0ELb1ELi512EEEvPfS2_PT_PKS3_PKT0_S9_ifPKiSB_iPKfiiiSD_SD_iiiii.has_dyn_sized_stack, 0
	.set _ZN4vllm25paged_attention_v2_kernelIttLi96ELi8ELi128ELNS_18Fp8KVCacheDataTypeE0ELb1ELi512EEEvPfS2_PT_PKS3_PKT0_S9_ifPKiSB_iPKfiiiSD_SD_iiiii.has_recursion, 0
	.set _ZN4vllm25paged_attention_v2_kernelIttLi96ELi8ELi128ELNS_18Fp8KVCacheDataTypeE0ELb1ELi512EEEvPfS2_PT_PKS3_PKT0_S9_ifPKiSB_iPKfiiiSD_SD_iiiii.has_indirect_call, 0
	.section	.AMDGPU.csdata,"",@progbits
; Kernel info:
; codeLenInByte = 6572
; TotalNumSgprs: 48
; NumVgprs: 64
; ScratchSize: 0
; MemoryBound: 0
; FloatMode: 240
; IeeeMode: 1
; LDSByteSize: 224 bytes/workgroup (compile time only)
; SGPRBlocks: 0
; VGPRBlocks: 7
; NumSGPRsForWavesPerEU: 48
; NumVGPRsForWavesPerEU: 64
; Occupancy: 16
; WaveLimiterHint : 1
; COMPUTE_PGM_RSRC2:SCRATCH_EN: 0
; COMPUTE_PGM_RSRC2:USER_SGPR: 6
; COMPUTE_PGM_RSRC2:TRAP_HANDLER: 0
; COMPUTE_PGM_RSRC2:TGID_X_EN: 1
; COMPUTE_PGM_RSRC2:TGID_Y_EN: 1
; COMPUTE_PGM_RSRC2:TGID_Z_EN: 1
; COMPUTE_PGM_RSRC2:TIDIG_COMP_CNT: 0
	.section	.text._ZN4vllm32paged_attention_v2_reduce_kernelItLi96ELi128ELi512EEEvPT_PKfS4_PKS1_PKii,"axG",@progbits,_ZN4vllm32paged_attention_v2_reduce_kernelItLi96ELi128ELi512EEEvPT_PKfS4_PKS1_PKii,comdat
	.protected	_ZN4vllm32paged_attention_v2_reduce_kernelItLi96ELi128ELi512EEEvPT_PKfS4_PKS1_PKii ; -- Begin function _ZN4vllm32paged_attention_v2_reduce_kernelItLi96ELi128ELi512EEEvPT_PKfS4_PKS1_PKii
	.globl	_ZN4vllm32paged_attention_v2_reduce_kernelItLi96ELi128ELi512EEEvPT_PKfS4_PKS1_PKii
	.p2align	8
	.type	_ZN4vllm32paged_attention_v2_reduce_kernelItLi96ELi128ELi512EEEvPT_PKfS4_PKS1_PKii,@function
_ZN4vllm32paged_attention_v2_reduce_kernelItLi96ELi128ELi512EEEvPT_PKfS4_PKS1_PKii: ; @_ZN4vllm32paged_attention_v2_reduce_kernelItLi96ELi128ELi512EEEvPT_PKfS4_PKS1_PKii
; %bb.0:
	s_load_dwordx4 s[8:11], s[4:5], 0x18
	s_add_u32 s14, s4, 48
	s_mov_b32 s12, s7
	s_addc_u32 s15, s5, 0
	s_ashr_i32 s13, s7, 31
	s_lshl_b64 s[0:1], s[12:13], 2
	s_waitcnt lgkmcnt(0)
	s_add_u32 s0, s10, s0
	s_addc_u32 s1, s11, s1
	s_load_dword s22, s[0:1], 0x0
	s_clause 0x2
	s_load_dwordx2 s[10:11], s[4:5], 0x0
	s_load_dword s7, s[4:5], 0x28
	s_load_dword s13, s[4:5], 0x30
	s_waitcnt lgkmcnt(0)
	s_add_i32 s0, s22, -1
	s_cmpk_gt_u32 s0, 0x1ff
	s_mov_b32 s0, -1
	s_cbranch_scc0 .LBB70_25
; %bb.1:
	s_load_dwordx2 s[2:3], s[4:5], 0x8
	s_add_i32 s0, s22, 0x1ff
	s_mul_i32 s20, s13, s12
	s_ashr_i32 s1, s0, 31
	v_mov_b32_e32 v4, 0xff7fffff
	s_lshr_b32 s1, s1, 23
	v_lshlrev_b32_e32 v3, 2, v0
	s_add_i32 s0, s0, s1
	s_mul_i32 s16, s20, s7
	s_ashr_i32 s21, s0, 9
	s_mul_i32 s18, s7, s6
	v_cmp_gt_i32_e32 vcc_lo, s21, v0
	s_ashr_i32 s17, s16, 31
	s_ashr_i32 s19, s18, 31
	s_and_saveexec_b32 s1, vcc_lo
	s_cbranch_execz .LBB70_5
; %bb.2:
	s_load_dword s0, s[14:15], 0xc
	s_load_dwordx2 s[24:25], s[4:5], 0x10
	s_lshl_b64 s[26:27], s[16:17], 2
	s_lshl_b64 s[28:29], s[18:19], 2
	v_add_nc_u32_e32 v5, 32, v3
	v_mov_b32_e32 v4, 0xff7fffff
	v_mov_b32_e32 v6, v0
	s_waitcnt lgkmcnt(0)
	s_and_b32 s4, s0, 0xffff
	s_add_u32 s0, s26, s28
	s_addc_u32 s5, s27, s29
	s_add_u32 s0, s24, s0
	s_addc_u32 s5, s25, s5
	v_add_co_u32 v1, s0, s0, v3
	v_add_co_ci_u32_e64 v2, null, s5, 0, s0
	s_mov_b32 s5, 0
	s_lshl_b32 s23, s4, 2
	.p2align	6
.LBB70_3:                               ; =>This Inner Loop Header: Depth=1
	global_load_dword v7, v[1:2], off
	v_add_nc_u32_e32 v6, s4, v6
	v_max_f32_e32 v4, v4, v4
	v_add_co_u32 v1, s0, v1, s23
	v_add_co_ci_u32_e64 v2, null, 0, v2, s0
	v_cmp_le_i32_e64 s0, s21, v6
	s_or_b32 s5, s0, s5
	s_waitcnt vmcnt(0)
	v_max_f32_e32 v8, v7, v7
	ds_write_b32 v5, v7
	v_add_nc_u32_e32 v5, s23, v5
	v_max_f32_e32 v4, v4, v8
	s_andn2_b32 exec_lo, exec_lo, s5
	s_cbranch_execnz .LBB70_3
; %bb.4:
	s_or_b32 exec_lo, exec_lo, s5
.LBB70_5:
	s_or_b32 exec_lo, exec_lo, s1
	v_mbcnt_lo_u32_b32 v1, -1, 0
	s_waitcnt lgkmcnt(0)
	s_barrier
	buffer_gl0_inv
	v_xor_b32_e32 v2, 16, v1
	v_xor_b32_e32 v5, 8, v1
	v_cmp_gt_i32_e64 s0, 32, v2
	v_cndmask_b32_e64 v2, v1, v2, s0
	v_cmp_gt_i32_e64 s0, 32, v5
	v_lshlrev_b32_e32 v6, 2, v2
	v_cndmask_b32_e64 v5, v1, v5, s0
	ds_bpermute_b32 v2, v6, v4
	v_max_f32_e32 v4, v4, v4
	v_lshlrev_b32_e32 v7, 2, v5
	v_xor_b32_e32 v5, 4, v1
	v_cmp_gt_i32_e64 s0, 32, v5
	v_cndmask_b32_e64 v5, v1, v5, s0
	v_lshlrev_b32_e32 v8, 2, v5
	v_xor_b32_e32 v5, 2, v1
	s_waitcnt lgkmcnt(0)
	v_max_f32_e32 v2, v2, v2
	v_cmp_gt_i32_e64 s0, 32, v5
	v_max_f32_e32 v2, v4, v2
	v_cndmask_b32_e64 v5, v1, v5, s0
	ds_bpermute_b32 v4, v7, v2
	s_waitcnt lgkmcnt(0)
	v_max_f32_e32 v4, v4, v4
	v_max_f32_e32 v2, v2, v4
	ds_bpermute_b32 v4, v8, v2
	s_waitcnt lgkmcnt(0)
	v_max_f32_e32 v9, v4, v4
	v_lshlrev_b32_e32 v4, 2, v5
	v_max_f32_e32 v2, v2, v9
	v_xor_b32_e32 v9, 1, v1
	ds_bpermute_b32 v5, v4, v2
	v_cmp_gt_i32_e64 s0, 32, v9
	v_cndmask_b32_e64 v1, v1, v9, s0
	v_lshrrev_b32_e32 v9, 5, v0
	v_lshlrev_b32_e32 v9, 2, v9
	s_waitcnt lgkmcnt(0)
	v_max_f32_e32 v5, v5, v5
	v_max_f32_e32 v2, v2, v5
	v_lshlrev_b32_e32 v5, 2, v1
	v_and_b32_e32 v1, 31, v0
	ds_bpermute_b32 v10, v5, v2
	v_cmp_eq_u32_e64 s0, 0, v1
	s_and_saveexec_b32 s1, s0
	s_cbranch_execz .LBB70_7
; %bb.6:
	s_waitcnt lgkmcnt(0)
	v_max_f32_e32 v10, v10, v10
	v_max_f32_e32 v2, v2, v2
	;; [unrolled: 1-line block ×3, first 2 shown]
	ds_write_b32 v9, v2
.LBB70_7:
	s_or_b32 exec_lo, exec_lo, s1
	v_cmp_gt_u32_e64 s1, 4, v1
	v_mov_b32_e32 v2, 0xff7fffff
	s_waitcnt lgkmcnt(0)
	v_lshlrev_b32_e32 v10, 2, v1
	s_barrier
	buffer_gl0_inv
	s_and_saveexec_b32 s4, s1
; %bb.8:
	ds_read_b32 v2, v10
; %bb.9:
	s_or_b32 exec_lo, exec_lo, s4
	s_waitcnt lgkmcnt(0)
	ds_bpermute_b32 v1, v4, v2
	v_max_f32_e32 v2, v2, v2
	v_mov_b32_e32 v11, 0
	s_lshl_b32 s4, s21, 2
	s_waitcnt lgkmcnt(0)
	v_max_f32_e32 v1, v1, v1
	v_max_f32_e32 v1, v2, v1
	ds_bpermute_b32 v2, v5, v1
	s_waitcnt lgkmcnt(0)
	v_max_f32_e32 v2, v2, v2
	v_max_f32_e32 v1, v1, v2
	ds_bpermute_b32 v12, v11, v1
	s_and_saveexec_b32 s5, vcc_lo
	s_cbranch_execz .LBB70_13
; %bb.10:
	s_load_dword s23, s[14:15], 0xc
	s_lshl_b64 s[24:25], s[16:17], 2
	s_lshl_b64 s[26:27], s[18:19], 2
	v_mov_b32_e32 v11, 0
	v_add_nc_u32_e32 v13, 32, v3
	s_waitcnt lgkmcnt(0)
	s_and_b32 s17, s23, 0xffff
	s_add_u32 s19, s24, s26
	s_addc_u32 s23, s25, s27
	s_add_u32 s2, s2, s19
	s_addc_u32 s3, s3, s23
	v_add_co_u32 v1, s2, s2, v3
	v_add_co_ci_u32_e64 v2, null, s3, 0, s2
	v_mov_b32_e32 v3, v0
	s_mov_b32 s3, 0
	s_lshl_b32 s19, s17, 2
	s_inst_prefetch 0x1
	.p2align	6
.LBB70_11:                              ; =>This Inner Loop Header: Depth=1
	global_load_dword v14, v[1:2], off
	ds_read_b32 v15, v13
	v_add_nc_u32_e32 v3, s17, v3
	s_waitcnt lgkmcnt(0)
	v_sub_f32_e32 v15, v15, v12
	v_mul_f32_e32 v16, 0x3fb8aa3b, v15
	v_cmp_ngt_f32_e32 vcc_lo, 0xc2ce8ed0, v15
	v_cmp_nlt_f32_e64 s2, 0x42b17218, v15
	v_fma_f32 v17, 0x3fb8aa3b, v15, -v16
	v_rndne_f32_e32 v18, v16
	v_fmac_f32_e32 v17, 0x32a5705f, v15
	v_sub_f32_e32 v16, v16, v18
	v_add_f32_e32 v16, v16, v17
	v_cvt_i32_f32_e32 v17, v18
	v_exp_f32_e32 v16, v16
	v_ldexp_f32 v16, v16, v17
	v_add_nc_u32_e32 v17, s4, v13
	v_add_nc_u32_e32 v13, s19, v13
	v_cndmask_b32_e32 v16, 0, v16, vcc_lo
	v_add_co_u32 v1, vcc_lo, v1, s19
	v_add_co_ci_u32_e64 v2, null, 0, v2, vcc_lo
	v_cndmask_b32_e64 v15, 0x7f800000, v16, s2
	v_cmp_le_i32_e32 vcc_lo, s21, v3
	s_or_b32 s3, vcc_lo, s3
	s_waitcnt vmcnt(0)
	v_mul_f32_e32 v16, v14, v15
	v_fmac_f32_e32 v11, v14, v15
	ds_write_b32 v17, v16
	s_andn2_b32 exec_lo, exec_lo, s3
	s_cbranch_execnz .LBB70_11
; %bb.12:
	s_inst_prefetch 0x2
	s_or_b32 exec_lo, exec_lo, s3
.LBB70_13:
	s_or_b32 exec_lo, exec_lo, s5
	ds_bpermute_b32 v1, v6, v11
	s_waitcnt lgkmcnt(0)
	s_barrier
	buffer_gl0_inv
	v_add_f32_e32 v1, v11, v1
	ds_bpermute_b32 v2, v7, v1
	s_waitcnt lgkmcnt(0)
	v_add_f32_e32 v1, v1, v2
	ds_bpermute_b32 v2, v8, v1
	s_waitcnt lgkmcnt(0)
	;; [unrolled: 3-line block ×4, first 2 shown]
	v_add_f32_e32 v1, v1, v2
	s_and_saveexec_b32 s2, s0
; %bb.14:
	ds_write_b32 v9, v1 offset:16
; %bb.15:
	s_or_b32 exec_lo, exec_lo, s2
	s_waitcnt lgkmcnt(0)
	s_barrier
	buffer_gl0_inv
	s_and_saveexec_b32 s0, s1
; %bb.16:
	ds_read_b32 v1, v10 offset:16
; %bb.17:
	s_or_b32 exec_lo, exec_lo, s0
	s_waitcnt lgkmcnt(0)
	ds_bpermute_b32 v2, v4, v1
	s_mov_b32 s0, exec_lo
	s_waitcnt lgkmcnt(0)
	v_add_f32_e32 v1, v1, v2
	ds_bpermute_b32 v2, v5, v1
	s_waitcnt lgkmcnt(0)
	v_add_f32_e32 v1, v1, v2
	v_mov_b32_e32 v2, 0
	ds_bpermute_b32 v2, v2, v1
	v_cmpx_gt_u32_e32 0x60, v0
	s_cbranch_execz .LBB70_24
; %bb.18:
	s_cmp_gt_i32 s22, 0
	s_mov_b32 s1, 0
	s_cbranch_scc1 .LBB70_20
; %bb.19:
	v_mov_b32_e32 v1, 0
	v_mov_b32_e32 v4, 0
	s_andn2_b32 vcc_lo, exec_lo, s1
	s_cbranch_vccz .LBB70_21
	s_branch .LBB70_23
.LBB70_20:
	v_mov_b32_e32 v4, 0
.LBB70_21:
	s_waitcnt lgkmcnt(0)
	v_add_f32_e32 v4, 0x358637bd, v2
	s_mulk_i32 s16, 0x60
	s_mulk_i32 s18, 0x60
	s_ashr_i32 s17, s16, 31
	s_ashr_i32 s19, s18, 31
	v_div_scale_f32 v2, null, v4, v4, 1.0
	v_div_scale_f32 v5, vcc_lo, 1.0, v4, 1.0
	s_add_i32 s2, s4, 32
	v_rcp_f32_e32 v3, v2
	s_lshl_b64 s[4:5], s[16:17], 1
	s_lshl_b64 s[16:17], s[18:19], 1
	s_max_i32 s1, s21, 1
	s_add_u32 s3, s4, s16
	s_addc_u32 s4, s5, s17
	s_add_u32 s3, s8, s3
	s_addc_u32 s4, s9, s4
	v_fma_f32 v1, -v2, v3, 1.0
	v_fmac_f32_e32 v3, v1, v3
	v_mov_b32_e32 v1, 0
	v_mul_f32_e32 v6, v5, v3
	v_fma_f32 v7, -v2, v6, v5
	v_fmac_f32_e32 v6, v7, v3
	v_lshlrev_b32_e32 v7, 1, v0
	v_fma_f32 v2, -v2, v6, v5
	v_div_fmas_f32 v5, v2, v3, v6
	v_add_co_u32 v2, s3, s3, v7
	v_add_co_ci_u32_e64 v3, null, s4, 0, s3
	v_div_fixup_f32 v5, v5, v4, 1.0
	v_mov_b32_e32 v4, v1
	.p2align	6
.LBB70_22:                              ; =>This Inner Loop Header: Depth=1
	v_mov_b32_e32 v6, s2
	global_load_ushort v7, v[2:3], off
	s_waitcnt vmcnt(0)
	;;#ASMSTART
	v_cvt_f32_f16 v7, v7;
	;;#ASMEND
	v_add_co_u32 v2, vcc_lo, 0xc0, v2
	ds_read_b32 v6, v6
	v_add_co_ci_u32_e64 v3, null, 0, v3, vcc_lo
	s_add_i32 s1, s1, -1
	s_add_i32 s2, s2, 4
	s_cmp_eq_u32 s1, 0
	s_waitcnt lgkmcnt(0)
	v_mul_f32_e32 v6, v7, v6
	v_fmac_f32_e32 v4, v5, v6
	s_cbranch_scc0 .LBB70_22
.LBB70_23:
	s_mul_i32 s2, s20, 0x60
	s_mul_i32 s4, s6, 0x60
	s_ashr_i32 s3, s2, 31
	s_waitcnt lgkmcnt(0)
	v_lshlrev_b64 v[1:2], 1, v[0:1]
	s_lshl_b64 s[2:3], s[2:3], 1
	;;#ASMSTART
	v_cvt_f16_f32 v3, v4;

	;;#ASMEND
	s_add_u32 s1, s10, s2
	s_addc_u32 s16, s11, s3
	s_ashr_i32 s5, s4, 31
	s_lshl_b64 s[2:3], s[4:5], 1
	s_add_u32 s1, s1, s2
	s_addc_u32 s2, s16, s3
	v_add_co_u32 v1, vcc_lo, s1, v1
	v_add_co_ci_u32_e64 v2, null, s2, v2, vcc_lo
	global_store_short v[1:2], v3, off
.LBB70_24:
	s_or_b32 exec_lo, exec_lo, s0
	s_mov_b32 s0, 0
.LBB70_25:
	s_and_b32 vcc_lo, exec_lo, s0
	s_cbranch_vccz .LBB70_34
; %bb.26:
	s_mov_b32 s0, exec_lo
	v_cmpx_gt_u32_e32 0x60, v0
	s_cbranch_execz .LBB70_34
; %bb.27:
	s_load_dword s0, s[14:15], 0xc
	s_mul_i32 s1, s13, s12
	s_mul_i32 s4, s6, 0x60
	;; [unrolled: 1-line block ×5, first 2 shown]
	v_cmp_gt_u32_e32 vcc_lo, 0x5d, v0
	s_ashr_i32 s5, s4, 31
	s_ashr_i32 s13, s12, 31
	;; [unrolled: 1-line block ×4, first 2 shown]
	s_waitcnt lgkmcnt(0)
	s_and_b32 s1, s0, 0xffff
	s_cmp_eq_u32 s1, 1
	s_cselect_b32 s0, -1, 0
	s_and_b32 s15, vcc_lo, s0
	s_mov_b32 s0, -1
	s_and_saveexec_b32 s14, s15
	s_cbranch_execz .LBB70_31
; %bb.28:
	s_lshl_b64 s[16:17], s[6:7], 1
	s_lshl_b64 s[18:19], s[2:3], 1
	v_lshlrev_b32_e32 v1, 1, v0
	s_add_u32 s0, s16, s18
	s_addc_u32 s15, s17, s19
	s_add_u32 s0, s8, s0
	s_addc_u32 s15, s9, s15
	s_lshl_b64 s[16:17], s[12:13], 1
	s_lshl_b64 s[18:19], s[4:5], 1
	v_add_co_u32 v2, s0, s0, v1
	v_add_co_ci_u32_e64 v3, null, s15, 0, s0
	s_add_u32 s0, s16, s18
	v_sub_nc_u32_e32 v5, 0x60, v0
	s_addc_u32 s15, s17, s19
	s_add_u32 s0, s10, s0
	s_addc_u32 s15, s11, s15
	v_add_co_u32 v4, s0, s0, v1
	v_and_b32_e32 v6, 0x7c, v5
	v_add_co_ci_u32_e64 v7, null, s15, 0, s0
	v_add_co_u32 v1, vcc_lo, v2, 4
	v_add_co_ci_u32_e64 v2, null, 0, v3, vcc_lo
	v_add_co_u32 v3, vcc_lo, v4, 4
	v_add_co_ci_u32_e64 v4, null, 0, v7, vcc_lo
	v_mov_b32_e32 v7, v6
	s_mov_b32 s15, 0
	.p2align	6
.LBB70_29:                              ; =>This Inner Loop Header: Depth=1
	global_load_dwordx2 v[8:9], v[1:2], off offset:-4
	v_add_nc_u32_e32 v7, -4, v7
	v_add_co_u32 v1, vcc_lo, v1, 8
	v_add_co_ci_u32_e64 v2, null, 0, v2, vcc_lo
	v_cmp_eq_u32_e32 vcc_lo, 0, v7
	s_or_b32 s15, vcc_lo, s15
	s_waitcnt vmcnt(0)
	global_store_dwordx2 v[3:4], v[8:9], off offset:-4
	v_add_co_u32 v3, s0, v3, 8
	v_add_co_ci_u32_e64 v4, null, 0, v4, s0
	s_andn2_b32 exec_lo, exec_lo, s15
	s_cbranch_execnz .LBB70_29
; %bb.30:
	s_or_b32 exec_lo, exec_lo, s15
	v_cmp_ne_u32_e32 vcc_lo, v5, v6
	v_add_nc_u32_e32 v0, v0, v6
	s_orn2_b32 s0, vcc_lo, exec_lo
.LBB70_31:
	s_or_b32 exec_lo, exec_lo, s14
	s_and_b32 exec_lo, exec_lo, s0
	s_cbranch_execz .LBB70_34
; %bb.32:
	s_lshl_b64 s[12:13], s[12:13], 1
	v_lshlrev_b32_e32 v1, 1, v0
	s_add_u32 s0, s10, s12
	s_addc_u32 s10, s11, s13
	s_lshl_b64 s[4:5], s[4:5], 1
	v_mov_b32_e32 v2, 0
	s_add_u32 s4, s0, s4
	s_addc_u32 s5, s10, s5
	s_lshl_b64 s[6:7], s[6:7], 1
	s_add_u32 s0, s8, s6
	s_addc_u32 s6, s9, s7
	s_lshl_b64 s[2:3], s[2:3], 1
	s_add_u32 s2, s0, s2
	s_addc_u32 s3, s6, s3
	s_mov_b32 s6, 0
	s_lshl_b32 s7, s1, 1
	.p2align	6
.LBB70_33:                              ; =>This Inner Loop Header: Depth=1
	v_add_co_u32 v3, vcc_lo, s2, v1
	v_add_co_ci_u32_e64 v4, null, s3, v2, vcc_lo
	v_add_nc_u32_e32 v0, s1, v0
	global_load_ushort v5, v[3:4], off
	v_add_co_u32 v3, vcc_lo, s4, v1
	v_add_co_ci_u32_e64 v4, null, s5, v2, vcc_lo
	v_cmp_lt_u32_e32 vcc_lo, 0x5f, v0
	v_add_co_u32 v1, s0, v1, s7
	v_add_co_ci_u32_e64 v2, null, 0, v2, s0
	s_or_b32 s6, vcc_lo, s6
	s_waitcnt vmcnt(0)
	global_store_short v[3:4], v5, off
	s_andn2_b32 exec_lo, exec_lo, s6
	s_cbranch_execnz .LBB70_33
.LBB70_34:
	s_endpgm
	.section	.rodata,"a",@progbits
	.p2align	6, 0x0
	.amdhsa_kernel _ZN4vllm32paged_attention_v2_reduce_kernelItLi96ELi128ELi512EEEvPT_PKfS4_PKS1_PKii
		.amdhsa_group_segment_fixed_size 32
		.amdhsa_private_segment_fixed_size 0
		.amdhsa_kernarg_size 304
		.amdhsa_user_sgpr_count 6
		.amdhsa_user_sgpr_private_segment_buffer 1
		.amdhsa_user_sgpr_dispatch_ptr 0
		.amdhsa_user_sgpr_queue_ptr 0
		.amdhsa_user_sgpr_kernarg_segment_ptr 1
		.amdhsa_user_sgpr_dispatch_id 0
		.amdhsa_user_sgpr_flat_scratch_init 0
		.amdhsa_user_sgpr_private_segment_size 0
		.amdhsa_wavefront_size32 1
		.amdhsa_uses_dynamic_stack 0
		.amdhsa_system_sgpr_private_segment_wavefront_offset 0
		.amdhsa_system_sgpr_workgroup_id_x 1
		.amdhsa_system_sgpr_workgroup_id_y 1
		.amdhsa_system_sgpr_workgroup_id_z 0
		.amdhsa_system_sgpr_workgroup_info 0
		.amdhsa_system_vgpr_workitem_id 0
		.amdhsa_next_free_vgpr 19
		.amdhsa_next_free_sgpr 30
		.amdhsa_reserve_vcc 1
		.amdhsa_reserve_flat_scratch 0
		.amdhsa_float_round_mode_32 0
		.amdhsa_float_round_mode_16_64 0
		.amdhsa_float_denorm_mode_32 3
		.amdhsa_float_denorm_mode_16_64 3
		.amdhsa_dx10_clamp 1
		.amdhsa_ieee_mode 1
		.amdhsa_fp16_overflow 0
		.amdhsa_workgroup_processor_mode 1
		.amdhsa_memory_ordered 1
		.amdhsa_forward_progress 1
		.amdhsa_shared_vgpr_count 0
		.amdhsa_exception_fp_ieee_invalid_op 0
		.amdhsa_exception_fp_denorm_src 0
		.amdhsa_exception_fp_ieee_div_zero 0
		.amdhsa_exception_fp_ieee_overflow 0
		.amdhsa_exception_fp_ieee_underflow 0
		.amdhsa_exception_fp_ieee_inexact 0
		.amdhsa_exception_int_div_zero 0
	.end_amdhsa_kernel
	.section	.text._ZN4vllm32paged_attention_v2_reduce_kernelItLi96ELi128ELi512EEEvPT_PKfS4_PKS1_PKii,"axG",@progbits,_ZN4vllm32paged_attention_v2_reduce_kernelItLi96ELi128ELi512EEEvPT_PKfS4_PKS1_PKii,comdat
.Lfunc_end70:
	.size	_ZN4vllm32paged_attention_v2_reduce_kernelItLi96ELi128ELi512EEEvPT_PKfS4_PKS1_PKii, .Lfunc_end70-_ZN4vllm32paged_attention_v2_reduce_kernelItLi96ELi128ELi512EEEvPT_PKfS4_PKS1_PKii
                                        ; -- End function
	.set _ZN4vllm32paged_attention_v2_reduce_kernelItLi96ELi128ELi512EEEvPT_PKfS4_PKS1_PKii.num_vgpr, 19
	.set _ZN4vllm32paged_attention_v2_reduce_kernelItLi96ELi128ELi512EEEvPT_PKfS4_PKS1_PKii.num_agpr, 0
	.set _ZN4vllm32paged_attention_v2_reduce_kernelItLi96ELi128ELi512EEEvPT_PKfS4_PKS1_PKii.numbered_sgpr, 30
	.set _ZN4vllm32paged_attention_v2_reduce_kernelItLi96ELi128ELi512EEEvPT_PKfS4_PKS1_PKii.num_named_barrier, 0
	.set _ZN4vllm32paged_attention_v2_reduce_kernelItLi96ELi128ELi512EEEvPT_PKfS4_PKS1_PKii.private_seg_size, 0
	.set _ZN4vllm32paged_attention_v2_reduce_kernelItLi96ELi128ELi512EEEvPT_PKfS4_PKS1_PKii.uses_vcc, 1
	.set _ZN4vllm32paged_attention_v2_reduce_kernelItLi96ELi128ELi512EEEvPT_PKfS4_PKS1_PKii.uses_flat_scratch, 0
	.set _ZN4vllm32paged_attention_v2_reduce_kernelItLi96ELi128ELi512EEEvPT_PKfS4_PKS1_PKii.has_dyn_sized_stack, 0
	.set _ZN4vllm32paged_attention_v2_reduce_kernelItLi96ELi128ELi512EEEvPT_PKfS4_PKS1_PKii.has_recursion, 0
	.set _ZN4vllm32paged_attention_v2_reduce_kernelItLi96ELi128ELi512EEEvPT_PKfS4_PKS1_PKii.has_indirect_call, 0
	.section	.AMDGPU.csdata,"",@progbits
; Kernel info:
; codeLenInByte = 2400
; TotalNumSgprs: 32
; NumVgprs: 19
; ScratchSize: 0
; MemoryBound: 0
; FloatMode: 240
; IeeeMode: 1
; LDSByteSize: 32 bytes/workgroup (compile time only)
; SGPRBlocks: 0
; VGPRBlocks: 2
; NumSGPRsForWavesPerEU: 32
; NumVGPRsForWavesPerEU: 19
; Occupancy: 16
; WaveLimiterHint : 0
; COMPUTE_PGM_RSRC2:SCRATCH_EN: 0
; COMPUTE_PGM_RSRC2:USER_SGPR: 6
; COMPUTE_PGM_RSRC2:TRAP_HANDLER: 0
; COMPUTE_PGM_RSRC2:TGID_X_EN: 1
; COMPUTE_PGM_RSRC2:TGID_Y_EN: 1
; COMPUTE_PGM_RSRC2:TGID_Z_EN: 0
; COMPUTE_PGM_RSRC2:TIDIG_COMP_CNT: 0
	.section	.text._ZN4vllm25paged_attention_v2_kernelIttLi112ELi8ELi128ELNS_18Fp8KVCacheDataTypeE0ELb1ELi512EEEvPfS2_PT_PKS3_PKT0_S9_ifPKiSB_iPKfiiiSD_SD_iiiii,"axG",@progbits,_ZN4vllm25paged_attention_v2_kernelIttLi112ELi8ELi128ELNS_18Fp8KVCacheDataTypeE0ELb1ELi512EEEvPfS2_PT_PKS3_PKT0_S9_ifPKiSB_iPKfiiiSD_SD_iiiii,comdat
	.protected	_ZN4vllm25paged_attention_v2_kernelIttLi112ELi8ELi128ELNS_18Fp8KVCacheDataTypeE0ELb1ELi512EEEvPfS2_PT_PKS3_PKT0_S9_ifPKiSB_iPKfiiiSD_SD_iiiii ; -- Begin function _ZN4vllm25paged_attention_v2_kernelIttLi112ELi8ELi128ELNS_18Fp8KVCacheDataTypeE0ELb1ELi512EEEvPfS2_PT_PKS3_PKT0_S9_ifPKiSB_iPKfiiiSD_SD_iiiii
	.globl	_ZN4vllm25paged_attention_v2_kernelIttLi112ELi8ELi128ELNS_18Fp8KVCacheDataTypeE0ELb1ELi512EEEvPfS2_PT_PKS3_PKT0_S9_ifPKiSB_iPKfiiiSD_SD_iiiii
	.p2align	8
	.type	_ZN4vllm25paged_attention_v2_kernelIttLi112ELi8ELi128ELNS_18Fp8KVCacheDataTypeE0ELb1ELi512EEEvPfS2_PT_PKS3_PKT0_S9_ifPKiSB_iPKfiiiSD_SD_iiiii,@function
_ZN4vllm25paged_attention_v2_kernelIttLi112ELi8ELi128ELNS_18Fp8KVCacheDataTypeE0ELb1ELi512EEEvPfS2_PT_PKS3_PKT0_S9_ifPKiSB_iPKfiiiSD_SD_iiiii: ; @_ZN4vllm25paged_attention_v2_kernelIttLi112ELi8ELi128ELNS_18Fp8KVCacheDataTypeE0ELb1ELi512EEEvPfS2_PT_PKS3_PKT0_S9_ifPKiSB_iPKfiiiSD_SD_iiiii
; %bb.0:
	s_load_dwordx2 s[0:1], s[4:5], 0x40
	s_mov_b32 s26, s7
	s_ashr_i32 s27, s7, 31
	s_lshl_b64 s[2:3], s[26:27], 2
	s_waitcnt lgkmcnt(0)
	s_add_u32 s0, s0, s2
	s_addc_u32 s1, s1, s3
	s_lshl_b32 s38, s8, 9
	s_load_dword s27, s[0:1], 0x0
	s_waitcnt lgkmcnt(0)
	s_cmp_ge_i32 s38, s27
	s_cbranch_scc1 .LBB71_71
; %bb.1:
	s_clause 0x1
	s_load_dword s9, s[4:5], 0x90
	s_load_dwordx2 s[36:37], s[4:5], 0x30
	s_mov_b32 s40, 0
	s_waitcnt lgkmcnt(0)
	s_abs_i32 s3, s9
	s_abs_i32 s0, s36
	v_cvt_f32_u32_e32 v1, s0
	s_sub_i32 s2, 0, s0
	v_rcp_iflag_f32_e32 v1, v1
	v_mul_f32_e32 v1, 0x4f7ffffe, v1
	v_cvt_u32_f32_e32 v1, v1
	v_readfirstlane_b32 s1, v1
	s_mul_i32 s2, s2, s1
	s_mul_hi_u32 s2, s1, s2
	s_add_i32 s1, s1, s2
	s_xor_b32 s2, s9, s36
	s_mul_hi_u32 s1, s3, s1
	s_ashr_i32 s2, s2, 31
	s_mul_i32 s7, s1, s0
	s_sub_i32 s3, s3, s7
	s_add_i32 s7, s1, 1
	s_sub_i32 s10, s3, s0
	s_cmp_ge_u32 s3, s0
	s_cselect_b32 s1, s7, s1
	s_cselect_b32 s3, s10, s3
	s_add_i32 s7, s1, 1
	s_cmp_ge_u32 s3, s0
	s_cselect_b32 s0, s7, s1
	s_xor_b32 s0, s0, s2
	s_sub_i32 s10, s0, s2
	s_load_dwordx2 s[0:1], s[4:5], 0x50
	s_abs_i32 s2, s10
	v_cvt_f32_u32_e32 v1, s2
	s_sub_i32 s3, 0, s2
	v_rcp_iflag_f32_e32 v1, v1
	v_mul_f32_e32 v1, 0x4f7ffffe, v1
	v_cvt_u32_f32_e32 v1, v1
	v_readfirstlane_b32 s7, v1
	s_mul_i32 s3, s3, s7
	s_mul_hi_u32 s11, s7, s3
	s_abs_i32 s3, s6
	s_add_i32 s7, s7, s11
	s_waitcnt lgkmcnt(0)
	s_cmp_eq_u64 s[0:1], 0
	s_mul_hi_u32 s20, s3, s7
	s_cbranch_scc1 .LBB71_3
; %bb.2:
	s_ashr_i32 s7, s6, 31
	s_lshl_b64 s[12:13], s[6:7], 2
	s_add_u32 s0, s0, s12
	s_addc_u32 s1, s1, s13
	s_load_dword s40, s[0:1], 0x0
.LBB71_3:
	s_load_dwordx4 s[12:15], s[4:5], 0x58
	v_and_b32_e32 v1, 3, v0
	v_lshlrev_b32_e32 v2, 2, v0
	s_ashr_i32 s0, s6, 31
	s_ashr_i32 s1, s10, 31
	s_mul_i32 s10, s6, 0x70
	s_mov_b32 s7, exec_lo
	v_cmpx_gt_u32_e32 56, v0
	s_cbranch_execz .LBB71_5
; %bb.4:
	s_load_dwordx2 s[16:17], s[4:5], 0x18
	s_waitcnt lgkmcnt(0)
	s_mul_i32 s18, s12, s26
	v_and_b32_e32 v4, 0x3fc, v0
	s_ashr_i32 s19, s18, 31
	s_lshl_b64 s[18:19], s[18:19], 1
	v_mad_u32_u24 v4, v1, 56, v4
	s_add_u32 s12, s16, s18
	s_addc_u32 s15, s17, s19
	s_ashr_i32 s11, s10, 31
	s_lshl_b64 s[16:17], s[10:11], 1
	s_add_u32 s16, s12, s16
	s_addc_u32 s17, s15, s17
	global_load_dword v3, v2, s[16:17]
	s_waitcnt vmcnt(0)
	ds_write_b32 v4, v3
.LBB71_5:
	s_or_b32 exec_lo, exec_lo, s7
	s_load_dwordx4 s[16:19], s[4:5], 0x78
	s_mul_i32 s7, s20, s2
	s_xor_b32 s0, s0, s1
	s_sub_i32 s1, s3, s7
	s_add_i32 s3, s20, 1
	s_sub_i32 s7, s1, s2
	s_cmp_ge_u32 s1, s2
                                        ; implicit-def: $sgpr33
	s_cselect_b32 s3, s3, s20
	s_cselect_b32 s1, s7, s1
	s_add_i32 s7, s3, 1
	s_cmp_ge_u32 s1, s2
	s_mov_b32 s20, -1
	s_cselect_b32 s1, s7, s3
	s_load_dword s3, s[4:5], 0x88
	s_xor_b32 s1, s1, s0
	s_add_i32 s7, s27, -1
	s_sub_i32 s1, s1, s0
	s_abs_i32 s2, s7
	s_waitcnt lgkmcnt(0)
	s_abs_i32 s11, s19
	s_barrier
	v_cvt_f32_u32_e32 v3, s11
	s_sub_i32 s0, 0, s11
	buffer_gl0_inv
	v_rcp_iflag_f32_e32 v3, v3
	v_mul_f32_e32 v3, 0x4f7ffffe, v3
	v_cvt_u32_f32_e32 v3, v3
	v_readfirstlane_b32 s12, v3
	s_mul_i32 s0, s0, s12
	s_mul_hi_u32 s0, s12, s0
	s_add_i32 s12, s12, s0
	s_cmp_lt_i32 s3, 0
	s_mul_hi_u32 s0, s2, s12
	s_cbranch_scc0 .LBB71_7
; %bb.6:
	s_mul_i32 s15, s16, s36
	s_mov_b32 s20, 0
	s_add_i32 s15, s1, s15
	s_mul_i32 s15, s15, s3
	s_sub_i32 s33, 1, s15
.LBB71_7:
	s_load_dwordx2 s[28:29], s[4:5], 0x38
	s_ashr_i32 s15, s7, 31
	s_andn2_b32 vcc_lo, exec_lo, s20
	s_ashr_i32 s19, s19, 31
	s_cbranch_vccnz .LBB71_9
; %bb.8:
	s_mul_i32 s7, s9, s16
	s_add_i32 s7, s7, s6
	s_mul_i32 s3, s7, s3
	s_add_i32 s33, s3, 1
.LBB71_9:
	s_clause 0x4
	s_load_dword s3, s[4:5], 0x48
	s_load_dwordx2 s[34:35], s[4:5], 0x28
	s_load_dword s7, s[4:5], 0x98
	s_load_dwordx4 s[20:23], s[4:5], 0x0
	s_load_dwordx2 s[24:25], s[4:5], 0x10
	s_mul_i32 s16, s0, s11
	s_xor_b32 s15, s15, s19
	s_sub_i32 s2, s2, s16
	s_add_i32 s36, s0, 1
	v_lshrrev_b32_e32 v10, 5, v0
	v_mov_b32_e32 v4, 0xff7fffff
	v_mbcnt_lo_u32_b32 v3, -1, 0
	s_mul_i32 s14, s1, s14
	v_lshl_add_u32 v11, v10, 3, s38
	s_waitcnt lgkmcnt(0)
	s_mul_i32 s30, s3, s26
	s_sub_i32 s3, s2, s11
	s_ashr_i32 s31, s30, 31
	s_cmp_ge_u32 s2, s11
	s_cselect_b32 s0, s36, s0
	s_cselect_b32 s2, s3, s2
	s_add_i32 s3, s0, 1
	s_cmp_ge_u32 s2, s11
	s_cselect_b32 s0, s3, s0
	s_add_i32 s2, s27, 7
	s_lshl_b32 s41, s8, 6
	s_ashr_i32 s3, s2, 31
	v_or_b32_e32 v5, s41, v10
	s_lshr_b32 s3, s3, 29
	s_add_i32 s2, s2, s3
	s_add_i32 s3, s41, 64
	s_ashr_i32 s36, s2, 3
	s_xor_b32 s2, s0, s15
	s_min_i32 s16, s3, s36
	v_ashrrev_i32_e32 v6, 31, v5
	v_cmp_gt_i32_e64 s0, s16, v5
	s_sub_i32 s39, s2, s15
	s_and_saveexec_b32 s42, s0
	s_cbranch_execz .LBB71_21
; %bb.10:
	s_load_dwordx2 s[2:3], s[4:5], 0x20
	s_ashr_i32 s15, s14, 31
	s_sub_i32 s4, s39, s17
	s_lshl_b64 s[44:45], s[14:15], 1
	v_bfe_u32 v7, v0, 2, 3
	v_cmp_eq_u32_e32 vcc_lo, 0, v1
	v_and_b32_e32 v17, 12, v2
	v_mul_u32_u24_e32 v8, 56, v1
	v_lshlrev_b64 v[1:2], 2, v[5:6]
	v_lshlrev_b32_e32 v15, 2, v7
	v_subrev_nc_u32_e32 v18, s27, v7
	v_lshlrev_b32_e32 v21, 4, v7
	v_cmp_neq_f32_e64 s1, s40, 0
	v_lshl_add_u32 v9, v10, 3, s38
	v_lshl_or_b32 v19, v10, 5, v15
	v_add_nc_u32_e32 v15, 1, v18
	v_mov_b32_e32 v12, 0xff7fffff
	v_xor_b32_e32 v13, 2, v3
	v_xor_b32_e32 v14, 1, v3
	s_waitcnt lgkmcnt(0)
	s_add_u32 s15, s2, s44
	s_addc_u32 s43, s3, s45
	s_abs_i32 s5, s18
	v_cvt_f32_u32_e32 v4, s5
	s_sub_i32 s2, 0, s5
	v_rcp_iflag_f32_e32 v4, v4
	v_mul_f32_e32 v16, 0x4f7ffffe, v4
	v_mov_b32_e32 v4, 0xff7fffff
	v_cvt_u32_f32_e32 v20, v16
	v_add_nc_u32_e32 v16, 0x100, v19
	v_add_co_u32 v19, s15, s15, v21
	v_add_co_ci_u32_e64 v21, null, s43, 0, s15
	v_mul_lo_u32 v18, s2, v20
	s_lshl_b64 s[2:3], s[30:31], 2
	s_mov_b32 s15, 0
	s_add_u32 s2, s28, s2
	s_addc_u32 s3, s29, s3
	v_add_co_u32 v1, s2, s2, v1
	v_add_co_ci_u32_e64 v2, null, s3, v2, s2
	v_mul_hi_u32 v22, v20, v18
	v_add_co_u32 v17, s2, v19, v17
	v_add_co_ci_u32_e64 v18, null, 0, v21, s2
	s_mov_b32 s43, s13
	v_add_nc_u32_e32 v19, v20, v22
	v_mov_b32_e32 v20, v5
	s_branch .LBB71_13
.LBB71_11:                              ;   in Loop: Header=BB71_13 Depth=1
	s_or_b32 exec_lo, exec_lo, s44
.LBB71_12:                              ;   in Loop: Header=BB71_13 Depth=1
	s_or_b32 exec_lo, exec_lo, s3
	v_add_nc_u32_e32 v20, 4, v20
	v_add_co_u32 v1, s3, v1, 16
	v_add_co_ci_u32_e64 v2, null, 0, v2, s3
	v_cmp_le_i32_e64 s2, s16, v20
	v_add_nc_u32_e32 v9, 32, v9
	v_add_nc_u32_e32 v16, 0x80, v16
	s_or_b32 s15, s2, s15
	s_andn2_b32 exec_lo, exec_lo, s15
	s_cbranch_execz .LBB71_20
.LBB71_13:                              ; =>This Inner Loop Header: Depth=1
	v_sub_nc_u32_e32 v21, 0, v9
	v_max_i32_e32 v21, v9, v21
	s_waitcnt lgkmcnt(0)
	v_mul_hi_u32 v22, v21, s12
	v_mul_lo_u32 v23, v22, s11
	v_sub_nc_u32_e32 v21, v21, v23
	v_add_nc_u32_e32 v23, 1, v22
	v_subrev_nc_u32_e32 v24, s11, v21
	v_cmp_le_u32_e64 s2, s11, v21
	v_cndmask_b32_e64 v22, v22, v23, s2
	v_cndmask_b32_e64 v21, v21, v24, s2
	v_ashrrev_i32_e32 v23, 31, v9
	v_add_nc_u32_e32 v24, 1, v22
	v_cmp_le_u32_e64 s2, s11, v21
	v_xor_b32_e32 v23, s19, v23
	v_cndmask_b32_e64 v21, v22, v24, s2
	v_xor_b32_e32 v21, v21, v23
	v_sub_nc_u32_e32 v21, v21, v23
	v_add_nc_u32_e32 v22, s33, v21
	v_cmp_ge_i32_e64 s3, s4, v21
	v_sub_nc_u32_e32 v23, 0, v22
	v_max_i32_e32 v23, v22, v23
	v_ashrrev_i32_e32 v22, 31, v22
	v_mul_hi_u32 v24, v23, v19
	v_mul_lo_u32 v24, v24, s5
	v_sub_nc_u32_e32 v23, v23, v24
	v_subrev_nc_u32_e32 v24, s5, v23
	v_cmp_le_u32_e64 s2, s5, v23
	v_cndmask_b32_e64 v23, v23, v24, s2
	v_subrev_nc_u32_e32 v24, s5, v23
	v_cmp_le_u32_e64 s2, s5, v23
	v_cndmask_b32_e64 v23, v23, v24, s2
	v_xor_b32_e32 v23, v23, v22
	v_sub_nc_u32_e32 v22, v23, v22
	v_cmp_ne_u32_e64 s2, 0, v22
	s_and_b32 s2, s2, s3
	s_and_saveexec_b32 s3, s2
	s_xor_b32 s2, exec_lo, s3
	s_cbranch_execz .LBB71_17
; %bb.14:                               ;   in Loop: Header=BB71_13 Depth=1
	s_and_saveexec_b32 s3, vcc_lo
; %bb.15:                               ;   in Loop: Header=BB71_13 Depth=1
	ds_write_b32 v16, v12
; %bb.16:                               ;   in Loop: Header=BB71_13 Depth=1
	s_or_b32 exec_lo, exec_lo, s3
.LBB71_17:                              ;   in Loop: Header=BB71_13 Depth=1
	s_andn2_saveexec_b32 s3, s2
	s_cbranch_execz .LBB71_12
; %bb.18:                               ;   in Loop: Header=BB71_13 Depth=1
	global_load_dword v21, v[1:2], off
	s_waitcnt vmcnt(0)
	v_mad_i64_i32 v[21:22], null, v21, s43, 0
	v_lshlrev_b64 v[21:22], 1, v[21:22]
	v_add_co_u32 v23, s2, v17, v21
	v_add_co_ci_u32_e64 v24, null, v18, v22, s2
	v_cmp_gt_i32_e64 s2, 32, v13
	s_clause 0xb
	global_load_dword v21, v[23:24], off
	global_load_dword v25, v[23:24], off offset:128
	global_load_dword v26, v[23:24], off offset:256
	;; [unrolled: 1-line block ×11, first 2 shown]
	ds_read_b32 v22, v8
	s_waitcnt lgkmcnt(0)
	v_lshrrev_b32_e32 v36, 16, v22
	v_and_b32_e32 v37, 0xffff, v22
	s_waitcnt vmcnt(11)
	v_lshrrev_b32_e32 v38, 16, v21
	v_and_b32_e32 v39, 0xffff, v21
	s_clause 0x1
	global_load_dword v22, v[23:24], off offset:1536
	global_load_dword v21, v[23:24], off offset:1664
	;;#ASMSTART
	v_cvt_f32_f16 v23, v37;
	;;#ASMEND
	;;#ASMSTART
	v_cvt_f32_f16 v24, v36;
	;;#ASMEND
	;; [unrolled: 3-line block ×4, first 2 shown]
	ds_read_b32 v38, v8 offset:4
	s_waitcnt vmcnt(12)
	v_and_b32_e32 v40, 0xffff, v25
	v_lshrrev_b32_e32 v41, 16, v25
	s_waitcnt vmcnt(11)
	v_and_b32_e32 v43, 0xffff, v26
	v_lshrrev_b32_e32 v44, 16, v26
	;; [unrolled: 3-line block ×9, first 2 shown]
	s_waitcnt vmcnt(3)
	v_and_b32_e32 v67, 0xffff, v34
	s_waitcnt lgkmcnt(0)
	v_and_b32_e32 v39, 0xffff, v38
	v_lshrrev_b32_e32 v38, 16, v38
	;;#ASMSTART
	v_cvt_f32_f16 v25, v39;
	;;#ASMEND
	;;#ASMSTART
	v_cvt_f32_f16 v38, v38;
	;;#ASMEND
	;; [unrolled: 3-line block ×4, first 2 shown]
	ds_read_b32 v41, v8 offset:8
	v_mul_f32_e32 v25, v25, v39
	v_mul_f32_e32 v38, v38, v40
	v_lshrrev_b32_e32 v68, 16, v34
	s_waitcnt vmcnt(2)
	v_lshrrev_b32_e32 v39, 16, v35
	v_and_b32_e32 v35, 0xffff, v35
	v_fmac_f32_e32 v25, v23, v36
	v_fmac_f32_e32 v38, v24, v37
	s_waitcnt lgkmcnt(0)
	v_and_b32_e32 v42, 0xffff, v41
	v_lshrrev_b32_e32 v41, 16, v41
	;;#ASMSTART
	v_cvt_f32_f16 v26, v42;
	;;#ASMEND
	;;#ASMSTART
	v_cvt_f32_f16 v41, v41;
	;;#ASMEND
	;;#ASMSTART
	v_cvt_f32_f16 v42, v43;
	;;#ASMEND
	;;#ASMSTART
	v_cvt_f32_f16 v43, v44;
	;;#ASMEND
	ds_read_b32 v44, v8 offset:12
	v_fmac_f32_e32 v25, v26, v42
	v_fmac_f32_e32 v38, v41, v43
	s_waitcnt lgkmcnt(0)
	v_and_b32_e32 v45, 0xffff, v44
	v_lshrrev_b32_e32 v44, 16, v44
	;;#ASMSTART
	v_cvt_f32_f16 v27, v45;
	;;#ASMEND
	;;#ASMSTART
	v_cvt_f32_f16 v44, v44;
	;;#ASMEND
	;;#ASMSTART
	v_cvt_f32_f16 v45, v46;
	;;#ASMEND
	;;#ASMSTART
	v_cvt_f32_f16 v46, v47;
	;;#ASMEND
	ds_read_b32 v47, v8 offset:16
	v_fmac_f32_e32 v25, v27, v45
	v_fmac_f32_e32 v38, v44, v46
	s_waitcnt lgkmcnt(0)
	v_and_b32_e32 v48, 0xffff, v47
	v_lshrrev_b32_e32 v47, 16, v47
	;;#ASMSTART
	v_cvt_f32_f16 v28, v48;
	;;#ASMEND
	;;#ASMSTART
	v_cvt_f32_f16 v47, v47;
	;;#ASMEND
	;;#ASMSTART
	v_cvt_f32_f16 v48, v49;
	;;#ASMEND
	;;#ASMSTART
	v_cvt_f32_f16 v49, v50;
	;;#ASMEND
	ds_read_b32 v50, v8 offset:20
	v_fmac_f32_e32 v25, v28, v48
	v_fmac_f32_e32 v38, v47, v49
	s_waitcnt lgkmcnt(0)
	v_and_b32_e32 v51, 0xffff, v50
	v_lshrrev_b32_e32 v50, 16, v50
	;;#ASMSTART
	v_cvt_f32_f16 v29, v51;
	;;#ASMEND
	;;#ASMSTART
	v_cvt_f32_f16 v50, v50;
	;;#ASMEND
	;;#ASMSTART
	v_cvt_f32_f16 v51, v52;
	;;#ASMEND
	;;#ASMSTART
	v_cvt_f32_f16 v52, v53;
	;;#ASMEND
	ds_read_b32 v53, v8 offset:24
	v_fmac_f32_e32 v25, v29, v51
	v_fmac_f32_e32 v38, v50, v52
	s_waitcnt lgkmcnt(0)
	v_and_b32_e32 v54, 0xffff, v53
	v_lshrrev_b32_e32 v53, 16, v53
	;;#ASMSTART
	v_cvt_f32_f16 v30, v54;
	;;#ASMEND
	;;#ASMSTART
	v_cvt_f32_f16 v53, v53;
	;;#ASMEND
	;;#ASMSTART
	v_cvt_f32_f16 v54, v55;
	;;#ASMEND
	;;#ASMSTART
	v_cvt_f32_f16 v55, v56;
	;;#ASMEND
	ds_read_b32 v56, v8 offset:28
	v_fmac_f32_e32 v25, v30, v54
	v_fmac_f32_e32 v38, v53, v55
	s_waitcnt lgkmcnt(0)
	v_and_b32_e32 v57, 0xffff, v56
	v_lshrrev_b32_e32 v56, 16, v56
	;;#ASMSTART
	v_cvt_f32_f16 v31, v57;
	;;#ASMEND
	;;#ASMSTART
	v_cvt_f32_f16 v56, v56;
	;;#ASMEND
	;;#ASMSTART
	v_cvt_f32_f16 v57, v58;
	;;#ASMEND
	;;#ASMSTART
	v_cvt_f32_f16 v58, v59;
	;;#ASMEND
	ds_read_b32 v59, v8 offset:32
	v_fmac_f32_e32 v25, v31, v57
	v_fmac_f32_e32 v38, v56, v58
	v_cndmask_b32_e64 v31, v3, v13, s2
	v_cmp_gt_i32_e64 s2, 32, v14
	s_waitcnt lgkmcnt(0)
	v_and_b32_e32 v60, 0xffff, v59
	v_lshrrev_b32_e32 v59, 16, v59
	;;#ASMSTART
	v_cvt_f32_f16 v32, v60;
	;;#ASMEND
	;;#ASMSTART
	v_cvt_f32_f16 v59, v59;
	;;#ASMEND
	;;#ASMSTART
	v_cvt_f32_f16 v60, v61;
	;;#ASMEND
	;;#ASMSTART
	v_cvt_f32_f16 v61, v62;
	;;#ASMEND
	ds_read_b32 v62, v8 offset:36
	v_fmac_f32_e32 v25, v32, v60
	v_fmac_f32_e32 v38, v59, v61
	s_waitcnt lgkmcnt(0)
	v_and_b32_e32 v63, 0xffff, v62
	v_lshrrev_b32_e32 v62, 16, v62
	;;#ASMSTART
	v_cvt_f32_f16 v33, v63;
	;;#ASMEND
	;;#ASMSTART
	v_cvt_f32_f16 v62, v62;
	;;#ASMEND
	;;#ASMSTART
	v_cvt_f32_f16 v63, v64;
	;;#ASMEND
	;;#ASMSTART
	v_cvt_f32_f16 v64, v65;
	;;#ASMEND
	ds_read_b32 v65, v8 offset:40
	v_fmac_f32_e32 v25, v33, v63
	v_fmac_f32_e32 v38, v62, v64
	;; [unrolled: 18-line block ×4, first 2 shown]
	s_waitcnt lgkmcnt(0)
	v_and_b32_e32 v27, 0xffff, v36
	v_lshrrev_b32_e32 v28, 16, v36
	s_waitcnt vmcnt(1)
	v_lshrrev_b32_e32 v29, 16, v22
	v_and_b32_e32 v30, 0xffff, v22
	;;#ASMSTART
	v_cvt_f32_f16 v22, v27;
	;;#ASMEND
	;;#ASMSTART
	v_cvt_f32_f16 v27, v28;
	;;#ASMEND
	;; [unrolled: 3-line block ×4, first 2 shown]
	ds_read_b32 v30, v8 offset:52
	v_fmac_f32_e32 v25, v22, v28
	v_fmac_f32_e32 v38, v27, v29
	s_waitcnt vmcnt(0)
	v_lshrrev_b32_e32 v32, 16, v21
	v_and_b32_e32 v26, 0xffff, v21
	s_waitcnt lgkmcnt(0)
	v_and_b32_e32 v23, 0xffff, v30
	v_lshrrev_b32_e32 v24, 16, v30
	;;#ASMSTART
	v_cvt_f32_f16 v21, v23;
	;;#ASMEND
	;;#ASMSTART
	v_cvt_f32_f16 v22, v24;
	;;#ASMEND
	;; [unrolled: 3-line block ×4, first 2 shown]
	v_fmac_f32_e32 v25, v21, v23
	v_fmac_f32_e32 v38, v22, v24
	v_lshlrev_b32_e32 v21, 2, v31
	v_cndmask_b32_e64 v23, v3, v14, s2
	v_add_f32_e32 v22, v25, v38
	ds_bpermute_b32 v21, v21, v22
	s_waitcnt lgkmcnt(0)
	v_add_f32_e32 v21, v22, v21
	v_lshlrev_b32_e32 v22, 2, v23
	ds_bpermute_b32 v22, v22, v21
	s_and_saveexec_b32 s44, vcc_lo
	s_cbranch_execz .LBB71_11
; %bb.19:                               ;   in Loop: Header=BB71_13 Depth=1
	v_add_nc_u32_e32 v23, v15, v9
	s_waitcnt lgkmcnt(0)
	v_add_f32_e32 v21, v21, v22
	v_cvt_f32_i32_e32 v23, v23
	v_mul_f32_e32 v23, s40, v23
	v_cndmask_b32_e64 v22, 0, v23, s1
	v_max_f32_e32 v23, v4, v4
	v_fmac_f32_e32 v22, s37, v21
	v_add_nc_u32_e32 v21, v7, v9
	v_max_f32_e32 v23, v23, v22
	v_cmp_gt_i32_e64 s2, s27, v21
	v_cndmask_b32_e64 v21, 0, v22, s2
	v_cndmask_b32_e64 v4, v4, v23, s2
	ds_write_b32 v16, v21
	s_branch .LBB71_11
.LBB71_20:
	s_or_b32 exec_lo, exec_lo, s15
.LBB71_21:
	s_or_b32 exec_lo, exec_lo, s42
	v_xor_b32_e32 v1, 16, v3
	v_xor_b32_e32 v7, 8, v3
	v_max_f32_e32 v8, v4, v4
	v_and_b32_e32 v12, 31, v0
	v_cmp_gt_i32_e32 vcc_lo, 32, v1
	v_cndmask_b32_e32 v1, v3, v1, vcc_lo
	v_cmp_gt_i32_e32 vcc_lo, 32, v7
	v_lshlrev_b32_e32 v2, 2, v1
	ds_bpermute_b32 v1, v2, v4
	v_cndmask_b32_e32 v4, v3, v7, vcc_lo
	v_lshlrev_b32_e32 v4, 2, v4
	s_waitcnt lgkmcnt(0)
	v_max_f32_e32 v1, v1, v1
	v_max_f32_e32 v1, v8, v1
	v_xor_b32_e32 v8, 4, v3
	ds_bpermute_b32 v7, v4, v1
	v_cmp_gt_i32_e32 vcc_lo, 32, v8
	v_cndmask_b32_e32 v8, v3, v8, vcc_lo
	v_cmp_eq_u32_e32 vcc_lo, 0, v12
	v_lshlrev_b32_e32 v9, 2, v8
	s_waitcnt lgkmcnt(0)
	v_max_f32_e32 v7, v7, v7
	v_max_f32_e32 v1, v1, v7
	v_lshlrev_b32_e32 v7, 2, v10
	ds_bpermute_b32 v8, v9, v1
	s_and_saveexec_b32 s1, vcc_lo
	s_cbranch_execz .LBB71_23
; %bb.22:
	s_waitcnt lgkmcnt(0)
	v_max_f32_e32 v8, v8, v8
	v_max_f32_e32 v1, v1, v1
	;; [unrolled: 1-line block ×3, first 2 shown]
	ds_write_b32 v7, v1 offset:224
.LBB71_23:
	s_or_b32 exec_lo, exec_lo, s1
	v_cmp_gt_u32_e64 s1, 4, v12
	v_mov_b32_e32 v1, 0xff7fffff
	s_waitcnt lgkmcnt(0)
	v_lshlrev_b32_e32 v8, 2, v12
	s_barrier
	buffer_gl0_inv
	s_and_saveexec_b32 s2, s1
; %bb.24:
	ds_read_b32 v1, v8 offset:224
; %bb.25:
	s_or_b32 exec_lo, exec_lo, s2
	v_xor_b32_e32 v13, 2, v3
	v_xor_b32_e32 v15, 1, v3
	v_cmp_gt_i32_e64 s2, 32, v13
	v_cndmask_b32_e64 v13, v3, v13, s2
	v_cmp_gt_i32_e64 s2, 32, v15
	v_lshlrev_b32_e32 v14, 2, v13
	v_cndmask_b32_e64 v3, v3, v15, s2
	v_mov_b32_e32 v15, 0
	s_sub_i32 s2, s16, s41
	s_lshl_b32 s2, s2, 3
	s_waitcnt lgkmcnt(0)
	ds_bpermute_b32 v13, v14, v1
	v_max_f32_e32 v1, v1, v1
	v_lshlrev_b32_e32 v3, 2, v3
	s_add_i32 s2, s2, s38
	s_min_i32 s2, s2, s27
	s_sub_i32 s4, s2, s38
	v_cmp_gt_i32_e64 s2, s4, v0
	s_waitcnt lgkmcnt(0)
	v_max_f32_e32 v13, v13, v13
	v_max_f32_e32 v1, v1, v13
	ds_bpermute_b32 v13, v3, v1
	s_waitcnt lgkmcnt(0)
	v_max_f32_e32 v13, v13, v13
	v_max_f32_e32 v1, v1, v13
	v_lshl_add_u32 v13, v0, 2, 0x100
	ds_bpermute_b32 v1, v15, v1
	s_and_saveexec_b32 s5, s2
	s_cbranch_execz .LBB71_29
; %bb.26:
	v_lshl_add_u32 v16, v0, 2, 0x100
	v_mov_b32_e32 v15, 0
	v_mov_b32_e32 v17, v0
	s_mov_b32 s15, 0
	.p2align	6
.LBB71_27:                              ; =>This Inner Loop Header: Depth=1
	ds_read_b32 v18, v16
	v_add_nc_u32_e32 v17, 0x80, v17
	v_cmp_le_i32_e64 s3, s4, v17
	s_or_b32 s15, s3, s15
	s_waitcnt lgkmcnt(0)
	v_sub_f32_e32 v18, v18, v1
	v_mul_f32_e32 v18, 0x3fb8aa3b, v18
	v_exp_f32_e32 v18, v18
	ds_write_b32 v16, v18
	v_add_f32_e32 v15, v15, v18
	v_add_nc_u32_e32 v16, 0x200, v16
	s_andn2_b32 exec_lo, exec_lo, s15
	s_cbranch_execnz .LBB71_27
; %bb.28:
	s_or_b32 exec_lo, exec_lo, s15
.LBB71_29:
	s_or_b32 exec_lo, exec_lo, s5
	ds_bpermute_b32 v2, v2, v15
	s_waitcnt lgkmcnt(0)
	v_add_f32_e32 v2, v15, v2
	ds_bpermute_b32 v4, v4, v2
	s_waitcnt lgkmcnt(0)
	v_add_f32_e32 v2, v2, v4
	;; [unrolled: 3-line block ×5, first 2 shown]
	s_and_saveexec_b32 s3, vcc_lo
; %bb.30:
	ds_write_b32 v7, v2 offset:240
; %bb.31:
	s_or_b32 exec_lo, exec_lo, s3
	s_waitcnt lgkmcnt(0)
	s_barrier
	buffer_gl0_inv
	s_and_saveexec_b32 s3, s1
; %bb.32:
	ds_read_b32 v2, v8 offset:240
; %bb.33:
	s_or_b32 exec_lo, exec_lo, s3
	s_waitcnt lgkmcnt(0)
	ds_bpermute_b32 v4, v14, v2
	s_waitcnt lgkmcnt(0)
	v_add_f32_e32 v2, v2, v4
	ds_bpermute_b32 v3, v3, v2
	s_waitcnt lgkmcnt(0)
	v_add_f32_e32 v2, v2, v3
	v_mov_b32_e32 v3, 0
	ds_bpermute_b32 v2, v3, v2
	s_and_saveexec_b32 s1, s2
	s_cbranch_execz .LBB71_36
; %bb.34:
	s_waitcnt lgkmcnt(0)
	v_add_f32_e32 v4, 0x358637bd, v2
	s_mov_b32 s2, 0
	v_div_scale_f32 v3, null, v4, v4, 1.0
	v_div_scale_f32 v9, vcc_lo, 1.0, v4, 1.0
	v_rcp_f32_e32 v7, v3
	v_fma_f32 v8, -v3, v7, 1.0
	v_fmac_f32_e32 v7, v8, v7
	v_mul_f32_e32 v8, v9, v7
	v_fma_f32 v14, -v3, v8, v9
	v_fmac_f32_e32 v8, v14, v7
	v_fma_f32 v3, -v3, v8, v9
	v_div_fmas_f32 v7, v3, v7, v8
	v_mov_b32_e32 v3, v13
	v_div_fixup_f32 v4, v7, v4, 1.0
	v_mov_b32_e32 v7, v0
.LBB71_35:                              ; =>This Inner Loop Header: Depth=1
	ds_read_b32 v8, v3
	v_add_nc_u32_e32 v7, 0x80, v7
	v_cmp_le_i32_e32 vcc_lo, s4, v7
	s_or_b32 s2, vcc_lo, s2
	s_waitcnt lgkmcnt(0)
	v_mul_f32_e32 v8, v4, v8
	ds_write_b32 v3, v8
	v_add_nc_u32_e32 v3, 0x200, v3
	s_andn2_b32 exec_lo, exec_lo, s2
	s_cbranch_execnz .LBB71_35
.LBB71_36:
	s_or_b32 exec_lo, exec_lo, s1
	s_mul_i32 s1, s7, s26
	s_waitcnt lgkmcnt(0)
	s_mul_i32 s2, s1, s9
	s_mov_b32 s1, exec_lo
	s_barrier
	buffer_gl0_inv
	v_cmpx_eq_u32_e32 0, v0
	s_cbranch_execz .LBB71_38
; %bb.37:
	s_ashr_i32 s3, s2, 31
	s_mul_i32 s40, s7, s6
	s_lshl_b64 s[4:5], s[2:3], 2
	v_mov_b32_e32 v3, 0
	s_add_u32 s3, s22, s4
	s_addc_u32 s6, s23, s5
	s_ashr_i32 s41, s40, 31
	s_lshl_b64 s[22:23], s[40:41], 2
	s_add_u32 s3, s3, s22
	s_addc_u32 s6, s6, s23
	s_ashr_i32 s9, s8, 31
	s_lshl_b64 s[40:41], s[8:9], 2
	s_add_u32 s42, s3, s40
	s_addc_u32 s43, s6, s41
	s_add_u32 s3, s20, s4
	s_addc_u32 s4, s21, s5
	;; [unrolled: 2-line block ×4, first 2 shown]
	global_store_dword v3, v1, s[42:43]
	global_store_dword v3, v2, s[4:5]
.LBB71_38:
	s_or_b32 exec_lo, exec_lo, s1
	v_mov_b32_e32 v17, 0
	v_mov_b32_e32 v16, 0
	;; [unrolled: 1-line block ×4, first 2 shown]
	s_and_saveexec_b32 s3, s0
	s_cbranch_execz .LBB71_54
; %bb.39:
	s_ashr_i32 s15, s14, 31
	s_sub_i32 s4, s39, s17
	s_lshl_b64 s[0:1], s[14:15], 1
	v_lshlrev_b32_e32 v3, 3, v12
	s_add_u32 s5, s34, s0
	s_addc_u32 s6, s35, s1
	s_abs_i32 s9, s18
	v_or_b32_e32 v4, 0x60, v12
	v_cvt_f32_u32_e32 v1, s9
	s_sub_i32 s0, 0, s9
	v_lshlrev_b32_e32 v20, 1, v3
	s_lshl_b64 s[14:15], s[30:31], 2
	s_add_i32 s36, s36, -1
	v_rcp_iflag_f32_e32 v1, v1
	s_add_u32 s1, s28, s14
	s_addc_u32 s14, s29, s15
	v_mov_b32_e32 v18, 0
	v_lshl_add_u32 v19, v10, 5, 0x100
	v_mov_b32_e32 v14, 0
	v_mov_b32_e32 v15, 0
	;; [unrolled: 1-line block ×4, first 2 shown]
	v_mul_f32_e32 v1, 0x4f7ffffe, v1
	v_cvt_u32_f32_e32 v8, v1
	v_lshlrev_b64 v[1:2], 2, v[5:6]
	v_mul_lo_u32 v6, s0, v8
	v_cmp_gt_u32_e64 s0, 0x70, v4
	v_lshlrev_b32_e32 v4, 3, v4
	v_lshlrev_b32_e32 v21, 1, v4
	v_mul_hi_u32 v3, v8, v6
	v_add_co_u32 v6, vcc_lo, s1, v1
	v_add_co_ci_u32_e64 v7, null, s14, v2, vcc_lo
	s_mov_b32 s14, s13
	s_mov_b32 s13, 0
	v_add_nc_u32_e32 v22, v8, v3
	s_branch .LBB71_43
.LBB71_40:                              ;   in Loop: Header=BB71_43 Depth=1
	s_or_b32 exec_lo, exec_lo, s18
	v_lshlrev_b32_e32 v33, 16, v33
	v_lshlrev_b32_e32 v25, 16, v25
	;; [unrolled: 1-line block ×3, first 2 shown]
	v_and_or_b32 v1, 0xffff, v1, v33
	v_and_or_b32 v2, 0xffff, v2, v25
	v_and_or_b32 v3, 0xffff, v3, v24
	;;#ASMSTART
	v_pk_mul_f16 v1, v28, v1;

	;;#ASMEND
	;;#ASMSTART
	v_pk_mul_f16 v2, v27, v2;

	;;#ASMEND
	;; [unrolled: 4-line block ×4, first 2 shown]
	;;#ASMSTART
	v_pk_add_f16 v1, v1, v2;

	;;#ASMEND
	;;#ASMSTART
	v_pk_add_f16 v1, v1, v3;

	;;#ASMEND
	;; [unrolled: 4-line block ×3, first 2 shown]
	v_and_b32_e32 v2, 0xffff, v1
	v_lshrrev_b32_e32 v3, 16, v1
	;;#ASMSTART
	v_cvt_f32_f16 v1, v2;
	;;#ASMEND
	;;#ASMSTART
	v_cvt_f32_f16 v2, v3;
	;;#ASMEND
	v_add_f32_e32 v1, v1, v2
	v_add_f32_e32 v14, v14, v1
.LBB71_41:                              ;   in Loop: Header=BB71_43 Depth=1
	s_or_b32 exec_lo, exec_lo, s17
	v_add_f32_e32 v1, v31, v32
	v_add_f32_e32 v2, v23, v26
	;; [unrolled: 1-line block ×6, first 2 shown]
.LBB71_42:                              ;   in Loop: Header=BB71_43 Depth=1
	s_or_b32 exec_lo, exec_lo, s15
	v_add_nc_u32_e32 v5, 4, v5
	v_add_co_u32 v6, s1, v6, 16
	v_add_co_ci_u32_e64 v7, null, 0, v7, s1
	v_cmp_le_i32_e32 vcc_lo, s16, v5
	v_add_nc_u32_e32 v11, 32, v11
	v_add_nc_u32_e32 v19, 0x80, v19
	s_or_b32 s13, vcc_lo, s13
	s_andn2_b32 exec_lo, exec_lo, s13
	s_cbranch_execz .LBB71_53
.LBB71_43:                              ; =>This Inner Loop Header: Depth=1
	v_sub_nc_u32_e32 v1, 0, v11
	v_max_i32_e32 v1, v11, v1
	v_mul_hi_u32 v2, v1, s12
	v_mul_lo_u32 v3, v2, s11
	v_sub_nc_u32_e32 v1, v1, v3
	v_add_nc_u32_e32 v3, 1, v2
	v_subrev_nc_u32_e32 v4, s11, v1
	v_cmp_le_u32_e32 vcc_lo, s11, v1
	v_cndmask_b32_e32 v2, v2, v3, vcc_lo
	v_cndmask_b32_e32 v1, v1, v4, vcc_lo
	v_ashrrev_i32_e32 v3, 31, v11
	v_add_nc_u32_e32 v4, 1, v2
	v_cmp_le_u32_e32 vcc_lo, s11, v1
	v_xor_b32_e32 v3, s19, v3
	v_cndmask_b32_e32 v1, v2, v4, vcc_lo
	v_xor_b32_e32 v1, v1, v3
	v_sub_nc_u32_e32 v1, v1, v3
	v_add_nc_u32_e32 v2, s33, v1
	v_cmp_lt_i32_e64 s1, s4, v1
	v_sub_nc_u32_e32 v3, 0, v2
	v_max_i32_e32 v3, v2, v3
	v_ashrrev_i32_e32 v2, 31, v2
	v_mul_hi_u32 v4, v3, v22
	v_mul_lo_u32 v4, v4, s9
	v_sub_nc_u32_e32 v3, v3, v4
	v_subrev_nc_u32_e32 v4, s9, v3
	v_cmp_le_u32_e32 vcc_lo, s9, v3
	v_cndmask_b32_e32 v3, v3, v4, vcc_lo
	v_subrev_nc_u32_e32 v4, s9, v3
	v_cmp_le_u32_e32 vcc_lo, s9, v3
	v_cndmask_b32_e32 v3, v3, v4, vcc_lo
	v_xor_b32_e32 v3, v3, v2
	v_sub_nc_u32_e32 v2, v3, v2
	v_cmp_eq_u32_e32 vcc_lo, 0, v2
	s_or_b32 s1, vcc_lo, s1
	s_and_saveexec_b32 s15, s1
	s_cbranch_execz .LBB71_42
; %bb.44:                               ;   in Loop: Header=BB71_43 Depth=1
	global_load_dword v8, v[6:7], off
	ds_read2_b64 v[1:4], v19 offset1:1
	ds_read2_b64 v[32:35], v19 offset0:2 offset1:3
	s_waitcnt lgkmcnt(1)
	;;#ASMSTART
	v_cvt_f16_f32 v28, v1;

	;;#ASMEND
	;;#ASMSTART
	v_cvt_f16_f32 v23, v2;

	;;#ASMEND
	;; [unrolled: 4-line block ×4, first 2 shown]
	s_waitcnt lgkmcnt(0)
	;;#ASMSTART
	v_cvt_f16_f32 v32, v32;

	;;#ASMEND
	;;#ASMSTART
	v_cvt_f16_f32 v29, v33;

	;;#ASMEND
	;; [unrolled: 4-line block ×4, first 2 shown]
	v_cmp_eq_u32_e64 s1, s36, v5
	s_waitcnt vmcnt(0)
	v_mad_i64_i32 v[8:9], null, v8, s14, 0
	v_lshlrev_b64 v[8:9], 1, v[8:9]
	v_add_co_u32 v24, vcc_lo, s5, v8
	v_add_co_ci_u32_e64 v25, null, s6, v9, vcc_lo
	v_add_co_u32 v8, vcc_lo, v24, v20
	v_add_co_ci_u32_e64 v9, null, 0, v25, vcc_lo
	global_load_dwordx4 v[1:4], v[8:9], off
	s_waitcnt vmcnt(0)
	v_lshrrev_b32_e32 v35, 16, v1
	v_lshrrev_b32_e32 v34, 16, v2
	;; [unrolled: 1-line block ×3, first 2 shown]
	s_and_saveexec_b32 s17, s1
	s_cbranch_execz .LBB71_46
; %bb.45:                               ;   in Loop: Header=BB71_43 Depth=1
	v_add_nc_u32_e32 v36, 1, v11
	v_cmp_gt_i32_e32 vcc_lo, s27, v11
	v_add_nc_u32_e32 v37, 2, v11
	v_add_nc_u32_e32 v38, 3, v11
	v_and_b32_e32 v39, 0xffff0000, v4
	v_cndmask_b32_e32 v1, 0, v1, vcc_lo
	v_cmp_gt_i32_e32 vcc_lo, s27, v36
	v_add_nc_u32_e32 v36, 6, v11
	v_cndmask_b32_e32 v35, 0, v35, vcc_lo
	v_cmp_gt_i32_e32 vcc_lo, s27, v37
	v_add_nc_u32_e32 v37, 5, v11
	;; [unrolled: 3-line block ×4, first 2 shown]
	v_cndmask_b32_sdwa v4, v18, v4, vcc_lo dst_sel:DWORD dst_unused:UNUSED_PAD src0_sel:DWORD src1_sel:WORD_0
	v_cmp_gt_i32_e32 vcc_lo, s27, v38
	v_cndmask_b32_e32 v38, 0, v39, vcc_lo
	v_cmp_gt_i32_e32 vcc_lo, s27, v36
	v_or_b32_e32 v4, v4, v38
	v_cndmask_b32_e32 v3, 0, v3, vcc_lo
	v_cmp_gt_i32_e32 vcc_lo, s27, v37
	v_cndmask_b32_e32 v33, 0, v33, vcc_lo
.LBB71_46:                              ;   in Loop: Header=BB71_43 Depth=1
	s_or_b32 exec_lo, exec_lo, s17
	v_and_b32_e32 v28, 0xffff, v28
	v_and_b32_e32 v31, 0xffff, v31
	v_lshlrev_b32_e32 v35, 16, v35
	v_and_b32_e32 v32, 0xffff, v32
	v_and_b32_e32 v30, 0xffff, v30
	v_lshl_or_b32 v28, v23, 16, v28
	v_lshl_or_b32 v27, v27, 16, v31
	v_lshlrev_b32_e32 v23, 16, v34
	v_lshlrev_b32_e32 v31, 16, v33
	v_and_or_b32 v1, 0xffff, v1, v35
	;;#ASMSTART
	v_pk_mul_f16 v1, v28, v1;

	;;#ASMEND
	v_lshl_or_b32 v29, v29, 16, v32
	v_and_or_b32 v2, 0xffff, v2, v23
	v_and_or_b32 v3, 0xffff, v3, v31
	v_lshl_or_b32 v30, v26, 16, v30
	;;#ASMSTART
	v_pk_mul_f16 v2, v27, v2;

	;;#ASMEND
	;;#ASMSTART
	v_pk_mul_f16 v3, v29, v3;

	;;#ASMEND
	;; [unrolled: 4-line block ×3, first 2 shown]
	;;#ASMSTART
	v_pk_add_f16 v1, v1, v2;

	;;#ASMEND
	;;#ASMSTART
	v_pk_add_f16 v1, v1, v3;

	;;#ASMEND
	;; [unrolled: 4-line block ×3, first 2 shown]
	v_and_b32_e32 v2, 0xffff, v1
	v_lshrrev_b32_e32 v1, 16, v1
	;;#ASMSTART
	v_cvt_f32_f16 v23, v2;
	;;#ASMEND
	;;#ASMSTART
	v_cvt_f32_f16 v26, v1;
	;;#ASMEND
	global_load_dwordx4 v[1:4], v[8:9], off offset:512
	s_waitcnt vmcnt(0)
	v_lshrrev_b32_e32 v33, 16, v1
	v_lshrrev_b32_e32 v32, 16, v2
	;; [unrolled: 1-line block ×3, first 2 shown]
	s_and_saveexec_b32 s17, s1
	s_cbranch_execz .LBB71_48
; %bb.47:                               ;   in Loop: Header=BB71_43 Depth=1
	v_add_nc_u32_e32 v34, 1, v11
	v_cmp_gt_i32_e32 vcc_lo, s27, v11
	v_add_nc_u32_e32 v35, 2, v11
	v_add_nc_u32_e32 v36, 3, v11
	v_and_b32_e32 v37, 0xffff0000, v4
	v_cndmask_b32_e32 v1, 0, v1, vcc_lo
	v_cmp_gt_i32_e32 vcc_lo, s27, v34
	v_add_nc_u32_e32 v34, 6, v11
	v_cndmask_b32_e32 v33, 0, v33, vcc_lo
	v_cmp_gt_i32_e32 vcc_lo, s27, v35
	v_add_nc_u32_e32 v35, 5, v11
	;; [unrolled: 3-line block ×4, first 2 shown]
	v_cndmask_b32_sdwa v4, v18, v4, vcc_lo dst_sel:DWORD dst_unused:UNUSED_PAD src0_sel:DWORD src1_sel:WORD_0
	v_cmp_gt_i32_e32 vcc_lo, s27, v36
	v_cndmask_b32_e32 v36, 0, v37, vcc_lo
	v_cmp_gt_i32_e32 vcc_lo, s27, v34
	v_or_b32_e32 v4, v4, v36
	v_cndmask_b32_e32 v3, 0, v3, vcc_lo
	v_cmp_gt_i32_e32 vcc_lo, s27, v35
	v_cndmask_b32_e32 v31, 0, v31, vcc_lo
.LBB71_48:                              ;   in Loop: Header=BB71_43 Depth=1
	s_or_b32 exec_lo, exec_lo, s17
	v_lshlrev_b32_e32 v33, 16, v33
	v_lshlrev_b32_e32 v32, 16, v32
	;; [unrolled: 1-line block ×3, first 2 shown]
	v_and_or_b32 v1, 0xffff, v1, v33
	v_and_or_b32 v2, 0xffff, v2, v32
	;; [unrolled: 1-line block ×3, first 2 shown]
	;;#ASMSTART
	v_pk_mul_f16 v1, v28, v1;

	;;#ASMEND
	;;#ASMSTART
	v_pk_mul_f16 v2, v27, v2;

	;;#ASMEND
	;;#ASMSTART
	v_pk_mul_f16 v3, v29, v3;

	;;#ASMEND
	;;#ASMSTART
	v_pk_mul_f16 v4, v30, v4;

	;;#ASMEND
	;;#ASMSTART
	v_pk_add_f16 v1, v1, v2;

	;;#ASMEND
	;;#ASMSTART
	v_pk_add_f16 v1, v1, v3;

	;;#ASMEND
	;; [unrolled: 4-line block ×3, first 2 shown]
	v_and_b32_e32 v2, 0xffff, v1
	v_lshrrev_b32_e32 v1, 16, v1
	;;#ASMSTART
	v_cvt_f32_f16 v31, v2;
	;;#ASMEND
	;;#ASMSTART
	v_cvt_f32_f16 v32, v1;
	;;#ASMEND
	global_load_dwordx4 v[1:4], v[8:9], off offset:1024
	s_waitcnt vmcnt(0)
	v_lshrrev_b32_e32 v33, 16, v1
	v_lshrrev_b32_e32 v9, 16, v2
	;; [unrolled: 1-line block ×3, first 2 shown]
	s_and_saveexec_b32 s17, s1
	s_cbranch_execz .LBB71_50
; %bb.49:                               ;   in Loop: Header=BB71_43 Depth=1
	v_add_nc_u32_e32 v34, 1, v11
	v_cmp_gt_i32_e32 vcc_lo, s27, v11
	v_add_nc_u32_e32 v35, 2, v11
	v_add_nc_u32_e32 v36, 3, v11
	v_and_b32_e32 v37, 0xffff0000, v4
	v_cndmask_b32_e32 v1, 0, v1, vcc_lo
	v_cmp_gt_i32_e32 vcc_lo, s27, v34
	v_add_nc_u32_e32 v34, 6, v11
	v_cndmask_b32_e32 v33, 0, v33, vcc_lo
	v_cmp_gt_i32_e32 vcc_lo, s27, v35
	v_add_nc_u32_e32 v35, 5, v11
	;; [unrolled: 3-line block ×4, first 2 shown]
	v_cndmask_b32_sdwa v4, v18, v4, vcc_lo dst_sel:DWORD dst_unused:UNUSED_PAD src0_sel:DWORD src1_sel:WORD_0
	v_cmp_gt_i32_e32 vcc_lo, s27, v36
	v_cndmask_b32_e32 v36, 0, v37, vcc_lo
	v_cmp_gt_i32_e32 vcc_lo, s27, v34
	v_or_b32_e32 v4, v4, v36
	v_cndmask_b32_e32 v3, 0, v3, vcc_lo
	v_cmp_gt_i32_e32 vcc_lo, s27, v35
	v_cndmask_b32_e32 v8, 0, v8, vcc_lo
.LBB71_50:                              ;   in Loop: Header=BB71_43 Depth=1
	s_or_b32 exec_lo, exec_lo, s17
	v_lshlrev_b32_e32 v33, 16, v33
	v_lshlrev_b32_e32 v9, 16, v9
	;; [unrolled: 1-line block ×3, first 2 shown]
	v_and_or_b32 v1, 0xffff, v1, v33
	v_and_or_b32 v2, 0xffff, v2, v9
	;; [unrolled: 1-line block ×3, first 2 shown]
	;;#ASMSTART
	v_pk_mul_f16 v1, v28, v1;

	;;#ASMEND
	;;#ASMSTART
	v_pk_mul_f16 v2, v27, v2;

	;;#ASMEND
	;; [unrolled: 4-line block ×4, first 2 shown]
	;;#ASMSTART
	v_pk_add_f16 v1, v1, v2;

	;;#ASMEND
	;;#ASMSTART
	v_pk_add_f16 v1, v1, v3;

	;;#ASMEND
	;; [unrolled: 4-line block ×3, first 2 shown]
	v_and_b32_e32 v2, 0xffff, v1
	v_lshrrev_b32_e32 v1, 16, v1
	;;#ASMSTART
	v_cvt_f32_f16 v8, v2;
	;;#ASMEND
	;;#ASMSTART
	v_cvt_f32_f16 v9, v1;
	;;#ASMEND
	s_and_saveexec_b32 s17, s0
	s_cbranch_execz .LBB71_41
; %bb.51:                               ;   in Loop: Header=BB71_43 Depth=1
	v_add_co_u32 v1, vcc_lo, v24, v21
	v_add_co_ci_u32_e64 v2, null, 0, v25, vcc_lo
	global_load_dwordx4 v[1:4], v[1:2], off
	s_waitcnt vmcnt(0)
	v_lshrrev_b32_e32 v33, 16, v1
	v_lshrrev_b32_e32 v25, 16, v2
	;; [unrolled: 1-line block ×3, first 2 shown]
	s_and_saveexec_b32 s18, s1
	s_cbranch_execz .LBB71_40
; %bb.52:                               ;   in Loop: Header=BB71_43 Depth=1
	v_add_nc_u32_e32 v34, 1, v11
	v_cmp_gt_i32_e32 vcc_lo, s27, v11
	v_add_nc_u32_e32 v35, 2, v11
	v_add_nc_u32_e32 v36, 3, v11
	v_and_b32_e32 v37, 0xffff0000, v4
	v_cndmask_b32_e32 v1, 0, v1, vcc_lo
	v_cmp_gt_i32_e32 vcc_lo, s27, v34
	v_add_nc_u32_e32 v34, 6, v11
	v_cndmask_b32_e32 v33, 0, v33, vcc_lo
	v_cmp_gt_i32_e32 vcc_lo, s27, v35
	v_add_nc_u32_e32 v35, 5, v11
	;; [unrolled: 3-line block ×4, first 2 shown]
	v_cndmask_b32_sdwa v4, v18, v4, vcc_lo dst_sel:DWORD dst_unused:UNUSED_PAD src0_sel:DWORD src1_sel:WORD_0
	v_cmp_gt_i32_e32 vcc_lo, s27, v36
	v_cndmask_b32_e32 v36, 0, v37, vcc_lo
	v_cmp_gt_i32_e32 vcc_lo, s27, v34
	v_or_b32_e32 v4, v4, v36
	v_cndmask_b32_e32 v3, 0, v3, vcc_lo
	v_cmp_gt_i32_e32 vcc_lo, s27, v35
	v_cndmask_b32_e32 v24, 0, v24, vcc_lo
	s_branch .LBB71_40
.LBB71_53:
	s_or_b32 exec_lo, exec_lo, s13
.LBB71_54:
	s_or_b32 exec_lo, exec_lo, s3
	s_movk_i32 s0, 0x1c0
	v_and_b32_e32 v1, 0x3c0, v0
	v_mad_u32_u24 v4, v10, s0, 0x100
	v_or_b32_e32 v3, 0x60, v0
	s_mov_b32 s0, exec_lo
	s_waitcnt_vscnt null, 0x0
	s_barrier
	buffer_gl0_inv
	v_cmpx_eq_u32_e32 64, v1
	s_cbranch_execz .LBB71_57
; %bb.55:
	v_add_nc_u32_e32 v1, 0xfffffc80, v4
	v_cmp_gt_u32_e32 vcc_lo, 0x70, v3
	v_lshl_add_u32 v2, v12, 2, v1
	ds_write2_b32 v2, v17, v16 offset1:32
	ds_write_b32 v2, v15 offset:256
	s_and_b32 exec_lo, exec_lo, vcc_lo
; %bb.56:
	v_lshl_add_u32 v1, v3, 2, v1
	ds_write_b32 v1, v14
.LBB71_57:
	s_or_b32 exec_lo, exec_lo, s0
	v_lshl_add_u32 v5, v12, 2, v4
	s_mov_b32 s0, exec_lo
	s_waitcnt lgkmcnt(0)
	s_barrier
	buffer_gl0_inv
	v_cmpx_gt_u32_e32 64, v0
	s_cbranch_execz .LBB71_61
; %bb.58:
	v_lshl_or_b32 v1, v0, 2, 0x80
	s_mov_b32 s1, exec_lo
	v_add_nc_u32_e32 v6, v4, v1
	ds_read2st64_b32 v[1:2], v5 offset1:1
	ds_read_b32 v6, v6
	v_cmpx_gt_u32_e32 0x70, v3
	s_cbranch_execz .LBB71_60
; %bb.59:
	v_lshl_add_u32 v7, v3, 2, v4
	ds_read_b32 v7, v7
	s_waitcnt lgkmcnt(0)
	v_add_f32_e32 v14, v14, v7
.LBB71_60:
	s_or_b32 exec_lo, exec_lo, s1
	s_waitcnt lgkmcnt(1)
	v_add_f32_e32 v17, v17, v1
	s_waitcnt lgkmcnt(0)
	v_add_f32_e32 v16, v16, v6
	v_add_f32_e32 v15, v15, v2
.LBB71_61:
	s_or_b32 exec_lo, exec_lo, s0
	v_and_b32_e32 v1, 0x3e0, v0
	s_mov_b32 s0, exec_lo
	s_barrier
	buffer_gl0_inv
	v_cmpx_eq_u32_e32 32, v1
	s_cbranch_execz .LBB71_64
; %bb.62:
	v_lshl_add_u32 v1, v12, 2, 0x100
	v_cmp_gt_u32_e32 vcc_lo, 0x70, v3
	ds_write_b32 v1, v17
	ds_write_b32 v13, v16
	ds_write_b32 v1, v15 offset:256
	s_and_b32 exec_lo, exec_lo, vcc_lo
; %bb.63:
	v_lshl_add_u32 v1, v3, 2, 0x100
	ds_write_b32 v1, v14
.LBB71_64:
	s_or_b32 exec_lo, exec_lo, s0
	v_cmp_gt_u32_e32 vcc_lo, 32, v0
	s_waitcnt lgkmcnt(0)
	s_barrier
	buffer_gl0_inv
	s_and_saveexec_b32 s1, vcc_lo
	s_cbranch_execz .LBB71_68
; %bb.65:
	v_lshl_add_u32 v6, v0, 2, v4
	s_mov_b32 s3, exec_lo
	ds_read_b32 v4, v5
	ds_read2_b32 v[1:2], v6 offset0:32 offset1:64
	v_cmpx_gt_u32_e32 0x70, v3
	s_cbranch_execz .LBB71_67
; %bb.66:
	ds_read_b32 v5, v6 offset:384
	s_waitcnt lgkmcnt(0)
	v_add_f32_e32 v14, v14, v5
.LBB71_67:
	s_or_b32 exec_lo, exec_lo, s3
	s_waitcnt lgkmcnt(1)
	v_add_f32_e32 v17, v17, v4
	s_waitcnt lgkmcnt(0)
	v_add_f32_e32 v16, v16, v1
	v_add_f32_e32 v15, v15, v2
.LBB71_68:
	s_or_b32 exec_lo, exec_lo, s1
	s_barrier
	buffer_gl0_inv
	s_and_saveexec_b32 s0, vcc_lo
	s_cbranch_execz .LBB71_71
; %bb.69:
	s_mul_i32 s0, s2, 0x70
	s_mul_i32 s2, s7, s10
	s_ashr_i32 s1, s0, 31
	v_lshlrev_b32_e32 v0, 1, v0
	s_lshl_b64 s[0:1], s[0:1], 1
	v_cmp_gt_u32_e32 vcc_lo, 0x70, v3
	s_add_u32 s4, s24, s0
	s_addc_u32 s5, s25, s1
	s_ashr_i32 s3, s2, 31
	;;#ASMSTART
	v_cvt_f16_f32 v1, v17;

	;;#ASMEND
	s_lshl_b64 s[0:1], s[2:3], 1
	s_mul_i32 s2, s8, 0x70
	s_add_u32 s4, s4, s0
	s_addc_u32 s5, s5, s1
	s_ashr_i32 s3, s2, 31
	s_lshl_b64 s[0:1], s[2:3], 1
	s_add_u32 s0, s4, s0
	s_addc_u32 s1, s5, s1
	global_store_short v0, v1, s[0:1]
	;;#ASMSTART
	v_cvt_f16_f32 v1, v16;

	;;#ASMEND
	global_store_short v0, v1, s[0:1] offset:64
	;;#ASMSTART
	v_cvt_f16_f32 v1, v15;

	;;#ASMEND
	global_store_short v0, v1, s[0:1] offset:128
	s_and_b32 exec_lo, exec_lo, vcc_lo
	s_cbranch_execz .LBB71_71
; %bb.70:
	v_add_co_u32 v0, s0, s0, v0
	v_add_co_ci_u32_e64 v1, null, s1, 0, s0
	;;#ASMSTART
	v_cvt_f16_f32 v2, v14;

	;;#ASMEND
	global_store_short v[0:1], v2, off offset:192
.LBB71_71:
	s_endpgm
	.section	.rodata,"a",@progbits
	.p2align	6, 0x0
	.amdhsa_kernel _ZN4vllm25paged_attention_v2_kernelIttLi112ELi8ELi128ELNS_18Fp8KVCacheDataTypeE0ELb1ELi512EEEvPfS2_PT_PKS3_PKT0_S9_ifPKiSB_iPKfiiiSD_SD_iiiii
		.amdhsa_group_segment_fixed_size 256
		.amdhsa_private_segment_fixed_size 0
		.amdhsa_kernarg_size 400
		.amdhsa_user_sgpr_count 6
		.amdhsa_user_sgpr_private_segment_buffer 1
		.amdhsa_user_sgpr_dispatch_ptr 0
		.amdhsa_user_sgpr_queue_ptr 0
		.amdhsa_user_sgpr_kernarg_segment_ptr 1
		.amdhsa_user_sgpr_dispatch_id 0
		.amdhsa_user_sgpr_flat_scratch_init 0
		.amdhsa_user_sgpr_private_segment_size 0
		.amdhsa_wavefront_size32 1
		.amdhsa_uses_dynamic_stack 0
		.amdhsa_system_sgpr_private_segment_wavefront_offset 0
		.amdhsa_system_sgpr_workgroup_id_x 1
		.amdhsa_system_sgpr_workgroup_id_y 1
		.amdhsa_system_sgpr_workgroup_id_z 1
		.amdhsa_system_sgpr_workgroup_info 0
		.amdhsa_system_vgpr_workitem_id 0
		.amdhsa_next_free_vgpr 69
		.amdhsa_next_free_sgpr 46
		.amdhsa_reserve_vcc 1
		.amdhsa_reserve_flat_scratch 0
		.amdhsa_float_round_mode_32 0
		.amdhsa_float_round_mode_16_64 0
		.amdhsa_float_denorm_mode_32 3
		.amdhsa_float_denorm_mode_16_64 3
		.amdhsa_dx10_clamp 1
		.amdhsa_ieee_mode 1
		.amdhsa_fp16_overflow 0
		.amdhsa_workgroup_processor_mode 1
		.amdhsa_memory_ordered 1
		.amdhsa_forward_progress 1
		.amdhsa_shared_vgpr_count 0
		.amdhsa_exception_fp_ieee_invalid_op 0
		.amdhsa_exception_fp_denorm_src 0
		.amdhsa_exception_fp_ieee_div_zero 0
		.amdhsa_exception_fp_ieee_overflow 0
		.amdhsa_exception_fp_ieee_underflow 0
		.amdhsa_exception_fp_ieee_inexact 0
		.amdhsa_exception_int_div_zero 0
	.end_amdhsa_kernel
	.section	.text._ZN4vllm25paged_attention_v2_kernelIttLi112ELi8ELi128ELNS_18Fp8KVCacheDataTypeE0ELb1ELi512EEEvPfS2_PT_PKS3_PKT0_S9_ifPKiSB_iPKfiiiSD_SD_iiiii,"axG",@progbits,_ZN4vllm25paged_attention_v2_kernelIttLi112ELi8ELi128ELNS_18Fp8KVCacheDataTypeE0ELb1ELi512EEEvPfS2_PT_PKS3_PKT0_S9_ifPKiSB_iPKfiiiSD_SD_iiiii,comdat
.Lfunc_end71:
	.size	_ZN4vllm25paged_attention_v2_kernelIttLi112ELi8ELi128ELNS_18Fp8KVCacheDataTypeE0ELb1ELi512EEEvPfS2_PT_PKS3_PKT0_S9_ifPKiSB_iPKfiiiSD_SD_iiiii, .Lfunc_end71-_ZN4vllm25paged_attention_v2_kernelIttLi112ELi8ELi128ELNS_18Fp8KVCacheDataTypeE0ELb1ELi512EEEvPfS2_PT_PKS3_PKT0_S9_ifPKiSB_iPKfiiiSD_SD_iiiii
                                        ; -- End function
	.set _ZN4vllm25paged_attention_v2_kernelIttLi112ELi8ELi128ELNS_18Fp8KVCacheDataTypeE0ELb1ELi512EEEvPfS2_PT_PKS3_PKT0_S9_ifPKiSB_iPKfiiiSD_SD_iiiii.num_vgpr, 69
	.set _ZN4vllm25paged_attention_v2_kernelIttLi112ELi8ELi128ELNS_18Fp8KVCacheDataTypeE0ELb1ELi512EEEvPfS2_PT_PKS3_PKT0_S9_ifPKiSB_iPKfiiiSD_SD_iiiii.num_agpr, 0
	.set _ZN4vllm25paged_attention_v2_kernelIttLi112ELi8ELi128ELNS_18Fp8KVCacheDataTypeE0ELb1ELi512EEEvPfS2_PT_PKS3_PKT0_S9_ifPKiSB_iPKfiiiSD_SD_iiiii.numbered_sgpr, 46
	.set _ZN4vllm25paged_attention_v2_kernelIttLi112ELi8ELi128ELNS_18Fp8KVCacheDataTypeE0ELb1ELi512EEEvPfS2_PT_PKS3_PKT0_S9_ifPKiSB_iPKfiiiSD_SD_iiiii.num_named_barrier, 0
	.set _ZN4vllm25paged_attention_v2_kernelIttLi112ELi8ELi128ELNS_18Fp8KVCacheDataTypeE0ELb1ELi512EEEvPfS2_PT_PKS3_PKT0_S9_ifPKiSB_iPKfiiiSD_SD_iiiii.private_seg_size, 0
	.set _ZN4vllm25paged_attention_v2_kernelIttLi112ELi8ELi128ELNS_18Fp8KVCacheDataTypeE0ELb1ELi512EEEvPfS2_PT_PKS3_PKT0_S9_ifPKiSB_iPKfiiiSD_SD_iiiii.uses_vcc, 1
	.set _ZN4vllm25paged_attention_v2_kernelIttLi112ELi8ELi128ELNS_18Fp8KVCacheDataTypeE0ELb1ELi512EEEvPfS2_PT_PKS3_PKT0_S9_ifPKiSB_iPKfiiiSD_SD_iiiii.uses_flat_scratch, 0
	.set _ZN4vllm25paged_attention_v2_kernelIttLi112ELi8ELi128ELNS_18Fp8KVCacheDataTypeE0ELb1ELi512EEEvPfS2_PT_PKS3_PKT0_S9_ifPKiSB_iPKfiiiSD_SD_iiiii.has_dyn_sized_stack, 0
	.set _ZN4vllm25paged_attention_v2_kernelIttLi112ELi8ELi128ELNS_18Fp8KVCacheDataTypeE0ELb1ELi512EEEvPfS2_PT_PKS3_PKT0_S9_ifPKiSB_iPKfiiiSD_SD_iiiii.has_recursion, 0
	.set _ZN4vllm25paged_attention_v2_kernelIttLi112ELi8ELi128ELNS_18Fp8KVCacheDataTypeE0ELb1ELi512EEEvPfS2_PT_PKS3_PKT0_S9_ifPKiSB_iPKfiiiSD_SD_iiiii.has_indirect_call, 0
	.section	.AMDGPU.csdata,"",@progbits
; Kernel info:
; codeLenInByte = 7536
; TotalNumSgprs: 48
; NumVgprs: 69
; ScratchSize: 0
; MemoryBound: 0
; FloatMode: 240
; IeeeMode: 1
; LDSByteSize: 256 bytes/workgroup (compile time only)
; SGPRBlocks: 0
; VGPRBlocks: 8
; NumSGPRsForWavesPerEU: 48
; NumVGPRsForWavesPerEU: 69
; Occupancy: 12
; WaveLimiterHint : 1
; COMPUTE_PGM_RSRC2:SCRATCH_EN: 0
; COMPUTE_PGM_RSRC2:USER_SGPR: 6
; COMPUTE_PGM_RSRC2:TRAP_HANDLER: 0
; COMPUTE_PGM_RSRC2:TGID_X_EN: 1
; COMPUTE_PGM_RSRC2:TGID_Y_EN: 1
; COMPUTE_PGM_RSRC2:TGID_Z_EN: 1
; COMPUTE_PGM_RSRC2:TIDIG_COMP_CNT: 0
	.section	.text._ZN4vllm32paged_attention_v2_reduce_kernelItLi112ELi128ELi512EEEvPT_PKfS4_PKS1_PKii,"axG",@progbits,_ZN4vllm32paged_attention_v2_reduce_kernelItLi112ELi128ELi512EEEvPT_PKfS4_PKS1_PKii,comdat
	.protected	_ZN4vllm32paged_attention_v2_reduce_kernelItLi112ELi128ELi512EEEvPT_PKfS4_PKS1_PKii ; -- Begin function _ZN4vllm32paged_attention_v2_reduce_kernelItLi112ELi128ELi512EEEvPT_PKfS4_PKS1_PKii
	.globl	_ZN4vllm32paged_attention_v2_reduce_kernelItLi112ELi128ELi512EEEvPT_PKfS4_PKS1_PKii
	.p2align	8
	.type	_ZN4vllm32paged_attention_v2_reduce_kernelItLi112ELi128ELi512EEEvPT_PKfS4_PKS1_PKii,@function
_ZN4vllm32paged_attention_v2_reduce_kernelItLi112ELi128ELi512EEEvPT_PKfS4_PKS1_PKii: ; @_ZN4vllm32paged_attention_v2_reduce_kernelItLi112ELi128ELi512EEEvPT_PKfS4_PKS1_PKii
; %bb.0:
	s_load_dwordx4 s[8:11], s[4:5], 0x18
	s_add_u32 s14, s4, 48
	s_mov_b32 s12, s7
	s_addc_u32 s15, s5, 0
	s_ashr_i32 s13, s7, 31
	s_lshl_b64 s[0:1], s[12:13], 2
	s_waitcnt lgkmcnt(0)
	s_add_u32 s0, s10, s0
	s_addc_u32 s1, s11, s1
	s_load_dword s22, s[0:1], 0x0
	s_clause 0x2
	s_load_dwordx2 s[10:11], s[4:5], 0x0
	s_load_dword s7, s[4:5], 0x28
	s_load_dword s13, s[4:5], 0x30
	s_waitcnt lgkmcnt(0)
	s_add_i32 s0, s22, -1
	s_cmpk_gt_u32 s0, 0x1ff
	s_mov_b32 s0, -1
	s_cbranch_scc0 .LBB72_25
; %bb.1:
	s_load_dwordx2 s[2:3], s[4:5], 0x8
	s_add_i32 s0, s22, 0x1ff
	s_mul_i32 s20, s13, s12
	s_ashr_i32 s1, s0, 31
	v_mov_b32_e32 v4, 0xff7fffff
	s_lshr_b32 s1, s1, 23
	v_lshlrev_b32_e32 v3, 2, v0
	s_add_i32 s0, s0, s1
	s_mul_i32 s16, s20, s7
	s_ashr_i32 s21, s0, 9
	s_mul_i32 s18, s7, s6
	v_cmp_gt_i32_e32 vcc_lo, s21, v0
	s_ashr_i32 s17, s16, 31
	s_ashr_i32 s19, s18, 31
	s_and_saveexec_b32 s1, vcc_lo
	s_cbranch_execz .LBB72_5
; %bb.2:
	s_load_dword s0, s[14:15], 0xc
	s_load_dwordx2 s[24:25], s[4:5], 0x10
	s_lshl_b64 s[26:27], s[16:17], 2
	s_lshl_b64 s[28:29], s[18:19], 2
	v_add_nc_u32_e32 v5, 32, v3
	v_mov_b32_e32 v4, 0xff7fffff
	v_mov_b32_e32 v6, v0
	s_waitcnt lgkmcnt(0)
	s_and_b32 s4, s0, 0xffff
	s_add_u32 s0, s26, s28
	s_addc_u32 s5, s27, s29
	s_add_u32 s0, s24, s0
	s_addc_u32 s5, s25, s5
	v_add_co_u32 v1, s0, s0, v3
	v_add_co_ci_u32_e64 v2, null, s5, 0, s0
	s_mov_b32 s5, 0
	s_lshl_b32 s23, s4, 2
	.p2align	6
.LBB72_3:                               ; =>This Inner Loop Header: Depth=1
	global_load_dword v7, v[1:2], off
	v_add_nc_u32_e32 v6, s4, v6
	v_max_f32_e32 v4, v4, v4
	v_add_co_u32 v1, s0, v1, s23
	v_add_co_ci_u32_e64 v2, null, 0, v2, s0
	v_cmp_le_i32_e64 s0, s21, v6
	s_or_b32 s5, s0, s5
	s_waitcnt vmcnt(0)
	v_max_f32_e32 v8, v7, v7
	ds_write_b32 v5, v7
	v_add_nc_u32_e32 v5, s23, v5
	v_max_f32_e32 v4, v4, v8
	s_andn2_b32 exec_lo, exec_lo, s5
	s_cbranch_execnz .LBB72_3
; %bb.4:
	s_or_b32 exec_lo, exec_lo, s5
.LBB72_5:
	s_or_b32 exec_lo, exec_lo, s1
	v_mbcnt_lo_u32_b32 v1, -1, 0
	s_waitcnt lgkmcnt(0)
	s_barrier
	buffer_gl0_inv
	v_xor_b32_e32 v2, 16, v1
	v_xor_b32_e32 v5, 8, v1
	v_cmp_gt_i32_e64 s0, 32, v2
	v_cndmask_b32_e64 v2, v1, v2, s0
	v_cmp_gt_i32_e64 s0, 32, v5
	v_lshlrev_b32_e32 v6, 2, v2
	v_cndmask_b32_e64 v5, v1, v5, s0
	ds_bpermute_b32 v2, v6, v4
	v_max_f32_e32 v4, v4, v4
	v_lshlrev_b32_e32 v7, 2, v5
	v_xor_b32_e32 v5, 4, v1
	v_cmp_gt_i32_e64 s0, 32, v5
	v_cndmask_b32_e64 v5, v1, v5, s0
	v_lshlrev_b32_e32 v8, 2, v5
	v_xor_b32_e32 v5, 2, v1
	s_waitcnt lgkmcnt(0)
	v_max_f32_e32 v2, v2, v2
	v_cmp_gt_i32_e64 s0, 32, v5
	v_max_f32_e32 v2, v4, v2
	v_cndmask_b32_e64 v5, v1, v5, s0
	ds_bpermute_b32 v4, v7, v2
	s_waitcnt lgkmcnt(0)
	v_max_f32_e32 v4, v4, v4
	v_max_f32_e32 v2, v2, v4
	ds_bpermute_b32 v4, v8, v2
	s_waitcnt lgkmcnt(0)
	v_max_f32_e32 v9, v4, v4
	v_lshlrev_b32_e32 v4, 2, v5
	v_max_f32_e32 v2, v2, v9
	v_xor_b32_e32 v9, 1, v1
	ds_bpermute_b32 v5, v4, v2
	v_cmp_gt_i32_e64 s0, 32, v9
	v_cndmask_b32_e64 v1, v1, v9, s0
	v_lshrrev_b32_e32 v9, 5, v0
	v_lshlrev_b32_e32 v9, 2, v9
	s_waitcnt lgkmcnt(0)
	v_max_f32_e32 v5, v5, v5
	v_max_f32_e32 v2, v2, v5
	v_lshlrev_b32_e32 v5, 2, v1
	v_and_b32_e32 v1, 31, v0
	ds_bpermute_b32 v10, v5, v2
	v_cmp_eq_u32_e64 s0, 0, v1
	s_and_saveexec_b32 s1, s0
	s_cbranch_execz .LBB72_7
; %bb.6:
	s_waitcnt lgkmcnt(0)
	v_max_f32_e32 v10, v10, v10
	v_max_f32_e32 v2, v2, v2
	;; [unrolled: 1-line block ×3, first 2 shown]
	ds_write_b32 v9, v2
.LBB72_7:
	s_or_b32 exec_lo, exec_lo, s1
	v_cmp_gt_u32_e64 s1, 4, v1
	v_mov_b32_e32 v2, 0xff7fffff
	s_waitcnt lgkmcnt(0)
	v_lshlrev_b32_e32 v10, 2, v1
	s_barrier
	buffer_gl0_inv
	s_and_saveexec_b32 s4, s1
; %bb.8:
	ds_read_b32 v2, v10
; %bb.9:
	s_or_b32 exec_lo, exec_lo, s4
	s_waitcnt lgkmcnt(0)
	ds_bpermute_b32 v1, v4, v2
	v_max_f32_e32 v2, v2, v2
	v_mov_b32_e32 v11, 0
	s_lshl_b32 s4, s21, 2
	s_waitcnt lgkmcnt(0)
	v_max_f32_e32 v1, v1, v1
	v_max_f32_e32 v1, v2, v1
	ds_bpermute_b32 v2, v5, v1
	s_waitcnt lgkmcnt(0)
	v_max_f32_e32 v2, v2, v2
	v_max_f32_e32 v1, v1, v2
	ds_bpermute_b32 v12, v11, v1
	s_and_saveexec_b32 s5, vcc_lo
	s_cbranch_execz .LBB72_13
; %bb.10:
	s_load_dword s23, s[14:15], 0xc
	s_lshl_b64 s[24:25], s[16:17], 2
	s_lshl_b64 s[26:27], s[18:19], 2
	v_mov_b32_e32 v11, 0
	v_add_nc_u32_e32 v13, 32, v3
	s_waitcnt lgkmcnt(0)
	s_and_b32 s17, s23, 0xffff
	s_add_u32 s19, s24, s26
	s_addc_u32 s23, s25, s27
	s_add_u32 s2, s2, s19
	s_addc_u32 s3, s3, s23
	v_add_co_u32 v1, s2, s2, v3
	v_add_co_ci_u32_e64 v2, null, s3, 0, s2
	v_mov_b32_e32 v3, v0
	s_mov_b32 s3, 0
	s_lshl_b32 s19, s17, 2
	s_inst_prefetch 0x1
	.p2align	6
.LBB72_11:                              ; =>This Inner Loop Header: Depth=1
	global_load_dword v14, v[1:2], off
	ds_read_b32 v15, v13
	v_add_nc_u32_e32 v3, s17, v3
	s_waitcnt lgkmcnt(0)
	v_sub_f32_e32 v15, v15, v12
	v_mul_f32_e32 v16, 0x3fb8aa3b, v15
	v_cmp_ngt_f32_e32 vcc_lo, 0xc2ce8ed0, v15
	v_cmp_nlt_f32_e64 s2, 0x42b17218, v15
	v_fma_f32 v17, 0x3fb8aa3b, v15, -v16
	v_rndne_f32_e32 v18, v16
	v_fmac_f32_e32 v17, 0x32a5705f, v15
	v_sub_f32_e32 v16, v16, v18
	v_add_f32_e32 v16, v16, v17
	v_cvt_i32_f32_e32 v17, v18
	v_exp_f32_e32 v16, v16
	v_ldexp_f32 v16, v16, v17
	v_add_nc_u32_e32 v17, s4, v13
	v_add_nc_u32_e32 v13, s19, v13
	v_cndmask_b32_e32 v16, 0, v16, vcc_lo
	v_add_co_u32 v1, vcc_lo, v1, s19
	v_add_co_ci_u32_e64 v2, null, 0, v2, vcc_lo
	v_cndmask_b32_e64 v15, 0x7f800000, v16, s2
	v_cmp_le_i32_e32 vcc_lo, s21, v3
	s_or_b32 s3, vcc_lo, s3
	s_waitcnt vmcnt(0)
	v_mul_f32_e32 v16, v14, v15
	v_fmac_f32_e32 v11, v14, v15
	ds_write_b32 v17, v16
	s_andn2_b32 exec_lo, exec_lo, s3
	s_cbranch_execnz .LBB72_11
; %bb.12:
	s_inst_prefetch 0x2
	s_or_b32 exec_lo, exec_lo, s3
.LBB72_13:
	s_or_b32 exec_lo, exec_lo, s5
	ds_bpermute_b32 v1, v6, v11
	s_waitcnt lgkmcnt(0)
	s_barrier
	buffer_gl0_inv
	v_add_f32_e32 v1, v11, v1
	ds_bpermute_b32 v2, v7, v1
	s_waitcnt lgkmcnt(0)
	v_add_f32_e32 v1, v1, v2
	ds_bpermute_b32 v2, v8, v1
	s_waitcnt lgkmcnt(0)
	;; [unrolled: 3-line block ×4, first 2 shown]
	v_add_f32_e32 v1, v1, v2
	s_and_saveexec_b32 s2, s0
; %bb.14:
	ds_write_b32 v9, v1 offset:16
; %bb.15:
	s_or_b32 exec_lo, exec_lo, s2
	s_waitcnt lgkmcnt(0)
	s_barrier
	buffer_gl0_inv
	s_and_saveexec_b32 s0, s1
; %bb.16:
	ds_read_b32 v1, v10 offset:16
; %bb.17:
	s_or_b32 exec_lo, exec_lo, s0
	s_waitcnt lgkmcnt(0)
	ds_bpermute_b32 v2, v4, v1
	s_mov_b32 s0, exec_lo
	s_waitcnt lgkmcnt(0)
	v_add_f32_e32 v1, v1, v2
	ds_bpermute_b32 v2, v5, v1
	s_waitcnt lgkmcnt(0)
	v_add_f32_e32 v1, v1, v2
	v_mov_b32_e32 v2, 0
	ds_bpermute_b32 v2, v2, v1
	v_cmpx_gt_u32_e32 0x70, v0
	s_cbranch_execz .LBB72_24
; %bb.18:
	s_cmp_gt_i32 s22, 0
	s_mov_b32 s1, 0
	s_cbranch_scc1 .LBB72_20
; %bb.19:
	v_mov_b32_e32 v1, 0
	v_mov_b32_e32 v4, 0
	s_andn2_b32 vcc_lo, exec_lo, s1
	s_cbranch_vccz .LBB72_21
	s_branch .LBB72_23
.LBB72_20:
	v_mov_b32_e32 v4, 0
.LBB72_21:
	s_waitcnt lgkmcnt(0)
	v_add_f32_e32 v4, 0x358637bd, v2
	s_mulk_i32 s16, 0x70
	s_mulk_i32 s18, 0x70
	s_ashr_i32 s17, s16, 31
	s_ashr_i32 s19, s18, 31
	v_div_scale_f32 v2, null, v4, v4, 1.0
	v_div_scale_f32 v5, vcc_lo, 1.0, v4, 1.0
	s_add_i32 s2, s4, 32
	v_rcp_f32_e32 v3, v2
	s_lshl_b64 s[4:5], s[16:17], 1
	s_lshl_b64 s[16:17], s[18:19], 1
	s_max_i32 s1, s21, 1
	s_add_u32 s3, s4, s16
	s_addc_u32 s4, s5, s17
	s_add_u32 s3, s8, s3
	s_addc_u32 s4, s9, s4
	v_fma_f32 v1, -v2, v3, 1.0
	v_fmac_f32_e32 v3, v1, v3
	v_mov_b32_e32 v1, 0
	v_mul_f32_e32 v6, v5, v3
	v_fma_f32 v7, -v2, v6, v5
	v_fmac_f32_e32 v6, v7, v3
	v_lshlrev_b32_e32 v7, 1, v0
	v_fma_f32 v2, -v2, v6, v5
	v_div_fmas_f32 v5, v2, v3, v6
	v_add_co_u32 v2, s3, s3, v7
	v_add_co_ci_u32_e64 v3, null, s4, 0, s3
	v_div_fixup_f32 v5, v5, v4, 1.0
	v_mov_b32_e32 v4, v1
	.p2align	6
.LBB72_22:                              ; =>This Inner Loop Header: Depth=1
	v_mov_b32_e32 v6, s2
	global_load_ushort v7, v[2:3], off
	s_waitcnt vmcnt(0)
	;;#ASMSTART
	v_cvt_f32_f16 v7, v7;
	;;#ASMEND
	v_add_co_u32 v2, vcc_lo, 0xe0, v2
	ds_read_b32 v6, v6
	v_add_co_ci_u32_e64 v3, null, 0, v3, vcc_lo
	s_add_i32 s1, s1, -1
	s_add_i32 s2, s2, 4
	s_cmp_eq_u32 s1, 0
	s_waitcnt lgkmcnt(0)
	v_mul_f32_e32 v6, v7, v6
	v_fmac_f32_e32 v4, v5, v6
	s_cbranch_scc0 .LBB72_22
.LBB72_23:
	s_mul_i32 s2, s20, 0x70
	s_mul_i32 s4, s6, 0x70
	s_ashr_i32 s3, s2, 31
	s_waitcnt lgkmcnt(0)
	v_lshlrev_b64 v[1:2], 1, v[0:1]
	s_lshl_b64 s[2:3], s[2:3], 1
	;;#ASMSTART
	v_cvt_f16_f32 v3, v4;

	;;#ASMEND
	s_add_u32 s1, s10, s2
	s_addc_u32 s16, s11, s3
	s_ashr_i32 s5, s4, 31
	s_lshl_b64 s[2:3], s[4:5], 1
	s_add_u32 s1, s1, s2
	s_addc_u32 s2, s16, s3
	v_add_co_u32 v1, vcc_lo, s1, v1
	v_add_co_ci_u32_e64 v2, null, s2, v2, vcc_lo
	global_store_short v[1:2], v3, off
.LBB72_24:
	s_or_b32 exec_lo, exec_lo, s0
	s_mov_b32 s0, 0
.LBB72_25:
	s_and_b32 vcc_lo, exec_lo, s0
	s_cbranch_vccz .LBB72_34
; %bb.26:
	s_mov_b32 s0, exec_lo
	v_cmpx_gt_u32_e32 0x70, v0
	s_cbranch_execz .LBB72_34
; %bb.27:
	s_load_dword s0, s[14:15], 0xc
	s_mul_i32 s1, s13, s12
	s_mul_i32 s4, s6, 0x70
	;; [unrolled: 1-line block ×5, first 2 shown]
	v_cmp_gt_u32_e32 vcc_lo, 0x6d, v0
	s_ashr_i32 s5, s4, 31
	s_ashr_i32 s13, s12, 31
	;; [unrolled: 1-line block ×4, first 2 shown]
	s_waitcnt lgkmcnt(0)
	s_and_b32 s1, s0, 0xffff
	s_cmp_eq_u32 s1, 1
	s_cselect_b32 s0, -1, 0
	s_and_b32 s15, vcc_lo, s0
	s_mov_b32 s0, -1
	s_and_saveexec_b32 s14, s15
	s_cbranch_execz .LBB72_31
; %bb.28:
	s_lshl_b64 s[16:17], s[6:7], 1
	s_lshl_b64 s[18:19], s[2:3], 1
	v_lshlrev_b32_e32 v1, 1, v0
	s_add_u32 s0, s16, s18
	s_addc_u32 s15, s17, s19
	s_add_u32 s0, s8, s0
	s_addc_u32 s15, s9, s15
	s_lshl_b64 s[16:17], s[12:13], 1
	s_lshl_b64 s[18:19], s[4:5], 1
	v_add_co_u32 v2, s0, s0, v1
	v_add_co_ci_u32_e64 v3, null, s15, 0, s0
	s_add_u32 s0, s16, s18
	v_sub_nc_u32_e32 v5, 0x70, v0
	s_addc_u32 s15, s17, s19
	s_add_u32 s0, s10, s0
	s_addc_u32 s15, s11, s15
	v_add_co_u32 v4, s0, s0, v1
	v_and_b32_e32 v6, 0x7c, v5
	v_add_co_ci_u32_e64 v7, null, s15, 0, s0
	v_add_co_u32 v1, vcc_lo, v2, 4
	v_add_co_ci_u32_e64 v2, null, 0, v3, vcc_lo
	v_add_co_u32 v3, vcc_lo, v4, 4
	v_add_co_ci_u32_e64 v4, null, 0, v7, vcc_lo
	v_mov_b32_e32 v7, v6
	s_mov_b32 s15, 0
	.p2align	6
.LBB72_29:                              ; =>This Inner Loop Header: Depth=1
	global_load_dwordx2 v[8:9], v[1:2], off offset:-4
	v_add_nc_u32_e32 v7, -4, v7
	v_add_co_u32 v1, vcc_lo, v1, 8
	v_add_co_ci_u32_e64 v2, null, 0, v2, vcc_lo
	v_cmp_eq_u32_e32 vcc_lo, 0, v7
	s_or_b32 s15, vcc_lo, s15
	s_waitcnt vmcnt(0)
	global_store_dwordx2 v[3:4], v[8:9], off offset:-4
	v_add_co_u32 v3, s0, v3, 8
	v_add_co_ci_u32_e64 v4, null, 0, v4, s0
	s_andn2_b32 exec_lo, exec_lo, s15
	s_cbranch_execnz .LBB72_29
; %bb.30:
	s_or_b32 exec_lo, exec_lo, s15
	v_cmp_ne_u32_e32 vcc_lo, v5, v6
	v_add_nc_u32_e32 v0, v0, v6
	s_orn2_b32 s0, vcc_lo, exec_lo
.LBB72_31:
	s_or_b32 exec_lo, exec_lo, s14
	s_and_b32 exec_lo, exec_lo, s0
	s_cbranch_execz .LBB72_34
; %bb.32:
	s_lshl_b64 s[12:13], s[12:13], 1
	v_lshlrev_b32_e32 v1, 1, v0
	s_add_u32 s0, s10, s12
	s_addc_u32 s10, s11, s13
	s_lshl_b64 s[4:5], s[4:5], 1
	v_mov_b32_e32 v2, 0
	s_add_u32 s4, s0, s4
	s_addc_u32 s5, s10, s5
	s_lshl_b64 s[6:7], s[6:7], 1
	s_add_u32 s0, s8, s6
	s_addc_u32 s6, s9, s7
	s_lshl_b64 s[2:3], s[2:3], 1
	s_add_u32 s2, s0, s2
	s_addc_u32 s3, s6, s3
	s_mov_b32 s6, 0
	s_lshl_b32 s7, s1, 1
	.p2align	6
.LBB72_33:                              ; =>This Inner Loop Header: Depth=1
	v_add_co_u32 v3, vcc_lo, s2, v1
	v_add_co_ci_u32_e64 v4, null, s3, v2, vcc_lo
	v_add_nc_u32_e32 v0, s1, v0
	global_load_ushort v5, v[3:4], off
	v_add_co_u32 v3, vcc_lo, s4, v1
	v_add_co_ci_u32_e64 v4, null, s5, v2, vcc_lo
	v_cmp_lt_u32_e32 vcc_lo, 0x6f, v0
	v_add_co_u32 v1, s0, v1, s7
	v_add_co_ci_u32_e64 v2, null, 0, v2, s0
	s_or_b32 s6, vcc_lo, s6
	s_waitcnt vmcnt(0)
	global_store_short v[3:4], v5, off
	s_andn2_b32 exec_lo, exec_lo, s6
	s_cbranch_execnz .LBB72_33
.LBB72_34:
	s_endpgm
	.section	.rodata,"a",@progbits
	.p2align	6, 0x0
	.amdhsa_kernel _ZN4vllm32paged_attention_v2_reduce_kernelItLi112ELi128ELi512EEEvPT_PKfS4_PKS1_PKii
		.amdhsa_group_segment_fixed_size 32
		.amdhsa_private_segment_fixed_size 0
		.amdhsa_kernarg_size 304
		.amdhsa_user_sgpr_count 6
		.amdhsa_user_sgpr_private_segment_buffer 1
		.amdhsa_user_sgpr_dispatch_ptr 0
		.amdhsa_user_sgpr_queue_ptr 0
		.amdhsa_user_sgpr_kernarg_segment_ptr 1
		.amdhsa_user_sgpr_dispatch_id 0
		.amdhsa_user_sgpr_flat_scratch_init 0
		.amdhsa_user_sgpr_private_segment_size 0
		.amdhsa_wavefront_size32 1
		.amdhsa_uses_dynamic_stack 0
		.amdhsa_system_sgpr_private_segment_wavefront_offset 0
		.amdhsa_system_sgpr_workgroup_id_x 1
		.amdhsa_system_sgpr_workgroup_id_y 1
		.amdhsa_system_sgpr_workgroup_id_z 0
		.amdhsa_system_sgpr_workgroup_info 0
		.amdhsa_system_vgpr_workitem_id 0
		.amdhsa_next_free_vgpr 19
		.amdhsa_next_free_sgpr 30
		.amdhsa_reserve_vcc 1
		.amdhsa_reserve_flat_scratch 0
		.amdhsa_float_round_mode_32 0
		.amdhsa_float_round_mode_16_64 0
		.amdhsa_float_denorm_mode_32 3
		.amdhsa_float_denorm_mode_16_64 3
		.amdhsa_dx10_clamp 1
		.amdhsa_ieee_mode 1
		.amdhsa_fp16_overflow 0
		.amdhsa_workgroup_processor_mode 1
		.amdhsa_memory_ordered 1
		.amdhsa_forward_progress 1
		.amdhsa_shared_vgpr_count 0
		.amdhsa_exception_fp_ieee_invalid_op 0
		.amdhsa_exception_fp_denorm_src 0
		.amdhsa_exception_fp_ieee_div_zero 0
		.amdhsa_exception_fp_ieee_overflow 0
		.amdhsa_exception_fp_ieee_underflow 0
		.amdhsa_exception_fp_ieee_inexact 0
		.amdhsa_exception_int_div_zero 0
	.end_amdhsa_kernel
	.section	.text._ZN4vllm32paged_attention_v2_reduce_kernelItLi112ELi128ELi512EEEvPT_PKfS4_PKS1_PKii,"axG",@progbits,_ZN4vllm32paged_attention_v2_reduce_kernelItLi112ELi128ELi512EEEvPT_PKfS4_PKS1_PKii,comdat
.Lfunc_end72:
	.size	_ZN4vllm32paged_attention_v2_reduce_kernelItLi112ELi128ELi512EEEvPT_PKfS4_PKS1_PKii, .Lfunc_end72-_ZN4vllm32paged_attention_v2_reduce_kernelItLi112ELi128ELi512EEEvPT_PKfS4_PKS1_PKii
                                        ; -- End function
	.set _ZN4vllm32paged_attention_v2_reduce_kernelItLi112ELi128ELi512EEEvPT_PKfS4_PKS1_PKii.num_vgpr, 19
	.set _ZN4vllm32paged_attention_v2_reduce_kernelItLi112ELi128ELi512EEEvPT_PKfS4_PKS1_PKii.num_agpr, 0
	.set _ZN4vllm32paged_attention_v2_reduce_kernelItLi112ELi128ELi512EEEvPT_PKfS4_PKS1_PKii.numbered_sgpr, 30
	.set _ZN4vllm32paged_attention_v2_reduce_kernelItLi112ELi128ELi512EEEvPT_PKfS4_PKS1_PKii.num_named_barrier, 0
	.set _ZN4vllm32paged_attention_v2_reduce_kernelItLi112ELi128ELi512EEEvPT_PKfS4_PKS1_PKii.private_seg_size, 0
	.set _ZN4vllm32paged_attention_v2_reduce_kernelItLi112ELi128ELi512EEEvPT_PKfS4_PKS1_PKii.uses_vcc, 1
	.set _ZN4vllm32paged_attention_v2_reduce_kernelItLi112ELi128ELi512EEEvPT_PKfS4_PKS1_PKii.uses_flat_scratch, 0
	.set _ZN4vllm32paged_attention_v2_reduce_kernelItLi112ELi128ELi512EEEvPT_PKfS4_PKS1_PKii.has_dyn_sized_stack, 0
	.set _ZN4vllm32paged_attention_v2_reduce_kernelItLi112ELi128ELi512EEEvPT_PKfS4_PKS1_PKii.has_recursion, 0
	.set _ZN4vllm32paged_attention_v2_reduce_kernelItLi112ELi128ELi512EEEvPT_PKfS4_PKS1_PKii.has_indirect_call, 0
	.section	.AMDGPU.csdata,"",@progbits
; Kernel info:
; codeLenInByte = 2400
; TotalNumSgprs: 32
; NumVgprs: 19
; ScratchSize: 0
; MemoryBound: 0
; FloatMode: 240
; IeeeMode: 1
; LDSByteSize: 32 bytes/workgroup (compile time only)
; SGPRBlocks: 0
; VGPRBlocks: 2
; NumSGPRsForWavesPerEU: 32
; NumVGPRsForWavesPerEU: 19
; Occupancy: 16
; WaveLimiterHint : 0
; COMPUTE_PGM_RSRC2:SCRATCH_EN: 0
; COMPUTE_PGM_RSRC2:USER_SGPR: 6
; COMPUTE_PGM_RSRC2:TRAP_HANDLER: 0
; COMPUTE_PGM_RSRC2:TGID_X_EN: 1
; COMPUTE_PGM_RSRC2:TGID_Y_EN: 1
; COMPUTE_PGM_RSRC2:TGID_Z_EN: 0
; COMPUTE_PGM_RSRC2:TIDIG_COMP_CNT: 0
	.section	.text._ZN4vllm25paged_attention_v2_kernelIttLi120ELi8ELi128ELNS_18Fp8KVCacheDataTypeE0ELb1ELi512EEEvPfS2_PT_PKS3_PKT0_S9_ifPKiSB_iPKfiiiSD_SD_iiiii,"axG",@progbits,_ZN4vllm25paged_attention_v2_kernelIttLi120ELi8ELi128ELNS_18Fp8KVCacheDataTypeE0ELb1ELi512EEEvPfS2_PT_PKS3_PKT0_S9_ifPKiSB_iPKfiiiSD_SD_iiiii,comdat
	.protected	_ZN4vllm25paged_attention_v2_kernelIttLi120ELi8ELi128ELNS_18Fp8KVCacheDataTypeE0ELb1ELi512EEEvPfS2_PT_PKS3_PKT0_S9_ifPKiSB_iPKfiiiSD_SD_iiiii ; -- Begin function _ZN4vllm25paged_attention_v2_kernelIttLi120ELi8ELi128ELNS_18Fp8KVCacheDataTypeE0ELb1ELi512EEEvPfS2_PT_PKS3_PKT0_S9_ifPKiSB_iPKfiiiSD_SD_iiiii
	.globl	_ZN4vllm25paged_attention_v2_kernelIttLi120ELi8ELi128ELNS_18Fp8KVCacheDataTypeE0ELb1ELi512EEEvPfS2_PT_PKS3_PKT0_S9_ifPKiSB_iPKfiiiSD_SD_iiiii
	.p2align	8
	.type	_ZN4vllm25paged_attention_v2_kernelIttLi120ELi8ELi128ELNS_18Fp8KVCacheDataTypeE0ELb1ELi512EEEvPfS2_PT_PKS3_PKT0_S9_ifPKiSB_iPKfiiiSD_SD_iiiii,@function
_ZN4vllm25paged_attention_v2_kernelIttLi120ELi8ELi128ELNS_18Fp8KVCacheDataTypeE0ELb1ELi512EEEvPfS2_PT_PKS3_PKT0_S9_ifPKiSB_iPKfiiiSD_SD_iiiii: ; @_ZN4vllm25paged_attention_v2_kernelIttLi120ELi8ELi128ELNS_18Fp8KVCacheDataTypeE0ELb1ELi512EEEvPfS2_PT_PKS3_PKT0_S9_ifPKiSB_iPKfiiiSD_SD_iiiii
; %bb.0:
	s_load_dwordx2 s[0:1], s[4:5], 0x40
	s_mov_b32 s26, s7
	s_ashr_i32 s27, s7, 31
	s_lshl_b64 s[2:3], s[26:27], 2
	s_waitcnt lgkmcnt(0)
	s_add_u32 s0, s0, s2
	s_addc_u32 s1, s1, s3
	s_lshl_b32 s38, s8, 9
	s_load_dword s27, s[0:1], 0x0
	s_waitcnt lgkmcnt(0)
	s_cmp_ge_i32 s38, s27
	s_cbranch_scc1 .LBB73_71
; %bb.1:
	s_clause 0x1
	s_load_dword s9, s[4:5], 0x90
	s_load_dwordx2 s[36:37], s[4:5], 0x30
	s_mov_b32 s40, 0
	s_waitcnt lgkmcnt(0)
	s_abs_i32 s3, s9
	s_abs_i32 s0, s36
	v_cvt_f32_u32_e32 v1, s0
	s_sub_i32 s2, 0, s0
	v_rcp_iflag_f32_e32 v1, v1
	v_mul_f32_e32 v1, 0x4f7ffffe, v1
	v_cvt_u32_f32_e32 v1, v1
	v_readfirstlane_b32 s1, v1
	s_mul_i32 s2, s2, s1
	s_mul_hi_u32 s2, s1, s2
	s_add_i32 s1, s1, s2
	s_xor_b32 s2, s9, s36
	s_mul_hi_u32 s1, s3, s1
	s_ashr_i32 s2, s2, 31
	s_mul_i32 s7, s1, s0
	s_sub_i32 s3, s3, s7
	s_add_i32 s7, s1, 1
	s_sub_i32 s10, s3, s0
	s_cmp_ge_u32 s3, s0
	s_cselect_b32 s1, s7, s1
	s_cselect_b32 s3, s10, s3
	s_add_i32 s7, s1, 1
	s_cmp_ge_u32 s3, s0
	s_cselect_b32 s0, s7, s1
	s_xor_b32 s0, s0, s2
	s_sub_i32 s10, s0, s2
	s_load_dwordx2 s[0:1], s[4:5], 0x50
	s_abs_i32 s2, s10
	v_cvt_f32_u32_e32 v1, s2
	s_sub_i32 s3, 0, s2
	v_rcp_iflag_f32_e32 v1, v1
	v_mul_f32_e32 v1, 0x4f7ffffe, v1
	v_cvt_u32_f32_e32 v1, v1
	v_readfirstlane_b32 s7, v1
	s_mul_i32 s3, s3, s7
	s_mul_hi_u32 s11, s7, s3
	s_abs_i32 s3, s6
	s_add_i32 s7, s7, s11
	s_waitcnt lgkmcnt(0)
	s_cmp_eq_u64 s[0:1], 0
	s_mul_hi_u32 s20, s3, s7
	s_cbranch_scc1 .LBB73_3
; %bb.2:
	s_ashr_i32 s7, s6, 31
	s_lshl_b64 s[12:13], s[6:7], 2
	s_add_u32 s0, s0, s12
	s_addc_u32 s1, s1, s13
	s_load_dword s40, s[0:1], 0x0
.LBB73_3:
	s_load_dwordx4 s[12:15], s[4:5], 0x58
	v_and_b32_e32 v1, 3, v0
	v_lshlrev_b32_e32 v2, 2, v0
	s_ashr_i32 s0, s6, 31
	s_ashr_i32 s1, s10, 31
	s_mul_i32 s10, s6, 0x78
	s_mov_b32 s7, exec_lo
	v_cmpx_gt_u32_e32 60, v0
	s_cbranch_execz .LBB73_5
; %bb.4:
	s_load_dwordx2 s[16:17], s[4:5], 0x18
	s_waitcnt lgkmcnt(0)
	s_mul_i32 s18, s12, s26
	v_and_b32_e32 v4, 0x3fc, v0
	s_ashr_i32 s19, s18, 31
	s_lshl_b64 s[18:19], s[18:19], 1
	v_mad_u32_u24 v4, v1, 60, v4
	s_add_u32 s12, s16, s18
	s_addc_u32 s15, s17, s19
	s_ashr_i32 s11, s10, 31
	s_lshl_b64 s[16:17], s[10:11], 1
	s_add_u32 s16, s12, s16
	s_addc_u32 s17, s15, s17
	global_load_dword v3, v2, s[16:17]
	s_waitcnt vmcnt(0)
	ds_write_b32 v4, v3
.LBB73_5:
	s_or_b32 exec_lo, exec_lo, s7
	s_load_dwordx4 s[16:19], s[4:5], 0x78
	s_mul_i32 s7, s20, s2
	s_xor_b32 s0, s0, s1
	s_sub_i32 s1, s3, s7
	s_add_i32 s3, s20, 1
	s_sub_i32 s7, s1, s2
	s_cmp_ge_u32 s1, s2
                                        ; implicit-def: $sgpr33
	s_cselect_b32 s3, s3, s20
	s_cselect_b32 s1, s7, s1
	s_add_i32 s7, s3, 1
	s_cmp_ge_u32 s1, s2
	s_mov_b32 s20, -1
	s_cselect_b32 s1, s7, s3
	s_load_dword s3, s[4:5], 0x88
	s_xor_b32 s1, s1, s0
	s_add_i32 s7, s27, -1
	s_sub_i32 s1, s1, s0
	s_abs_i32 s2, s7
	s_waitcnt lgkmcnt(0)
	s_abs_i32 s11, s19
	s_barrier
	v_cvt_f32_u32_e32 v3, s11
	s_sub_i32 s0, 0, s11
	buffer_gl0_inv
	v_rcp_iflag_f32_e32 v3, v3
	v_mul_f32_e32 v3, 0x4f7ffffe, v3
	v_cvt_u32_f32_e32 v3, v3
	v_readfirstlane_b32 s12, v3
	s_mul_i32 s0, s0, s12
	s_mul_hi_u32 s0, s12, s0
	s_add_i32 s12, s12, s0
	s_cmp_lt_i32 s3, 0
	s_mul_hi_u32 s0, s2, s12
	s_cbranch_scc0 .LBB73_7
; %bb.6:
	s_mul_i32 s15, s16, s36
	s_mov_b32 s20, 0
	s_add_i32 s15, s1, s15
	s_mul_i32 s15, s15, s3
	s_sub_i32 s33, 1, s15
.LBB73_7:
	s_load_dwordx2 s[28:29], s[4:5], 0x38
	s_ashr_i32 s15, s7, 31
	s_andn2_b32 vcc_lo, exec_lo, s20
	s_ashr_i32 s19, s19, 31
	s_cbranch_vccnz .LBB73_9
; %bb.8:
	s_mul_i32 s7, s9, s16
	s_add_i32 s7, s7, s6
	s_mul_i32 s3, s7, s3
	s_add_i32 s33, s3, 1
.LBB73_9:
	s_clause 0x4
	s_load_dword s3, s[4:5], 0x48
	s_load_dwordx2 s[34:35], s[4:5], 0x28
	s_load_dword s7, s[4:5], 0x98
	s_load_dwordx4 s[20:23], s[4:5], 0x0
	s_load_dwordx2 s[24:25], s[4:5], 0x10
	s_mul_i32 s16, s0, s11
	s_xor_b32 s15, s15, s19
	s_sub_i32 s2, s2, s16
	s_add_i32 s36, s0, 1
	v_lshrrev_b32_e32 v10, 5, v0
	v_mov_b32_e32 v4, 0xff7fffff
	v_mbcnt_lo_u32_b32 v3, -1, 0
	s_mul_i32 s14, s1, s14
	v_lshl_add_u32 v11, v10, 3, s38
	s_waitcnt lgkmcnt(0)
	s_mul_i32 s30, s3, s26
	s_sub_i32 s3, s2, s11
	s_ashr_i32 s31, s30, 31
	s_cmp_ge_u32 s2, s11
	s_cselect_b32 s0, s36, s0
	s_cselect_b32 s2, s3, s2
	s_add_i32 s3, s0, 1
	s_cmp_ge_u32 s2, s11
	s_cselect_b32 s0, s3, s0
	s_add_i32 s2, s27, 7
	s_lshl_b32 s41, s8, 6
	s_ashr_i32 s3, s2, 31
	v_or_b32_e32 v5, s41, v10
	s_lshr_b32 s3, s3, 29
	s_add_i32 s2, s2, s3
	s_add_i32 s3, s41, 64
	s_ashr_i32 s36, s2, 3
	s_xor_b32 s2, s0, s15
	s_min_i32 s16, s3, s36
	v_ashrrev_i32_e32 v6, 31, v5
	v_cmp_gt_i32_e64 s0, s16, v5
	s_sub_i32 s39, s2, s15
	s_and_saveexec_b32 s42, s0
	s_cbranch_execz .LBB73_21
; %bb.10:
	s_load_dwordx2 s[2:3], s[4:5], 0x20
	s_ashr_i32 s15, s14, 31
	s_sub_i32 s4, s39, s17
	s_lshl_b64 s[44:45], s[14:15], 1
	v_bfe_u32 v7, v0, 2, 3
	v_cmp_eq_u32_e32 vcc_lo, 0, v1
	v_and_b32_e32 v17, 12, v2
	v_mul_u32_u24_e32 v8, 60, v1
	v_lshlrev_b64 v[1:2], 2, v[5:6]
	v_lshlrev_b32_e32 v15, 2, v7
	v_subrev_nc_u32_e32 v18, s27, v7
	v_lshlrev_b32_e32 v21, 4, v7
	v_cmp_neq_f32_e64 s1, s40, 0
	v_lshl_add_u32 v9, v10, 3, s38
	v_lshl_or_b32 v19, v10, 5, v15
	v_add_nc_u32_e32 v15, 1, v18
	v_mov_b32_e32 v12, 0xff7fffff
	v_xor_b32_e32 v13, 2, v3
	v_xor_b32_e32 v14, 1, v3
	s_waitcnt lgkmcnt(0)
	s_add_u32 s15, s2, s44
	s_addc_u32 s43, s3, s45
	s_abs_i32 s5, s18
	v_cvt_f32_u32_e32 v4, s5
	s_sub_i32 s2, 0, s5
	v_rcp_iflag_f32_e32 v4, v4
	v_mul_f32_e32 v16, 0x4f7ffffe, v4
	v_mov_b32_e32 v4, 0xff7fffff
	v_cvt_u32_f32_e32 v20, v16
	v_add_nc_u32_e32 v16, 0x110, v19
	v_add_co_u32 v19, s15, s15, v21
	v_add_co_ci_u32_e64 v21, null, s43, 0, s15
	v_mul_lo_u32 v18, s2, v20
	s_lshl_b64 s[2:3], s[30:31], 2
	s_mov_b32 s15, 0
	s_add_u32 s2, s28, s2
	s_addc_u32 s3, s29, s3
	v_add_co_u32 v1, s2, s2, v1
	v_add_co_ci_u32_e64 v2, null, s3, v2, s2
	v_mul_hi_u32 v22, v20, v18
	v_add_co_u32 v17, s2, v19, v17
	v_add_co_ci_u32_e64 v18, null, 0, v21, s2
	s_mov_b32 s43, s13
	v_add_nc_u32_e32 v19, v20, v22
	v_mov_b32_e32 v20, v5
	s_branch .LBB73_13
.LBB73_11:                              ;   in Loop: Header=BB73_13 Depth=1
	s_or_b32 exec_lo, exec_lo, s44
.LBB73_12:                              ;   in Loop: Header=BB73_13 Depth=1
	s_or_b32 exec_lo, exec_lo, s3
	v_add_nc_u32_e32 v20, 4, v20
	v_add_co_u32 v1, s3, v1, 16
	v_add_co_ci_u32_e64 v2, null, 0, v2, s3
	v_cmp_le_i32_e64 s2, s16, v20
	v_add_nc_u32_e32 v9, 32, v9
	v_add_nc_u32_e32 v16, 0x80, v16
	s_or_b32 s15, s2, s15
	s_andn2_b32 exec_lo, exec_lo, s15
	s_cbranch_execz .LBB73_20
.LBB73_13:                              ; =>This Inner Loop Header: Depth=1
	v_sub_nc_u32_e32 v21, 0, v9
	v_max_i32_e32 v21, v9, v21
	s_waitcnt lgkmcnt(0)
	v_mul_hi_u32 v22, v21, s12
	v_mul_lo_u32 v23, v22, s11
	v_sub_nc_u32_e32 v21, v21, v23
	v_add_nc_u32_e32 v23, 1, v22
	v_subrev_nc_u32_e32 v24, s11, v21
	v_cmp_le_u32_e64 s2, s11, v21
	v_cndmask_b32_e64 v22, v22, v23, s2
	v_cndmask_b32_e64 v21, v21, v24, s2
	v_ashrrev_i32_e32 v23, 31, v9
	v_add_nc_u32_e32 v24, 1, v22
	v_cmp_le_u32_e64 s2, s11, v21
	v_xor_b32_e32 v23, s19, v23
	v_cndmask_b32_e64 v21, v22, v24, s2
	v_xor_b32_e32 v21, v21, v23
	v_sub_nc_u32_e32 v21, v21, v23
	v_add_nc_u32_e32 v22, s33, v21
	v_cmp_ge_i32_e64 s3, s4, v21
	v_sub_nc_u32_e32 v23, 0, v22
	v_max_i32_e32 v23, v22, v23
	v_ashrrev_i32_e32 v22, 31, v22
	v_mul_hi_u32 v24, v23, v19
	v_mul_lo_u32 v24, v24, s5
	v_sub_nc_u32_e32 v23, v23, v24
	v_subrev_nc_u32_e32 v24, s5, v23
	v_cmp_le_u32_e64 s2, s5, v23
	v_cndmask_b32_e64 v23, v23, v24, s2
	v_subrev_nc_u32_e32 v24, s5, v23
	v_cmp_le_u32_e64 s2, s5, v23
	v_cndmask_b32_e64 v23, v23, v24, s2
	v_xor_b32_e32 v23, v23, v22
	v_sub_nc_u32_e32 v22, v23, v22
	v_cmp_ne_u32_e64 s2, 0, v22
	s_and_b32 s2, s2, s3
	s_and_saveexec_b32 s3, s2
	s_xor_b32 s2, exec_lo, s3
	s_cbranch_execz .LBB73_17
; %bb.14:                               ;   in Loop: Header=BB73_13 Depth=1
	s_and_saveexec_b32 s3, vcc_lo
; %bb.15:                               ;   in Loop: Header=BB73_13 Depth=1
	ds_write_b32 v16, v12
; %bb.16:                               ;   in Loop: Header=BB73_13 Depth=1
	s_or_b32 exec_lo, exec_lo, s3
.LBB73_17:                              ;   in Loop: Header=BB73_13 Depth=1
	s_andn2_saveexec_b32 s3, s2
	s_cbranch_execz .LBB73_12
; %bb.18:                               ;   in Loop: Header=BB73_13 Depth=1
	global_load_dword v21, v[1:2], off
	s_waitcnt vmcnt(0)
	v_mad_i64_i32 v[21:22], null, v21, s43, 0
	v_lshlrev_b64 v[21:22], 1, v[21:22]
	v_add_co_u32 v24, s2, v17, v21
	v_add_co_ci_u32_e64 v25, null, v18, v22, s2
	v_cmp_gt_i32_e64 s2, 32, v13
	s_clause 0xa
	global_load_dword v21, v[24:25], off
	global_load_dword v26, v[24:25], off offset:128
	global_load_dword v27, v[24:25], off offset:256
	;; [unrolled: 1-line block ×10, first 2 shown]
	ds_read_b32 v22, v8
	s_waitcnt lgkmcnt(0)
	v_lshrrev_b32_e32 v37, 16, v22
	v_and_b32_e32 v38, 0xffff, v22
	s_waitcnt vmcnt(10)
	v_lshrrev_b32_e32 v39, 16, v21
	v_and_b32_e32 v40, 0xffff, v21
	s_clause 0x3
	global_load_dword v36, v[24:25], off offset:1408
	global_load_dword v23, v[24:25], off offset:1536
	;; [unrolled: 1-line block ×4, first 2 shown]
	;;#ASMSTART
	v_cvt_f32_f16 v24, v38;
	;;#ASMEND
	;;#ASMSTART
	v_cvt_f32_f16 v25, v37;
	;;#ASMEND
	;; [unrolled: 3-line block ×4, first 2 shown]
	ds_read_b32 v39, v8 offset:4
	s_waitcnt vmcnt(13)
	v_and_b32_e32 v41, 0xffff, v26
	v_lshrrev_b32_e32 v42, 16, v26
	s_waitcnt vmcnt(12)
	v_and_b32_e32 v44, 0xffff, v27
	v_lshrrev_b32_e32 v45, 16, v27
	;; [unrolled: 3-line block ×9, first 2 shown]
	s_waitcnt vmcnt(4)
	v_and_b32_e32 v68, 0xffff, v35
	s_waitcnt lgkmcnt(0)
	v_and_b32_e32 v40, 0xffff, v39
	v_lshrrev_b32_e32 v39, 16, v39
	;;#ASMSTART
	v_cvt_f32_f16 v26, v40;
	;;#ASMEND
	;;#ASMSTART
	v_cvt_f32_f16 v39, v39;
	;;#ASMEND
	;;#ASMSTART
	v_cvt_f32_f16 v40, v41;
	;;#ASMEND
	;;#ASMSTART
	v_cvt_f32_f16 v41, v42;
	;;#ASMEND
	ds_read_b32 v42, v8 offset:8
	v_lshrrev_b32_e32 v69, 16, v35
	v_mul_f32_e32 v26, v26, v40
	v_mul_f32_e32 v39, v39, v41
	v_fmac_f32_e32 v26, v24, v37
	v_fmac_f32_e32 v39, v25, v38
	s_waitcnt lgkmcnt(0)
	v_and_b32_e32 v43, 0xffff, v42
	v_lshrrev_b32_e32 v42, 16, v42
	;;#ASMSTART
	v_cvt_f32_f16 v27, v43;
	;;#ASMEND
	;;#ASMSTART
	v_cvt_f32_f16 v42, v42;
	;;#ASMEND
	;;#ASMSTART
	v_cvt_f32_f16 v43, v44;
	;;#ASMEND
	;;#ASMSTART
	v_cvt_f32_f16 v44, v45;
	;;#ASMEND
	ds_read_b32 v45, v8 offset:12
	v_fmac_f32_e32 v26, v27, v43
	v_fmac_f32_e32 v39, v42, v44
	s_waitcnt lgkmcnt(0)
	v_and_b32_e32 v46, 0xffff, v45
	v_lshrrev_b32_e32 v45, 16, v45
	;;#ASMSTART
	v_cvt_f32_f16 v28, v46;
	;;#ASMEND
	;;#ASMSTART
	v_cvt_f32_f16 v45, v45;
	;;#ASMEND
	;;#ASMSTART
	v_cvt_f32_f16 v46, v47;
	;;#ASMEND
	;;#ASMSTART
	v_cvt_f32_f16 v47, v48;
	;;#ASMEND
	ds_read_b32 v48, v8 offset:16
	;; [unrolled: 18-line block ×6, first 2 shown]
	v_fmac_f32_e32 v26, v32, v58
	v_fmac_f32_e32 v39, v57, v59
	v_cndmask_b32_e64 v32, v3, v13, s2
	v_cmp_gt_i32_e64 s2, 32, v14
	s_waitcnt lgkmcnt(0)
	v_and_b32_e32 v61, 0xffff, v60
	v_lshrrev_b32_e32 v60, 16, v60
	;;#ASMSTART
	v_cvt_f32_f16 v33, v61;
	;;#ASMEND
	;;#ASMSTART
	v_cvt_f32_f16 v60, v60;
	;;#ASMEND
	;;#ASMSTART
	v_cvt_f32_f16 v61, v62;
	;;#ASMEND
	;;#ASMSTART
	v_cvt_f32_f16 v62, v63;
	;;#ASMEND
	ds_read_b32 v63, v8 offset:36
	v_fmac_f32_e32 v26, v33, v61
	v_fmac_f32_e32 v39, v60, v62
	s_waitcnt lgkmcnt(0)
	v_and_b32_e32 v64, 0xffff, v63
	v_lshrrev_b32_e32 v63, 16, v63
	;;#ASMSTART
	v_cvt_f32_f16 v34, v64;
	;;#ASMEND
	;;#ASMSTART
	v_cvt_f32_f16 v63, v63;
	;;#ASMEND
	;;#ASMSTART
	v_cvt_f32_f16 v64, v65;
	;;#ASMEND
	;;#ASMSTART
	v_cvt_f32_f16 v65, v66;
	;;#ASMEND
	ds_read_b32 v66, v8 offset:40
	v_fmac_f32_e32 v26, v34, v64
	v_fmac_f32_e32 v39, v63, v65
	s_waitcnt lgkmcnt(0)
	v_and_b32_e32 v67, 0xffff, v66
	v_lshrrev_b32_e32 v66, 16, v66
	;;#ASMSTART
	v_cvt_f32_f16 v35, v67;
	;;#ASMEND
	;;#ASMSTART
	v_cvt_f32_f16 v66, v66;
	;;#ASMEND
	;;#ASMSTART
	v_cvt_f32_f16 v67, v68;
	;;#ASMEND
	;;#ASMSTART
	v_cvt_f32_f16 v68, v69;
	;;#ASMEND
	ds_read_b32 v69, v8 offset:44
	v_fmac_f32_e32 v26, v35, v67
	v_fmac_f32_e32 v39, v66, v68
	s_waitcnt lgkmcnt(0)
	v_and_b32_e32 v70, 0xffff, v69
	v_lshrrev_b32_e32 v69, 16, v69
	s_waitcnt vmcnt(3)
	v_and_b32_e32 v71, 0xffff, v36
	v_lshrrev_b32_e32 v72, 16, v36
	;;#ASMSTART
	v_cvt_f32_f16 v36, v70;
	;;#ASMEND
	;;#ASMSTART
	v_cvt_f32_f16 v69, v69;
	;;#ASMEND
	;; [unrolled: 3-line block ×4, first 2 shown]
	ds_read_b32 v72, v8 offset:48
	s_waitcnt vmcnt(2)
	v_and_b32_e32 v27, 0xffff, v23
	v_lshrrev_b32_e32 v37, 16, v23
	s_waitcnt vmcnt(1)
	v_lshrrev_b32_e32 v30, 16, v22
	v_and_b32_e32 v31, 0xffff, v22
	v_fmac_f32_e32 v26, v36, v70
	v_fmac_f32_e32 v39, v69, v71
	s_waitcnt vmcnt(0)
	v_lshrrev_b32_e32 v33, 16, v21
	s_waitcnt lgkmcnt(0)
	v_and_b32_e32 v24, 0xffff, v72
	v_lshrrev_b32_e32 v25, 16, v72
	;;#ASMSTART
	v_cvt_f32_f16 v23, v24;
	;;#ASMEND
	;;#ASMSTART
	v_cvt_f32_f16 v24, v25;
	;;#ASMEND
	;; [unrolled: 3-line block ×4, first 2 shown]
	ds_read_b32 v28, v8 offset:52
	v_fmac_f32_e32 v26, v23, v25
	v_fmac_f32_e32 v39, v24, v27
	v_and_b32_e32 v25, 0xffff, v21
	s_waitcnt lgkmcnt(0)
	v_and_b32_e32 v29, 0xffff, v28
	v_lshrrev_b32_e32 v28, 16, v28
	;;#ASMSTART
	v_cvt_f32_f16 v22, v29;
	;;#ASMEND
	;;#ASMSTART
	v_cvt_f32_f16 v28, v28;
	;;#ASMEND
	;; [unrolled: 3-line block ×4, first 2 shown]
	ds_read_b32 v31, v8 offset:56
	v_fmac_f32_e32 v26, v22, v29
	v_fmac_f32_e32 v39, v28, v30
	s_waitcnt lgkmcnt(0)
	v_and_b32_e32 v23, 0xffff, v31
	v_lshrrev_b32_e32 v24, 16, v31
	;;#ASMSTART
	v_cvt_f32_f16 v21, v23;
	;;#ASMEND
	;;#ASMSTART
	v_cvt_f32_f16 v22, v24;
	;;#ASMEND
	;; [unrolled: 3-line block ×4, first 2 shown]
	v_fmac_f32_e32 v26, v21, v23
	v_fmac_f32_e32 v39, v22, v24
	v_lshlrev_b32_e32 v21, 2, v32
	v_cndmask_b32_e64 v23, v3, v14, s2
	v_add_f32_e32 v22, v26, v39
	ds_bpermute_b32 v21, v21, v22
	s_waitcnt lgkmcnt(0)
	v_add_f32_e32 v21, v22, v21
	v_lshlrev_b32_e32 v22, 2, v23
	ds_bpermute_b32 v22, v22, v21
	s_and_saveexec_b32 s44, vcc_lo
	s_cbranch_execz .LBB73_11
; %bb.19:                               ;   in Loop: Header=BB73_13 Depth=1
	v_add_nc_u32_e32 v23, v15, v9
	s_waitcnt lgkmcnt(0)
	v_add_f32_e32 v21, v21, v22
	v_cvt_f32_i32_e32 v23, v23
	v_mul_f32_e32 v23, s40, v23
	v_cndmask_b32_e64 v22, 0, v23, s1
	v_max_f32_e32 v23, v4, v4
	v_fmac_f32_e32 v22, s37, v21
	v_add_nc_u32_e32 v21, v7, v9
	v_max_f32_e32 v23, v23, v22
	v_cmp_gt_i32_e64 s2, s27, v21
	v_cndmask_b32_e64 v21, 0, v22, s2
	v_cndmask_b32_e64 v4, v4, v23, s2
	ds_write_b32 v16, v21
	s_branch .LBB73_11
.LBB73_20:
	s_or_b32 exec_lo, exec_lo, s15
.LBB73_21:
	s_or_b32 exec_lo, exec_lo, s42
	v_xor_b32_e32 v1, 16, v3
	v_xor_b32_e32 v7, 8, v3
	v_max_f32_e32 v8, v4, v4
	v_and_b32_e32 v12, 31, v0
	v_cmp_gt_i32_e32 vcc_lo, 32, v1
	v_cndmask_b32_e32 v1, v3, v1, vcc_lo
	v_cmp_gt_i32_e32 vcc_lo, 32, v7
	v_lshlrev_b32_e32 v2, 2, v1
	ds_bpermute_b32 v1, v2, v4
	v_cndmask_b32_e32 v4, v3, v7, vcc_lo
	v_lshlrev_b32_e32 v4, 2, v4
	s_waitcnt lgkmcnt(0)
	v_max_f32_e32 v1, v1, v1
	v_max_f32_e32 v1, v8, v1
	v_xor_b32_e32 v8, 4, v3
	ds_bpermute_b32 v7, v4, v1
	v_cmp_gt_i32_e32 vcc_lo, 32, v8
	v_cndmask_b32_e32 v8, v3, v8, vcc_lo
	v_cmp_eq_u32_e32 vcc_lo, 0, v12
	v_lshlrev_b32_e32 v9, 2, v8
	s_waitcnt lgkmcnt(0)
	v_max_f32_e32 v7, v7, v7
	v_max_f32_e32 v1, v1, v7
	v_lshlrev_b32_e32 v7, 2, v10
	ds_bpermute_b32 v8, v9, v1
	s_and_saveexec_b32 s1, vcc_lo
	s_cbranch_execz .LBB73_23
; %bb.22:
	s_waitcnt lgkmcnt(0)
	v_max_f32_e32 v8, v8, v8
	v_max_f32_e32 v1, v1, v1
	;; [unrolled: 1-line block ×3, first 2 shown]
	ds_write_b32 v7, v1 offset:240
.LBB73_23:
	s_or_b32 exec_lo, exec_lo, s1
	v_cmp_gt_u32_e64 s1, 4, v12
	v_mov_b32_e32 v1, 0xff7fffff
	s_waitcnt lgkmcnt(0)
	v_lshlrev_b32_e32 v8, 2, v12
	s_barrier
	buffer_gl0_inv
	s_and_saveexec_b32 s2, s1
; %bb.24:
	ds_read_b32 v1, v8 offset:240
; %bb.25:
	s_or_b32 exec_lo, exec_lo, s2
	v_xor_b32_e32 v13, 2, v3
	v_xor_b32_e32 v15, 1, v3
	v_cmp_gt_i32_e64 s2, 32, v13
	v_cndmask_b32_e64 v13, v3, v13, s2
	v_cmp_gt_i32_e64 s2, 32, v15
	v_lshlrev_b32_e32 v14, 2, v13
	v_cndmask_b32_e64 v3, v3, v15, s2
	v_mov_b32_e32 v15, 0
	s_sub_i32 s2, s16, s41
	s_lshl_b32 s2, s2, 3
	s_waitcnt lgkmcnt(0)
	ds_bpermute_b32 v13, v14, v1
	v_max_f32_e32 v1, v1, v1
	v_lshlrev_b32_e32 v3, 2, v3
	s_add_i32 s2, s2, s38
	s_min_i32 s2, s2, s27
	s_sub_i32 s4, s2, s38
	v_cmp_gt_i32_e64 s2, s4, v0
	s_waitcnt lgkmcnt(0)
	v_max_f32_e32 v13, v13, v13
	v_max_f32_e32 v1, v1, v13
	ds_bpermute_b32 v13, v3, v1
	s_waitcnt lgkmcnt(0)
	v_max_f32_e32 v13, v13, v13
	v_max_f32_e32 v1, v1, v13
	v_lshl_add_u32 v13, v0, 2, 0x110
	ds_bpermute_b32 v1, v15, v1
	s_and_saveexec_b32 s5, s2
	s_cbranch_execz .LBB73_29
; %bb.26:
	v_lshl_add_u32 v16, v0, 2, 0x110
	v_mov_b32_e32 v15, 0
	v_mov_b32_e32 v17, v0
	s_mov_b32 s15, 0
	.p2align	6
.LBB73_27:                              ; =>This Inner Loop Header: Depth=1
	ds_read_b32 v18, v16
	v_add_nc_u32_e32 v17, 0x80, v17
	v_cmp_le_i32_e64 s3, s4, v17
	s_or_b32 s15, s3, s15
	s_waitcnt lgkmcnt(0)
	v_sub_f32_e32 v18, v18, v1
	v_mul_f32_e32 v18, 0x3fb8aa3b, v18
	v_exp_f32_e32 v18, v18
	ds_write_b32 v16, v18
	v_add_f32_e32 v15, v15, v18
	v_add_nc_u32_e32 v16, 0x200, v16
	s_andn2_b32 exec_lo, exec_lo, s15
	s_cbranch_execnz .LBB73_27
; %bb.28:
	s_or_b32 exec_lo, exec_lo, s15
.LBB73_29:
	s_or_b32 exec_lo, exec_lo, s5
	ds_bpermute_b32 v2, v2, v15
	s_waitcnt lgkmcnt(0)
	v_add_f32_e32 v2, v15, v2
	ds_bpermute_b32 v4, v4, v2
	s_waitcnt lgkmcnt(0)
	v_add_f32_e32 v2, v2, v4
	;; [unrolled: 3-line block ×5, first 2 shown]
	s_and_saveexec_b32 s3, vcc_lo
; %bb.30:
	ds_write_b32 v7, v2 offset:256
; %bb.31:
	s_or_b32 exec_lo, exec_lo, s3
	s_waitcnt lgkmcnt(0)
	s_barrier
	buffer_gl0_inv
	s_and_saveexec_b32 s3, s1
; %bb.32:
	ds_read_b32 v2, v8 offset:256
; %bb.33:
	s_or_b32 exec_lo, exec_lo, s3
	s_waitcnt lgkmcnt(0)
	ds_bpermute_b32 v4, v14, v2
	s_waitcnt lgkmcnt(0)
	v_add_f32_e32 v2, v2, v4
	ds_bpermute_b32 v3, v3, v2
	s_waitcnt lgkmcnt(0)
	v_add_f32_e32 v2, v2, v3
	v_mov_b32_e32 v3, 0
	ds_bpermute_b32 v2, v3, v2
	s_and_saveexec_b32 s1, s2
	s_cbranch_execz .LBB73_36
; %bb.34:
	s_waitcnt lgkmcnt(0)
	v_add_f32_e32 v4, 0x358637bd, v2
	s_mov_b32 s2, 0
	v_div_scale_f32 v3, null, v4, v4, 1.0
	v_div_scale_f32 v9, vcc_lo, 1.0, v4, 1.0
	v_rcp_f32_e32 v7, v3
	v_fma_f32 v8, -v3, v7, 1.0
	v_fmac_f32_e32 v7, v8, v7
	v_mul_f32_e32 v8, v9, v7
	v_fma_f32 v14, -v3, v8, v9
	v_fmac_f32_e32 v8, v14, v7
	v_fma_f32 v3, -v3, v8, v9
	v_div_fmas_f32 v7, v3, v7, v8
	v_mov_b32_e32 v3, v13
	v_div_fixup_f32 v4, v7, v4, 1.0
	v_mov_b32_e32 v7, v0
.LBB73_35:                              ; =>This Inner Loop Header: Depth=1
	ds_read_b32 v8, v3
	v_add_nc_u32_e32 v7, 0x80, v7
	v_cmp_le_i32_e32 vcc_lo, s4, v7
	s_or_b32 s2, vcc_lo, s2
	s_waitcnt lgkmcnt(0)
	v_mul_f32_e32 v8, v4, v8
	ds_write_b32 v3, v8
	v_add_nc_u32_e32 v3, 0x200, v3
	s_andn2_b32 exec_lo, exec_lo, s2
	s_cbranch_execnz .LBB73_35
.LBB73_36:
	s_or_b32 exec_lo, exec_lo, s1
	s_mul_i32 s1, s7, s26
	s_waitcnt lgkmcnt(0)
	s_mul_i32 s2, s1, s9
	s_mov_b32 s1, exec_lo
	s_barrier
	buffer_gl0_inv
	v_cmpx_eq_u32_e32 0, v0
	s_cbranch_execz .LBB73_38
; %bb.37:
	s_ashr_i32 s3, s2, 31
	s_mul_i32 s40, s7, s6
	s_lshl_b64 s[4:5], s[2:3], 2
	v_mov_b32_e32 v3, 0
	s_add_u32 s3, s22, s4
	s_addc_u32 s6, s23, s5
	s_ashr_i32 s41, s40, 31
	s_lshl_b64 s[22:23], s[40:41], 2
	s_add_u32 s3, s3, s22
	s_addc_u32 s6, s6, s23
	s_ashr_i32 s9, s8, 31
	s_lshl_b64 s[40:41], s[8:9], 2
	s_add_u32 s42, s3, s40
	s_addc_u32 s43, s6, s41
	s_add_u32 s3, s20, s4
	s_addc_u32 s4, s21, s5
	;; [unrolled: 2-line block ×4, first 2 shown]
	global_store_dword v3, v1, s[42:43]
	global_store_dword v3, v2, s[4:5]
.LBB73_38:
	s_or_b32 exec_lo, exec_lo, s1
	v_mov_b32_e32 v17, 0
	v_mov_b32_e32 v16, 0
	;; [unrolled: 1-line block ×4, first 2 shown]
	s_and_saveexec_b32 s3, s0
	s_cbranch_execz .LBB73_54
; %bb.39:
	s_ashr_i32 s15, s14, 31
	s_sub_i32 s4, s39, s17
	s_lshl_b64 s[0:1], s[14:15], 1
	v_lshlrev_b32_e32 v3, 3, v12
	s_add_u32 s5, s34, s0
	s_addc_u32 s6, s35, s1
	s_abs_i32 s9, s18
	v_or_b32_e32 v4, 0x60, v12
	v_cvt_f32_u32_e32 v1, s9
	s_sub_i32 s0, 0, s9
	v_lshlrev_b32_e32 v20, 1, v3
	s_lshl_b64 s[14:15], s[30:31], 2
	s_add_i32 s36, s36, -1
	v_rcp_iflag_f32_e32 v1, v1
	s_add_u32 s1, s28, s14
	s_addc_u32 s14, s29, s15
	v_mov_b32_e32 v18, 0
	v_lshl_add_u32 v19, v10, 5, 0x110
	v_mov_b32_e32 v14, 0
	v_mov_b32_e32 v15, 0
	;; [unrolled: 1-line block ×4, first 2 shown]
	v_mul_f32_e32 v1, 0x4f7ffffe, v1
	v_cvt_u32_f32_e32 v8, v1
	v_lshlrev_b64 v[1:2], 2, v[5:6]
	v_mul_lo_u32 v6, s0, v8
	v_cmp_gt_u32_e64 s0, 0x78, v4
	v_lshlrev_b32_e32 v4, 3, v4
	v_lshlrev_b32_e32 v21, 1, v4
	v_mul_hi_u32 v3, v8, v6
	v_add_co_u32 v6, vcc_lo, s1, v1
	v_add_co_ci_u32_e64 v7, null, s14, v2, vcc_lo
	s_mov_b32 s14, s13
	s_mov_b32 s13, 0
	v_add_nc_u32_e32 v22, v8, v3
	s_branch .LBB73_43
.LBB73_40:                              ;   in Loop: Header=BB73_43 Depth=1
	s_or_b32 exec_lo, exec_lo, s18
	v_lshlrev_b32_e32 v33, 16, v33
	v_lshlrev_b32_e32 v25, 16, v25
	v_lshlrev_b32_e32 v24, 16, v24
	v_and_or_b32 v1, 0xffff, v1, v33
	v_and_or_b32 v2, 0xffff, v2, v25
	v_and_or_b32 v3, 0xffff, v3, v24
	;;#ASMSTART
	v_pk_mul_f16 v1, v28, v1;

	;;#ASMEND
	;;#ASMSTART
	v_pk_mul_f16 v2, v27, v2;

	;;#ASMEND
	;; [unrolled: 4-line block ×4, first 2 shown]
	;;#ASMSTART
	v_pk_add_f16 v1, v1, v2;

	;;#ASMEND
	;;#ASMSTART
	v_pk_add_f16 v1, v1, v3;

	;;#ASMEND
	;; [unrolled: 4-line block ×3, first 2 shown]
	v_and_b32_e32 v2, 0xffff, v1
	v_lshrrev_b32_e32 v3, 16, v1
	;;#ASMSTART
	v_cvt_f32_f16 v1, v2;
	;;#ASMEND
	;;#ASMSTART
	v_cvt_f32_f16 v2, v3;
	;;#ASMEND
	v_add_f32_e32 v1, v1, v2
	v_add_f32_e32 v14, v14, v1
.LBB73_41:                              ;   in Loop: Header=BB73_43 Depth=1
	s_or_b32 exec_lo, exec_lo, s17
	v_add_f32_e32 v1, v31, v32
	v_add_f32_e32 v2, v23, v26
	;; [unrolled: 1-line block ×6, first 2 shown]
.LBB73_42:                              ;   in Loop: Header=BB73_43 Depth=1
	s_or_b32 exec_lo, exec_lo, s15
	v_add_nc_u32_e32 v5, 4, v5
	v_add_co_u32 v6, s1, v6, 16
	v_add_co_ci_u32_e64 v7, null, 0, v7, s1
	v_cmp_le_i32_e32 vcc_lo, s16, v5
	v_add_nc_u32_e32 v11, 32, v11
	v_add_nc_u32_e32 v19, 0x80, v19
	s_or_b32 s13, vcc_lo, s13
	s_andn2_b32 exec_lo, exec_lo, s13
	s_cbranch_execz .LBB73_53
.LBB73_43:                              ; =>This Inner Loop Header: Depth=1
	v_sub_nc_u32_e32 v1, 0, v11
	v_max_i32_e32 v1, v11, v1
	v_mul_hi_u32 v2, v1, s12
	v_mul_lo_u32 v3, v2, s11
	v_sub_nc_u32_e32 v1, v1, v3
	v_add_nc_u32_e32 v3, 1, v2
	v_subrev_nc_u32_e32 v4, s11, v1
	v_cmp_le_u32_e32 vcc_lo, s11, v1
	v_cndmask_b32_e32 v2, v2, v3, vcc_lo
	v_cndmask_b32_e32 v1, v1, v4, vcc_lo
	v_ashrrev_i32_e32 v3, 31, v11
	v_add_nc_u32_e32 v4, 1, v2
	v_cmp_le_u32_e32 vcc_lo, s11, v1
	v_xor_b32_e32 v3, s19, v3
	v_cndmask_b32_e32 v1, v2, v4, vcc_lo
	v_xor_b32_e32 v1, v1, v3
	v_sub_nc_u32_e32 v1, v1, v3
	v_add_nc_u32_e32 v2, s33, v1
	v_cmp_lt_i32_e64 s1, s4, v1
	v_sub_nc_u32_e32 v3, 0, v2
	v_max_i32_e32 v3, v2, v3
	v_ashrrev_i32_e32 v2, 31, v2
	v_mul_hi_u32 v4, v3, v22
	v_mul_lo_u32 v4, v4, s9
	v_sub_nc_u32_e32 v3, v3, v4
	v_subrev_nc_u32_e32 v4, s9, v3
	v_cmp_le_u32_e32 vcc_lo, s9, v3
	v_cndmask_b32_e32 v3, v3, v4, vcc_lo
	v_subrev_nc_u32_e32 v4, s9, v3
	v_cmp_le_u32_e32 vcc_lo, s9, v3
	v_cndmask_b32_e32 v3, v3, v4, vcc_lo
	v_xor_b32_e32 v3, v3, v2
	v_sub_nc_u32_e32 v2, v3, v2
	v_cmp_eq_u32_e32 vcc_lo, 0, v2
	s_or_b32 s1, vcc_lo, s1
	s_and_saveexec_b32 s15, s1
	s_cbranch_execz .LBB73_42
; %bb.44:                               ;   in Loop: Header=BB73_43 Depth=1
	global_load_dword v8, v[6:7], off
	ds_read2_b64 v[1:4], v19 offset1:1
	ds_read2_b64 v[32:35], v19 offset0:2 offset1:3
	s_waitcnt lgkmcnt(1)
	;;#ASMSTART
	v_cvt_f16_f32 v28, v1;

	;;#ASMEND
	;;#ASMSTART
	v_cvt_f16_f32 v23, v2;

	;;#ASMEND
	;; [unrolled: 4-line block ×4, first 2 shown]
	s_waitcnt lgkmcnt(0)
	;;#ASMSTART
	v_cvt_f16_f32 v32, v32;

	;;#ASMEND
	;;#ASMSTART
	v_cvt_f16_f32 v29, v33;

	;;#ASMEND
	;; [unrolled: 4-line block ×4, first 2 shown]
	v_cmp_eq_u32_e64 s1, s36, v5
	s_waitcnt vmcnt(0)
	v_mad_i64_i32 v[8:9], null, v8, s14, 0
	v_lshlrev_b64 v[8:9], 1, v[8:9]
	v_add_co_u32 v24, vcc_lo, s5, v8
	v_add_co_ci_u32_e64 v25, null, s6, v9, vcc_lo
	v_add_co_u32 v8, vcc_lo, v24, v20
	v_add_co_ci_u32_e64 v9, null, 0, v25, vcc_lo
	global_load_dwordx4 v[1:4], v[8:9], off
	s_waitcnt vmcnt(0)
	v_lshrrev_b32_e32 v35, 16, v1
	v_lshrrev_b32_e32 v34, 16, v2
	;; [unrolled: 1-line block ×3, first 2 shown]
	s_and_saveexec_b32 s17, s1
	s_cbranch_execz .LBB73_46
; %bb.45:                               ;   in Loop: Header=BB73_43 Depth=1
	v_add_nc_u32_e32 v36, 1, v11
	v_cmp_gt_i32_e32 vcc_lo, s27, v11
	v_add_nc_u32_e32 v37, 2, v11
	v_add_nc_u32_e32 v38, 3, v11
	v_and_b32_e32 v39, 0xffff0000, v4
	v_cndmask_b32_e32 v1, 0, v1, vcc_lo
	v_cmp_gt_i32_e32 vcc_lo, s27, v36
	v_add_nc_u32_e32 v36, 6, v11
	v_cndmask_b32_e32 v35, 0, v35, vcc_lo
	v_cmp_gt_i32_e32 vcc_lo, s27, v37
	v_add_nc_u32_e32 v37, 5, v11
	;; [unrolled: 3-line block ×4, first 2 shown]
	v_cndmask_b32_sdwa v4, v18, v4, vcc_lo dst_sel:DWORD dst_unused:UNUSED_PAD src0_sel:DWORD src1_sel:WORD_0
	v_cmp_gt_i32_e32 vcc_lo, s27, v38
	v_cndmask_b32_e32 v38, 0, v39, vcc_lo
	v_cmp_gt_i32_e32 vcc_lo, s27, v36
	v_or_b32_e32 v4, v4, v38
	v_cndmask_b32_e32 v3, 0, v3, vcc_lo
	v_cmp_gt_i32_e32 vcc_lo, s27, v37
	v_cndmask_b32_e32 v33, 0, v33, vcc_lo
.LBB73_46:                              ;   in Loop: Header=BB73_43 Depth=1
	s_or_b32 exec_lo, exec_lo, s17
	v_and_b32_e32 v28, 0xffff, v28
	v_and_b32_e32 v31, 0xffff, v31
	v_lshlrev_b32_e32 v35, 16, v35
	v_and_b32_e32 v32, 0xffff, v32
	v_and_b32_e32 v30, 0xffff, v30
	v_lshl_or_b32 v28, v23, 16, v28
	v_lshl_or_b32 v27, v27, 16, v31
	v_lshlrev_b32_e32 v23, 16, v34
	v_lshlrev_b32_e32 v31, 16, v33
	v_and_or_b32 v1, 0xffff, v1, v35
	;;#ASMSTART
	v_pk_mul_f16 v1, v28, v1;

	;;#ASMEND
	v_lshl_or_b32 v29, v29, 16, v32
	v_and_or_b32 v2, 0xffff, v2, v23
	v_and_or_b32 v3, 0xffff, v3, v31
	v_lshl_or_b32 v30, v26, 16, v30
	;;#ASMSTART
	v_pk_mul_f16 v2, v27, v2;

	;;#ASMEND
	;;#ASMSTART
	v_pk_mul_f16 v3, v29, v3;

	;;#ASMEND
	;; [unrolled: 4-line block ×3, first 2 shown]
	;;#ASMSTART
	v_pk_add_f16 v1, v1, v2;

	;;#ASMEND
	;;#ASMSTART
	v_pk_add_f16 v1, v1, v3;

	;;#ASMEND
	;; [unrolled: 4-line block ×3, first 2 shown]
	v_and_b32_e32 v2, 0xffff, v1
	v_lshrrev_b32_e32 v1, 16, v1
	;;#ASMSTART
	v_cvt_f32_f16 v23, v2;
	;;#ASMEND
	;;#ASMSTART
	v_cvt_f32_f16 v26, v1;
	;;#ASMEND
	global_load_dwordx4 v[1:4], v[8:9], off offset:512
	s_waitcnt vmcnt(0)
	v_lshrrev_b32_e32 v33, 16, v1
	v_lshrrev_b32_e32 v32, 16, v2
	;; [unrolled: 1-line block ×3, first 2 shown]
	s_and_saveexec_b32 s17, s1
	s_cbranch_execz .LBB73_48
; %bb.47:                               ;   in Loop: Header=BB73_43 Depth=1
	v_add_nc_u32_e32 v34, 1, v11
	v_cmp_gt_i32_e32 vcc_lo, s27, v11
	v_add_nc_u32_e32 v35, 2, v11
	v_add_nc_u32_e32 v36, 3, v11
	v_and_b32_e32 v37, 0xffff0000, v4
	v_cndmask_b32_e32 v1, 0, v1, vcc_lo
	v_cmp_gt_i32_e32 vcc_lo, s27, v34
	v_add_nc_u32_e32 v34, 6, v11
	v_cndmask_b32_e32 v33, 0, v33, vcc_lo
	v_cmp_gt_i32_e32 vcc_lo, s27, v35
	v_add_nc_u32_e32 v35, 5, v11
	;; [unrolled: 3-line block ×4, first 2 shown]
	v_cndmask_b32_sdwa v4, v18, v4, vcc_lo dst_sel:DWORD dst_unused:UNUSED_PAD src0_sel:DWORD src1_sel:WORD_0
	v_cmp_gt_i32_e32 vcc_lo, s27, v36
	v_cndmask_b32_e32 v36, 0, v37, vcc_lo
	v_cmp_gt_i32_e32 vcc_lo, s27, v34
	v_or_b32_e32 v4, v4, v36
	v_cndmask_b32_e32 v3, 0, v3, vcc_lo
	v_cmp_gt_i32_e32 vcc_lo, s27, v35
	v_cndmask_b32_e32 v31, 0, v31, vcc_lo
.LBB73_48:                              ;   in Loop: Header=BB73_43 Depth=1
	s_or_b32 exec_lo, exec_lo, s17
	v_lshlrev_b32_e32 v33, 16, v33
	v_lshlrev_b32_e32 v32, 16, v32
	;; [unrolled: 1-line block ×3, first 2 shown]
	v_and_or_b32 v1, 0xffff, v1, v33
	v_and_or_b32 v2, 0xffff, v2, v32
	;; [unrolled: 1-line block ×3, first 2 shown]
	;;#ASMSTART
	v_pk_mul_f16 v1, v28, v1;

	;;#ASMEND
	;;#ASMSTART
	v_pk_mul_f16 v2, v27, v2;

	;;#ASMEND
	;; [unrolled: 4-line block ×4, first 2 shown]
	;;#ASMSTART
	v_pk_add_f16 v1, v1, v2;

	;;#ASMEND
	;;#ASMSTART
	v_pk_add_f16 v1, v1, v3;

	;;#ASMEND
	;; [unrolled: 4-line block ×3, first 2 shown]
	v_and_b32_e32 v2, 0xffff, v1
	v_lshrrev_b32_e32 v1, 16, v1
	;;#ASMSTART
	v_cvt_f32_f16 v31, v2;
	;;#ASMEND
	;;#ASMSTART
	v_cvt_f32_f16 v32, v1;
	;;#ASMEND
	global_load_dwordx4 v[1:4], v[8:9], off offset:1024
	s_waitcnt vmcnt(0)
	v_lshrrev_b32_e32 v33, 16, v1
	v_lshrrev_b32_e32 v9, 16, v2
	;; [unrolled: 1-line block ×3, first 2 shown]
	s_and_saveexec_b32 s17, s1
	s_cbranch_execz .LBB73_50
; %bb.49:                               ;   in Loop: Header=BB73_43 Depth=1
	v_add_nc_u32_e32 v34, 1, v11
	v_cmp_gt_i32_e32 vcc_lo, s27, v11
	v_add_nc_u32_e32 v35, 2, v11
	v_add_nc_u32_e32 v36, 3, v11
	v_and_b32_e32 v37, 0xffff0000, v4
	v_cndmask_b32_e32 v1, 0, v1, vcc_lo
	v_cmp_gt_i32_e32 vcc_lo, s27, v34
	v_add_nc_u32_e32 v34, 6, v11
	v_cndmask_b32_e32 v33, 0, v33, vcc_lo
	v_cmp_gt_i32_e32 vcc_lo, s27, v35
	v_add_nc_u32_e32 v35, 5, v11
	;; [unrolled: 3-line block ×4, first 2 shown]
	v_cndmask_b32_sdwa v4, v18, v4, vcc_lo dst_sel:DWORD dst_unused:UNUSED_PAD src0_sel:DWORD src1_sel:WORD_0
	v_cmp_gt_i32_e32 vcc_lo, s27, v36
	v_cndmask_b32_e32 v36, 0, v37, vcc_lo
	v_cmp_gt_i32_e32 vcc_lo, s27, v34
	v_or_b32_e32 v4, v4, v36
	v_cndmask_b32_e32 v3, 0, v3, vcc_lo
	v_cmp_gt_i32_e32 vcc_lo, s27, v35
	v_cndmask_b32_e32 v8, 0, v8, vcc_lo
.LBB73_50:                              ;   in Loop: Header=BB73_43 Depth=1
	s_or_b32 exec_lo, exec_lo, s17
	v_lshlrev_b32_e32 v33, 16, v33
	v_lshlrev_b32_e32 v9, 16, v9
	;; [unrolled: 1-line block ×3, first 2 shown]
	v_and_or_b32 v1, 0xffff, v1, v33
	v_and_or_b32 v2, 0xffff, v2, v9
	;; [unrolled: 1-line block ×3, first 2 shown]
	;;#ASMSTART
	v_pk_mul_f16 v1, v28, v1;

	;;#ASMEND
	;;#ASMSTART
	v_pk_mul_f16 v2, v27, v2;

	;;#ASMEND
	;; [unrolled: 4-line block ×4, first 2 shown]
	;;#ASMSTART
	v_pk_add_f16 v1, v1, v2;

	;;#ASMEND
	;;#ASMSTART
	v_pk_add_f16 v1, v1, v3;

	;;#ASMEND
	;; [unrolled: 4-line block ×3, first 2 shown]
	v_and_b32_e32 v2, 0xffff, v1
	v_lshrrev_b32_e32 v1, 16, v1
	;;#ASMSTART
	v_cvt_f32_f16 v8, v2;
	;;#ASMEND
	;;#ASMSTART
	v_cvt_f32_f16 v9, v1;
	;;#ASMEND
	s_and_saveexec_b32 s17, s0
	s_cbranch_execz .LBB73_41
; %bb.51:                               ;   in Loop: Header=BB73_43 Depth=1
	v_add_co_u32 v1, vcc_lo, v24, v21
	v_add_co_ci_u32_e64 v2, null, 0, v25, vcc_lo
	global_load_dwordx4 v[1:4], v[1:2], off
	s_waitcnt vmcnt(0)
	v_lshrrev_b32_e32 v33, 16, v1
	v_lshrrev_b32_e32 v25, 16, v2
	;; [unrolled: 1-line block ×3, first 2 shown]
	s_and_saveexec_b32 s18, s1
	s_cbranch_execz .LBB73_40
; %bb.52:                               ;   in Loop: Header=BB73_43 Depth=1
	v_add_nc_u32_e32 v34, 1, v11
	v_cmp_gt_i32_e32 vcc_lo, s27, v11
	v_add_nc_u32_e32 v35, 2, v11
	v_add_nc_u32_e32 v36, 3, v11
	v_and_b32_e32 v37, 0xffff0000, v4
	v_cndmask_b32_e32 v1, 0, v1, vcc_lo
	v_cmp_gt_i32_e32 vcc_lo, s27, v34
	v_add_nc_u32_e32 v34, 6, v11
	v_cndmask_b32_e32 v33, 0, v33, vcc_lo
	v_cmp_gt_i32_e32 vcc_lo, s27, v35
	v_add_nc_u32_e32 v35, 5, v11
	;; [unrolled: 3-line block ×4, first 2 shown]
	v_cndmask_b32_sdwa v4, v18, v4, vcc_lo dst_sel:DWORD dst_unused:UNUSED_PAD src0_sel:DWORD src1_sel:WORD_0
	v_cmp_gt_i32_e32 vcc_lo, s27, v36
	v_cndmask_b32_e32 v36, 0, v37, vcc_lo
	v_cmp_gt_i32_e32 vcc_lo, s27, v34
	v_or_b32_e32 v4, v4, v36
	v_cndmask_b32_e32 v3, 0, v3, vcc_lo
	v_cmp_gt_i32_e32 vcc_lo, s27, v35
	v_cndmask_b32_e32 v24, 0, v24, vcc_lo
	s_branch .LBB73_40
.LBB73_53:
	s_or_b32 exec_lo, exec_lo, s13
.LBB73_54:
	s_or_b32 exec_lo, exec_lo, s3
	s_movk_i32 s0, 0x1e0
	v_and_b32_e32 v1, 0x3c0, v0
	v_mad_u32_u24 v4, v10, s0, 0x110
	v_or_b32_e32 v3, 0x60, v0
	s_mov_b32 s0, exec_lo
	s_waitcnt_vscnt null, 0x0
	s_barrier
	buffer_gl0_inv
	v_cmpx_eq_u32_e32 64, v1
	s_cbranch_execz .LBB73_57
; %bb.55:
	v_add_nc_u32_e32 v1, 0xfffffc40, v4
	v_cmp_gt_u32_e32 vcc_lo, 0x78, v3
	v_lshl_add_u32 v2, v12, 2, v1
	ds_write2_b32 v2, v17, v16 offset1:32
	ds_write_b32 v2, v15 offset:256
	s_and_b32 exec_lo, exec_lo, vcc_lo
; %bb.56:
	v_lshl_add_u32 v1, v3, 2, v1
	ds_write_b32 v1, v14
.LBB73_57:
	s_or_b32 exec_lo, exec_lo, s0
	v_lshl_add_u32 v5, v12, 2, v4
	s_mov_b32 s0, exec_lo
	s_waitcnt lgkmcnt(0)
	s_barrier
	buffer_gl0_inv
	v_cmpx_gt_u32_e32 64, v0
	s_cbranch_execz .LBB73_61
; %bb.58:
	v_lshl_or_b32 v1, v0, 2, 0x80
	s_mov_b32 s1, exec_lo
	v_add_nc_u32_e32 v6, v4, v1
	ds_read2st64_b32 v[1:2], v5 offset1:1
	ds_read_b32 v6, v6
	v_cmpx_gt_u32_e32 0x78, v3
	s_cbranch_execz .LBB73_60
; %bb.59:
	v_lshl_add_u32 v7, v3, 2, v4
	ds_read_b32 v7, v7
	s_waitcnt lgkmcnt(0)
	v_add_f32_e32 v14, v14, v7
.LBB73_60:
	s_or_b32 exec_lo, exec_lo, s1
	s_waitcnt lgkmcnt(1)
	v_add_f32_e32 v17, v17, v1
	s_waitcnt lgkmcnt(0)
	v_add_f32_e32 v16, v16, v6
	v_add_f32_e32 v15, v15, v2
.LBB73_61:
	s_or_b32 exec_lo, exec_lo, s0
	v_and_b32_e32 v1, 0x3e0, v0
	s_mov_b32 s0, exec_lo
	s_barrier
	buffer_gl0_inv
	v_cmpx_eq_u32_e32 32, v1
	s_cbranch_execz .LBB73_64
; %bb.62:
	v_lshl_add_u32 v1, v12, 2, 0x110
	v_cmp_gt_u32_e32 vcc_lo, 0x78, v3
	ds_write_b32 v1, v17
	ds_write_b32 v13, v16
	ds_write_b32 v1, v15 offset:256
	s_and_b32 exec_lo, exec_lo, vcc_lo
; %bb.63:
	v_lshl_add_u32 v1, v3, 2, 0x110
	ds_write_b32 v1, v14
.LBB73_64:
	s_or_b32 exec_lo, exec_lo, s0
	v_cmp_gt_u32_e32 vcc_lo, 32, v0
	s_waitcnt lgkmcnt(0)
	s_barrier
	buffer_gl0_inv
	s_and_saveexec_b32 s1, vcc_lo
	s_cbranch_execz .LBB73_68
; %bb.65:
	v_lshl_add_u32 v6, v0, 2, v4
	s_mov_b32 s3, exec_lo
	ds_read_b32 v4, v5
	ds_read2_b32 v[1:2], v6 offset0:32 offset1:64
	v_cmpx_gt_u32_e32 0x78, v3
	s_cbranch_execz .LBB73_67
; %bb.66:
	ds_read_b32 v5, v6 offset:384
	s_waitcnt lgkmcnt(0)
	v_add_f32_e32 v14, v14, v5
.LBB73_67:
	s_or_b32 exec_lo, exec_lo, s3
	s_waitcnt lgkmcnt(1)
	v_add_f32_e32 v17, v17, v4
	s_waitcnt lgkmcnt(0)
	v_add_f32_e32 v16, v16, v1
	v_add_f32_e32 v15, v15, v2
.LBB73_68:
	s_or_b32 exec_lo, exec_lo, s1
	s_barrier
	buffer_gl0_inv
	s_and_saveexec_b32 s0, vcc_lo
	s_cbranch_execz .LBB73_71
; %bb.69:
	s_mul_i32 s0, s2, 0x78
	s_mul_i32 s2, s7, s10
	s_ashr_i32 s1, s0, 31
	v_lshlrev_b32_e32 v0, 1, v0
	s_lshl_b64 s[0:1], s[0:1], 1
	v_cmp_gt_u32_e32 vcc_lo, 0x78, v3
	s_add_u32 s4, s24, s0
	s_addc_u32 s5, s25, s1
	s_ashr_i32 s3, s2, 31
	;;#ASMSTART
	v_cvt_f16_f32 v1, v17;

	;;#ASMEND
	s_lshl_b64 s[0:1], s[2:3], 1
	s_mul_i32 s2, s8, 0x78
	s_add_u32 s4, s4, s0
	s_addc_u32 s5, s5, s1
	s_ashr_i32 s3, s2, 31
	s_lshl_b64 s[0:1], s[2:3], 1
	s_add_u32 s0, s4, s0
	s_addc_u32 s1, s5, s1
	global_store_short v0, v1, s[0:1]
	;;#ASMSTART
	v_cvt_f16_f32 v1, v16;

	;;#ASMEND
	global_store_short v0, v1, s[0:1] offset:64
	;;#ASMSTART
	v_cvt_f16_f32 v1, v15;

	;;#ASMEND
	global_store_short v0, v1, s[0:1] offset:128
	s_and_b32 exec_lo, exec_lo, vcc_lo
	s_cbranch_execz .LBB73_71
; %bb.70:
	v_add_co_u32 v0, s0, s0, v0
	v_add_co_ci_u32_e64 v1, null, s1, 0, s0
	;;#ASMSTART
	v_cvt_f16_f32 v2, v14;

	;;#ASMEND
	global_store_short v[0:1], v2, off offset:192
.LBB73_71:
	s_endpgm
	.section	.rodata,"a",@progbits
	.p2align	6, 0x0
	.amdhsa_kernel _ZN4vllm25paged_attention_v2_kernelIttLi120ELi8ELi128ELNS_18Fp8KVCacheDataTypeE0ELb1ELi512EEEvPfS2_PT_PKS3_PKT0_S9_ifPKiSB_iPKfiiiSD_SD_iiiii
		.amdhsa_group_segment_fixed_size 272
		.amdhsa_private_segment_fixed_size 0
		.amdhsa_kernarg_size 400
		.amdhsa_user_sgpr_count 6
		.amdhsa_user_sgpr_private_segment_buffer 1
		.amdhsa_user_sgpr_dispatch_ptr 0
		.amdhsa_user_sgpr_queue_ptr 0
		.amdhsa_user_sgpr_kernarg_segment_ptr 1
		.amdhsa_user_sgpr_dispatch_id 0
		.amdhsa_user_sgpr_flat_scratch_init 0
		.amdhsa_user_sgpr_private_segment_size 0
		.amdhsa_wavefront_size32 1
		.amdhsa_uses_dynamic_stack 0
		.amdhsa_system_sgpr_private_segment_wavefront_offset 0
		.amdhsa_system_sgpr_workgroup_id_x 1
		.amdhsa_system_sgpr_workgroup_id_y 1
		.amdhsa_system_sgpr_workgroup_id_z 1
		.amdhsa_system_sgpr_workgroup_info 0
		.amdhsa_system_vgpr_workitem_id 0
		.amdhsa_next_free_vgpr 73
		.amdhsa_next_free_sgpr 46
		.amdhsa_reserve_vcc 1
		.amdhsa_reserve_flat_scratch 0
		.amdhsa_float_round_mode_32 0
		.amdhsa_float_round_mode_16_64 0
		.amdhsa_float_denorm_mode_32 3
		.amdhsa_float_denorm_mode_16_64 3
		.amdhsa_dx10_clamp 1
		.amdhsa_ieee_mode 1
		.amdhsa_fp16_overflow 0
		.amdhsa_workgroup_processor_mode 1
		.amdhsa_memory_ordered 1
		.amdhsa_forward_progress 1
		.amdhsa_shared_vgpr_count 0
		.amdhsa_exception_fp_ieee_invalid_op 0
		.amdhsa_exception_fp_denorm_src 0
		.amdhsa_exception_fp_ieee_div_zero 0
		.amdhsa_exception_fp_ieee_overflow 0
		.amdhsa_exception_fp_ieee_underflow 0
		.amdhsa_exception_fp_ieee_inexact 0
		.amdhsa_exception_int_div_zero 0
	.end_amdhsa_kernel
	.section	.text._ZN4vllm25paged_attention_v2_kernelIttLi120ELi8ELi128ELNS_18Fp8KVCacheDataTypeE0ELb1ELi512EEEvPfS2_PT_PKS3_PKT0_S9_ifPKiSB_iPKfiiiSD_SD_iiiii,"axG",@progbits,_ZN4vllm25paged_attention_v2_kernelIttLi120ELi8ELi128ELNS_18Fp8KVCacheDataTypeE0ELb1ELi512EEEvPfS2_PT_PKS3_PKT0_S9_ifPKiSB_iPKfiiiSD_SD_iiiii,comdat
.Lfunc_end73:
	.size	_ZN4vllm25paged_attention_v2_kernelIttLi120ELi8ELi128ELNS_18Fp8KVCacheDataTypeE0ELb1ELi512EEEvPfS2_PT_PKS3_PKT0_S9_ifPKiSB_iPKfiiiSD_SD_iiiii, .Lfunc_end73-_ZN4vllm25paged_attention_v2_kernelIttLi120ELi8ELi128ELNS_18Fp8KVCacheDataTypeE0ELb1ELi512EEEvPfS2_PT_PKS3_PKT0_S9_ifPKiSB_iPKfiiiSD_SD_iiiii
                                        ; -- End function
	.set _ZN4vllm25paged_attention_v2_kernelIttLi120ELi8ELi128ELNS_18Fp8KVCacheDataTypeE0ELb1ELi512EEEvPfS2_PT_PKS3_PKT0_S9_ifPKiSB_iPKfiiiSD_SD_iiiii.num_vgpr, 73
	.set _ZN4vllm25paged_attention_v2_kernelIttLi120ELi8ELi128ELNS_18Fp8KVCacheDataTypeE0ELb1ELi512EEEvPfS2_PT_PKS3_PKT0_S9_ifPKiSB_iPKfiiiSD_SD_iiiii.num_agpr, 0
	.set _ZN4vllm25paged_attention_v2_kernelIttLi120ELi8ELi128ELNS_18Fp8KVCacheDataTypeE0ELb1ELi512EEEvPfS2_PT_PKS3_PKT0_S9_ifPKiSB_iPKfiiiSD_SD_iiiii.numbered_sgpr, 46
	.set _ZN4vllm25paged_attention_v2_kernelIttLi120ELi8ELi128ELNS_18Fp8KVCacheDataTypeE0ELb1ELi512EEEvPfS2_PT_PKS3_PKT0_S9_ifPKiSB_iPKfiiiSD_SD_iiiii.num_named_barrier, 0
	.set _ZN4vllm25paged_attention_v2_kernelIttLi120ELi8ELi128ELNS_18Fp8KVCacheDataTypeE0ELb1ELi512EEEvPfS2_PT_PKS3_PKT0_S9_ifPKiSB_iPKfiiiSD_SD_iiiii.private_seg_size, 0
	.set _ZN4vllm25paged_attention_v2_kernelIttLi120ELi8ELi128ELNS_18Fp8KVCacheDataTypeE0ELb1ELi512EEEvPfS2_PT_PKS3_PKT0_S9_ifPKiSB_iPKfiiiSD_SD_iiiii.uses_vcc, 1
	.set _ZN4vllm25paged_attention_v2_kernelIttLi120ELi8ELi128ELNS_18Fp8KVCacheDataTypeE0ELb1ELi512EEEvPfS2_PT_PKS3_PKT0_S9_ifPKiSB_iPKfiiiSD_SD_iiiii.uses_flat_scratch, 0
	.set _ZN4vllm25paged_attention_v2_kernelIttLi120ELi8ELi128ELNS_18Fp8KVCacheDataTypeE0ELb1ELi512EEEvPfS2_PT_PKS3_PKT0_S9_ifPKiSB_iPKfiiiSD_SD_iiiii.has_dyn_sized_stack, 0
	.set _ZN4vllm25paged_attention_v2_kernelIttLi120ELi8ELi128ELNS_18Fp8KVCacheDataTypeE0ELb1ELi512EEEvPfS2_PT_PKS3_PKT0_S9_ifPKiSB_iPKfiiiSD_SD_iiiii.has_recursion, 0
	.set _ZN4vllm25paged_attention_v2_kernelIttLi120ELi8ELi128ELNS_18Fp8KVCacheDataTypeE0ELb1ELi512EEEvPfS2_PT_PKS3_PKT0_S9_ifPKiSB_iPKfiiiSD_SD_iiiii.has_indirect_call, 0
	.section	.AMDGPU.csdata,"",@progbits
; Kernel info:
; codeLenInByte = 7664
; TotalNumSgprs: 48
; NumVgprs: 73
; ScratchSize: 0
; MemoryBound: 0
; FloatMode: 240
; IeeeMode: 1
; LDSByteSize: 272 bytes/workgroup (compile time only)
; SGPRBlocks: 0
; VGPRBlocks: 9
; NumSGPRsForWavesPerEU: 48
; NumVGPRsForWavesPerEU: 73
; Occupancy: 12
; WaveLimiterHint : 1
; COMPUTE_PGM_RSRC2:SCRATCH_EN: 0
; COMPUTE_PGM_RSRC2:USER_SGPR: 6
; COMPUTE_PGM_RSRC2:TRAP_HANDLER: 0
; COMPUTE_PGM_RSRC2:TGID_X_EN: 1
; COMPUTE_PGM_RSRC2:TGID_Y_EN: 1
; COMPUTE_PGM_RSRC2:TGID_Z_EN: 1
; COMPUTE_PGM_RSRC2:TIDIG_COMP_CNT: 0
	.section	.text._ZN4vllm32paged_attention_v2_reduce_kernelItLi120ELi128ELi512EEEvPT_PKfS4_PKS1_PKii,"axG",@progbits,_ZN4vllm32paged_attention_v2_reduce_kernelItLi120ELi128ELi512EEEvPT_PKfS4_PKS1_PKii,comdat
	.protected	_ZN4vllm32paged_attention_v2_reduce_kernelItLi120ELi128ELi512EEEvPT_PKfS4_PKS1_PKii ; -- Begin function _ZN4vllm32paged_attention_v2_reduce_kernelItLi120ELi128ELi512EEEvPT_PKfS4_PKS1_PKii
	.globl	_ZN4vllm32paged_attention_v2_reduce_kernelItLi120ELi128ELi512EEEvPT_PKfS4_PKS1_PKii
	.p2align	8
	.type	_ZN4vllm32paged_attention_v2_reduce_kernelItLi120ELi128ELi512EEEvPT_PKfS4_PKS1_PKii,@function
_ZN4vllm32paged_attention_v2_reduce_kernelItLi120ELi128ELi512EEEvPT_PKfS4_PKS1_PKii: ; @_ZN4vllm32paged_attention_v2_reduce_kernelItLi120ELi128ELi512EEEvPT_PKfS4_PKS1_PKii
; %bb.0:
	s_load_dwordx4 s[8:11], s[4:5], 0x18
	s_add_u32 s14, s4, 48
	s_mov_b32 s12, s7
	s_addc_u32 s15, s5, 0
	s_ashr_i32 s13, s7, 31
	s_lshl_b64 s[0:1], s[12:13], 2
	s_waitcnt lgkmcnt(0)
	s_add_u32 s0, s10, s0
	s_addc_u32 s1, s11, s1
	s_load_dword s22, s[0:1], 0x0
	s_clause 0x2
	s_load_dwordx2 s[10:11], s[4:5], 0x0
	s_load_dword s7, s[4:5], 0x28
	s_load_dword s13, s[4:5], 0x30
	s_waitcnt lgkmcnt(0)
	s_add_i32 s0, s22, -1
	s_cmpk_gt_u32 s0, 0x1ff
	s_mov_b32 s0, -1
	s_cbranch_scc0 .LBB74_25
; %bb.1:
	s_load_dwordx2 s[2:3], s[4:5], 0x8
	s_add_i32 s0, s22, 0x1ff
	s_mul_i32 s20, s13, s12
	s_ashr_i32 s1, s0, 31
	v_mov_b32_e32 v4, 0xff7fffff
	s_lshr_b32 s1, s1, 23
	v_lshlrev_b32_e32 v3, 2, v0
	s_add_i32 s0, s0, s1
	s_mul_i32 s16, s20, s7
	s_ashr_i32 s21, s0, 9
	s_mul_i32 s18, s7, s6
	v_cmp_gt_i32_e32 vcc_lo, s21, v0
	s_ashr_i32 s17, s16, 31
	s_ashr_i32 s19, s18, 31
	s_and_saveexec_b32 s1, vcc_lo
	s_cbranch_execz .LBB74_5
; %bb.2:
	s_load_dword s0, s[14:15], 0xc
	s_load_dwordx2 s[24:25], s[4:5], 0x10
	s_lshl_b64 s[26:27], s[16:17], 2
	s_lshl_b64 s[28:29], s[18:19], 2
	v_add_nc_u32_e32 v5, 32, v3
	v_mov_b32_e32 v4, 0xff7fffff
	v_mov_b32_e32 v6, v0
	s_waitcnt lgkmcnt(0)
	s_and_b32 s4, s0, 0xffff
	s_add_u32 s0, s26, s28
	s_addc_u32 s5, s27, s29
	s_add_u32 s0, s24, s0
	s_addc_u32 s5, s25, s5
	v_add_co_u32 v1, s0, s0, v3
	v_add_co_ci_u32_e64 v2, null, s5, 0, s0
	s_mov_b32 s5, 0
	s_lshl_b32 s23, s4, 2
	.p2align	6
.LBB74_3:                               ; =>This Inner Loop Header: Depth=1
	global_load_dword v7, v[1:2], off
	v_add_nc_u32_e32 v6, s4, v6
	v_max_f32_e32 v4, v4, v4
	v_add_co_u32 v1, s0, v1, s23
	v_add_co_ci_u32_e64 v2, null, 0, v2, s0
	v_cmp_le_i32_e64 s0, s21, v6
	s_or_b32 s5, s0, s5
	s_waitcnt vmcnt(0)
	v_max_f32_e32 v8, v7, v7
	ds_write_b32 v5, v7
	v_add_nc_u32_e32 v5, s23, v5
	v_max_f32_e32 v4, v4, v8
	s_andn2_b32 exec_lo, exec_lo, s5
	s_cbranch_execnz .LBB74_3
; %bb.4:
	s_or_b32 exec_lo, exec_lo, s5
.LBB74_5:
	s_or_b32 exec_lo, exec_lo, s1
	v_mbcnt_lo_u32_b32 v1, -1, 0
	s_waitcnt lgkmcnt(0)
	s_barrier
	buffer_gl0_inv
	v_xor_b32_e32 v2, 16, v1
	v_xor_b32_e32 v5, 8, v1
	v_cmp_gt_i32_e64 s0, 32, v2
	v_cndmask_b32_e64 v2, v1, v2, s0
	v_cmp_gt_i32_e64 s0, 32, v5
	v_lshlrev_b32_e32 v6, 2, v2
	v_cndmask_b32_e64 v5, v1, v5, s0
	ds_bpermute_b32 v2, v6, v4
	v_max_f32_e32 v4, v4, v4
	v_lshlrev_b32_e32 v7, 2, v5
	v_xor_b32_e32 v5, 4, v1
	v_cmp_gt_i32_e64 s0, 32, v5
	v_cndmask_b32_e64 v5, v1, v5, s0
	v_lshlrev_b32_e32 v8, 2, v5
	v_xor_b32_e32 v5, 2, v1
	s_waitcnt lgkmcnt(0)
	v_max_f32_e32 v2, v2, v2
	v_cmp_gt_i32_e64 s0, 32, v5
	v_max_f32_e32 v2, v4, v2
	v_cndmask_b32_e64 v5, v1, v5, s0
	ds_bpermute_b32 v4, v7, v2
	s_waitcnt lgkmcnt(0)
	v_max_f32_e32 v4, v4, v4
	v_max_f32_e32 v2, v2, v4
	ds_bpermute_b32 v4, v8, v2
	s_waitcnt lgkmcnt(0)
	v_max_f32_e32 v9, v4, v4
	v_lshlrev_b32_e32 v4, 2, v5
	v_max_f32_e32 v2, v2, v9
	v_xor_b32_e32 v9, 1, v1
	ds_bpermute_b32 v5, v4, v2
	v_cmp_gt_i32_e64 s0, 32, v9
	v_cndmask_b32_e64 v1, v1, v9, s0
	v_lshrrev_b32_e32 v9, 5, v0
	v_lshlrev_b32_e32 v9, 2, v9
	s_waitcnt lgkmcnt(0)
	v_max_f32_e32 v5, v5, v5
	v_max_f32_e32 v2, v2, v5
	v_lshlrev_b32_e32 v5, 2, v1
	v_and_b32_e32 v1, 31, v0
	ds_bpermute_b32 v10, v5, v2
	v_cmp_eq_u32_e64 s0, 0, v1
	s_and_saveexec_b32 s1, s0
	s_cbranch_execz .LBB74_7
; %bb.6:
	s_waitcnt lgkmcnt(0)
	v_max_f32_e32 v10, v10, v10
	v_max_f32_e32 v2, v2, v2
	;; [unrolled: 1-line block ×3, first 2 shown]
	ds_write_b32 v9, v2
.LBB74_7:
	s_or_b32 exec_lo, exec_lo, s1
	v_cmp_gt_u32_e64 s1, 4, v1
	v_mov_b32_e32 v2, 0xff7fffff
	s_waitcnt lgkmcnt(0)
	v_lshlrev_b32_e32 v10, 2, v1
	s_barrier
	buffer_gl0_inv
	s_and_saveexec_b32 s4, s1
; %bb.8:
	ds_read_b32 v2, v10
; %bb.9:
	s_or_b32 exec_lo, exec_lo, s4
	s_waitcnt lgkmcnt(0)
	ds_bpermute_b32 v1, v4, v2
	v_max_f32_e32 v2, v2, v2
	v_mov_b32_e32 v11, 0
	s_lshl_b32 s4, s21, 2
	s_waitcnt lgkmcnt(0)
	v_max_f32_e32 v1, v1, v1
	v_max_f32_e32 v1, v2, v1
	ds_bpermute_b32 v2, v5, v1
	s_waitcnt lgkmcnt(0)
	v_max_f32_e32 v2, v2, v2
	v_max_f32_e32 v1, v1, v2
	ds_bpermute_b32 v12, v11, v1
	s_and_saveexec_b32 s5, vcc_lo
	s_cbranch_execz .LBB74_13
; %bb.10:
	s_load_dword s23, s[14:15], 0xc
	s_lshl_b64 s[24:25], s[16:17], 2
	s_lshl_b64 s[26:27], s[18:19], 2
	v_mov_b32_e32 v11, 0
	v_add_nc_u32_e32 v13, 32, v3
	s_waitcnt lgkmcnt(0)
	s_and_b32 s17, s23, 0xffff
	s_add_u32 s19, s24, s26
	s_addc_u32 s23, s25, s27
	s_add_u32 s2, s2, s19
	s_addc_u32 s3, s3, s23
	v_add_co_u32 v1, s2, s2, v3
	v_add_co_ci_u32_e64 v2, null, s3, 0, s2
	v_mov_b32_e32 v3, v0
	s_mov_b32 s3, 0
	s_lshl_b32 s19, s17, 2
	s_inst_prefetch 0x1
	.p2align	6
.LBB74_11:                              ; =>This Inner Loop Header: Depth=1
	global_load_dword v14, v[1:2], off
	ds_read_b32 v15, v13
	v_add_nc_u32_e32 v3, s17, v3
	s_waitcnt lgkmcnt(0)
	v_sub_f32_e32 v15, v15, v12
	v_mul_f32_e32 v16, 0x3fb8aa3b, v15
	v_cmp_ngt_f32_e32 vcc_lo, 0xc2ce8ed0, v15
	v_cmp_nlt_f32_e64 s2, 0x42b17218, v15
	v_fma_f32 v17, 0x3fb8aa3b, v15, -v16
	v_rndne_f32_e32 v18, v16
	v_fmac_f32_e32 v17, 0x32a5705f, v15
	v_sub_f32_e32 v16, v16, v18
	v_add_f32_e32 v16, v16, v17
	v_cvt_i32_f32_e32 v17, v18
	v_exp_f32_e32 v16, v16
	v_ldexp_f32 v16, v16, v17
	v_add_nc_u32_e32 v17, s4, v13
	v_add_nc_u32_e32 v13, s19, v13
	v_cndmask_b32_e32 v16, 0, v16, vcc_lo
	v_add_co_u32 v1, vcc_lo, v1, s19
	v_add_co_ci_u32_e64 v2, null, 0, v2, vcc_lo
	v_cndmask_b32_e64 v15, 0x7f800000, v16, s2
	v_cmp_le_i32_e32 vcc_lo, s21, v3
	s_or_b32 s3, vcc_lo, s3
	s_waitcnt vmcnt(0)
	v_mul_f32_e32 v16, v14, v15
	v_fmac_f32_e32 v11, v14, v15
	ds_write_b32 v17, v16
	s_andn2_b32 exec_lo, exec_lo, s3
	s_cbranch_execnz .LBB74_11
; %bb.12:
	s_inst_prefetch 0x2
	s_or_b32 exec_lo, exec_lo, s3
.LBB74_13:
	s_or_b32 exec_lo, exec_lo, s5
	ds_bpermute_b32 v1, v6, v11
	s_waitcnt lgkmcnt(0)
	s_barrier
	buffer_gl0_inv
	v_add_f32_e32 v1, v11, v1
	ds_bpermute_b32 v2, v7, v1
	s_waitcnt lgkmcnt(0)
	v_add_f32_e32 v1, v1, v2
	ds_bpermute_b32 v2, v8, v1
	s_waitcnt lgkmcnt(0)
	;; [unrolled: 3-line block ×4, first 2 shown]
	v_add_f32_e32 v1, v1, v2
	s_and_saveexec_b32 s2, s0
; %bb.14:
	ds_write_b32 v9, v1 offset:16
; %bb.15:
	s_or_b32 exec_lo, exec_lo, s2
	s_waitcnt lgkmcnt(0)
	s_barrier
	buffer_gl0_inv
	s_and_saveexec_b32 s0, s1
; %bb.16:
	ds_read_b32 v1, v10 offset:16
; %bb.17:
	s_or_b32 exec_lo, exec_lo, s0
	s_waitcnt lgkmcnt(0)
	ds_bpermute_b32 v2, v4, v1
	s_mov_b32 s0, exec_lo
	s_waitcnt lgkmcnt(0)
	v_add_f32_e32 v1, v1, v2
	ds_bpermute_b32 v2, v5, v1
	s_waitcnt lgkmcnt(0)
	v_add_f32_e32 v1, v1, v2
	v_mov_b32_e32 v2, 0
	ds_bpermute_b32 v2, v2, v1
	v_cmpx_gt_u32_e32 0x78, v0
	s_cbranch_execz .LBB74_24
; %bb.18:
	s_cmp_gt_i32 s22, 0
	s_mov_b32 s1, 0
	s_cbranch_scc1 .LBB74_20
; %bb.19:
	v_mov_b32_e32 v1, 0
	v_mov_b32_e32 v4, 0
	s_andn2_b32 vcc_lo, exec_lo, s1
	s_cbranch_vccz .LBB74_21
	s_branch .LBB74_23
.LBB74_20:
	v_mov_b32_e32 v4, 0
.LBB74_21:
	s_waitcnt lgkmcnt(0)
	v_add_f32_e32 v4, 0x358637bd, v2
	s_mulk_i32 s16, 0x78
	s_mulk_i32 s18, 0x78
	s_ashr_i32 s17, s16, 31
	s_ashr_i32 s19, s18, 31
	v_div_scale_f32 v2, null, v4, v4, 1.0
	v_div_scale_f32 v5, vcc_lo, 1.0, v4, 1.0
	s_add_i32 s2, s4, 32
	v_rcp_f32_e32 v3, v2
	s_lshl_b64 s[4:5], s[16:17], 1
	s_lshl_b64 s[16:17], s[18:19], 1
	s_max_i32 s1, s21, 1
	s_add_u32 s3, s4, s16
	s_addc_u32 s4, s5, s17
	s_add_u32 s3, s8, s3
	s_addc_u32 s4, s9, s4
	v_fma_f32 v1, -v2, v3, 1.0
	v_fmac_f32_e32 v3, v1, v3
	v_mov_b32_e32 v1, 0
	v_mul_f32_e32 v6, v5, v3
	v_fma_f32 v7, -v2, v6, v5
	v_fmac_f32_e32 v6, v7, v3
	v_lshlrev_b32_e32 v7, 1, v0
	v_fma_f32 v2, -v2, v6, v5
	v_div_fmas_f32 v5, v2, v3, v6
	v_add_co_u32 v2, s3, s3, v7
	v_add_co_ci_u32_e64 v3, null, s4, 0, s3
	v_div_fixup_f32 v5, v5, v4, 1.0
	v_mov_b32_e32 v4, v1
	.p2align	6
.LBB74_22:                              ; =>This Inner Loop Header: Depth=1
	v_mov_b32_e32 v6, s2
	global_load_ushort v7, v[2:3], off
	s_waitcnt vmcnt(0)
	;;#ASMSTART
	v_cvt_f32_f16 v7, v7;
	;;#ASMEND
	v_add_co_u32 v2, vcc_lo, 0xf0, v2
	ds_read_b32 v6, v6
	v_add_co_ci_u32_e64 v3, null, 0, v3, vcc_lo
	s_add_i32 s1, s1, -1
	s_add_i32 s2, s2, 4
	s_cmp_eq_u32 s1, 0
	s_waitcnt lgkmcnt(0)
	v_mul_f32_e32 v6, v7, v6
	v_fmac_f32_e32 v4, v5, v6
	s_cbranch_scc0 .LBB74_22
.LBB74_23:
	s_mul_i32 s2, s20, 0x78
	s_mul_i32 s4, s6, 0x78
	s_ashr_i32 s3, s2, 31
	s_waitcnt lgkmcnt(0)
	v_lshlrev_b64 v[1:2], 1, v[0:1]
	s_lshl_b64 s[2:3], s[2:3], 1
	;;#ASMSTART
	v_cvt_f16_f32 v3, v4;

	;;#ASMEND
	s_add_u32 s1, s10, s2
	s_addc_u32 s16, s11, s3
	s_ashr_i32 s5, s4, 31
	s_lshl_b64 s[2:3], s[4:5], 1
	s_add_u32 s1, s1, s2
	s_addc_u32 s2, s16, s3
	v_add_co_u32 v1, vcc_lo, s1, v1
	v_add_co_ci_u32_e64 v2, null, s2, v2, vcc_lo
	global_store_short v[1:2], v3, off
.LBB74_24:
	s_or_b32 exec_lo, exec_lo, s0
	s_mov_b32 s0, 0
.LBB74_25:
	s_and_b32 vcc_lo, exec_lo, s0
	s_cbranch_vccz .LBB74_34
; %bb.26:
	s_mov_b32 s0, exec_lo
	v_cmpx_gt_u32_e32 0x78, v0
	s_cbranch_execz .LBB74_34
; %bb.27:
	s_load_dword s0, s[14:15], 0xc
	s_mul_i32 s1, s13, s12
	s_mul_i32 s4, s6, 0x78
	;; [unrolled: 1-line block ×5, first 2 shown]
	v_cmp_gt_u32_e32 vcc_lo, 0x75, v0
	s_ashr_i32 s5, s4, 31
	s_ashr_i32 s13, s12, 31
	;; [unrolled: 1-line block ×4, first 2 shown]
	s_waitcnt lgkmcnt(0)
	s_and_b32 s1, s0, 0xffff
	s_cmp_eq_u32 s1, 1
	s_cselect_b32 s0, -1, 0
	s_and_b32 s15, vcc_lo, s0
	s_mov_b32 s0, -1
	s_and_saveexec_b32 s14, s15
	s_cbranch_execz .LBB74_31
; %bb.28:
	s_lshl_b64 s[16:17], s[6:7], 1
	s_lshl_b64 s[18:19], s[2:3], 1
	v_lshlrev_b32_e32 v1, 1, v0
	s_add_u32 s0, s16, s18
	s_addc_u32 s15, s17, s19
	s_add_u32 s0, s8, s0
	s_addc_u32 s15, s9, s15
	s_lshl_b64 s[16:17], s[12:13], 1
	s_lshl_b64 s[18:19], s[4:5], 1
	v_add_co_u32 v2, s0, s0, v1
	v_add_co_ci_u32_e64 v3, null, s15, 0, s0
	s_add_u32 s0, s16, s18
	v_sub_nc_u32_e32 v5, 0x78, v0
	s_addc_u32 s15, s17, s19
	s_add_u32 s0, s10, s0
	s_addc_u32 s15, s11, s15
	v_add_co_u32 v4, s0, s0, v1
	v_and_b32_e32 v6, 0x7c, v5
	v_add_co_ci_u32_e64 v7, null, s15, 0, s0
	v_add_co_u32 v1, vcc_lo, v2, 4
	v_add_co_ci_u32_e64 v2, null, 0, v3, vcc_lo
	v_add_co_u32 v3, vcc_lo, v4, 4
	v_add_co_ci_u32_e64 v4, null, 0, v7, vcc_lo
	v_mov_b32_e32 v7, v6
	s_mov_b32 s15, 0
	.p2align	6
.LBB74_29:                              ; =>This Inner Loop Header: Depth=1
	global_load_dwordx2 v[8:9], v[1:2], off offset:-4
	v_add_nc_u32_e32 v7, -4, v7
	v_add_co_u32 v1, vcc_lo, v1, 8
	v_add_co_ci_u32_e64 v2, null, 0, v2, vcc_lo
	v_cmp_eq_u32_e32 vcc_lo, 0, v7
	s_or_b32 s15, vcc_lo, s15
	s_waitcnt vmcnt(0)
	global_store_dwordx2 v[3:4], v[8:9], off offset:-4
	v_add_co_u32 v3, s0, v3, 8
	v_add_co_ci_u32_e64 v4, null, 0, v4, s0
	s_andn2_b32 exec_lo, exec_lo, s15
	s_cbranch_execnz .LBB74_29
; %bb.30:
	s_or_b32 exec_lo, exec_lo, s15
	v_cmp_ne_u32_e32 vcc_lo, v5, v6
	v_add_nc_u32_e32 v0, v0, v6
	s_orn2_b32 s0, vcc_lo, exec_lo
.LBB74_31:
	s_or_b32 exec_lo, exec_lo, s14
	s_and_b32 exec_lo, exec_lo, s0
	s_cbranch_execz .LBB74_34
; %bb.32:
	s_lshl_b64 s[12:13], s[12:13], 1
	v_lshlrev_b32_e32 v1, 1, v0
	s_add_u32 s0, s10, s12
	s_addc_u32 s10, s11, s13
	s_lshl_b64 s[4:5], s[4:5], 1
	v_mov_b32_e32 v2, 0
	s_add_u32 s4, s0, s4
	s_addc_u32 s5, s10, s5
	s_lshl_b64 s[6:7], s[6:7], 1
	s_add_u32 s0, s8, s6
	s_addc_u32 s6, s9, s7
	s_lshl_b64 s[2:3], s[2:3], 1
	s_add_u32 s2, s0, s2
	s_addc_u32 s3, s6, s3
	s_mov_b32 s6, 0
	s_lshl_b32 s7, s1, 1
	.p2align	6
.LBB74_33:                              ; =>This Inner Loop Header: Depth=1
	v_add_co_u32 v3, vcc_lo, s2, v1
	v_add_co_ci_u32_e64 v4, null, s3, v2, vcc_lo
	v_add_nc_u32_e32 v0, s1, v0
	global_load_ushort v5, v[3:4], off
	v_add_co_u32 v3, vcc_lo, s4, v1
	v_add_co_ci_u32_e64 v4, null, s5, v2, vcc_lo
	v_cmp_lt_u32_e32 vcc_lo, 0x77, v0
	v_add_co_u32 v1, s0, v1, s7
	v_add_co_ci_u32_e64 v2, null, 0, v2, s0
	s_or_b32 s6, vcc_lo, s6
	s_waitcnt vmcnt(0)
	global_store_short v[3:4], v5, off
	s_andn2_b32 exec_lo, exec_lo, s6
	s_cbranch_execnz .LBB74_33
.LBB74_34:
	s_endpgm
	.section	.rodata,"a",@progbits
	.p2align	6, 0x0
	.amdhsa_kernel _ZN4vllm32paged_attention_v2_reduce_kernelItLi120ELi128ELi512EEEvPT_PKfS4_PKS1_PKii
		.amdhsa_group_segment_fixed_size 32
		.amdhsa_private_segment_fixed_size 0
		.amdhsa_kernarg_size 304
		.amdhsa_user_sgpr_count 6
		.amdhsa_user_sgpr_private_segment_buffer 1
		.amdhsa_user_sgpr_dispatch_ptr 0
		.amdhsa_user_sgpr_queue_ptr 0
		.amdhsa_user_sgpr_kernarg_segment_ptr 1
		.amdhsa_user_sgpr_dispatch_id 0
		.amdhsa_user_sgpr_flat_scratch_init 0
		.amdhsa_user_sgpr_private_segment_size 0
		.amdhsa_wavefront_size32 1
		.amdhsa_uses_dynamic_stack 0
		.amdhsa_system_sgpr_private_segment_wavefront_offset 0
		.amdhsa_system_sgpr_workgroup_id_x 1
		.amdhsa_system_sgpr_workgroup_id_y 1
		.amdhsa_system_sgpr_workgroup_id_z 0
		.amdhsa_system_sgpr_workgroup_info 0
		.amdhsa_system_vgpr_workitem_id 0
		.amdhsa_next_free_vgpr 19
		.amdhsa_next_free_sgpr 30
		.amdhsa_reserve_vcc 1
		.amdhsa_reserve_flat_scratch 0
		.amdhsa_float_round_mode_32 0
		.amdhsa_float_round_mode_16_64 0
		.amdhsa_float_denorm_mode_32 3
		.amdhsa_float_denorm_mode_16_64 3
		.amdhsa_dx10_clamp 1
		.amdhsa_ieee_mode 1
		.amdhsa_fp16_overflow 0
		.amdhsa_workgroup_processor_mode 1
		.amdhsa_memory_ordered 1
		.amdhsa_forward_progress 1
		.amdhsa_shared_vgpr_count 0
		.amdhsa_exception_fp_ieee_invalid_op 0
		.amdhsa_exception_fp_denorm_src 0
		.amdhsa_exception_fp_ieee_div_zero 0
		.amdhsa_exception_fp_ieee_overflow 0
		.amdhsa_exception_fp_ieee_underflow 0
		.amdhsa_exception_fp_ieee_inexact 0
		.amdhsa_exception_int_div_zero 0
	.end_amdhsa_kernel
	.section	.text._ZN4vllm32paged_attention_v2_reduce_kernelItLi120ELi128ELi512EEEvPT_PKfS4_PKS1_PKii,"axG",@progbits,_ZN4vllm32paged_attention_v2_reduce_kernelItLi120ELi128ELi512EEEvPT_PKfS4_PKS1_PKii,comdat
.Lfunc_end74:
	.size	_ZN4vllm32paged_attention_v2_reduce_kernelItLi120ELi128ELi512EEEvPT_PKfS4_PKS1_PKii, .Lfunc_end74-_ZN4vllm32paged_attention_v2_reduce_kernelItLi120ELi128ELi512EEEvPT_PKfS4_PKS1_PKii
                                        ; -- End function
	.set _ZN4vllm32paged_attention_v2_reduce_kernelItLi120ELi128ELi512EEEvPT_PKfS4_PKS1_PKii.num_vgpr, 19
	.set _ZN4vllm32paged_attention_v2_reduce_kernelItLi120ELi128ELi512EEEvPT_PKfS4_PKS1_PKii.num_agpr, 0
	.set _ZN4vllm32paged_attention_v2_reduce_kernelItLi120ELi128ELi512EEEvPT_PKfS4_PKS1_PKii.numbered_sgpr, 30
	.set _ZN4vllm32paged_attention_v2_reduce_kernelItLi120ELi128ELi512EEEvPT_PKfS4_PKS1_PKii.num_named_barrier, 0
	.set _ZN4vllm32paged_attention_v2_reduce_kernelItLi120ELi128ELi512EEEvPT_PKfS4_PKS1_PKii.private_seg_size, 0
	.set _ZN4vllm32paged_attention_v2_reduce_kernelItLi120ELi128ELi512EEEvPT_PKfS4_PKS1_PKii.uses_vcc, 1
	.set _ZN4vllm32paged_attention_v2_reduce_kernelItLi120ELi128ELi512EEEvPT_PKfS4_PKS1_PKii.uses_flat_scratch, 0
	.set _ZN4vllm32paged_attention_v2_reduce_kernelItLi120ELi128ELi512EEEvPT_PKfS4_PKS1_PKii.has_dyn_sized_stack, 0
	.set _ZN4vllm32paged_attention_v2_reduce_kernelItLi120ELi128ELi512EEEvPT_PKfS4_PKS1_PKii.has_recursion, 0
	.set _ZN4vllm32paged_attention_v2_reduce_kernelItLi120ELi128ELi512EEEvPT_PKfS4_PKS1_PKii.has_indirect_call, 0
	.section	.AMDGPU.csdata,"",@progbits
; Kernel info:
; codeLenInByte = 2400
; TotalNumSgprs: 32
; NumVgprs: 19
; ScratchSize: 0
; MemoryBound: 0
; FloatMode: 240
; IeeeMode: 1
; LDSByteSize: 32 bytes/workgroup (compile time only)
; SGPRBlocks: 0
; VGPRBlocks: 2
; NumSGPRsForWavesPerEU: 32
; NumVGPRsForWavesPerEU: 19
; Occupancy: 16
; WaveLimiterHint : 0
; COMPUTE_PGM_RSRC2:SCRATCH_EN: 0
; COMPUTE_PGM_RSRC2:USER_SGPR: 6
; COMPUTE_PGM_RSRC2:TRAP_HANDLER: 0
; COMPUTE_PGM_RSRC2:TGID_X_EN: 1
; COMPUTE_PGM_RSRC2:TGID_Y_EN: 1
; COMPUTE_PGM_RSRC2:TGID_Z_EN: 0
; COMPUTE_PGM_RSRC2:TIDIG_COMP_CNT: 0
	.section	.text._ZN4vllm25paged_attention_v2_kernelIttLi128ELi8ELi128ELNS_18Fp8KVCacheDataTypeE0ELb1ELi512EEEvPfS2_PT_PKS3_PKT0_S9_ifPKiSB_iPKfiiiSD_SD_iiiii,"axG",@progbits,_ZN4vllm25paged_attention_v2_kernelIttLi128ELi8ELi128ELNS_18Fp8KVCacheDataTypeE0ELb1ELi512EEEvPfS2_PT_PKS3_PKT0_S9_ifPKiSB_iPKfiiiSD_SD_iiiii,comdat
	.protected	_ZN4vllm25paged_attention_v2_kernelIttLi128ELi8ELi128ELNS_18Fp8KVCacheDataTypeE0ELb1ELi512EEEvPfS2_PT_PKS3_PKT0_S9_ifPKiSB_iPKfiiiSD_SD_iiiii ; -- Begin function _ZN4vllm25paged_attention_v2_kernelIttLi128ELi8ELi128ELNS_18Fp8KVCacheDataTypeE0ELb1ELi512EEEvPfS2_PT_PKS3_PKT0_S9_ifPKiSB_iPKfiiiSD_SD_iiiii
	.globl	_ZN4vllm25paged_attention_v2_kernelIttLi128ELi8ELi128ELNS_18Fp8KVCacheDataTypeE0ELb1ELi512EEEvPfS2_PT_PKS3_PKT0_S9_ifPKiSB_iPKfiiiSD_SD_iiiii
	.p2align	8
	.type	_ZN4vllm25paged_attention_v2_kernelIttLi128ELi8ELi128ELNS_18Fp8KVCacheDataTypeE0ELb1ELi512EEEvPfS2_PT_PKS3_PKT0_S9_ifPKiSB_iPKfiiiSD_SD_iiiii,@function
_ZN4vllm25paged_attention_v2_kernelIttLi128ELi8ELi128ELNS_18Fp8KVCacheDataTypeE0ELb1ELi512EEEvPfS2_PT_PKS3_PKT0_S9_ifPKiSB_iPKfiiiSD_SD_iiiii: ; @_ZN4vllm25paged_attention_v2_kernelIttLi128ELi8ELi128ELNS_18Fp8KVCacheDataTypeE0ELb1ELi512EEEvPfS2_PT_PKS3_PKT0_S9_ifPKiSB_iPKfiiiSD_SD_iiiii
; %bb.0:
	s_load_dwordx2 s[0:1], s[4:5], 0x40
	s_mov_b32 s26, s7
	s_ashr_i32 s27, s7, 31
	s_lshl_b64 s[2:3], s[26:27], 2
	s_waitcnt lgkmcnt(0)
	s_add_u32 s0, s0, s2
	s_addc_u32 s1, s1, s3
	s_lshl_b32 s38, s8, 9
	s_load_dword s27, s[0:1], 0x0
	s_waitcnt lgkmcnt(0)
	s_cmp_ge_i32 s38, s27
	s_cbranch_scc1 .LBB75_62
; %bb.1:
	s_clause 0x1
	s_load_dword s9, s[4:5], 0x90
	s_load_dwordx2 s[36:37], s[4:5], 0x30
	s_mov_b32 s40, 0
	s_waitcnt lgkmcnt(0)
	s_abs_i32 s3, s9
	s_abs_i32 s0, s36
	v_cvt_f32_u32_e32 v1, s0
	s_sub_i32 s2, 0, s0
	v_rcp_iflag_f32_e32 v1, v1
	v_mul_f32_e32 v1, 0x4f7ffffe, v1
	v_cvt_u32_f32_e32 v1, v1
	v_readfirstlane_b32 s1, v1
	s_mul_i32 s2, s2, s1
	s_mul_hi_u32 s2, s1, s2
	s_add_i32 s1, s1, s2
	s_xor_b32 s2, s9, s36
	s_mul_hi_u32 s1, s3, s1
	s_ashr_i32 s2, s2, 31
	s_mul_i32 s7, s1, s0
	s_sub_i32 s3, s3, s7
	s_add_i32 s7, s1, 1
	s_sub_i32 s10, s3, s0
	s_cmp_ge_u32 s3, s0
	s_cselect_b32 s1, s7, s1
	s_cselect_b32 s3, s10, s3
	s_add_i32 s7, s1, 1
	s_cmp_ge_u32 s3, s0
	s_cselect_b32 s0, s7, s1
	s_xor_b32 s0, s0, s2
	s_sub_i32 s10, s0, s2
	s_load_dwordx2 s[0:1], s[4:5], 0x50
	s_abs_i32 s2, s10
	v_cvt_f32_u32_e32 v1, s2
	s_sub_i32 s3, 0, s2
	v_rcp_iflag_f32_e32 v1, v1
	v_mul_f32_e32 v1, 0x4f7ffffe, v1
	v_cvt_u32_f32_e32 v1, v1
	v_readfirstlane_b32 s7, v1
	s_mul_i32 s3, s3, s7
	s_mul_hi_u32 s11, s7, s3
	s_abs_i32 s3, s6
	s_add_i32 s7, s7, s11
	s_waitcnt lgkmcnt(0)
	s_cmp_eq_u64 s[0:1], 0
	s_mul_hi_u32 s20, s3, s7
	s_cbranch_scc1 .LBB75_3
; %bb.2:
	s_ashr_i32 s7, s6, 31
	s_lshl_b64 s[12:13], s[6:7], 2
	s_add_u32 s0, s0, s12
	s_addc_u32 s1, s1, s13
	s_load_dword s40, s[0:1], 0x0
.LBB75_3:
	s_load_dwordx4 s[12:15], s[4:5], 0x58
	v_and_b32_e32 v1, 3, v0
	v_cmp_gt_u32_e64 s0, 64, v0
	v_lshlrev_b32_e32 v2, 2, v0
	s_ashr_i32 s1, s6, 31
	s_ashr_i32 s7, s10, 31
	s_lshl_b32 s10, s6, 7
	s_waitcnt lgkmcnt(0)
	s_and_saveexec_b32 s15, s0
	s_cbranch_execz .LBB75_5
; %bb.4:
	s_load_dwordx2 s[16:17], s[4:5], 0x18
	s_mul_i32 s18, s12, s26
	v_and_b32_e32 v4, 0x3fc, v0
	s_ashr_i32 s19, s18, 31
	s_lshl_b64 s[18:19], s[18:19], 1
	v_lshl_add_u32 v4, v1, 6, v4
	s_waitcnt lgkmcnt(0)
	s_add_u32 s12, s16, s18
	s_addc_u32 s18, s17, s19
	s_ashr_i32 s11, s10, 31
	s_lshl_b64 s[16:17], s[10:11], 1
	s_add_u32 s16, s12, s16
	s_addc_u32 s17, s18, s17
	global_load_dword v3, v2, s[16:17]
	s_waitcnt vmcnt(0)
	ds_write_b32 v4, v3
.LBB75_5:
	s_or_b32 exec_lo, exec_lo, s15
	s_load_dwordx4 s[16:19], s[4:5], 0x78
	s_mul_i32 s11, s20, s2
	s_xor_b32 s1, s1, s7
	s_sub_i32 s3, s3, s11
	s_add_i32 s7, s20, 1
	s_sub_i32 s11, s3, s2
	s_cmp_ge_u32 s3, s2
                                        ; implicit-def: $sgpr33
	s_cselect_b32 s7, s7, s20
	s_cselect_b32 s3, s11, s3
	s_add_i32 s11, s7, 1
	s_cmp_ge_u32 s3, s2
	s_mov_b32 s20, -1
	s_cselect_b32 s2, s11, s7
	s_load_dword s7, s[4:5], 0x88
	s_xor_b32 s2, s2, s1
	s_add_i32 s15, s27, -1
	s_sub_i32 s2, s2, s1
	s_abs_i32 s3, s15
	s_waitcnt lgkmcnt(0)
	s_abs_i32 s11, s19
	s_barrier
	v_cvt_f32_u32_e32 v3, s11
	s_sub_i32 s1, 0, s11
	buffer_gl0_inv
	v_rcp_iflag_f32_e32 v3, v3
	v_mul_f32_e32 v3, 0x4f7ffffe, v3
	v_cvt_u32_f32_e32 v3, v3
	v_readfirstlane_b32 s12, v3
	s_mul_i32 s1, s1, s12
	s_mul_hi_u32 s1, s12, s1
	s_add_i32 s12, s12, s1
	s_cmp_lt_i32 s7, 0
	s_mul_hi_u32 s1, s3, s12
	s_cbranch_scc0 .LBB75_7
; %bb.6:
	s_mul_i32 s20, s16, s36
	s_add_i32 s20, s2, s20
	s_mul_i32 s20, s20, s7
	s_sub_i32 s33, 1, s20
	s_mov_b32 s20, 0
.LBB75_7:
	s_load_dwordx2 s[28:29], s[4:5], 0x38
	s_ashr_i32 s15, s15, 31
	s_andn2_b32 vcc_lo, exec_lo, s20
	s_ashr_i32 s19, s19, 31
	s_cbranch_vccnz .LBB75_9
; %bb.8:
	s_mul_i32 s16, s9, s16
	s_add_i32 s16, s16, s6
	s_mul_i32 s7, s16, s7
	s_add_i32 s33, s7, 1
.LBB75_9:
	s_clause 0x4
	s_load_dword s16, s[4:5], 0x48
	s_load_dwordx2 s[34:35], s[4:5], 0x28
	s_load_dword s7, s[4:5], 0x98
	s_load_dwordx4 s[20:23], s[4:5], 0x0
	s_load_dwordx2 s[24:25], s[4:5], 0x10
	s_mul_i32 s30, s1, s11
	s_xor_b32 s15, s15, s19
	s_sub_i32 s3, s3, s30
	s_add_i32 s36, s1, 1
	v_lshrrev_b32_e32 v10, 5, v0
	v_mov_b32_e32 v4, 0xff7fffff
	v_mbcnt_lo_u32_b32 v3, -1, 0
	s_mul_i32 s14, s2, s14
	v_lshl_add_u32 v11, v10, 3, s38
	s_waitcnt lgkmcnt(0)
	s_mul_i32 s30, s16, s26
	s_sub_i32 s16, s3, s11
	s_ashr_i32 s31, s30, 31
	s_cmp_ge_u32 s3, s11
	s_cselect_b32 s1, s36, s1
	s_cselect_b32 s3, s16, s3
	s_add_i32 s16, s1, 1
	s_cmp_ge_u32 s3, s11
	s_cselect_b32 s1, s16, s1
	s_add_i32 s3, s27, 7
	s_lshl_b32 s41, s8, 6
	s_ashr_i32 s16, s3, 31
	v_or_b32_e32 v5, s41, v10
	s_lshr_b32 s16, s16, 29
	s_add_i32 s3, s3, s16
	s_add_i32 s16, s41, 64
	s_ashr_i32 s36, s3, 3
	s_xor_b32 s3, s1, s15
	s_min_i32 s16, s16, s36
	v_ashrrev_i32_e32 v6, 31, v5
	v_cmp_gt_i32_e64 s1, s16, v5
	s_sub_i32 s39, s3, s15
	s_and_saveexec_b32 s42, s1
	s_cbranch_execz .LBB75_21
; %bb.10:
	s_load_dwordx2 s[2:3], s[4:5], 0x20
	s_ashr_i32 s15, s14, 31
	s_sub_i32 s5, s39, s17
	s_lshl_b64 s[44:45], s[14:15], 1
	v_bfe_u32 v7, v0, 2, 3
	v_cmp_eq_u32_e32 vcc_lo, 0, v1
	v_and_b32_e32 v17, 12, v2
	v_lshlrev_b32_e32 v8, 6, v1
	v_lshlrev_b64 v[1:2], 2, v[5:6]
	v_lshlrev_b32_e32 v15, 2, v7
	v_subrev_nc_u32_e32 v18, s27, v7
	v_lshlrev_b32_e32 v21, 4, v7
	v_lshl_add_u32 v9, v10, 3, s38
	v_mov_b32_e32 v12, 0xff7fffff
	v_lshl_or_b32 v19, v10, 5, v15
	v_add_nc_u32_e32 v15, 1, v18
	v_xor_b32_e32 v13, 2, v3
	v_xor_b32_e32 v14, 1, v3
	s_waitcnt lgkmcnt(0)
	s_add_u32 s4, s2, s44
	s_addc_u32 s3, s3, s45
	s_abs_i32 s15, s18
	s_lshl_b64 s[44:45], s[30:31], 2
	v_cvt_f32_u32_e32 v4, s15
	s_sub_i32 s43, 0, s15
	v_cmp_neq_f32_e64 s2, s40, 0
	v_rcp_iflag_f32_e32 v4, v4
	v_mul_f32_e32 v16, 0x4f7ffffe, v4
	v_mov_b32_e32 v4, 0xff7fffff
	v_cvt_u32_f32_e32 v20, v16
	v_add_nc_u32_e32 v16, 0x120, v19
	v_add_co_u32 v19, s4, s4, v21
	v_add_co_ci_u32_e64 v21, null, s3, 0, s4
	v_mul_lo_u32 v18, s43, v20
	s_add_u32 s3, s28, s44
	s_addc_u32 s4, s29, s45
	v_add_co_u32 v1, s3, s3, v1
	v_add_co_ci_u32_e64 v2, null, s4, v2, s3
	v_add_co_u32 v17, s3, v19, v17
	v_mul_hi_u32 v22, v20, v18
	v_add_co_ci_u32_e64 v18, null, 0, v21, s3
	s_mov_b32 s43, 0
	s_mov_b32 s44, s13
	v_add_nc_u32_e32 v19, v20, v22
	v_mov_b32_e32 v20, v5
	s_branch .LBB75_13
.LBB75_11:                              ;   in Loop: Header=BB75_13 Depth=1
	s_or_b32 exec_lo, exec_lo, s45
.LBB75_12:                              ;   in Loop: Header=BB75_13 Depth=1
	s_or_b32 exec_lo, exec_lo, s4
	v_add_nc_u32_e32 v20, 4, v20
	v_add_co_u32 v1, s4, v1, 16
	v_add_co_ci_u32_e64 v2, null, 0, v2, s4
	v_cmp_le_i32_e64 s3, s16, v20
	v_add_nc_u32_e32 v9, 32, v9
	v_add_nc_u32_e32 v16, 0x80, v16
	s_or_b32 s43, s3, s43
	s_andn2_b32 exec_lo, exec_lo, s43
	s_cbranch_execz .LBB75_20
.LBB75_13:                              ; =>This Inner Loop Header: Depth=1
	v_sub_nc_u32_e32 v21, 0, v9
	v_max_i32_e32 v21, v9, v21
	s_waitcnt lgkmcnt(0)
	v_mul_hi_u32 v22, v21, s12
	v_mul_lo_u32 v23, v22, s11
	v_sub_nc_u32_e32 v21, v21, v23
	v_add_nc_u32_e32 v23, 1, v22
	v_subrev_nc_u32_e32 v24, s11, v21
	v_cmp_le_u32_e64 s3, s11, v21
	v_cndmask_b32_e64 v22, v22, v23, s3
	v_cndmask_b32_e64 v21, v21, v24, s3
	v_ashrrev_i32_e32 v23, 31, v9
	v_add_nc_u32_e32 v24, 1, v22
	v_cmp_le_u32_e64 s3, s11, v21
	v_xor_b32_e32 v23, s19, v23
	v_cndmask_b32_e64 v21, v22, v24, s3
	v_xor_b32_e32 v21, v21, v23
	v_sub_nc_u32_e32 v21, v21, v23
	v_add_nc_u32_e32 v22, s33, v21
	v_cmp_ge_i32_e64 s4, s5, v21
	v_sub_nc_u32_e32 v23, 0, v22
	v_max_i32_e32 v23, v22, v23
	v_ashrrev_i32_e32 v22, 31, v22
	v_mul_hi_u32 v24, v23, v19
	v_mul_lo_u32 v24, v24, s15
	v_sub_nc_u32_e32 v23, v23, v24
	v_subrev_nc_u32_e32 v24, s15, v23
	v_cmp_le_u32_e64 s3, s15, v23
	v_cndmask_b32_e64 v23, v23, v24, s3
	v_subrev_nc_u32_e32 v24, s15, v23
	v_cmp_le_u32_e64 s3, s15, v23
	v_cndmask_b32_e64 v23, v23, v24, s3
	v_xor_b32_e32 v23, v23, v22
	v_sub_nc_u32_e32 v22, v23, v22
	v_cmp_ne_u32_e64 s3, 0, v22
	s_and_b32 s3, s3, s4
	s_and_saveexec_b32 s4, s3
	s_xor_b32 s3, exec_lo, s4
	s_cbranch_execz .LBB75_17
; %bb.14:                               ;   in Loop: Header=BB75_13 Depth=1
	s_and_saveexec_b32 s4, vcc_lo
; %bb.15:                               ;   in Loop: Header=BB75_13 Depth=1
	ds_write_b32 v16, v12
; %bb.16:                               ;   in Loop: Header=BB75_13 Depth=1
	s_or_b32 exec_lo, exec_lo, s4
.LBB75_17:                              ;   in Loop: Header=BB75_13 Depth=1
	s_andn2_saveexec_b32 s4, s3
	s_cbranch_execz .LBB75_12
; %bb.18:                               ;   in Loop: Header=BB75_13 Depth=1
	global_load_dword v21, v[1:2], off
	s_waitcnt vmcnt(0)
	v_mad_i64_i32 v[21:22], null, v21, s44, 0
	v_lshlrev_b64 v[21:22], 1, v[21:22]
	v_add_co_u32 v24, s3, v17, v21
	v_add_co_ci_u32_e64 v25, null, v18, v22, s3
	v_cmp_gt_i32_e64 s3, 32, v13
	s_clause 0xa
	global_load_dword v21, v[24:25], off
	global_load_dword v29, v[24:25], off offset:128
	global_load_dword v35, v[24:25], off offset:256
	;; [unrolled: 1-line block ×10, first 2 shown]
	ds_read_b32 v22, v8
	s_waitcnt lgkmcnt(0)
	v_lshrrev_b32_e32 v26, 16, v22
	v_and_b32_e32 v27, 0xffff, v22
	s_waitcnt vmcnt(10)
	v_and_b32_e32 v30, 0xffff, v21
	v_lshrrev_b32_e32 v32, 16, v21
	s_clause 0x4
	global_load_dword v31, v[24:25], off offset:1408
	global_load_dword v28, v[24:25], off offset:1536
	;; [unrolled: 1-line block ×5, first 2 shown]
	;;#ASMSTART
	v_cvt_f32_f16 v24, v27;
	;;#ASMEND
	;;#ASMSTART
	v_cvt_f32_f16 v25, v26;
	;;#ASMEND
	;;#ASMSTART
	v_cvt_f32_f16 v26, v30;
	;;#ASMEND
	;;#ASMSTART
	v_cvt_f32_f16 v27, v32;
	;;#ASMEND
	ds_read_b32 v30, v8 offset:4
	s_waitcnt vmcnt(14)
	v_and_b32_e32 v34, 0xffff, v29
	v_lshrrev_b32_e32 v36, 16, v29
	s_waitcnt vmcnt(13)
	v_and_b32_e32 v38, 0xffff, v35
	v_lshrrev_b32_e32 v41, 16, v35
	s_waitcnt vmcnt(12)
	v_and_b32_e32 v48, 0xffff, v40
	v_lshrrev_b32_e32 v49, 16, v40
	s_waitcnt vmcnt(11)
	v_and_b32_e32 v51, 0xffff, v42
	v_lshrrev_b32_e32 v52, 16, v42
	s_waitcnt vmcnt(10)
	v_and_b32_e32 v54, 0xffff, v43
	v_lshrrev_b32_e32 v55, 16, v43
	s_waitcnt vmcnt(9)
	v_and_b32_e32 v57, 0xffff, v44
	v_lshrrev_b32_e32 v58, 16, v44
	s_waitcnt vmcnt(8)
	v_and_b32_e32 v60, 0xffff, v45
	v_lshrrev_b32_e32 v61, 16, v45
	s_waitcnt vmcnt(7)
	v_and_b32_e32 v63, 0xffff, v46
	v_lshrrev_b32_e32 v64, 16, v46
	s_waitcnt vmcnt(6)
	v_and_b32_e32 v66, 0xffff, v39
	v_lshrrev_b32_e32 v67, 16, v39
	s_waitcnt vmcnt(5)
	v_and_b32_e32 v69, 0xffff, v33
	s_waitcnt lgkmcnt(0)
	v_and_b32_e32 v32, 0xffff, v30
	v_lshrrev_b32_e32 v30, 16, v30
	;;#ASMSTART
	v_cvt_f32_f16 v29, v32;
	;;#ASMEND
	;;#ASMSTART
	v_cvt_f32_f16 v30, v30;
	;;#ASMEND
	;; [unrolled: 3-line block ×4, first 2 shown]
	ds_read_b32 v36, v8 offset:8
	v_lshrrev_b32_e32 v70, 16, v33
	v_mul_f32_e32 v29, v29, v32
	v_mul_f32_e32 v30, v30, v34
	v_fmac_f32_e32 v29, v24, v26
	v_fmac_f32_e32 v30, v25, v27
	s_waitcnt lgkmcnt(0)
	v_and_b32_e32 v37, 0xffff, v36
	v_lshrrev_b32_e32 v36, 16, v36
	;;#ASMSTART
	v_cvt_f32_f16 v35, v37;
	;;#ASMEND
	;;#ASMSTART
	v_cvt_f32_f16 v36, v36;
	;;#ASMEND
	;;#ASMSTART
	v_cvt_f32_f16 v37, v38;
	;;#ASMEND
	;;#ASMSTART
	v_cvt_f32_f16 v38, v41;
	;;#ASMEND
	ds_read_b32 v41, v8 offset:12
	v_fmac_f32_e32 v29, v35, v37
	v_fmac_f32_e32 v30, v36, v38
	s_waitcnt lgkmcnt(0)
	v_and_b32_e32 v47, 0xffff, v41
	v_lshrrev_b32_e32 v41, 16, v41
	;;#ASMSTART
	v_cvt_f32_f16 v40, v47;
	;;#ASMEND
	;;#ASMSTART
	v_cvt_f32_f16 v41, v41;
	;;#ASMEND
	;;#ASMSTART
	v_cvt_f32_f16 v47, v48;
	;;#ASMEND
	;;#ASMSTART
	v_cvt_f32_f16 v48, v49;
	;;#ASMEND
	ds_read_b32 v49, v8 offset:16
	;; [unrolled: 18-line block ×9, first 2 shown]
	v_fmac_f32_e32 v29, v33, v68
	v_fmac_f32_e32 v30, v67, v69
	s_waitcnt lgkmcnt(0)
	v_and_b32_e32 v71, 0xffff, v70
	v_lshrrev_b32_e32 v70, 16, v70
	s_waitcnt vmcnt(4)
	v_and_b32_e32 v72, 0xffff, v31
	v_lshrrev_b32_e32 v73, 16, v31
	;;#ASMSTART
	v_cvt_f32_f16 v31, v71;
	;;#ASMEND
	;;#ASMSTART
	v_cvt_f32_f16 v70, v70;
	;;#ASMEND
	;; [unrolled: 3-line block ×4, first 2 shown]
	ds_read_b32 v73, v8 offset:48
	s_waitcnt vmcnt(3)
	v_and_b32_e32 v75, 0xffff, v28
	v_lshrrev_b32_e32 v76, 16, v28
	s_waitcnt vmcnt(2)
	v_lshrrev_b32_e32 v26, 16, v23
	v_and_b32_e32 v27, 0xffff, v23
	s_waitcnt vmcnt(1)
	v_lshrrev_b32_e32 v34, 16, v22
	v_and_b32_e32 v35, 0xffff, v22
	v_fmac_f32_e32 v29, v31, v71
	v_fmac_f32_e32 v30, v70, v72
	s_waitcnt vmcnt(0)
	v_lshrrev_b32_e32 v31, 16, v21
	s_waitcnt lgkmcnt(0)
	v_and_b32_e32 v74, 0xffff, v73
	v_lshrrev_b32_e32 v73, 16, v73
	;;#ASMSTART
	v_cvt_f32_f16 v28, v74;
	;;#ASMEND
	;;#ASMSTART
	v_cvt_f32_f16 v73, v73;
	;;#ASMEND
	;; [unrolled: 3-line block ×4, first 2 shown]
	ds_read_b32 v76, v8 offset:52
	v_fmac_f32_e32 v29, v28, v74
	v_fmac_f32_e32 v30, v73, v75
	v_cndmask_b32_e64 v28, v3, v13, s3
	v_cmp_gt_i32_e64 s3, 32, v14
	s_waitcnt lgkmcnt(0)
	v_and_b32_e32 v24, 0xffff, v76
	v_lshrrev_b32_e32 v25, 16, v76
	;;#ASMSTART
	v_cvt_f32_f16 v23, v24;
	;;#ASMEND
	;;#ASMSTART
	v_cvt_f32_f16 v24, v25;
	;;#ASMEND
	;;#ASMSTART
	v_cvt_f32_f16 v25, v27;
	;;#ASMEND
	;;#ASMSTART
	v_cvt_f32_f16 v26, v26;
	;;#ASMEND
	ds_read_b32 v27, v8 offset:56
	v_fmac_f32_e32 v29, v23, v25
	v_fmac_f32_e32 v30, v24, v26
	v_and_b32_e32 v25, 0xffff, v21
	s_waitcnt lgkmcnt(0)
	v_and_b32_e32 v32, 0xffff, v27
	v_lshrrev_b32_e32 v27, 16, v27
	;;#ASMSTART
	v_cvt_f32_f16 v22, v32;
	;;#ASMEND
	;;#ASMSTART
	v_cvt_f32_f16 v27, v27;
	;;#ASMEND
	;; [unrolled: 3-line block ×4, first 2 shown]
	ds_read_b32 v35, v8 offset:60
	v_fmac_f32_e32 v29, v22, v32
	v_fmac_f32_e32 v30, v27, v34
	s_waitcnt lgkmcnt(0)
	v_and_b32_e32 v23, 0xffff, v35
	v_lshrrev_b32_e32 v24, 16, v35
	;;#ASMSTART
	v_cvt_f32_f16 v21, v23;
	;;#ASMEND
	;;#ASMSTART
	v_cvt_f32_f16 v22, v24;
	;;#ASMEND
	;;#ASMSTART
	v_cvt_f32_f16 v23, v25;
	;;#ASMEND
	;;#ASMSTART
	v_cvt_f32_f16 v24, v31;
	;;#ASMEND
	v_fmac_f32_e32 v29, v21, v23
	v_fmac_f32_e32 v30, v22, v24
	v_lshlrev_b32_e32 v21, 2, v28
	v_cndmask_b32_e64 v23, v3, v14, s3
	v_add_f32_e32 v22, v29, v30
	ds_bpermute_b32 v21, v21, v22
	s_waitcnt lgkmcnt(0)
	v_add_f32_e32 v21, v22, v21
	v_lshlrev_b32_e32 v22, 2, v23
	ds_bpermute_b32 v22, v22, v21
	s_and_saveexec_b32 s45, vcc_lo
	s_cbranch_execz .LBB75_11
; %bb.19:                               ;   in Loop: Header=BB75_13 Depth=1
	v_add_nc_u32_e32 v23, v15, v9
	s_waitcnt lgkmcnt(0)
	v_add_f32_e32 v21, v21, v22
	v_cvt_f32_i32_e32 v23, v23
	v_mul_f32_e32 v23, s40, v23
	v_cndmask_b32_e64 v22, 0, v23, s2
	v_max_f32_e32 v23, v4, v4
	v_fmac_f32_e32 v22, s37, v21
	v_add_nc_u32_e32 v21, v7, v9
	v_max_f32_e32 v23, v23, v22
	v_cmp_gt_i32_e64 s3, s27, v21
	v_cndmask_b32_e64 v21, 0, v22, s3
	v_cndmask_b32_e64 v4, v4, v23, s3
	ds_write_b32 v16, v21
	s_branch .LBB75_11
.LBB75_20:
	s_or_b32 exec_lo, exec_lo, s43
.LBB75_21:
	s_or_b32 exec_lo, exec_lo, s42
	v_xor_b32_e32 v1, 16, v3
	v_xor_b32_e32 v7, 8, v3
	v_max_f32_e32 v8, v4, v4
	v_and_b32_e32 v12, 31, v0
	v_cmp_gt_i32_e32 vcc_lo, 32, v1
	v_cndmask_b32_e32 v1, v3, v1, vcc_lo
	v_cmp_gt_i32_e32 vcc_lo, 32, v7
	v_lshlrev_b32_e32 v2, 2, v1
	ds_bpermute_b32 v1, v2, v4
	v_cndmask_b32_e32 v4, v3, v7, vcc_lo
	v_lshlrev_b32_e32 v4, 2, v4
	s_waitcnt lgkmcnt(0)
	v_max_f32_e32 v1, v1, v1
	v_max_f32_e32 v1, v8, v1
	v_xor_b32_e32 v8, 4, v3
	ds_bpermute_b32 v7, v4, v1
	v_cmp_gt_i32_e32 vcc_lo, 32, v8
	v_cndmask_b32_e32 v8, v3, v8, vcc_lo
	v_cmp_eq_u32_e32 vcc_lo, 0, v12
	v_lshlrev_b32_e32 v9, 2, v8
	s_waitcnt lgkmcnt(0)
	v_max_f32_e32 v7, v7, v7
	v_max_f32_e32 v1, v1, v7
	v_lshlrev_b32_e32 v7, 2, v10
	ds_bpermute_b32 v8, v9, v1
	s_and_saveexec_b32 s2, vcc_lo
	s_cbranch_execz .LBB75_23
; %bb.22:
	s_waitcnt lgkmcnt(0)
	v_max_f32_e32 v8, v8, v8
	v_max_f32_e32 v1, v1, v1
	v_max_f32_e32 v1, v1, v8
	ds_write_b32 v7, v1 offset:256
.LBB75_23:
	s_or_b32 exec_lo, exec_lo, s2
	v_cmp_gt_u32_e64 s2, 4, v12
	v_mov_b32_e32 v1, 0xff7fffff
	s_waitcnt lgkmcnt(0)
	v_lshlrev_b32_e32 v8, 2, v12
	s_barrier
	buffer_gl0_inv
	s_and_saveexec_b32 s3, s2
; %bb.24:
	ds_read_b32 v1, v8 offset:256
; %bb.25:
	s_or_b32 exec_lo, exec_lo, s3
	v_xor_b32_e32 v13, 2, v3
	v_xor_b32_e32 v15, 1, v3
	v_cmp_gt_i32_e64 s3, 32, v13
	v_cndmask_b32_e64 v13, v3, v13, s3
	v_cmp_gt_i32_e64 s3, 32, v15
	v_lshlrev_b32_e32 v13, 2, v13
	v_cndmask_b32_e64 v3, v3, v15, s3
	s_sub_i32 s3, s16, s41
	s_lshl_b32 s3, s3, 3
	s_waitcnt lgkmcnt(0)
	ds_bpermute_b32 v14, v13, v1
	v_max_f32_e32 v1, v1, v1
	s_add_i32 s3, s3, s38
	s_min_i32 s3, s3, s27
	s_sub_i32 s5, s3, s38
	v_cmp_gt_i32_e64 s3, s5, v0
	s_waitcnt lgkmcnt(0)
	v_max_f32_e32 v15, v14, v14
	v_lshlrev_b32_e32 v14, 2, v3
	v_max_f32_e32 v1, v1, v15
	v_mov_b32_e32 v15, 0
	ds_bpermute_b32 v3, v14, v1
	s_waitcnt lgkmcnt(0)
	v_max_f32_e32 v3, v3, v3
	v_max_f32_e32 v1, v1, v3
	v_lshl_add_u32 v3, v0, 2, 0x120
	ds_bpermute_b32 v1, v15, v1
	s_and_saveexec_b32 s15, s3
	s_cbranch_execz .LBB75_29
; %bb.26:
	v_lshl_add_u32 v16, v0, 2, 0x120
	v_mov_b32_e32 v15, 0
	v_mov_b32_e32 v17, v0
	s_mov_b32 s37, 0
	.p2align	6
.LBB75_27:                              ; =>This Inner Loop Header: Depth=1
	ds_read_b32 v18, v16
	v_add_nc_u32_e32 v17, 0x80, v17
	v_cmp_le_i32_e64 s4, s5, v17
	s_or_b32 s37, s4, s37
	s_waitcnt lgkmcnt(0)
	v_sub_f32_e32 v18, v18, v1
	v_mul_f32_e32 v18, 0x3fb8aa3b, v18
	v_exp_f32_e32 v18, v18
	ds_write_b32 v16, v18
	v_add_f32_e32 v15, v15, v18
	v_add_nc_u32_e32 v16, 0x200, v16
	s_andn2_b32 exec_lo, exec_lo, s37
	s_cbranch_execnz .LBB75_27
; %bb.28:
	s_or_b32 exec_lo, exec_lo, s37
.LBB75_29:
	s_or_b32 exec_lo, exec_lo, s15
	ds_bpermute_b32 v2, v2, v15
	s_waitcnt lgkmcnt(0)
	v_add_f32_e32 v2, v15, v2
	ds_bpermute_b32 v4, v4, v2
	s_waitcnt lgkmcnt(0)
	v_add_f32_e32 v2, v2, v4
	;; [unrolled: 3-line block ×5, first 2 shown]
	s_and_saveexec_b32 s4, vcc_lo
; %bb.30:
	ds_write_b32 v7, v2 offset:272
; %bb.31:
	s_or_b32 exec_lo, exec_lo, s4
	s_waitcnt lgkmcnt(0)
	s_barrier
	buffer_gl0_inv
	s_and_saveexec_b32 s4, s2
; %bb.32:
	ds_read_b32 v2, v8 offset:272
; %bb.33:
	s_or_b32 exec_lo, exec_lo, s4
	s_waitcnt lgkmcnt(0)
	ds_bpermute_b32 v4, v13, v2
	s_waitcnt lgkmcnt(0)
	v_add_f32_e32 v2, v2, v4
	ds_bpermute_b32 v4, v14, v2
	s_waitcnt lgkmcnt(0)
	v_add_f32_e32 v2, v2, v4
	v_mov_b32_e32 v4, 0
	ds_bpermute_b32 v2, v4, v2
	s_and_saveexec_b32 s2, s3
	s_cbranch_execz .LBB75_36
; %bb.34:
	s_waitcnt lgkmcnt(0)
	v_add_f32_e32 v4, 0x358637bd, v2
	s_mov_b32 s3, 0
	v_div_scale_f32 v7, null, v4, v4, 1.0
	v_div_scale_f32 v13, vcc_lo, 1.0, v4, 1.0
	v_rcp_f32_e32 v8, v7
	v_fma_f32 v9, -v7, v8, 1.0
	v_fmac_f32_e32 v8, v9, v8
	v_mul_f32_e32 v9, v13, v8
	v_fma_f32 v14, -v7, v9, v13
	v_fmac_f32_e32 v9, v14, v8
	v_fma_f32 v7, -v7, v9, v13
	v_div_fmas_f32 v7, v7, v8, v9
	v_div_fixup_f32 v4, v7, v4, 1.0
	v_mov_b32_e32 v7, v0
.LBB75_35:                              ; =>This Inner Loop Header: Depth=1
	ds_read_b32 v8, v3
	v_add_nc_u32_e32 v7, 0x80, v7
	v_cmp_le_i32_e32 vcc_lo, s5, v7
	s_or_b32 s3, vcc_lo, s3
	s_waitcnt lgkmcnt(0)
	v_mul_f32_e32 v8, v4, v8
	ds_write_b32 v3, v8
	v_add_nc_u32_e32 v3, 0x200, v3
	s_andn2_b32 exec_lo, exec_lo, s3
	s_cbranch_execnz .LBB75_35
.LBB75_36:
	s_or_b32 exec_lo, exec_lo, s2
	s_mul_i32 s2, s7, s26
	s_waitcnt lgkmcnt(0)
	s_mul_i32 s4, s2, s9
	s_mov_b32 s2, exec_lo
	s_barrier
	buffer_gl0_inv
	v_cmpx_eq_u32_e32 0, v0
	s_cbranch_execz .LBB75_38
; %bb.37:
	s_ashr_i32 s5, s4, 31
	s_mul_i32 s42, s7, s6
	s_lshl_b64 s[40:41], s[4:5], 2
	v_mov_b32_e32 v3, 0
	s_add_u32 s3, s22, s40
	s_addc_u32 s5, s23, s41
	s_ashr_i32 s43, s42, 31
	s_lshl_b64 s[22:23], s[42:43], 2
	s_add_u32 s3, s3, s22
	s_addc_u32 s5, s5, s23
	s_ashr_i32 s9, s8, 31
	s_lshl_b64 s[42:43], s[8:9], 2
	s_add_u32 s44, s3, s42
	s_addc_u32 s45, s5, s43
	s_add_u32 s3, s20, s40
	s_addc_u32 s5, s21, s41
	;; [unrolled: 2-line block ×4, first 2 shown]
	global_store_dword v3, v1, s[44:45]
	global_store_dword v3, v2, s[20:21]
.LBB75_38:
	s_or_b32 exec_lo, exec_lo, s2
	v_mov_b32_e32 v16, 0
	v_mov_b32_e32 v15, 0
	;; [unrolled: 1-line block ×4, first 2 shown]
	s_and_saveexec_b32 s3, s1
	s_cbranch_execz .LBB75_52
; %bb.39:
	s_ashr_i32 s15, s14, 31
	s_sub_i32 s5, s39, s17
	s_lshl_b64 s[14:15], s[14:15], 1
	v_lshlrev_b32_e32 v4, 4, v12
	s_add_u32 s1, s34, s14
	s_addc_u32 s2, s35, s15
	s_abs_i32 s6, s18
	s_lshl_b64 s[14:15], s[30:31], 2
	v_cvt_f32_u32_e32 v1, s6
	s_sub_i32 s9, 0, s6
	v_add_co_u32 v19, s1, s1, v4
	s_add_i32 s36, s36, -1
	v_rcp_iflag_f32_e32 v1, v1
	v_add_co_ci_u32_e64 v20, null, s2, 0, s1
	s_add_u32 s1, s28, s14
	s_addc_u32 s2, s29, s15
	v_mov_b32_e32 v17, 0
	v_lshl_add_u32 v18, v10, 5, 0x120
	v_mov_b32_e32 v13, 0
	v_mov_b32_e32 v14, 0
	;; [unrolled: 1-line block ×3, first 2 shown]
	v_mul_f32_e32 v1, 0x4f7ffffe, v1
	v_mov_b32_e32 v16, 0
	v_cvt_u32_f32_e32 v3, v1
	v_lshlrev_b64 v[1:2], 2, v[5:6]
	v_mul_lo_u32 v7, s9, v3
	s_mov_b32 s9, 0
	v_add_co_u32 v6, vcc_lo, s1, v1
	v_mul_hi_u32 v8, v3, v7
	v_add_co_ci_u32_e64 v7, null, s2, v2, vcc_lo
	v_add_nc_u32_e32 v21, v3, v8
	s_branch .LBB75_42
.LBB75_40:                              ;   in Loop: Header=BB75_42 Depth=1
	s_or_b32 exec_lo, exec_lo, s2
	v_lshlrev_b32_e32 v22, 16, v39
	v_lshlrev_b32_e32 v9, 16, v9
	v_lshlrev_b32_e32 v8, 16, v8
	v_and_or_b32 v1, 0xffff, v1, v22
	v_and_or_b32 v2, 0xffff, v2, v9
	;; [unrolled: 1-line block ×3, first 2 shown]
	;;#ASMSTART
	v_pk_mul_f16 v1, v30, v1;

	;;#ASMEND
	;;#ASMSTART
	v_pk_mul_f16 v2, v29, v2;

	;;#ASMEND
	;; [unrolled: 4-line block ×4, first 2 shown]
	;;#ASMSTART
	v_pk_add_f16 v1, v1, v2;

	;;#ASMEND
	;;#ASMSTART
	v_pk_add_f16 v1, v1, v3;

	;;#ASMEND
	;; [unrolled: 4-line block ×3, first 2 shown]
	v_and_b32_e32 v4, 0xffff, v1
	v_lshrrev_b32_e32 v8, 16, v1
	;;#ASMSTART
	v_cvt_f32_f16 v4, v4;
	;;#ASMEND
	v_add_f32_e32 v1, v37, v38
	v_add_f32_e32 v2, v35, v36
	;; [unrolled: 1-line block ×3, first 2 shown]
	;;#ASMSTART
	v_cvt_f32_f16 v8, v8;
	;;#ASMEND
	v_add_f32_e32 v4, v4, v8
	v_add_f32_e32 v14, v14, v1
	;; [unrolled: 1-line block ×5, first 2 shown]
.LBB75_41:                              ;   in Loop: Header=BB75_42 Depth=1
	s_or_b32 exec_lo, exec_lo, s14
	v_add_nc_u32_e32 v5, 4, v5
	v_add_co_u32 v6, s1, v6, 16
	v_add_co_ci_u32_e64 v7, null, 0, v7, s1
	v_cmp_le_i32_e32 vcc_lo, s16, v5
	v_add_nc_u32_e32 v11, 32, v11
	v_add_nc_u32_e32 v18, 0x80, v18
	s_or_b32 s9, vcc_lo, s9
	s_andn2_b32 exec_lo, exec_lo, s9
	s_cbranch_execz .LBB75_51
.LBB75_42:                              ; =>This Inner Loop Header: Depth=1
	v_sub_nc_u32_e32 v1, 0, v11
	v_max_i32_e32 v1, v11, v1
	v_mul_hi_u32 v2, v1, s12
	v_mul_lo_u32 v3, v2, s11
	v_sub_nc_u32_e32 v1, v1, v3
	v_add_nc_u32_e32 v3, 1, v2
	v_subrev_nc_u32_e32 v4, s11, v1
	v_cmp_le_u32_e32 vcc_lo, s11, v1
	v_cndmask_b32_e32 v2, v2, v3, vcc_lo
	v_cndmask_b32_e32 v1, v1, v4, vcc_lo
	v_ashrrev_i32_e32 v3, 31, v11
	v_add_nc_u32_e32 v4, 1, v2
	v_cmp_le_u32_e32 vcc_lo, s11, v1
	v_xor_b32_e32 v3, s19, v3
	v_cndmask_b32_e32 v1, v2, v4, vcc_lo
	v_xor_b32_e32 v1, v1, v3
	v_sub_nc_u32_e32 v1, v1, v3
	v_add_nc_u32_e32 v2, s33, v1
	v_cmp_lt_i32_e64 s1, s5, v1
	v_sub_nc_u32_e32 v3, 0, v2
	v_max_i32_e32 v3, v2, v3
	v_ashrrev_i32_e32 v2, 31, v2
	v_mul_hi_u32 v4, v3, v21
	v_mul_lo_u32 v4, v4, s6
	v_sub_nc_u32_e32 v3, v3, v4
	v_subrev_nc_u32_e32 v4, s6, v3
	v_cmp_le_u32_e32 vcc_lo, s6, v3
	v_cndmask_b32_e32 v3, v3, v4, vcc_lo
	v_subrev_nc_u32_e32 v4, s6, v3
	v_cmp_le_u32_e32 vcc_lo, s6, v3
	v_cndmask_b32_e32 v3, v3, v4, vcc_lo
	v_xor_b32_e32 v3, v3, v2
	v_sub_nc_u32_e32 v2, v3, v2
	v_cmp_eq_u32_e32 vcc_lo, 0, v2
	s_or_b32 s1, vcc_lo, s1
	s_and_saveexec_b32 s14, s1
	s_cbranch_execz .LBB75_41
; %bb.43:                               ;   in Loop: Header=BB75_42 Depth=1
	global_load_dword v8, v[6:7], off
	ds_read2_b64 v[1:4], v18 offset1:1
	ds_read2_b64 v[22:25], v18 offset0:2 offset1:3
	v_cmp_eq_u32_e64 s1, s36, v5
	v_add_nc_u32_e32 v28, 1, v11
	v_add_nc_u32_e32 v26, 2, v11
	;; [unrolled: 1-line block ×3, first 2 shown]
	s_waitcnt lgkmcnt(1)
	;;#ASMSTART
	v_cvt_f16_f32 v30, v1;

	;;#ASMEND
	;;#ASMSTART
	v_cvt_f16_f32 v29, v2;

	;;#ASMEND
	;; [unrolled: 4-line block ×4, first 2 shown]
	s_waitcnt lgkmcnt(0)
	;;#ASMSTART
	v_cvt_f16_f32 v36, v22;

	;;#ASMEND
	;;#ASMSTART
	v_cvt_f16_f32 v32, v23;

	;;#ASMEND
	;; [unrolled: 4-line block ×4, first 2 shown]
	v_add_nc_u32_e32 v25, 3, v11
	v_add_nc_u32_e32 v23, 4, v11
	;; [unrolled: 1-line block ×4, first 2 shown]
	s_waitcnt vmcnt(0)
	v_mad_i64_i32 v[8:9], null, v8, s13, 0
	v_lshlrev_b64 v[8:9], 1, v[8:9]
	v_add_co_u32 v8, vcc_lo, v19, v8
	v_add_co_ci_u32_e64 v9, null, v20, v9, vcc_lo
	global_load_dwordx4 v[1:4], v[8:9], off
	s_waitcnt vmcnt(0)
	v_lshrrev_b32_e32 v39, 16, v1
	v_lshrrev_b32_e32 v38, 16, v2
	v_lshrrev_b32_e32 v37, 16, v3
	s_and_saveexec_b32 s15, s1
	s_cbranch_execz .LBB75_45
; %bb.44:                               ;   in Loop: Header=BB75_42 Depth=1
	v_cmp_gt_i32_e32 vcc_lo, s27, v11
	v_and_b32_e32 v40, 0xffff0000, v4
	v_cmp_gt_i32_e64 s2, s27, v26
	v_cndmask_b32_e32 v1, 0, v1, vcc_lo
	v_cmp_gt_i32_e32 vcc_lo, s27, v28
	v_cndmask_b32_e64 v2, 0, v2, s2
	v_cmp_gt_i32_e64 s2, s27, v25
	v_cndmask_b32_e32 v39, 0, v39, vcc_lo
	v_cmp_gt_i32_e32 vcc_lo, s27, v27
	v_cndmask_b32_e64 v38, 0, v38, s2
	v_cndmask_b32_sdwa v4, v17, v4, vcc_lo dst_sel:DWORD dst_unused:UNUSED_PAD src0_sel:DWORD src1_sel:WORD_0
	v_cmp_gt_i32_e32 vcc_lo, s27, v24
	v_cndmask_b32_e32 v40, 0, v40, vcc_lo
	v_cmp_gt_i32_e32 vcc_lo, s27, v23
	v_or_b32_e32 v4, v4, v40
	v_cndmask_b32_e32 v3, 0, v3, vcc_lo
	v_cmp_gt_i32_e32 vcc_lo, s27, v22
	v_cndmask_b32_e32 v37, 0, v37, vcc_lo
.LBB75_45:                              ;   in Loop: Header=BB75_42 Depth=1
	s_or_b32 exec_lo, exec_lo, s15
	v_and_b32_e32 v30, 0xffff, v30
	v_and_b32_e32 v35, 0xffff, v35
	v_lshlrev_b32_e32 v39, 16, v39
	v_lshlrev_b32_e32 v37, 16, v37
	v_and_b32_e32 v36, 0xffff, v36
	v_lshl_or_b32 v30, v29, 16, v30
	v_lshl_or_b32 v29, v33, 16, v35
	v_lshlrev_b32_e32 v35, 16, v38
	v_and_b32_e32 v34, 0xffff, v34
	v_and_or_b32 v1, 0xffff, v1, v39
	v_and_or_b32 v3, 0xffff, v3, v37
	;;#ASMSTART
	v_pk_mul_f16 v1, v30, v1;

	;;#ASMEND
	v_and_or_b32 v2, 0xffff, v2, v35
	v_lshl_or_b32 v33, v32, 16, v36
	v_lshl_or_b32 v34, v31, 16, v34
	;;#ASMSTART
	v_pk_mul_f16 v2, v29, v2;

	;;#ASMEND
	;;#ASMSTART
	v_pk_mul_f16 v3, v33, v3;

	;;#ASMEND
	;; [unrolled: 4-line block ×3, first 2 shown]
	;;#ASMSTART
	v_pk_add_f16 v1, v1, v2;

	;;#ASMEND
	;;#ASMSTART
	v_pk_add_f16 v1, v1, v3;

	;;#ASMEND
	;; [unrolled: 4-line block ×3, first 2 shown]
	v_and_b32_e32 v2, 0xffff, v1
	v_lshrrev_b32_e32 v1, 16, v1
	;;#ASMSTART
	v_cvt_f32_f16 v31, v2;
	;;#ASMEND
	;;#ASMSTART
	v_cvt_f32_f16 v32, v1;
	;;#ASMEND
	global_load_dwordx4 v[1:4], v[8:9], off offset:512
	s_waitcnt vmcnt(0)
	v_lshrrev_b32_e32 v37, 16, v1
	v_lshrrev_b32_e32 v36, 16, v2
	;; [unrolled: 1-line block ×3, first 2 shown]
	s_and_saveexec_b32 s15, s1
	s_cbranch_execz .LBB75_47
; %bb.46:                               ;   in Loop: Header=BB75_42 Depth=1
	v_cmp_gt_i32_e32 vcc_lo, s27, v11
	v_and_b32_e32 v38, 0xffff0000, v4
	v_cmp_gt_i32_e64 s2, s27, v26
	v_cndmask_b32_e32 v1, 0, v1, vcc_lo
	v_cmp_gt_i32_e32 vcc_lo, s27, v28
	v_cndmask_b32_e64 v2, 0, v2, s2
	v_cmp_gt_i32_e64 s2, s27, v25
	v_cndmask_b32_e32 v37, 0, v37, vcc_lo
	v_cmp_gt_i32_e32 vcc_lo, s27, v27
	v_cndmask_b32_e64 v36, 0, v36, s2
	v_cndmask_b32_sdwa v4, v17, v4, vcc_lo dst_sel:DWORD dst_unused:UNUSED_PAD src0_sel:DWORD src1_sel:WORD_0
	v_cmp_gt_i32_e32 vcc_lo, s27, v24
	v_cndmask_b32_e32 v38, 0, v38, vcc_lo
	v_cmp_gt_i32_e32 vcc_lo, s27, v23
	v_or_b32_e32 v4, v4, v38
	v_cndmask_b32_e32 v3, 0, v3, vcc_lo
	v_cmp_gt_i32_e32 vcc_lo, s27, v22
	v_cndmask_b32_e32 v35, 0, v35, vcc_lo
.LBB75_47:                              ;   in Loop: Header=BB75_42 Depth=1
	s_or_b32 exec_lo, exec_lo, s15
	v_lshlrev_b32_e32 v37, 16, v37
	v_lshlrev_b32_e32 v36, 16, v36
	;; [unrolled: 1-line block ×3, first 2 shown]
	v_and_or_b32 v1, 0xffff, v1, v37
	v_and_or_b32 v2, 0xffff, v2, v36
	v_and_or_b32 v3, 0xffff, v3, v35
	;;#ASMSTART
	v_pk_mul_f16 v1, v30, v1;

	;;#ASMEND
	;;#ASMSTART
	v_pk_mul_f16 v2, v29, v2;

	;;#ASMEND
	;; [unrolled: 4-line block ×4, first 2 shown]
	;;#ASMSTART
	v_pk_add_f16 v1, v1, v2;

	;;#ASMEND
	;;#ASMSTART
	v_pk_add_f16 v1, v1, v3;

	;;#ASMEND
	;; [unrolled: 4-line block ×3, first 2 shown]
	v_and_b32_e32 v2, 0xffff, v1
	v_lshrrev_b32_e32 v1, 16, v1
	;;#ASMSTART
	v_cvt_f32_f16 v35, v2;
	;;#ASMEND
	;;#ASMSTART
	v_cvt_f32_f16 v36, v1;
	;;#ASMEND
	global_load_dwordx4 v[1:4], v[8:9], off offset:1024
	s_waitcnt vmcnt(0)
	v_lshrrev_b32_e32 v39, 16, v1
	v_lshrrev_b32_e32 v38, 16, v2
	v_lshrrev_b32_e32 v37, 16, v3
	s_and_saveexec_b32 s15, s1
	s_cbranch_execz .LBB75_49
; %bb.48:                               ;   in Loop: Header=BB75_42 Depth=1
	v_cmp_gt_i32_e32 vcc_lo, s27, v11
	v_and_b32_e32 v40, 0xffff0000, v4
	v_cmp_gt_i32_e64 s2, s27, v26
	v_cndmask_b32_e32 v1, 0, v1, vcc_lo
	v_cmp_gt_i32_e32 vcc_lo, s27, v28
	v_cndmask_b32_e64 v2, 0, v2, s2
	v_cmp_gt_i32_e64 s2, s27, v25
	v_cndmask_b32_e32 v39, 0, v39, vcc_lo
	v_cmp_gt_i32_e32 vcc_lo, s27, v27
	v_cndmask_b32_e64 v38, 0, v38, s2
	v_cndmask_b32_sdwa v4, v17, v4, vcc_lo dst_sel:DWORD dst_unused:UNUSED_PAD src0_sel:DWORD src1_sel:WORD_0
	v_cmp_gt_i32_e32 vcc_lo, s27, v24
	v_cndmask_b32_e32 v40, 0, v40, vcc_lo
	v_cmp_gt_i32_e32 vcc_lo, s27, v23
	v_or_b32_e32 v4, v4, v40
	v_cndmask_b32_e32 v3, 0, v3, vcc_lo
	v_cmp_gt_i32_e32 vcc_lo, s27, v22
	v_cndmask_b32_e32 v37, 0, v37, vcc_lo
.LBB75_49:                              ;   in Loop: Header=BB75_42 Depth=1
	s_or_b32 exec_lo, exec_lo, s15
	v_lshlrev_b32_e32 v39, 16, v39
	v_lshlrev_b32_e32 v38, 16, v38
	;; [unrolled: 1-line block ×3, first 2 shown]
	v_and_or_b32 v1, 0xffff, v1, v39
	v_and_or_b32 v2, 0xffff, v2, v38
	;; [unrolled: 1-line block ×3, first 2 shown]
	;;#ASMSTART
	v_pk_mul_f16 v1, v30, v1;

	;;#ASMEND
	;;#ASMSTART
	v_pk_mul_f16 v2, v29, v2;

	;;#ASMEND
	;; [unrolled: 4-line block ×4, first 2 shown]
	;;#ASMSTART
	v_pk_add_f16 v1, v1, v2;

	;;#ASMEND
	;;#ASMSTART
	v_pk_add_f16 v1, v1, v3;

	;;#ASMEND
	;; [unrolled: 4-line block ×3, first 2 shown]
	v_and_b32_e32 v2, 0xffff, v1
	v_lshrrev_b32_e32 v1, 16, v1
	;;#ASMSTART
	v_cvt_f32_f16 v37, v2;
	;;#ASMEND
	;;#ASMSTART
	v_cvt_f32_f16 v38, v1;
	;;#ASMEND
	global_load_dwordx4 v[1:4], v[8:9], off offset:1536
	s_waitcnt vmcnt(0)
	v_lshrrev_b32_e32 v39, 16, v1
	v_lshrrev_b32_e32 v9, 16, v2
	;; [unrolled: 1-line block ×3, first 2 shown]
	s_and_saveexec_b32 s2, s1
	s_cbranch_execz .LBB75_40
; %bb.50:                               ;   in Loop: Header=BB75_42 Depth=1
	v_cmp_gt_i32_e32 vcc_lo, s27, v11
	v_cmp_gt_i32_e64 s1, s27, v26
	v_cndmask_b32_e32 v1, 0, v1, vcc_lo
	v_cmp_gt_i32_e32 vcc_lo, s27, v28
	v_cndmask_b32_e64 v2, 0, v2, s1
	v_cmp_gt_i32_e64 s1, s27, v25
	v_and_b32_e32 v25, 0xffff0000, v4
	v_cndmask_b32_e32 v39, 0, v39, vcc_lo
	v_cmp_gt_i32_e32 vcc_lo, s27, v27
	v_cndmask_b32_e64 v9, 0, v9, s1
	v_cndmask_b32_sdwa v4, v17, v4, vcc_lo dst_sel:DWORD dst_unused:UNUSED_PAD src0_sel:DWORD src1_sel:WORD_0
	v_cmp_gt_i32_e32 vcc_lo, s27, v24
	v_cndmask_b32_e32 v24, 0, v25, vcc_lo
	v_cmp_gt_i32_e32 vcc_lo, s27, v23
	v_or_b32_e32 v4, v4, v24
	v_cndmask_b32_e32 v3, 0, v3, vcc_lo
	v_cmp_gt_i32_e32 vcc_lo, s27, v22
	v_cndmask_b32_e32 v8, 0, v8, vcc_lo
	s_branch .LBB75_40
.LBB75_51:
	s_or_b32 exec_lo, exec_lo, s9
.LBB75_52:
	s_or_b32 exec_lo, exec_lo, s3
	v_lshl_add_u32 v2, v12, 2, 0x120
	v_and_b32_e32 v3, 0x3c0, v0
	s_mov_b32 s1, exec_lo
	s_waitcnt_vscnt null, 0x0
	s_barrier
	v_lshl_add_u32 v1, v10, 9, v2
	buffer_gl0_inv
	v_cmpx_eq_u32_e32 64, v3
	s_cbranch_execz .LBB75_54
; %bb.53:
	v_add_nc_u32_e32 v3, 0xfffffc00, v1
	v_add_nc_u32_e32 v4, 0xfffffc80, v1
	;; [unrolled: 1-line block ×4, first 2 shown]
	ds_write_b32 v3, v16
	ds_write_b32 v4, v15
	;; [unrolled: 1-line block ×4, first 2 shown]
.LBB75_54:
	s_or_b32 exec_lo, exec_lo, s1
	s_waitcnt lgkmcnt(0)
	s_barrier
	buffer_gl0_inv
	s_and_saveexec_b32 s1, s0
	s_cbranch_execz .LBB75_56
; %bb.55:
	ds_read2_b32 v[3:4], v1 offset1:32
	ds_read2_b32 v[5:6], v1 offset0:64 offset1:96
	s_waitcnt lgkmcnt(1)
	v_add_f32_e32 v16, v16, v3
	v_add_f32_e32 v15, v15, v4
	s_waitcnt lgkmcnt(0)
	v_add_f32_e32 v14, v14, v5
	v_add_f32_e32 v13, v13, v6
.LBB75_56:
	s_or_b32 exec_lo, exec_lo, s1
	v_and_b32_e32 v3, 0x3e0, v0
	s_mov_b32 s0, exec_lo
	s_barrier
	buffer_gl0_inv
	v_cmpx_eq_u32_e32 32, v3
	s_cbranch_execz .LBB75_58
; %bb.57:
	ds_write2_b32 v2, v16, v15 offset1:32
	ds_write2_b32 v2, v14, v13 offset0:64 offset1:96
.LBB75_58:
	s_or_b32 exec_lo, exec_lo, s0
	v_cmp_gt_u32_e32 vcc_lo, 32, v0
	s_waitcnt lgkmcnt(0)
	s_barrier
	buffer_gl0_inv
	s_and_saveexec_b32 s0, vcc_lo
	s_cbranch_execz .LBB75_60
; %bb.59:
	ds_read2_b32 v[2:3], v1 offset1:32
	ds_read2_b32 v[4:5], v1 offset0:64 offset1:96
	s_waitcnt lgkmcnt(1)
	v_add_f32_e32 v16, v16, v2
	v_add_f32_e32 v15, v15, v3
	s_waitcnt lgkmcnt(0)
	v_add_f32_e32 v14, v14, v4
	v_add_f32_e32 v13, v13, v5
.LBB75_60:
	s_or_b32 exec_lo, exec_lo, s0
	s_barrier
	buffer_gl0_inv
	s_and_saveexec_b32 s0, vcc_lo
	s_cbranch_execz .LBB75_62
; %bb.61:
	s_lshl_b32 s0, s4, 7
	s_mul_i32 s2, s7, s10
	s_ashr_i32 s1, s0, 31
	v_lshlrev_b32_e32 v0, 1, v0
	s_lshl_b64 s[0:1], s[0:1], 1
	;;#ASMSTART
	v_cvt_f16_f32 v1, v16;

	;;#ASMEND
	s_add_u32 s4, s24, s0
	s_addc_u32 s5, s25, s1
	s_ashr_i32 s3, s2, 31
	s_lshl_b64 s[0:1], s[2:3], 1
	s_add_u32 s2, s4, s0
	s_addc_u32 s3, s5, s1
	s_lshl_b32 s0, s8, 7
	s_ashr_i32 s1, s0, 31
	s_lshl_b64 s[0:1], s[0:1], 1
	s_add_u32 s0, s2, s0
	s_addc_u32 s1, s3, s1
	global_store_short v0, v1, s[0:1]
	;;#ASMSTART
	v_cvt_f16_f32 v1, v15;

	;;#ASMEND
	global_store_short v0, v1, s[0:1] offset:64
	;;#ASMSTART
	v_cvt_f16_f32 v1, v14;

	;;#ASMEND
	global_store_short v0, v1, s[0:1] offset:128
	;; [unrolled: 5-line block ×3, first 2 shown]
.LBB75_62:
	s_endpgm
	.section	.rodata,"a",@progbits
	.p2align	6, 0x0
	.amdhsa_kernel _ZN4vllm25paged_attention_v2_kernelIttLi128ELi8ELi128ELNS_18Fp8KVCacheDataTypeE0ELb1ELi512EEEvPfS2_PT_PKS3_PKT0_S9_ifPKiSB_iPKfiiiSD_SD_iiiii
		.amdhsa_group_segment_fixed_size 288
		.amdhsa_private_segment_fixed_size 0
		.amdhsa_kernarg_size 400
		.amdhsa_user_sgpr_count 6
		.amdhsa_user_sgpr_private_segment_buffer 1
		.amdhsa_user_sgpr_dispatch_ptr 0
		.amdhsa_user_sgpr_queue_ptr 0
		.amdhsa_user_sgpr_kernarg_segment_ptr 1
		.amdhsa_user_sgpr_dispatch_id 0
		.amdhsa_user_sgpr_flat_scratch_init 0
		.amdhsa_user_sgpr_private_segment_size 0
		.amdhsa_wavefront_size32 1
		.amdhsa_uses_dynamic_stack 0
		.amdhsa_system_sgpr_private_segment_wavefront_offset 0
		.amdhsa_system_sgpr_workgroup_id_x 1
		.amdhsa_system_sgpr_workgroup_id_y 1
		.amdhsa_system_sgpr_workgroup_id_z 1
		.amdhsa_system_sgpr_workgroup_info 0
		.amdhsa_system_vgpr_workitem_id 0
		.amdhsa_next_free_vgpr 77
		.amdhsa_next_free_sgpr 46
		.amdhsa_reserve_vcc 1
		.amdhsa_reserve_flat_scratch 0
		.amdhsa_float_round_mode_32 0
		.amdhsa_float_round_mode_16_64 0
		.amdhsa_float_denorm_mode_32 3
		.amdhsa_float_denorm_mode_16_64 3
		.amdhsa_dx10_clamp 1
		.amdhsa_ieee_mode 1
		.amdhsa_fp16_overflow 0
		.amdhsa_workgroup_processor_mode 1
		.amdhsa_memory_ordered 1
		.amdhsa_forward_progress 1
		.amdhsa_shared_vgpr_count 0
		.amdhsa_exception_fp_ieee_invalid_op 0
		.amdhsa_exception_fp_denorm_src 0
		.amdhsa_exception_fp_ieee_div_zero 0
		.amdhsa_exception_fp_ieee_overflow 0
		.amdhsa_exception_fp_ieee_underflow 0
		.amdhsa_exception_fp_ieee_inexact 0
		.amdhsa_exception_int_div_zero 0
	.end_amdhsa_kernel
	.section	.text._ZN4vllm25paged_attention_v2_kernelIttLi128ELi8ELi128ELNS_18Fp8KVCacheDataTypeE0ELb1ELi512EEEvPfS2_PT_PKS3_PKT0_S9_ifPKiSB_iPKfiiiSD_SD_iiiii,"axG",@progbits,_ZN4vllm25paged_attention_v2_kernelIttLi128ELi8ELi128ELNS_18Fp8KVCacheDataTypeE0ELb1ELi512EEEvPfS2_PT_PKS3_PKT0_S9_ifPKiSB_iPKfiiiSD_SD_iiiii,comdat
.Lfunc_end75:
	.size	_ZN4vllm25paged_attention_v2_kernelIttLi128ELi8ELi128ELNS_18Fp8KVCacheDataTypeE0ELb1ELi512EEEvPfS2_PT_PKS3_PKT0_S9_ifPKiSB_iPKfiiiSD_SD_iiiii, .Lfunc_end75-_ZN4vllm25paged_attention_v2_kernelIttLi128ELi8ELi128ELNS_18Fp8KVCacheDataTypeE0ELb1ELi512EEEvPfS2_PT_PKS3_PKT0_S9_ifPKiSB_iPKfiiiSD_SD_iiiii
                                        ; -- End function
	.set _ZN4vllm25paged_attention_v2_kernelIttLi128ELi8ELi128ELNS_18Fp8KVCacheDataTypeE0ELb1ELi512EEEvPfS2_PT_PKS3_PKT0_S9_ifPKiSB_iPKfiiiSD_SD_iiiii.num_vgpr, 77
	.set _ZN4vllm25paged_attention_v2_kernelIttLi128ELi8ELi128ELNS_18Fp8KVCacheDataTypeE0ELb1ELi512EEEvPfS2_PT_PKS3_PKT0_S9_ifPKiSB_iPKfiiiSD_SD_iiiii.num_agpr, 0
	.set _ZN4vllm25paged_attention_v2_kernelIttLi128ELi8ELi128ELNS_18Fp8KVCacheDataTypeE0ELb1ELi512EEEvPfS2_PT_PKS3_PKT0_S9_ifPKiSB_iPKfiiiSD_SD_iiiii.numbered_sgpr, 46
	.set _ZN4vllm25paged_attention_v2_kernelIttLi128ELi8ELi128ELNS_18Fp8KVCacheDataTypeE0ELb1ELi512EEEvPfS2_PT_PKS3_PKT0_S9_ifPKiSB_iPKfiiiSD_SD_iiiii.num_named_barrier, 0
	.set _ZN4vllm25paged_attention_v2_kernelIttLi128ELi8ELi128ELNS_18Fp8KVCacheDataTypeE0ELb1ELi512EEEvPfS2_PT_PKS3_PKT0_S9_ifPKiSB_iPKfiiiSD_SD_iiiii.private_seg_size, 0
	.set _ZN4vllm25paged_attention_v2_kernelIttLi128ELi8ELi128ELNS_18Fp8KVCacheDataTypeE0ELb1ELi512EEEvPfS2_PT_PKS3_PKT0_S9_ifPKiSB_iPKfiiiSD_SD_iiiii.uses_vcc, 1
	.set _ZN4vllm25paged_attention_v2_kernelIttLi128ELi8ELi128ELNS_18Fp8KVCacheDataTypeE0ELb1ELi512EEEvPfS2_PT_PKS3_PKT0_S9_ifPKiSB_iPKfiiiSD_SD_iiiii.uses_flat_scratch, 0
	.set _ZN4vllm25paged_attention_v2_kernelIttLi128ELi8ELi128ELNS_18Fp8KVCacheDataTypeE0ELb1ELi512EEEvPfS2_PT_PKS3_PKT0_S9_ifPKiSB_iPKfiiiSD_SD_iiiii.has_dyn_sized_stack, 0
	.set _ZN4vllm25paged_attention_v2_kernelIttLi128ELi8ELi128ELNS_18Fp8KVCacheDataTypeE0ELb1ELi512EEEvPfS2_PT_PKS3_PKT0_S9_ifPKiSB_iPKfiiiSD_SD_iiiii.has_recursion, 0
	.set _ZN4vllm25paged_attention_v2_kernelIttLi128ELi8ELi128ELNS_18Fp8KVCacheDataTypeE0ELb1ELi512EEEvPfS2_PT_PKS3_PKT0_S9_ifPKiSB_iPKfiiiSD_SD_iiiii.has_indirect_call, 0
	.section	.AMDGPU.csdata,"",@progbits
; Kernel info:
; codeLenInByte = 7504
; TotalNumSgprs: 48
; NumVgprs: 77
; ScratchSize: 0
; MemoryBound: 0
; FloatMode: 240
; IeeeMode: 1
; LDSByteSize: 288 bytes/workgroup (compile time only)
; SGPRBlocks: 0
; VGPRBlocks: 9
; NumSGPRsForWavesPerEU: 48
; NumVGPRsForWavesPerEU: 77
; Occupancy: 12
; WaveLimiterHint : 1
; COMPUTE_PGM_RSRC2:SCRATCH_EN: 0
; COMPUTE_PGM_RSRC2:USER_SGPR: 6
; COMPUTE_PGM_RSRC2:TRAP_HANDLER: 0
; COMPUTE_PGM_RSRC2:TGID_X_EN: 1
; COMPUTE_PGM_RSRC2:TGID_Y_EN: 1
; COMPUTE_PGM_RSRC2:TGID_Z_EN: 1
; COMPUTE_PGM_RSRC2:TIDIG_COMP_CNT: 0
	.section	.text._ZN4vllm32paged_attention_v2_reduce_kernelItLi128ELi128ELi512EEEvPT_PKfS4_PKS1_PKii,"axG",@progbits,_ZN4vllm32paged_attention_v2_reduce_kernelItLi128ELi128ELi512EEEvPT_PKfS4_PKS1_PKii,comdat
	.protected	_ZN4vllm32paged_attention_v2_reduce_kernelItLi128ELi128ELi512EEEvPT_PKfS4_PKS1_PKii ; -- Begin function _ZN4vllm32paged_attention_v2_reduce_kernelItLi128ELi128ELi512EEEvPT_PKfS4_PKS1_PKii
	.globl	_ZN4vllm32paged_attention_v2_reduce_kernelItLi128ELi128ELi512EEEvPT_PKfS4_PKS1_PKii
	.p2align	8
	.type	_ZN4vllm32paged_attention_v2_reduce_kernelItLi128ELi128ELi512EEEvPT_PKfS4_PKS1_PKii,@function
_ZN4vllm32paged_attention_v2_reduce_kernelItLi128ELi128ELi512EEEvPT_PKfS4_PKS1_PKii: ; @_ZN4vllm32paged_attention_v2_reduce_kernelItLi128ELi128ELi512EEEvPT_PKfS4_PKS1_PKii
; %bb.0:
	s_load_dwordx4 s[8:11], s[4:5], 0x18
	s_add_u32 s14, s4, 48
	s_mov_b32 s12, s7
	s_addc_u32 s15, s5, 0
	s_ashr_i32 s13, s7, 31
	s_lshl_b64 s[0:1], s[12:13], 2
	s_waitcnt lgkmcnt(0)
	s_add_u32 s0, s10, s0
	s_addc_u32 s1, s11, s1
	s_load_dword s22, s[0:1], 0x0
	s_clause 0x2
	s_load_dwordx2 s[10:11], s[4:5], 0x0
	s_load_dword s7, s[4:5], 0x28
	s_load_dword s13, s[4:5], 0x30
	s_waitcnt lgkmcnt(0)
	s_add_i32 s0, s22, -1
	s_cmpk_gt_u32 s0, 0x1ff
	s_mov_b32 s0, -1
	s_cbranch_scc0 .LBB76_25
; %bb.1:
	s_load_dwordx2 s[2:3], s[4:5], 0x8
	s_add_i32 s0, s22, 0x1ff
	s_mul_i32 s20, s13, s12
	s_ashr_i32 s1, s0, 31
	v_mov_b32_e32 v4, 0xff7fffff
	s_lshr_b32 s1, s1, 23
	v_lshlrev_b32_e32 v3, 2, v0
	s_add_i32 s0, s0, s1
	s_mul_i32 s16, s20, s7
	s_ashr_i32 s21, s0, 9
	s_mul_i32 s18, s7, s6
	v_cmp_gt_i32_e32 vcc_lo, s21, v0
	s_ashr_i32 s17, s16, 31
	s_ashr_i32 s19, s18, 31
	s_and_saveexec_b32 s1, vcc_lo
	s_cbranch_execz .LBB76_5
; %bb.2:
	s_load_dword s0, s[14:15], 0xc
	s_load_dwordx2 s[24:25], s[4:5], 0x10
	s_lshl_b64 s[26:27], s[16:17], 2
	s_lshl_b64 s[28:29], s[18:19], 2
	v_add_nc_u32_e32 v5, 32, v3
	v_mov_b32_e32 v4, 0xff7fffff
	v_mov_b32_e32 v6, v0
	s_waitcnt lgkmcnt(0)
	s_and_b32 s4, s0, 0xffff
	s_add_u32 s0, s26, s28
	s_addc_u32 s5, s27, s29
	s_add_u32 s0, s24, s0
	s_addc_u32 s5, s25, s5
	v_add_co_u32 v1, s0, s0, v3
	v_add_co_ci_u32_e64 v2, null, s5, 0, s0
	s_mov_b32 s5, 0
	s_lshl_b32 s23, s4, 2
	.p2align	6
.LBB76_3:                               ; =>This Inner Loop Header: Depth=1
	global_load_dword v7, v[1:2], off
	v_add_nc_u32_e32 v6, s4, v6
	v_max_f32_e32 v4, v4, v4
	v_add_co_u32 v1, s0, v1, s23
	v_add_co_ci_u32_e64 v2, null, 0, v2, s0
	v_cmp_le_i32_e64 s0, s21, v6
	s_or_b32 s5, s0, s5
	s_waitcnt vmcnt(0)
	v_max_f32_e32 v8, v7, v7
	ds_write_b32 v5, v7
	v_add_nc_u32_e32 v5, s23, v5
	v_max_f32_e32 v4, v4, v8
	s_andn2_b32 exec_lo, exec_lo, s5
	s_cbranch_execnz .LBB76_3
; %bb.4:
	s_or_b32 exec_lo, exec_lo, s5
.LBB76_5:
	s_or_b32 exec_lo, exec_lo, s1
	v_mbcnt_lo_u32_b32 v1, -1, 0
	s_waitcnt lgkmcnt(0)
	s_barrier
	buffer_gl0_inv
	v_xor_b32_e32 v2, 16, v1
	v_xor_b32_e32 v5, 8, v1
	v_cmp_gt_i32_e64 s0, 32, v2
	v_cndmask_b32_e64 v2, v1, v2, s0
	v_cmp_gt_i32_e64 s0, 32, v5
	v_lshlrev_b32_e32 v6, 2, v2
	v_cndmask_b32_e64 v5, v1, v5, s0
	ds_bpermute_b32 v2, v6, v4
	v_max_f32_e32 v4, v4, v4
	v_lshlrev_b32_e32 v7, 2, v5
	v_xor_b32_e32 v5, 4, v1
	v_cmp_gt_i32_e64 s0, 32, v5
	v_cndmask_b32_e64 v5, v1, v5, s0
	v_lshlrev_b32_e32 v8, 2, v5
	v_xor_b32_e32 v5, 2, v1
	s_waitcnt lgkmcnt(0)
	v_max_f32_e32 v2, v2, v2
	v_cmp_gt_i32_e64 s0, 32, v5
	v_max_f32_e32 v2, v4, v2
	v_cndmask_b32_e64 v5, v1, v5, s0
	ds_bpermute_b32 v4, v7, v2
	s_waitcnt lgkmcnt(0)
	v_max_f32_e32 v4, v4, v4
	v_max_f32_e32 v2, v2, v4
	ds_bpermute_b32 v4, v8, v2
	s_waitcnt lgkmcnt(0)
	v_max_f32_e32 v9, v4, v4
	v_lshlrev_b32_e32 v4, 2, v5
	v_max_f32_e32 v2, v2, v9
	v_xor_b32_e32 v9, 1, v1
	ds_bpermute_b32 v5, v4, v2
	v_cmp_gt_i32_e64 s0, 32, v9
	v_cndmask_b32_e64 v1, v1, v9, s0
	v_lshrrev_b32_e32 v9, 5, v0
	v_lshlrev_b32_e32 v9, 2, v9
	s_waitcnt lgkmcnt(0)
	v_max_f32_e32 v5, v5, v5
	v_max_f32_e32 v2, v2, v5
	v_lshlrev_b32_e32 v5, 2, v1
	v_and_b32_e32 v1, 31, v0
	ds_bpermute_b32 v10, v5, v2
	v_cmp_eq_u32_e64 s0, 0, v1
	s_and_saveexec_b32 s1, s0
	s_cbranch_execz .LBB76_7
; %bb.6:
	s_waitcnt lgkmcnt(0)
	v_max_f32_e32 v10, v10, v10
	v_max_f32_e32 v2, v2, v2
	v_max_f32_e32 v2, v2, v10
	ds_write_b32 v9, v2
.LBB76_7:
	s_or_b32 exec_lo, exec_lo, s1
	v_cmp_gt_u32_e64 s1, 4, v1
	v_mov_b32_e32 v2, 0xff7fffff
	s_waitcnt lgkmcnt(0)
	v_lshlrev_b32_e32 v10, 2, v1
	s_barrier
	buffer_gl0_inv
	s_and_saveexec_b32 s4, s1
; %bb.8:
	ds_read_b32 v2, v10
; %bb.9:
	s_or_b32 exec_lo, exec_lo, s4
	s_waitcnt lgkmcnt(0)
	ds_bpermute_b32 v1, v4, v2
	v_max_f32_e32 v2, v2, v2
	v_mov_b32_e32 v11, 0
	s_lshl_b32 s4, s21, 2
	s_waitcnt lgkmcnt(0)
	v_max_f32_e32 v1, v1, v1
	v_max_f32_e32 v1, v2, v1
	ds_bpermute_b32 v2, v5, v1
	s_waitcnt lgkmcnt(0)
	v_max_f32_e32 v2, v2, v2
	v_max_f32_e32 v1, v1, v2
	ds_bpermute_b32 v12, v11, v1
	s_and_saveexec_b32 s5, vcc_lo
	s_cbranch_execz .LBB76_13
; %bb.10:
	s_load_dword s23, s[14:15], 0xc
	s_lshl_b64 s[24:25], s[16:17], 2
	s_lshl_b64 s[26:27], s[18:19], 2
	v_mov_b32_e32 v11, 0
	v_add_nc_u32_e32 v13, 32, v3
	s_waitcnt lgkmcnt(0)
	s_and_b32 s17, s23, 0xffff
	s_add_u32 s19, s24, s26
	s_addc_u32 s23, s25, s27
	s_add_u32 s2, s2, s19
	s_addc_u32 s3, s3, s23
	v_add_co_u32 v1, s2, s2, v3
	v_add_co_ci_u32_e64 v2, null, s3, 0, s2
	v_mov_b32_e32 v3, v0
	s_mov_b32 s3, 0
	s_lshl_b32 s19, s17, 2
	s_inst_prefetch 0x1
	.p2align	6
.LBB76_11:                              ; =>This Inner Loop Header: Depth=1
	global_load_dword v14, v[1:2], off
	ds_read_b32 v15, v13
	v_add_nc_u32_e32 v3, s17, v3
	s_waitcnt lgkmcnt(0)
	v_sub_f32_e32 v15, v15, v12
	v_mul_f32_e32 v16, 0x3fb8aa3b, v15
	v_cmp_ngt_f32_e32 vcc_lo, 0xc2ce8ed0, v15
	v_cmp_nlt_f32_e64 s2, 0x42b17218, v15
	v_fma_f32 v17, 0x3fb8aa3b, v15, -v16
	v_rndne_f32_e32 v18, v16
	v_fmac_f32_e32 v17, 0x32a5705f, v15
	v_sub_f32_e32 v16, v16, v18
	v_add_f32_e32 v16, v16, v17
	v_cvt_i32_f32_e32 v17, v18
	v_exp_f32_e32 v16, v16
	v_ldexp_f32 v16, v16, v17
	v_add_nc_u32_e32 v17, s4, v13
	v_add_nc_u32_e32 v13, s19, v13
	v_cndmask_b32_e32 v16, 0, v16, vcc_lo
	v_add_co_u32 v1, vcc_lo, v1, s19
	v_add_co_ci_u32_e64 v2, null, 0, v2, vcc_lo
	v_cndmask_b32_e64 v15, 0x7f800000, v16, s2
	v_cmp_le_i32_e32 vcc_lo, s21, v3
	s_or_b32 s3, vcc_lo, s3
	s_waitcnt vmcnt(0)
	v_mul_f32_e32 v16, v14, v15
	v_fmac_f32_e32 v11, v14, v15
	ds_write_b32 v17, v16
	s_andn2_b32 exec_lo, exec_lo, s3
	s_cbranch_execnz .LBB76_11
; %bb.12:
	s_inst_prefetch 0x2
	s_or_b32 exec_lo, exec_lo, s3
.LBB76_13:
	s_or_b32 exec_lo, exec_lo, s5
	ds_bpermute_b32 v1, v6, v11
	s_waitcnt lgkmcnt(0)
	s_barrier
	buffer_gl0_inv
	v_add_f32_e32 v1, v11, v1
	ds_bpermute_b32 v2, v7, v1
	s_waitcnt lgkmcnt(0)
	v_add_f32_e32 v1, v1, v2
	ds_bpermute_b32 v2, v8, v1
	s_waitcnt lgkmcnt(0)
	;; [unrolled: 3-line block ×4, first 2 shown]
	v_add_f32_e32 v1, v1, v2
	s_and_saveexec_b32 s2, s0
; %bb.14:
	ds_write_b32 v9, v1 offset:16
; %bb.15:
	s_or_b32 exec_lo, exec_lo, s2
	s_waitcnt lgkmcnt(0)
	s_barrier
	buffer_gl0_inv
	s_and_saveexec_b32 s0, s1
; %bb.16:
	ds_read_b32 v1, v10 offset:16
; %bb.17:
	s_or_b32 exec_lo, exec_lo, s0
	s_waitcnt lgkmcnt(0)
	ds_bpermute_b32 v2, v4, v1
	s_mov_b32 s0, exec_lo
	s_waitcnt lgkmcnt(0)
	v_add_f32_e32 v1, v1, v2
	ds_bpermute_b32 v2, v5, v1
	s_waitcnt lgkmcnt(0)
	v_add_f32_e32 v1, v1, v2
	v_mov_b32_e32 v2, 0
	ds_bpermute_b32 v2, v2, v1
	v_cmpx_gt_u32_e32 0x80, v0
	s_cbranch_execz .LBB76_24
; %bb.18:
	s_cmp_gt_i32 s22, 0
	s_mov_b32 s1, 0
	s_cbranch_scc1 .LBB76_20
; %bb.19:
	v_mov_b32_e32 v1, 0
	v_mov_b32_e32 v4, 0
	s_andn2_b32 vcc_lo, exec_lo, s1
	s_cbranch_vccz .LBB76_21
	s_branch .LBB76_23
.LBB76_20:
	v_mov_b32_e32 v4, 0
.LBB76_21:
	s_waitcnt lgkmcnt(0)
	v_add_f32_e32 v4, 0x358637bd, v2
	s_lshl_b32 s16, s16, 7
	s_lshl_b32 s18, s18, 7
	s_ashr_i32 s17, s16, 31
	s_ashr_i32 s19, s18, 31
	v_div_scale_f32 v2, null, v4, v4, 1.0
	v_div_scale_f32 v5, vcc_lo, 1.0, v4, 1.0
	s_add_i32 s2, s4, 32
	v_rcp_f32_e32 v3, v2
	s_lshl_b64 s[4:5], s[16:17], 1
	s_lshl_b64 s[16:17], s[18:19], 1
	s_max_i32 s1, s21, 1
	s_add_u32 s3, s4, s16
	s_addc_u32 s4, s5, s17
	s_add_u32 s3, s8, s3
	s_addc_u32 s4, s9, s4
	v_fma_f32 v1, -v2, v3, 1.0
	v_fmac_f32_e32 v3, v1, v3
	v_mov_b32_e32 v1, 0
	v_mul_f32_e32 v6, v5, v3
	v_fma_f32 v7, -v2, v6, v5
	v_fmac_f32_e32 v6, v7, v3
	v_lshlrev_b32_e32 v7, 1, v0
	v_fma_f32 v2, -v2, v6, v5
	v_div_fmas_f32 v5, v2, v3, v6
	v_add_co_u32 v2, s3, s3, v7
	v_add_co_ci_u32_e64 v3, null, s4, 0, s3
	v_div_fixup_f32 v5, v5, v4, 1.0
	v_mov_b32_e32 v4, v1
	.p2align	6
.LBB76_22:                              ; =>This Inner Loop Header: Depth=1
	v_mov_b32_e32 v6, s2
	global_load_ushort v7, v[2:3], off
	s_waitcnt vmcnt(0)
	;;#ASMSTART
	v_cvt_f32_f16 v7, v7;
	;;#ASMEND
	v_add_co_u32 v2, vcc_lo, 0x100, v2
	ds_read_b32 v6, v6
	v_add_co_ci_u32_e64 v3, null, 0, v3, vcc_lo
	s_add_i32 s1, s1, -1
	s_add_i32 s2, s2, 4
	s_cmp_eq_u32 s1, 0
	s_waitcnt lgkmcnt(0)
	v_mul_f32_e32 v6, v7, v6
	v_fmac_f32_e32 v4, v5, v6
	s_cbranch_scc0 .LBB76_22
.LBB76_23:
	s_lshl_b32 s2, s20, 7
	s_waitcnt lgkmcnt(0)
	v_lshlrev_b64 v[1:2], 1, v[0:1]
	s_ashr_i32 s3, s2, 31
	;;#ASMSTART
	v_cvt_f16_f32 v3, v4;

	;;#ASMEND
	s_lshl_b64 s[2:3], s[2:3], 1
	s_add_u32 s1, s10, s2
	s_addc_u32 s4, s11, s3
	s_lshl_b32 s2, s6, 7
	s_ashr_i32 s3, s2, 31
	s_lshl_b64 s[2:3], s[2:3], 1
	s_add_u32 s1, s1, s2
	s_addc_u32 s2, s4, s3
	v_add_co_u32 v1, vcc_lo, s1, v1
	v_add_co_ci_u32_e64 v2, null, s2, v2, vcc_lo
	global_store_short v[1:2], v3, off
.LBB76_24:
	s_or_b32 exec_lo, exec_lo, s0
	s_mov_b32 s0, 0
.LBB76_25:
	s_and_b32 vcc_lo, exec_lo, s0
	s_cbranch_vccz .LBB76_34
; %bb.26:
	s_mov_b32 s0, exec_lo
	v_cmpx_gt_u32_e32 0x80, v0
	s_cbranch_execz .LBB76_34
; %bb.27:
	s_load_dword s0, s[14:15], 0xc
	s_mul_i32 s13, s13, s12
	s_mul_i32 s1, s7, s6
	;; [unrolled: 1-line block ×3, first 2 shown]
	s_lshl_b32 s2, s6, 7
	s_lshl_b32 s12, s13, 7
	;; [unrolled: 1-line block ×4, first 2 shown]
	v_cmp_gt_u32_e32 vcc_lo, 0x7d, v0
	s_ashr_i32 s3, s2, 31
	s_ashr_i32 s13, s12, 31
	;; [unrolled: 1-line block ×4, first 2 shown]
	s_waitcnt lgkmcnt(0)
	s_and_b32 s1, s0, 0xffff
	s_cmp_eq_u32 s1, 1
	s_cselect_b32 s0, -1, 0
	s_and_b32 s15, vcc_lo, s0
	s_mov_b32 s0, -1
	s_and_saveexec_b32 s14, s15
	s_cbranch_execz .LBB76_31
; %bb.28:
	s_lshl_b64 s[16:17], s[6:7], 1
	s_lshl_b64 s[18:19], s[4:5], 1
	v_lshlrev_b32_e32 v1, 1, v0
	s_add_u32 s0, s16, s18
	s_addc_u32 s15, s17, s19
	s_add_u32 s0, s8, s0
	s_addc_u32 s15, s9, s15
	s_lshl_b64 s[16:17], s[12:13], 1
	s_lshl_b64 s[18:19], s[2:3], 1
	v_add_co_u32 v2, s0, s0, v1
	v_add_co_ci_u32_e64 v3, null, s15, 0, s0
	s_add_u32 s0, s16, s18
	v_sub_nc_u32_e32 v5, 0x80, v0
	s_addc_u32 s15, s17, s19
	s_add_u32 s0, s10, s0
	s_addc_u32 s15, s11, s15
	v_add_co_u32 v4, s0, s0, v1
	v_and_b32_e32 v6, 0xfc, v5
	v_add_co_ci_u32_e64 v7, null, s15, 0, s0
	v_add_co_u32 v1, vcc_lo, v2, 4
	v_add_co_ci_u32_e64 v2, null, 0, v3, vcc_lo
	v_add_co_u32 v3, vcc_lo, v4, 4
	v_add_co_ci_u32_e64 v4, null, 0, v7, vcc_lo
	v_mov_b32_e32 v7, v6
	s_mov_b32 s15, 0
	.p2align	6
.LBB76_29:                              ; =>This Inner Loop Header: Depth=1
	global_load_dwordx2 v[8:9], v[1:2], off offset:-4
	v_add_nc_u32_e32 v7, -4, v7
	v_add_co_u32 v1, vcc_lo, v1, 8
	v_add_co_ci_u32_e64 v2, null, 0, v2, vcc_lo
	v_cmp_eq_u32_e32 vcc_lo, 0, v7
	s_or_b32 s15, vcc_lo, s15
	s_waitcnt vmcnt(0)
	global_store_dwordx2 v[3:4], v[8:9], off offset:-4
	v_add_co_u32 v3, s0, v3, 8
	v_add_co_ci_u32_e64 v4, null, 0, v4, s0
	s_andn2_b32 exec_lo, exec_lo, s15
	s_cbranch_execnz .LBB76_29
; %bb.30:
	s_or_b32 exec_lo, exec_lo, s15
	v_cmp_ne_u32_e32 vcc_lo, v5, v6
	v_add_nc_u32_e32 v0, v0, v6
	s_orn2_b32 s0, vcc_lo, exec_lo
.LBB76_31:
	s_or_b32 exec_lo, exec_lo, s14
	s_and_b32 exec_lo, exec_lo, s0
	s_cbranch_execz .LBB76_34
; %bb.32:
	s_lshl_b64 s[12:13], s[12:13], 1
	v_lshlrev_b32_e32 v1, 1, v0
	s_add_u32 s0, s10, s12
	s_addc_u32 s10, s11, s13
	s_lshl_b64 s[2:3], s[2:3], 1
	v_mov_b32_e32 v2, 0
	s_add_u32 s2, s0, s2
	s_addc_u32 s3, s10, s3
	s_lshl_b64 s[6:7], s[6:7], 1
	s_add_u32 s0, s8, s6
	s_addc_u32 s6, s9, s7
	s_lshl_b64 s[4:5], s[4:5], 1
	s_add_u32 s4, s0, s4
	s_addc_u32 s5, s6, s5
	s_mov_b32 s6, 0
	s_lshl_b32 s7, s1, 1
	.p2align	6
.LBB76_33:                              ; =>This Inner Loop Header: Depth=1
	v_add_co_u32 v3, vcc_lo, s4, v1
	v_add_co_ci_u32_e64 v4, null, s5, v2, vcc_lo
	v_add_nc_u32_e32 v0, s1, v0
	global_load_ushort v5, v[3:4], off
	v_add_co_u32 v3, vcc_lo, s2, v1
	v_add_co_ci_u32_e64 v4, null, s3, v2, vcc_lo
	v_cmp_lt_u32_e32 vcc_lo, 0x7f, v0
	v_add_co_u32 v1, s0, v1, s7
	v_add_co_ci_u32_e64 v2, null, 0, v2, s0
	s_or_b32 s6, vcc_lo, s6
	s_waitcnt vmcnt(0)
	global_store_short v[3:4], v5, off
	s_andn2_b32 exec_lo, exec_lo, s6
	s_cbranch_execnz .LBB76_33
.LBB76_34:
	s_endpgm
	.section	.rodata,"a",@progbits
	.p2align	6, 0x0
	.amdhsa_kernel _ZN4vllm32paged_attention_v2_reduce_kernelItLi128ELi128ELi512EEEvPT_PKfS4_PKS1_PKii
		.amdhsa_group_segment_fixed_size 32
		.amdhsa_private_segment_fixed_size 0
		.amdhsa_kernarg_size 304
		.amdhsa_user_sgpr_count 6
		.amdhsa_user_sgpr_private_segment_buffer 1
		.amdhsa_user_sgpr_dispatch_ptr 0
		.amdhsa_user_sgpr_queue_ptr 0
		.amdhsa_user_sgpr_kernarg_segment_ptr 1
		.amdhsa_user_sgpr_dispatch_id 0
		.amdhsa_user_sgpr_flat_scratch_init 0
		.amdhsa_user_sgpr_private_segment_size 0
		.amdhsa_wavefront_size32 1
		.amdhsa_uses_dynamic_stack 0
		.amdhsa_system_sgpr_private_segment_wavefront_offset 0
		.amdhsa_system_sgpr_workgroup_id_x 1
		.amdhsa_system_sgpr_workgroup_id_y 1
		.amdhsa_system_sgpr_workgroup_id_z 0
		.amdhsa_system_sgpr_workgroup_info 0
		.amdhsa_system_vgpr_workitem_id 0
		.amdhsa_next_free_vgpr 19
		.amdhsa_next_free_sgpr 30
		.amdhsa_reserve_vcc 1
		.amdhsa_reserve_flat_scratch 0
		.amdhsa_float_round_mode_32 0
		.amdhsa_float_round_mode_16_64 0
		.amdhsa_float_denorm_mode_32 3
		.amdhsa_float_denorm_mode_16_64 3
		.amdhsa_dx10_clamp 1
		.amdhsa_ieee_mode 1
		.amdhsa_fp16_overflow 0
		.amdhsa_workgroup_processor_mode 1
		.amdhsa_memory_ordered 1
		.amdhsa_forward_progress 1
		.amdhsa_shared_vgpr_count 0
		.amdhsa_exception_fp_ieee_invalid_op 0
		.amdhsa_exception_fp_denorm_src 0
		.amdhsa_exception_fp_ieee_div_zero 0
		.amdhsa_exception_fp_ieee_overflow 0
		.amdhsa_exception_fp_ieee_underflow 0
		.amdhsa_exception_fp_ieee_inexact 0
		.amdhsa_exception_int_div_zero 0
	.end_amdhsa_kernel
	.section	.text._ZN4vllm32paged_attention_v2_reduce_kernelItLi128ELi128ELi512EEEvPT_PKfS4_PKS1_PKii,"axG",@progbits,_ZN4vllm32paged_attention_v2_reduce_kernelItLi128ELi128ELi512EEEvPT_PKfS4_PKS1_PKii,comdat
.Lfunc_end76:
	.size	_ZN4vllm32paged_attention_v2_reduce_kernelItLi128ELi128ELi512EEEvPT_PKfS4_PKS1_PKii, .Lfunc_end76-_ZN4vllm32paged_attention_v2_reduce_kernelItLi128ELi128ELi512EEEvPT_PKfS4_PKS1_PKii
                                        ; -- End function
	.set _ZN4vllm32paged_attention_v2_reduce_kernelItLi128ELi128ELi512EEEvPT_PKfS4_PKS1_PKii.num_vgpr, 19
	.set _ZN4vllm32paged_attention_v2_reduce_kernelItLi128ELi128ELi512EEEvPT_PKfS4_PKS1_PKii.num_agpr, 0
	.set _ZN4vllm32paged_attention_v2_reduce_kernelItLi128ELi128ELi512EEEvPT_PKfS4_PKS1_PKii.numbered_sgpr, 30
	.set _ZN4vllm32paged_attention_v2_reduce_kernelItLi128ELi128ELi512EEEvPT_PKfS4_PKS1_PKii.num_named_barrier, 0
	.set _ZN4vllm32paged_attention_v2_reduce_kernelItLi128ELi128ELi512EEEvPT_PKfS4_PKS1_PKii.private_seg_size, 0
	.set _ZN4vllm32paged_attention_v2_reduce_kernelItLi128ELi128ELi512EEEvPT_PKfS4_PKS1_PKii.uses_vcc, 1
	.set _ZN4vllm32paged_attention_v2_reduce_kernelItLi128ELi128ELi512EEEvPT_PKfS4_PKS1_PKii.uses_flat_scratch, 0
	.set _ZN4vllm32paged_attention_v2_reduce_kernelItLi128ELi128ELi512EEEvPT_PKfS4_PKS1_PKii.has_dyn_sized_stack, 0
	.set _ZN4vllm32paged_attention_v2_reduce_kernelItLi128ELi128ELi512EEEvPT_PKfS4_PKS1_PKii.has_recursion, 0
	.set _ZN4vllm32paged_attention_v2_reduce_kernelItLi128ELi128ELi512EEEvPT_PKfS4_PKS1_PKii.has_indirect_call, 0
	.section	.AMDGPU.csdata,"",@progbits
; Kernel info:
; codeLenInByte = 2400
; TotalNumSgprs: 32
; NumVgprs: 19
; ScratchSize: 0
; MemoryBound: 0
; FloatMode: 240
; IeeeMode: 1
; LDSByteSize: 32 bytes/workgroup (compile time only)
; SGPRBlocks: 0
; VGPRBlocks: 2
; NumSGPRsForWavesPerEU: 32
; NumVGPRsForWavesPerEU: 19
; Occupancy: 16
; WaveLimiterHint : 0
; COMPUTE_PGM_RSRC2:SCRATCH_EN: 0
; COMPUTE_PGM_RSRC2:USER_SGPR: 6
; COMPUTE_PGM_RSRC2:TRAP_HANDLER: 0
; COMPUTE_PGM_RSRC2:TGID_X_EN: 1
; COMPUTE_PGM_RSRC2:TGID_Y_EN: 1
; COMPUTE_PGM_RSRC2:TGID_Z_EN: 0
; COMPUTE_PGM_RSRC2:TIDIG_COMP_CNT: 0
	.section	.text._ZN4vllm25paged_attention_v2_kernelIttLi192ELi8ELi128ELNS_18Fp8KVCacheDataTypeE0ELb1ELi512EEEvPfS2_PT_PKS3_PKT0_S9_ifPKiSB_iPKfiiiSD_SD_iiiii,"axG",@progbits,_ZN4vllm25paged_attention_v2_kernelIttLi192ELi8ELi128ELNS_18Fp8KVCacheDataTypeE0ELb1ELi512EEEvPfS2_PT_PKS3_PKT0_S9_ifPKiSB_iPKfiiiSD_SD_iiiii,comdat
	.protected	_ZN4vllm25paged_attention_v2_kernelIttLi192ELi8ELi128ELNS_18Fp8KVCacheDataTypeE0ELb1ELi512EEEvPfS2_PT_PKS3_PKT0_S9_ifPKiSB_iPKfiiiSD_SD_iiiii ; -- Begin function _ZN4vllm25paged_attention_v2_kernelIttLi192ELi8ELi128ELNS_18Fp8KVCacheDataTypeE0ELb1ELi512EEEvPfS2_PT_PKS3_PKT0_S9_ifPKiSB_iPKfiiiSD_SD_iiiii
	.globl	_ZN4vllm25paged_attention_v2_kernelIttLi192ELi8ELi128ELNS_18Fp8KVCacheDataTypeE0ELb1ELi512EEEvPfS2_PT_PKS3_PKT0_S9_ifPKiSB_iPKfiiiSD_SD_iiiii
	.p2align	8
	.type	_ZN4vllm25paged_attention_v2_kernelIttLi192ELi8ELi128ELNS_18Fp8KVCacheDataTypeE0ELb1ELi512EEEvPfS2_PT_PKS3_PKT0_S9_ifPKiSB_iPKfiiiSD_SD_iiiii,@function
_ZN4vllm25paged_attention_v2_kernelIttLi192ELi8ELi128ELNS_18Fp8KVCacheDataTypeE0ELb1ELi512EEEvPfS2_PT_PKS3_PKT0_S9_ifPKiSB_iPKfiiiSD_SD_iiiii: ; @_ZN4vllm25paged_attention_v2_kernelIttLi192ELi8ELi128ELNS_18Fp8KVCacheDataTypeE0ELb1ELi512EEEvPfS2_PT_PKS3_PKT0_S9_ifPKiSB_iPKfiiiSD_SD_iiiii
; %bb.0:
	s_load_dwordx2 s[0:1], s[4:5], 0x40
	s_mov_b32 s26, s7
	s_ashr_i32 s27, s7, 31
	s_lshl_b64 s[2:3], s[26:27], 2
	s_waitcnt lgkmcnt(0)
	s_add_u32 s0, s0, s2
	s_addc_u32 s1, s1, s3
	s_lshl_b32 s38, s8, 9
	s_load_dword s27, s[0:1], 0x0
	s_waitcnt lgkmcnt(0)
	s_cmp_ge_i32 s38, s27
	s_cbranch_scc1 .LBB77_66
; %bb.1:
	s_clause 0x1
	s_load_dword s9, s[4:5], 0x90
	s_load_dwordx2 s[36:37], s[4:5], 0x30
	s_mov_b32 s40, 0
	s_waitcnt lgkmcnt(0)
	s_abs_i32 s3, s9
	s_abs_i32 s0, s36
	v_cvt_f32_u32_e32 v1, s0
	s_sub_i32 s2, 0, s0
	v_rcp_iflag_f32_e32 v1, v1
	v_mul_f32_e32 v1, 0x4f7ffffe, v1
	v_cvt_u32_f32_e32 v1, v1
	v_readfirstlane_b32 s1, v1
	s_mul_i32 s2, s2, s1
	s_mul_hi_u32 s2, s1, s2
	s_add_i32 s1, s1, s2
	s_xor_b32 s2, s9, s36
	s_mul_hi_u32 s1, s3, s1
	s_ashr_i32 s2, s2, 31
	s_mul_i32 s7, s1, s0
	s_sub_i32 s3, s3, s7
	s_add_i32 s7, s1, 1
	s_sub_i32 s10, s3, s0
	s_cmp_ge_u32 s3, s0
	s_cselect_b32 s1, s7, s1
	s_cselect_b32 s3, s10, s3
	s_add_i32 s7, s1, 1
	s_cmp_ge_u32 s3, s0
	s_cselect_b32 s0, s7, s1
	s_xor_b32 s0, s0, s2
	s_sub_i32 s10, s0, s2
	s_load_dwordx2 s[0:1], s[4:5], 0x50
	s_abs_i32 s2, s10
	v_cvt_f32_u32_e32 v1, s2
	s_sub_i32 s3, 0, s2
	v_rcp_iflag_f32_e32 v1, v1
	v_mul_f32_e32 v1, 0x4f7ffffe, v1
	v_cvt_u32_f32_e32 v1, v1
	v_readfirstlane_b32 s7, v1
	s_mul_i32 s3, s3, s7
	s_mul_hi_u32 s11, s7, s3
	s_abs_i32 s3, s6
	s_add_i32 s7, s7, s11
	s_waitcnt lgkmcnt(0)
	s_cmp_eq_u64 s[0:1], 0
	s_mul_hi_u32 s20, s3, s7
	s_cbranch_scc1 .LBB77_3
; %bb.2:
	s_ashr_i32 s7, s6, 31
	s_lshl_b64 s[12:13], s[6:7], 2
	s_add_u32 s0, s0, s12
	s_addc_u32 s1, s1, s13
	s_load_dword s40, s[0:1], 0x0
.LBB77_3:
	s_load_dwordx4 s[12:15], s[4:5], 0x58
	v_and_b32_e32 v1, 3, v0
	v_lshlrev_b32_e32 v2, 2, v0
	s_ashr_i32 s0, s6, 31
	s_ashr_i32 s1, s10, 31
	s_mul_i32 s10, s6, 0xc0
	s_mov_b32 s7, exec_lo
	v_cmpx_gt_u32_e32 0x60, v0
	s_cbranch_execz .LBB77_5
; %bb.4:
	s_load_dwordx2 s[16:17], s[4:5], 0x18
	s_waitcnt lgkmcnt(0)
	s_mul_i32 s18, s12, s26
	v_and_b32_e32 v4, 0x3fc, v0
	s_ashr_i32 s19, s18, 31
	s_lshl_b64 s[18:19], s[18:19], 1
	v_mad_u32_u24 v4, 0x60, v1, v4
	s_add_u32 s12, s16, s18
	s_addc_u32 s15, s17, s19
	s_ashr_i32 s11, s10, 31
	s_lshl_b64 s[16:17], s[10:11], 1
	s_add_u32 s16, s12, s16
	s_addc_u32 s17, s15, s17
	global_load_dword v3, v2, s[16:17]
	s_waitcnt vmcnt(0)
	ds_write_b32 v4, v3
.LBB77_5:
	s_or_b32 exec_lo, exec_lo, s7
	s_load_dwordx4 s[16:19], s[4:5], 0x78
	s_mul_i32 s7, s20, s2
	s_xor_b32 s0, s0, s1
	s_sub_i32 s1, s3, s7
	s_add_i32 s3, s20, 1
	s_sub_i32 s7, s1, s2
	s_cmp_ge_u32 s1, s2
                                        ; implicit-def: $sgpr33
	s_cselect_b32 s3, s3, s20
	s_cselect_b32 s1, s7, s1
	s_add_i32 s7, s3, 1
	s_cmp_ge_u32 s1, s2
	s_mov_b32 s20, -1
	s_cselect_b32 s1, s7, s3
	s_load_dword s3, s[4:5], 0x88
	s_xor_b32 s1, s1, s0
	s_add_i32 s7, s27, -1
	s_sub_i32 s1, s1, s0
	s_abs_i32 s2, s7
	s_waitcnt lgkmcnt(0)
	s_abs_i32 s11, s19
	s_barrier
	v_cvt_f32_u32_e32 v3, s11
	s_sub_i32 s0, 0, s11
	buffer_gl0_inv
	v_rcp_iflag_f32_e32 v3, v3
	v_mul_f32_e32 v3, 0x4f7ffffe, v3
	v_cvt_u32_f32_e32 v3, v3
	v_readfirstlane_b32 s12, v3
	s_mul_i32 s0, s0, s12
	s_mul_hi_u32 s0, s12, s0
	s_add_i32 s12, s12, s0
	s_cmp_lt_i32 s3, 0
	s_mul_hi_u32 s0, s2, s12
	s_cbranch_scc0 .LBB77_7
; %bb.6:
	s_mul_i32 s15, s16, s36
	s_mov_b32 s20, 0
	s_add_i32 s15, s1, s15
	s_mul_i32 s15, s15, s3
	s_sub_i32 s33, 1, s15
.LBB77_7:
	s_load_dwordx2 s[28:29], s[4:5], 0x38
	s_ashr_i32 s15, s7, 31
	s_andn2_b32 vcc_lo, exec_lo, s20
	s_ashr_i32 s19, s19, 31
	s_cbranch_vccnz .LBB77_9
; %bb.8:
	s_mul_i32 s7, s9, s16
	s_add_i32 s7, s7, s6
	s_mul_i32 s3, s7, s3
	s_add_i32 s33, s3, 1
.LBB77_9:
	s_clause 0x4
	s_load_dword s3, s[4:5], 0x48
	s_load_dwordx2 s[34:35], s[4:5], 0x28
	s_load_dword s7, s[4:5], 0x98
	s_load_dwordx4 s[20:23], s[4:5], 0x0
	s_load_dwordx2 s[24:25], s[4:5], 0x10
	s_mul_i32 s16, s0, s11
	s_xor_b32 s15, s15, s19
	s_sub_i32 s2, s2, s16
	s_add_i32 s36, s0, 1
	v_lshrrev_b32_e32 v10, 5, v0
	v_mov_b32_e32 v4, 0xff7fffff
	v_mbcnt_lo_u32_b32 v3, -1, 0
	s_mul_i32 s14, s1, s14
	v_lshl_add_u32 v11, v10, 3, s38
	s_waitcnt lgkmcnt(0)
	s_mul_i32 s30, s3, s26
	s_sub_i32 s3, s2, s11
	s_ashr_i32 s31, s30, 31
	s_cmp_ge_u32 s2, s11
	s_cselect_b32 s0, s36, s0
	s_cselect_b32 s2, s3, s2
	s_add_i32 s3, s0, 1
	s_cmp_ge_u32 s2, s11
	s_cselect_b32 s0, s3, s0
	s_add_i32 s2, s27, 7
	s_lshl_b32 s41, s8, 6
	s_ashr_i32 s3, s2, 31
	v_or_b32_e32 v5, s41, v10
	s_lshr_b32 s3, s3, 29
	s_add_i32 s2, s2, s3
	s_add_i32 s3, s41, 64
	s_ashr_i32 s36, s2, 3
	s_xor_b32 s2, s0, s15
	s_min_i32 s16, s3, s36
	v_ashrrev_i32_e32 v6, 31, v5
	v_cmp_gt_i32_e64 s0, s16, v5
	s_sub_i32 s39, s2, s15
	s_and_saveexec_b32 s42, s0
	s_cbranch_execz .LBB77_21
; %bb.10:
	s_load_dwordx2 s[2:3], s[4:5], 0x20
	s_ashr_i32 s15, s14, 31
	s_sub_i32 s4, s39, s17
	s_lshl_b64 s[44:45], s[14:15], 1
	v_bfe_u32 v7, v0, 2, 3
	v_cmp_eq_u32_e32 vcc_lo, 0, v1
	v_and_b32_e32 v17, 12, v2
	v_mul_u32_u24_e32 v8, 0x60, v1
	v_lshlrev_b64 v[1:2], 2, v[5:6]
	v_lshlrev_b32_e32 v15, 2, v7
	v_subrev_nc_u32_e32 v18, s27, v7
	v_lshlrev_b32_e32 v21, 4, v7
	v_cmp_neq_f32_e64 s1, s40, 0
	v_lshl_add_u32 v9, v10, 3, s38
	v_lshl_or_b32 v19, v10, 5, v15
	v_add_nc_u32_e32 v15, 1, v18
	v_mov_b32_e32 v12, 0xff7fffff
	v_xor_b32_e32 v13, 2, v3
	v_xor_b32_e32 v14, 1, v3
	s_waitcnt lgkmcnt(0)
	s_add_u32 s15, s2, s44
	s_addc_u32 s43, s3, s45
	s_abs_i32 s5, s18
	v_cvt_f32_u32_e32 v4, s5
	s_sub_i32 s2, 0, s5
	v_rcp_iflag_f32_e32 v4, v4
	v_mul_f32_e32 v16, 0x4f7ffffe, v4
	v_mov_b32_e32 v4, 0xff7fffff
	v_cvt_u32_f32_e32 v20, v16
	v_add_nc_u32_e32 v16, 0x1a0, v19
	v_add_co_u32 v19, s15, s15, v21
	v_add_co_ci_u32_e64 v21, null, s43, 0, s15
	v_mul_lo_u32 v18, s2, v20
	s_lshl_b64 s[2:3], s[30:31], 2
	s_mov_b32 s15, 0
	s_add_u32 s2, s28, s2
	s_addc_u32 s3, s29, s3
	v_add_co_u32 v1, s2, s2, v1
	v_add_co_ci_u32_e64 v2, null, s3, v2, s2
	v_mul_hi_u32 v22, v20, v18
	v_add_co_u32 v17, s2, v19, v17
	v_add_co_ci_u32_e64 v18, null, 0, v21, s2
	s_mov_b32 s43, s13
	v_add_nc_u32_e32 v19, v20, v22
	v_mov_b32_e32 v20, v5
	s_branch .LBB77_13
.LBB77_11:                              ;   in Loop: Header=BB77_13 Depth=1
	s_or_b32 exec_lo, exec_lo, s44
.LBB77_12:                              ;   in Loop: Header=BB77_13 Depth=1
	s_or_b32 exec_lo, exec_lo, s3
	v_add_nc_u32_e32 v20, 4, v20
	v_add_co_u32 v1, s3, v1, 16
	v_add_co_ci_u32_e64 v2, null, 0, v2, s3
	v_cmp_le_i32_e64 s2, s16, v20
	v_add_nc_u32_e32 v9, 32, v9
	v_add_nc_u32_e32 v16, 0x80, v16
	s_or_b32 s15, s2, s15
	s_andn2_b32 exec_lo, exec_lo, s15
	s_cbranch_execz .LBB77_20
.LBB77_13:                              ; =>This Inner Loop Header: Depth=1
	v_sub_nc_u32_e32 v21, 0, v9
	v_max_i32_e32 v21, v9, v21
	s_waitcnt lgkmcnt(0)
	v_mul_hi_u32 v22, v21, s12
	v_mul_lo_u32 v23, v22, s11
	v_sub_nc_u32_e32 v21, v21, v23
	v_add_nc_u32_e32 v23, 1, v22
	v_subrev_nc_u32_e32 v24, s11, v21
	v_cmp_le_u32_e64 s2, s11, v21
	v_cndmask_b32_e64 v22, v22, v23, s2
	v_cndmask_b32_e64 v21, v21, v24, s2
	v_ashrrev_i32_e32 v23, 31, v9
	v_add_nc_u32_e32 v24, 1, v22
	v_cmp_le_u32_e64 s2, s11, v21
	v_xor_b32_e32 v23, s19, v23
	v_cndmask_b32_e64 v21, v22, v24, s2
	v_xor_b32_e32 v21, v21, v23
	v_sub_nc_u32_e32 v21, v21, v23
	v_add_nc_u32_e32 v22, s33, v21
	v_cmp_ge_i32_e64 s3, s4, v21
	v_sub_nc_u32_e32 v23, 0, v22
	v_max_i32_e32 v23, v22, v23
	v_ashrrev_i32_e32 v22, 31, v22
	v_mul_hi_u32 v24, v23, v19
	v_mul_lo_u32 v24, v24, s5
	v_sub_nc_u32_e32 v23, v23, v24
	v_subrev_nc_u32_e32 v24, s5, v23
	v_cmp_le_u32_e64 s2, s5, v23
	v_cndmask_b32_e64 v23, v23, v24, s2
	v_subrev_nc_u32_e32 v24, s5, v23
	v_cmp_le_u32_e64 s2, s5, v23
	v_cndmask_b32_e64 v23, v23, v24, s2
	v_xor_b32_e32 v23, v23, v22
	v_sub_nc_u32_e32 v22, v23, v22
	v_cmp_ne_u32_e64 s2, 0, v22
	s_and_b32 s2, s2, s3
	s_and_saveexec_b32 s3, s2
	s_xor_b32 s2, exec_lo, s3
	s_cbranch_execz .LBB77_17
; %bb.14:                               ;   in Loop: Header=BB77_13 Depth=1
	s_and_saveexec_b32 s3, vcc_lo
; %bb.15:                               ;   in Loop: Header=BB77_13 Depth=1
	ds_write_b32 v16, v12
; %bb.16:                               ;   in Loop: Header=BB77_13 Depth=1
	s_or_b32 exec_lo, exec_lo, s3
.LBB77_17:                              ;   in Loop: Header=BB77_13 Depth=1
	s_andn2_saveexec_b32 s3, s2
	s_cbranch_execz .LBB77_12
; %bb.18:                               ;   in Loop: Header=BB77_13 Depth=1
	global_load_dword v21, v[1:2], off
	s_waitcnt vmcnt(0)
	v_mad_i64_i32 v[21:22], null, v21, s43, 0
	v_lshlrev_b64 v[21:22], 1, v[21:22]
	v_add_co_u32 v21, s2, v17, v21
	v_add_co_ci_u32_e64 v22, null, v18, v22, s2
	s_clause 0xa
	global_load_dword v23, v[21:22], off
	global_load_dword v30, v[21:22], off offset:128
	global_load_dword v31, v[21:22], off offset:256
	global_load_dword v33, v[21:22], off offset:384
	global_load_dword v34, v[21:22], off offset:512
	global_load_dword v36, v[21:22], off offset:640
	global_load_dword v52, v[21:22], off offset:768
	global_load_dword v58, v[21:22], off offset:896
	global_load_dword v65, v[21:22], off offset:1024
	global_load_dword v70, v[21:22], off offset:1152
	global_load_dword v74, v[21:22], off offset:1280
	ds_read_b32 v24, v8
	s_clause 0x4
	global_load_dword v69, v[21:22], off offset:1408
	global_load_dword v64, v[21:22], off offset:1536
	;; [unrolled: 1-line block ×5, first 2 shown]
	v_add_co_u32 v28, s2, 0x800, v21
	v_add_co_ci_u32_e64 v29, null, 0, v22, s2
	v_cmp_gt_i32_e64 s2, 32, v13
	s_waitcnt lgkmcnt(0)
	v_lshrrev_b32_e32 v37, 16, v24
	v_and_b32_e32 v38, 0xffff, v24
	s_waitcnt vmcnt(15)
	v_and_b32_e32 v39, 0xffff, v23
	v_lshrrev_b32_e32 v40, 16, v23
	s_clause 0x7
	global_load_dword v32, v[28:29], off
	global_load_dword v27, v[28:29], off offset:128
	global_load_dword v26, v[28:29], off offset:256
	;; [unrolled: 1-line block ×7, first 2 shown]
	;;#ASMSTART
	v_cvt_f32_f16 v46, v38;
	;;#ASMEND
	;;#ASMSTART
	v_cvt_f32_f16 v44, v37;
	;;#ASMEND
	;; [unrolled: 3-line block ×4, first 2 shown]
	ds_read_b32 v28, v8 offset:4
	s_waitcnt vmcnt(22)
	v_and_b32_e32 v37, 0xffff, v30
	v_lshrrev_b32_e32 v30, 16, v30
	s_waitcnt vmcnt(18)
	v_and_b32_e32 v53, 0xffff, v36
	v_lshrrev_b32_e32 v54, 16, v36
	s_waitcnt vmcnt(17)
	v_and_b32_e32 v55, 0xffff, v52
	v_lshrrev_b32_e32 v59, 16, v52
	s_waitcnt vmcnt(16)
	v_and_b32_e32 v61, 0xffff, v58
	v_lshrrev_b32_e32 v66, 16, v58
	s_waitcnt vmcnt(15)
	v_and_b32_e32 v68, 0xffff, v65
	v_lshrrev_b32_e32 v71, 16, v65
	s_waitcnt vmcnt(14)
	v_and_b32_e32 v73, 0xffff, v70
	v_lshrrev_b32_e32 v75, 16, v70
	s_waitcnt vmcnt(13)
	v_and_b32_e32 v77, 0xffff, v74
	v_lshrrev_b32_e32 v78, 16, v74
	s_waitcnt vmcnt(12)
	v_and_b32_e32 v80, 0xffff, v69
	v_lshrrev_b32_e32 v81, 16, v69
	s_waitcnt vmcnt(11)
	v_and_b32_e32 v83, 0xffff, v64
	v_lshrrev_b32_e32 v84, 16, v64
	s_waitcnt vmcnt(10)
	v_and_b32_e32 v87, 0xffff, v51
	s_waitcnt lgkmcnt(0)
	v_and_b32_e32 v29, 0xffff, v28
	v_lshrrev_b32_e32 v28, 16, v28
	;;#ASMSTART
	v_cvt_f32_f16 v62, v29;
	;;#ASMEND
	;;#ASMSTART
	v_cvt_f32_f16 v56, v28;
	;;#ASMEND
	;; [unrolled: 3-line block ×4, first 2 shown]
	ds_read_b32 v28, v8 offset:8
	v_and_b32_e32 v30, 0xffff, v31
	v_lshrrev_b32_e32 v31, 16, v31
	v_lshrrev_b32_e32 v51, 16, v51
	s_waitcnt vmcnt(9)
	v_lshrrev_b32_e32 v89, 16, v48
	s_waitcnt lgkmcnt(0)
	v_and_b32_e32 v29, 0xffff, v28
	v_lshrrev_b32_e32 v28, 16, v28
	;;#ASMSTART
	v_cvt_f32_f16 v49, v29;
	;;#ASMEND
	;;#ASMSTART
	v_cvt_f32_f16 v39, v28;
	;;#ASMEND
	;; [unrolled: 3-line block ×4, first 2 shown]
	ds_read_b32 v28, v8 offset:12
	v_and_b32_e32 v30, 0xffff, v33
	v_lshrrev_b32_e32 v31, 16, v33
	v_lshrrev_b32_e32 v33, 16, v34
	s_waitcnt lgkmcnt(0)
	v_and_b32_e32 v29, 0xffff, v28
	v_lshrrev_b32_e32 v28, 16, v28
	;;#ASMSTART
	v_cvt_f32_f16 v42, v29;
	;;#ASMEND
	;;#ASMSTART
	v_cvt_f32_f16 v38, v28;
	;;#ASMEND
	;; [unrolled: 3-line block ×4, first 2 shown]
	ds_read_b32 v28, v8 offset:16
	v_and_b32_e32 v31, 0xffff, v34
	s_waitcnt lgkmcnt(0)
	v_and_b32_e32 v29, 0xffff, v28
	v_lshrrev_b32_e32 v28, 16, v28
	;;#ASMSTART
	v_cvt_f32_f16 v30, v29;
	;;#ASMEND
	;;#ASMSTART
	v_cvt_f32_f16 v28, v28;
	;;#ASMEND
	;;#ASMSTART
	v_cvt_f32_f16 v31, v31;
	;;#ASMEND
	;;#ASMSTART
	v_cvt_f32_f16 v29, v33;
	;;#ASMEND
	ds_read_b32 v33, v8 offset:20
	s_waitcnt lgkmcnt(0)
	v_and_b32_e32 v34, 0xffff, v33
	v_lshrrev_b32_e32 v37, 16, v33
	;;#ASMSTART
	v_cvt_f32_f16 v33, v34;
	;;#ASMEND
	;;#ASMSTART
	v_cvt_f32_f16 v34, v37;
	;;#ASMEND
	;;#ASMSTART
	v_cvt_f32_f16 v36, v53;
	;;#ASMEND
	;;#ASMSTART
	v_cvt_f32_f16 v37, v54;
	;;#ASMEND
	ds_read_b32 v53, v8 offset:24
	;; [unrolled: 16-line block ×10, first 2 shown]
	v_mul_f32_e32 v51, v62, v63
	v_fmac_f32_e32 v51, v46, v47
	v_fmac_f32_e32 v51, v49, v50
	s_waitcnt vmcnt(7)
	v_and_b32_e32 v50, 0xffff, v32
	v_fmac_f32_e32 v51, v42, v43
	s_waitcnt lgkmcnt(0)
	v_and_b32_e32 v62, 0xffff, v88
	v_lshrrev_b32_e32 v63, 16, v88
	v_and_b32_e32 v88, 0xffff, v48
	v_mul_f32_e32 v48, v56, v57
	;;#ASMSTART
	v_cvt_f32_f16 v56, v62;
	;;#ASMEND
	;;#ASMSTART
	v_cvt_f32_f16 v57, v63;
	;;#ASMEND
	;; [unrolled: 3-line block ×4, first 2 shown]
	ds_read_b32 v88, v8 offset:60
	v_lshrrev_b32_e32 v89, 16, v35
	v_fmac_f32_e32 v48, v44, v45
	v_fmac_f32_e32 v51, v30, v31
	;; [unrolled: 1-line block ×4, first 2 shown]
	s_waitcnt vmcnt(3)
	v_and_b32_e32 v33, 0xffff, v24
	v_lshrrev_b32_e32 v36, 16, v24
	v_fmac_f32_e32 v48, v38, v40
	v_fmac_f32_e32 v51, v52, v54
	s_waitcnt vmcnt(2)
	v_lshrrev_b32_e32 v52, 16, v23
	v_fmac_f32_e32 v48, v28, v29
	v_fmac_f32_e32 v51, v58, v60
	s_waitcnt lgkmcnt(0)
	v_and_b32_e32 v46, 0xffff, v88
	v_lshrrev_b32_e32 v47, 16, v88
	v_and_b32_e32 v88, 0xffff, v35
	;;#ASMSTART
	v_cvt_f32_f16 v35, v46;
	;;#ASMEND
	;;#ASMSTART
	v_cvt_f32_f16 v44, v47;
	;;#ASMEND
	;; [unrolled: 3-line block ×4, first 2 shown]
	ds_read_b32 v47, v8 offset:64
	v_lshrrev_b32_e32 v88, 16, v32
	v_lshrrev_b32_e32 v89, 16, v27
	v_fmac_f32_e32 v48, v34, v37
	v_fmac_f32_e32 v51, v65, v67
	;; [unrolled: 1-line block ×4, first 2 shown]
	v_and_b32_e32 v53, 0xffff, v23
	v_fmac_f32_e32 v48, v59, v61
	v_fmac_f32_e32 v51, v74, v76
	;; [unrolled: 1-line block ×4, first 2 shown]
	s_waitcnt lgkmcnt(0)
	v_and_b32_e32 v49, 0xffff, v47
	v_lshrrev_b32_e32 v47, 16, v47
	;;#ASMSTART
	v_cvt_f32_f16 v32, v49;
	;;#ASMEND
	;;#ASMSTART
	v_cvt_f32_f16 v47, v47;
	;;#ASMEND
	;; [unrolled: 3-line block ×4, first 2 shown]
	ds_read_b32 v88, v8 offset:68
	v_fmac_f32_e32 v48, v71, v73
	v_fmac_f32_e32 v51, v64, v82
	;; [unrolled: 1-line block ×8, first 2 shown]
	s_waitcnt vmcnt(1)
	v_lshrrev_b32_e32 v35, 16, v22
	v_and_b32_e32 v45, 0xffff, v22
	s_waitcnt lgkmcnt(0)
	v_and_b32_e32 v39, 0xffff, v88
	v_lshrrev_b32_e32 v41, 16, v88
	v_and_b32_e32 v88, 0xffff, v27
	;;#ASMSTART
	v_cvt_f32_f16 v27, v39;
	;;#ASMEND
	;;#ASMSTART
	v_cvt_f32_f16 v39, v41;
	;;#ASMEND
	;; [unrolled: 3-line block ×4, first 2 shown]
	ds_read_b32 v43, v8 offset:72
	v_lshrrev_b32_e32 v88, 16, v26
	v_lshrrev_b32_e32 v89, 16, v25
	v_fmac_f32_e32 v48, v85, v87
	v_fmac_f32_e32 v51, v32, v49
	;; [unrolled: 1-line block ×6, first 2 shown]
	s_waitcnt lgkmcnt(0)
	v_and_b32_e32 v38, 0xffff, v43
	v_lshrrev_b32_e32 v40, 16, v43
	v_and_b32_e32 v43, 0xffff, v26
	;;#ASMSTART
	v_cvt_f32_f16 v26, v38;
	;;#ASMEND
	;;#ASMSTART
	v_cvt_f32_f16 v38, v40;
	;;#ASMEND
	;; [unrolled: 3-line block ×4, first 2 shown]
	ds_read_b32 v88, v8 offset:76
	v_fmac_f32_e32 v48, v39, v42
	v_fmac_f32_e32 v51, v26, v40
	;; [unrolled: 1-line block ×3, first 2 shown]
	s_waitcnt lgkmcnt(0)
	v_and_b32_e32 v30, 0xffff, v88
	v_lshrrev_b32_e32 v31, 16, v88
	v_and_b32_e32 v88, 0xffff, v25
	;;#ASMSTART
	v_cvt_f32_f16 v25, v30;
	;;#ASMEND
	;;#ASMSTART
	v_cvt_f32_f16 v28, v31;
	;;#ASMEND
	;; [unrolled: 3-line block ×4, first 2 shown]
	ds_read_b32 v31, v8 offset:80
	v_fmac_f32_e32 v51, v25, v29
	v_fmac_f32_e32 v48, v28, v30
	s_waitcnt vmcnt(0)
	v_lshrrev_b32_e32 v25, 16, v21
	v_and_b32_e32 v28, 0xffff, v21
	s_waitcnt lgkmcnt(0)
	v_and_b32_e32 v34, 0xffff, v31
	v_lshrrev_b32_e32 v31, 16, v31
	;;#ASMSTART
	v_cvt_f32_f16 v24, v34;
	;;#ASMEND
	;;#ASMSTART
	v_cvt_f32_f16 v31, v31;
	;;#ASMEND
	;; [unrolled: 3-line block ×4, first 2 shown]
	ds_read_b32 v36, v8 offset:84
	v_fmac_f32_e32 v51, v24, v33
	v_fmac_f32_e32 v48, v31, v34
	v_cndmask_b32_e64 v24, v3, v13, s2
	v_cmp_gt_i32_e64 s2, 32, v14
	s_waitcnt lgkmcnt(0)
	v_and_b32_e32 v37, 0xffff, v36
	v_lshrrev_b32_e32 v36, 16, v36
	;;#ASMSTART
	v_cvt_f32_f16 v23, v37;
	;;#ASMEND
	;;#ASMSTART
	v_cvt_f32_f16 v36, v36;
	;;#ASMEND
	;; [unrolled: 3-line block ×4, first 2 shown]
	ds_read_b32 v53, v8 offset:88
	v_fmac_f32_e32 v51, v23, v37
	v_fmac_f32_e32 v48, v36, v52
	s_waitcnt lgkmcnt(0)
	v_and_b32_e32 v32, 0xffff, v53
	v_lshrrev_b32_e32 v44, 16, v53
	;;#ASMSTART
	v_cvt_f32_f16 v22, v32;
	;;#ASMEND
	;;#ASMSTART
	v_cvt_f32_f16 v27, v44;
	;;#ASMEND
	;; [unrolled: 3-line block ×4, first 2 shown]
	ds_read_b32 v39, v8 offset:92
	v_fmac_f32_e32 v51, v22, v32
	v_fmac_f32_e32 v48, v27, v35
	s_waitcnt lgkmcnt(0)
	v_and_b32_e32 v23, 0xffff, v39
	v_lshrrev_b32_e32 v26, 16, v39
	;;#ASMSTART
	v_cvt_f32_f16 v21, v23;
	;;#ASMEND
	;;#ASMSTART
	v_cvt_f32_f16 v22, v26;
	;;#ASMEND
	;; [unrolled: 3-line block ×4, first 2 shown]
	v_fmac_f32_e32 v51, v21, v23
	v_fmac_f32_e32 v48, v22, v25
	v_lshlrev_b32_e32 v21, 2, v24
	v_cndmask_b32_e64 v23, v3, v14, s2
	v_add_f32_e32 v22, v51, v48
	ds_bpermute_b32 v21, v21, v22
	s_waitcnt lgkmcnt(0)
	v_add_f32_e32 v21, v22, v21
	v_lshlrev_b32_e32 v22, 2, v23
	ds_bpermute_b32 v22, v22, v21
	s_and_saveexec_b32 s44, vcc_lo
	s_cbranch_execz .LBB77_11
; %bb.19:                               ;   in Loop: Header=BB77_13 Depth=1
	v_add_nc_u32_e32 v23, v15, v9
	s_waitcnt lgkmcnt(0)
	v_add_f32_e32 v21, v21, v22
	v_cvt_f32_i32_e32 v23, v23
	v_mul_f32_e32 v23, s40, v23
	v_cndmask_b32_e64 v22, 0, v23, s1
	v_max_f32_e32 v23, v4, v4
	v_fmac_f32_e32 v22, s37, v21
	v_add_nc_u32_e32 v21, v7, v9
	v_max_f32_e32 v23, v23, v22
	v_cmp_gt_i32_e64 s2, s27, v21
	v_cndmask_b32_e64 v21, 0, v22, s2
	v_cndmask_b32_e64 v4, v4, v23, s2
	ds_write_b32 v16, v21
	s_branch .LBB77_11
.LBB77_20:
	s_or_b32 exec_lo, exec_lo, s15
.LBB77_21:
	s_or_b32 exec_lo, exec_lo, s42
	v_xor_b32_e32 v1, 16, v3
	v_xor_b32_e32 v7, 8, v3
	v_max_f32_e32 v8, v4, v4
	v_and_b32_e32 v12, 31, v0
	v_cmp_gt_i32_e32 vcc_lo, 32, v1
	v_cndmask_b32_e32 v1, v3, v1, vcc_lo
	v_cmp_gt_i32_e32 vcc_lo, 32, v7
	v_lshlrev_b32_e32 v2, 2, v1
	ds_bpermute_b32 v1, v2, v4
	v_cndmask_b32_e32 v4, v3, v7, vcc_lo
	v_lshlrev_b32_e32 v4, 2, v4
	s_waitcnt lgkmcnt(0)
	v_max_f32_e32 v1, v1, v1
	v_max_f32_e32 v1, v8, v1
	v_xor_b32_e32 v8, 4, v3
	ds_bpermute_b32 v7, v4, v1
	v_cmp_gt_i32_e32 vcc_lo, 32, v8
	v_cndmask_b32_e32 v8, v3, v8, vcc_lo
	v_cmp_eq_u32_e32 vcc_lo, 0, v12
	v_lshlrev_b32_e32 v9, 2, v8
	s_waitcnt lgkmcnt(0)
	v_max_f32_e32 v7, v7, v7
	v_max_f32_e32 v1, v1, v7
	v_lshlrev_b32_e32 v7, 2, v10
	ds_bpermute_b32 v8, v9, v1
	s_and_saveexec_b32 s1, vcc_lo
	s_cbranch_execz .LBB77_23
; %bb.22:
	s_waitcnt lgkmcnt(0)
	v_max_f32_e32 v8, v8, v8
	v_max_f32_e32 v1, v1, v1
	;; [unrolled: 1-line block ×3, first 2 shown]
	ds_write_b32 v7, v1 offset:384
.LBB77_23:
	s_or_b32 exec_lo, exec_lo, s1
	v_cmp_gt_u32_e64 s1, 4, v12
	v_mov_b32_e32 v1, 0xff7fffff
	s_waitcnt lgkmcnt(0)
	v_lshlrev_b32_e32 v8, 2, v12
	s_barrier
	buffer_gl0_inv
	s_and_saveexec_b32 s2, s1
; %bb.24:
	ds_read_b32 v1, v8 offset:384
; %bb.25:
	s_or_b32 exec_lo, exec_lo, s2
	v_xor_b32_e32 v13, 2, v3
	v_xor_b32_e32 v15, 1, v3
	v_cmp_gt_i32_e64 s2, 32, v13
	v_cndmask_b32_e64 v13, v3, v13, s2
	v_cmp_gt_i32_e64 s2, 32, v15
	v_lshlrev_b32_e32 v13, 2, v13
	v_cndmask_b32_e64 v3, v3, v15, s2
	s_sub_i32 s2, s16, s41
	s_lshl_b32 s2, s2, 3
	s_waitcnt lgkmcnt(0)
	ds_bpermute_b32 v14, v13, v1
	v_max_f32_e32 v1, v1, v1
	s_add_i32 s2, s2, s38
	s_min_i32 s2, s2, s27
	s_sub_i32 s4, s2, s38
	v_cmp_gt_i32_e64 s2, s4, v0
	s_waitcnt lgkmcnt(0)
	v_max_f32_e32 v15, v14, v14
	v_lshlrev_b32_e32 v14, 2, v3
	v_max_f32_e32 v1, v1, v15
	v_mov_b32_e32 v15, 0
	ds_bpermute_b32 v3, v14, v1
	s_waitcnt lgkmcnt(0)
	v_max_f32_e32 v3, v3, v3
	v_max_f32_e32 v1, v1, v3
	v_lshl_add_u32 v3, v0, 2, 0x1a0
	ds_bpermute_b32 v1, v15, v1
	s_and_saveexec_b32 s5, s2
	s_cbranch_execz .LBB77_29
; %bb.26:
	v_lshl_add_u32 v16, v0, 2, 0x1a0
	v_mov_b32_e32 v15, 0
	v_mov_b32_e32 v17, v0
	s_mov_b32 s15, 0
	.p2align	6
.LBB77_27:                              ; =>This Inner Loop Header: Depth=1
	ds_read_b32 v18, v16
	v_add_nc_u32_e32 v17, 0x80, v17
	v_cmp_le_i32_e64 s3, s4, v17
	s_or_b32 s15, s3, s15
	s_waitcnt lgkmcnt(0)
	v_sub_f32_e32 v18, v18, v1
	v_mul_f32_e32 v18, 0x3fb8aa3b, v18
	v_exp_f32_e32 v18, v18
	ds_write_b32 v16, v18
	v_add_f32_e32 v15, v15, v18
	v_add_nc_u32_e32 v16, 0x200, v16
	s_andn2_b32 exec_lo, exec_lo, s15
	s_cbranch_execnz .LBB77_27
; %bb.28:
	s_or_b32 exec_lo, exec_lo, s15
.LBB77_29:
	s_or_b32 exec_lo, exec_lo, s5
	ds_bpermute_b32 v2, v2, v15
	s_waitcnt lgkmcnt(0)
	v_add_f32_e32 v2, v15, v2
	ds_bpermute_b32 v4, v4, v2
	s_waitcnt lgkmcnt(0)
	v_add_f32_e32 v2, v2, v4
	;; [unrolled: 3-line block ×5, first 2 shown]
	s_and_saveexec_b32 s3, vcc_lo
; %bb.30:
	ds_write_b32 v7, v2 offset:400
; %bb.31:
	s_or_b32 exec_lo, exec_lo, s3
	s_waitcnt lgkmcnt(0)
	s_barrier
	buffer_gl0_inv
	s_and_saveexec_b32 s3, s1
; %bb.32:
	ds_read_b32 v2, v8 offset:400
; %bb.33:
	s_or_b32 exec_lo, exec_lo, s3
	s_waitcnt lgkmcnt(0)
	ds_bpermute_b32 v4, v13, v2
	s_waitcnt lgkmcnt(0)
	v_add_f32_e32 v2, v2, v4
	ds_bpermute_b32 v4, v14, v2
	s_waitcnt lgkmcnt(0)
	v_add_f32_e32 v2, v2, v4
	v_mov_b32_e32 v4, 0
	ds_bpermute_b32 v2, v4, v2
	s_and_saveexec_b32 s1, s2
	s_cbranch_execz .LBB77_36
; %bb.34:
	s_waitcnt lgkmcnt(0)
	v_add_f32_e32 v4, 0x358637bd, v2
	s_mov_b32 s2, 0
	v_div_scale_f32 v7, null, v4, v4, 1.0
	v_div_scale_f32 v13, vcc_lo, 1.0, v4, 1.0
	v_rcp_f32_e32 v8, v7
	v_fma_f32 v9, -v7, v8, 1.0
	v_fmac_f32_e32 v8, v9, v8
	v_mul_f32_e32 v9, v13, v8
	v_fma_f32 v14, -v7, v9, v13
	v_fmac_f32_e32 v9, v14, v8
	v_fma_f32 v7, -v7, v9, v13
	v_div_fmas_f32 v7, v7, v8, v9
	v_div_fixup_f32 v4, v7, v4, 1.0
	v_mov_b32_e32 v7, v0
.LBB77_35:                              ; =>This Inner Loop Header: Depth=1
	ds_read_b32 v8, v3
	v_add_nc_u32_e32 v7, 0x80, v7
	v_cmp_le_i32_e32 vcc_lo, s4, v7
	s_or_b32 s2, vcc_lo, s2
	s_waitcnt lgkmcnt(0)
	v_mul_f32_e32 v8, v4, v8
	ds_write_b32 v3, v8
	v_add_nc_u32_e32 v3, 0x200, v3
	s_andn2_b32 exec_lo, exec_lo, s2
	s_cbranch_execnz .LBB77_35
.LBB77_36:
	s_or_b32 exec_lo, exec_lo, s1
	s_mul_i32 s1, s7, s26
	s_waitcnt lgkmcnt(0)
	s_mul_i32 s2, s1, s9
	s_mov_b32 s1, exec_lo
	s_barrier
	buffer_gl0_inv
	v_cmpx_eq_u32_e32 0, v0
	s_cbranch_execz .LBB77_38
; %bb.37:
	s_ashr_i32 s3, s2, 31
	s_mul_i32 s40, s7, s6
	s_lshl_b64 s[4:5], s[2:3], 2
	v_mov_b32_e32 v3, 0
	s_add_u32 s3, s22, s4
	s_addc_u32 s6, s23, s5
	s_ashr_i32 s41, s40, 31
	s_lshl_b64 s[22:23], s[40:41], 2
	s_add_u32 s3, s3, s22
	s_addc_u32 s6, s6, s23
	s_ashr_i32 s9, s8, 31
	s_lshl_b64 s[40:41], s[8:9], 2
	s_add_u32 s42, s3, s40
	s_addc_u32 s43, s6, s41
	s_add_u32 s3, s20, s4
	s_addc_u32 s4, s21, s5
	;; [unrolled: 2-line block ×4, first 2 shown]
	global_store_dword v3, v1, s[42:43]
	global_store_dword v3, v2, s[4:5]
.LBB77_38:
	s_or_b32 exec_lo, exec_lo, s1
	v_mov_b32_e32 v18, 0
	v_mov_b32_e32 v17, 0
	;; [unrolled: 1-line block ×6, first 2 shown]
	s_and_saveexec_b32 s3, s0
	s_cbranch_execz .LBB77_56
; %bb.39:
	s_ashr_i32 s15, s14, 31
	s_sub_i32 s4, s39, s17
	s_lshl_b64 s[0:1], s[14:15], 1
	v_lshlrev_b32_e32 v3, 4, v12
	s_add_u32 s6, s34, s0
	s_addc_u32 s9, s35, s1
	s_abs_i32 s5, s18
	s_add_i32 s36, s36, -1
	v_cvt_f32_u32_e32 v1, s5
	s_sub_i32 s0, 0, s5
	v_add_co_u32 v21, s6, s6, v3
	v_mov_b32_e32 v19, 0
	v_rcp_iflag_f32_e32 v1, v1
	v_lshl_add_u32 v20, v10, 5, 0x1a0
	v_mov_b32_e32 v13, 0
	v_mov_b32_e32 v14, 0
	;; [unrolled: 1-line block ×5, first 2 shown]
	v_add_co_ci_u32_e64 v22, null, s9, 0, s6
	v_mov_b32_e32 v18, 0
	v_mul_f32_e32 v1, 0x4f7ffffe, v1
	s_mov_b32 s9, s13
	s_mov_b32 s6, 0
	v_cvt_u32_f32_e32 v4, v1
	v_lshlrev_b64 v[1:2], 2, v[5:6]
	v_mul_lo_u32 v6, s0, v4
	s_lshl_b64 s[0:1], s[30:31], 2
	s_add_u32 s0, s28, s0
	s_addc_u32 s1, s29, s1
	v_mul_hi_u32 v8, v4, v6
	v_add_co_u32 v6, vcc_lo, s0, v1
	v_add_co_ci_u32_e64 v7, null, s1, v2, vcc_lo
	v_add_nc_u32_e32 v23, v4, v8
	s_branch .LBB77_42
.LBB77_40:                              ;   in Loop: Header=BB77_42 Depth=1
	s_or_b32 exec_lo, exec_lo, s1
	v_lshlrev_b32_e32 v24, 16, v45
	v_lshlrev_b32_e32 v9, 16, v9
	;; [unrolled: 1-line block ×3, first 2 shown]
	v_add_f32_e32 v25, v43, v44
	v_and_or_b32 v1, 0xffff, v1, v24
	v_and_or_b32 v2, 0xffff, v2, v9
	;; [unrolled: 1-line block ×3, first 2 shown]
	;;#ASMSTART
	v_pk_mul_f16 v1, v32, v1;

	;;#ASMEND
	;;#ASMSTART
	v_pk_mul_f16 v2, v31, v2;

	;;#ASMEND
	;;#ASMSTART
	v_pk_mul_f16 v3, v35, v3;

	;;#ASMEND
	;;#ASMSTART
	v_pk_mul_f16 v4, v36, v4;

	;;#ASMEND
	;;#ASMSTART
	v_pk_add_f16 v1, v1, v2;

	;;#ASMEND
	;;#ASMSTART
	v_pk_add_f16 v1, v1, v3;

	;;#ASMEND
	;; [unrolled: 4-line block ×3, first 2 shown]
	v_and_b32_e32 v4, 0xffff, v1
	v_lshrrev_b32_e32 v9, 16, v1
	;;#ASMSTART
	v_cvt_f32_f16 v4, v4;
	;;#ASMEND
	v_add_f32_e32 v8, v41, v42
	v_add_f32_e32 v1, v39, v40
	;; [unrolled: 1-line block ×4, first 2 shown]
	;;#ASMSTART
	v_cvt_f32_f16 v9, v9;
	;;#ASMEND
	v_add_f32_e32 v4, v4, v9
	v_add_f32_e32 v14, v14, v25
	v_add_f32_e32 v15, v15, v8
	v_add_f32_e32 v16, v16, v1
	v_add_f32_e32 v17, v17, v2
	v_add_f32_e32 v18, v18, v3
	v_add_f32_e32 v13, v13, v4
.LBB77_41:                              ;   in Loop: Header=BB77_42 Depth=1
	s_or_b32 exec_lo, exec_lo, s13
	v_add_nc_u32_e32 v5, 4, v5
	v_add_co_u32 v6, s0, v6, 16
	v_add_co_ci_u32_e64 v7, null, 0, v7, s0
	v_cmp_le_i32_e32 vcc_lo, s16, v5
	v_add_nc_u32_e32 v11, 32, v11
	v_add_nc_u32_e32 v20, 0x80, v20
	s_or_b32 s6, vcc_lo, s6
	s_andn2_b32 exec_lo, exec_lo, s6
	s_cbranch_execz .LBB77_55
.LBB77_42:                              ; =>This Inner Loop Header: Depth=1
	v_sub_nc_u32_e32 v1, 0, v11
	v_max_i32_e32 v1, v11, v1
	v_mul_hi_u32 v2, v1, s12
	v_mul_lo_u32 v3, v2, s11
	v_sub_nc_u32_e32 v1, v1, v3
	v_add_nc_u32_e32 v3, 1, v2
	v_subrev_nc_u32_e32 v4, s11, v1
	v_cmp_le_u32_e32 vcc_lo, s11, v1
	v_cndmask_b32_e32 v2, v2, v3, vcc_lo
	v_cndmask_b32_e32 v1, v1, v4, vcc_lo
	v_ashrrev_i32_e32 v3, 31, v11
	v_add_nc_u32_e32 v4, 1, v2
	v_cmp_le_u32_e32 vcc_lo, s11, v1
	v_xor_b32_e32 v3, s19, v3
	v_cndmask_b32_e32 v1, v2, v4, vcc_lo
	v_xor_b32_e32 v1, v1, v3
	v_sub_nc_u32_e32 v1, v1, v3
	v_add_nc_u32_e32 v2, s33, v1
	v_cmp_lt_i32_e64 s0, s4, v1
	v_sub_nc_u32_e32 v3, 0, v2
	v_max_i32_e32 v3, v2, v3
	v_ashrrev_i32_e32 v2, 31, v2
	v_mul_hi_u32 v4, v3, v23
	v_mul_lo_u32 v4, v4, s5
	v_sub_nc_u32_e32 v3, v3, v4
	v_subrev_nc_u32_e32 v4, s5, v3
	v_cmp_le_u32_e32 vcc_lo, s5, v3
	v_cndmask_b32_e32 v3, v3, v4, vcc_lo
	v_subrev_nc_u32_e32 v4, s5, v3
	v_cmp_le_u32_e32 vcc_lo, s5, v3
	v_cndmask_b32_e32 v3, v3, v4, vcc_lo
	v_xor_b32_e32 v3, v3, v2
	v_sub_nc_u32_e32 v2, v3, v2
	v_cmp_eq_u32_e32 vcc_lo, 0, v2
	s_or_b32 s0, vcc_lo, s0
	s_and_saveexec_b32 s13, s0
	s_cbranch_execz .LBB77_41
; %bb.43:                               ;   in Loop: Header=BB77_42 Depth=1
	global_load_dword v8, v[6:7], off
	ds_read2_b64 v[1:4], v20 offset1:1
	ds_read2_b64 v[24:27], v20 offset0:2 offset1:3
	v_cmp_eq_u32_e64 s0, s36, v5
	v_add_nc_u32_e32 v30, 1, v11
	v_add_nc_u32_e32 v28, 2, v11
	;; [unrolled: 1-line block ×3, first 2 shown]
	s_waitcnt lgkmcnt(1)
	;;#ASMSTART
	v_cvt_f16_f32 v32, v1;

	;;#ASMEND
	;;#ASMSTART
	v_cvt_f16_f32 v31, v2;

	;;#ASMEND
	;; [unrolled: 4-line block ×4, first 2 shown]
	s_waitcnt lgkmcnt(0)
	;;#ASMSTART
	v_cvt_f16_f32 v38, v24;

	;;#ASMEND
	;;#ASMSTART
	v_cvt_f16_f32 v34, v25;

	;;#ASMEND
	;; [unrolled: 4-line block ×4, first 2 shown]
	v_add_nc_u32_e32 v27, 3, v11
	v_add_nc_u32_e32 v25, 4, v11
	;; [unrolled: 1-line block ×4, first 2 shown]
	s_waitcnt vmcnt(0)
	v_mad_i64_i32 v[8:9], null, v8, s9, 0
	v_lshlrev_b64 v[8:9], 1, v[8:9]
	v_add_co_u32 v8, vcc_lo, v21, v8
	v_add_co_ci_u32_e64 v9, null, v22, v9, vcc_lo
	global_load_dwordx4 v[1:4], v[8:9], off
	s_waitcnt vmcnt(0)
	v_lshrrev_b32_e32 v41, 16, v1
	v_lshrrev_b32_e32 v40, 16, v2
	;; [unrolled: 1-line block ×3, first 2 shown]
	s_and_saveexec_b32 s14, s0
	s_cbranch_execz .LBB77_45
; %bb.44:                               ;   in Loop: Header=BB77_42 Depth=1
	v_cmp_gt_i32_e32 vcc_lo, s27, v11
	v_and_b32_e32 v42, 0xffff0000, v4
	v_cmp_gt_i32_e64 s1, s27, v28
	v_cndmask_b32_e32 v1, 0, v1, vcc_lo
	v_cmp_gt_i32_e32 vcc_lo, s27, v30
	v_cndmask_b32_e64 v2, 0, v2, s1
	v_cmp_gt_i32_e64 s1, s27, v27
	v_cndmask_b32_e32 v41, 0, v41, vcc_lo
	v_cmp_gt_i32_e32 vcc_lo, s27, v29
	v_cndmask_b32_e64 v40, 0, v40, s1
	v_cndmask_b32_sdwa v4, v19, v4, vcc_lo dst_sel:DWORD dst_unused:UNUSED_PAD src0_sel:DWORD src1_sel:WORD_0
	v_cmp_gt_i32_e32 vcc_lo, s27, v26
	v_cndmask_b32_e32 v42, 0, v42, vcc_lo
	v_cmp_gt_i32_e32 vcc_lo, s27, v25
	v_or_b32_e32 v4, v4, v42
	v_cndmask_b32_e32 v3, 0, v3, vcc_lo
	v_cmp_gt_i32_e32 vcc_lo, s27, v24
	v_cndmask_b32_e32 v39, 0, v39, vcc_lo
.LBB77_45:                              ;   in Loop: Header=BB77_42 Depth=1
	s_or_b32 exec_lo, exec_lo, s14
	v_and_b32_e32 v32, 0xffff, v32
	v_and_b32_e32 v37, 0xffff, v37
	v_lshlrev_b32_e32 v41, 16, v41
	v_lshlrev_b32_e32 v39, 16, v39
	v_and_b32_e32 v38, 0xffff, v38
	v_lshl_or_b32 v32, v31, 16, v32
	v_lshl_or_b32 v31, v35, 16, v37
	v_lshlrev_b32_e32 v37, 16, v40
	v_and_b32_e32 v36, 0xffff, v36
	v_and_or_b32 v1, 0xffff, v1, v41
	v_and_or_b32 v3, 0xffff, v3, v39
	;;#ASMSTART
	v_pk_mul_f16 v1, v32, v1;

	;;#ASMEND
	v_and_or_b32 v2, 0xffff, v2, v37
	v_lshl_or_b32 v35, v34, 16, v38
	v_lshl_or_b32 v36, v33, 16, v36
	;;#ASMSTART
	v_pk_mul_f16 v2, v31, v2;

	;;#ASMEND
	;;#ASMSTART
	v_pk_mul_f16 v3, v35, v3;

	;;#ASMEND
	;; [unrolled: 4-line block ×3, first 2 shown]
	;;#ASMSTART
	v_pk_add_f16 v1, v1, v2;

	;;#ASMEND
	;;#ASMSTART
	v_pk_add_f16 v1, v1, v3;

	;;#ASMEND
	;; [unrolled: 4-line block ×3, first 2 shown]
	v_and_b32_e32 v2, 0xffff, v1
	v_lshrrev_b32_e32 v1, 16, v1
	;;#ASMSTART
	v_cvt_f32_f16 v33, v2;
	;;#ASMEND
	;;#ASMSTART
	v_cvt_f32_f16 v34, v1;
	;;#ASMEND
	global_load_dwordx4 v[1:4], v[8:9], off offset:512
	s_waitcnt vmcnt(0)
	v_lshrrev_b32_e32 v39, 16, v1
	v_lshrrev_b32_e32 v38, 16, v2
	;; [unrolled: 1-line block ×3, first 2 shown]
	s_and_saveexec_b32 s14, s0
	s_cbranch_execz .LBB77_47
; %bb.46:                               ;   in Loop: Header=BB77_42 Depth=1
	v_cmp_gt_i32_e32 vcc_lo, s27, v11
	v_and_b32_e32 v40, 0xffff0000, v4
	v_cmp_gt_i32_e64 s1, s27, v28
	v_cndmask_b32_e32 v1, 0, v1, vcc_lo
	v_cmp_gt_i32_e32 vcc_lo, s27, v30
	v_cndmask_b32_e64 v2, 0, v2, s1
	v_cmp_gt_i32_e64 s1, s27, v27
	v_cndmask_b32_e32 v39, 0, v39, vcc_lo
	v_cmp_gt_i32_e32 vcc_lo, s27, v29
	v_cndmask_b32_e64 v38, 0, v38, s1
	v_cndmask_b32_sdwa v4, v19, v4, vcc_lo dst_sel:DWORD dst_unused:UNUSED_PAD src0_sel:DWORD src1_sel:WORD_0
	v_cmp_gt_i32_e32 vcc_lo, s27, v26
	v_cndmask_b32_e32 v40, 0, v40, vcc_lo
	v_cmp_gt_i32_e32 vcc_lo, s27, v25
	v_or_b32_e32 v4, v4, v40
	v_cndmask_b32_e32 v3, 0, v3, vcc_lo
	v_cmp_gt_i32_e32 vcc_lo, s27, v24
	v_cndmask_b32_e32 v37, 0, v37, vcc_lo
.LBB77_47:                              ;   in Loop: Header=BB77_42 Depth=1
	s_or_b32 exec_lo, exec_lo, s14
	v_lshlrev_b32_e32 v39, 16, v39
	v_lshlrev_b32_e32 v38, 16, v38
	;; [unrolled: 1-line block ×3, first 2 shown]
	v_and_or_b32 v1, 0xffff, v1, v39
	v_and_or_b32 v2, 0xffff, v2, v38
	;; [unrolled: 1-line block ×3, first 2 shown]
	;;#ASMSTART
	v_pk_mul_f16 v1, v32, v1;

	;;#ASMEND
	;;#ASMSTART
	v_pk_mul_f16 v2, v31, v2;

	;;#ASMEND
	;; [unrolled: 4-line block ×4, first 2 shown]
	;;#ASMSTART
	v_pk_add_f16 v1, v1, v2;

	;;#ASMEND
	;;#ASMSTART
	v_pk_add_f16 v1, v1, v3;

	;;#ASMEND
	;; [unrolled: 4-line block ×3, first 2 shown]
	v_and_b32_e32 v2, 0xffff, v1
	v_lshrrev_b32_e32 v1, 16, v1
	;;#ASMSTART
	v_cvt_f32_f16 v37, v2;
	;;#ASMEND
	;;#ASMSTART
	v_cvt_f32_f16 v38, v1;
	;;#ASMEND
	global_load_dwordx4 v[1:4], v[8:9], off offset:1024
	s_waitcnt vmcnt(0)
	v_lshrrev_b32_e32 v41, 16, v1
	v_lshrrev_b32_e32 v40, 16, v2
	;; [unrolled: 1-line block ×3, first 2 shown]
	s_and_saveexec_b32 s14, s0
	s_cbranch_execz .LBB77_49
; %bb.48:                               ;   in Loop: Header=BB77_42 Depth=1
	v_cmp_gt_i32_e32 vcc_lo, s27, v11
	v_and_b32_e32 v42, 0xffff0000, v4
	v_cmp_gt_i32_e64 s1, s27, v28
	v_cndmask_b32_e32 v1, 0, v1, vcc_lo
	v_cmp_gt_i32_e32 vcc_lo, s27, v30
	v_cndmask_b32_e64 v2, 0, v2, s1
	v_cmp_gt_i32_e64 s1, s27, v27
	v_cndmask_b32_e32 v41, 0, v41, vcc_lo
	v_cmp_gt_i32_e32 vcc_lo, s27, v29
	v_cndmask_b32_e64 v40, 0, v40, s1
	v_cndmask_b32_sdwa v4, v19, v4, vcc_lo dst_sel:DWORD dst_unused:UNUSED_PAD src0_sel:DWORD src1_sel:WORD_0
	v_cmp_gt_i32_e32 vcc_lo, s27, v26
	v_cndmask_b32_e32 v42, 0, v42, vcc_lo
	v_cmp_gt_i32_e32 vcc_lo, s27, v25
	v_or_b32_e32 v4, v4, v42
	v_cndmask_b32_e32 v3, 0, v3, vcc_lo
	v_cmp_gt_i32_e32 vcc_lo, s27, v24
	v_cndmask_b32_e32 v39, 0, v39, vcc_lo
.LBB77_49:                              ;   in Loop: Header=BB77_42 Depth=1
	s_or_b32 exec_lo, exec_lo, s14
	v_lshlrev_b32_e32 v41, 16, v41
	v_lshlrev_b32_e32 v40, 16, v40
	;; [unrolled: 1-line block ×3, first 2 shown]
	v_and_or_b32 v1, 0xffff, v1, v41
	v_and_or_b32 v2, 0xffff, v2, v40
	;; [unrolled: 1-line block ×3, first 2 shown]
	;;#ASMSTART
	v_pk_mul_f16 v1, v32, v1;

	;;#ASMEND
	;;#ASMSTART
	v_pk_mul_f16 v2, v31, v2;

	;;#ASMEND
	;; [unrolled: 4-line block ×4, first 2 shown]
	;;#ASMSTART
	v_pk_add_f16 v1, v1, v2;

	;;#ASMEND
	;;#ASMSTART
	v_pk_add_f16 v1, v1, v3;

	;;#ASMEND
	;; [unrolled: 4-line block ×3, first 2 shown]
	v_and_b32_e32 v2, 0xffff, v1
	v_lshrrev_b32_e32 v1, 16, v1
	;;#ASMSTART
	v_cvt_f32_f16 v39, v2;
	;;#ASMEND
	;;#ASMSTART
	v_cvt_f32_f16 v40, v1;
	;;#ASMEND
	global_load_dwordx4 v[1:4], v[8:9], off offset:1536
	s_waitcnt vmcnt(0)
	v_lshrrev_b32_e32 v43, 16, v1
	v_lshrrev_b32_e32 v42, 16, v2
	;; [unrolled: 1-line block ×3, first 2 shown]
	s_and_saveexec_b32 s14, s0
	s_cbranch_execz .LBB77_51
; %bb.50:                               ;   in Loop: Header=BB77_42 Depth=1
	v_cmp_gt_i32_e32 vcc_lo, s27, v11
	v_and_b32_e32 v44, 0xffff0000, v4
	v_cmp_gt_i32_e64 s1, s27, v28
	v_cndmask_b32_e32 v1, 0, v1, vcc_lo
	v_cmp_gt_i32_e32 vcc_lo, s27, v30
	v_cndmask_b32_e64 v2, 0, v2, s1
	v_cmp_gt_i32_e64 s1, s27, v27
	v_cndmask_b32_e32 v43, 0, v43, vcc_lo
	v_cmp_gt_i32_e32 vcc_lo, s27, v29
	v_cndmask_b32_e64 v42, 0, v42, s1
	v_cndmask_b32_sdwa v4, v19, v4, vcc_lo dst_sel:DWORD dst_unused:UNUSED_PAD src0_sel:DWORD src1_sel:WORD_0
	v_cmp_gt_i32_e32 vcc_lo, s27, v26
	v_cndmask_b32_e32 v44, 0, v44, vcc_lo
	v_cmp_gt_i32_e32 vcc_lo, s27, v25
	v_or_b32_e32 v4, v4, v44
	v_cndmask_b32_e32 v3, 0, v3, vcc_lo
	v_cmp_gt_i32_e32 vcc_lo, s27, v24
	v_cndmask_b32_e32 v41, 0, v41, vcc_lo
.LBB77_51:                              ;   in Loop: Header=BB77_42 Depth=1
	s_or_b32 exec_lo, exec_lo, s14
	v_lshlrev_b32_e32 v43, 16, v43
	v_lshlrev_b32_e32 v42, 16, v42
	;; [unrolled: 1-line block ×3, first 2 shown]
	v_add_co_u32 v8, vcc_lo, 0x800, v8
	v_and_or_b32 v1, 0xffff, v1, v43
	v_and_or_b32 v2, 0xffff, v2, v42
	;; [unrolled: 1-line block ×3, first 2 shown]
	;;#ASMSTART
	v_pk_mul_f16 v1, v32, v1;

	;;#ASMEND
	v_add_co_ci_u32_e64 v9, null, 0, v9, vcc_lo
	;;#ASMSTART
	v_pk_mul_f16 v2, v31, v2;

	;;#ASMEND
	;;#ASMSTART
	v_pk_mul_f16 v3, v35, v3;

	;;#ASMEND
	;; [unrolled: 4-line block ×3, first 2 shown]
	;;#ASMSTART
	v_pk_add_f16 v1, v1, v2;

	;;#ASMEND
	;;#ASMSTART
	v_pk_add_f16 v1, v1, v3;

	;;#ASMEND
	;; [unrolled: 4-line block ×3, first 2 shown]
	v_lshrrev_b32_e32 v2, 16, v1
	v_and_b32_e32 v1, 0xffff, v1
	;;#ASMSTART
	v_cvt_f32_f16 v41, v1;
	;;#ASMEND
	;;#ASMSTART
	v_cvt_f32_f16 v42, v2;
	;;#ASMEND
	global_load_dwordx4 v[1:4], v[8:9], off
	s_waitcnt vmcnt(0)
	v_lshrrev_b32_e32 v45, 16, v1
	v_lshrrev_b32_e32 v44, 16, v2
	;; [unrolled: 1-line block ×3, first 2 shown]
	s_and_saveexec_b32 s14, s0
	s_cbranch_execz .LBB77_53
; %bb.52:                               ;   in Loop: Header=BB77_42 Depth=1
	v_cmp_gt_i32_e32 vcc_lo, s27, v11
	v_and_b32_e32 v46, 0xffff0000, v4
	v_cmp_gt_i32_e64 s1, s27, v28
	v_cndmask_b32_e32 v1, 0, v1, vcc_lo
	v_cmp_gt_i32_e32 vcc_lo, s27, v30
	v_cndmask_b32_e64 v2, 0, v2, s1
	v_cmp_gt_i32_e64 s1, s27, v27
	v_cndmask_b32_e32 v45, 0, v45, vcc_lo
	v_cmp_gt_i32_e32 vcc_lo, s27, v29
	v_cndmask_b32_e64 v44, 0, v44, s1
	v_cndmask_b32_sdwa v4, v19, v4, vcc_lo dst_sel:DWORD dst_unused:UNUSED_PAD src0_sel:DWORD src1_sel:WORD_0
	v_cmp_gt_i32_e32 vcc_lo, s27, v26
	v_cndmask_b32_e32 v46, 0, v46, vcc_lo
	v_cmp_gt_i32_e32 vcc_lo, s27, v25
	v_or_b32_e32 v4, v4, v46
	v_cndmask_b32_e32 v3, 0, v3, vcc_lo
	v_cmp_gt_i32_e32 vcc_lo, s27, v24
	v_cndmask_b32_e32 v43, 0, v43, vcc_lo
.LBB77_53:                              ;   in Loop: Header=BB77_42 Depth=1
	s_or_b32 exec_lo, exec_lo, s14
	v_lshlrev_b32_e32 v45, 16, v45
	v_lshlrev_b32_e32 v44, 16, v44
	;; [unrolled: 1-line block ×3, first 2 shown]
	v_and_or_b32 v1, 0xffff, v1, v45
	v_and_or_b32 v2, 0xffff, v2, v44
	;; [unrolled: 1-line block ×3, first 2 shown]
	;;#ASMSTART
	v_pk_mul_f16 v1, v32, v1;

	;;#ASMEND
	;;#ASMSTART
	v_pk_mul_f16 v2, v31, v2;

	;;#ASMEND
	;; [unrolled: 4-line block ×4, first 2 shown]
	;;#ASMSTART
	v_pk_add_f16 v1, v1, v2;

	;;#ASMEND
	;;#ASMSTART
	v_pk_add_f16 v1, v1, v3;

	;;#ASMEND
	;; [unrolled: 4-line block ×3, first 2 shown]
	v_and_b32_e32 v2, 0xffff, v1
	v_lshrrev_b32_e32 v1, 16, v1
	;;#ASMSTART
	v_cvt_f32_f16 v43, v2;
	;;#ASMEND
	;;#ASMSTART
	v_cvt_f32_f16 v44, v1;
	;;#ASMEND
	global_load_dwordx4 v[1:4], v[8:9], off offset:512
	s_waitcnt vmcnt(0)
	v_lshrrev_b32_e32 v45, 16, v1
	v_lshrrev_b32_e32 v9, 16, v2
	;; [unrolled: 1-line block ×3, first 2 shown]
	s_and_saveexec_b32 s1, s0
	s_cbranch_execz .LBB77_40
; %bb.54:                               ;   in Loop: Header=BB77_42 Depth=1
	v_cmp_gt_i32_e32 vcc_lo, s27, v11
	v_cmp_gt_i32_e64 s0, s27, v28
	v_cndmask_b32_e32 v1, 0, v1, vcc_lo
	v_cmp_gt_i32_e32 vcc_lo, s27, v30
	v_cndmask_b32_e64 v2, 0, v2, s0
	v_cmp_gt_i32_e64 s0, s27, v27
	v_and_b32_e32 v27, 0xffff0000, v4
	v_cndmask_b32_e32 v45, 0, v45, vcc_lo
	v_cmp_gt_i32_e32 vcc_lo, s27, v29
	v_cndmask_b32_e64 v9, 0, v9, s0
	v_cndmask_b32_sdwa v4, v19, v4, vcc_lo dst_sel:DWORD dst_unused:UNUSED_PAD src0_sel:DWORD src1_sel:WORD_0
	v_cmp_gt_i32_e32 vcc_lo, s27, v26
	v_cndmask_b32_e32 v26, 0, v27, vcc_lo
	v_cmp_gt_i32_e32 vcc_lo, s27, v25
	v_or_b32_e32 v4, v4, v26
	v_cndmask_b32_e32 v3, 0, v3, vcc_lo
	v_cmp_gt_i32_e32 vcc_lo, s27, v24
	v_cndmask_b32_e32 v8, 0, v8, vcc_lo
	s_branch .LBB77_40
.LBB77_55:
	s_or_b32 exec_lo, exec_lo, s6
.LBB77_56:
	s_or_b32 exec_lo, exec_lo, s3
	v_lshl_add_u32 v2, v12, 2, 0x1a0
	v_and_b32_e32 v3, 0x3c0, v0
	s_mov_b32 s0, exec_lo
	s_waitcnt_vscnt null, 0x0
	s_barrier
	v_mad_u32_u24 v1, 0x300, v10, v2
	buffer_gl0_inv
	v_cmpx_eq_u32_e32 64, v3
	s_cbranch_execz .LBB77_58
; %bb.57:
	v_add_nc_u32_e32 v3, 0xfffffa00, v1
	v_add_nc_u32_e32 v4, 0xfffffa80, v1
	;; [unrolled: 1-line block ×5, first 2 shown]
	ds_write_b32 v3, v18
	v_add_nc_u32_e32 v3, 0xfffffc80, v1
	ds_write_b32 v4, v17
	ds_write_b32 v5, v16
	;; [unrolled: 1-line block ×5, first 2 shown]
.LBB77_58:
	s_or_b32 exec_lo, exec_lo, s0
	s_mov_b32 s0, exec_lo
	s_waitcnt lgkmcnt(0)
	s_barrier
	buffer_gl0_inv
	v_cmpx_gt_u32_e32 64, v0
	s_cbranch_execz .LBB77_60
; %bb.59:
	ds_read2_b32 v[3:4], v1 offset1:32
	ds_read2_b32 v[5:6], v1 offset0:64 offset1:96
	ds_read2_b32 v[7:8], v1 offset0:128 offset1:160
	s_waitcnt lgkmcnt(2)
	v_add_f32_e32 v18, v18, v3
	v_add_f32_e32 v17, v17, v4
	s_waitcnt lgkmcnt(1)
	v_add_f32_e32 v16, v16, v5
	v_add_f32_e32 v15, v15, v6
	;; [unrolled: 3-line block ×3, first 2 shown]
.LBB77_60:
	s_or_b32 exec_lo, exec_lo, s0
	v_and_b32_e32 v3, 0x3e0, v0
	s_mov_b32 s0, exec_lo
	s_barrier
	buffer_gl0_inv
	v_cmpx_eq_u32_e32 32, v3
	s_cbranch_execz .LBB77_62
; %bb.61:
	ds_write2_b32 v2, v18, v17 offset1:32
	ds_write2_b32 v2, v16, v15 offset0:64 offset1:96
	ds_write2_b32 v2, v14, v13 offset0:128 offset1:160
.LBB77_62:
	s_or_b32 exec_lo, exec_lo, s0
	v_cmp_gt_u32_e32 vcc_lo, 32, v0
	s_waitcnt lgkmcnt(0)
	s_barrier
	buffer_gl0_inv
	s_and_saveexec_b32 s0, vcc_lo
	s_cbranch_execz .LBB77_64
; %bb.63:
	ds_read2_b32 v[2:3], v1 offset1:32
	ds_read2_b32 v[4:5], v1 offset0:64 offset1:96
	ds_read2_b32 v[6:7], v1 offset0:128 offset1:160
	s_waitcnt lgkmcnt(2)
	v_add_f32_e32 v18, v18, v2
	v_add_f32_e32 v17, v17, v3
	s_waitcnt lgkmcnt(1)
	v_add_f32_e32 v16, v16, v4
	v_add_f32_e32 v15, v15, v5
	;; [unrolled: 3-line block ×3, first 2 shown]
.LBB77_64:
	s_or_b32 exec_lo, exec_lo, s0
	s_barrier
	buffer_gl0_inv
	s_and_saveexec_b32 s0, vcc_lo
	s_cbranch_execz .LBB77_66
; %bb.65:
	s_mul_i32 s0, s2, 0xc0
	s_mul_i32 s2, s7, s10
	s_ashr_i32 s1, s0, 31
	v_lshlrev_b32_e32 v0, 1, v0
	s_lshl_b64 s[0:1], s[0:1], 1
	;;#ASMSTART
	v_cvt_f16_f32 v1, v18;

	;;#ASMEND
	s_add_u32 s4, s24, s0
	s_addc_u32 s5, s25, s1
	s_ashr_i32 s3, s2, 31
	s_lshl_b64 s[0:1], s[2:3], 1
	s_mul_i32 s2, s8, 0xc0
	s_add_u32 s4, s4, s0
	s_addc_u32 s5, s5, s1
	s_ashr_i32 s3, s2, 31
	s_lshl_b64 s[0:1], s[2:3], 1
	s_add_u32 s0, s4, s0
	s_addc_u32 s1, s5, s1
	global_store_short v0, v1, s[0:1]
	;;#ASMSTART
	v_cvt_f16_f32 v1, v17;

	;;#ASMEND
	global_store_short v0, v1, s[0:1] offset:64
	;;#ASMSTART
	v_cvt_f16_f32 v1, v16;

	;;#ASMEND
	global_store_short v0, v1, s[0:1] offset:128
	;; [unrolled: 5-line block ×5, first 2 shown]
.LBB77_66:
	s_endpgm
	.section	.rodata,"a",@progbits
	.p2align	6, 0x0
	.amdhsa_kernel _ZN4vllm25paged_attention_v2_kernelIttLi192ELi8ELi128ELNS_18Fp8KVCacheDataTypeE0ELb1ELi512EEEvPfS2_PT_PKS3_PKT0_S9_ifPKiSB_iPKfiiiSD_SD_iiiii
		.amdhsa_group_segment_fixed_size 416
		.amdhsa_private_segment_fixed_size 0
		.amdhsa_kernarg_size 400
		.amdhsa_user_sgpr_count 6
		.amdhsa_user_sgpr_private_segment_buffer 1
		.amdhsa_user_sgpr_dispatch_ptr 0
		.amdhsa_user_sgpr_queue_ptr 0
		.amdhsa_user_sgpr_kernarg_segment_ptr 1
		.amdhsa_user_sgpr_dispatch_id 0
		.amdhsa_user_sgpr_flat_scratch_init 0
		.amdhsa_user_sgpr_private_segment_size 0
		.amdhsa_wavefront_size32 1
		.amdhsa_uses_dynamic_stack 0
		.amdhsa_system_sgpr_private_segment_wavefront_offset 0
		.amdhsa_system_sgpr_workgroup_id_x 1
		.amdhsa_system_sgpr_workgroup_id_y 1
		.amdhsa_system_sgpr_workgroup_id_z 1
		.amdhsa_system_sgpr_workgroup_info 0
		.amdhsa_system_vgpr_workitem_id 0
		.amdhsa_next_free_vgpr 90
		.amdhsa_next_free_sgpr 46
		.amdhsa_reserve_vcc 1
		.amdhsa_reserve_flat_scratch 0
		.amdhsa_float_round_mode_32 0
		.amdhsa_float_round_mode_16_64 0
		.amdhsa_float_denorm_mode_32 3
		.amdhsa_float_denorm_mode_16_64 3
		.amdhsa_dx10_clamp 1
		.amdhsa_ieee_mode 1
		.amdhsa_fp16_overflow 0
		.amdhsa_workgroup_processor_mode 1
		.amdhsa_memory_ordered 1
		.amdhsa_forward_progress 1
		.amdhsa_shared_vgpr_count 0
		.amdhsa_exception_fp_ieee_invalid_op 0
		.amdhsa_exception_fp_denorm_src 0
		.amdhsa_exception_fp_ieee_div_zero 0
		.amdhsa_exception_fp_ieee_overflow 0
		.amdhsa_exception_fp_ieee_underflow 0
		.amdhsa_exception_fp_ieee_inexact 0
		.amdhsa_exception_int_div_zero 0
	.end_amdhsa_kernel
	.section	.text._ZN4vllm25paged_attention_v2_kernelIttLi192ELi8ELi128ELNS_18Fp8KVCacheDataTypeE0ELb1ELi512EEEvPfS2_PT_PKS3_PKT0_S9_ifPKiSB_iPKfiiiSD_SD_iiiii,"axG",@progbits,_ZN4vllm25paged_attention_v2_kernelIttLi192ELi8ELi128ELNS_18Fp8KVCacheDataTypeE0ELb1ELi512EEEvPfS2_PT_PKS3_PKT0_S9_ifPKiSB_iPKfiiiSD_SD_iiiii,comdat
.Lfunc_end77:
	.size	_ZN4vllm25paged_attention_v2_kernelIttLi192ELi8ELi128ELNS_18Fp8KVCacheDataTypeE0ELb1ELi512EEEvPfS2_PT_PKS3_PKT0_S9_ifPKiSB_iPKfiiiSD_SD_iiiii, .Lfunc_end77-_ZN4vllm25paged_attention_v2_kernelIttLi192ELi8ELi128ELNS_18Fp8KVCacheDataTypeE0ELb1ELi512EEEvPfS2_PT_PKS3_PKT0_S9_ifPKiSB_iPKfiiiSD_SD_iiiii
                                        ; -- End function
	.set _ZN4vllm25paged_attention_v2_kernelIttLi192ELi8ELi128ELNS_18Fp8KVCacheDataTypeE0ELb1ELi512EEEvPfS2_PT_PKS3_PKT0_S9_ifPKiSB_iPKfiiiSD_SD_iiiii.num_vgpr, 90
	.set _ZN4vllm25paged_attention_v2_kernelIttLi192ELi8ELi128ELNS_18Fp8KVCacheDataTypeE0ELb1ELi512EEEvPfS2_PT_PKS3_PKT0_S9_ifPKiSB_iPKfiiiSD_SD_iiiii.num_agpr, 0
	.set _ZN4vllm25paged_attention_v2_kernelIttLi192ELi8ELi128ELNS_18Fp8KVCacheDataTypeE0ELb1ELi512EEEvPfS2_PT_PKS3_PKT0_S9_ifPKiSB_iPKfiiiSD_SD_iiiii.numbered_sgpr, 46
	.set _ZN4vllm25paged_attention_v2_kernelIttLi192ELi8ELi128ELNS_18Fp8KVCacheDataTypeE0ELb1ELi512EEEvPfS2_PT_PKS3_PKT0_S9_ifPKiSB_iPKfiiiSD_SD_iiiii.num_named_barrier, 0
	.set _ZN4vllm25paged_attention_v2_kernelIttLi192ELi8ELi128ELNS_18Fp8KVCacheDataTypeE0ELb1ELi512EEEvPfS2_PT_PKS3_PKT0_S9_ifPKiSB_iPKfiiiSD_SD_iiiii.private_seg_size, 0
	.set _ZN4vllm25paged_attention_v2_kernelIttLi192ELi8ELi128ELNS_18Fp8KVCacheDataTypeE0ELb1ELi512EEEvPfS2_PT_PKS3_PKT0_S9_ifPKiSB_iPKfiiiSD_SD_iiiii.uses_vcc, 1
	.set _ZN4vllm25paged_attention_v2_kernelIttLi192ELi8ELi128ELNS_18Fp8KVCacheDataTypeE0ELb1ELi512EEEvPfS2_PT_PKS3_PKT0_S9_ifPKiSB_iPKfiiiSD_SD_iiiii.uses_flat_scratch, 0
	.set _ZN4vllm25paged_attention_v2_kernelIttLi192ELi8ELi128ELNS_18Fp8KVCacheDataTypeE0ELb1ELi512EEEvPfS2_PT_PKS3_PKT0_S9_ifPKiSB_iPKfiiiSD_SD_iiiii.has_dyn_sized_stack, 0
	.set _ZN4vllm25paged_attention_v2_kernelIttLi192ELi8ELi128ELNS_18Fp8KVCacheDataTypeE0ELb1ELi512EEEvPfS2_PT_PKS3_PKT0_S9_ifPKiSB_iPKfiiiSD_SD_iiiii.has_recursion, 0
	.set _ZN4vllm25paged_attention_v2_kernelIttLi192ELi8ELi128ELNS_18Fp8KVCacheDataTypeE0ELb1ELi512EEEvPfS2_PT_PKS3_PKT0_S9_ifPKiSB_iPKfiiiSD_SD_iiiii.has_indirect_call, 0
	.section	.AMDGPU.csdata,"",@progbits
; Kernel info:
; codeLenInByte = 9608
; TotalNumSgprs: 48
; NumVgprs: 90
; ScratchSize: 0
; MemoryBound: 0
; FloatMode: 240
; IeeeMode: 1
; LDSByteSize: 416 bytes/workgroup (compile time only)
; SGPRBlocks: 0
; VGPRBlocks: 11
; NumSGPRsForWavesPerEU: 48
; NumVGPRsForWavesPerEU: 90
; Occupancy: 10
; WaveLimiterHint : 1
; COMPUTE_PGM_RSRC2:SCRATCH_EN: 0
; COMPUTE_PGM_RSRC2:USER_SGPR: 6
; COMPUTE_PGM_RSRC2:TRAP_HANDLER: 0
; COMPUTE_PGM_RSRC2:TGID_X_EN: 1
; COMPUTE_PGM_RSRC2:TGID_Y_EN: 1
; COMPUTE_PGM_RSRC2:TGID_Z_EN: 1
; COMPUTE_PGM_RSRC2:TIDIG_COMP_CNT: 0
	.section	.text._ZN4vllm32paged_attention_v2_reduce_kernelItLi192ELi128ELi512EEEvPT_PKfS4_PKS1_PKii,"axG",@progbits,_ZN4vllm32paged_attention_v2_reduce_kernelItLi192ELi128ELi512EEEvPT_PKfS4_PKS1_PKii,comdat
	.protected	_ZN4vllm32paged_attention_v2_reduce_kernelItLi192ELi128ELi512EEEvPT_PKfS4_PKS1_PKii ; -- Begin function _ZN4vllm32paged_attention_v2_reduce_kernelItLi192ELi128ELi512EEEvPT_PKfS4_PKS1_PKii
	.globl	_ZN4vllm32paged_attention_v2_reduce_kernelItLi192ELi128ELi512EEEvPT_PKfS4_PKS1_PKii
	.p2align	8
	.type	_ZN4vllm32paged_attention_v2_reduce_kernelItLi192ELi128ELi512EEEvPT_PKfS4_PKS1_PKii,@function
_ZN4vllm32paged_attention_v2_reduce_kernelItLi192ELi128ELi512EEEvPT_PKfS4_PKS1_PKii: ; @_ZN4vllm32paged_attention_v2_reduce_kernelItLi192ELi128ELi512EEEvPT_PKfS4_PKS1_PKii
; %bb.0:
	s_load_dwordx4 s[8:11], s[4:5], 0x18
	s_add_u32 s14, s4, 48
	s_mov_b32 s12, s7
	s_addc_u32 s15, s5, 0
	s_ashr_i32 s13, s7, 31
	s_lshl_b64 s[0:1], s[12:13], 2
	s_waitcnt lgkmcnt(0)
	s_add_u32 s0, s10, s0
	s_addc_u32 s1, s11, s1
	s_load_dword s22, s[0:1], 0x0
	s_clause 0x2
	s_load_dwordx2 s[10:11], s[4:5], 0x0
	s_load_dword s7, s[4:5], 0x28
	s_load_dword s13, s[4:5], 0x30
	s_waitcnt lgkmcnt(0)
	s_add_i32 s0, s22, -1
	s_cmpk_gt_u32 s0, 0x1ff
	s_mov_b32 s0, -1
	s_cbranch_scc0 .LBB78_31
; %bb.1:
	s_load_dwordx2 s[2:3], s[4:5], 0x8
	s_add_i32 s0, s22, 0x1ff
	s_mul_i32 s20, s13, s12
	s_ashr_i32 s1, s0, 31
	v_mov_b32_e32 v4, 0xff7fffff
	s_lshr_b32 s1, s1, 23
	v_lshlrev_b32_e32 v3, 2, v0
	s_add_i32 s0, s0, s1
	s_mul_i32 s16, s20, s7
	s_ashr_i32 s21, s0, 9
	s_mul_i32 s18, s7, s6
	v_cmp_gt_i32_e32 vcc_lo, s21, v0
	s_ashr_i32 s17, s16, 31
	s_ashr_i32 s19, s18, 31
	s_and_saveexec_b32 s1, vcc_lo
	s_cbranch_execz .LBB78_5
; %bb.2:
	s_load_dword s0, s[14:15], 0xc
	s_load_dwordx2 s[24:25], s[4:5], 0x10
	s_lshl_b64 s[26:27], s[16:17], 2
	s_lshl_b64 s[28:29], s[18:19], 2
	v_add_nc_u32_e32 v5, 32, v3
	v_mov_b32_e32 v4, 0xff7fffff
	v_mov_b32_e32 v6, v0
	s_waitcnt lgkmcnt(0)
	s_and_b32 s4, s0, 0xffff
	s_add_u32 s0, s26, s28
	s_addc_u32 s5, s27, s29
	s_add_u32 s0, s24, s0
	s_addc_u32 s5, s25, s5
	v_add_co_u32 v1, s0, s0, v3
	v_add_co_ci_u32_e64 v2, null, s5, 0, s0
	s_mov_b32 s5, 0
	s_lshl_b32 s23, s4, 2
	.p2align	6
.LBB78_3:                               ; =>This Inner Loop Header: Depth=1
	global_load_dword v7, v[1:2], off
	v_add_nc_u32_e32 v6, s4, v6
	v_max_f32_e32 v4, v4, v4
	v_add_co_u32 v1, s0, v1, s23
	v_add_co_ci_u32_e64 v2, null, 0, v2, s0
	v_cmp_le_i32_e64 s0, s21, v6
	s_or_b32 s5, s0, s5
	s_waitcnt vmcnt(0)
	v_max_f32_e32 v8, v7, v7
	ds_write_b32 v5, v7
	v_add_nc_u32_e32 v5, s23, v5
	v_max_f32_e32 v4, v4, v8
	s_andn2_b32 exec_lo, exec_lo, s5
	s_cbranch_execnz .LBB78_3
; %bb.4:
	s_or_b32 exec_lo, exec_lo, s5
.LBB78_5:
	s_or_b32 exec_lo, exec_lo, s1
	v_mbcnt_lo_u32_b32 v1, -1, 0
	s_waitcnt lgkmcnt(0)
	s_barrier
	buffer_gl0_inv
	v_xor_b32_e32 v2, 16, v1
	v_xor_b32_e32 v5, 8, v1
	v_cmp_gt_i32_e64 s0, 32, v2
	v_cndmask_b32_e64 v2, v1, v2, s0
	v_cmp_gt_i32_e64 s0, 32, v5
	v_lshlrev_b32_e32 v6, 2, v2
	v_cndmask_b32_e64 v5, v1, v5, s0
	ds_bpermute_b32 v2, v6, v4
	v_max_f32_e32 v4, v4, v4
	v_lshlrev_b32_e32 v7, 2, v5
	v_xor_b32_e32 v5, 4, v1
	v_cmp_gt_i32_e64 s0, 32, v5
	v_cndmask_b32_e64 v5, v1, v5, s0
	v_lshlrev_b32_e32 v8, 2, v5
	v_xor_b32_e32 v5, 2, v1
	s_waitcnt lgkmcnt(0)
	v_max_f32_e32 v2, v2, v2
	v_cmp_gt_i32_e64 s0, 32, v5
	v_max_f32_e32 v2, v4, v2
	v_cndmask_b32_e64 v5, v1, v5, s0
	ds_bpermute_b32 v4, v7, v2
	s_waitcnt lgkmcnt(0)
	v_max_f32_e32 v4, v4, v4
	v_max_f32_e32 v2, v2, v4
	ds_bpermute_b32 v4, v8, v2
	s_waitcnt lgkmcnt(0)
	v_max_f32_e32 v9, v4, v4
	v_lshlrev_b32_e32 v4, 2, v5
	v_max_f32_e32 v2, v2, v9
	v_xor_b32_e32 v9, 1, v1
	ds_bpermute_b32 v5, v4, v2
	v_cmp_gt_i32_e64 s0, 32, v9
	v_cndmask_b32_e64 v1, v1, v9, s0
	v_lshrrev_b32_e32 v9, 5, v0
	v_lshlrev_b32_e32 v9, 2, v9
	s_waitcnt lgkmcnt(0)
	v_max_f32_e32 v5, v5, v5
	v_max_f32_e32 v2, v2, v5
	v_lshlrev_b32_e32 v5, 2, v1
	v_and_b32_e32 v1, 31, v0
	ds_bpermute_b32 v10, v5, v2
	v_cmp_eq_u32_e64 s0, 0, v1
	s_and_saveexec_b32 s1, s0
	s_cbranch_execz .LBB78_7
; %bb.6:
	s_waitcnt lgkmcnt(0)
	v_max_f32_e32 v10, v10, v10
	v_max_f32_e32 v2, v2, v2
	;; [unrolled: 1-line block ×3, first 2 shown]
	ds_write_b32 v9, v2
.LBB78_7:
	s_or_b32 exec_lo, exec_lo, s1
	v_cmp_gt_u32_e64 s1, 4, v1
	v_mov_b32_e32 v2, 0xff7fffff
	s_waitcnt lgkmcnt(0)
	v_lshlrev_b32_e32 v10, 2, v1
	s_barrier
	buffer_gl0_inv
	s_and_saveexec_b32 s4, s1
; %bb.8:
	ds_read_b32 v2, v10
; %bb.9:
	s_or_b32 exec_lo, exec_lo, s4
	s_waitcnt lgkmcnt(0)
	ds_bpermute_b32 v1, v4, v2
	v_max_f32_e32 v2, v2, v2
	v_mov_b32_e32 v11, 0
	s_lshl_b32 s5, s21, 2
	s_waitcnt lgkmcnt(0)
	v_max_f32_e32 v1, v1, v1
	v_max_f32_e32 v1, v2, v1
	ds_bpermute_b32 v2, v5, v1
	s_waitcnt lgkmcnt(0)
	v_max_f32_e32 v2, v2, v2
	v_max_f32_e32 v1, v1, v2
	ds_bpermute_b32 v12, v11, v1
	s_and_saveexec_b32 s4, vcc_lo
	s_cbranch_execz .LBB78_13
; %bb.10:
	s_load_dword s23, s[14:15], 0xc
	s_lshl_b64 s[24:25], s[16:17], 2
	s_lshl_b64 s[26:27], s[18:19], 2
	v_mov_b32_e32 v11, 0
	v_add_nc_u32_e32 v13, 32, v3
	s_waitcnt lgkmcnt(0)
	s_and_b32 s17, s23, 0xffff
	s_add_u32 s19, s24, s26
	s_addc_u32 s23, s25, s27
	s_add_u32 s2, s2, s19
	s_addc_u32 s3, s3, s23
	v_add_co_u32 v1, s2, s2, v3
	v_add_co_ci_u32_e64 v2, null, s3, 0, s2
	v_mov_b32_e32 v3, v0
	s_mov_b32 s3, 0
	s_lshl_b32 s19, s17, 2
	s_inst_prefetch 0x1
	.p2align	6
.LBB78_11:                              ; =>This Inner Loop Header: Depth=1
	global_load_dword v14, v[1:2], off
	ds_read_b32 v15, v13
	v_add_nc_u32_e32 v3, s17, v3
	s_waitcnt lgkmcnt(0)
	v_sub_f32_e32 v15, v15, v12
	v_mul_f32_e32 v16, 0x3fb8aa3b, v15
	v_cmp_ngt_f32_e32 vcc_lo, 0xc2ce8ed0, v15
	v_cmp_nlt_f32_e64 s2, 0x42b17218, v15
	v_fma_f32 v17, 0x3fb8aa3b, v15, -v16
	v_rndne_f32_e32 v18, v16
	v_fmac_f32_e32 v17, 0x32a5705f, v15
	v_sub_f32_e32 v16, v16, v18
	v_add_f32_e32 v16, v16, v17
	v_cvt_i32_f32_e32 v17, v18
	v_exp_f32_e32 v16, v16
	v_ldexp_f32 v16, v16, v17
	v_add_nc_u32_e32 v17, s5, v13
	v_add_nc_u32_e32 v13, s19, v13
	v_cndmask_b32_e32 v16, 0, v16, vcc_lo
	v_add_co_u32 v1, vcc_lo, v1, s19
	v_add_co_ci_u32_e64 v2, null, 0, v2, vcc_lo
	v_cndmask_b32_e64 v15, 0x7f800000, v16, s2
	v_cmp_le_i32_e32 vcc_lo, s21, v3
	s_or_b32 s3, vcc_lo, s3
	s_waitcnt vmcnt(0)
	v_mul_f32_e32 v16, v14, v15
	v_fmac_f32_e32 v11, v14, v15
	ds_write_b32 v17, v16
	s_andn2_b32 exec_lo, exec_lo, s3
	s_cbranch_execnz .LBB78_11
; %bb.12:
	s_inst_prefetch 0x2
	s_or_b32 exec_lo, exec_lo, s3
.LBB78_13:
	s_or_b32 exec_lo, exec_lo, s4
	ds_bpermute_b32 v1, v6, v11
	s_waitcnt lgkmcnt(0)
	s_barrier
	buffer_gl0_inv
	v_add_f32_e32 v1, v11, v1
	ds_bpermute_b32 v2, v7, v1
	s_waitcnt lgkmcnt(0)
	v_add_f32_e32 v1, v1, v2
	ds_bpermute_b32 v2, v8, v1
	s_waitcnt lgkmcnt(0)
	;; [unrolled: 3-line block ×4, first 2 shown]
	v_add_f32_e32 v1, v1, v2
	s_and_saveexec_b32 s2, s0
; %bb.14:
	ds_write_b32 v9, v1 offset:16
; %bb.15:
	s_or_b32 exec_lo, exec_lo, s2
	s_waitcnt lgkmcnt(0)
	s_barrier
	buffer_gl0_inv
	s_and_saveexec_b32 s0, s1
; %bb.16:
	ds_read_b32 v1, v10 offset:16
; %bb.17:
	s_or_b32 exec_lo, exec_lo, s0
	s_waitcnt lgkmcnt(0)
	ds_bpermute_b32 v2, v4, v1
	s_mov_b32 s4, exec_lo
	s_waitcnt lgkmcnt(0)
	v_add_f32_e32 v1, v1, v2
	ds_bpermute_b32 v2, v5, v1
	s_waitcnt lgkmcnt(0)
	v_add_f32_e32 v1, v1, v2
	v_mov_b32_e32 v2, 0
	ds_bpermute_b32 v1, v2, v1
	v_cmpx_gt_u32_e32 0xc0, v0
	s_cbranch_execz .LBB78_30
; %bb.18:
	s_waitcnt lgkmcnt(0)
	v_add_f32_e32 v2, 0x358637bd, v1
	s_mul_i32 s0, s16, 0xc0
	s_mul_i32 s2, s18, 0xc0
	s_ashr_i32 s1, s0, 31
	s_ashr_i32 s3, s2, 31
	v_div_scale_f32 v1, null, v2, v2, 1.0
	v_div_scale_f32 v5, vcc_lo, 1.0, v2, 1.0
	s_cmp_gt_i32 s22, 0
	v_rcp_f32_e32 v3, v1
	s_cselect_b32 s17, -1, 0
	s_mov_b32 s16, 0
	v_fma_f32 v4, -v1, v3, 1.0
	v_fmac_f32_e32 v3, v4, v3
	v_mul_f32_e32 v4, v5, v3
	v_fma_f32 v6, -v1, v4, v5
	v_fmac_f32_e32 v4, v6, v3
	v_fma_f32 v1, -v1, v4, v5
	v_div_fmas_f32 v3, v1, v3, v4
	s_and_b32 vcc_lo, exec_lo, s17
	s_cbranch_vccnz .LBB78_20
; %bb.19:
	v_mov_b32_e32 v1, 0
	s_branch .LBB78_21
.LBB78_20:
	s_mov_b32 s16, -1
.LBB78_21:
	v_div_fixup_f32 v5, v3, v2, 1.0
	v_mov_b32_e32 v6, 0
	s_add_i32 s5, s5, 32
	s_andn2_b32 vcc_lo, exec_lo, s16
	s_max_i32 s16, s21, 1
	s_cbranch_vccnz .LBB78_24
; %bb.22:
	s_lshl_b64 s[18:19], s[0:1], 1
	s_lshl_b64 s[22:23], s[2:3], 1
	v_lshlrev_b32_e32 v2, 1, v0
	s_add_u32 s18, s18, s22
	s_addc_u32 s19, s19, s23
	v_mov_b32_e32 v1, 0
	s_add_u32 s18, s8, s18
	s_addc_u32 s19, s9, s19
	v_add_co_u32 v2, s18, s18, v2
	v_add_co_ci_u32_e64 v3, null, s19, 0, s18
	v_mov_b32_e32 v6, v1
	s_mov_b32 s18, s5
	s_mov_b32 s19, s16
	.p2align	6
.LBB78_23:                              ; =>This Inner Loop Header: Depth=1
	v_mov_b32_e32 v4, s18
	global_load_ushort v7, v[2:3], off
	s_waitcnt vmcnt(0)
	;;#ASMSTART
	v_cvt_f32_f16 v7, v7;
	;;#ASMEND
	v_add_co_u32 v2, vcc_lo, 0x180, v2
	ds_read_b32 v4, v4
	v_add_co_ci_u32_e64 v3, null, 0, v3, vcc_lo
	s_add_i32 s19, s19, -1
	s_add_i32 s18, s18, 4
	s_cmp_eq_u32 s19, 0
	s_waitcnt lgkmcnt(0)
	v_mul_f32_e32 v4, v7, v4
	v_fmac_f32_e32 v6, v5, v4
	s_cbranch_scc0 .LBB78_23
.LBB78_24:
	s_mul_i32 s18, s20, 0xc0
	s_mul_i32 s20, s6, 0xc0
	s_ashr_i32 s19, s18, 31
	v_lshlrev_b64 v[3:4], 1, v[0:1]
	s_lshl_b64 s[18:19], s[18:19], 1
	;;#ASMSTART
	v_cvt_f16_f32 v6, v6;

	;;#ASMEND
	s_add_u32 s22, s10, s18
	s_addc_u32 s23, s11, s19
	s_ashr_i32 s21, s20, 31
	s_lshl_b64 s[18:19], s[20:21], 1
	s_add_u32 s18, s22, s18
	s_addc_u32 s19, s23, s19
	v_add_co_u32 v1, vcc_lo, s18, v3
	v_add_co_ci_u32_e64 v2, null, s19, v4, vcc_lo
	v_cmp_gt_u32_e32 vcc_lo, 64, v0
	global_store_short v[1:2], v6, off
	s_and_b32 exec_lo, exec_lo, vcc_lo
	s_cbranch_execz .LBB78_30
; %bb.25:
	s_andn2_b32 vcc_lo, exec_lo, s17
	s_cbranch_vccnz .LBB78_28
; %bb.26:
	s_lshl_b64 s[0:1], s[0:1], 1
	s_lshl_b64 s[2:3], s[2:3], 1
	v_mov_b32_e32 v6, 0
	s_add_u32 s0, s0, s2
	s_addc_u32 s1, s1, s3
	s_add_u32 s0, s8, s0
	s_addc_u32 s1, s9, s1
	v_add_co_u32 v3, vcc_lo, s0, v3
	v_add_co_ci_u32_e64 v4, null, s1, v4, vcc_lo
	v_add_co_u32 v3, vcc_lo, 0x100, v3
	v_add_co_ci_u32_e64 v4, null, 0, v4, vcc_lo
	.p2align	6
.LBB78_27:                              ; =>This Inner Loop Header: Depth=1
	v_mov_b32_e32 v7, s5
	global_load_ushort v8, v[3:4], off
	s_waitcnt vmcnt(0)
	;;#ASMSTART
	v_cvt_f32_f16 v8, v8;
	;;#ASMEND
	v_add_co_u32 v3, vcc_lo, 0x180, v3
	ds_read_b32 v7, v7
	v_add_co_ci_u32_e64 v4, null, 0, v4, vcc_lo
	s_add_i32 s16, s16, -1
	s_add_i32 s5, s5, 4
	s_cmp_lg_u32 s16, 0
	s_waitcnt lgkmcnt(0)
	v_mul_f32_e32 v7, v8, v7
	v_fmac_f32_e32 v6, v5, v7
	s_cbranch_scc1 .LBB78_27
	s_branch .LBB78_29
.LBB78_28:
	v_mov_b32_e32 v6, 0
.LBB78_29:
	;;#ASMSTART
	v_cvt_f16_f32 v3, v6;

	;;#ASMEND
	global_store_short v[1:2], v3, off offset:256
.LBB78_30:
	s_or_b32 exec_lo, exec_lo, s4
	s_mov_b32 s0, 0
.LBB78_31:
	s_and_b32 vcc_lo, exec_lo, s0
	s_cbranch_vccz .LBB78_40
; %bb.32:
	s_mov_b32 s0, exec_lo
	v_cmpx_gt_u32_e32 0xc0, v0
	s_cbranch_execz .LBB78_40
; %bb.33:
	s_load_dword s0, s[14:15], 0xc
	s_mul_i32 s1, s13, s12
	s_mul_i32 s4, s6, 0xc0
	;; [unrolled: 1-line block ×5, first 2 shown]
	v_cmp_gt_u32_e32 vcc_lo, 0xbd, v0
	s_ashr_i32 s5, s4, 31
	s_ashr_i32 s13, s12, 31
	s_ashr_i32 s3, s2, 31
	s_ashr_i32 s7, s6, 31
	s_waitcnt lgkmcnt(0)
	s_and_b32 s1, s0, 0xffff
	s_cmp_eq_u32 s1, 1
	s_cselect_b32 s0, -1, 0
	s_and_b32 s15, vcc_lo, s0
	s_mov_b32 s0, -1
	s_and_saveexec_b32 s14, s15
	s_cbranch_execz .LBB78_37
; %bb.34:
	s_lshl_b64 s[16:17], s[6:7], 1
	s_lshl_b64 s[18:19], s[2:3], 1
	v_lshlrev_b32_e32 v1, 1, v0
	s_add_u32 s0, s16, s18
	s_addc_u32 s15, s17, s19
	s_add_u32 s0, s8, s0
	s_addc_u32 s15, s9, s15
	s_lshl_b64 s[16:17], s[12:13], 1
	s_lshl_b64 s[18:19], s[4:5], 1
	v_add_co_u32 v2, s0, s0, v1
	v_add_co_ci_u32_e64 v3, null, s15, 0, s0
	s_add_u32 s0, s16, s18
	v_sub_nc_u32_e32 v5, 0xc0, v0
	s_addc_u32 s15, s17, s19
	s_add_u32 s0, s10, s0
	s_addc_u32 s15, s11, s15
	v_add_co_u32 v4, s0, s0, v1
	v_and_b32_e32 v6, 0xfc, v5
	v_add_co_ci_u32_e64 v7, null, s15, 0, s0
	v_add_co_u32 v1, vcc_lo, v2, 4
	v_add_co_ci_u32_e64 v2, null, 0, v3, vcc_lo
	v_add_co_u32 v3, vcc_lo, v4, 4
	v_add_co_ci_u32_e64 v4, null, 0, v7, vcc_lo
	v_mov_b32_e32 v7, v6
	s_mov_b32 s15, 0
	.p2align	6
.LBB78_35:                              ; =>This Inner Loop Header: Depth=1
	global_load_dwordx2 v[8:9], v[1:2], off offset:-4
	v_add_nc_u32_e32 v7, -4, v7
	v_add_co_u32 v1, vcc_lo, v1, 8
	v_add_co_ci_u32_e64 v2, null, 0, v2, vcc_lo
	v_cmp_eq_u32_e32 vcc_lo, 0, v7
	s_or_b32 s15, vcc_lo, s15
	s_waitcnt vmcnt(0)
	global_store_dwordx2 v[3:4], v[8:9], off offset:-4
	v_add_co_u32 v3, s0, v3, 8
	v_add_co_ci_u32_e64 v4, null, 0, v4, s0
	s_andn2_b32 exec_lo, exec_lo, s15
	s_cbranch_execnz .LBB78_35
; %bb.36:
	s_or_b32 exec_lo, exec_lo, s15
	v_cmp_ne_u32_e32 vcc_lo, v5, v6
	v_add_nc_u32_e32 v0, v0, v6
	s_orn2_b32 s0, vcc_lo, exec_lo
.LBB78_37:
	s_or_b32 exec_lo, exec_lo, s14
	s_and_b32 exec_lo, exec_lo, s0
	s_cbranch_execz .LBB78_40
; %bb.38:
	s_lshl_b64 s[12:13], s[12:13], 1
	v_lshlrev_b32_e32 v1, 1, v0
	s_add_u32 s0, s10, s12
	s_addc_u32 s10, s11, s13
	s_lshl_b64 s[4:5], s[4:5], 1
	v_mov_b32_e32 v2, 0
	s_add_u32 s4, s0, s4
	s_addc_u32 s5, s10, s5
	s_lshl_b64 s[6:7], s[6:7], 1
	s_add_u32 s0, s8, s6
	s_addc_u32 s6, s9, s7
	s_lshl_b64 s[2:3], s[2:3], 1
	s_add_u32 s2, s0, s2
	s_addc_u32 s3, s6, s3
	s_mov_b32 s6, 0
	s_lshl_b32 s7, s1, 1
	.p2align	6
.LBB78_39:                              ; =>This Inner Loop Header: Depth=1
	v_add_co_u32 v3, vcc_lo, s2, v1
	v_add_co_ci_u32_e64 v4, null, s3, v2, vcc_lo
	v_add_nc_u32_e32 v0, s1, v0
	global_load_ushort v5, v[3:4], off
	v_add_co_u32 v3, vcc_lo, s4, v1
	v_add_co_ci_u32_e64 v4, null, s5, v2, vcc_lo
	v_cmp_lt_u32_e32 vcc_lo, 0xbf, v0
	v_add_co_u32 v1, s0, v1, s7
	v_add_co_ci_u32_e64 v2, null, 0, v2, s0
	s_or_b32 s6, vcc_lo, s6
	s_waitcnt vmcnt(0)
	global_store_short v[3:4], v5, off
	s_andn2_b32 exec_lo, exec_lo, s6
	s_cbranch_execnz .LBB78_39
.LBB78_40:
	s_endpgm
	.section	.rodata,"a",@progbits
	.p2align	6, 0x0
	.amdhsa_kernel _ZN4vllm32paged_attention_v2_reduce_kernelItLi192ELi128ELi512EEEvPT_PKfS4_PKS1_PKii
		.amdhsa_group_segment_fixed_size 32
		.amdhsa_private_segment_fixed_size 0
		.amdhsa_kernarg_size 304
		.amdhsa_user_sgpr_count 6
		.amdhsa_user_sgpr_private_segment_buffer 1
		.amdhsa_user_sgpr_dispatch_ptr 0
		.amdhsa_user_sgpr_queue_ptr 0
		.amdhsa_user_sgpr_kernarg_segment_ptr 1
		.amdhsa_user_sgpr_dispatch_id 0
		.amdhsa_user_sgpr_flat_scratch_init 0
		.amdhsa_user_sgpr_private_segment_size 0
		.amdhsa_wavefront_size32 1
		.amdhsa_uses_dynamic_stack 0
		.amdhsa_system_sgpr_private_segment_wavefront_offset 0
		.amdhsa_system_sgpr_workgroup_id_x 1
		.amdhsa_system_sgpr_workgroup_id_y 1
		.amdhsa_system_sgpr_workgroup_id_z 0
		.amdhsa_system_sgpr_workgroup_info 0
		.amdhsa_system_vgpr_workitem_id 0
		.amdhsa_next_free_vgpr 19
		.amdhsa_next_free_sgpr 30
		.amdhsa_reserve_vcc 1
		.amdhsa_reserve_flat_scratch 0
		.amdhsa_float_round_mode_32 0
		.amdhsa_float_round_mode_16_64 0
		.amdhsa_float_denorm_mode_32 3
		.amdhsa_float_denorm_mode_16_64 3
		.amdhsa_dx10_clamp 1
		.amdhsa_ieee_mode 1
		.amdhsa_fp16_overflow 0
		.amdhsa_workgroup_processor_mode 1
		.amdhsa_memory_ordered 1
		.amdhsa_forward_progress 1
		.amdhsa_shared_vgpr_count 0
		.amdhsa_exception_fp_ieee_invalid_op 0
		.amdhsa_exception_fp_denorm_src 0
		.amdhsa_exception_fp_ieee_div_zero 0
		.amdhsa_exception_fp_ieee_overflow 0
		.amdhsa_exception_fp_ieee_underflow 0
		.amdhsa_exception_fp_ieee_inexact 0
		.amdhsa_exception_int_div_zero 0
	.end_amdhsa_kernel
	.section	.text._ZN4vllm32paged_attention_v2_reduce_kernelItLi192ELi128ELi512EEEvPT_PKfS4_PKS1_PKii,"axG",@progbits,_ZN4vllm32paged_attention_v2_reduce_kernelItLi192ELi128ELi512EEEvPT_PKfS4_PKS1_PKii,comdat
.Lfunc_end78:
	.size	_ZN4vllm32paged_attention_v2_reduce_kernelItLi192ELi128ELi512EEEvPT_PKfS4_PKS1_PKii, .Lfunc_end78-_ZN4vllm32paged_attention_v2_reduce_kernelItLi192ELi128ELi512EEEvPT_PKfS4_PKS1_PKii
                                        ; -- End function
	.set _ZN4vllm32paged_attention_v2_reduce_kernelItLi192ELi128ELi512EEEvPT_PKfS4_PKS1_PKii.num_vgpr, 19
	.set _ZN4vllm32paged_attention_v2_reduce_kernelItLi192ELi128ELi512EEEvPT_PKfS4_PKS1_PKii.num_agpr, 0
	.set _ZN4vllm32paged_attention_v2_reduce_kernelItLi192ELi128ELi512EEEvPT_PKfS4_PKS1_PKii.numbered_sgpr, 30
	.set _ZN4vllm32paged_attention_v2_reduce_kernelItLi192ELi128ELi512EEEvPT_PKfS4_PKS1_PKii.num_named_barrier, 0
	.set _ZN4vllm32paged_attention_v2_reduce_kernelItLi192ELi128ELi512EEEvPT_PKfS4_PKS1_PKii.private_seg_size, 0
	.set _ZN4vllm32paged_attention_v2_reduce_kernelItLi192ELi128ELi512EEEvPT_PKfS4_PKS1_PKii.uses_vcc, 1
	.set _ZN4vllm32paged_attention_v2_reduce_kernelItLi192ELi128ELi512EEEvPT_PKfS4_PKS1_PKii.uses_flat_scratch, 0
	.set _ZN4vllm32paged_attention_v2_reduce_kernelItLi192ELi128ELi512EEEvPT_PKfS4_PKS1_PKii.has_dyn_sized_stack, 0
	.set _ZN4vllm32paged_attention_v2_reduce_kernelItLi192ELi128ELi512EEEvPT_PKfS4_PKS1_PKii.has_recursion, 0
	.set _ZN4vllm32paged_attention_v2_reduce_kernelItLi192ELi128ELi512EEEvPT_PKfS4_PKS1_PKii.has_indirect_call, 0
	.section	.AMDGPU.csdata,"",@progbits
; Kernel info:
; codeLenInByte = 2656
; TotalNumSgprs: 32
; NumVgprs: 19
; ScratchSize: 0
; MemoryBound: 0
; FloatMode: 240
; IeeeMode: 1
; LDSByteSize: 32 bytes/workgroup (compile time only)
; SGPRBlocks: 0
; VGPRBlocks: 2
; NumSGPRsForWavesPerEU: 32
; NumVGPRsForWavesPerEU: 19
; Occupancy: 16
; WaveLimiterHint : 0
; COMPUTE_PGM_RSRC2:SCRATCH_EN: 0
; COMPUTE_PGM_RSRC2:USER_SGPR: 6
; COMPUTE_PGM_RSRC2:TRAP_HANDLER: 0
; COMPUTE_PGM_RSRC2:TGID_X_EN: 1
; COMPUTE_PGM_RSRC2:TGID_Y_EN: 1
; COMPUTE_PGM_RSRC2:TGID_Z_EN: 0
; COMPUTE_PGM_RSRC2:TIDIG_COMP_CNT: 0
	.section	.text._ZN4vllm25paged_attention_v2_kernelIttLi256ELi8ELi128ELNS_18Fp8KVCacheDataTypeE0ELb1ELi512EEEvPfS2_PT_PKS3_PKT0_S9_ifPKiSB_iPKfiiiSD_SD_iiiii,"axG",@progbits,_ZN4vllm25paged_attention_v2_kernelIttLi256ELi8ELi128ELNS_18Fp8KVCacheDataTypeE0ELb1ELi512EEEvPfS2_PT_PKS3_PKT0_S9_ifPKiSB_iPKfiiiSD_SD_iiiii,comdat
	.protected	_ZN4vllm25paged_attention_v2_kernelIttLi256ELi8ELi128ELNS_18Fp8KVCacheDataTypeE0ELb1ELi512EEEvPfS2_PT_PKS3_PKT0_S9_ifPKiSB_iPKfiiiSD_SD_iiiii ; -- Begin function _ZN4vllm25paged_attention_v2_kernelIttLi256ELi8ELi128ELNS_18Fp8KVCacheDataTypeE0ELb1ELi512EEEvPfS2_PT_PKS3_PKT0_S9_ifPKiSB_iPKfiiiSD_SD_iiiii
	.globl	_ZN4vllm25paged_attention_v2_kernelIttLi256ELi8ELi128ELNS_18Fp8KVCacheDataTypeE0ELb1ELi512EEEvPfS2_PT_PKS3_PKT0_S9_ifPKiSB_iPKfiiiSD_SD_iiiii
	.p2align	8
	.type	_ZN4vllm25paged_attention_v2_kernelIttLi256ELi8ELi128ELNS_18Fp8KVCacheDataTypeE0ELb1ELi512EEEvPfS2_PT_PKS3_PKT0_S9_ifPKiSB_iPKfiiiSD_SD_iiiii,@function
_ZN4vllm25paged_attention_v2_kernelIttLi256ELi8ELi128ELNS_18Fp8KVCacheDataTypeE0ELb1ELi512EEEvPfS2_PT_PKS3_PKT0_S9_ifPKiSB_iPKfiiiSD_SD_iiiii: ; @_ZN4vllm25paged_attention_v2_kernelIttLi256ELi8ELi128ELNS_18Fp8KVCacheDataTypeE0ELb1ELi512EEEvPfS2_PT_PKS3_PKT0_S9_ifPKiSB_iPKfiiiSD_SD_iiiii
; %bb.0:
	s_load_dwordx2 s[0:1], s[4:5], 0x40
	s_mov_b32 s26, s7
	s_ashr_i32 s27, s7, 31
	s_lshl_b64 s[2:3], s[26:27], 2
	s_waitcnt lgkmcnt(0)
	s_add_u32 s0, s0, s2
	s_addc_u32 s1, s1, s3
	s_lshl_b32 s38, s8, 9
	s_load_dword s27, s[0:1], 0x0
	s_waitcnt lgkmcnt(0)
	s_cmp_ge_i32 s38, s27
	s_cbranch_scc1 .LBB79_70
; %bb.1:
	s_clause 0x1
	s_load_dword s9, s[4:5], 0x90
	s_load_dwordx2 s[36:37], s[4:5], 0x30
	s_mov_b32 s40, 0
	s_waitcnt lgkmcnt(0)
	s_abs_i32 s3, s9
	s_abs_i32 s0, s36
	v_cvt_f32_u32_e32 v1, s0
	s_sub_i32 s2, 0, s0
	v_rcp_iflag_f32_e32 v1, v1
	v_mul_f32_e32 v1, 0x4f7ffffe, v1
	v_cvt_u32_f32_e32 v1, v1
	v_readfirstlane_b32 s1, v1
	s_mul_i32 s2, s2, s1
	s_mul_hi_u32 s2, s1, s2
	s_add_i32 s1, s1, s2
	s_xor_b32 s2, s9, s36
	s_mul_hi_u32 s1, s3, s1
	s_ashr_i32 s2, s2, 31
	s_mul_i32 s7, s1, s0
	s_sub_i32 s3, s3, s7
	s_add_i32 s7, s1, 1
	s_sub_i32 s10, s3, s0
	s_cmp_ge_u32 s3, s0
	s_cselect_b32 s1, s7, s1
	s_cselect_b32 s3, s10, s3
	s_add_i32 s7, s1, 1
	s_cmp_ge_u32 s3, s0
	s_cselect_b32 s0, s7, s1
	s_xor_b32 s0, s0, s2
	s_sub_i32 s10, s0, s2
	s_load_dwordx2 s[0:1], s[4:5], 0x50
	s_abs_i32 s2, s10
	v_cvt_f32_u32_e32 v1, s2
	s_sub_i32 s3, 0, s2
	v_rcp_iflag_f32_e32 v1, v1
	v_mul_f32_e32 v1, 0x4f7ffffe, v1
	v_cvt_u32_f32_e32 v1, v1
	v_readfirstlane_b32 s7, v1
	s_mul_i32 s3, s3, s7
	s_mul_hi_u32 s11, s7, s3
	s_abs_i32 s3, s6
	s_add_i32 s7, s7, s11
	s_waitcnt lgkmcnt(0)
	s_cmp_eq_u64 s[0:1], 0
	s_mul_hi_u32 s20, s3, s7
	s_cbranch_scc1 .LBB79_3
; %bb.2:
	s_ashr_i32 s7, s6, 31
	s_lshl_b64 s[12:13], s[6:7], 2
	s_add_u32 s0, s0, s12
	s_addc_u32 s1, s1, s13
	s_load_dword s40, s[0:1], 0x0
.LBB79_3:
	s_load_dwordx4 s[12:15], s[4:5], 0x58
	v_and_b32_e32 v1, 3, v0
	v_lshlrev_b32_e32 v2, 2, v0
	s_ashr_i32 s0, s6, 31
	s_ashr_i32 s1, s10, 31
	s_lshl_b32 s10, s6, 8
	s_mov_b32 s7, exec_lo
	v_cmpx_gt_u32_e32 0x80, v0
	s_cbranch_execz .LBB79_5
; %bb.4:
	s_load_dwordx2 s[16:17], s[4:5], 0x18
	s_waitcnt lgkmcnt(0)
	s_mul_i32 s18, s12, s26
	v_and_b32_e32 v4, 0x3fc, v0
	s_ashr_i32 s19, s18, 31
	s_lshl_b64 s[18:19], s[18:19], 1
	v_lshl_add_u32 v4, v1, 7, v4
	s_add_u32 s12, s16, s18
	s_addc_u32 s15, s17, s19
	s_ashr_i32 s11, s10, 31
	s_lshl_b64 s[16:17], s[10:11], 1
	s_add_u32 s16, s12, s16
	s_addc_u32 s17, s15, s17
	global_load_dword v3, v2, s[16:17]
	s_waitcnt vmcnt(0)
	ds_write_b32 v4, v3
.LBB79_5:
	s_or_b32 exec_lo, exec_lo, s7
	s_load_dwordx4 s[16:19], s[4:5], 0x78
	s_mul_i32 s7, s20, s2
	s_xor_b32 s0, s0, s1
	s_sub_i32 s1, s3, s7
	s_add_i32 s3, s20, 1
	s_sub_i32 s7, s1, s2
	s_cmp_ge_u32 s1, s2
                                        ; implicit-def: $sgpr33
	s_cselect_b32 s3, s3, s20
	s_cselect_b32 s1, s7, s1
	s_add_i32 s7, s3, 1
	s_cmp_ge_u32 s1, s2
	s_mov_b32 s20, -1
	s_cselect_b32 s1, s7, s3
	s_load_dword s3, s[4:5], 0x88
	s_xor_b32 s1, s1, s0
	s_add_i32 s7, s27, -1
	s_sub_i32 s1, s1, s0
	s_abs_i32 s2, s7
	s_waitcnt lgkmcnt(0)
	s_abs_i32 s11, s19
	s_barrier
	v_cvt_f32_u32_e32 v3, s11
	s_sub_i32 s0, 0, s11
	buffer_gl0_inv
	v_rcp_iflag_f32_e32 v3, v3
	v_mul_f32_e32 v3, 0x4f7ffffe, v3
	v_cvt_u32_f32_e32 v3, v3
	v_readfirstlane_b32 s12, v3
	s_mul_i32 s0, s0, s12
	s_mul_hi_u32 s0, s12, s0
	s_add_i32 s12, s12, s0
	s_cmp_lt_i32 s3, 0
	s_mul_hi_u32 s0, s2, s12
	s_cbranch_scc0 .LBB79_7
; %bb.6:
	s_mul_i32 s15, s16, s36
	s_mov_b32 s20, 0
	s_add_i32 s15, s1, s15
	s_mul_i32 s15, s15, s3
	s_sub_i32 s33, 1, s15
.LBB79_7:
	s_load_dwordx2 s[28:29], s[4:5], 0x38
	s_ashr_i32 s15, s7, 31
	s_andn2_b32 vcc_lo, exec_lo, s20
	s_ashr_i32 s19, s19, 31
	s_cbranch_vccnz .LBB79_9
; %bb.8:
	s_mul_i32 s7, s9, s16
	s_add_i32 s7, s7, s6
	s_mul_i32 s3, s7, s3
	s_add_i32 s33, s3, 1
.LBB79_9:
	s_clause 0x4
	s_load_dword s3, s[4:5], 0x48
	s_load_dwordx2 s[34:35], s[4:5], 0x28
	s_load_dword s7, s[4:5], 0x98
	s_load_dwordx4 s[20:23], s[4:5], 0x0
	s_load_dwordx2 s[24:25], s[4:5], 0x10
	s_mul_i32 s16, s0, s11
	s_xor_b32 s15, s15, s19
	s_sub_i32 s2, s2, s16
	s_add_i32 s36, s0, 1
	v_lshrrev_b32_e32 v10, 5, v0
	v_mov_b32_e32 v4, 0xff7fffff
	v_mbcnt_lo_u32_b32 v3, -1, 0
	s_mul_i32 s14, s1, s14
	v_lshl_add_u32 v11, v10, 3, s38
	s_waitcnt lgkmcnt(0)
	s_mul_i32 s30, s3, s26
	s_sub_i32 s3, s2, s11
	s_ashr_i32 s31, s30, 31
	s_cmp_ge_u32 s2, s11
	s_cselect_b32 s0, s36, s0
	s_cselect_b32 s2, s3, s2
	s_add_i32 s3, s0, 1
	s_cmp_ge_u32 s2, s11
	s_cselect_b32 s0, s3, s0
	s_add_i32 s2, s27, 7
	s_lshl_b32 s41, s8, 6
	s_ashr_i32 s3, s2, 31
	v_or_b32_e32 v5, s41, v10
	s_lshr_b32 s3, s3, 29
	s_add_i32 s2, s2, s3
	s_add_i32 s3, s41, 64
	s_ashr_i32 s36, s2, 3
	s_xor_b32 s2, s0, s15
	s_min_i32 s16, s3, s36
	v_ashrrev_i32_e32 v6, 31, v5
	v_cmp_gt_i32_e64 s0, s16, v5
	s_sub_i32 s39, s2, s15
	s_and_saveexec_b32 s42, s0
	s_cbranch_execz .LBB79_21
; %bb.10:
	s_load_dwordx2 s[2:3], s[4:5], 0x20
	s_ashr_i32 s15, s14, 31
	s_sub_i32 s4, s39, s17
	s_lshl_b64 s[44:45], s[14:15], 1
	v_bfe_u32 v7, v0, 2, 3
	v_cmp_eq_u32_e32 vcc_lo, 0, v1
	v_and_b32_e32 v17, 12, v2
	v_lshlrev_b32_e32 v8, 7, v1
	v_lshlrev_b64 v[1:2], 2, v[5:6]
	v_lshlrev_b32_e32 v15, 2, v7
	v_subrev_nc_u32_e32 v18, s27, v7
	v_lshlrev_b32_e32 v21, 4, v7
	v_cmp_neq_f32_e64 s1, s40, 0
	v_lshl_add_u32 v9, v10, 3, s38
	v_lshl_or_b32 v19, v10, 5, v15
	v_add_nc_u32_e32 v15, 1, v18
	v_mov_b32_e32 v12, 0xff7fffff
	v_xor_b32_e32 v13, 2, v3
	v_xor_b32_e32 v14, 1, v3
	s_waitcnt lgkmcnt(0)
	s_add_u32 s15, s2, s44
	s_addc_u32 s43, s3, s45
	s_abs_i32 s5, s18
	v_cvt_f32_u32_e32 v4, s5
	s_sub_i32 s2, 0, s5
	v_rcp_iflag_f32_e32 v4, v4
	v_mul_f32_e32 v16, 0x4f7ffffe, v4
	v_mov_b32_e32 v4, 0xff7fffff
	v_cvt_u32_f32_e32 v20, v16
	v_add_nc_u32_e32 v16, 0x220, v19
	v_add_co_u32 v19, s15, s15, v21
	v_add_co_ci_u32_e64 v21, null, s43, 0, s15
	v_mul_lo_u32 v18, s2, v20
	s_lshl_b64 s[2:3], s[30:31], 2
	s_mov_b32 s15, 0
	s_add_u32 s2, s28, s2
	s_addc_u32 s3, s29, s3
	v_add_co_u32 v1, s2, s2, v1
	v_add_co_ci_u32_e64 v2, null, s3, v2, s2
	v_mul_hi_u32 v22, v20, v18
	v_add_co_u32 v17, s2, v19, v17
	v_add_co_ci_u32_e64 v18, null, 0, v21, s2
	s_mov_b32 s43, s13
	v_add_nc_u32_e32 v19, v20, v22
	v_mov_b32_e32 v20, v5
	s_branch .LBB79_13
.LBB79_11:                              ;   in Loop: Header=BB79_13 Depth=1
	s_or_b32 exec_lo, exec_lo, s44
.LBB79_12:                              ;   in Loop: Header=BB79_13 Depth=1
	s_or_b32 exec_lo, exec_lo, s3
	v_add_nc_u32_e32 v20, 4, v20
	v_add_co_u32 v1, s3, v1, 16
	v_add_co_ci_u32_e64 v2, null, 0, v2, s3
	v_cmp_le_i32_e64 s2, s16, v20
	v_add_nc_u32_e32 v9, 32, v9
	v_add_nc_u32_e32 v16, 0x80, v16
	s_or_b32 s15, s2, s15
	s_andn2_b32 exec_lo, exec_lo, s15
	s_cbranch_execz .LBB79_20
.LBB79_13:                              ; =>This Inner Loop Header: Depth=1
	v_sub_nc_u32_e32 v21, 0, v9
	v_max_i32_e32 v21, v9, v21
	s_waitcnt lgkmcnt(0)
	v_mul_hi_u32 v22, v21, s12
	v_mul_lo_u32 v23, v22, s11
	v_sub_nc_u32_e32 v21, v21, v23
	v_add_nc_u32_e32 v23, 1, v22
	v_subrev_nc_u32_e32 v24, s11, v21
	v_cmp_le_u32_e64 s2, s11, v21
	v_cndmask_b32_e64 v22, v22, v23, s2
	v_cndmask_b32_e64 v21, v21, v24, s2
	v_ashrrev_i32_e32 v23, 31, v9
	v_add_nc_u32_e32 v24, 1, v22
	v_cmp_le_u32_e64 s2, s11, v21
	v_xor_b32_e32 v23, s19, v23
	v_cndmask_b32_e64 v21, v22, v24, s2
	v_xor_b32_e32 v21, v21, v23
	v_sub_nc_u32_e32 v21, v21, v23
	v_add_nc_u32_e32 v22, s33, v21
	v_cmp_ge_i32_e64 s3, s4, v21
	v_sub_nc_u32_e32 v23, 0, v22
	v_max_i32_e32 v23, v22, v23
	v_ashrrev_i32_e32 v22, 31, v22
	v_mul_hi_u32 v24, v23, v19
	v_mul_lo_u32 v24, v24, s5
	v_sub_nc_u32_e32 v23, v23, v24
	v_subrev_nc_u32_e32 v24, s5, v23
	v_cmp_le_u32_e64 s2, s5, v23
	v_cndmask_b32_e64 v23, v23, v24, s2
	v_subrev_nc_u32_e32 v24, s5, v23
	v_cmp_le_u32_e64 s2, s5, v23
	v_cndmask_b32_e64 v23, v23, v24, s2
	v_xor_b32_e32 v23, v23, v22
	v_sub_nc_u32_e32 v22, v23, v22
	v_cmp_ne_u32_e64 s2, 0, v22
	s_and_b32 s2, s2, s3
	s_and_saveexec_b32 s3, s2
	s_xor_b32 s2, exec_lo, s3
	s_cbranch_execz .LBB79_17
; %bb.14:                               ;   in Loop: Header=BB79_13 Depth=1
	s_and_saveexec_b32 s3, vcc_lo
; %bb.15:                               ;   in Loop: Header=BB79_13 Depth=1
	ds_write_b32 v16, v12
; %bb.16:                               ;   in Loop: Header=BB79_13 Depth=1
	s_or_b32 exec_lo, exec_lo, s3
.LBB79_17:                              ;   in Loop: Header=BB79_13 Depth=1
	s_andn2_saveexec_b32 s3, s2
	s_cbranch_execz .LBB79_12
; %bb.18:                               ;   in Loop: Header=BB79_13 Depth=1
	global_load_dword v21, v[1:2], off
	s_waitcnt vmcnt(0)
	v_mad_i64_i32 v[21:22], null, v21, s43, 0
	v_lshlrev_b64 v[21:22], 1, v[21:22]
	v_add_co_u32 v21, s2, v17, v21
	v_add_co_ci_u32_e64 v22, null, v18, v22, s2
	s_clause 0xa
	global_load_dword v23, v[21:22], off
	global_load_dword v46, v[21:22], off offset:128
	global_load_dword v51, v[21:22], off offset:256
	;; [unrolled: 1-line block ×10, first 2 shown]
	v_add_co_u32 v41, s2, 0x800, v21
	ds_read_b32 v24, v8
	v_add_co_ci_u32_e64 v42, null, 0, v22, s2
	s_clause 0xc
	global_load_dword v33, v[21:22], off offset:1408
	global_load_dword v35, v[21:22], off offset:1536
	;; [unrolled: 1-line block ×5, first 2 shown]
	global_load_dword v38, v[41:42], off
	global_load_dword v37, v[41:42], off offset:128
	global_load_dword v36, v[41:42], off offset:256
	;; [unrolled: 1-line block ×7, first 2 shown]
	v_cmp_gt_i32_e64 s2, 32, v13
	s_waitcnt lgkmcnt(0)
	v_lshrrev_b32_e32 v44, 16, v24
	v_and_b32_e32 v47, 0xffff, v24
	s_waitcnt vmcnt(23)
	v_lshrrev_b32_e32 v55, 16, v23
	v_and_b32_e32 v49, 0xffff, v23
	s_clause 0x7
	global_load_dword v28, v[41:42], off offset:1024
	global_load_dword v27, v[41:42], off offset:1152
	;; [unrolled: 1-line block ×8, first 2 shown]
	;;#ASMSTART
	v_cvt_f32_f16 v41, v47;
	;;#ASMEND
	;;#ASMSTART
	v_cvt_f32_f16 v54, v44;
	;;#ASMEND
	;; [unrolled: 3-line block ×4, first 2 shown]
	ds_read_b32 v42, v8 offset:4
	s_waitcnt vmcnt(30)
	v_and_b32_e32 v49, 0xffff, v46
	v_lshrrev_b32_e32 v56, 16, v46
	s_waitcnt vmcnt(29)
	v_and_b32_e32 v62, 0xffff, v51
	v_lshrrev_b32_e32 v51, 16, v51
	s_waitcnt vmcnt(21)
	v_lshrrev_b32_e32 v88, 16, v45
	s_waitcnt vmcnt(20)
	;; [unrolled: 2-line block ×3, first 2 shown]
	v_lshrrev_b32_e32 v90, 16, v35
	s_waitcnt lgkmcnt(0)
	v_and_b32_e32 v47, 0xffff, v42
	v_lshrrev_b32_e32 v42, 16, v42
	;;#ASMSTART
	v_cvt_f32_f16 v46, v47;
	;;#ASMEND
	;;#ASMSTART
	v_cvt_f32_f16 v42, v42;
	;;#ASMEND
	;; [unrolled: 3-line block ×4, first 2 shown]
	ds_read_b32 v56, v8 offset:8
	s_waitcnt lgkmcnt(0)
	v_and_b32_e32 v60, 0xffff, v56
	v_lshrrev_b32_e32 v61, 16, v56
	;;#ASMSTART
	v_cvt_f32_f16 v56, v60;
	;;#ASMEND
	;;#ASMSTART
	v_cvt_f32_f16 v66, v61;
	;;#ASMEND
	;;#ASMSTART
	v_cvt_f32_f16 v69, v62;
	;;#ASMEND
	;;#ASMSTART
	v_cvt_f32_f16 v68, v51;
	;;#ASMEND
	ds_read_b32 v51, v8 offset:12
	v_and_b32_e32 v62, 0xffff, v52
	v_lshrrev_b32_e32 v52, 16, v52
	s_waitcnt lgkmcnt(0)
	v_and_b32_e32 v60, 0xffff, v51
	v_lshrrev_b32_e32 v51, 16, v51
	;;#ASMSTART
	v_cvt_f32_f16 v73, v60;
	;;#ASMEND
	;;#ASMSTART
	v_cvt_f32_f16 v61, v51;
	;;#ASMEND
	;;#ASMSTART
	v_cvt_f32_f16 v75, v62;
	;;#ASMEND
	;;#ASMSTART
	v_cvt_f32_f16 v64, v52;
	;;#ASMEND
	ds_read_b32 v51, v8 offset:16
	v_and_b32_e32 v60, 0xffff, v57
	v_lshrrev_b32_e32 v57, 16, v57
	;; [unrolled: 18-line block ×7, first 2 shown]
	s_waitcnt lgkmcnt(0)
	v_and_b32_e32 v50, 0xffff, v48
	v_lshrrev_b32_e32 v48, 16, v48
	;;#ASMSTART
	v_cvt_f32_f16 v57, v50;
	;;#ASMEND
	;;#ASMSTART
	v_cvt_f32_f16 v51, v48;
	;;#ASMEND
	;;#ASMSTART
	v_cvt_f32_f16 v58, v52;
	;;#ASMEND
	;;#ASMSTART
	v_cvt_f32_f16 v52, v43;
	;;#ASMEND
	ds_read_b32 v43, v8 offset:40
	v_and_b32_e32 v50, 0xffff, v45
	s_waitcnt lgkmcnt(0)
	v_and_b32_e32 v48, 0xffff, v43
	v_lshrrev_b32_e32 v43, 16, v43
	;;#ASMSTART
	v_cvt_f32_f16 v62, v48;
	;;#ASMEND
	;;#ASMSTART
	v_cvt_f32_f16 v45, v43;
	;;#ASMEND
	;; [unrolled: 3-line block ×4, first 2 shown]
	ds_read_b32 v43, v8 offset:44
	v_and_b32_e32 v88, 0xffff, v33
	v_mul_f32_e32 v33, v46, v49
	v_fmac_f32_e32 v33, v41, v44
	v_fmac_f32_e32 v33, v56, v69
	;; [unrolled: 1-line block ×3, first 2 shown]
	s_waitcnt lgkmcnt(0)
	v_and_b32_e32 v50, 0xffff, v43
	v_lshrrev_b32_e32 v43, 16, v43
	;;#ASMSTART
	v_cvt_f32_f16 v49, v50;
	;;#ASMEND
	;;#ASMSTART
	v_cvt_f32_f16 v43, v43;
	;;#ASMEND
	;; [unrolled: 3-line block ×4, first 2 shown]
	ds_read_b32 v88, v8 offset:48
	v_and_b32_e32 v89, 0xffff, v35
	v_mul_f32_e32 v35, v42, v47
	v_fmac_f32_e32 v33, v86, v87
	s_waitcnt vmcnt(15)
	v_and_b32_e32 v87, 0xffff, v38
	v_fmac_f32_e32 v35, v54, v55
	v_fmac_f32_e32 v33, v84, v85
	;; [unrolled: 1-line block ×6, first 2 shown]
	s_waitcnt lgkmcnt(0)
	v_and_b32_e32 v41, 0xffff, v88
	v_lshrrev_b32_e32 v88, 16, v88
	;;#ASMSTART
	v_cvt_f32_f16 v44, v41;
	;;#ASMEND
	;;#ASMSTART
	v_cvt_f32_f16 v41, v88;
	;;#ASMEND
	;; [unrolled: 3-line block ×4, first 2 shown]
	ds_read_b32 v88, v8 offset:52
	v_lshrrev_b32_e32 v89, 16, v53
	v_fmac_f32_e32 v35, v81, v83
	v_fmac_f32_e32 v33, v70, v71
	;; [unrolled: 1-line block ×6, first 2 shown]
	s_waitcnt vmcnt(7)
	v_and_b32_e32 v63, 0xffff, v28
	v_fmac_f32_e32 v35, v59, v60
	v_fmac_f32_e32 v33, v49, v50
	s_waitcnt lgkmcnt(0)
	v_and_b32_e32 v54, 0xffff, v88
	v_lshrrev_b32_e32 v55, 16, v88
	v_and_b32_e32 v88, 0xffff, v53
	;;#ASMSTART
	v_cvt_f32_f16 v53, v54;
	;;#ASMEND
	;;#ASMSTART
	v_cvt_f32_f16 v54, v55;
	;;#ASMEND
	;; [unrolled: 3-line block ×4, first 2 shown]
	ds_read_b32 v69, v8 offset:56
	v_lshrrev_b32_e32 v88, 16, v40
	v_lshrrev_b32_e32 v89, 16, v39
	v_fmac_f32_e32 v35, v65, v67
	v_fmac_f32_e32 v33, v44, v47
	;; [unrolled: 1-line block ×4, first 2 shown]
	s_waitcnt vmcnt(3)
	v_and_b32_e32 v53, 0xffff, v24
	v_fmac_f32_e32 v35, v45, v48
	v_fmac_f32_e32 v35, v43, v46
	s_waitcnt lgkmcnt(0)
	v_and_b32_e32 v66, 0xffff, v69
	v_lshrrev_b32_e32 v68, 16, v69
	v_and_b32_e32 v69, 0xffff, v40
	;;#ASMSTART
	v_cvt_f32_f16 v40, v66;
	;;#ASMEND
	;;#ASMSTART
	v_cvt_f32_f16 v66, v68;
	;;#ASMEND
	;; [unrolled: 3-line block ×4, first 2 shown]
	ds_read_b32 v88, v8 offset:60
	v_fmac_f32_e32 v35, v41, v42
	v_fmac_f32_e32 v33, v40, v68
	v_fmac_f32_e32 v35, v54, v56
	v_lshrrev_b32_e32 v54, 16, v24
	v_fmac_f32_e32 v35, v66, v69
	s_waitcnt lgkmcnt(0)
	v_and_b32_e32 v73, 0xffff, v88
	v_lshrrev_b32_e32 v75, 16, v88
	v_and_b32_e32 v88, 0xffff, v39
	;;#ASMSTART
	v_cvt_f32_f16 v39, v73;
	;;#ASMEND
	;;#ASMSTART
	v_cvt_f32_f16 v61, v75;
	;;#ASMEND
	;; [unrolled: 3-line block ×4, first 2 shown]
	ds_read_b32 v75, v8 offset:64
	v_lshrrev_b32_e32 v88, 16, v38
	v_lshrrev_b32_e32 v89, 16, v37
	v_fmac_f32_e32 v33, v39, v64
	v_fmac_f32_e32 v35, v61, v73
	s_waitcnt lgkmcnt(0)
	v_and_b32_e32 v86, 0xffff, v75
	v_lshrrev_b32_e32 v75, 16, v75
	;;#ASMSTART
	v_cvt_f32_f16 v38, v86;
	;;#ASMEND
	;;#ASMSTART
	v_cvt_f32_f16 v75, v75;
	;;#ASMEND
	;; [unrolled: 3-line block ×4, first 2 shown]
	ds_read_b32 v88, v8 offset:68
	v_fmac_f32_e32 v33, v38, v86
	v_fmac_f32_e32 v35, v75, v87
	s_waitcnt vmcnt(2)
	v_and_b32_e32 v38, 0xffff, v23
	s_waitcnt lgkmcnt(0)
	v_and_b32_e32 v81, 0xffff, v88
	v_lshrrev_b32_e32 v83, 16, v88
	v_and_b32_e32 v88, 0xffff, v37
	;;#ASMSTART
	v_cvt_f32_f16 v37, v81;
	;;#ASMEND
	;;#ASMSTART
	v_cvt_f32_f16 v81, v83;
	;;#ASMEND
	;; [unrolled: 3-line block ×4, first 2 shown]
	ds_read_b32 v85, v8 offset:72
	v_lshrrev_b32_e32 v88, 16, v36
	v_lshrrev_b32_e32 v89, 16, v34
	v_fmac_f32_e32 v33, v37, v83
	v_fmac_f32_e32 v35, v81, v84
	s_waitcnt lgkmcnt(0)
	v_and_b32_e32 v79, 0xffff, v85
	v_lshrrev_b32_e32 v82, 16, v85
	v_and_b32_e32 v85, 0xffff, v36
	;;#ASMSTART
	v_cvt_f32_f16 v36, v79;
	;;#ASMEND
	;;#ASMSTART
	v_cvt_f32_f16 v79, v82;
	;;#ASMEND
	;; [unrolled: 3-line block ×4, first 2 shown]
	ds_read_b32 v88, v8 offset:76
	v_fmac_f32_e32 v33, v36, v82
	v_fmac_f32_e32 v35, v79, v85
	v_lshrrev_b32_e32 v36, 16, v23
	s_waitcnt lgkmcnt(0)
	v_and_b32_e32 v77, 0xffff, v88
	v_lshrrev_b32_e32 v80, 16, v88
	v_and_b32_e32 v88, 0xffff, v34
	;;#ASMSTART
	v_cvt_f32_f16 v34, v77;
	;;#ASMEND
	;;#ASMSTART
	v_cvt_f32_f16 v72, v80;
	;;#ASMEND
	;; [unrolled: 3-line block ×4, first 2 shown]
	ds_read_b32 v80, v8 offset:80
	v_lshrrev_b32_e32 v88, 16, v32
	v_lshrrev_b32_e32 v89, 16, v31
	v_fmac_f32_e32 v33, v34, v74
	v_fmac_f32_e32 v35, v72, v77
	s_waitcnt lgkmcnt(0)
	v_and_b32_e32 v76, 0xffff, v80
	v_lshrrev_b32_e32 v78, 16, v80
	v_and_b32_e32 v80, 0xffff, v32
	;;#ASMSTART
	v_cvt_f32_f16 v32, v76;
	;;#ASMEND
	;;#ASMSTART
	v_cvt_f32_f16 v76, v78;
	;;#ASMEND
	;; [unrolled: 3-line block ×4, first 2 shown]
	ds_read_b32 v88, v8 offset:84
	v_fmac_f32_e32 v33, v32, v78
	v_fmac_f32_e32 v35, v76, v80
	s_waitcnt lgkmcnt(0)
	v_and_b32_e32 v59, 0xffff, v88
	v_lshrrev_b32_e32 v60, 16, v88
	v_and_b32_e32 v88, 0xffff, v31
	;;#ASMSTART
	v_cvt_f32_f16 v31, v59;
	;;#ASMEND
	;;#ASMSTART
	v_cvt_f32_f16 v59, v60;
	;;#ASMEND
	;; [unrolled: 3-line block ×4, first 2 shown]
	ds_read_b32 v71, v8 offset:88
	v_lshrrev_b32_e32 v88, 16, v30
	v_lshrrev_b32_e32 v89, 16, v29
	v_fmac_f32_e32 v33, v31, v60
	v_fmac_f32_e32 v35, v59, v70
	s_waitcnt vmcnt(1)
	v_and_b32_e32 v31, 0xffff, v22
	s_waitcnt lgkmcnt(0)
	v_and_b32_e32 v65, 0xffff, v71
	v_lshrrev_b32_e32 v67, 16, v71
	v_and_b32_e32 v71, 0xffff, v30
	;;#ASMSTART
	v_cvt_f32_f16 v30, v65;
	;;#ASMEND
	;;#ASMSTART
	v_cvt_f32_f16 v65, v67;
	;;#ASMEND
	;; [unrolled: 3-line block ×4, first 2 shown]
	ds_read_b32 v88, v8 offset:92
	v_fmac_f32_e32 v33, v30, v67
	v_fmac_f32_e32 v35, v65, v71
	s_waitcnt lgkmcnt(0)
	v_and_b32_e32 v57, 0xffff, v88
	v_lshrrev_b32_e32 v58, 16, v88
	v_and_b32_e32 v88, 0xffff, v29
	;;#ASMSTART
	v_cvt_f32_f16 v29, v57;
	;;#ASMEND
	;;#ASMSTART
	v_cvt_f32_f16 v51, v58;
	;;#ASMEND
	;; [unrolled: 3-line block ×4, first 2 shown]
	ds_read_b32 v58, v8 offset:96
	v_lshrrev_b32_e32 v88, 16, v28
	v_lshrrev_b32_e32 v89, 16, v27
	v_fmac_f32_e32 v33, v29, v52
	v_fmac_f32_e32 v35, v51, v57
	v_lshrrev_b32_e32 v29, 16, v22
	s_waitcnt lgkmcnt(0)
	v_and_b32_e32 v62, 0xffff, v58
	v_lshrrev_b32_e32 v58, 16, v58
	;;#ASMSTART
	v_cvt_f32_f16 v28, v62;
	;;#ASMEND
	;;#ASMSTART
	v_cvt_f32_f16 v58, v58;
	;;#ASMEND
	;; [unrolled: 3-line block ×4, first 2 shown]
	ds_read_b32 v88, v8 offset:100
	v_fmac_f32_e32 v33, v28, v62
	v_fmac_f32_e32 v35, v58, v63
	s_waitcnt lgkmcnt(0)
	v_and_b32_e32 v45, 0xffff, v88
	v_lshrrev_b32_e32 v48, 16, v88
	v_and_b32_e32 v88, 0xffff, v27
	;;#ASMSTART
	v_cvt_f32_f16 v27, v45;
	;;#ASMEND
	;;#ASMSTART
	v_cvt_f32_f16 v45, v48;
	;;#ASMEND
	;; [unrolled: 3-line block ×4, first 2 shown]
	ds_read_b32 v50, v8 offset:104
	v_lshrrev_b32_e32 v88, 16, v26
	v_lshrrev_b32_e32 v89, 16, v25
	v_fmac_f32_e32 v33, v27, v48
	v_fmac_f32_e32 v35, v45, v49
	s_waitcnt lgkmcnt(0)
	v_and_b32_e32 v43, 0xffff, v50
	v_lshrrev_b32_e32 v46, 16, v50
	v_and_b32_e32 v50, 0xffff, v26
	;;#ASMSTART
	v_cvt_f32_f16 v26, v43;
	;;#ASMEND
	;;#ASMSTART
	v_cvt_f32_f16 v43, v46;
	;;#ASMEND
	;; [unrolled: 3-line block ×4, first 2 shown]
	ds_read_b32 v88, v8 offset:108
	v_fmac_f32_e32 v33, v26, v46
	v_fmac_f32_e32 v35, v43, v50
	s_waitcnt lgkmcnt(0)
	v_and_b32_e32 v44, 0xffff, v88
	v_lshrrev_b32_e32 v47, 16, v88
	v_and_b32_e32 v88, 0xffff, v25
	;;#ASMSTART
	v_cvt_f32_f16 v25, v44;
	;;#ASMEND
	;;#ASMSTART
	v_cvt_f32_f16 v41, v47;
	;;#ASMEND
	;; [unrolled: 3-line block ×4, first 2 shown]
	ds_read_b32 v47, v8 offset:112
	v_fmac_f32_e32 v33, v25, v42
	v_fmac_f32_e32 v35, v41, v44
	s_waitcnt vmcnt(0)
	v_lshrrev_b32_e32 v25, 16, v21
	s_waitcnt lgkmcnt(0)
	v_and_b32_e32 v40, 0xffff, v47
	v_lshrrev_b32_e32 v47, 16, v47
	;;#ASMSTART
	v_cvt_f32_f16 v24, v40;
	;;#ASMEND
	;;#ASMSTART
	v_cvt_f32_f16 v39, v47;
	;;#ASMEND
	;; [unrolled: 3-line block ×4, first 2 shown]
	ds_read_b32 v53, v8 offset:116
	v_fmac_f32_e32 v33, v24, v40
	v_fmac_f32_e32 v35, v39, v47
	v_cndmask_b32_e64 v24, v3, v13, s2
	v_cmp_gt_i32_e64 s2, 32, v14
	s_waitcnt lgkmcnt(0)
	v_and_b32_e32 v34, 0xffff, v53
	v_lshrrev_b32_e32 v37, 16, v53
	;;#ASMSTART
	v_cvt_f32_f16 v23, v34;
	;;#ASMEND
	;;#ASMSTART
	v_cvt_f32_f16 v32, v37;
	;;#ASMEND
	;; [unrolled: 3-line block ×4, first 2 shown]
	ds_read_b32 v37, v8 offset:120
	v_fmac_f32_e32 v33, v23, v34
	v_fmac_f32_e32 v35, v32, v36
	s_waitcnt lgkmcnt(0)
	v_and_b32_e32 v28, 0xffff, v37
	v_lshrrev_b32_e32 v30, 16, v37
	;;#ASMSTART
	v_cvt_f32_f16 v22, v28;
	;;#ASMEND
	;;#ASMSTART
	v_cvt_f32_f16 v27, v30;
	;;#ASMEND
	;; [unrolled: 3-line block ×4, first 2 shown]
	ds_read_b32 v30, v8 offset:124
	v_fmac_f32_e32 v33, v22, v28
	v_fmac_f32_e32 v35, v27, v29
	s_waitcnt lgkmcnt(0)
	v_and_b32_e32 v23, 0xffff, v30
	v_lshrrev_b32_e32 v26, 16, v30
	v_and_b32_e32 v30, 0xffff, v21
	;;#ASMSTART
	v_cvt_f32_f16 v21, v23;
	;;#ASMEND
	;;#ASMSTART
	v_cvt_f32_f16 v22, v26;
	;;#ASMEND
	;; [unrolled: 3-line block ×4, first 2 shown]
	v_fmac_f32_e32 v33, v21, v23
	v_fmac_f32_e32 v35, v22, v25
	v_lshlrev_b32_e32 v21, 2, v24
	v_cndmask_b32_e64 v23, v3, v14, s2
	v_add_f32_e32 v22, v33, v35
	ds_bpermute_b32 v21, v21, v22
	s_waitcnt lgkmcnt(0)
	v_add_f32_e32 v21, v22, v21
	v_lshlrev_b32_e32 v22, 2, v23
	ds_bpermute_b32 v22, v22, v21
	s_and_saveexec_b32 s44, vcc_lo
	s_cbranch_execz .LBB79_11
; %bb.19:                               ;   in Loop: Header=BB79_13 Depth=1
	v_add_nc_u32_e32 v23, v15, v9
	s_waitcnt lgkmcnt(0)
	v_add_f32_e32 v21, v21, v22
	v_cvt_f32_i32_e32 v23, v23
	v_mul_f32_e32 v23, s40, v23
	v_cndmask_b32_e64 v22, 0, v23, s1
	v_max_f32_e32 v23, v4, v4
	v_fmac_f32_e32 v22, s37, v21
	v_add_nc_u32_e32 v21, v7, v9
	v_max_f32_e32 v23, v23, v22
	v_cmp_gt_i32_e64 s2, s27, v21
	v_cndmask_b32_e64 v21, 0, v22, s2
	v_cndmask_b32_e64 v4, v4, v23, s2
	ds_write_b32 v16, v21
	s_branch .LBB79_11
.LBB79_20:
	s_or_b32 exec_lo, exec_lo, s15
.LBB79_21:
	s_or_b32 exec_lo, exec_lo, s42
	v_xor_b32_e32 v1, 16, v3
	v_xor_b32_e32 v7, 8, v3
	v_max_f32_e32 v8, v4, v4
	v_and_b32_e32 v12, 31, v0
	v_cmp_gt_i32_e32 vcc_lo, 32, v1
	v_cndmask_b32_e32 v1, v3, v1, vcc_lo
	v_cmp_gt_i32_e32 vcc_lo, 32, v7
	v_lshlrev_b32_e32 v2, 2, v1
	ds_bpermute_b32 v1, v2, v4
	v_cndmask_b32_e32 v4, v3, v7, vcc_lo
	v_lshlrev_b32_e32 v4, 2, v4
	s_waitcnt lgkmcnt(0)
	v_max_f32_e32 v1, v1, v1
	v_max_f32_e32 v1, v8, v1
	v_xor_b32_e32 v8, 4, v3
	ds_bpermute_b32 v7, v4, v1
	v_cmp_gt_i32_e32 vcc_lo, 32, v8
	v_cndmask_b32_e32 v8, v3, v8, vcc_lo
	v_cmp_eq_u32_e32 vcc_lo, 0, v12
	v_lshlrev_b32_e32 v9, 2, v8
	s_waitcnt lgkmcnt(0)
	v_max_f32_e32 v7, v7, v7
	v_max_f32_e32 v1, v1, v7
	v_lshlrev_b32_e32 v7, 2, v10
	ds_bpermute_b32 v8, v9, v1
	s_and_saveexec_b32 s1, vcc_lo
	s_cbranch_execz .LBB79_23
; %bb.22:
	s_waitcnt lgkmcnt(0)
	v_max_f32_e32 v8, v8, v8
	v_max_f32_e32 v1, v1, v1
	;; [unrolled: 1-line block ×3, first 2 shown]
	ds_write_b32 v7, v1 offset:512
.LBB79_23:
	s_or_b32 exec_lo, exec_lo, s1
	v_cmp_gt_u32_e64 s1, 4, v12
	v_mov_b32_e32 v1, 0xff7fffff
	s_waitcnt lgkmcnt(0)
	v_lshlrev_b32_e32 v8, 2, v12
	s_barrier
	buffer_gl0_inv
	s_and_saveexec_b32 s2, s1
; %bb.24:
	ds_read_b32 v1, v8 offset:512
; %bb.25:
	s_or_b32 exec_lo, exec_lo, s2
	v_xor_b32_e32 v13, 2, v3
	v_xor_b32_e32 v15, 1, v3
	v_cmp_gt_i32_e64 s2, 32, v13
	v_cndmask_b32_e64 v13, v3, v13, s2
	v_cmp_gt_i32_e64 s2, 32, v15
	v_lshlrev_b32_e32 v13, 2, v13
	v_cndmask_b32_e64 v3, v3, v15, s2
	s_sub_i32 s2, s16, s41
	s_lshl_b32 s2, s2, 3
	s_waitcnt lgkmcnt(0)
	ds_bpermute_b32 v14, v13, v1
	v_max_f32_e32 v1, v1, v1
	s_add_i32 s2, s2, s38
	s_min_i32 s2, s2, s27
	s_sub_i32 s4, s2, s38
	v_cmp_gt_i32_e64 s2, s4, v0
	s_waitcnt lgkmcnt(0)
	v_max_f32_e32 v15, v14, v14
	v_lshlrev_b32_e32 v14, 2, v3
	v_max_f32_e32 v1, v1, v15
	v_mov_b32_e32 v15, 0
	ds_bpermute_b32 v3, v14, v1
	s_waitcnt lgkmcnt(0)
	v_max_f32_e32 v3, v3, v3
	v_max_f32_e32 v1, v1, v3
	v_lshl_add_u32 v3, v0, 2, 0x220
	ds_bpermute_b32 v1, v15, v1
	s_and_saveexec_b32 s5, s2
	s_cbranch_execz .LBB79_29
; %bb.26:
	v_lshl_add_u32 v16, v0, 2, 0x220
	v_mov_b32_e32 v15, 0
	v_mov_b32_e32 v17, v0
	s_mov_b32 s15, 0
	.p2align	6
.LBB79_27:                              ; =>This Inner Loop Header: Depth=1
	ds_read_b32 v18, v16
	v_add_nc_u32_e32 v17, 0x80, v17
	v_cmp_le_i32_e64 s3, s4, v17
	s_or_b32 s15, s3, s15
	s_waitcnt lgkmcnt(0)
	v_sub_f32_e32 v18, v18, v1
	v_mul_f32_e32 v18, 0x3fb8aa3b, v18
	v_exp_f32_e32 v18, v18
	ds_write_b32 v16, v18
	v_add_f32_e32 v15, v15, v18
	v_add_nc_u32_e32 v16, 0x200, v16
	s_andn2_b32 exec_lo, exec_lo, s15
	s_cbranch_execnz .LBB79_27
; %bb.28:
	s_or_b32 exec_lo, exec_lo, s15
.LBB79_29:
	s_or_b32 exec_lo, exec_lo, s5
	ds_bpermute_b32 v2, v2, v15
	s_waitcnt lgkmcnt(0)
	v_add_f32_e32 v2, v15, v2
	ds_bpermute_b32 v4, v4, v2
	s_waitcnt lgkmcnt(0)
	v_add_f32_e32 v2, v2, v4
	;; [unrolled: 3-line block ×5, first 2 shown]
	s_and_saveexec_b32 s3, vcc_lo
; %bb.30:
	ds_write_b32 v7, v2 offset:528
; %bb.31:
	s_or_b32 exec_lo, exec_lo, s3
	s_waitcnt lgkmcnt(0)
	s_barrier
	buffer_gl0_inv
	s_and_saveexec_b32 s3, s1
; %bb.32:
	ds_read_b32 v2, v8 offset:528
; %bb.33:
	s_or_b32 exec_lo, exec_lo, s3
	s_waitcnt lgkmcnt(0)
	ds_bpermute_b32 v4, v13, v2
	s_waitcnt lgkmcnt(0)
	v_add_f32_e32 v2, v2, v4
	ds_bpermute_b32 v4, v14, v2
	s_waitcnt lgkmcnt(0)
	v_add_f32_e32 v2, v2, v4
	v_mov_b32_e32 v4, 0
	ds_bpermute_b32 v2, v4, v2
	s_and_saveexec_b32 s1, s2
	s_cbranch_execz .LBB79_36
; %bb.34:
	s_waitcnt lgkmcnt(0)
	v_add_f32_e32 v4, 0x358637bd, v2
	s_mov_b32 s2, 0
	v_div_scale_f32 v7, null, v4, v4, 1.0
	v_div_scale_f32 v13, vcc_lo, 1.0, v4, 1.0
	v_rcp_f32_e32 v8, v7
	v_fma_f32 v9, -v7, v8, 1.0
	v_fmac_f32_e32 v8, v9, v8
	v_mul_f32_e32 v9, v13, v8
	v_fma_f32 v14, -v7, v9, v13
	v_fmac_f32_e32 v9, v14, v8
	v_fma_f32 v7, -v7, v9, v13
	v_div_fmas_f32 v7, v7, v8, v9
	v_div_fixup_f32 v4, v7, v4, 1.0
	v_mov_b32_e32 v7, v0
.LBB79_35:                              ; =>This Inner Loop Header: Depth=1
	ds_read_b32 v8, v3
	v_add_nc_u32_e32 v7, 0x80, v7
	v_cmp_le_i32_e32 vcc_lo, s4, v7
	s_or_b32 s2, vcc_lo, s2
	s_waitcnt lgkmcnt(0)
	v_mul_f32_e32 v8, v4, v8
	ds_write_b32 v3, v8
	v_add_nc_u32_e32 v3, 0x200, v3
	s_andn2_b32 exec_lo, exec_lo, s2
	s_cbranch_execnz .LBB79_35
.LBB79_36:
	s_or_b32 exec_lo, exec_lo, s1
	s_mul_i32 s1, s7, s26
	s_waitcnt lgkmcnt(0)
	s_mul_i32 s2, s1, s9
	s_mov_b32 s1, exec_lo
	s_barrier
	buffer_gl0_inv
	v_cmpx_eq_u32_e32 0, v0
	s_cbranch_execz .LBB79_38
; %bb.37:
	s_ashr_i32 s3, s2, 31
	s_mul_i32 s40, s7, s6
	s_lshl_b64 s[4:5], s[2:3], 2
	v_mov_b32_e32 v3, 0
	s_add_u32 s3, s22, s4
	s_addc_u32 s6, s23, s5
	s_ashr_i32 s41, s40, 31
	s_lshl_b64 s[22:23], s[40:41], 2
	s_add_u32 s3, s3, s22
	s_addc_u32 s6, s6, s23
	s_ashr_i32 s9, s8, 31
	s_lshl_b64 s[40:41], s[8:9], 2
	s_add_u32 s42, s3, s40
	s_addc_u32 s43, s6, s41
	s_add_u32 s3, s20, s4
	s_addc_u32 s4, s21, s5
	;; [unrolled: 2-line block ×4, first 2 shown]
	global_store_dword v3, v1, s[42:43]
	global_store_dword v3, v2, s[4:5]
.LBB79_38:
	s_or_b32 exec_lo, exec_lo, s1
	v_mov_b32_e32 v20, 0
	v_mov_b32_e32 v19, 0
	;; [unrolled: 1-line block ×8, first 2 shown]
	s_and_saveexec_b32 s3, s0
	s_cbranch_execz .LBB79_60
; %bb.39:
	s_ashr_i32 s15, s14, 31
	s_sub_i32 s4, s39, s17
	s_lshl_b64 s[0:1], s[14:15], 1
	v_lshlrev_b32_e32 v4, 4, v12
	s_add_u32 s6, s34, s0
	s_addc_u32 s9, s35, s1
	s_abs_i32 s5, s18
	s_add_i32 s36, s36, -1
	v_cvt_f32_u32_e32 v1, s5
	s_sub_i32 s0, 0, s5
	v_add_co_u32 v23, s6, s6, v4
	v_mov_b32_e32 v21, 0
	v_rcp_iflag_f32_e32 v1, v1
	v_lshl_add_u32 v22, v10, 5, 0x220
	v_mov_b32_e32 v13, 0
	v_mov_b32_e32 v14, 0
	;; [unrolled: 1-line block ×7, first 2 shown]
	v_add_co_ci_u32_e64 v24, null, s9, 0, s6
	v_mul_f32_e32 v3, 0x4f7ffffe, v1
	v_lshlrev_b64 v[1:2], 2, v[5:6]
	v_mov_b32_e32 v20, 0
	s_mov_b32 s9, s13
	s_mov_b32 s6, 0
	v_cvt_u32_f32_e32 v3, v3
	v_mul_lo_u32 v6, s0, v3
	s_lshl_b64 s[0:1], s[30:31], 2
	s_add_u32 s0, s28, s0
	s_addc_u32 s1, s29, s1
	v_mul_hi_u32 v8, v3, v6
	v_add_co_u32 v6, vcc_lo, s0, v1
	v_add_co_ci_u32_e64 v7, null, s1, v2, vcc_lo
	v_add_nc_u32_e32 v25, v3, v8
	s_branch .LBB79_42
.LBB79_40:                              ;   in Loop: Header=BB79_42 Depth=1
	s_or_b32 exec_lo, exec_lo, s1
	v_lshlrev_b32_e32 v28, 16, v49
	v_lshlrev_b32_e32 v9, 16, v9
	v_lshlrev_b32_e32 v8, 16, v8
	v_add_f32_e32 v26, v50, v51
	v_add_f32_e32 v27, v47, v48
	v_and_or_b32 v1, 0xffff, v1, v28
	v_and_or_b32 v2, 0xffff, v2, v9
	;; [unrolled: 1-line block ×3, first 2 shown]
	;;#ASMSTART
	v_pk_mul_f16 v1, v34, v1;

	;;#ASMEND
	;;#ASMSTART
	v_pk_mul_f16 v2, v33, v2;

	;;#ASMEND
	;; [unrolled: 4-line block ×4, first 2 shown]
	;;#ASMSTART
	v_pk_add_f16 v1, v1, v2;

	;;#ASMEND
	;;#ASMSTART
	v_pk_add_f16 v1, v1, v3;

	;;#ASMEND
	;; [unrolled: 4-line block ×3, first 2 shown]
	v_and_b32_e32 v4, 0xffff, v1
	v_lshrrev_b32_e32 v9, 16, v1
	;;#ASMSTART
	v_cvt_f32_f16 v4, v4;
	;;#ASMEND
	v_add_f32_e32 v14, v14, v26
	v_add_f32_e32 v26, v45, v46
	;; [unrolled: 1-line block ×6, first 2 shown]
	;;#ASMSTART
	v_cvt_f32_f16 v9, v9;
	;;#ASMEND
	v_add_f32_e32 v4, v4, v9
	v_add_f32_e32 v15, v15, v27
	;; [unrolled: 1-line block ×8, first 2 shown]
.LBB79_41:                              ;   in Loop: Header=BB79_42 Depth=1
	s_or_b32 exec_lo, exec_lo, s13
	v_add_nc_u32_e32 v5, 4, v5
	v_add_co_u32 v6, s0, v6, 16
	v_add_co_ci_u32_e64 v7, null, 0, v7, s0
	v_cmp_le_i32_e32 vcc_lo, s16, v5
	v_add_nc_u32_e32 v11, 32, v11
	v_add_nc_u32_e32 v22, 0x80, v22
	s_or_b32 s6, vcc_lo, s6
	s_andn2_b32 exec_lo, exec_lo, s6
	s_cbranch_execz .LBB79_59
.LBB79_42:                              ; =>This Inner Loop Header: Depth=1
	v_sub_nc_u32_e32 v1, 0, v11
	v_max_i32_e32 v1, v11, v1
	v_mul_hi_u32 v2, v1, s12
	v_mul_lo_u32 v3, v2, s11
	v_sub_nc_u32_e32 v1, v1, v3
	v_add_nc_u32_e32 v3, 1, v2
	v_subrev_nc_u32_e32 v4, s11, v1
	v_cmp_le_u32_e32 vcc_lo, s11, v1
	v_cndmask_b32_e32 v2, v2, v3, vcc_lo
	v_cndmask_b32_e32 v1, v1, v4, vcc_lo
	v_ashrrev_i32_e32 v3, 31, v11
	v_add_nc_u32_e32 v4, 1, v2
	v_cmp_le_u32_e32 vcc_lo, s11, v1
	v_xor_b32_e32 v3, s19, v3
	v_cndmask_b32_e32 v1, v2, v4, vcc_lo
	v_xor_b32_e32 v1, v1, v3
	v_sub_nc_u32_e32 v1, v1, v3
	v_add_nc_u32_e32 v2, s33, v1
	v_cmp_lt_i32_e64 s0, s4, v1
	v_sub_nc_u32_e32 v3, 0, v2
	v_max_i32_e32 v3, v2, v3
	v_ashrrev_i32_e32 v2, 31, v2
	v_mul_hi_u32 v4, v3, v25
	v_mul_lo_u32 v4, v4, s5
	v_sub_nc_u32_e32 v3, v3, v4
	v_subrev_nc_u32_e32 v4, s5, v3
	v_cmp_le_u32_e32 vcc_lo, s5, v3
	v_cndmask_b32_e32 v3, v3, v4, vcc_lo
	v_subrev_nc_u32_e32 v4, s5, v3
	v_cmp_le_u32_e32 vcc_lo, s5, v3
	v_cndmask_b32_e32 v3, v3, v4, vcc_lo
	v_xor_b32_e32 v3, v3, v2
	v_sub_nc_u32_e32 v2, v3, v2
	v_cmp_eq_u32_e32 vcc_lo, 0, v2
	s_or_b32 s0, vcc_lo, s0
	s_and_saveexec_b32 s13, s0
	s_cbranch_execz .LBB79_41
; %bb.43:                               ;   in Loop: Header=BB79_42 Depth=1
	global_load_dword v8, v[6:7], off
	ds_read2_b64 v[1:4], v22 offset1:1
	ds_read2_b64 v[26:29], v22 offset0:2 offset1:3
	v_cmp_eq_u32_e64 s0, s36, v5
	v_add_nc_u32_e32 v32, 1, v11
	v_add_nc_u32_e32 v30, 2, v11
	v_add_nc_u32_e32 v31, 6, v11
	s_waitcnt lgkmcnt(1)
	;;#ASMSTART
	v_cvt_f16_f32 v34, v1;

	;;#ASMEND
	;;#ASMSTART
	v_cvt_f16_f32 v33, v2;

	;;#ASMEND
	;; [unrolled: 4-line block ×4, first 2 shown]
	s_waitcnt lgkmcnt(0)
	;;#ASMSTART
	v_cvt_f16_f32 v40, v26;

	;;#ASMEND
	;;#ASMSTART
	v_cvt_f16_f32 v36, v27;

	;;#ASMEND
	;; [unrolled: 4-line block ×4, first 2 shown]
	v_add_nc_u32_e32 v29, 3, v11
	v_add_nc_u32_e32 v27, 4, v11
	;; [unrolled: 1-line block ×4, first 2 shown]
	s_waitcnt vmcnt(0)
	v_mad_i64_i32 v[8:9], null, v8, s9, 0
	v_lshlrev_b64 v[8:9], 1, v[8:9]
	v_add_co_u32 v8, vcc_lo, v23, v8
	v_add_co_ci_u32_e64 v9, null, v24, v9, vcc_lo
	global_load_dwordx4 v[1:4], v[8:9], off
	s_waitcnt vmcnt(0)
	v_lshrrev_b32_e32 v43, 16, v1
	v_lshrrev_b32_e32 v42, 16, v2
	;; [unrolled: 1-line block ×3, first 2 shown]
	s_and_saveexec_b32 s14, s0
	s_cbranch_execz .LBB79_45
; %bb.44:                               ;   in Loop: Header=BB79_42 Depth=1
	v_cmp_gt_i32_e32 vcc_lo, s27, v11
	v_and_b32_e32 v44, 0xffff0000, v4
	v_cmp_gt_i32_e64 s1, s27, v30
	v_cndmask_b32_e32 v1, 0, v1, vcc_lo
	v_cmp_gt_i32_e32 vcc_lo, s27, v32
	v_cndmask_b32_e64 v2, 0, v2, s1
	v_cmp_gt_i32_e64 s1, s27, v29
	v_cndmask_b32_e32 v43, 0, v43, vcc_lo
	v_cmp_gt_i32_e32 vcc_lo, s27, v31
	v_cndmask_b32_e64 v42, 0, v42, s1
	v_cndmask_b32_sdwa v4, v21, v4, vcc_lo dst_sel:DWORD dst_unused:UNUSED_PAD src0_sel:DWORD src1_sel:WORD_0
	v_cmp_gt_i32_e32 vcc_lo, s27, v28
	v_cndmask_b32_e32 v44, 0, v44, vcc_lo
	v_cmp_gt_i32_e32 vcc_lo, s27, v27
	v_or_b32_e32 v4, v4, v44
	v_cndmask_b32_e32 v3, 0, v3, vcc_lo
	v_cmp_gt_i32_e32 vcc_lo, s27, v26
	v_cndmask_b32_e32 v41, 0, v41, vcc_lo
.LBB79_45:                              ;   in Loop: Header=BB79_42 Depth=1
	s_or_b32 exec_lo, exec_lo, s14
	v_and_b32_e32 v34, 0xffff, v34
	v_and_b32_e32 v39, 0xffff, v39
	v_lshlrev_b32_e32 v43, 16, v43
	v_lshlrev_b32_e32 v41, 16, v41
	v_and_b32_e32 v40, 0xffff, v40
	v_lshl_or_b32 v34, v33, 16, v34
	v_lshl_or_b32 v33, v37, 16, v39
	v_lshlrev_b32_e32 v39, 16, v42
	v_and_b32_e32 v38, 0xffff, v38
	v_and_or_b32 v1, 0xffff, v1, v43
	v_and_or_b32 v3, 0xffff, v3, v41
	;;#ASMSTART
	v_pk_mul_f16 v1, v34, v1;

	;;#ASMEND
	v_and_or_b32 v2, 0xffff, v2, v39
	v_lshl_or_b32 v37, v36, 16, v40
	v_lshl_or_b32 v38, v35, 16, v38
	;;#ASMSTART
	v_pk_mul_f16 v2, v33, v2;

	;;#ASMEND
	;;#ASMSTART
	v_pk_mul_f16 v3, v37, v3;

	;;#ASMEND
	;;#ASMSTART
	v_pk_mul_f16 v4, v38, v4;

	;;#ASMEND
	;;#ASMSTART
	v_pk_add_f16 v1, v1, v2;

	;;#ASMEND
	;;#ASMSTART
	v_pk_add_f16 v1, v1, v3;

	;;#ASMEND
	;; [unrolled: 4-line block ×3, first 2 shown]
	v_and_b32_e32 v2, 0xffff, v1
	v_lshrrev_b32_e32 v1, 16, v1
	;;#ASMSTART
	v_cvt_f32_f16 v35, v2;
	;;#ASMEND
	;;#ASMSTART
	v_cvt_f32_f16 v36, v1;
	;;#ASMEND
	global_load_dwordx4 v[1:4], v[8:9], off offset:512
	s_waitcnt vmcnt(0)
	v_lshrrev_b32_e32 v41, 16, v1
	v_lshrrev_b32_e32 v40, 16, v2
	;; [unrolled: 1-line block ×3, first 2 shown]
	s_and_saveexec_b32 s14, s0
	s_cbranch_execz .LBB79_47
; %bb.46:                               ;   in Loop: Header=BB79_42 Depth=1
	v_cmp_gt_i32_e32 vcc_lo, s27, v11
	v_and_b32_e32 v42, 0xffff0000, v4
	v_cmp_gt_i32_e64 s1, s27, v30
	v_cndmask_b32_e32 v1, 0, v1, vcc_lo
	v_cmp_gt_i32_e32 vcc_lo, s27, v32
	v_cndmask_b32_e64 v2, 0, v2, s1
	v_cmp_gt_i32_e64 s1, s27, v29
	v_cndmask_b32_e32 v41, 0, v41, vcc_lo
	v_cmp_gt_i32_e32 vcc_lo, s27, v31
	v_cndmask_b32_e64 v40, 0, v40, s1
	v_cndmask_b32_sdwa v4, v21, v4, vcc_lo dst_sel:DWORD dst_unused:UNUSED_PAD src0_sel:DWORD src1_sel:WORD_0
	v_cmp_gt_i32_e32 vcc_lo, s27, v28
	v_cndmask_b32_e32 v42, 0, v42, vcc_lo
	v_cmp_gt_i32_e32 vcc_lo, s27, v27
	v_or_b32_e32 v4, v4, v42
	v_cndmask_b32_e32 v3, 0, v3, vcc_lo
	v_cmp_gt_i32_e32 vcc_lo, s27, v26
	v_cndmask_b32_e32 v39, 0, v39, vcc_lo
.LBB79_47:                              ;   in Loop: Header=BB79_42 Depth=1
	s_or_b32 exec_lo, exec_lo, s14
	v_lshlrev_b32_e32 v41, 16, v41
	v_lshlrev_b32_e32 v40, 16, v40
	v_lshlrev_b32_e32 v39, 16, v39
	v_and_or_b32 v1, 0xffff, v1, v41
	v_and_or_b32 v2, 0xffff, v2, v40
	;; [unrolled: 1-line block ×3, first 2 shown]
	;;#ASMSTART
	v_pk_mul_f16 v1, v34, v1;

	;;#ASMEND
	;;#ASMSTART
	v_pk_mul_f16 v2, v33, v2;

	;;#ASMEND
	;;#ASMSTART
	v_pk_mul_f16 v3, v37, v3;

	;;#ASMEND
	;;#ASMSTART
	v_pk_mul_f16 v4, v38, v4;

	;;#ASMEND
	;;#ASMSTART
	v_pk_add_f16 v1, v1, v2;

	;;#ASMEND
	;;#ASMSTART
	v_pk_add_f16 v1, v1, v3;

	;;#ASMEND
	;; [unrolled: 4-line block ×3, first 2 shown]
	v_and_b32_e32 v2, 0xffff, v1
	v_lshrrev_b32_e32 v1, 16, v1
	;;#ASMSTART
	v_cvt_f32_f16 v39, v2;
	;;#ASMEND
	;;#ASMSTART
	v_cvt_f32_f16 v40, v1;
	;;#ASMEND
	global_load_dwordx4 v[1:4], v[8:9], off offset:1024
	s_waitcnt vmcnt(0)
	v_lshrrev_b32_e32 v43, 16, v1
	v_lshrrev_b32_e32 v42, 16, v2
	;; [unrolled: 1-line block ×3, first 2 shown]
	s_and_saveexec_b32 s14, s0
	s_cbranch_execz .LBB79_49
; %bb.48:                               ;   in Loop: Header=BB79_42 Depth=1
	v_cmp_gt_i32_e32 vcc_lo, s27, v11
	v_and_b32_e32 v44, 0xffff0000, v4
	v_cmp_gt_i32_e64 s1, s27, v30
	v_cndmask_b32_e32 v1, 0, v1, vcc_lo
	v_cmp_gt_i32_e32 vcc_lo, s27, v32
	v_cndmask_b32_e64 v2, 0, v2, s1
	v_cmp_gt_i32_e64 s1, s27, v29
	v_cndmask_b32_e32 v43, 0, v43, vcc_lo
	v_cmp_gt_i32_e32 vcc_lo, s27, v31
	v_cndmask_b32_e64 v42, 0, v42, s1
	v_cndmask_b32_sdwa v4, v21, v4, vcc_lo dst_sel:DWORD dst_unused:UNUSED_PAD src0_sel:DWORD src1_sel:WORD_0
	v_cmp_gt_i32_e32 vcc_lo, s27, v28
	v_cndmask_b32_e32 v44, 0, v44, vcc_lo
	v_cmp_gt_i32_e32 vcc_lo, s27, v27
	v_or_b32_e32 v4, v4, v44
	v_cndmask_b32_e32 v3, 0, v3, vcc_lo
	v_cmp_gt_i32_e32 vcc_lo, s27, v26
	v_cndmask_b32_e32 v41, 0, v41, vcc_lo
.LBB79_49:                              ;   in Loop: Header=BB79_42 Depth=1
	s_or_b32 exec_lo, exec_lo, s14
	v_lshlrev_b32_e32 v43, 16, v43
	v_lshlrev_b32_e32 v42, 16, v42
	;; [unrolled: 1-line block ×3, first 2 shown]
	v_and_or_b32 v1, 0xffff, v1, v43
	v_and_or_b32 v2, 0xffff, v2, v42
	;; [unrolled: 1-line block ×3, first 2 shown]
	;;#ASMSTART
	v_pk_mul_f16 v1, v34, v1;

	;;#ASMEND
	;;#ASMSTART
	v_pk_mul_f16 v2, v33, v2;

	;;#ASMEND
	;;#ASMSTART
	v_pk_mul_f16 v3, v37, v3;

	;;#ASMEND
	;;#ASMSTART
	v_pk_mul_f16 v4, v38, v4;

	;;#ASMEND
	;;#ASMSTART
	v_pk_add_f16 v1, v1, v2;

	;;#ASMEND
	;;#ASMSTART
	v_pk_add_f16 v1, v1, v3;

	;;#ASMEND
	;; [unrolled: 4-line block ×3, first 2 shown]
	v_and_b32_e32 v2, 0xffff, v1
	v_lshrrev_b32_e32 v1, 16, v1
	;;#ASMSTART
	v_cvt_f32_f16 v41, v2;
	;;#ASMEND
	;;#ASMSTART
	v_cvt_f32_f16 v42, v1;
	;;#ASMEND
	global_load_dwordx4 v[1:4], v[8:9], off offset:1536
	s_waitcnt vmcnt(0)
	v_lshrrev_b32_e32 v45, 16, v1
	v_lshrrev_b32_e32 v44, 16, v2
	;; [unrolled: 1-line block ×3, first 2 shown]
	s_and_saveexec_b32 s14, s0
	s_cbranch_execz .LBB79_51
; %bb.50:                               ;   in Loop: Header=BB79_42 Depth=1
	v_cmp_gt_i32_e32 vcc_lo, s27, v11
	v_and_b32_e32 v46, 0xffff0000, v4
	v_cmp_gt_i32_e64 s1, s27, v30
	v_cndmask_b32_e32 v1, 0, v1, vcc_lo
	v_cmp_gt_i32_e32 vcc_lo, s27, v32
	v_cndmask_b32_e64 v2, 0, v2, s1
	v_cmp_gt_i32_e64 s1, s27, v29
	v_cndmask_b32_e32 v45, 0, v45, vcc_lo
	v_cmp_gt_i32_e32 vcc_lo, s27, v31
	v_cndmask_b32_e64 v44, 0, v44, s1
	v_cndmask_b32_sdwa v4, v21, v4, vcc_lo dst_sel:DWORD dst_unused:UNUSED_PAD src0_sel:DWORD src1_sel:WORD_0
	v_cmp_gt_i32_e32 vcc_lo, s27, v28
	v_cndmask_b32_e32 v46, 0, v46, vcc_lo
	v_cmp_gt_i32_e32 vcc_lo, s27, v27
	v_or_b32_e32 v4, v4, v46
	v_cndmask_b32_e32 v3, 0, v3, vcc_lo
	v_cmp_gt_i32_e32 vcc_lo, s27, v26
	v_cndmask_b32_e32 v43, 0, v43, vcc_lo
.LBB79_51:                              ;   in Loop: Header=BB79_42 Depth=1
	s_or_b32 exec_lo, exec_lo, s14
	v_lshlrev_b32_e32 v45, 16, v45
	v_lshlrev_b32_e32 v44, 16, v44
	;; [unrolled: 1-line block ×3, first 2 shown]
	v_add_co_u32 v8, vcc_lo, 0x800, v8
	v_and_or_b32 v1, 0xffff, v1, v45
	v_and_or_b32 v2, 0xffff, v2, v44
	;; [unrolled: 1-line block ×3, first 2 shown]
	;;#ASMSTART
	v_pk_mul_f16 v1, v34, v1;

	;;#ASMEND
	v_add_co_ci_u32_e64 v9, null, 0, v9, vcc_lo
	;;#ASMSTART
	v_pk_mul_f16 v2, v33, v2;

	;;#ASMEND
	;;#ASMSTART
	v_pk_mul_f16 v3, v37, v3;

	;;#ASMEND
	;; [unrolled: 4-line block ×3, first 2 shown]
	;;#ASMSTART
	v_pk_add_f16 v1, v1, v2;

	;;#ASMEND
	;;#ASMSTART
	v_pk_add_f16 v1, v1, v3;

	;;#ASMEND
	;; [unrolled: 4-line block ×3, first 2 shown]
	v_lshrrev_b32_e32 v2, 16, v1
	v_and_b32_e32 v1, 0xffff, v1
	;;#ASMSTART
	v_cvt_f32_f16 v43, v1;
	;;#ASMEND
	;;#ASMSTART
	v_cvt_f32_f16 v44, v2;
	;;#ASMEND
	global_load_dwordx4 v[1:4], v[8:9], off
	s_waitcnt vmcnt(0)
	v_lshrrev_b32_e32 v47, 16, v1
	v_lshrrev_b32_e32 v46, 16, v2
	;; [unrolled: 1-line block ×3, first 2 shown]
	s_and_saveexec_b32 s14, s0
	s_cbranch_execz .LBB79_53
; %bb.52:                               ;   in Loop: Header=BB79_42 Depth=1
	v_cmp_gt_i32_e32 vcc_lo, s27, v11
	v_and_b32_e32 v48, 0xffff0000, v4
	v_cmp_gt_i32_e64 s1, s27, v30
	v_cndmask_b32_e32 v1, 0, v1, vcc_lo
	v_cmp_gt_i32_e32 vcc_lo, s27, v32
	v_cndmask_b32_e64 v2, 0, v2, s1
	v_cmp_gt_i32_e64 s1, s27, v29
	v_cndmask_b32_e32 v47, 0, v47, vcc_lo
	v_cmp_gt_i32_e32 vcc_lo, s27, v31
	v_cndmask_b32_e64 v46, 0, v46, s1
	v_cndmask_b32_sdwa v4, v21, v4, vcc_lo dst_sel:DWORD dst_unused:UNUSED_PAD src0_sel:DWORD src1_sel:WORD_0
	v_cmp_gt_i32_e32 vcc_lo, s27, v28
	v_cndmask_b32_e32 v48, 0, v48, vcc_lo
	v_cmp_gt_i32_e32 vcc_lo, s27, v27
	v_or_b32_e32 v4, v4, v48
	v_cndmask_b32_e32 v3, 0, v3, vcc_lo
	v_cmp_gt_i32_e32 vcc_lo, s27, v26
	v_cndmask_b32_e32 v45, 0, v45, vcc_lo
.LBB79_53:                              ;   in Loop: Header=BB79_42 Depth=1
	s_or_b32 exec_lo, exec_lo, s14
	v_lshlrev_b32_e32 v47, 16, v47
	v_lshlrev_b32_e32 v46, 16, v46
	v_lshlrev_b32_e32 v45, 16, v45
	v_and_or_b32 v1, 0xffff, v1, v47
	v_and_or_b32 v2, 0xffff, v2, v46
	;; [unrolled: 1-line block ×3, first 2 shown]
	;;#ASMSTART
	v_pk_mul_f16 v1, v34, v1;

	;;#ASMEND
	;;#ASMSTART
	v_pk_mul_f16 v2, v33, v2;

	;;#ASMEND
	;; [unrolled: 4-line block ×4, first 2 shown]
	;;#ASMSTART
	v_pk_add_f16 v1, v1, v2;

	;;#ASMEND
	;;#ASMSTART
	v_pk_add_f16 v1, v1, v3;

	;;#ASMEND
	;; [unrolled: 4-line block ×3, first 2 shown]
	v_and_b32_e32 v2, 0xffff, v1
	v_lshrrev_b32_e32 v1, 16, v1
	;;#ASMSTART
	v_cvt_f32_f16 v45, v2;
	;;#ASMEND
	;;#ASMSTART
	v_cvt_f32_f16 v46, v1;
	;;#ASMEND
	global_load_dwordx4 v[1:4], v[8:9], off offset:512
	s_waitcnt vmcnt(0)
	v_lshrrev_b32_e32 v49, 16, v1
	v_lshrrev_b32_e32 v48, 16, v2
	;; [unrolled: 1-line block ×3, first 2 shown]
	s_and_saveexec_b32 s14, s0
	s_cbranch_execz .LBB79_55
; %bb.54:                               ;   in Loop: Header=BB79_42 Depth=1
	v_cmp_gt_i32_e32 vcc_lo, s27, v11
	v_and_b32_e32 v50, 0xffff0000, v4
	v_cmp_gt_i32_e64 s1, s27, v30
	v_cndmask_b32_e32 v1, 0, v1, vcc_lo
	v_cmp_gt_i32_e32 vcc_lo, s27, v32
	v_cndmask_b32_e64 v2, 0, v2, s1
	v_cmp_gt_i32_e64 s1, s27, v29
	v_cndmask_b32_e32 v49, 0, v49, vcc_lo
	v_cmp_gt_i32_e32 vcc_lo, s27, v31
	v_cndmask_b32_e64 v48, 0, v48, s1
	v_cndmask_b32_sdwa v4, v21, v4, vcc_lo dst_sel:DWORD dst_unused:UNUSED_PAD src0_sel:DWORD src1_sel:WORD_0
	v_cmp_gt_i32_e32 vcc_lo, s27, v28
	v_cndmask_b32_e32 v50, 0, v50, vcc_lo
	v_cmp_gt_i32_e32 vcc_lo, s27, v27
	v_or_b32_e32 v4, v4, v50
	v_cndmask_b32_e32 v3, 0, v3, vcc_lo
	v_cmp_gt_i32_e32 vcc_lo, s27, v26
	v_cndmask_b32_e32 v47, 0, v47, vcc_lo
.LBB79_55:                              ;   in Loop: Header=BB79_42 Depth=1
	s_or_b32 exec_lo, exec_lo, s14
	v_lshlrev_b32_e32 v49, 16, v49
	v_lshlrev_b32_e32 v48, 16, v48
	;; [unrolled: 1-line block ×3, first 2 shown]
	v_and_or_b32 v1, 0xffff, v1, v49
	v_and_or_b32 v2, 0xffff, v2, v48
	;; [unrolled: 1-line block ×3, first 2 shown]
	;;#ASMSTART
	v_pk_mul_f16 v1, v34, v1;

	;;#ASMEND
	;;#ASMSTART
	v_pk_mul_f16 v2, v33, v2;

	;;#ASMEND
	;; [unrolled: 4-line block ×4, first 2 shown]
	;;#ASMSTART
	v_pk_add_f16 v1, v1, v2;

	;;#ASMEND
	;;#ASMSTART
	v_pk_add_f16 v1, v1, v3;

	;;#ASMEND
	;; [unrolled: 4-line block ×3, first 2 shown]
	v_and_b32_e32 v2, 0xffff, v1
	v_lshrrev_b32_e32 v1, 16, v1
	;;#ASMSTART
	v_cvt_f32_f16 v47, v2;
	;;#ASMEND
	;;#ASMSTART
	v_cvt_f32_f16 v48, v1;
	;;#ASMEND
	global_load_dwordx4 v[1:4], v[8:9], off offset:1024
	s_waitcnt vmcnt(0)
	v_lshrrev_b32_e32 v51, 16, v1
	v_lshrrev_b32_e32 v50, 16, v2
	;; [unrolled: 1-line block ×3, first 2 shown]
	s_and_saveexec_b32 s14, s0
	s_cbranch_execz .LBB79_57
; %bb.56:                               ;   in Loop: Header=BB79_42 Depth=1
	v_cmp_gt_i32_e32 vcc_lo, s27, v11
	v_and_b32_e32 v52, 0xffff0000, v4
	v_cmp_gt_i32_e64 s1, s27, v30
	v_cndmask_b32_e32 v1, 0, v1, vcc_lo
	v_cmp_gt_i32_e32 vcc_lo, s27, v32
	v_cndmask_b32_e64 v2, 0, v2, s1
	v_cmp_gt_i32_e64 s1, s27, v29
	v_cndmask_b32_e32 v51, 0, v51, vcc_lo
	v_cmp_gt_i32_e32 vcc_lo, s27, v31
	v_cndmask_b32_e64 v50, 0, v50, s1
	v_cndmask_b32_sdwa v4, v21, v4, vcc_lo dst_sel:DWORD dst_unused:UNUSED_PAD src0_sel:DWORD src1_sel:WORD_0
	v_cmp_gt_i32_e32 vcc_lo, s27, v28
	v_cndmask_b32_e32 v52, 0, v52, vcc_lo
	v_cmp_gt_i32_e32 vcc_lo, s27, v27
	v_or_b32_e32 v4, v4, v52
	v_cndmask_b32_e32 v3, 0, v3, vcc_lo
	v_cmp_gt_i32_e32 vcc_lo, s27, v26
	v_cndmask_b32_e32 v49, 0, v49, vcc_lo
.LBB79_57:                              ;   in Loop: Header=BB79_42 Depth=1
	s_or_b32 exec_lo, exec_lo, s14
	v_lshlrev_b32_e32 v51, 16, v51
	v_lshlrev_b32_e32 v50, 16, v50
	;; [unrolled: 1-line block ×3, first 2 shown]
	v_and_or_b32 v1, 0xffff, v1, v51
	v_and_or_b32 v2, 0xffff, v2, v50
	;; [unrolled: 1-line block ×3, first 2 shown]
	;;#ASMSTART
	v_pk_mul_f16 v1, v34, v1;

	;;#ASMEND
	;;#ASMSTART
	v_pk_mul_f16 v2, v33, v2;

	;;#ASMEND
	;; [unrolled: 4-line block ×4, first 2 shown]
	;;#ASMSTART
	v_pk_add_f16 v1, v1, v2;

	;;#ASMEND
	;;#ASMSTART
	v_pk_add_f16 v1, v1, v3;

	;;#ASMEND
	;; [unrolled: 4-line block ×3, first 2 shown]
	v_and_b32_e32 v2, 0xffff, v1
	v_lshrrev_b32_e32 v1, 16, v1
	;;#ASMSTART
	v_cvt_f32_f16 v50, v2;
	;;#ASMEND
	;;#ASMSTART
	v_cvt_f32_f16 v51, v1;
	;;#ASMEND
	global_load_dwordx4 v[1:4], v[8:9], off offset:1536
	s_waitcnt vmcnt(0)
	v_lshrrev_b32_e32 v49, 16, v1
	v_lshrrev_b32_e32 v9, 16, v2
	;; [unrolled: 1-line block ×3, first 2 shown]
	s_and_saveexec_b32 s1, s0
	s_cbranch_execz .LBB79_40
; %bb.58:                               ;   in Loop: Header=BB79_42 Depth=1
	v_cmp_gt_i32_e32 vcc_lo, s27, v11
	v_cmp_gt_i32_e64 s0, s27, v30
	v_cndmask_b32_e32 v1, 0, v1, vcc_lo
	v_cmp_gt_i32_e32 vcc_lo, s27, v32
	v_cndmask_b32_e64 v2, 0, v2, s0
	v_cmp_gt_i32_e64 s0, s27, v29
	v_and_b32_e32 v29, 0xffff0000, v4
	v_cndmask_b32_e32 v49, 0, v49, vcc_lo
	v_cmp_gt_i32_e32 vcc_lo, s27, v31
	v_cndmask_b32_e64 v9, 0, v9, s0
	v_cndmask_b32_sdwa v4, v21, v4, vcc_lo dst_sel:DWORD dst_unused:UNUSED_PAD src0_sel:DWORD src1_sel:WORD_0
	v_cmp_gt_i32_e32 vcc_lo, s27, v28
	v_cndmask_b32_e32 v28, 0, v29, vcc_lo
	v_cmp_gt_i32_e32 vcc_lo, s27, v27
	v_or_b32_e32 v4, v4, v28
	v_cndmask_b32_e32 v3, 0, v3, vcc_lo
	v_cmp_gt_i32_e32 vcc_lo, s27, v26
	v_cndmask_b32_e32 v8, 0, v8, vcc_lo
	s_branch .LBB79_40
.LBB79_59:
	s_or_b32 exec_lo, exec_lo, s6
.LBB79_60:
	s_or_b32 exec_lo, exec_lo, s3
	v_lshl_add_u32 v2, v12, 2, 0x220
	v_and_b32_e32 v3, 0x3c0, v0
	s_mov_b32 s0, exec_lo
	s_waitcnt_vscnt null, 0x0
	s_barrier
	v_lshl_add_u32 v1, v10, 10, v2
	buffer_gl0_inv
	v_cmpx_eq_u32_e32 64, v3
	s_cbranch_execz .LBB79_62
; %bb.61:
	v_add_nc_u32_e32 v3, 0xfffff800, v1
	v_add_nc_u32_e32 v4, 0xfffff880, v1
	;; [unrolled: 1-line block ×5, first 2 shown]
	ds_write_b32 v3, v20
	ds_write_b32 v4, v19
	;; [unrolled: 1-line block ×3, first 2 shown]
	v_add_nc_u32_e32 v3, 0xfffff980, v1
	v_add_nc_u32_e32 v4, 0xfffffa00, v1
	;; [unrolled: 1-line block ×3, first 2 shown]
	ds_write_b32 v3, v17
	ds_write_b32 v4, v16
	;; [unrolled: 1-line block ×5, first 2 shown]
.LBB79_62:
	s_or_b32 exec_lo, exec_lo, s0
	s_mov_b32 s0, exec_lo
	s_waitcnt lgkmcnt(0)
	s_barrier
	buffer_gl0_inv
	v_cmpx_gt_u32_e32 64, v0
	s_cbranch_execz .LBB79_64
; %bb.63:
	ds_read2_b32 v[3:4], v1 offset1:32
	ds_read2_b32 v[5:6], v1 offset0:64 offset1:96
	ds_read2_b32 v[7:8], v1 offset0:128 offset1:160
	;; [unrolled: 1-line block ×3, first 2 shown]
	s_waitcnt lgkmcnt(3)
	v_add_f32_e32 v20, v20, v3
	v_add_f32_e32 v19, v19, v4
	s_waitcnt lgkmcnt(2)
	v_add_f32_e32 v18, v18, v5
	v_add_f32_e32 v17, v17, v6
	;; [unrolled: 3-line block ×4, first 2 shown]
.LBB79_64:
	s_or_b32 exec_lo, exec_lo, s0
	v_and_b32_e32 v3, 0x3e0, v0
	s_mov_b32 s0, exec_lo
	s_barrier
	buffer_gl0_inv
	v_cmpx_eq_u32_e32 32, v3
	s_cbranch_execz .LBB79_66
; %bb.65:
	ds_write2_b32 v2, v20, v19 offset1:32
	ds_write2_b32 v2, v18, v17 offset0:64 offset1:96
	ds_write2_b32 v2, v16, v15 offset0:128 offset1:160
	;; [unrolled: 1-line block ×3, first 2 shown]
.LBB79_66:
	s_or_b32 exec_lo, exec_lo, s0
	v_cmp_gt_u32_e32 vcc_lo, 32, v0
	s_waitcnt lgkmcnt(0)
	s_barrier
	buffer_gl0_inv
	s_and_saveexec_b32 s0, vcc_lo
	s_cbranch_execz .LBB79_68
; %bb.67:
	ds_read2_b32 v[2:3], v1 offset1:32
	ds_read2_b32 v[4:5], v1 offset0:64 offset1:96
	ds_read2_b32 v[6:7], v1 offset0:128 offset1:160
	;; [unrolled: 1-line block ×3, first 2 shown]
	s_waitcnt lgkmcnt(3)
	v_add_f32_e32 v20, v20, v2
	v_add_f32_e32 v19, v19, v3
	s_waitcnt lgkmcnt(2)
	v_add_f32_e32 v18, v18, v4
	v_add_f32_e32 v17, v17, v5
	s_waitcnt lgkmcnt(1)
	v_add_f32_e32 v16, v16, v6
	v_add_f32_e32 v15, v15, v7
	s_waitcnt lgkmcnt(0)
	v_add_f32_e32 v14, v14, v8
	v_add_f32_e32 v13, v13, v9
.LBB79_68:
	s_or_b32 exec_lo, exec_lo, s0
	s_barrier
	buffer_gl0_inv
	s_and_saveexec_b32 s0, vcc_lo
	s_cbranch_execz .LBB79_70
; %bb.69:
	s_lshl_b32 s0, s2, 8
	s_mul_i32 s2, s7, s10
	s_ashr_i32 s1, s0, 31
	v_lshlrev_b32_e32 v0, 1, v0
	s_lshl_b64 s[0:1], s[0:1], 1
	;;#ASMSTART
	v_cvt_f16_f32 v1, v20;

	;;#ASMEND
	s_add_u32 s4, s24, s0
	s_addc_u32 s5, s25, s1
	s_ashr_i32 s3, s2, 31
	s_lshl_b64 s[0:1], s[2:3], 1
	s_add_u32 s2, s4, s0
	s_addc_u32 s3, s5, s1
	s_lshl_b32 s0, s8, 8
	s_ashr_i32 s1, s0, 31
	s_lshl_b64 s[0:1], s[0:1], 1
	s_add_u32 s0, s2, s0
	s_addc_u32 s1, s3, s1
	global_store_short v0, v1, s[0:1]
	;;#ASMSTART
	v_cvt_f16_f32 v1, v19;

	;;#ASMEND
	global_store_short v0, v1, s[0:1] offset:64
	;;#ASMSTART
	v_cvt_f16_f32 v1, v18;

	;;#ASMEND
	global_store_short v0, v1, s[0:1] offset:128
	;; [unrolled: 5-line block ×7, first 2 shown]
.LBB79_70:
	s_endpgm
	.section	.rodata,"a",@progbits
	.p2align	6, 0x0
	.amdhsa_kernel _ZN4vllm25paged_attention_v2_kernelIttLi256ELi8ELi128ELNS_18Fp8KVCacheDataTypeE0ELb1ELi512EEEvPfS2_PT_PKS3_PKT0_S9_ifPKiSB_iPKfiiiSD_SD_iiiii
		.amdhsa_group_segment_fixed_size 544
		.amdhsa_private_segment_fixed_size 0
		.amdhsa_kernarg_size 400
		.amdhsa_user_sgpr_count 6
		.amdhsa_user_sgpr_private_segment_buffer 1
		.amdhsa_user_sgpr_dispatch_ptr 0
		.amdhsa_user_sgpr_queue_ptr 0
		.amdhsa_user_sgpr_kernarg_segment_ptr 1
		.amdhsa_user_sgpr_dispatch_id 0
		.amdhsa_user_sgpr_flat_scratch_init 0
		.amdhsa_user_sgpr_private_segment_size 0
		.amdhsa_wavefront_size32 1
		.amdhsa_uses_dynamic_stack 0
		.amdhsa_system_sgpr_private_segment_wavefront_offset 0
		.amdhsa_system_sgpr_workgroup_id_x 1
		.amdhsa_system_sgpr_workgroup_id_y 1
		.amdhsa_system_sgpr_workgroup_id_z 1
		.amdhsa_system_sgpr_workgroup_info 0
		.amdhsa_system_vgpr_workitem_id 0
		.amdhsa_next_free_vgpr 91
		.amdhsa_next_free_sgpr 46
		.amdhsa_reserve_vcc 1
		.amdhsa_reserve_flat_scratch 0
		.amdhsa_float_round_mode_32 0
		.amdhsa_float_round_mode_16_64 0
		.amdhsa_float_denorm_mode_32 3
		.amdhsa_float_denorm_mode_16_64 3
		.amdhsa_dx10_clamp 1
		.amdhsa_ieee_mode 1
		.amdhsa_fp16_overflow 0
		.amdhsa_workgroup_processor_mode 1
		.amdhsa_memory_ordered 1
		.amdhsa_forward_progress 1
		.amdhsa_shared_vgpr_count 0
		.amdhsa_exception_fp_ieee_invalid_op 0
		.amdhsa_exception_fp_denorm_src 0
		.amdhsa_exception_fp_ieee_div_zero 0
		.amdhsa_exception_fp_ieee_overflow 0
		.amdhsa_exception_fp_ieee_underflow 0
		.amdhsa_exception_fp_ieee_inexact 0
		.amdhsa_exception_int_div_zero 0
	.end_amdhsa_kernel
	.section	.text._ZN4vllm25paged_attention_v2_kernelIttLi256ELi8ELi128ELNS_18Fp8KVCacheDataTypeE0ELb1ELi512EEEvPfS2_PT_PKS3_PKT0_S9_ifPKiSB_iPKfiiiSD_SD_iiiii,"axG",@progbits,_ZN4vllm25paged_attention_v2_kernelIttLi256ELi8ELi128ELNS_18Fp8KVCacheDataTypeE0ELb1ELi512EEEvPfS2_PT_PKS3_PKT0_S9_ifPKiSB_iPKfiiiSD_SD_iiiii,comdat
.Lfunc_end79:
	.size	_ZN4vllm25paged_attention_v2_kernelIttLi256ELi8ELi128ELNS_18Fp8KVCacheDataTypeE0ELb1ELi512EEEvPfS2_PT_PKS3_PKT0_S9_ifPKiSB_iPKfiiiSD_SD_iiiii, .Lfunc_end79-_ZN4vllm25paged_attention_v2_kernelIttLi256ELi8ELi128ELNS_18Fp8KVCacheDataTypeE0ELb1ELi512EEEvPfS2_PT_PKS3_PKT0_S9_ifPKiSB_iPKfiiiSD_SD_iiiii
                                        ; -- End function
	.set _ZN4vllm25paged_attention_v2_kernelIttLi256ELi8ELi128ELNS_18Fp8KVCacheDataTypeE0ELb1ELi512EEEvPfS2_PT_PKS3_PKT0_S9_ifPKiSB_iPKfiiiSD_SD_iiiii.num_vgpr, 91
	.set _ZN4vllm25paged_attention_v2_kernelIttLi256ELi8ELi128ELNS_18Fp8KVCacheDataTypeE0ELb1ELi512EEEvPfS2_PT_PKS3_PKT0_S9_ifPKiSB_iPKfiiiSD_SD_iiiii.num_agpr, 0
	.set _ZN4vllm25paged_attention_v2_kernelIttLi256ELi8ELi128ELNS_18Fp8KVCacheDataTypeE0ELb1ELi512EEEvPfS2_PT_PKS3_PKT0_S9_ifPKiSB_iPKfiiiSD_SD_iiiii.numbered_sgpr, 46
	.set _ZN4vllm25paged_attention_v2_kernelIttLi256ELi8ELi128ELNS_18Fp8KVCacheDataTypeE0ELb1ELi512EEEvPfS2_PT_PKS3_PKT0_S9_ifPKiSB_iPKfiiiSD_SD_iiiii.num_named_barrier, 0
	.set _ZN4vllm25paged_attention_v2_kernelIttLi256ELi8ELi128ELNS_18Fp8KVCacheDataTypeE0ELb1ELi512EEEvPfS2_PT_PKS3_PKT0_S9_ifPKiSB_iPKfiiiSD_SD_iiiii.private_seg_size, 0
	.set _ZN4vllm25paged_attention_v2_kernelIttLi256ELi8ELi128ELNS_18Fp8KVCacheDataTypeE0ELb1ELi512EEEvPfS2_PT_PKS3_PKT0_S9_ifPKiSB_iPKfiiiSD_SD_iiiii.uses_vcc, 1
	.set _ZN4vllm25paged_attention_v2_kernelIttLi256ELi8ELi128ELNS_18Fp8KVCacheDataTypeE0ELb1ELi512EEEvPfS2_PT_PKS3_PKT0_S9_ifPKiSB_iPKfiiiSD_SD_iiiii.uses_flat_scratch, 0
	.set _ZN4vllm25paged_attention_v2_kernelIttLi256ELi8ELi128ELNS_18Fp8KVCacheDataTypeE0ELb1ELi512EEEvPfS2_PT_PKS3_PKT0_S9_ifPKiSB_iPKfiiiSD_SD_iiiii.has_dyn_sized_stack, 0
	.set _ZN4vllm25paged_attention_v2_kernelIttLi256ELi8ELi128ELNS_18Fp8KVCacheDataTypeE0ELb1ELi512EEEvPfS2_PT_PKS3_PKT0_S9_ifPKiSB_iPKfiiiSD_SD_iiiii.has_recursion, 0
	.set _ZN4vllm25paged_attention_v2_kernelIttLi256ELi8ELi128ELNS_18Fp8KVCacheDataTypeE0ELb1ELi512EEEvPfS2_PT_PKS3_PKT0_S9_ifPKiSB_iPKfiiiSD_SD_iiiii.has_indirect_call, 0
	.section	.AMDGPU.csdata,"",@progbits
; Kernel info:
; codeLenInByte = 11532
; TotalNumSgprs: 48
; NumVgprs: 91
; ScratchSize: 0
; MemoryBound: 0
; FloatMode: 240
; IeeeMode: 1
; LDSByteSize: 544 bytes/workgroup (compile time only)
; SGPRBlocks: 0
; VGPRBlocks: 11
; NumSGPRsForWavesPerEU: 48
; NumVGPRsForWavesPerEU: 91
; Occupancy: 10
; WaveLimiterHint : 1
; COMPUTE_PGM_RSRC2:SCRATCH_EN: 0
; COMPUTE_PGM_RSRC2:USER_SGPR: 6
; COMPUTE_PGM_RSRC2:TRAP_HANDLER: 0
; COMPUTE_PGM_RSRC2:TGID_X_EN: 1
; COMPUTE_PGM_RSRC2:TGID_Y_EN: 1
; COMPUTE_PGM_RSRC2:TGID_Z_EN: 1
; COMPUTE_PGM_RSRC2:TIDIG_COMP_CNT: 0
	.section	.text._ZN4vllm32paged_attention_v2_reduce_kernelItLi256ELi128ELi512EEEvPT_PKfS4_PKS1_PKii,"axG",@progbits,_ZN4vllm32paged_attention_v2_reduce_kernelItLi256ELi128ELi512EEEvPT_PKfS4_PKS1_PKii,comdat
	.protected	_ZN4vllm32paged_attention_v2_reduce_kernelItLi256ELi128ELi512EEEvPT_PKfS4_PKS1_PKii ; -- Begin function _ZN4vllm32paged_attention_v2_reduce_kernelItLi256ELi128ELi512EEEvPT_PKfS4_PKS1_PKii
	.globl	_ZN4vllm32paged_attention_v2_reduce_kernelItLi256ELi128ELi512EEEvPT_PKfS4_PKS1_PKii
	.p2align	8
	.type	_ZN4vllm32paged_attention_v2_reduce_kernelItLi256ELi128ELi512EEEvPT_PKfS4_PKS1_PKii,@function
_ZN4vllm32paged_attention_v2_reduce_kernelItLi256ELi128ELi512EEEvPT_PKfS4_PKS1_PKii: ; @_ZN4vllm32paged_attention_v2_reduce_kernelItLi256ELi128ELi512EEEvPT_PKfS4_PKS1_PKii
; %bb.0:
	s_load_dwordx4 s[8:11], s[4:5], 0x18
	s_add_u32 s14, s4, 48
	s_mov_b32 s12, s7
	s_addc_u32 s15, s5, 0
	s_ashr_i32 s13, s7, 31
	s_lshl_b64 s[0:1], s[12:13], 2
	s_waitcnt lgkmcnt(0)
	s_add_u32 s0, s10, s0
	s_addc_u32 s1, s11, s1
	s_load_dword s22, s[0:1], 0x0
	s_clause 0x2
	s_load_dwordx2 s[10:11], s[4:5], 0x0
	s_load_dword s7, s[4:5], 0x28
	s_load_dword s13, s[4:5], 0x30
	s_waitcnt lgkmcnt(0)
	s_add_i32 s0, s22, -1
	s_cmpk_gt_u32 s0, 0x1ff
	s_mov_b32 s0, -1
	s_cbranch_scc0 .LBB80_31
; %bb.1:
	s_load_dwordx2 s[2:3], s[4:5], 0x8
	s_add_i32 s0, s22, 0x1ff
	s_mul_i32 s20, s13, s12
	s_ashr_i32 s1, s0, 31
	v_mov_b32_e32 v4, 0xff7fffff
	s_lshr_b32 s1, s1, 23
	v_lshlrev_b32_e32 v3, 2, v0
	s_add_i32 s0, s0, s1
	s_mul_i32 s16, s20, s7
	s_ashr_i32 s21, s0, 9
	s_mul_i32 s18, s7, s6
	v_cmp_gt_i32_e32 vcc_lo, s21, v0
	s_ashr_i32 s17, s16, 31
	s_ashr_i32 s19, s18, 31
	s_and_saveexec_b32 s1, vcc_lo
	s_cbranch_execz .LBB80_5
; %bb.2:
	s_load_dword s0, s[14:15], 0xc
	s_load_dwordx2 s[24:25], s[4:5], 0x10
	s_lshl_b64 s[26:27], s[16:17], 2
	s_lshl_b64 s[28:29], s[18:19], 2
	v_add_nc_u32_e32 v5, 32, v3
	v_mov_b32_e32 v4, 0xff7fffff
	v_mov_b32_e32 v6, v0
	s_waitcnt lgkmcnt(0)
	s_and_b32 s4, s0, 0xffff
	s_add_u32 s0, s26, s28
	s_addc_u32 s5, s27, s29
	s_add_u32 s0, s24, s0
	s_addc_u32 s5, s25, s5
	v_add_co_u32 v1, s0, s0, v3
	v_add_co_ci_u32_e64 v2, null, s5, 0, s0
	s_mov_b32 s5, 0
	s_lshl_b32 s23, s4, 2
	.p2align	6
.LBB80_3:                               ; =>This Inner Loop Header: Depth=1
	global_load_dword v7, v[1:2], off
	v_add_nc_u32_e32 v6, s4, v6
	v_max_f32_e32 v4, v4, v4
	v_add_co_u32 v1, s0, v1, s23
	v_add_co_ci_u32_e64 v2, null, 0, v2, s0
	v_cmp_le_i32_e64 s0, s21, v6
	s_or_b32 s5, s0, s5
	s_waitcnt vmcnt(0)
	v_max_f32_e32 v8, v7, v7
	ds_write_b32 v5, v7
	v_add_nc_u32_e32 v5, s23, v5
	v_max_f32_e32 v4, v4, v8
	s_andn2_b32 exec_lo, exec_lo, s5
	s_cbranch_execnz .LBB80_3
; %bb.4:
	s_or_b32 exec_lo, exec_lo, s5
.LBB80_5:
	s_or_b32 exec_lo, exec_lo, s1
	v_mbcnt_lo_u32_b32 v1, -1, 0
	s_waitcnt lgkmcnt(0)
	s_barrier
	buffer_gl0_inv
	v_xor_b32_e32 v2, 16, v1
	v_xor_b32_e32 v5, 8, v1
	v_cmp_gt_i32_e64 s0, 32, v2
	v_cndmask_b32_e64 v2, v1, v2, s0
	v_cmp_gt_i32_e64 s0, 32, v5
	v_lshlrev_b32_e32 v6, 2, v2
	v_cndmask_b32_e64 v5, v1, v5, s0
	ds_bpermute_b32 v2, v6, v4
	v_max_f32_e32 v4, v4, v4
	v_lshlrev_b32_e32 v7, 2, v5
	v_xor_b32_e32 v5, 4, v1
	v_cmp_gt_i32_e64 s0, 32, v5
	v_cndmask_b32_e64 v5, v1, v5, s0
	v_lshlrev_b32_e32 v8, 2, v5
	v_xor_b32_e32 v5, 2, v1
	s_waitcnt lgkmcnt(0)
	v_max_f32_e32 v2, v2, v2
	v_cmp_gt_i32_e64 s0, 32, v5
	v_max_f32_e32 v2, v4, v2
	v_cndmask_b32_e64 v5, v1, v5, s0
	ds_bpermute_b32 v4, v7, v2
	s_waitcnt lgkmcnt(0)
	v_max_f32_e32 v4, v4, v4
	v_max_f32_e32 v2, v2, v4
	ds_bpermute_b32 v4, v8, v2
	s_waitcnt lgkmcnt(0)
	v_max_f32_e32 v9, v4, v4
	v_lshlrev_b32_e32 v4, 2, v5
	v_max_f32_e32 v2, v2, v9
	v_xor_b32_e32 v9, 1, v1
	ds_bpermute_b32 v5, v4, v2
	v_cmp_gt_i32_e64 s0, 32, v9
	v_cndmask_b32_e64 v1, v1, v9, s0
	v_lshrrev_b32_e32 v9, 5, v0
	v_lshlrev_b32_e32 v9, 2, v9
	s_waitcnt lgkmcnt(0)
	v_max_f32_e32 v5, v5, v5
	v_max_f32_e32 v2, v2, v5
	v_lshlrev_b32_e32 v5, 2, v1
	v_and_b32_e32 v1, 31, v0
	ds_bpermute_b32 v10, v5, v2
	v_cmp_eq_u32_e64 s0, 0, v1
	s_and_saveexec_b32 s1, s0
	s_cbranch_execz .LBB80_7
; %bb.6:
	s_waitcnt lgkmcnt(0)
	v_max_f32_e32 v10, v10, v10
	v_max_f32_e32 v2, v2, v2
	;; [unrolled: 1-line block ×3, first 2 shown]
	ds_write_b32 v9, v2
.LBB80_7:
	s_or_b32 exec_lo, exec_lo, s1
	v_cmp_gt_u32_e64 s1, 4, v1
	v_mov_b32_e32 v2, 0xff7fffff
	s_waitcnt lgkmcnt(0)
	v_lshlrev_b32_e32 v10, 2, v1
	s_barrier
	buffer_gl0_inv
	s_and_saveexec_b32 s4, s1
; %bb.8:
	ds_read_b32 v2, v10
; %bb.9:
	s_or_b32 exec_lo, exec_lo, s4
	s_waitcnt lgkmcnt(0)
	ds_bpermute_b32 v1, v4, v2
	v_max_f32_e32 v2, v2, v2
	v_mov_b32_e32 v11, 0
	s_lshl_b32 s5, s21, 2
	s_waitcnt lgkmcnt(0)
	v_max_f32_e32 v1, v1, v1
	v_max_f32_e32 v1, v2, v1
	ds_bpermute_b32 v2, v5, v1
	s_waitcnt lgkmcnt(0)
	v_max_f32_e32 v2, v2, v2
	v_max_f32_e32 v1, v1, v2
	ds_bpermute_b32 v12, v11, v1
	s_and_saveexec_b32 s4, vcc_lo
	s_cbranch_execz .LBB80_13
; %bb.10:
	s_load_dword s23, s[14:15], 0xc
	s_lshl_b64 s[24:25], s[16:17], 2
	s_lshl_b64 s[26:27], s[18:19], 2
	v_mov_b32_e32 v11, 0
	v_add_nc_u32_e32 v13, 32, v3
	s_waitcnt lgkmcnt(0)
	s_and_b32 s17, s23, 0xffff
	s_add_u32 s19, s24, s26
	s_addc_u32 s23, s25, s27
	s_add_u32 s2, s2, s19
	s_addc_u32 s3, s3, s23
	v_add_co_u32 v1, s2, s2, v3
	v_add_co_ci_u32_e64 v2, null, s3, 0, s2
	v_mov_b32_e32 v3, v0
	s_mov_b32 s3, 0
	s_lshl_b32 s19, s17, 2
	s_inst_prefetch 0x1
	.p2align	6
.LBB80_11:                              ; =>This Inner Loop Header: Depth=1
	global_load_dword v14, v[1:2], off
	ds_read_b32 v15, v13
	v_add_nc_u32_e32 v3, s17, v3
	s_waitcnt lgkmcnt(0)
	v_sub_f32_e32 v15, v15, v12
	v_mul_f32_e32 v16, 0x3fb8aa3b, v15
	v_cmp_ngt_f32_e32 vcc_lo, 0xc2ce8ed0, v15
	v_cmp_nlt_f32_e64 s2, 0x42b17218, v15
	v_fma_f32 v17, 0x3fb8aa3b, v15, -v16
	v_rndne_f32_e32 v18, v16
	v_fmac_f32_e32 v17, 0x32a5705f, v15
	v_sub_f32_e32 v16, v16, v18
	v_add_f32_e32 v16, v16, v17
	v_cvt_i32_f32_e32 v17, v18
	v_exp_f32_e32 v16, v16
	v_ldexp_f32 v16, v16, v17
	v_add_nc_u32_e32 v17, s5, v13
	v_add_nc_u32_e32 v13, s19, v13
	v_cndmask_b32_e32 v16, 0, v16, vcc_lo
	v_add_co_u32 v1, vcc_lo, v1, s19
	v_add_co_ci_u32_e64 v2, null, 0, v2, vcc_lo
	v_cndmask_b32_e64 v15, 0x7f800000, v16, s2
	v_cmp_le_i32_e32 vcc_lo, s21, v3
	s_or_b32 s3, vcc_lo, s3
	s_waitcnt vmcnt(0)
	v_mul_f32_e32 v16, v14, v15
	v_fmac_f32_e32 v11, v14, v15
	ds_write_b32 v17, v16
	s_andn2_b32 exec_lo, exec_lo, s3
	s_cbranch_execnz .LBB80_11
; %bb.12:
	s_inst_prefetch 0x2
	s_or_b32 exec_lo, exec_lo, s3
.LBB80_13:
	s_or_b32 exec_lo, exec_lo, s4
	ds_bpermute_b32 v1, v6, v11
	s_waitcnt lgkmcnt(0)
	s_barrier
	buffer_gl0_inv
	v_add_f32_e32 v1, v11, v1
	ds_bpermute_b32 v2, v7, v1
	s_waitcnt lgkmcnt(0)
	v_add_f32_e32 v1, v1, v2
	ds_bpermute_b32 v2, v8, v1
	s_waitcnt lgkmcnt(0)
	;; [unrolled: 3-line block ×4, first 2 shown]
	v_add_f32_e32 v1, v1, v2
	s_and_saveexec_b32 s2, s0
; %bb.14:
	ds_write_b32 v9, v1 offset:16
; %bb.15:
	s_or_b32 exec_lo, exec_lo, s2
	s_waitcnt lgkmcnt(0)
	s_barrier
	buffer_gl0_inv
	s_and_saveexec_b32 s0, s1
; %bb.16:
	ds_read_b32 v1, v10 offset:16
; %bb.17:
	s_or_b32 exec_lo, exec_lo, s0
	s_waitcnt lgkmcnt(0)
	ds_bpermute_b32 v2, v4, v1
	s_mov_b32 s4, exec_lo
	s_waitcnt lgkmcnt(0)
	v_add_f32_e32 v1, v1, v2
	ds_bpermute_b32 v2, v5, v1
	s_waitcnt lgkmcnt(0)
	v_add_f32_e32 v1, v1, v2
	v_mov_b32_e32 v2, 0
	ds_bpermute_b32 v1, v2, v1
	v_cmpx_gt_u32_e32 0x100, v0
	s_cbranch_execz .LBB80_30
; %bb.18:
	s_waitcnt lgkmcnt(0)
	v_add_f32_e32 v2, 0x358637bd, v1
	s_lshl_b32 s0, s16, 8
	s_lshl_b32 s2, s18, 8
	s_ashr_i32 s1, s0, 31
	s_ashr_i32 s3, s2, 31
	v_div_scale_f32 v1, null, v2, v2, 1.0
	v_div_scale_f32 v5, vcc_lo, 1.0, v2, 1.0
	s_cmp_gt_i32 s22, 0
	v_rcp_f32_e32 v3, v1
	s_cselect_b32 s17, -1, 0
	s_mov_b32 s16, 0
	v_fma_f32 v4, -v1, v3, 1.0
	v_fmac_f32_e32 v3, v4, v3
	v_mul_f32_e32 v4, v5, v3
	v_fma_f32 v6, -v1, v4, v5
	v_fmac_f32_e32 v4, v6, v3
	v_fma_f32 v1, -v1, v4, v5
	v_div_fmas_f32 v3, v1, v3, v4
	s_and_b32 vcc_lo, exec_lo, s17
	s_cbranch_vccnz .LBB80_20
; %bb.19:
	v_mov_b32_e32 v1, 0
	s_branch .LBB80_21
.LBB80_20:
	s_mov_b32 s16, -1
.LBB80_21:
	v_div_fixup_f32 v5, v3, v2, 1.0
	v_mov_b32_e32 v6, 0
	s_add_i32 s5, s5, 32
	s_andn2_b32 vcc_lo, exec_lo, s16
	s_max_i32 s16, s21, 1
	s_cbranch_vccnz .LBB80_24
; %bb.22:
	s_lshl_b64 s[18:19], s[0:1], 1
	s_lshl_b64 s[22:23], s[2:3], 1
	v_lshlrev_b32_e32 v2, 1, v0
	s_add_u32 s18, s18, s22
	s_addc_u32 s19, s19, s23
	v_mov_b32_e32 v1, 0
	s_add_u32 s18, s8, s18
	s_addc_u32 s19, s9, s19
	v_add_co_u32 v2, s18, s18, v2
	v_add_co_ci_u32_e64 v3, null, s19, 0, s18
	v_mov_b32_e32 v6, v1
	s_mov_b32 s18, s5
	s_mov_b32 s19, s16
	.p2align	6
.LBB80_23:                              ; =>This Inner Loop Header: Depth=1
	v_mov_b32_e32 v4, s18
	global_load_ushort v7, v[2:3], off
	s_waitcnt vmcnt(0)
	;;#ASMSTART
	v_cvt_f32_f16 v7, v7;
	;;#ASMEND
	v_add_co_u32 v2, vcc_lo, 0x200, v2
	ds_read_b32 v4, v4
	v_add_co_ci_u32_e64 v3, null, 0, v3, vcc_lo
	s_add_i32 s19, s19, -1
	s_add_i32 s18, s18, 4
	s_cmp_eq_u32 s19, 0
	s_waitcnt lgkmcnt(0)
	v_mul_f32_e32 v4, v7, v4
	v_fmac_f32_e32 v6, v5, v4
	s_cbranch_scc0 .LBB80_23
.LBB80_24:
	s_lshl_b32 s18, s20, 8
	v_lshlrev_b64 v[3:4], 1, v[0:1]
	s_ashr_i32 s19, s18, 31
	;;#ASMSTART
	v_cvt_f16_f32 v6, v6;

	;;#ASMEND
	s_lshl_b64 s[18:19], s[18:19], 1
	s_add_u32 s20, s10, s18
	s_addc_u32 s21, s11, s19
	s_lshl_b32 s18, s6, 8
	s_ashr_i32 s19, s18, 31
	s_lshl_b64 s[18:19], s[18:19], 1
	s_add_u32 s18, s20, s18
	s_addc_u32 s19, s21, s19
	v_add_co_u32 v1, vcc_lo, s18, v3
	v_add_co_ci_u32_e64 v2, null, s19, v4, vcc_lo
	v_cmp_gt_u32_e32 vcc_lo, 0x80, v0
	global_store_short v[1:2], v6, off
	s_and_b32 exec_lo, exec_lo, vcc_lo
	s_cbranch_execz .LBB80_30
; %bb.25:
	s_andn2_b32 vcc_lo, exec_lo, s17
	s_cbranch_vccnz .LBB80_28
; %bb.26:
	s_lshl_b64 s[0:1], s[0:1], 1
	s_lshl_b64 s[2:3], s[2:3], 1
	v_mov_b32_e32 v6, 0
	s_add_u32 s0, s0, s2
	s_addc_u32 s1, s1, s3
	s_add_u32 s0, s8, s0
	s_addc_u32 s1, s9, s1
	v_add_co_u32 v3, vcc_lo, s0, v3
	v_add_co_ci_u32_e64 v4, null, s1, v4, vcc_lo
	v_add_co_u32 v3, vcc_lo, 0x100, v3
	v_add_co_ci_u32_e64 v4, null, 0, v4, vcc_lo
	.p2align	6
.LBB80_27:                              ; =>This Inner Loop Header: Depth=1
	v_mov_b32_e32 v7, s5
	global_load_ushort v8, v[3:4], off
	s_waitcnt vmcnt(0)
	;;#ASMSTART
	v_cvt_f32_f16 v8, v8;
	;;#ASMEND
	v_add_co_u32 v3, vcc_lo, 0x200, v3
	ds_read_b32 v7, v7
	v_add_co_ci_u32_e64 v4, null, 0, v4, vcc_lo
	s_add_i32 s16, s16, -1
	s_add_i32 s5, s5, 4
	s_cmp_lg_u32 s16, 0
	s_waitcnt lgkmcnt(0)
	v_mul_f32_e32 v7, v8, v7
	v_fmac_f32_e32 v6, v5, v7
	s_cbranch_scc1 .LBB80_27
	s_branch .LBB80_29
.LBB80_28:
	v_mov_b32_e32 v6, 0
.LBB80_29:
	;;#ASMSTART
	v_cvt_f16_f32 v3, v6;

	;;#ASMEND
	global_store_short v[1:2], v3, off offset:256
.LBB80_30:
	s_or_b32 exec_lo, exec_lo, s4
	s_mov_b32 s0, 0
.LBB80_31:
	s_and_b32 vcc_lo, exec_lo, s0
	s_cbranch_vccz .LBB80_40
; %bb.32:
	s_mov_b32 s0, exec_lo
	v_cmpx_gt_u32_e32 0x100, v0
	s_cbranch_execz .LBB80_40
; %bb.33:
	s_load_dword s0, s[14:15], 0xc
	s_mul_i32 s13, s13, s12
	s_mul_i32 s1, s7, s6
	;; [unrolled: 1-line block ×3, first 2 shown]
	s_lshl_b32 s2, s6, 8
	s_lshl_b32 s12, s13, 8
	s_lshl_b32 s4, s1, 8
	s_lshl_b32 s6, s7, 8
	v_cmp_gt_u32_e32 vcc_lo, 0xfd, v0
	s_ashr_i32 s3, s2, 31
	s_ashr_i32 s13, s12, 31
	;; [unrolled: 1-line block ×4, first 2 shown]
	s_waitcnt lgkmcnt(0)
	s_and_b32 s1, s0, 0xffff
	s_cmp_eq_u32 s1, 1
	s_cselect_b32 s0, -1, 0
	s_and_b32 s15, vcc_lo, s0
	s_mov_b32 s0, -1
	s_and_saveexec_b32 s14, s15
	s_cbranch_execz .LBB80_37
; %bb.34:
	s_lshl_b64 s[16:17], s[6:7], 1
	s_lshl_b64 s[18:19], s[4:5], 1
	v_lshlrev_b32_e32 v1, 1, v0
	s_add_u32 s0, s16, s18
	s_addc_u32 s15, s17, s19
	s_add_u32 s0, s8, s0
	s_addc_u32 s15, s9, s15
	s_lshl_b64 s[16:17], s[12:13], 1
	s_lshl_b64 s[18:19], s[2:3], 1
	v_add_co_u32 v2, s0, s0, v1
	v_add_co_ci_u32_e64 v3, null, s15, 0, s0
	s_add_u32 s0, s16, s18
	v_sub_nc_u32_e32 v5, 0x100, v0
	s_addc_u32 s15, s17, s19
	s_add_u32 s0, s10, s0
	s_addc_u32 s15, s11, s15
	v_add_co_u32 v4, s0, s0, v1
	v_and_b32_e32 v6, 0x1fc, v5
	v_add_co_ci_u32_e64 v7, null, s15, 0, s0
	v_add_co_u32 v1, vcc_lo, v2, 4
	v_add_co_ci_u32_e64 v2, null, 0, v3, vcc_lo
	v_add_co_u32 v3, vcc_lo, v4, 4
	v_add_co_ci_u32_e64 v4, null, 0, v7, vcc_lo
	v_mov_b32_e32 v7, v6
	s_mov_b32 s15, 0
	.p2align	6
.LBB80_35:                              ; =>This Inner Loop Header: Depth=1
	global_load_dwordx2 v[8:9], v[1:2], off offset:-4
	v_add_nc_u32_e32 v7, -4, v7
	v_add_co_u32 v1, vcc_lo, v1, 8
	v_add_co_ci_u32_e64 v2, null, 0, v2, vcc_lo
	v_cmp_eq_u32_e32 vcc_lo, 0, v7
	s_or_b32 s15, vcc_lo, s15
	s_waitcnt vmcnt(0)
	global_store_dwordx2 v[3:4], v[8:9], off offset:-4
	v_add_co_u32 v3, s0, v3, 8
	v_add_co_ci_u32_e64 v4, null, 0, v4, s0
	s_andn2_b32 exec_lo, exec_lo, s15
	s_cbranch_execnz .LBB80_35
; %bb.36:
	s_or_b32 exec_lo, exec_lo, s15
	v_cmp_ne_u32_e32 vcc_lo, v5, v6
	v_add_nc_u32_e32 v0, v0, v6
	s_orn2_b32 s0, vcc_lo, exec_lo
.LBB80_37:
	s_or_b32 exec_lo, exec_lo, s14
	s_and_b32 exec_lo, exec_lo, s0
	s_cbranch_execz .LBB80_40
; %bb.38:
	s_lshl_b64 s[12:13], s[12:13], 1
	v_lshlrev_b32_e32 v1, 1, v0
	s_add_u32 s0, s10, s12
	s_addc_u32 s10, s11, s13
	s_lshl_b64 s[2:3], s[2:3], 1
	v_mov_b32_e32 v2, 0
	s_add_u32 s2, s0, s2
	s_addc_u32 s3, s10, s3
	s_lshl_b64 s[6:7], s[6:7], 1
	s_add_u32 s0, s8, s6
	s_addc_u32 s6, s9, s7
	s_lshl_b64 s[4:5], s[4:5], 1
	s_add_u32 s4, s0, s4
	s_addc_u32 s5, s6, s5
	s_mov_b32 s6, 0
	s_lshl_b32 s7, s1, 1
	.p2align	6
.LBB80_39:                              ; =>This Inner Loop Header: Depth=1
	v_add_co_u32 v3, vcc_lo, s4, v1
	v_add_co_ci_u32_e64 v4, null, s5, v2, vcc_lo
	v_add_nc_u32_e32 v0, s1, v0
	global_load_ushort v5, v[3:4], off
	v_add_co_u32 v3, vcc_lo, s2, v1
	v_add_co_ci_u32_e64 v4, null, s3, v2, vcc_lo
	v_cmp_lt_u32_e32 vcc_lo, 0xff, v0
	v_add_co_u32 v1, s0, v1, s7
	v_add_co_ci_u32_e64 v2, null, 0, v2, s0
	s_or_b32 s6, vcc_lo, s6
	s_waitcnt vmcnt(0)
	global_store_short v[3:4], v5, off
	s_andn2_b32 exec_lo, exec_lo, s6
	s_cbranch_execnz .LBB80_39
.LBB80_40:
	s_endpgm
	.section	.rodata,"a",@progbits
	.p2align	6, 0x0
	.amdhsa_kernel _ZN4vllm32paged_attention_v2_reduce_kernelItLi256ELi128ELi512EEEvPT_PKfS4_PKS1_PKii
		.amdhsa_group_segment_fixed_size 32
		.amdhsa_private_segment_fixed_size 0
		.amdhsa_kernarg_size 304
		.amdhsa_user_sgpr_count 6
		.amdhsa_user_sgpr_private_segment_buffer 1
		.amdhsa_user_sgpr_dispatch_ptr 0
		.amdhsa_user_sgpr_queue_ptr 0
		.amdhsa_user_sgpr_kernarg_segment_ptr 1
		.amdhsa_user_sgpr_dispatch_id 0
		.amdhsa_user_sgpr_flat_scratch_init 0
		.amdhsa_user_sgpr_private_segment_size 0
		.amdhsa_wavefront_size32 1
		.amdhsa_uses_dynamic_stack 0
		.amdhsa_system_sgpr_private_segment_wavefront_offset 0
		.amdhsa_system_sgpr_workgroup_id_x 1
		.amdhsa_system_sgpr_workgroup_id_y 1
		.amdhsa_system_sgpr_workgroup_id_z 0
		.amdhsa_system_sgpr_workgroup_info 0
		.amdhsa_system_vgpr_workitem_id 0
		.amdhsa_next_free_vgpr 19
		.amdhsa_next_free_sgpr 30
		.amdhsa_reserve_vcc 1
		.amdhsa_reserve_flat_scratch 0
		.amdhsa_float_round_mode_32 0
		.amdhsa_float_round_mode_16_64 0
		.amdhsa_float_denorm_mode_32 3
		.amdhsa_float_denorm_mode_16_64 3
		.amdhsa_dx10_clamp 1
		.amdhsa_ieee_mode 1
		.amdhsa_fp16_overflow 0
		.amdhsa_workgroup_processor_mode 1
		.amdhsa_memory_ordered 1
		.amdhsa_forward_progress 1
		.amdhsa_shared_vgpr_count 0
		.amdhsa_exception_fp_ieee_invalid_op 0
		.amdhsa_exception_fp_denorm_src 0
		.amdhsa_exception_fp_ieee_div_zero 0
		.amdhsa_exception_fp_ieee_overflow 0
		.amdhsa_exception_fp_ieee_underflow 0
		.amdhsa_exception_fp_ieee_inexact 0
		.amdhsa_exception_int_div_zero 0
	.end_amdhsa_kernel
	.section	.text._ZN4vllm32paged_attention_v2_reduce_kernelItLi256ELi128ELi512EEEvPT_PKfS4_PKS1_PKii,"axG",@progbits,_ZN4vllm32paged_attention_v2_reduce_kernelItLi256ELi128ELi512EEEvPT_PKfS4_PKS1_PKii,comdat
.Lfunc_end80:
	.size	_ZN4vllm32paged_attention_v2_reduce_kernelItLi256ELi128ELi512EEEvPT_PKfS4_PKS1_PKii, .Lfunc_end80-_ZN4vllm32paged_attention_v2_reduce_kernelItLi256ELi128ELi512EEEvPT_PKfS4_PKS1_PKii
                                        ; -- End function
	.set _ZN4vllm32paged_attention_v2_reduce_kernelItLi256ELi128ELi512EEEvPT_PKfS4_PKS1_PKii.num_vgpr, 19
	.set _ZN4vllm32paged_attention_v2_reduce_kernelItLi256ELi128ELi512EEEvPT_PKfS4_PKS1_PKii.num_agpr, 0
	.set _ZN4vllm32paged_attention_v2_reduce_kernelItLi256ELi128ELi512EEEvPT_PKfS4_PKS1_PKii.numbered_sgpr, 30
	.set _ZN4vllm32paged_attention_v2_reduce_kernelItLi256ELi128ELi512EEEvPT_PKfS4_PKS1_PKii.num_named_barrier, 0
	.set _ZN4vllm32paged_attention_v2_reduce_kernelItLi256ELi128ELi512EEEvPT_PKfS4_PKS1_PKii.private_seg_size, 0
	.set _ZN4vllm32paged_attention_v2_reduce_kernelItLi256ELi128ELi512EEEvPT_PKfS4_PKS1_PKii.uses_vcc, 1
	.set _ZN4vllm32paged_attention_v2_reduce_kernelItLi256ELi128ELi512EEEvPT_PKfS4_PKS1_PKii.uses_flat_scratch, 0
	.set _ZN4vllm32paged_attention_v2_reduce_kernelItLi256ELi128ELi512EEEvPT_PKfS4_PKS1_PKii.has_dyn_sized_stack, 0
	.set _ZN4vllm32paged_attention_v2_reduce_kernelItLi256ELi128ELi512EEEvPT_PKfS4_PKS1_PKii.has_recursion, 0
	.set _ZN4vllm32paged_attention_v2_reduce_kernelItLi256ELi128ELi512EEEvPT_PKfS4_PKS1_PKii.has_indirect_call, 0
	.section	.AMDGPU.csdata,"",@progbits
; Kernel info:
; codeLenInByte = 2656
; TotalNumSgprs: 32
; NumVgprs: 19
; ScratchSize: 0
; MemoryBound: 0
; FloatMode: 240
; IeeeMode: 1
; LDSByteSize: 32 bytes/workgroup (compile time only)
; SGPRBlocks: 0
; VGPRBlocks: 2
; NumSGPRsForWavesPerEU: 32
; NumVGPRsForWavesPerEU: 19
; Occupancy: 16
; WaveLimiterHint : 0
; COMPUTE_PGM_RSRC2:SCRATCH_EN: 0
; COMPUTE_PGM_RSRC2:USER_SGPR: 6
; COMPUTE_PGM_RSRC2:TRAP_HANDLER: 0
; COMPUTE_PGM_RSRC2:TGID_X_EN: 1
; COMPUTE_PGM_RSRC2:TGID_Y_EN: 1
; COMPUTE_PGM_RSRC2:TGID_Z_EN: 0
; COMPUTE_PGM_RSRC2:TIDIG_COMP_CNT: 0
	.section	.text._ZN4vllm25paged_attention_v2_kernelIttLi32ELi8ELi128ELNS_18Fp8KVCacheDataTypeE0ELb0ELi512EEEvPfS2_PT_PKS3_PKT0_S9_ifPKiSB_iPKfiiiSD_SD_iiiii,"axG",@progbits,_ZN4vllm25paged_attention_v2_kernelIttLi32ELi8ELi128ELNS_18Fp8KVCacheDataTypeE0ELb0ELi512EEEvPfS2_PT_PKS3_PKT0_S9_ifPKiSB_iPKfiiiSD_SD_iiiii,comdat
	.protected	_ZN4vllm25paged_attention_v2_kernelIttLi32ELi8ELi128ELNS_18Fp8KVCacheDataTypeE0ELb0ELi512EEEvPfS2_PT_PKS3_PKT0_S9_ifPKiSB_iPKfiiiSD_SD_iiiii ; -- Begin function _ZN4vllm25paged_attention_v2_kernelIttLi32ELi8ELi128ELNS_18Fp8KVCacheDataTypeE0ELb0ELi512EEEvPfS2_PT_PKS3_PKT0_S9_ifPKiSB_iPKfiiiSD_SD_iiiii
	.globl	_ZN4vllm25paged_attention_v2_kernelIttLi32ELi8ELi128ELNS_18Fp8KVCacheDataTypeE0ELb0ELi512EEEvPfS2_PT_PKS3_PKT0_S9_ifPKiSB_iPKfiiiSD_SD_iiiii
	.p2align	8
	.type	_ZN4vllm25paged_attention_v2_kernelIttLi32ELi8ELi128ELNS_18Fp8KVCacheDataTypeE0ELb0ELi512EEEvPfS2_PT_PKS3_PKT0_S9_ifPKiSB_iPKfiiiSD_SD_iiiii,@function
_ZN4vllm25paged_attention_v2_kernelIttLi32ELi8ELi128ELNS_18Fp8KVCacheDataTypeE0ELb0ELi512EEEvPfS2_PT_PKS3_PKT0_S9_ifPKiSB_iPKfiiiSD_SD_iiiii: ; @_ZN4vllm25paged_attention_v2_kernelIttLi32ELi8ELi128ELNS_18Fp8KVCacheDataTypeE0ELb0ELi512EEEvPfS2_PT_PKS3_PKT0_S9_ifPKiSB_iPKfiiiSD_SD_iiiii
; %bb.0:
	s_load_dwordx2 s[0:1], s[4:5], 0x40
	s_mov_b32 s22, s7
	s_ashr_i32 s23, s7, 31
	s_lshl_b64 s[2:3], s[22:23], 2
	s_waitcnt lgkmcnt(0)
	s_add_u32 s0, s0, s2
	s_addc_u32 s1, s1, s3
	s_lshl_b32 s33, s8, 9
	s_load_dword s23, s[0:1], 0x0
	s_waitcnt lgkmcnt(0)
	s_cmp_ge_i32 s33, s23
	s_cbranch_scc1 .LBB81_46
; %bb.1:
	s_clause 0x1
	s_load_dword s9, s[4:5], 0x90
	s_load_dwordx2 s[30:31], s[4:5], 0x30
	s_mov_b32 s34, 0
	s_waitcnt lgkmcnt(0)
	s_abs_i32 s3, s9
	s_abs_i32 s0, s30
	v_cvt_f32_u32_e32 v1, s0
	s_sub_i32 s2, 0, s0
	v_rcp_iflag_f32_e32 v1, v1
	v_mul_f32_e32 v1, 0x4f7ffffe, v1
	v_cvt_u32_f32_e32 v1, v1
	v_readfirstlane_b32 s1, v1
	s_mul_i32 s2, s2, s1
	s_mul_hi_u32 s2, s1, s2
	s_add_i32 s1, s1, s2
	s_xor_b32 s2, s9, s30
	s_mul_hi_u32 s1, s3, s1
	s_ashr_i32 s2, s2, 31
	s_mul_i32 s7, s1, s0
	s_sub_i32 s3, s3, s7
	s_add_i32 s7, s1, 1
	s_sub_i32 s10, s3, s0
	s_cmp_ge_u32 s3, s0
	s_cselect_b32 s1, s7, s1
	s_cselect_b32 s3, s10, s3
	s_add_i32 s7, s1, 1
	s_cmp_ge_u32 s3, s0
	s_cselect_b32 s0, s7, s1
	s_abs_i32 s16, s6
	s_xor_b32 s0, s0, s2
	s_sub_i32 s10, s0, s2
	s_load_dwordx2 s[0:1], s[4:5], 0x50
	s_abs_i32 s2, s10
	v_cvt_f32_u32_e32 v1, s2
	s_sub_i32 s7, 0, s2
	v_rcp_iflag_f32_e32 v1, v1
	v_mul_f32_e32 v1, 0x4f7ffffe, v1
	v_cvt_u32_f32_e32 v1, v1
	v_readfirstlane_b32 s3, v1
	s_mul_i32 s7, s7, s3
	s_mul_hi_u32 s7, s3, s7
	s_add_i32 s3, s3, s7
	s_waitcnt lgkmcnt(0)
	s_cmp_eq_u64 s[0:1], 0
	s_mul_hi_u32 s3, s16, s3
	s_cbranch_scc1 .LBB81_3
; %bb.2:
	s_ashr_i32 s7, s6, 31
	s_lshl_b64 s[12:13], s[6:7], 2
	s_add_u32 s0, s0, s12
	s_addc_u32 s1, s1, s13
	s_load_dword s34, s[0:1], 0x0
.LBB81_3:
	s_load_dwordx4 s[12:15], s[4:5], 0x58
	v_and_b32_e32 v1, 3, v0
	v_lshlrev_b32_e32 v2, 2, v0
	s_ashr_i32 s0, s6, 31
	s_ashr_i32 s1, s10, 31
	s_lshl_b32 s10, s6, 5
	s_mov_b32 s7, exec_lo
	v_cmpx_gt_u32_e32 16, v0
	s_cbranch_execz .LBB81_5
; %bb.4:
	s_load_dwordx2 s[18:19], s[4:5], 0x18
	s_waitcnt lgkmcnt(0)
	s_mul_i32 s20, s12, s22
	v_and_b32_e32 v4, 0x3fc, v0
	s_ashr_i32 s21, s20, 31
	s_lshl_b64 s[20:21], s[20:21], 1
	v_lshl_add_u32 v4, v1, 4, v4
	s_add_u32 s12, s18, s20
	s_addc_u32 s15, s19, s21
	s_ashr_i32 s11, s10, 31
	s_lshl_b64 s[18:19], s[10:11], 1
	s_add_u32 s18, s12, s18
	s_addc_u32 s19, s15, s19
	global_load_dword v3, v2, s[18:19]
	s_waitcnt vmcnt(0)
	ds_write_b32 v4, v3
.LBB81_5:
	s_or_b32 exec_lo, exec_lo, s7
	s_add_i32 s7, s23, 7
	s_load_dwordx2 s[24:25], s[4:5], 0x38
	s_waitcnt lgkmcnt(0)
	s_load_dword s15, s[4:5], 0x48
	s_ashr_i32 s11, s7, 31
	s_lshl_b32 s30, s8, 6
	s_lshr_b32 s11, s11, 29
	s_xor_b32 s0, s0, s1
	s_add_i32 s7, s7, s11
	s_add_i32 s1, s30, 64
	s_ashr_i32 s12, s7, 3
	s_mul_i32 s7, s3, s2
	s_min_i32 s11, s1, s12
	s_sub_i32 s1, s16, s7
	s_add_i32 s7, s3, 1
	s_sub_i32 s16, s1, s2
	s_cmp_ge_u32 s1, s2
	v_lshrrev_b32_e32 v8, 5, v0
	s_cselect_b32 s3, s7, s3
	s_cselect_b32 s1, s16, s1
	s_add_i32 s7, s3, 1
	s_cmp_ge_u32 s1, s2
	v_or_b32_e32 v5, s30, v8
	s_cselect_b32 s1, s7, s3
	v_mbcnt_lo_u32_b32 v4, -1, 0
	s_xor_b32 s1, s1, s0
	s_waitcnt lgkmcnt(0)
	s_mul_i32 s26, s15, s22
	s_sub_i32 s1, s1, s0
	v_cmp_gt_i32_e64 s0, s11, v5
	s_ashr_i32 s27, s26, 31
	s_mov_b32 s2, exec_lo
	s_barrier
	buffer_gl0_inv
                                        ; implicit-def: $vgpr7
                                        ; implicit-def: $vgpr10
	v_cmpx_le_i32_e64 s11, v5
	s_xor_b32 s2, exec_lo, s2
; %bb.6:
	v_mov_b32_e32 v7, 0
	v_mbcnt_lo_u32_b32 v4, -1, 0
	v_mov_b32_e32 v10, 32
                                        ; implicit-def: $vgpr2
                                        ; implicit-def: $vgpr1
; %bb.7:
	s_or_saveexec_b32 s35, s2
	s_clause 0x3
	s_load_dwordx4 s[16:19], s[4:5], 0x0
	s_load_dwordx2 s[20:21], s[4:5], 0x10
	s_load_dwordx2 s[28:29], s[4:5], 0x28
	s_load_dword s7, s[4:5], 0x98
	v_mov_b32_e32 v9, 0xff7fffff
	v_ashrrev_i32_e32 v6, 31, v5
	v_lshlrev_b32_e32 v3, 3, v8
	s_mul_i32 s14, s1, s14
	s_xor_b32 exec_lo, exec_lo, s35
	s_cbranch_execz .LBB81_13
; %bb.8:
	s_load_dwordx2 s[2:3], s[4:5], 0x20
	v_bfe_u32 v9, v0, 2, 3
	s_ashr_i32 s15, s14, 31
	v_and_b32_e32 v14, 12, v2
	s_lshl_b64 s[4:5], s[14:15], 1
	v_lshlrev_b32_e32 v11, 4, v1
	v_lshlrev_b32_e32 v10, 2, v9
	;; [unrolled: 1-line block ×3, first 2 shown]
	v_add3_u32 v12, s33, v3, v9
	v_cmp_eq_u32_e32 vcc_lo, 0, v1
	v_lshlrev_b64 v[1:2], 2, v[5:6]
	v_lshl_or_b32 v10, v8, 5, v10
	v_mov_b32_e32 v7, 0
	v_cmp_neq_f32_e64 s1, s34, 0
	v_xor_b32_e32 v16, 2, v4
	v_xor_b32_e32 v17, 1, v4
	v_add_nc_u32_e32 v13, 0x60, v10
	v_mov_b32_e32 v18, v5
	s_waitcnt lgkmcnt(0)
	s_add_u32 s15, s2, s4
	s_addc_u32 s5, s3, s5
	v_add_co_u32 v9, s15, s15, v15
	v_add_co_ci_u32_e64 v10, null, s5, 0, s15
	s_lshl_b64 s[2:3], s[26:27], 2
	s_sub_i32 s4, 1, s23
	s_add_u32 s5, s24, s2
	v_add_co_u32 v14, s2, v9, v14
	s_addc_u32 s3, s25, s3
	v_add_co_ci_u32_e64 v15, null, 0, v10, s2
	v_add_co_u32 v1, s2, s5, v1
	v_add_co_ci_u32_e64 v2, null, s3, v2, s2
	v_mov_b32_e32 v9, 0xff7fffff
	v_mov_b32_e32 v10, 32
	s_mov_b32 s15, s13
	s_mov_b32 s5, 0
	s_branch .LBB81_10
.LBB81_9:                               ;   in Loop: Header=BB81_10 Depth=1
	s_or_b32 exec_lo, exec_lo, s3
	v_add_nc_u32_e32 v18, 4, v18
	v_add_co_u32 v1, s3, v1, 16
	v_add_nc_u32_e32 v12, 32, v12
	v_add_nc_u32_e32 v13, 0x80, v13
	v_cmp_le_i32_e64 s2, s11, v18
	v_add_co_ci_u32_e64 v2, null, 0, v2, s3
	s_or_b32 s5, s2, s5
	s_andn2_b32 exec_lo, exec_lo, s5
	s_cbranch_execz .LBB81_12
.LBB81_10:                              ; =>This Inner Loop Header: Depth=1
	global_load_dword v19, v[1:2], off
	s_waitcnt vmcnt(0) lgkmcnt(0)
	v_mad_i64_i32 v[19:20], null, v19, s15, 0
	v_lshlrev_b64 v[19:20], 1, v[19:20]
	v_add_co_u32 v19, s2, v14, v19
	v_add_co_ci_u32_e64 v20, null, v15, v20, s2
	v_cmp_gt_i32_e64 s2, 32, v16
	s_clause 0x3
	global_load_dword v21, v[19:20], off
	global_load_dword v22, v[19:20], off offset:128
	global_load_dword v23, v[19:20], off offset:256
	;; [unrolled: 1-line block ×3, first 2 shown]
	ds_read_b32 v20, v11
	s_waitcnt lgkmcnt(0)
	v_and_b32_e32 v24, 0xffff, v20
	v_lshrrev_b32_e32 v25, 16, v20
	;;#ASMSTART
	v_cvt_f32_f16 v20, v24;
	;;#ASMEND
	s_waitcnt vmcnt(3)
	v_and_b32_e32 v26, 0xffff, v21
	v_lshrrev_b32_e32 v27, 16, v21
	;;#ASMSTART
	v_cvt_f32_f16 v21, v25;
	;;#ASMEND
	;;#ASMSTART
	v_cvt_f32_f16 v24, v26;
	;;#ASMEND
	;; [unrolled: 3-line block ×3, first 2 shown]
	ds_read_b32 v26, v11 offset:4
	s_waitcnt vmcnt(2)
	v_and_b32_e32 v28, 0xffff, v22
	v_lshrrev_b32_e32 v29, 16, v22
	s_waitcnt vmcnt(1)
	v_and_b32_e32 v31, 0xffff, v23
	v_lshrrev_b32_e32 v32, 16, v23
	s_waitcnt lgkmcnt(0)
	v_and_b32_e32 v27, 0xffff, v26
	v_lshrrev_b32_e32 v26, 16, v26
	;;#ASMSTART
	v_cvt_f32_f16 v22, v27;
	;;#ASMEND
	;;#ASMSTART
	v_cvt_f32_f16 v26, v26;
	;;#ASMEND
	;; [unrolled: 3-line block ×4, first 2 shown]
	ds_read_b32 v29, v11 offset:8
	v_mul_f32_e32 v22, v22, v27
	v_mul_f32_e32 v26, v26, v28
	v_cndmask_b32_e64 v27, v4, v16, s2
	s_waitcnt vmcnt(0)
	v_lshrrev_b32_e32 v28, 16, v19
	v_cmp_gt_i32_e64 s2, 32, v17
	v_fmac_f32_e32 v22, v20, v24
	v_fmac_f32_e32 v26, v21, v25
	v_and_b32_e32 v24, 0xffff, v19
	s_waitcnt lgkmcnt(0)
	v_and_b32_e32 v30, 0xffff, v29
	v_lshrrev_b32_e32 v29, 16, v29
	;;#ASMSTART
	v_cvt_f32_f16 v23, v30;
	;;#ASMEND
	;;#ASMSTART
	v_cvt_f32_f16 v29, v29;
	;;#ASMEND
	;; [unrolled: 3-line block ×4, first 2 shown]
	ds_read_b32 v32, v11 offset:12
	v_fmac_f32_e32 v22, v23, v30
	v_fmac_f32_e32 v26, v29, v31
	s_waitcnt lgkmcnt(0)
	v_and_b32_e32 v20, 0xffff, v32
	v_lshrrev_b32_e32 v21, 16, v32
	;;#ASMSTART
	v_cvt_f32_f16 v19, v20;
	;;#ASMEND
	;;#ASMSTART
	v_cvt_f32_f16 v20, v21;
	;;#ASMEND
	;; [unrolled: 3-line block ×4, first 2 shown]
	v_fmac_f32_e32 v22, v19, v21
	v_fmac_f32_e32 v26, v20, v23
	v_lshlrev_b32_e32 v19, 2, v27
	v_cndmask_b32_e64 v21, v4, v17, s2
	v_add_f32_e32 v20, v22, v26
	ds_bpermute_b32 v19, v19, v20
	s_waitcnt lgkmcnt(0)
	v_add_f32_e32 v19, v20, v19
	v_lshlrev_b32_e32 v20, 2, v21
	ds_bpermute_b32 v20, v20, v19
	s_and_saveexec_b32 s3, vcc_lo
	s_cbranch_execz .LBB81_9
; %bb.11:                               ;   in Loop: Header=BB81_10 Depth=1
	v_add_nc_u32_e32 v21, s4, v12
	s_waitcnt lgkmcnt(0)
	v_add_f32_e32 v19, v19, v20
	v_cmp_gt_i32_e64 s2, s23, v12
	v_cvt_f32_i32_e32 v21, v21
	v_mul_f32_e32 v21, s34, v21
	v_cndmask_b32_e64 v20, 0, v21, s1
	v_max_f32_e32 v21, v9, v9
	v_fmac_f32_e32 v20, s31, v19
	v_max_f32_e32 v19, v21, v20
	v_cndmask_b32_e64 v20, 0, v20, s2
	v_cndmask_b32_e64 v9, v9, v19, s2
	ds_write_b32 v13, v20
	s_branch .LBB81_9
.LBB81_12:
	s_or_b32 exec_lo, exec_lo, s5
.LBB81_13:
	s_or_b32 exec_lo, exec_lo, s35
	v_xor_b32_e32 v1, 16, v4
	v_xor_b32_e32 v11, 8, v4
	;; [unrolled: 1-line block ×3, first 2 shown]
	v_cmp_lt_i32_e32 vcc_lo, v1, v10
	v_cndmask_b32_e32 v1, v4, v1, vcc_lo
	v_cmp_lt_i32_e32 vcc_lo, v11, v10
	v_lshlrev_b32_e32 v2, 2, v1
	v_cndmask_b32_e32 v11, v4, v11, vcc_lo
	v_cmp_lt_i32_e32 vcc_lo, v12, v10
	ds_bpermute_b32 v1, v2, v9
	v_max_f32_e32 v9, v9, v9
	v_lshlrev_b32_e32 v11, 2, v11
	v_cndmask_b32_e32 v12, v4, v12, vcc_lo
	v_lshlrev_b32_e32 v14, 2, v12
	v_lshlrev_b32_e32 v12, 2, v8
	s_waitcnt lgkmcnt(0)
	v_max_f32_e32 v1, v1, v1
	v_max_f32_e32 v1, v9, v1
	ds_bpermute_b32 v9, v11, v1
	s_waitcnt lgkmcnt(0)
	v_max_f32_e32 v9, v9, v9
	v_max_f32_e32 v1, v1, v9
	v_and_b32_e32 v9, 31, v0
	ds_bpermute_b32 v13, v14, v1
	v_cmp_eq_u32_e32 vcc_lo, 0, v9
	s_and_saveexec_b32 s1, vcc_lo
	s_cbranch_execz .LBB81_15
; %bb.14:
	s_waitcnt lgkmcnt(0)
	v_max_f32_e32 v13, v13, v13
	v_max_f32_e32 v1, v1, v1
	;; [unrolled: 1-line block ×3, first 2 shown]
	ds_write_b32 v12, v1 offset:64
.LBB81_15:
	s_or_b32 exec_lo, exec_lo, s1
	v_cmp_gt_u32_e64 s1, 4, v9
	v_mov_b32_e32 v1, 0xff7fffff
	s_waitcnt lgkmcnt(0)
	v_lshlrev_b32_e32 v13, 2, v9
	s_barrier
	buffer_gl0_inv
	s_and_saveexec_b32 s2, s1
; %bb.16:
	ds_read_b32 v1, v13 offset:64
; %bb.17:
	s_or_b32 exec_lo, exec_lo, s2
	v_xor_b32_e32 v15, 2, v4
	v_xor_b32_e32 v17, 1, v4
	v_lshlrev_b32_e32 v7, 2, v7
	v_cmp_lt_i32_e64 s2, v15, v10
	v_cndmask_b32_e64 v15, v4, v15, s2
	v_cmp_lt_i32_e64 s2, v17, v10
	v_lshlrev_b32_e32 v15, 2, v15
	v_cndmask_b32_e64 v10, v4, v17, s2
	s_sub_i32 s2, s11, s30
	s_lshl_b32 s2, s2, 3
	s_waitcnt lgkmcnt(0)
	ds_bpermute_b32 v16, v15, v1
	v_max_f32_e32 v1, v1, v1
	v_lshlrev_b32_e32 v10, 2, v10
	s_add_i32 s2, s2, s33
	s_min_i32 s2, s2, s23
	s_sub_i32 s4, s2, s33
	v_cmp_gt_i32_e64 s2, s4, v0
	s_waitcnt lgkmcnt(0)
	v_max_f32_e32 v16, v16, v16
	v_max_f32_e32 v1, v1, v16
	ds_bpermute_b32 v16, v10, v1
	s_waitcnt lgkmcnt(0)
	v_max_f32_e32 v16, v16, v16
	v_max_f32_e32 v1, v1, v16
	v_mov_b32_e32 v16, 0
	ds_bpermute_b32 v1, v7, v1
	v_lshl_add_u32 v7, v0, 2, 0x60
	s_and_saveexec_b32 s5, s2
	s_cbranch_execz .LBB81_21
; %bb.18:
	v_lshl_add_u32 v17, v0, 2, 0x60
	v_mov_b32_e32 v16, 0
	v_mov_b32_e32 v18, v0
	s_mov_b32 s15, 0
	.p2align	6
.LBB81_19:                              ; =>This Inner Loop Header: Depth=1
	ds_read_b32 v19, v17
	v_add_nc_u32_e32 v18, 0x80, v18
	v_cmp_le_i32_e64 s3, s4, v18
	s_or_b32 s15, s3, s15
	s_waitcnt lgkmcnt(0)
	v_sub_f32_e32 v19, v19, v1
	v_mul_f32_e32 v19, 0x3fb8aa3b, v19
	v_exp_f32_e32 v19, v19
	ds_write_b32 v17, v19
	v_add_f32_e32 v16, v16, v19
	v_add_nc_u32_e32 v17, 0x200, v17
	s_andn2_b32 exec_lo, exec_lo, s15
	s_cbranch_execnz .LBB81_19
; %bb.20:
	s_or_b32 exec_lo, exec_lo, s15
.LBB81_21:
	s_or_b32 exec_lo, exec_lo, s5
	ds_bpermute_b32 v2, v2, v16
	s_waitcnt lgkmcnt(0)
	v_add_f32_e32 v2, v16, v2
	ds_bpermute_b32 v11, v11, v2
	s_waitcnt lgkmcnt(0)
	v_add_f32_e32 v2, v2, v11
	;; [unrolled: 3-line block ×5, first 2 shown]
	s_and_saveexec_b32 s3, vcc_lo
; %bb.22:
	ds_write_b32 v12, v2 offset:80
; %bb.23:
	s_or_b32 exec_lo, exec_lo, s3
	s_waitcnt lgkmcnt(0)
	s_barrier
	buffer_gl0_inv
	s_and_saveexec_b32 s3, s1
; %bb.24:
	ds_read_b32 v2, v13 offset:80
; %bb.25:
	s_or_b32 exec_lo, exec_lo, s3
	s_waitcnt lgkmcnt(0)
	ds_bpermute_b32 v11, v15, v2
	v_lshlrev_b32_e32 v4, 2, v4
	v_and_b32_e32 v4, 0xffffff80, v4
	s_waitcnt lgkmcnt(0)
	v_add_f32_e32 v2, v2, v11
	ds_bpermute_b32 v10, v10, v2
	s_waitcnt lgkmcnt(0)
	v_add_f32_e32 v2, v2, v10
	ds_bpermute_b32 v2, v4, v2
	s_and_saveexec_b32 s1, s2
	s_cbranch_execz .LBB81_28
; %bb.26:
	s_waitcnt lgkmcnt(0)
	v_add_f32_e32 v4, 0x358637bd, v2
	s_mov_b32 s2, 0
	v_div_scale_f32 v10, null, v4, v4, 1.0
	v_div_scale_f32 v13, vcc_lo, 1.0, v4, 1.0
	v_rcp_f32_e32 v11, v10
	v_fma_f32 v12, -v10, v11, 1.0
	v_fmac_f32_e32 v11, v12, v11
	v_mul_f32_e32 v12, v13, v11
	v_fma_f32 v14, -v10, v12, v13
	v_fmac_f32_e32 v12, v14, v11
	v_fma_f32 v10, -v10, v12, v13
	v_div_fmas_f32 v10, v10, v11, v12
	v_div_fixup_f32 v4, v10, v4, 1.0
	v_mov_b32_e32 v10, v0
.LBB81_27:                              ; =>This Inner Loop Header: Depth=1
	ds_read_b32 v11, v7
	v_add_nc_u32_e32 v10, 0x80, v10
	v_cmp_le_i32_e32 vcc_lo, s4, v10
	s_or_b32 s2, vcc_lo, s2
	s_waitcnt lgkmcnt(0)
	v_mul_f32_e32 v11, v4, v11
	ds_write_b32 v7, v11
	v_add_nc_u32_e32 v7, 0x200, v7
	s_andn2_b32 exec_lo, exec_lo, s2
	s_cbranch_execnz .LBB81_27
.LBB81_28:
	s_or_b32 exec_lo, exec_lo, s1
	s_mul_i32 s1, s7, s22
	s_waitcnt lgkmcnt(0)
	s_mul_i32 s2, s1, s9
	s_mov_b32 s1, exec_lo
	s_barrier
	buffer_gl0_inv
	v_cmpx_eq_u32_e32 0, v0
	s_cbranch_execz .LBB81_30
; %bb.29:
	s_ashr_i32 s3, s2, 31
	s_mul_i32 s30, s7, s6
	s_lshl_b64 s[4:5], s[2:3], 2
	v_mov_b32_e32 v4, 0
	s_add_u32 s3, s18, s4
	s_addc_u32 s6, s19, s5
	s_ashr_i32 s31, s30, 31
	s_lshl_b64 s[18:19], s[30:31], 2
	s_add_u32 s3, s3, s18
	s_addc_u32 s6, s6, s19
	s_ashr_i32 s9, s8, 31
	s_lshl_b64 s[30:31], s[8:9], 2
	s_add_u32 s34, s3, s30
	s_addc_u32 s35, s6, s31
	s_add_u32 s3, s16, s4
	s_addc_u32 s4, s17, s5
	;; [unrolled: 2-line block ×4, first 2 shown]
	global_store_dword v4, v1, s[34:35]
	global_store_dword v4, v2, s[4:5]
.LBB81_30:
	s_or_b32 exec_lo, exec_lo, s1
	v_mov_b32_e32 v10, 0
	s_and_saveexec_b32 s1, s0
	s_cbranch_execz .LBB81_36
; %bb.31:
	s_ashr_i32 s15, s14, 31
	v_lshlrev_b32_e32 v1, 4, v9
	s_lshl_b64 s[4:5], s[14:15], 1
	v_mov_b32_e32 v11, 0
	s_add_u32 s0, s28, s4
	s_addc_u32 s3, s29, s5
	v_add_co_u32 v12, s0, s0, v1
	v_lshlrev_b64 v[1:2], 2, v[5:6]
	s_lshl_b64 s[4:5], s[26:27], 2
	s_add_i32 s12, s12, -1
	v_add_co_ci_u32_e64 v13, null, s3, 0, s0
	s_add_u32 s0, s24, s4
	s_addc_u32 s3, s25, s5
	v_add_co_u32 v6, vcc_lo, s0, v1
	v_add3_u32 v14, s33, v3, 7
	v_lshl_add_u32 v15, v8, 5, 0x60
	v_add_co_ci_u32_e64 v7, null, s3, v2, vcc_lo
	v_mov_b32_e32 v10, 0
	s_mov_b32 s4, s13
	s_mov_b32 s3, 0
	s_branch .LBB81_33
.LBB81_32:                              ;   in Loop: Header=BB81_33 Depth=1
	s_or_b32 exec_lo, exec_lo, s5
	v_and_b32_e32 v21, 0xffff, v21
	v_and_b32_e32 v22, 0xffff, v22
	v_lshlrev_b32_e32 v26, 16, v26
	v_and_b32_e32 v23, 0xffff, v23
	v_and_b32_e32 v20, 0xffff, v20
	v_lshl_or_b32 v18, v18, 16, v21
	v_lshl_or_b32 v19, v19, 16, v22
	v_lshlrev_b32_e32 v21, 16, v25
	v_lshlrev_b32_e32 v22, 16, v24
	v_and_or_b32 v1, 0xffff, v1, v26
	;;#ASMSTART
	v_pk_mul_f16 v1, v18, v1;

	;;#ASMEND
	v_lshl_or_b32 v17, v17, 16, v23
	v_and_or_b32 v2, 0xffff, v2, v21
	v_and_or_b32 v3, 0xffff, v3, v22
	v_lshl_or_b32 v16, v16, 16, v20
	;;#ASMSTART
	v_pk_mul_f16 v2, v19, v2;

	;;#ASMEND
	;;#ASMSTART
	v_pk_mul_f16 v3, v17, v3;

	;;#ASMEND
	;;#ASMSTART
	v_pk_mul_f16 v4, v16, v4;

	;;#ASMEND
	;;#ASMSTART
	v_pk_add_f16 v1, v1, v2;

	;;#ASMEND
	;;#ASMSTART
	v_pk_add_f16 v1, v1, v3;

	;;#ASMEND
	;; [unrolled: 4-line block ×3, first 2 shown]
	v_add_nc_u32_e32 v5, 4, v5
	v_and_b32_e32 v2, 0xffff, v1
	v_lshrrev_b32_e32 v3, 16, v1
	;;#ASMSTART
	v_cvt_f32_f16 v1, v2;
	;;#ASMEND
	;;#ASMSTART
	v_cvt_f32_f16 v2, v3;
	;;#ASMEND
	v_add_f32_e32 v1, v1, v2
	v_cmp_le_i32_e32 vcc_lo, s11, v5
	v_add_co_u32 v6, s0, v6, 16
	v_add_nc_u32_e32 v14, 32, v14
	v_add_f32_e32 v10, v10, v1
	v_add_nc_u32_e32 v15, 0x80, v15
	v_add_co_ci_u32_e64 v7, null, 0, v7, s0
	s_or_b32 s3, vcc_lo, s3
	s_andn2_b32 exec_lo, exec_lo, s3
	s_cbranch_execz .LBB81_35
.LBB81_33:                              ; =>This Inner Loop Header: Depth=1
	global_load_dword v16, v[6:7], off
	ds_read2_b64 v[1:4], v15 offset1:1
	ds_read2_b64 v[23:26], v15 offset0:2 offset1:3
	s_mov_b32 s5, exec_lo
	s_waitcnt lgkmcnt(1)
	;;#ASMSTART
	v_cvt_f16_f32 v21, v1;

	;;#ASMEND
	;;#ASMSTART
	v_cvt_f16_f32 v18, v2;

	;;#ASMEND
	;; [unrolled: 4-line block ×4, first 2 shown]
	s_waitcnt lgkmcnt(0)
	;;#ASMSTART
	v_cvt_f16_f32 v23, v23;

	;;#ASMEND
	s_waitcnt vmcnt(0)
	v_mad_i64_i32 v[16:17], null, v16, s4, 0
	v_lshlrev_b64 v[16:17], 1, v[16:17]
	v_add_co_u32 v1, vcc_lo, v12, v16
	v_add_co_ci_u32_e64 v2, null, v13, v17, vcc_lo
	;;#ASMSTART
	v_cvt_f16_f32 v17, v24;

	;;#ASMEND
	;;#ASMSTART
	v_cvt_f16_f32 v20, v25;

	;;#ASMEND
	;;#ASMSTART
	v_cvt_f16_f32 v16, v26;

	;;#ASMEND
	global_load_dwordx4 v[1:4], v[1:2], off
	s_waitcnt vmcnt(0)
	v_lshrrev_b32_e32 v26, 16, v1
	v_lshrrev_b32_e32 v25, 16, v2
	;; [unrolled: 1-line block ×3, first 2 shown]
	v_cmpx_eq_u32_e64 s12, v5
	s_cbranch_execz .LBB81_32
; %bb.34:                               ;   in Loop: Header=BB81_33 Depth=1
	v_add_nc_u32_e32 v27, -7, v14
	v_add_nc_u32_e32 v28, -6, v14
	;; [unrolled: 1-line block ×4, first 2 shown]
	v_cmp_gt_i32_e32 vcc_lo, s23, v27
	v_add_nc_u32_e32 v27, -1, v14
	v_cmp_gt_i32_e64 s0, s23, v30
	v_cndmask_b32_e32 v1, 0, v1, vcc_lo
	v_cmp_gt_i32_e32 vcc_lo, s23, v28
	v_add_nc_u32_e32 v28, -2, v14
	v_cndmask_b32_e64 v25, 0, v25, s0
	v_cndmask_b32_e32 v26, 0, v26, vcc_lo
	v_cmp_gt_i32_e32 vcc_lo, s23, v29
	v_and_b32_e32 v29, 0xffff0000, v4
	v_cndmask_b32_e32 v2, 0, v2, vcc_lo
	v_cmp_gt_i32_e32 vcc_lo, s23, v27
	v_add_nc_u32_e32 v27, -3, v14
	v_cndmask_b32_sdwa v4, v11, v4, vcc_lo dst_sel:DWORD dst_unused:UNUSED_PAD src0_sel:DWORD src1_sel:WORD_0
	v_cmp_gt_i32_e32 vcc_lo, s23, v14
	v_cndmask_b32_e32 v29, 0, v29, vcc_lo
	v_cmp_gt_i32_e32 vcc_lo, s23, v27
	v_or_b32_e32 v4, v4, v29
	v_cndmask_b32_e32 v3, 0, v3, vcc_lo
	v_cmp_gt_i32_e32 vcc_lo, s23, v28
	v_cndmask_b32_e32 v24, 0, v24, vcc_lo
	s_branch .LBB81_32
.LBB81_35:
	s_or_b32 exec_lo, exec_lo, s3
.LBB81_36:
	s_or_b32 exec_lo, exec_lo, s1
	v_and_b32_e32 v2, 0x3c0, v0
	v_lshl_add_u32 v1, v9, 2, 0x60
	s_mov_b32 s0, exec_lo
	s_waitcnt_vscnt null, 0x0
	s_barrier
	buffer_gl0_inv
	v_cmpx_eq_u32_e32 64, v2
; %bb.37:
	v_lshlrev_b32_e32 v2, 7, v8
	v_add3_u32 v2, v1, v2, 0xffffff00
	ds_write_b32 v2, v10
; %bb.38:
	s_or_b32 exec_lo, exec_lo, s0
	v_and_b32_e32 v3, 0x3e0, v0
	s_mov_b32 s0, exec_lo
	s_waitcnt lgkmcnt(0)
	s_barrier
	buffer_gl0_inv
	v_lshl_add_u32 v2, v3, 2, v1
	v_cmpx_gt_u32_e32 64, v0
	s_cbranch_execz .LBB81_40
; %bb.39:
	ds_read_b32 v4, v2
	s_waitcnt lgkmcnt(0)
	v_add_f32_e32 v10, v10, v4
.LBB81_40:
	s_or_b32 exec_lo, exec_lo, s0
	s_mov_b32 s0, exec_lo
	s_barrier
	buffer_gl0_inv
	v_cmpx_eq_u32_e32 32, v3
; %bb.41:
	ds_write_b32 v1, v10
; %bb.42:
	s_or_b32 exec_lo, exec_lo, s0
	v_cmp_gt_u32_e32 vcc_lo, 32, v0
	s_waitcnt lgkmcnt(0)
	s_barrier
	buffer_gl0_inv
	s_and_saveexec_b32 s0, vcc_lo
	s_cbranch_execz .LBB81_44
; %bb.43:
	ds_read_b32 v0, v2
	s_waitcnt lgkmcnt(0)
	v_add_f32_e32 v10, v10, v0
.LBB81_44:
	s_or_b32 exec_lo, exec_lo, s0
	s_barrier
	buffer_gl0_inv
	s_and_saveexec_b32 s0, vcc_lo
	s_cbranch_execz .LBB81_46
; %bb.45:
	s_lshl_b32 s0, s2, 5
	s_mul_i32 s2, s7, s10
	s_ashr_i32 s1, s0, 31
	v_lshlrev_b32_e32 v0, 1, v9
	s_lshl_b64 s[0:1], s[0:1], 1
	;;#ASMSTART
	v_cvt_f16_f32 v1, v10;

	;;#ASMEND
	s_add_u32 s4, s20, s0
	s_addc_u32 s5, s21, s1
	s_ashr_i32 s3, s2, 31
	s_lshl_b64 s[0:1], s[2:3], 1
	s_add_u32 s2, s4, s0
	s_addc_u32 s3, s5, s1
	s_lshl_b32 s0, s8, 5
	s_ashr_i32 s1, s0, 31
	s_lshl_b64 s[0:1], s[0:1], 1
	s_add_u32 s0, s2, s0
	s_addc_u32 s1, s3, s1
	global_store_short v0, v1, s[0:1]
.LBB81_46:
	s_endpgm
	.section	.rodata,"a",@progbits
	.p2align	6, 0x0
	.amdhsa_kernel _ZN4vllm25paged_attention_v2_kernelIttLi32ELi8ELi128ELNS_18Fp8KVCacheDataTypeE0ELb0ELi512EEEvPfS2_PT_PKS3_PKT0_S9_ifPKiSB_iPKfiiiSD_SD_iiiii
		.amdhsa_group_segment_fixed_size 96
		.amdhsa_private_segment_fixed_size 0
		.amdhsa_kernarg_size 400
		.amdhsa_user_sgpr_count 6
		.amdhsa_user_sgpr_private_segment_buffer 1
		.amdhsa_user_sgpr_dispatch_ptr 0
		.amdhsa_user_sgpr_queue_ptr 0
		.amdhsa_user_sgpr_kernarg_segment_ptr 1
		.amdhsa_user_sgpr_dispatch_id 0
		.amdhsa_user_sgpr_flat_scratch_init 0
		.amdhsa_user_sgpr_private_segment_size 0
		.amdhsa_wavefront_size32 1
		.amdhsa_uses_dynamic_stack 0
		.amdhsa_system_sgpr_private_segment_wavefront_offset 0
		.amdhsa_system_sgpr_workgroup_id_x 1
		.amdhsa_system_sgpr_workgroup_id_y 1
		.amdhsa_system_sgpr_workgroup_id_z 1
		.amdhsa_system_sgpr_workgroup_info 0
		.amdhsa_system_vgpr_workitem_id 0
		.amdhsa_next_free_vgpr 33
		.amdhsa_next_free_sgpr 36
		.amdhsa_reserve_vcc 1
		.amdhsa_reserve_flat_scratch 0
		.amdhsa_float_round_mode_32 0
		.amdhsa_float_round_mode_16_64 0
		.amdhsa_float_denorm_mode_32 3
		.amdhsa_float_denorm_mode_16_64 3
		.amdhsa_dx10_clamp 1
		.amdhsa_ieee_mode 1
		.amdhsa_fp16_overflow 0
		.amdhsa_workgroup_processor_mode 1
		.amdhsa_memory_ordered 1
		.amdhsa_forward_progress 1
		.amdhsa_shared_vgpr_count 0
		.amdhsa_exception_fp_ieee_invalid_op 0
		.amdhsa_exception_fp_denorm_src 0
		.amdhsa_exception_fp_ieee_div_zero 0
		.amdhsa_exception_fp_ieee_overflow 0
		.amdhsa_exception_fp_ieee_underflow 0
		.amdhsa_exception_fp_ieee_inexact 0
		.amdhsa_exception_int_div_zero 0
	.end_amdhsa_kernel
	.section	.text._ZN4vllm25paged_attention_v2_kernelIttLi32ELi8ELi128ELNS_18Fp8KVCacheDataTypeE0ELb0ELi512EEEvPfS2_PT_PKS3_PKT0_S9_ifPKiSB_iPKfiiiSD_SD_iiiii,"axG",@progbits,_ZN4vllm25paged_attention_v2_kernelIttLi32ELi8ELi128ELNS_18Fp8KVCacheDataTypeE0ELb0ELi512EEEvPfS2_PT_PKS3_PKT0_S9_ifPKiSB_iPKfiiiSD_SD_iiiii,comdat
.Lfunc_end81:
	.size	_ZN4vllm25paged_attention_v2_kernelIttLi32ELi8ELi128ELNS_18Fp8KVCacheDataTypeE0ELb0ELi512EEEvPfS2_PT_PKS3_PKT0_S9_ifPKiSB_iPKfiiiSD_SD_iiiii, .Lfunc_end81-_ZN4vllm25paged_attention_v2_kernelIttLi32ELi8ELi128ELNS_18Fp8KVCacheDataTypeE0ELb0ELi512EEEvPfS2_PT_PKS3_PKT0_S9_ifPKiSB_iPKfiiiSD_SD_iiiii
                                        ; -- End function
	.set _ZN4vllm25paged_attention_v2_kernelIttLi32ELi8ELi128ELNS_18Fp8KVCacheDataTypeE0ELb0ELi512EEEvPfS2_PT_PKS3_PKT0_S9_ifPKiSB_iPKfiiiSD_SD_iiiii.num_vgpr, 33
	.set _ZN4vllm25paged_attention_v2_kernelIttLi32ELi8ELi128ELNS_18Fp8KVCacheDataTypeE0ELb0ELi512EEEvPfS2_PT_PKS3_PKT0_S9_ifPKiSB_iPKfiiiSD_SD_iiiii.num_agpr, 0
	.set _ZN4vllm25paged_attention_v2_kernelIttLi32ELi8ELi128ELNS_18Fp8KVCacheDataTypeE0ELb0ELi512EEEvPfS2_PT_PKS3_PKT0_S9_ifPKiSB_iPKfiiiSD_SD_iiiii.numbered_sgpr, 36
	.set _ZN4vllm25paged_attention_v2_kernelIttLi32ELi8ELi128ELNS_18Fp8KVCacheDataTypeE0ELb0ELi512EEEvPfS2_PT_PKS3_PKT0_S9_ifPKiSB_iPKfiiiSD_SD_iiiii.num_named_barrier, 0
	.set _ZN4vllm25paged_attention_v2_kernelIttLi32ELi8ELi128ELNS_18Fp8KVCacheDataTypeE0ELb0ELi512EEEvPfS2_PT_PKS3_PKT0_S9_ifPKiSB_iPKfiiiSD_SD_iiiii.private_seg_size, 0
	.set _ZN4vllm25paged_attention_v2_kernelIttLi32ELi8ELi128ELNS_18Fp8KVCacheDataTypeE0ELb0ELi512EEEvPfS2_PT_PKS3_PKT0_S9_ifPKiSB_iPKfiiiSD_SD_iiiii.uses_vcc, 1
	.set _ZN4vllm25paged_attention_v2_kernelIttLi32ELi8ELi128ELNS_18Fp8KVCacheDataTypeE0ELb0ELi512EEEvPfS2_PT_PKS3_PKT0_S9_ifPKiSB_iPKfiiiSD_SD_iiiii.uses_flat_scratch, 0
	.set _ZN4vllm25paged_attention_v2_kernelIttLi32ELi8ELi128ELNS_18Fp8KVCacheDataTypeE0ELb0ELi512EEEvPfS2_PT_PKS3_PKT0_S9_ifPKiSB_iPKfiiiSD_SD_iiiii.has_dyn_sized_stack, 0
	.set _ZN4vllm25paged_attention_v2_kernelIttLi32ELi8ELi128ELNS_18Fp8KVCacheDataTypeE0ELb0ELi512EEEvPfS2_PT_PKS3_PKT0_S9_ifPKiSB_iPKfiiiSD_SD_iiiii.has_recursion, 0
	.set _ZN4vllm25paged_attention_v2_kernelIttLi32ELi8ELi128ELNS_18Fp8KVCacheDataTypeE0ELb0ELi512EEEvPfS2_PT_PKS3_PKT0_S9_ifPKiSB_iPKfiiiSD_SD_iiiii.has_indirect_call, 0
	.section	.AMDGPU.csdata,"",@progbits
; Kernel info:
; codeLenInByte = 3896
; TotalNumSgprs: 38
; NumVgprs: 33
; ScratchSize: 0
; MemoryBound: 0
; FloatMode: 240
; IeeeMode: 1
; LDSByteSize: 96 bytes/workgroup (compile time only)
; SGPRBlocks: 0
; VGPRBlocks: 4
; NumSGPRsForWavesPerEU: 38
; NumVGPRsForWavesPerEU: 33
; Occupancy: 16
; WaveLimiterHint : 1
; COMPUTE_PGM_RSRC2:SCRATCH_EN: 0
; COMPUTE_PGM_RSRC2:USER_SGPR: 6
; COMPUTE_PGM_RSRC2:TRAP_HANDLER: 0
; COMPUTE_PGM_RSRC2:TGID_X_EN: 1
; COMPUTE_PGM_RSRC2:TGID_Y_EN: 1
; COMPUTE_PGM_RSRC2:TGID_Z_EN: 1
; COMPUTE_PGM_RSRC2:TIDIG_COMP_CNT: 0
	.section	.text._ZN4vllm25paged_attention_v2_kernelIttLi64ELi8ELi128ELNS_18Fp8KVCacheDataTypeE0ELb0ELi512EEEvPfS2_PT_PKS3_PKT0_S9_ifPKiSB_iPKfiiiSD_SD_iiiii,"axG",@progbits,_ZN4vllm25paged_attention_v2_kernelIttLi64ELi8ELi128ELNS_18Fp8KVCacheDataTypeE0ELb0ELi512EEEvPfS2_PT_PKS3_PKT0_S9_ifPKiSB_iPKfiiiSD_SD_iiiii,comdat
	.protected	_ZN4vllm25paged_attention_v2_kernelIttLi64ELi8ELi128ELNS_18Fp8KVCacheDataTypeE0ELb0ELi512EEEvPfS2_PT_PKS3_PKT0_S9_ifPKiSB_iPKfiiiSD_SD_iiiii ; -- Begin function _ZN4vllm25paged_attention_v2_kernelIttLi64ELi8ELi128ELNS_18Fp8KVCacheDataTypeE0ELb0ELi512EEEvPfS2_PT_PKS3_PKT0_S9_ifPKiSB_iPKfiiiSD_SD_iiiii
	.globl	_ZN4vllm25paged_attention_v2_kernelIttLi64ELi8ELi128ELNS_18Fp8KVCacheDataTypeE0ELb0ELi512EEEvPfS2_PT_PKS3_PKT0_S9_ifPKiSB_iPKfiiiSD_SD_iiiii
	.p2align	8
	.type	_ZN4vllm25paged_attention_v2_kernelIttLi64ELi8ELi128ELNS_18Fp8KVCacheDataTypeE0ELb0ELi512EEEvPfS2_PT_PKS3_PKT0_S9_ifPKiSB_iPKfiiiSD_SD_iiiii,@function
_ZN4vllm25paged_attention_v2_kernelIttLi64ELi8ELi128ELNS_18Fp8KVCacheDataTypeE0ELb0ELi512EEEvPfS2_PT_PKS3_PKT0_S9_ifPKiSB_iPKfiiiSD_SD_iiiii: ; @_ZN4vllm25paged_attention_v2_kernelIttLi64ELi8ELi128ELNS_18Fp8KVCacheDataTypeE0ELb0ELi512EEEvPfS2_PT_PKS3_PKT0_S9_ifPKiSB_iPKfiiiSD_SD_iiiii
; %bb.0:
	s_load_dwordx2 s[0:1], s[4:5], 0x40
	s_mov_b32 s22, s7
	s_ashr_i32 s23, s7, 31
	s_lshl_b64 s[2:3], s[22:23], 2
	s_waitcnt lgkmcnt(0)
	s_add_u32 s0, s0, s2
	s_addc_u32 s1, s1, s3
	s_lshl_b32 s33, s8, 9
	s_load_dword s23, s[0:1], 0x0
	s_waitcnt lgkmcnt(0)
	s_cmp_ge_i32 s33, s23
	s_cbranch_scc1 .LBB82_48
; %bb.1:
	s_clause 0x1
	s_load_dword s9, s[4:5], 0x90
	s_load_dwordx2 s[30:31], s[4:5], 0x30
	s_mov_b32 s34, 0
	s_waitcnt lgkmcnt(0)
	s_abs_i32 s3, s9
	s_abs_i32 s0, s30
	v_cvt_f32_u32_e32 v1, s0
	s_sub_i32 s2, 0, s0
	v_rcp_iflag_f32_e32 v1, v1
	v_mul_f32_e32 v1, 0x4f7ffffe, v1
	v_cvt_u32_f32_e32 v1, v1
	v_readfirstlane_b32 s1, v1
	s_mul_i32 s2, s2, s1
	s_mul_hi_u32 s2, s1, s2
	s_add_i32 s1, s1, s2
	s_xor_b32 s2, s9, s30
	s_mul_hi_u32 s1, s3, s1
	s_ashr_i32 s2, s2, 31
	s_mul_i32 s7, s1, s0
	s_sub_i32 s3, s3, s7
	s_add_i32 s7, s1, 1
	s_sub_i32 s10, s3, s0
	s_cmp_ge_u32 s3, s0
	s_cselect_b32 s1, s7, s1
	s_cselect_b32 s3, s10, s3
	s_add_i32 s7, s1, 1
	s_cmp_ge_u32 s3, s0
	s_cselect_b32 s0, s7, s1
	s_abs_i32 s16, s6
	s_xor_b32 s0, s0, s2
	s_sub_i32 s10, s0, s2
	s_load_dwordx2 s[0:1], s[4:5], 0x50
	s_abs_i32 s2, s10
	v_cvt_f32_u32_e32 v1, s2
	s_sub_i32 s7, 0, s2
	v_rcp_iflag_f32_e32 v1, v1
	v_mul_f32_e32 v1, 0x4f7ffffe, v1
	v_cvt_u32_f32_e32 v1, v1
	v_readfirstlane_b32 s3, v1
	s_mul_i32 s7, s7, s3
	s_mul_hi_u32 s7, s3, s7
	s_add_i32 s3, s3, s7
	s_waitcnt lgkmcnt(0)
	s_cmp_eq_u64 s[0:1], 0
	s_mul_hi_u32 s3, s16, s3
	s_cbranch_scc1 .LBB82_3
; %bb.2:
	s_ashr_i32 s7, s6, 31
	s_lshl_b64 s[12:13], s[6:7], 2
	s_add_u32 s0, s0, s12
	s_addc_u32 s1, s1, s13
	s_load_dword s34, s[0:1], 0x0
.LBB82_3:
	s_load_dwordx4 s[12:15], s[4:5], 0x58
	v_and_b32_e32 v1, 3, v0
	v_cmp_gt_u32_e64 s0, 32, v0
	v_lshlrev_b32_e32 v2, 2, v0
	s_ashr_i32 s1, s6, 31
	s_ashr_i32 s7, s10, 31
	s_lshl_b32 s10, s6, 6
	s_waitcnt lgkmcnt(0)
	s_and_saveexec_b32 s15, s0
	s_cbranch_execz .LBB82_5
; %bb.4:
	s_load_dwordx2 s[18:19], s[4:5], 0x18
	s_mul_i32 s20, s12, s22
	v_and_b32_e32 v4, 0x3fc, v0
	s_ashr_i32 s21, s20, 31
	s_lshl_b64 s[20:21], s[20:21], 1
	v_lshl_add_u32 v4, v1, 5, v4
	s_waitcnt lgkmcnt(0)
	s_add_u32 s12, s18, s20
	s_addc_u32 s17, s19, s21
	s_ashr_i32 s11, s10, 31
	s_lshl_b64 s[18:19], s[10:11], 1
	s_add_u32 s18, s12, s18
	s_addc_u32 s19, s17, s19
	global_load_dword v3, v2, s[18:19]
	s_waitcnt vmcnt(0)
	ds_write_b32 v4, v3
.LBB82_5:
	s_or_b32 exec_lo, exec_lo, s15
	s_add_i32 s11, s23, 7
	s_lshl_b32 s12, s8, 6
	s_ashr_i32 s15, s11, 31
	s_xor_b32 s1, s1, s7
	s_lshr_b32 s15, s15, 29
	s_add_i32 s7, s12, 64
	s_add_i32 s11, s11, s15
	s_mul_i32 s15, s3, s2
	s_ashr_i32 s30, s11, 3
	s_sub_i32 s15, s16, s15
	s_min_i32 s11, s7, s30
	s_clause 0x1
	s_load_dwordx2 s[24:25], s[4:5], 0x38
	s_load_dword s7, s[4:5], 0x48
	s_add_i32 s16, s3, 1
	s_sub_i32 s17, s15, s2
	s_cmp_ge_u32 s15, s2
	v_lshrrev_b32_e32 v10, 5, v0
	s_cselect_b32 s3, s16, s3
	s_cselect_b32 s15, s17, s15
	s_add_i32 s16, s3, 1
	s_cmp_ge_u32 s15, s2
	v_or_b32_e32 v5, s12, v10
	s_cselect_b32 s2, s16, s3
	v_mbcnt_lo_u32_b32 v4, -1, 0
	s_xor_b32 s2, s2, s1
	s_mov_b32 s3, exec_lo
	s_sub_i32 s2, s2, s1
	v_cmp_gt_i32_e64 s1, s11, v5
	s_waitcnt lgkmcnt(0)
	s_barrier
	buffer_gl0_inv
                                        ; implicit-def: $vgpr7
                                        ; implicit-def: $vgpr8
	s_mul_i32 s26, s7, s22
	s_ashr_i32 s27, s26, 31
	v_cmpx_le_i32_e64 s11, v5
	s_xor_b32 s3, exec_lo, s3
; %bb.6:
	v_mov_b32_e32 v7, 0
	v_mbcnt_lo_u32_b32 v4, -1, 0
	v_mov_b32_e32 v8, 32
                                        ; implicit-def: $vgpr2
                                        ; implicit-def: $vgpr1
; %bb.7:
	s_or_saveexec_b32 s35, s3
	s_clause 0x3
	s_load_dwordx4 s[16:19], s[4:5], 0x0
	s_load_dwordx2 s[20:21], s[4:5], 0x10
	s_load_dwordx2 s[28:29], s[4:5], 0x28
	s_load_dword s7, s[4:5], 0x98
	v_mov_b32_e32 v9, 0xff7fffff
	v_ashrrev_i32_e32 v6, 31, v5
	v_lshlrev_b32_e32 v3, 3, v10
	s_mul_i32 s14, s2, s14
	s_xor_b32 exec_lo, exec_lo, s35
	s_cbranch_execz .LBB82_13
; %bb.8:
	s_load_dwordx2 s[4:5], s[4:5], 0x20
	v_bfe_u32 v8, v0, 2, 3
	s_ashr_i32 s15, s14, 31
	v_and_b32_e32 v14, 12, v2
	s_lshl_b64 s[36:37], s[14:15], 1
	v_lshlrev_b32_e32 v11, 5, v1
	v_lshlrev_b32_e32 v9, 2, v8
	;; [unrolled: 1-line block ×3, first 2 shown]
	v_add3_u32 v12, s33, v3, v8
	v_cmp_eq_u32_e32 vcc_lo, 0, v1
	v_lshlrev_b64 v[1:2], 2, v[5:6]
	v_lshl_or_b32 v9, v10, 5, v9
	v_mov_b32_e32 v7, 0
	v_cmp_neq_f32_e64 s2, s34, 0
	v_xor_b32_e32 v16, 2, v4
	v_xor_b32_e32 v17, 1, v4
	v_add_nc_u32_e32 v13, 0xa0, v9
	v_mov_b32_e32 v18, v5
	s_waitcnt lgkmcnt(0)
	s_add_u32 s3, s4, s36
	s_addc_u32 s4, s5, s37
	v_add_co_u32 v8, s3, s3, v15
	v_add_co_ci_u32_e64 v9, null, s4, 0, s3
	s_lshl_b64 s[36:37], s[26:27], 2
	s_sub_i32 s5, 1, s23
	s_add_u32 s4, s24, s36
	v_add_co_u32 v14, s3, v8, v14
	s_addc_u32 s15, s25, s37
	v_add_co_ci_u32_e64 v15, null, 0, v9, s3
	v_add_co_u32 v1, s3, s4, v1
	v_add_co_ci_u32_e64 v2, null, s15, v2, s3
	v_mov_b32_e32 v9, 0xff7fffff
	v_mov_b32_e32 v8, 32
	s_mov_b32 s36, s13
	s_mov_b32 s15, 0
	s_branch .LBB82_10
.LBB82_9:                               ;   in Loop: Header=BB82_10 Depth=1
	s_or_b32 exec_lo, exec_lo, s4
	v_add_nc_u32_e32 v18, 4, v18
	v_add_co_u32 v1, s4, v1, 16
	v_add_nc_u32_e32 v12, 32, v12
	v_add_nc_u32_e32 v13, 0x80, v13
	v_cmp_le_i32_e64 s3, s11, v18
	v_add_co_ci_u32_e64 v2, null, 0, v2, s4
	s_or_b32 s15, s3, s15
	s_andn2_b32 exec_lo, exec_lo, s15
	s_cbranch_execz .LBB82_12
.LBB82_10:                              ; =>This Inner Loop Header: Depth=1
	global_load_dword v19, v[1:2], off
	s_waitcnt vmcnt(0) lgkmcnt(0)
	v_mad_i64_i32 v[19:20], null, v19, s36, 0
	v_lshlrev_b64 v[19:20], 1, v[19:20]
	v_add_co_u32 v19, s3, v14, v19
	v_add_co_ci_u32_e64 v20, null, v15, v20, s3
	v_cmp_gt_i32_e64 s3, 32, v16
	s_clause 0x7
	global_load_dword v21, v[19:20], off
	global_load_dword v22, v[19:20], off offset:128
	global_load_dword v23, v[19:20], off offset:256
	;; [unrolled: 1-line block ×7, first 2 shown]
	ds_read_b32 v20, v11
	s_waitcnt lgkmcnt(0)
	v_and_b32_e32 v28, 0xffff, v20
	v_lshrrev_b32_e32 v29, 16, v20
	;;#ASMSTART
	v_cvt_f32_f16 v20, v28;
	;;#ASMEND
	s_waitcnt vmcnt(7)
	v_and_b32_e32 v30, 0xffff, v21
	v_lshrrev_b32_e32 v31, 16, v21
	;;#ASMSTART
	v_cvt_f32_f16 v21, v29;
	;;#ASMEND
	;;#ASMSTART
	v_cvt_f32_f16 v28, v30;
	;;#ASMEND
	;; [unrolled: 3-line block ×3, first 2 shown]
	ds_read_b32 v30, v11 offset:4
	s_waitcnt vmcnt(6)
	v_and_b32_e32 v32, 0xffff, v22
	v_lshrrev_b32_e32 v33, 16, v22
	s_waitcnt vmcnt(5)
	v_and_b32_e32 v35, 0xffff, v23
	v_lshrrev_b32_e32 v36, 16, v23
	;; [unrolled: 3-line block ×5, first 2 shown]
	s_waitcnt vmcnt(1)
	v_lshrrev_b32_e32 v46, 16, v27
	v_and_b32_e32 v27, 0xffff, v27
	s_waitcnt lgkmcnt(0)
	v_and_b32_e32 v31, 0xffff, v30
	v_lshrrev_b32_e32 v30, 16, v30
	;;#ASMSTART
	v_cvt_f32_f16 v22, v31;
	;;#ASMEND
	;;#ASMSTART
	v_cvt_f32_f16 v30, v30;
	;;#ASMEND
	;; [unrolled: 3-line block ×4, first 2 shown]
	ds_read_b32 v33, v11 offset:8
	v_mul_f32_e32 v22, v22, v31
	v_mul_f32_e32 v30, v30, v32
	v_fmac_f32_e32 v22, v20, v28
	v_fmac_f32_e32 v30, v21, v29
	s_waitcnt lgkmcnt(0)
	v_and_b32_e32 v34, 0xffff, v33
	v_lshrrev_b32_e32 v33, 16, v33
	;;#ASMSTART
	v_cvt_f32_f16 v23, v34;
	;;#ASMEND
	;;#ASMSTART
	v_cvt_f32_f16 v33, v33;
	;;#ASMEND
	;; [unrolled: 3-line block ×4, first 2 shown]
	ds_read_b32 v36, v11 offset:12
	v_fmac_f32_e32 v22, v23, v34
	v_fmac_f32_e32 v30, v33, v35
	v_cndmask_b32_e64 v23, v4, v16, s3
	v_cmp_gt_i32_e64 s3, 32, v17
	s_waitcnt lgkmcnt(0)
	v_and_b32_e32 v37, 0xffff, v36
	v_lshrrev_b32_e32 v36, 16, v36
	;;#ASMSTART
	v_cvt_f32_f16 v24, v37;
	;;#ASMEND
	;;#ASMSTART
	v_cvt_f32_f16 v36, v36;
	;;#ASMEND
	;; [unrolled: 3-line block ×4, first 2 shown]
	ds_read_b32 v39, v11 offset:16
	v_fmac_f32_e32 v22, v24, v37
	v_fmac_f32_e32 v30, v36, v38
	s_waitcnt vmcnt(0)
	v_lshrrev_b32_e32 v24, 16, v19
	s_waitcnt lgkmcnt(0)
	v_and_b32_e32 v40, 0xffff, v39
	v_lshrrev_b32_e32 v39, 16, v39
	;;#ASMSTART
	v_cvt_f32_f16 v25, v40;
	;;#ASMEND
	;;#ASMSTART
	v_cvt_f32_f16 v39, v39;
	;;#ASMEND
	;;#ASMSTART
	v_cvt_f32_f16 v40, v41;
	;;#ASMEND
	;;#ASMSTART
	v_cvt_f32_f16 v41, v42;
	;;#ASMEND
	ds_read_b32 v42, v11 offset:20
	v_fmac_f32_e32 v22, v25, v40
	v_fmac_f32_e32 v30, v39, v41
	s_waitcnt lgkmcnt(0)
	v_and_b32_e32 v43, 0xffff, v42
	v_lshrrev_b32_e32 v42, 16, v42
	;;#ASMSTART
	v_cvt_f32_f16 v26, v43;
	;;#ASMEND
	;;#ASMSTART
	v_cvt_f32_f16 v42, v42;
	;;#ASMEND
	;;#ASMSTART
	v_cvt_f32_f16 v43, v44;
	;;#ASMEND
	;;#ASMSTART
	v_cvt_f32_f16 v44, v45;
	;;#ASMEND
	ds_read_b32 v45, v11 offset:24
	v_fmac_f32_e32 v22, v26, v43
	v_fmac_f32_e32 v30, v42, v44
	;; [unrolled: 18-line block ×3, first 2 shown]
	s_waitcnt lgkmcnt(0)
	v_and_b32_e32 v25, 0xffff, v29
	v_lshrrev_b32_e32 v26, 16, v29
	v_and_b32_e32 v29, 0xffff, v19
	;;#ASMSTART
	v_cvt_f32_f16 v19, v25;
	;;#ASMEND
	;;#ASMSTART
	v_cvt_f32_f16 v20, v26;
	;;#ASMEND
	;; [unrolled: 3-line block ×4, first 2 shown]
	v_fmac_f32_e32 v22, v19, v21
	v_fmac_f32_e32 v30, v20, v24
	v_lshlrev_b32_e32 v19, 2, v23
	v_cndmask_b32_e64 v21, v4, v17, s3
	v_add_f32_e32 v20, v22, v30
	ds_bpermute_b32 v19, v19, v20
	s_waitcnt lgkmcnt(0)
	v_add_f32_e32 v19, v20, v19
	v_lshlrev_b32_e32 v20, 2, v21
	ds_bpermute_b32 v20, v20, v19
	s_and_saveexec_b32 s4, vcc_lo
	s_cbranch_execz .LBB82_9
; %bb.11:                               ;   in Loop: Header=BB82_10 Depth=1
	v_add_nc_u32_e32 v21, s5, v12
	s_waitcnt lgkmcnt(0)
	v_add_f32_e32 v19, v19, v20
	v_cmp_gt_i32_e64 s3, s23, v12
	v_cvt_f32_i32_e32 v21, v21
	v_mul_f32_e32 v21, s34, v21
	v_cndmask_b32_e64 v20, 0, v21, s2
	v_max_f32_e32 v21, v9, v9
	v_fmac_f32_e32 v20, s31, v19
	v_max_f32_e32 v19, v21, v20
	v_cndmask_b32_e64 v20, 0, v20, s3
	v_cndmask_b32_e64 v9, v9, v19, s3
	ds_write_b32 v13, v20
	s_branch .LBB82_9
.LBB82_12:
	s_or_b32 exec_lo, exec_lo, s15
.LBB82_13:
	s_or_b32 exec_lo, exec_lo, s35
	v_xor_b32_e32 v1, 16, v4
	v_xor_b32_e32 v11, 8, v4
	v_max_f32_e32 v12, v9, v9
	v_cmp_lt_i32_e32 vcc_lo, v1, v8
	v_cndmask_b32_e32 v1, v4, v1, vcc_lo
	v_cmp_lt_i32_e32 vcc_lo, v11, v8
	v_lshlrev_b32_e32 v2, 2, v1
	ds_bpermute_b32 v1, v2, v9
	v_cndmask_b32_e32 v9, v4, v11, vcc_lo
	v_lshlrev_b32_e32 v9, 2, v9
	s_waitcnt lgkmcnt(0)
	v_max_f32_e32 v1, v1, v1
	v_max_f32_e32 v1, v12, v1
	v_xor_b32_e32 v12, 4, v4
	ds_bpermute_b32 v11, v9, v1
	v_cmp_lt_i32_e32 vcc_lo, v12, v8
	v_cndmask_b32_e32 v12, v4, v12, vcc_lo
	v_lshlrev_b32_e32 v14, 2, v12
	v_lshlrev_b32_e32 v12, 2, v10
	s_waitcnt lgkmcnt(0)
	v_max_f32_e32 v11, v11, v11
	v_max_f32_e32 v1, v1, v11
	v_and_b32_e32 v11, 31, v0
	ds_bpermute_b32 v13, v14, v1
	v_cmp_eq_u32_e32 vcc_lo, 0, v11
	s_and_saveexec_b32 s2, vcc_lo
	s_cbranch_execz .LBB82_15
; %bb.14:
	s_waitcnt lgkmcnt(0)
	v_max_f32_e32 v13, v13, v13
	v_max_f32_e32 v1, v1, v1
	;; [unrolled: 1-line block ×3, first 2 shown]
	ds_write_b32 v12, v1 offset:128
.LBB82_15:
	s_or_b32 exec_lo, exec_lo, s2
	v_cmp_gt_u32_e64 s2, 4, v11
	v_mov_b32_e32 v1, 0xff7fffff
	s_waitcnt lgkmcnt(0)
	v_lshlrev_b32_e32 v13, 2, v11
	s_barrier
	buffer_gl0_inv
	s_and_saveexec_b32 s3, s2
; %bb.16:
	ds_read_b32 v1, v13 offset:128
; %bb.17:
	s_or_b32 exec_lo, exec_lo, s3
	v_xor_b32_e32 v15, 2, v4
	v_xor_b32_e32 v17, 1, v4
	v_lshlrev_b32_e32 v7, 2, v7
	v_cmp_lt_i32_e64 s3, v15, v8
	v_cndmask_b32_e64 v15, v4, v15, s3
	v_cmp_lt_i32_e64 s3, v17, v8
	v_lshlrev_b32_e32 v15, 2, v15
	v_cndmask_b32_e64 v8, v4, v17, s3
	s_sub_i32 s3, s11, s12
	s_lshl_b32 s3, s3, 3
	s_waitcnt lgkmcnt(0)
	ds_bpermute_b32 v16, v15, v1
	v_max_f32_e32 v1, v1, v1
	v_lshlrev_b32_e32 v8, 2, v8
	s_add_i32 s3, s3, s33
	s_min_i32 s3, s3, s23
	s_sub_i32 s5, s3, s33
	v_cmp_gt_i32_e64 s3, s5, v0
	s_waitcnt lgkmcnt(0)
	v_max_f32_e32 v16, v16, v16
	v_max_f32_e32 v1, v1, v16
	ds_bpermute_b32 v16, v8, v1
	s_waitcnt lgkmcnt(0)
	v_max_f32_e32 v16, v16, v16
	v_max_f32_e32 v1, v1, v16
	v_mov_b32_e32 v16, 0
	ds_bpermute_b32 v1, v7, v1
	v_lshl_add_u32 v7, v0, 2, 0xa0
	s_and_saveexec_b32 s15, s3
	s_cbranch_execz .LBB82_21
; %bb.18:
	v_lshl_add_u32 v17, v0, 2, 0xa0
	v_mov_b32_e32 v16, 0
	v_mov_b32_e32 v18, v0
	s_mov_b32 s31, 0
	.p2align	6
.LBB82_19:                              ; =>This Inner Loop Header: Depth=1
	ds_read_b32 v19, v17
	v_add_nc_u32_e32 v18, 0x80, v18
	v_cmp_le_i32_e64 s4, s5, v18
	s_or_b32 s31, s4, s31
	s_waitcnt lgkmcnt(0)
	v_sub_f32_e32 v19, v19, v1
	v_mul_f32_e32 v19, 0x3fb8aa3b, v19
	v_exp_f32_e32 v19, v19
	ds_write_b32 v17, v19
	v_add_f32_e32 v16, v16, v19
	v_add_nc_u32_e32 v17, 0x200, v17
	s_andn2_b32 exec_lo, exec_lo, s31
	s_cbranch_execnz .LBB82_19
; %bb.20:
	s_or_b32 exec_lo, exec_lo, s31
.LBB82_21:
	s_or_b32 exec_lo, exec_lo, s15
	ds_bpermute_b32 v2, v2, v16
	s_waitcnt lgkmcnt(0)
	v_add_f32_e32 v2, v16, v2
	ds_bpermute_b32 v9, v9, v2
	s_waitcnt lgkmcnt(0)
	v_add_f32_e32 v2, v2, v9
	;; [unrolled: 3-line block ×5, first 2 shown]
	s_and_saveexec_b32 s4, vcc_lo
; %bb.22:
	ds_write_b32 v12, v2 offset:144
; %bb.23:
	s_or_b32 exec_lo, exec_lo, s4
	s_waitcnt lgkmcnt(0)
	s_barrier
	buffer_gl0_inv
	s_and_saveexec_b32 s4, s2
; %bb.24:
	ds_read_b32 v2, v13 offset:144
; %bb.25:
	s_or_b32 exec_lo, exec_lo, s4
	s_waitcnt lgkmcnt(0)
	ds_bpermute_b32 v9, v15, v2
	v_lshlrev_b32_e32 v4, 2, v4
	v_and_b32_e32 v4, 0xffffff80, v4
	s_waitcnt lgkmcnt(0)
	v_add_f32_e32 v2, v2, v9
	ds_bpermute_b32 v8, v8, v2
	s_waitcnt lgkmcnt(0)
	v_add_f32_e32 v2, v2, v8
	ds_bpermute_b32 v2, v4, v2
	s_and_saveexec_b32 s2, s3
	s_cbranch_execz .LBB82_28
; %bb.26:
	s_waitcnt lgkmcnt(0)
	v_add_f32_e32 v4, 0x358637bd, v2
	s_mov_b32 s3, 0
	v_div_scale_f32 v8, null, v4, v4, 1.0
	v_div_scale_f32 v13, vcc_lo, 1.0, v4, 1.0
	v_rcp_f32_e32 v9, v8
	v_fma_f32 v12, -v8, v9, 1.0
	v_fmac_f32_e32 v9, v12, v9
	v_mul_f32_e32 v12, v13, v9
	v_fma_f32 v14, -v8, v12, v13
	v_fmac_f32_e32 v12, v14, v9
	v_fma_f32 v8, -v8, v12, v13
	v_div_fmas_f32 v8, v8, v9, v12
	v_div_fixup_f32 v4, v8, v4, 1.0
	v_mov_b32_e32 v8, v0
.LBB82_27:                              ; =>This Inner Loop Header: Depth=1
	ds_read_b32 v9, v7
	v_add_nc_u32_e32 v8, 0x80, v8
	v_cmp_le_i32_e32 vcc_lo, s5, v8
	s_or_b32 s3, vcc_lo, s3
	s_waitcnt lgkmcnt(0)
	v_mul_f32_e32 v9, v4, v9
	ds_write_b32 v7, v9
	v_add_nc_u32_e32 v7, 0x200, v7
	s_andn2_b32 exec_lo, exec_lo, s3
	s_cbranch_execnz .LBB82_27
.LBB82_28:
	s_or_b32 exec_lo, exec_lo, s2
	s_mul_i32 s2, s7, s22
	s_waitcnt lgkmcnt(0)
	s_mul_i32 s4, s2, s9
	s_mov_b32 s2, exec_lo
	s_barrier
	buffer_gl0_inv
	v_cmpx_eq_u32_e32 0, v0
	s_cbranch_execz .LBB82_30
; %bb.29:
	s_ashr_i32 s5, s4, 31
	s_mul_i32 s36, s7, s6
	s_lshl_b64 s[34:35], s[4:5], 2
	v_mov_b32_e32 v4, 0
	s_add_u32 s3, s18, s34
	s_addc_u32 s5, s19, s35
	s_ashr_i32 s37, s36, 31
	s_lshl_b64 s[18:19], s[36:37], 2
	s_add_u32 s3, s3, s18
	s_addc_u32 s5, s5, s19
	s_ashr_i32 s9, s8, 31
	s_lshl_b64 s[8:9], s[8:9], 2
	s_add_u32 s36, s3, s8
	s_addc_u32 s37, s5, s9
	s_add_u32 s3, s16, s34
	s_addc_u32 s5, s17, s35
	;; [unrolled: 2-line block ×4, first 2 shown]
	global_store_dword v4, v1, s[36:37]
	global_store_dword v4, v2, s[8:9]
.LBB82_30:
	s_or_b32 exec_lo, exec_lo, s2
	v_mov_b32_e32 v13, 0
	v_mov_b32_e32 v12, 0
	s_and_saveexec_b32 s3, s1
	s_cbranch_execz .LBB82_38
; %bb.31:
	s_ashr_i32 s15, s14, 31
	v_lshlrev_b32_e32 v1, 4, v11
	s_lshl_b64 s[8:9], s[14:15], 1
	v_mov_b32_e32 v14, 0
	s_add_u32 s1, s28, s8
	s_addc_u32 s2, s29, s9
	v_add_co_u32 v15, s1, s1, v1
	v_lshlrev_b64 v[1:2], 2, v[5:6]
	s_lshl_b64 s[8:9], s[26:27], 2
	s_add_i32 s30, s30, -1
	v_add_co_ci_u32_e64 v16, null, s2, 0, s1
	s_add_u32 s1, s24, s8
	s_addc_u32 s2, s25, s9
	v_add_co_u32 v6, vcc_lo, s1, v1
	v_add3_u32 v17, s33, v3, 7
	v_lshl_add_u32 v18, v10, 5, 0xa0
	v_add_co_ci_u32_e64 v7, null, s2, v2, vcc_lo
	v_mov_b32_e32 v12, 0
	v_mov_b32_e32 v13, 0
	s_mov_b32 s6, s13
	s_mov_b32 s5, 0
	s_branch .LBB82_33
.LBB82_32:                              ;   in Loop: Header=BB82_33 Depth=1
	s_or_b32 exec_lo, exec_lo, s2
	v_lshlrev_b32_e32 v19, 16, v32
	v_lshlrev_b32_e32 v9, 16, v9
	;; [unrolled: 1-line block ×3, first 2 shown]
	v_add_nc_u32_e32 v5, 4, v5
	v_add_co_u32 v6, s1, v6, 16
	v_and_or_b32 v1, 0xffff, v1, v19
	v_and_or_b32 v2, 0xffff, v2, v9
	v_and_or_b32 v3, 0xffff, v3, v8
	;;#ASMSTART
	v_pk_mul_f16 v1, v27, v1;

	;;#ASMEND
	;;#ASMSTART
	v_pk_mul_f16 v2, v26, v2;

	;;#ASMEND
	;; [unrolled: 4-line block ×4, first 2 shown]
	;;#ASMSTART
	v_pk_add_f16 v1, v1, v2;

	;;#ASMEND
	;;#ASMSTART
	v_pk_add_f16 v1, v1, v3;

	;;#ASMEND
	;; [unrolled: 4-line block ×3, first 2 shown]
	v_and_b32_e32 v2, 0xffff, v1
	v_lshrrev_b32_e32 v3, 16, v1
	;;#ASMSTART
	v_cvt_f32_f16 v2, v2;
	;;#ASMEND
	v_add_f32_e32 v1, v30, v31
	;;#ASMSTART
	v_cvt_f32_f16 v3, v3;
	;;#ASMEND
	v_add_f32_e32 v2, v2, v3
	v_cmp_le_i32_e32 vcc_lo, s11, v5
	v_add_nc_u32_e32 v17, 32, v17
	v_add_nc_u32_e32 v18, 0x80, v18
	v_add_f32_e32 v13, v13, v1
	v_add_f32_e32 v12, v12, v2
	v_add_co_ci_u32_e64 v7, null, 0, v7, s1
	s_or_b32 s5, vcc_lo, s5
	s_andn2_b32 exec_lo, exec_lo, s5
	s_cbranch_execz .LBB82_37
.LBB82_33:                              ; =>This Inner Loop Header: Depth=1
	global_load_dword v8, v[6:7], off
	ds_read2_b64 v[1:4], v18 offset1:1
	ds_read2_b64 v[19:22], v18 offset0:2 offset1:3
	v_add_nc_u32_e32 v23, -7, v17
	v_cmp_eq_u32_e64 s1, s30, v5
	v_add_nc_u32_e32 v25, -6, v17
	v_add_nc_u32_e32 v24, -1, v17
	s_waitcnt lgkmcnt(1)
	;;#ASMSTART
	v_cvt_f16_f32 v27, v1;

	;;#ASMEND
	;;#ASMSTART
	v_cvt_f16_f32 v26, v2;

	;;#ASMEND
	;; [unrolled: 4-line block ×4, first 2 shown]
	s_waitcnt lgkmcnt(0)
	;;#ASMSTART
	v_cvt_f16_f32 v33, v19;

	;;#ASMEND
	;;#ASMSTART
	v_cvt_f16_f32 v29, v20;

	;;#ASMEND
	;;#ASMSTART
	v_cvt_f16_f32 v31, v21;

	;;#ASMEND
	;;#ASMSTART
	v_cvt_f16_f32 v28, v22;

	;;#ASMEND
	v_add_nc_u32_e32 v22, -5, v17
	v_add_nc_u32_e32 v21, -4, v17
	;; [unrolled: 1-line block ×4, first 2 shown]
	s_waitcnt vmcnt(0)
	v_mad_i64_i32 v[8:9], null, v8, s6, 0
	v_lshlrev_b64 v[8:9], 1, v[8:9]
	v_add_co_u32 v8, vcc_lo, v15, v8
	v_add_co_ci_u32_e64 v9, null, v16, v9, vcc_lo
	global_load_dwordx4 v[1:4], v[8:9], off
	s_waitcnt vmcnt(0)
	v_lshrrev_b32_e32 v36, 16, v1
	v_lshrrev_b32_e32 v35, 16, v2
	;; [unrolled: 1-line block ×3, first 2 shown]
	s_and_saveexec_b32 s8, s1
	s_cbranch_execz .LBB82_35
; %bb.34:                               ;   in Loop: Header=BB82_33 Depth=1
	v_cmp_gt_i32_e32 vcc_lo, s23, v23
	v_and_b32_e32 v37, 0xffff0000, v4
	v_cmp_gt_i32_e64 s2, s23, v22
	v_cndmask_b32_e32 v1, 0, v1, vcc_lo
	v_cmp_gt_i32_e32 vcc_lo, s23, v25
	v_cndmask_b32_e64 v2, 0, v2, s2
	v_cmp_gt_i32_e64 s2, s23, v21
	v_cndmask_b32_e32 v36, 0, v36, vcc_lo
	v_cmp_gt_i32_e32 vcc_lo, s23, v24
	v_cndmask_b32_e64 v35, 0, v35, s2
	v_cndmask_b32_sdwa v4, v14, v4, vcc_lo dst_sel:DWORD dst_unused:UNUSED_PAD src0_sel:DWORD src1_sel:WORD_0
	v_cmp_gt_i32_e32 vcc_lo, s23, v17
	v_cndmask_b32_e32 v37, 0, v37, vcc_lo
	v_cmp_gt_i32_e32 vcc_lo, s23, v20
	v_or_b32_e32 v4, v4, v37
	v_cndmask_b32_e32 v3, 0, v3, vcc_lo
	v_cmp_gt_i32_e32 vcc_lo, s23, v19
	v_cndmask_b32_e32 v34, 0, v34, vcc_lo
.LBB82_35:                              ;   in Loop: Header=BB82_33 Depth=1
	s_or_b32 exec_lo, exec_lo, s8
	v_and_b32_e32 v27, 0xffff, v27
	v_and_b32_e32 v32, 0xffff, v32
	v_lshlrev_b32_e32 v36, 16, v36
	v_and_b32_e32 v33, 0xffff, v33
	v_and_b32_e32 v31, 0xffff, v31
	v_lshl_or_b32 v27, v26, 16, v27
	v_lshl_or_b32 v26, v30, 16, v32
	v_lshlrev_b32_e32 v30, 16, v35
	v_lshlrev_b32_e32 v32, 16, v34
	v_and_or_b32 v1, 0xffff, v1, v36
	;;#ASMSTART
	v_pk_mul_f16 v1, v27, v1;

	;;#ASMEND
	v_lshl_or_b32 v29, v29, 16, v33
	v_and_or_b32 v2, 0xffff, v2, v30
	v_and_or_b32 v3, 0xffff, v3, v32
	v_lshl_or_b32 v28, v28, 16, v31
	;;#ASMSTART
	v_pk_mul_f16 v2, v26, v2;

	;;#ASMEND
	;;#ASMSTART
	v_pk_mul_f16 v3, v29, v3;

	;;#ASMEND
	;; [unrolled: 4-line block ×3, first 2 shown]
	;;#ASMSTART
	v_pk_add_f16 v1, v1, v2;

	;;#ASMEND
	;;#ASMSTART
	v_pk_add_f16 v1, v1, v3;

	;;#ASMEND
	;;#ASMSTART
	v_pk_add_f16 v1, v1, v4;

	;;#ASMEND
	v_and_b32_e32 v2, 0xffff, v1
	v_lshrrev_b32_e32 v1, 16, v1
	;;#ASMSTART
	v_cvt_f32_f16 v30, v2;
	;;#ASMEND
	;;#ASMSTART
	v_cvt_f32_f16 v31, v1;
	;;#ASMEND
	global_load_dwordx4 v[1:4], v[8:9], off offset:512
	s_waitcnt vmcnt(0)
	v_lshrrev_b32_e32 v32, 16, v1
	v_lshrrev_b32_e32 v9, 16, v2
	;; [unrolled: 1-line block ×3, first 2 shown]
	s_and_saveexec_b32 s2, s1
	s_cbranch_execz .LBB82_32
; %bb.36:                               ;   in Loop: Header=BB82_33 Depth=1
	v_cmp_gt_i32_e32 vcc_lo, s23, v23
	v_cmp_gt_i32_e64 s1, s23, v22
	v_cndmask_b32_e32 v1, 0, v1, vcc_lo
	v_cmp_gt_i32_e32 vcc_lo, s23, v25
	v_cndmask_b32_e64 v2, 0, v2, s1
	v_cmp_gt_i32_e64 s1, s23, v21
	v_and_b32_e32 v21, 0xffff0000, v4
	v_cndmask_b32_e32 v32, 0, v32, vcc_lo
	v_cmp_gt_i32_e32 vcc_lo, s23, v24
	v_cndmask_b32_e64 v9, 0, v9, s1
	v_cndmask_b32_sdwa v4, v14, v4, vcc_lo dst_sel:DWORD dst_unused:UNUSED_PAD src0_sel:DWORD src1_sel:WORD_0
	v_cmp_gt_i32_e32 vcc_lo, s23, v17
	v_cndmask_b32_e32 v21, 0, v21, vcc_lo
	v_cmp_gt_i32_e32 vcc_lo, s23, v20
	v_or_b32_e32 v4, v4, v21
	v_cndmask_b32_e32 v3, 0, v3, vcc_lo
	v_cmp_gt_i32_e32 vcc_lo, s23, v19
	v_cndmask_b32_e32 v8, 0, v8, vcc_lo
	s_branch .LBB82_32
.LBB82_37:
	s_or_b32 exec_lo, exec_lo, s5
.LBB82_38:
	s_or_b32 exec_lo, exec_lo, s3
	v_lshl_add_u32 v2, v11, 2, 0xa0
	v_and_b32_e32 v3, 0x3c0, v0
	s_mov_b32 s1, exec_lo
	s_waitcnt_vscnt null, 0x0
	s_barrier
	v_lshl_add_u32 v1, v10, 8, v2
	buffer_gl0_inv
	v_cmpx_eq_u32_e32 64, v3
	s_cbranch_execz .LBB82_40
; %bb.39:
	v_add_nc_u32_e32 v3, 0xfffffe00, v1
	v_add_nc_u32_e32 v4, 0xfffffe80, v1
	ds_write_b32 v3, v13
	ds_write_b32 v4, v12
.LBB82_40:
	s_or_b32 exec_lo, exec_lo, s1
	s_mov_b32 s1, exec_lo
	s_waitcnt lgkmcnt(0)
	s_barrier
	buffer_gl0_inv
	v_cmpx_gt_u32_e32 64, v0
	s_cbranch_execz .LBB82_42
; %bb.41:
	ds_read2_b32 v[3:4], v1 offset1:32
	s_waitcnt lgkmcnt(0)
	v_add_f32_e32 v13, v13, v3
	v_add_f32_e32 v12, v12, v4
.LBB82_42:
	s_or_b32 exec_lo, exec_lo, s1
	v_and_b32_e32 v3, 0x3e0, v0
	s_mov_b32 s1, exec_lo
	s_barrier
	buffer_gl0_inv
	v_cmpx_eq_u32_e32 32, v3
; %bb.43:
	ds_write2_b32 v2, v13, v12 offset1:32
; %bb.44:
	s_or_b32 exec_lo, exec_lo, s1
	s_waitcnt lgkmcnt(0)
	s_barrier
	buffer_gl0_inv
	s_and_saveexec_b32 s1, s0
	s_cbranch_execz .LBB82_46
; %bb.45:
	ds_read2_b32 v[1:2], v1 offset1:32
	s_waitcnt lgkmcnt(0)
	v_add_f32_e32 v13, v13, v1
	v_add_f32_e32 v12, v12, v2
.LBB82_46:
	s_or_b32 exec_lo, exec_lo, s1
	s_barrier
	buffer_gl0_inv
	s_and_saveexec_b32 s1, s0
	s_cbranch_execz .LBB82_48
; %bb.47:
	s_lshl_b32 s0, s4, 6
	s_mul_i32 s2, s7, s10
	s_ashr_i32 s1, s0, 31
	v_lshlrev_b32_e32 v0, 1, v0
	s_lshl_b64 s[0:1], s[0:1], 1
	;;#ASMSTART
	v_cvt_f16_f32 v1, v13;

	;;#ASMEND
	s_add_u32 s4, s20, s0
	s_addc_u32 s5, s21, s1
	s_ashr_i32 s3, s2, 31
	s_lshl_b64 s[0:1], s[2:3], 1
	s_add_u32 s2, s4, s0
	s_addc_u32 s3, s5, s1
	s_ashr_i32 s13, s12, 31
	s_lshl_b64 s[0:1], s[12:13], 1
	s_add_u32 s0, s2, s0
	s_addc_u32 s1, s3, s1
	global_store_short v0, v1, s[0:1]
	;;#ASMSTART
	v_cvt_f16_f32 v1, v12;

	;;#ASMEND
	global_store_short v0, v1, s[0:1] offset:64
.LBB82_48:
	s_endpgm
	.section	.rodata,"a",@progbits
	.p2align	6, 0x0
	.amdhsa_kernel _ZN4vllm25paged_attention_v2_kernelIttLi64ELi8ELi128ELNS_18Fp8KVCacheDataTypeE0ELb0ELi512EEEvPfS2_PT_PKS3_PKT0_S9_ifPKiSB_iPKfiiiSD_SD_iiiii
		.amdhsa_group_segment_fixed_size 160
		.amdhsa_private_segment_fixed_size 0
		.amdhsa_kernarg_size 400
		.amdhsa_user_sgpr_count 6
		.amdhsa_user_sgpr_private_segment_buffer 1
		.amdhsa_user_sgpr_dispatch_ptr 0
		.amdhsa_user_sgpr_queue_ptr 0
		.amdhsa_user_sgpr_kernarg_segment_ptr 1
		.amdhsa_user_sgpr_dispatch_id 0
		.amdhsa_user_sgpr_flat_scratch_init 0
		.amdhsa_user_sgpr_private_segment_size 0
		.amdhsa_wavefront_size32 1
		.amdhsa_uses_dynamic_stack 0
		.amdhsa_system_sgpr_private_segment_wavefront_offset 0
		.amdhsa_system_sgpr_workgroup_id_x 1
		.amdhsa_system_sgpr_workgroup_id_y 1
		.amdhsa_system_sgpr_workgroup_id_z 1
		.amdhsa_system_sgpr_workgroup_info 0
		.amdhsa_system_vgpr_workitem_id 0
		.amdhsa_next_free_vgpr 47
		.amdhsa_next_free_sgpr 38
		.amdhsa_reserve_vcc 1
		.amdhsa_reserve_flat_scratch 0
		.amdhsa_float_round_mode_32 0
		.amdhsa_float_round_mode_16_64 0
		.amdhsa_float_denorm_mode_32 3
		.amdhsa_float_denorm_mode_16_64 3
		.amdhsa_dx10_clamp 1
		.amdhsa_ieee_mode 1
		.amdhsa_fp16_overflow 0
		.amdhsa_workgroup_processor_mode 1
		.amdhsa_memory_ordered 1
		.amdhsa_forward_progress 1
		.amdhsa_shared_vgpr_count 0
		.amdhsa_exception_fp_ieee_invalid_op 0
		.amdhsa_exception_fp_denorm_src 0
		.amdhsa_exception_fp_ieee_div_zero 0
		.amdhsa_exception_fp_ieee_overflow 0
		.amdhsa_exception_fp_ieee_underflow 0
		.amdhsa_exception_fp_ieee_inexact 0
		.amdhsa_exception_int_div_zero 0
	.end_amdhsa_kernel
	.section	.text._ZN4vllm25paged_attention_v2_kernelIttLi64ELi8ELi128ELNS_18Fp8KVCacheDataTypeE0ELb0ELi512EEEvPfS2_PT_PKS3_PKT0_S9_ifPKiSB_iPKfiiiSD_SD_iiiii,"axG",@progbits,_ZN4vllm25paged_attention_v2_kernelIttLi64ELi8ELi128ELNS_18Fp8KVCacheDataTypeE0ELb0ELi512EEEvPfS2_PT_PKS3_PKT0_S9_ifPKiSB_iPKfiiiSD_SD_iiiii,comdat
.Lfunc_end82:
	.size	_ZN4vllm25paged_attention_v2_kernelIttLi64ELi8ELi128ELNS_18Fp8KVCacheDataTypeE0ELb0ELi512EEEvPfS2_PT_PKS3_PKT0_S9_ifPKiSB_iPKfiiiSD_SD_iiiii, .Lfunc_end82-_ZN4vllm25paged_attention_v2_kernelIttLi64ELi8ELi128ELNS_18Fp8KVCacheDataTypeE0ELb0ELi512EEEvPfS2_PT_PKS3_PKT0_S9_ifPKiSB_iPKfiiiSD_SD_iiiii
                                        ; -- End function
	.set _ZN4vllm25paged_attention_v2_kernelIttLi64ELi8ELi128ELNS_18Fp8KVCacheDataTypeE0ELb0ELi512EEEvPfS2_PT_PKS3_PKT0_S9_ifPKiSB_iPKfiiiSD_SD_iiiii.num_vgpr, 47
	.set _ZN4vllm25paged_attention_v2_kernelIttLi64ELi8ELi128ELNS_18Fp8KVCacheDataTypeE0ELb0ELi512EEEvPfS2_PT_PKS3_PKT0_S9_ifPKiSB_iPKfiiiSD_SD_iiiii.num_agpr, 0
	.set _ZN4vllm25paged_attention_v2_kernelIttLi64ELi8ELi128ELNS_18Fp8KVCacheDataTypeE0ELb0ELi512EEEvPfS2_PT_PKS3_PKT0_S9_ifPKiSB_iPKfiiiSD_SD_iiiii.numbered_sgpr, 38
	.set _ZN4vllm25paged_attention_v2_kernelIttLi64ELi8ELi128ELNS_18Fp8KVCacheDataTypeE0ELb0ELi512EEEvPfS2_PT_PKS3_PKT0_S9_ifPKiSB_iPKfiiiSD_SD_iiiii.num_named_barrier, 0
	.set _ZN4vllm25paged_attention_v2_kernelIttLi64ELi8ELi128ELNS_18Fp8KVCacheDataTypeE0ELb0ELi512EEEvPfS2_PT_PKS3_PKT0_S9_ifPKiSB_iPKfiiiSD_SD_iiiii.private_seg_size, 0
	.set _ZN4vllm25paged_attention_v2_kernelIttLi64ELi8ELi128ELNS_18Fp8KVCacheDataTypeE0ELb0ELi512EEEvPfS2_PT_PKS3_PKT0_S9_ifPKiSB_iPKfiiiSD_SD_iiiii.uses_vcc, 1
	.set _ZN4vllm25paged_attention_v2_kernelIttLi64ELi8ELi128ELNS_18Fp8KVCacheDataTypeE0ELb0ELi512EEEvPfS2_PT_PKS3_PKT0_S9_ifPKiSB_iPKfiiiSD_SD_iiiii.uses_flat_scratch, 0
	.set _ZN4vllm25paged_attention_v2_kernelIttLi64ELi8ELi128ELNS_18Fp8KVCacheDataTypeE0ELb0ELi512EEEvPfS2_PT_PKS3_PKT0_S9_ifPKiSB_iPKfiiiSD_SD_iiiii.has_dyn_sized_stack, 0
	.set _ZN4vllm25paged_attention_v2_kernelIttLi64ELi8ELi128ELNS_18Fp8KVCacheDataTypeE0ELb0ELi512EEEvPfS2_PT_PKS3_PKT0_S9_ifPKiSB_iPKfiiiSD_SD_iiiii.has_recursion, 0
	.set _ZN4vllm25paged_attention_v2_kernelIttLi64ELi8ELi128ELNS_18Fp8KVCacheDataTypeE0ELb0ELi512EEEvPfS2_PT_PKS3_PKT0_S9_ifPKiSB_iPKfiiiSD_SD_iiiii.has_indirect_call, 0
	.section	.AMDGPU.csdata,"",@progbits
; Kernel info:
; codeLenInByte = 4844
; TotalNumSgprs: 40
; NumVgprs: 47
; ScratchSize: 0
; MemoryBound: 0
; FloatMode: 240
; IeeeMode: 1
; LDSByteSize: 160 bytes/workgroup (compile time only)
; SGPRBlocks: 0
; VGPRBlocks: 5
; NumSGPRsForWavesPerEU: 40
; NumVGPRsForWavesPerEU: 47
; Occupancy: 16
; WaveLimiterHint : 1
; COMPUTE_PGM_RSRC2:SCRATCH_EN: 0
; COMPUTE_PGM_RSRC2:USER_SGPR: 6
; COMPUTE_PGM_RSRC2:TRAP_HANDLER: 0
; COMPUTE_PGM_RSRC2:TGID_X_EN: 1
; COMPUTE_PGM_RSRC2:TGID_Y_EN: 1
; COMPUTE_PGM_RSRC2:TGID_Z_EN: 1
; COMPUTE_PGM_RSRC2:TIDIG_COMP_CNT: 0
	.section	.text._ZN4vllm25paged_attention_v2_kernelIttLi80ELi8ELi128ELNS_18Fp8KVCacheDataTypeE0ELb0ELi512EEEvPfS2_PT_PKS3_PKT0_S9_ifPKiSB_iPKfiiiSD_SD_iiiii,"axG",@progbits,_ZN4vllm25paged_attention_v2_kernelIttLi80ELi8ELi128ELNS_18Fp8KVCacheDataTypeE0ELb0ELi512EEEvPfS2_PT_PKS3_PKT0_S9_ifPKiSB_iPKfiiiSD_SD_iiiii,comdat
	.protected	_ZN4vllm25paged_attention_v2_kernelIttLi80ELi8ELi128ELNS_18Fp8KVCacheDataTypeE0ELb0ELi512EEEvPfS2_PT_PKS3_PKT0_S9_ifPKiSB_iPKfiiiSD_SD_iiiii ; -- Begin function _ZN4vllm25paged_attention_v2_kernelIttLi80ELi8ELi128ELNS_18Fp8KVCacheDataTypeE0ELb0ELi512EEEvPfS2_PT_PKS3_PKT0_S9_ifPKiSB_iPKfiiiSD_SD_iiiii
	.globl	_ZN4vllm25paged_attention_v2_kernelIttLi80ELi8ELi128ELNS_18Fp8KVCacheDataTypeE0ELb0ELi512EEEvPfS2_PT_PKS3_PKT0_S9_ifPKiSB_iPKfiiiSD_SD_iiiii
	.p2align	8
	.type	_ZN4vllm25paged_attention_v2_kernelIttLi80ELi8ELi128ELNS_18Fp8KVCacheDataTypeE0ELb0ELi512EEEvPfS2_PT_PKS3_PKT0_S9_ifPKiSB_iPKfiiiSD_SD_iiiii,@function
_ZN4vllm25paged_attention_v2_kernelIttLi80ELi8ELi128ELNS_18Fp8KVCacheDataTypeE0ELb0ELi512EEEvPfS2_PT_PKS3_PKT0_S9_ifPKiSB_iPKfiiiSD_SD_iiiii: ; @_ZN4vllm25paged_attention_v2_kernelIttLi80ELi8ELi128ELNS_18Fp8KVCacheDataTypeE0ELb0ELi512EEEvPfS2_PT_PKS3_PKT0_S9_ifPKiSB_iPKfiiiSD_SD_iiiii
; %bb.0:
	s_load_dwordx2 s[0:1], s[4:5], 0x40
	s_mov_b32 s22, s7
	s_ashr_i32 s23, s7, 31
	s_lshl_b64 s[2:3], s[22:23], 2
	s_waitcnt lgkmcnt(0)
	s_add_u32 s0, s0, s2
	s_addc_u32 s1, s1, s3
	s_lshl_b32 s33, s8, 9
	s_load_dword s23, s[0:1], 0x0
	s_waitcnt lgkmcnt(0)
	s_cmp_ge_i32 s33, s23
	s_cbranch_scc1 .LBB83_59
; %bb.1:
	s_clause 0x1
	s_load_dword s9, s[4:5], 0x90
	s_load_dwordx2 s[30:31], s[4:5], 0x30
	s_mov_b32 s34, 0
	s_waitcnt lgkmcnt(0)
	s_abs_i32 s3, s9
	s_abs_i32 s0, s30
	v_cvt_f32_u32_e32 v1, s0
	s_sub_i32 s2, 0, s0
	v_rcp_iflag_f32_e32 v1, v1
	v_mul_f32_e32 v1, 0x4f7ffffe, v1
	v_cvt_u32_f32_e32 v1, v1
	v_readfirstlane_b32 s1, v1
	s_mul_i32 s2, s2, s1
	s_mul_hi_u32 s2, s1, s2
	s_add_i32 s1, s1, s2
	s_xor_b32 s2, s9, s30
	s_mul_hi_u32 s1, s3, s1
	s_ashr_i32 s2, s2, 31
	s_mul_i32 s7, s1, s0
	s_sub_i32 s3, s3, s7
	s_add_i32 s7, s1, 1
	s_sub_i32 s10, s3, s0
	s_cmp_ge_u32 s3, s0
	s_cselect_b32 s1, s7, s1
	s_cselect_b32 s3, s10, s3
	s_add_i32 s7, s1, 1
	s_cmp_ge_u32 s3, s0
	s_cselect_b32 s0, s7, s1
	s_abs_i32 s16, s6
	s_xor_b32 s0, s0, s2
	s_sub_i32 s10, s0, s2
	s_load_dwordx2 s[0:1], s[4:5], 0x50
	s_abs_i32 s2, s10
	v_cvt_f32_u32_e32 v1, s2
	s_sub_i32 s7, 0, s2
	v_rcp_iflag_f32_e32 v1, v1
	v_mul_f32_e32 v1, 0x4f7ffffe, v1
	v_cvt_u32_f32_e32 v1, v1
	v_readfirstlane_b32 s3, v1
	s_mul_i32 s7, s7, s3
	s_mul_hi_u32 s7, s3, s7
	s_add_i32 s3, s3, s7
	s_waitcnt lgkmcnt(0)
	s_cmp_eq_u64 s[0:1], 0
	s_mul_hi_u32 s3, s16, s3
	s_cbranch_scc1 .LBB83_3
; %bb.2:
	s_ashr_i32 s7, s6, 31
	s_lshl_b64 s[12:13], s[6:7], 2
	s_add_u32 s0, s0, s12
	s_addc_u32 s1, s1, s13
	s_load_dword s34, s[0:1], 0x0
.LBB83_3:
	s_load_dwordx4 s[12:15], s[4:5], 0x58
	v_and_b32_e32 v1, 3, v0
	v_lshlrev_b32_e32 v2, 2, v0
	s_ashr_i32 s0, s6, 31
	s_ashr_i32 s1, s10, 31
	s_mul_i32 s10, s6, 0x50
	s_mov_b32 s7, exec_lo
	v_cmpx_gt_u32_e32 40, v0
	s_cbranch_execz .LBB83_5
; %bb.4:
	s_load_dwordx2 s[18:19], s[4:5], 0x18
	s_waitcnt lgkmcnt(0)
	s_mul_i32 s20, s12, s22
	v_and_b32_e32 v4, 0x3fc, v0
	s_ashr_i32 s21, s20, 31
	s_lshl_b64 s[20:21], s[20:21], 1
	v_mad_u32_u24 v4, v1, 40, v4
	s_add_u32 s12, s18, s20
	s_addc_u32 s15, s19, s21
	s_ashr_i32 s11, s10, 31
	s_lshl_b64 s[18:19], s[10:11], 1
	s_add_u32 s18, s12, s18
	s_addc_u32 s19, s15, s19
	global_load_dword v3, v2, s[18:19]
	s_waitcnt vmcnt(0)
	ds_write_b32 v4, v3
.LBB83_5:
	s_or_b32 exec_lo, exec_lo, s7
	s_add_i32 s7, s23, 7
	s_load_dwordx2 s[24:25], s[4:5], 0x38
	s_waitcnt lgkmcnt(0)
	s_load_dword s15, s[4:5], 0x48
	s_ashr_i32 s11, s7, 31
	s_lshl_b32 s30, s8, 6
	s_lshr_b32 s11, s11, 29
	s_xor_b32 s0, s0, s1
	s_add_i32 s7, s7, s11
	s_add_i32 s1, s30, 64
	s_ashr_i32 s12, s7, 3
	s_mul_i32 s7, s3, s2
	s_min_i32 s11, s1, s12
	s_sub_i32 s1, s16, s7
	s_add_i32 s7, s3, 1
	s_sub_i32 s16, s1, s2
	s_cmp_ge_u32 s1, s2
	v_lshrrev_b32_e32 v10, 5, v0
	s_cselect_b32 s3, s7, s3
	s_cselect_b32 s1, s16, s1
	s_add_i32 s7, s3, 1
	s_cmp_ge_u32 s1, s2
	v_or_b32_e32 v5, s30, v10
	s_cselect_b32 s1, s7, s3
	v_mbcnt_lo_u32_b32 v4, -1, 0
	s_xor_b32 s1, s1, s0
	s_waitcnt lgkmcnt(0)
	s_mul_i32 s26, s15, s22
	s_sub_i32 s1, s1, s0
	v_cmp_gt_i32_e64 s0, s11, v5
	s_ashr_i32 s27, s26, 31
	s_mov_b32 s2, exec_lo
	s_barrier
	buffer_gl0_inv
                                        ; implicit-def: $vgpr7
                                        ; implicit-def: $vgpr8
	v_cmpx_le_i32_e64 s11, v5
	s_xor_b32 s2, exec_lo, s2
; %bb.6:
	v_mov_b32_e32 v7, 0
	v_mbcnt_lo_u32_b32 v4, -1, 0
	v_mov_b32_e32 v8, 32
                                        ; implicit-def: $vgpr2
                                        ; implicit-def: $vgpr1
; %bb.7:
	s_or_saveexec_b32 s35, s2
	s_clause 0x3
	s_load_dwordx4 s[16:19], s[4:5], 0x0
	s_load_dwordx2 s[20:21], s[4:5], 0x10
	s_load_dwordx2 s[28:29], s[4:5], 0x28
	s_load_dword s7, s[4:5], 0x98
	v_mov_b32_e32 v9, 0xff7fffff
	v_ashrrev_i32_e32 v6, 31, v5
	v_lshlrev_b32_e32 v3, 3, v10
	s_mul_i32 s14, s1, s14
	s_xor_b32 exec_lo, exec_lo, s35
	s_cbranch_execz .LBB83_13
; %bb.8:
	s_load_dwordx2 s[2:3], s[4:5], 0x20
	v_bfe_u32 v8, v0, 2, 3
	s_ashr_i32 s15, s14, 31
	v_and_b32_e32 v14, 12, v2
	s_lshl_b64 s[4:5], s[14:15], 1
	v_mul_u32_u24_e32 v11, 40, v1
	v_lshlrev_b32_e32 v9, 2, v8
	v_lshlrev_b32_e32 v15, 4, v8
	v_add3_u32 v12, s33, v3, v8
	v_cmp_eq_u32_e32 vcc_lo, 0, v1
	v_lshlrev_b64 v[1:2], 2, v[5:6]
	v_lshl_or_b32 v9, v10, 5, v9
	v_mov_b32_e32 v7, 0
	v_cmp_neq_f32_e64 s1, s34, 0
	v_xor_b32_e32 v16, 2, v4
	v_xor_b32_e32 v17, 1, v4
	v_add_nc_u32_e32 v13, 0xc0, v9
	v_mov_b32_e32 v18, v5
	s_waitcnt lgkmcnt(0)
	s_add_u32 s15, s2, s4
	s_addc_u32 s5, s3, s5
	v_add_co_u32 v8, s15, s15, v15
	v_add_co_ci_u32_e64 v9, null, s5, 0, s15
	s_lshl_b64 s[2:3], s[26:27], 2
	s_sub_i32 s4, 1, s23
	s_add_u32 s5, s24, s2
	v_add_co_u32 v14, s2, v8, v14
	s_addc_u32 s3, s25, s3
	v_add_co_ci_u32_e64 v15, null, 0, v9, s2
	v_add_co_u32 v1, s2, s5, v1
	v_add_co_ci_u32_e64 v2, null, s3, v2, s2
	v_mov_b32_e32 v9, 0xff7fffff
	v_mov_b32_e32 v8, 32
	s_mov_b32 s15, s13
	s_mov_b32 s5, 0
	s_branch .LBB83_10
.LBB83_9:                               ;   in Loop: Header=BB83_10 Depth=1
	s_or_b32 exec_lo, exec_lo, s3
	v_add_nc_u32_e32 v18, 4, v18
	v_add_co_u32 v1, s3, v1, 16
	v_add_nc_u32_e32 v12, 32, v12
	v_add_nc_u32_e32 v13, 0x80, v13
	v_cmp_le_i32_e64 s2, s11, v18
	v_add_co_ci_u32_e64 v2, null, 0, v2, s3
	s_or_b32 s5, s2, s5
	s_andn2_b32 exec_lo, exec_lo, s5
	s_cbranch_execz .LBB83_12
.LBB83_10:                              ; =>This Inner Loop Header: Depth=1
	global_load_dword v19, v[1:2], off
	s_waitcnt vmcnt(0) lgkmcnt(0)
	v_mad_i64_i32 v[19:20], null, v19, s15, 0
	v_lshlrev_b64 v[19:20], 1, v[19:20]
	v_add_co_u32 v19, s2, v14, v19
	v_add_co_ci_u32_e64 v20, null, v15, v20, s2
	v_cmp_gt_i32_e64 s2, 32, v16
	s_clause 0x9
	global_load_dword v21, v[19:20], off
	global_load_dword v22, v[19:20], off offset:128
	global_load_dword v23, v[19:20], off offset:256
	;; [unrolled: 1-line block ×9, first 2 shown]
	ds_read_b32 v20, v11
	s_waitcnt lgkmcnt(0)
	v_and_b32_e32 v30, 0xffff, v20
	v_lshrrev_b32_e32 v31, 16, v20
	;;#ASMSTART
	v_cvt_f32_f16 v20, v30;
	;;#ASMEND
	s_waitcnt vmcnt(9)
	v_and_b32_e32 v32, 0xffff, v21
	v_lshrrev_b32_e32 v33, 16, v21
	;;#ASMSTART
	v_cvt_f32_f16 v21, v31;
	;;#ASMEND
	;;#ASMSTART
	v_cvt_f32_f16 v30, v32;
	;;#ASMEND
	;;#ASMSTART
	v_cvt_f32_f16 v31, v33;
	;;#ASMEND
	ds_read_b32 v32, v11 offset:4
	s_waitcnt vmcnt(8)
	v_and_b32_e32 v34, 0xffff, v22
	v_lshrrev_b32_e32 v35, 16, v22
	s_waitcnt vmcnt(7)
	v_and_b32_e32 v37, 0xffff, v23
	v_lshrrev_b32_e32 v38, 16, v23
	;; [unrolled: 3-line block ×7, first 2 shown]
	s_waitcnt lgkmcnt(0)
	v_and_b32_e32 v33, 0xffff, v32
	v_lshrrev_b32_e32 v32, 16, v32
	;;#ASMSTART
	v_cvt_f32_f16 v22, v33;
	;;#ASMEND
	;;#ASMSTART
	v_cvt_f32_f16 v32, v32;
	;;#ASMEND
	;; [unrolled: 3-line block ×4, first 2 shown]
	ds_read_b32 v35, v11 offset:8
	v_mul_f32_e32 v22, v22, v33
	v_mul_f32_e32 v32, v32, v34
	v_fmac_f32_e32 v22, v20, v30
	v_fmac_f32_e32 v32, v21, v31
	s_waitcnt vmcnt(1)
	v_lshrrev_b32_e32 v30, 16, v29
	s_waitcnt lgkmcnt(0)
	v_and_b32_e32 v36, 0xffff, v35
	v_lshrrev_b32_e32 v35, 16, v35
	;;#ASMSTART
	v_cvt_f32_f16 v23, v36;
	;;#ASMEND
	;;#ASMSTART
	v_cvt_f32_f16 v35, v35;
	;;#ASMEND
	;; [unrolled: 3-line block ×4, first 2 shown]
	ds_read_b32 v38, v11 offset:12
	v_fmac_f32_e32 v22, v23, v36
	v_fmac_f32_e32 v32, v35, v37
	v_and_b32_e32 v23, 0xffff, v29
	s_waitcnt lgkmcnt(0)
	v_and_b32_e32 v39, 0xffff, v38
	v_lshrrev_b32_e32 v38, 16, v38
	;;#ASMSTART
	v_cvt_f32_f16 v24, v39;
	;;#ASMEND
	;;#ASMSTART
	v_cvt_f32_f16 v38, v38;
	;;#ASMEND
	;; [unrolled: 3-line block ×4, first 2 shown]
	ds_read_b32 v41, v11 offset:16
	v_fmac_f32_e32 v22, v24, v39
	v_fmac_f32_e32 v32, v38, v40
	s_waitcnt lgkmcnt(0)
	v_and_b32_e32 v42, 0xffff, v41
	v_lshrrev_b32_e32 v41, 16, v41
	;;#ASMSTART
	v_cvt_f32_f16 v25, v42;
	;;#ASMEND
	;;#ASMSTART
	v_cvt_f32_f16 v41, v41;
	;;#ASMEND
	;; [unrolled: 3-line block ×4, first 2 shown]
	ds_read_b32 v44, v11 offset:20
	v_fmac_f32_e32 v22, v25, v42
	v_fmac_f32_e32 v32, v41, v43
	v_cndmask_b32_e64 v25, v4, v16, s2
	v_cmp_gt_i32_e64 s2, 32, v17
	s_waitcnt lgkmcnt(0)
	v_and_b32_e32 v45, 0xffff, v44
	v_lshrrev_b32_e32 v44, 16, v44
	;;#ASMSTART
	v_cvt_f32_f16 v26, v45;
	;;#ASMEND
	;;#ASMSTART
	v_cvt_f32_f16 v44, v44;
	;;#ASMEND
	;; [unrolled: 3-line block ×4, first 2 shown]
	ds_read_b32 v47, v11 offset:24
	v_fmac_f32_e32 v22, v26, v45
	v_fmac_f32_e32 v32, v44, v46
	s_waitcnt vmcnt(0)
	v_lshrrev_b32_e32 v26, 16, v19
	s_waitcnt lgkmcnt(0)
	v_and_b32_e32 v48, 0xffff, v47
	v_lshrrev_b32_e32 v47, 16, v47
	;;#ASMSTART
	v_cvt_f32_f16 v27, v48;
	;;#ASMEND
	;;#ASMSTART
	v_cvt_f32_f16 v47, v47;
	;;#ASMEND
	;;#ASMSTART
	v_cvt_f32_f16 v48, v49;
	;;#ASMEND
	;;#ASMSTART
	v_cvt_f32_f16 v49, v50;
	;;#ASMEND
	ds_read_b32 v50, v11 offset:28
	v_fmac_f32_e32 v22, v27, v48
	v_fmac_f32_e32 v32, v47, v49
	s_waitcnt lgkmcnt(0)
	v_and_b32_e32 v51, 0xffff, v50
	v_lshrrev_b32_e32 v50, 16, v50
	;;#ASMSTART
	v_cvt_f32_f16 v28, v51;
	;;#ASMEND
	;;#ASMSTART
	v_cvt_f32_f16 v50, v50;
	;;#ASMEND
	;;#ASMSTART
	v_cvt_f32_f16 v51, v52;
	;;#ASMEND
	;;#ASMSTART
	v_cvt_f32_f16 v52, v53;
	;;#ASMEND
	ds_read_b32 v53, v11 offset:32
	v_fmac_f32_e32 v22, v28, v51
	v_fmac_f32_e32 v32, v50, v52
	;; [unrolled: 18-line block ×3, first 2 shown]
	s_waitcnt lgkmcnt(0)
	v_and_b32_e32 v27, 0xffff, v29
	v_lshrrev_b32_e32 v28, 16, v29
	v_and_b32_e32 v29, 0xffff, v19
	;;#ASMSTART
	v_cvt_f32_f16 v19, v27;
	;;#ASMEND
	;;#ASMSTART
	v_cvt_f32_f16 v20, v28;
	;;#ASMEND
	;; [unrolled: 3-line block ×4, first 2 shown]
	v_fmac_f32_e32 v22, v19, v21
	v_fmac_f32_e32 v32, v20, v23
	v_lshlrev_b32_e32 v19, 2, v25
	v_cndmask_b32_e64 v21, v4, v17, s2
	v_add_f32_e32 v20, v22, v32
	ds_bpermute_b32 v19, v19, v20
	s_waitcnt lgkmcnt(0)
	v_add_f32_e32 v19, v20, v19
	v_lshlrev_b32_e32 v20, 2, v21
	ds_bpermute_b32 v20, v20, v19
	s_and_saveexec_b32 s3, vcc_lo
	s_cbranch_execz .LBB83_9
; %bb.11:                               ;   in Loop: Header=BB83_10 Depth=1
	v_add_nc_u32_e32 v21, s4, v12
	s_waitcnt lgkmcnt(0)
	v_add_f32_e32 v19, v19, v20
	v_cmp_gt_i32_e64 s2, s23, v12
	v_cvt_f32_i32_e32 v21, v21
	v_mul_f32_e32 v21, s34, v21
	v_cndmask_b32_e64 v20, 0, v21, s1
	v_max_f32_e32 v21, v9, v9
	v_fmac_f32_e32 v20, s31, v19
	v_max_f32_e32 v19, v21, v20
	v_cndmask_b32_e64 v20, 0, v20, s2
	v_cndmask_b32_e64 v9, v9, v19, s2
	ds_write_b32 v13, v20
	s_branch .LBB83_9
.LBB83_12:
	s_or_b32 exec_lo, exec_lo, s5
.LBB83_13:
	s_or_b32 exec_lo, exec_lo, s35
	v_xor_b32_e32 v1, 16, v4
	v_xor_b32_e32 v11, 8, v4
	v_max_f32_e32 v12, v9, v9
	v_lshlrev_b32_e32 v13, 2, v10
	v_cmp_lt_i32_e32 vcc_lo, v1, v8
	v_cndmask_b32_e32 v1, v4, v1, vcc_lo
	v_cmp_lt_i32_e32 vcc_lo, v11, v8
	v_lshlrev_b32_e32 v2, 2, v1
	ds_bpermute_b32 v1, v2, v9
	v_cndmask_b32_e32 v9, v4, v11, vcc_lo
	v_lshlrev_b32_e32 v9, 2, v9
	s_waitcnt lgkmcnt(0)
	v_max_f32_e32 v1, v1, v1
	v_max_f32_e32 v1, v12, v1
	v_xor_b32_e32 v12, 4, v4
	ds_bpermute_b32 v11, v9, v1
	v_cmp_lt_i32_e32 vcc_lo, v12, v8
	v_cndmask_b32_e32 v12, v4, v12, vcc_lo
	v_lshlrev_b32_e32 v15, 2, v12
	s_waitcnt lgkmcnt(0)
	v_max_f32_e32 v11, v11, v11
	v_max_f32_e32 v1, v1, v11
	v_and_b32_e32 v11, 31, v0
	ds_bpermute_b32 v12, v15, v1
	v_cmp_eq_u32_e32 vcc_lo, 0, v11
	s_and_saveexec_b32 s1, vcc_lo
	s_cbranch_execz .LBB83_15
; %bb.14:
	s_waitcnt lgkmcnt(0)
	v_max_f32_e32 v12, v12, v12
	v_max_f32_e32 v1, v1, v1
	;; [unrolled: 1-line block ×3, first 2 shown]
	ds_write_b32 v13, v1 offset:160
.LBB83_15:
	s_or_b32 exec_lo, exec_lo, s1
	v_cmp_gt_u32_e64 s1, 4, v11
	v_mov_b32_e32 v1, 0xff7fffff
	v_lshlrev_b32_e32 v14, 2, v11
	s_waitcnt lgkmcnt(0)
	s_barrier
	buffer_gl0_inv
	s_and_saveexec_b32 s2, s1
; %bb.16:
	ds_read_b32 v1, v14 offset:160
; %bb.17:
	s_or_b32 exec_lo, exec_lo, s2
	v_xor_b32_e32 v12, 2, v4
	v_xor_b32_e32 v17, 1, v4
	v_lshlrev_b32_e32 v7, 2, v7
	v_cmp_lt_i32_e64 s2, v12, v8
	v_cndmask_b32_e64 v12, v4, v12, s2
	v_cmp_lt_i32_e64 s2, v17, v8
	v_lshlrev_b32_e32 v16, 2, v12
	v_cndmask_b32_e64 v8, v4, v17, s2
	s_sub_i32 s2, s11, s30
	s_lshl_b32 s2, s2, 3
	s_waitcnt lgkmcnt(0)
	ds_bpermute_b32 v12, v16, v1
	v_max_f32_e32 v1, v1, v1
	v_lshlrev_b32_e32 v8, 2, v8
	s_add_i32 s2, s2, s33
	s_min_i32 s2, s2, s23
	s_sub_i32 s4, s2, s33
	v_cmp_gt_i32_e64 s2, s4, v0
	s_waitcnt lgkmcnt(0)
	v_max_f32_e32 v12, v12, v12
	v_max_f32_e32 v1, v1, v12
	ds_bpermute_b32 v12, v8, v1
	s_waitcnt lgkmcnt(0)
	v_max_f32_e32 v12, v12, v12
	v_max_f32_e32 v1, v1, v12
	v_lshl_add_u32 v12, v0, 2, 0xc0
	ds_bpermute_b32 v1, v7, v1
	v_mov_b32_e32 v7, 0
	s_and_saveexec_b32 s5, s2
	s_cbranch_execz .LBB83_21
; %bb.18:
	v_lshl_add_u32 v17, v0, 2, 0xc0
	v_mov_b32_e32 v7, 0
	v_mov_b32_e32 v18, v0
	s_mov_b32 s15, 0
	.p2align	6
.LBB83_19:                              ; =>This Inner Loop Header: Depth=1
	ds_read_b32 v19, v17
	v_add_nc_u32_e32 v18, 0x80, v18
	v_cmp_le_i32_e64 s3, s4, v18
	s_or_b32 s15, s3, s15
	s_waitcnt lgkmcnt(0)
	v_sub_f32_e32 v19, v19, v1
	v_mul_f32_e32 v19, 0x3fb8aa3b, v19
	v_exp_f32_e32 v19, v19
	ds_write_b32 v17, v19
	v_add_f32_e32 v7, v7, v19
	v_add_nc_u32_e32 v17, 0x200, v17
	s_andn2_b32 exec_lo, exec_lo, s15
	s_cbranch_execnz .LBB83_19
; %bb.20:
	s_or_b32 exec_lo, exec_lo, s15
.LBB83_21:
	s_or_b32 exec_lo, exec_lo, s5
	ds_bpermute_b32 v2, v2, v7
	s_waitcnt lgkmcnt(0)
	v_add_f32_e32 v2, v7, v2
	ds_bpermute_b32 v7, v9, v2
	s_waitcnt lgkmcnt(0)
	v_add_f32_e32 v2, v2, v7
	;; [unrolled: 3-line block ×5, first 2 shown]
	s_and_saveexec_b32 s3, vcc_lo
; %bb.22:
	ds_write_b32 v13, v2 offset:176
; %bb.23:
	s_or_b32 exec_lo, exec_lo, s3
	s_waitcnt lgkmcnt(0)
	s_barrier
	buffer_gl0_inv
	s_and_saveexec_b32 s3, s1
; %bb.24:
	ds_read_b32 v2, v14 offset:176
; %bb.25:
	s_or_b32 exec_lo, exec_lo, s3
	s_waitcnt lgkmcnt(0)
	ds_bpermute_b32 v7, v16, v2
	v_lshlrev_b32_e32 v4, 2, v4
	v_and_b32_e32 v4, 0xffffff80, v4
	s_waitcnt lgkmcnt(0)
	v_add_f32_e32 v2, v2, v7
	ds_bpermute_b32 v7, v8, v2
	s_waitcnt lgkmcnt(0)
	v_add_f32_e32 v2, v2, v7
	ds_bpermute_b32 v2, v4, v2
	s_and_saveexec_b32 s1, s2
	s_cbranch_execz .LBB83_28
; %bb.26:
	s_waitcnt lgkmcnt(0)
	v_add_f32_e32 v7, 0x358637bd, v2
	s_mov_b32 s2, 0
	v_div_scale_f32 v4, null, v7, v7, 1.0
	v_div_scale_f32 v13, vcc_lo, 1.0, v7, 1.0
	v_rcp_f32_e32 v8, v4
	v_fma_f32 v9, -v4, v8, 1.0
	v_fmac_f32_e32 v8, v9, v8
	v_mul_f32_e32 v9, v13, v8
	v_fma_f32 v14, -v4, v9, v13
	v_fmac_f32_e32 v9, v14, v8
	v_fma_f32 v4, -v4, v9, v13
	v_div_fmas_f32 v8, v4, v8, v9
	v_mov_b32_e32 v4, v12
	v_div_fixup_f32 v7, v8, v7, 1.0
	v_mov_b32_e32 v8, v0
.LBB83_27:                              ; =>This Inner Loop Header: Depth=1
	ds_read_b32 v9, v4
	v_add_nc_u32_e32 v8, 0x80, v8
	v_cmp_le_i32_e32 vcc_lo, s4, v8
	s_or_b32 s2, vcc_lo, s2
	s_waitcnt lgkmcnt(0)
	v_mul_f32_e32 v9, v7, v9
	ds_write_b32 v4, v9
	v_add_nc_u32_e32 v4, 0x200, v4
	s_andn2_b32 exec_lo, exec_lo, s2
	s_cbranch_execnz .LBB83_27
.LBB83_28:
	s_or_b32 exec_lo, exec_lo, s1
	s_mul_i32 s1, s7, s22
	s_waitcnt lgkmcnt(0)
	s_mul_i32 s4, s1, s9
	s_mov_b32 s1, exec_lo
	s_barrier
	buffer_gl0_inv
	v_cmpx_eq_u32_e32 0, v0
	s_cbranch_execz .LBB83_30
; %bb.29:
	s_ashr_i32 s5, s4, 31
	s_mul_i32 s30, s7, s6
	s_lshl_b64 s[2:3], s[4:5], 2
	v_mov_b32_e32 v4, 0
	s_add_u32 s5, s18, s2
	s_addc_u32 s6, s19, s3
	s_ashr_i32 s31, s30, 31
	s_lshl_b64 s[18:19], s[30:31], 2
	s_add_u32 s5, s5, s18
	s_addc_u32 s6, s6, s19
	s_ashr_i32 s9, s8, 31
	s_lshl_b64 s[30:31], s[8:9], 2
	s_add_u32 s34, s5, s30
	s_addc_u32 s35, s6, s31
	s_add_u32 s2, s16, s2
	s_addc_u32 s3, s17, s3
	;; [unrolled: 2-line block ×4, first 2 shown]
	global_store_dword v4, v1, s[34:35]
	global_store_dword v4, v2, s[2:3]
.LBB83_30:
	s_or_b32 exec_lo, exec_lo, s1
	v_mov_b32_e32 v15, 0
	v_or_b32_e32 v16, 64, v11
	v_mov_b32_e32 v14, 0
	v_mov_b32_e32 v13, 0
	s_and_saveexec_b32 s3, s0
	s_cbranch_execz .LBB83_42
; %bb.31:
	s_ashr_i32 s15, s14, 31
	v_lshlrev_b64 v[1:2], 2, v[5:6]
	s_lshl_b64 s[0:1], s[14:15], 1
	v_lshlrev_b32_e32 v4, 3, v11
	s_add_u32 s5, s28, s0
	s_addc_u32 s6, s29, s1
	s_lshl_b64 s[14:15], s[26:27], 2
	s_add_i32 s12, s12, -1
	v_lshlrev_b32_e32 v8, 3, v16
	s_add_u32 s1, s24, s14
	s_addc_u32 s2, s25, s15
	v_add_co_u32 v6, vcc_lo, s1, v1
	v_mov_b32_e32 v17, 0
	v_cmp_gt_u32_e64 s0, 0x50, v16
	v_add3_u32 v18, s33, v3, 7
	v_lshl_add_u32 v19, v10, 5, 0xc0
	v_add_co_ci_u32_e64 v7, null, s2, v2, vcc_lo
	v_lshlrev_b32_e32 v20, 1, v4
	v_lshlrev_b32_e32 v21, 1, v8
	v_mov_b32_e32 v13, 0
	v_mov_b32_e32 v14, 0
	;; [unrolled: 1-line block ×3, first 2 shown]
	s_mov_b32 s9, 0
	s_branch .LBB83_34
.LBB83_32:                              ;   in Loop: Header=BB83_34 Depth=1
	s_or_b32 exec_lo, exec_lo, s14
	v_lshlrev_b32_e32 v22, 16, v31
	v_lshlrev_b32_e32 v26, 16, v26
	;; [unrolled: 1-line block ×3, first 2 shown]
	v_and_or_b32 v1, 0xffff, v1, v22
	v_and_or_b32 v2, 0xffff, v2, v26
	v_and_or_b32 v3, 0xffff, v3, v25
	;;#ASMSTART
	v_pk_mul_f16 v1, v28, v1;

	;;#ASMEND
	;;#ASMSTART
	v_pk_mul_f16 v2, v27, v2;

	;;#ASMEND
	;; [unrolled: 4-line block ×4, first 2 shown]
	;;#ASMSTART
	v_pk_add_f16 v1, v1, v2;

	;;#ASMEND
	;;#ASMSTART
	v_pk_add_f16 v1, v1, v3;

	;;#ASMEND
	;; [unrolled: 4-line block ×3, first 2 shown]
	v_and_b32_e32 v2, 0xffff, v1
	v_lshrrev_b32_e32 v3, 16, v1
	;;#ASMSTART
	v_cvt_f32_f16 v1, v2;
	;;#ASMEND
	;;#ASMSTART
	v_cvt_f32_f16 v2, v3;
	;;#ASMEND
	v_add_f32_e32 v1, v1, v2
	v_add_f32_e32 v13, v13, v1
.LBB83_33:                              ;   in Loop: Header=BB83_34 Depth=1
	s_or_b32 exec_lo, exec_lo, s2
	v_add_nc_u32_e32 v5, 4, v5
	v_add_f32_e32 v1, v8, v9
	v_add_f32_e32 v2, v23, v24
	v_add_co_u32 v6, s1, v6, 16
	v_cmp_le_i32_e32 vcc_lo, s11, v5
	v_add_nc_u32_e32 v18, 32, v18
	v_add_f32_e32 v14, v14, v1
	v_add_f32_e32 v15, v15, v2
	v_add_nc_u32_e32 v19, 0x80, v19
	v_add_co_ci_u32_e64 v7, null, 0, v7, s1
	s_or_b32 s9, vcc_lo, s9
	s_andn2_b32 exec_lo, exec_lo, s9
	s_cbranch_execz .LBB83_41
.LBB83_34:                              ; =>This Inner Loop Header: Depth=1
	global_load_dword v8, v[6:7], off
	ds_read2_b64 v[1:4], v19 offset1:1
	ds_read2_b64 v[32:35], v19 offset0:2 offset1:3
	s_waitcnt lgkmcnt(1)
	;;#ASMSTART
	v_cvt_f16_f32 v28, v1;

	;;#ASMEND
	;;#ASMSTART
	v_cvt_f16_f32 v23, v2;

	;;#ASMEND
	;; [unrolled: 4-line block ×4, first 2 shown]
	s_waitcnt lgkmcnt(0)
	;;#ASMSTART
	v_cvt_f16_f32 v32, v32;

	;;#ASMEND
	;;#ASMSTART
	v_cvt_f16_f32 v29, v33;

	;;#ASMEND
	;; [unrolled: 4-line block ×4, first 2 shown]
	v_add_nc_u32_e32 v22, -7, v18
	v_cmp_eq_u32_e64 s1, s12, v5
	s_waitcnt vmcnt(0)
	v_mad_i64_i32 v[8:9], null, v8, s13, 0
	v_lshlrev_b64 v[8:9], 1, v[8:9]
	v_add_co_u32 v25, vcc_lo, s5, v8
	v_add_co_ci_u32_e64 v26, null, s6, v9, vcc_lo
	v_add_co_u32 v8, vcc_lo, v25, v20
	v_add_co_ci_u32_e64 v9, null, 0, v26, vcc_lo
	global_load_dwordx4 v[1:4], v[8:9], off
	s_waitcnt vmcnt(0)
	v_lshrrev_b32_e32 v35, 16, v1
	v_lshrrev_b32_e32 v34, 16, v2
	;; [unrolled: 1-line block ×3, first 2 shown]
	s_and_saveexec_b32 s14, s1
	s_cbranch_execz .LBB83_36
; %bb.35:                               ;   in Loop: Header=BB83_34 Depth=1
	v_add_nc_u32_e32 v36, -6, v18
	v_cmp_gt_i32_e32 vcc_lo, s23, v22
	v_add_nc_u32_e32 v37, -5, v18
	v_add_nc_u32_e32 v39, -1, v18
	;; [unrolled: 1-line block ×3, first 2 shown]
	v_cndmask_b32_e32 v1, 0, v1, vcc_lo
	v_cmp_gt_i32_e32 vcc_lo, s23, v36
	v_add_nc_u32_e32 v36, -3, v18
	v_cmp_gt_i32_e64 s2, s23, v38
	v_and_b32_e32 v38, 0xffff0000, v4
	v_cndmask_b32_e32 v35, 0, v35, vcc_lo
	v_cmp_gt_i32_e32 vcc_lo, s23, v37
	v_add_nc_u32_e32 v37, -2, v18
	v_cndmask_b32_e64 v34, 0, v34, s2
	v_cndmask_b32_e32 v2, 0, v2, vcc_lo
	v_cmp_gt_i32_e32 vcc_lo, s23, v39
	v_cndmask_b32_sdwa v4, v17, v4, vcc_lo dst_sel:DWORD dst_unused:UNUSED_PAD src0_sel:DWORD src1_sel:WORD_0
	v_cmp_gt_i32_e32 vcc_lo, s23, v18
	v_cndmask_b32_e32 v38, 0, v38, vcc_lo
	v_cmp_gt_i32_e32 vcc_lo, s23, v36
	v_or_b32_e32 v4, v4, v38
	v_cndmask_b32_e32 v3, 0, v3, vcc_lo
	v_cmp_gt_i32_e32 vcc_lo, s23, v37
	v_cndmask_b32_e32 v33, 0, v33, vcc_lo
.LBB83_36:                              ;   in Loop: Header=BB83_34 Depth=1
	s_or_b32 exec_lo, exec_lo, s14
	v_and_b32_e32 v28, 0xffff, v28
	v_and_b32_e32 v31, 0xffff, v31
	v_lshlrev_b32_e32 v35, 16, v35
	v_and_b32_e32 v32, 0xffff, v32
	v_and_b32_e32 v30, 0xffff, v30
	v_lshl_or_b32 v28, v23, 16, v28
	v_lshl_or_b32 v27, v27, 16, v31
	v_lshlrev_b32_e32 v23, 16, v34
	v_lshlrev_b32_e32 v31, 16, v33
	v_and_or_b32 v1, 0xffff, v1, v35
	;;#ASMSTART
	v_pk_mul_f16 v1, v28, v1;

	;;#ASMEND
	v_lshl_or_b32 v29, v29, 16, v32
	v_and_or_b32 v2, 0xffff, v2, v23
	v_and_or_b32 v3, 0xffff, v3, v31
	v_lshl_or_b32 v30, v24, 16, v30
	;;#ASMSTART
	v_pk_mul_f16 v2, v27, v2;

	;;#ASMEND
	;;#ASMSTART
	v_pk_mul_f16 v3, v29, v3;

	;;#ASMEND
	;; [unrolled: 4-line block ×3, first 2 shown]
	;;#ASMSTART
	v_pk_add_f16 v1, v1, v2;

	;;#ASMEND
	;;#ASMSTART
	v_pk_add_f16 v1, v1, v3;

	;;#ASMEND
	;;#ASMSTART
	v_pk_add_f16 v1, v1, v4;

	;;#ASMEND
	v_and_b32_e32 v2, 0xffff, v1
	v_lshrrev_b32_e32 v1, 16, v1
	;;#ASMSTART
	v_cvt_f32_f16 v23, v2;
	;;#ASMEND
	;;#ASMSTART
	v_cvt_f32_f16 v24, v1;
	;;#ASMEND
	global_load_dwordx4 v[1:4], v[8:9], off offset:512
	s_waitcnt vmcnt(0)
	v_lshrrev_b32_e32 v31, 16, v1
	v_lshrrev_b32_e32 v9, 16, v2
	;; [unrolled: 1-line block ×3, first 2 shown]
	s_and_saveexec_b32 s14, s1
	s_cbranch_execz .LBB83_38
; %bb.37:                               ;   in Loop: Header=BB83_34 Depth=1
	v_add_nc_u32_e32 v32, -6, v18
	v_cmp_gt_i32_e32 vcc_lo, s23, v22
	v_add_nc_u32_e32 v33, -5, v18
	v_add_nc_u32_e32 v35, -1, v18
	;; [unrolled: 1-line block ×3, first 2 shown]
	v_cndmask_b32_e32 v1, 0, v1, vcc_lo
	v_cmp_gt_i32_e32 vcc_lo, s23, v32
	v_add_nc_u32_e32 v32, -3, v18
	v_cmp_gt_i32_e64 s2, s23, v34
	v_and_b32_e32 v34, 0xffff0000, v4
	v_cndmask_b32_e32 v31, 0, v31, vcc_lo
	v_cmp_gt_i32_e32 vcc_lo, s23, v33
	v_add_nc_u32_e32 v33, -2, v18
	v_cndmask_b32_e64 v9, 0, v9, s2
	v_cndmask_b32_e32 v2, 0, v2, vcc_lo
	v_cmp_gt_i32_e32 vcc_lo, s23, v35
	v_cndmask_b32_sdwa v4, v17, v4, vcc_lo dst_sel:DWORD dst_unused:UNUSED_PAD src0_sel:DWORD src1_sel:WORD_0
	v_cmp_gt_i32_e32 vcc_lo, s23, v18
	v_cndmask_b32_e32 v34, 0, v34, vcc_lo
	v_cmp_gt_i32_e32 vcc_lo, s23, v32
	v_or_b32_e32 v4, v4, v34
	v_cndmask_b32_e32 v3, 0, v3, vcc_lo
	v_cmp_gt_i32_e32 vcc_lo, s23, v33
	v_cndmask_b32_e32 v8, 0, v8, vcc_lo
.LBB83_38:                              ;   in Loop: Header=BB83_34 Depth=1
	s_or_b32 exec_lo, exec_lo, s14
	v_lshlrev_b32_e32 v31, 16, v31
	v_lshlrev_b32_e32 v9, 16, v9
	;; [unrolled: 1-line block ×3, first 2 shown]
	v_and_or_b32 v1, 0xffff, v1, v31
	v_and_or_b32 v2, 0xffff, v2, v9
	;; [unrolled: 1-line block ×3, first 2 shown]
	;;#ASMSTART
	v_pk_mul_f16 v1, v28, v1;

	;;#ASMEND
	;;#ASMSTART
	v_pk_mul_f16 v2, v27, v2;

	;;#ASMEND
	;; [unrolled: 4-line block ×4, first 2 shown]
	;;#ASMSTART
	v_pk_add_f16 v1, v1, v2;

	;;#ASMEND
	;;#ASMSTART
	v_pk_add_f16 v1, v1, v3;

	;;#ASMEND
	;; [unrolled: 4-line block ×3, first 2 shown]
	v_and_b32_e32 v2, 0xffff, v1
	v_lshrrev_b32_e32 v1, 16, v1
	;;#ASMSTART
	v_cvt_f32_f16 v8, v2;
	;;#ASMEND
	;;#ASMSTART
	v_cvt_f32_f16 v9, v1;
	;;#ASMEND
	s_and_saveexec_b32 s2, s0
	s_cbranch_execz .LBB83_33
; %bb.39:                               ;   in Loop: Header=BB83_34 Depth=1
	v_add_co_u32 v1, vcc_lo, v25, v21
	v_add_co_ci_u32_e64 v2, null, 0, v26, vcc_lo
	global_load_dwordx4 v[1:4], v[1:2], off
	s_waitcnt vmcnt(0)
	v_lshrrev_b32_e32 v31, 16, v1
	v_lshrrev_b32_e32 v26, 16, v2
	;; [unrolled: 1-line block ×3, first 2 shown]
	s_and_saveexec_b32 s14, s1
	s_cbranch_execz .LBB83_32
; %bb.40:                               ;   in Loop: Header=BB83_34 Depth=1
	v_add_nc_u32_e32 v32, -6, v18
	v_cmp_gt_i32_e32 vcc_lo, s23, v22
	v_add_nc_u32_e32 v22, -5, v18
	v_add_nc_u32_e32 v34, -1, v18
	v_add_nc_u32_e32 v33, -4, v18
	v_cndmask_b32_e32 v1, 0, v1, vcc_lo
	v_cmp_gt_i32_e32 vcc_lo, s23, v32
	v_add_nc_u32_e32 v32, -2, v18
	v_cmp_gt_i32_e64 s1, s23, v33
	v_and_b32_e32 v33, 0xffff0000, v4
	v_cndmask_b32_e32 v31, 0, v31, vcc_lo
	v_cmp_gt_i32_e32 vcc_lo, s23, v22
	v_add_nc_u32_e32 v22, -3, v18
	v_cndmask_b32_e64 v26, 0, v26, s1
	v_cndmask_b32_e32 v2, 0, v2, vcc_lo
	v_cmp_gt_i32_e32 vcc_lo, s23, v34
	v_cndmask_b32_sdwa v4, v17, v4, vcc_lo dst_sel:DWORD dst_unused:UNUSED_PAD src0_sel:DWORD src1_sel:WORD_0
	v_cmp_gt_i32_e32 vcc_lo, s23, v18
	v_cndmask_b32_e32 v33, 0, v33, vcc_lo
	v_cmp_gt_i32_e32 vcc_lo, s23, v22
	v_or_b32_e32 v4, v4, v33
	v_cndmask_b32_e32 v3, 0, v3, vcc_lo
	v_cmp_gt_i32_e32 vcc_lo, s23, v32
	v_cndmask_b32_e32 v25, 0, v25, vcc_lo
	s_branch .LBB83_32
.LBB83_41:
	s_or_b32 exec_lo, exec_lo, s9
.LBB83_42:
	s_or_b32 exec_lo, exec_lo, s3
	s_movk_i32 s0, 0x140
	v_and_b32_e32 v2, 0x3c0, v0
	v_mad_u32_u24 v1, v10, s0, 0xc0
	s_mov_b32 s0, exec_lo
	s_waitcnt_vscnt null, 0x0
	s_barrier
	buffer_gl0_inv
	v_cmpx_eq_u32_e32 64, v2
	s_cbranch_execz .LBB83_45
; %bb.43:
	v_add_nc_u32_e32 v2, 0xfffffd80, v1
	v_cmp_gt_u32_e32 vcc_lo, 0x50, v16
	v_lshl_add_u32 v3, v11, 2, v2
	ds_write2_b32 v3, v15, v14 offset1:32
	s_and_b32 exec_lo, exec_lo, vcc_lo
; %bb.44:
	v_lshl_add_u32 v2, v16, 2, v2
	ds_write_b32 v2, v13
.LBB83_45:
	s_or_b32 exec_lo, exec_lo, s0
	v_lshl_add_u32 v2, v11, 2, v1
	s_mov_b32 s0, exec_lo
	s_waitcnt lgkmcnt(0)
	s_barrier
	buffer_gl0_inv
	v_cmpx_gt_u32_e32 64, v0
	s_cbranch_execz .LBB83_49
; %bb.46:
	v_lshl_or_b32 v3, v0, 2, 0x80
	s_mov_b32 s1, exec_lo
	v_add_nc_u32_e32 v4, v1, v3
	ds_read_b32 v3, v2
	ds_read_b32 v4, v4
	v_cmpx_gt_u32_e32 0x50, v16
	s_cbranch_execz .LBB83_48
; %bb.47:
	ds_read_b32 v5, v2 offset:256
	s_waitcnt lgkmcnt(0)
	v_add_f32_e32 v13, v13, v5
.LBB83_48:
	s_or_b32 exec_lo, exec_lo, s1
	s_waitcnt lgkmcnt(1)
	v_add_f32_e32 v15, v15, v3
	s_waitcnt lgkmcnt(0)
	v_add_f32_e32 v14, v14, v4
.LBB83_49:
	s_or_b32 exec_lo, exec_lo, s0
	v_and_b32_e32 v3, 0x3e0, v0
	s_mov_b32 s0, exec_lo
	s_barrier
	buffer_gl0_inv
	v_cmpx_eq_u32_e32 32, v3
	s_cbranch_execz .LBB83_52
; %bb.50:
	v_lshl_add_u32 v3, v11, 2, 0xc0
	v_cmp_gt_u32_e32 vcc_lo, 0x50, v16
	ds_write_b32 v3, v15
	ds_write_b32 v12, v14
	s_and_b32 exec_lo, exec_lo, vcc_lo
; %bb.51:
	ds_write_b32 v3, v13 offset:256
.LBB83_52:
	s_or_b32 exec_lo, exec_lo, s0
	v_cmp_gt_u32_e32 vcc_lo, 32, v0
	v_or_b32_e32 v3, 64, v0
	s_waitcnt lgkmcnt(0)
	s_barrier
	buffer_gl0_inv
	s_and_saveexec_b32 s1, vcc_lo
	s_cbranch_execz .LBB83_56
; %bb.53:
	v_lshl_add_u32 v4, v0, 2, v1
	s_mov_b32 s2, exec_lo
	ds_read_b32 v1, v2
	ds_read_b32 v2, v4 offset:128
	v_cmpx_gt_u32_e32 0x50, v3
	s_cbranch_execz .LBB83_55
; %bb.54:
	ds_read_b32 v4, v4 offset:256
	s_waitcnt lgkmcnt(0)
	v_add_f32_e32 v13, v13, v4
.LBB83_55:
	s_or_b32 exec_lo, exec_lo, s2
	s_waitcnt lgkmcnt(1)
	v_add_f32_e32 v15, v15, v1
	s_waitcnt lgkmcnt(0)
	v_add_f32_e32 v14, v14, v2
.LBB83_56:
	s_or_b32 exec_lo, exec_lo, s1
	s_barrier
	buffer_gl0_inv
	s_and_saveexec_b32 s0, vcc_lo
	s_cbranch_execz .LBB83_59
; %bb.57:
	s_mul_i32 s0, s4, 0x50
	s_mul_i32 s2, s7, s10
	s_ashr_i32 s1, s0, 31
	v_lshlrev_b32_e32 v0, 1, v0
	s_lshl_b64 s[0:1], s[0:1], 1
	v_cmp_gt_u32_e32 vcc_lo, 0x50, v3
	s_add_u32 s4, s20, s0
	s_addc_u32 s5, s21, s1
	s_ashr_i32 s3, s2, 31
	;;#ASMSTART
	v_cvt_f16_f32 v1, v15;

	;;#ASMEND
	s_lshl_b64 s[0:1], s[2:3], 1
	s_mul_i32 s2, s8, 0x50
	s_add_u32 s4, s4, s0
	s_addc_u32 s5, s5, s1
	s_ashr_i32 s3, s2, 31
	s_lshl_b64 s[0:1], s[2:3], 1
	s_add_u32 s0, s4, s0
	s_addc_u32 s1, s5, s1
	global_store_short v0, v1, s[0:1]
	;;#ASMSTART
	v_cvt_f16_f32 v1, v14;

	;;#ASMEND
	global_store_short v0, v1, s[0:1] offset:64
	s_and_b32 exec_lo, exec_lo, vcc_lo
	s_cbranch_execz .LBB83_59
; %bb.58:
	v_add_co_u32 v0, s0, s0, v0
	v_add_co_ci_u32_e64 v1, null, s1, 0, s0
	;;#ASMSTART
	v_cvt_f16_f32 v2, v13;

	;;#ASMEND
	global_store_short v[0:1], v2, off offset:128
.LBB83_59:
	s_endpgm
	.section	.rodata,"a",@progbits
	.p2align	6, 0x0
	.amdhsa_kernel _ZN4vllm25paged_attention_v2_kernelIttLi80ELi8ELi128ELNS_18Fp8KVCacheDataTypeE0ELb0ELi512EEEvPfS2_PT_PKS3_PKT0_S9_ifPKiSB_iPKfiiiSD_SD_iiiii
		.amdhsa_group_segment_fixed_size 192
		.amdhsa_private_segment_fixed_size 0
		.amdhsa_kernarg_size 400
		.amdhsa_user_sgpr_count 6
		.amdhsa_user_sgpr_private_segment_buffer 1
		.amdhsa_user_sgpr_dispatch_ptr 0
		.amdhsa_user_sgpr_queue_ptr 0
		.amdhsa_user_sgpr_kernarg_segment_ptr 1
		.amdhsa_user_sgpr_dispatch_id 0
		.amdhsa_user_sgpr_flat_scratch_init 0
		.amdhsa_user_sgpr_private_segment_size 0
		.amdhsa_wavefront_size32 1
		.amdhsa_uses_dynamic_stack 0
		.amdhsa_system_sgpr_private_segment_wavefront_offset 0
		.amdhsa_system_sgpr_workgroup_id_x 1
		.amdhsa_system_sgpr_workgroup_id_y 1
		.amdhsa_system_sgpr_workgroup_id_z 1
		.amdhsa_system_sgpr_workgroup_info 0
		.amdhsa_system_vgpr_workitem_id 0
		.amdhsa_next_free_vgpr 54
		.amdhsa_next_free_sgpr 36
		.amdhsa_reserve_vcc 1
		.amdhsa_reserve_flat_scratch 0
		.amdhsa_float_round_mode_32 0
		.amdhsa_float_round_mode_16_64 0
		.amdhsa_float_denorm_mode_32 3
		.amdhsa_float_denorm_mode_16_64 3
		.amdhsa_dx10_clamp 1
		.amdhsa_ieee_mode 1
		.amdhsa_fp16_overflow 0
		.amdhsa_workgroup_processor_mode 1
		.amdhsa_memory_ordered 1
		.amdhsa_forward_progress 1
		.amdhsa_shared_vgpr_count 0
		.amdhsa_exception_fp_ieee_invalid_op 0
		.amdhsa_exception_fp_denorm_src 0
		.amdhsa_exception_fp_ieee_div_zero 0
		.amdhsa_exception_fp_ieee_overflow 0
		.amdhsa_exception_fp_ieee_underflow 0
		.amdhsa_exception_fp_ieee_inexact 0
		.amdhsa_exception_int_div_zero 0
	.end_amdhsa_kernel
	.section	.text._ZN4vllm25paged_attention_v2_kernelIttLi80ELi8ELi128ELNS_18Fp8KVCacheDataTypeE0ELb0ELi512EEEvPfS2_PT_PKS3_PKT0_S9_ifPKiSB_iPKfiiiSD_SD_iiiii,"axG",@progbits,_ZN4vllm25paged_attention_v2_kernelIttLi80ELi8ELi128ELNS_18Fp8KVCacheDataTypeE0ELb0ELi512EEEvPfS2_PT_PKS3_PKT0_S9_ifPKiSB_iPKfiiiSD_SD_iiiii,comdat
.Lfunc_end83:
	.size	_ZN4vllm25paged_attention_v2_kernelIttLi80ELi8ELi128ELNS_18Fp8KVCacheDataTypeE0ELb0ELi512EEEvPfS2_PT_PKS3_PKT0_S9_ifPKiSB_iPKfiiiSD_SD_iiiii, .Lfunc_end83-_ZN4vllm25paged_attention_v2_kernelIttLi80ELi8ELi128ELNS_18Fp8KVCacheDataTypeE0ELb0ELi512EEEvPfS2_PT_PKS3_PKT0_S9_ifPKiSB_iPKfiiiSD_SD_iiiii
                                        ; -- End function
	.set _ZN4vllm25paged_attention_v2_kernelIttLi80ELi8ELi128ELNS_18Fp8KVCacheDataTypeE0ELb0ELi512EEEvPfS2_PT_PKS3_PKT0_S9_ifPKiSB_iPKfiiiSD_SD_iiiii.num_vgpr, 54
	.set _ZN4vllm25paged_attention_v2_kernelIttLi80ELi8ELi128ELNS_18Fp8KVCacheDataTypeE0ELb0ELi512EEEvPfS2_PT_PKS3_PKT0_S9_ifPKiSB_iPKfiiiSD_SD_iiiii.num_agpr, 0
	.set _ZN4vllm25paged_attention_v2_kernelIttLi80ELi8ELi128ELNS_18Fp8KVCacheDataTypeE0ELb0ELi512EEEvPfS2_PT_PKS3_PKT0_S9_ifPKiSB_iPKfiiiSD_SD_iiiii.numbered_sgpr, 36
	.set _ZN4vllm25paged_attention_v2_kernelIttLi80ELi8ELi128ELNS_18Fp8KVCacheDataTypeE0ELb0ELi512EEEvPfS2_PT_PKS3_PKT0_S9_ifPKiSB_iPKfiiiSD_SD_iiiii.num_named_barrier, 0
	.set _ZN4vllm25paged_attention_v2_kernelIttLi80ELi8ELi128ELNS_18Fp8KVCacheDataTypeE0ELb0ELi512EEEvPfS2_PT_PKS3_PKT0_S9_ifPKiSB_iPKfiiiSD_SD_iiiii.private_seg_size, 0
	.set _ZN4vllm25paged_attention_v2_kernelIttLi80ELi8ELi128ELNS_18Fp8KVCacheDataTypeE0ELb0ELi512EEEvPfS2_PT_PKS3_PKT0_S9_ifPKiSB_iPKfiiiSD_SD_iiiii.uses_vcc, 1
	.set _ZN4vllm25paged_attention_v2_kernelIttLi80ELi8ELi128ELNS_18Fp8KVCacheDataTypeE0ELb0ELi512EEEvPfS2_PT_PKS3_PKT0_S9_ifPKiSB_iPKfiiiSD_SD_iiiii.uses_flat_scratch, 0
	.set _ZN4vllm25paged_attention_v2_kernelIttLi80ELi8ELi128ELNS_18Fp8KVCacheDataTypeE0ELb0ELi512EEEvPfS2_PT_PKS3_PKT0_S9_ifPKiSB_iPKfiiiSD_SD_iiiii.has_dyn_sized_stack, 0
	.set _ZN4vllm25paged_attention_v2_kernelIttLi80ELi8ELi128ELNS_18Fp8KVCacheDataTypeE0ELb0ELi512EEEvPfS2_PT_PKS3_PKT0_S9_ifPKiSB_iPKfiiiSD_SD_iiiii.has_recursion, 0
	.set _ZN4vllm25paged_attention_v2_kernelIttLi80ELi8ELi128ELNS_18Fp8KVCacheDataTypeE0ELb0ELi512EEEvPfS2_PT_PKS3_PKT0_S9_ifPKiSB_iPKfiiiSD_SD_iiiii.has_indirect_call, 0
	.section	.AMDGPU.csdata,"",@progbits
; Kernel info:
; codeLenInByte = 5836
; TotalNumSgprs: 38
; NumVgprs: 54
; ScratchSize: 0
; MemoryBound: 0
; FloatMode: 240
; IeeeMode: 1
; LDSByteSize: 192 bytes/workgroup (compile time only)
; SGPRBlocks: 0
; VGPRBlocks: 6
; NumSGPRsForWavesPerEU: 38
; NumVGPRsForWavesPerEU: 54
; Occupancy: 16
; WaveLimiterHint : 1
; COMPUTE_PGM_RSRC2:SCRATCH_EN: 0
; COMPUTE_PGM_RSRC2:USER_SGPR: 6
; COMPUTE_PGM_RSRC2:TRAP_HANDLER: 0
; COMPUTE_PGM_RSRC2:TGID_X_EN: 1
; COMPUTE_PGM_RSRC2:TGID_Y_EN: 1
; COMPUTE_PGM_RSRC2:TGID_Z_EN: 1
; COMPUTE_PGM_RSRC2:TIDIG_COMP_CNT: 0
	.section	.text._ZN4vllm25paged_attention_v2_kernelIttLi96ELi8ELi128ELNS_18Fp8KVCacheDataTypeE0ELb0ELi512EEEvPfS2_PT_PKS3_PKT0_S9_ifPKiSB_iPKfiiiSD_SD_iiiii,"axG",@progbits,_ZN4vllm25paged_attention_v2_kernelIttLi96ELi8ELi128ELNS_18Fp8KVCacheDataTypeE0ELb0ELi512EEEvPfS2_PT_PKS3_PKT0_S9_ifPKiSB_iPKfiiiSD_SD_iiiii,comdat
	.protected	_ZN4vllm25paged_attention_v2_kernelIttLi96ELi8ELi128ELNS_18Fp8KVCacheDataTypeE0ELb0ELi512EEEvPfS2_PT_PKS3_PKT0_S9_ifPKiSB_iPKfiiiSD_SD_iiiii ; -- Begin function _ZN4vllm25paged_attention_v2_kernelIttLi96ELi8ELi128ELNS_18Fp8KVCacheDataTypeE0ELb0ELi512EEEvPfS2_PT_PKS3_PKT0_S9_ifPKiSB_iPKfiiiSD_SD_iiiii
	.globl	_ZN4vllm25paged_attention_v2_kernelIttLi96ELi8ELi128ELNS_18Fp8KVCacheDataTypeE0ELb0ELi512EEEvPfS2_PT_PKS3_PKT0_S9_ifPKiSB_iPKfiiiSD_SD_iiiii
	.p2align	8
	.type	_ZN4vllm25paged_attention_v2_kernelIttLi96ELi8ELi128ELNS_18Fp8KVCacheDataTypeE0ELb0ELi512EEEvPfS2_PT_PKS3_PKT0_S9_ifPKiSB_iPKfiiiSD_SD_iiiii,@function
_ZN4vllm25paged_attention_v2_kernelIttLi96ELi8ELi128ELNS_18Fp8KVCacheDataTypeE0ELb0ELi512EEEvPfS2_PT_PKS3_PKT0_S9_ifPKiSB_iPKfiiiSD_SD_iiiii: ; @_ZN4vllm25paged_attention_v2_kernelIttLi96ELi8ELi128ELNS_18Fp8KVCacheDataTypeE0ELb0ELi512EEEvPfS2_PT_PKS3_PKT0_S9_ifPKiSB_iPKfiiiSD_SD_iiiii
; %bb.0:
	s_load_dwordx2 s[0:1], s[4:5], 0x40
	s_mov_b32 s22, s7
	s_ashr_i32 s23, s7, 31
	s_lshl_b64 s[2:3], s[22:23], 2
	s_waitcnt lgkmcnt(0)
	s_add_u32 s0, s0, s2
	s_addc_u32 s1, s1, s3
	s_lshl_b32 s33, s8, 9
	s_load_dword s23, s[0:1], 0x0
	s_waitcnt lgkmcnt(0)
	s_cmp_ge_i32 s33, s23
	s_cbranch_scc1 .LBB84_50
; %bb.1:
	s_clause 0x1
	s_load_dword s9, s[4:5], 0x90
	s_load_dwordx2 s[30:31], s[4:5], 0x30
	s_mov_b32 s34, 0
	s_waitcnt lgkmcnt(0)
	s_abs_i32 s3, s9
	s_abs_i32 s0, s30
	v_cvt_f32_u32_e32 v1, s0
	s_sub_i32 s2, 0, s0
	v_rcp_iflag_f32_e32 v1, v1
	v_mul_f32_e32 v1, 0x4f7ffffe, v1
	v_cvt_u32_f32_e32 v1, v1
	v_readfirstlane_b32 s1, v1
	s_mul_i32 s2, s2, s1
	s_mul_hi_u32 s2, s1, s2
	s_add_i32 s1, s1, s2
	s_xor_b32 s2, s9, s30
	s_mul_hi_u32 s1, s3, s1
	s_ashr_i32 s2, s2, 31
	s_mul_i32 s7, s1, s0
	s_sub_i32 s3, s3, s7
	s_add_i32 s7, s1, 1
	s_sub_i32 s10, s3, s0
	s_cmp_ge_u32 s3, s0
	s_cselect_b32 s1, s7, s1
	s_cselect_b32 s3, s10, s3
	s_add_i32 s7, s1, 1
	s_cmp_ge_u32 s3, s0
	s_cselect_b32 s0, s7, s1
	s_abs_i32 s16, s6
	s_xor_b32 s0, s0, s2
	s_sub_i32 s10, s0, s2
	s_load_dwordx2 s[0:1], s[4:5], 0x50
	s_abs_i32 s2, s10
	v_cvt_f32_u32_e32 v1, s2
	s_sub_i32 s7, 0, s2
	v_rcp_iflag_f32_e32 v1, v1
	v_mul_f32_e32 v1, 0x4f7ffffe, v1
	v_cvt_u32_f32_e32 v1, v1
	v_readfirstlane_b32 s3, v1
	s_mul_i32 s7, s7, s3
	s_mul_hi_u32 s7, s3, s7
	s_add_i32 s3, s3, s7
	s_waitcnt lgkmcnt(0)
	s_cmp_eq_u64 s[0:1], 0
	s_mul_hi_u32 s3, s16, s3
	s_cbranch_scc1 .LBB84_3
; %bb.2:
	s_ashr_i32 s7, s6, 31
	s_lshl_b64 s[12:13], s[6:7], 2
	s_add_u32 s0, s0, s12
	s_addc_u32 s1, s1, s13
	s_load_dword s34, s[0:1], 0x0
.LBB84_3:
	s_load_dwordx4 s[12:15], s[4:5], 0x58
	v_and_b32_e32 v1, 3, v0
	v_lshlrev_b32_e32 v2, 2, v0
	s_ashr_i32 s0, s6, 31
	s_ashr_i32 s1, s10, 31
	s_mul_i32 s10, s6, 0x60
	s_mov_b32 s7, exec_lo
	v_cmpx_gt_u32_e32 48, v0
	s_cbranch_execz .LBB84_5
; %bb.4:
	s_load_dwordx2 s[18:19], s[4:5], 0x18
	s_waitcnt lgkmcnt(0)
	s_mul_i32 s20, s12, s22
	v_and_b32_e32 v4, 0x3fc, v0
	s_ashr_i32 s21, s20, 31
	s_lshl_b64 s[20:21], s[20:21], 1
	v_mad_u32_u24 v4, v1, 48, v4
	s_add_u32 s12, s18, s20
	s_addc_u32 s15, s19, s21
	s_ashr_i32 s11, s10, 31
	s_lshl_b64 s[18:19], s[10:11], 1
	s_add_u32 s18, s12, s18
	s_addc_u32 s19, s15, s19
	global_load_dword v3, v2, s[18:19]
	s_waitcnt vmcnt(0)
	ds_write_b32 v4, v3
.LBB84_5:
	s_or_b32 exec_lo, exec_lo, s7
	s_add_i32 s7, s23, 7
	s_load_dwordx2 s[24:25], s[4:5], 0x38
	s_waitcnt lgkmcnt(0)
	s_load_dword s15, s[4:5], 0x48
	s_ashr_i32 s11, s7, 31
	s_lshl_b32 s30, s8, 6
	s_lshr_b32 s11, s11, 29
	s_xor_b32 s0, s0, s1
	s_add_i32 s7, s7, s11
	s_add_i32 s1, s30, 64
	s_ashr_i32 s12, s7, 3
	s_mul_i32 s7, s3, s2
	s_min_i32 s11, s1, s12
	s_sub_i32 s1, s16, s7
	s_add_i32 s7, s3, 1
	s_sub_i32 s16, s1, s2
	s_cmp_ge_u32 s1, s2
	v_lshrrev_b32_e32 v10, 5, v0
	s_cselect_b32 s3, s7, s3
	s_cselect_b32 s1, s16, s1
	s_add_i32 s7, s3, 1
	s_cmp_ge_u32 s1, s2
	v_or_b32_e32 v5, s30, v10
	s_cselect_b32 s1, s7, s3
	v_mbcnt_lo_u32_b32 v4, -1, 0
	s_xor_b32 s1, s1, s0
	s_waitcnt lgkmcnt(0)
	s_mul_i32 s26, s15, s22
	s_sub_i32 s1, s1, s0
	v_cmp_gt_i32_e64 s0, s11, v5
	s_ashr_i32 s27, s26, 31
	s_mov_b32 s2, exec_lo
	s_barrier
	buffer_gl0_inv
                                        ; implicit-def: $vgpr7
                                        ; implicit-def: $vgpr8
	v_cmpx_le_i32_e64 s11, v5
	s_xor_b32 s2, exec_lo, s2
; %bb.6:
	v_mov_b32_e32 v7, 0
	v_mbcnt_lo_u32_b32 v4, -1, 0
	v_mov_b32_e32 v8, 32
                                        ; implicit-def: $vgpr2
                                        ; implicit-def: $vgpr1
; %bb.7:
	s_or_saveexec_b32 s35, s2
	s_clause 0x3
	s_load_dwordx4 s[16:19], s[4:5], 0x0
	s_load_dwordx2 s[20:21], s[4:5], 0x10
	s_load_dwordx2 s[28:29], s[4:5], 0x28
	s_load_dword s7, s[4:5], 0x98
	v_mov_b32_e32 v9, 0xff7fffff
	v_ashrrev_i32_e32 v6, 31, v5
	v_lshlrev_b32_e32 v3, 3, v10
	s_mul_i32 s14, s1, s14
	s_xor_b32 exec_lo, exec_lo, s35
	s_cbranch_execz .LBB84_13
; %bb.8:
	s_load_dwordx2 s[2:3], s[4:5], 0x20
	v_bfe_u32 v8, v0, 2, 3
	s_ashr_i32 s15, s14, 31
	v_and_b32_e32 v14, 12, v2
	s_lshl_b64 s[4:5], s[14:15], 1
	v_mul_u32_u24_e32 v11, 48, v1
	v_lshlrev_b32_e32 v9, 2, v8
	v_lshlrev_b32_e32 v15, 4, v8
	v_add3_u32 v12, s33, v3, v8
	v_cmp_eq_u32_e32 vcc_lo, 0, v1
	v_lshlrev_b64 v[1:2], 2, v[5:6]
	v_lshl_or_b32 v9, v10, 5, v9
	v_mov_b32_e32 v7, 0
	v_cmp_neq_f32_e64 s1, s34, 0
	v_xor_b32_e32 v16, 2, v4
	v_xor_b32_e32 v17, 1, v4
	v_add_nc_u32_e32 v13, 0xe0, v9
	v_mov_b32_e32 v18, v5
	s_waitcnt lgkmcnt(0)
	s_add_u32 s15, s2, s4
	s_addc_u32 s5, s3, s5
	v_add_co_u32 v8, s15, s15, v15
	v_add_co_ci_u32_e64 v9, null, s5, 0, s15
	s_lshl_b64 s[2:3], s[26:27], 2
	s_sub_i32 s4, 1, s23
	s_add_u32 s5, s24, s2
	v_add_co_u32 v14, s2, v8, v14
	s_addc_u32 s3, s25, s3
	v_add_co_ci_u32_e64 v15, null, 0, v9, s2
	v_add_co_u32 v1, s2, s5, v1
	v_add_co_ci_u32_e64 v2, null, s3, v2, s2
	v_mov_b32_e32 v9, 0xff7fffff
	v_mov_b32_e32 v8, 32
	s_mov_b32 s15, s13
	s_mov_b32 s5, 0
	s_branch .LBB84_10
.LBB84_9:                               ;   in Loop: Header=BB84_10 Depth=1
	s_or_b32 exec_lo, exec_lo, s3
	v_add_nc_u32_e32 v18, 4, v18
	v_add_co_u32 v1, s3, v1, 16
	v_add_nc_u32_e32 v12, 32, v12
	v_add_nc_u32_e32 v13, 0x80, v13
	v_cmp_le_i32_e64 s2, s11, v18
	v_add_co_ci_u32_e64 v2, null, 0, v2, s3
	s_or_b32 s5, s2, s5
	s_andn2_b32 exec_lo, exec_lo, s5
	s_cbranch_execz .LBB84_12
.LBB84_10:                              ; =>This Inner Loop Header: Depth=1
	global_load_dword v19, v[1:2], off
	s_waitcnt vmcnt(0) lgkmcnt(0)
	v_mad_i64_i32 v[19:20], null, v19, s15, 0
	v_lshlrev_b64 v[19:20], 1, v[19:20]
	v_add_co_u32 v19, s2, v14, v19
	v_add_co_ci_u32_e64 v20, null, v15, v20, s2
	v_cmp_gt_i32_e64 s2, 32, v16
	s_clause 0xb
	global_load_dword v21, v[19:20], off
	global_load_dword v22, v[19:20], off offset:128
	global_load_dword v23, v[19:20], off offset:256
	;; [unrolled: 1-line block ×11, first 2 shown]
	ds_read_b32 v32, v11
	s_waitcnt lgkmcnt(0)
	v_and_b32_e32 v20, 0xffff, v32
	v_lshrrev_b32_e32 v32, 16, v32
	;;#ASMSTART
	v_cvt_f32_f16 v20, v20;
	;;#ASMEND
	s_waitcnt vmcnt(11)
	v_and_b32_e32 v33, 0xffff, v21
	v_lshrrev_b32_e32 v34, 16, v21
	;;#ASMSTART
	v_cvt_f32_f16 v21, v32;
	;;#ASMEND
	;;#ASMSTART
	v_cvt_f32_f16 v32, v33;
	;;#ASMEND
	;; [unrolled: 3-line block ×3, first 2 shown]
	ds_read_b32 v34, v11 offset:4
	s_waitcnt vmcnt(10)
	v_and_b32_e32 v36, 0xffff, v22
	v_lshrrev_b32_e32 v37, 16, v22
	s_waitcnt vmcnt(9)
	v_and_b32_e32 v39, 0xffff, v23
	v_lshrrev_b32_e32 v40, 16, v23
	;; [unrolled: 3-line block ×8, first 2 shown]
	s_waitcnt vmcnt(2)
	v_lshrrev_b32_e32 v59, 16, v30
	v_and_b32_e32 v61, 0xffff, v30
	s_waitcnt lgkmcnt(0)
	v_and_b32_e32 v35, 0xffff, v34
	v_lshrrev_b32_e32 v34, 16, v34
	;;#ASMSTART
	v_cvt_f32_f16 v22, v35;
	;;#ASMEND
	;;#ASMSTART
	v_cvt_f32_f16 v34, v34;
	;;#ASMEND
	;; [unrolled: 3-line block ×4, first 2 shown]
	ds_read_b32 v37, v11 offset:8
	v_mul_f32_e32 v22, v22, v35
	v_mul_f32_e32 v30, v34, v36
	v_fmac_f32_e32 v22, v20, v32
	v_fmac_f32_e32 v30, v21, v33
	s_waitcnt lgkmcnt(0)
	v_and_b32_e32 v38, 0xffff, v37
	v_lshrrev_b32_e32 v37, 16, v37
	;;#ASMSTART
	v_cvt_f32_f16 v23, v38;
	;;#ASMEND
	;;#ASMSTART
	v_cvt_f32_f16 v37, v37;
	;;#ASMEND
	;; [unrolled: 3-line block ×4, first 2 shown]
	ds_read_b32 v40, v11 offset:12
	v_fmac_f32_e32 v22, v23, v38
	v_fmac_f32_e32 v30, v37, v39
	s_waitcnt vmcnt(1)
	v_and_b32_e32 v23, 0xffff, v31
	s_waitcnt lgkmcnt(0)
	v_and_b32_e32 v41, 0xffff, v40
	v_lshrrev_b32_e32 v40, 16, v40
	;;#ASMSTART
	v_cvt_f32_f16 v24, v41;
	;;#ASMEND
	;;#ASMSTART
	v_cvt_f32_f16 v40, v40;
	;;#ASMEND
	;; [unrolled: 3-line block ×4, first 2 shown]
	ds_read_b32 v43, v11 offset:16
	v_fmac_f32_e32 v22, v24, v41
	v_fmac_f32_e32 v30, v40, v42
	v_lshrrev_b32_e32 v24, 16, v31
	s_waitcnt lgkmcnt(0)
	v_and_b32_e32 v44, 0xffff, v43
	v_lshrrev_b32_e32 v43, 16, v43
	;;#ASMSTART
	v_cvt_f32_f16 v25, v44;
	;;#ASMEND
	;;#ASMSTART
	v_cvt_f32_f16 v43, v43;
	;;#ASMEND
	;;#ASMSTART
	v_cvt_f32_f16 v44, v45;
	;;#ASMEND
	;;#ASMSTART
	v_cvt_f32_f16 v45, v46;
	;;#ASMEND
	ds_read_b32 v46, v11 offset:20
	v_fmac_f32_e32 v22, v25, v44
	v_fmac_f32_e32 v30, v43, v45
	s_waitcnt lgkmcnt(0)
	v_and_b32_e32 v47, 0xffff, v46
	v_lshrrev_b32_e32 v46, 16, v46
	;;#ASMSTART
	v_cvt_f32_f16 v26, v47;
	;;#ASMEND
	;;#ASMSTART
	v_cvt_f32_f16 v46, v46;
	;;#ASMEND
	;; [unrolled: 3-line block ×4, first 2 shown]
	ds_read_b32 v49, v11 offset:24
	v_fmac_f32_e32 v22, v26, v47
	v_fmac_f32_e32 v30, v46, v48
	v_cndmask_b32_e64 v26, v4, v16, s2
	v_cmp_gt_i32_e64 s2, 32, v17
	s_waitcnt lgkmcnt(0)
	v_and_b32_e32 v50, 0xffff, v49
	v_lshrrev_b32_e32 v49, 16, v49
	;;#ASMSTART
	v_cvt_f32_f16 v27, v50;
	;;#ASMEND
	;;#ASMSTART
	v_cvt_f32_f16 v49, v49;
	;;#ASMEND
	;;#ASMSTART
	v_cvt_f32_f16 v50, v51;
	;;#ASMEND
	;;#ASMSTART
	v_cvt_f32_f16 v51, v52;
	;;#ASMEND
	ds_read_b32 v52, v11 offset:28
	v_fmac_f32_e32 v22, v27, v50
	v_fmac_f32_e32 v30, v49, v51
	s_waitcnt vmcnt(0)
	v_lshrrev_b32_e32 v27, 16, v19
	s_waitcnt lgkmcnt(0)
	v_and_b32_e32 v53, 0xffff, v52
	v_lshrrev_b32_e32 v52, 16, v52
	;;#ASMSTART
	v_cvt_f32_f16 v28, v53;
	;;#ASMEND
	;;#ASMSTART
	v_cvt_f32_f16 v52, v52;
	;;#ASMEND
	;; [unrolled: 3-line block ×4, first 2 shown]
	ds_read_b32 v55, v11 offset:32
	v_fmac_f32_e32 v22, v28, v53
	v_fmac_f32_e32 v30, v52, v54
	s_waitcnt lgkmcnt(0)
	v_and_b32_e32 v56, 0xffff, v55
	v_lshrrev_b32_e32 v55, 16, v55
	;;#ASMSTART
	v_cvt_f32_f16 v29, v56;
	;;#ASMEND
	;;#ASMSTART
	v_cvt_f32_f16 v55, v55;
	;;#ASMEND
	;; [unrolled: 3-line block ×4, first 2 shown]
	ds_read_b32 v58, v11 offset:36
	v_fmac_f32_e32 v22, v29, v56
	v_fmac_f32_e32 v30, v55, v57
	v_and_b32_e32 v29, 0xffff, v19
	s_waitcnt lgkmcnt(0)
	v_and_b32_e32 v60, 0xffff, v58
	v_lshrrev_b32_e32 v58, 16, v58
	;;#ASMSTART
	v_cvt_f32_f16 v34, v60;
	;;#ASMEND
	;;#ASMSTART
	v_cvt_f32_f16 v35, v58;
	;;#ASMEND
	;; [unrolled: 3-line block ×4, first 2 shown]
	ds_read_b32 v59, v11 offset:40
	v_fmac_f32_e32 v22, v34, v36
	v_fmac_f32_e32 v30, v35, v58
	s_waitcnt lgkmcnt(0)
	v_and_b32_e32 v20, 0xffff, v59
	v_lshrrev_b32_e32 v21, 16, v59
	;;#ASMSTART
	v_cvt_f32_f16 v20, v20;
	;;#ASMEND
	;;#ASMSTART
	v_cvt_f32_f16 v21, v21;
	;;#ASMEND
	;; [unrolled: 3-line block ×4, first 2 shown]
	ds_read_b32 v25, v11 offset:44
	v_fmac_f32_e32 v22, v20, v23
	v_fmac_f32_e32 v30, v21, v24
	s_waitcnt lgkmcnt(0)
	v_and_b32_e32 v28, 0xffff, v25
	v_lshrrev_b32_e32 v25, 16, v25
	;;#ASMSTART
	v_cvt_f32_f16 v19, v28;
	;;#ASMEND
	;;#ASMSTART
	v_cvt_f32_f16 v20, v25;
	;;#ASMEND
	;; [unrolled: 3-line block ×4, first 2 shown]
	v_fmac_f32_e32 v22, v19, v21
	v_fmac_f32_e32 v30, v20, v23
	v_lshlrev_b32_e32 v19, 2, v26
	v_cndmask_b32_e64 v21, v4, v17, s2
	v_add_f32_e32 v20, v22, v30
	ds_bpermute_b32 v19, v19, v20
	s_waitcnt lgkmcnt(0)
	v_add_f32_e32 v19, v20, v19
	v_lshlrev_b32_e32 v20, 2, v21
	ds_bpermute_b32 v20, v20, v19
	s_and_saveexec_b32 s3, vcc_lo
	s_cbranch_execz .LBB84_9
; %bb.11:                               ;   in Loop: Header=BB84_10 Depth=1
	v_add_nc_u32_e32 v21, s4, v12
	s_waitcnt lgkmcnt(0)
	v_add_f32_e32 v19, v19, v20
	v_cmp_gt_i32_e64 s2, s23, v12
	v_cvt_f32_i32_e32 v21, v21
	v_mul_f32_e32 v21, s34, v21
	v_cndmask_b32_e64 v20, 0, v21, s1
	v_max_f32_e32 v21, v9, v9
	v_fmac_f32_e32 v20, s31, v19
	v_max_f32_e32 v19, v21, v20
	v_cndmask_b32_e64 v20, 0, v20, s2
	v_cndmask_b32_e64 v9, v9, v19, s2
	ds_write_b32 v13, v20
	s_branch .LBB84_9
.LBB84_12:
	s_or_b32 exec_lo, exec_lo, s5
.LBB84_13:
	s_or_b32 exec_lo, exec_lo, s35
	v_xor_b32_e32 v1, 16, v4
	v_xor_b32_e32 v11, 8, v4
	v_max_f32_e32 v12, v9, v9
	v_cmp_lt_i32_e32 vcc_lo, v1, v8
	v_cndmask_b32_e32 v1, v4, v1, vcc_lo
	v_cmp_lt_i32_e32 vcc_lo, v11, v8
	v_lshlrev_b32_e32 v2, 2, v1
	ds_bpermute_b32 v1, v2, v9
	v_cndmask_b32_e32 v9, v4, v11, vcc_lo
	v_lshlrev_b32_e32 v9, 2, v9
	s_waitcnt lgkmcnt(0)
	v_max_f32_e32 v1, v1, v1
	v_max_f32_e32 v1, v12, v1
	v_xor_b32_e32 v12, 4, v4
	ds_bpermute_b32 v11, v9, v1
	v_cmp_lt_i32_e32 vcc_lo, v12, v8
	v_cndmask_b32_e32 v12, v4, v12, vcc_lo
	v_lshlrev_b32_e32 v14, 2, v12
	v_lshlrev_b32_e32 v12, 2, v10
	s_waitcnt lgkmcnt(0)
	v_max_f32_e32 v11, v11, v11
	v_max_f32_e32 v1, v1, v11
	v_and_b32_e32 v11, 31, v0
	ds_bpermute_b32 v13, v14, v1
	v_cmp_eq_u32_e32 vcc_lo, 0, v11
	s_and_saveexec_b32 s1, vcc_lo
	s_cbranch_execz .LBB84_15
; %bb.14:
	s_waitcnt lgkmcnt(0)
	v_max_f32_e32 v13, v13, v13
	v_max_f32_e32 v1, v1, v1
	;; [unrolled: 1-line block ×3, first 2 shown]
	ds_write_b32 v12, v1 offset:192
.LBB84_15:
	s_or_b32 exec_lo, exec_lo, s1
	v_cmp_gt_u32_e64 s1, 4, v11
	v_mov_b32_e32 v1, 0xff7fffff
	s_waitcnt lgkmcnt(0)
	v_lshlrev_b32_e32 v13, 2, v11
	s_barrier
	buffer_gl0_inv
	s_and_saveexec_b32 s2, s1
; %bb.16:
	ds_read_b32 v1, v13 offset:192
; %bb.17:
	s_or_b32 exec_lo, exec_lo, s2
	v_xor_b32_e32 v15, 2, v4
	v_xor_b32_e32 v17, 1, v4
	v_lshlrev_b32_e32 v7, 2, v7
	v_cmp_lt_i32_e64 s2, v15, v8
	v_cndmask_b32_e64 v15, v4, v15, s2
	v_cmp_lt_i32_e64 s2, v17, v8
	v_lshlrev_b32_e32 v15, 2, v15
	v_cndmask_b32_e64 v8, v4, v17, s2
	s_sub_i32 s2, s11, s30
	s_lshl_b32 s2, s2, 3
	s_waitcnt lgkmcnt(0)
	ds_bpermute_b32 v16, v15, v1
	v_max_f32_e32 v1, v1, v1
	v_lshlrev_b32_e32 v8, 2, v8
	s_add_i32 s2, s2, s33
	s_min_i32 s2, s2, s23
	s_sub_i32 s4, s2, s33
	v_cmp_gt_i32_e64 s2, s4, v0
	s_waitcnt lgkmcnt(0)
	v_max_f32_e32 v16, v16, v16
	v_max_f32_e32 v1, v1, v16
	ds_bpermute_b32 v16, v8, v1
	s_waitcnt lgkmcnt(0)
	v_max_f32_e32 v16, v16, v16
	v_max_f32_e32 v1, v1, v16
	v_mov_b32_e32 v16, 0
	ds_bpermute_b32 v1, v7, v1
	v_lshl_add_u32 v7, v0, 2, 0xe0
	s_and_saveexec_b32 s5, s2
	s_cbranch_execz .LBB84_21
; %bb.18:
	v_lshl_add_u32 v17, v0, 2, 0xe0
	v_mov_b32_e32 v16, 0
	v_mov_b32_e32 v18, v0
	s_mov_b32 s15, 0
	.p2align	6
.LBB84_19:                              ; =>This Inner Loop Header: Depth=1
	ds_read_b32 v19, v17
	v_add_nc_u32_e32 v18, 0x80, v18
	v_cmp_le_i32_e64 s3, s4, v18
	s_or_b32 s15, s3, s15
	s_waitcnt lgkmcnt(0)
	v_sub_f32_e32 v19, v19, v1
	v_mul_f32_e32 v19, 0x3fb8aa3b, v19
	v_exp_f32_e32 v19, v19
	ds_write_b32 v17, v19
	v_add_f32_e32 v16, v16, v19
	v_add_nc_u32_e32 v17, 0x200, v17
	s_andn2_b32 exec_lo, exec_lo, s15
	s_cbranch_execnz .LBB84_19
; %bb.20:
	s_or_b32 exec_lo, exec_lo, s15
.LBB84_21:
	s_or_b32 exec_lo, exec_lo, s5
	ds_bpermute_b32 v2, v2, v16
	s_waitcnt lgkmcnt(0)
	v_add_f32_e32 v2, v16, v2
	ds_bpermute_b32 v9, v9, v2
	s_waitcnt lgkmcnt(0)
	v_add_f32_e32 v2, v2, v9
	;; [unrolled: 3-line block ×5, first 2 shown]
	s_and_saveexec_b32 s3, vcc_lo
; %bb.22:
	ds_write_b32 v12, v2 offset:208
; %bb.23:
	s_or_b32 exec_lo, exec_lo, s3
	s_waitcnt lgkmcnt(0)
	s_barrier
	buffer_gl0_inv
	s_and_saveexec_b32 s3, s1
; %bb.24:
	ds_read_b32 v2, v13 offset:208
; %bb.25:
	s_or_b32 exec_lo, exec_lo, s3
	s_waitcnt lgkmcnt(0)
	ds_bpermute_b32 v9, v15, v2
	v_lshlrev_b32_e32 v4, 2, v4
	v_and_b32_e32 v4, 0xffffff80, v4
	s_waitcnt lgkmcnt(0)
	v_add_f32_e32 v2, v2, v9
	ds_bpermute_b32 v8, v8, v2
	s_waitcnt lgkmcnt(0)
	v_add_f32_e32 v2, v2, v8
	ds_bpermute_b32 v2, v4, v2
	s_and_saveexec_b32 s1, s2
	s_cbranch_execz .LBB84_28
; %bb.26:
	s_waitcnt lgkmcnt(0)
	v_add_f32_e32 v4, 0x358637bd, v2
	s_mov_b32 s2, 0
	v_div_scale_f32 v8, null, v4, v4, 1.0
	v_div_scale_f32 v13, vcc_lo, 1.0, v4, 1.0
	v_rcp_f32_e32 v9, v8
	v_fma_f32 v12, -v8, v9, 1.0
	v_fmac_f32_e32 v9, v12, v9
	v_mul_f32_e32 v12, v13, v9
	v_fma_f32 v14, -v8, v12, v13
	v_fmac_f32_e32 v12, v14, v9
	v_fma_f32 v8, -v8, v12, v13
	v_div_fmas_f32 v8, v8, v9, v12
	v_div_fixup_f32 v4, v8, v4, 1.0
	v_mov_b32_e32 v8, v0
.LBB84_27:                              ; =>This Inner Loop Header: Depth=1
	ds_read_b32 v9, v7
	v_add_nc_u32_e32 v8, 0x80, v8
	v_cmp_le_i32_e32 vcc_lo, s4, v8
	s_or_b32 s2, vcc_lo, s2
	s_waitcnt lgkmcnt(0)
	v_mul_f32_e32 v9, v4, v9
	ds_write_b32 v7, v9
	v_add_nc_u32_e32 v7, 0x200, v7
	s_andn2_b32 exec_lo, exec_lo, s2
	s_cbranch_execnz .LBB84_27
.LBB84_28:
	s_or_b32 exec_lo, exec_lo, s1
	s_mul_i32 s1, s7, s22
	s_waitcnt lgkmcnt(0)
	s_mul_i32 s2, s1, s9
	s_mov_b32 s1, exec_lo
	s_barrier
	buffer_gl0_inv
	v_cmpx_eq_u32_e32 0, v0
	s_cbranch_execz .LBB84_30
; %bb.29:
	s_ashr_i32 s3, s2, 31
	s_mul_i32 s30, s7, s6
	s_lshl_b64 s[4:5], s[2:3], 2
	v_mov_b32_e32 v4, 0
	s_add_u32 s3, s18, s4
	s_addc_u32 s6, s19, s5
	s_ashr_i32 s31, s30, 31
	s_lshl_b64 s[18:19], s[30:31], 2
	s_add_u32 s3, s3, s18
	s_addc_u32 s6, s6, s19
	s_ashr_i32 s9, s8, 31
	s_lshl_b64 s[30:31], s[8:9], 2
	s_add_u32 s34, s3, s30
	s_addc_u32 s35, s6, s31
	s_add_u32 s3, s16, s4
	s_addc_u32 s4, s17, s5
	;; [unrolled: 2-line block ×4, first 2 shown]
	global_store_dword v4, v1, s[34:35]
	global_store_dword v4, v2, s[4:5]
.LBB84_30:
	s_or_b32 exec_lo, exec_lo, s1
	v_mov_b32_e32 v14, 0
	v_mov_b32_e32 v13, 0
	;; [unrolled: 1-line block ×3, first 2 shown]
	s_and_saveexec_b32 s3, s0
	s_cbranch_execz .LBB84_40
; %bb.31:
	s_ashr_i32 s15, s14, 31
	v_lshlrev_b32_e32 v1, 4, v11
	s_lshl_b64 s[0:1], s[14:15], 1
	v_mov_b32_e32 v15, 0
	s_add_u32 s0, s28, s0
	s_addc_u32 s1, s29, s1
	v_add_co_u32 v16, s0, s0, v1
	v_lshlrev_b64 v[1:2], 2, v[5:6]
	v_add_co_ci_u32_e64 v17, null, s1, 0, s0
	s_lshl_b64 s[0:1], s[26:27], 2
	s_add_i32 s12, s12, -1
	s_add_u32 s0, s24, s0
	s_addc_u32 s1, s25, s1
	v_add_co_u32 v6, vcc_lo, s0, v1
	v_add3_u32 v18, s33, v3, 7
	v_lshl_add_u32 v19, v10, 5, 0xe0
	v_add_co_ci_u32_e64 v7, null, s1, v2, vcc_lo
	v_mov_b32_e32 v12, 0
	v_mov_b32_e32 v13, 0
	;; [unrolled: 1-line block ×3, first 2 shown]
	s_mov_b32 s5, s13
	s_mov_b32 s4, 0
	s_branch .LBB84_33
.LBB84_32:                              ;   in Loop: Header=BB84_33 Depth=1
	s_or_b32 exec_lo, exec_lo, s1
	v_lshlrev_b32_e32 v20, 16, v35
	v_lshlrev_b32_e32 v9, 16, v9
	;; [unrolled: 1-line block ×3, first 2 shown]
	v_add_nc_u32_e32 v5, 4, v5
	v_add_co_u32 v6, s0, v6, 16
	v_and_or_b32 v1, 0xffff, v1, v20
	v_and_or_b32 v2, 0xffff, v2, v9
	;; [unrolled: 1-line block ×3, first 2 shown]
	;;#ASMSTART
	v_pk_mul_f16 v1, v28, v1;

	;;#ASMEND
	;;#ASMSTART
	v_pk_mul_f16 v2, v27, v2;

	;;#ASMEND
	;; [unrolled: 4-line block ×4, first 2 shown]
	;;#ASMSTART
	v_pk_add_f16 v1, v1, v2;

	;;#ASMEND
	;;#ASMSTART
	v_pk_add_f16 v1, v1, v3;

	;;#ASMEND
	;; [unrolled: 4-line block ×3, first 2 shown]
	v_and_b32_e32 v3, 0xffff, v1
	v_lshrrev_b32_e32 v4, 16, v1
	;;#ASMSTART
	v_cvt_f32_f16 v3, v3;
	;;#ASMEND
	v_add_f32_e32 v1, v33, v34
	v_add_f32_e32 v2, v31, v32
	;;#ASMSTART
	v_cvt_f32_f16 v4, v4;
	;;#ASMEND
	v_add_f32_e32 v3, v3, v4
	v_cmp_le_i32_e32 vcc_lo, s11, v5
	v_add_nc_u32_e32 v18, 32, v18
	v_add_nc_u32_e32 v19, 0x80, v19
	v_add_f32_e32 v13, v13, v1
	v_add_f32_e32 v14, v14, v2
	;; [unrolled: 1-line block ×3, first 2 shown]
	v_add_co_ci_u32_e64 v7, null, 0, v7, s0
	s_or_b32 s4, vcc_lo, s4
	s_andn2_b32 exec_lo, exec_lo, s4
	s_cbranch_execz .LBB84_39
.LBB84_33:                              ; =>This Inner Loop Header: Depth=1
	global_load_dword v8, v[6:7], off
	ds_read2_b64 v[1:4], v19 offset1:1
	ds_read2_b64 v[20:23], v19 offset0:2 offset1:3
	v_add_nc_u32_e32 v24, -7, v18
	v_cmp_eq_u32_e64 s0, s12, v5
	v_add_nc_u32_e32 v26, -6, v18
	v_add_nc_u32_e32 v25, -1, v18
	s_waitcnt lgkmcnt(1)
	;;#ASMSTART
	v_cvt_f16_f32 v28, v1;

	;;#ASMEND
	;;#ASMSTART
	v_cvt_f16_f32 v27, v2;

	;;#ASMEND
	;; [unrolled: 4-line block ×4, first 2 shown]
	s_waitcnt lgkmcnt(0)
	;;#ASMSTART
	v_cvt_f16_f32 v34, v20;

	;;#ASMEND
	;;#ASMSTART
	v_cvt_f16_f32 v29, v21;

	;;#ASMEND
	;; [unrolled: 4-line block ×4, first 2 shown]
	v_add_nc_u32_e32 v23, -5, v18
	v_add_nc_u32_e32 v22, -4, v18
	;; [unrolled: 1-line block ×4, first 2 shown]
	s_waitcnt vmcnt(0)
	v_mad_i64_i32 v[8:9], null, v8, s5, 0
	v_lshlrev_b64 v[8:9], 1, v[8:9]
	v_add_co_u32 v8, vcc_lo, v16, v8
	v_add_co_ci_u32_e64 v9, null, v17, v9, vcc_lo
	global_load_dwordx4 v[1:4], v[8:9], off
	s_waitcnt vmcnt(0)
	v_lshrrev_b32_e32 v37, 16, v1
	v_lshrrev_b32_e32 v36, 16, v2
	;; [unrolled: 1-line block ×3, first 2 shown]
	s_and_saveexec_b32 s6, s0
	s_cbranch_execz .LBB84_35
; %bb.34:                               ;   in Loop: Header=BB84_33 Depth=1
	v_cmp_gt_i32_e32 vcc_lo, s23, v24
	v_and_b32_e32 v38, 0xffff0000, v4
	v_cmp_gt_i32_e64 s1, s23, v23
	v_cndmask_b32_e32 v1, 0, v1, vcc_lo
	v_cmp_gt_i32_e32 vcc_lo, s23, v26
	v_cndmask_b32_e64 v2, 0, v2, s1
	v_cmp_gt_i32_e64 s1, s23, v22
	v_cndmask_b32_e32 v37, 0, v37, vcc_lo
	v_cmp_gt_i32_e32 vcc_lo, s23, v25
	v_cndmask_b32_e64 v36, 0, v36, s1
	v_cndmask_b32_sdwa v4, v15, v4, vcc_lo dst_sel:DWORD dst_unused:UNUSED_PAD src0_sel:DWORD src1_sel:WORD_0
	v_cmp_gt_i32_e32 vcc_lo, s23, v18
	v_cndmask_b32_e32 v38, 0, v38, vcc_lo
	v_cmp_gt_i32_e32 vcc_lo, s23, v21
	v_or_b32_e32 v4, v4, v38
	v_cndmask_b32_e32 v3, 0, v3, vcc_lo
	v_cmp_gt_i32_e32 vcc_lo, s23, v20
	v_cndmask_b32_e32 v35, 0, v35, vcc_lo
.LBB84_35:                              ;   in Loop: Header=BB84_33 Depth=1
	s_or_b32 exec_lo, exec_lo, s6
	v_and_b32_e32 v28, 0xffff, v28
	v_and_b32_e32 v33, 0xffff, v33
	v_lshlrev_b32_e32 v37, 16, v37
	v_and_b32_e32 v34, 0xffff, v34
	v_and_b32_e32 v32, 0xffff, v32
	v_lshl_or_b32 v28, v27, 16, v28
	v_lshl_or_b32 v27, v31, 16, v33
	v_lshlrev_b32_e32 v31, 16, v36
	v_lshlrev_b32_e32 v33, 16, v35
	v_and_or_b32 v1, 0xffff, v1, v37
	;;#ASMSTART
	v_pk_mul_f16 v1, v28, v1;

	;;#ASMEND
	v_lshl_or_b32 v29, v29, 16, v34
	v_and_or_b32 v2, 0xffff, v2, v31
	v_and_or_b32 v3, 0xffff, v3, v33
	v_lshl_or_b32 v30, v30, 16, v32
	;;#ASMSTART
	v_pk_mul_f16 v2, v27, v2;

	;;#ASMEND
	;;#ASMSTART
	v_pk_mul_f16 v3, v29, v3;

	;;#ASMEND
	;; [unrolled: 4-line block ×3, first 2 shown]
	;;#ASMSTART
	v_pk_add_f16 v1, v1, v2;

	;;#ASMEND
	;;#ASMSTART
	v_pk_add_f16 v1, v1, v3;

	;;#ASMEND
	;; [unrolled: 4-line block ×3, first 2 shown]
	v_and_b32_e32 v2, 0xffff, v1
	v_lshrrev_b32_e32 v1, 16, v1
	;;#ASMSTART
	v_cvt_f32_f16 v31, v2;
	;;#ASMEND
	;;#ASMSTART
	v_cvt_f32_f16 v32, v1;
	;;#ASMEND
	global_load_dwordx4 v[1:4], v[8:9], off offset:512
	s_waitcnt vmcnt(0)
	v_lshrrev_b32_e32 v35, 16, v1
	v_lshrrev_b32_e32 v34, 16, v2
	;; [unrolled: 1-line block ×3, first 2 shown]
	s_and_saveexec_b32 s6, s0
	s_cbranch_execz .LBB84_37
; %bb.36:                               ;   in Loop: Header=BB84_33 Depth=1
	v_cmp_gt_i32_e32 vcc_lo, s23, v24
	v_and_b32_e32 v36, 0xffff0000, v4
	v_cmp_gt_i32_e64 s1, s23, v23
	v_cndmask_b32_e32 v1, 0, v1, vcc_lo
	v_cmp_gt_i32_e32 vcc_lo, s23, v26
	v_cndmask_b32_e64 v2, 0, v2, s1
	v_cmp_gt_i32_e64 s1, s23, v22
	v_cndmask_b32_e32 v35, 0, v35, vcc_lo
	v_cmp_gt_i32_e32 vcc_lo, s23, v25
	v_cndmask_b32_e64 v34, 0, v34, s1
	v_cndmask_b32_sdwa v4, v15, v4, vcc_lo dst_sel:DWORD dst_unused:UNUSED_PAD src0_sel:DWORD src1_sel:WORD_0
	v_cmp_gt_i32_e32 vcc_lo, s23, v18
	v_cndmask_b32_e32 v36, 0, v36, vcc_lo
	v_cmp_gt_i32_e32 vcc_lo, s23, v21
	v_or_b32_e32 v4, v4, v36
	v_cndmask_b32_e32 v3, 0, v3, vcc_lo
	v_cmp_gt_i32_e32 vcc_lo, s23, v20
	v_cndmask_b32_e32 v33, 0, v33, vcc_lo
.LBB84_37:                              ;   in Loop: Header=BB84_33 Depth=1
	s_or_b32 exec_lo, exec_lo, s6
	v_lshlrev_b32_e32 v35, 16, v35
	v_lshlrev_b32_e32 v34, 16, v34
	v_lshlrev_b32_e32 v33, 16, v33
	v_and_or_b32 v1, 0xffff, v1, v35
	v_and_or_b32 v2, 0xffff, v2, v34
	v_and_or_b32 v3, 0xffff, v3, v33
	;;#ASMSTART
	v_pk_mul_f16 v1, v28, v1;

	;;#ASMEND
	;;#ASMSTART
	v_pk_mul_f16 v2, v27, v2;

	;;#ASMEND
	;; [unrolled: 4-line block ×4, first 2 shown]
	;;#ASMSTART
	v_pk_add_f16 v1, v1, v2;

	;;#ASMEND
	;;#ASMSTART
	v_pk_add_f16 v1, v1, v3;

	;;#ASMEND
	;; [unrolled: 4-line block ×3, first 2 shown]
	v_and_b32_e32 v2, 0xffff, v1
	v_lshrrev_b32_e32 v1, 16, v1
	;;#ASMSTART
	v_cvt_f32_f16 v33, v2;
	;;#ASMEND
	;;#ASMSTART
	v_cvt_f32_f16 v34, v1;
	;;#ASMEND
	global_load_dwordx4 v[1:4], v[8:9], off offset:1024
	s_waitcnt vmcnt(0)
	v_lshrrev_b32_e32 v35, 16, v1
	v_lshrrev_b32_e32 v9, 16, v2
	;; [unrolled: 1-line block ×3, first 2 shown]
	s_and_saveexec_b32 s1, s0
	s_cbranch_execz .LBB84_32
; %bb.38:                               ;   in Loop: Header=BB84_33 Depth=1
	v_cmp_gt_i32_e32 vcc_lo, s23, v24
	v_cmp_gt_i32_e64 s0, s23, v23
	v_cndmask_b32_e32 v1, 0, v1, vcc_lo
	v_cmp_gt_i32_e32 vcc_lo, s23, v26
	v_cndmask_b32_e64 v2, 0, v2, s0
	v_cmp_gt_i32_e64 s0, s23, v22
	v_and_b32_e32 v22, 0xffff0000, v4
	v_cndmask_b32_e32 v35, 0, v35, vcc_lo
	v_cmp_gt_i32_e32 vcc_lo, s23, v25
	v_cndmask_b32_e64 v9, 0, v9, s0
	v_cndmask_b32_sdwa v4, v15, v4, vcc_lo dst_sel:DWORD dst_unused:UNUSED_PAD src0_sel:DWORD src1_sel:WORD_0
	v_cmp_gt_i32_e32 vcc_lo, s23, v18
	v_cndmask_b32_e32 v22, 0, v22, vcc_lo
	v_cmp_gt_i32_e32 vcc_lo, s23, v21
	v_or_b32_e32 v4, v4, v22
	v_cndmask_b32_e32 v3, 0, v3, vcc_lo
	v_cmp_gt_i32_e32 vcc_lo, s23, v20
	v_cndmask_b32_e32 v8, 0, v8, vcc_lo
	s_branch .LBB84_32
.LBB84_39:
	s_or_b32 exec_lo, exec_lo, s4
.LBB84_40:
	s_or_b32 exec_lo, exec_lo, s3
	v_lshl_add_u32 v2, v11, 2, 0xe0
	v_and_b32_e32 v3, 0x3c0, v0
	s_mov_b32 s0, exec_lo
	s_waitcnt_vscnt null, 0x0
	s_barrier
	v_mad_u32_u24 v1, 0x180, v10, v2
	buffer_gl0_inv
	v_cmpx_eq_u32_e32 64, v3
	s_cbranch_execz .LBB84_42
; %bb.41:
	v_add_nc_u32_e32 v3, 0xfffffd00, v1
	v_add_nc_u32_e32 v4, 0xfffffd80, v1
	;; [unrolled: 1-line block ×3, first 2 shown]
	ds_write_b32 v3, v14
	ds_write_b32 v4, v13
	ds_write_b32 v5, v12
.LBB84_42:
	s_or_b32 exec_lo, exec_lo, s0
	s_mov_b32 s0, exec_lo
	s_waitcnt lgkmcnt(0)
	s_barrier
	buffer_gl0_inv
	v_cmpx_gt_u32_e32 64, v0
	s_cbranch_execz .LBB84_44
; %bb.43:
	ds_read2_b32 v[3:4], v1 offset1:32
	ds_read_b32 v5, v1 offset:256
	s_waitcnt lgkmcnt(1)
	v_add_f32_e32 v14, v14, v3
	v_add_f32_e32 v13, v13, v4
	s_waitcnt lgkmcnt(0)
	v_add_f32_e32 v12, v12, v5
.LBB84_44:
	s_or_b32 exec_lo, exec_lo, s0
	v_and_b32_e32 v3, 0x3e0, v0
	s_mov_b32 s0, exec_lo
	s_barrier
	buffer_gl0_inv
	v_cmpx_eq_u32_e32 32, v3
	s_cbranch_execz .LBB84_46
; %bb.45:
	ds_write2_b32 v2, v14, v13 offset1:32
	ds_write_b32 v2, v12 offset:256
.LBB84_46:
	s_or_b32 exec_lo, exec_lo, s0
	v_cmp_gt_u32_e32 vcc_lo, 32, v0
	s_waitcnt lgkmcnt(0)
	s_barrier
	buffer_gl0_inv
	s_and_saveexec_b32 s0, vcc_lo
	s_cbranch_execz .LBB84_48
; %bb.47:
	ds_read2_b32 v[2:3], v1 offset1:32
	ds_read_b32 v1, v1 offset:256
	s_waitcnt lgkmcnt(1)
	v_add_f32_e32 v14, v14, v2
	v_add_f32_e32 v13, v13, v3
	s_waitcnt lgkmcnt(0)
	v_add_f32_e32 v12, v12, v1
.LBB84_48:
	s_or_b32 exec_lo, exec_lo, s0
	s_barrier
	buffer_gl0_inv
	s_and_saveexec_b32 s0, vcc_lo
	s_cbranch_execz .LBB84_50
; %bb.49:
	s_mul_i32 s0, s2, 0x60
	s_mul_i32 s2, s7, s10
	s_ashr_i32 s1, s0, 31
	v_lshlrev_b32_e32 v0, 1, v0
	s_lshl_b64 s[0:1], s[0:1], 1
	;;#ASMSTART
	v_cvt_f16_f32 v1, v14;

	;;#ASMEND
	s_add_u32 s4, s20, s0
	s_addc_u32 s5, s21, s1
	s_ashr_i32 s3, s2, 31
	s_lshl_b64 s[0:1], s[2:3], 1
	s_mul_i32 s2, s8, 0x60
	s_add_u32 s4, s4, s0
	s_addc_u32 s5, s5, s1
	s_ashr_i32 s3, s2, 31
	s_lshl_b64 s[0:1], s[2:3], 1
	s_add_u32 s0, s4, s0
	s_addc_u32 s1, s5, s1
	global_store_short v0, v1, s[0:1]
	;;#ASMSTART
	v_cvt_f16_f32 v1, v13;

	;;#ASMEND
	global_store_short v0, v1, s[0:1] offset:64
	;;#ASMSTART
	v_cvt_f16_f32 v1, v12;

	;;#ASMEND
	global_store_short v0, v1, s[0:1] offset:128
.LBB84_50:
	s_endpgm
	.section	.rodata,"a",@progbits
	.p2align	6, 0x0
	.amdhsa_kernel _ZN4vllm25paged_attention_v2_kernelIttLi96ELi8ELi128ELNS_18Fp8KVCacheDataTypeE0ELb0ELi512EEEvPfS2_PT_PKS3_PKT0_S9_ifPKiSB_iPKfiiiSD_SD_iiiii
		.amdhsa_group_segment_fixed_size 224
		.amdhsa_private_segment_fixed_size 0
		.amdhsa_kernarg_size 400
		.amdhsa_user_sgpr_count 6
		.amdhsa_user_sgpr_private_segment_buffer 1
		.amdhsa_user_sgpr_dispatch_ptr 0
		.amdhsa_user_sgpr_queue_ptr 0
		.amdhsa_user_sgpr_kernarg_segment_ptr 1
		.amdhsa_user_sgpr_dispatch_id 0
		.amdhsa_user_sgpr_flat_scratch_init 0
		.amdhsa_user_sgpr_private_segment_size 0
		.amdhsa_wavefront_size32 1
		.amdhsa_uses_dynamic_stack 0
		.amdhsa_system_sgpr_private_segment_wavefront_offset 0
		.amdhsa_system_sgpr_workgroup_id_x 1
		.amdhsa_system_sgpr_workgroup_id_y 1
		.amdhsa_system_sgpr_workgroup_id_z 1
		.amdhsa_system_sgpr_workgroup_info 0
		.amdhsa_system_vgpr_workitem_id 0
		.amdhsa_next_free_vgpr 62
		.amdhsa_next_free_sgpr 36
		.amdhsa_reserve_vcc 1
		.amdhsa_reserve_flat_scratch 0
		.amdhsa_float_round_mode_32 0
		.amdhsa_float_round_mode_16_64 0
		.amdhsa_float_denorm_mode_32 3
		.amdhsa_float_denorm_mode_16_64 3
		.amdhsa_dx10_clamp 1
		.amdhsa_ieee_mode 1
		.amdhsa_fp16_overflow 0
		.amdhsa_workgroup_processor_mode 1
		.amdhsa_memory_ordered 1
		.amdhsa_forward_progress 1
		.amdhsa_shared_vgpr_count 0
		.amdhsa_exception_fp_ieee_invalid_op 0
		.amdhsa_exception_fp_denorm_src 0
		.amdhsa_exception_fp_ieee_div_zero 0
		.amdhsa_exception_fp_ieee_overflow 0
		.amdhsa_exception_fp_ieee_underflow 0
		.amdhsa_exception_fp_ieee_inexact 0
		.amdhsa_exception_int_div_zero 0
	.end_amdhsa_kernel
	.section	.text._ZN4vllm25paged_attention_v2_kernelIttLi96ELi8ELi128ELNS_18Fp8KVCacheDataTypeE0ELb0ELi512EEEvPfS2_PT_PKS3_PKT0_S9_ifPKiSB_iPKfiiiSD_SD_iiiii,"axG",@progbits,_ZN4vllm25paged_attention_v2_kernelIttLi96ELi8ELi128ELNS_18Fp8KVCacheDataTypeE0ELb0ELi512EEEvPfS2_PT_PKS3_PKT0_S9_ifPKiSB_iPKfiiiSD_SD_iiiii,comdat
.Lfunc_end84:
	.size	_ZN4vllm25paged_attention_v2_kernelIttLi96ELi8ELi128ELNS_18Fp8KVCacheDataTypeE0ELb0ELi512EEEvPfS2_PT_PKS3_PKT0_S9_ifPKiSB_iPKfiiiSD_SD_iiiii, .Lfunc_end84-_ZN4vllm25paged_attention_v2_kernelIttLi96ELi8ELi128ELNS_18Fp8KVCacheDataTypeE0ELb0ELi512EEEvPfS2_PT_PKS3_PKT0_S9_ifPKiSB_iPKfiiiSD_SD_iiiii
                                        ; -- End function
	.set _ZN4vllm25paged_attention_v2_kernelIttLi96ELi8ELi128ELNS_18Fp8KVCacheDataTypeE0ELb0ELi512EEEvPfS2_PT_PKS3_PKT0_S9_ifPKiSB_iPKfiiiSD_SD_iiiii.num_vgpr, 62
	.set _ZN4vllm25paged_attention_v2_kernelIttLi96ELi8ELi128ELNS_18Fp8KVCacheDataTypeE0ELb0ELi512EEEvPfS2_PT_PKS3_PKT0_S9_ifPKiSB_iPKfiiiSD_SD_iiiii.num_agpr, 0
	.set _ZN4vllm25paged_attention_v2_kernelIttLi96ELi8ELi128ELNS_18Fp8KVCacheDataTypeE0ELb0ELi512EEEvPfS2_PT_PKS3_PKT0_S9_ifPKiSB_iPKfiiiSD_SD_iiiii.numbered_sgpr, 36
	.set _ZN4vllm25paged_attention_v2_kernelIttLi96ELi8ELi128ELNS_18Fp8KVCacheDataTypeE0ELb0ELi512EEEvPfS2_PT_PKS3_PKT0_S9_ifPKiSB_iPKfiiiSD_SD_iiiii.num_named_barrier, 0
	.set _ZN4vllm25paged_attention_v2_kernelIttLi96ELi8ELi128ELNS_18Fp8KVCacheDataTypeE0ELb0ELi512EEEvPfS2_PT_PKS3_PKT0_S9_ifPKiSB_iPKfiiiSD_SD_iiiii.private_seg_size, 0
	.set _ZN4vllm25paged_attention_v2_kernelIttLi96ELi8ELi128ELNS_18Fp8KVCacheDataTypeE0ELb0ELi512EEEvPfS2_PT_PKS3_PKT0_S9_ifPKiSB_iPKfiiiSD_SD_iiiii.uses_vcc, 1
	.set _ZN4vllm25paged_attention_v2_kernelIttLi96ELi8ELi128ELNS_18Fp8KVCacheDataTypeE0ELb0ELi512EEEvPfS2_PT_PKS3_PKT0_S9_ifPKiSB_iPKfiiiSD_SD_iiiii.uses_flat_scratch, 0
	.set _ZN4vllm25paged_attention_v2_kernelIttLi96ELi8ELi128ELNS_18Fp8KVCacheDataTypeE0ELb0ELi512EEEvPfS2_PT_PKS3_PKT0_S9_ifPKiSB_iPKfiiiSD_SD_iiiii.has_dyn_sized_stack, 0
	.set _ZN4vllm25paged_attention_v2_kernelIttLi96ELi8ELi128ELNS_18Fp8KVCacheDataTypeE0ELb0ELi512EEEvPfS2_PT_PKS3_PKT0_S9_ifPKiSB_iPKfiiiSD_SD_iiiii.has_recursion, 0
	.set _ZN4vllm25paged_attention_v2_kernelIttLi96ELi8ELi128ELNS_18Fp8KVCacheDataTypeE0ELb0ELi512EEEvPfS2_PT_PKS3_PKT0_S9_ifPKiSB_iPKfiiiSD_SD_iiiii.has_indirect_call, 0
	.section	.AMDGPU.csdata,"",@progbits
; Kernel info:
; codeLenInByte = 5916
; TotalNumSgprs: 38
; NumVgprs: 62
; ScratchSize: 0
; MemoryBound: 0
; FloatMode: 240
; IeeeMode: 1
; LDSByteSize: 224 bytes/workgroup (compile time only)
; SGPRBlocks: 0
; VGPRBlocks: 7
; NumSGPRsForWavesPerEU: 38
; NumVGPRsForWavesPerEU: 62
; Occupancy: 16
; WaveLimiterHint : 1
; COMPUTE_PGM_RSRC2:SCRATCH_EN: 0
; COMPUTE_PGM_RSRC2:USER_SGPR: 6
; COMPUTE_PGM_RSRC2:TRAP_HANDLER: 0
; COMPUTE_PGM_RSRC2:TGID_X_EN: 1
; COMPUTE_PGM_RSRC2:TGID_Y_EN: 1
; COMPUTE_PGM_RSRC2:TGID_Z_EN: 1
; COMPUTE_PGM_RSRC2:TIDIG_COMP_CNT: 0
	.section	.text._ZN4vllm25paged_attention_v2_kernelIttLi112ELi8ELi128ELNS_18Fp8KVCacheDataTypeE0ELb0ELi512EEEvPfS2_PT_PKS3_PKT0_S9_ifPKiSB_iPKfiiiSD_SD_iiiii,"axG",@progbits,_ZN4vllm25paged_attention_v2_kernelIttLi112ELi8ELi128ELNS_18Fp8KVCacheDataTypeE0ELb0ELi512EEEvPfS2_PT_PKS3_PKT0_S9_ifPKiSB_iPKfiiiSD_SD_iiiii,comdat
	.protected	_ZN4vllm25paged_attention_v2_kernelIttLi112ELi8ELi128ELNS_18Fp8KVCacheDataTypeE0ELb0ELi512EEEvPfS2_PT_PKS3_PKT0_S9_ifPKiSB_iPKfiiiSD_SD_iiiii ; -- Begin function _ZN4vllm25paged_attention_v2_kernelIttLi112ELi8ELi128ELNS_18Fp8KVCacheDataTypeE0ELb0ELi512EEEvPfS2_PT_PKS3_PKT0_S9_ifPKiSB_iPKfiiiSD_SD_iiiii
	.globl	_ZN4vllm25paged_attention_v2_kernelIttLi112ELi8ELi128ELNS_18Fp8KVCacheDataTypeE0ELb0ELi512EEEvPfS2_PT_PKS3_PKT0_S9_ifPKiSB_iPKfiiiSD_SD_iiiii
	.p2align	8
	.type	_ZN4vllm25paged_attention_v2_kernelIttLi112ELi8ELi128ELNS_18Fp8KVCacheDataTypeE0ELb0ELi512EEEvPfS2_PT_PKS3_PKT0_S9_ifPKiSB_iPKfiiiSD_SD_iiiii,@function
_ZN4vllm25paged_attention_v2_kernelIttLi112ELi8ELi128ELNS_18Fp8KVCacheDataTypeE0ELb0ELi512EEEvPfS2_PT_PKS3_PKT0_S9_ifPKiSB_iPKfiiiSD_SD_iiiii: ; @_ZN4vllm25paged_attention_v2_kernelIttLi112ELi8ELi128ELNS_18Fp8KVCacheDataTypeE0ELb0ELi512EEEvPfS2_PT_PKS3_PKT0_S9_ifPKiSB_iPKfiiiSD_SD_iiiii
; %bb.0:
	s_load_dwordx2 s[0:1], s[4:5], 0x40
	s_mov_b32 s22, s7
	s_ashr_i32 s23, s7, 31
	s_lshl_b64 s[2:3], s[22:23], 2
	s_waitcnt lgkmcnt(0)
	s_add_u32 s0, s0, s2
	s_addc_u32 s1, s1, s3
	s_lshl_b32 s33, s8, 9
	s_load_dword s23, s[0:1], 0x0
	s_waitcnt lgkmcnt(0)
	s_cmp_ge_i32 s33, s23
	s_cbranch_scc1 .LBB85_61
; %bb.1:
	s_clause 0x1
	s_load_dword s9, s[4:5], 0x90
	s_load_dwordx2 s[30:31], s[4:5], 0x30
	s_mov_b32 s34, 0
	s_waitcnt lgkmcnt(0)
	s_abs_i32 s3, s9
	s_abs_i32 s0, s30
	v_cvt_f32_u32_e32 v1, s0
	s_sub_i32 s2, 0, s0
	v_rcp_iflag_f32_e32 v1, v1
	v_mul_f32_e32 v1, 0x4f7ffffe, v1
	v_cvt_u32_f32_e32 v1, v1
	v_readfirstlane_b32 s1, v1
	s_mul_i32 s2, s2, s1
	s_mul_hi_u32 s2, s1, s2
	s_add_i32 s1, s1, s2
	s_xor_b32 s2, s9, s30
	s_mul_hi_u32 s1, s3, s1
	s_ashr_i32 s2, s2, 31
	s_mul_i32 s7, s1, s0
	s_sub_i32 s3, s3, s7
	s_add_i32 s7, s1, 1
	s_sub_i32 s10, s3, s0
	s_cmp_ge_u32 s3, s0
	s_cselect_b32 s1, s7, s1
	s_cselect_b32 s3, s10, s3
	s_add_i32 s7, s1, 1
	s_cmp_ge_u32 s3, s0
	s_cselect_b32 s0, s7, s1
	s_abs_i32 s16, s6
	s_xor_b32 s0, s0, s2
	s_sub_i32 s10, s0, s2
	s_load_dwordx2 s[0:1], s[4:5], 0x50
	s_abs_i32 s2, s10
	v_cvt_f32_u32_e32 v1, s2
	s_sub_i32 s7, 0, s2
	v_rcp_iflag_f32_e32 v1, v1
	v_mul_f32_e32 v1, 0x4f7ffffe, v1
	v_cvt_u32_f32_e32 v1, v1
	v_readfirstlane_b32 s3, v1
	s_mul_i32 s7, s7, s3
	s_mul_hi_u32 s7, s3, s7
	s_add_i32 s3, s3, s7
	s_waitcnt lgkmcnt(0)
	s_cmp_eq_u64 s[0:1], 0
	s_mul_hi_u32 s3, s16, s3
	s_cbranch_scc1 .LBB85_3
; %bb.2:
	s_ashr_i32 s7, s6, 31
	s_lshl_b64 s[12:13], s[6:7], 2
	s_add_u32 s0, s0, s12
	s_addc_u32 s1, s1, s13
	s_load_dword s34, s[0:1], 0x0
.LBB85_3:
	s_load_dwordx4 s[12:15], s[4:5], 0x58
	v_and_b32_e32 v1, 3, v0
	v_lshlrev_b32_e32 v2, 2, v0
	s_ashr_i32 s0, s6, 31
	s_ashr_i32 s1, s10, 31
	s_mul_i32 s10, s6, 0x70
	s_mov_b32 s7, exec_lo
	v_cmpx_gt_u32_e32 56, v0
	s_cbranch_execz .LBB85_5
; %bb.4:
	s_load_dwordx2 s[18:19], s[4:5], 0x18
	s_waitcnt lgkmcnt(0)
	s_mul_i32 s20, s12, s22
	v_and_b32_e32 v4, 0x3fc, v0
	s_ashr_i32 s21, s20, 31
	s_lshl_b64 s[20:21], s[20:21], 1
	v_mad_u32_u24 v4, v1, 56, v4
	s_add_u32 s12, s18, s20
	s_addc_u32 s15, s19, s21
	s_ashr_i32 s11, s10, 31
	s_lshl_b64 s[18:19], s[10:11], 1
	s_add_u32 s18, s12, s18
	s_addc_u32 s19, s15, s19
	global_load_dword v3, v2, s[18:19]
	s_waitcnt vmcnt(0)
	ds_write_b32 v4, v3
.LBB85_5:
	s_or_b32 exec_lo, exec_lo, s7
	s_add_i32 s7, s23, 7
	s_load_dwordx2 s[24:25], s[4:5], 0x38
	s_waitcnt lgkmcnt(0)
	s_load_dword s15, s[4:5], 0x48
	s_ashr_i32 s11, s7, 31
	s_lshl_b32 s30, s8, 6
	s_lshr_b32 s11, s11, 29
	s_xor_b32 s0, s0, s1
	s_add_i32 s7, s7, s11
	s_add_i32 s1, s30, 64
	s_ashr_i32 s12, s7, 3
	s_mul_i32 s7, s3, s2
	s_min_i32 s11, s1, s12
	s_sub_i32 s1, s16, s7
	s_add_i32 s7, s3, 1
	s_sub_i32 s16, s1, s2
	s_cmp_ge_u32 s1, s2
	v_lshrrev_b32_e32 v10, 5, v0
	s_cselect_b32 s3, s7, s3
	s_cselect_b32 s1, s16, s1
	s_add_i32 s7, s3, 1
	s_cmp_ge_u32 s1, s2
	v_or_b32_e32 v5, s30, v10
	s_cselect_b32 s1, s7, s3
	v_mbcnt_lo_u32_b32 v4, -1, 0
	s_xor_b32 s1, s1, s0
	s_waitcnt lgkmcnt(0)
	s_mul_i32 s26, s15, s22
	s_sub_i32 s1, s1, s0
	v_cmp_gt_i32_e64 s0, s11, v5
	s_ashr_i32 s27, s26, 31
	s_mov_b32 s2, exec_lo
	s_barrier
	buffer_gl0_inv
                                        ; implicit-def: $vgpr7
                                        ; implicit-def: $vgpr8
	v_cmpx_le_i32_e64 s11, v5
	s_xor_b32 s2, exec_lo, s2
; %bb.6:
	v_mov_b32_e32 v7, 0
	v_mbcnt_lo_u32_b32 v4, -1, 0
	v_mov_b32_e32 v8, 32
                                        ; implicit-def: $vgpr2
                                        ; implicit-def: $vgpr1
; %bb.7:
	s_or_saveexec_b32 s35, s2
	s_clause 0x3
	s_load_dwordx4 s[16:19], s[4:5], 0x0
	s_load_dwordx2 s[20:21], s[4:5], 0x10
	s_load_dwordx2 s[28:29], s[4:5], 0x28
	s_load_dword s7, s[4:5], 0x98
	v_mov_b32_e32 v9, 0xff7fffff
	v_ashrrev_i32_e32 v6, 31, v5
	v_lshlrev_b32_e32 v3, 3, v10
	s_mul_i32 s14, s1, s14
	s_xor_b32 exec_lo, exec_lo, s35
	s_cbranch_execz .LBB85_13
; %bb.8:
	s_load_dwordx2 s[2:3], s[4:5], 0x20
	v_bfe_u32 v8, v0, 2, 3
	s_ashr_i32 s15, s14, 31
	v_and_b32_e32 v14, 12, v2
	s_lshl_b64 s[4:5], s[14:15], 1
	v_mul_u32_u24_e32 v11, 56, v1
	v_lshlrev_b32_e32 v9, 2, v8
	v_lshlrev_b32_e32 v15, 4, v8
	v_add3_u32 v12, s33, v3, v8
	v_cmp_eq_u32_e32 vcc_lo, 0, v1
	v_lshlrev_b64 v[1:2], 2, v[5:6]
	v_lshl_or_b32 v9, v10, 5, v9
	v_mov_b32_e32 v7, 0
	v_cmp_neq_f32_e64 s1, s34, 0
	v_xor_b32_e32 v16, 2, v4
	v_xor_b32_e32 v17, 1, v4
	v_add_nc_u32_e32 v13, 0x100, v9
	v_mov_b32_e32 v18, v5
	s_waitcnt lgkmcnt(0)
	s_add_u32 s15, s2, s4
	s_addc_u32 s5, s3, s5
	v_add_co_u32 v8, s15, s15, v15
	v_add_co_ci_u32_e64 v9, null, s5, 0, s15
	s_lshl_b64 s[2:3], s[26:27], 2
	s_sub_i32 s4, 1, s23
	s_add_u32 s5, s24, s2
	v_add_co_u32 v14, s2, v8, v14
	s_addc_u32 s3, s25, s3
	v_add_co_ci_u32_e64 v15, null, 0, v9, s2
	v_add_co_u32 v1, s2, s5, v1
	v_add_co_ci_u32_e64 v2, null, s3, v2, s2
	v_mov_b32_e32 v9, 0xff7fffff
	v_mov_b32_e32 v8, 32
	s_mov_b32 s15, s13
	s_mov_b32 s5, 0
	s_branch .LBB85_10
.LBB85_9:                               ;   in Loop: Header=BB85_10 Depth=1
	s_or_b32 exec_lo, exec_lo, s3
	v_add_nc_u32_e32 v18, 4, v18
	v_add_co_u32 v1, s3, v1, 16
	v_add_nc_u32_e32 v12, 32, v12
	v_add_nc_u32_e32 v13, 0x80, v13
	v_cmp_le_i32_e64 s2, s11, v18
	v_add_co_ci_u32_e64 v2, null, 0, v2, s3
	s_or_b32 s5, s2, s5
	s_andn2_b32 exec_lo, exec_lo, s5
	s_cbranch_execz .LBB85_12
.LBB85_10:                              ; =>This Inner Loop Header: Depth=1
	global_load_dword v19, v[1:2], off
	s_waitcnt vmcnt(0) lgkmcnt(0)
	v_mad_i64_i32 v[19:20], null, v19, s15, 0
	v_lshlrev_b64 v[19:20], 1, v[19:20]
	v_add_co_u32 v21, s2, v14, v19
	v_add_co_ci_u32_e64 v22, null, v15, v20, s2
	v_cmp_gt_i32_e64 s2, 32, v16
	s_clause 0xb
	global_load_dword v19, v[21:22], off
	global_load_dword v23, v[21:22], off offset:128
	global_load_dword v24, v[21:22], off offset:256
	;; [unrolled: 1-line block ×11, first 2 shown]
	ds_read_b32 v20, v11
	s_waitcnt lgkmcnt(0)
	v_lshrrev_b32_e32 v34, 16, v20
	v_and_b32_e32 v35, 0xffff, v20
	s_waitcnt vmcnt(11)
	v_lshrrev_b32_e32 v36, 16, v19
	v_and_b32_e32 v37, 0xffff, v19
	s_clause 0x1
	global_load_dword v20, v[21:22], off offset:1536
	global_load_dword v19, v[21:22], off offset:1664
	;;#ASMSTART
	v_cvt_f32_f16 v21, v35;
	;;#ASMEND
	;;#ASMSTART
	v_cvt_f32_f16 v22, v34;
	;;#ASMEND
	;; [unrolled: 3-line block ×4, first 2 shown]
	ds_read_b32 v36, v11 offset:4
	s_waitcnt vmcnt(12)
	v_and_b32_e32 v38, 0xffff, v23
	v_lshrrev_b32_e32 v39, 16, v23
	s_waitcnt vmcnt(11)
	v_and_b32_e32 v41, 0xffff, v24
	v_lshrrev_b32_e32 v42, 16, v24
	;; [unrolled: 3-line block ×9, first 2 shown]
	s_waitcnt vmcnt(3)
	v_and_b32_e32 v65, 0xffff, v32
	s_waitcnt lgkmcnt(0)
	v_and_b32_e32 v37, 0xffff, v36
	v_lshrrev_b32_e32 v36, 16, v36
	;;#ASMSTART
	v_cvt_f32_f16 v23, v37;
	;;#ASMEND
	;;#ASMSTART
	v_cvt_f32_f16 v36, v36;
	;;#ASMEND
	;; [unrolled: 3-line block ×4, first 2 shown]
	ds_read_b32 v39, v11 offset:8
	v_mul_f32_e32 v23, v23, v37
	v_mul_f32_e32 v36, v36, v38
	v_lshrrev_b32_e32 v66, 16, v32
	s_waitcnt vmcnt(2)
	v_lshrrev_b32_e32 v37, 16, v33
	v_and_b32_e32 v33, 0xffff, v33
	v_fmac_f32_e32 v23, v21, v34
	v_fmac_f32_e32 v36, v22, v35
	s_waitcnt lgkmcnt(0)
	v_and_b32_e32 v40, 0xffff, v39
	v_lshrrev_b32_e32 v39, 16, v39
	;;#ASMSTART
	v_cvt_f32_f16 v24, v40;
	;;#ASMEND
	;;#ASMSTART
	v_cvt_f32_f16 v39, v39;
	;;#ASMEND
	;;#ASMSTART
	v_cvt_f32_f16 v40, v41;
	;;#ASMEND
	;;#ASMSTART
	v_cvt_f32_f16 v41, v42;
	;;#ASMEND
	ds_read_b32 v42, v11 offset:12
	v_fmac_f32_e32 v23, v24, v40
	v_fmac_f32_e32 v36, v39, v41
	s_waitcnt lgkmcnt(0)
	v_and_b32_e32 v43, 0xffff, v42
	v_lshrrev_b32_e32 v42, 16, v42
	;;#ASMSTART
	v_cvt_f32_f16 v25, v43;
	;;#ASMEND
	;;#ASMSTART
	v_cvt_f32_f16 v42, v42;
	;;#ASMEND
	;;#ASMSTART
	v_cvt_f32_f16 v43, v44;
	;;#ASMEND
	;;#ASMSTART
	v_cvt_f32_f16 v44, v45;
	;;#ASMEND
	ds_read_b32 v45, v11 offset:16
	;; [unrolled: 18-line block ×6, first 2 shown]
	v_fmac_f32_e32 v23, v29, v55
	v_fmac_f32_e32 v36, v54, v56
	v_cndmask_b32_e64 v29, v4, v16, s2
	v_cmp_gt_i32_e64 s2, 32, v17
	s_waitcnt lgkmcnt(0)
	v_and_b32_e32 v58, 0xffff, v57
	v_lshrrev_b32_e32 v57, 16, v57
	;;#ASMSTART
	v_cvt_f32_f16 v30, v58;
	;;#ASMEND
	;;#ASMSTART
	v_cvt_f32_f16 v57, v57;
	;;#ASMEND
	;;#ASMSTART
	v_cvt_f32_f16 v58, v59;
	;;#ASMEND
	;;#ASMSTART
	v_cvt_f32_f16 v59, v60;
	;;#ASMEND
	ds_read_b32 v60, v11 offset:36
	v_fmac_f32_e32 v23, v30, v58
	v_fmac_f32_e32 v36, v57, v59
	s_waitcnt lgkmcnt(0)
	v_and_b32_e32 v61, 0xffff, v60
	v_lshrrev_b32_e32 v60, 16, v60
	;;#ASMSTART
	v_cvt_f32_f16 v31, v61;
	;;#ASMEND
	;;#ASMSTART
	v_cvt_f32_f16 v60, v60;
	;;#ASMEND
	;;#ASMSTART
	v_cvt_f32_f16 v61, v62;
	;;#ASMEND
	;;#ASMSTART
	v_cvt_f32_f16 v62, v63;
	;;#ASMEND
	ds_read_b32 v63, v11 offset:40
	v_fmac_f32_e32 v23, v31, v61
	v_fmac_f32_e32 v36, v60, v62
	;; [unrolled: 18-line block ×4, first 2 shown]
	s_waitcnt lgkmcnt(0)
	v_and_b32_e32 v25, 0xffff, v34
	v_lshrrev_b32_e32 v26, 16, v34
	s_waitcnt vmcnt(1)
	v_lshrrev_b32_e32 v27, 16, v20
	v_and_b32_e32 v28, 0xffff, v20
	;;#ASMSTART
	v_cvt_f32_f16 v20, v25;
	;;#ASMEND
	;;#ASMSTART
	v_cvt_f32_f16 v25, v26;
	;;#ASMEND
	;; [unrolled: 3-line block ×4, first 2 shown]
	ds_read_b32 v28, v11 offset:52
	v_fmac_f32_e32 v23, v20, v26
	v_fmac_f32_e32 v36, v25, v27
	s_waitcnt vmcnt(0)
	v_lshrrev_b32_e32 v30, 16, v19
	v_and_b32_e32 v24, 0xffff, v19
	s_waitcnt lgkmcnt(0)
	v_and_b32_e32 v21, 0xffff, v28
	v_lshrrev_b32_e32 v22, 16, v28
	;;#ASMSTART
	v_cvt_f32_f16 v19, v21;
	;;#ASMEND
	;;#ASMSTART
	v_cvt_f32_f16 v20, v22;
	;;#ASMEND
	;; [unrolled: 3-line block ×4, first 2 shown]
	v_fmac_f32_e32 v23, v19, v21
	v_fmac_f32_e32 v36, v20, v22
	v_lshlrev_b32_e32 v19, 2, v29
	v_cndmask_b32_e64 v21, v4, v17, s2
	v_add_f32_e32 v20, v23, v36
	ds_bpermute_b32 v19, v19, v20
	s_waitcnt lgkmcnt(0)
	v_add_f32_e32 v19, v20, v19
	v_lshlrev_b32_e32 v20, 2, v21
	ds_bpermute_b32 v20, v20, v19
	s_and_saveexec_b32 s3, vcc_lo
	s_cbranch_execz .LBB85_9
; %bb.11:                               ;   in Loop: Header=BB85_10 Depth=1
	v_add_nc_u32_e32 v21, s4, v12
	s_waitcnt lgkmcnt(0)
	v_add_f32_e32 v19, v19, v20
	v_cmp_gt_i32_e64 s2, s23, v12
	v_cvt_f32_i32_e32 v21, v21
	v_mul_f32_e32 v21, s34, v21
	v_cndmask_b32_e64 v20, 0, v21, s1
	v_max_f32_e32 v21, v9, v9
	v_fmac_f32_e32 v20, s31, v19
	v_max_f32_e32 v19, v21, v20
	v_cndmask_b32_e64 v20, 0, v20, s2
	v_cndmask_b32_e64 v9, v9, v19, s2
	ds_write_b32 v13, v20
	s_branch .LBB85_9
.LBB85_12:
	s_or_b32 exec_lo, exec_lo, s5
.LBB85_13:
	s_or_b32 exec_lo, exec_lo, s35
	v_xor_b32_e32 v1, 16, v4
	v_xor_b32_e32 v11, 8, v4
	v_max_f32_e32 v12, v9, v9
	v_lshlrev_b32_e32 v13, 2, v10
	v_cmp_lt_i32_e32 vcc_lo, v1, v8
	v_cndmask_b32_e32 v1, v4, v1, vcc_lo
	v_cmp_lt_i32_e32 vcc_lo, v11, v8
	v_lshlrev_b32_e32 v2, 2, v1
	ds_bpermute_b32 v1, v2, v9
	v_cndmask_b32_e32 v9, v4, v11, vcc_lo
	v_lshlrev_b32_e32 v9, 2, v9
	s_waitcnt lgkmcnt(0)
	v_max_f32_e32 v1, v1, v1
	v_max_f32_e32 v1, v12, v1
	v_xor_b32_e32 v12, 4, v4
	ds_bpermute_b32 v11, v9, v1
	v_cmp_lt_i32_e32 vcc_lo, v12, v8
	v_cndmask_b32_e32 v12, v4, v12, vcc_lo
	v_lshlrev_b32_e32 v15, 2, v12
	s_waitcnt lgkmcnt(0)
	v_max_f32_e32 v11, v11, v11
	v_max_f32_e32 v1, v1, v11
	v_and_b32_e32 v11, 31, v0
	ds_bpermute_b32 v12, v15, v1
	v_cmp_eq_u32_e32 vcc_lo, 0, v11
	s_and_saveexec_b32 s1, vcc_lo
	s_cbranch_execz .LBB85_15
; %bb.14:
	s_waitcnt lgkmcnt(0)
	v_max_f32_e32 v12, v12, v12
	v_max_f32_e32 v1, v1, v1
	;; [unrolled: 1-line block ×3, first 2 shown]
	ds_write_b32 v13, v1 offset:224
.LBB85_15:
	s_or_b32 exec_lo, exec_lo, s1
	v_cmp_gt_u32_e64 s1, 4, v11
	v_mov_b32_e32 v1, 0xff7fffff
	v_lshlrev_b32_e32 v14, 2, v11
	s_waitcnt lgkmcnt(0)
	s_barrier
	buffer_gl0_inv
	s_and_saveexec_b32 s2, s1
; %bb.16:
	ds_read_b32 v1, v14 offset:224
; %bb.17:
	s_or_b32 exec_lo, exec_lo, s2
	v_xor_b32_e32 v12, 2, v4
	v_xor_b32_e32 v17, 1, v4
	v_lshlrev_b32_e32 v7, 2, v7
	v_cmp_lt_i32_e64 s2, v12, v8
	v_cndmask_b32_e64 v12, v4, v12, s2
	v_cmp_lt_i32_e64 s2, v17, v8
	v_lshlrev_b32_e32 v16, 2, v12
	v_cndmask_b32_e64 v8, v4, v17, s2
	s_sub_i32 s2, s11, s30
	s_lshl_b32 s2, s2, 3
	s_waitcnt lgkmcnt(0)
	ds_bpermute_b32 v12, v16, v1
	v_max_f32_e32 v1, v1, v1
	v_lshlrev_b32_e32 v8, 2, v8
	s_add_i32 s2, s2, s33
	s_min_i32 s2, s2, s23
	s_sub_i32 s4, s2, s33
	v_cmp_gt_i32_e64 s2, s4, v0
	s_waitcnt lgkmcnt(0)
	v_max_f32_e32 v12, v12, v12
	v_max_f32_e32 v1, v1, v12
	ds_bpermute_b32 v12, v8, v1
	s_waitcnt lgkmcnt(0)
	v_max_f32_e32 v12, v12, v12
	v_max_f32_e32 v1, v1, v12
	v_lshl_add_u32 v12, v0, 2, 0x100
	ds_bpermute_b32 v1, v7, v1
	v_mov_b32_e32 v7, 0
	s_and_saveexec_b32 s5, s2
	s_cbranch_execz .LBB85_21
; %bb.18:
	v_lshl_add_u32 v17, v0, 2, 0x100
	v_mov_b32_e32 v7, 0
	v_mov_b32_e32 v18, v0
	s_mov_b32 s15, 0
	.p2align	6
.LBB85_19:                              ; =>This Inner Loop Header: Depth=1
	ds_read_b32 v19, v17
	v_add_nc_u32_e32 v18, 0x80, v18
	v_cmp_le_i32_e64 s3, s4, v18
	s_or_b32 s15, s3, s15
	s_waitcnt lgkmcnt(0)
	v_sub_f32_e32 v19, v19, v1
	v_mul_f32_e32 v19, 0x3fb8aa3b, v19
	v_exp_f32_e32 v19, v19
	ds_write_b32 v17, v19
	v_add_f32_e32 v7, v7, v19
	v_add_nc_u32_e32 v17, 0x200, v17
	s_andn2_b32 exec_lo, exec_lo, s15
	s_cbranch_execnz .LBB85_19
; %bb.20:
	s_or_b32 exec_lo, exec_lo, s15
.LBB85_21:
	s_or_b32 exec_lo, exec_lo, s5
	ds_bpermute_b32 v2, v2, v7
	s_waitcnt lgkmcnt(0)
	v_add_f32_e32 v2, v7, v2
	ds_bpermute_b32 v7, v9, v2
	s_waitcnt lgkmcnt(0)
	v_add_f32_e32 v2, v2, v7
	;; [unrolled: 3-line block ×5, first 2 shown]
	s_and_saveexec_b32 s3, vcc_lo
; %bb.22:
	ds_write_b32 v13, v2 offset:240
; %bb.23:
	s_or_b32 exec_lo, exec_lo, s3
	s_waitcnt lgkmcnt(0)
	s_barrier
	buffer_gl0_inv
	s_and_saveexec_b32 s3, s1
; %bb.24:
	ds_read_b32 v2, v14 offset:240
; %bb.25:
	s_or_b32 exec_lo, exec_lo, s3
	s_waitcnt lgkmcnt(0)
	ds_bpermute_b32 v7, v16, v2
	v_lshlrev_b32_e32 v4, 2, v4
	v_and_b32_e32 v4, 0xffffff80, v4
	s_waitcnt lgkmcnt(0)
	v_add_f32_e32 v2, v2, v7
	ds_bpermute_b32 v7, v8, v2
	s_waitcnt lgkmcnt(0)
	v_add_f32_e32 v2, v2, v7
	ds_bpermute_b32 v2, v4, v2
	s_and_saveexec_b32 s1, s2
	s_cbranch_execz .LBB85_28
; %bb.26:
	s_waitcnt lgkmcnt(0)
	v_add_f32_e32 v7, 0x358637bd, v2
	s_mov_b32 s2, 0
	v_div_scale_f32 v4, null, v7, v7, 1.0
	v_div_scale_f32 v13, vcc_lo, 1.0, v7, 1.0
	v_rcp_f32_e32 v8, v4
	v_fma_f32 v9, -v4, v8, 1.0
	v_fmac_f32_e32 v8, v9, v8
	v_mul_f32_e32 v9, v13, v8
	v_fma_f32 v14, -v4, v9, v13
	v_fmac_f32_e32 v9, v14, v8
	v_fma_f32 v4, -v4, v9, v13
	v_div_fmas_f32 v8, v4, v8, v9
	v_mov_b32_e32 v4, v12
	v_div_fixup_f32 v7, v8, v7, 1.0
	v_mov_b32_e32 v8, v0
.LBB85_27:                              ; =>This Inner Loop Header: Depth=1
	ds_read_b32 v9, v4
	v_add_nc_u32_e32 v8, 0x80, v8
	v_cmp_le_i32_e32 vcc_lo, s4, v8
	s_or_b32 s2, vcc_lo, s2
	s_waitcnt lgkmcnt(0)
	v_mul_f32_e32 v9, v7, v9
	ds_write_b32 v4, v9
	v_add_nc_u32_e32 v4, 0x200, v4
	s_andn2_b32 exec_lo, exec_lo, s2
	s_cbranch_execnz .LBB85_27
.LBB85_28:
	s_or_b32 exec_lo, exec_lo, s1
	s_mul_i32 s1, s7, s22
	s_waitcnt lgkmcnt(0)
	s_mul_i32 s4, s1, s9
	s_mov_b32 s1, exec_lo
	s_barrier
	buffer_gl0_inv
	v_cmpx_eq_u32_e32 0, v0
	s_cbranch_execz .LBB85_30
; %bb.29:
	s_ashr_i32 s5, s4, 31
	s_mul_i32 s30, s7, s6
	s_lshl_b64 s[2:3], s[4:5], 2
	v_mov_b32_e32 v4, 0
	s_add_u32 s5, s18, s2
	s_addc_u32 s6, s19, s3
	s_ashr_i32 s31, s30, 31
	s_lshl_b64 s[18:19], s[30:31], 2
	s_add_u32 s5, s5, s18
	s_addc_u32 s6, s6, s19
	s_ashr_i32 s9, s8, 31
	s_lshl_b64 s[30:31], s[8:9], 2
	s_add_u32 s34, s5, s30
	s_addc_u32 s35, s6, s31
	s_add_u32 s2, s16, s2
	s_addc_u32 s3, s17, s3
	;; [unrolled: 2-line block ×4, first 2 shown]
	global_store_dword v4, v1, s[34:35]
	global_store_dword v4, v2, s[2:3]
.LBB85_30:
	s_or_b32 exec_lo, exec_lo, s1
	v_mov_b32_e32 v16, 0
	v_mov_b32_e32 v15, 0
	;; [unrolled: 1-line block ×4, first 2 shown]
	s_and_saveexec_b32 s3, s0
	s_cbranch_execz .LBB85_44
; %bb.31:
	v_or_b32_e32 v1, 0x60, v11
	s_ashr_i32 s15, s14, 31
	v_lshlrev_b32_e32 v4, 3, v11
	s_lshl_b64 s[0:1], s[14:15], 1
	v_mov_b32_e32 v17, 0
	s_add_u32 s5, s28, s0
	v_cmp_gt_u32_e64 s0, 0x70, v1
	v_lshlrev_b32_e32 v8, 3, v1
	v_lshlrev_b64 v[1:2], 2, v[5:6]
	s_addc_u32 s6, s29, s1
	s_lshl_b64 s[14:15], s[26:27], 2
	s_add_i32 s12, s12, -1
	s_add_u32 s1, s24, s14
	s_addc_u32 s2, s25, s15
	v_add_co_u32 v6, vcc_lo, s1, v1
	v_add3_u32 v18, s33, v3, 7
	v_lshl_add_u32 v19, v10, 5, 0x100
	v_add_co_ci_u32_e64 v7, null, s2, v2, vcc_lo
	v_lshlrev_b32_e32 v20, 1, v4
	v_lshlrev_b32_e32 v21, 1, v8
	v_mov_b32_e32 v13, 0
	v_mov_b32_e32 v14, 0
	v_mov_b32_e32 v15, 0
	v_mov_b32_e32 v16, 0
	s_mov_b32 s9, 0
	s_branch .LBB85_34
.LBB85_32:                              ;   in Loop: Header=BB85_34 Depth=1
	s_or_b32 exec_lo, exec_lo, s14
	v_lshlrev_b32_e32 v22, 16, v33
	v_lshlrev_b32_e32 v26, 16, v26
	;; [unrolled: 1-line block ×3, first 2 shown]
	v_and_or_b32 v1, 0xffff, v1, v22
	v_and_or_b32 v2, 0xffff, v2, v26
	;; [unrolled: 1-line block ×3, first 2 shown]
	;;#ASMSTART
	v_pk_mul_f16 v1, v28, v1;

	;;#ASMEND
	;;#ASMSTART
	v_pk_mul_f16 v2, v27, v2;

	;;#ASMEND
	;; [unrolled: 4-line block ×4, first 2 shown]
	;;#ASMSTART
	v_pk_add_f16 v1, v1, v2;

	;;#ASMEND
	;;#ASMSTART
	v_pk_add_f16 v1, v1, v3;

	;;#ASMEND
	;; [unrolled: 4-line block ×3, first 2 shown]
	v_and_b32_e32 v2, 0xffff, v1
	v_lshrrev_b32_e32 v3, 16, v1
	;;#ASMSTART
	v_cvt_f32_f16 v1, v2;
	;;#ASMEND
	;;#ASMSTART
	v_cvt_f32_f16 v2, v3;
	;;#ASMEND
	v_add_f32_e32 v1, v1, v2
	v_add_f32_e32 v13, v13, v1
.LBB85_33:                              ;   in Loop: Header=BB85_34 Depth=1
	s_or_b32 exec_lo, exec_lo, s2
	v_add_nc_u32_e32 v5, 4, v5
	v_add_f32_e32 v1, v8, v9
	v_add_f32_e32 v2, v31, v32
	;; [unrolled: 1-line block ×3, first 2 shown]
	v_add_co_u32 v6, s1, v6, 16
	v_cmp_le_i32_e32 vcc_lo, s11, v5
	v_add_f32_e32 v14, v14, v1
	v_add_f32_e32 v15, v15, v2
	;; [unrolled: 1-line block ×3, first 2 shown]
	v_add_nc_u32_e32 v18, 32, v18
	v_add_nc_u32_e32 v19, 0x80, v19
	v_add_co_ci_u32_e64 v7, null, 0, v7, s1
	s_or_b32 s9, vcc_lo, s9
	s_andn2_b32 exec_lo, exec_lo, s9
	s_cbranch_execz .LBB85_43
.LBB85_34:                              ; =>This Inner Loop Header: Depth=1
	global_load_dword v8, v[6:7], off
	ds_read2_b64 v[1:4], v19 offset1:1
	ds_read2_b64 v[32:35], v19 offset0:2 offset1:3
	s_waitcnt lgkmcnt(1)
	;;#ASMSTART
	v_cvt_f16_f32 v28, v1;

	;;#ASMEND
	;;#ASMSTART
	v_cvt_f16_f32 v23, v2;

	;;#ASMEND
	;;#ASMSTART
	v_cvt_f16_f32 v31, v3;

	;;#ASMEND
	;;#ASMSTART
	v_cvt_f16_f32 v27, v4;

	;;#ASMEND
	s_waitcnt lgkmcnt(0)
	;;#ASMSTART
	v_cvt_f16_f32 v32, v32;

	;;#ASMEND
	;;#ASMSTART
	v_cvt_f16_f32 v29, v33;

	;;#ASMEND
	;; [unrolled: 4-line block ×4, first 2 shown]
	v_add_nc_u32_e32 v22, -7, v18
	v_cmp_eq_u32_e64 s1, s12, v5
	s_waitcnt vmcnt(0)
	v_mad_i64_i32 v[8:9], null, v8, s13, 0
	v_lshlrev_b64 v[8:9], 1, v[8:9]
	v_add_co_u32 v25, vcc_lo, s5, v8
	v_add_co_ci_u32_e64 v26, null, s6, v9, vcc_lo
	v_add_co_u32 v8, vcc_lo, v25, v20
	v_add_co_ci_u32_e64 v9, null, 0, v26, vcc_lo
	global_load_dwordx4 v[1:4], v[8:9], off
	s_waitcnt vmcnt(0)
	v_lshrrev_b32_e32 v35, 16, v1
	v_lshrrev_b32_e32 v34, 16, v2
	v_lshrrev_b32_e32 v33, 16, v3
	s_and_saveexec_b32 s14, s1
	s_cbranch_execz .LBB85_36
; %bb.35:                               ;   in Loop: Header=BB85_34 Depth=1
	v_add_nc_u32_e32 v36, -6, v18
	v_cmp_gt_i32_e32 vcc_lo, s23, v22
	v_add_nc_u32_e32 v37, -5, v18
	v_add_nc_u32_e32 v39, -1, v18
	;; [unrolled: 1-line block ×3, first 2 shown]
	v_cndmask_b32_e32 v1, 0, v1, vcc_lo
	v_cmp_gt_i32_e32 vcc_lo, s23, v36
	v_add_nc_u32_e32 v36, -3, v18
	v_cmp_gt_i32_e64 s2, s23, v38
	v_and_b32_e32 v38, 0xffff0000, v4
	v_cndmask_b32_e32 v35, 0, v35, vcc_lo
	v_cmp_gt_i32_e32 vcc_lo, s23, v37
	v_add_nc_u32_e32 v37, -2, v18
	v_cndmask_b32_e64 v34, 0, v34, s2
	v_cndmask_b32_e32 v2, 0, v2, vcc_lo
	v_cmp_gt_i32_e32 vcc_lo, s23, v39
	v_cndmask_b32_sdwa v4, v17, v4, vcc_lo dst_sel:DWORD dst_unused:UNUSED_PAD src0_sel:DWORD src1_sel:WORD_0
	v_cmp_gt_i32_e32 vcc_lo, s23, v18
	v_cndmask_b32_e32 v38, 0, v38, vcc_lo
	v_cmp_gt_i32_e32 vcc_lo, s23, v36
	v_or_b32_e32 v4, v4, v38
	v_cndmask_b32_e32 v3, 0, v3, vcc_lo
	v_cmp_gt_i32_e32 vcc_lo, s23, v37
	v_cndmask_b32_e32 v33, 0, v33, vcc_lo
.LBB85_36:                              ;   in Loop: Header=BB85_34 Depth=1
	s_or_b32 exec_lo, exec_lo, s14
	v_and_b32_e32 v28, 0xffff, v28
	v_and_b32_e32 v31, 0xffff, v31
	v_lshlrev_b32_e32 v35, 16, v35
	v_and_b32_e32 v32, 0xffff, v32
	v_and_b32_e32 v30, 0xffff, v30
	v_lshl_or_b32 v28, v23, 16, v28
	v_lshl_or_b32 v27, v27, 16, v31
	v_lshlrev_b32_e32 v23, 16, v34
	v_lshlrev_b32_e32 v31, 16, v33
	v_and_or_b32 v1, 0xffff, v1, v35
	;;#ASMSTART
	v_pk_mul_f16 v1, v28, v1;

	;;#ASMEND
	v_lshl_or_b32 v29, v29, 16, v32
	v_and_or_b32 v2, 0xffff, v2, v23
	v_and_or_b32 v3, 0xffff, v3, v31
	v_lshl_or_b32 v30, v24, 16, v30
	;;#ASMSTART
	v_pk_mul_f16 v2, v27, v2;

	;;#ASMEND
	;;#ASMSTART
	v_pk_mul_f16 v3, v29, v3;

	;;#ASMEND
	;; [unrolled: 4-line block ×3, first 2 shown]
	;;#ASMSTART
	v_pk_add_f16 v1, v1, v2;

	;;#ASMEND
	;;#ASMSTART
	v_pk_add_f16 v1, v1, v3;

	;;#ASMEND
	;; [unrolled: 4-line block ×3, first 2 shown]
	v_and_b32_e32 v2, 0xffff, v1
	v_lshrrev_b32_e32 v1, 16, v1
	;;#ASMSTART
	v_cvt_f32_f16 v23, v2;
	;;#ASMEND
	;;#ASMSTART
	v_cvt_f32_f16 v24, v1;
	;;#ASMEND
	global_load_dwordx4 v[1:4], v[8:9], off offset:512
	s_waitcnt vmcnt(0)
	v_lshrrev_b32_e32 v33, 16, v1
	v_lshrrev_b32_e32 v32, 16, v2
	;; [unrolled: 1-line block ×3, first 2 shown]
	s_and_saveexec_b32 s14, s1
	s_cbranch_execz .LBB85_38
; %bb.37:                               ;   in Loop: Header=BB85_34 Depth=1
	v_add_nc_u32_e32 v34, -6, v18
	v_cmp_gt_i32_e32 vcc_lo, s23, v22
	v_add_nc_u32_e32 v35, -5, v18
	v_add_nc_u32_e32 v37, -1, v18
	;; [unrolled: 1-line block ×3, first 2 shown]
	v_cndmask_b32_e32 v1, 0, v1, vcc_lo
	v_cmp_gt_i32_e32 vcc_lo, s23, v34
	v_add_nc_u32_e32 v34, -3, v18
	v_cmp_gt_i32_e64 s2, s23, v36
	v_and_b32_e32 v36, 0xffff0000, v4
	v_cndmask_b32_e32 v33, 0, v33, vcc_lo
	v_cmp_gt_i32_e32 vcc_lo, s23, v35
	v_add_nc_u32_e32 v35, -2, v18
	v_cndmask_b32_e64 v32, 0, v32, s2
	v_cndmask_b32_e32 v2, 0, v2, vcc_lo
	v_cmp_gt_i32_e32 vcc_lo, s23, v37
	v_cndmask_b32_sdwa v4, v17, v4, vcc_lo dst_sel:DWORD dst_unused:UNUSED_PAD src0_sel:DWORD src1_sel:WORD_0
	v_cmp_gt_i32_e32 vcc_lo, s23, v18
	v_cndmask_b32_e32 v36, 0, v36, vcc_lo
	v_cmp_gt_i32_e32 vcc_lo, s23, v34
	v_or_b32_e32 v4, v4, v36
	v_cndmask_b32_e32 v3, 0, v3, vcc_lo
	v_cmp_gt_i32_e32 vcc_lo, s23, v35
	v_cndmask_b32_e32 v31, 0, v31, vcc_lo
.LBB85_38:                              ;   in Loop: Header=BB85_34 Depth=1
	s_or_b32 exec_lo, exec_lo, s14
	v_lshlrev_b32_e32 v33, 16, v33
	v_lshlrev_b32_e32 v32, 16, v32
	;; [unrolled: 1-line block ×3, first 2 shown]
	v_and_or_b32 v1, 0xffff, v1, v33
	v_and_or_b32 v2, 0xffff, v2, v32
	;; [unrolled: 1-line block ×3, first 2 shown]
	;;#ASMSTART
	v_pk_mul_f16 v1, v28, v1;

	;;#ASMEND
	;;#ASMSTART
	v_pk_mul_f16 v2, v27, v2;

	;;#ASMEND
	;; [unrolled: 4-line block ×4, first 2 shown]
	;;#ASMSTART
	v_pk_add_f16 v1, v1, v2;

	;;#ASMEND
	;;#ASMSTART
	v_pk_add_f16 v1, v1, v3;

	;;#ASMEND
	;; [unrolled: 4-line block ×3, first 2 shown]
	v_and_b32_e32 v2, 0xffff, v1
	v_lshrrev_b32_e32 v1, 16, v1
	;;#ASMSTART
	v_cvt_f32_f16 v31, v2;
	;;#ASMEND
	;;#ASMSTART
	v_cvt_f32_f16 v32, v1;
	;;#ASMEND
	global_load_dwordx4 v[1:4], v[8:9], off offset:1024
	s_waitcnt vmcnt(0)
	v_lshrrev_b32_e32 v33, 16, v1
	v_lshrrev_b32_e32 v9, 16, v2
	;; [unrolled: 1-line block ×3, first 2 shown]
	s_and_saveexec_b32 s14, s1
	s_cbranch_execz .LBB85_40
; %bb.39:                               ;   in Loop: Header=BB85_34 Depth=1
	v_add_nc_u32_e32 v34, -6, v18
	v_cmp_gt_i32_e32 vcc_lo, s23, v22
	v_add_nc_u32_e32 v35, -5, v18
	v_add_nc_u32_e32 v37, -1, v18
	;; [unrolled: 1-line block ×3, first 2 shown]
	v_cndmask_b32_e32 v1, 0, v1, vcc_lo
	v_cmp_gt_i32_e32 vcc_lo, s23, v34
	v_add_nc_u32_e32 v34, -3, v18
	v_cmp_gt_i32_e64 s2, s23, v36
	v_and_b32_e32 v36, 0xffff0000, v4
	v_cndmask_b32_e32 v33, 0, v33, vcc_lo
	v_cmp_gt_i32_e32 vcc_lo, s23, v35
	v_add_nc_u32_e32 v35, -2, v18
	v_cndmask_b32_e64 v9, 0, v9, s2
	v_cndmask_b32_e32 v2, 0, v2, vcc_lo
	v_cmp_gt_i32_e32 vcc_lo, s23, v37
	v_cndmask_b32_sdwa v4, v17, v4, vcc_lo dst_sel:DWORD dst_unused:UNUSED_PAD src0_sel:DWORD src1_sel:WORD_0
	v_cmp_gt_i32_e32 vcc_lo, s23, v18
	v_cndmask_b32_e32 v36, 0, v36, vcc_lo
	v_cmp_gt_i32_e32 vcc_lo, s23, v34
	v_or_b32_e32 v4, v4, v36
	v_cndmask_b32_e32 v3, 0, v3, vcc_lo
	v_cmp_gt_i32_e32 vcc_lo, s23, v35
	v_cndmask_b32_e32 v8, 0, v8, vcc_lo
.LBB85_40:                              ;   in Loop: Header=BB85_34 Depth=1
	s_or_b32 exec_lo, exec_lo, s14
	v_lshlrev_b32_e32 v33, 16, v33
	v_lshlrev_b32_e32 v9, 16, v9
	;; [unrolled: 1-line block ×3, first 2 shown]
	v_and_or_b32 v1, 0xffff, v1, v33
	v_and_or_b32 v2, 0xffff, v2, v9
	;; [unrolled: 1-line block ×3, first 2 shown]
	;;#ASMSTART
	v_pk_mul_f16 v1, v28, v1;

	;;#ASMEND
	;;#ASMSTART
	v_pk_mul_f16 v2, v27, v2;

	;;#ASMEND
	;; [unrolled: 4-line block ×4, first 2 shown]
	;;#ASMSTART
	v_pk_add_f16 v1, v1, v2;

	;;#ASMEND
	;;#ASMSTART
	v_pk_add_f16 v1, v1, v3;

	;;#ASMEND
	;; [unrolled: 4-line block ×3, first 2 shown]
	v_and_b32_e32 v2, 0xffff, v1
	v_lshrrev_b32_e32 v1, 16, v1
	;;#ASMSTART
	v_cvt_f32_f16 v8, v2;
	;;#ASMEND
	;;#ASMSTART
	v_cvt_f32_f16 v9, v1;
	;;#ASMEND
	s_and_saveexec_b32 s2, s0
	s_cbranch_execz .LBB85_33
; %bb.41:                               ;   in Loop: Header=BB85_34 Depth=1
	v_add_co_u32 v1, vcc_lo, v25, v21
	v_add_co_ci_u32_e64 v2, null, 0, v26, vcc_lo
	global_load_dwordx4 v[1:4], v[1:2], off
	s_waitcnt vmcnt(0)
	v_lshrrev_b32_e32 v33, 16, v1
	v_lshrrev_b32_e32 v26, 16, v2
	;; [unrolled: 1-line block ×3, first 2 shown]
	s_and_saveexec_b32 s14, s1
	s_cbranch_execz .LBB85_32
; %bb.42:                               ;   in Loop: Header=BB85_34 Depth=1
	v_add_nc_u32_e32 v34, -6, v18
	v_cmp_gt_i32_e32 vcc_lo, s23, v22
	v_add_nc_u32_e32 v22, -5, v18
	v_add_nc_u32_e32 v36, -1, v18
	;; [unrolled: 1-line block ×3, first 2 shown]
	v_cndmask_b32_e32 v1, 0, v1, vcc_lo
	v_cmp_gt_i32_e32 vcc_lo, s23, v34
	v_add_nc_u32_e32 v34, -2, v18
	v_cmp_gt_i32_e64 s1, s23, v35
	v_and_b32_e32 v35, 0xffff0000, v4
	v_cndmask_b32_e32 v33, 0, v33, vcc_lo
	v_cmp_gt_i32_e32 vcc_lo, s23, v22
	v_add_nc_u32_e32 v22, -3, v18
	v_cndmask_b32_e64 v26, 0, v26, s1
	v_cndmask_b32_e32 v2, 0, v2, vcc_lo
	v_cmp_gt_i32_e32 vcc_lo, s23, v36
	v_cndmask_b32_sdwa v4, v17, v4, vcc_lo dst_sel:DWORD dst_unused:UNUSED_PAD src0_sel:DWORD src1_sel:WORD_0
	v_cmp_gt_i32_e32 vcc_lo, s23, v18
	v_cndmask_b32_e32 v35, 0, v35, vcc_lo
	v_cmp_gt_i32_e32 vcc_lo, s23, v22
	v_or_b32_e32 v4, v4, v35
	v_cndmask_b32_e32 v3, 0, v3, vcc_lo
	v_cmp_gt_i32_e32 vcc_lo, s23, v34
	v_cndmask_b32_e32 v25, 0, v25, vcc_lo
	s_branch .LBB85_32
.LBB85_43:
	s_or_b32 exec_lo, exec_lo, s9
.LBB85_44:
	s_or_b32 exec_lo, exec_lo, s3
	s_movk_i32 s0, 0x1c0
	v_and_b32_e32 v1, 0x3c0, v0
	v_mad_u32_u24 v4, v10, s0, 0x100
	v_or_b32_e32 v3, 0x60, v0
	s_mov_b32 s0, exec_lo
	s_waitcnt_vscnt null, 0x0
	s_barrier
	buffer_gl0_inv
	v_cmpx_eq_u32_e32 64, v1
	s_cbranch_execz .LBB85_47
; %bb.45:
	v_add_nc_u32_e32 v1, 0xfffffc80, v4
	v_cmp_gt_u32_e32 vcc_lo, 0x70, v3
	v_lshl_add_u32 v2, v11, 2, v1
	ds_write2_b32 v2, v16, v15 offset1:32
	ds_write_b32 v2, v14 offset:256
	s_and_b32 exec_lo, exec_lo, vcc_lo
; %bb.46:
	v_lshl_add_u32 v1, v3, 2, v1
	ds_write_b32 v1, v13
.LBB85_47:
	s_or_b32 exec_lo, exec_lo, s0
	v_lshl_add_u32 v5, v11, 2, v4
	s_mov_b32 s0, exec_lo
	s_waitcnt lgkmcnt(0)
	s_barrier
	buffer_gl0_inv
	v_cmpx_gt_u32_e32 64, v0
	s_cbranch_execz .LBB85_51
; %bb.48:
	v_lshl_or_b32 v1, v0, 2, 0x80
	s_mov_b32 s1, exec_lo
	v_add_nc_u32_e32 v6, v4, v1
	ds_read2st64_b32 v[1:2], v5 offset1:1
	ds_read_b32 v6, v6
	v_cmpx_gt_u32_e32 0x70, v3
	s_cbranch_execz .LBB85_50
; %bb.49:
	v_lshl_add_u32 v7, v3, 2, v4
	ds_read_b32 v7, v7
	s_waitcnt lgkmcnt(0)
	v_add_f32_e32 v13, v13, v7
.LBB85_50:
	s_or_b32 exec_lo, exec_lo, s1
	s_waitcnt lgkmcnt(1)
	v_add_f32_e32 v16, v16, v1
	s_waitcnt lgkmcnt(0)
	v_add_f32_e32 v15, v15, v6
	v_add_f32_e32 v14, v14, v2
.LBB85_51:
	s_or_b32 exec_lo, exec_lo, s0
	v_and_b32_e32 v1, 0x3e0, v0
	s_mov_b32 s0, exec_lo
	s_barrier
	buffer_gl0_inv
	v_cmpx_eq_u32_e32 32, v1
	s_cbranch_execz .LBB85_54
; %bb.52:
	v_lshl_add_u32 v1, v11, 2, 0x100
	v_cmp_gt_u32_e32 vcc_lo, 0x70, v3
	ds_write_b32 v1, v16
	ds_write_b32 v12, v15
	ds_write_b32 v1, v14 offset:256
	s_and_b32 exec_lo, exec_lo, vcc_lo
; %bb.53:
	v_lshl_add_u32 v1, v3, 2, 0x100
	ds_write_b32 v1, v13
.LBB85_54:
	s_or_b32 exec_lo, exec_lo, s0
	v_cmp_gt_u32_e32 vcc_lo, 32, v0
	s_waitcnt lgkmcnt(0)
	s_barrier
	buffer_gl0_inv
	s_and_saveexec_b32 s1, vcc_lo
	s_cbranch_execz .LBB85_58
; %bb.55:
	v_lshl_add_u32 v6, v0, 2, v4
	s_mov_b32 s2, exec_lo
	ds_read_b32 v4, v5
	ds_read2_b32 v[1:2], v6 offset0:32 offset1:64
	v_cmpx_gt_u32_e32 0x70, v3
	s_cbranch_execz .LBB85_57
; %bb.56:
	ds_read_b32 v5, v6 offset:384
	s_waitcnt lgkmcnt(0)
	v_add_f32_e32 v13, v13, v5
.LBB85_57:
	s_or_b32 exec_lo, exec_lo, s2
	s_waitcnt lgkmcnt(1)
	v_add_f32_e32 v16, v16, v4
	s_waitcnt lgkmcnt(0)
	v_add_f32_e32 v15, v15, v1
	v_add_f32_e32 v14, v14, v2
.LBB85_58:
	s_or_b32 exec_lo, exec_lo, s1
	s_barrier
	buffer_gl0_inv
	s_and_saveexec_b32 s0, vcc_lo
	s_cbranch_execz .LBB85_61
; %bb.59:
	s_mul_i32 s0, s4, 0x70
	s_mul_i32 s2, s7, s10
	s_ashr_i32 s1, s0, 31
	v_lshlrev_b32_e32 v0, 1, v0
	s_lshl_b64 s[0:1], s[0:1], 1
	v_cmp_gt_u32_e32 vcc_lo, 0x70, v3
	s_add_u32 s4, s20, s0
	s_addc_u32 s5, s21, s1
	s_ashr_i32 s3, s2, 31
	;;#ASMSTART
	v_cvt_f16_f32 v1, v16;

	;;#ASMEND
	s_lshl_b64 s[0:1], s[2:3], 1
	s_mul_i32 s2, s8, 0x70
	s_add_u32 s4, s4, s0
	s_addc_u32 s5, s5, s1
	s_ashr_i32 s3, s2, 31
	s_lshl_b64 s[0:1], s[2:3], 1
	s_add_u32 s0, s4, s0
	s_addc_u32 s1, s5, s1
	global_store_short v0, v1, s[0:1]
	;;#ASMSTART
	v_cvt_f16_f32 v1, v15;

	;;#ASMEND
	global_store_short v0, v1, s[0:1] offset:64
	;;#ASMSTART
	v_cvt_f16_f32 v1, v14;

	;;#ASMEND
	global_store_short v0, v1, s[0:1] offset:128
	s_and_b32 exec_lo, exec_lo, vcc_lo
	s_cbranch_execz .LBB85_61
; %bb.60:
	v_add_co_u32 v0, s0, s0, v0
	v_add_co_ci_u32_e64 v1, null, s1, 0, s0
	;;#ASMSTART
	v_cvt_f16_f32 v2, v13;

	;;#ASMEND
	global_store_short v[0:1], v2, off offset:192
.LBB85_61:
	s_endpgm
	.section	.rodata,"a",@progbits
	.p2align	6, 0x0
	.amdhsa_kernel _ZN4vllm25paged_attention_v2_kernelIttLi112ELi8ELi128ELNS_18Fp8KVCacheDataTypeE0ELb0ELi512EEEvPfS2_PT_PKS3_PKT0_S9_ifPKiSB_iPKfiiiSD_SD_iiiii
		.amdhsa_group_segment_fixed_size 256
		.amdhsa_private_segment_fixed_size 0
		.amdhsa_kernarg_size 400
		.amdhsa_user_sgpr_count 6
		.amdhsa_user_sgpr_private_segment_buffer 1
		.amdhsa_user_sgpr_dispatch_ptr 0
		.amdhsa_user_sgpr_queue_ptr 0
		.amdhsa_user_sgpr_kernarg_segment_ptr 1
		.amdhsa_user_sgpr_dispatch_id 0
		.amdhsa_user_sgpr_flat_scratch_init 0
		.amdhsa_user_sgpr_private_segment_size 0
		.amdhsa_wavefront_size32 1
		.amdhsa_uses_dynamic_stack 0
		.amdhsa_system_sgpr_private_segment_wavefront_offset 0
		.amdhsa_system_sgpr_workgroup_id_x 1
		.amdhsa_system_sgpr_workgroup_id_y 1
		.amdhsa_system_sgpr_workgroup_id_z 1
		.amdhsa_system_sgpr_workgroup_info 0
		.amdhsa_system_vgpr_workitem_id 0
		.amdhsa_next_free_vgpr 67
		.amdhsa_next_free_sgpr 36
		.amdhsa_reserve_vcc 1
		.amdhsa_reserve_flat_scratch 0
		.amdhsa_float_round_mode_32 0
		.amdhsa_float_round_mode_16_64 0
		.amdhsa_float_denorm_mode_32 3
		.amdhsa_float_denorm_mode_16_64 3
		.amdhsa_dx10_clamp 1
		.amdhsa_ieee_mode 1
		.amdhsa_fp16_overflow 0
		.amdhsa_workgroup_processor_mode 1
		.amdhsa_memory_ordered 1
		.amdhsa_forward_progress 1
		.amdhsa_shared_vgpr_count 0
		.amdhsa_exception_fp_ieee_invalid_op 0
		.amdhsa_exception_fp_denorm_src 0
		.amdhsa_exception_fp_ieee_div_zero 0
		.amdhsa_exception_fp_ieee_overflow 0
		.amdhsa_exception_fp_ieee_underflow 0
		.amdhsa_exception_fp_ieee_inexact 0
		.amdhsa_exception_int_div_zero 0
	.end_amdhsa_kernel
	.section	.text._ZN4vllm25paged_attention_v2_kernelIttLi112ELi8ELi128ELNS_18Fp8KVCacheDataTypeE0ELb0ELi512EEEvPfS2_PT_PKS3_PKT0_S9_ifPKiSB_iPKfiiiSD_SD_iiiii,"axG",@progbits,_ZN4vllm25paged_attention_v2_kernelIttLi112ELi8ELi128ELNS_18Fp8KVCacheDataTypeE0ELb0ELi512EEEvPfS2_PT_PKS3_PKT0_S9_ifPKiSB_iPKfiiiSD_SD_iiiii,comdat
.Lfunc_end85:
	.size	_ZN4vllm25paged_attention_v2_kernelIttLi112ELi8ELi128ELNS_18Fp8KVCacheDataTypeE0ELb0ELi512EEEvPfS2_PT_PKS3_PKT0_S9_ifPKiSB_iPKfiiiSD_SD_iiiii, .Lfunc_end85-_ZN4vllm25paged_attention_v2_kernelIttLi112ELi8ELi128ELNS_18Fp8KVCacheDataTypeE0ELb0ELi512EEEvPfS2_PT_PKS3_PKT0_S9_ifPKiSB_iPKfiiiSD_SD_iiiii
                                        ; -- End function
	.set _ZN4vllm25paged_attention_v2_kernelIttLi112ELi8ELi128ELNS_18Fp8KVCacheDataTypeE0ELb0ELi512EEEvPfS2_PT_PKS3_PKT0_S9_ifPKiSB_iPKfiiiSD_SD_iiiii.num_vgpr, 67
	.set _ZN4vllm25paged_attention_v2_kernelIttLi112ELi8ELi128ELNS_18Fp8KVCacheDataTypeE0ELb0ELi512EEEvPfS2_PT_PKS3_PKT0_S9_ifPKiSB_iPKfiiiSD_SD_iiiii.num_agpr, 0
	.set _ZN4vllm25paged_attention_v2_kernelIttLi112ELi8ELi128ELNS_18Fp8KVCacheDataTypeE0ELb0ELi512EEEvPfS2_PT_PKS3_PKT0_S9_ifPKiSB_iPKfiiiSD_SD_iiiii.numbered_sgpr, 36
	.set _ZN4vllm25paged_attention_v2_kernelIttLi112ELi8ELi128ELNS_18Fp8KVCacheDataTypeE0ELb0ELi512EEEvPfS2_PT_PKS3_PKT0_S9_ifPKiSB_iPKfiiiSD_SD_iiiii.num_named_barrier, 0
	.set _ZN4vllm25paged_attention_v2_kernelIttLi112ELi8ELi128ELNS_18Fp8KVCacheDataTypeE0ELb0ELi512EEEvPfS2_PT_PKS3_PKT0_S9_ifPKiSB_iPKfiiiSD_SD_iiiii.private_seg_size, 0
	.set _ZN4vllm25paged_attention_v2_kernelIttLi112ELi8ELi128ELNS_18Fp8KVCacheDataTypeE0ELb0ELi512EEEvPfS2_PT_PKS3_PKT0_S9_ifPKiSB_iPKfiiiSD_SD_iiiii.uses_vcc, 1
	.set _ZN4vllm25paged_attention_v2_kernelIttLi112ELi8ELi128ELNS_18Fp8KVCacheDataTypeE0ELb0ELi512EEEvPfS2_PT_PKS3_PKT0_S9_ifPKiSB_iPKfiiiSD_SD_iiiii.uses_flat_scratch, 0
	.set _ZN4vllm25paged_attention_v2_kernelIttLi112ELi8ELi128ELNS_18Fp8KVCacheDataTypeE0ELb0ELi512EEEvPfS2_PT_PKS3_PKT0_S9_ifPKiSB_iPKfiiiSD_SD_iiiii.has_dyn_sized_stack, 0
	.set _ZN4vllm25paged_attention_v2_kernelIttLi112ELi8ELi128ELNS_18Fp8KVCacheDataTypeE0ELb0ELi512EEEvPfS2_PT_PKS3_PKT0_S9_ifPKiSB_iPKfiiiSD_SD_iiiii.has_recursion, 0
	.set _ZN4vllm25paged_attention_v2_kernelIttLi112ELi8ELi128ELNS_18Fp8KVCacheDataTypeE0ELb0ELi512EEEvPfS2_PT_PKS3_PKT0_S9_ifPKiSB_iPKfiiiSD_SD_iiiii.has_indirect_call, 0
	.section	.AMDGPU.csdata,"",@progbits
; Kernel info:
; codeLenInByte = 6896
; TotalNumSgprs: 38
; NumVgprs: 67
; ScratchSize: 0
; MemoryBound: 0
; FloatMode: 240
; IeeeMode: 1
; LDSByteSize: 256 bytes/workgroup (compile time only)
; SGPRBlocks: 0
; VGPRBlocks: 8
; NumSGPRsForWavesPerEU: 38
; NumVGPRsForWavesPerEU: 67
; Occupancy: 12
; WaveLimiterHint : 1
; COMPUTE_PGM_RSRC2:SCRATCH_EN: 0
; COMPUTE_PGM_RSRC2:USER_SGPR: 6
; COMPUTE_PGM_RSRC2:TRAP_HANDLER: 0
; COMPUTE_PGM_RSRC2:TGID_X_EN: 1
; COMPUTE_PGM_RSRC2:TGID_Y_EN: 1
; COMPUTE_PGM_RSRC2:TGID_Z_EN: 1
; COMPUTE_PGM_RSRC2:TIDIG_COMP_CNT: 0
	.section	.text._ZN4vllm25paged_attention_v2_kernelIttLi120ELi8ELi128ELNS_18Fp8KVCacheDataTypeE0ELb0ELi512EEEvPfS2_PT_PKS3_PKT0_S9_ifPKiSB_iPKfiiiSD_SD_iiiii,"axG",@progbits,_ZN4vllm25paged_attention_v2_kernelIttLi120ELi8ELi128ELNS_18Fp8KVCacheDataTypeE0ELb0ELi512EEEvPfS2_PT_PKS3_PKT0_S9_ifPKiSB_iPKfiiiSD_SD_iiiii,comdat
	.protected	_ZN4vllm25paged_attention_v2_kernelIttLi120ELi8ELi128ELNS_18Fp8KVCacheDataTypeE0ELb0ELi512EEEvPfS2_PT_PKS3_PKT0_S9_ifPKiSB_iPKfiiiSD_SD_iiiii ; -- Begin function _ZN4vllm25paged_attention_v2_kernelIttLi120ELi8ELi128ELNS_18Fp8KVCacheDataTypeE0ELb0ELi512EEEvPfS2_PT_PKS3_PKT0_S9_ifPKiSB_iPKfiiiSD_SD_iiiii
	.globl	_ZN4vllm25paged_attention_v2_kernelIttLi120ELi8ELi128ELNS_18Fp8KVCacheDataTypeE0ELb0ELi512EEEvPfS2_PT_PKS3_PKT0_S9_ifPKiSB_iPKfiiiSD_SD_iiiii
	.p2align	8
	.type	_ZN4vllm25paged_attention_v2_kernelIttLi120ELi8ELi128ELNS_18Fp8KVCacheDataTypeE0ELb0ELi512EEEvPfS2_PT_PKS3_PKT0_S9_ifPKiSB_iPKfiiiSD_SD_iiiii,@function
_ZN4vllm25paged_attention_v2_kernelIttLi120ELi8ELi128ELNS_18Fp8KVCacheDataTypeE0ELb0ELi512EEEvPfS2_PT_PKS3_PKT0_S9_ifPKiSB_iPKfiiiSD_SD_iiiii: ; @_ZN4vllm25paged_attention_v2_kernelIttLi120ELi8ELi128ELNS_18Fp8KVCacheDataTypeE0ELb0ELi512EEEvPfS2_PT_PKS3_PKT0_S9_ifPKiSB_iPKfiiiSD_SD_iiiii
; %bb.0:
	s_load_dwordx2 s[0:1], s[4:5], 0x40
	s_mov_b32 s22, s7
	s_ashr_i32 s23, s7, 31
	s_lshl_b64 s[2:3], s[22:23], 2
	s_waitcnt lgkmcnt(0)
	s_add_u32 s0, s0, s2
	s_addc_u32 s1, s1, s3
	s_lshl_b32 s33, s8, 9
	s_load_dword s23, s[0:1], 0x0
	s_waitcnt lgkmcnt(0)
	s_cmp_ge_i32 s33, s23
	s_cbranch_scc1 .LBB86_61
; %bb.1:
	s_clause 0x1
	s_load_dword s9, s[4:5], 0x90
	s_load_dwordx2 s[30:31], s[4:5], 0x30
	s_mov_b32 s34, 0
	s_waitcnt lgkmcnt(0)
	s_abs_i32 s3, s9
	s_abs_i32 s0, s30
	v_cvt_f32_u32_e32 v1, s0
	s_sub_i32 s2, 0, s0
	v_rcp_iflag_f32_e32 v1, v1
	v_mul_f32_e32 v1, 0x4f7ffffe, v1
	v_cvt_u32_f32_e32 v1, v1
	v_readfirstlane_b32 s1, v1
	s_mul_i32 s2, s2, s1
	s_mul_hi_u32 s2, s1, s2
	s_add_i32 s1, s1, s2
	s_xor_b32 s2, s9, s30
	s_mul_hi_u32 s1, s3, s1
	s_ashr_i32 s2, s2, 31
	s_mul_i32 s7, s1, s0
	s_sub_i32 s3, s3, s7
	s_add_i32 s7, s1, 1
	s_sub_i32 s10, s3, s0
	s_cmp_ge_u32 s3, s0
	s_cselect_b32 s1, s7, s1
	s_cselect_b32 s3, s10, s3
	s_add_i32 s7, s1, 1
	s_cmp_ge_u32 s3, s0
	s_cselect_b32 s0, s7, s1
	s_abs_i32 s16, s6
	s_xor_b32 s0, s0, s2
	s_sub_i32 s10, s0, s2
	s_load_dwordx2 s[0:1], s[4:5], 0x50
	s_abs_i32 s2, s10
	v_cvt_f32_u32_e32 v1, s2
	s_sub_i32 s7, 0, s2
	v_rcp_iflag_f32_e32 v1, v1
	v_mul_f32_e32 v1, 0x4f7ffffe, v1
	v_cvt_u32_f32_e32 v1, v1
	v_readfirstlane_b32 s3, v1
	s_mul_i32 s7, s7, s3
	s_mul_hi_u32 s7, s3, s7
	s_add_i32 s3, s3, s7
	s_waitcnt lgkmcnt(0)
	s_cmp_eq_u64 s[0:1], 0
	s_mul_hi_u32 s3, s16, s3
	s_cbranch_scc1 .LBB86_3
; %bb.2:
	s_ashr_i32 s7, s6, 31
	s_lshl_b64 s[12:13], s[6:7], 2
	s_add_u32 s0, s0, s12
	s_addc_u32 s1, s1, s13
	s_load_dword s34, s[0:1], 0x0
.LBB86_3:
	s_load_dwordx4 s[12:15], s[4:5], 0x58
	v_and_b32_e32 v1, 3, v0
	v_lshlrev_b32_e32 v2, 2, v0
	s_ashr_i32 s0, s6, 31
	s_ashr_i32 s1, s10, 31
	s_mul_i32 s10, s6, 0x78
	s_mov_b32 s7, exec_lo
	v_cmpx_gt_u32_e32 60, v0
	s_cbranch_execz .LBB86_5
; %bb.4:
	s_load_dwordx2 s[18:19], s[4:5], 0x18
	s_waitcnt lgkmcnt(0)
	s_mul_i32 s20, s12, s22
	v_and_b32_e32 v4, 0x3fc, v0
	s_ashr_i32 s21, s20, 31
	s_lshl_b64 s[20:21], s[20:21], 1
	v_mad_u32_u24 v4, v1, 60, v4
	s_add_u32 s12, s18, s20
	s_addc_u32 s15, s19, s21
	s_ashr_i32 s11, s10, 31
	s_lshl_b64 s[18:19], s[10:11], 1
	s_add_u32 s18, s12, s18
	s_addc_u32 s19, s15, s19
	global_load_dword v3, v2, s[18:19]
	s_waitcnt vmcnt(0)
	ds_write_b32 v4, v3
.LBB86_5:
	s_or_b32 exec_lo, exec_lo, s7
	s_add_i32 s7, s23, 7
	s_load_dwordx2 s[24:25], s[4:5], 0x38
	s_waitcnt lgkmcnt(0)
	s_load_dword s15, s[4:5], 0x48
	s_ashr_i32 s11, s7, 31
	s_lshl_b32 s30, s8, 6
	s_lshr_b32 s11, s11, 29
	s_xor_b32 s0, s0, s1
	s_add_i32 s7, s7, s11
	s_add_i32 s1, s30, 64
	s_ashr_i32 s12, s7, 3
	s_mul_i32 s7, s3, s2
	s_min_i32 s11, s1, s12
	s_sub_i32 s1, s16, s7
	s_add_i32 s7, s3, 1
	s_sub_i32 s16, s1, s2
	s_cmp_ge_u32 s1, s2
	v_lshrrev_b32_e32 v10, 5, v0
	s_cselect_b32 s3, s7, s3
	s_cselect_b32 s1, s16, s1
	s_add_i32 s7, s3, 1
	s_cmp_ge_u32 s1, s2
	v_or_b32_e32 v5, s30, v10
	s_cselect_b32 s1, s7, s3
	v_mbcnt_lo_u32_b32 v4, -1, 0
	s_xor_b32 s1, s1, s0
	s_waitcnt lgkmcnt(0)
	s_mul_i32 s26, s15, s22
	s_sub_i32 s1, s1, s0
	v_cmp_gt_i32_e64 s0, s11, v5
	s_ashr_i32 s27, s26, 31
	s_mov_b32 s2, exec_lo
	s_barrier
	buffer_gl0_inv
                                        ; implicit-def: $vgpr7
                                        ; implicit-def: $vgpr8
	v_cmpx_le_i32_e64 s11, v5
	s_xor_b32 s2, exec_lo, s2
; %bb.6:
	v_mov_b32_e32 v7, 0
	v_mbcnt_lo_u32_b32 v4, -1, 0
	v_mov_b32_e32 v8, 32
                                        ; implicit-def: $vgpr2
                                        ; implicit-def: $vgpr1
; %bb.7:
	s_or_saveexec_b32 s35, s2
	s_clause 0x3
	s_load_dwordx4 s[16:19], s[4:5], 0x0
	s_load_dwordx2 s[20:21], s[4:5], 0x10
	s_load_dwordx2 s[28:29], s[4:5], 0x28
	s_load_dword s7, s[4:5], 0x98
	v_mov_b32_e32 v9, 0xff7fffff
	v_ashrrev_i32_e32 v6, 31, v5
	v_lshlrev_b32_e32 v3, 3, v10
	s_mul_i32 s14, s1, s14
	s_xor_b32 exec_lo, exec_lo, s35
	s_cbranch_execz .LBB86_13
; %bb.8:
	s_load_dwordx2 s[2:3], s[4:5], 0x20
	v_bfe_u32 v8, v0, 2, 3
	s_ashr_i32 s15, s14, 31
	v_and_b32_e32 v14, 12, v2
	s_lshl_b64 s[4:5], s[14:15], 1
	v_mul_u32_u24_e32 v11, 60, v1
	v_lshlrev_b32_e32 v9, 2, v8
	v_lshlrev_b32_e32 v15, 4, v8
	v_add3_u32 v12, s33, v3, v8
	v_cmp_eq_u32_e32 vcc_lo, 0, v1
	v_lshlrev_b64 v[1:2], 2, v[5:6]
	v_lshl_or_b32 v9, v10, 5, v9
	v_mov_b32_e32 v7, 0
	v_cmp_neq_f32_e64 s1, s34, 0
	v_xor_b32_e32 v16, 2, v4
	v_xor_b32_e32 v17, 1, v4
	v_add_nc_u32_e32 v13, 0x110, v9
	v_mov_b32_e32 v18, v5
	s_waitcnt lgkmcnt(0)
	s_add_u32 s15, s2, s4
	s_addc_u32 s5, s3, s5
	v_add_co_u32 v8, s15, s15, v15
	v_add_co_ci_u32_e64 v9, null, s5, 0, s15
	s_lshl_b64 s[2:3], s[26:27], 2
	s_sub_i32 s4, 1, s23
	s_add_u32 s5, s24, s2
	v_add_co_u32 v14, s2, v8, v14
	s_addc_u32 s3, s25, s3
	v_add_co_ci_u32_e64 v15, null, 0, v9, s2
	v_add_co_u32 v1, s2, s5, v1
	v_add_co_ci_u32_e64 v2, null, s3, v2, s2
	v_mov_b32_e32 v9, 0xff7fffff
	v_mov_b32_e32 v8, 32
	s_mov_b32 s15, s13
	s_mov_b32 s5, 0
	s_branch .LBB86_10
.LBB86_9:                               ;   in Loop: Header=BB86_10 Depth=1
	s_or_b32 exec_lo, exec_lo, s3
	v_add_nc_u32_e32 v18, 4, v18
	v_add_co_u32 v1, s3, v1, 16
	v_add_nc_u32_e32 v12, 32, v12
	v_add_nc_u32_e32 v13, 0x80, v13
	v_cmp_le_i32_e64 s2, s11, v18
	v_add_co_ci_u32_e64 v2, null, 0, v2, s3
	s_or_b32 s5, s2, s5
	s_andn2_b32 exec_lo, exec_lo, s5
	s_cbranch_execz .LBB86_12
.LBB86_10:                              ; =>This Inner Loop Header: Depth=1
	global_load_dword v19, v[1:2], off
	s_waitcnt vmcnt(0) lgkmcnt(0)
	v_mad_i64_i32 v[19:20], null, v19, s15, 0
	v_lshlrev_b64 v[19:20], 1, v[19:20]
	v_add_co_u32 v22, s2, v14, v19
	v_add_co_ci_u32_e64 v23, null, v15, v20, s2
	v_cmp_gt_i32_e64 s2, 32, v16
	s_clause 0xa
	global_load_dword v19, v[22:23], off
	global_load_dword v24, v[22:23], off offset:128
	global_load_dword v25, v[22:23], off offset:256
	;; [unrolled: 1-line block ×10, first 2 shown]
	ds_read_b32 v20, v11
	s_waitcnt lgkmcnt(0)
	v_lshrrev_b32_e32 v35, 16, v20
	v_and_b32_e32 v36, 0xffff, v20
	s_waitcnt vmcnt(10)
	v_lshrrev_b32_e32 v37, 16, v19
	v_and_b32_e32 v38, 0xffff, v19
	s_clause 0x3
	global_load_dword v34, v[22:23], off offset:1408
	global_load_dword v21, v[22:23], off offset:1536
	;; [unrolled: 1-line block ×4, first 2 shown]
	;;#ASMSTART
	v_cvt_f32_f16 v22, v36;
	;;#ASMEND
	;;#ASMSTART
	v_cvt_f32_f16 v23, v35;
	;;#ASMEND
	;; [unrolled: 3-line block ×4, first 2 shown]
	ds_read_b32 v37, v11 offset:4
	s_waitcnt vmcnt(13)
	v_and_b32_e32 v39, 0xffff, v24
	v_lshrrev_b32_e32 v40, 16, v24
	s_waitcnt vmcnt(12)
	v_and_b32_e32 v42, 0xffff, v25
	v_lshrrev_b32_e32 v43, 16, v25
	;; [unrolled: 3-line block ×9, first 2 shown]
	s_waitcnt vmcnt(4)
	v_and_b32_e32 v66, 0xffff, v33
	s_waitcnt lgkmcnt(0)
	v_and_b32_e32 v38, 0xffff, v37
	v_lshrrev_b32_e32 v37, 16, v37
	;;#ASMSTART
	v_cvt_f32_f16 v24, v38;
	;;#ASMEND
	;;#ASMSTART
	v_cvt_f32_f16 v37, v37;
	;;#ASMEND
	;; [unrolled: 3-line block ×4, first 2 shown]
	ds_read_b32 v40, v11 offset:8
	v_lshrrev_b32_e32 v67, 16, v33
	v_mul_f32_e32 v24, v24, v38
	v_mul_f32_e32 v37, v37, v39
	v_fmac_f32_e32 v24, v22, v35
	v_fmac_f32_e32 v37, v23, v36
	s_waitcnt lgkmcnt(0)
	v_and_b32_e32 v41, 0xffff, v40
	v_lshrrev_b32_e32 v40, 16, v40
	;;#ASMSTART
	v_cvt_f32_f16 v25, v41;
	;;#ASMEND
	;;#ASMSTART
	v_cvt_f32_f16 v40, v40;
	;;#ASMEND
	;;#ASMSTART
	v_cvt_f32_f16 v41, v42;
	;;#ASMEND
	;;#ASMSTART
	v_cvt_f32_f16 v42, v43;
	;;#ASMEND
	ds_read_b32 v43, v11 offset:12
	v_fmac_f32_e32 v24, v25, v41
	v_fmac_f32_e32 v37, v40, v42
	s_waitcnt lgkmcnt(0)
	v_and_b32_e32 v44, 0xffff, v43
	v_lshrrev_b32_e32 v43, 16, v43
	;;#ASMSTART
	v_cvt_f32_f16 v26, v44;
	;;#ASMEND
	;;#ASMSTART
	v_cvt_f32_f16 v43, v43;
	;;#ASMEND
	;;#ASMSTART
	v_cvt_f32_f16 v44, v45;
	;;#ASMEND
	;;#ASMSTART
	v_cvt_f32_f16 v45, v46;
	;;#ASMEND
	ds_read_b32 v46, v11 offset:16
	;; [unrolled: 18-line block ×6, first 2 shown]
	v_fmac_f32_e32 v24, v30, v56
	v_fmac_f32_e32 v37, v55, v57
	v_cndmask_b32_e64 v30, v4, v16, s2
	v_cmp_gt_i32_e64 s2, 32, v17
	s_waitcnt lgkmcnt(0)
	v_and_b32_e32 v59, 0xffff, v58
	v_lshrrev_b32_e32 v58, 16, v58
	;;#ASMSTART
	v_cvt_f32_f16 v31, v59;
	;;#ASMEND
	;;#ASMSTART
	v_cvt_f32_f16 v58, v58;
	;;#ASMEND
	;;#ASMSTART
	v_cvt_f32_f16 v59, v60;
	;;#ASMEND
	;;#ASMSTART
	v_cvt_f32_f16 v60, v61;
	;;#ASMEND
	ds_read_b32 v61, v11 offset:36
	v_fmac_f32_e32 v24, v31, v59
	v_fmac_f32_e32 v37, v58, v60
	s_waitcnt lgkmcnt(0)
	v_and_b32_e32 v62, 0xffff, v61
	v_lshrrev_b32_e32 v61, 16, v61
	;;#ASMSTART
	v_cvt_f32_f16 v32, v62;
	;;#ASMEND
	;;#ASMSTART
	v_cvt_f32_f16 v61, v61;
	;;#ASMEND
	;;#ASMSTART
	v_cvt_f32_f16 v62, v63;
	;;#ASMEND
	;;#ASMSTART
	v_cvt_f32_f16 v63, v64;
	;;#ASMEND
	ds_read_b32 v64, v11 offset:40
	v_fmac_f32_e32 v24, v32, v62
	v_fmac_f32_e32 v37, v61, v63
	;; [unrolled: 18-line block ×3, first 2 shown]
	s_waitcnt lgkmcnt(0)
	v_and_b32_e32 v68, 0xffff, v67
	v_lshrrev_b32_e32 v67, 16, v67
	s_waitcnt vmcnt(3)
	v_and_b32_e32 v69, 0xffff, v34
	v_lshrrev_b32_e32 v70, 16, v34
	;;#ASMSTART
	v_cvt_f32_f16 v34, v68;
	;;#ASMEND
	;;#ASMSTART
	v_cvt_f32_f16 v67, v67;
	;;#ASMEND
	;;#ASMSTART
	v_cvt_f32_f16 v68, v69;
	;;#ASMEND
	;;#ASMSTART
	v_cvt_f32_f16 v69, v70;
	;;#ASMEND
	ds_read_b32 v70, v11 offset:48
	s_waitcnt vmcnt(2)
	v_and_b32_e32 v25, 0xffff, v21
	v_lshrrev_b32_e32 v35, 16, v21
	s_waitcnt vmcnt(1)
	v_lshrrev_b32_e32 v28, 16, v20
	v_and_b32_e32 v29, 0xffff, v20
	v_fmac_f32_e32 v24, v34, v68
	v_fmac_f32_e32 v37, v67, v69
	s_waitcnt vmcnt(0)
	v_lshrrev_b32_e32 v31, 16, v19
	s_waitcnt lgkmcnt(0)
	v_and_b32_e32 v22, 0xffff, v70
	v_lshrrev_b32_e32 v23, 16, v70
	;;#ASMSTART
	v_cvt_f32_f16 v21, v22;
	;;#ASMEND
	;;#ASMSTART
	v_cvt_f32_f16 v22, v23;
	;;#ASMEND
	;; [unrolled: 3-line block ×4, first 2 shown]
	ds_read_b32 v26, v11 offset:52
	v_fmac_f32_e32 v24, v21, v23
	v_fmac_f32_e32 v37, v22, v25
	v_and_b32_e32 v23, 0xffff, v19
	s_waitcnt lgkmcnt(0)
	v_and_b32_e32 v27, 0xffff, v26
	v_lshrrev_b32_e32 v26, 16, v26
	;;#ASMSTART
	v_cvt_f32_f16 v20, v27;
	;;#ASMEND
	;;#ASMSTART
	v_cvt_f32_f16 v26, v26;
	;;#ASMEND
	;; [unrolled: 3-line block ×4, first 2 shown]
	ds_read_b32 v29, v11 offset:56
	v_fmac_f32_e32 v24, v20, v27
	v_fmac_f32_e32 v37, v26, v28
	s_waitcnt lgkmcnt(0)
	v_and_b32_e32 v21, 0xffff, v29
	v_lshrrev_b32_e32 v22, 16, v29
	;;#ASMSTART
	v_cvt_f32_f16 v19, v21;
	;;#ASMEND
	;;#ASMSTART
	v_cvt_f32_f16 v20, v22;
	;;#ASMEND
	;; [unrolled: 3-line block ×4, first 2 shown]
	v_fmac_f32_e32 v24, v19, v21
	v_fmac_f32_e32 v37, v20, v22
	v_lshlrev_b32_e32 v19, 2, v30
	v_cndmask_b32_e64 v21, v4, v17, s2
	v_add_f32_e32 v20, v24, v37
	ds_bpermute_b32 v19, v19, v20
	s_waitcnt lgkmcnt(0)
	v_add_f32_e32 v19, v20, v19
	v_lshlrev_b32_e32 v20, 2, v21
	ds_bpermute_b32 v20, v20, v19
	s_and_saveexec_b32 s3, vcc_lo
	s_cbranch_execz .LBB86_9
; %bb.11:                               ;   in Loop: Header=BB86_10 Depth=1
	v_add_nc_u32_e32 v21, s4, v12
	s_waitcnt lgkmcnt(0)
	v_add_f32_e32 v19, v19, v20
	v_cmp_gt_i32_e64 s2, s23, v12
	v_cvt_f32_i32_e32 v21, v21
	v_mul_f32_e32 v21, s34, v21
	v_cndmask_b32_e64 v20, 0, v21, s1
	v_max_f32_e32 v21, v9, v9
	v_fmac_f32_e32 v20, s31, v19
	v_max_f32_e32 v19, v21, v20
	v_cndmask_b32_e64 v20, 0, v20, s2
	v_cndmask_b32_e64 v9, v9, v19, s2
	ds_write_b32 v13, v20
	s_branch .LBB86_9
.LBB86_12:
	s_or_b32 exec_lo, exec_lo, s5
.LBB86_13:
	s_or_b32 exec_lo, exec_lo, s35
	v_xor_b32_e32 v1, 16, v4
	v_xor_b32_e32 v11, 8, v4
	v_max_f32_e32 v12, v9, v9
	v_lshlrev_b32_e32 v13, 2, v10
	v_cmp_lt_i32_e32 vcc_lo, v1, v8
	v_cndmask_b32_e32 v1, v4, v1, vcc_lo
	v_cmp_lt_i32_e32 vcc_lo, v11, v8
	v_lshlrev_b32_e32 v2, 2, v1
	ds_bpermute_b32 v1, v2, v9
	v_cndmask_b32_e32 v9, v4, v11, vcc_lo
	v_lshlrev_b32_e32 v9, 2, v9
	s_waitcnt lgkmcnt(0)
	v_max_f32_e32 v1, v1, v1
	v_max_f32_e32 v1, v12, v1
	v_xor_b32_e32 v12, 4, v4
	ds_bpermute_b32 v11, v9, v1
	v_cmp_lt_i32_e32 vcc_lo, v12, v8
	v_cndmask_b32_e32 v12, v4, v12, vcc_lo
	v_lshlrev_b32_e32 v15, 2, v12
	s_waitcnt lgkmcnt(0)
	v_max_f32_e32 v11, v11, v11
	v_max_f32_e32 v1, v1, v11
	v_and_b32_e32 v11, 31, v0
	ds_bpermute_b32 v12, v15, v1
	v_cmp_eq_u32_e32 vcc_lo, 0, v11
	s_and_saveexec_b32 s1, vcc_lo
	s_cbranch_execz .LBB86_15
; %bb.14:
	s_waitcnt lgkmcnt(0)
	v_max_f32_e32 v12, v12, v12
	v_max_f32_e32 v1, v1, v1
	;; [unrolled: 1-line block ×3, first 2 shown]
	ds_write_b32 v13, v1 offset:240
.LBB86_15:
	s_or_b32 exec_lo, exec_lo, s1
	v_cmp_gt_u32_e64 s1, 4, v11
	v_mov_b32_e32 v1, 0xff7fffff
	v_lshlrev_b32_e32 v14, 2, v11
	s_waitcnt lgkmcnt(0)
	s_barrier
	buffer_gl0_inv
	s_and_saveexec_b32 s2, s1
; %bb.16:
	ds_read_b32 v1, v14 offset:240
; %bb.17:
	s_or_b32 exec_lo, exec_lo, s2
	v_xor_b32_e32 v12, 2, v4
	v_xor_b32_e32 v17, 1, v4
	v_lshlrev_b32_e32 v7, 2, v7
	v_cmp_lt_i32_e64 s2, v12, v8
	v_cndmask_b32_e64 v12, v4, v12, s2
	v_cmp_lt_i32_e64 s2, v17, v8
	v_lshlrev_b32_e32 v16, 2, v12
	v_cndmask_b32_e64 v8, v4, v17, s2
	s_sub_i32 s2, s11, s30
	s_lshl_b32 s2, s2, 3
	s_waitcnt lgkmcnt(0)
	ds_bpermute_b32 v12, v16, v1
	v_max_f32_e32 v1, v1, v1
	v_lshlrev_b32_e32 v8, 2, v8
	s_add_i32 s2, s2, s33
	s_min_i32 s2, s2, s23
	s_sub_i32 s4, s2, s33
	v_cmp_gt_i32_e64 s2, s4, v0
	s_waitcnt lgkmcnt(0)
	v_max_f32_e32 v12, v12, v12
	v_max_f32_e32 v1, v1, v12
	ds_bpermute_b32 v12, v8, v1
	s_waitcnt lgkmcnt(0)
	v_max_f32_e32 v12, v12, v12
	v_max_f32_e32 v1, v1, v12
	v_lshl_add_u32 v12, v0, 2, 0x110
	ds_bpermute_b32 v1, v7, v1
	v_mov_b32_e32 v7, 0
	s_and_saveexec_b32 s5, s2
	s_cbranch_execz .LBB86_21
; %bb.18:
	v_lshl_add_u32 v17, v0, 2, 0x110
	v_mov_b32_e32 v7, 0
	v_mov_b32_e32 v18, v0
	s_mov_b32 s15, 0
	.p2align	6
.LBB86_19:                              ; =>This Inner Loop Header: Depth=1
	ds_read_b32 v19, v17
	v_add_nc_u32_e32 v18, 0x80, v18
	v_cmp_le_i32_e64 s3, s4, v18
	s_or_b32 s15, s3, s15
	s_waitcnt lgkmcnt(0)
	v_sub_f32_e32 v19, v19, v1
	v_mul_f32_e32 v19, 0x3fb8aa3b, v19
	v_exp_f32_e32 v19, v19
	ds_write_b32 v17, v19
	v_add_f32_e32 v7, v7, v19
	v_add_nc_u32_e32 v17, 0x200, v17
	s_andn2_b32 exec_lo, exec_lo, s15
	s_cbranch_execnz .LBB86_19
; %bb.20:
	s_or_b32 exec_lo, exec_lo, s15
.LBB86_21:
	s_or_b32 exec_lo, exec_lo, s5
	ds_bpermute_b32 v2, v2, v7
	s_waitcnt lgkmcnt(0)
	v_add_f32_e32 v2, v7, v2
	ds_bpermute_b32 v7, v9, v2
	s_waitcnt lgkmcnt(0)
	v_add_f32_e32 v2, v2, v7
	;; [unrolled: 3-line block ×5, first 2 shown]
	s_and_saveexec_b32 s3, vcc_lo
; %bb.22:
	ds_write_b32 v13, v2 offset:256
; %bb.23:
	s_or_b32 exec_lo, exec_lo, s3
	s_waitcnt lgkmcnt(0)
	s_barrier
	buffer_gl0_inv
	s_and_saveexec_b32 s3, s1
; %bb.24:
	ds_read_b32 v2, v14 offset:256
; %bb.25:
	s_or_b32 exec_lo, exec_lo, s3
	s_waitcnt lgkmcnt(0)
	ds_bpermute_b32 v7, v16, v2
	v_lshlrev_b32_e32 v4, 2, v4
	v_and_b32_e32 v4, 0xffffff80, v4
	s_waitcnt lgkmcnt(0)
	v_add_f32_e32 v2, v2, v7
	ds_bpermute_b32 v7, v8, v2
	s_waitcnt lgkmcnt(0)
	v_add_f32_e32 v2, v2, v7
	ds_bpermute_b32 v2, v4, v2
	s_and_saveexec_b32 s1, s2
	s_cbranch_execz .LBB86_28
; %bb.26:
	s_waitcnt lgkmcnt(0)
	v_add_f32_e32 v7, 0x358637bd, v2
	s_mov_b32 s2, 0
	v_div_scale_f32 v4, null, v7, v7, 1.0
	v_div_scale_f32 v13, vcc_lo, 1.0, v7, 1.0
	v_rcp_f32_e32 v8, v4
	v_fma_f32 v9, -v4, v8, 1.0
	v_fmac_f32_e32 v8, v9, v8
	v_mul_f32_e32 v9, v13, v8
	v_fma_f32 v14, -v4, v9, v13
	v_fmac_f32_e32 v9, v14, v8
	v_fma_f32 v4, -v4, v9, v13
	v_div_fmas_f32 v8, v4, v8, v9
	v_mov_b32_e32 v4, v12
	v_div_fixup_f32 v7, v8, v7, 1.0
	v_mov_b32_e32 v8, v0
.LBB86_27:                              ; =>This Inner Loop Header: Depth=1
	ds_read_b32 v9, v4
	v_add_nc_u32_e32 v8, 0x80, v8
	v_cmp_le_i32_e32 vcc_lo, s4, v8
	s_or_b32 s2, vcc_lo, s2
	s_waitcnt lgkmcnt(0)
	v_mul_f32_e32 v9, v7, v9
	ds_write_b32 v4, v9
	v_add_nc_u32_e32 v4, 0x200, v4
	s_andn2_b32 exec_lo, exec_lo, s2
	s_cbranch_execnz .LBB86_27
.LBB86_28:
	s_or_b32 exec_lo, exec_lo, s1
	s_mul_i32 s1, s7, s22
	s_waitcnt lgkmcnt(0)
	s_mul_i32 s4, s1, s9
	s_mov_b32 s1, exec_lo
	s_barrier
	buffer_gl0_inv
	v_cmpx_eq_u32_e32 0, v0
	s_cbranch_execz .LBB86_30
; %bb.29:
	s_ashr_i32 s5, s4, 31
	s_mul_i32 s30, s7, s6
	s_lshl_b64 s[2:3], s[4:5], 2
	v_mov_b32_e32 v4, 0
	s_add_u32 s5, s18, s2
	s_addc_u32 s6, s19, s3
	s_ashr_i32 s31, s30, 31
	s_lshl_b64 s[18:19], s[30:31], 2
	s_add_u32 s5, s5, s18
	s_addc_u32 s6, s6, s19
	s_ashr_i32 s9, s8, 31
	s_lshl_b64 s[30:31], s[8:9], 2
	s_add_u32 s34, s5, s30
	s_addc_u32 s35, s6, s31
	s_add_u32 s2, s16, s2
	s_addc_u32 s3, s17, s3
	;; [unrolled: 2-line block ×4, first 2 shown]
	global_store_dword v4, v1, s[34:35]
	global_store_dword v4, v2, s[2:3]
.LBB86_30:
	s_or_b32 exec_lo, exec_lo, s1
	v_mov_b32_e32 v16, 0
	v_mov_b32_e32 v15, 0
	;; [unrolled: 1-line block ×4, first 2 shown]
	s_and_saveexec_b32 s3, s0
	s_cbranch_execz .LBB86_44
; %bb.31:
	v_or_b32_e32 v1, 0x60, v11
	s_ashr_i32 s15, s14, 31
	v_lshlrev_b32_e32 v4, 3, v11
	s_lshl_b64 s[0:1], s[14:15], 1
	v_mov_b32_e32 v17, 0
	s_add_u32 s5, s28, s0
	v_cmp_gt_u32_e64 s0, 0x78, v1
	v_lshlrev_b32_e32 v8, 3, v1
	v_lshlrev_b64 v[1:2], 2, v[5:6]
	s_addc_u32 s6, s29, s1
	s_lshl_b64 s[14:15], s[26:27], 2
	s_add_i32 s12, s12, -1
	s_add_u32 s1, s24, s14
	s_addc_u32 s2, s25, s15
	v_add_co_u32 v6, vcc_lo, s1, v1
	v_add3_u32 v18, s33, v3, 7
	v_lshl_add_u32 v19, v10, 5, 0x110
	v_add_co_ci_u32_e64 v7, null, s2, v2, vcc_lo
	v_lshlrev_b32_e32 v20, 1, v4
	v_lshlrev_b32_e32 v21, 1, v8
	v_mov_b32_e32 v13, 0
	v_mov_b32_e32 v14, 0
	;; [unrolled: 1-line block ×4, first 2 shown]
	s_mov_b32 s9, 0
	s_branch .LBB86_34
.LBB86_32:                              ;   in Loop: Header=BB86_34 Depth=1
	s_or_b32 exec_lo, exec_lo, s14
	v_lshlrev_b32_e32 v22, 16, v33
	v_lshlrev_b32_e32 v26, 16, v26
	;; [unrolled: 1-line block ×3, first 2 shown]
	v_and_or_b32 v1, 0xffff, v1, v22
	v_and_or_b32 v2, 0xffff, v2, v26
	;; [unrolled: 1-line block ×3, first 2 shown]
	;;#ASMSTART
	v_pk_mul_f16 v1, v28, v1;

	;;#ASMEND
	;;#ASMSTART
	v_pk_mul_f16 v2, v27, v2;

	;;#ASMEND
	;; [unrolled: 4-line block ×4, first 2 shown]
	;;#ASMSTART
	v_pk_add_f16 v1, v1, v2;

	;;#ASMEND
	;;#ASMSTART
	v_pk_add_f16 v1, v1, v3;

	;;#ASMEND
	;; [unrolled: 4-line block ×3, first 2 shown]
	v_and_b32_e32 v2, 0xffff, v1
	v_lshrrev_b32_e32 v3, 16, v1
	;;#ASMSTART
	v_cvt_f32_f16 v1, v2;
	;;#ASMEND
	;;#ASMSTART
	v_cvt_f32_f16 v2, v3;
	;;#ASMEND
	v_add_f32_e32 v1, v1, v2
	v_add_f32_e32 v13, v13, v1
.LBB86_33:                              ;   in Loop: Header=BB86_34 Depth=1
	s_or_b32 exec_lo, exec_lo, s2
	v_add_nc_u32_e32 v5, 4, v5
	v_add_f32_e32 v1, v8, v9
	v_add_f32_e32 v2, v31, v32
	;; [unrolled: 1-line block ×3, first 2 shown]
	v_add_co_u32 v6, s1, v6, 16
	v_cmp_le_i32_e32 vcc_lo, s11, v5
	v_add_f32_e32 v14, v14, v1
	v_add_f32_e32 v15, v15, v2
	;; [unrolled: 1-line block ×3, first 2 shown]
	v_add_nc_u32_e32 v18, 32, v18
	v_add_nc_u32_e32 v19, 0x80, v19
	v_add_co_ci_u32_e64 v7, null, 0, v7, s1
	s_or_b32 s9, vcc_lo, s9
	s_andn2_b32 exec_lo, exec_lo, s9
	s_cbranch_execz .LBB86_43
.LBB86_34:                              ; =>This Inner Loop Header: Depth=1
	global_load_dword v8, v[6:7], off
	ds_read2_b64 v[1:4], v19 offset1:1
	ds_read2_b64 v[32:35], v19 offset0:2 offset1:3
	s_waitcnt lgkmcnt(1)
	;;#ASMSTART
	v_cvt_f16_f32 v28, v1;

	;;#ASMEND
	;;#ASMSTART
	v_cvt_f16_f32 v23, v2;

	;;#ASMEND
	;;#ASMSTART
	v_cvt_f16_f32 v31, v3;

	;;#ASMEND
	;;#ASMSTART
	v_cvt_f16_f32 v27, v4;

	;;#ASMEND
	s_waitcnt lgkmcnt(0)
	;;#ASMSTART
	v_cvt_f16_f32 v32, v32;

	;;#ASMEND
	;;#ASMSTART
	v_cvt_f16_f32 v29, v33;

	;;#ASMEND
	;; [unrolled: 4-line block ×4, first 2 shown]
	v_add_nc_u32_e32 v22, -7, v18
	v_cmp_eq_u32_e64 s1, s12, v5
	s_waitcnt vmcnt(0)
	v_mad_i64_i32 v[8:9], null, v8, s13, 0
	v_lshlrev_b64 v[8:9], 1, v[8:9]
	v_add_co_u32 v25, vcc_lo, s5, v8
	v_add_co_ci_u32_e64 v26, null, s6, v9, vcc_lo
	v_add_co_u32 v8, vcc_lo, v25, v20
	v_add_co_ci_u32_e64 v9, null, 0, v26, vcc_lo
	global_load_dwordx4 v[1:4], v[8:9], off
	s_waitcnt vmcnt(0)
	v_lshrrev_b32_e32 v35, 16, v1
	v_lshrrev_b32_e32 v34, 16, v2
	;; [unrolled: 1-line block ×3, first 2 shown]
	s_and_saveexec_b32 s14, s1
	s_cbranch_execz .LBB86_36
; %bb.35:                               ;   in Loop: Header=BB86_34 Depth=1
	v_add_nc_u32_e32 v36, -6, v18
	v_cmp_gt_i32_e32 vcc_lo, s23, v22
	v_add_nc_u32_e32 v37, -5, v18
	v_add_nc_u32_e32 v39, -1, v18
	v_add_nc_u32_e32 v38, -4, v18
	v_cndmask_b32_e32 v1, 0, v1, vcc_lo
	v_cmp_gt_i32_e32 vcc_lo, s23, v36
	v_add_nc_u32_e32 v36, -3, v18
	v_cmp_gt_i32_e64 s2, s23, v38
	v_and_b32_e32 v38, 0xffff0000, v4
	v_cndmask_b32_e32 v35, 0, v35, vcc_lo
	v_cmp_gt_i32_e32 vcc_lo, s23, v37
	v_add_nc_u32_e32 v37, -2, v18
	v_cndmask_b32_e64 v34, 0, v34, s2
	v_cndmask_b32_e32 v2, 0, v2, vcc_lo
	v_cmp_gt_i32_e32 vcc_lo, s23, v39
	v_cndmask_b32_sdwa v4, v17, v4, vcc_lo dst_sel:DWORD dst_unused:UNUSED_PAD src0_sel:DWORD src1_sel:WORD_0
	v_cmp_gt_i32_e32 vcc_lo, s23, v18
	v_cndmask_b32_e32 v38, 0, v38, vcc_lo
	v_cmp_gt_i32_e32 vcc_lo, s23, v36
	v_or_b32_e32 v4, v4, v38
	v_cndmask_b32_e32 v3, 0, v3, vcc_lo
	v_cmp_gt_i32_e32 vcc_lo, s23, v37
	v_cndmask_b32_e32 v33, 0, v33, vcc_lo
.LBB86_36:                              ;   in Loop: Header=BB86_34 Depth=1
	s_or_b32 exec_lo, exec_lo, s14
	v_and_b32_e32 v28, 0xffff, v28
	v_and_b32_e32 v31, 0xffff, v31
	v_lshlrev_b32_e32 v35, 16, v35
	v_and_b32_e32 v32, 0xffff, v32
	v_and_b32_e32 v30, 0xffff, v30
	v_lshl_or_b32 v28, v23, 16, v28
	v_lshl_or_b32 v27, v27, 16, v31
	v_lshlrev_b32_e32 v23, 16, v34
	v_lshlrev_b32_e32 v31, 16, v33
	v_and_or_b32 v1, 0xffff, v1, v35
	;;#ASMSTART
	v_pk_mul_f16 v1, v28, v1;

	;;#ASMEND
	v_lshl_or_b32 v29, v29, 16, v32
	v_and_or_b32 v2, 0xffff, v2, v23
	v_and_or_b32 v3, 0xffff, v3, v31
	v_lshl_or_b32 v30, v24, 16, v30
	;;#ASMSTART
	v_pk_mul_f16 v2, v27, v2;

	;;#ASMEND
	;;#ASMSTART
	v_pk_mul_f16 v3, v29, v3;

	;;#ASMEND
	;; [unrolled: 4-line block ×3, first 2 shown]
	;;#ASMSTART
	v_pk_add_f16 v1, v1, v2;

	;;#ASMEND
	;;#ASMSTART
	v_pk_add_f16 v1, v1, v3;

	;;#ASMEND
	;;#ASMSTART
	v_pk_add_f16 v1, v1, v4;

	;;#ASMEND
	v_and_b32_e32 v2, 0xffff, v1
	v_lshrrev_b32_e32 v1, 16, v1
	;;#ASMSTART
	v_cvt_f32_f16 v23, v2;
	;;#ASMEND
	;;#ASMSTART
	v_cvt_f32_f16 v24, v1;
	;;#ASMEND
	global_load_dwordx4 v[1:4], v[8:9], off offset:512
	s_waitcnt vmcnt(0)
	v_lshrrev_b32_e32 v33, 16, v1
	v_lshrrev_b32_e32 v32, 16, v2
	;; [unrolled: 1-line block ×3, first 2 shown]
	s_and_saveexec_b32 s14, s1
	s_cbranch_execz .LBB86_38
; %bb.37:                               ;   in Loop: Header=BB86_34 Depth=1
	v_add_nc_u32_e32 v34, -6, v18
	v_cmp_gt_i32_e32 vcc_lo, s23, v22
	v_add_nc_u32_e32 v35, -5, v18
	v_add_nc_u32_e32 v37, -1, v18
	v_add_nc_u32_e32 v36, -4, v18
	v_cndmask_b32_e32 v1, 0, v1, vcc_lo
	v_cmp_gt_i32_e32 vcc_lo, s23, v34
	v_add_nc_u32_e32 v34, -3, v18
	v_cmp_gt_i32_e64 s2, s23, v36
	v_and_b32_e32 v36, 0xffff0000, v4
	v_cndmask_b32_e32 v33, 0, v33, vcc_lo
	v_cmp_gt_i32_e32 vcc_lo, s23, v35
	v_add_nc_u32_e32 v35, -2, v18
	v_cndmask_b32_e64 v32, 0, v32, s2
	v_cndmask_b32_e32 v2, 0, v2, vcc_lo
	v_cmp_gt_i32_e32 vcc_lo, s23, v37
	v_cndmask_b32_sdwa v4, v17, v4, vcc_lo dst_sel:DWORD dst_unused:UNUSED_PAD src0_sel:DWORD src1_sel:WORD_0
	v_cmp_gt_i32_e32 vcc_lo, s23, v18
	v_cndmask_b32_e32 v36, 0, v36, vcc_lo
	v_cmp_gt_i32_e32 vcc_lo, s23, v34
	v_or_b32_e32 v4, v4, v36
	v_cndmask_b32_e32 v3, 0, v3, vcc_lo
	v_cmp_gt_i32_e32 vcc_lo, s23, v35
	v_cndmask_b32_e32 v31, 0, v31, vcc_lo
.LBB86_38:                              ;   in Loop: Header=BB86_34 Depth=1
	s_or_b32 exec_lo, exec_lo, s14
	v_lshlrev_b32_e32 v33, 16, v33
	v_lshlrev_b32_e32 v32, 16, v32
	;; [unrolled: 1-line block ×3, first 2 shown]
	v_and_or_b32 v1, 0xffff, v1, v33
	v_and_or_b32 v2, 0xffff, v2, v32
	;; [unrolled: 1-line block ×3, first 2 shown]
	;;#ASMSTART
	v_pk_mul_f16 v1, v28, v1;

	;;#ASMEND
	;;#ASMSTART
	v_pk_mul_f16 v2, v27, v2;

	;;#ASMEND
	;; [unrolled: 4-line block ×4, first 2 shown]
	;;#ASMSTART
	v_pk_add_f16 v1, v1, v2;

	;;#ASMEND
	;;#ASMSTART
	v_pk_add_f16 v1, v1, v3;

	;;#ASMEND
	;; [unrolled: 4-line block ×3, first 2 shown]
	v_and_b32_e32 v2, 0xffff, v1
	v_lshrrev_b32_e32 v1, 16, v1
	;;#ASMSTART
	v_cvt_f32_f16 v31, v2;
	;;#ASMEND
	;;#ASMSTART
	v_cvt_f32_f16 v32, v1;
	;;#ASMEND
	global_load_dwordx4 v[1:4], v[8:9], off offset:1024
	s_waitcnt vmcnt(0)
	v_lshrrev_b32_e32 v33, 16, v1
	v_lshrrev_b32_e32 v9, 16, v2
	;; [unrolled: 1-line block ×3, first 2 shown]
	s_and_saveexec_b32 s14, s1
	s_cbranch_execz .LBB86_40
; %bb.39:                               ;   in Loop: Header=BB86_34 Depth=1
	v_add_nc_u32_e32 v34, -6, v18
	v_cmp_gt_i32_e32 vcc_lo, s23, v22
	v_add_nc_u32_e32 v35, -5, v18
	v_add_nc_u32_e32 v37, -1, v18
	;; [unrolled: 1-line block ×3, first 2 shown]
	v_cndmask_b32_e32 v1, 0, v1, vcc_lo
	v_cmp_gt_i32_e32 vcc_lo, s23, v34
	v_add_nc_u32_e32 v34, -3, v18
	v_cmp_gt_i32_e64 s2, s23, v36
	v_and_b32_e32 v36, 0xffff0000, v4
	v_cndmask_b32_e32 v33, 0, v33, vcc_lo
	v_cmp_gt_i32_e32 vcc_lo, s23, v35
	v_add_nc_u32_e32 v35, -2, v18
	v_cndmask_b32_e64 v9, 0, v9, s2
	v_cndmask_b32_e32 v2, 0, v2, vcc_lo
	v_cmp_gt_i32_e32 vcc_lo, s23, v37
	v_cndmask_b32_sdwa v4, v17, v4, vcc_lo dst_sel:DWORD dst_unused:UNUSED_PAD src0_sel:DWORD src1_sel:WORD_0
	v_cmp_gt_i32_e32 vcc_lo, s23, v18
	v_cndmask_b32_e32 v36, 0, v36, vcc_lo
	v_cmp_gt_i32_e32 vcc_lo, s23, v34
	v_or_b32_e32 v4, v4, v36
	v_cndmask_b32_e32 v3, 0, v3, vcc_lo
	v_cmp_gt_i32_e32 vcc_lo, s23, v35
	v_cndmask_b32_e32 v8, 0, v8, vcc_lo
.LBB86_40:                              ;   in Loop: Header=BB86_34 Depth=1
	s_or_b32 exec_lo, exec_lo, s14
	v_lshlrev_b32_e32 v33, 16, v33
	v_lshlrev_b32_e32 v9, 16, v9
	;; [unrolled: 1-line block ×3, first 2 shown]
	v_and_or_b32 v1, 0xffff, v1, v33
	v_and_or_b32 v2, 0xffff, v2, v9
	;; [unrolled: 1-line block ×3, first 2 shown]
	;;#ASMSTART
	v_pk_mul_f16 v1, v28, v1;

	;;#ASMEND
	;;#ASMSTART
	v_pk_mul_f16 v2, v27, v2;

	;;#ASMEND
	;; [unrolled: 4-line block ×4, first 2 shown]
	;;#ASMSTART
	v_pk_add_f16 v1, v1, v2;

	;;#ASMEND
	;;#ASMSTART
	v_pk_add_f16 v1, v1, v3;

	;;#ASMEND
	;; [unrolled: 4-line block ×3, first 2 shown]
	v_and_b32_e32 v2, 0xffff, v1
	v_lshrrev_b32_e32 v1, 16, v1
	;;#ASMSTART
	v_cvt_f32_f16 v8, v2;
	;;#ASMEND
	;;#ASMSTART
	v_cvt_f32_f16 v9, v1;
	;;#ASMEND
	s_and_saveexec_b32 s2, s0
	s_cbranch_execz .LBB86_33
; %bb.41:                               ;   in Loop: Header=BB86_34 Depth=1
	v_add_co_u32 v1, vcc_lo, v25, v21
	v_add_co_ci_u32_e64 v2, null, 0, v26, vcc_lo
	global_load_dwordx4 v[1:4], v[1:2], off
	s_waitcnt vmcnt(0)
	v_lshrrev_b32_e32 v33, 16, v1
	v_lshrrev_b32_e32 v26, 16, v2
	;; [unrolled: 1-line block ×3, first 2 shown]
	s_and_saveexec_b32 s14, s1
	s_cbranch_execz .LBB86_32
; %bb.42:                               ;   in Loop: Header=BB86_34 Depth=1
	v_add_nc_u32_e32 v34, -6, v18
	v_cmp_gt_i32_e32 vcc_lo, s23, v22
	v_add_nc_u32_e32 v22, -5, v18
	v_add_nc_u32_e32 v36, -1, v18
	;; [unrolled: 1-line block ×3, first 2 shown]
	v_cndmask_b32_e32 v1, 0, v1, vcc_lo
	v_cmp_gt_i32_e32 vcc_lo, s23, v34
	v_add_nc_u32_e32 v34, -2, v18
	v_cmp_gt_i32_e64 s1, s23, v35
	v_and_b32_e32 v35, 0xffff0000, v4
	v_cndmask_b32_e32 v33, 0, v33, vcc_lo
	v_cmp_gt_i32_e32 vcc_lo, s23, v22
	v_add_nc_u32_e32 v22, -3, v18
	v_cndmask_b32_e64 v26, 0, v26, s1
	v_cndmask_b32_e32 v2, 0, v2, vcc_lo
	v_cmp_gt_i32_e32 vcc_lo, s23, v36
	v_cndmask_b32_sdwa v4, v17, v4, vcc_lo dst_sel:DWORD dst_unused:UNUSED_PAD src0_sel:DWORD src1_sel:WORD_0
	v_cmp_gt_i32_e32 vcc_lo, s23, v18
	v_cndmask_b32_e32 v35, 0, v35, vcc_lo
	v_cmp_gt_i32_e32 vcc_lo, s23, v22
	v_or_b32_e32 v4, v4, v35
	v_cndmask_b32_e32 v3, 0, v3, vcc_lo
	v_cmp_gt_i32_e32 vcc_lo, s23, v34
	v_cndmask_b32_e32 v25, 0, v25, vcc_lo
	s_branch .LBB86_32
.LBB86_43:
	s_or_b32 exec_lo, exec_lo, s9
.LBB86_44:
	s_or_b32 exec_lo, exec_lo, s3
	s_movk_i32 s0, 0x1e0
	v_and_b32_e32 v1, 0x3c0, v0
	v_mad_u32_u24 v4, v10, s0, 0x110
	v_or_b32_e32 v3, 0x60, v0
	s_mov_b32 s0, exec_lo
	s_waitcnt_vscnt null, 0x0
	s_barrier
	buffer_gl0_inv
	v_cmpx_eq_u32_e32 64, v1
	s_cbranch_execz .LBB86_47
; %bb.45:
	v_add_nc_u32_e32 v1, 0xfffffc40, v4
	v_cmp_gt_u32_e32 vcc_lo, 0x78, v3
	v_lshl_add_u32 v2, v11, 2, v1
	ds_write2_b32 v2, v16, v15 offset1:32
	ds_write_b32 v2, v14 offset:256
	s_and_b32 exec_lo, exec_lo, vcc_lo
; %bb.46:
	v_lshl_add_u32 v1, v3, 2, v1
	ds_write_b32 v1, v13
.LBB86_47:
	s_or_b32 exec_lo, exec_lo, s0
	v_lshl_add_u32 v5, v11, 2, v4
	s_mov_b32 s0, exec_lo
	s_waitcnt lgkmcnt(0)
	s_barrier
	buffer_gl0_inv
	v_cmpx_gt_u32_e32 64, v0
	s_cbranch_execz .LBB86_51
; %bb.48:
	v_lshl_or_b32 v1, v0, 2, 0x80
	s_mov_b32 s1, exec_lo
	v_add_nc_u32_e32 v6, v4, v1
	ds_read2st64_b32 v[1:2], v5 offset1:1
	ds_read_b32 v6, v6
	v_cmpx_gt_u32_e32 0x78, v3
	s_cbranch_execz .LBB86_50
; %bb.49:
	v_lshl_add_u32 v7, v3, 2, v4
	ds_read_b32 v7, v7
	s_waitcnt lgkmcnt(0)
	v_add_f32_e32 v13, v13, v7
.LBB86_50:
	s_or_b32 exec_lo, exec_lo, s1
	s_waitcnt lgkmcnt(1)
	v_add_f32_e32 v16, v16, v1
	s_waitcnt lgkmcnt(0)
	v_add_f32_e32 v15, v15, v6
	v_add_f32_e32 v14, v14, v2
.LBB86_51:
	s_or_b32 exec_lo, exec_lo, s0
	v_and_b32_e32 v1, 0x3e0, v0
	s_mov_b32 s0, exec_lo
	s_barrier
	buffer_gl0_inv
	v_cmpx_eq_u32_e32 32, v1
	s_cbranch_execz .LBB86_54
; %bb.52:
	v_lshl_add_u32 v1, v11, 2, 0x110
	v_cmp_gt_u32_e32 vcc_lo, 0x78, v3
	ds_write_b32 v1, v16
	ds_write_b32 v12, v15
	ds_write_b32 v1, v14 offset:256
	s_and_b32 exec_lo, exec_lo, vcc_lo
; %bb.53:
	v_lshl_add_u32 v1, v3, 2, 0x110
	ds_write_b32 v1, v13
.LBB86_54:
	s_or_b32 exec_lo, exec_lo, s0
	v_cmp_gt_u32_e32 vcc_lo, 32, v0
	s_waitcnt lgkmcnt(0)
	s_barrier
	buffer_gl0_inv
	s_and_saveexec_b32 s1, vcc_lo
	s_cbranch_execz .LBB86_58
; %bb.55:
	v_lshl_add_u32 v6, v0, 2, v4
	s_mov_b32 s2, exec_lo
	ds_read_b32 v4, v5
	ds_read2_b32 v[1:2], v6 offset0:32 offset1:64
	v_cmpx_gt_u32_e32 0x78, v3
	s_cbranch_execz .LBB86_57
; %bb.56:
	ds_read_b32 v5, v6 offset:384
	s_waitcnt lgkmcnt(0)
	v_add_f32_e32 v13, v13, v5
.LBB86_57:
	s_or_b32 exec_lo, exec_lo, s2
	s_waitcnt lgkmcnt(1)
	v_add_f32_e32 v16, v16, v4
	s_waitcnt lgkmcnt(0)
	v_add_f32_e32 v15, v15, v1
	v_add_f32_e32 v14, v14, v2
.LBB86_58:
	s_or_b32 exec_lo, exec_lo, s1
	s_barrier
	buffer_gl0_inv
	s_and_saveexec_b32 s0, vcc_lo
	s_cbranch_execz .LBB86_61
; %bb.59:
	s_mul_i32 s0, s4, 0x78
	s_mul_i32 s2, s7, s10
	s_ashr_i32 s1, s0, 31
	v_lshlrev_b32_e32 v0, 1, v0
	s_lshl_b64 s[0:1], s[0:1], 1
	v_cmp_gt_u32_e32 vcc_lo, 0x78, v3
	s_add_u32 s4, s20, s0
	s_addc_u32 s5, s21, s1
	s_ashr_i32 s3, s2, 31
	;;#ASMSTART
	v_cvt_f16_f32 v1, v16;

	;;#ASMEND
	s_lshl_b64 s[0:1], s[2:3], 1
	s_mul_i32 s2, s8, 0x78
	s_add_u32 s4, s4, s0
	s_addc_u32 s5, s5, s1
	s_ashr_i32 s3, s2, 31
	s_lshl_b64 s[0:1], s[2:3], 1
	s_add_u32 s0, s4, s0
	s_addc_u32 s1, s5, s1
	global_store_short v0, v1, s[0:1]
	;;#ASMSTART
	v_cvt_f16_f32 v1, v15;

	;;#ASMEND
	global_store_short v0, v1, s[0:1] offset:64
	;;#ASMSTART
	v_cvt_f16_f32 v1, v14;

	;;#ASMEND
	global_store_short v0, v1, s[0:1] offset:128
	s_and_b32 exec_lo, exec_lo, vcc_lo
	s_cbranch_execz .LBB86_61
; %bb.60:
	v_add_co_u32 v0, s0, s0, v0
	v_add_co_ci_u32_e64 v1, null, s1, 0, s0
	;;#ASMSTART
	v_cvt_f16_f32 v2, v13;

	;;#ASMEND
	global_store_short v[0:1], v2, off offset:192
.LBB86_61:
	s_endpgm
	.section	.rodata,"a",@progbits
	.p2align	6, 0x0
	.amdhsa_kernel _ZN4vllm25paged_attention_v2_kernelIttLi120ELi8ELi128ELNS_18Fp8KVCacheDataTypeE0ELb0ELi512EEEvPfS2_PT_PKS3_PKT0_S9_ifPKiSB_iPKfiiiSD_SD_iiiii
		.amdhsa_group_segment_fixed_size 272
		.amdhsa_private_segment_fixed_size 0
		.amdhsa_kernarg_size 400
		.amdhsa_user_sgpr_count 6
		.amdhsa_user_sgpr_private_segment_buffer 1
		.amdhsa_user_sgpr_dispatch_ptr 0
		.amdhsa_user_sgpr_queue_ptr 0
		.amdhsa_user_sgpr_kernarg_segment_ptr 1
		.amdhsa_user_sgpr_dispatch_id 0
		.amdhsa_user_sgpr_flat_scratch_init 0
		.amdhsa_user_sgpr_private_segment_size 0
		.amdhsa_wavefront_size32 1
		.amdhsa_uses_dynamic_stack 0
		.amdhsa_system_sgpr_private_segment_wavefront_offset 0
		.amdhsa_system_sgpr_workgroup_id_x 1
		.amdhsa_system_sgpr_workgroup_id_y 1
		.amdhsa_system_sgpr_workgroup_id_z 1
		.amdhsa_system_sgpr_workgroup_info 0
		.amdhsa_system_vgpr_workitem_id 0
		.amdhsa_next_free_vgpr 71
		.amdhsa_next_free_sgpr 36
		.amdhsa_reserve_vcc 1
		.amdhsa_reserve_flat_scratch 0
		.amdhsa_float_round_mode_32 0
		.amdhsa_float_round_mode_16_64 0
		.amdhsa_float_denorm_mode_32 3
		.amdhsa_float_denorm_mode_16_64 3
		.amdhsa_dx10_clamp 1
		.amdhsa_ieee_mode 1
		.amdhsa_fp16_overflow 0
		.amdhsa_workgroup_processor_mode 1
		.amdhsa_memory_ordered 1
		.amdhsa_forward_progress 1
		.amdhsa_shared_vgpr_count 0
		.amdhsa_exception_fp_ieee_invalid_op 0
		.amdhsa_exception_fp_denorm_src 0
		.amdhsa_exception_fp_ieee_div_zero 0
		.amdhsa_exception_fp_ieee_overflow 0
		.amdhsa_exception_fp_ieee_underflow 0
		.amdhsa_exception_fp_ieee_inexact 0
		.amdhsa_exception_int_div_zero 0
	.end_amdhsa_kernel
	.section	.text._ZN4vllm25paged_attention_v2_kernelIttLi120ELi8ELi128ELNS_18Fp8KVCacheDataTypeE0ELb0ELi512EEEvPfS2_PT_PKS3_PKT0_S9_ifPKiSB_iPKfiiiSD_SD_iiiii,"axG",@progbits,_ZN4vllm25paged_attention_v2_kernelIttLi120ELi8ELi128ELNS_18Fp8KVCacheDataTypeE0ELb0ELi512EEEvPfS2_PT_PKS3_PKT0_S9_ifPKiSB_iPKfiiiSD_SD_iiiii,comdat
.Lfunc_end86:
	.size	_ZN4vllm25paged_attention_v2_kernelIttLi120ELi8ELi128ELNS_18Fp8KVCacheDataTypeE0ELb0ELi512EEEvPfS2_PT_PKS3_PKT0_S9_ifPKiSB_iPKfiiiSD_SD_iiiii, .Lfunc_end86-_ZN4vllm25paged_attention_v2_kernelIttLi120ELi8ELi128ELNS_18Fp8KVCacheDataTypeE0ELb0ELi512EEEvPfS2_PT_PKS3_PKT0_S9_ifPKiSB_iPKfiiiSD_SD_iiiii
                                        ; -- End function
	.set _ZN4vllm25paged_attention_v2_kernelIttLi120ELi8ELi128ELNS_18Fp8KVCacheDataTypeE0ELb0ELi512EEEvPfS2_PT_PKS3_PKT0_S9_ifPKiSB_iPKfiiiSD_SD_iiiii.num_vgpr, 71
	.set _ZN4vllm25paged_attention_v2_kernelIttLi120ELi8ELi128ELNS_18Fp8KVCacheDataTypeE0ELb0ELi512EEEvPfS2_PT_PKS3_PKT0_S9_ifPKiSB_iPKfiiiSD_SD_iiiii.num_agpr, 0
	.set _ZN4vllm25paged_attention_v2_kernelIttLi120ELi8ELi128ELNS_18Fp8KVCacheDataTypeE0ELb0ELi512EEEvPfS2_PT_PKS3_PKT0_S9_ifPKiSB_iPKfiiiSD_SD_iiiii.numbered_sgpr, 36
	.set _ZN4vllm25paged_attention_v2_kernelIttLi120ELi8ELi128ELNS_18Fp8KVCacheDataTypeE0ELb0ELi512EEEvPfS2_PT_PKS3_PKT0_S9_ifPKiSB_iPKfiiiSD_SD_iiiii.num_named_barrier, 0
	.set _ZN4vllm25paged_attention_v2_kernelIttLi120ELi8ELi128ELNS_18Fp8KVCacheDataTypeE0ELb0ELi512EEEvPfS2_PT_PKS3_PKT0_S9_ifPKiSB_iPKfiiiSD_SD_iiiii.private_seg_size, 0
	.set _ZN4vllm25paged_attention_v2_kernelIttLi120ELi8ELi128ELNS_18Fp8KVCacheDataTypeE0ELb0ELi512EEEvPfS2_PT_PKS3_PKT0_S9_ifPKiSB_iPKfiiiSD_SD_iiiii.uses_vcc, 1
	.set _ZN4vllm25paged_attention_v2_kernelIttLi120ELi8ELi128ELNS_18Fp8KVCacheDataTypeE0ELb0ELi512EEEvPfS2_PT_PKS3_PKT0_S9_ifPKiSB_iPKfiiiSD_SD_iiiii.uses_flat_scratch, 0
	.set _ZN4vllm25paged_attention_v2_kernelIttLi120ELi8ELi128ELNS_18Fp8KVCacheDataTypeE0ELb0ELi512EEEvPfS2_PT_PKS3_PKT0_S9_ifPKiSB_iPKfiiiSD_SD_iiiii.has_dyn_sized_stack, 0
	.set _ZN4vllm25paged_attention_v2_kernelIttLi120ELi8ELi128ELNS_18Fp8KVCacheDataTypeE0ELb0ELi512EEEvPfS2_PT_PKS3_PKT0_S9_ifPKiSB_iPKfiiiSD_SD_iiiii.has_recursion, 0
	.set _ZN4vllm25paged_attention_v2_kernelIttLi120ELi8ELi128ELNS_18Fp8KVCacheDataTypeE0ELb0ELi512EEEvPfS2_PT_PKS3_PKT0_S9_ifPKiSB_iPKfiiiSD_SD_iiiii.has_indirect_call, 0
	.section	.AMDGPU.csdata,"",@progbits
; Kernel info:
; codeLenInByte = 7024
; TotalNumSgprs: 38
; NumVgprs: 71
; ScratchSize: 0
; MemoryBound: 0
; FloatMode: 240
; IeeeMode: 1
; LDSByteSize: 272 bytes/workgroup (compile time only)
; SGPRBlocks: 0
; VGPRBlocks: 8
; NumSGPRsForWavesPerEU: 38
; NumVGPRsForWavesPerEU: 71
; Occupancy: 12
; WaveLimiterHint : 1
; COMPUTE_PGM_RSRC2:SCRATCH_EN: 0
; COMPUTE_PGM_RSRC2:USER_SGPR: 6
; COMPUTE_PGM_RSRC2:TRAP_HANDLER: 0
; COMPUTE_PGM_RSRC2:TGID_X_EN: 1
; COMPUTE_PGM_RSRC2:TGID_Y_EN: 1
; COMPUTE_PGM_RSRC2:TGID_Z_EN: 1
; COMPUTE_PGM_RSRC2:TIDIG_COMP_CNT: 0
	.section	.text._ZN4vllm25paged_attention_v2_kernelIttLi128ELi8ELi128ELNS_18Fp8KVCacheDataTypeE0ELb0ELi512EEEvPfS2_PT_PKS3_PKT0_S9_ifPKiSB_iPKfiiiSD_SD_iiiii,"axG",@progbits,_ZN4vllm25paged_attention_v2_kernelIttLi128ELi8ELi128ELNS_18Fp8KVCacheDataTypeE0ELb0ELi512EEEvPfS2_PT_PKS3_PKT0_S9_ifPKiSB_iPKfiiiSD_SD_iiiii,comdat
	.protected	_ZN4vllm25paged_attention_v2_kernelIttLi128ELi8ELi128ELNS_18Fp8KVCacheDataTypeE0ELb0ELi512EEEvPfS2_PT_PKS3_PKT0_S9_ifPKiSB_iPKfiiiSD_SD_iiiii ; -- Begin function _ZN4vllm25paged_attention_v2_kernelIttLi128ELi8ELi128ELNS_18Fp8KVCacheDataTypeE0ELb0ELi512EEEvPfS2_PT_PKS3_PKT0_S9_ifPKiSB_iPKfiiiSD_SD_iiiii
	.globl	_ZN4vllm25paged_attention_v2_kernelIttLi128ELi8ELi128ELNS_18Fp8KVCacheDataTypeE0ELb0ELi512EEEvPfS2_PT_PKS3_PKT0_S9_ifPKiSB_iPKfiiiSD_SD_iiiii
	.p2align	8
	.type	_ZN4vllm25paged_attention_v2_kernelIttLi128ELi8ELi128ELNS_18Fp8KVCacheDataTypeE0ELb0ELi512EEEvPfS2_PT_PKS3_PKT0_S9_ifPKiSB_iPKfiiiSD_SD_iiiii,@function
_ZN4vllm25paged_attention_v2_kernelIttLi128ELi8ELi128ELNS_18Fp8KVCacheDataTypeE0ELb0ELi512EEEvPfS2_PT_PKS3_PKT0_S9_ifPKiSB_iPKfiiiSD_SD_iiiii: ; @_ZN4vllm25paged_attention_v2_kernelIttLi128ELi8ELi128ELNS_18Fp8KVCacheDataTypeE0ELb0ELi512EEEvPfS2_PT_PKS3_PKT0_S9_ifPKiSB_iPKfiiiSD_SD_iiiii
; %bb.0:
	s_load_dwordx2 s[0:1], s[4:5], 0x40
	s_mov_b32 s22, s7
	s_ashr_i32 s23, s7, 31
	s_lshl_b64 s[2:3], s[22:23], 2
	s_waitcnt lgkmcnt(0)
	s_add_u32 s0, s0, s2
	s_addc_u32 s1, s1, s3
	s_lshl_b32 s33, s8, 9
	s_load_dword s23, s[0:1], 0x0
	s_waitcnt lgkmcnt(0)
	s_cmp_ge_i32 s33, s23
	s_cbranch_scc1 .LBB87_52
; %bb.1:
	s_clause 0x1
	s_load_dword s9, s[4:5], 0x90
	s_load_dwordx2 s[30:31], s[4:5], 0x30
	s_mov_b32 s34, 0
	s_waitcnt lgkmcnt(0)
	s_abs_i32 s3, s9
	s_abs_i32 s0, s30
	v_cvt_f32_u32_e32 v1, s0
	s_sub_i32 s2, 0, s0
	v_rcp_iflag_f32_e32 v1, v1
	v_mul_f32_e32 v1, 0x4f7ffffe, v1
	v_cvt_u32_f32_e32 v1, v1
	v_readfirstlane_b32 s1, v1
	s_mul_i32 s2, s2, s1
	s_mul_hi_u32 s2, s1, s2
	s_add_i32 s1, s1, s2
	s_xor_b32 s2, s9, s30
	s_mul_hi_u32 s1, s3, s1
	s_ashr_i32 s2, s2, 31
	s_mul_i32 s7, s1, s0
	s_sub_i32 s3, s3, s7
	s_add_i32 s7, s1, 1
	s_sub_i32 s10, s3, s0
	s_cmp_ge_u32 s3, s0
	s_cselect_b32 s1, s7, s1
	s_cselect_b32 s3, s10, s3
	s_add_i32 s7, s1, 1
	s_cmp_ge_u32 s3, s0
	s_cselect_b32 s0, s7, s1
	s_abs_i32 s16, s6
	s_xor_b32 s0, s0, s2
	s_sub_i32 s10, s0, s2
	s_load_dwordx2 s[0:1], s[4:5], 0x50
	s_abs_i32 s2, s10
	v_cvt_f32_u32_e32 v1, s2
	s_sub_i32 s7, 0, s2
	v_rcp_iflag_f32_e32 v1, v1
	v_mul_f32_e32 v1, 0x4f7ffffe, v1
	v_cvt_u32_f32_e32 v1, v1
	v_readfirstlane_b32 s3, v1
	s_mul_i32 s7, s7, s3
	s_mul_hi_u32 s7, s3, s7
	s_add_i32 s3, s3, s7
	s_waitcnt lgkmcnt(0)
	s_cmp_eq_u64 s[0:1], 0
	s_mul_hi_u32 s3, s16, s3
	s_cbranch_scc1 .LBB87_3
; %bb.2:
	s_ashr_i32 s7, s6, 31
	s_lshl_b64 s[12:13], s[6:7], 2
	s_add_u32 s0, s0, s12
	s_addc_u32 s1, s1, s13
	s_load_dword s34, s[0:1], 0x0
.LBB87_3:
	s_load_dwordx4 s[12:15], s[4:5], 0x58
	v_and_b32_e32 v1, 3, v0
	v_cmp_gt_u32_e64 s0, 64, v0
	v_lshlrev_b32_e32 v2, 2, v0
	s_ashr_i32 s1, s6, 31
	s_ashr_i32 s7, s10, 31
	s_lshl_b32 s10, s6, 7
	s_waitcnt lgkmcnt(0)
	s_and_saveexec_b32 s15, s0
	s_cbranch_execz .LBB87_5
; %bb.4:
	s_load_dwordx2 s[18:19], s[4:5], 0x18
	s_mul_i32 s20, s12, s22
	v_and_b32_e32 v4, 0x3fc, v0
	s_ashr_i32 s21, s20, 31
	s_lshl_b64 s[20:21], s[20:21], 1
	v_lshl_add_u32 v4, v1, 6, v4
	s_waitcnt lgkmcnt(0)
	s_add_u32 s12, s18, s20
	s_addc_u32 s17, s19, s21
	s_ashr_i32 s11, s10, 31
	s_lshl_b64 s[18:19], s[10:11], 1
	s_add_u32 s18, s12, s18
	s_addc_u32 s19, s17, s19
	global_load_dword v3, v2, s[18:19]
	s_waitcnt vmcnt(0)
	ds_write_b32 v4, v3
.LBB87_5:
	s_or_b32 exec_lo, exec_lo, s15
	s_add_i32 s11, s23, 7
	s_lshl_b32 s30, s8, 6
	s_ashr_i32 s12, s11, 31
	s_xor_b32 s1, s1, s7
	s_lshr_b32 s12, s12, 29
	s_add_i32 s7, s30, 64
	s_add_i32 s11, s11, s12
	s_mul_i32 s15, s3, s2
	s_ashr_i32 s12, s11, 3
	s_sub_i32 s15, s16, s15
	s_min_i32 s11, s7, s12
	s_clause 0x1
	s_load_dwordx2 s[24:25], s[4:5], 0x38
	s_load_dword s7, s[4:5], 0x48
	s_add_i32 s16, s3, 1
	s_sub_i32 s17, s15, s2
	s_cmp_ge_u32 s15, s2
	v_lshrrev_b32_e32 v10, 5, v0
	s_cselect_b32 s3, s16, s3
	s_cselect_b32 s15, s17, s15
	s_add_i32 s16, s3, 1
	s_cmp_ge_u32 s15, s2
	v_or_b32_e32 v5, s30, v10
	s_cselect_b32 s2, s16, s3
	v_mbcnt_lo_u32_b32 v4, -1, 0
	s_xor_b32 s2, s2, s1
	s_mov_b32 s3, exec_lo
	s_sub_i32 s2, s2, s1
	v_cmp_gt_i32_e64 s1, s11, v5
	s_waitcnt lgkmcnt(0)
	s_barrier
	buffer_gl0_inv
                                        ; implicit-def: $vgpr7
                                        ; implicit-def: $vgpr8
	s_mul_i32 s26, s7, s22
	s_ashr_i32 s27, s26, 31
	v_cmpx_le_i32_e64 s11, v5
	s_xor_b32 s3, exec_lo, s3
; %bb.6:
	v_mov_b32_e32 v7, 0
	v_mbcnt_lo_u32_b32 v4, -1, 0
	v_mov_b32_e32 v8, 32
                                        ; implicit-def: $vgpr2
                                        ; implicit-def: $vgpr1
; %bb.7:
	s_or_saveexec_b32 s35, s3
	s_clause 0x3
	s_load_dwordx4 s[16:19], s[4:5], 0x0
	s_load_dwordx2 s[20:21], s[4:5], 0x10
	s_load_dwordx2 s[28:29], s[4:5], 0x28
	s_load_dword s7, s[4:5], 0x98
	v_mov_b32_e32 v9, 0xff7fffff
	v_ashrrev_i32_e32 v6, 31, v5
	v_lshlrev_b32_e32 v3, 3, v10
	s_mul_i32 s14, s2, s14
	s_xor_b32 exec_lo, exec_lo, s35
	s_cbranch_execz .LBB87_13
; %bb.8:
	s_load_dwordx2 s[4:5], s[4:5], 0x20
	v_bfe_u32 v8, v0, 2, 3
	s_ashr_i32 s15, s14, 31
	v_and_b32_e32 v14, 12, v2
	s_lshl_b64 s[36:37], s[14:15], 1
	v_lshlrev_b32_e32 v11, 6, v1
	v_lshlrev_b32_e32 v9, 2, v8
	;; [unrolled: 1-line block ×3, first 2 shown]
	v_add3_u32 v12, s33, v3, v8
	v_cmp_eq_u32_e32 vcc_lo, 0, v1
	v_lshlrev_b64 v[1:2], 2, v[5:6]
	v_lshl_or_b32 v9, v10, 5, v9
	v_mov_b32_e32 v7, 0
	v_cmp_neq_f32_e64 s2, s34, 0
	v_xor_b32_e32 v16, 2, v4
	v_xor_b32_e32 v17, 1, v4
	v_add_nc_u32_e32 v13, 0x120, v9
	v_mov_b32_e32 v18, v5
	s_waitcnt lgkmcnt(0)
	s_add_u32 s3, s4, s36
	s_addc_u32 s4, s5, s37
	v_add_co_u32 v8, s3, s3, v15
	v_add_co_ci_u32_e64 v9, null, s4, 0, s3
	s_lshl_b64 s[36:37], s[26:27], 2
	s_sub_i32 s5, 1, s23
	s_add_u32 s4, s24, s36
	v_add_co_u32 v14, s3, v8, v14
	s_addc_u32 s15, s25, s37
	v_add_co_ci_u32_e64 v15, null, 0, v9, s3
	v_add_co_u32 v1, s3, s4, v1
	v_add_co_ci_u32_e64 v2, null, s15, v2, s3
	v_mov_b32_e32 v9, 0xff7fffff
	v_mov_b32_e32 v8, 32
	s_mov_b32 s36, s13
	s_mov_b32 s15, 0
	s_branch .LBB87_10
.LBB87_9:                               ;   in Loop: Header=BB87_10 Depth=1
	s_or_b32 exec_lo, exec_lo, s4
	v_add_nc_u32_e32 v18, 4, v18
	v_add_co_u32 v1, s4, v1, 16
	v_add_nc_u32_e32 v12, 32, v12
	v_add_nc_u32_e32 v13, 0x80, v13
	v_cmp_le_i32_e64 s3, s11, v18
	v_add_co_ci_u32_e64 v2, null, 0, v2, s4
	s_or_b32 s15, s3, s15
	s_andn2_b32 exec_lo, exec_lo, s15
	s_cbranch_execz .LBB87_12
.LBB87_10:                              ; =>This Inner Loop Header: Depth=1
	global_load_dword v19, v[1:2], off
	s_waitcnt vmcnt(0) lgkmcnt(0)
	v_mad_i64_i32 v[19:20], null, v19, s36, 0
	v_lshlrev_b64 v[19:20], 1, v[19:20]
	v_add_co_u32 v22, s3, v14, v19
	v_add_co_ci_u32_e64 v23, null, v15, v20, s3
	v_cmp_gt_i32_e64 s3, 32, v16
	s_clause 0xa
	global_load_dword v19, v[22:23], off
	global_load_dword v27, v[22:23], off offset:128
	global_load_dword v33, v[22:23], off offset:256
	;; [unrolled: 1-line block ×10, first 2 shown]
	ds_read_b32 v20, v11
	s_waitcnt lgkmcnt(0)
	v_lshrrev_b32_e32 v24, 16, v20
	v_and_b32_e32 v25, 0xffff, v20
	s_waitcnt vmcnt(10)
	v_and_b32_e32 v28, 0xffff, v19
	v_lshrrev_b32_e32 v30, 16, v19
	s_clause 0x4
	global_load_dword v29, v[22:23], off offset:1408
	global_load_dword v26, v[22:23], off offset:1536
	;; [unrolled: 1-line block ×5, first 2 shown]
	;;#ASMSTART
	v_cvt_f32_f16 v22, v25;
	;;#ASMEND
	;;#ASMSTART
	v_cvt_f32_f16 v23, v24;
	;;#ASMEND
	;; [unrolled: 3-line block ×4, first 2 shown]
	ds_read_b32 v28, v11 offset:4
	s_waitcnt vmcnt(14)
	v_and_b32_e32 v32, 0xffff, v27
	v_lshrrev_b32_e32 v34, 16, v27
	s_waitcnt vmcnt(13)
	v_and_b32_e32 v36, 0xffff, v33
	v_lshrrev_b32_e32 v39, 16, v33
	s_waitcnt vmcnt(12)
	v_and_b32_e32 v46, 0xffff, v38
	v_lshrrev_b32_e32 v47, 16, v38
	s_waitcnt vmcnt(11)
	v_and_b32_e32 v49, 0xffff, v40
	v_lshrrev_b32_e32 v50, 16, v40
	s_waitcnt vmcnt(10)
	v_and_b32_e32 v52, 0xffff, v41
	v_lshrrev_b32_e32 v53, 16, v41
	s_waitcnt vmcnt(9)
	v_and_b32_e32 v55, 0xffff, v42
	v_lshrrev_b32_e32 v56, 16, v42
	s_waitcnt vmcnt(8)
	v_and_b32_e32 v58, 0xffff, v43
	v_lshrrev_b32_e32 v59, 16, v43
	s_waitcnt vmcnt(7)
	v_and_b32_e32 v61, 0xffff, v44
	v_lshrrev_b32_e32 v62, 16, v44
	s_waitcnt vmcnt(6)
	v_and_b32_e32 v64, 0xffff, v37
	v_lshrrev_b32_e32 v65, 16, v37
	s_waitcnt vmcnt(5)
	v_and_b32_e32 v67, 0xffff, v31
	s_waitcnt lgkmcnt(0)
	v_and_b32_e32 v30, 0xffff, v28
	v_lshrrev_b32_e32 v28, 16, v28
	;;#ASMSTART
	v_cvt_f32_f16 v27, v30;
	;;#ASMEND
	;;#ASMSTART
	v_cvt_f32_f16 v28, v28;
	;;#ASMEND
	;; [unrolled: 3-line block ×4, first 2 shown]
	ds_read_b32 v34, v11 offset:8
	v_lshrrev_b32_e32 v68, 16, v31
	v_mul_f32_e32 v27, v27, v30
	v_mul_f32_e32 v28, v28, v32
	v_fmac_f32_e32 v27, v22, v24
	v_fmac_f32_e32 v28, v23, v25
	s_waitcnt lgkmcnt(0)
	v_and_b32_e32 v35, 0xffff, v34
	v_lshrrev_b32_e32 v34, 16, v34
	;;#ASMSTART
	v_cvt_f32_f16 v33, v35;
	;;#ASMEND
	;;#ASMSTART
	v_cvt_f32_f16 v34, v34;
	;;#ASMEND
	;;#ASMSTART
	v_cvt_f32_f16 v35, v36;
	;;#ASMEND
	;;#ASMSTART
	v_cvt_f32_f16 v36, v39;
	;;#ASMEND
	ds_read_b32 v39, v11 offset:12
	v_fmac_f32_e32 v27, v33, v35
	v_fmac_f32_e32 v28, v34, v36
	s_waitcnt lgkmcnt(0)
	v_and_b32_e32 v45, 0xffff, v39
	v_lshrrev_b32_e32 v39, 16, v39
	;;#ASMSTART
	v_cvt_f32_f16 v38, v45;
	;;#ASMEND
	;;#ASMSTART
	v_cvt_f32_f16 v39, v39;
	;;#ASMEND
	;;#ASMSTART
	v_cvt_f32_f16 v45, v46;
	;;#ASMEND
	;;#ASMSTART
	v_cvt_f32_f16 v46, v47;
	;;#ASMEND
	ds_read_b32 v47, v11 offset:16
	;; [unrolled: 18-line block ×9, first 2 shown]
	v_fmac_f32_e32 v27, v31, v66
	v_fmac_f32_e32 v28, v65, v67
	s_waitcnt lgkmcnt(0)
	v_and_b32_e32 v69, 0xffff, v68
	v_lshrrev_b32_e32 v68, 16, v68
	s_waitcnt vmcnt(4)
	v_and_b32_e32 v70, 0xffff, v29
	v_lshrrev_b32_e32 v71, 16, v29
	;;#ASMSTART
	v_cvt_f32_f16 v29, v69;
	;;#ASMEND
	;;#ASMSTART
	v_cvt_f32_f16 v68, v68;
	;;#ASMEND
	;; [unrolled: 3-line block ×4, first 2 shown]
	ds_read_b32 v71, v11 offset:48
	s_waitcnt vmcnt(3)
	v_and_b32_e32 v73, 0xffff, v26
	v_lshrrev_b32_e32 v74, 16, v26
	s_waitcnt vmcnt(2)
	v_lshrrev_b32_e32 v24, 16, v21
	v_and_b32_e32 v25, 0xffff, v21
	s_waitcnt vmcnt(1)
	v_lshrrev_b32_e32 v32, 16, v20
	v_and_b32_e32 v33, 0xffff, v20
	v_fmac_f32_e32 v27, v29, v69
	v_fmac_f32_e32 v28, v68, v70
	s_waitcnt vmcnt(0)
	v_lshrrev_b32_e32 v29, 16, v19
	s_waitcnt lgkmcnt(0)
	v_and_b32_e32 v72, 0xffff, v71
	v_lshrrev_b32_e32 v71, 16, v71
	;;#ASMSTART
	v_cvt_f32_f16 v26, v72;
	;;#ASMEND
	;;#ASMSTART
	v_cvt_f32_f16 v71, v71;
	;;#ASMEND
	;; [unrolled: 3-line block ×4, first 2 shown]
	ds_read_b32 v74, v11 offset:52
	v_fmac_f32_e32 v27, v26, v72
	v_fmac_f32_e32 v28, v71, v73
	v_cndmask_b32_e64 v26, v4, v16, s3
	v_cmp_gt_i32_e64 s3, 32, v17
	s_waitcnt lgkmcnt(0)
	v_and_b32_e32 v22, 0xffff, v74
	v_lshrrev_b32_e32 v23, 16, v74
	;;#ASMSTART
	v_cvt_f32_f16 v21, v22;
	;;#ASMEND
	;;#ASMSTART
	v_cvt_f32_f16 v22, v23;
	;;#ASMEND
	;; [unrolled: 3-line block ×4, first 2 shown]
	ds_read_b32 v25, v11 offset:56
	v_fmac_f32_e32 v27, v21, v23
	v_fmac_f32_e32 v28, v22, v24
	v_and_b32_e32 v23, 0xffff, v19
	s_waitcnt lgkmcnt(0)
	v_and_b32_e32 v30, 0xffff, v25
	v_lshrrev_b32_e32 v25, 16, v25
	;;#ASMSTART
	v_cvt_f32_f16 v20, v30;
	;;#ASMEND
	;;#ASMSTART
	v_cvt_f32_f16 v25, v25;
	;;#ASMEND
	;; [unrolled: 3-line block ×4, first 2 shown]
	ds_read_b32 v33, v11 offset:60
	v_fmac_f32_e32 v27, v20, v30
	v_fmac_f32_e32 v28, v25, v32
	s_waitcnt lgkmcnt(0)
	v_and_b32_e32 v21, 0xffff, v33
	v_lshrrev_b32_e32 v22, 16, v33
	;;#ASMSTART
	v_cvt_f32_f16 v19, v21;
	;;#ASMEND
	;;#ASMSTART
	v_cvt_f32_f16 v20, v22;
	;;#ASMEND
	;; [unrolled: 3-line block ×4, first 2 shown]
	v_fmac_f32_e32 v27, v19, v21
	v_fmac_f32_e32 v28, v20, v22
	v_lshlrev_b32_e32 v19, 2, v26
	v_cndmask_b32_e64 v21, v4, v17, s3
	v_add_f32_e32 v20, v27, v28
	ds_bpermute_b32 v19, v19, v20
	s_waitcnt lgkmcnt(0)
	v_add_f32_e32 v19, v20, v19
	v_lshlrev_b32_e32 v20, 2, v21
	ds_bpermute_b32 v20, v20, v19
	s_and_saveexec_b32 s4, vcc_lo
	s_cbranch_execz .LBB87_9
; %bb.11:                               ;   in Loop: Header=BB87_10 Depth=1
	v_add_nc_u32_e32 v21, s5, v12
	s_waitcnt lgkmcnt(0)
	v_add_f32_e32 v19, v19, v20
	v_cmp_gt_i32_e64 s3, s23, v12
	v_cvt_f32_i32_e32 v21, v21
	v_mul_f32_e32 v21, s34, v21
	v_cndmask_b32_e64 v20, 0, v21, s2
	v_max_f32_e32 v21, v9, v9
	v_fmac_f32_e32 v20, s31, v19
	v_max_f32_e32 v19, v21, v20
	v_cndmask_b32_e64 v20, 0, v20, s3
	v_cndmask_b32_e64 v9, v9, v19, s3
	ds_write_b32 v13, v20
	s_branch .LBB87_9
.LBB87_12:
	s_or_b32 exec_lo, exec_lo, s15
.LBB87_13:
	s_or_b32 exec_lo, exec_lo, s35
	v_xor_b32_e32 v1, 16, v4
	v_xor_b32_e32 v11, 8, v4
	v_max_f32_e32 v12, v9, v9
	v_cmp_lt_i32_e32 vcc_lo, v1, v8
	v_cndmask_b32_e32 v1, v4, v1, vcc_lo
	v_cmp_lt_i32_e32 vcc_lo, v11, v8
	v_lshlrev_b32_e32 v2, 2, v1
	ds_bpermute_b32 v1, v2, v9
	v_cndmask_b32_e32 v9, v4, v11, vcc_lo
	v_lshlrev_b32_e32 v9, 2, v9
	s_waitcnt lgkmcnt(0)
	v_max_f32_e32 v1, v1, v1
	v_max_f32_e32 v1, v12, v1
	v_xor_b32_e32 v12, 4, v4
	ds_bpermute_b32 v11, v9, v1
	v_cmp_lt_i32_e32 vcc_lo, v12, v8
	v_cndmask_b32_e32 v12, v4, v12, vcc_lo
	v_lshlrev_b32_e32 v14, 2, v12
	v_lshlrev_b32_e32 v12, 2, v10
	s_waitcnt lgkmcnt(0)
	v_max_f32_e32 v11, v11, v11
	v_max_f32_e32 v1, v1, v11
	v_and_b32_e32 v11, 31, v0
	ds_bpermute_b32 v13, v14, v1
	v_cmp_eq_u32_e32 vcc_lo, 0, v11
	s_and_saveexec_b32 s2, vcc_lo
	s_cbranch_execz .LBB87_15
; %bb.14:
	s_waitcnt lgkmcnt(0)
	v_max_f32_e32 v13, v13, v13
	v_max_f32_e32 v1, v1, v1
	;; [unrolled: 1-line block ×3, first 2 shown]
	ds_write_b32 v12, v1 offset:256
.LBB87_15:
	s_or_b32 exec_lo, exec_lo, s2
	v_cmp_gt_u32_e64 s2, 4, v11
	v_mov_b32_e32 v1, 0xff7fffff
	s_waitcnt lgkmcnt(0)
	v_lshlrev_b32_e32 v13, 2, v11
	s_barrier
	buffer_gl0_inv
	s_and_saveexec_b32 s3, s2
; %bb.16:
	ds_read_b32 v1, v13 offset:256
; %bb.17:
	s_or_b32 exec_lo, exec_lo, s3
	v_xor_b32_e32 v15, 2, v4
	v_xor_b32_e32 v17, 1, v4
	v_lshlrev_b32_e32 v7, 2, v7
	v_cmp_lt_i32_e64 s3, v15, v8
	v_cndmask_b32_e64 v15, v4, v15, s3
	v_cmp_lt_i32_e64 s3, v17, v8
	v_lshlrev_b32_e32 v15, 2, v15
	v_cndmask_b32_e64 v8, v4, v17, s3
	s_sub_i32 s3, s11, s30
	s_lshl_b32 s3, s3, 3
	s_waitcnt lgkmcnt(0)
	ds_bpermute_b32 v16, v15, v1
	v_max_f32_e32 v1, v1, v1
	v_lshlrev_b32_e32 v8, 2, v8
	s_add_i32 s3, s3, s33
	s_min_i32 s3, s3, s23
	s_sub_i32 s5, s3, s33
	v_cmp_gt_i32_e64 s3, s5, v0
	s_waitcnt lgkmcnt(0)
	v_max_f32_e32 v16, v16, v16
	v_max_f32_e32 v1, v1, v16
	ds_bpermute_b32 v16, v8, v1
	s_waitcnt lgkmcnt(0)
	v_max_f32_e32 v16, v16, v16
	v_max_f32_e32 v1, v1, v16
	v_mov_b32_e32 v16, 0
	ds_bpermute_b32 v1, v7, v1
	v_lshl_add_u32 v7, v0, 2, 0x120
	s_and_saveexec_b32 s15, s3
	s_cbranch_execz .LBB87_21
; %bb.18:
	v_lshl_add_u32 v17, v0, 2, 0x120
	v_mov_b32_e32 v16, 0
	v_mov_b32_e32 v18, v0
	s_mov_b32 s30, 0
	.p2align	6
.LBB87_19:                              ; =>This Inner Loop Header: Depth=1
	ds_read_b32 v19, v17
	v_add_nc_u32_e32 v18, 0x80, v18
	v_cmp_le_i32_e64 s4, s5, v18
	s_or_b32 s30, s4, s30
	s_waitcnt lgkmcnt(0)
	v_sub_f32_e32 v19, v19, v1
	v_mul_f32_e32 v19, 0x3fb8aa3b, v19
	v_exp_f32_e32 v19, v19
	ds_write_b32 v17, v19
	v_add_f32_e32 v16, v16, v19
	v_add_nc_u32_e32 v17, 0x200, v17
	s_andn2_b32 exec_lo, exec_lo, s30
	s_cbranch_execnz .LBB87_19
; %bb.20:
	s_or_b32 exec_lo, exec_lo, s30
.LBB87_21:
	s_or_b32 exec_lo, exec_lo, s15
	ds_bpermute_b32 v2, v2, v16
	s_waitcnt lgkmcnt(0)
	v_add_f32_e32 v2, v16, v2
	ds_bpermute_b32 v9, v9, v2
	s_waitcnt lgkmcnt(0)
	v_add_f32_e32 v2, v2, v9
	;; [unrolled: 3-line block ×5, first 2 shown]
	s_and_saveexec_b32 s4, vcc_lo
; %bb.22:
	ds_write_b32 v12, v2 offset:272
; %bb.23:
	s_or_b32 exec_lo, exec_lo, s4
	s_waitcnt lgkmcnt(0)
	s_barrier
	buffer_gl0_inv
	s_and_saveexec_b32 s4, s2
; %bb.24:
	ds_read_b32 v2, v13 offset:272
; %bb.25:
	s_or_b32 exec_lo, exec_lo, s4
	s_waitcnt lgkmcnt(0)
	ds_bpermute_b32 v9, v15, v2
	v_lshlrev_b32_e32 v4, 2, v4
	v_and_b32_e32 v4, 0xffffff80, v4
	s_waitcnt lgkmcnt(0)
	v_add_f32_e32 v2, v2, v9
	ds_bpermute_b32 v8, v8, v2
	s_waitcnt lgkmcnt(0)
	v_add_f32_e32 v2, v2, v8
	ds_bpermute_b32 v2, v4, v2
	s_and_saveexec_b32 s2, s3
	s_cbranch_execz .LBB87_28
; %bb.26:
	s_waitcnt lgkmcnt(0)
	v_add_f32_e32 v4, 0x358637bd, v2
	s_mov_b32 s3, 0
	v_div_scale_f32 v8, null, v4, v4, 1.0
	v_div_scale_f32 v13, vcc_lo, 1.0, v4, 1.0
	v_rcp_f32_e32 v9, v8
	v_fma_f32 v12, -v8, v9, 1.0
	v_fmac_f32_e32 v9, v12, v9
	v_mul_f32_e32 v12, v13, v9
	v_fma_f32 v14, -v8, v12, v13
	v_fmac_f32_e32 v12, v14, v9
	v_fma_f32 v8, -v8, v12, v13
	v_div_fmas_f32 v8, v8, v9, v12
	v_div_fixup_f32 v4, v8, v4, 1.0
	v_mov_b32_e32 v8, v0
.LBB87_27:                              ; =>This Inner Loop Header: Depth=1
	ds_read_b32 v9, v7
	v_add_nc_u32_e32 v8, 0x80, v8
	v_cmp_le_i32_e32 vcc_lo, s5, v8
	s_or_b32 s3, vcc_lo, s3
	s_waitcnt lgkmcnt(0)
	v_mul_f32_e32 v9, v4, v9
	ds_write_b32 v7, v9
	v_add_nc_u32_e32 v7, 0x200, v7
	s_andn2_b32 exec_lo, exec_lo, s3
	s_cbranch_execnz .LBB87_27
.LBB87_28:
	s_or_b32 exec_lo, exec_lo, s2
	s_mul_i32 s2, s7, s22
	s_waitcnt lgkmcnt(0)
	s_mul_i32 s4, s2, s9
	s_mov_b32 s2, exec_lo
	s_barrier
	buffer_gl0_inv
	v_cmpx_eq_u32_e32 0, v0
	s_cbranch_execz .LBB87_30
; %bb.29:
	s_ashr_i32 s5, s4, 31
	s_mul_i32 s34, s7, s6
	s_lshl_b64 s[30:31], s[4:5], 2
	v_mov_b32_e32 v4, 0
	s_add_u32 s3, s18, s30
	s_addc_u32 s5, s19, s31
	s_ashr_i32 s35, s34, 31
	s_lshl_b64 s[18:19], s[34:35], 2
	s_add_u32 s3, s3, s18
	s_addc_u32 s5, s5, s19
	s_ashr_i32 s9, s8, 31
	s_lshl_b64 s[34:35], s[8:9], 2
	s_add_u32 s36, s3, s34
	s_addc_u32 s37, s5, s35
	s_add_u32 s3, s16, s30
	s_addc_u32 s5, s17, s31
	;; [unrolled: 2-line block ×4, first 2 shown]
	global_store_dword v4, v1, s[36:37]
	global_store_dword v4, v2, s[16:17]
.LBB87_30:
	s_or_b32 exec_lo, exec_lo, s2
	v_mov_b32_e32 v15, 0
	v_mov_b32_e32 v14, 0
	;; [unrolled: 1-line block ×4, first 2 shown]
	s_and_saveexec_b32 s3, s1
	s_cbranch_execz .LBB87_42
; %bb.31:
	s_ashr_i32 s15, s14, 31
	v_lshlrev_b32_e32 v1, 4, v11
	s_lshl_b64 s[14:15], s[14:15], 1
	v_mov_b32_e32 v16, 0
	s_add_u32 s1, s28, s14
	s_addc_u32 s2, s29, s15
	v_add_co_u32 v17, s1, s1, v1
	v_lshlrev_b64 v[1:2], 2, v[5:6]
	s_lshl_b64 s[14:15], s[26:27], 2
	s_add_i32 s12, s12, -1
	v_add_co_ci_u32_e64 v18, null, s2, 0, s1
	s_add_u32 s1, s24, s14
	s_addc_u32 s2, s25, s15
	v_add_co_u32 v6, vcc_lo, s1, v1
	v_add3_u32 v19, s33, v3, 7
	v_lshl_add_u32 v20, v10, 5, 0x120
	v_add_co_ci_u32_e64 v7, null, s2, v2, vcc_lo
	v_mov_b32_e32 v12, 0
	v_mov_b32_e32 v13, 0
	;; [unrolled: 1-line block ×4, first 2 shown]
	s_mov_b32 s6, s13
	s_mov_b32 s5, 0
	s_branch .LBB87_33
.LBB87_32:                              ;   in Loop: Header=BB87_33 Depth=1
	s_or_b32 exec_lo, exec_lo, s2
	v_lshlrev_b32_e32 v21, 16, v38
	v_lshlrev_b32_e32 v9, 16, v9
	v_lshlrev_b32_e32 v8, 16, v8
	v_add_nc_u32_e32 v5, 4, v5
	v_add_co_u32 v6, s1, v6, 16
	v_and_or_b32 v1, 0xffff, v1, v21
	v_and_or_b32 v2, 0xffff, v2, v9
	;; [unrolled: 1-line block ×3, first 2 shown]
	;;#ASMSTART
	v_pk_mul_f16 v1, v29, v1;

	;;#ASMEND
	;;#ASMSTART
	v_pk_mul_f16 v2, v28, v2;

	;;#ASMEND
	;; [unrolled: 4-line block ×4, first 2 shown]
	;;#ASMSTART
	v_pk_add_f16 v1, v1, v2;

	;;#ASMEND
	;;#ASMSTART
	v_pk_add_f16 v1, v1, v3;

	;;#ASMEND
	;; [unrolled: 4-line block ×3, first 2 shown]
	v_and_b32_e32 v4, 0xffff, v1
	v_lshrrev_b32_e32 v8, 16, v1
	;;#ASMSTART
	v_cvt_f32_f16 v4, v4;
	;;#ASMEND
	v_add_f32_e32 v1, v36, v37
	v_add_f32_e32 v2, v34, v35
	;; [unrolled: 1-line block ×3, first 2 shown]
	;;#ASMSTART
	v_cvt_f32_f16 v8, v8;
	;;#ASMEND
	v_add_f32_e32 v4, v4, v8
	v_cmp_le_i32_e32 vcc_lo, s11, v5
	v_add_f32_e32 v13, v13, v1
	v_add_f32_e32 v14, v14, v2
	;; [unrolled: 1-line block ×4, first 2 shown]
	v_add_nc_u32_e32 v19, 32, v19
	v_add_nc_u32_e32 v20, 0x80, v20
	v_add_co_ci_u32_e64 v7, null, 0, v7, s1
	s_or_b32 s5, vcc_lo, s5
	s_andn2_b32 exec_lo, exec_lo, s5
	s_cbranch_execz .LBB87_41
.LBB87_33:                              ; =>This Inner Loop Header: Depth=1
	global_load_dword v8, v[6:7], off
	ds_read2_b64 v[1:4], v20 offset1:1
	ds_read2_b64 v[21:24], v20 offset0:2 offset1:3
	v_add_nc_u32_e32 v25, -7, v19
	v_cmp_eq_u32_e64 s1, s12, v5
	v_add_nc_u32_e32 v27, -6, v19
	v_add_nc_u32_e32 v26, -1, v19
	s_waitcnt lgkmcnt(1)
	;;#ASMSTART
	v_cvt_f16_f32 v29, v1;

	;;#ASMEND
	;;#ASMSTART
	v_cvt_f16_f32 v28, v2;

	;;#ASMEND
	;;#ASMSTART
	v_cvt_f16_f32 v34, v3;

	;;#ASMEND
	;;#ASMSTART
	v_cvt_f16_f32 v32, v4;

	;;#ASMEND
	s_waitcnt lgkmcnt(0)
	;;#ASMSTART
	v_cvt_f16_f32 v35, v21;

	;;#ASMEND
	;;#ASMSTART
	v_cvt_f16_f32 v30, v22;

	;;#ASMEND
	;; [unrolled: 4-line block ×4, first 2 shown]
	v_add_nc_u32_e32 v24, -5, v19
	v_add_nc_u32_e32 v23, -4, v19
	;; [unrolled: 1-line block ×4, first 2 shown]
	s_waitcnt vmcnt(0)
	v_mad_i64_i32 v[8:9], null, v8, s6, 0
	v_lshlrev_b64 v[8:9], 1, v[8:9]
	v_add_co_u32 v8, vcc_lo, v17, v8
	v_add_co_ci_u32_e64 v9, null, v18, v9, vcc_lo
	global_load_dwordx4 v[1:4], v[8:9], off
	s_waitcnt vmcnt(0)
	v_lshrrev_b32_e32 v38, 16, v1
	v_lshrrev_b32_e32 v37, 16, v2
	v_lshrrev_b32_e32 v36, 16, v3
	s_and_saveexec_b32 s9, s1
	s_cbranch_execz .LBB87_35
; %bb.34:                               ;   in Loop: Header=BB87_33 Depth=1
	v_cmp_gt_i32_e32 vcc_lo, s23, v25
	v_and_b32_e32 v39, 0xffff0000, v4
	v_cmp_gt_i32_e64 s2, s23, v24
	v_cndmask_b32_e32 v1, 0, v1, vcc_lo
	v_cmp_gt_i32_e32 vcc_lo, s23, v27
	v_cndmask_b32_e64 v2, 0, v2, s2
	v_cmp_gt_i32_e64 s2, s23, v23
	v_cndmask_b32_e32 v38, 0, v38, vcc_lo
	v_cmp_gt_i32_e32 vcc_lo, s23, v26
	v_cndmask_b32_e64 v37, 0, v37, s2
	v_cndmask_b32_sdwa v4, v16, v4, vcc_lo dst_sel:DWORD dst_unused:UNUSED_PAD src0_sel:DWORD src1_sel:WORD_0
	v_cmp_gt_i32_e32 vcc_lo, s23, v19
	v_cndmask_b32_e32 v39, 0, v39, vcc_lo
	v_cmp_gt_i32_e32 vcc_lo, s23, v22
	v_or_b32_e32 v4, v4, v39
	v_cndmask_b32_e32 v3, 0, v3, vcc_lo
	v_cmp_gt_i32_e32 vcc_lo, s23, v21
	v_cndmask_b32_e32 v36, 0, v36, vcc_lo
.LBB87_35:                              ;   in Loop: Header=BB87_33 Depth=1
	s_or_b32 exec_lo, exec_lo, s9
	v_and_b32_e32 v29, 0xffff, v29
	v_and_b32_e32 v34, 0xffff, v34
	v_lshlrev_b32_e32 v38, 16, v38
	v_and_b32_e32 v35, 0xffff, v35
	v_and_b32_e32 v33, 0xffff, v33
	v_lshl_or_b32 v29, v28, 16, v29
	v_lshl_or_b32 v28, v32, 16, v34
	v_lshlrev_b32_e32 v32, 16, v37
	v_lshlrev_b32_e32 v34, 16, v36
	v_and_or_b32 v1, 0xffff, v1, v38
	;;#ASMSTART
	v_pk_mul_f16 v1, v29, v1;

	;;#ASMEND
	v_lshl_or_b32 v30, v30, 16, v35
	v_and_or_b32 v2, 0xffff, v2, v32
	v_and_or_b32 v3, 0xffff, v3, v34
	v_lshl_or_b32 v31, v31, 16, v33
	;;#ASMSTART
	v_pk_mul_f16 v2, v28, v2;

	;;#ASMEND
	;;#ASMSTART
	v_pk_mul_f16 v3, v30, v3;

	;;#ASMEND
	;; [unrolled: 4-line block ×3, first 2 shown]
	;;#ASMSTART
	v_pk_add_f16 v1, v1, v2;

	;;#ASMEND
	;;#ASMSTART
	v_pk_add_f16 v1, v1, v3;

	;;#ASMEND
	;; [unrolled: 4-line block ×3, first 2 shown]
	v_and_b32_e32 v2, 0xffff, v1
	v_lshrrev_b32_e32 v1, 16, v1
	;;#ASMSTART
	v_cvt_f32_f16 v32, v2;
	;;#ASMEND
	;;#ASMSTART
	v_cvt_f32_f16 v33, v1;
	;;#ASMEND
	global_load_dwordx4 v[1:4], v[8:9], off offset:512
	s_waitcnt vmcnt(0)
	v_lshrrev_b32_e32 v36, 16, v1
	v_lshrrev_b32_e32 v35, 16, v2
	;; [unrolled: 1-line block ×3, first 2 shown]
	s_and_saveexec_b32 s9, s1
	s_cbranch_execz .LBB87_37
; %bb.36:                               ;   in Loop: Header=BB87_33 Depth=1
	v_cmp_gt_i32_e32 vcc_lo, s23, v25
	v_and_b32_e32 v37, 0xffff0000, v4
	v_cmp_gt_i32_e64 s2, s23, v24
	v_cndmask_b32_e32 v1, 0, v1, vcc_lo
	v_cmp_gt_i32_e32 vcc_lo, s23, v27
	v_cndmask_b32_e64 v2, 0, v2, s2
	v_cmp_gt_i32_e64 s2, s23, v23
	v_cndmask_b32_e32 v36, 0, v36, vcc_lo
	v_cmp_gt_i32_e32 vcc_lo, s23, v26
	v_cndmask_b32_e64 v35, 0, v35, s2
	v_cndmask_b32_sdwa v4, v16, v4, vcc_lo dst_sel:DWORD dst_unused:UNUSED_PAD src0_sel:DWORD src1_sel:WORD_0
	v_cmp_gt_i32_e32 vcc_lo, s23, v19
	v_cndmask_b32_e32 v37, 0, v37, vcc_lo
	v_cmp_gt_i32_e32 vcc_lo, s23, v22
	v_or_b32_e32 v4, v4, v37
	v_cndmask_b32_e32 v3, 0, v3, vcc_lo
	v_cmp_gt_i32_e32 vcc_lo, s23, v21
	v_cndmask_b32_e32 v34, 0, v34, vcc_lo
.LBB87_37:                              ;   in Loop: Header=BB87_33 Depth=1
	s_or_b32 exec_lo, exec_lo, s9
	v_lshlrev_b32_e32 v36, 16, v36
	v_lshlrev_b32_e32 v35, 16, v35
	v_lshlrev_b32_e32 v34, 16, v34
	v_and_or_b32 v1, 0xffff, v1, v36
	v_and_or_b32 v2, 0xffff, v2, v35
	;; [unrolled: 1-line block ×3, first 2 shown]
	;;#ASMSTART
	v_pk_mul_f16 v1, v29, v1;

	;;#ASMEND
	;;#ASMSTART
	v_pk_mul_f16 v2, v28, v2;

	;;#ASMEND
	;; [unrolled: 4-line block ×4, first 2 shown]
	;;#ASMSTART
	v_pk_add_f16 v1, v1, v2;

	;;#ASMEND
	;;#ASMSTART
	v_pk_add_f16 v1, v1, v3;

	;;#ASMEND
	;; [unrolled: 4-line block ×3, first 2 shown]
	v_and_b32_e32 v2, 0xffff, v1
	v_lshrrev_b32_e32 v1, 16, v1
	;;#ASMSTART
	v_cvt_f32_f16 v34, v2;
	;;#ASMEND
	;;#ASMSTART
	v_cvt_f32_f16 v35, v1;
	;;#ASMEND
	global_load_dwordx4 v[1:4], v[8:9], off offset:1024
	s_waitcnt vmcnt(0)
	v_lshrrev_b32_e32 v38, 16, v1
	v_lshrrev_b32_e32 v37, 16, v2
	;; [unrolled: 1-line block ×3, first 2 shown]
	s_and_saveexec_b32 s9, s1
	s_cbranch_execz .LBB87_39
; %bb.38:                               ;   in Loop: Header=BB87_33 Depth=1
	v_cmp_gt_i32_e32 vcc_lo, s23, v25
	v_and_b32_e32 v39, 0xffff0000, v4
	v_cmp_gt_i32_e64 s2, s23, v24
	v_cndmask_b32_e32 v1, 0, v1, vcc_lo
	v_cmp_gt_i32_e32 vcc_lo, s23, v27
	v_cndmask_b32_e64 v2, 0, v2, s2
	v_cmp_gt_i32_e64 s2, s23, v23
	v_cndmask_b32_e32 v38, 0, v38, vcc_lo
	v_cmp_gt_i32_e32 vcc_lo, s23, v26
	v_cndmask_b32_e64 v37, 0, v37, s2
	v_cndmask_b32_sdwa v4, v16, v4, vcc_lo dst_sel:DWORD dst_unused:UNUSED_PAD src0_sel:DWORD src1_sel:WORD_0
	v_cmp_gt_i32_e32 vcc_lo, s23, v19
	v_cndmask_b32_e32 v39, 0, v39, vcc_lo
	v_cmp_gt_i32_e32 vcc_lo, s23, v22
	v_or_b32_e32 v4, v4, v39
	v_cndmask_b32_e32 v3, 0, v3, vcc_lo
	v_cmp_gt_i32_e32 vcc_lo, s23, v21
	v_cndmask_b32_e32 v36, 0, v36, vcc_lo
.LBB87_39:                              ;   in Loop: Header=BB87_33 Depth=1
	s_or_b32 exec_lo, exec_lo, s9
	v_lshlrev_b32_e32 v38, 16, v38
	v_lshlrev_b32_e32 v37, 16, v37
	;; [unrolled: 1-line block ×3, first 2 shown]
	v_and_or_b32 v1, 0xffff, v1, v38
	v_and_or_b32 v2, 0xffff, v2, v37
	;; [unrolled: 1-line block ×3, first 2 shown]
	;;#ASMSTART
	v_pk_mul_f16 v1, v29, v1;

	;;#ASMEND
	;;#ASMSTART
	v_pk_mul_f16 v2, v28, v2;

	;;#ASMEND
	;; [unrolled: 4-line block ×4, first 2 shown]
	;;#ASMSTART
	v_pk_add_f16 v1, v1, v2;

	;;#ASMEND
	;;#ASMSTART
	v_pk_add_f16 v1, v1, v3;

	;;#ASMEND
	;; [unrolled: 4-line block ×3, first 2 shown]
	v_and_b32_e32 v2, 0xffff, v1
	v_lshrrev_b32_e32 v1, 16, v1
	;;#ASMSTART
	v_cvt_f32_f16 v36, v2;
	;;#ASMEND
	;;#ASMSTART
	v_cvt_f32_f16 v37, v1;
	;;#ASMEND
	global_load_dwordx4 v[1:4], v[8:9], off offset:1536
	s_waitcnt vmcnt(0)
	v_lshrrev_b32_e32 v38, 16, v1
	v_lshrrev_b32_e32 v9, 16, v2
	;; [unrolled: 1-line block ×3, first 2 shown]
	s_and_saveexec_b32 s2, s1
	s_cbranch_execz .LBB87_32
; %bb.40:                               ;   in Loop: Header=BB87_33 Depth=1
	v_cmp_gt_i32_e32 vcc_lo, s23, v25
	v_cmp_gt_i32_e64 s1, s23, v24
	v_cndmask_b32_e32 v1, 0, v1, vcc_lo
	v_cmp_gt_i32_e32 vcc_lo, s23, v27
	v_cndmask_b32_e64 v2, 0, v2, s1
	v_cmp_gt_i32_e64 s1, s23, v23
	v_and_b32_e32 v23, 0xffff0000, v4
	v_cndmask_b32_e32 v38, 0, v38, vcc_lo
	v_cmp_gt_i32_e32 vcc_lo, s23, v26
	v_cndmask_b32_e64 v9, 0, v9, s1
	v_cndmask_b32_sdwa v4, v16, v4, vcc_lo dst_sel:DWORD dst_unused:UNUSED_PAD src0_sel:DWORD src1_sel:WORD_0
	v_cmp_gt_i32_e32 vcc_lo, s23, v19
	v_cndmask_b32_e32 v23, 0, v23, vcc_lo
	v_cmp_gt_i32_e32 vcc_lo, s23, v22
	v_or_b32_e32 v4, v4, v23
	v_cndmask_b32_e32 v3, 0, v3, vcc_lo
	v_cmp_gt_i32_e32 vcc_lo, s23, v21
	v_cndmask_b32_e32 v8, 0, v8, vcc_lo
	s_branch .LBB87_32
.LBB87_41:
	s_or_b32 exec_lo, exec_lo, s5
.LBB87_42:
	s_or_b32 exec_lo, exec_lo, s3
	v_lshl_add_u32 v2, v11, 2, 0x120
	v_and_b32_e32 v3, 0x3c0, v0
	s_mov_b32 s1, exec_lo
	s_waitcnt_vscnt null, 0x0
	s_barrier
	v_lshl_add_u32 v1, v10, 9, v2
	buffer_gl0_inv
	v_cmpx_eq_u32_e32 64, v3
	s_cbranch_execz .LBB87_44
; %bb.43:
	v_add_nc_u32_e32 v3, 0xfffffc00, v1
	v_add_nc_u32_e32 v4, 0xfffffc80, v1
	;; [unrolled: 1-line block ×4, first 2 shown]
	ds_write_b32 v3, v15
	ds_write_b32 v4, v14
	;; [unrolled: 1-line block ×4, first 2 shown]
.LBB87_44:
	s_or_b32 exec_lo, exec_lo, s1
	s_waitcnt lgkmcnt(0)
	s_barrier
	buffer_gl0_inv
	s_and_saveexec_b32 s1, s0
	s_cbranch_execz .LBB87_46
; %bb.45:
	ds_read2_b32 v[3:4], v1 offset1:32
	ds_read2_b32 v[5:6], v1 offset0:64 offset1:96
	s_waitcnt lgkmcnt(1)
	v_add_f32_e32 v15, v15, v3
	v_add_f32_e32 v14, v14, v4
	s_waitcnt lgkmcnt(0)
	v_add_f32_e32 v13, v13, v5
	v_add_f32_e32 v12, v12, v6
.LBB87_46:
	s_or_b32 exec_lo, exec_lo, s1
	v_and_b32_e32 v3, 0x3e0, v0
	s_mov_b32 s0, exec_lo
	s_barrier
	buffer_gl0_inv
	v_cmpx_eq_u32_e32 32, v3
	s_cbranch_execz .LBB87_48
; %bb.47:
	ds_write2_b32 v2, v15, v14 offset1:32
	ds_write2_b32 v2, v13, v12 offset0:64 offset1:96
.LBB87_48:
	s_or_b32 exec_lo, exec_lo, s0
	v_cmp_gt_u32_e32 vcc_lo, 32, v0
	s_waitcnt lgkmcnt(0)
	s_barrier
	buffer_gl0_inv
	s_and_saveexec_b32 s0, vcc_lo
	s_cbranch_execz .LBB87_50
; %bb.49:
	ds_read2_b32 v[2:3], v1 offset1:32
	ds_read2_b32 v[4:5], v1 offset0:64 offset1:96
	s_waitcnt lgkmcnt(1)
	v_add_f32_e32 v15, v15, v2
	v_add_f32_e32 v14, v14, v3
	s_waitcnt lgkmcnt(0)
	v_add_f32_e32 v13, v13, v4
	v_add_f32_e32 v12, v12, v5
.LBB87_50:
	s_or_b32 exec_lo, exec_lo, s0
	s_barrier
	buffer_gl0_inv
	s_and_saveexec_b32 s0, vcc_lo
	s_cbranch_execz .LBB87_52
; %bb.51:
	s_lshl_b32 s0, s4, 7
	s_mul_i32 s2, s7, s10
	s_ashr_i32 s1, s0, 31
	v_lshlrev_b32_e32 v0, 1, v0
	s_lshl_b64 s[0:1], s[0:1], 1
	;;#ASMSTART
	v_cvt_f16_f32 v1, v15;

	;;#ASMEND
	s_add_u32 s4, s20, s0
	s_addc_u32 s5, s21, s1
	s_ashr_i32 s3, s2, 31
	s_lshl_b64 s[0:1], s[2:3], 1
	s_add_u32 s2, s4, s0
	s_addc_u32 s3, s5, s1
	s_lshl_b32 s0, s8, 7
	s_ashr_i32 s1, s0, 31
	s_lshl_b64 s[0:1], s[0:1], 1
	s_add_u32 s0, s2, s0
	s_addc_u32 s1, s3, s1
	global_store_short v0, v1, s[0:1]
	;;#ASMSTART
	v_cvt_f16_f32 v1, v14;

	;;#ASMEND
	global_store_short v0, v1, s[0:1] offset:64
	;;#ASMSTART
	v_cvt_f16_f32 v1, v13;

	;;#ASMEND
	global_store_short v0, v1, s[0:1] offset:128
	;; [unrolled: 5-line block ×3, first 2 shown]
.LBB87_52:
	s_endpgm
	.section	.rodata,"a",@progbits
	.p2align	6, 0x0
	.amdhsa_kernel _ZN4vllm25paged_attention_v2_kernelIttLi128ELi8ELi128ELNS_18Fp8KVCacheDataTypeE0ELb0ELi512EEEvPfS2_PT_PKS3_PKT0_S9_ifPKiSB_iPKfiiiSD_SD_iiiii
		.amdhsa_group_segment_fixed_size 288
		.amdhsa_private_segment_fixed_size 0
		.amdhsa_kernarg_size 400
		.amdhsa_user_sgpr_count 6
		.amdhsa_user_sgpr_private_segment_buffer 1
		.amdhsa_user_sgpr_dispatch_ptr 0
		.amdhsa_user_sgpr_queue_ptr 0
		.amdhsa_user_sgpr_kernarg_segment_ptr 1
		.amdhsa_user_sgpr_dispatch_id 0
		.amdhsa_user_sgpr_flat_scratch_init 0
		.amdhsa_user_sgpr_private_segment_size 0
		.amdhsa_wavefront_size32 1
		.amdhsa_uses_dynamic_stack 0
		.amdhsa_system_sgpr_private_segment_wavefront_offset 0
		.amdhsa_system_sgpr_workgroup_id_x 1
		.amdhsa_system_sgpr_workgroup_id_y 1
		.amdhsa_system_sgpr_workgroup_id_z 1
		.amdhsa_system_sgpr_workgroup_info 0
		.amdhsa_system_vgpr_workitem_id 0
		.amdhsa_next_free_vgpr 75
		.amdhsa_next_free_sgpr 38
		.amdhsa_reserve_vcc 1
		.amdhsa_reserve_flat_scratch 0
		.amdhsa_float_round_mode_32 0
		.amdhsa_float_round_mode_16_64 0
		.amdhsa_float_denorm_mode_32 3
		.amdhsa_float_denorm_mode_16_64 3
		.amdhsa_dx10_clamp 1
		.amdhsa_ieee_mode 1
		.amdhsa_fp16_overflow 0
		.amdhsa_workgroup_processor_mode 1
		.amdhsa_memory_ordered 1
		.amdhsa_forward_progress 1
		.amdhsa_shared_vgpr_count 0
		.amdhsa_exception_fp_ieee_invalid_op 0
		.amdhsa_exception_fp_denorm_src 0
		.amdhsa_exception_fp_ieee_div_zero 0
		.amdhsa_exception_fp_ieee_overflow 0
		.amdhsa_exception_fp_ieee_underflow 0
		.amdhsa_exception_fp_ieee_inexact 0
		.amdhsa_exception_int_div_zero 0
	.end_amdhsa_kernel
	.section	.text._ZN4vllm25paged_attention_v2_kernelIttLi128ELi8ELi128ELNS_18Fp8KVCacheDataTypeE0ELb0ELi512EEEvPfS2_PT_PKS3_PKT0_S9_ifPKiSB_iPKfiiiSD_SD_iiiii,"axG",@progbits,_ZN4vllm25paged_attention_v2_kernelIttLi128ELi8ELi128ELNS_18Fp8KVCacheDataTypeE0ELb0ELi512EEEvPfS2_PT_PKS3_PKT0_S9_ifPKiSB_iPKfiiiSD_SD_iiiii,comdat
.Lfunc_end87:
	.size	_ZN4vllm25paged_attention_v2_kernelIttLi128ELi8ELi128ELNS_18Fp8KVCacheDataTypeE0ELb0ELi512EEEvPfS2_PT_PKS3_PKT0_S9_ifPKiSB_iPKfiiiSD_SD_iiiii, .Lfunc_end87-_ZN4vllm25paged_attention_v2_kernelIttLi128ELi8ELi128ELNS_18Fp8KVCacheDataTypeE0ELb0ELi512EEEvPfS2_PT_PKS3_PKT0_S9_ifPKiSB_iPKfiiiSD_SD_iiiii
                                        ; -- End function
	.set _ZN4vllm25paged_attention_v2_kernelIttLi128ELi8ELi128ELNS_18Fp8KVCacheDataTypeE0ELb0ELi512EEEvPfS2_PT_PKS3_PKT0_S9_ifPKiSB_iPKfiiiSD_SD_iiiii.num_vgpr, 75
	.set _ZN4vllm25paged_attention_v2_kernelIttLi128ELi8ELi128ELNS_18Fp8KVCacheDataTypeE0ELb0ELi512EEEvPfS2_PT_PKS3_PKT0_S9_ifPKiSB_iPKfiiiSD_SD_iiiii.num_agpr, 0
	.set _ZN4vllm25paged_attention_v2_kernelIttLi128ELi8ELi128ELNS_18Fp8KVCacheDataTypeE0ELb0ELi512EEEvPfS2_PT_PKS3_PKT0_S9_ifPKiSB_iPKfiiiSD_SD_iiiii.numbered_sgpr, 38
	.set _ZN4vllm25paged_attention_v2_kernelIttLi128ELi8ELi128ELNS_18Fp8KVCacheDataTypeE0ELb0ELi512EEEvPfS2_PT_PKS3_PKT0_S9_ifPKiSB_iPKfiiiSD_SD_iiiii.num_named_barrier, 0
	.set _ZN4vllm25paged_attention_v2_kernelIttLi128ELi8ELi128ELNS_18Fp8KVCacheDataTypeE0ELb0ELi512EEEvPfS2_PT_PKS3_PKT0_S9_ifPKiSB_iPKfiiiSD_SD_iiiii.private_seg_size, 0
	.set _ZN4vllm25paged_attention_v2_kernelIttLi128ELi8ELi128ELNS_18Fp8KVCacheDataTypeE0ELb0ELi512EEEvPfS2_PT_PKS3_PKT0_S9_ifPKiSB_iPKfiiiSD_SD_iiiii.uses_vcc, 1
	.set _ZN4vllm25paged_attention_v2_kernelIttLi128ELi8ELi128ELNS_18Fp8KVCacheDataTypeE0ELb0ELi512EEEvPfS2_PT_PKS3_PKT0_S9_ifPKiSB_iPKfiiiSD_SD_iiiii.uses_flat_scratch, 0
	.set _ZN4vllm25paged_attention_v2_kernelIttLi128ELi8ELi128ELNS_18Fp8KVCacheDataTypeE0ELb0ELi512EEEvPfS2_PT_PKS3_PKT0_S9_ifPKiSB_iPKfiiiSD_SD_iiiii.has_dyn_sized_stack, 0
	.set _ZN4vllm25paged_attention_v2_kernelIttLi128ELi8ELi128ELNS_18Fp8KVCacheDataTypeE0ELb0ELi512EEEvPfS2_PT_PKS3_PKT0_S9_ifPKiSB_iPKfiiiSD_SD_iiiii.has_recursion, 0
	.set _ZN4vllm25paged_attention_v2_kernelIttLi128ELi8ELi128ELNS_18Fp8KVCacheDataTypeE0ELb0ELi512EEEvPfS2_PT_PKS3_PKT0_S9_ifPKiSB_iPKfiiiSD_SD_iiiii.has_indirect_call, 0
	.section	.AMDGPU.csdata,"",@progbits
; Kernel info:
; codeLenInByte = 6852
; TotalNumSgprs: 40
; NumVgprs: 75
; ScratchSize: 0
; MemoryBound: 0
; FloatMode: 240
; IeeeMode: 1
; LDSByteSize: 288 bytes/workgroup (compile time only)
; SGPRBlocks: 0
; VGPRBlocks: 9
; NumSGPRsForWavesPerEU: 40
; NumVGPRsForWavesPerEU: 75
; Occupancy: 12
; WaveLimiterHint : 1
; COMPUTE_PGM_RSRC2:SCRATCH_EN: 0
; COMPUTE_PGM_RSRC2:USER_SGPR: 6
; COMPUTE_PGM_RSRC2:TRAP_HANDLER: 0
; COMPUTE_PGM_RSRC2:TGID_X_EN: 1
; COMPUTE_PGM_RSRC2:TGID_Y_EN: 1
; COMPUTE_PGM_RSRC2:TGID_Z_EN: 1
; COMPUTE_PGM_RSRC2:TIDIG_COMP_CNT: 0
	.section	.text._ZN4vllm25paged_attention_v2_kernelIttLi192ELi8ELi128ELNS_18Fp8KVCacheDataTypeE0ELb0ELi512EEEvPfS2_PT_PKS3_PKT0_S9_ifPKiSB_iPKfiiiSD_SD_iiiii,"axG",@progbits,_ZN4vllm25paged_attention_v2_kernelIttLi192ELi8ELi128ELNS_18Fp8KVCacheDataTypeE0ELb0ELi512EEEvPfS2_PT_PKS3_PKT0_S9_ifPKiSB_iPKfiiiSD_SD_iiiii,comdat
	.protected	_ZN4vllm25paged_attention_v2_kernelIttLi192ELi8ELi128ELNS_18Fp8KVCacheDataTypeE0ELb0ELi512EEEvPfS2_PT_PKS3_PKT0_S9_ifPKiSB_iPKfiiiSD_SD_iiiii ; -- Begin function _ZN4vllm25paged_attention_v2_kernelIttLi192ELi8ELi128ELNS_18Fp8KVCacheDataTypeE0ELb0ELi512EEEvPfS2_PT_PKS3_PKT0_S9_ifPKiSB_iPKfiiiSD_SD_iiiii
	.globl	_ZN4vllm25paged_attention_v2_kernelIttLi192ELi8ELi128ELNS_18Fp8KVCacheDataTypeE0ELb0ELi512EEEvPfS2_PT_PKS3_PKT0_S9_ifPKiSB_iPKfiiiSD_SD_iiiii
	.p2align	8
	.type	_ZN4vllm25paged_attention_v2_kernelIttLi192ELi8ELi128ELNS_18Fp8KVCacheDataTypeE0ELb0ELi512EEEvPfS2_PT_PKS3_PKT0_S9_ifPKiSB_iPKfiiiSD_SD_iiiii,@function
_ZN4vllm25paged_attention_v2_kernelIttLi192ELi8ELi128ELNS_18Fp8KVCacheDataTypeE0ELb0ELi512EEEvPfS2_PT_PKS3_PKT0_S9_ifPKiSB_iPKfiiiSD_SD_iiiii: ; @_ZN4vllm25paged_attention_v2_kernelIttLi192ELi8ELi128ELNS_18Fp8KVCacheDataTypeE0ELb0ELi512EEEvPfS2_PT_PKS3_PKT0_S9_ifPKiSB_iPKfiiiSD_SD_iiiii
; %bb.0:
	s_load_dwordx2 s[0:1], s[4:5], 0x40
	s_mov_b32 s22, s7
	s_ashr_i32 s23, s7, 31
	s_lshl_b64 s[2:3], s[22:23], 2
	s_waitcnt lgkmcnt(0)
	s_add_u32 s0, s0, s2
	s_addc_u32 s1, s1, s3
	s_lshl_b32 s33, s8, 9
	s_load_dword s23, s[0:1], 0x0
	s_waitcnt lgkmcnt(0)
	s_cmp_ge_i32 s33, s23
	s_cbranch_scc1 .LBB88_56
; %bb.1:
	s_clause 0x1
	s_load_dword s9, s[4:5], 0x90
	s_load_dwordx2 s[30:31], s[4:5], 0x30
	s_mov_b32 s34, 0
	s_waitcnt lgkmcnt(0)
	s_abs_i32 s3, s9
	s_abs_i32 s0, s30
	v_cvt_f32_u32_e32 v1, s0
	s_sub_i32 s2, 0, s0
	v_rcp_iflag_f32_e32 v1, v1
	v_mul_f32_e32 v1, 0x4f7ffffe, v1
	v_cvt_u32_f32_e32 v1, v1
	v_readfirstlane_b32 s1, v1
	s_mul_i32 s2, s2, s1
	s_mul_hi_u32 s2, s1, s2
	s_add_i32 s1, s1, s2
	s_xor_b32 s2, s9, s30
	s_mul_hi_u32 s1, s3, s1
	s_ashr_i32 s2, s2, 31
	s_mul_i32 s7, s1, s0
	s_sub_i32 s3, s3, s7
	s_add_i32 s7, s1, 1
	s_sub_i32 s10, s3, s0
	s_cmp_ge_u32 s3, s0
	s_cselect_b32 s1, s7, s1
	s_cselect_b32 s3, s10, s3
	s_add_i32 s7, s1, 1
	s_cmp_ge_u32 s3, s0
	s_cselect_b32 s0, s7, s1
	s_abs_i32 s16, s6
	s_xor_b32 s0, s0, s2
	s_sub_i32 s10, s0, s2
	s_load_dwordx2 s[0:1], s[4:5], 0x50
	s_abs_i32 s2, s10
	v_cvt_f32_u32_e32 v1, s2
	s_sub_i32 s7, 0, s2
	v_rcp_iflag_f32_e32 v1, v1
	v_mul_f32_e32 v1, 0x4f7ffffe, v1
	v_cvt_u32_f32_e32 v1, v1
	v_readfirstlane_b32 s3, v1
	s_mul_i32 s7, s7, s3
	s_mul_hi_u32 s7, s3, s7
	s_add_i32 s3, s3, s7
	s_waitcnt lgkmcnt(0)
	s_cmp_eq_u64 s[0:1], 0
	s_mul_hi_u32 s3, s16, s3
	s_cbranch_scc1 .LBB88_3
; %bb.2:
	s_ashr_i32 s7, s6, 31
	s_lshl_b64 s[12:13], s[6:7], 2
	s_add_u32 s0, s0, s12
	s_addc_u32 s1, s1, s13
	s_load_dword s34, s[0:1], 0x0
.LBB88_3:
	s_load_dwordx4 s[12:15], s[4:5], 0x58
	v_and_b32_e32 v1, 3, v0
	v_lshlrev_b32_e32 v2, 2, v0
	s_ashr_i32 s0, s6, 31
	s_ashr_i32 s1, s10, 31
	s_mul_i32 s10, s6, 0xc0
	s_mov_b32 s7, exec_lo
	v_cmpx_gt_u32_e32 0x60, v0
	s_cbranch_execz .LBB88_5
; %bb.4:
	s_load_dwordx2 s[18:19], s[4:5], 0x18
	s_waitcnt lgkmcnt(0)
	s_mul_i32 s20, s12, s22
	v_and_b32_e32 v4, 0x3fc, v0
	s_ashr_i32 s21, s20, 31
	s_lshl_b64 s[20:21], s[20:21], 1
	v_mad_u32_u24 v4, 0x60, v1, v4
	s_add_u32 s12, s18, s20
	s_addc_u32 s15, s19, s21
	s_ashr_i32 s11, s10, 31
	s_lshl_b64 s[18:19], s[10:11], 1
	s_add_u32 s18, s12, s18
	s_addc_u32 s19, s15, s19
	global_load_dword v3, v2, s[18:19]
	s_waitcnt vmcnt(0)
	ds_write_b32 v4, v3
.LBB88_5:
	s_or_b32 exec_lo, exec_lo, s7
	s_add_i32 s7, s23, 7
	s_load_dwordx2 s[24:25], s[4:5], 0x38
	s_waitcnt lgkmcnt(0)
	s_load_dword s15, s[4:5], 0x48
	s_ashr_i32 s11, s7, 31
	s_lshl_b32 s30, s8, 6
	s_lshr_b32 s11, s11, 29
	s_xor_b32 s0, s0, s1
	s_add_i32 s7, s7, s11
	s_add_i32 s1, s30, 64
	s_ashr_i32 s12, s7, 3
	s_mul_i32 s7, s3, s2
	s_min_i32 s11, s1, s12
	s_sub_i32 s1, s16, s7
	s_add_i32 s7, s3, 1
	s_sub_i32 s16, s1, s2
	s_cmp_ge_u32 s1, s2
	v_lshrrev_b32_e32 v10, 5, v0
	s_cselect_b32 s3, s7, s3
	s_cselect_b32 s1, s16, s1
	s_add_i32 s7, s3, 1
	s_cmp_ge_u32 s1, s2
	v_or_b32_e32 v5, s30, v10
	s_cselect_b32 s1, s7, s3
	v_mbcnt_lo_u32_b32 v4, -1, 0
	s_xor_b32 s1, s1, s0
	s_waitcnt lgkmcnt(0)
	s_mul_i32 s26, s15, s22
	s_sub_i32 s1, s1, s0
	v_cmp_gt_i32_e64 s0, s11, v5
	s_ashr_i32 s27, s26, 31
	s_mov_b32 s2, exec_lo
	s_barrier
	buffer_gl0_inv
                                        ; implicit-def: $vgpr7
                                        ; implicit-def: $vgpr8
	v_cmpx_le_i32_e64 s11, v5
	s_xor_b32 s2, exec_lo, s2
; %bb.6:
	v_mov_b32_e32 v7, 0
	v_mbcnt_lo_u32_b32 v4, -1, 0
	v_mov_b32_e32 v8, 32
                                        ; implicit-def: $vgpr2
                                        ; implicit-def: $vgpr1
; %bb.7:
	s_or_saveexec_b32 s35, s2
	s_clause 0x3
	s_load_dwordx4 s[16:19], s[4:5], 0x0
	s_load_dwordx2 s[20:21], s[4:5], 0x10
	s_load_dwordx2 s[28:29], s[4:5], 0x28
	s_load_dword s7, s[4:5], 0x98
	v_mov_b32_e32 v9, 0xff7fffff
	v_ashrrev_i32_e32 v6, 31, v5
	v_lshlrev_b32_e32 v3, 3, v10
	s_mul_i32 s14, s1, s14
	s_xor_b32 exec_lo, exec_lo, s35
	s_cbranch_execz .LBB88_13
; %bb.8:
	s_load_dwordx2 s[2:3], s[4:5], 0x20
	v_bfe_u32 v8, v0, 2, 3
	s_ashr_i32 s15, s14, 31
	v_and_b32_e32 v14, 12, v2
	s_lshl_b64 s[4:5], s[14:15], 1
	v_mul_u32_u24_e32 v11, 0x60, v1
	v_lshlrev_b32_e32 v9, 2, v8
	v_lshlrev_b32_e32 v15, 4, v8
	v_add3_u32 v12, s33, v3, v8
	v_cmp_eq_u32_e32 vcc_lo, 0, v1
	v_lshlrev_b64 v[1:2], 2, v[5:6]
	v_lshl_or_b32 v9, v10, 5, v9
	v_mov_b32_e32 v7, 0
	v_cmp_neq_f32_e64 s1, s34, 0
	v_xor_b32_e32 v16, 2, v4
	v_xor_b32_e32 v17, 1, v4
	v_add_nc_u32_e32 v13, 0x1a0, v9
	v_mov_b32_e32 v18, v5
	s_waitcnt lgkmcnt(0)
	s_add_u32 s15, s2, s4
	s_addc_u32 s5, s3, s5
	v_add_co_u32 v8, s15, s15, v15
	v_add_co_ci_u32_e64 v9, null, s5, 0, s15
	s_lshl_b64 s[2:3], s[26:27], 2
	s_sub_i32 s4, 1, s23
	s_add_u32 s5, s24, s2
	v_add_co_u32 v14, s2, v8, v14
	s_addc_u32 s3, s25, s3
	v_add_co_ci_u32_e64 v15, null, 0, v9, s2
	v_add_co_u32 v1, s2, s5, v1
	v_add_co_ci_u32_e64 v2, null, s3, v2, s2
	v_mov_b32_e32 v9, 0xff7fffff
	v_mov_b32_e32 v8, 32
	s_mov_b32 s15, s13
	s_mov_b32 s5, 0
	s_branch .LBB88_10
.LBB88_9:                               ;   in Loop: Header=BB88_10 Depth=1
	s_or_b32 exec_lo, exec_lo, s3
	v_add_nc_u32_e32 v18, 4, v18
	v_add_co_u32 v1, s3, v1, 16
	v_add_nc_u32_e32 v12, 32, v12
	v_add_nc_u32_e32 v13, 0x80, v13
	v_cmp_le_i32_e64 s2, s11, v18
	v_add_co_ci_u32_e64 v2, null, 0, v2, s3
	s_or_b32 s5, s2, s5
	s_andn2_b32 exec_lo, exec_lo, s5
	s_cbranch_execz .LBB88_12
.LBB88_10:                              ; =>This Inner Loop Header: Depth=1
	global_load_dword v19, v[1:2], off
	s_waitcnt vmcnt(0) lgkmcnt(0)
	v_mad_i64_i32 v[19:20], null, v19, s15, 0
	v_lshlrev_b64 v[19:20], 1, v[19:20]
	v_add_co_u32 v19, s2, v14, v19
	v_add_co_ci_u32_e64 v20, null, v15, v20, s2
	s_clause 0xa
	global_load_dword v21, v[19:20], off
	global_load_dword v28, v[19:20], off offset:128
	global_load_dword v29, v[19:20], off offset:256
	;; [unrolled: 1-line block ×10, first 2 shown]
	ds_read_b32 v22, v11
	s_clause 0x4
	global_load_dword v67, v[19:20], off offset:1408
	global_load_dword v62, v[19:20], off offset:1536
	;; [unrolled: 1-line block ×5, first 2 shown]
	v_add_co_u32 v26, s2, 0x800, v19
	v_add_co_ci_u32_e64 v27, null, 0, v20, s2
	v_cmp_gt_i32_e64 s2, 32, v16
	s_waitcnt lgkmcnt(0)
	v_lshrrev_b32_e32 v35, 16, v22
	v_and_b32_e32 v36, 0xffff, v22
	s_waitcnt vmcnt(15)
	v_and_b32_e32 v37, 0xffff, v21
	v_lshrrev_b32_e32 v38, 16, v21
	s_clause 0x7
	global_load_dword v30, v[26:27], off
	global_load_dword v25, v[26:27], off offset:128
	global_load_dword v24, v[26:27], off offset:256
	;; [unrolled: 1-line block ×7, first 2 shown]
	;;#ASMSTART
	v_cvt_f32_f16 v44, v36;
	;;#ASMEND
	;;#ASMSTART
	v_cvt_f32_f16 v42, v35;
	;;#ASMEND
	;; [unrolled: 3-line block ×4, first 2 shown]
	ds_read_b32 v26, v11 offset:4
	s_waitcnt vmcnt(22)
	v_and_b32_e32 v35, 0xffff, v28
	v_lshrrev_b32_e32 v28, 16, v28
	s_waitcnt vmcnt(18)
	v_and_b32_e32 v51, 0xffff, v34
	v_lshrrev_b32_e32 v52, 16, v34
	;; [unrolled: 3-line block ×9, first 2 shown]
	s_waitcnt vmcnt(10)
	v_and_b32_e32 v85, 0xffff, v49
	s_waitcnt lgkmcnt(0)
	v_and_b32_e32 v27, 0xffff, v26
	v_lshrrev_b32_e32 v26, 16, v26
	;;#ASMSTART
	v_cvt_f32_f16 v60, v27;
	;;#ASMEND
	;;#ASMSTART
	v_cvt_f32_f16 v54, v26;
	;;#ASMEND
	;; [unrolled: 3-line block ×4, first 2 shown]
	ds_read_b32 v26, v11 offset:8
	v_and_b32_e32 v28, 0xffff, v29
	v_lshrrev_b32_e32 v29, 16, v29
	v_lshrrev_b32_e32 v49, 16, v49
	s_waitcnt vmcnt(9)
	v_lshrrev_b32_e32 v87, 16, v46
	s_waitcnt lgkmcnt(0)
	v_and_b32_e32 v27, 0xffff, v26
	v_lshrrev_b32_e32 v26, 16, v26
	;;#ASMSTART
	v_cvt_f32_f16 v47, v27;
	;;#ASMEND
	;;#ASMSTART
	v_cvt_f32_f16 v37, v26;
	;;#ASMEND
	;; [unrolled: 3-line block ×4, first 2 shown]
	ds_read_b32 v26, v11 offset:12
	v_and_b32_e32 v28, 0xffff, v31
	v_lshrrev_b32_e32 v29, 16, v31
	v_lshrrev_b32_e32 v31, 16, v32
	s_waitcnt lgkmcnt(0)
	v_and_b32_e32 v27, 0xffff, v26
	v_lshrrev_b32_e32 v26, 16, v26
	;;#ASMSTART
	v_cvt_f32_f16 v40, v27;
	;;#ASMEND
	;;#ASMSTART
	v_cvt_f32_f16 v36, v26;
	;;#ASMEND
	;; [unrolled: 3-line block ×4, first 2 shown]
	ds_read_b32 v26, v11 offset:16
	v_and_b32_e32 v29, 0xffff, v32
	s_waitcnt lgkmcnt(0)
	v_and_b32_e32 v27, 0xffff, v26
	v_lshrrev_b32_e32 v26, 16, v26
	;;#ASMSTART
	v_cvt_f32_f16 v28, v27;
	;;#ASMEND
	;;#ASMSTART
	v_cvt_f32_f16 v26, v26;
	;;#ASMEND
	;;#ASMSTART
	v_cvt_f32_f16 v29, v29;
	;;#ASMEND
	;;#ASMSTART
	v_cvt_f32_f16 v27, v31;
	;;#ASMEND
	ds_read_b32 v31, v11 offset:20
	s_waitcnt lgkmcnt(0)
	v_and_b32_e32 v32, 0xffff, v31
	v_lshrrev_b32_e32 v35, 16, v31
	;;#ASMSTART
	v_cvt_f32_f16 v31, v32;
	;;#ASMEND
	;;#ASMSTART
	v_cvt_f32_f16 v32, v35;
	;;#ASMEND
	;;#ASMSTART
	v_cvt_f32_f16 v34, v51;
	;;#ASMEND
	;;#ASMSTART
	v_cvt_f32_f16 v35, v52;
	;;#ASMEND
	ds_read_b32 v51, v11 offset:24
	s_waitcnt lgkmcnt(0)
	v_and_b32_e32 v52, 0xffff, v51
	v_lshrrev_b32_e32 v51, 16, v51
	;;#ASMSTART
	v_cvt_f32_f16 v50, v52;
	;;#ASMEND
	;;#ASMSTART
	v_cvt_f32_f16 v51, v51;
	;;#ASMEND
	;;#ASMSTART
	v_cvt_f32_f16 v52, v53;
	;;#ASMEND
	;;#ASMSTART
	v_cvt_f32_f16 v53, v57;
	;;#ASMEND
	ds_read_b32 v57, v11 offset:28
	s_waitcnt lgkmcnt(0)
	v_and_b32_e32 v58, 0xffff, v57
	v_lshrrev_b32_e32 v57, 16, v57
	;;#ASMSTART
	v_cvt_f32_f16 v56, v58;
	;;#ASMEND
	;;#ASMSTART
	v_cvt_f32_f16 v57, v57;
	;;#ASMEND
	;;#ASMSTART
	v_cvt_f32_f16 v58, v59;
	;;#ASMEND
	;;#ASMSTART
	v_cvt_f32_f16 v59, v64;
	;;#ASMEND
	ds_read_b32 v64, v11 offset:32
	s_waitcnt lgkmcnt(0)
	v_and_b32_e32 v65, 0xffff, v64
	v_lshrrev_b32_e32 v64, 16, v64
	;;#ASMSTART
	v_cvt_f32_f16 v63, v65;
	;;#ASMEND
	;;#ASMSTART
	v_cvt_f32_f16 v64, v64;
	;;#ASMEND
	;;#ASMSTART
	v_cvt_f32_f16 v65, v66;
	;;#ASMEND
	;;#ASMSTART
	v_cvt_f32_f16 v66, v69;
	;;#ASMEND
	ds_read_b32 v69, v11 offset:36
	s_waitcnt lgkmcnt(0)
	v_and_b32_e32 v70, 0xffff, v69
	v_lshrrev_b32_e32 v69, 16, v69
	;;#ASMSTART
	v_cvt_f32_f16 v68, v70;
	;;#ASMEND
	;;#ASMSTART
	v_cvt_f32_f16 v69, v69;
	;;#ASMEND
	;;#ASMSTART
	v_cvt_f32_f16 v70, v71;
	;;#ASMEND
	;;#ASMSTART
	v_cvt_f32_f16 v71, v73;
	;;#ASMEND
	ds_read_b32 v73, v11 offset:40
	s_waitcnt lgkmcnt(0)
	v_and_b32_e32 v74, 0xffff, v73
	v_lshrrev_b32_e32 v73, 16, v73
	;;#ASMSTART
	v_cvt_f32_f16 v72, v74;
	;;#ASMEND
	;;#ASMSTART
	v_cvt_f32_f16 v73, v73;
	;;#ASMEND
	;;#ASMSTART
	v_cvt_f32_f16 v74, v75;
	;;#ASMEND
	;;#ASMSTART
	v_cvt_f32_f16 v75, v76;
	;;#ASMEND
	ds_read_b32 v76, v11 offset:44
	s_waitcnt lgkmcnt(0)
	v_and_b32_e32 v77, 0xffff, v76
	v_lshrrev_b32_e32 v76, 16, v76
	;;#ASMSTART
	v_cvt_f32_f16 v67, v77;
	;;#ASMEND
	;;#ASMSTART
	v_cvt_f32_f16 v76, v76;
	;;#ASMEND
	;;#ASMSTART
	v_cvt_f32_f16 v77, v78;
	;;#ASMEND
	;;#ASMSTART
	v_cvt_f32_f16 v78, v79;
	;;#ASMEND
	ds_read_b32 v79, v11 offset:48
	s_waitcnt lgkmcnt(0)
	v_and_b32_e32 v80, 0xffff, v79
	v_lshrrev_b32_e32 v79, 16, v79
	;;#ASMSTART
	v_cvt_f32_f16 v62, v80;
	;;#ASMEND
	;;#ASMSTART
	v_cvt_f32_f16 v79, v79;
	;;#ASMEND
	;;#ASMSTART
	v_cvt_f32_f16 v80, v81;
	;;#ASMEND
	;;#ASMSTART
	v_cvt_f32_f16 v81, v82;
	;;#ASMEND
	ds_read_b32 v82, v11 offset:52
	s_waitcnt lgkmcnt(0)
	v_and_b32_e32 v83, 0xffff, v82
	v_lshrrev_b32_e32 v84, 16, v82
	;;#ASMSTART
	v_cvt_f32_f16 v82, v83;
	;;#ASMEND
	;;#ASMSTART
	v_cvt_f32_f16 v83, v84;
	;;#ASMEND
	;;#ASMSTART
	v_cvt_f32_f16 v84, v85;
	;;#ASMEND
	;;#ASMSTART
	v_cvt_f32_f16 v85, v49;
	;;#ASMEND
	ds_read_b32 v86, v11 offset:56
	v_mul_f32_e32 v49, v60, v61
	v_fmac_f32_e32 v49, v44, v45
	v_fmac_f32_e32 v49, v47, v48
	s_waitcnt vmcnt(7)
	v_and_b32_e32 v48, 0xffff, v30
	v_fmac_f32_e32 v49, v40, v41
	s_waitcnt lgkmcnt(0)
	v_and_b32_e32 v60, 0xffff, v86
	v_lshrrev_b32_e32 v61, 16, v86
	v_and_b32_e32 v86, 0xffff, v46
	v_mul_f32_e32 v46, v54, v55
	;;#ASMSTART
	v_cvt_f32_f16 v54, v60;
	;;#ASMEND
	;;#ASMSTART
	v_cvt_f32_f16 v55, v61;
	;;#ASMEND
	;; [unrolled: 3-line block ×4, first 2 shown]
	ds_read_b32 v86, v11 offset:60
	v_lshrrev_b32_e32 v87, 16, v33
	v_fmac_f32_e32 v46, v42, v43
	v_fmac_f32_e32 v49, v28, v29
	;; [unrolled: 1-line block ×4, first 2 shown]
	s_waitcnt vmcnt(3)
	v_and_b32_e32 v31, 0xffff, v22
	v_lshrrev_b32_e32 v34, 16, v22
	v_fmac_f32_e32 v46, v36, v38
	v_fmac_f32_e32 v49, v50, v52
	s_waitcnt vmcnt(2)
	v_lshrrev_b32_e32 v50, 16, v21
	v_fmac_f32_e32 v46, v26, v27
	v_fmac_f32_e32 v49, v56, v58
	s_waitcnt lgkmcnt(0)
	v_and_b32_e32 v44, 0xffff, v86
	v_lshrrev_b32_e32 v45, 16, v86
	v_and_b32_e32 v86, 0xffff, v33
	;;#ASMSTART
	v_cvt_f32_f16 v33, v44;
	;;#ASMEND
	;;#ASMSTART
	v_cvt_f32_f16 v42, v45;
	;;#ASMEND
	;; [unrolled: 3-line block ×4, first 2 shown]
	ds_read_b32 v45, v11 offset:64
	v_lshrrev_b32_e32 v86, 16, v30
	v_lshrrev_b32_e32 v87, 16, v25
	v_fmac_f32_e32 v46, v32, v35
	v_fmac_f32_e32 v49, v63, v65
	;; [unrolled: 1-line block ×4, first 2 shown]
	v_and_b32_e32 v51, 0xffff, v21
	v_fmac_f32_e32 v46, v57, v59
	v_fmac_f32_e32 v49, v72, v74
	v_fmac_f32_e32 v46, v64, v66
	v_fmac_f32_e32 v49, v67, v77
	s_waitcnt lgkmcnt(0)
	v_and_b32_e32 v47, 0xffff, v45
	v_lshrrev_b32_e32 v45, 16, v45
	;;#ASMSTART
	v_cvt_f32_f16 v30, v47;
	;;#ASMEND
	;;#ASMSTART
	v_cvt_f32_f16 v45, v45;
	;;#ASMEND
	;; [unrolled: 3-line block ×4, first 2 shown]
	ds_read_b32 v86, v11 offset:68
	v_fmac_f32_e32 v46, v69, v71
	v_fmac_f32_e32 v49, v62, v80
	v_fmac_f32_e32 v46, v73, v75
	v_fmac_f32_e32 v49, v82, v84
	v_fmac_f32_e32 v46, v76, v78
	v_fmac_f32_e32 v49, v54, v60
	v_fmac_f32_e32 v46, v79, v81
	v_fmac_f32_e32 v49, v33, v43
	s_waitcnt vmcnt(1)
	v_lshrrev_b32_e32 v33, 16, v20
	v_and_b32_e32 v43, 0xffff, v20
	s_waitcnt lgkmcnt(0)
	v_and_b32_e32 v37, 0xffff, v86
	v_lshrrev_b32_e32 v39, 16, v86
	v_and_b32_e32 v86, 0xffff, v25
	;;#ASMSTART
	v_cvt_f32_f16 v25, v37;
	;;#ASMEND
	;;#ASMSTART
	v_cvt_f32_f16 v37, v39;
	;;#ASMEND
	;; [unrolled: 3-line block ×4, first 2 shown]
	ds_read_b32 v41, v11 offset:72
	v_lshrrev_b32_e32 v86, 16, v24
	v_lshrrev_b32_e32 v87, 16, v23
	v_fmac_f32_e32 v46, v83, v85
	v_fmac_f32_e32 v49, v30, v47
	;; [unrolled: 1-line block ×6, first 2 shown]
	s_waitcnt lgkmcnt(0)
	v_and_b32_e32 v36, 0xffff, v41
	v_lshrrev_b32_e32 v38, 16, v41
	v_and_b32_e32 v41, 0xffff, v24
	;;#ASMSTART
	v_cvt_f32_f16 v24, v36;
	;;#ASMEND
	;;#ASMSTART
	v_cvt_f32_f16 v36, v38;
	;;#ASMEND
	;; [unrolled: 3-line block ×4, first 2 shown]
	ds_read_b32 v86, v11 offset:76
	v_fmac_f32_e32 v46, v37, v40
	v_fmac_f32_e32 v49, v24, v38
	;; [unrolled: 1-line block ×3, first 2 shown]
	s_waitcnt lgkmcnt(0)
	v_and_b32_e32 v28, 0xffff, v86
	v_lshrrev_b32_e32 v29, 16, v86
	v_and_b32_e32 v86, 0xffff, v23
	;;#ASMSTART
	v_cvt_f32_f16 v23, v28;
	;;#ASMEND
	;;#ASMSTART
	v_cvt_f32_f16 v26, v29;
	;;#ASMEND
	;; [unrolled: 3-line block ×4, first 2 shown]
	ds_read_b32 v29, v11 offset:80
	v_fmac_f32_e32 v49, v23, v27
	v_fmac_f32_e32 v46, v26, v28
	s_waitcnt vmcnt(0)
	v_lshrrev_b32_e32 v23, 16, v19
	v_and_b32_e32 v26, 0xffff, v19
	s_waitcnt lgkmcnt(0)
	v_and_b32_e32 v32, 0xffff, v29
	v_lshrrev_b32_e32 v29, 16, v29
	;;#ASMSTART
	v_cvt_f32_f16 v22, v32;
	;;#ASMEND
	;;#ASMSTART
	v_cvt_f32_f16 v29, v29;
	;;#ASMEND
	;; [unrolled: 3-line block ×4, first 2 shown]
	ds_read_b32 v34, v11 offset:84
	v_fmac_f32_e32 v49, v22, v31
	v_fmac_f32_e32 v46, v29, v32
	v_cndmask_b32_e64 v22, v4, v16, s2
	v_cmp_gt_i32_e64 s2, 32, v17
	s_waitcnt lgkmcnt(0)
	v_and_b32_e32 v35, 0xffff, v34
	v_lshrrev_b32_e32 v34, 16, v34
	;;#ASMSTART
	v_cvt_f32_f16 v21, v35;
	;;#ASMEND
	;;#ASMSTART
	v_cvt_f32_f16 v34, v34;
	;;#ASMEND
	;; [unrolled: 3-line block ×4, first 2 shown]
	ds_read_b32 v51, v11 offset:88
	v_fmac_f32_e32 v49, v21, v35
	v_fmac_f32_e32 v46, v34, v50
	s_waitcnt lgkmcnt(0)
	v_and_b32_e32 v30, 0xffff, v51
	v_lshrrev_b32_e32 v42, 16, v51
	;;#ASMSTART
	v_cvt_f32_f16 v20, v30;
	;;#ASMEND
	;;#ASMSTART
	v_cvt_f32_f16 v25, v42;
	;;#ASMEND
	;;#ASMSTART
	v_cvt_f32_f16 v30, v43;
	;;#ASMEND
	;;#ASMSTART
	v_cvt_f32_f16 v33, v33;
	;;#ASMEND
	ds_read_b32 v37, v11 offset:92
	v_fmac_f32_e32 v49, v20, v30
	v_fmac_f32_e32 v46, v25, v33
	s_waitcnt lgkmcnt(0)
	v_and_b32_e32 v21, 0xffff, v37
	v_lshrrev_b32_e32 v24, 16, v37
	;;#ASMSTART
	v_cvt_f32_f16 v19, v21;
	;;#ASMEND
	;;#ASMSTART
	v_cvt_f32_f16 v20, v24;
	;;#ASMEND
	;; [unrolled: 3-line block ×4, first 2 shown]
	v_fmac_f32_e32 v49, v19, v21
	v_fmac_f32_e32 v46, v20, v23
	v_lshlrev_b32_e32 v19, 2, v22
	v_cndmask_b32_e64 v21, v4, v17, s2
	v_add_f32_e32 v20, v49, v46
	ds_bpermute_b32 v19, v19, v20
	s_waitcnt lgkmcnt(0)
	v_add_f32_e32 v19, v20, v19
	v_lshlrev_b32_e32 v20, 2, v21
	ds_bpermute_b32 v20, v20, v19
	s_and_saveexec_b32 s3, vcc_lo
	s_cbranch_execz .LBB88_9
; %bb.11:                               ;   in Loop: Header=BB88_10 Depth=1
	v_add_nc_u32_e32 v21, s4, v12
	s_waitcnt lgkmcnt(0)
	v_add_f32_e32 v19, v19, v20
	v_cmp_gt_i32_e64 s2, s23, v12
	v_cvt_f32_i32_e32 v21, v21
	v_mul_f32_e32 v21, s34, v21
	v_cndmask_b32_e64 v20, 0, v21, s1
	v_max_f32_e32 v21, v9, v9
	v_fmac_f32_e32 v20, s31, v19
	v_max_f32_e32 v19, v21, v20
	v_cndmask_b32_e64 v20, 0, v20, s2
	v_cndmask_b32_e64 v9, v9, v19, s2
	ds_write_b32 v13, v20
	s_branch .LBB88_9
.LBB88_12:
	s_or_b32 exec_lo, exec_lo, s5
.LBB88_13:
	s_or_b32 exec_lo, exec_lo, s35
	v_xor_b32_e32 v1, 16, v4
	v_xor_b32_e32 v11, 8, v4
	v_max_f32_e32 v12, v9, v9
	v_cmp_lt_i32_e32 vcc_lo, v1, v8
	v_cndmask_b32_e32 v1, v4, v1, vcc_lo
	v_cmp_lt_i32_e32 vcc_lo, v11, v8
	v_lshlrev_b32_e32 v2, 2, v1
	ds_bpermute_b32 v1, v2, v9
	v_cndmask_b32_e32 v9, v4, v11, vcc_lo
	v_lshlrev_b32_e32 v9, 2, v9
	s_waitcnt lgkmcnt(0)
	v_max_f32_e32 v1, v1, v1
	v_max_f32_e32 v1, v12, v1
	v_xor_b32_e32 v12, 4, v4
	ds_bpermute_b32 v11, v9, v1
	v_cmp_lt_i32_e32 vcc_lo, v12, v8
	v_cndmask_b32_e32 v12, v4, v12, vcc_lo
	v_lshlrev_b32_e32 v14, 2, v12
	v_lshlrev_b32_e32 v12, 2, v10
	s_waitcnt lgkmcnt(0)
	v_max_f32_e32 v11, v11, v11
	v_max_f32_e32 v1, v1, v11
	v_and_b32_e32 v11, 31, v0
	ds_bpermute_b32 v13, v14, v1
	v_cmp_eq_u32_e32 vcc_lo, 0, v11
	s_and_saveexec_b32 s1, vcc_lo
	s_cbranch_execz .LBB88_15
; %bb.14:
	s_waitcnt lgkmcnt(0)
	v_max_f32_e32 v13, v13, v13
	v_max_f32_e32 v1, v1, v1
	;; [unrolled: 1-line block ×3, first 2 shown]
	ds_write_b32 v12, v1 offset:384
.LBB88_15:
	s_or_b32 exec_lo, exec_lo, s1
	v_cmp_gt_u32_e64 s1, 4, v11
	v_mov_b32_e32 v1, 0xff7fffff
	s_waitcnt lgkmcnt(0)
	v_lshlrev_b32_e32 v13, 2, v11
	s_barrier
	buffer_gl0_inv
	s_and_saveexec_b32 s2, s1
; %bb.16:
	ds_read_b32 v1, v13 offset:384
; %bb.17:
	s_or_b32 exec_lo, exec_lo, s2
	v_xor_b32_e32 v15, 2, v4
	v_xor_b32_e32 v17, 1, v4
	v_lshlrev_b32_e32 v7, 2, v7
	v_cmp_lt_i32_e64 s2, v15, v8
	v_cndmask_b32_e64 v15, v4, v15, s2
	v_cmp_lt_i32_e64 s2, v17, v8
	v_lshlrev_b32_e32 v15, 2, v15
	v_cndmask_b32_e64 v8, v4, v17, s2
	s_sub_i32 s2, s11, s30
	s_lshl_b32 s2, s2, 3
	s_waitcnt lgkmcnt(0)
	ds_bpermute_b32 v16, v15, v1
	v_max_f32_e32 v1, v1, v1
	v_lshlrev_b32_e32 v8, 2, v8
	s_add_i32 s2, s2, s33
	s_min_i32 s2, s2, s23
	s_sub_i32 s4, s2, s33
	v_cmp_gt_i32_e64 s2, s4, v0
	s_waitcnt lgkmcnt(0)
	v_max_f32_e32 v16, v16, v16
	v_max_f32_e32 v1, v1, v16
	ds_bpermute_b32 v16, v8, v1
	s_waitcnt lgkmcnt(0)
	v_max_f32_e32 v16, v16, v16
	v_max_f32_e32 v1, v1, v16
	v_mov_b32_e32 v16, 0
	ds_bpermute_b32 v1, v7, v1
	v_lshl_add_u32 v7, v0, 2, 0x1a0
	s_and_saveexec_b32 s5, s2
	s_cbranch_execz .LBB88_21
; %bb.18:
	v_lshl_add_u32 v17, v0, 2, 0x1a0
	v_mov_b32_e32 v16, 0
	v_mov_b32_e32 v18, v0
	s_mov_b32 s15, 0
	.p2align	6
.LBB88_19:                              ; =>This Inner Loop Header: Depth=1
	ds_read_b32 v19, v17
	v_add_nc_u32_e32 v18, 0x80, v18
	v_cmp_le_i32_e64 s3, s4, v18
	s_or_b32 s15, s3, s15
	s_waitcnt lgkmcnt(0)
	v_sub_f32_e32 v19, v19, v1
	v_mul_f32_e32 v19, 0x3fb8aa3b, v19
	v_exp_f32_e32 v19, v19
	ds_write_b32 v17, v19
	v_add_f32_e32 v16, v16, v19
	v_add_nc_u32_e32 v17, 0x200, v17
	s_andn2_b32 exec_lo, exec_lo, s15
	s_cbranch_execnz .LBB88_19
; %bb.20:
	s_or_b32 exec_lo, exec_lo, s15
.LBB88_21:
	s_or_b32 exec_lo, exec_lo, s5
	ds_bpermute_b32 v2, v2, v16
	s_waitcnt lgkmcnt(0)
	v_add_f32_e32 v2, v16, v2
	ds_bpermute_b32 v9, v9, v2
	s_waitcnt lgkmcnt(0)
	v_add_f32_e32 v2, v2, v9
	;; [unrolled: 3-line block ×5, first 2 shown]
	s_and_saveexec_b32 s3, vcc_lo
; %bb.22:
	ds_write_b32 v12, v2 offset:400
; %bb.23:
	s_or_b32 exec_lo, exec_lo, s3
	s_waitcnt lgkmcnt(0)
	s_barrier
	buffer_gl0_inv
	s_and_saveexec_b32 s3, s1
; %bb.24:
	ds_read_b32 v2, v13 offset:400
; %bb.25:
	s_or_b32 exec_lo, exec_lo, s3
	s_waitcnt lgkmcnt(0)
	ds_bpermute_b32 v9, v15, v2
	v_lshlrev_b32_e32 v4, 2, v4
	v_and_b32_e32 v4, 0xffffff80, v4
	s_waitcnt lgkmcnt(0)
	v_add_f32_e32 v2, v2, v9
	ds_bpermute_b32 v8, v8, v2
	s_waitcnt lgkmcnt(0)
	v_add_f32_e32 v2, v2, v8
	ds_bpermute_b32 v2, v4, v2
	s_and_saveexec_b32 s1, s2
	s_cbranch_execz .LBB88_28
; %bb.26:
	s_waitcnt lgkmcnt(0)
	v_add_f32_e32 v4, 0x358637bd, v2
	s_mov_b32 s2, 0
	v_div_scale_f32 v8, null, v4, v4, 1.0
	v_div_scale_f32 v13, vcc_lo, 1.0, v4, 1.0
	v_rcp_f32_e32 v9, v8
	v_fma_f32 v12, -v8, v9, 1.0
	v_fmac_f32_e32 v9, v12, v9
	v_mul_f32_e32 v12, v13, v9
	v_fma_f32 v14, -v8, v12, v13
	v_fmac_f32_e32 v12, v14, v9
	v_fma_f32 v8, -v8, v12, v13
	v_div_fmas_f32 v8, v8, v9, v12
	v_div_fixup_f32 v4, v8, v4, 1.0
	v_mov_b32_e32 v8, v0
.LBB88_27:                              ; =>This Inner Loop Header: Depth=1
	ds_read_b32 v9, v7
	v_add_nc_u32_e32 v8, 0x80, v8
	v_cmp_le_i32_e32 vcc_lo, s4, v8
	s_or_b32 s2, vcc_lo, s2
	s_waitcnt lgkmcnt(0)
	v_mul_f32_e32 v9, v4, v9
	ds_write_b32 v7, v9
	v_add_nc_u32_e32 v7, 0x200, v7
	s_andn2_b32 exec_lo, exec_lo, s2
	s_cbranch_execnz .LBB88_27
.LBB88_28:
	s_or_b32 exec_lo, exec_lo, s1
	s_mul_i32 s1, s7, s22
	s_waitcnt lgkmcnt(0)
	s_mul_i32 s2, s1, s9
	s_mov_b32 s1, exec_lo
	s_barrier
	buffer_gl0_inv
	v_cmpx_eq_u32_e32 0, v0
	s_cbranch_execz .LBB88_30
; %bb.29:
	s_ashr_i32 s3, s2, 31
	s_mul_i32 s30, s7, s6
	s_lshl_b64 s[4:5], s[2:3], 2
	v_mov_b32_e32 v4, 0
	s_add_u32 s3, s18, s4
	s_addc_u32 s6, s19, s5
	s_ashr_i32 s31, s30, 31
	s_lshl_b64 s[18:19], s[30:31], 2
	s_add_u32 s3, s3, s18
	s_addc_u32 s6, s6, s19
	s_ashr_i32 s9, s8, 31
	s_lshl_b64 s[30:31], s[8:9], 2
	s_add_u32 s34, s3, s30
	s_addc_u32 s35, s6, s31
	s_add_u32 s3, s16, s4
	s_addc_u32 s4, s17, s5
	;; [unrolled: 2-line block ×4, first 2 shown]
	global_store_dword v4, v1, s[34:35]
	global_store_dword v4, v2, s[4:5]
.LBB88_30:
	s_or_b32 exec_lo, exec_lo, s1
	v_mov_b32_e32 v17, 0
	v_mov_b32_e32 v16, 0
	;; [unrolled: 1-line block ×6, first 2 shown]
	s_and_saveexec_b32 s3, s0
	s_cbranch_execz .LBB88_46
; %bb.31:
	s_ashr_i32 s15, s14, 31
	v_lshlrev_b32_e32 v1, 4, v11
	s_lshl_b64 s[0:1], s[14:15], 1
	v_mov_b32_e32 v18, 0
	s_add_u32 s0, s28, s0
	s_addc_u32 s1, s29, s1
	v_add_co_u32 v19, s0, s0, v1
	v_lshlrev_b64 v[1:2], 2, v[5:6]
	v_add_co_ci_u32_e64 v20, null, s1, 0, s0
	s_lshl_b64 s[0:1], s[26:27], 2
	s_add_i32 s12, s12, -1
	s_add_u32 s0, s24, s0
	s_addc_u32 s1, s25, s1
	v_add_co_u32 v6, vcc_lo, s0, v1
	v_add3_u32 v21, s33, v3, 7
	v_lshl_add_u32 v22, v10, 5, 0x1a0
	v_add_co_ci_u32_e64 v7, null, s1, v2, vcc_lo
	v_mov_b32_e32 v12, 0
	v_mov_b32_e32 v13, 0
	;; [unrolled: 1-line block ×6, first 2 shown]
	s_mov_b32 s5, s13
	s_mov_b32 s4, 0
	s_branch .LBB88_33
.LBB88_32:                              ;   in Loop: Header=BB88_33 Depth=1
	s_or_b32 exec_lo, exec_lo, s1
	v_lshlrev_b32_e32 v23, 16, v44
	v_lshlrev_b32_e32 v9, 16, v9
	;; [unrolled: 1-line block ×3, first 2 shown]
	v_add_nc_u32_e32 v5, 4, v5
	v_add_f32_e32 v24, v42, v43
	v_and_or_b32 v1, 0xffff, v1, v23
	v_and_or_b32 v2, 0xffff, v2, v9
	;; [unrolled: 1-line block ×3, first 2 shown]
	;;#ASMSTART
	v_pk_mul_f16 v1, v31, v1;

	;;#ASMEND
	;;#ASMSTART
	v_pk_mul_f16 v2, v30, v2;

	;;#ASMEND
	;; [unrolled: 4-line block ×4, first 2 shown]
	;;#ASMSTART
	v_pk_add_f16 v1, v1, v2;

	;;#ASMEND
	;;#ASMSTART
	v_pk_add_f16 v1, v1, v3;

	;;#ASMEND
	;; [unrolled: 4-line block ×3, first 2 shown]
	v_and_b32_e32 v4, 0xffff, v1
	v_lshrrev_b32_e32 v8, 16, v1
	;;#ASMSTART
	v_cvt_f32_f16 v4, v4;
	;;#ASMEND
	v_add_f32_e32 v25, v40, v41
	v_add_f32_e32 v1, v38, v39
	v_add_f32_e32 v2, v36, v37
	v_add_f32_e32 v3, v34, v35
	;;#ASMSTART
	v_cvt_f32_f16 v8, v8;
	;;#ASMEND
	v_add_f32_e32 v4, v4, v8
	v_cmp_le_i32_e32 vcc_lo, s11, v5
	v_add_co_u32 v6, s0, v6, 16
	v_add_f32_e32 v13, v13, v24
	v_add_f32_e32 v14, v14, v25
	;; [unrolled: 1-line block ×6, first 2 shown]
	v_add_nc_u32_e32 v21, 32, v21
	v_add_nc_u32_e32 v22, 0x80, v22
	v_add_co_ci_u32_e64 v7, null, 0, v7, s0
	s_or_b32 s4, vcc_lo, s4
	s_andn2_b32 exec_lo, exec_lo, s4
	s_cbranch_execz .LBB88_45
.LBB88_33:                              ; =>This Inner Loop Header: Depth=1
	global_load_dword v8, v[6:7], off
	ds_read2_b64 v[1:4], v22 offset1:1
	ds_read2_b64 v[23:26], v22 offset0:2 offset1:3
	v_add_nc_u32_e32 v27, -7, v21
	v_cmp_eq_u32_e64 s0, s12, v5
	v_add_nc_u32_e32 v29, -6, v21
	v_add_nc_u32_e32 v28, -1, v21
	s_waitcnt lgkmcnt(1)
	;;#ASMSTART
	v_cvt_f16_f32 v31, v1;

	;;#ASMEND
	;;#ASMSTART
	v_cvt_f16_f32 v30, v2;

	;;#ASMEND
	;; [unrolled: 4-line block ×4, first 2 shown]
	s_waitcnt lgkmcnt(0)
	;;#ASMSTART
	v_cvt_f16_f32 v37, v23;

	;;#ASMEND
	;;#ASMSTART
	v_cvt_f16_f32 v32, v24;

	;;#ASMEND
	;;#ASMSTART
	v_cvt_f16_f32 v35, v25;

	;;#ASMEND
	;;#ASMSTART
	v_cvt_f16_f32 v33, v26;

	;;#ASMEND
	v_add_nc_u32_e32 v26, -5, v21
	v_add_nc_u32_e32 v25, -4, v21
	;; [unrolled: 1-line block ×4, first 2 shown]
	s_waitcnt vmcnt(0)
	v_mad_i64_i32 v[8:9], null, v8, s5, 0
	v_lshlrev_b64 v[8:9], 1, v[8:9]
	v_add_co_u32 v8, vcc_lo, v19, v8
	v_add_co_ci_u32_e64 v9, null, v20, v9, vcc_lo
	global_load_dwordx4 v[1:4], v[8:9], off
	s_waitcnt vmcnt(0)
	v_lshrrev_b32_e32 v40, 16, v1
	v_lshrrev_b32_e32 v39, 16, v2
	;; [unrolled: 1-line block ×3, first 2 shown]
	s_and_saveexec_b32 s6, s0
	s_cbranch_execz .LBB88_35
; %bb.34:                               ;   in Loop: Header=BB88_33 Depth=1
	v_cmp_gt_i32_e32 vcc_lo, s23, v27
	v_and_b32_e32 v41, 0xffff0000, v4
	v_cmp_gt_i32_e64 s1, s23, v26
	v_cndmask_b32_e32 v1, 0, v1, vcc_lo
	v_cmp_gt_i32_e32 vcc_lo, s23, v29
	v_cndmask_b32_e64 v2, 0, v2, s1
	v_cmp_gt_i32_e64 s1, s23, v25
	v_cndmask_b32_e32 v40, 0, v40, vcc_lo
	v_cmp_gt_i32_e32 vcc_lo, s23, v28
	v_cndmask_b32_e64 v39, 0, v39, s1
	v_cndmask_b32_sdwa v4, v18, v4, vcc_lo dst_sel:DWORD dst_unused:UNUSED_PAD src0_sel:DWORD src1_sel:WORD_0
	v_cmp_gt_i32_e32 vcc_lo, s23, v21
	v_cndmask_b32_e32 v41, 0, v41, vcc_lo
	v_cmp_gt_i32_e32 vcc_lo, s23, v24
	v_or_b32_e32 v4, v4, v41
	v_cndmask_b32_e32 v3, 0, v3, vcc_lo
	v_cmp_gt_i32_e32 vcc_lo, s23, v23
	v_cndmask_b32_e32 v38, 0, v38, vcc_lo
.LBB88_35:                              ;   in Loop: Header=BB88_33 Depth=1
	s_or_b32 exec_lo, exec_lo, s6
	v_and_b32_e32 v31, 0xffff, v31
	v_and_b32_e32 v36, 0xffff, v36
	v_lshlrev_b32_e32 v40, 16, v40
	v_and_b32_e32 v37, 0xffff, v37
	v_and_b32_e32 v35, 0xffff, v35
	v_lshl_or_b32 v31, v30, 16, v31
	v_lshl_or_b32 v30, v34, 16, v36
	v_lshlrev_b32_e32 v34, 16, v39
	v_lshlrev_b32_e32 v36, 16, v38
	v_and_or_b32 v1, 0xffff, v1, v40
	;;#ASMSTART
	v_pk_mul_f16 v1, v31, v1;

	;;#ASMEND
	v_lshl_or_b32 v32, v32, 16, v37
	v_and_or_b32 v2, 0xffff, v2, v34
	v_and_or_b32 v3, 0xffff, v3, v36
	v_lshl_or_b32 v33, v33, 16, v35
	;;#ASMSTART
	v_pk_mul_f16 v2, v30, v2;

	;;#ASMEND
	;;#ASMSTART
	v_pk_mul_f16 v3, v32, v3;

	;;#ASMEND
	;; [unrolled: 4-line block ×3, first 2 shown]
	;;#ASMSTART
	v_pk_add_f16 v1, v1, v2;

	;;#ASMEND
	;;#ASMSTART
	v_pk_add_f16 v1, v1, v3;

	;;#ASMEND
	;; [unrolled: 4-line block ×3, first 2 shown]
	v_and_b32_e32 v2, 0xffff, v1
	v_lshrrev_b32_e32 v1, 16, v1
	;;#ASMSTART
	v_cvt_f32_f16 v34, v2;
	;;#ASMEND
	;;#ASMSTART
	v_cvt_f32_f16 v35, v1;
	;;#ASMEND
	global_load_dwordx4 v[1:4], v[8:9], off offset:512
	s_waitcnt vmcnt(0)
	v_lshrrev_b32_e32 v38, 16, v1
	v_lshrrev_b32_e32 v37, 16, v2
	;; [unrolled: 1-line block ×3, first 2 shown]
	s_and_saveexec_b32 s6, s0
	s_cbranch_execz .LBB88_37
; %bb.36:                               ;   in Loop: Header=BB88_33 Depth=1
	v_cmp_gt_i32_e32 vcc_lo, s23, v27
	v_and_b32_e32 v39, 0xffff0000, v4
	v_cmp_gt_i32_e64 s1, s23, v26
	v_cndmask_b32_e32 v1, 0, v1, vcc_lo
	v_cmp_gt_i32_e32 vcc_lo, s23, v29
	v_cndmask_b32_e64 v2, 0, v2, s1
	v_cmp_gt_i32_e64 s1, s23, v25
	v_cndmask_b32_e32 v38, 0, v38, vcc_lo
	v_cmp_gt_i32_e32 vcc_lo, s23, v28
	v_cndmask_b32_e64 v37, 0, v37, s1
	v_cndmask_b32_sdwa v4, v18, v4, vcc_lo dst_sel:DWORD dst_unused:UNUSED_PAD src0_sel:DWORD src1_sel:WORD_0
	v_cmp_gt_i32_e32 vcc_lo, s23, v21
	v_cndmask_b32_e32 v39, 0, v39, vcc_lo
	v_cmp_gt_i32_e32 vcc_lo, s23, v24
	v_or_b32_e32 v4, v4, v39
	v_cndmask_b32_e32 v3, 0, v3, vcc_lo
	v_cmp_gt_i32_e32 vcc_lo, s23, v23
	v_cndmask_b32_e32 v36, 0, v36, vcc_lo
.LBB88_37:                              ;   in Loop: Header=BB88_33 Depth=1
	s_or_b32 exec_lo, exec_lo, s6
	v_lshlrev_b32_e32 v38, 16, v38
	v_lshlrev_b32_e32 v37, 16, v37
	;; [unrolled: 1-line block ×3, first 2 shown]
	v_and_or_b32 v1, 0xffff, v1, v38
	v_and_or_b32 v2, 0xffff, v2, v37
	;; [unrolled: 1-line block ×3, first 2 shown]
	;;#ASMSTART
	v_pk_mul_f16 v1, v31, v1;

	;;#ASMEND
	;;#ASMSTART
	v_pk_mul_f16 v2, v30, v2;

	;;#ASMEND
	;; [unrolled: 4-line block ×4, first 2 shown]
	;;#ASMSTART
	v_pk_add_f16 v1, v1, v2;

	;;#ASMEND
	;;#ASMSTART
	v_pk_add_f16 v1, v1, v3;

	;;#ASMEND
	;; [unrolled: 4-line block ×3, first 2 shown]
	v_and_b32_e32 v2, 0xffff, v1
	v_lshrrev_b32_e32 v1, 16, v1
	;;#ASMSTART
	v_cvt_f32_f16 v36, v2;
	;;#ASMEND
	;;#ASMSTART
	v_cvt_f32_f16 v37, v1;
	;;#ASMEND
	global_load_dwordx4 v[1:4], v[8:9], off offset:1024
	s_waitcnt vmcnt(0)
	v_lshrrev_b32_e32 v40, 16, v1
	v_lshrrev_b32_e32 v39, 16, v2
	;; [unrolled: 1-line block ×3, first 2 shown]
	s_and_saveexec_b32 s6, s0
	s_cbranch_execz .LBB88_39
; %bb.38:                               ;   in Loop: Header=BB88_33 Depth=1
	v_cmp_gt_i32_e32 vcc_lo, s23, v27
	v_and_b32_e32 v41, 0xffff0000, v4
	v_cmp_gt_i32_e64 s1, s23, v26
	v_cndmask_b32_e32 v1, 0, v1, vcc_lo
	v_cmp_gt_i32_e32 vcc_lo, s23, v29
	v_cndmask_b32_e64 v2, 0, v2, s1
	v_cmp_gt_i32_e64 s1, s23, v25
	v_cndmask_b32_e32 v40, 0, v40, vcc_lo
	v_cmp_gt_i32_e32 vcc_lo, s23, v28
	v_cndmask_b32_e64 v39, 0, v39, s1
	v_cndmask_b32_sdwa v4, v18, v4, vcc_lo dst_sel:DWORD dst_unused:UNUSED_PAD src0_sel:DWORD src1_sel:WORD_0
	v_cmp_gt_i32_e32 vcc_lo, s23, v21
	v_cndmask_b32_e32 v41, 0, v41, vcc_lo
	v_cmp_gt_i32_e32 vcc_lo, s23, v24
	v_or_b32_e32 v4, v4, v41
	v_cndmask_b32_e32 v3, 0, v3, vcc_lo
	v_cmp_gt_i32_e32 vcc_lo, s23, v23
	v_cndmask_b32_e32 v38, 0, v38, vcc_lo
.LBB88_39:                              ;   in Loop: Header=BB88_33 Depth=1
	s_or_b32 exec_lo, exec_lo, s6
	v_lshlrev_b32_e32 v40, 16, v40
	v_lshlrev_b32_e32 v39, 16, v39
	;; [unrolled: 1-line block ×3, first 2 shown]
	v_and_or_b32 v1, 0xffff, v1, v40
	v_and_or_b32 v2, 0xffff, v2, v39
	;; [unrolled: 1-line block ×3, first 2 shown]
	;;#ASMSTART
	v_pk_mul_f16 v1, v31, v1;

	;;#ASMEND
	;;#ASMSTART
	v_pk_mul_f16 v2, v30, v2;

	;;#ASMEND
	;; [unrolled: 4-line block ×4, first 2 shown]
	;;#ASMSTART
	v_pk_add_f16 v1, v1, v2;

	;;#ASMEND
	;;#ASMSTART
	v_pk_add_f16 v1, v1, v3;

	;;#ASMEND
	;; [unrolled: 4-line block ×3, first 2 shown]
	v_and_b32_e32 v2, 0xffff, v1
	v_lshrrev_b32_e32 v1, 16, v1
	;;#ASMSTART
	v_cvt_f32_f16 v38, v2;
	;;#ASMEND
	;;#ASMSTART
	v_cvt_f32_f16 v39, v1;
	;;#ASMEND
	global_load_dwordx4 v[1:4], v[8:9], off offset:1536
	s_waitcnt vmcnt(0)
	v_lshrrev_b32_e32 v42, 16, v1
	v_lshrrev_b32_e32 v41, 16, v2
	;; [unrolled: 1-line block ×3, first 2 shown]
	s_and_saveexec_b32 s6, s0
	s_cbranch_execz .LBB88_41
; %bb.40:                               ;   in Loop: Header=BB88_33 Depth=1
	v_cmp_gt_i32_e32 vcc_lo, s23, v27
	v_and_b32_e32 v43, 0xffff0000, v4
	v_cmp_gt_i32_e64 s1, s23, v26
	v_cndmask_b32_e32 v1, 0, v1, vcc_lo
	v_cmp_gt_i32_e32 vcc_lo, s23, v29
	v_cndmask_b32_e64 v2, 0, v2, s1
	v_cmp_gt_i32_e64 s1, s23, v25
	v_cndmask_b32_e32 v42, 0, v42, vcc_lo
	v_cmp_gt_i32_e32 vcc_lo, s23, v28
	v_cndmask_b32_e64 v41, 0, v41, s1
	v_cndmask_b32_sdwa v4, v18, v4, vcc_lo dst_sel:DWORD dst_unused:UNUSED_PAD src0_sel:DWORD src1_sel:WORD_0
	v_cmp_gt_i32_e32 vcc_lo, s23, v21
	v_cndmask_b32_e32 v43, 0, v43, vcc_lo
	v_cmp_gt_i32_e32 vcc_lo, s23, v24
	v_or_b32_e32 v4, v4, v43
	v_cndmask_b32_e32 v3, 0, v3, vcc_lo
	v_cmp_gt_i32_e32 vcc_lo, s23, v23
	v_cndmask_b32_e32 v40, 0, v40, vcc_lo
.LBB88_41:                              ;   in Loop: Header=BB88_33 Depth=1
	s_or_b32 exec_lo, exec_lo, s6
	v_lshlrev_b32_e32 v42, 16, v42
	v_lshlrev_b32_e32 v41, 16, v41
	;; [unrolled: 1-line block ×3, first 2 shown]
	v_add_co_u32 v8, vcc_lo, 0x800, v8
	v_and_or_b32 v1, 0xffff, v1, v42
	v_and_or_b32 v2, 0xffff, v2, v41
	;; [unrolled: 1-line block ×3, first 2 shown]
	;;#ASMSTART
	v_pk_mul_f16 v1, v31, v1;

	;;#ASMEND
	v_add_co_ci_u32_e64 v9, null, 0, v9, vcc_lo
	;;#ASMSTART
	v_pk_mul_f16 v2, v30, v2;

	;;#ASMEND
	;;#ASMSTART
	v_pk_mul_f16 v3, v32, v3;

	;;#ASMEND
	;; [unrolled: 4-line block ×3, first 2 shown]
	;;#ASMSTART
	v_pk_add_f16 v1, v1, v2;

	;;#ASMEND
	;;#ASMSTART
	v_pk_add_f16 v1, v1, v3;

	;;#ASMEND
	;; [unrolled: 4-line block ×3, first 2 shown]
	v_lshrrev_b32_e32 v2, 16, v1
	v_and_b32_e32 v1, 0xffff, v1
	;;#ASMSTART
	v_cvt_f32_f16 v40, v1;
	;;#ASMEND
	;;#ASMSTART
	v_cvt_f32_f16 v41, v2;
	;;#ASMEND
	global_load_dwordx4 v[1:4], v[8:9], off
	s_waitcnt vmcnt(0)
	v_lshrrev_b32_e32 v44, 16, v1
	v_lshrrev_b32_e32 v43, 16, v2
	;; [unrolled: 1-line block ×3, first 2 shown]
	s_and_saveexec_b32 s6, s0
	s_cbranch_execz .LBB88_43
; %bb.42:                               ;   in Loop: Header=BB88_33 Depth=1
	v_cmp_gt_i32_e32 vcc_lo, s23, v27
	v_and_b32_e32 v45, 0xffff0000, v4
	v_cmp_gt_i32_e64 s1, s23, v26
	v_cndmask_b32_e32 v1, 0, v1, vcc_lo
	v_cmp_gt_i32_e32 vcc_lo, s23, v29
	v_cndmask_b32_e64 v2, 0, v2, s1
	v_cmp_gt_i32_e64 s1, s23, v25
	v_cndmask_b32_e32 v44, 0, v44, vcc_lo
	v_cmp_gt_i32_e32 vcc_lo, s23, v28
	v_cndmask_b32_e64 v43, 0, v43, s1
	v_cndmask_b32_sdwa v4, v18, v4, vcc_lo dst_sel:DWORD dst_unused:UNUSED_PAD src0_sel:DWORD src1_sel:WORD_0
	v_cmp_gt_i32_e32 vcc_lo, s23, v21
	v_cndmask_b32_e32 v45, 0, v45, vcc_lo
	v_cmp_gt_i32_e32 vcc_lo, s23, v24
	v_or_b32_e32 v4, v4, v45
	v_cndmask_b32_e32 v3, 0, v3, vcc_lo
	v_cmp_gt_i32_e32 vcc_lo, s23, v23
	v_cndmask_b32_e32 v42, 0, v42, vcc_lo
.LBB88_43:                              ;   in Loop: Header=BB88_33 Depth=1
	s_or_b32 exec_lo, exec_lo, s6
	v_lshlrev_b32_e32 v44, 16, v44
	v_lshlrev_b32_e32 v43, 16, v43
	;; [unrolled: 1-line block ×3, first 2 shown]
	v_and_or_b32 v1, 0xffff, v1, v44
	v_and_or_b32 v2, 0xffff, v2, v43
	;; [unrolled: 1-line block ×3, first 2 shown]
	;;#ASMSTART
	v_pk_mul_f16 v1, v31, v1;

	;;#ASMEND
	;;#ASMSTART
	v_pk_mul_f16 v2, v30, v2;

	;;#ASMEND
	;; [unrolled: 4-line block ×4, first 2 shown]
	;;#ASMSTART
	v_pk_add_f16 v1, v1, v2;

	;;#ASMEND
	;;#ASMSTART
	v_pk_add_f16 v1, v1, v3;

	;;#ASMEND
	;; [unrolled: 4-line block ×3, first 2 shown]
	v_and_b32_e32 v2, 0xffff, v1
	v_lshrrev_b32_e32 v1, 16, v1
	;;#ASMSTART
	v_cvt_f32_f16 v42, v2;
	;;#ASMEND
	;;#ASMSTART
	v_cvt_f32_f16 v43, v1;
	;;#ASMEND
	global_load_dwordx4 v[1:4], v[8:9], off offset:512
	s_waitcnt vmcnt(0)
	v_lshrrev_b32_e32 v44, 16, v1
	v_lshrrev_b32_e32 v9, 16, v2
	;; [unrolled: 1-line block ×3, first 2 shown]
	s_and_saveexec_b32 s1, s0
	s_cbranch_execz .LBB88_32
; %bb.44:                               ;   in Loop: Header=BB88_33 Depth=1
	v_cmp_gt_i32_e32 vcc_lo, s23, v27
	v_cmp_gt_i32_e64 s0, s23, v26
	v_cndmask_b32_e32 v1, 0, v1, vcc_lo
	v_cmp_gt_i32_e32 vcc_lo, s23, v29
	v_cndmask_b32_e64 v2, 0, v2, s0
	v_cmp_gt_i32_e64 s0, s23, v25
	v_and_b32_e32 v25, 0xffff0000, v4
	v_cndmask_b32_e32 v44, 0, v44, vcc_lo
	v_cmp_gt_i32_e32 vcc_lo, s23, v28
	v_cndmask_b32_e64 v9, 0, v9, s0
	v_cndmask_b32_sdwa v4, v18, v4, vcc_lo dst_sel:DWORD dst_unused:UNUSED_PAD src0_sel:DWORD src1_sel:WORD_0
	v_cmp_gt_i32_e32 vcc_lo, s23, v21
	v_cndmask_b32_e32 v25, 0, v25, vcc_lo
	v_cmp_gt_i32_e32 vcc_lo, s23, v24
	v_or_b32_e32 v4, v4, v25
	v_cndmask_b32_e32 v3, 0, v3, vcc_lo
	v_cmp_gt_i32_e32 vcc_lo, s23, v23
	v_cndmask_b32_e32 v8, 0, v8, vcc_lo
	s_branch .LBB88_32
.LBB88_45:
	s_or_b32 exec_lo, exec_lo, s4
.LBB88_46:
	s_or_b32 exec_lo, exec_lo, s3
	v_lshl_add_u32 v2, v11, 2, 0x1a0
	v_and_b32_e32 v3, 0x3c0, v0
	s_mov_b32 s0, exec_lo
	s_waitcnt_vscnt null, 0x0
	s_barrier
	v_mad_u32_u24 v1, 0x300, v10, v2
	buffer_gl0_inv
	v_cmpx_eq_u32_e32 64, v3
	s_cbranch_execz .LBB88_48
; %bb.47:
	v_add_nc_u32_e32 v3, 0xfffffa00, v1
	v_add_nc_u32_e32 v4, 0xfffffa80, v1
	;; [unrolled: 1-line block ×5, first 2 shown]
	ds_write_b32 v3, v17
	v_add_nc_u32_e32 v3, 0xfffffc80, v1
	ds_write_b32 v4, v16
	ds_write_b32 v5, v15
	;; [unrolled: 1-line block ×5, first 2 shown]
.LBB88_48:
	s_or_b32 exec_lo, exec_lo, s0
	s_mov_b32 s0, exec_lo
	s_waitcnt lgkmcnt(0)
	s_barrier
	buffer_gl0_inv
	v_cmpx_gt_u32_e32 64, v0
	s_cbranch_execz .LBB88_50
; %bb.49:
	ds_read2_b32 v[3:4], v1 offset1:32
	ds_read2_b32 v[5:6], v1 offset0:64 offset1:96
	ds_read2_b32 v[7:8], v1 offset0:128 offset1:160
	s_waitcnt lgkmcnt(2)
	v_add_f32_e32 v17, v17, v3
	v_add_f32_e32 v16, v16, v4
	s_waitcnt lgkmcnt(1)
	v_add_f32_e32 v15, v15, v5
	v_add_f32_e32 v14, v14, v6
	;; [unrolled: 3-line block ×3, first 2 shown]
.LBB88_50:
	s_or_b32 exec_lo, exec_lo, s0
	v_and_b32_e32 v3, 0x3e0, v0
	s_mov_b32 s0, exec_lo
	s_barrier
	buffer_gl0_inv
	v_cmpx_eq_u32_e32 32, v3
	s_cbranch_execz .LBB88_52
; %bb.51:
	ds_write2_b32 v2, v17, v16 offset1:32
	ds_write2_b32 v2, v15, v14 offset0:64 offset1:96
	ds_write2_b32 v2, v13, v12 offset0:128 offset1:160
.LBB88_52:
	s_or_b32 exec_lo, exec_lo, s0
	v_cmp_gt_u32_e32 vcc_lo, 32, v0
	s_waitcnt lgkmcnt(0)
	s_barrier
	buffer_gl0_inv
	s_and_saveexec_b32 s0, vcc_lo
	s_cbranch_execz .LBB88_54
; %bb.53:
	ds_read2_b32 v[2:3], v1 offset1:32
	ds_read2_b32 v[4:5], v1 offset0:64 offset1:96
	ds_read2_b32 v[6:7], v1 offset0:128 offset1:160
	s_waitcnt lgkmcnt(2)
	v_add_f32_e32 v17, v17, v2
	v_add_f32_e32 v16, v16, v3
	s_waitcnt lgkmcnt(1)
	v_add_f32_e32 v15, v15, v4
	v_add_f32_e32 v14, v14, v5
	;; [unrolled: 3-line block ×3, first 2 shown]
.LBB88_54:
	s_or_b32 exec_lo, exec_lo, s0
	s_barrier
	buffer_gl0_inv
	s_and_saveexec_b32 s0, vcc_lo
	s_cbranch_execz .LBB88_56
; %bb.55:
	s_mul_i32 s0, s2, 0xc0
	s_mul_i32 s2, s7, s10
	s_ashr_i32 s1, s0, 31
	v_lshlrev_b32_e32 v0, 1, v0
	s_lshl_b64 s[0:1], s[0:1], 1
	;;#ASMSTART
	v_cvt_f16_f32 v1, v17;

	;;#ASMEND
	s_add_u32 s4, s20, s0
	s_addc_u32 s5, s21, s1
	s_ashr_i32 s3, s2, 31
	s_lshl_b64 s[0:1], s[2:3], 1
	s_mul_i32 s2, s8, 0xc0
	s_add_u32 s4, s4, s0
	s_addc_u32 s5, s5, s1
	s_ashr_i32 s3, s2, 31
	s_lshl_b64 s[0:1], s[2:3], 1
	s_add_u32 s0, s4, s0
	s_addc_u32 s1, s5, s1
	global_store_short v0, v1, s[0:1]
	;;#ASMSTART
	v_cvt_f16_f32 v1, v16;

	;;#ASMEND
	global_store_short v0, v1, s[0:1] offset:64
	;;#ASMSTART
	v_cvt_f16_f32 v1, v15;

	;;#ASMEND
	global_store_short v0, v1, s[0:1] offset:128
	;; [unrolled: 5-line block ×5, first 2 shown]
.LBB88_56:
	s_endpgm
	.section	.rodata,"a",@progbits
	.p2align	6, 0x0
	.amdhsa_kernel _ZN4vllm25paged_attention_v2_kernelIttLi192ELi8ELi128ELNS_18Fp8KVCacheDataTypeE0ELb0ELi512EEEvPfS2_PT_PKS3_PKT0_S9_ifPKiSB_iPKfiiiSD_SD_iiiii
		.amdhsa_group_segment_fixed_size 416
		.amdhsa_private_segment_fixed_size 0
		.amdhsa_kernarg_size 400
		.amdhsa_user_sgpr_count 6
		.amdhsa_user_sgpr_private_segment_buffer 1
		.amdhsa_user_sgpr_dispatch_ptr 0
		.amdhsa_user_sgpr_queue_ptr 0
		.amdhsa_user_sgpr_kernarg_segment_ptr 1
		.amdhsa_user_sgpr_dispatch_id 0
		.amdhsa_user_sgpr_flat_scratch_init 0
		.amdhsa_user_sgpr_private_segment_size 0
		.amdhsa_wavefront_size32 1
		.amdhsa_uses_dynamic_stack 0
		.amdhsa_system_sgpr_private_segment_wavefront_offset 0
		.amdhsa_system_sgpr_workgroup_id_x 1
		.amdhsa_system_sgpr_workgroup_id_y 1
		.amdhsa_system_sgpr_workgroup_id_z 1
		.amdhsa_system_sgpr_workgroup_info 0
		.amdhsa_system_vgpr_workitem_id 0
		.amdhsa_next_free_vgpr 88
		.amdhsa_next_free_sgpr 36
		.amdhsa_reserve_vcc 1
		.amdhsa_reserve_flat_scratch 0
		.amdhsa_float_round_mode_32 0
		.amdhsa_float_round_mode_16_64 0
		.amdhsa_float_denorm_mode_32 3
		.amdhsa_float_denorm_mode_16_64 3
		.amdhsa_dx10_clamp 1
		.amdhsa_ieee_mode 1
		.amdhsa_fp16_overflow 0
		.amdhsa_workgroup_processor_mode 1
		.amdhsa_memory_ordered 1
		.amdhsa_forward_progress 1
		.amdhsa_shared_vgpr_count 0
		.amdhsa_exception_fp_ieee_invalid_op 0
		.amdhsa_exception_fp_denorm_src 0
		.amdhsa_exception_fp_ieee_div_zero 0
		.amdhsa_exception_fp_ieee_overflow 0
		.amdhsa_exception_fp_ieee_underflow 0
		.amdhsa_exception_fp_ieee_inexact 0
		.amdhsa_exception_int_div_zero 0
	.end_amdhsa_kernel
	.section	.text._ZN4vllm25paged_attention_v2_kernelIttLi192ELi8ELi128ELNS_18Fp8KVCacheDataTypeE0ELb0ELi512EEEvPfS2_PT_PKS3_PKT0_S9_ifPKiSB_iPKfiiiSD_SD_iiiii,"axG",@progbits,_ZN4vllm25paged_attention_v2_kernelIttLi192ELi8ELi128ELNS_18Fp8KVCacheDataTypeE0ELb0ELi512EEEvPfS2_PT_PKS3_PKT0_S9_ifPKiSB_iPKfiiiSD_SD_iiiii,comdat
.Lfunc_end88:
	.size	_ZN4vllm25paged_attention_v2_kernelIttLi192ELi8ELi128ELNS_18Fp8KVCacheDataTypeE0ELb0ELi512EEEvPfS2_PT_PKS3_PKT0_S9_ifPKiSB_iPKfiiiSD_SD_iiiii, .Lfunc_end88-_ZN4vllm25paged_attention_v2_kernelIttLi192ELi8ELi128ELNS_18Fp8KVCacheDataTypeE0ELb0ELi512EEEvPfS2_PT_PKS3_PKT0_S9_ifPKiSB_iPKfiiiSD_SD_iiiii
                                        ; -- End function
	.set _ZN4vllm25paged_attention_v2_kernelIttLi192ELi8ELi128ELNS_18Fp8KVCacheDataTypeE0ELb0ELi512EEEvPfS2_PT_PKS3_PKT0_S9_ifPKiSB_iPKfiiiSD_SD_iiiii.num_vgpr, 88
	.set _ZN4vllm25paged_attention_v2_kernelIttLi192ELi8ELi128ELNS_18Fp8KVCacheDataTypeE0ELb0ELi512EEEvPfS2_PT_PKS3_PKT0_S9_ifPKiSB_iPKfiiiSD_SD_iiiii.num_agpr, 0
	.set _ZN4vllm25paged_attention_v2_kernelIttLi192ELi8ELi128ELNS_18Fp8KVCacheDataTypeE0ELb0ELi512EEEvPfS2_PT_PKS3_PKT0_S9_ifPKiSB_iPKfiiiSD_SD_iiiii.numbered_sgpr, 36
	.set _ZN4vllm25paged_attention_v2_kernelIttLi192ELi8ELi128ELNS_18Fp8KVCacheDataTypeE0ELb0ELi512EEEvPfS2_PT_PKS3_PKT0_S9_ifPKiSB_iPKfiiiSD_SD_iiiii.num_named_barrier, 0
	.set _ZN4vllm25paged_attention_v2_kernelIttLi192ELi8ELi128ELNS_18Fp8KVCacheDataTypeE0ELb0ELi512EEEvPfS2_PT_PKS3_PKT0_S9_ifPKiSB_iPKfiiiSD_SD_iiiii.private_seg_size, 0
	.set _ZN4vllm25paged_attention_v2_kernelIttLi192ELi8ELi128ELNS_18Fp8KVCacheDataTypeE0ELb0ELi512EEEvPfS2_PT_PKS3_PKT0_S9_ifPKiSB_iPKfiiiSD_SD_iiiii.uses_vcc, 1
	.set _ZN4vllm25paged_attention_v2_kernelIttLi192ELi8ELi128ELNS_18Fp8KVCacheDataTypeE0ELb0ELi512EEEvPfS2_PT_PKS3_PKT0_S9_ifPKiSB_iPKfiiiSD_SD_iiiii.uses_flat_scratch, 0
	.set _ZN4vllm25paged_attention_v2_kernelIttLi192ELi8ELi128ELNS_18Fp8KVCacheDataTypeE0ELb0ELi512EEEvPfS2_PT_PKS3_PKT0_S9_ifPKiSB_iPKfiiiSD_SD_iiiii.has_dyn_sized_stack, 0
	.set _ZN4vllm25paged_attention_v2_kernelIttLi192ELi8ELi128ELNS_18Fp8KVCacheDataTypeE0ELb0ELi512EEEvPfS2_PT_PKS3_PKT0_S9_ifPKiSB_iPKfiiiSD_SD_iiiii.has_recursion, 0
	.set _ZN4vllm25paged_attention_v2_kernelIttLi192ELi8ELi128ELNS_18Fp8KVCacheDataTypeE0ELb0ELi512EEEvPfS2_PT_PKS3_PKT0_S9_ifPKiSB_iPKfiiiSD_SD_iiiii.has_indirect_call, 0
	.section	.AMDGPU.csdata,"",@progbits
; Kernel info:
; codeLenInByte = 8888
; TotalNumSgprs: 38
; NumVgprs: 88
; ScratchSize: 0
; MemoryBound: 0
; FloatMode: 240
; IeeeMode: 1
; LDSByteSize: 416 bytes/workgroup (compile time only)
; SGPRBlocks: 0
; VGPRBlocks: 10
; NumSGPRsForWavesPerEU: 38
; NumVGPRsForWavesPerEU: 88
; Occupancy: 10
; WaveLimiterHint : 1
; COMPUTE_PGM_RSRC2:SCRATCH_EN: 0
; COMPUTE_PGM_RSRC2:USER_SGPR: 6
; COMPUTE_PGM_RSRC2:TRAP_HANDLER: 0
; COMPUTE_PGM_RSRC2:TGID_X_EN: 1
; COMPUTE_PGM_RSRC2:TGID_Y_EN: 1
; COMPUTE_PGM_RSRC2:TGID_Z_EN: 1
; COMPUTE_PGM_RSRC2:TIDIG_COMP_CNT: 0
	.section	.text._ZN4vllm25paged_attention_v2_kernelIttLi256ELi8ELi128ELNS_18Fp8KVCacheDataTypeE0ELb0ELi512EEEvPfS2_PT_PKS3_PKT0_S9_ifPKiSB_iPKfiiiSD_SD_iiiii,"axG",@progbits,_ZN4vllm25paged_attention_v2_kernelIttLi256ELi8ELi128ELNS_18Fp8KVCacheDataTypeE0ELb0ELi512EEEvPfS2_PT_PKS3_PKT0_S9_ifPKiSB_iPKfiiiSD_SD_iiiii,comdat
	.protected	_ZN4vllm25paged_attention_v2_kernelIttLi256ELi8ELi128ELNS_18Fp8KVCacheDataTypeE0ELb0ELi512EEEvPfS2_PT_PKS3_PKT0_S9_ifPKiSB_iPKfiiiSD_SD_iiiii ; -- Begin function _ZN4vllm25paged_attention_v2_kernelIttLi256ELi8ELi128ELNS_18Fp8KVCacheDataTypeE0ELb0ELi512EEEvPfS2_PT_PKS3_PKT0_S9_ifPKiSB_iPKfiiiSD_SD_iiiii
	.globl	_ZN4vllm25paged_attention_v2_kernelIttLi256ELi8ELi128ELNS_18Fp8KVCacheDataTypeE0ELb0ELi512EEEvPfS2_PT_PKS3_PKT0_S9_ifPKiSB_iPKfiiiSD_SD_iiiii
	.p2align	8
	.type	_ZN4vllm25paged_attention_v2_kernelIttLi256ELi8ELi128ELNS_18Fp8KVCacheDataTypeE0ELb0ELi512EEEvPfS2_PT_PKS3_PKT0_S9_ifPKiSB_iPKfiiiSD_SD_iiiii,@function
_ZN4vllm25paged_attention_v2_kernelIttLi256ELi8ELi128ELNS_18Fp8KVCacheDataTypeE0ELb0ELi512EEEvPfS2_PT_PKS3_PKT0_S9_ifPKiSB_iPKfiiiSD_SD_iiiii: ; @_ZN4vllm25paged_attention_v2_kernelIttLi256ELi8ELi128ELNS_18Fp8KVCacheDataTypeE0ELb0ELi512EEEvPfS2_PT_PKS3_PKT0_S9_ifPKiSB_iPKfiiiSD_SD_iiiii
; %bb.0:
	s_load_dwordx2 s[0:1], s[4:5], 0x40
	s_mov_b32 s22, s7
	s_ashr_i32 s23, s7, 31
	s_lshl_b64 s[2:3], s[22:23], 2
	s_waitcnt lgkmcnt(0)
	s_add_u32 s0, s0, s2
	s_addc_u32 s1, s1, s3
	s_lshl_b32 s33, s8, 9
	s_load_dword s23, s[0:1], 0x0
	s_waitcnt lgkmcnt(0)
	s_cmp_ge_i32 s33, s23
	s_cbranch_scc1 .LBB89_60
; %bb.1:
	s_clause 0x1
	s_load_dword s9, s[4:5], 0x90
	s_load_dwordx2 s[30:31], s[4:5], 0x30
	s_mov_b32 s34, 0
	s_waitcnt lgkmcnt(0)
	s_abs_i32 s3, s9
	s_abs_i32 s0, s30
	v_cvt_f32_u32_e32 v1, s0
	s_sub_i32 s2, 0, s0
	v_rcp_iflag_f32_e32 v1, v1
	v_mul_f32_e32 v1, 0x4f7ffffe, v1
	v_cvt_u32_f32_e32 v1, v1
	v_readfirstlane_b32 s1, v1
	s_mul_i32 s2, s2, s1
	s_mul_hi_u32 s2, s1, s2
	s_add_i32 s1, s1, s2
	s_xor_b32 s2, s9, s30
	s_mul_hi_u32 s1, s3, s1
	s_ashr_i32 s2, s2, 31
	s_mul_i32 s7, s1, s0
	s_sub_i32 s3, s3, s7
	s_add_i32 s7, s1, 1
	s_sub_i32 s10, s3, s0
	s_cmp_ge_u32 s3, s0
	s_cselect_b32 s1, s7, s1
	s_cselect_b32 s3, s10, s3
	s_add_i32 s7, s1, 1
	s_cmp_ge_u32 s3, s0
	s_cselect_b32 s0, s7, s1
	s_abs_i32 s16, s6
	s_xor_b32 s0, s0, s2
	s_sub_i32 s10, s0, s2
	s_load_dwordx2 s[0:1], s[4:5], 0x50
	s_abs_i32 s2, s10
	v_cvt_f32_u32_e32 v1, s2
	s_sub_i32 s7, 0, s2
	v_rcp_iflag_f32_e32 v1, v1
	v_mul_f32_e32 v1, 0x4f7ffffe, v1
	v_cvt_u32_f32_e32 v1, v1
	v_readfirstlane_b32 s3, v1
	s_mul_i32 s7, s7, s3
	s_mul_hi_u32 s7, s3, s7
	s_add_i32 s3, s3, s7
	s_waitcnt lgkmcnt(0)
	s_cmp_eq_u64 s[0:1], 0
	s_mul_hi_u32 s3, s16, s3
	s_cbranch_scc1 .LBB89_3
; %bb.2:
	s_ashr_i32 s7, s6, 31
	s_lshl_b64 s[12:13], s[6:7], 2
	s_add_u32 s0, s0, s12
	s_addc_u32 s1, s1, s13
	s_load_dword s34, s[0:1], 0x0
.LBB89_3:
	s_load_dwordx4 s[12:15], s[4:5], 0x58
	v_and_b32_e32 v1, 3, v0
	v_lshlrev_b32_e32 v2, 2, v0
	s_ashr_i32 s0, s6, 31
	s_ashr_i32 s1, s10, 31
	s_lshl_b32 s10, s6, 8
	s_mov_b32 s7, exec_lo
	v_cmpx_gt_u32_e32 0x80, v0
	s_cbranch_execz .LBB89_5
; %bb.4:
	s_load_dwordx2 s[18:19], s[4:5], 0x18
	s_waitcnt lgkmcnt(0)
	s_mul_i32 s20, s12, s22
	v_and_b32_e32 v4, 0x3fc, v0
	s_ashr_i32 s21, s20, 31
	s_lshl_b64 s[20:21], s[20:21], 1
	v_lshl_add_u32 v4, v1, 7, v4
	s_add_u32 s12, s18, s20
	s_addc_u32 s15, s19, s21
	s_ashr_i32 s11, s10, 31
	s_lshl_b64 s[18:19], s[10:11], 1
	s_add_u32 s18, s12, s18
	s_addc_u32 s19, s15, s19
	global_load_dword v3, v2, s[18:19]
	s_waitcnt vmcnt(0)
	ds_write_b32 v4, v3
.LBB89_5:
	s_or_b32 exec_lo, exec_lo, s7
	s_add_i32 s7, s23, 7
	s_load_dwordx2 s[24:25], s[4:5], 0x38
	s_waitcnt lgkmcnt(0)
	s_load_dword s15, s[4:5], 0x48
	s_ashr_i32 s11, s7, 31
	s_lshl_b32 s30, s8, 6
	s_lshr_b32 s11, s11, 29
	s_xor_b32 s0, s0, s1
	s_add_i32 s7, s7, s11
	s_add_i32 s1, s30, 64
	s_ashr_i32 s12, s7, 3
	s_mul_i32 s7, s3, s2
	s_min_i32 s11, s1, s12
	s_sub_i32 s1, s16, s7
	s_add_i32 s7, s3, 1
	s_sub_i32 s16, s1, s2
	s_cmp_ge_u32 s1, s2
	v_lshrrev_b32_e32 v10, 5, v0
	s_cselect_b32 s3, s7, s3
	s_cselect_b32 s1, s16, s1
	s_add_i32 s7, s3, 1
	s_cmp_ge_u32 s1, s2
	v_or_b32_e32 v5, s30, v10
	s_cselect_b32 s1, s7, s3
	v_mbcnt_lo_u32_b32 v4, -1, 0
	s_xor_b32 s1, s1, s0
	s_waitcnt lgkmcnt(0)
	s_mul_i32 s26, s15, s22
	s_sub_i32 s1, s1, s0
	v_cmp_gt_i32_e64 s0, s11, v5
	s_ashr_i32 s27, s26, 31
	s_mov_b32 s2, exec_lo
	s_barrier
	buffer_gl0_inv
                                        ; implicit-def: $vgpr7
                                        ; implicit-def: $vgpr8
	v_cmpx_le_i32_e64 s11, v5
	s_xor_b32 s2, exec_lo, s2
; %bb.6:
	v_mov_b32_e32 v7, 0
	v_mbcnt_lo_u32_b32 v4, -1, 0
	v_mov_b32_e32 v8, 32
                                        ; implicit-def: $vgpr2
                                        ; implicit-def: $vgpr1
; %bb.7:
	s_or_saveexec_b32 s35, s2
	s_clause 0x3
	s_load_dwordx4 s[16:19], s[4:5], 0x0
	s_load_dwordx2 s[20:21], s[4:5], 0x10
	s_load_dwordx2 s[28:29], s[4:5], 0x28
	s_load_dword s7, s[4:5], 0x98
	v_mov_b32_e32 v9, 0xff7fffff
	v_ashrrev_i32_e32 v6, 31, v5
	v_lshlrev_b32_e32 v3, 3, v10
	s_mul_i32 s14, s1, s14
	s_xor_b32 exec_lo, exec_lo, s35
	s_cbranch_execz .LBB89_13
; %bb.8:
	s_load_dwordx2 s[2:3], s[4:5], 0x20
	v_bfe_u32 v8, v0, 2, 3
	s_ashr_i32 s15, s14, 31
	v_and_b32_e32 v14, 12, v2
	s_lshl_b64 s[4:5], s[14:15], 1
	v_lshlrev_b32_e32 v11, 7, v1
	v_lshlrev_b32_e32 v9, 2, v8
	;; [unrolled: 1-line block ×3, first 2 shown]
	v_add3_u32 v12, s33, v3, v8
	v_cmp_eq_u32_e32 vcc_lo, 0, v1
	v_lshlrev_b64 v[1:2], 2, v[5:6]
	v_lshl_or_b32 v9, v10, 5, v9
	v_mov_b32_e32 v7, 0
	v_cmp_neq_f32_e64 s1, s34, 0
	v_xor_b32_e32 v16, 2, v4
	v_xor_b32_e32 v17, 1, v4
	v_add_nc_u32_e32 v13, 0x220, v9
	v_mov_b32_e32 v18, v5
	s_waitcnt lgkmcnt(0)
	s_add_u32 s15, s2, s4
	s_addc_u32 s5, s3, s5
	v_add_co_u32 v8, s15, s15, v15
	v_add_co_ci_u32_e64 v9, null, s5, 0, s15
	s_lshl_b64 s[2:3], s[26:27], 2
	s_sub_i32 s4, 1, s23
	s_add_u32 s5, s24, s2
	v_add_co_u32 v14, s2, v8, v14
	s_addc_u32 s3, s25, s3
	v_add_co_ci_u32_e64 v15, null, 0, v9, s2
	v_add_co_u32 v1, s2, s5, v1
	v_add_co_ci_u32_e64 v2, null, s3, v2, s2
	v_mov_b32_e32 v9, 0xff7fffff
	v_mov_b32_e32 v8, 32
	s_mov_b32 s15, s13
	s_mov_b32 s5, 0
	s_branch .LBB89_10
.LBB89_9:                               ;   in Loop: Header=BB89_10 Depth=1
	s_or_b32 exec_lo, exec_lo, s3
	v_add_nc_u32_e32 v18, 4, v18
	v_add_co_u32 v1, s3, v1, 16
	v_add_nc_u32_e32 v12, 32, v12
	v_add_nc_u32_e32 v13, 0x80, v13
	v_cmp_le_i32_e64 s2, s11, v18
	v_add_co_ci_u32_e64 v2, null, 0, v2, s3
	s_or_b32 s5, s2, s5
	s_andn2_b32 exec_lo, exec_lo, s5
	s_cbranch_execz .LBB89_12
.LBB89_10:                              ; =>This Inner Loop Header: Depth=1
	global_load_dword v19, v[1:2], off
	s_waitcnt vmcnt(0) lgkmcnt(0)
	v_mad_i64_i32 v[19:20], null, v19, s15, 0
	v_lshlrev_b64 v[19:20], 1, v[19:20]
	v_add_co_u32 v19, s2, v14, v19
	v_add_co_ci_u32_e64 v20, null, v15, v20, s2
	s_clause 0xa
	global_load_dword v21, v[19:20], off
	global_load_dword v44, v[19:20], off offset:128
	global_load_dword v49, v[19:20], off offset:256
	;; [unrolled: 1-line block ×10, first 2 shown]
	v_add_co_u32 v39, s2, 0x800, v19
	ds_read_b32 v22, v11
	v_add_co_ci_u32_e64 v40, null, 0, v20, s2
	s_clause 0xc
	global_load_dword v31, v[19:20], off offset:1408
	global_load_dword v33, v[19:20], off offset:1536
	;; [unrolled: 1-line block ×5, first 2 shown]
	global_load_dword v36, v[39:40], off
	global_load_dword v35, v[39:40], off offset:128
	global_load_dword v34, v[39:40], off offset:256
	;; [unrolled: 1-line block ×7, first 2 shown]
	v_cmp_gt_i32_e64 s2, 32, v16
	s_waitcnt lgkmcnt(0)
	v_lshrrev_b32_e32 v42, 16, v22
	v_and_b32_e32 v45, 0xffff, v22
	s_waitcnt vmcnt(23)
	v_lshrrev_b32_e32 v53, 16, v21
	v_and_b32_e32 v47, 0xffff, v21
	s_clause 0x7
	global_load_dword v26, v[39:40], off offset:1024
	global_load_dword v25, v[39:40], off offset:1152
	global_load_dword v24, v[39:40], off offset:1280
	global_load_dword v23, v[39:40], off offset:1408
	global_load_dword v22, v[39:40], off offset:1536
	global_load_dword v21, v[39:40], off offset:1664
	global_load_dword v20, v[39:40], off offset:1792
	global_load_dword v19, v[39:40], off offset:1920
	;;#ASMSTART
	v_cvt_f32_f16 v39, v45;
	;;#ASMEND
	;;#ASMSTART
	v_cvt_f32_f16 v52, v42;
	;;#ASMEND
	;;#ASMSTART
	v_cvt_f32_f16 v42, v47;
	;;#ASMEND
	;;#ASMSTART
	v_cvt_f32_f16 v53, v53;
	;;#ASMEND
	ds_read_b32 v40, v11 offset:4
	s_waitcnt vmcnt(30)
	v_and_b32_e32 v47, 0xffff, v44
	v_lshrrev_b32_e32 v54, 16, v44
	s_waitcnt vmcnt(29)
	v_and_b32_e32 v60, 0xffff, v49
	v_lshrrev_b32_e32 v49, 16, v49
	s_waitcnt vmcnt(21)
	v_lshrrev_b32_e32 v86, 16, v43
	s_waitcnt vmcnt(20)
	;; [unrolled: 2-line block ×3, first 2 shown]
	v_lshrrev_b32_e32 v88, 16, v33
	s_waitcnt lgkmcnt(0)
	v_and_b32_e32 v45, 0xffff, v40
	v_lshrrev_b32_e32 v40, 16, v40
	;;#ASMSTART
	v_cvt_f32_f16 v44, v45;
	;;#ASMEND
	;;#ASMSTART
	v_cvt_f32_f16 v40, v40;
	;;#ASMEND
	;; [unrolled: 3-line block ×4, first 2 shown]
	ds_read_b32 v54, v11 offset:8
	s_waitcnt lgkmcnt(0)
	v_and_b32_e32 v58, 0xffff, v54
	v_lshrrev_b32_e32 v59, 16, v54
	;;#ASMSTART
	v_cvt_f32_f16 v54, v58;
	;;#ASMEND
	;;#ASMSTART
	v_cvt_f32_f16 v64, v59;
	;;#ASMEND
	;;#ASMSTART
	v_cvt_f32_f16 v67, v60;
	;;#ASMEND
	;;#ASMSTART
	v_cvt_f32_f16 v66, v49;
	;;#ASMEND
	ds_read_b32 v49, v11 offset:12
	v_and_b32_e32 v60, 0xffff, v50
	v_lshrrev_b32_e32 v50, 16, v50
	s_waitcnt lgkmcnt(0)
	v_and_b32_e32 v58, 0xffff, v49
	v_lshrrev_b32_e32 v49, 16, v49
	;;#ASMSTART
	v_cvt_f32_f16 v71, v58;
	;;#ASMEND
	;;#ASMSTART
	v_cvt_f32_f16 v59, v49;
	;;#ASMEND
	;;#ASMSTART
	v_cvt_f32_f16 v73, v60;
	;;#ASMEND
	;;#ASMSTART
	v_cvt_f32_f16 v62, v50;
	;;#ASMEND
	ds_read_b32 v49, v11 offset:16
	v_and_b32_e32 v58, 0xffff, v55
	v_lshrrev_b32_e32 v55, 16, v55
	;; [unrolled: 18-line block ×7, first 2 shown]
	s_waitcnt lgkmcnt(0)
	v_and_b32_e32 v48, 0xffff, v46
	v_lshrrev_b32_e32 v46, 16, v46
	;;#ASMSTART
	v_cvt_f32_f16 v55, v48;
	;;#ASMEND
	;;#ASMSTART
	v_cvt_f32_f16 v49, v46;
	;;#ASMEND
	;; [unrolled: 3-line block ×4, first 2 shown]
	ds_read_b32 v41, v11 offset:40
	v_and_b32_e32 v48, 0xffff, v43
	s_waitcnt lgkmcnt(0)
	v_and_b32_e32 v46, 0xffff, v41
	v_lshrrev_b32_e32 v41, 16, v41
	;;#ASMSTART
	v_cvt_f32_f16 v60, v46;
	;;#ASMEND
	;;#ASMSTART
	v_cvt_f32_f16 v43, v41;
	;;#ASMEND
	;; [unrolled: 3-line block ×4, first 2 shown]
	ds_read_b32 v41, v11 offset:44
	v_and_b32_e32 v86, 0xffff, v31
	v_mul_f32_e32 v31, v44, v47
	v_fmac_f32_e32 v31, v39, v42
	v_fmac_f32_e32 v31, v54, v67
	;; [unrolled: 1-line block ×3, first 2 shown]
	s_waitcnt lgkmcnt(0)
	v_and_b32_e32 v48, 0xffff, v41
	v_lshrrev_b32_e32 v41, 16, v41
	;;#ASMSTART
	v_cvt_f32_f16 v47, v48;
	;;#ASMEND
	;;#ASMSTART
	v_cvt_f32_f16 v41, v41;
	;;#ASMEND
	;; [unrolled: 3-line block ×4, first 2 shown]
	ds_read_b32 v86, v11 offset:48
	v_and_b32_e32 v87, 0xffff, v33
	v_mul_f32_e32 v33, v40, v45
	v_fmac_f32_e32 v31, v84, v85
	s_waitcnt vmcnt(15)
	v_and_b32_e32 v85, 0xffff, v36
	v_fmac_f32_e32 v33, v52, v53
	v_fmac_f32_e32 v31, v82, v83
	;; [unrolled: 1-line block ×6, first 2 shown]
	s_waitcnt lgkmcnt(0)
	v_and_b32_e32 v39, 0xffff, v86
	v_lshrrev_b32_e32 v86, 16, v86
	;;#ASMSTART
	v_cvt_f32_f16 v42, v39;
	;;#ASMEND
	;;#ASMSTART
	v_cvt_f32_f16 v39, v86;
	;;#ASMEND
	;; [unrolled: 3-line block ×4, first 2 shown]
	ds_read_b32 v86, v11 offset:52
	v_lshrrev_b32_e32 v87, 16, v51
	v_fmac_f32_e32 v33, v79, v81
	v_fmac_f32_e32 v31, v68, v69
	v_fmac_f32_e32 v33, v77, v80
	v_fmac_f32_e32 v31, v55, v56
	v_fmac_f32_e32 v33, v70, v72
	v_fmac_f32_e32 v31, v60, v61
	s_waitcnt vmcnt(7)
	v_and_b32_e32 v61, 0xffff, v26
	v_fmac_f32_e32 v33, v57, v58
	v_fmac_f32_e32 v31, v47, v48
	s_waitcnt lgkmcnt(0)
	v_and_b32_e32 v52, 0xffff, v86
	v_lshrrev_b32_e32 v53, 16, v86
	v_and_b32_e32 v86, 0xffff, v51
	;;#ASMSTART
	v_cvt_f32_f16 v51, v52;
	;;#ASMEND
	;;#ASMSTART
	v_cvt_f32_f16 v52, v53;
	;;#ASMEND
	;; [unrolled: 3-line block ×4, first 2 shown]
	ds_read_b32 v67, v11 offset:56
	v_lshrrev_b32_e32 v86, 16, v38
	v_lshrrev_b32_e32 v87, 16, v37
	v_fmac_f32_e32 v33, v63, v65
	v_fmac_f32_e32 v31, v42, v45
	;; [unrolled: 1-line block ×4, first 2 shown]
	s_waitcnt vmcnt(3)
	v_and_b32_e32 v51, 0xffff, v22
	v_fmac_f32_e32 v33, v43, v46
	v_fmac_f32_e32 v33, v41, v44
	s_waitcnt lgkmcnt(0)
	v_and_b32_e32 v64, 0xffff, v67
	v_lshrrev_b32_e32 v66, 16, v67
	v_and_b32_e32 v67, 0xffff, v38
	;;#ASMSTART
	v_cvt_f32_f16 v38, v64;
	;;#ASMEND
	;;#ASMSTART
	v_cvt_f32_f16 v64, v66;
	;;#ASMEND
	;; [unrolled: 3-line block ×4, first 2 shown]
	ds_read_b32 v86, v11 offset:60
	v_fmac_f32_e32 v33, v39, v40
	v_fmac_f32_e32 v31, v38, v66
	;; [unrolled: 1-line block ×3, first 2 shown]
	v_lshrrev_b32_e32 v52, 16, v22
	v_fmac_f32_e32 v33, v64, v67
	s_waitcnt lgkmcnt(0)
	v_and_b32_e32 v71, 0xffff, v86
	v_lshrrev_b32_e32 v73, 16, v86
	v_and_b32_e32 v86, 0xffff, v37
	;;#ASMSTART
	v_cvt_f32_f16 v37, v71;
	;;#ASMEND
	;;#ASMSTART
	v_cvt_f32_f16 v59, v73;
	;;#ASMEND
	;; [unrolled: 3-line block ×4, first 2 shown]
	ds_read_b32 v73, v11 offset:64
	v_lshrrev_b32_e32 v86, 16, v36
	v_lshrrev_b32_e32 v87, 16, v35
	v_fmac_f32_e32 v31, v37, v62
	v_fmac_f32_e32 v33, v59, v71
	s_waitcnt lgkmcnt(0)
	v_and_b32_e32 v84, 0xffff, v73
	v_lshrrev_b32_e32 v73, 16, v73
	;;#ASMSTART
	v_cvt_f32_f16 v36, v84;
	;;#ASMEND
	;;#ASMSTART
	v_cvt_f32_f16 v73, v73;
	;;#ASMEND
	;; [unrolled: 3-line block ×4, first 2 shown]
	ds_read_b32 v86, v11 offset:68
	v_fmac_f32_e32 v31, v36, v84
	v_fmac_f32_e32 v33, v73, v85
	s_waitcnt vmcnt(2)
	v_and_b32_e32 v36, 0xffff, v21
	s_waitcnt lgkmcnt(0)
	v_and_b32_e32 v79, 0xffff, v86
	v_lshrrev_b32_e32 v81, 16, v86
	v_and_b32_e32 v86, 0xffff, v35
	;;#ASMSTART
	v_cvt_f32_f16 v35, v79;
	;;#ASMEND
	;;#ASMSTART
	v_cvt_f32_f16 v79, v81;
	;;#ASMEND
	;;#ASMSTART
	v_cvt_f32_f16 v81, v86;
	;;#ASMEND
	;;#ASMSTART
	v_cvt_f32_f16 v82, v87;
	;;#ASMEND
	ds_read_b32 v83, v11 offset:72
	v_lshrrev_b32_e32 v86, 16, v34
	v_lshrrev_b32_e32 v87, 16, v32
	v_fmac_f32_e32 v31, v35, v81
	v_fmac_f32_e32 v33, v79, v82
	s_waitcnt lgkmcnt(0)
	v_and_b32_e32 v77, 0xffff, v83
	v_lshrrev_b32_e32 v80, 16, v83
	v_and_b32_e32 v83, 0xffff, v34
	;;#ASMSTART
	v_cvt_f32_f16 v34, v77;
	;;#ASMEND
	;;#ASMSTART
	v_cvt_f32_f16 v77, v80;
	;;#ASMEND
	;; [unrolled: 3-line block ×4, first 2 shown]
	ds_read_b32 v86, v11 offset:76
	v_fmac_f32_e32 v31, v34, v80
	v_fmac_f32_e32 v33, v77, v83
	v_lshrrev_b32_e32 v34, 16, v21
	s_waitcnt lgkmcnt(0)
	v_and_b32_e32 v75, 0xffff, v86
	v_lshrrev_b32_e32 v78, 16, v86
	v_and_b32_e32 v86, 0xffff, v32
	;;#ASMSTART
	v_cvt_f32_f16 v32, v75;
	;;#ASMEND
	;;#ASMSTART
	v_cvt_f32_f16 v70, v78;
	;;#ASMEND
	;;#ASMSTART
	v_cvt_f32_f16 v72, v86;
	;;#ASMEND
	;;#ASMSTART
	v_cvt_f32_f16 v75, v87;
	;;#ASMEND
	ds_read_b32 v78, v11 offset:80
	v_lshrrev_b32_e32 v86, 16, v30
	v_lshrrev_b32_e32 v87, 16, v29
	v_fmac_f32_e32 v31, v32, v72
	v_fmac_f32_e32 v33, v70, v75
	s_waitcnt lgkmcnt(0)
	v_and_b32_e32 v74, 0xffff, v78
	v_lshrrev_b32_e32 v76, 16, v78
	v_and_b32_e32 v78, 0xffff, v30
	;;#ASMSTART
	v_cvt_f32_f16 v30, v74;
	;;#ASMEND
	;;#ASMSTART
	v_cvt_f32_f16 v74, v76;
	;;#ASMEND
	;; [unrolled: 3-line block ×4, first 2 shown]
	ds_read_b32 v86, v11 offset:84
	v_fmac_f32_e32 v31, v30, v76
	v_fmac_f32_e32 v33, v74, v78
	s_waitcnt lgkmcnt(0)
	v_and_b32_e32 v57, 0xffff, v86
	v_lshrrev_b32_e32 v58, 16, v86
	v_and_b32_e32 v86, 0xffff, v29
	;;#ASMSTART
	v_cvt_f32_f16 v29, v57;
	;;#ASMEND
	;;#ASMSTART
	v_cvt_f32_f16 v57, v58;
	;;#ASMEND
	;; [unrolled: 3-line block ×4, first 2 shown]
	ds_read_b32 v69, v11 offset:88
	v_lshrrev_b32_e32 v86, 16, v28
	v_lshrrev_b32_e32 v87, 16, v27
	v_fmac_f32_e32 v31, v29, v58
	v_fmac_f32_e32 v33, v57, v68
	s_waitcnt vmcnt(1)
	v_and_b32_e32 v29, 0xffff, v20
	s_waitcnt lgkmcnt(0)
	v_and_b32_e32 v63, 0xffff, v69
	v_lshrrev_b32_e32 v65, 16, v69
	v_and_b32_e32 v69, 0xffff, v28
	;;#ASMSTART
	v_cvt_f32_f16 v28, v63;
	;;#ASMEND
	;;#ASMSTART
	v_cvt_f32_f16 v63, v65;
	;;#ASMEND
	;; [unrolled: 3-line block ×4, first 2 shown]
	ds_read_b32 v86, v11 offset:92
	v_fmac_f32_e32 v31, v28, v65
	v_fmac_f32_e32 v33, v63, v69
	s_waitcnt lgkmcnt(0)
	v_and_b32_e32 v55, 0xffff, v86
	v_lshrrev_b32_e32 v56, 16, v86
	v_and_b32_e32 v86, 0xffff, v27
	;;#ASMSTART
	v_cvt_f32_f16 v27, v55;
	;;#ASMEND
	;;#ASMSTART
	v_cvt_f32_f16 v49, v56;
	;;#ASMEND
	;; [unrolled: 3-line block ×4, first 2 shown]
	ds_read_b32 v56, v11 offset:96
	v_lshrrev_b32_e32 v86, 16, v26
	v_lshrrev_b32_e32 v87, 16, v25
	v_fmac_f32_e32 v31, v27, v50
	v_fmac_f32_e32 v33, v49, v55
	v_lshrrev_b32_e32 v27, 16, v20
	s_waitcnt lgkmcnt(0)
	v_and_b32_e32 v60, 0xffff, v56
	v_lshrrev_b32_e32 v56, 16, v56
	;;#ASMSTART
	v_cvt_f32_f16 v26, v60;
	;;#ASMEND
	;;#ASMSTART
	v_cvt_f32_f16 v56, v56;
	;;#ASMEND
	;; [unrolled: 3-line block ×4, first 2 shown]
	ds_read_b32 v86, v11 offset:100
	v_fmac_f32_e32 v31, v26, v60
	v_fmac_f32_e32 v33, v56, v61
	s_waitcnt lgkmcnt(0)
	v_and_b32_e32 v43, 0xffff, v86
	v_lshrrev_b32_e32 v46, 16, v86
	v_and_b32_e32 v86, 0xffff, v25
	;;#ASMSTART
	v_cvt_f32_f16 v25, v43;
	;;#ASMEND
	;;#ASMSTART
	v_cvt_f32_f16 v43, v46;
	;;#ASMEND
	;;#ASMSTART
	v_cvt_f32_f16 v46, v86;
	;;#ASMEND
	;;#ASMSTART
	v_cvt_f32_f16 v47, v87;
	;;#ASMEND
	ds_read_b32 v48, v11 offset:104
	v_lshrrev_b32_e32 v86, 16, v24
	v_lshrrev_b32_e32 v87, 16, v23
	v_fmac_f32_e32 v31, v25, v46
	v_fmac_f32_e32 v33, v43, v47
	s_waitcnt lgkmcnt(0)
	v_and_b32_e32 v41, 0xffff, v48
	v_lshrrev_b32_e32 v44, 16, v48
	v_and_b32_e32 v48, 0xffff, v24
	;;#ASMSTART
	v_cvt_f32_f16 v24, v41;
	;;#ASMEND
	;;#ASMSTART
	v_cvt_f32_f16 v41, v44;
	;;#ASMEND
	;; [unrolled: 3-line block ×4, first 2 shown]
	ds_read_b32 v86, v11 offset:108
	v_fmac_f32_e32 v31, v24, v44
	v_fmac_f32_e32 v33, v41, v48
	s_waitcnt lgkmcnt(0)
	v_and_b32_e32 v42, 0xffff, v86
	v_lshrrev_b32_e32 v45, 16, v86
	v_and_b32_e32 v86, 0xffff, v23
	;;#ASMSTART
	v_cvt_f32_f16 v23, v42;
	;;#ASMEND
	;;#ASMSTART
	v_cvt_f32_f16 v39, v45;
	;;#ASMEND
	;; [unrolled: 3-line block ×4, first 2 shown]
	ds_read_b32 v45, v11 offset:112
	v_fmac_f32_e32 v31, v23, v40
	v_fmac_f32_e32 v33, v39, v42
	s_waitcnt vmcnt(0)
	v_lshrrev_b32_e32 v23, 16, v19
	s_waitcnt lgkmcnt(0)
	v_and_b32_e32 v38, 0xffff, v45
	v_lshrrev_b32_e32 v45, 16, v45
	;;#ASMSTART
	v_cvt_f32_f16 v22, v38;
	;;#ASMEND
	;;#ASMSTART
	v_cvt_f32_f16 v37, v45;
	;;#ASMEND
	;; [unrolled: 3-line block ×4, first 2 shown]
	ds_read_b32 v51, v11 offset:116
	v_fmac_f32_e32 v31, v22, v38
	v_fmac_f32_e32 v33, v37, v45
	v_cndmask_b32_e64 v22, v4, v16, s2
	v_cmp_gt_i32_e64 s2, 32, v17
	s_waitcnt lgkmcnt(0)
	v_and_b32_e32 v32, 0xffff, v51
	v_lshrrev_b32_e32 v35, 16, v51
	;;#ASMSTART
	v_cvt_f32_f16 v21, v32;
	;;#ASMEND
	;;#ASMSTART
	v_cvt_f32_f16 v30, v35;
	;;#ASMEND
	;; [unrolled: 3-line block ×4, first 2 shown]
	ds_read_b32 v35, v11 offset:120
	v_fmac_f32_e32 v31, v21, v32
	v_fmac_f32_e32 v33, v30, v34
	s_waitcnt lgkmcnt(0)
	v_and_b32_e32 v26, 0xffff, v35
	v_lshrrev_b32_e32 v28, 16, v35
	;;#ASMSTART
	v_cvt_f32_f16 v20, v26;
	;;#ASMEND
	;;#ASMSTART
	v_cvt_f32_f16 v25, v28;
	;;#ASMEND
	;; [unrolled: 3-line block ×4, first 2 shown]
	ds_read_b32 v28, v11 offset:124
	v_fmac_f32_e32 v31, v20, v26
	v_fmac_f32_e32 v33, v25, v27
	s_waitcnt lgkmcnt(0)
	v_and_b32_e32 v21, 0xffff, v28
	v_lshrrev_b32_e32 v24, 16, v28
	v_and_b32_e32 v28, 0xffff, v19
	;;#ASMSTART
	v_cvt_f32_f16 v19, v21;
	;;#ASMEND
	;;#ASMSTART
	v_cvt_f32_f16 v20, v24;
	;;#ASMEND
	;; [unrolled: 3-line block ×4, first 2 shown]
	v_fmac_f32_e32 v31, v19, v21
	v_fmac_f32_e32 v33, v20, v23
	v_lshlrev_b32_e32 v19, 2, v22
	v_cndmask_b32_e64 v21, v4, v17, s2
	v_add_f32_e32 v20, v31, v33
	ds_bpermute_b32 v19, v19, v20
	s_waitcnt lgkmcnt(0)
	v_add_f32_e32 v19, v20, v19
	v_lshlrev_b32_e32 v20, 2, v21
	ds_bpermute_b32 v20, v20, v19
	s_and_saveexec_b32 s3, vcc_lo
	s_cbranch_execz .LBB89_9
; %bb.11:                               ;   in Loop: Header=BB89_10 Depth=1
	v_add_nc_u32_e32 v21, s4, v12
	s_waitcnt lgkmcnt(0)
	v_add_f32_e32 v19, v19, v20
	v_cmp_gt_i32_e64 s2, s23, v12
	v_cvt_f32_i32_e32 v21, v21
	v_mul_f32_e32 v21, s34, v21
	v_cndmask_b32_e64 v20, 0, v21, s1
	v_max_f32_e32 v21, v9, v9
	v_fmac_f32_e32 v20, s31, v19
	v_max_f32_e32 v19, v21, v20
	v_cndmask_b32_e64 v20, 0, v20, s2
	v_cndmask_b32_e64 v9, v9, v19, s2
	ds_write_b32 v13, v20
	s_branch .LBB89_9
.LBB89_12:
	s_or_b32 exec_lo, exec_lo, s5
.LBB89_13:
	s_or_b32 exec_lo, exec_lo, s35
	v_xor_b32_e32 v1, 16, v4
	v_xor_b32_e32 v11, 8, v4
	v_max_f32_e32 v12, v9, v9
	v_cmp_lt_i32_e32 vcc_lo, v1, v8
	v_cndmask_b32_e32 v1, v4, v1, vcc_lo
	v_cmp_lt_i32_e32 vcc_lo, v11, v8
	v_lshlrev_b32_e32 v2, 2, v1
	ds_bpermute_b32 v1, v2, v9
	v_cndmask_b32_e32 v9, v4, v11, vcc_lo
	v_lshlrev_b32_e32 v9, 2, v9
	s_waitcnt lgkmcnt(0)
	v_max_f32_e32 v1, v1, v1
	v_max_f32_e32 v1, v12, v1
	v_xor_b32_e32 v12, 4, v4
	ds_bpermute_b32 v11, v9, v1
	v_cmp_lt_i32_e32 vcc_lo, v12, v8
	v_cndmask_b32_e32 v12, v4, v12, vcc_lo
	v_lshlrev_b32_e32 v14, 2, v12
	v_lshlrev_b32_e32 v12, 2, v10
	s_waitcnt lgkmcnt(0)
	v_max_f32_e32 v11, v11, v11
	v_max_f32_e32 v1, v1, v11
	v_and_b32_e32 v11, 31, v0
	ds_bpermute_b32 v13, v14, v1
	v_cmp_eq_u32_e32 vcc_lo, 0, v11
	s_and_saveexec_b32 s1, vcc_lo
	s_cbranch_execz .LBB89_15
; %bb.14:
	s_waitcnt lgkmcnt(0)
	v_max_f32_e32 v13, v13, v13
	v_max_f32_e32 v1, v1, v1
	;; [unrolled: 1-line block ×3, first 2 shown]
	ds_write_b32 v12, v1 offset:512
.LBB89_15:
	s_or_b32 exec_lo, exec_lo, s1
	v_cmp_gt_u32_e64 s1, 4, v11
	v_mov_b32_e32 v1, 0xff7fffff
	s_waitcnt lgkmcnt(0)
	v_lshlrev_b32_e32 v13, 2, v11
	s_barrier
	buffer_gl0_inv
	s_and_saveexec_b32 s2, s1
; %bb.16:
	ds_read_b32 v1, v13 offset:512
; %bb.17:
	s_or_b32 exec_lo, exec_lo, s2
	v_xor_b32_e32 v15, 2, v4
	v_xor_b32_e32 v17, 1, v4
	v_lshlrev_b32_e32 v7, 2, v7
	v_cmp_lt_i32_e64 s2, v15, v8
	v_cndmask_b32_e64 v15, v4, v15, s2
	v_cmp_lt_i32_e64 s2, v17, v8
	v_lshlrev_b32_e32 v15, 2, v15
	v_cndmask_b32_e64 v8, v4, v17, s2
	s_sub_i32 s2, s11, s30
	s_lshl_b32 s2, s2, 3
	s_waitcnt lgkmcnt(0)
	ds_bpermute_b32 v16, v15, v1
	v_max_f32_e32 v1, v1, v1
	v_lshlrev_b32_e32 v8, 2, v8
	s_add_i32 s2, s2, s33
	s_min_i32 s2, s2, s23
	s_sub_i32 s4, s2, s33
	v_cmp_gt_i32_e64 s2, s4, v0
	s_waitcnt lgkmcnt(0)
	v_max_f32_e32 v16, v16, v16
	v_max_f32_e32 v1, v1, v16
	ds_bpermute_b32 v16, v8, v1
	s_waitcnt lgkmcnt(0)
	v_max_f32_e32 v16, v16, v16
	v_max_f32_e32 v1, v1, v16
	v_mov_b32_e32 v16, 0
	ds_bpermute_b32 v1, v7, v1
	v_lshl_add_u32 v7, v0, 2, 0x220
	s_and_saveexec_b32 s5, s2
	s_cbranch_execz .LBB89_21
; %bb.18:
	v_lshl_add_u32 v17, v0, 2, 0x220
	v_mov_b32_e32 v16, 0
	v_mov_b32_e32 v18, v0
	s_mov_b32 s15, 0
	.p2align	6
.LBB89_19:                              ; =>This Inner Loop Header: Depth=1
	ds_read_b32 v19, v17
	v_add_nc_u32_e32 v18, 0x80, v18
	v_cmp_le_i32_e64 s3, s4, v18
	s_or_b32 s15, s3, s15
	s_waitcnt lgkmcnt(0)
	v_sub_f32_e32 v19, v19, v1
	v_mul_f32_e32 v19, 0x3fb8aa3b, v19
	v_exp_f32_e32 v19, v19
	ds_write_b32 v17, v19
	v_add_f32_e32 v16, v16, v19
	v_add_nc_u32_e32 v17, 0x200, v17
	s_andn2_b32 exec_lo, exec_lo, s15
	s_cbranch_execnz .LBB89_19
; %bb.20:
	s_or_b32 exec_lo, exec_lo, s15
.LBB89_21:
	s_or_b32 exec_lo, exec_lo, s5
	ds_bpermute_b32 v2, v2, v16
	s_waitcnt lgkmcnt(0)
	v_add_f32_e32 v2, v16, v2
	ds_bpermute_b32 v9, v9, v2
	s_waitcnt lgkmcnt(0)
	v_add_f32_e32 v2, v2, v9
	;; [unrolled: 3-line block ×5, first 2 shown]
	s_and_saveexec_b32 s3, vcc_lo
; %bb.22:
	ds_write_b32 v12, v2 offset:528
; %bb.23:
	s_or_b32 exec_lo, exec_lo, s3
	s_waitcnt lgkmcnt(0)
	s_barrier
	buffer_gl0_inv
	s_and_saveexec_b32 s3, s1
; %bb.24:
	ds_read_b32 v2, v13 offset:528
; %bb.25:
	s_or_b32 exec_lo, exec_lo, s3
	s_waitcnt lgkmcnt(0)
	ds_bpermute_b32 v9, v15, v2
	v_lshlrev_b32_e32 v4, 2, v4
	v_and_b32_e32 v4, 0xffffff80, v4
	s_waitcnt lgkmcnt(0)
	v_add_f32_e32 v2, v2, v9
	ds_bpermute_b32 v8, v8, v2
	s_waitcnt lgkmcnt(0)
	v_add_f32_e32 v2, v2, v8
	ds_bpermute_b32 v2, v4, v2
	s_and_saveexec_b32 s1, s2
	s_cbranch_execz .LBB89_28
; %bb.26:
	s_waitcnt lgkmcnt(0)
	v_add_f32_e32 v4, 0x358637bd, v2
	s_mov_b32 s2, 0
	v_div_scale_f32 v8, null, v4, v4, 1.0
	v_div_scale_f32 v13, vcc_lo, 1.0, v4, 1.0
	v_rcp_f32_e32 v9, v8
	v_fma_f32 v12, -v8, v9, 1.0
	v_fmac_f32_e32 v9, v12, v9
	v_mul_f32_e32 v12, v13, v9
	v_fma_f32 v14, -v8, v12, v13
	v_fmac_f32_e32 v12, v14, v9
	v_fma_f32 v8, -v8, v12, v13
	v_div_fmas_f32 v8, v8, v9, v12
	v_div_fixup_f32 v4, v8, v4, 1.0
	v_mov_b32_e32 v8, v0
.LBB89_27:                              ; =>This Inner Loop Header: Depth=1
	ds_read_b32 v9, v7
	v_add_nc_u32_e32 v8, 0x80, v8
	v_cmp_le_i32_e32 vcc_lo, s4, v8
	s_or_b32 s2, vcc_lo, s2
	s_waitcnt lgkmcnt(0)
	v_mul_f32_e32 v9, v4, v9
	ds_write_b32 v7, v9
	v_add_nc_u32_e32 v7, 0x200, v7
	s_andn2_b32 exec_lo, exec_lo, s2
	s_cbranch_execnz .LBB89_27
.LBB89_28:
	s_or_b32 exec_lo, exec_lo, s1
	s_mul_i32 s1, s7, s22
	s_waitcnt lgkmcnt(0)
	s_mul_i32 s2, s1, s9
	s_mov_b32 s1, exec_lo
	s_barrier
	buffer_gl0_inv
	v_cmpx_eq_u32_e32 0, v0
	s_cbranch_execz .LBB89_30
; %bb.29:
	s_ashr_i32 s3, s2, 31
	s_mul_i32 s30, s7, s6
	s_lshl_b64 s[4:5], s[2:3], 2
	v_mov_b32_e32 v4, 0
	s_add_u32 s3, s18, s4
	s_addc_u32 s6, s19, s5
	s_ashr_i32 s31, s30, 31
	s_lshl_b64 s[18:19], s[30:31], 2
	s_add_u32 s3, s3, s18
	s_addc_u32 s6, s6, s19
	s_ashr_i32 s9, s8, 31
	s_lshl_b64 s[30:31], s[8:9], 2
	s_add_u32 s34, s3, s30
	s_addc_u32 s35, s6, s31
	s_add_u32 s3, s16, s4
	s_addc_u32 s4, s17, s5
	s_add_u32 s3, s3, s18
	s_addc_u32 s5, s4, s19
	s_add_u32 s4, s3, s30
	s_addc_u32 s5, s5, s31
	global_store_dword v4, v1, s[34:35]
	global_store_dword v4, v2, s[4:5]
.LBB89_30:
	s_or_b32 exec_lo, exec_lo, s1
	v_mov_b32_e32 v19, 0
	v_mov_b32_e32 v18, 0
	;; [unrolled: 1-line block ×8, first 2 shown]
	s_and_saveexec_b32 s3, s0
	s_cbranch_execz .LBB89_50
; %bb.31:
	s_ashr_i32 s15, s14, 31
	v_lshlrev_b32_e32 v1, 4, v11
	s_lshl_b64 s[0:1], s[14:15], 1
	v_mov_b32_e32 v20, 0
	s_add_u32 s0, s28, s0
	s_addc_u32 s1, s29, s1
	v_add_co_u32 v21, s0, s0, v1
	v_lshlrev_b64 v[1:2], 2, v[5:6]
	v_add_co_ci_u32_e64 v22, null, s1, 0, s0
	s_lshl_b64 s[0:1], s[26:27], 2
	s_add_i32 s12, s12, -1
	s_add_u32 s0, s24, s0
	s_addc_u32 s1, s25, s1
	v_add_co_u32 v6, vcc_lo, s0, v1
	v_add3_u32 v23, s33, v3, 7
	v_lshl_add_u32 v24, v10, 5, 0x220
	v_add_co_ci_u32_e64 v7, null, s1, v2, vcc_lo
	v_mov_b32_e32 v12, 0
	v_mov_b32_e32 v13, 0
	;; [unrolled: 1-line block ×8, first 2 shown]
	s_mov_b32 s5, s13
	s_mov_b32 s4, 0
	s_branch .LBB89_33
.LBB89_32:                              ;   in Loop: Header=BB89_33 Depth=1
	s_or_b32 exec_lo, exec_lo, s1
	v_lshlrev_b32_e32 v27, 16, v48
	v_lshlrev_b32_e32 v9, 16, v9
	;; [unrolled: 1-line block ×3, first 2 shown]
	v_add_f32_e32 v25, v49, v50
	v_add_f32_e32 v26, v46, v47
	v_and_or_b32 v1, 0xffff, v1, v27
	v_and_or_b32 v2, 0xffff, v2, v9
	;; [unrolled: 1-line block ×3, first 2 shown]
	;;#ASMSTART
	v_pk_mul_f16 v1, v33, v1;

	;;#ASMEND
	;;#ASMSTART
	v_pk_mul_f16 v2, v32, v2;

	;;#ASMEND
	;; [unrolled: 4-line block ×4, first 2 shown]
	;;#ASMSTART
	v_pk_add_f16 v1, v1, v2;

	;;#ASMEND
	;;#ASMSTART
	v_pk_add_f16 v1, v1, v3;

	;;#ASMEND
	;; [unrolled: 4-line block ×3, first 2 shown]
	v_and_b32_e32 v4, 0xffff, v1
	v_add_nc_u32_e32 v5, 4, v5
	v_lshrrev_b32_e32 v8, 16, v1
	;;#ASMSTART
	v_cvt_f32_f16 v4, v4;
	;;#ASMEND
	v_add_f32_e32 v13, v13, v25
	v_add_f32_e32 v14, v14, v26
	;; [unrolled: 1-line block ×7, first 2 shown]
	;;#ASMSTART
	v_cvt_f32_f16 v8, v8;
	;;#ASMEND
	v_add_f32_e32 v4, v4, v8
	v_cmp_le_i32_e32 vcc_lo, s11, v5
	v_add_co_u32 v6, s0, v6, 16
	v_add_f32_e32 v15, v15, v25
	v_add_f32_e32 v16, v16, v26
	;; [unrolled: 1-line block ×6, first 2 shown]
	v_add_nc_u32_e32 v23, 32, v23
	v_add_nc_u32_e32 v24, 0x80, v24
	v_add_co_ci_u32_e64 v7, null, 0, v7, s0
	s_or_b32 s4, vcc_lo, s4
	s_andn2_b32 exec_lo, exec_lo, s4
	s_cbranch_execz .LBB89_49
.LBB89_33:                              ; =>This Inner Loop Header: Depth=1
	global_load_dword v8, v[6:7], off
	ds_read2_b64 v[1:4], v24 offset1:1
	ds_read2_b64 v[25:28], v24 offset0:2 offset1:3
	v_add_nc_u32_e32 v29, -7, v23
	v_cmp_eq_u32_e64 s0, s12, v5
	v_add_nc_u32_e32 v31, -6, v23
	v_add_nc_u32_e32 v30, -1, v23
	s_waitcnt lgkmcnt(1)
	;;#ASMSTART
	v_cvt_f16_f32 v33, v1;

	;;#ASMEND
	;;#ASMSTART
	v_cvt_f16_f32 v32, v2;

	;;#ASMEND
	;; [unrolled: 4-line block ×4, first 2 shown]
	s_waitcnt lgkmcnt(0)
	;;#ASMSTART
	v_cvt_f16_f32 v39, v25;

	;;#ASMEND
	;;#ASMSTART
	v_cvt_f16_f32 v34, v26;

	;;#ASMEND
	;; [unrolled: 4-line block ×4, first 2 shown]
	v_add_nc_u32_e32 v28, -5, v23
	v_add_nc_u32_e32 v27, -4, v23
	;; [unrolled: 1-line block ×4, first 2 shown]
	s_waitcnt vmcnt(0)
	v_mad_i64_i32 v[8:9], null, v8, s5, 0
	v_lshlrev_b64 v[8:9], 1, v[8:9]
	v_add_co_u32 v8, vcc_lo, v21, v8
	v_add_co_ci_u32_e64 v9, null, v22, v9, vcc_lo
	global_load_dwordx4 v[1:4], v[8:9], off
	s_waitcnt vmcnt(0)
	v_lshrrev_b32_e32 v42, 16, v1
	v_lshrrev_b32_e32 v41, 16, v2
	;; [unrolled: 1-line block ×3, first 2 shown]
	s_and_saveexec_b32 s6, s0
	s_cbranch_execz .LBB89_35
; %bb.34:                               ;   in Loop: Header=BB89_33 Depth=1
	v_cmp_gt_i32_e32 vcc_lo, s23, v29
	v_and_b32_e32 v43, 0xffff0000, v4
	v_cmp_gt_i32_e64 s1, s23, v28
	v_cndmask_b32_e32 v1, 0, v1, vcc_lo
	v_cmp_gt_i32_e32 vcc_lo, s23, v31
	v_cndmask_b32_e64 v2, 0, v2, s1
	v_cmp_gt_i32_e64 s1, s23, v27
	v_cndmask_b32_e32 v42, 0, v42, vcc_lo
	v_cmp_gt_i32_e32 vcc_lo, s23, v30
	v_cndmask_b32_e64 v41, 0, v41, s1
	v_cndmask_b32_sdwa v4, v20, v4, vcc_lo dst_sel:DWORD dst_unused:UNUSED_PAD src0_sel:DWORD src1_sel:WORD_0
	v_cmp_gt_i32_e32 vcc_lo, s23, v23
	v_cndmask_b32_e32 v43, 0, v43, vcc_lo
	v_cmp_gt_i32_e32 vcc_lo, s23, v26
	v_or_b32_e32 v4, v4, v43
	v_cndmask_b32_e32 v3, 0, v3, vcc_lo
	v_cmp_gt_i32_e32 vcc_lo, s23, v25
	v_cndmask_b32_e32 v40, 0, v40, vcc_lo
.LBB89_35:                              ;   in Loop: Header=BB89_33 Depth=1
	s_or_b32 exec_lo, exec_lo, s6
	v_and_b32_e32 v33, 0xffff, v33
	v_and_b32_e32 v38, 0xffff, v38
	v_lshlrev_b32_e32 v42, 16, v42
	v_and_b32_e32 v39, 0xffff, v39
	v_and_b32_e32 v37, 0xffff, v37
	v_lshl_or_b32 v33, v32, 16, v33
	v_lshl_or_b32 v32, v36, 16, v38
	v_lshlrev_b32_e32 v36, 16, v41
	v_lshlrev_b32_e32 v38, 16, v40
	v_and_or_b32 v1, 0xffff, v1, v42
	;;#ASMSTART
	v_pk_mul_f16 v1, v33, v1;

	;;#ASMEND
	v_lshl_or_b32 v34, v34, 16, v39
	v_and_or_b32 v2, 0xffff, v2, v36
	v_and_or_b32 v3, 0xffff, v3, v38
	v_lshl_or_b32 v35, v35, 16, v37
	;;#ASMSTART
	v_pk_mul_f16 v2, v32, v2;

	;;#ASMEND
	;;#ASMSTART
	v_pk_mul_f16 v3, v34, v3;

	;;#ASMEND
	;; [unrolled: 4-line block ×3, first 2 shown]
	;;#ASMSTART
	v_pk_add_f16 v1, v1, v2;

	;;#ASMEND
	;;#ASMSTART
	v_pk_add_f16 v1, v1, v3;

	;;#ASMEND
	;; [unrolled: 4-line block ×3, first 2 shown]
	v_and_b32_e32 v2, 0xffff, v1
	v_lshrrev_b32_e32 v1, 16, v1
	;;#ASMSTART
	v_cvt_f32_f16 v36, v2;
	;;#ASMEND
	;;#ASMSTART
	v_cvt_f32_f16 v37, v1;
	;;#ASMEND
	global_load_dwordx4 v[1:4], v[8:9], off offset:512
	s_waitcnt vmcnt(0)
	v_lshrrev_b32_e32 v40, 16, v1
	v_lshrrev_b32_e32 v39, 16, v2
	v_lshrrev_b32_e32 v38, 16, v3
	s_and_saveexec_b32 s6, s0
	s_cbranch_execz .LBB89_37
; %bb.36:                               ;   in Loop: Header=BB89_33 Depth=1
	v_cmp_gt_i32_e32 vcc_lo, s23, v29
	v_and_b32_e32 v41, 0xffff0000, v4
	v_cmp_gt_i32_e64 s1, s23, v28
	v_cndmask_b32_e32 v1, 0, v1, vcc_lo
	v_cmp_gt_i32_e32 vcc_lo, s23, v31
	v_cndmask_b32_e64 v2, 0, v2, s1
	v_cmp_gt_i32_e64 s1, s23, v27
	v_cndmask_b32_e32 v40, 0, v40, vcc_lo
	v_cmp_gt_i32_e32 vcc_lo, s23, v30
	v_cndmask_b32_e64 v39, 0, v39, s1
	v_cndmask_b32_sdwa v4, v20, v4, vcc_lo dst_sel:DWORD dst_unused:UNUSED_PAD src0_sel:DWORD src1_sel:WORD_0
	v_cmp_gt_i32_e32 vcc_lo, s23, v23
	v_cndmask_b32_e32 v41, 0, v41, vcc_lo
	v_cmp_gt_i32_e32 vcc_lo, s23, v26
	v_or_b32_e32 v4, v4, v41
	v_cndmask_b32_e32 v3, 0, v3, vcc_lo
	v_cmp_gt_i32_e32 vcc_lo, s23, v25
	v_cndmask_b32_e32 v38, 0, v38, vcc_lo
.LBB89_37:                              ;   in Loop: Header=BB89_33 Depth=1
	s_or_b32 exec_lo, exec_lo, s6
	v_lshlrev_b32_e32 v40, 16, v40
	v_lshlrev_b32_e32 v39, 16, v39
	;; [unrolled: 1-line block ×3, first 2 shown]
	v_and_or_b32 v1, 0xffff, v1, v40
	v_and_or_b32 v2, 0xffff, v2, v39
	;; [unrolled: 1-line block ×3, first 2 shown]
	;;#ASMSTART
	v_pk_mul_f16 v1, v33, v1;

	;;#ASMEND
	;;#ASMSTART
	v_pk_mul_f16 v2, v32, v2;

	;;#ASMEND
	;; [unrolled: 4-line block ×4, first 2 shown]
	;;#ASMSTART
	v_pk_add_f16 v1, v1, v2;

	;;#ASMEND
	;;#ASMSTART
	v_pk_add_f16 v1, v1, v3;

	;;#ASMEND
	;; [unrolled: 4-line block ×3, first 2 shown]
	v_and_b32_e32 v2, 0xffff, v1
	v_lshrrev_b32_e32 v1, 16, v1
	;;#ASMSTART
	v_cvt_f32_f16 v38, v2;
	;;#ASMEND
	;;#ASMSTART
	v_cvt_f32_f16 v39, v1;
	;;#ASMEND
	global_load_dwordx4 v[1:4], v[8:9], off offset:1024
	s_waitcnt vmcnt(0)
	v_lshrrev_b32_e32 v42, 16, v1
	v_lshrrev_b32_e32 v41, 16, v2
	;; [unrolled: 1-line block ×3, first 2 shown]
	s_and_saveexec_b32 s6, s0
	s_cbranch_execz .LBB89_39
; %bb.38:                               ;   in Loop: Header=BB89_33 Depth=1
	v_cmp_gt_i32_e32 vcc_lo, s23, v29
	v_and_b32_e32 v43, 0xffff0000, v4
	v_cmp_gt_i32_e64 s1, s23, v28
	v_cndmask_b32_e32 v1, 0, v1, vcc_lo
	v_cmp_gt_i32_e32 vcc_lo, s23, v31
	v_cndmask_b32_e64 v2, 0, v2, s1
	v_cmp_gt_i32_e64 s1, s23, v27
	v_cndmask_b32_e32 v42, 0, v42, vcc_lo
	v_cmp_gt_i32_e32 vcc_lo, s23, v30
	v_cndmask_b32_e64 v41, 0, v41, s1
	v_cndmask_b32_sdwa v4, v20, v4, vcc_lo dst_sel:DWORD dst_unused:UNUSED_PAD src0_sel:DWORD src1_sel:WORD_0
	v_cmp_gt_i32_e32 vcc_lo, s23, v23
	v_cndmask_b32_e32 v43, 0, v43, vcc_lo
	v_cmp_gt_i32_e32 vcc_lo, s23, v26
	v_or_b32_e32 v4, v4, v43
	v_cndmask_b32_e32 v3, 0, v3, vcc_lo
	v_cmp_gt_i32_e32 vcc_lo, s23, v25
	v_cndmask_b32_e32 v40, 0, v40, vcc_lo
.LBB89_39:                              ;   in Loop: Header=BB89_33 Depth=1
	s_or_b32 exec_lo, exec_lo, s6
	v_lshlrev_b32_e32 v42, 16, v42
	v_lshlrev_b32_e32 v41, 16, v41
	;; [unrolled: 1-line block ×3, first 2 shown]
	v_and_or_b32 v1, 0xffff, v1, v42
	v_and_or_b32 v2, 0xffff, v2, v41
	;; [unrolled: 1-line block ×3, first 2 shown]
	;;#ASMSTART
	v_pk_mul_f16 v1, v33, v1;

	;;#ASMEND
	;;#ASMSTART
	v_pk_mul_f16 v2, v32, v2;

	;;#ASMEND
	;; [unrolled: 4-line block ×4, first 2 shown]
	;;#ASMSTART
	v_pk_add_f16 v1, v1, v2;

	;;#ASMEND
	;;#ASMSTART
	v_pk_add_f16 v1, v1, v3;

	;;#ASMEND
	;; [unrolled: 4-line block ×3, first 2 shown]
	v_and_b32_e32 v2, 0xffff, v1
	v_lshrrev_b32_e32 v1, 16, v1
	;;#ASMSTART
	v_cvt_f32_f16 v40, v2;
	;;#ASMEND
	;;#ASMSTART
	v_cvt_f32_f16 v41, v1;
	;;#ASMEND
	global_load_dwordx4 v[1:4], v[8:9], off offset:1536
	s_waitcnt vmcnt(0)
	v_lshrrev_b32_e32 v44, 16, v1
	v_lshrrev_b32_e32 v43, 16, v2
	;; [unrolled: 1-line block ×3, first 2 shown]
	s_and_saveexec_b32 s6, s0
	s_cbranch_execz .LBB89_41
; %bb.40:                               ;   in Loop: Header=BB89_33 Depth=1
	v_cmp_gt_i32_e32 vcc_lo, s23, v29
	v_and_b32_e32 v45, 0xffff0000, v4
	v_cmp_gt_i32_e64 s1, s23, v28
	v_cndmask_b32_e32 v1, 0, v1, vcc_lo
	v_cmp_gt_i32_e32 vcc_lo, s23, v31
	v_cndmask_b32_e64 v2, 0, v2, s1
	v_cmp_gt_i32_e64 s1, s23, v27
	v_cndmask_b32_e32 v44, 0, v44, vcc_lo
	v_cmp_gt_i32_e32 vcc_lo, s23, v30
	v_cndmask_b32_e64 v43, 0, v43, s1
	v_cndmask_b32_sdwa v4, v20, v4, vcc_lo dst_sel:DWORD dst_unused:UNUSED_PAD src0_sel:DWORD src1_sel:WORD_0
	v_cmp_gt_i32_e32 vcc_lo, s23, v23
	v_cndmask_b32_e32 v45, 0, v45, vcc_lo
	v_cmp_gt_i32_e32 vcc_lo, s23, v26
	v_or_b32_e32 v4, v4, v45
	v_cndmask_b32_e32 v3, 0, v3, vcc_lo
	v_cmp_gt_i32_e32 vcc_lo, s23, v25
	v_cndmask_b32_e32 v42, 0, v42, vcc_lo
.LBB89_41:                              ;   in Loop: Header=BB89_33 Depth=1
	s_or_b32 exec_lo, exec_lo, s6
	v_lshlrev_b32_e32 v44, 16, v44
	v_lshlrev_b32_e32 v43, 16, v43
	;; [unrolled: 1-line block ×3, first 2 shown]
	v_add_co_u32 v8, vcc_lo, 0x800, v8
	v_and_or_b32 v1, 0xffff, v1, v44
	v_and_or_b32 v2, 0xffff, v2, v43
	v_and_or_b32 v3, 0xffff, v3, v42
	;;#ASMSTART
	v_pk_mul_f16 v1, v33, v1;

	;;#ASMEND
	v_add_co_ci_u32_e64 v9, null, 0, v9, vcc_lo
	;;#ASMSTART
	v_pk_mul_f16 v2, v32, v2;

	;;#ASMEND
	;;#ASMSTART
	v_pk_mul_f16 v3, v34, v3;

	;;#ASMEND
	;; [unrolled: 4-line block ×3, first 2 shown]
	;;#ASMSTART
	v_pk_add_f16 v1, v1, v2;

	;;#ASMEND
	;;#ASMSTART
	v_pk_add_f16 v1, v1, v3;

	;;#ASMEND
	;; [unrolled: 4-line block ×3, first 2 shown]
	v_lshrrev_b32_e32 v2, 16, v1
	v_and_b32_e32 v1, 0xffff, v1
	;;#ASMSTART
	v_cvt_f32_f16 v42, v1;
	;;#ASMEND
	;;#ASMSTART
	v_cvt_f32_f16 v43, v2;
	;;#ASMEND
	global_load_dwordx4 v[1:4], v[8:9], off
	s_waitcnt vmcnt(0)
	v_lshrrev_b32_e32 v46, 16, v1
	v_lshrrev_b32_e32 v45, 16, v2
	;; [unrolled: 1-line block ×3, first 2 shown]
	s_and_saveexec_b32 s6, s0
	s_cbranch_execz .LBB89_43
; %bb.42:                               ;   in Loop: Header=BB89_33 Depth=1
	v_cmp_gt_i32_e32 vcc_lo, s23, v29
	v_and_b32_e32 v47, 0xffff0000, v4
	v_cmp_gt_i32_e64 s1, s23, v28
	v_cndmask_b32_e32 v1, 0, v1, vcc_lo
	v_cmp_gt_i32_e32 vcc_lo, s23, v31
	v_cndmask_b32_e64 v2, 0, v2, s1
	v_cmp_gt_i32_e64 s1, s23, v27
	v_cndmask_b32_e32 v46, 0, v46, vcc_lo
	v_cmp_gt_i32_e32 vcc_lo, s23, v30
	v_cndmask_b32_e64 v45, 0, v45, s1
	v_cndmask_b32_sdwa v4, v20, v4, vcc_lo dst_sel:DWORD dst_unused:UNUSED_PAD src0_sel:DWORD src1_sel:WORD_0
	v_cmp_gt_i32_e32 vcc_lo, s23, v23
	v_cndmask_b32_e32 v47, 0, v47, vcc_lo
	v_cmp_gt_i32_e32 vcc_lo, s23, v26
	v_or_b32_e32 v4, v4, v47
	v_cndmask_b32_e32 v3, 0, v3, vcc_lo
	v_cmp_gt_i32_e32 vcc_lo, s23, v25
	v_cndmask_b32_e32 v44, 0, v44, vcc_lo
.LBB89_43:                              ;   in Loop: Header=BB89_33 Depth=1
	s_or_b32 exec_lo, exec_lo, s6
	v_lshlrev_b32_e32 v46, 16, v46
	v_lshlrev_b32_e32 v45, 16, v45
	;; [unrolled: 1-line block ×3, first 2 shown]
	v_and_or_b32 v1, 0xffff, v1, v46
	v_and_or_b32 v2, 0xffff, v2, v45
	;; [unrolled: 1-line block ×3, first 2 shown]
	;;#ASMSTART
	v_pk_mul_f16 v1, v33, v1;

	;;#ASMEND
	;;#ASMSTART
	v_pk_mul_f16 v2, v32, v2;

	;;#ASMEND
	;; [unrolled: 4-line block ×4, first 2 shown]
	;;#ASMSTART
	v_pk_add_f16 v1, v1, v2;

	;;#ASMEND
	;;#ASMSTART
	v_pk_add_f16 v1, v1, v3;

	;;#ASMEND
	;; [unrolled: 4-line block ×3, first 2 shown]
	v_and_b32_e32 v2, 0xffff, v1
	v_lshrrev_b32_e32 v1, 16, v1
	;;#ASMSTART
	v_cvt_f32_f16 v44, v2;
	;;#ASMEND
	;;#ASMSTART
	v_cvt_f32_f16 v45, v1;
	;;#ASMEND
	global_load_dwordx4 v[1:4], v[8:9], off offset:512
	s_waitcnt vmcnt(0)
	v_lshrrev_b32_e32 v48, 16, v1
	v_lshrrev_b32_e32 v47, 16, v2
	;; [unrolled: 1-line block ×3, first 2 shown]
	s_and_saveexec_b32 s6, s0
	s_cbranch_execz .LBB89_45
; %bb.44:                               ;   in Loop: Header=BB89_33 Depth=1
	v_cmp_gt_i32_e32 vcc_lo, s23, v29
	v_and_b32_e32 v49, 0xffff0000, v4
	v_cmp_gt_i32_e64 s1, s23, v28
	v_cndmask_b32_e32 v1, 0, v1, vcc_lo
	v_cmp_gt_i32_e32 vcc_lo, s23, v31
	v_cndmask_b32_e64 v2, 0, v2, s1
	v_cmp_gt_i32_e64 s1, s23, v27
	v_cndmask_b32_e32 v48, 0, v48, vcc_lo
	v_cmp_gt_i32_e32 vcc_lo, s23, v30
	v_cndmask_b32_e64 v47, 0, v47, s1
	v_cndmask_b32_sdwa v4, v20, v4, vcc_lo dst_sel:DWORD dst_unused:UNUSED_PAD src0_sel:DWORD src1_sel:WORD_0
	v_cmp_gt_i32_e32 vcc_lo, s23, v23
	v_cndmask_b32_e32 v49, 0, v49, vcc_lo
	v_cmp_gt_i32_e32 vcc_lo, s23, v26
	v_or_b32_e32 v4, v4, v49
	v_cndmask_b32_e32 v3, 0, v3, vcc_lo
	v_cmp_gt_i32_e32 vcc_lo, s23, v25
	v_cndmask_b32_e32 v46, 0, v46, vcc_lo
.LBB89_45:                              ;   in Loop: Header=BB89_33 Depth=1
	s_or_b32 exec_lo, exec_lo, s6
	v_lshlrev_b32_e32 v48, 16, v48
	v_lshlrev_b32_e32 v47, 16, v47
	;; [unrolled: 1-line block ×3, first 2 shown]
	v_and_or_b32 v1, 0xffff, v1, v48
	v_and_or_b32 v2, 0xffff, v2, v47
	;; [unrolled: 1-line block ×3, first 2 shown]
	;;#ASMSTART
	v_pk_mul_f16 v1, v33, v1;

	;;#ASMEND
	;;#ASMSTART
	v_pk_mul_f16 v2, v32, v2;

	;;#ASMEND
	;; [unrolled: 4-line block ×4, first 2 shown]
	;;#ASMSTART
	v_pk_add_f16 v1, v1, v2;

	;;#ASMEND
	;;#ASMSTART
	v_pk_add_f16 v1, v1, v3;

	;;#ASMEND
	;; [unrolled: 4-line block ×3, first 2 shown]
	v_and_b32_e32 v2, 0xffff, v1
	v_lshrrev_b32_e32 v1, 16, v1
	;;#ASMSTART
	v_cvt_f32_f16 v46, v2;
	;;#ASMEND
	;;#ASMSTART
	v_cvt_f32_f16 v47, v1;
	;;#ASMEND
	global_load_dwordx4 v[1:4], v[8:9], off offset:1024
	s_waitcnt vmcnt(0)
	v_lshrrev_b32_e32 v50, 16, v1
	v_lshrrev_b32_e32 v49, 16, v2
	;; [unrolled: 1-line block ×3, first 2 shown]
	s_and_saveexec_b32 s6, s0
	s_cbranch_execz .LBB89_47
; %bb.46:                               ;   in Loop: Header=BB89_33 Depth=1
	v_cmp_gt_i32_e32 vcc_lo, s23, v29
	v_and_b32_e32 v51, 0xffff0000, v4
	v_cmp_gt_i32_e64 s1, s23, v28
	v_cndmask_b32_e32 v1, 0, v1, vcc_lo
	v_cmp_gt_i32_e32 vcc_lo, s23, v31
	v_cndmask_b32_e64 v2, 0, v2, s1
	v_cmp_gt_i32_e64 s1, s23, v27
	v_cndmask_b32_e32 v50, 0, v50, vcc_lo
	v_cmp_gt_i32_e32 vcc_lo, s23, v30
	v_cndmask_b32_e64 v49, 0, v49, s1
	v_cndmask_b32_sdwa v4, v20, v4, vcc_lo dst_sel:DWORD dst_unused:UNUSED_PAD src0_sel:DWORD src1_sel:WORD_0
	v_cmp_gt_i32_e32 vcc_lo, s23, v23
	v_cndmask_b32_e32 v51, 0, v51, vcc_lo
	v_cmp_gt_i32_e32 vcc_lo, s23, v26
	v_or_b32_e32 v4, v4, v51
	v_cndmask_b32_e32 v3, 0, v3, vcc_lo
	v_cmp_gt_i32_e32 vcc_lo, s23, v25
	v_cndmask_b32_e32 v48, 0, v48, vcc_lo
.LBB89_47:                              ;   in Loop: Header=BB89_33 Depth=1
	s_or_b32 exec_lo, exec_lo, s6
	v_lshlrev_b32_e32 v50, 16, v50
	v_lshlrev_b32_e32 v49, 16, v49
	;; [unrolled: 1-line block ×3, first 2 shown]
	v_and_or_b32 v1, 0xffff, v1, v50
	v_and_or_b32 v2, 0xffff, v2, v49
	;; [unrolled: 1-line block ×3, first 2 shown]
	;;#ASMSTART
	v_pk_mul_f16 v1, v33, v1;

	;;#ASMEND
	;;#ASMSTART
	v_pk_mul_f16 v2, v32, v2;

	;;#ASMEND
	;; [unrolled: 4-line block ×4, first 2 shown]
	;;#ASMSTART
	v_pk_add_f16 v1, v1, v2;

	;;#ASMEND
	;;#ASMSTART
	v_pk_add_f16 v1, v1, v3;

	;;#ASMEND
	;; [unrolled: 4-line block ×3, first 2 shown]
	v_and_b32_e32 v2, 0xffff, v1
	v_lshrrev_b32_e32 v1, 16, v1
	;;#ASMSTART
	v_cvt_f32_f16 v49, v2;
	;;#ASMEND
	;;#ASMSTART
	v_cvt_f32_f16 v50, v1;
	;;#ASMEND
	global_load_dwordx4 v[1:4], v[8:9], off offset:1536
	s_waitcnt vmcnt(0)
	v_lshrrev_b32_e32 v48, 16, v1
	v_lshrrev_b32_e32 v9, 16, v2
	v_lshrrev_b32_e32 v8, 16, v3
	s_and_saveexec_b32 s1, s0
	s_cbranch_execz .LBB89_32
; %bb.48:                               ;   in Loop: Header=BB89_33 Depth=1
	v_cmp_gt_i32_e32 vcc_lo, s23, v29
	v_cmp_gt_i32_e64 s0, s23, v28
	v_cndmask_b32_e32 v1, 0, v1, vcc_lo
	v_cmp_gt_i32_e32 vcc_lo, s23, v31
	v_cndmask_b32_e64 v2, 0, v2, s0
	v_cmp_gt_i32_e64 s0, s23, v27
	v_and_b32_e32 v27, 0xffff0000, v4
	v_cndmask_b32_e32 v48, 0, v48, vcc_lo
	v_cmp_gt_i32_e32 vcc_lo, s23, v30
	v_cndmask_b32_e64 v9, 0, v9, s0
	v_cndmask_b32_sdwa v4, v20, v4, vcc_lo dst_sel:DWORD dst_unused:UNUSED_PAD src0_sel:DWORD src1_sel:WORD_0
	v_cmp_gt_i32_e32 vcc_lo, s23, v23
	v_cndmask_b32_e32 v27, 0, v27, vcc_lo
	v_cmp_gt_i32_e32 vcc_lo, s23, v26
	v_or_b32_e32 v4, v4, v27
	v_cndmask_b32_e32 v3, 0, v3, vcc_lo
	v_cmp_gt_i32_e32 vcc_lo, s23, v25
	v_cndmask_b32_e32 v8, 0, v8, vcc_lo
	s_branch .LBB89_32
.LBB89_49:
	s_or_b32 exec_lo, exec_lo, s4
.LBB89_50:
	s_or_b32 exec_lo, exec_lo, s3
	v_lshl_add_u32 v2, v11, 2, 0x220
	v_and_b32_e32 v3, 0x3c0, v0
	s_mov_b32 s0, exec_lo
	s_waitcnt_vscnt null, 0x0
	s_barrier
	v_lshl_add_u32 v1, v10, 10, v2
	buffer_gl0_inv
	v_cmpx_eq_u32_e32 64, v3
	s_cbranch_execz .LBB89_52
; %bb.51:
	v_add_nc_u32_e32 v3, 0xfffff800, v1
	v_add_nc_u32_e32 v4, 0xfffff880, v1
	v_add_nc_u32_e32 v5, 0xfffff900, v1
	v_add_nc_u32_e32 v6, 0xfffffb00, v1
	v_add_nc_u32_e32 v7, 0xfffffb80, v1
	ds_write_b32 v3, v19
	ds_write_b32 v4, v18
	;; [unrolled: 1-line block ×3, first 2 shown]
	v_add_nc_u32_e32 v3, 0xfffff980, v1
	v_add_nc_u32_e32 v4, 0xfffffa00, v1
	;; [unrolled: 1-line block ×3, first 2 shown]
	ds_write_b32 v3, v16
	ds_write_b32 v4, v15
	;; [unrolled: 1-line block ×5, first 2 shown]
.LBB89_52:
	s_or_b32 exec_lo, exec_lo, s0
	s_mov_b32 s0, exec_lo
	s_waitcnt lgkmcnt(0)
	s_barrier
	buffer_gl0_inv
	v_cmpx_gt_u32_e32 64, v0
	s_cbranch_execz .LBB89_54
; %bb.53:
	ds_read2_b32 v[3:4], v1 offset1:32
	ds_read2_b32 v[5:6], v1 offset0:64 offset1:96
	ds_read2_b32 v[7:8], v1 offset0:128 offset1:160
	;; [unrolled: 1-line block ×3, first 2 shown]
	s_waitcnt lgkmcnt(3)
	v_add_f32_e32 v19, v19, v3
	v_add_f32_e32 v18, v18, v4
	s_waitcnt lgkmcnt(2)
	v_add_f32_e32 v17, v17, v5
	v_add_f32_e32 v16, v16, v6
	;; [unrolled: 3-line block ×4, first 2 shown]
.LBB89_54:
	s_or_b32 exec_lo, exec_lo, s0
	v_and_b32_e32 v3, 0x3e0, v0
	s_mov_b32 s0, exec_lo
	s_barrier
	buffer_gl0_inv
	v_cmpx_eq_u32_e32 32, v3
	s_cbranch_execz .LBB89_56
; %bb.55:
	ds_write2_b32 v2, v19, v18 offset1:32
	ds_write2_b32 v2, v17, v16 offset0:64 offset1:96
	ds_write2_b32 v2, v15, v14 offset0:128 offset1:160
	;; [unrolled: 1-line block ×3, first 2 shown]
.LBB89_56:
	s_or_b32 exec_lo, exec_lo, s0
	v_cmp_gt_u32_e32 vcc_lo, 32, v0
	s_waitcnt lgkmcnt(0)
	s_barrier
	buffer_gl0_inv
	s_and_saveexec_b32 s0, vcc_lo
	s_cbranch_execz .LBB89_58
; %bb.57:
	ds_read2_b32 v[2:3], v1 offset1:32
	ds_read2_b32 v[4:5], v1 offset0:64 offset1:96
	ds_read2_b32 v[6:7], v1 offset0:128 offset1:160
	ds_read2_b32 v[8:9], v1 offset0:192 offset1:224
	s_waitcnt lgkmcnt(3)
	v_add_f32_e32 v19, v19, v2
	v_add_f32_e32 v18, v18, v3
	s_waitcnt lgkmcnt(2)
	v_add_f32_e32 v17, v17, v4
	v_add_f32_e32 v16, v16, v5
	s_waitcnt lgkmcnt(1)
	v_add_f32_e32 v15, v15, v6
	v_add_f32_e32 v14, v14, v7
	s_waitcnt lgkmcnt(0)
	v_add_f32_e32 v13, v13, v8
	v_add_f32_e32 v12, v12, v9
.LBB89_58:
	s_or_b32 exec_lo, exec_lo, s0
	s_barrier
	buffer_gl0_inv
	s_and_saveexec_b32 s0, vcc_lo
	s_cbranch_execz .LBB89_60
; %bb.59:
	s_lshl_b32 s0, s2, 8
	s_mul_i32 s2, s7, s10
	s_ashr_i32 s1, s0, 31
	v_lshlrev_b32_e32 v0, 1, v0
	s_lshl_b64 s[0:1], s[0:1], 1
	;;#ASMSTART
	v_cvt_f16_f32 v1, v19;

	;;#ASMEND
	s_add_u32 s4, s20, s0
	s_addc_u32 s5, s21, s1
	s_ashr_i32 s3, s2, 31
	s_lshl_b64 s[0:1], s[2:3], 1
	s_add_u32 s2, s4, s0
	s_addc_u32 s3, s5, s1
	s_lshl_b32 s0, s8, 8
	s_ashr_i32 s1, s0, 31
	s_lshl_b64 s[0:1], s[0:1], 1
	s_add_u32 s0, s2, s0
	s_addc_u32 s1, s3, s1
	global_store_short v0, v1, s[0:1]
	;;#ASMSTART
	v_cvt_f16_f32 v1, v18;

	;;#ASMEND
	global_store_short v0, v1, s[0:1] offset:64
	;;#ASMSTART
	v_cvt_f16_f32 v1, v17;

	;;#ASMEND
	global_store_short v0, v1, s[0:1] offset:128
	;; [unrolled: 5-line block ×7, first 2 shown]
.LBB89_60:
	s_endpgm
	.section	.rodata,"a",@progbits
	.p2align	6, 0x0
	.amdhsa_kernel _ZN4vllm25paged_attention_v2_kernelIttLi256ELi8ELi128ELNS_18Fp8KVCacheDataTypeE0ELb0ELi512EEEvPfS2_PT_PKS3_PKT0_S9_ifPKiSB_iPKfiiiSD_SD_iiiii
		.amdhsa_group_segment_fixed_size 544
		.amdhsa_private_segment_fixed_size 0
		.amdhsa_kernarg_size 400
		.amdhsa_user_sgpr_count 6
		.amdhsa_user_sgpr_private_segment_buffer 1
		.amdhsa_user_sgpr_dispatch_ptr 0
		.amdhsa_user_sgpr_queue_ptr 0
		.amdhsa_user_sgpr_kernarg_segment_ptr 1
		.amdhsa_user_sgpr_dispatch_id 0
		.amdhsa_user_sgpr_flat_scratch_init 0
		.amdhsa_user_sgpr_private_segment_size 0
		.amdhsa_wavefront_size32 1
		.amdhsa_uses_dynamic_stack 0
		.amdhsa_system_sgpr_private_segment_wavefront_offset 0
		.amdhsa_system_sgpr_workgroup_id_x 1
		.amdhsa_system_sgpr_workgroup_id_y 1
		.amdhsa_system_sgpr_workgroup_id_z 1
		.amdhsa_system_sgpr_workgroup_info 0
		.amdhsa_system_vgpr_workitem_id 0
		.amdhsa_next_free_vgpr 89
		.amdhsa_next_free_sgpr 36
		.amdhsa_reserve_vcc 1
		.amdhsa_reserve_flat_scratch 0
		.amdhsa_float_round_mode_32 0
		.amdhsa_float_round_mode_16_64 0
		.amdhsa_float_denorm_mode_32 3
		.amdhsa_float_denorm_mode_16_64 3
		.amdhsa_dx10_clamp 1
		.amdhsa_ieee_mode 1
		.amdhsa_fp16_overflow 0
		.amdhsa_workgroup_processor_mode 1
		.amdhsa_memory_ordered 1
		.amdhsa_forward_progress 1
		.amdhsa_shared_vgpr_count 0
		.amdhsa_exception_fp_ieee_invalid_op 0
		.amdhsa_exception_fp_denorm_src 0
		.amdhsa_exception_fp_ieee_div_zero 0
		.amdhsa_exception_fp_ieee_overflow 0
		.amdhsa_exception_fp_ieee_underflow 0
		.amdhsa_exception_fp_ieee_inexact 0
		.amdhsa_exception_int_div_zero 0
	.end_amdhsa_kernel
	.section	.text._ZN4vllm25paged_attention_v2_kernelIttLi256ELi8ELi128ELNS_18Fp8KVCacheDataTypeE0ELb0ELi512EEEvPfS2_PT_PKS3_PKT0_S9_ifPKiSB_iPKfiiiSD_SD_iiiii,"axG",@progbits,_ZN4vllm25paged_attention_v2_kernelIttLi256ELi8ELi128ELNS_18Fp8KVCacheDataTypeE0ELb0ELi512EEEvPfS2_PT_PKS3_PKT0_S9_ifPKiSB_iPKfiiiSD_SD_iiiii,comdat
.Lfunc_end89:
	.size	_ZN4vllm25paged_attention_v2_kernelIttLi256ELi8ELi128ELNS_18Fp8KVCacheDataTypeE0ELb0ELi512EEEvPfS2_PT_PKS3_PKT0_S9_ifPKiSB_iPKfiiiSD_SD_iiiii, .Lfunc_end89-_ZN4vllm25paged_attention_v2_kernelIttLi256ELi8ELi128ELNS_18Fp8KVCacheDataTypeE0ELb0ELi512EEEvPfS2_PT_PKS3_PKT0_S9_ifPKiSB_iPKfiiiSD_SD_iiiii
                                        ; -- End function
	.set _ZN4vllm25paged_attention_v2_kernelIttLi256ELi8ELi128ELNS_18Fp8KVCacheDataTypeE0ELb0ELi512EEEvPfS2_PT_PKS3_PKT0_S9_ifPKiSB_iPKfiiiSD_SD_iiiii.num_vgpr, 89
	.set _ZN4vllm25paged_attention_v2_kernelIttLi256ELi8ELi128ELNS_18Fp8KVCacheDataTypeE0ELb0ELi512EEEvPfS2_PT_PKS3_PKT0_S9_ifPKiSB_iPKfiiiSD_SD_iiiii.num_agpr, 0
	.set _ZN4vllm25paged_attention_v2_kernelIttLi256ELi8ELi128ELNS_18Fp8KVCacheDataTypeE0ELb0ELi512EEEvPfS2_PT_PKS3_PKT0_S9_ifPKiSB_iPKfiiiSD_SD_iiiii.numbered_sgpr, 36
	.set _ZN4vllm25paged_attention_v2_kernelIttLi256ELi8ELi128ELNS_18Fp8KVCacheDataTypeE0ELb0ELi512EEEvPfS2_PT_PKS3_PKT0_S9_ifPKiSB_iPKfiiiSD_SD_iiiii.num_named_barrier, 0
	.set _ZN4vllm25paged_attention_v2_kernelIttLi256ELi8ELi128ELNS_18Fp8KVCacheDataTypeE0ELb0ELi512EEEvPfS2_PT_PKS3_PKT0_S9_ifPKiSB_iPKfiiiSD_SD_iiiii.private_seg_size, 0
	.set _ZN4vllm25paged_attention_v2_kernelIttLi256ELi8ELi128ELNS_18Fp8KVCacheDataTypeE0ELb0ELi512EEEvPfS2_PT_PKS3_PKT0_S9_ifPKiSB_iPKfiiiSD_SD_iiiii.uses_vcc, 1
	.set _ZN4vllm25paged_attention_v2_kernelIttLi256ELi8ELi128ELNS_18Fp8KVCacheDataTypeE0ELb0ELi512EEEvPfS2_PT_PKS3_PKT0_S9_ifPKiSB_iPKfiiiSD_SD_iiiii.uses_flat_scratch, 0
	.set _ZN4vllm25paged_attention_v2_kernelIttLi256ELi8ELi128ELNS_18Fp8KVCacheDataTypeE0ELb0ELi512EEEvPfS2_PT_PKS3_PKT0_S9_ifPKiSB_iPKfiiiSD_SD_iiiii.has_dyn_sized_stack, 0
	.set _ZN4vllm25paged_attention_v2_kernelIttLi256ELi8ELi128ELNS_18Fp8KVCacheDataTypeE0ELb0ELi512EEEvPfS2_PT_PKS3_PKT0_S9_ifPKiSB_iPKfiiiSD_SD_iiiii.has_recursion, 0
	.set _ZN4vllm25paged_attention_v2_kernelIttLi256ELi8ELi128ELNS_18Fp8KVCacheDataTypeE0ELb0ELi512EEEvPfS2_PT_PKS3_PKT0_S9_ifPKiSB_iPKfiiiSD_SD_iiiii.has_indirect_call, 0
	.section	.AMDGPU.csdata,"",@progbits
; Kernel info:
; codeLenInByte = 10812
; TotalNumSgprs: 38
; NumVgprs: 89
; ScratchSize: 0
; MemoryBound: 0
; FloatMode: 240
; IeeeMode: 1
; LDSByteSize: 544 bytes/workgroup (compile time only)
; SGPRBlocks: 0
; VGPRBlocks: 11
; NumSGPRsForWavesPerEU: 38
; NumVGPRsForWavesPerEU: 89
; Occupancy: 10
; WaveLimiterHint : 1
; COMPUTE_PGM_RSRC2:SCRATCH_EN: 0
; COMPUTE_PGM_RSRC2:USER_SGPR: 6
; COMPUTE_PGM_RSRC2:TRAP_HANDLER: 0
; COMPUTE_PGM_RSRC2:TGID_X_EN: 1
; COMPUTE_PGM_RSRC2:TGID_Y_EN: 1
; COMPUTE_PGM_RSRC2:TGID_Z_EN: 1
; COMPUTE_PGM_RSRC2:TIDIG_COMP_CNT: 0
	.section	.text._ZN4vllm25paged_attention_v2_kernelIttLi32ELi16ELi128ELNS_18Fp8KVCacheDataTypeE0ELb1ELi512EEEvPfS2_PT_PKS3_PKT0_S9_ifPKiSB_iPKfiiiSD_SD_iiiii,"axG",@progbits,_ZN4vllm25paged_attention_v2_kernelIttLi32ELi16ELi128ELNS_18Fp8KVCacheDataTypeE0ELb1ELi512EEEvPfS2_PT_PKS3_PKT0_S9_ifPKiSB_iPKfiiiSD_SD_iiiii,comdat
	.protected	_ZN4vllm25paged_attention_v2_kernelIttLi32ELi16ELi128ELNS_18Fp8KVCacheDataTypeE0ELb1ELi512EEEvPfS2_PT_PKS3_PKT0_S9_ifPKiSB_iPKfiiiSD_SD_iiiii ; -- Begin function _ZN4vllm25paged_attention_v2_kernelIttLi32ELi16ELi128ELNS_18Fp8KVCacheDataTypeE0ELb1ELi512EEEvPfS2_PT_PKS3_PKT0_S9_ifPKiSB_iPKfiiiSD_SD_iiiii
	.globl	_ZN4vllm25paged_attention_v2_kernelIttLi32ELi16ELi128ELNS_18Fp8KVCacheDataTypeE0ELb1ELi512EEEvPfS2_PT_PKS3_PKT0_S9_ifPKiSB_iPKfiiiSD_SD_iiiii
	.p2align	8
	.type	_ZN4vllm25paged_attention_v2_kernelIttLi32ELi16ELi128ELNS_18Fp8KVCacheDataTypeE0ELb1ELi512EEEvPfS2_PT_PKS3_PKT0_S9_ifPKiSB_iPKfiiiSD_SD_iiiii,@function
_ZN4vllm25paged_attention_v2_kernelIttLi32ELi16ELi128ELNS_18Fp8KVCacheDataTypeE0ELb1ELi512EEEvPfS2_PT_PKS3_PKT0_S9_ifPKiSB_iPKfiiiSD_SD_iiiii: ; @_ZN4vllm25paged_attention_v2_kernelIttLi32ELi16ELi128ELNS_18Fp8KVCacheDataTypeE0ELb1ELi512EEEvPfS2_PT_PKS3_PKT0_S9_ifPKiSB_iPKfiiiSD_SD_iiiii
; %bb.0:
	s_load_dwordx2 s[0:1], s[4:5], 0x40
	s_mov_b32 s26, s7
	s_ashr_i32 s27, s7, 31
	s_lshl_b64 s[2:3], s[26:27], 2
	s_waitcnt lgkmcnt(0)
	s_add_u32 s0, s0, s2
	s_addc_u32 s1, s1, s3
	s_lshl_b32 s39, s8, 9
	s_load_dword s27, s[0:1], 0x0
	s_waitcnt lgkmcnt(0)
	s_cmp_ge_i32 s39, s27
	s_cbranch_scc1 .LBB90_66
; %bb.1:
	s_clause 0x1
	s_load_dword s9, s[4:5], 0x90
	s_load_dwordx2 s[36:37], s[4:5], 0x30
	s_mov_b32 s41, 0
	s_waitcnt lgkmcnt(0)
	s_abs_i32 s3, s9
	s_abs_i32 s0, s36
	v_cvt_f32_u32_e32 v1, s0
	s_sub_i32 s2, 0, s0
	v_rcp_iflag_f32_e32 v1, v1
	v_mul_f32_e32 v1, 0x4f7ffffe, v1
	v_cvt_u32_f32_e32 v1, v1
	v_readfirstlane_b32 s1, v1
	s_mul_i32 s2, s2, s1
	s_mul_hi_u32 s2, s1, s2
	s_add_i32 s1, s1, s2
	s_xor_b32 s2, s9, s36
	s_mul_hi_u32 s1, s3, s1
	s_ashr_i32 s2, s2, 31
	s_mul_i32 s7, s1, s0
	s_sub_i32 s3, s3, s7
	s_add_i32 s7, s1, 1
	s_sub_i32 s10, s3, s0
	s_cmp_ge_u32 s3, s0
	s_cselect_b32 s1, s7, s1
	s_cselect_b32 s3, s10, s3
	s_add_i32 s7, s1, 1
	s_cmp_ge_u32 s3, s0
	s_cselect_b32 s0, s7, s1
	s_xor_b32 s0, s0, s2
	s_sub_i32 s10, s0, s2
	s_load_dwordx2 s[0:1], s[4:5], 0x50
	s_abs_i32 s2, s10
	v_cvt_f32_u32_e32 v1, s2
	s_sub_i32 s3, 0, s2
	v_rcp_iflag_f32_e32 v1, v1
	v_mul_f32_e32 v1, 0x4f7ffffe, v1
	v_cvt_u32_f32_e32 v1, v1
	v_readfirstlane_b32 s7, v1
	s_mul_i32 s3, s3, s7
	s_mul_hi_u32 s11, s7, s3
	s_abs_i32 s3, s6
	s_add_i32 s7, s7, s11
	s_waitcnt lgkmcnt(0)
	s_cmp_eq_u64 s[0:1], 0
	s_mul_hi_u32 s20, s3, s7
	s_cbranch_scc1 .LBB90_3
; %bb.2:
	s_ashr_i32 s7, s6, 31
	s_lshl_b64 s[12:13], s[6:7], 2
	s_add_u32 s0, s0, s12
	s_addc_u32 s1, s1, s13
	s_load_dword s41, s[0:1], 0x0
.LBB90_3:
	s_load_dwordx4 s[12:15], s[4:5], 0x58
	v_lshrrev_b32_e32 v10, 1, v0
	v_and_b32_e32 v11, 1, v0
	v_lshlrev_b32_e32 v3, 3, v0
	s_ashr_i32 s0, s6, 31
	s_ashr_i32 s1, s10, 31
	s_lshl_b32 s10, s6, 5
	s_mov_b32 s7, exec_lo
	v_cmpx_gt_u32_e32 8, v0
	s_cbranch_execz .LBB90_5
; %bb.4:
	s_load_dwordx2 s[16:17], s[4:5], 0x18
	s_waitcnt lgkmcnt(0)
	s_mul_i32 s18, s12, s26
	v_lshlrev_b32_e32 v4, 3, v10
	s_ashr_i32 s19, s18, 31
	s_lshl_b64 s[18:19], s[18:19], 1
	v_lshl_add_u32 v4, v11, 5, v4
	s_add_u32 s12, s16, s18
	s_addc_u32 s15, s17, s19
	s_ashr_i32 s11, s10, 31
	s_lshl_b64 s[16:17], s[10:11], 1
	s_add_u32 s16, s12, s16
	s_addc_u32 s17, s15, s17
	global_load_dwordx2 v[1:2], v3, s[16:17]
	s_waitcnt vmcnt(0)
	ds_write_b64 v4, v[1:2]
.LBB90_5:
	s_or_b32 exec_lo, exec_lo, s7
	s_load_dwordx4 s[16:19], s[4:5], 0x78
	s_mul_i32 s7, s20, s2
	s_xor_b32 s0, s0, s1
	s_sub_i32 s1, s3, s7
	s_add_i32 s3, s20, 1
	s_sub_i32 s7, s1, s2
	s_cmp_ge_u32 s1, s2
	s_waitcnt lgkmcnt(0)
	s_mov_b32 s15, -1
	s_cselect_b32 s3, s3, s20
	s_cselect_b32 s1, s7, s1
	s_add_i32 s7, s3, 1
	s_cmp_ge_u32 s1, s2
                                        ; implicit-def: $sgpr38
	s_cselect_b32 s1, s7, s3
	s_load_dword s3, s[4:5], 0x88
	s_xor_b32 s1, s1, s0
	s_add_i32 s7, s27, -1
	s_sub_i32 s1, s1, s0
	s_abs_i32 s2, s7
	s_waitcnt lgkmcnt(0)
	s_abs_i32 s11, s19
	s_barrier
	v_cvt_f32_u32_e32 v1, s11
	s_sub_i32 s0, 0, s11
	buffer_gl0_inv
	v_rcp_iflag_f32_e32 v1, v1
	v_mul_f32_e32 v1, 0x4f7ffffe, v1
	v_cvt_u32_f32_e32 v1, v1
	v_readfirstlane_b32 s33, v1
	s_mul_i32 s0, s0, s33
	s_mul_hi_u32 s0, s33, s0
	s_add_i32 s33, s33, s0
	s_cmp_lt_i32 s3, 0
	s_mul_hi_u32 s0, s2, s33
	s_cbranch_scc0 .LBB90_7
; %bb.6:
	s_mul_i32 s12, s16, s36
	s_mov_b32 s15, 0
	s_add_i32 s12, s1, s12
	s_mul_i32 s12, s12, s3
	s_sub_i32 s38, 1, s12
.LBB90_7:
	s_load_dwordx2 s[28:29], s[4:5], 0x38
	s_ashr_i32 s12, s7, 31
	s_andn2_b32 vcc_lo, exec_lo, s15
	s_ashr_i32 s19, s19, 31
	s_cbranch_vccnz .LBB90_9
; %bb.8:
	s_mul_i32 s7, s9, s16
	s_add_i32 s7, s7, s6
	s_mul_i32 s3, s7, s3
	s_add_i32 s38, s3, 1
.LBB90_9:
	s_clause 0x4
	s_load_dword s3, s[4:5], 0x48
	s_load_dwordx2 s[34:35], s[4:5], 0x28
	s_load_dword s7, s[4:5], 0x98
	s_load_dwordx4 s[20:23], s[4:5], 0x0
	s_load_dwordx2 s[24:25], s[4:5], 0x10
	s_xor_b32 s15, s12, s19
	s_mul_i32 s12, s0, s11
	s_add_i32 s16, s0, 1
	s_sub_i32 s2, s2, s12
	v_lshrrev_b32_e32 v12, 5, v0
	v_mov_b32_e32 v7, 0xff7fffff
	v_mbcnt_lo_u32_b32 v4, -1, 0
	s_mul_i32 s14, s1, s14
	v_lshl_add_u32 v13, v12, 4, s39
	s_waitcnt lgkmcnt(0)
	s_mul_i32 s30, s3, s26
	s_sub_i32 s3, s2, s11
	s_ashr_i32 s31, s30, 31
	s_cmp_ge_u32 s2, s11
	s_cselect_b32 s0, s16, s0
	s_cselect_b32 s2, s3, s2
	s_add_i32 s3, s0, 1
	s_cmp_ge_u32 s2, s11
	s_cselect_b32 s0, s3, s0
	s_add_i32 s2, s27, 15
	s_lshl_b32 s12, s8, 5
	s_ashr_i32 s3, s2, 31
	v_or_b32_e32 v5, s12, v12
	s_lshr_b32 s3, s3, 28
	s_add_i32 s2, s2, s3
	s_add_i32 s3, s12, 32
	s_ashr_i32 s36, s2, 4
	s_xor_b32 s2, s0, s15
	s_min_i32 s16, s3, s36
	v_ashrrev_i32_e32 v6, 31, v5
	v_cmp_gt_i32_e64 s0, s16, v5
	s_sub_i32 s40, s2, s15
	s_and_saveexec_b32 s42, s0
	s_cbranch_execz .LBB90_21
; %bb.10:
	s_load_dwordx2 s[2:3], s[4:5], 0x20
	s_ashr_i32 s15, s14, 31
	s_sub_i32 s4, s40, s17
	s_lshl_b64 s[44:45], s[14:15], 1
	v_bfe_u32 v8, v0, 1, 4
	v_and_b32_e32 v19, 8, v3
	v_lshlrev_b32_e32 v9, 5, v11
	v_cmp_neq_f32_e64 s1, s41, 0
	v_lshl_add_u32 v14, v12, 4, s39
	v_lshlrev_b32_e32 v17, 2, v8
	v_subrev_nc_u32_e32 v20, s27, v8
	v_lshlrev_b32_e32 v23, 4, v8
	v_mov_b32_e32 v15, 0xff7fffff
	v_xor_b32_e32 v16, 1, v4
	v_lshl_or_b32 v21, v12, 6, v17
	v_add_nc_u32_e32 v17, 1, v20
	v_cmp_eq_u32_e32 vcc_lo, 0, v11
	s_waitcnt lgkmcnt(0)
	s_add_u32 s15, s2, s44
	s_addc_u32 s43, s3, s45
	s_abs_i32 s5, s18
	v_cvt_f32_u32_e32 v1, s5
	s_sub_i32 s2, 0, s5
	v_rcp_iflag_f32_e32 v7, v1
	v_lshlrev_b64 v[1:2], 2, v[5:6]
	v_mul_f32_e32 v18, 0x4f7ffffe, v7
	v_mov_b32_e32 v7, 0xff7fffff
	v_cvt_u32_f32_e32 v22, v18
	v_add_nc_u32_e32 v18, 0x60, v21
	v_add_co_u32 v21, s15, s15, v23
	v_add_co_ci_u32_e64 v23, null, s43, 0, s15
	v_mul_lo_u32 v20, s2, v22
	s_lshl_b64 s[2:3], s[30:31], 2
	s_mov_b32 s15, 0
	s_add_u32 s2, s28, s2
	s_addc_u32 s3, s29, s3
	v_add_co_u32 v1, s2, s2, v1
	v_add_co_ci_u32_e64 v2, null, s3, v2, s2
	v_mul_hi_u32 v24, v22, v20
	v_add_co_u32 v19, s2, v21, v19
	v_add_co_ci_u32_e64 v20, null, 0, v23, s2
	s_mov_b32 s43, s13
	v_add_nc_u32_e32 v21, v22, v24
	v_mov_b32_e32 v22, v5
	s_branch .LBB90_13
.LBB90_11:                              ;   in Loop: Header=BB90_13 Depth=1
	s_or_b32 exec_lo, exec_lo, s44
.LBB90_12:                              ;   in Loop: Header=BB90_13 Depth=1
	s_or_b32 exec_lo, exec_lo, s3
	v_add_nc_u32_e32 v22, 4, v22
	v_add_co_u32 v1, s3, v1, 16
	v_add_co_ci_u32_e64 v2, null, 0, v2, s3
	v_cmp_le_i32_e64 s2, s16, v22
	v_add_nc_u32_e32 v14, 64, v14
	v_add_nc_u32_e32 v18, 0x100, v18
	s_or_b32 s15, s2, s15
	s_andn2_b32 exec_lo, exec_lo, s15
	s_cbranch_execz .LBB90_20
.LBB90_13:                              ; =>This Inner Loop Header: Depth=1
	v_sub_nc_u32_e32 v23, 0, v14
	v_max_i32_e32 v23, v14, v23
	s_waitcnt lgkmcnt(0)
	v_mul_hi_u32 v24, v23, s33
	v_mul_lo_u32 v25, v24, s11
	v_sub_nc_u32_e32 v23, v23, v25
	v_add_nc_u32_e32 v25, 1, v24
	v_subrev_nc_u32_e32 v26, s11, v23
	v_cmp_le_u32_e64 s2, s11, v23
	v_cndmask_b32_e64 v24, v24, v25, s2
	v_cndmask_b32_e64 v23, v23, v26, s2
	v_ashrrev_i32_e32 v25, 31, v14
	v_add_nc_u32_e32 v26, 1, v24
	v_cmp_le_u32_e64 s2, s11, v23
	v_xor_b32_e32 v25, s19, v25
	v_cndmask_b32_e64 v23, v24, v26, s2
	v_xor_b32_e32 v23, v23, v25
	v_sub_nc_u32_e32 v23, v23, v25
	v_add_nc_u32_e32 v24, s38, v23
	v_cmp_ge_i32_e64 s3, s4, v23
	v_sub_nc_u32_e32 v25, 0, v24
	v_max_i32_e32 v25, v24, v25
	v_ashrrev_i32_e32 v24, 31, v24
	v_mul_hi_u32 v26, v25, v21
	v_mul_lo_u32 v26, v26, s5
	v_sub_nc_u32_e32 v25, v25, v26
	v_subrev_nc_u32_e32 v26, s5, v25
	v_cmp_le_u32_e64 s2, s5, v25
	v_cndmask_b32_e64 v25, v25, v26, s2
	v_subrev_nc_u32_e32 v26, s5, v25
	v_cmp_le_u32_e64 s2, s5, v25
	v_cndmask_b32_e64 v25, v25, v26, s2
	v_xor_b32_e32 v25, v25, v24
	v_sub_nc_u32_e32 v24, v25, v24
	v_cmp_ne_u32_e64 s2, 0, v24
	s_and_b32 s2, s2, s3
	s_and_saveexec_b32 s3, s2
	s_xor_b32 s2, exec_lo, s3
	s_cbranch_execz .LBB90_17
; %bb.14:                               ;   in Loop: Header=BB90_13 Depth=1
	s_and_saveexec_b32 s3, vcc_lo
; %bb.15:                               ;   in Loop: Header=BB90_13 Depth=1
	ds_write_b32 v18, v15
; %bb.16:                               ;   in Loop: Header=BB90_13 Depth=1
	s_or_b32 exec_lo, exec_lo, s3
.LBB90_17:                              ;   in Loop: Header=BB90_13 Depth=1
	s_andn2_saveexec_b32 s3, s2
	s_cbranch_execz .LBB90_12
; %bb.18:                               ;   in Loop: Header=BB90_13 Depth=1
	global_load_dword v23, v[1:2], off
	s_waitcnt vmcnt(0)
	v_mad_i64_i32 v[23:24], null, v23, s43, 0
	v_lshlrev_b64 v[23:24], 1, v[23:24]
	v_add_co_u32 v23, s2, v19, v23
	v_add_co_ci_u32_e64 v24, null, v20, v24, s2
	v_cmp_gt_i32_e64 s2, 32, v16
	s_clause 0x3
	global_load_dwordx2 v[25:26], v[23:24], off
	global_load_dwordx2 v[27:28], v[23:24], off offset:256
	global_load_dwordx2 v[29:30], v[23:24], off offset:512
	;; [unrolled: 1-line block ×3, first 2 shown]
	ds_read_b64 v[31:32], v9
	s_waitcnt lgkmcnt(0)
	v_and_b32_e32 v33, 0xffff, v31
	v_lshrrev_b32_e32 v34, 16, v31
	v_lshrrev_b32_e32 v36, 16, v32
	v_and_b32_e32 v35, 0xffff, v32
	;;#ASMSTART
	v_cvt_f32_f16 v31, v33;
	;;#ASMEND
	;;#ASMSTART
	v_cvt_f32_f16 v32, v34;
	;;#ASMEND
	s_waitcnt vmcnt(3)
	v_and_b32_e32 v33, 0xffff, v25
	v_lshrrev_b32_e32 v25, 16, v25
	v_lshrrev_b32_e32 v38, 16, v26
	v_and_b32_e32 v26, 0xffff, v26
	;;#ASMSTART
	v_cvt_f32_f16 v33, v33;
	;;#ASMEND
	;;#ASMSTART
	v_cvt_f32_f16 v34, v25;
	;;#ASMEND
	;; [unrolled: 3-line block ×6, first 2 shown]
	ds_read_b64 v[25:26], v9 offset:8
	s_waitcnt vmcnt(2)
	v_lshrrev_b32_e32 v40, 16, v27
	v_and_b32_e32 v39, 0xffff, v27
	v_lshrrev_b32_e32 v44, 16, v28
	v_and_b32_e32 v43, 0xffff, v28
	s_waitcnt vmcnt(1)
	v_lshrrev_b32_e32 v46, 16, v29
	v_and_b32_e32 v45, 0xffff, v29
	v_lshrrev_b32_e32 v50, 16, v30
	v_and_b32_e32 v49, 0xffff, v30
	s_waitcnt vmcnt(0)
	v_lshrrev_b32_e32 v51, 16, v23
	v_and_b32_e32 v52, 0xffff, v23
	s_waitcnt lgkmcnt(0)
	v_and_b32_e32 v27, 0xffff, v25
	v_lshrrev_b32_e32 v25, 16, v25
	v_lshrrev_b32_e32 v42, 16, v26
	v_and_b32_e32 v26, 0xffff, v26
	;;#ASMSTART
	v_cvt_f32_f16 v27, v27;
	;;#ASMEND
	;;#ASMSTART
	v_cvt_f32_f16 v28, v25;
	;;#ASMEND
	;; [unrolled: 3-line block ×8, first 2 shown]
	ds_read_b64 v[25:26], v9 offset:16
	v_mul_f32_e32 v23, v27, v39
	v_mul_f32_e32 v27, v28, v40
	v_mul_f32_e32 v28, v41, v43
	v_mul_f32_e32 v39, v42, v44
	v_lshrrev_b32_e32 v40, 16, v24
	v_fmac_f32_e32 v23, v31, v33
	v_fmac_f32_e32 v27, v32, v34
	;; [unrolled: 1-line block ×3, first 2 shown]
	v_and_b32_e32 v31, 0xffff, v24
	v_fmac_f32_e32 v39, v36, v38
	s_waitcnt lgkmcnt(0)
	v_and_b32_e32 v29, 0xffff, v25
	v_lshrrev_b32_e32 v25, 16, v25
	v_lshrrev_b32_e32 v48, 16, v26
	v_and_b32_e32 v26, 0xffff, v26
	;;#ASMSTART
	v_cvt_f32_f16 v29, v29;
	;;#ASMEND
	;;#ASMSTART
	v_cvt_f32_f16 v30, v25;
	;;#ASMEND
	;; [unrolled: 3-line block ×8, first 2 shown]
	ds_read_b64 v[25:26], v9 offset:24
	v_fmac_f32_e32 v23, v29, v45
	v_fmac_f32_e32 v27, v30, v46
	;; [unrolled: 1-line block ×4, first 2 shown]
	s_waitcnt lgkmcnt(0)
	v_and_b32_e32 v24, 0xffff, v25
	v_lshrrev_b32_e32 v25, 16, v25
	v_lshrrev_b32_e32 v30, 16, v26
	v_and_b32_e32 v32, 0xffff, v26
	;;#ASMSTART
	v_cvt_f32_f16 v24, v24;
	;;#ASMEND
	;;#ASMSTART
	v_cvt_f32_f16 v25, v25;
	;;#ASMEND
	;; [unrolled: 3-line block ×4, first 2 shown]
	v_fmac_f32_e32 v23, v24, v26
	v_fmac_f32_e32 v27, v25, v29
	;;#ASMSTART
	v_cvt_f32_f16 v24, v32;
	;;#ASMEND
	;;#ASMSTART
	v_cvt_f32_f16 v25, v30;
	;;#ASMEND
	;; [unrolled: 3-line block ×3, first 2 shown]
	v_fmac_f32_e32 v28, v24, v26
	v_add_f32_e32 v23, v23, v27
	;;#ASMSTART
	v_cvt_f32_f16 v24, v40;
	;;#ASMEND
	v_fmac_f32_e32 v39, v25, v24
	v_cndmask_b32_e64 v24, v4, v16, s2
	v_add_f32_e32 v23, v23, v28
	v_lshlrev_b32_e32 v24, 2, v24
	v_add_f32_e32 v23, v39, v23
	ds_bpermute_b32 v24, v24, v23
	s_and_saveexec_b32 s44, vcc_lo
	s_cbranch_execz .LBB90_11
; %bb.19:                               ;   in Loop: Header=BB90_13 Depth=1
	v_add_nc_u32_e32 v25, v17, v14
	s_waitcnt lgkmcnt(0)
	v_add_f32_e32 v23, v23, v24
	v_cvt_f32_i32_e32 v25, v25
	v_mul_f32_e32 v25, s41, v25
	v_cndmask_b32_e64 v24, 0, v25, s1
	v_max_f32_e32 v25, v7, v7
	v_fmac_f32_e32 v24, s37, v23
	v_add_nc_u32_e32 v23, v8, v14
	v_max_f32_e32 v25, v25, v24
	v_cmp_gt_i32_e64 s2, s27, v23
	v_cndmask_b32_e64 v23, 0, v24, s2
	v_cndmask_b32_e64 v7, v7, v25, s2
	ds_write_b32 v18, v23
	s_branch .LBB90_11
.LBB90_20:
	s_or_b32 exec_lo, exec_lo, s15
.LBB90_21:
	s_or_b32 exec_lo, exec_lo, s42
	v_xor_b32_e32 v1, 16, v4
	v_xor_b32_e32 v2, 8, v4
	v_max_f32_e32 v9, v7, v7
	v_xor_b32_e32 v14, 2, v4
	v_lshlrev_b32_e32 v16, 2, v12
	v_cmp_gt_i32_e32 vcc_lo, 32, v1
	v_cndmask_b32_e32 v1, v4, v1, vcc_lo
	v_cmp_gt_i32_e32 vcc_lo, 32, v2
	v_lshlrev_b32_e32 v8, 2, v1
	v_cndmask_b32_e32 v2, v4, v2, vcc_lo
	ds_bpermute_b32 v1, v8, v7
	v_lshlrev_b32_e32 v7, 2, v2
	s_waitcnt lgkmcnt(0)
	v_max_f32_e32 v1, v1, v1
	v_max_f32_e32 v1, v9, v1
	v_xor_b32_e32 v9, 4, v4
	ds_bpermute_b32 v2, v7, v1
	v_cmp_gt_i32_e32 vcc_lo, 32, v9
	v_cndmask_b32_e32 v9, v4, v9, vcc_lo
	v_cmp_gt_i32_e32 vcc_lo, 32, v14
	v_lshlrev_b32_e32 v9, 2, v9
	v_cndmask_b32_e32 v14, v4, v14, vcc_lo
	s_waitcnt lgkmcnt(0)
	v_max_f32_e32 v2, v2, v2
	v_max_f32_e32 v1, v1, v2
	ds_bpermute_b32 v2, v9, v1
	s_waitcnt lgkmcnt(0)
	v_max_f32_e32 v2, v2, v2
	v_max_f32_e32 v1, v1, v2
	v_lshlrev_b32_e32 v2, 2, v14
	v_and_b32_e32 v14, 31, v0
	ds_bpermute_b32 v15, v2, v1
	v_cmp_eq_u32_e32 vcc_lo, 0, v14
	s_and_saveexec_b32 s1, vcc_lo
	s_cbranch_execz .LBB90_23
; %bb.22:
	s_waitcnt lgkmcnt(0)
	v_max_f32_e32 v15, v15, v15
	v_max_f32_e32 v1, v1, v1
	;; [unrolled: 1-line block ×3, first 2 shown]
	ds_write_b32 v16, v1 offset:64
.LBB90_23:
	s_or_b32 exec_lo, exec_lo, s1
	v_cmp_gt_u32_e64 s1, 4, v14
	v_mov_b32_e32 v1, 0xff7fffff
	v_lshlrev_b32_e32 v17, 2, v14
	s_waitcnt lgkmcnt(0)
	s_barrier
	buffer_gl0_inv
	s_and_saveexec_b32 s2, s1
; %bb.24:
	ds_read_b32 v1, v17 offset:64
; %bb.25:
	s_or_b32 exec_lo, exec_lo, s2
	s_waitcnt lgkmcnt(0)
	ds_bpermute_b32 v15, v2, v1
	v_xor_b32_e32 v18, 1, v4
	v_max_f32_e32 v1, v1, v1
	v_cmp_gt_i32_e64 s2, 32, v18
	v_cndmask_b32_e64 v4, v4, v18, s2
	s_sub_i32 s2, s16, s12
	s_lshl_b32 s2, s2, 4
	s_add_i32 s2, s2, s39
	s_min_i32 s2, s2, s27
	s_sub_i32 s4, s2, s39
	s_waitcnt lgkmcnt(0)
	v_max_f32_e32 v18, v15, v15
	v_lshlrev_b32_e32 v15, 2, v4
	v_cmp_gt_i32_e64 s2, s4, v0
	v_max_f32_e32 v1, v1, v18
	v_mov_b32_e32 v18, 0
	ds_bpermute_b32 v4, v15, v1
	s_waitcnt lgkmcnt(0)
	v_max_f32_e32 v4, v4, v4
	v_max_f32_e32 v1, v1, v4
	v_lshl_add_u32 v4, v0, 2, 0x60
	ds_bpermute_b32 v1, v18, v1
	s_and_saveexec_b32 s5, s2
	s_cbranch_execz .LBB90_29
; %bb.26:
	v_lshl_add_u32 v19, v0, 2, 0x60
	v_mov_b32_e32 v18, 0
	v_mov_b32_e32 v20, v0
	s_mov_b32 s15, 0
	.p2align	6
.LBB90_27:                              ; =>This Inner Loop Header: Depth=1
	ds_read_b32 v21, v19
	v_add_nc_u32_e32 v20, 0x80, v20
	v_cmp_le_i32_e64 s3, s4, v20
	s_or_b32 s15, s3, s15
	s_waitcnt lgkmcnt(0)
	v_sub_f32_e32 v21, v21, v1
	v_mul_f32_e32 v21, 0x3fb8aa3b, v21
	v_exp_f32_e32 v21, v21
	ds_write_b32 v19, v21
	v_add_f32_e32 v18, v18, v21
	v_add_nc_u32_e32 v19, 0x200, v19
	s_andn2_b32 exec_lo, exec_lo, s15
	s_cbranch_execnz .LBB90_27
; %bb.28:
	s_or_b32 exec_lo, exec_lo, s15
.LBB90_29:
	s_or_b32 exec_lo, exec_lo, s5
	ds_bpermute_b32 v8, v8, v18
	s_waitcnt lgkmcnt(0)
	v_add_f32_e32 v8, v18, v8
	ds_bpermute_b32 v7, v7, v8
	s_waitcnt lgkmcnt(0)
	v_add_f32_e32 v7, v8, v7
	;; [unrolled: 3-line block ×5, first 2 shown]
	s_and_saveexec_b32 s3, vcc_lo
; %bb.30:
	ds_write_b32 v16, v7 offset:80
; %bb.31:
	s_or_b32 exec_lo, exec_lo, s3
	s_waitcnt lgkmcnt(0)
	s_barrier
	buffer_gl0_inv
	s_and_saveexec_b32 s3, s1
; %bb.32:
	ds_read_b32 v7, v17 offset:80
; %bb.33:
	s_or_b32 exec_lo, exec_lo, s3
	s_waitcnt lgkmcnt(0)
	ds_bpermute_b32 v2, v2, v7
	s_waitcnt lgkmcnt(0)
	v_add_f32_e32 v2, v7, v2
	ds_bpermute_b32 v7, v15, v2
	s_waitcnt lgkmcnt(0)
	v_add_f32_e32 v2, v2, v7
	v_mov_b32_e32 v7, 0
	ds_bpermute_b32 v2, v7, v2
	s_and_saveexec_b32 s1, s2
	s_cbranch_execz .LBB90_36
; %bb.34:
	s_waitcnt lgkmcnt(0)
	v_add_f32_e32 v7, 0x358637bd, v2
	s_mov_b32 s2, 0
	v_div_scale_f32 v8, null, v7, v7, 1.0
	v_div_scale_f32 v17, vcc_lo, 1.0, v7, 1.0
	v_rcp_f32_e32 v9, v8
	v_fma_f32 v16, -v8, v9, 1.0
	v_fmac_f32_e32 v9, v16, v9
	v_mul_f32_e32 v16, v17, v9
	v_fma_f32 v18, -v8, v16, v17
	v_fmac_f32_e32 v16, v18, v9
	v_fma_f32 v8, -v8, v16, v17
	v_div_fmas_f32 v8, v8, v9, v16
	v_div_fixup_f32 v7, v8, v7, 1.0
	v_mov_b32_e32 v8, v0
.LBB90_35:                              ; =>This Inner Loop Header: Depth=1
	ds_read_b32 v9, v4
	v_add_nc_u32_e32 v8, 0x80, v8
	v_cmp_le_i32_e32 vcc_lo, s4, v8
	s_or_b32 s2, vcc_lo, s2
	s_waitcnt lgkmcnt(0)
	v_mul_f32_e32 v9, v7, v9
	ds_write_b32 v4, v9
	v_add_nc_u32_e32 v4, 0x200, v4
	s_andn2_b32 exec_lo, exec_lo, s2
	s_cbranch_execnz .LBB90_35
.LBB90_36:
	s_or_b32 exec_lo, exec_lo, s1
	s_mul_i32 s1, s7, s26
	s_waitcnt lgkmcnt(0)
	s_mul_i32 s2, s1, s9
	s_mov_b32 s1, exec_lo
	s_barrier
	buffer_gl0_inv
	v_cmpx_eq_u32_e32 0, v0
	s_cbranch_execz .LBB90_38
; %bb.37:
	s_ashr_i32 s3, s2, 31
	s_mul_i32 s42, s7, s6
	s_lshl_b64 s[4:5], s[2:3], 2
	v_mov_b32_e32 v4, 0
	s_add_u32 s3, s22, s4
	s_addc_u32 s6, s23, s5
	s_ashr_i32 s43, s42, 31
	s_lshl_b64 s[22:23], s[42:43], 2
	s_add_u32 s3, s3, s22
	s_addc_u32 s6, s6, s23
	s_ashr_i32 s9, s8, 31
	s_lshl_b64 s[8:9], s[8:9], 2
	s_add_u32 s42, s3, s8
	s_addc_u32 s43, s6, s9
	s_add_u32 s3, s20, s4
	s_addc_u32 s4, s21, s5
	;; [unrolled: 2-line block ×4, first 2 shown]
	global_store_dword v4, v1, s[42:43]
	global_store_dword v4, v2, s[4:5]
.LBB90_38:
	s_or_b32 exec_lo, exec_lo, s1
	v_mov_b32_e32 v19, 0
	v_mov_b32_e32 v17, 0
	s_and_saveexec_b32 s3, s0
	s_cbranch_execz .LBB90_48
; %bb.39:
	s_ashr_i32 s15, s14, 31
	s_sub_i32 s4, s40, s17
	s_lshl_b64 s[0:1], s[14:15], 1
	v_and_b32_e32 v16, 8, v3
	s_add_u32 s6, s34, s0
	s_addc_u32 s8, s35, s1
	s_abs_i32 s5, s18
	v_lshlrev_b32_e32 v3, 4, v0
	v_cvt_f32_u32_e32 v1, s5
	s_sub_i32 s0, 0, s5
	s_add_i32 s36, s36, -1
	v_mov_b32_e32 v18, 0
	v_and_b32_e32 v3, 0x1f0, v3
	v_rcp_iflag_f32_e32 v1, v1
	v_mov_b32_e32 v17, 0
	v_mov_b32_e32 v19, 0
	v_add_co_u32 v20, s6, s6, v3
	v_add_co_ci_u32_e64 v21, null, s8, 0, s6
	s_mov_b32 s8, s13
	s_mov_b32 s6, 0
	v_mul_f32_e32 v1, 0x4f7ffffe, v1
	v_cvt_u32_f32_e32 v4, v1
	v_lshlrev_b64 v[1:2], 2, v[5:6]
	v_lshlrev_b32_e32 v6, 5, v11
	v_mul_lo_u32 v7, s0, v4
	s_lshl_b64 s[0:1], s[30:31], 2
	v_lshl_or_b32 v6, v12, 6, v6
	s_add_u32 s0, s28, s0
	s_addc_u32 s1, s29, s1
	v_add_nc_u32_e32 v22, 0x60, v6
	v_mul_hi_u32 v8, v4, v7
	v_add_co_u32 v6, vcc_lo, s0, v1
	v_add_co_ci_u32_e64 v7, null, s1, v2, vcc_lo
	v_add_nc_u32_e32 v23, v4, v8
	s_branch .LBB90_42
.LBB90_40:                              ;   in Loop: Header=BB90_42 Depth=1
	s_or_b32 exec_lo, exec_lo, s1
	v_lshlrev_b32_e32 v24, 16, v38
	v_lshlrev_b32_e32 v9, 16, v9
	;; [unrolled: 1-line block ×3, first 2 shown]
	v_and_or_b32 v1, 0xffff, v1, v24
	v_and_or_b32 v2, 0xffff, v2, v9
	;; [unrolled: 1-line block ×3, first 2 shown]
	;;#ASMSTART
	v_pk_mul_f16 v1, v33, v1;

	;;#ASMEND
	;;#ASMSTART
	v_pk_mul_f16 v2, v32, v2;

	;;#ASMEND
	;; [unrolled: 4-line block ×4, first 2 shown]
	;;#ASMSTART
	v_pk_add_f16 v1, v1, v2;

	;;#ASMEND
	;;#ASMSTART
	v_pk_add_f16 v1, v1, v3;

	;;#ASMEND
	;; [unrolled: 4-line block ×3, first 2 shown]
	v_and_b32_e32 v2, 0xffff, v1
	v_lshrrev_b32_e32 v3, 16, v1
	;;#ASMSTART
	v_cvt_f32_f16 v2, v2;
	;;#ASMEND
	v_add_f32_e32 v1, v34, v37
	;;#ASMSTART
	v_cvt_f32_f16 v3, v3;
	;;#ASMEND
	v_add_f32_e32 v2, v2, v3
	v_add_f32_e32 v17, v17, v1
	;; [unrolled: 1-line block ×3, first 2 shown]
.LBB90_41:                              ;   in Loop: Header=BB90_42 Depth=1
	s_or_b32 exec_lo, exec_lo, s9
	v_add_nc_u32_e32 v5, 4, v5
	v_add_co_u32 v6, s0, v6, 16
	v_add_co_ci_u32_e64 v7, null, 0, v7, s0
	v_cmp_le_i32_e32 vcc_lo, s16, v5
	v_add_nc_u32_e32 v13, 64, v13
	v_add_nc_u32_e32 v22, 0x100, v22
	s_or_b32 s6, vcc_lo, s6
	s_andn2_b32 exec_lo, exec_lo, s6
	s_cbranch_execz .LBB90_47
.LBB90_42:                              ; =>This Inner Loop Header: Depth=1
	v_sub_nc_u32_e32 v1, 0, v13
	v_max_i32_e32 v1, v13, v1
	v_mul_hi_u32 v2, v1, s33
	v_mul_lo_u32 v3, v2, s11
	v_sub_nc_u32_e32 v1, v1, v3
	v_add_nc_u32_e32 v3, 1, v2
	v_subrev_nc_u32_e32 v4, s11, v1
	v_cmp_le_u32_e32 vcc_lo, s11, v1
	v_cndmask_b32_e32 v2, v2, v3, vcc_lo
	v_cndmask_b32_e32 v1, v1, v4, vcc_lo
	v_ashrrev_i32_e32 v3, 31, v13
	v_add_nc_u32_e32 v4, 1, v2
	v_cmp_le_u32_e32 vcc_lo, s11, v1
	v_xor_b32_e32 v3, s19, v3
	v_cndmask_b32_e32 v1, v2, v4, vcc_lo
	v_xor_b32_e32 v1, v1, v3
	v_sub_nc_u32_e32 v1, v1, v3
	v_add_nc_u32_e32 v2, s38, v1
	v_cmp_lt_i32_e64 s0, s4, v1
	v_sub_nc_u32_e32 v3, 0, v2
	v_max_i32_e32 v3, v2, v3
	v_ashrrev_i32_e32 v2, 31, v2
	v_mul_hi_u32 v4, v3, v23
	v_mul_lo_u32 v4, v4, s5
	v_sub_nc_u32_e32 v3, v3, v4
	v_subrev_nc_u32_e32 v4, s5, v3
	v_cmp_le_u32_e32 vcc_lo, s5, v3
	v_cndmask_b32_e32 v3, v3, v4, vcc_lo
	v_subrev_nc_u32_e32 v4, s5, v3
	v_cmp_le_u32_e32 vcc_lo, s5, v3
	v_cndmask_b32_e32 v3, v3, v4, vcc_lo
	v_xor_b32_e32 v3, v3, v2
	v_sub_nc_u32_e32 v2, v3, v2
	v_cmp_eq_u32_e32 vcc_lo, 0, v2
	s_or_b32 s0, vcc_lo, s0
	s_and_saveexec_b32 s9, s0
	s_cbranch_execz .LBB90_41
; %bb.43:                               ;   in Loop: Header=BB90_42 Depth=1
	global_load_dword v8, v[6:7], off
	ds_read2_b64 v[1:4], v22 offset1:1
	ds_read2_b64 v[24:27], v22 offset0:2 offset1:3
	v_add_nc_u32_e32 v29, v16, v13
	v_cmp_eq_u32_e64 s0, s36, v5
	s_waitcnt lgkmcnt(1)
	;;#ASMSTART
	v_cvt_f16_f32 v33, v1;

	;;#ASMEND
	;;#ASMSTART
	v_cvt_f16_f32 v32, v2;

	;;#ASMEND
	;; [unrolled: 4-line block ×4, first 2 shown]
	s_waitcnt lgkmcnt(0)
	;;#ASMSTART
	v_cvt_f16_f32 v39, v24;

	;;#ASMEND
	;;#ASMSTART
	v_cvt_f16_f32 v35, v25;

	;;#ASMEND
	;; [unrolled: 4-line block ×4, first 2 shown]
	v_add_nc_u32_e32 v31, 1, v29
	v_add_nc_u32_e32 v28, 2, v29
	;; [unrolled: 1-line block ×7, first 2 shown]
	s_waitcnt vmcnt(0)
	v_mad_i64_i32 v[8:9], null, v8, s8, 0
	v_lshlrev_b64 v[8:9], 1, v[8:9]
	v_add_co_u32 v8, vcc_lo, v20, v8
	v_add_co_ci_u32_e64 v9, null, v21, v9, vcc_lo
	global_load_dwordx4 v[1:4], v[8:9], off
	s_waitcnt vmcnt(0)
	v_lshrrev_b32_e32 v42, 16, v1
	v_lshrrev_b32_e32 v41, 16, v2
	v_lshrrev_b32_e32 v40, 16, v3
	s_and_saveexec_b32 s13, s0
	s_cbranch_execz .LBB90_45
; %bb.44:                               ;   in Loop: Header=BB90_42 Depth=1
	v_cmp_gt_i32_e32 vcc_lo, s27, v29
	v_and_b32_e32 v43, 0xffff0000, v4
	v_cmp_gt_i32_e64 s1, s27, v28
	v_cndmask_b32_e32 v1, 0, v1, vcc_lo
	v_cmp_gt_i32_e32 vcc_lo, s27, v31
	v_cndmask_b32_e64 v2, 0, v2, s1
	v_cmp_gt_i32_e64 s1, s27, v27
	v_cndmask_b32_e32 v42, 0, v42, vcc_lo
	v_cmp_gt_i32_e32 vcc_lo, s27, v30
	v_cndmask_b32_e64 v41, 0, v41, s1
	v_cndmask_b32_sdwa v4, v18, v4, vcc_lo dst_sel:DWORD dst_unused:UNUSED_PAD src0_sel:DWORD src1_sel:WORD_0
	v_cmp_gt_i32_e32 vcc_lo, s27, v26
	v_cndmask_b32_e32 v43, 0, v43, vcc_lo
	v_cmp_gt_i32_e32 vcc_lo, s27, v25
	v_or_b32_e32 v4, v4, v43
	v_cndmask_b32_e32 v3, 0, v3, vcc_lo
	v_cmp_gt_i32_e32 vcc_lo, s27, v24
	v_cndmask_b32_e32 v40, 0, v40, vcc_lo
.LBB90_45:                              ;   in Loop: Header=BB90_42 Depth=1
	s_or_b32 exec_lo, exec_lo, s13
	v_and_b32_e32 v33, 0xffff, v33
	v_and_b32_e32 v38, 0xffff, v38
	v_lshlrev_b32_e32 v42, 16, v42
	v_and_b32_e32 v39, 0xffff, v39
	v_and_b32_e32 v37, 0xffff, v37
	v_lshl_or_b32 v33, v32, 16, v33
	v_lshl_or_b32 v32, v36, 16, v38
	v_lshlrev_b32_e32 v36, 16, v41
	v_lshlrev_b32_e32 v38, 16, v40
	v_and_or_b32 v1, 0xffff, v1, v42
	;;#ASMSTART
	v_pk_mul_f16 v1, v33, v1;

	;;#ASMEND
	v_lshl_or_b32 v35, v35, 16, v39
	v_and_or_b32 v2, 0xffff, v2, v36
	v_and_or_b32 v3, 0xffff, v3, v38
	v_lshl_or_b32 v36, v34, 16, v37
	;;#ASMSTART
	v_pk_mul_f16 v2, v32, v2;

	;;#ASMEND
	;;#ASMSTART
	v_pk_mul_f16 v3, v35, v3;

	;;#ASMEND
	;; [unrolled: 4-line block ×3, first 2 shown]
	;;#ASMSTART
	v_pk_add_f16 v1, v1, v2;

	;;#ASMEND
	;;#ASMSTART
	v_pk_add_f16 v1, v1, v3;

	;;#ASMEND
	;;#ASMSTART
	v_pk_add_f16 v1, v1, v4;

	;;#ASMEND
	v_and_b32_e32 v2, 0xffff, v1
	v_lshrrev_b32_e32 v1, 16, v1
	;;#ASMSTART
	v_cvt_f32_f16 v34, v2;
	;;#ASMEND
	;;#ASMSTART
	v_cvt_f32_f16 v37, v1;
	;;#ASMEND
	global_load_dwordx4 v[1:4], v[8:9], off offset:512
	s_waitcnt vmcnt(0)
	v_lshrrev_b32_e32 v38, 16, v1
	v_lshrrev_b32_e32 v9, 16, v2
	;; [unrolled: 1-line block ×3, first 2 shown]
	s_and_saveexec_b32 s1, s0
	s_cbranch_execz .LBB90_40
; %bb.46:                               ;   in Loop: Header=BB90_42 Depth=1
	v_cmp_gt_i32_e32 vcc_lo, s27, v29
	v_cmp_gt_i32_e64 s0, s27, v28
	v_cndmask_b32_e32 v1, 0, v1, vcc_lo
	v_cmp_gt_i32_e32 vcc_lo, s27, v31
	v_cndmask_b32_e64 v2, 0, v2, s0
	v_cmp_gt_i32_e64 s0, s27, v27
	v_and_b32_e32 v27, 0xffff0000, v4
	v_cndmask_b32_e32 v38, 0, v38, vcc_lo
	v_cmp_gt_i32_e32 vcc_lo, s27, v30
	v_cndmask_b32_e64 v9, 0, v9, s0
	v_cndmask_b32_sdwa v4, v18, v4, vcc_lo dst_sel:DWORD dst_unused:UNUSED_PAD src0_sel:DWORD src1_sel:WORD_0
	v_cmp_gt_i32_e32 vcc_lo, s27, v26
	v_cndmask_b32_e32 v26, 0, v27, vcc_lo
	v_cmp_gt_i32_e32 vcc_lo, s27, v25
	v_or_b32_e32 v4, v4, v26
	v_cndmask_b32_e32 v3, 0, v3, vcc_lo
	v_cmp_gt_i32_e32 vcc_lo, s27, v24
	v_cndmask_b32_e32 v8, 0, v8, vcc_lo
	s_branch .LBB90_40
.LBB90_47:
	s_or_b32 exec_lo, exec_lo, s6
.LBB90_48:
	s_or_b32 exec_lo, exec_lo, s3
	ds_bpermute_b32 v1, v15, v17
	ds_bpermute_b32 v5, v15, v19
	v_lshrrev_b32_e32 v3, 1, v14
	v_and_b32_e32 v6, 0x3c1, v0
	s_mov_b32 s0, exec_lo
	s_waitcnt lgkmcnt(0)
	s_waitcnt_vscnt null, 0x0
	s_barrier
	v_lshl_add_u32 v4, v3, 2, 0x60
	buffer_gl0_inv
	v_add_f32_e32 v2, v17, v1
	v_add_f32_e32 v1, v19, v5
	v_cmpx_eq_u32_e32 64, v6
	s_cbranch_execz .LBB90_50
; %bb.49:
	v_lshl_add_u32 v5, v12, 7, v4
	v_add_nc_u32_e32 v6, 0xffffff00, v5
	v_add_nc_u32_e32 v5, 0xffffff40, v5
	ds_write_b32 v6, v2
	ds_write_b32 v5, v1
.LBB90_50:
	s_or_b32 exec_lo, exec_lo, s0
	v_and_b32_e32 v5, 0x3e0, v0
	v_lshlrev_b32_e32 v3, 2, v3
	s_mov_b32 s1, exec_lo
	v_cmp_eq_u32_e32 vcc_lo, 0, v11
	s_waitcnt lgkmcnt(0)
	v_lshlrev_b32_e32 v5, 2, v5
	s_barrier
	buffer_gl0_inv
	v_add3_u32 v3, 0x60, v5, v3
	v_cmpx_gt_u32_e32 64, v0
	s_cbranch_execz .LBB90_56
; %bb.51:
	s_and_saveexec_b32 s0, vcc_lo
	s_cbranch_execz .LBB90_53
; %bb.52:
	ds_read_b32 v5, v3
	s_waitcnt lgkmcnt(0)
	v_add_f32_e32 v2, v2, v5
.LBB90_53:
	s_or_b32 exec_lo, exec_lo, s0
	s_and_saveexec_b32 s0, vcc_lo
	s_cbranch_execz .LBB90_55
; %bb.54:
	ds_read_b32 v5, v3 offset:64
	s_waitcnt lgkmcnt(0)
	v_add_f32_e32 v1, v1, v5
.LBB90_55:
	s_or_b32 exec_lo, exec_lo, s0
.LBB90_56:
	s_or_b32 exec_lo, exec_lo, s1
	v_and_b32_e32 v5, 0x3e1, v0
	s_mov_b32 s1, exec_lo
	s_barrier
	buffer_gl0_inv
	v_cmpx_eq_u32_e32 32, v5
; %bb.57:
	ds_write2_b32 v4, v2, v1 offset1:16
; %bb.58:
	s_or_b32 exec_lo, exec_lo, s1
	s_mov_b32 s1, exec_lo
	s_waitcnt lgkmcnt(0)
	s_barrier
	buffer_gl0_inv
	v_cmpx_gt_u32_e32 32, v0
	s_cbranch_execz .LBB90_64
; %bb.59:
	s_and_saveexec_b32 s0, vcc_lo
	s_cbranch_execz .LBB90_61
; %bb.60:
	ds_read_b32 v0, v3
	s_waitcnt lgkmcnt(0)
	v_add_f32_e32 v2, v2, v0
.LBB90_61:
	s_or_b32 exec_lo, exec_lo, s0
	s_and_saveexec_b32 s0, vcc_lo
	s_cbranch_execz .LBB90_63
; %bb.62:
	ds_read_b32 v0, v3 offset:64
	s_waitcnt lgkmcnt(0)
	v_add_f32_e32 v1, v1, v0
.LBB90_63:
	s_or_b32 exec_lo, exec_lo, s0
.LBB90_64:
	s_or_b32 exec_lo, exec_lo, s1
	s_barrier
	buffer_gl0_inv
	s_mov_b32 s0, exec_lo
	v_cmpx_eq_u32_e32 0, v5
	s_cbranch_execz .LBB90_66
; %bb.65:
	s_lshl_b32 s0, s2, 5
	s_mul_i32 s2, s7, s10
	s_ashr_i32 s1, s0, 31
	v_lshlrev_b32_e32 v0, 1, v10
	s_lshl_b64 s[0:1], s[0:1], 1
	;;#ASMSTART
	v_cvt_f16_f32 v2, v2;

	;;#ASMEND
	s_add_u32 s4, s24, s0
	s_addc_u32 s5, s25, s1
	s_ashr_i32 s3, s2, 31
	s_lshl_b64 s[0:1], s[2:3], 1
	s_add_u32 s2, s4, s0
	s_addc_u32 s3, s5, s1
	s_ashr_i32 s13, s12, 31
	s_lshl_b64 s[0:1], s[12:13], 1
	s_add_u32 s0, s2, s0
	s_addc_u32 s1, s3, s1
	global_store_short v0, v2, s[0:1]
	;;#ASMSTART
	v_cvt_f16_f32 v1, v1;

	;;#ASMEND
	global_store_short v0, v1, s[0:1] offset:32
.LBB90_66:
	s_endpgm
	.section	.rodata,"a",@progbits
	.p2align	6, 0x0
	.amdhsa_kernel _ZN4vllm25paged_attention_v2_kernelIttLi32ELi16ELi128ELNS_18Fp8KVCacheDataTypeE0ELb1ELi512EEEvPfS2_PT_PKS3_PKT0_S9_ifPKiSB_iPKfiiiSD_SD_iiiii
		.amdhsa_group_segment_fixed_size 96
		.amdhsa_private_segment_fixed_size 0
		.amdhsa_kernarg_size 400
		.amdhsa_user_sgpr_count 6
		.amdhsa_user_sgpr_private_segment_buffer 1
		.amdhsa_user_sgpr_dispatch_ptr 0
		.amdhsa_user_sgpr_queue_ptr 0
		.amdhsa_user_sgpr_kernarg_segment_ptr 1
		.amdhsa_user_sgpr_dispatch_id 0
		.amdhsa_user_sgpr_flat_scratch_init 0
		.amdhsa_user_sgpr_private_segment_size 0
		.amdhsa_wavefront_size32 1
		.amdhsa_uses_dynamic_stack 0
		.amdhsa_system_sgpr_private_segment_wavefront_offset 0
		.amdhsa_system_sgpr_workgroup_id_x 1
		.amdhsa_system_sgpr_workgroup_id_y 1
		.amdhsa_system_sgpr_workgroup_id_z 1
		.amdhsa_system_sgpr_workgroup_info 0
		.amdhsa_system_vgpr_workitem_id 0
		.amdhsa_next_free_vgpr 53
		.amdhsa_next_free_sgpr 46
		.amdhsa_reserve_vcc 1
		.amdhsa_reserve_flat_scratch 0
		.amdhsa_float_round_mode_32 0
		.amdhsa_float_round_mode_16_64 0
		.amdhsa_float_denorm_mode_32 3
		.amdhsa_float_denorm_mode_16_64 3
		.amdhsa_dx10_clamp 1
		.amdhsa_ieee_mode 1
		.amdhsa_fp16_overflow 0
		.amdhsa_workgroup_processor_mode 1
		.amdhsa_memory_ordered 1
		.amdhsa_forward_progress 1
		.amdhsa_shared_vgpr_count 0
		.amdhsa_exception_fp_ieee_invalid_op 0
		.amdhsa_exception_fp_denorm_src 0
		.amdhsa_exception_fp_ieee_div_zero 0
		.amdhsa_exception_fp_ieee_overflow 0
		.amdhsa_exception_fp_ieee_underflow 0
		.amdhsa_exception_fp_ieee_inexact 0
		.amdhsa_exception_int_div_zero 0
	.end_amdhsa_kernel
	.section	.text._ZN4vllm25paged_attention_v2_kernelIttLi32ELi16ELi128ELNS_18Fp8KVCacheDataTypeE0ELb1ELi512EEEvPfS2_PT_PKS3_PKT0_S9_ifPKiSB_iPKfiiiSD_SD_iiiii,"axG",@progbits,_ZN4vllm25paged_attention_v2_kernelIttLi32ELi16ELi128ELNS_18Fp8KVCacheDataTypeE0ELb1ELi512EEEvPfS2_PT_PKS3_PKT0_S9_ifPKiSB_iPKfiiiSD_SD_iiiii,comdat
.Lfunc_end90:
	.size	_ZN4vllm25paged_attention_v2_kernelIttLi32ELi16ELi128ELNS_18Fp8KVCacheDataTypeE0ELb1ELi512EEEvPfS2_PT_PKS3_PKT0_S9_ifPKiSB_iPKfiiiSD_SD_iiiii, .Lfunc_end90-_ZN4vllm25paged_attention_v2_kernelIttLi32ELi16ELi128ELNS_18Fp8KVCacheDataTypeE0ELb1ELi512EEEvPfS2_PT_PKS3_PKT0_S9_ifPKiSB_iPKfiiiSD_SD_iiiii
                                        ; -- End function
	.set _ZN4vllm25paged_attention_v2_kernelIttLi32ELi16ELi128ELNS_18Fp8KVCacheDataTypeE0ELb1ELi512EEEvPfS2_PT_PKS3_PKT0_S9_ifPKiSB_iPKfiiiSD_SD_iiiii.num_vgpr, 53
	.set _ZN4vllm25paged_attention_v2_kernelIttLi32ELi16ELi128ELNS_18Fp8KVCacheDataTypeE0ELb1ELi512EEEvPfS2_PT_PKS3_PKT0_S9_ifPKiSB_iPKfiiiSD_SD_iiiii.num_agpr, 0
	.set _ZN4vllm25paged_attention_v2_kernelIttLi32ELi16ELi128ELNS_18Fp8KVCacheDataTypeE0ELb1ELi512EEEvPfS2_PT_PKS3_PKT0_S9_ifPKiSB_iPKfiiiSD_SD_iiiii.numbered_sgpr, 46
	.set _ZN4vllm25paged_attention_v2_kernelIttLi32ELi16ELi128ELNS_18Fp8KVCacheDataTypeE0ELb1ELi512EEEvPfS2_PT_PKS3_PKT0_S9_ifPKiSB_iPKfiiiSD_SD_iiiii.num_named_barrier, 0
	.set _ZN4vllm25paged_attention_v2_kernelIttLi32ELi16ELi128ELNS_18Fp8KVCacheDataTypeE0ELb1ELi512EEEvPfS2_PT_PKS3_PKT0_S9_ifPKiSB_iPKfiiiSD_SD_iiiii.private_seg_size, 0
	.set _ZN4vllm25paged_attention_v2_kernelIttLi32ELi16ELi128ELNS_18Fp8KVCacheDataTypeE0ELb1ELi512EEEvPfS2_PT_PKS3_PKT0_S9_ifPKiSB_iPKfiiiSD_SD_iiiii.uses_vcc, 1
	.set _ZN4vllm25paged_attention_v2_kernelIttLi32ELi16ELi128ELNS_18Fp8KVCacheDataTypeE0ELb1ELi512EEEvPfS2_PT_PKS3_PKT0_S9_ifPKiSB_iPKfiiiSD_SD_iiiii.uses_flat_scratch, 0
	.set _ZN4vllm25paged_attention_v2_kernelIttLi32ELi16ELi128ELNS_18Fp8KVCacheDataTypeE0ELb1ELi512EEEvPfS2_PT_PKS3_PKT0_S9_ifPKiSB_iPKfiiiSD_SD_iiiii.has_dyn_sized_stack, 0
	.set _ZN4vllm25paged_attention_v2_kernelIttLi32ELi16ELi128ELNS_18Fp8KVCacheDataTypeE0ELb1ELi512EEEvPfS2_PT_PKS3_PKT0_S9_ifPKiSB_iPKfiiiSD_SD_iiiii.has_recursion, 0
	.set _ZN4vllm25paged_attention_v2_kernelIttLi32ELi16ELi128ELNS_18Fp8KVCacheDataTypeE0ELb1ELi512EEEvPfS2_PT_PKS3_PKT0_S9_ifPKiSB_iPKfiiiSD_SD_iiiii.has_indirect_call, 0
	.section	.AMDGPU.csdata,"",@progbits
; Kernel info:
; codeLenInByte = 5604
; TotalNumSgprs: 48
; NumVgprs: 53
; ScratchSize: 0
; MemoryBound: 0
; FloatMode: 240
; IeeeMode: 1
; LDSByteSize: 96 bytes/workgroup (compile time only)
; SGPRBlocks: 0
; VGPRBlocks: 6
; NumSGPRsForWavesPerEU: 48
; NumVGPRsForWavesPerEU: 53
; Occupancy: 16
; WaveLimiterHint : 1
; COMPUTE_PGM_RSRC2:SCRATCH_EN: 0
; COMPUTE_PGM_RSRC2:USER_SGPR: 6
; COMPUTE_PGM_RSRC2:TRAP_HANDLER: 0
; COMPUTE_PGM_RSRC2:TGID_X_EN: 1
; COMPUTE_PGM_RSRC2:TGID_Y_EN: 1
; COMPUTE_PGM_RSRC2:TGID_Z_EN: 1
; COMPUTE_PGM_RSRC2:TIDIG_COMP_CNT: 0
	.section	.text._ZN4vllm25paged_attention_v2_kernelIttLi64ELi16ELi128ELNS_18Fp8KVCacheDataTypeE0ELb1ELi512EEEvPfS2_PT_PKS3_PKT0_S9_ifPKiSB_iPKfiiiSD_SD_iiiii,"axG",@progbits,_ZN4vllm25paged_attention_v2_kernelIttLi64ELi16ELi128ELNS_18Fp8KVCacheDataTypeE0ELb1ELi512EEEvPfS2_PT_PKS3_PKT0_S9_ifPKiSB_iPKfiiiSD_SD_iiiii,comdat
	.protected	_ZN4vllm25paged_attention_v2_kernelIttLi64ELi16ELi128ELNS_18Fp8KVCacheDataTypeE0ELb1ELi512EEEvPfS2_PT_PKS3_PKT0_S9_ifPKiSB_iPKfiiiSD_SD_iiiii ; -- Begin function _ZN4vllm25paged_attention_v2_kernelIttLi64ELi16ELi128ELNS_18Fp8KVCacheDataTypeE0ELb1ELi512EEEvPfS2_PT_PKS3_PKT0_S9_ifPKiSB_iPKfiiiSD_SD_iiiii
	.globl	_ZN4vllm25paged_attention_v2_kernelIttLi64ELi16ELi128ELNS_18Fp8KVCacheDataTypeE0ELb1ELi512EEEvPfS2_PT_PKS3_PKT0_S9_ifPKiSB_iPKfiiiSD_SD_iiiii
	.p2align	8
	.type	_ZN4vllm25paged_attention_v2_kernelIttLi64ELi16ELi128ELNS_18Fp8KVCacheDataTypeE0ELb1ELi512EEEvPfS2_PT_PKS3_PKT0_S9_ifPKiSB_iPKfiiiSD_SD_iiiii,@function
_ZN4vllm25paged_attention_v2_kernelIttLi64ELi16ELi128ELNS_18Fp8KVCacheDataTypeE0ELb1ELi512EEEvPfS2_PT_PKS3_PKT0_S9_ifPKiSB_iPKfiiiSD_SD_iiiii: ; @_ZN4vllm25paged_attention_v2_kernelIttLi64ELi16ELi128ELNS_18Fp8KVCacheDataTypeE0ELb1ELi512EEEvPfS2_PT_PKS3_PKT0_S9_ifPKiSB_iPKfiiiSD_SD_iiiii
; %bb.0:
	s_load_dwordx2 s[0:1], s[4:5], 0x40
	s_mov_b32 s26, s7
	s_ashr_i32 s27, s7, 31
	s_lshl_b64 s[2:3], s[26:27], 2
	s_waitcnt lgkmcnt(0)
	s_add_u32 s0, s0, s2
	s_addc_u32 s1, s1, s3
	s_lshl_b32 s38, s8, 9
	s_load_dword s27, s[0:1], 0x0
	s_waitcnt lgkmcnt(0)
	s_cmp_ge_i32 s38, s27
	s_cbranch_scc1 .LBB91_72
; %bb.1:
	s_clause 0x1
	s_load_dword s9, s[4:5], 0x90
	s_load_dwordx2 s[36:37], s[4:5], 0x30
	s_mov_b32 s40, 0
	s_waitcnt lgkmcnt(0)
	s_abs_i32 s3, s9
	s_abs_i32 s0, s36
	v_cvt_f32_u32_e32 v1, s0
	s_sub_i32 s2, 0, s0
	v_rcp_iflag_f32_e32 v1, v1
	v_mul_f32_e32 v1, 0x4f7ffffe, v1
	v_cvt_u32_f32_e32 v1, v1
	v_readfirstlane_b32 s1, v1
	s_mul_i32 s2, s2, s1
	s_mul_hi_u32 s2, s1, s2
	s_add_i32 s1, s1, s2
	s_xor_b32 s2, s9, s36
	s_mul_hi_u32 s1, s3, s1
	s_ashr_i32 s2, s2, 31
	s_mul_i32 s7, s1, s0
	s_sub_i32 s3, s3, s7
	s_add_i32 s7, s1, 1
	s_sub_i32 s10, s3, s0
	s_cmp_ge_u32 s3, s0
	s_cselect_b32 s1, s7, s1
	s_cselect_b32 s3, s10, s3
	s_add_i32 s7, s1, 1
	s_cmp_ge_u32 s3, s0
	s_cselect_b32 s0, s7, s1
	s_xor_b32 s0, s0, s2
	s_sub_i32 s10, s0, s2
	s_load_dwordx2 s[0:1], s[4:5], 0x50
	s_abs_i32 s2, s10
	v_cvt_f32_u32_e32 v1, s2
	s_sub_i32 s3, 0, s2
	v_rcp_iflag_f32_e32 v1, v1
	v_mul_f32_e32 v1, 0x4f7ffffe, v1
	v_cvt_u32_f32_e32 v1, v1
	v_readfirstlane_b32 s7, v1
	s_mul_i32 s3, s3, s7
	s_mul_hi_u32 s11, s7, s3
	s_abs_i32 s3, s6
	s_add_i32 s7, s7, s11
	s_waitcnt lgkmcnt(0)
	s_cmp_eq_u64 s[0:1], 0
	s_mul_hi_u32 s20, s3, s7
	s_cbranch_scc1 .LBB91_3
; %bb.2:
	s_ashr_i32 s7, s6, 31
	s_lshl_b64 s[12:13], s[6:7], 2
	s_add_u32 s0, s0, s12
	s_addc_u32 s1, s1, s13
	s_load_dword s40, s[0:1], 0x0
.LBB91_3:
	s_load_dwordx4 s[12:15], s[4:5], 0x58
	v_lshrrev_b32_e32 v15, 1, v0
	v_and_b32_e32 v16, 1, v0
	v_lshlrev_b32_e32 v19, 3, v0
	s_ashr_i32 s0, s6, 31
	s_ashr_i32 s1, s10, 31
	s_lshl_b32 s10, s6, 6
	s_mov_b32 s7, exec_lo
	v_cmpx_gt_u32_e32 16, v0
	s_cbranch_execz .LBB91_5
; %bb.4:
	s_load_dwordx2 s[16:17], s[4:5], 0x18
	s_waitcnt lgkmcnt(0)
	s_mul_i32 s18, s12, s26
	v_lshlrev_b32_e32 v3, 3, v15
	s_ashr_i32 s19, s18, 31
	s_lshl_b64 s[18:19], s[18:19], 1
	v_lshl_add_u32 v3, v16, 6, v3
	s_add_u32 s12, s16, s18
	s_addc_u32 s15, s17, s19
	s_ashr_i32 s11, s10, 31
	s_lshl_b64 s[16:17], s[10:11], 1
	s_add_u32 s16, s12, s16
	s_addc_u32 s17, s15, s17
	global_load_dwordx2 v[1:2], v19, s[16:17]
	s_waitcnt vmcnt(0)
	ds_write_b64 v3, v[1:2]
.LBB91_5:
	s_or_b32 exec_lo, exec_lo, s7
	s_load_dwordx4 s[16:19], s[4:5], 0x78
	s_mul_i32 s7, s20, s2
	s_xor_b32 s0, s0, s1
	s_sub_i32 s1, s3, s7
	s_add_i32 s3, s20, 1
	s_sub_i32 s7, s1, s2
	s_cmp_ge_u32 s1, s2
                                        ; implicit-def: $sgpr33
	s_cselect_b32 s3, s3, s20
	s_cselect_b32 s1, s7, s1
	s_add_i32 s7, s3, 1
	s_cmp_ge_u32 s1, s2
	s_mov_b32 s20, -1
	s_cselect_b32 s1, s7, s3
	s_load_dword s3, s[4:5], 0x88
	s_xor_b32 s1, s1, s0
	s_add_i32 s7, s27, -1
	s_sub_i32 s1, s1, s0
	s_abs_i32 s2, s7
	s_waitcnt lgkmcnt(0)
	s_abs_i32 s11, s19
	s_barrier
	v_cvt_f32_u32_e32 v1, s11
	s_sub_i32 s0, 0, s11
	buffer_gl0_inv
	v_rcp_iflag_f32_e32 v1, v1
	v_mul_f32_e32 v1, 0x4f7ffffe, v1
	v_cvt_u32_f32_e32 v1, v1
	v_readfirstlane_b32 s12, v1
	s_mul_i32 s0, s0, s12
	s_mul_hi_u32 s0, s12, s0
	s_add_i32 s12, s12, s0
	s_cmp_lt_i32 s3, 0
	s_mul_hi_u32 s0, s2, s12
	s_cbranch_scc0 .LBB91_7
; %bb.6:
	s_mul_i32 s15, s16, s36
	s_mov_b32 s20, 0
	s_add_i32 s15, s1, s15
	s_mul_i32 s15, s15, s3
	s_sub_i32 s33, 1, s15
.LBB91_7:
	s_load_dwordx2 s[28:29], s[4:5], 0x38
	s_ashr_i32 s15, s7, 31
	s_andn2_b32 vcc_lo, exec_lo, s20
	s_ashr_i32 s19, s19, 31
	s_cbranch_vccnz .LBB91_9
; %bb.8:
	s_mul_i32 s7, s9, s16
	s_add_i32 s7, s7, s6
	s_mul_i32 s3, s7, s3
	s_add_i32 s33, s3, 1
.LBB91_9:
	s_clause 0x4
	s_load_dword s3, s[4:5], 0x48
	s_load_dwordx2 s[34:35], s[4:5], 0x28
	s_load_dword s7, s[4:5], 0x98
	s_load_dwordx4 s[20:23], s[4:5], 0x0
	s_load_dwordx2 s[24:25], s[4:5], 0x10
	s_mul_i32 s16, s0, s11
	s_xor_b32 s15, s15, s19
	s_sub_i32 s2, s2, s16
	s_add_i32 s36, s0, 1
	v_lshrrev_b32_e32 v17, 5, v0
	v_mov_b32_e32 v21, 0xff7fffff
	v_mbcnt_lo_u32_b32 v20, -1, 0
	s_mul_i32 s14, s1, s14
	v_lshl_add_u32 v18, v17, 4, s38
	s_waitcnt lgkmcnt(0)
	s_mul_i32 s30, s3, s26
	s_sub_i32 s3, s2, s11
	s_ashr_i32 s31, s30, 31
	s_cmp_ge_u32 s2, s11
	s_cselect_b32 s0, s36, s0
	s_cselect_b32 s2, s3, s2
	s_add_i32 s3, s0, 1
	s_cmp_ge_u32 s2, s11
	s_cselect_b32 s0, s3, s0
	s_add_i32 s2, s27, 15
	s_lshl_b32 s41, s8, 5
	s_ashr_i32 s3, s2, 31
	v_or_b32_e32 v5, s41, v17
	s_lshr_b32 s3, s3, 28
	s_add_i32 s2, s2, s3
	s_add_i32 s3, s41, 32
	s_ashr_i32 s36, s2, 4
	s_xor_b32 s2, s0, s15
	s_min_i32 s16, s3, s36
	v_ashrrev_i32_e32 v6, 31, v5
	v_cmp_gt_i32_e64 s0, s16, v5
	s_sub_i32 s39, s2, s15
	s_and_saveexec_b32 s42, s0
	s_cbranch_execz .LBB91_21
; %bb.10:
	s_load_dwordx2 s[2:3], s[4:5], 0x20
	s_ashr_i32 s15, s14, 31
	s_sub_i32 s4, s39, s17
	s_lshl_b64 s[44:45], s[14:15], 1
	v_bfe_u32 v22, v0, 1, 4
	v_and_b32_e32 v4, 8, v19
	v_lshlrev_b32_e32 v23, 6, v16
	v_cmp_neq_f32_e64 s1, s40, 0
	v_lshl_add_u32 v24, v17, 4, s38
	v_lshlrev_b32_e32 v7, 2, v22
	v_subrev_nc_u32_e32 v8, s27, v22
	v_lshlrev_b32_e32 v9, 4, v22
	v_mov_b32_e32 v25, 0xff7fffff
	v_xor_b32_e32 v26, 1, v20
	v_lshl_or_b32 v7, v17, 6, v7
	v_add_nc_u32_e32 v27, 1, v8
	v_mov_b32_e32 v21, 0xff7fffff
	v_mov_b32_e32 v32, v5
	v_cmp_eq_u32_e32 vcc_lo, 0, v16
	v_add_nc_u32_e32 v28, 0xa0, v7
	s_waitcnt lgkmcnt(0)
	s_add_u32 s15, s2, s44
	s_addc_u32 s43, s3, s45
	s_abs_i32 s5, s18
	v_add_co_u32 v8, s15, s15, v9
	v_cvt_f32_u32_e32 v1, s5
	s_sub_i32 s2, 0, s5
	v_add_co_ci_u32_e64 v9, null, s43, 0, s15
	s_mov_b32 s15, 0
	v_rcp_iflag_f32_e32 v3, v1
	v_lshlrev_b64 v[1:2], 2, v[5:6]
	s_mov_b32 s43, s13
	v_mul_f32_e32 v3, 0x4f7ffffe, v3
	v_cvt_u32_f32_e32 v3, v3
	v_mul_lo_u32 v7, s2, v3
	s_lshl_b64 s[2:3], s[30:31], 2
	s_add_u32 s2, s28, s2
	s_addc_u32 s3, s29, s3
	v_add_co_u32 v1, s2, s2, v1
	v_add_co_ci_u32_e64 v2, null, s3, v2, s2
	v_mul_hi_u32 v7, v3, v7
	v_add_co_u32 v29, s2, v8, v4
	v_add_co_ci_u32_e64 v30, null, 0, v9, s2
	v_add_nc_u32_e32 v31, v3, v7
	s_branch .LBB91_13
.LBB91_11:                              ;   in Loop: Header=BB91_13 Depth=1
	s_or_b32 exec_lo, exec_lo, s44
.LBB91_12:                              ;   in Loop: Header=BB91_13 Depth=1
	s_or_b32 exec_lo, exec_lo, s3
	v_add_nc_u32_e32 v32, 4, v32
	v_add_co_u32 v1, s3, v1, 16
	v_add_co_ci_u32_e64 v2, null, 0, v2, s3
	v_cmp_le_i32_e64 s2, s16, v32
	v_add_nc_u32_e32 v24, 64, v24
	v_add_nc_u32_e32 v28, 0x100, v28
	s_or_b32 s15, s2, s15
	s_andn2_b32 exec_lo, exec_lo, s15
	s_cbranch_execz .LBB91_20
.LBB91_13:                              ; =>This Inner Loop Header: Depth=1
	v_sub_nc_u32_e32 v3, 0, v24
	v_max_i32_e32 v3, v24, v3
	s_waitcnt lgkmcnt(0)
	v_mul_hi_u32 v4, v3, s12
	v_mul_lo_u32 v7, v4, s11
	v_sub_nc_u32_e32 v3, v3, v7
	v_add_nc_u32_e32 v7, 1, v4
	v_subrev_nc_u32_e32 v8, s11, v3
	v_cmp_le_u32_e64 s2, s11, v3
	v_cndmask_b32_e64 v4, v4, v7, s2
	v_cndmask_b32_e64 v3, v3, v8, s2
	v_ashrrev_i32_e32 v7, 31, v24
	v_add_nc_u32_e32 v8, 1, v4
	v_cmp_le_u32_e64 s2, s11, v3
	v_xor_b32_e32 v7, s19, v7
	v_cndmask_b32_e64 v3, v4, v8, s2
	v_xor_b32_e32 v3, v3, v7
	v_sub_nc_u32_e32 v3, v3, v7
	v_add_nc_u32_e32 v4, s33, v3
	v_cmp_ge_i32_e64 s3, s4, v3
	v_sub_nc_u32_e32 v7, 0, v4
	v_max_i32_e32 v7, v4, v7
	v_ashrrev_i32_e32 v4, 31, v4
	v_mul_hi_u32 v8, v7, v31
	v_mul_lo_u32 v8, v8, s5
	v_sub_nc_u32_e32 v7, v7, v8
	v_subrev_nc_u32_e32 v8, s5, v7
	v_cmp_le_u32_e64 s2, s5, v7
	v_cndmask_b32_e64 v7, v7, v8, s2
	v_subrev_nc_u32_e32 v8, s5, v7
	v_cmp_le_u32_e64 s2, s5, v7
	v_cndmask_b32_e64 v7, v7, v8, s2
	v_xor_b32_e32 v7, v7, v4
	v_sub_nc_u32_e32 v4, v7, v4
	v_cmp_ne_u32_e64 s2, 0, v4
	s_and_b32 s2, s2, s3
	s_and_saveexec_b32 s3, s2
	s_xor_b32 s2, exec_lo, s3
	s_cbranch_execz .LBB91_17
; %bb.14:                               ;   in Loop: Header=BB91_13 Depth=1
	s_and_saveexec_b32 s3, vcc_lo
; %bb.15:                               ;   in Loop: Header=BB91_13 Depth=1
	ds_write_b32 v28, v25
; %bb.16:                               ;   in Loop: Header=BB91_13 Depth=1
	s_or_b32 exec_lo, exec_lo, s3
.LBB91_17:                              ;   in Loop: Header=BB91_13 Depth=1
	s_andn2_saveexec_b32 s3, s2
	s_cbranch_execz .LBB91_12
; %bb.18:                               ;   in Loop: Header=BB91_13 Depth=1
	global_load_dword v3, v[1:2], off
	s_waitcnt vmcnt(0)
	v_mad_i64_i32 v[3:4], null, v3, s43, 0
	v_lshlrev_b64 v[3:4], 1, v[3:4]
	v_add_co_u32 v3, s2, v29, v3
	v_add_co_ci_u32_e64 v4, null, v30, v4, s2
	v_cmp_gt_i32_e64 s2, 32, v26
	s_clause 0x7
	global_load_dwordx2 v[34:35], v[3:4], off
	global_load_dwordx2 v[41:42], v[3:4], off offset:256
	global_load_dwordx2 v[49:50], v[3:4], off offset:512
	;; [unrolled: 1-line block ×7, first 2 shown]
	ds_read_b64 v[36:37], v23
	s_waitcnt lgkmcnt(0)
	v_and_b32_e32 v33, 0xffff, v36
	v_lshrrev_b32_e32 v36, 16, v36
	v_lshrrev_b32_e32 v39, 16, v37
	v_and_b32_e32 v40, 0xffff, v37
	;;#ASMSTART
	v_cvt_f32_f16 v33, v33;
	;;#ASMEND
	s_waitcnt vmcnt(7)
	v_and_b32_e32 v37, 0xffff, v34
	v_lshrrev_b32_e32 v38, 16, v34
	v_lshrrev_b32_e32 v43, 16, v35
	v_and_b32_e32 v44, 0xffff, v35
	;;#ASMSTART
	v_cvt_f32_f16 v34, v36;
	;;#ASMEND
	;;#ASMSTART
	v_cvt_f32_f16 v37, v37;
	;;#ASMEND
	;; [unrolled: 3-line block ×7, first 2 shown]
	ds_read_b64 v[43:44], v23 offset:8
	s_waitcnt vmcnt(6)
	v_lshrrev_b32_e32 v46, 16, v41
	v_and_b32_e32 v45, 0xffff, v41
	v_lshrrev_b32_e32 v48, 16, v42
	v_and_b32_e32 v47, 0xffff, v42
	s_waitcnt vmcnt(5)
	v_lshrrev_b32_e32 v56, 16, v49
	v_and_b32_e32 v49, 0xffff, v49
	v_lshrrev_b32_e32 v59, 16, v50
	v_and_b32_e32 v50, 0xffff, v50
	s_waitcnt vmcnt(4)
	v_lshrrev_b32_e32 v60, 16, v13
	v_and_b32_e32 v13, 0xffff, v13
	v_lshrrev_b32_e32 v64, 16, v14
	v_and_b32_e32 v14, 0xffff, v14
	s_waitcnt vmcnt(3)
	v_lshrrev_b32_e32 v66, 16, v11
	v_and_b32_e32 v11, 0xffff, v11
	v_lshrrev_b32_e32 v70, 16, v12
	v_and_b32_e32 v12, 0xffff, v12
	s_waitcnt vmcnt(2)
	v_lshrrev_b32_e32 v72, 16, v9
	v_and_b32_e32 v9, 0xffff, v9
	v_lshrrev_b32_e32 v76, 16, v10
	s_waitcnt lgkmcnt(0)
	v_and_b32_e32 v41, 0xffff, v43
	v_lshrrev_b32_e32 v43, 16, v43
	v_lshrrev_b32_e32 v51, 16, v44
	v_and_b32_e32 v44, 0xffff, v44
	;;#ASMSTART
	v_cvt_f32_f16 v41, v41;
	;;#ASMEND
	;;#ASMSTART
	v_cvt_f32_f16 v42, v43;
	;;#ASMEND
	;;#ASMSTART
	v_cvt_f32_f16 v45, v45;
	;;#ASMEND
	;;#ASMSTART
	v_cvt_f32_f16 v46, v46;
	;;#ASMEND
	;;#ASMSTART
	v_cvt_f32_f16 v43, v44;
	;;#ASMEND
	;;#ASMSTART
	v_cvt_f32_f16 v44, v51;
	;;#ASMEND
	;;#ASMSTART
	v_cvt_f32_f16 v47, v47;
	;;#ASMEND
	;;#ASMSTART
	v_cvt_f32_f16 v48, v48;
	;;#ASMEND
	ds_read_b64 v[51:52], v23 offset:16
	v_and_b32_e32 v10, 0xffff, v10
	v_mul_f32_e32 v41, v41, v45
	v_mul_f32_e32 v42, v42, v46
	;; [unrolled: 1-line block ×4, first 2 shown]
	s_waitcnt vmcnt(1)
	v_lshrrev_b32_e32 v77, 16, v7
	v_fmac_f32_e32 v41, v33, v37
	v_fmac_f32_e32 v42, v34, v38
	;; [unrolled: 1-line block ×3, first 2 shown]
	v_and_b32_e32 v7, 0xffff, v7
	v_lshrrev_b32_e32 v78, 16, v8
	v_and_b32_e32 v8, 0xffff, v8
	v_fmac_f32_e32 v44, v36, v40
	s_waitcnt vmcnt(0)
	v_lshrrev_b32_e32 v45, 16, v3
	v_and_b32_e32 v39, 0xffff, v3
	s_waitcnt lgkmcnt(0)
	v_and_b32_e32 v53, 0xffff, v51
	v_lshrrev_b32_e32 v51, 16, v51
	v_lshrrev_b32_e32 v58, 16, v52
	v_and_b32_e32 v52, 0xffff, v52
	;;#ASMSTART
	v_cvt_f32_f16 v53, v53;
	;;#ASMEND
	;;#ASMSTART
	v_cvt_f32_f16 v54, v51;
	;;#ASMEND
	;;#ASMSTART
	v_cvt_f32_f16 v55, v49;
	;;#ASMEND
	;;#ASMSTART
	v_cvt_f32_f16 v56, v56;
	;;#ASMEND
	;;#ASMSTART
	v_cvt_f32_f16 v57, v52;
	;;#ASMEND
	;;#ASMSTART
	v_cvt_f32_f16 v49, v58;
	;;#ASMEND
	;;#ASMSTART
	v_cvt_f32_f16 v58, v50;
	;;#ASMEND
	;;#ASMSTART
	v_cvt_f32_f16 v50, v59;
	;;#ASMEND
	ds_read_b64 v[51:52], v23 offset:24
	v_fmac_f32_e32 v41, v53, v55
	v_fmac_f32_e32 v42, v54, v56
	v_fmac_f32_e32 v43, v57, v58
	v_fmac_f32_e32 v44, v49, v50
	s_waitcnt lgkmcnt(0)
	v_and_b32_e32 v59, 0xffff, v51
	v_lshrrev_b32_e32 v61, 16, v51
	v_lshrrev_b32_e32 v62, 16, v52
	v_and_b32_e32 v63, 0xffff, v52
	;;#ASMSTART
	v_cvt_f32_f16 v51, v59;
	;;#ASMEND
	;;#ASMSTART
	v_cvt_f32_f16 v52, v61;
	;;#ASMEND
	;;#ASMSTART
	v_cvt_f32_f16 v59, v13;
	;;#ASMEND
	;;#ASMSTART
	v_cvt_f32_f16 v60, v60;
	;;#ASMEND
	;;#ASMSTART
	v_cvt_f32_f16 v61, v63;
	;;#ASMEND
	;;#ASMSTART
	v_cvt_f32_f16 v62, v62;
	;;#ASMEND
	;;#ASMSTART
	v_cvt_f32_f16 v63, v14;
	;;#ASMEND
	;;#ASMSTART
	v_cvt_f32_f16 v64, v64;
	;;#ASMEND
	ds_read_b64 v[13:14], v23 offset:32
	v_fmac_f32_e32 v41, v51, v59
	v_fmac_f32_e32 v42, v52, v60
	v_fmac_f32_e32 v43, v61, v63
	v_fmac_f32_e32 v44, v62, v64
	;; [unrolled: 34-line block ×3, first 2 shown]
	v_lshrrev_b32_e32 v13, 16, v4
	s_waitcnt lgkmcnt(0)
	v_and_b32_e32 v71, 0xffff, v11
	v_lshrrev_b32_e32 v73, 16, v11
	v_lshrrev_b32_e32 v74, 16, v12
	v_and_b32_e32 v75, 0xffff, v12
	;;#ASMSTART
	v_cvt_f32_f16 v11, v71;
	;;#ASMEND
	;;#ASMSTART
	v_cvt_f32_f16 v12, v73;
	;;#ASMEND
	;; [unrolled: 3-line block ×8, first 2 shown]
	ds_read_b64 v[9:10], v23 offset:48
	v_fmac_f32_e32 v41, v11, v71
	v_fmac_f32_e32 v42, v12, v72
	;; [unrolled: 1-line block ×3, first 2 shown]
	v_and_b32_e32 v11, 0xffff, v4
	v_fmac_f32_e32 v44, v74, v76
	s_waitcnt lgkmcnt(0)
	v_and_b32_e32 v33, 0xffff, v9
	v_lshrrev_b32_e32 v34, 16, v9
	v_lshrrev_b32_e32 v36, 16, v10
	v_and_b32_e32 v35, 0xffff, v10
	;;#ASMSTART
	v_cvt_f32_f16 v9, v33;
	;;#ASMEND
	;;#ASMSTART
	v_cvt_f32_f16 v10, v34;
	;;#ASMEND
	;; [unrolled: 3-line block ×8, first 2 shown]
	ds_read_b64 v[7:8], v23 offset:56
	v_fmac_f32_e32 v41, v9, v33
	v_fmac_f32_e32 v42, v10, v34
	;; [unrolled: 1-line block ×4, first 2 shown]
	s_waitcnt lgkmcnt(0)
	v_and_b32_e32 v3, 0xffff, v7
	v_lshrrev_b32_e32 v4, 16, v7
	v_lshrrev_b32_e32 v9, 16, v8
	v_and_b32_e32 v10, 0xffff, v8
	;;#ASMSTART
	v_cvt_f32_f16 v3, v3;
	;;#ASMEND
	;;#ASMSTART
	v_cvt_f32_f16 v4, v4;
	;;#ASMEND
	;; [unrolled: 3-line block ×4, first 2 shown]
	v_fmac_f32_e32 v41, v3, v7
	v_fmac_f32_e32 v42, v4, v8
	;;#ASMSTART
	v_cvt_f32_f16 v3, v10;
	;;#ASMEND
	;;#ASMSTART
	v_cvt_f32_f16 v4, v9;
	;;#ASMEND
	;; [unrolled: 3-line block ×3, first 2 shown]
	v_fmac_f32_e32 v43, v3, v7
	v_add_f32_e32 v3, v41, v42
	;;#ASMSTART
	v_cvt_f32_f16 v7, v13;
	;;#ASMEND
	v_fmac_f32_e32 v44, v4, v7
	v_cndmask_b32_e64 v4, v20, v26, s2
	v_add_f32_e32 v3, v3, v43
	v_lshlrev_b32_e32 v4, 2, v4
	v_add_f32_e32 v3, v44, v3
	ds_bpermute_b32 v4, v4, v3
	s_and_saveexec_b32 s44, vcc_lo
	s_cbranch_execz .LBB91_11
; %bb.19:                               ;   in Loop: Header=BB91_13 Depth=1
	v_add_nc_u32_e32 v7, v27, v24
	s_waitcnt lgkmcnt(0)
	v_add_f32_e32 v3, v3, v4
	v_cvt_f32_i32_e32 v7, v7
	v_mul_f32_e32 v7, s40, v7
	v_cndmask_b32_e64 v4, 0, v7, s1
	v_max_f32_e32 v7, v21, v21
	v_fmac_f32_e32 v4, s37, v3
	v_add_nc_u32_e32 v3, v22, v24
	v_max_f32_e32 v7, v7, v4
	v_cmp_gt_i32_e64 s2, s27, v3
	v_cndmask_b32_e64 v3, 0, v4, s2
	v_cndmask_b32_e64 v21, v21, v7, s2
	ds_write_b32 v28, v3
	s_branch .LBB91_11
.LBB91_20:
	s_or_b32 exec_lo, exec_lo, s15
.LBB91_21:
	s_or_b32 exec_lo, exec_lo, s42
	v_xor_b32_e32 v1, 16, v20
	v_xor_b32_e32 v2, 8, v20
	s_waitcnt lgkmcnt(0)
	v_max_f32_e32 v4, v21, v21
	v_and_b32_e32 v10, 31, v0
	v_lshlrev_b32_e32 v9, 2, v17
	v_cmp_gt_i32_e32 vcc_lo, 32, v1
	v_cndmask_b32_e32 v1, v20, v1, vcc_lo
	v_cmp_gt_i32_e32 vcc_lo, 32, v2
	v_lshlrev_b32_e32 v3, 2, v1
	v_cndmask_b32_e32 v2, v20, v2, vcc_lo
	ds_bpermute_b32 v1, v3, v21
	v_lshlrev_b32_e32 v7, 2, v2
	s_waitcnt lgkmcnt(0)
	v_max_f32_e32 v1, v1, v1
	v_max_f32_e32 v1, v4, v1
	v_xor_b32_e32 v4, 4, v20
	ds_bpermute_b32 v2, v7, v1
	v_cmp_gt_i32_e32 vcc_lo, 32, v4
	v_cndmask_b32_e32 v4, v20, v4, vcc_lo
	v_lshlrev_b32_e32 v8, 2, v4
	v_xor_b32_e32 v4, 2, v20
	v_cmp_gt_i32_e32 vcc_lo, 32, v4
	s_waitcnt lgkmcnt(0)
	v_max_f32_e32 v2, v2, v2
	v_cndmask_b32_e32 v4, v20, v4, vcc_lo
	v_cmp_eq_u32_e32 vcc_lo, 0, v10
	v_max_f32_e32 v1, v1, v2
	ds_bpermute_b32 v2, v8, v1
	s_waitcnt lgkmcnt(0)
	v_max_f32_e32 v2, v2, v2
	v_max_f32_e32 v1, v1, v2
	v_lshlrev_b32_e32 v2, 2, v4
	ds_bpermute_b32 v4, v2, v1
	s_and_saveexec_b32 s1, vcc_lo
	s_cbranch_execz .LBB91_23
; %bb.22:
	s_waitcnt lgkmcnt(0)
	v_max_f32_e32 v4, v4, v4
	v_max_f32_e32 v1, v1, v1
	;; [unrolled: 1-line block ×3, first 2 shown]
	ds_write_b32 v9, v1 offset:128
.LBB91_23:
	s_or_b32 exec_lo, exec_lo, s1
	v_cmp_gt_u32_e64 s1, 4, v10
	v_mov_b32_e32 v1, 0xff7fffff
	v_lshlrev_b32_e32 v12, 2, v10
	s_waitcnt lgkmcnt(0)
	s_barrier
	buffer_gl0_inv
	s_and_saveexec_b32 s2, s1
; %bb.24:
	ds_read_b32 v1, v12 offset:128
; %bb.25:
	s_or_b32 exec_lo, exec_lo, s2
	s_waitcnt lgkmcnt(0)
	ds_bpermute_b32 v4, v2, v1
	v_xor_b32_e32 v11, 1, v20
	v_max_f32_e32 v1, v1, v1
	v_mov_b32_e32 v13, 0
	v_cmp_gt_i32_e64 s2, 32, v11
	v_cndmask_b32_e64 v11, v20, v11, s2
	s_sub_i32 s2, s16, s41
	s_lshl_b32 s2, s2, 4
	v_lshlrev_b32_e32 v11, 2, v11
	s_add_i32 s2, s2, s38
	s_min_i32 s2, s2, s27
	s_waitcnt lgkmcnt(0)
	v_max_f32_e32 v4, v4, v4
	s_sub_i32 s4, s2, s38
	v_cmp_gt_i32_e64 s2, s4, v0
	v_max_f32_e32 v1, v1, v4
	ds_bpermute_b32 v4, v11, v1
	s_waitcnt lgkmcnt(0)
	v_max_f32_e32 v4, v4, v4
	v_max_f32_e32 v1, v1, v4
	v_lshl_add_u32 v4, v0, 2, 0xa0
	ds_bpermute_b32 v1, v13, v1
	s_and_saveexec_b32 s5, s2
	s_cbranch_execz .LBB91_29
; %bb.26:
	v_lshl_add_u32 v14, v0, 2, 0xa0
	v_mov_b32_e32 v13, 0
	v_mov_b32_e32 v20, v0
	s_mov_b32 s15, 0
	.p2align	6
.LBB91_27:                              ; =>This Inner Loop Header: Depth=1
	ds_read_b32 v21, v14
	v_add_nc_u32_e32 v20, 0x80, v20
	v_cmp_le_i32_e64 s3, s4, v20
	s_or_b32 s15, s3, s15
	s_waitcnt lgkmcnt(0)
	v_sub_f32_e32 v21, v21, v1
	v_mul_f32_e32 v21, 0x3fb8aa3b, v21
	v_exp_f32_e32 v21, v21
	ds_write_b32 v14, v21
	v_add_f32_e32 v13, v13, v21
	v_add_nc_u32_e32 v14, 0x200, v14
	s_andn2_b32 exec_lo, exec_lo, s15
	s_cbranch_execnz .LBB91_27
; %bb.28:
	s_or_b32 exec_lo, exec_lo, s15
.LBB91_29:
	s_or_b32 exec_lo, exec_lo, s5
	ds_bpermute_b32 v3, v3, v13
	s_waitcnt lgkmcnt(0)
	v_add_f32_e32 v3, v13, v3
	ds_bpermute_b32 v7, v7, v3
	s_waitcnt lgkmcnt(0)
	v_add_f32_e32 v3, v3, v7
	;; [unrolled: 3-line block ×5, first 2 shown]
	s_and_saveexec_b32 s3, vcc_lo
; %bb.30:
	ds_write_b32 v9, v3 offset:144
; %bb.31:
	s_or_b32 exec_lo, exec_lo, s3
	s_waitcnt lgkmcnt(0)
	s_barrier
	buffer_gl0_inv
	s_and_saveexec_b32 s3, s1
; %bb.32:
	ds_read_b32 v3, v12 offset:144
; %bb.33:
	s_or_b32 exec_lo, exec_lo, s3
	s_waitcnt lgkmcnt(0)
	ds_bpermute_b32 v2, v2, v3
	s_waitcnt lgkmcnt(0)
	v_add_f32_e32 v2, v3, v2
	ds_bpermute_b32 v3, v11, v2
	s_waitcnt lgkmcnt(0)
	v_add_f32_e32 v2, v2, v3
	v_mov_b32_e32 v3, 0
	ds_bpermute_b32 v2, v3, v2
	s_and_saveexec_b32 s1, s2
	s_cbranch_execz .LBB91_36
; %bb.34:
	s_waitcnt lgkmcnt(0)
	v_add_f32_e32 v3, 0x358637bd, v2
	s_mov_b32 s2, 0
	v_div_scale_f32 v7, null, v3, v3, 1.0
	v_div_scale_f32 v12, vcc_lo, 1.0, v3, 1.0
	v_rcp_f32_e32 v8, v7
	v_fma_f32 v9, -v7, v8, 1.0
	v_fmac_f32_e32 v8, v9, v8
	v_mul_f32_e32 v9, v12, v8
	v_fma_f32 v13, -v7, v9, v12
	v_fmac_f32_e32 v9, v13, v8
	v_fma_f32 v7, -v7, v9, v12
	v_div_fmas_f32 v7, v7, v8, v9
	v_div_fixup_f32 v3, v7, v3, 1.0
	v_mov_b32_e32 v7, v0
.LBB91_35:                              ; =>This Inner Loop Header: Depth=1
	ds_read_b32 v8, v4
	v_add_nc_u32_e32 v7, 0x80, v7
	v_cmp_le_i32_e32 vcc_lo, s4, v7
	s_or_b32 s2, vcc_lo, s2
	s_waitcnt lgkmcnt(0)
	v_mul_f32_e32 v8, v3, v8
	ds_write_b32 v4, v8
	v_add_nc_u32_e32 v4, 0x200, v4
	s_andn2_b32 exec_lo, exec_lo, s2
	s_cbranch_execnz .LBB91_35
.LBB91_36:
	s_or_b32 exec_lo, exec_lo, s1
	s_mul_i32 s1, s7, s26
	s_waitcnt lgkmcnt(0)
	s_mul_i32 s2, s1, s9
	s_mov_b32 s1, exec_lo
	s_barrier
	buffer_gl0_inv
	v_cmpx_eq_u32_e32 0, v0
	s_cbranch_execz .LBB91_38
; %bb.37:
	s_ashr_i32 s3, s2, 31
	s_mul_i32 s40, s7, s6
	s_lshl_b64 s[4:5], s[2:3], 2
	v_mov_b32_e32 v3, 0
	s_add_u32 s3, s22, s4
	s_addc_u32 s6, s23, s5
	s_ashr_i32 s41, s40, 31
	s_lshl_b64 s[22:23], s[40:41], 2
	s_add_u32 s3, s3, s22
	s_addc_u32 s6, s6, s23
	s_ashr_i32 s9, s8, 31
	s_lshl_b64 s[40:41], s[8:9], 2
	s_add_u32 s42, s3, s40
	s_addc_u32 s43, s6, s41
	s_add_u32 s3, s20, s4
	s_addc_u32 s4, s21, s5
	;; [unrolled: 2-line block ×4, first 2 shown]
	global_store_dword v3, v1, s[42:43]
	global_store_dword v3, v2, s[4:5]
.LBB91_38:
	s_or_b32 exec_lo, exec_lo, s1
	v_mov_b32_e32 v21, 0
	v_mov_b32_e32 v14, 0
	;; [unrolled: 1-line block ×4, first 2 shown]
	s_and_saveexec_b32 s3, s0
	s_cbranch_execz .LBB91_52
; %bb.39:
	s_ashr_i32 s15, s14, 31
	s_sub_i32 s4, s39, s17
	s_lshl_b64 s[0:1], s[14:15], 1
	v_lshlrev_b32_e32 v4, 4, v0
	s_add_u32 s6, s34, s0
	s_addc_u32 s9, s35, s1
	s_abs_i32 s5, s18
	s_add_i32 s36, s36, -1
	v_cvt_f32_u32_e32 v1, s5
	s_sub_i32 s0, 0, s5
	v_and_b32_e32 v4, 0x1f0, v4
	v_and_b32_e32 v19, 8, v19
	v_mov_b32_e32 v20, 0
	v_rcp_iflag_f32_e32 v1, v1
	v_mov_b32_e32 v12, 0
	v_add_co_u32 v22, s6, s6, v4
	v_mov_b32_e32 v13, 0
	v_mov_b32_e32 v14, 0
	v_add_co_ci_u32_e64 v23, null, s9, 0, s6
	v_mov_b32_e32 v21, 0
	s_mov_b32 s9, s13
	v_mul_f32_e32 v3, 0x4f7ffffe, v1
	v_lshlrev_b64 v[1:2], 2, v[5:6]
	v_lshlrev_b32_e32 v6, 5, v16
	s_mov_b32 s6, 0
	v_cvt_u32_f32_e32 v3, v3
	v_lshl_or_b32 v6, v17, 6, v6
	v_mul_lo_u32 v7, s0, v3
	s_lshl_b64 s[0:1], s[30:31], 2
	v_add_nc_u32_e32 v24, 0xa0, v6
	s_add_u32 s0, s28, s0
	s_addc_u32 s1, s29, s1
	v_add_co_u32 v6, vcc_lo, s0, v1
	v_mul_hi_u32 v8, v3, v7
	v_add_co_ci_u32_e64 v7, null, s1, v2, vcc_lo
	v_add_nc_u32_e32 v25, v3, v8
	s_branch .LBB91_42
.LBB91_40:                              ;   in Loop: Header=BB91_42 Depth=1
	s_or_b32 exec_lo, exec_lo, s1
	v_lshlrev_b32_e32 v26, 16, v44
	v_lshlrev_b32_e32 v9, 16, v9
	;; [unrolled: 1-line block ×3, first 2 shown]
	v_and_or_b32 v1, 0xffff, v1, v26
	v_and_or_b32 v2, 0xffff, v2, v9
	;; [unrolled: 1-line block ×3, first 2 shown]
	;;#ASMSTART
	v_pk_mul_f16 v1, v35, v1;

	;;#ASMEND
	;;#ASMSTART
	v_pk_mul_f16 v2, v34, v2;

	;;#ASMEND
	;; [unrolled: 4-line block ×4, first 2 shown]
	;;#ASMSTART
	v_pk_add_f16 v1, v1, v2;

	;;#ASMEND
	;;#ASMSTART
	v_pk_add_f16 v1, v1, v3;

	;;#ASMEND
	;; [unrolled: 4-line block ×3, first 2 shown]
	v_and_b32_e32 v4, 0xffff, v1
	v_lshrrev_b32_e32 v8, 16, v1
	;;#ASMSTART
	v_cvt_f32_f16 v4, v4;
	;;#ASMEND
	v_add_f32_e32 v1, v42, v43
	v_add_f32_e32 v2, v40, v41
	;; [unrolled: 1-line block ×3, first 2 shown]
	;;#ASMSTART
	v_cvt_f32_f16 v8, v8;
	;;#ASMEND
	v_add_f32_e32 v4, v4, v8
	v_add_f32_e32 v13, v13, v1
	v_add_f32_e32 v14, v14, v2
	v_add_f32_e32 v21, v21, v3
	v_add_f32_e32 v12, v12, v4
.LBB91_41:                              ;   in Loop: Header=BB91_42 Depth=1
	s_or_b32 exec_lo, exec_lo, s13
	v_add_nc_u32_e32 v5, 4, v5
	v_add_co_u32 v6, s0, v6, 16
	v_add_co_ci_u32_e64 v7, null, 0, v7, s0
	v_cmp_le_i32_e32 vcc_lo, s16, v5
	v_add_nc_u32_e32 v18, 64, v18
	v_add_nc_u32_e32 v24, 0x100, v24
	s_or_b32 s6, vcc_lo, s6
	s_andn2_b32 exec_lo, exec_lo, s6
	s_cbranch_execz .LBB91_51
.LBB91_42:                              ; =>This Inner Loop Header: Depth=1
	v_sub_nc_u32_e32 v1, 0, v18
	v_max_i32_e32 v1, v18, v1
	v_mul_hi_u32 v2, v1, s12
	v_mul_lo_u32 v3, v2, s11
	v_sub_nc_u32_e32 v1, v1, v3
	v_add_nc_u32_e32 v3, 1, v2
	v_subrev_nc_u32_e32 v4, s11, v1
	v_cmp_le_u32_e32 vcc_lo, s11, v1
	v_cndmask_b32_e32 v2, v2, v3, vcc_lo
	v_cndmask_b32_e32 v1, v1, v4, vcc_lo
	v_ashrrev_i32_e32 v3, 31, v18
	v_add_nc_u32_e32 v4, 1, v2
	v_cmp_le_u32_e32 vcc_lo, s11, v1
	v_xor_b32_e32 v3, s19, v3
	v_cndmask_b32_e32 v1, v2, v4, vcc_lo
	v_xor_b32_e32 v1, v1, v3
	v_sub_nc_u32_e32 v1, v1, v3
	v_add_nc_u32_e32 v2, s33, v1
	v_cmp_lt_i32_e64 s0, s4, v1
	v_sub_nc_u32_e32 v3, 0, v2
	v_max_i32_e32 v3, v2, v3
	v_ashrrev_i32_e32 v2, 31, v2
	v_mul_hi_u32 v4, v3, v25
	v_mul_lo_u32 v4, v4, s5
	v_sub_nc_u32_e32 v3, v3, v4
	v_subrev_nc_u32_e32 v4, s5, v3
	v_cmp_le_u32_e32 vcc_lo, s5, v3
	v_cndmask_b32_e32 v3, v3, v4, vcc_lo
	v_subrev_nc_u32_e32 v4, s5, v3
	v_cmp_le_u32_e32 vcc_lo, s5, v3
	v_cndmask_b32_e32 v3, v3, v4, vcc_lo
	v_xor_b32_e32 v3, v3, v2
	v_sub_nc_u32_e32 v2, v3, v2
	v_cmp_eq_u32_e32 vcc_lo, 0, v2
	s_or_b32 s0, vcc_lo, s0
	s_and_saveexec_b32 s13, s0
	s_cbranch_execz .LBB91_41
; %bb.43:                               ;   in Loop: Header=BB91_42 Depth=1
	global_load_dword v8, v[6:7], off
	ds_read2_b64 v[1:4], v24 offset1:1
	ds_read2_b64 v[26:29], v24 offset0:2 offset1:3
	v_add_nc_u32_e32 v31, v19, v18
	v_cmp_eq_u32_e64 s0, s36, v5
	s_waitcnt lgkmcnt(1)
	;;#ASMSTART
	v_cvt_f16_f32 v35, v1;

	;;#ASMEND
	;;#ASMSTART
	v_cvt_f16_f32 v34, v2;

	;;#ASMEND
	;; [unrolled: 4-line block ×4, first 2 shown]
	s_waitcnt lgkmcnt(0)
	;;#ASMSTART
	v_cvt_f16_f32 v41, v26;

	;;#ASMEND
	;;#ASMSTART
	v_cvt_f16_f32 v37, v27;

	;;#ASMEND
	;; [unrolled: 4-line block ×4, first 2 shown]
	v_add_nc_u32_e32 v33, 1, v31
	v_add_nc_u32_e32 v30, 2, v31
	;; [unrolled: 1-line block ×7, first 2 shown]
	s_waitcnt vmcnt(0)
	v_mad_i64_i32 v[8:9], null, v8, s9, 0
	v_lshlrev_b64 v[8:9], 1, v[8:9]
	v_add_co_u32 v8, vcc_lo, v22, v8
	v_add_co_ci_u32_e64 v9, null, v23, v9, vcc_lo
	global_load_dwordx4 v[1:4], v[8:9], off
	s_waitcnt vmcnt(0)
	v_lshrrev_b32_e32 v44, 16, v1
	v_lshrrev_b32_e32 v43, 16, v2
	;; [unrolled: 1-line block ×3, first 2 shown]
	s_and_saveexec_b32 s14, s0
	s_cbranch_execz .LBB91_45
; %bb.44:                               ;   in Loop: Header=BB91_42 Depth=1
	v_cmp_gt_i32_e32 vcc_lo, s27, v31
	v_and_b32_e32 v45, 0xffff0000, v4
	v_cmp_gt_i32_e64 s1, s27, v30
	v_cndmask_b32_e32 v1, 0, v1, vcc_lo
	v_cmp_gt_i32_e32 vcc_lo, s27, v33
	v_cndmask_b32_e64 v2, 0, v2, s1
	v_cmp_gt_i32_e64 s1, s27, v29
	v_cndmask_b32_e32 v44, 0, v44, vcc_lo
	v_cmp_gt_i32_e32 vcc_lo, s27, v32
	v_cndmask_b32_e64 v43, 0, v43, s1
	v_cndmask_b32_sdwa v4, v20, v4, vcc_lo dst_sel:DWORD dst_unused:UNUSED_PAD src0_sel:DWORD src1_sel:WORD_0
	v_cmp_gt_i32_e32 vcc_lo, s27, v28
	v_cndmask_b32_e32 v45, 0, v45, vcc_lo
	v_cmp_gt_i32_e32 vcc_lo, s27, v27
	v_or_b32_e32 v4, v4, v45
	v_cndmask_b32_e32 v3, 0, v3, vcc_lo
	v_cmp_gt_i32_e32 vcc_lo, s27, v26
	v_cndmask_b32_e32 v42, 0, v42, vcc_lo
.LBB91_45:                              ;   in Loop: Header=BB91_42 Depth=1
	s_or_b32 exec_lo, exec_lo, s14
	v_and_b32_e32 v35, 0xffff, v35
	v_and_b32_e32 v40, 0xffff, v40
	v_lshlrev_b32_e32 v44, 16, v44
	v_lshlrev_b32_e32 v42, 16, v42
	v_and_b32_e32 v41, 0xffff, v41
	v_lshl_or_b32 v35, v34, 16, v35
	v_lshl_or_b32 v34, v38, 16, v40
	v_lshlrev_b32_e32 v40, 16, v43
	v_and_b32_e32 v39, 0xffff, v39
	v_and_or_b32 v1, 0xffff, v1, v44
	v_and_or_b32 v3, 0xffff, v3, v42
	;;#ASMSTART
	v_pk_mul_f16 v1, v35, v1;

	;;#ASMEND
	v_and_or_b32 v2, 0xffff, v2, v40
	v_lshl_or_b32 v38, v37, 16, v41
	v_lshl_or_b32 v39, v36, 16, v39
	;;#ASMSTART
	v_pk_mul_f16 v2, v34, v2;

	;;#ASMEND
	;;#ASMSTART
	v_pk_mul_f16 v3, v38, v3;

	;;#ASMEND
	;; [unrolled: 4-line block ×3, first 2 shown]
	;;#ASMSTART
	v_pk_add_f16 v1, v1, v2;

	;;#ASMEND
	;;#ASMSTART
	v_pk_add_f16 v1, v1, v3;

	;;#ASMEND
	;;#ASMSTART
	v_pk_add_f16 v1, v1, v4;

	;;#ASMEND
	v_and_b32_e32 v2, 0xffff, v1
	v_lshrrev_b32_e32 v1, 16, v1
	;;#ASMSTART
	v_cvt_f32_f16 v36, v2;
	;;#ASMEND
	;;#ASMSTART
	v_cvt_f32_f16 v37, v1;
	;;#ASMEND
	global_load_dwordx4 v[1:4], v[8:9], off offset:512
	s_waitcnt vmcnt(0)
	v_lshrrev_b32_e32 v42, 16, v1
	v_lshrrev_b32_e32 v41, 16, v2
	;; [unrolled: 1-line block ×3, first 2 shown]
	s_and_saveexec_b32 s14, s0
	s_cbranch_execz .LBB91_47
; %bb.46:                               ;   in Loop: Header=BB91_42 Depth=1
	v_cmp_gt_i32_e32 vcc_lo, s27, v31
	v_and_b32_e32 v43, 0xffff0000, v4
	v_cmp_gt_i32_e64 s1, s27, v30
	v_cndmask_b32_e32 v1, 0, v1, vcc_lo
	v_cmp_gt_i32_e32 vcc_lo, s27, v33
	v_cndmask_b32_e64 v2, 0, v2, s1
	v_cmp_gt_i32_e64 s1, s27, v29
	v_cndmask_b32_e32 v42, 0, v42, vcc_lo
	v_cmp_gt_i32_e32 vcc_lo, s27, v32
	v_cndmask_b32_e64 v41, 0, v41, s1
	v_cndmask_b32_sdwa v4, v20, v4, vcc_lo dst_sel:DWORD dst_unused:UNUSED_PAD src0_sel:DWORD src1_sel:WORD_0
	v_cmp_gt_i32_e32 vcc_lo, s27, v28
	v_cndmask_b32_e32 v43, 0, v43, vcc_lo
	v_cmp_gt_i32_e32 vcc_lo, s27, v27
	v_or_b32_e32 v4, v4, v43
	v_cndmask_b32_e32 v3, 0, v3, vcc_lo
	v_cmp_gt_i32_e32 vcc_lo, s27, v26
	v_cndmask_b32_e32 v40, 0, v40, vcc_lo
.LBB91_47:                              ;   in Loop: Header=BB91_42 Depth=1
	s_or_b32 exec_lo, exec_lo, s14
	v_lshlrev_b32_e32 v42, 16, v42
	v_lshlrev_b32_e32 v41, 16, v41
	;; [unrolled: 1-line block ×3, first 2 shown]
	v_and_or_b32 v1, 0xffff, v1, v42
	v_and_or_b32 v2, 0xffff, v2, v41
	;; [unrolled: 1-line block ×3, first 2 shown]
	;;#ASMSTART
	v_pk_mul_f16 v1, v35, v1;

	;;#ASMEND
	;;#ASMSTART
	v_pk_mul_f16 v2, v34, v2;

	;;#ASMEND
	;; [unrolled: 4-line block ×4, first 2 shown]
	;;#ASMSTART
	v_pk_add_f16 v1, v1, v2;

	;;#ASMEND
	;;#ASMSTART
	v_pk_add_f16 v1, v1, v3;

	;;#ASMEND
	;; [unrolled: 4-line block ×3, first 2 shown]
	v_and_b32_e32 v2, 0xffff, v1
	v_lshrrev_b32_e32 v1, 16, v1
	;;#ASMSTART
	v_cvt_f32_f16 v40, v2;
	;;#ASMEND
	;;#ASMSTART
	v_cvt_f32_f16 v41, v1;
	;;#ASMEND
	global_load_dwordx4 v[1:4], v[8:9], off offset:1024
	s_waitcnt vmcnt(0)
	v_lshrrev_b32_e32 v44, 16, v1
	v_lshrrev_b32_e32 v43, 16, v2
	;; [unrolled: 1-line block ×3, first 2 shown]
	s_and_saveexec_b32 s14, s0
	s_cbranch_execz .LBB91_49
; %bb.48:                               ;   in Loop: Header=BB91_42 Depth=1
	v_cmp_gt_i32_e32 vcc_lo, s27, v31
	v_and_b32_e32 v45, 0xffff0000, v4
	v_cmp_gt_i32_e64 s1, s27, v30
	v_cndmask_b32_e32 v1, 0, v1, vcc_lo
	v_cmp_gt_i32_e32 vcc_lo, s27, v33
	v_cndmask_b32_e64 v2, 0, v2, s1
	v_cmp_gt_i32_e64 s1, s27, v29
	v_cndmask_b32_e32 v44, 0, v44, vcc_lo
	v_cmp_gt_i32_e32 vcc_lo, s27, v32
	v_cndmask_b32_e64 v43, 0, v43, s1
	v_cndmask_b32_sdwa v4, v20, v4, vcc_lo dst_sel:DWORD dst_unused:UNUSED_PAD src0_sel:DWORD src1_sel:WORD_0
	v_cmp_gt_i32_e32 vcc_lo, s27, v28
	v_cndmask_b32_e32 v45, 0, v45, vcc_lo
	v_cmp_gt_i32_e32 vcc_lo, s27, v27
	v_or_b32_e32 v4, v4, v45
	v_cndmask_b32_e32 v3, 0, v3, vcc_lo
	v_cmp_gt_i32_e32 vcc_lo, s27, v26
	v_cndmask_b32_e32 v42, 0, v42, vcc_lo
.LBB91_49:                              ;   in Loop: Header=BB91_42 Depth=1
	s_or_b32 exec_lo, exec_lo, s14
	v_lshlrev_b32_e32 v44, 16, v44
	v_lshlrev_b32_e32 v43, 16, v43
	;; [unrolled: 1-line block ×3, first 2 shown]
	v_and_or_b32 v1, 0xffff, v1, v44
	v_and_or_b32 v2, 0xffff, v2, v43
	;; [unrolled: 1-line block ×3, first 2 shown]
	;;#ASMSTART
	v_pk_mul_f16 v1, v35, v1;

	;;#ASMEND
	;;#ASMSTART
	v_pk_mul_f16 v2, v34, v2;

	;;#ASMEND
	;; [unrolled: 4-line block ×4, first 2 shown]
	;;#ASMSTART
	v_pk_add_f16 v1, v1, v2;

	;;#ASMEND
	;;#ASMSTART
	v_pk_add_f16 v1, v1, v3;

	;;#ASMEND
	;; [unrolled: 4-line block ×3, first 2 shown]
	v_and_b32_e32 v2, 0xffff, v1
	v_lshrrev_b32_e32 v1, 16, v1
	;;#ASMSTART
	v_cvt_f32_f16 v42, v2;
	;;#ASMEND
	;;#ASMSTART
	v_cvt_f32_f16 v43, v1;
	;;#ASMEND
	global_load_dwordx4 v[1:4], v[8:9], off offset:1536
	s_waitcnt vmcnt(0)
	v_lshrrev_b32_e32 v44, 16, v1
	v_lshrrev_b32_e32 v9, 16, v2
	;; [unrolled: 1-line block ×3, first 2 shown]
	s_and_saveexec_b32 s1, s0
	s_cbranch_execz .LBB91_40
; %bb.50:                               ;   in Loop: Header=BB91_42 Depth=1
	v_cmp_gt_i32_e32 vcc_lo, s27, v31
	v_cmp_gt_i32_e64 s0, s27, v30
	v_cndmask_b32_e32 v1, 0, v1, vcc_lo
	v_cmp_gt_i32_e32 vcc_lo, s27, v33
	v_cndmask_b32_e64 v2, 0, v2, s0
	v_cmp_gt_i32_e64 s0, s27, v29
	v_and_b32_e32 v29, 0xffff0000, v4
	v_cndmask_b32_e32 v44, 0, v44, vcc_lo
	v_cmp_gt_i32_e32 vcc_lo, s27, v32
	v_cndmask_b32_e64 v9, 0, v9, s0
	v_cndmask_b32_sdwa v4, v20, v4, vcc_lo dst_sel:DWORD dst_unused:UNUSED_PAD src0_sel:DWORD src1_sel:WORD_0
	v_cmp_gt_i32_e32 vcc_lo, s27, v28
	v_cndmask_b32_e32 v28, 0, v29, vcc_lo
	v_cmp_gt_i32_e32 vcc_lo, s27, v27
	v_or_b32_e32 v4, v4, v28
	v_cndmask_b32_e32 v3, 0, v3, vcc_lo
	v_cmp_gt_i32_e32 vcc_lo, s27, v26
	v_cndmask_b32_e32 v8, 0, v8, vcc_lo
	s_branch .LBB91_40
.LBB91_51:
	s_or_b32 exec_lo, exec_lo, s6
.LBB91_52:
	s_or_b32 exec_lo, exec_lo, s3
	ds_bpermute_b32 v1, v11, v21
	ds_bpermute_b32 v2, v11, v14
	ds_bpermute_b32 v8, v11, v13
	ds_bpermute_b32 v9, v11, v12
	v_lshrrev_b32_e32 v5, 1, v10
	v_lshlrev_b32_e32 v7, 8, v17
	v_and_b32_e32 v10, 0x3c1, v0
	s_mov_b32 s0, exec_lo
	s_waitcnt lgkmcnt(0)
	s_waitcnt_vscnt null, 0x0
	v_lshl_add_u32 v6, v5, 2, 0xa0
	s_barrier
	buffer_gl0_inv
	v_add_f32_e32 v4, v21, v1
	v_add_f32_e32 v3, v14, v2
	;; [unrolled: 1-line block ×4, first 2 shown]
	v_cmpx_eq_u32_e32 64, v10
	s_cbranch_execz .LBB91_54
; %bb.53:
	v_add_nc_u32_e32 v8, v6, v7
	v_add_nc_u32_e32 v9, 0xfffffe00, v8
	;; [unrolled: 1-line block ×5, first 2 shown]
	ds_write_b32 v9, v4
	ds_write_b32 v10, v3
	;; [unrolled: 1-line block ×4, first 2 shown]
.LBB91_54:
	s_or_b32 exec_lo, exec_lo, s0
	v_lshlrev_b32_e32 v5, 2, v5
	s_mov_b32 s1, exec_lo
	v_cmp_eq_u32_e32 vcc_lo, 0, v16
	s_waitcnt lgkmcnt(0)
	s_barrier
	v_add3_u32 v5, 0xa0, v7, v5
	buffer_gl0_inv
	v_cmpx_gt_u32_e32 64, v0
	s_cbranch_execz .LBB91_61
; %bb.55:
	s_and_saveexec_b32 s0, vcc_lo
	s_cbranch_execnz .LBB91_73
; %bb.56:
	s_or_b32 exec_lo, exec_lo, s0
	s_and_saveexec_b32 s0, vcc_lo
	s_cbranch_execnz .LBB91_74
.LBB91_57:
	s_or_b32 exec_lo, exec_lo, s0
	s_and_saveexec_b32 s0, vcc_lo
	s_cbranch_execnz .LBB91_75
.LBB91_58:
	s_or_b32 exec_lo, exec_lo, s0
	s_and_saveexec_b32 s0, vcc_lo
	s_cbranch_execz .LBB91_60
.LBB91_59:
	ds_read_b32 v7, v5 offset:192
	s_waitcnt lgkmcnt(0)
	v_add_f32_e32 v1, v1, v7
.LBB91_60:
	s_or_b32 exec_lo, exec_lo, s0
.LBB91_61:
	s_or_b32 exec_lo, exec_lo, s1
	v_and_b32_e32 v7, 0x3e1, v0
	s_mov_b32 s1, exec_lo
	s_barrier
	buffer_gl0_inv
	v_cmpx_eq_u32_e32 32, v7
	s_cbranch_execz .LBB91_63
; %bb.62:
	ds_write2_b32 v6, v4, v3 offset1:16
	ds_write2_b32 v6, v2, v1 offset0:32 offset1:48
.LBB91_63:
	s_or_b32 exec_lo, exec_lo, s1
	s_mov_b32 s1, exec_lo
	s_waitcnt lgkmcnt(0)
	s_barrier
	buffer_gl0_inv
	v_cmpx_gt_u32_e32 32, v0
	s_cbranch_execz .LBB91_70
; %bb.64:
	s_and_saveexec_b32 s0, vcc_lo
	s_cbranch_execnz .LBB91_76
; %bb.65:
	s_or_b32 exec_lo, exec_lo, s0
	s_and_saveexec_b32 s0, vcc_lo
	s_cbranch_execnz .LBB91_77
.LBB91_66:
	s_or_b32 exec_lo, exec_lo, s0
	s_and_saveexec_b32 s0, vcc_lo
	s_cbranch_execnz .LBB91_78
.LBB91_67:
	s_or_b32 exec_lo, exec_lo, s0
	s_and_saveexec_b32 s0, vcc_lo
	s_cbranch_execz .LBB91_69
.LBB91_68:
	ds_read_b32 v0, v5 offset:192
	s_waitcnt lgkmcnt(0)
	v_add_f32_e32 v1, v1, v0
.LBB91_69:
	s_or_b32 exec_lo, exec_lo, s0
.LBB91_70:
	s_or_b32 exec_lo, exec_lo, s1
	s_barrier
	buffer_gl0_inv
	s_mov_b32 s0, exec_lo
	v_cmpx_eq_u32_e32 0, v7
	s_cbranch_execz .LBB91_72
; %bb.71:
	s_lshl_b32 s0, s2, 6
	s_mul_i32 s2, s7, s10
	s_ashr_i32 s1, s0, 31
	v_lshlrev_b32_e32 v0, 1, v15
	s_lshl_b64 s[0:1], s[0:1], 1
	;;#ASMSTART
	v_cvt_f16_f32 v4, v4;

	;;#ASMEND
	s_add_u32 s4, s24, s0
	s_addc_u32 s5, s25, s1
	s_ashr_i32 s3, s2, 31
	s_lshl_b64 s[0:1], s[2:3], 1
	s_add_u32 s2, s4, s0
	s_addc_u32 s3, s5, s1
	s_lshl_b32 s0, s8, 6
	s_ashr_i32 s1, s0, 31
	s_lshl_b64 s[0:1], s[0:1], 1
	s_add_u32 s0, s2, s0
	s_addc_u32 s1, s3, s1
	global_store_short v0, v4, s[0:1]
	;;#ASMSTART
	v_cvt_f16_f32 v3, v3;

	;;#ASMEND
	global_store_short v0, v3, s[0:1] offset:32
	;;#ASMSTART
	v_cvt_f16_f32 v2, v2;

	;;#ASMEND
	global_store_short v0, v2, s[0:1] offset:64
	;; [unrolled: 5-line block ×3, first 2 shown]
.LBB91_72:
	s_endpgm
.LBB91_73:
	ds_read_b32 v7, v5
	s_waitcnt lgkmcnt(0)
	v_add_f32_e32 v4, v4, v7
	s_or_b32 exec_lo, exec_lo, s0
	s_and_saveexec_b32 s0, vcc_lo
	s_cbranch_execz .LBB91_57
.LBB91_74:
	ds_read_b32 v7, v5 offset:64
	s_waitcnt lgkmcnt(0)
	v_add_f32_e32 v3, v3, v7
	s_or_b32 exec_lo, exec_lo, s0
	s_and_saveexec_b32 s0, vcc_lo
	s_cbranch_execz .LBB91_58
.LBB91_75:
	ds_read_b32 v7, v5 offset:128
	s_waitcnt lgkmcnt(0)
	v_add_f32_e32 v2, v2, v7
	s_or_b32 exec_lo, exec_lo, s0
	s_and_saveexec_b32 s0, vcc_lo
	s_cbranch_execnz .LBB91_59
	s_branch .LBB91_60
.LBB91_76:
	ds_read_b32 v0, v5
	s_waitcnt lgkmcnt(0)
	v_add_f32_e32 v4, v4, v0
	s_or_b32 exec_lo, exec_lo, s0
	s_and_saveexec_b32 s0, vcc_lo
	s_cbranch_execz .LBB91_66
.LBB91_77:
	ds_read_b32 v0, v5 offset:64
	s_waitcnt lgkmcnt(0)
	v_add_f32_e32 v3, v3, v0
	s_or_b32 exec_lo, exec_lo, s0
	s_and_saveexec_b32 s0, vcc_lo
	s_cbranch_execz .LBB91_67
.LBB91_78:
	ds_read_b32 v0, v5 offset:128
	s_waitcnt lgkmcnt(0)
	v_add_f32_e32 v2, v2, v0
	s_or_b32 exec_lo, exec_lo, s0
	s_and_saveexec_b32 s0, vcc_lo
	s_cbranch_execnz .LBB91_68
	s_branch .LBB91_69
	.section	.rodata,"a",@progbits
	.p2align	6, 0x0
	.amdhsa_kernel _ZN4vllm25paged_attention_v2_kernelIttLi64ELi16ELi128ELNS_18Fp8KVCacheDataTypeE0ELb1ELi512EEEvPfS2_PT_PKS3_PKT0_S9_ifPKiSB_iPKfiiiSD_SD_iiiii
		.amdhsa_group_segment_fixed_size 160
		.amdhsa_private_segment_fixed_size 0
		.amdhsa_kernarg_size 400
		.amdhsa_user_sgpr_count 6
		.amdhsa_user_sgpr_private_segment_buffer 1
		.amdhsa_user_sgpr_dispatch_ptr 0
		.amdhsa_user_sgpr_queue_ptr 0
		.amdhsa_user_sgpr_kernarg_segment_ptr 1
		.amdhsa_user_sgpr_dispatch_id 0
		.amdhsa_user_sgpr_flat_scratch_init 0
		.amdhsa_user_sgpr_private_segment_size 0
		.amdhsa_wavefront_size32 1
		.amdhsa_uses_dynamic_stack 0
		.amdhsa_system_sgpr_private_segment_wavefront_offset 0
		.amdhsa_system_sgpr_workgroup_id_x 1
		.amdhsa_system_sgpr_workgroup_id_y 1
		.amdhsa_system_sgpr_workgroup_id_z 1
		.amdhsa_system_sgpr_workgroup_info 0
		.amdhsa_system_vgpr_workitem_id 0
		.amdhsa_next_free_vgpr 79
		.amdhsa_next_free_sgpr 46
		.amdhsa_reserve_vcc 1
		.amdhsa_reserve_flat_scratch 0
		.amdhsa_float_round_mode_32 0
		.amdhsa_float_round_mode_16_64 0
		.amdhsa_float_denorm_mode_32 3
		.amdhsa_float_denorm_mode_16_64 3
		.amdhsa_dx10_clamp 1
		.amdhsa_ieee_mode 1
		.amdhsa_fp16_overflow 0
		.amdhsa_workgroup_processor_mode 1
		.amdhsa_memory_ordered 1
		.amdhsa_forward_progress 1
		.amdhsa_shared_vgpr_count 0
		.amdhsa_exception_fp_ieee_invalid_op 0
		.amdhsa_exception_fp_denorm_src 0
		.amdhsa_exception_fp_ieee_div_zero 0
		.amdhsa_exception_fp_ieee_overflow 0
		.amdhsa_exception_fp_ieee_underflow 0
		.amdhsa_exception_fp_ieee_inexact 0
		.amdhsa_exception_int_div_zero 0
	.end_amdhsa_kernel
	.section	.text._ZN4vllm25paged_attention_v2_kernelIttLi64ELi16ELi128ELNS_18Fp8KVCacheDataTypeE0ELb1ELi512EEEvPfS2_PT_PKS3_PKT0_S9_ifPKiSB_iPKfiiiSD_SD_iiiii,"axG",@progbits,_ZN4vllm25paged_attention_v2_kernelIttLi64ELi16ELi128ELNS_18Fp8KVCacheDataTypeE0ELb1ELi512EEEvPfS2_PT_PKS3_PKT0_S9_ifPKiSB_iPKfiiiSD_SD_iiiii,comdat
.Lfunc_end91:
	.size	_ZN4vllm25paged_attention_v2_kernelIttLi64ELi16ELi128ELNS_18Fp8KVCacheDataTypeE0ELb1ELi512EEEvPfS2_PT_PKS3_PKT0_S9_ifPKiSB_iPKfiiiSD_SD_iiiii, .Lfunc_end91-_ZN4vllm25paged_attention_v2_kernelIttLi64ELi16ELi128ELNS_18Fp8KVCacheDataTypeE0ELb1ELi512EEEvPfS2_PT_PKS3_PKT0_S9_ifPKiSB_iPKfiiiSD_SD_iiiii
                                        ; -- End function
	.set _ZN4vllm25paged_attention_v2_kernelIttLi64ELi16ELi128ELNS_18Fp8KVCacheDataTypeE0ELb1ELi512EEEvPfS2_PT_PKS3_PKT0_S9_ifPKiSB_iPKfiiiSD_SD_iiiii.num_vgpr, 79
	.set _ZN4vllm25paged_attention_v2_kernelIttLi64ELi16ELi128ELNS_18Fp8KVCacheDataTypeE0ELb1ELi512EEEvPfS2_PT_PKS3_PKT0_S9_ifPKiSB_iPKfiiiSD_SD_iiiii.num_agpr, 0
	.set _ZN4vllm25paged_attention_v2_kernelIttLi64ELi16ELi128ELNS_18Fp8KVCacheDataTypeE0ELb1ELi512EEEvPfS2_PT_PKS3_PKT0_S9_ifPKiSB_iPKfiiiSD_SD_iiiii.numbered_sgpr, 46
	.set _ZN4vllm25paged_attention_v2_kernelIttLi64ELi16ELi128ELNS_18Fp8KVCacheDataTypeE0ELb1ELi512EEEvPfS2_PT_PKS3_PKT0_S9_ifPKiSB_iPKfiiiSD_SD_iiiii.num_named_barrier, 0
	.set _ZN4vllm25paged_attention_v2_kernelIttLi64ELi16ELi128ELNS_18Fp8KVCacheDataTypeE0ELb1ELi512EEEvPfS2_PT_PKS3_PKT0_S9_ifPKiSB_iPKfiiiSD_SD_iiiii.private_seg_size, 0
	.set _ZN4vllm25paged_attention_v2_kernelIttLi64ELi16ELi128ELNS_18Fp8KVCacheDataTypeE0ELb1ELi512EEEvPfS2_PT_PKS3_PKT0_S9_ifPKiSB_iPKfiiiSD_SD_iiiii.uses_vcc, 1
	.set _ZN4vllm25paged_attention_v2_kernelIttLi64ELi16ELi128ELNS_18Fp8KVCacheDataTypeE0ELb1ELi512EEEvPfS2_PT_PKS3_PKT0_S9_ifPKiSB_iPKfiiiSD_SD_iiiii.uses_flat_scratch, 0
	.set _ZN4vllm25paged_attention_v2_kernelIttLi64ELi16ELi128ELNS_18Fp8KVCacheDataTypeE0ELb1ELi512EEEvPfS2_PT_PKS3_PKT0_S9_ifPKiSB_iPKfiiiSD_SD_iiiii.has_dyn_sized_stack, 0
	.set _ZN4vllm25paged_attention_v2_kernelIttLi64ELi16ELi128ELNS_18Fp8KVCacheDataTypeE0ELb1ELi512EEEvPfS2_PT_PKS3_PKT0_S9_ifPKiSB_iPKfiiiSD_SD_iiiii.has_recursion, 0
	.set _ZN4vllm25paged_attention_v2_kernelIttLi64ELi16ELi128ELNS_18Fp8KVCacheDataTypeE0ELb1ELi512EEEvPfS2_PT_PKS3_PKT0_S9_ifPKiSB_iPKfiiiSD_SD_iiiii.has_indirect_call, 0
	.section	.AMDGPU.csdata,"",@progbits
; Kernel info:
; codeLenInByte = 7648
; TotalNumSgprs: 48
; NumVgprs: 79
; ScratchSize: 0
; MemoryBound: 0
; FloatMode: 240
; IeeeMode: 1
; LDSByteSize: 160 bytes/workgroup (compile time only)
; SGPRBlocks: 0
; VGPRBlocks: 9
; NumSGPRsForWavesPerEU: 48
; NumVGPRsForWavesPerEU: 79
; Occupancy: 12
; WaveLimiterHint : 1
; COMPUTE_PGM_RSRC2:SCRATCH_EN: 0
; COMPUTE_PGM_RSRC2:USER_SGPR: 6
; COMPUTE_PGM_RSRC2:TRAP_HANDLER: 0
; COMPUTE_PGM_RSRC2:TGID_X_EN: 1
; COMPUTE_PGM_RSRC2:TGID_Y_EN: 1
; COMPUTE_PGM_RSRC2:TGID_Z_EN: 1
; COMPUTE_PGM_RSRC2:TIDIG_COMP_CNT: 0
	.section	.text._ZN4vllm25paged_attention_v2_kernelIttLi80ELi16ELi128ELNS_18Fp8KVCacheDataTypeE0ELb1ELi512EEEvPfS2_PT_PKS3_PKT0_S9_ifPKiSB_iPKfiiiSD_SD_iiiii,"axG",@progbits,_ZN4vllm25paged_attention_v2_kernelIttLi80ELi16ELi128ELNS_18Fp8KVCacheDataTypeE0ELb1ELi512EEEvPfS2_PT_PKS3_PKT0_S9_ifPKiSB_iPKfiiiSD_SD_iiiii,comdat
	.protected	_ZN4vllm25paged_attention_v2_kernelIttLi80ELi16ELi128ELNS_18Fp8KVCacheDataTypeE0ELb1ELi512EEEvPfS2_PT_PKS3_PKT0_S9_ifPKiSB_iPKfiiiSD_SD_iiiii ; -- Begin function _ZN4vllm25paged_attention_v2_kernelIttLi80ELi16ELi128ELNS_18Fp8KVCacheDataTypeE0ELb1ELi512EEEvPfS2_PT_PKS3_PKT0_S9_ifPKiSB_iPKfiiiSD_SD_iiiii
	.globl	_ZN4vllm25paged_attention_v2_kernelIttLi80ELi16ELi128ELNS_18Fp8KVCacheDataTypeE0ELb1ELi512EEEvPfS2_PT_PKS3_PKT0_S9_ifPKiSB_iPKfiiiSD_SD_iiiii
	.p2align	8
	.type	_ZN4vllm25paged_attention_v2_kernelIttLi80ELi16ELi128ELNS_18Fp8KVCacheDataTypeE0ELb1ELi512EEEvPfS2_PT_PKS3_PKT0_S9_ifPKiSB_iPKfiiiSD_SD_iiiii,@function
_ZN4vllm25paged_attention_v2_kernelIttLi80ELi16ELi128ELNS_18Fp8KVCacheDataTypeE0ELb1ELi512EEEvPfS2_PT_PKS3_PKT0_S9_ifPKiSB_iPKfiiiSD_SD_iiiii: ; @_ZN4vllm25paged_attention_v2_kernelIttLi80ELi16ELi128ELNS_18Fp8KVCacheDataTypeE0ELb1ELi512EEEvPfS2_PT_PKS3_PKT0_S9_ifPKiSB_iPKfiiiSD_SD_iiiii
; %bb.0:
	s_load_dwordx2 s[0:1], s[4:5], 0x40
	s_mov_b32 s26, s7
	s_ashr_i32 s27, s7, 31
	s_lshl_b64 s[2:3], s[26:27], 2
	s_waitcnt lgkmcnt(0)
	s_add_u32 s0, s0, s2
	s_addc_u32 s1, s1, s3
	s_lshl_b32 s38, s8, 9
	s_load_dword s27, s[0:1], 0x0
	s_waitcnt lgkmcnt(0)
	s_cmp_ge_i32 s38, s27
	s_cbranch_scc1 .LBB92_76
; %bb.1:
	s_clause 0x1
	s_load_dword s9, s[4:5], 0x90
	s_load_dwordx2 s[36:37], s[4:5], 0x30
	s_mov_b32 s40, 0
	s_waitcnt lgkmcnt(0)
	s_abs_i32 s3, s9
	s_abs_i32 s0, s36
	v_cvt_f32_u32_e32 v1, s0
	s_sub_i32 s2, 0, s0
	v_rcp_iflag_f32_e32 v1, v1
	v_mul_f32_e32 v1, 0x4f7ffffe, v1
	v_cvt_u32_f32_e32 v1, v1
	v_readfirstlane_b32 s1, v1
	s_mul_i32 s2, s2, s1
	s_mul_hi_u32 s2, s1, s2
	s_add_i32 s1, s1, s2
	s_xor_b32 s2, s9, s36
	s_mul_hi_u32 s1, s3, s1
	s_ashr_i32 s2, s2, 31
	s_mul_i32 s7, s1, s0
	s_sub_i32 s3, s3, s7
	s_add_i32 s7, s1, 1
	s_sub_i32 s10, s3, s0
	s_cmp_ge_u32 s3, s0
	s_cselect_b32 s1, s7, s1
	s_cselect_b32 s3, s10, s3
	s_add_i32 s7, s1, 1
	s_cmp_ge_u32 s3, s0
	s_cselect_b32 s0, s7, s1
	s_xor_b32 s0, s0, s2
	s_sub_i32 s10, s0, s2
	s_load_dwordx2 s[0:1], s[4:5], 0x50
	s_abs_i32 s2, s10
	v_cvt_f32_u32_e32 v1, s2
	s_sub_i32 s3, 0, s2
	v_rcp_iflag_f32_e32 v1, v1
	v_mul_f32_e32 v1, 0x4f7ffffe, v1
	v_cvt_u32_f32_e32 v1, v1
	v_readfirstlane_b32 s7, v1
	s_mul_i32 s3, s3, s7
	s_mul_hi_u32 s11, s7, s3
	s_abs_i32 s3, s6
	s_add_i32 s7, s7, s11
	s_waitcnt lgkmcnt(0)
	s_cmp_eq_u64 s[0:1], 0
	s_mul_hi_u32 s20, s3, s7
	s_cbranch_scc1 .LBB92_3
; %bb.2:
	s_ashr_i32 s7, s6, 31
	s_lshl_b64 s[12:13], s[6:7], 2
	s_add_u32 s0, s0, s12
	s_addc_u32 s1, s1, s13
	s_load_dword s40, s[0:1], 0x0
.LBB92_3:
	s_load_dwordx4 s[12:15], s[4:5], 0x58
	v_lshrrev_b32_e32 v23, 1, v0
	v_and_b32_e32 v24, 1, v0
	v_lshlrev_b32_e32 v27, 3, v0
	s_ashr_i32 s0, s6, 31
	s_ashr_i32 s1, s10, 31
	s_mul_i32 s10, s6, 0x50
	s_mov_b32 s7, exec_lo
	v_cmpx_gt_u32_e32 20, v0
	s_cbranch_execz .LBB92_5
; %bb.4:
	s_load_dwordx2 s[16:17], s[4:5], 0x18
	s_waitcnt lgkmcnt(0)
	s_mul_i32 s18, s12, s26
	v_lshlrev_b32_e32 v3, 3, v23
	s_ashr_i32 s19, s18, 31
	s_lshl_b64 s[18:19], s[18:19], 1
	v_mad_u32_u24 v3, 0x50, v24, v3
	s_add_u32 s12, s16, s18
	s_addc_u32 s15, s17, s19
	s_ashr_i32 s11, s10, 31
	s_lshl_b64 s[16:17], s[10:11], 1
	s_add_u32 s16, s12, s16
	s_addc_u32 s17, s15, s17
	global_load_dwordx2 v[1:2], v27, s[16:17]
	s_waitcnt vmcnt(0)
	ds_write_b64 v3, v[1:2]
.LBB92_5:
	s_or_b32 exec_lo, exec_lo, s7
	s_load_dwordx4 s[16:19], s[4:5], 0x78
	s_mul_i32 s7, s20, s2
	s_xor_b32 s0, s0, s1
	s_sub_i32 s1, s3, s7
	s_add_i32 s3, s20, 1
	s_sub_i32 s7, s1, s2
	s_cmp_ge_u32 s1, s2
                                        ; implicit-def: $sgpr33
	s_cselect_b32 s3, s3, s20
	s_cselect_b32 s1, s7, s1
	s_add_i32 s7, s3, 1
	s_cmp_ge_u32 s1, s2
	s_mov_b32 s20, -1
	s_cselect_b32 s1, s7, s3
	s_load_dword s3, s[4:5], 0x88
	s_xor_b32 s1, s1, s0
	s_add_i32 s7, s27, -1
	s_sub_i32 s1, s1, s0
	s_abs_i32 s2, s7
	s_waitcnt lgkmcnt(0)
	s_abs_i32 s11, s19
	s_barrier
	v_cvt_f32_u32_e32 v1, s11
	s_sub_i32 s0, 0, s11
	buffer_gl0_inv
	v_rcp_iflag_f32_e32 v1, v1
	v_mul_f32_e32 v1, 0x4f7ffffe, v1
	v_cvt_u32_f32_e32 v1, v1
	v_readfirstlane_b32 s12, v1
	s_mul_i32 s0, s0, s12
	s_mul_hi_u32 s0, s12, s0
	s_add_i32 s12, s12, s0
	s_cmp_lt_i32 s3, 0
	s_mul_hi_u32 s0, s2, s12
	s_cbranch_scc0 .LBB92_7
; %bb.6:
	s_mul_i32 s15, s16, s36
	s_mov_b32 s20, 0
	s_add_i32 s15, s1, s15
	s_mul_i32 s15, s15, s3
	s_sub_i32 s33, 1, s15
.LBB92_7:
	s_load_dwordx2 s[28:29], s[4:5], 0x38
	s_ashr_i32 s15, s7, 31
	s_andn2_b32 vcc_lo, exec_lo, s20
	s_ashr_i32 s19, s19, 31
	s_cbranch_vccnz .LBB92_9
; %bb.8:
	s_mul_i32 s7, s9, s16
	s_add_i32 s7, s7, s6
	s_mul_i32 s3, s7, s3
	s_add_i32 s33, s3, 1
.LBB92_9:
	s_clause 0x4
	s_load_dword s3, s[4:5], 0x48
	s_load_dwordx2 s[34:35], s[4:5], 0x28
	s_load_dword s7, s[4:5], 0x98
	s_load_dwordx4 s[20:23], s[4:5], 0x0
	s_load_dwordx2 s[24:25], s[4:5], 0x10
	s_mul_i32 s16, s0, s11
	s_xor_b32 s15, s15, s19
	s_sub_i32 s2, s2, s16
	s_add_i32 s36, s0, 1
	v_lshrrev_b32_e32 v25, 5, v0
	v_mov_b32_e32 v29, 0xff7fffff
	v_mbcnt_lo_u32_b32 v28, -1, 0
	s_mul_i32 s14, s1, s14
	v_lshl_add_u32 v26, v25, 4, s38
	s_waitcnt lgkmcnt(0)
	s_mul_i32 s30, s3, s26
	s_sub_i32 s3, s2, s11
	s_ashr_i32 s31, s30, 31
	s_cmp_ge_u32 s2, s11
	s_cselect_b32 s0, s36, s0
	s_cselect_b32 s2, s3, s2
	s_add_i32 s3, s0, 1
	s_cmp_ge_u32 s2, s11
	s_cselect_b32 s0, s3, s0
	s_add_i32 s2, s27, 15
	s_lshl_b32 s41, s8, 5
	s_ashr_i32 s3, s2, 31
	v_or_b32_e32 v5, s41, v25
	s_lshr_b32 s3, s3, 28
	s_add_i32 s2, s2, s3
	s_add_i32 s3, s41, 32
	s_ashr_i32 s36, s2, 4
	s_xor_b32 s2, s0, s15
	s_min_i32 s16, s3, s36
	v_ashrrev_i32_e32 v6, 31, v5
	v_cmp_gt_i32_e64 s0, s16, v5
	s_sub_i32 s39, s2, s15
	s_and_saveexec_b32 s42, s0
	s_cbranch_execz .LBB92_21
; %bb.10:
	s_load_dwordx2 s[2:3], s[4:5], 0x20
	s_ashr_i32 s15, s14, 31
	s_sub_i32 s4, s39, s17
	s_lshl_b64 s[44:45], s[14:15], 1
	v_bfe_u32 v30, v0, 1, 4
	v_and_b32_e32 v4, 8, v27
	v_mul_u32_u24_e32 v31, 0x50, v24
	v_cmp_neq_f32_e64 s1, s40, 0
	v_lshl_add_u32 v32, v25, 4, s38
	v_lshlrev_b32_e32 v7, 2, v30
	v_subrev_nc_u32_e32 v8, s27, v30
	v_lshlrev_b32_e32 v9, 4, v30
	v_mov_b32_e32 v33, 0xff7fffff
	v_xor_b32_e32 v34, 1, v28
	v_lshl_or_b32 v7, v25, 6, v7
	v_add_nc_u32_e32 v35, 1, v8
	v_mov_b32_e32 v29, 0xff7fffff
	v_mov_b32_e32 v40, v5
	v_cmp_eq_u32_e32 vcc_lo, 0, v24
	v_add_nc_u32_e32 v36, 0xc0, v7
	s_waitcnt lgkmcnt(0)
	s_add_u32 s15, s2, s44
	s_addc_u32 s43, s3, s45
	s_abs_i32 s5, s18
	v_add_co_u32 v8, s15, s15, v9
	v_cvt_f32_u32_e32 v1, s5
	s_sub_i32 s2, 0, s5
	v_add_co_ci_u32_e64 v9, null, s43, 0, s15
	s_mov_b32 s15, 0
	v_rcp_iflag_f32_e32 v3, v1
	v_lshlrev_b64 v[1:2], 2, v[5:6]
	s_mov_b32 s43, s13
	v_mul_f32_e32 v3, 0x4f7ffffe, v3
	v_cvt_u32_f32_e32 v3, v3
	v_mul_lo_u32 v7, s2, v3
	s_lshl_b64 s[2:3], s[30:31], 2
	s_add_u32 s2, s28, s2
	s_addc_u32 s3, s29, s3
	v_add_co_u32 v1, s2, s2, v1
	v_add_co_ci_u32_e64 v2, null, s3, v2, s2
	v_mul_hi_u32 v7, v3, v7
	v_add_co_u32 v37, s2, v8, v4
	v_add_co_ci_u32_e64 v38, null, 0, v9, s2
	v_add_nc_u32_e32 v39, v3, v7
	s_branch .LBB92_13
.LBB92_11:                              ;   in Loop: Header=BB92_13 Depth=1
	s_or_b32 exec_lo, exec_lo, s44
.LBB92_12:                              ;   in Loop: Header=BB92_13 Depth=1
	s_or_b32 exec_lo, exec_lo, s3
	v_add_nc_u32_e32 v40, 4, v40
	v_add_co_u32 v1, s3, v1, 16
	v_add_co_ci_u32_e64 v2, null, 0, v2, s3
	v_cmp_le_i32_e64 s2, s16, v40
	v_add_nc_u32_e32 v32, 64, v32
	v_add_nc_u32_e32 v36, 0x100, v36
	s_or_b32 s15, s2, s15
	s_andn2_b32 exec_lo, exec_lo, s15
	s_cbranch_execz .LBB92_20
.LBB92_13:                              ; =>This Inner Loop Header: Depth=1
	v_sub_nc_u32_e32 v3, 0, v32
	v_max_i32_e32 v3, v32, v3
	s_waitcnt lgkmcnt(0)
	v_mul_hi_u32 v4, v3, s12
	v_mul_lo_u32 v7, v4, s11
	v_sub_nc_u32_e32 v3, v3, v7
	v_add_nc_u32_e32 v7, 1, v4
	v_subrev_nc_u32_e32 v8, s11, v3
	v_cmp_le_u32_e64 s2, s11, v3
	v_cndmask_b32_e64 v4, v4, v7, s2
	v_cndmask_b32_e64 v3, v3, v8, s2
	v_ashrrev_i32_e32 v7, 31, v32
	v_add_nc_u32_e32 v8, 1, v4
	v_cmp_le_u32_e64 s2, s11, v3
	v_xor_b32_e32 v7, s19, v7
	v_cndmask_b32_e64 v3, v4, v8, s2
	v_xor_b32_e32 v3, v3, v7
	v_sub_nc_u32_e32 v3, v3, v7
	v_add_nc_u32_e32 v4, s33, v3
	v_cmp_ge_i32_e64 s3, s4, v3
	v_sub_nc_u32_e32 v7, 0, v4
	v_max_i32_e32 v7, v4, v7
	v_ashrrev_i32_e32 v4, 31, v4
	v_mul_hi_u32 v8, v7, v39
	v_mul_lo_u32 v8, v8, s5
	v_sub_nc_u32_e32 v7, v7, v8
	v_subrev_nc_u32_e32 v8, s5, v7
	v_cmp_le_u32_e64 s2, s5, v7
	v_cndmask_b32_e64 v7, v7, v8, s2
	v_subrev_nc_u32_e32 v8, s5, v7
	v_cmp_le_u32_e64 s2, s5, v7
	v_cndmask_b32_e64 v7, v7, v8, s2
	v_xor_b32_e32 v7, v7, v4
	v_sub_nc_u32_e32 v4, v7, v4
	v_cmp_ne_u32_e64 s2, 0, v4
	s_and_b32 s2, s2, s3
	s_and_saveexec_b32 s3, s2
	s_xor_b32 s2, exec_lo, s3
	s_cbranch_execz .LBB92_17
; %bb.14:                               ;   in Loop: Header=BB92_13 Depth=1
	s_and_saveexec_b32 s3, vcc_lo
; %bb.15:                               ;   in Loop: Header=BB92_13 Depth=1
	ds_write_b32 v36, v33
; %bb.16:                               ;   in Loop: Header=BB92_13 Depth=1
	s_or_b32 exec_lo, exec_lo, s3
.LBB92_17:                              ;   in Loop: Header=BB92_13 Depth=1
	s_andn2_saveexec_b32 s3, s2
	s_cbranch_execz .LBB92_12
; %bb.18:                               ;   in Loop: Header=BB92_13 Depth=1
	global_load_dword v3, v[1:2], off
	s_waitcnt vmcnt(0)
	v_mad_i64_i32 v[3:4], null, v3, s43, 0
	v_lshlrev_b64 v[3:4], 1, v[3:4]
	v_add_co_u32 v3, s2, v37, v3
	v_add_co_ci_u32_e64 v4, null, v38, v4, s2
	s_clause 0x6
	global_load_dwordx2 v[42:43], v[3:4], off
	global_load_dwordx2 v[21:22], v[3:4], off offset:256
	global_load_dwordx2 v[19:20], v[3:4], off offset:512
	;; [unrolled: 1-line block ×6, first 2 shown]
	v_add_co_u32 v44, s2, 0x800, v3
	v_add_co_ci_u32_e64 v45, null, 0, v4, s2
	s_clause 0x2
	global_load_dwordx2 v[9:10], v[3:4], off offset:1792
	global_load_dwordx2 v[7:8], v[44:45], off
	global_load_dwordx2 v[3:4], v[44:45], off offset:256
	ds_read_b64 v[44:45], v31
	v_cmp_gt_i32_e64 s2, 32, v34
	s_waitcnt lgkmcnt(0)
	v_and_b32_e32 v41, 0xffff, v44
	v_lshrrev_b32_e32 v44, 16, v44
	v_lshrrev_b32_e32 v47, 16, v45
	v_and_b32_e32 v48, 0xffff, v45
	;;#ASMSTART
	v_cvt_f32_f16 v41, v41;
	;;#ASMEND
	s_waitcnt vmcnt(9)
	v_and_b32_e32 v45, 0xffff, v42
	v_lshrrev_b32_e32 v46, 16, v42
	v_lshrrev_b32_e32 v49, 16, v43
	v_and_b32_e32 v50, 0xffff, v43
	;;#ASMSTART
	v_cvt_f32_f16 v42, v44;
	;;#ASMEND
	;;#ASMSTART
	v_cvt_f32_f16 v45, v45;
	;;#ASMEND
	;; [unrolled: 3-line block ×7, first 2 shown]
	ds_read_b64 v[49:50], v31 offset:8
	s_waitcnt vmcnt(8)
	v_lshrrev_b32_e32 v52, 16, v21
	v_and_b32_e32 v21, 0xffff, v21
	v_lshrrev_b32_e32 v56, 16, v22
	v_and_b32_e32 v22, 0xffff, v22
	s_waitcnt vmcnt(7)
	v_lshrrev_b32_e32 v58, 16, v19
	v_and_b32_e32 v19, 0xffff, v19
	v_lshrrev_b32_e32 v62, 16, v20
	v_and_b32_e32 v20, 0xffff, v20
	;; [unrolled: 5-line block ×4, first 2 shown]
	s_waitcnt vmcnt(4)
	v_lshrrev_b32_e32 v76, 16, v13
	v_and_b32_e32 v13, 0xffff, v13
	v_lshrrev_b32_e32 v80, 16, v14
	s_waitcnt lgkmcnt(0)
	v_and_b32_e32 v51, 0xffff, v49
	v_lshrrev_b32_e32 v53, 16, v49
	v_lshrrev_b32_e32 v54, 16, v50
	v_and_b32_e32 v55, 0xffff, v50
	;;#ASMSTART
	v_cvt_f32_f16 v49, v51;
	;;#ASMEND
	;;#ASMSTART
	v_cvt_f32_f16 v50, v53;
	;;#ASMEND
	;; [unrolled: 3-line block ×8, first 2 shown]
	ds_read_b64 v[21:22], v31 offset:16
	v_and_b32_e32 v14, 0xffff, v14
	s_waitcnt vmcnt(3)
	v_lshrrev_b32_e32 v82, 16, v11
	v_and_b32_e32 v11, 0xffff, v11
	v_lshrrev_b32_e32 v86, 16, v12
	v_and_b32_e32 v12, 0xffff, v12
	v_mul_f32_e32 v49, v49, v51
	v_mul_f32_e32 v50, v50, v52
	s_waitcnt vmcnt(2)
	v_lshrrev_b32_e32 v87, 16, v9
	v_and_b32_e32 v9, 0xffff, v9
	v_lshrrev_b32_e32 v89, 16, v10
	v_and_b32_e32 v10, 0xffff, v10
	v_fmac_f32_e32 v49, v41, v45
	v_fmac_f32_e32 v50, v42, v46
	v_mul_f32_e32 v54, v54, v56
	s_waitcnt vmcnt(1)
	v_lshrrev_b32_e32 v90, 16, v7
	v_and_b32_e32 v7, 0xffff, v7
	v_lshrrev_b32_e32 v41, 16, v8
	v_and_b32_e32 v8, 0xffff, v8
	v_fmac_f32_e32 v54, v44, v48
	s_waitcnt lgkmcnt(0)
	v_and_b32_e32 v57, 0xffff, v21
	v_lshrrev_b32_e32 v59, 16, v21
	v_lshrrev_b32_e32 v60, 16, v22
	v_and_b32_e32 v61, 0xffff, v22
	;;#ASMSTART
	v_cvt_f32_f16 v21, v57;
	;;#ASMEND
	;;#ASMSTART
	v_cvt_f32_f16 v22, v59;
	;;#ASMEND
	;; [unrolled: 3-line block ×8, first 2 shown]
	ds_read_b64 v[19:20], v31 offset:24
	v_fmac_f32_e32 v49, v21, v57
	v_fmac_f32_e32 v50, v22, v58
	;; [unrolled: 1-line block ×3, first 2 shown]
	s_waitcnt vmcnt(0)
	v_lshrrev_b32_e32 v42, 16, v3
	s_waitcnt lgkmcnt(0)
	v_and_b32_e32 v63, 0xffff, v19
	v_lshrrev_b32_e32 v65, 16, v19
	v_lshrrev_b32_e32 v66, 16, v20
	v_and_b32_e32 v67, 0xffff, v20
	;;#ASMSTART
	v_cvt_f32_f16 v19, v63;
	;;#ASMEND
	;;#ASMSTART
	v_cvt_f32_f16 v20, v65;
	;;#ASMEND
	;;#ASMSTART
	v_cvt_f32_f16 v63, v17;
	;;#ASMEND
	;;#ASMSTART
	v_cvt_f32_f16 v64, v64;
	;;#ASMEND
	;;#ASMSTART
	v_cvt_f32_f16 v65, v67;
	;;#ASMEND
	;;#ASMSTART
	v_cvt_f32_f16 v66, v66;
	;;#ASMEND
	;;#ASMSTART
	v_cvt_f32_f16 v67, v18;
	;;#ASMEND
	;;#ASMSTART
	v_cvt_f32_f16 v68, v68;
	;;#ASMEND
	ds_read_b64 v[17:18], v31 offset:32
	v_fmac_f32_e32 v49, v19, v63
	v_fmac_f32_e32 v50, v20, v64
	v_fmac_f32_e32 v54, v66, v68
	s_waitcnt lgkmcnt(0)
	v_and_b32_e32 v69, 0xffff, v17
	v_lshrrev_b32_e32 v71, 16, v17
	v_lshrrev_b32_e32 v72, 16, v18
	v_and_b32_e32 v73, 0xffff, v18
	;;#ASMSTART
	v_cvt_f32_f16 v17, v69;
	;;#ASMEND
	;;#ASMSTART
	v_cvt_f32_f16 v18, v71;
	;;#ASMEND
	;;#ASMSTART
	v_cvt_f32_f16 v69, v15;
	;;#ASMEND
	;;#ASMSTART
	v_cvt_f32_f16 v70, v70;
	;;#ASMEND
	;;#ASMSTART
	v_cvt_f32_f16 v71, v73;
	;;#ASMEND
	;;#ASMSTART
	v_cvt_f32_f16 v72, v72;
	;;#ASMEND
	;;#ASMSTART
	v_cvt_f32_f16 v73, v16;
	;;#ASMEND
	;;#ASMSTART
	v_cvt_f32_f16 v74, v74;
	;;#ASMEND
	ds_read_b64 v[15:16], v31 offset:40
	v_fmac_f32_e32 v49, v17, v69
	v_fmac_f32_e32 v50, v18, v70
	v_fmac_f32_e32 v54, v72, v74
	;; [unrolled: 33-line block ×3, first 2 shown]
	v_and_b32_e32 v15, 0xffff, v3
	s_waitcnt lgkmcnt(0)
	v_and_b32_e32 v81, 0xffff, v13
	v_lshrrev_b32_e32 v83, 16, v13
	v_lshrrev_b32_e32 v84, 16, v14
	v_and_b32_e32 v85, 0xffff, v14
	;;#ASMSTART
	v_cvt_f32_f16 v13, v81;
	;;#ASMEND
	;;#ASMSTART
	v_cvt_f32_f16 v14, v83;
	;;#ASMEND
	;; [unrolled: 3-line block ×8, first 2 shown]
	ds_read_b64 v[11:12], v31 offset:56
	v_fmac_f32_e32 v49, v13, v81
	v_fmac_f32_e32 v50, v14, v82
	;; [unrolled: 1-line block ×3, first 2 shown]
	v_lshrrev_b32_e32 v13, 16, v4
	s_waitcnt lgkmcnt(0)
	v_and_b32_e32 v51, 0xffff, v11
	v_lshrrev_b32_e32 v52, 16, v11
	v_mul_f32_e32 v11, v53, v55
	v_lshrrev_b32_e32 v88, 16, v12
	v_and_b32_e32 v55, 0xffff, v12
	;;#ASMSTART
	v_cvt_f32_f16 v12, v51;
	;;#ASMEND
	;;#ASMSTART
	v_cvt_f32_f16 v51, v52;
	;;#ASMEND
	;; [unrolled: 3-line block ×8, first 2 shown]
	ds_read_b64 v[9:10], v31 offset:64
	v_fmac_f32_e32 v11, v43, v47
	v_fmac_f32_e32 v49, v12, v52
	;; [unrolled: 1-line block ×3, first 2 shown]
	v_and_b32_e32 v12, 0xffff, v4
	v_fmac_f32_e32 v54, v87, v89
	v_fmac_f32_e32 v11, v59, v61
	;; [unrolled: 1-line block ×4, first 2 shown]
	s_waitcnt lgkmcnt(0)
	v_and_b32_e32 v17, 0xffff, v9
	v_lshrrev_b32_e32 v18, 16, v9
	v_lshrrev_b32_e32 v20, 16, v10
	v_and_b32_e32 v19, 0xffff, v10
	;;#ASMSTART
	v_cvt_f32_f16 v9, v17;
	;;#ASMEND
	;;#ASMSTART
	v_cvt_f32_f16 v10, v18;
	;;#ASMEND
	;; [unrolled: 3-line block ×8, first 2 shown]
	ds_read_b64 v[7:8], v31 offset:72
	v_fmac_f32_e32 v11, v77, v79
	v_fmac_f32_e32 v49, v9, v17
	;; [unrolled: 1-line block ×7, first 2 shown]
	s_waitcnt lgkmcnt(0)
	v_and_b32_e32 v3, 0xffff, v7
	v_lshrrev_b32_e32 v4, 16, v7
	v_lshrrev_b32_e32 v9, 16, v8
	v_and_b32_e32 v10, 0xffff, v8
	;;#ASMSTART
	v_cvt_f32_f16 v3, v3;
	;;#ASMEND
	;;#ASMSTART
	v_cvt_f32_f16 v4, v4;
	;;#ASMEND
	;; [unrolled: 3-line block ×4, first 2 shown]
	v_fmac_f32_e32 v49, v3, v7
	v_fmac_f32_e32 v50, v4, v8
	;;#ASMSTART
	v_cvt_f32_f16 v3, v10;
	;;#ASMEND
	;;#ASMSTART
	v_cvt_f32_f16 v4, v9;
	;;#ASMEND
	;; [unrolled: 3-line block ×3, first 2 shown]
	v_fmac_f32_e32 v11, v3, v7
	v_add_f32_e32 v3, v49, v50
	;;#ASMSTART
	v_cvt_f32_f16 v7, v13;
	;;#ASMEND
	v_fmac_f32_e32 v54, v4, v7
	v_cndmask_b32_e64 v4, v28, v34, s2
	v_add_f32_e32 v3, v3, v11
	v_lshlrev_b32_e32 v4, 2, v4
	v_add_f32_e32 v3, v54, v3
	ds_bpermute_b32 v4, v4, v3
	s_and_saveexec_b32 s44, vcc_lo
	s_cbranch_execz .LBB92_11
; %bb.19:                               ;   in Loop: Header=BB92_13 Depth=1
	v_add_nc_u32_e32 v7, v35, v32
	s_waitcnt lgkmcnt(0)
	v_add_f32_e32 v3, v3, v4
	v_cvt_f32_i32_e32 v7, v7
	v_mul_f32_e32 v7, s40, v7
	v_cndmask_b32_e64 v4, 0, v7, s1
	v_max_f32_e32 v7, v29, v29
	v_fmac_f32_e32 v4, s37, v3
	v_add_nc_u32_e32 v3, v30, v32
	v_max_f32_e32 v7, v7, v4
	v_cmp_gt_i32_e64 s2, s27, v3
	v_cndmask_b32_e64 v3, 0, v4, s2
	v_cndmask_b32_e64 v29, v29, v7, s2
	ds_write_b32 v36, v3
	s_branch .LBB92_11
.LBB92_20:
	s_or_b32 exec_lo, exec_lo, s15
.LBB92_21:
	s_or_b32 exec_lo, exec_lo, s42
	v_xor_b32_e32 v1, 16, v28
	v_xor_b32_e32 v2, 8, v28
	s_waitcnt lgkmcnt(0)
	v_max_f32_e32 v4, v29, v29
	v_and_b32_e32 v10, 31, v0
	v_lshlrev_b32_e32 v9, 2, v25
	v_cmp_gt_i32_e32 vcc_lo, 32, v1
	v_cndmask_b32_e32 v1, v28, v1, vcc_lo
	v_cmp_gt_i32_e32 vcc_lo, 32, v2
	v_lshlrev_b32_e32 v3, 2, v1
	v_cndmask_b32_e32 v2, v28, v2, vcc_lo
	ds_bpermute_b32 v1, v3, v29
	v_lshlrev_b32_e32 v7, 2, v2
	s_waitcnt lgkmcnt(0)
	v_max_f32_e32 v1, v1, v1
	v_max_f32_e32 v1, v4, v1
	v_xor_b32_e32 v4, 4, v28
	ds_bpermute_b32 v2, v7, v1
	v_cmp_gt_i32_e32 vcc_lo, 32, v4
	v_cndmask_b32_e32 v4, v28, v4, vcc_lo
	v_lshlrev_b32_e32 v8, 2, v4
	v_xor_b32_e32 v4, 2, v28
	v_cmp_gt_i32_e32 vcc_lo, 32, v4
	s_waitcnt lgkmcnt(0)
	v_max_f32_e32 v2, v2, v2
	v_cndmask_b32_e32 v4, v28, v4, vcc_lo
	v_cmp_eq_u32_e32 vcc_lo, 0, v10
	v_max_f32_e32 v1, v1, v2
	ds_bpermute_b32 v2, v8, v1
	s_waitcnt lgkmcnt(0)
	v_max_f32_e32 v2, v2, v2
	v_max_f32_e32 v1, v1, v2
	v_lshlrev_b32_e32 v2, 2, v4
	ds_bpermute_b32 v4, v2, v1
	s_and_saveexec_b32 s1, vcc_lo
	s_cbranch_execz .LBB92_23
; %bb.22:
	s_waitcnt lgkmcnt(0)
	v_max_f32_e32 v4, v4, v4
	v_max_f32_e32 v1, v1, v1
	;; [unrolled: 1-line block ×3, first 2 shown]
	ds_write_b32 v9, v1 offset:160
.LBB92_23:
	s_or_b32 exec_lo, exec_lo, s1
	v_cmp_gt_u32_e64 s1, 4, v10
	v_mov_b32_e32 v1, 0xff7fffff
	v_lshlrev_b32_e32 v12, 2, v10
	s_waitcnt lgkmcnt(0)
	s_barrier
	buffer_gl0_inv
	s_and_saveexec_b32 s2, s1
; %bb.24:
	ds_read_b32 v1, v12 offset:160
; %bb.25:
	s_or_b32 exec_lo, exec_lo, s2
	s_waitcnt lgkmcnt(0)
	ds_bpermute_b32 v4, v2, v1
	v_xor_b32_e32 v11, 1, v28
	v_max_f32_e32 v1, v1, v1
	v_mov_b32_e32 v13, 0
	v_cmp_gt_i32_e64 s2, 32, v11
	v_cndmask_b32_e64 v11, v28, v11, s2
	s_sub_i32 s2, s16, s41
	s_lshl_b32 s2, s2, 4
	v_lshlrev_b32_e32 v11, 2, v11
	s_add_i32 s2, s2, s38
	s_min_i32 s2, s2, s27
	s_waitcnt lgkmcnt(0)
	v_max_f32_e32 v4, v4, v4
	s_sub_i32 s4, s2, s38
	v_cmp_gt_i32_e64 s2, s4, v0
	v_max_f32_e32 v1, v1, v4
	ds_bpermute_b32 v4, v11, v1
	s_waitcnt lgkmcnt(0)
	v_max_f32_e32 v4, v4, v4
	v_max_f32_e32 v1, v1, v4
	v_lshl_add_u32 v4, v0, 2, 0xc0
	ds_bpermute_b32 v1, v13, v1
	s_and_saveexec_b32 s5, s2
	s_cbranch_execz .LBB92_29
; %bb.26:
	v_lshl_add_u32 v14, v0, 2, 0xc0
	v_mov_b32_e32 v13, 0
	v_mov_b32_e32 v15, v0
	s_mov_b32 s15, 0
	.p2align	6
.LBB92_27:                              ; =>This Inner Loop Header: Depth=1
	ds_read_b32 v16, v14
	v_add_nc_u32_e32 v15, 0x80, v15
	v_cmp_le_i32_e64 s3, s4, v15
	s_or_b32 s15, s3, s15
	s_waitcnt lgkmcnt(0)
	v_sub_f32_e32 v16, v16, v1
	v_mul_f32_e32 v16, 0x3fb8aa3b, v16
	v_exp_f32_e32 v16, v16
	ds_write_b32 v14, v16
	v_add_f32_e32 v13, v13, v16
	v_add_nc_u32_e32 v14, 0x200, v14
	s_andn2_b32 exec_lo, exec_lo, s15
	s_cbranch_execnz .LBB92_27
; %bb.28:
	s_or_b32 exec_lo, exec_lo, s15
.LBB92_29:
	s_or_b32 exec_lo, exec_lo, s5
	ds_bpermute_b32 v3, v3, v13
	s_waitcnt lgkmcnt(0)
	v_add_f32_e32 v3, v13, v3
	ds_bpermute_b32 v7, v7, v3
	s_waitcnt lgkmcnt(0)
	v_add_f32_e32 v3, v3, v7
	;; [unrolled: 3-line block ×5, first 2 shown]
	s_and_saveexec_b32 s3, vcc_lo
; %bb.30:
	ds_write_b32 v9, v3 offset:176
; %bb.31:
	s_or_b32 exec_lo, exec_lo, s3
	s_waitcnt lgkmcnt(0)
	s_barrier
	buffer_gl0_inv
	s_and_saveexec_b32 s3, s1
; %bb.32:
	ds_read_b32 v3, v12 offset:176
; %bb.33:
	s_or_b32 exec_lo, exec_lo, s3
	s_waitcnt lgkmcnt(0)
	ds_bpermute_b32 v2, v2, v3
	s_waitcnt lgkmcnt(0)
	v_add_f32_e32 v2, v3, v2
	ds_bpermute_b32 v3, v11, v2
	s_waitcnt lgkmcnt(0)
	v_add_f32_e32 v2, v2, v3
	v_mov_b32_e32 v3, 0
	ds_bpermute_b32 v2, v3, v2
	s_and_saveexec_b32 s1, s2
	s_cbranch_execz .LBB92_36
; %bb.34:
	s_waitcnt lgkmcnt(0)
	v_add_f32_e32 v3, 0x358637bd, v2
	s_mov_b32 s2, 0
	v_div_scale_f32 v7, null, v3, v3, 1.0
	v_div_scale_f32 v12, vcc_lo, 1.0, v3, 1.0
	v_rcp_f32_e32 v8, v7
	v_fma_f32 v9, -v7, v8, 1.0
	v_fmac_f32_e32 v8, v9, v8
	v_mul_f32_e32 v9, v12, v8
	v_fma_f32 v13, -v7, v9, v12
	v_fmac_f32_e32 v9, v13, v8
	v_fma_f32 v7, -v7, v9, v12
	v_div_fmas_f32 v7, v7, v8, v9
	v_div_fixup_f32 v3, v7, v3, 1.0
	v_mov_b32_e32 v7, v0
.LBB92_35:                              ; =>This Inner Loop Header: Depth=1
	ds_read_b32 v8, v4
	v_add_nc_u32_e32 v7, 0x80, v7
	v_cmp_le_i32_e32 vcc_lo, s4, v7
	s_or_b32 s2, vcc_lo, s2
	s_waitcnt lgkmcnt(0)
	v_mul_f32_e32 v8, v3, v8
	ds_write_b32 v4, v8
	v_add_nc_u32_e32 v4, 0x200, v4
	s_andn2_b32 exec_lo, exec_lo, s2
	s_cbranch_execnz .LBB92_35
.LBB92_36:
	s_or_b32 exec_lo, exec_lo, s1
	s_mul_i32 s1, s7, s26
	s_waitcnt lgkmcnt(0)
	s_mul_i32 s2, s1, s9
	s_mov_b32 s1, exec_lo
	s_barrier
	buffer_gl0_inv
	v_cmpx_eq_u32_e32 0, v0
	s_cbranch_execz .LBB92_38
; %bb.37:
	s_ashr_i32 s3, s2, 31
	s_mul_i32 s40, s7, s6
	s_lshl_b64 s[4:5], s[2:3], 2
	v_mov_b32_e32 v3, 0
	s_add_u32 s3, s22, s4
	s_addc_u32 s6, s23, s5
	s_ashr_i32 s41, s40, 31
	s_lshl_b64 s[22:23], s[40:41], 2
	s_add_u32 s3, s3, s22
	s_addc_u32 s6, s6, s23
	s_ashr_i32 s9, s8, 31
	s_lshl_b64 s[40:41], s[8:9], 2
	s_add_u32 s42, s3, s40
	s_addc_u32 s43, s6, s41
	s_add_u32 s3, s20, s4
	s_addc_u32 s4, s21, s5
	;; [unrolled: 2-line block ×4, first 2 shown]
	global_store_dword v3, v1, s[42:43]
	global_store_dword v3, v2, s[4:5]
.LBB92_38:
	s_or_b32 exec_lo, exec_lo, s1
	v_mov_b32_e32 v17, 0
	v_mov_b32_e32 v15, 0
	;; [unrolled: 1-line block ×5, first 2 shown]
	s_and_saveexec_b32 s3, s0
	s_cbranch_execz .LBB92_54
; %bb.39:
	s_ashr_i32 s15, s14, 31
	s_sub_i32 s4, s39, s17
	s_lshl_b64 s[0:1], s[14:15], 1
	v_lshlrev_b32_e32 v4, 4, v0
	s_add_u32 s6, s34, s0
	s_addc_u32 s9, s35, s1
	s_abs_i32 s5, s18
	s_add_i32 s36, s36, -1
	v_cvt_f32_u32_e32 v1, s5
	s_sub_i32 s0, 0, s5
	v_and_b32_e32 v4, 0x1f0, v4
	v_and_b32_e32 v16, 8, v27
	v_mov_b32_e32 v18, 0
	v_rcp_iflag_f32_e32 v1, v1
	v_mov_b32_e32 v12, 0
	v_add_co_u32 v19, s6, s6, v4
	v_mov_b32_e32 v13, 0
	v_mov_b32_e32 v14, 0
	;; [unrolled: 1-line block ×3, first 2 shown]
	v_add_co_ci_u32_e64 v20, null, s9, 0, s6
	v_mov_b32_e32 v17, 0
	v_mul_f32_e32 v3, 0x4f7ffffe, v1
	v_lshlrev_b64 v[1:2], 2, v[5:6]
	v_lshlrev_b32_e32 v6, 5, v24
	s_mov_b32 s9, s13
	s_mov_b32 s6, 0
	v_cvt_u32_f32_e32 v3, v3
	v_lshl_or_b32 v6, v25, 6, v6
	v_mul_lo_u32 v7, s0, v3
	s_lshl_b64 s[0:1], s[30:31], 2
	v_add_nc_u32_e32 v21, 0xc0, v6
	s_add_u32 s0, s28, s0
	s_addc_u32 s1, s29, s1
	v_add_co_u32 v6, vcc_lo, s0, v1
	v_mul_hi_u32 v8, v3, v7
	v_add_co_ci_u32_e64 v7, null, s1, v2, vcc_lo
	v_add_nc_u32_e32 v22, v3, v8
	s_branch .LBB92_42
.LBB92_40:                              ;   in Loop: Header=BB92_42 Depth=1
	s_or_b32 exec_lo, exec_lo, s1
	v_lshlrev_b32_e32 v27, 16, v47
	v_lshlrev_b32_e32 v28, 16, v46
	;; [unrolled: 1-line block ×3, first 2 shown]
	v_add_f32_e32 v8, v8, v9
	v_and_or_b32 v1, 0xffff, v1, v27
	v_and_or_b32 v2, 0xffff, v2, v28
	;; [unrolled: 1-line block ×3, first 2 shown]
	;;#ASMSTART
	v_pk_mul_f16 v1, v36, v1;

	;;#ASMEND
	;;#ASMSTART
	v_pk_mul_f16 v2, v35, v2;

	;;#ASMEND
	;; [unrolled: 4-line block ×4, first 2 shown]
	;;#ASMSTART
	v_pk_add_f16 v1, v1, v2;

	;;#ASMEND
	;;#ASMSTART
	v_pk_add_f16 v1, v1, v3;

	;;#ASMEND
	;; [unrolled: 4-line block ×3, first 2 shown]
	v_and_b32_e32 v4, 0xffff, v1
	v_lshrrev_b32_e32 v9, 16, v1
	;;#ASMSTART
	v_cvt_f32_f16 v4, v4;
	;;#ASMEND
	v_add_f32_e32 v1, v43, v44
	v_add_f32_e32 v2, v41, v42
	v_add_f32_e32 v3, v37, v38
	;;#ASMSTART
	v_cvt_f32_f16 v9, v9;
	;;#ASMEND
	v_add_f32_e32 v4, v4, v9
	v_add_f32_e32 v13, v13, v8
	;; [unrolled: 1-line block ×6, first 2 shown]
.LBB92_41:                              ;   in Loop: Header=BB92_42 Depth=1
	s_or_b32 exec_lo, exec_lo, s13
	v_add_nc_u32_e32 v5, 4, v5
	v_add_co_u32 v6, s0, v6, 16
	v_add_co_ci_u32_e64 v7, null, 0, v7, s0
	v_cmp_le_i32_e32 vcc_lo, s16, v5
	v_add_nc_u32_e32 v26, 64, v26
	v_add_nc_u32_e32 v21, 0x100, v21
	s_or_b32 s6, vcc_lo, s6
	s_andn2_b32 exec_lo, exec_lo, s6
	s_cbranch_execz .LBB92_53
.LBB92_42:                              ; =>This Inner Loop Header: Depth=1
	v_sub_nc_u32_e32 v1, 0, v26
	v_max_i32_e32 v1, v26, v1
	v_mul_hi_u32 v2, v1, s12
	v_mul_lo_u32 v3, v2, s11
	v_sub_nc_u32_e32 v1, v1, v3
	v_add_nc_u32_e32 v3, 1, v2
	v_subrev_nc_u32_e32 v4, s11, v1
	v_cmp_le_u32_e32 vcc_lo, s11, v1
	v_cndmask_b32_e32 v2, v2, v3, vcc_lo
	v_cndmask_b32_e32 v1, v1, v4, vcc_lo
	v_ashrrev_i32_e32 v3, 31, v26
	v_add_nc_u32_e32 v4, 1, v2
	v_cmp_le_u32_e32 vcc_lo, s11, v1
	v_xor_b32_e32 v3, s19, v3
	v_cndmask_b32_e32 v1, v2, v4, vcc_lo
	v_xor_b32_e32 v1, v1, v3
	v_sub_nc_u32_e32 v1, v1, v3
	v_add_nc_u32_e32 v2, s33, v1
	v_cmp_lt_i32_e64 s0, s4, v1
	v_sub_nc_u32_e32 v3, 0, v2
	v_max_i32_e32 v3, v2, v3
	v_ashrrev_i32_e32 v2, 31, v2
	v_mul_hi_u32 v4, v3, v22
	v_mul_lo_u32 v4, v4, s5
	v_sub_nc_u32_e32 v3, v3, v4
	v_subrev_nc_u32_e32 v4, s5, v3
	v_cmp_le_u32_e32 vcc_lo, s5, v3
	v_cndmask_b32_e32 v3, v3, v4, vcc_lo
	v_subrev_nc_u32_e32 v4, s5, v3
	v_cmp_le_u32_e32 vcc_lo, s5, v3
	v_cndmask_b32_e32 v3, v3, v4, vcc_lo
	v_xor_b32_e32 v3, v3, v2
	v_sub_nc_u32_e32 v2, v3, v2
	v_cmp_eq_u32_e32 vcc_lo, 0, v2
	s_or_b32 s0, vcc_lo, s0
	s_and_saveexec_b32 s13, s0
	s_cbranch_execz .LBB92_41
; %bb.43:                               ;   in Loop: Header=BB92_42 Depth=1
	global_load_dword v8, v[6:7], off
	ds_read2_b64 v[1:4], v21 offset1:1
	ds_read2_b64 v[27:30], v21 offset0:2 offset1:3
	v_add_nc_u32_e32 v32, v16, v26
	v_cmp_eq_u32_e64 s0, s36, v5
	s_waitcnt lgkmcnt(1)
	;;#ASMSTART
	v_cvt_f16_f32 v36, v1;

	;;#ASMEND
	;;#ASMSTART
	v_cvt_f16_f32 v35, v2;

	;;#ASMEND
	;; [unrolled: 4-line block ×4, first 2 shown]
	s_waitcnt lgkmcnt(0)
	;;#ASMSTART
	v_cvt_f16_f32 v42, v27;

	;;#ASMEND
	;;#ASMSTART
	v_cvt_f16_f32 v38, v28;

	;;#ASMEND
	;; [unrolled: 4-line block ×4, first 2 shown]
	v_add_nc_u32_e32 v34, 1, v32
	v_add_nc_u32_e32 v31, 2, v32
	;; [unrolled: 1-line block ×7, first 2 shown]
	s_waitcnt vmcnt(0)
	v_mad_i64_i32 v[8:9], null, v8, s9, 0
	v_lshlrev_b64 v[8:9], 1, v[8:9]
	v_add_co_u32 v8, vcc_lo, v19, v8
	v_add_co_ci_u32_e64 v9, null, v20, v9, vcc_lo
	global_load_dwordx4 v[1:4], v[8:9], off
	s_waitcnt vmcnt(0)
	v_lshrrev_b32_e32 v45, 16, v1
	v_lshrrev_b32_e32 v44, 16, v2
	;; [unrolled: 1-line block ×3, first 2 shown]
	s_and_saveexec_b32 s14, s0
	s_cbranch_execz .LBB92_45
; %bb.44:                               ;   in Loop: Header=BB92_42 Depth=1
	v_cmp_gt_i32_e32 vcc_lo, s27, v32
	v_and_b32_e32 v46, 0xffff0000, v4
	v_cmp_gt_i32_e64 s1, s27, v31
	v_cndmask_b32_e32 v1, 0, v1, vcc_lo
	v_cmp_gt_i32_e32 vcc_lo, s27, v34
	v_cndmask_b32_e64 v2, 0, v2, s1
	v_cmp_gt_i32_e64 s1, s27, v30
	v_cndmask_b32_e32 v45, 0, v45, vcc_lo
	v_cmp_gt_i32_e32 vcc_lo, s27, v33
	v_cndmask_b32_e64 v44, 0, v44, s1
	v_cndmask_b32_sdwa v4, v18, v4, vcc_lo dst_sel:DWORD dst_unused:UNUSED_PAD src0_sel:DWORD src1_sel:WORD_0
	v_cmp_gt_i32_e32 vcc_lo, s27, v29
	v_cndmask_b32_e32 v46, 0, v46, vcc_lo
	v_cmp_gt_i32_e32 vcc_lo, s27, v28
	v_or_b32_e32 v4, v4, v46
	v_cndmask_b32_e32 v3, 0, v3, vcc_lo
	v_cmp_gt_i32_e32 vcc_lo, s27, v27
	v_cndmask_b32_e32 v43, 0, v43, vcc_lo
.LBB92_45:                              ;   in Loop: Header=BB92_42 Depth=1
	s_or_b32 exec_lo, exec_lo, s14
	v_and_b32_e32 v36, 0xffff, v36
	v_and_b32_e32 v41, 0xffff, v41
	v_lshlrev_b32_e32 v45, 16, v45
	v_lshlrev_b32_e32 v43, 16, v43
	v_and_b32_e32 v42, 0xffff, v42
	v_lshl_or_b32 v36, v35, 16, v36
	v_lshl_or_b32 v35, v39, 16, v41
	v_lshlrev_b32_e32 v41, 16, v44
	v_and_b32_e32 v40, 0xffff, v40
	v_and_or_b32 v1, 0xffff, v1, v45
	v_and_or_b32 v3, 0xffff, v3, v43
	;;#ASMSTART
	v_pk_mul_f16 v1, v36, v1;

	;;#ASMEND
	v_and_or_b32 v2, 0xffff, v2, v41
	v_lshl_or_b32 v39, v38, 16, v42
	v_lshl_or_b32 v40, v37, 16, v40
	;;#ASMSTART
	v_pk_mul_f16 v2, v35, v2;

	;;#ASMEND
	;;#ASMSTART
	v_pk_mul_f16 v3, v39, v3;

	;;#ASMEND
	;; [unrolled: 4-line block ×3, first 2 shown]
	;;#ASMSTART
	v_pk_add_f16 v1, v1, v2;

	;;#ASMEND
	;;#ASMSTART
	v_pk_add_f16 v1, v1, v3;

	;;#ASMEND
	;;#ASMSTART
	v_pk_add_f16 v1, v1, v4;

	;;#ASMEND
	v_and_b32_e32 v2, 0xffff, v1
	v_lshrrev_b32_e32 v1, 16, v1
	;;#ASMSTART
	v_cvt_f32_f16 v37, v2;
	;;#ASMEND
	;;#ASMSTART
	v_cvt_f32_f16 v38, v1;
	;;#ASMEND
	global_load_dwordx4 v[1:4], v[8:9], off offset:512
	s_waitcnt vmcnt(0)
	v_lshrrev_b32_e32 v43, 16, v1
	v_lshrrev_b32_e32 v42, 16, v2
	;; [unrolled: 1-line block ×3, first 2 shown]
	s_and_saveexec_b32 s14, s0
	s_cbranch_execz .LBB92_47
; %bb.46:                               ;   in Loop: Header=BB92_42 Depth=1
	v_cmp_gt_i32_e32 vcc_lo, s27, v32
	v_and_b32_e32 v44, 0xffff0000, v4
	v_cmp_gt_i32_e64 s1, s27, v31
	v_cndmask_b32_e32 v1, 0, v1, vcc_lo
	v_cmp_gt_i32_e32 vcc_lo, s27, v34
	v_cndmask_b32_e64 v2, 0, v2, s1
	v_cmp_gt_i32_e64 s1, s27, v30
	v_cndmask_b32_e32 v43, 0, v43, vcc_lo
	v_cmp_gt_i32_e32 vcc_lo, s27, v33
	v_cndmask_b32_e64 v42, 0, v42, s1
	v_cndmask_b32_sdwa v4, v18, v4, vcc_lo dst_sel:DWORD dst_unused:UNUSED_PAD src0_sel:DWORD src1_sel:WORD_0
	v_cmp_gt_i32_e32 vcc_lo, s27, v29
	v_cndmask_b32_e32 v44, 0, v44, vcc_lo
	v_cmp_gt_i32_e32 vcc_lo, s27, v28
	v_or_b32_e32 v4, v4, v44
	v_cndmask_b32_e32 v3, 0, v3, vcc_lo
	v_cmp_gt_i32_e32 vcc_lo, s27, v27
	v_cndmask_b32_e32 v41, 0, v41, vcc_lo
.LBB92_47:                              ;   in Loop: Header=BB92_42 Depth=1
	s_or_b32 exec_lo, exec_lo, s14
	v_lshlrev_b32_e32 v43, 16, v43
	v_lshlrev_b32_e32 v42, 16, v42
	;; [unrolled: 1-line block ×3, first 2 shown]
	v_and_or_b32 v1, 0xffff, v1, v43
	v_and_or_b32 v2, 0xffff, v2, v42
	;; [unrolled: 1-line block ×3, first 2 shown]
	;;#ASMSTART
	v_pk_mul_f16 v1, v36, v1;

	;;#ASMEND
	;;#ASMSTART
	v_pk_mul_f16 v2, v35, v2;

	;;#ASMEND
	;; [unrolled: 4-line block ×4, first 2 shown]
	;;#ASMSTART
	v_pk_add_f16 v1, v1, v2;

	;;#ASMEND
	;;#ASMSTART
	v_pk_add_f16 v1, v1, v3;

	;;#ASMEND
	;; [unrolled: 4-line block ×3, first 2 shown]
	v_and_b32_e32 v2, 0xffff, v1
	v_lshrrev_b32_e32 v1, 16, v1
	;;#ASMSTART
	v_cvt_f32_f16 v41, v2;
	;;#ASMEND
	;;#ASMSTART
	v_cvt_f32_f16 v42, v1;
	;;#ASMEND
	global_load_dwordx4 v[1:4], v[8:9], off offset:1024
	s_waitcnt vmcnt(0)
	v_lshrrev_b32_e32 v45, 16, v1
	v_lshrrev_b32_e32 v44, 16, v2
	;; [unrolled: 1-line block ×3, first 2 shown]
	s_and_saveexec_b32 s14, s0
	s_cbranch_execz .LBB92_49
; %bb.48:                               ;   in Loop: Header=BB92_42 Depth=1
	v_cmp_gt_i32_e32 vcc_lo, s27, v32
	v_and_b32_e32 v46, 0xffff0000, v4
	v_cmp_gt_i32_e64 s1, s27, v31
	v_cndmask_b32_e32 v1, 0, v1, vcc_lo
	v_cmp_gt_i32_e32 vcc_lo, s27, v34
	v_cndmask_b32_e64 v2, 0, v2, s1
	v_cmp_gt_i32_e64 s1, s27, v30
	v_cndmask_b32_e32 v45, 0, v45, vcc_lo
	v_cmp_gt_i32_e32 vcc_lo, s27, v33
	v_cndmask_b32_e64 v44, 0, v44, s1
	v_cndmask_b32_sdwa v4, v18, v4, vcc_lo dst_sel:DWORD dst_unused:UNUSED_PAD src0_sel:DWORD src1_sel:WORD_0
	v_cmp_gt_i32_e32 vcc_lo, s27, v29
	v_cndmask_b32_e32 v46, 0, v46, vcc_lo
	v_cmp_gt_i32_e32 vcc_lo, s27, v28
	v_or_b32_e32 v4, v4, v46
	v_cndmask_b32_e32 v3, 0, v3, vcc_lo
	v_cmp_gt_i32_e32 vcc_lo, s27, v27
	v_cndmask_b32_e32 v43, 0, v43, vcc_lo
.LBB92_49:                              ;   in Loop: Header=BB92_42 Depth=1
	s_or_b32 exec_lo, exec_lo, s14
	v_lshlrev_b32_e32 v45, 16, v45
	v_lshlrev_b32_e32 v44, 16, v44
	;; [unrolled: 1-line block ×3, first 2 shown]
	v_and_or_b32 v1, 0xffff, v1, v45
	v_and_or_b32 v2, 0xffff, v2, v44
	;; [unrolled: 1-line block ×3, first 2 shown]
	;;#ASMSTART
	v_pk_mul_f16 v1, v36, v1;

	;;#ASMEND
	;;#ASMSTART
	v_pk_mul_f16 v2, v35, v2;

	;;#ASMEND
	;; [unrolled: 4-line block ×4, first 2 shown]
	;;#ASMSTART
	v_pk_add_f16 v1, v1, v2;

	;;#ASMEND
	;;#ASMSTART
	v_pk_add_f16 v1, v1, v3;

	;;#ASMEND
	;; [unrolled: 4-line block ×3, first 2 shown]
	v_and_b32_e32 v2, 0xffff, v1
	v_lshrrev_b32_e32 v1, 16, v1
	;;#ASMSTART
	v_cvt_f32_f16 v43, v2;
	;;#ASMEND
	;;#ASMSTART
	v_cvt_f32_f16 v44, v1;
	;;#ASMEND
	global_load_dwordx4 v[1:4], v[8:9], off offset:1536
	s_waitcnt vmcnt(0)
	v_lshrrev_b32_e32 v47, 16, v1
	v_lshrrev_b32_e32 v46, 16, v2
	;; [unrolled: 1-line block ×3, first 2 shown]
	s_and_saveexec_b32 s14, s0
	s_cbranch_execz .LBB92_51
; %bb.50:                               ;   in Loop: Header=BB92_42 Depth=1
	v_cmp_gt_i32_e32 vcc_lo, s27, v32
	v_and_b32_e32 v48, 0xffff0000, v4
	v_cmp_gt_i32_e64 s1, s27, v31
	v_cndmask_b32_e32 v1, 0, v1, vcc_lo
	v_cmp_gt_i32_e32 vcc_lo, s27, v34
	v_cndmask_b32_e64 v2, 0, v2, s1
	v_cmp_gt_i32_e64 s1, s27, v30
	v_cndmask_b32_e32 v47, 0, v47, vcc_lo
	v_cmp_gt_i32_e32 vcc_lo, s27, v33
	v_cndmask_b32_e64 v46, 0, v46, s1
	v_cndmask_b32_sdwa v4, v18, v4, vcc_lo dst_sel:DWORD dst_unused:UNUSED_PAD src0_sel:DWORD src1_sel:WORD_0
	v_cmp_gt_i32_e32 vcc_lo, s27, v29
	v_cndmask_b32_e32 v48, 0, v48, vcc_lo
	v_cmp_gt_i32_e32 vcc_lo, s27, v28
	v_or_b32_e32 v4, v4, v48
	v_cndmask_b32_e32 v3, 0, v3, vcc_lo
	v_cmp_gt_i32_e32 vcc_lo, s27, v27
	v_cndmask_b32_e32 v45, 0, v45, vcc_lo
.LBB92_51:                              ;   in Loop: Header=BB92_42 Depth=1
	s_or_b32 exec_lo, exec_lo, s14
	v_lshlrev_b32_e32 v47, 16, v47
	v_lshlrev_b32_e32 v46, 16, v46
	;; [unrolled: 1-line block ×3, first 2 shown]
	v_and_or_b32 v1, 0xffff, v1, v47
	v_and_or_b32 v2, 0xffff, v2, v46
	v_and_or_b32 v3, 0xffff, v3, v45
	;;#ASMSTART
	v_pk_mul_f16 v1, v36, v1;

	;;#ASMEND
	;;#ASMSTART
	v_pk_mul_f16 v2, v35, v2;

	;;#ASMEND
	;; [unrolled: 4-line block ×4, first 2 shown]
	;;#ASMSTART
	v_pk_add_f16 v1, v1, v2;

	;;#ASMEND
	;;#ASMSTART
	v_pk_add_f16 v1, v1, v3;

	;;#ASMEND
	;; [unrolled: 4-line block ×3, first 2 shown]
	v_lshrrev_b32_e32 v3, 16, v1
	v_and_b32_e32 v4, 0xffff, v1
	v_add_co_u32 v1, vcc_lo, 0x800, v8
	v_add_co_ci_u32_e64 v2, null, 0, v9, vcc_lo
	;;#ASMSTART
	v_cvt_f32_f16 v8, v4;
	;;#ASMEND
	;;#ASMSTART
	v_cvt_f32_f16 v9, v3;
	;;#ASMEND
	global_load_dwordx4 v[1:4], v[1:2], off
	s_waitcnt vmcnt(0)
	v_lshrrev_b32_e32 v47, 16, v1
	v_lshrrev_b32_e32 v46, 16, v2
	v_lshrrev_b32_e32 v45, 16, v3
	s_and_saveexec_b32 s1, s0
	s_cbranch_execz .LBB92_40
; %bb.52:                               ;   in Loop: Header=BB92_42 Depth=1
	v_cmp_gt_i32_e32 vcc_lo, s27, v32
	v_cmp_gt_i32_e64 s0, s27, v31
	v_cndmask_b32_e32 v1, 0, v1, vcc_lo
	v_cmp_gt_i32_e32 vcc_lo, s27, v34
	v_cndmask_b32_e64 v2, 0, v2, s0
	v_cmp_gt_i32_e64 s0, s27, v30
	v_and_b32_e32 v30, 0xffff0000, v4
	v_cndmask_b32_e32 v47, 0, v47, vcc_lo
	v_cmp_gt_i32_e32 vcc_lo, s27, v33
	v_cndmask_b32_e64 v46, 0, v46, s0
	v_cndmask_b32_sdwa v4, v18, v4, vcc_lo dst_sel:DWORD dst_unused:UNUSED_PAD src0_sel:DWORD src1_sel:WORD_0
	v_cmp_gt_i32_e32 vcc_lo, s27, v29
	v_cndmask_b32_e32 v29, 0, v30, vcc_lo
	v_cmp_gt_i32_e32 vcc_lo, s27, v28
	v_or_b32_e32 v4, v4, v29
	v_cndmask_b32_e32 v3, 0, v3, vcc_lo
	v_cmp_gt_i32_e32 vcc_lo, s27, v27
	v_cndmask_b32_e32 v45, 0, v45, vcc_lo
	s_branch .LBB92_40
.LBB92_53:
	s_or_b32 exec_lo, exec_lo, s6
.LBB92_54:
	s_or_b32 exec_lo, exec_lo, s3
	ds_bpermute_b32 v1, v11, v17
	ds_bpermute_b32 v2, v11, v15
	;; [unrolled: 1-line block ×5, first 2 shown]
	v_lshrrev_b32_e32 v6, 1, v10
	v_mul_u32_u24_e32 v8, 0x140, v25
	v_and_b32_e32 v10, 0x3c1, v0
	s_mov_b32 s0, exec_lo
	s_waitcnt lgkmcnt(0)
	s_waitcnt_vscnt null, 0x0
	v_lshl_add_u32 v7, v6, 2, 0xc0
	s_barrier
	buffer_gl0_inv
	v_add_f32_e32 v5, v17, v1
	v_add_f32_e32 v4, v15, v2
	;; [unrolled: 1-line block ×5, first 2 shown]
	v_cmpx_eq_u32_e32 64, v10
	s_cbranch_execz .LBB92_56
; %bb.55:
	v_add_nc_u32_e32 v9, v7, v8
	v_add_nc_u32_e32 v10, 0xfffffd80, v9
	;; [unrolled: 1-line block ×6, first 2 shown]
	ds_write_b32 v10, v5
	ds_write_b32 v11, v4
	;; [unrolled: 1-line block ×5, first 2 shown]
.LBB92_56:
	s_or_b32 exec_lo, exec_lo, s0
	v_lshlrev_b32_e32 v6, 2, v6
	s_mov_b32 s1, exec_lo
	v_cmp_eq_u32_e32 vcc_lo, 0, v24
	s_waitcnt lgkmcnt(0)
	s_barrier
	v_add3_u32 v6, 0xc0, v8, v6
	buffer_gl0_inv
	v_cmpx_gt_u32_e32 64, v0
	s_cbranch_execz .LBB92_64
; %bb.57:
	s_and_saveexec_b32 s0, vcc_lo
	s_cbranch_execnz .LBB92_77
; %bb.58:
	s_or_b32 exec_lo, exec_lo, s0
	s_and_saveexec_b32 s0, vcc_lo
	s_cbranch_execnz .LBB92_78
.LBB92_59:
	s_or_b32 exec_lo, exec_lo, s0
	s_and_saveexec_b32 s0, vcc_lo
	s_cbranch_execnz .LBB92_79
.LBB92_60:
	s_or_b32 exec_lo, exec_lo, s0
	s_and_saveexec_b32 s0, vcc_lo
	s_cbranch_execnz .LBB92_80
.LBB92_61:
	s_or_b32 exec_lo, exec_lo, s0
	s_and_saveexec_b32 s0, vcc_lo
	s_cbranch_execz .LBB92_63
.LBB92_62:
	ds_read_b32 v8, v6 offset:256
	s_waitcnt lgkmcnt(0)
	v_add_f32_e32 v1, v1, v8
.LBB92_63:
	s_or_b32 exec_lo, exec_lo, s0
.LBB92_64:
	s_or_b32 exec_lo, exec_lo, s1
	v_and_b32_e32 v8, 0x3e1, v0
	s_mov_b32 s1, exec_lo
	s_barrier
	buffer_gl0_inv
	v_cmpx_eq_u32_e32 32, v8
	s_cbranch_execz .LBB92_66
; %bb.65:
	ds_write2_b32 v7, v5, v4 offset1:16
	ds_write2_b32 v7, v3, v2 offset0:32 offset1:48
	ds_write_b32 v7, v1 offset:256
.LBB92_66:
	s_or_b32 exec_lo, exec_lo, s1
	s_mov_b32 s1, exec_lo
	s_waitcnt lgkmcnt(0)
	s_barrier
	buffer_gl0_inv
	v_cmpx_gt_u32_e32 32, v0
	s_cbranch_execz .LBB92_74
; %bb.67:
	s_and_saveexec_b32 s0, vcc_lo
	s_cbranch_execnz .LBB92_81
; %bb.68:
	s_or_b32 exec_lo, exec_lo, s0
	s_and_saveexec_b32 s0, vcc_lo
	s_cbranch_execnz .LBB92_82
.LBB92_69:
	s_or_b32 exec_lo, exec_lo, s0
	s_and_saveexec_b32 s0, vcc_lo
	s_cbranch_execnz .LBB92_83
.LBB92_70:
	s_or_b32 exec_lo, exec_lo, s0
	s_and_saveexec_b32 s0, vcc_lo
	s_cbranch_execnz .LBB92_84
.LBB92_71:
	s_or_b32 exec_lo, exec_lo, s0
	s_and_saveexec_b32 s0, vcc_lo
	s_cbranch_execz .LBB92_73
.LBB92_72:
	ds_read_b32 v0, v6 offset:256
	s_waitcnt lgkmcnt(0)
	v_add_f32_e32 v1, v1, v0
.LBB92_73:
	s_or_b32 exec_lo, exec_lo, s0
.LBB92_74:
	s_or_b32 exec_lo, exec_lo, s1
	s_barrier
	buffer_gl0_inv
	s_mov_b32 s0, exec_lo
	v_cmpx_eq_u32_e32 0, v8
	s_cbranch_execz .LBB92_76
; %bb.75:
	s_mul_i32 s0, s2, 0x50
	s_mul_i32 s2, s7, s10
	s_ashr_i32 s1, s0, 31
	v_lshlrev_b32_e32 v0, 1, v23
	s_lshl_b64 s[0:1], s[0:1], 1
	;;#ASMSTART
	v_cvt_f16_f32 v5, v5;

	;;#ASMEND
	s_add_u32 s4, s24, s0
	s_addc_u32 s5, s25, s1
	s_ashr_i32 s3, s2, 31
	s_lshl_b64 s[0:1], s[2:3], 1
	s_mul_i32 s2, s8, 0x50
	s_add_u32 s4, s4, s0
	s_addc_u32 s5, s5, s1
	s_ashr_i32 s3, s2, 31
	s_lshl_b64 s[0:1], s[2:3], 1
	s_add_u32 s0, s4, s0
	s_addc_u32 s1, s5, s1
	global_store_short v0, v5, s[0:1]
	;;#ASMSTART
	v_cvt_f16_f32 v4, v4;

	;;#ASMEND
	global_store_short v0, v4, s[0:1] offset:32
	;;#ASMSTART
	v_cvt_f16_f32 v3, v3;

	;;#ASMEND
	global_store_short v0, v3, s[0:1] offset:64
	;; [unrolled: 5-line block ×4, first 2 shown]
.LBB92_76:
	s_endpgm
.LBB92_77:
	ds_read_b32 v8, v6
	s_waitcnt lgkmcnt(0)
	v_add_f32_e32 v5, v5, v8
	s_or_b32 exec_lo, exec_lo, s0
	s_and_saveexec_b32 s0, vcc_lo
	s_cbranch_execz .LBB92_59
.LBB92_78:
	ds_read_b32 v8, v6 offset:64
	s_waitcnt lgkmcnt(0)
	v_add_f32_e32 v4, v4, v8
	s_or_b32 exec_lo, exec_lo, s0
	s_and_saveexec_b32 s0, vcc_lo
	s_cbranch_execz .LBB92_60
.LBB92_79:
	ds_read_b32 v8, v6 offset:128
	s_waitcnt lgkmcnt(0)
	v_add_f32_e32 v3, v3, v8
	s_or_b32 exec_lo, exec_lo, s0
	s_and_saveexec_b32 s0, vcc_lo
	s_cbranch_execz .LBB92_61
.LBB92_80:
	ds_read_b32 v8, v6 offset:192
	s_waitcnt lgkmcnt(0)
	v_add_f32_e32 v2, v2, v8
	s_or_b32 exec_lo, exec_lo, s0
	s_and_saveexec_b32 s0, vcc_lo
	s_cbranch_execnz .LBB92_62
	s_branch .LBB92_63
.LBB92_81:
	ds_read_b32 v0, v6
	s_waitcnt lgkmcnt(0)
	v_add_f32_e32 v5, v5, v0
	s_or_b32 exec_lo, exec_lo, s0
	s_and_saveexec_b32 s0, vcc_lo
	s_cbranch_execz .LBB92_69
.LBB92_82:
	ds_read_b32 v0, v6 offset:64
	s_waitcnt lgkmcnt(0)
	v_add_f32_e32 v4, v4, v0
	s_or_b32 exec_lo, exec_lo, s0
	s_and_saveexec_b32 s0, vcc_lo
	s_cbranch_execz .LBB92_70
.LBB92_83:
	ds_read_b32 v0, v6 offset:128
	s_waitcnt lgkmcnt(0)
	v_add_f32_e32 v3, v3, v0
	s_or_b32 exec_lo, exec_lo, s0
	s_and_saveexec_b32 s0, vcc_lo
	s_cbranch_execz .LBB92_71
.LBB92_84:
	ds_read_b32 v0, v6 offset:192
	s_waitcnt lgkmcnt(0)
	v_add_f32_e32 v2, v2, v0
	s_or_b32 exec_lo, exec_lo, s0
	s_and_saveexec_b32 s0, vcc_lo
	s_cbranch_execnz .LBB92_72
	s_branch .LBB92_73
	.section	.rodata,"a",@progbits
	.p2align	6, 0x0
	.amdhsa_kernel _ZN4vllm25paged_attention_v2_kernelIttLi80ELi16ELi128ELNS_18Fp8KVCacheDataTypeE0ELb1ELi512EEEvPfS2_PT_PKS3_PKT0_S9_ifPKiSB_iPKfiiiSD_SD_iiiii
		.amdhsa_group_segment_fixed_size 192
		.amdhsa_private_segment_fixed_size 0
		.amdhsa_kernarg_size 400
		.amdhsa_user_sgpr_count 6
		.amdhsa_user_sgpr_private_segment_buffer 1
		.amdhsa_user_sgpr_dispatch_ptr 0
		.amdhsa_user_sgpr_queue_ptr 0
		.amdhsa_user_sgpr_kernarg_segment_ptr 1
		.amdhsa_user_sgpr_dispatch_id 0
		.amdhsa_user_sgpr_flat_scratch_init 0
		.amdhsa_user_sgpr_private_segment_size 0
		.amdhsa_wavefront_size32 1
		.amdhsa_uses_dynamic_stack 0
		.amdhsa_system_sgpr_private_segment_wavefront_offset 0
		.amdhsa_system_sgpr_workgroup_id_x 1
		.amdhsa_system_sgpr_workgroup_id_y 1
		.amdhsa_system_sgpr_workgroup_id_z 1
		.amdhsa_system_sgpr_workgroup_info 0
		.amdhsa_system_vgpr_workitem_id 0
		.amdhsa_next_free_vgpr 91
		.amdhsa_next_free_sgpr 46
		.amdhsa_reserve_vcc 1
		.amdhsa_reserve_flat_scratch 0
		.amdhsa_float_round_mode_32 0
		.amdhsa_float_round_mode_16_64 0
		.amdhsa_float_denorm_mode_32 3
		.amdhsa_float_denorm_mode_16_64 3
		.amdhsa_dx10_clamp 1
		.amdhsa_ieee_mode 1
		.amdhsa_fp16_overflow 0
		.amdhsa_workgroup_processor_mode 1
		.amdhsa_memory_ordered 1
		.amdhsa_forward_progress 1
		.amdhsa_shared_vgpr_count 0
		.amdhsa_exception_fp_ieee_invalid_op 0
		.amdhsa_exception_fp_denorm_src 0
		.amdhsa_exception_fp_ieee_div_zero 0
		.amdhsa_exception_fp_ieee_overflow 0
		.amdhsa_exception_fp_ieee_underflow 0
		.amdhsa_exception_fp_ieee_inexact 0
		.amdhsa_exception_int_div_zero 0
	.end_amdhsa_kernel
	.section	.text._ZN4vllm25paged_attention_v2_kernelIttLi80ELi16ELi128ELNS_18Fp8KVCacheDataTypeE0ELb1ELi512EEEvPfS2_PT_PKS3_PKT0_S9_ifPKiSB_iPKfiiiSD_SD_iiiii,"axG",@progbits,_ZN4vllm25paged_attention_v2_kernelIttLi80ELi16ELi128ELNS_18Fp8KVCacheDataTypeE0ELb1ELi512EEEvPfS2_PT_PKS3_PKT0_S9_ifPKiSB_iPKfiiiSD_SD_iiiii,comdat
.Lfunc_end92:
	.size	_ZN4vllm25paged_attention_v2_kernelIttLi80ELi16ELi128ELNS_18Fp8KVCacheDataTypeE0ELb1ELi512EEEvPfS2_PT_PKS3_PKT0_S9_ifPKiSB_iPKfiiiSD_SD_iiiii, .Lfunc_end92-_ZN4vllm25paged_attention_v2_kernelIttLi80ELi16ELi128ELNS_18Fp8KVCacheDataTypeE0ELb1ELi512EEEvPfS2_PT_PKS3_PKT0_S9_ifPKiSB_iPKfiiiSD_SD_iiiii
                                        ; -- End function
	.set _ZN4vllm25paged_attention_v2_kernelIttLi80ELi16ELi128ELNS_18Fp8KVCacheDataTypeE0ELb1ELi512EEEvPfS2_PT_PKS3_PKT0_S9_ifPKiSB_iPKfiiiSD_SD_iiiii.num_vgpr, 91
	.set _ZN4vllm25paged_attention_v2_kernelIttLi80ELi16ELi128ELNS_18Fp8KVCacheDataTypeE0ELb1ELi512EEEvPfS2_PT_PKS3_PKT0_S9_ifPKiSB_iPKfiiiSD_SD_iiiii.num_agpr, 0
	.set _ZN4vllm25paged_attention_v2_kernelIttLi80ELi16ELi128ELNS_18Fp8KVCacheDataTypeE0ELb1ELi512EEEvPfS2_PT_PKS3_PKT0_S9_ifPKiSB_iPKfiiiSD_SD_iiiii.numbered_sgpr, 46
	.set _ZN4vllm25paged_attention_v2_kernelIttLi80ELi16ELi128ELNS_18Fp8KVCacheDataTypeE0ELb1ELi512EEEvPfS2_PT_PKS3_PKT0_S9_ifPKiSB_iPKfiiiSD_SD_iiiii.num_named_barrier, 0
	.set _ZN4vllm25paged_attention_v2_kernelIttLi80ELi16ELi128ELNS_18Fp8KVCacheDataTypeE0ELb1ELi512EEEvPfS2_PT_PKS3_PKT0_S9_ifPKiSB_iPKfiiiSD_SD_iiiii.private_seg_size, 0
	.set _ZN4vllm25paged_attention_v2_kernelIttLi80ELi16ELi128ELNS_18Fp8KVCacheDataTypeE0ELb1ELi512EEEvPfS2_PT_PKS3_PKT0_S9_ifPKiSB_iPKfiiiSD_SD_iiiii.uses_vcc, 1
	.set _ZN4vllm25paged_attention_v2_kernelIttLi80ELi16ELi128ELNS_18Fp8KVCacheDataTypeE0ELb1ELi512EEEvPfS2_PT_PKS3_PKT0_S9_ifPKiSB_iPKfiiiSD_SD_iiiii.uses_flat_scratch, 0
	.set _ZN4vllm25paged_attention_v2_kernelIttLi80ELi16ELi128ELNS_18Fp8KVCacheDataTypeE0ELb1ELi512EEEvPfS2_PT_PKS3_PKT0_S9_ifPKiSB_iPKfiiiSD_SD_iiiii.has_dyn_sized_stack, 0
	.set _ZN4vllm25paged_attention_v2_kernelIttLi80ELi16ELi128ELNS_18Fp8KVCacheDataTypeE0ELb1ELi512EEEvPfS2_PT_PKS3_PKT0_S9_ifPKiSB_iPKfiiiSD_SD_iiiii.has_recursion, 0
	.set _ZN4vllm25paged_attention_v2_kernelIttLi80ELi16ELi128ELNS_18Fp8KVCacheDataTypeE0ELb1ELi512EEEvPfS2_PT_PKS3_PKT0_S9_ifPKiSB_iPKfiiiSD_SD_iiiii.has_indirect_call, 0
	.section	.AMDGPU.csdata,"",@progbits
; Kernel info:
; codeLenInByte = 8724
; TotalNumSgprs: 48
; NumVgprs: 91
; ScratchSize: 0
; MemoryBound: 0
; FloatMode: 240
; IeeeMode: 1
; LDSByteSize: 192 bytes/workgroup (compile time only)
; SGPRBlocks: 0
; VGPRBlocks: 11
; NumSGPRsForWavesPerEU: 48
; NumVGPRsForWavesPerEU: 91
; Occupancy: 10
; WaveLimiterHint : 1
; COMPUTE_PGM_RSRC2:SCRATCH_EN: 0
; COMPUTE_PGM_RSRC2:USER_SGPR: 6
; COMPUTE_PGM_RSRC2:TRAP_HANDLER: 0
; COMPUTE_PGM_RSRC2:TGID_X_EN: 1
; COMPUTE_PGM_RSRC2:TGID_Y_EN: 1
; COMPUTE_PGM_RSRC2:TGID_Z_EN: 1
; COMPUTE_PGM_RSRC2:TIDIG_COMP_CNT: 0
	.section	.text._ZN4vllm25paged_attention_v2_kernelIttLi96ELi16ELi128ELNS_18Fp8KVCacheDataTypeE0ELb1ELi512EEEvPfS2_PT_PKS3_PKT0_S9_ifPKiSB_iPKfiiiSD_SD_iiiii,"axG",@progbits,_ZN4vllm25paged_attention_v2_kernelIttLi96ELi16ELi128ELNS_18Fp8KVCacheDataTypeE0ELb1ELi512EEEvPfS2_PT_PKS3_PKT0_S9_ifPKiSB_iPKfiiiSD_SD_iiiii,comdat
	.protected	_ZN4vllm25paged_attention_v2_kernelIttLi96ELi16ELi128ELNS_18Fp8KVCacheDataTypeE0ELb1ELi512EEEvPfS2_PT_PKS3_PKT0_S9_ifPKiSB_iPKfiiiSD_SD_iiiii ; -- Begin function _ZN4vllm25paged_attention_v2_kernelIttLi96ELi16ELi128ELNS_18Fp8KVCacheDataTypeE0ELb1ELi512EEEvPfS2_PT_PKS3_PKT0_S9_ifPKiSB_iPKfiiiSD_SD_iiiii
	.globl	_ZN4vllm25paged_attention_v2_kernelIttLi96ELi16ELi128ELNS_18Fp8KVCacheDataTypeE0ELb1ELi512EEEvPfS2_PT_PKS3_PKT0_S9_ifPKiSB_iPKfiiiSD_SD_iiiii
	.p2align	8
	.type	_ZN4vllm25paged_attention_v2_kernelIttLi96ELi16ELi128ELNS_18Fp8KVCacheDataTypeE0ELb1ELi512EEEvPfS2_PT_PKS3_PKT0_S9_ifPKiSB_iPKfiiiSD_SD_iiiii,@function
_ZN4vllm25paged_attention_v2_kernelIttLi96ELi16ELi128ELNS_18Fp8KVCacheDataTypeE0ELb1ELi512EEEvPfS2_PT_PKS3_PKT0_S9_ifPKiSB_iPKfiiiSD_SD_iiiii: ; @_ZN4vllm25paged_attention_v2_kernelIttLi96ELi16ELi128ELNS_18Fp8KVCacheDataTypeE0ELb1ELi512EEEvPfS2_PT_PKS3_PKT0_S9_ifPKiSB_iPKfiiiSD_SD_iiiii
; %bb.0:
	s_load_dwordx2 s[0:1], s[4:5], 0x40
	s_mov_b32 s26, s7
	s_ashr_i32 s27, s7, 31
	s_lshl_b64 s[2:3], s[26:27], 2
	s_waitcnt lgkmcnt(0)
	s_add_u32 s0, s0, s2
	s_addc_u32 s1, s1, s3
	s_lshl_b32 s38, s8, 9
	s_load_dword s27, s[0:1], 0x0
	s_waitcnt lgkmcnt(0)
	s_cmp_ge_i32 s38, s27
	s_cbranch_scc1 .LBB93_80
; %bb.1:
	s_clause 0x1
	s_load_dword s9, s[4:5], 0x90
	s_load_dwordx2 s[36:37], s[4:5], 0x30
	s_mov_b32 s40, 0
	s_waitcnt lgkmcnt(0)
	s_abs_i32 s3, s9
	s_abs_i32 s0, s36
	v_cvt_f32_u32_e32 v1, s0
	s_sub_i32 s2, 0, s0
	v_rcp_iflag_f32_e32 v1, v1
	v_mul_f32_e32 v1, 0x4f7ffffe, v1
	v_cvt_u32_f32_e32 v1, v1
	v_readfirstlane_b32 s1, v1
	s_mul_i32 s2, s2, s1
	s_mul_hi_u32 s2, s1, s2
	s_add_i32 s1, s1, s2
	s_xor_b32 s2, s9, s36
	s_mul_hi_u32 s1, s3, s1
	s_ashr_i32 s2, s2, 31
	s_mul_i32 s7, s1, s0
	s_sub_i32 s3, s3, s7
	s_add_i32 s7, s1, 1
	s_sub_i32 s10, s3, s0
	s_cmp_ge_u32 s3, s0
	s_cselect_b32 s1, s7, s1
	s_cselect_b32 s3, s10, s3
	s_add_i32 s7, s1, 1
	s_cmp_ge_u32 s3, s0
	s_cselect_b32 s0, s7, s1
	s_xor_b32 s0, s0, s2
	s_sub_i32 s10, s0, s2
	s_load_dwordx2 s[0:1], s[4:5], 0x50
	s_abs_i32 s2, s10
	v_cvt_f32_u32_e32 v1, s2
	s_sub_i32 s3, 0, s2
	v_rcp_iflag_f32_e32 v1, v1
	v_mul_f32_e32 v1, 0x4f7ffffe, v1
	v_cvt_u32_f32_e32 v1, v1
	v_readfirstlane_b32 s7, v1
	s_mul_i32 s3, s3, s7
	s_mul_hi_u32 s11, s7, s3
	s_abs_i32 s3, s6
	s_add_i32 s7, s7, s11
	s_waitcnt lgkmcnt(0)
	s_cmp_eq_u64 s[0:1], 0
	s_mul_hi_u32 s20, s3, s7
	s_cbranch_scc1 .LBB93_3
; %bb.2:
	s_ashr_i32 s7, s6, 31
	s_lshl_b64 s[12:13], s[6:7], 2
	s_add_u32 s0, s0, s12
	s_addc_u32 s1, s1, s13
	s_load_dword s40, s[0:1], 0x0
.LBB93_3:
	s_load_dwordx4 s[12:15], s[4:5], 0x58
	v_lshrrev_b32_e32 v29, 1, v0
	v_and_b32_e32 v30, 1, v0
	v_lshlrev_b32_e32 v33, 3, v0
	s_ashr_i32 s0, s6, 31
	s_ashr_i32 s1, s10, 31
	s_mul_i32 s10, s6, 0x60
	s_mov_b32 s7, exec_lo
	v_cmpx_gt_u32_e32 24, v0
	s_cbranch_execz .LBB93_5
; %bb.4:
	s_load_dwordx2 s[16:17], s[4:5], 0x18
	s_waitcnt lgkmcnt(0)
	s_mul_i32 s18, s12, s26
	v_lshlrev_b32_e32 v3, 3, v29
	s_ashr_i32 s19, s18, 31
	s_lshl_b64 s[18:19], s[18:19], 1
	v_mad_u32_u24 v3, 0x60, v30, v3
	s_add_u32 s12, s16, s18
	s_addc_u32 s15, s17, s19
	s_ashr_i32 s11, s10, 31
	s_lshl_b64 s[16:17], s[10:11], 1
	s_add_u32 s16, s12, s16
	s_addc_u32 s17, s15, s17
	global_load_dwordx2 v[1:2], v33, s[16:17]
	s_waitcnt vmcnt(0)
	ds_write_b64 v3, v[1:2]
.LBB93_5:
	s_or_b32 exec_lo, exec_lo, s7
	s_load_dwordx4 s[16:19], s[4:5], 0x78
	s_mul_i32 s7, s20, s2
	s_xor_b32 s0, s0, s1
	s_sub_i32 s1, s3, s7
	s_add_i32 s3, s20, 1
	s_sub_i32 s7, s1, s2
	s_cmp_ge_u32 s1, s2
                                        ; implicit-def: $sgpr33
	s_cselect_b32 s3, s3, s20
	s_cselect_b32 s1, s7, s1
	s_add_i32 s7, s3, 1
	s_cmp_ge_u32 s1, s2
	s_mov_b32 s20, -1
	s_cselect_b32 s1, s7, s3
	s_load_dword s3, s[4:5], 0x88
	s_xor_b32 s1, s1, s0
	s_add_i32 s7, s27, -1
	s_sub_i32 s1, s1, s0
	s_abs_i32 s2, s7
	s_waitcnt lgkmcnt(0)
	s_abs_i32 s11, s19
	s_barrier
	v_cvt_f32_u32_e32 v1, s11
	s_sub_i32 s0, 0, s11
	buffer_gl0_inv
	v_rcp_iflag_f32_e32 v1, v1
	v_mul_f32_e32 v1, 0x4f7ffffe, v1
	v_cvt_u32_f32_e32 v1, v1
	v_readfirstlane_b32 s12, v1
	s_mul_i32 s0, s0, s12
	s_mul_hi_u32 s0, s12, s0
	s_add_i32 s12, s12, s0
	s_cmp_lt_i32 s3, 0
	s_mul_hi_u32 s0, s2, s12
	s_cbranch_scc0 .LBB93_7
; %bb.6:
	s_mul_i32 s15, s16, s36
	s_mov_b32 s20, 0
	s_add_i32 s15, s1, s15
	s_mul_i32 s15, s15, s3
	s_sub_i32 s33, 1, s15
.LBB93_7:
	s_load_dwordx2 s[28:29], s[4:5], 0x38
	s_ashr_i32 s15, s7, 31
	s_andn2_b32 vcc_lo, exec_lo, s20
	s_ashr_i32 s19, s19, 31
	s_cbranch_vccnz .LBB93_9
; %bb.8:
	s_mul_i32 s7, s9, s16
	s_add_i32 s7, s7, s6
	s_mul_i32 s3, s7, s3
	s_add_i32 s33, s3, 1
.LBB93_9:
	s_clause 0x4
	s_load_dword s3, s[4:5], 0x48
	s_load_dwordx2 s[34:35], s[4:5], 0x28
	s_load_dword s7, s[4:5], 0x98
	s_load_dwordx4 s[20:23], s[4:5], 0x0
	s_load_dwordx2 s[24:25], s[4:5], 0x10
	s_mul_i32 s16, s0, s11
	s_xor_b32 s15, s15, s19
	s_sub_i32 s2, s2, s16
	s_add_i32 s36, s0, 1
	v_lshrrev_b32_e32 v31, 5, v0
	v_mov_b32_e32 v35, 0xff7fffff
	v_mbcnt_lo_u32_b32 v34, -1, 0
	s_mul_i32 s14, s1, s14
	v_lshl_add_u32 v32, v31, 4, s38
	s_waitcnt lgkmcnt(0)
	s_mul_i32 s30, s3, s26
	s_sub_i32 s3, s2, s11
	s_ashr_i32 s31, s30, 31
	s_cmp_ge_u32 s2, s11
	s_cselect_b32 s0, s36, s0
	s_cselect_b32 s2, s3, s2
	s_add_i32 s3, s0, 1
	s_cmp_ge_u32 s2, s11
	s_cselect_b32 s0, s3, s0
	s_add_i32 s2, s27, 15
	s_lshl_b32 s41, s8, 5
	s_ashr_i32 s3, s2, 31
	v_or_b32_e32 v5, s41, v31
	s_lshr_b32 s3, s3, 28
	s_add_i32 s2, s2, s3
	s_add_i32 s3, s41, 32
	s_ashr_i32 s36, s2, 4
	s_xor_b32 s2, s0, s15
	s_min_i32 s16, s3, s36
	v_ashrrev_i32_e32 v6, 31, v5
	v_cmp_gt_i32_e64 s0, s16, v5
	s_sub_i32 s39, s2, s15
	s_and_saveexec_b32 s42, s0
	s_cbranch_execz .LBB93_21
; %bb.10:
	s_load_dwordx2 s[2:3], s[4:5], 0x20
	s_ashr_i32 s15, s14, 31
	s_sub_i32 s4, s39, s17
	s_lshl_b64 s[44:45], s[14:15], 1
	v_bfe_u32 v36, v0, 1, 4
	v_and_b32_e32 v4, 8, v33
	v_mul_u32_u24_e32 v37, 0x60, v30
	v_cmp_neq_f32_e64 s1, s40, 0
	v_lshl_add_u32 v38, v31, 4, s38
	v_lshlrev_b32_e32 v7, 2, v36
	v_subrev_nc_u32_e32 v8, s27, v36
	v_lshlrev_b32_e32 v9, 4, v36
	v_mov_b32_e32 v39, 0xff7fffff
	v_xor_b32_e32 v40, 1, v34
	v_lshl_or_b32 v7, v31, 6, v7
	v_add_nc_u32_e32 v41, 1, v8
	v_mov_b32_e32 v35, 0xff7fffff
	v_mov_b32_e32 v46, v5
	v_cmp_eq_u32_e32 vcc_lo, 0, v30
	v_add_nc_u32_e32 v42, 0xe0, v7
	s_waitcnt lgkmcnt(0)
	s_add_u32 s15, s2, s44
	s_addc_u32 s43, s3, s45
	s_abs_i32 s5, s18
	v_add_co_u32 v8, s15, s15, v9
	v_cvt_f32_u32_e32 v1, s5
	s_sub_i32 s2, 0, s5
	v_add_co_ci_u32_e64 v9, null, s43, 0, s15
	s_mov_b32 s15, 0
	v_rcp_iflag_f32_e32 v3, v1
	v_lshlrev_b64 v[1:2], 2, v[5:6]
	s_mov_b32 s43, s13
	v_mul_f32_e32 v3, 0x4f7ffffe, v3
	v_cvt_u32_f32_e32 v3, v3
	v_mul_lo_u32 v7, s2, v3
	s_lshl_b64 s[2:3], s[30:31], 2
	s_add_u32 s2, s28, s2
	s_addc_u32 s3, s29, s3
	v_add_co_u32 v1, s2, s2, v1
	v_add_co_ci_u32_e64 v2, null, s3, v2, s2
	v_mul_hi_u32 v7, v3, v7
	v_add_co_u32 v43, s2, v8, v4
	v_add_co_ci_u32_e64 v44, null, 0, v9, s2
	v_add_nc_u32_e32 v45, v3, v7
	s_branch .LBB93_13
.LBB93_11:                              ;   in Loop: Header=BB93_13 Depth=1
	s_or_b32 exec_lo, exec_lo, s44
.LBB93_12:                              ;   in Loop: Header=BB93_13 Depth=1
	s_or_b32 exec_lo, exec_lo, s3
	v_add_nc_u32_e32 v46, 4, v46
	v_add_co_u32 v1, s3, v1, 16
	v_add_co_ci_u32_e64 v2, null, 0, v2, s3
	v_cmp_le_i32_e64 s2, s16, v46
	v_add_nc_u32_e32 v38, 64, v38
	v_add_nc_u32_e32 v42, 0x100, v42
	s_or_b32 s15, s2, s15
	s_andn2_b32 exec_lo, exec_lo, s15
	s_cbranch_execz .LBB93_20
.LBB93_13:                              ; =>This Inner Loop Header: Depth=1
	v_sub_nc_u32_e32 v3, 0, v38
	v_max_i32_e32 v3, v38, v3
	s_waitcnt lgkmcnt(0)
	v_mul_hi_u32 v4, v3, s12
	v_mul_lo_u32 v7, v4, s11
	v_sub_nc_u32_e32 v3, v3, v7
	v_add_nc_u32_e32 v7, 1, v4
	v_subrev_nc_u32_e32 v8, s11, v3
	v_cmp_le_u32_e64 s2, s11, v3
	v_cndmask_b32_e64 v4, v4, v7, s2
	v_cndmask_b32_e64 v3, v3, v8, s2
	v_ashrrev_i32_e32 v7, 31, v38
	v_add_nc_u32_e32 v8, 1, v4
	v_cmp_le_u32_e64 s2, s11, v3
	v_xor_b32_e32 v7, s19, v7
	v_cndmask_b32_e64 v3, v4, v8, s2
	v_xor_b32_e32 v3, v3, v7
	v_sub_nc_u32_e32 v3, v3, v7
	v_add_nc_u32_e32 v4, s33, v3
	v_cmp_ge_i32_e64 s3, s4, v3
	v_sub_nc_u32_e32 v7, 0, v4
	v_max_i32_e32 v7, v4, v7
	v_ashrrev_i32_e32 v4, 31, v4
	v_mul_hi_u32 v8, v7, v45
	v_mul_lo_u32 v8, v8, s5
	v_sub_nc_u32_e32 v7, v7, v8
	v_subrev_nc_u32_e32 v8, s5, v7
	v_cmp_le_u32_e64 s2, s5, v7
	v_cndmask_b32_e64 v7, v7, v8, s2
	v_subrev_nc_u32_e32 v8, s5, v7
	v_cmp_le_u32_e64 s2, s5, v7
	v_cndmask_b32_e64 v7, v7, v8, s2
	v_xor_b32_e32 v7, v7, v4
	v_sub_nc_u32_e32 v4, v7, v4
	v_cmp_ne_u32_e64 s2, 0, v4
	s_and_b32 s2, s2, s3
	s_and_saveexec_b32 s3, s2
	s_xor_b32 s2, exec_lo, s3
	s_cbranch_execz .LBB93_17
; %bb.14:                               ;   in Loop: Header=BB93_13 Depth=1
	s_and_saveexec_b32 s3, vcc_lo
; %bb.15:                               ;   in Loop: Header=BB93_13 Depth=1
	ds_write_b32 v42, v39
; %bb.16:                               ;   in Loop: Header=BB93_13 Depth=1
	s_or_b32 exec_lo, exec_lo, s3
.LBB93_17:                              ;   in Loop: Header=BB93_13 Depth=1
	s_andn2_saveexec_b32 s3, s2
	s_cbranch_execz .LBB93_12
; %bb.18:                               ;   in Loop: Header=BB93_13 Depth=1
	global_load_dword v3, v[1:2], off
	s_waitcnt vmcnt(0)
	v_mad_i64_i32 v[3:4], null, v3, s43, 0
	v_lshlrev_b64 v[3:4], 1, v[3:4]
	v_add_co_u32 v3, s2, v43, v3
	v_add_co_ci_u32_e64 v4, null, v44, v4, s2
	s_clause 0x7
	global_load_dwordx2 v[25:26], v[3:4], off
	global_load_dwordx2 v[27:28], v[3:4], off offset:256
	global_load_dwordx2 v[23:24], v[3:4], off offset:512
	;; [unrolled: 1-line block ×7, first 2 shown]
	v_add_co_u32 v3, s2, 0x800, v3
	v_add_co_ci_u32_e64 v4, null, 0, v4, s2
	v_cmp_gt_i32_e64 s2, 32, v40
	s_clause 0x3
	global_load_dwordx2 v[11:12], v[3:4], off
	global_load_dwordx2 v[9:10], v[3:4], off offset:256
	global_load_dwordx2 v[7:8], v[3:4], off offset:512
	;; [unrolled: 1-line block ×3, first 2 shown]
	ds_read_b64 v[47:48], v37
	s_waitcnt lgkmcnt(0)
	v_and_b32_e32 v49, 0xffff, v47
	v_lshrrev_b32_e32 v50, 16, v47
	v_lshrrev_b32_e32 v52, 16, v48
	v_and_b32_e32 v51, 0xffff, v48
	;;#ASMSTART
	v_cvt_f32_f16 v47, v49;
	;;#ASMEND
	;;#ASMSTART
	v_cvt_f32_f16 v48, v50;
	;;#ASMEND
	s_waitcnt vmcnt(11)
	v_and_b32_e32 v49, 0xffff, v25
	v_lshrrev_b32_e32 v25, 16, v25
	v_lshrrev_b32_e32 v50, 16, v26
	v_and_b32_e32 v26, 0xffff, v26
	;;#ASMSTART
	v_cvt_f32_f16 v54, v49;
	;;#ASMEND
	;;#ASMSTART
	v_cvt_f32_f16 v53, v25;
	;;#ASMEND
	;; [unrolled: 3-line block ×6, first 2 shown]
	ds_read_b64 v[25:26], v37 offset:8
	s_waitcnt vmcnt(10)
	v_lshrrev_b32_e32 v55, 16, v27
	v_and_b32_e32 v56, 0xffff, v27
	v_lshrrev_b32_e32 v27, 16, v28
	v_and_b32_e32 v60, 0xffff, v28
	s_waitcnt vmcnt(9)
	v_lshrrev_b32_e32 v62, 16, v23
	v_and_b32_e32 v23, 0xffff, v23
	v_lshrrev_b32_e32 v66, 16, v24
	v_and_b32_e32 v24, 0xffff, v24
	;; [unrolled: 5-line block ×4, first 2 shown]
	s_waitcnt vmcnt(6)
	v_lshrrev_b32_e32 v80, 16, v17
	v_and_b32_e32 v17, 0xffff, v17
	v_lshrrev_b32_e32 v84, 16, v18
	s_waitcnt lgkmcnt(0)
	v_and_b32_e32 v57, 0xffff, v25
	v_lshrrev_b32_e32 v25, 16, v25
	v_and_b32_e32 v58, 0xffff, v26
	v_lshrrev_b32_e32 v26, 16, v26
	;;#ASMSTART
	v_cvt_f32_f16 v28, v57;
	;;#ASMEND
	;;#ASMSTART
	v_cvt_f32_f16 v57, v25;
	;;#ASMEND
	;; [unrolled: 3-line block ×8, first 2 shown]
	ds_read_b64 v[25:26], v37 offset:16
	v_and_b32_e32 v18, 0xffff, v18
	s_waitcnt vmcnt(5)
	v_lshrrev_b32_e32 v86, 16, v15
	v_and_b32_e32 v15, 0xffff, v15
	v_lshrrev_b32_e32 v90, 16, v16
	v_and_b32_e32 v16, 0xffff, v16
	v_mul_f32_e32 v28, v28, v56
	v_mul_f32_e32 v55, v57, v55
	s_waitcnt vmcnt(4)
	v_lshrrev_b32_e32 v91, 16, v13
	v_and_b32_e32 v13, 0xffff, v13
	v_lshrrev_b32_e32 v57, 16, v14
	v_and_b32_e32 v14, 0xffff, v14
	v_fmac_f32_e32 v28, v47, v54
	v_fmac_f32_e32 v55, v48, v53
	v_mul_f32_e32 v58, v58, v60
	v_mul_f32_e32 v27, v59, v27
	s_waitcnt vmcnt(3)
	v_lshrrev_b32_e32 v60, 16, v12
	v_and_b32_e32 v12, 0xffff, v12
	s_waitcnt vmcnt(1)
	v_lshrrev_b32_e32 v93, 16, v7
	v_fmac_f32_e32 v58, v51, v52
	s_waitcnt lgkmcnt(0)
	v_and_b32_e32 v61, 0xffff, v25
	v_lshrrev_b32_e32 v63, 16, v25
	v_lshrrev_b32_e32 v64, 16, v26
	v_and_b32_e32 v65, 0xffff, v26
	;;#ASMSTART
	v_cvt_f32_f16 v25, v61;
	;;#ASMEND
	;;#ASMSTART
	v_cvt_f32_f16 v26, v63;
	;;#ASMEND
	;; [unrolled: 3-line block ×8, first 2 shown]
	ds_read_b64 v[23:24], v37 offset:24
	v_fmac_f32_e32 v27, v49, v50
	v_fmac_f32_e32 v28, v25, v61
	;; [unrolled: 1-line block ×4, first 2 shown]
	v_and_b32_e32 v7, 0xffff, v7
	v_fmac_f32_e32 v27, v64, v66
	s_waitcnt lgkmcnt(0)
	v_and_b32_e32 v67, 0xffff, v23
	v_lshrrev_b32_e32 v69, 16, v23
	v_lshrrev_b32_e32 v70, 16, v24
	v_and_b32_e32 v71, 0xffff, v24
	;;#ASMSTART
	v_cvt_f32_f16 v23, v67;
	;;#ASMEND
	;;#ASMSTART
	v_cvt_f32_f16 v24, v69;
	;;#ASMEND
	;; [unrolled: 3-line block ×8, first 2 shown]
	ds_read_b64 v[21:22], v37 offset:32
	v_fmac_f32_e32 v28, v23, v67
	v_fmac_f32_e32 v55, v24, v68
	;; [unrolled: 1-line block ×4, first 2 shown]
	v_lshrrev_b32_e32 v23, 16, v8
	v_and_b32_e32 v8, 0xffff, v8
	s_waitcnt vmcnt(0)
	v_lshrrev_b32_e32 v24, 16, v3
	s_waitcnt lgkmcnt(0)
	v_and_b32_e32 v73, 0xffff, v21
	v_lshrrev_b32_e32 v75, 16, v21
	v_lshrrev_b32_e32 v76, 16, v22
	v_and_b32_e32 v77, 0xffff, v22
	;;#ASMSTART
	v_cvt_f32_f16 v21, v73;
	;;#ASMEND
	;;#ASMSTART
	v_cvt_f32_f16 v22, v75;
	;;#ASMEND
	;;#ASMSTART
	v_cvt_f32_f16 v73, v19;
	;;#ASMEND
	;;#ASMSTART
	v_cvt_f32_f16 v74, v74;
	;;#ASMEND
	;;#ASMSTART
	v_cvt_f32_f16 v75, v77;
	;;#ASMEND
	;;#ASMSTART
	v_cvt_f32_f16 v76, v76;
	;;#ASMEND
	;;#ASMSTART
	v_cvt_f32_f16 v77, v20;
	;;#ASMEND
	;;#ASMSTART
	v_cvt_f32_f16 v78, v78;
	;;#ASMEND
	ds_read_b64 v[19:20], v37 offset:40
	v_fmac_f32_e32 v28, v21, v73
	v_fmac_f32_e32 v55, v22, v74
	v_fmac_f32_e32 v58, v75, v77
	v_fmac_f32_e32 v27, v76, v78
	s_waitcnt lgkmcnt(0)
	v_and_b32_e32 v79, 0xffff, v19
	v_lshrrev_b32_e32 v81, 16, v19
	v_lshrrev_b32_e32 v82, 16, v20
	v_and_b32_e32 v83, 0xffff, v20
	;;#ASMSTART
	v_cvt_f32_f16 v19, v79;
	;;#ASMEND
	;;#ASMSTART
	v_cvt_f32_f16 v20, v81;
	;;#ASMEND
	;;#ASMSTART
	v_cvt_f32_f16 v79, v17;
	;;#ASMEND
	;;#ASMSTART
	v_cvt_f32_f16 v80, v80;
	;;#ASMEND
	;;#ASMSTART
	v_cvt_f32_f16 v81, v83;
	;;#ASMEND
	;;#ASMSTART
	v_cvt_f32_f16 v82, v82;
	;;#ASMEND
	;;#ASMSTART
	v_cvt_f32_f16 v83, v18;
	;;#ASMEND
	;;#ASMSTART
	v_cvt_f32_f16 v84, v84;
	;;#ASMEND
	ds_read_b64 v[17:18], v37 offset:48
	v_fmac_f32_e32 v28, v19, v79
	v_fmac_f32_e32 v55, v20, v80
	v_fmac_f32_e32 v58, v81, v83
	v_fmac_f32_e32 v27, v82, v84
	;; [unrolled: 34-line block ×3, first 2 shown]
	s_waitcnt lgkmcnt(0)
	v_and_b32_e32 v47, 0xffff, v15
	v_lshrrev_b32_e32 v54, 16, v15
	v_lshrrev_b32_e32 v56, 16, v16
	v_and_b32_e32 v53, 0xffff, v16
	;;#ASMSTART
	v_cvt_f32_f16 v15, v47;
	;;#ASMEND
	;;#ASMSTART
	v_cvt_f32_f16 v16, v54;
	;;#ASMEND
	;; [unrolled: 3-line block ×8, first 2 shown]
	ds_read_b64 v[13:14], v37 offset:64
	v_lshrrev_b32_e32 v91, 16, v11
	v_and_b32_e32 v11, 0xffff, v11
	v_fmac_f32_e32 v28, v15, v47
	v_fmac_f32_e32 v55, v16, v48
	;; [unrolled: 1-line block ×4, first 2 shown]
	v_and_b32_e32 v15, 0xffff, v3
	s_waitcnt lgkmcnt(0)
	v_and_b32_e32 v51, 0xffff, v13
	v_lshrrev_b32_e32 v52, 16, v13
	v_lshrrev_b32_e32 v59, 16, v14
	v_and_b32_e32 v92, 0xffff, v14
	;;#ASMSTART
	v_cvt_f32_f16 v13, v51;
	;;#ASMEND
	;;#ASMSTART
	v_cvt_f32_f16 v14, v52;
	;;#ASMEND
	;; [unrolled: 3-line block ×8, first 2 shown]
	ds_read_b64 v[11:12], v37 offset:72
	v_lshrrev_b32_e32 v91, 16, v9
	v_and_b32_e32 v9, 0xffff, v9
	v_lshrrev_b32_e32 v92, 16, v10
	v_and_b32_e32 v10, 0xffff, v10
	v_fmac_f32_e32 v28, v13, v49
	v_fmac_f32_e32 v55, v14, v50
	;; [unrolled: 1-line block ×4, first 2 shown]
	v_lshrrev_b32_e32 v13, 16, v4
	s_waitcnt lgkmcnt(0)
	v_and_b32_e32 v25, 0xffff, v11
	v_lshrrev_b32_e32 v26, 16, v11
	v_lshrrev_b32_e32 v62, 16, v12
	v_and_b32_e32 v61, 0xffff, v12
	;;#ASMSTART
	v_cvt_f32_f16 v11, v25;
	;;#ASMEND
	;;#ASMSTART
	v_cvt_f32_f16 v12, v26;
	;;#ASMEND
	;; [unrolled: 3-line block ×8, first 2 shown]
	ds_read_b64 v[9:10], v37 offset:80
	v_fmac_f32_e32 v28, v11, v25
	v_fmac_f32_e32 v55, v12, v26
	;; [unrolled: 1-line block ×3, first 2 shown]
	v_and_b32_e32 v11, 0xffff, v4
	v_fmac_f32_e32 v27, v62, v65
	s_waitcnt lgkmcnt(0)
	v_and_b32_e32 v17, 0xffff, v9
	v_lshrrev_b32_e32 v18, 16, v9
	v_lshrrev_b32_e32 v20, 16, v10
	v_and_b32_e32 v19, 0xffff, v10
	;;#ASMSTART
	v_cvt_f32_f16 v9, v17;
	;;#ASMEND
	;;#ASMSTART
	v_cvt_f32_f16 v10, v18;
	;;#ASMEND
	;;#ASMSTART
	v_cvt_f32_f16 v17, v7;
	;;#ASMEND
	;;#ASMSTART
	v_cvt_f32_f16 v18, v93;
	;;#ASMEND
	;;#ASMSTART
	v_cvt_f32_f16 v19, v19;
	;;#ASMEND
	;;#ASMSTART
	v_cvt_f32_f16 v20, v20;
	;;#ASMEND
	;;#ASMSTART
	v_cvt_f32_f16 v21, v8;
	;;#ASMEND
	;;#ASMSTART
	v_cvt_f32_f16 v22, v23;
	;;#ASMEND
	ds_read_b64 v[7:8], v37 offset:88
	v_fmac_f32_e32 v28, v9, v17
	v_fmac_f32_e32 v55, v10, v18
	;; [unrolled: 1-line block ×4, first 2 shown]
	s_waitcnt lgkmcnt(0)
	v_and_b32_e32 v3, 0xffff, v7
	v_lshrrev_b32_e32 v4, 16, v7
	v_lshrrev_b32_e32 v9, 16, v8
	v_and_b32_e32 v10, 0xffff, v8
	;;#ASMSTART
	v_cvt_f32_f16 v3, v3;
	;;#ASMEND
	;;#ASMSTART
	v_cvt_f32_f16 v4, v4;
	;;#ASMEND
	;; [unrolled: 3-line block ×4, first 2 shown]
	v_fmac_f32_e32 v28, v3, v7
	v_fmac_f32_e32 v55, v4, v8
	;;#ASMSTART
	v_cvt_f32_f16 v3, v10;
	;;#ASMEND
	;;#ASMSTART
	v_cvt_f32_f16 v4, v9;
	;;#ASMEND
	;; [unrolled: 3-line block ×3, first 2 shown]
	v_fmac_f32_e32 v58, v3, v7
	v_add_f32_e32 v3, v28, v55
	;;#ASMSTART
	v_cvt_f32_f16 v7, v13;
	;;#ASMEND
	v_fmac_f32_e32 v27, v4, v7
	v_cndmask_b32_e64 v4, v34, v40, s2
	v_add_f32_e32 v3, v3, v58
	v_lshlrev_b32_e32 v4, 2, v4
	v_add_f32_e32 v3, v27, v3
	ds_bpermute_b32 v4, v4, v3
	s_and_saveexec_b32 s44, vcc_lo
	s_cbranch_execz .LBB93_11
; %bb.19:                               ;   in Loop: Header=BB93_13 Depth=1
	v_add_nc_u32_e32 v7, v41, v38
	s_waitcnt lgkmcnt(0)
	v_add_f32_e32 v3, v3, v4
	v_cvt_f32_i32_e32 v7, v7
	v_mul_f32_e32 v7, s40, v7
	v_cndmask_b32_e64 v4, 0, v7, s1
	v_max_f32_e32 v7, v35, v35
	v_fmac_f32_e32 v4, s37, v3
	v_add_nc_u32_e32 v3, v36, v38
	v_max_f32_e32 v7, v7, v4
	v_cmp_gt_i32_e64 s2, s27, v3
	v_cndmask_b32_e64 v3, 0, v4, s2
	v_cndmask_b32_e64 v35, v35, v7, s2
	ds_write_b32 v42, v3
	s_branch .LBB93_11
.LBB93_20:
	s_or_b32 exec_lo, exec_lo, s15
.LBB93_21:
	s_or_b32 exec_lo, exec_lo, s42
	v_xor_b32_e32 v1, 16, v34
	v_xor_b32_e32 v2, 8, v34
	s_waitcnt lgkmcnt(0)
	v_max_f32_e32 v4, v35, v35
	v_and_b32_e32 v10, 31, v0
	v_lshlrev_b32_e32 v9, 2, v31
	v_cmp_gt_i32_e32 vcc_lo, 32, v1
	v_cndmask_b32_e32 v1, v34, v1, vcc_lo
	v_cmp_gt_i32_e32 vcc_lo, 32, v2
	v_lshlrev_b32_e32 v3, 2, v1
	v_cndmask_b32_e32 v2, v34, v2, vcc_lo
	ds_bpermute_b32 v1, v3, v35
	v_lshlrev_b32_e32 v7, 2, v2
	s_waitcnt lgkmcnt(0)
	v_max_f32_e32 v1, v1, v1
	v_max_f32_e32 v1, v4, v1
	v_xor_b32_e32 v4, 4, v34
	ds_bpermute_b32 v2, v7, v1
	v_cmp_gt_i32_e32 vcc_lo, 32, v4
	v_cndmask_b32_e32 v4, v34, v4, vcc_lo
	v_lshlrev_b32_e32 v8, 2, v4
	v_xor_b32_e32 v4, 2, v34
	v_cmp_gt_i32_e32 vcc_lo, 32, v4
	s_waitcnt lgkmcnt(0)
	v_max_f32_e32 v2, v2, v2
	v_cndmask_b32_e32 v4, v34, v4, vcc_lo
	v_cmp_eq_u32_e32 vcc_lo, 0, v10
	v_max_f32_e32 v1, v1, v2
	ds_bpermute_b32 v2, v8, v1
	s_waitcnt lgkmcnt(0)
	v_max_f32_e32 v2, v2, v2
	v_max_f32_e32 v1, v1, v2
	v_lshlrev_b32_e32 v2, 2, v4
	ds_bpermute_b32 v4, v2, v1
	s_and_saveexec_b32 s1, vcc_lo
	s_cbranch_execz .LBB93_23
; %bb.22:
	s_waitcnt lgkmcnt(0)
	v_max_f32_e32 v4, v4, v4
	v_max_f32_e32 v1, v1, v1
	;; [unrolled: 1-line block ×3, first 2 shown]
	ds_write_b32 v9, v1 offset:192
.LBB93_23:
	s_or_b32 exec_lo, exec_lo, s1
	v_cmp_gt_u32_e64 s1, 4, v10
	v_mov_b32_e32 v1, 0xff7fffff
	v_lshlrev_b32_e32 v12, 2, v10
	s_waitcnt lgkmcnt(0)
	s_barrier
	buffer_gl0_inv
	s_and_saveexec_b32 s2, s1
; %bb.24:
	ds_read_b32 v1, v12 offset:192
; %bb.25:
	s_or_b32 exec_lo, exec_lo, s2
	s_waitcnt lgkmcnt(0)
	ds_bpermute_b32 v4, v2, v1
	v_xor_b32_e32 v11, 1, v34
	v_max_f32_e32 v1, v1, v1
	v_mov_b32_e32 v13, 0
	v_cmp_gt_i32_e64 s2, 32, v11
	v_cndmask_b32_e64 v11, v34, v11, s2
	s_sub_i32 s2, s16, s41
	s_lshl_b32 s2, s2, 4
	v_lshlrev_b32_e32 v11, 2, v11
	s_add_i32 s2, s2, s38
	s_min_i32 s2, s2, s27
	s_waitcnt lgkmcnt(0)
	v_max_f32_e32 v4, v4, v4
	s_sub_i32 s4, s2, s38
	v_cmp_gt_i32_e64 s2, s4, v0
	v_max_f32_e32 v1, v1, v4
	ds_bpermute_b32 v4, v11, v1
	s_waitcnt lgkmcnt(0)
	v_max_f32_e32 v4, v4, v4
	v_max_f32_e32 v1, v1, v4
	v_lshl_add_u32 v4, v0, 2, 0xe0
	ds_bpermute_b32 v1, v13, v1
	s_and_saveexec_b32 s5, s2
	s_cbranch_execz .LBB93_29
; %bb.26:
	v_lshl_add_u32 v14, v0, 2, 0xe0
	v_mov_b32_e32 v13, 0
	v_mov_b32_e32 v15, v0
	s_mov_b32 s15, 0
	.p2align	6
.LBB93_27:                              ; =>This Inner Loop Header: Depth=1
	ds_read_b32 v16, v14
	v_add_nc_u32_e32 v15, 0x80, v15
	v_cmp_le_i32_e64 s3, s4, v15
	s_or_b32 s15, s3, s15
	s_waitcnt lgkmcnt(0)
	v_sub_f32_e32 v16, v16, v1
	v_mul_f32_e32 v16, 0x3fb8aa3b, v16
	v_exp_f32_e32 v16, v16
	ds_write_b32 v14, v16
	v_add_f32_e32 v13, v13, v16
	v_add_nc_u32_e32 v14, 0x200, v14
	s_andn2_b32 exec_lo, exec_lo, s15
	s_cbranch_execnz .LBB93_27
; %bb.28:
	s_or_b32 exec_lo, exec_lo, s15
.LBB93_29:
	s_or_b32 exec_lo, exec_lo, s5
	ds_bpermute_b32 v3, v3, v13
	s_waitcnt lgkmcnt(0)
	v_add_f32_e32 v3, v13, v3
	ds_bpermute_b32 v7, v7, v3
	s_waitcnt lgkmcnt(0)
	v_add_f32_e32 v3, v3, v7
	;; [unrolled: 3-line block ×5, first 2 shown]
	s_and_saveexec_b32 s3, vcc_lo
; %bb.30:
	ds_write_b32 v9, v3 offset:208
; %bb.31:
	s_or_b32 exec_lo, exec_lo, s3
	s_waitcnt lgkmcnt(0)
	s_barrier
	buffer_gl0_inv
	s_and_saveexec_b32 s3, s1
; %bb.32:
	ds_read_b32 v3, v12 offset:208
; %bb.33:
	s_or_b32 exec_lo, exec_lo, s3
	s_waitcnt lgkmcnt(0)
	ds_bpermute_b32 v2, v2, v3
	s_waitcnt lgkmcnt(0)
	v_add_f32_e32 v2, v3, v2
	ds_bpermute_b32 v3, v11, v2
	s_waitcnt lgkmcnt(0)
	v_add_f32_e32 v2, v2, v3
	v_mov_b32_e32 v3, 0
	ds_bpermute_b32 v2, v3, v2
	s_and_saveexec_b32 s1, s2
	s_cbranch_execz .LBB93_36
; %bb.34:
	s_waitcnt lgkmcnt(0)
	v_add_f32_e32 v3, 0x358637bd, v2
	s_mov_b32 s2, 0
	v_div_scale_f32 v7, null, v3, v3, 1.0
	v_div_scale_f32 v12, vcc_lo, 1.0, v3, 1.0
	v_rcp_f32_e32 v8, v7
	v_fma_f32 v9, -v7, v8, 1.0
	v_fmac_f32_e32 v8, v9, v8
	v_mul_f32_e32 v9, v12, v8
	v_fma_f32 v13, -v7, v9, v12
	v_fmac_f32_e32 v9, v13, v8
	v_fma_f32 v7, -v7, v9, v12
	v_div_fmas_f32 v7, v7, v8, v9
	v_div_fixup_f32 v3, v7, v3, 1.0
	v_mov_b32_e32 v7, v0
.LBB93_35:                              ; =>This Inner Loop Header: Depth=1
	ds_read_b32 v8, v4
	v_add_nc_u32_e32 v7, 0x80, v7
	v_cmp_le_i32_e32 vcc_lo, s4, v7
	s_or_b32 s2, vcc_lo, s2
	s_waitcnt lgkmcnt(0)
	v_mul_f32_e32 v8, v3, v8
	ds_write_b32 v4, v8
	v_add_nc_u32_e32 v4, 0x200, v4
	s_andn2_b32 exec_lo, exec_lo, s2
	s_cbranch_execnz .LBB93_35
.LBB93_36:
	s_or_b32 exec_lo, exec_lo, s1
	s_mul_i32 s1, s7, s26
	s_waitcnt lgkmcnt(0)
	s_mul_i32 s2, s1, s9
	s_mov_b32 s1, exec_lo
	s_barrier
	buffer_gl0_inv
	v_cmpx_eq_u32_e32 0, v0
	s_cbranch_execz .LBB93_38
; %bb.37:
	s_ashr_i32 s3, s2, 31
	s_mul_i32 s40, s7, s6
	s_lshl_b64 s[4:5], s[2:3], 2
	v_mov_b32_e32 v3, 0
	s_add_u32 s3, s22, s4
	s_addc_u32 s6, s23, s5
	s_ashr_i32 s41, s40, 31
	s_lshl_b64 s[22:23], s[40:41], 2
	s_add_u32 s3, s3, s22
	s_addc_u32 s6, s6, s23
	s_ashr_i32 s9, s8, 31
	s_lshl_b64 s[40:41], s[8:9], 2
	s_add_u32 s42, s3, s40
	s_addc_u32 s43, s6, s41
	s_add_u32 s3, s20, s4
	s_addc_u32 s4, s21, s5
	;; [unrolled: 2-line block ×4, first 2 shown]
	global_store_dword v3, v1, s[42:43]
	global_store_dword v3, v2, s[4:5]
.LBB93_38:
	s_or_b32 exec_lo, exec_lo, s1
	v_mov_b32_e32 v17, 0
	v_mov_b32_e32 v16, 0
	;; [unrolled: 1-line block ×6, first 2 shown]
	s_and_saveexec_b32 s3, s0
	s_cbranch_execz .LBB93_56
; %bb.39:
	s_ashr_i32 s15, s14, 31
	s_sub_i32 s4, s39, s17
	s_lshl_b64 s[0:1], s[14:15], 1
	v_lshlrev_b32_e32 v3, 4, v0
	s_add_u32 s6, s34, s0
	s_addc_u32 s9, s35, s1
	s_abs_i32 s5, s18
	s_add_i32 s36, s36, -1
	v_cvt_f32_u32_e32 v1, s5
	s_sub_i32 s0, 0, s5
	v_and_b32_e32 v3, 0x1f0, v3
	v_and_b32_e32 v18, 8, v33
	v_mov_b32_e32 v19, 0
	v_rcp_iflag_f32_e32 v1, v1
	v_mov_b32_e32 v12, 0
	v_add_co_u32 v20, s6, s6, v3
	v_mov_b32_e32 v13, 0
	v_mov_b32_e32 v14, 0
	;; [unrolled: 1-line block ×4, first 2 shown]
	v_add_co_ci_u32_e64 v21, null, s9, 0, s6
	v_mul_f32_e32 v4, 0x4f7ffffe, v1
	v_lshlrev_b64 v[1:2], 2, v[5:6]
	v_lshlrev_b32_e32 v6, 5, v30
	v_mov_b32_e32 v17, 0
	s_mov_b32 s9, s13
	v_cvt_u32_f32_e32 v4, v4
	s_mov_b32 s6, 0
	v_lshl_or_b32 v6, v31, 6, v6
	v_mul_lo_u32 v7, s0, v4
	s_lshl_b64 s[0:1], s[30:31], 2
	v_add_nc_u32_e32 v22, 0xe0, v6
	s_add_u32 s0, s28, s0
	s_addc_u32 s1, s29, s1
	v_add_co_u32 v6, vcc_lo, s0, v1
	v_mul_hi_u32 v8, v4, v7
	v_add_co_ci_u32_e64 v7, null, s1, v2, vcc_lo
	v_add_nc_u32_e32 v23, v4, v8
	s_branch .LBB93_42
.LBB93_40:                              ;   in Loop: Header=BB93_42 Depth=1
	s_or_b32 exec_lo, exec_lo, s1
	v_lshlrev_b32_e32 v24, 16, v50
	v_lshlrev_b32_e32 v9, 16, v9
	;; [unrolled: 1-line block ×3, first 2 shown]
	v_add_f32_e32 v25, v48, v49
	v_and_or_b32 v1, 0xffff, v1, v24
	v_and_or_b32 v2, 0xffff, v2, v9
	;; [unrolled: 1-line block ×3, first 2 shown]
	;;#ASMSTART
	v_pk_mul_f16 v1, v37, v1;

	;;#ASMEND
	;;#ASMSTART
	v_pk_mul_f16 v2, v36, v2;

	;;#ASMEND
	;; [unrolled: 4-line block ×4, first 2 shown]
	;;#ASMSTART
	v_pk_add_f16 v1, v1, v2;

	;;#ASMEND
	;;#ASMSTART
	v_pk_add_f16 v1, v1, v3;

	;;#ASMEND
	;; [unrolled: 4-line block ×3, first 2 shown]
	v_and_b32_e32 v4, 0xffff, v1
	v_lshrrev_b32_e32 v9, 16, v1
	;;#ASMSTART
	v_cvt_f32_f16 v4, v4;
	;;#ASMEND
	v_add_f32_e32 v8, v46, v47
	v_add_f32_e32 v1, v44, v45
	;; [unrolled: 1-line block ×4, first 2 shown]
	;;#ASMSTART
	v_cvt_f32_f16 v9, v9;
	;;#ASMEND
	v_add_f32_e32 v4, v4, v9
	v_add_f32_e32 v13, v13, v25
	;; [unrolled: 1-line block ×7, first 2 shown]
.LBB93_41:                              ;   in Loop: Header=BB93_42 Depth=1
	s_or_b32 exec_lo, exec_lo, s13
	v_add_nc_u32_e32 v5, 4, v5
	v_add_co_u32 v6, s0, v6, 16
	v_add_co_ci_u32_e64 v7, null, 0, v7, s0
	v_cmp_le_i32_e32 vcc_lo, s16, v5
	v_add_nc_u32_e32 v32, 64, v32
	v_add_nc_u32_e32 v22, 0x100, v22
	s_or_b32 s6, vcc_lo, s6
	s_andn2_b32 exec_lo, exec_lo, s6
	s_cbranch_execz .LBB93_55
.LBB93_42:                              ; =>This Inner Loop Header: Depth=1
	v_sub_nc_u32_e32 v1, 0, v32
	v_max_i32_e32 v1, v32, v1
	v_mul_hi_u32 v2, v1, s12
	v_mul_lo_u32 v3, v2, s11
	v_sub_nc_u32_e32 v1, v1, v3
	v_add_nc_u32_e32 v3, 1, v2
	v_subrev_nc_u32_e32 v4, s11, v1
	v_cmp_le_u32_e32 vcc_lo, s11, v1
	v_cndmask_b32_e32 v2, v2, v3, vcc_lo
	v_cndmask_b32_e32 v1, v1, v4, vcc_lo
	v_ashrrev_i32_e32 v3, 31, v32
	v_add_nc_u32_e32 v4, 1, v2
	v_cmp_le_u32_e32 vcc_lo, s11, v1
	v_xor_b32_e32 v3, s19, v3
	v_cndmask_b32_e32 v1, v2, v4, vcc_lo
	v_xor_b32_e32 v1, v1, v3
	v_sub_nc_u32_e32 v1, v1, v3
	v_add_nc_u32_e32 v2, s33, v1
	v_cmp_lt_i32_e64 s0, s4, v1
	v_sub_nc_u32_e32 v3, 0, v2
	v_max_i32_e32 v3, v2, v3
	v_ashrrev_i32_e32 v2, 31, v2
	v_mul_hi_u32 v4, v3, v23
	v_mul_lo_u32 v4, v4, s5
	v_sub_nc_u32_e32 v3, v3, v4
	v_subrev_nc_u32_e32 v4, s5, v3
	v_cmp_le_u32_e32 vcc_lo, s5, v3
	v_cndmask_b32_e32 v3, v3, v4, vcc_lo
	v_subrev_nc_u32_e32 v4, s5, v3
	v_cmp_le_u32_e32 vcc_lo, s5, v3
	v_cndmask_b32_e32 v3, v3, v4, vcc_lo
	v_xor_b32_e32 v3, v3, v2
	v_sub_nc_u32_e32 v2, v3, v2
	v_cmp_eq_u32_e32 vcc_lo, 0, v2
	s_or_b32 s0, vcc_lo, s0
	s_and_saveexec_b32 s13, s0
	s_cbranch_execz .LBB93_41
; %bb.43:                               ;   in Loop: Header=BB93_42 Depth=1
	global_load_dword v8, v[6:7], off
	ds_read2_b64 v[1:4], v22 offset1:1
	ds_read2_b64 v[24:27], v22 offset0:2 offset1:3
	v_add_nc_u32_e32 v33, v18, v32
	v_cmp_eq_u32_e64 s0, s36, v5
	s_waitcnt lgkmcnt(1)
	;;#ASMSTART
	v_cvt_f16_f32 v37, v1;

	;;#ASMEND
	;;#ASMSTART
	v_cvt_f16_f32 v36, v2;

	;;#ASMEND
	;; [unrolled: 4-line block ×4, first 2 shown]
	s_waitcnt lgkmcnt(0)
	;;#ASMSTART
	v_cvt_f16_f32 v43, v24;

	;;#ASMEND
	;;#ASMSTART
	v_cvt_f16_f32 v39, v25;

	;;#ASMEND
	;; [unrolled: 4-line block ×4, first 2 shown]
	v_add_nc_u32_e32 v35, 1, v33
	v_add_nc_u32_e32 v28, 2, v33
	;; [unrolled: 1-line block ×7, first 2 shown]
	s_waitcnt vmcnt(0)
	v_mad_i64_i32 v[8:9], null, v8, s9, 0
	v_lshlrev_b64 v[8:9], 1, v[8:9]
	v_add_co_u32 v8, vcc_lo, v20, v8
	v_add_co_ci_u32_e64 v9, null, v21, v9, vcc_lo
	global_load_dwordx4 v[1:4], v[8:9], off
	s_waitcnt vmcnt(0)
	v_lshrrev_b32_e32 v46, 16, v1
	v_lshrrev_b32_e32 v45, 16, v2
	;; [unrolled: 1-line block ×3, first 2 shown]
	s_and_saveexec_b32 s14, s0
	s_cbranch_execz .LBB93_45
; %bb.44:                               ;   in Loop: Header=BB93_42 Depth=1
	v_cmp_gt_i32_e32 vcc_lo, s27, v33
	v_and_b32_e32 v47, 0xffff0000, v4
	v_cmp_gt_i32_e64 s1, s27, v28
	v_cndmask_b32_e32 v1, 0, v1, vcc_lo
	v_cmp_gt_i32_e32 vcc_lo, s27, v35
	v_cndmask_b32_e64 v2, 0, v2, s1
	v_cmp_gt_i32_e64 s1, s27, v27
	v_cndmask_b32_e32 v46, 0, v46, vcc_lo
	v_cmp_gt_i32_e32 vcc_lo, s27, v34
	v_cndmask_b32_e64 v45, 0, v45, s1
	v_cndmask_b32_sdwa v4, v19, v4, vcc_lo dst_sel:DWORD dst_unused:UNUSED_PAD src0_sel:DWORD src1_sel:WORD_0
	v_cmp_gt_i32_e32 vcc_lo, s27, v26
	v_cndmask_b32_e32 v47, 0, v47, vcc_lo
	v_cmp_gt_i32_e32 vcc_lo, s27, v25
	v_or_b32_e32 v4, v4, v47
	v_cndmask_b32_e32 v3, 0, v3, vcc_lo
	v_cmp_gt_i32_e32 vcc_lo, s27, v24
	v_cndmask_b32_e32 v44, 0, v44, vcc_lo
.LBB93_45:                              ;   in Loop: Header=BB93_42 Depth=1
	s_or_b32 exec_lo, exec_lo, s14
	v_and_b32_e32 v37, 0xffff, v37
	v_and_b32_e32 v42, 0xffff, v42
	v_lshlrev_b32_e32 v46, 16, v46
	v_lshlrev_b32_e32 v44, 16, v44
	v_and_b32_e32 v43, 0xffff, v43
	v_lshl_or_b32 v37, v36, 16, v37
	v_lshl_or_b32 v36, v40, 16, v42
	v_lshlrev_b32_e32 v42, 16, v45
	v_and_b32_e32 v41, 0xffff, v41
	v_and_or_b32 v1, 0xffff, v1, v46
	v_and_or_b32 v3, 0xffff, v3, v44
	;;#ASMSTART
	v_pk_mul_f16 v1, v37, v1;

	;;#ASMEND
	v_and_or_b32 v2, 0xffff, v2, v42
	v_lshl_or_b32 v40, v39, 16, v43
	v_lshl_or_b32 v41, v38, 16, v41
	;;#ASMSTART
	v_pk_mul_f16 v2, v36, v2;

	;;#ASMEND
	;;#ASMSTART
	v_pk_mul_f16 v3, v40, v3;

	;;#ASMEND
	;; [unrolled: 4-line block ×3, first 2 shown]
	;;#ASMSTART
	v_pk_add_f16 v1, v1, v2;

	;;#ASMEND
	;;#ASMSTART
	v_pk_add_f16 v1, v1, v3;

	;;#ASMEND
	;; [unrolled: 4-line block ×3, first 2 shown]
	v_and_b32_e32 v2, 0xffff, v1
	v_lshrrev_b32_e32 v1, 16, v1
	;;#ASMSTART
	v_cvt_f32_f16 v38, v2;
	;;#ASMEND
	;;#ASMSTART
	v_cvt_f32_f16 v39, v1;
	;;#ASMEND
	global_load_dwordx4 v[1:4], v[8:9], off offset:512
	s_waitcnt vmcnt(0)
	v_lshrrev_b32_e32 v44, 16, v1
	v_lshrrev_b32_e32 v43, 16, v2
	;; [unrolled: 1-line block ×3, first 2 shown]
	s_and_saveexec_b32 s14, s0
	s_cbranch_execz .LBB93_47
; %bb.46:                               ;   in Loop: Header=BB93_42 Depth=1
	v_cmp_gt_i32_e32 vcc_lo, s27, v33
	v_and_b32_e32 v45, 0xffff0000, v4
	v_cmp_gt_i32_e64 s1, s27, v28
	v_cndmask_b32_e32 v1, 0, v1, vcc_lo
	v_cmp_gt_i32_e32 vcc_lo, s27, v35
	v_cndmask_b32_e64 v2, 0, v2, s1
	v_cmp_gt_i32_e64 s1, s27, v27
	v_cndmask_b32_e32 v44, 0, v44, vcc_lo
	v_cmp_gt_i32_e32 vcc_lo, s27, v34
	v_cndmask_b32_e64 v43, 0, v43, s1
	v_cndmask_b32_sdwa v4, v19, v4, vcc_lo dst_sel:DWORD dst_unused:UNUSED_PAD src0_sel:DWORD src1_sel:WORD_0
	v_cmp_gt_i32_e32 vcc_lo, s27, v26
	v_cndmask_b32_e32 v45, 0, v45, vcc_lo
	v_cmp_gt_i32_e32 vcc_lo, s27, v25
	v_or_b32_e32 v4, v4, v45
	v_cndmask_b32_e32 v3, 0, v3, vcc_lo
	v_cmp_gt_i32_e32 vcc_lo, s27, v24
	v_cndmask_b32_e32 v42, 0, v42, vcc_lo
.LBB93_47:                              ;   in Loop: Header=BB93_42 Depth=1
	s_or_b32 exec_lo, exec_lo, s14
	v_lshlrev_b32_e32 v44, 16, v44
	v_lshlrev_b32_e32 v43, 16, v43
	;; [unrolled: 1-line block ×3, first 2 shown]
	v_and_or_b32 v1, 0xffff, v1, v44
	v_and_or_b32 v2, 0xffff, v2, v43
	;; [unrolled: 1-line block ×3, first 2 shown]
	;;#ASMSTART
	v_pk_mul_f16 v1, v37, v1;

	;;#ASMEND
	;;#ASMSTART
	v_pk_mul_f16 v2, v36, v2;

	;;#ASMEND
	;;#ASMSTART
	v_pk_mul_f16 v3, v40, v3;

	;;#ASMEND
	;;#ASMSTART
	v_pk_mul_f16 v4, v41, v4;

	;;#ASMEND
	;;#ASMSTART
	v_pk_add_f16 v1, v1, v2;

	;;#ASMEND
	;;#ASMSTART
	v_pk_add_f16 v1, v1, v3;

	;;#ASMEND
	;; [unrolled: 4-line block ×3, first 2 shown]
	v_and_b32_e32 v2, 0xffff, v1
	v_lshrrev_b32_e32 v1, 16, v1
	;;#ASMSTART
	v_cvt_f32_f16 v42, v2;
	;;#ASMEND
	;;#ASMSTART
	v_cvt_f32_f16 v43, v1;
	;;#ASMEND
	global_load_dwordx4 v[1:4], v[8:9], off offset:1024
	s_waitcnt vmcnt(0)
	v_lshrrev_b32_e32 v46, 16, v1
	v_lshrrev_b32_e32 v45, 16, v2
	;; [unrolled: 1-line block ×3, first 2 shown]
	s_and_saveexec_b32 s14, s0
	s_cbranch_execz .LBB93_49
; %bb.48:                               ;   in Loop: Header=BB93_42 Depth=1
	v_cmp_gt_i32_e32 vcc_lo, s27, v33
	v_and_b32_e32 v47, 0xffff0000, v4
	v_cmp_gt_i32_e64 s1, s27, v28
	v_cndmask_b32_e32 v1, 0, v1, vcc_lo
	v_cmp_gt_i32_e32 vcc_lo, s27, v35
	v_cndmask_b32_e64 v2, 0, v2, s1
	v_cmp_gt_i32_e64 s1, s27, v27
	v_cndmask_b32_e32 v46, 0, v46, vcc_lo
	v_cmp_gt_i32_e32 vcc_lo, s27, v34
	v_cndmask_b32_e64 v45, 0, v45, s1
	v_cndmask_b32_sdwa v4, v19, v4, vcc_lo dst_sel:DWORD dst_unused:UNUSED_PAD src0_sel:DWORD src1_sel:WORD_0
	v_cmp_gt_i32_e32 vcc_lo, s27, v26
	v_cndmask_b32_e32 v47, 0, v47, vcc_lo
	v_cmp_gt_i32_e32 vcc_lo, s27, v25
	v_or_b32_e32 v4, v4, v47
	v_cndmask_b32_e32 v3, 0, v3, vcc_lo
	v_cmp_gt_i32_e32 vcc_lo, s27, v24
	v_cndmask_b32_e32 v44, 0, v44, vcc_lo
.LBB93_49:                              ;   in Loop: Header=BB93_42 Depth=1
	s_or_b32 exec_lo, exec_lo, s14
	v_lshlrev_b32_e32 v46, 16, v46
	v_lshlrev_b32_e32 v45, 16, v45
	;; [unrolled: 1-line block ×3, first 2 shown]
	v_and_or_b32 v1, 0xffff, v1, v46
	v_and_or_b32 v2, 0xffff, v2, v45
	;; [unrolled: 1-line block ×3, first 2 shown]
	;;#ASMSTART
	v_pk_mul_f16 v1, v37, v1;

	;;#ASMEND
	;;#ASMSTART
	v_pk_mul_f16 v2, v36, v2;

	;;#ASMEND
	;;#ASMSTART
	v_pk_mul_f16 v3, v40, v3;

	;;#ASMEND
	;;#ASMSTART
	v_pk_mul_f16 v4, v41, v4;

	;;#ASMEND
	;;#ASMSTART
	v_pk_add_f16 v1, v1, v2;

	;;#ASMEND
	;;#ASMSTART
	v_pk_add_f16 v1, v1, v3;

	;;#ASMEND
	;; [unrolled: 4-line block ×3, first 2 shown]
	v_and_b32_e32 v2, 0xffff, v1
	v_lshrrev_b32_e32 v1, 16, v1
	;;#ASMSTART
	v_cvt_f32_f16 v44, v2;
	;;#ASMEND
	;;#ASMSTART
	v_cvt_f32_f16 v45, v1;
	;;#ASMEND
	global_load_dwordx4 v[1:4], v[8:9], off offset:1536
	s_waitcnt vmcnt(0)
	v_lshrrev_b32_e32 v48, 16, v1
	v_lshrrev_b32_e32 v47, 16, v2
	;; [unrolled: 1-line block ×3, first 2 shown]
	s_and_saveexec_b32 s14, s0
	s_cbranch_execz .LBB93_51
; %bb.50:                               ;   in Loop: Header=BB93_42 Depth=1
	v_cmp_gt_i32_e32 vcc_lo, s27, v33
	v_and_b32_e32 v49, 0xffff0000, v4
	v_cmp_gt_i32_e64 s1, s27, v28
	v_cndmask_b32_e32 v1, 0, v1, vcc_lo
	v_cmp_gt_i32_e32 vcc_lo, s27, v35
	v_cndmask_b32_e64 v2, 0, v2, s1
	v_cmp_gt_i32_e64 s1, s27, v27
	v_cndmask_b32_e32 v48, 0, v48, vcc_lo
	v_cmp_gt_i32_e32 vcc_lo, s27, v34
	v_cndmask_b32_e64 v47, 0, v47, s1
	v_cndmask_b32_sdwa v4, v19, v4, vcc_lo dst_sel:DWORD dst_unused:UNUSED_PAD src0_sel:DWORD src1_sel:WORD_0
	v_cmp_gt_i32_e32 vcc_lo, s27, v26
	v_cndmask_b32_e32 v49, 0, v49, vcc_lo
	v_cmp_gt_i32_e32 vcc_lo, s27, v25
	v_or_b32_e32 v4, v4, v49
	v_cndmask_b32_e32 v3, 0, v3, vcc_lo
	v_cmp_gt_i32_e32 vcc_lo, s27, v24
	v_cndmask_b32_e32 v46, 0, v46, vcc_lo
.LBB93_51:                              ;   in Loop: Header=BB93_42 Depth=1
	s_or_b32 exec_lo, exec_lo, s14
	v_lshlrev_b32_e32 v48, 16, v48
	v_lshlrev_b32_e32 v47, 16, v47
	;; [unrolled: 1-line block ×3, first 2 shown]
	v_add_co_u32 v8, vcc_lo, 0x800, v8
	v_and_or_b32 v1, 0xffff, v1, v48
	v_and_or_b32 v2, 0xffff, v2, v47
	;; [unrolled: 1-line block ×3, first 2 shown]
	;;#ASMSTART
	v_pk_mul_f16 v1, v37, v1;

	;;#ASMEND
	v_add_co_ci_u32_e64 v9, null, 0, v9, vcc_lo
	;;#ASMSTART
	v_pk_mul_f16 v2, v36, v2;

	;;#ASMEND
	;;#ASMSTART
	v_pk_mul_f16 v3, v40, v3;

	;;#ASMEND
	;; [unrolled: 4-line block ×3, first 2 shown]
	;;#ASMSTART
	v_pk_add_f16 v1, v1, v2;

	;;#ASMEND
	;;#ASMSTART
	v_pk_add_f16 v1, v1, v3;

	;;#ASMEND
	;;#ASMSTART
	v_pk_add_f16 v1, v1, v4;

	;;#ASMEND
	v_lshrrev_b32_e32 v2, 16, v1
	v_and_b32_e32 v1, 0xffff, v1
	;;#ASMSTART
	v_cvt_f32_f16 v46, v1;
	;;#ASMEND
	;;#ASMSTART
	v_cvt_f32_f16 v47, v2;
	;;#ASMEND
	global_load_dwordx4 v[1:4], v[8:9], off
	s_waitcnt vmcnt(0)
	v_lshrrev_b32_e32 v50, 16, v1
	v_lshrrev_b32_e32 v49, 16, v2
	;; [unrolled: 1-line block ×3, first 2 shown]
	s_and_saveexec_b32 s14, s0
	s_cbranch_execz .LBB93_53
; %bb.52:                               ;   in Loop: Header=BB93_42 Depth=1
	v_cmp_gt_i32_e32 vcc_lo, s27, v33
	v_and_b32_e32 v51, 0xffff0000, v4
	v_cmp_gt_i32_e64 s1, s27, v28
	v_cndmask_b32_e32 v1, 0, v1, vcc_lo
	v_cmp_gt_i32_e32 vcc_lo, s27, v35
	v_cndmask_b32_e64 v2, 0, v2, s1
	v_cmp_gt_i32_e64 s1, s27, v27
	v_cndmask_b32_e32 v50, 0, v50, vcc_lo
	v_cmp_gt_i32_e32 vcc_lo, s27, v34
	v_cndmask_b32_e64 v49, 0, v49, s1
	v_cndmask_b32_sdwa v4, v19, v4, vcc_lo dst_sel:DWORD dst_unused:UNUSED_PAD src0_sel:DWORD src1_sel:WORD_0
	v_cmp_gt_i32_e32 vcc_lo, s27, v26
	v_cndmask_b32_e32 v51, 0, v51, vcc_lo
	v_cmp_gt_i32_e32 vcc_lo, s27, v25
	v_or_b32_e32 v4, v4, v51
	v_cndmask_b32_e32 v3, 0, v3, vcc_lo
	v_cmp_gt_i32_e32 vcc_lo, s27, v24
	v_cndmask_b32_e32 v48, 0, v48, vcc_lo
.LBB93_53:                              ;   in Loop: Header=BB93_42 Depth=1
	s_or_b32 exec_lo, exec_lo, s14
	v_lshlrev_b32_e32 v50, 16, v50
	v_lshlrev_b32_e32 v49, 16, v49
	;; [unrolled: 1-line block ×3, first 2 shown]
	v_and_or_b32 v1, 0xffff, v1, v50
	v_and_or_b32 v2, 0xffff, v2, v49
	;; [unrolled: 1-line block ×3, first 2 shown]
	;;#ASMSTART
	v_pk_mul_f16 v1, v37, v1;

	;;#ASMEND
	;;#ASMSTART
	v_pk_mul_f16 v2, v36, v2;

	;;#ASMEND
	;; [unrolled: 4-line block ×4, first 2 shown]
	;;#ASMSTART
	v_pk_add_f16 v1, v1, v2;

	;;#ASMEND
	;;#ASMSTART
	v_pk_add_f16 v1, v1, v3;

	;;#ASMEND
	;; [unrolled: 4-line block ×3, first 2 shown]
	v_and_b32_e32 v2, 0xffff, v1
	v_lshrrev_b32_e32 v1, 16, v1
	;;#ASMSTART
	v_cvt_f32_f16 v48, v2;
	;;#ASMEND
	;;#ASMSTART
	v_cvt_f32_f16 v49, v1;
	;;#ASMEND
	global_load_dwordx4 v[1:4], v[8:9], off offset:512
	s_waitcnt vmcnt(0)
	v_lshrrev_b32_e32 v50, 16, v1
	v_lshrrev_b32_e32 v9, 16, v2
	;; [unrolled: 1-line block ×3, first 2 shown]
	s_and_saveexec_b32 s1, s0
	s_cbranch_execz .LBB93_40
; %bb.54:                               ;   in Loop: Header=BB93_42 Depth=1
	v_cmp_gt_i32_e32 vcc_lo, s27, v33
	v_cmp_gt_i32_e64 s0, s27, v28
	v_cndmask_b32_e32 v1, 0, v1, vcc_lo
	v_cmp_gt_i32_e32 vcc_lo, s27, v35
	v_cndmask_b32_e64 v2, 0, v2, s0
	v_cmp_gt_i32_e64 s0, s27, v27
	v_and_b32_e32 v27, 0xffff0000, v4
	v_cndmask_b32_e32 v50, 0, v50, vcc_lo
	v_cmp_gt_i32_e32 vcc_lo, s27, v34
	v_cndmask_b32_e64 v9, 0, v9, s0
	v_cndmask_b32_sdwa v4, v19, v4, vcc_lo dst_sel:DWORD dst_unused:UNUSED_PAD src0_sel:DWORD src1_sel:WORD_0
	v_cmp_gt_i32_e32 vcc_lo, s27, v26
	v_cndmask_b32_e32 v26, 0, v27, vcc_lo
	v_cmp_gt_i32_e32 vcc_lo, s27, v25
	v_or_b32_e32 v4, v4, v26
	v_cndmask_b32_e32 v3, 0, v3, vcc_lo
	v_cmp_gt_i32_e32 vcc_lo, s27, v24
	v_cndmask_b32_e32 v8, 0, v8, vcc_lo
	s_branch .LBB93_40
.LBB93_55:
	s_or_b32 exec_lo, exec_lo, s6
.LBB93_56:
	s_or_b32 exec_lo, exec_lo, s3
	ds_bpermute_b32 v1, v11, v17
	ds_bpermute_b32 v2, v11, v16
	;; [unrolled: 1-line block ×6, first 2 shown]
	v_lshrrev_b32_e32 v7, 1, v10
	v_mul_u32_u24_e32 v9, 0x180, v31
	v_and_b32_e32 v10, 0x3c1, v0
	s_mov_b32 s0, exec_lo
	s_waitcnt lgkmcnt(0)
	s_waitcnt_vscnt null, 0x0
	v_lshl_add_u32 v8, v7, 2, 0xe0
	s_barrier
	buffer_gl0_inv
	v_add_f32_e32 v6, v17, v1
	v_add_f32_e32 v5, v16, v2
	;; [unrolled: 1-line block ×6, first 2 shown]
	v_cmpx_eq_u32_e32 64, v10
	s_cbranch_execz .LBB93_58
; %bb.57:
	v_add_nc_u32_e32 v10, v8, v9
	v_add_nc_u32_e32 v11, 0xfffffd00, v10
	;; [unrolled: 1-line block ×7, first 2 shown]
	ds_write_b32 v11, v6
	ds_write_b32 v12, v5
	;; [unrolled: 1-line block ×6, first 2 shown]
.LBB93_58:
	s_or_b32 exec_lo, exec_lo, s0
	v_lshlrev_b32_e32 v7, 2, v7
	s_mov_b32 s1, exec_lo
	v_cmp_eq_u32_e32 vcc_lo, 0, v30
	s_waitcnt lgkmcnt(0)
	s_barrier
	v_add3_u32 v7, 0xe0, v9, v7
	buffer_gl0_inv
	v_cmpx_gt_u32_e32 64, v0
	s_cbranch_execz .LBB93_67
; %bb.59:
	s_and_saveexec_b32 s0, vcc_lo
	s_cbranch_execnz .LBB93_81
; %bb.60:
	s_or_b32 exec_lo, exec_lo, s0
	s_and_saveexec_b32 s0, vcc_lo
	s_cbranch_execnz .LBB93_82
.LBB93_61:
	s_or_b32 exec_lo, exec_lo, s0
	s_and_saveexec_b32 s0, vcc_lo
	s_cbranch_execnz .LBB93_83
.LBB93_62:
	s_or_b32 exec_lo, exec_lo, s0
	s_and_saveexec_b32 s0, vcc_lo
	s_cbranch_execnz .LBB93_84
.LBB93_63:
	s_or_b32 exec_lo, exec_lo, s0
	s_and_saveexec_b32 s0, vcc_lo
	s_cbranch_execnz .LBB93_85
.LBB93_64:
	s_or_b32 exec_lo, exec_lo, s0
	s_and_saveexec_b32 s0, vcc_lo
	s_cbranch_execz .LBB93_66
.LBB93_65:
	ds_read_b32 v9, v7 offset:320
	s_waitcnt lgkmcnt(0)
	v_add_f32_e32 v1, v1, v9
.LBB93_66:
	s_or_b32 exec_lo, exec_lo, s0
.LBB93_67:
	s_or_b32 exec_lo, exec_lo, s1
	v_and_b32_e32 v9, 0x3e1, v0
	s_mov_b32 s1, exec_lo
	s_barrier
	buffer_gl0_inv
	v_cmpx_eq_u32_e32 32, v9
	s_cbranch_execz .LBB93_69
; %bb.68:
	ds_write2_b32 v8, v6, v5 offset1:16
	ds_write2_b32 v8, v4, v3 offset0:32 offset1:48
	ds_write2_b32 v8, v2, v1 offset0:64 offset1:80
.LBB93_69:
	s_or_b32 exec_lo, exec_lo, s1
	s_mov_b32 s1, exec_lo
	s_waitcnt lgkmcnt(0)
	s_barrier
	buffer_gl0_inv
	v_cmpx_gt_u32_e32 32, v0
	s_cbranch_execz .LBB93_78
; %bb.70:
	s_and_saveexec_b32 s0, vcc_lo
	s_cbranch_execnz .LBB93_86
; %bb.71:
	s_or_b32 exec_lo, exec_lo, s0
	s_and_saveexec_b32 s0, vcc_lo
	s_cbranch_execnz .LBB93_87
.LBB93_72:
	s_or_b32 exec_lo, exec_lo, s0
	s_and_saveexec_b32 s0, vcc_lo
	s_cbranch_execnz .LBB93_88
.LBB93_73:
	s_or_b32 exec_lo, exec_lo, s0
	s_and_saveexec_b32 s0, vcc_lo
	s_cbranch_execnz .LBB93_89
.LBB93_74:
	s_or_b32 exec_lo, exec_lo, s0
	s_and_saveexec_b32 s0, vcc_lo
	s_cbranch_execnz .LBB93_90
.LBB93_75:
	s_or_b32 exec_lo, exec_lo, s0
	s_and_saveexec_b32 s0, vcc_lo
	s_cbranch_execz .LBB93_77
.LBB93_76:
	ds_read_b32 v0, v7 offset:320
	s_waitcnt lgkmcnt(0)
	v_add_f32_e32 v1, v1, v0
.LBB93_77:
	s_or_b32 exec_lo, exec_lo, s0
.LBB93_78:
	s_or_b32 exec_lo, exec_lo, s1
	s_barrier
	buffer_gl0_inv
	s_mov_b32 s0, exec_lo
	v_cmpx_eq_u32_e32 0, v9
	s_cbranch_execz .LBB93_80
; %bb.79:
	s_mul_i32 s0, s2, 0x60
	s_mul_i32 s2, s7, s10
	s_ashr_i32 s1, s0, 31
	v_lshlrev_b32_e32 v0, 1, v29
	s_lshl_b64 s[0:1], s[0:1], 1
	;;#ASMSTART
	v_cvt_f16_f32 v6, v6;

	;;#ASMEND
	s_add_u32 s4, s24, s0
	s_addc_u32 s5, s25, s1
	s_ashr_i32 s3, s2, 31
	s_lshl_b64 s[0:1], s[2:3], 1
	s_mul_i32 s2, s8, 0x60
	s_add_u32 s4, s4, s0
	s_addc_u32 s5, s5, s1
	s_ashr_i32 s3, s2, 31
	s_lshl_b64 s[0:1], s[2:3], 1
	s_add_u32 s0, s4, s0
	s_addc_u32 s1, s5, s1
	global_store_short v0, v6, s[0:1]
	;;#ASMSTART
	v_cvt_f16_f32 v5, v5;

	;;#ASMEND
	global_store_short v0, v5, s[0:1] offset:32
	;;#ASMSTART
	v_cvt_f16_f32 v4, v4;

	;;#ASMEND
	global_store_short v0, v4, s[0:1] offset:64
	;; [unrolled: 5-line block ×5, first 2 shown]
.LBB93_80:
	s_endpgm
.LBB93_81:
	ds_read_b32 v9, v7
	s_waitcnt lgkmcnt(0)
	v_add_f32_e32 v6, v6, v9
	s_or_b32 exec_lo, exec_lo, s0
	s_and_saveexec_b32 s0, vcc_lo
	s_cbranch_execz .LBB93_61
.LBB93_82:
	ds_read_b32 v9, v7 offset:64
	s_waitcnt lgkmcnt(0)
	v_add_f32_e32 v5, v5, v9
	s_or_b32 exec_lo, exec_lo, s0
	s_and_saveexec_b32 s0, vcc_lo
	s_cbranch_execz .LBB93_62
.LBB93_83:
	ds_read_b32 v9, v7 offset:128
	s_waitcnt lgkmcnt(0)
	v_add_f32_e32 v4, v4, v9
	s_or_b32 exec_lo, exec_lo, s0
	s_and_saveexec_b32 s0, vcc_lo
	s_cbranch_execz .LBB93_63
.LBB93_84:
	ds_read_b32 v9, v7 offset:192
	s_waitcnt lgkmcnt(0)
	v_add_f32_e32 v3, v3, v9
	s_or_b32 exec_lo, exec_lo, s0
	s_and_saveexec_b32 s0, vcc_lo
	s_cbranch_execz .LBB93_64
.LBB93_85:
	ds_read_b32 v9, v7 offset:256
	s_waitcnt lgkmcnt(0)
	v_add_f32_e32 v2, v2, v9
	s_or_b32 exec_lo, exec_lo, s0
	s_and_saveexec_b32 s0, vcc_lo
	s_cbranch_execnz .LBB93_65
	s_branch .LBB93_66
.LBB93_86:
	ds_read_b32 v0, v7
	s_waitcnt lgkmcnt(0)
	v_add_f32_e32 v6, v6, v0
	s_or_b32 exec_lo, exec_lo, s0
	s_and_saveexec_b32 s0, vcc_lo
	s_cbranch_execz .LBB93_72
.LBB93_87:
	ds_read_b32 v0, v7 offset:64
	s_waitcnt lgkmcnt(0)
	v_add_f32_e32 v5, v5, v0
	s_or_b32 exec_lo, exec_lo, s0
	s_and_saveexec_b32 s0, vcc_lo
	s_cbranch_execz .LBB93_73
.LBB93_88:
	ds_read_b32 v0, v7 offset:128
	s_waitcnt lgkmcnt(0)
	v_add_f32_e32 v4, v4, v0
	s_or_b32 exec_lo, exec_lo, s0
	s_and_saveexec_b32 s0, vcc_lo
	s_cbranch_execz .LBB93_74
.LBB93_89:
	ds_read_b32 v0, v7 offset:192
	s_waitcnt lgkmcnt(0)
	v_add_f32_e32 v3, v3, v0
	s_or_b32 exec_lo, exec_lo, s0
	s_and_saveexec_b32 s0, vcc_lo
	s_cbranch_execz .LBB93_75
.LBB93_90:
	ds_read_b32 v0, v7 offset:256
	s_waitcnt lgkmcnt(0)
	v_add_f32_e32 v2, v2, v0
	s_or_b32 exec_lo, exec_lo, s0
	s_and_saveexec_b32 s0, vcc_lo
	s_cbranch_execnz .LBB93_76
	s_branch .LBB93_77
	.section	.rodata,"a",@progbits
	.p2align	6, 0x0
	.amdhsa_kernel _ZN4vllm25paged_attention_v2_kernelIttLi96ELi16ELi128ELNS_18Fp8KVCacheDataTypeE0ELb1ELi512EEEvPfS2_PT_PKS3_PKT0_S9_ifPKiSB_iPKfiiiSD_SD_iiiii
		.amdhsa_group_segment_fixed_size 224
		.amdhsa_private_segment_fixed_size 0
		.amdhsa_kernarg_size 400
		.amdhsa_user_sgpr_count 6
		.amdhsa_user_sgpr_private_segment_buffer 1
		.amdhsa_user_sgpr_dispatch_ptr 0
		.amdhsa_user_sgpr_queue_ptr 0
		.amdhsa_user_sgpr_kernarg_segment_ptr 1
		.amdhsa_user_sgpr_dispatch_id 0
		.amdhsa_user_sgpr_flat_scratch_init 0
		.amdhsa_user_sgpr_private_segment_size 0
		.amdhsa_wavefront_size32 1
		.amdhsa_uses_dynamic_stack 0
		.amdhsa_system_sgpr_private_segment_wavefront_offset 0
		.amdhsa_system_sgpr_workgroup_id_x 1
		.amdhsa_system_sgpr_workgroup_id_y 1
		.amdhsa_system_sgpr_workgroup_id_z 1
		.amdhsa_system_sgpr_workgroup_info 0
		.amdhsa_system_vgpr_workitem_id 0
		.amdhsa_next_free_vgpr 94
		.amdhsa_next_free_sgpr 46
		.amdhsa_reserve_vcc 1
		.amdhsa_reserve_flat_scratch 0
		.amdhsa_float_round_mode_32 0
		.amdhsa_float_round_mode_16_64 0
		.amdhsa_float_denorm_mode_32 3
		.amdhsa_float_denorm_mode_16_64 3
		.amdhsa_dx10_clamp 1
		.amdhsa_ieee_mode 1
		.amdhsa_fp16_overflow 0
		.amdhsa_workgroup_processor_mode 1
		.amdhsa_memory_ordered 1
		.amdhsa_forward_progress 1
		.amdhsa_shared_vgpr_count 0
		.amdhsa_exception_fp_ieee_invalid_op 0
		.amdhsa_exception_fp_denorm_src 0
		.amdhsa_exception_fp_ieee_div_zero 0
		.amdhsa_exception_fp_ieee_overflow 0
		.amdhsa_exception_fp_ieee_underflow 0
		.amdhsa_exception_fp_ieee_inexact 0
		.amdhsa_exception_int_div_zero 0
	.end_amdhsa_kernel
	.section	.text._ZN4vllm25paged_attention_v2_kernelIttLi96ELi16ELi128ELNS_18Fp8KVCacheDataTypeE0ELb1ELi512EEEvPfS2_PT_PKS3_PKT0_S9_ifPKiSB_iPKfiiiSD_SD_iiiii,"axG",@progbits,_ZN4vllm25paged_attention_v2_kernelIttLi96ELi16ELi128ELNS_18Fp8KVCacheDataTypeE0ELb1ELi512EEEvPfS2_PT_PKS3_PKT0_S9_ifPKiSB_iPKfiiiSD_SD_iiiii,comdat
.Lfunc_end93:
	.size	_ZN4vllm25paged_attention_v2_kernelIttLi96ELi16ELi128ELNS_18Fp8KVCacheDataTypeE0ELb1ELi512EEEvPfS2_PT_PKS3_PKT0_S9_ifPKiSB_iPKfiiiSD_SD_iiiii, .Lfunc_end93-_ZN4vllm25paged_attention_v2_kernelIttLi96ELi16ELi128ELNS_18Fp8KVCacheDataTypeE0ELb1ELi512EEEvPfS2_PT_PKS3_PKT0_S9_ifPKiSB_iPKfiiiSD_SD_iiiii
                                        ; -- End function
	.set _ZN4vllm25paged_attention_v2_kernelIttLi96ELi16ELi128ELNS_18Fp8KVCacheDataTypeE0ELb1ELi512EEEvPfS2_PT_PKS3_PKT0_S9_ifPKiSB_iPKfiiiSD_SD_iiiii.num_vgpr, 94
	.set _ZN4vllm25paged_attention_v2_kernelIttLi96ELi16ELi128ELNS_18Fp8KVCacheDataTypeE0ELb1ELi512EEEvPfS2_PT_PKS3_PKT0_S9_ifPKiSB_iPKfiiiSD_SD_iiiii.num_agpr, 0
	.set _ZN4vllm25paged_attention_v2_kernelIttLi96ELi16ELi128ELNS_18Fp8KVCacheDataTypeE0ELb1ELi512EEEvPfS2_PT_PKS3_PKT0_S9_ifPKiSB_iPKfiiiSD_SD_iiiii.numbered_sgpr, 46
	.set _ZN4vllm25paged_attention_v2_kernelIttLi96ELi16ELi128ELNS_18Fp8KVCacheDataTypeE0ELb1ELi512EEEvPfS2_PT_PKS3_PKT0_S9_ifPKiSB_iPKfiiiSD_SD_iiiii.num_named_barrier, 0
	.set _ZN4vllm25paged_attention_v2_kernelIttLi96ELi16ELi128ELNS_18Fp8KVCacheDataTypeE0ELb1ELi512EEEvPfS2_PT_PKS3_PKT0_S9_ifPKiSB_iPKfiiiSD_SD_iiiii.private_seg_size, 0
	.set _ZN4vllm25paged_attention_v2_kernelIttLi96ELi16ELi128ELNS_18Fp8KVCacheDataTypeE0ELb1ELi512EEEvPfS2_PT_PKS3_PKT0_S9_ifPKiSB_iPKfiiiSD_SD_iiiii.uses_vcc, 1
	.set _ZN4vllm25paged_attention_v2_kernelIttLi96ELi16ELi128ELNS_18Fp8KVCacheDataTypeE0ELb1ELi512EEEvPfS2_PT_PKS3_PKT0_S9_ifPKiSB_iPKfiiiSD_SD_iiiii.uses_flat_scratch, 0
	.set _ZN4vllm25paged_attention_v2_kernelIttLi96ELi16ELi128ELNS_18Fp8KVCacheDataTypeE0ELb1ELi512EEEvPfS2_PT_PKS3_PKT0_S9_ifPKiSB_iPKfiiiSD_SD_iiiii.has_dyn_sized_stack, 0
	.set _ZN4vllm25paged_attention_v2_kernelIttLi96ELi16ELi128ELNS_18Fp8KVCacheDataTypeE0ELb1ELi512EEEvPfS2_PT_PKS3_PKT0_S9_ifPKiSB_iPKfiiiSD_SD_iiiii.has_recursion, 0
	.set _ZN4vllm25paged_attention_v2_kernelIttLi96ELi16ELi128ELNS_18Fp8KVCacheDataTypeE0ELb1ELi512EEEvPfS2_PT_PKS3_PKT0_S9_ifPKiSB_iPKfiiiSD_SD_iiiii.has_indirect_call, 0
	.section	.AMDGPU.csdata,"",@progbits
; Kernel info:
; codeLenInByte = 9760
; TotalNumSgprs: 48
; NumVgprs: 94
; ScratchSize: 0
; MemoryBound: 0
; FloatMode: 240
; IeeeMode: 1
; LDSByteSize: 224 bytes/workgroup (compile time only)
; SGPRBlocks: 0
; VGPRBlocks: 11
; NumSGPRsForWavesPerEU: 48
; NumVGPRsForWavesPerEU: 94
; Occupancy: 10
; WaveLimiterHint : 1
; COMPUTE_PGM_RSRC2:SCRATCH_EN: 0
; COMPUTE_PGM_RSRC2:USER_SGPR: 6
; COMPUTE_PGM_RSRC2:TRAP_HANDLER: 0
; COMPUTE_PGM_RSRC2:TGID_X_EN: 1
; COMPUTE_PGM_RSRC2:TGID_Y_EN: 1
; COMPUTE_PGM_RSRC2:TGID_Z_EN: 1
; COMPUTE_PGM_RSRC2:TIDIG_COMP_CNT: 0
	.section	.text._ZN4vllm25paged_attention_v2_kernelIttLi112ELi16ELi128ELNS_18Fp8KVCacheDataTypeE0ELb1ELi512EEEvPfS2_PT_PKS3_PKT0_S9_ifPKiSB_iPKfiiiSD_SD_iiiii,"axG",@progbits,_ZN4vllm25paged_attention_v2_kernelIttLi112ELi16ELi128ELNS_18Fp8KVCacheDataTypeE0ELb1ELi512EEEvPfS2_PT_PKS3_PKT0_S9_ifPKiSB_iPKfiiiSD_SD_iiiii,comdat
	.protected	_ZN4vllm25paged_attention_v2_kernelIttLi112ELi16ELi128ELNS_18Fp8KVCacheDataTypeE0ELb1ELi512EEEvPfS2_PT_PKS3_PKT0_S9_ifPKiSB_iPKfiiiSD_SD_iiiii ; -- Begin function _ZN4vllm25paged_attention_v2_kernelIttLi112ELi16ELi128ELNS_18Fp8KVCacheDataTypeE0ELb1ELi512EEEvPfS2_PT_PKS3_PKT0_S9_ifPKiSB_iPKfiiiSD_SD_iiiii
	.globl	_ZN4vllm25paged_attention_v2_kernelIttLi112ELi16ELi128ELNS_18Fp8KVCacheDataTypeE0ELb1ELi512EEEvPfS2_PT_PKS3_PKT0_S9_ifPKiSB_iPKfiiiSD_SD_iiiii
	.p2align	8
	.type	_ZN4vllm25paged_attention_v2_kernelIttLi112ELi16ELi128ELNS_18Fp8KVCacheDataTypeE0ELb1ELi512EEEvPfS2_PT_PKS3_PKT0_S9_ifPKiSB_iPKfiiiSD_SD_iiiii,@function
_ZN4vllm25paged_attention_v2_kernelIttLi112ELi16ELi128ELNS_18Fp8KVCacheDataTypeE0ELb1ELi512EEEvPfS2_PT_PKS3_PKT0_S9_ifPKiSB_iPKfiiiSD_SD_iiiii: ; @_ZN4vllm25paged_attention_v2_kernelIttLi112ELi16ELi128ELNS_18Fp8KVCacheDataTypeE0ELb1ELi512EEEvPfS2_PT_PKS3_PKT0_S9_ifPKiSB_iPKfiiiSD_SD_iiiii
; %bb.0:
	s_load_dwordx2 s[0:1], s[4:5], 0x40
	s_mov_b32 s26, s7
	s_ashr_i32 s27, s7, 31
	s_lshl_b64 s[2:3], s[26:27], 2
	s_waitcnt lgkmcnt(0)
	s_add_u32 s0, s0, s2
	s_addc_u32 s1, s1, s3
	s_lshl_b32 s38, s8, 9
	s_load_dword s27, s[0:1], 0x0
	s_waitcnt lgkmcnt(0)
	s_cmp_ge_i32 s38, s27
	s_cbranch_scc1 .LBB94_84
; %bb.1:
	s_clause 0x1
	s_load_dword s9, s[4:5], 0x90
	s_load_dwordx2 s[36:37], s[4:5], 0x30
	s_mov_b32 s40, 0
	s_waitcnt lgkmcnt(0)
	s_abs_i32 s3, s9
	s_abs_i32 s0, s36
	v_cvt_f32_u32_e32 v1, s0
	s_sub_i32 s2, 0, s0
	v_rcp_iflag_f32_e32 v1, v1
	v_mul_f32_e32 v1, 0x4f7ffffe, v1
	v_cvt_u32_f32_e32 v1, v1
	v_readfirstlane_b32 s1, v1
	s_mul_i32 s2, s2, s1
	s_mul_hi_u32 s2, s1, s2
	s_add_i32 s1, s1, s2
	s_xor_b32 s2, s9, s36
	s_mul_hi_u32 s1, s3, s1
	s_ashr_i32 s2, s2, 31
	s_mul_i32 s7, s1, s0
	s_sub_i32 s3, s3, s7
	s_add_i32 s7, s1, 1
	s_sub_i32 s10, s3, s0
	s_cmp_ge_u32 s3, s0
	s_cselect_b32 s1, s7, s1
	s_cselect_b32 s3, s10, s3
	s_add_i32 s7, s1, 1
	s_cmp_ge_u32 s3, s0
	s_cselect_b32 s0, s7, s1
	s_xor_b32 s0, s0, s2
	s_sub_i32 s10, s0, s2
	s_load_dwordx2 s[0:1], s[4:5], 0x50
	s_abs_i32 s2, s10
	v_cvt_f32_u32_e32 v1, s2
	s_sub_i32 s3, 0, s2
	v_rcp_iflag_f32_e32 v1, v1
	v_mul_f32_e32 v1, 0x4f7ffffe, v1
	v_cvt_u32_f32_e32 v1, v1
	v_readfirstlane_b32 s7, v1
	s_mul_i32 s3, s3, s7
	s_mul_hi_u32 s11, s7, s3
	s_abs_i32 s3, s6
	s_add_i32 s7, s7, s11
	s_waitcnt lgkmcnt(0)
	s_cmp_eq_u64 s[0:1], 0
	s_mul_hi_u32 s20, s3, s7
	s_cbranch_scc1 .LBB94_3
; %bb.2:
	s_ashr_i32 s7, s6, 31
	s_lshl_b64 s[12:13], s[6:7], 2
	s_add_u32 s0, s0, s12
	s_addc_u32 s1, s1, s13
	s_load_dword s40, s[0:1], 0x0
.LBB94_3:
	s_load_dwordx4 s[12:15], s[4:5], 0x58
	v_lshrrev_b32_e32 v31, 1, v0
	v_and_b32_e32 v32, 1, v0
	v_lshlrev_b32_e32 v35, 3, v0
	s_ashr_i32 s0, s6, 31
	s_ashr_i32 s1, s10, 31
	s_mul_i32 s10, s6, 0x70
	s_mov_b32 s7, exec_lo
	v_cmpx_gt_u32_e32 28, v0
	s_cbranch_execz .LBB94_5
; %bb.4:
	s_load_dwordx2 s[16:17], s[4:5], 0x18
	s_waitcnt lgkmcnt(0)
	s_mul_i32 s18, s12, s26
	v_lshlrev_b32_e32 v3, 3, v31
	s_ashr_i32 s19, s18, 31
	s_lshl_b64 s[18:19], s[18:19], 1
	v_mad_u32_u24 v3, 0x70, v32, v3
	s_add_u32 s12, s16, s18
	s_addc_u32 s15, s17, s19
	s_ashr_i32 s11, s10, 31
	s_lshl_b64 s[16:17], s[10:11], 1
	s_add_u32 s16, s12, s16
	s_addc_u32 s17, s15, s17
	global_load_dwordx2 v[1:2], v35, s[16:17]
	s_waitcnt vmcnt(0)
	ds_write_b64 v3, v[1:2]
.LBB94_5:
	s_or_b32 exec_lo, exec_lo, s7
	s_load_dwordx4 s[16:19], s[4:5], 0x78
	s_mul_i32 s7, s20, s2
	s_xor_b32 s0, s0, s1
	s_sub_i32 s1, s3, s7
	s_add_i32 s3, s20, 1
	s_sub_i32 s7, s1, s2
	s_cmp_ge_u32 s1, s2
                                        ; implicit-def: $sgpr33
	s_cselect_b32 s3, s3, s20
	s_cselect_b32 s1, s7, s1
	s_add_i32 s7, s3, 1
	s_cmp_ge_u32 s1, s2
	s_mov_b32 s20, -1
	s_cselect_b32 s1, s7, s3
	s_load_dword s3, s[4:5], 0x88
	s_xor_b32 s1, s1, s0
	s_add_i32 s7, s27, -1
	s_sub_i32 s1, s1, s0
	s_abs_i32 s2, s7
	s_waitcnt lgkmcnt(0)
	s_abs_i32 s11, s19
	s_barrier
	v_cvt_f32_u32_e32 v1, s11
	s_sub_i32 s0, 0, s11
	buffer_gl0_inv
	v_rcp_iflag_f32_e32 v1, v1
	v_mul_f32_e32 v1, 0x4f7ffffe, v1
	v_cvt_u32_f32_e32 v1, v1
	v_readfirstlane_b32 s12, v1
	s_mul_i32 s0, s0, s12
	s_mul_hi_u32 s0, s12, s0
	s_add_i32 s12, s12, s0
	s_cmp_lt_i32 s3, 0
	s_mul_hi_u32 s0, s2, s12
	s_cbranch_scc0 .LBB94_7
; %bb.6:
	s_mul_i32 s15, s16, s36
	s_mov_b32 s20, 0
	s_add_i32 s15, s1, s15
	s_mul_i32 s15, s15, s3
	s_sub_i32 s33, 1, s15
.LBB94_7:
	s_load_dwordx2 s[28:29], s[4:5], 0x38
	s_ashr_i32 s15, s7, 31
	s_andn2_b32 vcc_lo, exec_lo, s20
	s_ashr_i32 s19, s19, 31
	s_cbranch_vccnz .LBB94_9
; %bb.8:
	s_mul_i32 s7, s9, s16
	s_add_i32 s7, s7, s6
	s_mul_i32 s3, s7, s3
	s_add_i32 s33, s3, 1
.LBB94_9:
	s_clause 0x4
	s_load_dword s3, s[4:5], 0x48
	s_load_dwordx2 s[34:35], s[4:5], 0x28
	s_load_dword s7, s[4:5], 0x98
	s_load_dwordx4 s[20:23], s[4:5], 0x0
	s_load_dwordx2 s[24:25], s[4:5], 0x10
	s_mul_i32 s16, s0, s11
	s_xor_b32 s15, s15, s19
	s_sub_i32 s2, s2, s16
	s_add_i32 s36, s0, 1
	v_lshrrev_b32_e32 v33, 5, v0
	v_mov_b32_e32 v37, 0xff7fffff
	v_mbcnt_lo_u32_b32 v36, -1, 0
	s_mul_i32 s14, s1, s14
	v_lshl_add_u32 v34, v33, 4, s38
	s_waitcnt lgkmcnt(0)
	s_mul_i32 s30, s3, s26
	s_sub_i32 s3, s2, s11
	s_ashr_i32 s31, s30, 31
	s_cmp_ge_u32 s2, s11
	s_cselect_b32 s0, s36, s0
	s_cselect_b32 s2, s3, s2
	s_add_i32 s3, s0, 1
	s_cmp_ge_u32 s2, s11
	s_cselect_b32 s0, s3, s0
	s_add_i32 s2, s27, 15
	s_lshl_b32 s41, s8, 5
	s_ashr_i32 s3, s2, 31
	v_or_b32_e32 v5, s41, v33
	s_lshr_b32 s3, s3, 28
	s_add_i32 s2, s2, s3
	s_add_i32 s3, s41, 32
	s_ashr_i32 s36, s2, 4
	s_xor_b32 s2, s0, s15
	s_min_i32 s16, s3, s36
	v_ashrrev_i32_e32 v6, 31, v5
	v_cmp_gt_i32_e64 s0, s16, v5
	s_sub_i32 s39, s2, s15
	s_and_saveexec_b32 s42, s0
	s_cbranch_execz .LBB94_21
; %bb.10:
	s_load_dwordx2 s[2:3], s[4:5], 0x20
	s_ashr_i32 s15, s14, 31
	s_sub_i32 s4, s39, s17
	s_lshl_b64 s[44:45], s[14:15], 1
	v_bfe_u32 v38, v0, 1, 4
	v_and_b32_e32 v4, 8, v35
	v_mul_u32_u24_e32 v39, 0x70, v32
	v_cmp_neq_f32_e64 s1, s40, 0
	v_lshl_add_u32 v40, v33, 4, s38
	v_lshlrev_b32_e32 v7, 2, v38
	v_subrev_nc_u32_e32 v8, s27, v38
	v_lshlrev_b32_e32 v9, 4, v38
	v_mov_b32_e32 v41, 0xff7fffff
	v_xor_b32_e32 v42, 1, v36
	v_lshl_or_b32 v7, v33, 6, v7
	v_add_nc_u32_e32 v43, 1, v8
	v_mov_b32_e32 v37, 0xff7fffff
	v_mov_b32_e32 v48, v5
	v_cmp_eq_u32_e32 vcc_lo, 0, v32
	v_add_nc_u32_e32 v44, 0x100, v7
	s_waitcnt lgkmcnt(0)
	s_add_u32 s15, s2, s44
	s_addc_u32 s43, s3, s45
	s_abs_i32 s5, s18
	v_add_co_u32 v8, s15, s15, v9
	v_cvt_f32_u32_e32 v1, s5
	s_sub_i32 s2, 0, s5
	v_add_co_ci_u32_e64 v9, null, s43, 0, s15
	s_mov_b32 s15, 0
	v_rcp_iflag_f32_e32 v3, v1
	v_lshlrev_b64 v[1:2], 2, v[5:6]
	s_mov_b32 s43, s13
	v_mul_f32_e32 v3, 0x4f7ffffe, v3
	v_cvt_u32_f32_e32 v3, v3
	v_mul_lo_u32 v7, s2, v3
	s_lshl_b64 s[2:3], s[30:31], 2
	s_add_u32 s2, s28, s2
	s_addc_u32 s3, s29, s3
	v_add_co_u32 v1, s2, s2, v1
	v_add_co_ci_u32_e64 v2, null, s3, v2, s2
	v_mul_hi_u32 v7, v3, v7
	v_add_co_u32 v45, s2, v8, v4
	v_add_co_ci_u32_e64 v46, null, 0, v9, s2
	v_add_nc_u32_e32 v47, v3, v7
	s_branch .LBB94_13
.LBB94_11:                              ;   in Loop: Header=BB94_13 Depth=1
	s_or_b32 exec_lo, exec_lo, s44
.LBB94_12:                              ;   in Loop: Header=BB94_13 Depth=1
	s_or_b32 exec_lo, exec_lo, s3
	v_add_nc_u32_e32 v48, 4, v48
	v_add_co_u32 v1, s3, v1, 16
	v_add_co_ci_u32_e64 v2, null, 0, v2, s3
	v_cmp_le_i32_e64 s2, s16, v48
	v_add_nc_u32_e32 v40, 64, v40
	v_add_nc_u32_e32 v44, 0x100, v44
	s_or_b32 s15, s2, s15
	s_andn2_b32 exec_lo, exec_lo, s15
	s_cbranch_execz .LBB94_20
.LBB94_13:                              ; =>This Inner Loop Header: Depth=1
	v_sub_nc_u32_e32 v3, 0, v40
	v_max_i32_e32 v3, v40, v3
	s_waitcnt lgkmcnt(0)
	v_mul_hi_u32 v4, v3, s12
	v_mul_lo_u32 v7, v4, s11
	v_sub_nc_u32_e32 v3, v3, v7
	v_add_nc_u32_e32 v7, 1, v4
	v_subrev_nc_u32_e32 v8, s11, v3
	v_cmp_le_u32_e64 s2, s11, v3
	v_cndmask_b32_e64 v4, v4, v7, s2
	v_cndmask_b32_e64 v3, v3, v8, s2
	v_ashrrev_i32_e32 v7, 31, v40
	v_add_nc_u32_e32 v8, 1, v4
	v_cmp_le_u32_e64 s2, s11, v3
	v_xor_b32_e32 v7, s19, v7
	v_cndmask_b32_e64 v3, v4, v8, s2
	v_xor_b32_e32 v3, v3, v7
	v_sub_nc_u32_e32 v3, v3, v7
	v_add_nc_u32_e32 v4, s33, v3
	v_cmp_ge_i32_e64 s3, s4, v3
	v_sub_nc_u32_e32 v7, 0, v4
	v_max_i32_e32 v7, v4, v7
	v_ashrrev_i32_e32 v4, 31, v4
	v_mul_hi_u32 v8, v7, v47
	v_mul_lo_u32 v8, v8, s5
	v_sub_nc_u32_e32 v7, v7, v8
	v_subrev_nc_u32_e32 v8, s5, v7
	v_cmp_le_u32_e64 s2, s5, v7
	v_cndmask_b32_e64 v7, v7, v8, s2
	v_subrev_nc_u32_e32 v8, s5, v7
	v_cmp_le_u32_e64 s2, s5, v7
	v_cndmask_b32_e64 v7, v7, v8, s2
	v_xor_b32_e32 v7, v7, v4
	v_sub_nc_u32_e32 v4, v7, v4
	v_cmp_ne_u32_e64 s2, 0, v4
	s_and_b32 s2, s2, s3
	s_and_saveexec_b32 s3, s2
	s_xor_b32 s2, exec_lo, s3
	s_cbranch_execz .LBB94_17
; %bb.14:                               ;   in Loop: Header=BB94_13 Depth=1
	s_and_saveexec_b32 s3, vcc_lo
; %bb.15:                               ;   in Loop: Header=BB94_13 Depth=1
	ds_write_b32 v44, v41
; %bb.16:                               ;   in Loop: Header=BB94_13 Depth=1
	s_or_b32 exec_lo, exec_lo, s3
.LBB94_17:                              ;   in Loop: Header=BB94_13 Depth=1
	s_andn2_saveexec_b32 s3, s2
	s_cbranch_execz .LBB94_12
; %bb.18:                               ;   in Loop: Header=BB94_13 Depth=1
	global_load_dword v3, v[1:2], off
	s_waitcnt vmcnt(0)
	v_mad_i64_i32 v[3:4], null, v3, s43, 0
	v_lshlrev_b64 v[3:4], 1, v[3:4]
	v_add_co_u32 v3, s2, v45, v3
	v_add_co_ci_u32_e64 v4, null, v46, v4, s2
	s_clause 0x7
	global_load_dwordx2 v[29:30], v[3:4], off
	global_load_dwordx2 v[59:60], v[3:4], off offset:256
	global_load_dwordx2 v[27:28], v[3:4], off offset:512
	;; [unrolled: 1-line block ×7, first 2 shown]
	v_add_co_u32 v3, s2, 0x800, v3
	v_add_co_ci_u32_e64 v4, null, 0, v4, s2
	v_cmp_gt_i32_e64 s2, 32, v42
	s_clause 0x1
	global_load_dwordx2 v[15:16], v[3:4], off
	global_load_dwordx2 v[11:12], v[3:4], off offset:256
	ds_read_b64 v[7:8], v39
	s_waitcnt lgkmcnt(0)
	v_and_b32_e32 v49, 0xffff, v7
	v_lshrrev_b32_e32 v50, 16, v7
	v_lshrrev_b32_e32 v54, 16, v8
	v_and_b32_e32 v52, 0xffff, v8
	s_clause 0x3
	global_load_dwordx2 v[13:14], v[3:4], off offset:512
	global_load_dwordx2 v[9:10], v[3:4], off offset:768
	;; [unrolled: 1-line block ×4, first 2 shown]
	;;#ASMSTART
	v_cvt_f32_f16 v55, v49;
	;;#ASMEND
	;;#ASMSTART
	v_cvt_f32_f16 v51, v50;
	;;#ASMEND
	s_waitcnt vmcnt(13)
	v_and_b32_e32 v49, 0xffff, v29
	v_lshrrev_b32_e32 v29, 16, v29
	v_lshrrev_b32_e32 v50, 16, v30
	v_and_b32_e32 v30, 0xffff, v30
	;;#ASMSTART
	v_cvt_f32_f16 v56, v49;
	;;#ASMEND
	;;#ASMSTART
	v_cvt_f32_f16 v53, v29;
	;;#ASMEND
	;; [unrolled: 3-line block ×6, first 2 shown]
	ds_read_b64 v[29:30], v39 offset:8
	s_waitcnt vmcnt(12)
	v_lshrrev_b32_e32 v57, 16, v59
	v_and_b32_e32 v59, 0xffff, v59
	v_lshrrev_b32_e32 v62, 16, v60
	v_and_b32_e32 v61, 0xffff, v60
	s_waitcnt vmcnt(11)
	v_lshrrev_b32_e32 v66, 16, v27
	v_and_b32_e32 v27, 0xffff, v27
	v_lshrrev_b32_e32 v70, 16, v28
	v_and_b32_e32 v28, 0xffff, v28
	;; [unrolled: 5-line block ×4, first 2 shown]
	s_waitcnt vmcnt(8)
	v_lshrrev_b32_e32 v83, 16, v21
	s_waitcnt vmcnt(7)
	v_lshrrev_b32_e32 v87, 16, v19
	v_and_b32_e32 v88, 0xffff, v19
	s_waitcnt lgkmcnt(0)
	v_and_b32_e32 v58, 0xffff, v29
	v_lshrrev_b32_e32 v29, 16, v29
	v_and_b32_e32 v60, 0xffff, v30
	v_lshrrev_b32_e32 v63, 16, v30
	;;#ASMSTART
	v_cvt_f32_f16 v58, v58;
	;;#ASMEND
	;;#ASMSTART
	v_cvt_f32_f16 v30, v29;
	;;#ASMEND
	;; [unrolled: 3-line block ×8, first 2 shown]
	ds_read_b64 v[63:64], v39 offset:16
	s_waitcnt vmcnt(6)
	v_lshrrev_b32_e32 v91, 16, v17
	v_and_b32_e32 v92, 0xffff, v17
	v_lshrrev_b32_e32 v93, 16, v18
	v_and_b32_e32 v94, 0xffff, v18
	v_mul_f32_e32 v19, v58, v59
	v_and_b32_e32 v84, 0xffff, v21
	v_lshrrev_b32_e32 v85, 16, v22
	v_and_b32_e32 v86, 0xffff, v22
	v_lshrrev_b32_e32 v89, 16, v20
	v_and_b32_e32 v90, 0xffff, v20
	v_mul_f32_e32 v30, v30, v57
	v_mul_f32_e32 v57, v60, v61
	v_fmac_f32_e32 v19, v55, v56
	v_mul_f32_e32 v29, v29, v62
	s_waitcnt vmcnt(5)
	v_lshrrev_b32_e32 v62, 16, v15
	v_fmac_f32_e32 v30, v51, v53
	v_fmac_f32_e32 v57, v52, v54
	v_and_b32_e32 v15, 0xffff, v15
	v_fmac_f32_e32 v29, v49, v50
	s_waitcnt lgkmcnt(0)
	v_and_b32_e32 v65, 0xffff, v63
	v_lshrrev_b32_e32 v67, 16, v63
	v_and_b32_e32 v68, 0xffff, v64
	v_lshrrev_b32_e32 v69, 16, v64
	;;#ASMSTART
	v_cvt_f32_f16 v63, v65;
	;;#ASMEND
	;;#ASMSTART
	v_cvt_f32_f16 v64, v67;
	;;#ASMEND
	;; [unrolled: 3-line block ×8, first 2 shown]
	ds_read_b64 v[27:28], v39 offset:24
	v_fmac_f32_e32 v19, v63, v65
	v_fmac_f32_e32 v30, v64, v66
	s_waitcnt vmcnt(4)
	v_lshrrev_b32_e32 v66, 16, v11
	v_fmac_f32_e32 v57, v67, v69
	v_and_b32_e32 v11, 0xffff, v11
	v_fmac_f32_e32 v29, v68, v70
	s_waitcnt lgkmcnt(0)
	v_and_b32_e32 v71, 0xffff, v27
	v_lshrrev_b32_e32 v73, 16, v27
	v_and_b32_e32 v74, 0xffff, v28
	v_lshrrev_b32_e32 v75, 16, v28
	;;#ASMSTART
	v_cvt_f32_f16 v27, v71;
	;;#ASMEND
	;;#ASMSTART
	v_cvt_f32_f16 v28, v73;
	;;#ASMEND
	;; [unrolled: 3-line block ×8, first 2 shown]
	ds_read_b64 v[25:26], v39 offset:32
	v_fmac_f32_e32 v19, v27, v71
	s_waitcnt vmcnt(3)
	v_lshrrev_b32_e32 v71, 16, v13
	v_fmac_f32_e32 v30, v28, v72
	v_and_b32_e32 v28, 0xffff, v13
	v_fmac_f32_e32 v57, v73, v75
	v_fmac_f32_e32 v29, v74, v76
	s_waitcnt vmcnt(2)
	v_lshrrev_b32_e32 v76, 16, v9
	v_and_b32_e32 v9, 0xffff, v9
	s_waitcnt lgkmcnt(0)
	v_and_b32_e32 v77, 0xffff, v25
	v_lshrrev_b32_e32 v79, 16, v25
	v_lshrrev_b32_e32 v80, 16, v26
	v_and_b32_e32 v81, 0xffff, v26
	;;#ASMSTART
	v_cvt_f32_f16 v25, v77;
	;;#ASMEND
	;;#ASMSTART
	v_cvt_f32_f16 v26, v79;
	;;#ASMEND
	;; [unrolled: 3-line block ×8, first 2 shown]
	ds_read_b64 v[23:24], v39 offset:40
	v_fmac_f32_e32 v19, v25, v77
	v_fmac_f32_e32 v30, v26, v78
	;; [unrolled: 1-line block ×4, first 2 shown]
	s_waitcnt lgkmcnt(0)
	v_and_b32_e32 v17, 0xffff, v23
	v_lshrrev_b32_e32 v18, 16, v23
	v_lshrrev_b32_e32 v58, 16, v24
	v_and_b32_e32 v24, 0xffff, v24
	;;#ASMSTART
	v_cvt_f32_f16 v20, v17;
	;;#ASMEND
	;;#ASMSTART
	v_cvt_f32_f16 v21, v18;
	;;#ASMEND
	;; [unrolled: 3-line block ×8, first 2 shown]
	ds_read_b64 v[17:18], v39 offset:48
	v_fmac_f32_e32 v19, v20, v22
	v_fmac_f32_e32 v30, v21, v23
	;; [unrolled: 1-line block ×4, first 2 shown]
	s_waitcnt vmcnt(1)
	v_lshrrev_b32_e32 v23, 16, v8
	v_and_b32_e32 v8, 0xffff, v8
	s_waitcnt vmcnt(0)
	v_lshrrev_b32_e32 v24, 16, v3
	s_waitcnt lgkmcnt(0)
	v_and_b32_e32 v60, 0xffff, v17
	v_lshrrev_b32_e32 v17, 16, v17
	v_lshrrev_b32_e32 v85, 16, v18
	v_and_b32_e32 v18, 0xffff, v18
	;;#ASMSTART
	v_cvt_f32_f16 v55, v60;
	;;#ASMEND
	;;#ASMSTART
	v_cvt_f32_f16 v56, v17;
	;;#ASMEND
	;; [unrolled: 3-line block ×8, first 2 shown]
	ds_read_b64 v[17:18], v39 offset:56
	v_fmac_f32_e32 v19, v55, v60
	v_fmac_f32_e32 v30, v56, v61
	;; [unrolled: 1-line block ×4, first 2 shown]
	s_waitcnt lgkmcnt(0)
	v_and_b32_e32 v51, 0xffff, v17
	v_lshrrev_b32_e32 v17, 16, v17
	v_lshrrev_b32_e32 v89, 16, v18
	v_and_b32_e32 v18, 0xffff, v18
	;;#ASMSTART
	v_cvt_f32_f16 v51, v51;
	;;#ASMEND
	;;#ASMSTART
	v_cvt_f32_f16 v52, v17;
	;;#ASMEND
	;; [unrolled: 3-line block ×8, first 2 shown]
	ds_read_b64 v[17:18], v39 offset:64
	v_lshrrev_b32_e32 v92, 16, v16
	v_and_b32_e32 v16, 0xffff, v16
	v_and_b32_e32 v93, 0xffff, v14
	v_fmac_f32_e32 v19, v51, v53
	v_fmac_f32_e32 v30, v52, v54
	;; [unrolled: 1-line block ×4, first 2 shown]
	s_waitcnt lgkmcnt(0)
	v_and_b32_e32 v49, 0xffff, v17
	v_lshrrev_b32_e32 v50, 16, v17
	v_lshrrev_b32_e32 v63, 16, v18
	v_and_b32_e32 v64, 0xffff, v18
	;;#ASMSTART
	v_cvt_f32_f16 v17, v49;
	;;#ASMEND
	;;#ASMSTART
	v_cvt_f32_f16 v18, v50;
	;;#ASMEND
	;;#ASMSTART
	v_cvt_f32_f16 v49, v15;
	;;#ASMEND
	;;#ASMSTART
	v_cvt_f32_f16 v50, v62;
	;;#ASMEND
	;;#ASMSTART
	v_cvt_f32_f16 v62, v64;
	;;#ASMEND
	;;#ASMSTART
	v_cvt_f32_f16 v63, v63;
	;;#ASMEND
	;;#ASMSTART
	v_cvt_f32_f16 v64, v16;
	;;#ASMEND
	;;#ASMSTART
	v_cvt_f32_f16 v65, v92;
	;;#ASMEND
	ds_read_b64 v[15:16], v39 offset:72
	v_lshrrev_b32_e32 v92, 16, v12
	v_and_b32_e32 v12, 0xffff, v12
	v_fmac_f32_e32 v19, v17, v49
	v_fmac_f32_e32 v30, v18, v50
	;; [unrolled: 1-line block ×4, first 2 shown]
	s_waitcnt lgkmcnt(0)
	v_and_b32_e32 v67, 0xffff, v15
	v_lshrrev_b32_e32 v68, 16, v15
	v_lshrrev_b32_e32 v69, 16, v16
	v_and_b32_e32 v70, 0xffff, v16
	;;#ASMSTART
	v_cvt_f32_f16 v15, v67;
	;;#ASMEND
	;;#ASMSTART
	v_cvt_f32_f16 v16, v68;
	;;#ASMEND
	;; [unrolled: 3-line block ×8, first 2 shown]
	ds_read_b64 v[11:12], v39 offset:80
	v_lshrrev_b32_e32 v92, 16, v14
	v_fmac_f32_e32 v19, v15, v27
	v_fmac_f32_e32 v30, v16, v66
	;; [unrolled: 1-line block ×4, first 2 shown]
	v_and_b32_e32 v15, 0xffff, v3
	s_waitcnt lgkmcnt(0)
	v_and_b32_e32 v13, 0xffff, v11
	v_lshrrev_b32_e32 v11, 16, v11
	v_lshrrev_b32_e32 v73, 16, v12
	v_and_b32_e32 v12, 0xffff, v12
	;;#ASMSTART
	v_cvt_f32_f16 v13, v13;
	;;#ASMEND
	;;#ASMSTART
	v_cvt_f32_f16 v14, v11;
	;;#ASMEND
	;; [unrolled: 3-line block ×8, first 2 shown]
	ds_read_b64 v[11:12], v39 offset:88
	v_lshrrev_b32_e32 v92, 16, v10
	v_and_b32_e32 v10, 0xffff, v10
	v_lshrrev_b32_e32 v93, 16, v7
	v_and_b32_e32 v7, 0xffff, v7
	v_fmac_f32_e32 v19, v13, v28
	v_fmac_f32_e32 v30, v14, v71
	;; [unrolled: 1-line block ×4, first 2 shown]
	v_lshrrev_b32_e32 v13, 16, v4
	s_waitcnt lgkmcnt(0)
	v_and_b32_e32 v25, 0xffff, v11
	v_lshrrev_b32_e32 v26, 16, v11
	v_lshrrev_b32_e32 v77, 16, v12
	v_and_b32_e32 v78, 0xffff, v12
	;;#ASMSTART
	v_cvt_f32_f16 v11, v25;
	;;#ASMEND
	;;#ASMSTART
	v_cvt_f32_f16 v12, v26;
	;;#ASMEND
	;; [unrolled: 3-line block ×8, first 2 shown]
	ds_read_b64 v[9:10], v39 offset:96
	v_fmac_f32_e32 v19, v11, v25
	v_fmac_f32_e32 v30, v12, v26
	;; [unrolled: 1-line block ×3, first 2 shown]
	v_and_b32_e32 v11, 0xffff, v4
	v_fmac_f32_e32 v29, v77, v79
	s_waitcnt lgkmcnt(0)
	v_and_b32_e32 v17, 0xffff, v9
	v_lshrrev_b32_e32 v18, 16, v9
	v_lshrrev_b32_e32 v21, 16, v10
	v_and_b32_e32 v20, 0xffff, v10
	;;#ASMSTART
	v_cvt_f32_f16 v9, v17;
	;;#ASMEND
	;;#ASMSTART
	v_cvt_f32_f16 v10, v18;
	;;#ASMEND
	;; [unrolled: 3-line block ×8, first 2 shown]
	ds_read_b64 v[7:8], v39 offset:104
	v_fmac_f32_e32 v19, v9, v17
	v_fmac_f32_e32 v30, v10, v18
	v_fmac_f32_e32 v57, v20, v22
	v_fmac_f32_e32 v29, v21, v23
	s_waitcnt lgkmcnt(0)
	v_and_b32_e32 v3, 0xffff, v7
	v_lshrrev_b32_e32 v4, 16, v7
	v_lshrrev_b32_e32 v9, 16, v8
	v_and_b32_e32 v10, 0xffff, v8
	;;#ASMSTART
	v_cvt_f32_f16 v3, v3;
	;;#ASMEND
	;;#ASMSTART
	v_cvt_f32_f16 v4, v4;
	;;#ASMEND
	;; [unrolled: 3-line block ×4, first 2 shown]
	v_fmac_f32_e32 v19, v3, v7
	v_fmac_f32_e32 v30, v4, v8
	;;#ASMSTART
	v_cvt_f32_f16 v3, v10;
	;;#ASMEND
	;;#ASMSTART
	v_cvt_f32_f16 v4, v9;
	;;#ASMEND
	;; [unrolled: 3-line block ×3, first 2 shown]
	v_fmac_f32_e32 v57, v3, v7
	v_add_f32_e32 v3, v19, v30
	;;#ASMSTART
	v_cvt_f32_f16 v7, v13;
	;;#ASMEND
	v_fmac_f32_e32 v29, v4, v7
	v_cndmask_b32_e64 v4, v36, v42, s2
	v_add_f32_e32 v3, v3, v57
	v_lshlrev_b32_e32 v4, 2, v4
	v_add_f32_e32 v3, v29, v3
	ds_bpermute_b32 v4, v4, v3
	s_and_saveexec_b32 s44, vcc_lo
	s_cbranch_execz .LBB94_11
; %bb.19:                               ;   in Loop: Header=BB94_13 Depth=1
	v_add_nc_u32_e32 v7, v43, v40
	s_waitcnt lgkmcnt(0)
	v_add_f32_e32 v3, v3, v4
	v_cvt_f32_i32_e32 v7, v7
	v_mul_f32_e32 v7, s40, v7
	v_cndmask_b32_e64 v4, 0, v7, s1
	v_max_f32_e32 v7, v37, v37
	v_fmac_f32_e32 v4, s37, v3
	v_add_nc_u32_e32 v3, v38, v40
	v_max_f32_e32 v7, v7, v4
	v_cmp_gt_i32_e64 s2, s27, v3
	v_cndmask_b32_e64 v3, 0, v4, s2
	v_cndmask_b32_e64 v37, v37, v7, s2
	ds_write_b32 v44, v3
	s_branch .LBB94_11
.LBB94_20:
	s_or_b32 exec_lo, exec_lo, s15
.LBB94_21:
	s_or_b32 exec_lo, exec_lo, s42
	v_xor_b32_e32 v1, 16, v36
	v_xor_b32_e32 v2, 8, v36
	s_waitcnt lgkmcnt(0)
	v_max_f32_e32 v4, v37, v37
	v_and_b32_e32 v10, 31, v0
	v_lshlrev_b32_e32 v9, 2, v33
	v_cmp_gt_i32_e32 vcc_lo, 32, v1
	v_cndmask_b32_e32 v1, v36, v1, vcc_lo
	v_cmp_gt_i32_e32 vcc_lo, 32, v2
	v_lshlrev_b32_e32 v3, 2, v1
	v_cndmask_b32_e32 v2, v36, v2, vcc_lo
	ds_bpermute_b32 v1, v3, v37
	v_lshlrev_b32_e32 v7, 2, v2
	s_waitcnt lgkmcnt(0)
	v_max_f32_e32 v1, v1, v1
	v_max_f32_e32 v1, v4, v1
	v_xor_b32_e32 v4, 4, v36
	ds_bpermute_b32 v2, v7, v1
	v_cmp_gt_i32_e32 vcc_lo, 32, v4
	v_cndmask_b32_e32 v4, v36, v4, vcc_lo
	v_lshlrev_b32_e32 v8, 2, v4
	v_xor_b32_e32 v4, 2, v36
	v_cmp_gt_i32_e32 vcc_lo, 32, v4
	s_waitcnt lgkmcnt(0)
	v_max_f32_e32 v2, v2, v2
	v_cndmask_b32_e32 v4, v36, v4, vcc_lo
	v_cmp_eq_u32_e32 vcc_lo, 0, v10
	v_max_f32_e32 v1, v1, v2
	ds_bpermute_b32 v2, v8, v1
	s_waitcnt lgkmcnt(0)
	v_max_f32_e32 v2, v2, v2
	v_max_f32_e32 v1, v1, v2
	v_lshlrev_b32_e32 v2, 2, v4
	ds_bpermute_b32 v4, v2, v1
	s_and_saveexec_b32 s1, vcc_lo
	s_cbranch_execz .LBB94_23
; %bb.22:
	s_waitcnt lgkmcnt(0)
	v_max_f32_e32 v4, v4, v4
	v_max_f32_e32 v1, v1, v1
	;; [unrolled: 1-line block ×3, first 2 shown]
	ds_write_b32 v9, v1 offset:224
.LBB94_23:
	s_or_b32 exec_lo, exec_lo, s1
	v_cmp_gt_u32_e64 s1, 4, v10
	v_mov_b32_e32 v1, 0xff7fffff
	v_lshlrev_b32_e32 v12, 2, v10
	s_waitcnt lgkmcnt(0)
	s_barrier
	buffer_gl0_inv
	s_and_saveexec_b32 s2, s1
; %bb.24:
	ds_read_b32 v1, v12 offset:224
; %bb.25:
	s_or_b32 exec_lo, exec_lo, s2
	s_waitcnt lgkmcnt(0)
	ds_bpermute_b32 v4, v2, v1
	v_xor_b32_e32 v11, 1, v36
	v_max_f32_e32 v1, v1, v1
	v_mov_b32_e32 v13, 0
	v_cmp_gt_i32_e64 s2, 32, v11
	v_cndmask_b32_e64 v11, v36, v11, s2
	s_sub_i32 s2, s16, s41
	s_lshl_b32 s2, s2, 4
	v_lshlrev_b32_e32 v11, 2, v11
	s_add_i32 s2, s2, s38
	s_min_i32 s2, s2, s27
	s_waitcnt lgkmcnt(0)
	v_max_f32_e32 v4, v4, v4
	s_sub_i32 s4, s2, s38
	v_cmp_gt_i32_e64 s2, s4, v0
	v_max_f32_e32 v1, v1, v4
	ds_bpermute_b32 v4, v11, v1
	s_waitcnt lgkmcnt(0)
	v_max_f32_e32 v4, v4, v4
	v_max_f32_e32 v1, v1, v4
	v_lshl_add_u32 v4, v0, 2, 0x100
	ds_bpermute_b32 v1, v13, v1
	s_and_saveexec_b32 s5, s2
	s_cbranch_execz .LBB94_29
; %bb.26:
	v_lshl_add_u32 v14, v0, 2, 0x100
	v_mov_b32_e32 v13, 0
	v_mov_b32_e32 v15, v0
	s_mov_b32 s15, 0
	.p2align	6
.LBB94_27:                              ; =>This Inner Loop Header: Depth=1
	ds_read_b32 v16, v14
	v_add_nc_u32_e32 v15, 0x80, v15
	v_cmp_le_i32_e64 s3, s4, v15
	s_or_b32 s15, s3, s15
	s_waitcnt lgkmcnt(0)
	v_sub_f32_e32 v16, v16, v1
	v_mul_f32_e32 v16, 0x3fb8aa3b, v16
	v_exp_f32_e32 v16, v16
	ds_write_b32 v14, v16
	v_add_f32_e32 v13, v13, v16
	v_add_nc_u32_e32 v14, 0x200, v14
	s_andn2_b32 exec_lo, exec_lo, s15
	s_cbranch_execnz .LBB94_27
; %bb.28:
	s_or_b32 exec_lo, exec_lo, s15
.LBB94_29:
	s_or_b32 exec_lo, exec_lo, s5
	ds_bpermute_b32 v3, v3, v13
	s_waitcnt lgkmcnt(0)
	v_add_f32_e32 v3, v13, v3
	ds_bpermute_b32 v7, v7, v3
	s_waitcnt lgkmcnt(0)
	v_add_f32_e32 v3, v3, v7
	ds_bpermute_b32 v7, v8, v3
	s_waitcnt lgkmcnt(0)
	v_add_f32_e32 v3, v3, v7
	ds_bpermute_b32 v7, v2, v3
	s_waitcnt lgkmcnt(0)
	v_add_f32_e32 v3, v3, v7
	ds_bpermute_b32 v7, v11, v3
	s_waitcnt lgkmcnt(0)
	v_add_f32_e32 v3, v3, v7
	s_and_saveexec_b32 s3, vcc_lo
; %bb.30:
	ds_write_b32 v9, v3 offset:240
; %bb.31:
	s_or_b32 exec_lo, exec_lo, s3
	s_waitcnt lgkmcnt(0)
	s_barrier
	buffer_gl0_inv
	s_and_saveexec_b32 s3, s1
; %bb.32:
	ds_read_b32 v3, v12 offset:240
; %bb.33:
	s_or_b32 exec_lo, exec_lo, s3
	s_waitcnt lgkmcnt(0)
	ds_bpermute_b32 v2, v2, v3
	s_waitcnt lgkmcnt(0)
	v_add_f32_e32 v2, v3, v2
	ds_bpermute_b32 v3, v11, v2
	s_waitcnt lgkmcnt(0)
	v_add_f32_e32 v2, v2, v3
	v_mov_b32_e32 v3, 0
	ds_bpermute_b32 v2, v3, v2
	s_and_saveexec_b32 s1, s2
	s_cbranch_execz .LBB94_36
; %bb.34:
	s_waitcnt lgkmcnt(0)
	v_add_f32_e32 v3, 0x358637bd, v2
	s_mov_b32 s2, 0
	v_div_scale_f32 v7, null, v3, v3, 1.0
	v_div_scale_f32 v12, vcc_lo, 1.0, v3, 1.0
	v_rcp_f32_e32 v8, v7
	v_fma_f32 v9, -v7, v8, 1.0
	v_fmac_f32_e32 v8, v9, v8
	v_mul_f32_e32 v9, v12, v8
	v_fma_f32 v13, -v7, v9, v12
	v_fmac_f32_e32 v9, v13, v8
	v_fma_f32 v7, -v7, v9, v12
	v_div_fmas_f32 v7, v7, v8, v9
	v_div_fixup_f32 v3, v7, v3, 1.0
	v_mov_b32_e32 v7, v0
.LBB94_35:                              ; =>This Inner Loop Header: Depth=1
	ds_read_b32 v8, v4
	v_add_nc_u32_e32 v7, 0x80, v7
	v_cmp_le_i32_e32 vcc_lo, s4, v7
	s_or_b32 s2, vcc_lo, s2
	s_waitcnt lgkmcnt(0)
	v_mul_f32_e32 v8, v3, v8
	ds_write_b32 v4, v8
	v_add_nc_u32_e32 v4, 0x200, v4
	s_andn2_b32 exec_lo, exec_lo, s2
	s_cbranch_execnz .LBB94_35
.LBB94_36:
	s_or_b32 exec_lo, exec_lo, s1
	s_mul_i32 s1, s7, s26
	s_waitcnt lgkmcnt(0)
	s_mul_i32 s2, s1, s9
	s_mov_b32 s1, exec_lo
	s_barrier
	buffer_gl0_inv
	v_cmpx_eq_u32_e32 0, v0
	s_cbranch_execz .LBB94_38
; %bb.37:
	s_ashr_i32 s3, s2, 31
	s_mul_i32 s40, s7, s6
	s_lshl_b64 s[4:5], s[2:3], 2
	v_mov_b32_e32 v3, 0
	s_add_u32 s3, s22, s4
	s_addc_u32 s6, s23, s5
	s_ashr_i32 s41, s40, 31
	s_lshl_b64 s[22:23], s[40:41], 2
	s_add_u32 s3, s3, s22
	s_addc_u32 s6, s6, s23
	s_ashr_i32 s9, s8, 31
	s_lshl_b64 s[40:41], s[8:9], 2
	s_add_u32 s42, s3, s40
	s_addc_u32 s43, s6, s41
	s_add_u32 s3, s20, s4
	s_addc_u32 s4, s21, s5
	s_add_u32 s3, s3, s22
	s_addc_u32 s5, s4, s23
	s_add_u32 s4, s3, s40
	s_addc_u32 s5, s5, s41
	global_store_dword v3, v1, s[42:43]
	global_store_dword v3, v2, s[4:5]
.LBB94_38:
	s_or_b32 exec_lo, exec_lo, s1
	v_mov_b32_e32 v18, 0
	v_mov_b32_e32 v17, 0
	;; [unrolled: 1-line block ×7, first 2 shown]
	s_and_saveexec_b32 s3, s0
	s_cbranch_execz .LBB94_58
; %bb.39:
	s_ashr_i32 s15, s14, 31
	s_sub_i32 s4, s39, s17
	s_lshl_b64 s[0:1], s[14:15], 1
	v_lshlrev_b32_e32 v3, 4, v0
	s_add_u32 s6, s34, s0
	s_addc_u32 s9, s35, s1
	s_abs_i32 s5, s18
	s_add_i32 s36, s36, -1
	v_cvt_f32_u32_e32 v1, s5
	s_sub_i32 s0, 0, s5
	v_and_b32_e32 v3, 0x1f0, v3
	v_and_b32_e32 v19, 8, v35
	v_mov_b32_e32 v20, 0
	v_rcp_iflag_f32_e32 v1, v1
	v_mov_b32_e32 v12, 0
	v_add_co_u32 v21, s6, s6, v3
	v_mov_b32_e32 v13, 0
	v_mov_b32_e32 v14, 0
	;; [unrolled: 1-line block ×5, first 2 shown]
	v_add_co_ci_u32_e64 v22, null, s9, 0, s6
	v_mul_f32_e32 v4, 0x4f7ffffe, v1
	v_lshlrev_b64 v[1:2], 2, v[5:6]
	v_lshlrev_b32_e32 v6, 5, v32
	v_mov_b32_e32 v18, 0
	s_mov_b32 s9, s13
	v_cvt_u32_f32_e32 v4, v4
	s_mov_b32 s6, 0
	v_lshl_or_b32 v6, v33, 6, v6
	v_mul_lo_u32 v7, s0, v4
	s_lshl_b64 s[0:1], s[30:31], 2
	v_add_nc_u32_e32 v23, 0x100, v6
	s_add_u32 s0, s28, s0
	s_addc_u32 s1, s29, s1
	v_add_co_u32 v6, vcc_lo, s0, v1
	v_mul_hi_u32 v8, v4, v7
	v_add_co_ci_u32_e64 v7, null, s1, v2, vcc_lo
	v_add_nc_u32_e32 v24, v4, v8
	s_branch .LBB94_42
.LBB94_40:                              ;   in Loop: Header=BB94_42 Depth=1
	s_or_b32 exec_lo, exec_lo, s1
	v_lshlrev_b32_e32 v26, 16, v51
	v_lshlrev_b32_e32 v9, 16, v9
	;; [unrolled: 1-line block ×3, first 2 shown]
	v_add_f32_e32 v25, v52, v53
	v_add_f32_e32 v27, v49, v50
	v_and_or_b32 v1, 0xffff, v1, v26
	v_and_or_b32 v2, 0xffff, v2, v9
	;; [unrolled: 1-line block ×3, first 2 shown]
	;;#ASMSTART
	v_pk_mul_f16 v1, v38, v1;

	;;#ASMEND
	;;#ASMSTART
	v_pk_mul_f16 v2, v37, v2;

	;;#ASMEND
	;; [unrolled: 4-line block ×4, first 2 shown]
	;;#ASMSTART
	v_pk_add_f16 v1, v1, v2;

	;;#ASMEND
	;;#ASMSTART
	v_pk_add_f16 v1, v1, v3;

	;;#ASMEND
	;; [unrolled: 4-line block ×3, first 2 shown]
	v_and_b32_e32 v4, 0xffff, v1
	v_lshrrev_b32_e32 v9, 16, v1
	;;#ASMSTART
	v_cvt_f32_f16 v4, v4;
	;;#ASMEND
	v_add_f32_e32 v8, v47, v48
	v_add_f32_e32 v1, v45, v46
	;; [unrolled: 1-line block ×4, first 2 shown]
	;;#ASMSTART
	v_cvt_f32_f16 v9, v9;
	;;#ASMEND
	v_add_f32_e32 v4, v4, v9
	v_add_f32_e32 v13, v13, v25
	;; [unrolled: 1-line block ×8, first 2 shown]
.LBB94_41:                              ;   in Loop: Header=BB94_42 Depth=1
	s_or_b32 exec_lo, exec_lo, s13
	v_add_nc_u32_e32 v5, 4, v5
	v_add_co_u32 v6, s0, v6, 16
	v_add_co_ci_u32_e64 v7, null, 0, v7, s0
	v_cmp_le_i32_e32 vcc_lo, s16, v5
	v_add_nc_u32_e32 v34, 64, v34
	v_add_nc_u32_e32 v23, 0x100, v23
	s_or_b32 s6, vcc_lo, s6
	s_andn2_b32 exec_lo, exec_lo, s6
	s_cbranch_execz .LBB94_57
.LBB94_42:                              ; =>This Inner Loop Header: Depth=1
	v_sub_nc_u32_e32 v1, 0, v34
	v_max_i32_e32 v1, v34, v1
	v_mul_hi_u32 v2, v1, s12
	v_mul_lo_u32 v3, v2, s11
	v_sub_nc_u32_e32 v1, v1, v3
	v_add_nc_u32_e32 v3, 1, v2
	v_subrev_nc_u32_e32 v4, s11, v1
	v_cmp_le_u32_e32 vcc_lo, s11, v1
	v_cndmask_b32_e32 v2, v2, v3, vcc_lo
	v_cndmask_b32_e32 v1, v1, v4, vcc_lo
	v_ashrrev_i32_e32 v3, 31, v34
	v_add_nc_u32_e32 v4, 1, v2
	v_cmp_le_u32_e32 vcc_lo, s11, v1
	v_xor_b32_e32 v3, s19, v3
	v_cndmask_b32_e32 v1, v2, v4, vcc_lo
	v_xor_b32_e32 v1, v1, v3
	v_sub_nc_u32_e32 v1, v1, v3
	v_add_nc_u32_e32 v2, s33, v1
	v_cmp_lt_i32_e64 s0, s4, v1
	v_sub_nc_u32_e32 v3, 0, v2
	v_max_i32_e32 v3, v2, v3
	v_ashrrev_i32_e32 v2, 31, v2
	v_mul_hi_u32 v4, v3, v24
	v_mul_lo_u32 v4, v4, s5
	v_sub_nc_u32_e32 v3, v3, v4
	v_subrev_nc_u32_e32 v4, s5, v3
	v_cmp_le_u32_e32 vcc_lo, s5, v3
	v_cndmask_b32_e32 v3, v3, v4, vcc_lo
	v_subrev_nc_u32_e32 v4, s5, v3
	v_cmp_le_u32_e32 vcc_lo, s5, v3
	v_cndmask_b32_e32 v3, v3, v4, vcc_lo
	v_xor_b32_e32 v3, v3, v2
	v_sub_nc_u32_e32 v2, v3, v2
	v_cmp_eq_u32_e32 vcc_lo, 0, v2
	s_or_b32 s0, vcc_lo, s0
	s_and_saveexec_b32 s13, s0
	s_cbranch_execz .LBB94_41
; %bb.43:                               ;   in Loop: Header=BB94_42 Depth=1
	global_load_dword v8, v[6:7], off
	ds_read2_b64 v[1:4], v23 offset1:1
	ds_read2_b64 v[25:28], v23 offset0:2 offset1:3
	v_add_nc_u32_e32 v30, v19, v34
	v_cmp_eq_u32_e64 s0, s36, v5
	s_waitcnt lgkmcnt(1)
	;;#ASMSTART
	v_cvt_f16_f32 v38, v1;

	;;#ASMEND
	;;#ASMSTART
	v_cvt_f16_f32 v37, v2;

	;;#ASMEND
	;; [unrolled: 4-line block ×4, first 2 shown]
	s_waitcnt lgkmcnt(0)
	;;#ASMSTART
	v_cvt_f16_f32 v44, v25;

	;;#ASMEND
	;;#ASMSTART
	v_cvt_f16_f32 v40, v26;

	;;#ASMEND
	;; [unrolled: 4-line block ×4, first 2 shown]
	v_add_nc_u32_e32 v36, 1, v30
	v_add_nc_u32_e32 v29, 2, v30
	;; [unrolled: 1-line block ×7, first 2 shown]
	s_waitcnt vmcnt(0)
	v_mad_i64_i32 v[8:9], null, v8, s9, 0
	v_lshlrev_b64 v[8:9], 1, v[8:9]
	v_add_co_u32 v8, vcc_lo, v21, v8
	v_add_co_ci_u32_e64 v9, null, v22, v9, vcc_lo
	global_load_dwordx4 v[1:4], v[8:9], off
	s_waitcnt vmcnt(0)
	v_lshrrev_b32_e32 v47, 16, v1
	v_lshrrev_b32_e32 v46, 16, v2
	;; [unrolled: 1-line block ×3, first 2 shown]
	s_and_saveexec_b32 s14, s0
	s_cbranch_execz .LBB94_45
; %bb.44:                               ;   in Loop: Header=BB94_42 Depth=1
	v_cmp_gt_i32_e32 vcc_lo, s27, v30
	v_and_b32_e32 v48, 0xffff0000, v4
	v_cmp_gt_i32_e64 s1, s27, v29
	v_cndmask_b32_e32 v1, 0, v1, vcc_lo
	v_cmp_gt_i32_e32 vcc_lo, s27, v36
	v_cndmask_b32_e64 v2, 0, v2, s1
	v_cmp_gt_i32_e64 s1, s27, v28
	v_cndmask_b32_e32 v47, 0, v47, vcc_lo
	v_cmp_gt_i32_e32 vcc_lo, s27, v35
	v_cndmask_b32_e64 v46, 0, v46, s1
	v_cndmask_b32_sdwa v4, v20, v4, vcc_lo dst_sel:DWORD dst_unused:UNUSED_PAD src0_sel:DWORD src1_sel:WORD_0
	v_cmp_gt_i32_e32 vcc_lo, s27, v27
	v_cndmask_b32_e32 v48, 0, v48, vcc_lo
	v_cmp_gt_i32_e32 vcc_lo, s27, v26
	v_or_b32_e32 v4, v4, v48
	v_cndmask_b32_e32 v3, 0, v3, vcc_lo
	v_cmp_gt_i32_e32 vcc_lo, s27, v25
	v_cndmask_b32_e32 v45, 0, v45, vcc_lo
.LBB94_45:                              ;   in Loop: Header=BB94_42 Depth=1
	s_or_b32 exec_lo, exec_lo, s14
	v_and_b32_e32 v38, 0xffff, v38
	v_and_b32_e32 v43, 0xffff, v43
	v_lshlrev_b32_e32 v47, 16, v47
	v_lshlrev_b32_e32 v45, 16, v45
	v_and_b32_e32 v44, 0xffff, v44
	v_lshl_or_b32 v38, v37, 16, v38
	v_lshl_or_b32 v37, v41, 16, v43
	v_lshlrev_b32_e32 v43, 16, v46
	v_and_b32_e32 v42, 0xffff, v42
	v_and_or_b32 v1, 0xffff, v1, v47
	v_and_or_b32 v3, 0xffff, v3, v45
	;;#ASMSTART
	v_pk_mul_f16 v1, v38, v1;

	;;#ASMEND
	v_and_or_b32 v2, 0xffff, v2, v43
	v_lshl_or_b32 v41, v40, 16, v44
	v_lshl_or_b32 v42, v39, 16, v42
	;;#ASMSTART
	v_pk_mul_f16 v2, v37, v2;

	;;#ASMEND
	;;#ASMSTART
	v_pk_mul_f16 v3, v41, v3;

	;;#ASMEND
	;; [unrolled: 4-line block ×3, first 2 shown]
	;;#ASMSTART
	v_pk_add_f16 v1, v1, v2;

	;;#ASMEND
	;;#ASMSTART
	v_pk_add_f16 v1, v1, v3;

	;;#ASMEND
	;; [unrolled: 4-line block ×3, first 2 shown]
	v_and_b32_e32 v2, 0xffff, v1
	v_lshrrev_b32_e32 v1, 16, v1
	;;#ASMSTART
	v_cvt_f32_f16 v39, v2;
	;;#ASMEND
	;;#ASMSTART
	v_cvt_f32_f16 v40, v1;
	;;#ASMEND
	global_load_dwordx4 v[1:4], v[8:9], off offset:512
	s_waitcnt vmcnt(0)
	v_lshrrev_b32_e32 v45, 16, v1
	v_lshrrev_b32_e32 v44, 16, v2
	;; [unrolled: 1-line block ×3, first 2 shown]
	s_and_saveexec_b32 s14, s0
	s_cbranch_execz .LBB94_47
; %bb.46:                               ;   in Loop: Header=BB94_42 Depth=1
	v_cmp_gt_i32_e32 vcc_lo, s27, v30
	v_and_b32_e32 v46, 0xffff0000, v4
	v_cmp_gt_i32_e64 s1, s27, v29
	v_cndmask_b32_e32 v1, 0, v1, vcc_lo
	v_cmp_gt_i32_e32 vcc_lo, s27, v36
	v_cndmask_b32_e64 v2, 0, v2, s1
	v_cmp_gt_i32_e64 s1, s27, v28
	v_cndmask_b32_e32 v45, 0, v45, vcc_lo
	v_cmp_gt_i32_e32 vcc_lo, s27, v35
	v_cndmask_b32_e64 v44, 0, v44, s1
	v_cndmask_b32_sdwa v4, v20, v4, vcc_lo dst_sel:DWORD dst_unused:UNUSED_PAD src0_sel:DWORD src1_sel:WORD_0
	v_cmp_gt_i32_e32 vcc_lo, s27, v27
	v_cndmask_b32_e32 v46, 0, v46, vcc_lo
	v_cmp_gt_i32_e32 vcc_lo, s27, v26
	v_or_b32_e32 v4, v4, v46
	v_cndmask_b32_e32 v3, 0, v3, vcc_lo
	v_cmp_gt_i32_e32 vcc_lo, s27, v25
	v_cndmask_b32_e32 v43, 0, v43, vcc_lo
.LBB94_47:                              ;   in Loop: Header=BB94_42 Depth=1
	s_or_b32 exec_lo, exec_lo, s14
	v_lshlrev_b32_e32 v45, 16, v45
	v_lshlrev_b32_e32 v44, 16, v44
	;; [unrolled: 1-line block ×3, first 2 shown]
	v_and_or_b32 v1, 0xffff, v1, v45
	v_and_or_b32 v2, 0xffff, v2, v44
	;; [unrolled: 1-line block ×3, first 2 shown]
	;;#ASMSTART
	v_pk_mul_f16 v1, v38, v1;

	;;#ASMEND
	;;#ASMSTART
	v_pk_mul_f16 v2, v37, v2;

	;;#ASMEND
	;; [unrolled: 4-line block ×4, first 2 shown]
	;;#ASMSTART
	v_pk_add_f16 v1, v1, v2;

	;;#ASMEND
	;;#ASMSTART
	v_pk_add_f16 v1, v1, v3;

	;;#ASMEND
	;; [unrolled: 4-line block ×3, first 2 shown]
	v_and_b32_e32 v2, 0xffff, v1
	v_lshrrev_b32_e32 v1, 16, v1
	;;#ASMSTART
	v_cvt_f32_f16 v43, v2;
	;;#ASMEND
	;;#ASMSTART
	v_cvt_f32_f16 v44, v1;
	;;#ASMEND
	global_load_dwordx4 v[1:4], v[8:9], off offset:1024
	s_waitcnt vmcnt(0)
	v_lshrrev_b32_e32 v47, 16, v1
	v_lshrrev_b32_e32 v46, 16, v2
	;; [unrolled: 1-line block ×3, first 2 shown]
	s_and_saveexec_b32 s14, s0
	s_cbranch_execz .LBB94_49
; %bb.48:                               ;   in Loop: Header=BB94_42 Depth=1
	v_cmp_gt_i32_e32 vcc_lo, s27, v30
	v_and_b32_e32 v48, 0xffff0000, v4
	v_cmp_gt_i32_e64 s1, s27, v29
	v_cndmask_b32_e32 v1, 0, v1, vcc_lo
	v_cmp_gt_i32_e32 vcc_lo, s27, v36
	v_cndmask_b32_e64 v2, 0, v2, s1
	v_cmp_gt_i32_e64 s1, s27, v28
	v_cndmask_b32_e32 v47, 0, v47, vcc_lo
	v_cmp_gt_i32_e32 vcc_lo, s27, v35
	v_cndmask_b32_e64 v46, 0, v46, s1
	v_cndmask_b32_sdwa v4, v20, v4, vcc_lo dst_sel:DWORD dst_unused:UNUSED_PAD src0_sel:DWORD src1_sel:WORD_0
	v_cmp_gt_i32_e32 vcc_lo, s27, v27
	v_cndmask_b32_e32 v48, 0, v48, vcc_lo
	v_cmp_gt_i32_e32 vcc_lo, s27, v26
	v_or_b32_e32 v4, v4, v48
	v_cndmask_b32_e32 v3, 0, v3, vcc_lo
	v_cmp_gt_i32_e32 vcc_lo, s27, v25
	v_cndmask_b32_e32 v45, 0, v45, vcc_lo
.LBB94_49:                              ;   in Loop: Header=BB94_42 Depth=1
	s_or_b32 exec_lo, exec_lo, s14
	v_lshlrev_b32_e32 v47, 16, v47
	v_lshlrev_b32_e32 v46, 16, v46
	;; [unrolled: 1-line block ×3, first 2 shown]
	v_and_or_b32 v1, 0xffff, v1, v47
	v_and_or_b32 v2, 0xffff, v2, v46
	;; [unrolled: 1-line block ×3, first 2 shown]
	;;#ASMSTART
	v_pk_mul_f16 v1, v38, v1;

	;;#ASMEND
	;;#ASMSTART
	v_pk_mul_f16 v2, v37, v2;

	;;#ASMEND
	;; [unrolled: 4-line block ×4, first 2 shown]
	;;#ASMSTART
	v_pk_add_f16 v1, v1, v2;

	;;#ASMEND
	;;#ASMSTART
	v_pk_add_f16 v1, v1, v3;

	;;#ASMEND
	;; [unrolled: 4-line block ×3, first 2 shown]
	v_and_b32_e32 v2, 0xffff, v1
	v_lshrrev_b32_e32 v1, 16, v1
	;;#ASMSTART
	v_cvt_f32_f16 v45, v2;
	;;#ASMEND
	;;#ASMSTART
	v_cvt_f32_f16 v46, v1;
	;;#ASMEND
	global_load_dwordx4 v[1:4], v[8:9], off offset:1536
	s_waitcnt vmcnt(0)
	v_lshrrev_b32_e32 v49, 16, v1
	v_lshrrev_b32_e32 v48, 16, v2
	;; [unrolled: 1-line block ×3, first 2 shown]
	s_and_saveexec_b32 s14, s0
	s_cbranch_execz .LBB94_51
; %bb.50:                               ;   in Loop: Header=BB94_42 Depth=1
	v_cmp_gt_i32_e32 vcc_lo, s27, v30
	v_and_b32_e32 v50, 0xffff0000, v4
	v_cmp_gt_i32_e64 s1, s27, v29
	v_cndmask_b32_e32 v1, 0, v1, vcc_lo
	v_cmp_gt_i32_e32 vcc_lo, s27, v36
	v_cndmask_b32_e64 v2, 0, v2, s1
	v_cmp_gt_i32_e64 s1, s27, v28
	v_cndmask_b32_e32 v49, 0, v49, vcc_lo
	v_cmp_gt_i32_e32 vcc_lo, s27, v35
	v_cndmask_b32_e64 v48, 0, v48, s1
	v_cndmask_b32_sdwa v4, v20, v4, vcc_lo dst_sel:DWORD dst_unused:UNUSED_PAD src0_sel:DWORD src1_sel:WORD_0
	v_cmp_gt_i32_e32 vcc_lo, s27, v27
	v_cndmask_b32_e32 v50, 0, v50, vcc_lo
	v_cmp_gt_i32_e32 vcc_lo, s27, v26
	v_or_b32_e32 v4, v4, v50
	v_cndmask_b32_e32 v3, 0, v3, vcc_lo
	v_cmp_gt_i32_e32 vcc_lo, s27, v25
	v_cndmask_b32_e32 v47, 0, v47, vcc_lo
.LBB94_51:                              ;   in Loop: Header=BB94_42 Depth=1
	s_or_b32 exec_lo, exec_lo, s14
	v_lshlrev_b32_e32 v49, 16, v49
	v_lshlrev_b32_e32 v48, 16, v48
	v_lshlrev_b32_e32 v47, 16, v47
	v_add_co_u32 v8, vcc_lo, 0x800, v8
	v_and_or_b32 v1, 0xffff, v1, v49
	v_and_or_b32 v2, 0xffff, v2, v48
	;; [unrolled: 1-line block ×3, first 2 shown]
	;;#ASMSTART
	v_pk_mul_f16 v1, v38, v1;

	;;#ASMEND
	v_add_co_ci_u32_e64 v9, null, 0, v9, vcc_lo
	;;#ASMSTART
	v_pk_mul_f16 v2, v37, v2;

	;;#ASMEND
	;;#ASMSTART
	v_pk_mul_f16 v3, v41, v3;

	;;#ASMEND
	;; [unrolled: 4-line block ×3, first 2 shown]
	;;#ASMSTART
	v_pk_add_f16 v1, v1, v2;

	;;#ASMEND
	;;#ASMSTART
	v_pk_add_f16 v1, v1, v3;

	;;#ASMEND
	;; [unrolled: 4-line block ×3, first 2 shown]
	v_lshrrev_b32_e32 v2, 16, v1
	v_and_b32_e32 v1, 0xffff, v1
	;;#ASMSTART
	v_cvt_f32_f16 v47, v1;
	;;#ASMEND
	;;#ASMSTART
	v_cvt_f32_f16 v48, v2;
	;;#ASMEND
	global_load_dwordx4 v[1:4], v[8:9], off
	s_waitcnt vmcnt(0)
	v_lshrrev_b32_e32 v51, 16, v1
	v_lshrrev_b32_e32 v50, 16, v2
	;; [unrolled: 1-line block ×3, first 2 shown]
	s_and_saveexec_b32 s14, s0
	s_cbranch_execz .LBB94_53
; %bb.52:                               ;   in Loop: Header=BB94_42 Depth=1
	v_cmp_gt_i32_e32 vcc_lo, s27, v30
	v_and_b32_e32 v52, 0xffff0000, v4
	v_cmp_gt_i32_e64 s1, s27, v29
	v_cndmask_b32_e32 v1, 0, v1, vcc_lo
	v_cmp_gt_i32_e32 vcc_lo, s27, v36
	v_cndmask_b32_e64 v2, 0, v2, s1
	v_cmp_gt_i32_e64 s1, s27, v28
	v_cndmask_b32_e32 v51, 0, v51, vcc_lo
	v_cmp_gt_i32_e32 vcc_lo, s27, v35
	v_cndmask_b32_e64 v50, 0, v50, s1
	v_cndmask_b32_sdwa v4, v20, v4, vcc_lo dst_sel:DWORD dst_unused:UNUSED_PAD src0_sel:DWORD src1_sel:WORD_0
	v_cmp_gt_i32_e32 vcc_lo, s27, v27
	v_cndmask_b32_e32 v52, 0, v52, vcc_lo
	v_cmp_gt_i32_e32 vcc_lo, s27, v26
	v_or_b32_e32 v4, v4, v52
	v_cndmask_b32_e32 v3, 0, v3, vcc_lo
	v_cmp_gt_i32_e32 vcc_lo, s27, v25
	v_cndmask_b32_e32 v49, 0, v49, vcc_lo
.LBB94_53:                              ;   in Loop: Header=BB94_42 Depth=1
	s_or_b32 exec_lo, exec_lo, s14
	v_lshlrev_b32_e32 v51, 16, v51
	v_lshlrev_b32_e32 v50, 16, v50
	;; [unrolled: 1-line block ×3, first 2 shown]
	v_and_or_b32 v1, 0xffff, v1, v51
	v_and_or_b32 v2, 0xffff, v2, v50
	;; [unrolled: 1-line block ×3, first 2 shown]
	;;#ASMSTART
	v_pk_mul_f16 v1, v38, v1;

	;;#ASMEND
	;;#ASMSTART
	v_pk_mul_f16 v2, v37, v2;

	;;#ASMEND
	;; [unrolled: 4-line block ×4, first 2 shown]
	;;#ASMSTART
	v_pk_add_f16 v1, v1, v2;

	;;#ASMEND
	;;#ASMSTART
	v_pk_add_f16 v1, v1, v3;

	;;#ASMEND
	;; [unrolled: 4-line block ×3, first 2 shown]
	v_and_b32_e32 v2, 0xffff, v1
	v_lshrrev_b32_e32 v1, 16, v1
	;;#ASMSTART
	v_cvt_f32_f16 v49, v2;
	;;#ASMEND
	;;#ASMSTART
	v_cvt_f32_f16 v50, v1;
	;;#ASMEND
	global_load_dwordx4 v[1:4], v[8:9], off offset:512
	s_waitcnt vmcnt(0)
	v_lshrrev_b32_e32 v53, 16, v1
	v_lshrrev_b32_e32 v52, 16, v2
	;; [unrolled: 1-line block ×3, first 2 shown]
	s_and_saveexec_b32 s14, s0
	s_cbranch_execz .LBB94_55
; %bb.54:                               ;   in Loop: Header=BB94_42 Depth=1
	v_cmp_gt_i32_e32 vcc_lo, s27, v30
	v_and_b32_e32 v54, 0xffff0000, v4
	v_cmp_gt_i32_e64 s1, s27, v29
	v_cndmask_b32_e32 v1, 0, v1, vcc_lo
	v_cmp_gt_i32_e32 vcc_lo, s27, v36
	v_cndmask_b32_e64 v2, 0, v2, s1
	v_cmp_gt_i32_e64 s1, s27, v28
	v_cndmask_b32_e32 v53, 0, v53, vcc_lo
	v_cmp_gt_i32_e32 vcc_lo, s27, v35
	v_cndmask_b32_e64 v52, 0, v52, s1
	v_cndmask_b32_sdwa v4, v20, v4, vcc_lo dst_sel:DWORD dst_unused:UNUSED_PAD src0_sel:DWORD src1_sel:WORD_0
	v_cmp_gt_i32_e32 vcc_lo, s27, v27
	v_cndmask_b32_e32 v54, 0, v54, vcc_lo
	v_cmp_gt_i32_e32 vcc_lo, s27, v26
	v_or_b32_e32 v4, v4, v54
	v_cndmask_b32_e32 v3, 0, v3, vcc_lo
	v_cmp_gt_i32_e32 vcc_lo, s27, v25
	v_cndmask_b32_e32 v51, 0, v51, vcc_lo
.LBB94_55:                              ;   in Loop: Header=BB94_42 Depth=1
	s_or_b32 exec_lo, exec_lo, s14
	v_lshlrev_b32_e32 v53, 16, v53
	v_lshlrev_b32_e32 v52, 16, v52
	;; [unrolled: 1-line block ×3, first 2 shown]
	v_and_or_b32 v1, 0xffff, v1, v53
	v_and_or_b32 v2, 0xffff, v2, v52
	;; [unrolled: 1-line block ×3, first 2 shown]
	;;#ASMSTART
	v_pk_mul_f16 v1, v38, v1;

	;;#ASMEND
	;;#ASMSTART
	v_pk_mul_f16 v2, v37, v2;

	;;#ASMEND
	;;#ASMSTART
	v_pk_mul_f16 v3, v41, v3;

	;;#ASMEND
	;;#ASMSTART
	v_pk_mul_f16 v4, v42, v4;

	;;#ASMEND
	;;#ASMSTART
	v_pk_add_f16 v1, v1, v2;

	;;#ASMEND
	;;#ASMSTART
	v_pk_add_f16 v1, v1, v3;

	;;#ASMEND
	;; [unrolled: 4-line block ×3, first 2 shown]
	v_and_b32_e32 v2, 0xffff, v1
	v_lshrrev_b32_e32 v1, 16, v1
	;;#ASMSTART
	v_cvt_f32_f16 v52, v2;
	;;#ASMEND
	;;#ASMSTART
	v_cvt_f32_f16 v53, v1;
	;;#ASMEND
	global_load_dwordx4 v[1:4], v[8:9], off offset:1024
	s_waitcnt vmcnt(0)
	v_lshrrev_b32_e32 v51, 16, v1
	v_lshrrev_b32_e32 v9, 16, v2
	;; [unrolled: 1-line block ×3, first 2 shown]
	s_and_saveexec_b32 s1, s0
	s_cbranch_execz .LBB94_40
; %bb.56:                               ;   in Loop: Header=BB94_42 Depth=1
	v_cmp_gt_i32_e32 vcc_lo, s27, v30
	v_cmp_gt_i32_e64 s0, s27, v29
	v_cndmask_b32_e32 v1, 0, v1, vcc_lo
	v_cmp_gt_i32_e32 vcc_lo, s27, v36
	v_cndmask_b32_e64 v2, 0, v2, s0
	v_cmp_gt_i32_e64 s0, s27, v28
	v_and_b32_e32 v28, 0xffff0000, v4
	v_cndmask_b32_e32 v51, 0, v51, vcc_lo
	v_cmp_gt_i32_e32 vcc_lo, s27, v35
	v_cndmask_b32_e64 v9, 0, v9, s0
	v_cndmask_b32_sdwa v4, v20, v4, vcc_lo dst_sel:DWORD dst_unused:UNUSED_PAD src0_sel:DWORD src1_sel:WORD_0
	v_cmp_gt_i32_e32 vcc_lo, s27, v27
	v_cndmask_b32_e32 v27, 0, v28, vcc_lo
	v_cmp_gt_i32_e32 vcc_lo, s27, v26
	v_or_b32_e32 v4, v4, v27
	v_cndmask_b32_e32 v3, 0, v3, vcc_lo
	v_cmp_gt_i32_e32 vcc_lo, s27, v25
	v_cndmask_b32_e32 v8, 0, v8, vcc_lo
	s_branch .LBB94_40
.LBB94_57:
	s_or_b32 exec_lo, exec_lo, s6
.LBB94_58:
	s_or_b32 exec_lo, exec_lo, s3
	ds_bpermute_b32 v1, v11, v18
	ds_bpermute_b32 v2, v11, v17
	;; [unrolled: 1-line block ×7, first 2 shown]
	v_lshrrev_b32_e32 v8, 1, v10
	v_mul_u32_u24_e32 v10, 0x1c0, v33
	v_and_b32_e32 v21, 0x3c1, v0
	s_mov_b32 s0, exec_lo
	s_waitcnt lgkmcnt(0)
	s_waitcnt_vscnt null, 0x0
	v_lshl_add_u32 v9, v8, 2, 0x100
	s_barrier
	buffer_gl0_inv
	v_add_f32_e32 v7, v18, v1
	v_add_f32_e32 v6, v17, v2
	;; [unrolled: 1-line block ×7, first 2 shown]
	v_cmpx_eq_u32_e32 64, v21
	s_cbranch_execz .LBB94_60
; %bb.59:
	v_add_nc_u32_e32 v11, v9, v10
	v_add_nc_u32_e32 v12, 0xfffffc80, v11
	;; [unrolled: 1-line block ×8, first 2 shown]
	ds_write_b32 v12, v7
	ds_write_b32 v13, v6
	;; [unrolled: 1-line block ×7, first 2 shown]
.LBB94_60:
	s_or_b32 exec_lo, exec_lo, s0
	v_lshlrev_b32_e32 v8, 2, v8
	s_mov_b32 s1, exec_lo
	v_cmp_eq_u32_e32 vcc_lo, 0, v32
	s_waitcnt lgkmcnt(0)
	s_barrier
	v_add3_u32 v8, 0x100, v10, v8
	buffer_gl0_inv
	v_cmpx_gt_u32_e32 64, v0
	s_cbranch_execz .LBB94_70
; %bb.61:
	s_and_saveexec_b32 s0, vcc_lo
	s_cbranch_execnz .LBB94_85
; %bb.62:
	s_or_b32 exec_lo, exec_lo, s0
	s_and_saveexec_b32 s0, vcc_lo
	s_cbranch_execnz .LBB94_86
.LBB94_63:
	s_or_b32 exec_lo, exec_lo, s0
	s_and_saveexec_b32 s0, vcc_lo
	s_cbranch_execnz .LBB94_87
.LBB94_64:
	s_or_b32 exec_lo, exec_lo, s0
	s_and_saveexec_b32 s0, vcc_lo
	s_cbranch_execnz .LBB94_88
.LBB94_65:
	s_or_b32 exec_lo, exec_lo, s0
	s_and_saveexec_b32 s0, vcc_lo
	s_cbranch_execnz .LBB94_89
.LBB94_66:
	s_or_b32 exec_lo, exec_lo, s0
	s_and_saveexec_b32 s0, vcc_lo
	s_cbranch_execnz .LBB94_90
.LBB94_67:
	s_or_b32 exec_lo, exec_lo, s0
	s_and_saveexec_b32 s0, vcc_lo
	s_cbranch_execz .LBB94_69
.LBB94_68:
	ds_read_b32 v10, v8 offset:384
	s_waitcnt lgkmcnt(0)
	v_add_f32_e32 v1, v1, v10
.LBB94_69:
	s_or_b32 exec_lo, exec_lo, s0
.LBB94_70:
	s_or_b32 exec_lo, exec_lo, s1
	v_and_b32_e32 v10, 0x3e1, v0
	s_mov_b32 s1, exec_lo
	s_barrier
	buffer_gl0_inv
	v_cmpx_eq_u32_e32 32, v10
	s_cbranch_execz .LBB94_72
; %bb.71:
	ds_write2_b32 v9, v7, v6 offset1:16
	ds_write2_b32 v9, v5, v4 offset0:32 offset1:48
	ds_write2_b32 v9, v3, v2 offset0:64 offset1:80
	ds_write_b32 v9, v1 offset:384
.LBB94_72:
	s_or_b32 exec_lo, exec_lo, s1
	s_mov_b32 s1, exec_lo
	s_waitcnt lgkmcnt(0)
	s_barrier
	buffer_gl0_inv
	v_cmpx_gt_u32_e32 32, v0
	s_cbranch_execz .LBB94_82
; %bb.73:
	s_and_saveexec_b32 s0, vcc_lo
	s_cbranch_execnz .LBB94_91
; %bb.74:
	s_or_b32 exec_lo, exec_lo, s0
	s_and_saveexec_b32 s0, vcc_lo
	s_cbranch_execnz .LBB94_92
.LBB94_75:
	s_or_b32 exec_lo, exec_lo, s0
	s_and_saveexec_b32 s0, vcc_lo
	s_cbranch_execnz .LBB94_93
.LBB94_76:
	s_or_b32 exec_lo, exec_lo, s0
	s_and_saveexec_b32 s0, vcc_lo
	s_cbranch_execnz .LBB94_94
.LBB94_77:
	s_or_b32 exec_lo, exec_lo, s0
	s_and_saveexec_b32 s0, vcc_lo
	s_cbranch_execnz .LBB94_95
.LBB94_78:
	s_or_b32 exec_lo, exec_lo, s0
	s_and_saveexec_b32 s0, vcc_lo
	s_cbranch_execnz .LBB94_96
.LBB94_79:
	s_or_b32 exec_lo, exec_lo, s0
	s_and_saveexec_b32 s0, vcc_lo
	s_cbranch_execz .LBB94_81
.LBB94_80:
	ds_read_b32 v0, v8 offset:384
	s_waitcnt lgkmcnt(0)
	v_add_f32_e32 v1, v1, v0
.LBB94_81:
	s_or_b32 exec_lo, exec_lo, s0
.LBB94_82:
	s_or_b32 exec_lo, exec_lo, s1
	s_barrier
	buffer_gl0_inv
	s_mov_b32 s0, exec_lo
	v_cmpx_eq_u32_e32 0, v10
	s_cbranch_execz .LBB94_84
; %bb.83:
	s_mul_i32 s0, s2, 0x70
	s_mul_i32 s2, s7, s10
	s_ashr_i32 s1, s0, 31
	v_lshlrev_b32_e32 v0, 1, v31
	s_lshl_b64 s[0:1], s[0:1], 1
	;;#ASMSTART
	v_cvt_f16_f32 v7, v7;

	;;#ASMEND
	s_add_u32 s4, s24, s0
	s_addc_u32 s5, s25, s1
	s_ashr_i32 s3, s2, 31
	s_lshl_b64 s[0:1], s[2:3], 1
	s_mul_i32 s2, s8, 0x70
	s_add_u32 s4, s4, s0
	s_addc_u32 s5, s5, s1
	s_ashr_i32 s3, s2, 31
	s_lshl_b64 s[0:1], s[2:3], 1
	s_add_u32 s0, s4, s0
	s_addc_u32 s1, s5, s1
	global_store_short v0, v7, s[0:1]
	;;#ASMSTART
	v_cvt_f16_f32 v6, v6;

	;;#ASMEND
	global_store_short v0, v6, s[0:1] offset:32
	;;#ASMSTART
	v_cvt_f16_f32 v5, v5;

	;;#ASMEND
	global_store_short v0, v5, s[0:1] offset:64
	;; [unrolled: 5-line block ×6, first 2 shown]
.LBB94_84:
	s_endpgm
.LBB94_85:
	ds_read_b32 v10, v8
	s_waitcnt lgkmcnt(0)
	v_add_f32_e32 v7, v7, v10
	s_or_b32 exec_lo, exec_lo, s0
	s_and_saveexec_b32 s0, vcc_lo
	s_cbranch_execz .LBB94_63
.LBB94_86:
	ds_read_b32 v10, v8 offset:64
	s_waitcnt lgkmcnt(0)
	v_add_f32_e32 v6, v6, v10
	s_or_b32 exec_lo, exec_lo, s0
	s_and_saveexec_b32 s0, vcc_lo
	s_cbranch_execz .LBB94_64
.LBB94_87:
	ds_read_b32 v10, v8 offset:128
	s_waitcnt lgkmcnt(0)
	v_add_f32_e32 v5, v5, v10
	s_or_b32 exec_lo, exec_lo, s0
	s_and_saveexec_b32 s0, vcc_lo
	s_cbranch_execz .LBB94_65
.LBB94_88:
	ds_read_b32 v10, v8 offset:192
	s_waitcnt lgkmcnt(0)
	v_add_f32_e32 v4, v4, v10
	s_or_b32 exec_lo, exec_lo, s0
	s_and_saveexec_b32 s0, vcc_lo
	s_cbranch_execz .LBB94_66
.LBB94_89:
	ds_read_b32 v10, v8 offset:256
	s_waitcnt lgkmcnt(0)
	v_add_f32_e32 v3, v3, v10
	s_or_b32 exec_lo, exec_lo, s0
	s_and_saveexec_b32 s0, vcc_lo
	s_cbranch_execz .LBB94_67
.LBB94_90:
	ds_read_b32 v10, v8 offset:320
	s_waitcnt lgkmcnt(0)
	v_add_f32_e32 v2, v2, v10
	s_or_b32 exec_lo, exec_lo, s0
	s_and_saveexec_b32 s0, vcc_lo
	s_cbranch_execnz .LBB94_68
	s_branch .LBB94_69
.LBB94_91:
	ds_read_b32 v0, v8
	s_waitcnt lgkmcnt(0)
	v_add_f32_e32 v7, v7, v0
	s_or_b32 exec_lo, exec_lo, s0
	s_and_saveexec_b32 s0, vcc_lo
	s_cbranch_execz .LBB94_75
.LBB94_92:
	ds_read_b32 v0, v8 offset:64
	s_waitcnt lgkmcnt(0)
	v_add_f32_e32 v6, v6, v0
	s_or_b32 exec_lo, exec_lo, s0
	s_and_saveexec_b32 s0, vcc_lo
	s_cbranch_execz .LBB94_76
.LBB94_93:
	ds_read_b32 v0, v8 offset:128
	s_waitcnt lgkmcnt(0)
	v_add_f32_e32 v5, v5, v0
	s_or_b32 exec_lo, exec_lo, s0
	s_and_saveexec_b32 s0, vcc_lo
	s_cbranch_execz .LBB94_77
.LBB94_94:
	ds_read_b32 v0, v8 offset:192
	s_waitcnt lgkmcnt(0)
	v_add_f32_e32 v4, v4, v0
	s_or_b32 exec_lo, exec_lo, s0
	s_and_saveexec_b32 s0, vcc_lo
	s_cbranch_execz .LBB94_78
.LBB94_95:
	ds_read_b32 v0, v8 offset:256
	s_waitcnt lgkmcnt(0)
	v_add_f32_e32 v3, v3, v0
	s_or_b32 exec_lo, exec_lo, s0
	s_and_saveexec_b32 s0, vcc_lo
	s_cbranch_execz .LBB94_79
.LBB94_96:
	ds_read_b32 v0, v8 offset:320
	s_waitcnt lgkmcnt(0)
	v_add_f32_e32 v2, v2, v0
	s_or_b32 exec_lo, exec_lo, s0
	s_and_saveexec_b32 s0, vcc_lo
	s_cbranch_execnz .LBB94_80
	s_branch .LBB94_81
	.section	.rodata,"a",@progbits
	.p2align	6, 0x0
	.amdhsa_kernel _ZN4vllm25paged_attention_v2_kernelIttLi112ELi16ELi128ELNS_18Fp8KVCacheDataTypeE0ELb1ELi512EEEvPfS2_PT_PKS3_PKT0_S9_ifPKiSB_iPKfiiiSD_SD_iiiii
		.amdhsa_group_segment_fixed_size 256
		.amdhsa_private_segment_fixed_size 0
		.amdhsa_kernarg_size 400
		.amdhsa_user_sgpr_count 6
		.amdhsa_user_sgpr_private_segment_buffer 1
		.amdhsa_user_sgpr_dispatch_ptr 0
		.amdhsa_user_sgpr_queue_ptr 0
		.amdhsa_user_sgpr_kernarg_segment_ptr 1
		.amdhsa_user_sgpr_dispatch_id 0
		.amdhsa_user_sgpr_flat_scratch_init 0
		.amdhsa_user_sgpr_private_segment_size 0
		.amdhsa_wavefront_size32 1
		.amdhsa_uses_dynamic_stack 0
		.amdhsa_system_sgpr_private_segment_wavefront_offset 0
		.amdhsa_system_sgpr_workgroup_id_x 1
		.amdhsa_system_sgpr_workgroup_id_y 1
		.amdhsa_system_sgpr_workgroup_id_z 1
		.amdhsa_system_sgpr_workgroup_info 0
		.amdhsa_system_vgpr_workitem_id 0
		.amdhsa_next_free_vgpr 95
		.amdhsa_next_free_sgpr 46
		.amdhsa_reserve_vcc 1
		.amdhsa_reserve_flat_scratch 0
		.amdhsa_float_round_mode_32 0
		.amdhsa_float_round_mode_16_64 0
		.amdhsa_float_denorm_mode_32 3
		.amdhsa_float_denorm_mode_16_64 3
		.amdhsa_dx10_clamp 1
		.amdhsa_ieee_mode 1
		.amdhsa_fp16_overflow 0
		.amdhsa_workgroup_processor_mode 1
		.amdhsa_memory_ordered 1
		.amdhsa_forward_progress 1
		.amdhsa_shared_vgpr_count 0
		.amdhsa_exception_fp_ieee_invalid_op 0
		.amdhsa_exception_fp_denorm_src 0
		.amdhsa_exception_fp_ieee_div_zero 0
		.amdhsa_exception_fp_ieee_overflow 0
		.amdhsa_exception_fp_ieee_underflow 0
		.amdhsa_exception_fp_ieee_inexact 0
		.amdhsa_exception_int_div_zero 0
	.end_amdhsa_kernel
	.section	.text._ZN4vllm25paged_attention_v2_kernelIttLi112ELi16ELi128ELNS_18Fp8KVCacheDataTypeE0ELb1ELi512EEEvPfS2_PT_PKS3_PKT0_S9_ifPKiSB_iPKfiiiSD_SD_iiiii,"axG",@progbits,_ZN4vllm25paged_attention_v2_kernelIttLi112ELi16ELi128ELNS_18Fp8KVCacheDataTypeE0ELb1ELi512EEEvPfS2_PT_PKS3_PKT0_S9_ifPKiSB_iPKfiiiSD_SD_iiiii,comdat
.Lfunc_end94:
	.size	_ZN4vllm25paged_attention_v2_kernelIttLi112ELi16ELi128ELNS_18Fp8KVCacheDataTypeE0ELb1ELi512EEEvPfS2_PT_PKS3_PKT0_S9_ifPKiSB_iPKfiiiSD_SD_iiiii, .Lfunc_end94-_ZN4vllm25paged_attention_v2_kernelIttLi112ELi16ELi128ELNS_18Fp8KVCacheDataTypeE0ELb1ELi512EEEvPfS2_PT_PKS3_PKT0_S9_ifPKiSB_iPKfiiiSD_SD_iiiii
                                        ; -- End function
	.set _ZN4vllm25paged_attention_v2_kernelIttLi112ELi16ELi128ELNS_18Fp8KVCacheDataTypeE0ELb1ELi512EEEvPfS2_PT_PKS3_PKT0_S9_ifPKiSB_iPKfiiiSD_SD_iiiii.num_vgpr, 95
	.set _ZN4vllm25paged_attention_v2_kernelIttLi112ELi16ELi128ELNS_18Fp8KVCacheDataTypeE0ELb1ELi512EEEvPfS2_PT_PKS3_PKT0_S9_ifPKiSB_iPKfiiiSD_SD_iiiii.num_agpr, 0
	.set _ZN4vllm25paged_attention_v2_kernelIttLi112ELi16ELi128ELNS_18Fp8KVCacheDataTypeE0ELb1ELi512EEEvPfS2_PT_PKS3_PKT0_S9_ifPKiSB_iPKfiiiSD_SD_iiiii.numbered_sgpr, 46
	.set _ZN4vllm25paged_attention_v2_kernelIttLi112ELi16ELi128ELNS_18Fp8KVCacheDataTypeE0ELb1ELi512EEEvPfS2_PT_PKS3_PKT0_S9_ifPKiSB_iPKfiiiSD_SD_iiiii.num_named_barrier, 0
	.set _ZN4vllm25paged_attention_v2_kernelIttLi112ELi16ELi128ELNS_18Fp8KVCacheDataTypeE0ELb1ELi512EEEvPfS2_PT_PKS3_PKT0_S9_ifPKiSB_iPKfiiiSD_SD_iiiii.private_seg_size, 0
	.set _ZN4vllm25paged_attention_v2_kernelIttLi112ELi16ELi128ELNS_18Fp8KVCacheDataTypeE0ELb1ELi512EEEvPfS2_PT_PKS3_PKT0_S9_ifPKiSB_iPKfiiiSD_SD_iiiii.uses_vcc, 1
	.set _ZN4vllm25paged_attention_v2_kernelIttLi112ELi16ELi128ELNS_18Fp8KVCacheDataTypeE0ELb1ELi512EEEvPfS2_PT_PKS3_PKT0_S9_ifPKiSB_iPKfiiiSD_SD_iiiii.uses_flat_scratch, 0
	.set _ZN4vllm25paged_attention_v2_kernelIttLi112ELi16ELi128ELNS_18Fp8KVCacheDataTypeE0ELb1ELi512EEEvPfS2_PT_PKS3_PKT0_S9_ifPKiSB_iPKfiiiSD_SD_iiiii.has_dyn_sized_stack, 0
	.set _ZN4vllm25paged_attention_v2_kernelIttLi112ELi16ELi128ELNS_18Fp8KVCacheDataTypeE0ELb1ELi512EEEvPfS2_PT_PKS3_PKT0_S9_ifPKiSB_iPKfiiiSD_SD_iiiii.has_recursion, 0
	.set _ZN4vllm25paged_attention_v2_kernelIttLi112ELi16ELi128ELNS_18Fp8KVCacheDataTypeE0ELb1ELi512EEEvPfS2_PT_PKS3_PKT0_S9_ifPKiSB_iPKfiiiSD_SD_iiiii.has_indirect_call, 0
	.section	.AMDGPU.csdata,"",@progbits
; Kernel info:
; codeLenInByte = 10804
; TotalNumSgprs: 48
; NumVgprs: 95
; ScratchSize: 0
; MemoryBound: 0
; FloatMode: 240
; IeeeMode: 1
; LDSByteSize: 256 bytes/workgroup (compile time only)
; SGPRBlocks: 0
; VGPRBlocks: 11
; NumSGPRsForWavesPerEU: 48
; NumVGPRsForWavesPerEU: 95
; Occupancy: 10
; WaveLimiterHint : 1
; COMPUTE_PGM_RSRC2:SCRATCH_EN: 0
; COMPUTE_PGM_RSRC2:USER_SGPR: 6
; COMPUTE_PGM_RSRC2:TRAP_HANDLER: 0
; COMPUTE_PGM_RSRC2:TGID_X_EN: 1
; COMPUTE_PGM_RSRC2:TGID_Y_EN: 1
; COMPUTE_PGM_RSRC2:TGID_Z_EN: 1
; COMPUTE_PGM_RSRC2:TIDIG_COMP_CNT: 0
	.section	.text._ZN4vllm25paged_attention_v2_kernelIttLi120ELi16ELi128ELNS_18Fp8KVCacheDataTypeE0ELb1ELi512EEEvPfS2_PT_PKS3_PKT0_S9_ifPKiSB_iPKfiiiSD_SD_iiiii,"axG",@progbits,_ZN4vllm25paged_attention_v2_kernelIttLi120ELi16ELi128ELNS_18Fp8KVCacheDataTypeE0ELb1ELi512EEEvPfS2_PT_PKS3_PKT0_S9_ifPKiSB_iPKfiiiSD_SD_iiiii,comdat
	.protected	_ZN4vllm25paged_attention_v2_kernelIttLi120ELi16ELi128ELNS_18Fp8KVCacheDataTypeE0ELb1ELi512EEEvPfS2_PT_PKS3_PKT0_S9_ifPKiSB_iPKfiiiSD_SD_iiiii ; -- Begin function _ZN4vllm25paged_attention_v2_kernelIttLi120ELi16ELi128ELNS_18Fp8KVCacheDataTypeE0ELb1ELi512EEEvPfS2_PT_PKS3_PKT0_S9_ifPKiSB_iPKfiiiSD_SD_iiiii
	.globl	_ZN4vllm25paged_attention_v2_kernelIttLi120ELi16ELi128ELNS_18Fp8KVCacheDataTypeE0ELb1ELi512EEEvPfS2_PT_PKS3_PKT0_S9_ifPKiSB_iPKfiiiSD_SD_iiiii
	.p2align	8
	.type	_ZN4vllm25paged_attention_v2_kernelIttLi120ELi16ELi128ELNS_18Fp8KVCacheDataTypeE0ELb1ELi512EEEvPfS2_PT_PKS3_PKT0_S9_ifPKiSB_iPKfiiiSD_SD_iiiii,@function
_ZN4vllm25paged_attention_v2_kernelIttLi120ELi16ELi128ELNS_18Fp8KVCacheDataTypeE0ELb1ELi512EEEvPfS2_PT_PKS3_PKT0_S9_ifPKiSB_iPKfiiiSD_SD_iiiii: ; @_ZN4vllm25paged_attention_v2_kernelIttLi120ELi16ELi128ELNS_18Fp8KVCacheDataTypeE0ELb1ELi512EEEvPfS2_PT_PKS3_PKT0_S9_ifPKiSB_iPKfiiiSD_SD_iiiii
; %bb.0:
	s_load_dwordx2 s[0:1], s[4:5], 0x40
	s_mov_b32 s26, s7
	s_ashr_i32 s27, s7, 31
	s_lshl_b64 s[2:3], s[26:27], 2
	s_waitcnt lgkmcnt(0)
	s_add_u32 s0, s0, s2
	s_addc_u32 s1, s1, s3
	s_lshl_b32 s38, s8, 9
	s_load_dword s27, s[0:1], 0x0
	s_waitcnt lgkmcnt(0)
	s_cmp_ge_i32 s38, s27
	s_cbranch_scc1 .LBB95_115
; %bb.1:
	s_clause 0x1
	s_load_dword s9, s[4:5], 0x90
	s_load_dwordx2 s[36:37], s[4:5], 0x30
	s_mov_b32 s40, 0
	s_waitcnt lgkmcnt(0)
	s_abs_i32 s3, s9
	s_abs_i32 s0, s36
	v_cvt_f32_u32_e32 v1, s0
	s_sub_i32 s2, 0, s0
	v_rcp_iflag_f32_e32 v1, v1
	v_mul_f32_e32 v1, 0x4f7ffffe, v1
	v_cvt_u32_f32_e32 v1, v1
	v_readfirstlane_b32 s1, v1
	s_mul_i32 s2, s2, s1
	s_mul_hi_u32 s2, s1, s2
	s_add_i32 s1, s1, s2
	s_xor_b32 s2, s9, s36
	s_mul_hi_u32 s1, s3, s1
	s_ashr_i32 s2, s2, 31
	s_mul_i32 s7, s1, s0
	s_sub_i32 s3, s3, s7
	s_add_i32 s7, s1, 1
	s_sub_i32 s10, s3, s0
	s_cmp_ge_u32 s3, s0
	s_cselect_b32 s1, s7, s1
	s_cselect_b32 s3, s10, s3
	s_add_i32 s7, s1, 1
	s_cmp_ge_u32 s3, s0
	s_cselect_b32 s0, s7, s1
	s_xor_b32 s0, s0, s2
	s_sub_i32 s10, s0, s2
	s_load_dwordx2 s[0:1], s[4:5], 0x50
	s_abs_i32 s2, s10
	v_cvt_f32_u32_e32 v1, s2
	s_sub_i32 s3, 0, s2
	v_rcp_iflag_f32_e32 v1, v1
	v_mul_f32_e32 v1, 0x4f7ffffe, v1
	v_cvt_u32_f32_e32 v1, v1
	v_readfirstlane_b32 s7, v1
	s_mul_i32 s3, s3, s7
	s_mul_hi_u32 s11, s7, s3
	s_abs_i32 s3, s6
	s_add_i32 s7, s7, s11
	s_waitcnt lgkmcnt(0)
	s_cmp_eq_u64 s[0:1], 0
	s_mul_hi_u32 s20, s3, s7
	s_cbranch_scc1 .LBB95_3
; %bb.2:
	s_ashr_i32 s7, s6, 31
	s_lshl_b64 s[12:13], s[6:7], 2
	s_add_u32 s0, s0, s12
	s_addc_u32 s1, s1, s13
	s_load_dword s40, s[0:1], 0x0
.LBB95_3:
	s_load_dwordx4 s[12:15], s[4:5], 0x58
	v_lshrrev_b32_e32 v33, 1, v0
	v_and_b32_e32 v34, 1, v0
	v_lshlrev_b32_e32 v37, 3, v0
	s_ashr_i32 s0, s6, 31
	s_ashr_i32 s1, s10, 31
	s_mul_i32 s10, s6, 0x78
	s_mov_b32 s7, exec_lo
	v_cmpx_gt_u32_e32 30, v0
	s_cbranch_execz .LBB95_5
; %bb.4:
	s_load_dwordx2 s[16:17], s[4:5], 0x18
	s_waitcnt lgkmcnt(0)
	s_mul_i32 s18, s12, s26
	v_lshlrev_b32_e32 v3, 3, v33
	s_ashr_i32 s19, s18, 31
	s_lshl_b64 s[18:19], s[18:19], 1
	v_mad_u32_u24 v3, 0x78, v34, v3
	s_add_u32 s12, s16, s18
	s_addc_u32 s15, s17, s19
	s_ashr_i32 s11, s10, 31
	s_lshl_b64 s[16:17], s[10:11], 1
	s_add_u32 s16, s12, s16
	s_addc_u32 s17, s15, s17
	global_load_dwordx2 v[1:2], v37, s[16:17]
	s_waitcnt vmcnt(0)
	ds_write_b64 v3, v[1:2]
.LBB95_5:
	s_or_b32 exec_lo, exec_lo, s7
	s_load_dwordx4 s[16:19], s[4:5], 0x78
	s_mul_i32 s7, s20, s2
	s_xor_b32 s0, s0, s1
	s_sub_i32 s1, s3, s7
	s_add_i32 s3, s20, 1
	s_sub_i32 s7, s1, s2
	s_cmp_ge_u32 s1, s2
                                        ; implicit-def: $sgpr33
	s_cselect_b32 s3, s3, s20
	s_cselect_b32 s1, s7, s1
	s_add_i32 s7, s3, 1
	s_cmp_ge_u32 s1, s2
	s_mov_b32 s20, -1
	s_cselect_b32 s1, s7, s3
	s_load_dword s3, s[4:5], 0x88
	s_xor_b32 s1, s1, s0
	s_add_i32 s7, s27, -1
	s_sub_i32 s1, s1, s0
	s_abs_i32 s2, s7
	s_waitcnt lgkmcnt(0)
	s_abs_i32 s11, s19
	s_barrier
	v_cvt_f32_u32_e32 v1, s11
	s_sub_i32 s0, 0, s11
	buffer_gl0_inv
	v_rcp_iflag_f32_e32 v1, v1
	v_mul_f32_e32 v1, 0x4f7ffffe, v1
	v_cvt_u32_f32_e32 v1, v1
	v_readfirstlane_b32 s12, v1
	s_mul_i32 s0, s0, s12
	s_mul_hi_u32 s0, s12, s0
	s_add_i32 s12, s12, s0
	s_cmp_lt_i32 s3, 0
	s_mul_hi_u32 s0, s2, s12
	s_cbranch_scc0 .LBB95_7
; %bb.6:
	s_mul_i32 s15, s16, s36
	s_mov_b32 s20, 0
	s_add_i32 s15, s1, s15
	s_mul_i32 s15, s15, s3
	s_sub_i32 s33, 1, s15
.LBB95_7:
	s_load_dwordx2 s[28:29], s[4:5], 0x38
	s_ashr_i32 s15, s7, 31
	s_andn2_b32 vcc_lo, exec_lo, s20
	s_ashr_i32 s19, s19, 31
	s_cbranch_vccnz .LBB95_9
; %bb.8:
	s_mul_i32 s7, s9, s16
	s_add_i32 s7, s7, s6
	s_mul_i32 s3, s7, s3
	s_add_i32 s33, s3, 1
.LBB95_9:
	s_clause 0x4
	s_load_dword s3, s[4:5], 0x48
	s_load_dwordx2 s[34:35], s[4:5], 0x28
	s_load_dword s7, s[4:5], 0x98
	s_load_dwordx4 s[20:23], s[4:5], 0x0
	s_load_dwordx2 s[24:25], s[4:5], 0x10
	s_mul_i32 s16, s0, s11
	s_xor_b32 s15, s15, s19
	s_sub_i32 s2, s2, s16
	s_add_i32 s36, s0, 1
	v_lshrrev_b32_e32 v35, 5, v0
	v_mov_b32_e32 v39, 0xff7fffff
	v_mbcnt_lo_u32_b32 v38, -1, 0
	s_mul_i32 s14, s1, s14
	s_mov_b32 s42, exec_lo
	v_lshl_add_u32 v36, v35, 4, s38
	s_waitcnt lgkmcnt(0)
	s_mul_i32 s30, s3, s26
	s_sub_i32 s3, s2, s11
	s_ashr_i32 s31, s30, 31
	s_cmp_ge_u32 s2, s11
	s_cselect_b32 s0, s36, s0
	s_cselect_b32 s2, s3, s2
	s_add_i32 s3, s0, 1
	s_cmp_ge_u32 s2, s11
	s_cselect_b32 s0, s3, s0
	s_add_i32 s2, s27, 15
	s_lshl_b32 s41, s8, 5
	s_ashr_i32 s3, s2, 31
	v_or_b32_e32 v5, s41, v35
	s_lshr_b32 s3, s3, 28
	s_add_i32 s2, s2, s3
	s_add_i32 s3, s41, 32
	s_ashr_i32 s36, s2, 4
	s_xor_b32 s2, s0, s15
	s_min_i32 s16, s3, s36
	v_ashrrev_i32_e32 v6, 31, v5
	v_cmp_le_i32_e64 s0, s16, v5
	s_sub_i32 s39, s2, s15
	v_cmpx_gt_i32_e64 s16, v5
	s_cbranch_execz .LBB95_21
; %bb.10:
	s_load_dwordx2 s[2:3], s[4:5], 0x20
	s_ashr_i32 s15, s14, 31
	s_sub_i32 s4, s39, s17
	s_lshl_b64 s[44:45], s[14:15], 1
	v_bfe_u32 v40, v0, 1, 4
	v_and_b32_e32 v4, 8, v37
	v_mul_u32_u24_e32 v41, 0x78, v34
	v_cmp_neq_f32_e64 s1, s40, 0
	v_lshl_add_u32 v42, v35, 4, s38
	v_lshlrev_b32_e32 v7, 2, v40
	v_subrev_nc_u32_e32 v8, s27, v40
	v_lshlrev_b32_e32 v9, 4, v40
	v_mov_b32_e32 v43, 0xff7fffff
	v_xor_b32_e32 v44, 1, v38
	v_lshl_or_b32 v7, v35, 6, v7
	v_add_nc_u32_e32 v45, 1, v8
	v_mov_b32_e32 v39, 0xff7fffff
	v_mov_b32_e32 v50, v5
	v_cmp_eq_u32_e32 vcc_lo, 0, v34
	v_add_nc_u32_e32 v46, 0x110, v7
	s_waitcnt lgkmcnt(0)
	s_add_u32 s15, s2, s44
	s_addc_u32 s43, s3, s45
	s_abs_i32 s5, s18
	v_add_co_u32 v8, s15, s15, v9
	v_cvt_f32_u32_e32 v1, s5
	s_sub_i32 s2, 0, s5
	v_add_co_ci_u32_e64 v9, null, s43, 0, s15
	s_mov_b32 s15, 0
	v_rcp_iflag_f32_e32 v3, v1
	v_lshlrev_b64 v[1:2], 2, v[5:6]
	s_mov_b32 s43, s13
	v_mul_f32_e32 v3, 0x4f7ffffe, v3
	v_cvt_u32_f32_e32 v3, v3
	v_mul_lo_u32 v7, s2, v3
	s_lshl_b64 s[2:3], s[30:31], 2
	s_add_u32 s2, s28, s2
	s_addc_u32 s3, s29, s3
	v_add_co_u32 v1, s2, s2, v1
	v_add_co_ci_u32_e64 v2, null, s3, v2, s2
	v_mul_hi_u32 v7, v3, v7
	v_add_co_u32 v47, s2, v8, v4
	v_add_co_ci_u32_e64 v48, null, 0, v9, s2
	v_add_nc_u32_e32 v49, v3, v7
	s_branch .LBB95_13
.LBB95_11:                              ;   in Loop: Header=BB95_13 Depth=1
	s_or_b32 exec_lo, exec_lo, s44
.LBB95_12:                              ;   in Loop: Header=BB95_13 Depth=1
	s_or_b32 exec_lo, exec_lo, s3
	v_add_nc_u32_e32 v50, 4, v50
	v_add_co_u32 v1, s3, v1, 16
	v_add_co_ci_u32_e64 v2, null, 0, v2, s3
	v_cmp_le_i32_e64 s2, s16, v50
	v_add_nc_u32_e32 v42, 64, v42
	v_add_nc_u32_e32 v46, 0x100, v46
	s_or_b32 s15, s2, s15
	s_andn2_b32 exec_lo, exec_lo, s15
	s_cbranch_execz .LBB95_20
.LBB95_13:                              ; =>This Inner Loop Header: Depth=1
	v_sub_nc_u32_e32 v3, 0, v42
	v_max_i32_e32 v3, v42, v3
	s_waitcnt lgkmcnt(0)
	v_mul_hi_u32 v4, v3, s12
	v_mul_lo_u32 v7, v4, s11
	v_sub_nc_u32_e32 v3, v3, v7
	v_add_nc_u32_e32 v7, 1, v4
	v_subrev_nc_u32_e32 v8, s11, v3
	v_cmp_le_u32_e64 s2, s11, v3
	v_cndmask_b32_e64 v4, v4, v7, s2
	v_cndmask_b32_e64 v3, v3, v8, s2
	v_ashrrev_i32_e32 v7, 31, v42
	v_add_nc_u32_e32 v8, 1, v4
	v_cmp_le_u32_e64 s2, s11, v3
	v_xor_b32_e32 v7, s19, v7
	v_cndmask_b32_e64 v3, v4, v8, s2
	v_xor_b32_e32 v3, v3, v7
	v_sub_nc_u32_e32 v3, v3, v7
	v_add_nc_u32_e32 v4, s33, v3
	v_cmp_ge_i32_e64 s3, s4, v3
	v_sub_nc_u32_e32 v7, 0, v4
	v_max_i32_e32 v7, v4, v7
	v_ashrrev_i32_e32 v4, 31, v4
	v_mul_hi_u32 v8, v7, v49
	v_mul_lo_u32 v8, v8, s5
	v_sub_nc_u32_e32 v7, v7, v8
	v_subrev_nc_u32_e32 v8, s5, v7
	v_cmp_le_u32_e64 s2, s5, v7
	v_cndmask_b32_e64 v7, v7, v8, s2
	v_subrev_nc_u32_e32 v8, s5, v7
	v_cmp_le_u32_e64 s2, s5, v7
	v_cndmask_b32_e64 v7, v7, v8, s2
	v_xor_b32_e32 v7, v7, v4
	v_sub_nc_u32_e32 v4, v7, v4
	v_cmp_ne_u32_e64 s2, 0, v4
	s_and_b32 s2, s2, s3
	s_and_saveexec_b32 s3, s2
	s_xor_b32 s2, exec_lo, s3
	s_cbranch_execz .LBB95_17
; %bb.14:                               ;   in Loop: Header=BB95_13 Depth=1
	s_and_saveexec_b32 s3, vcc_lo
; %bb.15:                               ;   in Loop: Header=BB95_13 Depth=1
	ds_write_b32 v46, v43
; %bb.16:                               ;   in Loop: Header=BB95_13 Depth=1
	s_or_b32 exec_lo, exec_lo, s3
.LBB95_17:                              ;   in Loop: Header=BB95_13 Depth=1
	s_andn2_saveexec_b32 s3, s2
	s_cbranch_execz .LBB95_12
; %bb.18:                               ;   in Loop: Header=BB95_13 Depth=1
	global_load_dword v3, v[1:2], off
	s_waitcnt vmcnt(0)
	v_mad_i64_i32 v[3:4], null, v3, s43, 0
	v_lshlrev_b64 v[3:4], 1, v[3:4]
	v_add_co_u32 v3, s2, v47, v3
	v_add_co_ci_u32_e64 v4, null, v48, v4, s2
	s_clause 0x7
	global_load_dwordx2 v[31:32], v[3:4], off
	global_load_dwordx2 v[59:60], v[3:4], off offset:256
	global_load_dwordx2 v[29:30], v[3:4], off offset:512
	;; [unrolled: 1-line block ×7, first 2 shown]
	v_add_co_u32 v3, s2, 0x800, v3
	v_add_co_ci_u32_e64 v4, null, 0, v4, s2
	v_cmp_gt_i32_e64 s2, 32, v44
	s_clause 0x1
	global_load_dwordx2 v[17:18], v[3:4], off
	global_load_dwordx2 v[13:14], v[3:4], off offset:256
	ds_read_b64 v[7:8], v41
	s_waitcnt lgkmcnt(0)
	v_and_b32_e32 v51, 0xffff, v7
	v_lshrrev_b32_e32 v52, 16, v7
	v_lshrrev_b32_e32 v53, 16, v8
	v_and_b32_e32 v54, 0xffff, v8
	s_clause 0x4
	global_load_dwordx2 v[15:16], v[3:4], off offset:512
	global_load_dwordx2 v[11:12], v[3:4], off offset:768
	;; [unrolled: 1-line block ×5, first 2 shown]
	;;#ASMSTART
	v_cvt_f32_f16 v56, v51;
	;;#ASMEND
	;;#ASMSTART
	v_cvt_f32_f16 v55, v52;
	;;#ASMEND
	s_waitcnt vmcnt(14)
	v_and_b32_e32 v51, 0xffff, v31
	v_lshrrev_b32_e32 v31, 16, v31
	v_lshrrev_b32_e32 v61, 16, v32
	v_and_b32_e32 v32, 0xffff, v32
	;;#ASMSTART
	v_cvt_f32_f16 v58, v51;
	;;#ASMEND
	;;#ASMSTART
	v_cvt_f32_f16 v57, v31;
	;;#ASMEND
	;; [unrolled: 3-line block ×6, first 2 shown]
	ds_read_b64 v[31:32], v41 offset:8
	s_waitcnt vmcnt(13)
	v_lshrrev_b32_e32 v61, 16, v59
	v_and_b32_e32 v59, 0xffff, v59
	v_lshrrev_b32_e32 v64, 16, v60
	v_and_b32_e32 v65, 0xffff, v60
	s_waitcnt vmcnt(12)
	v_lshrrev_b32_e32 v68, 16, v29
	v_lshrrev_b32_e32 v71, 16, v30
	v_and_b32_e32 v70, 0xffff, v30
	s_waitcnt vmcnt(11)
	v_lshrrev_b32_e32 v74, 16, v27
	v_and_b32_e32 v27, 0xffff, v27
	v_lshrrev_b32_e32 v78, 16, v28
	v_and_b32_e32 v28, 0xffff, v28
	s_waitcnt vmcnt(10)
	v_lshrrev_b32_e32 v80, 16, v25
	v_and_b32_e32 v25, 0xffff, v25
	v_lshrrev_b32_e32 v84, 16, v26
	v_and_b32_e32 v26, 0xffff, v26
	s_waitcnt vmcnt(9)
	v_lshrrev_b32_e32 v87, 16, v23
	v_lshrrev_b32_e32 v91, 16, v24
	v_and_b32_e32 v24, 0xffff, v24
	v_and_b32_e32 v23, 0xffff, v23
	s_waitcnt lgkmcnt(0)
	v_and_b32_e32 v62, 0xffff, v31
	v_lshrrev_b32_e32 v31, 16, v31
	v_and_b32_e32 v66, 0xffff, v32
	v_lshrrev_b32_e32 v67, 16, v32
	;;#ASMSTART
	v_cvt_f32_f16 v60, v62;
	;;#ASMEND
	;;#ASMSTART
	v_cvt_f32_f16 v32, v31;
	;;#ASMEND
	;; [unrolled: 3-line block ×8, first 2 shown]
	ds_read_b64 v[65:66], v41 offset:16
	v_and_b32_e32 v67, 0xffff, v29
	s_waitcnt vmcnt(8)
	v_lshrrev_b32_e32 v92, 16, v21
	v_mul_f32_e32 v59, v59, v62
	v_mul_f32_e32 v31, v31, v64
	s_waitcnt vmcnt(7)
	v_lshrrev_b32_e32 v64, 16, v20
	v_and_b32_e32 v20, 0xffff, v20
	s_waitcnt vmcnt(1)
	v_lshrrev_b32_e32 v93, 16, v7
	v_fmac_f32_e32 v59, v52, v54
	v_fmac_f32_e32 v31, v51, v53
	v_and_b32_e32 v7, 0xffff, v7
	s_waitcnt lgkmcnt(0)
	v_and_b32_e32 v29, 0xffff, v65
	v_lshrrev_b32_e32 v69, 16, v65
	v_and_b32_e32 v72, 0xffff, v66
	v_lshrrev_b32_e32 v66, 16, v66
	;;#ASMSTART
	v_cvt_f32_f16 v65, v29;
	;;#ASMEND
	;;#ASMSTART
	v_cvt_f32_f16 v29, v69;
	;;#ASMEND
	;;#ASMSTART
	v_cvt_f32_f16 v67, v67;
	;;#ASMEND
	;;#ASMSTART
	v_cvt_f32_f16 v30, v68;
	;;#ASMEND
	;;#ASMSTART
	v_cvt_f32_f16 v69, v72;
	;;#ASMEND
	;;#ASMSTART
	v_cvt_f32_f16 v66, v66;
	;;#ASMEND
	;;#ASMSTART
	v_cvt_f32_f16 v70, v70;
	;;#ASMEND
	;;#ASMSTART
	v_cvt_f32_f16 v68, v71;
	;;#ASMEND
	ds_read_b64 v[71:72], v41 offset:24
	v_fmac_f32_e32 v59, v69, v70
	v_lshrrev_b32_e32 v70, 16, v13
	v_fmac_f32_e32 v31, v66, v68
	v_and_b32_e32 v13, 0xffff, v13
	s_waitcnt lgkmcnt(0)
	v_and_b32_e32 v73, 0xffff, v71
	v_lshrrev_b32_e32 v75, 16, v71
	v_and_b32_e32 v76, 0xffff, v72
	v_lshrrev_b32_e32 v77, 16, v72
	;;#ASMSTART
	v_cvt_f32_f16 v71, v73;
	;;#ASMEND
	;;#ASMSTART
	v_cvt_f32_f16 v72, v75;
	;;#ASMEND
	;; [unrolled: 3-line block ×8, first 2 shown]
	ds_read_b64 v[27:28], v41 offset:32
	v_fmac_f32_e32 v59, v75, v77
	v_and_b32_e32 v75, 0xffff, v15
	v_and_b32_e32 v77, 0xffff, v16
	v_fmac_f32_e32 v31, v76, v78
	s_waitcnt lgkmcnt(0)
	v_and_b32_e32 v79, 0xffff, v27
	v_lshrrev_b32_e32 v81, 16, v27
	v_and_b32_e32 v82, 0xffff, v28
	v_lshrrev_b32_e32 v83, 16, v28
	;;#ASMSTART
	v_cvt_f32_f16 v27, v79;
	;;#ASMEND
	;;#ASMSTART
	v_cvt_f32_f16 v28, v81;
	;;#ASMEND
	;; [unrolled: 3-line block ×8, first 2 shown]
	ds_read_b64 v[25:26], v41 offset:40
	v_fmac_f32_e32 v59, v81, v83
	v_fmac_f32_e32 v31, v82, v84
	v_lshrrev_b32_e32 v84, 16, v9
	v_and_b32_e32 v9, 0xffff, v9
	s_waitcnt lgkmcnt(0)
	v_and_b32_e32 v85, 0xffff, v25
	v_lshrrev_b32_e32 v25, 16, v25
	v_lshrrev_b32_e32 v89, 16, v26
	v_and_b32_e32 v88, 0xffff, v26
	;;#ASMSTART
	v_cvt_f32_f16 v26, v85;
	;;#ASMEND
	;;#ASMSTART
	v_cvt_f32_f16 v85, v25;
	;;#ASMEND
	;;#ASMSTART
	v_cvt_f32_f16 v86, v23;
	;;#ASMEND
	;;#ASMSTART
	v_cvt_f32_f16 v87, v87;
	;;#ASMEND
	;;#ASMSTART
	v_cvt_f32_f16 v88, v88;
	;;#ASMEND
	;;#ASMSTART
	v_cvt_f32_f16 v89, v89;
	;;#ASMEND
	;;#ASMSTART
	v_cvt_f32_f16 v90, v24;
	;;#ASMEND
	;;#ASMSTART
	v_cvt_f32_f16 v91, v91;
	;;#ASMEND
	ds_read_b64 v[24:25], v41 offset:48
	v_mul_f32_e32 v23, v60, v63
	v_and_b32_e32 v60, 0xffff, v21
	v_mul_f32_e32 v21, v32, v61
	v_lshrrev_b32_e32 v61, 16, v22
	v_and_b32_e32 v63, 0xffff, v22
	v_fmac_f32_e32 v23, v56, v58
	v_fmac_f32_e32 v59, v88, v90
	;; [unrolled: 1-line block ×8, first 2 shown]
	v_lshrrev_b32_e32 v74, 16, v15
	s_waitcnt lgkmcnt(0)
	v_and_b32_e32 v22, 0xffff, v24
	v_lshrrev_b32_e32 v24, 16, v24
	v_lshrrev_b32_e32 v58, 16, v25
	v_and_b32_e32 v25, 0xffff, v25
	;;#ASMSTART
	v_cvt_f32_f16 v22, v22;
	;;#ASMEND
	;;#ASMSTART
	v_cvt_f32_f16 v32, v24;
	;;#ASMEND
	;; [unrolled: 3-line block ×8, first 2 shown]
	ds_read_b64 v[24:25], v41 offset:56
	v_lshrrev_b32_e32 v63, 16, v19
	v_and_b32_e32 v19, 0xffff, v19
	v_lshrrev_b32_e32 v92, 16, v18
	v_and_b32_e32 v18, 0xffff, v18
	v_fmac_f32_e32 v23, v27, v79
	v_lshrrev_b32_e32 v79, 16, v11
	v_fmac_f32_e32 v21, v28, v80
	v_and_b32_e32 v11, 0xffff, v11
	v_fmac_f32_e32 v59, v57, v60
	v_fmac_f32_e32 v23, v26, v86
	;; [unrolled: 1-line block ×6, first 2 shown]
	v_lshrrev_b32_e32 v32, 16, v8
	v_and_b32_e32 v8, 0xffff, v8
	s_waitcnt lgkmcnt(0)
	v_and_b32_e32 v52, 0xffff, v24
	v_lshrrev_b32_e32 v54, 16, v24
	v_lshrrev_b32_e32 v62, 16, v25
	v_and_b32_e32 v53, 0xffff, v25
	;;#ASMSTART
	v_cvt_f32_f16 v24, v52;
	;;#ASMEND
	;;#ASMSTART
	v_cvt_f32_f16 v25, v54;
	;;#ASMEND
	;; [unrolled: 3-line block ×8, first 2 shown]
	ds_read_b64 v[19:20], v41 offset:64
	v_lshrrev_b32_e32 v64, 16, v17
	v_and_b32_e32 v17, 0xffff, v17
	v_fmac_f32_e32 v23, v24, v51
	v_fmac_f32_e32 v21, v25, v52
	;; [unrolled: 1-line block ×4, first 2 shown]
	s_waitcnt vmcnt(0)
	v_lshrrev_b32_e32 v25, 16, v3
	s_waitcnt lgkmcnt(0)
	v_and_b32_e32 v29, 0xffff, v19
	v_lshrrev_b32_e32 v30, 16, v19
	v_lshrrev_b32_e32 v65, 16, v20
	v_and_b32_e32 v67, 0xffff, v20
	;;#ASMSTART
	v_cvt_f32_f16 v19, v29;
	;;#ASMEND
	;;#ASMSTART
	v_cvt_f32_f16 v20, v30;
	;;#ASMEND
	;; [unrolled: 3-line block ×8, first 2 shown]
	ds_read_b64 v[17:18], v41 offset:72
	v_lshrrev_b32_e32 v92, 16, v14
	v_and_b32_e32 v14, 0xffff, v14
	v_fmac_f32_e32 v23, v19, v29
	v_fmac_f32_e32 v21, v20, v30
	;; [unrolled: 1-line block ×4, first 2 shown]
	s_waitcnt lgkmcnt(0)
	v_and_b32_e32 v66, 0xffff, v17
	v_lshrrev_b32_e32 v68, 16, v17
	v_lshrrev_b32_e32 v71, 16, v18
	v_and_b32_e32 v72, 0xffff, v18
	;;#ASMSTART
	v_cvt_f32_f16 v17, v66;
	;;#ASMEND
	;;#ASMSTART
	v_cvt_f32_f16 v18, v68;
	;;#ASMEND
	;; [unrolled: 3-line block ×8, first 2 shown]
	ds_read_b64 v[13:14], v41 offset:80
	v_lshrrev_b32_e32 v92, 16, v16
	v_fmac_f32_e32 v23, v17, v66
	v_fmac_f32_e32 v21, v18, v68
	;; [unrolled: 1-line block ×4, first 2 shown]
	s_waitcnt lgkmcnt(0)
	v_and_b32_e32 v15, 0xffff, v13
	v_lshrrev_b32_e32 v13, 16, v13
	v_lshrrev_b32_e32 v76, 16, v14
	v_and_b32_e32 v14, 0xffff, v14
	;;#ASMSTART
	v_cvt_f32_f16 v15, v15;
	;;#ASMEND
	;;#ASMSTART
	v_cvt_f32_f16 v16, v13;
	;;#ASMEND
	;; [unrolled: 3-line block ×8, first 2 shown]
	ds_read_b64 v[13:14], v41 offset:88
	v_lshrrev_b32_e32 v92, 16, v12
	v_and_b32_e32 v12, 0xffff, v12
	v_fmac_f32_e32 v23, v15, v27
	v_fmac_f32_e32 v21, v16, v74
	;; [unrolled: 1-line block ×4, first 2 shown]
	v_and_b32_e32 v15, 0xffff, v3
	s_waitcnt lgkmcnt(0)
	v_and_b32_e32 v28, 0xffff, v13
	v_lshrrev_b32_e32 v80, 16, v13
	v_lshrrev_b32_e32 v81, 16, v14
	v_and_b32_e32 v82, 0xffff, v14
	;;#ASMSTART
	v_cvt_f32_f16 v13, v28;
	;;#ASMEND
	;;#ASMSTART
	v_cvt_f32_f16 v14, v80;
	;;#ASMEND
	;; [unrolled: 3-line block ×8, first 2 shown]
	ds_read_b64 v[11:12], v41 offset:96
	v_lshrrev_b32_e32 v92, 16, v10
	v_and_b32_e32 v10, 0xffff, v10
	v_fmac_f32_e32 v23, v13, v28
	v_fmac_f32_e32 v21, v14, v79
	;; [unrolled: 1-line block ×4, first 2 shown]
	v_lshrrev_b32_e32 v13, 16, v4
	s_waitcnt lgkmcnt(0)
	v_and_b32_e32 v26, 0xffff, v11
	v_lshrrev_b32_e32 v85, 16, v11
	v_lshrrev_b32_e32 v86, 16, v12
	v_and_b32_e32 v87, 0xffff, v12
	;;#ASMSTART
	v_cvt_f32_f16 v11, v26;
	;;#ASMEND
	;;#ASMSTART
	v_cvt_f32_f16 v12, v85;
	;;#ASMEND
	;; [unrolled: 3-line block ×8, first 2 shown]
	ds_read_b64 v[9:10], v41 offset:104
	v_fmac_f32_e32 v23, v11, v26
	v_fmac_f32_e32 v21, v12, v84
	;; [unrolled: 1-line block ×3, first 2 shown]
	v_and_b32_e32 v11, 0xffff, v4
	v_fmac_f32_e32 v31, v86, v88
	s_waitcnt lgkmcnt(0)
	v_and_b32_e32 v17, 0xffff, v9
	v_lshrrev_b32_e32 v18, 16, v9
	v_lshrrev_b32_e32 v20, 16, v10
	v_and_b32_e32 v19, 0xffff, v10
	;;#ASMSTART
	v_cvt_f32_f16 v9, v17;
	;;#ASMEND
	;;#ASMSTART
	v_cvt_f32_f16 v10, v18;
	;;#ASMEND
	;; [unrolled: 3-line block ×8, first 2 shown]
	ds_read_b64 v[7:8], v41 offset:112
	v_fmac_f32_e32 v23, v9, v17
	v_fmac_f32_e32 v21, v10, v18
	;; [unrolled: 1-line block ×4, first 2 shown]
	s_waitcnt lgkmcnt(0)
	v_and_b32_e32 v3, 0xffff, v7
	v_lshrrev_b32_e32 v4, 16, v7
	v_lshrrev_b32_e32 v9, 16, v8
	v_and_b32_e32 v10, 0xffff, v8
	;;#ASMSTART
	v_cvt_f32_f16 v3, v3;
	;;#ASMEND
	;;#ASMSTART
	v_cvt_f32_f16 v4, v4;
	;;#ASMEND
	;; [unrolled: 3-line block ×4, first 2 shown]
	v_fmac_f32_e32 v23, v3, v7
	v_fmac_f32_e32 v21, v4, v8
	;;#ASMSTART
	v_cvt_f32_f16 v3, v10;
	;;#ASMEND
	;;#ASMSTART
	v_cvt_f32_f16 v4, v9;
	;;#ASMEND
	;; [unrolled: 3-line block ×3, first 2 shown]
	v_fmac_f32_e32 v59, v3, v7
	v_add_f32_e32 v3, v23, v21
	;;#ASMSTART
	v_cvt_f32_f16 v7, v13;
	;;#ASMEND
	v_fmac_f32_e32 v31, v4, v7
	v_cndmask_b32_e64 v4, v38, v44, s2
	v_add_f32_e32 v3, v3, v59
	v_lshlrev_b32_e32 v4, 2, v4
	v_add_f32_e32 v3, v31, v3
	ds_bpermute_b32 v4, v4, v3
	s_and_saveexec_b32 s44, vcc_lo
	s_cbranch_execz .LBB95_11
; %bb.19:                               ;   in Loop: Header=BB95_13 Depth=1
	v_add_nc_u32_e32 v7, v45, v42
	s_waitcnt lgkmcnt(0)
	v_add_f32_e32 v3, v3, v4
	v_cvt_f32_i32_e32 v7, v7
	v_mul_f32_e32 v7, s40, v7
	v_cndmask_b32_e64 v4, 0, v7, s1
	v_max_f32_e32 v7, v39, v39
	v_fmac_f32_e32 v4, s37, v3
	v_add_nc_u32_e32 v3, v40, v42
	v_max_f32_e32 v7, v7, v4
	v_cmp_gt_i32_e64 s2, s27, v3
	v_cndmask_b32_e64 v3, 0, v4, s2
	v_cndmask_b32_e64 v39, v39, v7, s2
	ds_write_b32 v46, v3
	s_branch .LBB95_11
.LBB95_20:
	s_or_b32 exec_lo, exec_lo, s15
.LBB95_21:
	s_or_b32 exec_lo, exec_lo, s42
	v_xor_b32_e32 v1, 16, v38
	v_xor_b32_e32 v2, 8, v38
	v_max_f32_e32 v3, v39, v39
	v_lshlrev_b32_e32 v10, 2, v35
	v_cmp_gt_i32_e32 vcc_lo, 32, v1
	v_cndmask_b32_e32 v1, v38, v1, vcc_lo
	v_cmp_gt_i32_e32 vcc_lo, 32, v2
	s_waitcnt lgkmcnt(0)
	v_lshlrev_b32_e32 v4, 2, v1
	v_cndmask_b32_e32 v2, v38, v2, vcc_lo
	ds_bpermute_b32 v1, v4, v39
	v_lshlrev_b32_e32 v8, 2, v2
	s_waitcnt lgkmcnt(0)
	v_max_f32_e32 v1, v1, v1
	v_max_f32_e32 v1, v3, v1
	v_xor_b32_e32 v3, 4, v38
	ds_bpermute_b32 v2, v8, v1
	v_cmp_gt_i32_e32 vcc_lo, 32, v3
	v_cndmask_b32_e32 v3, v38, v3, vcc_lo
	v_lshlrev_b32_e32 v9, 2, v3
	v_xor_b32_e32 v3, 2, v38
	v_cmp_gt_i32_e32 vcc_lo, 32, v3
	s_waitcnt lgkmcnt(0)
	v_max_f32_e32 v2, v2, v2
	v_cndmask_b32_e32 v3, v38, v3, vcc_lo
	v_max_f32_e32 v1, v1, v2
	v_lshlrev_b32_e32 v3, 2, v3
	ds_bpermute_b32 v2, v9, v1
	s_waitcnt lgkmcnt(0)
	v_max_f32_e32 v2, v2, v2
	v_max_f32_e32 v2, v1, v2
	v_and_b32_e32 v1, 31, v0
	ds_bpermute_b32 v7, v3, v2
	v_cmp_eq_u32_e32 vcc_lo, 0, v1
	s_and_saveexec_b32 s1, vcc_lo
	s_cbranch_execz .LBB95_23
; %bb.22:
	s_waitcnt lgkmcnt(0)
	v_max_f32_e32 v7, v7, v7
	v_max_f32_e32 v2, v2, v2
	v_max_f32_e32 v2, v2, v7
	ds_write_b32 v10, v2 offset:240
.LBB95_23:
	s_or_b32 exec_lo, exec_lo, s1
	v_cmp_gt_u32_e64 s1, 4, v1
	v_mov_b32_e32 v2, 0xff7fffff
	v_lshlrev_b32_e32 v12, 2, v1
	s_waitcnt lgkmcnt(0)
	s_barrier
	buffer_gl0_inv
	s_and_saveexec_b32 s2, s1
; %bb.24:
	ds_read_b32 v2, v12 offset:240
; %bb.25:
	s_or_b32 exec_lo, exec_lo, s2
	s_waitcnt lgkmcnt(0)
	ds_bpermute_b32 v7, v3, v2
	v_xor_b32_e32 v11, 1, v38
	v_max_f32_e32 v2, v2, v2
	v_mov_b32_e32 v13, 0
	v_cmp_gt_i32_e64 s2, 32, v11
	v_cndmask_b32_e64 v11, v38, v11, s2
	s_sub_i32 s2, s16, s41
	s_lshl_b32 s2, s2, 4
	v_lshlrev_b32_e32 v11, 2, v11
	s_add_i32 s2, s2, s38
	s_min_i32 s2, s2, s27
	s_waitcnt lgkmcnt(0)
	v_max_f32_e32 v7, v7, v7
	s_sub_i32 s4, s2, s38
	v_cmp_gt_i32_e64 s2, s4, v0
	v_max_f32_e32 v2, v2, v7
	ds_bpermute_b32 v7, v11, v2
	s_waitcnt lgkmcnt(0)
	v_max_f32_e32 v7, v7, v7
	v_max_f32_e32 v2, v2, v7
	v_lshl_add_u32 v7, v0, 2, 0x110
	ds_bpermute_b32 v2, v13, v2
	s_and_saveexec_b32 s5, s2
	s_cbranch_execz .LBB95_29
; %bb.26:
	v_lshl_add_u32 v14, v0, 2, 0x110
	v_mov_b32_e32 v13, 0
	v_mov_b32_e32 v15, v0
	s_mov_b32 s15, 0
	.p2align	6
.LBB95_27:                              ; =>This Inner Loop Header: Depth=1
	ds_read_b32 v16, v14
	v_add_nc_u32_e32 v15, 0x80, v15
	v_cmp_le_i32_e64 s3, s4, v15
	s_or_b32 s15, s3, s15
	s_waitcnt lgkmcnt(0)
	v_sub_f32_e32 v16, v16, v2
	v_mul_f32_e32 v16, 0x3fb8aa3b, v16
	v_exp_f32_e32 v16, v16
	ds_write_b32 v14, v16
	v_add_f32_e32 v13, v13, v16
	v_add_nc_u32_e32 v14, 0x200, v14
	s_andn2_b32 exec_lo, exec_lo, s15
	s_cbranch_execnz .LBB95_27
; %bb.28:
	s_or_b32 exec_lo, exec_lo, s15
.LBB95_29:
	s_or_b32 exec_lo, exec_lo, s5
	ds_bpermute_b32 v4, v4, v13
	s_waitcnt lgkmcnt(0)
	v_add_f32_e32 v4, v13, v4
	ds_bpermute_b32 v8, v8, v4
	s_waitcnt lgkmcnt(0)
	v_add_f32_e32 v4, v4, v8
	;; [unrolled: 3-line block ×5, first 2 shown]
	s_and_saveexec_b32 s3, vcc_lo
; %bb.30:
	ds_write_b32 v10, v4 offset:256
; %bb.31:
	s_or_b32 exec_lo, exec_lo, s3
	s_waitcnt lgkmcnt(0)
	s_barrier
	buffer_gl0_inv
	s_and_saveexec_b32 s3, s1
; %bb.32:
	ds_read_b32 v4, v12 offset:256
; %bb.33:
	s_or_b32 exec_lo, exec_lo, s3
	s_waitcnt lgkmcnt(0)
	ds_bpermute_b32 v3, v3, v4
	s_waitcnt lgkmcnt(0)
	v_add_f32_e32 v3, v4, v3
	ds_bpermute_b32 v4, v11, v3
	s_waitcnt lgkmcnt(0)
	v_add_f32_e32 v3, v3, v4
	v_mov_b32_e32 v4, 0
	ds_bpermute_b32 v3, v4, v3
	s_and_saveexec_b32 s1, s2
	s_cbranch_execz .LBB95_36
; %bb.34:
	s_waitcnt lgkmcnt(0)
	v_add_f32_e32 v4, 0x358637bd, v3
	s_mov_b32 s2, 0
	v_div_scale_f32 v8, null, v4, v4, 1.0
	v_div_scale_f32 v12, vcc_lo, 1.0, v4, 1.0
	v_rcp_f32_e32 v9, v8
	v_fma_f32 v10, -v8, v9, 1.0
	v_fmac_f32_e32 v9, v10, v9
	v_mul_f32_e32 v10, v12, v9
	v_fma_f32 v13, -v8, v10, v12
	v_fmac_f32_e32 v10, v13, v9
	v_fma_f32 v8, -v8, v10, v12
	v_div_fmas_f32 v8, v8, v9, v10
	v_div_fixup_f32 v4, v8, v4, 1.0
	v_mov_b32_e32 v8, v0
.LBB95_35:                              ; =>This Inner Loop Header: Depth=1
	ds_read_b32 v9, v7
	v_add_nc_u32_e32 v8, 0x80, v8
	v_cmp_le_i32_e32 vcc_lo, s4, v8
	s_or_b32 s2, vcc_lo, s2
	s_waitcnt lgkmcnt(0)
	v_mul_f32_e32 v9, v4, v9
	ds_write_b32 v7, v9
	v_add_nc_u32_e32 v7, 0x200, v7
	s_andn2_b32 exec_lo, exec_lo, s2
	s_cbranch_execnz .LBB95_35
.LBB95_36:
	s_or_b32 exec_lo, exec_lo, s1
	s_mul_i32 s1, s7, s26
	s_waitcnt lgkmcnt(0)
	s_mul_i32 s2, s1, s9
	s_mov_b32 s1, exec_lo
	s_barrier
	buffer_gl0_inv
	v_cmpx_eq_u32_e32 0, v0
	s_cbranch_execz .LBB95_38
; %bb.37:
	s_ashr_i32 s3, s2, 31
	s_mul_i32 s40, s7, s6
	s_lshl_b64 s[4:5], s[2:3], 2
	v_mov_b32_e32 v4, 0
	s_add_u32 s3, s22, s4
	s_addc_u32 s6, s23, s5
	s_ashr_i32 s41, s40, 31
	s_lshl_b64 s[22:23], s[40:41], 2
	s_add_u32 s3, s3, s22
	s_addc_u32 s6, s6, s23
	s_ashr_i32 s9, s8, 31
	s_lshl_b64 s[40:41], s[8:9], 2
	s_add_u32 s42, s3, s40
	s_addc_u32 s43, s6, s41
	s_add_u32 s3, s20, s4
	s_addc_u32 s4, s21, s5
	;; [unrolled: 2-line block ×4, first 2 shown]
	global_store_dword v4, v2, s[42:43]
	global_store_dword v4, v3, s[4:5]
.LBB95_38:
	s_or_b32 exec_lo, exec_lo, s1
	v_lshrrev_b32_e32 v10, 1, v1
	s_and_saveexec_b32 s1, s0
	s_xor_b32 s0, exec_lo, s1
; %bb.39:
	v_lshrrev_b32_e32 v10, 1, v1
                                        ; implicit-def: $vgpr36
                                        ; implicit-def: $vgpr5
                                        ; implicit-def: $vgpr37
; %bb.40:
	s_or_saveexec_b32 s3, s0
	v_mov_b32_e32 v19, 0
	v_mov_b32_e32 v18, 0
	;; [unrolled: 1-line block ×8, first 2 shown]
	s_xor_b32 exec_lo, exec_lo, s3
	s_cbranch_execz .LBB95_64
; %bb.41:
	s_ashr_i32 s15, s14, 31
	s_sub_i32 s4, s39, s17
	s_lshl_b64 s[0:1], s[14:15], 1
	v_and_b32_e32 v20, 8, v37
	s_add_u32 s5, s34, s0
	s_addc_u32 s6, s35, s1
	s_abs_i32 s9, s18
	v_or_b32_e32 v4, 0x70, v10
	v_cvt_f32_u32_e32 v1, s9
	s_sub_i32 s0, 0, s9
	s_lshl_b64 s[14:15], s[30:31], 2
	s_add_i32 s36, s36, -1
	v_lshl_or_b32 v8, v10, 4, v20
	v_rcp_iflag_f32_e32 v3, v1
	v_lshlrev_b64 v[1:2], 2, v[5:6]
	v_lshlrev_b32_e32 v6, 5, v34
	s_add_u32 s1, s28, s14
	s_addc_u32 s14, s29, s15
	v_mov_b32_e32 v21, 0
	v_mov_b32_e32 v12, 0
	v_lshl_or_b32 v6, v35, 6, v6
	v_mov_b32_e32 v13, 0
	v_mov_b32_e32 v14, 0
	v_mul_f32_e32 v3, 0x4f7ffffe, v3
	v_mov_b32_e32 v15, 0
	v_add_nc_u32_e32 v22, 0x110, v6
	v_add_co_u32 v6, vcc_lo, s1, v1
	v_cvt_u32_f32_e32 v3, v3
	v_mov_b32_e32 v16, 0
	v_mov_b32_e32 v17, 0
	;; [unrolled: 1-line block ×3, first 2 shown]
	v_lshlrev_b32_e32 v23, 1, v8
	v_mul_lo_u32 v7, s0, v3
	v_cmp_gt_u32_e64 s0, 0x78, v4
	v_lshl_or_b32 v4, v4, 4, v20
	v_mov_b32_e32 v19, 0
	v_lshlrev_b32_e32 v24, 1, v4
	v_mul_hi_u32 v9, v3, v7
	v_add_co_ci_u32_e64 v7, null, s14, v2, vcc_lo
	s_mov_b32 s14, s13
	s_mov_b32 s13, 0
	v_add_nc_u32_e32 v25, v3, v9
	s_branch .LBB95_45
.LBB95_42:                              ;   in Loop: Header=BB95_45 Depth=1
	s_or_b32 exec_lo, exec_lo, s18
	v_lshlrev_b32_e32 v26, 16, v49
	v_lshlrev_b32_e32 v30, 16, v30
	;; [unrolled: 1-line block ×3, first 2 shown]
	v_and_or_b32 v1, 0xffff, v1, v26
	v_and_or_b32 v2, 0xffff, v2, v30
	;; [unrolled: 1-line block ×3, first 2 shown]
	;;#ASMSTART
	v_pk_mul_f16 v1, v32, v1;

	;;#ASMEND
	;;#ASMSTART
	v_pk_mul_f16 v2, v31, v2;

	;;#ASMEND
	;; [unrolled: 4-line block ×4, first 2 shown]
	;;#ASMSTART
	v_pk_add_f16 v1, v1, v2;

	;;#ASMEND
	;;#ASMSTART
	v_pk_add_f16 v1, v1, v3;

	;;#ASMEND
	;; [unrolled: 4-line block ×3, first 2 shown]
	v_and_b32_e32 v2, 0xffff, v1
	v_lshrrev_b32_e32 v3, 16, v1
	;;#ASMSTART
	v_cvt_f32_f16 v1, v2;
	;;#ASMEND
	;;#ASMSTART
	v_cvt_f32_f16 v2, v3;
	;;#ASMEND
	v_add_f32_e32 v1, v1, v2
	v_add_f32_e32 v12, v12, v1
.LBB95_43:                              ;   in Loop: Header=BB95_45 Depth=1
	s_or_b32 exec_lo, exec_lo, s17
	v_add_f32_e32 v1, v47, v48
	v_add_f32_e32 v2, v45, v46
	;; [unrolled: 1-line block ×14, first 2 shown]
.LBB95_44:                              ;   in Loop: Header=BB95_45 Depth=1
	s_or_b32 exec_lo, exec_lo, s15
	v_add_nc_u32_e32 v5, 4, v5
	v_add_co_u32 v6, s1, v6, 16
	v_add_co_ci_u32_e64 v7, null, 0, v7, s1
	v_cmp_le_i32_e32 vcc_lo, s16, v5
	v_add_nc_u32_e32 v36, 64, v36
	v_add_nc_u32_e32 v22, 0x100, v22
	s_or_b32 s13, vcc_lo, s13
	s_andn2_b32 exec_lo, exec_lo, s13
	s_cbranch_execz .LBB95_63
.LBB95_45:                              ; =>This Inner Loop Header: Depth=1
	v_sub_nc_u32_e32 v1, 0, v36
	v_max_i32_e32 v1, v36, v1
	v_mul_hi_u32 v2, v1, s12
	v_mul_lo_u32 v3, v2, s11
	v_sub_nc_u32_e32 v1, v1, v3
	v_add_nc_u32_e32 v3, 1, v2
	v_subrev_nc_u32_e32 v4, s11, v1
	v_cmp_le_u32_e32 vcc_lo, s11, v1
	v_cndmask_b32_e32 v2, v2, v3, vcc_lo
	v_cndmask_b32_e32 v1, v1, v4, vcc_lo
	v_ashrrev_i32_e32 v3, 31, v36
	v_add_nc_u32_e32 v4, 1, v2
	v_cmp_le_u32_e32 vcc_lo, s11, v1
	v_xor_b32_e32 v3, s19, v3
	v_cndmask_b32_e32 v1, v2, v4, vcc_lo
	v_xor_b32_e32 v1, v1, v3
	v_sub_nc_u32_e32 v1, v1, v3
	v_add_nc_u32_e32 v2, s33, v1
	v_cmp_lt_i32_e64 s1, s4, v1
	v_sub_nc_u32_e32 v3, 0, v2
	v_max_i32_e32 v3, v2, v3
	v_ashrrev_i32_e32 v2, 31, v2
	v_mul_hi_u32 v4, v3, v25
	v_mul_lo_u32 v4, v4, s9
	v_sub_nc_u32_e32 v3, v3, v4
	v_subrev_nc_u32_e32 v4, s9, v3
	v_cmp_le_u32_e32 vcc_lo, s9, v3
	v_cndmask_b32_e32 v3, v3, v4, vcc_lo
	v_subrev_nc_u32_e32 v4, s9, v3
	v_cmp_le_u32_e32 vcc_lo, s9, v3
	v_cndmask_b32_e32 v3, v3, v4, vcc_lo
	v_xor_b32_e32 v3, v3, v2
	v_sub_nc_u32_e32 v2, v3, v2
	v_cmp_eq_u32_e32 vcc_lo, 0, v2
	s_or_b32 s1, vcc_lo, s1
	s_and_saveexec_b32 s15, s1
	s_cbranch_execz .LBB95_44
; %bb.46:                               ;   in Loop: Header=BB95_45 Depth=1
	global_load_dword v8, v[6:7], off
	ds_read2_b64 v[1:4], v22 offset1:1
	ds_read2_b64 v[40:43], v22 offset0:2 offset1:3
	s_waitcnt lgkmcnt(1)
	;;#ASMSTART
	v_cvt_f16_f32 v32, v1;

	;;#ASMEND
	;;#ASMSTART
	v_cvt_f16_f32 v27, v2;

	;;#ASMEND
	;; [unrolled: 4-line block ×4, first 2 shown]
	s_waitcnt lgkmcnt(0)
	;;#ASMSTART
	v_cvt_f16_f32 v40, v40;

	;;#ASMEND
	;;#ASMSTART
	v_cvt_f16_f32 v37, v41;

	;;#ASMEND
	;; [unrolled: 4-line block ×4, first 2 shown]
	v_add_nc_u32_e32 v26, v20, v36
	v_cmp_eq_u32_e64 s1, s36, v5
	s_waitcnt vmcnt(0)
	v_mad_i64_i32 v[8:9], null, v8, s14, 0
	v_lshlrev_b64 v[8:9], 1, v[8:9]
	v_add_co_u32 v29, vcc_lo, s5, v8
	v_add_co_ci_u32_e64 v30, null, s6, v9, vcc_lo
	v_add_co_u32 v8, vcc_lo, v29, v23
	v_add_co_ci_u32_e64 v9, null, 0, v30, vcc_lo
	global_load_dwordx4 v[1:4], v[8:9], off
	s_waitcnt vmcnt(0)
	v_lshrrev_b32_e32 v43, 16, v1
	v_lshrrev_b32_e32 v42, 16, v2
	;; [unrolled: 1-line block ×3, first 2 shown]
	s_and_saveexec_b32 s17, s1
	s_cbranch_execz .LBB95_48
; %bb.47:                               ;   in Loop: Header=BB95_45 Depth=1
	v_add_nc_u32_e32 v44, 1, v26
	v_cmp_gt_i32_e32 vcc_lo, s27, v26
	v_add_nc_u32_e32 v45, 2, v26
	v_add_nc_u32_e32 v46, 3, v26
	v_and_b32_e32 v47, 0xffff0000, v4
	v_cndmask_b32_e32 v1, 0, v1, vcc_lo
	v_cmp_gt_i32_e32 vcc_lo, s27, v44
	v_add_nc_u32_e32 v44, 6, v26
	v_cndmask_b32_e32 v43, 0, v43, vcc_lo
	v_cmp_gt_i32_e32 vcc_lo, s27, v45
	v_add_nc_u32_e32 v45, 5, v26
	;; [unrolled: 3-line block ×4, first 2 shown]
	v_cndmask_b32_sdwa v4, v21, v4, vcc_lo dst_sel:DWORD dst_unused:UNUSED_PAD src0_sel:DWORD src1_sel:WORD_0
	v_cmp_gt_i32_e32 vcc_lo, s27, v46
	v_cndmask_b32_e32 v46, 0, v47, vcc_lo
	v_cmp_gt_i32_e32 vcc_lo, s27, v44
	v_or_b32_e32 v4, v4, v46
	v_cndmask_b32_e32 v3, 0, v3, vcc_lo
	v_cmp_gt_i32_e32 vcc_lo, s27, v45
	v_cndmask_b32_e32 v41, 0, v41, vcc_lo
.LBB95_48:                              ;   in Loop: Header=BB95_45 Depth=1
	s_or_b32 exec_lo, exec_lo, s17
	v_and_b32_e32 v32, 0xffff, v32
	v_and_b32_e32 v39, 0xffff, v39
	v_lshlrev_b32_e32 v43, 16, v43
	v_and_b32_e32 v40, 0xffff, v40
	v_and_b32_e32 v38, 0xffff, v38
	v_lshl_or_b32 v32, v27, 16, v32
	v_lshl_or_b32 v31, v31, 16, v39
	v_lshlrev_b32_e32 v27, 16, v42
	v_lshlrev_b32_e32 v39, 16, v41
	v_and_or_b32 v1, 0xffff, v1, v43
	;;#ASMSTART
	v_pk_mul_f16 v1, v32, v1;

	;;#ASMEND
	v_lshl_or_b32 v37, v37, 16, v40
	v_and_or_b32 v2, 0xffff, v2, v27
	v_and_or_b32 v3, 0xffff, v3, v39
	v_lshl_or_b32 v38, v28, 16, v38
	;;#ASMSTART
	v_pk_mul_f16 v2, v31, v2;

	;;#ASMEND
	;;#ASMSTART
	v_pk_mul_f16 v3, v37, v3;

	;;#ASMEND
	;; [unrolled: 4-line block ×3, first 2 shown]
	;;#ASMSTART
	v_pk_add_f16 v1, v1, v2;

	;;#ASMEND
	;;#ASMSTART
	v_pk_add_f16 v1, v1, v3;

	;;#ASMEND
	;; [unrolled: 4-line block ×3, first 2 shown]
	v_and_b32_e32 v2, 0xffff, v1
	v_lshrrev_b32_e32 v1, 16, v1
	;;#ASMSTART
	v_cvt_f32_f16 v27, v2;
	;;#ASMEND
	;;#ASMSTART
	v_cvt_f32_f16 v28, v1;
	;;#ASMEND
	global_load_dwordx4 v[1:4], v[8:9], off offset:512
	s_waitcnt vmcnt(0)
	v_lshrrev_b32_e32 v41, 16, v1
	v_lshrrev_b32_e32 v40, 16, v2
	;; [unrolled: 1-line block ×3, first 2 shown]
	s_and_saveexec_b32 s17, s1
	s_cbranch_execz .LBB95_50
; %bb.49:                               ;   in Loop: Header=BB95_45 Depth=1
	v_add_nc_u32_e32 v42, 1, v26
	v_cmp_gt_i32_e32 vcc_lo, s27, v26
	v_add_nc_u32_e32 v43, 2, v26
	v_add_nc_u32_e32 v44, 3, v26
	v_and_b32_e32 v45, 0xffff0000, v4
	v_cndmask_b32_e32 v1, 0, v1, vcc_lo
	v_cmp_gt_i32_e32 vcc_lo, s27, v42
	v_add_nc_u32_e32 v42, 6, v26
	v_cndmask_b32_e32 v41, 0, v41, vcc_lo
	v_cmp_gt_i32_e32 vcc_lo, s27, v43
	v_add_nc_u32_e32 v43, 5, v26
	;; [unrolled: 3-line block ×4, first 2 shown]
	v_cndmask_b32_sdwa v4, v21, v4, vcc_lo dst_sel:DWORD dst_unused:UNUSED_PAD src0_sel:DWORD src1_sel:WORD_0
	v_cmp_gt_i32_e32 vcc_lo, s27, v44
	v_cndmask_b32_e32 v44, 0, v45, vcc_lo
	v_cmp_gt_i32_e32 vcc_lo, s27, v42
	v_or_b32_e32 v4, v4, v44
	v_cndmask_b32_e32 v3, 0, v3, vcc_lo
	v_cmp_gt_i32_e32 vcc_lo, s27, v43
	v_cndmask_b32_e32 v39, 0, v39, vcc_lo
.LBB95_50:                              ;   in Loop: Header=BB95_45 Depth=1
	s_or_b32 exec_lo, exec_lo, s17
	v_lshlrev_b32_e32 v41, 16, v41
	v_lshlrev_b32_e32 v40, 16, v40
	;; [unrolled: 1-line block ×3, first 2 shown]
	v_and_or_b32 v1, 0xffff, v1, v41
	v_and_or_b32 v2, 0xffff, v2, v40
	;; [unrolled: 1-line block ×3, first 2 shown]
	;;#ASMSTART
	v_pk_mul_f16 v1, v32, v1;

	;;#ASMEND
	;;#ASMSTART
	v_pk_mul_f16 v2, v31, v2;

	;;#ASMEND
	;; [unrolled: 4-line block ×4, first 2 shown]
	;;#ASMSTART
	v_pk_add_f16 v1, v1, v2;

	;;#ASMEND
	;;#ASMSTART
	v_pk_add_f16 v1, v1, v3;

	;;#ASMEND
	;; [unrolled: 4-line block ×3, first 2 shown]
	v_and_b32_e32 v2, 0xffff, v1
	v_lshrrev_b32_e32 v1, 16, v1
	;;#ASMSTART
	v_cvt_f32_f16 v39, v2;
	;;#ASMEND
	;;#ASMSTART
	v_cvt_f32_f16 v40, v1;
	;;#ASMEND
	global_load_dwordx4 v[1:4], v[8:9], off offset:1024
	s_waitcnt vmcnt(0)
	v_lshrrev_b32_e32 v43, 16, v1
	v_lshrrev_b32_e32 v42, 16, v2
	;; [unrolled: 1-line block ×3, first 2 shown]
	s_and_saveexec_b32 s17, s1
	s_cbranch_execz .LBB95_52
; %bb.51:                               ;   in Loop: Header=BB95_45 Depth=1
	v_add_nc_u32_e32 v44, 1, v26
	v_cmp_gt_i32_e32 vcc_lo, s27, v26
	v_add_nc_u32_e32 v45, 2, v26
	v_add_nc_u32_e32 v46, 3, v26
	v_and_b32_e32 v47, 0xffff0000, v4
	v_cndmask_b32_e32 v1, 0, v1, vcc_lo
	v_cmp_gt_i32_e32 vcc_lo, s27, v44
	v_add_nc_u32_e32 v44, 6, v26
	v_cndmask_b32_e32 v43, 0, v43, vcc_lo
	v_cmp_gt_i32_e32 vcc_lo, s27, v45
	v_add_nc_u32_e32 v45, 5, v26
	;; [unrolled: 3-line block ×4, first 2 shown]
	v_cndmask_b32_sdwa v4, v21, v4, vcc_lo dst_sel:DWORD dst_unused:UNUSED_PAD src0_sel:DWORD src1_sel:WORD_0
	v_cmp_gt_i32_e32 vcc_lo, s27, v46
	v_cndmask_b32_e32 v46, 0, v47, vcc_lo
	v_cmp_gt_i32_e32 vcc_lo, s27, v44
	v_or_b32_e32 v4, v4, v46
	v_cndmask_b32_e32 v3, 0, v3, vcc_lo
	v_cmp_gt_i32_e32 vcc_lo, s27, v45
	v_cndmask_b32_e32 v41, 0, v41, vcc_lo
.LBB95_52:                              ;   in Loop: Header=BB95_45 Depth=1
	s_or_b32 exec_lo, exec_lo, s17
	v_lshlrev_b32_e32 v43, 16, v43
	v_lshlrev_b32_e32 v42, 16, v42
	;; [unrolled: 1-line block ×3, first 2 shown]
	v_and_or_b32 v1, 0xffff, v1, v43
	v_and_or_b32 v2, 0xffff, v2, v42
	;; [unrolled: 1-line block ×3, first 2 shown]
	;;#ASMSTART
	v_pk_mul_f16 v1, v32, v1;

	;;#ASMEND
	;;#ASMSTART
	v_pk_mul_f16 v2, v31, v2;

	;;#ASMEND
	;; [unrolled: 4-line block ×4, first 2 shown]
	;;#ASMSTART
	v_pk_add_f16 v1, v1, v2;

	;;#ASMEND
	;;#ASMSTART
	v_pk_add_f16 v1, v1, v3;

	;;#ASMEND
	;; [unrolled: 4-line block ×3, first 2 shown]
	v_and_b32_e32 v2, 0xffff, v1
	v_lshrrev_b32_e32 v1, 16, v1
	;;#ASMSTART
	v_cvt_f32_f16 v41, v2;
	;;#ASMEND
	;;#ASMSTART
	v_cvt_f32_f16 v42, v1;
	;;#ASMEND
	global_load_dwordx4 v[1:4], v[8:9], off offset:1536
	s_waitcnt vmcnt(0)
	v_lshrrev_b32_e32 v45, 16, v1
	v_lshrrev_b32_e32 v44, 16, v2
	;; [unrolled: 1-line block ×3, first 2 shown]
	s_and_saveexec_b32 s17, s1
	s_cbranch_execz .LBB95_54
; %bb.53:                               ;   in Loop: Header=BB95_45 Depth=1
	v_add_nc_u32_e32 v46, 1, v26
	v_cmp_gt_i32_e32 vcc_lo, s27, v26
	v_add_nc_u32_e32 v47, 2, v26
	v_add_nc_u32_e32 v48, 3, v26
	v_and_b32_e32 v49, 0xffff0000, v4
	v_cndmask_b32_e32 v1, 0, v1, vcc_lo
	v_cmp_gt_i32_e32 vcc_lo, s27, v46
	v_add_nc_u32_e32 v46, 6, v26
	v_cndmask_b32_e32 v45, 0, v45, vcc_lo
	v_cmp_gt_i32_e32 vcc_lo, s27, v47
	v_add_nc_u32_e32 v47, 5, v26
	;; [unrolled: 3-line block ×4, first 2 shown]
	v_cndmask_b32_sdwa v4, v21, v4, vcc_lo dst_sel:DWORD dst_unused:UNUSED_PAD src0_sel:DWORD src1_sel:WORD_0
	v_cmp_gt_i32_e32 vcc_lo, s27, v48
	v_cndmask_b32_e32 v48, 0, v49, vcc_lo
	v_cmp_gt_i32_e32 vcc_lo, s27, v46
	v_or_b32_e32 v4, v4, v48
	v_cndmask_b32_e32 v3, 0, v3, vcc_lo
	v_cmp_gt_i32_e32 vcc_lo, s27, v47
	v_cndmask_b32_e32 v43, 0, v43, vcc_lo
.LBB95_54:                              ;   in Loop: Header=BB95_45 Depth=1
	s_or_b32 exec_lo, exec_lo, s17
	v_lshlrev_b32_e32 v45, 16, v45
	v_lshlrev_b32_e32 v44, 16, v44
	;; [unrolled: 1-line block ×3, first 2 shown]
	v_add_co_u32 v8, vcc_lo, 0x800, v8
	v_and_or_b32 v1, 0xffff, v1, v45
	v_and_or_b32 v2, 0xffff, v2, v44
	;; [unrolled: 1-line block ×3, first 2 shown]
	;;#ASMSTART
	v_pk_mul_f16 v1, v32, v1;

	;;#ASMEND
	v_add_co_ci_u32_e64 v9, null, 0, v9, vcc_lo
	;;#ASMSTART
	v_pk_mul_f16 v2, v31, v2;

	;;#ASMEND
	;;#ASMSTART
	v_pk_mul_f16 v3, v37, v3;

	;;#ASMEND
	;; [unrolled: 4-line block ×3, first 2 shown]
	;;#ASMSTART
	v_pk_add_f16 v1, v1, v2;

	;;#ASMEND
	;;#ASMSTART
	v_pk_add_f16 v1, v1, v3;

	;;#ASMEND
	;; [unrolled: 4-line block ×3, first 2 shown]
	v_lshrrev_b32_e32 v2, 16, v1
	v_and_b32_e32 v1, 0xffff, v1
	;;#ASMSTART
	v_cvt_f32_f16 v43, v1;
	;;#ASMEND
	;;#ASMSTART
	v_cvt_f32_f16 v44, v2;
	;;#ASMEND
	global_load_dwordx4 v[1:4], v[8:9], off
	s_waitcnt vmcnt(0)
	v_lshrrev_b32_e32 v47, 16, v1
	v_lshrrev_b32_e32 v46, 16, v2
	;; [unrolled: 1-line block ×3, first 2 shown]
	s_and_saveexec_b32 s17, s1
	s_cbranch_execz .LBB95_56
; %bb.55:                               ;   in Loop: Header=BB95_45 Depth=1
	v_add_nc_u32_e32 v48, 1, v26
	v_cmp_gt_i32_e32 vcc_lo, s27, v26
	v_add_nc_u32_e32 v49, 2, v26
	v_add_nc_u32_e32 v50, 3, v26
	v_and_b32_e32 v51, 0xffff0000, v4
	v_cndmask_b32_e32 v1, 0, v1, vcc_lo
	v_cmp_gt_i32_e32 vcc_lo, s27, v48
	v_add_nc_u32_e32 v48, 6, v26
	v_cndmask_b32_e32 v47, 0, v47, vcc_lo
	v_cmp_gt_i32_e32 vcc_lo, s27, v49
	v_add_nc_u32_e32 v49, 5, v26
	;; [unrolled: 3-line block ×4, first 2 shown]
	v_cndmask_b32_sdwa v4, v21, v4, vcc_lo dst_sel:DWORD dst_unused:UNUSED_PAD src0_sel:DWORD src1_sel:WORD_0
	v_cmp_gt_i32_e32 vcc_lo, s27, v50
	v_cndmask_b32_e32 v50, 0, v51, vcc_lo
	v_cmp_gt_i32_e32 vcc_lo, s27, v48
	v_or_b32_e32 v4, v4, v50
	v_cndmask_b32_e32 v3, 0, v3, vcc_lo
	v_cmp_gt_i32_e32 vcc_lo, s27, v49
	v_cndmask_b32_e32 v45, 0, v45, vcc_lo
.LBB95_56:                              ;   in Loop: Header=BB95_45 Depth=1
	s_or_b32 exec_lo, exec_lo, s17
	v_lshlrev_b32_e32 v47, 16, v47
	v_lshlrev_b32_e32 v46, 16, v46
	;; [unrolled: 1-line block ×3, first 2 shown]
	v_and_or_b32 v1, 0xffff, v1, v47
	v_and_or_b32 v2, 0xffff, v2, v46
	;; [unrolled: 1-line block ×3, first 2 shown]
	;;#ASMSTART
	v_pk_mul_f16 v1, v32, v1;

	;;#ASMEND
	;;#ASMSTART
	v_pk_mul_f16 v2, v31, v2;

	;;#ASMEND
	;; [unrolled: 4-line block ×4, first 2 shown]
	;;#ASMSTART
	v_pk_add_f16 v1, v1, v2;

	;;#ASMEND
	;;#ASMSTART
	v_pk_add_f16 v1, v1, v3;

	;;#ASMEND
	;; [unrolled: 4-line block ×3, first 2 shown]
	v_and_b32_e32 v2, 0xffff, v1
	v_lshrrev_b32_e32 v1, 16, v1
	;;#ASMSTART
	v_cvt_f32_f16 v45, v2;
	;;#ASMEND
	;;#ASMSTART
	v_cvt_f32_f16 v46, v1;
	;;#ASMEND
	global_load_dwordx4 v[1:4], v[8:9], off offset:512
	s_waitcnt vmcnt(0)
	v_lshrrev_b32_e32 v49, 16, v1
	v_lshrrev_b32_e32 v48, 16, v2
	;; [unrolled: 1-line block ×3, first 2 shown]
	s_and_saveexec_b32 s17, s1
	s_cbranch_execz .LBB95_58
; %bb.57:                               ;   in Loop: Header=BB95_45 Depth=1
	v_add_nc_u32_e32 v50, 1, v26
	v_cmp_gt_i32_e32 vcc_lo, s27, v26
	v_add_nc_u32_e32 v51, 2, v26
	v_add_nc_u32_e32 v52, 3, v26
	v_and_b32_e32 v53, 0xffff0000, v4
	v_cndmask_b32_e32 v1, 0, v1, vcc_lo
	v_cmp_gt_i32_e32 vcc_lo, s27, v50
	v_add_nc_u32_e32 v50, 6, v26
	v_cndmask_b32_e32 v49, 0, v49, vcc_lo
	v_cmp_gt_i32_e32 vcc_lo, s27, v51
	v_add_nc_u32_e32 v51, 5, v26
	;; [unrolled: 3-line block ×4, first 2 shown]
	v_cndmask_b32_sdwa v4, v21, v4, vcc_lo dst_sel:DWORD dst_unused:UNUSED_PAD src0_sel:DWORD src1_sel:WORD_0
	v_cmp_gt_i32_e32 vcc_lo, s27, v52
	v_cndmask_b32_e32 v52, 0, v53, vcc_lo
	v_cmp_gt_i32_e32 vcc_lo, s27, v50
	v_or_b32_e32 v4, v4, v52
	v_cndmask_b32_e32 v3, 0, v3, vcc_lo
	v_cmp_gt_i32_e32 vcc_lo, s27, v51
	v_cndmask_b32_e32 v47, 0, v47, vcc_lo
.LBB95_58:                              ;   in Loop: Header=BB95_45 Depth=1
	s_or_b32 exec_lo, exec_lo, s17
	v_lshlrev_b32_e32 v49, 16, v49
	v_lshlrev_b32_e32 v48, 16, v48
	v_lshlrev_b32_e32 v47, 16, v47
	v_and_or_b32 v1, 0xffff, v1, v49
	v_and_or_b32 v2, 0xffff, v2, v48
	v_and_or_b32 v3, 0xffff, v3, v47
	;;#ASMSTART
	v_pk_mul_f16 v1, v32, v1;

	;;#ASMEND
	;;#ASMSTART
	v_pk_mul_f16 v2, v31, v2;

	;;#ASMEND
	;; [unrolled: 4-line block ×4, first 2 shown]
	;;#ASMSTART
	v_pk_add_f16 v1, v1, v2;

	;;#ASMEND
	;;#ASMSTART
	v_pk_add_f16 v1, v1, v3;

	;;#ASMEND
	;; [unrolled: 4-line block ×3, first 2 shown]
	v_and_b32_e32 v2, 0xffff, v1
	v_lshrrev_b32_e32 v1, 16, v1
	;;#ASMSTART
	v_cvt_f32_f16 v47, v2;
	;;#ASMEND
	;;#ASMSTART
	v_cvt_f32_f16 v48, v1;
	;;#ASMEND
	global_load_dwordx4 v[1:4], v[8:9], off offset:1024
	s_waitcnt vmcnt(0)
	v_lshrrev_b32_e32 v49, 16, v1
	v_lshrrev_b32_e32 v9, 16, v2
	;; [unrolled: 1-line block ×3, first 2 shown]
	s_and_saveexec_b32 s17, s1
	s_cbranch_execz .LBB95_60
; %bb.59:                               ;   in Loop: Header=BB95_45 Depth=1
	v_add_nc_u32_e32 v50, 1, v26
	v_cmp_gt_i32_e32 vcc_lo, s27, v26
	v_add_nc_u32_e32 v51, 2, v26
	v_add_nc_u32_e32 v52, 3, v26
	v_and_b32_e32 v53, 0xffff0000, v4
	v_cndmask_b32_e32 v1, 0, v1, vcc_lo
	v_cmp_gt_i32_e32 vcc_lo, s27, v50
	v_add_nc_u32_e32 v50, 6, v26
	v_cndmask_b32_e32 v49, 0, v49, vcc_lo
	v_cmp_gt_i32_e32 vcc_lo, s27, v51
	v_add_nc_u32_e32 v51, 5, v26
	;; [unrolled: 3-line block ×4, first 2 shown]
	v_cndmask_b32_sdwa v4, v21, v4, vcc_lo dst_sel:DWORD dst_unused:UNUSED_PAD src0_sel:DWORD src1_sel:WORD_0
	v_cmp_gt_i32_e32 vcc_lo, s27, v52
	v_cndmask_b32_e32 v52, 0, v53, vcc_lo
	v_cmp_gt_i32_e32 vcc_lo, s27, v50
	v_or_b32_e32 v4, v4, v52
	v_cndmask_b32_e32 v3, 0, v3, vcc_lo
	v_cmp_gt_i32_e32 vcc_lo, s27, v51
	v_cndmask_b32_e32 v8, 0, v8, vcc_lo
.LBB95_60:                              ;   in Loop: Header=BB95_45 Depth=1
	s_or_b32 exec_lo, exec_lo, s17
	v_lshlrev_b32_e32 v49, 16, v49
	v_lshlrev_b32_e32 v9, 16, v9
	;; [unrolled: 1-line block ×3, first 2 shown]
	v_and_or_b32 v1, 0xffff, v1, v49
	v_and_or_b32 v2, 0xffff, v2, v9
	;; [unrolled: 1-line block ×3, first 2 shown]
	;;#ASMSTART
	v_pk_mul_f16 v1, v32, v1;

	;;#ASMEND
	;;#ASMSTART
	v_pk_mul_f16 v2, v31, v2;

	;;#ASMEND
	;; [unrolled: 4-line block ×4, first 2 shown]
	;;#ASMSTART
	v_pk_add_f16 v1, v1, v2;

	;;#ASMEND
	;;#ASMSTART
	v_pk_add_f16 v1, v1, v3;

	;;#ASMEND
	;;#ASMSTART
	v_pk_add_f16 v1, v1, v4;

	;;#ASMEND
	v_and_b32_e32 v2, 0xffff, v1
	v_lshrrev_b32_e32 v1, 16, v1
	;;#ASMSTART
	v_cvt_f32_f16 v8, v2;
	;;#ASMEND
	;;#ASMSTART
	v_cvt_f32_f16 v9, v1;
	;;#ASMEND
	s_and_saveexec_b32 s17, s0
	s_cbranch_execz .LBB95_43
; %bb.61:                               ;   in Loop: Header=BB95_45 Depth=1
	v_add_co_u32 v1, vcc_lo, v29, v24
	v_add_co_ci_u32_e64 v2, null, 0, v30, vcc_lo
	global_load_dwordx4 v[1:4], v[1:2], off
	s_waitcnt vmcnt(0)
	v_lshrrev_b32_e32 v49, 16, v1
	v_lshrrev_b32_e32 v30, 16, v2
	;; [unrolled: 1-line block ×3, first 2 shown]
	s_and_saveexec_b32 s18, s1
	s_cbranch_execz .LBB95_42
; %bb.62:                               ;   in Loop: Header=BB95_45 Depth=1
	v_add_nc_u32_e32 v50, 1, v26
	v_cmp_gt_i32_e32 vcc_lo, s27, v26
	v_add_nc_u32_e32 v51, 2, v26
	v_add_nc_u32_e32 v52, 3, v26
	v_cndmask_b32_e32 v1, 0, v1, vcc_lo
	v_cmp_gt_i32_e32 vcc_lo, s27, v50
	v_add_nc_u32_e32 v50, 6, v26
	v_cndmask_b32_e32 v49, 0, v49, vcc_lo
	v_cmp_gt_i32_e32 vcc_lo, s27, v51
	v_add_nc_u32_e32 v51, 5, v26
	v_cndmask_b32_e32 v2, 0, v2, vcc_lo
	v_cmp_gt_i32_e32 vcc_lo, s27, v52
	v_and_b32_e32 v52, 0xffff0000, v4
	v_cndmask_b32_e32 v30, 0, v30, vcc_lo
	v_cmp_gt_i32_e32 vcc_lo, s27, v50
	v_add_nc_u32_e32 v50, 4, v26
	v_add_nc_u32_e32 v26, 7, v26
	v_cndmask_b32_sdwa v4, v21, v4, vcc_lo dst_sel:DWORD dst_unused:UNUSED_PAD src0_sel:DWORD src1_sel:WORD_0
	v_cmp_gt_i32_e32 vcc_lo, s27, v26
	v_cndmask_b32_e32 v26, 0, v52, vcc_lo
	v_cmp_gt_i32_e32 vcc_lo, s27, v50
	v_or_b32_e32 v4, v4, v26
	v_cndmask_b32_e32 v3, 0, v3, vcc_lo
	v_cmp_gt_i32_e32 vcc_lo, s27, v51
	v_cndmask_b32_e32 v29, 0, v29, vcc_lo
	s_branch .LBB95_42
.LBB95_63:
	s_or_b32 exec_lo, exec_lo, s13
.LBB95_64:
	s_or_b32 exec_lo, exec_lo, s3
	ds_bpermute_b32 v1, v11, v19
	ds_bpermute_b32 v2, v11, v18
	;; [unrolled: 1-line block ×8, first 2 shown]
	s_movk_i32 s0, 0x1e0
	v_and_b32_e32 v23, 0x3c0, v0
	v_mad_u32_u24 v9, v35, s0, 0x110
	s_mov_b32 s1, exec_lo
	v_cmp_eq_u32_e32 vcc_lo, 0, v34
	s_waitcnt lgkmcnt(0)
	s_waitcnt_vscnt null, 0x0
	s_barrier
	buffer_gl0_inv
	v_add_f32_e32 v8, v19, v1
	v_add_f32_e32 v7, v18, v2
	;; [unrolled: 1-line block ×8, first 2 shown]
	v_cmpx_eq_u32_e32 64, v23
	s_cbranch_execz .LBB95_69
; %bb.65:
	v_add_nc_u32_e32 v11, 0xfffffc40, v9
	s_and_saveexec_b32 s0, vcc_lo
	s_cbranch_execz .LBB95_67
; %bb.66:
	v_lshl_add_u32 v12, v10, 2, v11
	ds_write2_b32 v12, v8, v7 offset1:16
	ds_write2_b32 v12, v6, v5 offset0:32 offset1:48
	ds_write2_b32 v12, v4, v3 offset0:64 offset1:80
	ds_write_b32 v12, v2 offset:384
.LBB95_67:
	s_or_b32 exec_lo, exec_lo, s0
	v_or_b32_e32 v12, 0x70, v10
	v_cmp_gt_u32_e64 s0, 0x78, v12
	s_and_b32 s0, vcc_lo, s0
	s_and_b32 exec_lo, exec_lo, s0
; %bb.68:
	v_lshl_add_u32 v11, v12, 2, v11
	ds_write_b32 v11, v1
.LBB95_69:
	s_or_b32 exec_lo, exec_lo, s1
	s_mov_b32 s1, exec_lo
	s_waitcnt lgkmcnt(0)
	s_barrier
	buffer_gl0_inv
	v_cmpx_gt_u32_e32 64, v0
	s_cbranch_execz .LBB95_81
; %bb.70:
	s_and_saveexec_b32 s0, vcc_lo
	s_cbranch_execnz .LBB95_116
; %bb.71:
	s_or_b32 exec_lo, exec_lo, s0
	s_and_saveexec_b32 s0, vcc_lo
	s_cbranch_execnz .LBB95_117
.LBB95_72:
	s_or_b32 exec_lo, exec_lo, s0
	s_and_saveexec_b32 s0, vcc_lo
	s_cbranch_execnz .LBB95_118
.LBB95_73:
	s_or_b32 exec_lo, exec_lo, s0
	s_and_saveexec_b32 s0, vcc_lo
	s_cbranch_execnz .LBB95_119
.LBB95_74:
	s_or_b32 exec_lo, exec_lo, s0
	s_and_saveexec_b32 s0, vcc_lo
	s_cbranch_execnz .LBB95_120
.LBB95_75:
	s_or_b32 exec_lo, exec_lo, s0
	s_and_saveexec_b32 s0, vcc_lo
	s_cbranch_execnz .LBB95_121
.LBB95_76:
	s_or_b32 exec_lo, exec_lo, s0
	s_and_saveexec_b32 s0, vcc_lo
	s_cbranch_execz .LBB95_78
.LBB95_77:
	v_lshl_add_u32 v11, v10, 2, v9
	ds_read_b32 v11, v11 offset:384
	s_waitcnt lgkmcnt(0)
	v_add_f32_e32 v2, v2, v11
.LBB95_78:
	s_or_b32 exec_lo, exec_lo, s0
	v_or_b32_e32 v11, 0x70, v10
	v_cmp_gt_u32_e64 s0, 0x78, v11
	s_and_b32 s3, vcc_lo, s0
	s_and_saveexec_b32 s0, s3
	s_cbranch_execz .LBB95_80
; %bb.79:
	v_lshl_add_u32 v11, v10, 2, v9
	ds_read_b32 v11, v11 offset:448
	s_waitcnt lgkmcnt(0)
	v_add_f32_e32 v1, v1, v11
.LBB95_80:
	s_or_b32 exec_lo, exec_lo, s0
.LBB95_81:
	s_or_b32 exec_lo, exec_lo, s1
	v_and_b32_e32 v11, 0x3e0, v0
	s_mov_b32 s1, exec_lo
	s_barrier
	buffer_gl0_inv
	v_cmpx_eq_u32_e32 32, v11
	s_cbranch_execz .LBB95_86
; %bb.82:
	v_lshl_add_u32 v11, v10, 2, 0x110
	s_and_saveexec_b32 s0, vcc_lo
	s_cbranch_execz .LBB95_84
; %bb.83:
	ds_write2_b32 v11, v8, v7 offset1:16
	ds_write2_b32 v11, v6, v5 offset0:32 offset1:48
	ds_write2_b32 v11, v4, v3 offset0:64 offset1:80
	ds_write_b32 v11, v2 offset:384
.LBB95_84:
	s_or_b32 exec_lo, exec_lo, s0
	v_or_b32_e32 v12, 0x70, v10
	v_cmp_gt_u32_e64 s0, 0x78, v12
	s_and_b32 s0, vcc_lo, s0
	s_and_b32 exec_lo, exec_lo, s0
; %bb.85:
	ds_write_b32 v11, v1 offset:448
.LBB95_86:
	s_or_b32 exec_lo, exec_lo, s1
	v_cmp_gt_u32_e64 s0, 32, v0
	s_waitcnt lgkmcnt(0)
	s_barrier
	buffer_gl0_inv
	s_and_saveexec_b32 s3, s0
	s_cbranch_execz .LBB95_98
; %bb.87:
	v_lshl_add_u32 v0, v10, 2, v9
	s_and_saveexec_b32 s1, vcc_lo
	s_cbranch_execnz .LBB95_122
; %bb.88:
	s_or_b32 exec_lo, exec_lo, s1
	s_and_saveexec_b32 s1, vcc_lo
	s_cbranch_execnz .LBB95_123
.LBB95_89:
	s_or_b32 exec_lo, exec_lo, s1
	s_and_saveexec_b32 s1, vcc_lo
	s_cbranch_execnz .LBB95_124
.LBB95_90:
	s_or_b32 exec_lo, exec_lo, s1
	s_and_saveexec_b32 s1, vcc_lo
	s_cbranch_execnz .LBB95_125
.LBB95_91:
	s_or_b32 exec_lo, exec_lo, s1
	s_and_saveexec_b32 s1, vcc_lo
	s_cbranch_execnz .LBB95_126
.LBB95_92:
	s_or_b32 exec_lo, exec_lo, s1
	s_and_saveexec_b32 s1, vcc_lo
	s_cbranch_execnz .LBB95_127
.LBB95_93:
	s_or_b32 exec_lo, exec_lo, s1
	s_and_saveexec_b32 s1, vcc_lo
	s_cbranch_execz .LBB95_95
.LBB95_94:
	ds_read_b32 v9, v0 offset:384
	s_waitcnt lgkmcnt(0)
	v_add_f32_e32 v2, v2, v9
.LBB95_95:
	s_or_b32 exec_lo, exec_lo, s1
	v_or_b32_e32 v9, 0x70, v10
	v_cmp_gt_u32_e64 s1, 0x78, v9
	s_and_b32 s4, vcc_lo, s1
	s_and_saveexec_b32 s1, s4
	s_cbranch_execz .LBB95_97
; %bb.96:
	ds_read_b32 v0, v0 offset:448
	s_waitcnt lgkmcnt(0)
	v_add_f32_e32 v1, v1, v0
.LBB95_97:
	s_or_b32 exec_lo, exec_lo, s1
.LBB95_98:
	s_or_b32 exec_lo, exec_lo, s3
	s_barrier
	buffer_gl0_inv
	s_and_saveexec_b32 s1, s0
	s_cbranch_execz .LBB95_115
; %bb.99:
	s_mul_i32 s0, s2, 0x78
	s_mul_i32 s2, s7, s10
	s_ashr_i32 s1, s0, 31
	v_lshlrev_b32_e32 v0, 1, v33
	s_lshl_b64 s[0:1], s[0:1], 1
	s_add_u32 s4, s24, s0
	s_addc_u32 s5, s25, s1
	s_ashr_i32 s3, s2, 31
	s_lshl_b64 s[0:1], s[2:3], 1
	s_mul_i32 s2, s8, 0x78
	s_add_u32 s4, s4, s0
	s_addc_u32 s5, s5, s1
	s_ashr_i32 s3, s2, 31
	s_lshl_b64 s[0:1], s[2:3], 1
	s_add_u32 s2, s4, s0
	s_addc_u32 s3, s5, s1
	s_and_saveexec_b32 s0, vcc_lo
	s_cbranch_execz .LBB95_101
; %bb.100:
	;;#ASMSTART
	v_cvt_f16_f32 v8, v8;

	;;#ASMEND
	global_store_short v0, v8, s[2:3]
.LBB95_101:
	s_or_b32 exec_lo, exec_lo, s0
	v_or_b32_e32 v8, 16, v33
	v_cmp_gt_u32_e64 s0, 0x78, v8
	s_and_b32 s1, vcc_lo, s0
	s_and_saveexec_b32 s0, s1
	s_cbranch_execz .LBB95_103
; %bb.102:
	;;#ASMSTART
	v_cvt_f16_f32 v7, v7;

	;;#ASMEND
	global_store_short v0, v7, s[2:3] offset:32
.LBB95_103:
	s_or_b32 exec_lo, exec_lo, s0
	v_or_b32_e32 v7, 32, v33
	v_cmp_gt_u32_e64 s0, 0x78, v7
	s_and_b32 s1, vcc_lo, s0
	s_and_saveexec_b32 s0, s1
	s_cbranch_execz .LBB95_105
; %bb.104:
	;;#ASMSTART
	v_cvt_f16_f32 v6, v6;

	;;#ASMEND
	global_store_short v0, v6, s[2:3] offset:64
.LBB95_105:
	s_or_b32 exec_lo, exec_lo, s0
	v_or_b32_e32 v6, 48, v33
	v_cmp_gt_u32_e64 s0, 0x78, v6
	s_and_b32 s1, vcc_lo, s0
	s_and_saveexec_b32 s0, s1
	s_cbranch_execz .LBB95_107
; %bb.106:
	;;#ASMSTART
	v_cvt_f16_f32 v5, v5;

	;;#ASMEND
	global_store_short v0, v5, s[2:3] offset:96
.LBB95_107:
	s_or_b32 exec_lo, exec_lo, s0
	v_or_b32_e32 v5, 64, v33
	v_cmp_gt_u32_e64 s0, 0x78, v5
	s_and_b32 s1, vcc_lo, s0
	s_and_saveexec_b32 s0, s1
	s_cbranch_execz .LBB95_109
; %bb.108:
	;;#ASMSTART
	v_cvt_f16_f32 v4, v4;

	;;#ASMEND
	global_store_short v0, v4, s[2:3] offset:128
.LBB95_109:
	s_or_b32 exec_lo, exec_lo, s0
	v_or_b32_e32 v4, 0x50, v33
	v_cmp_gt_u32_e64 s0, 0x78, v4
	s_and_b32 s1, vcc_lo, s0
	s_and_saveexec_b32 s0, s1
	s_cbranch_execz .LBB95_111
; %bb.110:
	;;#ASMSTART
	v_cvt_f16_f32 v3, v3;

	;;#ASMEND
	global_store_short v0, v3, s[2:3] offset:160
.LBB95_111:
	s_or_b32 exec_lo, exec_lo, s0
	v_or_b32_e32 v3, 0x60, v33
	v_cmp_gt_u32_e64 s0, 0x78, v3
	s_and_b32 s1, vcc_lo, s0
	s_and_saveexec_b32 s0, s1
	s_cbranch_execz .LBB95_113
; %bb.112:
	;;#ASMSTART
	v_cvt_f16_f32 v2, v2;

	;;#ASMEND
	global_store_short v0, v2, s[2:3] offset:192
.LBB95_113:
	s_or_b32 exec_lo, exec_lo, s0
	v_or_b32_e32 v2, 0x70, v33
	v_cmp_gt_u32_e64 s0, 0x78, v2
	s_and_b32 s0, vcc_lo, s0
	s_and_b32 exec_lo, exec_lo, s0
	s_cbranch_execz .LBB95_115
; %bb.114:
	;;#ASMSTART
	v_cvt_f16_f32 v1, v1;

	;;#ASMEND
	global_store_short v0, v1, s[2:3] offset:224
.LBB95_115:
	s_endpgm
.LBB95_116:
	v_lshl_add_u32 v11, v10, 2, v9
	ds_read_b32 v11, v11
	s_waitcnt lgkmcnt(0)
	v_add_f32_e32 v8, v8, v11
	s_or_b32 exec_lo, exec_lo, s0
	s_and_saveexec_b32 s0, vcc_lo
	s_cbranch_execz .LBB95_72
.LBB95_117:
	v_lshl_add_u32 v11, v10, 2, v9
	ds_read_b32 v11, v11 offset:64
	s_waitcnt lgkmcnt(0)
	v_add_f32_e32 v7, v7, v11
	s_or_b32 exec_lo, exec_lo, s0
	s_and_saveexec_b32 s0, vcc_lo
	s_cbranch_execz .LBB95_73
.LBB95_118:
	v_lshl_add_u32 v11, v10, 2, v9
	ds_read_b32 v11, v11 offset:128
	s_waitcnt lgkmcnt(0)
	v_add_f32_e32 v6, v6, v11
	s_or_b32 exec_lo, exec_lo, s0
	s_and_saveexec_b32 s0, vcc_lo
	s_cbranch_execz .LBB95_74
.LBB95_119:
	v_lshl_add_u32 v11, v10, 2, v9
	ds_read_b32 v11, v11 offset:192
	s_waitcnt lgkmcnt(0)
	v_add_f32_e32 v5, v5, v11
	s_or_b32 exec_lo, exec_lo, s0
	s_and_saveexec_b32 s0, vcc_lo
	s_cbranch_execz .LBB95_75
.LBB95_120:
	v_lshl_add_u32 v11, v10, 2, v9
	ds_read_b32 v11, v11 offset:256
	s_waitcnt lgkmcnt(0)
	v_add_f32_e32 v4, v4, v11
	s_or_b32 exec_lo, exec_lo, s0
	s_and_saveexec_b32 s0, vcc_lo
	s_cbranch_execz .LBB95_76
.LBB95_121:
	v_lshl_add_u32 v11, v10, 2, v9
	ds_read_b32 v11, v11 offset:320
	s_waitcnt lgkmcnt(0)
	v_add_f32_e32 v3, v3, v11
	s_or_b32 exec_lo, exec_lo, s0
	s_and_saveexec_b32 s0, vcc_lo
	s_cbranch_execnz .LBB95_77
	s_branch .LBB95_78
.LBB95_122:
	ds_read_b32 v9, v0
	s_waitcnt lgkmcnt(0)
	v_add_f32_e32 v8, v8, v9
	s_or_b32 exec_lo, exec_lo, s1
	s_and_saveexec_b32 s1, vcc_lo
	s_cbranch_execz .LBB95_89
.LBB95_123:
	ds_read_b32 v9, v0 offset:64
	s_waitcnt lgkmcnt(0)
	v_add_f32_e32 v7, v7, v9
	s_or_b32 exec_lo, exec_lo, s1
	s_and_saveexec_b32 s1, vcc_lo
	s_cbranch_execz .LBB95_90
.LBB95_124:
	ds_read_b32 v9, v0 offset:128
	s_waitcnt lgkmcnt(0)
	v_add_f32_e32 v6, v6, v9
	s_or_b32 exec_lo, exec_lo, s1
	s_and_saveexec_b32 s1, vcc_lo
	s_cbranch_execz .LBB95_91
.LBB95_125:
	ds_read_b32 v9, v0 offset:192
	s_waitcnt lgkmcnt(0)
	v_add_f32_e32 v5, v5, v9
	s_or_b32 exec_lo, exec_lo, s1
	s_and_saveexec_b32 s1, vcc_lo
	s_cbranch_execz .LBB95_92
.LBB95_126:
	ds_read_b32 v9, v0 offset:256
	s_waitcnt lgkmcnt(0)
	v_add_f32_e32 v4, v4, v9
	s_or_b32 exec_lo, exec_lo, s1
	s_and_saveexec_b32 s1, vcc_lo
	s_cbranch_execz .LBB95_93
.LBB95_127:
	ds_read_b32 v9, v0 offset:320
	s_waitcnt lgkmcnt(0)
	v_add_f32_e32 v3, v3, v9
	s_or_b32 exec_lo, exec_lo, s1
	s_and_saveexec_b32 s1, vcc_lo
	s_cbranch_execnz .LBB95_94
	s_branch .LBB95_95
	.section	.rodata,"a",@progbits
	.p2align	6, 0x0
	.amdhsa_kernel _ZN4vllm25paged_attention_v2_kernelIttLi120ELi16ELi128ELNS_18Fp8KVCacheDataTypeE0ELb1ELi512EEEvPfS2_PT_PKS3_PKT0_S9_ifPKiSB_iPKfiiiSD_SD_iiiii
		.amdhsa_group_segment_fixed_size 272
		.amdhsa_private_segment_fixed_size 0
		.amdhsa_kernarg_size 400
		.amdhsa_user_sgpr_count 6
		.amdhsa_user_sgpr_private_segment_buffer 1
		.amdhsa_user_sgpr_dispatch_ptr 0
		.amdhsa_user_sgpr_queue_ptr 0
		.amdhsa_user_sgpr_kernarg_segment_ptr 1
		.amdhsa_user_sgpr_dispatch_id 0
		.amdhsa_user_sgpr_flat_scratch_init 0
		.amdhsa_user_sgpr_private_segment_size 0
		.amdhsa_wavefront_size32 1
		.amdhsa_uses_dynamic_stack 0
		.amdhsa_system_sgpr_private_segment_wavefront_offset 0
		.amdhsa_system_sgpr_workgroup_id_x 1
		.amdhsa_system_sgpr_workgroup_id_y 1
		.amdhsa_system_sgpr_workgroup_id_z 1
		.amdhsa_system_sgpr_workgroup_info 0
		.amdhsa_system_vgpr_workitem_id 0
		.amdhsa_next_free_vgpr 94
		.amdhsa_next_free_sgpr 46
		.amdhsa_reserve_vcc 1
		.amdhsa_reserve_flat_scratch 0
		.amdhsa_float_round_mode_32 0
		.amdhsa_float_round_mode_16_64 0
		.amdhsa_float_denorm_mode_32 3
		.amdhsa_float_denorm_mode_16_64 3
		.amdhsa_dx10_clamp 1
		.amdhsa_ieee_mode 1
		.amdhsa_fp16_overflow 0
		.amdhsa_workgroup_processor_mode 1
		.amdhsa_memory_ordered 1
		.amdhsa_forward_progress 1
		.amdhsa_shared_vgpr_count 0
		.amdhsa_exception_fp_ieee_invalid_op 0
		.amdhsa_exception_fp_denorm_src 0
		.amdhsa_exception_fp_ieee_div_zero 0
		.amdhsa_exception_fp_ieee_overflow 0
		.amdhsa_exception_fp_ieee_underflow 0
		.amdhsa_exception_fp_ieee_inexact 0
		.amdhsa_exception_int_div_zero 0
	.end_amdhsa_kernel
	.section	.text._ZN4vllm25paged_attention_v2_kernelIttLi120ELi16ELi128ELNS_18Fp8KVCacheDataTypeE0ELb1ELi512EEEvPfS2_PT_PKS3_PKT0_S9_ifPKiSB_iPKfiiiSD_SD_iiiii,"axG",@progbits,_ZN4vllm25paged_attention_v2_kernelIttLi120ELi16ELi128ELNS_18Fp8KVCacheDataTypeE0ELb1ELi512EEEvPfS2_PT_PKS3_PKT0_S9_ifPKiSB_iPKfiiiSD_SD_iiiii,comdat
.Lfunc_end95:
	.size	_ZN4vllm25paged_attention_v2_kernelIttLi120ELi16ELi128ELNS_18Fp8KVCacheDataTypeE0ELb1ELi512EEEvPfS2_PT_PKS3_PKT0_S9_ifPKiSB_iPKfiiiSD_SD_iiiii, .Lfunc_end95-_ZN4vllm25paged_attention_v2_kernelIttLi120ELi16ELi128ELNS_18Fp8KVCacheDataTypeE0ELb1ELi512EEEvPfS2_PT_PKS3_PKT0_S9_ifPKiSB_iPKfiiiSD_SD_iiiii
                                        ; -- End function
	.set _ZN4vllm25paged_attention_v2_kernelIttLi120ELi16ELi128ELNS_18Fp8KVCacheDataTypeE0ELb1ELi512EEEvPfS2_PT_PKS3_PKT0_S9_ifPKiSB_iPKfiiiSD_SD_iiiii.num_vgpr, 94
	.set _ZN4vllm25paged_attention_v2_kernelIttLi120ELi16ELi128ELNS_18Fp8KVCacheDataTypeE0ELb1ELi512EEEvPfS2_PT_PKS3_PKT0_S9_ifPKiSB_iPKfiiiSD_SD_iiiii.num_agpr, 0
	.set _ZN4vllm25paged_attention_v2_kernelIttLi120ELi16ELi128ELNS_18Fp8KVCacheDataTypeE0ELb1ELi512EEEvPfS2_PT_PKS3_PKT0_S9_ifPKiSB_iPKfiiiSD_SD_iiiii.numbered_sgpr, 46
	.set _ZN4vllm25paged_attention_v2_kernelIttLi120ELi16ELi128ELNS_18Fp8KVCacheDataTypeE0ELb1ELi512EEEvPfS2_PT_PKS3_PKT0_S9_ifPKiSB_iPKfiiiSD_SD_iiiii.num_named_barrier, 0
	.set _ZN4vllm25paged_attention_v2_kernelIttLi120ELi16ELi128ELNS_18Fp8KVCacheDataTypeE0ELb1ELi512EEEvPfS2_PT_PKS3_PKT0_S9_ifPKiSB_iPKfiiiSD_SD_iiiii.private_seg_size, 0
	.set _ZN4vllm25paged_attention_v2_kernelIttLi120ELi16ELi128ELNS_18Fp8KVCacheDataTypeE0ELb1ELi512EEEvPfS2_PT_PKS3_PKT0_S9_ifPKiSB_iPKfiiiSD_SD_iiiii.uses_vcc, 1
	.set _ZN4vllm25paged_attention_v2_kernelIttLi120ELi16ELi128ELNS_18Fp8KVCacheDataTypeE0ELb1ELi512EEEvPfS2_PT_PKS3_PKT0_S9_ifPKiSB_iPKfiiiSD_SD_iiiii.uses_flat_scratch, 0
	.set _ZN4vllm25paged_attention_v2_kernelIttLi120ELi16ELi128ELNS_18Fp8KVCacheDataTypeE0ELb1ELi512EEEvPfS2_PT_PKS3_PKT0_S9_ifPKiSB_iPKfiiiSD_SD_iiiii.has_dyn_sized_stack, 0
	.set _ZN4vllm25paged_attention_v2_kernelIttLi120ELi16ELi128ELNS_18Fp8KVCacheDataTypeE0ELb1ELi512EEEvPfS2_PT_PKS3_PKT0_S9_ifPKiSB_iPKfiiiSD_SD_iiiii.has_recursion, 0
	.set _ZN4vllm25paged_attention_v2_kernelIttLi120ELi16ELi128ELNS_18Fp8KVCacheDataTypeE0ELb1ELi512EEEvPfS2_PT_PKS3_PKT0_S9_ifPKiSB_iPKfiiiSD_SD_iiiii.has_indirect_call, 0
	.section	.AMDGPU.csdata,"",@progbits
; Kernel info:
; codeLenInByte = 12080
; TotalNumSgprs: 48
; NumVgprs: 94
; ScratchSize: 0
; MemoryBound: 0
; FloatMode: 240
; IeeeMode: 1
; LDSByteSize: 272 bytes/workgroup (compile time only)
; SGPRBlocks: 0
; VGPRBlocks: 11
; NumSGPRsForWavesPerEU: 48
; NumVGPRsForWavesPerEU: 94
; Occupancy: 10
; WaveLimiterHint : 1
; COMPUTE_PGM_RSRC2:SCRATCH_EN: 0
; COMPUTE_PGM_RSRC2:USER_SGPR: 6
; COMPUTE_PGM_RSRC2:TRAP_HANDLER: 0
; COMPUTE_PGM_RSRC2:TGID_X_EN: 1
; COMPUTE_PGM_RSRC2:TGID_Y_EN: 1
; COMPUTE_PGM_RSRC2:TGID_Z_EN: 1
; COMPUTE_PGM_RSRC2:TIDIG_COMP_CNT: 0
	.section	.text._ZN4vllm25paged_attention_v2_kernelIttLi128ELi16ELi128ELNS_18Fp8KVCacheDataTypeE0ELb1ELi512EEEvPfS2_PT_PKS3_PKT0_S9_ifPKiSB_iPKfiiiSD_SD_iiiii,"axG",@progbits,_ZN4vllm25paged_attention_v2_kernelIttLi128ELi16ELi128ELNS_18Fp8KVCacheDataTypeE0ELb1ELi512EEEvPfS2_PT_PKS3_PKT0_S9_ifPKiSB_iPKfiiiSD_SD_iiiii,comdat
	.protected	_ZN4vllm25paged_attention_v2_kernelIttLi128ELi16ELi128ELNS_18Fp8KVCacheDataTypeE0ELb1ELi512EEEvPfS2_PT_PKS3_PKT0_S9_ifPKiSB_iPKfiiiSD_SD_iiiii ; -- Begin function _ZN4vllm25paged_attention_v2_kernelIttLi128ELi16ELi128ELNS_18Fp8KVCacheDataTypeE0ELb1ELi512EEEvPfS2_PT_PKS3_PKT0_S9_ifPKiSB_iPKfiiiSD_SD_iiiii
	.globl	_ZN4vllm25paged_attention_v2_kernelIttLi128ELi16ELi128ELNS_18Fp8KVCacheDataTypeE0ELb1ELi512EEEvPfS2_PT_PKS3_PKT0_S9_ifPKiSB_iPKfiiiSD_SD_iiiii
	.p2align	8
	.type	_ZN4vllm25paged_attention_v2_kernelIttLi128ELi16ELi128ELNS_18Fp8KVCacheDataTypeE0ELb1ELi512EEEvPfS2_PT_PKS3_PKT0_S9_ifPKiSB_iPKfiiiSD_SD_iiiii,@function
_ZN4vllm25paged_attention_v2_kernelIttLi128ELi16ELi128ELNS_18Fp8KVCacheDataTypeE0ELb1ELi512EEEvPfS2_PT_PKS3_PKT0_S9_ifPKiSB_iPKfiiiSD_SD_iiiii: ; @_ZN4vllm25paged_attention_v2_kernelIttLi128ELi16ELi128ELNS_18Fp8KVCacheDataTypeE0ELb1ELi512EEEvPfS2_PT_PKS3_PKT0_S9_ifPKiSB_iPKfiiiSD_SD_iiiii
; %bb.0:
	s_load_dwordx2 s[0:1], s[4:5], 0x40
	s_mov_b32 s26, s7
	s_ashr_i32 s27, s7, 31
	s_lshl_b64 s[2:3], s[26:27], 2
	s_waitcnt lgkmcnt(0)
	s_add_u32 s0, s0, s2
	s_addc_u32 s1, s1, s3
	s_lshl_b32 s38, s8, 9
	s_load_dword s27, s[0:1], 0x0
	s_waitcnt lgkmcnt(0)
	s_cmp_ge_i32 s38, s27
	s_cbranch_scc1 .LBB96_88
; %bb.1:
	s_clause 0x1
	s_load_dword s9, s[4:5], 0x90
	s_load_dwordx2 s[36:37], s[4:5], 0x30
	s_mov_b32 s40, 0
	s_waitcnt lgkmcnt(0)
	s_abs_i32 s3, s9
	s_abs_i32 s0, s36
	v_cvt_f32_u32_e32 v1, s0
	s_sub_i32 s2, 0, s0
	v_rcp_iflag_f32_e32 v1, v1
	v_mul_f32_e32 v1, 0x4f7ffffe, v1
	v_cvt_u32_f32_e32 v1, v1
	v_readfirstlane_b32 s1, v1
	s_mul_i32 s2, s2, s1
	s_mul_hi_u32 s2, s1, s2
	s_add_i32 s1, s1, s2
	s_xor_b32 s2, s9, s36
	s_mul_hi_u32 s1, s3, s1
	s_ashr_i32 s2, s2, 31
	s_mul_i32 s7, s1, s0
	s_sub_i32 s3, s3, s7
	s_add_i32 s7, s1, 1
	s_sub_i32 s10, s3, s0
	s_cmp_ge_u32 s3, s0
	s_cselect_b32 s1, s7, s1
	s_cselect_b32 s3, s10, s3
	s_add_i32 s7, s1, 1
	s_cmp_ge_u32 s3, s0
	s_cselect_b32 s0, s7, s1
	s_xor_b32 s0, s0, s2
	s_sub_i32 s10, s0, s2
	s_load_dwordx2 s[0:1], s[4:5], 0x50
	s_abs_i32 s2, s10
	v_cvt_f32_u32_e32 v1, s2
	s_sub_i32 s3, 0, s2
	v_rcp_iflag_f32_e32 v1, v1
	v_mul_f32_e32 v1, 0x4f7ffffe, v1
	v_cvt_u32_f32_e32 v1, v1
	v_readfirstlane_b32 s7, v1
	s_mul_i32 s3, s3, s7
	s_mul_hi_u32 s11, s7, s3
	s_abs_i32 s3, s6
	s_add_i32 s7, s7, s11
	s_waitcnt lgkmcnt(0)
	s_cmp_eq_u64 s[0:1], 0
	s_mul_hi_u32 s20, s3, s7
	s_cbranch_scc1 .LBB96_3
; %bb.2:
	s_ashr_i32 s7, s6, 31
	s_lshl_b64 s[12:13], s[6:7], 2
	s_add_u32 s0, s0, s12
	s_addc_u32 s1, s1, s13
	s_load_dword s40, s[0:1], 0x0
.LBB96_3:
	s_load_dwordx4 s[12:15], s[4:5], 0x58
	v_lshrrev_b32_e32 v33, 1, v0
	v_and_b32_e32 v34, 1, v0
	v_cmp_gt_u32_e64 s0, 32, v0
	v_lshlrev_b32_e32 v37, 3, v0
	s_ashr_i32 s1, s6, 31
	s_ashr_i32 s7, s10, 31
	s_lshl_b32 s10, s6, 7
	s_waitcnt lgkmcnt(0)
	s_and_saveexec_b32 s15, s0
	s_cbranch_execz .LBB96_5
; %bb.4:
	s_load_dwordx2 s[16:17], s[4:5], 0x18
	s_mul_i32 s18, s12, s26
	v_lshlrev_b32_e32 v3, 3, v33
	s_ashr_i32 s19, s18, 31
	s_lshl_b64 s[18:19], s[18:19], 1
	v_lshl_add_u32 v3, v34, 7, v3
	s_waitcnt lgkmcnt(0)
	s_add_u32 s12, s16, s18
	s_addc_u32 s18, s17, s19
	s_ashr_i32 s11, s10, 31
	s_lshl_b64 s[16:17], s[10:11], 1
	s_add_u32 s16, s12, s16
	s_addc_u32 s17, s18, s17
	global_load_dwordx2 v[1:2], v37, s[16:17]
	s_waitcnt vmcnt(0)
	ds_write_b64 v3, v[1:2]
.LBB96_5:
	s_or_b32 exec_lo, exec_lo, s15
	s_load_dwordx4 s[16:19], s[4:5], 0x78
	s_mul_i32 s11, s20, s2
	s_xor_b32 s1, s1, s7
	s_sub_i32 s3, s3, s11
	s_add_i32 s7, s20, 1
	s_sub_i32 s11, s3, s2
	s_cmp_ge_u32 s3, s2
                                        ; implicit-def: $sgpr33
	s_cselect_b32 s7, s7, s20
	s_cselect_b32 s3, s11, s3
	s_add_i32 s11, s7, 1
	s_cmp_ge_u32 s3, s2
	s_mov_b32 s20, -1
	s_cselect_b32 s2, s11, s7
	s_load_dword s7, s[4:5], 0x88
	s_xor_b32 s2, s2, s1
	s_add_i32 s15, s27, -1
	s_sub_i32 s2, s2, s1
	s_abs_i32 s3, s15
	s_waitcnt lgkmcnt(0)
	s_abs_i32 s11, s19
	s_barrier
	v_cvt_f32_u32_e32 v1, s11
	s_sub_i32 s1, 0, s11
	buffer_gl0_inv
	v_rcp_iflag_f32_e32 v1, v1
	v_mul_f32_e32 v1, 0x4f7ffffe, v1
	v_cvt_u32_f32_e32 v1, v1
	v_readfirstlane_b32 s12, v1
	s_mul_i32 s1, s1, s12
	s_mul_hi_u32 s1, s12, s1
	s_add_i32 s12, s12, s1
	s_cmp_lt_i32 s7, 0
	s_mul_hi_u32 s1, s3, s12
	s_cbranch_scc0 .LBB96_7
; %bb.6:
	s_mul_i32 s20, s16, s36
	s_add_i32 s20, s2, s20
	s_mul_i32 s20, s20, s7
	s_sub_i32 s33, 1, s20
	s_mov_b32 s20, 0
.LBB96_7:
	s_load_dwordx2 s[28:29], s[4:5], 0x38
	s_ashr_i32 s15, s15, 31
	s_andn2_b32 vcc_lo, exec_lo, s20
	s_ashr_i32 s19, s19, 31
	s_cbranch_vccnz .LBB96_9
; %bb.8:
	s_mul_i32 s16, s9, s16
	s_add_i32 s16, s16, s6
	s_mul_i32 s7, s16, s7
	s_add_i32 s33, s7, 1
.LBB96_9:
	s_clause 0x4
	s_load_dword s16, s[4:5], 0x48
	s_load_dwordx2 s[34:35], s[4:5], 0x28
	s_load_dword s7, s[4:5], 0x98
	s_load_dwordx4 s[20:23], s[4:5], 0x0
	s_load_dwordx2 s[24:25], s[4:5], 0x10
	s_mul_i32 s30, s1, s11
	s_xor_b32 s15, s15, s19
	s_sub_i32 s3, s3, s30
	s_add_i32 s36, s1, 1
	v_lshrrev_b32_e32 v35, 5, v0
	v_mov_b32_e32 v39, 0xff7fffff
	v_mbcnt_lo_u32_b32 v38, -1, 0
	s_mul_i32 s14, s2, s14
	v_lshl_add_u32 v36, v35, 4, s38
	s_waitcnt lgkmcnt(0)
	s_mul_i32 s30, s16, s26
	s_sub_i32 s16, s3, s11
	s_ashr_i32 s31, s30, 31
	s_cmp_ge_u32 s3, s11
	s_cselect_b32 s1, s36, s1
	s_cselect_b32 s3, s16, s3
	s_add_i32 s16, s1, 1
	s_cmp_ge_u32 s3, s11
	s_cselect_b32 s1, s16, s1
	s_add_i32 s3, s27, 15
	s_lshl_b32 s41, s8, 5
	s_ashr_i32 s16, s3, 31
	v_or_b32_e32 v5, s41, v35
	s_lshr_b32 s16, s16, 28
	s_add_i32 s3, s3, s16
	s_add_i32 s16, s41, 32
	s_ashr_i32 s36, s3, 4
	s_xor_b32 s3, s1, s15
	s_min_i32 s16, s16, s36
	v_ashrrev_i32_e32 v6, 31, v5
	v_cmp_gt_i32_e64 s1, s16, v5
	s_sub_i32 s39, s3, s15
	s_and_saveexec_b32 s42, s1
	s_cbranch_execz .LBB96_21
; %bb.10:
	s_load_dwordx2 s[2:3], s[4:5], 0x20
	s_ashr_i32 s15, s14, 31
	s_sub_i32 s5, s39, s17
	s_lshl_b64 s[44:45], s[14:15], 1
	v_bfe_u32 v40, v0, 1, 4
	v_and_b32_e32 v4, 8, v37
	v_lshlrev_b32_e32 v41, 7, v34
	v_lshl_add_u32 v42, v35, 4, s38
	v_mov_b32_e32 v43, 0xff7fffff
	v_lshlrev_b32_e32 v7, 2, v40
	v_subrev_nc_u32_e32 v8, s27, v40
	v_lshlrev_b32_e32 v9, 4, v40
	v_xor_b32_e32 v44, 1, v38
	v_mov_b32_e32 v39, 0xff7fffff
	v_lshl_or_b32 v7, v35, 6, v7
	v_add_nc_u32_e32 v45, 1, v8
	v_mov_b32_e32 v50, v5
	v_cmp_eq_u32_e32 vcc_lo, 0, v34
	v_add_nc_u32_e32 v46, 0x120, v7
	s_waitcnt lgkmcnt(0)
	s_add_u32 s4, s2, s44
	s_addc_u32 s3, s3, s45
	s_abs_i32 s15, s18
	s_lshl_b64 s[44:45], s[30:31], 2
	v_cvt_f32_u32_e32 v1, s15
	s_sub_i32 s43, 0, s15
	v_add_co_u32 v8, s4, s4, v9
	v_add_co_ci_u32_e64 v9, null, s3, 0, s4
	v_rcp_iflag_f32_e32 v3, v1
	v_lshlrev_b64 v[1:2], 2, v[5:6]
	s_add_u32 s3, s28, s44
	s_addc_u32 s4, s29, s45
	v_cmp_neq_f32_e64 s2, s40, 0
	s_mov_b32 s44, s13
	v_add_co_u32 v1, s3, s3, v1
	v_add_co_ci_u32_e64 v2, null, s4, v2, s3
	v_mul_f32_e32 v3, 0x4f7ffffe, v3
	v_add_co_u32 v47, s3, v8, v4
	v_add_co_ci_u32_e64 v48, null, 0, v9, s3
	v_cvt_u32_f32_e32 v3, v3
	v_mul_lo_u32 v7, s43, v3
	s_mov_b32 s43, 0
	v_mul_hi_u32 v7, v3, v7
	v_add_nc_u32_e32 v49, v3, v7
	s_branch .LBB96_13
.LBB96_11:                              ;   in Loop: Header=BB96_13 Depth=1
	s_or_b32 exec_lo, exec_lo, s45
.LBB96_12:                              ;   in Loop: Header=BB96_13 Depth=1
	s_or_b32 exec_lo, exec_lo, s4
	v_add_nc_u32_e32 v50, 4, v50
	v_add_co_u32 v1, s4, v1, 16
	v_add_co_ci_u32_e64 v2, null, 0, v2, s4
	v_cmp_le_i32_e64 s3, s16, v50
	v_add_nc_u32_e32 v42, 64, v42
	v_add_nc_u32_e32 v46, 0x100, v46
	s_or_b32 s43, s3, s43
	s_andn2_b32 exec_lo, exec_lo, s43
	s_cbranch_execz .LBB96_20
.LBB96_13:                              ; =>This Inner Loop Header: Depth=1
	v_sub_nc_u32_e32 v3, 0, v42
	v_max_i32_e32 v3, v42, v3
	s_waitcnt lgkmcnt(0)
	v_mul_hi_u32 v4, v3, s12
	v_mul_lo_u32 v7, v4, s11
	v_sub_nc_u32_e32 v3, v3, v7
	v_add_nc_u32_e32 v7, 1, v4
	v_subrev_nc_u32_e32 v8, s11, v3
	v_cmp_le_u32_e64 s3, s11, v3
	v_cndmask_b32_e64 v4, v4, v7, s3
	v_cndmask_b32_e64 v3, v3, v8, s3
	v_ashrrev_i32_e32 v7, 31, v42
	v_add_nc_u32_e32 v8, 1, v4
	v_cmp_le_u32_e64 s3, s11, v3
	v_xor_b32_e32 v7, s19, v7
	v_cndmask_b32_e64 v3, v4, v8, s3
	v_xor_b32_e32 v3, v3, v7
	v_sub_nc_u32_e32 v3, v3, v7
	v_add_nc_u32_e32 v4, s33, v3
	v_cmp_ge_i32_e64 s4, s5, v3
	v_sub_nc_u32_e32 v7, 0, v4
	v_max_i32_e32 v7, v4, v7
	v_ashrrev_i32_e32 v4, 31, v4
	v_mul_hi_u32 v8, v7, v49
	v_mul_lo_u32 v8, v8, s15
	v_sub_nc_u32_e32 v7, v7, v8
	v_subrev_nc_u32_e32 v8, s15, v7
	v_cmp_le_u32_e64 s3, s15, v7
	v_cndmask_b32_e64 v7, v7, v8, s3
	v_subrev_nc_u32_e32 v8, s15, v7
	v_cmp_le_u32_e64 s3, s15, v7
	v_cndmask_b32_e64 v7, v7, v8, s3
	v_xor_b32_e32 v7, v7, v4
	v_sub_nc_u32_e32 v4, v7, v4
	v_cmp_ne_u32_e64 s3, 0, v4
	s_and_b32 s3, s3, s4
	s_and_saveexec_b32 s4, s3
	s_xor_b32 s3, exec_lo, s4
	s_cbranch_execz .LBB96_17
; %bb.14:                               ;   in Loop: Header=BB96_13 Depth=1
	s_and_saveexec_b32 s4, vcc_lo
; %bb.15:                               ;   in Loop: Header=BB96_13 Depth=1
	ds_write_b32 v46, v43
; %bb.16:                               ;   in Loop: Header=BB96_13 Depth=1
	s_or_b32 exec_lo, exec_lo, s4
.LBB96_17:                              ;   in Loop: Header=BB96_13 Depth=1
	s_andn2_saveexec_b32 s4, s3
	s_cbranch_execz .LBB96_12
; %bb.18:                               ;   in Loop: Header=BB96_13 Depth=1
	global_load_dword v3, v[1:2], off
	s_waitcnt vmcnt(0)
	v_mad_i64_i32 v[3:4], null, v3, s44, 0
	v_lshlrev_b64 v[3:4], 1, v[3:4]
	v_add_co_u32 v3, s3, v47, v3
	v_add_co_ci_u32_e64 v4, null, v48, v4, s3
	s_clause 0x7
	global_load_dwordx2 v[51:52], v[3:4], off
	global_load_dwordx2 v[59:60], v[3:4], off offset:256
	global_load_dwordx2 v[31:32], v[3:4], off offset:512
	;; [unrolled: 1-line block ×7, first 2 shown]
	v_add_co_u32 v3, s3, 0x800, v3
	v_add_co_ci_u32_e64 v4, null, 0, v4, s3
	ds_read_b64 v[7:8], v41
	v_cmp_gt_i32_e64 s3, 32, v44
	s_clause 0x1
	global_load_dwordx2 v[17:18], v[3:4], off
	global_load_dwordx2 v[19:20], v[3:4], off offset:256
	s_waitcnt lgkmcnt(0)
	v_and_b32_e32 v53, 0xffff, v7
	v_lshrrev_b32_e32 v54, 16, v7
	v_lshrrev_b32_e32 v61, 16, v8
	v_and_b32_e32 v62, 0xffff, v8
	s_clause 0x5
	global_load_dwordx2 v[15:16], v[3:4], off offset:512
	global_load_dwordx2 v[13:14], v[3:4], off offset:768
	;; [unrolled: 1-line block ×6, first 2 shown]
	;;#ASMSTART
	v_cvt_f32_f16 v56, v53;
	;;#ASMEND
	;;#ASMSTART
	v_cvt_f32_f16 v55, v54;
	;;#ASMEND
	s_waitcnt vmcnt(15)
	v_and_b32_e32 v53, 0xffff, v51
	v_lshrrev_b32_e32 v51, 16, v51
	v_and_b32_e32 v54, 0xffff, v52
	v_lshrrev_b32_e32 v63, 16, v52
	;;#ASMSTART
	v_cvt_f32_f16 v58, v53;
	;;#ASMEND
	;;#ASMSTART
	v_cvt_f32_f16 v57, v51;
	;;#ASMEND
	;; [unrolled: 3-line block ×6, first 2 shown]
	ds_read_b64 v[61:62], v41 offset:8
	s_waitcnt vmcnt(14)
	v_lshrrev_b32_e32 v64, 16, v59
	v_and_b32_e32 v59, 0xffff, v59
	v_lshrrev_b32_e32 v67, 16, v60
	v_and_b32_e32 v60, 0xffff, v60
	s_waitcnt vmcnt(13)
	v_lshrrev_b32_e32 v70, 16, v31
	v_and_b32_e32 v69, 0xffff, v31
	v_lshrrev_b32_e32 v73, 16, v32
	v_and_b32_e32 v72, 0xffff, v32
	;; [unrolled: 5-line block ×4, first 2 shown]
	s_waitcnt vmcnt(10)
	v_lshrrev_b32_e32 v87, 16, v25
	v_and_b32_e32 v88, 0xffff, v25
	v_lshrrev_b32_e32 v89, 16, v26
	s_waitcnt lgkmcnt(0)
	v_and_b32_e32 v63, 0xffff, v61
	v_lshrrev_b32_e32 v65, 16, v61
	v_and_b32_e32 v66, 0xffff, v62
	v_lshrrev_b32_e32 v68, 16, v62
	;;#ASMSTART
	v_cvt_f32_f16 v61, v63;
	;;#ASMEND
	;;#ASMSTART
	v_cvt_f32_f16 v62, v65;
	;;#ASMEND
	;; [unrolled: 3-line block ×8, first 2 shown]
	ds_read_b64 v[67:68], v41 offset:16
	v_and_b32_e32 v26, 0xffff, v26
	s_waitcnt vmcnt(9)
	v_lshrrev_b32_e32 v90, 16, v23
	v_and_b32_e32 v91, 0xffff, v23
	v_lshrrev_b32_e32 v92, 16, v24
	v_and_b32_e32 v93, 0xffff, v24
	v_mul_f32_e32 v24, v61, v63
	v_mul_f32_e32 v23, v65, v66
	;; [unrolled: 1-line block ×3, first 2 shown]
	v_fmac_f32_e32 v24, v56, v58
	v_fmac_f32_e32 v23, v52, v54
	;; [unrolled: 1-line block ×3, first 2 shown]
	s_waitcnt lgkmcnt(0)
	v_and_b32_e32 v31, 0xffff, v67
	v_lshrrev_b32_e32 v71, 16, v67
	v_and_b32_e32 v74, 0xffff, v68
	v_lshrrev_b32_e32 v68, 16, v68
	;;#ASMSTART
	v_cvt_f32_f16 v67, v31;
	;;#ASMEND
	;;#ASMSTART
	v_cvt_f32_f16 v31, v71;
	;;#ASMEND
	;; [unrolled: 3-line block ×8, first 2 shown]
	ds_read_b64 v[73:74], v41 offset:24
	v_fmac_f32_e32 v24, v67, v69
	s_waitcnt vmcnt(7)
	v_lshrrev_b32_e32 v67, 16, v17
	v_fmac_f32_e32 v25, v31, v32
	v_and_b32_e32 v17, 0xffff, v17
	v_fmac_f32_e32 v23, v71, v72
	s_waitcnt vmcnt(6)
	v_lshrrev_b32_e32 v71, 16, v19
	v_and_b32_e32 v72, 0xffff, v19
	s_waitcnt lgkmcnt(0)
	v_and_b32_e32 v29, 0xffff, v73
	v_lshrrev_b32_e32 v77, 16, v73
	v_and_b32_e32 v80, 0xffff, v74
	v_lshrrev_b32_e32 v74, 16, v74
	;;#ASMSTART
	v_cvt_f32_f16 v73, v29;
	;;#ASMEND
	;;#ASMSTART
	v_cvt_f32_f16 v29, v77;
	;;#ASMEND
	;; [unrolled: 3-line block ×8, first 2 shown]
	ds_read_b64 v[79:80], v41 offset:32
	v_fmac_f32_e32 v24, v73, v75
	v_lshrrev_b32_e32 v75, 16, v20
	v_and_b32_e32 v73, 0xffff, v20
	v_fmac_f32_e32 v23, v77, v78
	v_fmac_f32_e32 v25, v29, v30
	s_waitcnt lgkmcnt(0)
	v_and_b32_e32 v81, 0xffff, v79
	v_lshrrev_b32_e32 v83, 16, v79
	v_and_b32_e32 v84, 0xffff, v80
	v_lshrrev_b32_e32 v85, 16, v80
	;;#ASMSTART
	v_cvt_f32_f16 v79, v81;
	;;#ASMEND
	;;#ASMSTART
	v_cvt_f32_f16 v80, v83;
	;;#ASMEND
	;; [unrolled: 3-line block ×8, first 2 shown]
	ds_read_b64 v[27:28], v41 offset:40
	v_fmac_f32_e32 v24, v79, v81
	v_fmac_f32_e32 v25, v80, v82
	s_waitcnt vmcnt(4)
	v_lshrrev_b32_e32 v81, 16, v13
	v_fmac_f32_e32 v23, v83, v85
	v_and_b32_e32 v13, 0xffff, v13
	v_lshrrev_b32_e32 v85, 16, v14
	v_and_b32_e32 v14, 0xffff, v14
	s_waitcnt lgkmcnt(0)
	v_and_b32_e32 v61, 0xffff, v27
	v_lshrrev_b32_e32 v27, 16, v27
	v_and_b32_e32 v65, 0xffff, v28
	v_lshrrev_b32_e32 v28, 16, v28
	;;#ASMSTART
	v_cvt_f32_f16 v61, v61;
	;;#ASMEND
	;;#ASMSTART
	v_cvt_f32_f16 v62, v27;
	;;#ASMEND
	;; [unrolled: 3-line block ×8, first 2 shown]
	ds_read_b64 v[26:27], v41 offset:48
	v_fmac_f32_e32 v24, v61, v63
	v_fmac_f32_e32 v25, v62, v64
	;; [unrolled: 1-line block ×3, first 2 shown]
	s_waitcnt vmcnt(2)
	v_lshrrev_b32_e32 v87, 16, v9
	v_and_b32_e32 v9, 0xffff, v9
	s_waitcnt lgkmcnt(0)
	v_and_b32_e32 v28, 0xffff, v26
	v_lshrrev_b32_e32 v94, 16, v27
	v_and_b32_e32 v27, 0xffff, v27
	v_lshrrev_b32_e32 v26, 16, v26
	;;#ASMSTART
	v_cvt_f32_f16 v55, v28;
	;;#ASMEND
	;;#ASMSTART
	v_cvt_f32_f16 v56, v26;
	;;#ASMEND
	;;#ASMSTART
	v_cvt_f32_f16 v57, v91;
	;;#ASMEND
	;;#ASMSTART
	v_cvt_f32_f16 v58, v90;
	;;#ASMEND
	;;#ASMSTART
	v_cvt_f32_f16 v89, v27;
	;;#ASMEND
	;;#ASMSTART
	v_cvt_f32_f16 v90, v94;
	;;#ASMEND
	;;#ASMSTART
	v_cvt_f32_f16 v91, v93;
	;;#ASMEND
	;;#ASMSTART
	v_cvt_f32_f16 v92, v92;
	;;#ASMEND
	ds_read_b64 v[27:28], v41 offset:56
	v_mul_f32_e32 v26, v59, v60
	v_lshrrev_b32_e32 v59, 16, v21
	v_and_b32_e32 v21, 0xffff, v21
	v_lshrrev_b32_e32 v60, 16, v22
	v_and_b32_e32 v22, 0xffff, v22
	v_fmac_f32_e32 v26, v51, v53
	v_lshrrev_b32_e32 v93, 16, v18
	v_and_b32_e32 v18, 0xffff, v18
	v_fmac_f32_e32 v24, v55, v57
	v_fmac_f32_e32 v25, v56, v58
	;; [unrolled: 1-line block ×5, first 2 shown]
	s_waitcnt lgkmcnt(0)
	v_and_b32_e32 v51, 0xffff, v27
	v_lshrrev_b32_e32 v52, 16, v27
	v_lshrrev_b32_e32 v54, 16, v28
	v_and_b32_e32 v53, 0xffff, v28
	;;#ASMSTART
	v_cvt_f32_f16 v27, v51;
	;;#ASMEND
	;;#ASMSTART
	v_cvt_f32_f16 v28, v52;
	;;#ASMEND
	;;#ASMSTART
	v_cvt_f32_f16 v51, v21;
	;;#ASMEND
	;;#ASMSTART
	v_cvt_f32_f16 v52, v59;
	;;#ASMEND
	;;#ASMSTART
	v_cvt_f32_f16 v53, v53;
	;;#ASMEND
	;;#ASMSTART
	v_cvt_f32_f16 v54, v54;
	;;#ASMEND
	;;#ASMSTART
	v_cvt_f32_f16 v59, v22;
	;;#ASMEND
	;;#ASMSTART
	v_cvt_f32_f16 v60, v60;
	;;#ASMEND
	ds_read_b64 v[21:22], v41 offset:64
	v_fmac_f32_e32 v26, v84, v86
	v_fmac_f32_e32 v24, v27, v51
	;; [unrolled: 1-line block ×4, first 2 shown]
	s_waitcnt vmcnt(1)
	v_lshrrev_b32_e32 v27, 16, v8
	v_fmac_f32_e32 v26, v66, v88
	v_lshrrev_b32_e32 v88, 16, v10
	v_and_b32_e32 v10, 0xffff, v10
	v_and_b32_e32 v8, 0xffff, v8
	s_waitcnt vmcnt(0)
	v_lshrrev_b32_e32 v28, 16, v3
	v_fmac_f32_e32 v26, v90, v92
	v_fmac_f32_e32 v26, v54, v60
	s_waitcnt lgkmcnt(0)
	v_and_b32_e32 v31, 0xffff, v21
	v_lshrrev_b32_e32 v32, 16, v21
	v_lshrrev_b32_e32 v68, 16, v22
	v_and_b32_e32 v69, 0xffff, v22
	;;#ASMSTART
	v_cvt_f32_f16 v21, v31;
	;;#ASMEND
	;;#ASMSTART
	v_cvt_f32_f16 v22, v32;
	;;#ASMEND
	;; [unrolled: 3-line block ×8, first 2 shown]
	ds_read_b64 v[17:18], v41 offset:72
	v_lshrrev_b32_e32 v93, 16, v16
	v_and_b32_e32 v16, 0xffff, v16
	v_fmac_f32_e32 v24, v21, v31
	v_fmac_f32_e32 v25, v22, v32
	;; [unrolled: 1-line block ×4, first 2 shown]
	s_waitcnt lgkmcnt(0)
	v_and_b32_e32 v19, 0xffff, v17
	v_lshrrev_b32_e32 v17, 16, v17
	v_lshrrev_b32_e32 v77, 16, v18
	v_and_b32_e32 v18, 0xffff, v18
	;;#ASMSTART
	v_cvt_f32_f16 v19, v19;
	;;#ASMEND
	;;#ASMSTART
	v_cvt_f32_f16 v20, v17;
	;;#ASMEND
	;; [unrolled: 3-line block ×8, first 2 shown]
	ds_read_b64 v[17:18], v41 offset:80
	v_lshrrev_b32_e32 v77, 16, v15
	v_and_b32_e32 v15, 0xffff, v15
	v_fmac_f32_e32 v24, v19, v29
	v_fmac_f32_e32 v25, v20, v30
	;; [unrolled: 1-line block ×4, first 2 shown]
	s_waitcnt lgkmcnt(0)
	v_and_b32_e32 v74, 0xffff, v17
	v_lshrrev_b32_e32 v76, 16, v17
	v_lshrrev_b32_e32 v78, 16, v18
	v_and_b32_e32 v79, 0xffff, v18
	;;#ASMSTART
	v_cvt_f32_f16 v17, v74;
	;;#ASMEND
	;;#ASMSTART
	v_cvt_f32_f16 v18, v76;
	;;#ASMEND
	;; [unrolled: 3-line block ×8, first 2 shown]
	ds_read_b64 v[15:16], v41 offset:88
	v_fmac_f32_e32 v24, v17, v74
	v_fmac_f32_e32 v25, v18, v76
	v_lshrrev_b32_e32 v93, 16, v7
	v_and_b32_e32 v7, 0xffff, v7
	v_fmac_f32_e32 v23, v77, v79
	v_fmac_f32_e32 v26, v78, v80
	s_waitcnt lgkmcnt(0)
	v_and_b32_e32 v82, 0xffff, v15
	v_lshrrev_b32_e32 v83, 16, v15
	v_lshrrev_b32_e32 v84, 16, v16
	v_and_b32_e32 v86, 0xffff, v16
	;;#ASMSTART
	v_cvt_f32_f16 v15, v82;
	;;#ASMEND
	;;#ASMSTART
	v_cvt_f32_f16 v16, v83;
	;;#ASMEND
	;; [unrolled: 3-line block ×8, first 2 shown]
	ds_read_b64 v[13:14], v41 offset:96
	v_lshrrev_b32_e32 v85, 16, v11
	v_and_b32_e32 v11, 0xffff, v11
	v_lshrrev_b32_e32 v86, 16, v12
	v_and_b32_e32 v12, 0xffff, v12
	v_fmac_f32_e32 v24, v15, v61
	v_fmac_f32_e32 v25, v16, v63
	;; [unrolled: 1-line block ×4, first 2 shown]
	v_and_b32_e32 v15, 0xffff, v3
	s_waitcnt lgkmcnt(0)
	v_and_b32_e32 v62, 0xffff, v13
	v_lshrrev_b32_e32 v64, 16, v13
	v_lshrrev_b32_e32 v66, 16, v14
	v_and_b32_e32 v65, 0xffff, v14
	;;#ASMSTART
	v_cvt_f32_f16 v13, v62;
	;;#ASMEND
	;;#ASMSTART
	v_cvt_f32_f16 v14, v64;
	;;#ASMEND
	;; [unrolled: 3-line block ×8, first 2 shown]
	ds_read_b64 v[11:12], v41 offset:104
	v_fmac_f32_e32 v24, v13, v62
	v_fmac_f32_e32 v25, v14, v64
	;; [unrolled: 1-line block ×4, first 2 shown]
	v_lshrrev_b32_e32 v13, 16, v4
	s_waitcnt lgkmcnt(0)
	v_and_b32_e32 v55, 0xffff, v11
	v_lshrrev_b32_e32 v56, 16, v11
	v_lshrrev_b32_e32 v58, 16, v12
	v_and_b32_e32 v57, 0xffff, v12
	;;#ASMSTART
	v_cvt_f32_f16 v11, v55;
	;;#ASMEND
	;;#ASMSTART
	v_cvt_f32_f16 v12, v56;
	;;#ASMEND
	;; [unrolled: 3-line block ×8, first 2 shown]
	ds_read_b64 v[9:10], v41 offset:112
	v_fmac_f32_e32 v24, v11, v55
	v_fmac_f32_e32 v25, v12, v56
	;; [unrolled: 1-line block ×3, first 2 shown]
	v_and_b32_e32 v11, 0xffff, v4
	v_fmac_f32_e32 v26, v58, v88
	s_waitcnt lgkmcnt(0)
	v_and_b32_e32 v17, 0xffff, v9
	v_lshrrev_b32_e32 v18, 16, v9
	v_lshrrev_b32_e32 v20, 16, v10
	v_and_b32_e32 v19, 0xffff, v10
	;;#ASMSTART
	v_cvt_f32_f16 v9, v17;
	;;#ASMEND
	;;#ASMSTART
	v_cvt_f32_f16 v10, v18;
	;;#ASMEND
	;; [unrolled: 3-line block ×8, first 2 shown]
	ds_read_b64 v[7:8], v41 offset:120
	v_fmac_f32_e32 v24, v9, v17
	v_fmac_f32_e32 v25, v10, v18
	;; [unrolled: 1-line block ×4, first 2 shown]
	s_waitcnt lgkmcnt(0)
	v_and_b32_e32 v3, 0xffff, v7
	v_lshrrev_b32_e32 v4, 16, v7
	v_lshrrev_b32_e32 v9, 16, v8
	v_and_b32_e32 v10, 0xffff, v8
	;;#ASMSTART
	v_cvt_f32_f16 v3, v3;
	;;#ASMEND
	;;#ASMSTART
	v_cvt_f32_f16 v4, v4;
	;;#ASMEND
	;; [unrolled: 3-line block ×4, first 2 shown]
	v_fmac_f32_e32 v24, v3, v7
	v_fmac_f32_e32 v25, v4, v8
	;;#ASMSTART
	v_cvt_f32_f16 v3, v10;
	;;#ASMEND
	;;#ASMSTART
	v_cvt_f32_f16 v4, v9;
	;;#ASMEND
	;; [unrolled: 3-line block ×3, first 2 shown]
	v_fmac_f32_e32 v23, v3, v7
	v_add_f32_e32 v3, v24, v25
	;;#ASMSTART
	v_cvt_f32_f16 v7, v13;
	;;#ASMEND
	v_fmac_f32_e32 v26, v4, v7
	v_cndmask_b32_e64 v4, v38, v44, s3
	v_add_f32_e32 v3, v3, v23
	v_lshlrev_b32_e32 v4, 2, v4
	v_add_f32_e32 v3, v26, v3
	ds_bpermute_b32 v4, v4, v3
	s_and_saveexec_b32 s45, vcc_lo
	s_cbranch_execz .LBB96_11
; %bb.19:                               ;   in Loop: Header=BB96_13 Depth=1
	v_add_nc_u32_e32 v7, v45, v42
	s_waitcnt lgkmcnt(0)
	v_add_f32_e32 v3, v3, v4
	v_cvt_f32_i32_e32 v7, v7
	v_mul_f32_e32 v7, s40, v7
	v_cndmask_b32_e64 v4, 0, v7, s2
	v_max_f32_e32 v7, v39, v39
	v_fmac_f32_e32 v4, s37, v3
	v_add_nc_u32_e32 v3, v40, v42
	v_max_f32_e32 v7, v7, v4
	v_cmp_gt_i32_e64 s3, s27, v3
	v_cndmask_b32_e64 v3, 0, v4, s3
	v_cndmask_b32_e64 v39, v39, v7, s3
	ds_write_b32 v46, v3
	s_branch .LBB96_11
.LBB96_20:
	s_or_b32 exec_lo, exec_lo, s43
.LBB96_21:
	s_or_b32 exec_lo, exec_lo, s42
	v_xor_b32_e32 v1, 16, v38
	v_xor_b32_e32 v2, 8, v38
	s_waitcnt lgkmcnt(0)
	v_max_f32_e32 v4, v39, v39
	v_and_b32_e32 v10, 31, v0
	v_lshlrev_b32_e32 v9, 2, v35
	v_cmp_gt_i32_e32 vcc_lo, 32, v1
	v_cndmask_b32_e32 v1, v38, v1, vcc_lo
	v_cmp_gt_i32_e32 vcc_lo, 32, v2
	v_lshlrev_b32_e32 v3, 2, v1
	v_cndmask_b32_e32 v2, v38, v2, vcc_lo
	ds_bpermute_b32 v1, v3, v39
	v_lshlrev_b32_e32 v7, 2, v2
	s_waitcnt lgkmcnt(0)
	v_max_f32_e32 v1, v1, v1
	v_max_f32_e32 v1, v4, v1
	v_xor_b32_e32 v4, 4, v38
	ds_bpermute_b32 v2, v7, v1
	v_cmp_gt_i32_e32 vcc_lo, 32, v4
	v_cndmask_b32_e32 v4, v38, v4, vcc_lo
	v_lshlrev_b32_e32 v8, 2, v4
	v_xor_b32_e32 v4, 2, v38
	v_cmp_gt_i32_e32 vcc_lo, 32, v4
	s_waitcnt lgkmcnt(0)
	v_max_f32_e32 v2, v2, v2
	v_cndmask_b32_e32 v4, v38, v4, vcc_lo
	v_cmp_eq_u32_e32 vcc_lo, 0, v10
	v_max_f32_e32 v1, v1, v2
	ds_bpermute_b32 v2, v8, v1
	s_waitcnt lgkmcnt(0)
	v_max_f32_e32 v2, v2, v2
	v_max_f32_e32 v1, v1, v2
	v_lshlrev_b32_e32 v2, 2, v4
	ds_bpermute_b32 v4, v2, v1
	s_and_saveexec_b32 s2, vcc_lo
	s_cbranch_execz .LBB96_23
; %bb.22:
	s_waitcnt lgkmcnt(0)
	v_max_f32_e32 v4, v4, v4
	v_max_f32_e32 v1, v1, v1
	;; [unrolled: 1-line block ×3, first 2 shown]
	ds_write_b32 v9, v1 offset:256
.LBB96_23:
	s_or_b32 exec_lo, exec_lo, s2
	v_cmp_gt_u32_e64 s2, 4, v10
	v_mov_b32_e32 v1, 0xff7fffff
	v_lshlrev_b32_e32 v12, 2, v10
	s_waitcnt lgkmcnt(0)
	s_barrier
	buffer_gl0_inv
	s_and_saveexec_b32 s3, s2
; %bb.24:
	ds_read_b32 v1, v12 offset:256
; %bb.25:
	s_or_b32 exec_lo, exec_lo, s3
	s_waitcnt lgkmcnt(0)
	ds_bpermute_b32 v4, v2, v1
	v_xor_b32_e32 v11, 1, v38
	v_max_f32_e32 v1, v1, v1
	v_mov_b32_e32 v13, 0
	v_cmp_gt_i32_e64 s3, 32, v11
	v_cndmask_b32_e64 v11, v38, v11, s3
	s_sub_i32 s3, s16, s41
	s_lshl_b32 s3, s3, 4
	v_lshlrev_b32_e32 v11, 2, v11
	s_add_i32 s3, s3, s38
	s_min_i32 s3, s3, s27
	s_waitcnt lgkmcnt(0)
	v_max_f32_e32 v4, v4, v4
	s_sub_i32 s5, s3, s38
	v_cmp_gt_i32_e64 s3, s5, v0
	v_max_f32_e32 v1, v1, v4
	ds_bpermute_b32 v4, v11, v1
	s_waitcnt lgkmcnt(0)
	v_max_f32_e32 v4, v4, v4
	v_max_f32_e32 v1, v1, v4
	v_lshl_add_u32 v4, v0, 2, 0x120
	ds_bpermute_b32 v1, v13, v1
	s_and_saveexec_b32 s15, s3
	s_cbranch_execz .LBB96_29
; %bb.26:
	v_lshl_add_u32 v14, v0, 2, 0x120
	v_mov_b32_e32 v13, 0
	v_mov_b32_e32 v15, v0
	s_mov_b32 s37, 0
	.p2align	6
.LBB96_27:                              ; =>This Inner Loop Header: Depth=1
	ds_read_b32 v16, v14
	v_add_nc_u32_e32 v15, 0x80, v15
	v_cmp_le_i32_e64 s4, s5, v15
	s_or_b32 s37, s4, s37
	s_waitcnt lgkmcnt(0)
	v_sub_f32_e32 v16, v16, v1
	v_mul_f32_e32 v16, 0x3fb8aa3b, v16
	v_exp_f32_e32 v16, v16
	ds_write_b32 v14, v16
	v_add_f32_e32 v13, v13, v16
	v_add_nc_u32_e32 v14, 0x200, v14
	s_andn2_b32 exec_lo, exec_lo, s37
	s_cbranch_execnz .LBB96_27
; %bb.28:
	s_or_b32 exec_lo, exec_lo, s37
.LBB96_29:
	s_or_b32 exec_lo, exec_lo, s15
	ds_bpermute_b32 v3, v3, v13
	s_waitcnt lgkmcnt(0)
	v_add_f32_e32 v3, v13, v3
	ds_bpermute_b32 v7, v7, v3
	s_waitcnt lgkmcnt(0)
	v_add_f32_e32 v3, v3, v7
	;; [unrolled: 3-line block ×5, first 2 shown]
	s_and_saveexec_b32 s4, vcc_lo
; %bb.30:
	ds_write_b32 v9, v3 offset:272
; %bb.31:
	s_or_b32 exec_lo, exec_lo, s4
	s_waitcnt lgkmcnt(0)
	s_barrier
	buffer_gl0_inv
	s_and_saveexec_b32 s4, s2
; %bb.32:
	ds_read_b32 v3, v12 offset:272
; %bb.33:
	s_or_b32 exec_lo, exec_lo, s4
	s_waitcnt lgkmcnt(0)
	ds_bpermute_b32 v2, v2, v3
	s_waitcnt lgkmcnt(0)
	v_add_f32_e32 v2, v3, v2
	ds_bpermute_b32 v3, v11, v2
	s_waitcnt lgkmcnt(0)
	v_add_f32_e32 v2, v2, v3
	v_mov_b32_e32 v3, 0
	ds_bpermute_b32 v2, v3, v2
	s_and_saveexec_b32 s2, s3
	s_cbranch_execz .LBB96_36
; %bb.34:
	s_waitcnt lgkmcnt(0)
	v_add_f32_e32 v3, 0x358637bd, v2
	s_mov_b32 s3, 0
	v_div_scale_f32 v7, null, v3, v3, 1.0
	v_div_scale_f32 v12, vcc_lo, 1.0, v3, 1.0
	v_rcp_f32_e32 v8, v7
	v_fma_f32 v9, -v7, v8, 1.0
	v_fmac_f32_e32 v8, v9, v8
	v_mul_f32_e32 v9, v12, v8
	v_fma_f32 v13, -v7, v9, v12
	v_fmac_f32_e32 v9, v13, v8
	v_fma_f32 v7, -v7, v9, v12
	v_div_fmas_f32 v7, v7, v8, v9
	v_div_fixup_f32 v3, v7, v3, 1.0
	v_mov_b32_e32 v7, v0
.LBB96_35:                              ; =>This Inner Loop Header: Depth=1
	ds_read_b32 v8, v4
	v_add_nc_u32_e32 v7, 0x80, v7
	v_cmp_le_i32_e32 vcc_lo, s5, v7
	s_or_b32 s3, vcc_lo, s3
	s_waitcnt lgkmcnt(0)
	v_mul_f32_e32 v8, v3, v8
	ds_write_b32 v4, v8
	v_add_nc_u32_e32 v4, 0x200, v4
	s_andn2_b32 exec_lo, exec_lo, s3
	s_cbranch_execnz .LBB96_35
.LBB96_36:
	s_or_b32 exec_lo, exec_lo, s2
	s_mul_i32 s2, s7, s26
	s_waitcnt lgkmcnt(0)
	s_mul_i32 s4, s2, s9
	s_mov_b32 s2, exec_lo
	s_barrier
	buffer_gl0_inv
	v_cmpx_eq_u32_e32 0, v0
	s_cbranch_execz .LBB96_38
; %bb.37:
	s_ashr_i32 s5, s4, 31
	s_mul_i32 s42, s7, s6
	s_lshl_b64 s[40:41], s[4:5], 2
	v_mov_b32_e32 v3, 0
	s_add_u32 s3, s22, s40
	s_addc_u32 s5, s23, s41
	s_ashr_i32 s43, s42, 31
	s_lshl_b64 s[22:23], s[42:43], 2
	s_add_u32 s3, s3, s22
	s_addc_u32 s5, s5, s23
	s_ashr_i32 s9, s8, 31
	s_lshl_b64 s[42:43], s[8:9], 2
	s_add_u32 s44, s3, s42
	s_addc_u32 s45, s5, s43
	s_add_u32 s3, s20, s40
	s_addc_u32 s5, s21, s41
	;; [unrolled: 2-line block ×4, first 2 shown]
	global_store_dword v3, v1, s[44:45]
	global_store_dword v3, v2, s[20:21]
.LBB96_38:
	s_or_b32 exec_lo, exec_lo, s2
	v_mov_b32_e32 v19, 0
	v_mov_b32_e32 v18, 0
	;; [unrolled: 1-line block ×8, first 2 shown]
	s_and_saveexec_b32 s3, s1
	s_cbranch_execz .LBB96_60
; %bb.39:
	s_ashr_i32 s15, s14, 31
	s_sub_i32 s5, s39, s17
	s_lshl_b64 s[14:15], s[14:15], 1
	v_lshlrev_b32_e32 v4, 4, v0
	s_add_u32 s1, s34, s14
	s_addc_u32 s2, s35, s15
	s_abs_i32 s6, s18
	s_lshl_b64 s[14:15], s[30:31], 2
	v_cvt_f32_u32_e32 v1, s6
	s_sub_i32 s9, 0, s6
	v_and_b32_e32 v4, 0x1f0, v4
	s_add_i32 s36, s36, -1
	v_and_b32_e32 v20, 8, v37
	v_rcp_iflag_f32_e32 v3, v1
	v_lshlrev_b64 v[1:2], 2, v[5:6]
	v_lshlrev_b32_e32 v6, 5, v34
	v_add_co_u32 v22, s1, s1, v4
	v_mov_b32_e32 v21, 0
	v_mov_b32_e32 v12, 0
	v_lshl_or_b32 v6, v35, 6, v6
	v_mov_b32_e32 v13, 0
	v_mov_b32_e32 v14, 0
	v_mul_f32_e32 v3, 0x4f7ffffe, v3
	v_mov_b32_e32 v15, 0
	v_add_nc_u32_e32 v24, 0x120, v6
	v_mov_b32_e32 v16, 0
	v_mov_b32_e32 v17, 0
	v_cvt_u32_f32_e32 v3, v3
	v_mov_b32_e32 v18, 0
	v_add_co_ci_u32_e64 v23, null, s2, 0, s1
	v_mov_b32_e32 v19, 0
	v_mul_lo_u32 v7, s9, v3
	s_add_u32 s9, s28, s14
	s_addc_u32 s14, s29, s15
	v_add_co_u32 v6, vcc_lo, s9, v1
	s_mov_b32 s9, 0
	v_mul_hi_u32 v8, v3, v7
	v_add_co_ci_u32_e64 v7, null, s14, v2, vcc_lo
	v_add_nc_u32_e32 v25, v3, v8
	s_branch .LBB96_42
.LBB96_40:                              ;   in Loop: Header=BB96_42 Depth=1
	s_or_b32 exec_lo, exec_lo, s2
	v_lshlrev_b32_e32 v28, 16, v54
	v_lshlrev_b32_e32 v9, 16, v9
	;; [unrolled: 1-line block ×3, first 2 shown]
	v_add_f32_e32 v26, v55, v56
	v_add_f32_e32 v27, v52, v53
	v_and_or_b32 v1, 0xffff, v1, v28
	v_and_or_b32 v2, 0xffff, v2, v9
	;; [unrolled: 1-line block ×3, first 2 shown]
	;;#ASMSTART
	v_pk_mul_f16 v1, v39, v1;

	;;#ASMEND
	;;#ASMSTART
	v_pk_mul_f16 v2, v38, v2;

	;;#ASMEND
	;; [unrolled: 4-line block ×4, first 2 shown]
	;;#ASMSTART
	v_pk_add_f16 v1, v1, v2;

	;;#ASMEND
	;;#ASMSTART
	v_pk_add_f16 v1, v1, v3;

	;;#ASMEND
	;; [unrolled: 4-line block ×3, first 2 shown]
	v_and_b32_e32 v4, 0xffff, v1
	v_lshrrev_b32_e32 v9, 16, v1
	;;#ASMSTART
	v_cvt_f32_f16 v4, v4;
	;;#ASMEND
	v_add_f32_e32 v13, v13, v26
	v_add_f32_e32 v26, v50, v51
	;; [unrolled: 1-line block ×6, first 2 shown]
	;;#ASMSTART
	v_cvt_f32_f16 v9, v9;
	;;#ASMEND
	v_add_f32_e32 v4, v4, v9
	v_add_f32_e32 v14, v14, v27
	;; [unrolled: 1-line block ×8, first 2 shown]
.LBB96_41:                              ;   in Loop: Header=BB96_42 Depth=1
	s_or_b32 exec_lo, exec_lo, s14
	v_add_nc_u32_e32 v5, 4, v5
	v_add_co_u32 v6, s1, v6, 16
	v_add_co_ci_u32_e64 v7, null, 0, v7, s1
	v_cmp_le_i32_e32 vcc_lo, s16, v5
	v_add_nc_u32_e32 v36, 64, v36
	v_add_nc_u32_e32 v24, 0x100, v24
	s_or_b32 s9, vcc_lo, s9
	s_andn2_b32 exec_lo, exec_lo, s9
	s_cbranch_execz .LBB96_59
.LBB96_42:                              ; =>This Inner Loop Header: Depth=1
	v_sub_nc_u32_e32 v1, 0, v36
	v_max_i32_e32 v1, v36, v1
	v_mul_hi_u32 v2, v1, s12
	v_mul_lo_u32 v3, v2, s11
	v_sub_nc_u32_e32 v1, v1, v3
	v_add_nc_u32_e32 v3, 1, v2
	v_subrev_nc_u32_e32 v4, s11, v1
	v_cmp_le_u32_e32 vcc_lo, s11, v1
	v_cndmask_b32_e32 v2, v2, v3, vcc_lo
	v_cndmask_b32_e32 v1, v1, v4, vcc_lo
	v_ashrrev_i32_e32 v3, 31, v36
	v_add_nc_u32_e32 v4, 1, v2
	v_cmp_le_u32_e32 vcc_lo, s11, v1
	v_xor_b32_e32 v3, s19, v3
	v_cndmask_b32_e32 v1, v2, v4, vcc_lo
	v_xor_b32_e32 v1, v1, v3
	v_sub_nc_u32_e32 v1, v1, v3
	v_add_nc_u32_e32 v2, s33, v1
	v_cmp_lt_i32_e64 s1, s5, v1
	v_sub_nc_u32_e32 v3, 0, v2
	v_max_i32_e32 v3, v2, v3
	v_ashrrev_i32_e32 v2, 31, v2
	v_mul_hi_u32 v4, v3, v25
	v_mul_lo_u32 v4, v4, s6
	v_sub_nc_u32_e32 v3, v3, v4
	v_subrev_nc_u32_e32 v4, s6, v3
	v_cmp_le_u32_e32 vcc_lo, s6, v3
	v_cndmask_b32_e32 v3, v3, v4, vcc_lo
	v_subrev_nc_u32_e32 v4, s6, v3
	v_cmp_le_u32_e32 vcc_lo, s6, v3
	v_cndmask_b32_e32 v3, v3, v4, vcc_lo
	v_xor_b32_e32 v3, v3, v2
	v_sub_nc_u32_e32 v2, v3, v2
	v_cmp_eq_u32_e32 vcc_lo, 0, v2
	s_or_b32 s1, vcc_lo, s1
	s_and_saveexec_b32 s14, s1
	s_cbranch_execz .LBB96_41
; %bb.43:                               ;   in Loop: Header=BB96_42 Depth=1
	global_load_dword v8, v[6:7], off
	ds_read2_b64 v[1:4], v24 offset1:1
	ds_read2_b64 v[26:29], v24 offset0:2 offset1:3
	v_add_nc_u32_e32 v31, v20, v36
	v_cmp_eq_u32_e64 s1, s36, v5
	s_waitcnt lgkmcnt(1)
	;;#ASMSTART
	v_cvt_f16_f32 v39, v1;

	;;#ASMEND
	;;#ASMSTART
	v_cvt_f16_f32 v38, v2;

	;;#ASMEND
	;; [unrolled: 4-line block ×4, first 2 shown]
	s_waitcnt lgkmcnt(0)
	;;#ASMSTART
	v_cvt_f16_f32 v45, v26;

	;;#ASMEND
	;;#ASMSTART
	v_cvt_f16_f32 v41, v27;

	;;#ASMEND
	;; [unrolled: 4-line block ×4, first 2 shown]
	v_add_nc_u32_e32 v37, 1, v31
	v_add_nc_u32_e32 v30, 2, v31
	;; [unrolled: 1-line block ×7, first 2 shown]
	s_waitcnt vmcnt(0)
	v_mad_i64_i32 v[8:9], null, v8, s13, 0
	v_lshlrev_b64 v[8:9], 1, v[8:9]
	v_add_co_u32 v8, vcc_lo, v22, v8
	v_add_co_ci_u32_e64 v9, null, v23, v9, vcc_lo
	global_load_dwordx4 v[1:4], v[8:9], off
	s_waitcnt vmcnt(0)
	v_lshrrev_b32_e32 v48, 16, v1
	v_lshrrev_b32_e32 v47, 16, v2
	;; [unrolled: 1-line block ×3, first 2 shown]
	s_and_saveexec_b32 s15, s1
	s_cbranch_execz .LBB96_45
; %bb.44:                               ;   in Loop: Header=BB96_42 Depth=1
	v_cmp_gt_i32_e32 vcc_lo, s27, v31
	v_and_b32_e32 v49, 0xffff0000, v4
	v_cmp_gt_i32_e64 s2, s27, v30
	v_cndmask_b32_e32 v1, 0, v1, vcc_lo
	v_cmp_gt_i32_e32 vcc_lo, s27, v37
	v_cndmask_b32_e64 v2, 0, v2, s2
	v_cmp_gt_i32_e64 s2, s27, v29
	v_cndmask_b32_e32 v48, 0, v48, vcc_lo
	v_cmp_gt_i32_e32 vcc_lo, s27, v32
	v_cndmask_b32_e64 v47, 0, v47, s2
	v_cndmask_b32_sdwa v4, v21, v4, vcc_lo dst_sel:DWORD dst_unused:UNUSED_PAD src0_sel:DWORD src1_sel:WORD_0
	v_cmp_gt_i32_e32 vcc_lo, s27, v28
	v_cndmask_b32_e32 v49, 0, v49, vcc_lo
	v_cmp_gt_i32_e32 vcc_lo, s27, v27
	v_or_b32_e32 v4, v4, v49
	v_cndmask_b32_e32 v3, 0, v3, vcc_lo
	v_cmp_gt_i32_e32 vcc_lo, s27, v26
	v_cndmask_b32_e32 v46, 0, v46, vcc_lo
.LBB96_45:                              ;   in Loop: Header=BB96_42 Depth=1
	s_or_b32 exec_lo, exec_lo, s15
	v_and_b32_e32 v39, 0xffff, v39
	v_and_b32_e32 v44, 0xffff, v44
	v_lshlrev_b32_e32 v48, 16, v48
	v_lshlrev_b32_e32 v46, 16, v46
	v_and_b32_e32 v45, 0xffff, v45
	v_lshl_or_b32 v39, v38, 16, v39
	v_lshl_or_b32 v38, v42, 16, v44
	v_lshlrev_b32_e32 v44, 16, v47
	v_and_b32_e32 v43, 0xffff, v43
	v_and_or_b32 v1, 0xffff, v1, v48
	v_and_or_b32 v3, 0xffff, v3, v46
	;;#ASMSTART
	v_pk_mul_f16 v1, v39, v1;

	;;#ASMEND
	v_and_or_b32 v2, 0xffff, v2, v44
	v_lshl_or_b32 v42, v41, 16, v45
	v_lshl_or_b32 v43, v40, 16, v43
	;;#ASMSTART
	v_pk_mul_f16 v2, v38, v2;

	;;#ASMEND
	;;#ASMSTART
	v_pk_mul_f16 v3, v42, v3;

	;;#ASMEND
	;; [unrolled: 4-line block ×3, first 2 shown]
	;;#ASMSTART
	v_pk_add_f16 v1, v1, v2;

	;;#ASMEND
	;;#ASMSTART
	v_pk_add_f16 v1, v1, v3;

	;;#ASMEND
	;; [unrolled: 4-line block ×3, first 2 shown]
	v_and_b32_e32 v2, 0xffff, v1
	v_lshrrev_b32_e32 v1, 16, v1
	;;#ASMSTART
	v_cvt_f32_f16 v40, v2;
	;;#ASMEND
	;;#ASMSTART
	v_cvt_f32_f16 v41, v1;
	;;#ASMEND
	global_load_dwordx4 v[1:4], v[8:9], off offset:512
	s_waitcnt vmcnt(0)
	v_lshrrev_b32_e32 v46, 16, v1
	v_lshrrev_b32_e32 v45, 16, v2
	;; [unrolled: 1-line block ×3, first 2 shown]
	s_and_saveexec_b32 s15, s1
	s_cbranch_execz .LBB96_47
; %bb.46:                               ;   in Loop: Header=BB96_42 Depth=1
	v_cmp_gt_i32_e32 vcc_lo, s27, v31
	v_and_b32_e32 v47, 0xffff0000, v4
	v_cmp_gt_i32_e64 s2, s27, v30
	v_cndmask_b32_e32 v1, 0, v1, vcc_lo
	v_cmp_gt_i32_e32 vcc_lo, s27, v37
	v_cndmask_b32_e64 v2, 0, v2, s2
	v_cmp_gt_i32_e64 s2, s27, v29
	v_cndmask_b32_e32 v46, 0, v46, vcc_lo
	v_cmp_gt_i32_e32 vcc_lo, s27, v32
	v_cndmask_b32_e64 v45, 0, v45, s2
	v_cndmask_b32_sdwa v4, v21, v4, vcc_lo dst_sel:DWORD dst_unused:UNUSED_PAD src0_sel:DWORD src1_sel:WORD_0
	v_cmp_gt_i32_e32 vcc_lo, s27, v28
	v_cndmask_b32_e32 v47, 0, v47, vcc_lo
	v_cmp_gt_i32_e32 vcc_lo, s27, v27
	v_or_b32_e32 v4, v4, v47
	v_cndmask_b32_e32 v3, 0, v3, vcc_lo
	v_cmp_gt_i32_e32 vcc_lo, s27, v26
	v_cndmask_b32_e32 v44, 0, v44, vcc_lo
.LBB96_47:                              ;   in Loop: Header=BB96_42 Depth=1
	s_or_b32 exec_lo, exec_lo, s15
	v_lshlrev_b32_e32 v46, 16, v46
	v_lshlrev_b32_e32 v45, 16, v45
	;; [unrolled: 1-line block ×3, first 2 shown]
	v_and_or_b32 v1, 0xffff, v1, v46
	v_and_or_b32 v2, 0xffff, v2, v45
	;; [unrolled: 1-line block ×3, first 2 shown]
	;;#ASMSTART
	v_pk_mul_f16 v1, v39, v1;

	;;#ASMEND
	;;#ASMSTART
	v_pk_mul_f16 v2, v38, v2;

	;;#ASMEND
	;; [unrolled: 4-line block ×4, first 2 shown]
	;;#ASMSTART
	v_pk_add_f16 v1, v1, v2;

	;;#ASMEND
	;;#ASMSTART
	v_pk_add_f16 v1, v1, v3;

	;;#ASMEND
	;; [unrolled: 4-line block ×3, first 2 shown]
	v_and_b32_e32 v2, 0xffff, v1
	v_lshrrev_b32_e32 v1, 16, v1
	;;#ASMSTART
	v_cvt_f32_f16 v44, v2;
	;;#ASMEND
	;;#ASMSTART
	v_cvt_f32_f16 v45, v1;
	;;#ASMEND
	global_load_dwordx4 v[1:4], v[8:9], off offset:1024
	s_waitcnt vmcnt(0)
	v_lshrrev_b32_e32 v48, 16, v1
	v_lshrrev_b32_e32 v47, 16, v2
	;; [unrolled: 1-line block ×3, first 2 shown]
	s_and_saveexec_b32 s15, s1
	s_cbranch_execz .LBB96_49
; %bb.48:                               ;   in Loop: Header=BB96_42 Depth=1
	v_cmp_gt_i32_e32 vcc_lo, s27, v31
	v_and_b32_e32 v49, 0xffff0000, v4
	v_cmp_gt_i32_e64 s2, s27, v30
	v_cndmask_b32_e32 v1, 0, v1, vcc_lo
	v_cmp_gt_i32_e32 vcc_lo, s27, v37
	v_cndmask_b32_e64 v2, 0, v2, s2
	v_cmp_gt_i32_e64 s2, s27, v29
	v_cndmask_b32_e32 v48, 0, v48, vcc_lo
	v_cmp_gt_i32_e32 vcc_lo, s27, v32
	v_cndmask_b32_e64 v47, 0, v47, s2
	v_cndmask_b32_sdwa v4, v21, v4, vcc_lo dst_sel:DWORD dst_unused:UNUSED_PAD src0_sel:DWORD src1_sel:WORD_0
	v_cmp_gt_i32_e32 vcc_lo, s27, v28
	v_cndmask_b32_e32 v49, 0, v49, vcc_lo
	v_cmp_gt_i32_e32 vcc_lo, s27, v27
	v_or_b32_e32 v4, v4, v49
	v_cndmask_b32_e32 v3, 0, v3, vcc_lo
	v_cmp_gt_i32_e32 vcc_lo, s27, v26
	v_cndmask_b32_e32 v46, 0, v46, vcc_lo
.LBB96_49:                              ;   in Loop: Header=BB96_42 Depth=1
	s_or_b32 exec_lo, exec_lo, s15
	v_lshlrev_b32_e32 v48, 16, v48
	v_lshlrev_b32_e32 v47, 16, v47
	;; [unrolled: 1-line block ×3, first 2 shown]
	v_and_or_b32 v1, 0xffff, v1, v48
	v_and_or_b32 v2, 0xffff, v2, v47
	;; [unrolled: 1-line block ×3, first 2 shown]
	;;#ASMSTART
	v_pk_mul_f16 v1, v39, v1;

	;;#ASMEND
	;;#ASMSTART
	v_pk_mul_f16 v2, v38, v2;

	;;#ASMEND
	;; [unrolled: 4-line block ×4, first 2 shown]
	;;#ASMSTART
	v_pk_add_f16 v1, v1, v2;

	;;#ASMEND
	;;#ASMSTART
	v_pk_add_f16 v1, v1, v3;

	;;#ASMEND
	;; [unrolled: 4-line block ×3, first 2 shown]
	v_and_b32_e32 v2, 0xffff, v1
	v_lshrrev_b32_e32 v1, 16, v1
	;;#ASMSTART
	v_cvt_f32_f16 v46, v2;
	;;#ASMEND
	;;#ASMSTART
	v_cvt_f32_f16 v47, v1;
	;;#ASMEND
	global_load_dwordx4 v[1:4], v[8:9], off offset:1536
	s_waitcnt vmcnt(0)
	v_lshrrev_b32_e32 v50, 16, v1
	v_lshrrev_b32_e32 v49, 16, v2
	;; [unrolled: 1-line block ×3, first 2 shown]
	s_and_saveexec_b32 s15, s1
	s_cbranch_execz .LBB96_51
; %bb.50:                               ;   in Loop: Header=BB96_42 Depth=1
	v_cmp_gt_i32_e32 vcc_lo, s27, v31
	v_and_b32_e32 v51, 0xffff0000, v4
	v_cmp_gt_i32_e64 s2, s27, v30
	v_cndmask_b32_e32 v1, 0, v1, vcc_lo
	v_cmp_gt_i32_e32 vcc_lo, s27, v37
	v_cndmask_b32_e64 v2, 0, v2, s2
	v_cmp_gt_i32_e64 s2, s27, v29
	v_cndmask_b32_e32 v50, 0, v50, vcc_lo
	v_cmp_gt_i32_e32 vcc_lo, s27, v32
	v_cndmask_b32_e64 v49, 0, v49, s2
	v_cndmask_b32_sdwa v4, v21, v4, vcc_lo dst_sel:DWORD dst_unused:UNUSED_PAD src0_sel:DWORD src1_sel:WORD_0
	v_cmp_gt_i32_e32 vcc_lo, s27, v28
	v_cndmask_b32_e32 v51, 0, v51, vcc_lo
	v_cmp_gt_i32_e32 vcc_lo, s27, v27
	v_or_b32_e32 v4, v4, v51
	v_cndmask_b32_e32 v3, 0, v3, vcc_lo
	v_cmp_gt_i32_e32 vcc_lo, s27, v26
	v_cndmask_b32_e32 v48, 0, v48, vcc_lo
.LBB96_51:                              ;   in Loop: Header=BB96_42 Depth=1
	s_or_b32 exec_lo, exec_lo, s15
	v_lshlrev_b32_e32 v50, 16, v50
	v_lshlrev_b32_e32 v49, 16, v49
	;; [unrolled: 1-line block ×3, first 2 shown]
	v_add_co_u32 v8, vcc_lo, 0x800, v8
	v_and_or_b32 v1, 0xffff, v1, v50
	v_and_or_b32 v2, 0xffff, v2, v49
	v_and_or_b32 v3, 0xffff, v3, v48
	;;#ASMSTART
	v_pk_mul_f16 v1, v39, v1;

	;;#ASMEND
	v_add_co_ci_u32_e64 v9, null, 0, v9, vcc_lo
	;;#ASMSTART
	v_pk_mul_f16 v2, v38, v2;

	;;#ASMEND
	;;#ASMSTART
	v_pk_mul_f16 v3, v42, v3;

	;;#ASMEND
	;; [unrolled: 4-line block ×3, first 2 shown]
	;;#ASMSTART
	v_pk_add_f16 v1, v1, v2;

	;;#ASMEND
	;;#ASMSTART
	v_pk_add_f16 v1, v1, v3;

	;;#ASMEND
	;; [unrolled: 4-line block ×3, first 2 shown]
	v_lshrrev_b32_e32 v2, 16, v1
	v_and_b32_e32 v1, 0xffff, v1
	;;#ASMSTART
	v_cvt_f32_f16 v48, v1;
	;;#ASMEND
	;;#ASMSTART
	v_cvt_f32_f16 v49, v2;
	;;#ASMEND
	global_load_dwordx4 v[1:4], v[8:9], off
	s_waitcnt vmcnt(0)
	v_lshrrev_b32_e32 v52, 16, v1
	v_lshrrev_b32_e32 v51, 16, v2
	;; [unrolled: 1-line block ×3, first 2 shown]
	s_and_saveexec_b32 s15, s1
	s_cbranch_execz .LBB96_53
; %bb.52:                               ;   in Loop: Header=BB96_42 Depth=1
	v_cmp_gt_i32_e32 vcc_lo, s27, v31
	v_and_b32_e32 v53, 0xffff0000, v4
	v_cmp_gt_i32_e64 s2, s27, v30
	v_cndmask_b32_e32 v1, 0, v1, vcc_lo
	v_cmp_gt_i32_e32 vcc_lo, s27, v37
	v_cndmask_b32_e64 v2, 0, v2, s2
	v_cmp_gt_i32_e64 s2, s27, v29
	v_cndmask_b32_e32 v52, 0, v52, vcc_lo
	v_cmp_gt_i32_e32 vcc_lo, s27, v32
	v_cndmask_b32_e64 v51, 0, v51, s2
	v_cndmask_b32_sdwa v4, v21, v4, vcc_lo dst_sel:DWORD dst_unused:UNUSED_PAD src0_sel:DWORD src1_sel:WORD_0
	v_cmp_gt_i32_e32 vcc_lo, s27, v28
	v_cndmask_b32_e32 v53, 0, v53, vcc_lo
	v_cmp_gt_i32_e32 vcc_lo, s27, v27
	v_or_b32_e32 v4, v4, v53
	v_cndmask_b32_e32 v3, 0, v3, vcc_lo
	v_cmp_gt_i32_e32 vcc_lo, s27, v26
	v_cndmask_b32_e32 v50, 0, v50, vcc_lo
.LBB96_53:                              ;   in Loop: Header=BB96_42 Depth=1
	s_or_b32 exec_lo, exec_lo, s15
	v_lshlrev_b32_e32 v52, 16, v52
	v_lshlrev_b32_e32 v51, 16, v51
	;; [unrolled: 1-line block ×3, first 2 shown]
	v_and_or_b32 v1, 0xffff, v1, v52
	v_and_or_b32 v2, 0xffff, v2, v51
	;; [unrolled: 1-line block ×3, first 2 shown]
	;;#ASMSTART
	v_pk_mul_f16 v1, v39, v1;

	;;#ASMEND
	;;#ASMSTART
	v_pk_mul_f16 v2, v38, v2;

	;;#ASMEND
	;; [unrolled: 4-line block ×4, first 2 shown]
	;;#ASMSTART
	v_pk_add_f16 v1, v1, v2;

	;;#ASMEND
	;;#ASMSTART
	v_pk_add_f16 v1, v1, v3;

	;;#ASMEND
	;; [unrolled: 4-line block ×3, first 2 shown]
	v_and_b32_e32 v2, 0xffff, v1
	v_lshrrev_b32_e32 v1, 16, v1
	;;#ASMSTART
	v_cvt_f32_f16 v50, v2;
	;;#ASMEND
	;;#ASMSTART
	v_cvt_f32_f16 v51, v1;
	;;#ASMEND
	global_load_dwordx4 v[1:4], v[8:9], off offset:512
	s_waitcnt vmcnt(0)
	v_lshrrev_b32_e32 v54, 16, v1
	v_lshrrev_b32_e32 v53, 16, v2
	;; [unrolled: 1-line block ×3, first 2 shown]
	s_and_saveexec_b32 s15, s1
	s_cbranch_execz .LBB96_55
; %bb.54:                               ;   in Loop: Header=BB96_42 Depth=1
	v_cmp_gt_i32_e32 vcc_lo, s27, v31
	v_and_b32_e32 v55, 0xffff0000, v4
	v_cmp_gt_i32_e64 s2, s27, v30
	v_cndmask_b32_e32 v1, 0, v1, vcc_lo
	v_cmp_gt_i32_e32 vcc_lo, s27, v37
	v_cndmask_b32_e64 v2, 0, v2, s2
	v_cmp_gt_i32_e64 s2, s27, v29
	v_cndmask_b32_e32 v54, 0, v54, vcc_lo
	v_cmp_gt_i32_e32 vcc_lo, s27, v32
	v_cndmask_b32_e64 v53, 0, v53, s2
	v_cndmask_b32_sdwa v4, v21, v4, vcc_lo dst_sel:DWORD dst_unused:UNUSED_PAD src0_sel:DWORD src1_sel:WORD_0
	v_cmp_gt_i32_e32 vcc_lo, s27, v28
	v_cndmask_b32_e32 v55, 0, v55, vcc_lo
	v_cmp_gt_i32_e32 vcc_lo, s27, v27
	v_or_b32_e32 v4, v4, v55
	v_cndmask_b32_e32 v3, 0, v3, vcc_lo
	v_cmp_gt_i32_e32 vcc_lo, s27, v26
	v_cndmask_b32_e32 v52, 0, v52, vcc_lo
.LBB96_55:                              ;   in Loop: Header=BB96_42 Depth=1
	s_or_b32 exec_lo, exec_lo, s15
	v_lshlrev_b32_e32 v54, 16, v54
	v_lshlrev_b32_e32 v53, 16, v53
	;; [unrolled: 1-line block ×3, first 2 shown]
	v_and_or_b32 v1, 0xffff, v1, v54
	v_and_or_b32 v2, 0xffff, v2, v53
	;; [unrolled: 1-line block ×3, first 2 shown]
	;;#ASMSTART
	v_pk_mul_f16 v1, v39, v1;

	;;#ASMEND
	;;#ASMSTART
	v_pk_mul_f16 v2, v38, v2;

	;;#ASMEND
	;; [unrolled: 4-line block ×4, first 2 shown]
	;;#ASMSTART
	v_pk_add_f16 v1, v1, v2;

	;;#ASMEND
	;;#ASMSTART
	v_pk_add_f16 v1, v1, v3;

	;;#ASMEND
	;; [unrolled: 4-line block ×3, first 2 shown]
	v_and_b32_e32 v2, 0xffff, v1
	v_lshrrev_b32_e32 v1, 16, v1
	;;#ASMSTART
	v_cvt_f32_f16 v52, v2;
	;;#ASMEND
	;;#ASMSTART
	v_cvt_f32_f16 v53, v1;
	;;#ASMEND
	global_load_dwordx4 v[1:4], v[8:9], off offset:1024
	s_waitcnt vmcnt(0)
	v_lshrrev_b32_e32 v56, 16, v1
	v_lshrrev_b32_e32 v55, 16, v2
	;; [unrolled: 1-line block ×3, first 2 shown]
	s_and_saveexec_b32 s15, s1
	s_cbranch_execz .LBB96_57
; %bb.56:                               ;   in Loop: Header=BB96_42 Depth=1
	v_cmp_gt_i32_e32 vcc_lo, s27, v31
	v_and_b32_e32 v57, 0xffff0000, v4
	v_cmp_gt_i32_e64 s2, s27, v30
	v_cndmask_b32_e32 v1, 0, v1, vcc_lo
	v_cmp_gt_i32_e32 vcc_lo, s27, v37
	v_cndmask_b32_e64 v2, 0, v2, s2
	v_cmp_gt_i32_e64 s2, s27, v29
	v_cndmask_b32_e32 v56, 0, v56, vcc_lo
	v_cmp_gt_i32_e32 vcc_lo, s27, v32
	v_cndmask_b32_e64 v55, 0, v55, s2
	v_cndmask_b32_sdwa v4, v21, v4, vcc_lo dst_sel:DWORD dst_unused:UNUSED_PAD src0_sel:DWORD src1_sel:WORD_0
	v_cmp_gt_i32_e32 vcc_lo, s27, v28
	v_cndmask_b32_e32 v57, 0, v57, vcc_lo
	v_cmp_gt_i32_e32 vcc_lo, s27, v27
	v_or_b32_e32 v4, v4, v57
	v_cndmask_b32_e32 v3, 0, v3, vcc_lo
	v_cmp_gt_i32_e32 vcc_lo, s27, v26
	v_cndmask_b32_e32 v54, 0, v54, vcc_lo
.LBB96_57:                              ;   in Loop: Header=BB96_42 Depth=1
	s_or_b32 exec_lo, exec_lo, s15
	v_lshlrev_b32_e32 v56, 16, v56
	v_lshlrev_b32_e32 v55, 16, v55
	;; [unrolled: 1-line block ×3, first 2 shown]
	v_and_or_b32 v1, 0xffff, v1, v56
	v_and_or_b32 v2, 0xffff, v2, v55
	;; [unrolled: 1-line block ×3, first 2 shown]
	;;#ASMSTART
	v_pk_mul_f16 v1, v39, v1;

	;;#ASMEND
	;;#ASMSTART
	v_pk_mul_f16 v2, v38, v2;

	;;#ASMEND
	;; [unrolled: 4-line block ×4, first 2 shown]
	;;#ASMSTART
	v_pk_add_f16 v1, v1, v2;

	;;#ASMEND
	;;#ASMSTART
	v_pk_add_f16 v1, v1, v3;

	;;#ASMEND
	;; [unrolled: 4-line block ×3, first 2 shown]
	v_and_b32_e32 v2, 0xffff, v1
	v_lshrrev_b32_e32 v1, 16, v1
	;;#ASMSTART
	v_cvt_f32_f16 v55, v2;
	;;#ASMEND
	;;#ASMSTART
	v_cvt_f32_f16 v56, v1;
	;;#ASMEND
	global_load_dwordx4 v[1:4], v[8:9], off offset:1536
	s_waitcnt vmcnt(0)
	v_lshrrev_b32_e32 v54, 16, v1
	v_lshrrev_b32_e32 v9, 16, v2
	;; [unrolled: 1-line block ×3, first 2 shown]
	s_and_saveexec_b32 s2, s1
	s_cbranch_execz .LBB96_40
; %bb.58:                               ;   in Loop: Header=BB96_42 Depth=1
	v_cmp_gt_i32_e32 vcc_lo, s27, v31
	v_cmp_gt_i32_e64 s1, s27, v30
	v_cndmask_b32_e32 v1, 0, v1, vcc_lo
	v_cmp_gt_i32_e32 vcc_lo, s27, v37
	v_cndmask_b32_e64 v2, 0, v2, s1
	v_cmp_gt_i32_e64 s1, s27, v29
	v_and_b32_e32 v29, 0xffff0000, v4
	v_cndmask_b32_e32 v54, 0, v54, vcc_lo
	v_cmp_gt_i32_e32 vcc_lo, s27, v32
	v_cndmask_b32_e64 v9, 0, v9, s1
	v_cndmask_b32_sdwa v4, v21, v4, vcc_lo dst_sel:DWORD dst_unused:UNUSED_PAD src0_sel:DWORD src1_sel:WORD_0
	v_cmp_gt_i32_e32 vcc_lo, s27, v28
	v_cndmask_b32_e32 v28, 0, v29, vcc_lo
	v_cmp_gt_i32_e32 vcc_lo, s27, v27
	v_or_b32_e32 v4, v4, v28
	v_cndmask_b32_e32 v3, 0, v3, vcc_lo
	v_cmp_gt_i32_e32 vcc_lo, s27, v26
	v_cndmask_b32_e32 v8, 0, v8, vcc_lo
	s_branch .LBB96_40
.LBB96_59:
	s_or_b32 exec_lo, exec_lo, s9
.LBB96_60:
	s_or_b32 exec_lo, exec_lo, s3
	ds_bpermute_b32 v1, v11, v19
	ds_bpermute_b32 v2, v11, v18
	;; [unrolled: 1-line block ×8, first 2 shown]
	v_lshrrev_b32_e32 v9, 1, v10
	v_lshlrev_b32_e32 v11, 9, v35
	v_and_b32_e32 v24, 0x3c1, v0
	s_mov_b32 s1, exec_lo
	s_waitcnt lgkmcnt(0)
	s_waitcnt_vscnt null, 0x0
	v_lshl_add_u32 v10, v9, 2, 0x120
	s_barrier
	buffer_gl0_inv
	v_add_f32_e32 v8, v19, v1
	v_add_f32_e32 v7, v18, v2
	;; [unrolled: 1-line block ×8, first 2 shown]
	v_cmpx_eq_u32_e32 64, v24
	s_cbranch_execz .LBB96_62
; %bb.61:
	v_add_nc_u32_e32 v12, v10, v11
	v_add_nc_u32_e32 v13, 0xfffffc00, v12
	;; [unrolled: 1-line block ×9, first 2 shown]
	ds_write_b32 v13, v8
	ds_write_b32 v14, v7
	;; [unrolled: 1-line block ×8, first 2 shown]
.LBB96_62:
	s_or_b32 exec_lo, exec_lo, s1
	v_lshlrev_b32_e32 v9, 2, v9
	s_mov_b32 s2, exec_lo
	v_cmp_eq_u32_e32 vcc_lo, 0, v34
	s_waitcnt lgkmcnt(0)
	s_barrier
	v_add3_u32 v9, 0x120, v11, v9
	buffer_gl0_inv
	v_cmpx_gt_u32_e32 64, v0
	s_cbranch_execz .LBB96_73
; %bb.63:
	s_and_saveexec_b32 s1, vcc_lo
	s_cbranch_execnz .LBB96_89
; %bb.64:
	s_or_b32 exec_lo, exec_lo, s1
	s_and_saveexec_b32 s1, vcc_lo
	s_cbranch_execnz .LBB96_90
.LBB96_65:
	s_or_b32 exec_lo, exec_lo, s1
	s_and_saveexec_b32 s1, vcc_lo
	s_cbranch_execnz .LBB96_91
.LBB96_66:
	s_or_b32 exec_lo, exec_lo, s1
	s_and_saveexec_b32 s1, vcc_lo
	s_cbranch_execnz .LBB96_92
.LBB96_67:
	s_or_b32 exec_lo, exec_lo, s1
	s_and_saveexec_b32 s1, vcc_lo
	s_cbranch_execnz .LBB96_93
.LBB96_68:
	s_or_b32 exec_lo, exec_lo, s1
	s_and_saveexec_b32 s1, vcc_lo
	s_cbranch_execnz .LBB96_94
.LBB96_69:
	s_or_b32 exec_lo, exec_lo, s1
	s_and_saveexec_b32 s1, vcc_lo
	s_cbranch_execnz .LBB96_95
.LBB96_70:
	s_or_b32 exec_lo, exec_lo, s1
	s_and_saveexec_b32 s1, vcc_lo
	s_cbranch_execz .LBB96_72
.LBB96_71:
	ds_read_b32 v11, v9 offset:448
	s_waitcnt lgkmcnt(0)
	v_add_f32_e32 v1, v1, v11
.LBB96_72:
	s_or_b32 exec_lo, exec_lo, s1
.LBB96_73:
	s_or_b32 exec_lo, exec_lo, s2
	v_and_b32_e32 v0, 0x3e1, v0
	s_mov_b32 s2, exec_lo
	s_barrier
	buffer_gl0_inv
	v_cmpx_eq_u32_e32 32, v0
	s_cbranch_execz .LBB96_75
; %bb.74:
	ds_write2_b32 v10, v8, v7 offset1:16
	ds_write2_b32 v10, v6, v5 offset0:32 offset1:48
	ds_write2_b32 v10, v4, v3 offset0:64 offset1:80
	;; [unrolled: 1-line block ×3, first 2 shown]
.LBB96_75:
	s_or_b32 exec_lo, exec_lo, s2
	s_waitcnt lgkmcnt(0)
	s_barrier
	buffer_gl0_inv
	s_and_saveexec_b32 s1, s0
	s_cbranch_execz .LBB96_86
; %bb.76:
	s_and_saveexec_b32 s0, vcc_lo
	s_cbranch_execnz .LBB96_96
; %bb.77:
	s_or_b32 exec_lo, exec_lo, s0
	s_and_saveexec_b32 s0, vcc_lo
	s_cbranch_execnz .LBB96_97
.LBB96_78:
	s_or_b32 exec_lo, exec_lo, s0
	s_and_saveexec_b32 s0, vcc_lo
	s_cbranch_execnz .LBB96_98
.LBB96_79:
	s_or_b32 exec_lo, exec_lo, s0
	s_and_saveexec_b32 s0, vcc_lo
	s_cbranch_execnz .LBB96_99
.LBB96_80:
	s_or_b32 exec_lo, exec_lo, s0
	s_and_saveexec_b32 s0, vcc_lo
	s_cbranch_execnz .LBB96_100
.LBB96_81:
	s_or_b32 exec_lo, exec_lo, s0
	s_and_saveexec_b32 s0, vcc_lo
	s_cbranch_execnz .LBB96_101
.LBB96_82:
	s_or_b32 exec_lo, exec_lo, s0
	s_and_saveexec_b32 s0, vcc_lo
	s_cbranch_execnz .LBB96_102
.LBB96_83:
	s_or_b32 exec_lo, exec_lo, s0
	s_and_saveexec_b32 s0, vcc_lo
	s_cbranch_execz .LBB96_85
.LBB96_84:
	ds_read_b32 v9, v9 offset:448
	s_waitcnt lgkmcnt(0)
	v_add_f32_e32 v1, v1, v9
.LBB96_85:
	s_or_b32 exec_lo, exec_lo, s0
.LBB96_86:
	s_or_b32 exec_lo, exec_lo, s1
	s_barrier
	buffer_gl0_inv
	s_mov_b32 s0, exec_lo
	v_cmpx_eq_u32_e32 0, v0
	s_cbranch_execz .LBB96_88
; %bb.87:
	s_lshl_b32 s0, s4, 7
	s_mul_i32 s2, s7, s10
	s_ashr_i32 s1, s0, 31
	v_lshlrev_b32_e32 v0, 1, v33
	s_lshl_b64 s[0:1], s[0:1], 1
	;;#ASMSTART
	v_cvt_f16_f32 v8, v8;

	;;#ASMEND
	s_add_u32 s4, s24, s0
	s_addc_u32 s5, s25, s1
	s_ashr_i32 s3, s2, 31
	s_lshl_b64 s[0:1], s[2:3], 1
	s_add_u32 s2, s4, s0
	s_addc_u32 s3, s5, s1
	s_lshl_b32 s0, s8, 7
	s_ashr_i32 s1, s0, 31
	s_lshl_b64 s[0:1], s[0:1], 1
	s_add_u32 s0, s2, s0
	s_addc_u32 s1, s3, s1
	global_store_short v0, v8, s[0:1]
	;;#ASMSTART
	v_cvt_f16_f32 v7, v7;

	;;#ASMEND
	global_store_short v0, v7, s[0:1] offset:32
	;;#ASMSTART
	v_cvt_f16_f32 v6, v6;

	;;#ASMEND
	global_store_short v0, v6, s[0:1] offset:64
	;; [unrolled: 5-line block ×7, first 2 shown]
.LBB96_88:
	s_endpgm
.LBB96_89:
	ds_read_b32 v11, v9
	s_waitcnt lgkmcnt(0)
	v_add_f32_e32 v8, v8, v11
	s_or_b32 exec_lo, exec_lo, s1
	s_and_saveexec_b32 s1, vcc_lo
	s_cbranch_execz .LBB96_65
.LBB96_90:
	ds_read_b32 v11, v9 offset:64
	s_waitcnt lgkmcnt(0)
	v_add_f32_e32 v7, v7, v11
	s_or_b32 exec_lo, exec_lo, s1
	s_and_saveexec_b32 s1, vcc_lo
	s_cbranch_execz .LBB96_66
.LBB96_91:
	ds_read_b32 v11, v9 offset:128
	s_waitcnt lgkmcnt(0)
	v_add_f32_e32 v6, v6, v11
	s_or_b32 exec_lo, exec_lo, s1
	s_and_saveexec_b32 s1, vcc_lo
	s_cbranch_execz .LBB96_67
.LBB96_92:
	ds_read_b32 v11, v9 offset:192
	s_waitcnt lgkmcnt(0)
	v_add_f32_e32 v5, v5, v11
	s_or_b32 exec_lo, exec_lo, s1
	s_and_saveexec_b32 s1, vcc_lo
	s_cbranch_execz .LBB96_68
.LBB96_93:
	ds_read_b32 v11, v9 offset:256
	s_waitcnt lgkmcnt(0)
	v_add_f32_e32 v4, v4, v11
	s_or_b32 exec_lo, exec_lo, s1
	s_and_saveexec_b32 s1, vcc_lo
	s_cbranch_execz .LBB96_69
.LBB96_94:
	ds_read_b32 v11, v9 offset:320
	s_waitcnt lgkmcnt(0)
	v_add_f32_e32 v3, v3, v11
	s_or_b32 exec_lo, exec_lo, s1
	s_and_saveexec_b32 s1, vcc_lo
	s_cbranch_execz .LBB96_70
.LBB96_95:
	ds_read_b32 v11, v9 offset:384
	s_waitcnt lgkmcnt(0)
	v_add_f32_e32 v2, v2, v11
	s_or_b32 exec_lo, exec_lo, s1
	s_and_saveexec_b32 s1, vcc_lo
	s_cbranch_execnz .LBB96_71
	s_branch .LBB96_72
.LBB96_96:
	ds_read_b32 v10, v9
	s_waitcnt lgkmcnt(0)
	v_add_f32_e32 v8, v8, v10
	s_or_b32 exec_lo, exec_lo, s0
	s_and_saveexec_b32 s0, vcc_lo
	s_cbranch_execz .LBB96_78
.LBB96_97:
	ds_read_b32 v10, v9 offset:64
	s_waitcnt lgkmcnt(0)
	v_add_f32_e32 v7, v7, v10
	s_or_b32 exec_lo, exec_lo, s0
	s_and_saveexec_b32 s0, vcc_lo
	s_cbranch_execz .LBB96_79
.LBB96_98:
	ds_read_b32 v10, v9 offset:128
	s_waitcnt lgkmcnt(0)
	v_add_f32_e32 v6, v6, v10
	s_or_b32 exec_lo, exec_lo, s0
	s_and_saveexec_b32 s0, vcc_lo
	s_cbranch_execz .LBB96_80
.LBB96_99:
	ds_read_b32 v10, v9 offset:192
	s_waitcnt lgkmcnt(0)
	v_add_f32_e32 v5, v5, v10
	s_or_b32 exec_lo, exec_lo, s0
	s_and_saveexec_b32 s0, vcc_lo
	s_cbranch_execz .LBB96_81
.LBB96_100:
	ds_read_b32 v10, v9 offset:256
	s_waitcnt lgkmcnt(0)
	v_add_f32_e32 v4, v4, v10
	s_or_b32 exec_lo, exec_lo, s0
	s_and_saveexec_b32 s0, vcc_lo
	s_cbranch_execz .LBB96_82
.LBB96_101:
	ds_read_b32 v10, v9 offset:320
	s_waitcnt lgkmcnt(0)
	v_add_f32_e32 v3, v3, v10
	s_or_b32 exec_lo, exec_lo, s0
	s_and_saveexec_b32 s0, vcc_lo
	s_cbranch_execz .LBB96_83
.LBB96_102:
	ds_read_b32 v10, v9 offset:384
	s_waitcnt lgkmcnt(0)
	v_add_f32_e32 v2, v2, v10
	s_or_b32 exec_lo, exec_lo, s0
	s_and_saveexec_b32 s0, vcc_lo
	s_cbranch_execnz .LBB96_84
	s_branch .LBB96_85
	.section	.rodata,"a",@progbits
	.p2align	6, 0x0
	.amdhsa_kernel _ZN4vllm25paged_attention_v2_kernelIttLi128ELi16ELi128ELNS_18Fp8KVCacheDataTypeE0ELb1ELi512EEEvPfS2_PT_PKS3_PKT0_S9_ifPKiSB_iPKfiiiSD_SD_iiiii
		.amdhsa_group_segment_fixed_size 288
		.amdhsa_private_segment_fixed_size 0
		.amdhsa_kernarg_size 400
		.amdhsa_user_sgpr_count 6
		.amdhsa_user_sgpr_private_segment_buffer 1
		.amdhsa_user_sgpr_dispatch_ptr 0
		.amdhsa_user_sgpr_queue_ptr 0
		.amdhsa_user_sgpr_kernarg_segment_ptr 1
		.amdhsa_user_sgpr_dispatch_id 0
		.amdhsa_user_sgpr_flat_scratch_init 0
		.amdhsa_user_sgpr_private_segment_size 0
		.amdhsa_wavefront_size32 1
		.amdhsa_uses_dynamic_stack 0
		.amdhsa_system_sgpr_private_segment_wavefront_offset 0
		.amdhsa_system_sgpr_workgroup_id_x 1
		.amdhsa_system_sgpr_workgroup_id_y 1
		.amdhsa_system_sgpr_workgroup_id_z 1
		.amdhsa_system_sgpr_workgroup_info 0
		.amdhsa_system_vgpr_workitem_id 0
		.amdhsa_next_free_vgpr 95
		.amdhsa_next_free_sgpr 46
		.amdhsa_reserve_vcc 1
		.amdhsa_reserve_flat_scratch 0
		.amdhsa_float_round_mode_32 0
		.amdhsa_float_round_mode_16_64 0
		.amdhsa_float_denorm_mode_32 3
		.amdhsa_float_denorm_mode_16_64 3
		.amdhsa_dx10_clamp 1
		.amdhsa_ieee_mode 1
		.amdhsa_fp16_overflow 0
		.amdhsa_workgroup_processor_mode 1
		.amdhsa_memory_ordered 1
		.amdhsa_forward_progress 1
		.amdhsa_shared_vgpr_count 0
		.amdhsa_exception_fp_ieee_invalid_op 0
		.amdhsa_exception_fp_denorm_src 0
		.amdhsa_exception_fp_ieee_div_zero 0
		.amdhsa_exception_fp_ieee_overflow 0
		.amdhsa_exception_fp_ieee_underflow 0
		.amdhsa_exception_fp_ieee_inexact 0
		.amdhsa_exception_int_div_zero 0
	.end_amdhsa_kernel
	.section	.text._ZN4vllm25paged_attention_v2_kernelIttLi128ELi16ELi128ELNS_18Fp8KVCacheDataTypeE0ELb1ELi512EEEvPfS2_PT_PKS3_PKT0_S9_ifPKiSB_iPKfiiiSD_SD_iiiii,"axG",@progbits,_ZN4vllm25paged_attention_v2_kernelIttLi128ELi16ELi128ELNS_18Fp8KVCacheDataTypeE0ELb1ELi512EEEvPfS2_PT_PKS3_PKT0_S9_ifPKiSB_iPKfiiiSD_SD_iiiii,comdat
.Lfunc_end96:
	.size	_ZN4vllm25paged_attention_v2_kernelIttLi128ELi16ELi128ELNS_18Fp8KVCacheDataTypeE0ELb1ELi512EEEvPfS2_PT_PKS3_PKT0_S9_ifPKiSB_iPKfiiiSD_SD_iiiii, .Lfunc_end96-_ZN4vllm25paged_attention_v2_kernelIttLi128ELi16ELi128ELNS_18Fp8KVCacheDataTypeE0ELb1ELi512EEEvPfS2_PT_PKS3_PKT0_S9_ifPKiSB_iPKfiiiSD_SD_iiiii
                                        ; -- End function
	.set _ZN4vllm25paged_attention_v2_kernelIttLi128ELi16ELi128ELNS_18Fp8KVCacheDataTypeE0ELb1ELi512EEEvPfS2_PT_PKS3_PKT0_S9_ifPKiSB_iPKfiiiSD_SD_iiiii.num_vgpr, 95
	.set _ZN4vllm25paged_attention_v2_kernelIttLi128ELi16ELi128ELNS_18Fp8KVCacheDataTypeE0ELb1ELi512EEEvPfS2_PT_PKS3_PKT0_S9_ifPKiSB_iPKfiiiSD_SD_iiiii.num_agpr, 0
	.set _ZN4vllm25paged_attention_v2_kernelIttLi128ELi16ELi128ELNS_18Fp8KVCacheDataTypeE0ELb1ELi512EEEvPfS2_PT_PKS3_PKT0_S9_ifPKiSB_iPKfiiiSD_SD_iiiii.numbered_sgpr, 46
	.set _ZN4vllm25paged_attention_v2_kernelIttLi128ELi16ELi128ELNS_18Fp8KVCacheDataTypeE0ELb1ELi512EEEvPfS2_PT_PKS3_PKT0_S9_ifPKiSB_iPKfiiiSD_SD_iiiii.num_named_barrier, 0
	.set _ZN4vllm25paged_attention_v2_kernelIttLi128ELi16ELi128ELNS_18Fp8KVCacheDataTypeE0ELb1ELi512EEEvPfS2_PT_PKS3_PKT0_S9_ifPKiSB_iPKfiiiSD_SD_iiiii.private_seg_size, 0
	.set _ZN4vllm25paged_attention_v2_kernelIttLi128ELi16ELi128ELNS_18Fp8KVCacheDataTypeE0ELb1ELi512EEEvPfS2_PT_PKS3_PKT0_S9_ifPKiSB_iPKfiiiSD_SD_iiiii.uses_vcc, 1
	.set _ZN4vllm25paged_attention_v2_kernelIttLi128ELi16ELi128ELNS_18Fp8KVCacheDataTypeE0ELb1ELi512EEEvPfS2_PT_PKS3_PKT0_S9_ifPKiSB_iPKfiiiSD_SD_iiiii.uses_flat_scratch, 0
	.set _ZN4vllm25paged_attention_v2_kernelIttLi128ELi16ELi128ELNS_18Fp8KVCacheDataTypeE0ELb1ELi512EEEvPfS2_PT_PKS3_PKT0_S9_ifPKiSB_iPKfiiiSD_SD_iiiii.has_dyn_sized_stack, 0
	.set _ZN4vllm25paged_attention_v2_kernelIttLi128ELi16ELi128ELNS_18Fp8KVCacheDataTypeE0ELb1ELi512EEEvPfS2_PT_PKS3_PKT0_S9_ifPKiSB_iPKfiiiSD_SD_iiiii.has_recursion, 0
	.set _ZN4vllm25paged_attention_v2_kernelIttLi128ELi16ELi128ELNS_18Fp8KVCacheDataTypeE0ELb1ELi512EEEvPfS2_PT_PKS3_PKT0_S9_ifPKiSB_iPKfiiiSD_SD_iiiii.has_indirect_call, 0
	.section	.AMDGPU.csdata,"",@progbits
; Kernel info:
; codeLenInByte = 11756
; TotalNumSgprs: 48
; NumVgprs: 95
; ScratchSize: 0
; MemoryBound: 0
; FloatMode: 240
; IeeeMode: 1
; LDSByteSize: 288 bytes/workgroup (compile time only)
; SGPRBlocks: 0
; VGPRBlocks: 11
; NumSGPRsForWavesPerEU: 48
; NumVGPRsForWavesPerEU: 95
; Occupancy: 10
; WaveLimiterHint : 1
; COMPUTE_PGM_RSRC2:SCRATCH_EN: 0
; COMPUTE_PGM_RSRC2:USER_SGPR: 6
; COMPUTE_PGM_RSRC2:TRAP_HANDLER: 0
; COMPUTE_PGM_RSRC2:TGID_X_EN: 1
; COMPUTE_PGM_RSRC2:TGID_Y_EN: 1
; COMPUTE_PGM_RSRC2:TGID_Z_EN: 1
; COMPUTE_PGM_RSRC2:TIDIG_COMP_CNT: 0
	.section	.text._ZN4vllm25paged_attention_v2_kernelIttLi192ELi16ELi128ELNS_18Fp8KVCacheDataTypeE0ELb1ELi512EEEvPfS2_PT_PKS3_PKT0_S9_ifPKiSB_iPKfiiiSD_SD_iiiii,"axG",@progbits,_ZN4vllm25paged_attention_v2_kernelIttLi192ELi16ELi128ELNS_18Fp8KVCacheDataTypeE0ELb1ELi512EEEvPfS2_PT_PKS3_PKT0_S9_ifPKiSB_iPKfiiiSD_SD_iiiii,comdat
	.protected	_ZN4vllm25paged_attention_v2_kernelIttLi192ELi16ELi128ELNS_18Fp8KVCacheDataTypeE0ELb1ELi512EEEvPfS2_PT_PKS3_PKT0_S9_ifPKiSB_iPKfiiiSD_SD_iiiii ; -- Begin function _ZN4vllm25paged_attention_v2_kernelIttLi192ELi16ELi128ELNS_18Fp8KVCacheDataTypeE0ELb1ELi512EEEvPfS2_PT_PKS3_PKT0_S9_ifPKiSB_iPKfiiiSD_SD_iiiii
	.globl	_ZN4vllm25paged_attention_v2_kernelIttLi192ELi16ELi128ELNS_18Fp8KVCacheDataTypeE0ELb1ELi512EEEvPfS2_PT_PKS3_PKT0_S9_ifPKiSB_iPKfiiiSD_SD_iiiii
	.p2align	8
	.type	_ZN4vllm25paged_attention_v2_kernelIttLi192ELi16ELi128ELNS_18Fp8KVCacheDataTypeE0ELb1ELi512EEEvPfS2_PT_PKS3_PKT0_S9_ifPKiSB_iPKfiiiSD_SD_iiiii,@function
_ZN4vllm25paged_attention_v2_kernelIttLi192ELi16ELi128ELNS_18Fp8KVCacheDataTypeE0ELb1ELi512EEEvPfS2_PT_PKS3_PKT0_S9_ifPKiSB_iPKfiiiSD_SD_iiiii: ; @_ZN4vllm25paged_attention_v2_kernelIttLi192ELi16ELi128ELNS_18Fp8KVCacheDataTypeE0ELb1ELi512EEEvPfS2_PT_PKS3_PKT0_S9_ifPKiSB_iPKfiiiSD_SD_iiiii
; %bb.0:
	s_load_dwordx2 s[0:1], s[4:5], 0x40
	s_mov_b32 s26, s7
	s_ashr_i32 s27, s7, 31
	s_lshl_b64 s[2:3], s[26:27], 2
	s_waitcnt lgkmcnt(0)
	s_add_u32 s0, s0, s2
	s_addc_u32 s1, s1, s3
	s_lshl_b32 s38, s8, 9
	s_load_dword s27, s[0:1], 0x0
	s_waitcnt lgkmcnt(0)
	s_cmp_ge_i32 s38, s27
	s_cbranch_scc1 .LBB97_104
; %bb.1:
	s_clause 0x1
	s_load_dword s9, s[4:5], 0x90
	s_load_dwordx2 s[36:37], s[4:5], 0x30
	s_mov_b32 s40, 0
	s_waitcnt lgkmcnt(0)
	s_abs_i32 s3, s9
	s_abs_i32 s0, s36
	v_cvt_f32_u32_e32 v1, s0
	s_sub_i32 s2, 0, s0
	v_rcp_iflag_f32_e32 v1, v1
	v_mul_f32_e32 v1, 0x4f7ffffe, v1
	v_cvt_u32_f32_e32 v1, v1
	v_readfirstlane_b32 s1, v1
	s_mul_i32 s2, s2, s1
	s_mul_hi_u32 s2, s1, s2
	s_add_i32 s1, s1, s2
	s_xor_b32 s2, s9, s36
	s_mul_hi_u32 s1, s3, s1
	s_ashr_i32 s2, s2, 31
	s_mul_i32 s7, s1, s0
	s_sub_i32 s3, s3, s7
	s_add_i32 s7, s1, 1
	s_sub_i32 s10, s3, s0
	s_cmp_ge_u32 s3, s0
	s_cselect_b32 s1, s7, s1
	s_cselect_b32 s3, s10, s3
	s_add_i32 s7, s1, 1
	s_cmp_ge_u32 s3, s0
	s_cselect_b32 s0, s7, s1
	s_xor_b32 s0, s0, s2
	s_sub_i32 s10, s0, s2
	s_load_dwordx2 s[0:1], s[4:5], 0x50
	s_abs_i32 s2, s10
	v_cvt_f32_u32_e32 v1, s2
	s_sub_i32 s3, 0, s2
	v_rcp_iflag_f32_e32 v1, v1
	v_mul_f32_e32 v1, 0x4f7ffffe, v1
	v_cvt_u32_f32_e32 v1, v1
	v_readfirstlane_b32 s7, v1
	s_mul_i32 s3, s3, s7
	s_mul_hi_u32 s11, s7, s3
	s_abs_i32 s3, s6
	s_add_i32 s7, s7, s11
	s_waitcnt lgkmcnt(0)
	s_cmp_eq_u64 s[0:1], 0
	s_mul_hi_u32 s20, s3, s7
	s_cbranch_scc1 .LBB97_3
; %bb.2:
	s_ashr_i32 s7, s6, 31
	s_lshl_b64 s[12:13], s[6:7], 2
	s_add_u32 s0, s0, s12
	s_addc_u32 s1, s1, s13
	s_load_dword s40, s[0:1], 0x0
.LBB97_3:
	s_load_dwordx4 s[12:15], s[4:5], 0x58
	v_lshrrev_b32_e32 v49, 1, v0
	v_and_b32_e32 v50, 1, v0
	v_lshlrev_b32_e32 v53, 3, v0
	s_ashr_i32 s0, s6, 31
	s_ashr_i32 s1, s10, 31
	s_mul_i32 s10, s6, 0xc0
	s_mov_b32 s7, exec_lo
	v_cmpx_gt_u32_e32 48, v0
	s_cbranch_execz .LBB97_5
; %bb.4:
	s_load_dwordx2 s[16:17], s[4:5], 0x18
	s_waitcnt lgkmcnt(0)
	s_mul_i32 s18, s12, s26
	v_lshlrev_b32_e32 v3, 3, v49
	s_ashr_i32 s19, s18, 31
	s_lshl_b64 s[18:19], s[18:19], 1
	v_mad_u32_u24 v3, 0xc0, v50, v3
	s_add_u32 s12, s16, s18
	s_addc_u32 s15, s17, s19
	s_ashr_i32 s11, s10, 31
	s_lshl_b64 s[16:17], s[10:11], 1
	s_add_u32 s16, s12, s16
	s_addc_u32 s17, s15, s17
	global_load_dwordx2 v[1:2], v53, s[16:17]
	s_waitcnt vmcnt(0)
	ds_write_b64 v3, v[1:2]
.LBB97_5:
	s_or_b32 exec_lo, exec_lo, s7
	s_load_dwordx4 s[16:19], s[4:5], 0x78
	s_mul_i32 s7, s20, s2
	s_xor_b32 s0, s0, s1
	s_sub_i32 s1, s3, s7
	s_add_i32 s3, s20, 1
	s_sub_i32 s7, s1, s2
	s_cmp_ge_u32 s1, s2
                                        ; implicit-def: $sgpr33
	s_cselect_b32 s3, s3, s20
	s_cselect_b32 s1, s7, s1
	s_add_i32 s7, s3, 1
	s_cmp_ge_u32 s1, s2
	s_mov_b32 s20, -1
	s_cselect_b32 s1, s7, s3
	s_load_dword s3, s[4:5], 0x88
	s_xor_b32 s1, s1, s0
	s_add_i32 s7, s27, -1
	s_sub_i32 s1, s1, s0
	s_abs_i32 s2, s7
	s_waitcnt lgkmcnt(0)
	s_abs_i32 s11, s19
	s_barrier
	v_cvt_f32_u32_e32 v1, s11
	s_sub_i32 s0, 0, s11
	buffer_gl0_inv
	v_rcp_iflag_f32_e32 v1, v1
	v_mul_f32_e32 v1, 0x4f7ffffe, v1
	v_cvt_u32_f32_e32 v1, v1
	v_readfirstlane_b32 s12, v1
	s_mul_i32 s0, s0, s12
	s_mul_hi_u32 s0, s12, s0
	s_add_i32 s12, s12, s0
	s_cmp_lt_i32 s3, 0
	s_mul_hi_u32 s0, s2, s12
	s_cbranch_scc0 .LBB97_7
; %bb.6:
	s_mul_i32 s15, s16, s36
	s_mov_b32 s20, 0
	s_add_i32 s15, s1, s15
	s_mul_i32 s15, s15, s3
	s_sub_i32 s33, 1, s15
.LBB97_7:
	s_load_dwordx2 s[28:29], s[4:5], 0x38
	s_ashr_i32 s15, s7, 31
	s_andn2_b32 vcc_lo, exec_lo, s20
	s_ashr_i32 s19, s19, 31
	s_cbranch_vccnz .LBB97_9
; %bb.8:
	s_mul_i32 s7, s9, s16
	s_add_i32 s7, s7, s6
	s_mul_i32 s3, s7, s3
	s_add_i32 s33, s3, 1
.LBB97_9:
	s_clause 0x4
	s_load_dword s3, s[4:5], 0x48
	s_load_dwordx2 s[34:35], s[4:5], 0x28
	s_load_dword s7, s[4:5], 0x98
	s_load_dwordx4 s[20:23], s[4:5], 0x0
	s_load_dwordx2 s[24:25], s[4:5], 0x10
	s_mul_i32 s16, s0, s11
	s_xor_b32 s15, s15, s19
	s_sub_i32 s2, s2, s16
	s_add_i32 s36, s0, 1
	v_lshrrev_b32_e32 v51, 5, v0
	v_mov_b32_e32 v55, 0xff7fffff
	v_mbcnt_lo_u32_b32 v54, -1, 0
	s_mul_i32 s14, s1, s14
	v_lshl_add_u32 v52, v51, 4, s38
	s_waitcnt lgkmcnt(0)
	s_mul_i32 s30, s3, s26
	s_sub_i32 s3, s2, s11
	s_ashr_i32 s31, s30, 31
	s_cmp_ge_u32 s2, s11
	s_cselect_b32 s0, s36, s0
	s_cselect_b32 s2, s3, s2
	s_add_i32 s3, s0, 1
	s_cmp_ge_u32 s2, s11
	s_cselect_b32 s0, s3, s0
	s_add_i32 s2, s27, 15
	s_lshl_b32 s41, s8, 5
	s_ashr_i32 s3, s2, 31
	v_or_b32_e32 v5, s41, v51
	s_lshr_b32 s3, s3, 28
	s_add_i32 s2, s2, s3
	s_add_i32 s3, s41, 32
	s_ashr_i32 s36, s2, 4
	s_xor_b32 s2, s0, s15
	s_min_i32 s16, s3, s36
	v_ashrrev_i32_e32 v6, 31, v5
	v_cmp_gt_i32_e64 s0, s16, v5
	s_sub_i32 s39, s2, s15
	s_and_saveexec_b32 s42, s0
	s_cbranch_execz .LBB97_21
; %bb.10:
	s_load_dwordx2 s[2:3], s[4:5], 0x20
	s_ashr_i32 s15, s14, 31
	s_sub_i32 s4, s39, s17
	s_lshl_b64 s[44:45], s[14:15], 1
	v_bfe_u32 v56, v0, 1, 4
	v_and_b32_e32 v4, 8, v53
	v_mul_u32_u24_e32 v57, 0xc0, v50
	v_cmp_neq_f32_e64 s1, s40, 0
	v_lshl_add_u32 v58, v51, 4, s38
	v_lshlrev_b32_e32 v7, 2, v56
	v_subrev_nc_u32_e32 v8, s27, v56
	v_lshlrev_b32_e32 v9, 4, v56
	v_mov_b32_e32 v59, 0xff7fffff
	v_xor_b32_e32 v60, 1, v54
	v_lshl_or_b32 v7, v51, 6, v7
	v_add_nc_u32_e32 v61, 1, v8
	v_mov_b32_e32 v55, 0xff7fffff
	v_mov_b32_e32 v66, v5
	v_cmp_eq_u32_e32 vcc_lo, 0, v50
	v_add_nc_u32_e32 v62, 0x1a0, v7
	s_waitcnt lgkmcnt(0)
	s_add_u32 s15, s2, s44
	s_addc_u32 s43, s3, s45
	s_abs_i32 s5, s18
	v_add_co_u32 v8, s15, s15, v9
	v_cvt_f32_u32_e32 v1, s5
	s_sub_i32 s2, 0, s5
	v_add_co_ci_u32_e64 v9, null, s43, 0, s15
	s_mov_b32 s15, 0
	v_rcp_iflag_f32_e32 v3, v1
	v_lshlrev_b64 v[1:2], 2, v[5:6]
	s_mov_b32 s43, s13
	v_mul_f32_e32 v3, 0x4f7ffffe, v3
	v_cvt_u32_f32_e32 v3, v3
	v_mul_lo_u32 v7, s2, v3
	s_lshl_b64 s[2:3], s[30:31], 2
	s_add_u32 s2, s28, s2
	s_addc_u32 s3, s29, s3
	v_add_co_u32 v1, s2, s2, v1
	v_add_co_ci_u32_e64 v2, null, s3, v2, s2
	v_mul_hi_u32 v7, v3, v7
	v_add_co_u32 v63, s2, v8, v4
	v_add_co_ci_u32_e64 v64, null, 0, v9, s2
	v_add_nc_u32_e32 v65, v3, v7
	s_branch .LBB97_13
.LBB97_11:                              ;   in Loop: Header=BB97_13 Depth=1
	s_or_b32 exec_lo, exec_lo, s44
.LBB97_12:                              ;   in Loop: Header=BB97_13 Depth=1
	s_or_b32 exec_lo, exec_lo, s3
	v_add_nc_u32_e32 v66, 4, v66
	v_add_co_u32 v1, s3, v1, 16
	v_add_co_ci_u32_e64 v2, null, 0, v2, s3
	v_cmp_le_i32_e64 s2, s16, v66
	v_add_nc_u32_e32 v58, 64, v58
	v_add_nc_u32_e32 v62, 0x100, v62
	s_or_b32 s15, s2, s15
	s_andn2_b32 exec_lo, exec_lo, s15
	s_cbranch_execz .LBB97_20
.LBB97_13:                              ; =>This Inner Loop Header: Depth=1
	v_sub_nc_u32_e32 v3, 0, v58
	v_max_i32_e32 v3, v58, v3
	s_waitcnt lgkmcnt(0)
	v_mul_hi_u32 v4, v3, s12
	v_mul_lo_u32 v7, v4, s11
	v_sub_nc_u32_e32 v3, v3, v7
	v_add_nc_u32_e32 v7, 1, v4
	v_subrev_nc_u32_e32 v8, s11, v3
	v_cmp_le_u32_e64 s2, s11, v3
	v_cndmask_b32_e64 v4, v4, v7, s2
	v_cndmask_b32_e64 v3, v3, v8, s2
	v_ashrrev_i32_e32 v7, 31, v58
	v_add_nc_u32_e32 v8, 1, v4
	v_cmp_le_u32_e64 s2, s11, v3
	v_xor_b32_e32 v7, s19, v7
	v_cndmask_b32_e64 v3, v4, v8, s2
	v_xor_b32_e32 v3, v3, v7
	v_sub_nc_u32_e32 v3, v3, v7
	v_add_nc_u32_e32 v4, s33, v3
	v_cmp_ge_i32_e64 s3, s4, v3
	v_sub_nc_u32_e32 v7, 0, v4
	v_max_i32_e32 v7, v4, v7
	v_ashrrev_i32_e32 v4, 31, v4
	v_mul_hi_u32 v8, v7, v65
	v_mul_lo_u32 v8, v8, s5
	v_sub_nc_u32_e32 v7, v7, v8
	v_subrev_nc_u32_e32 v8, s5, v7
	v_cmp_le_u32_e64 s2, s5, v7
	v_cndmask_b32_e64 v7, v7, v8, s2
	v_subrev_nc_u32_e32 v8, s5, v7
	v_cmp_le_u32_e64 s2, s5, v7
	v_cndmask_b32_e64 v7, v7, v8, s2
	v_xor_b32_e32 v7, v7, v4
	v_sub_nc_u32_e32 v4, v7, v4
	v_cmp_ne_u32_e64 s2, 0, v4
	s_and_b32 s2, s2, s3
	s_and_saveexec_b32 s3, s2
	s_xor_b32 s2, exec_lo, s3
	s_cbranch_execz .LBB97_17
; %bb.14:                               ;   in Loop: Header=BB97_13 Depth=1
	s_and_saveexec_b32 s3, vcc_lo
; %bb.15:                               ;   in Loop: Header=BB97_13 Depth=1
	ds_write_b32 v62, v59
; %bb.16:                               ;   in Loop: Header=BB97_13 Depth=1
	s_or_b32 exec_lo, exec_lo, s3
.LBB97_17:                              ;   in Loop: Header=BB97_13 Depth=1
	s_andn2_saveexec_b32 s3, s2
	s_cbranch_execz .LBB97_12
; %bb.18:                               ;   in Loop: Header=BB97_13 Depth=1
	global_load_dword v3, v[1:2], off
	s_waitcnt vmcnt(0)
	v_mad_i64_i32 v[3:4], null, v3, s43, 0
	v_lshlrev_b64 v[3:4], 1, v[3:4]
	v_add_co_u32 v3, s2, v63, v3
	v_add_co_ci_u32_e64 v4, null, v64, v4, s2
	s_clause 0x7
	global_load_dwordx2 v[67:68], v[3:4], off
	global_load_dwordx2 v[75:76], v[3:4], off offset:256
	global_load_dwordx2 v[47:48], v[3:4], off offset:512
	;; [unrolled: 1-line block ×7, first 2 shown]
	v_add_co_u32 v7, s2, v3, 0x1000
	v_add_co_ci_u32_e64 v8, null, 0, v4, s2
	v_add_co_u32 v11, s2, 0x800, v3
	v_add_co_ci_u32_e64 v12, null, 0, v4, s2
	global_load_dwordx2 v[35:36], v[7:8], off offset:-2048
	ds_read_b64 v[9:10], v57
	v_add_co_u32 v3, s2, 0x1000, v3
	global_load_dwordx2 v[33:34], v[11:12], off offset:256
	v_add_co_ci_u32_e64 v4, null, 0, v4, s2
	v_cmp_gt_i32_e64 s2, 32, v60
	s_waitcnt lgkmcnt(0)
	v_lshrrev_b32_e32 v69, 16, v9
	v_and_b32_e32 v70, 0xffff, v9
	v_lshrrev_b32_e32 v77, 16, v10
	v_and_b32_e32 v78, 0xffff, v10
	s_clause 0xd
	global_load_dwordx2 v[31:32], v[11:12], off offset:512
	global_load_dwordx2 v[29:30], v[11:12], off offset:768
	;; [unrolled: 1-line block ×11, first 2 shown]
	global_load_dwordx2 v[19:20], v[7:8], off
	global_load_dwordx2 v[7:8], v[3:4], off offset:1536
	global_load_dwordx2 v[3:4], v[3:4], off offset:1792
	;;#ASMSTART
	v_cvt_f32_f16 v72, v70;
	;;#ASMEND
	;;#ASMSTART
	v_cvt_f32_f16 v71, v69;
	;;#ASMEND
	s_waitcnt vmcnt(23)
	v_and_b32_e32 v70, 0xffff, v67
	v_lshrrev_b32_e32 v67, 16, v67
	v_lshrrev_b32_e32 v69, 16, v68
	v_and_b32_e32 v79, 0xffff, v68
	;;#ASMSTART
	v_cvt_f32_f16 v74, v70;
	;;#ASMEND
	;;#ASMSTART
	v_cvt_f32_f16 v73, v67;
	;;#ASMEND
	;;#ASMSTART
	v_cvt_f32_f16 v68, v78;
	;;#ASMEND
	;;#ASMSTART
	v_cvt_f32_f16 v67, v77;
	;;#ASMEND
	;;#ASMSTART
	v_cvt_f32_f16 v70, v79;
	;;#ASMEND
	;;#ASMSTART
	v_cvt_f32_f16 v69, v69;
	;;#ASMEND
	ds_read_b64 v[77:78], v57 offset:8
	s_waitcnt vmcnt(22)
	v_and_b32_e32 v79, 0xffff, v75
	v_lshrrev_b32_e32 v75, 16, v75
	v_and_b32_e32 v80, 0xffff, v76
	v_lshrrev_b32_e32 v76, 16, v76
	s_waitcnt vmcnt(20)
	v_lshrrev_b32_e32 v87, 16, v46
	v_and_b32_e32 v46, 0xffff, v46
	s_waitcnt vmcnt(19)
	v_lshrrev_b32_e32 v90, 16, v43
	v_and_b32_e32 v89, 0xffff, v43
	v_lshrrev_b32_e32 v101, 16, v44
	v_and_b32_e32 v92, 0xffff, v44
	s_waitcnt vmcnt(18)
	v_lshrrev_b32_e32 v103, 16, v41
	v_and_b32_e32 v104, 0xffff, v41
	s_waitcnt vmcnt(17)
	v_lshrrev_b32_e32 v106, 16, v39
	v_and_b32_e32 v107, 0xffff, v39
	v_lshrrev_b32_e32 v108, 16, v40
	v_and_b32_e32 v109, 0xffff, v40
	;; [unrolled: 2-line block ×3, first 2 shown]
	s_waitcnt lgkmcnt(0)
	v_and_b32_e32 v81, 0xffff, v77
	v_lshrrev_b32_e32 v77, 16, v77
	v_and_b32_e32 v82, 0xffff, v78
	v_lshrrev_b32_e32 v78, 16, v78
	;;#ASMSTART
	v_cvt_f32_f16 v95, v81;
	;;#ASMEND
	;;#ASMSTART
	v_cvt_f32_f16 v96, v77;
	;;#ASMEND
	;;#ASMSTART
	v_cvt_f32_f16 v97, v79;
	;;#ASMEND
	;;#ASMSTART
	v_cvt_f32_f16 v98, v75;
	;;#ASMEND
	;;#ASMSTART
	v_cvt_f32_f16 v99, v82;
	;;#ASMEND
	;;#ASMSTART
	v_cvt_f32_f16 v75, v78;
	;;#ASMEND
	;;#ASMSTART
	v_cvt_f32_f16 v100, v80;
	;;#ASMEND
	;;#ASMSTART
	v_cvt_f32_f16 v86, v76;
	;;#ASMEND
	ds_read_b64 v[76:77], v57 offset:16
	v_and_b32_e32 v79, 0xffff, v47
	v_lshrrev_b32_e32 v47, 16, v47
	v_and_b32_e32 v80, 0xffff, v48
	v_lshrrev_b32_e32 v48, 16, v48
	v_mul_f32_e32 v40, v95, v97
	v_mul_f32_e32 v41, v96, v98
	;; [unrolled: 1-line block ×3, first 2 shown]
	v_fmac_f32_e32 v40, v72, v74
	v_fmac_f32_e32 v41, v71, v73
	;; [unrolled: 1-line block ×3, first 2 shown]
	s_waitcnt vmcnt(16)
	v_and_b32_e32 v68, 0xffff, v37
	v_lshrrev_b32_e32 v70, 16, v38
	s_waitcnt lgkmcnt(0)
	v_and_b32_e32 v78, 0xffff, v76
	v_lshrrev_b32_e32 v76, 16, v76
	v_and_b32_e32 v81, 0xffff, v77
	v_lshrrev_b32_e32 v77, 16, v77
	;;#ASMSTART
	v_cvt_f32_f16 v93, v78;
	;;#ASMEND
	;;#ASMSTART
	v_cvt_f32_f16 v78, v76;
	;;#ASMEND
	;; [unrolled: 3-line block ×8, first 2 shown]
	ds_read_b64 v[47:48], v57 offset:24
	v_lshrrev_b32_e32 v80, 16, v45
	v_and_b32_e32 v45, 0xffff, v45
	v_fmac_f32_e32 v40, v93, v94
	v_fmac_f32_e32 v41, v78, v79
	v_fmac_f32_e32 v39, v84, v85
	s_waitcnt lgkmcnt(0)
	v_and_b32_e32 v76, 0xffff, v47
	v_lshrrev_b32_e32 v47, 16, v47
	v_and_b32_e32 v81, 0xffff, v48
	v_lshrrev_b32_e32 v88, 16, v48
	;;#ASMSTART
	v_cvt_f32_f16 v76, v76;
	;;#ASMEND
	;;#ASMSTART
	v_cvt_f32_f16 v47, v47;
	;;#ASMEND
	;;#ASMSTART
	v_cvt_f32_f16 v77, v45;
	;;#ASMEND
	;;#ASMSTART
	v_cvt_f32_f16 v48, v80;
	;;#ASMEND
	;;#ASMSTART
	v_cvt_f32_f16 v80, v81;
	;;#ASMEND
	;;#ASMSTART
	v_cvt_f32_f16 v45, v88;
	;;#ASMEND
	;;#ASMSTART
	v_cvt_f32_f16 v81, v46;
	;;#ASMEND
	;;#ASMSTART
	v_cvt_f32_f16 v46, v87;
	;;#ASMEND
	ds_read_b64 v[87:88], v57 offset:32
	v_fmac_f32_e32 v40, v76, v77
	v_fmac_f32_e32 v41, v47, v48
	v_fmac_f32_e32 v39, v80, v81
	s_waitcnt lgkmcnt(0)
	v_and_b32_e32 v43, 0xffff, v87
	v_lshrrev_b32_e32 v91, 16, v87
	v_and_b32_e32 v102, 0xffff, v88
	v_lshrrev_b32_e32 v88, 16, v88
	;;#ASMSTART
	v_cvt_f32_f16 v87, v43;
	;;#ASMEND
	;;#ASMSTART
	v_cvt_f32_f16 v43, v91;
	;;#ASMEND
	;;#ASMSTART
	v_cvt_f32_f16 v89, v89;
	;;#ASMEND
	;;#ASMSTART
	v_cvt_f32_f16 v44, v90;
	;;#ASMEND
	;;#ASMSTART
	v_cvt_f32_f16 v91, v102;
	;;#ASMEND
	;;#ASMSTART
	v_cvt_f32_f16 v88, v88;
	;;#ASMEND
	;;#ASMSTART
	v_cvt_f32_f16 v92, v92;
	;;#ASMEND
	;;#ASMSTART
	v_cvt_f32_f16 v90, v101;
	;;#ASMEND
	ds_read_b64 v[101:102], v57 offset:40
	v_fmac_f32_e32 v40, v87, v89
	v_fmac_f32_e32 v41, v43, v44
	v_fmac_f32_e32 v39, v91, v92
	s_waitcnt lgkmcnt(0)
	v_and_b32_e32 v95, 0xffff, v101
	v_lshrrev_b32_e32 v96, 16, v101
	v_and_b32_e32 v98, 0xffff, v102
	v_lshrrev_b32_e32 v100, 16, v102
	;;#ASMSTART
	v_cvt_f32_f16 v97, v95;
	;;#ASMEND
	;;#ASMSTART
	v_cvt_f32_f16 v95, v96;
	;;#ASMEND
	;;#ASMSTART
	v_cvt_f32_f16 v99, v104;
	;;#ASMEND
	;;#ASMSTART
	v_cvt_f32_f16 v96, v103;
	;;#ASMEND
	;;#ASMSTART
	v_cvt_f32_f16 v101, v98;
	;;#ASMEND
	;;#ASMSTART
	v_cvt_f32_f16 v98, v100;
	;;#ASMEND
	;;#ASMSTART
	v_cvt_f32_f16 v102, v42;
	;;#ASMEND
	;;#ASMSTART
	v_cvt_f32_f16 v100, v105;
	;;#ASMEND
	ds_read_b64 v[103:104], v57 offset:48
	v_fmac_f32_e32 v40, v97, v99
	v_fmac_f32_e32 v41, v95, v96
	;; [unrolled: 1-line block ×3, first 2 shown]
	s_waitcnt lgkmcnt(0)
	v_lshrrev_b32_e32 v72, 16, v103
	v_and_b32_e32 v74, 0xffff, v104
	v_lshrrev_b32_e32 v104, 16, v104
	v_and_b32_e32 v42, 0xffff, v103
	;;#ASMSTART
	v_cvt_f32_f16 v73, v42;
	;;#ASMEND
	;;#ASMSTART
	v_cvt_f32_f16 v71, v72;
	;;#ASMEND
	;; [unrolled: 3-line block ×8, first 2 shown]
	ds_read_b64 v[107:108], v57 offset:56
	v_mul_f32_e32 v42, v75, v86
	v_lshrrev_b32_e32 v75, 16, v37
	v_and_b32_e32 v86, 0xffff, v38
	v_fmac_f32_e32 v40, v73, v103
	v_fmac_f32_e32 v41, v71, v72
	;; [unrolled: 1-line block ×6, first 2 shown]
	s_waitcnt lgkmcnt(0)
	v_and_b32_e32 v37, 0xffff, v107
	v_lshrrev_b32_e32 v38, 16, v107
	v_and_b32_e32 v93, 0xffff, v108
	v_lshrrev_b32_e32 v94, 16, v108
	;;#ASMSTART
	v_cvt_f32_f16 v67, v37;
	;;#ASMEND
	;;#ASMSTART
	v_cvt_f32_f16 v37, v38;
	;;#ASMEND
	;; [unrolled: 3-line block ×8, first 2 shown]
	ds_read_b64 v[93:94], v57 offset:64
	s_waitcnt vmcnt(15)
	v_lshrrev_b32_e32 v107, 16, v35
	v_and_b32_e32 v35, 0xffff, v35
	v_lshrrev_b32_e32 v108, 16, v36
	v_and_b32_e32 v36, 0xffff, v36
	v_fmac_f32_e32 v42, v88, v90
	v_fmac_f32_e32 v40, v67, v69
	;; [unrolled: 1-line block ×4, first 2 shown]
	s_waitcnt vmcnt(8)
	v_lshrrev_b32_e32 v86, 16, v22
	v_fmac_f32_e32 v42, v98, v100
	v_and_b32_e32 v22, 0xffff, v22
	v_fmac_f32_e32 v42, v74, v104
	v_lshrrev_b32_e32 v104, 16, v24
	v_and_b32_e32 v24, 0xffff, v24
	s_waitcnt lgkmcnt(0)
	v_and_b32_e32 v78, 0xffff, v93
	v_lshrrev_b32_e32 v79, 16, v93
	v_and_b32_e32 v84, 0xffff, v94
	v_lshrrev_b32_e32 v85, 16, v94
	;;#ASMSTART
	v_cvt_f32_f16 v78, v78;
	;;#ASMEND
	;;#ASMSTART
	v_cvt_f32_f16 v79, v79;
	;;#ASMEND
	;; [unrolled: 3-line block ×8, first 2 shown]
	ds_read_b64 v[35:36], v57 offset:72
	v_lshrrev_b32_e32 v107, 16, v33
	v_and_b32_e32 v33, 0xffff, v33
	v_lshrrev_b32_e32 v108, 16, v34
	v_and_b32_e32 v34, 0xffff, v34
	v_fmac_f32_e32 v42, v68, v70
	v_fmac_f32_e32 v40, v78, v82
	;; [unrolled: 1-line block ×5, first 2 shown]
	s_waitcnt lgkmcnt(0)
	v_and_b32_e32 v47, 0xffff, v35
	v_lshrrev_b32_e32 v48, 16, v35
	v_lshrrev_b32_e32 v77, 16, v36
	v_and_b32_e32 v76, 0xffff, v36
	;;#ASMSTART
	v_cvt_f32_f16 v35, v47;
	;;#ASMEND
	;;#ASMSTART
	v_cvt_f32_f16 v36, v48;
	;;#ASMEND
	;; [unrolled: 3-line block ×8, first 2 shown]
	ds_read_b64 v[33:34], v57 offset:80
	v_lshrrev_b32_e32 v107, 16, v31
	v_and_b32_e32 v31, 0xffff, v31
	v_lshrrev_b32_e32 v108, 16, v32
	v_and_b32_e32 v32, 0xffff, v32
	v_fmac_f32_e32 v40, v35, v47
	v_fmac_f32_e32 v41, v36, v48
	;; [unrolled: 1-line block ×4, first 2 shown]
	s_waitcnt vmcnt(6)
	v_lshrrev_b32_e32 v81, 16, v16
	v_and_b32_e32 v16, 0xffff, v16
	s_waitcnt lgkmcnt(0)
	v_and_b32_e32 v45, 0xffff, v33
	v_lshrrev_b32_e32 v46, 16, v33
	v_lshrrev_b32_e32 v87, 16, v34
	v_and_b32_e32 v89, 0xffff, v34
	;;#ASMSTART
	v_cvt_f32_f16 v33, v45;
	;;#ASMEND
	;;#ASMSTART
	v_cvt_f32_f16 v34, v46;
	;;#ASMEND
	;;#ASMSTART
	v_cvt_f32_f16 v43, v31;
	;;#ASMEND
	;;#ASMSTART
	v_cvt_f32_f16 v44, v107;
	;;#ASMEND
	;;#ASMSTART
	v_cvt_f32_f16 v45, v89;
	;;#ASMEND
	;;#ASMSTART
	v_cvt_f32_f16 v46, v87;
	;;#ASMEND
	;;#ASMSTART
	v_cvt_f32_f16 v87, v32;
	;;#ASMEND
	;;#ASMSTART
	v_cvt_f32_f16 v89, v108;
	;;#ASMEND
	ds_read_b64 v[31:32], v57 offset:88
	v_lshrrev_b32_e32 v107, 16, v29
	v_and_b32_e32 v29, 0xffff, v29
	v_lshrrev_b32_e32 v108, 16, v30
	v_and_b32_e32 v30, 0xffff, v30
	v_fmac_f32_e32 v40, v33, v43
	v_fmac_f32_e32 v41, v34, v44
	v_fmac_f32_e32 v39, v45, v87
	v_fmac_f32_e32 v42, v46, v89
	s_waitcnt lgkmcnt(0)
	v_and_b32_e32 v88, 0xffff, v31
	v_lshrrev_b32_e32 v90, 16, v31
	v_lshrrev_b32_e32 v92, 16, v32
	v_and_b32_e32 v91, 0xffff, v32
	;;#ASMSTART
	v_cvt_f32_f16 v31, v88;
	;;#ASMEND
	;;#ASMSTART
	v_cvt_f32_f16 v32, v90;
	;;#ASMEND
	;;#ASMSTART
	v_cvt_f32_f16 v88, v29;
	;;#ASMEND
	;;#ASMSTART
	v_cvt_f32_f16 v90, v107;
	;;#ASMEND
	;;#ASMSTART
	v_cvt_f32_f16 v91, v91;
	;;#ASMEND
	;;#ASMSTART
	v_cvt_f32_f16 v92, v92;
	;;#ASMEND
	;;#ASMSTART
	v_cvt_f32_f16 v97, v30;
	;;#ASMEND
	;;#ASMSTART
	v_cvt_f32_f16 v99, v108;
	;;#ASMEND
	ds_read_b64 v[29:30], v57 offset:96
	v_lshrrev_b32_e32 v107, 16, v27
	v_and_b32_e32 v27, 0xffff, v27
	v_lshrrev_b32_e32 v108, 16, v28
	v_and_b32_e32 v28, 0xffff, v28
	v_fmac_f32_e32 v40, v31, v88
	v_fmac_f32_e32 v41, v32, v90
	v_fmac_f32_e32 v39, v91, v97
	v_fmac_f32_e32 v42, v92, v99
	;; [unrolled: 38-line block ×3, first 2 shown]
	s_waitcnt vmcnt(3)
	v_lshrrev_b32_e32 v95, 16, v10
	v_and_b32_e32 v10, 0xffff, v10
	s_waitcnt lgkmcnt(0)
	v_and_b32_e32 v71, 0xffff, v27
	v_lshrrev_b32_e32 v72, 16, v27
	v_lshrrev_b32_e32 v103, 16, v28
	v_and_b32_e32 v73, 0xffff, v28
	;;#ASMSTART
	v_cvt_f32_f16 v27, v71;
	;;#ASMEND
	;;#ASMSTART
	v_cvt_f32_f16 v28, v72;
	;;#ASMEND
	;; [unrolled: 3-line block ×8, first 2 shown]
	ds_read_b64 v[25:26], v57 offset:112
	v_lshrrev_b32_e32 v107, 16, v23
	v_and_b32_e32 v23, 0xffff, v23
	v_fmac_f32_e32 v40, v27, v71
	v_fmac_f32_e32 v41, v28, v72
	;; [unrolled: 1-line block ×4, first 2 shown]
	s_waitcnt lgkmcnt(0)
	v_and_b32_e32 v67, 0xffff, v25
	v_lshrrev_b32_e32 v69, 16, v25
	v_lshrrev_b32_e32 v74, 16, v26
	v_and_b32_e32 v108, 0xffff, v26
	;;#ASMSTART
	v_cvt_f32_f16 v25, v67;
	;;#ASMEND
	;;#ASMSTART
	v_cvt_f32_f16 v26, v69;
	;;#ASMEND
	;; [unrolled: 3-line block ×8, first 2 shown]
	ds_read_b64 v[23:24], v57 offset:120
	v_lshrrev_b32_e32 v107, 16, v21
	v_and_b32_e32 v21, 0xffff, v21
	s_waitcnt vmcnt(2)
	v_lshrrev_b32_e32 v108, 16, v20
	v_and_b32_e32 v20, 0xffff, v20
	v_fmac_f32_e32 v40, v25, v37
	v_fmac_f32_e32 v41, v26, v38
	;; [unrolled: 1-line block ×4, first 2 shown]
	s_waitcnt lgkmcnt(0)
	v_and_b32_e32 v68, 0xffff, v23
	v_lshrrev_b32_e32 v70, 16, v23
	v_lshrrev_b32_e32 v78, 16, v24
	v_and_b32_e32 v75, 0xffff, v24
	;;#ASMSTART
	v_cvt_f32_f16 v23, v68;
	;;#ASMEND
	;;#ASMSTART
	v_cvt_f32_f16 v24, v70;
	;;#ASMEND
	;; [unrolled: 3-line block ×8, first 2 shown]
	ds_read_b64 v[21:22], v57 offset:128
	v_lshrrev_b32_e32 v107, 16, v19
	v_and_b32_e32 v19, 0xffff, v19
	v_fmac_f32_e32 v40, v23, v68
	v_fmac_f32_e32 v41, v24, v70
	;; [unrolled: 1-line block ×4, first 2 shown]
	s_waitcnt vmcnt(1)
	v_lshrrev_b32_e32 v23, 16, v8
	v_and_b32_e32 v8, 0xffff, v8
	s_waitcnt vmcnt(0)
	v_lshrrev_b32_e32 v24, 16, v3
	s_waitcnt lgkmcnt(0)
	v_and_b32_e32 v79, 0xffff, v21
	v_lshrrev_b32_e32 v83, 16, v21
	v_lshrrev_b32_e32 v85, 16, v22
	v_and_b32_e32 v84, 0xffff, v22
	;;#ASMSTART
	v_cvt_f32_f16 v21, v79;
	;;#ASMEND
	;;#ASMSTART
	v_cvt_f32_f16 v22, v83;
	;;#ASMEND
	;; [unrolled: 3-line block ×8, first 2 shown]
	ds_read_b64 v[19:20], v57 offset:136
	v_lshrrev_b32_e32 v107, 16, v17
	v_and_b32_e32 v17, 0xffff, v17
	v_lshrrev_b32_e32 v108, 16, v18
	v_and_b32_e32 v18, 0xffff, v18
	v_fmac_f32_e32 v40, v21, v79
	v_fmac_f32_e32 v41, v22, v83
	;; [unrolled: 1-line block ×4, first 2 shown]
	s_waitcnt lgkmcnt(0)
	v_and_b32_e32 v35, 0xffff, v19
	v_lshrrev_b32_e32 v36, 16, v19
	v_lshrrev_b32_e32 v48, 16, v20
	v_and_b32_e32 v47, 0xffff, v20
	;;#ASMSTART
	v_cvt_f32_f16 v19, v35;
	;;#ASMEND
	;;#ASMSTART
	v_cvt_f32_f16 v20, v36;
	;;#ASMEND
	;; [unrolled: 3-line block ×8, first 2 shown]
	ds_read_b64 v[17:18], v57 offset:144
	v_lshrrev_b32_e32 v107, 16, v15
	v_and_b32_e32 v15, 0xffff, v15
	v_lshrrev_b32_e32 v108, 16, v14
	v_and_b32_e32 v14, 0xffff, v14
	v_fmac_f32_e32 v40, v19, v35
	v_fmac_f32_e32 v41, v20, v36
	v_fmac_f32_e32 v39, v47, v76
	v_fmac_f32_e32 v42, v48, v80
	s_waitcnt lgkmcnt(0)
	v_and_b32_e32 v33, 0xffff, v17
	v_lshrrev_b32_e32 v43, 16, v17
	v_lshrrev_b32_e32 v44, 16, v18
	v_and_b32_e32 v77, 0xffff, v18
	;;#ASMSTART
	v_cvt_f32_f16 v17, v33;
	;;#ASMEND
	;;#ASMSTART
	v_cvt_f32_f16 v18, v43;
	;;#ASMEND
	;; [unrolled: 3-line block ×8, first 2 shown]
	ds_read_b64 v[15:16], v57 offset:152
	v_lshrrev_b32_e32 v107, 16, v13
	v_and_b32_e32 v13, 0xffff, v13
	v_fmac_f32_e32 v40, v17, v33
	v_fmac_f32_e32 v41, v18, v34
	;; [unrolled: 1-line block ×4, first 2 shown]
	s_waitcnt lgkmcnt(0)
	v_and_b32_e32 v45, 0xffff, v15
	v_lshrrev_b32_e32 v46, 16, v15
	v_lshrrev_b32_e32 v87, 16, v16
	v_and_b32_e32 v88, 0xffff, v16
	;;#ASMSTART
	v_cvt_f32_f16 v15, v45;
	;;#ASMEND
	;;#ASMSTART
	v_cvt_f32_f16 v16, v46;
	;;#ASMEND
	;; [unrolled: 3-line block ×8, first 2 shown]
	ds_read_b64 v[13:14], v57 offset:160
	v_lshrrev_b32_e32 v107, 16, v11
	v_and_b32_e32 v11, 0xffff, v11
	v_lshrrev_b32_e32 v108, 16, v12
	v_and_b32_e32 v12, 0xffff, v12
	v_fmac_f32_e32 v40, v15, v31
	v_fmac_f32_e32 v41, v16, v45
	;; [unrolled: 1-line block ×4, first 2 shown]
	v_and_b32_e32 v15, 0xffff, v3
	s_waitcnt lgkmcnt(0)
	v_and_b32_e32 v32, 0xffff, v13
	v_lshrrev_b32_e32 v90, 16, v13
	v_lshrrev_b32_e32 v92, 16, v14
	v_and_b32_e32 v91, 0xffff, v14
	;;#ASMSTART
	v_cvt_f32_f16 v13, v32;
	;;#ASMEND
	;;#ASMSTART
	v_cvt_f32_f16 v14, v90;
	;;#ASMEND
	;; [unrolled: 3-line block ×8, first 2 shown]
	ds_read_b64 v[11:12], v57 offset:168
	v_lshrrev_b32_e32 v107, 16, v9
	v_and_b32_e32 v9, 0xffff, v9
	v_lshrrev_b32_e32 v108, 16, v7
	v_and_b32_e32 v7, 0xffff, v7
	v_fmac_f32_e32 v40, v13, v32
	v_fmac_f32_e32 v41, v14, v90
	;; [unrolled: 1-line block ×4, first 2 shown]
	v_lshrrev_b32_e32 v13, 16, v4
	s_waitcnt lgkmcnt(0)
	v_and_b32_e32 v25, 0xffff, v11
	v_lshrrev_b32_e32 v27, 16, v11
	v_lshrrev_b32_e32 v28, 16, v12
	v_and_b32_e32 v29, 0xffff, v12
	;;#ASMSTART
	v_cvt_f32_f16 v11, v25;
	;;#ASMEND
	;;#ASMSTART
	v_cvt_f32_f16 v12, v27;
	;;#ASMEND
	;; [unrolled: 3-line block ×8, first 2 shown]
	ds_read_b64 v[9:10], v57 offset:176
	v_fmac_f32_e32 v40, v11, v25
	v_fmac_f32_e32 v41, v12, v26
	;; [unrolled: 1-line block ×3, first 2 shown]
	v_and_b32_e32 v11, 0xffff, v4
	v_fmac_f32_e32 v42, v28, v30
	s_waitcnt lgkmcnt(0)
	v_and_b32_e32 v17, 0xffff, v9
	v_lshrrev_b32_e32 v18, 16, v9
	v_lshrrev_b32_e32 v20, 16, v10
	v_and_b32_e32 v19, 0xffff, v10
	;;#ASMSTART
	v_cvt_f32_f16 v9, v17;
	;;#ASMEND
	;;#ASMSTART
	v_cvt_f32_f16 v10, v18;
	;;#ASMEND
	;; [unrolled: 3-line block ×8, first 2 shown]
	ds_read_b64 v[7:8], v57 offset:184
	v_fmac_f32_e32 v40, v9, v17
	v_fmac_f32_e32 v41, v10, v18
	;; [unrolled: 1-line block ×4, first 2 shown]
	s_waitcnt lgkmcnt(0)
	v_and_b32_e32 v3, 0xffff, v7
	v_lshrrev_b32_e32 v4, 16, v7
	v_lshrrev_b32_e32 v9, 16, v8
	v_and_b32_e32 v10, 0xffff, v8
	;;#ASMSTART
	v_cvt_f32_f16 v3, v3;
	;;#ASMEND
	;;#ASMSTART
	v_cvt_f32_f16 v4, v4;
	;;#ASMEND
	;; [unrolled: 3-line block ×4, first 2 shown]
	v_fmac_f32_e32 v40, v3, v7
	v_fmac_f32_e32 v41, v4, v8
	;;#ASMSTART
	v_cvt_f32_f16 v3, v10;
	;;#ASMEND
	;;#ASMSTART
	v_cvt_f32_f16 v4, v9;
	;;#ASMEND
	;; [unrolled: 3-line block ×3, first 2 shown]
	v_fmac_f32_e32 v39, v3, v7
	v_add_f32_e32 v3, v40, v41
	;;#ASMSTART
	v_cvt_f32_f16 v7, v13;
	;;#ASMEND
	v_fmac_f32_e32 v42, v4, v7
	v_cndmask_b32_e64 v4, v54, v60, s2
	v_add_f32_e32 v3, v3, v39
	v_lshlrev_b32_e32 v4, 2, v4
	v_add_f32_e32 v3, v42, v3
	ds_bpermute_b32 v4, v4, v3
	s_and_saveexec_b32 s44, vcc_lo
	s_cbranch_execz .LBB97_11
; %bb.19:                               ;   in Loop: Header=BB97_13 Depth=1
	v_add_nc_u32_e32 v7, v61, v58
	s_waitcnt lgkmcnt(0)
	v_add_f32_e32 v3, v3, v4
	v_cvt_f32_i32_e32 v7, v7
	v_mul_f32_e32 v7, s40, v7
	v_cndmask_b32_e64 v4, 0, v7, s1
	v_max_f32_e32 v7, v55, v55
	v_fmac_f32_e32 v4, s37, v3
	v_add_nc_u32_e32 v3, v56, v58
	v_max_f32_e32 v7, v7, v4
	v_cmp_gt_i32_e64 s2, s27, v3
	v_cndmask_b32_e64 v3, 0, v4, s2
	v_cndmask_b32_e64 v55, v55, v7, s2
	ds_write_b32 v62, v3
	s_branch .LBB97_11
.LBB97_20:
	s_or_b32 exec_lo, exec_lo, s15
.LBB97_21:
	s_or_b32 exec_lo, exec_lo, s42
	v_xor_b32_e32 v1, 16, v54
	v_xor_b32_e32 v2, 8, v54
	s_waitcnt lgkmcnt(0)
	v_max_f32_e32 v4, v55, v55
	v_and_b32_e32 v12, 31, v0
	v_lshlrev_b32_e32 v9, 2, v51
	v_cmp_gt_i32_e32 vcc_lo, 32, v1
	v_cndmask_b32_e32 v1, v54, v1, vcc_lo
	v_cmp_gt_i32_e32 vcc_lo, 32, v2
	v_lshlrev_b32_e32 v3, 2, v1
	v_cndmask_b32_e32 v2, v54, v2, vcc_lo
	ds_bpermute_b32 v1, v3, v55
	v_lshlrev_b32_e32 v7, 2, v2
	s_waitcnt lgkmcnt(0)
	v_max_f32_e32 v1, v1, v1
	v_max_f32_e32 v1, v4, v1
	v_xor_b32_e32 v4, 4, v54
	ds_bpermute_b32 v2, v7, v1
	v_cmp_gt_i32_e32 vcc_lo, 32, v4
	v_cndmask_b32_e32 v4, v54, v4, vcc_lo
	v_lshlrev_b32_e32 v8, 2, v4
	v_xor_b32_e32 v4, 2, v54
	v_cmp_gt_i32_e32 vcc_lo, 32, v4
	s_waitcnt lgkmcnt(0)
	v_max_f32_e32 v2, v2, v2
	v_cndmask_b32_e32 v4, v54, v4, vcc_lo
	v_cmp_eq_u32_e32 vcc_lo, 0, v12
	v_max_f32_e32 v1, v1, v2
	ds_bpermute_b32 v2, v8, v1
	s_waitcnt lgkmcnt(0)
	v_max_f32_e32 v2, v2, v2
	v_max_f32_e32 v1, v1, v2
	v_lshlrev_b32_e32 v2, 2, v4
	ds_bpermute_b32 v4, v2, v1
	s_and_saveexec_b32 s1, vcc_lo
	s_cbranch_execz .LBB97_23
; %bb.22:
	s_waitcnt lgkmcnt(0)
	v_max_f32_e32 v4, v4, v4
	v_max_f32_e32 v1, v1, v1
	;; [unrolled: 1-line block ×3, first 2 shown]
	ds_write_b32 v9, v1 offset:384
.LBB97_23:
	s_or_b32 exec_lo, exec_lo, s1
	v_cmp_gt_u32_e64 s1, 4, v12
	v_mov_b32_e32 v1, 0xff7fffff
	v_lshlrev_b32_e32 v10, 2, v12
	s_waitcnt lgkmcnt(0)
	s_barrier
	buffer_gl0_inv
	s_and_saveexec_b32 s2, s1
; %bb.24:
	ds_read_b32 v1, v10 offset:384
; %bb.25:
	s_or_b32 exec_lo, exec_lo, s2
	s_waitcnt lgkmcnt(0)
	ds_bpermute_b32 v4, v2, v1
	v_xor_b32_e32 v11, 1, v54
	v_max_f32_e32 v1, v1, v1
	v_cmp_gt_i32_e64 s2, 32, v11
	v_cndmask_b32_e64 v11, v54, v11, s2
	s_sub_i32 s2, s16, s41
	s_lshl_b32 s2, s2, 4
	v_lshlrev_b32_e32 v13, 2, v11
	v_mov_b32_e32 v11, 0
	s_add_i32 s2, s2, s38
	s_min_i32 s2, s2, s27
	s_waitcnt lgkmcnt(0)
	v_max_f32_e32 v4, v4, v4
	s_sub_i32 s4, s2, s38
	v_cmp_gt_i32_e64 s2, s4, v0
	v_max_f32_e32 v1, v1, v4
	ds_bpermute_b32 v4, v13, v1
	s_waitcnt lgkmcnt(0)
	v_max_f32_e32 v4, v4, v4
	v_max_f32_e32 v1, v1, v4
	v_lshl_add_u32 v4, v0, 2, 0x1a0
	ds_bpermute_b32 v1, v11, v1
	s_and_saveexec_b32 s5, s2
	s_cbranch_execz .LBB97_29
; %bb.26:
	v_lshl_add_u32 v14, v0, 2, 0x1a0
	v_mov_b32_e32 v11, 0
	v_mov_b32_e32 v15, v0
	s_mov_b32 s15, 0
	.p2align	6
.LBB97_27:                              ; =>This Inner Loop Header: Depth=1
	ds_read_b32 v16, v14
	v_add_nc_u32_e32 v15, 0x80, v15
	v_cmp_le_i32_e64 s3, s4, v15
	s_or_b32 s15, s3, s15
	s_waitcnt lgkmcnt(0)
	v_sub_f32_e32 v16, v16, v1
	v_mul_f32_e32 v16, 0x3fb8aa3b, v16
	v_exp_f32_e32 v16, v16
	ds_write_b32 v14, v16
	v_add_f32_e32 v11, v11, v16
	v_add_nc_u32_e32 v14, 0x200, v14
	s_andn2_b32 exec_lo, exec_lo, s15
	s_cbranch_execnz .LBB97_27
; %bb.28:
	s_or_b32 exec_lo, exec_lo, s15
.LBB97_29:
	s_or_b32 exec_lo, exec_lo, s5
	ds_bpermute_b32 v3, v3, v11
	s_waitcnt lgkmcnt(0)
	v_add_f32_e32 v3, v11, v3
	ds_bpermute_b32 v7, v7, v3
	s_waitcnt lgkmcnt(0)
	v_add_f32_e32 v3, v3, v7
	;; [unrolled: 3-line block ×5, first 2 shown]
	s_and_saveexec_b32 s3, vcc_lo
; %bb.30:
	ds_write_b32 v9, v3 offset:400
; %bb.31:
	s_or_b32 exec_lo, exec_lo, s3
	s_waitcnt lgkmcnt(0)
	s_barrier
	buffer_gl0_inv
	s_and_saveexec_b32 s3, s1
; %bb.32:
	ds_read_b32 v3, v10 offset:400
; %bb.33:
	s_or_b32 exec_lo, exec_lo, s3
	s_waitcnt lgkmcnt(0)
	ds_bpermute_b32 v2, v2, v3
	s_waitcnt lgkmcnt(0)
	v_add_f32_e32 v2, v3, v2
	ds_bpermute_b32 v3, v13, v2
	s_waitcnt lgkmcnt(0)
	v_add_f32_e32 v2, v2, v3
	v_mov_b32_e32 v3, 0
	ds_bpermute_b32 v2, v3, v2
	s_and_saveexec_b32 s1, s2
	s_cbranch_execz .LBB97_36
; %bb.34:
	s_waitcnt lgkmcnt(0)
	v_add_f32_e32 v3, 0x358637bd, v2
	s_mov_b32 s2, 0
	v_div_scale_f32 v7, null, v3, v3, 1.0
	v_div_scale_f32 v10, vcc_lo, 1.0, v3, 1.0
	v_rcp_f32_e32 v8, v7
	v_fma_f32 v9, -v7, v8, 1.0
	v_fmac_f32_e32 v8, v9, v8
	v_mul_f32_e32 v9, v10, v8
	v_fma_f32 v11, -v7, v9, v10
	v_fmac_f32_e32 v9, v11, v8
	v_fma_f32 v7, -v7, v9, v10
	v_div_fmas_f32 v7, v7, v8, v9
	v_div_fixup_f32 v3, v7, v3, 1.0
	v_mov_b32_e32 v7, v0
.LBB97_35:                              ; =>This Inner Loop Header: Depth=1
	ds_read_b32 v8, v4
	v_add_nc_u32_e32 v7, 0x80, v7
	v_cmp_le_i32_e32 vcc_lo, s4, v7
	s_or_b32 s2, vcc_lo, s2
	s_waitcnt lgkmcnt(0)
	v_mul_f32_e32 v8, v3, v8
	ds_write_b32 v4, v8
	v_add_nc_u32_e32 v4, 0x200, v4
	s_andn2_b32 exec_lo, exec_lo, s2
	s_cbranch_execnz .LBB97_35
.LBB97_36:
	s_or_b32 exec_lo, exec_lo, s1
	s_mul_i32 s1, s7, s26
	s_waitcnt lgkmcnt(0)
	s_mul_i32 s2, s1, s9
	s_mov_b32 s1, exec_lo
	s_barrier
	buffer_gl0_inv
	v_cmpx_eq_u32_e32 0, v0
	s_cbranch_execz .LBB97_38
; %bb.37:
	s_ashr_i32 s3, s2, 31
	s_mul_i32 s40, s7, s6
	s_lshl_b64 s[4:5], s[2:3], 2
	v_mov_b32_e32 v3, 0
	s_add_u32 s3, s22, s4
	s_addc_u32 s6, s23, s5
	s_ashr_i32 s41, s40, 31
	s_lshl_b64 s[22:23], s[40:41], 2
	s_add_u32 s3, s3, s22
	s_addc_u32 s6, s6, s23
	s_ashr_i32 s9, s8, 31
	s_lshl_b64 s[40:41], s[8:9], 2
	s_add_u32 s42, s3, s40
	s_addc_u32 s43, s6, s41
	s_add_u32 s3, s20, s4
	s_addc_u32 s4, s21, s5
	;; [unrolled: 2-line block ×4, first 2 shown]
	global_store_dword v3, v1, s[42:43]
	global_store_dword v3, v2, s[4:5]
.LBB97_38:
	s_or_b32 exec_lo, exec_lo, s1
	v_mov_b32_e32 v25, 0
	v_mov_b32_e32 v24, 0
	;; [unrolled: 1-line block ×12, first 2 shown]
	s_and_saveexec_b32 s3, s0
	s_cbranch_execz .LBB97_68
; %bb.39:
	s_ashr_i32 s15, s14, 31
	s_sub_i32 s4, s39, s17
	s_lshl_b64 s[0:1], s[14:15], 1
	v_lshlrev_b32_e32 v4, 4, v0
	s_add_u32 s6, s34, s0
	s_addc_u32 s9, s35, s1
	s_abs_i32 s5, s18
	s_add_i32 s36, s36, -1
	v_cvt_f32_u32_e32 v1, s5
	s_sub_i32 s0, 0, s5
	v_and_b32_e32 v4, 0x1f0, v4
	v_and_b32_e32 v26, 8, v53
	v_mov_b32_e32 v27, 0
	v_rcp_iflag_f32_e32 v3, v1
	v_lshlrev_b64 v[1:2], 2, v[5:6]
	v_lshlrev_b32_e32 v6, 5, v50
	v_add_co_u32 v28, s6, s6, v4
	v_mov_b32_e32 v14, 0
	v_mov_b32_e32 v15, 0
	v_lshl_or_b32 v6, v51, 6, v6
	v_mov_b32_e32 v16, 0
	v_mov_b32_e32 v17, 0
	v_mul_f32_e32 v3, 0x4f7ffffe, v3
	v_mov_b32_e32 v18, 0
	v_add_nc_u32_e32 v30, 0x1a0, v6
	v_mov_b32_e32 v19, 0
	v_mov_b32_e32 v20, 0
	v_cvt_u32_f32_e32 v3, v3
	v_mov_b32_e32 v21, 0
	v_mov_b32_e32 v22, 0
	;; [unrolled: 1-line block ×4, first 2 shown]
	v_mul_lo_u32 v7, s0, v3
	s_lshl_b64 s[0:1], s[30:31], 2
	v_add_co_ci_u32_e64 v29, null, s9, 0, s6
	s_add_u32 s0, s28, s0
	s_addc_u32 s1, s29, s1
	v_add_co_u32 v6, vcc_lo, s0, v1
	v_mul_hi_u32 v8, v3, v7
	v_add_co_ci_u32_e64 v7, null, s1, v2, vcc_lo
	v_mov_b32_e32 v25, 0
	s_mov_b32 s9, s13
	s_mov_b32 s6, 0
	v_add_nc_u32_e32 v31, v3, v8
	s_branch .LBB97_42
.LBB97_40:                              ;   in Loop: Header=BB97_42 Depth=1
	s_or_b32 exec_lo, exec_lo, s1
	v_add_f32_e32 v10, v10, v11
	v_add_f32_e32 v11, v60, v61
	v_lshlrev_b32_e32 v9, 16, v9
	v_lshlrev_b32_e32 v8, 16, v8
	v_add_f32_e32 v32, v67, v68
	v_add_f32_e32 v33, v64, v65
	;; [unrolled: 1-line block ×3, first 2 shown]
	v_lshlrev_b32_e32 v11, 16, v66
	v_and_or_b32 v2, 0xffff, v2, v9
	v_and_or_b32 v3, 0xffff, v3, v8
	v_add_f32_e32 v34, v62, v63
	v_add_f32_e32 v15, v15, v32
	v_and_or_b32 v1, 0xffff, v1, v11
	;;#ASMSTART
	v_pk_mul_f16 v1, v40, v1;

	;;#ASMEND
	;;#ASMSTART
	v_pk_mul_f16 v2, v38, v2;

	;;#ASMEND
	;; [unrolled: 4-line block ×4, first 2 shown]
	;;#ASMSTART
	v_pk_add_f16 v1, v1, v2;

	;;#ASMEND
	;;#ASMSTART
	v_pk_add_f16 v1, v1, v3;

	;;#ASMEND
	;; [unrolled: 4-line block ×3, first 2 shown]
	v_and_b32_e32 v4, 0xffff, v1
	v_lshrrev_b32_e32 v9, 16, v1
	;;#ASMSTART
	v_cvt_f32_f16 v4, v4;
	;;#ASMEND
	v_add_f32_e32 v18, v18, v10
	v_add_f32_e32 v10, v58, v59
	;; [unrolled: 1-line block ×7, first 2 shown]
	;;#ASMSTART
	v_cvt_f32_f16 v9, v9;
	;;#ASMEND
	v_add_f32_e32 v4, v4, v9
	v_add_f32_e32 v16, v16, v33
	;; [unrolled: 1-line block ×10, first 2 shown]
.LBB97_41:                              ;   in Loop: Header=BB97_42 Depth=1
	s_or_b32 exec_lo, exec_lo, s13
	v_add_nc_u32_e32 v5, 4, v5
	v_add_co_u32 v6, s0, v6, 16
	v_add_co_ci_u32_e64 v7, null, 0, v7, s0
	v_cmp_le_i32_e32 vcc_lo, s16, v5
	v_add_nc_u32_e32 v52, 64, v52
	v_add_nc_u32_e32 v30, 0x100, v30
	s_or_b32 s6, vcc_lo, s6
	s_andn2_b32 exec_lo, exec_lo, s6
	s_cbranch_execz .LBB97_67
.LBB97_42:                              ; =>This Inner Loop Header: Depth=1
	v_sub_nc_u32_e32 v1, 0, v52
	v_max_i32_e32 v1, v52, v1
	v_mul_hi_u32 v2, v1, s12
	v_mul_lo_u32 v3, v2, s11
	v_sub_nc_u32_e32 v1, v1, v3
	v_add_nc_u32_e32 v3, 1, v2
	v_subrev_nc_u32_e32 v4, s11, v1
	v_cmp_le_u32_e32 vcc_lo, s11, v1
	v_cndmask_b32_e32 v2, v2, v3, vcc_lo
	v_cndmask_b32_e32 v1, v1, v4, vcc_lo
	v_ashrrev_i32_e32 v3, 31, v52
	v_add_nc_u32_e32 v4, 1, v2
	v_cmp_le_u32_e32 vcc_lo, s11, v1
	v_xor_b32_e32 v3, s19, v3
	v_cndmask_b32_e32 v1, v2, v4, vcc_lo
	v_xor_b32_e32 v1, v1, v3
	v_sub_nc_u32_e32 v1, v1, v3
	v_add_nc_u32_e32 v2, s33, v1
	v_cmp_lt_i32_e64 s0, s4, v1
	v_sub_nc_u32_e32 v3, 0, v2
	v_max_i32_e32 v3, v2, v3
	v_ashrrev_i32_e32 v2, 31, v2
	v_mul_hi_u32 v4, v3, v31
	v_mul_lo_u32 v4, v4, s5
	v_sub_nc_u32_e32 v3, v3, v4
	v_subrev_nc_u32_e32 v4, s5, v3
	v_cmp_le_u32_e32 vcc_lo, s5, v3
	v_cndmask_b32_e32 v3, v3, v4, vcc_lo
	v_subrev_nc_u32_e32 v4, s5, v3
	v_cmp_le_u32_e32 vcc_lo, s5, v3
	v_cndmask_b32_e32 v3, v3, v4, vcc_lo
	v_xor_b32_e32 v3, v3, v2
	v_sub_nc_u32_e32 v2, v3, v2
	v_cmp_eq_u32_e32 vcc_lo, 0, v2
	s_or_b32 s0, vcc_lo, s0
	s_and_saveexec_b32 s13, s0
	s_cbranch_execz .LBB97_41
; %bb.43:                               ;   in Loop: Header=BB97_42 Depth=1
	global_load_dword v8, v[6:7], off
	ds_read2_b64 v[1:4], v30 offset1:1
	ds_read2_b64 v[32:35], v30 offset0:2 offset1:3
	v_add_nc_u32_e32 v37, v26, v52
	v_cmp_eq_u32_e64 s0, s36, v5
	s_waitcnt lgkmcnt(1)
	;;#ASMSTART
	v_cvt_f16_f32 v40, v1;

	;;#ASMEND
	;;#ASMSTART
	v_cvt_f16_f32 v38, v2;

	;;#ASMEND
	;; [unrolled: 4-line block ×4, first 2 shown]
	s_waitcnt lgkmcnt(0)
	;;#ASMSTART
	v_cvt_f16_f32 v44, v32;

	;;#ASMEND
	;;#ASMSTART
	v_cvt_f16_f32 v11, v33;

	;;#ASMEND
	;; [unrolled: 4-line block ×4, first 2 shown]
	v_add_nc_u32_e32 v45, 1, v37
	v_add_nc_u32_e32 v36, 2, v37
	;; [unrolled: 1-line block ×7, first 2 shown]
	s_waitcnt vmcnt(0)
	v_mad_i64_i32 v[8:9], null, v8, s9, 0
	v_lshlrev_b64 v[8:9], 1, v[8:9]
	v_add_co_u32 v8, vcc_lo, v28, v8
	v_add_co_ci_u32_e64 v9, null, v29, v9, vcc_lo
	global_load_dwordx4 v[1:4], v[8:9], off
	s_waitcnt vmcnt(0)
	v_lshrrev_b32_e32 v48, 16, v1
	v_lshrrev_b32_e32 v47, 16, v2
	v_lshrrev_b32_e32 v46, 16, v3
	s_and_saveexec_b32 s14, s0
	s_cbranch_execz .LBB97_45
; %bb.44:                               ;   in Loop: Header=BB97_42 Depth=1
	v_cmp_gt_i32_e32 vcc_lo, s27, v37
	v_and_b32_e32 v53, 0xffff0000, v4
	v_cmp_gt_i32_e64 s1, s27, v36
	v_cndmask_b32_e32 v1, 0, v1, vcc_lo
	v_cmp_gt_i32_e32 vcc_lo, s27, v45
	v_cndmask_b32_e64 v2, 0, v2, s1
	v_cmp_gt_i32_e64 s1, s27, v35
	v_cndmask_b32_e32 v48, 0, v48, vcc_lo
	v_cmp_gt_i32_e32 vcc_lo, s27, v39
	v_cndmask_b32_e64 v47, 0, v47, s1
	v_cndmask_b32_sdwa v4, v27, v4, vcc_lo dst_sel:DWORD dst_unused:UNUSED_PAD src0_sel:DWORD src1_sel:WORD_0
	v_cmp_gt_i32_e32 vcc_lo, s27, v34
	v_cndmask_b32_e32 v53, 0, v53, vcc_lo
	v_cmp_gt_i32_e32 vcc_lo, s27, v33
	v_or_b32_e32 v4, v4, v53
	v_cndmask_b32_e32 v3, 0, v3, vcc_lo
	v_cmp_gt_i32_e32 vcc_lo, s27, v32
	v_cndmask_b32_e32 v46, 0, v46, vcc_lo
.LBB97_45:                              ;   in Loop: Header=BB97_42 Depth=1
	s_or_b32 exec_lo, exec_lo, s14
	v_and_b32_e32 v40, 0xffff, v40
	v_and_b32_e32 v43, 0xffff, v43
	v_lshlrev_b32_e32 v48, 16, v48
	v_lshlrev_b32_e32 v46, 16, v46
	v_and_b32_e32 v44, 0xffff, v44
	v_lshl_or_b32 v40, v38, 16, v40
	v_lshl_or_b32 v38, v41, 16, v43
	v_lshlrev_b32_e32 v41, 16, v47
	v_and_b32_e32 v42, 0xffff, v42
	v_and_or_b32 v1, 0xffff, v1, v48
	v_and_or_b32 v3, 0xffff, v3, v46
	;;#ASMSTART
	v_pk_mul_f16 v1, v40, v1;

	;;#ASMEND
	v_and_or_b32 v2, 0xffff, v2, v41
	v_lshl_or_b32 v43, v11, 16, v44
	v_lshl_or_b32 v44, v10, 16, v42
	;;#ASMSTART
	v_pk_mul_f16 v2, v38, v2;

	;;#ASMEND
	;;#ASMSTART
	v_pk_mul_f16 v3, v43, v3;

	;;#ASMEND
	;; [unrolled: 4-line block ×3, first 2 shown]
	;;#ASMSTART
	v_pk_add_f16 v1, v1, v2;

	;;#ASMEND
	;;#ASMSTART
	v_pk_add_f16 v1, v1, v3;

	;;#ASMEND
	;; [unrolled: 4-line block ×3, first 2 shown]
	v_and_b32_e32 v2, 0xffff, v1
	v_lshrrev_b32_e32 v1, 16, v1
	;;#ASMSTART
	v_cvt_f32_f16 v41, v2;
	;;#ASMEND
	;;#ASMSTART
	v_cvt_f32_f16 v42, v1;
	;;#ASMEND
	global_load_dwordx4 v[1:4], v[8:9], off offset:512
	s_waitcnt vmcnt(0)
	v_lshrrev_b32_e32 v46, 16, v1
	v_lshrrev_b32_e32 v11, 16, v2
	;; [unrolled: 1-line block ×3, first 2 shown]
	s_and_saveexec_b32 s14, s0
	s_cbranch_execz .LBB97_47
; %bb.46:                               ;   in Loop: Header=BB97_42 Depth=1
	v_cmp_gt_i32_e32 vcc_lo, s27, v37
	v_and_b32_e32 v47, 0xffff0000, v4
	v_cmp_gt_i32_e64 s1, s27, v36
	v_cndmask_b32_e32 v1, 0, v1, vcc_lo
	v_cmp_gt_i32_e32 vcc_lo, s27, v45
	v_cndmask_b32_e64 v2, 0, v2, s1
	v_cmp_gt_i32_e64 s1, s27, v35
	v_cndmask_b32_e32 v46, 0, v46, vcc_lo
	v_cmp_gt_i32_e32 vcc_lo, s27, v39
	v_cndmask_b32_e64 v11, 0, v11, s1
	v_cndmask_b32_sdwa v4, v27, v4, vcc_lo dst_sel:DWORD dst_unused:UNUSED_PAD src0_sel:DWORD src1_sel:WORD_0
	v_cmp_gt_i32_e32 vcc_lo, s27, v34
	v_cndmask_b32_e32 v47, 0, v47, vcc_lo
	v_cmp_gt_i32_e32 vcc_lo, s27, v33
	v_or_b32_e32 v4, v4, v47
	v_cndmask_b32_e32 v3, 0, v3, vcc_lo
	v_cmp_gt_i32_e32 vcc_lo, s27, v32
	v_cndmask_b32_e32 v10, 0, v10, vcc_lo
.LBB97_47:                              ;   in Loop: Header=BB97_42 Depth=1
	s_or_b32 exec_lo, exec_lo, s14
	v_lshlrev_b32_e32 v46, 16, v46
	v_lshlrev_b32_e32 v11, 16, v11
	;; [unrolled: 1-line block ×3, first 2 shown]
	v_and_or_b32 v1, 0xffff, v1, v46
	v_and_or_b32 v2, 0xffff, v2, v11
	v_and_or_b32 v3, 0xffff, v3, v10
	;;#ASMSTART
	v_pk_mul_f16 v1, v40, v1;

	;;#ASMEND
	;;#ASMSTART
	v_pk_mul_f16 v2, v38, v2;

	;;#ASMEND
	;;#ASMSTART
	v_pk_mul_f16 v3, v43, v3;

	;;#ASMEND
	;;#ASMSTART
	v_pk_mul_f16 v4, v44, v4;

	;;#ASMEND
	;;#ASMSTART
	v_pk_add_f16 v1, v1, v2;

	;;#ASMEND
	;;#ASMSTART
	v_pk_add_f16 v1, v1, v3;

	;;#ASMEND
	;; [unrolled: 4-line block ×3, first 2 shown]
	v_and_b32_e32 v2, 0xffff, v1
	v_lshrrev_b32_e32 v1, 16, v1
	;;#ASMSTART
	v_cvt_f32_f16 v46, v2;
	;;#ASMEND
	;;#ASMSTART
	v_cvt_f32_f16 v47, v1;
	;;#ASMEND
	global_load_dwordx4 v[1:4], v[8:9], off offset:1024
	s_waitcnt vmcnt(0)
	v_lshrrev_b32_e32 v48, 16, v1
	v_lshrrev_b32_e32 v11, 16, v2
	;; [unrolled: 1-line block ×3, first 2 shown]
	s_and_saveexec_b32 s14, s0
	s_cbranch_execz .LBB97_49
; %bb.48:                               ;   in Loop: Header=BB97_42 Depth=1
	v_cmp_gt_i32_e32 vcc_lo, s27, v37
	v_and_b32_e32 v53, 0xffff0000, v4
	v_cmp_gt_i32_e64 s1, s27, v36
	v_cndmask_b32_e32 v1, 0, v1, vcc_lo
	v_cmp_gt_i32_e32 vcc_lo, s27, v45
	v_cndmask_b32_e64 v2, 0, v2, s1
	v_cmp_gt_i32_e64 s1, s27, v35
	v_cndmask_b32_e32 v48, 0, v48, vcc_lo
	v_cmp_gt_i32_e32 vcc_lo, s27, v39
	v_cndmask_b32_e64 v11, 0, v11, s1
	v_cndmask_b32_sdwa v4, v27, v4, vcc_lo dst_sel:DWORD dst_unused:UNUSED_PAD src0_sel:DWORD src1_sel:WORD_0
	v_cmp_gt_i32_e32 vcc_lo, s27, v34
	v_cndmask_b32_e32 v53, 0, v53, vcc_lo
	v_cmp_gt_i32_e32 vcc_lo, s27, v33
	v_or_b32_e32 v4, v4, v53
	v_cndmask_b32_e32 v3, 0, v3, vcc_lo
	v_cmp_gt_i32_e32 vcc_lo, s27, v32
	v_cndmask_b32_e32 v10, 0, v10, vcc_lo
.LBB97_49:                              ;   in Loop: Header=BB97_42 Depth=1
	s_or_b32 exec_lo, exec_lo, s14
	v_lshlrev_b32_e32 v48, 16, v48
	v_lshlrev_b32_e32 v11, 16, v11
	;; [unrolled: 1-line block ×3, first 2 shown]
	v_and_or_b32 v1, 0xffff, v1, v48
	v_and_or_b32 v2, 0xffff, v2, v11
	;; [unrolled: 1-line block ×3, first 2 shown]
	;;#ASMSTART
	v_pk_mul_f16 v1, v40, v1;

	;;#ASMEND
	;;#ASMSTART
	v_pk_mul_f16 v2, v38, v2;

	;;#ASMEND
	;; [unrolled: 4-line block ×4, first 2 shown]
	;;#ASMSTART
	v_pk_add_f16 v1, v1, v2;

	;;#ASMEND
	;;#ASMSTART
	v_pk_add_f16 v1, v1, v3;

	;;#ASMEND
	;; [unrolled: 4-line block ×3, first 2 shown]
	v_and_b32_e32 v2, 0xffff, v1
	v_lshrrev_b32_e32 v1, 16, v1
	;;#ASMSTART
	v_cvt_f32_f16 v48, v2;
	;;#ASMEND
	;;#ASMSTART
	v_cvt_f32_f16 v53, v1;
	;;#ASMEND
	global_load_dwordx4 v[1:4], v[8:9], off offset:1536
	s_waitcnt vmcnt(0)
	v_lshrrev_b32_e32 v54, 16, v1
	v_lshrrev_b32_e32 v11, 16, v2
	;; [unrolled: 1-line block ×3, first 2 shown]
	s_and_saveexec_b32 s14, s0
	s_cbranch_execz .LBB97_51
; %bb.50:                               ;   in Loop: Header=BB97_42 Depth=1
	v_cmp_gt_i32_e32 vcc_lo, s27, v37
	v_and_b32_e32 v55, 0xffff0000, v4
	v_cmp_gt_i32_e64 s1, s27, v36
	v_cndmask_b32_e32 v1, 0, v1, vcc_lo
	v_cmp_gt_i32_e32 vcc_lo, s27, v45
	v_cndmask_b32_e64 v2, 0, v2, s1
	v_cmp_gt_i32_e64 s1, s27, v35
	v_cndmask_b32_e32 v54, 0, v54, vcc_lo
	v_cmp_gt_i32_e32 vcc_lo, s27, v39
	v_cndmask_b32_e64 v11, 0, v11, s1
	v_cndmask_b32_sdwa v4, v27, v4, vcc_lo dst_sel:DWORD dst_unused:UNUSED_PAD src0_sel:DWORD src1_sel:WORD_0
	v_cmp_gt_i32_e32 vcc_lo, s27, v34
	v_cndmask_b32_e32 v55, 0, v55, vcc_lo
	v_cmp_gt_i32_e32 vcc_lo, s27, v33
	v_or_b32_e32 v4, v4, v55
	v_cndmask_b32_e32 v3, 0, v3, vcc_lo
	v_cmp_gt_i32_e32 vcc_lo, s27, v32
	v_cndmask_b32_e32 v10, 0, v10, vcc_lo
.LBB97_51:                              ;   in Loop: Header=BB97_42 Depth=1
	s_or_b32 exec_lo, exec_lo, s14
	v_lshlrev_b32_e32 v10, 16, v10
	v_lshlrev_b32_e32 v54, 16, v54
	;; [unrolled: 1-line block ×3, first 2 shown]
	v_and_or_b32 v3, 0xffff, v3, v10
	v_add_co_u32 v10, vcc_lo, 0x800, v8
	v_and_or_b32 v1, 0xffff, v1, v54
	v_and_or_b32 v2, 0xffff, v2, v11
	;;#ASMSTART
	v_pk_mul_f16 v1, v40, v1;

	;;#ASMEND
	v_add_co_ci_u32_e64 v11, null, 0, v9, vcc_lo
	;;#ASMSTART
	v_pk_mul_f16 v2, v38, v2;

	;;#ASMEND
	;;#ASMSTART
	v_pk_mul_f16 v3, v43, v3;

	;;#ASMEND
	;; [unrolled: 4-line block ×3, first 2 shown]
	;;#ASMSTART
	v_pk_add_f16 v1, v1, v2;

	;;#ASMEND
	;;#ASMSTART
	v_pk_add_f16 v1, v1, v3;

	;;#ASMEND
	;; [unrolled: 4-line block ×3, first 2 shown]
	v_lshrrev_b32_e32 v2, 16, v1
	v_and_b32_e32 v1, 0xffff, v1
	;;#ASMSTART
	v_cvt_f32_f16 v54, v1;
	;;#ASMEND
	;;#ASMSTART
	v_cvt_f32_f16 v55, v2;
	;;#ASMEND
	global_load_dwordx4 v[1:4], v[10:11], off
	s_waitcnt vmcnt(0)
	v_lshrrev_b32_e32 v58, 16, v1
	v_lshrrev_b32_e32 v57, 16, v2
	v_lshrrev_b32_e32 v56, 16, v3
	s_and_saveexec_b32 s14, s0
	s_cbranch_execz .LBB97_53
; %bb.52:                               ;   in Loop: Header=BB97_42 Depth=1
	v_cmp_gt_i32_e32 vcc_lo, s27, v37
	v_and_b32_e32 v59, 0xffff0000, v4
	v_cmp_gt_i32_e64 s1, s27, v36
	v_cndmask_b32_e32 v1, 0, v1, vcc_lo
	v_cmp_gt_i32_e32 vcc_lo, s27, v45
	v_cndmask_b32_e64 v2, 0, v2, s1
	v_cmp_gt_i32_e64 s1, s27, v35
	v_cndmask_b32_e32 v58, 0, v58, vcc_lo
	v_cmp_gt_i32_e32 vcc_lo, s27, v39
	v_cndmask_b32_e64 v57, 0, v57, s1
	v_cndmask_b32_sdwa v4, v27, v4, vcc_lo dst_sel:DWORD dst_unused:UNUSED_PAD src0_sel:DWORD src1_sel:WORD_0
	v_cmp_gt_i32_e32 vcc_lo, s27, v34
	v_cndmask_b32_e32 v59, 0, v59, vcc_lo
	v_cmp_gt_i32_e32 vcc_lo, s27, v33
	v_or_b32_e32 v4, v4, v59
	v_cndmask_b32_e32 v3, 0, v3, vcc_lo
	v_cmp_gt_i32_e32 vcc_lo, s27, v32
	v_cndmask_b32_e32 v56, 0, v56, vcc_lo
.LBB97_53:                              ;   in Loop: Header=BB97_42 Depth=1
	s_or_b32 exec_lo, exec_lo, s14
	v_lshlrev_b32_e32 v58, 16, v58
	v_lshlrev_b32_e32 v57, 16, v57
	;; [unrolled: 1-line block ×3, first 2 shown]
	v_and_or_b32 v1, 0xffff, v1, v58
	v_and_or_b32 v2, 0xffff, v2, v57
	;; [unrolled: 1-line block ×3, first 2 shown]
	;;#ASMSTART
	v_pk_mul_f16 v1, v40, v1;

	;;#ASMEND
	;;#ASMSTART
	v_pk_mul_f16 v2, v38, v2;

	;;#ASMEND
	;; [unrolled: 4-line block ×4, first 2 shown]
	;;#ASMSTART
	v_pk_add_f16 v1, v1, v2;

	;;#ASMEND
	;;#ASMSTART
	v_pk_add_f16 v1, v1, v3;

	;;#ASMEND
	;; [unrolled: 4-line block ×3, first 2 shown]
	v_and_b32_e32 v2, 0xffff, v1
	v_lshrrev_b32_e32 v1, 16, v1
	;;#ASMSTART
	v_cvt_f32_f16 v56, v2;
	;;#ASMEND
	;;#ASMSTART
	v_cvt_f32_f16 v57, v1;
	;;#ASMEND
	global_load_dwordx4 v[1:4], v[10:11], off offset:512
	s_waitcnt vmcnt(0)
	v_lshrrev_b32_e32 v60, 16, v1
	v_lshrrev_b32_e32 v59, 16, v2
	;; [unrolled: 1-line block ×3, first 2 shown]
	s_and_saveexec_b32 s14, s0
	s_cbranch_execz .LBB97_55
; %bb.54:                               ;   in Loop: Header=BB97_42 Depth=1
	v_cmp_gt_i32_e32 vcc_lo, s27, v37
	v_and_b32_e32 v61, 0xffff0000, v4
	v_cmp_gt_i32_e64 s1, s27, v36
	v_cndmask_b32_e32 v1, 0, v1, vcc_lo
	v_cmp_gt_i32_e32 vcc_lo, s27, v45
	v_cndmask_b32_e64 v2, 0, v2, s1
	v_cmp_gt_i32_e64 s1, s27, v35
	v_cndmask_b32_e32 v60, 0, v60, vcc_lo
	v_cmp_gt_i32_e32 vcc_lo, s27, v39
	v_cndmask_b32_e64 v59, 0, v59, s1
	v_cndmask_b32_sdwa v4, v27, v4, vcc_lo dst_sel:DWORD dst_unused:UNUSED_PAD src0_sel:DWORD src1_sel:WORD_0
	v_cmp_gt_i32_e32 vcc_lo, s27, v34
	v_cndmask_b32_e32 v61, 0, v61, vcc_lo
	v_cmp_gt_i32_e32 vcc_lo, s27, v33
	v_or_b32_e32 v4, v4, v61
	v_cndmask_b32_e32 v3, 0, v3, vcc_lo
	v_cmp_gt_i32_e32 vcc_lo, s27, v32
	v_cndmask_b32_e32 v58, 0, v58, vcc_lo
.LBB97_55:                              ;   in Loop: Header=BB97_42 Depth=1
	s_or_b32 exec_lo, exec_lo, s14
	v_lshlrev_b32_e32 v60, 16, v60
	v_lshlrev_b32_e32 v59, 16, v59
	;; [unrolled: 1-line block ×3, first 2 shown]
	v_and_or_b32 v1, 0xffff, v1, v60
	v_and_or_b32 v2, 0xffff, v2, v59
	;; [unrolled: 1-line block ×3, first 2 shown]
	;;#ASMSTART
	v_pk_mul_f16 v1, v40, v1;

	;;#ASMEND
	;;#ASMSTART
	v_pk_mul_f16 v2, v38, v2;

	;;#ASMEND
	;; [unrolled: 4-line block ×4, first 2 shown]
	;;#ASMSTART
	v_pk_add_f16 v1, v1, v2;

	;;#ASMEND
	;;#ASMSTART
	v_pk_add_f16 v1, v1, v3;

	;;#ASMEND
	;; [unrolled: 4-line block ×3, first 2 shown]
	v_and_b32_e32 v2, 0xffff, v1
	v_lshrrev_b32_e32 v1, 16, v1
	;;#ASMSTART
	v_cvt_f32_f16 v58, v2;
	;;#ASMEND
	;;#ASMSTART
	v_cvt_f32_f16 v59, v1;
	;;#ASMEND
	global_load_dwordx4 v[1:4], v[10:11], off offset:1024
	s_waitcnt vmcnt(0)
	v_lshrrev_b32_e32 v62, 16, v1
	v_lshrrev_b32_e32 v61, 16, v2
	;; [unrolled: 1-line block ×3, first 2 shown]
	s_and_saveexec_b32 s14, s0
	s_cbranch_execz .LBB97_57
; %bb.56:                               ;   in Loop: Header=BB97_42 Depth=1
	v_cmp_gt_i32_e32 vcc_lo, s27, v37
	v_and_b32_e32 v63, 0xffff0000, v4
	v_cmp_gt_i32_e64 s1, s27, v36
	v_cndmask_b32_e32 v1, 0, v1, vcc_lo
	v_cmp_gt_i32_e32 vcc_lo, s27, v45
	v_cndmask_b32_e64 v2, 0, v2, s1
	v_cmp_gt_i32_e64 s1, s27, v35
	v_cndmask_b32_e32 v62, 0, v62, vcc_lo
	v_cmp_gt_i32_e32 vcc_lo, s27, v39
	v_cndmask_b32_e64 v61, 0, v61, s1
	v_cndmask_b32_sdwa v4, v27, v4, vcc_lo dst_sel:DWORD dst_unused:UNUSED_PAD src0_sel:DWORD src1_sel:WORD_0
	v_cmp_gt_i32_e32 vcc_lo, s27, v34
	v_cndmask_b32_e32 v63, 0, v63, vcc_lo
	v_cmp_gt_i32_e32 vcc_lo, s27, v33
	v_or_b32_e32 v4, v4, v63
	v_cndmask_b32_e32 v3, 0, v3, vcc_lo
	v_cmp_gt_i32_e32 vcc_lo, s27, v32
	v_cndmask_b32_e32 v60, 0, v60, vcc_lo
.LBB97_57:                              ;   in Loop: Header=BB97_42 Depth=1
	s_or_b32 exec_lo, exec_lo, s14
	v_lshlrev_b32_e32 v62, 16, v62
	v_lshlrev_b32_e32 v61, 16, v61
	;; [unrolled: 1-line block ×3, first 2 shown]
	v_and_or_b32 v1, 0xffff, v1, v62
	v_and_or_b32 v2, 0xffff, v2, v61
	;; [unrolled: 1-line block ×3, first 2 shown]
	;;#ASMSTART
	v_pk_mul_f16 v1, v40, v1;

	;;#ASMEND
	;;#ASMSTART
	v_pk_mul_f16 v2, v38, v2;

	;;#ASMEND
	;; [unrolled: 4-line block ×4, first 2 shown]
	;;#ASMSTART
	v_pk_add_f16 v1, v1, v2;

	;;#ASMEND
	;;#ASMSTART
	v_pk_add_f16 v1, v1, v3;

	;;#ASMEND
	;; [unrolled: 4-line block ×3, first 2 shown]
	v_and_b32_e32 v2, 0xffff, v1
	v_lshrrev_b32_e32 v1, 16, v1
	;;#ASMSTART
	v_cvt_f32_f16 v60, v2;
	;;#ASMEND
	;;#ASMSTART
	v_cvt_f32_f16 v61, v1;
	;;#ASMEND
	global_load_dwordx4 v[1:4], v[10:11], off offset:1536
	s_waitcnt vmcnt(0)
	v_lshrrev_b32_e32 v62, 16, v1
	v_lshrrev_b32_e32 v11, 16, v2
	;; [unrolled: 1-line block ×3, first 2 shown]
	s_and_saveexec_b32 s14, s0
	s_cbranch_execz .LBB97_59
; %bb.58:                               ;   in Loop: Header=BB97_42 Depth=1
	v_cmp_gt_i32_e32 vcc_lo, s27, v37
	v_and_b32_e32 v63, 0xffff0000, v4
	v_cmp_gt_i32_e64 s1, s27, v36
	v_cndmask_b32_e32 v1, 0, v1, vcc_lo
	v_cmp_gt_i32_e32 vcc_lo, s27, v45
	v_cndmask_b32_e64 v2, 0, v2, s1
	v_cmp_gt_i32_e64 s1, s27, v35
	v_cndmask_b32_e32 v62, 0, v62, vcc_lo
	v_cmp_gt_i32_e32 vcc_lo, s27, v39
	v_cndmask_b32_e64 v11, 0, v11, s1
	v_cndmask_b32_sdwa v4, v27, v4, vcc_lo dst_sel:DWORD dst_unused:UNUSED_PAD src0_sel:DWORD src1_sel:WORD_0
	v_cmp_gt_i32_e32 vcc_lo, s27, v34
	v_cndmask_b32_e32 v63, 0, v63, vcc_lo
	v_cmp_gt_i32_e32 vcc_lo, s27, v33
	v_or_b32_e32 v4, v4, v63
	v_cndmask_b32_e32 v3, 0, v3, vcc_lo
	v_cmp_gt_i32_e32 vcc_lo, s27, v32
	v_cndmask_b32_e32 v10, 0, v10, vcc_lo
.LBB97_59:                              ;   in Loop: Header=BB97_42 Depth=1
	s_or_b32 exec_lo, exec_lo, s14
	v_lshlrev_b32_e32 v62, 16, v62
	v_lshlrev_b32_e32 v11, 16, v11
	;; [unrolled: 1-line block ×3, first 2 shown]
	v_add_co_u32 v8, vcc_lo, 0x1000, v8
	v_and_or_b32 v1, 0xffff, v1, v62
	v_and_or_b32 v2, 0xffff, v2, v11
	;; [unrolled: 1-line block ×3, first 2 shown]
	;;#ASMSTART
	v_pk_mul_f16 v1, v40, v1;

	;;#ASMEND
	v_add_co_ci_u32_e64 v9, null, 0, v9, vcc_lo
	;;#ASMSTART
	v_pk_mul_f16 v2, v38, v2;

	;;#ASMEND
	;;#ASMSTART
	v_pk_mul_f16 v3, v43, v3;

	;;#ASMEND
	;; [unrolled: 4-line block ×3, first 2 shown]
	;;#ASMSTART
	v_pk_add_f16 v1, v1, v2;

	;;#ASMEND
	;;#ASMSTART
	v_pk_add_f16 v1, v1, v3;

	;;#ASMEND
	;; [unrolled: 4-line block ×3, first 2 shown]
	v_lshrrev_b32_e32 v2, 16, v1
	v_and_b32_e32 v1, 0xffff, v1
	;;#ASMSTART
	v_cvt_f32_f16 v10, v1;
	;;#ASMEND
	;;#ASMSTART
	v_cvt_f32_f16 v11, v2;
	;;#ASMEND
	global_load_dwordx4 v[1:4], v[8:9], off
	s_waitcnt vmcnt(0)
	v_lshrrev_b32_e32 v64, 16, v1
	v_lshrrev_b32_e32 v63, 16, v2
	;; [unrolled: 1-line block ×3, first 2 shown]
	s_and_saveexec_b32 s14, s0
	s_cbranch_execz .LBB97_61
; %bb.60:                               ;   in Loop: Header=BB97_42 Depth=1
	v_cmp_gt_i32_e32 vcc_lo, s27, v37
	v_and_b32_e32 v65, 0xffff0000, v4
	v_cmp_gt_i32_e64 s1, s27, v36
	v_cndmask_b32_e32 v1, 0, v1, vcc_lo
	v_cmp_gt_i32_e32 vcc_lo, s27, v45
	v_cndmask_b32_e64 v2, 0, v2, s1
	v_cmp_gt_i32_e64 s1, s27, v35
	v_cndmask_b32_e32 v64, 0, v64, vcc_lo
	v_cmp_gt_i32_e32 vcc_lo, s27, v39
	v_cndmask_b32_e64 v63, 0, v63, s1
	v_cndmask_b32_sdwa v4, v27, v4, vcc_lo dst_sel:DWORD dst_unused:UNUSED_PAD src0_sel:DWORD src1_sel:WORD_0
	v_cmp_gt_i32_e32 vcc_lo, s27, v34
	v_cndmask_b32_e32 v65, 0, v65, vcc_lo
	v_cmp_gt_i32_e32 vcc_lo, s27, v33
	v_or_b32_e32 v4, v4, v65
	v_cndmask_b32_e32 v3, 0, v3, vcc_lo
	v_cmp_gt_i32_e32 vcc_lo, s27, v32
	v_cndmask_b32_e32 v62, 0, v62, vcc_lo
.LBB97_61:                              ;   in Loop: Header=BB97_42 Depth=1
	s_or_b32 exec_lo, exec_lo, s14
	v_lshlrev_b32_e32 v64, 16, v64
	v_lshlrev_b32_e32 v63, 16, v63
	v_lshlrev_b32_e32 v62, 16, v62
	v_and_or_b32 v1, 0xffff, v1, v64
	v_and_or_b32 v2, 0xffff, v2, v63
	;; [unrolled: 1-line block ×3, first 2 shown]
	;;#ASMSTART
	v_pk_mul_f16 v1, v40, v1;

	;;#ASMEND
	;;#ASMSTART
	v_pk_mul_f16 v2, v38, v2;

	;;#ASMEND
	;;#ASMSTART
	v_pk_mul_f16 v3, v43, v3;

	;;#ASMEND
	;;#ASMSTART
	v_pk_mul_f16 v4, v44, v4;

	;;#ASMEND
	;;#ASMSTART
	v_pk_add_f16 v1, v1, v2;

	;;#ASMEND
	;;#ASMSTART
	v_pk_add_f16 v1, v1, v3;

	;;#ASMEND
	;; [unrolled: 4-line block ×3, first 2 shown]
	v_and_b32_e32 v2, 0xffff, v1
	v_lshrrev_b32_e32 v1, 16, v1
	;;#ASMSTART
	v_cvt_f32_f16 v62, v2;
	;;#ASMEND
	;;#ASMSTART
	v_cvt_f32_f16 v63, v1;
	;;#ASMEND
	global_load_dwordx4 v[1:4], v[8:9], off offset:512
	s_waitcnt vmcnt(0)
	v_lshrrev_b32_e32 v66, 16, v1
	v_lshrrev_b32_e32 v65, 16, v2
	;; [unrolled: 1-line block ×3, first 2 shown]
	s_and_saveexec_b32 s14, s0
	s_cbranch_execz .LBB97_63
; %bb.62:                               ;   in Loop: Header=BB97_42 Depth=1
	v_cmp_gt_i32_e32 vcc_lo, s27, v37
	v_and_b32_e32 v67, 0xffff0000, v4
	v_cmp_gt_i32_e64 s1, s27, v36
	v_cndmask_b32_e32 v1, 0, v1, vcc_lo
	v_cmp_gt_i32_e32 vcc_lo, s27, v45
	v_cndmask_b32_e64 v2, 0, v2, s1
	v_cmp_gt_i32_e64 s1, s27, v35
	v_cndmask_b32_e32 v66, 0, v66, vcc_lo
	v_cmp_gt_i32_e32 vcc_lo, s27, v39
	v_cndmask_b32_e64 v65, 0, v65, s1
	v_cndmask_b32_sdwa v4, v27, v4, vcc_lo dst_sel:DWORD dst_unused:UNUSED_PAD src0_sel:DWORD src1_sel:WORD_0
	v_cmp_gt_i32_e32 vcc_lo, s27, v34
	v_cndmask_b32_e32 v67, 0, v67, vcc_lo
	v_cmp_gt_i32_e32 vcc_lo, s27, v33
	v_or_b32_e32 v4, v4, v67
	v_cndmask_b32_e32 v3, 0, v3, vcc_lo
	v_cmp_gt_i32_e32 vcc_lo, s27, v32
	v_cndmask_b32_e32 v64, 0, v64, vcc_lo
.LBB97_63:                              ;   in Loop: Header=BB97_42 Depth=1
	s_or_b32 exec_lo, exec_lo, s14
	v_lshlrev_b32_e32 v66, 16, v66
	v_lshlrev_b32_e32 v65, 16, v65
	;; [unrolled: 1-line block ×3, first 2 shown]
	v_and_or_b32 v1, 0xffff, v1, v66
	v_and_or_b32 v2, 0xffff, v2, v65
	;; [unrolled: 1-line block ×3, first 2 shown]
	;;#ASMSTART
	v_pk_mul_f16 v1, v40, v1;

	;;#ASMEND
	;;#ASMSTART
	v_pk_mul_f16 v2, v38, v2;

	;;#ASMEND
	;; [unrolled: 4-line block ×4, first 2 shown]
	;;#ASMSTART
	v_pk_add_f16 v1, v1, v2;

	;;#ASMEND
	;;#ASMSTART
	v_pk_add_f16 v1, v1, v3;

	;;#ASMEND
	;; [unrolled: 4-line block ×3, first 2 shown]
	v_and_b32_e32 v2, 0xffff, v1
	v_lshrrev_b32_e32 v1, 16, v1
	;;#ASMSTART
	v_cvt_f32_f16 v64, v2;
	;;#ASMEND
	;;#ASMSTART
	v_cvt_f32_f16 v65, v1;
	;;#ASMEND
	global_load_dwordx4 v[1:4], v[8:9], off offset:1024
	s_waitcnt vmcnt(0)
	v_lshrrev_b32_e32 v68, 16, v1
	v_lshrrev_b32_e32 v67, 16, v2
	;; [unrolled: 1-line block ×3, first 2 shown]
	s_and_saveexec_b32 s14, s0
	s_cbranch_execz .LBB97_65
; %bb.64:                               ;   in Loop: Header=BB97_42 Depth=1
	v_cmp_gt_i32_e32 vcc_lo, s27, v37
	v_and_b32_e32 v69, 0xffff0000, v4
	v_cmp_gt_i32_e64 s1, s27, v36
	v_cndmask_b32_e32 v1, 0, v1, vcc_lo
	v_cmp_gt_i32_e32 vcc_lo, s27, v45
	v_cndmask_b32_e64 v2, 0, v2, s1
	v_cmp_gt_i32_e64 s1, s27, v35
	v_cndmask_b32_e32 v68, 0, v68, vcc_lo
	v_cmp_gt_i32_e32 vcc_lo, s27, v39
	v_cndmask_b32_e64 v67, 0, v67, s1
	v_cndmask_b32_sdwa v4, v27, v4, vcc_lo dst_sel:DWORD dst_unused:UNUSED_PAD src0_sel:DWORD src1_sel:WORD_0
	v_cmp_gt_i32_e32 vcc_lo, s27, v34
	v_cndmask_b32_e32 v69, 0, v69, vcc_lo
	v_cmp_gt_i32_e32 vcc_lo, s27, v33
	v_or_b32_e32 v4, v4, v69
	v_cndmask_b32_e32 v3, 0, v3, vcc_lo
	v_cmp_gt_i32_e32 vcc_lo, s27, v32
	v_cndmask_b32_e32 v66, 0, v66, vcc_lo
.LBB97_65:                              ;   in Loop: Header=BB97_42 Depth=1
	s_or_b32 exec_lo, exec_lo, s14
	v_lshlrev_b32_e32 v68, 16, v68
	v_lshlrev_b32_e32 v67, 16, v67
	;; [unrolled: 1-line block ×3, first 2 shown]
	v_and_or_b32 v1, 0xffff, v1, v68
	v_and_or_b32 v2, 0xffff, v2, v67
	;; [unrolled: 1-line block ×3, first 2 shown]
	;;#ASMSTART
	v_pk_mul_f16 v1, v40, v1;

	;;#ASMEND
	;;#ASMSTART
	v_pk_mul_f16 v2, v38, v2;

	;;#ASMEND
	;; [unrolled: 4-line block ×4, first 2 shown]
	;;#ASMSTART
	v_pk_add_f16 v1, v1, v2;

	;;#ASMEND
	;;#ASMSTART
	v_pk_add_f16 v1, v1, v3;

	;;#ASMEND
	;; [unrolled: 4-line block ×3, first 2 shown]
	v_and_b32_e32 v2, 0xffff, v1
	v_lshrrev_b32_e32 v1, 16, v1
	;;#ASMSTART
	v_cvt_f32_f16 v67, v2;
	;;#ASMEND
	;;#ASMSTART
	v_cvt_f32_f16 v68, v1;
	;;#ASMEND
	global_load_dwordx4 v[1:4], v[8:9], off offset:1536
	s_waitcnt vmcnt(0)
	v_lshrrev_b32_e32 v66, 16, v1
	v_lshrrev_b32_e32 v9, 16, v2
	;; [unrolled: 1-line block ×3, first 2 shown]
	s_and_saveexec_b32 s1, s0
	s_cbranch_execz .LBB97_40
; %bb.66:                               ;   in Loop: Header=BB97_42 Depth=1
	v_cmp_gt_i32_e32 vcc_lo, s27, v37
	v_cmp_gt_i32_e64 s0, s27, v36
	v_cndmask_b32_e32 v1, 0, v1, vcc_lo
	v_cmp_gt_i32_e32 vcc_lo, s27, v45
	v_cndmask_b32_e64 v2, 0, v2, s0
	v_cmp_gt_i32_e64 s0, s27, v35
	v_and_b32_e32 v35, 0xffff0000, v4
	v_cndmask_b32_e32 v66, 0, v66, vcc_lo
	v_cmp_gt_i32_e32 vcc_lo, s27, v39
	v_cndmask_b32_e64 v9, 0, v9, s0
	v_cndmask_b32_sdwa v4, v27, v4, vcc_lo dst_sel:DWORD dst_unused:UNUSED_PAD src0_sel:DWORD src1_sel:WORD_0
	v_cmp_gt_i32_e32 vcc_lo, s27, v34
	v_cndmask_b32_e32 v34, 0, v35, vcc_lo
	v_cmp_gt_i32_e32 vcc_lo, s27, v33
	v_or_b32_e32 v4, v4, v34
	v_cndmask_b32_e32 v3, 0, v3, vcc_lo
	v_cmp_gt_i32_e32 vcc_lo, s27, v32
	v_cndmask_b32_e32 v8, 0, v8, vcc_lo
	s_branch .LBB97_40
.LBB97_67:
	s_or_b32 exec_lo, exec_lo, s6
.LBB97_68:
	s_or_b32 exec_lo, exec_lo, s3
	ds_bpermute_b32 v1, v13, v25
	ds_bpermute_b32 v2, v13, v24
	;; [unrolled: 1-line block ×12, first 2 shown]
	v_lshrrev_b32_e32 v12, 1, v12
	s_mov_b32 s0, exec_lo
	s_waitcnt lgkmcnt(0)
	s_waitcnt_vscnt null, 0x0
	s_barrier
	buffer_gl0_inv
	v_add_f32_e32 v13, v25, v1
	v_add_f32_e32 v11, v24, v2
	;; [unrolled: 1-line block ×10, first 2 shown]
	v_and_b32_e32 v16, 0x3c1, v0
	v_add_f32_e32 v6, v15, v30
	v_add_f32_e32 v3, v14, v31
	v_lshl_add_u32 v14, v12, 2, 0x1a0
	v_mul_u32_u24_e32 v15, 0x300, v51
	v_cmpx_eq_u32_e32 64, v16
	s_cbranch_execz .LBB97_70
; %bb.69:
	v_add_nc_u32_e32 v16, v14, v15
	v_add_nc_u32_e32 v17, 0xfffffa00, v16
	;; [unrolled: 1-line block ×8, first 2 shown]
	ds_write_b32 v17, v13
	ds_write_b32 v18, v11
	;; [unrolled: 1-line block ×7, first 2 shown]
	v_add_nc_u32_e32 v17, 0xfffffbc0, v16
	v_add_nc_u32_e32 v18, 0xfffffc00, v16
	;; [unrolled: 1-line block ×5, first 2 shown]
	ds_write_b32 v17, v2
	ds_write_b32 v18, v1
	;; [unrolled: 1-line block ×5, first 2 shown]
.LBB97_70:
	s_or_b32 exec_lo, exec_lo, s0
	v_lshlrev_b32_e32 v12, 2, v12
	s_mov_b32 s1, exec_lo
	v_cmp_eq_u32_e32 vcc_lo, 0, v50
	s_waitcnt lgkmcnt(0)
	s_barrier
	v_add3_u32 v12, 0x1a0, v15, v12
	buffer_gl0_inv
	v_cmpx_gt_u32_e32 64, v0
	s_cbranch_execz .LBB97_85
; %bb.71:
	s_and_saveexec_b32 s0, vcc_lo
	s_cbranch_execnz .LBB97_105
; %bb.72:
	s_or_b32 exec_lo, exec_lo, s0
	s_and_saveexec_b32 s0, vcc_lo
	s_cbranch_execnz .LBB97_106
.LBB97_73:
	s_or_b32 exec_lo, exec_lo, s0
	s_and_saveexec_b32 s0, vcc_lo
	s_cbranch_execnz .LBB97_107
.LBB97_74:
	s_or_b32 exec_lo, exec_lo, s0
	s_and_saveexec_b32 s0, vcc_lo
	s_cbranch_execnz .LBB97_108
.LBB97_75:
	s_or_b32 exec_lo, exec_lo, s0
	s_and_saveexec_b32 s0, vcc_lo
	s_cbranch_execnz .LBB97_109
.LBB97_76:
	s_or_b32 exec_lo, exec_lo, s0
	s_and_saveexec_b32 s0, vcc_lo
	s_cbranch_execnz .LBB97_110
.LBB97_77:
	s_or_b32 exec_lo, exec_lo, s0
	s_and_saveexec_b32 s0, vcc_lo
	s_cbranch_execnz .LBB97_111
.LBB97_78:
	s_or_b32 exec_lo, exec_lo, s0
	s_and_saveexec_b32 s0, vcc_lo
	s_cbranch_execnz .LBB97_112
.LBB97_79:
	s_or_b32 exec_lo, exec_lo, s0
	s_and_saveexec_b32 s0, vcc_lo
	s_cbranch_execnz .LBB97_113
.LBB97_80:
	s_or_b32 exec_lo, exec_lo, s0
	s_and_saveexec_b32 s0, vcc_lo
	s_cbranch_execnz .LBB97_114
.LBB97_81:
	s_or_b32 exec_lo, exec_lo, s0
	s_and_saveexec_b32 s0, vcc_lo
	s_cbranch_execnz .LBB97_115
.LBB97_82:
	s_or_b32 exec_lo, exec_lo, s0
	s_and_saveexec_b32 s0, vcc_lo
	s_cbranch_execz .LBB97_84
.LBB97_83:
	ds_read_b32 v15, v12 offset:704
	s_waitcnt lgkmcnt(0)
	v_add_f32_e32 v3, v3, v15
.LBB97_84:
	s_or_b32 exec_lo, exec_lo, s0
.LBB97_85:
	s_or_b32 exec_lo, exec_lo, s1
	v_and_b32_e32 v15, 0x3e1, v0
	s_mov_b32 s1, exec_lo
	s_barrier
	buffer_gl0_inv
	v_cmpx_eq_u32_e32 32, v15
	s_cbranch_execz .LBB97_87
; %bb.86:
	ds_write2_b32 v14, v13, v11 offset1:16
	ds_write2_b32 v14, v10, v9 offset0:32 offset1:48
	ds_write2_b32 v14, v8, v7 offset0:64 offset1:80
	;; [unrolled: 1-line block ×5, first 2 shown]
.LBB97_87:
	s_or_b32 exec_lo, exec_lo, s1
	s_mov_b32 s1, exec_lo
	s_waitcnt lgkmcnt(0)
	s_barrier
	buffer_gl0_inv
	v_cmpx_gt_u32_e32 32, v0
	s_cbranch_execz .LBB97_102
; %bb.88:
	s_and_saveexec_b32 s0, vcc_lo
	s_cbranch_execnz .LBB97_116
; %bb.89:
	s_or_b32 exec_lo, exec_lo, s0
	s_and_saveexec_b32 s0, vcc_lo
	s_cbranch_execnz .LBB97_117
.LBB97_90:
	s_or_b32 exec_lo, exec_lo, s0
	s_and_saveexec_b32 s0, vcc_lo
	s_cbranch_execnz .LBB97_118
.LBB97_91:
	s_or_b32 exec_lo, exec_lo, s0
	s_and_saveexec_b32 s0, vcc_lo
	s_cbranch_execnz .LBB97_119
.LBB97_92:
	s_or_b32 exec_lo, exec_lo, s0
	s_and_saveexec_b32 s0, vcc_lo
	s_cbranch_execnz .LBB97_120
.LBB97_93:
	s_or_b32 exec_lo, exec_lo, s0
	s_and_saveexec_b32 s0, vcc_lo
	s_cbranch_execnz .LBB97_121
.LBB97_94:
	s_or_b32 exec_lo, exec_lo, s0
	s_and_saveexec_b32 s0, vcc_lo
	s_cbranch_execnz .LBB97_122
.LBB97_95:
	s_or_b32 exec_lo, exec_lo, s0
	s_and_saveexec_b32 s0, vcc_lo
	s_cbranch_execnz .LBB97_123
.LBB97_96:
	s_or_b32 exec_lo, exec_lo, s0
	s_and_saveexec_b32 s0, vcc_lo
	s_cbranch_execnz .LBB97_124
.LBB97_97:
	s_or_b32 exec_lo, exec_lo, s0
	s_and_saveexec_b32 s0, vcc_lo
	s_cbranch_execnz .LBB97_125
.LBB97_98:
	s_or_b32 exec_lo, exec_lo, s0
	s_and_saveexec_b32 s0, vcc_lo
	s_cbranch_execnz .LBB97_126
.LBB97_99:
	s_or_b32 exec_lo, exec_lo, s0
	s_and_saveexec_b32 s0, vcc_lo
	s_cbranch_execz .LBB97_101
.LBB97_100:
	ds_read_b32 v0, v12 offset:704
	s_waitcnt lgkmcnt(0)
	v_add_f32_e32 v3, v3, v0
.LBB97_101:
	s_or_b32 exec_lo, exec_lo, s0
.LBB97_102:
	s_or_b32 exec_lo, exec_lo, s1
	s_barrier
	buffer_gl0_inv
	s_mov_b32 s0, exec_lo
	v_cmpx_eq_u32_e32 0, v15
	s_cbranch_execz .LBB97_104
; %bb.103:
	s_mul_i32 s0, s2, 0xc0
	s_mul_i32 s2, s7, s10
	s_ashr_i32 s1, s0, 31
	v_lshlrev_b32_e32 v0, 1, v49
	s_lshl_b64 s[0:1], s[0:1], 1
	;;#ASMSTART
	v_cvt_f16_f32 v12, v13;

	;;#ASMEND
	s_add_u32 s4, s24, s0
	s_addc_u32 s5, s25, s1
	s_ashr_i32 s3, s2, 31
	s_lshl_b64 s[0:1], s[2:3], 1
	s_mul_i32 s2, s8, 0xc0
	s_add_u32 s4, s4, s0
	s_addc_u32 s5, s5, s1
	s_ashr_i32 s3, s2, 31
	s_lshl_b64 s[0:1], s[2:3], 1
	s_add_u32 s0, s4, s0
	s_addc_u32 s1, s5, s1
	global_store_short v0, v12, s[0:1]
	;;#ASMSTART
	v_cvt_f16_f32 v11, v11;

	;;#ASMEND
	global_store_short v0, v11, s[0:1] offset:32
	;;#ASMSTART
	v_cvt_f16_f32 v10, v10;

	;;#ASMEND
	global_store_short v0, v10, s[0:1] offset:64
	;; [unrolled: 5-line block ×11, first 2 shown]
.LBB97_104:
	s_endpgm
.LBB97_105:
	ds_read_b32 v15, v12
	s_waitcnt lgkmcnt(0)
	v_add_f32_e32 v13, v13, v15
	s_or_b32 exec_lo, exec_lo, s0
	s_and_saveexec_b32 s0, vcc_lo
	s_cbranch_execz .LBB97_73
.LBB97_106:
	ds_read_b32 v15, v12 offset:64
	s_waitcnt lgkmcnt(0)
	v_add_f32_e32 v11, v11, v15
	s_or_b32 exec_lo, exec_lo, s0
	s_and_saveexec_b32 s0, vcc_lo
	s_cbranch_execz .LBB97_74
.LBB97_107:
	ds_read_b32 v15, v12 offset:128
	s_waitcnt lgkmcnt(0)
	v_add_f32_e32 v10, v10, v15
	s_or_b32 exec_lo, exec_lo, s0
	s_and_saveexec_b32 s0, vcc_lo
	s_cbranch_execz .LBB97_75
.LBB97_108:
	ds_read_b32 v15, v12 offset:192
	s_waitcnt lgkmcnt(0)
	v_add_f32_e32 v9, v9, v15
	s_or_b32 exec_lo, exec_lo, s0
	s_and_saveexec_b32 s0, vcc_lo
	s_cbranch_execz .LBB97_76
.LBB97_109:
	ds_read_b32 v15, v12 offset:256
	s_waitcnt lgkmcnt(0)
	v_add_f32_e32 v8, v8, v15
	s_or_b32 exec_lo, exec_lo, s0
	s_and_saveexec_b32 s0, vcc_lo
	s_cbranch_execz .LBB97_77
.LBB97_110:
	ds_read_b32 v15, v12 offset:320
	s_waitcnt lgkmcnt(0)
	v_add_f32_e32 v7, v7, v15
	s_or_b32 exec_lo, exec_lo, s0
	s_and_saveexec_b32 s0, vcc_lo
	s_cbranch_execz .LBB97_78
.LBB97_111:
	ds_read_b32 v15, v12 offset:384
	s_waitcnt lgkmcnt(0)
	v_add_f32_e32 v5, v5, v15
	s_or_b32 exec_lo, exec_lo, s0
	s_and_saveexec_b32 s0, vcc_lo
	s_cbranch_execz .LBB97_79
.LBB97_112:
	ds_read_b32 v15, v12 offset:448
	s_waitcnt lgkmcnt(0)
	v_add_f32_e32 v2, v2, v15
	s_or_b32 exec_lo, exec_lo, s0
	s_and_saveexec_b32 s0, vcc_lo
	s_cbranch_execz .LBB97_80
.LBB97_113:
	ds_read_b32 v15, v12 offset:512
	s_waitcnt lgkmcnt(0)
	v_add_f32_e32 v1, v1, v15
	s_or_b32 exec_lo, exec_lo, s0
	s_and_saveexec_b32 s0, vcc_lo
	s_cbranch_execz .LBB97_81
.LBB97_114:
	ds_read_b32 v15, v12 offset:576
	s_waitcnt lgkmcnt(0)
	v_add_f32_e32 v4, v4, v15
	s_or_b32 exec_lo, exec_lo, s0
	s_and_saveexec_b32 s0, vcc_lo
	s_cbranch_execz .LBB97_82
.LBB97_115:
	ds_read_b32 v15, v12 offset:640
	s_waitcnt lgkmcnt(0)
	v_add_f32_e32 v6, v6, v15
	s_or_b32 exec_lo, exec_lo, s0
	s_and_saveexec_b32 s0, vcc_lo
	s_cbranch_execnz .LBB97_83
	s_branch .LBB97_84
.LBB97_116:
	ds_read_b32 v0, v12
	s_waitcnt lgkmcnt(0)
	v_add_f32_e32 v13, v13, v0
	s_or_b32 exec_lo, exec_lo, s0
	s_and_saveexec_b32 s0, vcc_lo
	s_cbranch_execz .LBB97_90
.LBB97_117:
	ds_read_b32 v0, v12 offset:64
	s_waitcnt lgkmcnt(0)
	v_add_f32_e32 v11, v11, v0
	s_or_b32 exec_lo, exec_lo, s0
	s_and_saveexec_b32 s0, vcc_lo
	s_cbranch_execz .LBB97_91
.LBB97_118:
	ds_read_b32 v0, v12 offset:128
	s_waitcnt lgkmcnt(0)
	v_add_f32_e32 v10, v10, v0
	s_or_b32 exec_lo, exec_lo, s0
	s_and_saveexec_b32 s0, vcc_lo
	s_cbranch_execz .LBB97_92
.LBB97_119:
	ds_read_b32 v0, v12 offset:192
	s_waitcnt lgkmcnt(0)
	v_add_f32_e32 v9, v9, v0
	s_or_b32 exec_lo, exec_lo, s0
	s_and_saveexec_b32 s0, vcc_lo
	s_cbranch_execz .LBB97_93
.LBB97_120:
	ds_read_b32 v0, v12 offset:256
	s_waitcnt lgkmcnt(0)
	v_add_f32_e32 v8, v8, v0
	s_or_b32 exec_lo, exec_lo, s0
	s_and_saveexec_b32 s0, vcc_lo
	s_cbranch_execz .LBB97_94
.LBB97_121:
	ds_read_b32 v0, v12 offset:320
	s_waitcnt lgkmcnt(0)
	v_add_f32_e32 v7, v7, v0
	s_or_b32 exec_lo, exec_lo, s0
	s_and_saveexec_b32 s0, vcc_lo
	s_cbranch_execz .LBB97_95
.LBB97_122:
	ds_read_b32 v0, v12 offset:384
	s_waitcnt lgkmcnt(0)
	v_add_f32_e32 v5, v5, v0
	s_or_b32 exec_lo, exec_lo, s0
	s_and_saveexec_b32 s0, vcc_lo
	s_cbranch_execz .LBB97_96
.LBB97_123:
	ds_read_b32 v0, v12 offset:448
	s_waitcnt lgkmcnt(0)
	v_add_f32_e32 v2, v2, v0
	s_or_b32 exec_lo, exec_lo, s0
	s_and_saveexec_b32 s0, vcc_lo
	s_cbranch_execz .LBB97_97
.LBB97_124:
	ds_read_b32 v0, v12 offset:512
	s_waitcnt lgkmcnt(0)
	v_add_f32_e32 v1, v1, v0
	s_or_b32 exec_lo, exec_lo, s0
	s_and_saveexec_b32 s0, vcc_lo
	s_cbranch_execz .LBB97_98
.LBB97_125:
	ds_read_b32 v0, v12 offset:576
	s_waitcnt lgkmcnt(0)
	v_add_f32_e32 v4, v4, v0
	s_or_b32 exec_lo, exec_lo, s0
	s_and_saveexec_b32 s0, vcc_lo
	s_cbranch_execz .LBB97_99
.LBB97_126:
	ds_read_b32 v0, v12 offset:640
	s_waitcnt lgkmcnt(0)
	v_add_f32_e32 v6, v6, v0
	s_or_b32 exec_lo, exec_lo, s0
	s_and_saveexec_b32 s0, vcc_lo
	s_cbranch_execnz .LBB97_100
	s_branch .LBB97_101
	.section	.rodata,"a",@progbits
	.p2align	6, 0x0
	.amdhsa_kernel _ZN4vllm25paged_attention_v2_kernelIttLi192ELi16ELi128ELNS_18Fp8KVCacheDataTypeE0ELb1ELi512EEEvPfS2_PT_PKS3_PKT0_S9_ifPKiSB_iPKfiiiSD_SD_iiiii
		.amdhsa_group_segment_fixed_size 416
		.amdhsa_private_segment_fixed_size 0
		.amdhsa_kernarg_size 400
		.amdhsa_user_sgpr_count 6
		.amdhsa_user_sgpr_private_segment_buffer 1
		.amdhsa_user_sgpr_dispatch_ptr 0
		.amdhsa_user_sgpr_queue_ptr 0
		.amdhsa_user_sgpr_kernarg_segment_ptr 1
		.amdhsa_user_sgpr_dispatch_id 0
		.amdhsa_user_sgpr_flat_scratch_init 0
		.amdhsa_user_sgpr_private_segment_size 0
		.amdhsa_wavefront_size32 1
		.amdhsa_uses_dynamic_stack 0
		.amdhsa_system_sgpr_private_segment_wavefront_offset 0
		.amdhsa_system_sgpr_workgroup_id_x 1
		.amdhsa_system_sgpr_workgroup_id_y 1
		.amdhsa_system_sgpr_workgroup_id_z 1
		.amdhsa_system_sgpr_workgroup_info 0
		.amdhsa_system_vgpr_workitem_id 0
		.amdhsa_next_free_vgpr 110
		.amdhsa_next_free_sgpr 46
		.amdhsa_reserve_vcc 1
		.amdhsa_reserve_flat_scratch 0
		.amdhsa_float_round_mode_32 0
		.amdhsa_float_round_mode_16_64 0
		.amdhsa_float_denorm_mode_32 3
		.amdhsa_float_denorm_mode_16_64 3
		.amdhsa_dx10_clamp 1
		.amdhsa_ieee_mode 1
		.amdhsa_fp16_overflow 0
		.amdhsa_workgroup_processor_mode 1
		.amdhsa_memory_ordered 1
		.amdhsa_forward_progress 1
		.amdhsa_shared_vgpr_count 0
		.amdhsa_exception_fp_ieee_invalid_op 0
		.amdhsa_exception_fp_denorm_src 0
		.amdhsa_exception_fp_ieee_div_zero 0
		.amdhsa_exception_fp_ieee_overflow 0
		.amdhsa_exception_fp_ieee_underflow 0
		.amdhsa_exception_fp_ieee_inexact 0
		.amdhsa_exception_int_div_zero 0
	.end_amdhsa_kernel
	.section	.text._ZN4vllm25paged_attention_v2_kernelIttLi192ELi16ELi128ELNS_18Fp8KVCacheDataTypeE0ELb1ELi512EEEvPfS2_PT_PKS3_PKT0_S9_ifPKiSB_iPKfiiiSD_SD_iiiii,"axG",@progbits,_ZN4vllm25paged_attention_v2_kernelIttLi192ELi16ELi128ELNS_18Fp8KVCacheDataTypeE0ELb1ELi512EEEvPfS2_PT_PKS3_PKT0_S9_ifPKiSB_iPKfiiiSD_SD_iiiii,comdat
.Lfunc_end97:
	.size	_ZN4vllm25paged_attention_v2_kernelIttLi192ELi16ELi128ELNS_18Fp8KVCacheDataTypeE0ELb1ELi512EEEvPfS2_PT_PKS3_PKT0_S9_ifPKiSB_iPKfiiiSD_SD_iiiii, .Lfunc_end97-_ZN4vllm25paged_attention_v2_kernelIttLi192ELi16ELi128ELNS_18Fp8KVCacheDataTypeE0ELb1ELi512EEEvPfS2_PT_PKS3_PKT0_S9_ifPKiSB_iPKfiiiSD_SD_iiiii
                                        ; -- End function
	.set _ZN4vllm25paged_attention_v2_kernelIttLi192ELi16ELi128ELNS_18Fp8KVCacheDataTypeE0ELb1ELi512EEEvPfS2_PT_PKS3_PKT0_S9_ifPKiSB_iPKfiiiSD_SD_iiiii.num_vgpr, 110
	.set _ZN4vllm25paged_attention_v2_kernelIttLi192ELi16ELi128ELNS_18Fp8KVCacheDataTypeE0ELb1ELi512EEEvPfS2_PT_PKS3_PKT0_S9_ifPKiSB_iPKfiiiSD_SD_iiiii.num_agpr, 0
	.set _ZN4vllm25paged_attention_v2_kernelIttLi192ELi16ELi128ELNS_18Fp8KVCacheDataTypeE0ELb1ELi512EEEvPfS2_PT_PKS3_PKT0_S9_ifPKiSB_iPKfiiiSD_SD_iiiii.numbered_sgpr, 46
	.set _ZN4vllm25paged_attention_v2_kernelIttLi192ELi16ELi128ELNS_18Fp8KVCacheDataTypeE0ELb1ELi512EEEvPfS2_PT_PKS3_PKT0_S9_ifPKiSB_iPKfiiiSD_SD_iiiii.num_named_barrier, 0
	.set _ZN4vllm25paged_attention_v2_kernelIttLi192ELi16ELi128ELNS_18Fp8KVCacheDataTypeE0ELb1ELi512EEEvPfS2_PT_PKS3_PKT0_S9_ifPKiSB_iPKfiiiSD_SD_iiiii.private_seg_size, 0
	.set _ZN4vllm25paged_attention_v2_kernelIttLi192ELi16ELi128ELNS_18Fp8KVCacheDataTypeE0ELb1ELi512EEEvPfS2_PT_PKS3_PKT0_S9_ifPKiSB_iPKfiiiSD_SD_iiiii.uses_vcc, 1
	.set _ZN4vllm25paged_attention_v2_kernelIttLi192ELi16ELi128ELNS_18Fp8KVCacheDataTypeE0ELb1ELi512EEEvPfS2_PT_PKS3_PKT0_S9_ifPKiSB_iPKfiiiSD_SD_iiiii.uses_flat_scratch, 0
	.set _ZN4vllm25paged_attention_v2_kernelIttLi192ELi16ELi128ELNS_18Fp8KVCacheDataTypeE0ELb1ELi512EEEvPfS2_PT_PKS3_PKT0_S9_ifPKiSB_iPKfiiiSD_SD_iiiii.has_dyn_sized_stack, 0
	.set _ZN4vllm25paged_attention_v2_kernelIttLi192ELi16ELi128ELNS_18Fp8KVCacheDataTypeE0ELb1ELi512EEEvPfS2_PT_PKS3_PKT0_S9_ifPKiSB_iPKfiiiSD_SD_iiiii.has_recursion, 0
	.set _ZN4vllm25paged_attention_v2_kernelIttLi192ELi16ELi128ELNS_18Fp8KVCacheDataTypeE0ELb1ELi512EEEvPfS2_PT_PKS3_PKT0_S9_ifPKiSB_iPKfiiiSD_SD_iiiii.has_indirect_call, 0
	.section	.AMDGPU.csdata,"",@progbits
; Kernel info:
; codeLenInByte = 15956
; TotalNumSgprs: 48
; NumVgprs: 110
; ScratchSize: 0
; MemoryBound: 0
; FloatMode: 240
; IeeeMode: 1
; LDSByteSize: 416 bytes/workgroup (compile time only)
; SGPRBlocks: 0
; VGPRBlocks: 13
; NumSGPRsForWavesPerEU: 48
; NumVGPRsForWavesPerEU: 110
; Occupancy: 9
; WaveLimiterHint : 1
; COMPUTE_PGM_RSRC2:SCRATCH_EN: 0
; COMPUTE_PGM_RSRC2:USER_SGPR: 6
; COMPUTE_PGM_RSRC2:TRAP_HANDLER: 0
; COMPUTE_PGM_RSRC2:TGID_X_EN: 1
; COMPUTE_PGM_RSRC2:TGID_Y_EN: 1
; COMPUTE_PGM_RSRC2:TGID_Z_EN: 1
; COMPUTE_PGM_RSRC2:TIDIG_COMP_CNT: 0
	.section	.text._ZN4vllm25paged_attention_v2_kernelIttLi256ELi16ELi128ELNS_18Fp8KVCacheDataTypeE0ELb1ELi512EEEvPfS2_PT_PKS3_PKT0_S9_ifPKiSB_iPKfiiiSD_SD_iiiii,"axG",@progbits,_ZN4vllm25paged_attention_v2_kernelIttLi256ELi16ELi128ELNS_18Fp8KVCacheDataTypeE0ELb1ELi512EEEvPfS2_PT_PKS3_PKT0_S9_ifPKiSB_iPKfiiiSD_SD_iiiii,comdat
	.protected	_ZN4vllm25paged_attention_v2_kernelIttLi256ELi16ELi128ELNS_18Fp8KVCacheDataTypeE0ELb1ELi512EEEvPfS2_PT_PKS3_PKT0_S9_ifPKiSB_iPKfiiiSD_SD_iiiii ; -- Begin function _ZN4vllm25paged_attention_v2_kernelIttLi256ELi16ELi128ELNS_18Fp8KVCacheDataTypeE0ELb1ELi512EEEvPfS2_PT_PKS3_PKT0_S9_ifPKiSB_iPKfiiiSD_SD_iiiii
	.globl	_ZN4vllm25paged_attention_v2_kernelIttLi256ELi16ELi128ELNS_18Fp8KVCacheDataTypeE0ELb1ELi512EEEvPfS2_PT_PKS3_PKT0_S9_ifPKiSB_iPKfiiiSD_SD_iiiii
	.p2align	8
	.type	_ZN4vllm25paged_attention_v2_kernelIttLi256ELi16ELi128ELNS_18Fp8KVCacheDataTypeE0ELb1ELi512EEEvPfS2_PT_PKS3_PKT0_S9_ifPKiSB_iPKfiiiSD_SD_iiiii,@function
_ZN4vllm25paged_attention_v2_kernelIttLi256ELi16ELi128ELNS_18Fp8KVCacheDataTypeE0ELb1ELi512EEEvPfS2_PT_PKS3_PKT0_S9_ifPKiSB_iPKfiiiSD_SD_iiiii: ; @_ZN4vllm25paged_attention_v2_kernelIttLi256ELi16ELi128ELNS_18Fp8KVCacheDataTypeE0ELb1ELi512EEEvPfS2_PT_PKS3_PKT0_S9_ifPKiSB_iPKfiiiSD_SD_iiiii
; %bb.0:
	s_load_dwordx2 s[0:1], s[4:5], 0x40
	s_mov_b32 s26, s7
	s_ashr_i32 s27, s7, 31
	s_lshl_b64 s[2:3], s[26:27], 2
	s_waitcnt lgkmcnt(0)
	s_add_u32 s0, s0, s2
	s_addc_u32 s1, s1, s3
	s_lshl_b32 s38, s8, 9
	s_load_dword s27, s[0:1], 0x0
	s_waitcnt lgkmcnt(0)
	s_cmp_ge_i32 s38, s27
	s_cbranch_scc1 .LBB98_120
; %bb.1:
	s_clause 0x1
	s_load_dword s9, s[4:5], 0x90
	s_load_dwordx2 s[36:37], s[4:5], 0x30
	s_mov_b32 s40, 0
	s_waitcnt lgkmcnt(0)
	s_abs_i32 s3, s9
	s_abs_i32 s0, s36
	v_cvt_f32_u32_e32 v1, s0
	s_sub_i32 s2, 0, s0
	v_rcp_iflag_f32_e32 v1, v1
	v_mul_f32_e32 v1, 0x4f7ffffe, v1
	v_cvt_u32_f32_e32 v1, v1
	v_readfirstlane_b32 s1, v1
	s_mul_i32 s2, s2, s1
	s_mul_hi_u32 s2, s1, s2
	s_add_i32 s1, s1, s2
	s_xor_b32 s2, s9, s36
	s_mul_hi_u32 s1, s3, s1
	s_ashr_i32 s2, s2, 31
	s_mul_i32 s7, s1, s0
	s_sub_i32 s3, s3, s7
	s_add_i32 s7, s1, 1
	s_sub_i32 s10, s3, s0
	s_cmp_ge_u32 s3, s0
	s_cselect_b32 s1, s7, s1
	s_cselect_b32 s3, s10, s3
	s_add_i32 s7, s1, 1
	s_cmp_ge_u32 s3, s0
	s_cselect_b32 s0, s7, s1
	s_xor_b32 s0, s0, s2
	s_sub_i32 s10, s0, s2
	s_load_dwordx2 s[0:1], s[4:5], 0x50
	s_abs_i32 s2, s10
	v_cvt_f32_u32_e32 v1, s2
	s_sub_i32 s3, 0, s2
	v_rcp_iflag_f32_e32 v1, v1
	v_mul_f32_e32 v1, 0x4f7ffffe, v1
	v_cvt_u32_f32_e32 v1, v1
	v_readfirstlane_b32 s7, v1
	s_mul_i32 s3, s3, s7
	s_mul_hi_u32 s11, s7, s3
	s_abs_i32 s3, s6
	s_add_i32 s7, s7, s11
	s_waitcnt lgkmcnt(0)
	s_cmp_eq_u64 s[0:1], 0
	s_mul_hi_u32 s20, s3, s7
	s_cbranch_scc1 .LBB98_3
; %bb.2:
	s_ashr_i32 s7, s6, 31
	s_lshl_b64 s[12:13], s[6:7], 2
	s_add_u32 s0, s0, s12
	s_addc_u32 s1, s1, s13
	s_load_dword s40, s[0:1], 0x0
.LBB98_3:
	s_load_dwordx4 s[12:15], s[4:5], 0x58
	v_lshrrev_b32_e32 v65, 1, v0
	v_and_b32_e32 v66, 1, v0
	v_cmp_gt_u32_e64 s0, 64, v0
	v_lshlrev_b32_e32 v69, 3, v0
	s_ashr_i32 s1, s6, 31
	s_ashr_i32 s7, s10, 31
	s_lshl_b32 s10, s6, 8
	s_waitcnt lgkmcnt(0)
	s_and_saveexec_b32 s15, s0
	s_cbranch_execz .LBB98_5
; %bb.4:
	s_load_dwordx2 s[16:17], s[4:5], 0x18
	s_mul_i32 s18, s12, s26
	v_lshlrev_b32_e32 v3, 3, v65
	s_ashr_i32 s19, s18, 31
	s_lshl_b64 s[18:19], s[18:19], 1
	v_lshl_add_u32 v3, v66, 8, v3
	s_waitcnt lgkmcnt(0)
	s_add_u32 s12, s16, s18
	s_addc_u32 s18, s17, s19
	s_ashr_i32 s11, s10, 31
	s_lshl_b64 s[16:17], s[10:11], 1
	s_add_u32 s16, s12, s16
	s_addc_u32 s17, s18, s17
	global_load_dwordx2 v[1:2], v69, s[16:17]
	s_waitcnt vmcnt(0)
	ds_write_b64 v3, v[1:2]
.LBB98_5:
	s_or_b32 exec_lo, exec_lo, s15
	s_load_dwordx4 s[16:19], s[4:5], 0x78
	s_mul_i32 s11, s20, s2
	s_xor_b32 s1, s1, s7
	s_sub_i32 s3, s3, s11
	s_add_i32 s7, s20, 1
	s_sub_i32 s11, s3, s2
	s_cmp_ge_u32 s3, s2
                                        ; implicit-def: $sgpr33
	s_cselect_b32 s7, s7, s20
	s_cselect_b32 s3, s11, s3
	s_add_i32 s11, s7, 1
	s_cmp_ge_u32 s3, s2
	s_mov_b32 s20, -1
	s_cselect_b32 s2, s11, s7
	s_load_dword s7, s[4:5], 0x88
	s_xor_b32 s2, s2, s1
	s_add_i32 s15, s27, -1
	s_sub_i32 s2, s2, s1
	s_abs_i32 s3, s15
	s_waitcnt lgkmcnt(0)
	s_abs_i32 s11, s19
	s_barrier
	v_cvt_f32_u32_e32 v1, s11
	s_sub_i32 s1, 0, s11
	buffer_gl0_inv
	v_rcp_iflag_f32_e32 v1, v1
	v_mul_f32_e32 v1, 0x4f7ffffe, v1
	v_cvt_u32_f32_e32 v1, v1
	v_readfirstlane_b32 s12, v1
	s_mul_i32 s1, s1, s12
	s_mul_hi_u32 s1, s12, s1
	s_add_i32 s12, s12, s1
	s_cmp_lt_i32 s7, 0
	s_mul_hi_u32 s1, s3, s12
	s_cbranch_scc0 .LBB98_7
; %bb.6:
	s_mul_i32 s20, s16, s36
	s_add_i32 s20, s2, s20
	s_mul_i32 s20, s20, s7
	s_sub_i32 s33, 1, s20
	s_mov_b32 s20, 0
.LBB98_7:
	s_load_dwordx2 s[28:29], s[4:5], 0x38
	s_ashr_i32 s15, s15, 31
	s_andn2_b32 vcc_lo, exec_lo, s20
	s_ashr_i32 s19, s19, 31
	s_cbranch_vccnz .LBB98_9
; %bb.8:
	s_mul_i32 s16, s9, s16
	s_add_i32 s16, s16, s6
	s_mul_i32 s7, s16, s7
	s_add_i32 s33, s7, 1
.LBB98_9:
	s_clause 0x4
	s_load_dword s16, s[4:5], 0x48
	s_load_dwordx2 s[34:35], s[4:5], 0x28
	s_load_dword s7, s[4:5], 0x98
	s_load_dwordx4 s[20:23], s[4:5], 0x0
	s_load_dwordx2 s[24:25], s[4:5], 0x10
	s_mul_i32 s30, s1, s11
	s_xor_b32 s15, s15, s19
	s_sub_i32 s3, s3, s30
	s_add_i32 s36, s1, 1
	v_lshrrev_b32_e32 v67, 5, v0
	v_mov_b32_e32 v71, 0xff7fffff
	v_mbcnt_lo_u32_b32 v70, -1, 0
	s_mul_i32 s14, s2, s14
	v_lshl_add_u32 v68, v67, 4, s38
	s_waitcnt lgkmcnt(0)
	s_mul_i32 s30, s16, s26
	s_sub_i32 s16, s3, s11
	s_ashr_i32 s31, s30, 31
	s_cmp_ge_u32 s3, s11
	s_cselect_b32 s1, s36, s1
	s_cselect_b32 s3, s16, s3
	s_add_i32 s16, s1, 1
	s_cmp_ge_u32 s3, s11
	s_cselect_b32 s1, s16, s1
	s_add_i32 s3, s27, 15
	s_lshl_b32 s41, s8, 5
	s_ashr_i32 s16, s3, 31
	v_or_b32_e32 v5, s41, v67
	s_lshr_b32 s16, s16, 28
	s_add_i32 s3, s3, s16
	s_add_i32 s16, s41, 32
	s_ashr_i32 s36, s3, 4
	s_xor_b32 s3, s1, s15
	s_min_i32 s16, s16, s36
	v_ashrrev_i32_e32 v6, 31, v5
	v_cmp_gt_i32_e64 s1, s16, v5
	s_sub_i32 s39, s3, s15
	s_and_saveexec_b32 s42, s1
	s_cbranch_execz .LBB98_21
; %bb.10:
	s_load_dwordx2 s[2:3], s[4:5], 0x20
	s_ashr_i32 s15, s14, 31
	s_sub_i32 s5, s39, s17
	s_lshl_b64 s[44:45], s[14:15], 1
	v_bfe_u32 v72, v0, 1, 4
	v_and_b32_e32 v4, 8, v69
	v_lshlrev_b32_e32 v73, 8, v66
	v_lshl_add_u32 v74, v67, 4, s38
	v_mov_b32_e32 v75, 0xff7fffff
	v_lshlrev_b32_e32 v7, 2, v72
	v_subrev_nc_u32_e32 v8, s27, v72
	v_lshlrev_b32_e32 v9, 4, v72
	v_xor_b32_e32 v76, 1, v70
	v_mov_b32_e32 v71, 0xff7fffff
	v_lshl_or_b32 v7, v67, 6, v7
	v_add_nc_u32_e32 v77, 1, v8
	v_mov_b32_e32 v82, v5
	v_cmp_eq_u32_e32 vcc_lo, 0, v66
	v_add_nc_u32_e32 v78, 0x220, v7
	s_waitcnt lgkmcnt(0)
	s_add_u32 s4, s2, s44
	s_addc_u32 s3, s3, s45
	s_abs_i32 s15, s18
	s_lshl_b64 s[44:45], s[30:31], 2
	v_cvt_f32_u32_e32 v1, s15
	s_sub_i32 s43, 0, s15
	v_add_co_u32 v8, s4, s4, v9
	v_add_co_ci_u32_e64 v9, null, s3, 0, s4
	v_rcp_iflag_f32_e32 v3, v1
	v_lshlrev_b64 v[1:2], 2, v[5:6]
	s_add_u32 s3, s28, s44
	s_addc_u32 s4, s29, s45
	v_cmp_neq_f32_e64 s2, s40, 0
	s_mov_b32 s44, s13
	v_add_co_u32 v1, s3, s3, v1
	v_add_co_ci_u32_e64 v2, null, s4, v2, s3
	v_mul_f32_e32 v3, 0x4f7ffffe, v3
	v_add_co_u32 v79, s3, v8, v4
	v_add_co_ci_u32_e64 v80, null, 0, v9, s3
	v_cvt_u32_f32_e32 v3, v3
	v_mul_lo_u32 v7, s43, v3
	s_mov_b32 s43, 0
	v_mul_hi_u32 v7, v3, v7
	v_add_nc_u32_e32 v81, v3, v7
	s_branch .LBB98_13
.LBB98_11:                              ;   in Loop: Header=BB98_13 Depth=1
	s_or_b32 exec_lo, exec_lo, s45
.LBB98_12:                              ;   in Loop: Header=BB98_13 Depth=1
	s_or_b32 exec_lo, exec_lo, s4
	v_add_nc_u32_e32 v82, 4, v82
	v_add_co_u32 v1, s4, v1, 16
	v_add_co_ci_u32_e64 v2, null, 0, v2, s4
	v_cmp_le_i32_e64 s3, s16, v82
	v_add_nc_u32_e32 v74, 64, v74
	v_add_nc_u32_e32 v78, 0x100, v78
	s_or_b32 s43, s3, s43
	s_andn2_b32 exec_lo, exec_lo, s43
	s_cbranch_execz .LBB98_20
.LBB98_13:                              ; =>This Inner Loop Header: Depth=1
	v_sub_nc_u32_e32 v3, 0, v74
	v_max_i32_e32 v3, v74, v3
	s_waitcnt lgkmcnt(0)
	v_mul_hi_u32 v4, v3, s12
	v_mul_lo_u32 v7, v4, s11
	v_sub_nc_u32_e32 v3, v3, v7
	v_add_nc_u32_e32 v7, 1, v4
	v_subrev_nc_u32_e32 v8, s11, v3
	v_cmp_le_u32_e64 s3, s11, v3
	v_cndmask_b32_e64 v4, v4, v7, s3
	v_cndmask_b32_e64 v3, v3, v8, s3
	v_ashrrev_i32_e32 v7, 31, v74
	v_add_nc_u32_e32 v8, 1, v4
	v_cmp_le_u32_e64 s3, s11, v3
	v_xor_b32_e32 v7, s19, v7
	v_cndmask_b32_e64 v3, v4, v8, s3
	v_xor_b32_e32 v3, v3, v7
	v_sub_nc_u32_e32 v3, v3, v7
	v_add_nc_u32_e32 v4, s33, v3
	v_cmp_ge_i32_e64 s4, s5, v3
	v_sub_nc_u32_e32 v7, 0, v4
	v_max_i32_e32 v7, v4, v7
	v_ashrrev_i32_e32 v4, 31, v4
	v_mul_hi_u32 v8, v7, v81
	v_mul_lo_u32 v8, v8, s15
	v_sub_nc_u32_e32 v7, v7, v8
	v_subrev_nc_u32_e32 v8, s15, v7
	v_cmp_le_u32_e64 s3, s15, v7
	v_cndmask_b32_e64 v7, v7, v8, s3
	v_subrev_nc_u32_e32 v8, s15, v7
	v_cmp_le_u32_e64 s3, s15, v7
	v_cndmask_b32_e64 v7, v7, v8, s3
	v_xor_b32_e32 v7, v7, v4
	v_sub_nc_u32_e32 v4, v7, v4
	v_cmp_ne_u32_e64 s3, 0, v4
	s_and_b32 s3, s3, s4
	s_and_saveexec_b32 s4, s3
	s_xor_b32 s3, exec_lo, s4
	s_cbranch_execz .LBB98_17
; %bb.14:                               ;   in Loop: Header=BB98_13 Depth=1
	s_and_saveexec_b32 s4, vcc_lo
; %bb.15:                               ;   in Loop: Header=BB98_13 Depth=1
	ds_write_b32 v78, v75
; %bb.16:                               ;   in Loop: Header=BB98_13 Depth=1
	s_or_b32 exec_lo, exec_lo, s4
.LBB98_17:                              ;   in Loop: Header=BB98_13 Depth=1
	s_andn2_saveexec_b32 s4, s3
	s_cbranch_execz .LBB98_12
; %bb.18:                               ;   in Loop: Header=BB98_13 Depth=1
	global_load_dword v3, v[1:2], off
	s_waitcnt vmcnt(0)
	v_mad_i64_i32 v[3:4], null, v3, s44, 0
	v_lshlrev_b64 v[3:4], 1, v[3:4]
	v_add_co_u32 v3, s3, v79, v3
	v_add_co_ci_u32_e64 v4, null, v80, v4, s3
	s_clause 0x7
	global_load_dwordx2 v[83:84], v[3:4], off
	global_load_dwordx2 v[87:88], v[3:4], off offset:256
	global_load_dwordx2 v[63:64], v[3:4], off offset:512
	;; [unrolled: 1-line block ×7, first 2 shown]
	v_add_co_u32 v7, s3, v3, 0x1000
	v_add_co_ci_u32_e64 v8, null, 0, v4, s3
	v_add_co_u32 v11, s3, 0x800, v3
	v_add_co_ci_u32_e64 v12, null, 0, v4, s3
	global_load_dwordx2 v[51:52], v[7:8], off offset:-2048
	ds_read_b64 v[9:10], v73
	global_load_dwordx2 v[49:50], v[11:12], off offset:256
	s_waitcnt lgkmcnt(0)
	v_lshrrev_b32_e32 v85, 16, v9
	v_and_b32_e32 v86, 0xffff, v9
	v_add_co_u32 v9, s3, 0x1000, v3
	v_lshrrev_b32_e32 v91, 16, v10
	v_and_b32_e32 v92, 0xffff, v10
	v_add_co_ci_u32_e64 v10, null, 0, v4, s3
	v_add_co_u32 v3, s3, 0x1800, v3
	v_add_co_ci_u32_e64 v4, null, 0, v4, s3
	s_clause 0x15
	global_load_dwordx2 v[47:48], v[11:12], off offset:512
	global_load_dwordx2 v[45:46], v[11:12], off offset:768
	;; [unrolled: 1-line block ×13, first 2 shown]
	global_load_dwordx2 v[19:20], v[3:4], off
	global_load_dwordx2 v[17:18], v[3:4], off offset:256
	global_load_dwordx2 v[15:16], v[3:4], off offset:512
	;; [unrolled: 1-line block ×5, first 2 shown]
	global_load_dwordx2 v[37:38], v[7:8], off
	global_load_dwordx2 v[7:8], v[3:4], off offset:1536
	global_load_dwordx2 v[3:4], v[3:4], off offset:1792
	;;#ASMSTART
	v_cvt_f32_f16 v90, v86;
	;;#ASMEND
	;;#ASMSTART
	v_cvt_f32_f16 v89, v85;
	;;#ASMEND
	v_cmp_gt_i32_e64 s3, 32, v76
	s_waitcnt vmcnt(31)
	v_and_b32_e32 v86, 0xffff, v83
	v_lshrrev_b32_e32 v83, 16, v83
	v_lshrrev_b32_e32 v85, 16, v84
	v_and_b32_e32 v93, 0xffff, v84
	;;#ASMSTART
	v_cvt_f32_f16 v102, v86;
	;;#ASMEND
	;;#ASMSTART
	v_cvt_f32_f16 v101, v83;
	;;#ASMEND
	;; [unrolled: 3-line block ×6, first 2 shown]
	ds_read_b64 v[91:92], v73 offset:8
	s_waitcnt vmcnt(30)
	v_and_b32_e32 v93, 0xffff, v87
	v_lshrrev_b32_e32 v94, 16, v87
	v_and_b32_e32 v95, 0xffff, v88
	v_lshrrev_b32_e32 v97, 16, v88
	s_waitcnt vmcnt(25)
	v_and_b32_e32 v126, 0xffff, v56
	v_lshrrev_b32_e32 v127, 16, v56
	v_lshrrev_b32_e32 v125, 16, v55
	s_waitcnt lgkmcnt(0)
	v_and_b32_e32 v87, 0xffff, v91
	v_and_b32_e32 v96, 0xffff, v92
	v_lshrrev_b32_e32 v98, 16, v92
	v_lshrrev_b32_e32 v91, 16, v91
	;;#ASMSTART
	v_cvt_f32_f16 v87, v87;
	;;#ASMEND
	;;#ASMSTART
	v_cvt_f32_f16 v88, v91;
	;;#ASMEND
	;; [unrolled: 3-line block ×8, first 2 shown]
	ds_read_b64 v[99:100], v73 offset:16
	v_and_b32_e32 v91, 0xffff, v63
	v_lshrrev_b32_e32 v63, 16, v63
	v_and_b32_e32 v93, 0xffff, v64
	v_lshrrev_b32_e32 v64, 16, v64
	v_mul_f32_e32 v56, v87, v92
	v_fmac_f32_e32 v56, v90, v102
	s_waitcnt lgkmcnt(0)
	v_and_b32_e32 v95, 0xffff, v99
	v_lshrrev_b32_e32 v97, 16, v99
	v_and_b32_e32 v99, 0xffff, v100
	v_lshrrev_b32_e32 v100, 16, v100
	;;#ASMSTART
	v_cvt_f32_f16 v123, v95;
	;;#ASMEND
	;;#ASMSTART
	v_cvt_f32_f16 v113, v97;
	;;#ASMEND
	;; [unrolled: 3-line block ×8, first 2 shown]
	ds_read_b64 v[63:64], v73 offset:24
	v_and_b32_e32 v91, 0xffff, v61
	v_lshrrev_b32_e32 v61, 16, v61
	v_and_b32_e32 v93, 0xffff, v62
	v_lshrrev_b32_e32 v62, 16, v62
	v_fmac_f32_e32 v56, v123, v124
	s_waitcnt vmcnt(23)
	v_and_b32_e32 v124, 0xffff, v52
	s_waitcnt lgkmcnt(0)
	v_and_b32_e32 v95, 0xffff, v63
	v_lshrrev_b32_e32 v63, 16, v63
	v_and_b32_e32 v97, 0xffff, v64
	v_lshrrev_b32_e32 v64, 16, v64
	;;#ASMSTART
	v_cvt_f32_f16 v111, v95;
	;;#ASMEND
	;;#ASMSTART
	v_cvt_f32_f16 v109, v63;
	;;#ASMEND
	;; [unrolled: 3-line block ×8, first 2 shown]
	ds_read_b64 v[61:62], v73 offset:32
	v_and_b32_e32 v63, 0xffff, v59
	v_lshrrev_b32_e32 v59, 16, v59
	v_and_b32_e32 v64, 0xffff, v60
	v_lshrrev_b32_e32 v60, 16, v60
	v_fmac_f32_e32 v56, v111, v112
	s_waitcnt vmcnt(22)
	v_lshrrev_b32_e32 v112, 16, v49
	s_waitcnt lgkmcnt(0)
	v_and_b32_e32 v91, 0xffff, v61
	v_and_b32_e32 v93, 0xffff, v62
	v_lshrrev_b32_e32 v61, 16, v61
	v_lshrrev_b32_e32 v62, 16, v62
	;;#ASMSTART
	v_cvt_f32_f16 v105, v91;
	;;#ASMEND
	;;#ASMSTART
	v_cvt_f32_f16 v103, v61;
	;;#ASMEND
	;; [unrolled: 3-line block ×8, first 2 shown]
	ds_read_b64 v[59:60], v73 offset:40
	v_and_b32_e32 v63, 0xffff, v58
	v_lshrrev_b32_e32 v58, 16, v58
	v_and_b32_e32 v61, 0xffff, v57
	v_lshrrev_b32_e32 v62, 16, v57
	v_and_b32_e32 v64, 0xffff, v55
	v_mul_f32_e32 v57, v88, v94
	v_mul_f32_e32 v55, v96, v98
	v_fmac_f32_e32 v56, v105, v107
	v_fmac_f32_e32 v57, v89, v101
	;; [unrolled: 1-line block ×3, first 2 shown]
	v_lshrrev_b32_e32 v84, 16, v53
	v_and_b32_e32 v86, 0xffff, v54
	v_fmac_f32_e32 v57, v113, v114
	v_lshrrev_b32_e32 v114, 16, v51
	v_fmac_f32_e32 v55, v118, v121
	s_waitcnt lgkmcnt(0)
	v_and_b32_e32 v87, 0xffff, v59
	v_lshrrev_b32_e32 v59, 16, v59
	v_and_b32_e32 v92, 0xffff, v60
	v_lshrrev_b32_e32 v60, 16, v60
	;;#ASMSTART
	v_cvt_f32_f16 v106, v87;
	;;#ASMEND
	;;#ASMSTART
	v_cvt_f32_f16 v87, v59;
	;;#ASMEND
	;; [unrolled: 3-line block ×8, first 2 shown]
	ds_read_b64 v[58:59], v73 offset:48
	v_fmac_f32_e32 v57, v109, v110
	v_fmac_f32_e32 v55, v119, v120
	;; [unrolled: 1-line block ×5, first 2 shown]
	s_waitcnt vmcnt(20)
	v_and_b32_e32 v95, 0xffff, v45
	v_lshrrev_b32_e32 v97, 16, v46
	v_fmac_f32_e32 v57, v87, v88
	s_waitcnt vmcnt(19)
	v_and_b32_e32 v87, 0xffff, v43
	v_lshrrev_b32_e32 v88, 16, v44
	v_fmac_f32_e32 v55, v96, v98
	s_waitcnt lgkmcnt(0)
	v_and_b32_e32 v60, 0xffff, v58
	v_and_b32_e32 v89, 0xffff, v59
	v_lshrrev_b32_e32 v59, 16, v59
	v_lshrrev_b32_e32 v58, 16, v58
	;;#ASMSTART
	v_cvt_f32_f16 v63, v60;
	;;#ASMEND
	;;#ASMSTART
	v_cvt_f32_f16 v61, v58;
	;;#ASMEND
	;;#ASMSTART
	v_cvt_f32_f16 v64, v64;
	;;#ASMEND
	;;#ASMSTART
	v_cvt_f32_f16 v62, v125;
	;;#ASMEND
	;;#ASMSTART
	v_cvt_f32_f16 v89, v89;
	;;#ASMEND
	;;#ASMSTART
	v_cvt_f32_f16 v59, v59;
	;;#ASMEND
	;;#ASMSTART
	v_cvt_f32_f16 v90, v126;
	;;#ASMEND
	;;#ASMSTART
	v_cvt_f32_f16 v60, v127;
	;;#ASMEND
	ds_read_b64 v[101:102], v73 offset:56
	v_mul_f32_e32 v58, v115, v122
	v_and_b32_e32 v115, 0xffff, v53
	v_lshrrev_b32_e32 v122, 16, v54
	v_lshrrev_b32_e32 v125, 16, v52
	v_fmac_f32_e32 v57, v61, v62
	v_fmac_f32_e32 v58, v83, v85
	;; [unrolled: 1-line block ×6, first 2 shown]
	v_lshrrev_b32_e32 v100, 16, v47
	s_waitcnt lgkmcnt(0)
	v_and_b32_e32 v53, 0xffff, v101
	v_lshrrev_b32_e32 v54, 16, v101
	v_and_b32_e32 v101, 0xffff, v102
	v_lshrrev_b32_e32 v102, 16, v102
	;;#ASMSTART
	v_cvt_f32_f16 v83, v53;
	;;#ASMEND
	;;#ASMSTART
	v_cvt_f32_f16 v53, v54;
	;;#ASMEND
	;; [unrolled: 3-line block ×8, first 2 shown]
	ds_read_b64 v[122:123], v73 offset:64
	v_and_b32_e32 v115, 0xffff, v51
	v_fmac_f32_e32 v58, v91, v93
	v_fmac_f32_e32 v56, v83, v85
	;; [unrolled: 1-line block ×7, first 2 shown]
	s_waitcnt lgkmcnt(0)
	v_and_b32_e32 v51, 0xffff, v122
	v_lshrrev_b32_e32 v52, 16, v122
	v_and_b32_e32 v116, 0xffff, v123
	v_lshrrev_b32_e32 v118, 16, v123
	;;#ASMSTART
	v_cvt_f32_f16 v113, v51;
	;;#ASMEND
	;;#ASMSTART
	v_cvt_f32_f16 v51, v52;
	;;#ASMEND
	;; [unrolled: 3-line block ×8, first 2 shown]
	ds_read_b64 v[121:122], v73 offset:72
	v_and_b32_e32 v123, 0xffff, v49
	v_and_b32_e32 v124, 0xffff, v50
	v_lshrrev_b32_e32 v125, 16, v50
	v_fmac_f32_e32 v56, v113, v115
	v_fmac_f32_e32 v57, v51, v52
	s_waitcnt vmcnt(2)
	v_and_b32_e32 v51, 0xffff, v37
	v_fmac_f32_e32 v58, v114, v116
	v_fmac_f32_e32 v55, v117, v118
	s_waitcnt lgkmcnt(0)
	v_and_b32_e32 v49, 0xffff, v121
	v_lshrrev_b32_e32 v50, 16, v121
	v_and_b32_e32 v110, 0xffff, v122
	v_lshrrev_b32_e32 v120, 16, v122
	;;#ASMSTART
	v_cvt_f32_f16 v109, v49;
	;;#ASMEND
	;;#ASMSTART
	v_cvt_f32_f16 v49, v50;
	;;#ASMEND
	;; [unrolled: 3-line block ×8, first 2 shown]
	ds_read_b64 v[121:122], v73 offset:80
	v_and_b32_e32 v123, 0xffff, v47
	v_and_b32_e32 v124, 0xffff, v48
	v_lshrrev_b32_e32 v125, 16, v48
	v_fmac_f32_e32 v56, v109, v111
	v_fmac_f32_e32 v57, v49, v50
	;; [unrolled: 1-line block ×4, first 2 shown]
	v_lshrrev_b32_e32 v112, 16, v32
	v_and_b32_e32 v32, 0xffff, v32
	s_waitcnt lgkmcnt(0)
	v_and_b32_e32 v47, 0xffff, v121
	v_lshrrev_b32_e32 v48, 16, v121
	v_and_b32_e32 v104, 0xffff, v122
	v_lshrrev_b32_e32 v107, 16, v122
	;;#ASMSTART
	v_cvt_f32_f16 v99, v47;
	;;#ASMEND
	;;#ASMSTART
	v_cvt_f32_f16 v47, v48;
	;;#ASMEND
	;; [unrolled: 3-line block ×8, first 2 shown]
	ds_read_b64 v[121:122], v73 offset:88
	v_lshrrev_b32_e32 v123, 16, v45
	v_and_b32_e32 v124, 0xffff, v46
	v_and_b32_e32 v125, 0xffff, v38
	v_fmac_f32_e32 v56, v99, v103
	v_fmac_f32_e32 v57, v47, v48
	;; [unrolled: 1-line block ×3, first 2 shown]
	v_lshrrev_b32_e32 v107, 16, v30
	v_and_b32_e32 v30, 0xffff, v30
	v_fmac_f32_e32 v58, v100, v104
	s_waitcnt lgkmcnt(0)
	v_and_b32_e32 v45, 0xffff, v121
	v_lshrrev_b32_e32 v46, 16, v121
	v_and_b32_e32 v93, 0xffff, v122
	v_lshrrev_b32_e32 v108, 16, v122
	;;#ASMSTART
	v_cvt_f32_f16 v91, v45;
	;;#ASMEND
	;;#ASMSTART
	v_cvt_f32_f16 v45, v46;
	;;#ASMEND
	;; [unrolled: 3-line block ×8, first 2 shown]
	ds_read_b64 v[121:122], v73 offset:96
	v_lshrrev_b32_e32 v123, 16, v43
	v_and_b32_e32 v124, 0xffff, v44
	v_fmac_f32_e32 v56, v91, v95
	v_fmac_f32_e32 v57, v45, v46
	;; [unrolled: 1-line block ×4, first 2 shown]
	s_waitcnt lgkmcnt(0)
	v_and_b32_e32 v43, 0xffff, v121
	v_lshrrev_b32_e32 v96, 16, v121
	v_and_b32_e32 v98, 0xffff, v122
	v_lshrrev_b32_e32 v121, 16, v122
	;;#ASMSTART
	v_cvt_f32_f16 v44, v43;
	;;#ASMEND
	;;#ASMSTART
	v_cvt_f32_f16 v43, v96;
	;;#ASMEND
	;; [unrolled: 3-line block ×8, first 2 shown]
	ds_read_b64 v[87:88], v73 offset:104
	v_lshrrev_b32_e32 v123, 16, v41
	v_and_b32_e32 v41, 0xffff, v41
	v_lshrrev_b32_e32 v124, 16, v42
	v_and_b32_e32 v42, 0xffff, v42
	v_fmac_f32_e32 v56, v44, v92
	v_fmac_f32_e32 v57, v43, v94
	;; [unrolled: 1-line block ×4, first 2 shown]
	v_lshrrev_b32_e32 v122, 16, v24
	v_and_b32_e32 v24, 0xffff, v24
	s_waitcnt lgkmcnt(0)
	v_and_b32_e32 v61, 0xffff, v87
	v_lshrrev_b32_e32 v62, 16, v87
	v_lshrrev_b32_e32 v89, 16, v88
	v_and_b32_e32 v87, 0xffff, v88
	;;#ASMSTART
	v_cvt_f32_f16 v61, v61;
	;;#ASMEND
	;;#ASMSTART
	v_cvt_f32_f16 v62, v62;
	;;#ASMEND
	;; [unrolled: 3-line block ×8, first 2 shown]
	ds_read_b64 v[41:42], v73 offset:112
	v_lshrrev_b32_e32 v123, 16, v39
	v_and_b32_e32 v39, 0xffff, v39
	v_lshrrev_b32_e32 v124, 16, v40
	v_and_b32_e32 v40, 0xffff, v40
	v_fmac_f32_e32 v56, v61, v63
	v_fmac_f32_e32 v57, v62, v64
	;; [unrolled: 1-line block ×4, first 2 shown]
	s_waitcnt lgkmcnt(0)
	v_and_b32_e32 v59, 0xffff, v41
	v_lshrrev_b32_e32 v60, 16, v41
	v_lshrrev_b32_e32 v83, 16, v42
	v_and_b32_e32 v85, 0xffff, v42
	;;#ASMSTART
	v_cvt_f32_f16 v41, v59;
	;;#ASMEND
	;;#ASMSTART
	v_cvt_f32_f16 v42, v60;
	;;#ASMEND
	;; [unrolled: 3-line block ×8, first 2 shown]
	ds_read_b64 v[39:40], v73 offset:120
	v_lshrrev_b32_e32 v123, 16, v35
	v_and_b32_e32 v35, 0xffff, v35
	v_lshrrev_b32_e32 v124, 16, v36
	v_and_b32_e32 v36, 0xffff, v36
	v_fmac_f32_e32 v56, v41, v53
	v_fmac_f32_e32 v57, v42, v54
	;; [unrolled: 1-line block ×4, first 2 shown]
	s_waitcnt lgkmcnt(0)
	v_and_b32_e32 v84, 0xffff, v39
	v_lshrrev_b32_e32 v86, 16, v39
	v_lshrrev_b32_e32 v102, 16, v40
	v_and_b32_e32 v101, 0xffff, v40
	;;#ASMSTART
	v_cvt_f32_f16 v39, v84;
	;;#ASMEND
	;;#ASMSTART
	v_cvt_f32_f16 v40, v86;
	;;#ASMEND
	;; [unrolled: 3-line block ×8, first 2 shown]
	ds_read_b64 v[35:36], v73 offset:128
	v_lshrrev_b32_e32 v123, 16, v37
	v_lshrrev_b32_e32 v124, 16, v38
	v_fmac_f32_e32 v56, v39, v84
	v_fmac_f32_e32 v57, v40, v86
	;; [unrolled: 1-line block ×4, first 2 shown]
	v_lshrrev_b32_e32 v115, 16, v16
	v_and_b32_e32 v16, 0xffff, v16
	s_waitcnt lgkmcnt(0)
	v_and_b32_e32 v37, 0xffff, v35
	v_lshrrev_b32_e32 v35, 16, v35
	v_lshrrev_b32_e32 v116, 16, v36
	v_and_b32_e32 v36, 0xffff, v36
	;;#ASMSTART
	v_cvt_f32_f16 v37, v37;
	;;#ASMEND
	;;#ASMSTART
	v_cvt_f32_f16 v38, v35;
	;;#ASMEND
	;; [unrolled: 3-line block ×8, first 2 shown]
	ds_read_b64 v[35:36], v73 offset:136
	v_lshrrev_b32_e32 v123, 16, v33
	v_and_b32_e32 v33, 0xffff, v33
	v_lshrrev_b32_e32 v124, 16, v34
	v_and_b32_e32 v34, 0xffff, v34
	v_fmac_f32_e32 v56, v37, v51
	v_fmac_f32_e32 v57, v38, v52
	;; [unrolled: 1-line block ×4, first 2 shown]
	v_lshrrev_b32_e32 v125, 16, v9
	v_and_b32_e32 v9, 0xffff, v9
	s_waitcnt lgkmcnt(0)
	v_and_b32_e32 v49, 0xffff, v35
	v_lshrrev_b32_e32 v50, 16, v35
	v_lshrrev_b32_e32 v111, 16, v36
	v_and_b32_e32 v109, 0xffff, v36
	;;#ASMSTART
	v_cvt_f32_f16 v35, v49;
	;;#ASMEND
	;;#ASMSTART
	v_cvt_f32_f16 v36, v50;
	;;#ASMEND
	;; [unrolled: 3-line block ×8, first 2 shown]
	ds_read_b64 v[33:34], v73 offset:144
	v_lshrrev_b32_e32 v123, 16, v31
	v_and_b32_e32 v31, 0xffff, v31
	v_fmac_f32_e32 v56, v35, v49
	v_fmac_f32_e32 v57, v36, v50
	v_fmac_f32_e32 v55, v109, v119
	v_fmac_f32_e32 v58, v111, v120
	v_lshrrev_b32_e32 v119, 16, v10
	v_and_b32_e32 v10, 0xffff, v10
	s_waitcnt lgkmcnt(0)
	v_and_b32_e32 v99, 0xffff, v33
	v_lshrrev_b32_e32 v103, 16, v33
	v_lshrrev_b32_e32 v110, 16, v34
	v_and_b32_e32 v124, 0xffff, v34
	;;#ASMSTART
	v_cvt_f32_f16 v33, v99;
	;;#ASMEND
	;;#ASMSTART
	v_cvt_f32_f16 v34, v103;
	;;#ASMEND
	;; [unrolled: 3-line block ×8, first 2 shown]
	ds_read_b64 v[31:32], v73 offset:152
	v_lshrrev_b32_e32 v123, 16, v29
	v_and_b32_e32 v29, 0xffff, v29
	v_fmac_f32_e32 v56, v33, v47
	v_fmac_f32_e32 v57, v34, v48
	;; [unrolled: 1-line block ×4, first 2 shown]
	s_waitcnt lgkmcnt(0)
	v_and_b32_e32 v100, 0xffff, v31
	v_lshrrev_b32_e32 v104, 16, v31
	v_lshrrev_b32_e32 v105, 16, v32
	v_and_b32_e32 v124, 0xffff, v32
	;;#ASMSTART
	v_cvt_f32_f16 v31, v100;
	;;#ASMEND
	;;#ASMSTART
	v_cvt_f32_f16 v32, v104;
	;;#ASMEND
	;; [unrolled: 3-line block ×8, first 2 shown]
	ds_read_b64 v[29:30], v73 offset:160
	v_lshrrev_b32_e32 v123, 16, v27
	v_and_b32_e32 v27, 0xffff, v27
	v_lshrrev_b32_e32 v124, 16, v28
	v_and_b32_e32 v28, 0xffff, v28
	v_fmac_f32_e32 v56, v31, v91
	v_fmac_f32_e32 v57, v32, v95
	;; [unrolled: 1-line block ×4, first 2 shown]
	s_waitcnt vmcnt(1)
	v_lshrrev_b32_e32 v31, 16, v7
	v_and_b32_e32 v7, 0xffff, v7
	s_waitcnt lgkmcnt(0)
	v_and_b32_e32 v45, 0xffff, v29
	v_lshrrev_b32_e32 v46, 16, v29
	v_lshrrev_b32_e32 v97, 16, v30
	v_and_b32_e32 v93, 0xffff, v30
	;;#ASMSTART
	v_cvt_f32_f16 v29, v45;
	;;#ASMEND
	;;#ASMSTART
	v_cvt_f32_f16 v30, v46;
	;;#ASMEND
	;; [unrolled: 3-line block ×8, first 2 shown]
	ds_read_b64 v[27:28], v73 offset:168
	v_lshrrev_b32_e32 v123, 16, v25
	v_and_b32_e32 v25, 0xffff, v25
	v_lshrrev_b32_e32 v124, 16, v26
	v_and_b32_e32 v26, 0xffff, v26
	v_fmac_f32_e32 v56, v29, v45
	v_fmac_f32_e32 v57, v30, v46
	;; [unrolled: 1-line block ×4, first 2 shown]
	s_waitcnt lgkmcnt(0)
	v_and_b32_e32 v43, 0xffff, v27
	v_lshrrev_b32_e32 v44, 16, v27
	v_lshrrev_b32_e32 v94, 16, v28
	v_and_b32_e32 v92, 0xffff, v28
	;;#ASMSTART
	v_cvt_f32_f16 v27, v43;
	;;#ASMEND
	;;#ASMSTART
	v_cvt_f32_f16 v28, v44;
	;;#ASMEND
	;; [unrolled: 3-line block ×8, first 2 shown]
	ds_read_b64 v[25:26], v73 offset:176
	v_lshrrev_b32_e32 v123, 16, v23
	v_and_b32_e32 v23, 0xffff, v23
	v_lshrrev_b32_e32 v124, 16, v22
	v_and_b32_e32 v22, 0xffff, v22
	v_fmac_f32_e32 v56, v27, v43
	v_fmac_f32_e32 v57, v28, v44
	;; [unrolled: 1-line block ×4, first 2 shown]
	s_waitcnt lgkmcnt(0)
	v_and_b32_e32 v61, 0xffff, v25
	v_lshrrev_b32_e32 v63, 16, v25
	v_lshrrev_b32_e32 v64, 16, v26
	v_and_b32_e32 v98, 0xffff, v26
	;;#ASMSTART
	v_cvt_f32_f16 v25, v61;
	;;#ASMEND
	;;#ASMSTART
	v_cvt_f32_f16 v26, v63;
	;;#ASMEND
	;; [unrolled: 3-line block ×8, first 2 shown]
	ds_read_b64 v[23:24], v73 offset:184
	v_lshrrev_b32_e32 v123, 16, v21
	v_and_b32_e32 v21, 0xffff, v21
	v_fmac_f32_e32 v56, v25, v61
	v_fmac_f32_e32 v57, v26, v62
	;; [unrolled: 1-line block ×4, first 2 shown]
	s_waitcnt lgkmcnt(0)
	v_and_b32_e32 v87, 0xffff, v23
	v_lshrrev_b32_e32 v88, 16, v23
	v_lshrrev_b32_e32 v89, 16, v24
	v_and_b32_e32 v90, 0xffff, v24
	;;#ASMSTART
	v_cvt_f32_f16 v23, v87;
	;;#ASMEND
	;;#ASMSTART
	v_cvt_f32_f16 v24, v88;
	;;#ASMEND
	;; [unrolled: 3-line block ×8, first 2 shown]
	ds_read_b64 v[21:22], v73 offset:192
	v_lshrrev_b32_e32 v123, 16, v19
	v_and_b32_e32 v19, 0xffff, v19
	v_lshrrev_b32_e32 v124, 16, v20
	v_and_b32_e32 v20, 0xffff, v20
	v_fmac_f32_e32 v56, v23, v41
	v_fmac_f32_e32 v57, v24, v53
	;; [unrolled: 1-line block ×4, first 2 shown]
	v_lshrrev_b32_e32 v23, 16, v8
	v_and_b32_e32 v8, 0xffff, v8
	s_waitcnt vmcnt(0)
	v_lshrrev_b32_e32 v24, 16, v3
	s_waitcnt lgkmcnt(0)
	v_and_b32_e32 v42, 0xffff, v21
	v_lshrrev_b32_e32 v54, 16, v21
	v_lshrrev_b32_e32 v60, 16, v22
	v_and_b32_e32 v59, 0xffff, v22
	;;#ASMSTART
	v_cvt_f32_f16 v21, v42;
	;;#ASMEND
	;;#ASMSTART
	v_cvt_f32_f16 v22, v54;
	;;#ASMEND
	;; [unrolled: 3-line block ×8, first 2 shown]
	ds_read_b64 v[19:20], v73 offset:200
	v_lshrrev_b32_e32 v123, 16, v17
	v_and_b32_e32 v17, 0xffff, v17
	v_lshrrev_b32_e32 v124, 16, v18
	v_and_b32_e32 v18, 0xffff, v18
	v_fmac_f32_e32 v56, v21, v42
	v_fmac_f32_e32 v57, v22, v54
	;; [unrolled: 1-line block ×4, first 2 shown]
	s_waitcnt lgkmcnt(0)
	v_and_b32_e32 v39, 0xffff, v19
	v_lshrrev_b32_e32 v40, 16, v19
	v_lshrrev_b32_e32 v86, 16, v20
	v_and_b32_e32 v84, 0xffff, v20
	;;#ASMSTART
	v_cvt_f32_f16 v19, v39;
	;;#ASMEND
	;;#ASMSTART
	v_cvt_f32_f16 v20, v40;
	;;#ASMEND
	;; [unrolled: 3-line block ×8, first 2 shown]
	ds_read_b64 v[17:18], v73 offset:208
	v_lshrrev_b32_e32 v123, 16, v15
	v_and_b32_e32 v15, 0xffff, v15
	v_lshrrev_b32_e32 v124, 16, v14
	v_and_b32_e32 v14, 0xffff, v14
	v_fmac_f32_e32 v56, v19, v39
	v_fmac_f32_e32 v57, v20, v40
	;; [unrolled: 1-line block ×4, first 2 shown]
	s_waitcnt lgkmcnt(0)
	v_and_b32_e32 v37, 0xffff, v17
	v_lshrrev_b32_e32 v51, 16, v17
	v_lshrrev_b32_e32 v52, 16, v18
	v_and_b32_e32 v102, 0xffff, v18
	;;#ASMSTART
	v_cvt_f32_f16 v17, v37;
	;;#ASMEND
	;;#ASMSTART
	v_cvt_f32_f16 v18, v51;
	;;#ASMEND
	;; [unrolled: 3-line block ×8, first 2 shown]
	ds_read_b64 v[15:16], v73 offset:216
	v_lshrrev_b32_e32 v123, 16, v13
	v_and_b32_e32 v13, 0xffff, v13
	v_fmac_f32_e32 v56, v17, v37
	v_fmac_f32_e32 v57, v18, v38
	;; [unrolled: 1-line block ×4, first 2 shown]
	s_waitcnt lgkmcnt(0)
	v_and_b32_e32 v114, 0xffff, v15
	v_lshrrev_b32_e32 v116, 16, v15
	v_lshrrev_b32_e32 v117, 16, v16
	v_and_b32_e32 v118, 0xffff, v16
	;;#ASMSTART
	v_cvt_f32_f16 v15, v114;
	;;#ASMEND
	;;#ASMSTART
	v_cvt_f32_f16 v16, v116;
	;;#ASMEND
	;; [unrolled: 3-line block ×8, first 2 shown]
	ds_read_b64 v[13:14], v73 offset:224
	v_lshrrev_b32_e32 v123, 16, v11
	v_and_b32_e32 v11, 0xffff, v11
	v_lshrrev_b32_e32 v124, 16, v12
	v_and_b32_e32 v12, 0xffff, v12
	v_fmac_f32_e32 v56, v15, v35
	v_fmac_f32_e32 v57, v16, v49
	;; [unrolled: 1-line block ×4, first 2 shown]
	v_and_b32_e32 v15, 0xffff, v3
	s_waitcnt lgkmcnt(0)
	v_and_b32_e32 v36, 0xffff, v13
	v_lshrrev_b32_e32 v50, 16, v13
	v_lshrrev_b32_e32 v109, 16, v14
	v_and_b32_e32 v47, 0xffff, v14
	;;#ASMSTART
	v_cvt_f32_f16 v13, v36;
	;;#ASMEND
	;;#ASMSTART
	v_cvt_f32_f16 v14, v50;
	;;#ASMEND
	;; [unrolled: 3-line block ×8, first 2 shown]
	ds_read_b64 v[11:12], v73 offset:232
	v_fmac_f32_e32 v56, v13, v33
	v_fmac_f32_e32 v57, v14, v36
	v_fmac_f32_e32 v55, v47, v109
	v_fmac_f32_e32 v58, v50, v111
	v_lshrrev_b32_e32 v13, 16, v4
	s_waitcnt lgkmcnt(0)
	v_and_b32_e32 v25, 0xffff, v11
	v_lshrrev_b32_e32 v27, 16, v11
	v_lshrrev_b32_e32 v28, 16, v12
	v_and_b32_e32 v29, 0xffff, v12
	;;#ASMSTART
	v_cvt_f32_f16 v11, v25;
	;;#ASMEND
	;;#ASMSTART
	v_cvt_f32_f16 v12, v27;
	;;#ASMEND
	;; [unrolled: 3-line block ×8, first 2 shown]
	ds_read_b64 v[9:10], v73 offset:240
	v_fmac_f32_e32 v56, v11, v25
	v_fmac_f32_e32 v57, v12, v26
	;; [unrolled: 1-line block ×3, first 2 shown]
	v_and_b32_e32 v11, 0xffff, v4
	v_fmac_f32_e32 v58, v28, v30
	s_waitcnt lgkmcnt(0)
	v_and_b32_e32 v17, 0xffff, v9
	v_lshrrev_b32_e32 v18, 16, v9
	v_lshrrev_b32_e32 v20, 16, v10
	v_and_b32_e32 v19, 0xffff, v10
	;;#ASMSTART
	v_cvt_f32_f16 v9, v17;
	;;#ASMEND
	;;#ASMSTART
	v_cvt_f32_f16 v10, v18;
	;;#ASMEND
	;; [unrolled: 3-line block ×8, first 2 shown]
	ds_read_b64 v[7:8], v73 offset:248
	v_fmac_f32_e32 v56, v9, v17
	v_fmac_f32_e32 v57, v10, v18
	;; [unrolled: 1-line block ×4, first 2 shown]
	s_waitcnt lgkmcnt(0)
	v_and_b32_e32 v3, 0xffff, v7
	v_lshrrev_b32_e32 v4, 16, v7
	v_lshrrev_b32_e32 v9, 16, v8
	v_and_b32_e32 v10, 0xffff, v8
	;;#ASMSTART
	v_cvt_f32_f16 v3, v3;
	;;#ASMEND
	;;#ASMSTART
	v_cvt_f32_f16 v4, v4;
	;;#ASMEND
	;; [unrolled: 3-line block ×4, first 2 shown]
	v_fmac_f32_e32 v56, v3, v7
	v_fmac_f32_e32 v57, v4, v8
	;;#ASMSTART
	v_cvt_f32_f16 v3, v10;
	;;#ASMEND
	;;#ASMSTART
	v_cvt_f32_f16 v4, v9;
	;;#ASMEND
	;; [unrolled: 3-line block ×3, first 2 shown]
	v_fmac_f32_e32 v55, v3, v7
	v_add_f32_e32 v3, v56, v57
	;;#ASMSTART
	v_cvt_f32_f16 v7, v13;
	;;#ASMEND
	v_fmac_f32_e32 v58, v4, v7
	v_cndmask_b32_e64 v4, v70, v76, s3
	v_add_f32_e32 v3, v3, v55
	v_lshlrev_b32_e32 v4, 2, v4
	v_add_f32_e32 v3, v58, v3
	ds_bpermute_b32 v4, v4, v3
	s_and_saveexec_b32 s45, vcc_lo
	s_cbranch_execz .LBB98_11
; %bb.19:                               ;   in Loop: Header=BB98_13 Depth=1
	v_add_nc_u32_e32 v7, v77, v74
	s_waitcnt lgkmcnt(0)
	v_add_f32_e32 v3, v3, v4
	v_cvt_f32_i32_e32 v7, v7
	v_mul_f32_e32 v7, s40, v7
	v_cndmask_b32_e64 v4, 0, v7, s2
	v_max_f32_e32 v7, v71, v71
	v_fmac_f32_e32 v4, s37, v3
	v_add_nc_u32_e32 v3, v72, v74
	v_max_f32_e32 v7, v7, v4
	v_cmp_gt_i32_e64 s3, s27, v3
	v_cndmask_b32_e64 v3, 0, v4, s3
	v_cndmask_b32_e64 v71, v71, v7, s3
	ds_write_b32 v78, v3
	s_branch .LBB98_11
.LBB98_20:
	s_or_b32 exec_lo, exec_lo, s43
.LBB98_21:
	s_or_b32 exec_lo, exec_lo, s42
	v_xor_b32_e32 v1, 16, v70
	v_xor_b32_e32 v2, 8, v70
	s_waitcnt lgkmcnt(0)
	v_max_f32_e32 v4, v71, v71
	v_and_b32_e32 v12, 31, v0
	v_lshlrev_b32_e32 v9, 2, v67
	v_cmp_gt_i32_e32 vcc_lo, 32, v1
	v_cndmask_b32_e32 v1, v70, v1, vcc_lo
	v_cmp_gt_i32_e32 vcc_lo, 32, v2
	v_lshlrev_b32_e32 v3, 2, v1
	v_cndmask_b32_e32 v2, v70, v2, vcc_lo
	ds_bpermute_b32 v1, v3, v71
	v_lshlrev_b32_e32 v7, 2, v2
	s_waitcnt lgkmcnt(0)
	v_max_f32_e32 v1, v1, v1
	v_max_f32_e32 v1, v4, v1
	v_xor_b32_e32 v4, 4, v70
	ds_bpermute_b32 v2, v7, v1
	v_cmp_gt_i32_e32 vcc_lo, 32, v4
	v_cndmask_b32_e32 v4, v70, v4, vcc_lo
	v_lshlrev_b32_e32 v8, 2, v4
	v_xor_b32_e32 v4, 2, v70
	v_cmp_gt_i32_e32 vcc_lo, 32, v4
	s_waitcnt lgkmcnt(0)
	v_max_f32_e32 v2, v2, v2
	v_cndmask_b32_e32 v4, v70, v4, vcc_lo
	v_cmp_eq_u32_e32 vcc_lo, 0, v12
	v_max_f32_e32 v1, v1, v2
	ds_bpermute_b32 v2, v8, v1
	s_waitcnt lgkmcnt(0)
	v_max_f32_e32 v2, v2, v2
	v_max_f32_e32 v1, v1, v2
	v_lshlrev_b32_e32 v2, 2, v4
	ds_bpermute_b32 v4, v2, v1
	s_and_saveexec_b32 s2, vcc_lo
	s_cbranch_execz .LBB98_23
; %bb.22:
	s_waitcnt lgkmcnt(0)
	v_max_f32_e32 v4, v4, v4
	v_max_f32_e32 v1, v1, v1
	;; [unrolled: 1-line block ×3, first 2 shown]
	ds_write_b32 v9, v1 offset:512
.LBB98_23:
	s_or_b32 exec_lo, exec_lo, s2
	v_cmp_gt_u32_e64 s2, 4, v12
	v_mov_b32_e32 v1, 0xff7fffff
	v_lshlrev_b32_e32 v10, 2, v12
	s_waitcnt lgkmcnt(0)
	s_barrier
	buffer_gl0_inv
	s_and_saveexec_b32 s3, s2
; %bb.24:
	ds_read_b32 v1, v10 offset:512
; %bb.25:
	s_or_b32 exec_lo, exec_lo, s3
	s_waitcnt lgkmcnt(0)
	ds_bpermute_b32 v4, v2, v1
	v_xor_b32_e32 v11, 1, v70
	v_max_f32_e32 v1, v1, v1
	v_cmp_gt_i32_e64 s3, 32, v11
	v_cndmask_b32_e64 v11, v70, v11, s3
	s_sub_i32 s3, s16, s41
	s_lshl_b32 s3, s3, 4
	v_lshlrev_b32_e32 v13, 2, v11
	v_mov_b32_e32 v11, 0
	s_add_i32 s3, s3, s38
	s_min_i32 s3, s3, s27
	s_waitcnt lgkmcnt(0)
	v_max_f32_e32 v4, v4, v4
	s_sub_i32 s5, s3, s38
	v_cmp_gt_i32_e64 s3, s5, v0
	v_max_f32_e32 v1, v1, v4
	ds_bpermute_b32 v4, v13, v1
	s_waitcnt lgkmcnt(0)
	v_max_f32_e32 v4, v4, v4
	v_max_f32_e32 v1, v1, v4
	v_lshl_add_u32 v4, v0, 2, 0x220
	ds_bpermute_b32 v1, v11, v1
	s_and_saveexec_b32 s15, s3
	s_cbranch_execz .LBB98_29
; %bb.26:
	v_lshl_add_u32 v14, v0, 2, 0x220
	v_mov_b32_e32 v11, 0
	v_mov_b32_e32 v15, v0
	s_mov_b32 s37, 0
	.p2align	6
.LBB98_27:                              ; =>This Inner Loop Header: Depth=1
	ds_read_b32 v16, v14
	v_add_nc_u32_e32 v15, 0x80, v15
	v_cmp_le_i32_e64 s4, s5, v15
	s_or_b32 s37, s4, s37
	s_waitcnt lgkmcnt(0)
	v_sub_f32_e32 v16, v16, v1
	v_mul_f32_e32 v16, 0x3fb8aa3b, v16
	v_exp_f32_e32 v16, v16
	ds_write_b32 v14, v16
	v_add_f32_e32 v11, v11, v16
	v_add_nc_u32_e32 v14, 0x200, v14
	s_andn2_b32 exec_lo, exec_lo, s37
	s_cbranch_execnz .LBB98_27
; %bb.28:
	s_or_b32 exec_lo, exec_lo, s37
.LBB98_29:
	s_or_b32 exec_lo, exec_lo, s15
	ds_bpermute_b32 v3, v3, v11
	s_waitcnt lgkmcnt(0)
	v_add_f32_e32 v3, v11, v3
	ds_bpermute_b32 v7, v7, v3
	s_waitcnt lgkmcnt(0)
	v_add_f32_e32 v3, v3, v7
	;; [unrolled: 3-line block ×5, first 2 shown]
	s_and_saveexec_b32 s4, vcc_lo
; %bb.30:
	ds_write_b32 v9, v3 offset:528
; %bb.31:
	s_or_b32 exec_lo, exec_lo, s4
	s_waitcnt lgkmcnt(0)
	s_barrier
	buffer_gl0_inv
	s_and_saveexec_b32 s4, s2
; %bb.32:
	ds_read_b32 v3, v10 offset:528
; %bb.33:
	s_or_b32 exec_lo, exec_lo, s4
	s_waitcnt lgkmcnt(0)
	ds_bpermute_b32 v2, v2, v3
	s_waitcnt lgkmcnt(0)
	v_add_f32_e32 v2, v3, v2
	ds_bpermute_b32 v3, v13, v2
	s_waitcnt lgkmcnt(0)
	v_add_f32_e32 v2, v2, v3
	v_mov_b32_e32 v3, 0
	ds_bpermute_b32 v2, v3, v2
	s_and_saveexec_b32 s2, s3
	s_cbranch_execz .LBB98_36
; %bb.34:
	s_waitcnt lgkmcnt(0)
	v_add_f32_e32 v3, 0x358637bd, v2
	s_mov_b32 s3, 0
	v_div_scale_f32 v7, null, v3, v3, 1.0
	v_div_scale_f32 v10, vcc_lo, 1.0, v3, 1.0
	v_rcp_f32_e32 v8, v7
	v_fma_f32 v9, -v7, v8, 1.0
	v_fmac_f32_e32 v8, v9, v8
	v_mul_f32_e32 v9, v10, v8
	v_fma_f32 v11, -v7, v9, v10
	v_fmac_f32_e32 v9, v11, v8
	v_fma_f32 v7, -v7, v9, v10
	v_div_fmas_f32 v7, v7, v8, v9
	v_div_fixup_f32 v3, v7, v3, 1.0
	v_mov_b32_e32 v7, v0
.LBB98_35:                              ; =>This Inner Loop Header: Depth=1
	ds_read_b32 v8, v4
	v_add_nc_u32_e32 v7, 0x80, v7
	v_cmp_le_i32_e32 vcc_lo, s5, v7
	s_or_b32 s3, vcc_lo, s3
	s_waitcnt lgkmcnt(0)
	v_mul_f32_e32 v8, v3, v8
	ds_write_b32 v4, v8
	v_add_nc_u32_e32 v4, 0x200, v4
	s_andn2_b32 exec_lo, exec_lo, s3
	s_cbranch_execnz .LBB98_35
.LBB98_36:
	s_or_b32 exec_lo, exec_lo, s2
	s_mul_i32 s2, s7, s26
	s_waitcnt lgkmcnt(0)
	s_mul_i32 s4, s2, s9
	s_mov_b32 s2, exec_lo
	s_barrier
	buffer_gl0_inv
	v_cmpx_eq_u32_e32 0, v0
	s_cbranch_execz .LBB98_38
; %bb.37:
	s_ashr_i32 s5, s4, 31
	s_mul_i32 s42, s7, s6
	s_lshl_b64 s[40:41], s[4:5], 2
	v_mov_b32_e32 v3, 0
	s_add_u32 s3, s22, s40
	s_addc_u32 s5, s23, s41
	s_ashr_i32 s43, s42, 31
	s_lshl_b64 s[22:23], s[42:43], 2
	s_add_u32 s3, s3, s22
	s_addc_u32 s5, s5, s23
	s_ashr_i32 s9, s8, 31
	s_lshl_b64 s[42:43], s[8:9], 2
	s_add_u32 s44, s3, s42
	s_addc_u32 s45, s5, s43
	s_add_u32 s3, s20, s40
	s_addc_u32 s5, s21, s41
	;; [unrolled: 2-line block ×4, first 2 shown]
	global_store_dword v3, v1, s[44:45]
	global_store_dword v3, v2, s[20:21]
.LBB98_38:
	s_or_b32 exec_lo, exec_lo, s2
	v_mov_b32_e32 v29, 0
	v_mov_b32_e32 v28, 0
	;; [unrolled: 1-line block ×16, first 2 shown]
	s_and_saveexec_b32 s3, s1
	s_cbranch_execz .LBB98_76
; %bb.39:
	s_ashr_i32 s15, s14, 31
	s_sub_i32 s5, s39, s17
	s_lshl_b64 s[14:15], s[14:15], 1
	v_lshlrev_b32_e32 v3, 4, v0
	s_add_u32 s1, s34, s14
	s_addc_u32 s2, s35, s15
	s_abs_i32 s6, s18
	s_lshl_b64 s[14:15], s[30:31], 2
	v_cvt_f32_u32_e32 v1, s6
	s_sub_i32 s9, 0, s6
	v_and_b32_e32 v3, 0x1f0, v3
	s_add_i32 s36, s36, -1
	v_and_b32_e32 v30, 8, v69
	v_rcp_iflag_f32_e32 v4, v1
	v_lshlrev_b64 v[1:2], 2, v[5:6]
	v_lshlrev_b32_e32 v6, 5, v66
	v_add_co_u32 v32, s1, s1, v3
	v_mov_b32_e32 v31, 0
	v_mov_b32_e32 v14, 0
	v_lshl_or_b32 v6, v67, 6, v6
	v_mov_b32_e32 v15, 0
	v_mov_b32_e32 v16, 0
	v_mul_f32_e32 v4, 0x4f7ffffe, v4
	v_mov_b32_e32 v17, 0
	v_add_nc_u32_e32 v34, 0x220, v6
	v_mov_b32_e32 v18, 0
	v_mov_b32_e32 v19, 0
	v_cvt_u32_f32_e32 v4, v4
	v_mov_b32_e32 v20, 0
	v_mov_b32_e32 v21, 0
	;; [unrolled: 1-line block ×4, first 2 shown]
	v_mul_lo_u32 v7, s9, v4
	s_add_u32 s9, s28, s14
	s_addc_u32 s14, s29, s15
	v_add_co_u32 v6, vcc_lo, s9, v1
	v_mov_b32_e32 v24, 0
	v_mov_b32_e32 v25, 0
	;; [unrolled: 1-line block ×3, first 2 shown]
	v_mul_hi_u32 v8, v4, v7
	v_mov_b32_e32 v27, 0
	v_mov_b32_e32 v28, 0
	v_add_co_ci_u32_e64 v33, null, s2, 0, s1
	v_add_co_ci_u32_e64 v7, null, s14, v2, vcc_lo
	v_mov_b32_e32 v29, 0
	v_add_nc_u32_e32 v35, v4, v8
	s_mov_b32 s9, 0
	s_branch .LBB98_42
.LBB98_40:                              ;   in Loop: Header=BB98_42 Depth=1
	s_or_b32 exec_lo, exec_lo, s2
	v_add_f32_e32 v10, v10, v11
	v_add_f32_e32 v11, v70, v71
	;; [unrolled: 1-line block ×3, first 2 shown]
	v_lshlrev_b32_e32 v9, 16, v9
	v_lshlrev_b32_e32 v8, 16, v8
	v_add_f32_e32 v37, v76, v77
	v_add_f32_e32 v20, v20, v11
	v_lshlrev_b32_e32 v11, 16, v78
	v_add_f32_e32 v43, v74, v75
	v_add_f32_e32 v15, v15, v36
	v_add_f32_e32 v18, v18, v10
	v_add_f32_e32 v10, v72, v73
	v_and_or_b32 v1, 0xffff, v1, v11
	v_add_f32_e32 v36, v64, v69
	v_and_or_b32 v2, 0xffff, v2, v9
	v_and_or_b32 v3, 0xffff, v3, v8
	;;#ASMSTART
	v_pk_mul_f16 v1, v39, v1;

	;;#ASMEND
	;;#ASMSTART
	v_pk_mul_f16 v2, v38, v2;

	;;#ASMEND
	;;#ASMSTART
	v_pk_mul_f16 v3, v42, v3;

	;;#ASMEND
	;;#ASMSTART
	v_pk_mul_f16 v4, v44, v4;

	;;#ASMEND
	;;#ASMSTART
	v_pk_add_f16 v1, v1, v2;

	;;#ASMEND
	;;#ASMSTART
	v_pk_add_f16 v1, v1, v3;

	;;#ASMEND
	;; [unrolled: 4-line block ×3, first 2 shown]
	v_and_b32_e32 v4, 0xffff, v1
	v_lshrrev_b32_e32 v9, 16, v1
	;;#ASMSTART
	v_cvt_f32_f16 v4, v4;
	;;#ASMEND
	v_add_f32_e32 v16, v16, v37
	v_add_f32_e32 v17, v17, v43
	;; [unrolled: 1-line block ×12, first 2 shown]
	;;#ASMSTART
	v_cvt_f32_f16 v9, v9;
	;;#ASMEND
	v_add_f32_e32 v4, v4, v9
	v_add_f32_e32 v22, v22, v37
	;; [unrolled: 1-line block ×10, first 2 shown]
.LBB98_41:                              ;   in Loop: Header=BB98_42 Depth=1
	s_or_b32 exec_lo, exec_lo, s14
	v_add_nc_u32_e32 v5, 4, v5
	v_add_co_u32 v6, s1, v6, 16
	v_add_co_ci_u32_e64 v7, null, 0, v7, s1
	v_cmp_le_i32_e32 vcc_lo, s16, v5
	v_add_nc_u32_e32 v68, 64, v68
	v_add_nc_u32_e32 v34, 0x100, v34
	s_or_b32 s9, vcc_lo, s9
	s_andn2_b32 exec_lo, exec_lo, s9
	s_cbranch_execz .LBB98_75
.LBB98_42:                              ; =>This Inner Loop Header: Depth=1
	v_sub_nc_u32_e32 v1, 0, v68
	v_max_i32_e32 v1, v68, v1
	v_mul_hi_u32 v2, v1, s12
	v_mul_lo_u32 v3, v2, s11
	v_sub_nc_u32_e32 v1, v1, v3
	v_add_nc_u32_e32 v3, 1, v2
	v_subrev_nc_u32_e32 v4, s11, v1
	v_cmp_le_u32_e32 vcc_lo, s11, v1
	v_cndmask_b32_e32 v2, v2, v3, vcc_lo
	v_cndmask_b32_e32 v1, v1, v4, vcc_lo
	v_ashrrev_i32_e32 v3, 31, v68
	v_add_nc_u32_e32 v4, 1, v2
	v_cmp_le_u32_e32 vcc_lo, s11, v1
	v_xor_b32_e32 v3, s19, v3
	v_cndmask_b32_e32 v1, v2, v4, vcc_lo
	v_xor_b32_e32 v1, v1, v3
	v_sub_nc_u32_e32 v1, v1, v3
	v_add_nc_u32_e32 v2, s33, v1
	v_cmp_lt_i32_e64 s1, s5, v1
	v_sub_nc_u32_e32 v3, 0, v2
	v_max_i32_e32 v3, v2, v3
	v_ashrrev_i32_e32 v2, 31, v2
	v_mul_hi_u32 v4, v3, v35
	v_mul_lo_u32 v4, v4, s6
	v_sub_nc_u32_e32 v3, v3, v4
	v_subrev_nc_u32_e32 v4, s6, v3
	v_cmp_le_u32_e32 vcc_lo, s6, v3
	v_cndmask_b32_e32 v3, v3, v4, vcc_lo
	v_subrev_nc_u32_e32 v4, s6, v3
	v_cmp_le_u32_e32 vcc_lo, s6, v3
	v_cndmask_b32_e32 v3, v3, v4, vcc_lo
	v_xor_b32_e32 v3, v3, v2
	v_sub_nc_u32_e32 v2, v3, v2
	v_cmp_eq_u32_e32 vcc_lo, 0, v2
	s_or_b32 s1, vcc_lo, s1
	s_and_saveexec_b32 s14, s1
	s_cbranch_execz .LBB98_41
; %bb.43:                               ;   in Loop: Header=BB98_42 Depth=1
	global_load_dword v8, v[6:7], off
	ds_read2_b64 v[1:4], v34 offset1:1
	ds_read2_b64 v[44:47], v34 offset0:2 offset1:3
	v_cmp_eq_u32_e64 s1, s36, v5
	s_waitcnt lgkmcnt(1)
	;;#ASMSTART
	v_cvt_f16_f32 v39, v1;

	;;#ASMEND
	;;#ASMSTART
	v_cvt_f16_f32 v38, v2;

	;;#ASMEND
	;; [unrolled: 4-line block ×4, first 2 shown]
	s_waitcnt lgkmcnt(0)
	;;#ASMSTART
	v_cvt_f16_f32 v44, v44;

	;;#ASMEND
	;;#ASMSTART
	v_cvt_f16_f32 v11, v45;

	;;#ASMEND
	;; [unrolled: 4-line block ×4, first 2 shown]
	v_add_nc_u32_e32 v47, v30, v68
	v_add_nc_u32_e32 v49, 1, v47
	;; [unrolled: 1-line block ×8, first 2 shown]
	s_waitcnt vmcnt(0)
	v_mad_i64_i32 v[8:9], null, v8, s13, 0
	v_lshlrev_b64 v[8:9], 1, v[8:9]
	v_add_co_u32 v8, vcc_lo, v32, v8
	v_add_co_ci_u32_e64 v9, null, v33, v9, vcc_lo
	global_load_dwordx4 v[1:4], v[8:9], off
	s_waitcnt vmcnt(0)
	v_lshrrev_b32_e32 v52, 16, v1
	v_lshrrev_b32_e32 v51, 16, v2
	;; [unrolled: 1-line block ×3, first 2 shown]
	s_and_saveexec_b32 s15, s1
	s_cbranch_execz .LBB98_45
; %bb.44:                               ;   in Loop: Header=BB98_42 Depth=1
	v_cmp_gt_i32_e32 vcc_lo, s27, v47
	v_and_b32_e32 v53, 0xffff0000, v4
	v_cmp_gt_i32_e64 s2, s27, v46
	v_cndmask_b32_e32 v1, 0, v1, vcc_lo
	v_cmp_gt_i32_e32 vcc_lo, s27, v49
	v_cndmask_b32_e64 v2, 0, v2, s2
	v_cmp_gt_i32_e64 s2, s27, v45
	v_cndmask_b32_e32 v52, 0, v52, vcc_lo
	v_cmp_gt_i32_e32 vcc_lo, s27, v48
	v_cndmask_b32_e64 v51, 0, v51, s2
	v_cndmask_b32_sdwa v4, v31, v4, vcc_lo dst_sel:DWORD dst_unused:UNUSED_PAD src0_sel:DWORD src1_sel:WORD_0
	v_cmp_gt_i32_e32 vcc_lo, s27, v43
	v_cndmask_b32_e32 v53, 0, v53, vcc_lo
	v_cmp_gt_i32_e32 vcc_lo, s27, v37
	v_or_b32_e32 v4, v4, v53
	v_cndmask_b32_e32 v3, 0, v3, vcc_lo
	v_cmp_gt_i32_e32 vcc_lo, s27, v36
	v_cndmask_b32_e32 v50, 0, v50, vcc_lo
.LBB98_45:                              ;   in Loop: Header=BB98_42 Depth=1
	s_or_b32 exec_lo, exec_lo, s15
	v_and_b32_e32 v39, 0xffff, v39
	v_and_b32_e32 v42, 0xffff, v42
	v_lshlrev_b32_e32 v52, 16, v52
	v_lshlrev_b32_e32 v50, 16, v50
	v_and_b32_e32 v44, 0xffff, v44
	v_lshl_or_b32 v39, v38, 16, v39
	v_lshl_or_b32 v38, v40, 16, v42
	v_lshlrev_b32_e32 v40, 16, v51
	v_and_b32_e32 v41, 0xffff, v41
	v_and_or_b32 v1, 0xffff, v1, v52
	v_and_or_b32 v3, 0xffff, v3, v50
	;;#ASMSTART
	v_pk_mul_f16 v1, v39, v1;

	;;#ASMEND
	v_and_or_b32 v2, 0xffff, v2, v40
	v_lshl_or_b32 v42, v11, 16, v44
	v_lshl_or_b32 v44, v10, 16, v41
	;;#ASMSTART
	v_pk_mul_f16 v2, v38, v2;

	;;#ASMEND
	;;#ASMSTART
	v_pk_mul_f16 v3, v42, v3;

	;;#ASMEND
	;; [unrolled: 4-line block ×3, first 2 shown]
	;;#ASMSTART
	v_pk_add_f16 v1, v1, v2;

	;;#ASMEND
	;;#ASMSTART
	v_pk_add_f16 v1, v1, v3;

	;;#ASMEND
	;; [unrolled: 4-line block ×3, first 2 shown]
	v_and_b32_e32 v2, 0xffff, v1
	v_lshrrev_b32_e32 v1, 16, v1
	;;#ASMSTART
	v_cvt_f32_f16 v40, v2;
	;;#ASMEND
	;;#ASMSTART
	v_cvt_f32_f16 v41, v1;
	;;#ASMEND
	global_load_dwordx4 v[1:4], v[8:9], off offset:512
	s_waitcnt vmcnt(0)
	v_lshrrev_b32_e32 v50, 16, v1
	v_lshrrev_b32_e32 v11, 16, v2
	;; [unrolled: 1-line block ×3, first 2 shown]
	s_and_saveexec_b32 s15, s1
	s_cbranch_execz .LBB98_47
; %bb.46:                               ;   in Loop: Header=BB98_42 Depth=1
	v_cmp_gt_i32_e32 vcc_lo, s27, v47
	v_and_b32_e32 v51, 0xffff0000, v4
	v_cmp_gt_i32_e64 s2, s27, v46
	v_cndmask_b32_e32 v1, 0, v1, vcc_lo
	v_cmp_gt_i32_e32 vcc_lo, s27, v49
	v_cndmask_b32_e64 v2, 0, v2, s2
	v_cmp_gt_i32_e64 s2, s27, v45
	v_cndmask_b32_e32 v50, 0, v50, vcc_lo
	v_cmp_gt_i32_e32 vcc_lo, s27, v48
	v_cndmask_b32_e64 v11, 0, v11, s2
	v_cndmask_b32_sdwa v4, v31, v4, vcc_lo dst_sel:DWORD dst_unused:UNUSED_PAD src0_sel:DWORD src1_sel:WORD_0
	v_cmp_gt_i32_e32 vcc_lo, s27, v43
	v_cndmask_b32_e32 v51, 0, v51, vcc_lo
	v_cmp_gt_i32_e32 vcc_lo, s27, v37
	v_or_b32_e32 v4, v4, v51
	v_cndmask_b32_e32 v3, 0, v3, vcc_lo
	v_cmp_gt_i32_e32 vcc_lo, s27, v36
	v_cndmask_b32_e32 v10, 0, v10, vcc_lo
.LBB98_47:                              ;   in Loop: Header=BB98_42 Depth=1
	s_or_b32 exec_lo, exec_lo, s15
	v_lshlrev_b32_e32 v50, 16, v50
	v_lshlrev_b32_e32 v11, 16, v11
	;; [unrolled: 1-line block ×3, first 2 shown]
	v_and_or_b32 v1, 0xffff, v1, v50
	v_and_or_b32 v2, 0xffff, v2, v11
	v_and_or_b32 v3, 0xffff, v3, v10
	;;#ASMSTART
	v_pk_mul_f16 v1, v39, v1;

	;;#ASMEND
	;;#ASMSTART
	v_pk_mul_f16 v2, v38, v2;

	;;#ASMEND
	;; [unrolled: 4-line block ×4, first 2 shown]
	;;#ASMSTART
	v_pk_add_f16 v1, v1, v2;

	;;#ASMEND
	;;#ASMSTART
	v_pk_add_f16 v1, v1, v3;

	;;#ASMEND
	;; [unrolled: 4-line block ×3, first 2 shown]
	v_and_b32_e32 v2, 0xffff, v1
	v_lshrrev_b32_e32 v1, 16, v1
	;;#ASMSTART
	v_cvt_f32_f16 v50, v2;
	;;#ASMEND
	;;#ASMSTART
	v_cvt_f32_f16 v51, v1;
	;;#ASMEND
	global_load_dwordx4 v[1:4], v[8:9], off offset:1024
	s_waitcnt vmcnt(0)
	v_lshrrev_b32_e32 v52, 16, v1
	v_lshrrev_b32_e32 v11, 16, v2
	;; [unrolled: 1-line block ×3, first 2 shown]
	s_and_saveexec_b32 s15, s1
	s_cbranch_execz .LBB98_49
; %bb.48:                               ;   in Loop: Header=BB98_42 Depth=1
	v_cmp_gt_i32_e32 vcc_lo, s27, v47
	v_and_b32_e32 v53, 0xffff0000, v4
	v_cmp_gt_i32_e64 s2, s27, v46
	v_cndmask_b32_e32 v1, 0, v1, vcc_lo
	v_cmp_gt_i32_e32 vcc_lo, s27, v49
	v_cndmask_b32_e64 v2, 0, v2, s2
	v_cmp_gt_i32_e64 s2, s27, v45
	v_cndmask_b32_e32 v52, 0, v52, vcc_lo
	v_cmp_gt_i32_e32 vcc_lo, s27, v48
	v_cndmask_b32_e64 v11, 0, v11, s2
	v_cndmask_b32_sdwa v4, v31, v4, vcc_lo dst_sel:DWORD dst_unused:UNUSED_PAD src0_sel:DWORD src1_sel:WORD_0
	v_cmp_gt_i32_e32 vcc_lo, s27, v43
	v_cndmask_b32_e32 v53, 0, v53, vcc_lo
	v_cmp_gt_i32_e32 vcc_lo, s27, v37
	v_or_b32_e32 v4, v4, v53
	v_cndmask_b32_e32 v3, 0, v3, vcc_lo
	v_cmp_gt_i32_e32 vcc_lo, s27, v36
	v_cndmask_b32_e32 v10, 0, v10, vcc_lo
.LBB98_49:                              ;   in Loop: Header=BB98_42 Depth=1
	s_or_b32 exec_lo, exec_lo, s15
	v_lshlrev_b32_e32 v52, 16, v52
	v_lshlrev_b32_e32 v11, 16, v11
	;; [unrolled: 1-line block ×3, first 2 shown]
	v_and_or_b32 v1, 0xffff, v1, v52
	v_and_or_b32 v2, 0xffff, v2, v11
	;; [unrolled: 1-line block ×3, first 2 shown]
	;;#ASMSTART
	v_pk_mul_f16 v1, v39, v1;

	;;#ASMEND
	;;#ASMSTART
	v_pk_mul_f16 v2, v38, v2;

	;;#ASMEND
	;; [unrolled: 4-line block ×4, first 2 shown]
	;;#ASMSTART
	v_pk_add_f16 v1, v1, v2;

	;;#ASMEND
	;;#ASMSTART
	v_pk_add_f16 v1, v1, v3;

	;;#ASMEND
	;; [unrolled: 4-line block ×3, first 2 shown]
	v_and_b32_e32 v2, 0xffff, v1
	v_lshrrev_b32_e32 v1, 16, v1
	;;#ASMSTART
	v_cvt_f32_f16 v52, v2;
	;;#ASMEND
	;;#ASMSTART
	v_cvt_f32_f16 v53, v1;
	;;#ASMEND
	global_load_dwordx4 v[1:4], v[8:9], off offset:1536
	s_waitcnt vmcnt(0)
	v_lshrrev_b32_e32 v54, 16, v1
	v_lshrrev_b32_e32 v11, 16, v2
	;; [unrolled: 1-line block ×3, first 2 shown]
	s_and_saveexec_b32 s15, s1
	s_cbranch_execz .LBB98_51
; %bb.50:                               ;   in Loop: Header=BB98_42 Depth=1
	v_cmp_gt_i32_e32 vcc_lo, s27, v47
	v_and_b32_e32 v55, 0xffff0000, v4
	v_cmp_gt_i32_e64 s2, s27, v46
	v_cndmask_b32_e32 v1, 0, v1, vcc_lo
	v_cmp_gt_i32_e32 vcc_lo, s27, v49
	v_cndmask_b32_e64 v2, 0, v2, s2
	v_cmp_gt_i32_e64 s2, s27, v45
	v_cndmask_b32_e32 v54, 0, v54, vcc_lo
	v_cmp_gt_i32_e32 vcc_lo, s27, v48
	v_cndmask_b32_e64 v11, 0, v11, s2
	v_cndmask_b32_sdwa v4, v31, v4, vcc_lo dst_sel:DWORD dst_unused:UNUSED_PAD src0_sel:DWORD src1_sel:WORD_0
	v_cmp_gt_i32_e32 vcc_lo, s27, v43
	v_cndmask_b32_e32 v55, 0, v55, vcc_lo
	v_cmp_gt_i32_e32 vcc_lo, s27, v37
	v_or_b32_e32 v4, v4, v55
	v_cndmask_b32_e32 v3, 0, v3, vcc_lo
	v_cmp_gt_i32_e32 vcc_lo, s27, v36
	v_cndmask_b32_e32 v10, 0, v10, vcc_lo
.LBB98_51:                              ;   in Loop: Header=BB98_42 Depth=1
	s_or_b32 exec_lo, exec_lo, s15
	v_lshlrev_b32_e32 v10, 16, v10
	v_lshlrev_b32_e32 v54, 16, v54
	;; [unrolled: 1-line block ×3, first 2 shown]
	v_and_or_b32 v3, 0xffff, v3, v10
	v_add_co_u32 v10, vcc_lo, 0x800, v8
	v_and_or_b32 v1, 0xffff, v1, v54
	v_and_or_b32 v2, 0xffff, v2, v11
	;;#ASMSTART
	v_pk_mul_f16 v1, v39, v1;

	;;#ASMEND
	v_add_co_ci_u32_e64 v11, null, 0, v9, vcc_lo
	;;#ASMSTART
	v_pk_mul_f16 v2, v38, v2;

	;;#ASMEND
	;;#ASMSTART
	v_pk_mul_f16 v3, v42, v3;

	;;#ASMEND
	;; [unrolled: 4-line block ×3, first 2 shown]
	;;#ASMSTART
	v_pk_add_f16 v1, v1, v2;

	;;#ASMEND
	;;#ASMSTART
	v_pk_add_f16 v1, v1, v3;

	;;#ASMEND
	;; [unrolled: 4-line block ×3, first 2 shown]
	v_lshrrev_b32_e32 v2, 16, v1
	v_and_b32_e32 v1, 0xffff, v1
	;;#ASMSTART
	v_cvt_f32_f16 v54, v1;
	;;#ASMEND
	;;#ASMSTART
	v_cvt_f32_f16 v55, v2;
	;;#ASMEND
	global_load_dwordx4 v[1:4], v[10:11], off
	s_waitcnt vmcnt(0)
	v_lshrrev_b32_e32 v58, 16, v1
	v_lshrrev_b32_e32 v57, 16, v2
	;; [unrolled: 1-line block ×3, first 2 shown]
	s_and_saveexec_b32 s15, s1
	s_cbranch_execz .LBB98_53
; %bb.52:                               ;   in Loop: Header=BB98_42 Depth=1
	v_cmp_gt_i32_e32 vcc_lo, s27, v47
	v_and_b32_e32 v59, 0xffff0000, v4
	v_cmp_gt_i32_e64 s2, s27, v46
	v_cndmask_b32_e32 v1, 0, v1, vcc_lo
	v_cmp_gt_i32_e32 vcc_lo, s27, v49
	v_cndmask_b32_e64 v2, 0, v2, s2
	v_cmp_gt_i32_e64 s2, s27, v45
	v_cndmask_b32_e32 v58, 0, v58, vcc_lo
	v_cmp_gt_i32_e32 vcc_lo, s27, v48
	v_cndmask_b32_e64 v57, 0, v57, s2
	v_cndmask_b32_sdwa v4, v31, v4, vcc_lo dst_sel:DWORD dst_unused:UNUSED_PAD src0_sel:DWORD src1_sel:WORD_0
	v_cmp_gt_i32_e32 vcc_lo, s27, v43
	v_cndmask_b32_e32 v59, 0, v59, vcc_lo
	v_cmp_gt_i32_e32 vcc_lo, s27, v37
	v_or_b32_e32 v4, v4, v59
	v_cndmask_b32_e32 v3, 0, v3, vcc_lo
	v_cmp_gt_i32_e32 vcc_lo, s27, v36
	v_cndmask_b32_e32 v56, 0, v56, vcc_lo
.LBB98_53:                              ;   in Loop: Header=BB98_42 Depth=1
	s_or_b32 exec_lo, exec_lo, s15
	v_lshlrev_b32_e32 v58, 16, v58
	v_lshlrev_b32_e32 v57, 16, v57
	;; [unrolled: 1-line block ×3, first 2 shown]
	v_and_or_b32 v1, 0xffff, v1, v58
	v_and_or_b32 v2, 0xffff, v2, v57
	;; [unrolled: 1-line block ×3, first 2 shown]
	;;#ASMSTART
	v_pk_mul_f16 v1, v39, v1;

	;;#ASMEND
	;;#ASMSTART
	v_pk_mul_f16 v2, v38, v2;

	;;#ASMEND
	;; [unrolled: 4-line block ×4, first 2 shown]
	;;#ASMSTART
	v_pk_add_f16 v1, v1, v2;

	;;#ASMEND
	;;#ASMSTART
	v_pk_add_f16 v1, v1, v3;

	;;#ASMEND
	;; [unrolled: 4-line block ×3, first 2 shown]
	v_and_b32_e32 v2, 0xffff, v1
	v_lshrrev_b32_e32 v1, 16, v1
	;;#ASMSTART
	v_cvt_f32_f16 v56, v2;
	;;#ASMEND
	;;#ASMSTART
	v_cvt_f32_f16 v57, v1;
	;;#ASMEND
	global_load_dwordx4 v[1:4], v[10:11], off offset:512
	s_waitcnt vmcnt(0)
	v_lshrrev_b32_e32 v60, 16, v1
	v_lshrrev_b32_e32 v59, 16, v2
	;; [unrolled: 1-line block ×3, first 2 shown]
	s_and_saveexec_b32 s15, s1
	s_cbranch_execz .LBB98_55
; %bb.54:                               ;   in Loop: Header=BB98_42 Depth=1
	v_cmp_gt_i32_e32 vcc_lo, s27, v47
	v_and_b32_e32 v61, 0xffff0000, v4
	v_cmp_gt_i32_e64 s2, s27, v46
	v_cndmask_b32_e32 v1, 0, v1, vcc_lo
	v_cmp_gt_i32_e32 vcc_lo, s27, v49
	v_cndmask_b32_e64 v2, 0, v2, s2
	v_cmp_gt_i32_e64 s2, s27, v45
	v_cndmask_b32_e32 v60, 0, v60, vcc_lo
	v_cmp_gt_i32_e32 vcc_lo, s27, v48
	v_cndmask_b32_e64 v59, 0, v59, s2
	v_cndmask_b32_sdwa v4, v31, v4, vcc_lo dst_sel:DWORD dst_unused:UNUSED_PAD src0_sel:DWORD src1_sel:WORD_0
	v_cmp_gt_i32_e32 vcc_lo, s27, v43
	v_cndmask_b32_e32 v61, 0, v61, vcc_lo
	v_cmp_gt_i32_e32 vcc_lo, s27, v37
	v_or_b32_e32 v4, v4, v61
	v_cndmask_b32_e32 v3, 0, v3, vcc_lo
	v_cmp_gt_i32_e32 vcc_lo, s27, v36
	v_cndmask_b32_e32 v58, 0, v58, vcc_lo
.LBB98_55:                              ;   in Loop: Header=BB98_42 Depth=1
	s_or_b32 exec_lo, exec_lo, s15
	v_lshlrev_b32_e32 v60, 16, v60
	v_lshlrev_b32_e32 v59, 16, v59
	;; [unrolled: 1-line block ×3, first 2 shown]
	v_and_or_b32 v1, 0xffff, v1, v60
	v_and_or_b32 v2, 0xffff, v2, v59
	;; [unrolled: 1-line block ×3, first 2 shown]
	;;#ASMSTART
	v_pk_mul_f16 v1, v39, v1;

	;;#ASMEND
	;;#ASMSTART
	v_pk_mul_f16 v2, v38, v2;

	;;#ASMEND
	;; [unrolled: 4-line block ×4, first 2 shown]
	;;#ASMSTART
	v_pk_add_f16 v1, v1, v2;

	;;#ASMEND
	;;#ASMSTART
	v_pk_add_f16 v1, v1, v3;

	;;#ASMEND
	;; [unrolled: 4-line block ×3, first 2 shown]
	v_and_b32_e32 v2, 0xffff, v1
	v_lshrrev_b32_e32 v1, 16, v1
	;;#ASMSTART
	v_cvt_f32_f16 v58, v2;
	;;#ASMEND
	;;#ASMSTART
	v_cvt_f32_f16 v59, v1;
	;;#ASMEND
	global_load_dwordx4 v[1:4], v[10:11], off offset:1024
	s_waitcnt vmcnt(0)
	v_lshrrev_b32_e32 v62, 16, v1
	v_lshrrev_b32_e32 v61, 16, v2
	;; [unrolled: 1-line block ×3, first 2 shown]
	s_and_saveexec_b32 s15, s1
	s_cbranch_execz .LBB98_57
; %bb.56:                               ;   in Loop: Header=BB98_42 Depth=1
	v_cmp_gt_i32_e32 vcc_lo, s27, v47
	v_and_b32_e32 v63, 0xffff0000, v4
	v_cmp_gt_i32_e64 s2, s27, v46
	v_cndmask_b32_e32 v1, 0, v1, vcc_lo
	v_cmp_gt_i32_e32 vcc_lo, s27, v49
	v_cndmask_b32_e64 v2, 0, v2, s2
	v_cmp_gt_i32_e64 s2, s27, v45
	v_cndmask_b32_e32 v62, 0, v62, vcc_lo
	v_cmp_gt_i32_e32 vcc_lo, s27, v48
	v_cndmask_b32_e64 v61, 0, v61, s2
	v_cndmask_b32_sdwa v4, v31, v4, vcc_lo dst_sel:DWORD dst_unused:UNUSED_PAD src0_sel:DWORD src1_sel:WORD_0
	v_cmp_gt_i32_e32 vcc_lo, s27, v43
	v_cndmask_b32_e32 v63, 0, v63, vcc_lo
	v_cmp_gt_i32_e32 vcc_lo, s27, v37
	v_or_b32_e32 v4, v4, v63
	v_cndmask_b32_e32 v3, 0, v3, vcc_lo
	v_cmp_gt_i32_e32 vcc_lo, s27, v36
	v_cndmask_b32_e32 v60, 0, v60, vcc_lo
.LBB98_57:                              ;   in Loop: Header=BB98_42 Depth=1
	s_or_b32 exec_lo, exec_lo, s15
	v_lshlrev_b32_e32 v62, 16, v62
	v_lshlrev_b32_e32 v61, 16, v61
	;; [unrolled: 1-line block ×3, first 2 shown]
	v_and_or_b32 v1, 0xffff, v1, v62
	v_and_or_b32 v2, 0xffff, v2, v61
	;; [unrolled: 1-line block ×3, first 2 shown]
	;;#ASMSTART
	v_pk_mul_f16 v1, v39, v1;

	;;#ASMEND
	;;#ASMSTART
	v_pk_mul_f16 v2, v38, v2;

	;;#ASMEND
	;; [unrolled: 4-line block ×4, first 2 shown]
	;;#ASMSTART
	v_pk_add_f16 v1, v1, v2;

	;;#ASMEND
	;;#ASMSTART
	v_pk_add_f16 v1, v1, v3;

	;;#ASMEND
	;; [unrolled: 4-line block ×3, first 2 shown]
	v_and_b32_e32 v2, 0xffff, v1
	v_lshrrev_b32_e32 v1, 16, v1
	;;#ASMSTART
	v_cvt_f32_f16 v60, v2;
	;;#ASMEND
	;;#ASMSTART
	v_cvt_f32_f16 v61, v1;
	;;#ASMEND
	global_load_dwordx4 v[1:4], v[10:11], off offset:1536
	s_waitcnt vmcnt(0)
	v_lshrrev_b32_e32 v62, 16, v1
	v_lshrrev_b32_e32 v11, 16, v2
	;; [unrolled: 1-line block ×3, first 2 shown]
	s_and_saveexec_b32 s15, s1
	s_cbranch_execz .LBB98_59
; %bb.58:                               ;   in Loop: Header=BB98_42 Depth=1
	v_cmp_gt_i32_e32 vcc_lo, s27, v47
	v_and_b32_e32 v63, 0xffff0000, v4
	v_cmp_gt_i32_e64 s2, s27, v46
	v_cndmask_b32_e32 v1, 0, v1, vcc_lo
	v_cmp_gt_i32_e32 vcc_lo, s27, v49
	v_cndmask_b32_e64 v2, 0, v2, s2
	v_cmp_gt_i32_e64 s2, s27, v45
	v_cndmask_b32_e32 v62, 0, v62, vcc_lo
	v_cmp_gt_i32_e32 vcc_lo, s27, v48
	v_cndmask_b32_e64 v11, 0, v11, s2
	v_cndmask_b32_sdwa v4, v31, v4, vcc_lo dst_sel:DWORD dst_unused:UNUSED_PAD src0_sel:DWORD src1_sel:WORD_0
	v_cmp_gt_i32_e32 vcc_lo, s27, v43
	v_cndmask_b32_e32 v63, 0, v63, vcc_lo
	v_cmp_gt_i32_e32 vcc_lo, s27, v37
	v_or_b32_e32 v4, v4, v63
	v_cndmask_b32_e32 v3, 0, v3, vcc_lo
	v_cmp_gt_i32_e32 vcc_lo, s27, v36
	v_cndmask_b32_e32 v10, 0, v10, vcc_lo
.LBB98_59:                              ;   in Loop: Header=BB98_42 Depth=1
	s_or_b32 exec_lo, exec_lo, s15
	v_lshlrev_b32_e32 v10, 16, v10
	v_lshlrev_b32_e32 v62, 16, v62
	;; [unrolled: 1-line block ×3, first 2 shown]
	v_and_or_b32 v3, 0xffff, v3, v10
	v_add_co_u32 v10, vcc_lo, 0x1000, v8
	v_and_or_b32 v1, 0xffff, v1, v62
	v_and_or_b32 v2, 0xffff, v2, v11
	;;#ASMSTART
	v_pk_mul_f16 v1, v39, v1;

	;;#ASMEND
	v_add_co_ci_u32_e64 v11, null, 0, v9, vcc_lo
	;;#ASMSTART
	v_pk_mul_f16 v2, v38, v2;

	;;#ASMEND
	;;#ASMSTART
	v_pk_mul_f16 v3, v42, v3;

	;;#ASMEND
	;;#ASMSTART
	v_pk_mul_f16 v4, v44, v4;

	;;#ASMEND
	;;#ASMSTART
	v_pk_add_f16 v1, v1, v2;

	;;#ASMEND
	;;#ASMSTART
	v_pk_add_f16 v1, v1, v3;

	;;#ASMEND
	;; [unrolled: 4-line block ×3, first 2 shown]
	v_lshrrev_b32_e32 v2, 16, v1
	v_and_b32_e32 v1, 0xffff, v1
	;;#ASMSTART
	v_cvt_f32_f16 v62, v1;
	;;#ASMEND
	;;#ASMSTART
	v_cvt_f32_f16 v63, v2;
	;;#ASMEND
	global_load_dwordx4 v[1:4], v[10:11], off
	s_waitcnt vmcnt(0)
	v_lshrrev_b32_e32 v70, 16, v1
	v_lshrrev_b32_e32 v69, 16, v2
	;; [unrolled: 1-line block ×3, first 2 shown]
	s_and_saveexec_b32 s15, s1
	s_cbranch_execz .LBB98_61
; %bb.60:                               ;   in Loop: Header=BB98_42 Depth=1
	v_cmp_gt_i32_e32 vcc_lo, s27, v47
	v_and_b32_e32 v71, 0xffff0000, v4
	v_cmp_gt_i32_e64 s2, s27, v46
	v_cndmask_b32_e32 v1, 0, v1, vcc_lo
	v_cmp_gt_i32_e32 vcc_lo, s27, v49
	v_cndmask_b32_e64 v2, 0, v2, s2
	v_cmp_gt_i32_e64 s2, s27, v45
	v_cndmask_b32_e32 v70, 0, v70, vcc_lo
	v_cmp_gt_i32_e32 vcc_lo, s27, v48
	v_cndmask_b32_e64 v69, 0, v69, s2
	v_cndmask_b32_sdwa v4, v31, v4, vcc_lo dst_sel:DWORD dst_unused:UNUSED_PAD src0_sel:DWORD src1_sel:WORD_0
	v_cmp_gt_i32_e32 vcc_lo, s27, v43
	v_cndmask_b32_e32 v71, 0, v71, vcc_lo
	v_cmp_gt_i32_e32 vcc_lo, s27, v37
	v_or_b32_e32 v4, v4, v71
	v_cndmask_b32_e32 v3, 0, v3, vcc_lo
	v_cmp_gt_i32_e32 vcc_lo, s27, v36
	v_cndmask_b32_e32 v64, 0, v64, vcc_lo
.LBB98_61:                              ;   in Loop: Header=BB98_42 Depth=1
	s_or_b32 exec_lo, exec_lo, s15
	v_lshlrev_b32_e32 v70, 16, v70
	v_lshlrev_b32_e32 v69, 16, v69
	v_lshlrev_b32_e32 v64, 16, v64
	v_and_or_b32 v1, 0xffff, v1, v70
	v_and_or_b32 v2, 0xffff, v2, v69
	;; [unrolled: 1-line block ×3, first 2 shown]
	;;#ASMSTART
	v_pk_mul_f16 v1, v39, v1;

	;;#ASMEND
	;;#ASMSTART
	v_pk_mul_f16 v2, v38, v2;

	;;#ASMEND
	;; [unrolled: 4-line block ×4, first 2 shown]
	;;#ASMSTART
	v_pk_add_f16 v1, v1, v2;

	;;#ASMEND
	;;#ASMSTART
	v_pk_add_f16 v1, v1, v3;

	;;#ASMEND
	;; [unrolled: 4-line block ×3, first 2 shown]
	v_and_b32_e32 v2, 0xffff, v1
	v_lshrrev_b32_e32 v1, 16, v1
	;;#ASMSTART
	v_cvt_f32_f16 v64, v2;
	;;#ASMEND
	;;#ASMSTART
	v_cvt_f32_f16 v69, v1;
	;;#ASMEND
	global_load_dwordx4 v[1:4], v[10:11], off offset:512
	s_waitcnt vmcnt(0)
	v_lshrrev_b32_e32 v72, 16, v1
	v_lshrrev_b32_e32 v71, 16, v2
	;; [unrolled: 1-line block ×3, first 2 shown]
	s_and_saveexec_b32 s15, s1
	s_cbranch_execz .LBB98_63
; %bb.62:                               ;   in Loop: Header=BB98_42 Depth=1
	v_cmp_gt_i32_e32 vcc_lo, s27, v47
	v_and_b32_e32 v73, 0xffff0000, v4
	v_cmp_gt_i32_e64 s2, s27, v46
	v_cndmask_b32_e32 v1, 0, v1, vcc_lo
	v_cmp_gt_i32_e32 vcc_lo, s27, v49
	v_cndmask_b32_e64 v2, 0, v2, s2
	v_cmp_gt_i32_e64 s2, s27, v45
	v_cndmask_b32_e32 v72, 0, v72, vcc_lo
	v_cmp_gt_i32_e32 vcc_lo, s27, v48
	v_cndmask_b32_e64 v71, 0, v71, s2
	v_cndmask_b32_sdwa v4, v31, v4, vcc_lo dst_sel:DWORD dst_unused:UNUSED_PAD src0_sel:DWORD src1_sel:WORD_0
	v_cmp_gt_i32_e32 vcc_lo, s27, v43
	v_cndmask_b32_e32 v73, 0, v73, vcc_lo
	v_cmp_gt_i32_e32 vcc_lo, s27, v37
	v_or_b32_e32 v4, v4, v73
	v_cndmask_b32_e32 v3, 0, v3, vcc_lo
	v_cmp_gt_i32_e32 vcc_lo, s27, v36
	v_cndmask_b32_e32 v70, 0, v70, vcc_lo
.LBB98_63:                              ;   in Loop: Header=BB98_42 Depth=1
	s_or_b32 exec_lo, exec_lo, s15
	v_lshlrev_b32_e32 v72, 16, v72
	v_lshlrev_b32_e32 v71, 16, v71
	;; [unrolled: 1-line block ×3, first 2 shown]
	v_and_or_b32 v1, 0xffff, v1, v72
	v_and_or_b32 v2, 0xffff, v2, v71
	;; [unrolled: 1-line block ×3, first 2 shown]
	;;#ASMSTART
	v_pk_mul_f16 v1, v39, v1;

	;;#ASMEND
	;;#ASMSTART
	v_pk_mul_f16 v2, v38, v2;

	;;#ASMEND
	;; [unrolled: 4-line block ×4, first 2 shown]
	;;#ASMSTART
	v_pk_add_f16 v1, v1, v2;

	;;#ASMEND
	;;#ASMSTART
	v_pk_add_f16 v1, v1, v3;

	;;#ASMEND
	;; [unrolled: 4-line block ×3, first 2 shown]
	v_and_b32_e32 v2, 0xffff, v1
	v_lshrrev_b32_e32 v1, 16, v1
	;;#ASMSTART
	v_cvt_f32_f16 v70, v2;
	;;#ASMEND
	;;#ASMSTART
	v_cvt_f32_f16 v71, v1;
	;;#ASMEND
	global_load_dwordx4 v[1:4], v[10:11], off offset:1024
	s_waitcnt vmcnt(0)
	v_lshrrev_b32_e32 v74, 16, v1
	v_lshrrev_b32_e32 v73, 16, v2
	v_lshrrev_b32_e32 v72, 16, v3
	s_and_saveexec_b32 s15, s1
	s_cbranch_execz .LBB98_65
; %bb.64:                               ;   in Loop: Header=BB98_42 Depth=1
	v_cmp_gt_i32_e32 vcc_lo, s27, v47
	v_and_b32_e32 v75, 0xffff0000, v4
	v_cmp_gt_i32_e64 s2, s27, v46
	v_cndmask_b32_e32 v1, 0, v1, vcc_lo
	v_cmp_gt_i32_e32 vcc_lo, s27, v49
	v_cndmask_b32_e64 v2, 0, v2, s2
	v_cmp_gt_i32_e64 s2, s27, v45
	v_cndmask_b32_e32 v74, 0, v74, vcc_lo
	v_cmp_gt_i32_e32 vcc_lo, s27, v48
	v_cndmask_b32_e64 v73, 0, v73, s2
	v_cndmask_b32_sdwa v4, v31, v4, vcc_lo dst_sel:DWORD dst_unused:UNUSED_PAD src0_sel:DWORD src1_sel:WORD_0
	v_cmp_gt_i32_e32 vcc_lo, s27, v43
	v_cndmask_b32_e32 v75, 0, v75, vcc_lo
	v_cmp_gt_i32_e32 vcc_lo, s27, v37
	v_or_b32_e32 v4, v4, v75
	v_cndmask_b32_e32 v3, 0, v3, vcc_lo
	v_cmp_gt_i32_e32 vcc_lo, s27, v36
	v_cndmask_b32_e32 v72, 0, v72, vcc_lo
.LBB98_65:                              ;   in Loop: Header=BB98_42 Depth=1
	s_or_b32 exec_lo, exec_lo, s15
	v_lshlrev_b32_e32 v74, 16, v74
	v_lshlrev_b32_e32 v73, 16, v73
	;; [unrolled: 1-line block ×3, first 2 shown]
	v_and_or_b32 v1, 0xffff, v1, v74
	v_and_or_b32 v2, 0xffff, v2, v73
	;; [unrolled: 1-line block ×3, first 2 shown]
	;;#ASMSTART
	v_pk_mul_f16 v1, v39, v1;

	;;#ASMEND
	;;#ASMSTART
	v_pk_mul_f16 v2, v38, v2;

	;;#ASMEND
	;; [unrolled: 4-line block ×4, first 2 shown]
	;;#ASMSTART
	v_pk_add_f16 v1, v1, v2;

	;;#ASMEND
	;;#ASMSTART
	v_pk_add_f16 v1, v1, v3;

	;;#ASMEND
	;; [unrolled: 4-line block ×3, first 2 shown]
	v_and_b32_e32 v2, 0xffff, v1
	v_lshrrev_b32_e32 v1, 16, v1
	;;#ASMSTART
	v_cvt_f32_f16 v72, v2;
	;;#ASMEND
	;;#ASMSTART
	v_cvt_f32_f16 v73, v1;
	;;#ASMEND
	global_load_dwordx4 v[1:4], v[10:11], off offset:1536
	s_waitcnt vmcnt(0)
	v_lshrrev_b32_e32 v74, 16, v1
	v_lshrrev_b32_e32 v11, 16, v2
	;; [unrolled: 1-line block ×3, first 2 shown]
	s_and_saveexec_b32 s15, s1
	s_cbranch_execz .LBB98_67
; %bb.66:                               ;   in Loop: Header=BB98_42 Depth=1
	v_cmp_gt_i32_e32 vcc_lo, s27, v47
	v_and_b32_e32 v75, 0xffff0000, v4
	v_cmp_gt_i32_e64 s2, s27, v46
	v_cndmask_b32_e32 v1, 0, v1, vcc_lo
	v_cmp_gt_i32_e32 vcc_lo, s27, v49
	v_cndmask_b32_e64 v2, 0, v2, s2
	v_cmp_gt_i32_e64 s2, s27, v45
	v_cndmask_b32_e32 v74, 0, v74, vcc_lo
	v_cmp_gt_i32_e32 vcc_lo, s27, v48
	v_cndmask_b32_e64 v11, 0, v11, s2
	v_cndmask_b32_sdwa v4, v31, v4, vcc_lo dst_sel:DWORD dst_unused:UNUSED_PAD src0_sel:DWORD src1_sel:WORD_0
	v_cmp_gt_i32_e32 vcc_lo, s27, v43
	v_cndmask_b32_e32 v75, 0, v75, vcc_lo
	v_cmp_gt_i32_e32 vcc_lo, s27, v37
	v_or_b32_e32 v4, v4, v75
	v_cndmask_b32_e32 v3, 0, v3, vcc_lo
	v_cmp_gt_i32_e32 vcc_lo, s27, v36
	v_cndmask_b32_e32 v10, 0, v10, vcc_lo
.LBB98_67:                              ;   in Loop: Header=BB98_42 Depth=1
	s_or_b32 exec_lo, exec_lo, s15
	v_lshlrev_b32_e32 v74, 16, v74
	v_lshlrev_b32_e32 v11, 16, v11
	;; [unrolled: 1-line block ×3, first 2 shown]
	v_add_co_u32 v8, vcc_lo, 0x1800, v8
	v_and_or_b32 v1, 0xffff, v1, v74
	v_and_or_b32 v2, 0xffff, v2, v11
	v_and_or_b32 v3, 0xffff, v3, v10
	;;#ASMSTART
	v_pk_mul_f16 v1, v39, v1;

	;;#ASMEND
	v_add_co_ci_u32_e64 v9, null, 0, v9, vcc_lo
	;;#ASMSTART
	v_pk_mul_f16 v2, v38, v2;

	;;#ASMEND
	;;#ASMSTART
	v_pk_mul_f16 v3, v42, v3;

	;;#ASMEND
	;; [unrolled: 4-line block ×3, first 2 shown]
	;;#ASMSTART
	v_pk_add_f16 v1, v1, v2;

	;;#ASMEND
	;;#ASMSTART
	v_pk_add_f16 v1, v1, v3;

	;;#ASMEND
	;; [unrolled: 4-line block ×3, first 2 shown]
	v_lshrrev_b32_e32 v2, 16, v1
	v_and_b32_e32 v1, 0xffff, v1
	;;#ASMSTART
	v_cvt_f32_f16 v10, v1;
	;;#ASMEND
	;;#ASMSTART
	v_cvt_f32_f16 v11, v2;
	;;#ASMEND
	global_load_dwordx4 v[1:4], v[8:9], off
	s_waitcnt vmcnt(0)
	v_lshrrev_b32_e32 v76, 16, v1
	v_lshrrev_b32_e32 v75, 16, v2
	v_lshrrev_b32_e32 v74, 16, v3
	s_and_saveexec_b32 s15, s1
	s_cbranch_execz .LBB98_69
; %bb.68:                               ;   in Loop: Header=BB98_42 Depth=1
	v_cmp_gt_i32_e32 vcc_lo, s27, v47
	v_and_b32_e32 v77, 0xffff0000, v4
	v_cmp_gt_i32_e64 s2, s27, v46
	v_cndmask_b32_e32 v1, 0, v1, vcc_lo
	v_cmp_gt_i32_e32 vcc_lo, s27, v49
	v_cndmask_b32_e64 v2, 0, v2, s2
	v_cmp_gt_i32_e64 s2, s27, v45
	v_cndmask_b32_e32 v76, 0, v76, vcc_lo
	v_cmp_gt_i32_e32 vcc_lo, s27, v48
	v_cndmask_b32_e64 v75, 0, v75, s2
	v_cndmask_b32_sdwa v4, v31, v4, vcc_lo dst_sel:DWORD dst_unused:UNUSED_PAD src0_sel:DWORD src1_sel:WORD_0
	v_cmp_gt_i32_e32 vcc_lo, s27, v43
	v_cndmask_b32_e32 v77, 0, v77, vcc_lo
	v_cmp_gt_i32_e32 vcc_lo, s27, v37
	v_or_b32_e32 v4, v4, v77
	v_cndmask_b32_e32 v3, 0, v3, vcc_lo
	v_cmp_gt_i32_e32 vcc_lo, s27, v36
	v_cndmask_b32_e32 v74, 0, v74, vcc_lo
.LBB98_69:                              ;   in Loop: Header=BB98_42 Depth=1
	s_or_b32 exec_lo, exec_lo, s15
	v_lshlrev_b32_e32 v76, 16, v76
	v_lshlrev_b32_e32 v75, 16, v75
	;; [unrolled: 1-line block ×3, first 2 shown]
	v_and_or_b32 v1, 0xffff, v1, v76
	v_and_or_b32 v2, 0xffff, v2, v75
	;; [unrolled: 1-line block ×3, first 2 shown]
	;;#ASMSTART
	v_pk_mul_f16 v1, v39, v1;

	;;#ASMEND
	;;#ASMSTART
	v_pk_mul_f16 v2, v38, v2;

	;;#ASMEND
	;; [unrolled: 4-line block ×4, first 2 shown]
	;;#ASMSTART
	v_pk_add_f16 v1, v1, v2;

	;;#ASMEND
	;;#ASMSTART
	v_pk_add_f16 v1, v1, v3;

	;;#ASMEND
	;; [unrolled: 4-line block ×3, first 2 shown]
	v_and_b32_e32 v2, 0xffff, v1
	v_lshrrev_b32_e32 v1, 16, v1
	;;#ASMSTART
	v_cvt_f32_f16 v74, v2;
	;;#ASMEND
	;;#ASMSTART
	v_cvt_f32_f16 v75, v1;
	;;#ASMEND
	global_load_dwordx4 v[1:4], v[8:9], off offset:512
	s_waitcnt vmcnt(0)
	v_lshrrev_b32_e32 v78, 16, v1
	v_lshrrev_b32_e32 v77, 16, v2
	;; [unrolled: 1-line block ×3, first 2 shown]
	s_and_saveexec_b32 s15, s1
	s_cbranch_execz .LBB98_71
; %bb.70:                               ;   in Loop: Header=BB98_42 Depth=1
	v_cmp_gt_i32_e32 vcc_lo, s27, v47
	v_and_b32_e32 v79, 0xffff0000, v4
	v_cmp_gt_i32_e64 s2, s27, v46
	v_cndmask_b32_e32 v1, 0, v1, vcc_lo
	v_cmp_gt_i32_e32 vcc_lo, s27, v49
	v_cndmask_b32_e64 v2, 0, v2, s2
	v_cmp_gt_i32_e64 s2, s27, v45
	v_cndmask_b32_e32 v78, 0, v78, vcc_lo
	v_cmp_gt_i32_e32 vcc_lo, s27, v48
	v_cndmask_b32_e64 v77, 0, v77, s2
	v_cndmask_b32_sdwa v4, v31, v4, vcc_lo dst_sel:DWORD dst_unused:UNUSED_PAD src0_sel:DWORD src1_sel:WORD_0
	v_cmp_gt_i32_e32 vcc_lo, s27, v43
	v_cndmask_b32_e32 v79, 0, v79, vcc_lo
	v_cmp_gt_i32_e32 vcc_lo, s27, v37
	v_or_b32_e32 v4, v4, v79
	v_cndmask_b32_e32 v3, 0, v3, vcc_lo
	v_cmp_gt_i32_e32 vcc_lo, s27, v36
	v_cndmask_b32_e32 v76, 0, v76, vcc_lo
.LBB98_71:                              ;   in Loop: Header=BB98_42 Depth=1
	s_or_b32 exec_lo, exec_lo, s15
	v_lshlrev_b32_e32 v78, 16, v78
	v_lshlrev_b32_e32 v77, 16, v77
	;; [unrolled: 1-line block ×3, first 2 shown]
	v_and_or_b32 v1, 0xffff, v1, v78
	v_and_or_b32 v2, 0xffff, v2, v77
	;; [unrolled: 1-line block ×3, first 2 shown]
	;;#ASMSTART
	v_pk_mul_f16 v1, v39, v1;

	;;#ASMEND
	;;#ASMSTART
	v_pk_mul_f16 v2, v38, v2;

	;;#ASMEND
	;; [unrolled: 4-line block ×4, first 2 shown]
	;;#ASMSTART
	v_pk_add_f16 v1, v1, v2;

	;;#ASMEND
	;;#ASMSTART
	v_pk_add_f16 v1, v1, v3;

	;;#ASMEND
	;; [unrolled: 4-line block ×3, first 2 shown]
	v_and_b32_e32 v2, 0xffff, v1
	v_lshrrev_b32_e32 v1, 16, v1
	;;#ASMSTART
	v_cvt_f32_f16 v76, v2;
	;;#ASMEND
	;;#ASMSTART
	v_cvt_f32_f16 v77, v1;
	;;#ASMEND
	global_load_dwordx4 v[1:4], v[8:9], off offset:1024
	s_waitcnt vmcnt(0)
	v_lshrrev_b32_e32 v80, 16, v1
	v_lshrrev_b32_e32 v79, 16, v2
	;; [unrolled: 1-line block ×3, first 2 shown]
	s_and_saveexec_b32 s15, s1
	s_cbranch_execz .LBB98_73
; %bb.72:                               ;   in Loop: Header=BB98_42 Depth=1
	v_cmp_gt_i32_e32 vcc_lo, s27, v47
	v_and_b32_e32 v81, 0xffff0000, v4
	v_cmp_gt_i32_e64 s2, s27, v46
	v_cndmask_b32_e32 v1, 0, v1, vcc_lo
	v_cmp_gt_i32_e32 vcc_lo, s27, v49
	v_cndmask_b32_e64 v2, 0, v2, s2
	v_cmp_gt_i32_e64 s2, s27, v45
	v_cndmask_b32_e32 v80, 0, v80, vcc_lo
	v_cmp_gt_i32_e32 vcc_lo, s27, v48
	v_cndmask_b32_e64 v79, 0, v79, s2
	v_cndmask_b32_sdwa v4, v31, v4, vcc_lo dst_sel:DWORD dst_unused:UNUSED_PAD src0_sel:DWORD src1_sel:WORD_0
	v_cmp_gt_i32_e32 vcc_lo, s27, v43
	v_cndmask_b32_e32 v81, 0, v81, vcc_lo
	v_cmp_gt_i32_e32 vcc_lo, s27, v37
	v_or_b32_e32 v4, v4, v81
	v_cndmask_b32_e32 v3, 0, v3, vcc_lo
	v_cmp_gt_i32_e32 vcc_lo, s27, v36
	v_cndmask_b32_e32 v78, 0, v78, vcc_lo
.LBB98_73:                              ;   in Loop: Header=BB98_42 Depth=1
	s_or_b32 exec_lo, exec_lo, s15
	v_lshlrev_b32_e32 v80, 16, v80
	v_lshlrev_b32_e32 v79, 16, v79
	;; [unrolled: 1-line block ×3, first 2 shown]
	v_and_or_b32 v1, 0xffff, v1, v80
	v_and_or_b32 v2, 0xffff, v2, v79
	;; [unrolled: 1-line block ×3, first 2 shown]
	;;#ASMSTART
	v_pk_mul_f16 v1, v39, v1;

	;;#ASMEND
	;;#ASMSTART
	v_pk_mul_f16 v2, v38, v2;

	;;#ASMEND
	;; [unrolled: 4-line block ×4, first 2 shown]
	;;#ASMSTART
	v_pk_add_f16 v1, v1, v2;

	;;#ASMEND
	;;#ASMSTART
	v_pk_add_f16 v1, v1, v3;

	;;#ASMEND
	;; [unrolled: 4-line block ×3, first 2 shown]
	v_and_b32_e32 v2, 0xffff, v1
	v_lshrrev_b32_e32 v1, 16, v1
	;;#ASMSTART
	v_cvt_f32_f16 v79, v2;
	;;#ASMEND
	;;#ASMSTART
	v_cvt_f32_f16 v80, v1;
	;;#ASMEND
	global_load_dwordx4 v[1:4], v[8:9], off offset:1536
	s_waitcnt vmcnt(0)
	v_lshrrev_b32_e32 v78, 16, v1
	v_lshrrev_b32_e32 v9, 16, v2
	;; [unrolled: 1-line block ×3, first 2 shown]
	s_and_saveexec_b32 s2, s1
	s_cbranch_execz .LBB98_40
; %bb.74:                               ;   in Loop: Header=BB98_42 Depth=1
	v_cmp_gt_i32_e32 vcc_lo, s27, v47
	v_cmp_gt_i32_e64 s1, s27, v46
	v_cndmask_b32_e32 v1, 0, v1, vcc_lo
	v_cmp_gt_i32_e32 vcc_lo, s27, v49
	v_cndmask_b32_e64 v2, 0, v2, s1
	v_cmp_gt_i32_e64 s1, s27, v45
	v_and_b32_e32 v45, 0xffff0000, v4
	v_cndmask_b32_e32 v78, 0, v78, vcc_lo
	v_cmp_gt_i32_e32 vcc_lo, s27, v48
	v_cndmask_b32_e64 v9, 0, v9, s1
	v_cndmask_b32_sdwa v4, v31, v4, vcc_lo dst_sel:DWORD dst_unused:UNUSED_PAD src0_sel:DWORD src1_sel:WORD_0
	v_cmp_gt_i32_e32 vcc_lo, s27, v43
	v_cndmask_b32_e32 v43, 0, v45, vcc_lo
	v_cmp_gt_i32_e32 vcc_lo, s27, v37
	v_or_b32_e32 v4, v4, v43
	v_cndmask_b32_e32 v3, 0, v3, vcc_lo
	v_cmp_gt_i32_e32 vcc_lo, s27, v36
	v_cndmask_b32_e32 v8, 0, v8, vcc_lo
	s_branch .LBB98_40
.LBB98_75:
	s_or_b32 exec_lo, exec_lo, s9
.LBB98_76:
	s_or_b32 exec_lo, exec_lo, s3
	ds_bpermute_b32 v1, v13, v29
	ds_bpermute_b32 v2, v13, v28
	;; [unrolled: 1-line block ×16, first 2 shown]
	v_lshrrev_b32_e32 v12, 1, v12
	s_mov_b32 s1, exec_lo
	s_waitcnt lgkmcnt(0)
	s_waitcnt_vscnt null, 0x0
	s_barrier
	v_add_f32_e32 v29, v29, v1
	v_add_f32_e32 v28, v28, v2
	;; [unrolled: 1-line block ×14, first 2 shown]
	v_and_b32_e32 v16, 0x3c1, v0
	v_add_f32_e32 v6, v15, v36
	v_add_f32_e32 v3, v14, v37
	v_lshl_add_u32 v14, v12, 2, 0x220
	v_lshlrev_b32_e32 v15, 10, v67
	buffer_gl0_inv
	v_cmpx_eq_u32_e32 64, v16
	s_cbranch_execz .LBB98_78
; %bb.77:
	v_add_nc_u32_e32 v16, v14, v15
	v_add_nc_u32_e32 v17, 0xfffff800, v16
	;; [unrolled: 1-line block ×7, first 2 shown]
	ds_write_b32 v17, v29
	ds_write_b32 v18, v28
	ds_write_b32 v19, v27
	ds_write_b32 v20, v26
	ds_write_b32 v21, v13
	ds_write_b32 v22, v11
	v_add_nc_u32_e32 v17, 0xfffff980, v16
	v_add_nc_u32_e32 v18, 0xfffff9c0, v16
	v_add_nc_u32_e32 v19, 0xfffffa00, v16
	v_add_nc_u32_e32 v20, 0xfffffa40, v16
	v_add_nc_u32_e32 v21, 0xfffffa80, v16
	ds_write_b32 v17, v10
	ds_write_b32 v18, v9
	;; [unrolled: 1-line block ×5, first 2 shown]
	v_add_nc_u32_e32 v17, 0xfffffac0, v16
	v_add_nc_u32_e32 v18, 0xfffffb00, v16
	;; [unrolled: 1-line block ×5, first 2 shown]
	ds_write_b32 v17, v2
	ds_write_b32 v18, v1
	;; [unrolled: 1-line block ×5, first 2 shown]
.LBB98_78:
	s_or_b32 exec_lo, exec_lo, s1
	v_lshlrev_b32_e32 v12, 2, v12
	v_cmp_eq_u32_e32 vcc_lo, 0, v66
	s_waitcnt lgkmcnt(0)
	s_barrier
	buffer_gl0_inv
	v_add3_u32 v12, 0x220, v15, v12
	s_and_saveexec_b32 s1, s0
	s_cbranch_execz .LBB98_97
; %bb.79:
	s_and_saveexec_b32 s0, vcc_lo
	s_cbranch_execnz .LBB98_121
; %bb.80:
	s_or_b32 exec_lo, exec_lo, s0
	s_and_saveexec_b32 s0, vcc_lo
	s_cbranch_execnz .LBB98_122
.LBB98_81:
	s_or_b32 exec_lo, exec_lo, s0
	s_and_saveexec_b32 s0, vcc_lo
	s_cbranch_execnz .LBB98_123
.LBB98_82:
	s_or_b32 exec_lo, exec_lo, s0
	s_and_saveexec_b32 s0, vcc_lo
	s_cbranch_execnz .LBB98_124
.LBB98_83:
	s_or_b32 exec_lo, exec_lo, s0
	s_and_saveexec_b32 s0, vcc_lo
	s_cbranch_execnz .LBB98_125
.LBB98_84:
	s_or_b32 exec_lo, exec_lo, s0
	s_and_saveexec_b32 s0, vcc_lo
	s_cbranch_execnz .LBB98_126
.LBB98_85:
	s_or_b32 exec_lo, exec_lo, s0
	s_and_saveexec_b32 s0, vcc_lo
	s_cbranch_execnz .LBB98_127
.LBB98_86:
	s_or_b32 exec_lo, exec_lo, s0
	s_and_saveexec_b32 s0, vcc_lo
	s_cbranch_execnz .LBB98_128
.LBB98_87:
	s_or_b32 exec_lo, exec_lo, s0
	s_and_saveexec_b32 s0, vcc_lo
	s_cbranch_execnz .LBB98_129
.LBB98_88:
	s_or_b32 exec_lo, exec_lo, s0
	s_and_saveexec_b32 s0, vcc_lo
	s_cbranch_execnz .LBB98_130
.LBB98_89:
	s_or_b32 exec_lo, exec_lo, s0
	s_and_saveexec_b32 s0, vcc_lo
	s_cbranch_execnz .LBB98_131
.LBB98_90:
	s_or_b32 exec_lo, exec_lo, s0
	s_and_saveexec_b32 s0, vcc_lo
	s_cbranch_execnz .LBB98_132
.LBB98_91:
	s_or_b32 exec_lo, exec_lo, s0
	s_and_saveexec_b32 s0, vcc_lo
	s_cbranch_execnz .LBB98_133
.LBB98_92:
	s_or_b32 exec_lo, exec_lo, s0
	s_and_saveexec_b32 s0, vcc_lo
	s_cbranch_execnz .LBB98_134
.LBB98_93:
	s_or_b32 exec_lo, exec_lo, s0
	s_and_saveexec_b32 s0, vcc_lo
	s_cbranch_execnz .LBB98_135
.LBB98_94:
	s_or_b32 exec_lo, exec_lo, s0
	s_and_saveexec_b32 s0, vcc_lo
	s_cbranch_execz .LBB98_96
.LBB98_95:
	ds_read_b32 v15, v12 offset:960
	s_waitcnt lgkmcnt(0)
	v_add_f32_e32 v3, v3, v15
.LBB98_96:
	s_or_b32 exec_lo, exec_lo, s0
.LBB98_97:
	s_or_b32 exec_lo, exec_lo, s1
	v_and_b32_e32 v15, 0x3e1, v0
	s_mov_b32 s1, exec_lo
	s_barrier
	buffer_gl0_inv
	v_cmpx_eq_u32_e32 32, v15
	s_cbranch_execz .LBB98_99
; %bb.98:
	ds_write2_b32 v14, v29, v28 offset1:16
	ds_write2_b32 v14, v27, v26 offset0:32 offset1:48
	ds_write2_b32 v14, v13, v11 offset0:64 offset1:80
	;; [unrolled: 1-line block ×7, first 2 shown]
.LBB98_99:
	s_or_b32 exec_lo, exec_lo, s1
	s_mov_b32 s1, exec_lo
	s_waitcnt lgkmcnt(0)
	s_barrier
	buffer_gl0_inv
	v_cmpx_gt_u32_e32 32, v0
	s_cbranch_execz .LBB98_118
; %bb.100:
	s_and_saveexec_b32 s0, vcc_lo
	s_cbranch_execnz .LBB98_136
; %bb.101:
	s_or_b32 exec_lo, exec_lo, s0
	s_and_saveexec_b32 s0, vcc_lo
	s_cbranch_execnz .LBB98_137
.LBB98_102:
	s_or_b32 exec_lo, exec_lo, s0
	s_and_saveexec_b32 s0, vcc_lo
	s_cbranch_execnz .LBB98_138
.LBB98_103:
	s_or_b32 exec_lo, exec_lo, s0
	s_and_saveexec_b32 s0, vcc_lo
	s_cbranch_execnz .LBB98_139
.LBB98_104:
	s_or_b32 exec_lo, exec_lo, s0
	s_and_saveexec_b32 s0, vcc_lo
	s_cbranch_execnz .LBB98_140
.LBB98_105:
	s_or_b32 exec_lo, exec_lo, s0
	s_and_saveexec_b32 s0, vcc_lo
	s_cbranch_execnz .LBB98_141
.LBB98_106:
	s_or_b32 exec_lo, exec_lo, s0
	s_and_saveexec_b32 s0, vcc_lo
	s_cbranch_execnz .LBB98_142
.LBB98_107:
	s_or_b32 exec_lo, exec_lo, s0
	s_and_saveexec_b32 s0, vcc_lo
	s_cbranch_execnz .LBB98_143
.LBB98_108:
	s_or_b32 exec_lo, exec_lo, s0
	s_and_saveexec_b32 s0, vcc_lo
	s_cbranch_execnz .LBB98_144
.LBB98_109:
	s_or_b32 exec_lo, exec_lo, s0
	s_and_saveexec_b32 s0, vcc_lo
	s_cbranch_execnz .LBB98_145
.LBB98_110:
	s_or_b32 exec_lo, exec_lo, s0
	s_and_saveexec_b32 s0, vcc_lo
	s_cbranch_execnz .LBB98_146
.LBB98_111:
	s_or_b32 exec_lo, exec_lo, s0
	s_and_saveexec_b32 s0, vcc_lo
	s_cbranch_execnz .LBB98_147
.LBB98_112:
	s_or_b32 exec_lo, exec_lo, s0
	s_and_saveexec_b32 s0, vcc_lo
	s_cbranch_execnz .LBB98_148
.LBB98_113:
	s_or_b32 exec_lo, exec_lo, s0
	s_and_saveexec_b32 s0, vcc_lo
	s_cbranch_execnz .LBB98_149
.LBB98_114:
	s_or_b32 exec_lo, exec_lo, s0
	s_and_saveexec_b32 s0, vcc_lo
	s_cbranch_execnz .LBB98_150
.LBB98_115:
	s_or_b32 exec_lo, exec_lo, s0
	s_and_saveexec_b32 s0, vcc_lo
	s_cbranch_execz .LBB98_117
.LBB98_116:
	ds_read_b32 v0, v12 offset:960
	s_waitcnt lgkmcnt(0)
	v_add_f32_e32 v3, v3, v0
.LBB98_117:
	s_or_b32 exec_lo, exec_lo, s0
.LBB98_118:
	s_or_b32 exec_lo, exec_lo, s1
	s_barrier
	buffer_gl0_inv
	s_mov_b32 s0, exec_lo
	v_cmpx_eq_u32_e32 0, v15
	s_cbranch_execz .LBB98_120
; %bb.119:
	s_lshl_b32 s0, s4, 8
	s_mul_i32 s2, s7, s10
	s_ashr_i32 s1, s0, 31
	v_lshlrev_b32_e32 v0, 1, v65
	s_lshl_b64 s[0:1], s[0:1], 1
	;;#ASMSTART
	v_cvt_f16_f32 v12, v29;

	;;#ASMEND
	s_add_u32 s4, s24, s0
	s_addc_u32 s5, s25, s1
	s_ashr_i32 s3, s2, 31
	s_lshl_b64 s[0:1], s[2:3], 1
	s_add_u32 s2, s4, s0
	s_addc_u32 s3, s5, s1
	s_lshl_b32 s0, s8, 8
	s_ashr_i32 s1, s0, 31
	s_lshl_b64 s[0:1], s[0:1], 1
	s_add_u32 s0, s2, s0
	s_addc_u32 s1, s3, s1
	global_store_short v0, v12, s[0:1]
	;;#ASMSTART
	v_cvt_f16_f32 v12, v28;

	;;#ASMEND
	global_store_short v0, v12, s[0:1] offset:32
	;;#ASMSTART
	v_cvt_f16_f32 v12, v27;

	;;#ASMEND
	global_store_short v0, v12, s[0:1] offset:64
	;; [unrolled: 5-line block ×15, first 2 shown]
.LBB98_120:
	s_endpgm
.LBB98_121:
	ds_read_b32 v15, v12
	s_waitcnt lgkmcnt(0)
	v_add_f32_e32 v29, v29, v15
	s_or_b32 exec_lo, exec_lo, s0
	s_and_saveexec_b32 s0, vcc_lo
	s_cbranch_execz .LBB98_81
.LBB98_122:
	ds_read_b32 v15, v12 offset:64
	s_waitcnt lgkmcnt(0)
	v_add_f32_e32 v28, v28, v15
	s_or_b32 exec_lo, exec_lo, s0
	s_and_saveexec_b32 s0, vcc_lo
	s_cbranch_execz .LBB98_82
.LBB98_123:
	ds_read_b32 v15, v12 offset:128
	s_waitcnt lgkmcnt(0)
	v_add_f32_e32 v27, v27, v15
	s_or_b32 exec_lo, exec_lo, s0
	s_and_saveexec_b32 s0, vcc_lo
	s_cbranch_execz .LBB98_83
.LBB98_124:
	ds_read_b32 v15, v12 offset:192
	s_waitcnt lgkmcnt(0)
	v_add_f32_e32 v26, v26, v15
	s_or_b32 exec_lo, exec_lo, s0
	s_and_saveexec_b32 s0, vcc_lo
	s_cbranch_execz .LBB98_84
.LBB98_125:
	ds_read_b32 v15, v12 offset:256
	s_waitcnt lgkmcnt(0)
	v_add_f32_e32 v13, v13, v15
	s_or_b32 exec_lo, exec_lo, s0
	s_and_saveexec_b32 s0, vcc_lo
	s_cbranch_execz .LBB98_85
.LBB98_126:
	ds_read_b32 v15, v12 offset:320
	s_waitcnt lgkmcnt(0)
	v_add_f32_e32 v11, v11, v15
	s_or_b32 exec_lo, exec_lo, s0
	s_and_saveexec_b32 s0, vcc_lo
	s_cbranch_execz .LBB98_86
.LBB98_127:
	ds_read_b32 v15, v12 offset:384
	s_waitcnt lgkmcnt(0)
	v_add_f32_e32 v10, v10, v15
	s_or_b32 exec_lo, exec_lo, s0
	s_and_saveexec_b32 s0, vcc_lo
	s_cbranch_execz .LBB98_87
.LBB98_128:
	ds_read_b32 v15, v12 offset:448
	s_waitcnt lgkmcnt(0)
	v_add_f32_e32 v9, v9, v15
	s_or_b32 exec_lo, exec_lo, s0
	s_and_saveexec_b32 s0, vcc_lo
	s_cbranch_execz .LBB98_88
.LBB98_129:
	ds_read_b32 v15, v12 offset:512
	s_waitcnt lgkmcnt(0)
	v_add_f32_e32 v8, v8, v15
	s_or_b32 exec_lo, exec_lo, s0
	s_and_saveexec_b32 s0, vcc_lo
	s_cbranch_execz .LBB98_89
.LBB98_130:
	ds_read_b32 v15, v12 offset:576
	s_waitcnt lgkmcnt(0)
	v_add_f32_e32 v7, v7, v15
	s_or_b32 exec_lo, exec_lo, s0
	s_and_saveexec_b32 s0, vcc_lo
	s_cbranch_execz .LBB98_90
.LBB98_131:
	ds_read_b32 v15, v12 offset:640
	s_waitcnt lgkmcnt(0)
	v_add_f32_e32 v5, v5, v15
	s_or_b32 exec_lo, exec_lo, s0
	s_and_saveexec_b32 s0, vcc_lo
	s_cbranch_execz .LBB98_91
.LBB98_132:
	ds_read_b32 v15, v12 offset:704
	s_waitcnt lgkmcnt(0)
	v_add_f32_e32 v2, v2, v15
	s_or_b32 exec_lo, exec_lo, s0
	s_and_saveexec_b32 s0, vcc_lo
	s_cbranch_execz .LBB98_92
.LBB98_133:
	ds_read_b32 v15, v12 offset:768
	s_waitcnt lgkmcnt(0)
	v_add_f32_e32 v1, v1, v15
	s_or_b32 exec_lo, exec_lo, s0
	s_and_saveexec_b32 s0, vcc_lo
	s_cbranch_execz .LBB98_93
.LBB98_134:
	ds_read_b32 v15, v12 offset:832
	s_waitcnt lgkmcnt(0)
	v_add_f32_e32 v4, v4, v15
	s_or_b32 exec_lo, exec_lo, s0
	s_and_saveexec_b32 s0, vcc_lo
	s_cbranch_execz .LBB98_94
.LBB98_135:
	ds_read_b32 v15, v12 offset:896
	s_waitcnt lgkmcnt(0)
	v_add_f32_e32 v6, v6, v15
	s_or_b32 exec_lo, exec_lo, s0
	s_and_saveexec_b32 s0, vcc_lo
	s_cbranch_execnz .LBB98_95
	s_branch .LBB98_96
.LBB98_136:
	ds_read_b32 v0, v12
	s_waitcnt lgkmcnt(0)
	v_add_f32_e32 v29, v29, v0
	s_or_b32 exec_lo, exec_lo, s0
	s_and_saveexec_b32 s0, vcc_lo
	s_cbranch_execz .LBB98_102
.LBB98_137:
	ds_read_b32 v0, v12 offset:64
	s_waitcnt lgkmcnt(0)
	v_add_f32_e32 v28, v28, v0
	s_or_b32 exec_lo, exec_lo, s0
	s_and_saveexec_b32 s0, vcc_lo
	s_cbranch_execz .LBB98_103
.LBB98_138:
	ds_read_b32 v0, v12 offset:128
	s_waitcnt lgkmcnt(0)
	v_add_f32_e32 v27, v27, v0
	s_or_b32 exec_lo, exec_lo, s0
	s_and_saveexec_b32 s0, vcc_lo
	s_cbranch_execz .LBB98_104
.LBB98_139:
	ds_read_b32 v0, v12 offset:192
	s_waitcnt lgkmcnt(0)
	v_add_f32_e32 v26, v26, v0
	s_or_b32 exec_lo, exec_lo, s0
	s_and_saveexec_b32 s0, vcc_lo
	s_cbranch_execz .LBB98_105
.LBB98_140:
	ds_read_b32 v0, v12 offset:256
	s_waitcnt lgkmcnt(0)
	v_add_f32_e32 v13, v13, v0
	s_or_b32 exec_lo, exec_lo, s0
	s_and_saveexec_b32 s0, vcc_lo
	s_cbranch_execz .LBB98_106
.LBB98_141:
	ds_read_b32 v0, v12 offset:320
	s_waitcnt lgkmcnt(0)
	v_add_f32_e32 v11, v11, v0
	s_or_b32 exec_lo, exec_lo, s0
	s_and_saveexec_b32 s0, vcc_lo
	s_cbranch_execz .LBB98_107
.LBB98_142:
	ds_read_b32 v0, v12 offset:384
	s_waitcnt lgkmcnt(0)
	v_add_f32_e32 v10, v10, v0
	s_or_b32 exec_lo, exec_lo, s0
	s_and_saveexec_b32 s0, vcc_lo
	s_cbranch_execz .LBB98_108
.LBB98_143:
	ds_read_b32 v0, v12 offset:448
	s_waitcnt lgkmcnt(0)
	v_add_f32_e32 v9, v9, v0
	s_or_b32 exec_lo, exec_lo, s0
	s_and_saveexec_b32 s0, vcc_lo
	s_cbranch_execz .LBB98_109
.LBB98_144:
	ds_read_b32 v0, v12 offset:512
	s_waitcnt lgkmcnt(0)
	v_add_f32_e32 v8, v8, v0
	s_or_b32 exec_lo, exec_lo, s0
	s_and_saveexec_b32 s0, vcc_lo
	s_cbranch_execz .LBB98_110
.LBB98_145:
	ds_read_b32 v0, v12 offset:576
	s_waitcnt lgkmcnt(0)
	v_add_f32_e32 v7, v7, v0
	s_or_b32 exec_lo, exec_lo, s0
	s_and_saveexec_b32 s0, vcc_lo
	s_cbranch_execz .LBB98_111
.LBB98_146:
	ds_read_b32 v0, v12 offset:640
	s_waitcnt lgkmcnt(0)
	v_add_f32_e32 v5, v5, v0
	s_or_b32 exec_lo, exec_lo, s0
	s_and_saveexec_b32 s0, vcc_lo
	s_cbranch_execz .LBB98_112
.LBB98_147:
	ds_read_b32 v0, v12 offset:704
	s_waitcnt lgkmcnt(0)
	v_add_f32_e32 v2, v2, v0
	s_or_b32 exec_lo, exec_lo, s0
	s_and_saveexec_b32 s0, vcc_lo
	s_cbranch_execz .LBB98_113
.LBB98_148:
	ds_read_b32 v0, v12 offset:768
	s_waitcnt lgkmcnt(0)
	v_add_f32_e32 v1, v1, v0
	s_or_b32 exec_lo, exec_lo, s0
	s_and_saveexec_b32 s0, vcc_lo
	s_cbranch_execz .LBB98_114
.LBB98_149:
	ds_read_b32 v0, v12 offset:832
	s_waitcnt lgkmcnt(0)
	v_add_f32_e32 v4, v4, v0
	s_or_b32 exec_lo, exec_lo, s0
	s_and_saveexec_b32 s0, vcc_lo
	s_cbranch_execz .LBB98_115
.LBB98_150:
	ds_read_b32 v0, v12 offset:896
	s_waitcnt lgkmcnt(0)
	v_add_f32_e32 v6, v6, v0
	s_or_b32 exec_lo, exec_lo, s0
	s_and_saveexec_b32 s0, vcc_lo
	s_cbranch_execnz .LBB98_116
	s_branch .LBB98_117
	.section	.rodata,"a",@progbits
	.p2align	6, 0x0
	.amdhsa_kernel _ZN4vllm25paged_attention_v2_kernelIttLi256ELi16ELi128ELNS_18Fp8KVCacheDataTypeE0ELb1ELi512EEEvPfS2_PT_PKS3_PKT0_S9_ifPKiSB_iPKfiiiSD_SD_iiiii
		.amdhsa_group_segment_fixed_size 544
		.amdhsa_private_segment_fixed_size 0
		.amdhsa_kernarg_size 400
		.amdhsa_user_sgpr_count 6
		.amdhsa_user_sgpr_private_segment_buffer 1
		.amdhsa_user_sgpr_dispatch_ptr 0
		.amdhsa_user_sgpr_queue_ptr 0
		.amdhsa_user_sgpr_kernarg_segment_ptr 1
		.amdhsa_user_sgpr_dispatch_id 0
		.amdhsa_user_sgpr_flat_scratch_init 0
		.amdhsa_user_sgpr_private_segment_size 0
		.amdhsa_wavefront_size32 1
		.amdhsa_uses_dynamic_stack 0
		.amdhsa_system_sgpr_private_segment_wavefront_offset 0
		.amdhsa_system_sgpr_workgroup_id_x 1
		.amdhsa_system_sgpr_workgroup_id_y 1
		.amdhsa_system_sgpr_workgroup_id_z 1
		.amdhsa_system_sgpr_workgroup_info 0
		.amdhsa_system_vgpr_workitem_id 0
		.amdhsa_next_free_vgpr 128
		.amdhsa_next_free_sgpr 46
		.amdhsa_reserve_vcc 1
		.amdhsa_reserve_flat_scratch 0
		.amdhsa_float_round_mode_32 0
		.amdhsa_float_round_mode_16_64 0
		.amdhsa_float_denorm_mode_32 3
		.amdhsa_float_denorm_mode_16_64 3
		.amdhsa_dx10_clamp 1
		.amdhsa_ieee_mode 1
		.amdhsa_fp16_overflow 0
		.amdhsa_workgroup_processor_mode 1
		.amdhsa_memory_ordered 1
		.amdhsa_forward_progress 1
		.amdhsa_shared_vgpr_count 0
		.amdhsa_exception_fp_ieee_invalid_op 0
		.amdhsa_exception_fp_denorm_src 0
		.amdhsa_exception_fp_ieee_div_zero 0
		.amdhsa_exception_fp_ieee_overflow 0
		.amdhsa_exception_fp_ieee_underflow 0
		.amdhsa_exception_fp_ieee_inexact 0
		.amdhsa_exception_int_div_zero 0
	.end_amdhsa_kernel
	.section	.text._ZN4vllm25paged_attention_v2_kernelIttLi256ELi16ELi128ELNS_18Fp8KVCacheDataTypeE0ELb1ELi512EEEvPfS2_PT_PKS3_PKT0_S9_ifPKiSB_iPKfiiiSD_SD_iiiii,"axG",@progbits,_ZN4vllm25paged_attention_v2_kernelIttLi256ELi16ELi128ELNS_18Fp8KVCacheDataTypeE0ELb1ELi512EEEvPfS2_PT_PKS3_PKT0_S9_ifPKiSB_iPKfiiiSD_SD_iiiii,comdat
.Lfunc_end98:
	.size	_ZN4vllm25paged_attention_v2_kernelIttLi256ELi16ELi128ELNS_18Fp8KVCacheDataTypeE0ELb1ELi512EEEvPfS2_PT_PKS3_PKT0_S9_ifPKiSB_iPKfiiiSD_SD_iiiii, .Lfunc_end98-_ZN4vllm25paged_attention_v2_kernelIttLi256ELi16ELi128ELNS_18Fp8KVCacheDataTypeE0ELb1ELi512EEEvPfS2_PT_PKS3_PKT0_S9_ifPKiSB_iPKfiiiSD_SD_iiiii
                                        ; -- End function
	.set _ZN4vllm25paged_attention_v2_kernelIttLi256ELi16ELi128ELNS_18Fp8KVCacheDataTypeE0ELb1ELi512EEEvPfS2_PT_PKS3_PKT0_S9_ifPKiSB_iPKfiiiSD_SD_iiiii.num_vgpr, 128
	.set _ZN4vllm25paged_attention_v2_kernelIttLi256ELi16ELi128ELNS_18Fp8KVCacheDataTypeE0ELb1ELi512EEEvPfS2_PT_PKS3_PKT0_S9_ifPKiSB_iPKfiiiSD_SD_iiiii.num_agpr, 0
	.set _ZN4vllm25paged_attention_v2_kernelIttLi256ELi16ELi128ELNS_18Fp8KVCacheDataTypeE0ELb1ELi512EEEvPfS2_PT_PKS3_PKT0_S9_ifPKiSB_iPKfiiiSD_SD_iiiii.numbered_sgpr, 46
	.set _ZN4vllm25paged_attention_v2_kernelIttLi256ELi16ELi128ELNS_18Fp8KVCacheDataTypeE0ELb1ELi512EEEvPfS2_PT_PKS3_PKT0_S9_ifPKiSB_iPKfiiiSD_SD_iiiii.num_named_barrier, 0
	.set _ZN4vllm25paged_attention_v2_kernelIttLi256ELi16ELi128ELNS_18Fp8KVCacheDataTypeE0ELb1ELi512EEEvPfS2_PT_PKS3_PKT0_S9_ifPKiSB_iPKfiiiSD_SD_iiiii.private_seg_size, 0
	.set _ZN4vllm25paged_attention_v2_kernelIttLi256ELi16ELi128ELNS_18Fp8KVCacheDataTypeE0ELb1ELi512EEEvPfS2_PT_PKS3_PKT0_S9_ifPKiSB_iPKfiiiSD_SD_iiiii.uses_vcc, 1
	.set _ZN4vllm25paged_attention_v2_kernelIttLi256ELi16ELi128ELNS_18Fp8KVCacheDataTypeE0ELb1ELi512EEEvPfS2_PT_PKS3_PKT0_S9_ifPKiSB_iPKfiiiSD_SD_iiiii.uses_flat_scratch, 0
	.set _ZN4vllm25paged_attention_v2_kernelIttLi256ELi16ELi128ELNS_18Fp8KVCacheDataTypeE0ELb1ELi512EEEvPfS2_PT_PKS3_PKT0_S9_ifPKiSB_iPKfiiiSD_SD_iiiii.has_dyn_sized_stack, 0
	.set _ZN4vllm25paged_attention_v2_kernelIttLi256ELi16ELi128ELNS_18Fp8KVCacheDataTypeE0ELb1ELi512EEEvPfS2_PT_PKS3_PKT0_S9_ifPKiSB_iPKfiiiSD_SD_iiiii.has_recursion, 0
	.set _ZN4vllm25paged_attention_v2_kernelIttLi256ELi16ELi128ELNS_18Fp8KVCacheDataTypeE0ELb1ELi512EEEvPfS2_PT_PKS3_PKT0_S9_ifPKiSB_iPKfiiiSD_SD_iiiii.has_indirect_call, 0
	.section	.AMDGPU.csdata,"",@progbits
; Kernel info:
; codeLenInByte = 19988
; TotalNumSgprs: 48
; NumVgprs: 128
; ScratchSize: 0
; MemoryBound: 0
; FloatMode: 240
; IeeeMode: 1
; LDSByteSize: 544 bytes/workgroup (compile time only)
; SGPRBlocks: 0
; VGPRBlocks: 15
; NumSGPRsForWavesPerEU: 48
; NumVGPRsForWavesPerEU: 128
; Occupancy: 8
; WaveLimiterHint : 1
; COMPUTE_PGM_RSRC2:SCRATCH_EN: 0
; COMPUTE_PGM_RSRC2:USER_SGPR: 6
; COMPUTE_PGM_RSRC2:TRAP_HANDLER: 0
; COMPUTE_PGM_RSRC2:TGID_X_EN: 1
; COMPUTE_PGM_RSRC2:TGID_Y_EN: 1
; COMPUTE_PGM_RSRC2:TGID_Z_EN: 1
; COMPUTE_PGM_RSRC2:TIDIG_COMP_CNT: 0
	.section	.text._ZN4vllm25paged_attention_v2_kernelIttLi32ELi16ELi128ELNS_18Fp8KVCacheDataTypeE0ELb0ELi512EEEvPfS2_PT_PKS3_PKT0_S9_ifPKiSB_iPKfiiiSD_SD_iiiii,"axG",@progbits,_ZN4vllm25paged_attention_v2_kernelIttLi32ELi16ELi128ELNS_18Fp8KVCacheDataTypeE0ELb0ELi512EEEvPfS2_PT_PKS3_PKT0_S9_ifPKiSB_iPKfiiiSD_SD_iiiii,comdat
	.protected	_ZN4vllm25paged_attention_v2_kernelIttLi32ELi16ELi128ELNS_18Fp8KVCacheDataTypeE0ELb0ELi512EEEvPfS2_PT_PKS3_PKT0_S9_ifPKiSB_iPKfiiiSD_SD_iiiii ; -- Begin function _ZN4vllm25paged_attention_v2_kernelIttLi32ELi16ELi128ELNS_18Fp8KVCacheDataTypeE0ELb0ELi512EEEvPfS2_PT_PKS3_PKT0_S9_ifPKiSB_iPKfiiiSD_SD_iiiii
	.globl	_ZN4vllm25paged_attention_v2_kernelIttLi32ELi16ELi128ELNS_18Fp8KVCacheDataTypeE0ELb0ELi512EEEvPfS2_PT_PKS3_PKT0_S9_ifPKiSB_iPKfiiiSD_SD_iiiii
	.p2align	8
	.type	_ZN4vllm25paged_attention_v2_kernelIttLi32ELi16ELi128ELNS_18Fp8KVCacheDataTypeE0ELb0ELi512EEEvPfS2_PT_PKS3_PKT0_S9_ifPKiSB_iPKfiiiSD_SD_iiiii,@function
_ZN4vllm25paged_attention_v2_kernelIttLi32ELi16ELi128ELNS_18Fp8KVCacheDataTypeE0ELb0ELi512EEEvPfS2_PT_PKS3_PKT0_S9_ifPKiSB_iPKfiiiSD_SD_iiiii: ; @_ZN4vllm25paged_attention_v2_kernelIttLi32ELi16ELi128ELNS_18Fp8KVCacheDataTypeE0ELb0ELi512EEEvPfS2_PT_PKS3_PKT0_S9_ifPKiSB_iPKfiiiSD_SD_iiiii
; %bb.0:
	s_load_dwordx2 s[0:1], s[4:5], 0x40
	s_mov_b32 s22, s7
	s_ashr_i32 s23, s7, 31
	s_lshl_b64 s[2:3], s[22:23], 2
	s_waitcnt lgkmcnt(0)
	s_add_u32 s0, s0, s2
	s_addc_u32 s1, s1, s3
	s_lshl_b32 s33, s8, 9
	s_load_dword s23, s[0:1], 0x0
	s_waitcnt lgkmcnt(0)
	s_cmp_ge_i32 s33, s23
	s_cbranch_scc1 .LBB99_56
; %bb.1:
	s_clause 0x1
	s_load_dword s9, s[4:5], 0x90
	s_load_dwordx2 s[30:31], s[4:5], 0x30
	s_mov_b32 s34, 0
	s_waitcnt lgkmcnt(0)
	s_abs_i32 s3, s9
	s_abs_i32 s0, s30
	v_cvt_f32_u32_e32 v1, s0
	s_sub_i32 s2, 0, s0
	v_rcp_iflag_f32_e32 v1, v1
	v_mul_f32_e32 v1, 0x4f7ffffe, v1
	v_cvt_u32_f32_e32 v1, v1
	v_readfirstlane_b32 s1, v1
	s_mul_i32 s2, s2, s1
	s_mul_hi_u32 s2, s1, s2
	s_add_i32 s1, s1, s2
	s_xor_b32 s2, s9, s30
	s_mul_hi_u32 s1, s3, s1
	s_ashr_i32 s2, s2, 31
	s_mul_i32 s7, s1, s0
	s_sub_i32 s3, s3, s7
	s_add_i32 s7, s1, 1
	s_sub_i32 s10, s3, s0
	s_cmp_ge_u32 s3, s0
	s_cselect_b32 s1, s7, s1
	s_cselect_b32 s3, s10, s3
	s_add_i32 s7, s1, 1
	s_cmp_ge_u32 s3, s0
	s_cselect_b32 s0, s7, s1
	s_abs_i32 s16, s6
	s_xor_b32 s0, s0, s2
	s_sub_i32 s10, s0, s2
	s_load_dwordx2 s[0:1], s[4:5], 0x50
	s_abs_i32 s2, s10
	v_cvt_f32_u32_e32 v1, s2
	s_sub_i32 s7, 0, s2
	v_rcp_iflag_f32_e32 v1, v1
	v_mul_f32_e32 v1, 0x4f7ffffe, v1
	v_cvt_u32_f32_e32 v1, v1
	v_readfirstlane_b32 s3, v1
	s_mul_i32 s7, s7, s3
	s_mul_hi_u32 s7, s3, s7
	s_add_i32 s3, s3, s7
	s_waitcnt lgkmcnt(0)
	s_cmp_eq_u64 s[0:1], 0
	s_mul_hi_u32 s3, s16, s3
	s_cbranch_scc1 .LBB99_3
; %bb.2:
	s_ashr_i32 s7, s6, 31
	s_lshl_b64 s[12:13], s[6:7], 2
	s_add_u32 s0, s0, s12
	s_addc_u32 s1, s1, s13
	s_load_dword s34, s[0:1], 0x0
.LBB99_3:
	s_load_dwordx4 s[12:15], s[4:5], 0x58
	v_lshrrev_b32_e32 v10, 1, v0
	v_and_b32_e32 v11, 1, v0
	v_lshlrev_b32_e32 v3, 3, v0
	s_ashr_i32 s0, s6, 31
	s_ashr_i32 s1, s10, 31
	s_lshl_b32 s10, s6, 5
	s_mov_b32 s7, exec_lo
	v_cmpx_gt_u32_e32 8, v0
	s_cbranch_execz .LBB99_5
; %bb.4:
	s_load_dwordx2 s[18:19], s[4:5], 0x18
	s_waitcnt lgkmcnt(0)
	s_mul_i32 s20, s12, s22
	v_lshlrev_b32_e32 v4, 3, v10
	s_ashr_i32 s21, s20, 31
	s_lshl_b64 s[20:21], s[20:21], 1
	v_lshl_add_u32 v4, v11, 5, v4
	s_add_u32 s12, s18, s20
	s_addc_u32 s15, s19, s21
	s_ashr_i32 s11, s10, 31
	s_lshl_b64 s[18:19], s[10:11], 1
	s_add_u32 s18, s12, s18
	s_addc_u32 s19, s15, s19
	global_load_dwordx2 v[1:2], v3, s[18:19]
	s_waitcnt vmcnt(0)
	ds_write_b64 v4, v[1:2]
.LBB99_5:
	s_or_b32 exec_lo, exec_lo, s7
	s_add_i32 s7, s23, 15
	s_load_dwordx2 s[24:25], s[4:5], 0x38
	s_waitcnt lgkmcnt(0)
	s_load_dword s15, s[4:5], 0x48
	s_ashr_i32 s11, s7, 31
	s_lshl_b32 s12, s8, 5
	s_lshr_b32 s11, s11, 28
	s_xor_b32 s0, s0, s1
	s_add_i32 s7, s7, s11
	s_add_i32 s1, s12, 32
	s_ashr_i32 s30, s7, 4
	s_mul_i32 s7, s3, s2
	s_min_i32 s11, s1, s30
	s_sub_i32 s1, s16, s7
	s_add_i32 s7, s3, 1
	s_sub_i32 s16, s1, s2
	s_cmp_ge_u32 s1, s2
	v_lshrrev_b32_e32 v12, 5, v0
	s_cselect_b32 s3, s7, s3
	s_cselect_b32 s1, s16, s1
	s_add_i32 s7, s3, 1
	s_cmp_ge_u32 s1, s2
	v_or_b32_e32 v5, s12, v12
	s_cselect_b32 s1, s7, s3
	v_mbcnt_lo_u32_b32 v4, -1, 0
	s_xor_b32 s1, s1, s0
	s_waitcnt lgkmcnt(0)
	s_mul_i32 s26, s15, s22
	s_sub_i32 s1, s1, s0
	v_cmp_gt_i32_e64 s0, s11, v5
	s_ashr_i32 s27, s26, 31
	s_mov_b32 s2, exec_lo
	s_barrier
	buffer_gl0_inv
                                        ; implicit-def: $vgpr7
                                        ; implicit-def: $vgpr8
	v_cmpx_le_i32_e64 s11, v5
	s_xor_b32 s2, exec_lo, s2
; %bb.6:
	v_mov_b32_e32 v7, 0
	v_mbcnt_lo_u32_b32 v4, -1, 0
	v_mov_b32_e32 v8, 32
; %bb.7:
	s_or_saveexec_b32 s35, s2
	s_clause 0x3
	s_load_dwordx4 s[16:19], s[4:5], 0x0
	s_load_dwordx2 s[20:21], s[4:5], 0x10
	s_load_dwordx2 s[28:29], s[4:5], 0x28
	s_load_dword s7, s[4:5], 0x98
	v_mov_b32_e32 v9, 0xff7fffff
	v_ashrrev_i32_e32 v6, 31, v5
	s_mul_i32 s14, s1, s14
	s_xor_b32 exec_lo, exec_lo, s35
	s_cbranch_execz .LBB99_13
; %bb.8:
	s_load_dwordx2 s[2:3], s[4:5], 0x20
	v_bfe_u32 v8, v0, 1, 4
	s_ashr_i32 s15, s14, 31
	v_lshlrev_b32_e32 v14, 4, v12
	s_lshl_b64 s[4:5], s[14:15], 1
	v_and_b32_e32 v9, 8, v3
	v_lshlrev_b32_e32 v16, 4, v8
	v_lshlrev_b32_e32 v1, 2, v8
	v_add3_u32 v14, s33, v14, v8
	v_mov_b32_e32 v7, 0
	v_lshlrev_b32_e32 v13, 5, v11
	v_cmp_neq_f32_e64 s1, s34, 0
	v_lshl_or_b32 v15, v12, 6, v1
	v_lshlrev_b64 v[1:2], 2, v[5:6]
	v_xor_b32_e32 v18, 1, v4
	v_mov_b32_e32 v19, v5
	v_cmp_eq_u32_e32 vcc_lo, 0, v11
	v_add_nc_u32_e32 v15, 0x60, v15
	s_waitcnt lgkmcnt(0)
	s_add_u32 s15, s2, s4
	s_addc_u32 s5, s3, s5
	v_add_co_u32 v8, s15, s15, v16
	v_add_co_ci_u32_e64 v17, null, s5, 0, s15
	s_lshl_b64 s[2:3], s[26:27], 2
	s_sub_i32 s4, 1, s23
	s_add_u32 s5, s24, s2
	v_add_co_u32 v16, s2, v8, v9
	v_add_co_ci_u32_e64 v17, null, 0, v17, s2
	s_addc_u32 s3, s25, s3
	v_add_co_u32 v1, s2, s5, v1
	v_add_co_ci_u32_e64 v2, null, s3, v2, s2
	v_mov_b32_e32 v9, 0xff7fffff
	v_mov_b32_e32 v8, 32
	s_mov_b32 s15, s13
	s_mov_b32 s5, 0
	s_branch .LBB99_10
.LBB99_9:                               ;   in Loop: Header=BB99_10 Depth=1
	s_or_b32 exec_lo, exec_lo, s3
	v_add_nc_u32_e32 v19, 4, v19
	v_add_co_u32 v1, s3, v1, 16
	v_add_nc_u32_e32 v14, 64, v14
	v_add_nc_u32_e32 v15, 0x100, v15
	v_cmp_le_i32_e64 s2, s11, v19
	v_add_co_ci_u32_e64 v2, null, 0, v2, s3
	s_or_b32 s5, s2, s5
	s_andn2_b32 exec_lo, exec_lo, s5
	s_cbranch_execz .LBB99_12
.LBB99_10:                              ; =>This Inner Loop Header: Depth=1
	global_load_dword v20, v[1:2], off
	s_waitcnt vmcnt(0) lgkmcnt(0)
	v_mad_i64_i32 v[20:21], null, v20, s15, 0
	v_lshlrev_b64 v[20:21], 1, v[20:21]
	v_add_co_u32 v20, s2, v16, v20
	v_add_co_ci_u32_e64 v21, null, v17, v21, s2
	v_cmp_gt_i32_e64 s2, 32, v18
	s_clause 0x3
	global_load_dwordx2 v[22:23], v[20:21], off
	global_load_dwordx2 v[24:25], v[20:21], off offset:256
	global_load_dwordx2 v[26:27], v[20:21], off offset:512
	;; [unrolled: 1-line block ×3, first 2 shown]
	ds_read_b64 v[28:29], v13
	s_waitcnt lgkmcnt(0)
	v_and_b32_e32 v30, 0xffff, v28
	v_lshrrev_b32_e32 v31, 16, v28
	v_lshrrev_b32_e32 v33, 16, v29
	v_and_b32_e32 v32, 0xffff, v29
	;;#ASMSTART
	v_cvt_f32_f16 v28, v30;
	;;#ASMEND
	;;#ASMSTART
	v_cvt_f32_f16 v29, v31;
	;;#ASMEND
	s_waitcnt vmcnt(3)
	v_and_b32_e32 v30, 0xffff, v22
	v_lshrrev_b32_e32 v22, 16, v22
	v_lshrrev_b32_e32 v35, 16, v23
	v_and_b32_e32 v23, 0xffff, v23
	;;#ASMSTART
	v_cvt_f32_f16 v30, v30;
	;;#ASMEND
	;;#ASMSTART
	v_cvt_f32_f16 v31, v22;
	;;#ASMEND
	;; [unrolled: 3-line block ×6, first 2 shown]
	ds_read_b64 v[22:23], v13 offset:8
	s_waitcnt vmcnt(2)
	v_lshrrev_b32_e32 v37, 16, v24
	v_and_b32_e32 v36, 0xffff, v24
	v_lshrrev_b32_e32 v41, 16, v25
	v_and_b32_e32 v40, 0xffff, v25
	s_waitcnt vmcnt(1)
	v_lshrrev_b32_e32 v43, 16, v26
	v_and_b32_e32 v42, 0xffff, v26
	v_lshrrev_b32_e32 v47, 16, v27
	v_and_b32_e32 v46, 0xffff, v27
	s_waitcnt vmcnt(0)
	v_lshrrev_b32_e32 v48, 16, v20
	v_and_b32_e32 v49, 0xffff, v20
	s_waitcnt lgkmcnt(0)
	v_and_b32_e32 v24, 0xffff, v22
	v_lshrrev_b32_e32 v22, 16, v22
	v_lshrrev_b32_e32 v39, 16, v23
	v_and_b32_e32 v23, 0xffff, v23
	;;#ASMSTART
	v_cvt_f32_f16 v24, v24;
	;;#ASMEND
	;;#ASMSTART
	v_cvt_f32_f16 v25, v22;
	;;#ASMEND
	;; [unrolled: 3-line block ×8, first 2 shown]
	ds_read_b64 v[22:23], v13 offset:16
	v_mul_f32_e32 v20, v24, v36
	v_mul_f32_e32 v24, v25, v37
	;; [unrolled: 1-line block ×4, first 2 shown]
	v_lshrrev_b32_e32 v37, 16, v21
	v_fmac_f32_e32 v20, v28, v30
	v_fmac_f32_e32 v24, v29, v31
	;; [unrolled: 1-line block ×3, first 2 shown]
	v_and_b32_e32 v28, 0xffff, v21
	v_fmac_f32_e32 v36, v33, v35
	s_waitcnt lgkmcnt(0)
	v_and_b32_e32 v26, 0xffff, v22
	v_lshrrev_b32_e32 v22, 16, v22
	v_lshrrev_b32_e32 v45, 16, v23
	v_and_b32_e32 v23, 0xffff, v23
	;;#ASMSTART
	v_cvt_f32_f16 v26, v26;
	;;#ASMEND
	;;#ASMSTART
	v_cvt_f32_f16 v27, v22;
	;;#ASMEND
	;; [unrolled: 3-line block ×8, first 2 shown]
	ds_read_b64 v[22:23], v13 offset:24
	v_fmac_f32_e32 v20, v26, v42
	v_fmac_f32_e32 v24, v27, v43
	;; [unrolled: 1-line block ×4, first 2 shown]
	s_waitcnt lgkmcnt(0)
	v_and_b32_e32 v21, 0xffff, v22
	v_lshrrev_b32_e32 v22, 16, v22
	v_lshrrev_b32_e32 v27, 16, v23
	v_and_b32_e32 v29, 0xffff, v23
	;;#ASMSTART
	v_cvt_f32_f16 v21, v21;
	;;#ASMEND
	;;#ASMSTART
	v_cvt_f32_f16 v22, v22;
	;;#ASMEND
	;; [unrolled: 3-line block ×4, first 2 shown]
	v_fmac_f32_e32 v20, v21, v23
	v_fmac_f32_e32 v24, v22, v26
	;;#ASMSTART
	v_cvt_f32_f16 v21, v29;
	;;#ASMEND
	;;#ASMSTART
	v_cvt_f32_f16 v22, v27;
	;;#ASMEND
	;; [unrolled: 3-line block ×3, first 2 shown]
	v_fmac_f32_e32 v25, v21, v23
	v_add_f32_e32 v20, v20, v24
	;;#ASMSTART
	v_cvt_f32_f16 v21, v37;
	;;#ASMEND
	v_fmac_f32_e32 v36, v22, v21
	v_cndmask_b32_e64 v21, v4, v18, s2
	v_add_f32_e32 v20, v20, v25
	v_lshlrev_b32_e32 v21, 2, v21
	v_add_f32_e32 v20, v36, v20
	ds_bpermute_b32 v21, v21, v20
	s_and_saveexec_b32 s3, vcc_lo
	s_cbranch_execz .LBB99_9
; %bb.11:                               ;   in Loop: Header=BB99_10 Depth=1
	v_add_nc_u32_e32 v22, s4, v14
	s_waitcnt lgkmcnt(0)
	v_add_f32_e32 v20, v20, v21
	v_cmp_gt_i32_e64 s2, s23, v14
	v_cvt_f32_i32_e32 v22, v22
	v_mul_f32_e32 v22, s34, v22
	v_cndmask_b32_e64 v21, 0, v22, s1
	v_max_f32_e32 v22, v9, v9
	v_fmac_f32_e32 v21, s31, v20
	v_max_f32_e32 v20, v22, v21
	v_cndmask_b32_e64 v21, 0, v21, s2
	v_cndmask_b32_e64 v9, v9, v20, s2
	ds_write_b32 v15, v21
	s_branch .LBB99_9
.LBB99_12:
	s_or_b32 exec_lo, exec_lo, s5
.LBB99_13:
	s_or_b32 exec_lo, exec_lo, s35
	v_xor_b32_e32 v1, 16, v4
	v_xor_b32_e32 v2, 8, v4
	v_max_f32_e32 v13, v9, v9
	v_lshlrev_b32_e32 v17, 2, v12
	v_cmp_lt_i32_e32 vcc_lo, v1, v8
	v_cndmask_b32_e32 v1, v4, v1, vcc_lo
	v_cmp_lt_i32_e32 vcc_lo, v2, v8
	v_lshlrev_b32_e32 v15, 2, v1
	v_cndmask_b32_e32 v2, v4, v2, vcc_lo
	ds_bpermute_b32 v1, v15, v9
	v_lshlrev_b32_e32 v9, 2, v2
	s_waitcnt lgkmcnt(0)
	v_max_f32_e32 v1, v1, v1
	v_max_f32_e32 v1, v13, v1
	v_xor_b32_e32 v13, 4, v4
	ds_bpermute_b32 v2, v9, v1
	v_cmp_lt_i32_e32 vcc_lo, v13, v8
	v_cndmask_b32_e32 v13, v4, v13, vcc_lo
	v_lshlrev_b32_e32 v16, 2, v13
	v_xor_b32_e32 v13, 2, v4
	v_cmp_lt_i32_e32 vcc_lo, v13, v8
	s_waitcnt lgkmcnt(0)
	v_max_f32_e32 v2, v2, v2
	v_cndmask_b32_e32 v13, v4, v13, vcc_lo
	v_max_f32_e32 v1, v1, v2
	ds_bpermute_b32 v2, v16, v1
	s_waitcnt lgkmcnt(0)
	v_max_f32_e32 v2, v2, v2
	v_max_f32_e32 v1, v1, v2
	v_lshlrev_b32_e32 v2, 2, v13
	v_and_b32_e32 v13, 31, v0
	ds_bpermute_b32 v14, v2, v1
	v_cmp_eq_u32_e32 vcc_lo, 0, v13
	s_and_saveexec_b32 s1, vcc_lo
	s_cbranch_execz .LBB99_15
; %bb.14:
	s_waitcnt lgkmcnt(0)
	v_max_f32_e32 v14, v14, v14
	v_max_f32_e32 v1, v1, v1
	;; [unrolled: 1-line block ×3, first 2 shown]
	ds_write_b32 v17, v1 offset:64
.LBB99_15:
	s_or_b32 exec_lo, exec_lo, s1
	v_cmp_gt_u32_e64 s1, 4, v13
	v_mov_b32_e32 v1, 0xff7fffff
	v_lshlrev_b32_e32 v18, 2, v13
	s_waitcnt lgkmcnt(0)
	s_barrier
	buffer_gl0_inv
	s_and_saveexec_b32 s2, s1
; %bb.16:
	ds_read_b32 v1, v18 offset:64
; %bb.17:
	s_or_b32 exec_lo, exec_lo, s2
	s_waitcnt lgkmcnt(0)
	ds_bpermute_b32 v14, v2, v1
	v_xor_b32_e32 v19, 1, v4
	v_max_f32_e32 v1, v1, v1
	v_lshlrev_b32_e32 v7, 2, v7
	v_cmp_lt_i32_e64 s2, v19, v8
	v_cndmask_b32_e64 v8, v4, v19, s2
	s_sub_i32 s2, s11, s12
	s_lshl_b32 s2, s2, 4
	s_add_i32 s2, s2, s33
	s_min_i32 s2, s2, s23
	s_sub_i32 s4, s2, s33
	s_waitcnt lgkmcnt(0)
	v_max_f32_e32 v19, v14, v14
	v_lshlrev_b32_e32 v14, 2, v8
	v_cmp_gt_i32_e64 s2, s4, v0
	v_max_f32_e32 v1, v1, v19
	ds_bpermute_b32 v8, v14, v1
	s_waitcnt lgkmcnt(0)
	v_max_f32_e32 v8, v8, v8
	v_max_f32_e32 v1, v1, v8
	v_mov_b32_e32 v8, 0
	ds_bpermute_b32 v1, v7, v1
	v_lshl_add_u32 v7, v0, 2, 0x60
	s_and_saveexec_b32 s5, s2
	s_cbranch_execz .LBB99_21
; %bb.18:
	v_lshl_add_u32 v19, v0, 2, 0x60
	v_mov_b32_e32 v8, 0
	v_mov_b32_e32 v20, v0
	s_mov_b32 s15, 0
	.p2align	6
.LBB99_19:                              ; =>This Inner Loop Header: Depth=1
	ds_read_b32 v21, v19
	v_add_nc_u32_e32 v20, 0x80, v20
	v_cmp_le_i32_e64 s3, s4, v20
	s_or_b32 s15, s3, s15
	s_waitcnt lgkmcnt(0)
	v_sub_f32_e32 v21, v21, v1
	v_mul_f32_e32 v21, 0x3fb8aa3b, v21
	v_exp_f32_e32 v21, v21
	ds_write_b32 v19, v21
	v_add_f32_e32 v8, v8, v21
	v_add_nc_u32_e32 v19, 0x200, v19
	s_andn2_b32 exec_lo, exec_lo, s15
	s_cbranch_execnz .LBB99_19
; %bb.20:
	s_or_b32 exec_lo, exec_lo, s15
.LBB99_21:
	s_or_b32 exec_lo, exec_lo, s5
	ds_bpermute_b32 v15, v15, v8
	s_waitcnt lgkmcnt(0)
	v_add_f32_e32 v8, v8, v15
	ds_bpermute_b32 v9, v9, v8
	s_waitcnt lgkmcnt(0)
	v_add_f32_e32 v8, v8, v9
	;; [unrolled: 3-line block ×5, first 2 shown]
	s_and_saveexec_b32 s3, vcc_lo
; %bb.22:
	ds_write_b32 v17, v8 offset:80
; %bb.23:
	s_or_b32 exec_lo, exec_lo, s3
	s_waitcnt lgkmcnt(0)
	s_barrier
	buffer_gl0_inv
	s_and_saveexec_b32 s3, s1
; %bb.24:
	ds_read_b32 v8, v18 offset:80
; %bb.25:
	s_or_b32 exec_lo, exec_lo, s3
	s_waitcnt lgkmcnt(0)
	ds_bpermute_b32 v2, v2, v8
	v_lshlrev_b32_e32 v4, 2, v4
	v_and_b32_e32 v4, 0xffffff80, v4
	s_waitcnt lgkmcnt(0)
	v_add_f32_e32 v2, v8, v2
	ds_bpermute_b32 v8, v14, v2
	s_waitcnt lgkmcnt(0)
	v_add_f32_e32 v2, v2, v8
	ds_bpermute_b32 v2, v4, v2
	s_and_saveexec_b32 s1, s2
	s_cbranch_execz .LBB99_28
; %bb.26:
	s_waitcnt lgkmcnt(0)
	v_add_f32_e32 v4, 0x358637bd, v2
	s_mov_b32 s2, 0
	v_div_scale_f32 v8, null, v4, v4, 1.0
	v_div_scale_f32 v16, vcc_lo, 1.0, v4, 1.0
	v_rcp_f32_e32 v9, v8
	v_fma_f32 v15, -v8, v9, 1.0
	v_fmac_f32_e32 v9, v15, v9
	v_mul_f32_e32 v15, v16, v9
	v_fma_f32 v17, -v8, v15, v16
	v_fmac_f32_e32 v15, v17, v9
	v_fma_f32 v8, -v8, v15, v16
	v_div_fmas_f32 v8, v8, v9, v15
	v_div_fixup_f32 v4, v8, v4, 1.0
	v_mov_b32_e32 v8, v0
.LBB99_27:                              ; =>This Inner Loop Header: Depth=1
	ds_read_b32 v9, v7
	v_add_nc_u32_e32 v8, 0x80, v8
	v_cmp_le_i32_e32 vcc_lo, s4, v8
	s_or_b32 s2, vcc_lo, s2
	s_waitcnt lgkmcnt(0)
	v_mul_f32_e32 v9, v4, v9
	ds_write_b32 v7, v9
	v_add_nc_u32_e32 v7, 0x200, v7
	s_andn2_b32 exec_lo, exec_lo, s2
	s_cbranch_execnz .LBB99_27
.LBB99_28:
	s_or_b32 exec_lo, exec_lo, s1
	s_mul_i32 s1, s7, s22
	s_waitcnt lgkmcnt(0)
	s_mul_i32 s2, s1, s9
	s_mov_b32 s1, exec_lo
	s_barrier
	buffer_gl0_inv
	v_cmpx_eq_u32_e32 0, v0
	s_cbranch_execz .LBB99_30
; %bb.29:
	s_ashr_i32 s3, s2, 31
	s_mul_i32 s34, s7, s6
	s_lshl_b64 s[4:5], s[2:3], 2
	v_mov_b32_e32 v4, 0
	s_add_u32 s3, s18, s4
	s_addc_u32 s6, s19, s5
	s_ashr_i32 s35, s34, 31
	s_lshl_b64 s[18:19], s[34:35], 2
	s_add_u32 s3, s3, s18
	s_addc_u32 s6, s6, s19
	s_ashr_i32 s9, s8, 31
	s_lshl_b64 s[8:9], s[8:9], 2
	s_add_u32 s34, s3, s8
	s_addc_u32 s35, s6, s9
	s_add_u32 s3, s16, s4
	s_addc_u32 s4, s17, s5
	;; [unrolled: 2-line block ×4, first 2 shown]
	global_store_dword v4, v1, s[34:35]
	global_store_dword v4, v2, s[4:5]
.LBB99_30:
	s_or_b32 exec_lo, exec_lo, s1
	v_mov_b32_e32 v15, 0
	v_mov_b32_e32 v16, 0
	s_and_saveexec_b32 s3, s0
	s_cbranch_execz .LBB99_38
; %bb.31:
	v_lshlrev_b32_e32 v2, 4, v0
	s_ashr_i32 s15, s14, 31
	v_and_b32_e32 v1, 8, v3
	v_lshl_add_u32 v4, v12, 4, s33
	s_lshl_b64 s[0:1], s[14:15], 1
	v_and_b32_e32 v2, 0x1f0, v2
	s_add_u32 s0, s28, s0
	v_lshlrev_b32_e32 v3, 5, v11
	s_addc_u32 s1, s29, s1
	v_add3_u32 v20, v4, v1, 7
	v_add_co_u32 v18, s0, s0, v2
	v_lshlrev_b64 v[1:2], 2, v[5:6]
	v_add_co_ci_u32_e64 v19, null, s1, 0, s0
	s_lshl_b64 s[0:1], s[26:27], 2
	s_add_i32 s30, s30, -1
	v_lshl_or_b32 v3, v12, 6, v3
	s_add_u32 s0, s24, s0
	s_addc_u32 s1, s25, s1
	v_add_co_u32 v6, vcc_lo, s0, v1
	v_mov_b32_e32 v17, 0
	v_add_nc_u32_e32 v21, 0x60, v3
	v_add_co_ci_u32_e64 v7, null, s1, v2, vcc_lo
	v_mov_b32_e32 v16, 0
	v_mov_b32_e32 v15, 0
	s_mov_b32 s5, s13
	s_mov_b32 s4, 0
	s_branch .LBB99_33
.LBB99_32:                              ;   in Loop: Header=BB99_33 Depth=1
	s_or_b32 exec_lo, exec_lo, s1
	v_lshlrev_b32_e32 v22, 16, v35
	v_lshlrev_b32_e32 v9, 16, v9
	;; [unrolled: 1-line block ×3, first 2 shown]
	v_add_nc_u32_e32 v5, 4, v5
	v_add_co_u32 v6, s0, v6, 16
	v_and_or_b32 v1, 0xffff, v1, v22
	v_and_or_b32 v2, 0xffff, v2, v9
	;; [unrolled: 1-line block ×3, first 2 shown]
	;;#ASMSTART
	v_pk_mul_f16 v1, v30, v1;

	;;#ASMEND
	;;#ASMSTART
	v_pk_mul_f16 v2, v29, v2;

	;;#ASMEND
	;; [unrolled: 4-line block ×4, first 2 shown]
	;;#ASMSTART
	v_pk_add_f16 v1, v1, v2;

	;;#ASMEND
	;;#ASMSTART
	v_pk_add_f16 v1, v1, v3;

	;;#ASMEND
	;; [unrolled: 4-line block ×3, first 2 shown]
	v_and_b32_e32 v2, 0xffff, v1
	v_lshrrev_b32_e32 v3, 16, v1
	;;#ASMSTART
	v_cvt_f32_f16 v2, v2;
	;;#ASMEND
	v_add_f32_e32 v1, v33, v34
	;;#ASMSTART
	v_cvt_f32_f16 v3, v3;
	;;#ASMEND
	v_add_f32_e32 v2, v2, v3
	v_cmp_le_i32_e32 vcc_lo, s11, v5
	v_add_nc_u32_e32 v20, 64, v20
	v_add_nc_u32_e32 v21, 0x100, v21
	v_add_f32_e32 v16, v16, v1
	v_add_f32_e32 v15, v15, v2
	v_add_co_ci_u32_e64 v7, null, 0, v7, s0
	s_or_b32 s4, vcc_lo, s4
	s_andn2_b32 exec_lo, exec_lo, s4
	s_cbranch_execz .LBB99_37
.LBB99_33:                              ; =>This Inner Loop Header: Depth=1
	global_load_dword v8, v[6:7], off
	ds_read2_b64 v[1:4], v21 offset1:1
	ds_read2_b64 v[22:25], v21 offset0:2 offset1:3
	v_add_nc_u32_e32 v26, -7, v20
	v_cmp_eq_u32_e64 s0, s30, v5
	v_add_nc_u32_e32 v28, -6, v20
	v_add_nc_u32_e32 v27, -1, v20
	s_waitcnt lgkmcnt(1)
	;;#ASMSTART
	v_cvt_f16_f32 v30, v1;

	;;#ASMEND
	;;#ASMSTART
	v_cvt_f16_f32 v29, v2;

	;;#ASMEND
	;; [unrolled: 4-line block ×4, first 2 shown]
	s_waitcnt lgkmcnt(0)
	;;#ASMSTART
	v_cvt_f16_f32 v36, v22;

	;;#ASMEND
	;;#ASMSTART
	v_cvt_f16_f32 v32, v23;

	;;#ASMEND
	;; [unrolled: 4-line block ×4, first 2 shown]
	v_add_nc_u32_e32 v25, -5, v20
	v_add_nc_u32_e32 v24, -4, v20
	v_add_nc_u32_e32 v23, -3, v20
	v_add_nc_u32_e32 v22, -2, v20
	s_waitcnt vmcnt(0)
	v_mad_i64_i32 v[8:9], null, v8, s5, 0
	v_lshlrev_b64 v[8:9], 1, v[8:9]
	v_add_co_u32 v8, vcc_lo, v18, v8
	v_add_co_ci_u32_e64 v9, null, v19, v9, vcc_lo
	global_load_dwordx4 v[1:4], v[8:9], off
	s_waitcnt vmcnt(0)
	v_lshrrev_b32_e32 v39, 16, v1
	v_lshrrev_b32_e32 v38, 16, v2
	;; [unrolled: 1-line block ×3, first 2 shown]
	s_and_saveexec_b32 s6, s0
	s_cbranch_execz .LBB99_35
; %bb.34:                               ;   in Loop: Header=BB99_33 Depth=1
	v_cmp_gt_i32_e32 vcc_lo, s23, v26
	v_and_b32_e32 v40, 0xffff0000, v4
	v_cmp_gt_i32_e64 s1, s23, v25
	v_cndmask_b32_e32 v1, 0, v1, vcc_lo
	v_cmp_gt_i32_e32 vcc_lo, s23, v28
	v_cndmask_b32_e64 v2, 0, v2, s1
	v_cmp_gt_i32_e64 s1, s23, v24
	v_cndmask_b32_e32 v39, 0, v39, vcc_lo
	v_cmp_gt_i32_e32 vcc_lo, s23, v27
	v_cndmask_b32_e64 v38, 0, v38, s1
	v_cndmask_b32_sdwa v4, v17, v4, vcc_lo dst_sel:DWORD dst_unused:UNUSED_PAD src0_sel:DWORD src1_sel:WORD_0
	v_cmp_gt_i32_e32 vcc_lo, s23, v20
	v_cndmask_b32_e32 v40, 0, v40, vcc_lo
	v_cmp_gt_i32_e32 vcc_lo, s23, v23
	v_or_b32_e32 v4, v4, v40
	v_cndmask_b32_e32 v3, 0, v3, vcc_lo
	v_cmp_gt_i32_e32 vcc_lo, s23, v22
	v_cndmask_b32_e32 v37, 0, v37, vcc_lo
.LBB99_35:                              ;   in Loop: Header=BB99_33 Depth=1
	s_or_b32 exec_lo, exec_lo, s6
	v_and_b32_e32 v30, 0xffff, v30
	v_and_b32_e32 v35, 0xffff, v35
	v_lshlrev_b32_e32 v39, 16, v39
	v_and_b32_e32 v36, 0xffff, v36
	v_and_b32_e32 v34, 0xffff, v34
	v_lshl_or_b32 v30, v29, 16, v30
	v_lshl_or_b32 v29, v33, 16, v35
	v_lshlrev_b32_e32 v33, 16, v38
	v_lshlrev_b32_e32 v35, 16, v37
	v_and_or_b32 v1, 0xffff, v1, v39
	;;#ASMSTART
	v_pk_mul_f16 v1, v30, v1;

	;;#ASMEND
	v_lshl_or_b32 v32, v32, 16, v36
	v_and_or_b32 v2, 0xffff, v2, v33
	v_and_or_b32 v3, 0xffff, v3, v35
	v_lshl_or_b32 v31, v31, 16, v34
	;;#ASMSTART
	v_pk_mul_f16 v2, v29, v2;

	;;#ASMEND
	;;#ASMSTART
	v_pk_mul_f16 v3, v32, v3;

	;;#ASMEND
	;; [unrolled: 4-line block ×3, first 2 shown]
	;;#ASMSTART
	v_pk_add_f16 v1, v1, v2;

	;;#ASMEND
	;;#ASMSTART
	v_pk_add_f16 v1, v1, v3;

	;;#ASMEND
	;; [unrolled: 4-line block ×3, first 2 shown]
	v_and_b32_e32 v2, 0xffff, v1
	v_lshrrev_b32_e32 v1, 16, v1
	;;#ASMSTART
	v_cvt_f32_f16 v33, v2;
	;;#ASMEND
	;;#ASMSTART
	v_cvt_f32_f16 v34, v1;
	;;#ASMEND
	global_load_dwordx4 v[1:4], v[8:9], off offset:512
	s_waitcnt vmcnt(0)
	v_lshrrev_b32_e32 v35, 16, v1
	v_lshrrev_b32_e32 v9, 16, v2
	;; [unrolled: 1-line block ×3, first 2 shown]
	s_and_saveexec_b32 s1, s0
	s_cbranch_execz .LBB99_32
; %bb.36:                               ;   in Loop: Header=BB99_33 Depth=1
	v_cmp_gt_i32_e32 vcc_lo, s23, v26
	v_cmp_gt_i32_e64 s0, s23, v25
	v_cndmask_b32_e32 v1, 0, v1, vcc_lo
	v_cmp_gt_i32_e32 vcc_lo, s23, v28
	v_cndmask_b32_e64 v2, 0, v2, s0
	v_cmp_gt_i32_e64 s0, s23, v24
	v_and_b32_e32 v24, 0xffff0000, v4
	v_cndmask_b32_e32 v35, 0, v35, vcc_lo
	v_cmp_gt_i32_e32 vcc_lo, s23, v27
	v_cndmask_b32_e64 v9, 0, v9, s0
	v_cndmask_b32_sdwa v4, v17, v4, vcc_lo dst_sel:DWORD dst_unused:UNUSED_PAD src0_sel:DWORD src1_sel:WORD_0
	v_cmp_gt_i32_e32 vcc_lo, s23, v20
	v_cndmask_b32_e32 v24, 0, v24, vcc_lo
	v_cmp_gt_i32_e32 vcc_lo, s23, v23
	v_or_b32_e32 v4, v4, v24
	v_cndmask_b32_e32 v3, 0, v3, vcc_lo
	v_cmp_gt_i32_e32 vcc_lo, s23, v22
	v_cndmask_b32_e32 v8, 0, v8, vcc_lo
	s_branch .LBB99_32
.LBB99_37:
	s_or_b32 exec_lo, exec_lo, s4
.LBB99_38:
	s_or_b32 exec_lo, exec_lo, s3
	ds_bpermute_b32 v1, v14, v16
	ds_bpermute_b32 v5, v14, v15
	v_lshrrev_b32_e32 v3, 1, v13
	v_and_b32_e32 v6, 0x3c1, v0
	s_mov_b32 s0, exec_lo
	s_waitcnt lgkmcnt(0)
	s_waitcnt_vscnt null, 0x0
	s_barrier
	v_lshl_add_u32 v4, v3, 2, 0x60
	buffer_gl0_inv
	v_add_f32_e32 v2, v16, v1
	v_add_f32_e32 v1, v15, v5
	v_cmpx_eq_u32_e32 64, v6
	s_cbranch_execz .LBB99_40
; %bb.39:
	v_lshl_add_u32 v5, v12, 7, v4
	v_add_nc_u32_e32 v6, 0xffffff00, v5
	v_add_nc_u32_e32 v5, 0xffffff40, v5
	ds_write_b32 v6, v2
	ds_write_b32 v5, v1
.LBB99_40:
	s_or_b32 exec_lo, exec_lo, s0
	v_and_b32_e32 v5, 0x3e0, v0
	v_lshlrev_b32_e32 v3, 2, v3
	s_mov_b32 s1, exec_lo
	v_cmp_eq_u32_e32 vcc_lo, 0, v11
	s_waitcnt lgkmcnt(0)
	v_lshlrev_b32_e32 v5, 2, v5
	s_barrier
	buffer_gl0_inv
	v_add3_u32 v3, 0x60, v5, v3
	v_cmpx_gt_u32_e32 64, v0
	s_cbranch_execz .LBB99_46
; %bb.41:
	s_and_saveexec_b32 s0, vcc_lo
	s_cbranch_execz .LBB99_43
; %bb.42:
	ds_read_b32 v5, v3
	s_waitcnt lgkmcnt(0)
	v_add_f32_e32 v2, v2, v5
.LBB99_43:
	s_or_b32 exec_lo, exec_lo, s0
	s_and_saveexec_b32 s0, vcc_lo
	s_cbranch_execz .LBB99_45
; %bb.44:
	ds_read_b32 v5, v3 offset:64
	s_waitcnt lgkmcnt(0)
	v_add_f32_e32 v1, v1, v5
.LBB99_45:
	s_or_b32 exec_lo, exec_lo, s0
.LBB99_46:
	s_or_b32 exec_lo, exec_lo, s1
	v_and_b32_e32 v5, 0x3e1, v0
	s_mov_b32 s1, exec_lo
	s_barrier
	buffer_gl0_inv
	v_cmpx_eq_u32_e32 32, v5
; %bb.47:
	ds_write2_b32 v4, v2, v1 offset1:16
; %bb.48:
	s_or_b32 exec_lo, exec_lo, s1
	s_mov_b32 s1, exec_lo
	s_waitcnt lgkmcnt(0)
	s_barrier
	buffer_gl0_inv
	v_cmpx_gt_u32_e32 32, v0
	s_cbranch_execz .LBB99_54
; %bb.49:
	s_and_saveexec_b32 s0, vcc_lo
	s_cbranch_execz .LBB99_51
; %bb.50:
	ds_read_b32 v0, v3
	s_waitcnt lgkmcnt(0)
	v_add_f32_e32 v2, v2, v0
.LBB99_51:
	s_or_b32 exec_lo, exec_lo, s0
	s_and_saveexec_b32 s0, vcc_lo
	s_cbranch_execz .LBB99_53
; %bb.52:
	ds_read_b32 v0, v3 offset:64
	s_waitcnt lgkmcnt(0)
	v_add_f32_e32 v1, v1, v0
.LBB99_53:
	s_or_b32 exec_lo, exec_lo, s0
.LBB99_54:
	s_or_b32 exec_lo, exec_lo, s1
	s_barrier
	buffer_gl0_inv
	s_mov_b32 s0, exec_lo
	v_cmpx_eq_u32_e32 0, v5
	s_cbranch_execz .LBB99_56
; %bb.55:
	s_lshl_b32 s0, s2, 5
	s_mul_i32 s2, s7, s10
	s_ashr_i32 s1, s0, 31
	v_lshlrev_b32_e32 v0, 1, v10
	s_lshl_b64 s[0:1], s[0:1], 1
	;;#ASMSTART
	v_cvt_f16_f32 v2, v2;

	;;#ASMEND
	s_add_u32 s4, s20, s0
	s_addc_u32 s5, s21, s1
	s_ashr_i32 s3, s2, 31
	s_lshl_b64 s[0:1], s[2:3], 1
	s_add_u32 s2, s4, s0
	s_addc_u32 s3, s5, s1
	s_ashr_i32 s13, s12, 31
	s_lshl_b64 s[0:1], s[12:13], 1
	s_add_u32 s0, s2, s0
	s_addc_u32 s1, s3, s1
	global_store_short v0, v2, s[0:1]
	;;#ASMSTART
	v_cvt_f16_f32 v1, v1;

	;;#ASMEND
	global_store_short v0, v1, s[0:1] offset:32
.LBB99_56:
	s_endpgm
	.section	.rodata,"a",@progbits
	.p2align	6, 0x0
	.amdhsa_kernel _ZN4vllm25paged_attention_v2_kernelIttLi32ELi16ELi128ELNS_18Fp8KVCacheDataTypeE0ELb0ELi512EEEvPfS2_PT_PKS3_PKT0_S9_ifPKiSB_iPKfiiiSD_SD_iiiii
		.amdhsa_group_segment_fixed_size 96
		.amdhsa_private_segment_fixed_size 0
		.amdhsa_kernarg_size 400
		.amdhsa_user_sgpr_count 6
		.amdhsa_user_sgpr_private_segment_buffer 1
		.amdhsa_user_sgpr_dispatch_ptr 0
		.amdhsa_user_sgpr_queue_ptr 0
		.amdhsa_user_sgpr_kernarg_segment_ptr 1
		.amdhsa_user_sgpr_dispatch_id 0
		.amdhsa_user_sgpr_flat_scratch_init 0
		.amdhsa_user_sgpr_private_segment_size 0
		.amdhsa_wavefront_size32 1
		.amdhsa_uses_dynamic_stack 0
		.amdhsa_system_sgpr_private_segment_wavefront_offset 0
		.amdhsa_system_sgpr_workgroup_id_x 1
		.amdhsa_system_sgpr_workgroup_id_y 1
		.amdhsa_system_sgpr_workgroup_id_z 1
		.amdhsa_system_sgpr_workgroup_info 0
		.amdhsa_system_vgpr_workitem_id 0
		.amdhsa_next_free_vgpr 50
		.amdhsa_next_free_sgpr 36
		.amdhsa_reserve_vcc 1
		.amdhsa_reserve_flat_scratch 0
		.amdhsa_float_round_mode_32 0
		.amdhsa_float_round_mode_16_64 0
		.amdhsa_float_denorm_mode_32 3
		.amdhsa_float_denorm_mode_16_64 3
		.amdhsa_dx10_clamp 1
		.amdhsa_ieee_mode 1
		.amdhsa_fp16_overflow 0
		.amdhsa_workgroup_processor_mode 1
		.amdhsa_memory_ordered 1
		.amdhsa_forward_progress 1
		.amdhsa_shared_vgpr_count 0
		.amdhsa_exception_fp_ieee_invalid_op 0
		.amdhsa_exception_fp_denorm_src 0
		.amdhsa_exception_fp_ieee_div_zero 0
		.amdhsa_exception_fp_ieee_overflow 0
		.amdhsa_exception_fp_ieee_underflow 0
		.amdhsa_exception_fp_ieee_inexact 0
		.amdhsa_exception_int_div_zero 0
	.end_amdhsa_kernel
	.section	.text._ZN4vllm25paged_attention_v2_kernelIttLi32ELi16ELi128ELNS_18Fp8KVCacheDataTypeE0ELb0ELi512EEEvPfS2_PT_PKS3_PKT0_S9_ifPKiSB_iPKfiiiSD_SD_iiiii,"axG",@progbits,_ZN4vllm25paged_attention_v2_kernelIttLi32ELi16ELi128ELNS_18Fp8KVCacheDataTypeE0ELb0ELi512EEEvPfS2_PT_PKS3_PKT0_S9_ifPKiSB_iPKfiiiSD_SD_iiiii,comdat
.Lfunc_end99:
	.size	_ZN4vllm25paged_attention_v2_kernelIttLi32ELi16ELi128ELNS_18Fp8KVCacheDataTypeE0ELb0ELi512EEEvPfS2_PT_PKS3_PKT0_S9_ifPKiSB_iPKfiiiSD_SD_iiiii, .Lfunc_end99-_ZN4vllm25paged_attention_v2_kernelIttLi32ELi16ELi128ELNS_18Fp8KVCacheDataTypeE0ELb0ELi512EEEvPfS2_PT_PKS3_PKT0_S9_ifPKiSB_iPKfiiiSD_SD_iiiii
                                        ; -- End function
	.set _ZN4vllm25paged_attention_v2_kernelIttLi32ELi16ELi128ELNS_18Fp8KVCacheDataTypeE0ELb0ELi512EEEvPfS2_PT_PKS3_PKT0_S9_ifPKiSB_iPKfiiiSD_SD_iiiii.num_vgpr, 50
	.set _ZN4vllm25paged_attention_v2_kernelIttLi32ELi16ELi128ELNS_18Fp8KVCacheDataTypeE0ELb0ELi512EEEvPfS2_PT_PKS3_PKT0_S9_ifPKiSB_iPKfiiiSD_SD_iiiii.num_agpr, 0
	.set _ZN4vllm25paged_attention_v2_kernelIttLi32ELi16ELi128ELNS_18Fp8KVCacheDataTypeE0ELb0ELi512EEEvPfS2_PT_PKS3_PKT0_S9_ifPKiSB_iPKfiiiSD_SD_iiiii.numbered_sgpr, 36
	.set _ZN4vllm25paged_attention_v2_kernelIttLi32ELi16ELi128ELNS_18Fp8KVCacheDataTypeE0ELb0ELi512EEEvPfS2_PT_PKS3_PKT0_S9_ifPKiSB_iPKfiiiSD_SD_iiiii.num_named_barrier, 0
	.set _ZN4vllm25paged_attention_v2_kernelIttLi32ELi16ELi128ELNS_18Fp8KVCacheDataTypeE0ELb0ELi512EEEvPfS2_PT_PKS3_PKT0_S9_ifPKiSB_iPKfiiiSD_SD_iiiii.private_seg_size, 0
	.set _ZN4vllm25paged_attention_v2_kernelIttLi32ELi16ELi128ELNS_18Fp8KVCacheDataTypeE0ELb0ELi512EEEvPfS2_PT_PKS3_PKT0_S9_ifPKiSB_iPKfiiiSD_SD_iiiii.uses_vcc, 1
	.set _ZN4vllm25paged_attention_v2_kernelIttLi32ELi16ELi128ELNS_18Fp8KVCacheDataTypeE0ELb0ELi512EEEvPfS2_PT_PKS3_PKT0_S9_ifPKiSB_iPKfiiiSD_SD_iiiii.uses_flat_scratch, 0
	.set _ZN4vllm25paged_attention_v2_kernelIttLi32ELi16ELi128ELNS_18Fp8KVCacheDataTypeE0ELb0ELi512EEEvPfS2_PT_PKS3_PKT0_S9_ifPKiSB_iPKfiiiSD_SD_iiiii.has_dyn_sized_stack, 0
	.set _ZN4vllm25paged_attention_v2_kernelIttLi32ELi16ELi128ELNS_18Fp8KVCacheDataTypeE0ELb0ELi512EEEvPfS2_PT_PKS3_PKT0_S9_ifPKiSB_iPKfiiiSD_SD_iiiii.has_recursion, 0
	.set _ZN4vllm25paged_attention_v2_kernelIttLi32ELi16ELi128ELNS_18Fp8KVCacheDataTypeE0ELb0ELi512EEEvPfS2_PT_PKS3_PKT0_S9_ifPKiSB_iPKfiiiSD_SD_iiiii.has_indirect_call, 0
	.section	.AMDGPU.csdata,"",@progbits
; Kernel info:
; codeLenInByte = 4888
; TotalNumSgprs: 38
; NumVgprs: 50
; ScratchSize: 0
; MemoryBound: 0
; FloatMode: 240
; IeeeMode: 1
; LDSByteSize: 96 bytes/workgroup (compile time only)
; SGPRBlocks: 0
; VGPRBlocks: 6
; NumSGPRsForWavesPerEU: 38
; NumVGPRsForWavesPerEU: 50
; Occupancy: 16
; WaveLimiterHint : 1
; COMPUTE_PGM_RSRC2:SCRATCH_EN: 0
; COMPUTE_PGM_RSRC2:USER_SGPR: 6
; COMPUTE_PGM_RSRC2:TRAP_HANDLER: 0
; COMPUTE_PGM_RSRC2:TGID_X_EN: 1
; COMPUTE_PGM_RSRC2:TGID_Y_EN: 1
; COMPUTE_PGM_RSRC2:TGID_Z_EN: 1
; COMPUTE_PGM_RSRC2:TIDIG_COMP_CNT: 0
	.section	.text._ZN4vllm25paged_attention_v2_kernelIttLi64ELi16ELi128ELNS_18Fp8KVCacheDataTypeE0ELb0ELi512EEEvPfS2_PT_PKS3_PKT0_S9_ifPKiSB_iPKfiiiSD_SD_iiiii,"axG",@progbits,_ZN4vllm25paged_attention_v2_kernelIttLi64ELi16ELi128ELNS_18Fp8KVCacheDataTypeE0ELb0ELi512EEEvPfS2_PT_PKS3_PKT0_S9_ifPKiSB_iPKfiiiSD_SD_iiiii,comdat
	.protected	_ZN4vllm25paged_attention_v2_kernelIttLi64ELi16ELi128ELNS_18Fp8KVCacheDataTypeE0ELb0ELi512EEEvPfS2_PT_PKS3_PKT0_S9_ifPKiSB_iPKfiiiSD_SD_iiiii ; -- Begin function _ZN4vllm25paged_attention_v2_kernelIttLi64ELi16ELi128ELNS_18Fp8KVCacheDataTypeE0ELb0ELi512EEEvPfS2_PT_PKS3_PKT0_S9_ifPKiSB_iPKfiiiSD_SD_iiiii
	.globl	_ZN4vllm25paged_attention_v2_kernelIttLi64ELi16ELi128ELNS_18Fp8KVCacheDataTypeE0ELb0ELi512EEEvPfS2_PT_PKS3_PKT0_S9_ifPKiSB_iPKfiiiSD_SD_iiiii
	.p2align	8
	.type	_ZN4vllm25paged_attention_v2_kernelIttLi64ELi16ELi128ELNS_18Fp8KVCacheDataTypeE0ELb0ELi512EEEvPfS2_PT_PKS3_PKT0_S9_ifPKiSB_iPKfiiiSD_SD_iiiii,@function
_ZN4vllm25paged_attention_v2_kernelIttLi64ELi16ELi128ELNS_18Fp8KVCacheDataTypeE0ELb0ELi512EEEvPfS2_PT_PKS3_PKT0_S9_ifPKiSB_iPKfiiiSD_SD_iiiii: ; @_ZN4vllm25paged_attention_v2_kernelIttLi64ELi16ELi128ELNS_18Fp8KVCacheDataTypeE0ELb0ELi512EEEvPfS2_PT_PKS3_PKT0_S9_ifPKiSB_iPKfiiiSD_SD_iiiii
; %bb.0:
	s_load_dwordx2 s[0:1], s[4:5], 0x40
	s_mov_b32 s22, s7
	s_ashr_i32 s23, s7, 31
	s_lshl_b64 s[2:3], s[22:23], 2
	s_waitcnt lgkmcnt(0)
	s_add_u32 s0, s0, s2
	s_addc_u32 s1, s1, s3
	s_lshl_b32 s33, s8, 9
	s_load_dword s23, s[0:1], 0x0
	s_waitcnt lgkmcnt(0)
	s_cmp_ge_i32 s33, s23
	s_cbranch_scc1 .LBB100_62
; %bb.1:
	s_clause 0x1
	s_load_dword s9, s[4:5], 0x90
	s_load_dwordx2 s[30:31], s[4:5], 0x30
	s_mov_b32 s34, 0
	s_waitcnt lgkmcnt(0)
	s_abs_i32 s3, s9
	s_abs_i32 s0, s30
	v_cvt_f32_u32_e32 v1, s0
	s_sub_i32 s2, 0, s0
	v_rcp_iflag_f32_e32 v1, v1
	v_mul_f32_e32 v1, 0x4f7ffffe, v1
	v_cvt_u32_f32_e32 v1, v1
	v_readfirstlane_b32 s1, v1
	s_mul_i32 s2, s2, s1
	s_mul_hi_u32 s2, s1, s2
	s_add_i32 s1, s1, s2
	s_xor_b32 s2, s9, s30
	s_mul_hi_u32 s1, s3, s1
	s_ashr_i32 s2, s2, 31
	s_mul_i32 s7, s1, s0
	s_sub_i32 s3, s3, s7
	s_add_i32 s7, s1, 1
	s_sub_i32 s10, s3, s0
	s_cmp_ge_u32 s3, s0
	s_cselect_b32 s1, s7, s1
	s_cselect_b32 s3, s10, s3
	s_add_i32 s7, s1, 1
	s_cmp_ge_u32 s3, s0
	s_cselect_b32 s0, s7, s1
	s_abs_i32 s16, s6
	s_xor_b32 s0, s0, s2
	s_sub_i32 s10, s0, s2
	s_load_dwordx2 s[0:1], s[4:5], 0x50
	s_abs_i32 s2, s10
	v_cvt_f32_u32_e32 v1, s2
	s_sub_i32 s7, 0, s2
	v_rcp_iflag_f32_e32 v1, v1
	v_mul_f32_e32 v1, 0x4f7ffffe, v1
	v_cvt_u32_f32_e32 v1, v1
	v_readfirstlane_b32 s3, v1
	s_mul_i32 s7, s7, s3
	s_mul_hi_u32 s7, s3, s7
	s_add_i32 s3, s3, s7
	s_waitcnt lgkmcnt(0)
	s_cmp_eq_u64 s[0:1], 0
	s_mul_hi_u32 s3, s16, s3
	s_cbranch_scc1 .LBB100_3
; %bb.2:
	s_ashr_i32 s7, s6, 31
	s_lshl_b64 s[12:13], s[6:7], 2
	s_add_u32 s0, s0, s12
	s_addc_u32 s1, s1, s13
	s_load_dword s34, s[0:1], 0x0
.LBB100_3:
	s_load_dwordx4 s[12:15], s[4:5], 0x58
	v_lshrrev_b32_e32 v15, 1, v0
	v_and_b32_e32 v16, 1, v0
	v_lshlrev_b32_e32 v18, 3, v0
	s_ashr_i32 s0, s6, 31
	s_ashr_i32 s1, s10, 31
	s_lshl_b32 s10, s6, 6
	s_mov_b32 s7, exec_lo
	v_cmpx_gt_u32_e32 16, v0
	s_cbranch_execz .LBB100_5
; %bb.4:
	s_load_dwordx2 s[18:19], s[4:5], 0x18
	s_waitcnt lgkmcnt(0)
	s_mul_i32 s20, s12, s22
	v_lshlrev_b32_e32 v3, 3, v15
	s_ashr_i32 s21, s20, 31
	s_lshl_b64 s[20:21], s[20:21], 1
	v_lshl_add_u32 v3, v16, 6, v3
	s_add_u32 s12, s18, s20
	s_addc_u32 s15, s19, s21
	s_ashr_i32 s11, s10, 31
	s_lshl_b64 s[18:19], s[10:11], 1
	s_add_u32 s18, s12, s18
	s_addc_u32 s19, s15, s19
	global_load_dwordx2 v[1:2], v18, s[18:19]
	s_waitcnt vmcnt(0)
	ds_write_b64 v3, v[1:2]
.LBB100_5:
	s_or_b32 exec_lo, exec_lo, s7
	s_add_i32 s7, s23, 15
	s_load_dwordx2 s[24:25], s[4:5], 0x38
	s_waitcnt lgkmcnt(0)
	s_load_dword s15, s[4:5], 0x48
	s_ashr_i32 s11, s7, 31
	s_lshl_b32 s30, s8, 5
	s_lshr_b32 s11, s11, 28
	s_xor_b32 s0, s0, s1
	s_add_i32 s7, s7, s11
	s_add_i32 s1, s30, 32
	s_ashr_i32 s12, s7, 4
	s_mul_i32 s7, s3, s2
	s_min_i32 s11, s1, s12
	s_sub_i32 s1, s16, s7
	s_add_i32 s7, s3, 1
	s_sub_i32 s16, s1, s2
	s_cmp_ge_u32 s1, s2
	v_lshrrev_b32_e32 v17, 5, v0
	s_cselect_b32 s3, s7, s3
	s_cselect_b32 s1, s16, s1
	s_add_i32 s7, s3, 1
	s_cmp_ge_u32 s1, s2
	v_or_b32_e32 v5, s30, v17
	s_cselect_b32 s1, s7, s3
	v_mbcnt_lo_u32_b32 v19, -1, 0
	s_xor_b32 s1, s1, s0
	s_waitcnt lgkmcnt(0)
	s_mul_i32 s26, s15, s22
	s_sub_i32 s1, s1, s0
	v_cmp_gt_i32_e64 s0, s11, v5
	s_ashr_i32 s27, s26, 31
	s_mov_b32 s2, exec_lo
	s_barrier
	buffer_gl0_inv
                                        ; implicit-def: $vgpr20
                                        ; implicit-def: $vgpr21
	v_cmpx_le_i32_e64 s11, v5
	s_xor_b32 s2, exec_lo, s2
; %bb.6:
	v_mov_b32_e32 v20, 0
	v_mbcnt_lo_u32_b32 v19, -1, 0
	v_mov_b32_e32 v21, 32
; %bb.7:
	s_or_saveexec_b32 s35, s2
	s_clause 0x3
	s_load_dwordx4 s[16:19], s[4:5], 0x0
	s_load_dwordx2 s[20:21], s[4:5], 0x10
	s_load_dwordx2 s[28:29], s[4:5], 0x28
	s_load_dword s7, s[4:5], 0x98
	v_mov_b32_e32 v22, 0xff7fffff
	v_ashrrev_i32_e32 v6, 31, v5
	s_mul_i32 s14, s1, s14
	s_xor_b32 exec_lo, exec_lo, s35
	s_cbranch_execz .LBB100_13
; %bb.8:
	s_load_dwordx2 s[2:3], s[4:5], 0x20
	v_bfe_u32 v3, v0, 1, 4
	s_ashr_i32 s15, s14, 31
	v_lshlrev_b32_e32 v7, 4, v17
	s_lshl_b64 s[4:5], s[14:15], 1
	v_and_b32_e32 v4, 8, v18
	v_lshlrev_b32_e32 v9, 4, v3
	v_lshlrev_b32_e32 v1, 2, v3
	v_add3_u32 v24, s33, v7, v3
	v_mov_b32_e32 v20, 0
	v_lshlrev_b32_e32 v23, 6, v16
	v_cmp_neq_f32_e64 s1, s34, 0
	v_lshl_or_b32 v8, v17, 6, v1
	v_lshlrev_b64 v[1:2], 2, v[5:6]
	v_mov_b32_e32 v22, 0xff7fffff
	v_xor_b32_e32 v28, 1, v19
	v_mov_b32_e32 v21, 32
	v_add_nc_u32_e32 v25, 0xa0, v8
	v_mov_b32_e32 v29, v5
	v_cmp_eq_u32_e32 vcc_lo, 0, v16
	s_waitcnt lgkmcnt(0)
	s_add_u32 s15, s2, s4
	s_addc_u32 s5, s3, s5
	v_add_co_u32 v3, s15, s15, v9
	v_add_co_ci_u32_e64 v7, null, s5, 0, s15
	s_lshl_b64 s[2:3], s[26:27], 2
	s_sub_i32 s4, 1, s23
	s_add_u32 s5, s24, s2
	v_add_co_u32 v26, s2, v3, v4
	v_add_co_ci_u32_e64 v27, null, 0, v7, s2
	s_addc_u32 s3, s25, s3
	v_add_co_u32 v1, s2, s5, v1
	v_add_co_ci_u32_e64 v2, null, s3, v2, s2
	s_mov_b32 s15, s13
	s_mov_b32 s5, 0
	s_branch .LBB100_10
.LBB100_9:                              ;   in Loop: Header=BB100_10 Depth=1
	s_or_b32 exec_lo, exec_lo, s3
	v_add_nc_u32_e32 v29, 4, v29
	v_add_co_u32 v1, s3, v1, 16
	v_add_nc_u32_e32 v24, 64, v24
	v_add_nc_u32_e32 v25, 0x100, v25
	v_cmp_le_i32_e64 s2, s11, v29
	v_add_co_ci_u32_e64 v2, null, 0, v2, s3
	s_or_b32 s5, s2, s5
	s_andn2_b32 exec_lo, exec_lo, s5
	s_cbranch_execz .LBB100_12
.LBB100_10:                             ; =>This Inner Loop Header: Depth=1
	global_load_dword v3, v[1:2], off
	s_waitcnt vmcnt(0) lgkmcnt(0)
	v_mad_i64_i32 v[3:4], null, v3, s15, 0
	v_lshlrev_b64 v[3:4], 1, v[3:4]
	v_add_co_u32 v3, s2, v26, v3
	v_add_co_ci_u32_e64 v4, null, v27, v4, s2
	v_cmp_gt_i32_e64 s2, 32, v28
	s_clause 0x7
	global_load_dwordx2 v[31:32], v[3:4], off
	global_load_dwordx2 v[38:39], v[3:4], off offset:256
	global_load_dwordx2 v[46:47], v[3:4], off offset:512
	;; [unrolled: 1-line block ×7, first 2 shown]
	ds_read_b64 v[33:34], v23
	s_waitcnt lgkmcnt(0)
	v_and_b32_e32 v30, 0xffff, v33
	v_lshrrev_b32_e32 v33, 16, v33
	v_lshrrev_b32_e32 v36, 16, v34
	v_and_b32_e32 v37, 0xffff, v34
	;;#ASMSTART
	v_cvt_f32_f16 v30, v30;
	;;#ASMEND
	s_waitcnt vmcnt(7)
	v_and_b32_e32 v34, 0xffff, v31
	v_lshrrev_b32_e32 v35, 16, v31
	v_lshrrev_b32_e32 v40, 16, v32
	v_and_b32_e32 v41, 0xffff, v32
	;;#ASMSTART
	v_cvt_f32_f16 v31, v33;
	;;#ASMEND
	;;#ASMSTART
	v_cvt_f32_f16 v34, v34;
	;;#ASMEND
	;; [unrolled: 3-line block ×7, first 2 shown]
	ds_read_b64 v[40:41], v23 offset:8
	s_waitcnt vmcnt(6)
	v_lshrrev_b32_e32 v43, 16, v38
	v_and_b32_e32 v42, 0xffff, v38
	v_lshrrev_b32_e32 v45, 16, v39
	v_and_b32_e32 v44, 0xffff, v39
	s_waitcnt vmcnt(5)
	v_lshrrev_b32_e32 v53, 16, v46
	v_and_b32_e32 v46, 0xffff, v46
	v_lshrrev_b32_e32 v56, 16, v47
	v_and_b32_e32 v47, 0xffff, v47
	;; [unrolled: 5-line block ×4, first 2 shown]
	s_waitcnt vmcnt(2)
	v_lshrrev_b32_e32 v69, 16, v9
	v_and_b32_e32 v9, 0xffff, v9
	v_lshrrev_b32_e32 v73, 16, v10
	s_waitcnt lgkmcnt(0)
	v_and_b32_e32 v38, 0xffff, v40
	v_lshrrev_b32_e32 v40, 16, v40
	v_lshrrev_b32_e32 v48, 16, v41
	v_and_b32_e32 v41, 0xffff, v41
	;;#ASMSTART
	v_cvt_f32_f16 v38, v38;
	;;#ASMEND
	;;#ASMSTART
	v_cvt_f32_f16 v39, v40;
	;;#ASMEND
	;; [unrolled: 3-line block ×8, first 2 shown]
	ds_read_b64 v[48:49], v23 offset:16
	v_and_b32_e32 v10, 0xffff, v10
	v_mul_f32_e32 v38, v38, v42
	v_mul_f32_e32 v39, v39, v43
	;; [unrolled: 1-line block ×4, first 2 shown]
	s_waitcnt vmcnt(1)
	v_lshrrev_b32_e32 v74, 16, v7
	v_fmac_f32_e32 v38, v30, v34
	v_fmac_f32_e32 v39, v31, v35
	;; [unrolled: 1-line block ×3, first 2 shown]
	v_and_b32_e32 v7, 0xffff, v7
	v_lshrrev_b32_e32 v75, 16, v8
	v_and_b32_e32 v8, 0xffff, v8
	v_fmac_f32_e32 v41, v33, v37
	s_waitcnt vmcnt(0)
	v_lshrrev_b32_e32 v42, 16, v3
	v_and_b32_e32 v36, 0xffff, v3
	s_waitcnt lgkmcnt(0)
	v_and_b32_e32 v50, 0xffff, v48
	v_lshrrev_b32_e32 v48, 16, v48
	v_lshrrev_b32_e32 v55, 16, v49
	v_and_b32_e32 v49, 0xffff, v49
	;;#ASMSTART
	v_cvt_f32_f16 v50, v50;
	;;#ASMEND
	;;#ASMSTART
	v_cvt_f32_f16 v51, v48;
	;;#ASMEND
	;;#ASMSTART
	v_cvt_f32_f16 v52, v46;
	;;#ASMEND
	;;#ASMSTART
	v_cvt_f32_f16 v53, v53;
	;;#ASMEND
	;;#ASMSTART
	v_cvt_f32_f16 v54, v49;
	;;#ASMEND
	;;#ASMSTART
	v_cvt_f32_f16 v46, v55;
	;;#ASMEND
	;;#ASMSTART
	v_cvt_f32_f16 v55, v47;
	;;#ASMEND
	;;#ASMSTART
	v_cvt_f32_f16 v47, v56;
	;;#ASMEND
	ds_read_b64 v[48:49], v23 offset:24
	v_fmac_f32_e32 v38, v50, v52
	v_fmac_f32_e32 v39, v51, v53
	v_fmac_f32_e32 v40, v54, v55
	v_fmac_f32_e32 v41, v46, v47
	s_waitcnt lgkmcnt(0)
	v_and_b32_e32 v56, 0xffff, v48
	v_lshrrev_b32_e32 v58, 16, v48
	v_lshrrev_b32_e32 v59, 16, v49
	v_and_b32_e32 v60, 0xffff, v49
	;;#ASMSTART
	v_cvt_f32_f16 v48, v56;
	;;#ASMEND
	;;#ASMSTART
	v_cvt_f32_f16 v49, v58;
	;;#ASMEND
	;;#ASMSTART
	v_cvt_f32_f16 v56, v13;
	;;#ASMEND
	;;#ASMSTART
	v_cvt_f32_f16 v57, v57;
	;;#ASMEND
	;;#ASMSTART
	v_cvt_f32_f16 v58, v60;
	;;#ASMEND
	;;#ASMSTART
	v_cvt_f32_f16 v59, v59;
	;;#ASMEND
	;;#ASMSTART
	v_cvt_f32_f16 v60, v14;
	;;#ASMEND
	;;#ASMSTART
	v_cvt_f32_f16 v61, v61;
	;;#ASMEND
	ds_read_b64 v[13:14], v23 offset:32
	v_fmac_f32_e32 v38, v48, v56
	v_fmac_f32_e32 v39, v49, v57
	v_fmac_f32_e32 v40, v58, v60
	v_fmac_f32_e32 v41, v59, v61
	;; [unrolled: 34-line block ×3, first 2 shown]
	v_lshrrev_b32_e32 v13, 16, v4
	s_waitcnt lgkmcnt(0)
	v_and_b32_e32 v68, 0xffff, v11
	v_lshrrev_b32_e32 v70, 16, v11
	v_lshrrev_b32_e32 v71, 16, v12
	v_and_b32_e32 v72, 0xffff, v12
	;;#ASMSTART
	v_cvt_f32_f16 v11, v68;
	;;#ASMEND
	;;#ASMSTART
	v_cvt_f32_f16 v12, v70;
	;;#ASMEND
	;;#ASMSTART
	v_cvt_f32_f16 v68, v9;
	;;#ASMEND
	;;#ASMSTART
	v_cvt_f32_f16 v69, v69;
	;;#ASMEND
	;;#ASMSTART
	v_cvt_f32_f16 v70, v72;
	;;#ASMEND
	;;#ASMSTART
	v_cvt_f32_f16 v71, v71;
	;;#ASMEND
	;;#ASMSTART
	v_cvt_f32_f16 v72, v10;
	;;#ASMEND
	;;#ASMSTART
	v_cvt_f32_f16 v73, v73;
	;;#ASMEND
	ds_read_b64 v[9:10], v23 offset:48
	v_fmac_f32_e32 v38, v11, v68
	v_fmac_f32_e32 v39, v12, v69
	;; [unrolled: 1-line block ×3, first 2 shown]
	v_and_b32_e32 v11, 0xffff, v4
	v_fmac_f32_e32 v41, v71, v73
	s_waitcnt lgkmcnt(0)
	v_and_b32_e32 v30, 0xffff, v9
	v_lshrrev_b32_e32 v31, 16, v9
	v_lshrrev_b32_e32 v33, 16, v10
	v_and_b32_e32 v32, 0xffff, v10
	;;#ASMSTART
	v_cvt_f32_f16 v9, v30;
	;;#ASMEND
	;;#ASMSTART
	v_cvt_f32_f16 v10, v31;
	;;#ASMEND
	;; [unrolled: 3-line block ×8, first 2 shown]
	ds_read_b64 v[7:8], v23 offset:56
	v_fmac_f32_e32 v38, v9, v30
	v_fmac_f32_e32 v39, v10, v31
	;; [unrolled: 1-line block ×4, first 2 shown]
	s_waitcnt lgkmcnt(0)
	v_and_b32_e32 v3, 0xffff, v7
	v_lshrrev_b32_e32 v4, 16, v7
	v_lshrrev_b32_e32 v9, 16, v8
	v_and_b32_e32 v10, 0xffff, v8
	;;#ASMSTART
	v_cvt_f32_f16 v3, v3;
	;;#ASMEND
	;;#ASMSTART
	v_cvt_f32_f16 v4, v4;
	;;#ASMEND
	;; [unrolled: 3-line block ×4, first 2 shown]
	v_fmac_f32_e32 v38, v3, v7
	v_fmac_f32_e32 v39, v4, v8
	;;#ASMSTART
	v_cvt_f32_f16 v3, v10;
	;;#ASMEND
	;;#ASMSTART
	v_cvt_f32_f16 v4, v9;
	;;#ASMEND
	;; [unrolled: 3-line block ×3, first 2 shown]
	v_fmac_f32_e32 v40, v3, v7
	v_add_f32_e32 v3, v38, v39
	;;#ASMSTART
	v_cvt_f32_f16 v7, v13;
	;;#ASMEND
	v_fmac_f32_e32 v41, v4, v7
	v_cndmask_b32_e64 v4, v19, v28, s2
	v_add_f32_e32 v3, v3, v40
	v_lshlrev_b32_e32 v4, 2, v4
	v_add_f32_e32 v3, v41, v3
	ds_bpermute_b32 v4, v4, v3
	s_and_saveexec_b32 s3, vcc_lo
	s_cbranch_execz .LBB100_9
; %bb.11:                               ;   in Loop: Header=BB100_10 Depth=1
	v_add_nc_u32_e32 v7, s4, v24
	s_waitcnt lgkmcnt(0)
	v_add_f32_e32 v3, v3, v4
	v_cmp_gt_i32_e64 s2, s23, v24
	v_cvt_f32_i32_e32 v7, v7
	v_mul_f32_e32 v7, s34, v7
	v_cndmask_b32_e64 v4, 0, v7, s1
	v_max_f32_e32 v7, v22, v22
	v_fmac_f32_e32 v4, s31, v3
	v_max_f32_e32 v3, v7, v4
	v_cndmask_b32_e64 v4, 0, v4, s2
	v_cndmask_b32_e64 v22, v22, v3, s2
	ds_write_b32 v25, v4
	s_branch .LBB100_9
.LBB100_12:
	s_or_b32 exec_lo, exec_lo, s5
.LBB100_13:
	s_or_b32 exec_lo, exec_lo, s35
	v_xor_b32_e32 v1, 16, v19
	v_xor_b32_e32 v2, 8, v19
	s_waitcnt lgkmcnt(0)
	v_max_f32_e32 v4, v22, v22
	v_and_b32_e32 v10, 31, v0
	v_lshlrev_b32_e32 v9, 2, v17
	v_cmp_lt_i32_e32 vcc_lo, v1, v21
	v_cndmask_b32_e32 v1, v19, v1, vcc_lo
	v_cmp_lt_i32_e32 vcc_lo, v2, v21
	v_lshlrev_b32_e32 v3, 2, v1
	v_cndmask_b32_e32 v2, v19, v2, vcc_lo
	ds_bpermute_b32 v1, v3, v22
	v_lshlrev_b32_e32 v7, 2, v2
	s_waitcnt lgkmcnt(0)
	v_max_f32_e32 v1, v1, v1
	v_max_f32_e32 v1, v4, v1
	v_xor_b32_e32 v4, 4, v19
	ds_bpermute_b32 v2, v7, v1
	v_cmp_lt_i32_e32 vcc_lo, v4, v21
	v_cndmask_b32_e32 v4, v19, v4, vcc_lo
	v_lshlrev_b32_e32 v8, 2, v4
	v_xor_b32_e32 v4, 2, v19
	v_cmp_lt_i32_e32 vcc_lo, v4, v21
	s_waitcnt lgkmcnt(0)
	v_max_f32_e32 v2, v2, v2
	v_cndmask_b32_e32 v4, v19, v4, vcc_lo
	v_cmp_eq_u32_e32 vcc_lo, 0, v10
	v_max_f32_e32 v1, v1, v2
	ds_bpermute_b32 v2, v8, v1
	s_waitcnt lgkmcnt(0)
	v_max_f32_e32 v2, v2, v2
	v_max_f32_e32 v1, v1, v2
	v_lshlrev_b32_e32 v2, 2, v4
	ds_bpermute_b32 v4, v2, v1
	s_and_saveexec_b32 s1, vcc_lo
	s_cbranch_execz .LBB100_15
; %bb.14:
	s_waitcnt lgkmcnt(0)
	v_max_f32_e32 v4, v4, v4
	v_max_f32_e32 v1, v1, v1
	;; [unrolled: 1-line block ×3, first 2 shown]
	ds_write_b32 v9, v1 offset:128
.LBB100_15:
	s_or_b32 exec_lo, exec_lo, s1
	v_cmp_gt_u32_e64 s1, 4, v10
	v_mov_b32_e32 v1, 0xff7fffff
	v_lshlrev_b32_e32 v12, 2, v10
	s_waitcnt lgkmcnt(0)
	s_barrier
	buffer_gl0_inv
	s_and_saveexec_b32 s2, s1
; %bb.16:
	ds_read_b32 v1, v12 offset:128
; %bb.17:
	s_or_b32 exec_lo, exec_lo, s2
	s_waitcnt lgkmcnt(0)
	ds_bpermute_b32 v4, v2, v1
	v_xor_b32_e32 v11, 1, v19
	v_max_f32_e32 v1, v1, v1
	v_mov_b32_e32 v13, 0
	v_cmp_lt_i32_e64 s2, v11, v21
	v_cndmask_b32_e64 v11, v19, v11, s2
	s_sub_i32 s2, s11, s30
	s_lshl_b32 s2, s2, 4
	v_lshlrev_b32_e32 v11, 2, v11
	s_add_i32 s2, s2, s33
	s_min_i32 s2, s2, s23
	s_waitcnt lgkmcnt(0)
	v_max_f32_e32 v4, v4, v4
	s_sub_i32 s4, s2, s33
	v_cmp_gt_i32_e64 s2, s4, v0
	v_max_f32_e32 v1, v1, v4
	ds_bpermute_b32 v4, v11, v1
	s_waitcnt lgkmcnt(0)
	v_max_f32_e32 v4, v4, v4
	v_max_f32_e32 v1, v1, v4
	v_lshlrev_b32_e32 v4, 2, v20
	ds_bpermute_b32 v1, v4, v1
	v_lshl_add_u32 v4, v0, 2, 0xa0
	s_and_saveexec_b32 s5, s2
	s_cbranch_execz .LBB100_21
; %bb.18:
	v_lshl_add_u32 v14, v0, 2, 0xa0
	v_mov_b32_e32 v13, 0
	v_mov_b32_e32 v20, v0
	s_mov_b32 s15, 0
	.p2align	6
.LBB100_19:                             ; =>This Inner Loop Header: Depth=1
	ds_read_b32 v21, v14
	v_add_nc_u32_e32 v20, 0x80, v20
	v_cmp_le_i32_e64 s3, s4, v20
	s_or_b32 s15, s3, s15
	s_waitcnt lgkmcnt(0)
	v_sub_f32_e32 v21, v21, v1
	v_mul_f32_e32 v21, 0x3fb8aa3b, v21
	v_exp_f32_e32 v21, v21
	ds_write_b32 v14, v21
	v_add_f32_e32 v13, v13, v21
	v_add_nc_u32_e32 v14, 0x200, v14
	s_andn2_b32 exec_lo, exec_lo, s15
	s_cbranch_execnz .LBB100_19
; %bb.20:
	s_or_b32 exec_lo, exec_lo, s15
.LBB100_21:
	s_or_b32 exec_lo, exec_lo, s5
	ds_bpermute_b32 v3, v3, v13
	s_waitcnt lgkmcnt(0)
	v_add_f32_e32 v3, v13, v3
	ds_bpermute_b32 v7, v7, v3
	s_waitcnt lgkmcnt(0)
	v_add_f32_e32 v3, v3, v7
	;; [unrolled: 3-line block ×5, first 2 shown]
	s_and_saveexec_b32 s3, vcc_lo
; %bb.22:
	ds_write_b32 v9, v3 offset:144
; %bb.23:
	s_or_b32 exec_lo, exec_lo, s3
	s_waitcnt lgkmcnt(0)
	s_barrier
	buffer_gl0_inv
	s_and_saveexec_b32 s3, s1
; %bb.24:
	ds_read_b32 v3, v12 offset:144
; %bb.25:
	s_or_b32 exec_lo, exec_lo, s3
	s_waitcnt lgkmcnt(0)
	ds_bpermute_b32 v2, v2, v3
	v_lshlrev_b32_e32 v7, 2, v19
	s_waitcnt lgkmcnt(0)
	v_add_f32_e32 v2, v3, v2
	ds_bpermute_b32 v3, v11, v2
	s_waitcnt lgkmcnt(0)
	v_add_f32_e32 v2, v2, v3
	v_and_b32_e32 v3, 0xffffff80, v7
	ds_bpermute_b32 v2, v3, v2
	s_and_saveexec_b32 s1, s2
	s_cbranch_execz .LBB100_28
; %bb.26:
	s_waitcnt lgkmcnt(0)
	v_add_f32_e32 v3, 0x358637bd, v2
	s_mov_b32 s2, 0
	v_div_scale_f32 v7, null, v3, v3, 1.0
	v_div_scale_f32 v12, vcc_lo, 1.0, v3, 1.0
	v_rcp_f32_e32 v8, v7
	v_fma_f32 v9, -v7, v8, 1.0
	v_fmac_f32_e32 v8, v9, v8
	v_mul_f32_e32 v9, v12, v8
	v_fma_f32 v13, -v7, v9, v12
	v_fmac_f32_e32 v9, v13, v8
	v_fma_f32 v7, -v7, v9, v12
	v_div_fmas_f32 v7, v7, v8, v9
	v_div_fixup_f32 v3, v7, v3, 1.0
	v_mov_b32_e32 v7, v0
.LBB100_27:                             ; =>This Inner Loop Header: Depth=1
	ds_read_b32 v8, v4
	v_add_nc_u32_e32 v7, 0x80, v7
	v_cmp_le_i32_e32 vcc_lo, s4, v7
	s_or_b32 s2, vcc_lo, s2
	s_waitcnt lgkmcnt(0)
	v_mul_f32_e32 v8, v3, v8
	ds_write_b32 v4, v8
	v_add_nc_u32_e32 v4, 0x200, v4
	s_andn2_b32 exec_lo, exec_lo, s2
	s_cbranch_execnz .LBB100_27
.LBB100_28:
	s_or_b32 exec_lo, exec_lo, s1
	s_mul_i32 s1, s7, s22
	s_waitcnt lgkmcnt(0)
	s_mul_i32 s2, s1, s9
	s_mov_b32 s1, exec_lo
	s_barrier
	buffer_gl0_inv
	v_cmpx_eq_u32_e32 0, v0
	s_cbranch_execz .LBB100_30
; %bb.29:
	s_ashr_i32 s3, s2, 31
	s_mul_i32 s30, s7, s6
	s_lshl_b64 s[4:5], s[2:3], 2
	v_mov_b32_e32 v3, 0
	s_add_u32 s3, s18, s4
	s_addc_u32 s6, s19, s5
	s_ashr_i32 s31, s30, 31
	s_lshl_b64 s[18:19], s[30:31], 2
	s_add_u32 s3, s3, s18
	s_addc_u32 s6, s6, s19
	s_ashr_i32 s9, s8, 31
	s_lshl_b64 s[30:31], s[8:9], 2
	s_add_u32 s34, s3, s30
	s_addc_u32 s35, s6, s31
	s_add_u32 s3, s16, s4
	s_addc_u32 s4, s17, s5
	;; [unrolled: 2-line block ×4, first 2 shown]
	global_store_dword v3, v1, s[34:35]
	global_store_dword v3, v2, s[4:5]
.LBB100_30:
	s_or_b32 exec_lo, exec_lo, s1
	v_mov_b32_e32 v14, 0
	v_mov_b32_e32 v19, 0
	;; [unrolled: 1-line block ×4, first 2 shown]
	s_and_saveexec_b32 s3, s0
	s_cbranch_execz .LBB100_42
; %bb.31:
	v_lshlrev_b32_e32 v2, 4, v0
	s_ashr_i32 s15, s14, 31
	v_and_b32_e32 v1, 8, v18
	v_lshl_add_u32 v4, v17, 4, s33
	s_lshl_b64 s[0:1], s[14:15], 1
	v_and_b32_e32 v2, 0x1f0, v2
	s_add_u32 s0, s28, s0
	v_lshlrev_b32_e32 v3, 5, v16
	s_addc_u32 s1, s29, s1
	v_add3_u32 v22, v4, v1, 7
	v_add_co_u32 v20, s0, s0, v2
	v_lshlrev_b64 v[1:2], 2, v[5:6]
	v_add_co_ci_u32_e64 v21, null, s1, 0, s0
	s_lshl_b64 s[0:1], s[26:27], 2
	s_add_i32 s12, s12, -1
	v_lshl_or_b32 v3, v17, 6, v3
	s_add_u32 s0, s24, s0
	s_addc_u32 s1, s25, s1
	v_add_co_u32 v6, vcc_lo, s0, v1
	v_mov_b32_e32 v18, 0
	v_add_nc_u32_e32 v23, 0xa0, v3
	v_add_co_ci_u32_e64 v7, null, s1, v2, vcc_lo
	v_mov_b32_e32 v12, 0
	v_mov_b32_e32 v13, 0
	;; [unrolled: 1-line block ×4, first 2 shown]
	s_mov_b32 s5, s13
	s_mov_b32 s4, 0
	s_branch .LBB100_33
.LBB100_32:                             ;   in Loop: Header=BB100_33 Depth=1
	s_or_b32 exec_lo, exec_lo, s1
	v_lshlrev_b32_e32 v24, 16, v41
	v_lshlrev_b32_e32 v9, 16, v9
	;; [unrolled: 1-line block ×3, first 2 shown]
	v_add_nc_u32_e32 v5, 4, v5
	v_add_co_u32 v6, s0, v6, 16
	v_and_or_b32 v1, 0xffff, v1, v24
	v_and_or_b32 v2, 0xffff, v2, v9
	;; [unrolled: 1-line block ×3, first 2 shown]
	;;#ASMSTART
	v_pk_mul_f16 v1, v32, v1;

	;;#ASMEND
	;;#ASMSTART
	v_pk_mul_f16 v2, v31, v2;

	;;#ASMEND
	;; [unrolled: 4-line block ×4, first 2 shown]
	;;#ASMSTART
	v_pk_add_f16 v1, v1, v2;

	;;#ASMEND
	;;#ASMSTART
	v_pk_add_f16 v1, v1, v3;

	;;#ASMEND
	;; [unrolled: 4-line block ×3, first 2 shown]
	v_and_b32_e32 v4, 0xffff, v1
	v_lshrrev_b32_e32 v8, 16, v1
	;;#ASMSTART
	v_cvt_f32_f16 v4, v4;
	;;#ASMEND
	v_add_f32_e32 v1, v39, v40
	v_add_f32_e32 v2, v37, v38
	v_add_f32_e32 v3, v35, v36
	;;#ASMSTART
	v_cvt_f32_f16 v8, v8;
	;;#ASMEND
	v_add_f32_e32 v4, v4, v8
	v_cmp_le_i32_e32 vcc_lo, s11, v5
	v_add_f32_e32 v13, v13, v1
	v_add_f32_e32 v19, v19, v2
	;; [unrolled: 1-line block ×4, first 2 shown]
	v_add_nc_u32_e32 v22, 64, v22
	v_add_nc_u32_e32 v23, 0x100, v23
	v_add_co_ci_u32_e64 v7, null, 0, v7, s0
	s_or_b32 s4, vcc_lo, s4
	s_andn2_b32 exec_lo, exec_lo, s4
	s_cbranch_execz .LBB100_41
.LBB100_33:                             ; =>This Inner Loop Header: Depth=1
	global_load_dword v8, v[6:7], off
	ds_read2_b64 v[1:4], v23 offset1:1
	ds_read2_b64 v[24:27], v23 offset0:2 offset1:3
	v_add_nc_u32_e32 v28, -7, v22
	v_cmp_eq_u32_e64 s0, s12, v5
	v_add_nc_u32_e32 v30, -6, v22
	v_add_nc_u32_e32 v29, -1, v22
	s_waitcnt lgkmcnt(1)
	;;#ASMSTART
	v_cvt_f16_f32 v32, v1;

	;;#ASMEND
	;;#ASMSTART
	v_cvt_f16_f32 v31, v2;

	;;#ASMEND
	;; [unrolled: 4-line block ×4, first 2 shown]
	s_waitcnt lgkmcnt(0)
	;;#ASMSTART
	v_cvt_f16_f32 v38, v24;

	;;#ASMEND
	;;#ASMSTART
	v_cvt_f16_f32 v33, v25;

	;;#ASMEND
	;; [unrolled: 4-line block ×4, first 2 shown]
	v_add_nc_u32_e32 v27, -5, v22
	v_add_nc_u32_e32 v26, -4, v22
	;; [unrolled: 1-line block ×4, first 2 shown]
	s_waitcnt vmcnt(0)
	v_mad_i64_i32 v[8:9], null, v8, s5, 0
	v_lshlrev_b64 v[8:9], 1, v[8:9]
	v_add_co_u32 v8, vcc_lo, v20, v8
	v_add_co_ci_u32_e64 v9, null, v21, v9, vcc_lo
	global_load_dwordx4 v[1:4], v[8:9], off
	s_waitcnt vmcnt(0)
	v_lshrrev_b32_e32 v41, 16, v1
	v_lshrrev_b32_e32 v40, 16, v2
	;; [unrolled: 1-line block ×3, first 2 shown]
	s_and_saveexec_b32 s6, s0
	s_cbranch_execz .LBB100_35
; %bb.34:                               ;   in Loop: Header=BB100_33 Depth=1
	v_cmp_gt_i32_e32 vcc_lo, s23, v28
	v_and_b32_e32 v42, 0xffff0000, v4
	v_cmp_gt_i32_e64 s1, s23, v27
	v_cndmask_b32_e32 v1, 0, v1, vcc_lo
	v_cmp_gt_i32_e32 vcc_lo, s23, v30
	v_cndmask_b32_e64 v2, 0, v2, s1
	v_cmp_gt_i32_e64 s1, s23, v26
	v_cndmask_b32_e32 v41, 0, v41, vcc_lo
	v_cmp_gt_i32_e32 vcc_lo, s23, v29
	v_cndmask_b32_e64 v40, 0, v40, s1
	v_cndmask_b32_sdwa v4, v18, v4, vcc_lo dst_sel:DWORD dst_unused:UNUSED_PAD src0_sel:DWORD src1_sel:WORD_0
	v_cmp_gt_i32_e32 vcc_lo, s23, v22
	v_cndmask_b32_e32 v42, 0, v42, vcc_lo
	v_cmp_gt_i32_e32 vcc_lo, s23, v25
	v_or_b32_e32 v4, v4, v42
	v_cndmask_b32_e32 v3, 0, v3, vcc_lo
	v_cmp_gt_i32_e32 vcc_lo, s23, v24
	v_cndmask_b32_e32 v39, 0, v39, vcc_lo
.LBB100_35:                             ;   in Loop: Header=BB100_33 Depth=1
	s_or_b32 exec_lo, exec_lo, s6
	v_and_b32_e32 v32, 0xffff, v32
	v_and_b32_e32 v37, 0xffff, v37
	v_lshlrev_b32_e32 v41, 16, v41
	v_and_b32_e32 v38, 0xffff, v38
	v_and_b32_e32 v36, 0xffff, v36
	v_lshl_or_b32 v32, v31, 16, v32
	v_lshl_or_b32 v31, v35, 16, v37
	v_lshlrev_b32_e32 v35, 16, v40
	v_lshlrev_b32_e32 v37, 16, v39
	v_and_or_b32 v1, 0xffff, v1, v41
	;;#ASMSTART
	v_pk_mul_f16 v1, v32, v1;

	;;#ASMEND
	v_lshl_or_b32 v33, v33, 16, v38
	v_and_or_b32 v2, 0xffff, v2, v35
	v_and_or_b32 v3, 0xffff, v3, v37
	v_lshl_or_b32 v34, v34, 16, v36
	;;#ASMSTART
	v_pk_mul_f16 v2, v31, v2;

	;;#ASMEND
	;;#ASMSTART
	v_pk_mul_f16 v3, v33, v3;

	;;#ASMEND
	;; [unrolled: 4-line block ×3, first 2 shown]
	;;#ASMSTART
	v_pk_add_f16 v1, v1, v2;

	;;#ASMEND
	;;#ASMSTART
	v_pk_add_f16 v1, v1, v3;

	;;#ASMEND
	;; [unrolled: 4-line block ×3, first 2 shown]
	v_and_b32_e32 v2, 0xffff, v1
	v_lshrrev_b32_e32 v1, 16, v1
	;;#ASMSTART
	v_cvt_f32_f16 v35, v2;
	;;#ASMEND
	;;#ASMSTART
	v_cvt_f32_f16 v36, v1;
	;;#ASMEND
	global_load_dwordx4 v[1:4], v[8:9], off offset:512
	s_waitcnt vmcnt(0)
	v_lshrrev_b32_e32 v39, 16, v1
	v_lshrrev_b32_e32 v38, 16, v2
	;; [unrolled: 1-line block ×3, first 2 shown]
	s_and_saveexec_b32 s6, s0
	s_cbranch_execz .LBB100_37
; %bb.36:                               ;   in Loop: Header=BB100_33 Depth=1
	v_cmp_gt_i32_e32 vcc_lo, s23, v28
	v_and_b32_e32 v40, 0xffff0000, v4
	v_cmp_gt_i32_e64 s1, s23, v27
	v_cndmask_b32_e32 v1, 0, v1, vcc_lo
	v_cmp_gt_i32_e32 vcc_lo, s23, v30
	v_cndmask_b32_e64 v2, 0, v2, s1
	v_cmp_gt_i32_e64 s1, s23, v26
	v_cndmask_b32_e32 v39, 0, v39, vcc_lo
	v_cmp_gt_i32_e32 vcc_lo, s23, v29
	v_cndmask_b32_e64 v38, 0, v38, s1
	v_cndmask_b32_sdwa v4, v18, v4, vcc_lo dst_sel:DWORD dst_unused:UNUSED_PAD src0_sel:DWORD src1_sel:WORD_0
	v_cmp_gt_i32_e32 vcc_lo, s23, v22
	v_cndmask_b32_e32 v40, 0, v40, vcc_lo
	v_cmp_gt_i32_e32 vcc_lo, s23, v25
	v_or_b32_e32 v4, v4, v40
	v_cndmask_b32_e32 v3, 0, v3, vcc_lo
	v_cmp_gt_i32_e32 vcc_lo, s23, v24
	v_cndmask_b32_e32 v37, 0, v37, vcc_lo
.LBB100_37:                             ;   in Loop: Header=BB100_33 Depth=1
	s_or_b32 exec_lo, exec_lo, s6
	v_lshlrev_b32_e32 v39, 16, v39
	v_lshlrev_b32_e32 v38, 16, v38
	;; [unrolled: 1-line block ×3, first 2 shown]
	v_and_or_b32 v1, 0xffff, v1, v39
	v_and_or_b32 v2, 0xffff, v2, v38
	;; [unrolled: 1-line block ×3, first 2 shown]
	;;#ASMSTART
	v_pk_mul_f16 v1, v32, v1;

	;;#ASMEND
	;;#ASMSTART
	v_pk_mul_f16 v2, v31, v2;

	;;#ASMEND
	;; [unrolled: 4-line block ×4, first 2 shown]
	;;#ASMSTART
	v_pk_add_f16 v1, v1, v2;

	;;#ASMEND
	;;#ASMSTART
	v_pk_add_f16 v1, v1, v3;

	;;#ASMEND
	;; [unrolled: 4-line block ×3, first 2 shown]
	v_and_b32_e32 v2, 0xffff, v1
	v_lshrrev_b32_e32 v1, 16, v1
	;;#ASMSTART
	v_cvt_f32_f16 v37, v2;
	;;#ASMEND
	;;#ASMSTART
	v_cvt_f32_f16 v38, v1;
	;;#ASMEND
	global_load_dwordx4 v[1:4], v[8:9], off offset:1024
	s_waitcnt vmcnt(0)
	v_lshrrev_b32_e32 v41, 16, v1
	v_lshrrev_b32_e32 v40, 16, v2
	;; [unrolled: 1-line block ×3, first 2 shown]
	s_and_saveexec_b32 s6, s0
	s_cbranch_execz .LBB100_39
; %bb.38:                               ;   in Loop: Header=BB100_33 Depth=1
	v_cmp_gt_i32_e32 vcc_lo, s23, v28
	v_and_b32_e32 v42, 0xffff0000, v4
	v_cmp_gt_i32_e64 s1, s23, v27
	v_cndmask_b32_e32 v1, 0, v1, vcc_lo
	v_cmp_gt_i32_e32 vcc_lo, s23, v30
	v_cndmask_b32_e64 v2, 0, v2, s1
	v_cmp_gt_i32_e64 s1, s23, v26
	v_cndmask_b32_e32 v41, 0, v41, vcc_lo
	v_cmp_gt_i32_e32 vcc_lo, s23, v29
	v_cndmask_b32_e64 v40, 0, v40, s1
	v_cndmask_b32_sdwa v4, v18, v4, vcc_lo dst_sel:DWORD dst_unused:UNUSED_PAD src0_sel:DWORD src1_sel:WORD_0
	v_cmp_gt_i32_e32 vcc_lo, s23, v22
	v_cndmask_b32_e32 v42, 0, v42, vcc_lo
	v_cmp_gt_i32_e32 vcc_lo, s23, v25
	v_or_b32_e32 v4, v4, v42
	v_cndmask_b32_e32 v3, 0, v3, vcc_lo
	v_cmp_gt_i32_e32 vcc_lo, s23, v24
	v_cndmask_b32_e32 v39, 0, v39, vcc_lo
.LBB100_39:                             ;   in Loop: Header=BB100_33 Depth=1
	s_or_b32 exec_lo, exec_lo, s6
	v_lshlrev_b32_e32 v41, 16, v41
	v_lshlrev_b32_e32 v40, 16, v40
	;; [unrolled: 1-line block ×3, first 2 shown]
	v_and_or_b32 v1, 0xffff, v1, v41
	v_and_or_b32 v2, 0xffff, v2, v40
	;; [unrolled: 1-line block ×3, first 2 shown]
	;;#ASMSTART
	v_pk_mul_f16 v1, v32, v1;

	;;#ASMEND
	;;#ASMSTART
	v_pk_mul_f16 v2, v31, v2;

	;;#ASMEND
	;; [unrolled: 4-line block ×4, first 2 shown]
	;;#ASMSTART
	v_pk_add_f16 v1, v1, v2;

	;;#ASMEND
	;;#ASMSTART
	v_pk_add_f16 v1, v1, v3;

	;;#ASMEND
	;; [unrolled: 4-line block ×3, first 2 shown]
	v_and_b32_e32 v2, 0xffff, v1
	v_lshrrev_b32_e32 v1, 16, v1
	;;#ASMSTART
	v_cvt_f32_f16 v39, v2;
	;;#ASMEND
	;;#ASMSTART
	v_cvt_f32_f16 v40, v1;
	;;#ASMEND
	global_load_dwordx4 v[1:4], v[8:9], off offset:1536
	s_waitcnt vmcnt(0)
	v_lshrrev_b32_e32 v41, 16, v1
	v_lshrrev_b32_e32 v9, 16, v2
	;; [unrolled: 1-line block ×3, first 2 shown]
	s_and_saveexec_b32 s1, s0
	s_cbranch_execz .LBB100_32
; %bb.40:                               ;   in Loop: Header=BB100_33 Depth=1
	v_cmp_gt_i32_e32 vcc_lo, s23, v28
	v_cmp_gt_i32_e64 s0, s23, v27
	v_cndmask_b32_e32 v1, 0, v1, vcc_lo
	v_cmp_gt_i32_e32 vcc_lo, s23, v30
	v_cndmask_b32_e64 v2, 0, v2, s0
	v_cmp_gt_i32_e64 s0, s23, v26
	v_and_b32_e32 v26, 0xffff0000, v4
	v_cndmask_b32_e32 v41, 0, v41, vcc_lo
	v_cmp_gt_i32_e32 vcc_lo, s23, v29
	v_cndmask_b32_e64 v9, 0, v9, s0
	v_cndmask_b32_sdwa v4, v18, v4, vcc_lo dst_sel:DWORD dst_unused:UNUSED_PAD src0_sel:DWORD src1_sel:WORD_0
	v_cmp_gt_i32_e32 vcc_lo, s23, v22
	v_cndmask_b32_e32 v26, 0, v26, vcc_lo
	v_cmp_gt_i32_e32 vcc_lo, s23, v25
	v_or_b32_e32 v4, v4, v26
	v_cndmask_b32_e32 v3, 0, v3, vcc_lo
	v_cmp_gt_i32_e32 vcc_lo, s23, v24
	v_cndmask_b32_e32 v8, 0, v8, vcc_lo
	s_branch .LBB100_32
.LBB100_41:
	s_or_b32 exec_lo, exec_lo, s4
.LBB100_42:
	s_or_b32 exec_lo, exec_lo, s3
	ds_bpermute_b32 v1, v11, v14
	ds_bpermute_b32 v2, v11, v19
	;; [unrolled: 1-line block ×4, first 2 shown]
	v_lshrrev_b32_e32 v5, 1, v10
	v_lshlrev_b32_e32 v7, 8, v17
	v_and_b32_e32 v10, 0x3c1, v0
	s_mov_b32 s0, exec_lo
	s_waitcnt lgkmcnt(0)
	s_waitcnt_vscnt null, 0x0
	v_lshl_add_u32 v6, v5, 2, 0xa0
	s_barrier
	buffer_gl0_inv
	v_add_f32_e32 v4, v14, v1
	v_add_f32_e32 v3, v19, v2
	;; [unrolled: 1-line block ×4, first 2 shown]
	v_cmpx_eq_u32_e32 64, v10
	s_cbranch_execz .LBB100_44
; %bb.43:
	v_add_nc_u32_e32 v8, v6, v7
	v_add_nc_u32_e32 v9, 0xfffffe00, v8
	;; [unrolled: 1-line block ×5, first 2 shown]
	ds_write_b32 v9, v4
	ds_write_b32 v10, v3
	;; [unrolled: 1-line block ×4, first 2 shown]
.LBB100_44:
	s_or_b32 exec_lo, exec_lo, s0
	v_lshlrev_b32_e32 v5, 2, v5
	s_mov_b32 s1, exec_lo
	v_cmp_eq_u32_e32 vcc_lo, 0, v16
	s_waitcnt lgkmcnt(0)
	s_barrier
	v_add3_u32 v5, 0xa0, v7, v5
	buffer_gl0_inv
	v_cmpx_gt_u32_e32 64, v0
	s_cbranch_execz .LBB100_51
; %bb.45:
	s_and_saveexec_b32 s0, vcc_lo
	s_cbranch_execnz .LBB100_63
; %bb.46:
	s_or_b32 exec_lo, exec_lo, s0
	s_and_saveexec_b32 s0, vcc_lo
	s_cbranch_execnz .LBB100_64
.LBB100_47:
	s_or_b32 exec_lo, exec_lo, s0
	s_and_saveexec_b32 s0, vcc_lo
	s_cbranch_execnz .LBB100_65
.LBB100_48:
	s_or_b32 exec_lo, exec_lo, s0
	s_and_saveexec_b32 s0, vcc_lo
	s_cbranch_execz .LBB100_50
.LBB100_49:
	ds_read_b32 v7, v5 offset:192
	s_waitcnt lgkmcnt(0)
	v_add_f32_e32 v1, v1, v7
.LBB100_50:
	s_or_b32 exec_lo, exec_lo, s0
.LBB100_51:
	s_or_b32 exec_lo, exec_lo, s1
	v_and_b32_e32 v7, 0x3e1, v0
	s_mov_b32 s1, exec_lo
	s_barrier
	buffer_gl0_inv
	v_cmpx_eq_u32_e32 32, v7
	s_cbranch_execz .LBB100_53
; %bb.52:
	ds_write2_b32 v6, v4, v3 offset1:16
	ds_write2_b32 v6, v2, v1 offset0:32 offset1:48
.LBB100_53:
	s_or_b32 exec_lo, exec_lo, s1
	s_mov_b32 s1, exec_lo
	s_waitcnt lgkmcnt(0)
	s_barrier
	buffer_gl0_inv
	v_cmpx_gt_u32_e32 32, v0
	s_cbranch_execz .LBB100_60
; %bb.54:
	s_and_saveexec_b32 s0, vcc_lo
	s_cbranch_execnz .LBB100_66
; %bb.55:
	s_or_b32 exec_lo, exec_lo, s0
	s_and_saveexec_b32 s0, vcc_lo
	s_cbranch_execnz .LBB100_67
.LBB100_56:
	s_or_b32 exec_lo, exec_lo, s0
	s_and_saveexec_b32 s0, vcc_lo
	s_cbranch_execnz .LBB100_68
.LBB100_57:
	s_or_b32 exec_lo, exec_lo, s0
	s_and_saveexec_b32 s0, vcc_lo
	s_cbranch_execz .LBB100_59
.LBB100_58:
	ds_read_b32 v0, v5 offset:192
	s_waitcnt lgkmcnt(0)
	v_add_f32_e32 v1, v1, v0
.LBB100_59:
	s_or_b32 exec_lo, exec_lo, s0
.LBB100_60:
	s_or_b32 exec_lo, exec_lo, s1
	s_barrier
	buffer_gl0_inv
	s_mov_b32 s0, exec_lo
	v_cmpx_eq_u32_e32 0, v7
	s_cbranch_execz .LBB100_62
; %bb.61:
	s_lshl_b32 s0, s2, 6
	s_mul_i32 s2, s7, s10
	s_ashr_i32 s1, s0, 31
	v_lshlrev_b32_e32 v0, 1, v15
	s_lshl_b64 s[0:1], s[0:1], 1
	;;#ASMSTART
	v_cvt_f16_f32 v4, v4;

	;;#ASMEND
	s_add_u32 s4, s20, s0
	s_addc_u32 s5, s21, s1
	s_ashr_i32 s3, s2, 31
	s_lshl_b64 s[0:1], s[2:3], 1
	s_add_u32 s2, s4, s0
	s_addc_u32 s3, s5, s1
	s_lshl_b32 s0, s8, 6
	s_ashr_i32 s1, s0, 31
	s_lshl_b64 s[0:1], s[0:1], 1
	s_add_u32 s0, s2, s0
	s_addc_u32 s1, s3, s1
	global_store_short v0, v4, s[0:1]
	;;#ASMSTART
	v_cvt_f16_f32 v3, v3;

	;;#ASMEND
	global_store_short v0, v3, s[0:1] offset:32
	;;#ASMSTART
	v_cvt_f16_f32 v2, v2;

	;;#ASMEND
	global_store_short v0, v2, s[0:1] offset:64
	;; [unrolled: 5-line block ×3, first 2 shown]
.LBB100_62:
	s_endpgm
.LBB100_63:
	ds_read_b32 v7, v5
	s_waitcnt lgkmcnt(0)
	v_add_f32_e32 v4, v4, v7
	s_or_b32 exec_lo, exec_lo, s0
	s_and_saveexec_b32 s0, vcc_lo
	s_cbranch_execz .LBB100_47
.LBB100_64:
	ds_read_b32 v7, v5 offset:64
	s_waitcnt lgkmcnt(0)
	v_add_f32_e32 v3, v3, v7
	s_or_b32 exec_lo, exec_lo, s0
	s_and_saveexec_b32 s0, vcc_lo
	s_cbranch_execz .LBB100_48
.LBB100_65:
	ds_read_b32 v7, v5 offset:128
	s_waitcnt lgkmcnt(0)
	v_add_f32_e32 v2, v2, v7
	s_or_b32 exec_lo, exec_lo, s0
	s_and_saveexec_b32 s0, vcc_lo
	s_cbranch_execnz .LBB100_49
	s_branch .LBB100_50
.LBB100_66:
	ds_read_b32 v0, v5
	s_waitcnt lgkmcnt(0)
	v_add_f32_e32 v4, v4, v0
	s_or_b32 exec_lo, exec_lo, s0
	s_and_saveexec_b32 s0, vcc_lo
	s_cbranch_execz .LBB100_56
.LBB100_67:
	ds_read_b32 v0, v5 offset:64
	s_waitcnt lgkmcnt(0)
	v_add_f32_e32 v3, v3, v0
	s_or_b32 exec_lo, exec_lo, s0
	s_and_saveexec_b32 s0, vcc_lo
	s_cbranch_execz .LBB100_57
.LBB100_68:
	ds_read_b32 v0, v5 offset:128
	s_waitcnt lgkmcnt(0)
	v_add_f32_e32 v2, v2, v0
	s_or_b32 exec_lo, exec_lo, s0
	s_and_saveexec_b32 s0, vcc_lo
	s_cbranch_execnz .LBB100_58
	s_branch .LBB100_59
	.section	.rodata,"a",@progbits
	.p2align	6, 0x0
	.amdhsa_kernel _ZN4vllm25paged_attention_v2_kernelIttLi64ELi16ELi128ELNS_18Fp8KVCacheDataTypeE0ELb0ELi512EEEvPfS2_PT_PKS3_PKT0_S9_ifPKiSB_iPKfiiiSD_SD_iiiii
		.amdhsa_group_segment_fixed_size 160
		.amdhsa_private_segment_fixed_size 0
		.amdhsa_kernarg_size 400
		.amdhsa_user_sgpr_count 6
		.amdhsa_user_sgpr_private_segment_buffer 1
		.amdhsa_user_sgpr_dispatch_ptr 0
		.amdhsa_user_sgpr_queue_ptr 0
		.amdhsa_user_sgpr_kernarg_segment_ptr 1
		.amdhsa_user_sgpr_dispatch_id 0
		.amdhsa_user_sgpr_flat_scratch_init 0
		.amdhsa_user_sgpr_private_segment_size 0
		.amdhsa_wavefront_size32 1
		.amdhsa_uses_dynamic_stack 0
		.amdhsa_system_sgpr_private_segment_wavefront_offset 0
		.amdhsa_system_sgpr_workgroup_id_x 1
		.amdhsa_system_sgpr_workgroup_id_y 1
		.amdhsa_system_sgpr_workgroup_id_z 1
		.amdhsa_system_sgpr_workgroup_info 0
		.amdhsa_system_vgpr_workitem_id 0
		.amdhsa_next_free_vgpr 76
		.amdhsa_next_free_sgpr 36
		.amdhsa_reserve_vcc 1
		.amdhsa_reserve_flat_scratch 0
		.amdhsa_float_round_mode_32 0
		.amdhsa_float_round_mode_16_64 0
		.amdhsa_float_denorm_mode_32 3
		.amdhsa_float_denorm_mode_16_64 3
		.amdhsa_dx10_clamp 1
		.amdhsa_ieee_mode 1
		.amdhsa_fp16_overflow 0
		.amdhsa_workgroup_processor_mode 1
		.amdhsa_memory_ordered 1
		.amdhsa_forward_progress 1
		.amdhsa_shared_vgpr_count 0
		.amdhsa_exception_fp_ieee_invalid_op 0
		.amdhsa_exception_fp_denorm_src 0
		.amdhsa_exception_fp_ieee_div_zero 0
		.amdhsa_exception_fp_ieee_overflow 0
		.amdhsa_exception_fp_ieee_underflow 0
		.amdhsa_exception_fp_ieee_inexact 0
		.amdhsa_exception_int_div_zero 0
	.end_amdhsa_kernel
	.section	.text._ZN4vllm25paged_attention_v2_kernelIttLi64ELi16ELi128ELNS_18Fp8KVCacheDataTypeE0ELb0ELi512EEEvPfS2_PT_PKS3_PKT0_S9_ifPKiSB_iPKfiiiSD_SD_iiiii,"axG",@progbits,_ZN4vllm25paged_attention_v2_kernelIttLi64ELi16ELi128ELNS_18Fp8KVCacheDataTypeE0ELb0ELi512EEEvPfS2_PT_PKS3_PKT0_S9_ifPKiSB_iPKfiiiSD_SD_iiiii,comdat
.Lfunc_end100:
	.size	_ZN4vllm25paged_attention_v2_kernelIttLi64ELi16ELi128ELNS_18Fp8KVCacheDataTypeE0ELb0ELi512EEEvPfS2_PT_PKS3_PKT0_S9_ifPKiSB_iPKfiiiSD_SD_iiiii, .Lfunc_end100-_ZN4vllm25paged_attention_v2_kernelIttLi64ELi16ELi128ELNS_18Fp8KVCacheDataTypeE0ELb0ELi512EEEvPfS2_PT_PKS3_PKT0_S9_ifPKiSB_iPKfiiiSD_SD_iiiii
                                        ; -- End function
	.set _ZN4vllm25paged_attention_v2_kernelIttLi64ELi16ELi128ELNS_18Fp8KVCacheDataTypeE0ELb0ELi512EEEvPfS2_PT_PKS3_PKT0_S9_ifPKiSB_iPKfiiiSD_SD_iiiii.num_vgpr, 76
	.set _ZN4vllm25paged_attention_v2_kernelIttLi64ELi16ELi128ELNS_18Fp8KVCacheDataTypeE0ELb0ELi512EEEvPfS2_PT_PKS3_PKT0_S9_ifPKiSB_iPKfiiiSD_SD_iiiii.num_agpr, 0
	.set _ZN4vllm25paged_attention_v2_kernelIttLi64ELi16ELi128ELNS_18Fp8KVCacheDataTypeE0ELb0ELi512EEEvPfS2_PT_PKS3_PKT0_S9_ifPKiSB_iPKfiiiSD_SD_iiiii.numbered_sgpr, 36
	.set _ZN4vllm25paged_attention_v2_kernelIttLi64ELi16ELi128ELNS_18Fp8KVCacheDataTypeE0ELb0ELi512EEEvPfS2_PT_PKS3_PKT0_S9_ifPKiSB_iPKfiiiSD_SD_iiiii.num_named_barrier, 0
	.set _ZN4vllm25paged_attention_v2_kernelIttLi64ELi16ELi128ELNS_18Fp8KVCacheDataTypeE0ELb0ELi512EEEvPfS2_PT_PKS3_PKT0_S9_ifPKiSB_iPKfiiiSD_SD_iiiii.private_seg_size, 0
	.set _ZN4vllm25paged_attention_v2_kernelIttLi64ELi16ELi128ELNS_18Fp8KVCacheDataTypeE0ELb0ELi512EEEvPfS2_PT_PKS3_PKT0_S9_ifPKiSB_iPKfiiiSD_SD_iiiii.uses_vcc, 1
	.set _ZN4vllm25paged_attention_v2_kernelIttLi64ELi16ELi128ELNS_18Fp8KVCacheDataTypeE0ELb0ELi512EEEvPfS2_PT_PKS3_PKT0_S9_ifPKiSB_iPKfiiiSD_SD_iiiii.uses_flat_scratch, 0
	.set _ZN4vllm25paged_attention_v2_kernelIttLi64ELi16ELi128ELNS_18Fp8KVCacheDataTypeE0ELb0ELi512EEEvPfS2_PT_PKS3_PKT0_S9_ifPKiSB_iPKfiiiSD_SD_iiiii.has_dyn_sized_stack, 0
	.set _ZN4vllm25paged_attention_v2_kernelIttLi64ELi16ELi128ELNS_18Fp8KVCacheDataTypeE0ELb0ELi512EEEvPfS2_PT_PKS3_PKT0_S9_ifPKiSB_iPKfiiiSD_SD_iiiii.has_recursion, 0
	.set _ZN4vllm25paged_attention_v2_kernelIttLi64ELi16ELi128ELNS_18Fp8KVCacheDataTypeE0ELb0ELi512EEEvPfS2_PT_PKS3_PKT0_S9_ifPKiSB_iPKfiiiSD_SD_iiiii.has_indirect_call, 0
	.section	.AMDGPU.csdata,"",@progbits
; Kernel info:
; codeLenInByte = 6996
; TotalNumSgprs: 38
; NumVgprs: 76
; ScratchSize: 0
; MemoryBound: 0
; FloatMode: 240
; IeeeMode: 1
; LDSByteSize: 160 bytes/workgroup (compile time only)
; SGPRBlocks: 0
; VGPRBlocks: 9
; NumSGPRsForWavesPerEU: 38
; NumVGPRsForWavesPerEU: 76
; Occupancy: 12
; WaveLimiterHint : 1
; COMPUTE_PGM_RSRC2:SCRATCH_EN: 0
; COMPUTE_PGM_RSRC2:USER_SGPR: 6
; COMPUTE_PGM_RSRC2:TRAP_HANDLER: 0
; COMPUTE_PGM_RSRC2:TGID_X_EN: 1
; COMPUTE_PGM_RSRC2:TGID_Y_EN: 1
; COMPUTE_PGM_RSRC2:TGID_Z_EN: 1
; COMPUTE_PGM_RSRC2:TIDIG_COMP_CNT: 0
	.section	.text._ZN4vllm25paged_attention_v2_kernelIttLi80ELi16ELi128ELNS_18Fp8KVCacheDataTypeE0ELb0ELi512EEEvPfS2_PT_PKS3_PKT0_S9_ifPKiSB_iPKfiiiSD_SD_iiiii,"axG",@progbits,_ZN4vllm25paged_attention_v2_kernelIttLi80ELi16ELi128ELNS_18Fp8KVCacheDataTypeE0ELb0ELi512EEEvPfS2_PT_PKS3_PKT0_S9_ifPKiSB_iPKfiiiSD_SD_iiiii,comdat
	.protected	_ZN4vllm25paged_attention_v2_kernelIttLi80ELi16ELi128ELNS_18Fp8KVCacheDataTypeE0ELb0ELi512EEEvPfS2_PT_PKS3_PKT0_S9_ifPKiSB_iPKfiiiSD_SD_iiiii ; -- Begin function _ZN4vllm25paged_attention_v2_kernelIttLi80ELi16ELi128ELNS_18Fp8KVCacheDataTypeE0ELb0ELi512EEEvPfS2_PT_PKS3_PKT0_S9_ifPKiSB_iPKfiiiSD_SD_iiiii
	.globl	_ZN4vllm25paged_attention_v2_kernelIttLi80ELi16ELi128ELNS_18Fp8KVCacheDataTypeE0ELb0ELi512EEEvPfS2_PT_PKS3_PKT0_S9_ifPKiSB_iPKfiiiSD_SD_iiiii
	.p2align	8
	.type	_ZN4vllm25paged_attention_v2_kernelIttLi80ELi16ELi128ELNS_18Fp8KVCacheDataTypeE0ELb0ELi512EEEvPfS2_PT_PKS3_PKT0_S9_ifPKiSB_iPKfiiiSD_SD_iiiii,@function
_ZN4vllm25paged_attention_v2_kernelIttLi80ELi16ELi128ELNS_18Fp8KVCacheDataTypeE0ELb0ELi512EEEvPfS2_PT_PKS3_PKT0_S9_ifPKiSB_iPKfiiiSD_SD_iiiii: ; @_ZN4vllm25paged_attention_v2_kernelIttLi80ELi16ELi128ELNS_18Fp8KVCacheDataTypeE0ELb0ELi512EEEvPfS2_PT_PKS3_PKT0_S9_ifPKiSB_iPKfiiiSD_SD_iiiii
; %bb.0:
	s_load_dwordx2 s[0:1], s[4:5], 0x40
	s_mov_b32 s22, s7
	s_ashr_i32 s23, s7, 31
	s_lshl_b64 s[2:3], s[22:23], 2
	s_waitcnt lgkmcnt(0)
	s_add_u32 s0, s0, s2
	s_addc_u32 s1, s1, s3
	s_lshl_b32 s33, s8, 9
	s_load_dword s23, s[0:1], 0x0
	s_waitcnt lgkmcnt(0)
	s_cmp_ge_i32 s33, s23
	s_cbranch_scc1 .LBB101_66
; %bb.1:
	s_clause 0x1
	s_load_dword s9, s[4:5], 0x90
	s_load_dwordx2 s[30:31], s[4:5], 0x30
	s_mov_b32 s34, 0
	s_waitcnt lgkmcnt(0)
	s_abs_i32 s3, s9
	s_abs_i32 s0, s30
	v_cvt_f32_u32_e32 v1, s0
	s_sub_i32 s2, 0, s0
	v_rcp_iflag_f32_e32 v1, v1
	v_mul_f32_e32 v1, 0x4f7ffffe, v1
	v_cvt_u32_f32_e32 v1, v1
	v_readfirstlane_b32 s1, v1
	s_mul_i32 s2, s2, s1
	s_mul_hi_u32 s2, s1, s2
	s_add_i32 s1, s1, s2
	s_xor_b32 s2, s9, s30
	s_mul_hi_u32 s1, s3, s1
	s_ashr_i32 s2, s2, 31
	s_mul_i32 s7, s1, s0
	s_sub_i32 s3, s3, s7
	s_add_i32 s7, s1, 1
	s_sub_i32 s10, s3, s0
	s_cmp_ge_u32 s3, s0
	s_cselect_b32 s1, s7, s1
	s_cselect_b32 s3, s10, s3
	s_add_i32 s7, s1, 1
	s_cmp_ge_u32 s3, s0
	s_cselect_b32 s0, s7, s1
	s_abs_i32 s16, s6
	s_xor_b32 s0, s0, s2
	s_sub_i32 s10, s0, s2
	s_load_dwordx2 s[0:1], s[4:5], 0x50
	s_abs_i32 s2, s10
	v_cvt_f32_u32_e32 v1, s2
	s_sub_i32 s7, 0, s2
	v_rcp_iflag_f32_e32 v1, v1
	v_mul_f32_e32 v1, 0x4f7ffffe, v1
	v_cvt_u32_f32_e32 v1, v1
	v_readfirstlane_b32 s3, v1
	s_mul_i32 s7, s7, s3
	s_mul_hi_u32 s7, s3, s7
	s_add_i32 s3, s3, s7
	s_waitcnt lgkmcnt(0)
	s_cmp_eq_u64 s[0:1], 0
	s_mul_hi_u32 s3, s16, s3
	s_cbranch_scc1 .LBB101_3
; %bb.2:
	s_ashr_i32 s7, s6, 31
	s_lshl_b64 s[12:13], s[6:7], 2
	s_add_u32 s0, s0, s12
	s_addc_u32 s1, s1, s13
	s_load_dword s34, s[0:1], 0x0
.LBB101_3:
	s_load_dwordx4 s[12:15], s[4:5], 0x58
	v_lshrrev_b32_e32 v23, 1, v0
	v_and_b32_e32 v24, 1, v0
	v_lshlrev_b32_e32 v26, 3, v0
	s_ashr_i32 s0, s6, 31
	s_ashr_i32 s1, s10, 31
	s_mul_i32 s10, s6, 0x50
	s_mov_b32 s7, exec_lo
	v_cmpx_gt_u32_e32 20, v0
	s_cbranch_execz .LBB101_5
; %bb.4:
	s_load_dwordx2 s[18:19], s[4:5], 0x18
	s_waitcnt lgkmcnt(0)
	s_mul_i32 s20, s12, s22
	v_lshlrev_b32_e32 v3, 3, v23
	s_ashr_i32 s21, s20, 31
	s_lshl_b64 s[20:21], s[20:21], 1
	v_mad_u32_u24 v3, 0x50, v24, v3
	s_add_u32 s12, s18, s20
	s_addc_u32 s15, s19, s21
	s_ashr_i32 s11, s10, 31
	s_lshl_b64 s[18:19], s[10:11], 1
	s_add_u32 s18, s12, s18
	s_addc_u32 s19, s15, s19
	global_load_dwordx2 v[1:2], v26, s[18:19]
	s_waitcnt vmcnt(0)
	ds_write_b64 v3, v[1:2]
.LBB101_5:
	s_or_b32 exec_lo, exec_lo, s7
	s_add_i32 s7, s23, 15
	s_load_dwordx2 s[24:25], s[4:5], 0x38
	s_waitcnt lgkmcnt(0)
	s_load_dword s15, s[4:5], 0x48
	s_ashr_i32 s11, s7, 31
	s_lshl_b32 s30, s8, 5
	s_lshr_b32 s11, s11, 28
	s_xor_b32 s0, s0, s1
	s_add_i32 s7, s7, s11
	s_add_i32 s1, s30, 32
	s_ashr_i32 s12, s7, 4
	s_mul_i32 s7, s3, s2
	s_min_i32 s11, s1, s12
	s_sub_i32 s1, s16, s7
	s_add_i32 s7, s3, 1
	s_sub_i32 s16, s1, s2
	s_cmp_ge_u32 s1, s2
	v_lshrrev_b32_e32 v25, 5, v0
	s_cselect_b32 s3, s7, s3
	s_cselect_b32 s1, s16, s1
	s_add_i32 s7, s3, 1
	s_cmp_ge_u32 s1, s2
	v_or_b32_e32 v5, s30, v25
	s_cselect_b32 s1, s7, s3
	v_mbcnt_lo_u32_b32 v27, -1, 0
	s_xor_b32 s1, s1, s0
	s_waitcnt lgkmcnt(0)
	s_mul_i32 s26, s15, s22
	s_sub_i32 s1, s1, s0
	v_cmp_gt_i32_e64 s0, s11, v5
	s_ashr_i32 s27, s26, 31
	s_mov_b32 s2, exec_lo
	s_barrier
	buffer_gl0_inv
                                        ; implicit-def: $vgpr28
                                        ; implicit-def: $vgpr29
	v_cmpx_le_i32_e64 s11, v5
	s_xor_b32 s2, exec_lo, s2
; %bb.6:
	v_mov_b32_e32 v28, 0
	v_mbcnt_lo_u32_b32 v27, -1, 0
	v_mov_b32_e32 v29, 32
; %bb.7:
	s_or_saveexec_b32 s35, s2
	s_clause 0x3
	s_load_dwordx4 s[16:19], s[4:5], 0x0
	s_load_dwordx2 s[20:21], s[4:5], 0x10
	s_load_dwordx2 s[28:29], s[4:5], 0x28
	s_load_dword s7, s[4:5], 0x98
	v_mov_b32_e32 v30, 0xff7fffff
	v_ashrrev_i32_e32 v6, 31, v5
	s_mul_i32 s14, s1, s14
	s_xor_b32 exec_lo, exec_lo, s35
	s_cbranch_execz .LBB101_13
; %bb.8:
	s_load_dwordx2 s[2:3], s[4:5], 0x20
	v_bfe_u32 v3, v0, 1, 4
	s_ashr_i32 s15, s14, 31
	v_lshlrev_b32_e32 v7, 4, v25
	s_lshl_b64 s[4:5], s[14:15], 1
	v_and_b32_e32 v4, 8, v26
	v_lshlrev_b32_e32 v9, 4, v3
	v_lshlrev_b32_e32 v1, 2, v3
	v_add3_u32 v32, s33, v7, v3
	v_mov_b32_e32 v28, 0
	v_mul_u32_u24_e32 v31, 0x50, v24
	v_cmp_neq_f32_e64 s1, s34, 0
	v_lshl_or_b32 v8, v25, 6, v1
	v_lshlrev_b64 v[1:2], 2, v[5:6]
	v_mov_b32_e32 v30, 0xff7fffff
	v_xor_b32_e32 v36, 1, v27
	v_mov_b32_e32 v29, 32
	v_add_nc_u32_e32 v33, 0xc0, v8
	v_mov_b32_e32 v37, v5
	v_cmp_eq_u32_e32 vcc_lo, 0, v24
	s_waitcnt lgkmcnt(0)
	s_add_u32 s15, s2, s4
	s_addc_u32 s5, s3, s5
	v_add_co_u32 v3, s15, s15, v9
	v_add_co_ci_u32_e64 v7, null, s5, 0, s15
	s_lshl_b64 s[2:3], s[26:27], 2
	s_sub_i32 s4, 1, s23
	s_add_u32 s5, s24, s2
	v_add_co_u32 v34, s2, v3, v4
	v_add_co_ci_u32_e64 v35, null, 0, v7, s2
	s_addc_u32 s3, s25, s3
	v_add_co_u32 v1, s2, s5, v1
	v_add_co_ci_u32_e64 v2, null, s3, v2, s2
	s_mov_b32 s15, s13
	s_mov_b32 s5, 0
	s_branch .LBB101_10
.LBB101_9:                              ;   in Loop: Header=BB101_10 Depth=1
	s_or_b32 exec_lo, exec_lo, s3
	v_add_nc_u32_e32 v37, 4, v37
	v_add_co_u32 v1, s3, v1, 16
	v_add_nc_u32_e32 v32, 64, v32
	v_add_nc_u32_e32 v33, 0x100, v33
	v_cmp_le_i32_e64 s2, s11, v37
	v_add_co_ci_u32_e64 v2, null, 0, v2, s3
	s_or_b32 s5, s2, s5
	s_andn2_b32 exec_lo, exec_lo, s5
	s_cbranch_execz .LBB101_12
.LBB101_10:                             ; =>This Inner Loop Header: Depth=1
	global_load_dword v3, v[1:2], off
	s_waitcnt vmcnt(0) lgkmcnt(0)
	v_mad_i64_i32 v[3:4], null, v3, s15, 0
	v_lshlrev_b64 v[3:4], 1, v[3:4]
	v_add_co_u32 v3, s2, v34, v3
	v_add_co_ci_u32_e64 v4, null, v35, v4, s2
	s_clause 0x6
	global_load_dwordx2 v[39:40], v[3:4], off
	global_load_dwordx2 v[21:22], v[3:4], off offset:256
	global_load_dwordx2 v[19:20], v[3:4], off offset:512
	;; [unrolled: 1-line block ×6, first 2 shown]
	v_add_co_u32 v41, s2, 0x800, v3
	v_add_co_ci_u32_e64 v42, null, 0, v4, s2
	s_clause 0x2
	global_load_dwordx2 v[9:10], v[3:4], off offset:1792
	global_load_dwordx2 v[7:8], v[41:42], off
	global_load_dwordx2 v[3:4], v[41:42], off offset:256
	ds_read_b64 v[41:42], v31
	v_cmp_gt_i32_e64 s2, 32, v36
	s_waitcnt lgkmcnt(0)
	v_and_b32_e32 v38, 0xffff, v41
	v_lshrrev_b32_e32 v41, 16, v41
	v_lshrrev_b32_e32 v44, 16, v42
	v_and_b32_e32 v45, 0xffff, v42
	;;#ASMSTART
	v_cvt_f32_f16 v38, v38;
	;;#ASMEND
	s_waitcnt vmcnt(9)
	v_and_b32_e32 v42, 0xffff, v39
	v_lshrrev_b32_e32 v43, 16, v39
	v_lshrrev_b32_e32 v46, 16, v40
	v_and_b32_e32 v47, 0xffff, v40
	;;#ASMSTART
	v_cvt_f32_f16 v39, v41;
	;;#ASMEND
	;;#ASMSTART
	v_cvt_f32_f16 v42, v42;
	;;#ASMEND
	;; [unrolled: 3-line block ×7, first 2 shown]
	ds_read_b64 v[46:47], v31 offset:8
	s_waitcnt vmcnt(8)
	v_lshrrev_b32_e32 v49, 16, v21
	v_and_b32_e32 v21, 0xffff, v21
	v_lshrrev_b32_e32 v53, 16, v22
	v_and_b32_e32 v22, 0xffff, v22
	s_waitcnt vmcnt(7)
	v_lshrrev_b32_e32 v55, 16, v19
	v_and_b32_e32 v19, 0xffff, v19
	v_lshrrev_b32_e32 v59, 16, v20
	v_and_b32_e32 v20, 0xffff, v20
	;; [unrolled: 5-line block ×4, first 2 shown]
	s_waitcnt vmcnt(4)
	v_lshrrev_b32_e32 v73, 16, v13
	v_and_b32_e32 v13, 0xffff, v13
	v_lshrrev_b32_e32 v77, 16, v14
	s_waitcnt lgkmcnt(0)
	v_and_b32_e32 v48, 0xffff, v46
	v_lshrrev_b32_e32 v50, 16, v46
	v_lshrrev_b32_e32 v51, 16, v47
	v_and_b32_e32 v52, 0xffff, v47
	;;#ASMSTART
	v_cvt_f32_f16 v46, v48;
	;;#ASMEND
	;;#ASMSTART
	v_cvt_f32_f16 v47, v50;
	;;#ASMEND
	;; [unrolled: 3-line block ×8, first 2 shown]
	ds_read_b64 v[21:22], v31 offset:16
	v_and_b32_e32 v14, 0xffff, v14
	s_waitcnt vmcnt(3)
	v_lshrrev_b32_e32 v79, 16, v11
	v_and_b32_e32 v11, 0xffff, v11
	v_lshrrev_b32_e32 v83, 16, v12
	v_and_b32_e32 v12, 0xffff, v12
	v_mul_f32_e32 v46, v46, v48
	v_mul_f32_e32 v47, v47, v49
	s_waitcnt vmcnt(2)
	v_lshrrev_b32_e32 v84, 16, v9
	v_and_b32_e32 v9, 0xffff, v9
	v_lshrrev_b32_e32 v86, 16, v10
	v_and_b32_e32 v10, 0xffff, v10
	v_fmac_f32_e32 v46, v38, v42
	v_fmac_f32_e32 v47, v39, v43
	v_mul_f32_e32 v51, v51, v53
	s_waitcnt vmcnt(1)
	v_lshrrev_b32_e32 v87, 16, v7
	v_and_b32_e32 v7, 0xffff, v7
	v_lshrrev_b32_e32 v38, 16, v8
	v_and_b32_e32 v8, 0xffff, v8
	v_fmac_f32_e32 v51, v41, v45
	s_waitcnt lgkmcnt(0)
	v_and_b32_e32 v54, 0xffff, v21
	v_lshrrev_b32_e32 v56, 16, v21
	v_lshrrev_b32_e32 v57, 16, v22
	v_and_b32_e32 v58, 0xffff, v22
	;;#ASMSTART
	v_cvt_f32_f16 v21, v54;
	;;#ASMEND
	;;#ASMSTART
	v_cvt_f32_f16 v22, v56;
	;;#ASMEND
	;; [unrolled: 3-line block ×8, first 2 shown]
	ds_read_b64 v[19:20], v31 offset:24
	v_fmac_f32_e32 v46, v21, v54
	v_fmac_f32_e32 v47, v22, v55
	;; [unrolled: 1-line block ×3, first 2 shown]
	s_waitcnt vmcnt(0)
	v_lshrrev_b32_e32 v39, 16, v3
	s_waitcnt lgkmcnt(0)
	v_and_b32_e32 v60, 0xffff, v19
	v_lshrrev_b32_e32 v62, 16, v19
	v_lshrrev_b32_e32 v63, 16, v20
	v_and_b32_e32 v64, 0xffff, v20
	;;#ASMSTART
	v_cvt_f32_f16 v19, v60;
	;;#ASMEND
	;;#ASMSTART
	v_cvt_f32_f16 v20, v62;
	;;#ASMEND
	;;#ASMSTART
	v_cvt_f32_f16 v60, v17;
	;;#ASMEND
	;;#ASMSTART
	v_cvt_f32_f16 v61, v61;
	;;#ASMEND
	;;#ASMSTART
	v_cvt_f32_f16 v62, v64;
	;;#ASMEND
	;;#ASMSTART
	v_cvt_f32_f16 v63, v63;
	;;#ASMEND
	;;#ASMSTART
	v_cvt_f32_f16 v64, v18;
	;;#ASMEND
	;;#ASMSTART
	v_cvt_f32_f16 v65, v65;
	;;#ASMEND
	ds_read_b64 v[17:18], v31 offset:32
	v_fmac_f32_e32 v46, v19, v60
	v_fmac_f32_e32 v47, v20, v61
	v_fmac_f32_e32 v51, v63, v65
	s_waitcnt lgkmcnt(0)
	v_and_b32_e32 v66, 0xffff, v17
	v_lshrrev_b32_e32 v68, 16, v17
	v_lshrrev_b32_e32 v69, 16, v18
	v_and_b32_e32 v70, 0xffff, v18
	;;#ASMSTART
	v_cvt_f32_f16 v17, v66;
	;;#ASMEND
	;;#ASMSTART
	v_cvt_f32_f16 v18, v68;
	;;#ASMEND
	;;#ASMSTART
	v_cvt_f32_f16 v66, v15;
	;;#ASMEND
	;;#ASMSTART
	v_cvt_f32_f16 v67, v67;
	;;#ASMEND
	;;#ASMSTART
	v_cvt_f32_f16 v68, v70;
	;;#ASMEND
	;;#ASMSTART
	v_cvt_f32_f16 v69, v69;
	;;#ASMEND
	;;#ASMSTART
	v_cvt_f32_f16 v70, v16;
	;;#ASMEND
	;;#ASMSTART
	v_cvt_f32_f16 v71, v71;
	;;#ASMEND
	ds_read_b64 v[15:16], v31 offset:40
	v_fmac_f32_e32 v46, v17, v66
	v_fmac_f32_e32 v47, v18, v67
	v_fmac_f32_e32 v51, v69, v71
	;; [unrolled: 33-line block ×3, first 2 shown]
	v_and_b32_e32 v15, 0xffff, v3
	s_waitcnt lgkmcnt(0)
	v_and_b32_e32 v78, 0xffff, v13
	v_lshrrev_b32_e32 v80, 16, v13
	v_lshrrev_b32_e32 v81, 16, v14
	v_and_b32_e32 v82, 0xffff, v14
	;;#ASMSTART
	v_cvt_f32_f16 v13, v78;
	;;#ASMEND
	;;#ASMSTART
	v_cvt_f32_f16 v14, v80;
	;;#ASMEND
	;; [unrolled: 3-line block ×8, first 2 shown]
	ds_read_b64 v[11:12], v31 offset:56
	v_fmac_f32_e32 v46, v13, v78
	v_fmac_f32_e32 v47, v14, v79
	v_fmac_f32_e32 v51, v81, v83
	v_lshrrev_b32_e32 v13, 16, v4
	s_waitcnt lgkmcnt(0)
	v_and_b32_e32 v48, 0xffff, v11
	v_lshrrev_b32_e32 v49, 16, v11
	v_mul_f32_e32 v11, v50, v52
	v_lshrrev_b32_e32 v85, 16, v12
	v_and_b32_e32 v52, 0xffff, v12
	;;#ASMSTART
	v_cvt_f32_f16 v12, v48;
	;;#ASMEND
	;;#ASMSTART
	v_cvt_f32_f16 v48, v49;
	;;#ASMEND
	;; [unrolled: 3-line block ×8, first 2 shown]
	ds_read_b64 v[9:10], v31 offset:64
	v_fmac_f32_e32 v11, v40, v44
	v_fmac_f32_e32 v46, v12, v49
	;; [unrolled: 1-line block ×3, first 2 shown]
	v_and_b32_e32 v12, 0xffff, v4
	v_fmac_f32_e32 v51, v84, v86
	v_fmac_f32_e32 v11, v56, v58
	v_fmac_f32_e32 v11, v62, v64
	v_fmac_f32_e32 v11, v68, v70
	s_waitcnt lgkmcnt(0)
	v_and_b32_e32 v17, 0xffff, v9
	v_lshrrev_b32_e32 v18, 16, v9
	v_lshrrev_b32_e32 v20, 16, v10
	v_and_b32_e32 v19, 0xffff, v10
	;;#ASMSTART
	v_cvt_f32_f16 v9, v17;
	;;#ASMEND
	;;#ASMSTART
	v_cvt_f32_f16 v10, v18;
	;;#ASMEND
	;;#ASMSTART
	v_cvt_f32_f16 v17, v7;
	;;#ASMEND
	;;#ASMSTART
	v_cvt_f32_f16 v18, v87;
	;;#ASMEND
	;;#ASMSTART
	v_cvt_f32_f16 v19, v19;
	;;#ASMEND
	;;#ASMSTART
	v_cvt_f32_f16 v20, v20;
	;;#ASMEND
	;;#ASMSTART
	v_cvt_f32_f16 v21, v8;
	;;#ASMEND
	;;#ASMSTART
	v_cvt_f32_f16 v22, v38;
	;;#ASMEND
	ds_read_b64 v[7:8], v31 offset:72
	v_fmac_f32_e32 v11, v74, v76
	v_fmac_f32_e32 v46, v9, v17
	;; [unrolled: 1-line block ×7, first 2 shown]
	s_waitcnt lgkmcnt(0)
	v_and_b32_e32 v3, 0xffff, v7
	v_lshrrev_b32_e32 v4, 16, v7
	v_lshrrev_b32_e32 v9, 16, v8
	v_and_b32_e32 v10, 0xffff, v8
	;;#ASMSTART
	v_cvt_f32_f16 v3, v3;
	;;#ASMEND
	;;#ASMSTART
	v_cvt_f32_f16 v4, v4;
	;;#ASMEND
	;; [unrolled: 3-line block ×4, first 2 shown]
	v_fmac_f32_e32 v46, v3, v7
	v_fmac_f32_e32 v47, v4, v8
	;;#ASMSTART
	v_cvt_f32_f16 v3, v10;
	;;#ASMEND
	;;#ASMSTART
	v_cvt_f32_f16 v4, v9;
	;;#ASMEND
	;; [unrolled: 3-line block ×3, first 2 shown]
	v_fmac_f32_e32 v11, v3, v7
	v_add_f32_e32 v3, v46, v47
	;;#ASMSTART
	v_cvt_f32_f16 v7, v13;
	;;#ASMEND
	v_fmac_f32_e32 v51, v4, v7
	v_cndmask_b32_e64 v4, v27, v36, s2
	v_add_f32_e32 v3, v3, v11
	v_lshlrev_b32_e32 v4, 2, v4
	v_add_f32_e32 v3, v51, v3
	ds_bpermute_b32 v4, v4, v3
	s_and_saveexec_b32 s3, vcc_lo
	s_cbranch_execz .LBB101_9
; %bb.11:                               ;   in Loop: Header=BB101_10 Depth=1
	v_add_nc_u32_e32 v7, s4, v32
	s_waitcnt lgkmcnt(0)
	v_add_f32_e32 v3, v3, v4
	v_cmp_gt_i32_e64 s2, s23, v32
	v_cvt_f32_i32_e32 v7, v7
	v_mul_f32_e32 v7, s34, v7
	v_cndmask_b32_e64 v4, 0, v7, s1
	v_max_f32_e32 v7, v30, v30
	v_fmac_f32_e32 v4, s31, v3
	v_max_f32_e32 v3, v7, v4
	v_cndmask_b32_e64 v4, 0, v4, s2
	v_cndmask_b32_e64 v30, v30, v3, s2
	ds_write_b32 v33, v4
	s_branch .LBB101_9
.LBB101_12:
	s_or_b32 exec_lo, exec_lo, s5
.LBB101_13:
	s_or_b32 exec_lo, exec_lo, s35
	v_xor_b32_e32 v1, 16, v27
	v_xor_b32_e32 v2, 8, v27
	s_waitcnt lgkmcnt(0)
	v_max_f32_e32 v4, v30, v30
	v_and_b32_e32 v10, 31, v0
	v_lshlrev_b32_e32 v9, 2, v25
	v_cmp_lt_i32_e32 vcc_lo, v1, v29
	v_cndmask_b32_e32 v1, v27, v1, vcc_lo
	v_cmp_lt_i32_e32 vcc_lo, v2, v29
	v_lshlrev_b32_e32 v3, 2, v1
	v_cndmask_b32_e32 v2, v27, v2, vcc_lo
	ds_bpermute_b32 v1, v3, v30
	v_lshlrev_b32_e32 v7, 2, v2
	s_waitcnt lgkmcnt(0)
	v_max_f32_e32 v1, v1, v1
	v_max_f32_e32 v1, v4, v1
	v_xor_b32_e32 v4, 4, v27
	ds_bpermute_b32 v2, v7, v1
	v_cmp_lt_i32_e32 vcc_lo, v4, v29
	v_cndmask_b32_e32 v4, v27, v4, vcc_lo
	v_lshlrev_b32_e32 v8, 2, v4
	v_xor_b32_e32 v4, 2, v27
	v_cmp_lt_i32_e32 vcc_lo, v4, v29
	s_waitcnt lgkmcnt(0)
	v_max_f32_e32 v2, v2, v2
	v_cndmask_b32_e32 v4, v27, v4, vcc_lo
	v_cmp_eq_u32_e32 vcc_lo, 0, v10
	v_max_f32_e32 v1, v1, v2
	ds_bpermute_b32 v2, v8, v1
	s_waitcnt lgkmcnt(0)
	v_max_f32_e32 v2, v2, v2
	v_max_f32_e32 v1, v1, v2
	v_lshlrev_b32_e32 v2, 2, v4
	ds_bpermute_b32 v4, v2, v1
	s_and_saveexec_b32 s1, vcc_lo
	s_cbranch_execz .LBB101_15
; %bb.14:
	s_waitcnt lgkmcnt(0)
	v_max_f32_e32 v4, v4, v4
	v_max_f32_e32 v1, v1, v1
	;; [unrolled: 1-line block ×3, first 2 shown]
	ds_write_b32 v9, v1 offset:160
.LBB101_15:
	s_or_b32 exec_lo, exec_lo, s1
	v_cmp_gt_u32_e64 s1, 4, v10
	v_mov_b32_e32 v1, 0xff7fffff
	v_lshlrev_b32_e32 v12, 2, v10
	s_waitcnt lgkmcnt(0)
	s_barrier
	buffer_gl0_inv
	s_and_saveexec_b32 s2, s1
; %bb.16:
	ds_read_b32 v1, v12 offset:160
; %bb.17:
	s_or_b32 exec_lo, exec_lo, s2
	s_waitcnt lgkmcnt(0)
	ds_bpermute_b32 v4, v2, v1
	v_xor_b32_e32 v11, 1, v27
	v_max_f32_e32 v1, v1, v1
	v_mov_b32_e32 v13, 0
	v_cmp_lt_i32_e64 s2, v11, v29
	v_cndmask_b32_e64 v11, v27, v11, s2
	s_sub_i32 s2, s11, s30
	s_lshl_b32 s2, s2, 4
	v_lshlrev_b32_e32 v11, 2, v11
	s_add_i32 s2, s2, s33
	s_min_i32 s2, s2, s23
	s_waitcnt lgkmcnt(0)
	v_max_f32_e32 v4, v4, v4
	s_sub_i32 s4, s2, s33
	v_cmp_gt_i32_e64 s2, s4, v0
	v_max_f32_e32 v1, v1, v4
	ds_bpermute_b32 v4, v11, v1
	s_waitcnt lgkmcnt(0)
	v_max_f32_e32 v4, v4, v4
	v_max_f32_e32 v1, v1, v4
	v_lshlrev_b32_e32 v4, 2, v28
	ds_bpermute_b32 v1, v4, v1
	v_lshl_add_u32 v4, v0, 2, 0xc0
	s_and_saveexec_b32 s5, s2
	s_cbranch_execz .LBB101_21
; %bb.18:
	v_lshl_add_u32 v14, v0, 2, 0xc0
	v_mov_b32_e32 v13, 0
	v_mov_b32_e32 v15, v0
	s_mov_b32 s15, 0
	.p2align	6
.LBB101_19:                             ; =>This Inner Loop Header: Depth=1
	ds_read_b32 v16, v14
	v_add_nc_u32_e32 v15, 0x80, v15
	v_cmp_le_i32_e64 s3, s4, v15
	s_or_b32 s15, s3, s15
	s_waitcnt lgkmcnt(0)
	v_sub_f32_e32 v16, v16, v1
	v_mul_f32_e32 v16, 0x3fb8aa3b, v16
	v_exp_f32_e32 v16, v16
	ds_write_b32 v14, v16
	v_add_f32_e32 v13, v13, v16
	v_add_nc_u32_e32 v14, 0x200, v14
	s_andn2_b32 exec_lo, exec_lo, s15
	s_cbranch_execnz .LBB101_19
; %bb.20:
	s_or_b32 exec_lo, exec_lo, s15
.LBB101_21:
	s_or_b32 exec_lo, exec_lo, s5
	ds_bpermute_b32 v3, v3, v13
	s_waitcnt lgkmcnt(0)
	v_add_f32_e32 v3, v13, v3
	ds_bpermute_b32 v7, v7, v3
	s_waitcnt lgkmcnt(0)
	v_add_f32_e32 v3, v3, v7
	;; [unrolled: 3-line block ×5, first 2 shown]
	s_and_saveexec_b32 s3, vcc_lo
; %bb.22:
	ds_write_b32 v9, v3 offset:176
; %bb.23:
	s_or_b32 exec_lo, exec_lo, s3
	s_waitcnt lgkmcnt(0)
	s_barrier
	buffer_gl0_inv
	s_and_saveexec_b32 s3, s1
; %bb.24:
	ds_read_b32 v3, v12 offset:176
; %bb.25:
	s_or_b32 exec_lo, exec_lo, s3
	s_waitcnt lgkmcnt(0)
	ds_bpermute_b32 v2, v2, v3
	v_lshlrev_b32_e32 v7, 2, v27
	s_waitcnt lgkmcnt(0)
	v_add_f32_e32 v2, v3, v2
	ds_bpermute_b32 v3, v11, v2
	s_waitcnt lgkmcnt(0)
	v_add_f32_e32 v2, v2, v3
	v_and_b32_e32 v3, 0xffffff80, v7
	ds_bpermute_b32 v2, v3, v2
	s_and_saveexec_b32 s1, s2
	s_cbranch_execz .LBB101_28
; %bb.26:
	s_waitcnt lgkmcnt(0)
	v_add_f32_e32 v3, 0x358637bd, v2
	s_mov_b32 s2, 0
	v_div_scale_f32 v7, null, v3, v3, 1.0
	v_div_scale_f32 v12, vcc_lo, 1.0, v3, 1.0
	v_rcp_f32_e32 v8, v7
	v_fma_f32 v9, -v7, v8, 1.0
	v_fmac_f32_e32 v8, v9, v8
	v_mul_f32_e32 v9, v12, v8
	v_fma_f32 v13, -v7, v9, v12
	v_fmac_f32_e32 v9, v13, v8
	v_fma_f32 v7, -v7, v9, v12
	v_div_fmas_f32 v7, v7, v8, v9
	v_div_fixup_f32 v3, v7, v3, 1.0
	v_mov_b32_e32 v7, v0
.LBB101_27:                             ; =>This Inner Loop Header: Depth=1
	ds_read_b32 v8, v4
	v_add_nc_u32_e32 v7, 0x80, v7
	v_cmp_le_i32_e32 vcc_lo, s4, v7
	s_or_b32 s2, vcc_lo, s2
	s_waitcnt lgkmcnt(0)
	v_mul_f32_e32 v8, v3, v8
	ds_write_b32 v4, v8
	v_add_nc_u32_e32 v4, 0x200, v4
	s_andn2_b32 exec_lo, exec_lo, s2
	s_cbranch_execnz .LBB101_27
.LBB101_28:
	s_or_b32 exec_lo, exec_lo, s1
	s_mul_i32 s1, s7, s22
	s_waitcnt lgkmcnt(0)
	s_mul_i32 s2, s1, s9
	s_mov_b32 s1, exec_lo
	s_barrier
	buffer_gl0_inv
	v_cmpx_eq_u32_e32 0, v0
	s_cbranch_execz .LBB101_30
; %bb.29:
	s_ashr_i32 s3, s2, 31
	s_mul_i32 s30, s7, s6
	s_lshl_b64 s[4:5], s[2:3], 2
	v_mov_b32_e32 v3, 0
	s_add_u32 s3, s18, s4
	s_addc_u32 s6, s19, s5
	s_ashr_i32 s31, s30, 31
	s_lshl_b64 s[18:19], s[30:31], 2
	s_add_u32 s3, s3, s18
	s_addc_u32 s6, s6, s19
	s_ashr_i32 s9, s8, 31
	s_lshl_b64 s[30:31], s[8:9], 2
	s_add_u32 s34, s3, s30
	s_addc_u32 s35, s6, s31
	s_add_u32 s3, s16, s4
	s_addc_u32 s4, s17, s5
	;; [unrolled: 2-line block ×4, first 2 shown]
	global_store_dword v3, v1, s[34:35]
	global_store_dword v3, v2, s[4:5]
.LBB101_30:
	s_or_b32 exec_lo, exec_lo, s1
	v_mov_b32_e32 v15, 0
	v_mov_b32_e32 v16, 0
	;; [unrolled: 1-line block ×5, first 2 shown]
	s_and_saveexec_b32 s3, s0
	s_cbranch_execz .LBB101_44
; %bb.31:
	v_lshlrev_b32_e32 v2, 4, v0
	s_ashr_i32 s15, s14, 31
	v_and_b32_e32 v1, 8, v26
	v_lshl_add_u32 v4, v25, 4, s33
	s_lshl_b64 s[0:1], s[14:15], 1
	v_and_b32_e32 v2, 0x1f0, v2
	s_add_u32 s0, s28, s0
	v_lshlrev_b32_e32 v3, 5, v24
	s_addc_u32 s1, s29, s1
	v_add3_u32 v20, v4, v1, 7
	v_add_co_u32 v18, s0, s0, v2
	v_lshlrev_b64 v[1:2], 2, v[5:6]
	v_add_co_ci_u32_e64 v19, null, s1, 0, s0
	s_lshl_b64 s[0:1], s[26:27], 2
	s_add_i32 s12, s12, -1
	v_lshl_or_b32 v3, v25, 6, v3
	s_add_u32 s0, s24, s0
	s_addc_u32 s1, s25, s1
	v_add_co_u32 v6, vcc_lo, s0, v1
	v_mov_b32_e32 v17, 0
	v_add_nc_u32_e32 v21, 0xc0, v3
	v_add_co_ci_u32_e64 v7, null, s1, v2, vcc_lo
	v_mov_b32_e32 v12, 0
	v_mov_b32_e32 v13, 0
	;; [unrolled: 1-line block ×5, first 2 shown]
	s_mov_b32 s5, s13
	s_mov_b32 s4, 0
	s_branch .LBB101_33
.LBB101_32:                             ;   in Loop: Header=BB101_33 Depth=1
	s_or_b32 exec_lo, exec_lo, s1
	v_lshlrev_b32_e32 v22, 16, v44
	v_lshlrev_b32_e32 v26, 16, v43
	;; [unrolled: 1-line block ×3, first 2 shown]
	v_add_f32_e32 v8, v8, v9
	v_add_nc_u32_e32 v5, 4, v5
	v_and_or_b32 v1, 0xffff, v1, v22
	v_and_or_b32 v2, 0xffff, v2, v26
	;; [unrolled: 1-line block ×3, first 2 shown]
	;;#ASMSTART
	v_pk_mul_f16 v1, v33, v1;

	;;#ASMEND
	;;#ASMSTART
	v_pk_mul_f16 v2, v32, v2;

	;;#ASMEND
	;; [unrolled: 4-line block ×4, first 2 shown]
	;;#ASMSTART
	v_pk_add_f16 v1, v1, v2;

	;;#ASMEND
	;;#ASMSTART
	v_pk_add_f16 v1, v1, v3;

	;;#ASMEND
	;;#ASMSTART
	v_pk_add_f16 v1, v1, v4;

	;;#ASMEND
	v_and_b32_e32 v4, 0xffff, v1
	v_add_f32_e32 v13, v13, v8
	v_lshrrev_b32_e32 v8, 16, v1
	;;#ASMSTART
	v_cvt_f32_f16 v4, v4;
	;;#ASMEND
	v_add_f32_e32 v1, v40, v41
	v_add_f32_e32 v2, v38, v39
	;; [unrolled: 1-line block ×3, first 2 shown]
	;;#ASMSTART
	v_cvt_f32_f16 v8, v8;
	;;#ASMEND
	v_add_f32_e32 v4, v4, v8
	v_cmp_le_i32_e32 vcc_lo, s11, v5
	v_add_co_u32 v6, s0, v6, 16
	v_add_f32_e32 v14, v14, v1
	v_add_f32_e32 v16, v16, v2
	;; [unrolled: 1-line block ×4, first 2 shown]
	v_add_nc_u32_e32 v20, 64, v20
	v_add_nc_u32_e32 v21, 0x100, v21
	v_add_co_ci_u32_e64 v7, null, 0, v7, s0
	s_or_b32 s4, vcc_lo, s4
	s_andn2_b32 exec_lo, exec_lo, s4
	s_cbranch_execz .LBB101_43
.LBB101_33:                             ; =>This Inner Loop Header: Depth=1
	global_load_dword v8, v[6:7], off
	ds_read2_b64 v[1:4], v21 offset1:1
	ds_read2_b64 v[26:29], v21 offset0:2 offset1:3
	v_cmp_eq_u32_e64 s0, s12, v5
	v_add_nc_u32_e32 v31, -6, v20
	v_add_nc_u32_e32 v22, -2, v20
	;; [unrolled: 1-line block ×3, first 2 shown]
	s_waitcnt lgkmcnt(1)
	;;#ASMSTART
	v_cvt_f16_f32 v33, v1;

	;;#ASMEND
	;;#ASMSTART
	v_cvt_f16_f32 v32, v2;

	;;#ASMEND
	;; [unrolled: 4-line block ×4, first 2 shown]
	s_waitcnt lgkmcnt(0)
	;;#ASMSTART
	v_cvt_f16_f32 v39, v26;

	;;#ASMEND
	;;#ASMSTART
	v_cvt_f16_f32 v34, v27;

	;;#ASMEND
	;; [unrolled: 4-line block ×4, first 2 shown]
	v_add_nc_u32_e32 v29, -7, v20
	v_add_nc_u32_e32 v28, -5, v20
	v_add_nc_u32_e32 v27, -4, v20
	v_add_nc_u32_e32 v26, -3, v20
	s_waitcnt vmcnt(0)
	v_mad_i64_i32 v[8:9], null, v8, s5, 0
	v_lshlrev_b64 v[8:9], 1, v[8:9]
	v_add_co_u32 v8, vcc_lo, v18, v8
	v_add_co_ci_u32_e64 v9, null, v19, v9, vcc_lo
	global_load_dwordx4 v[1:4], v[8:9], off
	s_waitcnt vmcnt(0)
	v_lshrrev_b32_e32 v42, 16, v1
	v_lshrrev_b32_e32 v41, 16, v2
	;; [unrolled: 1-line block ×3, first 2 shown]
	s_and_saveexec_b32 s6, s0
	s_cbranch_execz .LBB101_35
; %bb.34:                               ;   in Loop: Header=BB101_33 Depth=1
	v_cmp_gt_i32_e32 vcc_lo, s23, v29
	v_and_b32_e32 v43, 0xffff0000, v4
	v_cmp_gt_i32_e64 s1, s23, v28
	v_cndmask_b32_e32 v1, 0, v1, vcc_lo
	v_cmp_gt_i32_e32 vcc_lo, s23, v31
	v_cndmask_b32_e64 v2, 0, v2, s1
	v_cmp_gt_i32_e64 s1, s23, v27
	v_cndmask_b32_e32 v42, 0, v42, vcc_lo
	v_cmp_gt_i32_e32 vcc_lo, s23, v30
	v_cndmask_b32_e64 v41, 0, v41, s1
	v_cndmask_b32_sdwa v4, v17, v4, vcc_lo dst_sel:DWORD dst_unused:UNUSED_PAD src0_sel:DWORD src1_sel:WORD_0
	v_cmp_gt_i32_e32 vcc_lo, s23, v20
	v_cndmask_b32_e32 v43, 0, v43, vcc_lo
	v_cmp_gt_i32_e32 vcc_lo, s23, v26
	v_or_b32_e32 v4, v4, v43
	v_cndmask_b32_e32 v3, 0, v3, vcc_lo
	v_cmp_gt_i32_e32 vcc_lo, s23, v22
	v_cndmask_b32_e32 v40, 0, v40, vcc_lo
.LBB101_35:                             ;   in Loop: Header=BB101_33 Depth=1
	s_or_b32 exec_lo, exec_lo, s6
	v_and_b32_e32 v33, 0xffff, v33
	v_and_b32_e32 v38, 0xffff, v38
	v_lshlrev_b32_e32 v42, 16, v42
	v_and_b32_e32 v39, 0xffff, v39
	v_and_b32_e32 v37, 0xffff, v37
	v_lshl_or_b32 v33, v32, 16, v33
	v_lshl_or_b32 v32, v36, 16, v38
	v_lshlrev_b32_e32 v36, 16, v41
	v_lshlrev_b32_e32 v38, 16, v40
	v_and_or_b32 v1, 0xffff, v1, v42
	;;#ASMSTART
	v_pk_mul_f16 v1, v33, v1;

	;;#ASMEND
	v_lshl_or_b32 v34, v34, 16, v39
	v_and_or_b32 v2, 0xffff, v2, v36
	v_and_or_b32 v3, 0xffff, v3, v38
	v_lshl_or_b32 v35, v35, 16, v37
	;;#ASMSTART
	v_pk_mul_f16 v2, v32, v2;

	;;#ASMEND
	;;#ASMSTART
	v_pk_mul_f16 v3, v34, v3;

	;;#ASMEND
	;; [unrolled: 4-line block ×3, first 2 shown]
	;;#ASMSTART
	v_pk_add_f16 v1, v1, v2;

	;;#ASMEND
	;;#ASMSTART
	v_pk_add_f16 v1, v1, v3;

	;;#ASMEND
	;; [unrolled: 4-line block ×3, first 2 shown]
	v_and_b32_e32 v2, 0xffff, v1
	v_lshrrev_b32_e32 v1, 16, v1
	;;#ASMSTART
	v_cvt_f32_f16 v36, v2;
	;;#ASMEND
	;;#ASMSTART
	v_cvt_f32_f16 v37, v1;
	;;#ASMEND
	global_load_dwordx4 v[1:4], v[8:9], off offset:512
	s_waitcnt vmcnt(0)
	v_lshrrev_b32_e32 v40, 16, v1
	v_lshrrev_b32_e32 v39, 16, v2
	;; [unrolled: 1-line block ×3, first 2 shown]
	s_and_saveexec_b32 s6, s0
	s_cbranch_execz .LBB101_37
; %bb.36:                               ;   in Loop: Header=BB101_33 Depth=1
	v_cmp_gt_i32_e32 vcc_lo, s23, v29
	v_and_b32_e32 v41, 0xffff0000, v4
	v_cmp_gt_i32_e64 s1, s23, v28
	v_cndmask_b32_e32 v1, 0, v1, vcc_lo
	v_cmp_gt_i32_e32 vcc_lo, s23, v31
	v_cndmask_b32_e64 v2, 0, v2, s1
	v_cmp_gt_i32_e64 s1, s23, v27
	v_cndmask_b32_e32 v40, 0, v40, vcc_lo
	v_cmp_gt_i32_e32 vcc_lo, s23, v30
	v_cndmask_b32_e64 v39, 0, v39, s1
	v_cndmask_b32_sdwa v4, v17, v4, vcc_lo dst_sel:DWORD dst_unused:UNUSED_PAD src0_sel:DWORD src1_sel:WORD_0
	v_cmp_gt_i32_e32 vcc_lo, s23, v20
	v_cndmask_b32_e32 v41, 0, v41, vcc_lo
	v_cmp_gt_i32_e32 vcc_lo, s23, v26
	v_or_b32_e32 v4, v4, v41
	v_cndmask_b32_e32 v3, 0, v3, vcc_lo
	v_cmp_gt_i32_e32 vcc_lo, s23, v22
	v_cndmask_b32_e32 v38, 0, v38, vcc_lo
.LBB101_37:                             ;   in Loop: Header=BB101_33 Depth=1
	s_or_b32 exec_lo, exec_lo, s6
	v_lshlrev_b32_e32 v40, 16, v40
	v_lshlrev_b32_e32 v39, 16, v39
	;; [unrolled: 1-line block ×3, first 2 shown]
	v_and_or_b32 v1, 0xffff, v1, v40
	v_and_or_b32 v2, 0xffff, v2, v39
	;; [unrolled: 1-line block ×3, first 2 shown]
	;;#ASMSTART
	v_pk_mul_f16 v1, v33, v1;

	;;#ASMEND
	;;#ASMSTART
	v_pk_mul_f16 v2, v32, v2;

	;;#ASMEND
	;; [unrolled: 4-line block ×4, first 2 shown]
	;;#ASMSTART
	v_pk_add_f16 v1, v1, v2;

	;;#ASMEND
	;;#ASMSTART
	v_pk_add_f16 v1, v1, v3;

	;;#ASMEND
	;; [unrolled: 4-line block ×3, first 2 shown]
	v_and_b32_e32 v2, 0xffff, v1
	v_lshrrev_b32_e32 v1, 16, v1
	;;#ASMSTART
	v_cvt_f32_f16 v38, v2;
	;;#ASMEND
	;;#ASMSTART
	v_cvt_f32_f16 v39, v1;
	;;#ASMEND
	global_load_dwordx4 v[1:4], v[8:9], off offset:1024
	s_waitcnt vmcnt(0)
	v_lshrrev_b32_e32 v42, 16, v1
	v_lshrrev_b32_e32 v41, 16, v2
	;; [unrolled: 1-line block ×3, first 2 shown]
	s_and_saveexec_b32 s6, s0
	s_cbranch_execz .LBB101_39
; %bb.38:                               ;   in Loop: Header=BB101_33 Depth=1
	v_cmp_gt_i32_e32 vcc_lo, s23, v29
	v_and_b32_e32 v43, 0xffff0000, v4
	v_cmp_gt_i32_e64 s1, s23, v28
	v_cndmask_b32_e32 v1, 0, v1, vcc_lo
	v_cmp_gt_i32_e32 vcc_lo, s23, v31
	v_cndmask_b32_e64 v2, 0, v2, s1
	v_cmp_gt_i32_e64 s1, s23, v27
	v_cndmask_b32_e32 v42, 0, v42, vcc_lo
	v_cmp_gt_i32_e32 vcc_lo, s23, v30
	v_cndmask_b32_e64 v41, 0, v41, s1
	v_cndmask_b32_sdwa v4, v17, v4, vcc_lo dst_sel:DWORD dst_unused:UNUSED_PAD src0_sel:DWORD src1_sel:WORD_0
	v_cmp_gt_i32_e32 vcc_lo, s23, v20
	v_cndmask_b32_e32 v43, 0, v43, vcc_lo
	v_cmp_gt_i32_e32 vcc_lo, s23, v26
	v_or_b32_e32 v4, v4, v43
	v_cndmask_b32_e32 v3, 0, v3, vcc_lo
	v_cmp_gt_i32_e32 vcc_lo, s23, v22
	v_cndmask_b32_e32 v40, 0, v40, vcc_lo
.LBB101_39:                             ;   in Loop: Header=BB101_33 Depth=1
	s_or_b32 exec_lo, exec_lo, s6
	v_lshlrev_b32_e32 v42, 16, v42
	v_lshlrev_b32_e32 v41, 16, v41
	;; [unrolled: 1-line block ×3, first 2 shown]
	v_and_or_b32 v1, 0xffff, v1, v42
	v_and_or_b32 v2, 0xffff, v2, v41
	;; [unrolled: 1-line block ×3, first 2 shown]
	;;#ASMSTART
	v_pk_mul_f16 v1, v33, v1;

	;;#ASMEND
	;;#ASMSTART
	v_pk_mul_f16 v2, v32, v2;

	;;#ASMEND
	;; [unrolled: 4-line block ×4, first 2 shown]
	;;#ASMSTART
	v_pk_add_f16 v1, v1, v2;

	;;#ASMEND
	;;#ASMSTART
	v_pk_add_f16 v1, v1, v3;

	;;#ASMEND
	;; [unrolled: 4-line block ×3, first 2 shown]
	v_and_b32_e32 v2, 0xffff, v1
	v_lshrrev_b32_e32 v1, 16, v1
	;;#ASMSTART
	v_cvt_f32_f16 v40, v2;
	;;#ASMEND
	;;#ASMSTART
	v_cvt_f32_f16 v41, v1;
	;;#ASMEND
	global_load_dwordx4 v[1:4], v[8:9], off offset:1536
	s_waitcnt vmcnt(0)
	v_lshrrev_b32_e32 v44, 16, v1
	v_lshrrev_b32_e32 v43, 16, v2
	;; [unrolled: 1-line block ×3, first 2 shown]
	s_and_saveexec_b32 s6, s0
	s_cbranch_execz .LBB101_41
; %bb.40:                               ;   in Loop: Header=BB101_33 Depth=1
	v_cmp_gt_i32_e32 vcc_lo, s23, v29
	v_and_b32_e32 v45, 0xffff0000, v4
	v_cmp_gt_i32_e64 s1, s23, v28
	v_cndmask_b32_e32 v1, 0, v1, vcc_lo
	v_cmp_gt_i32_e32 vcc_lo, s23, v31
	v_cndmask_b32_e64 v2, 0, v2, s1
	v_cmp_gt_i32_e64 s1, s23, v27
	v_cndmask_b32_e32 v44, 0, v44, vcc_lo
	v_cmp_gt_i32_e32 vcc_lo, s23, v30
	v_cndmask_b32_e64 v43, 0, v43, s1
	v_cndmask_b32_sdwa v4, v17, v4, vcc_lo dst_sel:DWORD dst_unused:UNUSED_PAD src0_sel:DWORD src1_sel:WORD_0
	v_cmp_gt_i32_e32 vcc_lo, s23, v20
	v_cndmask_b32_e32 v45, 0, v45, vcc_lo
	v_cmp_gt_i32_e32 vcc_lo, s23, v26
	v_or_b32_e32 v4, v4, v45
	v_cndmask_b32_e32 v3, 0, v3, vcc_lo
	v_cmp_gt_i32_e32 vcc_lo, s23, v22
	v_cndmask_b32_e32 v42, 0, v42, vcc_lo
.LBB101_41:                             ;   in Loop: Header=BB101_33 Depth=1
	s_or_b32 exec_lo, exec_lo, s6
	v_lshlrev_b32_e32 v44, 16, v44
	v_lshlrev_b32_e32 v43, 16, v43
	;; [unrolled: 1-line block ×3, first 2 shown]
	v_and_or_b32 v1, 0xffff, v1, v44
	v_and_or_b32 v2, 0xffff, v2, v43
	v_and_or_b32 v3, 0xffff, v3, v42
	;;#ASMSTART
	v_pk_mul_f16 v1, v33, v1;

	;;#ASMEND
	;;#ASMSTART
	v_pk_mul_f16 v2, v32, v2;

	;;#ASMEND
	;; [unrolled: 4-line block ×4, first 2 shown]
	;;#ASMSTART
	v_pk_add_f16 v1, v1, v2;

	;;#ASMEND
	;;#ASMSTART
	v_pk_add_f16 v1, v1, v3;

	;;#ASMEND
	;; [unrolled: 4-line block ×3, first 2 shown]
	v_lshrrev_b32_e32 v3, 16, v1
	v_and_b32_e32 v4, 0xffff, v1
	v_add_co_u32 v1, vcc_lo, 0x800, v8
	v_add_co_ci_u32_e64 v2, null, 0, v9, vcc_lo
	;;#ASMSTART
	v_cvt_f32_f16 v8, v4;
	;;#ASMEND
	;;#ASMSTART
	v_cvt_f32_f16 v9, v3;
	;;#ASMEND
	global_load_dwordx4 v[1:4], v[1:2], off
	s_waitcnt vmcnt(0)
	v_lshrrev_b32_e32 v44, 16, v1
	v_lshrrev_b32_e32 v43, 16, v2
	;; [unrolled: 1-line block ×3, first 2 shown]
	s_and_saveexec_b32 s1, s0
	s_cbranch_execz .LBB101_32
; %bb.42:                               ;   in Loop: Header=BB101_33 Depth=1
	v_cmp_gt_i32_e32 vcc_lo, s23, v29
	v_cmp_gt_i32_e64 s0, s23, v28
	v_cndmask_b32_e32 v1, 0, v1, vcc_lo
	v_cmp_gt_i32_e32 vcc_lo, s23, v31
	v_cndmask_b32_e64 v2, 0, v2, s0
	v_cmp_gt_i32_e64 s0, s23, v27
	v_and_b32_e32 v27, 0xffff0000, v4
	v_cndmask_b32_e32 v44, 0, v44, vcc_lo
	v_cmp_gt_i32_e32 vcc_lo, s23, v30
	v_cndmask_b32_e64 v43, 0, v43, s0
	v_cndmask_b32_sdwa v4, v17, v4, vcc_lo dst_sel:DWORD dst_unused:UNUSED_PAD src0_sel:DWORD src1_sel:WORD_0
	v_cmp_gt_i32_e32 vcc_lo, s23, v20
	v_cndmask_b32_e32 v27, 0, v27, vcc_lo
	v_cmp_gt_i32_e32 vcc_lo, s23, v26
	v_or_b32_e32 v4, v4, v27
	v_cndmask_b32_e32 v3, 0, v3, vcc_lo
	v_cmp_gt_i32_e32 vcc_lo, s23, v22
	v_cndmask_b32_e32 v42, 0, v42, vcc_lo
	s_branch .LBB101_32
.LBB101_43:
	s_or_b32 exec_lo, exec_lo, s4
.LBB101_44:
	s_or_b32 exec_lo, exec_lo, s3
	ds_bpermute_b32 v1, v11, v15
	ds_bpermute_b32 v2, v11, v16
	;; [unrolled: 1-line block ×5, first 2 shown]
	v_lshrrev_b32_e32 v6, 1, v10
	v_mul_u32_u24_e32 v8, 0x140, v25
	v_and_b32_e32 v10, 0x3c1, v0
	s_mov_b32 s0, exec_lo
	s_waitcnt lgkmcnt(0)
	s_waitcnt_vscnt null, 0x0
	v_lshl_add_u32 v7, v6, 2, 0xc0
	s_barrier
	buffer_gl0_inv
	v_add_f32_e32 v5, v15, v1
	v_add_f32_e32 v4, v16, v2
	v_add_f32_e32 v3, v14, v3
	v_add_f32_e32 v2, v13, v9
	v_add_f32_e32 v1, v12, v11
	v_cmpx_eq_u32_e32 64, v10
	s_cbranch_execz .LBB101_46
; %bb.45:
	v_add_nc_u32_e32 v9, v7, v8
	v_add_nc_u32_e32 v10, 0xfffffd80, v9
	v_add_nc_u32_e32 v11, 0xfffffdc0, v9
	v_add_nc_u32_e32 v12, 0xfffffe00, v9
	v_add_nc_u32_e32 v13, 0xfffffe40, v9
	v_add_nc_u32_e32 v9, 0xfffffe80, v9
	ds_write_b32 v10, v5
	ds_write_b32 v11, v4
	;; [unrolled: 1-line block ×5, first 2 shown]
.LBB101_46:
	s_or_b32 exec_lo, exec_lo, s0
	v_lshlrev_b32_e32 v6, 2, v6
	s_mov_b32 s1, exec_lo
	v_cmp_eq_u32_e32 vcc_lo, 0, v24
	s_waitcnt lgkmcnt(0)
	s_barrier
	v_add3_u32 v6, 0xc0, v8, v6
	buffer_gl0_inv
	v_cmpx_gt_u32_e32 64, v0
	s_cbranch_execz .LBB101_54
; %bb.47:
	s_and_saveexec_b32 s0, vcc_lo
	s_cbranch_execnz .LBB101_67
; %bb.48:
	s_or_b32 exec_lo, exec_lo, s0
	s_and_saveexec_b32 s0, vcc_lo
	s_cbranch_execnz .LBB101_68
.LBB101_49:
	s_or_b32 exec_lo, exec_lo, s0
	s_and_saveexec_b32 s0, vcc_lo
	s_cbranch_execnz .LBB101_69
.LBB101_50:
	s_or_b32 exec_lo, exec_lo, s0
	s_and_saveexec_b32 s0, vcc_lo
	s_cbranch_execnz .LBB101_70
.LBB101_51:
	s_or_b32 exec_lo, exec_lo, s0
	s_and_saveexec_b32 s0, vcc_lo
	s_cbranch_execz .LBB101_53
.LBB101_52:
	ds_read_b32 v8, v6 offset:256
	s_waitcnt lgkmcnt(0)
	v_add_f32_e32 v1, v1, v8
.LBB101_53:
	s_or_b32 exec_lo, exec_lo, s0
.LBB101_54:
	s_or_b32 exec_lo, exec_lo, s1
	v_and_b32_e32 v8, 0x3e1, v0
	s_mov_b32 s1, exec_lo
	s_barrier
	buffer_gl0_inv
	v_cmpx_eq_u32_e32 32, v8
	s_cbranch_execz .LBB101_56
; %bb.55:
	ds_write2_b32 v7, v5, v4 offset1:16
	ds_write2_b32 v7, v3, v2 offset0:32 offset1:48
	ds_write_b32 v7, v1 offset:256
.LBB101_56:
	s_or_b32 exec_lo, exec_lo, s1
	s_mov_b32 s1, exec_lo
	s_waitcnt lgkmcnt(0)
	s_barrier
	buffer_gl0_inv
	v_cmpx_gt_u32_e32 32, v0
	s_cbranch_execz .LBB101_64
; %bb.57:
	s_and_saveexec_b32 s0, vcc_lo
	s_cbranch_execnz .LBB101_71
; %bb.58:
	s_or_b32 exec_lo, exec_lo, s0
	s_and_saveexec_b32 s0, vcc_lo
	s_cbranch_execnz .LBB101_72
.LBB101_59:
	s_or_b32 exec_lo, exec_lo, s0
	s_and_saveexec_b32 s0, vcc_lo
	s_cbranch_execnz .LBB101_73
.LBB101_60:
	s_or_b32 exec_lo, exec_lo, s0
	s_and_saveexec_b32 s0, vcc_lo
	s_cbranch_execnz .LBB101_74
.LBB101_61:
	s_or_b32 exec_lo, exec_lo, s0
	s_and_saveexec_b32 s0, vcc_lo
	s_cbranch_execz .LBB101_63
.LBB101_62:
	ds_read_b32 v0, v6 offset:256
	s_waitcnt lgkmcnt(0)
	v_add_f32_e32 v1, v1, v0
.LBB101_63:
	s_or_b32 exec_lo, exec_lo, s0
.LBB101_64:
	s_or_b32 exec_lo, exec_lo, s1
	s_barrier
	buffer_gl0_inv
	s_mov_b32 s0, exec_lo
	v_cmpx_eq_u32_e32 0, v8
	s_cbranch_execz .LBB101_66
; %bb.65:
	s_mul_i32 s0, s2, 0x50
	s_mul_i32 s2, s7, s10
	s_ashr_i32 s1, s0, 31
	v_lshlrev_b32_e32 v0, 1, v23
	s_lshl_b64 s[0:1], s[0:1], 1
	;;#ASMSTART
	v_cvt_f16_f32 v5, v5;

	;;#ASMEND
	s_add_u32 s4, s20, s0
	s_addc_u32 s5, s21, s1
	s_ashr_i32 s3, s2, 31
	s_lshl_b64 s[0:1], s[2:3], 1
	s_mul_i32 s2, s8, 0x50
	s_add_u32 s4, s4, s0
	s_addc_u32 s5, s5, s1
	s_ashr_i32 s3, s2, 31
	s_lshl_b64 s[0:1], s[2:3], 1
	s_add_u32 s0, s4, s0
	s_addc_u32 s1, s5, s1
	global_store_short v0, v5, s[0:1]
	;;#ASMSTART
	v_cvt_f16_f32 v4, v4;

	;;#ASMEND
	global_store_short v0, v4, s[0:1] offset:32
	;;#ASMSTART
	v_cvt_f16_f32 v3, v3;

	;;#ASMEND
	global_store_short v0, v3, s[0:1] offset:64
	;; [unrolled: 5-line block ×4, first 2 shown]
.LBB101_66:
	s_endpgm
.LBB101_67:
	ds_read_b32 v8, v6
	s_waitcnt lgkmcnt(0)
	v_add_f32_e32 v5, v5, v8
	s_or_b32 exec_lo, exec_lo, s0
	s_and_saveexec_b32 s0, vcc_lo
	s_cbranch_execz .LBB101_49
.LBB101_68:
	ds_read_b32 v8, v6 offset:64
	s_waitcnt lgkmcnt(0)
	v_add_f32_e32 v4, v4, v8
	s_or_b32 exec_lo, exec_lo, s0
	s_and_saveexec_b32 s0, vcc_lo
	s_cbranch_execz .LBB101_50
.LBB101_69:
	ds_read_b32 v8, v6 offset:128
	s_waitcnt lgkmcnt(0)
	v_add_f32_e32 v3, v3, v8
	s_or_b32 exec_lo, exec_lo, s0
	s_and_saveexec_b32 s0, vcc_lo
	s_cbranch_execz .LBB101_51
.LBB101_70:
	ds_read_b32 v8, v6 offset:192
	s_waitcnt lgkmcnt(0)
	v_add_f32_e32 v2, v2, v8
	s_or_b32 exec_lo, exec_lo, s0
	s_and_saveexec_b32 s0, vcc_lo
	s_cbranch_execnz .LBB101_52
	s_branch .LBB101_53
.LBB101_71:
	ds_read_b32 v0, v6
	s_waitcnt lgkmcnt(0)
	v_add_f32_e32 v5, v5, v0
	s_or_b32 exec_lo, exec_lo, s0
	s_and_saveexec_b32 s0, vcc_lo
	s_cbranch_execz .LBB101_59
.LBB101_72:
	ds_read_b32 v0, v6 offset:64
	s_waitcnt lgkmcnt(0)
	v_add_f32_e32 v4, v4, v0
	s_or_b32 exec_lo, exec_lo, s0
	s_and_saveexec_b32 s0, vcc_lo
	s_cbranch_execz .LBB101_60
.LBB101_73:
	ds_read_b32 v0, v6 offset:128
	s_waitcnt lgkmcnt(0)
	v_add_f32_e32 v3, v3, v0
	s_or_b32 exec_lo, exec_lo, s0
	s_and_saveexec_b32 s0, vcc_lo
	s_cbranch_execz .LBB101_61
.LBB101_74:
	ds_read_b32 v0, v6 offset:192
	s_waitcnt lgkmcnt(0)
	v_add_f32_e32 v2, v2, v0
	s_or_b32 exec_lo, exec_lo, s0
	s_and_saveexec_b32 s0, vcc_lo
	s_cbranch_execnz .LBB101_62
	s_branch .LBB101_63
	.section	.rodata,"a",@progbits
	.p2align	6, 0x0
	.amdhsa_kernel _ZN4vllm25paged_attention_v2_kernelIttLi80ELi16ELi128ELNS_18Fp8KVCacheDataTypeE0ELb0ELi512EEEvPfS2_PT_PKS3_PKT0_S9_ifPKiSB_iPKfiiiSD_SD_iiiii
		.amdhsa_group_segment_fixed_size 192
		.amdhsa_private_segment_fixed_size 0
		.amdhsa_kernarg_size 400
		.amdhsa_user_sgpr_count 6
		.amdhsa_user_sgpr_private_segment_buffer 1
		.amdhsa_user_sgpr_dispatch_ptr 0
		.amdhsa_user_sgpr_queue_ptr 0
		.amdhsa_user_sgpr_kernarg_segment_ptr 1
		.amdhsa_user_sgpr_dispatch_id 0
		.amdhsa_user_sgpr_flat_scratch_init 0
		.amdhsa_user_sgpr_private_segment_size 0
		.amdhsa_wavefront_size32 1
		.amdhsa_uses_dynamic_stack 0
		.amdhsa_system_sgpr_private_segment_wavefront_offset 0
		.amdhsa_system_sgpr_workgroup_id_x 1
		.amdhsa_system_sgpr_workgroup_id_y 1
		.amdhsa_system_sgpr_workgroup_id_z 1
		.amdhsa_system_sgpr_workgroup_info 0
		.amdhsa_system_vgpr_workitem_id 0
		.amdhsa_next_free_vgpr 88
		.amdhsa_next_free_sgpr 36
		.amdhsa_reserve_vcc 1
		.amdhsa_reserve_flat_scratch 0
		.amdhsa_float_round_mode_32 0
		.amdhsa_float_round_mode_16_64 0
		.amdhsa_float_denorm_mode_32 3
		.amdhsa_float_denorm_mode_16_64 3
		.amdhsa_dx10_clamp 1
		.amdhsa_ieee_mode 1
		.amdhsa_fp16_overflow 0
		.amdhsa_workgroup_processor_mode 1
		.amdhsa_memory_ordered 1
		.amdhsa_forward_progress 1
		.amdhsa_shared_vgpr_count 0
		.amdhsa_exception_fp_ieee_invalid_op 0
		.amdhsa_exception_fp_denorm_src 0
		.amdhsa_exception_fp_ieee_div_zero 0
		.amdhsa_exception_fp_ieee_overflow 0
		.amdhsa_exception_fp_ieee_underflow 0
		.amdhsa_exception_fp_ieee_inexact 0
		.amdhsa_exception_int_div_zero 0
	.end_amdhsa_kernel
	.section	.text._ZN4vllm25paged_attention_v2_kernelIttLi80ELi16ELi128ELNS_18Fp8KVCacheDataTypeE0ELb0ELi512EEEvPfS2_PT_PKS3_PKT0_S9_ifPKiSB_iPKfiiiSD_SD_iiiii,"axG",@progbits,_ZN4vllm25paged_attention_v2_kernelIttLi80ELi16ELi128ELNS_18Fp8KVCacheDataTypeE0ELb0ELi512EEEvPfS2_PT_PKS3_PKT0_S9_ifPKiSB_iPKfiiiSD_SD_iiiii,comdat
.Lfunc_end101:
	.size	_ZN4vllm25paged_attention_v2_kernelIttLi80ELi16ELi128ELNS_18Fp8KVCacheDataTypeE0ELb0ELi512EEEvPfS2_PT_PKS3_PKT0_S9_ifPKiSB_iPKfiiiSD_SD_iiiii, .Lfunc_end101-_ZN4vllm25paged_attention_v2_kernelIttLi80ELi16ELi128ELNS_18Fp8KVCacheDataTypeE0ELb0ELi512EEEvPfS2_PT_PKS3_PKT0_S9_ifPKiSB_iPKfiiiSD_SD_iiiii
                                        ; -- End function
	.set _ZN4vllm25paged_attention_v2_kernelIttLi80ELi16ELi128ELNS_18Fp8KVCacheDataTypeE0ELb0ELi512EEEvPfS2_PT_PKS3_PKT0_S9_ifPKiSB_iPKfiiiSD_SD_iiiii.num_vgpr, 88
	.set _ZN4vllm25paged_attention_v2_kernelIttLi80ELi16ELi128ELNS_18Fp8KVCacheDataTypeE0ELb0ELi512EEEvPfS2_PT_PKS3_PKT0_S9_ifPKiSB_iPKfiiiSD_SD_iiiii.num_agpr, 0
	.set _ZN4vllm25paged_attention_v2_kernelIttLi80ELi16ELi128ELNS_18Fp8KVCacheDataTypeE0ELb0ELi512EEEvPfS2_PT_PKS3_PKT0_S9_ifPKiSB_iPKfiiiSD_SD_iiiii.numbered_sgpr, 36
	.set _ZN4vllm25paged_attention_v2_kernelIttLi80ELi16ELi128ELNS_18Fp8KVCacheDataTypeE0ELb0ELi512EEEvPfS2_PT_PKS3_PKT0_S9_ifPKiSB_iPKfiiiSD_SD_iiiii.num_named_barrier, 0
	.set _ZN4vllm25paged_attention_v2_kernelIttLi80ELi16ELi128ELNS_18Fp8KVCacheDataTypeE0ELb0ELi512EEEvPfS2_PT_PKS3_PKT0_S9_ifPKiSB_iPKfiiiSD_SD_iiiii.private_seg_size, 0
	.set _ZN4vllm25paged_attention_v2_kernelIttLi80ELi16ELi128ELNS_18Fp8KVCacheDataTypeE0ELb0ELi512EEEvPfS2_PT_PKS3_PKT0_S9_ifPKiSB_iPKfiiiSD_SD_iiiii.uses_vcc, 1
	.set _ZN4vllm25paged_attention_v2_kernelIttLi80ELi16ELi128ELNS_18Fp8KVCacheDataTypeE0ELb0ELi512EEEvPfS2_PT_PKS3_PKT0_S9_ifPKiSB_iPKfiiiSD_SD_iiiii.uses_flat_scratch, 0
	.set _ZN4vllm25paged_attention_v2_kernelIttLi80ELi16ELi128ELNS_18Fp8KVCacheDataTypeE0ELb0ELi512EEEvPfS2_PT_PKS3_PKT0_S9_ifPKiSB_iPKfiiiSD_SD_iiiii.has_dyn_sized_stack, 0
	.set _ZN4vllm25paged_attention_v2_kernelIttLi80ELi16ELi128ELNS_18Fp8KVCacheDataTypeE0ELb0ELi512EEEvPfS2_PT_PKS3_PKT0_S9_ifPKiSB_iPKfiiiSD_SD_iiiii.has_recursion, 0
	.set _ZN4vllm25paged_attention_v2_kernelIttLi80ELi16ELi128ELNS_18Fp8KVCacheDataTypeE0ELb0ELi512EEEvPfS2_PT_PKS3_PKT0_S9_ifPKiSB_iPKfiiiSD_SD_iiiii.has_indirect_call, 0
	.section	.AMDGPU.csdata,"",@progbits
; Kernel info:
; codeLenInByte = 8072
; TotalNumSgprs: 38
; NumVgprs: 88
; ScratchSize: 0
; MemoryBound: 0
; FloatMode: 240
; IeeeMode: 1
; LDSByteSize: 192 bytes/workgroup (compile time only)
; SGPRBlocks: 0
; VGPRBlocks: 10
; NumSGPRsForWavesPerEU: 38
; NumVGPRsForWavesPerEU: 88
; Occupancy: 10
; WaveLimiterHint : 1
; COMPUTE_PGM_RSRC2:SCRATCH_EN: 0
; COMPUTE_PGM_RSRC2:USER_SGPR: 6
; COMPUTE_PGM_RSRC2:TRAP_HANDLER: 0
; COMPUTE_PGM_RSRC2:TGID_X_EN: 1
; COMPUTE_PGM_RSRC2:TGID_Y_EN: 1
; COMPUTE_PGM_RSRC2:TGID_Z_EN: 1
; COMPUTE_PGM_RSRC2:TIDIG_COMP_CNT: 0
	.section	.text._ZN4vllm25paged_attention_v2_kernelIttLi96ELi16ELi128ELNS_18Fp8KVCacheDataTypeE0ELb0ELi512EEEvPfS2_PT_PKS3_PKT0_S9_ifPKiSB_iPKfiiiSD_SD_iiiii,"axG",@progbits,_ZN4vllm25paged_attention_v2_kernelIttLi96ELi16ELi128ELNS_18Fp8KVCacheDataTypeE0ELb0ELi512EEEvPfS2_PT_PKS3_PKT0_S9_ifPKiSB_iPKfiiiSD_SD_iiiii,comdat
	.protected	_ZN4vllm25paged_attention_v2_kernelIttLi96ELi16ELi128ELNS_18Fp8KVCacheDataTypeE0ELb0ELi512EEEvPfS2_PT_PKS3_PKT0_S9_ifPKiSB_iPKfiiiSD_SD_iiiii ; -- Begin function _ZN4vllm25paged_attention_v2_kernelIttLi96ELi16ELi128ELNS_18Fp8KVCacheDataTypeE0ELb0ELi512EEEvPfS2_PT_PKS3_PKT0_S9_ifPKiSB_iPKfiiiSD_SD_iiiii
	.globl	_ZN4vllm25paged_attention_v2_kernelIttLi96ELi16ELi128ELNS_18Fp8KVCacheDataTypeE0ELb0ELi512EEEvPfS2_PT_PKS3_PKT0_S9_ifPKiSB_iPKfiiiSD_SD_iiiii
	.p2align	8
	.type	_ZN4vllm25paged_attention_v2_kernelIttLi96ELi16ELi128ELNS_18Fp8KVCacheDataTypeE0ELb0ELi512EEEvPfS2_PT_PKS3_PKT0_S9_ifPKiSB_iPKfiiiSD_SD_iiiii,@function
_ZN4vllm25paged_attention_v2_kernelIttLi96ELi16ELi128ELNS_18Fp8KVCacheDataTypeE0ELb0ELi512EEEvPfS2_PT_PKS3_PKT0_S9_ifPKiSB_iPKfiiiSD_SD_iiiii: ; @_ZN4vllm25paged_attention_v2_kernelIttLi96ELi16ELi128ELNS_18Fp8KVCacheDataTypeE0ELb0ELi512EEEvPfS2_PT_PKS3_PKT0_S9_ifPKiSB_iPKfiiiSD_SD_iiiii
; %bb.0:
	s_load_dwordx2 s[0:1], s[4:5], 0x40
	s_mov_b32 s22, s7
	s_ashr_i32 s23, s7, 31
	s_lshl_b64 s[2:3], s[22:23], 2
	s_waitcnt lgkmcnt(0)
	s_add_u32 s0, s0, s2
	s_addc_u32 s1, s1, s3
	s_lshl_b32 s33, s8, 9
	s_load_dword s23, s[0:1], 0x0
	s_waitcnt lgkmcnt(0)
	s_cmp_ge_i32 s33, s23
	s_cbranch_scc1 .LBB102_70
; %bb.1:
	s_clause 0x1
	s_load_dword s9, s[4:5], 0x90
	s_load_dwordx2 s[30:31], s[4:5], 0x30
	s_mov_b32 s34, 0
	s_waitcnt lgkmcnt(0)
	s_abs_i32 s3, s9
	s_abs_i32 s0, s30
	v_cvt_f32_u32_e32 v1, s0
	s_sub_i32 s2, 0, s0
	v_rcp_iflag_f32_e32 v1, v1
	v_mul_f32_e32 v1, 0x4f7ffffe, v1
	v_cvt_u32_f32_e32 v1, v1
	v_readfirstlane_b32 s1, v1
	s_mul_i32 s2, s2, s1
	s_mul_hi_u32 s2, s1, s2
	s_add_i32 s1, s1, s2
	s_xor_b32 s2, s9, s30
	s_mul_hi_u32 s1, s3, s1
	s_ashr_i32 s2, s2, 31
	s_mul_i32 s7, s1, s0
	s_sub_i32 s3, s3, s7
	s_add_i32 s7, s1, 1
	s_sub_i32 s10, s3, s0
	s_cmp_ge_u32 s3, s0
	s_cselect_b32 s1, s7, s1
	s_cselect_b32 s3, s10, s3
	s_add_i32 s7, s1, 1
	s_cmp_ge_u32 s3, s0
	s_cselect_b32 s0, s7, s1
	s_abs_i32 s16, s6
	s_xor_b32 s0, s0, s2
	s_sub_i32 s10, s0, s2
	s_load_dwordx2 s[0:1], s[4:5], 0x50
	s_abs_i32 s2, s10
	v_cvt_f32_u32_e32 v1, s2
	s_sub_i32 s7, 0, s2
	v_rcp_iflag_f32_e32 v1, v1
	v_mul_f32_e32 v1, 0x4f7ffffe, v1
	v_cvt_u32_f32_e32 v1, v1
	v_readfirstlane_b32 s3, v1
	s_mul_i32 s7, s7, s3
	s_mul_hi_u32 s7, s3, s7
	s_add_i32 s3, s3, s7
	s_waitcnt lgkmcnt(0)
	s_cmp_eq_u64 s[0:1], 0
	s_mul_hi_u32 s3, s16, s3
	s_cbranch_scc1 .LBB102_3
; %bb.2:
	s_ashr_i32 s7, s6, 31
	s_lshl_b64 s[12:13], s[6:7], 2
	s_add_u32 s0, s0, s12
	s_addc_u32 s1, s1, s13
	s_load_dword s34, s[0:1], 0x0
.LBB102_3:
	s_load_dwordx4 s[12:15], s[4:5], 0x58
	v_lshrrev_b32_e32 v29, 1, v0
	v_and_b32_e32 v30, 1, v0
	v_lshlrev_b32_e32 v32, 3, v0
	s_ashr_i32 s0, s6, 31
	s_ashr_i32 s1, s10, 31
	s_mul_i32 s10, s6, 0x60
	s_mov_b32 s7, exec_lo
	v_cmpx_gt_u32_e32 24, v0
	s_cbranch_execz .LBB102_5
; %bb.4:
	s_load_dwordx2 s[18:19], s[4:5], 0x18
	s_waitcnt lgkmcnt(0)
	s_mul_i32 s20, s12, s22
	v_lshlrev_b32_e32 v3, 3, v29
	s_ashr_i32 s21, s20, 31
	s_lshl_b64 s[20:21], s[20:21], 1
	v_mad_u32_u24 v3, 0x60, v30, v3
	s_add_u32 s12, s18, s20
	s_addc_u32 s15, s19, s21
	s_ashr_i32 s11, s10, 31
	s_lshl_b64 s[18:19], s[10:11], 1
	s_add_u32 s18, s12, s18
	s_addc_u32 s19, s15, s19
	global_load_dwordx2 v[1:2], v32, s[18:19]
	s_waitcnt vmcnt(0)
	ds_write_b64 v3, v[1:2]
.LBB102_5:
	s_or_b32 exec_lo, exec_lo, s7
	s_add_i32 s7, s23, 15
	s_load_dwordx2 s[24:25], s[4:5], 0x38
	s_waitcnt lgkmcnt(0)
	s_load_dword s15, s[4:5], 0x48
	s_ashr_i32 s11, s7, 31
	s_lshl_b32 s30, s8, 5
	s_lshr_b32 s11, s11, 28
	s_xor_b32 s0, s0, s1
	s_add_i32 s7, s7, s11
	s_add_i32 s1, s30, 32
	s_ashr_i32 s12, s7, 4
	s_mul_i32 s7, s3, s2
	s_min_i32 s11, s1, s12
	s_sub_i32 s1, s16, s7
	s_add_i32 s7, s3, 1
	s_sub_i32 s16, s1, s2
	s_cmp_ge_u32 s1, s2
	v_lshrrev_b32_e32 v31, 5, v0
	s_cselect_b32 s3, s7, s3
	s_cselect_b32 s1, s16, s1
	s_add_i32 s7, s3, 1
	s_cmp_ge_u32 s1, s2
	v_or_b32_e32 v5, s30, v31
	s_cselect_b32 s1, s7, s3
	v_mbcnt_lo_u32_b32 v33, -1, 0
	s_xor_b32 s1, s1, s0
	s_waitcnt lgkmcnt(0)
	s_mul_i32 s26, s15, s22
	s_sub_i32 s1, s1, s0
	v_cmp_gt_i32_e64 s0, s11, v5
	s_ashr_i32 s27, s26, 31
	s_mov_b32 s2, exec_lo
	s_barrier
	buffer_gl0_inv
                                        ; implicit-def: $vgpr34
                                        ; implicit-def: $vgpr35
	v_cmpx_le_i32_e64 s11, v5
	s_xor_b32 s2, exec_lo, s2
; %bb.6:
	v_mov_b32_e32 v34, 0
	v_mbcnt_lo_u32_b32 v33, -1, 0
	v_mov_b32_e32 v35, 32
; %bb.7:
	s_or_saveexec_b32 s35, s2
	s_clause 0x3
	s_load_dwordx4 s[16:19], s[4:5], 0x0
	s_load_dwordx2 s[20:21], s[4:5], 0x10
	s_load_dwordx2 s[28:29], s[4:5], 0x28
	s_load_dword s7, s[4:5], 0x98
	v_mov_b32_e32 v36, 0xff7fffff
	v_ashrrev_i32_e32 v6, 31, v5
	s_mul_i32 s14, s1, s14
	s_xor_b32 exec_lo, exec_lo, s35
	s_cbranch_execz .LBB102_13
; %bb.8:
	s_load_dwordx2 s[2:3], s[4:5], 0x20
	v_bfe_u32 v3, v0, 1, 4
	s_ashr_i32 s15, s14, 31
	v_lshlrev_b32_e32 v7, 4, v31
	s_lshl_b64 s[4:5], s[14:15], 1
	v_and_b32_e32 v4, 8, v32
	v_lshlrev_b32_e32 v9, 4, v3
	v_lshlrev_b32_e32 v1, 2, v3
	v_add3_u32 v38, s33, v7, v3
	v_mov_b32_e32 v34, 0
	v_mul_u32_u24_e32 v37, 0x60, v30
	v_cmp_neq_f32_e64 s1, s34, 0
	v_lshl_or_b32 v8, v31, 6, v1
	v_lshlrev_b64 v[1:2], 2, v[5:6]
	v_mov_b32_e32 v36, 0xff7fffff
	v_xor_b32_e32 v42, 1, v33
	v_mov_b32_e32 v35, 32
	v_add_nc_u32_e32 v39, 0xe0, v8
	v_mov_b32_e32 v43, v5
	v_cmp_eq_u32_e32 vcc_lo, 0, v30
	s_waitcnt lgkmcnt(0)
	s_add_u32 s15, s2, s4
	s_addc_u32 s5, s3, s5
	v_add_co_u32 v3, s15, s15, v9
	v_add_co_ci_u32_e64 v7, null, s5, 0, s15
	s_lshl_b64 s[2:3], s[26:27], 2
	s_sub_i32 s4, 1, s23
	s_add_u32 s5, s24, s2
	v_add_co_u32 v40, s2, v3, v4
	v_add_co_ci_u32_e64 v41, null, 0, v7, s2
	s_addc_u32 s3, s25, s3
	v_add_co_u32 v1, s2, s5, v1
	v_add_co_ci_u32_e64 v2, null, s3, v2, s2
	s_mov_b32 s15, s13
	s_mov_b32 s5, 0
	s_branch .LBB102_10
.LBB102_9:                              ;   in Loop: Header=BB102_10 Depth=1
	s_or_b32 exec_lo, exec_lo, s3
	v_add_nc_u32_e32 v43, 4, v43
	v_add_co_u32 v1, s3, v1, 16
	v_add_nc_u32_e32 v38, 64, v38
	v_add_nc_u32_e32 v39, 0x100, v39
	v_cmp_le_i32_e64 s2, s11, v43
	v_add_co_ci_u32_e64 v2, null, 0, v2, s3
	s_or_b32 s5, s2, s5
	s_andn2_b32 exec_lo, exec_lo, s5
	s_cbranch_execz .LBB102_12
.LBB102_10:                             ; =>This Inner Loop Header: Depth=1
	global_load_dword v3, v[1:2], off
	s_waitcnt vmcnt(0) lgkmcnt(0)
	v_mad_i64_i32 v[3:4], null, v3, s15, 0
	v_lshlrev_b64 v[3:4], 1, v[3:4]
	v_add_co_u32 v3, s2, v40, v3
	v_add_co_ci_u32_e64 v4, null, v41, v4, s2
	s_clause 0x7
	global_load_dwordx2 v[25:26], v[3:4], off
	global_load_dwordx2 v[27:28], v[3:4], off offset:256
	global_load_dwordx2 v[23:24], v[3:4], off offset:512
	;; [unrolled: 1-line block ×7, first 2 shown]
	v_add_co_u32 v3, s2, 0x800, v3
	v_add_co_ci_u32_e64 v4, null, 0, v4, s2
	v_cmp_gt_i32_e64 s2, 32, v42
	s_clause 0x3
	global_load_dwordx2 v[11:12], v[3:4], off
	global_load_dwordx2 v[9:10], v[3:4], off offset:256
	global_load_dwordx2 v[7:8], v[3:4], off offset:512
	;; [unrolled: 1-line block ×3, first 2 shown]
	ds_read_b64 v[44:45], v37
	s_waitcnt lgkmcnt(0)
	v_and_b32_e32 v46, 0xffff, v44
	v_lshrrev_b32_e32 v47, 16, v44
	v_lshrrev_b32_e32 v49, 16, v45
	v_and_b32_e32 v48, 0xffff, v45
	;;#ASMSTART
	v_cvt_f32_f16 v44, v46;
	;;#ASMEND
	;;#ASMSTART
	v_cvt_f32_f16 v45, v47;
	;;#ASMEND
	s_waitcnt vmcnt(11)
	v_and_b32_e32 v46, 0xffff, v25
	v_lshrrev_b32_e32 v25, 16, v25
	v_lshrrev_b32_e32 v47, 16, v26
	v_and_b32_e32 v26, 0xffff, v26
	;;#ASMSTART
	v_cvt_f32_f16 v51, v46;
	;;#ASMEND
	;;#ASMSTART
	v_cvt_f32_f16 v50, v25;
	;;#ASMEND
	;; [unrolled: 3-line block ×6, first 2 shown]
	ds_read_b64 v[25:26], v37 offset:8
	s_waitcnt vmcnt(10)
	v_lshrrev_b32_e32 v52, 16, v27
	v_and_b32_e32 v53, 0xffff, v27
	v_lshrrev_b32_e32 v27, 16, v28
	v_and_b32_e32 v57, 0xffff, v28
	s_waitcnt vmcnt(9)
	v_lshrrev_b32_e32 v59, 16, v23
	v_and_b32_e32 v23, 0xffff, v23
	v_lshrrev_b32_e32 v63, 16, v24
	v_and_b32_e32 v24, 0xffff, v24
	;; [unrolled: 5-line block ×4, first 2 shown]
	s_waitcnt vmcnt(6)
	v_lshrrev_b32_e32 v77, 16, v17
	v_and_b32_e32 v17, 0xffff, v17
	v_lshrrev_b32_e32 v81, 16, v18
	s_waitcnt lgkmcnt(0)
	v_and_b32_e32 v54, 0xffff, v25
	v_lshrrev_b32_e32 v25, 16, v25
	v_and_b32_e32 v55, 0xffff, v26
	v_lshrrev_b32_e32 v26, 16, v26
	;;#ASMSTART
	v_cvt_f32_f16 v28, v54;
	;;#ASMEND
	;;#ASMSTART
	v_cvt_f32_f16 v54, v25;
	;;#ASMEND
	;; [unrolled: 3-line block ×8, first 2 shown]
	ds_read_b64 v[25:26], v37 offset:16
	v_and_b32_e32 v18, 0xffff, v18
	s_waitcnt vmcnt(5)
	v_lshrrev_b32_e32 v83, 16, v15
	v_and_b32_e32 v15, 0xffff, v15
	v_lshrrev_b32_e32 v87, 16, v16
	v_and_b32_e32 v16, 0xffff, v16
	v_mul_f32_e32 v28, v28, v53
	v_mul_f32_e32 v52, v54, v52
	s_waitcnt vmcnt(4)
	v_lshrrev_b32_e32 v88, 16, v13
	v_and_b32_e32 v13, 0xffff, v13
	v_lshrrev_b32_e32 v54, 16, v14
	v_and_b32_e32 v14, 0xffff, v14
	v_fmac_f32_e32 v28, v44, v51
	v_fmac_f32_e32 v52, v45, v50
	v_mul_f32_e32 v55, v55, v57
	v_mul_f32_e32 v27, v56, v27
	s_waitcnt vmcnt(3)
	v_lshrrev_b32_e32 v57, 16, v12
	v_and_b32_e32 v12, 0xffff, v12
	s_waitcnt vmcnt(1)
	v_lshrrev_b32_e32 v90, 16, v7
	v_fmac_f32_e32 v55, v48, v49
	s_waitcnt lgkmcnt(0)
	v_and_b32_e32 v58, 0xffff, v25
	v_lshrrev_b32_e32 v60, 16, v25
	v_lshrrev_b32_e32 v61, 16, v26
	v_and_b32_e32 v62, 0xffff, v26
	;;#ASMSTART
	v_cvt_f32_f16 v25, v58;
	;;#ASMEND
	;;#ASMSTART
	v_cvt_f32_f16 v26, v60;
	;;#ASMEND
	;; [unrolled: 3-line block ×8, first 2 shown]
	ds_read_b64 v[23:24], v37 offset:24
	v_fmac_f32_e32 v27, v46, v47
	v_fmac_f32_e32 v28, v25, v58
	;; [unrolled: 1-line block ×4, first 2 shown]
	v_and_b32_e32 v7, 0xffff, v7
	v_fmac_f32_e32 v27, v61, v63
	s_waitcnt lgkmcnt(0)
	v_and_b32_e32 v64, 0xffff, v23
	v_lshrrev_b32_e32 v66, 16, v23
	v_lshrrev_b32_e32 v67, 16, v24
	v_and_b32_e32 v68, 0xffff, v24
	;;#ASMSTART
	v_cvt_f32_f16 v23, v64;
	;;#ASMEND
	;;#ASMSTART
	v_cvt_f32_f16 v24, v66;
	;;#ASMEND
	;; [unrolled: 3-line block ×8, first 2 shown]
	ds_read_b64 v[21:22], v37 offset:32
	v_fmac_f32_e32 v28, v23, v64
	v_fmac_f32_e32 v52, v24, v65
	;; [unrolled: 1-line block ×4, first 2 shown]
	v_lshrrev_b32_e32 v23, 16, v8
	v_and_b32_e32 v8, 0xffff, v8
	s_waitcnt vmcnt(0)
	v_lshrrev_b32_e32 v24, 16, v3
	s_waitcnt lgkmcnt(0)
	v_and_b32_e32 v70, 0xffff, v21
	v_lshrrev_b32_e32 v72, 16, v21
	v_lshrrev_b32_e32 v73, 16, v22
	v_and_b32_e32 v74, 0xffff, v22
	;;#ASMSTART
	v_cvt_f32_f16 v21, v70;
	;;#ASMEND
	;;#ASMSTART
	v_cvt_f32_f16 v22, v72;
	;;#ASMEND
	;;#ASMSTART
	v_cvt_f32_f16 v70, v19;
	;;#ASMEND
	;;#ASMSTART
	v_cvt_f32_f16 v71, v71;
	;;#ASMEND
	;;#ASMSTART
	v_cvt_f32_f16 v72, v74;
	;;#ASMEND
	;;#ASMSTART
	v_cvt_f32_f16 v73, v73;
	;;#ASMEND
	;;#ASMSTART
	v_cvt_f32_f16 v74, v20;
	;;#ASMEND
	;;#ASMSTART
	v_cvt_f32_f16 v75, v75;
	;;#ASMEND
	ds_read_b64 v[19:20], v37 offset:40
	v_fmac_f32_e32 v28, v21, v70
	v_fmac_f32_e32 v52, v22, v71
	v_fmac_f32_e32 v55, v72, v74
	v_fmac_f32_e32 v27, v73, v75
	s_waitcnt lgkmcnt(0)
	v_and_b32_e32 v76, 0xffff, v19
	v_lshrrev_b32_e32 v78, 16, v19
	v_lshrrev_b32_e32 v79, 16, v20
	v_and_b32_e32 v80, 0xffff, v20
	;;#ASMSTART
	v_cvt_f32_f16 v19, v76;
	;;#ASMEND
	;;#ASMSTART
	v_cvt_f32_f16 v20, v78;
	;;#ASMEND
	;;#ASMSTART
	v_cvt_f32_f16 v76, v17;
	;;#ASMEND
	;;#ASMSTART
	v_cvt_f32_f16 v77, v77;
	;;#ASMEND
	;;#ASMSTART
	v_cvt_f32_f16 v78, v80;
	;;#ASMEND
	;;#ASMSTART
	v_cvt_f32_f16 v79, v79;
	;;#ASMEND
	;;#ASMSTART
	v_cvt_f32_f16 v80, v18;
	;;#ASMEND
	;;#ASMSTART
	v_cvt_f32_f16 v81, v81;
	;;#ASMEND
	ds_read_b64 v[17:18], v37 offset:48
	v_fmac_f32_e32 v28, v19, v76
	v_fmac_f32_e32 v52, v20, v77
	v_fmac_f32_e32 v55, v78, v80
	v_fmac_f32_e32 v27, v79, v81
	;; [unrolled: 34-line block ×3, first 2 shown]
	s_waitcnt lgkmcnt(0)
	v_and_b32_e32 v44, 0xffff, v15
	v_lshrrev_b32_e32 v51, 16, v15
	v_lshrrev_b32_e32 v53, 16, v16
	v_and_b32_e32 v50, 0xffff, v16
	;;#ASMSTART
	v_cvt_f32_f16 v15, v44;
	;;#ASMEND
	;;#ASMSTART
	v_cvt_f32_f16 v16, v51;
	;;#ASMEND
	;; [unrolled: 3-line block ×8, first 2 shown]
	ds_read_b64 v[13:14], v37 offset:64
	v_lshrrev_b32_e32 v88, 16, v11
	v_and_b32_e32 v11, 0xffff, v11
	v_fmac_f32_e32 v28, v15, v44
	v_fmac_f32_e32 v52, v16, v45
	;; [unrolled: 1-line block ×4, first 2 shown]
	v_and_b32_e32 v15, 0xffff, v3
	s_waitcnt lgkmcnt(0)
	v_and_b32_e32 v48, 0xffff, v13
	v_lshrrev_b32_e32 v49, 16, v13
	v_lshrrev_b32_e32 v56, 16, v14
	v_and_b32_e32 v89, 0xffff, v14
	;;#ASMSTART
	v_cvt_f32_f16 v13, v48;
	;;#ASMEND
	;;#ASMSTART
	v_cvt_f32_f16 v14, v49;
	;;#ASMEND
	;; [unrolled: 3-line block ×8, first 2 shown]
	ds_read_b64 v[11:12], v37 offset:72
	v_lshrrev_b32_e32 v88, 16, v9
	v_and_b32_e32 v9, 0xffff, v9
	v_lshrrev_b32_e32 v89, 16, v10
	v_and_b32_e32 v10, 0xffff, v10
	v_fmac_f32_e32 v28, v13, v46
	v_fmac_f32_e32 v52, v14, v47
	;; [unrolled: 1-line block ×4, first 2 shown]
	v_lshrrev_b32_e32 v13, 16, v4
	s_waitcnt lgkmcnt(0)
	v_and_b32_e32 v25, 0xffff, v11
	v_lshrrev_b32_e32 v26, 16, v11
	v_lshrrev_b32_e32 v59, 16, v12
	v_and_b32_e32 v58, 0xffff, v12
	;;#ASMSTART
	v_cvt_f32_f16 v11, v25;
	;;#ASMEND
	;;#ASMSTART
	v_cvt_f32_f16 v12, v26;
	;;#ASMEND
	;; [unrolled: 3-line block ×8, first 2 shown]
	ds_read_b64 v[9:10], v37 offset:80
	v_fmac_f32_e32 v28, v11, v25
	v_fmac_f32_e32 v52, v12, v26
	;; [unrolled: 1-line block ×3, first 2 shown]
	v_and_b32_e32 v11, 0xffff, v4
	v_fmac_f32_e32 v27, v59, v62
	s_waitcnt lgkmcnt(0)
	v_and_b32_e32 v17, 0xffff, v9
	v_lshrrev_b32_e32 v18, 16, v9
	v_lshrrev_b32_e32 v20, 16, v10
	v_and_b32_e32 v19, 0xffff, v10
	;;#ASMSTART
	v_cvt_f32_f16 v9, v17;
	;;#ASMEND
	;;#ASMSTART
	v_cvt_f32_f16 v10, v18;
	;;#ASMEND
	;; [unrolled: 3-line block ×8, first 2 shown]
	ds_read_b64 v[7:8], v37 offset:88
	v_fmac_f32_e32 v28, v9, v17
	v_fmac_f32_e32 v52, v10, v18
	;; [unrolled: 1-line block ×4, first 2 shown]
	s_waitcnt lgkmcnt(0)
	v_and_b32_e32 v3, 0xffff, v7
	v_lshrrev_b32_e32 v4, 16, v7
	v_lshrrev_b32_e32 v9, 16, v8
	v_and_b32_e32 v10, 0xffff, v8
	;;#ASMSTART
	v_cvt_f32_f16 v3, v3;
	;;#ASMEND
	;;#ASMSTART
	v_cvt_f32_f16 v4, v4;
	;;#ASMEND
	;;#ASMSTART
	v_cvt_f32_f16 v7, v15;
	;;#ASMEND
	;;#ASMSTART
	v_cvt_f32_f16 v8, v24;
	;;#ASMEND
	v_fmac_f32_e32 v28, v3, v7
	v_fmac_f32_e32 v52, v4, v8
	;;#ASMSTART
	v_cvt_f32_f16 v3, v10;
	;;#ASMEND
	;;#ASMSTART
	v_cvt_f32_f16 v4, v9;
	;;#ASMEND
	;; [unrolled: 3-line block ×3, first 2 shown]
	v_fmac_f32_e32 v55, v3, v7
	v_add_f32_e32 v3, v28, v52
	;;#ASMSTART
	v_cvt_f32_f16 v7, v13;
	;;#ASMEND
	v_fmac_f32_e32 v27, v4, v7
	v_cndmask_b32_e64 v4, v33, v42, s2
	v_add_f32_e32 v3, v3, v55
	v_lshlrev_b32_e32 v4, 2, v4
	v_add_f32_e32 v3, v27, v3
	ds_bpermute_b32 v4, v4, v3
	s_and_saveexec_b32 s3, vcc_lo
	s_cbranch_execz .LBB102_9
; %bb.11:                               ;   in Loop: Header=BB102_10 Depth=1
	v_add_nc_u32_e32 v7, s4, v38
	s_waitcnt lgkmcnt(0)
	v_add_f32_e32 v3, v3, v4
	v_cmp_gt_i32_e64 s2, s23, v38
	v_cvt_f32_i32_e32 v7, v7
	v_mul_f32_e32 v7, s34, v7
	v_cndmask_b32_e64 v4, 0, v7, s1
	v_max_f32_e32 v7, v36, v36
	v_fmac_f32_e32 v4, s31, v3
	v_max_f32_e32 v3, v7, v4
	v_cndmask_b32_e64 v4, 0, v4, s2
	v_cndmask_b32_e64 v36, v36, v3, s2
	ds_write_b32 v39, v4
	s_branch .LBB102_9
.LBB102_12:
	s_or_b32 exec_lo, exec_lo, s5
.LBB102_13:
	s_or_b32 exec_lo, exec_lo, s35
	v_xor_b32_e32 v1, 16, v33
	v_xor_b32_e32 v2, 8, v33
	s_waitcnt lgkmcnt(0)
	v_max_f32_e32 v4, v36, v36
	v_and_b32_e32 v10, 31, v0
	v_lshlrev_b32_e32 v9, 2, v31
	v_cmp_lt_i32_e32 vcc_lo, v1, v35
	v_cndmask_b32_e32 v1, v33, v1, vcc_lo
	v_cmp_lt_i32_e32 vcc_lo, v2, v35
	v_lshlrev_b32_e32 v3, 2, v1
	v_cndmask_b32_e32 v2, v33, v2, vcc_lo
	ds_bpermute_b32 v1, v3, v36
	v_lshlrev_b32_e32 v7, 2, v2
	s_waitcnt lgkmcnt(0)
	v_max_f32_e32 v1, v1, v1
	v_max_f32_e32 v1, v4, v1
	v_xor_b32_e32 v4, 4, v33
	ds_bpermute_b32 v2, v7, v1
	v_cmp_lt_i32_e32 vcc_lo, v4, v35
	v_cndmask_b32_e32 v4, v33, v4, vcc_lo
	v_lshlrev_b32_e32 v8, 2, v4
	v_xor_b32_e32 v4, 2, v33
	v_cmp_lt_i32_e32 vcc_lo, v4, v35
	s_waitcnt lgkmcnt(0)
	v_max_f32_e32 v2, v2, v2
	v_cndmask_b32_e32 v4, v33, v4, vcc_lo
	v_cmp_eq_u32_e32 vcc_lo, 0, v10
	v_max_f32_e32 v1, v1, v2
	ds_bpermute_b32 v2, v8, v1
	s_waitcnt lgkmcnt(0)
	v_max_f32_e32 v2, v2, v2
	v_max_f32_e32 v1, v1, v2
	v_lshlrev_b32_e32 v2, 2, v4
	ds_bpermute_b32 v4, v2, v1
	s_and_saveexec_b32 s1, vcc_lo
	s_cbranch_execz .LBB102_15
; %bb.14:
	s_waitcnt lgkmcnt(0)
	v_max_f32_e32 v4, v4, v4
	v_max_f32_e32 v1, v1, v1
	;; [unrolled: 1-line block ×3, first 2 shown]
	ds_write_b32 v9, v1 offset:192
.LBB102_15:
	s_or_b32 exec_lo, exec_lo, s1
	v_cmp_gt_u32_e64 s1, 4, v10
	v_mov_b32_e32 v1, 0xff7fffff
	v_lshlrev_b32_e32 v12, 2, v10
	s_waitcnt lgkmcnt(0)
	s_barrier
	buffer_gl0_inv
	s_and_saveexec_b32 s2, s1
; %bb.16:
	ds_read_b32 v1, v12 offset:192
; %bb.17:
	s_or_b32 exec_lo, exec_lo, s2
	s_waitcnt lgkmcnt(0)
	ds_bpermute_b32 v4, v2, v1
	v_xor_b32_e32 v11, 1, v33
	v_max_f32_e32 v1, v1, v1
	v_mov_b32_e32 v13, 0
	v_cmp_lt_i32_e64 s2, v11, v35
	v_cndmask_b32_e64 v11, v33, v11, s2
	s_sub_i32 s2, s11, s30
	s_lshl_b32 s2, s2, 4
	v_lshlrev_b32_e32 v11, 2, v11
	s_add_i32 s2, s2, s33
	s_min_i32 s2, s2, s23
	s_waitcnt lgkmcnt(0)
	v_max_f32_e32 v4, v4, v4
	s_sub_i32 s4, s2, s33
	v_cmp_gt_i32_e64 s2, s4, v0
	v_max_f32_e32 v1, v1, v4
	ds_bpermute_b32 v4, v11, v1
	s_waitcnt lgkmcnt(0)
	v_max_f32_e32 v4, v4, v4
	v_max_f32_e32 v1, v1, v4
	v_lshlrev_b32_e32 v4, 2, v34
	ds_bpermute_b32 v1, v4, v1
	v_lshl_add_u32 v4, v0, 2, 0xe0
	s_and_saveexec_b32 s5, s2
	s_cbranch_execz .LBB102_21
; %bb.18:
	v_lshl_add_u32 v14, v0, 2, 0xe0
	v_mov_b32_e32 v13, 0
	v_mov_b32_e32 v15, v0
	s_mov_b32 s15, 0
	.p2align	6
.LBB102_19:                             ; =>This Inner Loop Header: Depth=1
	ds_read_b32 v16, v14
	v_add_nc_u32_e32 v15, 0x80, v15
	v_cmp_le_i32_e64 s3, s4, v15
	s_or_b32 s15, s3, s15
	s_waitcnt lgkmcnt(0)
	v_sub_f32_e32 v16, v16, v1
	v_mul_f32_e32 v16, 0x3fb8aa3b, v16
	v_exp_f32_e32 v16, v16
	ds_write_b32 v14, v16
	v_add_f32_e32 v13, v13, v16
	v_add_nc_u32_e32 v14, 0x200, v14
	s_andn2_b32 exec_lo, exec_lo, s15
	s_cbranch_execnz .LBB102_19
; %bb.20:
	s_or_b32 exec_lo, exec_lo, s15
.LBB102_21:
	s_or_b32 exec_lo, exec_lo, s5
	ds_bpermute_b32 v3, v3, v13
	s_waitcnt lgkmcnt(0)
	v_add_f32_e32 v3, v13, v3
	ds_bpermute_b32 v7, v7, v3
	s_waitcnt lgkmcnt(0)
	v_add_f32_e32 v3, v3, v7
	;; [unrolled: 3-line block ×5, first 2 shown]
	s_and_saveexec_b32 s3, vcc_lo
; %bb.22:
	ds_write_b32 v9, v3 offset:208
; %bb.23:
	s_or_b32 exec_lo, exec_lo, s3
	s_waitcnt lgkmcnt(0)
	s_barrier
	buffer_gl0_inv
	s_and_saveexec_b32 s3, s1
; %bb.24:
	ds_read_b32 v3, v12 offset:208
; %bb.25:
	s_or_b32 exec_lo, exec_lo, s3
	s_waitcnt lgkmcnt(0)
	ds_bpermute_b32 v2, v2, v3
	v_lshlrev_b32_e32 v7, 2, v33
	s_waitcnt lgkmcnt(0)
	v_add_f32_e32 v2, v3, v2
	ds_bpermute_b32 v3, v11, v2
	s_waitcnt lgkmcnt(0)
	v_add_f32_e32 v2, v2, v3
	v_and_b32_e32 v3, 0xffffff80, v7
	ds_bpermute_b32 v2, v3, v2
	s_and_saveexec_b32 s1, s2
	s_cbranch_execz .LBB102_28
; %bb.26:
	s_waitcnt lgkmcnt(0)
	v_add_f32_e32 v3, 0x358637bd, v2
	s_mov_b32 s2, 0
	v_div_scale_f32 v7, null, v3, v3, 1.0
	v_div_scale_f32 v12, vcc_lo, 1.0, v3, 1.0
	v_rcp_f32_e32 v8, v7
	v_fma_f32 v9, -v7, v8, 1.0
	v_fmac_f32_e32 v8, v9, v8
	v_mul_f32_e32 v9, v12, v8
	v_fma_f32 v13, -v7, v9, v12
	v_fmac_f32_e32 v9, v13, v8
	v_fma_f32 v7, -v7, v9, v12
	v_div_fmas_f32 v7, v7, v8, v9
	v_div_fixup_f32 v3, v7, v3, 1.0
	v_mov_b32_e32 v7, v0
.LBB102_27:                             ; =>This Inner Loop Header: Depth=1
	ds_read_b32 v8, v4
	v_add_nc_u32_e32 v7, 0x80, v7
	v_cmp_le_i32_e32 vcc_lo, s4, v7
	s_or_b32 s2, vcc_lo, s2
	s_waitcnt lgkmcnt(0)
	v_mul_f32_e32 v8, v3, v8
	ds_write_b32 v4, v8
	v_add_nc_u32_e32 v4, 0x200, v4
	s_andn2_b32 exec_lo, exec_lo, s2
	s_cbranch_execnz .LBB102_27
.LBB102_28:
	s_or_b32 exec_lo, exec_lo, s1
	s_mul_i32 s1, s7, s22
	s_waitcnt lgkmcnt(0)
	s_mul_i32 s2, s1, s9
	s_mov_b32 s1, exec_lo
	s_barrier
	buffer_gl0_inv
	v_cmpx_eq_u32_e32 0, v0
	s_cbranch_execz .LBB102_30
; %bb.29:
	s_ashr_i32 s3, s2, 31
	s_mul_i32 s30, s7, s6
	s_lshl_b64 s[4:5], s[2:3], 2
	v_mov_b32_e32 v3, 0
	s_add_u32 s3, s18, s4
	s_addc_u32 s6, s19, s5
	s_ashr_i32 s31, s30, 31
	s_lshl_b64 s[18:19], s[30:31], 2
	s_add_u32 s3, s3, s18
	s_addc_u32 s6, s6, s19
	s_ashr_i32 s9, s8, 31
	s_lshl_b64 s[30:31], s[8:9], 2
	s_add_u32 s34, s3, s30
	s_addc_u32 s35, s6, s31
	s_add_u32 s3, s16, s4
	s_addc_u32 s4, s17, s5
	;; [unrolled: 2-line block ×4, first 2 shown]
	global_store_dword v3, v1, s[34:35]
	global_store_dword v3, v2, s[4:5]
.LBB102_30:
	s_or_b32 exec_lo, exec_lo, s1
	v_mov_b32_e32 v16, 0
	v_mov_b32_e32 v17, 0
	;; [unrolled: 1-line block ×6, first 2 shown]
	s_and_saveexec_b32 s3, s0
	s_cbranch_execz .LBB102_46
; %bb.31:
	v_lshlrev_b32_e32 v2, 4, v0
	s_ashr_i32 s15, s14, 31
	v_and_b32_e32 v1, 8, v32
	v_lshl_add_u32 v4, v31, 4, s33
	s_lshl_b64 s[0:1], s[14:15], 1
	v_and_b32_e32 v2, 0x1f0, v2
	s_add_u32 s0, s28, s0
	v_lshlrev_b32_e32 v3, 5, v30
	s_addc_u32 s1, s29, s1
	v_add3_u32 v21, v4, v1, 7
	v_add_co_u32 v19, s0, s0, v2
	v_lshlrev_b64 v[1:2], 2, v[5:6]
	v_add_co_ci_u32_e64 v20, null, s1, 0, s0
	s_lshl_b64 s[0:1], s[26:27], 2
	s_add_i32 s12, s12, -1
	v_lshl_or_b32 v3, v31, 6, v3
	s_add_u32 s0, s24, s0
	s_addc_u32 s1, s25, s1
	v_add_co_u32 v6, vcc_lo, s0, v1
	v_mov_b32_e32 v18, 0
	v_add_nc_u32_e32 v22, 0xe0, v3
	v_add_co_ci_u32_e64 v7, null, s1, v2, vcc_lo
	v_mov_b32_e32 v12, 0
	v_mov_b32_e32 v13, 0
	;; [unrolled: 1-line block ×6, first 2 shown]
	s_mov_b32 s5, s13
	s_mov_b32 s4, 0
	s_branch .LBB102_33
.LBB102_32:                             ;   in Loop: Header=BB102_33 Depth=1
	s_or_b32 exec_lo, exec_lo, s1
	v_lshlrev_b32_e32 v23, 16, v47
	v_lshlrev_b32_e32 v9, 16, v9
	;; [unrolled: 1-line block ×3, first 2 shown]
	v_add_nc_u32_e32 v5, 4, v5
	v_add_f32_e32 v24, v45, v46
	v_and_or_b32 v1, 0xffff, v1, v23
	v_and_or_b32 v2, 0xffff, v2, v9
	;; [unrolled: 1-line block ×3, first 2 shown]
	;;#ASMSTART
	v_pk_mul_f16 v1, v34, v1;

	;;#ASMEND
	;;#ASMSTART
	v_pk_mul_f16 v2, v33, v2;

	;;#ASMEND
	;; [unrolled: 4-line block ×4, first 2 shown]
	;;#ASMSTART
	v_pk_add_f16 v1, v1, v2;

	;;#ASMEND
	;;#ASMSTART
	v_pk_add_f16 v1, v1, v3;

	;;#ASMEND
	;; [unrolled: 4-line block ×3, first 2 shown]
	v_and_b32_e32 v4, 0xffff, v1
	v_lshrrev_b32_e32 v8, 16, v1
	;;#ASMSTART
	v_cvt_f32_f16 v4, v4;
	;;#ASMEND
	v_add_f32_e32 v25, v43, v44
	v_add_f32_e32 v1, v41, v42
	;; [unrolled: 1-line block ×4, first 2 shown]
	;;#ASMSTART
	v_cvt_f32_f16 v8, v8;
	;;#ASMEND
	v_add_f32_e32 v4, v4, v8
	v_cmp_le_i32_e32 vcc_lo, s11, v5
	v_add_co_u32 v6, s0, v6, 16
	v_add_f32_e32 v13, v13, v24
	v_add_f32_e32 v14, v14, v25
	;; [unrolled: 1-line block ×6, first 2 shown]
	v_add_nc_u32_e32 v21, 64, v21
	v_add_nc_u32_e32 v22, 0x100, v22
	v_add_co_ci_u32_e64 v7, null, 0, v7, s0
	s_or_b32 s4, vcc_lo, s4
	s_andn2_b32 exec_lo, exec_lo, s4
	s_cbranch_execz .LBB102_45
.LBB102_33:                             ; =>This Inner Loop Header: Depth=1
	global_load_dword v8, v[6:7], off
	ds_read2_b64 v[1:4], v22 offset1:1
	ds_read2_b64 v[23:26], v22 offset0:2 offset1:3
	v_add_nc_u32_e32 v27, -7, v21
	v_cmp_eq_u32_e64 s0, s12, v5
	v_add_nc_u32_e32 v32, -6, v21
	v_add_nc_u32_e32 v28, -1, v21
	s_waitcnt lgkmcnt(1)
	;;#ASMSTART
	v_cvt_f16_f32 v34, v1;

	;;#ASMEND
	;;#ASMSTART
	v_cvt_f16_f32 v33, v2;

	;;#ASMEND
	;; [unrolled: 4-line block ×4, first 2 shown]
	s_waitcnt lgkmcnt(0)
	;;#ASMSTART
	v_cvt_f16_f32 v40, v23;

	;;#ASMEND
	;;#ASMSTART
	v_cvt_f16_f32 v35, v24;

	;;#ASMEND
	;; [unrolled: 4-line block ×4, first 2 shown]
	v_add_nc_u32_e32 v26, -5, v21
	v_add_nc_u32_e32 v25, -4, v21
	;; [unrolled: 1-line block ×4, first 2 shown]
	s_waitcnt vmcnt(0)
	v_mad_i64_i32 v[8:9], null, v8, s5, 0
	v_lshlrev_b64 v[8:9], 1, v[8:9]
	v_add_co_u32 v8, vcc_lo, v19, v8
	v_add_co_ci_u32_e64 v9, null, v20, v9, vcc_lo
	global_load_dwordx4 v[1:4], v[8:9], off
	s_waitcnt vmcnt(0)
	v_lshrrev_b32_e32 v43, 16, v1
	v_lshrrev_b32_e32 v42, 16, v2
	;; [unrolled: 1-line block ×3, first 2 shown]
	s_and_saveexec_b32 s6, s0
	s_cbranch_execz .LBB102_35
; %bb.34:                               ;   in Loop: Header=BB102_33 Depth=1
	v_cmp_gt_i32_e32 vcc_lo, s23, v27
	v_and_b32_e32 v44, 0xffff0000, v4
	v_cmp_gt_i32_e64 s1, s23, v26
	v_cndmask_b32_e32 v1, 0, v1, vcc_lo
	v_cmp_gt_i32_e32 vcc_lo, s23, v32
	v_cndmask_b32_e64 v2, 0, v2, s1
	v_cmp_gt_i32_e64 s1, s23, v25
	v_cndmask_b32_e32 v43, 0, v43, vcc_lo
	v_cmp_gt_i32_e32 vcc_lo, s23, v28
	v_cndmask_b32_e64 v42, 0, v42, s1
	v_cndmask_b32_sdwa v4, v18, v4, vcc_lo dst_sel:DWORD dst_unused:UNUSED_PAD src0_sel:DWORD src1_sel:WORD_0
	v_cmp_gt_i32_e32 vcc_lo, s23, v21
	v_cndmask_b32_e32 v44, 0, v44, vcc_lo
	v_cmp_gt_i32_e32 vcc_lo, s23, v24
	v_or_b32_e32 v4, v4, v44
	v_cndmask_b32_e32 v3, 0, v3, vcc_lo
	v_cmp_gt_i32_e32 vcc_lo, s23, v23
	v_cndmask_b32_e32 v41, 0, v41, vcc_lo
.LBB102_35:                             ;   in Loop: Header=BB102_33 Depth=1
	s_or_b32 exec_lo, exec_lo, s6
	v_and_b32_e32 v34, 0xffff, v34
	v_and_b32_e32 v39, 0xffff, v39
	v_lshlrev_b32_e32 v43, 16, v43
	v_and_b32_e32 v40, 0xffff, v40
	v_and_b32_e32 v38, 0xffff, v38
	v_lshl_or_b32 v34, v33, 16, v34
	v_lshl_or_b32 v33, v37, 16, v39
	v_lshlrev_b32_e32 v37, 16, v42
	v_lshlrev_b32_e32 v39, 16, v41
	v_and_or_b32 v1, 0xffff, v1, v43
	;;#ASMSTART
	v_pk_mul_f16 v1, v34, v1;

	;;#ASMEND
	v_lshl_or_b32 v35, v35, 16, v40
	v_and_or_b32 v2, 0xffff, v2, v37
	v_and_or_b32 v3, 0xffff, v3, v39
	v_lshl_or_b32 v36, v36, 16, v38
	;;#ASMSTART
	v_pk_mul_f16 v2, v33, v2;

	;;#ASMEND
	;;#ASMSTART
	v_pk_mul_f16 v3, v35, v3;

	;;#ASMEND
	;; [unrolled: 4-line block ×3, first 2 shown]
	;;#ASMSTART
	v_pk_add_f16 v1, v1, v2;

	;;#ASMEND
	;;#ASMSTART
	v_pk_add_f16 v1, v1, v3;

	;;#ASMEND
	;; [unrolled: 4-line block ×3, first 2 shown]
	v_and_b32_e32 v2, 0xffff, v1
	v_lshrrev_b32_e32 v1, 16, v1
	;;#ASMSTART
	v_cvt_f32_f16 v37, v2;
	;;#ASMEND
	;;#ASMSTART
	v_cvt_f32_f16 v38, v1;
	;;#ASMEND
	global_load_dwordx4 v[1:4], v[8:9], off offset:512
	s_waitcnt vmcnt(0)
	v_lshrrev_b32_e32 v41, 16, v1
	v_lshrrev_b32_e32 v40, 16, v2
	;; [unrolled: 1-line block ×3, first 2 shown]
	s_and_saveexec_b32 s6, s0
	s_cbranch_execz .LBB102_37
; %bb.36:                               ;   in Loop: Header=BB102_33 Depth=1
	v_cmp_gt_i32_e32 vcc_lo, s23, v27
	v_and_b32_e32 v42, 0xffff0000, v4
	v_cmp_gt_i32_e64 s1, s23, v26
	v_cndmask_b32_e32 v1, 0, v1, vcc_lo
	v_cmp_gt_i32_e32 vcc_lo, s23, v32
	v_cndmask_b32_e64 v2, 0, v2, s1
	v_cmp_gt_i32_e64 s1, s23, v25
	v_cndmask_b32_e32 v41, 0, v41, vcc_lo
	v_cmp_gt_i32_e32 vcc_lo, s23, v28
	v_cndmask_b32_e64 v40, 0, v40, s1
	v_cndmask_b32_sdwa v4, v18, v4, vcc_lo dst_sel:DWORD dst_unused:UNUSED_PAD src0_sel:DWORD src1_sel:WORD_0
	v_cmp_gt_i32_e32 vcc_lo, s23, v21
	v_cndmask_b32_e32 v42, 0, v42, vcc_lo
	v_cmp_gt_i32_e32 vcc_lo, s23, v24
	v_or_b32_e32 v4, v4, v42
	v_cndmask_b32_e32 v3, 0, v3, vcc_lo
	v_cmp_gt_i32_e32 vcc_lo, s23, v23
	v_cndmask_b32_e32 v39, 0, v39, vcc_lo
.LBB102_37:                             ;   in Loop: Header=BB102_33 Depth=1
	s_or_b32 exec_lo, exec_lo, s6
	v_lshlrev_b32_e32 v41, 16, v41
	v_lshlrev_b32_e32 v40, 16, v40
	v_lshlrev_b32_e32 v39, 16, v39
	v_and_or_b32 v1, 0xffff, v1, v41
	v_and_or_b32 v2, 0xffff, v2, v40
	;; [unrolled: 1-line block ×3, first 2 shown]
	;;#ASMSTART
	v_pk_mul_f16 v1, v34, v1;

	;;#ASMEND
	;;#ASMSTART
	v_pk_mul_f16 v2, v33, v2;

	;;#ASMEND
	;; [unrolled: 4-line block ×4, first 2 shown]
	;;#ASMSTART
	v_pk_add_f16 v1, v1, v2;

	;;#ASMEND
	;;#ASMSTART
	v_pk_add_f16 v1, v1, v3;

	;;#ASMEND
	;; [unrolled: 4-line block ×3, first 2 shown]
	v_and_b32_e32 v2, 0xffff, v1
	v_lshrrev_b32_e32 v1, 16, v1
	;;#ASMSTART
	v_cvt_f32_f16 v39, v2;
	;;#ASMEND
	;;#ASMSTART
	v_cvt_f32_f16 v40, v1;
	;;#ASMEND
	global_load_dwordx4 v[1:4], v[8:9], off offset:1024
	s_waitcnt vmcnt(0)
	v_lshrrev_b32_e32 v43, 16, v1
	v_lshrrev_b32_e32 v42, 16, v2
	;; [unrolled: 1-line block ×3, first 2 shown]
	s_and_saveexec_b32 s6, s0
	s_cbranch_execz .LBB102_39
; %bb.38:                               ;   in Loop: Header=BB102_33 Depth=1
	v_cmp_gt_i32_e32 vcc_lo, s23, v27
	v_and_b32_e32 v44, 0xffff0000, v4
	v_cmp_gt_i32_e64 s1, s23, v26
	v_cndmask_b32_e32 v1, 0, v1, vcc_lo
	v_cmp_gt_i32_e32 vcc_lo, s23, v32
	v_cndmask_b32_e64 v2, 0, v2, s1
	v_cmp_gt_i32_e64 s1, s23, v25
	v_cndmask_b32_e32 v43, 0, v43, vcc_lo
	v_cmp_gt_i32_e32 vcc_lo, s23, v28
	v_cndmask_b32_e64 v42, 0, v42, s1
	v_cndmask_b32_sdwa v4, v18, v4, vcc_lo dst_sel:DWORD dst_unused:UNUSED_PAD src0_sel:DWORD src1_sel:WORD_0
	v_cmp_gt_i32_e32 vcc_lo, s23, v21
	v_cndmask_b32_e32 v44, 0, v44, vcc_lo
	v_cmp_gt_i32_e32 vcc_lo, s23, v24
	v_or_b32_e32 v4, v4, v44
	v_cndmask_b32_e32 v3, 0, v3, vcc_lo
	v_cmp_gt_i32_e32 vcc_lo, s23, v23
	v_cndmask_b32_e32 v41, 0, v41, vcc_lo
.LBB102_39:                             ;   in Loop: Header=BB102_33 Depth=1
	s_or_b32 exec_lo, exec_lo, s6
	v_lshlrev_b32_e32 v43, 16, v43
	v_lshlrev_b32_e32 v42, 16, v42
	;; [unrolled: 1-line block ×3, first 2 shown]
	v_and_or_b32 v1, 0xffff, v1, v43
	v_and_or_b32 v2, 0xffff, v2, v42
	v_and_or_b32 v3, 0xffff, v3, v41
	;;#ASMSTART
	v_pk_mul_f16 v1, v34, v1;

	;;#ASMEND
	;;#ASMSTART
	v_pk_mul_f16 v2, v33, v2;

	;;#ASMEND
	;; [unrolled: 4-line block ×4, first 2 shown]
	;;#ASMSTART
	v_pk_add_f16 v1, v1, v2;

	;;#ASMEND
	;;#ASMSTART
	v_pk_add_f16 v1, v1, v3;

	;;#ASMEND
	;; [unrolled: 4-line block ×3, first 2 shown]
	v_and_b32_e32 v2, 0xffff, v1
	v_lshrrev_b32_e32 v1, 16, v1
	;;#ASMSTART
	v_cvt_f32_f16 v41, v2;
	;;#ASMEND
	;;#ASMSTART
	v_cvt_f32_f16 v42, v1;
	;;#ASMEND
	global_load_dwordx4 v[1:4], v[8:9], off offset:1536
	s_waitcnt vmcnt(0)
	v_lshrrev_b32_e32 v45, 16, v1
	v_lshrrev_b32_e32 v44, 16, v2
	;; [unrolled: 1-line block ×3, first 2 shown]
	s_and_saveexec_b32 s6, s0
	s_cbranch_execz .LBB102_41
; %bb.40:                               ;   in Loop: Header=BB102_33 Depth=1
	v_cmp_gt_i32_e32 vcc_lo, s23, v27
	v_and_b32_e32 v46, 0xffff0000, v4
	v_cmp_gt_i32_e64 s1, s23, v26
	v_cndmask_b32_e32 v1, 0, v1, vcc_lo
	v_cmp_gt_i32_e32 vcc_lo, s23, v32
	v_cndmask_b32_e64 v2, 0, v2, s1
	v_cmp_gt_i32_e64 s1, s23, v25
	v_cndmask_b32_e32 v45, 0, v45, vcc_lo
	v_cmp_gt_i32_e32 vcc_lo, s23, v28
	v_cndmask_b32_e64 v44, 0, v44, s1
	v_cndmask_b32_sdwa v4, v18, v4, vcc_lo dst_sel:DWORD dst_unused:UNUSED_PAD src0_sel:DWORD src1_sel:WORD_0
	v_cmp_gt_i32_e32 vcc_lo, s23, v21
	v_cndmask_b32_e32 v46, 0, v46, vcc_lo
	v_cmp_gt_i32_e32 vcc_lo, s23, v24
	v_or_b32_e32 v4, v4, v46
	v_cndmask_b32_e32 v3, 0, v3, vcc_lo
	v_cmp_gt_i32_e32 vcc_lo, s23, v23
	v_cndmask_b32_e32 v43, 0, v43, vcc_lo
.LBB102_41:                             ;   in Loop: Header=BB102_33 Depth=1
	s_or_b32 exec_lo, exec_lo, s6
	v_lshlrev_b32_e32 v45, 16, v45
	v_lshlrev_b32_e32 v44, 16, v44
	;; [unrolled: 1-line block ×3, first 2 shown]
	v_add_co_u32 v8, vcc_lo, 0x800, v8
	v_and_or_b32 v1, 0xffff, v1, v45
	v_and_or_b32 v2, 0xffff, v2, v44
	;; [unrolled: 1-line block ×3, first 2 shown]
	;;#ASMSTART
	v_pk_mul_f16 v1, v34, v1;

	;;#ASMEND
	v_add_co_ci_u32_e64 v9, null, 0, v9, vcc_lo
	;;#ASMSTART
	v_pk_mul_f16 v2, v33, v2;

	;;#ASMEND
	;;#ASMSTART
	v_pk_mul_f16 v3, v35, v3;

	;;#ASMEND
	;; [unrolled: 4-line block ×3, first 2 shown]
	;;#ASMSTART
	v_pk_add_f16 v1, v1, v2;

	;;#ASMEND
	;;#ASMSTART
	v_pk_add_f16 v1, v1, v3;

	;;#ASMEND
	;; [unrolled: 4-line block ×3, first 2 shown]
	v_lshrrev_b32_e32 v2, 16, v1
	v_and_b32_e32 v1, 0xffff, v1
	;;#ASMSTART
	v_cvt_f32_f16 v43, v1;
	;;#ASMEND
	;;#ASMSTART
	v_cvt_f32_f16 v44, v2;
	;;#ASMEND
	global_load_dwordx4 v[1:4], v[8:9], off
	s_waitcnt vmcnt(0)
	v_lshrrev_b32_e32 v47, 16, v1
	v_lshrrev_b32_e32 v46, 16, v2
	;; [unrolled: 1-line block ×3, first 2 shown]
	s_and_saveexec_b32 s6, s0
	s_cbranch_execz .LBB102_43
; %bb.42:                               ;   in Loop: Header=BB102_33 Depth=1
	v_cmp_gt_i32_e32 vcc_lo, s23, v27
	v_and_b32_e32 v48, 0xffff0000, v4
	v_cmp_gt_i32_e64 s1, s23, v26
	v_cndmask_b32_e32 v1, 0, v1, vcc_lo
	v_cmp_gt_i32_e32 vcc_lo, s23, v32
	v_cndmask_b32_e64 v2, 0, v2, s1
	v_cmp_gt_i32_e64 s1, s23, v25
	v_cndmask_b32_e32 v47, 0, v47, vcc_lo
	v_cmp_gt_i32_e32 vcc_lo, s23, v28
	v_cndmask_b32_e64 v46, 0, v46, s1
	v_cndmask_b32_sdwa v4, v18, v4, vcc_lo dst_sel:DWORD dst_unused:UNUSED_PAD src0_sel:DWORD src1_sel:WORD_0
	v_cmp_gt_i32_e32 vcc_lo, s23, v21
	v_cndmask_b32_e32 v48, 0, v48, vcc_lo
	v_cmp_gt_i32_e32 vcc_lo, s23, v24
	v_or_b32_e32 v4, v4, v48
	v_cndmask_b32_e32 v3, 0, v3, vcc_lo
	v_cmp_gt_i32_e32 vcc_lo, s23, v23
	v_cndmask_b32_e32 v45, 0, v45, vcc_lo
.LBB102_43:                             ;   in Loop: Header=BB102_33 Depth=1
	s_or_b32 exec_lo, exec_lo, s6
	v_lshlrev_b32_e32 v47, 16, v47
	v_lshlrev_b32_e32 v46, 16, v46
	;; [unrolled: 1-line block ×3, first 2 shown]
	v_and_or_b32 v1, 0xffff, v1, v47
	v_and_or_b32 v2, 0xffff, v2, v46
	;; [unrolled: 1-line block ×3, first 2 shown]
	;;#ASMSTART
	v_pk_mul_f16 v1, v34, v1;

	;;#ASMEND
	;;#ASMSTART
	v_pk_mul_f16 v2, v33, v2;

	;;#ASMEND
	;; [unrolled: 4-line block ×4, first 2 shown]
	;;#ASMSTART
	v_pk_add_f16 v1, v1, v2;

	;;#ASMEND
	;;#ASMSTART
	v_pk_add_f16 v1, v1, v3;

	;;#ASMEND
	;; [unrolled: 4-line block ×3, first 2 shown]
	v_and_b32_e32 v2, 0xffff, v1
	v_lshrrev_b32_e32 v1, 16, v1
	;;#ASMSTART
	v_cvt_f32_f16 v45, v2;
	;;#ASMEND
	;;#ASMSTART
	v_cvt_f32_f16 v46, v1;
	;;#ASMEND
	global_load_dwordx4 v[1:4], v[8:9], off offset:512
	s_waitcnt vmcnt(0)
	v_lshrrev_b32_e32 v47, 16, v1
	v_lshrrev_b32_e32 v9, 16, v2
	v_lshrrev_b32_e32 v8, 16, v3
	s_and_saveexec_b32 s1, s0
	s_cbranch_execz .LBB102_32
; %bb.44:                               ;   in Loop: Header=BB102_33 Depth=1
	v_cmp_gt_i32_e32 vcc_lo, s23, v27
	v_cmp_gt_i32_e64 s0, s23, v26
	v_cndmask_b32_e32 v1, 0, v1, vcc_lo
	v_cmp_gt_i32_e32 vcc_lo, s23, v32
	v_cndmask_b32_e64 v2, 0, v2, s0
	v_cmp_gt_i32_e64 s0, s23, v25
	v_and_b32_e32 v25, 0xffff0000, v4
	v_cndmask_b32_e32 v47, 0, v47, vcc_lo
	v_cmp_gt_i32_e32 vcc_lo, s23, v28
	v_cndmask_b32_e64 v9, 0, v9, s0
	v_cndmask_b32_sdwa v4, v18, v4, vcc_lo dst_sel:DWORD dst_unused:UNUSED_PAD src0_sel:DWORD src1_sel:WORD_0
	v_cmp_gt_i32_e32 vcc_lo, s23, v21
	v_cndmask_b32_e32 v25, 0, v25, vcc_lo
	v_cmp_gt_i32_e32 vcc_lo, s23, v24
	v_or_b32_e32 v4, v4, v25
	v_cndmask_b32_e32 v3, 0, v3, vcc_lo
	v_cmp_gt_i32_e32 vcc_lo, s23, v23
	v_cndmask_b32_e32 v8, 0, v8, vcc_lo
	s_branch .LBB102_32
.LBB102_45:
	s_or_b32 exec_lo, exec_lo, s4
.LBB102_46:
	s_or_b32 exec_lo, exec_lo, s3
	ds_bpermute_b32 v1, v11, v16
	ds_bpermute_b32 v2, v11, v17
	;; [unrolled: 1-line block ×6, first 2 shown]
	v_lshrrev_b32_e32 v7, 1, v10
	v_mul_u32_u24_e32 v9, 0x180, v31
	v_and_b32_e32 v10, 0x3c1, v0
	s_mov_b32 s0, exec_lo
	s_waitcnt lgkmcnt(0)
	s_waitcnt_vscnt null, 0x0
	v_lshl_add_u32 v8, v7, 2, 0xe0
	s_barrier
	buffer_gl0_inv
	v_add_f32_e32 v6, v16, v1
	v_add_f32_e32 v5, v17, v2
	;; [unrolled: 1-line block ×6, first 2 shown]
	v_cmpx_eq_u32_e32 64, v10
	s_cbranch_execz .LBB102_48
; %bb.47:
	v_add_nc_u32_e32 v10, v8, v9
	v_add_nc_u32_e32 v11, 0xfffffd00, v10
	;; [unrolled: 1-line block ×7, first 2 shown]
	ds_write_b32 v11, v6
	ds_write_b32 v12, v5
	;; [unrolled: 1-line block ×6, first 2 shown]
.LBB102_48:
	s_or_b32 exec_lo, exec_lo, s0
	v_lshlrev_b32_e32 v7, 2, v7
	s_mov_b32 s1, exec_lo
	v_cmp_eq_u32_e32 vcc_lo, 0, v30
	s_waitcnt lgkmcnt(0)
	s_barrier
	v_add3_u32 v7, 0xe0, v9, v7
	buffer_gl0_inv
	v_cmpx_gt_u32_e32 64, v0
	s_cbranch_execz .LBB102_57
; %bb.49:
	s_and_saveexec_b32 s0, vcc_lo
	s_cbranch_execnz .LBB102_71
; %bb.50:
	s_or_b32 exec_lo, exec_lo, s0
	s_and_saveexec_b32 s0, vcc_lo
	s_cbranch_execnz .LBB102_72
.LBB102_51:
	s_or_b32 exec_lo, exec_lo, s0
	s_and_saveexec_b32 s0, vcc_lo
	s_cbranch_execnz .LBB102_73
.LBB102_52:
	s_or_b32 exec_lo, exec_lo, s0
	s_and_saveexec_b32 s0, vcc_lo
	s_cbranch_execnz .LBB102_74
.LBB102_53:
	s_or_b32 exec_lo, exec_lo, s0
	s_and_saveexec_b32 s0, vcc_lo
	s_cbranch_execnz .LBB102_75
.LBB102_54:
	s_or_b32 exec_lo, exec_lo, s0
	s_and_saveexec_b32 s0, vcc_lo
	s_cbranch_execz .LBB102_56
.LBB102_55:
	ds_read_b32 v9, v7 offset:320
	s_waitcnt lgkmcnt(0)
	v_add_f32_e32 v1, v1, v9
.LBB102_56:
	s_or_b32 exec_lo, exec_lo, s0
.LBB102_57:
	s_or_b32 exec_lo, exec_lo, s1
	v_and_b32_e32 v9, 0x3e1, v0
	s_mov_b32 s1, exec_lo
	s_barrier
	buffer_gl0_inv
	v_cmpx_eq_u32_e32 32, v9
	s_cbranch_execz .LBB102_59
; %bb.58:
	ds_write2_b32 v8, v6, v5 offset1:16
	ds_write2_b32 v8, v4, v3 offset0:32 offset1:48
	ds_write2_b32 v8, v2, v1 offset0:64 offset1:80
.LBB102_59:
	s_or_b32 exec_lo, exec_lo, s1
	s_mov_b32 s1, exec_lo
	s_waitcnt lgkmcnt(0)
	s_barrier
	buffer_gl0_inv
	v_cmpx_gt_u32_e32 32, v0
	s_cbranch_execz .LBB102_68
; %bb.60:
	s_and_saveexec_b32 s0, vcc_lo
	s_cbranch_execnz .LBB102_76
; %bb.61:
	s_or_b32 exec_lo, exec_lo, s0
	s_and_saveexec_b32 s0, vcc_lo
	s_cbranch_execnz .LBB102_77
.LBB102_62:
	s_or_b32 exec_lo, exec_lo, s0
	s_and_saveexec_b32 s0, vcc_lo
	s_cbranch_execnz .LBB102_78
.LBB102_63:
	s_or_b32 exec_lo, exec_lo, s0
	s_and_saveexec_b32 s0, vcc_lo
	s_cbranch_execnz .LBB102_79
.LBB102_64:
	s_or_b32 exec_lo, exec_lo, s0
	s_and_saveexec_b32 s0, vcc_lo
	s_cbranch_execnz .LBB102_80
.LBB102_65:
	s_or_b32 exec_lo, exec_lo, s0
	s_and_saveexec_b32 s0, vcc_lo
	s_cbranch_execz .LBB102_67
.LBB102_66:
	ds_read_b32 v0, v7 offset:320
	s_waitcnt lgkmcnt(0)
	v_add_f32_e32 v1, v1, v0
.LBB102_67:
	s_or_b32 exec_lo, exec_lo, s0
.LBB102_68:
	s_or_b32 exec_lo, exec_lo, s1
	s_barrier
	buffer_gl0_inv
	s_mov_b32 s0, exec_lo
	v_cmpx_eq_u32_e32 0, v9
	s_cbranch_execz .LBB102_70
; %bb.69:
	s_mul_i32 s0, s2, 0x60
	s_mul_i32 s2, s7, s10
	s_ashr_i32 s1, s0, 31
	v_lshlrev_b32_e32 v0, 1, v29
	s_lshl_b64 s[0:1], s[0:1], 1
	;;#ASMSTART
	v_cvt_f16_f32 v6, v6;

	;;#ASMEND
	s_add_u32 s4, s20, s0
	s_addc_u32 s5, s21, s1
	s_ashr_i32 s3, s2, 31
	s_lshl_b64 s[0:1], s[2:3], 1
	s_mul_i32 s2, s8, 0x60
	s_add_u32 s4, s4, s0
	s_addc_u32 s5, s5, s1
	s_ashr_i32 s3, s2, 31
	s_lshl_b64 s[0:1], s[2:3], 1
	s_add_u32 s0, s4, s0
	s_addc_u32 s1, s5, s1
	global_store_short v0, v6, s[0:1]
	;;#ASMSTART
	v_cvt_f16_f32 v5, v5;

	;;#ASMEND
	global_store_short v0, v5, s[0:1] offset:32
	;;#ASMSTART
	v_cvt_f16_f32 v4, v4;

	;;#ASMEND
	global_store_short v0, v4, s[0:1] offset:64
	;; [unrolled: 5-line block ×5, first 2 shown]
.LBB102_70:
	s_endpgm
.LBB102_71:
	ds_read_b32 v9, v7
	s_waitcnt lgkmcnt(0)
	v_add_f32_e32 v6, v6, v9
	s_or_b32 exec_lo, exec_lo, s0
	s_and_saveexec_b32 s0, vcc_lo
	s_cbranch_execz .LBB102_51
.LBB102_72:
	ds_read_b32 v9, v7 offset:64
	s_waitcnt lgkmcnt(0)
	v_add_f32_e32 v5, v5, v9
	s_or_b32 exec_lo, exec_lo, s0
	s_and_saveexec_b32 s0, vcc_lo
	s_cbranch_execz .LBB102_52
.LBB102_73:
	ds_read_b32 v9, v7 offset:128
	s_waitcnt lgkmcnt(0)
	v_add_f32_e32 v4, v4, v9
	s_or_b32 exec_lo, exec_lo, s0
	s_and_saveexec_b32 s0, vcc_lo
	s_cbranch_execz .LBB102_53
.LBB102_74:
	ds_read_b32 v9, v7 offset:192
	s_waitcnt lgkmcnt(0)
	v_add_f32_e32 v3, v3, v9
	s_or_b32 exec_lo, exec_lo, s0
	s_and_saveexec_b32 s0, vcc_lo
	s_cbranch_execz .LBB102_54
.LBB102_75:
	ds_read_b32 v9, v7 offset:256
	s_waitcnt lgkmcnt(0)
	v_add_f32_e32 v2, v2, v9
	s_or_b32 exec_lo, exec_lo, s0
	s_and_saveexec_b32 s0, vcc_lo
	s_cbranch_execnz .LBB102_55
	s_branch .LBB102_56
.LBB102_76:
	ds_read_b32 v0, v7
	s_waitcnt lgkmcnt(0)
	v_add_f32_e32 v6, v6, v0
	s_or_b32 exec_lo, exec_lo, s0
	s_and_saveexec_b32 s0, vcc_lo
	s_cbranch_execz .LBB102_62
.LBB102_77:
	ds_read_b32 v0, v7 offset:64
	s_waitcnt lgkmcnt(0)
	v_add_f32_e32 v5, v5, v0
	s_or_b32 exec_lo, exec_lo, s0
	s_and_saveexec_b32 s0, vcc_lo
	s_cbranch_execz .LBB102_63
.LBB102_78:
	ds_read_b32 v0, v7 offset:128
	s_waitcnt lgkmcnt(0)
	v_add_f32_e32 v4, v4, v0
	s_or_b32 exec_lo, exec_lo, s0
	s_and_saveexec_b32 s0, vcc_lo
	s_cbranch_execz .LBB102_64
.LBB102_79:
	ds_read_b32 v0, v7 offset:192
	s_waitcnt lgkmcnt(0)
	v_add_f32_e32 v3, v3, v0
	s_or_b32 exec_lo, exec_lo, s0
	s_and_saveexec_b32 s0, vcc_lo
	s_cbranch_execz .LBB102_65
.LBB102_80:
	ds_read_b32 v0, v7 offset:256
	s_waitcnt lgkmcnt(0)
	v_add_f32_e32 v2, v2, v0
	s_or_b32 exec_lo, exec_lo, s0
	s_and_saveexec_b32 s0, vcc_lo
	s_cbranch_execnz .LBB102_66
	s_branch .LBB102_67
	.section	.rodata,"a",@progbits
	.p2align	6, 0x0
	.amdhsa_kernel _ZN4vllm25paged_attention_v2_kernelIttLi96ELi16ELi128ELNS_18Fp8KVCacheDataTypeE0ELb0ELi512EEEvPfS2_PT_PKS3_PKT0_S9_ifPKiSB_iPKfiiiSD_SD_iiiii
		.amdhsa_group_segment_fixed_size 224
		.amdhsa_private_segment_fixed_size 0
		.amdhsa_kernarg_size 400
		.amdhsa_user_sgpr_count 6
		.amdhsa_user_sgpr_private_segment_buffer 1
		.amdhsa_user_sgpr_dispatch_ptr 0
		.amdhsa_user_sgpr_queue_ptr 0
		.amdhsa_user_sgpr_kernarg_segment_ptr 1
		.amdhsa_user_sgpr_dispatch_id 0
		.amdhsa_user_sgpr_flat_scratch_init 0
		.amdhsa_user_sgpr_private_segment_size 0
		.amdhsa_wavefront_size32 1
		.amdhsa_uses_dynamic_stack 0
		.amdhsa_system_sgpr_private_segment_wavefront_offset 0
		.amdhsa_system_sgpr_workgroup_id_x 1
		.amdhsa_system_sgpr_workgroup_id_y 1
		.amdhsa_system_sgpr_workgroup_id_z 1
		.amdhsa_system_sgpr_workgroup_info 0
		.amdhsa_system_vgpr_workitem_id 0
		.amdhsa_next_free_vgpr 91
		.amdhsa_next_free_sgpr 36
		.amdhsa_reserve_vcc 1
		.amdhsa_reserve_flat_scratch 0
		.amdhsa_float_round_mode_32 0
		.amdhsa_float_round_mode_16_64 0
		.amdhsa_float_denorm_mode_32 3
		.amdhsa_float_denorm_mode_16_64 3
		.amdhsa_dx10_clamp 1
		.amdhsa_ieee_mode 1
		.amdhsa_fp16_overflow 0
		.amdhsa_workgroup_processor_mode 1
		.amdhsa_memory_ordered 1
		.amdhsa_forward_progress 1
		.amdhsa_shared_vgpr_count 0
		.amdhsa_exception_fp_ieee_invalid_op 0
		.amdhsa_exception_fp_denorm_src 0
		.amdhsa_exception_fp_ieee_div_zero 0
		.amdhsa_exception_fp_ieee_overflow 0
		.amdhsa_exception_fp_ieee_underflow 0
		.amdhsa_exception_fp_ieee_inexact 0
		.amdhsa_exception_int_div_zero 0
	.end_amdhsa_kernel
	.section	.text._ZN4vllm25paged_attention_v2_kernelIttLi96ELi16ELi128ELNS_18Fp8KVCacheDataTypeE0ELb0ELi512EEEvPfS2_PT_PKS3_PKT0_S9_ifPKiSB_iPKfiiiSD_SD_iiiii,"axG",@progbits,_ZN4vllm25paged_attention_v2_kernelIttLi96ELi16ELi128ELNS_18Fp8KVCacheDataTypeE0ELb0ELi512EEEvPfS2_PT_PKS3_PKT0_S9_ifPKiSB_iPKfiiiSD_SD_iiiii,comdat
.Lfunc_end102:
	.size	_ZN4vllm25paged_attention_v2_kernelIttLi96ELi16ELi128ELNS_18Fp8KVCacheDataTypeE0ELb0ELi512EEEvPfS2_PT_PKS3_PKT0_S9_ifPKiSB_iPKfiiiSD_SD_iiiii, .Lfunc_end102-_ZN4vllm25paged_attention_v2_kernelIttLi96ELi16ELi128ELNS_18Fp8KVCacheDataTypeE0ELb0ELi512EEEvPfS2_PT_PKS3_PKT0_S9_ifPKiSB_iPKfiiiSD_SD_iiiii
                                        ; -- End function
	.set _ZN4vllm25paged_attention_v2_kernelIttLi96ELi16ELi128ELNS_18Fp8KVCacheDataTypeE0ELb0ELi512EEEvPfS2_PT_PKS3_PKT0_S9_ifPKiSB_iPKfiiiSD_SD_iiiii.num_vgpr, 91
	.set _ZN4vllm25paged_attention_v2_kernelIttLi96ELi16ELi128ELNS_18Fp8KVCacheDataTypeE0ELb0ELi512EEEvPfS2_PT_PKS3_PKT0_S9_ifPKiSB_iPKfiiiSD_SD_iiiii.num_agpr, 0
	.set _ZN4vllm25paged_attention_v2_kernelIttLi96ELi16ELi128ELNS_18Fp8KVCacheDataTypeE0ELb0ELi512EEEvPfS2_PT_PKS3_PKT0_S9_ifPKiSB_iPKfiiiSD_SD_iiiii.numbered_sgpr, 36
	.set _ZN4vllm25paged_attention_v2_kernelIttLi96ELi16ELi128ELNS_18Fp8KVCacheDataTypeE0ELb0ELi512EEEvPfS2_PT_PKS3_PKT0_S9_ifPKiSB_iPKfiiiSD_SD_iiiii.num_named_barrier, 0
	.set _ZN4vllm25paged_attention_v2_kernelIttLi96ELi16ELi128ELNS_18Fp8KVCacheDataTypeE0ELb0ELi512EEEvPfS2_PT_PKS3_PKT0_S9_ifPKiSB_iPKfiiiSD_SD_iiiii.private_seg_size, 0
	.set _ZN4vllm25paged_attention_v2_kernelIttLi96ELi16ELi128ELNS_18Fp8KVCacheDataTypeE0ELb0ELi512EEEvPfS2_PT_PKS3_PKT0_S9_ifPKiSB_iPKfiiiSD_SD_iiiii.uses_vcc, 1
	.set _ZN4vllm25paged_attention_v2_kernelIttLi96ELi16ELi128ELNS_18Fp8KVCacheDataTypeE0ELb0ELi512EEEvPfS2_PT_PKS3_PKT0_S9_ifPKiSB_iPKfiiiSD_SD_iiiii.uses_flat_scratch, 0
	.set _ZN4vllm25paged_attention_v2_kernelIttLi96ELi16ELi128ELNS_18Fp8KVCacheDataTypeE0ELb0ELi512EEEvPfS2_PT_PKS3_PKT0_S9_ifPKiSB_iPKfiiiSD_SD_iiiii.has_dyn_sized_stack, 0
	.set _ZN4vllm25paged_attention_v2_kernelIttLi96ELi16ELi128ELNS_18Fp8KVCacheDataTypeE0ELb0ELi512EEEvPfS2_PT_PKS3_PKT0_S9_ifPKiSB_iPKfiiiSD_SD_iiiii.has_recursion, 0
	.set _ZN4vllm25paged_attention_v2_kernelIttLi96ELi16ELi128ELNS_18Fp8KVCacheDataTypeE0ELb0ELi512EEEvPfS2_PT_PKS3_PKT0_S9_ifPKiSB_iPKfiiiSD_SD_iiiii.has_indirect_call, 0
	.section	.AMDGPU.csdata,"",@progbits
; Kernel info:
; codeLenInByte = 9108
; TotalNumSgprs: 38
; NumVgprs: 91
; ScratchSize: 0
; MemoryBound: 0
; FloatMode: 240
; IeeeMode: 1
; LDSByteSize: 224 bytes/workgroup (compile time only)
; SGPRBlocks: 0
; VGPRBlocks: 11
; NumSGPRsForWavesPerEU: 38
; NumVGPRsForWavesPerEU: 91
; Occupancy: 10
; WaveLimiterHint : 1
; COMPUTE_PGM_RSRC2:SCRATCH_EN: 0
; COMPUTE_PGM_RSRC2:USER_SGPR: 6
; COMPUTE_PGM_RSRC2:TRAP_HANDLER: 0
; COMPUTE_PGM_RSRC2:TGID_X_EN: 1
; COMPUTE_PGM_RSRC2:TGID_Y_EN: 1
; COMPUTE_PGM_RSRC2:TGID_Z_EN: 1
; COMPUTE_PGM_RSRC2:TIDIG_COMP_CNT: 0
	.section	.text._ZN4vllm25paged_attention_v2_kernelIttLi112ELi16ELi128ELNS_18Fp8KVCacheDataTypeE0ELb0ELi512EEEvPfS2_PT_PKS3_PKT0_S9_ifPKiSB_iPKfiiiSD_SD_iiiii,"axG",@progbits,_ZN4vllm25paged_attention_v2_kernelIttLi112ELi16ELi128ELNS_18Fp8KVCacheDataTypeE0ELb0ELi512EEEvPfS2_PT_PKS3_PKT0_S9_ifPKiSB_iPKfiiiSD_SD_iiiii,comdat
	.protected	_ZN4vllm25paged_attention_v2_kernelIttLi112ELi16ELi128ELNS_18Fp8KVCacheDataTypeE0ELb0ELi512EEEvPfS2_PT_PKS3_PKT0_S9_ifPKiSB_iPKfiiiSD_SD_iiiii ; -- Begin function _ZN4vllm25paged_attention_v2_kernelIttLi112ELi16ELi128ELNS_18Fp8KVCacheDataTypeE0ELb0ELi512EEEvPfS2_PT_PKS3_PKT0_S9_ifPKiSB_iPKfiiiSD_SD_iiiii
	.globl	_ZN4vllm25paged_attention_v2_kernelIttLi112ELi16ELi128ELNS_18Fp8KVCacheDataTypeE0ELb0ELi512EEEvPfS2_PT_PKS3_PKT0_S9_ifPKiSB_iPKfiiiSD_SD_iiiii
	.p2align	8
	.type	_ZN4vllm25paged_attention_v2_kernelIttLi112ELi16ELi128ELNS_18Fp8KVCacheDataTypeE0ELb0ELi512EEEvPfS2_PT_PKS3_PKT0_S9_ifPKiSB_iPKfiiiSD_SD_iiiii,@function
_ZN4vllm25paged_attention_v2_kernelIttLi112ELi16ELi128ELNS_18Fp8KVCacheDataTypeE0ELb0ELi512EEEvPfS2_PT_PKS3_PKT0_S9_ifPKiSB_iPKfiiiSD_SD_iiiii: ; @_ZN4vllm25paged_attention_v2_kernelIttLi112ELi16ELi128ELNS_18Fp8KVCacheDataTypeE0ELb0ELi512EEEvPfS2_PT_PKS3_PKT0_S9_ifPKiSB_iPKfiiiSD_SD_iiiii
; %bb.0:
	s_load_dwordx2 s[0:1], s[4:5], 0x40
	s_mov_b32 s22, s7
	s_ashr_i32 s23, s7, 31
	s_lshl_b64 s[2:3], s[22:23], 2
	s_waitcnt lgkmcnt(0)
	s_add_u32 s0, s0, s2
	s_addc_u32 s1, s1, s3
	s_lshl_b32 s33, s8, 9
	s_load_dword s23, s[0:1], 0x0
	s_waitcnt lgkmcnt(0)
	s_cmp_ge_i32 s33, s23
	s_cbranch_scc1 .LBB103_74
; %bb.1:
	s_clause 0x1
	s_load_dword s9, s[4:5], 0x90
	s_load_dwordx2 s[30:31], s[4:5], 0x30
	s_mov_b32 s34, 0
	s_waitcnt lgkmcnt(0)
	s_abs_i32 s3, s9
	s_abs_i32 s0, s30
	v_cvt_f32_u32_e32 v1, s0
	s_sub_i32 s2, 0, s0
	v_rcp_iflag_f32_e32 v1, v1
	v_mul_f32_e32 v1, 0x4f7ffffe, v1
	v_cvt_u32_f32_e32 v1, v1
	v_readfirstlane_b32 s1, v1
	s_mul_i32 s2, s2, s1
	s_mul_hi_u32 s2, s1, s2
	s_add_i32 s1, s1, s2
	s_xor_b32 s2, s9, s30
	s_mul_hi_u32 s1, s3, s1
	s_ashr_i32 s2, s2, 31
	s_mul_i32 s7, s1, s0
	s_sub_i32 s3, s3, s7
	s_add_i32 s7, s1, 1
	s_sub_i32 s10, s3, s0
	s_cmp_ge_u32 s3, s0
	s_cselect_b32 s1, s7, s1
	s_cselect_b32 s3, s10, s3
	s_add_i32 s7, s1, 1
	s_cmp_ge_u32 s3, s0
	s_cselect_b32 s0, s7, s1
	s_abs_i32 s16, s6
	s_xor_b32 s0, s0, s2
	s_sub_i32 s10, s0, s2
	s_load_dwordx2 s[0:1], s[4:5], 0x50
	s_abs_i32 s2, s10
	v_cvt_f32_u32_e32 v1, s2
	s_sub_i32 s7, 0, s2
	v_rcp_iflag_f32_e32 v1, v1
	v_mul_f32_e32 v1, 0x4f7ffffe, v1
	v_cvt_u32_f32_e32 v1, v1
	v_readfirstlane_b32 s3, v1
	s_mul_i32 s7, s7, s3
	s_mul_hi_u32 s7, s3, s7
	s_add_i32 s3, s3, s7
	s_waitcnt lgkmcnt(0)
	s_cmp_eq_u64 s[0:1], 0
	s_mul_hi_u32 s3, s16, s3
	s_cbranch_scc1 .LBB103_3
; %bb.2:
	s_ashr_i32 s7, s6, 31
	s_lshl_b64 s[12:13], s[6:7], 2
	s_add_u32 s0, s0, s12
	s_addc_u32 s1, s1, s13
	s_load_dword s34, s[0:1], 0x0
.LBB103_3:
	s_load_dwordx4 s[12:15], s[4:5], 0x58
	v_lshrrev_b32_e32 v31, 1, v0
	v_and_b32_e32 v32, 1, v0
	v_lshlrev_b32_e32 v34, 3, v0
	s_ashr_i32 s0, s6, 31
	s_ashr_i32 s1, s10, 31
	s_mul_i32 s10, s6, 0x70
	s_mov_b32 s7, exec_lo
	v_cmpx_gt_u32_e32 28, v0
	s_cbranch_execz .LBB103_5
; %bb.4:
	s_load_dwordx2 s[18:19], s[4:5], 0x18
	s_waitcnt lgkmcnt(0)
	s_mul_i32 s20, s12, s22
	v_lshlrev_b32_e32 v3, 3, v31
	s_ashr_i32 s21, s20, 31
	s_lshl_b64 s[20:21], s[20:21], 1
	v_mad_u32_u24 v3, 0x70, v32, v3
	s_add_u32 s12, s18, s20
	s_addc_u32 s15, s19, s21
	s_ashr_i32 s11, s10, 31
	s_lshl_b64 s[18:19], s[10:11], 1
	s_add_u32 s18, s12, s18
	s_addc_u32 s19, s15, s19
	global_load_dwordx2 v[1:2], v34, s[18:19]
	s_waitcnt vmcnt(0)
	ds_write_b64 v3, v[1:2]
.LBB103_5:
	s_or_b32 exec_lo, exec_lo, s7
	s_add_i32 s7, s23, 15
	s_load_dwordx2 s[24:25], s[4:5], 0x38
	s_waitcnt lgkmcnt(0)
	s_load_dword s15, s[4:5], 0x48
	s_ashr_i32 s11, s7, 31
	s_lshl_b32 s30, s8, 5
	s_lshr_b32 s11, s11, 28
	s_xor_b32 s0, s0, s1
	s_add_i32 s7, s7, s11
	s_add_i32 s1, s30, 32
	s_ashr_i32 s12, s7, 4
	s_mul_i32 s7, s3, s2
	s_min_i32 s11, s1, s12
	s_sub_i32 s1, s16, s7
	s_add_i32 s7, s3, 1
	s_sub_i32 s16, s1, s2
	s_cmp_ge_u32 s1, s2
	v_lshrrev_b32_e32 v33, 5, v0
	s_cselect_b32 s3, s7, s3
	s_cselect_b32 s1, s16, s1
	s_add_i32 s7, s3, 1
	s_cmp_ge_u32 s1, s2
	v_or_b32_e32 v5, s30, v33
	s_cselect_b32 s1, s7, s3
	v_mbcnt_lo_u32_b32 v35, -1, 0
	s_xor_b32 s1, s1, s0
	s_waitcnt lgkmcnt(0)
	s_mul_i32 s26, s15, s22
	s_sub_i32 s1, s1, s0
	v_cmp_gt_i32_e64 s0, s11, v5
	s_ashr_i32 s27, s26, 31
	s_mov_b32 s2, exec_lo
	s_barrier
	buffer_gl0_inv
                                        ; implicit-def: $vgpr36
                                        ; implicit-def: $vgpr37
	v_cmpx_le_i32_e64 s11, v5
	s_xor_b32 s2, exec_lo, s2
; %bb.6:
	v_mov_b32_e32 v36, 0
	v_mbcnt_lo_u32_b32 v35, -1, 0
	v_mov_b32_e32 v37, 32
; %bb.7:
	s_or_saveexec_b32 s35, s2
	s_clause 0x3
	s_load_dwordx4 s[16:19], s[4:5], 0x0
	s_load_dwordx2 s[20:21], s[4:5], 0x10
	s_load_dwordx2 s[28:29], s[4:5], 0x28
	s_load_dword s7, s[4:5], 0x98
	v_mov_b32_e32 v38, 0xff7fffff
	v_ashrrev_i32_e32 v6, 31, v5
	s_mul_i32 s14, s1, s14
	s_xor_b32 exec_lo, exec_lo, s35
	s_cbranch_execz .LBB103_13
; %bb.8:
	s_load_dwordx2 s[2:3], s[4:5], 0x20
	v_bfe_u32 v3, v0, 1, 4
	s_ashr_i32 s15, s14, 31
	v_lshlrev_b32_e32 v7, 4, v33
	s_lshl_b64 s[4:5], s[14:15], 1
	v_and_b32_e32 v4, 8, v34
	v_lshlrev_b32_e32 v9, 4, v3
	v_lshlrev_b32_e32 v1, 2, v3
	v_add3_u32 v40, s33, v7, v3
	v_mov_b32_e32 v36, 0
	v_mul_u32_u24_e32 v39, 0x70, v32
	v_cmp_neq_f32_e64 s1, s34, 0
	v_lshl_or_b32 v8, v33, 6, v1
	v_lshlrev_b64 v[1:2], 2, v[5:6]
	v_mov_b32_e32 v38, 0xff7fffff
	v_xor_b32_e32 v44, 1, v35
	v_mov_b32_e32 v37, 32
	v_add_nc_u32_e32 v41, 0x100, v8
	v_mov_b32_e32 v45, v5
	v_cmp_eq_u32_e32 vcc_lo, 0, v32
	s_waitcnt lgkmcnt(0)
	s_add_u32 s15, s2, s4
	s_addc_u32 s5, s3, s5
	v_add_co_u32 v3, s15, s15, v9
	v_add_co_ci_u32_e64 v7, null, s5, 0, s15
	s_lshl_b64 s[2:3], s[26:27], 2
	s_sub_i32 s4, 1, s23
	s_add_u32 s5, s24, s2
	v_add_co_u32 v42, s2, v3, v4
	v_add_co_ci_u32_e64 v43, null, 0, v7, s2
	s_addc_u32 s3, s25, s3
	v_add_co_u32 v1, s2, s5, v1
	v_add_co_ci_u32_e64 v2, null, s3, v2, s2
	s_mov_b32 s15, s13
	s_mov_b32 s5, 0
	s_branch .LBB103_10
.LBB103_9:                              ;   in Loop: Header=BB103_10 Depth=1
	s_or_b32 exec_lo, exec_lo, s3
	v_add_nc_u32_e32 v45, 4, v45
	v_add_co_u32 v1, s3, v1, 16
	v_add_nc_u32_e32 v40, 64, v40
	v_add_nc_u32_e32 v41, 0x100, v41
	v_cmp_le_i32_e64 s2, s11, v45
	v_add_co_ci_u32_e64 v2, null, 0, v2, s3
	s_or_b32 s5, s2, s5
	s_andn2_b32 exec_lo, exec_lo, s5
	s_cbranch_execz .LBB103_12
.LBB103_10:                             ; =>This Inner Loop Header: Depth=1
	global_load_dword v3, v[1:2], off
	s_waitcnt vmcnt(0) lgkmcnt(0)
	v_mad_i64_i32 v[3:4], null, v3, s15, 0
	v_lshlrev_b64 v[3:4], 1, v[3:4]
	v_add_co_u32 v3, s2, v42, v3
	v_add_co_ci_u32_e64 v4, null, v43, v4, s2
	s_clause 0x7
	global_load_dwordx2 v[29:30], v[3:4], off
	global_load_dwordx2 v[56:57], v[3:4], off offset:256
	global_load_dwordx2 v[27:28], v[3:4], off offset:512
	;; [unrolled: 1-line block ×7, first 2 shown]
	v_add_co_u32 v3, s2, 0x800, v3
	v_add_co_ci_u32_e64 v4, null, 0, v4, s2
	v_cmp_gt_i32_e64 s2, 32, v44
	s_clause 0x1
	global_load_dwordx2 v[15:16], v[3:4], off
	global_load_dwordx2 v[11:12], v[3:4], off offset:256
	ds_read_b64 v[7:8], v39
	s_waitcnt lgkmcnt(0)
	v_and_b32_e32 v46, 0xffff, v7
	v_lshrrev_b32_e32 v47, 16, v7
	v_lshrrev_b32_e32 v51, 16, v8
	v_and_b32_e32 v49, 0xffff, v8
	s_clause 0x3
	global_load_dwordx2 v[13:14], v[3:4], off offset:512
	global_load_dwordx2 v[9:10], v[3:4], off offset:768
	;; [unrolled: 1-line block ×4, first 2 shown]
	;;#ASMSTART
	v_cvt_f32_f16 v52, v46;
	;;#ASMEND
	;;#ASMSTART
	v_cvt_f32_f16 v48, v47;
	;;#ASMEND
	s_waitcnt vmcnt(13)
	v_and_b32_e32 v46, 0xffff, v29
	v_lshrrev_b32_e32 v29, 16, v29
	v_lshrrev_b32_e32 v47, 16, v30
	v_and_b32_e32 v30, 0xffff, v30
	;;#ASMSTART
	v_cvt_f32_f16 v53, v46;
	;;#ASMEND
	;;#ASMSTART
	v_cvt_f32_f16 v50, v29;
	;;#ASMEND
	;; [unrolled: 3-line block ×6, first 2 shown]
	ds_read_b64 v[29:30], v39 offset:8
	s_waitcnt vmcnt(12)
	v_lshrrev_b32_e32 v54, 16, v56
	v_and_b32_e32 v56, 0xffff, v56
	v_lshrrev_b32_e32 v59, 16, v57
	v_and_b32_e32 v58, 0xffff, v57
	s_waitcnt vmcnt(11)
	v_lshrrev_b32_e32 v63, 16, v27
	v_and_b32_e32 v27, 0xffff, v27
	v_lshrrev_b32_e32 v67, 16, v28
	v_and_b32_e32 v28, 0xffff, v28
	;; [unrolled: 5-line block ×4, first 2 shown]
	s_waitcnt vmcnt(8)
	v_lshrrev_b32_e32 v80, 16, v21
	s_waitcnt vmcnt(7)
	v_lshrrev_b32_e32 v84, 16, v19
	v_and_b32_e32 v85, 0xffff, v19
	s_waitcnt lgkmcnt(0)
	v_and_b32_e32 v55, 0xffff, v29
	v_lshrrev_b32_e32 v29, 16, v29
	v_and_b32_e32 v57, 0xffff, v30
	v_lshrrev_b32_e32 v60, 16, v30
	;;#ASMSTART
	v_cvt_f32_f16 v55, v55;
	;;#ASMEND
	;;#ASMSTART
	v_cvt_f32_f16 v30, v29;
	;;#ASMEND
	;; [unrolled: 3-line block ×8, first 2 shown]
	ds_read_b64 v[60:61], v39 offset:16
	s_waitcnt vmcnt(6)
	v_lshrrev_b32_e32 v88, 16, v17
	v_and_b32_e32 v89, 0xffff, v17
	v_lshrrev_b32_e32 v90, 16, v18
	v_and_b32_e32 v91, 0xffff, v18
	v_mul_f32_e32 v19, v55, v56
	v_and_b32_e32 v81, 0xffff, v21
	v_lshrrev_b32_e32 v82, 16, v22
	v_and_b32_e32 v83, 0xffff, v22
	v_lshrrev_b32_e32 v86, 16, v20
	v_and_b32_e32 v87, 0xffff, v20
	v_mul_f32_e32 v30, v30, v54
	v_mul_f32_e32 v54, v57, v58
	v_fmac_f32_e32 v19, v52, v53
	v_mul_f32_e32 v29, v29, v59
	s_waitcnt vmcnt(5)
	v_lshrrev_b32_e32 v59, 16, v15
	v_fmac_f32_e32 v30, v48, v50
	v_fmac_f32_e32 v54, v49, v51
	v_and_b32_e32 v15, 0xffff, v15
	v_fmac_f32_e32 v29, v46, v47
	s_waitcnt lgkmcnt(0)
	v_and_b32_e32 v62, 0xffff, v60
	v_lshrrev_b32_e32 v64, 16, v60
	v_and_b32_e32 v65, 0xffff, v61
	v_lshrrev_b32_e32 v66, 16, v61
	;;#ASMSTART
	v_cvt_f32_f16 v60, v62;
	;;#ASMEND
	;;#ASMSTART
	v_cvt_f32_f16 v61, v64;
	;;#ASMEND
	;; [unrolled: 3-line block ×8, first 2 shown]
	ds_read_b64 v[27:28], v39 offset:24
	v_fmac_f32_e32 v19, v60, v62
	v_fmac_f32_e32 v30, v61, v63
	s_waitcnt vmcnt(4)
	v_lshrrev_b32_e32 v63, 16, v11
	v_fmac_f32_e32 v54, v64, v66
	v_and_b32_e32 v11, 0xffff, v11
	v_fmac_f32_e32 v29, v65, v67
	s_waitcnt lgkmcnt(0)
	v_and_b32_e32 v68, 0xffff, v27
	v_lshrrev_b32_e32 v70, 16, v27
	v_and_b32_e32 v71, 0xffff, v28
	v_lshrrev_b32_e32 v72, 16, v28
	;;#ASMSTART
	v_cvt_f32_f16 v27, v68;
	;;#ASMEND
	;;#ASMSTART
	v_cvt_f32_f16 v28, v70;
	;;#ASMEND
	;; [unrolled: 3-line block ×8, first 2 shown]
	ds_read_b64 v[25:26], v39 offset:32
	v_fmac_f32_e32 v19, v27, v68
	s_waitcnt vmcnt(3)
	v_lshrrev_b32_e32 v68, 16, v13
	v_fmac_f32_e32 v30, v28, v69
	v_and_b32_e32 v28, 0xffff, v13
	v_fmac_f32_e32 v54, v70, v72
	v_fmac_f32_e32 v29, v71, v73
	s_waitcnt vmcnt(2)
	v_lshrrev_b32_e32 v73, 16, v9
	v_and_b32_e32 v9, 0xffff, v9
	s_waitcnt lgkmcnt(0)
	v_and_b32_e32 v74, 0xffff, v25
	v_lshrrev_b32_e32 v76, 16, v25
	v_lshrrev_b32_e32 v77, 16, v26
	v_and_b32_e32 v78, 0xffff, v26
	;;#ASMSTART
	v_cvt_f32_f16 v25, v74;
	;;#ASMEND
	;;#ASMSTART
	v_cvt_f32_f16 v26, v76;
	;;#ASMEND
	;; [unrolled: 3-line block ×8, first 2 shown]
	ds_read_b64 v[23:24], v39 offset:40
	v_fmac_f32_e32 v19, v25, v74
	v_fmac_f32_e32 v30, v26, v75
	;; [unrolled: 1-line block ×4, first 2 shown]
	s_waitcnt lgkmcnt(0)
	v_and_b32_e32 v17, 0xffff, v23
	v_lshrrev_b32_e32 v18, 16, v23
	v_lshrrev_b32_e32 v55, 16, v24
	v_and_b32_e32 v24, 0xffff, v24
	;;#ASMSTART
	v_cvt_f32_f16 v20, v17;
	;;#ASMEND
	;;#ASMSTART
	v_cvt_f32_f16 v21, v18;
	;;#ASMEND
	;; [unrolled: 3-line block ×8, first 2 shown]
	ds_read_b64 v[17:18], v39 offset:48
	v_fmac_f32_e32 v19, v20, v22
	v_fmac_f32_e32 v30, v21, v23
	;; [unrolled: 1-line block ×4, first 2 shown]
	s_waitcnt vmcnt(1)
	v_lshrrev_b32_e32 v23, 16, v8
	v_and_b32_e32 v8, 0xffff, v8
	s_waitcnt vmcnt(0)
	v_lshrrev_b32_e32 v24, 16, v3
	s_waitcnt lgkmcnt(0)
	v_and_b32_e32 v57, 0xffff, v17
	v_lshrrev_b32_e32 v17, 16, v17
	v_lshrrev_b32_e32 v82, 16, v18
	v_and_b32_e32 v18, 0xffff, v18
	;;#ASMSTART
	v_cvt_f32_f16 v52, v57;
	;;#ASMEND
	;;#ASMSTART
	v_cvt_f32_f16 v53, v17;
	;;#ASMEND
	;;#ASMSTART
	v_cvt_f32_f16 v57, v85;
	;;#ASMEND
	;;#ASMSTART
	v_cvt_f32_f16 v58, v84;
	;;#ASMEND
	;;#ASMSTART
	v_cvt_f32_f16 v81, v18;
	;;#ASMEND
	;;#ASMSTART
	v_cvt_f32_f16 v82, v82;
	;;#ASMEND
	;;#ASMSTART
	v_cvt_f32_f16 v83, v87;
	;;#ASMEND
	;;#ASMSTART
	v_cvt_f32_f16 v84, v86;
	;;#ASMEND
	ds_read_b64 v[17:18], v39 offset:56
	v_fmac_f32_e32 v19, v52, v57
	v_fmac_f32_e32 v30, v53, v58
	;; [unrolled: 1-line block ×4, first 2 shown]
	s_waitcnt lgkmcnt(0)
	v_and_b32_e32 v48, 0xffff, v17
	v_lshrrev_b32_e32 v17, 16, v17
	v_lshrrev_b32_e32 v86, 16, v18
	v_and_b32_e32 v18, 0xffff, v18
	;;#ASMSTART
	v_cvt_f32_f16 v48, v48;
	;;#ASMEND
	;;#ASMSTART
	v_cvt_f32_f16 v49, v17;
	;;#ASMEND
	;; [unrolled: 3-line block ×8, first 2 shown]
	ds_read_b64 v[17:18], v39 offset:64
	v_lshrrev_b32_e32 v89, 16, v16
	v_and_b32_e32 v16, 0xffff, v16
	v_and_b32_e32 v90, 0xffff, v14
	v_fmac_f32_e32 v19, v48, v50
	v_fmac_f32_e32 v30, v49, v51
	;; [unrolled: 1-line block ×4, first 2 shown]
	s_waitcnt lgkmcnt(0)
	v_and_b32_e32 v46, 0xffff, v17
	v_lshrrev_b32_e32 v47, 16, v17
	v_lshrrev_b32_e32 v60, 16, v18
	v_and_b32_e32 v61, 0xffff, v18
	;;#ASMSTART
	v_cvt_f32_f16 v17, v46;
	;;#ASMEND
	;;#ASMSTART
	v_cvt_f32_f16 v18, v47;
	;;#ASMEND
	;; [unrolled: 3-line block ×8, first 2 shown]
	ds_read_b64 v[15:16], v39 offset:72
	v_lshrrev_b32_e32 v89, 16, v12
	v_and_b32_e32 v12, 0xffff, v12
	v_fmac_f32_e32 v19, v17, v46
	v_fmac_f32_e32 v30, v18, v47
	;; [unrolled: 1-line block ×4, first 2 shown]
	s_waitcnt lgkmcnt(0)
	v_and_b32_e32 v64, 0xffff, v15
	v_lshrrev_b32_e32 v65, 16, v15
	v_lshrrev_b32_e32 v66, 16, v16
	v_and_b32_e32 v67, 0xffff, v16
	;;#ASMSTART
	v_cvt_f32_f16 v15, v64;
	;;#ASMEND
	;;#ASMSTART
	v_cvt_f32_f16 v16, v65;
	;;#ASMEND
	;; [unrolled: 3-line block ×8, first 2 shown]
	ds_read_b64 v[11:12], v39 offset:80
	v_lshrrev_b32_e32 v89, 16, v14
	v_fmac_f32_e32 v19, v15, v27
	v_fmac_f32_e32 v30, v16, v63
	;; [unrolled: 1-line block ×4, first 2 shown]
	v_and_b32_e32 v15, 0xffff, v3
	s_waitcnt lgkmcnt(0)
	v_and_b32_e32 v13, 0xffff, v11
	v_lshrrev_b32_e32 v11, 16, v11
	v_lshrrev_b32_e32 v70, 16, v12
	v_and_b32_e32 v12, 0xffff, v12
	;;#ASMSTART
	v_cvt_f32_f16 v13, v13;
	;;#ASMEND
	;;#ASMSTART
	v_cvt_f32_f16 v14, v11;
	;;#ASMEND
	;; [unrolled: 3-line block ×8, first 2 shown]
	ds_read_b64 v[11:12], v39 offset:88
	v_lshrrev_b32_e32 v89, 16, v10
	v_and_b32_e32 v10, 0xffff, v10
	v_lshrrev_b32_e32 v90, 16, v7
	v_and_b32_e32 v7, 0xffff, v7
	v_fmac_f32_e32 v19, v13, v28
	v_fmac_f32_e32 v30, v14, v68
	v_fmac_f32_e32 v54, v69, v71
	v_fmac_f32_e32 v29, v70, v72
	v_lshrrev_b32_e32 v13, 16, v4
	s_waitcnt lgkmcnt(0)
	v_and_b32_e32 v25, 0xffff, v11
	v_lshrrev_b32_e32 v26, 16, v11
	v_lshrrev_b32_e32 v74, 16, v12
	v_and_b32_e32 v75, 0xffff, v12
	;;#ASMSTART
	v_cvt_f32_f16 v11, v25;
	;;#ASMEND
	;;#ASMSTART
	v_cvt_f32_f16 v12, v26;
	;;#ASMEND
	;; [unrolled: 3-line block ×8, first 2 shown]
	ds_read_b64 v[9:10], v39 offset:96
	v_fmac_f32_e32 v19, v11, v25
	v_fmac_f32_e32 v30, v12, v26
	;; [unrolled: 1-line block ×3, first 2 shown]
	v_and_b32_e32 v11, 0xffff, v4
	v_fmac_f32_e32 v29, v74, v76
	s_waitcnt lgkmcnt(0)
	v_and_b32_e32 v17, 0xffff, v9
	v_lshrrev_b32_e32 v18, 16, v9
	v_lshrrev_b32_e32 v21, 16, v10
	v_and_b32_e32 v20, 0xffff, v10
	;;#ASMSTART
	v_cvt_f32_f16 v9, v17;
	;;#ASMEND
	;;#ASMSTART
	v_cvt_f32_f16 v10, v18;
	;;#ASMEND
	;; [unrolled: 3-line block ×8, first 2 shown]
	ds_read_b64 v[7:8], v39 offset:104
	v_fmac_f32_e32 v19, v9, v17
	v_fmac_f32_e32 v30, v10, v18
	;; [unrolled: 1-line block ×4, first 2 shown]
	s_waitcnt lgkmcnt(0)
	v_and_b32_e32 v3, 0xffff, v7
	v_lshrrev_b32_e32 v4, 16, v7
	v_lshrrev_b32_e32 v9, 16, v8
	v_and_b32_e32 v10, 0xffff, v8
	;;#ASMSTART
	v_cvt_f32_f16 v3, v3;
	;;#ASMEND
	;;#ASMSTART
	v_cvt_f32_f16 v4, v4;
	;;#ASMEND
	;;#ASMSTART
	v_cvt_f32_f16 v7, v15;
	;;#ASMEND
	;;#ASMSTART
	v_cvt_f32_f16 v8, v24;
	;;#ASMEND
	v_fmac_f32_e32 v19, v3, v7
	v_fmac_f32_e32 v30, v4, v8
	;;#ASMSTART
	v_cvt_f32_f16 v3, v10;
	;;#ASMEND
	;;#ASMSTART
	v_cvt_f32_f16 v4, v9;
	;;#ASMEND
	;; [unrolled: 3-line block ×3, first 2 shown]
	v_fmac_f32_e32 v54, v3, v7
	v_add_f32_e32 v3, v19, v30
	;;#ASMSTART
	v_cvt_f32_f16 v7, v13;
	;;#ASMEND
	v_fmac_f32_e32 v29, v4, v7
	v_cndmask_b32_e64 v4, v35, v44, s2
	v_add_f32_e32 v3, v3, v54
	v_lshlrev_b32_e32 v4, 2, v4
	v_add_f32_e32 v3, v29, v3
	ds_bpermute_b32 v4, v4, v3
	s_and_saveexec_b32 s3, vcc_lo
	s_cbranch_execz .LBB103_9
; %bb.11:                               ;   in Loop: Header=BB103_10 Depth=1
	v_add_nc_u32_e32 v7, s4, v40
	s_waitcnt lgkmcnt(0)
	v_add_f32_e32 v3, v3, v4
	v_cmp_gt_i32_e64 s2, s23, v40
	v_cvt_f32_i32_e32 v7, v7
	v_mul_f32_e32 v7, s34, v7
	v_cndmask_b32_e64 v4, 0, v7, s1
	v_max_f32_e32 v7, v38, v38
	v_fmac_f32_e32 v4, s31, v3
	v_max_f32_e32 v3, v7, v4
	v_cndmask_b32_e64 v4, 0, v4, s2
	v_cndmask_b32_e64 v38, v38, v3, s2
	ds_write_b32 v41, v4
	s_branch .LBB103_9
.LBB103_12:
	s_or_b32 exec_lo, exec_lo, s5
.LBB103_13:
	s_or_b32 exec_lo, exec_lo, s35
	v_xor_b32_e32 v1, 16, v35
	v_xor_b32_e32 v2, 8, v35
	s_waitcnt lgkmcnt(0)
	v_max_f32_e32 v4, v38, v38
	v_and_b32_e32 v10, 31, v0
	v_lshlrev_b32_e32 v9, 2, v33
	v_cmp_lt_i32_e32 vcc_lo, v1, v37
	v_cndmask_b32_e32 v1, v35, v1, vcc_lo
	v_cmp_lt_i32_e32 vcc_lo, v2, v37
	v_lshlrev_b32_e32 v3, 2, v1
	v_cndmask_b32_e32 v2, v35, v2, vcc_lo
	ds_bpermute_b32 v1, v3, v38
	v_lshlrev_b32_e32 v7, 2, v2
	s_waitcnt lgkmcnt(0)
	v_max_f32_e32 v1, v1, v1
	v_max_f32_e32 v1, v4, v1
	v_xor_b32_e32 v4, 4, v35
	ds_bpermute_b32 v2, v7, v1
	v_cmp_lt_i32_e32 vcc_lo, v4, v37
	v_cndmask_b32_e32 v4, v35, v4, vcc_lo
	v_lshlrev_b32_e32 v8, 2, v4
	v_xor_b32_e32 v4, 2, v35
	v_cmp_lt_i32_e32 vcc_lo, v4, v37
	s_waitcnt lgkmcnt(0)
	v_max_f32_e32 v2, v2, v2
	v_cndmask_b32_e32 v4, v35, v4, vcc_lo
	v_cmp_eq_u32_e32 vcc_lo, 0, v10
	v_max_f32_e32 v1, v1, v2
	ds_bpermute_b32 v2, v8, v1
	s_waitcnt lgkmcnt(0)
	v_max_f32_e32 v2, v2, v2
	v_max_f32_e32 v1, v1, v2
	v_lshlrev_b32_e32 v2, 2, v4
	ds_bpermute_b32 v4, v2, v1
	s_and_saveexec_b32 s1, vcc_lo
	s_cbranch_execz .LBB103_15
; %bb.14:
	s_waitcnt lgkmcnt(0)
	v_max_f32_e32 v4, v4, v4
	v_max_f32_e32 v1, v1, v1
	;; [unrolled: 1-line block ×3, first 2 shown]
	ds_write_b32 v9, v1 offset:224
.LBB103_15:
	s_or_b32 exec_lo, exec_lo, s1
	v_cmp_gt_u32_e64 s1, 4, v10
	v_mov_b32_e32 v1, 0xff7fffff
	v_lshlrev_b32_e32 v12, 2, v10
	s_waitcnt lgkmcnt(0)
	s_barrier
	buffer_gl0_inv
	s_and_saveexec_b32 s2, s1
; %bb.16:
	ds_read_b32 v1, v12 offset:224
; %bb.17:
	s_or_b32 exec_lo, exec_lo, s2
	s_waitcnt lgkmcnt(0)
	ds_bpermute_b32 v4, v2, v1
	v_xor_b32_e32 v11, 1, v35
	v_max_f32_e32 v1, v1, v1
	v_mov_b32_e32 v13, 0
	v_cmp_lt_i32_e64 s2, v11, v37
	v_cndmask_b32_e64 v11, v35, v11, s2
	s_sub_i32 s2, s11, s30
	s_lshl_b32 s2, s2, 4
	v_lshlrev_b32_e32 v11, 2, v11
	s_add_i32 s2, s2, s33
	s_min_i32 s2, s2, s23
	s_waitcnt lgkmcnt(0)
	v_max_f32_e32 v4, v4, v4
	s_sub_i32 s4, s2, s33
	v_cmp_gt_i32_e64 s2, s4, v0
	v_max_f32_e32 v1, v1, v4
	ds_bpermute_b32 v4, v11, v1
	s_waitcnt lgkmcnt(0)
	v_max_f32_e32 v4, v4, v4
	v_max_f32_e32 v1, v1, v4
	v_lshlrev_b32_e32 v4, 2, v36
	ds_bpermute_b32 v1, v4, v1
	v_lshl_add_u32 v4, v0, 2, 0x100
	s_and_saveexec_b32 s5, s2
	s_cbranch_execz .LBB103_21
; %bb.18:
	v_lshl_add_u32 v14, v0, 2, 0x100
	v_mov_b32_e32 v13, 0
	v_mov_b32_e32 v15, v0
	s_mov_b32 s15, 0
	.p2align	6
.LBB103_19:                             ; =>This Inner Loop Header: Depth=1
	ds_read_b32 v16, v14
	v_add_nc_u32_e32 v15, 0x80, v15
	v_cmp_le_i32_e64 s3, s4, v15
	s_or_b32 s15, s3, s15
	s_waitcnt lgkmcnt(0)
	v_sub_f32_e32 v16, v16, v1
	v_mul_f32_e32 v16, 0x3fb8aa3b, v16
	v_exp_f32_e32 v16, v16
	ds_write_b32 v14, v16
	v_add_f32_e32 v13, v13, v16
	v_add_nc_u32_e32 v14, 0x200, v14
	s_andn2_b32 exec_lo, exec_lo, s15
	s_cbranch_execnz .LBB103_19
; %bb.20:
	s_or_b32 exec_lo, exec_lo, s15
.LBB103_21:
	s_or_b32 exec_lo, exec_lo, s5
	ds_bpermute_b32 v3, v3, v13
	s_waitcnt lgkmcnt(0)
	v_add_f32_e32 v3, v13, v3
	ds_bpermute_b32 v7, v7, v3
	s_waitcnt lgkmcnt(0)
	v_add_f32_e32 v3, v3, v7
	;; [unrolled: 3-line block ×5, first 2 shown]
	s_and_saveexec_b32 s3, vcc_lo
; %bb.22:
	ds_write_b32 v9, v3 offset:240
; %bb.23:
	s_or_b32 exec_lo, exec_lo, s3
	s_waitcnt lgkmcnt(0)
	s_barrier
	buffer_gl0_inv
	s_and_saveexec_b32 s3, s1
; %bb.24:
	ds_read_b32 v3, v12 offset:240
; %bb.25:
	s_or_b32 exec_lo, exec_lo, s3
	s_waitcnt lgkmcnt(0)
	ds_bpermute_b32 v2, v2, v3
	v_lshlrev_b32_e32 v7, 2, v35
	s_waitcnt lgkmcnt(0)
	v_add_f32_e32 v2, v3, v2
	ds_bpermute_b32 v3, v11, v2
	s_waitcnt lgkmcnt(0)
	v_add_f32_e32 v2, v2, v3
	v_and_b32_e32 v3, 0xffffff80, v7
	ds_bpermute_b32 v2, v3, v2
	s_and_saveexec_b32 s1, s2
	s_cbranch_execz .LBB103_28
; %bb.26:
	s_waitcnt lgkmcnt(0)
	v_add_f32_e32 v3, 0x358637bd, v2
	s_mov_b32 s2, 0
	v_div_scale_f32 v7, null, v3, v3, 1.0
	v_div_scale_f32 v12, vcc_lo, 1.0, v3, 1.0
	v_rcp_f32_e32 v8, v7
	v_fma_f32 v9, -v7, v8, 1.0
	v_fmac_f32_e32 v8, v9, v8
	v_mul_f32_e32 v9, v12, v8
	v_fma_f32 v13, -v7, v9, v12
	v_fmac_f32_e32 v9, v13, v8
	v_fma_f32 v7, -v7, v9, v12
	v_div_fmas_f32 v7, v7, v8, v9
	v_div_fixup_f32 v3, v7, v3, 1.0
	v_mov_b32_e32 v7, v0
.LBB103_27:                             ; =>This Inner Loop Header: Depth=1
	ds_read_b32 v8, v4
	v_add_nc_u32_e32 v7, 0x80, v7
	v_cmp_le_i32_e32 vcc_lo, s4, v7
	s_or_b32 s2, vcc_lo, s2
	s_waitcnt lgkmcnt(0)
	v_mul_f32_e32 v8, v3, v8
	ds_write_b32 v4, v8
	v_add_nc_u32_e32 v4, 0x200, v4
	s_andn2_b32 exec_lo, exec_lo, s2
	s_cbranch_execnz .LBB103_27
.LBB103_28:
	s_or_b32 exec_lo, exec_lo, s1
	s_mul_i32 s1, s7, s22
	s_waitcnt lgkmcnt(0)
	s_mul_i32 s2, s1, s9
	s_mov_b32 s1, exec_lo
	s_barrier
	buffer_gl0_inv
	v_cmpx_eq_u32_e32 0, v0
	s_cbranch_execz .LBB103_30
; %bb.29:
	s_ashr_i32 s3, s2, 31
	s_mul_i32 s30, s7, s6
	s_lshl_b64 s[4:5], s[2:3], 2
	v_mov_b32_e32 v3, 0
	s_add_u32 s3, s18, s4
	s_addc_u32 s6, s19, s5
	s_ashr_i32 s31, s30, 31
	s_lshl_b64 s[18:19], s[30:31], 2
	s_add_u32 s3, s3, s18
	s_addc_u32 s6, s6, s19
	s_ashr_i32 s9, s8, 31
	s_lshl_b64 s[30:31], s[8:9], 2
	s_add_u32 s34, s3, s30
	s_addc_u32 s35, s6, s31
	s_add_u32 s3, s16, s4
	s_addc_u32 s4, s17, s5
	;; [unrolled: 2-line block ×4, first 2 shown]
	global_store_dword v3, v1, s[34:35]
	global_store_dword v3, v2, s[4:5]
.LBB103_30:
	s_or_b32 exec_lo, exec_lo, s1
	v_mov_b32_e32 v17, 0
	v_mov_b32_e32 v18, 0
	;; [unrolled: 1-line block ×7, first 2 shown]
	s_and_saveexec_b32 s3, s0
	s_cbranch_execz .LBB103_48
; %bb.31:
	v_lshlrev_b32_e32 v2, 4, v0
	s_ashr_i32 s15, s14, 31
	v_and_b32_e32 v1, 8, v34
	v_lshl_add_u32 v4, v33, 4, s33
	s_lshl_b64 s[0:1], s[14:15], 1
	v_and_b32_e32 v2, 0x1f0, v2
	s_add_u32 s0, s28, s0
	v_lshlrev_b32_e32 v3, 5, v32
	s_addc_u32 s1, s29, s1
	v_add3_u32 v22, v4, v1, 7
	v_add_co_u32 v20, s0, s0, v2
	v_lshlrev_b64 v[1:2], 2, v[5:6]
	v_add_co_ci_u32_e64 v21, null, s1, 0, s0
	s_lshl_b64 s[0:1], s[26:27], 2
	s_add_i32 s12, s12, -1
	v_lshl_or_b32 v3, v33, 6, v3
	s_add_u32 s0, s24, s0
	s_addc_u32 s1, s25, s1
	v_add_co_u32 v6, vcc_lo, s0, v1
	v_mov_b32_e32 v19, 0
	v_add_nc_u32_e32 v23, 0x100, v3
	v_add_co_ci_u32_e64 v7, null, s1, v2, vcc_lo
	v_mov_b32_e32 v12, 0
	v_mov_b32_e32 v13, 0
	;; [unrolled: 1-line block ×7, first 2 shown]
	s_mov_b32 s5, s13
	s_mov_b32 s4, 0
	s_branch .LBB103_33
.LBB103_32:                             ;   in Loop: Header=BB103_33 Depth=1
	s_or_b32 exec_lo, exec_lo, s1
	v_lshlrev_b32_e32 v26, 16, v48
	v_lshlrev_b32_e32 v9, 16, v9
	;; [unrolled: 1-line block ×3, first 2 shown]
	v_add_f32_e32 v24, v49, v50
	v_add_nc_u32_e32 v5, 4, v5
	v_and_or_b32 v1, 0xffff, v1, v26
	v_and_or_b32 v2, 0xffff, v2, v9
	;; [unrolled: 1-line block ×3, first 2 shown]
	;;#ASMSTART
	v_pk_mul_f16 v1, v35, v1;

	;;#ASMEND
	;;#ASMSTART
	v_pk_mul_f16 v2, v34, v2;

	;;#ASMEND
	;; [unrolled: 4-line block ×4, first 2 shown]
	;;#ASMSTART
	v_pk_add_f16 v1, v1, v2;

	;;#ASMEND
	;;#ASMSTART
	v_pk_add_f16 v1, v1, v3;

	;;#ASMEND
	;; [unrolled: 4-line block ×3, first 2 shown]
	v_and_b32_e32 v4, 0xffff, v1
	v_lshrrev_b32_e32 v8, 16, v1
	;;#ASMSTART
	v_cvt_f32_f16 v4, v4;
	;;#ASMEND
	v_add_f32_e32 v25, v46, v47
	v_add_f32_e32 v13, v13, v24
	;; [unrolled: 1-line block ×6, first 2 shown]
	;;#ASMSTART
	v_cvt_f32_f16 v8, v8;
	;;#ASMEND
	v_add_f32_e32 v4, v4, v8
	v_cmp_le_i32_e32 vcc_lo, s11, v5
	v_add_co_u32 v6, s0, v6, 16
	v_add_f32_e32 v14, v14, v25
	v_add_f32_e32 v15, v15, v24
	;; [unrolled: 1-line block ×6, first 2 shown]
	v_add_nc_u32_e32 v22, 64, v22
	v_add_nc_u32_e32 v23, 0x100, v23
	v_add_co_ci_u32_e64 v7, null, 0, v7, s0
	s_or_b32 s4, vcc_lo, s4
	s_andn2_b32 exec_lo, exec_lo, s4
	s_cbranch_execz .LBB103_47
.LBB103_33:                             ; =>This Inner Loop Header: Depth=1
	global_load_dword v8, v[6:7], off
	ds_read2_b64 v[1:4], v23 offset1:1
	ds_read2_b64 v[24:27], v23 offset0:2 offset1:3
	v_add_nc_u32_e32 v28, -7, v22
	v_cmp_eq_u32_e64 s0, s12, v5
	v_add_nc_u32_e32 v30, -6, v22
	v_add_nc_u32_e32 v29, -1, v22
	s_waitcnt lgkmcnt(1)
	;;#ASMSTART
	v_cvt_f16_f32 v35, v1;

	;;#ASMEND
	;;#ASMSTART
	v_cvt_f16_f32 v34, v2;

	;;#ASMEND
	;; [unrolled: 4-line block ×4, first 2 shown]
	s_waitcnt lgkmcnt(0)
	;;#ASMSTART
	v_cvt_f16_f32 v41, v24;

	;;#ASMEND
	;;#ASMSTART
	v_cvt_f16_f32 v36, v25;

	;;#ASMEND
	;; [unrolled: 4-line block ×4, first 2 shown]
	v_add_nc_u32_e32 v27, -5, v22
	v_add_nc_u32_e32 v26, -4, v22
	;; [unrolled: 1-line block ×4, first 2 shown]
	s_waitcnt vmcnt(0)
	v_mad_i64_i32 v[8:9], null, v8, s5, 0
	v_lshlrev_b64 v[8:9], 1, v[8:9]
	v_add_co_u32 v8, vcc_lo, v20, v8
	v_add_co_ci_u32_e64 v9, null, v21, v9, vcc_lo
	global_load_dwordx4 v[1:4], v[8:9], off
	s_waitcnt vmcnt(0)
	v_lshrrev_b32_e32 v44, 16, v1
	v_lshrrev_b32_e32 v43, 16, v2
	;; [unrolled: 1-line block ×3, first 2 shown]
	s_and_saveexec_b32 s6, s0
	s_cbranch_execz .LBB103_35
; %bb.34:                               ;   in Loop: Header=BB103_33 Depth=1
	v_cmp_gt_i32_e32 vcc_lo, s23, v28
	v_and_b32_e32 v45, 0xffff0000, v4
	v_cmp_gt_i32_e64 s1, s23, v27
	v_cndmask_b32_e32 v1, 0, v1, vcc_lo
	v_cmp_gt_i32_e32 vcc_lo, s23, v30
	v_cndmask_b32_e64 v2, 0, v2, s1
	v_cmp_gt_i32_e64 s1, s23, v26
	v_cndmask_b32_e32 v44, 0, v44, vcc_lo
	v_cmp_gt_i32_e32 vcc_lo, s23, v29
	v_cndmask_b32_e64 v43, 0, v43, s1
	v_cndmask_b32_sdwa v4, v19, v4, vcc_lo dst_sel:DWORD dst_unused:UNUSED_PAD src0_sel:DWORD src1_sel:WORD_0
	v_cmp_gt_i32_e32 vcc_lo, s23, v22
	v_cndmask_b32_e32 v45, 0, v45, vcc_lo
	v_cmp_gt_i32_e32 vcc_lo, s23, v25
	v_or_b32_e32 v4, v4, v45
	v_cndmask_b32_e32 v3, 0, v3, vcc_lo
	v_cmp_gt_i32_e32 vcc_lo, s23, v24
	v_cndmask_b32_e32 v42, 0, v42, vcc_lo
.LBB103_35:                             ;   in Loop: Header=BB103_33 Depth=1
	s_or_b32 exec_lo, exec_lo, s6
	v_and_b32_e32 v35, 0xffff, v35
	v_and_b32_e32 v40, 0xffff, v40
	v_lshlrev_b32_e32 v44, 16, v44
	v_and_b32_e32 v41, 0xffff, v41
	v_and_b32_e32 v39, 0xffff, v39
	v_lshl_or_b32 v35, v34, 16, v35
	v_lshl_or_b32 v34, v38, 16, v40
	v_lshlrev_b32_e32 v38, 16, v43
	v_lshlrev_b32_e32 v40, 16, v42
	v_and_or_b32 v1, 0xffff, v1, v44
	;;#ASMSTART
	v_pk_mul_f16 v1, v35, v1;

	;;#ASMEND
	v_lshl_or_b32 v36, v36, 16, v41
	v_and_or_b32 v2, 0xffff, v2, v38
	v_and_or_b32 v3, 0xffff, v3, v40
	v_lshl_or_b32 v37, v37, 16, v39
	;;#ASMSTART
	v_pk_mul_f16 v2, v34, v2;

	;;#ASMEND
	;;#ASMSTART
	v_pk_mul_f16 v3, v36, v3;

	;;#ASMEND
	;;#ASMSTART
	v_pk_mul_f16 v4, v37, v4;

	;;#ASMEND
	;;#ASMSTART
	v_pk_add_f16 v1, v1, v2;

	;;#ASMEND
	;;#ASMSTART
	v_pk_add_f16 v1, v1, v3;

	;;#ASMEND
	;; [unrolled: 4-line block ×3, first 2 shown]
	v_and_b32_e32 v2, 0xffff, v1
	v_lshrrev_b32_e32 v1, 16, v1
	;;#ASMSTART
	v_cvt_f32_f16 v38, v2;
	;;#ASMEND
	;;#ASMSTART
	v_cvt_f32_f16 v39, v1;
	;;#ASMEND
	global_load_dwordx4 v[1:4], v[8:9], off offset:512
	s_waitcnt vmcnt(0)
	v_lshrrev_b32_e32 v42, 16, v1
	v_lshrrev_b32_e32 v41, 16, v2
	;; [unrolled: 1-line block ×3, first 2 shown]
	s_and_saveexec_b32 s6, s0
	s_cbranch_execz .LBB103_37
; %bb.36:                               ;   in Loop: Header=BB103_33 Depth=1
	v_cmp_gt_i32_e32 vcc_lo, s23, v28
	v_and_b32_e32 v43, 0xffff0000, v4
	v_cmp_gt_i32_e64 s1, s23, v27
	v_cndmask_b32_e32 v1, 0, v1, vcc_lo
	v_cmp_gt_i32_e32 vcc_lo, s23, v30
	v_cndmask_b32_e64 v2, 0, v2, s1
	v_cmp_gt_i32_e64 s1, s23, v26
	v_cndmask_b32_e32 v42, 0, v42, vcc_lo
	v_cmp_gt_i32_e32 vcc_lo, s23, v29
	v_cndmask_b32_e64 v41, 0, v41, s1
	v_cndmask_b32_sdwa v4, v19, v4, vcc_lo dst_sel:DWORD dst_unused:UNUSED_PAD src0_sel:DWORD src1_sel:WORD_0
	v_cmp_gt_i32_e32 vcc_lo, s23, v22
	v_cndmask_b32_e32 v43, 0, v43, vcc_lo
	v_cmp_gt_i32_e32 vcc_lo, s23, v25
	v_or_b32_e32 v4, v4, v43
	v_cndmask_b32_e32 v3, 0, v3, vcc_lo
	v_cmp_gt_i32_e32 vcc_lo, s23, v24
	v_cndmask_b32_e32 v40, 0, v40, vcc_lo
.LBB103_37:                             ;   in Loop: Header=BB103_33 Depth=1
	s_or_b32 exec_lo, exec_lo, s6
	v_lshlrev_b32_e32 v42, 16, v42
	v_lshlrev_b32_e32 v41, 16, v41
	;; [unrolled: 1-line block ×3, first 2 shown]
	v_and_or_b32 v1, 0xffff, v1, v42
	v_and_or_b32 v2, 0xffff, v2, v41
	;; [unrolled: 1-line block ×3, first 2 shown]
	;;#ASMSTART
	v_pk_mul_f16 v1, v35, v1;

	;;#ASMEND
	;;#ASMSTART
	v_pk_mul_f16 v2, v34, v2;

	;;#ASMEND
	;; [unrolled: 4-line block ×4, first 2 shown]
	;;#ASMSTART
	v_pk_add_f16 v1, v1, v2;

	;;#ASMEND
	;;#ASMSTART
	v_pk_add_f16 v1, v1, v3;

	;;#ASMEND
	;; [unrolled: 4-line block ×3, first 2 shown]
	v_and_b32_e32 v2, 0xffff, v1
	v_lshrrev_b32_e32 v1, 16, v1
	;;#ASMSTART
	v_cvt_f32_f16 v40, v2;
	;;#ASMEND
	;;#ASMSTART
	v_cvt_f32_f16 v41, v1;
	;;#ASMEND
	global_load_dwordx4 v[1:4], v[8:9], off offset:1024
	s_waitcnt vmcnt(0)
	v_lshrrev_b32_e32 v44, 16, v1
	v_lshrrev_b32_e32 v43, 16, v2
	;; [unrolled: 1-line block ×3, first 2 shown]
	s_and_saveexec_b32 s6, s0
	s_cbranch_execz .LBB103_39
; %bb.38:                               ;   in Loop: Header=BB103_33 Depth=1
	v_cmp_gt_i32_e32 vcc_lo, s23, v28
	v_and_b32_e32 v45, 0xffff0000, v4
	v_cmp_gt_i32_e64 s1, s23, v27
	v_cndmask_b32_e32 v1, 0, v1, vcc_lo
	v_cmp_gt_i32_e32 vcc_lo, s23, v30
	v_cndmask_b32_e64 v2, 0, v2, s1
	v_cmp_gt_i32_e64 s1, s23, v26
	v_cndmask_b32_e32 v44, 0, v44, vcc_lo
	v_cmp_gt_i32_e32 vcc_lo, s23, v29
	v_cndmask_b32_e64 v43, 0, v43, s1
	v_cndmask_b32_sdwa v4, v19, v4, vcc_lo dst_sel:DWORD dst_unused:UNUSED_PAD src0_sel:DWORD src1_sel:WORD_0
	v_cmp_gt_i32_e32 vcc_lo, s23, v22
	v_cndmask_b32_e32 v45, 0, v45, vcc_lo
	v_cmp_gt_i32_e32 vcc_lo, s23, v25
	v_or_b32_e32 v4, v4, v45
	v_cndmask_b32_e32 v3, 0, v3, vcc_lo
	v_cmp_gt_i32_e32 vcc_lo, s23, v24
	v_cndmask_b32_e32 v42, 0, v42, vcc_lo
.LBB103_39:                             ;   in Loop: Header=BB103_33 Depth=1
	s_or_b32 exec_lo, exec_lo, s6
	v_lshlrev_b32_e32 v44, 16, v44
	v_lshlrev_b32_e32 v43, 16, v43
	;; [unrolled: 1-line block ×3, first 2 shown]
	v_and_or_b32 v1, 0xffff, v1, v44
	v_and_or_b32 v2, 0xffff, v2, v43
	;; [unrolled: 1-line block ×3, first 2 shown]
	;;#ASMSTART
	v_pk_mul_f16 v1, v35, v1;

	;;#ASMEND
	;;#ASMSTART
	v_pk_mul_f16 v2, v34, v2;

	;;#ASMEND
	;; [unrolled: 4-line block ×4, first 2 shown]
	;;#ASMSTART
	v_pk_add_f16 v1, v1, v2;

	;;#ASMEND
	;;#ASMSTART
	v_pk_add_f16 v1, v1, v3;

	;;#ASMEND
	;; [unrolled: 4-line block ×3, first 2 shown]
	v_and_b32_e32 v2, 0xffff, v1
	v_lshrrev_b32_e32 v1, 16, v1
	;;#ASMSTART
	v_cvt_f32_f16 v42, v2;
	;;#ASMEND
	;;#ASMSTART
	v_cvt_f32_f16 v43, v1;
	;;#ASMEND
	global_load_dwordx4 v[1:4], v[8:9], off offset:1536
	s_waitcnt vmcnt(0)
	v_lshrrev_b32_e32 v46, 16, v1
	v_lshrrev_b32_e32 v45, 16, v2
	;; [unrolled: 1-line block ×3, first 2 shown]
	s_and_saveexec_b32 s6, s0
	s_cbranch_execz .LBB103_41
; %bb.40:                               ;   in Loop: Header=BB103_33 Depth=1
	v_cmp_gt_i32_e32 vcc_lo, s23, v28
	v_and_b32_e32 v47, 0xffff0000, v4
	v_cmp_gt_i32_e64 s1, s23, v27
	v_cndmask_b32_e32 v1, 0, v1, vcc_lo
	v_cmp_gt_i32_e32 vcc_lo, s23, v30
	v_cndmask_b32_e64 v2, 0, v2, s1
	v_cmp_gt_i32_e64 s1, s23, v26
	v_cndmask_b32_e32 v46, 0, v46, vcc_lo
	v_cmp_gt_i32_e32 vcc_lo, s23, v29
	v_cndmask_b32_e64 v45, 0, v45, s1
	v_cndmask_b32_sdwa v4, v19, v4, vcc_lo dst_sel:DWORD dst_unused:UNUSED_PAD src0_sel:DWORD src1_sel:WORD_0
	v_cmp_gt_i32_e32 vcc_lo, s23, v22
	v_cndmask_b32_e32 v47, 0, v47, vcc_lo
	v_cmp_gt_i32_e32 vcc_lo, s23, v25
	v_or_b32_e32 v4, v4, v47
	v_cndmask_b32_e32 v3, 0, v3, vcc_lo
	v_cmp_gt_i32_e32 vcc_lo, s23, v24
	v_cndmask_b32_e32 v44, 0, v44, vcc_lo
.LBB103_41:                             ;   in Loop: Header=BB103_33 Depth=1
	s_or_b32 exec_lo, exec_lo, s6
	v_lshlrev_b32_e32 v46, 16, v46
	v_lshlrev_b32_e32 v45, 16, v45
	;; [unrolled: 1-line block ×3, first 2 shown]
	v_add_co_u32 v8, vcc_lo, 0x800, v8
	v_and_or_b32 v1, 0xffff, v1, v46
	v_and_or_b32 v2, 0xffff, v2, v45
	;; [unrolled: 1-line block ×3, first 2 shown]
	;;#ASMSTART
	v_pk_mul_f16 v1, v35, v1;

	;;#ASMEND
	v_add_co_ci_u32_e64 v9, null, 0, v9, vcc_lo
	;;#ASMSTART
	v_pk_mul_f16 v2, v34, v2;

	;;#ASMEND
	;;#ASMSTART
	v_pk_mul_f16 v3, v36, v3;

	;;#ASMEND
	;; [unrolled: 4-line block ×3, first 2 shown]
	;;#ASMSTART
	v_pk_add_f16 v1, v1, v2;

	;;#ASMEND
	;;#ASMSTART
	v_pk_add_f16 v1, v1, v3;

	;;#ASMEND
	;; [unrolled: 4-line block ×3, first 2 shown]
	v_lshrrev_b32_e32 v2, 16, v1
	v_and_b32_e32 v1, 0xffff, v1
	;;#ASMSTART
	v_cvt_f32_f16 v44, v1;
	;;#ASMEND
	;;#ASMSTART
	v_cvt_f32_f16 v45, v2;
	;;#ASMEND
	global_load_dwordx4 v[1:4], v[8:9], off
	s_waitcnt vmcnt(0)
	v_lshrrev_b32_e32 v48, 16, v1
	v_lshrrev_b32_e32 v47, 16, v2
	;; [unrolled: 1-line block ×3, first 2 shown]
	s_and_saveexec_b32 s6, s0
	s_cbranch_execz .LBB103_43
; %bb.42:                               ;   in Loop: Header=BB103_33 Depth=1
	v_cmp_gt_i32_e32 vcc_lo, s23, v28
	v_and_b32_e32 v49, 0xffff0000, v4
	v_cmp_gt_i32_e64 s1, s23, v27
	v_cndmask_b32_e32 v1, 0, v1, vcc_lo
	v_cmp_gt_i32_e32 vcc_lo, s23, v30
	v_cndmask_b32_e64 v2, 0, v2, s1
	v_cmp_gt_i32_e64 s1, s23, v26
	v_cndmask_b32_e32 v48, 0, v48, vcc_lo
	v_cmp_gt_i32_e32 vcc_lo, s23, v29
	v_cndmask_b32_e64 v47, 0, v47, s1
	v_cndmask_b32_sdwa v4, v19, v4, vcc_lo dst_sel:DWORD dst_unused:UNUSED_PAD src0_sel:DWORD src1_sel:WORD_0
	v_cmp_gt_i32_e32 vcc_lo, s23, v22
	v_cndmask_b32_e32 v49, 0, v49, vcc_lo
	v_cmp_gt_i32_e32 vcc_lo, s23, v25
	v_or_b32_e32 v4, v4, v49
	v_cndmask_b32_e32 v3, 0, v3, vcc_lo
	v_cmp_gt_i32_e32 vcc_lo, s23, v24
	v_cndmask_b32_e32 v46, 0, v46, vcc_lo
.LBB103_43:                             ;   in Loop: Header=BB103_33 Depth=1
	s_or_b32 exec_lo, exec_lo, s6
	v_lshlrev_b32_e32 v48, 16, v48
	v_lshlrev_b32_e32 v47, 16, v47
	;; [unrolled: 1-line block ×3, first 2 shown]
	v_and_or_b32 v1, 0xffff, v1, v48
	v_and_or_b32 v2, 0xffff, v2, v47
	;; [unrolled: 1-line block ×3, first 2 shown]
	;;#ASMSTART
	v_pk_mul_f16 v1, v35, v1;

	;;#ASMEND
	;;#ASMSTART
	v_pk_mul_f16 v2, v34, v2;

	;;#ASMEND
	;; [unrolled: 4-line block ×4, first 2 shown]
	;;#ASMSTART
	v_pk_add_f16 v1, v1, v2;

	;;#ASMEND
	;;#ASMSTART
	v_pk_add_f16 v1, v1, v3;

	;;#ASMEND
	;; [unrolled: 4-line block ×3, first 2 shown]
	v_and_b32_e32 v2, 0xffff, v1
	v_lshrrev_b32_e32 v1, 16, v1
	;;#ASMSTART
	v_cvt_f32_f16 v46, v2;
	;;#ASMEND
	;;#ASMSTART
	v_cvt_f32_f16 v47, v1;
	;;#ASMEND
	global_load_dwordx4 v[1:4], v[8:9], off offset:512
	s_waitcnt vmcnt(0)
	v_lshrrev_b32_e32 v50, 16, v1
	v_lshrrev_b32_e32 v49, 16, v2
	;; [unrolled: 1-line block ×3, first 2 shown]
	s_and_saveexec_b32 s6, s0
	s_cbranch_execz .LBB103_45
; %bb.44:                               ;   in Loop: Header=BB103_33 Depth=1
	v_cmp_gt_i32_e32 vcc_lo, s23, v28
	v_and_b32_e32 v51, 0xffff0000, v4
	v_cmp_gt_i32_e64 s1, s23, v27
	v_cndmask_b32_e32 v1, 0, v1, vcc_lo
	v_cmp_gt_i32_e32 vcc_lo, s23, v30
	v_cndmask_b32_e64 v2, 0, v2, s1
	v_cmp_gt_i32_e64 s1, s23, v26
	v_cndmask_b32_e32 v50, 0, v50, vcc_lo
	v_cmp_gt_i32_e32 vcc_lo, s23, v29
	v_cndmask_b32_e64 v49, 0, v49, s1
	v_cndmask_b32_sdwa v4, v19, v4, vcc_lo dst_sel:DWORD dst_unused:UNUSED_PAD src0_sel:DWORD src1_sel:WORD_0
	v_cmp_gt_i32_e32 vcc_lo, s23, v22
	v_cndmask_b32_e32 v51, 0, v51, vcc_lo
	v_cmp_gt_i32_e32 vcc_lo, s23, v25
	v_or_b32_e32 v4, v4, v51
	v_cndmask_b32_e32 v3, 0, v3, vcc_lo
	v_cmp_gt_i32_e32 vcc_lo, s23, v24
	v_cndmask_b32_e32 v48, 0, v48, vcc_lo
.LBB103_45:                             ;   in Loop: Header=BB103_33 Depth=1
	s_or_b32 exec_lo, exec_lo, s6
	v_lshlrev_b32_e32 v50, 16, v50
	v_lshlrev_b32_e32 v49, 16, v49
	v_lshlrev_b32_e32 v48, 16, v48
	v_and_or_b32 v1, 0xffff, v1, v50
	v_and_or_b32 v2, 0xffff, v2, v49
	;; [unrolled: 1-line block ×3, first 2 shown]
	;;#ASMSTART
	v_pk_mul_f16 v1, v35, v1;

	;;#ASMEND
	;;#ASMSTART
	v_pk_mul_f16 v2, v34, v2;

	;;#ASMEND
	;; [unrolled: 4-line block ×4, first 2 shown]
	;;#ASMSTART
	v_pk_add_f16 v1, v1, v2;

	;;#ASMEND
	;;#ASMSTART
	v_pk_add_f16 v1, v1, v3;

	;;#ASMEND
	;; [unrolled: 4-line block ×3, first 2 shown]
	v_and_b32_e32 v2, 0xffff, v1
	v_lshrrev_b32_e32 v1, 16, v1
	;;#ASMSTART
	v_cvt_f32_f16 v49, v2;
	;;#ASMEND
	;;#ASMSTART
	v_cvt_f32_f16 v50, v1;
	;;#ASMEND
	global_load_dwordx4 v[1:4], v[8:9], off offset:1024
	s_waitcnt vmcnt(0)
	v_lshrrev_b32_e32 v48, 16, v1
	v_lshrrev_b32_e32 v9, 16, v2
	;; [unrolled: 1-line block ×3, first 2 shown]
	s_and_saveexec_b32 s1, s0
	s_cbranch_execz .LBB103_32
; %bb.46:                               ;   in Loop: Header=BB103_33 Depth=1
	v_cmp_gt_i32_e32 vcc_lo, s23, v28
	v_cmp_gt_i32_e64 s0, s23, v27
	v_cndmask_b32_e32 v1, 0, v1, vcc_lo
	v_cmp_gt_i32_e32 vcc_lo, s23, v30
	v_cndmask_b32_e64 v2, 0, v2, s0
	v_cmp_gt_i32_e64 s0, s23, v26
	v_and_b32_e32 v26, 0xffff0000, v4
	v_cndmask_b32_e32 v48, 0, v48, vcc_lo
	v_cmp_gt_i32_e32 vcc_lo, s23, v29
	v_cndmask_b32_e64 v9, 0, v9, s0
	v_cndmask_b32_sdwa v4, v19, v4, vcc_lo dst_sel:DWORD dst_unused:UNUSED_PAD src0_sel:DWORD src1_sel:WORD_0
	v_cmp_gt_i32_e32 vcc_lo, s23, v22
	v_cndmask_b32_e32 v26, 0, v26, vcc_lo
	v_cmp_gt_i32_e32 vcc_lo, s23, v25
	v_or_b32_e32 v4, v4, v26
	v_cndmask_b32_e32 v3, 0, v3, vcc_lo
	v_cmp_gt_i32_e32 vcc_lo, s23, v24
	v_cndmask_b32_e32 v8, 0, v8, vcc_lo
	s_branch .LBB103_32
.LBB103_47:
	s_or_b32 exec_lo, exec_lo, s4
.LBB103_48:
	s_or_b32 exec_lo, exec_lo, s3
	ds_bpermute_b32 v1, v11, v17
	ds_bpermute_b32 v2, v11, v18
	;; [unrolled: 1-line block ×7, first 2 shown]
	v_lshrrev_b32_e32 v8, 1, v10
	v_mul_u32_u24_e32 v10, 0x1c0, v33
	v_and_b32_e32 v21, 0x3c1, v0
	s_mov_b32 s0, exec_lo
	s_waitcnt lgkmcnt(0)
	s_waitcnt_vscnt null, 0x0
	v_lshl_add_u32 v9, v8, 2, 0x100
	s_barrier
	buffer_gl0_inv
	v_add_f32_e32 v7, v17, v1
	v_add_f32_e32 v6, v18, v2
	v_add_f32_e32 v5, v16, v3
	v_add_f32_e32 v4, v15, v4
	v_add_f32_e32 v3, v14, v19
	v_add_f32_e32 v2, v13, v20
	v_add_f32_e32 v1, v12, v11
	v_cmpx_eq_u32_e32 64, v21
	s_cbranch_execz .LBB103_50
; %bb.49:
	v_add_nc_u32_e32 v11, v9, v10
	v_add_nc_u32_e32 v12, 0xfffffc80, v11
	;; [unrolled: 1-line block ×8, first 2 shown]
	ds_write_b32 v12, v7
	ds_write_b32 v13, v6
	;; [unrolled: 1-line block ×7, first 2 shown]
.LBB103_50:
	s_or_b32 exec_lo, exec_lo, s0
	v_lshlrev_b32_e32 v8, 2, v8
	s_mov_b32 s1, exec_lo
	v_cmp_eq_u32_e32 vcc_lo, 0, v32
	s_waitcnt lgkmcnt(0)
	s_barrier
	v_add3_u32 v8, 0x100, v10, v8
	buffer_gl0_inv
	v_cmpx_gt_u32_e32 64, v0
	s_cbranch_execz .LBB103_60
; %bb.51:
	s_and_saveexec_b32 s0, vcc_lo
	s_cbranch_execnz .LBB103_75
; %bb.52:
	s_or_b32 exec_lo, exec_lo, s0
	s_and_saveexec_b32 s0, vcc_lo
	s_cbranch_execnz .LBB103_76
.LBB103_53:
	s_or_b32 exec_lo, exec_lo, s0
	s_and_saveexec_b32 s0, vcc_lo
	s_cbranch_execnz .LBB103_77
.LBB103_54:
	s_or_b32 exec_lo, exec_lo, s0
	s_and_saveexec_b32 s0, vcc_lo
	s_cbranch_execnz .LBB103_78
.LBB103_55:
	s_or_b32 exec_lo, exec_lo, s0
	s_and_saveexec_b32 s0, vcc_lo
	s_cbranch_execnz .LBB103_79
.LBB103_56:
	s_or_b32 exec_lo, exec_lo, s0
	s_and_saveexec_b32 s0, vcc_lo
	s_cbranch_execnz .LBB103_80
.LBB103_57:
	s_or_b32 exec_lo, exec_lo, s0
	s_and_saveexec_b32 s0, vcc_lo
	s_cbranch_execz .LBB103_59
.LBB103_58:
	ds_read_b32 v10, v8 offset:384
	s_waitcnt lgkmcnt(0)
	v_add_f32_e32 v1, v1, v10
.LBB103_59:
	s_or_b32 exec_lo, exec_lo, s0
.LBB103_60:
	s_or_b32 exec_lo, exec_lo, s1
	v_and_b32_e32 v10, 0x3e1, v0
	s_mov_b32 s1, exec_lo
	s_barrier
	buffer_gl0_inv
	v_cmpx_eq_u32_e32 32, v10
	s_cbranch_execz .LBB103_62
; %bb.61:
	ds_write2_b32 v9, v7, v6 offset1:16
	ds_write2_b32 v9, v5, v4 offset0:32 offset1:48
	ds_write2_b32 v9, v3, v2 offset0:64 offset1:80
	ds_write_b32 v9, v1 offset:384
.LBB103_62:
	s_or_b32 exec_lo, exec_lo, s1
	s_mov_b32 s1, exec_lo
	s_waitcnt lgkmcnt(0)
	s_barrier
	buffer_gl0_inv
	v_cmpx_gt_u32_e32 32, v0
	s_cbranch_execz .LBB103_72
; %bb.63:
	s_and_saveexec_b32 s0, vcc_lo
	s_cbranch_execnz .LBB103_81
; %bb.64:
	s_or_b32 exec_lo, exec_lo, s0
	s_and_saveexec_b32 s0, vcc_lo
	s_cbranch_execnz .LBB103_82
.LBB103_65:
	s_or_b32 exec_lo, exec_lo, s0
	s_and_saveexec_b32 s0, vcc_lo
	s_cbranch_execnz .LBB103_83
.LBB103_66:
	s_or_b32 exec_lo, exec_lo, s0
	s_and_saveexec_b32 s0, vcc_lo
	s_cbranch_execnz .LBB103_84
.LBB103_67:
	s_or_b32 exec_lo, exec_lo, s0
	s_and_saveexec_b32 s0, vcc_lo
	s_cbranch_execnz .LBB103_85
.LBB103_68:
	s_or_b32 exec_lo, exec_lo, s0
	s_and_saveexec_b32 s0, vcc_lo
	s_cbranch_execnz .LBB103_86
.LBB103_69:
	s_or_b32 exec_lo, exec_lo, s0
	s_and_saveexec_b32 s0, vcc_lo
	s_cbranch_execz .LBB103_71
.LBB103_70:
	ds_read_b32 v0, v8 offset:384
	s_waitcnt lgkmcnt(0)
	v_add_f32_e32 v1, v1, v0
.LBB103_71:
	s_or_b32 exec_lo, exec_lo, s0
.LBB103_72:
	s_or_b32 exec_lo, exec_lo, s1
	s_barrier
	buffer_gl0_inv
	s_mov_b32 s0, exec_lo
	v_cmpx_eq_u32_e32 0, v10
	s_cbranch_execz .LBB103_74
; %bb.73:
	s_mul_i32 s0, s2, 0x70
	s_mul_i32 s2, s7, s10
	s_ashr_i32 s1, s0, 31
	v_lshlrev_b32_e32 v0, 1, v31
	s_lshl_b64 s[0:1], s[0:1], 1
	;;#ASMSTART
	v_cvt_f16_f32 v7, v7;

	;;#ASMEND
	s_add_u32 s4, s20, s0
	s_addc_u32 s5, s21, s1
	s_ashr_i32 s3, s2, 31
	s_lshl_b64 s[0:1], s[2:3], 1
	s_mul_i32 s2, s8, 0x70
	s_add_u32 s4, s4, s0
	s_addc_u32 s5, s5, s1
	s_ashr_i32 s3, s2, 31
	s_lshl_b64 s[0:1], s[2:3], 1
	s_add_u32 s0, s4, s0
	s_addc_u32 s1, s5, s1
	global_store_short v0, v7, s[0:1]
	;;#ASMSTART
	v_cvt_f16_f32 v6, v6;

	;;#ASMEND
	global_store_short v0, v6, s[0:1] offset:32
	;;#ASMSTART
	v_cvt_f16_f32 v5, v5;

	;;#ASMEND
	global_store_short v0, v5, s[0:1] offset:64
	;; [unrolled: 5-line block ×6, first 2 shown]
.LBB103_74:
	s_endpgm
.LBB103_75:
	ds_read_b32 v10, v8
	s_waitcnt lgkmcnt(0)
	v_add_f32_e32 v7, v7, v10
	s_or_b32 exec_lo, exec_lo, s0
	s_and_saveexec_b32 s0, vcc_lo
	s_cbranch_execz .LBB103_53
.LBB103_76:
	ds_read_b32 v10, v8 offset:64
	s_waitcnt lgkmcnt(0)
	v_add_f32_e32 v6, v6, v10
	s_or_b32 exec_lo, exec_lo, s0
	s_and_saveexec_b32 s0, vcc_lo
	s_cbranch_execz .LBB103_54
.LBB103_77:
	ds_read_b32 v10, v8 offset:128
	s_waitcnt lgkmcnt(0)
	v_add_f32_e32 v5, v5, v10
	s_or_b32 exec_lo, exec_lo, s0
	s_and_saveexec_b32 s0, vcc_lo
	s_cbranch_execz .LBB103_55
.LBB103_78:
	ds_read_b32 v10, v8 offset:192
	s_waitcnt lgkmcnt(0)
	v_add_f32_e32 v4, v4, v10
	s_or_b32 exec_lo, exec_lo, s0
	s_and_saveexec_b32 s0, vcc_lo
	s_cbranch_execz .LBB103_56
.LBB103_79:
	ds_read_b32 v10, v8 offset:256
	s_waitcnt lgkmcnt(0)
	v_add_f32_e32 v3, v3, v10
	s_or_b32 exec_lo, exec_lo, s0
	s_and_saveexec_b32 s0, vcc_lo
	s_cbranch_execz .LBB103_57
.LBB103_80:
	ds_read_b32 v10, v8 offset:320
	s_waitcnt lgkmcnt(0)
	v_add_f32_e32 v2, v2, v10
	s_or_b32 exec_lo, exec_lo, s0
	s_and_saveexec_b32 s0, vcc_lo
	s_cbranch_execnz .LBB103_58
	s_branch .LBB103_59
.LBB103_81:
	ds_read_b32 v0, v8
	s_waitcnt lgkmcnt(0)
	v_add_f32_e32 v7, v7, v0
	s_or_b32 exec_lo, exec_lo, s0
	s_and_saveexec_b32 s0, vcc_lo
	s_cbranch_execz .LBB103_65
.LBB103_82:
	ds_read_b32 v0, v8 offset:64
	s_waitcnt lgkmcnt(0)
	v_add_f32_e32 v6, v6, v0
	s_or_b32 exec_lo, exec_lo, s0
	s_and_saveexec_b32 s0, vcc_lo
	s_cbranch_execz .LBB103_66
.LBB103_83:
	ds_read_b32 v0, v8 offset:128
	s_waitcnt lgkmcnt(0)
	v_add_f32_e32 v5, v5, v0
	s_or_b32 exec_lo, exec_lo, s0
	s_and_saveexec_b32 s0, vcc_lo
	s_cbranch_execz .LBB103_67
.LBB103_84:
	ds_read_b32 v0, v8 offset:192
	s_waitcnt lgkmcnt(0)
	v_add_f32_e32 v4, v4, v0
	s_or_b32 exec_lo, exec_lo, s0
	s_and_saveexec_b32 s0, vcc_lo
	s_cbranch_execz .LBB103_68
.LBB103_85:
	ds_read_b32 v0, v8 offset:256
	s_waitcnt lgkmcnt(0)
	v_add_f32_e32 v3, v3, v0
	s_or_b32 exec_lo, exec_lo, s0
	s_and_saveexec_b32 s0, vcc_lo
	s_cbranch_execz .LBB103_69
.LBB103_86:
	ds_read_b32 v0, v8 offset:320
	s_waitcnt lgkmcnt(0)
	v_add_f32_e32 v2, v2, v0
	s_or_b32 exec_lo, exec_lo, s0
	s_and_saveexec_b32 s0, vcc_lo
	s_cbranch_execnz .LBB103_70
	s_branch .LBB103_71
	.section	.rodata,"a",@progbits
	.p2align	6, 0x0
	.amdhsa_kernel _ZN4vllm25paged_attention_v2_kernelIttLi112ELi16ELi128ELNS_18Fp8KVCacheDataTypeE0ELb0ELi512EEEvPfS2_PT_PKS3_PKT0_S9_ifPKiSB_iPKfiiiSD_SD_iiiii
		.amdhsa_group_segment_fixed_size 256
		.amdhsa_private_segment_fixed_size 0
		.amdhsa_kernarg_size 400
		.amdhsa_user_sgpr_count 6
		.amdhsa_user_sgpr_private_segment_buffer 1
		.amdhsa_user_sgpr_dispatch_ptr 0
		.amdhsa_user_sgpr_queue_ptr 0
		.amdhsa_user_sgpr_kernarg_segment_ptr 1
		.amdhsa_user_sgpr_dispatch_id 0
		.amdhsa_user_sgpr_flat_scratch_init 0
		.amdhsa_user_sgpr_private_segment_size 0
		.amdhsa_wavefront_size32 1
		.amdhsa_uses_dynamic_stack 0
		.amdhsa_system_sgpr_private_segment_wavefront_offset 0
		.amdhsa_system_sgpr_workgroup_id_x 1
		.amdhsa_system_sgpr_workgroup_id_y 1
		.amdhsa_system_sgpr_workgroup_id_z 1
		.amdhsa_system_sgpr_workgroup_info 0
		.amdhsa_system_vgpr_workitem_id 0
		.amdhsa_next_free_vgpr 92
		.amdhsa_next_free_sgpr 36
		.amdhsa_reserve_vcc 1
		.amdhsa_reserve_flat_scratch 0
		.amdhsa_float_round_mode_32 0
		.amdhsa_float_round_mode_16_64 0
		.amdhsa_float_denorm_mode_32 3
		.amdhsa_float_denorm_mode_16_64 3
		.amdhsa_dx10_clamp 1
		.amdhsa_ieee_mode 1
		.amdhsa_fp16_overflow 0
		.amdhsa_workgroup_processor_mode 1
		.amdhsa_memory_ordered 1
		.amdhsa_forward_progress 1
		.amdhsa_shared_vgpr_count 0
		.amdhsa_exception_fp_ieee_invalid_op 0
		.amdhsa_exception_fp_denorm_src 0
		.amdhsa_exception_fp_ieee_div_zero 0
		.amdhsa_exception_fp_ieee_overflow 0
		.amdhsa_exception_fp_ieee_underflow 0
		.amdhsa_exception_fp_ieee_inexact 0
		.amdhsa_exception_int_div_zero 0
	.end_amdhsa_kernel
	.section	.text._ZN4vllm25paged_attention_v2_kernelIttLi112ELi16ELi128ELNS_18Fp8KVCacheDataTypeE0ELb0ELi512EEEvPfS2_PT_PKS3_PKT0_S9_ifPKiSB_iPKfiiiSD_SD_iiiii,"axG",@progbits,_ZN4vllm25paged_attention_v2_kernelIttLi112ELi16ELi128ELNS_18Fp8KVCacheDataTypeE0ELb0ELi512EEEvPfS2_PT_PKS3_PKT0_S9_ifPKiSB_iPKfiiiSD_SD_iiiii,comdat
.Lfunc_end103:
	.size	_ZN4vllm25paged_attention_v2_kernelIttLi112ELi16ELi128ELNS_18Fp8KVCacheDataTypeE0ELb0ELi512EEEvPfS2_PT_PKS3_PKT0_S9_ifPKiSB_iPKfiiiSD_SD_iiiii, .Lfunc_end103-_ZN4vllm25paged_attention_v2_kernelIttLi112ELi16ELi128ELNS_18Fp8KVCacheDataTypeE0ELb0ELi512EEEvPfS2_PT_PKS3_PKT0_S9_ifPKiSB_iPKfiiiSD_SD_iiiii
                                        ; -- End function
	.set _ZN4vllm25paged_attention_v2_kernelIttLi112ELi16ELi128ELNS_18Fp8KVCacheDataTypeE0ELb0ELi512EEEvPfS2_PT_PKS3_PKT0_S9_ifPKiSB_iPKfiiiSD_SD_iiiii.num_vgpr, 92
	.set _ZN4vllm25paged_attention_v2_kernelIttLi112ELi16ELi128ELNS_18Fp8KVCacheDataTypeE0ELb0ELi512EEEvPfS2_PT_PKS3_PKT0_S9_ifPKiSB_iPKfiiiSD_SD_iiiii.num_agpr, 0
	.set _ZN4vllm25paged_attention_v2_kernelIttLi112ELi16ELi128ELNS_18Fp8KVCacheDataTypeE0ELb0ELi512EEEvPfS2_PT_PKS3_PKT0_S9_ifPKiSB_iPKfiiiSD_SD_iiiii.numbered_sgpr, 36
	.set _ZN4vllm25paged_attention_v2_kernelIttLi112ELi16ELi128ELNS_18Fp8KVCacheDataTypeE0ELb0ELi512EEEvPfS2_PT_PKS3_PKT0_S9_ifPKiSB_iPKfiiiSD_SD_iiiii.num_named_barrier, 0
	.set _ZN4vllm25paged_attention_v2_kernelIttLi112ELi16ELi128ELNS_18Fp8KVCacheDataTypeE0ELb0ELi512EEEvPfS2_PT_PKS3_PKT0_S9_ifPKiSB_iPKfiiiSD_SD_iiiii.private_seg_size, 0
	.set _ZN4vllm25paged_attention_v2_kernelIttLi112ELi16ELi128ELNS_18Fp8KVCacheDataTypeE0ELb0ELi512EEEvPfS2_PT_PKS3_PKT0_S9_ifPKiSB_iPKfiiiSD_SD_iiiii.uses_vcc, 1
	.set _ZN4vllm25paged_attention_v2_kernelIttLi112ELi16ELi128ELNS_18Fp8KVCacheDataTypeE0ELb0ELi512EEEvPfS2_PT_PKS3_PKT0_S9_ifPKiSB_iPKfiiiSD_SD_iiiii.uses_flat_scratch, 0
	.set _ZN4vllm25paged_attention_v2_kernelIttLi112ELi16ELi128ELNS_18Fp8KVCacheDataTypeE0ELb0ELi512EEEvPfS2_PT_PKS3_PKT0_S9_ifPKiSB_iPKfiiiSD_SD_iiiii.has_dyn_sized_stack, 0
	.set _ZN4vllm25paged_attention_v2_kernelIttLi112ELi16ELi128ELNS_18Fp8KVCacheDataTypeE0ELb0ELi512EEEvPfS2_PT_PKS3_PKT0_S9_ifPKiSB_iPKfiiiSD_SD_iiiii.has_recursion, 0
	.set _ZN4vllm25paged_attention_v2_kernelIttLi112ELi16ELi128ELNS_18Fp8KVCacheDataTypeE0ELb0ELi512EEEvPfS2_PT_PKS3_PKT0_S9_ifPKiSB_iPKfiiiSD_SD_iiiii.has_indirect_call, 0
	.section	.AMDGPU.csdata,"",@progbits
; Kernel info:
; codeLenInByte = 10152
; TotalNumSgprs: 38
; NumVgprs: 92
; ScratchSize: 0
; MemoryBound: 0
; FloatMode: 240
; IeeeMode: 1
; LDSByteSize: 256 bytes/workgroup (compile time only)
; SGPRBlocks: 0
; VGPRBlocks: 11
; NumSGPRsForWavesPerEU: 38
; NumVGPRsForWavesPerEU: 92
; Occupancy: 10
; WaveLimiterHint : 1
; COMPUTE_PGM_RSRC2:SCRATCH_EN: 0
; COMPUTE_PGM_RSRC2:USER_SGPR: 6
; COMPUTE_PGM_RSRC2:TRAP_HANDLER: 0
; COMPUTE_PGM_RSRC2:TGID_X_EN: 1
; COMPUTE_PGM_RSRC2:TGID_Y_EN: 1
; COMPUTE_PGM_RSRC2:TGID_Z_EN: 1
; COMPUTE_PGM_RSRC2:TIDIG_COMP_CNT: 0
	.section	.text._ZN4vllm25paged_attention_v2_kernelIttLi120ELi16ELi128ELNS_18Fp8KVCacheDataTypeE0ELb0ELi512EEEvPfS2_PT_PKS3_PKT0_S9_ifPKiSB_iPKfiiiSD_SD_iiiii,"axG",@progbits,_ZN4vllm25paged_attention_v2_kernelIttLi120ELi16ELi128ELNS_18Fp8KVCacheDataTypeE0ELb0ELi512EEEvPfS2_PT_PKS3_PKT0_S9_ifPKiSB_iPKfiiiSD_SD_iiiii,comdat
	.protected	_ZN4vllm25paged_attention_v2_kernelIttLi120ELi16ELi128ELNS_18Fp8KVCacheDataTypeE0ELb0ELi512EEEvPfS2_PT_PKS3_PKT0_S9_ifPKiSB_iPKfiiiSD_SD_iiiii ; -- Begin function _ZN4vllm25paged_attention_v2_kernelIttLi120ELi16ELi128ELNS_18Fp8KVCacheDataTypeE0ELb0ELi512EEEvPfS2_PT_PKS3_PKT0_S9_ifPKiSB_iPKfiiiSD_SD_iiiii
	.globl	_ZN4vllm25paged_attention_v2_kernelIttLi120ELi16ELi128ELNS_18Fp8KVCacheDataTypeE0ELb0ELi512EEEvPfS2_PT_PKS3_PKT0_S9_ifPKiSB_iPKfiiiSD_SD_iiiii
	.p2align	8
	.type	_ZN4vllm25paged_attention_v2_kernelIttLi120ELi16ELi128ELNS_18Fp8KVCacheDataTypeE0ELb0ELi512EEEvPfS2_PT_PKS3_PKT0_S9_ifPKiSB_iPKfiiiSD_SD_iiiii,@function
_ZN4vllm25paged_attention_v2_kernelIttLi120ELi16ELi128ELNS_18Fp8KVCacheDataTypeE0ELb0ELi512EEEvPfS2_PT_PKS3_PKT0_S9_ifPKiSB_iPKfiiiSD_SD_iiiii: ; @_ZN4vllm25paged_attention_v2_kernelIttLi120ELi16ELi128ELNS_18Fp8KVCacheDataTypeE0ELb0ELi512EEEvPfS2_PT_PKS3_PKT0_S9_ifPKiSB_iPKfiiiSD_SD_iiiii
; %bb.0:
	s_load_dwordx2 s[0:1], s[4:5], 0x40
	s_mov_b32 s22, s7
	s_ashr_i32 s23, s7, 31
	s_lshl_b64 s[2:3], s[22:23], 2
	s_waitcnt lgkmcnt(0)
	s_add_u32 s0, s0, s2
	s_addc_u32 s1, s1, s3
	s_lshl_b32 s33, s8, 9
	s_load_dword s23, s[0:1], 0x0
	s_waitcnt lgkmcnt(0)
	s_cmp_ge_i32 s33, s23
	s_cbranch_scc1 .LBB104_105
; %bb.1:
	s_clause 0x1
	s_load_dword s9, s[4:5], 0x90
	s_load_dwordx2 s[30:31], s[4:5], 0x30
	s_mov_b32 s34, 0
	s_waitcnt lgkmcnt(0)
	s_abs_i32 s3, s9
	s_abs_i32 s0, s30
	v_cvt_f32_u32_e32 v1, s0
	s_sub_i32 s2, 0, s0
	v_rcp_iflag_f32_e32 v1, v1
	v_mul_f32_e32 v1, 0x4f7ffffe, v1
	v_cvt_u32_f32_e32 v1, v1
	v_readfirstlane_b32 s1, v1
	s_mul_i32 s2, s2, s1
	s_mul_hi_u32 s2, s1, s2
	s_add_i32 s1, s1, s2
	s_xor_b32 s2, s9, s30
	s_mul_hi_u32 s1, s3, s1
	s_ashr_i32 s2, s2, 31
	s_mul_i32 s7, s1, s0
	s_sub_i32 s3, s3, s7
	s_add_i32 s7, s1, 1
	s_sub_i32 s10, s3, s0
	s_cmp_ge_u32 s3, s0
	s_cselect_b32 s1, s7, s1
	s_cselect_b32 s3, s10, s3
	s_add_i32 s7, s1, 1
	s_cmp_ge_u32 s3, s0
	s_cselect_b32 s0, s7, s1
	s_abs_i32 s16, s6
	s_xor_b32 s0, s0, s2
	s_sub_i32 s10, s0, s2
	s_load_dwordx2 s[0:1], s[4:5], 0x50
	s_abs_i32 s2, s10
	v_cvt_f32_u32_e32 v1, s2
	s_sub_i32 s7, 0, s2
	v_rcp_iflag_f32_e32 v1, v1
	v_mul_f32_e32 v1, 0x4f7ffffe, v1
	v_cvt_u32_f32_e32 v1, v1
	v_readfirstlane_b32 s3, v1
	s_mul_i32 s7, s7, s3
	s_mul_hi_u32 s7, s3, s7
	s_add_i32 s3, s3, s7
	s_waitcnt lgkmcnt(0)
	s_cmp_eq_u64 s[0:1], 0
	s_mul_hi_u32 s3, s16, s3
	s_cbranch_scc1 .LBB104_3
; %bb.2:
	s_ashr_i32 s7, s6, 31
	s_lshl_b64 s[12:13], s[6:7], 2
	s_add_u32 s0, s0, s12
	s_addc_u32 s1, s1, s13
	s_load_dword s34, s[0:1], 0x0
.LBB104_3:
	s_load_dwordx4 s[12:15], s[4:5], 0x58
	v_lshrrev_b32_e32 v33, 1, v0
	v_and_b32_e32 v34, 1, v0
	v_lshlrev_b32_e32 v36, 3, v0
	s_ashr_i32 s0, s6, 31
	s_ashr_i32 s1, s10, 31
	s_mul_i32 s10, s6, 0x78
	s_mov_b32 s7, exec_lo
	v_cmpx_gt_u32_e32 30, v0
	s_cbranch_execz .LBB104_5
; %bb.4:
	s_load_dwordx2 s[18:19], s[4:5], 0x18
	s_waitcnt lgkmcnt(0)
	s_mul_i32 s20, s12, s22
	v_lshlrev_b32_e32 v3, 3, v33
	s_ashr_i32 s21, s20, 31
	s_lshl_b64 s[20:21], s[20:21], 1
	v_mad_u32_u24 v3, 0x78, v34, v3
	s_add_u32 s12, s18, s20
	s_addc_u32 s15, s19, s21
	s_ashr_i32 s11, s10, 31
	s_lshl_b64 s[18:19], s[10:11], 1
	s_add_u32 s18, s12, s18
	s_addc_u32 s19, s15, s19
	global_load_dwordx2 v[1:2], v36, s[18:19]
	s_waitcnt vmcnt(0)
	ds_write_b64 v3, v[1:2]
.LBB104_5:
	s_or_b32 exec_lo, exec_lo, s7
	s_add_i32 s7, s23, 15
	s_lshl_b32 s30, s8, 5
	s_ashr_i32 s11, s7, 31
	s_waitcnt lgkmcnt(0)
	s_mul_i32 s15, s3, s2
	s_lshr_b32 s11, s11, 28
	s_xor_b32 s0, s0, s1
	s_add_i32 s7, s7, s11
	s_add_i32 s11, s30, 32
	s_ashr_i32 s12, s7, 4
	s_clause 0x1
	s_load_dwordx2 s[24:25], s[4:5], 0x38
	s_load_dword s7, s[4:5], 0x48
	s_sub_i32 s1, s16, s15
	s_min_i32 s11, s11, s12
	s_add_i32 s15, s3, 1
	s_sub_i32 s16, s1, s2
	s_cmp_ge_u32 s1, s2
	v_lshrrev_b32_e32 v35, 5, v0
	s_cselect_b32 s3, s15, s3
	s_cselect_b32 s1, s16, s1
	s_add_i32 s15, s3, 1
	s_cmp_ge_u32 s1, s2
	v_or_b32_e32 v5, s30, v35
	s_cselect_b32 s1, s15, s3
	v_mbcnt_lo_u32_b32 v37, -1, 0
	s_xor_b32 s1, s1, s0
	s_waitcnt lgkmcnt(0)
	s_sub_i32 s1, s1, s0
	v_cmp_le_i32_e64 s0, s11, v5
	s_barrier
	buffer_gl0_inv
	s_mul_i32 s26, s7, s22
                                        ; implicit-def: $vgpr38
                                        ; implicit-def: $vgpr39
	s_ashr_i32 s27, s26, 31
	s_and_saveexec_b32 s2, s0
	s_xor_b32 s2, exec_lo, s2
; %bb.6:
	v_mov_b32_e32 v38, 0
	v_mbcnt_lo_u32_b32 v37, -1, 0
	v_mov_b32_e32 v39, 32
; %bb.7:
	s_or_saveexec_b32 s35, s2
	s_clause 0x3
	s_load_dwordx4 s[16:19], s[4:5], 0x0
	s_load_dwordx2 s[20:21], s[4:5], 0x10
	s_load_dwordx2 s[28:29], s[4:5], 0x28
	s_load_dword s7, s[4:5], 0x98
	v_mov_b32_e32 v40, 0xff7fffff
	v_ashrrev_i32_e32 v6, 31, v5
	s_mul_i32 s14, s1, s14
	s_xor_b32 exec_lo, exec_lo, s35
	s_cbranch_execz .LBB104_13
; %bb.8:
	s_load_dwordx2 s[2:3], s[4:5], 0x20
	v_bfe_u32 v3, v0, 1, 4
	s_ashr_i32 s15, s14, 31
	v_lshlrev_b32_e32 v7, 4, v35
	s_lshl_b64 s[4:5], s[14:15], 1
	v_and_b32_e32 v4, 8, v36
	v_lshlrev_b32_e32 v9, 4, v3
	v_lshlrev_b32_e32 v1, 2, v3
	v_add3_u32 v42, s33, v7, v3
	v_mov_b32_e32 v38, 0
	v_mul_u32_u24_e32 v41, 0x78, v34
	v_cmp_neq_f32_e64 s1, s34, 0
	v_lshl_or_b32 v8, v35, 6, v1
	v_lshlrev_b64 v[1:2], 2, v[5:6]
	v_mov_b32_e32 v40, 0xff7fffff
	v_xor_b32_e32 v46, 1, v37
	v_mov_b32_e32 v39, 32
	v_add_nc_u32_e32 v43, 0x110, v8
	v_mov_b32_e32 v47, v5
	v_cmp_eq_u32_e32 vcc_lo, 0, v34
	s_waitcnt lgkmcnt(0)
	s_add_u32 s15, s2, s4
	s_addc_u32 s5, s3, s5
	v_add_co_u32 v3, s15, s15, v9
	v_add_co_ci_u32_e64 v7, null, s5, 0, s15
	s_lshl_b64 s[2:3], s[26:27], 2
	s_sub_i32 s4, 1, s23
	s_add_u32 s5, s24, s2
	v_add_co_u32 v44, s2, v3, v4
	v_add_co_ci_u32_e64 v45, null, 0, v7, s2
	s_addc_u32 s3, s25, s3
	v_add_co_u32 v1, s2, s5, v1
	v_add_co_ci_u32_e64 v2, null, s3, v2, s2
	s_mov_b32 s15, s13
	s_mov_b32 s5, 0
	s_branch .LBB104_10
.LBB104_9:                              ;   in Loop: Header=BB104_10 Depth=1
	s_or_b32 exec_lo, exec_lo, s3
	v_add_nc_u32_e32 v47, 4, v47
	v_add_co_u32 v1, s3, v1, 16
	v_add_nc_u32_e32 v42, 64, v42
	v_add_nc_u32_e32 v43, 0x100, v43
	v_cmp_le_i32_e64 s2, s11, v47
	v_add_co_ci_u32_e64 v2, null, 0, v2, s3
	s_or_b32 s5, s2, s5
	s_andn2_b32 exec_lo, exec_lo, s5
	s_cbranch_execz .LBB104_12
.LBB104_10:                             ; =>This Inner Loop Header: Depth=1
	global_load_dword v3, v[1:2], off
	s_waitcnt vmcnt(0) lgkmcnt(0)
	v_mad_i64_i32 v[3:4], null, v3, s15, 0
	v_lshlrev_b64 v[3:4], 1, v[3:4]
	v_add_co_u32 v3, s2, v44, v3
	v_add_co_ci_u32_e64 v4, null, v45, v4, s2
	s_clause 0x7
	global_load_dwordx2 v[31:32], v[3:4], off
	global_load_dwordx2 v[56:57], v[3:4], off offset:256
	global_load_dwordx2 v[29:30], v[3:4], off offset:512
	;; [unrolled: 1-line block ×7, first 2 shown]
	v_add_co_u32 v3, s2, 0x800, v3
	v_add_co_ci_u32_e64 v4, null, 0, v4, s2
	v_cmp_gt_i32_e64 s2, 32, v46
	s_clause 0x1
	global_load_dwordx2 v[17:18], v[3:4], off
	global_load_dwordx2 v[13:14], v[3:4], off offset:256
	ds_read_b64 v[7:8], v41
	s_waitcnt lgkmcnt(0)
	v_and_b32_e32 v48, 0xffff, v7
	v_lshrrev_b32_e32 v49, 16, v7
	v_lshrrev_b32_e32 v50, 16, v8
	v_and_b32_e32 v51, 0xffff, v8
	s_clause 0x4
	global_load_dwordx2 v[15:16], v[3:4], off offset:512
	global_load_dwordx2 v[11:12], v[3:4], off offset:768
	;; [unrolled: 1-line block ×5, first 2 shown]
	;;#ASMSTART
	v_cvt_f32_f16 v53, v48;
	;;#ASMEND
	;;#ASMSTART
	v_cvt_f32_f16 v52, v49;
	;;#ASMEND
	s_waitcnt vmcnt(14)
	v_and_b32_e32 v48, 0xffff, v31
	v_lshrrev_b32_e32 v31, 16, v31
	v_lshrrev_b32_e32 v58, 16, v32
	v_and_b32_e32 v32, 0xffff, v32
	;;#ASMSTART
	v_cvt_f32_f16 v55, v48;
	;;#ASMEND
	;;#ASMSTART
	v_cvt_f32_f16 v54, v31;
	;;#ASMEND
	;; [unrolled: 3-line block ×6, first 2 shown]
	ds_read_b64 v[31:32], v41 offset:8
	s_waitcnt vmcnt(13)
	v_lshrrev_b32_e32 v58, 16, v56
	v_and_b32_e32 v56, 0xffff, v56
	v_lshrrev_b32_e32 v61, 16, v57
	v_and_b32_e32 v62, 0xffff, v57
	s_waitcnt vmcnt(12)
	v_lshrrev_b32_e32 v65, 16, v29
	v_lshrrev_b32_e32 v68, 16, v30
	v_and_b32_e32 v67, 0xffff, v30
	s_waitcnt vmcnt(11)
	v_lshrrev_b32_e32 v71, 16, v27
	v_and_b32_e32 v27, 0xffff, v27
	v_lshrrev_b32_e32 v75, 16, v28
	v_and_b32_e32 v28, 0xffff, v28
	s_waitcnt vmcnt(10)
	v_lshrrev_b32_e32 v77, 16, v25
	v_and_b32_e32 v25, 0xffff, v25
	v_lshrrev_b32_e32 v81, 16, v26
	v_and_b32_e32 v26, 0xffff, v26
	s_waitcnt vmcnt(9)
	v_lshrrev_b32_e32 v84, 16, v23
	v_lshrrev_b32_e32 v88, 16, v24
	v_and_b32_e32 v24, 0xffff, v24
	v_and_b32_e32 v23, 0xffff, v23
	s_waitcnt lgkmcnt(0)
	v_and_b32_e32 v59, 0xffff, v31
	v_lshrrev_b32_e32 v31, 16, v31
	v_and_b32_e32 v63, 0xffff, v32
	v_lshrrev_b32_e32 v64, 16, v32
	;;#ASMSTART
	v_cvt_f32_f16 v57, v59;
	;;#ASMEND
	;;#ASMSTART
	v_cvt_f32_f16 v32, v31;
	;;#ASMEND
	;; [unrolled: 3-line block ×8, first 2 shown]
	ds_read_b64 v[62:63], v41 offset:16
	v_and_b32_e32 v64, 0xffff, v29
	s_waitcnt vmcnt(8)
	v_lshrrev_b32_e32 v89, 16, v21
	v_mul_f32_e32 v56, v56, v59
	v_mul_f32_e32 v31, v31, v61
	s_waitcnt vmcnt(7)
	v_lshrrev_b32_e32 v61, 16, v20
	v_and_b32_e32 v20, 0xffff, v20
	s_waitcnt vmcnt(1)
	v_lshrrev_b32_e32 v90, 16, v7
	v_fmac_f32_e32 v56, v49, v51
	v_fmac_f32_e32 v31, v48, v50
	v_and_b32_e32 v7, 0xffff, v7
	s_waitcnt lgkmcnt(0)
	v_and_b32_e32 v29, 0xffff, v62
	v_lshrrev_b32_e32 v66, 16, v62
	v_and_b32_e32 v69, 0xffff, v63
	v_lshrrev_b32_e32 v63, 16, v63
	;;#ASMSTART
	v_cvt_f32_f16 v62, v29;
	;;#ASMEND
	;;#ASMSTART
	v_cvt_f32_f16 v29, v66;
	;;#ASMEND
	;; [unrolled: 3-line block ×8, first 2 shown]
	ds_read_b64 v[68:69], v41 offset:24
	v_fmac_f32_e32 v56, v66, v67
	v_lshrrev_b32_e32 v67, 16, v13
	v_fmac_f32_e32 v31, v63, v65
	v_and_b32_e32 v13, 0xffff, v13
	s_waitcnt lgkmcnt(0)
	v_and_b32_e32 v70, 0xffff, v68
	v_lshrrev_b32_e32 v72, 16, v68
	v_and_b32_e32 v73, 0xffff, v69
	v_lshrrev_b32_e32 v74, 16, v69
	;;#ASMSTART
	v_cvt_f32_f16 v68, v70;
	;;#ASMEND
	;;#ASMSTART
	v_cvt_f32_f16 v69, v72;
	;;#ASMEND
	;;#ASMSTART
	v_cvt_f32_f16 v70, v27;
	;;#ASMEND
	;;#ASMSTART
	v_cvt_f32_f16 v71, v71;
	;;#ASMEND
	;;#ASMSTART
	v_cvt_f32_f16 v72, v73;
	;;#ASMEND
	;;#ASMSTART
	v_cvt_f32_f16 v73, v74;
	;;#ASMEND
	;;#ASMSTART
	v_cvt_f32_f16 v74, v28;
	;;#ASMEND
	;;#ASMSTART
	v_cvt_f32_f16 v75, v75;
	;;#ASMEND
	ds_read_b64 v[27:28], v41 offset:32
	v_fmac_f32_e32 v56, v72, v74
	v_and_b32_e32 v72, 0xffff, v15
	v_and_b32_e32 v74, 0xffff, v16
	v_fmac_f32_e32 v31, v73, v75
	s_waitcnt lgkmcnt(0)
	v_and_b32_e32 v76, 0xffff, v27
	v_lshrrev_b32_e32 v78, 16, v27
	v_and_b32_e32 v79, 0xffff, v28
	v_lshrrev_b32_e32 v80, 16, v28
	;;#ASMSTART
	v_cvt_f32_f16 v27, v76;
	;;#ASMEND
	;;#ASMSTART
	v_cvt_f32_f16 v28, v78;
	;;#ASMEND
	;; [unrolled: 3-line block ×8, first 2 shown]
	ds_read_b64 v[25:26], v41 offset:40
	v_fmac_f32_e32 v56, v78, v80
	v_fmac_f32_e32 v31, v79, v81
	v_lshrrev_b32_e32 v81, 16, v9
	v_and_b32_e32 v9, 0xffff, v9
	s_waitcnt lgkmcnt(0)
	v_and_b32_e32 v82, 0xffff, v25
	v_lshrrev_b32_e32 v25, 16, v25
	v_lshrrev_b32_e32 v86, 16, v26
	v_and_b32_e32 v85, 0xffff, v26
	;;#ASMSTART
	v_cvt_f32_f16 v26, v82;
	;;#ASMEND
	;;#ASMSTART
	v_cvt_f32_f16 v82, v25;
	;;#ASMEND
	;; [unrolled: 3-line block ×8, first 2 shown]
	ds_read_b64 v[24:25], v41 offset:48
	v_mul_f32_e32 v23, v57, v60
	v_and_b32_e32 v57, 0xffff, v21
	v_mul_f32_e32 v21, v32, v58
	v_lshrrev_b32_e32 v58, 16, v22
	v_and_b32_e32 v60, 0xffff, v22
	v_fmac_f32_e32 v23, v53, v55
	v_fmac_f32_e32 v56, v85, v87
	;; [unrolled: 1-line block ×8, first 2 shown]
	v_lshrrev_b32_e32 v71, 16, v15
	s_waitcnt lgkmcnt(0)
	v_and_b32_e32 v22, 0xffff, v24
	v_lshrrev_b32_e32 v24, 16, v24
	v_lshrrev_b32_e32 v55, 16, v25
	v_and_b32_e32 v25, 0xffff, v25
	;;#ASMSTART
	v_cvt_f32_f16 v22, v22;
	;;#ASMEND
	;;#ASMSTART
	v_cvt_f32_f16 v32, v24;
	;;#ASMEND
	;; [unrolled: 3-line block ×8, first 2 shown]
	ds_read_b64 v[24:25], v41 offset:56
	v_lshrrev_b32_e32 v60, 16, v19
	v_and_b32_e32 v19, 0xffff, v19
	v_lshrrev_b32_e32 v89, 16, v18
	v_and_b32_e32 v18, 0xffff, v18
	v_fmac_f32_e32 v23, v27, v76
	v_lshrrev_b32_e32 v76, 16, v11
	v_fmac_f32_e32 v21, v28, v77
	v_and_b32_e32 v11, 0xffff, v11
	v_fmac_f32_e32 v56, v54, v57
	v_fmac_f32_e32 v23, v26, v83
	;; [unrolled: 1-line block ×6, first 2 shown]
	v_lshrrev_b32_e32 v32, 16, v8
	v_and_b32_e32 v8, 0xffff, v8
	s_waitcnt lgkmcnt(0)
	v_and_b32_e32 v49, 0xffff, v24
	v_lshrrev_b32_e32 v51, 16, v24
	v_lshrrev_b32_e32 v59, 16, v25
	v_and_b32_e32 v50, 0xffff, v25
	;;#ASMSTART
	v_cvt_f32_f16 v24, v49;
	;;#ASMEND
	;;#ASMSTART
	v_cvt_f32_f16 v25, v51;
	;;#ASMEND
	;; [unrolled: 3-line block ×8, first 2 shown]
	ds_read_b64 v[19:20], v41 offset:64
	v_lshrrev_b32_e32 v61, 16, v17
	v_and_b32_e32 v17, 0xffff, v17
	v_fmac_f32_e32 v23, v24, v48
	v_fmac_f32_e32 v21, v25, v49
	;; [unrolled: 1-line block ×4, first 2 shown]
	s_waitcnt vmcnt(0)
	v_lshrrev_b32_e32 v25, 16, v3
	s_waitcnt lgkmcnt(0)
	v_and_b32_e32 v29, 0xffff, v19
	v_lshrrev_b32_e32 v30, 16, v19
	v_lshrrev_b32_e32 v62, 16, v20
	v_and_b32_e32 v64, 0xffff, v20
	;;#ASMSTART
	v_cvt_f32_f16 v19, v29;
	;;#ASMEND
	;;#ASMSTART
	v_cvt_f32_f16 v20, v30;
	;;#ASMEND
	;; [unrolled: 3-line block ×8, first 2 shown]
	ds_read_b64 v[17:18], v41 offset:72
	v_lshrrev_b32_e32 v89, 16, v14
	v_and_b32_e32 v14, 0xffff, v14
	v_fmac_f32_e32 v23, v19, v29
	v_fmac_f32_e32 v21, v20, v30
	;; [unrolled: 1-line block ×4, first 2 shown]
	s_waitcnt lgkmcnt(0)
	v_and_b32_e32 v63, 0xffff, v17
	v_lshrrev_b32_e32 v65, 16, v17
	v_lshrrev_b32_e32 v68, 16, v18
	v_and_b32_e32 v69, 0xffff, v18
	;;#ASMSTART
	v_cvt_f32_f16 v17, v63;
	;;#ASMEND
	;;#ASMSTART
	v_cvt_f32_f16 v18, v65;
	;;#ASMEND
	;; [unrolled: 3-line block ×8, first 2 shown]
	ds_read_b64 v[13:14], v41 offset:80
	v_lshrrev_b32_e32 v89, 16, v16
	v_fmac_f32_e32 v23, v17, v63
	v_fmac_f32_e32 v21, v18, v65
	;; [unrolled: 1-line block ×4, first 2 shown]
	s_waitcnt lgkmcnt(0)
	v_and_b32_e32 v15, 0xffff, v13
	v_lshrrev_b32_e32 v13, 16, v13
	v_lshrrev_b32_e32 v73, 16, v14
	v_and_b32_e32 v14, 0xffff, v14
	;;#ASMSTART
	v_cvt_f32_f16 v15, v15;
	;;#ASMEND
	;;#ASMSTART
	v_cvt_f32_f16 v16, v13;
	;;#ASMEND
	;; [unrolled: 3-line block ×8, first 2 shown]
	ds_read_b64 v[13:14], v41 offset:88
	v_lshrrev_b32_e32 v89, 16, v12
	v_and_b32_e32 v12, 0xffff, v12
	v_fmac_f32_e32 v23, v15, v27
	v_fmac_f32_e32 v21, v16, v71
	;; [unrolled: 1-line block ×4, first 2 shown]
	v_and_b32_e32 v15, 0xffff, v3
	s_waitcnt lgkmcnt(0)
	v_and_b32_e32 v28, 0xffff, v13
	v_lshrrev_b32_e32 v77, 16, v13
	v_lshrrev_b32_e32 v78, 16, v14
	v_and_b32_e32 v79, 0xffff, v14
	;;#ASMSTART
	v_cvt_f32_f16 v13, v28;
	;;#ASMEND
	;;#ASMSTART
	v_cvt_f32_f16 v14, v77;
	;;#ASMEND
	;; [unrolled: 3-line block ×8, first 2 shown]
	ds_read_b64 v[11:12], v41 offset:96
	v_lshrrev_b32_e32 v89, 16, v10
	v_and_b32_e32 v10, 0xffff, v10
	v_fmac_f32_e32 v23, v13, v28
	v_fmac_f32_e32 v21, v14, v76
	;; [unrolled: 1-line block ×4, first 2 shown]
	v_lshrrev_b32_e32 v13, 16, v4
	s_waitcnt lgkmcnt(0)
	v_and_b32_e32 v26, 0xffff, v11
	v_lshrrev_b32_e32 v82, 16, v11
	v_lshrrev_b32_e32 v83, 16, v12
	v_and_b32_e32 v84, 0xffff, v12
	;;#ASMSTART
	v_cvt_f32_f16 v11, v26;
	;;#ASMEND
	;;#ASMSTART
	v_cvt_f32_f16 v12, v82;
	;;#ASMEND
	;;#ASMSTART
	v_cvt_f32_f16 v26, v9;
	;;#ASMEND
	;;#ASMSTART
	v_cvt_f32_f16 v81, v81;
	;;#ASMEND
	;;#ASMSTART
	v_cvt_f32_f16 v82, v84;
	;;#ASMEND
	;;#ASMSTART
	v_cvt_f32_f16 v83, v83;
	;;#ASMEND
	;;#ASMSTART
	v_cvt_f32_f16 v84, v10;
	;;#ASMEND
	;;#ASMSTART
	v_cvt_f32_f16 v85, v89;
	;;#ASMEND
	ds_read_b64 v[9:10], v41 offset:104
	v_fmac_f32_e32 v23, v11, v26
	v_fmac_f32_e32 v21, v12, v81
	;; [unrolled: 1-line block ×3, first 2 shown]
	v_and_b32_e32 v11, 0xffff, v4
	v_fmac_f32_e32 v31, v83, v85
	s_waitcnt lgkmcnt(0)
	v_and_b32_e32 v17, 0xffff, v9
	v_lshrrev_b32_e32 v18, 16, v9
	v_lshrrev_b32_e32 v20, 16, v10
	v_and_b32_e32 v19, 0xffff, v10
	;;#ASMSTART
	v_cvt_f32_f16 v9, v17;
	;;#ASMEND
	;;#ASMSTART
	v_cvt_f32_f16 v10, v18;
	;;#ASMEND
	;; [unrolled: 3-line block ×8, first 2 shown]
	ds_read_b64 v[7:8], v41 offset:112
	v_fmac_f32_e32 v23, v9, v17
	v_fmac_f32_e32 v21, v10, v18
	;; [unrolled: 1-line block ×4, first 2 shown]
	s_waitcnt lgkmcnt(0)
	v_and_b32_e32 v3, 0xffff, v7
	v_lshrrev_b32_e32 v4, 16, v7
	v_lshrrev_b32_e32 v9, 16, v8
	v_and_b32_e32 v10, 0xffff, v8
	;;#ASMSTART
	v_cvt_f32_f16 v3, v3;
	;;#ASMEND
	;;#ASMSTART
	v_cvt_f32_f16 v4, v4;
	;;#ASMEND
	;; [unrolled: 3-line block ×4, first 2 shown]
	v_fmac_f32_e32 v23, v3, v7
	v_fmac_f32_e32 v21, v4, v8
	;;#ASMSTART
	v_cvt_f32_f16 v3, v10;
	;;#ASMEND
	;;#ASMSTART
	v_cvt_f32_f16 v4, v9;
	;;#ASMEND
	;; [unrolled: 3-line block ×3, first 2 shown]
	v_fmac_f32_e32 v56, v3, v7
	v_add_f32_e32 v3, v23, v21
	;;#ASMSTART
	v_cvt_f32_f16 v7, v13;
	;;#ASMEND
	v_fmac_f32_e32 v31, v4, v7
	v_cndmask_b32_e64 v4, v37, v46, s2
	v_add_f32_e32 v3, v3, v56
	v_lshlrev_b32_e32 v4, 2, v4
	v_add_f32_e32 v3, v31, v3
	ds_bpermute_b32 v4, v4, v3
	s_and_saveexec_b32 s3, vcc_lo
	s_cbranch_execz .LBB104_9
; %bb.11:                               ;   in Loop: Header=BB104_10 Depth=1
	v_add_nc_u32_e32 v7, s4, v42
	s_waitcnt lgkmcnt(0)
	v_add_f32_e32 v3, v3, v4
	v_cmp_gt_i32_e64 s2, s23, v42
	v_cvt_f32_i32_e32 v7, v7
	v_mul_f32_e32 v7, s34, v7
	v_cndmask_b32_e64 v4, 0, v7, s1
	v_max_f32_e32 v7, v40, v40
	v_fmac_f32_e32 v4, s31, v3
	v_max_f32_e32 v3, v7, v4
	v_cndmask_b32_e64 v4, 0, v4, s2
	v_cndmask_b32_e64 v40, v40, v3, s2
	ds_write_b32 v43, v4
	s_branch .LBB104_9
.LBB104_12:
	s_or_b32 exec_lo, exec_lo, s5
.LBB104_13:
	s_or_b32 exec_lo, exec_lo, s35
	v_xor_b32_e32 v1, 16, v37
	v_xor_b32_e32 v2, 8, v37
	v_max_f32_e32 v3, v40, v40
	v_lshlrev_b32_e32 v10, 2, v35
	v_cmp_lt_i32_e32 vcc_lo, v1, v39
	v_cndmask_b32_e32 v1, v37, v1, vcc_lo
	v_cmp_lt_i32_e32 vcc_lo, v2, v39
	s_waitcnt lgkmcnt(0)
	v_lshlrev_b32_e32 v4, 2, v1
	v_cndmask_b32_e32 v2, v37, v2, vcc_lo
	ds_bpermute_b32 v1, v4, v40
	v_lshlrev_b32_e32 v8, 2, v2
	s_waitcnt lgkmcnt(0)
	v_max_f32_e32 v1, v1, v1
	v_max_f32_e32 v1, v3, v1
	v_xor_b32_e32 v3, 4, v37
	ds_bpermute_b32 v2, v8, v1
	v_cmp_lt_i32_e32 vcc_lo, v3, v39
	v_cndmask_b32_e32 v3, v37, v3, vcc_lo
	v_lshlrev_b32_e32 v9, 2, v3
	v_xor_b32_e32 v3, 2, v37
	v_cmp_lt_i32_e32 vcc_lo, v3, v39
	s_waitcnt lgkmcnt(0)
	v_max_f32_e32 v2, v2, v2
	v_cndmask_b32_e32 v3, v37, v3, vcc_lo
	v_max_f32_e32 v1, v1, v2
	v_lshlrev_b32_e32 v3, 2, v3
	ds_bpermute_b32 v2, v9, v1
	s_waitcnt lgkmcnt(0)
	v_max_f32_e32 v2, v2, v2
	v_max_f32_e32 v2, v1, v2
	v_and_b32_e32 v1, 31, v0
	ds_bpermute_b32 v7, v3, v2
	v_cmp_eq_u32_e32 vcc_lo, 0, v1
	s_and_saveexec_b32 s1, vcc_lo
	s_cbranch_execz .LBB104_15
; %bb.14:
	s_waitcnt lgkmcnt(0)
	v_max_f32_e32 v7, v7, v7
	v_max_f32_e32 v2, v2, v2
	;; [unrolled: 1-line block ×3, first 2 shown]
	ds_write_b32 v10, v2 offset:240
.LBB104_15:
	s_or_b32 exec_lo, exec_lo, s1
	v_cmp_gt_u32_e64 s1, 4, v1
	v_mov_b32_e32 v2, 0xff7fffff
	v_lshlrev_b32_e32 v12, 2, v1
	s_waitcnt lgkmcnt(0)
	s_barrier
	buffer_gl0_inv
	s_and_saveexec_b32 s2, s1
; %bb.16:
	ds_read_b32 v2, v12 offset:240
; %bb.17:
	s_or_b32 exec_lo, exec_lo, s2
	s_waitcnt lgkmcnt(0)
	ds_bpermute_b32 v7, v3, v2
	v_xor_b32_e32 v11, 1, v37
	v_max_f32_e32 v2, v2, v2
	v_mov_b32_e32 v13, 0
	v_cmp_lt_i32_e64 s2, v11, v39
	v_cndmask_b32_e64 v11, v37, v11, s2
	s_sub_i32 s2, s11, s30
	s_lshl_b32 s2, s2, 4
	v_lshlrev_b32_e32 v11, 2, v11
	s_add_i32 s2, s2, s33
	s_min_i32 s2, s2, s23
	s_waitcnt lgkmcnt(0)
	v_max_f32_e32 v7, v7, v7
	s_sub_i32 s4, s2, s33
	v_cmp_gt_i32_e64 s2, s4, v0
	v_max_f32_e32 v2, v2, v7
	ds_bpermute_b32 v7, v11, v2
	s_waitcnt lgkmcnt(0)
	v_max_f32_e32 v7, v7, v7
	v_max_f32_e32 v2, v2, v7
	v_lshlrev_b32_e32 v7, 2, v38
	ds_bpermute_b32 v2, v7, v2
	v_lshl_add_u32 v7, v0, 2, 0x110
	s_and_saveexec_b32 s5, s2
	s_cbranch_execz .LBB104_21
; %bb.18:
	v_lshl_add_u32 v14, v0, 2, 0x110
	v_mov_b32_e32 v13, 0
	v_mov_b32_e32 v15, v0
	s_mov_b32 s15, 0
	.p2align	6
.LBB104_19:                             ; =>This Inner Loop Header: Depth=1
	ds_read_b32 v16, v14
	v_add_nc_u32_e32 v15, 0x80, v15
	v_cmp_le_i32_e64 s3, s4, v15
	s_or_b32 s15, s3, s15
	s_waitcnt lgkmcnt(0)
	v_sub_f32_e32 v16, v16, v2
	v_mul_f32_e32 v16, 0x3fb8aa3b, v16
	v_exp_f32_e32 v16, v16
	ds_write_b32 v14, v16
	v_add_f32_e32 v13, v13, v16
	v_add_nc_u32_e32 v14, 0x200, v14
	s_andn2_b32 exec_lo, exec_lo, s15
	s_cbranch_execnz .LBB104_19
; %bb.20:
	s_or_b32 exec_lo, exec_lo, s15
.LBB104_21:
	s_or_b32 exec_lo, exec_lo, s5
	ds_bpermute_b32 v4, v4, v13
	s_waitcnt lgkmcnt(0)
	v_add_f32_e32 v4, v13, v4
	ds_bpermute_b32 v8, v8, v4
	s_waitcnt lgkmcnt(0)
	v_add_f32_e32 v4, v4, v8
	;; [unrolled: 3-line block ×5, first 2 shown]
	s_and_saveexec_b32 s3, vcc_lo
; %bb.22:
	ds_write_b32 v10, v4 offset:256
; %bb.23:
	s_or_b32 exec_lo, exec_lo, s3
	s_waitcnt lgkmcnt(0)
	s_barrier
	buffer_gl0_inv
	s_and_saveexec_b32 s3, s1
; %bb.24:
	ds_read_b32 v4, v12 offset:256
; %bb.25:
	s_or_b32 exec_lo, exec_lo, s3
	s_waitcnt lgkmcnt(0)
	ds_bpermute_b32 v3, v3, v4
	v_lshlrev_b32_e32 v8, 2, v37
	s_waitcnt lgkmcnt(0)
	v_add_f32_e32 v3, v4, v3
	ds_bpermute_b32 v4, v11, v3
	s_waitcnt lgkmcnt(0)
	v_add_f32_e32 v3, v3, v4
	v_and_b32_e32 v4, 0xffffff80, v8
	ds_bpermute_b32 v3, v4, v3
	s_and_saveexec_b32 s1, s2
	s_cbranch_execz .LBB104_28
; %bb.26:
	s_waitcnt lgkmcnt(0)
	v_add_f32_e32 v4, 0x358637bd, v3
	s_mov_b32 s2, 0
	v_div_scale_f32 v8, null, v4, v4, 1.0
	v_div_scale_f32 v12, vcc_lo, 1.0, v4, 1.0
	v_rcp_f32_e32 v9, v8
	v_fma_f32 v10, -v8, v9, 1.0
	v_fmac_f32_e32 v9, v10, v9
	v_mul_f32_e32 v10, v12, v9
	v_fma_f32 v13, -v8, v10, v12
	v_fmac_f32_e32 v10, v13, v9
	v_fma_f32 v8, -v8, v10, v12
	v_div_fmas_f32 v8, v8, v9, v10
	v_div_fixup_f32 v4, v8, v4, 1.0
	v_mov_b32_e32 v8, v0
.LBB104_27:                             ; =>This Inner Loop Header: Depth=1
	ds_read_b32 v9, v7
	v_add_nc_u32_e32 v8, 0x80, v8
	v_cmp_le_i32_e32 vcc_lo, s4, v8
	s_or_b32 s2, vcc_lo, s2
	s_waitcnt lgkmcnt(0)
	v_mul_f32_e32 v9, v4, v9
	ds_write_b32 v7, v9
	v_add_nc_u32_e32 v7, 0x200, v7
	s_andn2_b32 exec_lo, exec_lo, s2
	s_cbranch_execnz .LBB104_27
.LBB104_28:
	s_or_b32 exec_lo, exec_lo, s1
	s_mul_i32 s1, s7, s22
	s_waitcnt lgkmcnt(0)
	s_mul_i32 s4, s1, s9
	s_mov_b32 s1, exec_lo
	s_barrier
	buffer_gl0_inv
	v_cmpx_eq_u32_e32 0, v0
	s_cbranch_execz .LBB104_30
; %bb.29:
	s_ashr_i32 s5, s4, 31
	s_mul_i32 s30, s7, s6
	s_lshl_b64 s[2:3], s[4:5], 2
	v_mov_b32_e32 v4, 0
	s_add_u32 s5, s18, s2
	s_addc_u32 s6, s19, s3
	s_ashr_i32 s31, s30, 31
	s_lshl_b64 s[18:19], s[30:31], 2
	s_add_u32 s5, s5, s18
	s_addc_u32 s6, s6, s19
	s_ashr_i32 s9, s8, 31
	s_lshl_b64 s[30:31], s[8:9], 2
	s_add_u32 s34, s5, s30
	s_addc_u32 s35, s6, s31
	s_add_u32 s2, s16, s2
	s_addc_u32 s3, s17, s3
	s_add_u32 s2, s2, s18
	s_addc_u32 s3, s3, s19
	s_add_u32 s2, s2, s30
	s_addc_u32 s3, s3, s31
	global_store_dword v4, v2, s[34:35]
	global_store_dword v4, v3, s[2:3]
.LBB104_30:
	s_or_b32 exec_lo, exec_lo, s1
	v_lshrrev_b32_e32 v10, 1, v1
	s_and_saveexec_b32 s1, s0
	s_xor_b32 s0, exec_lo, s1
; %bb.31:
	v_lshrrev_b32_e32 v10, 1, v1
                                        ; implicit-def: $vgpr5
                                        ; implicit-def: $vgpr36
; %bb.32:
	s_or_saveexec_b32 s3, s0
	v_mov_b32_e32 v18, 0
	v_mov_b32_e32 v19, 0
	;; [unrolled: 1-line block ×8, first 2 shown]
	s_xor_b32 exec_lo, exec_lo, s3
	s_cbranch_execz .LBB104_54
; %bb.33:
	v_and_b32_e32 v1, 8, v36
	v_or_b32_e32 v2, 0x70, v10
	v_lshl_add_u32 v7, v35, 4, s33
	s_ashr_i32 s15, s14, 31
	v_lshlrev_b32_e32 v3, 5, v34
	s_lshl_b64 s[0:1], s[14:15], 1
	v_lshl_or_b32 v4, v10, 4, v1
	s_add_u32 s5, s28, s0
	v_cmp_gt_u32_e64 s0, 0x78, v2
	v_lshl_or_b32 v8, v2, 4, v1
	v_add3_u32 v21, v7, v1, 7
	v_lshlrev_b64 v[1:2], 2, v[5:6]
	s_addc_u32 s6, s29, s1
	s_lshl_b64 s[14:15], s[26:27], 2
	s_add_i32 s12, s12, -1
	v_lshl_or_b32 v3, v35, 6, v3
	s_add_u32 s1, s24, s14
	s_addc_u32 s2, s25, s15
	v_add_co_u32 v6, vcc_lo, s1, v1
	v_mov_b32_e32 v20, 0
	v_add_nc_u32_e32 v22, 0x110, v3
	v_add_co_ci_u32_e64 v7, null, s2, v2, vcc_lo
	v_lshlrev_b32_e32 v23, 1, v4
	v_lshlrev_b32_e32 v24, 1, v8
	v_mov_b32_e32 v12, 0
	v_mov_b32_e32 v13, 0
	v_mov_b32_e32 v14, 0
	v_mov_b32_e32 v15, 0
	v_mov_b32_e32 v16, 0
	v_mov_b32_e32 v17, 0
	v_mov_b32_e32 v19, 0
	v_mov_b32_e32 v18, 0
	s_mov_b32 s9, 0
	s_branch .LBB104_36
.LBB104_34:                             ;   in Loop: Header=BB104_36 Depth=1
	s_or_b32 exec_lo, exec_lo, s14
	v_lshlrev_b32_e32 v26, 16, v47
	v_lshlrev_b32_e32 v29, 16, v29
	;; [unrolled: 1-line block ×3, first 2 shown]
	v_and_or_b32 v1, 0xffff, v1, v26
	v_and_or_b32 v2, 0xffff, v2, v29
	;; [unrolled: 1-line block ×3, first 2 shown]
	;;#ASMSTART
	v_pk_mul_f16 v1, v31, v1;

	;;#ASMEND
	;;#ASMSTART
	v_pk_mul_f16 v2, v30, v2;

	;;#ASMEND
	;; [unrolled: 4-line block ×4, first 2 shown]
	;;#ASMSTART
	v_pk_add_f16 v1, v1, v2;

	;;#ASMEND
	;;#ASMSTART
	v_pk_add_f16 v1, v1, v3;

	;;#ASMEND
	;; [unrolled: 4-line block ×3, first 2 shown]
	v_and_b32_e32 v2, 0xffff, v1
	v_lshrrev_b32_e32 v3, 16, v1
	;;#ASMSTART
	v_cvt_f32_f16 v1, v2;
	;;#ASMEND
	;;#ASMSTART
	v_cvt_f32_f16 v2, v3;
	;;#ASMEND
	v_add_f32_e32 v1, v1, v2
	v_add_f32_e32 v12, v12, v1
.LBB104_35:                             ;   in Loop: Header=BB104_36 Depth=1
	s_or_b32 exec_lo, exec_lo, s2
	v_add_f32_e32 v1, v8, v9
	v_add_f32_e32 v2, v45, v46
	v_add_f32_e32 v3, v43, v44
	v_add_nc_u32_e32 v5, 4, v5
	v_add_f32_e32 v4, v41, v42
	v_add_f32_e32 v13, v13, v1
	;; [unrolled: 1-line block ×7, first 2 shown]
	v_cmp_le_i32_e32 vcc_lo, s11, v5
	v_add_co_u32 v6, s1, v6, 16
	v_add_f32_e32 v16, v16, v4
	v_add_f32_e32 v17, v17, v1
	v_add_f32_e32 v19, v19, v2
	v_add_f32_e32 v18, v18, v3
	v_add_nc_u32_e32 v21, 64, v21
	v_add_nc_u32_e32 v22, 0x100, v22
	v_add_co_ci_u32_e64 v7, null, 0, v7, s1
	s_or_b32 s9, vcc_lo, s9
	s_andn2_b32 exec_lo, exec_lo, s9
	s_cbranch_execz .LBB104_53
.LBB104_36:                             ; =>This Inner Loop Header: Depth=1
	global_load_dword v8, v[6:7], off
	ds_read2_b64 v[1:4], v22 offset1:1
	ds_read2_b64 v[38:41], v22 offset0:2 offset1:3
	s_waitcnt lgkmcnt(1)
	;;#ASMSTART
	v_cvt_f16_f32 v31, v1;

	;;#ASMEND
	;;#ASMSTART
	v_cvt_f16_f32 v25, v2;

	;;#ASMEND
	;; [unrolled: 4-line block ×4, first 2 shown]
	s_waitcnt lgkmcnt(0)
	;;#ASMSTART
	v_cvt_f16_f32 v38, v38;

	;;#ASMEND
	;;#ASMSTART
	v_cvt_f16_f32 v32, v39;

	;;#ASMEND
	;; [unrolled: 4-line block ×4, first 2 shown]
	v_add_nc_u32_e32 v26, -7, v21
	v_cmp_eq_u32_e64 s1, s12, v5
	s_waitcnt vmcnt(0)
	v_mad_i64_i32 v[8:9], null, v8, s13, 0
	v_lshlrev_b64 v[8:9], 1, v[8:9]
	v_add_co_u32 v28, vcc_lo, s5, v8
	v_add_co_ci_u32_e64 v29, null, s6, v9, vcc_lo
	v_add_co_u32 v8, vcc_lo, v28, v23
	v_add_co_ci_u32_e64 v9, null, 0, v29, vcc_lo
	global_load_dwordx4 v[1:4], v[8:9], off
	s_waitcnt vmcnt(0)
	v_lshrrev_b32_e32 v41, 16, v1
	v_lshrrev_b32_e32 v40, 16, v2
	v_lshrrev_b32_e32 v39, 16, v3
	s_and_saveexec_b32 s14, s1
	s_cbranch_execz .LBB104_38
; %bb.37:                               ;   in Loop: Header=BB104_36 Depth=1
	v_add_nc_u32_e32 v42, -6, v21
	v_cmp_gt_i32_e32 vcc_lo, s23, v26
	v_add_nc_u32_e32 v43, -5, v21
	v_add_nc_u32_e32 v45, -1, v21
	;; [unrolled: 1-line block ×3, first 2 shown]
	v_cndmask_b32_e32 v1, 0, v1, vcc_lo
	v_cmp_gt_i32_e32 vcc_lo, s23, v42
	v_add_nc_u32_e32 v42, -3, v21
	v_cmp_gt_i32_e64 s2, s23, v44
	v_and_b32_e32 v44, 0xffff0000, v4
	v_cndmask_b32_e32 v41, 0, v41, vcc_lo
	v_cmp_gt_i32_e32 vcc_lo, s23, v43
	v_add_nc_u32_e32 v43, -2, v21
	v_cndmask_b32_e64 v40, 0, v40, s2
	v_cndmask_b32_e32 v2, 0, v2, vcc_lo
	v_cmp_gt_i32_e32 vcc_lo, s23, v45
	v_cndmask_b32_sdwa v4, v20, v4, vcc_lo dst_sel:DWORD dst_unused:UNUSED_PAD src0_sel:DWORD src1_sel:WORD_0
	v_cmp_gt_i32_e32 vcc_lo, s23, v21
	v_cndmask_b32_e32 v44, 0, v44, vcc_lo
	v_cmp_gt_i32_e32 vcc_lo, s23, v42
	v_or_b32_e32 v4, v4, v44
	v_cndmask_b32_e32 v3, 0, v3, vcc_lo
	v_cmp_gt_i32_e32 vcc_lo, s23, v43
	v_cndmask_b32_e32 v39, 0, v39, vcc_lo
.LBB104_38:                             ;   in Loop: Header=BB104_36 Depth=1
	s_or_b32 exec_lo, exec_lo, s14
	v_and_b32_e32 v31, 0xffff, v31
	v_and_b32_e32 v37, 0xffff, v37
	v_lshlrev_b32_e32 v41, 16, v41
	v_and_b32_e32 v38, 0xffff, v38
	v_and_b32_e32 v36, 0xffff, v36
	v_lshl_or_b32 v31, v25, 16, v31
	v_lshl_or_b32 v30, v30, 16, v37
	v_lshlrev_b32_e32 v25, 16, v40
	v_lshlrev_b32_e32 v37, 16, v39
	v_and_or_b32 v1, 0xffff, v1, v41
	;;#ASMSTART
	v_pk_mul_f16 v1, v31, v1;

	;;#ASMEND
	v_lshl_or_b32 v32, v32, 16, v38
	v_and_or_b32 v2, 0xffff, v2, v25
	v_and_or_b32 v3, 0xffff, v3, v37
	v_lshl_or_b32 v36, v27, 16, v36
	;;#ASMSTART
	v_pk_mul_f16 v2, v30, v2;

	;;#ASMEND
	;;#ASMSTART
	v_pk_mul_f16 v3, v32, v3;

	;;#ASMEND
	;; [unrolled: 4-line block ×3, first 2 shown]
	;;#ASMSTART
	v_pk_add_f16 v1, v1, v2;

	;;#ASMEND
	;;#ASMSTART
	v_pk_add_f16 v1, v1, v3;

	;;#ASMEND
	;; [unrolled: 4-line block ×3, first 2 shown]
	v_and_b32_e32 v2, 0xffff, v1
	v_lshrrev_b32_e32 v1, 16, v1
	;;#ASMSTART
	v_cvt_f32_f16 v25, v2;
	;;#ASMEND
	;;#ASMSTART
	v_cvt_f32_f16 v27, v1;
	;;#ASMEND
	global_load_dwordx4 v[1:4], v[8:9], off offset:512
	s_waitcnt vmcnt(0)
	v_lshrrev_b32_e32 v39, 16, v1
	v_lshrrev_b32_e32 v38, 16, v2
	;; [unrolled: 1-line block ×3, first 2 shown]
	s_and_saveexec_b32 s14, s1
	s_cbranch_execz .LBB104_40
; %bb.39:                               ;   in Loop: Header=BB104_36 Depth=1
	v_add_nc_u32_e32 v40, -6, v21
	v_cmp_gt_i32_e32 vcc_lo, s23, v26
	v_add_nc_u32_e32 v41, -5, v21
	v_add_nc_u32_e32 v43, -1, v21
	;; [unrolled: 1-line block ×3, first 2 shown]
	v_cndmask_b32_e32 v1, 0, v1, vcc_lo
	v_cmp_gt_i32_e32 vcc_lo, s23, v40
	v_add_nc_u32_e32 v40, -3, v21
	v_cmp_gt_i32_e64 s2, s23, v42
	v_and_b32_e32 v42, 0xffff0000, v4
	v_cndmask_b32_e32 v39, 0, v39, vcc_lo
	v_cmp_gt_i32_e32 vcc_lo, s23, v41
	v_add_nc_u32_e32 v41, -2, v21
	v_cndmask_b32_e64 v38, 0, v38, s2
	v_cndmask_b32_e32 v2, 0, v2, vcc_lo
	v_cmp_gt_i32_e32 vcc_lo, s23, v43
	v_cndmask_b32_sdwa v4, v20, v4, vcc_lo dst_sel:DWORD dst_unused:UNUSED_PAD src0_sel:DWORD src1_sel:WORD_0
	v_cmp_gt_i32_e32 vcc_lo, s23, v21
	v_cndmask_b32_e32 v42, 0, v42, vcc_lo
	v_cmp_gt_i32_e32 vcc_lo, s23, v40
	v_or_b32_e32 v4, v4, v42
	v_cndmask_b32_e32 v3, 0, v3, vcc_lo
	v_cmp_gt_i32_e32 vcc_lo, s23, v41
	v_cndmask_b32_e32 v37, 0, v37, vcc_lo
.LBB104_40:                             ;   in Loop: Header=BB104_36 Depth=1
	s_or_b32 exec_lo, exec_lo, s14
	v_lshlrev_b32_e32 v39, 16, v39
	v_lshlrev_b32_e32 v38, 16, v38
	;; [unrolled: 1-line block ×3, first 2 shown]
	v_and_or_b32 v1, 0xffff, v1, v39
	v_and_or_b32 v2, 0xffff, v2, v38
	;; [unrolled: 1-line block ×3, first 2 shown]
	;;#ASMSTART
	v_pk_mul_f16 v1, v31, v1;

	;;#ASMEND
	;;#ASMSTART
	v_pk_mul_f16 v2, v30, v2;

	;;#ASMEND
	;; [unrolled: 4-line block ×4, first 2 shown]
	;;#ASMSTART
	v_pk_add_f16 v1, v1, v2;

	;;#ASMEND
	;;#ASMSTART
	v_pk_add_f16 v1, v1, v3;

	;;#ASMEND
	;; [unrolled: 4-line block ×3, first 2 shown]
	v_and_b32_e32 v2, 0xffff, v1
	v_lshrrev_b32_e32 v1, 16, v1
	;;#ASMSTART
	v_cvt_f32_f16 v37, v2;
	;;#ASMEND
	;;#ASMSTART
	v_cvt_f32_f16 v38, v1;
	;;#ASMEND
	global_load_dwordx4 v[1:4], v[8:9], off offset:1024
	s_waitcnt vmcnt(0)
	v_lshrrev_b32_e32 v41, 16, v1
	v_lshrrev_b32_e32 v40, 16, v2
	;; [unrolled: 1-line block ×3, first 2 shown]
	s_and_saveexec_b32 s14, s1
	s_cbranch_execz .LBB104_42
; %bb.41:                               ;   in Loop: Header=BB104_36 Depth=1
	v_add_nc_u32_e32 v42, -6, v21
	v_cmp_gt_i32_e32 vcc_lo, s23, v26
	v_add_nc_u32_e32 v43, -5, v21
	v_add_nc_u32_e32 v45, -1, v21
	;; [unrolled: 1-line block ×3, first 2 shown]
	v_cndmask_b32_e32 v1, 0, v1, vcc_lo
	v_cmp_gt_i32_e32 vcc_lo, s23, v42
	v_add_nc_u32_e32 v42, -3, v21
	v_cmp_gt_i32_e64 s2, s23, v44
	v_and_b32_e32 v44, 0xffff0000, v4
	v_cndmask_b32_e32 v41, 0, v41, vcc_lo
	v_cmp_gt_i32_e32 vcc_lo, s23, v43
	v_add_nc_u32_e32 v43, -2, v21
	v_cndmask_b32_e64 v40, 0, v40, s2
	v_cndmask_b32_e32 v2, 0, v2, vcc_lo
	v_cmp_gt_i32_e32 vcc_lo, s23, v45
	v_cndmask_b32_sdwa v4, v20, v4, vcc_lo dst_sel:DWORD dst_unused:UNUSED_PAD src0_sel:DWORD src1_sel:WORD_0
	v_cmp_gt_i32_e32 vcc_lo, s23, v21
	v_cndmask_b32_e32 v44, 0, v44, vcc_lo
	v_cmp_gt_i32_e32 vcc_lo, s23, v42
	v_or_b32_e32 v4, v4, v44
	v_cndmask_b32_e32 v3, 0, v3, vcc_lo
	v_cmp_gt_i32_e32 vcc_lo, s23, v43
	v_cndmask_b32_e32 v39, 0, v39, vcc_lo
.LBB104_42:                             ;   in Loop: Header=BB104_36 Depth=1
	s_or_b32 exec_lo, exec_lo, s14
	v_lshlrev_b32_e32 v41, 16, v41
	v_lshlrev_b32_e32 v40, 16, v40
	;; [unrolled: 1-line block ×3, first 2 shown]
	v_and_or_b32 v1, 0xffff, v1, v41
	v_and_or_b32 v2, 0xffff, v2, v40
	;; [unrolled: 1-line block ×3, first 2 shown]
	;;#ASMSTART
	v_pk_mul_f16 v1, v31, v1;

	;;#ASMEND
	;;#ASMSTART
	v_pk_mul_f16 v2, v30, v2;

	;;#ASMEND
	;; [unrolled: 4-line block ×4, first 2 shown]
	;;#ASMSTART
	v_pk_add_f16 v1, v1, v2;

	;;#ASMEND
	;;#ASMSTART
	v_pk_add_f16 v1, v1, v3;

	;;#ASMEND
	;; [unrolled: 4-line block ×3, first 2 shown]
	v_and_b32_e32 v2, 0xffff, v1
	v_lshrrev_b32_e32 v1, 16, v1
	;;#ASMSTART
	v_cvt_f32_f16 v39, v2;
	;;#ASMEND
	;;#ASMSTART
	v_cvt_f32_f16 v40, v1;
	;;#ASMEND
	global_load_dwordx4 v[1:4], v[8:9], off offset:1536
	s_waitcnt vmcnt(0)
	v_lshrrev_b32_e32 v43, 16, v1
	v_lshrrev_b32_e32 v42, 16, v2
	;; [unrolled: 1-line block ×3, first 2 shown]
	s_and_saveexec_b32 s14, s1
	s_cbranch_execz .LBB104_44
; %bb.43:                               ;   in Loop: Header=BB104_36 Depth=1
	v_add_nc_u32_e32 v44, -6, v21
	v_cmp_gt_i32_e32 vcc_lo, s23, v26
	v_add_nc_u32_e32 v45, -5, v21
	v_add_nc_u32_e32 v47, -1, v21
	;; [unrolled: 1-line block ×3, first 2 shown]
	v_cndmask_b32_e32 v1, 0, v1, vcc_lo
	v_cmp_gt_i32_e32 vcc_lo, s23, v44
	v_add_nc_u32_e32 v44, -3, v21
	v_cmp_gt_i32_e64 s2, s23, v46
	v_and_b32_e32 v46, 0xffff0000, v4
	v_cndmask_b32_e32 v43, 0, v43, vcc_lo
	v_cmp_gt_i32_e32 vcc_lo, s23, v45
	v_add_nc_u32_e32 v45, -2, v21
	v_cndmask_b32_e64 v42, 0, v42, s2
	v_cndmask_b32_e32 v2, 0, v2, vcc_lo
	v_cmp_gt_i32_e32 vcc_lo, s23, v47
	v_cndmask_b32_sdwa v4, v20, v4, vcc_lo dst_sel:DWORD dst_unused:UNUSED_PAD src0_sel:DWORD src1_sel:WORD_0
	v_cmp_gt_i32_e32 vcc_lo, s23, v21
	v_cndmask_b32_e32 v46, 0, v46, vcc_lo
	v_cmp_gt_i32_e32 vcc_lo, s23, v44
	v_or_b32_e32 v4, v4, v46
	v_cndmask_b32_e32 v3, 0, v3, vcc_lo
	v_cmp_gt_i32_e32 vcc_lo, s23, v45
	v_cndmask_b32_e32 v41, 0, v41, vcc_lo
.LBB104_44:                             ;   in Loop: Header=BB104_36 Depth=1
	s_or_b32 exec_lo, exec_lo, s14
	v_lshlrev_b32_e32 v43, 16, v43
	v_lshlrev_b32_e32 v42, 16, v42
	;; [unrolled: 1-line block ×3, first 2 shown]
	v_add_co_u32 v8, vcc_lo, 0x800, v8
	v_and_or_b32 v1, 0xffff, v1, v43
	v_and_or_b32 v2, 0xffff, v2, v42
	;; [unrolled: 1-line block ×3, first 2 shown]
	;;#ASMSTART
	v_pk_mul_f16 v1, v31, v1;

	;;#ASMEND
	v_add_co_ci_u32_e64 v9, null, 0, v9, vcc_lo
	;;#ASMSTART
	v_pk_mul_f16 v2, v30, v2;

	;;#ASMEND
	;;#ASMSTART
	v_pk_mul_f16 v3, v32, v3;

	;;#ASMEND
	;; [unrolled: 4-line block ×3, first 2 shown]
	;;#ASMSTART
	v_pk_add_f16 v1, v1, v2;

	;;#ASMEND
	;;#ASMSTART
	v_pk_add_f16 v1, v1, v3;

	;;#ASMEND
	;; [unrolled: 4-line block ×3, first 2 shown]
	v_lshrrev_b32_e32 v2, 16, v1
	v_and_b32_e32 v1, 0xffff, v1
	;;#ASMSTART
	v_cvt_f32_f16 v41, v1;
	;;#ASMEND
	;;#ASMSTART
	v_cvt_f32_f16 v42, v2;
	;;#ASMEND
	global_load_dwordx4 v[1:4], v[8:9], off
	s_waitcnt vmcnt(0)
	v_lshrrev_b32_e32 v45, 16, v1
	v_lshrrev_b32_e32 v44, 16, v2
	;; [unrolled: 1-line block ×3, first 2 shown]
	s_and_saveexec_b32 s14, s1
	s_cbranch_execz .LBB104_46
; %bb.45:                               ;   in Loop: Header=BB104_36 Depth=1
	v_add_nc_u32_e32 v46, -6, v21
	v_cmp_gt_i32_e32 vcc_lo, s23, v26
	v_add_nc_u32_e32 v47, -5, v21
	v_add_nc_u32_e32 v49, -1, v21
	;; [unrolled: 1-line block ×3, first 2 shown]
	v_cndmask_b32_e32 v1, 0, v1, vcc_lo
	v_cmp_gt_i32_e32 vcc_lo, s23, v46
	v_add_nc_u32_e32 v46, -3, v21
	v_cmp_gt_i32_e64 s2, s23, v48
	v_and_b32_e32 v48, 0xffff0000, v4
	v_cndmask_b32_e32 v45, 0, v45, vcc_lo
	v_cmp_gt_i32_e32 vcc_lo, s23, v47
	v_add_nc_u32_e32 v47, -2, v21
	v_cndmask_b32_e64 v44, 0, v44, s2
	v_cndmask_b32_e32 v2, 0, v2, vcc_lo
	v_cmp_gt_i32_e32 vcc_lo, s23, v49
	v_cndmask_b32_sdwa v4, v20, v4, vcc_lo dst_sel:DWORD dst_unused:UNUSED_PAD src0_sel:DWORD src1_sel:WORD_0
	v_cmp_gt_i32_e32 vcc_lo, s23, v21
	v_cndmask_b32_e32 v48, 0, v48, vcc_lo
	v_cmp_gt_i32_e32 vcc_lo, s23, v46
	v_or_b32_e32 v4, v4, v48
	v_cndmask_b32_e32 v3, 0, v3, vcc_lo
	v_cmp_gt_i32_e32 vcc_lo, s23, v47
	v_cndmask_b32_e32 v43, 0, v43, vcc_lo
.LBB104_46:                             ;   in Loop: Header=BB104_36 Depth=1
	s_or_b32 exec_lo, exec_lo, s14
	v_lshlrev_b32_e32 v45, 16, v45
	v_lshlrev_b32_e32 v44, 16, v44
	;; [unrolled: 1-line block ×3, first 2 shown]
	v_and_or_b32 v1, 0xffff, v1, v45
	v_and_or_b32 v2, 0xffff, v2, v44
	;; [unrolled: 1-line block ×3, first 2 shown]
	;;#ASMSTART
	v_pk_mul_f16 v1, v31, v1;

	;;#ASMEND
	;;#ASMSTART
	v_pk_mul_f16 v2, v30, v2;

	;;#ASMEND
	;; [unrolled: 4-line block ×4, first 2 shown]
	;;#ASMSTART
	v_pk_add_f16 v1, v1, v2;

	;;#ASMEND
	;;#ASMSTART
	v_pk_add_f16 v1, v1, v3;

	;;#ASMEND
	;; [unrolled: 4-line block ×3, first 2 shown]
	v_and_b32_e32 v2, 0xffff, v1
	v_lshrrev_b32_e32 v1, 16, v1
	;;#ASMSTART
	v_cvt_f32_f16 v43, v2;
	;;#ASMEND
	;;#ASMSTART
	v_cvt_f32_f16 v44, v1;
	;;#ASMEND
	global_load_dwordx4 v[1:4], v[8:9], off offset:512
	s_waitcnt vmcnt(0)
	v_lshrrev_b32_e32 v47, 16, v1
	v_lshrrev_b32_e32 v46, 16, v2
	;; [unrolled: 1-line block ×3, first 2 shown]
	s_and_saveexec_b32 s14, s1
	s_cbranch_execz .LBB104_48
; %bb.47:                               ;   in Loop: Header=BB104_36 Depth=1
	v_add_nc_u32_e32 v48, -6, v21
	v_cmp_gt_i32_e32 vcc_lo, s23, v26
	v_add_nc_u32_e32 v49, -5, v21
	v_add_nc_u32_e32 v51, -1, v21
	;; [unrolled: 1-line block ×3, first 2 shown]
	v_cndmask_b32_e32 v1, 0, v1, vcc_lo
	v_cmp_gt_i32_e32 vcc_lo, s23, v48
	v_add_nc_u32_e32 v48, -3, v21
	v_cmp_gt_i32_e64 s2, s23, v50
	v_and_b32_e32 v50, 0xffff0000, v4
	v_cndmask_b32_e32 v47, 0, v47, vcc_lo
	v_cmp_gt_i32_e32 vcc_lo, s23, v49
	v_add_nc_u32_e32 v49, -2, v21
	v_cndmask_b32_e64 v46, 0, v46, s2
	v_cndmask_b32_e32 v2, 0, v2, vcc_lo
	v_cmp_gt_i32_e32 vcc_lo, s23, v51
	v_cndmask_b32_sdwa v4, v20, v4, vcc_lo dst_sel:DWORD dst_unused:UNUSED_PAD src0_sel:DWORD src1_sel:WORD_0
	v_cmp_gt_i32_e32 vcc_lo, s23, v21
	v_cndmask_b32_e32 v50, 0, v50, vcc_lo
	v_cmp_gt_i32_e32 vcc_lo, s23, v48
	v_or_b32_e32 v4, v4, v50
	v_cndmask_b32_e32 v3, 0, v3, vcc_lo
	v_cmp_gt_i32_e32 vcc_lo, s23, v49
	v_cndmask_b32_e32 v45, 0, v45, vcc_lo
.LBB104_48:                             ;   in Loop: Header=BB104_36 Depth=1
	s_or_b32 exec_lo, exec_lo, s14
	v_lshlrev_b32_e32 v47, 16, v47
	v_lshlrev_b32_e32 v46, 16, v46
	v_lshlrev_b32_e32 v45, 16, v45
	v_and_or_b32 v1, 0xffff, v1, v47
	v_and_or_b32 v2, 0xffff, v2, v46
	;; [unrolled: 1-line block ×3, first 2 shown]
	;;#ASMSTART
	v_pk_mul_f16 v1, v31, v1;

	;;#ASMEND
	;;#ASMSTART
	v_pk_mul_f16 v2, v30, v2;

	;;#ASMEND
	;; [unrolled: 4-line block ×4, first 2 shown]
	;;#ASMSTART
	v_pk_add_f16 v1, v1, v2;

	;;#ASMEND
	;;#ASMSTART
	v_pk_add_f16 v1, v1, v3;

	;;#ASMEND
	;; [unrolled: 4-line block ×3, first 2 shown]
	v_and_b32_e32 v2, 0xffff, v1
	v_lshrrev_b32_e32 v1, 16, v1
	;;#ASMSTART
	v_cvt_f32_f16 v45, v2;
	;;#ASMEND
	;;#ASMSTART
	v_cvt_f32_f16 v46, v1;
	;;#ASMEND
	global_load_dwordx4 v[1:4], v[8:9], off offset:1024
	s_waitcnt vmcnt(0)
	v_lshrrev_b32_e32 v47, 16, v1
	v_lshrrev_b32_e32 v9, 16, v2
	;; [unrolled: 1-line block ×3, first 2 shown]
	s_and_saveexec_b32 s14, s1
	s_cbranch_execz .LBB104_50
; %bb.49:                               ;   in Loop: Header=BB104_36 Depth=1
	v_add_nc_u32_e32 v48, -6, v21
	v_cmp_gt_i32_e32 vcc_lo, s23, v26
	v_add_nc_u32_e32 v49, -5, v21
	v_add_nc_u32_e32 v51, -1, v21
	;; [unrolled: 1-line block ×3, first 2 shown]
	v_cndmask_b32_e32 v1, 0, v1, vcc_lo
	v_cmp_gt_i32_e32 vcc_lo, s23, v48
	v_add_nc_u32_e32 v48, -3, v21
	v_cmp_gt_i32_e64 s2, s23, v50
	v_and_b32_e32 v50, 0xffff0000, v4
	v_cndmask_b32_e32 v47, 0, v47, vcc_lo
	v_cmp_gt_i32_e32 vcc_lo, s23, v49
	v_add_nc_u32_e32 v49, -2, v21
	v_cndmask_b32_e64 v9, 0, v9, s2
	v_cndmask_b32_e32 v2, 0, v2, vcc_lo
	v_cmp_gt_i32_e32 vcc_lo, s23, v51
	v_cndmask_b32_sdwa v4, v20, v4, vcc_lo dst_sel:DWORD dst_unused:UNUSED_PAD src0_sel:DWORD src1_sel:WORD_0
	v_cmp_gt_i32_e32 vcc_lo, s23, v21
	v_cndmask_b32_e32 v50, 0, v50, vcc_lo
	v_cmp_gt_i32_e32 vcc_lo, s23, v48
	v_or_b32_e32 v4, v4, v50
	v_cndmask_b32_e32 v3, 0, v3, vcc_lo
	v_cmp_gt_i32_e32 vcc_lo, s23, v49
	v_cndmask_b32_e32 v8, 0, v8, vcc_lo
.LBB104_50:                             ;   in Loop: Header=BB104_36 Depth=1
	s_or_b32 exec_lo, exec_lo, s14
	v_lshlrev_b32_e32 v47, 16, v47
	v_lshlrev_b32_e32 v9, 16, v9
	;; [unrolled: 1-line block ×3, first 2 shown]
	v_and_or_b32 v1, 0xffff, v1, v47
	v_and_or_b32 v2, 0xffff, v2, v9
	;; [unrolled: 1-line block ×3, first 2 shown]
	;;#ASMSTART
	v_pk_mul_f16 v1, v31, v1;

	;;#ASMEND
	;;#ASMSTART
	v_pk_mul_f16 v2, v30, v2;

	;;#ASMEND
	;; [unrolled: 4-line block ×4, first 2 shown]
	;;#ASMSTART
	v_pk_add_f16 v1, v1, v2;

	;;#ASMEND
	;;#ASMSTART
	v_pk_add_f16 v1, v1, v3;

	;;#ASMEND
	;; [unrolled: 4-line block ×3, first 2 shown]
	v_and_b32_e32 v2, 0xffff, v1
	v_lshrrev_b32_e32 v1, 16, v1
	;;#ASMSTART
	v_cvt_f32_f16 v8, v2;
	;;#ASMEND
	;;#ASMSTART
	v_cvt_f32_f16 v9, v1;
	;;#ASMEND
	s_and_saveexec_b32 s2, s0
	s_cbranch_execz .LBB104_35
; %bb.51:                               ;   in Loop: Header=BB104_36 Depth=1
	v_add_co_u32 v1, vcc_lo, v28, v24
	v_add_co_ci_u32_e64 v2, null, 0, v29, vcc_lo
	global_load_dwordx4 v[1:4], v[1:2], off
	s_waitcnt vmcnt(0)
	v_lshrrev_b32_e32 v47, 16, v1
	v_lshrrev_b32_e32 v29, 16, v2
	;; [unrolled: 1-line block ×3, first 2 shown]
	s_and_saveexec_b32 s14, s1
	s_cbranch_execz .LBB104_34
; %bb.52:                               ;   in Loop: Header=BB104_36 Depth=1
	v_add_nc_u32_e32 v48, -6, v21
	v_cmp_gt_i32_e32 vcc_lo, s23, v26
	v_add_nc_u32_e32 v26, -5, v21
	v_add_nc_u32_e32 v50, -1, v21
	;; [unrolled: 1-line block ×3, first 2 shown]
	v_cndmask_b32_e32 v1, 0, v1, vcc_lo
	v_cmp_gt_i32_e32 vcc_lo, s23, v48
	v_add_nc_u32_e32 v48, -2, v21
	v_cmp_gt_i32_e64 s1, s23, v49
	v_and_b32_e32 v49, 0xffff0000, v4
	v_cndmask_b32_e32 v47, 0, v47, vcc_lo
	v_cmp_gt_i32_e32 vcc_lo, s23, v26
	v_add_nc_u32_e32 v26, -3, v21
	v_cndmask_b32_e64 v29, 0, v29, s1
	v_cndmask_b32_e32 v2, 0, v2, vcc_lo
	v_cmp_gt_i32_e32 vcc_lo, s23, v50
	v_cndmask_b32_sdwa v4, v20, v4, vcc_lo dst_sel:DWORD dst_unused:UNUSED_PAD src0_sel:DWORD src1_sel:WORD_0
	v_cmp_gt_i32_e32 vcc_lo, s23, v21
	v_cndmask_b32_e32 v49, 0, v49, vcc_lo
	v_cmp_gt_i32_e32 vcc_lo, s23, v26
	v_or_b32_e32 v4, v4, v49
	v_cndmask_b32_e32 v3, 0, v3, vcc_lo
	v_cmp_gt_i32_e32 vcc_lo, s23, v48
	v_cndmask_b32_e32 v28, 0, v28, vcc_lo
	s_branch .LBB104_34
.LBB104_53:
	s_or_b32 exec_lo, exec_lo, s9
.LBB104_54:
	s_or_b32 exec_lo, exec_lo, s3
	ds_bpermute_b32 v1, v11, v18
	ds_bpermute_b32 v2, v11, v19
	;; [unrolled: 1-line block ×8, first 2 shown]
	s_movk_i32 s0, 0x1e0
	v_and_b32_e32 v23, 0x3c0, v0
	v_mad_u32_u24 v9, v35, s0, 0x110
	s_mov_b32 s1, exec_lo
	v_cmp_eq_u32_e32 vcc_lo, 0, v34
	s_waitcnt lgkmcnt(0)
	s_waitcnt_vscnt null, 0x0
	s_barrier
	buffer_gl0_inv
	v_add_f32_e32 v8, v18, v1
	v_add_f32_e32 v7, v19, v2
	;; [unrolled: 1-line block ×8, first 2 shown]
	v_cmpx_eq_u32_e32 64, v23
	s_cbranch_execz .LBB104_59
; %bb.55:
	v_add_nc_u32_e32 v11, 0xfffffc40, v9
	s_and_saveexec_b32 s0, vcc_lo
	s_cbranch_execz .LBB104_57
; %bb.56:
	v_lshl_add_u32 v12, v10, 2, v11
	ds_write2_b32 v12, v8, v7 offset1:16
	ds_write2_b32 v12, v6, v5 offset0:32 offset1:48
	ds_write2_b32 v12, v4, v3 offset0:64 offset1:80
	ds_write_b32 v12, v2 offset:384
.LBB104_57:
	s_or_b32 exec_lo, exec_lo, s0
	v_or_b32_e32 v12, 0x70, v10
	v_cmp_gt_u32_e64 s0, 0x78, v12
	s_and_b32 s0, vcc_lo, s0
	s_and_b32 exec_lo, exec_lo, s0
; %bb.58:
	v_lshl_add_u32 v11, v12, 2, v11
	ds_write_b32 v11, v1
.LBB104_59:
	s_or_b32 exec_lo, exec_lo, s1
	s_mov_b32 s1, exec_lo
	s_waitcnt lgkmcnt(0)
	s_barrier
	buffer_gl0_inv
	v_cmpx_gt_u32_e32 64, v0
	s_cbranch_execz .LBB104_71
; %bb.60:
	s_and_saveexec_b32 s0, vcc_lo
	s_cbranch_execnz .LBB104_106
; %bb.61:
	s_or_b32 exec_lo, exec_lo, s0
	s_and_saveexec_b32 s0, vcc_lo
	s_cbranch_execnz .LBB104_107
.LBB104_62:
	s_or_b32 exec_lo, exec_lo, s0
	s_and_saveexec_b32 s0, vcc_lo
	s_cbranch_execnz .LBB104_108
.LBB104_63:
	s_or_b32 exec_lo, exec_lo, s0
	s_and_saveexec_b32 s0, vcc_lo
	s_cbranch_execnz .LBB104_109
.LBB104_64:
	s_or_b32 exec_lo, exec_lo, s0
	s_and_saveexec_b32 s0, vcc_lo
	s_cbranch_execnz .LBB104_110
.LBB104_65:
	s_or_b32 exec_lo, exec_lo, s0
	s_and_saveexec_b32 s0, vcc_lo
	s_cbranch_execnz .LBB104_111
.LBB104_66:
	s_or_b32 exec_lo, exec_lo, s0
	s_and_saveexec_b32 s0, vcc_lo
	s_cbranch_execz .LBB104_68
.LBB104_67:
	v_lshl_add_u32 v11, v10, 2, v9
	ds_read_b32 v11, v11 offset:384
	s_waitcnt lgkmcnt(0)
	v_add_f32_e32 v2, v2, v11
.LBB104_68:
	s_or_b32 exec_lo, exec_lo, s0
	v_or_b32_e32 v11, 0x70, v10
	v_cmp_gt_u32_e64 s0, 0x78, v11
	s_and_b32 s2, vcc_lo, s0
	s_and_saveexec_b32 s0, s2
	s_cbranch_execz .LBB104_70
; %bb.69:
	v_lshl_add_u32 v11, v10, 2, v9
	ds_read_b32 v11, v11 offset:448
	s_waitcnt lgkmcnt(0)
	v_add_f32_e32 v1, v1, v11
.LBB104_70:
	s_or_b32 exec_lo, exec_lo, s0
.LBB104_71:
	s_or_b32 exec_lo, exec_lo, s1
	v_and_b32_e32 v11, 0x3e0, v0
	s_mov_b32 s1, exec_lo
	s_barrier
	buffer_gl0_inv
	v_cmpx_eq_u32_e32 32, v11
	s_cbranch_execz .LBB104_76
; %bb.72:
	v_lshl_add_u32 v11, v10, 2, 0x110
	s_and_saveexec_b32 s0, vcc_lo
	s_cbranch_execz .LBB104_74
; %bb.73:
	ds_write2_b32 v11, v8, v7 offset1:16
	ds_write2_b32 v11, v6, v5 offset0:32 offset1:48
	ds_write2_b32 v11, v4, v3 offset0:64 offset1:80
	ds_write_b32 v11, v2 offset:384
.LBB104_74:
	s_or_b32 exec_lo, exec_lo, s0
	v_or_b32_e32 v12, 0x70, v10
	v_cmp_gt_u32_e64 s0, 0x78, v12
	s_and_b32 s0, vcc_lo, s0
	s_and_b32 exec_lo, exec_lo, s0
; %bb.75:
	ds_write_b32 v11, v1 offset:448
.LBB104_76:
	s_or_b32 exec_lo, exec_lo, s1
	v_cmp_gt_u32_e64 s0, 32, v0
	s_waitcnt lgkmcnt(0)
	s_barrier
	buffer_gl0_inv
	s_and_saveexec_b32 s2, s0
	s_cbranch_execz .LBB104_88
; %bb.77:
	v_lshl_add_u32 v0, v10, 2, v9
	s_and_saveexec_b32 s1, vcc_lo
	s_cbranch_execnz .LBB104_112
; %bb.78:
	s_or_b32 exec_lo, exec_lo, s1
	s_and_saveexec_b32 s1, vcc_lo
	s_cbranch_execnz .LBB104_113
.LBB104_79:
	s_or_b32 exec_lo, exec_lo, s1
	s_and_saveexec_b32 s1, vcc_lo
	s_cbranch_execnz .LBB104_114
.LBB104_80:
	s_or_b32 exec_lo, exec_lo, s1
	s_and_saveexec_b32 s1, vcc_lo
	s_cbranch_execnz .LBB104_115
.LBB104_81:
	s_or_b32 exec_lo, exec_lo, s1
	s_and_saveexec_b32 s1, vcc_lo
	s_cbranch_execnz .LBB104_116
.LBB104_82:
	s_or_b32 exec_lo, exec_lo, s1
	s_and_saveexec_b32 s1, vcc_lo
	s_cbranch_execnz .LBB104_117
.LBB104_83:
	s_or_b32 exec_lo, exec_lo, s1
	s_and_saveexec_b32 s1, vcc_lo
	s_cbranch_execz .LBB104_85
.LBB104_84:
	ds_read_b32 v9, v0 offset:384
	s_waitcnt lgkmcnt(0)
	v_add_f32_e32 v2, v2, v9
.LBB104_85:
	s_or_b32 exec_lo, exec_lo, s1
	v_or_b32_e32 v9, 0x70, v10
	v_cmp_gt_u32_e64 s1, 0x78, v9
	s_and_b32 s3, vcc_lo, s1
	s_and_saveexec_b32 s1, s3
	s_cbranch_execz .LBB104_87
; %bb.86:
	ds_read_b32 v0, v0 offset:448
	s_waitcnt lgkmcnt(0)
	v_add_f32_e32 v1, v1, v0
.LBB104_87:
	s_or_b32 exec_lo, exec_lo, s1
.LBB104_88:
	s_or_b32 exec_lo, exec_lo, s2
	s_barrier
	buffer_gl0_inv
	s_and_saveexec_b32 s1, s0
	s_cbranch_execz .LBB104_105
; %bb.89:
	s_mul_i32 s0, s4, 0x78
	s_mul_i32 s2, s7, s10
	s_ashr_i32 s1, s0, 31
	v_lshlrev_b32_e32 v0, 1, v33
	s_lshl_b64 s[0:1], s[0:1], 1
	s_add_u32 s4, s20, s0
	s_addc_u32 s5, s21, s1
	s_ashr_i32 s3, s2, 31
	s_lshl_b64 s[0:1], s[2:3], 1
	s_mul_i32 s2, s8, 0x78
	s_add_u32 s4, s4, s0
	s_addc_u32 s5, s5, s1
	s_ashr_i32 s3, s2, 31
	s_lshl_b64 s[0:1], s[2:3], 1
	s_add_u32 s2, s4, s0
	s_addc_u32 s3, s5, s1
	s_and_saveexec_b32 s0, vcc_lo
	s_cbranch_execz .LBB104_91
; %bb.90:
	;;#ASMSTART
	v_cvt_f16_f32 v8, v8;

	;;#ASMEND
	global_store_short v0, v8, s[2:3]
.LBB104_91:
	s_or_b32 exec_lo, exec_lo, s0
	v_or_b32_e32 v8, 16, v33
	v_cmp_gt_u32_e64 s0, 0x78, v8
	s_and_b32 s1, vcc_lo, s0
	s_and_saveexec_b32 s0, s1
	s_cbranch_execz .LBB104_93
; %bb.92:
	;;#ASMSTART
	v_cvt_f16_f32 v7, v7;

	;;#ASMEND
	global_store_short v0, v7, s[2:3] offset:32
.LBB104_93:
	s_or_b32 exec_lo, exec_lo, s0
	v_or_b32_e32 v7, 32, v33
	v_cmp_gt_u32_e64 s0, 0x78, v7
	s_and_b32 s1, vcc_lo, s0
	s_and_saveexec_b32 s0, s1
	s_cbranch_execz .LBB104_95
; %bb.94:
	;;#ASMSTART
	v_cvt_f16_f32 v6, v6;

	;;#ASMEND
	global_store_short v0, v6, s[2:3] offset:64
.LBB104_95:
	;; [unrolled: 13-line block ×6, first 2 shown]
	s_or_b32 exec_lo, exec_lo, s0
	v_or_b32_e32 v2, 0x70, v33
	v_cmp_gt_u32_e64 s0, 0x78, v2
	s_and_b32 s0, vcc_lo, s0
	s_and_b32 exec_lo, exec_lo, s0
	s_cbranch_execz .LBB104_105
; %bb.104:
	;;#ASMSTART
	v_cvt_f16_f32 v1, v1;

	;;#ASMEND
	global_store_short v0, v1, s[2:3] offset:224
.LBB104_105:
	s_endpgm
.LBB104_106:
	v_lshl_add_u32 v11, v10, 2, v9
	ds_read_b32 v11, v11
	s_waitcnt lgkmcnt(0)
	v_add_f32_e32 v8, v8, v11
	s_or_b32 exec_lo, exec_lo, s0
	s_and_saveexec_b32 s0, vcc_lo
	s_cbranch_execz .LBB104_62
.LBB104_107:
	v_lshl_add_u32 v11, v10, 2, v9
	ds_read_b32 v11, v11 offset:64
	s_waitcnt lgkmcnt(0)
	v_add_f32_e32 v7, v7, v11
	s_or_b32 exec_lo, exec_lo, s0
	s_and_saveexec_b32 s0, vcc_lo
	s_cbranch_execz .LBB104_63
.LBB104_108:
	v_lshl_add_u32 v11, v10, 2, v9
	ds_read_b32 v11, v11 offset:128
	s_waitcnt lgkmcnt(0)
	v_add_f32_e32 v6, v6, v11
	s_or_b32 exec_lo, exec_lo, s0
	s_and_saveexec_b32 s0, vcc_lo
	s_cbranch_execz .LBB104_64
.LBB104_109:
	v_lshl_add_u32 v11, v10, 2, v9
	ds_read_b32 v11, v11 offset:192
	s_waitcnt lgkmcnt(0)
	v_add_f32_e32 v5, v5, v11
	s_or_b32 exec_lo, exec_lo, s0
	s_and_saveexec_b32 s0, vcc_lo
	s_cbranch_execz .LBB104_65
.LBB104_110:
	v_lshl_add_u32 v11, v10, 2, v9
	ds_read_b32 v11, v11 offset:256
	s_waitcnt lgkmcnt(0)
	v_add_f32_e32 v4, v4, v11
	s_or_b32 exec_lo, exec_lo, s0
	s_and_saveexec_b32 s0, vcc_lo
	s_cbranch_execz .LBB104_66
.LBB104_111:
	v_lshl_add_u32 v11, v10, 2, v9
	ds_read_b32 v11, v11 offset:320
	s_waitcnt lgkmcnt(0)
	v_add_f32_e32 v3, v3, v11
	s_or_b32 exec_lo, exec_lo, s0
	s_and_saveexec_b32 s0, vcc_lo
	s_cbranch_execnz .LBB104_67
	s_branch .LBB104_68
.LBB104_112:
	ds_read_b32 v9, v0
	s_waitcnt lgkmcnt(0)
	v_add_f32_e32 v8, v8, v9
	s_or_b32 exec_lo, exec_lo, s1
	s_and_saveexec_b32 s1, vcc_lo
	s_cbranch_execz .LBB104_79
.LBB104_113:
	ds_read_b32 v9, v0 offset:64
	s_waitcnt lgkmcnt(0)
	v_add_f32_e32 v7, v7, v9
	s_or_b32 exec_lo, exec_lo, s1
	s_and_saveexec_b32 s1, vcc_lo
	s_cbranch_execz .LBB104_80
.LBB104_114:
	ds_read_b32 v9, v0 offset:128
	s_waitcnt lgkmcnt(0)
	v_add_f32_e32 v6, v6, v9
	s_or_b32 exec_lo, exec_lo, s1
	s_and_saveexec_b32 s1, vcc_lo
	s_cbranch_execz .LBB104_81
.LBB104_115:
	ds_read_b32 v9, v0 offset:192
	s_waitcnt lgkmcnt(0)
	v_add_f32_e32 v5, v5, v9
	s_or_b32 exec_lo, exec_lo, s1
	s_and_saveexec_b32 s1, vcc_lo
	s_cbranch_execz .LBB104_82
.LBB104_116:
	ds_read_b32 v9, v0 offset:256
	s_waitcnt lgkmcnt(0)
	v_add_f32_e32 v4, v4, v9
	s_or_b32 exec_lo, exec_lo, s1
	s_and_saveexec_b32 s1, vcc_lo
	s_cbranch_execz .LBB104_83
.LBB104_117:
	ds_read_b32 v9, v0 offset:320
	s_waitcnt lgkmcnt(0)
	v_add_f32_e32 v3, v3, v9
	s_or_b32 exec_lo, exec_lo, s1
	s_and_saveexec_b32 s1, vcc_lo
	s_cbranch_execnz .LBB104_84
	s_branch .LBB104_85
	.section	.rodata,"a",@progbits
	.p2align	6, 0x0
	.amdhsa_kernel _ZN4vllm25paged_attention_v2_kernelIttLi120ELi16ELi128ELNS_18Fp8KVCacheDataTypeE0ELb0ELi512EEEvPfS2_PT_PKS3_PKT0_S9_ifPKiSB_iPKfiiiSD_SD_iiiii
		.amdhsa_group_segment_fixed_size 272
		.amdhsa_private_segment_fixed_size 0
		.amdhsa_kernarg_size 400
		.amdhsa_user_sgpr_count 6
		.amdhsa_user_sgpr_private_segment_buffer 1
		.amdhsa_user_sgpr_dispatch_ptr 0
		.amdhsa_user_sgpr_queue_ptr 0
		.amdhsa_user_sgpr_kernarg_segment_ptr 1
		.amdhsa_user_sgpr_dispatch_id 0
		.amdhsa_user_sgpr_flat_scratch_init 0
		.amdhsa_user_sgpr_private_segment_size 0
		.amdhsa_wavefront_size32 1
		.amdhsa_uses_dynamic_stack 0
		.amdhsa_system_sgpr_private_segment_wavefront_offset 0
		.amdhsa_system_sgpr_workgroup_id_x 1
		.amdhsa_system_sgpr_workgroup_id_y 1
		.amdhsa_system_sgpr_workgroup_id_z 1
		.amdhsa_system_sgpr_workgroup_info 0
		.amdhsa_system_vgpr_workitem_id 0
		.amdhsa_next_free_vgpr 91
		.amdhsa_next_free_sgpr 36
		.amdhsa_reserve_vcc 1
		.amdhsa_reserve_flat_scratch 0
		.amdhsa_float_round_mode_32 0
		.amdhsa_float_round_mode_16_64 0
		.amdhsa_float_denorm_mode_32 3
		.amdhsa_float_denorm_mode_16_64 3
		.amdhsa_dx10_clamp 1
		.amdhsa_ieee_mode 1
		.amdhsa_fp16_overflow 0
		.amdhsa_workgroup_processor_mode 1
		.amdhsa_memory_ordered 1
		.amdhsa_forward_progress 1
		.amdhsa_shared_vgpr_count 0
		.amdhsa_exception_fp_ieee_invalid_op 0
		.amdhsa_exception_fp_denorm_src 0
		.amdhsa_exception_fp_ieee_div_zero 0
		.amdhsa_exception_fp_ieee_overflow 0
		.amdhsa_exception_fp_ieee_underflow 0
		.amdhsa_exception_fp_ieee_inexact 0
		.amdhsa_exception_int_div_zero 0
	.end_amdhsa_kernel
	.section	.text._ZN4vllm25paged_attention_v2_kernelIttLi120ELi16ELi128ELNS_18Fp8KVCacheDataTypeE0ELb0ELi512EEEvPfS2_PT_PKS3_PKT0_S9_ifPKiSB_iPKfiiiSD_SD_iiiii,"axG",@progbits,_ZN4vllm25paged_attention_v2_kernelIttLi120ELi16ELi128ELNS_18Fp8KVCacheDataTypeE0ELb0ELi512EEEvPfS2_PT_PKS3_PKT0_S9_ifPKiSB_iPKfiiiSD_SD_iiiii,comdat
.Lfunc_end104:
	.size	_ZN4vllm25paged_attention_v2_kernelIttLi120ELi16ELi128ELNS_18Fp8KVCacheDataTypeE0ELb0ELi512EEEvPfS2_PT_PKS3_PKT0_S9_ifPKiSB_iPKfiiiSD_SD_iiiii, .Lfunc_end104-_ZN4vllm25paged_attention_v2_kernelIttLi120ELi16ELi128ELNS_18Fp8KVCacheDataTypeE0ELb0ELi512EEEvPfS2_PT_PKS3_PKT0_S9_ifPKiSB_iPKfiiiSD_SD_iiiii
                                        ; -- End function
	.set _ZN4vllm25paged_attention_v2_kernelIttLi120ELi16ELi128ELNS_18Fp8KVCacheDataTypeE0ELb0ELi512EEEvPfS2_PT_PKS3_PKT0_S9_ifPKiSB_iPKfiiiSD_SD_iiiii.num_vgpr, 91
	.set _ZN4vllm25paged_attention_v2_kernelIttLi120ELi16ELi128ELNS_18Fp8KVCacheDataTypeE0ELb0ELi512EEEvPfS2_PT_PKS3_PKT0_S9_ifPKiSB_iPKfiiiSD_SD_iiiii.num_agpr, 0
	.set _ZN4vllm25paged_attention_v2_kernelIttLi120ELi16ELi128ELNS_18Fp8KVCacheDataTypeE0ELb0ELi512EEEvPfS2_PT_PKS3_PKT0_S9_ifPKiSB_iPKfiiiSD_SD_iiiii.numbered_sgpr, 36
	.set _ZN4vllm25paged_attention_v2_kernelIttLi120ELi16ELi128ELNS_18Fp8KVCacheDataTypeE0ELb0ELi512EEEvPfS2_PT_PKS3_PKT0_S9_ifPKiSB_iPKfiiiSD_SD_iiiii.num_named_barrier, 0
	.set _ZN4vllm25paged_attention_v2_kernelIttLi120ELi16ELi128ELNS_18Fp8KVCacheDataTypeE0ELb0ELi512EEEvPfS2_PT_PKS3_PKT0_S9_ifPKiSB_iPKfiiiSD_SD_iiiii.private_seg_size, 0
	.set _ZN4vllm25paged_attention_v2_kernelIttLi120ELi16ELi128ELNS_18Fp8KVCacheDataTypeE0ELb0ELi512EEEvPfS2_PT_PKS3_PKT0_S9_ifPKiSB_iPKfiiiSD_SD_iiiii.uses_vcc, 1
	.set _ZN4vllm25paged_attention_v2_kernelIttLi120ELi16ELi128ELNS_18Fp8KVCacheDataTypeE0ELb0ELi512EEEvPfS2_PT_PKS3_PKT0_S9_ifPKiSB_iPKfiiiSD_SD_iiiii.uses_flat_scratch, 0
	.set _ZN4vllm25paged_attention_v2_kernelIttLi120ELi16ELi128ELNS_18Fp8KVCacheDataTypeE0ELb0ELi512EEEvPfS2_PT_PKS3_PKT0_S9_ifPKiSB_iPKfiiiSD_SD_iiiii.has_dyn_sized_stack, 0
	.set _ZN4vllm25paged_attention_v2_kernelIttLi120ELi16ELi128ELNS_18Fp8KVCacheDataTypeE0ELb0ELi512EEEvPfS2_PT_PKS3_PKT0_S9_ifPKiSB_iPKfiiiSD_SD_iiiii.has_recursion, 0
	.set _ZN4vllm25paged_attention_v2_kernelIttLi120ELi16ELi128ELNS_18Fp8KVCacheDataTypeE0ELb0ELi512EEEvPfS2_PT_PKS3_PKT0_S9_ifPKiSB_iPKfiiiSD_SD_iiiii.has_indirect_call, 0
	.section	.AMDGPU.csdata,"",@progbits
; Kernel info:
; codeLenInByte = 11396
; TotalNumSgprs: 38
; NumVgprs: 91
; ScratchSize: 0
; MemoryBound: 0
; FloatMode: 240
; IeeeMode: 1
; LDSByteSize: 272 bytes/workgroup (compile time only)
; SGPRBlocks: 0
; VGPRBlocks: 11
; NumSGPRsForWavesPerEU: 38
; NumVGPRsForWavesPerEU: 91
; Occupancy: 10
; WaveLimiterHint : 1
; COMPUTE_PGM_RSRC2:SCRATCH_EN: 0
; COMPUTE_PGM_RSRC2:USER_SGPR: 6
; COMPUTE_PGM_RSRC2:TRAP_HANDLER: 0
; COMPUTE_PGM_RSRC2:TGID_X_EN: 1
; COMPUTE_PGM_RSRC2:TGID_Y_EN: 1
; COMPUTE_PGM_RSRC2:TGID_Z_EN: 1
; COMPUTE_PGM_RSRC2:TIDIG_COMP_CNT: 0
	.section	.text._ZN4vllm25paged_attention_v2_kernelIttLi128ELi16ELi128ELNS_18Fp8KVCacheDataTypeE0ELb0ELi512EEEvPfS2_PT_PKS3_PKT0_S9_ifPKiSB_iPKfiiiSD_SD_iiiii,"axG",@progbits,_ZN4vllm25paged_attention_v2_kernelIttLi128ELi16ELi128ELNS_18Fp8KVCacheDataTypeE0ELb0ELi512EEEvPfS2_PT_PKS3_PKT0_S9_ifPKiSB_iPKfiiiSD_SD_iiiii,comdat
	.protected	_ZN4vllm25paged_attention_v2_kernelIttLi128ELi16ELi128ELNS_18Fp8KVCacheDataTypeE0ELb0ELi512EEEvPfS2_PT_PKS3_PKT0_S9_ifPKiSB_iPKfiiiSD_SD_iiiii ; -- Begin function _ZN4vllm25paged_attention_v2_kernelIttLi128ELi16ELi128ELNS_18Fp8KVCacheDataTypeE0ELb0ELi512EEEvPfS2_PT_PKS3_PKT0_S9_ifPKiSB_iPKfiiiSD_SD_iiiii
	.globl	_ZN4vllm25paged_attention_v2_kernelIttLi128ELi16ELi128ELNS_18Fp8KVCacheDataTypeE0ELb0ELi512EEEvPfS2_PT_PKS3_PKT0_S9_ifPKiSB_iPKfiiiSD_SD_iiiii
	.p2align	8
	.type	_ZN4vllm25paged_attention_v2_kernelIttLi128ELi16ELi128ELNS_18Fp8KVCacheDataTypeE0ELb0ELi512EEEvPfS2_PT_PKS3_PKT0_S9_ifPKiSB_iPKfiiiSD_SD_iiiii,@function
_ZN4vllm25paged_attention_v2_kernelIttLi128ELi16ELi128ELNS_18Fp8KVCacheDataTypeE0ELb0ELi512EEEvPfS2_PT_PKS3_PKT0_S9_ifPKiSB_iPKfiiiSD_SD_iiiii: ; @_ZN4vllm25paged_attention_v2_kernelIttLi128ELi16ELi128ELNS_18Fp8KVCacheDataTypeE0ELb0ELi512EEEvPfS2_PT_PKS3_PKT0_S9_ifPKiSB_iPKfiiiSD_SD_iiiii
; %bb.0:
	s_load_dwordx2 s[0:1], s[4:5], 0x40
	s_mov_b32 s22, s7
	s_ashr_i32 s23, s7, 31
	s_lshl_b64 s[2:3], s[22:23], 2
	s_waitcnt lgkmcnt(0)
	s_add_u32 s0, s0, s2
	s_addc_u32 s1, s1, s3
	s_lshl_b32 s33, s8, 9
	s_load_dword s23, s[0:1], 0x0
	s_waitcnt lgkmcnt(0)
	s_cmp_ge_i32 s33, s23
	s_cbranch_scc1 .LBB105_78
; %bb.1:
	s_clause 0x1
	s_load_dword s9, s[4:5], 0x90
	s_load_dwordx2 s[30:31], s[4:5], 0x30
	s_mov_b32 s34, 0
	s_waitcnt lgkmcnt(0)
	s_abs_i32 s3, s9
	s_abs_i32 s0, s30
	v_cvt_f32_u32_e32 v1, s0
	s_sub_i32 s2, 0, s0
	v_rcp_iflag_f32_e32 v1, v1
	v_mul_f32_e32 v1, 0x4f7ffffe, v1
	v_cvt_u32_f32_e32 v1, v1
	v_readfirstlane_b32 s1, v1
	s_mul_i32 s2, s2, s1
	s_mul_hi_u32 s2, s1, s2
	s_add_i32 s1, s1, s2
	s_xor_b32 s2, s9, s30
	s_mul_hi_u32 s1, s3, s1
	s_ashr_i32 s2, s2, 31
	s_mul_i32 s7, s1, s0
	s_sub_i32 s3, s3, s7
	s_add_i32 s7, s1, 1
	s_sub_i32 s10, s3, s0
	s_cmp_ge_u32 s3, s0
	s_cselect_b32 s1, s7, s1
	s_cselect_b32 s3, s10, s3
	s_add_i32 s7, s1, 1
	s_cmp_ge_u32 s3, s0
	s_cselect_b32 s0, s7, s1
	s_abs_i32 s16, s6
	s_xor_b32 s0, s0, s2
	s_sub_i32 s10, s0, s2
	s_load_dwordx2 s[0:1], s[4:5], 0x50
	s_abs_i32 s2, s10
	v_cvt_f32_u32_e32 v1, s2
	s_sub_i32 s7, 0, s2
	v_rcp_iflag_f32_e32 v1, v1
	v_mul_f32_e32 v1, 0x4f7ffffe, v1
	v_cvt_u32_f32_e32 v1, v1
	v_readfirstlane_b32 s3, v1
	s_mul_i32 s7, s7, s3
	s_mul_hi_u32 s7, s3, s7
	s_add_i32 s3, s3, s7
	s_waitcnt lgkmcnt(0)
	s_cmp_eq_u64 s[0:1], 0
	s_mul_hi_u32 s3, s16, s3
	s_cbranch_scc1 .LBB105_3
; %bb.2:
	s_ashr_i32 s7, s6, 31
	s_lshl_b64 s[12:13], s[6:7], 2
	s_add_u32 s0, s0, s12
	s_addc_u32 s1, s1, s13
	s_load_dword s34, s[0:1], 0x0
.LBB105_3:
	s_load_dwordx4 s[12:15], s[4:5], 0x58
	v_lshrrev_b32_e32 v33, 1, v0
	v_and_b32_e32 v34, 1, v0
	v_cmp_gt_u32_e64 s0, 32, v0
	v_lshlrev_b32_e32 v36, 3, v0
	s_ashr_i32 s1, s6, 31
	s_ashr_i32 s7, s10, 31
	s_lshl_b32 s10, s6, 7
	s_waitcnt lgkmcnt(0)
	s_and_saveexec_b32 s15, s0
	s_cbranch_execz .LBB105_5
; %bb.4:
	s_load_dwordx2 s[18:19], s[4:5], 0x18
	s_mul_i32 s20, s12, s22
	v_lshlrev_b32_e32 v3, 3, v33
	s_ashr_i32 s21, s20, 31
	s_lshl_b64 s[20:21], s[20:21], 1
	v_lshl_add_u32 v3, v34, 7, v3
	s_waitcnt lgkmcnt(0)
	s_add_u32 s12, s18, s20
	s_addc_u32 s17, s19, s21
	s_ashr_i32 s11, s10, 31
	s_lshl_b64 s[18:19], s[10:11], 1
	s_add_u32 s18, s12, s18
	s_addc_u32 s19, s17, s19
	global_load_dwordx2 v[1:2], v36, s[18:19]
	s_waitcnt vmcnt(0)
	ds_write_b64 v3, v[1:2]
.LBB105_5:
	s_or_b32 exec_lo, exec_lo, s15
	s_add_i32 s11, s23, 15
	s_lshl_b32 s30, s8, 5
	s_ashr_i32 s12, s11, 31
	s_xor_b32 s1, s1, s7
	s_lshr_b32 s12, s12, 28
	s_add_i32 s7, s30, 32
	s_add_i32 s11, s11, s12
	s_mul_i32 s15, s3, s2
	s_ashr_i32 s12, s11, 4
	s_sub_i32 s15, s16, s15
	s_min_i32 s11, s7, s12
	s_clause 0x1
	s_load_dwordx2 s[24:25], s[4:5], 0x38
	s_load_dword s7, s[4:5], 0x48
	s_add_i32 s16, s3, 1
	s_sub_i32 s17, s15, s2
	s_cmp_ge_u32 s15, s2
	v_lshrrev_b32_e32 v35, 5, v0
	s_cselect_b32 s3, s16, s3
	s_cselect_b32 s15, s17, s15
	s_add_i32 s16, s3, 1
	s_cmp_ge_u32 s15, s2
	v_or_b32_e32 v5, s30, v35
	s_cselect_b32 s2, s16, s3
	v_mbcnt_lo_u32_b32 v37, -1, 0
	s_xor_b32 s2, s2, s1
	s_mov_b32 s3, exec_lo
	s_sub_i32 s2, s2, s1
	v_cmp_gt_i32_e64 s1, s11, v5
	s_waitcnt lgkmcnt(0)
	s_barrier
	buffer_gl0_inv
                                        ; implicit-def: $vgpr38
                                        ; implicit-def: $vgpr39
	s_mul_i32 s26, s7, s22
	s_ashr_i32 s27, s26, 31
	v_cmpx_le_i32_e64 s11, v5
	s_xor_b32 s3, exec_lo, s3
; %bb.6:
	v_mov_b32_e32 v38, 0
	v_mbcnt_lo_u32_b32 v37, -1, 0
	v_mov_b32_e32 v39, 32
; %bb.7:
	s_or_saveexec_b32 s35, s3
	s_clause 0x3
	s_load_dwordx4 s[16:19], s[4:5], 0x0
	s_load_dwordx2 s[20:21], s[4:5], 0x10
	s_load_dwordx2 s[28:29], s[4:5], 0x28
	s_load_dword s7, s[4:5], 0x98
	v_mov_b32_e32 v40, 0xff7fffff
	v_ashrrev_i32_e32 v6, 31, v5
	s_mul_i32 s14, s2, s14
	s_xor_b32 exec_lo, exec_lo, s35
	s_cbranch_execz .LBB105_13
; %bb.8:
	s_load_dwordx2 s[4:5], s[4:5], 0x20
	v_bfe_u32 v3, v0, 1, 4
	s_ashr_i32 s15, s14, 31
	v_lshlrev_b32_e32 v7, 4, v35
	s_lshl_b64 s[36:37], s[14:15], 1
	v_and_b32_e32 v4, 8, v36
	v_lshlrev_b32_e32 v9, 4, v3
	v_lshlrev_b32_e32 v1, 2, v3
	v_add3_u32 v42, s33, v7, v3
	v_mov_b32_e32 v38, 0
	v_lshlrev_b32_e32 v41, 7, v34
	v_cmp_neq_f32_e64 s2, s34, 0
	v_lshl_or_b32 v8, v35, 6, v1
	v_lshlrev_b64 v[1:2], 2, v[5:6]
	v_mov_b32_e32 v40, 0xff7fffff
	v_xor_b32_e32 v46, 1, v37
	v_mov_b32_e32 v39, 32
	v_add_nc_u32_e32 v43, 0x120, v8
	v_mov_b32_e32 v47, v5
	v_cmp_eq_u32_e32 vcc_lo, 0, v34
	s_waitcnt lgkmcnt(0)
	s_add_u32 s3, s4, s36
	s_addc_u32 s4, s5, s37
	v_add_co_u32 v3, s3, s3, v9
	v_add_co_ci_u32_e64 v7, null, s4, 0, s3
	s_lshl_b64 s[36:37], s[26:27], 2
	s_sub_i32 s5, 1, s23
	s_add_u32 s4, s24, s36
	v_add_co_u32 v44, s3, v3, v4
	v_add_co_ci_u32_e64 v45, null, 0, v7, s3
	s_addc_u32 s15, s25, s37
	v_add_co_u32 v1, s3, s4, v1
	v_add_co_ci_u32_e64 v2, null, s15, v2, s3
	s_mov_b32 s36, s13
	s_mov_b32 s15, 0
	s_branch .LBB105_10
.LBB105_9:                              ;   in Loop: Header=BB105_10 Depth=1
	s_or_b32 exec_lo, exec_lo, s4
	v_add_nc_u32_e32 v47, 4, v47
	v_add_co_u32 v1, s4, v1, 16
	v_add_nc_u32_e32 v42, 64, v42
	v_add_nc_u32_e32 v43, 0x100, v43
	v_cmp_le_i32_e64 s3, s11, v47
	v_add_co_ci_u32_e64 v2, null, 0, v2, s4
	s_or_b32 s15, s3, s15
	s_andn2_b32 exec_lo, exec_lo, s15
	s_cbranch_execz .LBB105_12
.LBB105_10:                             ; =>This Inner Loop Header: Depth=1
	global_load_dword v3, v[1:2], off
	s_waitcnt vmcnt(0) lgkmcnt(0)
	v_mad_i64_i32 v[3:4], null, v3, s36, 0
	v_lshlrev_b64 v[3:4], 1, v[3:4]
	v_add_co_u32 v3, s3, v44, v3
	v_add_co_ci_u32_e64 v4, null, v45, v4, s3
	s_clause 0x7
	global_load_dwordx2 v[48:49], v[3:4], off
	global_load_dwordx2 v[56:57], v[3:4], off offset:256
	global_load_dwordx2 v[31:32], v[3:4], off offset:512
	;; [unrolled: 1-line block ×7, first 2 shown]
	v_add_co_u32 v3, s3, 0x800, v3
	v_add_co_ci_u32_e64 v4, null, 0, v4, s3
	ds_read_b64 v[7:8], v41
	v_cmp_gt_i32_e64 s3, 32, v46
	s_clause 0x1
	global_load_dwordx2 v[17:18], v[3:4], off
	global_load_dwordx2 v[19:20], v[3:4], off offset:256
	s_waitcnt lgkmcnt(0)
	v_and_b32_e32 v50, 0xffff, v7
	v_lshrrev_b32_e32 v51, 16, v7
	v_lshrrev_b32_e32 v58, 16, v8
	v_and_b32_e32 v59, 0xffff, v8
	s_clause 0x5
	global_load_dwordx2 v[15:16], v[3:4], off offset:512
	global_load_dwordx2 v[13:14], v[3:4], off offset:768
	;; [unrolled: 1-line block ×6, first 2 shown]
	;;#ASMSTART
	v_cvt_f32_f16 v53, v50;
	;;#ASMEND
	;;#ASMSTART
	v_cvt_f32_f16 v52, v51;
	;;#ASMEND
	s_waitcnt vmcnt(15)
	v_and_b32_e32 v50, 0xffff, v48
	v_lshrrev_b32_e32 v48, 16, v48
	v_and_b32_e32 v51, 0xffff, v49
	v_lshrrev_b32_e32 v60, 16, v49
	;;#ASMSTART
	v_cvt_f32_f16 v55, v50;
	;;#ASMEND
	;;#ASMSTART
	v_cvt_f32_f16 v54, v48;
	;;#ASMEND
	;; [unrolled: 3-line block ×6, first 2 shown]
	ds_read_b64 v[58:59], v41 offset:8
	s_waitcnt vmcnt(14)
	v_lshrrev_b32_e32 v61, 16, v56
	v_and_b32_e32 v56, 0xffff, v56
	v_lshrrev_b32_e32 v64, 16, v57
	v_and_b32_e32 v57, 0xffff, v57
	s_waitcnt vmcnt(13)
	v_lshrrev_b32_e32 v67, 16, v31
	v_and_b32_e32 v66, 0xffff, v31
	v_lshrrev_b32_e32 v70, 16, v32
	v_and_b32_e32 v69, 0xffff, v32
	;; [unrolled: 5-line block ×4, first 2 shown]
	s_waitcnt vmcnt(10)
	v_lshrrev_b32_e32 v84, 16, v25
	v_and_b32_e32 v85, 0xffff, v25
	v_lshrrev_b32_e32 v86, 16, v26
	s_waitcnt lgkmcnt(0)
	v_and_b32_e32 v60, 0xffff, v58
	v_lshrrev_b32_e32 v62, 16, v58
	v_and_b32_e32 v63, 0xffff, v59
	v_lshrrev_b32_e32 v65, 16, v59
	;;#ASMSTART
	v_cvt_f32_f16 v58, v60;
	;;#ASMEND
	;;#ASMSTART
	v_cvt_f32_f16 v59, v62;
	;;#ASMEND
	;; [unrolled: 3-line block ×8, first 2 shown]
	ds_read_b64 v[64:65], v41 offset:16
	v_and_b32_e32 v26, 0xffff, v26
	s_waitcnt vmcnt(9)
	v_lshrrev_b32_e32 v87, 16, v23
	v_and_b32_e32 v88, 0xffff, v23
	v_lshrrev_b32_e32 v89, 16, v24
	v_and_b32_e32 v90, 0xffff, v24
	v_mul_f32_e32 v24, v58, v60
	v_mul_f32_e32 v23, v62, v63
	;; [unrolled: 1-line block ×3, first 2 shown]
	v_fmac_f32_e32 v24, v53, v55
	v_fmac_f32_e32 v23, v49, v51
	;; [unrolled: 1-line block ×3, first 2 shown]
	s_waitcnt lgkmcnt(0)
	v_and_b32_e32 v31, 0xffff, v64
	v_lshrrev_b32_e32 v68, 16, v64
	v_and_b32_e32 v71, 0xffff, v65
	v_lshrrev_b32_e32 v65, 16, v65
	;;#ASMSTART
	v_cvt_f32_f16 v64, v31;
	;;#ASMEND
	;;#ASMSTART
	v_cvt_f32_f16 v31, v68;
	;;#ASMEND
	;; [unrolled: 3-line block ×8, first 2 shown]
	ds_read_b64 v[70:71], v41 offset:24
	v_fmac_f32_e32 v24, v64, v66
	s_waitcnt vmcnt(7)
	v_lshrrev_b32_e32 v64, 16, v17
	v_fmac_f32_e32 v25, v31, v32
	v_and_b32_e32 v17, 0xffff, v17
	v_fmac_f32_e32 v23, v68, v69
	s_waitcnt vmcnt(6)
	v_lshrrev_b32_e32 v68, 16, v19
	v_and_b32_e32 v69, 0xffff, v19
	s_waitcnt lgkmcnt(0)
	v_and_b32_e32 v29, 0xffff, v70
	v_lshrrev_b32_e32 v74, 16, v70
	v_and_b32_e32 v77, 0xffff, v71
	v_lshrrev_b32_e32 v71, 16, v71
	;;#ASMSTART
	v_cvt_f32_f16 v70, v29;
	;;#ASMEND
	;;#ASMSTART
	v_cvt_f32_f16 v29, v74;
	;;#ASMEND
	;;#ASMSTART
	v_cvt_f32_f16 v72, v72;
	;;#ASMEND
	;;#ASMSTART
	v_cvt_f32_f16 v30, v73;
	;;#ASMEND
	;;#ASMSTART
	v_cvt_f32_f16 v74, v77;
	;;#ASMEND
	;;#ASMSTART
	v_cvt_f32_f16 v71, v71;
	;;#ASMEND
	;;#ASMSTART
	v_cvt_f32_f16 v75, v75;
	;;#ASMEND
	;;#ASMSTART
	v_cvt_f32_f16 v73, v76;
	;;#ASMEND
	ds_read_b64 v[76:77], v41 offset:32
	v_fmac_f32_e32 v24, v70, v72
	v_lshrrev_b32_e32 v72, 16, v20
	v_and_b32_e32 v70, 0xffff, v20
	v_fmac_f32_e32 v23, v74, v75
	v_fmac_f32_e32 v25, v29, v30
	s_waitcnt lgkmcnt(0)
	v_and_b32_e32 v78, 0xffff, v76
	v_lshrrev_b32_e32 v80, 16, v76
	v_and_b32_e32 v81, 0xffff, v77
	v_lshrrev_b32_e32 v82, 16, v77
	;;#ASMSTART
	v_cvt_f32_f16 v76, v78;
	;;#ASMEND
	;;#ASMSTART
	v_cvt_f32_f16 v77, v80;
	;;#ASMEND
	;; [unrolled: 3-line block ×8, first 2 shown]
	ds_read_b64 v[27:28], v41 offset:40
	v_fmac_f32_e32 v24, v76, v78
	v_fmac_f32_e32 v25, v77, v79
	s_waitcnt vmcnt(4)
	v_lshrrev_b32_e32 v78, 16, v13
	v_fmac_f32_e32 v23, v80, v82
	v_and_b32_e32 v13, 0xffff, v13
	v_lshrrev_b32_e32 v82, 16, v14
	v_and_b32_e32 v14, 0xffff, v14
	s_waitcnt lgkmcnt(0)
	v_and_b32_e32 v58, 0xffff, v27
	v_lshrrev_b32_e32 v27, 16, v27
	v_and_b32_e32 v62, 0xffff, v28
	v_lshrrev_b32_e32 v28, 16, v28
	;;#ASMSTART
	v_cvt_f32_f16 v58, v58;
	;;#ASMEND
	;;#ASMSTART
	v_cvt_f32_f16 v59, v27;
	;;#ASMEND
	;; [unrolled: 3-line block ×8, first 2 shown]
	ds_read_b64 v[26:27], v41 offset:48
	v_fmac_f32_e32 v24, v58, v60
	v_fmac_f32_e32 v25, v59, v61
	;; [unrolled: 1-line block ×3, first 2 shown]
	s_waitcnt vmcnt(2)
	v_lshrrev_b32_e32 v84, 16, v9
	v_and_b32_e32 v9, 0xffff, v9
	s_waitcnt lgkmcnt(0)
	v_and_b32_e32 v28, 0xffff, v26
	v_lshrrev_b32_e32 v91, 16, v27
	v_and_b32_e32 v27, 0xffff, v27
	v_lshrrev_b32_e32 v26, 16, v26
	;;#ASMSTART
	v_cvt_f32_f16 v52, v28;
	;;#ASMEND
	;;#ASMSTART
	v_cvt_f32_f16 v53, v26;
	;;#ASMEND
	;; [unrolled: 3-line block ×8, first 2 shown]
	ds_read_b64 v[27:28], v41 offset:56
	v_mul_f32_e32 v26, v56, v57
	v_lshrrev_b32_e32 v56, 16, v21
	v_and_b32_e32 v21, 0xffff, v21
	v_lshrrev_b32_e32 v57, 16, v22
	v_and_b32_e32 v22, 0xffff, v22
	v_fmac_f32_e32 v26, v48, v50
	v_lshrrev_b32_e32 v90, 16, v18
	v_and_b32_e32 v18, 0xffff, v18
	v_fmac_f32_e32 v24, v52, v54
	v_fmac_f32_e32 v25, v53, v55
	v_fmac_f32_e32 v26, v65, v67
	v_fmac_f32_e32 v23, v86, v88
	v_fmac_f32_e32 v26, v71, v73
	s_waitcnt lgkmcnt(0)
	v_and_b32_e32 v48, 0xffff, v27
	v_lshrrev_b32_e32 v49, 16, v27
	v_lshrrev_b32_e32 v51, 16, v28
	v_and_b32_e32 v50, 0xffff, v28
	;;#ASMSTART
	v_cvt_f32_f16 v27, v48;
	;;#ASMEND
	;;#ASMSTART
	v_cvt_f32_f16 v28, v49;
	;;#ASMEND
	;; [unrolled: 3-line block ×8, first 2 shown]
	ds_read_b64 v[21:22], v41 offset:64
	v_fmac_f32_e32 v26, v81, v83
	v_fmac_f32_e32 v24, v27, v48
	;; [unrolled: 1-line block ×4, first 2 shown]
	s_waitcnt vmcnt(1)
	v_lshrrev_b32_e32 v27, 16, v8
	v_fmac_f32_e32 v26, v63, v85
	v_lshrrev_b32_e32 v85, 16, v10
	v_and_b32_e32 v10, 0xffff, v10
	v_and_b32_e32 v8, 0xffff, v8
	s_waitcnt vmcnt(0)
	v_lshrrev_b32_e32 v28, 16, v3
	v_fmac_f32_e32 v26, v87, v89
	v_fmac_f32_e32 v26, v51, v57
	s_waitcnt lgkmcnt(0)
	v_and_b32_e32 v31, 0xffff, v21
	v_lshrrev_b32_e32 v32, 16, v21
	v_lshrrev_b32_e32 v65, 16, v22
	v_and_b32_e32 v66, 0xffff, v22
	;;#ASMSTART
	v_cvt_f32_f16 v21, v31;
	;;#ASMEND
	;;#ASMSTART
	v_cvt_f32_f16 v22, v32;
	;;#ASMEND
	;; [unrolled: 3-line block ×8, first 2 shown]
	ds_read_b64 v[17:18], v41 offset:72
	v_lshrrev_b32_e32 v90, 16, v16
	v_and_b32_e32 v16, 0xffff, v16
	v_fmac_f32_e32 v24, v21, v31
	v_fmac_f32_e32 v25, v22, v32
	;; [unrolled: 1-line block ×4, first 2 shown]
	s_waitcnt lgkmcnt(0)
	v_and_b32_e32 v19, 0xffff, v17
	v_lshrrev_b32_e32 v17, 16, v17
	v_lshrrev_b32_e32 v74, 16, v18
	v_and_b32_e32 v18, 0xffff, v18
	;;#ASMSTART
	v_cvt_f32_f16 v19, v19;
	;;#ASMEND
	;;#ASMSTART
	v_cvt_f32_f16 v20, v17;
	;;#ASMEND
	;; [unrolled: 3-line block ×8, first 2 shown]
	ds_read_b64 v[17:18], v41 offset:80
	v_lshrrev_b32_e32 v74, 16, v15
	v_and_b32_e32 v15, 0xffff, v15
	v_fmac_f32_e32 v24, v19, v29
	v_fmac_f32_e32 v25, v20, v30
	;; [unrolled: 1-line block ×4, first 2 shown]
	s_waitcnt lgkmcnt(0)
	v_and_b32_e32 v71, 0xffff, v17
	v_lshrrev_b32_e32 v73, 16, v17
	v_lshrrev_b32_e32 v75, 16, v18
	v_and_b32_e32 v76, 0xffff, v18
	;;#ASMSTART
	v_cvt_f32_f16 v17, v71;
	;;#ASMEND
	;;#ASMSTART
	v_cvt_f32_f16 v18, v73;
	;;#ASMEND
	;; [unrolled: 3-line block ×8, first 2 shown]
	ds_read_b64 v[15:16], v41 offset:88
	v_fmac_f32_e32 v24, v17, v71
	v_fmac_f32_e32 v25, v18, v73
	v_lshrrev_b32_e32 v90, 16, v7
	v_and_b32_e32 v7, 0xffff, v7
	v_fmac_f32_e32 v23, v74, v76
	v_fmac_f32_e32 v26, v75, v77
	s_waitcnt lgkmcnt(0)
	v_and_b32_e32 v79, 0xffff, v15
	v_lshrrev_b32_e32 v80, 16, v15
	v_lshrrev_b32_e32 v81, 16, v16
	v_and_b32_e32 v83, 0xffff, v16
	;;#ASMSTART
	v_cvt_f32_f16 v15, v79;
	;;#ASMEND
	;;#ASMSTART
	v_cvt_f32_f16 v16, v80;
	;;#ASMEND
	;; [unrolled: 3-line block ×8, first 2 shown]
	ds_read_b64 v[13:14], v41 offset:96
	v_lshrrev_b32_e32 v82, 16, v11
	v_and_b32_e32 v11, 0xffff, v11
	v_lshrrev_b32_e32 v83, 16, v12
	v_and_b32_e32 v12, 0xffff, v12
	v_fmac_f32_e32 v24, v15, v58
	v_fmac_f32_e32 v25, v16, v60
	;; [unrolled: 1-line block ×4, first 2 shown]
	v_and_b32_e32 v15, 0xffff, v3
	s_waitcnt lgkmcnt(0)
	v_and_b32_e32 v59, 0xffff, v13
	v_lshrrev_b32_e32 v61, 16, v13
	v_lshrrev_b32_e32 v63, 16, v14
	v_and_b32_e32 v62, 0xffff, v14
	;;#ASMSTART
	v_cvt_f32_f16 v13, v59;
	;;#ASMEND
	;;#ASMSTART
	v_cvt_f32_f16 v14, v61;
	;;#ASMEND
	;; [unrolled: 3-line block ×8, first 2 shown]
	ds_read_b64 v[11:12], v41 offset:104
	v_fmac_f32_e32 v24, v13, v59
	v_fmac_f32_e32 v25, v14, v61
	;; [unrolled: 1-line block ×4, first 2 shown]
	v_lshrrev_b32_e32 v13, 16, v4
	s_waitcnt lgkmcnt(0)
	v_and_b32_e32 v52, 0xffff, v11
	v_lshrrev_b32_e32 v53, 16, v11
	v_lshrrev_b32_e32 v55, 16, v12
	v_and_b32_e32 v54, 0xffff, v12
	;;#ASMSTART
	v_cvt_f32_f16 v11, v52;
	;;#ASMEND
	;;#ASMSTART
	v_cvt_f32_f16 v12, v53;
	;;#ASMEND
	;; [unrolled: 3-line block ×8, first 2 shown]
	ds_read_b64 v[9:10], v41 offset:112
	v_fmac_f32_e32 v24, v11, v52
	v_fmac_f32_e32 v25, v12, v53
	;; [unrolled: 1-line block ×3, first 2 shown]
	v_and_b32_e32 v11, 0xffff, v4
	v_fmac_f32_e32 v26, v55, v85
	s_waitcnt lgkmcnt(0)
	v_and_b32_e32 v17, 0xffff, v9
	v_lshrrev_b32_e32 v18, 16, v9
	v_lshrrev_b32_e32 v20, 16, v10
	v_and_b32_e32 v19, 0xffff, v10
	;;#ASMSTART
	v_cvt_f32_f16 v9, v17;
	;;#ASMEND
	;;#ASMSTART
	v_cvt_f32_f16 v10, v18;
	;;#ASMEND
	;; [unrolled: 3-line block ×8, first 2 shown]
	ds_read_b64 v[7:8], v41 offset:120
	v_fmac_f32_e32 v24, v9, v17
	v_fmac_f32_e32 v25, v10, v18
	;; [unrolled: 1-line block ×4, first 2 shown]
	s_waitcnt lgkmcnt(0)
	v_and_b32_e32 v3, 0xffff, v7
	v_lshrrev_b32_e32 v4, 16, v7
	v_lshrrev_b32_e32 v9, 16, v8
	v_and_b32_e32 v10, 0xffff, v8
	;;#ASMSTART
	v_cvt_f32_f16 v3, v3;
	;;#ASMEND
	;;#ASMSTART
	v_cvt_f32_f16 v4, v4;
	;;#ASMEND
	;; [unrolled: 3-line block ×4, first 2 shown]
	v_fmac_f32_e32 v24, v3, v7
	v_fmac_f32_e32 v25, v4, v8
	;;#ASMSTART
	v_cvt_f32_f16 v3, v10;
	;;#ASMEND
	;;#ASMSTART
	v_cvt_f32_f16 v4, v9;
	;;#ASMEND
	;; [unrolled: 3-line block ×3, first 2 shown]
	v_fmac_f32_e32 v23, v3, v7
	v_add_f32_e32 v3, v24, v25
	;;#ASMSTART
	v_cvt_f32_f16 v7, v13;
	;;#ASMEND
	v_fmac_f32_e32 v26, v4, v7
	v_cndmask_b32_e64 v4, v37, v46, s3
	v_add_f32_e32 v3, v3, v23
	v_lshlrev_b32_e32 v4, 2, v4
	v_add_f32_e32 v3, v26, v3
	ds_bpermute_b32 v4, v4, v3
	s_and_saveexec_b32 s4, vcc_lo
	s_cbranch_execz .LBB105_9
; %bb.11:                               ;   in Loop: Header=BB105_10 Depth=1
	v_add_nc_u32_e32 v7, s5, v42
	s_waitcnt lgkmcnt(0)
	v_add_f32_e32 v3, v3, v4
	v_cmp_gt_i32_e64 s3, s23, v42
	v_cvt_f32_i32_e32 v7, v7
	v_mul_f32_e32 v7, s34, v7
	v_cndmask_b32_e64 v4, 0, v7, s2
	v_max_f32_e32 v7, v40, v40
	v_fmac_f32_e32 v4, s31, v3
	v_max_f32_e32 v3, v7, v4
	v_cndmask_b32_e64 v4, 0, v4, s3
	v_cndmask_b32_e64 v40, v40, v3, s3
	ds_write_b32 v43, v4
	s_branch .LBB105_9
.LBB105_12:
	s_or_b32 exec_lo, exec_lo, s15
.LBB105_13:
	s_or_b32 exec_lo, exec_lo, s35
	v_xor_b32_e32 v1, 16, v37
	v_xor_b32_e32 v2, 8, v37
	s_waitcnt lgkmcnt(0)
	v_max_f32_e32 v4, v40, v40
	v_and_b32_e32 v10, 31, v0
	v_lshlrev_b32_e32 v9, 2, v35
	v_cmp_lt_i32_e32 vcc_lo, v1, v39
	v_cndmask_b32_e32 v1, v37, v1, vcc_lo
	v_cmp_lt_i32_e32 vcc_lo, v2, v39
	v_lshlrev_b32_e32 v3, 2, v1
	v_cndmask_b32_e32 v2, v37, v2, vcc_lo
	ds_bpermute_b32 v1, v3, v40
	v_lshlrev_b32_e32 v7, 2, v2
	s_waitcnt lgkmcnt(0)
	v_max_f32_e32 v1, v1, v1
	v_max_f32_e32 v1, v4, v1
	v_xor_b32_e32 v4, 4, v37
	ds_bpermute_b32 v2, v7, v1
	v_cmp_lt_i32_e32 vcc_lo, v4, v39
	v_cndmask_b32_e32 v4, v37, v4, vcc_lo
	v_lshlrev_b32_e32 v8, 2, v4
	v_xor_b32_e32 v4, 2, v37
	v_cmp_lt_i32_e32 vcc_lo, v4, v39
	s_waitcnt lgkmcnt(0)
	v_max_f32_e32 v2, v2, v2
	v_cndmask_b32_e32 v4, v37, v4, vcc_lo
	v_cmp_eq_u32_e32 vcc_lo, 0, v10
	v_max_f32_e32 v1, v1, v2
	ds_bpermute_b32 v2, v8, v1
	s_waitcnt lgkmcnt(0)
	v_max_f32_e32 v2, v2, v2
	v_max_f32_e32 v1, v1, v2
	v_lshlrev_b32_e32 v2, 2, v4
	ds_bpermute_b32 v4, v2, v1
	s_and_saveexec_b32 s2, vcc_lo
	s_cbranch_execz .LBB105_15
; %bb.14:
	s_waitcnt lgkmcnt(0)
	v_max_f32_e32 v4, v4, v4
	v_max_f32_e32 v1, v1, v1
	;; [unrolled: 1-line block ×3, first 2 shown]
	ds_write_b32 v9, v1 offset:256
.LBB105_15:
	s_or_b32 exec_lo, exec_lo, s2
	v_cmp_gt_u32_e64 s2, 4, v10
	v_mov_b32_e32 v1, 0xff7fffff
	v_lshlrev_b32_e32 v12, 2, v10
	s_waitcnt lgkmcnt(0)
	s_barrier
	buffer_gl0_inv
	s_and_saveexec_b32 s3, s2
; %bb.16:
	ds_read_b32 v1, v12 offset:256
; %bb.17:
	s_or_b32 exec_lo, exec_lo, s3
	s_waitcnt lgkmcnt(0)
	ds_bpermute_b32 v4, v2, v1
	v_xor_b32_e32 v11, 1, v37
	v_max_f32_e32 v1, v1, v1
	v_mov_b32_e32 v13, 0
	v_cmp_lt_i32_e64 s3, v11, v39
	v_cndmask_b32_e64 v11, v37, v11, s3
	s_sub_i32 s3, s11, s30
	s_lshl_b32 s3, s3, 4
	v_lshlrev_b32_e32 v11, 2, v11
	s_add_i32 s3, s3, s33
	s_min_i32 s3, s3, s23
	s_waitcnt lgkmcnt(0)
	v_max_f32_e32 v4, v4, v4
	s_sub_i32 s5, s3, s33
	v_cmp_gt_i32_e64 s3, s5, v0
	v_max_f32_e32 v1, v1, v4
	ds_bpermute_b32 v4, v11, v1
	s_waitcnt lgkmcnt(0)
	v_max_f32_e32 v4, v4, v4
	v_max_f32_e32 v1, v1, v4
	v_lshlrev_b32_e32 v4, 2, v38
	ds_bpermute_b32 v1, v4, v1
	v_lshl_add_u32 v4, v0, 2, 0x120
	s_and_saveexec_b32 s15, s3
	s_cbranch_execz .LBB105_21
; %bb.18:
	v_lshl_add_u32 v14, v0, 2, 0x120
	v_mov_b32_e32 v13, 0
	v_mov_b32_e32 v15, v0
	s_mov_b32 s30, 0
	.p2align	6
.LBB105_19:                             ; =>This Inner Loop Header: Depth=1
	ds_read_b32 v16, v14
	v_add_nc_u32_e32 v15, 0x80, v15
	v_cmp_le_i32_e64 s4, s5, v15
	s_or_b32 s30, s4, s30
	s_waitcnt lgkmcnt(0)
	v_sub_f32_e32 v16, v16, v1
	v_mul_f32_e32 v16, 0x3fb8aa3b, v16
	v_exp_f32_e32 v16, v16
	ds_write_b32 v14, v16
	v_add_f32_e32 v13, v13, v16
	v_add_nc_u32_e32 v14, 0x200, v14
	s_andn2_b32 exec_lo, exec_lo, s30
	s_cbranch_execnz .LBB105_19
; %bb.20:
	s_or_b32 exec_lo, exec_lo, s30
.LBB105_21:
	s_or_b32 exec_lo, exec_lo, s15
	ds_bpermute_b32 v3, v3, v13
	s_waitcnt lgkmcnt(0)
	v_add_f32_e32 v3, v13, v3
	ds_bpermute_b32 v7, v7, v3
	s_waitcnt lgkmcnt(0)
	v_add_f32_e32 v3, v3, v7
	;; [unrolled: 3-line block ×5, first 2 shown]
	s_and_saveexec_b32 s4, vcc_lo
; %bb.22:
	ds_write_b32 v9, v3 offset:272
; %bb.23:
	s_or_b32 exec_lo, exec_lo, s4
	s_waitcnt lgkmcnt(0)
	s_barrier
	buffer_gl0_inv
	s_and_saveexec_b32 s4, s2
; %bb.24:
	ds_read_b32 v3, v12 offset:272
; %bb.25:
	s_or_b32 exec_lo, exec_lo, s4
	s_waitcnt lgkmcnt(0)
	ds_bpermute_b32 v2, v2, v3
	v_lshlrev_b32_e32 v7, 2, v37
	s_waitcnt lgkmcnt(0)
	v_add_f32_e32 v2, v3, v2
	ds_bpermute_b32 v3, v11, v2
	s_waitcnt lgkmcnt(0)
	v_add_f32_e32 v2, v2, v3
	v_and_b32_e32 v3, 0xffffff80, v7
	ds_bpermute_b32 v2, v3, v2
	s_and_saveexec_b32 s2, s3
	s_cbranch_execz .LBB105_28
; %bb.26:
	s_waitcnt lgkmcnt(0)
	v_add_f32_e32 v3, 0x358637bd, v2
	s_mov_b32 s3, 0
	v_div_scale_f32 v7, null, v3, v3, 1.0
	v_div_scale_f32 v12, vcc_lo, 1.0, v3, 1.0
	v_rcp_f32_e32 v8, v7
	v_fma_f32 v9, -v7, v8, 1.0
	v_fmac_f32_e32 v8, v9, v8
	v_mul_f32_e32 v9, v12, v8
	v_fma_f32 v13, -v7, v9, v12
	v_fmac_f32_e32 v9, v13, v8
	v_fma_f32 v7, -v7, v9, v12
	v_div_fmas_f32 v7, v7, v8, v9
	v_div_fixup_f32 v3, v7, v3, 1.0
	v_mov_b32_e32 v7, v0
.LBB105_27:                             ; =>This Inner Loop Header: Depth=1
	ds_read_b32 v8, v4
	v_add_nc_u32_e32 v7, 0x80, v7
	v_cmp_le_i32_e32 vcc_lo, s5, v7
	s_or_b32 s3, vcc_lo, s3
	s_waitcnt lgkmcnt(0)
	v_mul_f32_e32 v8, v3, v8
	ds_write_b32 v4, v8
	v_add_nc_u32_e32 v4, 0x200, v4
	s_andn2_b32 exec_lo, exec_lo, s3
	s_cbranch_execnz .LBB105_27
.LBB105_28:
	s_or_b32 exec_lo, exec_lo, s2
	s_mul_i32 s2, s7, s22
	s_waitcnt lgkmcnt(0)
	s_mul_i32 s4, s2, s9
	s_mov_b32 s2, exec_lo
	s_barrier
	buffer_gl0_inv
	v_cmpx_eq_u32_e32 0, v0
	s_cbranch_execz .LBB105_30
; %bb.29:
	s_ashr_i32 s5, s4, 31
	s_mul_i32 s34, s7, s6
	s_lshl_b64 s[30:31], s[4:5], 2
	v_mov_b32_e32 v3, 0
	s_add_u32 s3, s18, s30
	s_addc_u32 s5, s19, s31
	s_ashr_i32 s35, s34, 31
	s_lshl_b64 s[18:19], s[34:35], 2
	s_add_u32 s3, s3, s18
	s_addc_u32 s5, s5, s19
	s_ashr_i32 s9, s8, 31
	s_lshl_b64 s[34:35], s[8:9], 2
	s_add_u32 s36, s3, s34
	s_addc_u32 s37, s5, s35
	s_add_u32 s3, s16, s30
	s_addc_u32 s5, s17, s31
	;; [unrolled: 2-line block ×4, first 2 shown]
	global_store_dword v3, v1, s[36:37]
	global_store_dword v3, v2, s[16:17]
.LBB105_30:
	s_or_b32 exec_lo, exec_lo, s2
	v_mov_b32_e32 v18, 0
	v_mov_b32_e32 v19, 0
	;; [unrolled: 1-line block ×8, first 2 shown]
	s_and_saveexec_b32 s3, s1
	s_cbranch_execz .LBB105_50
; %bb.31:
	v_lshlrev_b32_e32 v2, 4, v0
	s_ashr_i32 s15, s14, 31
	v_and_b32_e32 v1, 8, v36
	v_lshl_add_u32 v4, v35, 4, s33
	s_lshl_b64 s[14:15], s[14:15], 1
	v_and_b32_e32 v2, 0x1f0, v2
	s_add_u32 s1, s28, s14
	v_lshlrev_b32_e32 v3, 5, v34
	v_add3_u32 v23, v4, v1, 7
	s_addc_u32 s2, s29, s15
	v_add_co_u32 v21, s1, s1, v2
	v_lshlrev_b64 v[1:2], 2, v[5:6]
	s_lshl_b64 s[14:15], s[26:27], 2
	s_add_i32 s12, s12, -1
	v_lshl_or_b32 v3, v35, 6, v3
	v_add_co_ci_u32_e64 v22, null, s2, 0, s1
	s_add_u32 s1, s24, s14
	s_addc_u32 s2, s25, s15
	v_add_co_u32 v6, vcc_lo, s1, v1
	v_mov_b32_e32 v20, 0
	v_add_nc_u32_e32 v24, 0x120, v3
	v_add_co_ci_u32_e64 v7, null, s2, v2, vcc_lo
	v_mov_b32_e32 v12, 0
	v_mov_b32_e32 v13, 0
	v_mov_b32_e32 v14, 0
	v_mov_b32_e32 v15, 0
	v_mov_b32_e32 v16, 0
	v_mov_b32_e32 v17, 0
	v_mov_b32_e32 v19, 0
	v_mov_b32_e32 v18, 0
	s_mov_b32 s6, s13
	s_mov_b32 s5, 0
	s_branch .LBB105_33
.LBB105_32:                             ;   in Loop: Header=BB105_33 Depth=1
	s_or_b32 exec_lo, exec_lo, s2
	v_lshlrev_b32_e32 v27, 16, v51
	v_lshlrev_b32_e32 v9, 16, v9
	;; [unrolled: 1-line block ×3, first 2 shown]
	v_add_f32_e32 v25, v52, v53
	v_add_f32_e32 v26, v49, v50
	v_and_or_b32 v1, 0xffff, v1, v27
	v_and_or_b32 v2, 0xffff, v2, v9
	;; [unrolled: 1-line block ×3, first 2 shown]
	;;#ASMSTART
	v_pk_mul_f16 v1, v36, v1;

	;;#ASMEND
	;;#ASMSTART
	v_pk_mul_f16 v2, v32, v2;

	;;#ASMEND
	;; [unrolled: 4-line block ×4, first 2 shown]
	;;#ASMSTART
	v_pk_add_f16 v1, v1, v2;

	;;#ASMEND
	;;#ASMSTART
	v_pk_add_f16 v1, v1, v3;

	;;#ASMEND
	;;#ASMSTART
	v_pk_add_f16 v1, v1, v4;

	;;#ASMEND
	v_and_b32_e32 v4, 0xffff, v1
	v_add_nc_u32_e32 v5, 4, v5
	v_lshrrev_b32_e32 v8, 16, v1
	;;#ASMSTART
	v_cvt_f32_f16 v4, v4;
	;;#ASMEND
	v_add_f32_e32 v13, v13, v25
	v_add_f32_e32 v14, v14, v26
	;; [unrolled: 1-line block ×7, first 2 shown]
	;;#ASMSTART
	v_cvt_f32_f16 v8, v8;
	;;#ASMEND
	v_add_f32_e32 v4, v4, v8
	v_cmp_le_i32_e32 vcc_lo, s11, v5
	v_add_co_u32 v6, s1, v6, 16
	v_add_f32_e32 v15, v15, v25
	v_add_f32_e32 v16, v16, v26
	;; [unrolled: 1-line block ×6, first 2 shown]
	v_add_nc_u32_e32 v23, 64, v23
	v_add_nc_u32_e32 v24, 0x100, v24
	v_add_co_ci_u32_e64 v7, null, 0, v7, s1
	s_or_b32 s5, vcc_lo, s5
	s_andn2_b32 exec_lo, exec_lo, s5
	s_cbranch_execz .LBB105_49
.LBB105_33:                             ; =>This Inner Loop Header: Depth=1
	global_load_dword v8, v[6:7], off
	ds_read2_b64 v[1:4], v24 offset1:1
	ds_read2_b64 v[25:28], v24 offset0:2 offset1:3
	v_add_nc_u32_e32 v29, -7, v23
	v_cmp_eq_u32_e64 s1, s12, v5
	v_add_nc_u32_e32 v31, -6, v23
	v_add_nc_u32_e32 v30, -1, v23
	s_waitcnt lgkmcnt(1)
	;;#ASMSTART
	v_cvt_f16_f32 v36, v1;

	;;#ASMEND
	;;#ASMSTART
	v_cvt_f16_f32 v32, v2;

	;;#ASMEND
	;;#ASMSTART
	v_cvt_f16_f32 v41, v3;

	;;#ASMEND
	;;#ASMSTART
	v_cvt_f16_f32 v39, v4;

	;;#ASMEND
	s_waitcnt lgkmcnt(0)
	;;#ASMSTART
	v_cvt_f16_f32 v42, v25;

	;;#ASMEND
	;;#ASMSTART
	v_cvt_f16_f32 v37, v26;

	;;#ASMEND
	;; [unrolled: 4-line block ×4, first 2 shown]
	v_add_nc_u32_e32 v28, -5, v23
	v_add_nc_u32_e32 v27, -4, v23
	;; [unrolled: 1-line block ×4, first 2 shown]
	s_waitcnt vmcnt(0)
	v_mad_i64_i32 v[8:9], null, v8, s6, 0
	v_lshlrev_b64 v[8:9], 1, v[8:9]
	v_add_co_u32 v8, vcc_lo, v21, v8
	v_add_co_ci_u32_e64 v9, null, v22, v9, vcc_lo
	global_load_dwordx4 v[1:4], v[8:9], off
	s_waitcnt vmcnt(0)
	v_lshrrev_b32_e32 v45, 16, v1
	v_lshrrev_b32_e32 v44, 16, v2
	;; [unrolled: 1-line block ×3, first 2 shown]
	s_and_saveexec_b32 s9, s1
	s_cbranch_execz .LBB105_35
; %bb.34:                               ;   in Loop: Header=BB105_33 Depth=1
	v_cmp_gt_i32_e32 vcc_lo, s23, v29
	v_and_b32_e32 v46, 0xffff0000, v4
	v_cmp_gt_i32_e64 s2, s23, v28
	v_cndmask_b32_e32 v1, 0, v1, vcc_lo
	v_cmp_gt_i32_e32 vcc_lo, s23, v31
	v_cndmask_b32_e64 v2, 0, v2, s2
	v_cmp_gt_i32_e64 s2, s23, v27
	v_cndmask_b32_e32 v45, 0, v45, vcc_lo
	v_cmp_gt_i32_e32 vcc_lo, s23, v30
	v_cndmask_b32_e64 v44, 0, v44, s2
	v_cndmask_b32_sdwa v4, v20, v4, vcc_lo dst_sel:DWORD dst_unused:UNUSED_PAD src0_sel:DWORD src1_sel:WORD_0
	v_cmp_gt_i32_e32 vcc_lo, s23, v23
	v_cndmask_b32_e32 v46, 0, v46, vcc_lo
	v_cmp_gt_i32_e32 vcc_lo, s23, v26
	v_or_b32_e32 v4, v4, v46
	v_cndmask_b32_e32 v3, 0, v3, vcc_lo
	v_cmp_gt_i32_e32 vcc_lo, s23, v25
	v_cndmask_b32_e32 v43, 0, v43, vcc_lo
.LBB105_35:                             ;   in Loop: Header=BB105_33 Depth=1
	s_or_b32 exec_lo, exec_lo, s9
	v_and_b32_e32 v36, 0xffff, v36
	v_and_b32_e32 v41, 0xffff, v41
	v_lshlrev_b32_e32 v45, 16, v45
	v_and_b32_e32 v42, 0xffff, v42
	v_and_b32_e32 v40, 0xffff, v40
	v_lshl_or_b32 v36, v32, 16, v36
	v_lshl_or_b32 v32, v39, 16, v41
	v_lshlrev_b32_e32 v39, 16, v44
	v_lshlrev_b32_e32 v41, 16, v43
	v_and_or_b32 v1, 0xffff, v1, v45
	;;#ASMSTART
	v_pk_mul_f16 v1, v36, v1;

	;;#ASMEND
	v_lshl_or_b32 v37, v37, 16, v42
	v_and_or_b32 v2, 0xffff, v2, v39
	v_and_or_b32 v3, 0xffff, v3, v41
	v_lshl_or_b32 v38, v38, 16, v40
	;;#ASMSTART
	v_pk_mul_f16 v2, v32, v2;

	;;#ASMEND
	;;#ASMSTART
	v_pk_mul_f16 v3, v37, v3;

	;;#ASMEND
	;; [unrolled: 4-line block ×3, first 2 shown]
	;;#ASMSTART
	v_pk_add_f16 v1, v1, v2;

	;;#ASMEND
	;;#ASMSTART
	v_pk_add_f16 v1, v1, v3;

	;;#ASMEND
	;; [unrolled: 4-line block ×3, first 2 shown]
	v_and_b32_e32 v2, 0xffff, v1
	v_lshrrev_b32_e32 v1, 16, v1
	;;#ASMSTART
	v_cvt_f32_f16 v39, v2;
	;;#ASMEND
	;;#ASMSTART
	v_cvt_f32_f16 v40, v1;
	;;#ASMEND
	global_load_dwordx4 v[1:4], v[8:9], off offset:512
	s_waitcnt vmcnt(0)
	v_lshrrev_b32_e32 v43, 16, v1
	v_lshrrev_b32_e32 v42, 16, v2
	;; [unrolled: 1-line block ×3, first 2 shown]
	s_and_saveexec_b32 s9, s1
	s_cbranch_execz .LBB105_37
; %bb.36:                               ;   in Loop: Header=BB105_33 Depth=1
	v_cmp_gt_i32_e32 vcc_lo, s23, v29
	v_and_b32_e32 v44, 0xffff0000, v4
	v_cmp_gt_i32_e64 s2, s23, v28
	v_cndmask_b32_e32 v1, 0, v1, vcc_lo
	v_cmp_gt_i32_e32 vcc_lo, s23, v31
	v_cndmask_b32_e64 v2, 0, v2, s2
	v_cmp_gt_i32_e64 s2, s23, v27
	v_cndmask_b32_e32 v43, 0, v43, vcc_lo
	v_cmp_gt_i32_e32 vcc_lo, s23, v30
	v_cndmask_b32_e64 v42, 0, v42, s2
	v_cndmask_b32_sdwa v4, v20, v4, vcc_lo dst_sel:DWORD dst_unused:UNUSED_PAD src0_sel:DWORD src1_sel:WORD_0
	v_cmp_gt_i32_e32 vcc_lo, s23, v23
	v_cndmask_b32_e32 v44, 0, v44, vcc_lo
	v_cmp_gt_i32_e32 vcc_lo, s23, v26
	v_or_b32_e32 v4, v4, v44
	v_cndmask_b32_e32 v3, 0, v3, vcc_lo
	v_cmp_gt_i32_e32 vcc_lo, s23, v25
	v_cndmask_b32_e32 v41, 0, v41, vcc_lo
.LBB105_37:                             ;   in Loop: Header=BB105_33 Depth=1
	s_or_b32 exec_lo, exec_lo, s9
	v_lshlrev_b32_e32 v43, 16, v43
	v_lshlrev_b32_e32 v42, 16, v42
	;; [unrolled: 1-line block ×3, first 2 shown]
	v_and_or_b32 v1, 0xffff, v1, v43
	v_and_or_b32 v2, 0xffff, v2, v42
	;; [unrolled: 1-line block ×3, first 2 shown]
	;;#ASMSTART
	v_pk_mul_f16 v1, v36, v1;

	;;#ASMEND
	;;#ASMSTART
	v_pk_mul_f16 v2, v32, v2;

	;;#ASMEND
	;; [unrolled: 4-line block ×4, first 2 shown]
	;;#ASMSTART
	v_pk_add_f16 v1, v1, v2;

	;;#ASMEND
	;;#ASMSTART
	v_pk_add_f16 v1, v1, v3;

	;;#ASMEND
	;; [unrolled: 4-line block ×3, first 2 shown]
	v_and_b32_e32 v2, 0xffff, v1
	v_lshrrev_b32_e32 v1, 16, v1
	;;#ASMSTART
	v_cvt_f32_f16 v41, v2;
	;;#ASMEND
	;;#ASMSTART
	v_cvt_f32_f16 v42, v1;
	;;#ASMEND
	global_load_dwordx4 v[1:4], v[8:9], off offset:1024
	s_waitcnt vmcnt(0)
	v_lshrrev_b32_e32 v45, 16, v1
	v_lshrrev_b32_e32 v44, 16, v2
	;; [unrolled: 1-line block ×3, first 2 shown]
	s_and_saveexec_b32 s9, s1
	s_cbranch_execz .LBB105_39
; %bb.38:                               ;   in Loop: Header=BB105_33 Depth=1
	v_cmp_gt_i32_e32 vcc_lo, s23, v29
	v_and_b32_e32 v46, 0xffff0000, v4
	v_cmp_gt_i32_e64 s2, s23, v28
	v_cndmask_b32_e32 v1, 0, v1, vcc_lo
	v_cmp_gt_i32_e32 vcc_lo, s23, v31
	v_cndmask_b32_e64 v2, 0, v2, s2
	v_cmp_gt_i32_e64 s2, s23, v27
	v_cndmask_b32_e32 v45, 0, v45, vcc_lo
	v_cmp_gt_i32_e32 vcc_lo, s23, v30
	v_cndmask_b32_e64 v44, 0, v44, s2
	v_cndmask_b32_sdwa v4, v20, v4, vcc_lo dst_sel:DWORD dst_unused:UNUSED_PAD src0_sel:DWORD src1_sel:WORD_0
	v_cmp_gt_i32_e32 vcc_lo, s23, v23
	v_cndmask_b32_e32 v46, 0, v46, vcc_lo
	v_cmp_gt_i32_e32 vcc_lo, s23, v26
	v_or_b32_e32 v4, v4, v46
	v_cndmask_b32_e32 v3, 0, v3, vcc_lo
	v_cmp_gt_i32_e32 vcc_lo, s23, v25
	v_cndmask_b32_e32 v43, 0, v43, vcc_lo
.LBB105_39:                             ;   in Loop: Header=BB105_33 Depth=1
	s_or_b32 exec_lo, exec_lo, s9
	v_lshlrev_b32_e32 v45, 16, v45
	v_lshlrev_b32_e32 v44, 16, v44
	;; [unrolled: 1-line block ×3, first 2 shown]
	v_and_or_b32 v1, 0xffff, v1, v45
	v_and_or_b32 v2, 0xffff, v2, v44
	;; [unrolled: 1-line block ×3, first 2 shown]
	;;#ASMSTART
	v_pk_mul_f16 v1, v36, v1;

	;;#ASMEND
	;;#ASMSTART
	v_pk_mul_f16 v2, v32, v2;

	;;#ASMEND
	;;#ASMSTART
	v_pk_mul_f16 v3, v37, v3;

	;;#ASMEND
	;;#ASMSTART
	v_pk_mul_f16 v4, v38, v4;

	;;#ASMEND
	;;#ASMSTART
	v_pk_add_f16 v1, v1, v2;

	;;#ASMEND
	;;#ASMSTART
	v_pk_add_f16 v1, v1, v3;

	;;#ASMEND
	;; [unrolled: 4-line block ×3, first 2 shown]
	v_and_b32_e32 v2, 0xffff, v1
	v_lshrrev_b32_e32 v1, 16, v1
	;;#ASMSTART
	v_cvt_f32_f16 v43, v2;
	;;#ASMEND
	;;#ASMSTART
	v_cvt_f32_f16 v44, v1;
	;;#ASMEND
	global_load_dwordx4 v[1:4], v[8:9], off offset:1536
	s_waitcnt vmcnt(0)
	v_lshrrev_b32_e32 v47, 16, v1
	v_lshrrev_b32_e32 v46, 16, v2
	;; [unrolled: 1-line block ×3, first 2 shown]
	s_and_saveexec_b32 s9, s1
	s_cbranch_execz .LBB105_41
; %bb.40:                               ;   in Loop: Header=BB105_33 Depth=1
	v_cmp_gt_i32_e32 vcc_lo, s23, v29
	v_and_b32_e32 v48, 0xffff0000, v4
	v_cmp_gt_i32_e64 s2, s23, v28
	v_cndmask_b32_e32 v1, 0, v1, vcc_lo
	v_cmp_gt_i32_e32 vcc_lo, s23, v31
	v_cndmask_b32_e64 v2, 0, v2, s2
	v_cmp_gt_i32_e64 s2, s23, v27
	v_cndmask_b32_e32 v47, 0, v47, vcc_lo
	v_cmp_gt_i32_e32 vcc_lo, s23, v30
	v_cndmask_b32_e64 v46, 0, v46, s2
	v_cndmask_b32_sdwa v4, v20, v4, vcc_lo dst_sel:DWORD dst_unused:UNUSED_PAD src0_sel:DWORD src1_sel:WORD_0
	v_cmp_gt_i32_e32 vcc_lo, s23, v23
	v_cndmask_b32_e32 v48, 0, v48, vcc_lo
	v_cmp_gt_i32_e32 vcc_lo, s23, v26
	v_or_b32_e32 v4, v4, v48
	v_cndmask_b32_e32 v3, 0, v3, vcc_lo
	v_cmp_gt_i32_e32 vcc_lo, s23, v25
	v_cndmask_b32_e32 v45, 0, v45, vcc_lo
.LBB105_41:                             ;   in Loop: Header=BB105_33 Depth=1
	s_or_b32 exec_lo, exec_lo, s9
	v_lshlrev_b32_e32 v47, 16, v47
	v_lshlrev_b32_e32 v46, 16, v46
	;; [unrolled: 1-line block ×3, first 2 shown]
	v_add_co_u32 v8, vcc_lo, 0x800, v8
	v_and_or_b32 v1, 0xffff, v1, v47
	v_and_or_b32 v2, 0xffff, v2, v46
	;; [unrolled: 1-line block ×3, first 2 shown]
	;;#ASMSTART
	v_pk_mul_f16 v1, v36, v1;

	;;#ASMEND
	v_add_co_ci_u32_e64 v9, null, 0, v9, vcc_lo
	;;#ASMSTART
	v_pk_mul_f16 v2, v32, v2;

	;;#ASMEND
	;;#ASMSTART
	v_pk_mul_f16 v3, v37, v3;

	;;#ASMEND
	;; [unrolled: 4-line block ×3, first 2 shown]
	;;#ASMSTART
	v_pk_add_f16 v1, v1, v2;

	;;#ASMEND
	;;#ASMSTART
	v_pk_add_f16 v1, v1, v3;

	;;#ASMEND
	;; [unrolled: 4-line block ×3, first 2 shown]
	v_lshrrev_b32_e32 v2, 16, v1
	v_and_b32_e32 v1, 0xffff, v1
	;;#ASMSTART
	v_cvt_f32_f16 v45, v1;
	;;#ASMEND
	;;#ASMSTART
	v_cvt_f32_f16 v46, v2;
	;;#ASMEND
	global_load_dwordx4 v[1:4], v[8:9], off
	s_waitcnt vmcnt(0)
	v_lshrrev_b32_e32 v49, 16, v1
	v_lshrrev_b32_e32 v48, 16, v2
	;; [unrolled: 1-line block ×3, first 2 shown]
	s_and_saveexec_b32 s9, s1
	s_cbranch_execz .LBB105_43
; %bb.42:                               ;   in Loop: Header=BB105_33 Depth=1
	v_cmp_gt_i32_e32 vcc_lo, s23, v29
	v_and_b32_e32 v50, 0xffff0000, v4
	v_cmp_gt_i32_e64 s2, s23, v28
	v_cndmask_b32_e32 v1, 0, v1, vcc_lo
	v_cmp_gt_i32_e32 vcc_lo, s23, v31
	v_cndmask_b32_e64 v2, 0, v2, s2
	v_cmp_gt_i32_e64 s2, s23, v27
	v_cndmask_b32_e32 v49, 0, v49, vcc_lo
	v_cmp_gt_i32_e32 vcc_lo, s23, v30
	v_cndmask_b32_e64 v48, 0, v48, s2
	v_cndmask_b32_sdwa v4, v20, v4, vcc_lo dst_sel:DWORD dst_unused:UNUSED_PAD src0_sel:DWORD src1_sel:WORD_0
	v_cmp_gt_i32_e32 vcc_lo, s23, v23
	v_cndmask_b32_e32 v50, 0, v50, vcc_lo
	v_cmp_gt_i32_e32 vcc_lo, s23, v26
	v_or_b32_e32 v4, v4, v50
	v_cndmask_b32_e32 v3, 0, v3, vcc_lo
	v_cmp_gt_i32_e32 vcc_lo, s23, v25
	v_cndmask_b32_e32 v47, 0, v47, vcc_lo
.LBB105_43:                             ;   in Loop: Header=BB105_33 Depth=1
	s_or_b32 exec_lo, exec_lo, s9
	v_lshlrev_b32_e32 v49, 16, v49
	v_lshlrev_b32_e32 v48, 16, v48
	;; [unrolled: 1-line block ×3, first 2 shown]
	v_and_or_b32 v1, 0xffff, v1, v49
	v_and_or_b32 v2, 0xffff, v2, v48
	;; [unrolled: 1-line block ×3, first 2 shown]
	;;#ASMSTART
	v_pk_mul_f16 v1, v36, v1;

	;;#ASMEND
	;;#ASMSTART
	v_pk_mul_f16 v2, v32, v2;

	;;#ASMEND
	;; [unrolled: 4-line block ×4, first 2 shown]
	;;#ASMSTART
	v_pk_add_f16 v1, v1, v2;

	;;#ASMEND
	;;#ASMSTART
	v_pk_add_f16 v1, v1, v3;

	;;#ASMEND
	;; [unrolled: 4-line block ×3, first 2 shown]
	v_and_b32_e32 v2, 0xffff, v1
	v_lshrrev_b32_e32 v1, 16, v1
	;;#ASMSTART
	v_cvt_f32_f16 v47, v2;
	;;#ASMEND
	;;#ASMSTART
	v_cvt_f32_f16 v48, v1;
	;;#ASMEND
	global_load_dwordx4 v[1:4], v[8:9], off offset:512
	s_waitcnt vmcnt(0)
	v_lshrrev_b32_e32 v51, 16, v1
	v_lshrrev_b32_e32 v50, 16, v2
	;; [unrolled: 1-line block ×3, first 2 shown]
	s_and_saveexec_b32 s9, s1
	s_cbranch_execz .LBB105_45
; %bb.44:                               ;   in Loop: Header=BB105_33 Depth=1
	v_cmp_gt_i32_e32 vcc_lo, s23, v29
	v_and_b32_e32 v52, 0xffff0000, v4
	v_cmp_gt_i32_e64 s2, s23, v28
	v_cndmask_b32_e32 v1, 0, v1, vcc_lo
	v_cmp_gt_i32_e32 vcc_lo, s23, v31
	v_cndmask_b32_e64 v2, 0, v2, s2
	v_cmp_gt_i32_e64 s2, s23, v27
	v_cndmask_b32_e32 v51, 0, v51, vcc_lo
	v_cmp_gt_i32_e32 vcc_lo, s23, v30
	v_cndmask_b32_e64 v50, 0, v50, s2
	v_cndmask_b32_sdwa v4, v20, v4, vcc_lo dst_sel:DWORD dst_unused:UNUSED_PAD src0_sel:DWORD src1_sel:WORD_0
	v_cmp_gt_i32_e32 vcc_lo, s23, v23
	v_cndmask_b32_e32 v52, 0, v52, vcc_lo
	v_cmp_gt_i32_e32 vcc_lo, s23, v26
	v_or_b32_e32 v4, v4, v52
	v_cndmask_b32_e32 v3, 0, v3, vcc_lo
	v_cmp_gt_i32_e32 vcc_lo, s23, v25
	v_cndmask_b32_e32 v49, 0, v49, vcc_lo
.LBB105_45:                             ;   in Loop: Header=BB105_33 Depth=1
	s_or_b32 exec_lo, exec_lo, s9
	v_lshlrev_b32_e32 v51, 16, v51
	v_lshlrev_b32_e32 v50, 16, v50
	;; [unrolled: 1-line block ×3, first 2 shown]
	v_and_or_b32 v1, 0xffff, v1, v51
	v_and_or_b32 v2, 0xffff, v2, v50
	;; [unrolled: 1-line block ×3, first 2 shown]
	;;#ASMSTART
	v_pk_mul_f16 v1, v36, v1;

	;;#ASMEND
	;;#ASMSTART
	v_pk_mul_f16 v2, v32, v2;

	;;#ASMEND
	;; [unrolled: 4-line block ×4, first 2 shown]
	;;#ASMSTART
	v_pk_add_f16 v1, v1, v2;

	;;#ASMEND
	;;#ASMSTART
	v_pk_add_f16 v1, v1, v3;

	;;#ASMEND
	;; [unrolled: 4-line block ×3, first 2 shown]
	v_and_b32_e32 v2, 0xffff, v1
	v_lshrrev_b32_e32 v1, 16, v1
	;;#ASMSTART
	v_cvt_f32_f16 v49, v2;
	;;#ASMEND
	;;#ASMSTART
	v_cvt_f32_f16 v50, v1;
	;;#ASMEND
	global_load_dwordx4 v[1:4], v[8:9], off offset:1024
	s_waitcnt vmcnt(0)
	v_lshrrev_b32_e32 v53, 16, v1
	v_lshrrev_b32_e32 v52, 16, v2
	;; [unrolled: 1-line block ×3, first 2 shown]
	s_and_saveexec_b32 s9, s1
	s_cbranch_execz .LBB105_47
; %bb.46:                               ;   in Loop: Header=BB105_33 Depth=1
	v_cmp_gt_i32_e32 vcc_lo, s23, v29
	v_and_b32_e32 v54, 0xffff0000, v4
	v_cmp_gt_i32_e64 s2, s23, v28
	v_cndmask_b32_e32 v1, 0, v1, vcc_lo
	v_cmp_gt_i32_e32 vcc_lo, s23, v31
	v_cndmask_b32_e64 v2, 0, v2, s2
	v_cmp_gt_i32_e64 s2, s23, v27
	v_cndmask_b32_e32 v53, 0, v53, vcc_lo
	v_cmp_gt_i32_e32 vcc_lo, s23, v30
	v_cndmask_b32_e64 v52, 0, v52, s2
	v_cndmask_b32_sdwa v4, v20, v4, vcc_lo dst_sel:DWORD dst_unused:UNUSED_PAD src0_sel:DWORD src1_sel:WORD_0
	v_cmp_gt_i32_e32 vcc_lo, s23, v23
	v_cndmask_b32_e32 v54, 0, v54, vcc_lo
	v_cmp_gt_i32_e32 vcc_lo, s23, v26
	v_or_b32_e32 v4, v4, v54
	v_cndmask_b32_e32 v3, 0, v3, vcc_lo
	v_cmp_gt_i32_e32 vcc_lo, s23, v25
	v_cndmask_b32_e32 v51, 0, v51, vcc_lo
.LBB105_47:                             ;   in Loop: Header=BB105_33 Depth=1
	s_or_b32 exec_lo, exec_lo, s9
	v_lshlrev_b32_e32 v53, 16, v53
	v_lshlrev_b32_e32 v52, 16, v52
	;; [unrolled: 1-line block ×3, first 2 shown]
	v_and_or_b32 v1, 0xffff, v1, v53
	v_and_or_b32 v2, 0xffff, v2, v52
	;; [unrolled: 1-line block ×3, first 2 shown]
	;;#ASMSTART
	v_pk_mul_f16 v1, v36, v1;

	;;#ASMEND
	;;#ASMSTART
	v_pk_mul_f16 v2, v32, v2;

	;;#ASMEND
	;;#ASMSTART
	v_pk_mul_f16 v3, v37, v3;

	;;#ASMEND
	;;#ASMSTART
	v_pk_mul_f16 v4, v38, v4;

	;;#ASMEND
	;;#ASMSTART
	v_pk_add_f16 v1, v1, v2;

	;;#ASMEND
	;;#ASMSTART
	v_pk_add_f16 v1, v1, v3;

	;;#ASMEND
	;; [unrolled: 4-line block ×3, first 2 shown]
	v_and_b32_e32 v2, 0xffff, v1
	v_lshrrev_b32_e32 v1, 16, v1
	;;#ASMSTART
	v_cvt_f32_f16 v52, v2;
	;;#ASMEND
	;;#ASMSTART
	v_cvt_f32_f16 v53, v1;
	;;#ASMEND
	global_load_dwordx4 v[1:4], v[8:9], off offset:1536
	s_waitcnt vmcnt(0)
	v_lshrrev_b32_e32 v51, 16, v1
	v_lshrrev_b32_e32 v9, 16, v2
	;; [unrolled: 1-line block ×3, first 2 shown]
	s_and_saveexec_b32 s2, s1
	s_cbranch_execz .LBB105_32
; %bb.48:                               ;   in Loop: Header=BB105_33 Depth=1
	v_cmp_gt_i32_e32 vcc_lo, s23, v29
	v_cmp_gt_i32_e64 s1, s23, v28
	v_cndmask_b32_e32 v1, 0, v1, vcc_lo
	v_cmp_gt_i32_e32 vcc_lo, s23, v31
	v_cndmask_b32_e64 v2, 0, v2, s1
	v_cmp_gt_i32_e64 s1, s23, v27
	v_and_b32_e32 v27, 0xffff0000, v4
	v_cndmask_b32_e32 v51, 0, v51, vcc_lo
	v_cmp_gt_i32_e32 vcc_lo, s23, v30
	v_cndmask_b32_e64 v9, 0, v9, s1
	v_cndmask_b32_sdwa v4, v20, v4, vcc_lo dst_sel:DWORD dst_unused:UNUSED_PAD src0_sel:DWORD src1_sel:WORD_0
	v_cmp_gt_i32_e32 vcc_lo, s23, v23
	v_cndmask_b32_e32 v27, 0, v27, vcc_lo
	v_cmp_gt_i32_e32 vcc_lo, s23, v26
	v_or_b32_e32 v4, v4, v27
	v_cndmask_b32_e32 v3, 0, v3, vcc_lo
	v_cmp_gt_i32_e32 vcc_lo, s23, v25
	v_cndmask_b32_e32 v8, 0, v8, vcc_lo
	s_branch .LBB105_32
.LBB105_49:
	s_or_b32 exec_lo, exec_lo, s5
.LBB105_50:
	s_or_b32 exec_lo, exec_lo, s3
	ds_bpermute_b32 v1, v11, v18
	ds_bpermute_b32 v2, v11, v19
	ds_bpermute_b32 v3, v11, v17
	ds_bpermute_b32 v4, v11, v16
	ds_bpermute_b32 v20, v11, v15
	ds_bpermute_b32 v21, v11, v14
	ds_bpermute_b32 v22, v11, v13
	ds_bpermute_b32 v23, v11, v12
	v_lshrrev_b32_e32 v9, 1, v10
	v_lshlrev_b32_e32 v11, 9, v35
	v_and_b32_e32 v24, 0x3c1, v0
	s_mov_b32 s1, exec_lo
	s_waitcnt lgkmcnt(0)
	s_waitcnt_vscnt null, 0x0
	v_lshl_add_u32 v10, v9, 2, 0x120
	s_barrier
	buffer_gl0_inv
	v_add_f32_e32 v8, v18, v1
	v_add_f32_e32 v7, v19, v2
	v_add_f32_e32 v6, v17, v3
	v_add_f32_e32 v5, v16, v4
	v_add_f32_e32 v4, v15, v20
	v_add_f32_e32 v3, v14, v21
	v_add_f32_e32 v2, v13, v22
	v_add_f32_e32 v1, v12, v23
	v_cmpx_eq_u32_e32 64, v24
	s_cbranch_execz .LBB105_52
; %bb.51:
	v_add_nc_u32_e32 v12, v10, v11
	v_add_nc_u32_e32 v13, 0xfffffc00, v12
	;; [unrolled: 1-line block ×9, first 2 shown]
	ds_write_b32 v13, v8
	ds_write_b32 v14, v7
	;; [unrolled: 1-line block ×8, first 2 shown]
.LBB105_52:
	s_or_b32 exec_lo, exec_lo, s1
	v_lshlrev_b32_e32 v9, 2, v9
	s_mov_b32 s2, exec_lo
	v_cmp_eq_u32_e32 vcc_lo, 0, v34
	s_waitcnt lgkmcnt(0)
	s_barrier
	v_add3_u32 v9, 0x120, v11, v9
	buffer_gl0_inv
	v_cmpx_gt_u32_e32 64, v0
	s_cbranch_execz .LBB105_63
; %bb.53:
	s_and_saveexec_b32 s1, vcc_lo
	s_cbranch_execnz .LBB105_79
; %bb.54:
	s_or_b32 exec_lo, exec_lo, s1
	s_and_saveexec_b32 s1, vcc_lo
	s_cbranch_execnz .LBB105_80
.LBB105_55:
	s_or_b32 exec_lo, exec_lo, s1
	s_and_saveexec_b32 s1, vcc_lo
	s_cbranch_execnz .LBB105_81
.LBB105_56:
	s_or_b32 exec_lo, exec_lo, s1
	s_and_saveexec_b32 s1, vcc_lo
	s_cbranch_execnz .LBB105_82
.LBB105_57:
	s_or_b32 exec_lo, exec_lo, s1
	s_and_saveexec_b32 s1, vcc_lo
	s_cbranch_execnz .LBB105_83
.LBB105_58:
	s_or_b32 exec_lo, exec_lo, s1
	s_and_saveexec_b32 s1, vcc_lo
	s_cbranch_execnz .LBB105_84
.LBB105_59:
	s_or_b32 exec_lo, exec_lo, s1
	s_and_saveexec_b32 s1, vcc_lo
	s_cbranch_execnz .LBB105_85
.LBB105_60:
	s_or_b32 exec_lo, exec_lo, s1
	s_and_saveexec_b32 s1, vcc_lo
	s_cbranch_execz .LBB105_62
.LBB105_61:
	ds_read_b32 v11, v9 offset:448
	s_waitcnt lgkmcnt(0)
	v_add_f32_e32 v1, v1, v11
.LBB105_62:
	s_or_b32 exec_lo, exec_lo, s1
.LBB105_63:
	s_or_b32 exec_lo, exec_lo, s2
	v_and_b32_e32 v0, 0x3e1, v0
	s_mov_b32 s2, exec_lo
	s_barrier
	buffer_gl0_inv
	v_cmpx_eq_u32_e32 32, v0
	s_cbranch_execz .LBB105_65
; %bb.64:
	ds_write2_b32 v10, v8, v7 offset1:16
	ds_write2_b32 v10, v6, v5 offset0:32 offset1:48
	ds_write2_b32 v10, v4, v3 offset0:64 offset1:80
	;; [unrolled: 1-line block ×3, first 2 shown]
.LBB105_65:
	s_or_b32 exec_lo, exec_lo, s2
	s_waitcnt lgkmcnt(0)
	s_barrier
	buffer_gl0_inv
	s_and_saveexec_b32 s1, s0
	s_cbranch_execz .LBB105_76
; %bb.66:
	s_and_saveexec_b32 s0, vcc_lo
	s_cbranch_execnz .LBB105_86
; %bb.67:
	s_or_b32 exec_lo, exec_lo, s0
	s_and_saveexec_b32 s0, vcc_lo
	s_cbranch_execnz .LBB105_87
.LBB105_68:
	s_or_b32 exec_lo, exec_lo, s0
	s_and_saveexec_b32 s0, vcc_lo
	s_cbranch_execnz .LBB105_88
.LBB105_69:
	s_or_b32 exec_lo, exec_lo, s0
	s_and_saveexec_b32 s0, vcc_lo
	s_cbranch_execnz .LBB105_89
.LBB105_70:
	s_or_b32 exec_lo, exec_lo, s0
	s_and_saveexec_b32 s0, vcc_lo
	s_cbranch_execnz .LBB105_90
.LBB105_71:
	s_or_b32 exec_lo, exec_lo, s0
	s_and_saveexec_b32 s0, vcc_lo
	s_cbranch_execnz .LBB105_91
.LBB105_72:
	s_or_b32 exec_lo, exec_lo, s0
	s_and_saveexec_b32 s0, vcc_lo
	s_cbranch_execnz .LBB105_92
.LBB105_73:
	s_or_b32 exec_lo, exec_lo, s0
	s_and_saveexec_b32 s0, vcc_lo
	s_cbranch_execz .LBB105_75
.LBB105_74:
	ds_read_b32 v9, v9 offset:448
	s_waitcnt lgkmcnt(0)
	v_add_f32_e32 v1, v1, v9
.LBB105_75:
	s_or_b32 exec_lo, exec_lo, s0
.LBB105_76:
	s_or_b32 exec_lo, exec_lo, s1
	s_barrier
	buffer_gl0_inv
	s_mov_b32 s0, exec_lo
	v_cmpx_eq_u32_e32 0, v0
	s_cbranch_execz .LBB105_78
; %bb.77:
	s_lshl_b32 s0, s4, 7
	s_mul_i32 s2, s7, s10
	s_ashr_i32 s1, s0, 31
	v_lshlrev_b32_e32 v0, 1, v33
	s_lshl_b64 s[0:1], s[0:1], 1
	;;#ASMSTART
	v_cvt_f16_f32 v8, v8;

	;;#ASMEND
	s_add_u32 s4, s20, s0
	s_addc_u32 s5, s21, s1
	s_ashr_i32 s3, s2, 31
	s_lshl_b64 s[0:1], s[2:3], 1
	s_add_u32 s2, s4, s0
	s_addc_u32 s3, s5, s1
	s_lshl_b32 s0, s8, 7
	s_ashr_i32 s1, s0, 31
	s_lshl_b64 s[0:1], s[0:1], 1
	s_add_u32 s0, s2, s0
	s_addc_u32 s1, s3, s1
	global_store_short v0, v8, s[0:1]
	;;#ASMSTART
	v_cvt_f16_f32 v7, v7;

	;;#ASMEND
	global_store_short v0, v7, s[0:1] offset:32
	;;#ASMSTART
	v_cvt_f16_f32 v6, v6;

	;;#ASMEND
	global_store_short v0, v6, s[0:1] offset:64
	;; [unrolled: 5-line block ×7, first 2 shown]
.LBB105_78:
	s_endpgm
.LBB105_79:
	ds_read_b32 v11, v9
	s_waitcnt lgkmcnt(0)
	v_add_f32_e32 v8, v8, v11
	s_or_b32 exec_lo, exec_lo, s1
	s_and_saveexec_b32 s1, vcc_lo
	s_cbranch_execz .LBB105_55
.LBB105_80:
	ds_read_b32 v11, v9 offset:64
	s_waitcnt lgkmcnt(0)
	v_add_f32_e32 v7, v7, v11
	s_or_b32 exec_lo, exec_lo, s1
	s_and_saveexec_b32 s1, vcc_lo
	s_cbranch_execz .LBB105_56
.LBB105_81:
	ds_read_b32 v11, v9 offset:128
	s_waitcnt lgkmcnt(0)
	v_add_f32_e32 v6, v6, v11
	s_or_b32 exec_lo, exec_lo, s1
	s_and_saveexec_b32 s1, vcc_lo
	s_cbranch_execz .LBB105_57
.LBB105_82:
	ds_read_b32 v11, v9 offset:192
	s_waitcnt lgkmcnt(0)
	v_add_f32_e32 v5, v5, v11
	s_or_b32 exec_lo, exec_lo, s1
	s_and_saveexec_b32 s1, vcc_lo
	s_cbranch_execz .LBB105_58
.LBB105_83:
	ds_read_b32 v11, v9 offset:256
	s_waitcnt lgkmcnt(0)
	v_add_f32_e32 v4, v4, v11
	s_or_b32 exec_lo, exec_lo, s1
	s_and_saveexec_b32 s1, vcc_lo
	s_cbranch_execz .LBB105_59
.LBB105_84:
	ds_read_b32 v11, v9 offset:320
	s_waitcnt lgkmcnt(0)
	v_add_f32_e32 v3, v3, v11
	s_or_b32 exec_lo, exec_lo, s1
	s_and_saveexec_b32 s1, vcc_lo
	s_cbranch_execz .LBB105_60
.LBB105_85:
	ds_read_b32 v11, v9 offset:384
	s_waitcnt lgkmcnt(0)
	v_add_f32_e32 v2, v2, v11
	s_or_b32 exec_lo, exec_lo, s1
	s_and_saveexec_b32 s1, vcc_lo
	s_cbranch_execnz .LBB105_61
	s_branch .LBB105_62
.LBB105_86:
	ds_read_b32 v10, v9
	s_waitcnt lgkmcnt(0)
	v_add_f32_e32 v8, v8, v10
	s_or_b32 exec_lo, exec_lo, s0
	s_and_saveexec_b32 s0, vcc_lo
	s_cbranch_execz .LBB105_68
.LBB105_87:
	ds_read_b32 v10, v9 offset:64
	s_waitcnt lgkmcnt(0)
	v_add_f32_e32 v7, v7, v10
	s_or_b32 exec_lo, exec_lo, s0
	s_and_saveexec_b32 s0, vcc_lo
	s_cbranch_execz .LBB105_69
.LBB105_88:
	ds_read_b32 v10, v9 offset:128
	s_waitcnt lgkmcnt(0)
	v_add_f32_e32 v6, v6, v10
	s_or_b32 exec_lo, exec_lo, s0
	s_and_saveexec_b32 s0, vcc_lo
	s_cbranch_execz .LBB105_70
.LBB105_89:
	ds_read_b32 v10, v9 offset:192
	s_waitcnt lgkmcnt(0)
	v_add_f32_e32 v5, v5, v10
	s_or_b32 exec_lo, exec_lo, s0
	s_and_saveexec_b32 s0, vcc_lo
	s_cbranch_execz .LBB105_71
.LBB105_90:
	ds_read_b32 v10, v9 offset:256
	s_waitcnt lgkmcnt(0)
	v_add_f32_e32 v4, v4, v10
	s_or_b32 exec_lo, exec_lo, s0
	s_and_saveexec_b32 s0, vcc_lo
	s_cbranch_execz .LBB105_72
.LBB105_91:
	ds_read_b32 v10, v9 offset:320
	s_waitcnt lgkmcnt(0)
	v_add_f32_e32 v3, v3, v10
	s_or_b32 exec_lo, exec_lo, s0
	s_and_saveexec_b32 s0, vcc_lo
	s_cbranch_execz .LBB105_73
.LBB105_92:
	ds_read_b32 v10, v9 offset:384
	s_waitcnt lgkmcnt(0)
	v_add_f32_e32 v2, v2, v10
	s_or_b32 exec_lo, exec_lo, s0
	s_and_saveexec_b32 s0, vcc_lo
	s_cbranch_execnz .LBB105_74
	s_branch .LBB105_75
	.section	.rodata,"a",@progbits
	.p2align	6, 0x0
	.amdhsa_kernel _ZN4vllm25paged_attention_v2_kernelIttLi128ELi16ELi128ELNS_18Fp8KVCacheDataTypeE0ELb0ELi512EEEvPfS2_PT_PKS3_PKT0_S9_ifPKiSB_iPKfiiiSD_SD_iiiii
		.amdhsa_group_segment_fixed_size 288
		.amdhsa_private_segment_fixed_size 0
		.amdhsa_kernarg_size 400
		.amdhsa_user_sgpr_count 6
		.amdhsa_user_sgpr_private_segment_buffer 1
		.amdhsa_user_sgpr_dispatch_ptr 0
		.amdhsa_user_sgpr_queue_ptr 0
		.amdhsa_user_sgpr_kernarg_segment_ptr 1
		.amdhsa_user_sgpr_dispatch_id 0
		.amdhsa_user_sgpr_flat_scratch_init 0
		.amdhsa_user_sgpr_private_segment_size 0
		.amdhsa_wavefront_size32 1
		.amdhsa_uses_dynamic_stack 0
		.amdhsa_system_sgpr_private_segment_wavefront_offset 0
		.amdhsa_system_sgpr_workgroup_id_x 1
		.amdhsa_system_sgpr_workgroup_id_y 1
		.amdhsa_system_sgpr_workgroup_id_z 1
		.amdhsa_system_sgpr_workgroup_info 0
		.amdhsa_system_vgpr_workitem_id 0
		.amdhsa_next_free_vgpr 92
		.amdhsa_next_free_sgpr 38
		.amdhsa_reserve_vcc 1
		.amdhsa_reserve_flat_scratch 0
		.amdhsa_float_round_mode_32 0
		.amdhsa_float_round_mode_16_64 0
		.amdhsa_float_denorm_mode_32 3
		.amdhsa_float_denorm_mode_16_64 3
		.amdhsa_dx10_clamp 1
		.amdhsa_ieee_mode 1
		.amdhsa_fp16_overflow 0
		.amdhsa_workgroup_processor_mode 1
		.amdhsa_memory_ordered 1
		.amdhsa_forward_progress 1
		.amdhsa_shared_vgpr_count 0
		.amdhsa_exception_fp_ieee_invalid_op 0
		.amdhsa_exception_fp_denorm_src 0
		.amdhsa_exception_fp_ieee_div_zero 0
		.amdhsa_exception_fp_ieee_overflow 0
		.amdhsa_exception_fp_ieee_underflow 0
		.amdhsa_exception_fp_ieee_inexact 0
		.amdhsa_exception_int_div_zero 0
	.end_amdhsa_kernel
	.section	.text._ZN4vllm25paged_attention_v2_kernelIttLi128ELi16ELi128ELNS_18Fp8KVCacheDataTypeE0ELb0ELi512EEEvPfS2_PT_PKS3_PKT0_S9_ifPKiSB_iPKfiiiSD_SD_iiiii,"axG",@progbits,_ZN4vllm25paged_attention_v2_kernelIttLi128ELi16ELi128ELNS_18Fp8KVCacheDataTypeE0ELb0ELi512EEEvPfS2_PT_PKS3_PKT0_S9_ifPKiSB_iPKfiiiSD_SD_iiiii,comdat
.Lfunc_end105:
	.size	_ZN4vllm25paged_attention_v2_kernelIttLi128ELi16ELi128ELNS_18Fp8KVCacheDataTypeE0ELb0ELi512EEEvPfS2_PT_PKS3_PKT0_S9_ifPKiSB_iPKfiiiSD_SD_iiiii, .Lfunc_end105-_ZN4vllm25paged_attention_v2_kernelIttLi128ELi16ELi128ELNS_18Fp8KVCacheDataTypeE0ELb0ELi512EEEvPfS2_PT_PKS3_PKT0_S9_ifPKiSB_iPKfiiiSD_SD_iiiii
                                        ; -- End function
	.set _ZN4vllm25paged_attention_v2_kernelIttLi128ELi16ELi128ELNS_18Fp8KVCacheDataTypeE0ELb0ELi512EEEvPfS2_PT_PKS3_PKT0_S9_ifPKiSB_iPKfiiiSD_SD_iiiii.num_vgpr, 92
	.set _ZN4vllm25paged_attention_v2_kernelIttLi128ELi16ELi128ELNS_18Fp8KVCacheDataTypeE0ELb0ELi512EEEvPfS2_PT_PKS3_PKT0_S9_ifPKiSB_iPKfiiiSD_SD_iiiii.num_agpr, 0
	.set _ZN4vllm25paged_attention_v2_kernelIttLi128ELi16ELi128ELNS_18Fp8KVCacheDataTypeE0ELb0ELi512EEEvPfS2_PT_PKS3_PKT0_S9_ifPKiSB_iPKfiiiSD_SD_iiiii.numbered_sgpr, 38
	.set _ZN4vllm25paged_attention_v2_kernelIttLi128ELi16ELi128ELNS_18Fp8KVCacheDataTypeE0ELb0ELi512EEEvPfS2_PT_PKS3_PKT0_S9_ifPKiSB_iPKfiiiSD_SD_iiiii.num_named_barrier, 0
	.set _ZN4vllm25paged_attention_v2_kernelIttLi128ELi16ELi128ELNS_18Fp8KVCacheDataTypeE0ELb0ELi512EEEvPfS2_PT_PKS3_PKT0_S9_ifPKiSB_iPKfiiiSD_SD_iiiii.private_seg_size, 0
	.set _ZN4vllm25paged_attention_v2_kernelIttLi128ELi16ELi128ELNS_18Fp8KVCacheDataTypeE0ELb0ELi512EEEvPfS2_PT_PKS3_PKT0_S9_ifPKiSB_iPKfiiiSD_SD_iiiii.uses_vcc, 1
	.set _ZN4vllm25paged_attention_v2_kernelIttLi128ELi16ELi128ELNS_18Fp8KVCacheDataTypeE0ELb0ELi512EEEvPfS2_PT_PKS3_PKT0_S9_ifPKiSB_iPKfiiiSD_SD_iiiii.uses_flat_scratch, 0
	.set _ZN4vllm25paged_attention_v2_kernelIttLi128ELi16ELi128ELNS_18Fp8KVCacheDataTypeE0ELb0ELi512EEEvPfS2_PT_PKS3_PKT0_S9_ifPKiSB_iPKfiiiSD_SD_iiiii.has_dyn_sized_stack, 0
	.set _ZN4vllm25paged_attention_v2_kernelIttLi128ELi16ELi128ELNS_18Fp8KVCacheDataTypeE0ELb0ELi512EEEvPfS2_PT_PKS3_PKT0_S9_ifPKiSB_iPKfiiiSD_SD_iiiii.has_recursion, 0
	.set _ZN4vllm25paged_attention_v2_kernelIttLi128ELi16ELi128ELNS_18Fp8KVCacheDataTypeE0ELb0ELi512EEEvPfS2_PT_PKS3_PKT0_S9_ifPKiSB_iPKfiiiSD_SD_iiiii.has_indirect_call, 0
	.section	.AMDGPU.csdata,"",@progbits
; Kernel info:
; codeLenInByte = 11108
; TotalNumSgprs: 40
; NumVgprs: 92
; ScratchSize: 0
; MemoryBound: 0
; FloatMode: 240
; IeeeMode: 1
; LDSByteSize: 288 bytes/workgroup (compile time only)
; SGPRBlocks: 0
; VGPRBlocks: 11
; NumSGPRsForWavesPerEU: 40
; NumVGPRsForWavesPerEU: 92
; Occupancy: 10
; WaveLimiterHint : 1
; COMPUTE_PGM_RSRC2:SCRATCH_EN: 0
; COMPUTE_PGM_RSRC2:USER_SGPR: 6
; COMPUTE_PGM_RSRC2:TRAP_HANDLER: 0
; COMPUTE_PGM_RSRC2:TGID_X_EN: 1
; COMPUTE_PGM_RSRC2:TGID_Y_EN: 1
; COMPUTE_PGM_RSRC2:TGID_Z_EN: 1
; COMPUTE_PGM_RSRC2:TIDIG_COMP_CNT: 0
	.section	.text._ZN4vllm25paged_attention_v2_kernelIttLi192ELi16ELi128ELNS_18Fp8KVCacheDataTypeE0ELb0ELi512EEEvPfS2_PT_PKS3_PKT0_S9_ifPKiSB_iPKfiiiSD_SD_iiiii,"axG",@progbits,_ZN4vllm25paged_attention_v2_kernelIttLi192ELi16ELi128ELNS_18Fp8KVCacheDataTypeE0ELb0ELi512EEEvPfS2_PT_PKS3_PKT0_S9_ifPKiSB_iPKfiiiSD_SD_iiiii,comdat
	.protected	_ZN4vllm25paged_attention_v2_kernelIttLi192ELi16ELi128ELNS_18Fp8KVCacheDataTypeE0ELb0ELi512EEEvPfS2_PT_PKS3_PKT0_S9_ifPKiSB_iPKfiiiSD_SD_iiiii ; -- Begin function _ZN4vllm25paged_attention_v2_kernelIttLi192ELi16ELi128ELNS_18Fp8KVCacheDataTypeE0ELb0ELi512EEEvPfS2_PT_PKS3_PKT0_S9_ifPKiSB_iPKfiiiSD_SD_iiiii
	.globl	_ZN4vllm25paged_attention_v2_kernelIttLi192ELi16ELi128ELNS_18Fp8KVCacheDataTypeE0ELb0ELi512EEEvPfS2_PT_PKS3_PKT0_S9_ifPKiSB_iPKfiiiSD_SD_iiiii
	.p2align	8
	.type	_ZN4vllm25paged_attention_v2_kernelIttLi192ELi16ELi128ELNS_18Fp8KVCacheDataTypeE0ELb0ELi512EEEvPfS2_PT_PKS3_PKT0_S9_ifPKiSB_iPKfiiiSD_SD_iiiii,@function
_ZN4vllm25paged_attention_v2_kernelIttLi192ELi16ELi128ELNS_18Fp8KVCacheDataTypeE0ELb0ELi512EEEvPfS2_PT_PKS3_PKT0_S9_ifPKiSB_iPKfiiiSD_SD_iiiii: ; @_ZN4vllm25paged_attention_v2_kernelIttLi192ELi16ELi128ELNS_18Fp8KVCacheDataTypeE0ELb0ELi512EEEvPfS2_PT_PKS3_PKT0_S9_ifPKiSB_iPKfiiiSD_SD_iiiii
; %bb.0:
	s_load_dwordx2 s[0:1], s[4:5], 0x40
	s_mov_b32 s22, s7
	s_ashr_i32 s23, s7, 31
	s_lshl_b64 s[2:3], s[22:23], 2
	s_waitcnt lgkmcnt(0)
	s_add_u32 s0, s0, s2
	s_addc_u32 s1, s1, s3
	s_lshl_b32 s33, s8, 9
	s_load_dword s23, s[0:1], 0x0
	s_waitcnt lgkmcnt(0)
	s_cmp_ge_i32 s33, s23
	s_cbranch_scc1 .LBB106_94
; %bb.1:
	s_clause 0x1
	s_load_dword s9, s[4:5], 0x90
	s_load_dwordx2 s[30:31], s[4:5], 0x30
	s_mov_b32 s34, 0
	s_waitcnt lgkmcnt(0)
	s_abs_i32 s3, s9
	s_abs_i32 s0, s30
	v_cvt_f32_u32_e32 v1, s0
	s_sub_i32 s2, 0, s0
	v_rcp_iflag_f32_e32 v1, v1
	v_mul_f32_e32 v1, 0x4f7ffffe, v1
	v_cvt_u32_f32_e32 v1, v1
	v_readfirstlane_b32 s1, v1
	s_mul_i32 s2, s2, s1
	s_mul_hi_u32 s2, s1, s2
	s_add_i32 s1, s1, s2
	s_xor_b32 s2, s9, s30
	s_mul_hi_u32 s1, s3, s1
	s_ashr_i32 s2, s2, 31
	s_mul_i32 s7, s1, s0
	s_sub_i32 s3, s3, s7
	s_add_i32 s7, s1, 1
	s_sub_i32 s10, s3, s0
	s_cmp_ge_u32 s3, s0
	s_cselect_b32 s1, s7, s1
	s_cselect_b32 s3, s10, s3
	s_add_i32 s7, s1, 1
	s_cmp_ge_u32 s3, s0
	s_cselect_b32 s0, s7, s1
	s_abs_i32 s16, s6
	s_xor_b32 s0, s0, s2
	s_sub_i32 s10, s0, s2
	s_load_dwordx2 s[0:1], s[4:5], 0x50
	s_abs_i32 s2, s10
	v_cvt_f32_u32_e32 v1, s2
	s_sub_i32 s7, 0, s2
	v_rcp_iflag_f32_e32 v1, v1
	v_mul_f32_e32 v1, 0x4f7ffffe, v1
	v_cvt_u32_f32_e32 v1, v1
	v_readfirstlane_b32 s3, v1
	s_mul_i32 s7, s7, s3
	s_mul_hi_u32 s7, s3, s7
	s_add_i32 s3, s3, s7
	s_waitcnt lgkmcnt(0)
	s_cmp_eq_u64 s[0:1], 0
	s_mul_hi_u32 s3, s16, s3
	s_cbranch_scc1 .LBB106_3
; %bb.2:
	s_ashr_i32 s7, s6, 31
	s_lshl_b64 s[12:13], s[6:7], 2
	s_add_u32 s0, s0, s12
	s_addc_u32 s1, s1, s13
	s_load_dword s34, s[0:1], 0x0
.LBB106_3:
	s_load_dwordx4 s[12:15], s[4:5], 0x58
	v_lshrrev_b32_e32 v47, 1, v0
	v_and_b32_e32 v48, 1, v0
	v_lshlrev_b32_e32 v50, 3, v0
	s_ashr_i32 s0, s6, 31
	s_ashr_i32 s1, s10, 31
	s_mul_i32 s10, s6, 0xc0
	s_mov_b32 s7, exec_lo
	v_cmpx_gt_u32_e32 48, v0
	s_cbranch_execz .LBB106_5
; %bb.4:
	s_load_dwordx2 s[18:19], s[4:5], 0x18
	s_waitcnt lgkmcnt(0)
	s_mul_i32 s20, s12, s22
	v_lshlrev_b32_e32 v3, 3, v47
	s_ashr_i32 s21, s20, 31
	s_lshl_b64 s[20:21], s[20:21], 1
	v_mad_u32_u24 v3, 0xc0, v48, v3
	s_add_u32 s12, s18, s20
	s_addc_u32 s15, s19, s21
	s_ashr_i32 s11, s10, 31
	s_lshl_b64 s[18:19], s[10:11], 1
	s_add_u32 s18, s12, s18
	s_addc_u32 s19, s15, s19
	global_load_dwordx2 v[1:2], v50, s[18:19]
	s_waitcnt vmcnt(0)
	ds_write_b64 v3, v[1:2]
.LBB106_5:
	s_or_b32 exec_lo, exec_lo, s7
	s_add_i32 s7, s23, 15
	s_load_dwordx2 s[24:25], s[4:5], 0x38
	s_waitcnt lgkmcnt(0)
	s_load_dword s15, s[4:5], 0x48
	s_ashr_i32 s11, s7, 31
	s_lshl_b32 s30, s8, 5
	s_lshr_b32 s11, s11, 28
	s_xor_b32 s0, s0, s1
	s_add_i32 s7, s7, s11
	s_add_i32 s1, s30, 32
	s_ashr_i32 s12, s7, 4
	s_mul_i32 s7, s3, s2
	s_min_i32 s11, s1, s12
	s_sub_i32 s1, s16, s7
	s_add_i32 s7, s3, 1
	s_sub_i32 s16, s1, s2
	s_cmp_ge_u32 s1, s2
	v_lshrrev_b32_e32 v49, 5, v0
	s_cselect_b32 s3, s7, s3
	s_cselect_b32 s1, s16, s1
	s_add_i32 s7, s3, 1
	s_cmp_ge_u32 s1, s2
	v_or_b32_e32 v5, s30, v49
	s_cselect_b32 s1, s7, s3
	v_mbcnt_lo_u32_b32 v51, -1, 0
	s_xor_b32 s1, s1, s0
	s_waitcnt lgkmcnt(0)
	s_mul_i32 s26, s15, s22
	s_sub_i32 s1, s1, s0
	v_cmp_gt_i32_e64 s0, s11, v5
	s_ashr_i32 s27, s26, 31
	s_mov_b32 s2, exec_lo
	s_barrier
	buffer_gl0_inv
                                        ; implicit-def: $vgpr52
                                        ; implicit-def: $vgpr53
	v_cmpx_le_i32_e64 s11, v5
	s_xor_b32 s2, exec_lo, s2
; %bb.6:
	v_mov_b32_e32 v52, 0
	v_mbcnt_lo_u32_b32 v51, -1, 0
	v_mov_b32_e32 v53, 32
; %bb.7:
	s_or_saveexec_b32 s35, s2
	s_clause 0x3
	s_load_dwordx4 s[16:19], s[4:5], 0x0
	s_load_dwordx2 s[20:21], s[4:5], 0x10
	s_load_dwordx2 s[28:29], s[4:5], 0x28
	s_load_dword s7, s[4:5], 0x98
	v_mov_b32_e32 v54, 0xff7fffff
	v_ashrrev_i32_e32 v6, 31, v5
	s_mul_i32 s14, s1, s14
	s_xor_b32 exec_lo, exec_lo, s35
	s_cbranch_execz .LBB106_13
; %bb.8:
	s_load_dwordx2 s[2:3], s[4:5], 0x20
	v_bfe_u32 v3, v0, 1, 4
	s_ashr_i32 s15, s14, 31
	v_lshlrev_b32_e32 v7, 4, v49
	s_lshl_b64 s[4:5], s[14:15], 1
	v_and_b32_e32 v4, 8, v50
	v_lshlrev_b32_e32 v9, 4, v3
	v_lshlrev_b32_e32 v1, 2, v3
	v_add3_u32 v56, s33, v7, v3
	v_mov_b32_e32 v52, 0
	v_mul_u32_u24_e32 v55, 0xc0, v48
	v_cmp_neq_f32_e64 s1, s34, 0
	v_lshl_or_b32 v8, v49, 6, v1
	v_lshlrev_b64 v[1:2], 2, v[5:6]
	v_mov_b32_e32 v54, 0xff7fffff
	v_xor_b32_e32 v60, 1, v51
	v_mov_b32_e32 v53, 32
	v_add_nc_u32_e32 v57, 0x1a0, v8
	v_mov_b32_e32 v61, v5
	v_cmp_eq_u32_e32 vcc_lo, 0, v48
	s_waitcnt lgkmcnt(0)
	s_add_u32 s15, s2, s4
	s_addc_u32 s5, s3, s5
	v_add_co_u32 v3, s15, s15, v9
	v_add_co_ci_u32_e64 v7, null, s5, 0, s15
	s_lshl_b64 s[2:3], s[26:27], 2
	s_sub_i32 s4, 1, s23
	s_add_u32 s5, s24, s2
	v_add_co_u32 v58, s2, v3, v4
	v_add_co_ci_u32_e64 v59, null, 0, v7, s2
	s_addc_u32 s3, s25, s3
	v_add_co_u32 v1, s2, s5, v1
	v_add_co_ci_u32_e64 v2, null, s3, v2, s2
	s_mov_b32 s15, s13
	s_mov_b32 s5, 0
	s_branch .LBB106_10
.LBB106_9:                              ;   in Loop: Header=BB106_10 Depth=1
	s_or_b32 exec_lo, exec_lo, s3
	v_add_nc_u32_e32 v61, 4, v61
	v_add_co_u32 v1, s3, v1, 16
	v_add_nc_u32_e32 v56, 64, v56
	v_add_nc_u32_e32 v57, 0x100, v57
	v_cmp_le_i32_e64 s2, s11, v61
	v_add_co_ci_u32_e64 v2, null, 0, v2, s3
	s_or_b32 s5, s2, s5
	s_andn2_b32 exec_lo, exec_lo, s5
	s_cbranch_execz .LBB106_12
.LBB106_10:                             ; =>This Inner Loop Header: Depth=1
	global_load_dword v3, v[1:2], off
	s_waitcnt vmcnt(0) lgkmcnt(0)
	v_mad_i64_i32 v[3:4], null, v3, s15, 0
	v_lshlrev_b64 v[3:4], 1, v[3:4]
	v_add_co_u32 v3, s2, v58, v3
	v_add_co_ci_u32_e64 v4, null, v59, v4, s2
	s_clause 0x7
	global_load_dwordx2 v[62:63], v[3:4], off
	global_load_dwordx2 v[67:68], v[3:4], off offset:256
	global_load_dwordx2 v[69:70], v[3:4], off offset:512
	;; [unrolled: 1-line block ×7, first 2 shown]
	v_add_co_u32 v7, s2, v3, 0x1000
	v_add_co_ci_u32_e64 v8, null, 0, v4, s2
	v_add_co_u32 v11, s2, 0x800, v3
	v_add_co_ci_u32_e64 v12, null, 0, v4, s2
	global_load_dwordx2 v[35:36], v[7:8], off offset:-2048
	ds_read_b64 v[9:10], v55
	v_add_co_u32 v3, s2, 0x1000, v3
	global_load_dwordx2 v[33:34], v[11:12], off offset:256
	v_add_co_ci_u32_e64 v4, null, 0, v4, s2
	v_cmp_gt_i32_e64 s2, 32, v60
	s_waitcnt lgkmcnt(0)
	v_lshrrev_b32_e32 v64, 16, v9
	v_and_b32_e32 v65, 0xffff, v9
	v_lshrrev_b32_e32 v66, 16, v10
	v_and_b32_e32 v71, 0xffff, v10
	s_clause 0xd
	global_load_dwordx2 v[31:32], v[11:12], off offset:512
	global_load_dwordx2 v[29:30], v[11:12], off offset:768
	;; [unrolled: 1-line block ×11, first 2 shown]
	global_load_dwordx2 v[19:20], v[7:8], off
	global_load_dwordx2 v[7:8], v[3:4], off offset:1536
	global_load_dwordx2 v[3:4], v[3:4], off offset:1792
	;;#ASMSTART
	v_cvt_f32_f16 v73, v65;
	;;#ASMEND
	;;#ASMSTART
	v_cvt_f32_f16 v75, v64;
	;;#ASMEND
	s_waitcnt vmcnt(23)
	v_and_b32_e32 v65, 0xffff, v62
	v_lshrrev_b32_e32 v72, 16, v63
	v_lshrrev_b32_e32 v62, 16, v62
	v_and_b32_e32 v74, 0xffff, v63
	;;#ASMSTART
	v_cvt_f32_f16 v76, v65;
	;;#ASMEND
	;;#ASMSTART
	v_cvt_f32_f16 v77, v62;
	;;#ASMEND
	;; [unrolled: 3-line block ×6, first 2 shown]
	ds_read_b64 v[71:72], v55 offset:8
	s_waitcnt vmcnt(22)
	v_and_b32_e32 v74, 0xffff, v67
	v_lshrrev_b32_e32 v67, 16, v67
	v_and_b32_e32 v82, 0xffff, v68
	v_lshrrev_b32_e32 v68, 16, v68
	s_waitcnt lgkmcnt(0)
	v_and_b32_e32 v62, 0xffff, v71
	v_lshrrev_b32_e32 v71, 16, v71
	v_and_b32_e32 v80, 0xffff, v72
	v_lshrrev_b32_e32 v72, 16, v72
	;;#ASMSTART
	v_cvt_f32_f16 v62, v62;
	;;#ASMEND
	;;#ASMSTART
	v_cvt_f32_f16 v71, v71;
	;;#ASMEND
	;; [unrolled: 3-line block ×8, first 2 shown]
	ds_read_b64 v[67:68], v55 offset:16
	s_waitcnt vmcnt(21)
	v_and_b32_e32 v72, 0xffff, v69
	v_and_b32_e32 v74, 0xffff, v70
	v_lshrrev_b32_e32 v69, 16, v69
	v_lshrrev_b32_e32 v70, 16, v70
	v_mul_f32_e32 v62, v62, v78
	s_waitcnt vmcnt(20)
	v_and_b32_e32 v78, 0xffff, v46
	v_lshrrev_b32_e32 v46, 16, v46
	v_fmac_f32_e32 v62, v73, v76
	s_waitcnt lgkmcnt(0)
	v_and_b32_e32 v84, 0xffff, v67
	v_lshrrev_b32_e32 v67, 16, v67
	v_and_b32_e32 v88, 0xffff, v68
	v_lshrrev_b32_e32 v68, 16, v68
	;;#ASMSTART
	v_cvt_f32_f16 v84, v84;
	;;#ASMEND
	;;#ASMSTART
	v_cvt_f32_f16 v85, v67;
	;;#ASMEND
	;; [unrolled: 3-line block ×8, first 2 shown]
	ds_read_b64 v[67:68], v55 offset:24
	v_and_b32_e32 v69, 0xffff, v45
	v_lshrrev_b32_e32 v70, 16, v45
	v_mul_f32_e32 v45, v71, v79
	s_waitcnt vmcnt(19)
	v_and_b32_e32 v79, 0xffff, v44
	v_fmac_f32_e32 v62, v84, v86
	v_fmac_f32_e32 v45, v75, v77
	;; [unrolled: 1-line block ×3, first 2 shown]
	s_waitcnt lgkmcnt(0)
	v_and_b32_e32 v71, 0xffff, v67
	v_lshrrev_b32_e32 v67, 16, v67
	v_and_b32_e32 v73, 0xffff, v68
	v_lshrrev_b32_e32 v68, 16, v68
	;;#ASMSTART
	v_cvt_f32_f16 v77, v71;
	;;#ASMEND
	;;#ASMSTART
	v_cvt_f32_f16 v92, v67;
	;;#ASMEND
	;; [unrolled: 3-line block ×8, first 2 shown]
	ds_read_b64 v[75:76], v55 offset:32
	v_and_b32_e32 v68, 0xffff, v43
	v_mul_f32_e32 v46, v80, v82
	v_lshrrev_b32_e32 v78, 16, v43
	v_mul_f32_e32 v43, v81, v83
	v_lshrrev_b32_e32 v80, 16, v44
	v_fmac_f32_e32 v62, v77, v93
	v_fmac_f32_e32 v46, v64, v66
	s_waitcnt vmcnt(18)
	v_and_b32_e32 v66, 0xffff, v41
	v_fmac_f32_e32 v43, v63, v65
	v_lshrrev_b32_e32 v41, 16, v41
	v_fmac_f32_e32 v45, v92, v94
	v_fmac_f32_e32 v46, v88, v91
	;; [unrolled: 1-line block ×4, first 2 shown]
	s_waitcnt vmcnt(16)
	v_lshrrev_b32_e32 v71, 16, v38
	v_and_b32_e32 v38, 0xffff, v38
	s_waitcnt lgkmcnt(0)
	v_and_b32_e32 v44, 0xffff, v75
	v_lshrrev_b32_e32 v64, 16, v75
	v_and_b32_e32 v63, 0xffff, v76
	v_lshrrev_b32_e32 v65, 16, v76
	;;#ASMSTART
	v_cvt_f32_f16 v95, v44;
	;;#ASMEND
	;;#ASMSTART
	v_cvt_f32_f16 v70, v64;
	;;#ASMEND
	;; [unrolled: 3-line block ×8, first 2 shown]
	ds_read_b64 v[63:64], v55 offset:40
	v_lshrrev_b32_e32 v75, 16, v42
	v_and_b32_e32 v76, 0xffff, v42
	v_fmac_f32_e32 v43, v67, v69
	v_fmac_f32_e32 v45, v70, v90
	;; [unrolled: 1-line block ×4, first 2 shown]
	s_waitcnt vmcnt(14)
	v_lshrrev_b32_e32 v89, 16, v33
	v_fmac_f32_e32 v43, v44, v65
	v_and_b32_e32 v90, 0xffff, v34
	s_waitcnt lgkmcnt(0)
	v_and_b32_e32 v42, 0xffff, v63
	v_lshrrev_b32_e32 v63, 16, v63
	v_and_b32_e32 v78, 0xffff, v64
	v_lshrrev_b32_e32 v64, 16, v64
	;;#ASMSTART
	v_cvt_f32_f16 v86, v42;
	;;#ASMEND
	;;#ASMSTART
	v_cvt_f32_f16 v42, v63;
	;;#ASMEND
	;; [unrolled: 3-line block ×8, first 2 shown]
	ds_read_b64 v[75:76], v55 offset:48
	v_lshrrev_b32_e32 v41, 16, v39
	v_and_b32_e32 v39, 0xffff, v39
	v_lshrrev_b32_e32 v64, 16, v40
	v_and_b32_e32 v40, 0xffff, v40
	v_fmac_f32_e32 v62, v86, v88
	v_and_b32_e32 v86, 0xffff, v33
	v_lshrrev_b32_e32 v88, 16, v34
	v_fmac_f32_e32 v45, v42, v63
	v_fmac_f32_e32 v46, v66, v87
	;; [unrolled: 1-line block ×3, first 2 shown]
	s_waitcnt vmcnt(13)
	v_and_b32_e32 v79, 0xffff, v31
	s_waitcnt lgkmcnt(0)
	v_and_b32_e32 v72, 0xffff, v75
	v_lshrrev_b32_e32 v74, 16, v75
	v_and_b32_e32 v75, 0xffff, v76
	v_lshrrev_b32_e32 v77, 16, v76
	;;#ASMSTART
	v_cvt_f32_f16 v82, v72;
	;;#ASMEND
	;;#ASMSTART
	v_cvt_f32_f16 v80, v74;
	;;#ASMEND
	;; [unrolled: 3-line block ×8, first 2 shown]
	ds_read_b64 v[39:40], v55 offset:56
	v_lshrrev_b32_e32 v41, 16, v37
	v_and_b32_e32 v37, 0xffff, v37
	v_fmac_f32_e32 v62, v82, v83
	v_fmac_f32_e32 v45, v80, v81
	;; [unrolled: 1-line block ×3, first 2 shown]
	s_waitcnt vmcnt(12)
	v_and_b32_e32 v76, 0xffff, v29
	v_lshrrev_b32_e32 v77, 16, v30
	v_fmac_f32_e32 v43, v74, v75
	s_waitcnt lgkmcnt(0)
	v_and_b32_e32 v64, 0xffff, v39
	v_and_b32_e32 v69, 0xffff, v40
	v_lshrrev_b32_e32 v39, 16, v39
	v_lshrrev_b32_e32 v40, 16, v40
	;;#ASMSTART
	v_cvt_f32_f16 v84, v64;
	;;#ASMEND
	;;#ASMSTART
	v_cvt_f32_f16 v64, v39;
	;;#ASMEND
	;; [unrolled: 3-line block ×8, first 2 shown]
	ds_read_b64 v[37:38], v55 offset:64
	v_lshrrev_b32_e32 v39, 16, v35
	v_and_b32_e32 v35, 0xffff, v35
	v_lshrrev_b32_e32 v40, 16, v36
	v_and_b32_e32 v36, 0xffff, v36
	v_fmac_f32_e32 v62, v84, v85
	v_fmac_f32_e32 v45, v64, v67
	;; [unrolled: 1-line block ×4, first 2 shown]
	s_waitcnt lgkmcnt(0)
	v_and_b32_e32 v41, 0xffff, v37
	v_and_b32_e32 v68, 0xffff, v38
	v_lshrrev_b32_e32 v70, 16, v38
	v_lshrrev_b32_e32 v37, 16, v37
	;;#ASMSTART
	v_cvt_f32_f16 v44, v41;
	;;#ASMEND
	;;#ASMSTART
	v_cvt_f32_f16 v38, v37;
	;;#ASMEND
	;; [unrolled: 3-line block ×8, first 2 shown]
	ds_read_b64 v[39:40], v55 offset:72
	v_fmac_f32_e32 v62, v44, v65
	v_fmac_f32_e32 v45, v38, v41
	v_fmac_f32_e32 v46, v68, v70
	v_fmac_f32_e32 v43, v35, v36
	s_waitcnt lgkmcnt(0)
	v_and_b32_e32 v33, 0xffff, v39
	v_lshrrev_b32_e32 v34, 16, v39
	v_and_b32_e32 v39, 0xffff, v40
	v_lshrrev_b32_e32 v42, 16, v40
	;;#ASMSTART
	v_cvt_f32_f16 v37, v33;
	;;#ASMEND
	;;#ASMSTART
	v_cvt_f32_f16 v33, v34;
	;;#ASMEND
	;; [unrolled: 3-line block ×8, first 2 shown]
	ds_read_b64 v[86:87], v55 offset:80
	v_lshrrev_b32_e32 v88, 16, v31
	v_lshrrev_b32_e32 v89, 16, v32
	v_and_b32_e32 v90, 0xffff, v32
	v_fmac_f32_e32 v62, v37, v40
	v_fmac_f32_e32 v45, v33, v34
	;; [unrolled: 1-line block ×4, first 2 shown]
	s_waitcnt lgkmcnt(0)
	v_and_b32_e32 v31, 0xffff, v86
	v_lshrrev_b32_e32 v32, 16, v86
	v_and_b32_e32 v81, 0xffff, v87
	v_lshrrev_b32_e32 v83, 16, v87
	;;#ASMSTART
	v_cvt_f32_f16 v78, v31;
	;;#ASMEND
	;;#ASMSTART
	v_cvt_f32_f16 v31, v32;
	;;#ASMEND
	;;#ASMSTART
	v_cvt_f32_f16 v80, v79;
	;;#ASMEND
	;;#ASMSTART
	v_cvt_f32_f16 v32, v88;
	;;#ASMEND
	;;#ASMSTART
	v_cvt_f32_f16 v82, v81;
	;;#ASMEND
	;;#ASMSTART
	v_cvt_f32_f16 v79, v83;
	;;#ASMEND
	;;#ASMSTART
	v_cvt_f32_f16 v83, v90;
	;;#ASMEND
	;;#ASMSTART
	v_cvt_f32_f16 v81, v89;
	;;#ASMEND
	ds_read_b64 v[86:87], v55 offset:88
	v_lshrrev_b32_e32 v88, 16, v29
	v_and_b32_e32 v89, 0xffff, v30
	v_fmac_f32_e32 v62, v78, v80
	v_fmac_f32_e32 v45, v31, v32
	;; [unrolled: 1-line block ×4, first 2 shown]
	s_waitcnt vmcnt(1)
	v_lshrrev_b32_e32 v90, 16, v7
	v_and_b32_e32 v7, 0xffff, v7
	s_waitcnt lgkmcnt(0)
	v_and_b32_e32 v29, 0xffff, v86
	v_lshrrev_b32_e32 v30, 16, v86
	v_and_b32_e32 v75, 0xffff, v87
	v_lshrrev_b32_e32 v85, 16, v87
	;;#ASMSTART
	v_cvt_f32_f16 v74, v29;
	;;#ASMEND
	;;#ASMSTART
	v_cvt_f32_f16 v29, v30;
	;;#ASMEND
	;; [unrolled: 3-line block ×8, first 2 shown]
	ds_read_b64 v[86:87], v55 offset:96
	v_lshrrev_b32_e32 v88, 16, v27
	v_and_b32_e32 v27, 0xffff, v27
	v_lshrrev_b32_e32 v89, 16, v28
	v_and_b32_e32 v28, 0xffff, v28
	v_fmac_f32_e32 v62, v74, v76
	v_fmac_f32_e32 v45, v29, v30
	;; [unrolled: 1-line block ×4, first 2 shown]
	v_lshrrev_b32_e32 v77, 16, v16
	v_and_b32_e32 v16, 0xffff, v16
	s_waitcnt lgkmcnt(0)
	v_and_b32_e32 v64, 0xffff, v86
	v_lshrrev_b32_e32 v67, 16, v86
	v_and_b32_e32 v72, 0xffff, v87
	v_lshrrev_b32_e32 v73, 16, v87
	;;#ASMSTART
	v_cvt_f32_f16 v64, v64;
	;;#ASMEND
	;;#ASMSTART
	v_cvt_f32_f16 v67, v67;
	;;#ASMEND
	;; [unrolled: 3-line block ×8, first 2 shown]
	ds_read_b64 v[27:28], v55 offset:104
	v_lshrrev_b32_e32 v88, 16, v25
	v_and_b32_e32 v25, 0xffff, v25
	v_lshrrev_b32_e32 v89, 16, v26
	v_and_b32_e32 v26, 0xffff, v26
	v_fmac_f32_e32 v62, v64, v69
	v_fmac_f32_e32 v45, v67, v71
	v_fmac_f32_e32 v46, v72, v86
	v_fmac_f32_e32 v43, v73, v87
	s_waitcnt lgkmcnt(0)
	v_and_b32_e32 v38, 0xffff, v27
	v_lshrrev_b32_e32 v41, 16, v27
	v_and_b32_e32 v44, 0xffff, v28
	v_lshrrev_b32_e32 v65, 16, v28
	;;#ASMSTART
	v_cvt_f32_f16 v27, v38;
	;;#ASMEND
	;;#ASMSTART
	v_cvt_f32_f16 v28, v41;
	;;#ASMEND
	;; [unrolled: 3-line block ×8, first 2 shown]
	ds_read_b64 v[25:26], v55 offset:112
	v_lshrrev_b32_e32 v88, 16, v23
	v_and_b32_e32 v23, 0xffff, v23
	v_lshrrev_b32_e32 v89, 16, v24
	v_and_b32_e32 v24, 0xffff, v24
	v_fmac_f32_e32 v62, v27, v38
	v_fmac_f32_e32 v45, v28, v41
	;; [unrolled: 1-line block ×4, first 2 shown]
	s_waitcnt lgkmcnt(0)
	v_and_b32_e32 v35, 0xffff, v25
	v_lshrrev_b32_e32 v36, 16, v25
	v_lshrrev_b32_e32 v37, 16, v26
	v_and_b32_e32 v40, 0xffff, v26
	;;#ASMSTART
	v_cvt_f32_f16 v25, v35;
	;;#ASMEND
	;;#ASMSTART
	v_cvt_f32_f16 v26, v36;
	;;#ASMEND
	;;#ASMSTART
	v_cvt_f32_f16 v33, v23;
	;;#ASMEND
	;;#ASMSTART
	v_cvt_f32_f16 v34, v88;
	;;#ASMEND
	;;#ASMSTART
	v_cvt_f32_f16 v35, v40;
	;;#ASMEND
	;;#ASMSTART
	v_cvt_f32_f16 v36, v37;
	;;#ASMEND
	;;#ASMSTART
	v_cvt_f32_f16 v37, v24;
	;;#ASMEND
	;;#ASMSTART
	v_cvt_f32_f16 v40, v89;
	;;#ASMEND
	ds_read_b64 v[23:24], v55 offset:120
	v_lshrrev_b32_e32 v88, 16, v21
	v_and_b32_e32 v21, 0xffff, v21
	v_lshrrev_b32_e32 v89, 16, v22
	v_and_b32_e32 v22, 0xffff, v22
	v_fmac_f32_e32 v62, v25, v33
	v_fmac_f32_e32 v45, v26, v34
	;; [unrolled: 1-line block ×4, first 2 shown]
	s_waitcnt lgkmcnt(0)
	v_and_b32_e32 v39, 0xffff, v23
	v_lshrrev_b32_e32 v42, 16, v23
	v_lshrrev_b32_e32 v66, 16, v24
	v_and_b32_e32 v63, 0xffff, v24
	;;#ASMSTART
	v_cvt_f32_f16 v23, v39;
	;;#ASMEND
	;;#ASMSTART
	v_cvt_f32_f16 v24, v42;
	;;#ASMEND
	;; [unrolled: 3-line block ×8, first 2 shown]
	ds_read_b64 v[21:22], v55 offset:128
	v_lshrrev_b32_e32 v88, 16, v19
	v_and_b32_e32 v19, 0xffff, v19
	v_lshrrev_b32_e32 v89, 16, v20
	v_and_b32_e32 v20, 0xffff, v20
	v_fmac_f32_e32 v62, v23, v39
	v_fmac_f32_e32 v45, v24, v42
	;; [unrolled: 1-line block ×4, first 2 shown]
	v_lshrrev_b32_e32 v23, 16, v8
	v_and_b32_e32 v8, 0xffff, v8
	s_waitcnt vmcnt(0)
	v_lshrrev_b32_e32 v24, 16, v3
	s_waitcnt lgkmcnt(0)
	v_and_b32_e32 v31, 0xffff, v21
	v_lshrrev_b32_e32 v32, 16, v21
	v_lshrrev_b32_e32 v81, 16, v22
	v_and_b32_e32 v79, 0xffff, v22
	;;#ASMSTART
	v_cvt_f32_f16 v21, v31;
	;;#ASMEND
	;;#ASMSTART
	v_cvt_f32_f16 v22, v32;
	;;#ASMEND
	;; [unrolled: 3-line block ×8, first 2 shown]
	ds_read_b64 v[19:20], v55 offset:136
	v_lshrrev_b32_e32 v88, 16, v17
	v_and_b32_e32 v17, 0xffff, v17
	v_lshrrev_b32_e32 v89, 16, v18
	v_and_b32_e32 v18, 0xffff, v18
	v_fmac_f32_e32 v62, v21, v31
	v_fmac_f32_e32 v45, v22, v32
	;; [unrolled: 1-line block ×4, first 2 shown]
	s_waitcnt lgkmcnt(0)
	v_and_b32_e32 v29, 0xffff, v19
	v_lshrrev_b32_e32 v30, 16, v19
	v_lshrrev_b32_e32 v76, 16, v20
	v_and_b32_e32 v74, 0xffff, v20
	;;#ASMSTART
	v_cvt_f32_f16 v19, v29;
	;;#ASMEND
	;;#ASMSTART
	v_cvt_f32_f16 v20, v30;
	;;#ASMEND
	;; [unrolled: 3-line block ×8, first 2 shown]
	ds_read_b64 v[17:18], v55 offset:144
	v_lshrrev_b32_e32 v88, 16, v15
	v_and_b32_e32 v15, 0xffff, v15
	v_lshrrev_b32_e32 v89, 16, v14
	v_and_b32_e32 v14, 0xffff, v14
	v_fmac_f32_e32 v62, v19, v29
	v_fmac_f32_e32 v45, v20, v30
	;; [unrolled: 1-line block ×4, first 2 shown]
	s_waitcnt lgkmcnt(0)
	v_and_b32_e32 v64, 0xffff, v17
	v_lshrrev_b32_e32 v69, 16, v17
	v_lshrrev_b32_e32 v71, 16, v18
	v_and_b32_e32 v75, 0xffff, v18
	;;#ASMSTART
	v_cvt_f32_f16 v17, v64;
	;;#ASMEND
	;;#ASMSTART
	v_cvt_f32_f16 v18, v69;
	;;#ASMEND
	;; [unrolled: 3-line block ×8, first 2 shown]
	ds_read_b64 v[15:16], v55 offset:152
	v_lshrrev_b32_e32 v88, 16, v13
	v_and_b32_e32 v13, 0xffff, v13
	v_fmac_f32_e32 v62, v17, v64
	v_fmac_f32_e32 v45, v18, v67
	;; [unrolled: 1-line block ×4, first 2 shown]
	s_waitcnt lgkmcnt(0)
	v_and_b32_e32 v72, 0xffff, v15
	v_lshrrev_b32_e32 v73, 16, v15
	v_lshrrev_b32_e32 v86, 16, v16
	v_and_b32_e32 v87, 0xffff, v16
	;;#ASMSTART
	v_cvt_f32_f16 v15, v72;
	;;#ASMEND
	;;#ASMSTART
	v_cvt_f32_f16 v16, v73;
	;;#ASMEND
	;; [unrolled: 3-line block ×8, first 2 shown]
	ds_read_b64 v[13:14], v55 offset:160
	v_lshrrev_b32_e32 v88, 16, v11
	v_and_b32_e32 v11, 0xffff, v11
	v_lshrrev_b32_e32 v89, 16, v12
	v_and_b32_e32 v12, 0xffff, v12
	v_fmac_f32_e32 v62, v15, v27
	v_fmac_f32_e32 v45, v16, v38
	;; [unrolled: 1-line block ×4, first 2 shown]
	v_and_b32_e32 v15, 0xffff, v3
	s_waitcnt lgkmcnt(0)
	v_and_b32_e32 v28, 0xffff, v13
	v_lshrrev_b32_e32 v41, 16, v13
	v_lshrrev_b32_e32 v65, 16, v14
	v_and_b32_e32 v44, 0xffff, v14
	;;#ASMSTART
	v_cvt_f32_f16 v13, v28;
	;;#ASMEND
	;;#ASMSTART
	v_cvt_f32_f16 v14, v41;
	;;#ASMEND
	;; [unrolled: 3-line block ×8, first 2 shown]
	ds_read_b64 v[11:12], v55 offset:168
	v_lshrrev_b32_e32 v88, 16, v9
	v_and_b32_e32 v9, 0xffff, v9
	v_lshrrev_b32_e32 v89, 16, v10
	v_and_b32_e32 v10, 0xffff, v10
	v_fmac_f32_e32 v62, v13, v28
	v_fmac_f32_e32 v45, v14, v41
	;; [unrolled: 1-line block ×4, first 2 shown]
	v_lshrrev_b32_e32 v13, 16, v4
	s_waitcnt lgkmcnt(0)
	v_and_b32_e32 v25, 0xffff, v11
	v_lshrrev_b32_e32 v26, 16, v11
	v_lshrrev_b32_e32 v34, 16, v12
	v_and_b32_e32 v33, 0xffff, v12
	;;#ASMSTART
	v_cvt_f32_f16 v11, v25;
	;;#ASMEND
	;;#ASMSTART
	v_cvt_f32_f16 v12, v26;
	;;#ASMEND
	;; [unrolled: 3-line block ×8, first 2 shown]
	ds_read_b64 v[9:10], v55 offset:176
	v_fmac_f32_e32 v62, v11, v25
	v_fmac_f32_e32 v45, v12, v26
	;; [unrolled: 1-line block ×3, first 2 shown]
	v_and_b32_e32 v11, 0xffff, v4
	v_fmac_f32_e32 v43, v34, v37
	s_waitcnt lgkmcnt(0)
	v_and_b32_e32 v17, 0xffff, v9
	v_lshrrev_b32_e32 v18, 16, v9
	v_lshrrev_b32_e32 v20, 16, v10
	v_and_b32_e32 v19, 0xffff, v10
	;;#ASMSTART
	v_cvt_f32_f16 v9, v17;
	;;#ASMEND
	;;#ASMSTART
	v_cvt_f32_f16 v10, v18;
	;;#ASMEND
	;; [unrolled: 3-line block ×8, first 2 shown]
	ds_read_b64 v[7:8], v55 offset:184
	v_fmac_f32_e32 v62, v9, v17
	v_fmac_f32_e32 v45, v10, v18
	;; [unrolled: 1-line block ×4, first 2 shown]
	s_waitcnt lgkmcnt(0)
	v_and_b32_e32 v3, 0xffff, v7
	v_lshrrev_b32_e32 v4, 16, v7
	v_lshrrev_b32_e32 v9, 16, v8
	v_and_b32_e32 v10, 0xffff, v8
	;;#ASMSTART
	v_cvt_f32_f16 v3, v3;
	;;#ASMEND
	;;#ASMSTART
	v_cvt_f32_f16 v4, v4;
	;;#ASMEND
	;; [unrolled: 3-line block ×4, first 2 shown]
	v_fmac_f32_e32 v62, v3, v7
	v_fmac_f32_e32 v45, v4, v8
	;;#ASMSTART
	v_cvt_f32_f16 v3, v10;
	;;#ASMEND
	;;#ASMSTART
	v_cvt_f32_f16 v4, v9;
	;;#ASMEND
	;;#ASMSTART
	v_cvt_f32_f16 v7, v11;
	;;#ASMEND
	v_fmac_f32_e32 v46, v3, v7
	v_add_f32_e32 v3, v62, v45
	;;#ASMSTART
	v_cvt_f32_f16 v7, v13;
	;;#ASMEND
	v_fmac_f32_e32 v43, v4, v7
	v_cndmask_b32_e64 v4, v51, v60, s2
	v_add_f32_e32 v3, v3, v46
	v_lshlrev_b32_e32 v4, 2, v4
	v_add_f32_e32 v3, v43, v3
	ds_bpermute_b32 v4, v4, v3
	s_and_saveexec_b32 s3, vcc_lo
	s_cbranch_execz .LBB106_9
; %bb.11:                               ;   in Loop: Header=BB106_10 Depth=1
	v_add_nc_u32_e32 v7, s4, v56
	s_waitcnt lgkmcnt(0)
	v_add_f32_e32 v3, v3, v4
	v_cmp_gt_i32_e64 s2, s23, v56
	v_cvt_f32_i32_e32 v7, v7
	v_mul_f32_e32 v7, s34, v7
	v_cndmask_b32_e64 v4, 0, v7, s1
	v_max_f32_e32 v7, v54, v54
	v_fmac_f32_e32 v4, s31, v3
	v_max_f32_e32 v3, v7, v4
	v_cndmask_b32_e64 v4, 0, v4, s2
	v_cndmask_b32_e64 v54, v54, v3, s2
	ds_write_b32 v57, v4
	s_branch .LBB106_9
.LBB106_12:
	s_or_b32 exec_lo, exec_lo, s5
.LBB106_13:
	s_or_b32 exec_lo, exec_lo, s35
	v_xor_b32_e32 v1, 16, v51
	v_xor_b32_e32 v2, 8, v51
	s_waitcnt lgkmcnt(0)
	v_max_f32_e32 v4, v54, v54
	v_and_b32_e32 v12, 31, v0
	v_lshlrev_b32_e32 v9, 2, v49
	v_cmp_lt_i32_e32 vcc_lo, v1, v53
	v_cndmask_b32_e32 v1, v51, v1, vcc_lo
	v_cmp_lt_i32_e32 vcc_lo, v2, v53
	v_lshlrev_b32_e32 v3, 2, v1
	v_cndmask_b32_e32 v2, v51, v2, vcc_lo
	ds_bpermute_b32 v1, v3, v54
	v_lshlrev_b32_e32 v7, 2, v2
	s_waitcnt lgkmcnt(0)
	v_max_f32_e32 v1, v1, v1
	v_max_f32_e32 v1, v4, v1
	v_xor_b32_e32 v4, 4, v51
	ds_bpermute_b32 v2, v7, v1
	v_cmp_lt_i32_e32 vcc_lo, v4, v53
	v_cndmask_b32_e32 v4, v51, v4, vcc_lo
	v_lshlrev_b32_e32 v8, 2, v4
	v_xor_b32_e32 v4, 2, v51
	v_cmp_lt_i32_e32 vcc_lo, v4, v53
	s_waitcnt lgkmcnt(0)
	v_max_f32_e32 v2, v2, v2
	v_cndmask_b32_e32 v4, v51, v4, vcc_lo
	v_cmp_eq_u32_e32 vcc_lo, 0, v12
	v_max_f32_e32 v1, v1, v2
	ds_bpermute_b32 v2, v8, v1
	s_waitcnt lgkmcnt(0)
	v_max_f32_e32 v2, v2, v2
	v_max_f32_e32 v1, v1, v2
	v_lshlrev_b32_e32 v2, 2, v4
	ds_bpermute_b32 v4, v2, v1
	s_and_saveexec_b32 s1, vcc_lo
	s_cbranch_execz .LBB106_15
; %bb.14:
	s_waitcnt lgkmcnt(0)
	v_max_f32_e32 v4, v4, v4
	v_max_f32_e32 v1, v1, v1
	v_max_f32_e32 v1, v1, v4
	ds_write_b32 v9, v1 offset:384
.LBB106_15:
	s_or_b32 exec_lo, exec_lo, s1
	v_cmp_gt_u32_e64 s1, 4, v12
	v_mov_b32_e32 v1, 0xff7fffff
	v_lshlrev_b32_e32 v10, 2, v12
	s_waitcnt lgkmcnt(0)
	s_barrier
	buffer_gl0_inv
	s_and_saveexec_b32 s2, s1
; %bb.16:
	ds_read_b32 v1, v10 offset:384
; %bb.17:
	s_or_b32 exec_lo, exec_lo, s2
	s_waitcnt lgkmcnt(0)
	ds_bpermute_b32 v4, v2, v1
	v_xor_b32_e32 v11, 1, v51
	v_max_f32_e32 v1, v1, v1
	v_cmp_lt_i32_e64 s2, v11, v53
	v_cndmask_b32_e64 v11, v51, v11, s2
	s_sub_i32 s2, s11, s30
	s_lshl_b32 s2, s2, 4
	v_lshlrev_b32_e32 v13, 2, v11
	s_add_i32 s2, s2, s33
	v_mov_b32_e32 v11, 0
	s_min_i32 s2, s2, s23
	s_waitcnt lgkmcnt(0)
	v_max_f32_e32 v4, v4, v4
	s_sub_i32 s4, s2, s33
	v_cmp_gt_i32_e64 s2, s4, v0
	v_max_f32_e32 v1, v1, v4
	ds_bpermute_b32 v4, v13, v1
	s_waitcnt lgkmcnt(0)
	v_max_f32_e32 v4, v4, v4
	v_max_f32_e32 v1, v1, v4
	v_lshlrev_b32_e32 v4, 2, v52
	ds_bpermute_b32 v1, v4, v1
	v_lshl_add_u32 v4, v0, 2, 0x1a0
	s_and_saveexec_b32 s5, s2
	s_cbranch_execz .LBB106_21
; %bb.18:
	v_lshl_add_u32 v14, v0, 2, 0x1a0
	v_mov_b32_e32 v11, 0
	v_mov_b32_e32 v15, v0
	s_mov_b32 s15, 0
	.p2align	6
.LBB106_19:                             ; =>This Inner Loop Header: Depth=1
	ds_read_b32 v16, v14
	v_add_nc_u32_e32 v15, 0x80, v15
	v_cmp_le_i32_e64 s3, s4, v15
	s_or_b32 s15, s3, s15
	s_waitcnt lgkmcnt(0)
	v_sub_f32_e32 v16, v16, v1
	v_mul_f32_e32 v16, 0x3fb8aa3b, v16
	v_exp_f32_e32 v16, v16
	ds_write_b32 v14, v16
	v_add_f32_e32 v11, v11, v16
	v_add_nc_u32_e32 v14, 0x200, v14
	s_andn2_b32 exec_lo, exec_lo, s15
	s_cbranch_execnz .LBB106_19
; %bb.20:
	s_or_b32 exec_lo, exec_lo, s15
.LBB106_21:
	s_or_b32 exec_lo, exec_lo, s5
	ds_bpermute_b32 v3, v3, v11
	s_waitcnt lgkmcnt(0)
	v_add_f32_e32 v3, v11, v3
	ds_bpermute_b32 v7, v7, v3
	s_waitcnt lgkmcnt(0)
	v_add_f32_e32 v3, v3, v7
	;; [unrolled: 3-line block ×5, first 2 shown]
	s_and_saveexec_b32 s3, vcc_lo
; %bb.22:
	ds_write_b32 v9, v3 offset:400
; %bb.23:
	s_or_b32 exec_lo, exec_lo, s3
	s_waitcnt lgkmcnt(0)
	s_barrier
	buffer_gl0_inv
	s_and_saveexec_b32 s3, s1
; %bb.24:
	ds_read_b32 v3, v10 offset:400
; %bb.25:
	s_or_b32 exec_lo, exec_lo, s3
	s_waitcnt lgkmcnt(0)
	ds_bpermute_b32 v2, v2, v3
	v_lshlrev_b32_e32 v7, 2, v51
	s_waitcnt lgkmcnt(0)
	v_add_f32_e32 v2, v3, v2
	ds_bpermute_b32 v3, v13, v2
	s_waitcnt lgkmcnt(0)
	v_add_f32_e32 v2, v2, v3
	v_and_b32_e32 v3, 0xffffff80, v7
	ds_bpermute_b32 v2, v3, v2
	s_and_saveexec_b32 s1, s2
	s_cbranch_execz .LBB106_28
; %bb.26:
	s_waitcnt lgkmcnt(0)
	v_add_f32_e32 v3, 0x358637bd, v2
	s_mov_b32 s2, 0
	v_div_scale_f32 v7, null, v3, v3, 1.0
	v_div_scale_f32 v10, vcc_lo, 1.0, v3, 1.0
	v_rcp_f32_e32 v8, v7
	v_fma_f32 v9, -v7, v8, 1.0
	v_fmac_f32_e32 v8, v9, v8
	v_mul_f32_e32 v9, v10, v8
	v_fma_f32 v11, -v7, v9, v10
	v_fmac_f32_e32 v9, v11, v8
	v_fma_f32 v7, -v7, v9, v10
	v_div_fmas_f32 v7, v7, v8, v9
	v_div_fixup_f32 v3, v7, v3, 1.0
	v_mov_b32_e32 v7, v0
.LBB106_27:                             ; =>This Inner Loop Header: Depth=1
	ds_read_b32 v8, v4
	v_add_nc_u32_e32 v7, 0x80, v7
	v_cmp_le_i32_e32 vcc_lo, s4, v7
	s_or_b32 s2, vcc_lo, s2
	s_waitcnt lgkmcnt(0)
	v_mul_f32_e32 v8, v3, v8
	ds_write_b32 v4, v8
	v_add_nc_u32_e32 v4, 0x200, v4
	s_andn2_b32 exec_lo, exec_lo, s2
	s_cbranch_execnz .LBB106_27
.LBB106_28:
	s_or_b32 exec_lo, exec_lo, s1
	s_mul_i32 s1, s7, s22
	s_waitcnt lgkmcnt(0)
	s_mul_i32 s2, s1, s9
	s_mov_b32 s1, exec_lo
	s_barrier
	buffer_gl0_inv
	v_cmpx_eq_u32_e32 0, v0
	s_cbranch_execz .LBB106_30
; %bb.29:
	s_ashr_i32 s3, s2, 31
	s_mul_i32 s30, s7, s6
	s_lshl_b64 s[4:5], s[2:3], 2
	v_mov_b32_e32 v3, 0
	s_add_u32 s3, s18, s4
	s_addc_u32 s6, s19, s5
	s_ashr_i32 s31, s30, 31
	s_lshl_b64 s[18:19], s[30:31], 2
	s_add_u32 s3, s3, s18
	s_addc_u32 s6, s6, s19
	s_ashr_i32 s9, s8, 31
	s_lshl_b64 s[30:31], s[8:9], 2
	s_add_u32 s34, s3, s30
	s_addc_u32 s35, s6, s31
	s_add_u32 s3, s16, s4
	s_addc_u32 s4, s17, s5
	;; [unrolled: 2-line block ×4, first 2 shown]
	global_store_dword v3, v1, s[34:35]
	global_store_dword v3, v2, s[4:5]
.LBB106_30:
	s_or_b32 exec_lo, exec_lo, s1
	v_mov_b32_e32 v24, 0
	v_mov_b32_e32 v25, 0
	v_mov_b32_e32 v23, 0
	v_mov_b32_e32 v22, 0
	v_mov_b32_e32 v21, 0
	v_mov_b32_e32 v20, 0
	v_mov_b32_e32 v19, 0
	v_mov_b32_e32 v18, 0
	v_mov_b32_e32 v17, 0
	v_mov_b32_e32 v16, 0
	v_mov_b32_e32 v15, 0
	v_mov_b32_e32 v14, 0
	s_and_saveexec_b32 s3, s0
	s_cbranch_execz .LBB106_58
; %bb.31:
	v_lshlrev_b32_e32 v2, 4, v0
	s_ashr_i32 s15, s14, 31
	v_and_b32_e32 v1, 8, v50
	v_lshl_add_u32 v4, v49, 4, s33
	s_lshl_b64 s[0:1], s[14:15], 1
	v_and_b32_e32 v2, 0x1f0, v2
	s_add_u32 s0, s28, s0
	v_lshlrev_b32_e32 v3, 5, v48
	s_addc_u32 s1, s29, s1
	v_add3_u32 v29, v4, v1, 7
	v_add_co_u32 v27, s0, s0, v2
	v_lshlrev_b64 v[1:2], 2, v[5:6]
	v_add_co_ci_u32_e64 v28, null, s1, 0, s0
	s_lshl_b64 s[0:1], s[26:27], 2
	s_add_i32 s12, s12, -1
	v_lshl_or_b32 v3, v49, 6, v3
	s_add_u32 s0, s24, s0
	s_addc_u32 s1, s25, s1
	v_add_co_u32 v6, vcc_lo, s0, v1
	v_mov_b32_e32 v26, 0
	v_add_nc_u32_e32 v30, 0x1a0, v3
	v_add_co_ci_u32_e64 v7, null, s1, v2, vcc_lo
	v_mov_b32_e32 v14, 0
	v_mov_b32_e32 v15, 0
	;; [unrolled: 1-line block ×12, first 2 shown]
	s_mov_b32 s5, s13
	s_mov_b32 s4, 0
	s_branch .LBB106_33
.LBB106_32:                             ;   in Loop: Header=BB106_33 Depth=1
	s_or_b32 exec_lo, exec_lo, s1
	v_add_f32_e32 v10, v10, v11
	v_add_f32_e32 v31, v64, v65
	v_lshlrev_b32_e32 v9, 16, v9
	v_lshlrev_b32_e32 v8, 16, v8
	v_add_f32_e32 v11, v57, v58
	v_add_f32_e32 v18, v18, v10
	v_lshlrev_b32_e32 v10, 16, v63
	v_add_f32_e32 v15, v15, v31
	v_add_f32_e32 v31, v55, v56
	v_and_or_b32 v2, 0xffff, v2, v9
	v_and_or_b32 v3, 0xffff, v3, v8
	;; [unrolled: 1-line block ×3, first 2 shown]
	;;#ASMSTART
	v_pk_mul_f16 v1, v37, v1;

	;;#ASMEND
	;;#ASMSTART
	v_pk_mul_f16 v2, v35, v2;

	;;#ASMEND
	;; [unrolled: 4-line block ×4, first 2 shown]
	;;#ASMSTART
	v_pk_add_f16 v1, v1, v2;

	;;#ASMEND
	;;#ASMSTART
	v_pk_add_f16 v1, v1, v3;

	;;#ASMEND
	;; [unrolled: 4-line block ×3, first 2 shown]
	v_and_b32_e32 v4, 0xffff, v1
	v_add_nc_u32_e32 v5, 4, v5
	v_lshrrev_b32_e32 v8, 16, v1
	;;#ASMSTART
	v_cvt_f32_f16 v4, v4;
	;;#ASMEND
	v_add_f32_e32 v32, v61, v62
	v_add_f32_e32 v33, v59, v60
	;; [unrolled: 1-line block ×9, first 2 shown]
	;;#ASMSTART
	v_cvt_f32_f16 v8, v8;
	;;#ASMEND
	v_add_f32_e32 v4, v4, v8
	v_cmp_le_i32_e32 vcc_lo, s11, v5
	v_add_co_u32 v6, s0, v6, 16
	v_add_f32_e32 v16, v16, v32
	v_add_f32_e32 v17, v17, v33
	;; [unrolled: 1-line block ×8, first 2 shown]
	v_add_nc_u32_e32 v29, 64, v29
	v_add_nc_u32_e32 v30, 0x100, v30
	v_add_co_ci_u32_e64 v7, null, 0, v7, s0
	s_or_b32 s4, vcc_lo, s4
	s_andn2_b32 exec_lo, exec_lo, s4
	s_cbranch_execz .LBB106_57
.LBB106_33:                             ; =>This Inner Loop Header: Depth=1
	global_load_dword v8, v[6:7], off
	ds_read2_b64 v[1:4], v30 offset1:1
	ds_read2_b64 v[31:34], v30 offset0:2 offset1:3
	v_add_nc_u32_e32 v36, -7, v29
	v_cmp_eq_u32_e64 s0, s12, v5
	v_add_nc_u32_e32 v41, -6, v29
	v_add_nc_u32_e32 v40, -1, v29
	s_waitcnt lgkmcnt(1)
	;;#ASMSTART
	v_cvt_f16_f32 v37, v1;

	;;#ASMEND
	;;#ASMSTART
	v_cvt_f16_f32 v35, v2;

	;;#ASMEND
	;;#ASMSTART
	v_cvt_f16_f32 v42, v3;

	;;#ASMEND
	;;#ASMSTART
	v_cvt_f16_f32 v38, v4;

	;;#ASMEND
	s_waitcnt lgkmcnt(0)
	;;#ASMSTART
	v_cvt_f16_f32 v43, v31;

	;;#ASMEND
	;;#ASMSTART
	v_cvt_f16_f32 v11, v32;

	;;#ASMEND
	;; [unrolled: 4-line block ×4, first 2 shown]
	v_add_nc_u32_e32 v34, -5, v29
	v_add_nc_u32_e32 v33, -4, v29
	v_add_nc_u32_e32 v32, -3, v29
	v_add_nc_u32_e32 v31, -2, v29
	s_waitcnt vmcnt(0)
	v_mad_i64_i32 v[8:9], null, v8, s5, 0
	v_lshlrev_b64 v[8:9], 1, v[8:9]
	v_add_co_u32 v8, vcc_lo, v27, v8
	v_add_co_ci_u32_e64 v9, null, v28, v9, vcc_lo
	global_load_dwordx4 v[1:4], v[8:9], off
	s_waitcnt vmcnt(0)
	v_lshrrev_b32_e32 v46, 16, v1
	v_lshrrev_b32_e32 v45, 16, v2
	;; [unrolled: 1-line block ×3, first 2 shown]
	s_and_saveexec_b32 s6, s0
	s_cbranch_execz .LBB106_35
; %bb.34:                               ;   in Loop: Header=BB106_33 Depth=1
	v_cmp_gt_i32_e32 vcc_lo, s23, v36
	v_and_b32_e32 v50, 0xffff0000, v4
	v_cmp_gt_i32_e64 s1, s23, v34
	v_cndmask_b32_e32 v1, 0, v1, vcc_lo
	v_cmp_gt_i32_e32 vcc_lo, s23, v41
	v_cndmask_b32_e64 v2, 0, v2, s1
	v_cmp_gt_i32_e64 s1, s23, v33
	v_cndmask_b32_e32 v46, 0, v46, vcc_lo
	v_cmp_gt_i32_e32 vcc_lo, s23, v40
	v_cndmask_b32_e64 v45, 0, v45, s1
	v_cndmask_b32_sdwa v4, v26, v4, vcc_lo dst_sel:DWORD dst_unused:UNUSED_PAD src0_sel:DWORD src1_sel:WORD_0
	v_cmp_gt_i32_e32 vcc_lo, s23, v29
	v_cndmask_b32_e32 v50, 0, v50, vcc_lo
	v_cmp_gt_i32_e32 vcc_lo, s23, v32
	v_or_b32_e32 v4, v4, v50
	v_cndmask_b32_e32 v3, 0, v3, vcc_lo
	v_cmp_gt_i32_e32 vcc_lo, s23, v31
	v_cndmask_b32_e32 v44, 0, v44, vcc_lo
.LBB106_35:                             ;   in Loop: Header=BB106_33 Depth=1
	s_or_b32 exec_lo, exec_lo, s6
	v_and_b32_e32 v37, 0xffff, v37
	v_and_b32_e32 v42, 0xffff, v42
	v_lshlrev_b32_e32 v46, 16, v46
	v_lshlrev_b32_e32 v44, 16, v44
	v_and_b32_e32 v43, 0xffff, v43
	v_lshl_or_b32 v37, v35, 16, v37
	v_lshl_or_b32 v35, v38, 16, v42
	v_lshlrev_b32_e32 v42, 16, v45
	v_and_b32_e32 v39, 0xffff, v39
	v_and_or_b32 v1, 0xffff, v1, v46
	v_and_or_b32 v3, 0xffff, v3, v44
	;;#ASMSTART
	v_pk_mul_f16 v1, v37, v1;

	;;#ASMEND
	v_and_or_b32 v2, 0xffff, v2, v42
	v_lshl_or_b32 v38, v11, 16, v43
	v_lshl_or_b32 v39, v10, 16, v39
	;;#ASMSTART
	v_pk_mul_f16 v2, v35, v2;

	;;#ASMEND
	;;#ASMSTART
	v_pk_mul_f16 v3, v38, v3;

	;;#ASMEND
	;; [unrolled: 4-line block ×3, first 2 shown]
	;;#ASMSTART
	v_pk_add_f16 v1, v1, v2;

	;;#ASMEND
	;;#ASMSTART
	v_pk_add_f16 v1, v1, v3;

	;;#ASMEND
	;; [unrolled: 4-line block ×3, first 2 shown]
	v_and_b32_e32 v2, 0xffff, v1
	v_lshrrev_b32_e32 v1, 16, v1
	;;#ASMSTART
	v_cvt_f32_f16 v42, v2;
	;;#ASMEND
	;;#ASMSTART
	v_cvt_f32_f16 v43, v1;
	;;#ASMEND
	global_load_dwordx4 v[1:4], v[8:9], off offset:512
	s_waitcnt vmcnt(0)
	v_lshrrev_b32_e32 v44, 16, v1
	v_lshrrev_b32_e32 v11, 16, v2
	;; [unrolled: 1-line block ×3, first 2 shown]
	s_and_saveexec_b32 s6, s0
	s_cbranch_execz .LBB106_37
; %bb.36:                               ;   in Loop: Header=BB106_33 Depth=1
	v_cmp_gt_i32_e32 vcc_lo, s23, v36
	v_and_b32_e32 v45, 0xffff0000, v4
	v_cmp_gt_i32_e64 s1, s23, v34
	v_cndmask_b32_e32 v1, 0, v1, vcc_lo
	v_cmp_gt_i32_e32 vcc_lo, s23, v41
	v_cndmask_b32_e64 v2, 0, v2, s1
	v_cmp_gt_i32_e64 s1, s23, v33
	v_cndmask_b32_e32 v44, 0, v44, vcc_lo
	v_cmp_gt_i32_e32 vcc_lo, s23, v40
	v_cndmask_b32_e64 v11, 0, v11, s1
	v_cndmask_b32_sdwa v4, v26, v4, vcc_lo dst_sel:DWORD dst_unused:UNUSED_PAD src0_sel:DWORD src1_sel:WORD_0
	v_cmp_gt_i32_e32 vcc_lo, s23, v29
	v_cndmask_b32_e32 v45, 0, v45, vcc_lo
	v_cmp_gt_i32_e32 vcc_lo, s23, v32
	v_or_b32_e32 v4, v4, v45
	v_cndmask_b32_e32 v3, 0, v3, vcc_lo
	v_cmp_gt_i32_e32 vcc_lo, s23, v31
	v_cndmask_b32_e32 v10, 0, v10, vcc_lo
.LBB106_37:                             ;   in Loop: Header=BB106_33 Depth=1
	s_or_b32 exec_lo, exec_lo, s6
	v_lshlrev_b32_e32 v44, 16, v44
	v_lshlrev_b32_e32 v11, 16, v11
	;; [unrolled: 1-line block ×3, first 2 shown]
	v_and_or_b32 v1, 0xffff, v1, v44
	v_and_or_b32 v2, 0xffff, v2, v11
	;; [unrolled: 1-line block ×3, first 2 shown]
	;;#ASMSTART
	v_pk_mul_f16 v1, v37, v1;

	;;#ASMEND
	;;#ASMSTART
	v_pk_mul_f16 v2, v35, v2;

	;;#ASMEND
	;; [unrolled: 4-line block ×4, first 2 shown]
	;;#ASMSTART
	v_pk_add_f16 v1, v1, v2;

	;;#ASMEND
	;;#ASMSTART
	v_pk_add_f16 v1, v1, v3;

	;;#ASMEND
	;; [unrolled: 4-line block ×3, first 2 shown]
	v_and_b32_e32 v2, 0xffff, v1
	v_lshrrev_b32_e32 v1, 16, v1
	;;#ASMSTART
	v_cvt_f32_f16 v44, v2;
	;;#ASMEND
	;;#ASMSTART
	v_cvt_f32_f16 v45, v1;
	;;#ASMEND
	global_load_dwordx4 v[1:4], v[8:9], off offset:1024
	s_waitcnt vmcnt(0)
	v_lshrrev_b32_e32 v46, 16, v1
	v_lshrrev_b32_e32 v11, 16, v2
	;; [unrolled: 1-line block ×3, first 2 shown]
	s_and_saveexec_b32 s6, s0
	s_cbranch_execz .LBB106_39
; %bb.38:                               ;   in Loop: Header=BB106_33 Depth=1
	v_cmp_gt_i32_e32 vcc_lo, s23, v36
	v_and_b32_e32 v50, 0xffff0000, v4
	v_cmp_gt_i32_e64 s1, s23, v34
	v_cndmask_b32_e32 v1, 0, v1, vcc_lo
	v_cmp_gt_i32_e32 vcc_lo, s23, v41
	v_cndmask_b32_e64 v2, 0, v2, s1
	v_cmp_gt_i32_e64 s1, s23, v33
	v_cndmask_b32_e32 v46, 0, v46, vcc_lo
	v_cmp_gt_i32_e32 vcc_lo, s23, v40
	v_cndmask_b32_e64 v11, 0, v11, s1
	v_cndmask_b32_sdwa v4, v26, v4, vcc_lo dst_sel:DWORD dst_unused:UNUSED_PAD src0_sel:DWORD src1_sel:WORD_0
	v_cmp_gt_i32_e32 vcc_lo, s23, v29
	v_cndmask_b32_e32 v50, 0, v50, vcc_lo
	v_cmp_gt_i32_e32 vcc_lo, s23, v32
	v_or_b32_e32 v4, v4, v50
	v_cndmask_b32_e32 v3, 0, v3, vcc_lo
	v_cmp_gt_i32_e32 vcc_lo, s23, v31
	v_cndmask_b32_e32 v10, 0, v10, vcc_lo
.LBB106_39:                             ;   in Loop: Header=BB106_33 Depth=1
	s_or_b32 exec_lo, exec_lo, s6
	v_lshlrev_b32_e32 v46, 16, v46
	v_lshlrev_b32_e32 v11, 16, v11
	;; [unrolled: 1-line block ×3, first 2 shown]
	v_and_or_b32 v1, 0xffff, v1, v46
	v_and_or_b32 v2, 0xffff, v2, v11
	;; [unrolled: 1-line block ×3, first 2 shown]
	;;#ASMSTART
	v_pk_mul_f16 v1, v37, v1;

	;;#ASMEND
	;;#ASMSTART
	v_pk_mul_f16 v2, v35, v2;

	;;#ASMEND
	;;#ASMSTART
	v_pk_mul_f16 v3, v38, v3;

	;;#ASMEND
	;;#ASMSTART
	v_pk_mul_f16 v4, v39, v4;

	;;#ASMEND
	;;#ASMSTART
	v_pk_add_f16 v1, v1, v2;

	;;#ASMEND
	;;#ASMSTART
	v_pk_add_f16 v1, v1, v3;

	;;#ASMEND
	;; [unrolled: 4-line block ×3, first 2 shown]
	v_and_b32_e32 v2, 0xffff, v1
	v_lshrrev_b32_e32 v1, 16, v1
	;;#ASMSTART
	v_cvt_f32_f16 v46, v2;
	;;#ASMEND
	;;#ASMSTART
	v_cvt_f32_f16 v50, v1;
	;;#ASMEND
	global_load_dwordx4 v[1:4], v[8:9], off offset:1536
	s_waitcnt vmcnt(0)
	v_lshrrev_b32_e32 v51, 16, v1
	v_lshrrev_b32_e32 v11, 16, v2
	;; [unrolled: 1-line block ×3, first 2 shown]
	s_and_saveexec_b32 s6, s0
	s_cbranch_execz .LBB106_41
; %bb.40:                               ;   in Loop: Header=BB106_33 Depth=1
	v_cmp_gt_i32_e32 vcc_lo, s23, v36
	v_and_b32_e32 v52, 0xffff0000, v4
	v_cmp_gt_i32_e64 s1, s23, v34
	v_cndmask_b32_e32 v1, 0, v1, vcc_lo
	v_cmp_gt_i32_e32 vcc_lo, s23, v41
	v_cndmask_b32_e64 v2, 0, v2, s1
	v_cmp_gt_i32_e64 s1, s23, v33
	v_cndmask_b32_e32 v51, 0, v51, vcc_lo
	v_cmp_gt_i32_e32 vcc_lo, s23, v40
	v_cndmask_b32_e64 v11, 0, v11, s1
	v_cndmask_b32_sdwa v4, v26, v4, vcc_lo dst_sel:DWORD dst_unused:UNUSED_PAD src0_sel:DWORD src1_sel:WORD_0
	v_cmp_gt_i32_e32 vcc_lo, s23, v29
	v_cndmask_b32_e32 v52, 0, v52, vcc_lo
	v_cmp_gt_i32_e32 vcc_lo, s23, v32
	v_or_b32_e32 v4, v4, v52
	v_cndmask_b32_e32 v3, 0, v3, vcc_lo
	v_cmp_gt_i32_e32 vcc_lo, s23, v31
	v_cndmask_b32_e32 v10, 0, v10, vcc_lo
.LBB106_41:                             ;   in Loop: Header=BB106_33 Depth=1
	s_or_b32 exec_lo, exec_lo, s6
	v_lshlrev_b32_e32 v10, 16, v10
	v_lshlrev_b32_e32 v51, 16, v51
	;; [unrolled: 1-line block ×3, first 2 shown]
	v_and_or_b32 v3, 0xffff, v3, v10
	v_add_co_u32 v10, vcc_lo, 0x800, v8
	v_and_or_b32 v1, 0xffff, v1, v51
	v_and_or_b32 v2, 0xffff, v2, v11
	;;#ASMSTART
	v_pk_mul_f16 v1, v37, v1;

	;;#ASMEND
	v_add_co_ci_u32_e64 v11, null, 0, v9, vcc_lo
	;;#ASMSTART
	v_pk_mul_f16 v2, v35, v2;

	;;#ASMEND
	;;#ASMSTART
	v_pk_mul_f16 v3, v38, v3;

	;;#ASMEND
	;; [unrolled: 4-line block ×3, first 2 shown]
	;;#ASMSTART
	v_pk_add_f16 v1, v1, v2;

	;;#ASMEND
	;;#ASMSTART
	v_pk_add_f16 v1, v1, v3;

	;;#ASMEND
	;; [unrolled: 4-line block ×3, first 2 shown]
	v_lshrrev_b32_e32 v2, 16, v1
	v_and_b32_e32 v1, 0xffff, v1
	;;#ASMSTART
	v_cvt_f32_f16 v51, v1;
	;;#ASMEND
	;;#ASMSTART
	v_cvt_f32_f16 v52, v2;
	;;#ASMEND
	global_load_dwordx4 v[1:4], v[10:11], off
	s_waitcnt vmcnt(0)
	v_lshrrev_b32_e32 v55, 16, v1
	v_lshrrev_b32_e32 v54, 16, v2
	;; [unrolled: 1-line block ×3, first 2 shown]
	s_and_saveexec_b32 s6, s0
	s_cbranch_execz .LBB106_43
; %bb.42:                               ;   in Loop: Header=BB106_33 Depth=1
	v_cmp_gt_i32_e32 vcc_lo, s23, v36
	v_and_b32_e32 v56, 0xffff0000, v4
	v_cmp_gt_i32_e64 s1, s23, v34
	v_cndmask_b32_e32 v1, 0, v1, vcc_lo
	v_cmp_gt_i32_e32 vcc_lo, s23, v41
	v_cndmask_b32_e64 v2, 0, v2, s1
	v_cmp_gt_i32_e64 s1, s23, v33
	v_cndmask_b32_e32 v55, 0, v55, vcc_lo
	v_cmp_gt_i32_e32 vcc_lo, s23, v40
	v_cndmask_b32_e64 v54, 0, v54, s1
	v_cndmask_b32_sdwa v4, v26, v4, vcc_lo dst_sel:DWORD dst_unused:UNUSED_PAD src0_sel:DWORD src1_sel:WORD_0
	v_cmp_gt_i32_e32 vcc_lo, s23, v29
	v_cndmask_b32_e32 v56, 0, v56, vcc_lo
	v_cmp_gt_i32_e32 vcc_lo, s23, v32
	v_or_b32_e32 v4, v4, v56
	v_cndmask_b32_e32 v3, 0, v3, vcc_lo
	v_cmp_gt_i32_e32 vcc_lo, s23, v31
	v_cndmask_b32_e32 v53, 0, v53, vcc_lo
.LBB106_43:                             ;   in Loop: Header=BB106_33 Depth=1
	s_or_b32 exec_lo, exec_lo, s6
	v_lshlrev_b32_e32 v55, 16, v55
	v_lshlrev_b32_e32 v54, 16, v54
	;; [unrolled: 1-line block ×3, first 2 shown]
	v_and_or_b32 v1, 0xffff, v1, v55
	v_and_or_b32 v2, 0xffff, v2, v54
	;; [unrolled: 1-line block ×3, first 2 shown]
	;;#ASMSTART
	v_pk_mul_f16 v1, v37, v1;

	;;#ASMEND
	;;#ASMSTART
	v_pk_mul_f16 v2, v35, v2;

	;;#ASMEND
	;; [unrolled: 4-line block ×4, first 2 shown]
	;;#ASMSTART
	v_pk_add_f16 v1, v1, v2;

	;;#ASMEND
	;;#ASMSTART
	v_pk_add_f16 v1, v1, v3;

	;;#ASMEND
	;; [unrolled: 4-line block ×3, first 2 shown]
	v_and_b32_e32 v2, 0xffff, v1
	v_lshrrev_b32_e32 v1, 16, v1
	;;#ASMSTART
	v_cvt_f32_f16 v53, v2;
	;;#ASMEND
	;;#ASMSTART
	v_cvt_f32_f16 v54, v1;
	;;#ASMEND
	global_load_dwordx4 v[1:4], v[10:11], off offset:512
	s_waitcnt vmcnt(0)
	v_lshrrev_b32_e32 v57, 16, v1
	v_lshrrev_b32_e32 v56, 16, v2
	v_lshrrev_b32_e32 v55, 16, v3
	s_and_saveexec_b32 s6, s0
	s_cbranch_execz .LBB106_45
; %bb.44:                               ;   in Loop: Header=BB106_33 Depth=1
	v_cmp_gt_i32_e32 vcc_lo, s23, v36
	v_and_b32_e32 v58, 0xffff0000, v4
	v_cmp_gt_i32_e64 s1, s23, v34
	v_cndmask_b32_e32 v1, 0, v1, vcc_lo
	v_cmp_gt_i32_e32 vcc_lo, s23, v41
	v_cndmask_b32_e64 v2, 0, v2, s1
	v_cmp_gt_i32_e64 s1, s23, v33
	v_cndmask_b32_e32 v57, 0, v57, vcc_lo
	v_cmp_gt_i32_e32 vcc_lo, s23, v40
	v_cndmask_b32_e64 v56, 0, v56, s1
	v_cndmask_b32_sdwa v4, v26, v4, vcc_lo dst_sel:DWORD dst_unused:UNUSED_PAD src0_sel:DWORD src1_sel:WORD_0
	v_cmp_gt_i32_e32 vcc_lo, s23, v29
	v_cndmask_b32_e32 v58, 0, v58, vcc_lo
	v_cmp_gt_i32_e32 vcc_lo, s23, v32
	v_or_b32_e32 v4, v4, v58
	v_cndmask_b32_e32 v3, 0, v3, vcc_lo
	v_cmp_gt_i32_e32 vcc_lo, s23, v31
	v_cndmask_b32_e32 v55, 0, v55, vcc_lo
.LBB106_45:                             ;   in Loop: Header=BB106_33 Depth=1
	s_or_b32 exec_lo, exec_lo, s6
	v_lshlrev_b32_e32 v57, 16, v57
	v_lshlrev_b32_e32 v56, 16, v56
	;; [unrolled: 1-line block ×3, first 2 shown]
	v_and_or_b32 v1, 0xffff, v1, v57
	v_and_or_b32 v2, 0xffff, v2, v56
	;; [unrolled: 1-line block ×3, first 2 shown]
	;;#ASMSTART
	v_pk_mul_f16 v1, v37, v1;

	;;#ASMEND
	;;#ASMSTART
	v_pk_mul_f16 v2, v35, v2;

	;;#ASMEND
	;; [unrolled: 4-line block ×4, first 2 shown]
	;;#ASMSTART
	v_pk_add_f16 v1, v1, v2;

	;;#ASMEND
	;;#ASMSTART
	v_pk_add_f16 v1, v1, v3;

	;;#ASMEND
	;; [unrolled: 4-line block ×3, first 2 shown]
	v_and_b32_e32 v2, 0xffff, v1
	v_lshrrev_b32_e32 v1, 16, v1
	;;#ASMSTART
	v_cvt_f32_f16 v55, v2;
	;;#ASMEND
	;;#ASMSTART
	v_cvt_f32_f16 v56, v1;
	;;#ASMEND
	global_load_dwordx4 v[1:4], v[10:11], off offset:1024
	s_waitcnt vmcnt(0)
	v_lshrrev_b32_e32 v59, 16, v1
	v_lshrrev_b32_e32 v58, 16, v2
	;; [unrolled: 1-line block ×3, first 2 shown]
	s_and_saveexec_b32 s6, s0
	s_cbranch_execz .LBB106_47
; %bb.46:                               ;   in Loop: Header=BB106_33 Depth=1
	v_cmp_gt_i32_e32 vcc_lo, s23, v36
	v_and_b32_e32 v60, 0xffff0000, v4
	v_cmp_gt_i32_e64 s1, s23, v34
	v_cndmask_b32_e32 v1, 0, v1, vcc_lo
	v_cmp_gt_i32_e32 vcc_lo, s23, v41
	v_cndmask_b32_e64 v2, 0, v2, s1
	v_cmp_gt_i32_e64 s1, s23, v33
	v_cndmask_b32_e32 v59, 0, v59, vcc_lo
	v_cmp_gt_i32_e32 vcc_lo, s23, v40
	v_cndmask_b32_e64 v58, 0, v58, s1
	v_cndmask_b32_sdwa v4, v26, v4, vcc_lo dst_sel:DWORD dst_unused:UNUSED_PAD src0_sel:DWORD src1_sel:WORD_0
	v_cmp_gt_i32_e32 vcc_lo, s23, v29
	v_cndmask_b32_e32 v60, 0, v60, vcc_lo
	v_cmp_gt_i32_e32 vcc_lo, s23, v32
	v_or_b32_e32 v4, v4, v60
	v_cndmask_b32_e32 v3, 0, v3, vcc_lo
	v_cmp_gt_i32_e32 vcc_lo, s23, v31
	v_cndmask_b32_e32 v57, 0, v57, vcc_lo
.LBB106_47:                             ;   in Loop: Header=BB106_33 Depth=1
	s_or_b32 exec_lo, exec_lo, s6
	v_lshlrev_b32_e32 v59, 16, v59
	v_lshlrev_b32_e32 v58, 16, v58
	;; [unrolled: 1-line block ×3, first 2 shown]
	v_and_or_b32 v1, 0xffff, v1, v59
	v_and_or_b32 v2, 0xffff, v2, v58
	;; [unrolled: 1-line block ×3, first 2 shown]
	;;#ASMSTART
	v_pk_mul_f16 v1, v37, v1;

	;;#ASMEND
	;;#ASMSTART
	v_pk_mul_f16 v2, v35, v2;

	;;#ASMEND
	;; [unrolled: 4-line block ×4, first 2 shown]
	;;#ASMSTART
	v_pk_add_f16 v1, v1, v2;

	;;#ASMEND
	;;#ASMSTART
	v_pk_add_f16 v1, v1, v3;

	;;#ASMEND
	;; [unrolled: 4-line block ×3, first 2 shown]
	v_and_b32_e32 v2, 0xffff, v1
	v_lshrrev_b32_e32 v1, 16, v1
	;;#ASMSTART
	v_cvt_f32_f16 v57, v2;
	;;#ASMEND
	;;#ASMSTART
	v_cvt_f32_f16 v58, v1;
	;;#ASMEND
	global_load_dwordx4 v[1:4], v[10:11], off offset:1536
	s_waitcnt vmcnt(0)
	v_lshrrev_b32_e32 v59, 16, v1
	v_lshrrev_b32_e32 v11, 16, v2
	;; [unrolled: 1-line block ×3, first 2 shown]
	s_and_saveexec_b32 s6, s0
	s_cbranch_execz .LBB106_49
; %bb.48:                               ;   in Loop: Header=BB106_33 Depth=1
	v_cmp_gt_i32_e32 vcc_lo, s23, v36
	v_and_b32_e32 v60, 0xffff0000, v4
	v_cmp_gt_i32_e64 s1, s23, v34
	v_cndmask_b32_e32 v1, 0, v1, vcc_lo
	v_cmp_gt_i32_e32 vcc_lo, s23, v41
	v_cndmask_b32_e64 v2, 0, v2, s1
	v_cmp_gt_i32_e64 s1, s23, v33
	v_cndmask_b32_e32 v59, 0, v59, vcc_lo
	v_cmp_gt_i32_e32 vcc_lo, s23, v40
	v_cndmask_b32_e64 v11, 0, v11, s1
	v_cndmask_b32_sdwa v4, v26, v4, vcc_lo dst_sel:DWORD dst_unused:UNUSED_PAD src0_sel:DWORD src1_sel:WORD_0
	v_cmp_gt_i32_e32 vcc_lo, s23, v29
	v_cndmask_b32_e32 v60, 0, v60, vcc_lo
	v_cmp_gt_i32_e32 vcc_lo, s23, v32
	v_or_b32_e32 v4, v4, v60
	v_cndmask_b32_e32 v3, 0, v3, vcc_lo
	v_cmp_gt_i32_e32 vcc_lo, s23, v31
	v_cndmask_b32_e32 v10, 0, v10, vcc_lo
.LBB106_49:                             ;   in Loop: Header=BB106_33 Depth=1
	s_or_b32 exec_lo, exec_lo, s6
	v_lshlrev_b32_e32 v59, 16, v59
	v_lshlrev_b32_e32 v11, 16, v11
	;; [unrolled: 1-line block ×3, first 2 shown]
	v_add_co_u32 v8, vcc_lo, 0x1000, v8
	v_and_or_b32 v1, 0xffff, v1, v59
	v_and_or_b32 v2, 0xffff, v2, v11
	;; [unrolled: 1-line block ×3, first 2 shown]
	;;#ASMSTART
	v_pk_mul_f16 v1, v37, v1;

	;;#ASMEND
	v_add_co_ci_u32_e64 v9, null, 0, v9, vcc_lo
	;;#ASMSTART
	v_pk_mul_f16 v2, v35, v2;

	;;#ASMEND
	;;#ASMSTART
	v_pk_mul_f16 v3, v38, v3;

	;;#ASMEND
	;; [unrolled: 4-line block ×3, first 2 shown]
	;;#ASMSTART
	v_pk_add_f16 v1, v1, v2;

	;;#ASMEND
	;;#ASMSTART
	v_pk_add_f16 v1, v1, v3;

	;;#ASMEND
	;; [unrolled: 4-line block ×3, first 2 shown]
	v_lshrrev_b32_e32 v2, 16, v1
	v_and_b32_e32 v1, 0xffff, v1
	;;#ASMSTART
	v_cvt_f32_f16 v10, v1;
	;;#ASMEND
	;;#ASMSTART
	v_cvt_f32_f16 v11, v2;
	;;#ASMEND
	global_load_dwordx4 v[1:4], v[8:9], off
	s_waitcnt vmcnt(0)
	v_lshrrev_b32_e32 v61, 16, v1
	v_lshrrev_b32_e32 v60, 16, v2
	;; [unrolled: 1-line block ×3, first 2 shown]
	s_and_saveexec_b32 s6, s0
	s_cbranch_execz .LBB106_51
; %bb.50:                               ;   in Loop: Header=BB106_33 Depth=1
	v_cmp_gt_i32_e32 vcc_lo, s23, v36
	v_and_b32_e32 v62, 0xffff0000, v4
	v_cmp_gt_i32_e64 s1, s23, v34
	v_cndmask_b32_e32 v1, 0, v1, vcc_lo
	v_cmp_gt_i32_e32 vcc_lo, s23, v41
	v_cndmask_b32_e64 v2, 0, v2, s1
	v_cmp_gt_i32_e64 s1, s23, v33
	v_cndmask_b32_e32 v61, 0, v61, vcc_lo
	v_cmp_gt_i32_e32 vcc_lo, s23, v40
	v_cndmask_b32_e64 v60, 0, v60, s1
	v_cndmask_b32_sdwa v4, v26, v4, vcc_lo dst_sel:DWORD dst_unused:UNUSED_PAD src0_sel:DWORD src1_sel:WORD_0
	v_cmp_gt_i32_e32 vcc_lo, s23, v29
	v_cndmask_b32_e32 v62, 0, v62, vcc_lo
	v_cmp_gt_i32_e32 vcc_lo, s23, v32
	v_or_b32_e32 v4, v4, v62
	v_cndmask_b32_e32 v3, 0, v3, vcc_lo
	v_cmp_gt_i32_e32 vcc_lo, s23, v31
	v_cndmask_b32_e32 v59, 0, v59, vcc_lo
.LBB106_51:                             ;   in Loop: Header=BB106_33 Depth=1
	s_or_b32 exec_lo, exec_lo, s6
	v_lshlrev_b32_e32 v61, 16, v61
	v_lshlrev_b32_e32 v60, 16, v60
	;; [unrolled: 1-line block ×3, first 2 shown]
	v_and_or_b32 v1, 0xffff, v1, v61
	v_and_or_b32 v2, 0xffff, v2, v60
	;; [unrolled: 1-line block ×3, first 2 shown]
	;;#ASMSTART
	v_pk_mul_f16 v1, v37, v1;

	;;#ASMEND
	;;#ASMSTART
	v_pk_mul_f16 v2, v35, v2;

	;;#ASMEND
	;; [unrolled: 4-line block ×4, first 2 shown]
	;;#ASMSTART
	v_pk_add_f16 v1, v1, v2;

	;;#ASMEND
	;;#ASMSTART
	v_pk_add_f16 v1, v1, v3;

	;;#ASMEND
	;;#ASMSTART
	v_pk_add_f16 v1, v1, v4;

	;;#ASMEND
	v_and_b32_e32 v2, 0xffff, v1
	v_lshrrev_b32_e32 v1, 16, v1
	;;#ASMSTART
	v_cvt_f32_f16 v59, v2;
	;;#ASMEND
	;;#ASMSTART
	v_cvt_f32_f16 v60, v1;
	;;#ASMEND
	global_load_dwordx4 v[1:4], v[8:9], off offset:512
	s_waitcnt vmcnt(0)
	v_lshrrev_b32_e32 v63, 16, v1
	v_lshrrev_b32_e32 v62, 16, v2
	;; [unrolled: 1-line block ×3, first 2 shown]
	s_and_saveexec_b32 s6, s0
	s_cbranch_execz .LBB106_53
; %bb.52:                               ;   in Loop: Header=BB106_33 Depth=1
	v_cmp_gt_i32_e32 vcc_lo, s23, v36
	v_and_b32_e32 v64, 0xffff0000, v4
	v_cmp_gt_i32_e64 s1, s23, v34
	v_cndmask_b32_e32 v1, 0, v1, vcc_lo
	v_cmp_gt_i32_e32 vcc_lo, s23, v41
	v_cndmask_b32_e64 v2, 0, v2, s1
	v_cmp_gt_i32_e64 s1, s23, v33
	v_cndmask_b32_e32 v63, 0, v63, vcc_lo
	v_cmp_gt_i32_e32 vcc_lo, s23, v40
	v_cndmask_b32_e64 v62, 0, v62, s1
	v_cndmask_b32_sdwa v4, v26, v4, vcc_lo dst_sel:DWORD dst_unused:UNUSED_PAD src0_sel:DWORD src1_sel:WORD_0
	v_cmp_gt_i32_e32 vcc_lo, s23, v29
	v_cndmask_b32_e32 v64, 0, v64, vcc_lo
	v_cmp_gt_i32_e32 vcc_lo, s23, v32
	v_or_b32_e32 v4, v4, v64
	v_cndmask_b32_e32 v3, 0, v3, vcc_lo
	v_cmp_gt_i32_e32 vcc_lo, s23, v31
	v_cndmask_b32_e32 v61, 0, v61, vcc_lo
.LBB106_53:                             ;   in Loop: Header=BB106_33 Depth=1
	s_or_b32 exec_lo, exec_lo, s6
	v_lshlrev_b32_e32 v63, 16, v63
	v_lshlrev_b32_e32 v62, 16, v62
	;; [unrolled: 1-line block ×3, first 2 shown]
	v_and_or_b32 v1, 0xffff, v1, v63
	v_and_or_b32 v2, 0xffff, v2, v62
	;; [unrolled: 1-line block ×3, first 2 shown]
	;;#ASMSTART
	v_pk_mul_f16 v1, v37, v1;

	;;#ASMEND
	;;#ASMSTART
	v_pk_mul_f16 v2, v35, v2;

	;;#ASMEND
	;; [unrolled: 4-line block ×4, first 2 shown]
	;;#ASMSTART
	v_pk_add_f16 v1, v1, v2;

	;;#ASMEND
	;;#ASMSTART
	v_pk_add_f16 v1, v1, v3;

	;;#ASMEND
	;; [unrolled: 4-line block ×3, first 2 shown]
	v_and_b32_e32 v2, 0xffff, v1
	v_lshrrev_b32_e32 v1, 16, v1
	;;#ASMSTART
	v_cvt_f32_f16 v61, v2;
	;;#ASMEND
	;;#ASMSTART
	v_cvt_f32_f16 v62, v1;
	;;#ASMEND
	global_load_dwordx4 v[1:4], v[8:9], off offset:1024
	s_waitcnt vmcnt(0)
	v_lshrrev_b32_e32 v65, 16, v1
	v_lshrrev_b32_e32 v64, 16, v2
	;; [unrolled: 1-line block ×3, first 2 shown]
	s_and_saveexec_b32 s6, s0
	s_cbranch_execz .LBB106_55
; %bb.54:                               ;   in Loop: Header=BB106_33 Depth=1
	v_cmp_gt_i32_e32 vcc_lo, s23, v36
	v_and_b32_e32 v66, 0xffff0000, v4
	v_cmp_gt_i32_e64 s1, s23, v34
	v_cndmask_b32_e32 v1, 0, v1, vcc_lo
	v_cmp_gt_i32_e32 vcc_lo, s23, v41
	v_cndmask_b32_e64 v2, 0, v2, s1
	v_cmp_gt_i32_e64 s1, s23, v33
	v_cndmask_b32_e32 v65, 0, v65, vcc_lo
	v_cmp_gt_i32_e32 vcc_lo, s23, v40
	v_cndmask_b32_e64 v64, 0, v64, s1
	v_cndmask_b32_sdwa v4, v26, v4, vcc_lo dst_sel:DWORD dst_unused:UNUSED_PAD src0_sel:DWORD src1_sel:WORD_0
	v_cmp_gt_i32_e32 vcc_lo, s23, v29
	v_cndmask_b32_e32 v66, 0, v66, vcc_lo
	v_cmp_gt_i32_e32 vcc_lo, s23, v32
	v_or_b32_e32 v4, v4, v66
	v_cndmask_b32_e32 v3, 0, v3, vcc_lo
	v_cmp_gt_i32_e32 vcc_lo, s23, v31
	v_cndmask_b32_e32 v63, 0, v63, vcc_lo
.LBB106_55:                             ;   in Loop: Header=BB106_33 Depth=1
	s_or_b32 exec_lo, exec_lo, s6
	v_lshlrev_b32_e32 v65, 16, v65
	v_lshlrev_b32_e32 v64, 16, v64
	;; [unrolled: 1-line block ×3, first 2 shown]
	v_and_or_b32 v1, 0xffff, v1, v65
	v_and_or_b32 v2, 0xffff, v2, v64
	;; [unrolled: 1-line block ×3, first 2 shown]
	;;#ASMSTART
	v_pk_mul_f16 v1, v37, v1;

	;;#ASMEND
	;;#ASMSTART
	v_pk_mul_f16 v2, v35, v2;

	;;#ASMEND
	;; [unrolled: 4-line block ×4, first 2 shown]
	;;#ASMSTART
	v_pk_add_f16 v1, v1, v2;

	;;#ASMEND
	;;#ASMSTART
	v_pk_add_f16 v1, v1, v3;

	;;#ASMEND
	;; [unrolled: 4-line block ×3, first 2 shown]
	v_and_b32_e32 v2, 0xffff, v1
	v_lshrrev_b32_e32 v1, 16, v1
	;;#ASMSTART
	v_cvt_f32_f16 v64, v2;
	;;#ASMEND
	;;#ASMSTART
	v_cvt_f32_f16 v65, v1;
	;;#ASMEND
	global_load_dwordx4 v[1:4], v[8:9], off offset:1536
	s_waitcnt vmcnt(0)
	v_lshrrev_b32_e32 v63, 16, v1
	v_lshrrev_b32_e32 v9, 16, v2
	;; [unrolled: 1-line block ×3, first 2 shown]
	s_and_saveexec_b32 s1, s0
	s_cbranch_execz .LBB106_32
; %bb.56:                               ;   in Loop: Header=BB106_33 Depth=1
	v_cmp_gt_i32_e32 vcc_lo, s23, v36
	v_cmp_gt_i32_e64 s0, s23, v34
	v_cndmask_b32_e32 v1, 0, v1, vcc_lo
	v_cmp_gt_i32_e32 vcc_lo, s23, v41
	v_cndmask_b32_e64 v2, 0, v2, s0
	v_cmp_gt_i32_e64 s0, s23, v33
	v_and_b32_e32 v33, 0xffff0000, v4
	v_cndmask_b32_e32 v63, 0, v63, vcc_lo
	v_cmp_gt_i32_e32 vcc_lo, s23, v40
	v_cndmask_b32_e64 v9, 0, v9, s0
	v_cndmask_b32_sdwa v4, v26, v4, vcc_lo dst_sel:DWORD dst_unused:UNUSED_PAD src0_sel:DWORD src1_sel:WORD_0
	v_cmp_gt_i32_e32 vcc_lo, s23, v29
	v_cndmask_b32_e32 v33, 0, v33, vcc_lo
	v_cmp_gt_i32_e32 vcc_lo, s23, v32
	v_or_b32_e32 v4, v4, v33
	v_cndmask_b32_e32 v3, 0, v3, vcc_lo
	v_cmp_gt_i32_e32 vcc_lo, s23, v31
	v_cndmask_b32_e32 v8, 0, v8, vcc_lo
	s_branch .LBB106_32
.LBB106_57:
	s_or_b32 exec_lo, exec_lo, s4
.LBB106_58:
	s_or_b32 exec_lo, exec_lo, s3
	ds_bpermute_b32 v1, v13, v24
	ds_bpermute_b32 v2, v13, v25
	ds_bpermute_b32 v3, v13, v23
	ds_bpermute_b32 v4, v13, v22
	ds_bpermute_b32 v5, v13, v21
	ds_bpermute_b32 v6, v13, v20
	ds_bpermute_b32 v26, v13, v19
	ds_bpermute_b32 v27, v13, v18
	ds_bpermute_b32 v28, v13, v17
	ds_bpermute_b32 v29, v13, v16
	ds_bpermute_b32 v30, v13, v15
	ds_bpermute_b32 v31, v13, v14
	v_lshrrev_b32_e32 v12, 1, v12
	s_mov_b32 s0, exec_lo
	s_waitcnt lgkmcnt(0)
	s_waitcnt_vscnt null, 0x0
	s_barrier
	buffer_gl0_inv
	v_add_f32_e32 v13, v24, v1
	v_add_f32_e32 v11, v25, v2
	;; [unrolled: 1-line block ×10, first 2 shown]
	v_and_b32_e32 v16, 0x3c1, v0
	v_add_f32_e32 v6, v15, v30
	v_add_f32_e32 v3, v14, v31
	v_lshl_add_u32 v14, v12, 2, 0x1a0
	v_mul_u32_u24_e32 v15, 0x300, v49
	v_cmpx_eq_u32_e32 64, v16
	s_cbranch_execz .LBB106_60
; %bb.59:
	v_add_nc_u32_e32 v16, v14, v15
	v_add_nc_u32_e32 v17, 0xfffffa00, v16
	;; [unrolled: 1-line block ×8, first 2 shown]
	ds_write_b32 v17, v13
	ds_write_b32 v18, v11
	;; [unrolled: 1-line block ×7, first 2 shown]
	v_add_nc_u32_e32 v17, 0xfffffbc0, v16
	v_add_nc_u32_e32 v18, 0xfffffc00, v16
	;; [unrolled: 1-line block ×5, first 2 shown]
	ds_write_b32 v17, v2
	ds_write_b32 v18, v1
	;; [unrolled: 1-line block ×5, first 2 shown]
.LBB106_60:
	s_or_b32 exec_lo, exec_lo, s0
	v_lshlrev_b32_e32 v12, 2, v12
	s_mov_b32 s1, exec_lo
	v_cmp_eq_u32_e32 vcc_lo, 0, v48
	s_waitcnt lgkmcnt(0)
	s_barrier
	v_add3_u32 v12, 0x1a0, v15, v12
	buffer_gl0_inv
	v_cmpx_gt_u32_e32 64, v0
	s_cbranch_execz .LBB106_75
; %bb.61:
	s_and_saveexec_b32 s0, vcc_lo
	s_cbranch_execnz .LBB106_95
; %bb.62:
	s_or_b32 exec_lo, exec_lo, s0
	s_and_saveexec_b32 s0, vcc_lo
	s_cbranch_execnz .LBB106_96
.LBB106_63:
	s_or_b32 exec_lo, exec_lo, s0
	s_and_saveexec_b32 s0, vcc_lo
	s_cbranch_execnz .LBB106_97
.LBB106_64:
	s_or_b32 exec_lo, exec_lo, s0
	s_and_saveexec_b32 s0, vcc_lo
	s_cbranch_execnz .LBB106_98
.LBB106_65:
	s_or_b32 exec_lo, exec_lo, s0
	s_and_saveexec_b32 s0, vcc_lo
	s_cbranch_execnz .LBB106_99
.LBB106_66:
	s_or_b32 exec_lo, exec_lo, s0
	s_and_saveexec_b32 s0, vcc_lo
	s_cbranch_execnz .LBB106_100
.LBB106_67:
	s_or_b32 exec_lo, exec_lo, s0
	s_and_saveexec_b32 s0, vcc_lo
	s_cbranch_execnz .LBB106_101
.LBB106_68:
	s_or_b32 exec_lo, exec_lo, s0
	s_and_saveexec_b32 s0, vcc_lo
	s_cbranch_execnz .LBB106_102
.LBB106_69:
	s_or_b32 exec_lo, exec_lo, s0
	s_and_saveexec_b32 s0, vcc_lo
	s_cbranch_execnz .LBB106_103
.LBB106_70:
	s_or_b32 exec_lo, exec_lo, s0
	s_and_saveexec_b32 s0, vcc_lo
	s_cbranch_execnz .LBB106_104
.LBB106_71:
	s_or_b32 exec_lo, exec_lo, s0
	s_and_saveexec_b32 s0, vcc_lo
	s_cbranch_execnz .LBB106_105
.LBB106_72:
	s_or_b32 exec_lo, exec_lo, s0
	s_and_saveexec_b32 s0, vcc_lo
	s_cbranch_execz .LBB106_74
.LBB106_73:
	ds_read_b32 v15, v12 offset:704
	s_waitcnt lgkmcnt(0)
	v_add_f32_e32 v3, v3, v15
.LBB106_74:
	s_or_b32 exec_lo, exec_lo, s0
.LBB106_75:
	s_or_b32 exec_lo, exec_lo, s1
	v_and_b32_e32 v15, 0x3e1, v0
	s_mov_b32 s1, exec_lo
	s_barrier
	buffer_gl0_inv
	v_cmpx_eq_u32_e32 32, v15
	s_cbranch_execz .LBB106_77
; %bb.76:
	ds_write2_b32 v14, v13, v11 offset1:16
	ds_write2_b32 v14, v10, v9 offset0:32 offset1:48
	ds_write2_b32 v14, v8, v7 offset0:64 offset1:80
	;; [unrolled: 1-line block ×5, first 2 shown]
.LBB106_77:
	s_or_b32 exec_lo, exec_lo, s1
	s_mov_b32 s1, exec_lo
	s_waitcnt lgkmcnt(0)
	s_barrier
	buffer_gl0_inv
	v_cmpx_gt_u32_e32 32, v0
	s_cbranch_execz .LBB106_92
; %bb.78:
	s_and_saveexec_b32 s0, vcc_lo
	s_cbranch_execnz .LBB106_106
; %bb.79:
	s_or_b32 exec_lo, exec_lo, s0
	s_and_saveexec_b32 s0, vcc_lo
	s_cbranch_execnz .LBB106_107
.LBB106_80:
	s_or_b32 exec_lo, exec_lo, s0
	s_and_saveexec_b32 s0, vcc_lo
	s_cbranch_execnz .LBB106_108
.LBB106_81:
	s_or_b32 exec_lo, exec_lo, s0
	s_and_saveexec_b32 s0, vcc_lo
	s_cbranch_execnz .LBB106_109
.LBB106_82:
	s_or_b32 exec_lo, exec_lo, s0
	s_and_saveexec_b32 s0, vcc_lo
	s_cbranch_execnz .LBB106_110
.LBB106_83:
	s_or_b32 exec_lo, exec_lo, s0
	s_and_saveexec_b32 s0, vcc_lo
	s_cbranch_execnz .LBB106_111
.LBB106_84:
	s_or_b32 exec_lo, exec_lo, s0
	s_and_saveexec_b32 s0, vcc_lo
	s_cbranch_execnz .LBB106_112
.LBB106_85:
	s_or_b32 exec_lo, exec_lo, s0
	s_and_saveexec_b32 s0, vcc_lo
	s_cbranch_execnz .LBB106_113
.LBB106_86:
	s_or_b32 exec_lo, exec_lo, s0
	s_and_saveexec_b32 s0, vcc_lo
	s_cbranch_execnz .LBB106_114
.LBB106_87:
	s_or_b32 exec_lo, exec_lo, s0
	s_and_saveexec_b32 s0, vcc_lo
	s_cbranch_execnz .LBB106_115
.LBB106_88:
	s_or_b32 exec_lo, exec_lo, s0
	s_and_saveexec_b32 s0, vcc_lo
	s_cbranch_execnz .LBB106_116
.LBB106_89:
	s_or_b32 exec_lo, exec_lo, s0
	s_and_saveexec_b32 s0, vcc_lo
	s_cbranch_execz .LBB106_91
.LBB106_90:
	ds_read_b32 v0, v12 offset:704
	s_waitcnt lgkmcnt(0)
	v_add_f32_e32 v3, v3, v0
.LBB106_91:
	s_or_b32 exec_lo, exec_lo, s0
.LBB106_92:
	s_or_b32 exec_lo, exec_lo, s1
	s_barrier
	buffer_gl0_inv
	s_mov_b32 s0, exec_lo
	v_cmpx_eq_u32_e32 0, v15
	s_cbranch_execz .LBB106_94
; %bb.93:
	s_mul_i32 s0, s2, 0xc0
	s_mul_i32 s2, s7, s10
	s_ashr_i32 s1, s0, 31
	v_lshlrev_b32_e32 v0, 1, v47
	s_lshl_b64 s[0:1], s[0:1], 1
	;;#ASMSTART
	v_cvt_f16_f32 v12, v13;

	;;#ASMEND
	s_add_u32 s4, s20, s0
	s_addc_u32 s5, s21, s1
	s_ashr_i32 s3, s2, 31
	s_lshl_b64 s[0:1], s[2:3], 1
	s_mul_i32 s2, s8, 0xc0
	s_add_u32 s4, s4, s0
	s_addc_u32 s5, s5, s1
	s_ashr_i32 s3, s2, 31
	s_lshl_b64 s[0:1], s[2:3], 1
	s_add_u32 s0, s4, s0
	s_addc_u32 s1, s5, s1
	global_store_short v0, v12, s[0:1]
	;;#ASMSTART
	v_cvt_f16_f32 v11, v11;

	;;#ASMEND
	global_store_short v0, v11, s[0:1] offset:32
	;;#ASMSTART
	v_cvt_f16_f32 v10, v10;

	;;#ASMEND
	global_store_short v0, v10, s[0:1] offset:64
	;; [unrolled: 5-line block ×11, first 2 shown]
.LBB106_94:
	s_endpgm
.LBB106_95:
	ds_read_b32 v15, v12
	s_waitcnt lgkmcnt(0)
	v_add_f32_e32 v13, v13, v15
	s_or_b32 exec_lo, exec_lo, s0
	s_and_saveexec_b32 s0, vcc_lo
	s_cbranch_execz .LBB106_63
.LBB106_96:
	ds_read_b32 v15, v12 offset:64
	s_waitcnt lgkmcnt(0)
	v_add_f32_e32 v11, v11, v15
	s_or_b32 exec_lo, exec_lo, s0
	s_and_saveexec_b32 s0, vcc_lo
	s_cbranch_execz .LBB106_64
.LBB106_97:
	ds_read_b32 v15, v12 offset:128
	s_waitcnt lgkmcnt(0)
	v_add_f32_e32 v10, v10, v15
	s_or_b32 exec_lo, exec_lo, s0
	s_and_saveexec_b32 s0, vcc_lo
	s_cbranch_execz .LBB106_65
.LBB106_98:
	ds_read_b32 v15, v12 offset:192
	s_waitcnt lgkmcnt(0)
	v_add_f32_e32 v9, v9, v15
	s_or_b32 exec_lo, exec_lo, s0
	s_and_saveexec_b32 s0, vcc_lo
	s_cbranch_execz .LBB106_66
.LBB106_99:
	ds_read_b32 v15, v12 offset:256
	s_waitcnt lgkmcnt(0)
	v_add_f32_e32 v8, v8, v15
	s_or_b32 exec_lo, exec_lo, s0
	s_and_saveexec_b32 s0, vcc_lo
	s_cbranch_execz .LBB106_67
.LBB106_100:
	ds_read_b32 v15, v12 offset:320
	s_waitcnt lgkmcnt(0)
	v_add_f32_e32 v7, v7, v15
	s_or_b32 exec_lo, exec_lo, s0
	s_and_saveexec_b32 s0, vcc_lo
	s_cbranch_execz .LBB106_68
.LBB106_101:
	ds_read_b32 v15, v12 offset:384
	s_waitcnt lgkmcnt(0)
	v_add_f32_e32 v5, v5, v15
	s_or_b32 exec_lo, exec_lo, s0
	s_and_saveexec_b32 s0, vcc_lo
	s_cbranch_execz .LBB106_69
.LBB106_102:
	ds_read_b32 v15, v12 offset:448
	s_waitcnt lgkmcnt(0)
	v_add_f32_e32 v2, v2, v15
	s_or_b32 exec_lo, exec_lo, s0
	s_and_saveexec_b32 s0, vcc_lo
	s_cbranch_execz .LBB106_70
.LBB106_103:
	ds_read_b32 v15, v12 offset:512
	s_waitcnt lgkmcnt(0)
	v_add_f32_e32 v1, v1, v15
	s_or_b32 exec_lo, exec_lo, s0
	s_and_saveexec_b32 s0, vcc_lo
	s_cbranch_execz .LBB106_71
.LBB106_104:
	ds_read_b32 v15, v12 offset:576
	s_waitcnt lgkmcnt(0)
	v_add_f32_e32 v4, v4, v15
	s_or_b32 exec_lo, exec_lo, s0
	s_and_saveexec_b32 s0, vcc_lo
	s_cbranch_execz .LBB106_72
.LBB106_105:
	ds_read_b32 v15, v12 offset:640
	s_waitcnt lgkmcnt(0)
	v_add_f32_e32 v6, v6, v15
	s_or_b32 exec_lo, exec_lo, s0
	s_and_saveexec_b32 s0, vcc_lo
	s_cbranch_execnz .LBB106_73
	s_branch .LBB106_74
.LBB106_106:
	ds_read_b32 v0, v12
	s_waitcnt lgkmcnt(0)
	v_add_f32_e32 v13, v13, v0
	s_or_b32 exec_lo, exec_lo, s0
	s_and_saveexec_b32 s0, vcc_lo
	s_cbranch_execz .LBB106_80
.LBB106_107:
	ds_read_b32 v0, v12 offset:64
	s_waitcnt lgkmcnt(0)
	v_add_f32_e32 v11, v11, v0
	s_or_b32 exec_lo, exec_lo, s0
	s_and_saveexec_b32 s0, vcc_lo
	s_cbranch_execz .LBB106_81
.LBB106_108:
	ds_read_b32 v0, v12 offset:128
	s_waitcnt lgkmcnt(0)
	v_add_f32_e32 v10, v10, v0
	s_or_b32 exec_lo, exec_lo, s0
	s_and_saveexec_b32 s0, vcc_lo
	s_cbranch_execz .LBB106_82
.LBB106_109:
	ds_read_b32 v0, v12 offset:192
	s_waitcnt lgkmcnt(0)
	v_add_f32_e32 v9, v9, v0
	s_or_b32 exec_lo, exec_lo, s0
	s_and_saveexec_b32 s0, vcc_lo
	s_cbranch_execz .LBB106_83
.LBB106_110:
	ds_read_b32 v0, v12 offset:256
	s_waitcnt lgkmcnt(0)
	v_add_f32_e32 v8, v8, v0
	s_or_b32 exec_lo, exec_lo, s0
	s_and_saveexec_b32 s0, vcc_lo
	s_cbranch_execz .LBB106_84
.LBB106_111:
	ds_read_b32 v0, v12 offset:320
	s_waitcnt lgkmcnt(0)
	v_add_f32_e32 v7, v7, v0
	s_or_b32 exec_lo, exec_lo, s0
	s_and_saveexec_b32 s0, vcc_lo
	s_cbranch_execz .LBB106_85
.LBB106_112:
	ds_read_b32 v0, v12 offset:384
	s_waitcnt lgkmcnt(0)
	v_add_f32_e32 v5, v5, v0
	s_or_b32 exec_lo, exec_lo, s0
	s_and_saveexec_b32 s0, vcc_lo
	s_cbranch_execz .LBB106_86
.LBB106_113:
	ds_read_b32 v0, v12 offset:448
	s_waitcnt lgkmcnt(0)
	v_add_f32_e32 v2, v2, v0
	s_or_b32 exec_lo, exec_lo, s0
	s_and_saveexec_b32 s0, vcc_lo
	s_cbranch_execz .LBB106_87
.LBB106_114:
	ds_read_b32 v0, v12 offset:512
	s_waitcnt lgkmcnt(0)
	v_add_f32_e32 v1, v1, v0
	s_or_b32 exec_lo, exec_lo, s0
	s_and_saveexec_b32 s0, vcc_lo
	s_cbranch_execz .LBB106_88
.LBB106_115:
	ds_read_b32 v0, v12 offset:576
	s_waitcnt lgkmcnt(0)
	v_add_f32_e32 v4, v4, v0
	s_or_b32 exec_lo, exec_lo, s0
	s_and_saveexec_b32 s0, vcc_lo
	s_cbranch_execz .LBB106_89
.LBB106_116:
	ds_read_b32 v0, v12 offset:640
	s_waitcnt lgkmcnt(0)
	v_add_f32_e32 v6, v6, v0
	s_or_b32 exec_lo, exec_lo, s0
	s_and_saveexec_b32 s0, vcc_lo
	s_cbranch_execnz .LBB106_90
	s_branch .LBB106_91
	.section	.rodata,"a",@progbits
	.p2align	6, 0x0
	.amdhsa_kernel _ZN4vllm25paged_attention_v2_kernelIttLi192ELi16ELi128ELNS_18Fp8KVCacheDataTypeE0ELb0ELi512EEEvPfS2_PT_PKS3_PKT0_S9_ifPKiSB_iPKfiiiSD_SD_iiiii
		.amdhsa_group_segment_fixed_size 416
		.amdhsa_private_segment_fixed_size 0
		.amdhsa_kernarg_size 400
		.amdhsa_user_sgpr_count 6
		.amdhsa_user_sgpr_private_segment_buffer 1
		.amdhsa_user_sgpr_dispatch_ptr 0
		.amdhsa_user_sgpr_queue_ptr 0
		.amdhsa_user_sgpr_kernarg_segment_ptr 1
		.amdhsa_user_sgpr_dispatch_id 0
		.amdhsa_user_sgpr_flat_scratch_init 0
		.amdhsa_user_sgpr_private_segment_size 0
		.amdhsa_wavefront_size32 1
		.amdhsa_uses_dynamic_stack 0
		.amdhsa_system_sgpr_private_segment_wavefront_offset 0
		.amdhsa_system_sgpr_workgroup_id_x 1
		.amdhsa_system_sgpr_workgroup_id_y 1
		.amdhsa_system_sgpr_workgroup_id_z 1
		.amdhsa_system_sgpr_workgroup_info 0
		.amdhsa_system_vgpr_workitem_id 0
		.amdhsa_next_free_vgpr 97
		.amdhsa_next_free_sgpr 36
		.amdhsa_reserve_vcc 1
		.amdhsa_reserve_flat_scratch 0
		.amdhsa_float_round_mode_32 0
		.amdhsa_float_round_mode_16_64 0
		.amdhsa_float_denorm_mode_32 3
		.amdhsa_float_denorm_mode_16_64 3
		.amdhsa_dx10_clamp 1
		.amdhsa_ieee_mode 1
		.amdhsa_fp16_overflow 0
		.amdhsa_workgroup_processor_mode 1
		.amdhsa_memory_ordered 1
		.amdhsa_forward_progress 1
		.amdhsa_shared_vgpr_count 0
		.amdhsa_exception_fp_ieee_invalid_op 0
		.amdhsa_exception_fp_denorm_src 0
		.amdhsa_exception_fp_ieee_div_zero 0
		.amdhsa_exception_fp_ieee_overflow 0
		.amdhsa_exception_fp_ieee_underflow 0
		.amdhsa_exception_fp_ieee_inexact 0
		.amdhsa_exception_int_div_zero 0
	.end_amdhsa_kernel
	.section	.text._ZN4vllm25paged_attention_v2_kernelIttLi192ELi16ELi128ELNS_18Fp8KVCacheDataTypeE0ELb0ELi512EEEvPfS2_PT_PKS3_PKT0_S9_ifPKiSB_iPKfiiiSD_SD_iiiii,"axG",@progbits,_ZN4vllm25paged_attention_v2_kernelIttLi192ELi16ELi128ELNS_18Fp8KVCacheDataTypeE0ELb0ELi512EEEvPfS2_PT_PKS3_PKT0_S9_ifPKiSB_iPKfiiiSD_SD_iiiii,comdat
.Lfunc_end106:
	.size	_ZN4vllm25paged_attention_v2_kernelIttLi192ELi16ELi128ELNS_18Fp8KVCacheDataTypeE0ELb0ELi512EEEvPfS2_PT_PKS3_PKT0_S9_ifPKiSB_iPKfiiiSD_SD_iiiii, .Lfunc_end106-_ZN4vllm25paged_attention_v2_kernelIttLi192ELi16ELi128ELNS_18Fp8KVCacheDataTypeE0ELb0ELi512EEEvPfS2_PT_PKS3_PKT0_S9_ifPKiSB_iPKfiiiSD_SD_iiiii
                                        ; -- End function
	.set _ZN4vllm25paged_attention_v2_kernelIttLi192ELi16ELi128ELNS_18Fp8KVCacheDataTypeE0ELb0ELi512EEEvPfS2_PT_PKS3_PKT0_S9_ifPKiSB_iPKfiiiSD_SD_iiiii.num_vgpr, 97
	.set _ZN4vllm25paged_attention_v2_kernelIttLi192ELi16ELi128ELNS_18Fp8KVCacheDataTypeE0ELb0ELi512EEEvPfS2_PT_PKS3_PKT0_S9_ifPKiSB_iPKfiiiSD_SD_iiiii.num_agpr, 0
	.set _ZN4vllm25paged_attention_v2_kernelIttLi192ELi16ELi128ELNS_18Fp8KVCacheDataTypeE0ELb0ELi512EEEvPfS2_PT_PKS3_PKT0_S9_ifPKiSB_iPKfiiiSD_SD_iiiii.numbered_sgpr, 36
	.set _ZN4vllm25paged_attention_v2_kernelIttLi192ELi16ELi128ELNS_18Fp8KVCacheDataTypeE0ELb0ELi512EEEvPfS2_PT_PKS3_PKT0_S9_ifPKiSB_iPKfiiiSD_SD_iiiii.num_named_barrier, 0
	.set _ZN4vllm25paged_attention_v2_kernelIttLi192ELi16ELi128ELNS_18Fp8KVCacheDataTypeE0ELb0ELi512EEEvPfS2_PT_PKS3_PKT0_S9_ifPKiSB_iPKfiiiSD_SD_iiiii.private_seg_size, 0
	.set _ZN4vllm25paged_attention_v2_kernelIttLi192ELi16ELi128ELNS_18Fp8KVCacheDataTypeE0ELb0ELi512EEEvPfS2_PT_PKS3_PKT0_S9_ifPKiSB_iPKfiiiSD_SD_iiiii.uses_vcc, 1
	.set _ZN4vllm25paged_attention_v2_kernelIttLi192ELi16ELi128ELNS_18Fp8KVCacheDataTypeE0ELb0ELi512EEEvPfS2_PT_PKS3_PKT0_S9_ifPKiSB_iPKfiiiSD_SD_iiiii.uses_flat_scratch, 0
	.set _ZN4vllm25paged_attention_v2_kernelIttLi192ELi16ELi128ELNS_18Fp8KVCacheDataTypeE0ELb0ELi512EEEvPfS2_PT_PKS3_PKT0_S9_ifPKiSB_iPKfiiiSD_SD_iiiii.has_dyn_sized_stack, 0
	.set _ZN4vllm25paged_attention_v2_kernelIttLi192ELi16ELi128ELNS_18Fp8KVCacheDataTypeE0ELb0ELi512EEEvPfS2_PT_PKS3_PKT0_S9_ifPKiSB_iPKfiiiSD_SD_iiiii.has_recursion, 0
	.set _ZN4vllm25paged_attention_v2_kernelIttLi192ELi16ELi128ELNS_18Fp8KVCacheDataTypeE0ELb0ELi512EEEvPfS2_PT_PKS3_PKT0_S9_ifPKiSB_iPKfiiiSD_SD_iiiii.has_indirect_call, 0
	.section	.AMDGPU.csdata,"",@progbits
; Kernel info:
; codeLenInByte = 15240
; TotalNumSgprs: 38
; NumVgprs: 97
; ScratchSize: 0
; MemoryBound: 0
; FloatMode: 240
; IeeeMode: 1
; LDSByteSize: 416 bytes/workgroup (compile time only)
; SGPRBlocks: 0
; VGPRBlocks: 12
; NumSGPRsForWavesPerEU: 38
; NumVGPRsForWavesPerEU: 97
; Occupancy: 9
; WaveLimiterHint : 1
; COMPUTE_PGM_RSRC2:SCRATCH_EN: 0
; COMPUTE_PGM_RSRC2:USER_SGPR: 6
; COMPUTE_PGM_RSRC2:TRAP_HANDLER: 0
; COMPUTE_PGM_RSRC2:TGID_X_EN: 1
; COMPUTE_PGM_RSRC2:TGID_Y_EN: 1
; COMPUTE_PGM_RSRC2:TGID_Z_EN: 1
; COMPUTE_PGM_RSRC2:TIDIG_COMP_CNT: 0
	.section	.text._ZN4vllm25paged_attention_v2_kernelIttLi256ELi16ELi128ELNS_18Fp8KVCacheDataTypeE0ELb0ELi512EEEvPfS2_PT_PKS3_PKT0_S9_ifPKiSB_iPKfiiiSD_SD_iiiii,"axG",@progbits,_ZN4vllm25paged_attention_v2_kernelIttLi256ELi16ELi128ELNS_18Fp8KVCacheDataTypeE0ELb0ELi512EEEvPfS2_PT_PKS3_PKT0_S9_ifPKiSB_iPKfiiiSD_SD_iiiii,comdat
	.protected	_ZN4vllm25paged_attention_v2_kernelIttLi256ELi16ELi128ELNS_18Fp8KVCacheDataTypeE0ELb0ELi512EEEvPfS2_PT_PKS3_PKT0_S9_ifPKiSB_iPKfiiiSD_SD_iiiii ; -- Begin function _ZN4vllm25paged_attention_v2_kernelIttLi256ELi16ELi128ELNS_18Fp8KVCacheDataTypeE0ELb0ELi512EEEvPfS2_PT_PKS3_PKT0_S9_ifPKiSB_iPKfiiiSD_SD_iiiii
	.globl	_ZN4vllm25paged_attention_v2_kernelIttLi256ELi16ELi128ELNS_18Fp8KVCacheDataTypeE0ELb0ELi512EEEvPfS2_PT_PKS3_PKT0_S9_ifPKiSB_iPKfiiiSD_SD_iiiii
	.p2align	8
	.type	_ZN4vllm25paged_attention_v2_kernelIttLi256ELi16ELi128ELNS_18Fp8KVCacheDataTypeE0ELb0ELi512EEEvPfS2_PT_PKS3_PKT0_S9_ifPKiSB_iPKfiiiSD_SD_iiiii,@function
_ZN4vllm25paged_attention_v2_kernelIttLi256ELi16ELi128ELNS_18Fp8KVCacheDataTypeE0ELb0ELi512EEEvPfS2_PT_PKS3_PKT0_S9_ifPKiSB_iPKfiiiSD_SD_iiiii: ; @_ZN4vllm25paged_attention_v2_kernelIttLi256ELi16ELi128ELNS_18Fp8KVCacheDataTypeE0ELb0ELi512EEEvPfS2_PT_PKS3_PKT0_S9_ifPKiSB_iPKfiiiSD_SD_iiiii
; %bb.0:
	s_load_dwordx2 s[0:1], s[4:5], 0x40
	s_mov_b32 s22, s7
	s_ashr_i32 s23, s7, 31
	s_lshl_b64 s[2:3], s[22:23], 2
	s_waitcnt lgkmcnt(0)
	s_add_u32 s0, s0, s2
	s_addc_u32 s1, s1, s3
	s_lshl_b32 s33, s8, 9
	s_load_dword s23, s[0:1], 0x0
	s_waitcnt lgkmcnt(0)
	s_cmp_ge_i32 s33, s23
	s_cbranch_scc1 .LBB107_110
; %bb.1:
	s_clause 0x1
	s_load_dword s9, s[4:5], 0x90
	s_load_dwordx2 s[30:31], s[4:5], 0x30
	s_mov_b32 s34, 0
	s_waitcnt lgkmcnt(0)
	s_abs_i32 s3, s9
	s_abs_i32 s0, s30
	v_cvt_f32_u32_e32 v1, s0
	s_sub_i32 s2, 0, s0
	v_rcp_iflag_f32_e32 v1, v1
	v_mul_f32_e32 v1, 0x4f7ffffe, v1
	v_cvt_u32_f32_e32 v1, v1
	v_readfirstlane_b32 s1, v1
	s_mul_i32 s2, s2, s1
	s_mul_hi_u32 s2, s1, s2
	s_add_i32 s1, s1, s2
	s_xor_b32 s2, s9, s30
	s_mul_hi_u32 s1, s3, s1
	s_ashr_i32 s2, s2, 31
	s_mul_i32 s7, s1, s0
	s_sub_i32 s3, s3, s7
	s_add_i32 s7, s1, 1
	s_sub_i32 s10, s3, s0
	s_cmp_ge_u32 s3, s0
	s_cselect_b32 s1, s7, s1
	s_cselect_b32 s3, s10, s3
	s_add_i32 s7, s1, 1
	s_cmp_ge_u32 s3, s0
	s_cselect_b32 s0, s7, s1
	s_abs_i32 s16, s6
	s_xor_b32 s0, s0, s2
	s_sub_i32 s10, s0, s2
	s_load_dwordx2 s[0:1], s[4:5], 0x50
	s_abs_i32 s2, s10
	v_cvt_f32_u32_e32 v1, s2
	s_sub_i32 s7, 0, s2
	v_rcp_iflag_f32_e32 v1, v1
	v_mul_f32_e32 v1, 0x4f7ffffe, v1
	v_cvt_u32_f32_e32 v1, v1
	v_readfirstlane_b32 s3, v1
	s_mul_i32 s7, s7, s3
	s_mul_hi_u32 s7, s3, s7
	s_add_i32 s3, s3, s7
	s_waitcnt lgkmcnt(0)
	s_cmp_eq_u64 s[0:1], 0
	s_mul_hi_u32 s3, s16, s3
	s_cbranch_scc1 .LBB107_3
; %bb.2:
	s_ashr_i32 s7, s6, 31
	s_lshl_b64 s[12:13], s[6:7], 2
	s_add_u32 s0, s0, s12
	s_addc_u32 s1, s1, s13
	s_load_dword s34, s[0:1], 0x0
.LBB107_3:
	s_load_dwordx4 s[12:15], s[4:5], 0x58
	v_lshrrev_b32_e32 v63, 1, v0
	v_and_b32_e32 v64, 1, v0
	v_cmp_gt_u32_e64 s0, 64, v0
	v_lshlrev_b32_e32 v66, 3, v0
	s_ashr_i32 s1, s6, 31
	s_ashr_i32 s7, s10, 31
	s_lshl_b32 s10, s6, 8
	s_waitcnt lgkmcnt(0)
	s_and_saveexec_b32 s15, s0
	s_cbranch_execz .LBB107_5
; %bb.4:
	s_load_dwordx2 s[18:19], s[4:5], 0x18
	s_mul_i32 s20, s12, s22
	v_lshlrev_b32_e32 v3, 3, v63
	s_ashr_i32 s21, s20, 31
	s_lshl_b64 s[20:21], s[20:21], 1
	v_lshl_add_u32 v3, v64, 8, v3
	s_waitcnt lgkmcnt(0)
	s_add_u32 s12, s18, s20
	s_addc_u32 s17, s19, s21
	s_ashr_i32 s11, s10, 31
	s_lshl_b64 s[18:19], s[10:11], 1
	s_add_u32 s18, s12, s18
	s_addc_u32 s19, s17, s19
	global_load_dwordx2 v[1:2], v66, s[18:19]
	s_waitcnt vmcnt(0)
	ds_write_b64 v3, v[1:2]
.LBB107_5:
	s_or_b32 exec_lo, exec_lo, s15
	s_add_i32 s11, s23, 15
	s_lshl_b32 s30, s8, 5
	s_ashr_i32 s12, s11, 31
	s_xor_b32 s1, s1, s7
	s_lshr_b32 s12, s12, 28
	s_add_i32 s7, s30, 32
	s_add_i32 s11, s11, s12
	s_mul_i32 s15, s3, s2
	s_ashr_i32 s12, s11, 4
	s_sub_i32 s15, s16, s15
	s_min_i32 s11, s7, s12
	s_clause 0x1
	s_load_dwordx2 s[24:25], s[4:5], 0x38
	s_load_dword s7, s[4:5], 0x48
	s_add_i32 s16, s3, 1
	s_sub_i32 s17, s15, s2
	s_cmp_ge_u32 s15, s2
	v_lshrrev_b32_e32 v65, 5, v0
	s_cselect_b32 s3, s16, s3
	s_cselect_b32 s15, s17, s15
	s_add_i32 s16, s3, 1
	s_cmp_ge_u32 s15, s2
	v_or_b32_e32 v5, s30, v65
	s_cselect_b32 s2, s16, s3
	v_mbcnt_lo_u32_b32 v67, -1, 0
	s_xor_b32 s2, s2, s1
	s_mov_b32 s3, exec_lo
	s_sub_i32 s2, s2, s1
	v_cmp_gt_i32_e64 s1, s11, v5
	s_waitcnt lgkmcnt(0)
	s_barrier
	buffer_gl0_inv
                                        ; implicit-def: $vgpr68
                                        ; implicit-def: $vgpr69
	s_mul_i32 s26, s7, s22
	s_ashr_i32 s27, s26, 31
	v_cmpx_le_i32_e64 s11, v5
	s_xor_b32 s3, exec_lo, s3
; %bb.6:
	v_mov_b32_e32 v68, 0
	v_mbcnt_lo_u32_b32 v67, -1, 0
	v_mov_b32_e32 v69, 32
; %bb.7:
	s_or_saveexec_b32 s35, s3
	s_clause 0x3
	s_load_dwordx4 s[16:19], s[4:5], 0x0
	s_load_dwordx2 s[20:21], s[4:5], 0x10
	s_load_dwordx2 s[28:29], s[4:5], 0x28
	s_load_dword s7, s[4:5], 0x98
	v_mov_b32_e32 v70, 0xff7fffff
	v_ashrrev_i32_e32 v6, 31, v5
	s_mul_i32 s14, s2, s14
	s_xor_b32 exec_lo, exec_lo, s35
	s_cbranch_execz .LBB107_13
; %bb.8:
	s_load_dwordx2 s[4:5], s[4:5], 0x20
	v_bfe_u32 v3, v0, 1, 4
	s_ashr_i32 s15, s14, 31
	v_lshlrev_b32_e32 v7, 4, v65
	s_lshl_b64 s[36:37], s[14:15], 1
	v_and_b32_e32 v4, 8, v66
	v_lshlrev_b32_e32 v9, 4, v3
	v_lshlrev_b32_e32 v1, 2, v3
	v_add3_u32 v72, s33, v7, v3
	v_mov_b32_e32 v68, 0
	v_lshlrev_b32_e32 v71, 8, v64
	v_cmp_neq_f32_e64 s2, s34, 0
	v_lshl_or_b32 v8, v65, 6, v1
	v_lshlrev_b64 v[1:2], 2, v[5:6]
	v_mov_b32_e32 v70, 0xff7fffff
	v_xor_b32_e32 v76, 1, v67
	v_mov_b32_e32 v69, 32
	v_add_nc_u32_e32 v73, 0x220, v8
	v_mov_b32_e32 v77, v5
	v_cmp_eq_u32_e32 vcc_lo, 0, v64
	s_waitcnt lgkmcnt(0)
	s_add_u32 s3, s4, s36
	s_addc_u32 s4, s5, s37
	v_add_co_u32 v3, s3, s3, v9
	v_add_co_ci_u32_e64 v7, null, s4, 0, s3
	s_lshl_b64 s[36:37], s[26:27], 2
	s_sub_i32 s5, 1, s23
	s_add_u32 s4, s24, s36
	v_add_co_u32 v74, s3, v3, v4
	v_add_co_ci_u32_e64 v75, null, 0, v7, s3
	s_addc_u32 s15, s25, s37
	v_add_co_u32 v1, s3, s4, v1
	v_add_co_ci_u32_e64 v2, null, s15, v2, s3
	s_mov_b32 s36, s13
	s_mov_b32 s15, 0
	s_branch .LBB107_10
.LBB107_9:                              ;   in Loop: Header=BB107_10 Depth=1
	s_or_b32 exec_lo, exec_lo, s4
	v_add_nc_u32_e32 v77, 4, v77
	v_add_co_u32 v1, s4, v1, 16
	v_add_nc_u32_e32 v72, 64, v72
	v_add_nc_u32_e32 v73, 0x100, v73
	v_cmp_le_i32_e64 s3, s11, v77
	v_add_co_ci_u32_e64 v2, null, 0, v2, s4
	s_or_b32 s15, s3, s15
	s_andn2_b32 exec_lo, exec_lo, s15
	s_cbranch_execz .LBB107_12
.LBB107_10:                             ; =>This Inner Loop Header: Depth=1
	global_load_dword v3, v[1:2], off
	s_waitcnt vmcnt(0) lgkmcnt(0)
	v_mad_i64_i32 v[3:4], null, v3, s36, 0
	v_lshlrev_b64 v[3:4], 1, v[3:4]
	v_add_co_u32 v3, s3, v74, v3
	v_add_co_ci_u32_e64 v4, null, v75, v4, s3
	s_clause 0x7
	global_load_dwordx2 v[78:79], v[3:4], off
	global_load_dwordx2 v[80:81], v[3:4], off offset:256
	global_load_dwordx2 v[82:83], v[3:4], off offset:512
	;; [unrolled: 1-line block ×7, first 2 shown]
	v_add_co_u32 v7, s3, v3, 0x1000
	v_add_co_ci_u32_e64 v8, null, 0, v4, s3
	v_add_co_u32 v11, s3, 0x800, v3
	v_add_co_ci_u32_e64 v12, null, 0, v4, s3
	global_load_dwordx2 v[51:52], v[7:8], off offset:-2048
	ds_read_b64 v[9:10], v71
	global_load_dwordx2 v[49:50], v[11:12], off offset:256
	s_waitcnt lgkmcnt(0)
	v_lshrrev_b32_e32 v85, 16, v9
	v_and_b32_e32 v84, 0xffff, v9
	v_add_co_u32 v9, s3, 0x1000, v3
	v_lshrrev_b32_e32 v89, 16, v10
	v_and_b32_e32 v88, 0xffff, v10
	v_add_co_ci_u32_e64 v10, null, 0, v4, s3
	v_add_co_u32 v3, s3, 0x1800, v3
	v_add_co_ci_u32_e64 v4, null, 0, v4, s3
	s_clause 0x15
	global_load_dwordx2 v[47:48], v[11:12], off offset:512
	global_load_dwordx2 v[45:46], v[11:12], off offset:768
	global_load_dwordx2 v[43:44], v[11:12], off offset:1024
	global_load_dwordx2 v[41:42], v[11:12], off offset:1280
	global_load_dwordx2 v[39:40], v[11:12], off offset:1536
	global_load_dwordx2 v[37:38], v[11:12], off offset:1792
	global_load_dwordx2 v[33:34], v[9:10], off offset:256
	global_load_dwordx2 v[31:32], v[9:10], off offset:512
	global_load_dwordx2 v[29:30], v[9:10], off offset:768
	global_load_dwordx2 v[27:28], v[9:10], off offset:1024
	global_load_dwordx2 v[25:26], v[9:10], off offset:1280
	global_load_dwordx2 v[23:24], v[9:10], off offset:1536
	global_load_dwordx2 v[21:22], v[9:10], off offset:1792
	global_load_dwordx2 v[19:20], v[3:4], off
	global_load_dwordx2 v[17:18], v[3:4], off offset:256
	global_load_dwordx2 v[15:16], v[3:4], off offset:512
	;; [unrolled: 1-line block ×5, first 2 shown]
	global_load_dwordx2 v[35:36], v[7:8], off
	global_load_dwordx2 v[7:8], v[3:4], off offset:1536
	global_load_dwordx2 v[3:4], v[3:4], off offset:1792
	;;#ASMSTART
	v_cvt_f32_f16 v84, v84;
	;;#ASMEND
	;;#ASMSTART
	v_cvt_f32_f16 v85, v85;
	;;#ASMEND
	v_cmp_gt_i32_e64 s3, 32, v76
	s_waitcnt vmcnt(31)
	v_and_b32_e32 v86, 0xffff, v78
	v_lshrrev_b32_e32 v78, 16, v78
	v_lshrrev_b32_e32 v91, 16, v79
	v_and_b32_e32 v79, 0xffff, v79
	;;#ASMSTART
	v_cvt_f32_f16 v86, v86;
	;;#ASMEND
	;;#ASMSTART
	v_cvt_f32_f16 v87, v78;
	;;#ASMEND
	;; [unrolled: 3-line block ×6, first 2 shown]
	ds_read_b64 v[78:79], v71 offset:8
	s_waitcnt vmcnt(30)
	v_and_b32_e32 v93, 0xffff, v80
	v_and_b32_e32 v97, 0xffff, v81
	v_lshrrev_b32_e32 v98, 16, v81
	v_lshrrev_b32_e32 v80, 16, v80
	s_waitcnt vmcnt(29)
	v_lshrrev_b32_e32 v101, 16, v82
	v_and_b32_e32 v104, 0xffff, v83
	v_lshrrev_b32_e32 v83, 16, v83
	s_waitcnt lgkmcnt(0)
	v_and_b32_e32 v92, 0xffff, v78
	v_lshrrev_b32_e32 v78, 16, v78
	v_and_b32_e32 v95, 0xffff, v79
	v_lshrrev_b32_e32 v79, 16, v79
	;;#ASMSTART
	v_cvt_f32_f16 v81, v92;
	;;#ASMEND
	;;#ASMSTART
	v_cvt_f32_f16 v92, v78;
	;;#ASMEND
	;; [unrolled: 3-line block ×8, first 2 shown]
	ds_read_b64 v[78:79], v71 offset:16
	v_and_b32_e32 v80, 0xffff, v82
	s_waitcnt lgkmcnt(0)
	v_and_b32_e32 v82, 0xffff, v78
	v_and_b32_e32 v102, 0xffff, v79
	v_lshrrev_b32_e32 v79, 16, v79
	v_lshrrev_b32_e32 v78, 16, v78
	;;#ASMSTART
	v_cvt_f32_f16 v82, v82;
	;;#ASMEND
	;;#ASMSTART
	v_cvt_f32_f16 v99, v78;
	;;#ASMEND
	;; [unrolled: 3-line block ×8, first 2 shown]
	ds_read_b64 v[79:80], v71 offset:24
	s_waitcnt vmcnt(28)
	v_and_b32_e32 v83, 0xffff, v61
	v_mul_f32_e32 v78, v81, v93
	v_lshrrev_b32_e32 v81, 16, v61
	v_mul_f32_e32 v61, v92, v94
	v_and_b32_e32 v93, 0xffff, v62
	v_lshrrev_b32_e32 v62, 16, v62
	v_fmac_f32_e32 v78, v84, v86
	v_fmac_f32_e32 v61, v85, v87
	;; [unrolled: 1-line block ×3, first 2 shown]
	s_waitcnt vmcnt(25)
	v_lshrrev_b32_e32 v100, 16, v56
	v_fmac_f32_e32 v61, v99, v101
	v_and_b32_e32 v99, 0xffff, v56
	s_waitcnt lgkmcnt(0)
	v_and_b32_e32 v84, 0xffff, v79
	v_lshrrev_b32_e32 v79, 16, v79
	v_and_b32_e32 v85, 0xffff, v80
	v_lshrrev_b32_e32 v80, 16, v80
	;;#ASMSTART
	v_cvt_f32_f16 v92, v84;
	;;#ASMEND
	;;#ASMSTART
	v_cvt_f32_f16 v106, v79;
	;;#ASMEND
	;; [unrolled: 3-line block ×8, first 2 shown]
	ds_read_b64 v[79:80], v71 offset:32
	v_and_b32_e32 v81, 0xffff, v59
	v_mul_f32_e32 v62, v95, v97
	v_lshrrev_b32_e32 v83, 16, v59
	v_mul_f32_e32 v59, v96, v98
	v_and_b32_e32 v93, 0xffff, v60
	v_lshrrev_b32_e32 v60, 16, v60
	v_fmac_f32_e32 v62, v88, v90
	v_fmac_f32_e32 v78, v92, v107
	;; [unrolled: 1-line block ×7, first 2 shown]
	s_waitcnt vmcnt(24)
	v_lshrrev_b32_e32 v86, 16, v53
	v_and_b32_e32 v87, 0xffff, v54
	s_waitcnt lgkmcnt(0)
	v_and_b32_e32 v88, 0xffff, v79
	v_lshrrev_b32_e32 v79, 16, v79
	v_and_b32_e32 v89, 0xffff, v80
	v_lshrrev_b32_e32 v80, 16, v80
	;;#ASMSTART
	v_cvt_f32_f16 v98, v88;
	;;#ASMEND
	;;#ASMSTART
	v_cvt_f32_f16 v95, v79;
	;;#ASMEND
	;; [unrolled: 3-line block ×8, first 2 shown]
	ds_read_b64 v[79:80], v71 offset:40
	v_and_b32_e32 v60, 0xffff, v57
	v_lshrrev_b32_e32 v57, 16, v57
	v_and_b32_e32 v88, 0xffff, v58
	v_lshrrev_b32_e32 v89, 16, v58
	v_fmac_f32_e32 v59, v84, v85
	v_lshrrev_b32_e32 v54, 16, v54
	v_fmac_f32_e32 v78, v98, v109
	v_fmac_f32_e32 v61, v95, v97
	v_fmac_f32_e32 v62, v94, v96
	v_fmac_f32_e32 v59, v81, v83
	s_waitcnt lgkmcnt(0)
	v_and_b32_e32 v58, 0xffff, v79
	v_lshrrev_b32_e32 v79, 16, v79
	v_lshrrev_b32_e32 v93, 16, v80
	v_and_b32_e32 v90, 0xffff, v80
	;;#ASMSTART
	v_cvt_f32_f16 v80, v58;
	;;#ASMEND
	;;#ASMSTART
	v_cvt_f32_f16 v58, v79;
	;;#ASMEND
	;; [unrolled: 3-line block ×8, first 2 shown]
	ds_read_b64 v[88:89], v71 offset:48
	v_and_b32_e32 v90, 0xffff, v55
	v_lshrrev_b32_e32 v55, 16, v55
	v_fmac_f32_e32 v78, v80, v82
	s_waitcnt vmcnt(22)
	v_and_b32_e32 v82, 0xffff, v50
	v_lshrrev_b32_e32 v50, 16, v50
	v_fmac_f32_e32 v61, v58, v79
	v_fmac_f32_e32 v62, v91, v93
	;; [unrolled: 1-line block ×3, first 2 shown]
	s_waitcnt vmcnt(21)
	v_and_b32_e32 v60, 0xffff, v48
	v_lshrrev_b32_e32 v48, 16, v48
	s_waitcnt lgkmcnt(0)
	v_and_b32_e32 v56, 0xffff, v88
	v_lshrrev_b32_e32 v88, 16, v88
	v_and_b32_e32 v101, 0xffff, v89
	v_lshrrev_b32_e32 v89, 16, v89
	;;#ASMSTART
	v_cvt_f32_f16 v92, v56;
	;;#ASMEND
	;;#ASMSTART
	v_cvt_f32_f16 v56, v88;
	;;#ASMEND
	;; [unrolled: 3-line block ×8, first 2 shown]
	ds_read_b64 v[88:89], v71 offset:56
	v_and_b32_e32 v99, 0xffff, v53
	v_and_b32_e32 v101, 0xffff, v52
	v_lshrrev_b32_e32 v52, 16, v52
	v_fmac_f32_e32 v61, v56, v90
	v_fmac_f32_e32 v78, v92, v106
	s_waitcnt vmcnt(20)
	v_lshrrev_b32_e32 v106, 16, v45
	v_fmac_f32_e32 v62, v103, v104
	v_and_b32_e32 v45, 0xffff, v45
	v_lshrrev_b32_e32 v103, 16, v46
	v_and_b32_e32 v46, 0xffff, v46
	v_fmac_f32_e32 v59, v55, v102
	s_waitcnt vmcnt(19)
	v_lshrrev_b32_e32 v104, 16, v43
	s_waitcnt lgkmcnt(0)
	v_and_b32_e32 v53, 0xffff, v88
	v_lshrrev_b32_e32 v84, 16, v88
	v_and_b32_e32 v88, 0xffff, v89
	v_lshrrev_b32_e32 v89, 16, v89
	;;#ASMSTART
	v_cvt_f32_f16 v53, v53;
	;;#ASMEND
	;;#ASMSTART
	v_cvt_f32_f16 v84, v84;
	;;#ASMEND
	;; [unrolled: 3-line block ×8, first 2 shown]
	ds_read_b64 v[98:99], v71 offset:64
	v_and_b32_e32 v54, 0xffff, v51
	v_lshrrev_b32_e32 v51, 16, v51
	v_fmac_f32_e32 v78, v53, v105
	v_fmac_f32_e32 v61, v84, v85
	v_and_b32_e32 v85, 0xffff, v43
	v_lshrrev_b32_e32 v105, 16, v44
	v_fmac_f32_e32 v62, v88, v89
	v_fmac_f32_e32 v59, v86, v87
	s_waitcnt lgkmcnt(0)
	v_lshrrev_b32_e32 v95, 16, v98
	v_and_b32_e32 v81, 0xffff, v99
	v_lshrrev_b32_e32 v83, 16, v99
	v_and_b32_e32 v94, 0xffff, v98
	;;#ASMSTART
	v_cvt_f32_f16 v98, v94;
	;;#ASMEND
	;;#ASMSTART
	v_cvt_f32_f16 v95, v95;
	;;#ASMEND
	;;#ASMSTART
	v_cvt_f32_f16 v99, v54;
	;;#ASMEND
	;;#ASMSTART
	v_cvt_f32_f16 v97, v51;
	;;#ASMEND
	;;#ASMSTART
	v_cvt_f32_f16 v100, v81;
	;;#ASMEND
	;;#ASMSTART
	v_cvt_f32_f16 v81, v83;
	;;#ASMEND
	;;#ASMSTART
	v_cvt_f32_f16 v101, v101;
	;;#ASMEND
	;;#ASMSTART
	v_cvt_f32_f16 v83, v52;
	;;#ASMEND
	ds_read_b64 v[51:52], v71 offset:72
	v_and_b32_e32 v54, 0xffff, v49
	v_lshrrev_b32_e32 v49, 16, v49
	v_fmac_f32_e32 v78, v98, v99
	s_waitcnt vmcnt(18)
	v_and_b32_e32 v98, 0xffff, v41
	v_lshrrev_b32_e32 v99, 16, v42
	v_fmac_f32_e32 v61, v95, v97
	v_fmac_f32_e32 v62, v100, v101
	;; [unrolled: 1-line block ×3, first 2 shown]
	s_waitcnt vmcnt(17)
	v_and_b32_e32 v83, 0xffff, v39
	s_waitcnt lgkmcnt(0)
	v_and_b32_e32 v58, 0xffff, v51
	v_and_b32_e32 v79, 0xffff, v52
	v_lshrrev_b32_e32 v51, 16, v51
	v_lshrrev_b32_e32 v52, 16, v52
	;;#ASMSTART
	v_cvt_f32_f16 v94, v58;
	;;#ASMEND
	;;#ASMSTART
	v_cvt_f32_f16 v91, v51;
	;;#ASMEND
	;; [unrolled: 3-line block ×8, first 2 shown]
	ds_read_b64 v[49:50], v71 offset:80
	v_and_b32_e32 v51, 0xffff, v47
	v_lshrrev_b32_e32 v47, 16, v47
	v_fmac_f32_e32 v78, v94, v96
	v_fmac_f32_e32 v61, v91, v93
	v_fmac_f32_e32 v62, v80, v82
	s_waitcnt vmcnt(16)
	v_and_b32_e32 v80, 0xffff, v37
	v_lshrrev_b32_e32 v82, 16, v38
	v_fmac_f32_e32 v59, v58, v79
	s_waitcnt lgkmcnt(0)
	v_and_b32_e32 v52, 0xffff, v49
	v_and_b32_e32 v54, 0xffff, v50
	v_lshrrev_b32_e32 v56, 16, v50
	v_lshrrev_b32_e32 v49, 16, v49
	;;#ASMSTART
	v_cvt_f32_f16 v90, v52;
	;;#ASMEND
	;;#ASMSTART
	v_cvt_f32_f16 v50, v49;
	;;#ASMEND
	;; [unrolled: 3-line block ×8, first 2 shown]
	ds_read_b64 v[47:48], v71 offset:88
	v_fmac_f32_e32 v78, v90, v92
	v_fmac_f32_e32 v61, v50, v52
	;; [unrolled: 1-line block ×4, first 2 shown]
	s_waitcnt lgkmcnt(0)
	v_and_b32_e32 v49, 0xffff, v47
	v_lshrrev_b32_e32 v47, 16, v47
	v_and_b32_e32 v53, 0xffff, v48
	v_lshrrev_b32_e32 v55, 16, v48
	;;#ASMSTART
	v_cvt_f32_f16 v49, v49;
	;;#ASMEND
	;;#ASMSTART
	v_cvt_f32_f16 v47, v47;
	;;#ASMEND
	;; [unrolled: 3-line block ×8, first 2 shown]
	ds_read_b64 v[102:103], v71 offset:96
	v_and_b32_e32 v106, 0xffff, v44
	v_fmac_f32_e32 v78, v49, v51
	v_fmac_f32_e32 v61, v47, v48
	;; [unrolled: 1-line block ×4, first 2 shown]
	s_waitcnt lgkmcnt(0)
	v_and_b32_e32 v43, 0xffff, v102
	v_lshrrev_b32_e32 v44, 16, v102
	v_and_b32_e32 v87, 0xffff, v103
	v_lshrrev_b32_e32 v89, 16, v103
	;;#ASMSTART
	v_cvt_f32_f16 v84, v43;
	;;#ASMEND
	;;#ASMSTART
	v_cvt_f32_f16 v43, v44;
	;;#ASMEND
	;;#ASMSTART
	v_cvt_f32_f16 v86, v85;
	;;#ASMEND
	;;#ASMSTART
	v_cvt_f32_f16 v44, v104;
	;;#ASMEND
	;;#ASMSTART
	v_cvt_f32_f16 v88, v87;
	;;#ASMEND
	;;#ASMSTART
	v_cvt_f32_f16 v85, v89;
	;;#ASMEND
	;;#ASMSTART
	v_cvt_f32_f16 v89, v106;
	;;#ASMEND
	;;#ASMSTART
	v_cvt_f32_f16 v87, v105;
	;;#ASMEND
	ds_read_b64 v[102:103], v71 offset:104
	v_lshrrev_b32_e32 v104, 16, v41
	v_and_b32_e32 v105, 0xffff, v42
	v_and_b32_e32 v106, 0xffff, v40
	v_fmac_f32_e32 v78, v84, v86
	v_fmac_f32_e32 v61, v43, v44
	;; [unrolled: 1-line block ×4, first 2 shown]
	s_waitcnt lgkmcnt(0)
	v_and_b32_e32 v41, 0xffff, v102
	v_lshrrev_b32_e32 v42, 16, v102
	v_and_b32_e32 v97, 0xffff, v103
	v_lshrrev_b32_e32 v101, 16, v103
	;;#ASMSTART
	v_cvt_f32_f16 v95, v41;
	;;#ASMEND
	;;#ASMSTART
	v_cvt_f32_f16 v41, v42;
	;;#ASMEND
	;; [unrolled: 3-line block ×8, first 2 shown]
	ds_read_b64 v[102:103], v71 offset:112
	v_lshrrev_b32_e32 v104, 16, v39
	v_lshrrev_b32_e32 v105, 16, v40
	v_fmac_f32_e32 v78, v95, v98
	v_fmac_f32_e32 v61, v41, v42
	;; [unrolled: 1-line block ×4, first 2 shown]
	s_waitcnt lgkmcnt(0)
	v_and_b32_e32 v39, 0xffff, v102
	v_lshrrev_b32_e32 v40, 16, v102
	v_and_b32_e32 v93, 0xffff, v103
	v_lshrrev_b32_e32 v96, 16, v103
	;;#ASMSTART
	v_cvt_f32_f16 v81, v39;
	;;#ASMEND
	;;#ASMSTART
	v_cvt_f32_f16 v39, v40;
	;;#ASMEND
	;; [unrolled: 3-line block ×8, first 2 shown]
	ds_read_b64 v[102:103], v71 offset:120
	v_lshrrev_b32_e32 v104, 16, v37
	v_and_b32_e32 v105, 0xffff, v38
	v_fmac_f32_e32 v78, v81, v91
	v_fmac_f32_e32 v61, v39, v40
	;; [unrolled: 1-line block ×4, first 2 shown]
	s_waitcnt vmcnt(10)
	v_lshrrev_b32_e32 v93, 16, v24
	v_and_b32_e32 v24, 0xffff, v24
	s_waitcnt lgkmcnt(0)
	v_and_b32_e32 v37, 0xffff, v102
	v_lshrrev_b32_e32 v38, 16, v102
	v_and_b32_e32 v79, 0xffff, v103
	v_lshrrev_b32_e32 v92, 16, v103
	;;#ASMSTART
	v_cvt_f32_f16 v58, v37;
	;;#ASMEND
	;;#ASMSTART
	v_cvt_f32_f16 v37, v38;
	;;#ASMEND
	;; [unrolled: 3-line block ×8, first 2 shown]
	ds_read_b64 v[102:103], v71 offset:128
	s_waitcnt vmcnt(2)
	v_lshrrev_b32_e32 v104, 16, v35
	v_and_b32_e32 v35, 0xffff, v35
	v_lshrrev_b32_e32 v105, 16, v36
	v_and_b32_e32 v36, 0xffff, v36
	v_fmac_f32_e32 v78, v58, v80
	v_fmac_f32_e32 v61, v37, v38
	;; [unrolled: 1-line block ×3, first 2 shown]
	v_lshrrev_b32_e32 v92, 16, v22
	v_and_b32_e32 v22, 0xffff, v22
	v_fmac_f32_e32 v59, v79, v82
	s_waitcnt lgkmcnt(0)
	v_and_b32_e32 v50, 0xffff, v102
	v_lshrrev_b32_e32 v52, 16, v102
	v_and_b32_e32 v57, 0xffff, v103
	v_lshrrev_b32_e32 v60, 16, v103
	;;#ASMSTART
	v_cvt_f32_f16 v50, v50;
	;;#ASMEND
	;;#ASMSTART
	v_cvt_f32_f16 v52, v52;
	;;#ASMEND
	;; [unrolled: 3-line block ×8, first 2 shown]
	ds_read_b64 v[35:36], v71 offset:136
	v_lshrrev_b32_e32 v104, 16, v33
	v_and_b32_e32 v33, 0xffff, v33
	v_lshrrev_b32_e32 v105, 16, v34
	v_and_b32_e32 v34, 0xffff, v34
	v_fmac_f32_e32 v78, v50, v54
	v_fmac_f32_e32 v61, v52, v56
	;; [unrolled: 1-line block ×4, first 2 shown]
	s_waitcnt lgkmcnt(0)
	v_and_b32_e32 v47, 0xffff, v35
	v_lshrrev_b32_e32 v48, 16, v35
	v_lshrrev_b32_e32 v51, 16, v36
	v_and_b32_e32 v49, 0xffff, v36
	;;#ASMSTART
	v_cvt_f32_f16 v35, v47;
	;;#ASMEND
	;;#ASMSTART
	v_cvt_f32_f16 v36, v48;
	;;#ASMEND
	;;#ASMSTART
	v_cvt_f32_f16 v47, v33;
	;;#ASMEND
	;;#ASMSTART
	v_cvt_f32_f16 v48, v104;
	;;#ASMEND
	;;#ASMSTART
	v_cvt_f32_f16 v49, v49;
	;;#ASMEND
	;;#ASMSTART
	v_cvt_f32_f16 v51, v51;
	;;#ASMEND
	;;#ASMSTART
	v_cvt_f32_f16 v53, v34;
	;;#ASMEND
	;;#ASMSTART
	v_cvt_f32_f16 v55, v105;
	;;#ASMEND
	ds_read_b64 v[33:34], v71 offset:144
	v_lshrrev_b32_e32 v104, 16, v31
	v_and_b32_e32 v31, 0xffff, v31
	v_lshrrev_b32_e32 v105, 16, v32
	v_and_b32_e32 v32, 0xffff, v32
	v_fmac_f32_e32 v78, v35, v47
	v_fmac_f32_e32 v61, v36, v48
	;; [unrolled: 1-line block ×4, first 2 shown]
	v_lshrrev_b32_e32 v55, 16, v16
	v_and_b32_e32 v16, 0xffff, v16
	s_waitcnt lgkmcnt(0)
	v_and_b32_e32 v45, 0xffff, v33
	v_lshrrev_b32_e32 v46, 16, v33
	v_lshrrev_b32_e32 v84, 16, v34
	v_and_b32_e32 v86, 0xffff, v34
	;;#ASMSTART
	v_cvt_f32_f16 v33, v45;
	;;#ASMEND
	;;#ASMSTART
	v_cvt_f32_f16 v34, v46;
	;;#ASMEND
	;;#ASMSTART
	v_cvt_f32_f16 v43, v31;
	;;#ASMEND
	;;#ASMSTART
	v_cvt_f32_f16 v44, v104;
	;;#ASMEND
	;;#ASMSTART
	v_cvt_f32_f16 v45, v86;
	;;#ASMEND
	;;#ASMSTART
	v_cvt_f32_f16 v46, v84;
	;;#ASMEND
	;;#ASMSTART
	v_cvt_f32_f16 v84, v32;
	;;#ASMEND
	;;#ASMSTART
	v_cvt_f32_f16 v86, v105;
	;;#ASMEND
	ds_read_b64 v[31:32], v71 offset:152
	v_lshrrev_b32_e32 v104, 16, v29
	v_and_b32_e32 v29, 0xffff, v29
	v_lshrrev_b32_e32 v105, 16, v30
	v_and_b32_e32 v30, 0xffff, v30
	v_fmac_f32_e32 v78, v33, v43
	v_fmac_f32_e32 v61, v34, v44
	v_fmac_f32_e32 v62, v45, v84
	v_fmac_f32_e32 v59, v46, v86
	s_waitcnt lgkmcnt(0)
	v_and_b32_e32 v85, 0xffff, v31
	v_lshrrev_b32_e32 v87, 16, v31
	v_lshrrev_b32_e32 v89, 16, v32
	v_and_b32_e32 v88, 0xffff, v32
	;;#ASMSTART
	v_cvt_f32_f16 v31, v85;
	;;#ASMEND
	;;#ASMSTART
	v_cvt_f32_f16 v32, v87;
	;;#ASMEND
	;;#ASMSTART
	v_cvt_f32_f16 v85, v29;
	;;#ASMEND
	;;#ASMSTART
	v_cvt_f32_f16 v87, v104;
	;;#ASMEND
	;;#ASMSTART
	v_cvt_f32_f16 v88, v88;
	;;#ASMEND
	;;#ASMSTART
	v_cvt_f32_f16 v89, v89;
	;;#ASMEND
	;;#ASMSTART
	v_cvt_f32_f16 v95, v30;
	;;#ASMEND
	;;#ASMSTART
	v_cvt_f32_f16 v98, v105;
	;;#ASMEND
	ds_read_b64 v[29:30], v71 offset:160
	v_lshrrev_b32_e32 v104, 16, v27
	v_and_b32_e32 v27, 0xffff, v27
	v_lshrrev_b32_e32 v105, 16, v28
	v_and_b32_e32 v28, 0xffff, v28
	v_fmac_f32_e32 v78, v31, v85
	v_fmac_f32_e32 v61, v32, v87
	v_fmac_f32_e32 v62, v88, v95
	v_fmac_f32_e32 v59, v89, v98
	;; [unrolled: 38-line block ×3, first 2 shown]
	v_lshrrev_b32_e32 v41, 16, v10
	v_and_b32_e32 v10, 0xffff, v10
	s_waitcnt lgkmcnt(0)
	v_and_b32_e32 v39, 0xffff, v27
	v_lshrrev_b32_e32 v40, 16, v27
	v_lshrrev_b32_e32 v91, 16, v28
	v_and_b32_e32 v81, 0xffff, v28
	;;#ASMSTART
	v_cvt_f32_f16 v27, v39;
	;;#ASMEND
	;;#ASMSTART
	v_cvt_f32_f16 v28, v40;
	;;#ASMEND
	;; [unrolled: 3-line block ×8, first 2 shown]
	ds_read_b64 v[25:26], v71 offset:176
	v_lshrrev_b32_e32 v104, 16, v23
	v_and_b32_e32 v23, 0xffff, v23
	v_fmac_f32_e32 v78, v27, v39
	v_fmac_f32_e32 v61, v28, v40
	;; [unrolled: 1-line block ×4, first 2 shown]
	s_waitcnt lgkmcnt(0)
	v_and_b32_e32 v58, 0xffff, v25
	v_lshrrev_b32_e32 v80, 16, v25
	v_lshrrev_b32_e32 v83, 16, v26
	v_and_b32_e32 v105, 0xffff, v26
	;;#ASMSTART
	v_cvt_f32_f16 v25, v58;
	;;#ASMEND
	;;#ASMSTART
	v_cvt_f32_f16 v26, v80;
	;;#ASMEND
	;;#ASMSTART
	v_cvt_f32_f16 v37, v23;
	;;#ASMEND
	;;#ASMSTART
	v_cvt_f32_f16 v38, v104;
	;;#ASMEND
	;;#ASMSTART
	v_cvt_f32_f16 v58, v105;
	;;#ASMEND
	;;#ASMSTART
	v_cvt_f32_f16 v80, v83;
	;;#ASMEND
	;;#ASMSTART
	v_cvt_f32_f16 v83, v24;
	;;#ASMEND
	;;#ASMSTART
	v_cvt_f32_f16 v93, v93;
	;;#ASMEND
	ds_read_b64 v[23:24], v71 offset:184
	v_lshrrev_b32_e32 v104, 16, v21
	v_and_b32_e32 v21, 0xffff, v21
	v_fmac_f32_e32 v78, v25, v37
	v_fmac_f32_e32 v61, v26, v38
	;; [unrolled: 1-line block ×4, first 2 shown]
	s_waitcnt lgkmcnt(0)
	v_and_b32_e32 v79, 0xffff, v23
	v_lshrrev_b32_e32 v82, 16, v23
	v_lshrrev_b32_e32 v90, 16, v24
	v_and_b32_e32 v105, 0xffff, v24
	;;#ASMSTART
	v_cvt_f32_f16 v23, v79;
	;;#ASMEND
	;;#ASMSTART
	v_cvt_f32_f16 v24, v82;
	;;#ASMEND
	;;#ASMSTART
	v_cvt_f32_f16 v50, v21;
	;;#ASMEND
	;;#ASMSTART
	v_cvt_f32_f16 v54, v104;
	;;#ASMEND
	;;#ASMSTART
	v_cvt_f32_f16 v79, v105;
	;;#ASMEND
	;;#ASMSTART
	v_cvt_f32_f16 v82, v90;
	;;#ASMEND
	;;#ASMSTART
	v_cvt_f32_f16 v90, v22;
	;;#ASMEND
	;;#ASMSTART
	v_cvt_f32_f16 v92, v92;
	;;#ASMEND
	ds_read_b64 v[21:22], v71 offset:192
	v_lshrrev_b32_e32 v104, 16, v19
	v_and_b32_e32 v19, 0xffff, v19
	v_lshrrev_b32_e32 v105, 16, v20
	v_and_b32_e32 v20, 0xffff, v20
	v_fmac_f32_e32 v78, v23, v50
	v_fmac_f32_e32 v61, v24, v54
	;; [unrolled: 1-line block ×4, first 2 shown]
	s_waitcnt vmcnt(1)
	v_lshrrev_b32_e32 v23, 16, v8
	v_and_b32_e32 v8, 0xffff, v8
	s_waitcnt vmcnt(0)
	v_lshrrev_b32_e32 v24, 16, v3
	s_waitcnt lgkmcnt(0)
	v_and_b32_e32 v52, 0xffff, v21
	v_lshrrev_b32_e32 v56, 16, v21
	v_lshrrev_b32_e32 v60, 16, v22
	v_and_b32_e32 v57, 0xffff, v22
	;;#ASMSTART
	v_cvt_f32_f16 v21, v52;
	;;#ASMEND
	;;#ASMSTART
	v_cvt_f32_f16 v22, v56;
	;;#ASMEND
	;;#ASMSTART
	v_cvt_f32_f16 v52, v19;
	;;#ASMEND
	;;#ASMSTART
	v_cvt_f32_f16 v56, v104;
	;;#ASMEND
	;;#ASMSTART
	v_cvt_f32_f16 v57, v57;
	;;#ASMEND
	;;#ASMSTART
	v_cvt_f32_f16 v60, v60;
	;;#ASMEND
	;;#ASMSTART
	v_cvt_f32_f16 v102, v20;
	;;#ASMEND
	;;#ASMSTART
	v_cvt_f32_f16 v103, v105;
	;;#ASMEND
	ds_read_b64 v[19:20], v71 offset:200
	v_lshrrev_b32_e32 v104, 16, v17
	v_and_b32_e32 v17, 0xffff, v17
	v_lshrrev_b32_e32 v105, 16, v18
	v_and_b32_e32 v18, 0xffff, v18
	v_fmac_f32_e32 v78, v21, v52
	v_fmac_f32_e32 v61, v22, v56
	;; [unrolled: 1-line block ×4, first 2 shown]
	s_waitcnt lgkmcnt(0)
	v_and_b32_e32 v35, 0xffff, v19
	v_lshrrev_b32_e32 v36, 16, v19
	v_lshrrev_b32_e32 v48, 16, v20
	v_and_b32_e32 v47, 0xffff, v20
	;;#ASMSTART
	v_cvt_f32_f16 v19, v35;
	;;#ASMEND
	;;#ASMSTART
	v_cvt_f32_f16 v20, v36;
	;;#ASMEND
	;; [unrolled: 3-line block ×8, first 2 shown]
	ds_read_b64 v[17:18], v71 offset:208
	v_lshrrev_b32_e32 v104, 16, v15
	v_and_b32_e32 v15, 0xffff, v15
	v_lshrrev_b32_e32 v105, 16, v14
	v_and_b32_e32 v14, 0xffff, v14
	v_fmac_f32_e32 v78, v19, v35
	v_fmac_f32_e32 v61, v20, v36
	;; [unrolled: 1-line block ×4, first 2 shown]
	s_waitcnt lgkmcnt(0)
	v_and_b32_e32 v33, 0xffff, v17
	v_lshrrev_b32_e32 v43, 16, v17
	v_lshrrev_b32_e32 v44, 16, v18
	v_and_b32_e32 v51, 0xffff, v18
	;;#ASMSTART
	v_cvt_f32_f16 v17, v33;
	;;#ASMEND
	;;#ASMSTART
	v_cvt_f32_f16 v18, v43;
	;;#ASMEND
	;; [unrolled: 3-line block ×8, first 2 shown]
	ds_read_b64 v[15:16], v71 offset:216
	v_lshrrev_b32_e32 v104, 16, v13
	v_and_b32_e32 v13, 0xffff, v13
	v_fmac_f32_e32 v78, v17, v33
	v_fmac_f32_e32 v61, v18, v34
	;; [unrolled: 1-line block ×4, first 2 shown]
	s_waitcnt lgkmcnt(0)
	v_and_b32_e32 v45, 0xffff, v15
	v_lshrrev_b32_e32 v46, 16, v15
	v_lshrrev_b32_e32 v84, 16, v16
	v_and_b32_e32 v85, 0xffff, v16
	;;#ASMSTART
	v_cvt_f32_f16 v15, v45;
	;;#ASMEND
	;;#ASMSTART
	v_cvt_f32_f16 v16, v46;
	;;#ASMEND
	;;#ASMSTART
	v_cvt_f32_f16 v31, v13;
	;;#ASMEND
	;;#ASMSTART
	v_cvt_f32_f16 v45, v104;
	;;#ASMEND
	;;#ASMSTART
	v_cvt_f32_f16 v46, v85;
	;;#ASMEND
	;;#ASMSTART
	v_cvt_f32_f16 v84, v84;
	;;#ASMEND
	;;#ASMSTART
	v_cvt_f32_f16 v85, v14;
	;;#ASMEND
	;;#ASMSTART
	v_cvt_f32_f16 v86, v105;
	;;#ASMEND
	ds_read_b64 v[13:14], v71 offset:224
	v_lshrrev_b32_e32 v104, 16, v11
	v_and_b32_e32 v11, 0xffff, v11
	v_lshrrev_b32_e32 v105, 16, v12
	v_and_b32_e32 v12, 0xffff, v12
	v_fmac_f32_e32 v78, v15, v31
	v_fmac_f32_e32 v61, v16, v45
	;; [unrolled: 1-line block ×4, first 2 shown]
	v_and_b32_e32 v15, 0xffff, v3
	s_waitcnt lgkmcnt(0)
	v_and_b32_e32 v32, 0xffff, v13
	v_lshrrev_b32_e32 v87, 16, v13
	v_lshrrev_b32_e32 v89, 16, v14
	v_and_b32_e32 v88, 0xffff, v14
	;;#ASMSTART
	v_cvt_f32_f16 v13, v32;
	;;#ASMEND
	;;#ASMSTART
	v_cvt_f32_f16 v14, v87;
	;;#ASMEND
	;; [unrolled: 3-line block ×8, first 2 shown]
	ds_read_b64 v[11:12], v71 offset:232
	v_lshrrev_b32_e32 v104, 16, v9
	v_and_b32_e32 v9, 0xffff, v9
	v_lshrrev_b32_e32 v105, 16, v7
	v_and_b32_e32 v7, 0xffff, v7
	v_fmac_f32_e32 v78, v13, v32
	v_fmac_f32_e32 v61, v14, v87
	;; [unrolled: 1-line block ×4, first 2 shown]
	v_lshrrev_b32_e32 v13, 16, v4
	s_waitcnt lgkmcnt(0)
	v_and_b32_e32 v25, 0xffff, v11
	v_lshrrev_b32_e32 v27, 16, v11
	v_lshrrev_b32_e32 v28, 16, v12
	v_and_b32_e32 v29, 0xffff, v12
	;;#ASMSTART
	v_cvt_f32_f16 v11, v25;
	;;#ASMEND
	;;#ASMSTART
	v_cvt_f32_f16 v12, v27;
	;;#ASMEND
	;;#ASMSTART
	v_cvt_f32_f16 v25, v9;
	;;#ASMEND
	;;#ASMSTART
	v_cvt_f32_f16 v26, v104;
	;;#ASMEND
	;;#ASMSTART
	v_cvt_f32_f16 v27, v29;
	;;#ASMEND
	;;#ASMSTART
	v_cvt_f32_f16 v28, v28;
	;;#ASMEND
	;;#ASMSTART
	v_cvt_f32_f16 v29, v10;
	;;#ASMEND
	;;#ASMSTART
	v_cvt_f32_f16 v30, v41;
	;;#ASMEND
	ds_read_b64 v[9:10], v71 offset:240
	v_fmac_f32_e32 v78, v11, v25
	v_fmac_f32_e32 v61, v12, v26
	;; [unrolled: 1-line block ×3, first 2 shown]
	v_and_b32_e32 v11, 0xffff, v4
	v_fmac_f32_e32 v59, v28, v30
	s_waitcnt lgkmcnt(0)
	v_and_b32_e32 v17, 0xffff, v9
	v_lshrrev_b32_e32 v18, 16, v9
	v_lshrrev_b32_e32 v20, 16, v10
	v_and_b32_e32 v19, 0xffff, v10
	;;#ASMSTART
	v_cvt_f32_f16 v9, v17;
	;;#ASMEND
	;;#ASMSTART
	v_cvt_f32_f16 v10, v18;
	;;#ASMEND
	;; [unrolled: 3-line block ×8, first 2 shown]
	ds_read_b64 v[7:8], v71 offset:248
	v_fmac_f32_e32 v78, v9, v17
	v_fmac_f32_e32 v61, v10, v18
	;; [unrolled: 1-line block ×4, first 2 shown]
	s_waitcnt lgkmcnt(0)
	v_and_b32_e32 v3, 0xffff, v7
	v_lshrrev_b32_e32 v4, 16, v7
	v_lshrrev_b32_e32 v9, 16, v8
	v_and_b32_e32 v10, 0xffff, v8
	;;#ASMSTART
	v_cvt_f32_f16 v3, v3;
	;;#ASMEND
	;;#ASMSTART
	v_cvt_f32_f16 v4, v4;
	;;#ASMEND
	;; [unrolled: 3-line block ×4, first 2 shown]
	v_fmac_f32_e32 v78, v3, v7
	v_fmac_f32_e32 v61, v4, v8
	;;#ASMSTART
	v_cvt_f32_f16 v3, v10;
	;;#ASMEND
	;;#ASMSTART
	v_cvt_f32_f16 v4, v9;
	;;#ASMEND
	;;#ASMSTART
	v_cvt_f32_f16 v7, v11;
	;;#ASMEND
	v_fmac_f32_e32 v62, v3, v7
	v_add_f32_e32 v3, v78, v61
	;;#ASMSTART
	v_cvt_f32_f16 v7, v13;
	;;#ASMEND
	v_fmac_f32_e32 v59, v4, v7
	v_cndmask_b32_e64 v4, v67, v76, s3
	v_add_f32_e32 v3, v3, v62
	v_lshlrev_b32_e32 v4, 2, v4
	v_add_f32_e32 v3, v59, v3
	ds_bpermute_b32 v4, v4, v3
	s_and_saveexec_b32 s4, vcc_lo
	s_cbranch_execz .LBB107_9
; %bb.11:                               ;   in Loop: Header=BB107_10 Depth=1
	v_add_nc_u32_e32 v7, s5, v72
	s_waitcnt lgkmcnt(0)
	v_add_f32_e32 v3, v3, v4
	v_cmp_gt_i32_e64 s3, s23, v72
	v_cvt_f32_i32_e32 v7, v7
	v_mul_f32_e32 v7, s34, v7
	v_cndmask_b32_e64 v4, 0, v7, s2
	v_max_f32_e32 v7, v70, v70
	v_fmac_f32_e32 v4, s31, v3
	v_max_f32_e32 v3, v7, v4
	v_cndmask_b32_e64 v4, 0, v4, s3
	v_cndmask_b32_e64 v70, v70, v3, s3
	ds_write_b32 v73, v4
	s_branch .LBB107_9
.LBB107_12:
	s_or_b32 exec_lo, exec_lo, s15
.LBB107_13:
	s_or_b32 exec_lo, exec_lo, s35
	v_xor_b32_e32 v1, 16, v67
	v_xor_b32_e32 v2, 8, v67
	s_waitcnt lgkmcnt(0)
	v_max_f32_e32 v4, v70, v70
	v_and_b32_e32 v12, 31, v0
	v_lshlrev_b32_e32 v9, 2, v65
	v_cmp_lt_i32_e32 vcc_lo, v1, v69
	v_cndmask_b32_e32 v1, v67, v1, vcc_lo
	v_cmp_lt_i32_e32 vcc_lo, v2, v69
	v_lshlrev_b32_e32 v3, 2, v1
	v_cndmask_b32_e32 v2, v67, v2, vcc_lo
	ds_bpermute_b32 v1, v3, v70
	v_lshlrev_b32_e32 v7, 2, v2
	s_waitcnt lgkmcnt(0)
	v_max_f32_e32 v1, v1, v1
	v_max_f32_e32 v1, v4, v1
	v_xor_b32_e32 v4, 4, v67
	ds_bpermute_b32 v2, v7, v1
	v_cmp_lt_i32_e32 vcc_lo, v4, v69
	v_cndmask_b32_e32 v4, v67, v4, vcc_lo
	v_lshlrev_b32_e32 v8, 2, v4
	v_xor_b32_e32 v4, 2, v67
	v_cmp_lt_i32_e32 vcc_lo, v4, v69
	s_waitcnt lgkmcnt(0)
	v_max_f32_e32 v2, v2, v2
	v_cndmask_b32_e32 v4, v67, v4, vcc_lo
	v_cmp_eq_u32_e32 vcc_lo, 0, v12
	v_max_f32_e32 v1, v1, v2
	ds_bpermute_b32 v2, v8, v1
	s_waitcnt lgkmcnt(0)
	v_max_f32_e32 v2, v2, v2
	v_max_f32_e32 v1, v1, v2
	v_lshlrev_b32_e32 v2, 2, v4
	ds_bpermute_b32 v4, v2, v1
	s_and_saveexec_b32 s2, vcc_lo
	s_cbranch_execz .LBB107_15
; %bb.14:
	s_waitcnt lgkmcnt(0)
	v_max_f32_e32 v4, v4, v4
	v_max_f32_e32 v1, v1, v1
	;; [unrolled: 1-line block ×3, first 2 shown]
	ds_write_b32 v9, v1 offset:512
.LBB107_15:
	s_or_b32 exec_lo, exec_lo, s2
	v_cmp_gt_u32_e64 s2, 4, v12
	v_mov_b32_e32 v1, 0xff7fffff
	v_lshlrev_b32_e32 v10, 2, v12
	s_waitcnt lgkmcnt(0)
	s_barrier
	buffer_gl0_inv
	s_and_saveexec_b32 s3, s2
; %bb.16:
	ds_read_b32 v1, v10 offset:512
; %bb.17:
	s_or_b32 exec_lo, exec_lo, s3
	s_waitcnt lgkmcnt(0)
	ds_bpermute_b32 v4, v2, v1
	v_xor_b32_e32 v11, 1, v67
	v_max_f32_e32 v1, v1, v1
	v_cmp_lt_i32_e64 s3, v11, v69
	v_cndmask_b32_e64 v11, v67, v11, s3
	s_sub_i32 s3, s11, s30
	s_lshl_b32 s3, s3, 4
	v_lshlrev_b32_e32 v13, 2, v11
	s_add_i32 s3, s3, s33
	v_mov_b32_e32 v11, 0
	s_min_i32 s3, s3, s23
	s_waitcnt lgkmcnt(0)
	v_max_f32_e32 v4, v4, v4
	s_sub_i32 s5, s3, s33
	v_cmp_gt_i32_e64 s3, s5, v0
	v_max_f32_e32 v1, v1, v4
	ds_bpermute_b32 v4, v13, v1
	s_waitcnt lgkmcnt(0)
	v_max_f32_e32 v4, v4, v4
	v_max_f32_e32 v1, v1, v4
	v_lshlrev_b32_e32 v4, 2, v68
	ds_bpermute_b32 v1, v4, v1
	v_lshl_add_u32 v4, v0, 2, 0x220
	s_and_saveexec_b32 s15, s3
	s_cbranch_execz .LBB107_21
; %bb.18:
	v_lshl_add_u32 v14, v0, 2, 0x220
	v_mov_b32_e32 v11, 0
	v_mov_b32_e32 v15, v0
	s_mov_b32 s30, 0
	.p2align	6
.LBB107_19:                             ; =>This Inner Loop Header: Depth=1
	ds_read_b32 v16, v14
	v_add_nc_u32_e32 v15, 0x80, v15
	v_cmp_le_i32_e64 s4, s5, v15
	s_or_b32 s30, s4, s30
	s_waitcnt lgkmcnt(0)
	v_sub_f32_e32 v16, v16, v1
	v_mul_f32_e32 v16, 0x3fb8aa3b, v16
	v_exp_f32_e32 v16, v16
	ds_write_b32 v14, v16
	v_add_f32_e32 v11, v11, v16
	v_add_nc_u32_e32 v14, 0x200, v14
	s_andn2_b32 exec_lo, exec_lo, s30
	s_cbranch_execnz .LBB107_19
; %bb.20:
	s_or_b32 exec_lo, exec_lo, s30
.LBB107_21:
	s_or_b32 exec_lo, exec_lo, s15
	ds_bpermute_b32 v3, v3, v11
	s_waitcnt lgkmcnt(0)
	v_add_f32_e32 v3, v11, v3
	ds_bpermute_b32 v7, v7, v3
	s_waitcnt lgkmcnt(0)
	v_add_f32_e32 v3, v3, v7
	ds_bpermute_b32 v7, v8, v3
	s_waitcnt lgkmcnt(0)
	v_add_f32_e32 v3, v3, v7
	ds_bpermute_b32 v7, v2, v3
	s_waitcnt lgkmcnt(0)
	v_add_f32_e32 v3, v3, v7
	ds_bpermute_b32 v7, v13, v3
	s_waitcnt lgkmcnt(0)
	v_add_f32_e32 v3, v3, v7
	s_and_saveexec_b32 s4, vcc_lo
; %bb.22:
	ds_write_b32 v9, v3 offset:528
; %bb.23:
	s_or_b32 exec_lo, exec_lo, s4
	s_waitcnt lgkmcnt(0)
	s_barrier
	buffer_gl0_inv
	s_and_saveexec_b32 s4, s2
; %bb.24:
	ds_read_b32 v3, v10 offset:528
; %bb.25:
	s_or_b32 exec_lo, exec_lo, s4
	s_waitcnt lgkmcnt(0)
	ds_bpermute_b32 v2, v2, v3
	v_lshlrev_b32_e32 v7, 2, v67
	s_waitcnt lgkmcnt(0)
	v_add_f32_e32 v2, v3, v2
	ds_bpermute_b32 v3, v13, v2
	s_waitcnt lgkmcnt(0)
	v_add_f32_e32 v2, v2, v3
	v_and_b32_e32 v3, 0xffffff80, v7
	ds_bpermute_b32 v2, v3, v2
	s_and_saveexec_b32 s2, s3
	s_cbranch_execz .LBB107_28
; %bb.26:
	s_waitcnt lgkmcnt(0)
	v_add_f32_e32 v3, 0x358637bd, v2
	s_mov_b32 s3, 0
	v_div_scale_f32 v7, null, v3, v3, 1.0
	v_div_scale_f32 v10, vcc_lo, 1.0, v3, 1.0
	v_rcp_f32_e32 v8, v7
	v_fma_f32 v9, -v7, v8, 1.0
	v_fmac_f32_e32 v8, v9, v8
	v_mul_f32_e32 v9, v10, v8
	v_fma_f32 v11, -v7, v9, v10
	v_fmac_f32_e32 v9, v11, v8
	v_fma_f32 v7, -v7, v9, v10
	v_div_fmas_f32 v7, v7, v8, v9
	v_div_fixup_f32 v3, v7, v3, 1.0
	v_mov_b32_e32 v7, v0
.LBB107_27:                             ; =>This Inner Loop Header: Depth=1
	ds_read_b32 v8, v4
	v_add_nc_u32_e32 v7, 0x80, v7
	v_cmp_le_i32_e32 vcc_lo, s5, v7
	s_or_b32 s3, vcc_lo, s3
	s_waitcnt lgkmcnt(0)
	v_mul_f32_e32 v8, v3, v8
	ds_write_b32 v4, v8
	v_add_nc_u32_e32 v4, 0x200, v4
	s_andn2_b32 exec_lo, exec_lo, s3
	s_cbranch_execnz .LBB107_27
.LBB107_28:
	s_or_b32 exec_lo, exec_lo, s2
	s_mul_i32 s2, s7, s22
	s_waitcnt lgkmcnt(0)
	s_mul_i32 s4, s2, s9
	s_mov_b32 s2, exec_lo
	s_barrier
	buffer_gl0_inv
	v_cmpx_eq_u32_e32 0, v0
	s_cbranch_execz .LBB107_30
; %bb.29:
	s_ashr_i32 s5, s4, 31
	s_mul_i32 s34, s7, s6
	s_lshl_b64 s[30:31], s[4:5], 2
	v_mov_b32_e32 v3, 0
	s_add_u32 s3, s18, s30
	s_addc_u32 s5, s19, s31
	s_ashr_i32 s35, s34, 31
	s_lshl_b64 s[18:19], s[34:35], 2
	s_add_u32 s3, s3, s18
	s_addc_u32 s5, s5, s19
	s_ashr_i32 s9, s8, 31
	s_lshl_b64 s[34:35], s[8:9], 2
	s_add_u32 s36, s3, s34
	s_addc_u32 s37, s5, s35
	s_add_u32 s3, s16, s30
	s_addc_u32 s5, s17, s31
	;; [unrolled: 2-line block ×4, first 2 shown]
	global_store_dword v3, v1, s[36:37]
	global_store_dword v3, v2, s[16:17]
.LBB107_30:
	s_or_b32 exec_lo, exec_lo, s2
	v_mov_b32_e32 v28, 0
	v_mov_b32_e32 v29, 0
	;; [unrolled: 1-line block ×16, first 2 shown]
	s_and_saveexec_b32 s3, s1
	s_cbranch_execz .LBB107_66
; %bb.31:
	v_lshlrev_b32_e32 v2, 4, v0
	s_ashr_i32 s15, s14, 31
	v_and_b32_e32 v1, 8, v66
	v_lshl_add_u32 v4, v65, 4, s33
	s_lshl_b64 s[14:15], s[14:15], 1
	v_and_b32_e32 v2, 0x1f0, v2
	s_add_u32 s1, s28, s14
	v_lshlrev_b32_e32 v3, 5, v64
	v_add3_u32 v33, v4, v1, 7
	s_addc_u32 s2, s29, s15
	v_add_co_u32 v31, s1, s1, v2
	v_lshlrev_b64 v[1:2], 2, v[5:6]
	s_lshl_b64 s[14:15], s[26:27], 2
	s_add_i32 s12, s12, -1
	v_lshl_or_b32 v3, v65, 6, v3
	v_add_co_ci_u32_e64 v32, null, s2, 0, s1
	s_add_u32 s1, s24, s14
	s_addc_u32 s2, s25, s15
	v_add_co_u32 v6, vcc_lo, s1, v1
	v_mov_b32_e32 v30, 0
	v_add_nc_u32_e32 v34, 0x220, v3
	v_add_co_ci_u32_e64 v7, null, s2, v2, vcc_lo
	v_mov_b32_e32 v14, 0
	v_mov_b32_e32 v15, 0
	;; [unrolled: 1-line block ×16, first 2 shown]
	s_mov_b32 s6, s13
	s_mov_b32 s5, 0
	s_branch .LBB107_33
.LBB107_32:                             ;   in Loop: Header=BB107_33 Depth=1
	s_or_b32 exec_lo, exec_lo, s2
	v_add_f32_e32 v10, v10, v11
	v_add_f32_e32 v35, v76, v77
	;; [unrolled: 1-line block ×3, first 2 shown]
	v_lshlrev_b32_e32 v9, 16, v9
	v_lshlrev_b32_e32 v8, 16, v8
	v_add_f32_e32 v18, v18, v10
	v_add_f32_e32 v10, v67, v68
	;; [unrolled: 1-line block ×7, first 2 shown]
	v_lshlrev_b32_e32 v10, 16, v75
	v_add_f32_e32 v11, v62, v66
	v_add_f32_e32 v35, v60, v61
	v_and_or_b32 v2, 0xffff, v2, v9
	v_and_or_b32 v3, 0xffff, v3, v8
	;; [unrolled: 1-line block ×3, first 2 shown]
	;;#ASMSTART
	v_pk_mul_f16 v1, v38, v1;

	;;#ASMEND
	;;#ASMSTART
	v_pk_mul_f16 v2, v37, v2;

	;;#ASMEND
	;; [unrolled: 4-line block ×4, first 2 shown]
	;;#ASMSTART
	v_pk_add_f16 v1, v1, v2;

	;;#ASMEND
	;;#ASMSTART
	v_pk_add_f16 v1, v1, v3;

	;;#ASMEND
	;; [unrolled: 4-line block ×3, first 2 shown]
	v_and_b32_e32 v4, 0xffff, v1
	v_add_nc_u32_e32 v5, 4, v5
	v_lshrrev_b32_e32 v8, 16, v1
	;;#ASMSTART
	v_cvt_f32_f16 v4, v4;
	;;#ASMEND
	v_add_f32_e32 v16, v16, v36
	v_add_f32_e32 v17, v17, v41
	;; [unrolled: 1-line block ×11, first 2 shown]
	;;#ASMSTART
	v_cvt_f32_f16 v8, v8;
	;;#ASMEND
	v_add_f32_e32 v4, v4, v8
	v_cmp_le_i32_e32 vcc_lo, s11, v5
	v_add_co_u32 v6, s1, v6, 16
	v_add_f32_e32 v23, v23, v36
	v_add_f32_e32 v24, v24, v41
	;; [unrolled: 1-line block ×8, first 2 shown]
	v_add_nc_u32_e32 v33, 64, v33
	v_add_nc_u32_e32 v34, 0x100, v34
	v_add_co_ci_u32_e64 v7, null, 0, v7, s1
	s_or_b32 s5, vcc_lo, s5
	s_andn2_b32 exec_lo, exec_lo, s5
	s_cbranch_execz .LBB107_65
.LBB107_33:                             ; =>This Inner Loop Header: Depth=1
	global_load_dword v8, v[6:7], off
	ds_read2_b64 v[1:4], v34 offset1:1
	ds_read2_b64 v[44:47], v34 offset0:2 offset1:3
	v_cmp_eq_u32_e64 s1, s12, v5
	v_add_nc_u32_e32 v43, -5, v33
	v_add_nc_u32_e32 v41, -4, v33
	;; [unrolled: 1-line block ×4, first 2 shown]
	s_waitcnt lgkmcnt(1)
	;;#ASMSTART
	v_cvt_f16_f32 v38, v1;

	;;#ASMEND
	;;#ASMSTART
	v_cvt_f16_f32 v37, v2;

	;;#ASMEND
	;; [unrolled: 4-line block ×4, first 2 shown]
	s_waitcnt lgkmcnt(0)
	;;#ASMSTART
	v_cvt_f16_f32 v44, v44;

	;;#ASMEND
	;;#ASMSTART
	v_cvt_f16_f32 v11, v45;

	;;#ASMEND
	;; [unrolled: 4-line block ×4, first 2 shown]
	v_add_nc_u32_e32 v45, -7, v33
	v_add_nc_u32_e32 v47, -6, v33
	;; [unrolled: 1-line block ×3, first 2 shown]
	s_waitcnt vmcnt(0)
	v_mad_i64_i32 v[8:9], null, v8, s6, 0
	v_lshlrev_b64 v[8:9], 1, v[8:9]
	v_add_co_u32 v8, vcc_lo, v31, v8
	v_add_co_ci_u32_e64 v9, null, v32, v9, vcc_lo
	global_load_dwordx4 v[1:4], v[8:9], off
	s_waitcnt vmcnt(0)
	v_lshrrev_b32_e32 v50, 16, v1
	v_lshrrev_b32_e32 v49, 16, v2
	;; [unrolled: 1-line block ×3, first 2 shown]
	s_and_saveexec_b32 s9, s1
	s_cbranch_execz .LBB107_35
; %bb.34:                               ;   in Loop: Header=BB107_33 Depth=1
	v_cmp_gt_i32_e32 vcc_lo, s23, v45
	v_and_b32_e32 v51, 0xffff0000, v4
	v_cmp_gt_i32_e64 s2, s23, v43
	v_cndmask_b32_e32 v1, 0, v1, vcc_lo
	v_cmp_gt_i32_e32 vcc_lo, s23, v47
	v_cndmask_b32_e64 v2, 0, v2, s2
	v_cmp_gt_i32_e64 s2, s23, v41
	v_cndmask_b32_e32 v50, 0, v50, vcc_lo
	v_cmp_gt_i32_e32 vcc_lo, s23, v46
	v_cndmask_b32_e64 v49, 0, v49, s2
	v_cndmask_b32_sdwa v4, v30, v4, vcc_lo dst_sel:DWORD dst_unused:UNUSED_PAD src0_sel:DWORD src1_sel:WORD_0
	v_cmp_gt_i32_e32 vcc_lo, s23, v33
	v_cndmask_b32_e32 v51, 0, v51, vcc_lo
	v_cmp_gt_i32_e32 vcc_lo, s23, v36
	v_or_b32_e32 v4, v4, v51
	v_cndmask_b32_e32 v3, 0, v3, vcc_lo
	v_cmp_gt_i32_e32 vcc_lo, s23, v35
	v_cndmask_b32_e32 v48, 0, v48, vcc_lo
.LBB107_35:                             ;   in Loop: Header=BB107_33 Depth=1
	s_or_b32 exec_lo, exec_lo, s9
	v_and_b32_e32 v38, 0xffff, v38
	v_and_b32_e32 v42, 0xffff, v42
	v_lshlrev_b32_e32 v50, 16, v50
	v_lshlrev_b32_e32 v48, 16, v48
	v_and_b32_e32 v44, 0xffff, v44
	v_lshl_or_b32 v38, v37, 16, v38
	v_lshl_or_b32 v37, v39, 16, v42
	v_lshlrev_b32_e32 v42, 16, v49
	v_and_b32_e32 v40, 0xffff, v40
	v_and_or_b32 v1, 0xffff, v1, v50
	v_and_or_b32 v3, 0xffff, v3, v48
	;;#ASMSTART
	v_pk_mul_f16 v1, v38, v1;

	;;#ASMEND
	v_and_or_b32 v2, 0xffff, v2, v42
	v_lshl_or_b32 v39, v11, 16, v44
	v_lshl_or_b32 v40, v10, 16, v40
	;;#ASMSTART
	v_pk_mul_f16 v2, v37, v2;

	;;#ASMEND
	;;#ASMSTART
	v_pk_mul_f16 v3, v39, v3;

	;;#ASMEND
	;; [unrolled: 4-line block ×3, first 2 shown]
	;;#ASMSTART
	v_pk_add_f16 v1, v1, v2;

	;;#ASMEND
	;;#ASMSTART
	v_pk_add_f16 v1, v1, v3;

	;;#ASMEND
	;; [unrolled: 4-line block ×3, first 2 shown]
	v_and_b32_e32 v2, 0xffff, v1
	v_lshrrev_b32_e32 v1, 16, v1
	;;#ASMSTART
	v_cvt_f32_f16 v42, v2;
	;;#ASMEND
	;;#ASMSTART
	v_cvt_f32_f16 v44, v1;
	;;#ASMEND
	global_load_dwordx4 v[1:4], v[8:9], off offset:512
	s_waitcnt vmcnt(0)
	v_lshrrev_b32_e32 v48, 16, v1
	v_lshrrev_b32_e32 v11, 16, v2
	;; [unrolled: 1-line block ×3, first 2 shown]
	s_and_saveexec_b32 s9, s1
	s_cbranch_execz .LBB107_37
; %bb.36:                               ;   in Loop: Header=BB107_33 Depth=1
	v_cmp_gt_i32_e32 vcc_lo, s23, v45
	v_and_b32_e32 v49, 0xffff0000, v4
	v_cmp_gt_i32_e64 s2, s23, v43
	v_cndmask_b32_e32 v1, 0, v1, vcc_lo
	v_cmp_gt_i32_e32 vcc_lo, s23, v47
	v_cndmask_b32_e64 v2, 0, v2, s2
	v_cmp_gt_i32_e64 s2, s23, v41
	v_cndmask_b32_e32 v48, 0, v48, vcc_lo
	v_cmp_gt_i32_e32 vcc_lo, s23, v46
	v_cndmask_b32_e64 v11, 0, v11, s2
	v_cndmask_b32_sdwa v4, v30, v4, vcc_lo dst_sel:DWORD dst_unused:UNUSED_PAD src0_sel:DWORD src1_sel:WORD_0
	v_cmp_gt_i32_e32 vcc_lo, s23, v33
	v_cndmask_b32_e32 v49, 0, v49, vcc_lo
	v_cmp_gt_i32_e32 vcc_lo, s23, v36
	v_or_b32_e32 v4, v4, v49
	v_cndmask_b32_e32 v3, 0, v3, vcc_lo
	v_cmp_gt_i32_e32 vcc_lo, s23, v35
	v_cndmask_b32_e32 v10, 0, v10, vcc_lo
.LBB107_37:                             ;   in Loop: Header=BB107_33 Depth=1
	s_or_b32 exec_lo, exec_lo, s9
	v_lshlrev_b32_e32 v48, 16, v48
	v_lshlrev_b32_e32 v11, 16, v11
	;; [unrolled: 1-line block ×3, first 2 shown]
	v_and_or_b32 v1, 0xffff, v1, v48
	v_and_or_b32 v2, 0xffff, v2, v11
	;; [unrolled: 1-line block ×3, first 2 shown]
	;;#ASMSTART
	v_pk_mul_f16 v1, v38, v1;

	;;#ASMEND
	;;#ASMSTART
	v_pk_mul_f16 v2, v37, v2;

	;;#ASMEND
	;; [unrolled: 4-line block ×4, first 2 shown]
	;;#ASMSTART
	v_pk_add_f16 v1, v1, v2;

	;;#ASMEND
	;;#ASMSTART
	v_pk_add_f16 v1, v1, v3;

	;;#ASMEND
	;; [unrolled: 4-line block ×3, first 2 shown]
	v_and_b32_e32 v2, 0xffff, v1
	v_lshrrev_b32_e32 v1, 16, v1
	;;#ASMSTART
	v_cvt_f32_f16 v48, v2;
	;;#ASMEND
	;;#ASMSTART
	v_cvt_f32_f16 v49, v1;
	;;#ASMEND
	global_load_dwordx4 v[1:4], v[8:9], off offset:1024
	s_waitcnt vmcnt(0)
	v_lshrrev_b32_e32 v50, 16, v1
	v_lshrrev_b32_e32 v11, 16, v2
	;; [unrolled: 1-line block ×3, first 2 shown]
	s_and_saveexec_b32 s9, s1
	s_cbranch_execz .LBB107_39
; %bb.38:                               ;   in Loop: Header=BB107_33 Depth=1
	v_cmp_gt_i32_e32 vcc_lo, s23, v45
	v_and_b32_e32 v51, 0xffff0000, v4
	v_cmp_gt_i32_e64 s2, s23, v43
	v_cndmask_b32_e32 v1, 0, v1, vcc_lo
	v_cmp_gt_i32_e32 vcc_lo, s23, v47
	v_cndmask_b32_e64 v2, 0, v2, s2
	v_cmp_gt_i32_e64 s2, s23, v41
	v_cndmask_b32_e32 v50, 0, v50, vcc_lo
	v_cmp_gt_i32_e32 vcc_lo, s23, v46
	v_cndmask_b32_e64 v11, 0, v11, s2
	v_cndmask_b32_sdwa v4, v30, v4, vcc_lo dst_sel:DWORD dst_unused:UNUSED_PAD src0_sel:DWORD src1_sel:WORD_0
	v_cmp_gt_i32_e32 vcc_lo, s23, v33
	v_cndmask_b32_e32 v51, 0, v51, vcc_lo
	v_cmp_gt_i32_e32 vcc_lo, s23, v36
	v_or_b32_e32 v4, v4, v51
	v_cndmask_b32_e32 v3, 0, v3, vcc_lo
	v_cmp_gt_i32_e32 vcc_lo, s23, v35
	v_cndmask_b32_e32 v10, 0, v10, vcc_lo
.LBB107_39:                             ;   in Loop: Header=BB107_33 Depth=1
	s_or_b32 exec_lo, exec_lo, s9
	v_lshlrev_b32_e32 v50, 16, v50
	v_lshlrev_b32_e32 v11, 16, v11
	v_lshlrev_b32_e32 v10, 16, v10
	v_and_or_b32 v1, 0xffff, v1, v50
	v_and_or_b32 v2, 0xffff, v2, v11
	v_and_or_b32 v3, 0xffff, v3, v10
	;;#ASMSTART
	v_pk_mul_f16 v1, v38, v1;

	;;#ASMEND
	;;#ASMSTART
	v_pk_mul_f16 v2, v37, v2;

	;;#ASMEND
	;;#ASMSTART
	v_pk_mul_f16 v3, v39, v3;

	;;#ASMEND
	;;#ASMSTART
	v_pk_mul_f16 v4, v40, v4;

	;;#ASMEND
	;;#ASMSTART
	v_pk_add_f16 v1, v1, v2;

	;;#ASMEND
	;;#ASMSTART
	v_pk_add_f16 v1, v1, v3;

	;;#ASMEND
	;; [unrolled: 4-line block ×3, first 2 shown]
	v_and_b32_e32 v2, 0xffff, v1
	v_lshrrev_b32_e32 v1, 16, v1
	;;#ASMSTART
	v_cvt_f32_f16 v50, v2;
	;;#ASMEND
	;;#ASMSTART
	v_cvt_f32_f16 v51, v1;
	;;#ASMEND
	global_load_dwordx4 v[1:4], v[8:9], off offset:1536
	s_waitcnt vmcnt(0)
	v_lshrrev_b32_e32 v52, 16, v1
	v_lshrrev_b32_e32 v11, 16, v2
	;; [unrolled: 1-line block ×3, first 2 shown]
	s_and_saveexec_b32 s9, s1
	s_cbranch_execz .LBB107_41
; %bb.40:                               ;   in Loop: Header=BB107_33 Depth=1
	v_cmp_gt_i32_e32 vcc_lo, s23, v45
	v_and_b32_e32 v53, 0xffff0000, v4
	v_cmp_gt_i32_e64 s2, s23, v43
	v_cndmask_b32_e32 v1, 0, v1, vcc_lo
	v_cmp_gt_i32_e32 vcc_lo, s23, v47
	v_cndmask_b32_e64 v2, 0, v2, s2
	v_cmp_gt_i32_e64 s2, s23, v41
	v_cndmask_b32_e32 v52, 0, v52, vcc_lo
	v_cmp_gt_i32_e32 vcc_lo, s23, v46
	v_cndmask_b32_e64 v11, 0, v11, s2
	v_cndmask_b32_sdwa v4, v30, v4, vcc_lo dst_sel:DWORD dst_unused:UNUSED_PAD src0_sel:DWORD src1_sel:WORD_0
	v_cmp_gt_i32_e32 vcc_lo, s23, v33
	v_cndmask_b32_e32 v53, 0, v53, vcc_lo
	v_cmp_gt_i32_e32 vcc_lo, s23, v36
	v_or_b32_e32 v4, v4, v53
	v_cndmask_b32_e32 v3, 0, v3, vcc_lo
	v_cmp_gt_i32_e32 vcc_lo, s23, v35
	v_cndmask_b32_e32 v10, 0, v10, vcc_lo
.LBB107_41:                             ;   in Loop: Header=BB107_33 Depth=1
	s_or_b32 exec_lo, exec_lo, s9
	v_lshlrev_b32_e32 v10, 16, v10
	v_lshlrev_b32_e32 v52, 16, v52
	;; [unrolled: 1-line block ×3, first 2 shown]
	v_and_or_b32 v3, 0xffff, v3, v10
	v_add_co_u32 v10, vcc_lo, 0x800, v8
	v_and_or_b32 v1, 0xffff, v1, v52
	v_and_or_b32 v2, 0xffff, v2, v11
	;;#ASMSTART
	v_pk_mul_f16 v1, v38, v1;

	;;#ASMEND
	v_add_co_ci_u32_e64 v11, null, 0, v9, vcc_lo
	;;#ASMSTART
	v_pk_mul_f16 v2, v37, v2;

	;;#ASMEND
	;;#ASMSTART
	v_pk_mul_f16 v3, v39, v3;

	;;#ASMEND
	;; [unrolled: 4-line block ×3, first 2 shown]
	;;#ASMSTART
	v_pk_add_f16 v1, v1, v2;

	;;#ASMEND
	;;#ASMSTART
	v_pk_add_f16 v1, v1, v3;

	;;#ASMEND
	;;#ASMSTART
	v_pk_add_f16 v1, v1, v4;

	;;#ASMEND
	v_lshrrev_b32_e32 v2, 16, v1
	v_and_b32_e32 v1, 0xffff, v1
	;;#ASMSTART
	v_cvt_f32_f16 v52, v1;
	;;#ASMEND
	;;#ASMSTART
	v_cvt_f32_f16 v53, v2;
	;;#ASMEND
	global_load_dwordx4 v[1:4], v[10:11], off
	s_waitcnt vmcnt(0)
	v_lshrrev_b32_e32 v56, 16, v1
	v_lshrrev_b32_e32 v55, 16, v2
	;; [unrolled: 1-line block ×3, first 2 shown]
	s_and_saveexec_b32 s9, s1
	s_cbranch_execz .LBB107_43
; %bb.42:                               ;   in Loop: Header=BB107_33 Depth=1
	v_cmp_gt_i32_e32 vcc_lo, s23, v45
	v_and_b32_e32 v57, 0xffff0000, v4
	v_cmp_gt_i32_e64 s2, s23, v43
	v_cndmask_b32_e32 v1, 0, v1, vcc_lo
	v_cmp_gt_i32_e32 vcc_lo, s23, v47
	v_cndmask_b32_e64 v2, 0, v2, s2
	v_cmp_gt_i32_e64 s2, s23, v41
	v_cndmask_b32_e32 v56, 0, v56, vcc_lo
	v_cmp_gt_i32_e32 vcc_lo, s23, v46
	v_cndmask_b32_e64 v55, 0, v55, s2
	v_cndmask_b32_sdwa v4, v30, v4, vcc_lo dst_sel:DWORD dst_unused:UNUSED_PAD src0_sel:DWORD src1_sel:WORD_0
	v_cmp_gt_i32_e32 vcc_lo, s23, v33
	v_cndmask_b32_e32 v57, 0, v57, vcc_lo
	v_cmp_gt_i32_e32 vcc_lo, s23, v36
	v_or_b32_e32 v4, v4, v57
	v_cndmask_b32_e32 v3, 0, v3, vcc_lo
	v_cmp_gt_i32_e32 vcc_lo, s23, v35
	v_cndmask_b32_e32 v54, 0, v54, vcc_lo
.LBB107_43:                             ;   in Loop: Header=BB107_33 Depth=1
	s_or_b32 exec_lo, exec_lo, s9
	v_lshlrev_b32_e32 v56, 16, v56
	v_lshlrev_b32_e32 v55, 16, v55
	;; [unrolled: 1-line block ×3, first 2 shown]
	v_and_or_b32 v1, 0xffff, v1, v56
	v_and_or_b32 v2, 0xffff, v2, v55
	;; [unrolled: 1-line block ×3, first 2 shown]
	;;#ASMSTART
	v_pk_mul_f16 v1, v38, v1;

	;;#ASMEND
	;;#ASMSTART
	v_pk_mul_f16 v2, v37, v2;

	;;#ASMEND
	;; [unrolled: 4-line block ×4, first 2 shown]
	;;#ASMSTART
	v_pk_add_f16 v1, v1, v2;

	;;#ASMEND
	;;#ASMSTART
	v_pk_add_f16 v1, v1, v3;

	;;#ASMEND
	;; [unrolled: 4-line block ×3, first 2 shown]
	v_and_b32_e32 v2, 0xffff, v1
	v_lshrrev_b32_e32 v1, 16, v1
	;;#ASMSTART
	v_cvt_f32_f16 v54, v2;
	;;#ASMEND
	;;#ASMSTART
	v_cvt_f32_f16 v55, v1;
	;;#ASMEND
	global_load_dwordx4 v[1:4], v[10:11], off offset:512
	s_waitcnt vmcnt(0)
	v_lshrrev_b32_e32 v58, 16, v1
	v_lshrrev_b32_e32 v57, 16, v2
	v_lshrrev_b32_e32 v56, 16, v3
	s_and_saveexec_b32 s9, s1
	s_cbranch_execz .LBB107_45
; %bb.44:                               ;   in Loop: Header=BB107_33 Depth=1
	v_cmp_gt_i32_e32 vcc_lo, s23, v45
	v_and_b32_e32 v59, 0xffff0000, v4
	v_cmp_gt_i32_e64 s2, s23, v43
	v_cndmask_b32_e32 v1, 0, v1, vcc_lo
	v_cmp_gt_i32_e32 vcc_lo, s23, v47
	v_cndmask_b32_e64 v2, 0, v2, s2
	v_cmp_gt_i32_e64 s2, s23, v41
	v_cndmask_b32_e32 v58, 0, v58, vcc_lo
	v_cmp_gt_i32_e32 vcc_lo, s23, v46
	v_cndmask_b32_e64 v57, 0, v57, s2
	v_cndmask_b32_sdwa v4, v30, v4, vcc_lo dst_sel:DWORD dst_unused:UNUSED_PAD src0_sel:DWORD src1_sel:WORD_0
	v_cmp_gt_i32_e32 vcc_lo, s23, v33
	v_cndmask_b32_e32 v59, 0, v59, vcc_lo
	v_cmp_gt_i32_e32 vcc_lo, s23, v36
	v_or_b32_e32 v4, v4, v59
	v_cndmask_b32_e32 v3, 0, v3, vcc_lo
	v_cmp_gt_i32_e32 vcc_lo, s23, v35
	v_cndmask_b32_e32 v56, 0, v56, vcc_lo
.LBB107_45:                             ;   in Loop: Header=BB107_33 Depth=1
	s_or_b32 exec_lo, exec_lo, s9
	v_lshlrev_b32_e32 v58, 16, v58
	v_lshlrev_b32_e32 v57, 16, v57
	;; [unrolled: 1-line block ×3, first 2 shown]
	v_and_or_b32 v1, 0xffff, v1, v58
	v_and_or_b32 v2, 0xffff, v2, v57
	;; [unrolled: 1-line block ×3, first 2 shown]
	;;#ASMSTART
	v_pk_mul_f16 v1, v38, v1;

	;;#ASMEND
	;;#ASMSTART
	v_pk_mul_f16 v2, v37, v2;

	;;#ASMEND
	;; [unrolled: 4-line block ×4, first 2 shown]
	;;#ASMSTART
	v_pk_add_f16 v1, v1, v2;

	;;#ASMEND
	;;#ASMSTART
	v_pk_add_f16 v1, v1, v3;

	;;#ASMEND
	;; [unrolled: 4-line block ×3, first 2 shown]
	v_and_b32_e32 v2, 0xffff, v1
	v_lshrrev_b32_e32 v1, 16, v1
	;;#ASMSTART
	v_cvt_f32_f16 v56, v2;
	;;#ASMEND
	;;#ASMSTART
	v_cvt_f32_f16 v57, v1;
	;;#ASMEND
	global_load_dwordx4 v[1:4], v[10:11], off offset:1024
	s_waitcnt vmcnt(0)
	v_lshrrev_b32_e32 v60, 16, v1
	v_lshrrev_b32_e32 v59, 16, v2
	;; [unrolled: 1-line block ×3, first 2 shown]
	s_and_saveexec_b32 s9, s1
	s_cbranch_execz .LBB107_47
; %bb.46:                               ;   in Loop: Header=BB107_33 Depth=1
	v_cmp_gt_i32_e32 vcc_lo, s23, v45
	v_and_b32_e32 v61, 0xffff0000, v4
	v_cmp_gt_i32_e64 s2, s23, v43
	v_cndmask_b32_e32 v1, 0, v1, vcc_lo
	v_cmp_gt_i32_e32 vcc_lo, s23, v47
	v_cndmask_b32_e64 v2, 0, v2, s2
	v_cmp_gt_i32_e64 s2, s23, v41
	v_cndmask_b32_e32 v60, 0, v60, vcc_lo
	v_cmp_gt_i32_e32 vcc_lo, s23, v46
	v_cndmask_b32_e64 v59, 0, v59, s2
	v_cndmask_b32_sdwa v4, v30, v4, vcc_lo dst_sel:DWORD dst_unused:UNUSED_PAD src0_sel:DWORD src1_sel:WORD_0
	v_cmp_gt_i32_e32 vcc_lo, s23, v33
	v_cndmask_b32_e32 v61, 0, v61, vcc_lo
	v_cmp_gt_i32_e32 vcc_lo, s23, v36
	v_or_b32_e32 v4, v4, v61
	v_cndmask_b32_e32 v3, 0, v3, vcc_lo
	v_cmp_gt_i32_e32 vcc_lo, s23, v35
	v_cndmask_b32_e32 v58, 0, v58, vcc_lo
.LBB107_47:                             ;   in Loop: Header=BB107_33 Depth=1
	s_or_b32 exec_lo, exec_lo, s9
	v_lshlrev_b32_e32 v60, 16, v60
	v_lshlrev_b32_e32 v59, 16, v59
	;; [unrolled: 1-line block ×3, first 2 shown]
	v_and_or_b32 v1, 0xffff, v1, v60
	v_and_or_b32 v2, 0xffff, v2, v59
	;; [unrolled: 1-line block ×3, first 2 shown]
	;;#ASMSTART
	v_pk_mul_f16 v1, v38, v1;

	;;#ASMEND
	;;#ASMSTART
	v_pk_mul_f16 v2, v37, v2;

	;;#ASMEND
	;; [unrolled: 4-line block ×4, first 2 shown]
	;;#ASMSTART
	v_pk_add_f16 v1, v1, v2;

	;;#ASMEND
	;;#ASMSTART
	v_pk_add_f16 v1, v1, v3;

	;;#ASMEND
	;; [unrolled: 4-line block ×3, first 2 shown]
	v_and_b32_e32 v2, 0xffff, v1
	v_lshrrev_b32_e32 v1, 16, v1
	;;#ASMSTART
	v_cvt_f32_f16 v58, v2;
	;;#ASMEND
	;;#ASMSTART
	v_cvt_f32_f16 v59, v1;
	;;#ASMEND
	global_load_dwordx4 v[1:4], v[10:11], off offset:1536
	s_waitcnt vmcnt(0)
	v_lshrrev_b32_e32 v60, 16, v1
	v_lshrrev_b32_e32 v11, 16, v2
	;; [unrolled: 1-line block ×3, first 2 shown]
	s_and_saveexec_b32 s9, s1
	s_cbranch_execz .LBB107_49
; %bb.48:                               ;   in Loop: Header=BB107_33 Depth=1
	v_cmp_gt_i32_e32 vcc_lo, s23, v45
	v_and_b32_e32 v61, 0xffff0000, v4
	v_cmp_gt_i32_e64 s2, s23, v43
	v_cndmask_b32_e32 v1, 0, v1, vcc_lo
	v_cmp_gt_i32_e32 vcc_lo, s23, v47
	v_cndmask_b32_e64 v2, 0, v2, s2
	v_cmp_gt_i32_e64 s2, s23, v41
	v_cndmask_b32_e32 v60, 0, v60, vcc_lo
	v_cmp_gt_i32_e32 vcc_lo, s23, v46
	v_cndmask_b32_e64 v11, 0, v11, s2
	v_cndmask_b32_sdwa v4, v30, v4, vcc_lo dst_sel:DWORD dst_unused:UNUSED_PAD src0_sel:DWORD src1_sel:WORD_0
	v_cmp_gt_i32_e32 vcc_lo, s23, v33
	v_cndmask_b32_e32 v61, 0, v61, vcc_lo
	v_cmp_gt_i32_e32 vcc_lo, s23, v36
	v_or_b32_e32 v4, v4, v61
	v_cndmask_b32_e32 v3, 0, v3, vcc_lo
	v_cmp_gt_i32_e32 vcc_lo, s23, v35
	v_cndmask_b32_e32 v10, 0, v10, vcc_lo
.LBB107_49:                             ;   in Loop: Header=BB107_33 Depth=1
	s_or_b32 exec_lo, exec_lo, s9
	v_lshlrev_b32_e32 v10, 16, v10
	v_lshlrev_b32_e32 v60, 16, v60
	v_lshlrev_b32_e32 v11, 16, v11
	v_and_or_b32 v3, 0xffff, v3, v10
	v_add_co_u32 v10, vcc_lo, 0x1000, v8
	v_and_or_b32 v1, 0xffff, v1, v60
	v_and_or_b32 v2, 0xffff, v2, v11
	;;#ASMSTART
	v_pk_mul_f16 v1, v38, v1;

	;;#ASMEND
	v_add_co_ci_u32_e64 v11, null, 0, v9, vcc_lo
	;;#ASMSTART
	v_pk_mul_f16 v2, v37, v2;

	;;#ASMEND
	;;#ASMSTART
	v_pk_mul_f16 v3, v39, v3;

	;;#ASMEND
	;; [unrolled: 4-line block ×3, first 2 shown]
	;;#ASMSTART
	v_pk_add_f16 v1, v1, v2;

	;;#ASMEND
	;;#ASMSTART
	v_pk_add_f16 v1, v1, v3;

	;;#ASMEND
	;; [unrolled: 4-line block ×3, first 2 shown]
	v_lshrrev_b32_e32 v2, 16, v1
	v_and_b32_e32 v1, 0xffff, v1
	;;#ASMSTART
	v_cvt_f32_f16 v60, v1;
	;;#ASMEND
	;;#ASMSTART
	v_cvt_f32_f16 v61, v2;
	;;#ASMEND
	global_load_dwordx4 v[1:4], v[10:11], off
	s_waitcnt vmcnt(0)
	v_lshrrev_b32_e32 v67, 16, v1
	v_lshrrev_b32_e32 v66, 16, v2
	v_lshrrev_b32_e32 v62, 16, v3
	s_and_saveexec_b32 s9, s1
	s_cbranch_execz .LBB107_51
; %bb.50:                               ;   in Loop: Header=BB107_33 Depth=1
	v_cmp_gt_i32_e32 vcc_lo, s23, v45
	v_and_b32_e32 v68, 0xffff0000, v4
	v_cmp_gt_i32_e64 s2, s23, v43
	v_cndmask_b32_e32 v1, 0, v1, vcc_lo
	v_cmp_gt_i32_e32 vcc_lo, s23, v47
	v_cndmask_b32_e64 v2, 0, v2, s2
	v_cmp_gt_i32_e64 s2, s23, v41
	v_cndmask_b32_e32 v67, 0, v67, vcc_lo
	v_cmp_gt_i32_e32 vcc_lo, s23, v46
	v_cndmask_b32_e64 v66, 0, v66, s2
	v_cndmask_b32_sdwa v4, v30, v4, vcc_lo dst_sel:DWORD dst_unused:UNUSED_PAD src0_sel:DWORD src1_sel:WORD_0
	v_cmp_gt_i32_e32 vcc_lo, s23, v33
	v_cndmask_b32_e32 v68, 0, v68, vcc_lo
	v_cmp_gt_i32_e32 vcc_lo, s23, v36
	v_or_b32_e32 v4, v4, v68
	v_cndmask_b32_e32 v3, 0, v3, vcc_lo
	v_cmp_gt_i32_e32 vcc_lo, s23, v35
	v_cndmask_b32_e32 v62, 0, v62, vcc_lo
.LBB107_51:                             ;   in Loop: Header=BB107_33 Depth=1
	s_or_b32 exec_lo, exec_lo, s9
	v_lshlrev_b32_e32 v67, 16, v67
	v_lshlrev_b32_e32 v66, 16, v66
	;; [unrolled: 1-line block ×3, first 2 shown]
	v_and_or_b32 v1, 0xffff, v1, v67
	v_and_or_b32 v2, 0xffff, v2, v66
	;; [unrolled: 1-line block ×3, first 2 shown]
	;;#ASMSTART
	v_pk_mul_f16 v1, v38, v1;

	;;#ASMEND
	;;#ASMSTART
	v_pk_mul_f16 v2, v37, v2;

	;;#ASMEND
	;; [unrolled: 4-line block ×4, first 2 shown]
	;;#ASMSTART
	v_pk_add_f16 v1, v1, v2;

	;;#ASMEND
	;;#ASMSTART
	v_pk_add_f16 v1, v1, v3;

	;;#ASMEND
	;; [unrolled: 4-line block ×3, first 2 shown]
	v_and_b32_e32 v2, 0xffff, v1
	v_lshrrev_b32_e32 v1, 16, v1
	;;#ASMSTART
	v_cvt_f32_f16 v62, v2;
	;;#ASMEND
	;;#ASMSTART
	v_cvt_f32_f16 v66, v1;
	;;#ASMEND
	global_load_dwordx4 v[1:4], v[10:11], off offset:512
	s_waitcnt vmcnt(0)
	v_lshrrev_b32_e32 v69, 16, v1
	v_lshrrev_b32_e32 v68, 16, v2
	;; [unrolled: 1-line block ×3, first 2 shown]
	s_and_saveexec_b32 s9, s1
	s_cbranch_execz .LBB107_53
; %bb.52:                               ;   in Loop: Header=BB107_33 Depth=1
	v_cmp_gt_i32_e32 vcc_lo, s23, v45
	v_and_b32_e32 v70, 0xffff0000, v4
	v_cmp_gt_i32_e64 s2, s23, v43
	v_cndmask_b32_e32 v1, 0, v1, vcc_lo
	v_cmp_gt_i32_e32 vcc_lo, s23, v47
	v_cndmask_b32_e64 v2, 0, v2, s2
	v_cmp_gt_i32_e64 s2, s23, v41
	v_cndmask_b32_e32 v69, 0, v69, vcc_lo
	v_cmp_gt_i32_e32 vcc_lo, s23, v46
	v_cndmask_b32_e64 v68, 0, v68, s2
	v_cndmask_b32_sdwa v4, v30, v4, vcc_lo dst_sel:DWORD dst_unused:UNUSED_PAD src0_sel:DWORD src1_sel:WORD_0
	v_cmp_gt_i32_e32 vcc_lo, s23, v33
	v_cndmask_b32_e32 v70, 0, v70, vcc_lo
	v_cmp_gt_i32_e32 vcc_lo, s23, v36
	v_or_b32_e32 v4, v4, v70
	v_cndmask_b32_e32 v3, 0, v3, vcc_lo
	v_cmp_gt_i32_e32 vcc_lo, s23, v35
	v_cndmask_b32_e32 v67, 0, v67, vcc_lo
.LBB107_53:                             ;   in Loop: Header=BB107_33 Depth=1
	s_or_b32 exec_lo, exec_lo, s9
	v_lshlrev_b32_e32 v69, 16, v69
	v_lshlrev_b32_e32 v68, 16, v68
	;; [unrolled: 1-line block ×3, first 2 shown]
	v_and_or_b32 v1, 0xffff, v1, v69
	v_and_or_b32 v2, 0xffff, v2, v68
	;; [unrolled: 1-line block ×3, first 2 shown]
	;;#ASMSTART
	v_pk_mul_f16 v1, v38, v1;

	;;#ASMEND
	;;#ASMSTART
	v_pk_mul_f16 v2, v37, v2;

	;;#ASMEND
	;;#ASMSTART
	v_pk_mul_f16 v3, v39, v3;

	;;#ASMEND
	;;#ASMSTART
	v_pk_mul_f16 v4, v40, v4;

	;;#ASMEND
	;;#ASMSTART
	v_pk_add_f16 v1, v1, v2;

	;;#ASMEND
	;;#ASMSTART
	v_pk_add_f16 v1, v1, v3;

	;;#ASMEND
	;; [unrolled: 4-line block ×3, first 2 shown]
	v_and_b32_e32 v2, 0xffff, v1
	v_lshrrev_b32_e32 v1, 16, v1
	;;#ASMSTART
	v_cvt_f32_f16 v67, v2;
	;;#ASMEND
	;;#ASMSTART
	v_cvt_f32_f16 v68, v1;
	;;#ASMEND
	global_load_dwordx4 v[1:4], v[10:11], off offset:1024
	s_waitcnt vmcnt(0)
	v_lshrrev_b32_e32 v71, 16, v1
	v_lshrrev_b32_e32 v70, 16, v2
	;; [unrolled: 1-line block ×3, first 2 shown]
	s_and_saveexec_b32 s9, s1
	s_cbranch_execz .LBB107_55
; %bb.54:                               ;   in Loop: Header=BB107_33 Depth=1
	v_cmp_gt_i32_e32 vcc_lo, s23, v45
	v_and_b32_e32 v72, 0xffff0000, v4
	v_cmp_gt_i32_e64 s2, s23, v43
	v_cndmask_b32_e32 v1, 0, v1, vcc_lo
	v_cmp_gt_i32_e32 vcc_lo, s23, v47
	v_cndmask_b32_e64 v2, 0, v2, s2
	v_cmp_gt_i32_e64 s2, s23, v41
	v_cndmask_b32_e32 v71, 0, v71, vcc_lo
	v_cmp_gt_i32_e32 vcc_lo, s23, v46
	v_cndmask_b32_e64 v70, 0, v70, s2
	v_cndmask_b32_sdwa v4, v30, v4, vcc_lo dst_sel:DWORD dst_unused:UNUSED_PAD src0_sel:DWORD src1_sel:WORD_0
	v_cmp_gt_i32_e32 vcc_lo, s23, v33
	v_cndmask_b32_e32 v72, 0, v72, vcc_lo
	v_cmp_gt_i32_e32 vcc_lo, s23, v36
	v_or_b32_e32 v4, v4, v72
	v_cndmask_b32_e32 v3, 0, v3, vcc_lo
	v_cmp_gt_i32_e32 vcc_lo, s23, v35
	v_cndmask_b32_e32 v69, 0, v69, vcc_lo
.LBB107_55:                             ;   in Loop: Header=BB107_33 Depth=1
	s_or_b32 exec_lo, exec_lo, s9
	v_lshlrev_b32_e32 v71, 16, v71
	v_lshlrev_b32_e32 v70, 16, v70
	;; [unrolled: 1-line block ×3, first 2 shown]
	v_and_or_b32 v1, 0xffff, v1, v71
	v_and_or_b32 v2, 0xffff, v2, v70
	;; [unrolled: 1-line block ×3, first 2 shown]
	;;#ASMSTART
	v_pk_mul_f16 v1, v38, v1;

	;;#ASMEND
	;;#ASMSTART
	v_pk_mul_f16 v2, v37, v2;

	;;#ASMEND
	;; [unrolled: 4-line block ×4, first 2 shown]
	;;#ASMSTART
	v_pk_add_f16 v1, v1, v2;

	;;#ASMEND
	;;#ASMSTART
	v_pk_add_f16 v1, v1, v3;

	;;#ASMEND
	;; [unrolled: 4-line block ×3, first 2 shown]
	v_and_b32_e32 v2, 0xffff, v1
	v_lshrrev_b32_e32 v1, 16, v1
	;;#ASMSTART
	v_cvt_f32_f16 v69, v2;
	;;#ASMEND
	;;#ASMSTART
	v_cvt_f32_f16 v70, v1;
	;;#ASMEND
	global_load_dwordx4 v[1:4], v[10:11], off offset:1536
	s_waitcnt vmcnt(0)
	v_lshrrev_b32_e32 v71, 16, v1
	v_lshrrev_b32_e32 v11, 16, v2
	;; [unrolled: 1-line block ×3, first 2 shown]
	s_and_saveexec_b32 s9, s1
	s_cbranch_execz .LBB107_57
; %bb.56:                               ;   in Loop: Header=BB107_33 Depth=1
	v_cmp_gt_i32_e32 vcc_lo, s23, v45
	v_and_b32_e32 v72, 0xffff0000, v4
	v_cmp_gt_i32_e64 s2, s23, v43
	v_cndmask_b32_e32 v1, 0, v1, vcc_lo
	v_cmp_gt_i32_e32 vcc_lo, s23, v47
	v_cndmask_b32_e64 v2, 0, v2, s2
	v_cmp_gt_i32_e64 s2, s23, v41
	v_cndmask_b32_e32 v71, 0, v71, vcc_lo
	v_cmp_gt_i32_e32 vcc_lo, s23, v46
	v_cndmask_b32_e64 v11, 0, v11, s2
	v_cndmask_b32_sdwa v4, v30, v4, vcc_lo dst_sel:DWORD dst_unused:UNUSED_PAD src0_sel:DWORD src1_sel:WORD_0
	v_cmp_gt_i32_e32 vcc_lo, s23, v33
	v_cndmask_b32_e32 v72, 0, v72, vcc_lo
	v_cmp_gt_i32_e32 vcc_lo, s23, v36
	v_or_b32_e32 v4, v4, v72
	v_cndmask_b32_e32 v3, 0, v3, vcc_lo
	v_cmp_gt_i32_e32 vcc_lo, s23, v35
	v_cndmask_b32_e32 v10, 0, v10, vcc_lo
.LBB107_57:                             ;   in Loop: Header=BB107_33 Depth=1
	s_or_b32 exec_lo, exec_lo, s9
	v_lshlrev_b32_e32 v71, 16, v71
	v_lshlrev_b32_e32 v11, 16, v11
	;; [unrolled: 1-line block ×3, first 2 shown]
	v_add_co_u32 v8, vcc_lo, 0x1800, v8
	v_and_or_b32 v1, 0xffff, v1, v71
	v_and_or_b32 v2, 0xffff, v2, v11
	;; [unrolled: 1-line block ×3, first 2 shown]
	;;#ASMSTART
	v_pk_mul_f16 v1, v38, v1;

	;;#ASMEND
	v_add_co_ci_u32_e64 v9, null, 0, v9, vcc_lo
	;;#ASMSTART
	v_pk_mul_f16 v2, v37, v2;

	;;#ASMEND
	;;#ASMSTART
	v_pk_mul_f16 v3, v39, v3;

	;;#ASMEND
	;; [unrolled: 4-line block ×3, first 2 shown]
	;;#ASMSTART
	v_pk_add_f16 v1, v1, v2;

	;;#ASMEND
	;;#ASMSTART
	v_pk_add_f16 v1, v1, v3;

	;;#ASMEND
	;; [unrolled: 4-line block ×3, first 2 shown]
	v_lshrrev_b32_e32 v2, 16, v1
	v_and_b32_e32 v1, 0xffff, v1
	;;#ASMSTART
	v_cvt_f32_f16 v10, v1;
	;;#ASMEND
	;;#ASMSTART
	v_cvt_f32_f16 v11, v2;
	;;#ASMEND
	global_load_dwordx4 v[1:4], v[8:9], off
	s_waitcnt vmcnt(0)
	v_lshrrev_b32_e32 v73, 16, v1
	v_lshrrev_b32_e32 v72, 16, v2
	;; [unrolled: 1-line block ×3, first 2 shown]
	s_and_saveexec_b32 s9, s1
	s_cbranch_execz .LBB107_59
; %bb.58:                               ;   in Loop: Header=BB107_33 Depth=1
	v_cmp_gt_i32_e32 vcc_lo, s23, v45
	v_and_b32_e32 v74, 0xffff0000, v4
	v_cmp_gt_i32_e64 s2, s23, v43
	v_cndmask_b32_e32 v1, 0, v1, vcc_lo
	v_cmp_gt_i32_e32 vcc_lo, s23, v47
	v_cndmask_b32_e64 v2, 0, v2, s2
	v_cmp_gt_i32_e64 s2, s23, v41
	v_cndmask_b32_e32 v73, 0, v73, vcc_lo
	v_cmp_gt_i32_e32 vcc_lo, s23, v46
	v_cndmask_b32_e64 v72, 0, v72, s2
	v_cndmask_b32_sdwa v4, v30, v4, vcc_lo dst_sel:DWORD dst_unused:UNUSED_PAD src0_sel:DWORD src1_sel:WORD_0
	v_cmp_gt_i32_e32 vcc_lo, s23, v33
	v_cndmask_b32_e32 v74, 0, v74, vcc_lo
	v_cmp_gt_i32_e32 vcc_lo, s23, v36
	v_or_b32_e32 v4, v4, v74
	v_cndmask_b32_e32 v3, 0, v3, vcc_lo
	v_cmp_gt_i32_e32 vcc_lo, s23, v35
	v_cndmask_b32_e32 v71, 0, v71, vcc_lo
.LBB107_59:                             ;   in Loop: Header=BB107_33 Depth=1
	s_or_b32 exec_lo, exec_lo, s9
	v_lshlrev_b32_e32 v73, 16, v73
	v_lshlrev_b32_e32 v72, 16, v72
	;; [unrolled: 1-line block ×3, first 2 shown]
	v_and_or_b32 v1, 0xffff, v1, v73
	v_and_or_b32 v2, 0xffff, v2, v72
	;; [unrolled: 1-line block ×3, first 2 shown]
	;;#ASMSTART
	v_pk_mul_f16 v1, v38, v1;

	;;#ASMEND
	;;#ASMSTART
	v_pk_mul_f16 v2, v37, v2;

	;;#ASMEND
	;; [unrolled: 4-line block ×4, first 2 shown]
	;;#ASMSTART
	v_pk_add_f16 v1, v1, v2;

	;;#ASMEND
	;;#ASMSTART
	v_pk_add_f16 v1, v1, v3;

	;;#ASMEND
	;; [unrolled: 4-line block ×3, first 2 shown]
	v_and_b32_e32 v2, 0xffff, v1
	v_lshrrev_b32_e32 v1, 16, v1
	;;#ASMSTART
	v_cvt_f32_f16 v71, v2;
	;;#ASMEND
	;;#ASMSTART
	v_cvt_f32_f16 v72, v1;
	;;#ASMEND
	global_load_dwordx4 v[1:4], v[8:9], off offset:512
	s_waitcnt vmcnt(0)
	v_lshrrev_b32_e32 v75, 16, v1
	v_lshrrev_b32_e32 v74, 16, v2
	;; [unrolled: 1-line block ×3, first 2 shown]
	s_and_saveexec_b32 s9, s1
	s_cbranch_execz .LBB107_61
; %bb.60:                               ;   in Loop: Header=BB107_33 Depth=1
	v_cmp_gt_i32_e32 vcc_lo, s23, v45
	v_and_b32_e32 v76, 0xffff0000, v4
	v_cmp_gt_i32_e64 s2, s23, v43
	v_cndmask_b32_e32 v1, 0, v1, vcc_lo
	v_cmp_gt_i32_e32 vcc_lo, s23, v47
	v_cndmask_b32_e64 v2, 0, v2, s2
	v_cmp_gt_i32_e64 s2, s23, v41
	v_cndmask_b32_e32 v75, 0, v75, vcc_lo
	v_cmp_gt_i32_e32 vcc_lo, s23, v46
	v_cndmask_b32_e64 v74, 0, v74, s2
	v_cndmask_b32_sdwa v4, v30, v4, vcc_lo dst_sel:DWORD dst_unused:UNUSED_PAD src0_sel:DWORD src1_sel:WORD_0
	v_cmp_gt_i32_e32 vcc_lo, s23, v33
	v_cndmask_b32_e32 v76, 0, v76, vcc_lo
	v_cmp_gt_i32_e32 vcc_lo, s23, v36
	v_or_b32_e32 v4, v4, v76
	v_cndmask_b32_e32 v3, 0, v3, vcc_lo
	v_cmp_gt_i32_e32 vcc_lo, s23, v35
	v_cndmask_b32_e32 v73, 0, v73, vcc_lo
.LBB107_61:                             ;   in Loop: Header=BB107_33 Depth=1
	s_or_b32 exec_lo, exec_lo, s9
	v_lshlrev_b32_e32 v75, 16, v75
	v_lshlrev_b32_e32 v74, 16, v74
	;; [unrolled: 1-line block ×3, first 2 shown]
	v_and_or_b32 v1, 0xffff, v1, v75
	v_and_or_b32 v2, 0xffff, v2, v74
	;; [unrolled: 1-line block ×3, first 2 shown]
	;;#ASMSTART
	v_pk_mul_f16 v1, v38, v1;

	;;#ASMEND
	;;#ASMSTART
	v_pk_mul_f16 v2, v37, v2;

	;;#ASMEND
	;; [unrolled: 4-line block ×4, first 2 shown]
	;;#ASMSTART
	v_pk_add_f16 v1, v1, v2;

	;;#ASMEND
	;;#ASMSTART
	v_pk_add_f16 v1, v1, v3;

	;;#ASMEND
	;; [unrolled: 4-line block ×3, first 2 shown]
	v_and_b32_e32 v2, 0xffff, v1
	v_lshrrev_b32_e32 v1, 16, v1
	;;#ASMSTART
	v_cvt_f32_f16 v73, v2;
	;;#ASMEND
	;;#ASMSTART
	v_cvt_f32_f16 v74, v1;
	;;#ASMEND
	global_load_dwordx4 v[1:4], v[8:9], off offset:1024
	s_waitcnt vmcnt(0)
	v_lshrrev_b32_e32 v77, 16, v1
	v_lshrrev_b32_e32 v76, 16, v2
	v_lshrrev_b32_e32 v75, 16, v3
	s_and_saveexec_b32 s9, s1
	s_cbranch_execz .LBB107_63
; %bb.62:                               ;   in Loop: Header=BB107_33 Depth=1
	v_cmp_gt_i32_e32 vcc_lo, s23, v45
	v_and_b32_e32 v78, 0xffff0000, v4
	v_cmp_gt_i32_e64 s2, s23, v43
	v_cndmask_b32_e32 v1, 0, v1, vcc_lo
	v_cmp_gt_i32_e32 vcc_lo, s23, v47
	v_cndmask_b32_e64 v2, 0, v2, s2
	v_cmp_gt_i32_e64 s2, s23, v41
	v_cndmask_b32_e32 v77, 0, v77, vcc_lo
	v_cmp_gt_i32_e32 vcc_lo, s23, v46
	v_cndmask_b32_e64 v76, 0, v76, s2
	v_cndmask_b32_sdwa v4, v30, v4, vcc_lo dst_sel:DWORD dst_unused:UNUSED_PAD src0_sel:DWORD src1_sel:WORD_0
	v_cmp_gt_i32_e32 vcc_lo, s23, v33
	v_cndmask_b32_e32 v78, 0, v78, vcc_lo
	v_cmp_gt_i32_e32 vcc_lo, s23, v36
	v_or_b32_e32 v4, v4, v78
	v_cndmask_b32_e32 v3, 0, v3, vcc_lo
	v_cmp_gt_i32_e32 vcc_lo, s23, v35
	v_cndmask_b32_e32 v75, 0, v75, vcc_lo
.LBB107_63:                             ;   in Loop: Header=BB107_33 Depth=1
	s_or_b32 exec_lo, exec_lo, s9
	v_lshlrev_b32_e32 v77, 16, v77
	v_lshlrev_b32_e32 v76, 16, v76
	v_lshlrev_b32_e32 v75, 16, v75
	v_and_or_b32 v1, 0xffff, v1, v77
	v_and_or_b32 v2, 0xffff, v2, v76
	;; [unrolled: 1-line block ×3, first 2 shown]
	;;#ASMSTART
	v_pk_mul_f16 v1, v38, v1;

	;;#ASMEND
	;;#ASMSTART
	v_pk_mul_f16 v2, v37, v2;

	;;#ASMEND
	;; [unrolled: 4-line block ×4, first 2 shown]
	;;#ASMSTART
	v_pk_add_f16 v1, v1, v2;

	;;#ASMEND
	;;#ASMSTART
	v_pk_add_f16 v1, v1, v3;

	;;#ASMEND
	;; [unrolled: 4-line block ×3, first 2 shown]
	v_and_b32_e32 v2, 0xffff, v1
	v_lshrrev_b32_e32 v1, 16, v1
	;;#ASMSTART
	v_cvt_f32_f16 v76, v2;
	;;#ASMEND
	;;#ASMSTART
	v_cvt_f32_f16 v77, v1;
	;;#ASMEND
	global_load_dwordx4 v[1:4], v[8:9], off offset:1536
	s_waitcnt vmcnt(0)
	v_lshrrev_b32_e32 v75, 16, v1
	v_lshrrev_b32_e32 v9, 16, v2
	;; [unrolled: 1-line block ×3, first 2 shown]
	s_and_saveexec_b32 s2, s1
	s_cbranch_execz .LBB107_32
; %bb.64:                               ;   in Loop: Header=BB107_33 Depth=1
	v_cmp_gt_i32_e32 vcc_lo, s23, v45
	v_cmp_gt_i32_e64 s1, s23, v43
	v_cndmask_b32_e32 v1, 0, v1, vcc_lo
	v_cmp_gt_i32_e32 vcc_lo, s23, v47
	v_cndmask_b32_e64 v2, 0, v2, s1
	v_cmp_gt_i32_e64 s1, s23, v41
	v_and_b32_e32 v41, 0xffff0000, v4
	v_cndmask_b32_e32 v75, 0, v75, vcc_lo
	v_cmp_gt_i32_e32 vcc_lo, s23, v46
	v_cndmask_b32_e64 v9, 0, v9, s1
	v_cndmask_b32_sdwa v4, v30, v4, vcc_lo dst_sel:DWORD dst_unused:UNUSED_PAD src0_sel:DWORD src1_sel:WORD_0
	v_cmp_gt_i32_e32 vcc_lo, s23, v33
	v_cndmask_b32_e32 v41, 0, v41, vcc_lo
	v_cmp_gt_i32_e32 vcc_lo, s23, v36
	v_or_b32_e32 v4, v4, v41
	v_cndmask_b32_e32 v3, 0, v3, vcc_lo
	v_cmp_gt_i32_e32 vcc_lo, s23, v35
	v_cndmask_b32_e32 v8, 0, v8, vcc_lo
	s_branch .LBB107_32
.LBB107_65:
	s_or_b32 exec_lo, exec_lo, s5
.LBB107_66:
	s_or_b32 exec_lo, exec_lo, s3
	ds_bpermute_b32 v1, v13, v28
	ds_bpermute_b32 v2, v13, v29
	;; [unrolled: 1-line block ×16, first 2 shown]
	v_lshrrev_b32_e32 v12, 1, v12
	s_mov_b32 s1, exec_lo
	s_waitcnt lgkmcnt(0)
	s_waitcnt_vscnt null, 0x0
	s_barrier
	v_add_f32_e32 v30, v28, v1
	v_add_f32_e32 v28, v29, v2
	;; [unrolled: 1-line block ×14, first 2 shown]
	v_and_b32_e32 v16, 0x3c1, v0
	v_add_f32_e32 v6, v15, v37
	v_add_f32_e32 v3, v14, v38
	v_lshl_add_u32 v14, v12, 2, 0x220
	v_lshlrev_b32_e32 v15, 10, v65
	buffer_gl0_inv
	v_cmpx_eq_u32_e32 64, v16
	s_cbranch_execz .LBB107_68
; %bb.67:
	v_add_nc_u32_e32 v16, v14, v15
	v_add_nc_u32_e32 v17, 0xfffff800, v16
	;; [unrolled: 1-line block ×7, first 2 shown]
	ds_write_b32 v17, v30
	ds_write_b32 v18, v28
	;; [unrolled: 1-line block ×6, first 2 shown]
	v_add_nc_u32_e32 v17, 0xfffff980, v16
	v_add_nc_u32_e32 v18, 0xfffff9c0, v16
	;; [unrolled: 1-line block ×5, first 2 shown]
	ds_write_b32 v17, v10
	ds_write_b32 v18, v9
	;; [unrolled: 1-line block ×5, first 2 shown]
	v_add_nc_u32_e32 v17, 0xfffffac0, v16
	v_add_nc_u32_e32 v18, 0xfffffb00, v16
	;; [unrolled: 1-line block ×5, first 2 shown]
	ds_write_b32 v17, v2
	ds_write_b32 v18, v1
	;; [unrolled: 1-line block ×5, first 2 shown]
.LBB107_68:
	s_or_b32 exec_lo, exec_lo, s1
	v_lshlrev_b32_e32 v12, 2, v12
	v_cmp_eq_u32_e32 vcc_lo, 0, v64
	s_waitcnt lgkmcnt(0)
	s_barrier
	buffer_gl0_inv
	v_add3_u32 v12, 0x220, v15, v12
	s_and_saveexec_b32 s1, s0
	s_cbranch_execz .LBB107_87
; %bb.69:
	s_and_saveexec_b32 s0, vcc_lo
	s_cbranch_execnz .LBB107_111
; %bb.70:
	s_or_b32 exec_lo, exec_lo, s0
	s_and_saveexec_b32 s0, vcc_lo
	s_cbranch_execnz .LBB107_112
.LBB107_71:
	s_or_b32 exec_lo, exec_lo, s0
	s_and_saveexec_b32 s0, vcc_lo
	s_cbranch_execnz .LBB107_113
.LBB107_72:
	s_or_b32 exec_lo, exec_lo, s0
	s_and_saveexec_b32 s0, vcc_lo
	s_cbranch_execnz .LBB107_114
.LBB107_73:
	s_or_b32 exec_lo, exec_lo, s0
	s_and_saveexec_b32 s0, vcc_lo
	s_cbranch_execnz .LBB107_115
.LBB107_74:
	s_or_b32 exec_lo, exec_lo, s0
	s_and_saveexec_b32 s0, vcc_lo
	s_cbranch_execnz .LBB107_116
.LBB107_75:
	s_or_b32 exec_lo, exec_lo, s0
	s_and_saveexec_b32 s0, vcc_lo
	s_cbranch_execnz .LBB107_117
.LBB107_76:
	s_or_b32 exec_lo, exec_lo, s0
	s_and_saveexec_b32 s0, vcc_lo
	s_cbranch_execnz .LBB107_118
.LBB107_77:
	s_or_b32 exec_lo, exec_lo, s0
	s_and_saveexec_b32 s0, vcc_lo
	s_cbranch_execnz .LBB107_119
.LBB107_78:
	s_or_b32 exec_lo, exec_lo, s0
	s_and_saveexec_b32 s0, vcc_lo
	s_cbranch_execnz .LBB107_120
.LBB107_79:
	s_or_b32 exec_lo, exec_lo, s0
	s_and_saveexec_b32 s0, vcc_lo
	s_cbranch_execnz .LBB107_121
.LBB107_80:
	s_or_b32 exec_lo, exec_lo, s0
	s_and_saveexec_b32 s0, vcc_lo
	s_cbranch_execnz .LBB107_122
.LBB107_81:
	s_or_b32 exec_lo, exec_lo, s0
	s_and_saveexec_b32 s0, vcc_lo
	s_cbranch_execnz .LBB107_123
.LBB107_82:
	s_or_b32 exec_lo, exec_lo, s0
	s_and_saveexec_b32 s0, vcc_lo
	s_cbranch_execnz .LBB107_124
.LBB107_83:
	s_or_b32 exec_lo, exec_lo, s0
	s_and_saveexec_b32 s0, vcc_lo
	s_cbranch_execnz .LBB107_125
.LBB107_84:
	s_or_b32 exec_lo, exec_lo, s0
	s_and_saveexec_b32 s0, vcc_lo
	s_cbranch_execz .LBB107_86
.LBB107_85:
	ds_read_b32 v15, v12 offset:960
	s_waitcnt lgkmcnt(0)
	v_add_f32_e32 v3, v3, v15
.LBB107_86:
	s_or_b32 exec_lo, exec_lo, s0
.LBB107_87:
	s_or_b32 exec_lo, exec_lo, s1
	v_and_b32_e32 v15, 0x3e1, v0
	s_mov_b32 s1, exec_lo
	s_barrier
	buffer_gl0_inv
	v_cmpx_eq_u32_e32 32, v15
	s_cbranch_execz .LBB107_89
; %bb.88:
	ds_write2_b32 v14, v30, v28 offset1:16
	ds_write2_b32 v14, v27, v26 offset0:32 offset1:48
	ds_write2_b32 v14, v13, v11 offset0:64 offset1:80
	;; [unrolled: 1-line block ×7, first 2 shown]
.LBB107_89:
	s_or_b32 exec_lo, exec_lo, s1
	s_mov_b32 s1, exec_lo
	s_waitcnt lgkmcnt(0)
	s_barrier
	buffer_gl0_inv
	v_cmpx_gt_u32_e32 32, v0
	s_cbranch_execz .LBB107_108
; %bb.90:
	s_and_saveexec_b32 s0, vcc_lo
	s_cbranch_execnz .LBB107_126
; %bb.91:
	s_or_b32 exec_lo, exec_lo, s0
	s_and_saveexec_b32 s0, vcc_lo
	s_cbranch_execnz .LBB107_127
.LBB107_92:
	s_or_b32 exec_lo, exec_lo, s0
	s_and_saveexec_b32 s0, vcc_lo
	s_cbranch_execnz .LBB107_128
.LBB107_93:
	s_or_b32 exec_lo, exec_lo, s0
	s_and_saveexec_b32 s0, vcc_lo
	s_cbranch_execnz .LBB107_129
.LBB107_94:
	s_or_b32 exec_lo, exec_lo, s0
	s_and_saveexec_b32 s0, vcc_lo
	s_cbranch_execnz .LBB107_130
.LBB107_95:
	s_or_b32 exec_lo, exec_lo, s0
	s_and_saveexec_b32 s0, vcc_lo
	s_cbranch_execnz .LBB107_131
.LBB107_96:
	s_or_b32 exec_lo, exec_lo, s0
	s_and_saveexec_b32 s0, vcc_lo
	s_cbranch_execnz .LBB107_132
.LBB107_97:
	s_or_b32 exec_lo, exec_lo, s0
	s_and_saveexec_b32 s0, vcc_lo
	s_cbranch_execnz .LBB107_133
.LBB107_98:
	s_or_b32 exec_lo, exec_lo, s0
	s_and_saveexec_b32 s0, vcc_lo
	s_cbranch_execnz .LBB107_134
.LBB107_99:
	s_or_b32 exec_lo, exec_lo, s0
	s_and_saveexec_b32 s0, vcc_lo
	s_cbranch_execnz .LBB107_135
.LBB107_100:
	s_or_b32 exec_lo, exec_lo, s0
	s_and_saveexec_b32 s0, vcc_lo
	s_cbranch_execnz .LBB107_136
.LBB107_101:
	s_or_b32 exec_lo, exec_lo, s0
	s_and_saveexec_b32 s0, vcc_lo
	s_cbranch_execnz .LBB107_137
.LBB107_102:
	s_or_b32 exec_lo, exec_lo, s0
	s_and_saveexec_b32 s0, vcc_lo
	s_cbranch_execnz .LBB107_138
.LBB107_103:
	s_or_b32 exec_lo, exec_lo, s0
	s_and_saveexec_b32 s0, vcc_lo
	s_cbranch_execnz .LBB107_139
.LBB107_104:
	s_or_b32 exec_lo, exec_lo, s0
	s_and_saveexec_b32 s0, vcc_lo
	s_cbranch_execnz .LBB107_140
.LBB107_105:
	s_or_b32 exec_lo, exec_lo, s0
	s_and_saveexec_b32 s0, vcc_lo
	s_cbranch_execz .LBB107_107
.LBB107_106:
	ds_read_b32 v0, v12 offset:960
	s_waitcnt lgkmcnt(0)
	v_add_f32_e32 v3, v3, v0
.LBB107_107:
	s_or_b32 exec_lo, exec_lo, s0
.LBB107_108:
	s_or_b32 exec_lo, exec_lo, s1
	s_barrier
	buffer_gl0_inv
	s_mov_b32 s0, exec_lo
	v_cmpx_eq_u32_e32 0, v15
	s_cbranch_execz .LBB107_110
; %bb.109:
	s_lshl_b32 s0, s4, 8
	s_mul_i32 s2, s7, s10
	s_ashr_i32 s1, s0, 31
	v_lshlrev_b32_e32 v0, 1, v63
	s_lshl_b64 s[0:1], s[0:1], 1
	;;#ASMSTART
	v_cvt_f16_f32 v12, v30;

	;;#ASMEND
	s_add_u32 s4, s20, s0
	s_addc_u32 s5, s21, s1
	s_ashr_i32 s3, s2, 31
	s_lshl_b64 s[0:1], s[2:3], 1
	s_add_u32 s2, s4, s0
	s_addc_u32 s3, s5, s1
	s_lshl_b32 s0, s8, 8
	s_ashr_i32 s1, s0, 31
	s_lshl_b64 s[0:1], s[0:1], 1
	s_add_u32 s0, s2, s0
	s_addc_u32 s1, s3, s1
	global_store_short v0, v12, s[0:1]
	;;#ASMSTART
	v_cvt_f16_f32 v12, v28;

	;;#ASMEND
	global_store_short v0, v12, s[0:1] offset:32
	;;#ASMSTART
	v_cvt_f16_f32 v12, v27;

	;;#ASMEND
	global_store_short v0, v12, s[0:1] offset:64
	;; [unrolled: 5-line block ×15, first 2 shown]
.LBB107_110:
	s_endpgm
.LBB107_111:
	ds_read_b32 v15, v12
	s_waitcnt lgkmcnt(0)
	v_add_f32_e32 v30, v30, v15
	s_or_b32 exec_lo, exec_lo, s0
	s_and_saveexec_b32 s0, vcc_lo
	s_cbranch_execz .LBB107_71
.LBB107_112:
	ds_read_b32 v15, v12 offset:64
	s_waitcnt lgkmcnt(0)
	v_add_f32_e32 v28, v28, v15
	s_or_b32 exec_lo, exec_lo, s0
	s_and_saveexec_b32 s0, vcc_lo
	s_cbranch_execz .LBB107_72
.LBB107_113:
	ds_read_b32 v15, v12 offset:128
	s_waitcnt lgkmcnt(0)
	v_add_f32_e32 v27, v27, v15
	s_or_b32 exec_lo, exec_lo, s0
	s_and_saveexec_b32 s0, vcc_lo
	s_cbranch_execz .LBB107_73
.LBB107_114:
	ds_read_b32 v15, v12 offset:192
	s_waitcnt lgkmcnt(0)
	v_add_f32_e32 v26, v26, v15
	s_or_b32 exec_lo, exec_lo, s0
	s_and_saveexec_b32 s0, vcc_lo
	s_cbranch_execz .LBB107_74
.LBB107_115:
	ds_read_b32 v15, v12 offset:256
	s_waitcnt lgkmcnt(0)
	v_add_f32_e32 v13, v13, v15
	s_or_b32 exec_lo, exec_lo, s0
	s_and_saveexec_b32 s0, vcc_lo
	s_cbranch_execz .LBB107_75
.LBB107_116:
	ds_read_b32 v15, v12 offset:320
	s_waitcnt lgkmcnt(0)
	v_add_f32_e32 v11, v11, v15
	s_or_b32 exec_lo, exec_lo, s0
	s_and_saveexec_b32 s0, vcc_lo
	s_cbranch_execz .LBB107_76
.LBB107_117:
	ds_read_b32 v15, v12 offset:384
	s_waitcnt lgkmcnt(0)
	v_add_f32_e32 v10, v10, v15
	s_or_b32 exec_lo, exec_lo, s0
	s_and_saveexec_b32 s0, vcc_lo
	s_cbranch_execz .LBB107_77
.LBB107_118:
	ds_read_b32 v15, v12 offset:448
	s_waitcnt lgkmcnt(0)
	v_add_f32_e32 v9, v9, v15
	s_or_b32 exec_lo, exec_lo, s0
	s_and_saveexec_b32 s0, vcc_lo
	s_cbranch_execz .LBB107_78
.LBB107_119:
	ds_read_b32 v15, v12 offset:512
	s_waitcnt lgkmcnt(0)
	v_add_f32_e32 v8, v8, v15
	s_or_b32 exec_lo, exec_lo, s0
	s_and_saveexec_b32 s0, vcc_lo
	s_cbranch_execz .LBB107_79
.LBB107_120:
	ds_read_b32 v15, v12 offset:576
	s_waitcnt lgkmcnt(0)
	v_add_f32_e32 v7, v7, v15
	s_or_b32 exec_lo, exec_lo, s0
	s_and_saveexec_b32 s0, vcc_lo
	s_cbranch_execz .LBB107_80
.LBB107_121:
	ds_read_b32 v15, v12 offset:640
	s_waitcnt lgkmcnt(0)
	v_add_f32_e32 v5, v5, v15
	s_or_b32 exec_lo, exec_lo, s0
	s_and_saveexec_b32 s0, vcc_lo
	s_cbranch_execz .LBB107_81
.LBB107_122:
	ds_read_b32 v15, v12 offset:704
	s_waitcnt lgkmcnt(0)
	v_add_f32_e32 v2, v2, v15
	s_or_b32 exec_lo, exec_lo, s0
	s_and_saveexec_b32 s0, vcc_lo
	s_cbranch_execz .LBB107_82
.LBB107_123:
	ds_read_b32 v15, v12 offset:768
	s_waitcnt lgkmcnt(0)
	v_add_f32_e32 v1, v1, v15
	s_or_b32 exec_lo, exec_lo, s0
	s_and_saveexec_b32 s0, vcc_lo
	s_cbranch_execz .LBB107_83
.LBB107_124:
	ds_read_b32 v15, v12 offset:832
	s_waitcnt lgkmcnt(0)
	v_add_f32_e32 v4, v4, v15
	s_or_b32 exec_lo, exec_lo, s0
	s_and_saveexec_b32 s0, vcc_lo
	s_cbranch_execz .LBB107_84
.LBB107_125:
	ds_read_b32 v15, v12 offset:896
	s_waitcnt lgkmcnt(0)
	v_add_f32_e32 v6, v6, v15
	s_or_b32 exec_lo, exec_lo, s0
	s_and_saveexec_b32 s0, vcc_lo
	s_cbranch_execnz .LBB107_85
	s_branch .LBB107_86
.LBB107_126:
	ds_read_b32 v0, v12
	s_waitcnt lgkmcnt(0)
	v_add_f32_e32 v30, v30, v0
	s_or_b32 exec_lo, exec_lo, s0
	s_and_saveexec_b32 s0, vcc_lo
	s_cbranch_execz .LBB107_92
.LBB107_127:
	ds_read_b32 v0, v12 offset:64
	s_waitcnt lgkmcnt(0)
	v_add_f32_e32 v28, v28, v0
	s_or_b32 exec_lo, exec_lo, s0
	s_and_saveexec_b32 s0, vcc_lo
	s_cbranch_execz .LBB107_93
.LBB107_128:
	ds_read_b32 v0, v12 offset:128
	s_waitcnt lgkmcnt(0)
	v_add_f32_e32 v27, v27, v0
	s_or_b32 exec_lo, exec_lo, s0
	s_and_saveexec_b32 s0, vcc_lo
	s_cbranch_execz .LBB107_94
.LBB107_129:
	ds_read_b32 v0, v12 offset:192
	s_waitcnt lgkmcnt(0)
	v_add_f32_e32 v26, v26, v0
	s_or_b32 exec_lo, exec_lo, s0
	s_and_saveexec_b32 s0, vcc_lo
	s_cbranch_execz .LBB107_95
.LBB107_130:
	ds_read_b32 v0, v12 offset:256
	s_waitcnt lgkmcnt(0)
	v_add_f32_e32 v13, v13, v0
	s_or_b32 exec_lo, exec_lo, s0
	s_and_saveexec_b32 s0, vcc_lo
	s_cbranch_execz .LBB107_96
.LBB107_131:
	ds_read_b32 v0, v12 offset:320
	s_waitcnt lgkmcnt(0)
	v_add_f32_e32 v11, v11, v0
	s_or_b32 exec_lo, exec_lo, s0
	s_and_saveexec_b32 s0, vcc_lo
	s_cbranch_execz .LBB107_97
.LBB107_132:
	ds_read_b32 v0, v12 offset:384
	s_waitcnt lgkmcnt(0)
	v_add_f32_e32 v10, v10, v0
	s_or_b32 exec_lo, exec_lo, s0
	s_and_saveexec_b32 s0, vcc_lo
	s_cbranch_execz .LBB107_98
.LBB107_133:
	ds_read_b32 v0, v12 offset:448
	s_waitcnt lgkmcnt(0)
	v_add_f32_e32 v9, v9, v0
	s_or_b32 exec_lo, exec_lo, s0
	s_and_saveexec_b32 s0, vcc_lo
	s_cbranch_execz .LBB107_99
.LBB107_134:
	ds_read_b32 v0, v12 offset:512
	s_waitcnt lgkmcnt(0)
	v_add_f32_e32 v8, v8, v0
	s_or_b32 exec_lo, exec_lo, s0
	s_and_saveexec_b32 s0, vcc_lo
	s_cbranch_execz .LBB107_100
.LBB107_135:
	ds_read_b32 v0, v12 offset:576
	s_waitcnt lgkmcnt(0)
	v_add_f32_e32 v7, v7, v0
	s_or_b32 exec_lo, exec_lo, s0
	s_and_saveexec_b32 s0, vcc_lo
	s_cbranch_execz .LBB107_101
.LBB107_136:
	ds_read_b32 v0, v12 offset:640
	s_waitcnt lgkmcnt(0)
	v_add_f32_e32 v5, v5, v0
	s_or_b32 exec_lo, exec_lo, s0
	s_and_saveexec_b32 s0, vcc_lo
	s_cbranch_execz .LBB107_102
.LBB107_137:
	ds_read_b32 v0, v12 offset:704
	s_waitcnt lgkmcnt(0)
	v_add_f32_e32 v2, v2, v0
	s_or_b32 exec_lo, exec_lo, s0
	s_and_saveexec_b32 s0, vcc_lo
	s_cbranch_execz .LBB107_103
.LBB107_138:
	ds_read_b32 v0, v12 offset:768
	s_waitcnt lgkmcnt(0)
	v_add_f32_e32 v1, v1, v0
	s_or_b32 exec_lo, exec_lo, s0
	s_and_saveexec_b32 s0, vcc_lo
	s_cbranch_execz .LBB107_104
.LBB107_139:
	ds_read_b32 v0, v12 offset:832
	s_waitcnt lgkmcnt(0)
	v_add_f32_e32 v4, v4, v0
	s_or_b32 exec_lo, exec_lo, s0
	s_and_saveexec_b32 s0, vcc_lo
	s_cbranch_execz .LBB107_105
.LBB107_140:
	ds_read_b32 v0, v12 offset:896
	s_waitcnt lgkmcnt(0)
	v_add_f32_e32 v6, v6, v0
	s_or_b32 exec_lo, exec_lo, s0
	s_and_saveexec_b32 s0, vcc_lo
	s_cbranch_execnz .LBB107_106
	s_branch .LBB107_107
	.section	.rodata,"a",@progbits
	.p2align	6, 0x0
	.amdhsa_kernel _ZN4vllm25paged_attention_v2_kernelIttLi256ELi16ELi128ELNS_18Fp8KVCacheDataTypeE0ELb0ELi512EEEvPfS2_PT_PKS3_PKT0_S9_ifPKiSB_iPKfiiiSD_SD_iiiii
		.amdhsa_group_segment_fixed_size 544
		.amdhsa_private_segment_fixed_size 0
		.amdhsa_kernarg_size 400
		.amdhsa_user_sgpr_count 6
		.amdhsa_user_sgpr_private_segment_buffer 1
		.amdhsa_user_sgpr_dispatch_ptr 0
		.amdhsa_user_sgpr_queue_ptr 0
		.amdhsa_user_sgpr_kernarg_segment_ptr 1
		.amdhsa_user_sgpr_dispatch_id 0
		.amdhsa_user_sgpr_flat_scratch_init 0
		.amdhsa_user_sgpr_private_segment_size 0
		.amdhsa_wavefront_size32 1
		.amdhsa_uses_dynamic_stack 0
		.amdhsa_system_sgpr_private_segment_wavefront_offset 0
		.amdhsa_system_sgpr_workgroup_id_x 1
		.amdhsa_system_sgpr_workgroup_id_y 1
		.amdhsa_system_sgpr_workgroup_id_z 1
		.amdhsa_system_sgpr_workgroup_info 0
		.amdhsa_system_vgpr_workitem_id 0
		.amdhsa_next_free_vgpr 110
		.amdhsa_next_free_sgpr 38
		.amdhsa_reserve_vcc 1
		.amdhsa_reserve_flat_scratch 0
		.amdhsa_float_round_mode_32 0
		.amdhsa_float_round_mode_16_64 0
		.amdhsa_float_denorm_mode_32 3
		.amdhsa_float_denorm_mode_16_64 3
		.amdhsa_dx10_clamp 1
		.amdhsa_ieee_mode 1
		.amdhsa_fp16_overflow 0
		.amdhsa_workgroup_processor_mode 1
		.amdhsa_memory_ordered 1
		.amdhsa_forward_progress 1
		.amdhsa_shared_vgpr_count 0
		.amdhsa_exception_fp_ieee_invalid_op 0
		.amdhsa_exception_fp_denorm_src 0
		.amdhsa_exception_fp_ieee_div_zero 0
		.amdhsa_exception_fp_ieee_overflow 0
		.amdhsa_exception_fp_ieee_underflow 0
		.amdhsa_exception_fp_ieee_inexact 0
		.amdhsa_exception_int_div_zero 0
	.end_amdhsa_kernel
	.section	.text._ZN4vllm25paged_attention_v2_kernelIttLi256ELi16ELi128ELNS_18Fp8KVCacheDataTypeE0ELb0ELi512EEEvPfS2_PT_PKS3_PKT0_S9_ifPKiSB_iPKfiiiSD_SD_iiiii,"axG",@progbits,_ZN4vllm25paged_attention_v2_kernelIttLi256ELi16ELi128ELNS_18Fp8KVCacheDataTypeE0ELb0ELi512EEEvPfS2_PT_PKS3_PKT0_S9_ifPKiSB_iPKfiiiSD_SD_iiiii,comdat
.Lfunc_end107:
	.size	_ZN4vllm25paged_attention_v2_kernelIttLi256ELi16ELi128ELNS_18Fp8KVCacheDataTypeE0ELb0ELi512EEEvPfS2_PT_PKS3_PKT0_S9_ifPKiSB_iPKfiiiSD_SD_iiiii, .Lfunc_end107-_ZN4vllm25paged_attention_v2_kernelIttLi256ELi16ELi128ELNS_18Fp8KVCacheDataTypeE0ELb0ELi512EEEvPfS2_PT_PKS3_PKT0_S9_ifPKiSB_iPKfiiiSD_SD_iiiii
                                        ; -- End function
	.set _ZN4vllm25paged_attention_v2_kernelIttLi256ELi16ELi128ELNS_18Fp8KVCacheDataTypeE0ELb0ELi512EEEvPfS2_PT_PKS3_PKT0_S9_ifPKiSB_iPKfiiiSD_SD_iiiii.num_vgpr, 110
	.set _ZN4vllm25paged_attention_v2_kernelIttLi256ELi16ELi128ELNS_18Fp8KVCacheDataTypeE0ELb0ELi512EEEvPfS2_PT_PKS3_PKT0_S9_ifPKiSB_iPKfiiiSD_SD_iiiii.num_agpr, 0
	.set _ZN4vllm25paged_attention_v2_kernelIttLi256ELi16ELi128ELNS_18Fp8KVCacheDataTypeE0ELb0ELi512EEEvPfS2_PT_PKS3_PKT0_S9_ifPKiSB_iPKfiiiSD_SD_iiiii.numbered_sgpr, 38
	.set _ZN4vllm25paged_attention_v2_kernelIttLi256ELi16ELi128ELNS_18Fp8KVCacheDataTypeE0ELb0ELi512EEEvPfS2_PT_PKS3_PKT0_S9_ifPKiSB_iPKfiiiSD_SD_iiiii.num_named_barrier, 0
	.set _ZN4vllm25paged_attention_v2_kernelIttLi256ELi16ELi128ELNS_18Fp8KVCacheDataTypeE0ELb0ELi512EEEvPfS2_PT_PKS3_PKT0_S9_ifPKiSB_iPKfiiiSD_SD_iiiii.private_seg_size, 0
	.set _ZN4vllm25paged_attention_v2_kernelIttLi256ELi16ELi128ELNS_18Fp8KVCacheDataTypeE0ELb0ELi512EEEvPfS2_PT_PKS3_PKT0_S9_ifPKiSB_iPKfiiiSD_SD_iiiii.uses_vcc, 1
	.set _ZN4vllm25paged_attention_v2_kernelIttLi256ELi16ELi128ELNS_18Fp8KVCacheDataTypeE0ELb0ELi512EEEvPfS2_PT_PKS3_PKT0_S9_ifPKiSB_iPKfiiiSD_SD_iiiii.uses_flat_scratch, 0
	.set _ZN4vllm25paged_attention_v2_kernelIttLi256ELi16ELi128ELNS_18Fp8KVCacheDataTypeE0ELb0ELi512EEEvPfS2_PT_PKS3_PKT0_S9_ifPKiSB_iPKfiiiSD_SD_iiiii.has_dyn_sized_stack, 0
	.set _ZN4vllm25paged_attention_v2_kernelIttLi256ELi16ELi128ELNS_18Fp8KVCacheDataTypeE0ELb0ELi512EEEvPfS2_PT_PKS3_PKT0_S9_ifPKiSB_iPKfiiiSD_SD_iiiii.has_recursion, 0
	.set _ZN4vllm25paged_attention_v2_kernelIttLi256ELi16ELi128ELNS_18Fp8KVCacheDataTypeE0ELb0ELi512EEEvPfS2_PT_PKS3_PKT0_S9_ifPKiSB_iPKfiiiSD_SD_iiiii.has_indirect_call, 0
	.section	.AMDGPU.csdata,"",@progbits
; Kernel info:
; codeLenInByte = 19340
; TotalNumSgprs: 40
; NumVgprs: 110
; ScratchSize: 0
; MemoryBound: 0
; FloatMode: 240
; IeeeMode: 1
; LDSByteSize: 544 bytes/workgroup (compile time only)
; SGPRBlocks: 0
; VGPRBlocks: 13
; NumSGPRsForWavesPerEU: 40
; NumVGPRsForWavesPerEU: 110
; Occupancy: 9
; WaveLimiterHint : 1
; COMPUTE_PGM_RSRC2:SCRATCH_EN: 0
; COMPUTE_PGM_RSRC2:USER_SGPR: 6
; COMPUTE_PGM_RSRC2:TRAP_HANDLER: 0
; COMPUTE_PGM_RSRC2:TGID_X_EN: 1
; COMPUTE_PGM_RSRC2:TGID_Y_EN: 1
; COMPUTE_PGM_RSRC2:TGID_Z_EN: 1
; COMPUTE_PGM_RSRC2:TIDIG_COMP_CNT: 0
	.section	.text._ZN4vllm25paged_attention_v2_kernelIttLi32ELi32ELi128ELNS_18Fp8KVCacheDataTypeE0ELb1ELi512EEEvPfS2_PT_PKS3_PKT0_S9_ifPKiSB_iPKfiiiSD_SD_iiiii,"axG",@progbits,_ZN4vllm25paged_attention_v2_kernelIttLi32ELi32ELi128ELNS_18Fp8KVCacheDataTypeE0ELb1ELi512EEEvPfS2_PT_PKS3_PKT0_S9_ifPKiSB_iPKfiiiSD_SD_iiiii,comdat
	.protected	_ZN4vllm25paged_attention_v2_kernelIttLi32ELi32ELi128ELNS_18Fp8KVCacheDataTypeE0ELb1ELi512EEEvPfS2_PT_PKS3_PKT0_S9_ifPKiSB_iPKfiiiSD_SD_iiiii ; -- Begin function _ZN4vllm25paged_attention_v2_kernelIttLi32ELi32ELi128ELNS_18Fp8KVCacheDataTypeE0ELb1ELi512EEEvPfS2_PT_PKS3_PKT0_S9_ifPKiSB_iPKfiiiSD_SD_iiiii
	.globl	_ZN4vllm25paged_attention_v2_kernelIttLi32ELi32ELi128ELNS_18Fp8KVCacheDataTypeE0ELb1ELi512EEEvPfS2_PT_PKS3_PKT0_S9_ifPKiSB_iPKfiiiSD_SD_iiiii
	.p2align	8
	.type	_ZN4vllm25paged_attention_v2_kernelIttLi32ELi32ELi128ELNS_18Fp8KVCacheDataTypeE0ELb1ELi512EEEvPfS2_PT_PKS3_PKT0_S9_ifPKiSB_iPKfiiiSD_SD_iiiii,@function
_ZN4vllm25paged_attention_v2_kernelIttLi32ELi32ELi128ELNS_18Fp8KVCacheDataTypeE0ELb1ELi512EEEvPfS2_PT_PKS3_PKT0_S9_ifPKiSB_iPKfiiiSD_SD_iiiii: ; @_ZN4vllm25paged_attention_v2_kernelIttLi32ELi32ELi128ELNS_18Fp8KVCacheDataTypeE0ELb1ELi512EEEvPfS2_PT_PKS3_PKT0_S9_ifPKiSB_iPKfiiiSD_SD_iiiii
; %bb.0:
	s_load_dwordx2 s[0:1], s[4:5], 0x40
	s_mov_b32 s26, s7
	s_ashr_i32 s27, s7, 31
	s_lshl_b64 s[2:3], s[26:27], 2
	s_waitcnt lgkmcnt(0)
	s_add_u32 s0, s0, s2
	s_addc_u32 s1, s1, s3
	s_lshl_b32 s36, s8, 9
	s_load_dword s27, s[0:1], 0x0
	s_waitcnt lgkmcnt(0)
	s_cmp_ge_i32 s36, s27
	s_cbranch_scc1 .LBB108_68
; %bb.1:
	s_clause 0x1
	s_load_dword s9, s[4:5], 0x90
	s_load_dwordx2 s[2:3], s[4:5], 0x30
	s_mov_b32 s39, 0
	s_waitcnt lgkmcnt(0)
	s_abs_i32 s10, s9
	s_abs_i32 s0, s2
	v_cvt_f32_u32_e32 v1, s0
	s_sub_i32 s7, 0, s0
	v_rcp_iflag_f32_e32 v1, v1
	v_mul_f32_e32 v1, 0x4f7ffffe, v1
	v_cvt_u32_f32_e32 v1, v1
	v_readfirstlane_b32 s1, v1
	s_mul_i32 s7, s7, s1
	s_mul_hi_u32 s7, s1, s7
	s_add_i32 s1, s1, s7
	s_xor_b32 s7, s9, s2
	s_mul_hi_u32 s1, s10, s1
	s_ashr_i32 s7, s7, 31
	s_mul_i32 s11, s1, s0
	s_sub_i32 s10, s10, s11
	s_add_i32 s11, s1, 1
	s_sub_i32 s12, s10, s0
	s_cmp_ge_u32 s10, s0
	s_cselect_b32 s1, s11, s1
	s_cselect_b32 s10, s12, s10
	s_add_i32 s11, s1, 1
	s_cmp_ge_u32 s10, s0
	s_cselect_b32 s0, s11, s1
	s_abs_i32 s21, s6
	s_xor_b32 s0, s0, s7
	s_sub_i32 s10, s0, s7
	s_load_dwordx2 s[0:1], s[4:5], 0x50
	s_abs_i32 s20, s10
	v_cvt_f32_u32_e32 v1, s20
	s_sub_i32 s11, 0, s20
	v_rcp_iflag_f32_e32 v1, v1
	v_mul_f32_e32 v1, 0x4f7ffffe, v1
	v_cvt_u32_f32_e32 v1, v1
	v_readfirstlane_b32 s7, v1
	s_mul_i32 s11, s11, s7
	s_mul_hi_u32 s11, s7, s11
	s_add_i32 s7, s7, s11
	s_waitcnt lgkmcnt(0)
	s_cmp_eq_u64 s[0:1], 0
	s_mul_hi_u32 s22, s21, s7
	s_cbranch_scc1 .LBB108_3
; %bb.2:
	s_ashr_i32 s7, s6, 31
	s_lshl_b64 s[12:13], s[6:7], 2
	s_add_u32 s0, s0, s12
	s_addc_u32 s1, s1, s13
	s_load_dword s39, s[0:1], 0x0
.LBB108_3:
	s_load_dwordx4 s[12:15], s[4:5], 0x58
	v_lshlrev_b32_e32 v20, 4, v0
	s_ashr_i32 s0, s6, 31
	s_ashr_i32 s1, s10, 31
	s_lshl_b32 s10, s6, 5
	s_mov_b32 s7, exec_lo
	v_cmpx_gt_u32_e32 4, v0
	s_cbranch_execz .LBB108_5
; %bb.4:
	s_load_dwordx2 s[16:17], s[4:5], 0x18
	s_waitcnt lgkmcnt(0)
	s_mul_i32 s18, s12, s26
	s_ashr_i32 s19, s18, 31
	s_lshl_b64 s[18:19], s[18:19], 1
	s_add_u32 s12, s16, s18
	s_addc_u32 s15, s17, s19
	s_ashr_i32 s11, s10, 31
	s_lshl_b64 s[16:17], s[10:11], 1
	s_add_u32 s16, s12, s16
	s_addc_u32 s17, s15, s17
	global_load_dwordx4 v[1:4], v20, s[16:17]
	s_waitcnt vmcnt(0)
	ds_write_b128 v20, v[1:4]
.LBB108_5:
	s_or_b32 exec_lo, exec_lo, s7
	s_load_dwordx4 s[16:19], s[4:5], 0x78
	s_mul_i32 s7, s22, s20
	s_xor_b32 s0, s0, s1
	s_sub_i32 s1, s21, s7
	s_add_i32 s7, s22, 1
	s_sub_i32 s11, s1, s20
	s_cmp_ge_u32 s1, s20
	s_mov_b32 s21, -1
	s_cselect_b32 s7, s7, s22
	s_cselect_b32 s1, s11, s1
	s_add_i32 s11, s7, 1
	s_cmp_ge_u32 s1, s20
                                        ; implicit-def: $sgpr33
	s_cselect_b32 s1, s11, s7
	s_load_dword s7, s[4:5], 0x88
	s_xor_b32 s1, s1, s0
	s_add_i32 s20, s27, -1
	s_sub_i32 s1, s1, s0
	s_waitcnt lgkmcnt(0)
	s_abs_i32 s15, s20
	s_abs_i32 s11, s19
	s_barrier
	v_cvt_f32_u32_e32 v1, s11
	s_sub_i32 s0, 0, s11
	buffer_gl0_inv
	v_rcp_iflag_f32_e32 v1, v1
	v_mul_f32_e32 v1, 0x4f7ffffe, v1
	v_cvt_u32_f32_e32 v1, v1
	v_readfirstlane_b32 s12, v1
	s_mul_i32 s0, s0, s12
	s_mul_hi_u32 s0, s12, s0
	s_add_i32 s12, s12, s0
	s_cmp_lt_i32 s7, 0
	s_mul_hi_u32 s0, s15, s12
	s_cbranch_scc0 .LBB108_7
; %bb.6:
	s_mul_i32 s2, s16, s2
	s_mov_b32 s21, 0
	s_add_i32 s2, s1, s2
	s_mul_i32 s2, s2, s7
	s_sub_i32 s33, 1, s2
.LBB108_7:
	s_load_dwordx2 s[28:29], s[4:5], 0x38
	s_ashr_i32 s2, s20, 31
	s_andn2_b32 vcc_lo, exec_lo, s21
	s_ashr_i32 s19, s19, 31
	s_cbranch_vccnz .LBB108_9
; %bb.8:
	s_mul_i32 s16, s9, s16
	s_add_i32 s16, s16, s6
	s_mul_i32 s7, s16, s7
	s_add_i32 s33, s7, 1
.LBB108_9:
	s_clause 0x4
	s_load_dword s16, s[4:5], 0x48
	s_load_dwordx2 s[34:35], s[4:5], 0x28
	s_load_dword s7, s[4:5], 0x98
	s_load_dwordx4 s[20:23], s[4:5], 0x0
	s_load_dwordx2 s[24:25], s[4:5], 0x10
	s_mul_i32 s30, s0, s11
	s_xor_b32 s2, s2, s19
	s_sub_i32 s15, s15, s30
	s_add_i32 s37, s0, 1
	v_lshrrev_b32_e32 v17, 5, v0
	v_and_b32_e32 v18, 31, v0
	v_mov_b32_e32 v22, 0xff7fffff
	s_mul_i32 s14, s1, s14
	v_lshl_add_u32 v19, v17, 5, s36
	v_lshlrev_b32_e32 v21, 2, v18
	s_waitcnt lgkmcnt(0)
	s_mul_i32 s30, s16, s26
	s_sub_i32 s16, s15, s11
	s_ashr_i32 s31, s30, 31
	s_cmp_ge_u32 s15, s11
	s_cselect_b32 s0, s37, s0
	s_cselect_b32 s15, s16, s15
	s_add_i32 s16, s0, 1
	s_cmp_ge_u32 s15, s11
	s_cselect_b32 s0, s16, s0
	s_add_i32 s15, s27, 31
	s_lshl_b32 s40, s8, 4
	s_ashr_i32 s16, s15, 31
	v_add_nc_u32_e32 v13, s40, v17
	s_lshr_b32 s16, s16, 27
	s_add_i32 s15, s15, s16
	s_add_i32 s16, s40, 16
	s_ashr_i32 s37, s15, 5
	s_xor_b32 s15, s0, s2
	s_min_i32 s16, s16, s37
	v_ashrrev_i32_e32 v14, 31, v13
	v_cmp_gt_i32_e64 s0, s16, v13
	s_sub_i32 s38, s15, s2
	s_and_saveexec_b32 s41, s0
	s_cbranch_execz .LBB108_17
; %bb.10:
	s_load_dwordx2 s[42:43], s[4:5], 0x20
	s_ashr_i32 s15, s14, 31
	s_sub_i32 s4, s38, s17
	s_lshl_b64 s[44:45], s[14:15], 1
	v_subrev_nc_u32_e32 v5, s27, v18
	v_lshlrev_b32_e32 v3, 4, v18
	v_lshl_or_b32 v7, v17, 7, v21
	v_mov_b32_e32 v23, 0
	v_cmp_neq_f32_e64 vcc_lo, s39, 0
	v_add_nc_u32_e32 v26, 1, v5
	v_lshl_add_u32 v24, v17, 5, s36
	v_mov_b32_e32 v25, 0xff7fffff
	v_mov_b32_e32 v22, 0xff7fffff
	v_add_nc_u32_e32 v27, 0x60, v7
	v_mov_b32_e32 v31, v13
	s_waitcnt lgkmcnt(0)
	s_add_u32 s1, s42, s44
	s_addc_u32 s2, s43, s45
	s_abs_i32 s5, s18
	s_lshl_b64 s[42:43], s[30:31], 2
	v_cvt_f32_u32_e32 v1, s5
	s_sub_i32 s15, 0, s5
	v_add_co_u32 v28, s1, s1, v3
	v_add_co_ci_u32_e64 v29, null, s2, 0, s1
	v_rcp_iflag_f32_e32 v1, v1
	s_add_u32 s1, s28, s42
	s_addc_u32 s2, s29, s43
	s_mov_b32 s42, s13
	v_mul_f32_e32 v1, 0x4f7ffffe, v1
	v_cvt_u32_f32_e32 v4, v1
	v_lshlrev_b64 v[1:2], 2, v[13:14]
	v_mul_lo_u32 v6, s15, v4
	s_mov_b32 s15, 0
	v_add_co_u32 v15, s1, s1, v1
	v_add_co_ci_u32_e64 v16, null, s2, v2, s1
	v_mul_hi_u32 v5, v4, v6
	v_add_nc_u32_e32 v30, v4, v5
	s_branch .LBB108_12
.LBB108_11:                             ;   in Loop: Header=BB108_12 Depth=1
	s_or_b32 exec_lo, exec_lo, s2
	v_add_nc_u32_e32 v31, 4, v31
	v_add_co_u32 v15, s2, v15, 16
	v_add_co_ci_u32_e64 v16, null, 0, v16, s2
	v_cmp_le_i32_e64 s1, s16, v31
	v_add_nc_u32_e32 v24, 0x80, v24
	v_add_nc_u32_e32 v27, 0x200, v27
	s_or_b32 s15, s1, s15
	s_andn2_b32 exec_lo, exec_lo, s15
	s_cbranch_execz .LBB108_16
.LBB108_12:                             ; =>This Inner Loop Header: Depth=1
	v_sub_nc_u32_e32 v1, 0, v24
	v_max_i32_e32 v1, v24, v1
	v_mul_hi_u32 v2, v1, s12
	v_mul_lo_u32 v3, v2, s11
	v_sub_nc_u32_e32 v1, v1, v3
	v_add_nc_u32_e32 v3, 1, v2
	v_subrev_nc_u32_e32 v4, s11, v1
	v_cmp_le_u32_e64 s1, s11, v1
	v_cndmask_b32_e64 v2, v2, v3, s1
	v_cndmask_b32_e64 v1, v1, v4, s1
	v_ashrrev_i32_e32 v3, 31, v24
	v_add_nc_u32_e32 v4, 1, v2
	v_cmp_le_u32_e64 s1, s11, v1
	v_xor_b32_e32 v3, s19, v3
	v_cndmask_b32_e64 v1, v2, v4, s1
	v_xor_b32_e32 v1, v1, v3
	v_sub_nc_u32_e32 v1, v1, v3
	v_add_nc_u32_e32 v2, s33, v1
	v_cmp_ge_i32_e64 s2, s4, v1
	v_sub_nc_u32_e32 v3, 0, v2
	v_max_i32_e32 v3, v2, v3
	v_ashrrev_i32_e32 v2, 31, v2
	v_mul_hi_u32 v4, v3, v30
	v_mul_lo_u32 v4, v4, s5
	v_sub_nc_u32_e32 v3, v3, v4
	v_subrev_nc_u32_e32 v4, s5, v3
	v_cmp_le_u32_e64 s1, s5, v3
	v_cndmask_b32_e64 v3, v3, v4, s1
	v_subrev_nc_u32_e32 v4, s5, v3
	v_cmp_le_u32_e64 s1, s5, v3
	v_cndmask_b32_e64 v3, v3, v4, s1
	v_xor_b32_e32 v3, v3, v2
	v_sub_nc_u32_e32 v2, v3, v2
	v_cmp_ne_u32_e64 s1, 0, v2
	s_and_b32 s1, s1, s2
	s_and_saveexec_b32 s2, s1
	s_xor_b32 s1, exec_lo, s2
; %bb.13:                               ;   in Loop: Header=BB108_12 Depth=1
	ds_write_b32 v27, v25
; %bb.14:                               ;   in Loop: Header=BB108_12 Depth=1
	s_andn2_saveexec_b32 s2, s1
	s_cbranch_execz .LBB108_11
; %bb.15:                               ;   in Loop: Header=BB108_12 Depth=1
	global_load_dword v1, v[15:16], off
	v_add_nc_u32_e32 v52, v26, v24
	v_cvt_f32_i32_e32 v52, v52
	s_waitcnt vmcnt(0)
	v_mad_i64_i32 v[1:2], null, v1, s42, 0
	v_lshlrev_b64 v[1:2], 1, v[1:2]
	v_add_co_u32 v1, s1, v28, v1
	v_add_co_ci_u32_e64 v2, null, v29, v2, s1
	s_clause 0x3
	global_load_dwordx4 v[35:38], v[1:2], off
	global_load_dwordx4 v[9:12], v[1:2], off offset:512
	global_load_dwordx4 v[5:8], v[1:2], off offset:1024
	;; [unrolled: 1-line block ×3, first 2 shown]
	ds_read_b128 v[39:42], v23
	s_waitcnt lgkmcnt(0)
	v_lshrrev_b32_e32 v33, 16, v39
	v_and_b32_e32 v32, 0xffff, v39
	v_lshrrev_b32_e32 v34, 16, v40
	v_and_b32_e32 v40, 0xffff, v40
	;; [unrolled: 2-line block ×4, first 2 shown]
	;;#ASMSTART
	v_cvt_f32_f16 v32, v32;
	;;#ASMEND
	;;#ASMSTART
	v_cvt_f32_f16 v33, v33;
	;;#ASMEND
	s_waitcnt vmcnt(3)
	v_lshrrev_b32_e32 v39, 16, v35
	v_and_b32_e32 v35, 0xffff, v35
	v_lshrrev_b32_e32 v43, 16, v36
	v_and_b32_e32 v36, 0xffff, v36
	;; [unrolled: 2-line block ×4, first 2 shown]
	;;#ASMSTART
	v_cvt_f32_f16 v38, v35;
	;;#ASMEND
	;;#ASMSTART
	v_cvt_f32_f16 v39, v39;
	;;#ASMEND
	;; [unrolled: 3-line block ×14, first 2 shown]
	ds_read_b128 v[34:37], v23 offset:16
	s_waitcnt vmcnt(2)
	v_lshrrev_b32_e32 v53, 16, v9
	v_and_b32_e32 v9, 0xffff, v9
	v_lshrrev_b32_e32 v56, 16, v10
	v_and_b32_e32 v10, 0xffff, v10
	;; [unrolled: 2-line block ×4, first 2 shown]
	s_waitcnt vmcnt(1)
	v_lshrrev_b32_e32 v65, 16, v5
	v_and_b32_e32 v66, 0xffff, v5
	v_lshrrev_b32_e32 v67, 16, v6
	v_and_b32_e32 v68, 0xffff, v6
	;; [unrolled: 2-line block ×4, first 2 shown]
	s_waitcnt vmcnt(0)
	v_lshrrev_b32_e32 v73, 16, v1
	v_and_b32_e32 v74, 0xffff, v1
	v_lshrrev_b32_e32 v75, 16, v2
	s_waitcnt lgkmcnt(0)
	v_lshrrev_b32_e32 v54, 16, v34
	v_and_b32_e32 v34, 0xffff, v34
	v_lshrrev_b32_e32 v55, 16, v35
	v_and_b32_e32 v57, 0xffff, v35
	;; [unrolled: 2-line block ×4, first 2 shown]
	;;#ASMSTART
	v_cvt_f32_f16 v34, v34;
	;;#ASMEND
	;;#ASMSTART
	v_cvt_f32_f16 v35, v54;
	;;#ASMEND
	;; [unrolled: 3-line block ×16, first 2 shown]
	ds_read_b128 v[9:12], v23 offset:32
	v_and_b32_e32 v76, 0xffff, v2
	v_lshrrev_b32_e32 v77, 16, v3
	v_and_b32_e32 v78, 0xffff, v3
	v_lshrrev_b32_e32 v79, 16, v4
	v_and_b32_e32 v80, 0xffff, v4
	v_mul_f32_e32 v7, v53, v55
	v_mul_f32_e32 v8, v54, v56
	;; [unrolled: 1-line block ×5, first 2 shown]
	v_fmac_f32_e32 v7, v40, v42
	v_fmac_f32_e32 v8, v41, v43
	v_fmac_f32_e32 v5, v32, v38
	v_fmac_f32_e32 v6, v33, v39
	v_mul_f32_e32 v58, v58, v60
	v_fmac_f32_e32 v57, v44, v46
	v_mul_f32_e32 v59, v61, v63
	v_mul_f32_e32 v60, v62, v64
	s_waitcnt lgkmcnt(0)
	v_lshrrev_b32_e32 v1, 16, v9
	v_and_b32_e32 v2, 0xffff, v9
	v_lshrrev_b32_e32 v3, 16, v10
	v_and_b32_e32 v4, 0xffff, v10
	;; [unrolled: 2-line block ×4, first 2 shown]
	;;#ASMSTART
	v_cvt_f32_f16 v9, v2;
	;;#ASMEND
	;;#ASMSTART
	v_cvt_f32_f16 v10, v1;
	;;#ASMEND
	;;#ASMSTART
	v_cvt_f32_f16 v11, v66;
	;;#ASMEND
	;;#ASMSTART
	v_cvt_f32_f16 v12, v65;
	;;#ASMEND
	;;#ASMSTART
	v_cvt_f32_f16 v34, v4;
	;;#ASMEND
	;;#ASMSTART
	v_cvt_f32_f16 v35, v3;
	;;#ASMEND
	;;#ASMSTART
	v_cvt_f32_f16 v36, v68;
	;;#ASMEND
	;;#ASMSTART
	v_cvt_f32_f16 v37, v67;
	;;#ASMEND
	;;#ASMSTART
	v_cvt_f32_f16 v53, v53;
	;;#ASMEND
	;;#ASMSTART
	v_cvt_f32_f16 v54, v54;
	;;#ASMEND
	;;#ASMSTART
	v_cvt_f32_f16 v55, v70;
	;;#ASMEND
	;;#ASMSTART
	v_cvt_f32_f16 v56, v69;
	;;#ASMEND
	;;#ASMSTART
	v_cvt_f32_f16 v65, v82;
	;;#ASMEND
	;;#ASMSTART
	v_cvt_f32_f16 v66, v81;
	;;#ASMEND
	;;#ASMSTART
	v_cvt_f32_f16 v67, v72;
	;;#ASMEND
	;;#ASMSTART
	v_cvt_f32_f16 v68, v71;
	;;#ASMEND
	ds_read_b128 v[1:4], v23 offset:48
	v_fmac_f32_e32 v5, v9, v11
	v_fmac_f32_e32 v6, v10, v12
	;; [unrolled: 1-line block ×11, first 2 shown]
	s_waitcnt lgkmcnt(0)
	v_and_b32_e32 v9, 0xffff, v1
	v_lshrrev_b32_e32 v10, 16, v1
	v_lshrrev_b32_e32 v11, 16, v2
	v_and_b32_e32 v12, 0xffff, v2
	;;#ASMSTART
	v_cvt_f32_f16 v1, v9;
	;;#ASMEND
	;;#ASMSTART
	v_cvt_f32_f16 v2, v10;
	;;#ASMEND
	;; [unrolled: 3-line block ×4, first 2 shown]
	v_fmac_f32_e32 v5, v1, v9
	v_fmac_f32_e32 v6, v2, v10
	;;#ASMSTART
	v_cvt_f32_f16 v1, v12;
	;;#ASMEND
	;;#ASMSTART
	v_cvt_f32_f16 v2, v11;
	;;#ASMEND
	;; [unrolled: 3-line block ×3, first 2 shown]
	v_fmac_f32_e32 v7, v1, v9
	v_add_f32_e32 v1, v5, v6
	v_and_b32_e32 v5, 0xffff, v3
	v_lshrrev_b32_e32 v6, 16, v3
	;;#ASMSTART
	v_cvt_f32_f16 v3, v75;
	;;#ASMEND
	v_fmac_f32_e32 v8, v2, v3
	v_add_f32_e32 v1, v1, v7
	;;#ASMSTART
	v_cvt_f32_f16 v2, v5;
	;;#ASMEND
	;;#ASMSTART
	v_cvt_f32_f16 v3, v6;
	;;#ASMEND
	;;#ASMSTART
	v_cvt_f32_f16 v5, v78;
	;;#ASMEND
	v_fmac_f32_e32 v57, v2, v5
	v_add_f32_e32 v1, v8, v1
	;;#ASMSTART
	v_cvt_f32_f16 v2, v77;
	;;#ASMEND
	v_fmac_f32_e32 v58, v3, v2
	v_and_b32_e32 v5, 0xffff, v4
	v_lshrrev_b32_e32 v4, 16, v4
	v_add_f32_e32 v1, v1, v57
	;;#ASMSTART
	v_cvt_f32_f16 v2, v5;
	;;#ASMEND
	;;#ASMSTART
	v_cvt_f32_f16 v3, v4;
	;;#ASMEND
	;; [unrolled: 3-line block ×3, first 2 shown]
	v_fmac_f32_e32 v59, v2, v4
	v_add_f32_e32 v1, v58, v1
	v_mul_f32_e32 v2, s39, v52
	;;#ASMSTART
	v_cvt_f32_f16 v4, v79;
	;;#ASMEND
	v_fmac_f32_e32 v60, v3, v4
	v_max_f32_e32 v3, v22, v22
	v_add_f32_e32 v1, v1, v59
	v_cndmask_b32_e32 v2, 0, v2, vcc_lo
	v_add_f32_e32 v1, v60, v1
	v_fmac_f32_e32 v2, s3, v1
	v_add_nc_u32_e32 v1, v18, v24
	v_max_f32_e32 v3, v3, v2
	v_cmp_gt_i32_e64 s1, s27, v1
	v_cndmask_b32_e64 v1, 0, v2, s1
	v_cndmask_b32_e64 v22, v22, v3, s1
	ds_write_b32 v27, v1
	s_branch .LBB108_11
.LBB108_16:
	s_or_b32 exec_lo, exec_lo, s15
.LBB108_17:
	s_or_b32 exec_lo, exec_lo, s41
	v_mbcnt_lo_u32_b32 v1, -1, 0
	v_max_f32_e32 v5, v22, v22
	v_xor_b32_e32 v2, 16, v1
	v_xor_b32_e32 v4, 8, v1
	v_cmp_gt_i32_e32 vcc_lo, 32, v2
	v_cndmask_b32_e32 v2, v1, v2, vcc_lo
	v_cmp_gt_i32_e32 vcc_lo, 32, v4
	v_lshlrev_b32_e32 v2, 2, v2
	v_cndmask_b32_e32 v4, v1, v4, vcc_lo
	ds_bpermute_b32 v3, v2, v22
	s_waitcnt lgkmcnt(0)
	v_max_f32_e32 v6, v3, v3
	v_lshlrev_b32_e32 v3, 2, v4
	v_max_f32_e32 v4, v5, v6
	v_xor_b32_e32 v6, 4, v1
	ds_bpermute_b32 v5, v3, v4
	v_cmp_gt_i32_e32 vcc_lo, 32, v6
	v_cndmask_b32_e32 v6, v1, v6, vcc_lo
	s_waitcnt lgkmcnt(0)
	v_max_f32_e32 v7, v5, v5
	v_lshlrev_b32_e32 v5, 2, v6
	v_max_f32_e32 v4, v4, v7
	v_xor_b32_e32 v7, 2, v1
	ds_bpermute_b32 v6, v5, v4
	v_cmp_gt_i32_e32 vcc_lo, 32, v7
	v_cndmask_b32_e32 v7, v1, v7, vcc_lo
	v_lshlrev_b32_e32 v9, 2, v7
	v_xor_b32_e32 v7, 1, v1
	v_cmp_gt_i32_e32 vcc_lo, 32, v7
	s_waitcnt lgkmcnt(0)
	v_max_f32_e32 v6, v6, v6
	v_cndmask_b32_e32 v7, v1, v7, vcc_lo
	v_cmp_eq_u32_e32 vcc_lo, 0, v18
	v_max_f32_e32 v4, v4, v6
	v_lshlrev_b32_e32 v10, 2, v7
	ds_bpermute_b32 v6, v9, v4
	s_waitcnt lgkmcnt(0)
	v_max_f32_e32 v6, v6, v6
	v_max_f32_e32 v1, v4, v6
	v_lshlrev_b32_e32 v6, 2, v17
	ds_bpermute_b32 v4, v10, v1
	s_and_saveexec_b32 s1, vcc_lo
	s_cbranch_execz .LBB108_19
; %bb.18:
	s_waitcnt lgkmcnt(0)
	v_max_f32_e32 v4, v4, v4
	v_max_f32_e32 v1, v1, v1
	;; [unrolled: 1-line block ×3, first 2 shown]
	ds_write_b32 v6, v1 offset:64
.LBB108_19:
	s_or_b32 exec_lo, exec_lo, s1
	v_cmp_gt_u32_e64 s1, 4, v18
	v_mov_b32_e32 v1, 0xff7fffff
	s_waitcnt lgkmcnt(0)
	s_barrier
	buffer_gl0_inv
	s_and_saveexec_b32 s2, s1
; %bb.20:
	ds_read_b32 v1, v21 offset:64
; %bb.21:
	s_or_b32 exec_lo, exec_lo, s2
	s_waitcnt lgkmcnt(0)
	ds_bpermute_b32 v4, v9, v1
	v_max_f32_e32 v1, v1, v1
	v_mov_b32_e32 v7, 0
	s_sub_i32 s2, s16, s40
	s_lshl_b32 s2, s2, 5
	s_add_i32 s2, s2, s36
	s_min_i32 s2, s2, s27
	s_sub_i32 s4, s2, s36
	v_cmp_gt_i32_e64 s2, s4, v0
	s_waitcnt lgkmcnt(0)
	v_max_f32_e32 v4, v4, v4
	v_max_f32_e32 v1, v1, v4
	ds_bpermute_b32 v4, v10, v1
	s_waitcnt lgkmcnt(0)
	v_max_f32_e32 v4, v4, v4
	v_max_f32_e32 v1, v1, v4
	v_lshl_add_u32 v4, v0, 2, 0x60
	ds_bpermute_b32 v1, v7, v1
	s_and_saveexec_b32 s5, s2
	s_cbranch_execz .LBB108_25
; %bb.22:
	v_lshl_add_u32 v8, v0, 2, 0x60
	v_mov_b32_e32 v7, 0
	v_mov_b32_e32 v11, v0
	s_mov_b32 s15, 0
	.p2align	6
.LBB108_23:                             ; =>This Inner Loop Header: Depth=1
	ds_read_b32 v12, v8
	v_add_nc_u32_e32 v11, 0x80, v11
	v_cmp_le_i32_e64 s3, s4, v11
	s_or_b32 s15, s3, s15
	s_waitcnt lgkmcnt(0)
	v_sub_f32_e32 v12, v12, v1
	v_mul_f32_e32 v12, 0x3fb8aa3b, v12
	v_exp_f32_e32 v12, v12
	ds_write_b32 v8, v12
	v_add_f32_e32 v7, v7, v12
	v_add_nc_u32_e32 v8, 0x200, v8
	s_andn2_b32 exec_lo, exec_lo, s15
	s_cbranch_execnz .LBB108_23
; %bb.24:
	s_or_b32 exec_lo, exec_lo, s15
.LBB108_25:
	s_or_b32 exec_lo, exec_lo, s5
	ds_bpermute_b32 v2, v2, v7
	s_waitcnt lgkmcnt(0)
	v_add_f32_e32 v2, v7, v2
	ds_bpermute_b32 v3, v3, v2
	s_waitcnt lgkmcnt(0)
	v_add_f32_e32 v2, v2, v3
	;; [unrolled: 3-line block ×5, first 2 shown]
	s_and_saveexec_b32 s3, vcc_lo
; %bb.26:
	ds_write_b32 v6, v2 offset:80
; %bb.27:
	s_or_b32 exec_lo, exec_lo, s3
	s_waitcnt lgkmcnt(0)
	s_barrier
	buffer_gl0_inv
	s_and_saveexec_b32 s3, s1
; %bb.28:
	ds_read_b32 v2, v21 offset:80
; %bb.29:
	s_or_b32 exec_lo, exec_lo, s3
	s_waitcnt lgkmcnt(0)
	ds_bpermute_b32 v3, v9, v2
	s_waitcnt lgkmcnt(0)
	v_add_f32_e32 v2, v2, v3
	ds_bpermute_b32 v3, v10, v2
	s_waitcnt lgkmcnt(0)
	v_add_f32_e32 v2, v2, v3
	v_mov_b32_e32 v3, 0
	ds_bpermute_b32 v2, v3, v2
	s_and_saveexec_b32 s1, s2
	s_cbranch_execz .LBB108_32
; %bb.30:
	s_waitcnt lgkmcnt(0)
	v_add_f32_e32 v3, 0x358637bd, v2
	s_mov_b32 s2, 0
	v_div_scale_f32 v5, null, v3, v3, 1.0
	v_div_scale_f32 v8, vcc_lo, 1.0, v3, 1.0
	v_rcp_f32_e32 v6, v5
	v_fma_f32 v7, -v5, v6, 1.0
	v_fmac_f32_e32 v6, v7, v6
	v_mul_f32_e32 v7, v8, v6
	v_fma_f32 v11, -v5, v7, v8
	v_fmac_f32_e32 v7, v11, v6
	v_fma_f32 v5, -v5, v7, v8
	v_div_fmas_f32 v5, v5, v6, v7
	v_div_fixup_f32 v3, v5, v3, 1.0
	v_mov_b32_e32 v5, v0
.LBB108_31:                             ; =>This Inner Loop Header: Depth=1
	ds_read_b32 v6, v4
	v_add_nc_u32_e32 v5, 0x80, v5
	v_cmp_le_i32_e32 vcc_lo, s4, v5
	s_or_b32 s2, vcc_lo, s2
	s_waitcnt lgkmcnt(0)
	v_mul_f32_e32 v6, v3, v6
	ds_write_b32 v4, v6
	v_add_nc_u32_e32 v4, 0x200, v4
	s_andn2_b32 exec_lo, exec_lo, s2
	s_cbranch_execnz .LBB108_31
.LBB108_32:
	s_or_b32 exec_lo, exec_lo, s1
	s_mul_i32 s1, s7, s26
	s_waitcnt lgkmcnt(0)
	s_mul_i32 s2, s1, s9
	s_mov_b32 s1, exec_lo
	s_barrier
	buffer_gl0_inv
	v_cmpx_eq_u32_e32 0, v0
	s_cbranch_execz .LBB108_34
; %bb.33:
	s_ashr_i32 s3, s2, 31
	s_mul_i32 s40, s7, s6
	s_lshl_b64 s[4:5], s[2:3], 2
	v_mov_b32_e32 v3, 0
	s_add_u32 s3, s22, s4
	s_addc_u32 s6, s23, s5
	s_ashr_i32 s41, s40, 31
	s_lshl_b64 s[22:23], s[40:41], 2
	s_add_u32 s3, s3, s22
	s_addc_u32 s6, s6, s23
	s_ashr_i32 s9, s8, 31
	s_lshl_b64 s[40:41], s[8:9], 2
	s_add_u32 s42, s3, s40
	s_addc_u32 s43, s6, s41
	s_add_u32 s3, s20, s4
	s_addc_u32 s4, s21, s5
	;; [unrolled: 2-line block ×4, first 2 shown]
	global_store_dword v3, v1, s[42:43]
	global_store_dword v3, v2, s[4:5]
.LBB108_34:
	s_or_b32 exec_lo, exec_lo, s1
	v_mov_b32_e32 v21, 0
	v_and_b32_e32 v11, 3, v0
	v_mov_b32_e32 v16, 0
	v_mov_b32_e32 v15, 0
	v_mov_b32_e32 v12, 0
	s_and_saveexec_b32 s3, s0
	s_cbranch_execz .LBB108_48
; %bb.35:
	s_ashr_i32 s15, s14, 31
	s_sub_i32 s4, s38, s17
	s_lshl_b64 s[0:1], s[14:15], 1
	v_lshlrev_b32_e32 v3, 3, v0
	s_add_u32 s6, s34, s0
	s_addc_u32 s9, s35, s1
	s_abs_i32 s5, s18
	v_lshlrev_b32_e32 v6, 5, v11
	v_cvt_f32_u32_e32 v1, s5
	s_sub_i32 s0, 0, s5
	v_and_b32_e32 v4, 0x1f0, v20
	s_add_i32 s37, s37, -1
	v_mov_b32_e32 v20, 0
	v_rcp_iflag_f32_e32 v1, v1
	v_mov_b32_e32 v12, 0
	v_add_co_u32 v22, s6, s6, v4
	v_mov_b32_e32 v15, 0
	v_mov_b32_e32 v16, 0
	v_add_co_ci_u32_e64 v23, null, s9, 0, s6
	v_mov_b32_e32 v21, 0
	s_mov_b32 s9, s13
	v_mul_f32_e32 v5, 0x4f7ffffe, v1
	v_lshlrev_b64 v[1:2], 2, v[13:14]
	v_and_b32_e32 v14, 24, v3
	s_mov_b32 s6, 0
	v_cvt_u32_f32_e32 v7, v5
	v_lshl_or_b32 v5, v17, 7, v6
	v_mul_lo_u32 v3, s0, v7
	s_lshl_b64 s[0:1], s[30:31], 2
	v_add_nc_u32_e32 v24, 0x60, v5
	s_add_u32 s0, s28, s0
	s_addc_u32 s1, s29, s1
	v_add_co_u32 v5, vcc_lo, s0, v1
	v_add_co_ci_u32_e64 v6, null, s1, v2, vcc_lo
	v_mul_hi_u32 v3, v7, v3
	v_add_nc_u32_e32 v25, v7, v3
	s_branch .LBB108_38
.LBB108_36:                             ;   in Loop: Header=BB108_38 Depth=1
	s_or_b32 exec_lo, exec_lo, s1
	v_lshlrev_b32_e32 v26, 16, v44
	v_lshlrev_b32_e32 v8, 16, v8
	;; [unrolled: 1-line block ×3, first 2 shown]
	v_and_or_b32 v1, 0xffff, v1, v26
	v_and_or_b32 v2, 0xffff, v2, v8
	;; [unrolled: 1-line block ×3, first 2 shown]
	;;#ASMSTART
	v_pk_mul_f16 v1, v35, v1;

	;;#ASMEND
	;;#ASMSTART
	v_pk_mul_f16 v2, v34, v2;

	;;#ASMEND
	;; [unrolled: 4-line block ×4, first 2 shown]
	;;#ASMSTART
	v_pk_add_f16 v1, v1, v2;

	;;#ASMEND
	;;#ASMSTART
	v_pk_add_f16 v1, v1, v3;

	;;#ASMEND
	;; [unrolled: 4-line block ×3, first 2 shown]
	v_and_b32_e32 v4, 0xffff, v1
	v_lshrrev_b32_e32 v7, 16, v1
	;;#ASMSTART
	v_cvt_f32_f16 v4, v4;
	;;#ASMEND
	v_add_f32_e32 v1, v42, v43
	v_add_f32_e32 v2, v40, v41
	;; [unrolled: 1-line block ×3, first 2 shown]
	;;#ASMSTART
	v_cvt_f32_f16 v7, v7;
	;;#ASMEND
	v_add_f32_e32 v4, v4, v7
	v_add_f32_e32 v15, v15, v1
	v_add_f32_e32 v16, v16, v2
	v_add_f32_e32 v21, v21, v3
	v_add_f32_e32 v12, v12, v4
.LBB108_37:                             ;   in Loop: Header=BB108_38 Depth=1
	s_or_b32 exec_lo, exec_lo, s13
	v_add_nc_u32_e32 v13, 4, v13
	v_add_co_u32 v5, s0, v5, 16
	v_add_co_ci_u32_e64 v6, null, 0, v6, s0
	v_cmp_le_i32_e32 vcc_lo, s16, v13
	v_add_nc_u32_e32 v19, 0x80, v19
	v_add_nc_u32_e32 v24, 0x200, v24
	s_or_b32 s6, vcc_lo, s6
	s_andn2_b32 exec_lo, exec_lo, s6
	s_cbranch_execz .LBB108_47
.LBB108_38:                             ; =>This Inner Loop Header: Depth=1
	v_sub_nc_u32_e32 v1, 0, v19
	v_max_i32_e32 v1, v19, v1
	v_mul_hi_u32 v2, v1, s12
	v_mul_lo_u32 v3, v2, s11
	v_sub_nc_u32_e32 v1, v1, v3
	v_add_nc_u32_e32 v3, 1, v2
	v_subrev_nc_u32_e32 v4, s11, v1
	v_cmp_le_u32_e32 vcc_lo, s11, v1
	v_cndmask_b32_e32 v2, v2, v3, vcc_lo
	v_cndmask_b32_e32 v1, v1, v4, vcc_lo
	v_ashrrev_i32_e32 v3, 31, v19
	v_add_nc_u32_e32 v4, 1, v2
	v_cmp_le_u32_e32 vcc_lo, s11, v1
	v_xor_b32_e32 v3, s19, v3
	v_cndmask_b32_e32 v1, v2, v4, vcc_lo
	v_xor_b32_e32 v1, v1, v3
	v_sub_nc_u32_e32 v1, v1, v3
	v_add_nc_u32_e32 v2, s33, v1
	v_cmp_lt_i32_e64 s0, s4, v1
	v_sub_nc_u32_e32 v3, 0, v2
	v_max_i32_e32 v3, v2, v3
	v_ashrrev_i32_e32 v2, 31, v2
	v_mul_hi_u32 v4, v3, v25
	v_mul_lo_u32 v4, v4, s5
	v_sub_nc_u32_e32 v3, v3, v4
	v_subrev_nc_u32_e32 v4, s5, v3
	v_cmp_le_u32_e32 vcc_lo, s5, v3
	v_cndmask_b32_e32 v3, v3, v4, vcc_lo
	v_subrev_nc_u32_e32 v4, s5, v3
	v_cmp_le_u32_e32 vcc_lo, s5, v3
	v_cndmask_b32_e32 v3, v3, v4, vcc_lo
	v_xor_b32_e32 v3, v3, v2
	v_sub_nc_u32_e32 v2, v3, v2
	v_cmp_eq_u32_e32 vcc_lo, 0, v2
	s_or_b32 s0, vcc_lo, s0
	s_and_saveexec_b32 s13, s0
	s_cbranch_execz .LBB108_37
; %bb.39:                               ;   in Loop: Header=BB108_38 Depth=1
	global_load_dword v7, v[5:6], off
	ds_read2_b64 v[1:4], v24 offset1:1
	ds_read2_b64 v[26:29], v24 offset0:2 offset1:3
	v_add_nc_u32_e32 v31, v14, v19
	v_cmp_eq_u32_e64 s0, s37, v13
	s_waitcnt lgkmcnt(1)
	;;#ASMSTART
	v_cvt_f16_f32 v35, v1;

	;;#ASMEND
	;;#ASMSTART
	v_cvt_f16_f32 v34, v2;

	;;#ASMEND
	;; [unrolled: 4-line block ×4, first 2 shown]
	s_waitcnt lgkmcnt(0)
	;;#ASMSTART
	v_cvt_f16_f32 v41, v26;

	;;#ASMEND
	;;#ASMSTART
	v_cvt_f16_f32 v37, v27;

	;;#ASMEND
	;; [unrolled: 4-line block ×4, first 2 shown]
	v_add_nc_u32_e32 v33, 1, v31
	v_add_nc_u32_e32 v30, 2, v31
	;; [unrolled: 1-line block ×7, first 2 shown]
	s_waitcnt vmcnt(0)
	v_mad_i64_i32 v[7:8], null, v7, s9, 0
	v_lshlrev_b64 v[7:8], 1, v[7:8]
	v_add_co_u32 v7, vcc_lo, v22, v7
	v_add_co_ci_u32_e64 v8, null, v23, v8, vcc_lo
	global_load_dwordx4 v[1:4], v[7:8], off
	s_waitcnt vmcnt(0)
	v_lshrrev_b32_e32 v44, 16, v1
	v_lshrrev_b32_e32 v43, 16, v2
	;; [unrolled: 1-line block ×3, first 2 shown]
	s_and_saveexec_b32 s14, s0
	s_cbranch_execz .LBB108_41
; %bb.40:                               ;   in Loop: Header=BB108_38 Depth=1
	v_cmp_gt_i32_e32 vcc_lo, s27, v31
	v_and_b32_e32 v45, 0xffff0000, v4
	v_cmp_gt_i32_e64 s1, s27, v30
	v_cndmask_b32_e32 v1, 0, v1, vcc_lo
	v_cmp_gt_i32_e32 vcc_lo, s27, v33
	v_cndmask_b32_e64 v2, 0, v2, s1
	v_cmp_gt_i32_e64 s1, s27, v29
	v_cndmask_b32_e32 v44, 0, v44, vcc_lo
	v_cmp_gt_i32_e32 vcc_lo, s27, v32
	v_cndmask_b32_e64 v43, 0, v43, s1
	v_cndmask_b32_sdwa v4, v20, v4, vcc_lo dst_sel:DWORD dst_unused:UNUSED_PAD src0_sel:DWORD src1_sel:WORD_0
	v_cmp_gt_i32_e32 vcc_lo, s27, v28
	v_cndmask_b32_e32 v45, 0, v45, vcc_lo
	v_cmp_gt_i32_e32 vcc_lo, s27, v27
	v_or_b32_e32 v4, v4, v45
	v_cndmask_b32_e32 v3, 0, v3, vcc_lo
	v_cmp_gt_i32_e32 vcc_lo, s27, v26
	v_cndmask_b32_e32 v42, 0, v42, vcc_lo
.LBB108_41:                             ;   in Loop: Header=BB108_38 Depth=1
	s_or_b32 exec_lo, exec_lo, s14
	v_and_b32_e32 v35, 0xffff, v35
	v_and_b32_e32 v40, 0xffff, v40
	v_lshlrev_b32_e32 v44, 16, v44
	v_lshlrev_b32_e32 v42, 16, v42
	v_and_b32_e32 v41, 0xffff, v41
	v_lshl_or_b32 v35, v34, 16, v35
	v_lshl_or_b32 v34, v38, 16, v40
	v_lshlrev_b32_e32 v40, 16, v43
	v_and_b32_e32 v39, 0xffff, v39
	v_and_or_b32 v1, 0xffff, v1, v44
	v_and_or_b32 v3, 0xffff, v3, v42
	;;#ASMSTART
	v_pk_mul_f16 v1, v35, v1;

	;;#ASMEND
	v_and_or_b32 v2, 0xffff, v2, v40
	v_lshl_or_b32 v38, v37, 16, v41
	v_lshl_or_b32 v39, v36, 16, v39
	;;#ASMSTART
	v_pk_mul_f16 v2, v34, v2;

	;;#ASMEND
	;;#ASMSTART
	v_pk_mul_f16 v3, v38, v3;

	;;#ASMEND
	;; [unrolled: 4-line block ×3, first 2 shown]
	;;#ASMSTART
	v_pk_add_f16 v1, v1, v2;

	;;#ASMEND
	;;#ASMSTART
	v_pk_add_f16 v1, v1, v3;

	;;#ASMEND
	;; [unrolled: 4-line block ×3, first 2 shown]
	v_and_b32_e32 v2, 0xffff, v1
	v_lshrrev_b32_e32 v1, 16, v1
	;;#ASMSTART
	v_cvt_f32_f16 v36, v2;
	;;#ASMEND
	;;#ASMSTART
	v_cvt_f32_f16 v37, v1;
	;;#ASMEND
	global_load_dwordx4 v[1:4], v[7:8], off offset:512
	s_waitcnt vmcnt(0)
	v_lshrrev_b32_e32 v42, 16, v1
	v_lshrrev_b32_e32 v41, 16, v2
	;; [unrolled: 1-line block ×3, first 2 shown]
	s_and_saveexec_b32 s14, s0
	s_cbranch_execz .LBB108_43
; %bb.42:                               ;   in Loop: Header=BB108_38 Depth=1
	v_cmp_gt_i32_e32 vcc_lo, s27, v31
	v_and_b32_e32 v43, 0xffff0000, v4
	v_cmp_gt_i32_e64 s1, s27, v30
	v_cndmask_b32_e32 v1, 0, v1, vcc_lo
	v_cmp_gt_i32_e32 vcc_lo, s27, v33
	v_cndmask_b32_e64 v2, 0, v2, s1
	v_cmp_gt_i32_e64 s1, s27, v29
	v_cndmask_b32_e32 v42, 0, v42, vcc_lo
	v_cmp_gt_i32_e32 vcc_lo, s27, v32
	v_cndmask_b32_e64 v41, 0, v41, s1
	v_cndmask_b32_sdwa v4, v20, v4, vcc_lo dst_sel:DWORD dst_unused:UNUSED_PAD src0_sel:DWORD src1_sel:WORD_0
	v_cmp_gt_i32_e32 vcc_lo, s27, v28
	v_cndmask_b32_e32 v43, 0, v43, vcc_lo
	v_cmp_gt_i32_e32 vcc_lo, s27, v27
	v_or_b32_e32 v4, v4, v43
	v_cndmask_b32_e32 v3, 0, v3, vcc_lo
	v_cmp_gt_i32_e32 vcc_lo, s27, v26
	v_cndmask_b32_e32 v40, 0, v40, vcc_lo
.LBB108_43:                             ;   in Loop: Header=BB108_38 Depth=1
	s_or_b32 exec_lo, exec_lo, s14
	v_lshlrev_b32_e32 v42, 16, v42
	v_lshlrev_b32_e32 v41, 16, v41
	;; [unrolled: 1-line block ×3, first 2 shown]
	v_and_or_b32 v1, 0xffff, v1, v42
	v_and_or_b32 v2, 0xffff, v2, v41
	;; [unrolled: 1-line block ×3, first 2 shown]
	;;#ASMSTART
	v_pk_mul_f16 v1, v35, v1;

	;;#ASMEND
	;;#ASMSTART
	v_pk_mul_f16 v2, v34, v2;

	;;#ASMEND
	;; [unrolled: 4-line block ×4, first 2 shown]
	;;#ASMSTART
	v_pk_add_f16 v1, v1, v2;

	;;#ASMEND
	;;#ASMSTART
	v_pk_add_f16 v1, v1, v3;

	;;#ASMEND
	;; [unrolled: 4-line block ×3, first 2 shown]
	v_and_b32_e32 v2, 0xffff, v1
	v_lshrrev_b32_e32 v1, 16, v1
	;;#ASMSTART
	v_cvt_f32_f16 v40, v2;
	;;#ASMEND
	;;#ASMSTART
	v_cvt_f32_f16 v41, v1;
	;;#ASMEND
	global_load_dwordx4 v[1:4], v[7:8], off offset:1024
	s_waitcnt vmcnt(0)
	v_lshrrev_b32_e32 v44, 16, v1
	v_lshrrev_b32_e32 v43, 16, v2
	v_lshrrev_b32_e32 v42, 16, v3
	s_and_saveexec_b32 s14, s0
	s_cbranch_execz .LBB108_45
; %bb.44:                               ;   in Loop: Header=BB108_38 Depth=1
	v_cmp_gt_i32_e32 vcc_lo, s27, v31
	v_and_b32_e32 v45, 0xffff0000, v4
	v_cmp_gt_i32_e64 s1, s27, v30
	v_cndmask_b32_e32 v1, 0, v1, vcc_lo
	v_cmp_gt_i32_e32 vcc_lo, s27, v33
	v_cndmask_b32_e64 v2, 0, v2, s1
	v_cmp_gt_i32_e64 s1, s27, v29
	v_cndmask_b32_e32 v44, 0, v44, vcc_lo
	v_cmp_gt_i32_e32 vcc_lo, s27, v32
	v_cndmask_b32_e64 v43, 0, v43, s1
	v_cndmask_b32_sdwa v4, v20, v4, vcc_lo dst_sel:DWORD dst_unused:UNUSED_PAD src0_sel:DWORD src1_sel:WORD_0
	v_cmp_gt_i32_e32 vcc_lo, s27, v28
	v_cndmask_b32_e32 v45, 0, v45, vcc_lo
	v_cmp_gt_i32_e32 vcc_lo, s27, v27
	v_or_b32_e32 v4, v4, v45
	v_cndmask_b32_e32 v3, 0, v3, vcc_lo
	v_cmp_gt_i32_e32 vcc_lo, s27, v26
	v_cndmask_b32_e32 v42, 0, v42, vcc_lo
.LBB108_45:                             ;   in Loop: Header=BB108_38 Depth=1
	s_or_b32 exec_lo, exec_lo, s14
	v_lshlrev_b32_e32 v44, 16, v44
	v_lshlrev_b32_e32 v43, 16, v43
	;; [unrolled: 1-line block ×3, first 2 shown]
	v_and_or_b32 v1, 0xffff, v1, v44
	v_and_or_b32 v2, 0xffff, v2, v43
	;; [unrolled: 1-line block ×3, first 2 shown]
	;;#ASMSTART
	v_pk_mul_f16 v1, v35, v1;

	;;#ASMEND
	;;#ASMSTART
	v_pk_mul_f16 v2, v34, v2;

	;;#ASMEND
	;;#ASMSTART
	v_pk_mul_f16 v3, v38, v3;

	;;#ASMEND
	;;#ASMSTART
	v_pk_mul_f16 v4, v39, v4;

	;;#ASMEND
	;;#ASMSTART
	v_pk_add_f16 v1, v1, v2;

	;;#ASMEND
	;;#ASMSTART
	v_pk_add_f16 v1, v1, v3;

	;;#ASMEND
	;; [unrolled: 4-line block ×3, first 2 shown]
	v_and_b32_e32 v2, 0xffff, v1
	v_lshrrev_b32_e32 v1, 16, v1
	;;#ASMSTART
	v_cvt_f32_f16 v42, v2;
	;;#ASMEND
	;;#ASMSTART
	v_cvt_f32_f16 v43, v1;
	;;#ASMEND
	global_load_dwordx4 v[1:4], v[7:8], off offset:1536
	s_waitcnt vmcnt(0)
	v_lshrrev_b32_e32 v44, 16, v1
	v_lshrrev_b32_e32 v8, 16, v2
	;; [unrolled: 1-line block ×3, first 2 shown]
	s_and_saveexec_b32 s1, s0
	s_cbranch_execz .LBB108_36
; %bb.46:                               ;   in Loop: Header=BB108_38 Depth=1
	v_cmp_gt_i32_e32 vcc_lo, s27, v31
	v_cmp_gt_i32_e64 s0, s27, v30
	v_cndmask_b32_e32 v1, 0, v1, vcc_lo
	v_cmp_gt_i32_e32 vcc_lo, s27, v33
	v_cndmask_b32_e64 v2, 0, v2, s0
	v_cmp_gt_i32_e64 s0, s27, v29
	v_and_b32_e32 v29, 0xffff0000, v4
	v_cndmask_b32_e32 v44, 0, v44, vcc_lo
	v_cmp_gt_i32_e32 vcc_lo, s27, v32
	v_cndmask_b32_e64 v8, 0, v8, s0
	v_cndmask_b32_sdwa v4, v20, v4, vcc_lo dst_sel:DWORD dst_unused:UNUSED_PAD src0_sel:DWORD src1_sel:WORD_0
	v_cmp_gt_i32_e32 vcc_lo, s27, v28
	v_cndmask_b32_e32 v28, 0, v29, vcc_lo
	v_cmp_gt_i32_e32 vcc_lo, s27, v27
	v_or_b32_e32 v4, v4, v28
	v_cndmask_b32_e32 v3, 0, v3, vcc_lo
	v_cmp_gt_i32_e32 vcc_lo, s27, v26
	v_cndmask_b32_e32 v7, 0, v7, vcc_lo
	s_branch .LBB108_36
.LBB108_47:
	s_or_b32 exec_lo, exec_lo, s6
.LBB108_48:
	s_or_b32 exec_lo, exec_lo, s3
	ds_bpermute_b32 v1, v9, v21
	ds_bpermute_b32 v2, v9, v16
	ds_bpermute_b32 v3, v9, v15
	ds_bpermute_b32 v4, v9, v12
	v_lshrrev_b32_e32 v5, 2, v18
	v_and_b32_e32 v13, 0x3c3, v0
	s_mov_b32 s0, exec_lo
	s_waitcnt lgkmcnt(0)
	s_waitcnt_vscnt null, 0x0
	s_barrier
	buffer_gl0_inv
	v_add_f32_e32 v1, v21, v1
	v_add_f32_e32 v2, v16, v2
	;; [unrolled: 1-line block ×4, first 2 shown]
	v_and_b32_e32 v4, 28, v18
	ds_bpermute_b32 v3, v10, v1
	ds_bpermute_b32 v9, v10, v2
	;; [unrolled: 1-line block ×4, first 2 shown]
	v_add_nc_u32_e32 v6, 0x60, v4
	s_waitcnt lgkmcnt(3)
	v_add_f32_e32 v4, v1, v3
	s_waitcnt lgkmcnt(2)
	v_add_f32_e32 v3, v2, v9
	;; [unrolled: 2-line block ×4, first 2 shown]
	v_cmpx_eq_u32_e32 64, v13
	s_cbranch_execz .LBB108_50
; %bb.49:
	v_lshl_add_u32 v7, v17, 7, v6
	v_add_nc_u32_e32 v8, 0xffffff00, v7
	v_add_nc_u32_e32 v9, 0xffffff20, v7
	;; [unrolled: 1-line block ×4, first 2 shown]
	ds_write_b32 v8, v4
	ds_write_b32 v9, v3
	;; [unrolled: 1-line block ×4, first 2 shown]
.LBB108_50:
	s_or_b32 exec_lo, exec_lo, s0
	v_and_b32_e32 v7, 0x3e0, v0
	v_lshlrev_b32_e32 v5, 2, v5
	s_mov_b32 s1, exec_lo
	v_cmp_eq_u32_e32 vcc_lo, 0, v11
	s_waitcnt lgkmcnt(0)
	v_lshlrev_b32_e32 v7, 2, v7
	s_barrier
	buffer_gl0_inv
	v_add3_u32 v5, 0x60, v7, v5
	v_cmpx_gt_u32_e32 64, v0
	s_cbranch_execz .LBB108_57
; %bb.51:
	s_and_saveexec_b32 s0, vcc_lo
	s_cbranch_execnz .LBB108_69
; %bb.52:
	s_or_b32 exec_lo, exec_lo, s0
	s_and_saveexec_b32 s0, vcc_lo
	s_cbranch_execnz .LBB108_70
.LBB108_53:
	s_or_b32 exec_lo, exec_lo, s0
	s_and_saveexec_b32 s0, vcc_lo
	s_cbranch_execnz .LBB108_71
.LBB108_54:
	s_or_b32 exec_lo, exec_lo, s0
	s_and_saveexec_b32 s0, vcc_lo
	s_cbranch_execz .LBB108_56
.LBB108_55:
	ds_read_b32 v7, v5 offset:96
	s_waitcnt lgkmcnt(0)
	v_add_f32_e32 v1, v1, v7
.LBB108_56:
	s_or_b32 exec_lo, exec_lo, s0
.LBB108_57:
	s_or_b32 exec_lo, exec_lo, s1
	v_and_b32_e32 v7, 0x3e3, v0
	s_mov_b32 s1, exec_lo
	s_barrier
	buffer_gl0_inv
	v_cmpx_eq_u32_e32 32, v7
	s_cbranch_execz .LBB108_59
; %bb.58:
	ds_write2_b32 v6, v4, v3 offset1:8
	ds_write2_b32 v6, v2, v1 offset0:16 offset1:24
.LBB108_59:
	s_or_b32 exec_lo, exec_lo, s1
	s_mov_b32 s1, exec_lo
	s_waitcnt lgkmcnt(0)
	s_barrier
	buffer_gl0_inv
	v_cmpx_gt_u32_e32 32, v0
	s_cbranch_execz .LBB108_66
; %bb.60:
	s_and_saveexec_b32 s0, vcc_lo
	s_cbranch_execnz .LBB108_72
; %bb.61:
	s_or_b32 exec_lo, exec_lo, s0
	s_and_saveexec_b32 s0, vcc_lo
	s_cbranch_execnz .LBB108_73
.LBB108_62:
	s_or_b32 exec_lo, exec_lo, s0
	s_and_saveexec_b32 s0, vcc_lo
	s_cbranch_execnz .LBB108_74
.LBB108_63:
	s_or_b32 exec_lo, exec_lo, s0
	s_and_saveexec_b32 s0, vcc_lo
	s_cbranch_execz .LBB108_65
.LBB108_64:
	ds_read_b32 v5, v5 offset:96
	s_waitcnt lgkmcnt(0)
	v_add_f32_e32 v1, v1, v5
.LBB108_65:
	s_or_b32 exec_lo, exec_lo, s0
.LBB108_66:
	s_or_b32 exec_lo, exec_lo, s1
	s_barrier
	buffer_gl0_inv
	s_mov_b32 s0, exec_lo
	v_cmpx_eq_u32_e32 0, v7
	s_cbranch_execz .LBB108_68
; %bb.67:
	s_lshl_b32 s0, s2, 5
	s_mul_i32 s2, s7, s10
	s_ashr_i32 s1, s0, 31
	v_lshrrev_b32_e32 v0, 1, v0
	s_lshl_b64 s[0:1], s[0:1], 1
	;;#ASMSTART
	v_cvt_f16_f32 v4, v4;

	;;#ASMEND
	s_add_u32 s4, s24, s0
	s_addc_u32 s5, s25, s1
	s_ashr_i32 s3, s2, 31
	s_lshl_b64 s[0:1], s[2:3], 1
	s_add_u32 s2, s4, s0
	s_addc_u32 s3, s5, s1
	s_lshl_b32 s0, s8, 5
	s_ashr_i32 s1, s0, 31
	s_lshl_b64 s[0:1], s[0:1], 1
	s_add_u32 s0, s2, s0
	s_addc_u32 s1, s3, s1
	global_store_short v0, v4, s[0:1]
	;;#ASMSTART
	v_cvt_f16_f32 v3, v3;

	;;#ASMEND
	global_store_short v0, v3, s[0:1] offset:16
	;;#ASMSTART
	v_cvt_f16_f32 v2, v2;

	;;#ASMEND
	global_store_short v0, v2, s[0:1] offset:32
	;; [unrolled: 5-line block ×3, first 2 shown]
.LBB108_68:
	s_endpgm
.LBB108_69:
	ds_read_b32 v7, v5
	s_waitcnt lgkmcnt(0)
	v_add_f32_e32 v4, v4, v7
	s_or_b32 exec_lo, exec_lo, s0
	s_and_saveexec_b32 s0, vcc_lo
	s_cbranch_execz .LBB108_53
.LBB108_70:
	ds_read_b32 v7, v5 offset:32
	s_waitcnt lgkmcnt(0)
	v_add_f32_e32 v3, v3, v7
	s_or_b32 exec_lo, exec_lo, s0
	s_and_saveexec_b32 s0, vcc_lo
	s_cbranch_execz .LBB108_54
.LBB108_71:
	ds_read_b32 v7, v5 offset:64
	s_waitcnt lgkmcnt(0)
	v_add_f32_e32 v2, v2, v7
	s_or_b32 exec_lo, exec_lo, s0
	s_and_saveexec_b32 s0, vcc_lo
	s_cbranch_execnz .LBB108_55
	s_branch .LBB108_56
.LBB108_72:
	ds_read_b32 v6, v5
	s_waitcnt lgkmcnt(0)
	v_add_f32_e32 v4, v4, v6
	s_or_b32 exec_lo, exec_lo, s0
	s_and_saveexec_b32 s0, vcc_lo
	s_cbranch_execz .LBB108_62
.LBB108_73:
	ds_read_b32 v6, v5 offset:32
	s_waitcnt lgkmcnt(0)
	v_add_f32_e32 v3, v3, v6
	s_or_b32 exec_lo, exec_lo, s0
	s_and_saveexec_b32 s0, vcc_lo
	s_cbranch_execz .LBB108_63
.LBB108_74:
	ds_read_b32 v6, v5 offset:64
	s_waitcnt lgkmcnt(0)
	v_add_f32_e32 v2, v2, v6
	s_or_b32 exec_lo, exec_lo, s0
	s_and_saveexec_b32 s0, vcc_lo
	s_cbranch_execnz .LBB108_64
	s_branch .LBB108_65
	.section	.rodata,"a",@progbits
	.p2align	6, 0x0
	.amdhsa_kernel _ZN4vllm25paged_attention_v2_kernelIttLi32ELi32ELi128ELNS_18Fp8KVCacheDataTypeE0ELb1ELi512EEEvPfS2_PT_PKS3_PKT0_S9_ifPKiSB_iPKfiiiSD_SD_iiiii
		.amdhsa_group_segment_fixed_size 96
		.amdhsa_private_segment_fixed_size 0
		.amdhsa_kernarg_size 400
		.amdhsa_user_sgpr_count 6
		.amdhsa_user_sgpr_private_segment_buffer 1
		.amdhsa_user_sgpr_dispatch_ptr 0
		.amdhsa_user_sgpr_queue_ptr 0
		.amdhsa_user_sgpr_kernarg_segment_ptr 1
		.amdhsa_user_sgpr_dispatch_id 0
		.amdhsa_user_sgpr_flat_scratch_init 0
		.amdhsa_user_sgpr_private_segment_size 0
		.amdhsa_wavefront_size32 1
		.amdhsa_uses_dynamic_stack 0
		.amdhsa_system_sgpr_private_segment_wavefront_offset 0
		.amdhsa_system_sgpr_workgroup_id_x 1
		.amdhsa_system_sgpr_workgroup_id_y 1
		.amdhsa_system_sgpr_workgroup_id_z 1
		.amdhsa_system_sgpr_workgroup_info 0
		.amdhsa_system_vgpr_workitem_id 0
		.amdhsa_next_free_vgpr 83
		.amdhsa_next_free_sgpr 46
		.amdhsa_reserve_vcc 1
		.amdhsa_reserve_flat_scratch 0
		.amdhsa_float_round_mode_32 0
		.amdhsa_float_round_mode_16_64 0
		.amdhsa_float_denorm_mode_32 3
		.amdhsa_float_denorm_mode_16_64 3
		.amdhsa_dx10_clamp 1
		.amdhsa_ieee_mode 1
		.amdhsa_fp16_overflow 0
		.amdhsa_workgroup_processor_mode 1
		.amdhsa_memory_ordered 1
		.amdhsa_forward_progress 1
		.amdhsa_shared_vgpr_count 0
		.amdhsa_exception_fp_ieee_invalid_op 0
		.amdhsa_exception_fp_denorm_src 0
		.amdhsa_exception_fp_ieee_div_zero 0
		.amdhsa_exception_fp_ieee_overflow 0
		.amdhsa_exception_fp_ieee_underflow 0
		.amdhsa_exception_fp_ieee_inexact 0
		.amdhsa_exception_int_div_zero 0
	.end_amdhsa_kernel
	.section	.text._ZN4vllm25paged_attention_v2_kernelIttLi32ELi32ELi128ELNS_18Fp8KVCacheDataTypeE0ELb1ELi512EEEvPfS2_PT_PKS3_PKT0_S9_ifPKiSB_iPKfiiiSD_SD_iiiii,"axG",@progbits,_ZN4vllm25paged_attention_v2_kernelIttLi32ELi32ELi128ELNS_18Fp8KVCacheDataTypeE0ELb1ELi512EEEvPfS2_PT_PKS3_PKT0_S9_ifPKiSB_iPKfiiiSD_SD_iiiii,comdat
.Lfunc_end108:
	.size	_ZN4vllm25paged_attention_v2_kernelIttLi32ELi32ELi128ELNS_18Fp8KVCacheDataTypeE0ELb1ELi512EEEvPfS2_PT_PKS3_PKT0_S9_ifPKiSB_iPKfiiiSD_SD_iiiii, .Lfunc_end108-_ZN4vllm25paged_attention_v2_kernelIttLi32ELi32ELi128ELNS_18Fp8KVCacheDataTypeE0ELb1ELi512EEEvPfS2_PT_PKS3_PKT0_S9_ifPKiSB_iPKfiiiSD_SD_iiiii
                                        ; -- End function
	.set _ZN4vllm25paged_attention_v2_kernelIttLi32ELi32ELi128ELNS_18Fp8KVCacheDataTypeE0ELb1ELi512EEEvPfS2_PT_PKS3_PKT0_S9_ifPKiSB_iPKfiiiSD_SD_iiiii.num_vgpr, 83
	.set _ZN4vllm25paged_attention_v2_kernelIttLi32ELi32ELi128ELNS_18Fp8KVCacheDataTypeE0ELb1ELi512EEEvPfS2_PT_PKS3_PKT0_S9_ifPKiSB_iPKfiiiSD_SD_iiiii.num_agpr, 0
	.set _ZN4vllm25paged_attention_v2_kernelIttLi32ELi32ELi128ELNS_18Fp8KVCacheDataTypeE0ELb1ELi512EEEvPfS2_PT_PKS3_PKT0_S9_ifPKiSB_iPKfiiiSD_SD_iiiii.numbered_sgpr, 46
	.set _ZN4vllm25paged_attention_v2_kernelIttLi32ELi32ELi128ELNS_18Fp8KVCacheDataTypeE0ELb1ELi512EEEvPfS2_PT_PKS3_PKT0_S9_ifPKiSB_iPKfiiiSD_SD_iiiii.num_named_barrier, 0
	.set _ZN4vllm25paged_attention_v2_kernelIttLi32ELi32ELi128ELNS_18Fp8KVCacheDataTypeE0ELb1ELi512EEEvPfS2_PT_PKS3_PKT0_S9_ifPKiSB_iPKfiiiSD_SD_iiiii.private_seg_size, 0
	.set _ZN4vllm25paged_attention_v2_kernelIttLi32ELi32ELi128ELNS_18Fp8KVCacheDataTypeE0ELb1ELi512EEEvPfS2_PT_PKS3_PKT0_S9_ifPKiSB_iPKfiiiSD_SD_iiiii.uses_vcc, 1
	.set _ZN4vllm25paged_attention_v2_kernelIttLi32ELi32ELi128ELNS_18Fp8KVCacheDataTypeE0ELb1ELi512EEEvPfS2_PT_PKS3_PKT0_S9_ifPKiSB_iPKfiiiSD_SD_iiiii.uses_flat_scratch, 0
	.set _ZN4vllm25paged_attention_v2_kernelIttLi32ELi32ELi128ELNS_18Fp8KVCacheDataTypeE0ELb1ELi512EEEvPfS2_PT_PKS3_PKT0_S9_ifPKiSB_iPKfiiiSD_SD_iiiii.has_dyn_sized_stack, 0
	.set _ZN4vllm25paged_attention_v2_kernelIttLi32ELi32ELi128ELNS_18Fp8KVCacheDataTypeE0ELb1ELi512EEEvPfS2_PT_PKS3_PKT0_S9_ifPKiSB_iPKfiiiSD_SD_iiiii.has_recursion, 0
	.set _ZN4vllm25paged_attention_v2_kernelIttLi32ELi32ELi128ELNS_18Fp8KVCacheDataTypeE0ELb1ELi512EEEvPfS2_PT_PKS3_PKT0_S9_ifPKiSB_iPKfiiiSD_SD_iiiii.has_indirect_call, 0
	.section	.AMDGPU.csdata,"",@progbits
; Kernel info:
; codeLenInByte = 7540
; TotalNumSgprs: 48
; NumVgprs: 83
; ScratchSize: 0
; MemoryBound: 0
; FloatMode: 240
; IeeeMode: 1
; LDSByteSize: 96 bytes/workgroup (compile time only)
; SGPRBlocks: 0
; VGPRBlocks: 10
; NumSGPRsForWavesPerEU: 48
; NumVGPRsForWavesPerEU: 83
; Occupancy: 10
; WaveLimiterHint : 1
; COMPUTE_PGM_RSRC2:SCRATCH_EN: 0
; COMPUTE_PGM_RSRC2:USER_SGPR: 6
; COMPUTE_PGM_RSRC2:TRAP_HANDLER: 0
; COMPUTE_PGM_RSRC2:TGID_X_EN: 1
; COMPUTE_PGM_RSRC2:TGID_Y_EN: 1
; COMPUTE_PGM_RSRC2:TGID_Z_EN: 1
; COMPUTE_PGM_RSRC2:TIDIG_COMP_CNT: 0
	.section	.text._ZN4vllm25paged_attention_v2_kernelIttLi64ELi32ELi128ELNS_18Fp8KVCacheDataTypeE0ELb1ELi512EEEvPfS2_PT_PKS3_PKT0_S9_ifPKiSB_iPKfiiiSD_SD_iiiii,"axG",@progbits,_ZN4vllm25paged_attention_v2_kernelIttLi64ELi32ELi128ELNS_18Fp8KVCacheDataTypeE0ELb1ELi512EEEvPfS2_PT_PKS3_PKT0_S9_ifPKiSB_iPKfiiiSD_SD_iiiii,comdat
	.protected	_ZN4vllm25paged_attention_v2_kernelIttLi64ELi32ELi128ELNS_18Fp8KVCacheDataTypeE0ELb1ELi512EEEvPfS2_PT_PKS3_PKT0_S9_ifPKiSB_iPKfiiiSD_SD_iiiii ; -- Begin function _ZN4vllm25paged_attention_v2_kernelIttLi64ELi32ELi128ELNS_18Fp8KVCacheDataTypeE0ELb1ELi512EEEvPfS2_PT_PKS3_PKT0_S9_ifPKiSB_iPKfiiiSD_SD_iiiii
	.globl	_ZN4vllm25paged_attention_v2_kernelIttLi64ELi32ELi128ELNS_18Fp8KVCacheDataTypeE0ELb1ELi512EEEvPfS2_PT_PKS3_PKT0_S9_ifPKiSB_iPKfiiiSD_SD_iiiii
	.p2align	8
	.type	_ZN4vllm25paged_attention_v2_kernelIttLi64ELi32ELi128ELNS_18Fp8KVCacheDataTypeE0ELb1ELi512EEEvPfS2_PT_PKS3_PKT0_S9_ifPKiSB_iPKfiiiSD_SD_iiiii,@function
_ZN4vllm25paged_attention_v2_kernelIttLi64ELi32ELi128ELNS_18Fp8KVCacheDataTypeE0ELb1ELi512EEEvPfS2_PT_PKS3_PKT0_S9_ifPKiSB_iPKfiiiSD_SD_iiiii: ; @_ZN4vllm25paged_attention_v2_kernelIttLi64ELi32ELi128ELNS_18Fp8KVCacheDataTypeE0ELb1ELi512EEEvPfS2_PT_PKS3_PKT0_S9_ifPKiSB_iPKfiiiSD_SD_iiiii
; %bb.0:
	s_load_dwordx2 s[0:1], s[4:5], 0x40
	s_mov_b32 s26, s7
	s_ashr_i32 s27, s7, 31
	s_lshl_b64 s[2:3], s[26:27], 2
	s_waitcnt lgkmcnt(0)
	s_add_u32 s0, s0, s2
	s_addc_u32 s1, s1, s3
	s_lshl_b32 s37, s8, 9
	s_load_dword s27, s[0:1], 0x0
	s_waitcnt lgkmcnt(0)
	s_cmp_ge_i32 s37, s27
	s_cbranch_scc1 .LBB109_84
; %bb.1:
	s_clause 0x1
	s_load_dword s9, s[4:5], 0x90
	s_load_dwordx2 s[2:3], s[4:5], 0x30
	s_mov_b32 s39, 0
	s_waitcnt lgkmcnt(0)
	s_abs_i32 s10, s9
	s_abs_i32 s0, s2
	v_cvt_f32_u32_e32 v1, s0
	s_sub_i32 s7, 0, s0
	v_rcp_iflag_f32_e32 v1, v1
	v_mul_f32_e32 v1, 0x4f7ffffe, v1
	v_cvt_u32_f32_e32 v1, v1
	v_readfirstlane_b32 s1, v1
	s_mul_i32 s7, s7, s1
	s_mul_hi_u32 s7, s1, s7
	s_add_i32 s1, s1, s7
	s_xor_b32 s7, s9, s2
	s_mul_hi_u32 s1, s10, s1
	s_ashr_i32 s7, s7, 31
	s_mul_i32 s11, s1, s0
	s_sub_i32 s10, s10, s11
	s_add_i32 s11, s1, 1
	s_sub_i32 s12, s10, s0
	s_cmp_ge_u32 s10, s0
	s_cselect_b32 s1, s11, s1
	s_cselect_b32 s10, s12, s10
	s_add_i32 s11, s1, 1
	s_cmp_ge_u32 s10, s0
	s_cselect_b32 s0, s11, s1
	s_abs_i32 s21, s6
	s_xor_b32 s0, s0, s7
	s_sub_i32 s10, s0, s7
	s_load_dwordx2 s[0:1], s[4:5], 0x50
	s_abs_i32 s20, s10
	v_cvt_f32_u32_e32 v1, s20
	s_sub_i32 s11, 0, s20
	v_rcp_iflag_f32_e32 v1, v1
	v_mul_f32_e32 v1, 0x4f7ffffe, v1
	v_cvt_u32_f32_e32 v1, v1
	v_readfirstlane_b32 s7, v1
	s_mul_i32 s11, s11, s7
	s_mul_hi_u32 s11, s7, s11
	s_add_i32 s7, s7, s11
	s_waitcnt lgkmcnt(0)
	s_cmp_eq_u64 s[0:1], 0
	s_mul_hi_u32 s22, s21, s7
	s_cbranch_scc1 .LBB109_3
; %bb.2:
	s_ashr_i32 s7, s6, 31
	s_lshl_b64 s[12:13], s[6:7], 2
	s_add_u32 s0, s0, s12
	s_addc_u32 s1, s1, s13
	s_load_dword s39, s[0:1], 0x0
.LBB109_3:
	s_load_dwordx4 s[12:15], s[4:5], 0x58
	v_lshlrev_b32_e32 v40, 4, v0
	s_ashr_i32 s0, s6, 31
	s_ashr_i32 s1, s10, 31
	s_lshl_b32 s10, s6, 6
	s_mov_b32 s7, exec_lo
	v_cmpx_gt_u32_e32 8, v0
	s_cbranch_execz .LBB109_5
; %bb.4:
	s_load_dwordx2 s[16:17], s[4:5], 0x18
	s_waitcnt lgkmcnt(0)
	s_mul_i32 s18, s12, s26
	s_ashr_i32 s19, s18, 31
	s_lshl_b64 s[18:19], s[18:19], 1
	s_add_u32 s12, s16, s18
	s_addc_u32 s15, s17, s19
	s_ashr_i32 s11, s10, 31
	s_lshl_b64 s[16:17], s[10:11], 1
	s_add_u32 s16, s12, s16
	s_addc_u32 s17, s15, s17
	global_load_dwordx4 v[1:4], v40, s[16:17]
	s_waitcnt vmcnt(0)
	ds_write_b128 v40, v[1:4]
.LBB109_5:
	s_or_b32 exec_lo, exec_lo, s7
	s_load_dwordx4 s[16:19], s[4:5], 0x78
	s_mul_i32 s7, s22, s20
	s_xor_b32 s0, s0, s1
	s_sub_i32 s1, s21, s7
	s_add_i32 s7, s22, 1
	s_sub_i32 s11, s1, s20
	s_cmp_ge_u32 s1, s20
	s_mov_b32 s21, -1
	s_cselect_b32 s7, s7, s22
	s_cselect_b32 s1, s11, s1
	s_add_i32 s11, s7, 1
	s_cmp_ge_u32 s1, s20
                                        ; implicit-def: $sgpr33
	s_cselect_b32 s1, s11, s7
	s_load_dword s7, s[4:5], 0x88
	s_xor_b32 s1, s1, s0
	s_add_i32 s20, s27, -1
	s_sub_i32 s1, s1, s0
	s_waitcnt lgkmcnt(0)
	s_abs_i32 s15, s20
	s_abs_i32 s11, s19
	s_barrier
	v_cvt_f32_u32_e32 v1, s11
	s_sub_i32 s0, 0, s11
	buffer_gl0_inv
	v_rcp_iflag_f32_e32 v1, v1
	v_mul_f32_e32 v1, 0x4f7ffffe, v1
	v_cvt_u32_f32_e32 v1, v1
	v_readfirstlane_b32 s12, v1
	s_mul_i32 s0, s0, s12
	s_mul_hi_u32 s0, s12, s0
	s_add_i32 s12, s12, s0
	s_cmp_lt_i32 s7, 0
	s_mul_hi_u32 s0, s15, s12
	s_cbranch_scc0 .LBB109_7
; %bb.6:
	s_mul_i32 s2, s16, s2
	s_mov_b32 s21, 0
	s_add_i32 s2, s1, s2
	s_mul_i32 s2, s2, s7
	s_sub_i32 s33, 1, s2
.LBB109_7:
	s_load_dwordx2 s[28:29], s[4:5], 0x38
	s_ashr_i32 s2, s20, 31
	s_andn2_b32 vcc_lo, exec_lo, s21
	s_ashr_i32 s19, s19, 31
	s_cbranch_vccnz .LBB109_9
; %bb.8:
	s_mul_i32 s16, s9, s16
	s_add_i32 s16, s16, s6
	s_mul_i32 s7, s16, s7
	s_add_i32 s33, s7, 1
.LBB109_9:
	s_clause 0x4
	s_load_dword s16, s[4:5], 0x48
	s_load_dwordx2 s[34:35], s[4:5], 0x28
	s_load_dword s7, s[4:5], 0x98
	s_load_dwordx4 s[20:23], s[4:5], 0x0
	s_load_dwordx2 s[24:25], s[4:5], 0x10
	s_mul_i32 s30, s0, s11
	s_xor_b32 s2, s2, s19
	s_sub_i32 s15, s15, s30
	s_add_i32 s36, s0, 1
	v_lshrrev_b32_e32 v37, 5, v0
	v_and_b32_e32 v38, 31, v0
	v_mov_b32_e32 v42, 0xff7fffff
	s_mul_i32 s14, s1, s14
	v_lshl_add_u32 v39, v37, 5, s37
	v_lshlrev_b32_e32 v41, 2, v38
	s_waitcnt lgkmcnt(0)
	s_mul_i32 s30, s16, s26
	s_sub_i32 s16, s15, s11
	s_ashr_i32 s31, s30, 31
	s_cmp_ge_u32 s15, s11
	s_cselect_b32 s0, s36, s0
	s_cselect_b32 s15, s16, s15
	s_add_i32 s16, s0, 1
	s_cmp_ge_u32 s15, s11
	s_cselect_b32 s0, s16, s0
	s_add_i32 s15, s27, 31
	s_lshl_b32 s40, s8, 4
	s_ashr_i32 s16, s15, 31
	v_add_nc_u32_e32 v33, s40, v37
	s_lshr_b32 s16, s16, 27
	s_add_i32 s15, s15, s16
	s_add_i32 s16, s40, 16
	s_ashr_i32 s36, s15, 5
	s_xor_b32 s15, s0, s2
	s_min_i32 s16, s16, s36
	v_ashrrev_i32_e32 v34, 31, v33
	v_cmp_gt_i32_e64 s0, s16, v33
	s_sub_i32 s38, s15, s2
	s_and_saveexec_b32 s41, s0
	s_cbranch_execz .LBB109_17
; %bb.10:
	s_load_dwordx2 s[42:43], s[4:5], 0x20
	s_ashr_i32 s15, s14, 31
	s_sub_i32 s4, s38, s17
	s_lshl_b64 s[44:45], s[14:15], 1
	v_subrev_nc_u32_e32 v5, s27, v38
	v_lshlrev_b32_e32 v3, 4, v38
	v_lshl_or_b32 v7, v37, 7, v41
	v_mov_b32_e32 v43, 0
	v_cmp_neq_f32_e64 vcc_lo, s39, 0
	v_add_nc_u32_e32 v46, 1, v5
	v_lshl_add_u32 v44, v37, 5, s37
	v_mov_b32_e32 v45, 0xff7fffff
	v_mov_b32_e32 v42, 0xff7fffff
	v_add_nc_u32_e32 v47, 0xa0, v7
	v_mov_b32_e32 v51, v33
	s_waitcnt lgkmcnt(0)
	s_add_u32 s1, s42, s44
	s_addc_u32 s2, s43, s45
	s_abs_i32 s5, s18
	s_lshl_b64 s[42:43], s[30:31], 2
	v_cvt_f32_u32_e32 v1, s5
	s_sub_i32 s15, 0, s5
	v_add_co_u32 v48, s1, s1, v3
	v_add_co_ci_u32_e64 v49, null, s2, 0, s1
	v_rcp_iflag_f32_e32 v1, v1
	s_add_u32 s1, s28, s42
	s_addc_u32 s2, s29, s43
	s_mov_b32 s42, s13
	v_mul_f32_e32 v1, 0x4f7ffffe, v1
	v_cvt_u32_f32_e32 v4, v1
	v_lshlrev_b64 v[1:2], 2, v[33:34]
	v_mul_lo_u32 v6, s15, v4
	s_mov_b32 s15, 0
	v_add_co_u32 v35, s1, s1, v1
	v_add_co_ci_u32_e64 v36, null, s2, v2, s1
	v_mul_hi_u32 v5, v4, v6
	v_add_nc_u32_e32 v50, v4, v5
	s_branch .LBB109_12
.LBB109_11:                             ;   in Loop: Header=BB109_12 Depth=1
	s_or_b32 exec_lo, exec_lo, s2
	v_add_nc_u32_e32 v51, 4, v51
	v_add_co_u32 v35, s2, v35, 16
	v_add_co_ci_u32_e64 v36, null, 0, v36, s2
	v_cmp_le_i32_e64 s1, s16, v51
	v_add_nc_u32_e32 v44, 0x80, v44
	v_add_nc_u32_e32 v47, 0x200, v47
	s_or_b32 s15, s1, s15
	s_andn2_b32 exec_lo, exec_lo, s15
	s_cbranch_execz .LBB109_16
.LBB109_12:                             ; =>This Inner Loop Header: Depth=1
	v_sub_nc_u32_e32 v1, 0, v44
	v_max_i32_e32 v1, v44, v1
	v_mul_hi_u32 v2, v1, s12
	v_mul_lo_u32 v3, v2, s11
	v_sub_nc_u32_e32 v1, v1, v3
	v_add_nc_u32_e32 v3, 1, v2
	v_subrev_nc_u32_e32 v4, s11, v1
	v_cmp_le_u32_e64 s1, s11, v1
	v_cndmask_b32_e64 v2, v2, v3, s1
	v_cndmask_b32_e64 v1, v1, v4, s1
	v_ashrrev_i32_e32 v3, 31, v44
	v_add_nc_u32_e32 v4, 1, v2
	v_cmp_le_u32_e64 s1, s11, v1
	v_xor_b32_e32 v3, s19, v3
	v_cndmask_b32_e64 v1, v2, v4, s1
	v_xor_b32_e32 v1, v1, v3
	v_sub_nc_u32_e32 v1, v1, v3
	v_add_nc_u32_e32 v2, s33, v1
	v_cmp_ge_i32_e64 s2, s4, v1
	v_sub_nc_u32_e32 v3, 0, v2
	v_max_i32_e32 v3, v2, v3
	v_ashrrev_i32_e32 v2, 31, v2
	v_mul_hi_u32 v4, v3, v50
	v_mul_lo_u32 v4, v4, s5
	v_sub_nc_u32_e32 v3, v3, v4
	v_subrev_nc_u32_e32 v4, s5, v3
	v_cmp_le_u32_e64 s1, s5, v3
	v_cndmask_b32_e64 v3, v3, v4, s1
	v_subrev_nc_u32_e32 v4, s5, v3
	v_cmp_le_u32_e64 s1, s5, v3
	v_cndmask_b32_e64 v3, v3, v4, s1
	v_xor_b32_e32 v3, v3, v2
	v_sub_nc_u32_e32 v2, v3, v2
	v_cmp_ne_u32_e64 s1, 0, v2
	s_and_b32 s1, s1, s2
	s_and_saveexec_b32 s2, s1
	s_xor_b32 s1, exec_lo, s2
; %bb.13:                               ;   in Loop: Header=BB109_12 Depth=1
	ds_write_b32 v47, v45
; %bb.14:                               ;   in Loop: Header=BB109_12 Depth=1
	s_andn2_saveexec_b32 s2, s1
	s_cbranch_execz .LBB109_11
; %bb.15:                               ;   in Loop: Header=BB109_12 Depth=1
	global_load_dword v1, v[35:36], off
	s_waitcnt vmcnt(0)
	v_mad_i64_i32 v[1:2], null, v1, s42, 0
	v_lshlrev_b64 v[1:2], 1, v[1:2]
	v_add_co_u32 v5, s1, v48, v1
	v_add_co_ci_u32_e64 v6, null, v49, v2, s1
	s_clause 0x3
	global_load_dwordx4 v[17:20], v[5:6], off
	global_load_dwordx4 v[13:16], v[5:6], off offset:512
	global_load_dwordx4 v[9:12], v[5:6], off offset:1024
	;; [unrolled: 1-line block ×3, first 2 shown]
	v_add_co_u32 v25, s1, 0x800, v5
	v_add_co_ci_u32_e64 v26, null, 0, v6, s1
	s_clause 0x3
	global_load_dwordx4 v[5:8], v[25:26], off
	global_load_dwordx4 v[21:24], v[25:26], off offset:512
	global_load_dwordx4 v[29:32], v[25:26], off offset:1024
	;; [unrolled: 1-line block ×3, first 2 shown]
	ds_read_b128 v[52:55], v43
	s_waitcnt lgkmcnt(0)
	v_lshrrev_b32_e32 v56, 16, v52
	v_and_b32_e32 v52, 0xffff, v52
	v_lshrrev_b32_e32 v57, 16, v53
	v_and_b32_e32 v53, 0xffff, v53
	;; [unrolled: 2-line block ×4, first 2 shown]
	;;#ASMSTART
	v_cvt_f32_f16 v60, v52;
	;;#ASMEND
	;;#ASMSTART
	v_cvt_f32_f16 v61, v56;
	;;#ASMEND
	s_waitcnt vmcnt(7)
	v_lshrrev_b32_e32 v52, 16, v17
	v_and_b32_e32 v17, 0xffff, v17
	v_lshrrev_b32_e32 v55, 16, v18
	v_and_b32_e32 v56, 0xffff, v18
	v_lshrrev_b32_e32 v65, 16, v19
	v_and_b32_e32 v66, 0xffff, v19
	v_lshrrev_b32_e32 v67, 16, v20
	v_and_b32_e32 v68, 0xffff, v20
	;;#ASMSTART
	v_cvt_f32_f16 v62, v17;
	;;#ASMEND
	;;#ASMSTART
	v_cvt_f32_f16 v63, v52;
	;;#ASMEND
	;; [unrolled: 3-line block ×14, first 2 shown]
	ds_read_b128 v[64:67], v43 offset:16
	s_waitcnt vmcnt(6)
	v_lshrrev_b32_e32 v71, 16, v13
	v_and_b32_e32 v13, 0xffff, v13
	v_lshrrev_b32_e32 v75, 16, v14
	v_and_b32_e32 v14, 0xffff, v14
	;; [unrolled: 2-line block ×4, first 2 shown]
	s_waitcnt vmcnt(4)
	v_lshrrev_b32_e32 v98, 16, v1
	v_and_b32_e32 v99, 0xffff, v1
	v_lshrrev_b32_e32 v100, 16, v2
	v_and_b32_e32 v101, 0xffff, v2
	;; [unrolled: 2-line block ×5, first 2 shown]
	v_lshrrev_b32_e32 v93, 16, v11
	s_waitcnt lgkmcnt(0)
	v_lshrrev_b32_e32 v1, 16, v64
	v_and_b32_e32 v2, 0xffff, v64
	v_lshrrev_b32_e32 v9, 16, v65
	v_and_b32_e32 v10, 0xffff, v65
	;; [unrolled: 2-line block ×4, first 2 shown]
	;;#ASMSTART
	v_cvt_f32_f16 v68, v2;
	;;#ASMEND
	;;#ASMSTART
	v_cvt_f32_f16 v69, v1;
	;;#ASMEND
	;; [unrolled: 3-line block ×16, first 2 shown]
	ds_read_b128 v[13:16], v43 offset:32
	v_and_b32_e32 v11, 0xffff, v11
	v_lshrrev_b32_e32 v102, 16, v3
	v_and_b32_e32 v103, 0xffff, v3
	v_lshrrev_b32_e32 v104, 16, v4
	v_and_b32_e32 v105, 0xffff, v4
	s_waitcnt vmcnt(3)
	v_lshrrev_b32_e32 v110, 16, v7
	v_and_b32_e32 v111, 0xffff, v7
	s_waitcnt vmcnt(2)
	v_lshrrev_b32_e32 v9, 16, v21
	v_and_b32_e32 v12, 0xffff, v21
	v_lshrrev_b32_e32 v7, 16, v22
	v_and_b32_e32 v10, 0xffff, v22
	;; [unrolled: 2-line block ×6, first 2 shown]
	s_waitcnt lgkmcnt(0)
	v_lshrrev_b32_e32 v3, 16, v13
	v_and_b32_e32 v4, 0xffff, v13
	v_lshrrev_b32_e32 v13, 16, v14
	v_and_b32_e32 v14, 0xffff, v14
	v_lshrrev_b32_e32 v21, 16, v15
	v_and_b32_e32 v15, 0xffff, v15
	v_lshrrev_b32_e32 v22, 16, v16
	v_and_b32_e32 v16, 0xffff, v16
	;;#ASMSTART
	v_cvt_f32_f16 v82, v4;
	;;#ASMEND
	;;#ASMSTART
	v_cvt_f32_f16 v83, v3;
	;;#ASMEND
	;; [unrolled: 3-line block ×16, first 2 shown]
	ds_read_b128 v[64:67], v43 offset:48
	v_lshrrev_b32_e32 v5, 16, v24
	v_and_b32_e32 v114, 0xffff, v24
	s_waitcnt vmcnt(0)
	v_lshrrev_b32_e32 v22, 16, v25
	v_and_b32_e32 v23, 0xffff, v25
	v_lshrrev_b32_e32 v16, 16, v26
	v_and_b32_e32 v21, 0xffff, v26
	;; [unrolled: 2-line block ×3, first 2 shown]
	v_mul_f32_e32 v3, v68, v70
	v_mul_f32_e32 v4, v69, v71
	v_lshrrev_b32_e32 v115, 16, v29
	v_and_b32_e32 v116, 0xffff, v29
	v_lshrrev_b32_e32 v117, 16, v30
	v_and_b32_e32 v118, 0xffff, v30
	;; [unrolled: 2-line block ×4, first 2 shown]
	v_lshrrev_b32_e32 v11, 16, v28
	s_waitcnt lgkmcnt(0)
	v_lshrrev_b32_e32 v24, 16, v64
	v_and_b32_e32 v25, 0xffff, v64
	v_lshrrev_b32_e32 v26, 16, v65
	v_and_b32_e32 v27, 0xffff, v65
	;; [unrolled: 2-line block ×3, first 2 shown]
	v_and_b32_e32 v71, 0xffff, v67
	v_and_b32_e32 v13, 0xffff, v28
	v_lshrrev_b32_e32 v123, 16, v67
	;;#ASMSTART
	v_cvt_f32_f16 v28, v25;
	;;#ASMEND
	;;#ASMSTART
	v_cvt_f32_f16 v29, v24;
	;;#ASMEND
	;;#ASMSTART
	v_cvt_f32_f16 v30, v99;
	;;#ASMEND
	;;#ASMSTART
	v_cvt_f32_f16 v31, v98;
	;;#ASMEND
	;;#ASMSTART
	v_cvt_f32_f16 v32, v27;
	;;#ASMEND
	;;#ASMSTART
	v_cvt_f32_f16 v64, v26;
	;;#ASMEND
	;;#ASMSTART
	v_cvt_f32_f16 v65, v101;
	;;#ASMEND
	;;#ASMSTART
	v_cvt_f32_f16 v66, v100;
	;;#ASMEND
	;;#ASMSTART
	v_cvt_f32_f16 v67, v69;
	;;#ASMEND
	;;#ASMSTART
	v_cvt_f32_f16 v68, v68;
	;;#ASMEND
	;;#ASMSTART
	v_cvt_f32_f16 v69, v103;
	;;#ASMEND
	;;#ASMSTART
	v_cvt_f32_f16 v70, v102;
	;;#ASMEND
	;;#ASMSTART
	v_cvt_f32_f16 v71, v71;
	;;#ASMEND
	;;#ASMSTART
	v_cvt_f32_f16 v98, v123;
	;;#ASMEND
	;;#ASMSTART
	v_cvt_f32_f16 v99, v105;
	;;#ASMEND
	;;#ASMSTART
	v_cvt_f32_f16 v100, v104;
	;;#ASMEND
	ds_read_b128 v[24:27], v43 offset:64
	v_mul_f32_e32 v73, v73, v75
	v_mul_f32_e32 v75, v77, v79
	v_fmac_f32_e32 v4, v61, v63
	v_mul_f32_e32 v72, v72, v74
	v_mul_f32_e32 v74, v76, v78
	v_fmac_f32_e32 v3, v60, v62
	v_mul_f32_e32 v1, v1, v2
	v_fmac_f32_e32 v73, v18, v20
	v_fmac_f32_e32 v72, v17, v19
	v_fmac_f32_e32 v74, v52, v54
	v_fmac_f32_e32 v75, v53, v55
	v_fmac_f32_e32 v3, v82, v84
	v_fmac_f32_e32 v4, v83, v85
	v_mul_f32_e32 v80, v80, v81
	v_fmac_f32_e32 v73, v87, v89
	v_fmac_f32_e32 v72, v86, v88
	;; [unrolled: 1-line block ×5, first 2 shown]
	s_waitcnt lgkmcnt(0)
	v_lshrrev_b32_e32 v61, 16, v24
	v_and_b32_e32 v24, 0xffff, v24
	v_lshrrev_b32_e32 v77, 16, v25
	v_and_b32_e32 v25, 0xffff, v25
	;; [unrolled: 2-line block ×4, first 2 shown]
	;;#ASMSTART
	v_cvt_f32_f16 v60, v24;
	;;#ASMEND
	;;#ASMSTART
	v_cvt_f32_f16 v61, v61;
	;;#ASMEND
	;; [unrolled: 3-line block ×16, first 2 shown]
	ds_read_b128 v[24:27], v43 offset:80
	v_fmac_f32_e32 v73, v64, v66
	v_fmac_f32_e32 v3, v60, v62
	;; [unrolled: 1-line block ×13, first 2 shown]
	v_add_nc_u32_e32 v81, v46, v44
	v_fmac_f32_e32 v80, v71, v99
	v_fmac_f32_e32 v74, v101, v103
	;; [unrolled: 1-line block ×4, first 2 shown]
	v_cvt_f32_i32_e32 v81, v81
	s_waitcnt lgkmcnt(0)
	v_lshrrev_b32_e32 v17, 16, v24
	v_and_b32_e32 v2, 0xffff, v24
	v_lshrrev_b32_e32 v19, 16, v25
	v_and_b32_e32 v18, 0xffff, v25
	;; [unrolled: 2-line block ×4, first 2 shown]
	;;#ASMSTART
	v_cvt_f32_f16 v2, v2;
	;;#ASMEND
	;;#ASMSTART
	v_cvt_f32_f16 v17, v17;
	;;#ASMEND
	;; [unrolled: 3-line block ×16, first 2 shown]
	ds_read_b128 v[5:8], v43 offset:96
	v_fmac_f32_e32 v3, v2, v12
	v_fmac_f32_e32 v4, v17, v9
	v_fmac_f32_e32 v72, v18, v10
	v_fmac_f32_e32 v73, v19, v20
	v_fmac_f32_e32 v74, v24, v26
	v_fmac_f32_e32 v80, v105, v107
	v_fmac_f32_e32 v75, v25, v27
	v_fmac_f32_e32 v1, v106, v108
	v_fmac_f32_e32 v80, v52, v54
	v_fmac_f32_e32 v1, v53, v55
	s_waitcnt lgkmcnt(0)
	v_lshrrev_b32_e32 v29, 16, v5
	v_and_b32_e32 v5, 0xffff, v5
	v_lshrrev_b32_e32 v56, 16, v6
	v_and_b32_e32 v6, 0xffff, v6
	;; [unrolled: 2-line block ×4, first 2 shown]
	;;#ASMSTART
	v_cvt_f32_f16 v28, v5;
	;;#ASMEND
	;;#ASMSTART
	v_cvt_f32_f16 v29, v29;
	;;#ASMEND
	;; [unrolled: 3-line block ×16, first 2 shown]
	ds_read_b128 v[5:8], v43 offset:112
	v_fmac_f32_e32 v3, v28, v30
	v_fmac_f32_e32 v4, v29, v31
	;; [unrolled: 1-line block ×8, first 2 shown]
	s_waitcnt lgkmcnt(0)
	v_and_b32_e32 v2, 0xffff, v5
	v_lshrrev_b32_e32 v5, 16, v5
	v_lshrrev_b32_e32 v10, 16, v6
	v_and_b32_e32 v12, 0xffff, v6
	;;#ASMSTART
	v_cvt_f32_f16 v2, v2;
	;;#ASMEND
	;;#ASMSTART
	v_cvt_f32_f16 v5, v5;
	;;#ASMEND
	;; [unrolled: 3-line block ×4, first 2 shown]
	v_fmac_f32_e32 v3, v2, v6
	v_fmac_f32_e32 v4, v5, v9
	;;#ASMSTART
	v_cvt_f32_f16 v2, v12;
	;;#ASMEND
	;;#ASMSTART
	v_cvt_f32_f16 v5, v10;
	;;#ASMEND
	;; [unrolled: 3-line block ×3, first 2 shown]
	v_fmac_f32_e32 v72, v2, v6
	v_add_f32_e32 v2, v3, v4
	;;#ASMSTART
	v_cvt_f32_f16 v3, v16;
	;;#ASMEND
	v_fmac_f32_e32 v73, v5, v3
	v_and_b32_e32 v4, 0xffff, v7
	v_lshrrev_b32_e32 v6, 16, v7
	v_add_f32_e32 v2, v2, v72
	;;#ASMSTART
	v_cvt_f32_f16 v3, v4;
	;;#ASMEND
	;;#ASMSTART
	v_cvt_f32_f16 v4, v6;
	;;#ASMEND
	;; [unrolled: 3-line block ×3, first 2 shown]
	v_fmac_f32_e32 v74, v3, v5
	v_add_f32_e32 v2, v73, v2
	;;#ASMSTART
	v_cvt_f32_f16 v3, v14;
	;;#ASMEND
	v_fmac_f32_e32 v75, v4, v3
	v_and_b32_e32 v5, 0xffff, v8
	v_lshrrev_b32_e32 v6, 16, v8
	v_add_f32_e32 v2, v2, v74
	;;#ASMSTART
	v_cvt_f32_f16 v3, v5;
	;;#ASMEND
	;;#ASMSTART
	v_cvt_f32_f16 v4, v6;
	;;#ASMEND
	;;#ASMSTART
	v_cvt_f32_f16 v5, v13;
	;;#ASMEND
	v_fmac_f32_e32 v80, v3, v5
	v_add_f32_e32 v2, v75, v2
	v_mul_f32_e32 v3, s39, v81
	;;#ASMSTART
	v_cvt_f32_f16 v5, v11;
	;;#ASMEND
	v_fmac_f32_e32 v1, v4, v5
	v_add_f32_e32 v2, v2, v80
	v_cndmask_b32_e32 v3, 0, v3, vcc_lo
	v_add_f32_e32 v1, v1, v2
	v_max_f32_e32 v2, v42, v42
	v_fmac_f32_e32 v3, s3, v1
	v_add_nc_u32_e32 v1, v38, v44
	v_max_f32_e32 v2, v2, v3
	v_cmp_gt_i32_e64 s1, s27, v1
	v_cndmask_b32_e64 v1, 0, v3, s1
	v_cndmask_b32_e64 v42, v42, v2, s1
	ds_write_b32 v47, v1
	s_branch .LBB109_11
.LBB109_16:
	s_or_b32 exec_lo, exec_lo, s15
.LBB109_17:
	s_or_b32 exec_lo, exec_lo, s41
	v_mbcnt_lo_u32_b32 v1, -1, 0
	v_max_f32_e32 v5, v42, v42
	v_xor_b32_e32 v2, 16, v1
	v_xor_b32_e32 v4, 8, v1
	v_cmp_gt_i32_e32 vcc_lo, 32, v2
	v_cndmask_b32_e32 v2, v1, v2, vcc_lo
	v_cmp_gt_i32_e32 vcc_lo, 32, v4
	v_lshlrev_b32_e32 v2, 2, v2
	v_cndmask_b32_e32 v4, v1, v4, vcc_lo
	ds_bpermute_b32 v3, v2, v42
	s_waitcnt lgkmcnt(0)
	v_max_f32_e32 v6, v3, v3
	v_lshlrev_b32_e32 v3, 2, v4
	v_max_f32_e32 v4, v5, v6
	v_xor_b32_e32 v6, 4, v1
	ds_bpermute_b32 v5, v3, v4
	v_cmp_gt_i32_e32 vcc_lo, 32, v6
	v_cndmask_b32_e32 v6, v1, v6, vcc_lo
	s_waitcnt lgkmcnt(0)
	v_max_f32_e32 v7, v5, v5
	v_lshlrev_b32_e32 v5, 2, v6
	v_max_f32_e32 v4, v4, v7
	v_xor_b32_e32 v7, 2, v1
	ds_bpermute_b32 v6, v5, v4
	v_cmp_gt_i32_e32 vcc_lo, 32, v7
	v_cndmask_b32_e32 v7, v1, v7, vcc_lo
	v_lshlrev_b32_e32 v10, 2, v7
	v_xor_b32_e32 v7, 1, v1
	v_cmp_gt_i32_e32 vcc_lo, 32, v7
	s_waitcnt lgkmcnt(0)
	v_max_f32_e32 v6, v6, v6
	v_cndmask_b32_e32 v7, v1, v7, vcc_lo
	v_cmp_eq_u32_e32 vcc_lo, 0, v38
	v_max_f32_e32 v4, v4, v6
	v_lshlrev_b32_e32 v9, 2, v7
	ds_bpermute_b32 v6, v10, v4
	s_waitcnt lgkmcnt(0)
	v_max_f32_e32 v6, v6, v6
	v_max_f32_e32 v1, v4, v6
	v_lshlrev_b32_e32 v6, 2, v37
	ds_bpermute_b32 v4, v9, v1
	s_and_saveexec_b32 s1, vcc_lo
	s_cbranch_execz .LBB109_19
; %bb.18:
	s_waitcnt lgkmcnt(0)
	v_max_f32_e32 v4, v4, v4
	v_max_f32_e32 v1, v1, v1
	;; [unrolled: 1-line block ×3, first 2 shown]
	ds_write_b32 v6, v1 offset:128
.LBB109_19:
	s_or_b32 exec_lo, exec_lo, s1
	v_cmp_gt_u32_e64 s1, 4, v38
	v_mov_b32_e32 v1, 0xff7fffff
	s_waitcnt lgkmcnt(0)
	s_barrier
	buffer_gl0_inv
	s_and_saveexec_b32 s2, s1
; %bb.20:
	ds_read_b32 v1, v41 offset:128
; %bb.21:
	s_or_b32 exec_lo, exec_lo, s2
	s_waitcnt lgkmcnt(0)
	ds_bpermute_b32 v4, v10, v1
	v_max_f32_e32 v1, v1, v1
	v_mov_b32_e32 v7, 0
	s_sub_i32 s2, s16, s40
	s_lshl_b32 s2, s2, 5
	s_add_i32 s2, s2, s37
	s_min_i32 s2, s2, s27
	s_sub_i32 s4, s2, s37
	v_cmp_gt_i32_e64 s2, s4, v0
	s_waitcnt lgkmcnt(0)
	v_max_f32_e32 v4, v4, v4
	v_max_f32_e32 v1, v1, v4
	ds_bpermute_b32 v4, v9, v1
	s_waitcnt lgkmcnt(0)
	v_max_f32_e32 v4, v4, v4
	v_max_f32_e32 v1, v1, v4
	v_lshl_add_u32 v4, v0, 2, 0xa0
	ds_bpermute_b32 v1, v7, v1
	s_and_saveexec_b32 s5, s2
	s_cbranch_execz .LBB109_25
; %bb.22:
	v_lshl_add_u32 v8, v0, 2, 0xa0
	v_mov_b32_e32 v7, 0
	v_mov_b32_e32 v11, v0
	s_mov_b32 s15, 0
	.p2align	6
.LBB109_23:                             ; =>This Inner Loop Header: Depth=1
	ds_read_b32 v12, v8
	v_add_nc_u32_e32 v11, 0x80, v11
	v_cmp_le_i32_e64 s3, s4, v11
	s_or_b32 s15, s3, s15
	s_waitcnt lgkmcnt(0)
	v_sub_f32_e32 v12, v12, v1
	v_mul_f32_e32 v12, 0x3fb8aa3b, v12
	v_exp_f32_e32 v12, v12
	ds_write_b32 v8, v12
	v_add_f32_e32 v7, v7, v12
	v_add_nc_u32_e32 v8, 0x200, v8
	s_andn2_b32 exec_lo, exec_lo, s15
	s_cbranch_execnz .LBB109_23
; %bb.24:
	s_or_b32 exec_lo, exec_lo, s15
.LBB109_25:
	s_or_b32 exec_lo, exec_lo, s5
	ds_bpermute_b32 v2, v2, v7
	s_waitcnt lgkmcnt(0)
	v_add_f32_e32 v2, v7, v2
	ds_bpermute_b32 v3, v3, v2
	s_waitcnt lgkmcnt(0)
	v_add_f32_e32 v2, v2, v3
	;; [unrolled: 3-line block ×5, first 2 shown]
	s_and_saveexec_b32 s3, vcc_lo
; %bb.26:
	ds_write_b32 v6, v2 offset:144
; %bb.27:
	s_or_b32 exec_lo, exec_lo, s3
	s_waitcnt lgkmcnt(0)
	s_barrier
	buffer_gl0_inv
	s_and_saveexec_b32 s3, s1
; %bb.28:
	ds_read_b32 v2, v41 offset:144
; %bb.29:
	s_or_b32 exec_lo, exec_lo, s3
	s_waitcnt lgkmcnt(0)
	ds_bpermute_b32 v3, v10, v2
	s_waitcnt lgkmcnt(0)
	v_add_f32_e32 v2, v2, v3
	ds_bpermute_b32 v3, v9, v2
	s_waitcnt lgkmcnt(0)
	v_add_f32_e32 v2, v2, v3
	v_mov_b32_e32 v3, 0
	ds_bpermute_b32 v2, v3, v2
	s_and_saveexec_b32 s1, s2
	s_cbranch_execz .LBB109_32
; %bb.30:
	s_waitcnt lgkmcnt(0)
	v_add_f32_e32 v3, 0x358637bd, v2
	s_mov_b32 s2, 0
	v_div_scale_f32 v5, null, v3, v3, 1.0
	v_div_scale_f32 v8, vcc_lo, 1.0, v3, 1.0
	v_rcp_f32_e32 v6, v5
	v_fma_f32 v7, -v5, v6, 1.0
	v_fmac_f32_e32 v6, v7, v6
	v_mul_f32_e32 v7, v8, v6
	v_fma_f32 v11, -v5, v7, v8
	v_fmac_f32_e32 v7, v11, v6
	v_fma_f32 v5, -v5, v7, v8
	v_div_fmas_f32 v5, v5, v6, v7
	v_div_fixup_f32 v3, v5, v3, 1.0
	v_mov_b32_e32 v5, v0
.LBB109_31:                             ; =>This Inner Loop Header: Depth=1
	ds_read_b32 v6, v4
	v_add_nc_u32_e32 v5, 0x80, v5
	v_cmp_le_i32_e32 vcc_lo, s4, v5
	s_or_b32 s2, vcc_lo, s2
	s_waitcnt lgkmcnt(0)
	v_mul_f32_e32 v6, v3, v6
	ds_write_b32 v4, v6
	v_add_nc_u32_e32 v4, 0x200, v4
	s_andn2_b32 exec_lo, exec_lo, s2
	s_cbranch_execnz .LBB109_31
.LBB109_32:
	s_or_b32 exec_lo, exec_lo, s1
	s_mul_i32 s1, s7, s26
	s_waitcnt lgkmcnt(0)
	s_mul_i32 s2, s1, s9
	s_mov_b32 s1, exec_lo
	s_barrier
	buffer_gl0_inv
	v_cmpx_eq_u32_e32 0, v0
	s_cbranch_execz .LBB109_34
; %bb.33:
	s_ashr_i32 s3, s2, 31
	s_mul_i32 s40, s7, s6
	s_lshl_b64 s[4:5], s[2:3], 2
	v_mov_b32_e32 v3, 0
	s_add_u32 s3, s22, s4
	s_addc_u32 s6, s23, s5
	s_ashr_i32 s41, s40, 31
	s_lshl_b64 s[22:23], s[40:41], 2
	s_add_u32 s3, s3, s22
	s_addc_u32 s6, s6, s23
	s_ashr_i32 s9, s8, 31
	s_lshl_b64 s[40:41], s[8:9], 2
	s_add_u32 s42, s3, s40
	s_addc_u32 s43, s6, s41
	s_add_u32 s3, s20, s4
	s_addc_u32 s4, s21, s5
	;; [unrolled: 2-line block ×4, first 2 shown]
	global_store_dword v3, v1, s[42:43]
	global_store_dword v3, v2, s[4:5]
.LBB109_34:
	s_or_b32 exec_lo, exec_lo, s1
	v_mov_b32_e32 v19, 0
	v_and_b32_e32 v11, 3, v0
	v_mov_b32_e32 v18, 0
	v_mov_b32_e32 v17, 0
	;; [unrolled: 1-line block ×7, first 2 shown]
	s_and_saveexec_b32 s3, s0
	s_cbranch_execz .LBB109_56
; %bb.35:
	s_ashr_i32 s15, s14, 31
	s_sub_i32 s4, s38, s17
	s_lshl_b64 s[0:1], s[14:15], 1
	v_lshlrev_b32_e32 v4, 3, v0
	s_add_u32 s6, s34, s0
	s_addc_u32 s9, s35, s1
	s_abs_i32 s5, s18
	v_lshlrev_b32_e32 v6, 5, v11
	v_cvt_f32_u32_e32 v1, s5
	s_sub_i32 s0, 0, s5
	v_and_b32_e32 v21, 24, v4
	v_and_b32_e32 v5, 0x1f0, v40
	s_add_i32 s36, s36, -1
	v_rcp_iflag_f32_e32 v3, v1
	v_lshlrev_b64 v[1:2], 2, v[33:34]
	v_lshl_or_b32 v6, v37, 7, v6
	v_add_co_u32 v22, s6, s6, v5
	v_mov_b32_e32 v20, 0
	v_mov_b32_e32 v12, 0
	;; [unrolled: 1-line block ×5, first 2 shown]
	v_mul_f32_e32 v3, 0x4f7ffffe, v3
	v_mov_b32_e32 v16, 0
	v_mov_b32_e32 v17, 0
	;; [unrolled: 1-line block ×3, first 2 shown]
	v_add_co_ci_u32_e64 v23, null, s9, 0, s6
	v_cvt_u32_f32_e32 v3, v3
	v_add_nc_u32_e32 v24, 0xa0, v6
	v_mov_b32_e32 v19, 0
	s_mov_b32 s9, s13
	s_mov_b32 s6, 0
	v_mul_lo_u32 v4, s0, v3
	s_lshl_b64 s[0:1], s[30:31], 2
	s_add_u32 s0, s28, s0
	s_addc_u32 s1, s29, s1
	v_add_co_u32 v5, vcc_lo, s0, v1
	v_add_co_ci_u32_e64 v6, null, s1, v2, vcc_lo
	v_mul_hi_u32 v4, v3, v4
	v_add_nc_u32_e32 v25, v3, v4
	s_branch .LBB109_38
.LBB109_36:                             ;   in Loop: Header=BB109_38 Depth=1
	s_or_b32 exec_lo, exec_lo, s1
	v_lshlrev_b32_e32 v28, 16, v54
	v_lshlrev_b32_e32 v8, 16, v8
	v_lshlrev_b32_e32 v7, 16, v7
	v_add_f32_e32 v26, v55, v56
	v_add_f32_e32 v27, v52, v53
	v_and_or_b32 v1, 0xffff, v1, v28
	v_and_or_b32 v2, 0xffff, v2, v8
	;; [unrolled: 1-line block ×3, first 2 shown]
	;;#ASMSTART
	v_pk_mul_f16 v1, v36, v1;

	;;#ASMEND
	;;#ASMSTART
	v_pk_mul_f16 v2, v35, v2;

	;;#ASMEND
	;; [unrolled: 4-line block ×4, first 2 shown]
	;;#ASMSTART
	v_pk_add_f16 v1, v1, v2;

	;;#ASMEND
	;;#ASMSTART
	v_pk_add_f16 v1, v1, v3;

	;;#ASMEND
	;;#ASMSTART
	v_pk_add_f16 v1, v1, v4;

	;;#ASMEND
	v_and_b32_e32 v4, 0xffff, v1
	v_lshrrev_b32_e32 v8, 16, v1
	;;#ASMSTART
	v_cvt_f32_f16 v4, v4;
	;;#ASMEND
	v_add_f32_e32 v13, v13, v26
	v_add_f32_e32 v26, v50, v51
	;; [unrolled: 1-line block ×6, first 2 shown]
	;;#ASMSTART
	v_cvt_f32_f16 v8, v8;
	;;#ASMEND
	v_add_f32_e32 v4, v4, v8
	v_add_f32_e32 v14, v14, v27
	v_add_f32_e32 v15, v15, v26
	v_add_f32_e32 v16, v16, v7
	v_add_f32_e32 v17, v17, v1
	v_add_f32_e32 v18, v18, v2
	v_add_f32_e32 v19, v19, v3
	v_add_f32_e32 v12, v12, v4
.LBB109_37:                             ;   in Loop: Header=BB109_38 Depth=1
	s_or_b32 exec_lo, exec_lo, s13
	v_add_nc_u32_e32 v33, 4, v33
	v_add_co_u32 v5, s0, v5, 16
	v_add_co_ci_u32_e64 v6, null, 0, v6, s0
	v_cmp_le_i32_e32 vcc_lo, s16, v33
	v_add_nc_u32_e32 v39, 0x80, v39
	v_add_nc_u32_e32 v24, 0x200, v24
	s_or_b32 s6, vcc_lo, s6
	s_andn2_b32 exec_lo, exec_lo, s6
	s_cbranch_execz .LBB109_55
.LBB109_38:                             ; =>This Inner Loop Header: Depth=1
	v_sub_nc_u32_e32 v1, 0, v39
	v_max_i32_e32 v1, v39, v1
	v_mul_hi_u32 v2, v1, s12
	v_mul_lo_u32 v3, v2, s11
	v_sub_nc_u32_e32 v1, v1, v3
	v_add_nc_u32_e32 v3, 1, v2
	v_subrev_nc_u32_e32 v4, s11, v1
	v_cmp_le_u32_e32 vcc_lo, s11, v1
	v_cndmask_b32_e32 v2, v2, v3, vcc_lo
	v_cndmask_b32_e32 v1, v1, v4, vcc_lo
	v_ashrrev_i32_e32 v3, 31, v39
	v_add_nc_u32_e32 v4, 1, v2
	v_cmp_le_u32_e32 vcc_lo, s11, v1
	v_xor_b32_e32 v3, s19, v3
	v_cndmask_b32_e32 v1, v2, v4, vcc_lo
	v_xor_b32_e32 v1, v1, v3
	v_sub_nc_u32_e32 v1, v1, v3
	v_add_nc_u32_e32 v2, s33, v1
	v_cmp_lt_i32_e64 s0, s4, v1
	v_sub_nc_u32_e32 v3, 0, v2
	v_max_i32_e32 v3, v2, v3
	v_ashrrev_i32_e32 v2, 31, v2
	v_mul_hi_u32 v4, v3, v25
	v_mul_lo_u32 v4, v4, s5
	v_sub_nc_u32_e32 v3, v3, v4
	v_subrev_nc_u32_e32 v4, s5, v3
	v_cmp_le_u32_e32 vcc_lo, s5, v3
	v_cndmask_b32_e32 v3, v3, v4, vcc_lo
	v_subrev_nc_u32_e32 v4, s5, v3
	v_cmp_le_u32_e32 vcc_lo, s5, v3
	v_cndmask_b32_e32 v3, v3, v4, vcc_lo
	v_xor_b32_e32 v3, v3, v2
	v_sub_nc_u32_e32 v2, v3, v2
	v_cmp_eq_u32_e32 vcc_lo, 0, v2
	s_or_b32 s0, vcc_lo, s0
	s_and_saveexec_b32 s13, s0
	s_cbranch_execz .LBB109_37
; %bb.39:                               ;   in Loop: Header=BB109_38 Depth=1
	global_load_dword v7, v[5:6], off
	ds_read2_b64 v[1:4], v24 offset1:1
	ds_read2_b64 v[26:29], v24 offset0:2 offset1:3
	v_add_nc_u32_e32 v31, v21, v39
	v_cmp_eq_u32_e64 s0, s36, v33
	s_waitcnt lgkmcnt(1)
	;;#ASMSTART
	v_cvt_f16_f32 v36, v1;

	;;#ASMEND
	;;#ASMSTART
	v_cvt_f16_f32 v35, v2;

	;;#ASMEND
	;; [unrolled: 4-line block ×4, first 2 shown]
	s_waitcnt lgkmcnt(0)
	;;#ASMSTART
	v_cvt_f16_f32 v45, v26;

	;;#ASMEND
	;;#ASMSTART
	v_cvt_f16_f32 v41, v27;

	;;#ASMEND
	;; [unrolled: 4-line block ×4, first 2 shown]
	v_add_nc_u32_e32 v34, 1, v31
	v_add_nc_u32_e32 v30, 2, v31
	;; [unrolled: 1-line block ×7, first 2 shown]
	s_waitcnt vmcnt(0)
	v_mad_i64_i32 v[7:8], null, v7, s9, 0
	v_lshlrev_b64 v[7:8], 1, v[7:8]
	v_add_co_u32 v7, vcc_lo, v22, v7
	v_add_co_ci_u32_e64 v8, null, v23, v8, vcc_lo
	global_load_dwordx4 v[1:4], v[7:8], off
	s_waitcnt vmcnt(0)
	v_lshrrev_b32_e32 v48, 16, v1
	v_lshrrev_b32_e32 v47, 16, v2
	;; [unrolled: 1-line block ×3, first 2 shown]
	s_and_saveexec_b32 s14, s0
	s_cbranch_execz .LBB109_41
; %bb.40:                               ;   in Loop: Header=BB109_38 Depth=1
	v_cmp_gt_i32_e32 vcc_lo, s27, v31
	v_and_b32_e32 v49, 0xffff0000, v4
	v_cmp_gt_i32_e64 s1, s27, v30
	v_cndmask_b32_e32 v1, 0, v1, vcc_lo
	v_cmp_gt_i32_e32 vcc_lo, s27, v34
	v_cndmask_b32_e64 v2, 0, v2, s1
	v_cmp_gt_i32_e64 s1, s27, v29
	v_cndmask_b32_e32 v48, 0, v48, vcc_lo
	v_cmp_gt_i32_e32 vcc_lo, s27, v32
	v_cndmask_b32_e64 v47, 0, v47, s1
	v_cndmask_b32_sdwa v4, v20, v4, vcc_lo dst_sel:DWORD dst_unused:UNUSED_PAD src0_sel:DWORD src1_sel:WORD_0
	v_cmp_gt_i32_e32 vcc_lo, s27, v28
	v_cndmask_b32_e32 v49, 0, v49, vcc_lo
	v_cmp_gt_i32_e32 vcc_lo, s27, v27
	v_or_b32_e32 v4, v4, v49
	v_cndmask_b32_e32 v3, 0, v3, vcc_lo
	v_cmp_gt_i32_e32 vcc_lo, s27, v26
	v_cndmask_b32_e32 v46, 0, v46, vcc_lo
.LBB109_41:                             ;   in Loop: Header=BB109_38 Depth=1
	s_or_b32 exec_lo, exec_lo, s14
	v_and_b32_e32 v36, 0xffff, v36
	v_and_b32_e32 v44, 0xffff, v44
	v_lshlrev_b32_e32 v48, 16, v48
	v_lshlrev_b32_e32 v46, 16, v46
	v_and_b32_e32 v45, 0xffff, v45
	v_lshl_or_b32 v36, v35, 16, v36
	v_lshl_or_b32 v35, v42, 16, v44
	v_lshlrev_b32_e32 v44, 16, v47
	v_and_b32_e32 v43, 0xffff, v43
	v_and_or_b32 v1, 0xffff, v1, v48
	v_and_or_b32 v3, 0xffff, v3, v46
	;;#ASMSTART
	v_pk_mul_f16 v1, v36, v1;

	;;#ASMEND
	v_and_or_b32 v2, 0xffff, v2, v44
	v_lshl_or_b32 v42, v41, 16, v45
	v_lshl_or_b32 v43, v40, 16, v43
	;;#ASMSTART
	v_pk_mul_f16 v2, v35, v2;

	;;#ASMEND
	;;#ASMSTART
	v_pk_mul_f16 v3, v42, v3;

	;;#ASMEND
	;; [unrolled: 4-line block ×3, first 2 shown]
	;;#ASMSTART
	v_pk_add_f16 v1, v1, v2;

	;;#ASMEND
	;;#ASMSTART
	v_pk_add_f16 v1, v1, v3;

	;;#ASMEND
	;; [unrolled: 4-line block ×3, first 2 shown]
	v_and_b32_e32 v2, 0xffff, v1
	v_lshrrev_b32_e32 v1, 16, v1
	;;#ASMSTART
	v_cvt_f32_f16 v40, v2;
	;;#ASMEND
	;;#ASMSTART
	v_cvt_f32_f16 v41, v1;
	;;#ASMEND
	global_load_dwordx4 v[1:4], v[7:8], off offset:512
	s_waitcnt vmcnt(0)
	v_lshrrev_b32_e32 v46, 16, v1
	v_lshrrev_b32_e32 v45, 16, v2
	;; [unrolled: 1-line block ×3, first 2 shown]
	s_and_saveexec_b32 s14, s0
	s_cbranch_execz .LBB109_43
; %bb.42:                               ;   in Loop: Header=BB109_38 Depth=1
	v_cmp_gt_i32_e32 vcc_lo, s27, v31
	v_and_b32_e32 v47, 0xffff0000, v4
	v_cmp_gt_i32_e64 s1, s27, v30
	v_cndmask_b32_e32 v1, 0, v1, vcc_lo
	v_cmp_gt_i32_e32 vcc_lo, s27, v34
	v_cndmask_b32_e64 v2, 0, v2, s1
	v_cmp_gt_i32_e64 s1, s27, v29
	v_cndmask_b32_e32 v46, 0, v46, vcc_lo
	v_cmp_gt_i32_e32 vcc_lo, s27, v32
	v_cndmask_b32_e64 v45, 0, v45, s1
	v_cndmask_b32_sdwa v4, v20, v4, vcc_lo dst_sel:DWORD dst_unused:UNUSED_PAD src0_sel:DWORD src1_sel:WORD_0
	v_cmp_gt_i32_e32 vcc_lo, s27, v28
	v_cndmask_b32_e32 v47, 0, v47, vcc_lo
	v_cmp_gt_i32_e32 vcc_lo, s27, v27
	v_or_b32_e32 v4, v4, v47
	v_cndmask_b32_e32 v3, 0, v3, vcc_lo
	v_cmp_gt_i32_e32 vcc_lo, s27, v26
	v_cndmask_b32_e32 v44, 0, v44, vcc_lo
.LBB109_43:                             ;   in Loop: Header=BB109_38 Depth=1
	s_or_b32 exec_lo, exec_lo, s14
	v_lshlrev_b32_e32 v46, 16, v46
	v_lshlrev_b32_e32 v45, 16, v45
	;; [unrolled: 1-line block ×3, first 2 shown]
	v_and_or_b32 v1, 0xffff, v1, v46
	v_and_or_b32 v2, 0xffff, v2, v45
	;; [unrolled: 1-line block ×3, first 2 shown]
	;;#ASMSTART
	v_pk_mul_f16 v1, v36, v1;

	;;#ASMEND
	;;#ASMSTART
	v_pk_mul_f16 v2, v35, v2;

	;;#ASMEND
	;; [unrolled: 4-line block ×4, first 2 shown]
	;;#ASMSTART
	v_pk_add_f16 v1, v1, v2;

	;;#ASMEND
	;;#ASMSTART
	v_pk_add_f16 v1, v1, v3;

	;;#ASMEND
	;; [unrolled: 4-line block ×3, first 2 shown]
	v_and_b32_e32 v2, 0xffff, v1
	v_lshrrev_b32_e32 v1, 16, v1
	;;#ASMSTART
	v_cvt_f32_f16 v44, v2;
	;;#ASMEND
	;;#ASMSTART
	v_cvt_f32_f16 v45, v1;
	;;#ASMEND
	global_load_dwordx4 v[1:4], v[7:8], off offset:1024
	s_waitcnt vmcnt(0)
	v_lshrrev_b32_e32 v48, 16, v1
	v_lshrrev_b32_e32 v47, 16, v2
	;; [unrolled: 1-line block ×3, first 2 shown]
	s_and_saveexec_b32 s14, s0
	s_cbranch_execz .LBB109_45
; %bb.44:                               ;   in Loop: Header=BB109_38 Depth=1
	v_cmp_gt_i32_e32 vcc_lo, s27, v31
	v_and_b32_e32 v49, 0xffff0000, v4
	v_cmp_gt_i32_e64 s1, s27, v30
	v_cndmask_b32_e32 v1, 0, v1, vcc_lo
	v_cmp_gt_i32_e32 vcc_lo, s27, v34
	v_cndmask_b32_e64 v2, 0, v2, s1
	v_cmp_gt_i32_e64 s1, s27, v29
	v_cndmask_b32_e32 v48, 0, v48, vcc_lo
	v_cmp_gt_i32_e32 vcc_lo, s27, v32
	v_cndmask_b32_e64 v47, 0, v47, s1
	v_cndmask_b32_sdwa v4, v20, v4, vcc_lo dst_sel:DWORD dst_unused:UNUSED_PAD src0_sel:DWORD src1_sel:WORD_0
	v_cmp_gt_i32_e32 vcc_lo, s27, v28
	v_cndmask_b32_e32 v49, 0, v49, vcc_lo
	v_cmp_gt_i32_e32 vcc_lo, s27, v27
	v_or_b32_e32 v4, v4, v49
	v_cndmask_b32_e32 v3, 0, v3, vcc_lo
	v_cmp_gt_i32_e32 vcc_lo, s27, v26
	v_cndmask_b32_e32 v46, 0, v46, vcc_lo
.LBB109_45:                             ;   in Loop: Header=BB109_38 Depth=1
	s_or_b32 exec_lo, exec_lo, s14
	v_lshlrev_b32_e32 v48, 16, v48
	v_lshlrev_b32_e32 v47, 16, v47
	;; [unrolled: 1-line block ×3, first 2 shown]
	v_and_or_b32 v1, 0xffff, v1, v48
	v_and_or_b32 v2, 0xffff, v2, v47
	;; [unrolled: 1-line block ×3, first 2 shown]
	;;#ASMSTART
	v_pk_mul_f16 v1, v36, v1;

	;;#ASMEND
	;;#ASMSTART
	v_pk_mul_f16 v2, v35, v2;

	;;#ASMEND
	;; [unrolled: 4-line block ×4, first 2 shown]
	;;#ASMSTART
	v_pk_add_f16 v1, v1, v2;

	;;#ASMEND
	;;#ASMSTART
	v_pk_add_f16 v1, v1, v3;

	;;#ASMEND
	;; [unrolled: 4-line block ×3, first 2 shown]
	v_and_b32_e32 v2, 0xffff, v1
	v_lshrrev_b32_e32 v1, 16, v1
	;;#ASMSTART
	v_cvt_f32_f16 v46, v2;
	;;#ASMEND
	;;#ASMSTART
	v_cvt_f32_f16 v47, v1;
	;;#ASMEND
	global_load_dwordx4 v[1:4], v[7:8], off offset:1536
	s_waitcnt vmcnt(0)
	v_lshrrev_b32_e32 v50, 16, v1
	v_lshrrev_b32_e32 v49, 16, v2
	;; [unrolled: 1-line block ×3, first 2 shown]
	s_and_saveexec_b32 s14, s0
	s_cbranch_execz .LBB109_47
; %bb.46:                               ;   in Loop: Header=BB109_38 Depth=1
	v_cmp_gt_i32_e32 vcc_lo, s27, v31
	v_and_b32_e32 v51, 0xffff0000, v4
	v_cmp_gt_i32_e64 s1, s27, v30
	v_cndmask_b32_e32 v1, 0, v1, vcc_lo
	v_cmp_gt_i32_e32 vcc_lo, s27, v34
	v_cndmask_b32_e64 v2, 0, v2, s1
	v_cmp_gt_i32_e64 s1, s27, v29
	v_cndmask_b32_e32 v50, 0, v50, vcc_lo
	v_cmp_gt_i32_e32 vcc_lo, s27, v32
	v_cndmask_b32_e64 v49, 0, v49, s1
	v_cndmask_b32_sdwa v4, v20, v4, vcc_lo dst_sel:DWORD dst_unused:UNUSED_PAD src0_sel:DWORD src1_sel:WORD_0
	v_cmp_gt_i32_e32 vcc_lo, s27, v28
	v_cndmask_b32_e32 v51, 0, v51, vcc_lo
	v_cmp_gt_i32_e32 vcc_lo, s27, v27
	v_or_b32_e32 v4, v4, v51
	v_cndmask_b32_e32 v3, 0, v3, vcc_lo
	v_cmp_gt_i32_e32 vcc_lo, s27, v26
	v_cndmask_b32_e32 v48, 0, v48, vcc_lo
.LBB109_47:                             ;   in Loop: Header=BB109_38 Depth=1
	s_or_b32 exec_lo, exec_lo, s14
	v_lshlrev_b32_e32 v50, 16, v50
	v_lshlrev_b32_e32 v49, 16, v49
	;; [unrolled: 1-line block ×3, first 2 shown]
	v_add_co_u32 v7, vcc_lo, 0x800, v7
	v_and_or_b32 v1, 0xffff, v1, v50
	v_and_or_b32 v2, 0xffff, v2, v49
	v_and_or_b32 v3, 0xffff, v3, v48
	;;#ASMSTART
	v_pk_mul_f16 v1, v36, v1;

	;;#ASMEND
	v_add_co_ci_u32_e64 v8, null, 0, v8, vcc_lo
	;;#ASMSTART
	v_pk_mul_f16 v2, v35, v2;

	;;#ASMEND
	;;#ASMSTART
	v_pk_mul_f16 v3, v42, v3;

	;;#ASMEND
	;; [unrolled: 4-line block ×3, first 2 shown]
	;;#ASMSTART
	v_pk_add_f16 v1, v1, v2;

	;;#ASMEND
	;;#ASMSTART
	v_pk_add_f16 v1, v1, v3;

	;;#ASMEND
	;; [unrolled: 4-line block ×3, first 2 shown]
	v_lshrrev_b32_e32 v2, 16, v1
	v_and_b32_e32 v1, 0xffff, v1
	;;#ASMSTART
	v_cvt_f32_f16 v48, v1;
	;;#ASMEND
	;;#ASMSTART
	v_cvt_f32_f16 v49, v2;
	;;#ASMEND
	global_load_dwordx4 v[1:4], v[7:8], off
	s_waitcnt vmcnt(0)
	v_lshrrev_b32_e32 v52, 16, v1
	v_lshrrev_b32_e32 v51, 16, v2
	;; [unrolled: 1-line block ×3, first 2 shown]
	s_and_saveexec_b32 s14, s0
	s_cbranch_execz .LBB109_49
; %bb.48:                               ;   in Loop: Header=BB109_38 Depth=1
	v_cmp_gt_i32_e32 vcc_lo, s27, v31
	v_and_b32_e32 v53, 0xffff0000, v4
	v_cmp_gt_i32_e64 s1, s27, v30
	v_cndmask_b32_e32 v1, 0, v1, vcc_lo
	v_cmp_gt_i32_e32 vcc_lo, s27, v34
	v_cndmask_b32_e64 v2, 0, v2, s1
	v_cmp_gt_i32_e64 s1, s27, v29
	v_cndmask_b32_e32 v52, 0, v52, vcc_lo
	v_cmp_gt_i32_e32 vcc_lo, s27, v32
	v_cndmask_b32_e64 v51, 0, v51, s1
	v_cndmask_b32_sdwa v4, v20, v4, vcc_lo dst_sel:DWORD dst_unused:UNUSED_PAD src0_sel:DWORD src1_sel:WORD_0
	v_cmp_gt_i32_e32 vcc_lo, s27, v28
	v_cndmask_b32_e32 v53, 0, v53, vcc_lo
	v_cmp_gt_i32_e32 vcc_lo, s27, v27
	v_or_b32_e32 v4, v4, v53
	v_cndmask_b32_e32 v3, 0, v3, vcc_lo
	v_cmp_gt_i32_e32 vcc_lo, s27, v26
	v_cndmask_b32_e32 v50, 0, v50, vcc_lo
.LBB109_49:                             ;   in Loop: Header=BB109_38 Depth=1
	s_or_b32 exec_lo, exec_lo, s14
	v_lshlrev_b32_e32 v52, 16, v52
	v_lshlrev_b32_e32 v51, 16, v51
	;; [unrolled: 1-line block ×3, first 2 shown]
	v_and_or_b32 v1, 0xffff, v1, v52
	v_and_or_b32 v2, 0xffff, v2, v51
	;; [unrolled: 1-line block ×3, first 2 shown]
	;;#ASMSTART
	v_pk_mul_f16 v1, v36, v1;

	;;#ASMEND
	;;#ASMSTART
	v_pk_mul_f16 v2, v35, v2;

	;;#ASMEND
	;; [unrolled: 4-line block ×4, first 2 shown]
	;;#ASMSTART
	v_pk_add_f16 v1, v1, v2;

	;;#ASMEND
	;;#ASMSTART
	v_pk_add_f16 v1, v1, v3;

	;;#ASMEND
	;; [unrolled: 4-line block ×3, first 2 shown]
	v_and_b32_e32 v2, 0xffff, v1
	v_lshrrev_b32_e32 v1, 16, v1
	;;#ASMSTART
	v_cvt_f32_f16 v50, v2;
	;;#ASMEND
	;;#ASMSTART
	v_cvt_f32_f16 v51, v1;
	;;#ASMEND
	global_load_dwordx4 v[1:4], v[7:8], off offset:512
	s_waitcnt vmcnt(0)
	v_lshrrev_b32_e32 v54, 16, v1
	v_lshrrev_b32_e32 v53, 16, v2
	;; [unrolled: 1-line block ×3, first 2 shown]
	s_and_saveexec_b32 s14, s0
	s_cbranch_execz .LBB109_51
; %bb.50:                               ;   in Loop: Header=BB109_38 Depth=1
	v_cmp_gt_i32_e32 vcc_lo, s27, v31
	v_and_b32_e32 v55, 0xffff0000, v4
	v_cmp_gt_i32_e64 s1, s27, v30
	v_cndmask_b32_e32 v1, 0, v1, vcc_lo
	v_cmp_gt_i32_e32 vcc_lo, s27, v34
	v_cndmask_b32_e64 v2, 0, v2, s1
	v_cmp_gt_i32_e64 s1, s27, v29
	v_cndmask_b32_e32 v54, 0, v54, vcc_lo
	v_cmp_gt_i32_e32 vcc_lo, s27, v32
	v_cndmask_b32_e64 v53, 0, v53, s1
	v_cndmask_b32_sdwa v4, v20, v4, vcc_lo dst_sel:DWORD dst_unused:UNUSED_PAD src0_sel:DWORD src1_sel:WORD_0
	v_cmp_gt_i32_e32 vcc_lo, s27, v28
	v_cndmask_b32_e32 v55, 0, v55, vcc_lo
	v_cmp_gt_i32_e32 vcc_lo, s27, v27
	v_or_b32_e32 v4, v4, v55
	v_cndmask_b32_e32 v3, 0, v3, vcc_lo
	v_cmp_gt_i32_e32 vcc_lo, s27, v26
	v_cndmask_b32_e32 v52, 0, v52, vcc_lo
.LBB109_51:                             ;   in Loop: Header=BB109_38 Depth=1
	s_or_b32 exec_lo, exec_lo, s14
	v_lshlrev_b32_e32 v54, 16, v54
	v_lshlrev_b32_e32 v53, 16, v53
	;; [unrolled: 1-line block ×3, first 2 shown]
	v_and_or_b32 v1, 0xffff, v1, v54
	v_and_or_b32 v2, 0xffff, v2, v53
	;; [unrolled: 1-line block ×3, first 2 shown]
	;;#ASMSTART
	v_pk_mul_f16 v1, v36, v1;

	;;#ASMEND
	;;#ASMSTART
	v_pk_mul_f16 v2, v35, v2;

	;;#ASMEND
	;; [unrolled: 4-line block ×4, first 2 shown]
	;;#ASMSTART
	v_pk_add_f16 v1, v1, v2;

	;;#ASMEND
	;;#ASMSTART
	v_pk_add_f16 v1, v1, v3;

	;;#ASMEND
	;; [unrolled: 4-line block ×3, first 2 shown]
	v_and_b32_e32 v2, 0xffff, v1
	v_lshrrev_b32_e32 v1, 16, v1
	;;#ASMSTART
	v_cvt_f32_f16 v52, v2;
	;;#ASMEND
	;;#ASMSTART
	v_cvt_f32_f16 v53, v1;
	;;#ASMEND
	global_load_dwordx4 v[1:4], v[7:8], off offset:1024
	s_waitcnt vmcnt(0)
	v_lshrrev_b32_e32 v56, 16, v1
	v_lshrrev_b32_e32 v55, 16, v2
	v_lshrrev_b32_e32 v54, 16, v3
	s_and_saveexec_b32 s14, s0
	s_cbranch_execz .LBB109_53
; %bb.52:                               ;   in Loop: Header=BB109_38 Depth=1
	v_cmp_gt_i32_e32 vcc_lo, s27, v31
	v_and_b32_e32 v57, 0xffff0000, v4
	v_cmp_gt_i32_e64 s1, s27, v30
	v_cndmask_b32_e32 v1, 0, v1, vcc_lo
	v_cmp_gt_i32_e32 vcc_lo, s27, v34
	v_cndmask_b32_e64 v2, 0, v2, s1
	v_cmp_gt_i32_e64 s1, s27, v29
	v_cndmask_b32_e32 v56, 0, v56, vcc_lo
	v_cmp_gt_i32_e32 vcc_lo, s27, v32
	v_cndmask_b32_e64 v55, 0, v55, s1
	v_cndmask_b32_sdwa v4, v20, v4, vcc_lo dst_sel:DWORD dst_unused:UNUSED_PAD src0_sel:DWORD src1_sel:WORD_0
	v_cmp_gt_i32_e32 vcc_lo, s27, v28
	v_cndmask_b32_e32 v57, 0, v57, vcc_lo
	v_cmp_gt_i32_e32 vcc_lo, s27, v27
	v_or_b32_e32 v4, v4, v57
	v_cndmask_b32_e32 v3, 0, v3, vcc_lo
	v_cmp_gt_i32_e32 vcc_lo, s27, v26
	v_cndmask_b32_e32 v54, 0, v54, vcc_lo
.LBB109_53:                             ;   in Loop: Header=BB109_38 Depth=1
	s_or_b32 exec_lo, exec_lo, s14
	v_lshlrev_b32_e32 v56, 16, v56
	v_lshlrev_b32_e32 v55, 16, v55
	v_lshlrev_b32_e32 v54, 16, v54
	v_and_or_b32 v1, 0xffff, v1, v56
	v_and_or_b32 v2, 0xffff, v2, v55
	;; [unrolled: 1-line block ×3, first 2 shown]
	;;#ASMSTART
	v_pk_mul_f16 v1, v36, v1;

	;;#ASMEND
	;;#ASMSTART
	v_pk_mul_f16 v2, v35, v2;

	;;#ASMEND
	;; [unrolled: 4-line block ×4, first 2 shown]
	;;#ASMSTART
	v_pk_add_f16 v1, v1, v2;

	;;#ASMEND
	;;#ASMSTART
	v_pk_add_f16 v1, v1, v3;

	;;#ASMEND
	;; [unrolled: 4-line block ×3, first 2 shown]
	v_and_b32_e32 v2, 0xffff, v1
	v_lshrrev_b32_e32 v1, 16, v1
	;;#ASMSTART
	v_cvt_f32_f16 v55, v2;
	;;#ASMEND
	;;#ASMSTART
	v_cvt_f32_f16 v56, v1;
	;;#ASMEND
	global_load_dwordx4 v[1:4], v[7:8], off offset:1536
	s_waitcnt vmcnt(0)
	v_lshrrev_b32_e32 v54, 16, v1
	v_lshrrev_b32_e32 v8, 16, v2
	v_lshrrev_b32_e32 v7, 16, v3
	s_and_saveexec_b32 s1, s0
	s_cbranch_execz .LBB109_36
; %bb.54:                               ;   in Loop: Header=BB109_38 Depth=1
	v_cmp_gt_i32_e32 vcc_lo, s27, v31
	v_cmp_gt_i32_e64 s0, s27, v30
	v_cndmask_b32_e32 v1, 0, v1, vcc_lo
	v_cmp_gt_i32_e32 vcc_lo, s27, v34
	v_cndmask_b32_e64 v2, 0, v2, s0
	v_cmp_gt_i32_e64 s0, s27, v29
	v_and_b32_e32 v29, 0xffff0000, v4
	v_cndmask_b32_e32 v54, 0, v54, vcc_lo
	v_cmp_gt_i32_e32 vcc_lo, s27, v32
	v_cndmask_b32_e64 v8, 0, v8, s0
	v_cndmask_b32_sdwa v4, v20, v4, vcc_lo dst_sel:DWORD dst_unused:UNUSED_PAD src0_sel:DWORD src1_sel:WORD_0
	v_cmp_gt_i32_e32 vcc_lo, s27, v28
	v_cndmask_b32_e32 v28, 0, v29, vcc_lo
	v_cmp_gt_i32_e32 vcc_lo, s27, v27
	v_or_b32_e32 v4, v4, v28
	v_cndmask_b32_e32 v3, 0, v3, vcc_lo
	v_cmp_gt_i32_e32 vcc_lo, s27, v26
	v_cndmask_b32_e32 v7, 0, v7, vcc_lo
	s_branch .LBB109_36
.LBB109_55:
	s_or_b32 exec_lo, exec_lo, s6
.LBB109_56:
	s_or_b32 exec_lo, exec_lo, s3
	ds_bpermute_b32 v1, v10, v19
	ds_bpermute_b32 v2, v10, v18
	;; [unrolled: 1-line block ×8, first 2 shown]
	v_and_b32_e32 v23, 0x3c3, v0
	s_mov_b32 s0, exec_lo
	s_waitcnt lgkmcnt(0)
	s_waitcnt_vscnt null, 0x0
	s_barrier
	buffer_gl0_inv
	v_add_f32_e32 v1, v19, v1
	v_add_f32_e32 v2, v18, v2
	;; [unrolled: 1-line block ×8, first 2 shown]
	ds_bpermute_b32 v5, v9, v1
	ds_bpermute_b32 v6, v9, v2
	;; [unrolled: 1-line block ×8, first 2 shown]
	v_and_b32_e32 v7, 28, v38
	v_lshrrev_b32_e32 v9, 2, v38
	v_lshlrev_b32_e32 v12, 8, v37
	v_add_nc_u32_e32 v10, 0xa0, v7
	s_waitcnt lgkmcnt(7)
	v_add_f32_e32 v8, v1, v5
	s_waitcnt lgkmcnt(6)
	v_add_f32_e32 v7, v2, v6
	;; [unrolled: 2-line block ×8, first 2 shown]
	v_cmpx_eq_u32_e32 64, v23
	s_cbranch_execz .LBB109_58
; %bb.57:
	v_add_nc_u32_e32 v13, v10, v12
	v_add_nc_u32_e32 v14, 0xfffffe00, v13
	;; [unrolled: 1-line block ×9, first 2 shown]
	ds_write_b32 v14, v8
	ds_write_b32 v15, v7
	;; [unrolled: 1-line block ×8, first 2 shown]
.LBB109_58:
	s_or_b32 exec_lo, exec_lo, s0
	v_lshlrev_b32_e32 v9, 2, v9
	s_mov_b32 s1, exec_lo
	v_cmp_eq_u32_e32 vcc_lo, 0, v11
	s_waitcnt lgkmcnt(0)
	s_barrier
	v_add3_u32 v9, 0xa0, v12, v9
	buffer_gl0_inv
	v_cmpx_gt_u32_e32 64, v0
	s_cbranch_execz .LBB109_69
; %bb.59:
	s_and_saveexec_b32 s0, vcc_lo
	s_cbranch_execnz .LBB109_85
; %bb.60:
	s_or_b32 exec_lo, exec_lo, s0
	s_and_saveexec_b32 s0, vcc_lo
	s_cbranch_execnz .LBB109_86
.LBB109_61:
	s_or_b32 exec_lo, exec_lo, s0
	s_and_saveexec_b32 s0, vcc_lo
	s_cbranch_execnz .LBB109_87
.LBB109_62:
	s_or_b32 exec_lo, exec_lo, s0
	s_and_saveexec_b32 s0, vcc_lo
	s_cbranch_execnz .LBB109_88
.LBB109_63:
	s_or_b32 exec_lo, exec_lo, s0
	s_and_saveexec_b32 s0, vcc_lo
	s_cbranch_execnz .LBB109_89
.LBB109_64:
	s_or_b32 exec_lo, exec_lo, s0
	s_and_saveexec_b32 s0, vcc_lo
	s_cbranch_execnz .LBB109_90
.LBB109_65:
	s_or_b32 exec_lo, exec_lo, s0
	s_and_saveexec_b32 s0, vcc_lo
	s_cbranch_execnz .LBB109_91
.LBB109_66:
	s_or_b32 exec_lo, exec_lo, s0
	s_and_saveexec_b32 s0, vcc_lo
	s_cbranch_execz .LBB109_68
.LBB109_67:
	ds_read_b32 v11, v9 offset:224
	s_waitcnt lgkmcnt(0)
	v_add_f32_e32 v1, v1, v11
.LBB109_68:
	s_or_b32 exec_lo, exec_lo, s0
.LBB109_69:
	s_or_b32 exec_lo, exec_lo, s1
	v_and_b32_e32 v11, 0x3e3, v0
	s_mov_b32 s1, exec_lo
	s_barrier
	buffer_gl0_inv
	v_cmpx_eq_u32_e32 32, v11
	s_cbranch_execz .LBB109_71
; %bb.70:
	ds_write2_b32 v10, v8, v7 offset1:8
	ds_write2_b32 v10, v6, v5 offset0:16 offset1:24
	ds_write2_b32 v10, v4, v3 offset0:32 offset1:40
	;; [unrolled: 1-line block ×3, first 2 shown]
.LBB109_71:
	s_or_b32 exec_lo, exec_lo, s1
	s_mov_b32 s1, exec_lo
	s_waitcnt lgkmcnt(0)
	s_barrier
	buffer_gl0_inv
	v_cmpx_gt_u32_e32 32, v0
	s_cbranch_execz .LBB109_82
; %bb.72:
	s_and_saveexec_b32 s0, vcc_lo
	s_cbranch_execnz .LBB109_92
; %bb.73:
	s_or_b32 exec_lo, exec_lo, s0
	s_and_saveexec_b32 s0, vcc_lo
	s_cbranch_execnz .LBB109_93
.LBB109_74:
	s_or_b32 exec_lo, exec_lo, s0
	s_and_saveexec_b32 s0, vcc_lo
	s_cbranch_execnz .LBB109_94
.LBB109_75:
	s_or_b32 exec_lo, exec_lo, s0
	s_and_saveexec_b32 s0, vcc_lo
	s_cbranch_execnz .LBB109_95
.LBB109_76:
	s_or_b32 exec_lo, exec_lo, s0
	s_and_saveexec_b32 s0, vcc_lo
	s_cbranch_execnz .LBB109_96
.LBB109_77:
	s_or_b32 exec_lo, exec_lo, s0
	s_and_saveexec_b32 s0, vcc_lo
	s_cbranch_execnz .LBB109_97
.LBB109_78:
	s_or_b32 exec_lo, exec_lo, s0
	s_and_saveexec_b32 s0, vcc_lo
	s_cbranch_execnz .LBB109_98
.LBB109_79:
	s_or_b32 exec_lo, exec_lo, s0
	s_and_saveexec_b32 s0, vcc_lo
	s_cbranch_execz .LBB109_81
.LBB109_80:
	ds_read_b32 v9, v9 offset:224
	s_waitcnt lgkmcnt(0)
	v_add_f32_e32 v1, v1, v9
.LBB109_81:
	s_or_b32 exec_lo, exec_lo, s0
.LBB109_82:
	s_or_b32 exec_lo, exec_lo, s1
	s_barrier
	buffer_gl0_inv
	s_mov_b32 s0, exec_lo
	v_cmpx_eq_u32_e32 0, v11
	s_cbranch_execz .LBB109_84
; %bb.83:
	s_lshl_b32 s0, s2, 6
	s_mul_i32 s2, s7, s10
	s_ashr_i32 s1, s0, 31
	v_lshrrev_b32_e32 v0, 1, v0
	s_lshl_b64 s[0:1], s[0:1], 1
	;;#ASMSTART
	v_cvt_f16_f32 v8, v8;

	;;#ASMEND
	s_add_u32 s4, s24, s0
	s_addc_u32 s5, s25, s1
	s_ashr_i32 s3, s2, 31
	s_lshl_b64 s[0:1], s[2:3], 1
	s_add_u32 s2, s4, s0
	s_addc_u32 s3, s5, s1
	s_lshl_b32 s0, s8, 6
	s_ashr_i32 s1, s0, 31
	s_lshl_b64 s[0:1], s[0:1], 1
	s_add_u32 s0, s2, s0
	s_addc_u32 s1, s3, s1
	global_store_short v0, v8, s[0:1]
	;;#ASMSTART
	v_cvt_f16_f32 v7, v7;

	;;#ASMEND
	global_store_short v0, v7, s[0:1] offset:16
	;;#ASMSTART
	v_cvt_f16_f32 v6, v6;

	;;#ASMEND
	global_store_short v0, v6, s[0:1] offset:32
	;; [unrolled: 5-line block ×7, first 2 shown]
.LBB109_84:
	s_endpgm
.LBB109_85:
	ds_read_b32 v11, v9
	s_waitcnt lgkmcnt(0)
	v_add_f32_e32 v8, v8, v11
	s_or_b32 exec_lo, exec_lo, s0
	s_and_saveexec_b32 s0, vcc_lo
	s_cbranch_execz .LBB109_61
.LBB109_86:
	ds_read_b32 v11, v9 offset:32
	s_waitcnt lgkmcnt(0)
	v_add_f32_e32 v7, v7, v11
	s_or_b32 exec_lo, exec_lo, s0
	s_and_saveexec_b32 s0, vcc_lo
	s_cbranch_execz .LBB109_62
.LBB109_87:
	ds_read_b32 v11, v9 offset:64
	s_waitcnt lgkmcnt(0)
	v_add_f32_e32 v6, v6, v11
	s_or_b32 exec_lo, exec_lo, s0
	s_and_saveexec_b32 s0, vcc_lo
	s_cbranch_execz .LBB109_63
.LBB109_88:
	ds_read_b32 v11, v9 offset:96
	s_waitcnt lgkmcnt(0)
	v_add_f32_e32 v5, v5, v11
	s_or_b32 exec_lo, exec_lo, s0
	s_and_saveexec_b32 s0, vcc_lo
	s_cbranch_execz .LBB109_64
.LBB109_89:
	ds_read_b32 v11, v9 offset:128
	s_waitcnt lgkmcnt(0)
	v_add_f32_e32 v4, v4, v11
	s_or_b32 exec_lo, exec_lo, s0
	s_and_saveexec_b32 s0, vcc_lo
	s_cbranch_execz .LBB109_65
.LBB109_90:
	ds_read_b32 v11, v9 offset:160
	s_waitcnt lgkmcnt(0)
	v_add_f32_e32 v3, v3, v11
	s_or_b32 exec_lo, exec_lo, s0
	s_and_saveexec_b32 s0, vcc_lo
	s_cbranch_execz .LBB109_66
.LBB109_91:
	ds_read_b32 v11, v9 offset:192
	s_waitcnt lgkmcnt(0)
	v_add_f32_e32 v2, v2, v11
	s_or_b32 exec_lo, exec_lo, s0
	s_and_saveexec_b32 s0, vcc_lo
	s_cbranch_execnz .LBB109_67
	s_branch .LBB109_68
.LBB109_92:
	ds_read_b32 v10, v9
	s_waitcnt lgkmcnt(0)
	v_add_f32_e32 v8, v8, v10
	s_or_b32 exec_lo, exec_lo, s0
	s_and_saveexec_b32 s0, vcc_lo
	s_cbranch_execz .LBB109_74
.LBB109_93:
	ds_read_b32 v10, v9 offset:32
	s_waitcnt lgkmcnt(0)
	v_add_f32_e32 v7, v7, v10
	s_or_b32 exec_lo, exec_lo, s0
	s_and_saveexec_b32 s0, vcc_lo
	s_cbranch_execz .LBB109_75
.LBB109_94:
	ds_read_b32 v10, v9 offset:64
	s_waitcnt lgkmcnt(0)
	v_add_f32_e32 v6, v6, v10
	s_or_b32 exec_lo, exec_lo, s0
	s_and_saveexec_b32 s0, vcc_lo
	s_cbranch_execz .LBB109_76
.LBB109_95:
	ds_read_b32 v10, v9 offset:96
	s_waitcnt lgkmcnt(0)
	v_add_f32_e32 v5, v5, v10
	s_or_b32 exec_lo, exec_lo, s0
	s_and_saveexec_b32 s0, vcc_lo
	s_cbranch_execz .LBB109_77
.LBB109_96:
	ds_read_b32 v10, v9 offset:128
	s_waitcnt lgkmcnt(0)
	v_add_f32_e32 v4, v4, v10
	s_or_b32 exec_lo, exec_lo, s0
	s_and_saveexec_b32 s0, vcc_lo
	s_cbranch_execz .LBB109_78
.LBB109_97:
	ds_read_b32 v10, v9 offset:160
	s_waitcnt lgkmcnt(0)
	v_add_f32_e32 v3, v3, v10
	s_or_b32 exec_lo, exec_lo, s0
	s_and_saveexec_b32 s0, vcc_lo
	s_cbranch_execz .LBB109_79
.LBB109_98:
	ds_read_b32 v10, v9 offset:192
	s_waitcnt lgkmcnt(0)
	v_add_f32_e32 v2, v2, v10
	s_or_b32 exec_lo, exec_lo, s0
	s_and_saveexec_b32 s0, vcc_lo
	s_cbranch_execnz .LBB109_80
	s_branch .LBB109_81
	.section	.rodata,"a",@progbits
	.p2align	6, 0x0
	.amdhsa_kernel _ZN4vllm25paged_attention_v2_kernelIttLi64ELi32ELi128ELNS_18Fp8KVCacheDataTypeE0ELb1ELi512EEEvPfS2_PT_PKS3_PKT0_S9_ifPKiSB_iPKfiiiSD_SD_iiiii
		.amdhsa_group_segment_fixed_size 160
		.amdhsa_private_segment_fixed_size 0
		.amdhsa_kernarg_size 400
		.amdhsa_user_sgpr_count 6
		.amdhsa_user_sgpr_private_segment_buffer 1
		.amdhsa_user_sgpr_dispatch_ptr 0
		.amdhsa_user_sgpr_queue_ptr 0
		.amdhsa_user_sgpr_kernarg_segment_ptr 1
		.amdhsa_user_sgpr_dispatch_id 0
		.amdhsa_user_sgpr_flat_scratch_init 0
		.amdhsa_user_sgpr_private_segment_size 0
		.amdhsa_wavefront_size32 1
		.amdhsa_uses_dynamic_stack 0
		.amdhsa_system_sgpr_private_segment_wavefront_offset 0
		.amdhsa_system_sgpr_workgroup_id_x 1
		.amdhsa_system_sgpr_workgroup_id_y 1
		.amdhsa_system_sgpr_workgroup_id_z 1
		.amdhsa_system_sgpr_workgroup_info 0
		.amdhsa_system_vgpr_workitem_id 0
		.amdhsa_next_free_vgpr 124
		.amdhsa_next_free_sgpr 46
		.amdhsa_reserve_vcc 1
		.amdhsa_reserve_flat_scratch 0
		.amdhsa_float_round_mode_32 0
		.amdhsa_float_round_mode_16_64 0
		.amdhsa_float_denorm_mode_32 3
		.amdhsa_float_denorm_mode_16_64 3
		.amdhsa_dx10_clamp 1
		.amdhsa_ieee_mode 1
		.amdhsa_fp16_overflow 0
		.amdhsa_workgroup_processor_mode 1
		.amdhsa_memory_ordered 1
		.amdhsa_forward_progress 1
		.amdhsa_shared_vgpr_count 0
		.amdhsa_exception_fp_ieee_invalid_op 0
		.amdhsa_exception_fp_denorm_src 0
		.amdhsa_exception_fp_ieee_div_zero 0
		.amdhsa_exception_fp_ieee_overflow 0
		.amdhsa_exception_fp_ieee_underflow 0
		.amdhsa_exception_fp_ieee_inexact 0
		.amdhsa_exception_int_div_zero 0
	.end_amdhsa_kernel
	.section	.text._ZN4vllm25paged_attention_v2_kernelIttLi64ELi32ELi128ELNS_18Fp8KVCacheDataTypeE0ELb1ELi512EEEvPfS2_PT_PKS3_PKT0_S9_ifPKiSB_iPKfiiiSD_SD_iiiii,"axG",@progbits,_ZN4vllm25paged_attention_v2_kernelIttLi64ELi32ELi128ELNS_18Fp8KVCacheDataTypeE0ELb1ELi512EEEvPfS2_PT_PKS3_PKT0_S9_ifPKiSB_iPKfiiiSD_SD_iiiii,comdat
.Lfunc_end109:
	.size	_ZN4vllm25paged_attention_v2_kernelIttLi64ELi32ELi128ELNS_18Fp8KVCacheDataTypeE0ELb1ELi512EEEvPfS2_PT_PKS3_PKT0_S9_ifPKiSB_iPKfiiiSD_SD_iiiii, .Lfunc_end109-_ZN4vllm25paged_attention_v2_kernelIttLi64ELi32ELi128ELNS_18Fp8KVCacheDataTypeE0ELb1ELi512EEEvPfS2_PT_PKS3_PKT0_S9_ifPKiSB_iPKfiiiSD_SD_iiiii
                                        ; -- End function
	.set _ZN4vllm25paged_attention_v2_kernelIttLi64ELi32ELi128ELNS_18Fp8KVCacheDataTypeE0ELb1ELi512EEEvPfS2_PT_PKS3_PKT0_S9_ifPKiSB_iPKfiiiSD_SD_iiiii.num_vgpr, 124
	.set _ZN4vllm25paged_attention_v2_kernelIttLi64ELi32ELi128ELNS_18Fp8KVCacheDataTypeE0ELb1ELi512EEEvPfS2_PT_PKS3_PKT0_S9_ifPKiSB_iPKfiiiSD_SD_iiiii.num_agpr, 0
	.set _ZN4vllm25paged_attention_v2_kernelIttLi64ELi32ELi128ELNS_18Fp8KVCacheDataTypeE0ELb1ELi512EEEvPfS2_PT_PKS3_PKT0_S9_ifPKiSB_iPKfiiiSD_SD_iiiii.numbered_sgpr, 46
	.set _ZN4vllm25paged_attention_v2_kernelIttLi64ELi32ELi128ELNS_18Fp8KVCacheDataTypeE0ELb1ELi512EEEvPfS2_PT_PKS3_PKT0_S9_ifPKiSB_iPKfiiiSD_SD_iiiii.num_named_barrier, 0
	.set _ZN4vllm25paged_attention_v2_kernelIttLi64ELi32ELi128ELNS_18Fp8KVCacheDataTypeE0ELb1ELi512EEEvPfS2_PT_PKS3_PKT0_S9_ifPKiSB_iPKfiiiSD_SD_iiiii.private_seg_size, 0
	.set _ZN4vllm25paged_attention_v2_kernelIttLi64ELi32ELi128ELNS_18Fp8KVCacheDataTypeE0ELb1ELi512EEEvPfS2_PT_PKS3_PKT0_S9_ifPKiSB_iPKfiiiSD_SD_iiiii.uses_vcc, 1
	.set _ZN4vllm25paged_attention_v2_kernelIttLi64ELi32ELi128ELNS_18Fp8KVCacheDataTypeE0ELb1ELi512EEEvPfS2_PT_PKS3_PKT0_S9_ifPKiSB_iPKfiiiSD_SD_iiiii.uses_flat_scratch, 0
	.set _ZN4vllm25paged_attention_v2_kernelIttLi64ELi32ELi128ELNS_18Fp8KVCacheDataTypeE0ELb1ELi512EEEvPfS2_PT_PKS3_PKT0_S9_ifPKiSB_iPKfiiiSD_SD_iiiii.has_dyn_sized_stack, 0
	.set _ZN4vllm25paged_attention_v2_kernelIttLi64ELi32ELi128ELNS_18Fp8KVCacheDataTypeE0ELb1ELi512EEEvPfS2_PT_PKS3_PKT0_S9_ifPKiSB_iPKfiiiSD_SD_iiiii.has_recursion, 0
	.set _ZN4vllm25paged_attention_v2_kernelIttLi64ELi32ELi128ELNS_18Fp8KVCacheDataTypeE0ELb1ELi512EEEvPfS2_PT_PKS3_PKT0_S9_ifPKiSB_iPKfiiiSD_SD_iiiii.has_indirect_call, 0
	.section	.AMDGPU.csdata,"",@progbits
; Kernel info:
; codeLenInByte = 11644
; TotalNumSgprs: 48
; NumVgprs: 124
; ScratchSize: 0
; MemoryBound: 0
; FloatMode: 240
; IeeeMode: 1
; LDSByteSize: 160 bytes/workgroup (compile time only)
; SGPRBlocks: 0
; VGPRBlocks: 15
; NumSGPRsForWavesPerEU: 48
; NumVGPRsForWavesPerEU: 124
; Occupancy: 8
; WaveLimiterHint : 1
; COMPUTE_PGM_RSRC2:SCRATCH_EN: 0
; COMPUTE_PGM_RSRC2:USER_SGPR: 6
; COMPUTE_PGM_RSRC2:TRAP_HANDLER: 0
; COMPUTE_PGM_RSRC2:TGID_X_EN: 1
; COMPUTE_PGM_RSRC2:TGID_Y_EN: 1
; COMPUTE_PGM_RSRC2:TGID_Z_EN: 1
; COMPUTE_PGM_RSRC2:TIDIG_COMP_CNT: 0
	.section	.text._ZN4vllm25paged_attention_v2_kernelIttLi80ELi32ELi128ELNS_18Fp8KVCacheDataTypeE0ELb1ELi512EEEvPfS2_PT_PKS3_PKT0_S9_ifPKiSB_iPKfiiiSD_SD_iiiii,"axG",@progbits,_ZN4vllm25paged_attention_v2_kernelIttLi80ELi32ELi128ELNS_18Fp8KVCacheDataTypeE0ELb1ELi512EEEvPfS2_PT_PKS3_PKT0_S9_ifPKiSB_iPKfiiiSD_SD_iiiii,comdat
	.protected	_ZN4vllm25paged_attention_v2_kernelIttLi80ELi32ELi128ELNS_18Fp8KVCacheDataTypeE0ELb1ELi512EEEvPfS2_PT_PKS3_PKT0_S9_ifPKiSB_iPKfiiiSD_SD_iiiii ; -- Begin function _ZN4vllm25paged_attention_v2_kernelIttLi80ELi32ELi128ELNS_18Fp8KVCacheDataTypeE0ELb1ELi512EEEvPfS2_PT_PKS3_PKT0_S9_ifPKiSB_iPKfiiiSD_SD_iiiii
	.globl	_ZN4vllm25paged_attention_v2_kernelIttLi80ELi32ELi128ELNS_18Fp8KVCacheDataTypeE0ELb1ELi512EEEvPfS2_PT_PKS3_PKT0_S9_ifPKiSB_iPKfiiiSD_SD_iiiii
	.p2align	8
	.type	_ZN4vllm25paged_attention_v2_kernelIttLi80ELi32ELi128ELNS_18Fp8KVCacheDataTypeE0ELb1ELi512EEEvPfS2_PT_PKS3_PKT0_S9_ifPKiSB_iPKfiiiSD_SD_iiiii,@function
_ZN4vllm25paged_attention_v2_kernelIttLi80ELi32ELi128ELNS_18Fp8KVCacheDataTypeE0ELb1ELi512EEEvPfS2_PT_PKS3_PKT0_S9_ifPKiSB_iPKfiiiSD_SD_iiiii: ; @_ZN4vllm25paged_attention_v2_kernelIttLi80ELi32ELi128ELNS_18Fp8KVCacheDataTypeE0ELb1ELi512EEEvPfS2_PT_PKS3_PKT0_S9_ifPKiSB_iPKfiiiSD_SD_iiiii
; %bb.0:
	s_load_dwordx2 s[0:1], s[4:5], 0x40
	s_mov_b32 s26, s7
	s_ashr_i32 s27, s7, 31
	s_lshl_b64 s[2:3], s[26:27], 2
	s_waitcnt lgkmcnt(0)
	s_add_u32 s0, s0, s2
	s_addc_u32 s1, s1, s3
	s_lshl_b32 s37, s8, 9
	s_load_dword s27, s[0:1], 0x0
	s_waitcnt lgkmcnt(0)
	s_cmp_ge_i32 s37, s27
	s_cbranch_scc1 .LBB110_92
; %bb.1:
	s_clause 0x1
	s_load_dword s9, s[4:5], 0x90
	s_load_dwordx2 s[2:3], s[4:5], 0x30
	s_mov_b32 s39, 0
	s_waitcnt lgkmcnt(0)
	s_abs_i32 s10, s9
	s_abs_i32 s0, s2
	v_cvt_f32_u32_e32 v1, s0
	s_sub_i32 s7, 0, s0
	v_rcp_iflag_f32_e32 v1, v1
	v_mul_f32_e32 v1, 0x4f7ffffe, v1
	v_cvt_u32_f32_e32 v1, v1
	v_readfirstlane_b32 s1, v1
	s_mul_i32 s7, s7, s1
	s_mul_hi_u32 s7, s1, s7
	s_add_i32 s1, s1, s7
	s_xor_b32 s7, s9, s2
	s_mul_hi_u32 s1, s10, s1
	s_ashr_i32 s7, s7, 31
	s_mul_i32 s11, s1, s0
	s_sub_i32 s10, s10, s11
	s_add_i32 s11, s1, 1
	s_sub_i32 s12, s10, s0
	s_cmp_ge_u32 s10, s0
	s_cselect_b32 s1, s11, s1
	s_cselect_b32 s10, s12, s10
	s_add_i32 s11, s1, 1
	s_cmp_ge_u32 s10, s0
	s_cselect_b32 s0, s11, s1
	s_abs_i32 s21, s6
	s_xor_b32 s0, s0, s7
	s_sub_i32 s10, s0, s7
	s_load_dwordx2 s[0:1], s[4:5], 0x50
	s_abs_i32 s20, s10
	v_cvt_f32_u32_e32 v1, s20
	s_sub_i32 s11, 0, s20
	v_rcp_iflag_f32_e32 v1, v1
	v_mul_f32_e32 v1, 0x4f7ffffe, v1
	v_cvt_u32_f32_e32 v1, v1
	v_readfirstlane_b32 s7, v1
	s_mul_i32 s11, s11, s7
	s_mul_hi_u32 s11, s7, s11
	s_add_i32 s7, s7, s11
	s_waitcnt lgkmcnt(0)
	s_cmp_eq_u64 s[0:1], 0
	s_mul_hi_u32 s22, s21, s7
	s_cbranch_scc1 .LBB110_3
; %bb.2:
	s_ashr_i32 s7, s6, 31
	s_lshl_b64 s[12:13], s[6:7], 2
	s_add_u32 s0, s0, s12
	s_addc_u32 s1, s1, s13
	s_load_dword s39, s[0:1], 0x0
.LBB110_3:
	s_load_dwordx4 s[12:15], s[4:5], 0x58
	v_lshlrev_b32_e32 v44, 4, v0
	s_ashr_i32 s0, s6, 31
	s_ashr_i32 s1, s10, 31
	s_mul_i32 s10, s6, 0x50
	s_mov_b32 s7, exec_lo
	v_cmpx_gt_u32_e32 10, v0
	s_cbranch_execz .LBB110_5
; %bb.4:
	s_load_dwordx2 s[16:17], s[4:5], 0x18
	s_waitcnt lgkmcnt(0)
	s_mul_i32 s18, s12, s26
	s_ashr_i32 s19, s18, 31
	s_lshl_b64 s[18:19], s[18:19], 1
	s_add_u32 s12, s16, s18
	s_addc_u32 s15, s17, s19
	s_ashr_i32 s11, s10, 31
	s_lshl_b64 s[16:17], s[10:11], 1
	s_add_u32 s16, s12, s16
	s_addc_u32 s17, s15, s17
	global_load_dwordx4 v[1:4], v44, s[16:17]
	s_waitcnt vmcnt(0)
	ds_write_b128 v44, v[1:4]
.LBB110_5:
	s_or_b32 exec_lo, exec_lo, s7
	s_load_dwordx4 s[16:19], s[4:5], 0x78
	s_mul_i32 s7, s22, s20
	s_xor_b32 s0, s0, s1
	s_sub_i32 s1, s21, s7
	s_add_i32 s7, s22, 1
	s_sub_i32 s11, s1, s20
	s_cmp_ge_u32 s1, s20
	s_mov_b32 s21, -1
	s_cselect_b32 s7, s7, s22
	s_cselect_b32 s1, s11, s1
	s_add_i32 s11, s7, 1
	s_cmp_ge_u32 s1, s20
                                        ; implicit-def: $sgpr33
	s_cselect_b32 s1, s11, s7
	s_load_dword s7, s[4:5], 0x88
	s_xor_b32 s1, s1, s0
	s_add_i32 s20, s27, -1
	s_sub_i32 s1, s1, s0
	s_waitcnt lgkmcnt(0)
	s_abs_i32 s15, s20
	s_abs_i32 s11, s19
	s_barrier
	v_cvt_f32_u32_e32 v1, s11
	s_sub_i32 s0, 0, s11
	buffer_gl0_inv
	v_rcp_iflag_f32_e32 v1, v1
	v_mul_f32_e32 v1, 0x4f7ffffe, v1
	v_cvt_u32_f32_e32 v1, v1
	v_readfirstlane_b32 s12, v1
	s_mul_i32 s0, s0, s12
	s_mul_hi_u32 s0, s12, s0
	s_add_i32 s12, s12, s0
	s_cmp_lt_i32 s7, 0
	s_mul_hi_u32 s0, s15, s12
	s_cbranch_scc0 .LBB110_7
; %bb.6:
	s_mul_i32 s2, s16, s2
	s_mov_b32 s21, 0
	s_add_i32 s2, s1, s2
	s_mul_i32 s2, s2, s7
	s_sub_i32 s33, 1, s2
.LBB110_7:
	s_load_dwordx2 s[28:29], s[4:5], 0x38
	s_ashr_i32 s2, s20, 31
	s_andn2_b32 vcc_lo, exec_lo, s21
	s_ashr_i32 s19, s19, 31
	s_cbranch_vccnz .LBB110_9
; %bb.8:
	s_mul_i32 s16, s9, s16
	s_add_i32 s16, s16, s6
	s_mul_i32 s7, s16, s7
	s_add_i32 s33, s7, 1
.LBB110_9:
	s_clause 0x4
	s_load_dword s16, s[4:5], 0x48
	s_load_dwordx2 s[34:35], s[4:5], 0x28
	s_load_dword s7, s[4:5], 0x98
	s_load_dwordx4 s[20:23], s[4:5], 0x0
	s_load_dwordx2 s[24:25], s[4:5], 0x10
	s_mul_i32 s30, s0, s11
	s_xor_b32 s2, s2, s19
	s_sub_i32 s15, s15, s30
	s_add_i32 s36, s0, 1
	v_lshrrev_b32_e32 v41, 5, v0
	v_and_b32_e32 v42, 31, v0
	v_mov_b32_e32 v46, 0xff7fffff
	s_mul_i32 s14, s1, s14
	v_lshl_add_u32 v43, v41, 5, s37
	v_lshlrev_b32_e32 v45, 2, v42
	s_waitcnt lgkmcnt(0)
	s_mul_i32 s30, s16, s26
	s_sub_i32 s16, s15, s11
	s_ashr_i32 s31, s30, 31
	s_cmp_ge_u32 s15, s11
	s_cselect_b32 s0, s36, s0
	s_cselect_b32 s15, s16, s15
	s_add_i32 s16, s0, 1
	s_cmp_ge_u32 s15, s11
	s_cselect_b32 s0, s16, s0
	s_add_i32 s15, s27, 31
	s_lshl_b32 s40, s8, 4
	s_ashr_i32 s16, s15, 31
	v_add_nc_u32_e32 v37, s40, v41
	s_lshr_b32 s16, s16, 27
	s_add_i32 s15, s15, s16
	s_add_i32 s16, s40, 16
	s_ashr_i32 s36, s15, 5
	s_xor_b32 s15, s0, s2
	s_min_i32 s16, s16, s36
	v_ashrrev_i32_e32 v38, 31, v37
	v_cmp_gt_i32_e64 s0, s16, v37
	s_sub_i32 s38, s15, s2
	s_and_saveexec_b32 s41, s0
	s_cbranch_execz .LBB110_17
; %bb.10:
	s_load_dwordx2 s[42:43], s[4:5], 0x20
	s_ashr_i32 s15, s14, 31
	s_sub_i32 s4, s38, s17
	s_lshl_b64 s[44:45], s[14:15], 1
	v_subrev_nc_u32_e32 v5, s27, v42
	v_lshlrev_b32_e32 v3, 4, v42
	v_lshl_or_b32 v7, v41, 7, v45
	v_mov_b32_e32 v47, 0
	v_cmp_neq_f32_e64 vcc_lo, s39, 0
	v_add_nc_u32_e32 v50, 1, v5
	v_lshl_add_u32 v48, v41, 5, s37
	v_mov_b32_e32 v49, 0xff7fffff
	v_mov_b32_e32 v46, 0xff7fffff
	v_add_nc_u32_e32 v51, 0xc0, v7
	v_mov_b32_e32 v55, v37
	s_waitcnt lgkmcnt(0)
	s_add_u32 s1, s42, s44
	s_addc_u32 s2, s43, s45
	s_abs_i32 s5, s18
	s_lshl_b64 s[42:43], s[30:31], 2
	v_cvt_f32_u32_e32 v1, s5
	s_sub_i32 s15, 0, s5
	v_add_co_u32 v52, s1, s1, v3
	v_add_co_ci_u32_e64 v53, null, s2, 0, s1
	v_rcp_iflag_f32_e32 v1, v1
	s_add_u32 s1, s28, s42
	s_addc_u32 s2, s29, s43
	s_mov_b32 s42, s13
	v_mul_f32_e32 v1, 0x4f7ffffe, v1
	v_cvt_u32_f32_e32 v4, v1
	v_lshlrev_b64 v[1:2], 2, v[37:38]
	v_mul_lo_u32 v6, s15, v4
	s_mov_b32 s15, 0
	v_add_co_u32 v39, s1, s1, v1
	v_add_co_ci_u32_e64 v40, null, s2, v2, s1
	v_mul_hi_u32 v5, v4, v6
	v_add_nc_u32_e32 v54, v4, v5
	s_branch .LBB110_12
.LBB110_11:                             ;   in Loop: Header=BB110_12 Depth=1
	s_or_b32 exec_lo, exec_lo, s2
	v_add_nc_u32_e32 v55, 4, v55
	v_add_co_u32 v39, s2, v39, 16
	v_add_co_ci_u32_e64 v40, null, 0, v40, s2
	v_cmp_le_i32_e64 s1, s16, v55
	v_add_nc_u32_e32 v48, 0x80, v48
	v_add_nc_u32_e32 v51, 0x200, v51
	s_or_b32 s15, s1, s15
	s_andn2_b32 exec_lo, exec_lo, s15
	s_cbranch_execz .LBB110_16
.LBB110_12:                             ; =>This Inner Loop Header: Depth=1
	v_sub_nc_u32_e32 v1, 0, v48
	v_max_i32_e32 v1, v48, v1
	v_mul_hi_u32 v2, v1, s12
	v_mul_lo_u32 v3, v2, s11
	v_sub_nc_u32_e32 v1, v1, v3
	v_add_nc_u32_e32 v3, 1, v2
	v_subrev_nc_u32_e32 v4, s11, v1
	v_cmp_le_u32_e64 s1, s11, v1
	v_cndmask_b32_e64 v2, v2, v3, s1
	v_cndmask_b32_e64 v1, v1, v4, s1
	v_ashrrev_i32_e32 v3, 31, v48
	v_add_nc_u32_e32 v4, 1, v2
	v_cmp_le_u32_e64 s1, s11, v1
	v_xor_b32_e32 v3, s19, v3
	v_cndmask_b32_e64 v1, v2, v4, s1
	v_xor_b32_e32 v1, v1, v3
	v_sub_nc_u32_e32 v1, v1, v3
	v_add_nc_u32_e32 v2, s33, v1
	v_cmp_ge_i32_e64 s2, s4, v1
	v_sub_nc_u32_e32 v3, 0, v2
	v_max_i32_e32 v3, v2, v3
	v_ashrrev_i32_e32 v2, 31, v2
	v_mul_hi_u32 v4, v3, v54
	v_mul_lo_u32 v4, v4, s5
	v_sub_nc_u32_e32 v3, v3, v4
	v_subrev_nc_u32_e32 v4, s5, v3
	v_cmp_le_u32_e64 s1, s5, v3
	v_cndmask_b32_e64 v3, v3, v4, s1
	v_subrev_nc_u32_e32 v4, s5, v3
	v_cmp_le_u32_e64 s1, s5, v3
	v_cndmask_b32_e64 v3, v3, v4, s1
	v_xor_b32_e32 v3, v3, v2
	v_sub_nc_u32_e32 v2, v3, v2
	v_cmp_ne_u32_e64 s1, 0, v2
	s_and_b32 s1, s1, s2
	s_and_saveexec_b32 s2, s1
	s_xor_b32 s1, exec_lo, s2
; %bb.13:                               ;   in Loop: Header=BB110_12 Depth=1
	ds_write_b32 v51, v49
; %bb.14:                               ;   in Loop: Header=BB110_12 Depth=1
	s_andn2_saveexec_b32 s2, s1
	s_cbranch_execz .LBB110_11
; %bb.15:                               ;   in Loop: Header=BB110_12 Depth=1
	global_load_dword v1, v[39:40], off
	v_add_nc_u32_e32 v3, v50, v48
	v_add_nc_u32_e32 v61, v42, v48
	v_cvt_f32_i32_e32 v3, v3
	v_mul_f32_e32 v3, s39, v3
	v_cndmask_b32_e32 v56, 0, v3, vcc_lo
	s_waitcnt vmcnt(0)
	v_mad_i64_i32 v[1:2], null, v1, s42, 0
	v_lshlrev_b64 v[1:2], 1, v[1:2]
	v_add_co_u32 v1, s1, v52, v1
	v_add_co_ci_u32_e64 v2, null, v53, v2, s1
	s_clause 0x3
	global_load_dwordx4 v[57:60], v[1:2], off
	global_load_dwordx4 v[33:36], v[1:2], off offset:512
	global_load_dwordx4 v[29:32], v[1:2], off offset:1024
	;; [unrolled: 1-line block ×3, first 2 shown]
	v_add_co_u32 v3, s1, 0x800, v1
	v_add_co_ci_u32_e64 v4, null, 0, v2, s1
	v_add_co_u32 v5, s1, v1, 0x1000
	v_add_co_ci_u32_e64 v6, null, 0, v2, s1
	s_clause 0x3
	global_load_dwordx4 v[21:24], v[5:6], off offset:-2048
	global_load_dwordx4 v[17:20], v[3:4], off offset:512
	global_load_dwordx4 v[13:16], v[3:4], off offset:1024
	global_load_dwordx4 v[9:12], v[3:4], off offset:1536
	v_add_co_u32 v1, s1, 0x1000, v1
	v_add_co_ci_u32_e64 v2, null, 0, v2, s1
	s_clause 0x1
	global_load_dwordx4 v[5:8], v[5:6], off
	global_load_dwordx4 v[1:4], v[1:2], off offset:512
	v_cmp_gt_i32_e64 s1, s27, v61
	ds_read_b128 v[61:64], v47
	s_waitcnt lgkmcnt(0)
	v_lshrrev_b32_e32 v65, 16, v61
	v_and_b32_e32 v61, 0xffff, v61
	;;#ASMSTART
	v_cvt_f32_f16 v61, v61;
	;;#ASMEND
	;;#ASMSTART
	v_cvt_f32_f16 v65, v65;
	;;#ASMEND
	s_waitcnt vmcnt(9)
	v_lshrrev_b32_e32 v67, 16, v57
	v_and_b32_e32 v57, 0xffff, v57
	;;#ASMSTART
	v_cvt_f32_f16 v66, v57;
	;;#ASMEND
	v_lshrrev_b32_e32 v57, 16, v62
	v_and_b32_e32 v62, 0xffff, v62
	;;#ASMSTART
	v_cvt_f32_f16 v67, v67;
	;;#ASMEND
	;;#ASMSTART
	v_cvt_f32_f16 v62, v62;
	;;#ASMEND
	;; [unrolled: 3-line block ×3, first 2 shown]
	v_lshrrev_b32_e32 v57, 16, v58
	v_and_b32_e32 v58, 0xffff, v58
	;;#ASMSTART
	v_cvt_f32_f16 v69, v58;
	;;#ASMEND
	;;#ASMSTART
	v_cvt_f32_f16 v70, v57;
	;;#ASMEND
	v_lshrrev_b32_e32 v57, 16, v63
	v_and_b32_e32 v58, 0xffff, v63
	;;#ASMSTART
	v_cvt_f32_f16 v63, v58;
	;;#ASMEND
	;;#ASMSTART
	v_cvt_f32_f16 v71, v57;
	;;#ASMEND
	;; [unrolled: 8-line block ×5, first 2 shown]
	ds_read_b128 v[57:60], v47 offset:16
	s_waitcnt vmcnt(8)
	v_lshrrev_b32_e32 v78, 16, v33
	v_and_b32_e32 v33, 0xffff, v33
	s_waitcnt lgkmcnt(0)
	v_lshrrev_b32_e32 v77, 16, v57
	v_and_b32_e32 v57, 0xffff, v57
	;;#ASMSTART
	v_cvt_f32_f16 v57, v57;
	;;#ASMEND
	;;#ASMSTART
	v_cvt_f32_f16 v77, v77;
	;;#ASMEND
	;; [unrolled: 3-line block ×3, first 2 shown]
	v_mul_f32_e32 v33, v57, v33
	;;#ASMSTART
	v_cvt_f32_f16 v78, v78;
	;;#ASMEND
	v_mul_f32_e32 v57, v77, v78
	v_fmac_f32_e32 v33, v61, v66
	v_lshrrev_b32_e32 v61, 16, v58
	v_and_b32_e32 v58, 0xffff, v58
	v_fmac_f32_e32 v57, v65, v67
	;;#ASMSTART
	v_cvt_f32_f16 v58, v58;
	;;#ASMEND
	v_lshrrev_b32_e32 v65, 16, v34
	v_and_b32_e32 v34, 0xffff, v34
	;;#ASMSTART
	v_cvt_f32_f16 v61, v61;
	;;#ASMEND
	;;#ASMSTART
	v_cvt_f32_f16 v34, v34;
	;;#ASMEND
	v_mul_f32_e32 v58, v58, v34
	;;#ASMSTART
	v_cvt_f32_f16 v65, v65;
	;;#ASMEND
	v_mul_f32_e32 v34, v61, v65
	v_lshrrev_b32_e32 v61, 16, v59
	v_and_b32_e32 v59, 0xffff, v59
	v_fmac_f32_e32 v58, v62, v69
	v_lshrrev_b32_e32 v62, 16, v35
	v_and_b32_e32 v35, 0xffff, v35
	;;#ASMSTART
	v_cvt_f32_f16 v59, v59;
	;;#ASMEND
	;;#ASMSTART
	v_cvt_f32_f16 v61, v61;
	;;#ASMEND
	;; [unrolled: 3-line block ×4, first 2 shown]
	v_mul_f32_e32 v59, v59, v35
	v_mul_f32_e32 v35, v61, v62
	v_lshrrev_b32_e32 v61, 16, v60
	v_and_b32_e32 v60, 0xffff, v60
	;;#ASMSTART
	v_cvt_f32_f16 v60, v60;
	;;#ASMEND
	v_lshrrev_b32_e32 v62, 16, v36
	v_and_b32_e32 v36, 0xffff, v36
	;;#ASMSTART
	v_cvt_f32_f16 v61, v61;
	;;#ASMEND
	;;#ASMSTART
	v_cvt_f32_f16 v36, v36;
	;;#ASMEND
	v_mul_f32_e32 v60, v60, v36
	;;#ASMSTART
	v_cvt_f32_f16 v62, v62;
	;;#ASMEND
	v_fmac_f32_e32 v59, v63, v72
	v_mul_f32_e32 v36, v61, v62
	v_fmac_f32_e32 v34, v68, v70
	v_fmac_f32_e32 v60, v64, v75
	ds_read_b128 v[61:64], v47 offset:32
	s_waitcnt vmcnt(7)
	v_lshrrev_b32_e32 v66, 16, v29
	v_and_b32_e32 v29, 0xffff, v29
	v_fmac_f32_e32 v35, v71, v73
	v_fmac_f32_e32 v36, v74, v76
	s_waitcnt lgkmcnt(0)
	v_lshrrev_b32_e32 v65, 16, v61
	v_and_b32_e32 v61, 0xffff, v61
	;;#ASMSTART
	v_cvt_f32_f16 v61, v61;
	;;#ASMEND
	;;#ASMSTART
	v_cvt_f32_f16 v65, v65;
	;;#ASMEND
	;; [unrolled: 3-line block ×3, first 2 shown]
	v_fmac_f32_e32 v33, v61, v29
	v_lshrrev_b32_e32 v61, 16, v62
	v_and_b32_e32 v29, 0xffff, v62
	v_lshrrev_b32_e32 v62, 16, v30
	v_and_b32_e32 v30, 0xffff, v30
	;;#ASMSTART
	v_cvt_f32_f16 v66, v66;
	;;#ASMEND
	;;#ASMSTART
	v_cvt_f32_f16 v29, v29;
	;;#ASMEND
	;; [unrolled: 3-line block ×5, first 2 shown]
	v_fmac_f32_e32 v58, v29, v30
	v_fmac_f32_e32 v34, v61, v62
	v_lshrrev_b32_e32 v30, 16, v63
	v_and_b32_e32 v29, 0xffff, v63
	v_lshrrev_b32_e32 v61, 16, v31
	v_and_b32_e32 v31, 0xffff, v31
	;;#ASMSTART
	v_cvt_f32_f16 v29, v29;
	;;#ASMEND
	;;#ASMSTART
	v_cvt_f32_f16 v30, v30;
	;;#ASMEND
	;; [unrolled: 3-line block ×4, first 2 shown]
	v_fmac_f32_e32 v59, v29, v31
	v_fmac_f32_e32 v35, v30, v61
	v_lshrrev_b32_e32 v30, 16, v64
	v_and_b32_e32 v29, 0xffff, v64
	v_and_b32_e32 v31, 0xffff, v32
	;;#ASMSTART
	v_cvt_f32_f16 v29, v29;
	;;#ASMEND
	;;#ASMSTART
	v_cvt_f32_f16 v30, v30;
	;;#ASMEND
	v_lshrrev_b32_e32 v61, 16, v32
	;;#ASMSTART
	v_cvt_f32_f16 v31, v31;
	;;#ASMEND
	;;#ASMSTART
	v_cvt_f32_f16 v32, v61;
	;;#ASMEND
	v_fmac_f32_e32 v60, v29, v31
	v_fmac_f32_e32 v36, v30, v32
	ds_read_b128 v[29:32], v47 offset:48
	s_waitcnt vmcnt(6)
	v_lshrrev_b32_e32 v62, 16, v25
	v_and_b32_e32 v25, 0xffff, v25
	v_fmac_f32_e32 v57, v65, v66
	s_waitcnt lgkmcnt(0)
	v_lshrrev_b32_e32 v61, 16, v29
	v_and_b32_e32 v29, 0xffff, v29
	;;#ASMSTART
	v_cvt_f32_f16 v29, v29;
	;;#ASMEND
	;;#ASMSTART
	v_cvt_f32_f16 v61, v61;
	;;#ASMEND
	;; [unrolled: 3-line block ×3, first 2 shown]
	v_fmac_f32_e32 v33, v29, v25
	v_lshrrev_b32_e32 v29, 16, v30
	v_and_b32_e32 v25, 0xffff, v30
	v_lshrrev_b32_e32 v30, 16, v26
	v_and_b32_e32 v26, 0xffff, v26
	;;#ASMSTART
	v_cvt_f32_f16 v62, v62;
	;;#ASMEND
	;;#ASMSTART
	v_cvt_f32_f16 v25, v25;
	;;#ASMEND
	;; [unrolled: 3-line block ×5, first 2 shown]
	v_fmac_f32_e32 v58, v25, v26
	v_fmac_f32_e32 v34, v29, v30
	v_lshrrev_b32_e32 v26, 16, v31
	v_and_b32_e32 v25, 0xffff, v31
	v_lshrrev_b32_e32 v29, 16, v27
	v_and_b32_e32 v27, 0xffff, v27
	;;#ASMSTART
	v_cvt_f32_f16 v25, v25;
	;;#ASMEND
	;;#ASMSTART
	v_cvt_f32_f16 v26, v26;
	;;#ASMEND
	;;#ASMSTART
	v_cvt_f32_f16 v27, v27;
	;;#ASMEND
	;;#ASMSTART
	v_cvt_f32_f16 v29, v29;
	;;#ASMEND
	v_fmac_f32_e32 v59, v25, v27
	v_fmac_f32_e32 v35, v26, v29
	v_lshrrev_b32_e32 v26, 16, v32
	v_and_b32_e32 v25, 0xffff, v32
	v_and_b32_e32 v27, 0xffff, v28
	;;#ASMSTART
	v_cvt_f32_f16 v25, v25;
	;;#ASMEND
	;;#ASMSTART
	v_cvt_f32_f16 v26, v26;
	;;#ASMEND
	v_lshrrev_b32_e32 v29, 16, v28
	;;#ASMSTART
	v_cvt_f32_f16 v27, v27;
	;;#ASMEND
	;;#ASMSTART
	v_cvt_f32_f16 v28, v29;
	;;#ASMEND
	v_fmac_f32_e32 v60, v25, v27
	v_fmac_f32_e32 v36, v26, v28
	ds_read_b128 v[25:28], v47 offset:64
	s_waitcnt vmcnt(5)
	v_lshrrev_b32_e32 v30, 16, v21
	v_and_b32_e32 v21, 0xffff, v21
	v_fmac_f32_e32 v57, v61, v62
	s_waitcnt lgkmcnt(0)
	v_lshrrev_b32_e32 v29, 16, v25
	v_and_b32_e32 v25, 0xffff, v25
	;;#ASMSTART
	v_cvt_f32_f16 v25, v25;
	;;#ASMEND
	;;#ASMSTART
	v_cvt_f32_f16 v29, v29;
	;;#ASMEND
	;; [unrolled: 3-line block ×3, first 2 shown]
	v_fmac_f32_e32 v33, v25, v21
	v_lshrrev_b32_e32 v25, 16, v26
	v_and_b32_e32 v21, 0xffff, v26
	v_lshrrev_b32_e32 v26, 16, v22
	v_and_b32_e32 v22, 0xffff, v22
	;;#ASMSTART
	v_cvt_f32_f16 v30, v30;
	;;#ASMEND
	;;#ASMSTART
	v_cvt_f32_f16 v21, v21;
	;;#ASMEND
	;; [unrolled: 3-line block ×5, first 2 shown]
	v_fmac_f32_e32 v58, v21, v22
	v_fmac_f32_e32 v34, v25, v26
	v_lshrrev_b32_e32 v22, 16, v27
	v_and_b32_e32 v21, 0xffff, v27
	v_lshrrev_b32_e32 v25, 16, v23
	v_and_b32_e32 v23, 0xffff, v23
	;;#ASMSTART
	v_cvt_f32_f16 v21, v21;
	;;#ASMEND
	;;#ASMSTART
	v_cvt_f32_f16 v22, v22;
	;;#ASMEND
	;; [unrolled: 3-line block ×4, first 2 shown]
	v_fmac_f32_e32 v59, v21, v23
	v_fmac_f32_e32 v35, v22, v25
	v_lshrrev_b32_e32 v22, 16, v28
	v_and_b32_e32 v21, 0xffff, v28
	v_and_b32_e32 v23, 0xffff, v24
	;;#ASMSTART
	v_cvt_f32_f16 v21, v21;
	;;#ASMEND
	;;#ASMSTART
	v_cvt_f32_f16 v22, v22;
	;;#ASMEND
	v_lshrrev_b32_e32 v25, 16, v24
	;;#ASMSTART
	v_cvt_f32_f16 v23, v23;
	;;#ASMEND
	;;#ASMSTART
	v_cvt_f32_f16 v24, v25;
	;;#ASMEND
	v_fmac_f32_e32 v60, v21, v23
	v_fmac_f32_e32 v36, v22, v24
	ds_read_b128 v[21:24], v47 offset:80
	s_waitcnt vmcnt(4)
	v_lshrrev_b32_e32 v26, 16, v17
	v_and_b32_e32 v17, 0xffff, v17
	v_fmac_f32_e32 v57, v29, v30
	s_waitcnt lgkmcnt(0)
	v_lshrrev_b32_e32 v25, 16, v21
	v_and_b32_e32 v21, 0xffff, v21
	;;#ASMSTART
	v_cvt_f32_f16 v21, v21;
	;;#ASMEND
	;;#ASMSTART
	v_cvt_f32_f16 v25, v25;
	;;#ASMEND
	;; [unrolled: 3-line block ×3, first 2 shown]
	v_fmac_f32_e32 v33, v21, v17
	v_lshrrev_b32_e32 v21, 16, v22
	v_and_b32_e32 v17, 0xffff, v22
	v_lshrrev_b32_e32 v22, 16, v18
	v_and_b32_e32 v18, 0xffff, v18
	;;#ASMSTART
	v_cvt_f32_f16 v26, v26;
	;;#ASMEND
	;;#ASMSTART
	v_cvt_f32_f16 v17, v17;
	;;#ASMEND
	;; [unrolled: 3-line block ×5, first 2 shown]
	v_fmac_f32_e32 v58, v17, v18
	v_fmac_f32_e32 v34, v21, v22
	v_lshrrev_b32_e32 v18, 16, v23
	v_and_b32_e32 v17, 0xffff, v23
	v_lshrrev_b32_e32 v21, 16, v19
	v_and_b32_e32 v19, 0xffff, v19
	;;#ASMSTART
	v_cvt_f32_f16 v17, v17;
	;;#ASMEND
	;;#ASMSTART
	v_cvt_f32_f16 v18, v18;
	;;#ASMEND
	;; [unrolled: 3-line block ×4, first 2 shown]
	v_fmac_f32_e32 v59, v17, v19
	v_fmac_f32_e32 v35, v18, v21
	v_lshrrev_b32_e32 v18, 16, v24
	v_and_b32_e32 v17, 0xffff, v24
	v_and_b32_e32 v19, 0xffff, v20
	;;#ASMSTART
	v_cvt_f32_f16 v17, v17;
	;;#ASMEND
	;;#ASMSTART
	v_cvt_f32_f16 v18, v18;
	;;#ASMEND
	v_lshrrev_b32_e32 v21, 16, v20
	;;#ASMSTART
	v_cvt_f32_f16 v19, v19;
	;;#ASMEND
	;;#ASMSTART
	v_cvt_f32_f16 v20, v21;
	;;#ASMEND
	v_fmac_f32_e32 v60, v17, v19
	v_fmac_f32_e32 v36, v18, v20
	ds_read_b128 v[17:20], v47 offset:96
	s_waitcnt vmcnt(3)
	v_lshrrev_b32_e32 v22, 16, v13
	v_and_b32_e32 v13, 0xffff, v13
	v_fmac_f32_e32 v57, v25, v26
	s_waitcnt lgkmcnt(0)
	v_lshrrev_b32_e32 v21, 16, v17
	v_and_b32_e32 v17, 0xffff, v17
	;;#ASMSTART
	v_cvt_f32_f16 v17, v17;
	;;#ASMEND
	;;#ASMSTART
	v_cvt_f32_f16 v21, v21;
	;;#ASMEND
	;; [unrolled: 3-line block ×3, first 2 shown]
	v_fmac_f32_e32 v33, v17, v13
	v_lshrrev_b32_e32 v17, 16, v18
	v_and_b32_e32 v13, 0xffff, v18
	v_lshrrev_b32_e32 v18, 16, v14
	v_and_b32_e32 v14, 0xffff, v14
	;;#ASMSTART
	v_cvt_f32_f16 v22, v22;
	;;#ASMEND
	;;#ASMSTART
	v_cvt_f32_f16 v13, v13;
	;;#ASMEND
	;; [unrolled: 3-line block ×5, first 2 shown]
	v_fmac_f32_e32 v58, v13, v14
	v_fmac_f32_e32 v34, v17, v18
	v_lshrrev_b32_e32 v14, 16, v19
	v_and_b32_e32 v13, 0xffff, v19
	v_lshrrev_b32_e32 v17, 16, v15
	v_and_b32_e32 v15, 0xffff, v15
	;;#ASMSTART
	v_cvt_f32_f16 v13, v13;
	;;#ASMEND
	;;#ASMSTART
	v_cvt_f32_f16 v14, v14;
	;;#ASMEND
	;; [unrolled: 3-line block ×4, first 2 shown]
	v_fmac_f32_e32 v59, v13, v15
	v_fmac_f32_e32 v35, v14, v17
	v_lshrrev_b32_e32 v14, 16, v20
	v_and_b32_e32 v13, 0xffff, v20
	v_and_b32_e32 v15, 0xffff, v16
	;;#ASMSTART
	v_cvt_f32_f16 v13, v13;
	;;#ASMEND
	;;#ASMSTART
	v_cvt_f32_f16 v14, v14;
	;;#ASMEND
	v_lshrrev_b32_e32 v17, 16, v16
	;;#ASMSTART
	v_cvt_f32_f16 v15, v15;
	;;#ASMEND
	;;#ASMSTART
	v_cvt_f32_f16 v16, v17;
	;;#ASMEND
	v_fmac_f32_e32 v60, v13, v15
	v_fmac_f32_e32 v36, v14, v16
	ds_read_b128 v[13:16], v47 offset:112
	s_waitcnt vmcnt(2)
	v_lshrrev_b32_e32 v18, 16, v9
	v_and_b32_e32 v9, 0xffff, v9
	v_fmac_f32_e32 v57, v21, v22
	s_waitcnt lgkmcnt(0)
	v_lshrrev_b32_e32 v17, 16, v13
	v_and_b32_e32 v13, 0xffff, v13
	;;#ASMSTART
	v_cvt_f32_f16 v13, v13;
	;;#ASMEND
	;;#ASMSTART
	v_cvt_f32_f16 v17, v17;
	;;#ASMEND
	;; [unrolled: 3-line block ×3, first 2 shown]
	v_fmac_f32_e32 v33, v13, v9
	v_lshrrev_b32_e32 v13, 16, v14
	v_and_b32_e32 v9, 0xffff, v14
	v_lshrrev_b32_e32 v14, 16, v10
	v_and_b32_e32 v10, 0xffff, v10
	;;#ASMSTART
	v_cvt_f32_f16 v18, v18;
	;;#ASMEND
	;;#ASMSTART
	v_cvt_f32_f16 v9, v9;
	;;#ASMEND
	;; [unrolled: 3-line block ×5, first 2 shown]
	v_fmac_f32_e32 v58, v9, v10
	v_fmac_f32_e32 v34, v13, v14
	v_lshrrev_b32_e32 v10, 16, v15
	v_and_b32_e32 v9, 0xffff, v15
	v_lshrrev_b32_e32 v13, 16, v11
	v_and_b32_e32 v11, 0xffff, v11
	;;#ASMSTART
	v_cvt_f32_f16 v9, v9;
	;;#ASMEND
	;;#ASMSTART
	v_cvt_f32_f16 v10, v10;
	;;#ASMEND
	;; [unrolled: 3-line block ×4, first 2 shown]
	v_fmac_f32_e32 v59, v9, v11
	v_fmac_f32_e32 v35, v10, v13
	v_lshrrev_b32_e32 v10, 16, v16
	v_and_b32_e32 v9, 0xffff, v16
	v_and_b32_e32 v11, 0xffff, v12
	;;#ASMSTART
	v_cvt_f32_f16 v9, v9;
	;;#ASMEND
	;;#ASMSTART
	v_cvt_f32_f16 v10, v10;
	;;#ASMEND
	v_lshrrev_b32_e32 v13, 16, v12
	;;#ASMSTART
	v_cvt_f32_f16 v11, v11;
	;;#ASMEND
	;;#ASMSTART
	v_cvt_f32_f16 v12, v13;
	;;#ASMEND
	v_fmac_f32_e32 v60, v9, v11
	v_fmac_f32_e32 v36, v10, v12
	ds_read_b128 v[9:12], v47 offset:128
	s_waitcnt vmcnt(1)
	v_lshrrev_b32_e32 v14, 16, v5
	v_and_b32_e32 v5, 0xffff, v5
	v_fmac_f32_e32 v57, v17, v18
	s_waitcnt lgkmcnt(0)
	v_lshrrev_b32_e32 v13, 16, v9
	v_and_b32_e32 v9, 0xffff, v9
	;;#ASMSTART
	v_cvt_f32_f16 v9, v9;
	;;#ASMEND
	;;#ASMSTART
	v_cvt_f32_f16 v13, v13;
	;;#ASMEND
	;; [unrolled: 3-line block ×3, first 2 shown]
	v_fmac_f32_e32 v33, v9, v5
	v_lshrrev_b32_e32 v9, 16, v10
	v_and_b32_e32 v5, 0xffff, v10
	v_lshrrev_b32_e32 v10, 16, v6
	v_and_b32_e32 v6, 0xffff, v6
	;;#ASMSTART
	v_cvt_f32_f16 v14, v14;
	;;#ASMEND
	;;#ASMSTART
	v_cvt_f32_f16 v5, v5;
	;;#ASMEND
	;; [unrolled: 3-line block ×5, first 2 shown]
	v_fmac_f32_e32 v58, v5, v6
	v_fmac_f32_e32 v34, v9, v10
	v_lshrrev_b32_e32 v6, 16, v11
	v_and_b32_e32 v5, 0xffff, v11
	v_lshrrev_b32_e32 v9, 16, v7
	v_and_b32_e32 v7, 0xffff, v7
	;;#ASMSTART
	v_cvt_f32_f16 v5, v5;
	;;#ASMEND
	;;#ASMSTART
	v_cvt_f32_f16 v6, v6;
	;;#ASMEND
	;; [unrolled: 3-line block ×4, first 2 shown]
	v_fmac_f32_e32 v59, v5, v7
	v_fmac_f32_e32 v35, v6, v9
	v_lshrrev_b32_e32 v6, 16, v12
	v_and_b32_e32 v5, 0xffff, v12
	v_and_b32_e32 v7, 0xffff, v8
	;;#ASMSTART
	v_cvt_f32_f16 v5, v5;
	;;#ASMEND
	;;#ASMSTART
	v_cvt_f32_f16 v6, v6;
	;;#ASMEND
	v_lshrrev_b32_e32 v9, 16, v8
	;;#ASMSTART
	v_cvt_f32_f16 v7, v7;
	;;#ASMEND
	;;#ASMSTART
	v_cvt_f32_f16 v8, v9;
	;;#ASMEND
	v_fmac_f32_e32 v60, v5, v7
	v_fmac_f32_e32 v36, v6, v8
	ds_read_b128 v[5:8], v47 offset:144
	v_fmac_f32_e32 v57, v13, v14
	s_waitcnt vmcnt(0)
	v_lshrrev_b32_e32 v10, 16, v1
	v_and_b32_e32 v1, 0xffff, v1
	s_waitcnt lgkmcnt(0)
	v_lshrrev_b32_e32 v9, 16, v5
	v_and_b32_e32 v5, 0xffff, v5
	;;#ASMSTART
	v_cvt_f32_f16 v5, v5;
	;;#ASMEND
	;;#ASMSTART
	v_cvt_f32_f16 v9, v9;
	;;#ASMEND
	;; [unrolled: 3-line block ×3, first 2 shown]
	v_fmac_f32_e32 v33, v5, v1
	v_and_b32_e32 v1, 0xffff, v6
	;;#ASMSTART
	v_cvt_f32_f16 v10, v10;
	;;#ASMEND
	v_fmac_f32_e32 v57, v9, v10
	v_lshrrev_b32_e32 v5, 16, v6
	;;#ASMSTART
	v_cvt_f32_f16 v1, v1;
	;;#ASMEND
	v_lshrrev_b32_e32 v6, 16, v2
	v_and_b32_e32 v2, 0xffff, v2
	;;#ASMSTART
	v_cvt_f32_f16 v5, v5;
	;;#ASMEND
	;;#ASMSTART
	v_cvt_f32_f16 v2, v2;
	;;#ASMEND
	v_fmac_f32_e32 v58, v1, v2
	v_and_b32_e32 v1, 0xffff, v7
	;;#ASMSTART
	v_cvt_f32_f16 v6, v6;
	;;#ASMEND
	v_fmac_f32_e32 v34, v5, v6
	v_lshrrev_b32_e32 v2, 16, v7
	;;#ASMSTART
	v_cvt_f32_f16 v1, v1;
	;;#ASMEND
	v_lshrrev_b32_e32 v5, 16, v3
	v_and_b32_e32 v3, 0xffff, v3
	;;#ASMSTART
	v_cvt_f32_f16 v2, v2;
	;;#ASMEND
	;;#ASMSTART
	v_cvt_f32_f16 v3, v3;
	;;#ASMEND
	v_fmac_f32_e32 v59, v1, v3
	v_and_b32_e32 v1, 0xffff, v8
	;;#ASMSTART
	v_cvt_f32_f16 v5, v5;
	;;#ASMEND
	v_fmac_f32_e32 v35, v2, v5
	v_lshrrev_b32_e32 v2, 16, v8
	;;#ASMSTART
	v_cvt_f32_f16 v1, v1;
	;;#ASMEND
	v_and_b32_e32 v3, 0xffff, v4
	;;#ASMSTART
	v_cvt_f32_f16 v2, v2;
	;;#ASMEND
	;;#ASMSTART
	v_cvt_f32_f16 v3, v3;
	;;#ASMEND
	v_fmac_f32_e32 v60, v1, v3
	v_add_f32_e32 v1, v33, v57
	v_lshrrev_b32_e32 v5, 16, v4
	;;#ASMSTART
	v_cvt_f32_f16 v4, v5;
	;;#ASMEND
	v_fmac_f32_e32 v36, v2, v4
	v_add_f32_e32 v1, v1, v58
	v_add_f32_e32 v1, v34, v1
	;; [unrolled: 1-line block ×6, first 2 shown]
	v_fmac_f32_e32 v56, s3, v1
	v_cndmask_b32_e64 v1, 0, v56, s1
	ds_write_b32 v51, v1
	v_max_f32_e32 v1, v46, v46
	v_max_f32_e32 v1, v1, v56
	v_cndmask_b32_e64 v46, v46, v1, s1
	s_branch .LBB110_11
.LBB110_16:
	s_or_b32 exec_lo, exec_lo, s15
.LBB110_17:
	s_or_b32 exec_lo, exec_lo, s41
	v_mbcnt_lo_u32_b32 v1, -1, 0
	v_max_f32_e32 v5, v46, v46
	v_xor_b32_e32 v2, 16, v1
	v_xor_b32_e32 v4, 8, v1
	v_cmp_gt_i32_e32 vcc_lo, 32, v2
	v_cndmask_b32_e32 v2, v1, v2, vcc_lo
	v_cmp_gt_i32_e32 vcc_lo, 32, v4
	v_lshlrev_b32_e32 v2, 2, v2
	v_cndmask_b32_e32 v4, v1, v4, vcc_lo
	ds_bpermute_b32 v3, v2, v46
	s_waitcnt lgkmcnt(0)
	v_max_f32_e32 v6, v3, v3
	v_lshlrev_b32_e32 v3, 2, v4
	v_max_f32_e32 v4, v5, v6
	v_xor_b32_e32 v6, 4, v1
	ds_bpermute_b32 v5, v3, v4
	v_cmp_gt_i32_e32 vcc_lo, 32, v6
	v_cndmask_b32_e32 v6, v1, v6, vcc_lo
	s_waitcnt lgkmcnt(0)
	v_max_f32_e32 v7, v5, v5
	v_lshlrev_b32_e32 v5, 2, v6
	v_max_f32_e32 v4, v4, v7
	v_xor_b32_e32 v7, 2, v1
	ds_bpermute_b32 v6, v5, v4
	v_cmp_gt_i32_e32 vcc_lo, 32, v7
	v_cndmask_b32_e32 v7, v1, v7, vcc_lo
	v_lshlrev_b32_e32 v12, 2, v7
	v_xor_b32_e32 v7, 1, v1
	v_cmp_gt_i32_e32 vcc_lo, 32, v7
	s_waitcnt lgkmcnt(0)
	v_max_f32_e32 v6, v6, v6
	v_cndmask_b32_e32 v7, v1, v7, vcc_lo
	v_cmp_eq_u32_e32 vcc_lo, 0, v42
	v_max_f32_e32 v4, v4, v6
	v_lshlrev_b32_e32 v11, 2, v7
	ds_bpermute_b32 v6, v12, v4
	s_waitcnt lgkmcnt(0)
	v_max_f32_e32 v6, v6, v6
	v_max_f32_e32 v1, v4, v6
	v_lshlrev_b32_e32 v6, 2, v41
	ds_bpermute_b32 v4, v11, v1
	s_and_saveexec_b32 s1, vcc_lo
	s_cbranch_execz .LBB110_19
; %bb.18:
	s_waitcnt lgkmcnt(0)
	v_max_f32_e32 v4, v4, v4
	v_max_f32_e32 v1, v1, v1
	;; [unrolled: 1-line block ×3, first 2 shown]
	ds_write_b32 v6, v1 offset:160
.LBB110_19:
	s_or_b32 exec_lo, exec_lo, s1
	v_cmp_gt_u32_e64 s1, 4, v42
	v_mov_b32_e32 v1, 0xff7fffff
	s_waitcnt lgkmcnt(0)
	s_barrier
	buffer_gl0_inv
	s_and_saveexec_b32 s2, s1
; %bb.20:
	ds_read_b32 v1, v45 offset:160
; %bb.21:
	s_or_b32 exec_lo, exec_lo, s2
	s_waitcnt lgkmcnt(0)
	ds_bpermute_b32 v4, v12, v1
	v_max_f32_e32 v1, v1, v1
	v_mov_b32_e32 v7, 0
	s_sub_i32 s2, s16, s40
	s_lshl_b32 s2, s2, 5
	s_add_i32 s2, s2, s37
	s_min_i32 s2, s2, s27
	s_sub_i32 s4, s2, s37
	v_cmp_gt_i32_e64 s2, s4, v0
	s_waitcnt lgkmcnt(0)
	v_max_f32_e32 v4, v4, v4
	v_max_f32_e32 v1, v1, v4
	ds_bpermute_b32 v4, v11, v1
	s_waitcnt lgkmcnt(0)
	v_max_f32_e32 v4, v4, v4
	v_max_f32_e32 v1, v1, v4
	v_lshl_add_u32 v4, v0, 2, 0xc0
	ds_bpermute_b32 v1, v7, v1
	s_and_saveexec_b32 s5, s2
	s_cbranch_execz .LBB110_25
; %bb.22:
	v_lshl_add_u32 v8, v0, 2, 0xc0
	v_mov_b32_e32 v7, 0
	v_mov_b32_e32 v9, v0
	s_mov_b32 s15, 0
	.p2align	6
.LBB110_23:                             ; =>This Inner Loop Header: Depth=1
	ds_read_b32 v10, v8
	v_add_nc_u32_e32 v9, 0x80, v9
	v_cmp_le_i32_e64 s3, s4, v9
	s_or_b32 s15, s3, s15
	s_waitcnt lgkmcnt(0)
	v_sub_f32_e32 v10, v10, v1
	v_mul_f32_e32 v10, 0x3fb8aa3b, v10
	v_exp_f32_e32 v10, v10
	ds_write_b32 v8, v10
	v_add_f32_e32 v7, v7, v10
	v_add_nc_u32_e32 v8, 0x200, v8
	s_andn2_b32 exec_lo, exec_lo, s15
	s_cbranch_execnz .LBB110_23
; %bb.24:
	s_or_b32 exec_lo, exec_lo, s15
.LBB110_25:
	s_or_b32 exec_lo, exec_lo, s5
	ds_bpermute_b32 v2, v2, v7
	s_waitcnt lgkmcnt(0)
	v_add_f32_e32 v2, v7, v2
	ds_bpermute_b32 v3, v3, v2
	s_waitcnt lgkmcnt(0)
	v_add_f32_e32 v2, v2, v3
	;; [unrolled: 3-line block ×5, first 2 shown]
	s_and_saveexec_b32 s3, vcc_lo
; %bb.26:
	ds_write_b32 v6, v2 offset:176
; %bb.27:
	s_or_b32 exec_lo, exec_lo, s3
	s_waitcnt lgkmcnt(0)
	s_barrier
	buffer_gl0_inv
	s_and_saveexec_b32 s3, s1
; %bb.28:
	ds_read_b32 v2, v45 offset:176
; %bb.29:
	s_or_b32 exec_lo, exec_lo, s3
	s_waitcnt lgkmcnt(0)
	ds_bpermute_b32 v3, v12, v2
	s_waitcnt lgkmcnt(0)
	v_add_f32_e32 v2, v2, v3
	ds_bpermute_b32 v3, v11, v2
	s_waitcnt lgkmcnt(0)
	v_add_f32_e32 v2, v2, v3
	v_mov_b32_e32 v3, 0
	ds_bpermute_b32 v2, v3, v2
	s_and_saveexec_b32 s1, s2
	s_cbranch_execz .LBB110_32
; %bb.30:
	s_waitcnt lgkmcnt(0)
	v_add_f32_e32 v3, 0x358637bd, v2
	s_mov_b32 s2, 0
	v_div_scale_f32 v5, null, v3, v3, 1.0
	v_div_scale_f32 v8, vcc_lo, 1.0, v3, 1.0
	v_rcp_f32_e32 v6, v5
	v_fma_f32 v7, -v5, v6, 1.0
	v_fmac_f32_e32 v6, v7, v6
	v_mul_f32_e32 v7, v8, v6
	v_fma_f32 v9, -v5, v7, v8
	v_fmac_f32_e32 v7, v9, v6
	v_fma_f32 v5, -v5, v7, v8
	v_div_fmas_f32 v5, v5, v6, v7
	v_div_fixup_f32 v3, v5, v3, 1.0
	v_mov_b32_e32 v5, v0
.LBB110_31:                             ; =>This Inner Loop Header: Depth=1
	ds_read_b32 v6, v4
	v_add_nc_u32_e32 v5, 0x80, v5
	v_cmp_le_i32_e32 vcc_lo, s4, v5
	s_or_b32 s2, vcc_lo, s2
	s_waitcnt lgkmcnt(0)
	v_mul_f32_e32 v6, v3, v6
	ds_write_b32 v4, v6
	v_add_nc_u32_e32 v4, 0x200, v4
	s_andn2_b32 exec_lo, exec_lo, s2
	s_cbranch_execnz .LBB110_31
.LBB110_32:
	s_or_b32 exec_lo, exec_lo, s1
	s_mul_i32 s1, s7, s26
	s_waitcnt lgkmcnt(0)
	s_mul_i32 s2, s1, s9
	s_mov_b32 s1, exec_lo
	s_barrier
	buffer_gl0_inv
	v_cmpx_eq_u32_e32 0, v0
	s_cbranch_execz .LBB110_34
; %bb.33:
	s_ashr_i32 s3, s2, 31
	s_mul_i32 s40, s7, s6
	s_lshl_b64 s[4:5], s[2:3], 2
	v_mov_b32_e32 v3, 0
	s_add_u32 s3, s22, s4
	s_addc_u32 s6, s23, s5
	s_ashr_i32 s41, s40, 31
	s_lshl_b64 s[22:23], s[40:41], 2
	s_add_u32 s3, s3, s22
	s_addc_u32 s6, s6, s23
	s_ashr_i32 s9, s8, 31
	s_lshl_b64 s[40:41], s[8:9], 2
	s_add_u32 s42, s3, s40
	s_addc_u32 s43, s6, s41
	s_add_u32 s3, s20, s4
	s_addc_u32 s4, s21, s5
	;; [unrolled: 2-line block ×4, first 2 shown]
	global_store_dword v3, v1, s[42:43]
	global_store_dword v3, v2, s[4:5]
.LBB110_34:
	s_or_b32 exec_lo, exec_lo, s1
	v_mov_b32_e32 v23, 0
	v_and_b32_e32 v13, 3, v0
	v_mov_b32_e32 v22, 0
	v_mov_b32_e32 v21, 0
	;; [unrolled: 1-line block ×9, first 2 shown]
	s_and_saveexec_b32 s3, s0
	s_cbranch_execz .LBB110_60
; %bb.35:
	s_ashr_i32 s15, s14, 31
	s_sub_i32 s4, s38, s17
	s_lshl_b64 s[0:1], s[14:15], 1
	v_lshlrev_b32_e32 v4, 3, v0
	s_add_u32 s6, s34, s0
	s_addc_u32 s9, s35, s1
	s_abs_i32 s5, s18
	v_lshlrev_b32_e32 v6, 5, v13
	v_cvt_f32_u32_e32 v1, s5
	s_sub_i32 s0, 0, s5
	v_and_b32_e32 v25, 24, v4
	v_and_b32_e32 v5, 0x1f0, v44
	s_add_i32 s36, s36, -1
	v_rcp_iflag_f32_e32 v3, v1
	v_lshlrev_b64 v[1:2], 2, v[37:38]
	v_lshl_or_b32 v6, v41, 7, v6
	v_add_co_u32 v26, s6, s6, v5
	v_mov_b32_e32 v24, 0
	v_mov_b32_e32 v14, 0
	;; [unrolled: 1-line block ×5, first 2 shown]
	v_mul_f32_e32 v3, 0x4f7ffffe, v3
	v_mov_b32_e32 v18, 0
	v_mov_b32_e32 v19, 0
	;; [unrolled: 1-line block ×4, first 2 shown]
	v_cvt_u32_f32_e32 v3, v3
	v_mov_b32_e32 v22, 0
	v_add_co_ci_u32_e64 v27, null, s9, 0, s6
	v_add_nc_u32_e32 v28, 0xc0, v6
	v_mul_lo_u32 v4, s0, v3
	s_lshl_b64 s[0:1], s[30:31], 2
	v_mov_b32_e32 v23, 0
	s_add_u32 s0, s28, s0
	s_addc_u32 s1, s29, s1
	v_add_co_u32 v5, vcc_lo, s0, v1
	v_add_co_ci_u32_e64 v6, null, s1, v2, vcc_lo
	v_mul_hi_u32 v4, v3, v4
	s_mov_b32 s9, s13
	s_mov_b32 s6, 0
	v_add_nc_u32_e32 v29, v3, v4
	s_branch .LBB110_38
.LBB110_36:                             ;   in Loop: Header=BB110_38 Depth=1
	s_or_b32 exec_lo, exec_lo, s1
	v_add_f32_e32 v9, v9, v10
	v_add_f32_e32 v10, v58, v59
	v_lshlrev_b32_e32 v8, 16, v8
	v_lshlrev_b32_e32 v7, 16, v7
	v_add_f32_e32 v30, v61, v62
	v_add_f32_e32 v16, v16, v9
	;; [unrolled: 1-line block ×3, first 2 shown]
	v_lshlrev_b32_e32 v10, 16, v60
	v_and_or_b32 v2, 0xffff, v2, v8
	v_and_or_b32 v3, 0xffff, v3, v7
	v_add_f32_e32 v15, v15, v30
	v_add_f32_e32 v9, v56, v57
	v_and_or_b32 v1, 0xffff, v1, v10
	;;#ASMSTART
	v_pk_mul_f16 v1, v40, v1;

	;;#ASMEND
	;;#ASMSTART
	v_pk_mul_f16 v2, v39, v2;

	;;#ASMEND
	;; [unrolled: 4-line block ×4, first 2 shown]
	;;#ASMSTART
	v_pk_add_f16 v1, v1, v2;

	;;#ASMEND
	;;#ASMSTART
	v_pk_add_f16 v1, v1, v3;

	;;#ASMEND
	;; [unrolled: 4-line block ×3, first 2 shown]
	v_and_b32_e32 v4, 0xffff, v1
	v_lshrrev_b32_e32 v8, 16, v1
	;;#ASMSTART
	v_cvt_f32_f16 v4, v4;
	;;#ASMEND
	v_add_f32_e32 v30, v54, v55
	v_add_f32_e32 v7, v52, v53
	;; [unrolled: 1-line block ×5, first 2 shown]
	;;#ASMSTART
	v_cvt_f32_f16 v8, v8;
	;;#ASMEND
	v_add_f32_e32 v4, v4, v8
	v_add_f32_e32 v18, v18, v9
	;; [unrolled: 1-line block ×8, first 2 shown]
.LBB110_37:                             ;   in Loop: Header=BB110_38 Depth=1
	s_or_b32 exec_lo, exec_lo, s13
	v_add_nc_u32_e32 v37, 4, v37
	v_add_co_u32 v5, s0, v5, 16
	v_add_co_ci_u32_e64 v6, null, 0, v6, s0
	v_cmp_le_i32_e32 vcc_lo, s16, v37
	v_add_nc_u32_e32 v43, 0x80, v43
	v_add_nc_u32_e32 v28, 0x200, v28
	s_or_b32 s6, vcc_lo, s6
	s_andn2_b32 exec_lo, exec_lo, s6
	s_cbranch_execz .LBB110_59
.LBB110_38:                             ; =>This Inner Loop Header: Depth=1
	v_sub_nc_u32_e32 v1, 0, v43
	v_max_i32_e32 v1, v43, v1
	v_mul_hi_u32 v2, v1, s12
	v_mul_lo_u32 v3, v2, s11
	v_sub_nc_u32_e32 v1, v1, v3
	v_add_nc_u32_e32 v3, 1, v2
	v_subrev_nc_u32_e32 v4, s11, v1
	v_cmp_le_u32_e32 vcc_lo, s11, v1
	v_cndmask_b32_e32 v2, v2, v3, vcc_lo
	v_cndmask_b32_e32 v1, v1, v4, vcc_lo
	v_ashrrev_i32_e32 v3, 31, v43
	v_add_nc_u32_e32 v4, 1, v2
	v_cmp_le_u32_e32 vcc_lo, s11, v1
	v_xor_b32_e32 v3, s19, v3
	v_cndmask_b32_e32 v1, v2, v4, vcc_lo
	v_xor_b32_e32 v1, v1, v3
	v_sub_nc_u32_e32 v1, v1, v3
	v_add_nc_u32_e32 v2, s33, v1
	v_cmp_lt_i32_e64 s0, s4, v1
	v_sub_nc_u32_e32 v3, 0, v2
	v_max_i32_e32 v3, v2, v3
	v_ashrrev_i32_e32 v2, 31, v2
	v_mul_hi_u32 v4, v3, v29
	v_mul_lo_u32 v4, v4, s5
	v_sub_nc_u32_e32 v3, v3, v4
	v_subrev_nc_u32_e32 v4, s5, v3
	v_cmp_le_u32_e32 vcc_lo, s5, v3
	v_cndmask_b32_e32 v3, v3, v4, vcc_lo
	v_subrev_nc_u32_e32 v4, s5, v3
	v_cmp_le_u32_e32 vcc_lo, s5, v3
	v_cndmask_b32_e32 v3, v3, v4, vcc_lo
	v_xor_b32_e32 v3, v3, v2
	v_sub_nc_u32_e32 v2, v3, v2
	v_cmp_eq_u32_e32 vcc_lo, 0, v2
	s_or_b32 s0, vcc_lo, s0
	s_and_saveexec_b32 s13, s0
	s_cbranch_execz .LBB110_37
; %bb.39:                               ;   in Loop: Header=BB110_38 Depth=1
	global_load_dword v7, v[5:6], off
	ds_read2_b64 v[1:4], v28 offset1:1
	ds_read2_b64 v[30:33], v28 offset0:2 offset1:3
	v_add_nc_u32_e32 v35, v25, v43
	v_cmp_eq_u32_e64 s0, s36, v37
	s_waitcnt lgkmcnt(1)
	;;#ASMSTART
	v_cvt_f16_f32 v40, v1;

	;;#ASMEND
	;;#ASMSTART
	v_cvt_f16_f32 v39, v2;

	;;#ASMEND
	;; [unrolled: 4-line block ×4, first 2 shown]
	s_waitcnt lgkmcnt(0)
	;;#ASMSTART
	v_cvt_f16_f32 v47, v30;

	;;#ASMEND
	;;#ASMSTART
	v_cvt_f16_f32 v10, v31;

	;;#ASMEND
	;; [unrolled: 4-line block ×4, first 2 shown]
	v_add_nc_u32_e32 v38, 1, v35
	v_add_nc_u32_e32 v34, 2, v35
	;; [unrolled: 1-line block ×7, first 2 shown]
	s_waitcnt vmcnt(0)
	v_mad_i64_i32 v[7:8], null, v7, s9, 0
	v_lshlrev_b64 v[7:8], 1, v[7:8]
	v_add_co_u32 v7, vcc_lo, v26, v7
	v_add_co_ci_u32_e64 v8, null, v27, v8, vcc_lo
	global_load_dwordx4 v[1:4], v[7:8], off
	s_waitcnt vmcnt(0)
	v_lshrrev_b32_e32 v50, 16, v1
	v_lshrrev_b32_e32 v49, 16, v2
	;; [unrolled: 1-line block ×3, first 2 shown]
	s_and_saveexec_b32 s14, s0
	s_cbranch_execz .LBB110_41
; %bb.40:                               ;   in Loop: Header=BB110_38 Depth=1
	v_cmp_gt_i32_e32 vcc_lo, s27, v35
	v_and_b32_e32 v51, 0xffff0000, v4
	v_cmp_gt_i32_e64 s1, s27, v34
	v_cndmask_b32_e32 v1, 0, v1, vcc_lo
	v_cmp_gt_i32_e32 vcc_lo, s27, v38
	v_cndmask_b32_e64 v2, 0, v2, s1
	v_cmp_gt_i32_e64 s1, s27, v33
	v_cndmask_b32_e32 v50, 0, v50, vcc_lo
	v_cmp_gt_i32_e32 vcc_lo, s27, v36
	v_cndmask_b32_e64 v49, 0, v49, s1
	v_cndmask_b32_sdwa v4, v24, v4, vcc_lo dst_sel:DWORD dst_unused:UNUSED_PAD src0_sel:DWORD src1_sel:WORD_0
	v_cmp_gt_i32_e32 vcc_lo, s27, v32
	v_cndmask_b32_e32 v51, 0, v51, vcc_lo
	v_cmp_gt_i32_e32 vcc_lo, s27, v31
	v_or_b32_e32 v4, v4, v51
	v_cndmask_b32_e32 v3, 0, v3, vcc_lo
	v_cmp_gt_i32_e32 vcc_lo, s27, v30
	v_cndmask_b32_e32 v48, 0, v48, vcc_lo
.LBB110_41:                             ;   in Loop: Header=BB110_38 Depth=1
	s_or_b32 exec_lo, exec_lo, s14
	v_and_b32_e32 v40, 0xffff, v40
	v_and_b32_e32 v46, 0xffff, v46
	v_lshlrev_b32_e32 v50, 16, v50
	v_lshlrev_b32_e32 v48, 16, v48
	v_and_b32_e32 v47, 0xffff, v47
	v_lshl_or_b32 v40, v39, 16, v40
	v_lshl_or_b32 v39, v44, 16, v46
	v_lshlrev_b32_e32 v44, 16, v49
	v_and_b32_e32 v45, 0xffff, v45
	v_and_or_b32 v1, 0xffff, v1, v50
	v_and_or_b32 v3, 0xffff, v3, v48
	;;#ASMSTART
	v_pk_mul_f16 v1, v40, v1;

	;;#ASMEND
	v_and_or_b32 v2, 0xffff, v2, v44
	v_lshl_or_b32 v46, v10, 16, v47
	v_lshl_or_b32 v47, v9, 16, v45
	;;#ASMSTART
	v_pk_mul_f16 v2, v39, v2;

	;;#ASMEND
	;;#ASMSTART
	v_pk_mul_f16 v3, v46, v3;

	;;#ASMEND
	;; [unrolled: 4-line block ×3, first 2 shown]
	;;#ASMSTART
	v_pk_add_f16 v1, v1, v2;

	;;#ASMEND
	;;#ASMSTART
	v_pk_add_f16 v1, v1, v3;

	;;#ASMEND
	;; [unrolled: 4-line block ×3, first 2 shown]
	v_and_b32_e32 v2, 0xffff, v1
	v_lshrrev_b32_e32 v1, 16, v1
	;;#ASMSTART
	v_cvt_f32_f16 v44, v2;
	;;#ASMEND
	;;#ASMSTART
	v_cvt_f32_f16 v45, v1;
	;;#ASMEND
	global_load_dwordx4 v[1:4], v[7:8], off offset:512
	s_waitcnt vmcnt(0)
	v_lshrrev_b32_e32 v48, 16, v1
	v_lshrrev_b32_e32 v10, 16, v2
	v_lshrrev_b32_e32 v9, 16, v3
	s_and_saveexec_b32 s14, s0
	s_cbranch_execz .LBB110_43
; %bb.42:                               ;   in Loop: Header=BB110_38 Depth=1
	v_cmp_gt_i32_e32 vcc_lo, s27, v35
	v_and_b32_e32 v49, 0xffff0000, v4
	v_cmp_gt_i32_e64 s1, s27, v34
	v_cndmask_b32_e32 v1, 0, v1, vcc_lo
	v_cmp_gt_i32_e32 vcc_lo, s27, v38
	v_cndmask_b32_e64 v2, 0, v2, s1
	v_cmp_gt_i32_e64 s1, s27, v33
	v_cndmask_b32_e32 v48, 0, v48, vcc_lo
	v_cmp_gt_i32_e32 vcc_lo, s27, v36
	v_cndmask_b32_e64 v10, 0, v10, s1
	v_cndmask_b32_sdwa v4, v24, v4, vcc_lo dst_sel:DWORD dst_unused:UNUSED_PAD src0_sel:DWORD src1_sel:WORD_0
	v_cmp_gt_i32_e32 vcc_lo, s27, v32
	v_cndmask_b32_e32 v49, 0, v49, vcc_lo
	v_cmp_gt_i32_e32 vcc_lo, s27, v31
	v_or_b32_e32 v4, v4, v49
	v_cndmask_b32_e32 v3, 0, v3, vcc_lo
	v_cmp_gt_i32_e32 vcc_lo, s27, v30
	v_cndmask_b32_e32 v9, 0, v9, vcc_lo
.LBB110_43:                             ;   in Loop: Header=BB110_38 Depth=1
	s_or_b32 exec_lo, exec_lo, s14
	v_lshlrev_b32_e32 v48, 16, v48
	v_lshlrev_b32_e32 v10, 16, v10
	;; [unrolled: 1-line block ×3, first 2 shown]
	v_and_or_b32 v1, 0xffff, v1, v48
	v_and_or_b32 v2, 0xffff, v2, v10
	;; [unrolled: 1-line block ×3, first 2 shown]
	;;#ASMSTART
	v_pk_mul_f16 v1, v40, v1;

	;;#ASMEND
	;;#ASMSTART
	v_pk_mul_f16 v2, v39, v2;

	;;#ASMEND
	;; [unrolled: 4-line block ×4, first 2 shown]
	;;#ASMSTART
	v_pk_add_f16 v1, v1, v2;

	;;#ASMEND
	;;#ASMSTART
	v_pk_add_f16 v1, v1, v3;

	;;#ASMEND
	;; [unrolled: 4-line block ×3, first 2 shown]
	v_and_b32_e32 v2, 0xffff, v1
	v_lshrrev_b32_e32 v1, 16, v1
	;;#ASMSTART
	v_cvt_f32_f16 v48, v2;
	;;#ASMEND
	;;#ASMSTART
	v_cvt_f32_f16 v49, v1;
	;;#ASMEND
	global_load_dwordx4 v[1:4], v[7:8], off offset:1024
	s_waitcnt vmcnt(0)
	v_lshrrev_b32_e32 v50, 16, v1
	v_lshrrev_b32_e32 v10, 16, v2
	;; [unrolled: 1-line block ×3, first 2 shown]
	s_and_saveexec_b32 s14, s0
	s_cbranch_execz .LBB110_45
; %bb.44:                               ;   in Loop: Header=BB110_38 Depth=1
	v_cmp_gt_i32_e32 vcc_lo, s27, v35
	v_and_b32_e32 v51, 0xffff0000, v4
	v_cmp_gt_i32_e64 s1, s27, v34
	v_cndmask_b32_e32 v1, 0, v1, vcc_lo
	v_cmp_gt_i32_e32 vcc_lo, s27, v38
	v_cndmask_b32_e64 v2, 0, v2, s1
	v_cmp_gt_i32_e64 s1, s27, v33
	v_cndmask_b32_e32 v50, 0, v50, vcc_lo
	v_cmp_gt_i32_e32 vcc_lo, s27, v36
	v_cndmask_b32_e64 v10, 0, v10, s1
	v_cndmask_b32_sdwa v4, v24, v4, vcc_lo dst_sel:DWORD dst_unused:UNUSED_PAD src0_sel:DWORD src1_sel:WORD_0
	v_cmp_gt_i32_e32 vcc_lo, s27, v32
	v_cndmask_b32_e32 v51, 0, v51, vcc_lo
	v_cmp_gt_i32_e32 vcc_lo, s27, v31
	v_or_b32_e32 v4, v4, v51
	v_cndmask_b32_e32 v3, 0, v3, vcc_lo
	v_cmp_gt_i32_e32 vcc_lo, s27, v30
	v_cndmask_b32_e32 v9, 0, v9, vcc_lo
.LBB110_45:                             ;   in Loop: Header=BB110_38 Depth=1
	s_or_b32 exec_lo, exec_lo, s14
	v_lshlrev_b32_e32 v50, 16, v50
	v_lshlrev_b32_e32 v10, 16, v10
	;; [unrolled: 1-line block ×3, first 2 shown]
	v_and_or_b32 v1, 0xffff, v1, v50
	v_and_or_b32 v2, 0xffff, v2, v10
	;; [unrolled: 1-line block ×3, first 2 shown]
	;;#ASMSTART
	v_pk_mul_f16 v1, v40, v1;

	;;#ASMEND
	;;#ASMSTART
	v_pk_mul_f16 v2, v39, v2;

	;;#ASMEND
	;; [unrolled: 4-line block ×4, first 2 shown]
	;;#ASMSTART
	v_pk_add_f16 v1, v1, v2;

	;;#ASMEND
	;;#ASMSTART
	v_pk_add_f16 v1, v1, v3;

	;;#ASMEND
	;; [unrolled: 4-line block ×3, first 2 shown]
	v_and_b32_e32 v2, 0xffff, v1
	v_lshrrev_b32_e32 v1, 16, v1
	;;#ASMSTART
	v_cvt_f32_f16 v50, v2;
	;;#ASMEND
	;;#ASMSTART
	v_cvt_f32_f16 v51, v1;
	;;#ASMEND
	global_load_dwordx4 v[1:4], v[7:8], off offset:1536
	s_waitcnt vmcnt(0)
	v_lshrrev_b32_e32 v52, 16, v1
	v_lshrrev_b32_e32 v10, 16, v2
	v_lshrrev_b32_e32 v9, 16, v3
	s_and_saveexec_b32 s14, s0
	s_cbranch_execz .LBB110_47
; %bb.46:                               ;   in Loop: Header=BB110_38 Depth=1
	v_cmp_gt_i32_e32 vcc_lo, s27, v35
	v_and_b32_e32 v53, 0xffff0000, v4
	v_cmp_gt_i32_e64 s1, s27, v34
	v_cndmask_b32_e32 v1, 0, v1, vcc_lo
	v_cmp_gt_i32_e32 vcc_lo, s27, v38
	v_cndmask_b32_e64 v2, 0, v2, s1
	v_cmp_gt_i32_e64 s1, s27, v33
	v_cndmask_b32_e32 v52, 0, v52, vcc_lo
	v_cmp_gt_i32_e32 vcc_lo, s27, v36
	v_cndmask_b32_e64 v10, 0, v10, s1
	v_cndmask_b32_sdwa v4, v24, v4, vcc_lo dst_sel:DWORD dst_unused:UNUSED_PAD src0_sel:DWORD src1_sel:WORD_0
	v_cmp_gt_i32_e32 vcc_lo, s27, v32
	v_cndmask_b32_e32 v53, 0, v53, vcc_lo
	v_cmp_gt_i32_e32 vcc_lo, s27, v31
	v_or_b32_e32 v4, v4, v53
	v_cndmask_b32_e32 v3, 0, v3, vcc_lo
	v_cmp_gt_i32_e32 vcc_lo, s27, v30
	v_cndmask_b32_e32 v9, 0, v9, vcc_lo
.LBB110_47:                             ;   in Loop: Header=BB110_38 Depth=1
	s_or_b32 exec_lo, exec_lo, s14
	v_lshlrev_b32_e32 v9, 16, v9
	v_lshlrev_b32_e32 v52, 16, v52
	;; [unrolled: 1-line block ×3, first 2 shown]
	v_and_or_b32 v3, 0xffff, v3, v9
	v_add_co_u32 v9, vcc_lo, 0x800, v7
	v_and_or_b32 v1, 0xffff, v1, v52
	v_and_or_b32 v2, 0xffff, v2, v10
	;;#ASMSTART
	v_pk_mul_f16 v1, v40, v1;

	;;#ASMEND
	v_add_co_ci_u32_e64 v10, null, 0, v8, vcc_lo
	;;#ASMSTART
	v_pk_mul_f16 v2, v39, v2;

	;;#ASMEND
	;;#ASMSTART
	v_pk_mul_f16 v3, v46, v3;

	;;#ASMEND
	;; [unrolled: 4-line block ×3, first 2 shown]
	;;#ASMSTART
	v_pk_add_f16 v1, v1, v2;

	;;#ASMEND
	;;#ASMSTART
	v_pk_add_f16 v1, v1, v3;

	;;#ASMEND
	;; [unrolled: 4-line block ×3, first 2 shown]
	v_lshrrev_b32_e32 v2, 16, v1
	v_and_b32_e32 v1, 0xffff, v1
	;;#ASMSTART
	v_cvt_f32_f16 v52, v1;
	;;#ASMEND
	;;#ASMSTART
	v_cvt_f32_f16 v53, v2;
	;;#ASMEND
	global_load_dwordx4 v[1:4], v[9:10], off
	s_waitcnt vmcnt(0)
	v_lshrrev_b32_e32 v56, 16, v1
	v_lshrrev_b32_e32 v55, 16, v2
	;; [unrolled: 1-line block ×3, first 2 shown]
	s_and_saveexec_b32 s14, s0
	s_cbranch_execz .LBB110_49
; %bb.48:                               ;   in Loop: Header=BB110_38 Depth=1
	v_cmp_gt_i32_e32 vcc_lo, s27, v35
	v_and_b32_e32 v57, 0xffff0000, v4
	v_cmp_gt_i32_e64 s1, s27, v34
	v_cndmask_b32_e32 v1, 0, v1, vcc_lo
	v_cmp_gt_i32_e32 vcc_lo, s27, v38
	v_cndmask_b32_e64 v2, 0, v2, s1
	v_cmp_gt_i32_e64 s1, s27, v33
	v_cndmask_b32_e32 v56, 0, v56, vcc_lo
	v_cmp_gt_i32_e32 vcc_lo, s27, v36
	v_cndmask_b32_e64 v55, 0, v55, s1
	v_cndmask_b32_sdwa v4, v24, v4, vcc_lo dst_sel:DWORD dst_unused:UNUSED_PAD src0_sel:DWORD src1_sel:WORD_0
	v_cmp_gt_i32_e32 vcc_lo, s27, v32
	v_cndmask_b32_e32 v57, 0, v57, vcc_lo
	v_cmp_gt_i32_e32 vcc_lo, s27, v31
	v_or_b32_e32 v4, v4, v57
	v_cndmask_b32_e32 v3, 0, v3, vcc_lo
	v_cmp_gt_i32_e32 vcc_lo, s27, v30
	v_cndmask_b32_e32 v54, 0, v54, vcc_lo
.LBB110_49:                             ;   in Loop: Header=BB110_38 Depth=1
	s_or_b32 exec_lo, exec_lo, s14
	v_lshlrev_b32_e32 v56, 16, v56
	v_lshlrev_b32_e32 v55, 16, v55
	;; [unrolled: 1-line block ×3, first 2 shown]
	v_and_or_b32 v1, 0xffff, v1, v56
	v_and_or_b32 v2, 0xffff, v2, v55
	;; [unrolled: 1-line block ×3, first 2 shown]
	;;#ASMSTART
	v_pk_mul_f16 v1, v40, v1;

	;;#ASMEND
	;;#ASMSTART
	v_pk_mul_f16 v2, v39, v2;

	;;#ASMEND
	;; [unrolled: 4-line block ×4, first 2 shown]
	;;#ASMSTART
	v_pk_add_f16 v1, v1, v2;

	;;#ASMEND
	;;#ASMSTART
	v_pk_add_f16 v1, v1, v3;

	;;#ASMEND
	;; [unrolled: 4-line block ×3, first 2 shown]
	v_and_b32_e32 v2, 0xffff, v1
	v_lshrrev_b32_e32 v1, 16, v1
	;;#ASMSTART
	v_cvt_f32_f16 v54, v2;
	;;#ASMEND
	;;#ASMSTART
	v_cvt_f32_f16 v55, v1;
	;;#ASMEND
	global_load_dwordx4 v[1:4], v[9:10], off offset:512
	s_waitcnt vmcnt(0)
	v_lshrrev_b32_e32 v58, 16, v1
	v_lshrrev_b32_e32 v57, 16, v2
	v_lshrrev_b32_e32 v56, 16, v3
	s_and_saveexec_b32 s14, s0
	s_cbranch_execz .LBB110_51
; %bb.50:                               ;   in Loop: Header=BB110_38 Depth=1
	v_cmp_gt_i32_e32 vcc_lo, s27, v35
	v_and_b32_e32 v59, 0xffff0000, v4
	v_cmp_gt_i32_e64 s1, s27, v34
	v_cndmask_b32_e32 v1, 0, v1, vcc_lo
	v_cmp_gt_i32_e32 vcc_lo, s27, v38
	v_cndmask_b32_e64 v2, 0, v2, s1
	v_cmp_gt_i32_e64 s1, s27, v33
	v_cndmask_b32_e32 v58, 0, v58, vcc_lo
	v_cmp_gt_i32_e32 vcc_lo, s27, v36
	v_cndmask_b32_e64 v57, 0, v57, s1
	v_cndmask_b32_sdwa v4, v24, v4, vcc_lo dst_sel:DWORD dst_unused:UNUSED_PAD src0_sel:DWORD src1_sel:WORD_0
	v_cmp_gt_i32_e32 vcc_lo, s27, v32
	v_cndmask_b32_e32 v59, 0, v59, vcc_lo
	v_cmp_gt_i32_e32 vcc_lo, s27, v31
	v_or_b32_e32 v4, v4, v59
	v_cndmask_b32_e32 v3, 0, v3, vcc_lo
	v_cmp_gt_i32_e32 vcc_lo, s27, v30
	v_cndmask_b32_e32 v56, 0, v56, vcc_lo
.LBB110_51:                             ;   in Loop: Header=BB110_38 Depth=1
	s_or_b32 exec_lo, exec_lo, s14
	v_lshlrev_b32_e32 v58, 16, v58
	v_lshlrev_b32_e32 v57, 16, v57
	;; [unrolled: 1-line block ×3, first 2 shown]
	v_and_or_b32 v1, 0xffff, v1, v58
	v_and_or_b32 v2, 0xffff, v2, v57
	;; [unrolled: 1-line block ×3, first 2 shown]
	;;#ASMSTART
	v_pk_mul_f16 v1, v40, v1;

	;;#ASMEND
	;;#ASMSTART
	v_pk_mul_f16 v2, v39, v2;

	;;#ASMEND
	;; [unrolled: 4-line block ×4, first 2 shown]
	;;#ASMSTART
	v_pk_add_f16 v1, v1, v2;

	;;#ASMEND
	;;#ASMSTART
	v_pk_add_f16 v1, v1, v3;

	;;#ASMEND
	;; [unrolled: 4-line block ×3, first 2 shown]
	v_and_b32_e32 v2, 0xffff, v1
	v_lshrrev_b32_e32 v1, 16, v1
	;;#ASMSTART
	v_cvt_f32_f16 v56, v2;
	;;#ASMEND
	;;#ASMSTART
	v_cvt_f32_f16 v57, v1;
	;;#ASMEND
	global_load_dwordx4 v[1:4], v[9:10], off offset:1024
	s_waitcnt vmcnt(0)
	v_lshrrev_b32_e32 v60, 16, v1
	v_lshrrev_b32_e32 v59, 16, v2
	;; [unrolled: 1-line block ×3, first 2 shown]
	s_and_saveexec_b32 s14, s0
	s_cbranch_execz .LBB110_53
; %bb.52:                               ;   in Loop: Header=BB110_38 Depth=1
	v_cmp_gt_i32_e32 vcc_lo, s27, v35
	v_and_b32_e32 v61, 0xffff0000, v4
	v_cmp_gt_i32_e64 s1, s27, v34
	v_cndmask_b32_e32 v1, 0, v1, vcc_lo
	v_cmp_gt_i32_e32 vcc_lo, s27, v38
	v_cndmask_b32_e64 v2, 0, v2, s1
	v_cmp_gt_i32_e64 s1, s27, v33
	v_cndmask_b32_e32 v60, 0, v60, vcc_lo
	v_cmp_gt_i32_e32 vcc_lo, s27, v36
	v_cndmask_b32_e64 v59, 0, v59, s1
	v_cndmask_b32_sdwa v4, v24, v4, vcc_lo dst_sel:DWORD dst_unused:UNUSED_PAD src0_sel:DWORD src1_sel:WORD_0
	v_cmp_gt_i32_e32 vcc_lo, s27, v32
	v_cndmask_b32_e32 v61, 0, v61, vcc_lo
	v_cmp_gt_i32_e32 vcc_lo, s27, v31
	v_or_b32_e32 v4, v4, v61
	v_cndmask_b32_e32 v3, 0, v3, vcc_lo
	v_cmp_gt_i32_e32 vcc_lo, s27, v30
	v_cndmask_b32_e32 v58, 0, v58, vcc_lo
.LBB110_53:                             ;   in Loop: Header=BB110_38 Depth=1
	s_or_b32 exec_lo, exec_lo, s14
	v_lshlrev_b32_e32 v60, 16, v60
	v_lshlrev_b32_e32 v59, 16, v59
	v_lshlrev_b32_e32 v58, 16, v58
	v_and_or_b32 v1, 0xffff, v1, v60
	v_and_or_b32 v2, 0xffff, v2, v59
	;; [unrolled: 1-line block ×3, first 2 shown]
	;;#ASMSTART
	v_pk_mul_f16 v1, v40, v1;

	;;#ASMEND
	;;#ASMSTART
	v_pk_mul_f16 v2, v39, v2;

	;;#ASMEND
	;; [unrolled: 4-line block ×4, first 2 shown]
	;;#ASMSTART
	v_pk_add_f16 v1, v1, v2;

	;;#ASMEND
	;;#ASMSTART
	v_pk_add_f16 v1, v1, v3;

	;;#ASMEND
	;; [unrolled: 4-line block ×3, first 2 shown]
	v_and_b32_e32 v2, 0xffff, v1
	v_lshrrev_b32_e32 v1, 16, v1
	;;#ASMSTART
	v_cvt_f32_f16 v58, v2;
	;;#ASMEND
	;;#ASMSTART
	v_cvt_f32_f16 v59, v1;
	;;#ASMEND
	global_load_dwordx4 v[1:4], v[9:10], off offset:1536
	s_waitcnt vmcnt(0)
	v_lshrrev_b32_e32 v60, 16, v1
	v_lshrrev_b32_e32 v10, 16, v2
	;; [unrolled: 1-line block ×3, first 2 shown]
	s_and_saveexec_b32 s14, s0
	s_cbranch_execz .LBB110_55
; %bb.54:                               ;   in Loop: Header=BB110_38 Depth=1
	v_cmp_gt_i32_e32 vcc_lo, s27, v35
	v_and_b32_e32 v61, 0xffff0000, v4
	v_cmp_gt_i32_e64 s1, s27, v34
	v_cndmask_b32_e32 v1, 0, v1, vcc_lo
	v_cmp_gt_i32_e32 vcc_lo, s27, v38
	v_cndmask_b32_e64 v2, 0, v2, s1
	v_cmp_gt_i32_e64 s1, s27, v33
	v_cndmask_b32_e32 v60, 0, v60, vcc_lo
	v_cmp_gt_i32_e32 vcc_lo, s27, v36
	v_cndmask_b32_e64 v10, 0, v10, s1
	v_cndmask_b32_sdwa v4, v24, v4, vcc_lo dst_sel:DWORD dst_unused:UNUSED_PAD src0_sel:DWORD src1_sel:WORD_0
	v_cmp_gt_i32_e32 vcc_lo, s27, v32
	v_cndmask_b32_e32 v61, 0, v61, vcc_lo
	v_cmp_gt_i32_e32 vcc_lo, s27, v31
	v_or_b32_e32 v4, v4, v61
	v_cndmask_b32_e32 v3, 0, v3, vcc_lo
	v_cmp_gt_i32_e32 vcc_lo, s27, v30
	v_cndmask_b32_e32 v9, 0, v9, vcc_lo
.LBB110_55:                             ;   in Loop: Header=BB110_38 Depth=1
	s_or_b32 exec_lo, exec_lo, s14
	v_lshlrev_b32_e32 v60, 16, v60
	v_lshlrev_b32_e32 v10, 16, v10
	;; [unrolled: 1-line block ×3, first 2 shown]
	v_add_co_u32 v7, vcc_lo, 0x1000, v7
	v_and_or_b32 v1, 0xffff, v1, v60
	v_and_or_b32 v2, 0xffff, v2, v10
	;; [unrolled: 1-line block ×3, first 2 shown]
	;;#ASMSTART
	v_pk_mul_f16 v1, v40, v1;

	;;#ASMEND
	v_add_co_ci_u32_e64 v8, null, 0, v8, vcc_lo
	;;#ASMSTART
	v_pk_mul_f16 v2, v39, v2;

	;;#ASMEND
	;;#ASMSTART
	v_pk_mul_f16 v3, v46, v3;

	;;#ASMEND
	;; [unrolled: 4-line block ×3, first 2 shown]
	;;#ASMSTART
	v_pk_add_f16 v1, v1, v2;

	;;#ASMEND
	;;#ASMSTART
	v_pk_add_f16 v1, v1, v3;

	;;#ASMEND
	;; [unrolled: 4-line block ×3, first 2 shown]
	v_lshrrev_b32_e32 v2, 16, v1
	v_and_b32_e32 v1, 0xffff, v1
	;;#ASMSTART
	v_cvt_f32_f16 v9, v1;
	;;#ASMEND
	;;#ASMSTART
	v_cvt_f32_f16 v10, v2;
	;;#ASMEND
	global_load_dwordx4 v[1:4], v[7:8], off
	s_waitcnt vmcnt(0)
	v_lshrrev_b32_e32 v62, 16, v1
	v_lshrrev_b32_e32 v61, 16, v2
	;; [unrolled: 1-line block ×3, first 2 shown]
	s_and_saveexec_b32 s14, s0
	s_cbranch_execz .LBB110_57
; %bb.56:                               ;   in Loop: Header=BB110_38 Depth=1
	v_cmp_gt_i32_e32 vcc_lo, s27, v35
	v_and_b32_e32 v63, 0xffff0000, v4
	v_cmp_gt_i32_e64 s1, s27, v34
	v_cndmask_b32_e32 v1, 0, v1, vcc_lo
	v_cmp_gt_i32_e32 vcc_lo, s27, v38
	v_cndmask_b32_e64 v2, 0, v2, s1
	v_cmp_gt_i32_e64 s1, s27, v33
	v_cndmask_b32_e32 v62, 0, v62, vcc_lo
	v_cmp_gt_i32_e32 vcc_lo, s27, v36
	v_cndmask_b32_e64 v61, 0, v61, s1
	v_cndmask_b32_sdwa v4, v24, v4, vcc_lo dst_sel:DWORD dst_unused:UNUSED_PAD src0_sel:DWORD src1_sel:WORD_0
	v_cmp_gt_i32_e32 vcc_lo, s27, v32
	v_cndmask_b32_e32 v63, 0, v63, vcc_lo
	v_cmp_gt_i32_e32 vcc_lo, s27, v31
	v_or_b32_e32 v4, v4, v63
	v_cndmask_b32_e32 v3, 0, v3, vcc_lo
	v_cmp_gt_i32_e32 vcc_lo, s27, v30
	v_cndmask_b32_e32 v60, 0, v60, vcc_lo
.LBB110_57:                             ;   in Loop: Header=BB110_38 Depth=1
	s_or_b32 exec_lo, exec_lo, s14
	v_lshlrev_b32_e32 v62, 16, v62
	v_lshlrev_b32_e32 v61, 16, v61
	;; [unrolled: 1-line block ×3, first 2 shown]
	v_and_or_b32 v1, 0xffff, v1, v62
	v_and_or_b32 v2, 0xffff, v2, v61
	;; [unrolled: 1-line block ×3, first 2 shown]
	;;#ASMSTART
	v_pk_mul_f16 v1, v40, v1;

	;;#ASMEND
	;;#ASMSTART
	v_pk_mul_f16 v2, v39, v2;

	;;#ASMEND
	;; [unrolled: 4-line block ×4, first 2 shown]
	;;#ASMSTART
	v_pk_add_f16 v1, v1, v2;

	;;#ASMEND
	;;#ASMSTART
	v_pk_add_f16 v1, v1, v3;

	;;#ASMEND
	;; [unrolled: 4-line block ×3, first 2 shown]
	v_and_b32_e32 v2, 0xffff, v1
	v_lshrrev_b32_e32 v1, 16, v1
	;;#ASMSTART
	v_cvt_f32_f16 v61, v2;
	;;#ASMEND
	;;#ASMSTART
	v_cvt_f32_f16 v62, v1;
	;;#ASMEND
	global_load_dwordx4 v[1:4], v[7:8], off offset:512
	s_waitcnt vmcnt(0)
	v_lshrrev_b32_e32 v60, 16, v1
	v_lshrrev_b32_e32 v8, 16, v2
	;; [unrolled: 1-line block ×3, first 2 shown]
	s_and_saveexec_b32 s1, s0
	s_cbranch_execz .LBB110_36
; %bb.58:                               ;   in Loop: Header=BB110_38 Depth=1
	v_cmp_gt_i32_e32 vcc_lo, s27, v35
	v_cmp_gt_i32_e64 s0, s27, v34
	v_cndmask_b32_e32 v1, 0, v1, vcc_lo
	v_cmp_gt_i32_e32 vcc_lo, s27, v38
	v_cndmask_b32_e64 v2, 0, v2, s0
	v_cmp_gt_i32_e64 s0, s27, v33
	v_and_b32_e32 v33, 0xffff0000, v4
	v_cndmask_b32_e32 v60, 0, v60, vcc_lo
	v_cmp_gt_i32_e32 vcc_lo, s27, v36
	v_cndmask_b32_e64 v8, 0, v8, s0
	v_cndmask_b32_sdwa v4, v24, v4, vcc_lo dst_sel:DWORD dst_unused:UNUSED_PAD src0_sel:DWORD src1_sel:WORD_0
	v_cmp_gt_i32_e32 vcc_lo, s27, v32
	v_cndmask_b32_e32 v32, 0, v33, vcc_lo
	v_cmp_gt_i32_e32 vcc_lo, s27, v31
	v_or_b32_e32 v4, v4, v32
	v_cndmask_b32_e32 v3, 0, v3, vcc_lo
	v_cmp_gt_i32_e32 vcc_lo, s27, v30
	v_cndmask_b32_e32 v7, 0, v7, vcc_lo
	s_branch .LBB110_36
.LBB110_59:
	s_or_b32 exec_lo, exec_lo, s6
.LBB110_60:
	s_or_b32 exec_lo, exec_lo, s3
	ds_bpermute_b32 v1, v12, v23
	ds_bpermute_b32 v2, v12, v22
	;; [unrolled: 1-line block ×10, first 2 shown]
	v_and_b32_e32 v27, 0x3c3, v0
	s_mov_b32 s0, exec_lo
	s_waitcnt lgkmcnt(0)
	s_waitcnt_vscnt null, 0x0
	s_barrier
	buffer_gl0_inv
	v_add_f32_e32 v1, v23, v1
	v_add_f32_e32 v2, v22, v2
	v_add_f32_e32 v3, v21, v3
	v_add_f32_e32 v4, v20, v4
	v_add_f32_e32 v5, v19, v5
	v_add_f32_e32 v18, v18, v6
	v_add_f32_e32 v17, v17, v7
	v_add_f32_e32 v16, v16, v8
	v_add_f32_e32 v15, v15, v9
	v_add_f32_e32 v19, v14, v10
	ds_bpermute_b32 v6, v11, v1
	ds_bpermute_b32 v7, v11, v2
	;; [unrolled: 1-line block ×10, first 2 shown]
	v_and_b32_e32 v9, 28, v42
	v_lshrrev_b32_e32 v11, 2, v42
	v_mul_u32_u24_e32 v14, 0x140, v41
	v_add_nc_u32_e32 v12, 0xc0, v9
	s_waitcnt lgkmcnt(9)
	v_add_f32_e32 v10, v1, v6
	s_waitcnt lgkmcnt(8)
	v_add_f32_e32 v9, v2, v7
	;; [unrolled: 2-line block ×10, first 2 shown]
	v_cmpx_eq_u32_e32 64, v27
	s_cbranch_execz .LBB110_62
; %bb.61:
	v_add_nc_u32_e32 v15, v12, v14
	v_add_nc_u32_e32 v16, 0xfffffd80, v15
	;; [unrolled: 1-line block ×6, first 2 shown]
	ds_write_b32 v16, v10
	ds_write_b32 v17, v9
	;; [unrolled: 1-line block ×5, first 2 shown]
	v_add_nc_u32_e32 v16, 0xfffffe20, v15
	v_add_nc_u32_e32 v17, 0xfffffe40, v15
	;; [unrolled: 1-line block ×5, first 2 shown]
	ds_write_b32 v16, v5
	ds_write_b32 v17, v4
	;; [unrolled: 1-line block ×5, first 2 shown]
.LBB110_62:
	s_or_b32 exec_lo, exec_lo, s0
	v_lshlrev_b32_e32 v11, 2, v11
	s_mov_b32 s1, exec_lo
	v_cmp_eq_u32_e32 vcc_lo, 0, v13
	s_waitcnt lgkmcnt(0)
	s_barrier
	v_add3_u32 v11, 0xc0, v14, v11
	buffer_gl0_inv
	v_cmpx_gt_u32_e32 64, v0
	s_cbranch_execz .LBB110_75
; %bb.63:
	s_and_saveexec_b32 s0, vcc_lo
	s_cbranch_execnz .LBB110_93
; %bb.64:
	s_or_b32 exec_lo, exec_lo, s0
	s_and_saveexec_b32 s0, vcc_lo
	s_cbranch_execnz .LBB110_94
.LBB110_65:
	s_or_b32 exec_lo, exec_lo, s0
	s_and_saveexec_b32 s0, vcc_lo
	s_cbranch_execnz .LBB110_95
.LBB110_66:
	s_or_b32 exec_lo, exec_lo, s0
	s_and_saveexec_b32 s0, vcc_lo
	s_cbranch_execnz .LBB110_96
.LBB110_67:
	s_or_b32 exec_lo, exec_lo, s0
	s_and_saveexec_b32 s0, vcc_lo
	s_cbranch_execnz .LBB110_97
.LBB110_68:
	s_or_b32 exec_lo, exec_lo, s0
	s_and_saveexec_b32 s0, vcc_lo
	s_cbranch_execnz .LBB110_98
.LBB110_69:
	s_or_b32 exec_lo, exec_lo, s0
	s_and_saveexec_b32 s0, vcc_lo
	s_cbranch_execnz .LBB110_99
.LBB110_70:
	s_or_b32 exec_lo, exec_lo, s0
	s_and_saveexec_b32 s0, vcc_lo
	s_cbranch_execnz .LBB110_100
.LBB110_71:
	s_or_b32 exec_lo, exec_lo, s0
	s_and_saveexec_b32 s0, vcc_lo
	s_cbranch_execnz .LBB110_101
.LBB110_72:
	s_or_b32 exec_lo, exec_lo, s0
	s_and_saveexec_b32 s0, vcc_lo
	s_cbranch_execz .LBB110_74
.LBB110_73:
	ds_read_b32 v13, v11 offset:288
	s_waitcnt lgkmcnt(0)
	v_add_f32_e32 v1, v1, v13
.LBB110_74:
	s_or_b32 exec_lo, exec_lo, s0
.LBB110_75:
	s_or_b32 exec_lo, exec_lo, s1
	v_and_b32_e32 v13, 0x3e3, v0
	s_mov_b32 s1, exec_lo
	s_barrier
	buffer_gl0_inv
	v_cmpx_eq_u32_e32 32, v13
	s_cbranch_execz .LBB110_77
; %bb.76:
	ds_write2_b32 v12, v10, v9 offset1:8
	ds_write2_b32 v12, v8, v7 offset0:16 offset1:24
	ds_write2_b32 v12, v6, v5 offset0:32 offset1:40
	;; [unrolled: 1-line block ×4, first 2 shown]
.LBB110_77:
	s_or_b32 exec_lo, exec_lo, s1
	s_mov_b32 s1, exec_lo
	s_waitcnt lgkmcnt(0)
	s_barrier
	buffer_gl0_inv
	v_cmpx_gt_u32_e32 32, v0
	s_cbranch_execz .LBB110_90
; %bb.78:
	s_and_saveexec_b32 s0, vcc_lo
	s_cbranch_execnz .LBB110_102
; %bb.79:
	s_or_b32 exec_lo, exec_lo, s0
	s_and_saveexec_b32 s0, vcc_lo
	s_cbranch_execnz .LBB110_103
.LBB110_80:
	s_or_b32 exec_lo, exec_lo, s0
	s_and_saveexec_b32 s0, vcc_lo
	s_cbranch_execnz .LBB110_104
.LBB110_81:
	s_or_b32 exec_lo, exec_lo, s0
	s_and_saveexec_b32 s0, vcc_lo
	s_cbranch_execnz .LBB110_105
.LBB110_82:
	s_or_b32 exec_lo, exec_lo, s0
	s_and_saveexec_b32 s0, vcc_lo
	s_cbranch_execnz .LBB110_106
.LBB110_83:
	s_or_b32 exec_lo, exec_lo, s0
	s_and_saveexec_b32 s0, vcc_lo
	s_cbranch_execnz .LBB110_107
.LBB110_84:
	s_or_b32 exec_lo, exec_lo, s0
	s_and_saveexec_b32 s0, vcc_lo
	s_cbranch_execnz .LBB110_108
.LBB110_85:
	s_or_b32 exec_lo, exec_lo, s0
	s_and_saveexec_b32 s0, vcc_lo
	s_cbranch_execnz .LBB110_109
.LBB110_86:
	s_or_b32 exec_lo, exec_lo, s0
	s_and_saveexec_b32 s0, vcc_lo
	s_cbranch_execnz .LBB110_110
.LBB110_87:
	s_or_b32 exec_lo, exec_lo, s0
	s_and_saveexec_b32 s0, vcc_lo
	s_cbranch_execz .LBB110_89
.LBB110_88:
	ds_read_b32 v11, v11 offset:288
	s_waitcnt lgkmcnt(0)
	v_add_f32_e32 v1, v1, v11
.LBB110_89:
	s_or_b32 exec_lo, exec_lo, s0
.LBB110_90:
	s_or_b32 exec_lo, exec_lo, s1
	s_barrier
	buffer_gl0_inv
	s_mov_b32 s0, exec_lo
	v_cmpx_eq_u32_e32 0, v13
	s_cbranch_execz .LBB110_92
; %bb.91:
	s_mul_i32 s0, s2, 0x50
	s_mul_i32 s2, s7, s10
	s_ashr_i32 s1, s0, 31
	v_lshrrev_b32_e32 v0, 1, v0
	s_lshl_b64 s[0:1], s[0:1], 1
	;;#ASMSTART
	v_cvt_f16_f32 v10, v10;

	;;#ASMEND
	s_add_u32 s4, s24, s0
	s_addc_u32 s5, s25, s1
	s_ashr_i32 s3, s2, 31
	s_lshl_b64 s[0:1], s[2:3], 1
	s_mul_i32 s2, s8, 0x50
	s_add_u32 s4, s4, s0
	s_addc_u32 s5, s5, s1
	s_ashr_i32 s3, s2, 31
	s_lshl_b64 s[0:1], s[2:3], 1
	s_add_u32 s0, s4, s0
	s_addc_u32 s1, s5, s1
	global_store_short v0, v10, s[0:1]
	;;#ASMSTART
	v_cvt_f16_f32 v9, v9;

	;;#ASMEND
	global_store_short v0, v9, s[0:1] offset:16
	;;#ASMSTART
	v_cvt_f16_f32 v8, v8;

	;;#ASMEND
	global_store_short v0, v8, s[0:1] offset:32
	;; [unrolled: 5-line block ×9, first 2 shown]
.LBB110_92:
	s_endpgm
.LBB110_93:
	ds_read_b32 v13, v11
	s_waitcnt lgkmcnt(0)
	v_add_f32_e32 v10, v10, v13
	s_or_b32 exec_lo, exec_lo, s0
	s_and_saveexec_b32 s0, vcc_lo
	s_cbranch_execz .LBB110_65
.LBB110_94:
	ds_read_b32 v13, v11 offset:32
	s_waitcnt lgkmcnt(0)
	v_add_f32_e32 v9, v9, v13
	s_or_b32 exec_lo, exec_lo, s0
	s_and_saveexec_b32 s0, vcc_lo
	s_cbranch_execz .LBB110_66
.LBB110_95:
	ds_read_b32 v13, v11 offset:64
	s_waitcnt lgkmcnt(0)
	v_add_f32_e32 v8, v8, v13
	s_or_b32 exec_lo, exec_lo, s0
	s_and_saveexec_b32 s0, vcc_lo
	s_cbranch_execz .LBB110_67
.LBB110_96:
	ds_read_b32 v13, v11 offset:96
	s_waitcnt lgkmcnt(0)
	v_add_f32_e32 v7, v7, v13
	s_or_b32 exec_lo, exec_lo, s0
	s_and_saveexec_b32 s0, vcc_lo
	s_cbranch_execz .LBB110_68
.LBB110_97:
	ds_read_b32 v13, v11 offset:128
	s_waitcnt lgkmcnt(0)
	v_add_f32_e32 v6, v6, v13
	s_or_b32 exec_lo, exec_lo, s0
	s_and_saveexec_b32 s0, vcc_lo
	s_cbranch_execz .LBB110_69
.LBB110_98:
	ds_read_b32 v13, v11 offset:160
	s_waitcnt lgkmcnt(0)
	v_add_f32_e32 v5, v5, v13
	s_or_b32 exec_lo, exec_lo, s0
	s_and_saveexec_b32 s0, vcc_lo
	s_cbranch_execz .LBB110_70
.LBB110_99:
	ds_read_b32 v13, v11 offset:192
	s_waitcnt lgkmcnt(0)
	v_add_f32_e32 v4, v4, v13
	s_or_b32 exec_lo, exec_lo, s0
	s_and_saveexec_b32 s0, vcc_lo
	s_cbranch_execz .LBB110_71
.LBB110_100:
	ds_read_b32 v13, v11 offset:224
	s_waitcnt lgkmcnt(0)
	v_add_f32_e32 v3, v3, v13
	s_or_b32 exec_lo, exec_lo, s0
	s_and_saveexec_b32 s0, vcc_lo
	s_cbranch_execz .LBB110_72
.LBB110_101:
	ds_read_b32 v13, v11 offset:256
	s_waitcnt lgkmcnt(0)
	v_add_f32_e32 v2, v2, v13
	s_or_b32 exec_lo, exec_lo, s0
	s_and_saveexec_b32 s0, vcc_lo
	s_cbranch_execnz .LBB110_73
	s_branch .LBB110_74
.LBB110_102:
	ds_read_b32 v12, v11
	s_waitcnt lgkmcnt(0)
	v_add_f32_e32 v10, v10, v12
	s_or_b32 exec_lo, exec_lo, s0
	s_and_saveexec_b32 s0, vcc_lo
	s_cbranch_execz .LBB110_80
.LBB110_103:
	ds_read_b32 v12, v11 offset:32
	s_waitcnt lgkmcnt(0)
	v_add_f32_e32 v9, v9, v12
	s_or_b32 exec_lo, exec_lo, s0
	s_and_saveexec_b32 s0, vcc_lo
	s_cbranch_execz .LBB110_81
.LBB110_104:
	ds_read_b32 v12, v11 offset:64
	s_waitcnt lgkmcnt(0)
	v_add_f32_e32 v8, v8, v12
	s_or_b32 exec_lo, exec_lo, s0
	s_and_saveexec_b32 s0, vcc_lo
	s_cbranch_execz .LBB110_82
.LBB110_105:
	ds_read_b32 v12, v11 offset:96
	s_waitcnt lgkmcnt(0)
	v_add_f32_e32 v7, v7, v12
	s_or_b32 exec_lo, exec_lo, s0
	s_and_saveexec_b32 s0, vcc_lo
	s_cbranch_execz .LBB110_83
.LBB110_106:
	ds_read_b32 v12, v11 offset:128
	s_waitcnt lgkmcnt(0)
	v_add_f32_e32 v6, v6, v12
	s_or_b32 exec_lo, exec_lo, s0
	s_and_saveexec_b32 s0, vcc_lo
	s_cbranch_execz .LBB110_84
.LBB110_107:
	ds_read_b32 v12, v11 offset:160
	s_waitcnt lgkmcnt(0)
	v_add_f32_e32 v5, v5, v12
	s_or_b32 exec_lo, exec_lo, s0
	s_and_saveexec_b32 s0, vcc_lo
	s_cbranch_execz .LBB110_85
.LBB110_108:
	ds_read_b32 v12, v11 offset:192
	s_waitcnt lgkmcnt(0)
	v_add_f32_e32 v4, v4, v12
	s_or_b32 exec_lo, exec_lo, s0
	s_and_saveexec_b32 s0, vcc_lo
	s_cbranch_execz .LBB110_86
.LBB110_109:
	ds_read_b32 v12, v11 offset:224
	s_waitcnt lgkmcnt(0)
	v_add_f32_e32 v3, v3, v12
	s_or_b32 exec_lo, exec_lo, s0
	s_and_saveexec_b32 s0, vcc_lo
	s_cbranch_execz .LBB110_87
.LBB110_110:
	ds_read_b32 v12, v11 offset:256
	s_waitcnt lgkmcnt(0)
	v_add_f32_e32 v2, v2, v12
	s_or_b32 exec_lo, exec_lo, s0
	s_and_saveexec_b32 s0, vcc_lo
	s_cbranch_execnz .LBB110_88
	s_branch .LBB110_89
	.section	.rodata,"a",@progbits
	.p2align	6, 0x0
	.amdhsa_kernel _ZN4vllm25paged_attention_v2_kernelIttLi80ELi32ELi128ELNS_18Fp8KVCacheDataTypeE0ELb1ELi512EEEvPfS2_PT_PKS3_PKT0_S9_ifPKiSB_iPKfiiiSD_SD_iiiii
		.amdhsa_group_segment_fixed_size 192
		.amdhsa_private_segment_fixed_size 0
		.amdhsa_kernarg_size 400
		.amdhsa_user_sgpr_count 6
		.amdhsa_user_sgpr_private_segment_buffer 1
		.amdhsa_user_sgpr_dispatch_ptr 0
		.amdhsa_user_sgpr_queue_ptr 0
		.amdhsa_user_sgpr_kernarg_segment_ptr 1
		.amdhsa_user_sgpr_dispatch_id 0
		.amdhsa_user_sgpr_flat_scratch_init 0
		.amdhsa_user_sgpr_private_segment_size 0
		.amdhsa_wavefront_size32 1
		.amdhsa_uses_dynamic_stack 0
		.amdhsa_system_sgpr_private_segment_wavefront_offset 0
		.amdhsa_system_sgpr_workgroup_id_x 1
		.amdhsa_system_sgpr_workgroup_id_y 1
		.amdhsa_system_sgpr_workgroup_id_z 1
		.amdhsa_system_sgpr_workgroup_info 0
		.amdhsa_system_vgpr_workitem_id 0
		.amdhsa_next_free_vgpr 79
		.amdhsa_next_free_sgpr 46
		.amdhsa_reserve_vcc 1
		.amdhsa_reserve_flat_scratch 0
		.amdhsa_float_round_mode_32 0
		.amdhsa_float_round_mode_16_64 0
		.amdhsa_float_denorm_mode_32 3
		.amdhsa_float_denorm_mode_16_64 3
		.amdhsa_dx10_clamp 1
		.amdhsa_ieee_mode 1
		.amdhsa_fp16_overflow 0
		.amdhsa_workgroup_processor_mode 1
		.amdhsa_memory_ordered 1
		.amdhsa_forward_progress 1
		.amdhsa_shared_vgpr_count 0
		.amdhsa_exception_fp_ieee_invalid_op 0
		.amdhsa_exception_fp_denorm_src 0
		.amdhsa_exception_fp_ieee_div_zero 0
		.amdhsa_exception_fp_ieee_overflow 0
		.amdhsa_exception_fp_ieee_underflow 0
		.amdhsa_exception_fp_ieee_inexact 0
		.amdhsa_exception_int_div_zero 0
	.end_amdhsa_kernel
	.section	.text._ZN4vllm25paged_attention_v2_kernelIttLi80ELi32ELi128ELNS_18Fp8KVCacheDataTypeE0ELb1ELi512EEEvPfS2_PT_PKS3_PKT0_S9_ifPKiSB_iPKfiiiSD_SD_iiiii,"axG",@progbits,_ZN4vllm25paged_attention_v2_kernelIttLi80ELi32ELi128ELNS_18Fp8KVCacheDataTypeE0ELb1ELi512EEEvPfS2_PT_PKS3_PKT0_S9_ifPKiSB_iPKfiiiSD_SD_iiiii,comdat
.Lfunc_end110:
	.size	_ZN4vllm25paged_attention_v2_kernelIttLi80ELi32ELi128ELNS_18Fp8KVCacheDataTypeE0ELb1ELi512EEEvPfS2_PT_PKS3_PKT0_S9_ifPKiSB_iPKfiiiSD_SD_iiiii, .Lfunc_end110-_ZN4vllm25paged_attention_v2_kernelIttLi80ELi32ELi128ELNS_18Fp8KVCacheDataTypeE0ELb1ELi512EEEvPfS2_PT_PKS3_PKT0_S9_ifPKiSB_iPKfiiiSD_SD_iiiii
                                        ; -- End function
	.set _ZN4vllm25paged_attention_v2_kernelIttLi80ELi32ELi128ELNS_18Fp8KVCacheDataTypeE0ELb1ELi512EEEvPfS2_PT_PKS3_PKT0_S9_ifPKiSB_iPKfiiiSD_SD_iiiii.num_vgpr, 79
	.set _ZN4vllm25paged_attention_v2_kernelIttLi80ELi32ELi128ELNS_18Fp8KVCacheDataTypeE0ELb1ELi512EEEvPfS2_PT_PKS3_PKT0_S9_ifPKiSB_iPKfiiiSD_SD_iiiii.num_agpr, 0
	.set _ZN4vllm25paged_attention_v2_kernelIttLi80ELi32ELi128ELNS_18Fp8KVCacheDataTypeE0ELb1ELi512EEEvPfS2_PT_PKS3_PKT0_S9_ifPKiSB_iPKfiiiSD_SD_iiiii.numbered_sgpr, 46
	.set _ZN4vllm25paged_attention_v2_kernelIttLi80ELi32ELi128ELNS_18Fp8KVCacheDataTypeE0ELb1ELi512EEEvPfS2_PT_PKS3_PKT0_S9_ifPKiSB_iPKfiiiSD_SD_iiiii.num_named_barrier, 0
	.set _ZN4vllm25paged_attention_v2_kernelIttLi80ELi32ELi128ELNS_18Fp8KVCacheDataTypeE0ELb1ELi512EEEvPfS2_PT_PKS3_PKT0_S9_ifPKiSB_iPKfiiiSD_SD_iiiii.private_seg_size, 0
	.set _ZN4vllm25paged_attention_v2_kernelIttLi80ELi32ELi128ELNS_18Fp8KVCacheDataTypeE0ELb1ELi512EEEvPfS2_PT_PKS3_PKT0_S9_ifPKiSB_iPKfiiiSD_SD_iiiii.uses_vcc, 1
	.set _ZN4vllm25paged_attention_v2_kernelIttLi80ELi32ELi128ELNS_18Fp8KVCacheDataTypeE0ELb1ELi512EEEvPfS2_PT_PKS3_PKT0_S9_ifPKiSB_iPKfiiiSD_SD_iiiii.uses_flat_scratch, 0
	.set _ZN4vllm25paged_attention_v2_kernelIttLi80ELi32ELi128ELNS_18Fp8KVCacheDataTypeE0ELb1ELi512EEEvPfS2_PT_PKS3_PKT0_S9_ifPKiSB_iPKfiiiSD_SD_iiiii.has_dyn_sized_stack, 0
	.set _ZN4vllm25paged_attention_v2_kernelIttLi80ELi32ELi128ELNS_18Fp8KVCacheDataTypeE0ELb1ELi512EEEvPfS2_PT_PKS3_PKT0_S9_ifPKiSB_iPKfiiiSD_SD_iiiii.has_recursion, 0
	.set _ZN4vllm25paged_attention_v2_kernelIttLi80ELi32ELi128ELNS_18Fp8KVCacheDataTypeE0ELb1ELi512EEEvPfS2_PT_PKS3_PKT0_S9_ifPKiSB_iPKfiiiSD_SD_iiiii.has_indirect_call, 0
	.section	.AMDGPU.csdata,"",@progbits
; Kernel info:
; codeLenInByte = 13724
; TotalNumSgprs: 48
; NumVgprs: 79
; ScratchSize: 0
; MemoryBound: 0
; FloatMode: 240
; IeeeMode: 1
; LDSByteSize: 192 bytes/workgroup (compile time only)
; SGPRBlocks: 0
; VGPRBlocks: 9
; NumSGPRsForWavesPerEU: 48
; NumVGPRsForWavesPerEU: 79
; Occupancy: 12
; WaveLimiterHint : 1
; COMPUTE_PGM_RSRC2:SCRATCH_EN: 0
; COMPUTE_PGM_RSRC2:USER_SGPR: 6
; COMPUTE_PGM_RSRC2:TRAP_HANDLER: 0
; COMPUTE_PGM_RSRC2:TGID_X_EN: 1
; COMPUTE_PGM_RSRC2:TGID_Y_EN: 1
; COMPUTE_PGM_RSRC2:TGID_Z_EN: 1
; COMPUTE_PGM_RSRC2:TIDIG_COMP_CNT: 0
	.section	.text._ZN4vllm25paged_attention_v2_kernelIttLi96ELi32ELi128ELNS_18Fp8KVCacheDataTypeE0ELb1ELi512EEEvPfS2_PT_PKS3_PKT0_S9_ifPKiSB_iPKfiiiSD_SD_iiiii,"axG",@progbits,_ZN4vllm25paged_attention_v2_kernelIttLi96ELi32ELi128ELNS_18Fp8KVCacheDataTypeE0ELb1ELi512EEEvPfS2_PT_PKS3_PKT0_S9_ifPKiSB_iPKfiiiSD_SD_iiiii,comdat
	.protected	_ZN4vllm25paged_attention_v2_kernelIttLi96ELi32ELi128ELNS_18Fp8KVCacheDataTypeE0ELb1ELi512EEEvPfS2_PT_PKS3_PKT0_S9_ifPKiSB_iPKfiiiSD_SD_iiiii ; -- Begin function _ZN4vllm25paged_attention_v2_kernelIttLi96ELi32ELi128ELNS_18Fp8KVCacheDataTypeE0ELb1ELi512EEEvPfS2_PT_PKS3_PKT0_S9_ifPKiSB_iPKfiiiSD_SD_iiiii
	.globl	_ZN4vllm25paged_attention_v2_kernelIttLi96ELi32ELi128ELNS_18Fp8KVCacheDataTypeE0ELb1ELi512EEEvPfS2_PT_PKS3_PKT0_S9_ifPKiSB_iPKfiiiSD_SD_iiiii
	.p2align	8
	.type	_ZN4vllm25paged_attention_v2_kernelIttLi96ELi32ELi128ELNS_18Fp8KVCacheDataTypeE0ELb1ELi512EEEvPfS2_PT_PKS3_PKT0_S9_ifPKiSB_iPKfiiiSD_SD_iiiii,@function
_ZN4vllm25paged_attention_v2_kernelIttLi96ELi32ELi128ELNS_18Fp8KVCacheDataTypeE0ELb1ELi512EEEvPfS2_PT_PKS3_PKT0_S9_ifPKiSB_iPKfiiiSD_SD_iiiii: ; @_ZN4vllm25paged_attention_v2_kernelIttLi96ELi32ELi128ELNS_18Fp8KVCacheDataTypeE0ELb1ELi512EEEvPfS2_PT_PKS3_PKT0_S9_ifPKiSB_iPKfiiiSD_SD_iiiii
; %bb.0:
	s_load_dwordx2 s[0:1], s[4:5], 0x40
	s_mov_b32 s26, s7
	s_ashr_i32 s27, s7, 31
	s_lshl_b64 s[2:3], s[26:27], 2
	s_waitcnt lgkmcnt(0)
	s_add_u32 s0, s0, s2
	s_addc_u32 s1, s1, s3
	s_lshl_b32 s37, s8, 9
	s_load_dword s27, s[0:1], 0x0
	s_waitcnt lgkmcnt(0)
	s_cmp_ge_i32 s37, s27
	s_cbranch_scc1 .LBB111_100
; %bb.1:
	s_clause 0x1
	s_load_dword s9, s[4:5], 0x90
	s_load_dwordx2 s[2:3], s[4:5], 0x30
	s_mov_b32 s39, 0
	s_waitcnt lgkmcnt(0)
	s_abs_i32 s10, s9
	s_abs_i32 s0, s2
	v_cvt_f32_u32_e32 v1, s0
	s_sub_i32 s7, 0, s0
	v_rcp_iflag_f32_e32 v1, v1
	v_mul_f32_e32 v1, 0x4f7ffffe, v1
	v_cvt_u32_f32_e32 v1, v1
	v_readfirstlane_b32 s1, v1
	s_mul_i32 s7, s7, s1
	s_mul_hi_u32 s7, s1, s7
	s_add_i32 s1, s1, s7
	s_xor_b32 s7, s9, s2
	s_mul_hi_u32 s1, s10, s1
	s_ashr_i32 s7, s7, 31
	s_mul_i32 s11, s1, s0
	s_sub_i32 s10, s10, s11
	s_add_i32 s11, s1, 1
	s_sub_i32 s12, s10, s0
	s_cmp_ge_u32 s10, s0
	s_cselect_b32 s1, s11, s1
	s_cselect_b32 s10, s12, s10
	s_add_i32 s11, s1, 1
	s_cmp_ge_u32 s10, s0
	s_cselect_b32 s0, s11, s1
	s_abs_i32 s21, s6
	s_xor_b32 s0, s0, s7
	s_sub_i32 s10, s0, s7
	s_load_dwordx2 s[0:1], s[4:5], 0x50
	s_abs_i32 s20, s10
	v_cvt_f32_u32_e32 v1, s20
	s_sub_i32 s11, 0, s20
	v_rcp_iflag_f32_e32 v1, v1
	v_mul_f32_e32 v1, 0x4f7ffffe, v1
	v_cvt_u32_f32_e32 v1, v1
	v_readfirstlane_b32 s7, v1
	s_mul_i32 s11, s11, s7
	s_mul_hi_u32 s11, s7, s11
	s_add_i32 s7, s7, s11
	s_waitcnt lgkmcnt(0)
	s_cmp_eq_u64 s[0:1], 0
	s_mul_hi_u32 s22, s21, s7
	s_cbranch_scc1 .LBB111_3
; %bb.2:
	s_ashr_i32 s7, s6, 31
	s_lshl_b64 s[12:13], s[6:7], 2
	s_add_u32 s0, s0, s12
	s_addc_u32 s1, s1, s13
	s_load_dword s39, s[0:1], 0x0
.LBB111_3:
	s_load_dwordx4 s[12:15], s[4:5], 0x58
	v_lshlrev_b32_e32 v52, 4, v0
	s_ashr_i32 s0, s6, 31
	s_ashr_i32 s1, s10, 31
	s_mul_i32 s10, s6, 0x60
	s_mov_b32 s7, exec_lo
	v_cmpx_gt_u32_e32 12, v0
	s_cbranch_execz .LBB111_5
; %bb.4:
	s_load_dwordx2 s[16:17], s[4:5], 0x18
	s_waitcnt lgkmcnt(0)
	s_mul_i32 s18, s12, s26
	s_ashr_i32 s19, s18, 31
	s_lshl_b64 s[18:19], s[18:19], 1
	s_add_u32 s12, s16, s18
	s_addc_u32 s15, s17, s19
	s_ashr_i32 s11, s10, 31
	s_lshl_b64 s[16:17], s[10:11], 1
	s_add_u32 s16, s12, s16
	s_addc_u32 s17, s15, s17
	global_load_dwordx4 v[1:4], v52, s[16:17]
	s_waitcnt vmcnt(0)
	ds_write_b128 v52, v[1:4]
.LBB111_5:
	s_or_b32 exec_lo, exec_lo, s7
	s_load_dwordx4 s[16:19], s[4:5], 0x78
	s_mul_i32 s7, s22, s20
	s_xor_b32 s0, s0, s1
	s_sub_i32 s1, s21, s7
	s_add_i32 s7, s22, 1
	s_sub_i32 s11, s1, s20
	s_cmp_ge_u32 s1, s20
	s_mov_b32 s21, -1
	s_cselect_b32 s7, s7, s22
	s_cselect_b32 s1, s11, s1
	s_add_i32 s11, s7, 1
	s_cmp_ge_u32 s1, s20
                                        ; implicit-def: $sgpr33
	s_cselect_b32 s1, s11, s7
	s_load_dword s7, s[4:5], 0x88
	s_xor_b32 s1, s1, s0
	s_add_i32 s20, s27, -1
	s_sub_i32 s1, s1, s0
	s_waitcnt lgkmcnt(0)
	s_abs_i32 s15, s20
	s_abs_i32 s11, s19
	s_barrier
	v_cvt_f32_u32_e32 v1, s11
	s_sub_i32 s0, 0, s11
	buffer_gl0_inv
	v_rcp_iflag_f32_e32 v1, v1
	v_mul_f32_e32 v1, 0x4f7ffffe, v1
	v_cvt_u32_f32_e32 v1, v1
	v_readfirstlane_b32 s12, v1
	s_mul_i32 s0, s0, s12
	s_mul_hi_u32 s0, s12, s0
	s_add_i32 s12, s12, s0
	s_cmp_lt_i32 s7, 0
	s_mul_hi_u32 s0, s15, s12
	s_cbranch_scc0 .LBB111_7
; %bb.6:
	s_mul_i32 s2, s16, s2
	s_mov_b32 s21, 0
	s_add_i32 s2, s1, s2
	s_mul_i32 s2, s2, s7
	s_sub_i32 s33, 1, s2
.LBB111_7:
	s_load_dwordx2 s[28:29], s[4:5], 0x38
	s_ashr_i32 s2, s20, 31
	s_andn2_b32 vcc_lo, exec_lo, s21
	s_ashr_i32 s19, s19, 31
	s_cbranch_vccnz .LBB111_9
; %bb.8:
	s_mul_i32 s16, s9, s16
	s_add_i32 s16, s16, s6
	s_mul_i32 s7, s16, s7
	s_add_i32 s33, s7, 1
.LBB111_9:
	s_clause 0x4
	s_load_dword s16, s[4:5], 0x48
	s_load_dwordx2 s[34:35], s[4:5], 0x28
	s_load_dword s7, s[4:5], 0x98
	s_load_dwordx4 s[20:23], s[4:5], 0x0
	s_load_dwordx2 s[24:25], s[4:5], 0x10
	s_mul_i32 s30, s0, s11
	s_xor_b32 s2, s2, s19
	s_sub_i32 s15, s15, s30
	s_add_i32 s36, s0, 1
	v_lshrrev_b32_e32 v49, 5, v0
	v_and_b32_e32 v50, 31, v0
	v_mov_b32_e32 v54, 0xff7fffff
	s_mul_i32 s14, s1, s14
	v_lshl_add_u32 v51, v49, 5, s37
	v_lshlrev_b32_e32 v53, 2, v50
	s_waitcnt lgkmcnt(0)
	s_mul_i32 s30, s16, s26
	s_sub_i32 s16, s15, s11
	s_ashr_i32 s31, s30, 31
	s_cmp_ge_u32 s15, s11
	s_cselect_b32 s0, s36, s0
	s_cselect_b32 s15, s16, s15
	s_add_i32 s16, s0, 1
	s_cmp_ge_u32 s15, s11
	s_cselect_b32 s0, s16, s0
	s_add_i32 s15, s27, 31
	s_lshl_b32 s40, s8, 4
	s_ashr_i32 s16, s15, 31
	v_add_nc_u32_e32 v45, s40, v49
	s_lshr_b32 s16, s16, 27
	s_add_i32 s15, s15, s16
	s_add_i32 s16, s40, 16
	s_ashr_i32 s36, s15, 5
	s_xor_b32 s15, s0, s2
	s_min_i32 s16, s16, s36
	v_ashrrev_i32_e32 v46, 31, v45
	v_cmp_gt_i32_e64 s0, s16, v45
	s_sub_i32 s38, s15, s2
	s_and_saveexec_b32 s41, s0
	s_cbranch_execz .LBB111_17
; %bb.10:
	s_load_dwordx2 s[42:43], s[4:5], 0x20
	s_ashr_i32 s15, s14, 31
	s_sub_i32 s4, s38, s17
	s_lshl_b64 s[44:45], s[14:15], 1
	v_subrev_nc_u32_e32 v5, s27, v50
	v_lshlrev_b32_e32 v3, 4, v50
	v_lshl_or_b32 v7, v49, 7, v53
	v_mov_b32_e32 v55, 0
	v_cmp_neq_f32_e64 vcc_lo, s39, 0
	v_add_nc_u32_e32 v58, 1, v5
	v_lshl_add_u32 v56, v49, 5, s37
	v_mov_b32_e32 v57, 0xff7fffff
	v_mov_b32_e32 v54, 0xff7fffff
	v_add_nc_u32_e32 v59, 0xe0, v7
	v_mov_b32_e32 v63, v45
	s_waitcnt lgkmcnt(0)
	s_add_u32 s1, s42, s44
	s_addc_u32 s2, s43, s45
	s_abs_i32 s5, s18
	s_lshl_b64 s[42:43], s[30:31], 2
	v_cvt_f32_u32_e32 v1, s5
	s_sub_i32 s15, 0, s5
	v_add_co_u32 v60, s1, s1, v3
	v_add_co_ci_u32_e64 v61, null, s2, 0, s1
	v_rcp_iflag_f32_e32 v1, v1
	s_add_u32 s1, s28, s42
	s_addc_u32 s2, s29, s43
	s_mov_b32 s42, s13
	v_mul_f32_e32 v1, 0x4f7ffffe, v1
	v_cvt_u32_f32_e32 v4, v1
	v_lshlrev_b64 v[1:2], 2, v[45:46]
	v_mul_lo_u32 v6, s15, v4
	s_mov_b32 s15, 0
	v_add_co_u32 v47, s1, s1, v1
	v_add_co_ci_u32_e64 v48, null, s2, v2, s1
	v_mul_hi_u32 v5, v4, v6
	v_add_nc_u32_e32 v62, v4, v5
	s_branch .LBB111_12
.LBB111_11:                             ;   in Loop: Header=BB111_12 Depth=1
	s_or_b32 exec_lo, exec_lo, s2
	v_add_nc_u32_e32 v63, 4, v63
	v_add_co_u32 v47, s2, v47, 16
	v_add_co_ci_u32_e64 v48, null, 0, v48, s2
	v_cmp_le_i32_e64 s1, s16, v63
	v_add_nc_u32_e32 v56, 0x80, v56
	v_add_nc_u32_e32 v59, 0x200, v59
	s_or_b32 s15, s1, s15
	s_andn2_b32 exec_lo, exec_lo, s15
	s_cbranch_execz .LBB111_16
.LBB111_12:                             ; =>This Inner Loop Header: Depth=1
	v_sub_nc_u32_e32 v1, 0, v56
	v_max_i32_e32 v1, v56, v1
	v_mul_hi_u32 v2, v1, s12
	v_mul_lo_u32 v3, v2, s11
	v_sub_nc_u32_e32 v1, v1, v3
	v_add_nc_u32_e32 v3, 1, v2
	v_subrev_nc_u32_e32 v4, s11, v1
	v_cmp_le_u32_e64 s1, s11, v1
	v_cndmask_b32_e64 v2, v2, v3, s1
	v_cndmask_b32_e64 v1, v1, v4, s1
	v_ashrrev_i32_e32 v3, 31, v56
	v_add_nc_u32_e32 v4, 1, v2
	v_cmp_le_u32_e64 s1, s11, v1
	v_xor_b32_e32 v3, s19, v3
	v_cndmask_b32_e64 v1, v2, v4, s1
	v_xor_b32_e32 v1, v1, v3
	v_sub_nc_u32_e32 v1, v1, v3
	v_add_nc_u32_e32 v2, s33, v1
	v_cmp_ge_i32_e64 s2, s4, v1
	v_sub_nc_u32_e32 v3, 0, v2
	v_max_i32_e32 v3, v2, v3
	v_ashrrev_i32_e32 v2, 31, v2
	v_mul_hi_u32 v4, v3, v62
	v_mul_lo_u32 v4, v4, s5
	v_sub_nc_u32_e32 v3, v3, v4
	v_subrev_nc_u32_e32 v4, s5, v3
	v_cmp_le_u32_e64 s1, s5, v3
	v_cndmask_b32_e64 v3, v3, v4, s1
	v_subrev_nc_u32_e32 v4, s5, v3
	v_cmp_le_u32_e64 s1, s5, v3
	v_cndmask_b32_e64 v3, v3, v4, s1
	v_xor_b32_e32 v3, v3, v2
	v_sub_nc_u32_e32 v2, v3, v2
	v_cmp_ne_u32_e64 s1, 0, v2
	s_and_b32 s1, s1, s2
	s_and_saveexec_b32 s2, s1
	s_xor_b32 s1, exec_lo, s2
; %bb.13:                               ;   in Loop: Header=BB111_12 Depth=1
	ds_write_b32 v59, v57
; %bb.14:                               ;   in Loop: Header=BB111_12 Depth=1
	s_andn2_saveexec_b32 s2, s1
	s_cbranch_execz .LBB111_11
; %bb.15:                               ;   in Loop: Header=BB111_12 Depth=1
	global_load_dword v1, v[47:48], off
	v_add_nc_u32_e32 v3, v58, v56
	v_add_nc_u32_e32 v69, v50, v56
	v_cvt_f32_i32_e32 v3, v3
	v_mul_f32_e32 v3, s39, v3
	v_cndmask_b32_e32 v64, 0, v3, vcc_lo
	s_waitcnt vmcnt(0)
	v_mad_i64_i32 v[1:2], null, v1, s42, 0
	v_lshlrev_b64 v[1:2], 1, v[1:2]
	v_add_co_u32 v1, s1, v60, v1
	v_add_co_ci_u32_e64 v2, null, v61, v2, s1
	s_clause 0x3
	global_load_dwordx4 v[65:68], v[1:2], off
	global_load_dwordx4 v[41:44], v[1:2], off offset:512
	global_load_dwordx4 v[37:40], v[1:2], off offset:1024
	;; [unrolled: 1-line block ×3, first 2 shown]
	v_add_co_u32 v3, s1, 0x800, v1
	v_add_co_ci_u32_e64 v4, null, 0, v2, s1
	v_add_co_u32 v5, s1, v1, 0x1000
	v_add_co_ci_u32_e64 v6, null, 0, v2, s1
	s_clause 0x3
	global_load_dwordx4 v[29:32], v[5:6], off offset:-2048
	global_load_dwordx4 v[25:28], v[3:4], off offset:512
	global_load_dwordx4 v[21:24], v[3:4], off offset:1024
	;; [unrolled: 1-line block ×3, first 2 shown]
	v_add_co_u32 v1, s1, 0x1000, v1
	v_add_co_ci_u32_e64 v2, null, 0, v2, s1
	s_clause 0x3
	global_load_dwordx4 v[13:16], v[5:6], off
	global_load_dwordx4 v[9:12], v[1:2], off offset:512
	global_load_dwordx4 v[5:8], v[1:2], off offset:1024
	;; [unrolled: 1-line block ×3, first 2 shown]
	v_cmp_gt_i32_e64 s1, s27, v69
	ds_read_b128 v[69:72], v55
	s_waitcnt lgkmcnt(0)
	v_lshrrev_b32_e32 v73, 16, v69
	v_and_b32_e32 v69, 0xffff, v69
	;;#ASMSTART
	v_cvt_f32_f16 v69, v69;
	;;#ASMEND
	;;#ASMSTART
	v_cvt_f32_f16 v73, v73;
	;;#ASMEND
	s_waitcnt vmcnt(11)
	v_lshrrev_b32_e32 v75, 16, v65
	v_and_b32_e32 v65, 0xffff, v65
	;;#ASMSTART
	v_cvt_f32_f16 v74, v65;
	;;#ASMEND
	v_lshrrev_b32_e32 v65, 16, v70
	v_and_b32_e32 v70, 0xffff, v70
	;;#ASMSTART
	v_cvt_f32_f16 v75, v75;
	;;#ASMEND
	;;#ASMSTART
	v_cvt_f32_f16 v70, v70;
	;;#ASMEND
	;; [unrolled: 3-line block ×3, first 2 shown]
	v_lshrrev_b32_e32 v65, 16, v66
	v_and_b32_e32 v66, 0xffff, v66
	;;#ASMSTART
	v_cvt_f32_f16 v77, v66;
	;;#ASMEND
	;;#ASMSTART
	v_cvt_f32_f16 v78, v65;
	;;#ASMEND
	v_lshrrev_b32_e32 v65, 16, v71
	v_and_b32_e32 v66, 0xffff, v71
	;;#ASMSTART
	v_cvt_f32_f16 v71, v66;
	;;#ASMEND
	;;#ASMSTART
	v_cvt_f32_f16 v79, v65;
	;;#ASMEND
	;; [unrolled: 8-line block ×5, first 2 shown]
	ds_read_b128 v[65:68], v55 offset:16
	s_waitcnt vmcnt(10)
	v_lshrrev_b32_e32 v86, 16, v41
	v_and_b32_e32 v41, 0xffff, v41
	s_waitcnt lgkmcnt(0)
	v_lshrrev_b32_e32 v85, 16, v65
	v_and_b32_e32 v65, 0xffff, v65
	;;#ASMSTART
	v_cvt_f32_f16 v65, v65;
	;;#ASMEND
	;;#ASMSTART
	v_cvt_f32_f16 v85, v85;
	;;#ASMEND
	;; [unrolled: 3-line block ×3, first 2 shown]
	v_mul_f32_e32 v41, v65, v41
	;;#ASMSTART
	v_cvt_f32_f16 v86, v86;
	;;#ASMEND
	v_mul_f32_e32 v65, v85, v86
	v_fmac_f32_e32 v41, v69, v74
	v_lshrrev_b32_e32 v69, 16, v66
	v_and_b32_e32 v66, 0xffff, v66
	v_fmac_f32_e32 v65, v73, v75
	;;#ASMSTART
	v_cvt_f32_f16 v66, v66;
	;;#ASMEND
	v_lshrrev_b32_e32 v73, 16, v42
	v_and_b32_e32 v42, 0xffff, v42
	;;#ASMSTART
	v_cvt_f32_f16 v69, v69;
	;;#ASMEND
	;;#ASMSTART
	v_cvt_f32_f16 v42, v42;
	;;#ASMEND
	v_mul_f32_e32 v66, v66, v42
	;;#ASMSTART
	v_cvt_f32_f16 v73, v73;
	;;#ASMEND
	v_mul_f32_e32 v42, v69, v73
	v_lshrrev_b32_e32 v69, 16, v67
	v_and_b32_e32 v67, 0xffff, v67
	v_fmac_f32_e32 v66, v70, v77
	v_lshrrev_b32_e32 v70, 16, v43
	v_and_b32_e32 v43, 0xffff, v43
	;;#ASMSTART
	v_cvt_f32_f16 v67, v67;
	;;#ASMEND
	;;#ASMSTART
	v_cvt_f32_f16 v69, v69;
	;;#ASMEND
	;; [unrolled: 3-line block ×4, first 2 shown]
	v_mul_f32_e32 v67, v67, v43
	v_mul_f32_e32 v43, v69, v70
	v_lshrrev_b32_e32 v69, 16, v68
	v_and_b32_e32 v68, 0xffff, v68
	;;#ASMSTART
	v_cvt_f32_f16 v68, v68;
	;;#ASMEND
	v_lshrrev_b32_e32 v70, 16, v44
	v_and_b32_e32 v44, 0xffff, v44
	;;#ASMSTART
	v_cvt_f32_f16 v69, v69;
	;;#ASMEND
	;;#ASMSTART
	v_cvt_f32_f16 v44, v44;
	;;#ASMEND
	v_mul_f32_e32 v68, v68, v44
	;;#ASMSTART
	v_cvt_f32_f16 v70, v70;
	;;#ASMEND
	v_fmac_f32_e32 v67, v71, v80
	v_mul_f32_e32 v44, v69, v70
	v_fmac_f32_e32 v42, v76, v78
	v_fmac_f32_e32 v68, v72, v83
	ds_read_b128 v[69:72], v55 offset:32
	s_waitcnt vmcnt(9)
	v_lshrrev_b32_e32 v74, 16, v37
	v_and_b32_e32 v37, 0xffff, v37
	v_fmac_f32_e32 v43, v79, v81
	v_fmac_f32_e32 v44, v82, v84
	s_waitcnt lgkmcnt(0)
	v_lshrrev_b32_e32 v73, 16, v69
	v_and_b32_e32 v69, 0xffff, v69
	;;#ASMSTART
	v_cvt_f32_f16 v69, v69;
	;;#ASMEND
	;;#ASMSTART
	v_cvt_f32_f16 v73, v73;
	;;#ASMEND
	;; [unrolled: 3-line block ×3, first 2 shown]
	v_fmac_f32_e32 v41, v69, v37
	v_lshrrev_b32_e32 v69, 16, v70
	v_and_b32_e32 v37, 0xffff, v70
	v_lshrrev_b32_e32 v70, 16, v38
	v_and_b32_e32 v38, 0xffff, v38
	;;#ASMSTART
	v_cvt_f32_f16 v74, v74;
	;;#ASMEND
	;;#ASMSTART
	v_cvt_f32_f16 v37, v37;
	;;#ASMEND
	;; [unrolled: 3-line block ×5, first 2 shown]
	v_fmac_f32_e32 v66, v37, v38
	v_fmac_f32_e32 v42, v69, v70
	v_lshrrev_b32_e32 v38, 16, v71
	v_and_b32_e32 v37, 0xffff, v71
	v_lshrrev_b32_e32 v69, 16, v39
	v_and_b32_e32 v39, 0xffff, v39
	;;#ASMSTART
	v_cvt_f32_f16 v37, v37;
	;;#ASMEND
	;;#ASMSTART
	v_cvt_f32_f16 v38, v38;
	;;#ASMEND
	;; [unrolled: 3-line block ×4, first 2 shown]
	v_fmac_f32_e32 v67, v37, v39
	v_fmac_f32_e32 v43, v38, v69
	v_lshrrev_b32_e32 v38, 16, v72
	v_and_b32_e32 v37, 0xffff, v72
	v_and_b32_e32 v39, 0xffff, v40
	;;#ASMSTART
	v_cvt_f32_f16 v37, v37;
	;;#ASMEND
	;;#ASMSTART
	v_cvt_f32_f16 v38, v38;
	;;#ASMEND
	v_lshrrev_b32_e32 v69, 16, v40
	;;#ASMSTART
	v_cvt_f32_f16 v39, v39;
	;;#ASMEND
	;;#ASMSTART
	v_cvt_f32_f16 v40, v69;
	;;#ASMEND
	v_fmac_f32_e32 v68, v37, v39
	v_fmac_f32_e32 v44, v38, v40
	ds_read_b128 v[37:40], v55 offset:48
	s_waitcnt vmcnt(8)
	v_lshrrev_b32_e32 v70, 16, v33
	v_and_b32_e32 v33, 0xffff, v33
	v_fmac_f32_e32 v65, v73, v74
	s_waitcnt lgkmcnt(0)
	v_lshrrev_b32_e32 v69, 16, v37
	v_and_b32_e32 v37, 0xffff, v37
	;;#ASMSTART
	v_cvt_f32_f16 v37, v37;
	;;#ASMEND
	;;#ASMSTART
	v_cvt_f32_f16 v69, v69;
	;;#ASMEND
	;; [unrolled: 3-line block ×3, first 2 shown]
	v_fmac_f32_e32 v41, v37, v33
	v_lshrrev_b32_e32 v37, 16, v38
	v_and_b32_e32 v33, 0xffff, v38
	v_lshrrev_b32_e32 v38, 16, v34
	v_and_b32_e32 v34, 0xffff, v34
	;;#ASMSTART
	v_cvt_f32_f16 v70, v70;
	;;#ASMEND
	;;#ASMSTART
	v_cvt_f32_f16 v33, v33;
	;;#ASMEND
	;; [unrolled: 3-line block ×5, first 2 shown]
	v_fmac_f32_e32 v66, v33, v34
	v_fmac_f32_e32 v42, v37, v38
	v_lshrrev_b32_e32 v34, 16, v39
	v_and_b32_e32 v33, 0xffff, v39
	v_lshrrev_b32_e32 v37, 16, v35
	v_and_b32_e32 v35, 0xffff, v35
	;;#ASMSTART
	v_cvt_f32_f16 v33, v33;
	;;#ASMEND
	;;#ASMSTART
	v_cvt_f32_f16 v34, v34;
	;;#ASMEND
	;; [unrolled: 3-line block ×4, first 2 shown]
	v_fmac_f32_e32 v67, v33, v35
	v_fmac_f32_e32 v43, v34, v37
	v_lshrrev_b32_e32 v34, 16, v40
	v_and_b32_e32 v33, 0xffff, v40
	v_and_b32_e32 v35, 0xffff, v36
	;;#ASMSTART
	v_cvt_f32_f16 v33, v33;
	;;#ASMEND
	;;#ASMSTART
	v_cvt_f32_f16 v34, v34;
	;;#ASMEND
	v_lshrrev_b32_e32 v37, 16, v36
	;;#ASMSTART
	v_cvt_f32_f16 v35, v35;
	;;#ASMEND
	;;#ASMSTART
	v_cvt_f32_f16 v36, v37;
	;;#ASMEND
	v_fmac_f32_e32 v68, v33, v35
	v_fmac_f32_e32 v44, v34, v36
	ds_read_b128 v[33:36], v55 offset:64
	s_waitcnt vmcnt(7)
	v_lshrrev_b32_e32 v38, 16, v29
	v_and_b32_e32 v29, 0xffff, v29
	v_fmac_f32_e32 v65, v69, v70
	s_waitcnt lgkmcnt(0)
	v_lshrrev_b32_e32 v37, 16, v33
	v_and_b32_e32 v33, 0xffff, v33
	;;#ASMSTART
	v_cvt_f32_f16 v33, v33;
	;;#ASMEND
	;;#ASMSTART
	v_cvt_f32_f16 v37, v37;
	;;#ASMEND
	;; [unrolled: 3-line block ×3, first 2 shown]
	v_fmac_f32_e32 v41, v33, v29
	v_lshrrev_b32_e32 v33, 16, v34
	v_and_b32_e32 v29, 0xffff, v34
	v_lshrrev_b32_e32 v34, 16, v30
	v_and_b32_e32 v30, 0xffff, v30
	;;#ASMSTART
	v_cvt_f32_f16 v38, v38;
	;;#ASMEND
	;;#ASMSTART
	v_cvt_f32_f16 v29, v29;
	;;#ASMEND
	;; [unrolled: 3-line block ×5, first 2 shown]
	v_fmac_f32_e32 v66, v29, v30
	v_fmac_f32_e32 v42, v33, v34
	v_lshrrev_b32_e32 v30, 16, v35
	v_and_b32_e32 v29, 0xffff, v35
	v_lshrrev_b32_e32 v33, 16, v31
	v_and_b32_e32 v31, 0xffff, v31
	;;#ASMSTART
	v_cvt_f32_f16 v29, v29;
	;;#ASMEND
	;;#ASMSTART
	v_cvt_f32_f16 v30, v30;
	;;#ASMEND
	;; [unrolled: 3-line block ×4, first 2 shown]
	v_fmac_f32_e32 v67, v29, v31
	v_fmac_f32_e32 v43, v30, v33
	v_lshrrev_b32_e32 v30, 16, v36
	v_and_b32_e32 v29, 0xffff, v36
	v_and_b32_e32 v31, 0xffff, v32
	;;#ASMSTART
	v_cvt_f32_f16 v29, v29;
	;;#ASMEND
	;;#ASMSTART
	v_cvt_f32_f16 v30, v30;
	;;#ASMEND
	v_lshrrev_b32_e32 v33, 16, v32
	;;#ASMSTART
	v_cvt_f32_f16 v31, v31;
	;;#ASMEND
	;;#ASMSTART
	v_cvt_f32_f16 v32, v33;
	;;#ASMEND
	v_fmac_f32_e32 v68, v29, v31
	v_fmac_f32_e32 v44, v30, v32
	ds_read_b128 v[29:32], v55 offset:80
	s_waitcnt vmcnt(6)
	v_lshrrev_b32_e32 v34, 16, v25
	v_and_b32_e32 v25, 0xffff, v25
	v_fmac_f32_e32 v65, v37, v38
	s_waitcnt lgkmcnt(0)
	v_lshrrev_b32_e32 v33, 16, v29
	v_and_b32_e32 v29, 0xffff, v29
	;;#ASMSTART
	v_cvt_f32_f16 v29, v29;
	;;#ASMEND
	;;#ASMSTART
	v_cvt_f32_f16 v33, v33;
	;;#ASMEND
	;; [unrolled: 3-line block ×3, first 2 shown]
	v_fmac_f32_e32 v41, v29, v25
	v_lshrrev_b32_e32 v29, 16, v30
	v_and_b32_e32 v25, 0xffff, v30
	v_lshrrev_b32_e32 v30, 16, v26
	v_and_b32_e32 v26, 0xffff, v26
	;;#ASMSTART
	v_cvt_f32_f16 v34, v34;
	;;#ASMEND
	;;#ASMSTART
	v_cvt_f32_f16 v25, v25;
	;;#ASMEND
	;; [unrolled: 3-line block ×5, first 2 shown]
	v_fmac_f32_e32 v66, v25, v26
	v_fmac_f32_e32 v42, v29, v30
	v_lshrrev_b32_e32 v26, 16, v31
	v_and_b32_e32 v25, 0xffff, v31
	v_lshrrev_b32_e32 v29, 16, v27
	v_and_b32_e32 v27, 0xffff, v27
	;;#ASMSTART
	v_cvt_f32_f16 v25, v25;
	;;#ASMEND
	;;#ASMSTART
	v_cvt_f32_f16 v26, v26;
	;;#ASMEND
	;; [unrolled: 3-line block ×4, first 2 shown]
	v_fmac_f32_e32 v67, v25, v27
	v_fmac_f32_e32 v43, v26, v29
	v_lshrrev_b32_e32 v26, 16, v32
	v_and_b32_e32 v25, 0xffff, v32
	v_and_b32_e32 v27, 0xffff, v28
	;;#ASMSTART
	v_cvt_f32_f16 v25, v25;
	;;#ASMEND
	;;#ASMSTART
	v_cvt_f32_f16 v26, v26;
	;;#ASMEND
	v_lshrrev_b32_e32 v29, 16, v28
	;;#ASMSTART
	v_cvt_f32_f16 v27, v27;
	;;#ASMEND
	;;#ASMSTART
	v_cvt_f32_f16 v28, v29;
	;;#ASMEND
	v_fmac_f32_e32 v68, v25, v27
	v_fmac_f32_e32 v44, v26, v28
	ds_read_b128 v[25:28], v55 offset:96
	s_waitcnt vmcnt(5)
	v_lshrrev_b32_e32 v30, 16, v21
	v_and_b32_e32 v21, 0xffff, v21
	v_fmac_f32_e32 v65, v33, v34
	s_waitcnt lgkmcnt(0)
	v_lshrrev_b32_e32 v29, 16, v25
	v_and_b32_e32 v25, 0xffff, v25
	;;#ASMSTART
	v_cvt_f32_f16 v25, v25;
	;;#ASMEND
	;;#ASMSTART
	v_cvt_f32_f16 v29, v29;
	;;#ASMEND
	;; [unrolled: 3-line block ×3, first 2 shown]
	v_fmac_f32_e32 v41, v25, v21
	v_lshrrev_b32_e32 v25, 16, v26
	v_and_b32_e32 v21, 0xffff, v26
	v_lshrrev_b32_e32 v26, 16, v22
	v_and_b32_e32 v22, 0xffff, v22
	;;#ASMSTART
	v_cvt_f32_f16 v30, v30;
	;;#ASMEND
	;;#ASMSTART
	v_cvt_f32_f16 v21, v21;
	;;#ASMEND
	;; [unrolled: 3-line block ×5, first 2 shown]
	v_fmac_f32_e32 v66, v21, v22
	v_fmac_f32_e32 v42, v25, v26
	v_lshrrev_b32_e32 v22, 16, v27
	v_and_b32_e32 v21, 0xffff, v27
	v_lshrrev_b32_e32 v25, 16, v23
	v_and_b32_e32 v23, 0xffff, v23
	;;#ASMSTART
	v_cvt_f32_f16 v21, v21;
	;;#ASMEND
	;;#ASMSTART
	v_cvt_f32_f16 v22, v22;
	;;#ASMEND
	;; [unrolled: 3-line block ×4, first 2 shown]
	v_fmac_f32_e32 v67, v21, v23
	v_fmac_f32_e32 v43, v22, v25
	v_lshrrev_b32_e32 v22, 16, v28
	v_and_b32_e32 v21, 0xffff, v28
	v_and_b32_e32 v23, 0xffff, v24
	;;#ASMSTART
	v_cvt_f32_f16 v21, v21;
	;;#ASMEND
	;;#ASMSTART
	v_cvt_f32_f16 v22, v22;
	;;#ASMEND
	v_lshrrev_b32_e32 v25, 16, v24
	;;#ASMSTART
	v_cvt_f32_f16 v23, v23;
	;;#ASMEND
	;;#ASMSTART
	v_cvt_f32_f16 v24, v25;
	;;#ASMEND
	v_fmac_f32_e32 v68, v21, v23
	v_fmac_f32_e32 v44, v22, v24
	ds_read_b128 v[21:24], v55 offset:112
	s_waitcnt vmcnt(4)
	v_lshrrev_b32_e32 v26, 16, v17
	v_and_b32_e32 v17, 0xffff, v17
	v_fmac_f32_e32 v65, v29, v30
	s_waitcnt lgkmcnt(0)
	v_lshrrev_b32_e32 v25, 16, v21
	v_and_b32_e32 v21, 0xffff, v21
	;;#ASMSTART
	v_cvt_f32_f16 v21, v21;
	;;#ASMEND
	;;#ASMSTART
	v_cvt_f32_f16 v25, v25;
	;;#ASMEND
	;; [unrolled: 3-line block ×3, first 2 shown]
	v_fmac_f32_e32 v41, v21, v17
	v_lshrrev_b32_e32 v21, 16, v22
	v_and_b32_e32 v17, 0xffff, v22
	v_lshrrev_b32_e32 v22, 16, v18
	v_and_b32_e32 v18, 0xffff, v18
	;;#ASMSTART
	v_cvt_f32_f16 v26, v26;
	;;#ASMEND
	;;#ASMSTART
	v_cvt_f32_f16 v17, v17;
	;;#ASMEND
	;; [unrolled: 3-line block ×5, first 2 shown]
	v_fmac_f32_e32 v66, v17, v18
	v_fmac_f32_e32 v42, v21, v22
	v_lshrrev_b32_e32 v18, 16, v23
	v_and_b32_e32 v17, 0xffff, v23
	v_lshrrev_b32_e32 v21, 16, v19
	v_and_b32_e32 v19, 0xffff, v19
	;;#ASMSTART
	v_cvt_f32_f16 v17, v17;
	;;#ASMEND
	;;#ASMSTART
	v_cvt_f32_f16 v18, v18;
	;;#ASMEND
	;; [unrolled: 3-line block ×4, first 2 shown]
	v_fmac_f32_e32 v67, v17, v19
	v_fmac_f32_e32 v43, v18, v21
	v_lshrrev_b32_e32 v18, 16, v24
	v_and_b32_e32 v17, 0xffff, v24
	v_and_b32_e32 v19, 0xffff, v20
	;;#ASMSTART
	v_cvt_f32_f16 v17, v17;
	;;#ASMEND
	;;#ASMSTART
	v_cvt_f32_f16 v18, v18;
	;;#ASMEND
	v_lshrrev_b32_e32 v21, 16, v20
	;;#ASMSTART
	v_cvt_f32_f16 v19, v19;
	;;#ASMEND
	;;#ASMSTART
	v_cvt_f32_f16 v20, v21;
	;;#ASMEND
	v_fmac_f32_e32 v68, v17, v19
	v_fmac_f32_e32 v44, v18, v20
	ds_read_b128 v[17:20], v55 offset:128
	s_waitcnt vmcnt(3)
	v_lshrrev_b32_e32 v22, 16, v13
	v_and_b32_e32 v13, 0xffff, v13
	v_fmac_f32_e32 v65, v25, v26
	s_waitcnt lgkmcnt(0)
	v_lshrrev_b32_e32 v21, 16, v17
	v_and_b32_e32 v17, 0xffff, v17
	;;#ASMSTART
	v_cvt_f32_f16 v17, v17;
	;;#ASMEND
	;;#ASMSTART
	v_cvt_f32_f16 v21, v21;
	;;#ASMEND
	;; [unrolled: 3-line block ×3, first 2 shown]
	v_fmac_f32_e32 v41, v17, v13
	v_lshrrev_b32_e32 v17, 16, v18
	v_and_b32_e32 v13, 0xffff, v18
	v_lshrrev_b32_e32 v18, 16, v14
	v_and_b32_e32 v14, 0xffff, v14
	;;#ASMSTART
	v_cvt_f32_f16 v22, v22;
	;;#ASMEND
	;;#ASMSTART
	v_cvt_f32_f16 v13, v13;
	;;#ASMEND
	;; [unrolled: 3-line block ×5, first 2 shown]
	v_fmac_f32_e32 v66, v13, v14
	v_fmac_f32_e32 v42, v17, v18
	v_lshrrev_b32_e32 v14, 16, v19
	v_and_b32_e32 v13, 0xffff, v19
	v_lshrrev_b32_e32 v17, 16, v15
	v_and_b32_e32 v15, 0xffff, v15
	;;#ASMSTART
	v_cvt_f32_f16 v13, v13;
	;;#ASMEND
	;;#ASMSTART
	v_cvt_f32_f16 v14, v14;
	;;#ASMEND
	;; [unrolled: 3-line block ×4, first 2 shown]
	v_fmac_f32_e32 v67, v13, v15
	v_fmac_f32_e32 v43, v14, v17
	v_lshrrev_b32_e32 v14, 16, v20
	v_and_b32_e32 v13, 0xffff, v20
	v_and_b32_e32 v15, 0xffff, v16
	;;#ASMSTART
	v_cvt_f32_f16 v13, v13;
	;;#ASMEND
	;;#ASMSTART
	v_cvt_f32_f16 v14, v14;
	;;#ASMEND
	v_lshrrev_b32_e32 v17, 16, v16
	;;#ASMSTART
	v_cvt_f32_f16 v15, v15;
	;;#ASMEND
	;;#ASMSTART
	v_cvt_f32_f16 v16, v17;
	;;#ASMEND
	v_fmac_f32_e32 v68, v13, v15
	v_fmac_f32_e32 v44, v14, v16
	ds_read_b128 v[13:16], v55 offset:144
	s_waitcnt vmcnt(2)
	v_lshrrev_b32_e32 v18, 16, v9
	v_and_b32_e32 v9, 0xffff, v9
	v_fmac_f32_e32 v65, v21, v22
	s_waitcnt lgkmcnt(0)
	v_lshrrev_b32_e32 v17, 16, v13
	v_and_b32_e32 v13, 0xffff, v13
	;;#ASMSTART
	v_cvt_f32_f16 v13, v13;
	;;#ASMEND
	;;#ASMSTART
	v_cvt_f32_f16 v17, v17;
	;;#ASMEND
	;; [unrolled: 3-line block ×3, first 2 shown]
	v_fmac_f32_e32 v41, v13, v9
	v_lshrrev_b32_e32 v13, 16, v14
	v_and_b32_e32 v9, 0xffff, v14
	v_lshrrev_b32_e32 v14, 16, v10
	v_and_b32_e32 v10, 0xffff, v10
	;;#ASMSTART
	v_cvt_f32_f16 v18, v18;
	;;#ASMEND
	;;#ASMSTART
	v_cvt_f32_f16 v9, v9;
	;;#ASMEND
	;;#ASMSTART
	v_cvt_f32_f16 v13, v13;
	;;#ASMEND
	;;#ASMSTART
	v_cvt_f32_f16 v10, v10;
	;;#ASMEND
	;;#ASMSTART
	v_cvt_f32_f16 v14, v14;
	;;#ASMEND
	v_fmac_f32_e32 v66, v9, v10
	v_fmac_f32_e32 v42, v13, v14
	v_lshrrev_b32_e32 v10, 16, v15
	v_and_b32_e32 v9, 0xffff, v15
	v_lshrrev_b32_e32 v13, 16, v11
	v_and_b32_e32 v11, 0xffff, v11
	;;#ASMSTART
	v_cvt_f32_f16 v9, v9;
	;;#ASMEND
	;;#ASMSTART
	v_cvt_f32_f16 v10, v10;
	;;#ASMEND
	;; [unrolled: 3-line block ×4, first 2 shown]
	v_fmac_f32_e32 v67, v9, v11
	v_fmac_f32_e32 v43, v10, v13
	v_lshrrev_b32_e32 v10, 16, v16
	v_and_b32_e32 v9, 0xffff, v16
	v_and_b32_e32 v11, 0xffff, v12
	;;#ASMSTART
	v_cvt_f32_f16 v9, v9;
	;;#ASMEND
	;;#ASMSTART
	v_cvt_f32_f16 v10, v10;
	;;#ASMEND
	v_lshrrev_b32_e32 v13, 16, v12
	;;#ASMSTART
	v_cvt_f32_f16 v11, v11;
	;;#ASMEND
	;;#ASMSTART
	v_cvt_f32_f16 v12, v13;
	;;#ASMEND
	v_fmac_f32_e32 v68, v9, v11
	v_fmac_f32_e32 v44, v10, v12
	ds_read_b128 v[9:12], v55 offset:160
	s_waitcnt vmcnt(1)
	v_lshrrev_b32_e32 v14, 16, v5
	v_and_b32_e32 v5, 0xffff, v5
	v_fmac_f32_e32 v65, v17, v18
	s_waitcnt lgkmcnt(0)
	v_lshrrev_b32_e32 v13, 16, v9
	v_and_b32_e32 v9, 0xffff, v9
	;;#ASMSTART
	v_cvt_f32_f16 v9, v9;
	;;#ASMEND
	;;#ASMSTART
	v_cvt_f32_f16 v13, v13;
	;;#ASMEND
	;; [unrolled: 3-line block ×3, first 2 shown]
	v_fmac_f32_e32 v41, v9, v5
	v_lshrrev_b32_e32 v9, 16, v10
	v_and_b32_e32 v5, 0xffff, v10
	v_lshrrev_b32_e32 v10, 16, v6
	v_and_b32_e32 v6, 0xffff, v6
	;;#ASMSTART
	v_cvt_f32_f16 v14, v14;
	;;#ASMEND
	;;#ASMSTART
	v_cvt_f32_f16 v5, v5;
	;;#ASMEND
	;; [unrolled: 3-line block ×5, first 2 shown]
	v_fmac_f32_e32 v66, v5, v6
	v_fmac_f32_e32 v42, v9, v10
	v_lshrrev_b32_e32 v6, 16, v11
	v_and_b32_e32 v5, 0xffff, v11
	v_lshrrev_b32_e32 v9, 16, v7
	v_and_b32_e32 v7, 0xffff, v7
	;;#ASMSTART
	v_cvt_f32_f16 v5, v5;
	;;#ASMEND
	;;#ASMSTART
	v_cvt_f32_f16 v6, v6;
	;;#ASMEND
	;; [unrolled: 3-line block ×4, first 2 shown]
	v_fmac_f32_e32 v67, v5, v7
	v_fmac_f32_e32 v43, v6, v9
	v_lshrrev_b32_e32 v6, 16, v12
	v_and_b32_e32 v5, 0xffff, v12
	v_and_b32_e32 v7, 0xffff, v8
	;;#ASMSTART
	v_cvt_f32_f16 v5, v5;
	;;#ASMEND
	;;#ASMSTART
	v_cvt_f32_f16 v6, v6;
	;;#ASMEND
	v_lshrrev_b32_e32 v9, 16, v8
	;;#ASMSTART
	v_cvt_f32_f16 v7, v7;
	;;#ASMEND
	;;#ASMSTART
	v_cvt_f32_f16 v8, v9;
	;;#ASMEND
	v_fmac_f32_e32 v68, v5, v7
	v_fmac_f32_e32 v44, v6, v8
	ds_read_b128 v[5:8], v55 offset:176
	v_fmac_f32_e32 v65, v13, v14
	s_waitcnt vmcnt(0)
	v_lshrrev_b32_e32 v10, 16, v1
	v_and_b32_e32 v1, 0xffff, v1
	s_waitcnt lgkmcnt(0)
	v_lshrrev_b32_e32 v9, 16, v5
	v_and_b32_e32 v5, 0xffff, v5
	;;#ASMSTART
	v_cvt_f32_f16 v5, v5;
	;;#ASMEND
	;;#ASMSTART
	v_cvt_f32_f16 v9, v9;
	;;#ASMEND
	;; [unrolled: 3-line block ×3, first 2 shown]
	v_fmac_f32_e32 v41, v5, v1
	v_and_b32_e32 v1, 0xffff, v6
	;;#ASMSTART
	v_cvt_f32_f16 v10, v10;
	;;#ASMEND
	v_fmac_f32_e32 v65, v9, v10
	v_lshrrev_b32_e32 v5, 16, v6
	;;#ASMSTART
	v_cvt_f32_f16 v1, v1;
	;;#ASMEND
	v_lshrrev_b32_e32 v6, 16, v2
	v_and_b32_e32 v2, 0xffff, v2
	;;#ASMSTART
	v_cvt_f32_f16 v5, v5;
	;;#ASMEND
	;;#ASMSTART
	v_cvt_f32_f16 v2, v2;
	;;#ASMEND
	v_fmac_f32_e32 v66, v1, v2
	v_and_b32_e32 v1, 0xffff, v7
	;;#ASMSTART
	v_cvt_f32_f16 v6, v6;
	;;#ASMEND
	v_fmac_f32_e32 v42, v5, v6
	v_lshrrev_b32_e32 v2, 16, v7
	;;#ASMSTART
	v_cvt_f32_f16 v1, v1;
	;;#ASMEND
	v_lshrrev_b32_e32 v5, 16, v3
	v_and_b32_e32 v3, 0xffff, v3
	;;#ASMSTART
	v_cvt_f32_f16 v2, v2;
	;;#ASMEND
	;;#ASMSTART
	v_cvt_f32_f16 v3, v3;
	;;#ASMEND
	v_fmac_f32_e32 v67, v1, v3
	v_and_b32_e32 v1, 0xffff, v8
	;;#ASMSTART
	v_cvt_f32_f16 v5, v5;
	;;#ASMEND
	v_fmac_f32_e32 v43, v2, v5
	v_lshrrev_b32_e32 v2, 16, v8
	;;#ASMSTART
	v_cvt_f32_f16 v1, v1;
	;;#ASMEND
	v_and_b32_e32 v3, 0xffff, v4
	;;#ASMSTART
	v_cvt_f32_f16 v2, v2;
	;;#ASMEND
	;;#ASMSTART
	v_cvt_f32_f16 v3, v3;
	;;#ASMEND
	v_fmac_f32_e32 v68, v1, v3
	v_add_f32_e32 v1, v41, v65
	v_lshrrev_b32_e32 v5, 16, v4
	;;#ASMSTART
	v_cvt_f32_f16 v4, v5;
	;;#ASMEND
	v_fmac_f32_e32 v44, v2, v4
	v_add_f32_e32 v1, v1, v66
	v_add_f32_e32 v1, v42, v1
	v_add_f32_e32 v1, v1, v67
	v_add_f32_e32 v1, v43, v1
	v_add_f32_e32 v1, v1, v68
	v_add_f32_e32 v1, v44, v1
	v_fmac_f32_e32 v64, s3, v1
	v_cndmask_b32_e64 v1, 0, v64, s1
	ds_write_b32 v59, v1
	v_max_f32_e32 v1, v54, v54
	v_max_f32_e32 v1, v1, v64
	v_cndmask_b32_e64 v54, v54, v1, s1
	s_branch .LBB111_11
.LBB111_16:
	s_or_b32 exec_lo, exec_lo, s15
.LBB111_17:
	s_or_b32 exec_lo, exec_lo, s41
	v_mbcnt_lo_u32_b32 v1, -1, 0
	v_max_f32_e32 v5, v54, v54
	v_xor_b32_e32 v2, 16, v1
	v_xor_b32_e32 v4, 8, v1
	v_cmp_gt_i32_e32 vcc_lo, 32, v2
	v_cndmask_b32_e32 v2, v1, v2, vcc_lo
	v_cmp_gt_i32_e32 vcc_lo, 32, v4
	v_lshlrev_b32_e32 v2, 2, v2
	v_cndmask_b32_e32 v4, v1, v4, vcc_lo
	ds_bpermute_b32 v3, v2, v54
	s_waitcnt lgkmcnt(0)
	v_max_f32_e32 v6, v3, v3
	v_lshlrev_b32_e32 v3, 2, v4
	v_max_f32_e32 v4, v5, v6
	v_xor_b32_e32 v6, 4, v1
	ds_bpermute_b32 v5, v3, v4
	v_cmp_gt_i32_e32 vcc_lo, 32, v6
	v_cndmask_b32_e32 v6, v1, v6, vcc_lo
	s_waitcnt lgkmcnt(0)
	v_max_f32_e32 v7, v5, v5
	v_lshlrev_b32_e32 v5, 2, v6
	v_max_f32_e32 v4, v4, v7
	v_xor_b32_e32 v7, 2, v1
	ds_bpermute_b32 v6, v5, v4
	v_cmp_gt_i32_e32 vcc_lo, 32, v7
	v_cndmask_b32_e32 v7, v1, v7, vcc_lo
	v_lshlrev_b32_e32 v12, 2, v7
	v_xor_b32_e32 v7, 1, v1
	v_cmp_gt_i32_e32 vcc_lo, 32, v7
	s_waitcnt lgkmcnt(0)
	v_max_f32_e32 v6, v6, v6
	v_cndmask_b32_e32 v7, v1, v7, vcc_lo
	v_cmp_eq_u32_e32 vcc_lo, 0, v50
	v_max_f32_e32 v4, v4, v6
	v_lshlrev_b32_e32 v11, 2, v7
	ds_bpermute_b32 v6, v12, v4
	s_waitcnt lgkmcnt(0)
	v_max_f32_e32 v6, v6, v6
	v_max_f32_e32 v1, v4, v6
	v_lshlrev_b32_e32 v6, 2, v49
	ds_bpermute_b32 v4, v11, v1
	s_and_saveexec_b32 s1, vcc_lo
	s_cbranch_execz .LBB111_19
; %bb.18:
	s_waitcnt lgkmcnt(0)
	v_max_f32_e32 v4, v4, v4
	v_max_f32_e32 v1, v1, v1
	;; [unrolled: 1-line block ×3, first 2 shown]
	ds_write_b32 v6, v1 offset:192
.LBB111_19:
	s_or_b32 exec_lo, exec_lo, s1
	v_cmp_gt_u32_e64 s1, 4, v50
	v_mov_b32_e32 v1, 0xff7fffff
	s_waitcnt lgkmcnt(0)
	s_barrier
	buffer_gl0_inv
	s_and_saveexec_b32 s2, s1
; %bb.20:
	ds_read_b32 v1, v53 offset:192
; %bb.21:
	s_or_b32 exec_lo, exec_lo, s2
	s_waitcnt lgkmcnt(0)
	ds_bpermute_b32 v4, v12, v1
	v_max_f32_e32 v1, v1, v1
	v_mov_b32_e32 v7, 0
	s_sub_i32 s2, s16, s40
	s_lshl_b32 s2, s2, 5
	s_add_i32 s2, s2, s37
	s_min_i32 s2, s2, s27
	s_sub_i32 s4, s2, s37
	v_cmp_gt_i32_e64 s2, s4, v0
	s_waitcnt lgkmcnt(0)
	v_max_f32_e32 v4, v4, v4
	v_max_f32_e32 v1, v1, v4
	ds_bpermute_b32 v4, v11, v1
	s_waitcnt lgkmcnt(0)
	v_max_f32_e32 v4, v4, v4
	v_max_f32_e32 v1, v1, v4
	v_lshl_add_u32 v4, v0, 2, 0xe0
	ds_bpermute_b32 v1, v7, v1
	s_and_saveexec_b32 s5, s2
	s_cbranch_execz .LBB111_25
; %bb.22:
	v_lshl_add_u32 v8, v0, 2, 0xe0
	v_mov_b32_e32 v7, 0
	v_mov_b32_e32 v9, v0
	s_mov_b32 s15, 0
	.p2align	6
.LBB111_23:                             ; =>This Inner Loop Header: Depth=1
	ds_read_b32 v10, v8
	v_add_nc_u32_e32 v9, 0x80, v9
	v_cmp_le_i32_e64 s3, s4, v9
	s_or_b32 s15, s3, s15
	s_waitcnt lgkmcnt(0)
	v_sub_f32_e32 v10, v10, v1
	v_mul_f32_e32 v10, 0x3fb8aa3b, v10
	v_exp_f32_e32 v10, v10
	ds_write_b32 v8, v10
	v_add_f32_e32 v7, v7, v10
	v_add_nc_u32_e32 v8, 0x200, v8
	s_andn2_b32 exec_lo, exec_lo, s15
	s_cbranch_execnz .LBB111_23
; %bb.24:
	s_or_b32 exec_lo, exec_lo, s15
.LBB111_25:
	s_or_b32 exec_lo, exec_lo, s5
	ds_bpermute_b32 v2, v2, v7
	s_waitcnt lgkmcnt(0)
	v_add_f32_e32 v2, v7, v2
	ds_bpermute_b32 v3, v3, v2
	s_waitcnt lgkmcnt(0)
	v_add_f32_e32 v2, v2, v3
	;; [unrolled: 3-line block ×5, first 2 shown]
	s_and_saveexec_b32 s3, vcc_lo
; %bb.26:
	ds_write_b32 v6, v2 offset:208
; %bb.27:
	s_or_b32 exec_lo, exec_lo, s3
	s_waitcnt lgkmcnt(0)
	s_barrier
	buffer_gl0_inv
	s_and_saveexec_b32 s3, s1
; %bb.28:
	ds_read_b32 v2, v53 offset:208
; %bb.29:
	s_or_b32 exec_lo, exec_lo, s3
	s_waitcnt lgkmcnt(0)
	ds_bpermute_b32 v3, v12, v2
	s_waitcnt lgkmcnt(0)
	v_add_f32_e32 v2, v2, v3
	ds_bpermute_b32 v3, v11, v2
	s_waitcnt lgkmcnt(0)
	v_add_f32_e32 v2, v2, v3
	v_mov_b32_e32 v3, 0
	ds_bpermute_b32 v2, v3, v2
	s_and_saveexec_b32 s1, s2
	s_cbranch_execz .LBB111_32
; %bb.30:
	s_waitcnt lgkmcnt(0)
	v_add_f32_e32 v3, 0x358637bd, v2
	s_mov_b32 s2, 0
	v_div_scale_f32 v5, null, v3, v3, 1.0
	v_div_scale_f32 v8, vcc_lo, 1.0, v3, 1.0
	v_rcp_f32_e32 v6, v5
	v_fma_f32 v7, -v5, v6, 1.0
	v_fmac_f32_e32 v6, v7, v6
	v_mul_f32_e32 v7, v8, v6
	v_fma_f32 v9, -v5, v7, v8
	v_fmac_f32_e32 v7, v9, v6
	v_fma_f32 v5, -v5, v7, v8
	v_div_fmas_f32 v5, v5, v6, v7
	v_div_fixup_f32 v3, v5, v3, 1.0
	v_mov_b32_e32 v5, v0
.LBB111_31:                             ; =>This Inner Loop Header: Depth=1
	ds_read_b32 v6, v4
	v_add_nc_u32_e32 v5, 0x80, v5
	v_cmp_le_i32_e32 vcc_lo, s4, v5
	s_or_b32 s2, vcc_lo, s2
	s_waitcnt lgkmcnt(0)
	v_mul_f32_e32 v6, v3, v6
	ds_write_b32 v4, v6
	v_add_nc_u32_e32 v4, 0x200, v4
	s_andn2_b32 exec_lo, exec_lo, s2
	s_cbranch_execnz .LBB111_31
.LBB111_32:
	s_or_b32 exec_lo, exec_lo, s1
	s_mul_i32 s1, s7, s26
	s_waitcnt lgkmcnt(0)
	s_mul_i32 s2, s1, s9
	s_mov_b32 s1, exec_lo
	s_barrier
	buffer_gl0_inv
	v_cmpx_eq_u32_e32 0, v0
	s_cbranch_execz .LBB111_34
; %bb.33:
	s_ashr_i32 s3, s2, 31
	s_mul_i32 s40, s7, s6
	s_lshl_b64 s[4:5], s[2:3], 2
	v_mov_b32_e32 v3, 0
	s_add_u32 s3, s22, s4
	s_addc_u32 s6, s23, s5
	s_ashr_i32 s41, s40, 31
	s_lshl_b64 s[22:23], s[40:41], 2
	s_add_u32 s3, s3, s22
	s_addc_u32 s6, s6, s23
	s_ashr_i32 s9, s8, 31
	s_lshl_b64 s[40:41], s[8:9], 2
	s_add_u32 s42, s3, s40
	s_addc_u32 s43, s6, s41
	s_add_u32 s3, s20, s4
	s_addc_u32 s4, s21, s5
	;; [unrolled: 2-line block ×4, first 2 shown]
	global_store_dword v3, v1, s[42:43]
	global_store_dword v3, v2, s[4:5]
.LBB111_34:
	s_or_b32 exec_lo, exec_lo, s1
	v_mov_b32_e32 v25, 0
	v_and_b32_e32 v13, 3, v0
	v_mov_b32_e32 v24, 0
	v_mov_b32_e32 v23, 0
	;; [unrolled: 1-line block ×11, first 2 shown]
	s_and_saveexec_b32 s3, s0
	s_cbranch_execz .LBB111_64
; %bb.35:
	s_ashr_i32 s15, s14, 31
	s_sub_i32 s4, s38, s17
	s_lshl_b64 s[0:1], s[14:15], 1
	v_lshlrev_b32_e32 v3, 3, v0
	s_add_u32 s6, s34, s0
	s_addc_u32 s9, s35, s1
	s_abs_i32 s5, s18
	v_lshlrev_b32_e32 v6, 5, v13
	v_cvt_f32_u32_e32 v1, s5
	s_sub_i32 s0, 0, s5
	v_and_b32_e32 v27, 24, v3
	v_and_b32_e32 v5, 0x1f0, v52
	s_add_i32 s36, s36, -1
	v_rcp_iflag_f32_e32 v4, v1
	v_lshlrev_b64 v[1:2], 2, v[45:46]
	v_lshl_or_b32 v6, v49, 7, v6
	v_add_co_u32 v28, s6, s6, v5
	v_mov_b32_e32 v26, 0
	v_mov_b32_e32 v14, 0
	;; [unrolled: 1-line block ×5, first 2 shown]
	v_mul_f32_e32 v4, 0x4f7ffffe, v4
	v_mov_b32_e32 v18, 0
	v_mov_b32_e32 v19, 0
	;; [unrolled: 1-line block ×4, first 2 shown]
	v_cvt_u32_f32_e32 v4, v4
	v_mov_b32_e32 v22, 0
	v_mov_b32_e32 v23, 0
	;; [unrolled: 1-line block ×3, first 2 shown]
	v_add_co_ci_u32_e64 v29, null, s9, 0, s6
	v_mul_lo_u32 v3, s0, v4
	s_lshl_b64 s[0:1], s[30:31], 2
	v_add_nc_u32_e32 v30, 0xe0, v6
	s_add_u32 s0, s28, s0
	s_addc_u32 s1, s29, s1
	v_add_co_u32 v5, vcc_lo, s0, v1
	v_add_co_ci_u32_e64 v6, null, s1, v2, vcc_lo
	v_mul_hi_u32 v3, v4, v3
	v_mov_b32_e32 v25, 0
	s_mov_b32 s9, s13
	s_mov_b32 s6, 0
	v_add_nc_u32_e32 v31, v4, v3
	s_branch .LBB111_38
.LBB111_36:                             ;   in Loop: Header=BB111_38 Depth=1
	s_or_b32 exec_lo, exec_lo, s1
	v_add_f32_e32 v9, v9, v10
	v_add_f32_e32 v10, v60, v61
	v_lshlrev_b32_e32 v8, 16, v8
	v_lshlrev_b32_e32 v7, 16, v7
	v_add_f32_e32 v32, v67, v68
	v_add_f32_e32 v33, v64, v65
	;; [unrolled: 1-line block ×3, first 2 shown]
	v_lshlrev_b32_e32 v10, 16, v66
	v_and_or_b32 v2, 0xffff, v2, v8
	v_and_or_b32 v3, 0xffff, v3, v7
	v_add_f32_e32 v34, v62, v63
	v_add_f32_e32 v15, v15, v32
	v_and_or_b32 v1, 0xffff, v1, v10
	;;#ASMSTART
	v_pk_mul_f16 v1, v40, v1;

	;;#ASMEND
	;;#ASMSTART
	v_pk_mul_f16 v2, v38, v2;

	;;#ASMEND
	;;#ASMSTART
	v_pk_mul_f16 v3, v43, v3;

	;;#ASMEND
	;;#ASMSTART
	v_pk_mul_f16 v4, v44, v4;

	;;#ASMEND
	;;#ASMSTART
	v_pk_add_f16 v1, v1, v2;

	;;#ASMEND
	;;#ASMSTART
	v_pk_add_f16 v1, v1, v3;

	;;#ASMEND
	;; [unrolled: 4-line block ×3, first 2 shown]
	v_and_b32_e32 v4, 0xffff, v1
	v_lshrrev_b32_e32 v8, 16, v1
	;;#ASMSTART
	v_cvt_f32_f16 v4, v4;
	;;#ASMEND
	v_add_f32_e32 v18, v18, v9
	v_add_f32_e32 v9, v58, v59
	;; [unrolled: 1-line block ×7, first 2 shown]
	;;#ASMSTART
	v_cvt_f32_f16 v8, v8;
	;;#ASMEND
	v_add_f32_e32 v4, v4, v8
	v_add_f32_e32 v16, v16, v33
	;; [unrolled: 1-line block ×10, first 2 shown]
.LBB111_37:                             ;   in Loop: Header=BB111_38 Depth=1
	s_or_b32 exec_lo, exec_lo, s13
	v_add_nc_u32_e32 v45, 4, v45
	v_add_co_u32 v5, s0, v5, 16
	v_add_co_ci_u32_e64 v6, null, 0, v6, s0
	v_cmp_le_i32_e32 vcc_lo, s16, v45
	v_add_nc_u32_e32 v51, 0x80, v51
	v_add_nc_u32_e32 v30, 0x200, v30
	s_or_b32 s6, vcc_lo, s6
	s_andn2_b32 exec_lo, exec_lo, s6
	s_cbranch_execz .LBB111_63
.LBB111_38:                             ; =>This Inner Loop Header: Depth=1
	v_sub_nc_u32_e32 v1, 0, v51
	v_max_i32_e32 v1, v51, v1
	v_mul_hi_u32 v2, v1, s12
	v_mul_lo_u32 v3, v2, s11
	v_sub_nc_u32_e32 v1, v1, v3
	v_add_nc_u32_e32 v3, 1, v2
	v_subrev_nc_u32_e32 v4, s11, v1
	v_cmp_le_u32_e32 vcc_lo, s11, v1
	v_cndmask_b32_e32 v2, v2, v3, vcc_lo
	v_cndmask_b32_e32 v1, v1, v4, vcc_lo
	v_ashrrev_i32_e32 v3, 31, v51
	v_add_nc_u32_e32 v4, 1, v2
	v_cmp_le_u32_e32 vcc_lo, s11, v1
	v_xor_b32_e32 v3, s19, v3
	v_cndmask_b32_e32 v1, v2, v4, vcc_lo
	v_xor_b32_e32 v1, v1, v3
	v_sub_nc_u32_e32 v1, v1, v3
	v_add_nc_u32_e32 v2, s33, v1
	v_cmp_lt_i32_e64 s0, s4, v1
	v_sub_nc_u32_e32 v3, 0, v2
	v_max_i32_e32 v3, v2, v3
	v_ashrrev_i32_e32 v2, 31, v2
	v_mul_hi_u32 v4, v3, v31
	v_mul_lo_u32 v4, v4, s5
	v_sub_nc_u32_e32 v3, v3, v4
	v_subrev_nc_u32_e32 v4, s5, v3
	v_cmp_le_u32_e32 vcc_lo, s5, v3
	v_cndmask_b32_e32 v3, v3, v4, vcc_lo
	v_subrev_nc_u32_e32 v4, s5, v3
	v_cmp_le_u32_e32 vcc_lo, s5, v3
	v_cndmask_b32_e32 v3, v3, v4, vcc_lo
	v_xor_b32_e32 v3, v3, v2
	v_sub_nc_u32_e32 v2, v3, v2
	v_cmp_eq_u32_e32 vcc_lo, 0, v2
	s_or_b32 s0, vcc_lo, s0
	s_and_saveexec_b32 s13, s0
	s_cbranch_execz .LBB111_37
; %bb.39:                               ;   in Loop: Header=BB111_38 Depth=1
	global_load_dword v7, v[5:6], off
	ds_read2_b64 v[1:4], v30 offset1:1
	ds_read2_b64 v[32:35], v30 offset0:2 offset1:3
	v_add_nc_u32_e32 v37, v27, v51
	v_cmp_eq_u32_e64 s0, s36, v45
	s_waitcnt lgkmcnt(1)
	;;#ASMSTART
	v_cvt_f16_f32 v40, v1;

	;;#ASMEND
	;;#ASMSTART
	v_cvt_f16_f32 v38, v2;

	;;#ASMEND
	;; [unrolled: 4-line block ×4, first 2 shown]
	s_waitcnt lgkmcnt(0)
	;;#ASMSTART
	v_cvt_f16_f32 v44, v32;

	;;#ASMEND
	;;#ASMSTART
	v_cvt_f16_f32 v10, v33;

	;;#ASMEND
	;; [unrolled: 4-line block ×4, first 2 shown]
	v_add_nc_u32_e32 v46, 1, v37
	v_add_nc_u32_e32 v36, 2, v37
	;; [unrolled: 1-line block ×7, first 2 shown]
	s_waitcnt vmcnt(0)
	v_mad_i64_i32 v[7:8], null, v7, s9, 0
	v_lshlrev_b64 v[7:8], 1, v[7:8]
	v_add_co_u32 v7, vcc_lo, v28, v7
	v_add_co_ci_u32_e64 v8, null, v29, v8, vcc_lo
	global_load_dwordx4 v[1:4], v[7:8], off
	s_waitcnt vmcnt(0)
	v_lshrrev_b32_e32 v52, 16, v1
	v_lshrrev_b32_e32 v48, 16, v2
	;; [unrolled: 1-line block ×3, first 2 shown]
	s_and_saveexec_b32 s14, s0
	s_cbranch_execz .LBB111_41
; %bb.40:                               ;   in Loop: Header=BB111_38 Depth=1
	v_cmp_gt_i32_e32 vcc_lo, s27, v37
	v_and_b32_e32 v53, 0xffff0000, v4
	v_cmp_gt_i32_e64 s1, s27, v36
	v_cndmask_b32_e32 v1, 0, v1, vcc_lo
	v_cmp_gt_i32_e32 vcc_lo, s27, v46
	v_cndmask_b32_e64 v2, 0, v2, s1
	v_cmp_gt_i32_e64 s1, s27, v35
	v_cndmask_b32_e32 v52, 0, v52, vcc_lo
	v_cmp_gt_i32_e32 vcc_lo, s27, v39
	v_cndmask_b32_e64 v48, 0, v48, s1
	v_cndmask_b32_sdwa v4, v26, v4, vcc_lo dst_sel:DWORD dst_unused:UNUSED_PAD src0_sel:DWORD src1_sel:WORD_0
	v_cmp_gt_i32_e32 vcc_lo, s27, v34
	v_cndmask_b32_e32 v53, 0, v53, vcc_lo
	v_cmp_gt_i32_e32 vcc_lo, s27, v33
	v_or_b32_e32 v4, v4, v53
	v_cndmask_b32_e32 v3, 0, v3, vcc_lo
	v_cmp_gt_i32_e32 vcc_lo, s27, v32
	v_cndmask_b32_e32 v47, 0, v47, vcc_lo
.LBB111_41:                             ;   in Loop: Header=BB111_38 Depth=1
	s_or_b32 exec_lo, exec_lo, s14
	v_and_b32_e32 v40, 0xffff, v40
	v_and_b32_e32 v43, 0xffff, v43
	v_lshlrev_b32_e32 v52, 16, v52
	v_lshlrev_b32_e32 v47, 16, v47
	v_and_b32_e32 v44, 0xffff, v44
	v_lshl_or_b32 v40, v38, 16, v40
	v_lshl_or_b32 v38, v41, 16, v43
	v_lshlrev_b32_e32 v41, 16, v48
	v_and_b32_e32 v42, 0xffff, v42
	v_and_or_b32 v1, 0xffff, v1, v52
	v_and_or_b32 v3, 0xffff, v3, v47
	;;#ASMSTART
	v_pk_mul_f16 v1, v40, v1;

	;;#ASMEND
	v_and_or_b32 v2, 0xffff, v2, v41
	v_lshl_or_b32 v43, v10, 16, v44
	v_lshl_or_b32 v44, v9, 16, v42
	;;#ASMSTART
	v_pk_mul_f16 v2, v38, v2;

	;;#ASMEND
	;;#ASMSTART
	v_pk_mul_f16 v3, v43, v3;

	;;#ASMEND
	;; [unrolled: 4-line block ×3, first 2 shown]
	;;#ASMSTART
	v_pk_add_f16 v1, v1, v2;

	;;#ASMEND
	;;#ASMSTART
	v_pk_add_f16 v1, v1, v3;

	;;#ASMEND
	;; [unrolled: 4-line block ×3, first 2 shown]
	v_and_b32_e32 v2, 0xffff, v1
	v_lshrrev_b32_e32 v1, 16, v1
	;;#ASMSTART
	v_cvt_f32_f16 v41, v2;
	;;#ASMEND
	;;#ASMSTART
	v_cvt_f32_f16 v42, v1;
	;;#ASMEND
	global_load_dwordx4 v[1:4], v[7:8], off offset:512
	s_waitcnt vmcnt(0)
	v_lshrrev_b32_e32 v47, 16, v1
	v_lshrrev_b32_e32 v10, 16, v2
	;; [unrolled: 1-line block ×3, first 2 shown]
	s_and_saveexec_b32 s14, s0
	s_cbranch_execz .LBB111_43
; %bb.42:                               ;   in Loop: Header=BB111_38 Depth=1
	v_cmp_gt_i32_e32 vcc_lo, s27, v37
	v_and_b32_e32 v48, 0xffff0000, v4
	v_cmp_gt_i32_e64 s1, s27, v36
	v_cndmask_b32_e32 v1, 0, v1, vcc_lo
	v_cmp_gt_i32_e32 vcc_lo, s27, v46
	v_cndmask_b32_e64 v2, 0, v2, s1
	v_cmp_gt_i32_e64 s1, s27, v35
	v_cndmask_b32_e32 v47, 0, v47, vcc_lo
	v_cmp_gt_i32_e32 vcc_lo, s27, v39
	v_cndmask_b32_e64 v10, 0, v10, s1
	v_cndmask_b32_sdwa v4, v26, v4, vcc_lo dst_sel:DWORD dst_unused:UNUSED_PAD src0_sel:DWORD src1_sel:WORD_0
	v_cmp_gt_i32_e32 vcc_lo, s27, v34
	v_cndmask_b32_e32 v48, 0, v48, vcc_lo
	v_cmp_gt_i32_e32 vcc_lo, s27, v33
	v_or_b32_e32 v4, v4, v48
	v_cndmask_b32_e32 v3, 0, v3, vcc_lo
	v_cmp_gt_i32_e32 vcc_lo, s27, v32
	v_cndmask_b32_e32 v9, 0, v9, vcc_lo
.LBB111_43:                             ;   in Loop: Header=BB111_38 Depth=1
	s_or_b32 exec_lo, exec_lo, s14
	v_lshlrev_b32_e32 v47, 16, v47
	v_lshlrev_b32_e32 v10, 16, v10
	;; [unrolled: 1-line block ×3, first 2 shown]
	v_and_or_b32 v1, 0xffff, v1, v47
	v_and_or_b32 v2, 0xffff, v2, v10
	;; [unrolled: 1-line block ×3, first 2 shown]
	;;#ASMSTART
	v_pk_mul_f16 v1, v40, v1;

	;;#ASMEND
	;;#ASMSTART
	v_pk_mul_f16 v2, v38, v2;

	;;#ASMEND
	;; [unrolled: 4-line block ×4, first 2 shown]
	;;#ASMSTART
	v_pk_add_f16 v1, v1, v2;

	;;#ASMEND
	;;#ASMSTART
	v_pk_add_f16 v1, v1, v3;

	;;#ASMEND
	;;#ASMSTART
	v_pk_add_f16 v1, v1, v4;

	;;#ASMEND
	v_and_b32_e32 v2, 0xffff, v1
	v_lshrrev_b32_e32 v1, 16, v1
	;;#ASMSTART
	v_cvt_f32_f16 v47, v2;
	;;#ASMEND
	;;#ASMSTART
	v_cvt_f32_f16 v48, v1;
	;;#ASMEND
	global_load_dwordx4 v[1:4], v[7:8], off offset:1024
	s_waitcnt vmcnt(0)
	v_lshrrev_b32_e32 v52, 16, v1
	v_lshrrev_b32_e32 v10, 16, v2
	;; [unrolled: 1-line block ×3, first 2 shown]
	s_and_saveexec_b32 s14, s0
	s_cbranch_execz .LBB111_45
; %bb.44:                               ;   in Loop: Header=BB111_38 Depth=1
	v_cmp_gt_i32_e32 vcc_lo, s27, v37
	v_and_b32_e32 v53, 0xffff0000, v4
	v_cmp_gt_i32_e64 s1, s27, v36
	v_cndmask_b32_e32 v1, 0, v1, vcc_lo
	v_cmp_gt_i32_e32 vcc_lo, s27, v46
	v_cndmask_b32_e64 v2, 0, v2, s1
	v_cmp_gt_i32_e64 s1, s27, v35
	v_cndmask_b32_e32 v52, 0, v52, vcc_lo
	v_cmp_gt_i32_e32 vcc_lo, s27, v39
	v_cndmask_b32_e64 v10, 0, v10, s1
	v_cndmask_b32_sdwa v4, v26, v4, vcc_lo dst_sel:DWORD dst_unused:UNUSED_PAD src0_sel:DWORD src1_sel:WORD_0
	v_cmp_gt_i32_e32 vcc_lo, s27, v34
	v_cndmask_b32_e32 v53, 0, v53, vcc_lo
	v_cmp_gt_i32_e32 vcc_lo, s27, v33
	v_or_b32_e32 v4, v4, v53
	v_cndmask_b32_e32 v3, 0, v3, vcc_lo
	v_cmp_gt_i32_e32 vcc_lo, s27, v32
	v_cndmask_b32_e32 v9, 0, v9, vcc_lo
.LBB111_45:                             ;   in Loop: Header=BB111_38 Depth=1
	s_or_b32 exec_lo, exec_lo, s14
	v_lshlrev_b32_e32 v52, 16, v52
	v_lshlrev_b32_e32 v10, 16, v10
	v_lshlrev_b32_e32 v9, 16, v9
	v_and_or_b32 v1, 0xffff, v1, v52
	v_and_or_b32 v2, 0xffff, v2, v10
	;; [unrolled: 1-line block ×3, first 2 shown]
	;;#ASMSTART
	v_pk_mul_f16 v1, v40, v1;

	;;#ASMEND
	;;#ASMSTART
	v_pk_mul_f16 v2, v38, v2;

	;;#ASMEND
	;; [unrolled: 4-line block ×4, first 2 shown]
	;;#ASMSTART
	v_pk_add_f16 v1, v1, v2;

	;;#ASMEND
	;;#ASMSTART
	v_pk_add_f16 v1, v1, v3;

	;;#ASMEND
	;; [unrolled: 4-line block ×3, first 2 shown]
	v_and_b32_e32 v2, 0xffff, v1
	v_lshrrev_b32_e32 v1, 16, v1
	;;#ASMSTART
	v_cvt_f32_f16 v52, v2;
	;;#ASMEND
	;;#ASMSTART
	v_cvt_f32_f16 v53, v1;
	;;#ASMEND
	global_load_dwordx4 v[1:4], v[7:8], off offset:1536
	s_waitcnt vmcnt(0)
	v_lshrrev_b32_e32 v54, 16, v1
	v_lshrrev_b32_e32 v10, 16, v2
	;; [unrolled: 1-line block ×3, first 2 shown]
	s_and_saveexec_b32 s14, s0
	s_cbranch_execz .LBB111_47
; %bb.46:                               ;   in Loop: Header=BB111_38 Depth=1
	v_cmp_gt_i32_e32 vcc_lo, s27, v37
	v_and_b32_e32 v55, 0xffff0000, v4
	v_cmp_gt_i32_e64 s1, s27, v36
	v_cndmask_b32_e32 v1, 0, v1, vcc_lo
	v_cmp_gt_i32_e32 vcc_lo, s27, v46
	v_cndmask_b32_e64 v2, 0, v2, s1
	v_cmp_gt_i32_e64 s1, s27, v35
	v_cndmask_b32_e32 v54, 0, v54, vcc_lo
	v_cmp_gt_i32_e32 vcc_lo, s27, v39
	v_cndmask_b32_e64 v10, 0, v10, s1
	v_cndmask_b32_sdwa v4, v26, v4, vcc_lo dst_sel:DWORD dst_unused:UNUSED_PAD src0_sel:DWORD src1_sel:WORD_0
	v_cmp_gt_i32_e32 vcc_lo, s27, v34
	v_cndmask_b32_e32 v55, 0, v55, vcc_lo
	v_cmp_gt_i32_e32 vcc_lo, s27, v33
	v_or_b32_e32 v4, v4, v55
	v_cndmask_b32_e32 v3, 0, v3, vcc_lo
	v_cmp_gt_i32_e32 vcc_lo, s27, v32
	v_cndmask_b32_e32 v9, 0, v9, vcc_lo
.LBB111_47:                             ;   in Loop: Header=BB111_38 Depth=1
	s_or_b32 exec_lo, exec_lo, s14
	v_lshlrev_b32_e32 v9, 16, v9
	v_lshlrev_b32_e32 v54, 16, v54
	v_lshlrev_b32_e32 v10, 16, v10
	v_and_or_b32 v3, 0xffff, v3, v9
	v_add_co_u32 v9, vcc_lo, 0x800, v7
	v_and_or_b32 v1, 0xffff, v1, v54
	v_and_or_b32 v2, 0xffff, v2, v10
	;;#ASMSTART
	v_pk_mul_f16 v1, v40, v1;

	;;#ASMEND
	v_add_co_ci_u32_e64 v10, null, 0, v8, vcc_lo
	;;#ASMSTART
	v_pk_mul_f16 v2, v38, v2;

	;;#ASMEND
	;;#ASMSTART
	v_pk_mul_f16 v3, v43, v3;

	;;#ASMEND
	;; [unrolled: 4-line block ×3, first 2 shown]
	;;#ASMSTART
	v_pk_add_f16 v1, v1, v2;

	;;#ASMEND
	;;#ASMSTART
	v_pk_add_f16 v1, v1, v3;

	;;#ASMEND
	;; [unrolled: 4-line block ×3, first 2 shown]
	v_lshrrev_b32_e32 v2, 16, v1
	v_and_b32_e32 v1, 0xffff, v1
	;;#ASMSTART
	v_cvt_f32_f16 v54, v1;
	;;#ASMEND
	;;#ASMSTART
	v_cvt_f32_f16 v55, v2;
	;;#ASMEND
	global_load_dwordx4 v[1:4], v[9:10], off
	s_waitcnt vmcnt(0)
	v_lshrrev_b32_e32 v58, 16, v1
	v_lshrrev_b32_e32 v57, 16, v2
	v_lshrrev_b32_e32 v56, 16, v3
	s_and_saveexec_b32 s14, s0
	s_cbranch_execz .LBB111_49
; %bb.48:                               ;   in Loop: Header=BB111_38 Depth=1
	v_cmp_gt_i32_e32 vcc_lo, s27, v37
	v_and_b32_e32 v59, 0xffff0000, v4
	v_cmp_gt_i32_e64 s1, s27, v36
	v_cndmask_b32_e32 v1, 0, v1, vcc_lo
	v_cmp_gt_i32_e32 vcc_lo, s27, v46
	v_cndmask_b32_e64 v2, 0, v2, s1
	v_cmp_gt_i32_e64 s1, s27, v35
	v_cndmask_b32_e32 v58, 0, v58, vcc_lo
	v_cmp_gt_i32_e32 vcc_lo, s27, v39
	v_cndmask_b32_e64 v57, 0, v57, s1
	v_cndmask_b32_sdwa v4, v26, v4, vcc_lo dst_sel:DWORD dst_unused:UNUSED_PAD src0_sel:DWORD src1_sel:WORD_0
	v_cmp_gt_i32_e32 vcc_lo, s27, v34
	v_cndmask_b32_e32 v59, 0, v59, vcc_lo
	v_cmp_gt_i32_e32 vcc_lo, s27, v33
	v_or_b32_e32 v4, v4, v59
	v_cndmask_b32_e32 v3, 0, v3, vcc_lo
	v_cmp_gt_i32_e32 vcc_lo, s27, v32
	v_cndmask_b32_e32 v56, 0, v56, vcc_lo
.LBB111_49:                             ;   in Loop: Header=BB111_38 Depth=1
	s_or_b32 exec_lo, exec_lo, s14
	v_lshlrev_b32_e32 v58, 16, v58
	v_lshlrev_b32_e32 v57, 16, v57
	;; [unrolled: 1-line block ×3, first 2 shown]
	v_and_or_b32 v1, 0xffff, v1, v58
	v_and_or_b32 v2, 0xffff, v2, v57
	;; [unrolled: 1-line block ×3, first 2 shown]
	;;#ASMSTART
	v_pk_mul_f16 v1, v40, v1;

	;;#ASMEND
	;;#ASMSTART
	v_pk_mul_f16 v2, v38, v2;

	;;#ASMEND
	;; [unrolled: 4-line block ×4, first 2 shown]
	;;#ASMSTART
	v_pk_add_f16 v1, v1, v2;

	;;#ASMEND
	;;#ASMSTART
	v_pk_add_f16 v1, v1, v3;

	;;#ASMEND
	;; [unrolled: 4-line block ×3, first 2 shown]
	v_and_b32_e32 v2, 0xffff, v1
	v_lshrrev_b32_e32 v1, 16, v1
	;;#ASMSTART
	v_cvt_f32_f16 v56, v2;
	;;#ASMEND
	;;#ASMSTART
	v_cvt_f32_f16 v57, v1;
	;;#ASMEND
	global_load_dwordx4 v[1:4], v[9:10], off offset:512
	s_waitcnt vmcnt(0)
	v_lshrrev_b32_e32 v60, 16, v1
	v_lshrrev_b32_e32 v59, 16, v2
	v_lshrrev_b32_e32 v58, 16, v3
	s_and_saveexec_b32 s14, s0
	s_cbranch_execz .LBB111_51
; %bb.50:                               ;   in Loop: Header=BB111_38 Depth=1
	v_cmp_gt_i32_e32 vcc_lo, s27, v37
	v_and_b32_e32 v61, 0xffff0000, v4
	v_cmp_gt_i32_e64 s1, s27, v36
	v_cndmask_b32_e32 v1, 0, v1, vcc_lo
	v_cmp_gt_i32_e32 vcc_lo, s27, v46
	v_cndmask_b32_e64 v2, 0, v2, s1
	v_cmp_gt_i32_e64 s1, s27, v35
	v_cndmask_b32_e32 v60, 0, v60, vcc_lo
	v_cmp_gt_i32_e32 vcc_lo, s27, v39
	v_cndmask_b32_e64 v59, 0, v59, s1
	v_cndmask_b32_sdwa v4, v26, v4, vcc_lo dst_sel:DWORD dst_unused:UNUSED_PAD src0_sel:DWORD src1_sel:WORD_0
	v_cmp_gt_i32_e32 vcc_lo, s27, v34
	v_cndmask_b32_e32 v61, 0, v61, vcc_lo
	v_cmp_gt_i32_e32 vcc_lo, s27, v33
	v_or_b32_e32 v4, v4, v61
	v_cndmask_b32_e32 v3, 0, v3, vcc_lo
	v_cmp_gt_i32_e32 vcc_lo, s27, v32
	v_cndmask_b32_e32 v58, 0, v58, vcc_lo
.LBB111_51:                             ;   in Loop: Header=BB111_38 Depth=1
	s_or_b32 exec_lo, exec_lo, s14
	v_lshlrev_b32_e32 v60, 16, v60
	v_lshlrev_b32_e32 v59, 16, v59
	v_lshlrev_b32_e32 v58, 16, v58
	v_and_or_b32 v1, 0xffff, v1, v60
	v_and_or_b32 v2, 0xffff, v2, v59
	;; [unrolled: 1-line block ×3, first 2 shown]
	;;#ASMSTART
	v_pk_mul_f16 v1, v40, v1;

	;;#ASMEND
	;;#ASMSTART
	v_pk_mul_f16 v2, v38, v2;

	;;#ASMEND
	;; [unrolled: 4-line block ×4, first 2 shown]
	;;#ASMSTART
	v_pk_add_f16 v1, v1, v2;

	;;#ASMEND
	;;#ASMSTART
	v_pk_add_f16 v1, v1, v3;

	;;#ASMEND
	;; [unrolled: 4-line block ×3, first 2 shown]
	v_and_b32_e32 v2, 0xffff, v1
	v_lshrrev_b32_e32 v1, 16, v1
	;;#ASMSTART
	v_cvt_f32_f16 v58, v2;
	;;#ASMEND
	;;#ASMSTART
	v_cvt_f32_f16 v59, v1;
	;;#ASMEND
	global_load_dwordx4 v[1:4], v[9:10], off offset:1024
	s_waitcnt vmcnt(0)
	v_lshrrev_b32_e32 v62, 16, v1
	v_lshrrev_b32_e32 v61, 16, v2
	;; [unrolled: 1-line block ×3, first 2 shown]
	s_and_saveexec_b32 s14, s0
	s_cbranch_execz .LBB111_53
; %bb.52:                               ;   in Loop: Header=BB111_38 Depth=1
	v_cmp_gt_i32_e32 vcc_lo, s27, v37
	v_and_b32_e32 v63, 0xffff0000, v4
	v_cmp_gt_i32_e64 s1, s27, v36
	v_cndmask_b32_e32 v1, 0, v1, vcc_lo
	v_cmp_gt_i32_e32 vcc_lo, s27, v46
	v_cndmask_b32_e64 v2, 0, v2, s1
	v_cmp_gt_i32_e64 s1, s27, v35
	v_cndmask_b32_e32 v62, 0, v62, vcc_lo
	v_cmp_gt_i32_e32 vcc_lo, s27, v39
	v_cndmask_b32_e64 v61, 0, v61, s1
	v_cndmask_b32_sdwa v4, v26, v4, vcc_lo dst_sel:DWORD dst_unused:UNUSED_PAD src0_sel:DWORD src1_sel:WORD_0
	v_cmp_gt_i32_e32 vcc_lo, s27, v34
	v_cndmask_b32_e32 v63, 0, v63, vcc_lo
	v_cmp_gt_i32_e32 vcc_lo, s27, v33
	v_or_b32_e32 v4, v4, v63
	v_cndmask_b32_e32 v3, 0, v3, vcc_lo
	v_cmp_gt_i32_e32 vcc_lo, s27, v32
	v_cndmask_b32_e32 v60, 0, v60, vcc_lo
.LBB111_53:                             ;   in Loop: Header=BB111_38 Depth=1
	s_or_b32 exec_lo, exec_lo, s14
	v_lshlrev_b32_e32 v62, 16, v62
	v_lshlrev_b32_e32 v61, 16, v61
	;; [unrolled: 1-line block ×3, first 2 shown]
	v_and_or_b32 v1, 0xffff, v1, v62
	v_and_or_b32 v2, 0xffff, v2, v61
	;; [unrolled: 1-line block ×3, first 2 shown]
	;;#ASMSTART
	v_pk_mul_f16 v1, v40, v1;

	;;#ASMEND
	;;#ASMSTART
	v_pk_mul_f16 v2, v38, v2;

	;;#ASMEND
	;; [unrolled: 4-line block ×4, first 2 shown]
	;;#ASMSTART
	v_pk_add_f16 v1, v1, v2;

	;;#ASMEND
	;;#ASMSTART
	v_pk_add_f16 v1, v1, v3;

	;;#ASMEND
	;; [unrolled: 4-line block ×3, first 2 shown]
	v_and_b32_e32 v2, 0xffff, v1
	v_lshrrev_b32_e32 v1, 16, v1
	;;#ASMSTART
	v_cvt_f32_f16 v60, v2;
	;;#ASMEND
	;;#ASMSTART
	v_cvt_f32_f16 v61, v1;
	;;#ASMEND
	global_load_dwordx4 v[1:4], v[9:10], off offset:1536
	s_waitcnt vmcnt(0)
	v_lshrrev_b32_e32 v62, 16, v1
	v_lshrrev_b32_e32 v10, 16, v2
	;; [unrolled: 1-line block ×3, first 2 shown]
	s_and_saveexec_b32 s14, s0
	s_cbranch_execz .LBB111_55
; %bb.54:                               ;   in Loop: Header=BB111_38 Depth=1
	v_cmp_gt_i32_e32 vcc_lo, s27, v37
	v_and_b32_e32 v63, 0xffff0000, v4
	v_cmp_gt_i32_e64 s1, s27, v36
	v_cndmask_b32_e32 v1, 0, v1, vcc_lo
	v_cmp_gt_i32_e32 vcc_lo, s27, v46
	v_cndmask_b32_e64 v2, 0, v2, s1
	v_cmp_gt_i32_e64 s1, s27, v35
	v_cndmask_b32_e32 v62, 0, v62, vcc_lo
	v_cmp_gt_i32_e32 vcc_lo, s27, v39
	v_cndmask_b32_e64 v10, 0, v10, s1
	v_cndmask_b32_sdwa v4, v26, v4, vcc_lo dst_sel:DWORD dst_unused:UNUSED_PAD src0_sel:DWORD src1_sel:WORD_0
	v_cmp_gt_i32_e32 vcc_lo, s27, v34
	v_cndmask_b32_e32 v63, 0, v63, vcc_lo
	v_cmp_gt_i32_e32 vcc_lo, s27, v33
	v_or_b32_e32 v4, v4, v63
	v_cndmask_b32_e32 v3, 0, v3, vcc_lo
	v_cmp_gt_i32_e32 vcc_lo, s27, v32
	v_cndmask_b32_e32 v9, 0, v9, vcc_lo
.LBB111_55:                             ;   in Loop: Header=BB111_38 Depth=1
	s_or_b32 exec_lo, exec_lo, s14
	v_lshlrev_b32_e32 v62, 16, v62
	v_lshlrev_b32_e32 v10, 16, v10
	v_lshlrev_b32_e32 v9, 16, v9
	v_add_co_u32 v7, vcc_lo, 0x1000, v7
	v_and_or_b32 v1, 0xffff, v1, v62
	v_and_or_b32 v2, 0xffff, v2, v10
	;; [unrolled: 1-line block ×3, first 2 shown]
	;;#ASMSTART
	v_pk_mul_f16 v1, v40, v1;

	;;#ASMEND
	v_add_co_ci_u32_e64 v8, null, 0, v8, vcc_lo
	;;#ASMSTART
	v_pk_mul_f16 v2, v38, v2;

	;;#ASMEND
	;;#ASMSTART
	v_pk_mul_f16 v3, v43, v3;

	;;#ASMEND
	;; [unrolled: 4-line block ×3, first 2 shown]
	;;#ASMSTART
	v_pk_add_f16 v1, v1, v2;

	;;#ASMEND
	;;#ASMSTART
	v_pk_add_f16 v1, v1, v3;

	;;#ASMEND
	;; [unrolled: 4-line block ×3, first 2 shown]
	v_lshrrev_b32_e32 v2, 16, v1
	v_and_b32_e32 v1, 0xffff, v1
	;;#ASMSTART
	v_cvt_f32_f16 v9, v1;
	;;#ASMEND
	;;#ASMSTART
	v_cvt_f32_f16 v10, v2;
	;;#ASMEND
	global_load_dwordx4 v[1:4], v[7:8], off
	s_waitcnt vmcnt(0)
	v_lshrrev_b32_e32 v64, 16, v1
	v_lshrrev_b32_e32 v63, 16, v2
	;; [unrolled: 1-line block ×3, first 2 shown]
	s_and_saveexec_b32 s14, s0
	s_cbranch_execz .LBB111_57
; %bb.56:                               ;   in Loop: Header=BB111_38 Depth=1
	v_cmp_gt_i32_e32 vcc_lo, s27, v37
	v_and_b32_e32 v65, 0xffff0000, v4
	v_cmp_gt_i32_e64 s1, s27, v36
	v_cndmask_b32_e32 v1, 0, v1, vcc_lo
	v_cmp_gt_i32_e32 vcc_lo, s27, v46
	v_cndmask_b32_e64 v2, 0, v2, s1
	v_cmp_gt_i32_e64 s1, s27, v35
	v_cndmask_b32_e32 v64, 0, v64, vcc_lo
	v_cmp_gt_i32_e32 vcc_lo, s27, v39
	v_cndmask_b32_e64 v63, 0, v63, s1
	v_cndmask_b32_sdwa v4, v26, v4, vcc_lo dst_sel:DWORD dst_unused:UNUSED_PAD src0_sel:DWORD src1_sel:WORD_0
	v_cmp_gt_i32_e32 vcc_lo, s27, v34
	v_cndmask_b32_e32 v65, 0, v65, vcc_lo
	v_cmp_gt_i32_e32 vcc_lo, s27, v33
	v_or_b32_e32 v4, v4, v65
	v_cndmask_b32_e32 v3, 0, v3, vcc_lo
	v_cmp_gt_i32_e32 vcc_lo, s27, v32
	v_cndmask_b32_e32 v62, 0, v62, vcc_lo
.LBB111_57:                             ;   in Loop: Header=BB111_38 Depth=1
	s_or_b32 exec_lo, exec_lo, s14
	v_lshlrev_b32_e32 v64, 16, v64
	v_lshlrev_b32_e32 v63, 16, v63
	;; [unrolled: 1-line block ×3, first 2 shown]
	v_and_or_b32 v1, 0xffff, v1, v64
	v_and_or_b32 v2, 0xffff, v2, v63
	;; [unrolled: 1-line block ×3, first 2 shown]
	;;#ASMSTART
	v_pk_mul_f16 v1, v40, v1;

	;;#ASMEND
	;;#ASMSTART
	v_pk_mul_f16 v2, v38, v2;

	;;#ASMEND
	;; [unrolled: 4-line block ×4, first 2 shown]
	;;#ASMSTART
	v_pk_add_f16 v1, v1, v2;

	;;#ASMEND
	;;#ASMSTART
	v_pk_add_f16 v1, v1, v3;

	;;#ASMEND
	;; [unrolled: 4-line block ×3, first 2 shown]
	v_and_b32_e32 v2, 0xffff, v1
	v_lshrrev_b32_e32 v1, 16, v1
	;;#ASMSTART
	v_cvt_f32_f16 v62, v2;
	;;#ASMEND
	;;#ASMSTART
	v_cvt_f32_f16 v63, v1;
	;;#ASMEND
	global_load_dwordx4 v[1:4], v[7:8], off offset:512
	s_waitcnt vmcnt(0)
	v_lshrrev_b32_e32 v66, 16, v1
	v_lshrrev_b32_e32 v65, 16, v2
	v_lshrrev_b32_e32 v64, 16, v3
	s_and_saveexec_b32 s14, s0
	s_cbranch_execz .LBB111_59
; %bb.58:                               ;   in Loop: Header=BB111_38 Depth=1
	v_cmp_gt_i32_e32 vcc_lo, s27, v37
	v_and_b32_e32 v67, 0xffff0000, v4
	v_cmp_gt_i32_e64 s1, s27, v36
	v_cndmask_b32_e32 v1, 0, v1, vcc_lo
	v_cmp_gt_i32_e32 vcc_lo, s27, v46
	v_cndmask_b32_e64 v2, 0, v2, s1
	v_cmp_gt_i32_e64 s1, s27, v35
	v_cndmask_b32_e32 v66, 0, v66, vcc_lo
	v_cmp_gt_i32_e32 vcc_lo, s27, v39
	v_cndmask_b32_e64 v65, 0, v65, s1
	v_cndmask_b32_sdwa v4, v26, v4, vcc_lo dst_sel:DWORD dst_unused:UNUSED_PAD src0_sel:DWORD src1_sel:WORD_0
	v_cmp_gt_i32_e32 vcc_lo, s27, v34
	v_cndmask_b32_e32 v67, 0, v67, vcc_lo
	v_cmp_gt_i32_e32 vcc_lo, s27, v33
	v_or_b32_e32 v4, v4, v67
	v_cndmask_b32_e32 v3, 0, v3, vcc_lo
	v_cmp_gt_i32_e32 vcc_lo, s27, v32
	v_cndmask_b32_e32 v64, 0, v64, vcc_lo
.LBB111_59:                             ;   in Loop: Header=BB111_38 Depth=1
	s_or_b32 exec_lo, exec_lo, s14
	v_lshlrev_b32_e32 v66, 16, v66
	v_lshlrev_b32_e32 v65, 16, v65
	;; [unrolled: 1-line block ×3, first 2 shown]
	v_and_or_b32 v1, 0xffff, v1, v66
	v_and_or_b32 v2, 0xffff, v2, v65
	;; [unrolled: 1-line block ×3, first 2 shown]
	;;#ASMSTART
	v_pk_mul_f16 v1, v40, v1;

	;;#ASMEND
	;;#ASMSTART
	v_pk_mul_f16 v2, v38, v2;

	;;#ASMEND
	;; [unrolled: 4-line block ×4, first 2 shown]
	;;#ASMSTART
	v_pk_add_f16 v1, v1, v2;

	;;#ASMEND
	;;#ASMSTART
	v_pk_add_f16 v1, v1, v3;

	;;#ASMEND
	;; [unrolled: 4-line block ×3, first 2 shown]
	v_and_b32_e32 v2, 0xffff, v1
	v_lshrrev_b32_e32 v1, 16, v1
	;;#ASMSTART
	v_cvt_f32_f16 v64, v2;
	;;#ASMEND
	;;#ASMSTART
	v_cvt_f32_f16 v65, v1;
	;;#ASMEND
	global_load_dwordx4 v[1:4], v[7:8], off offset:1024
	s_waitcnt vmcnt(0)
	v_lshrrev_b32_e32 v68, 16, v1
	v_lshrrev_b32_e32 v67, 16, v2
	;; [unrolled: 1-line block ×3, first 2 shown]
	s_and_saveexec_b32 s14, s0
	s_cbranch_execz .LBB111_61
; %bb.60:                               ;   in Loop: Header=BB111_38 Depth=1
	v_cmp_gt_i32_e32 vcc_lo, s27, v37
	v_and_b32_e32 v69, 0xffff0000, v4
	v_cmp_gt_i32_e64 s1, s27, v36
	v_cndmask_b32_e32 v1, 0, v1, vcc_lo
	v_cmp_gt_i32_e32 vcc_lo, s27, v46
	v_cndmask_b32_e64 v2, 0, v2, s1
	v_cmp_gt_i32_e64 s1, s27, v35
	v_cndmask_b32_e32 v68, 0, v68, vcc_lo
	v_cmp_gt_i32_e32 vcc_lo, s27, v39
	v_cndmask_b32_e64 v67, 0, v67, s1
	v_cndmask_b32_sdwa v4, v26, v4, vcc_lo dst_sel:DWORD dst_unused:UNUSED_PAD src0_sel:DWORD src1_sel:WORD_0
	v_cmp_gt_i32_e32 vcc_lo, s27, v34
	v_cndmask_b32_e32 v69, 0, v69, vcc_lo
	v_cmp_gt_i32_e32 vcc_lo, s27, v33
	v_or_b32_e32 v4, v4, v69
	v_cndmask_b32_e32 v3, 0, v3, vcc_lo
	v_cmp_gt_i32_e32 vcc_lo, s27, v32
	v_cndmask_b32_e32 v66, 0, v66, vcc_lo
.LBB111_61:                             ;   in Loop: Header=BB111_38 Depth=1
	s_or_b32 exec_lo, exec_lo, s14
	v_lshlrev_b32_e32 v68, 16, v68
	v_lshlrev_b32_e32 v67, 16, v67
	v_lshlrev_b32_e32 v66, 16, v66
	v_and_or_b32 v1, 0xffff, v1, v68
	v_and_or_b32 v2, 0xffff, v2, v67
	;; [unrolled: 1-line block ×3, first 2 shown]
	;;#ASMSTART
	v_pk_mul_f16 v1, v40, v1;

	;;#ASMEND
	;;#ASMSTART
	v_pk_mul_f16 v2, v38, v2;

	;;#ASMEND
	;; [unrolled: 4-line block ×4, first 2 shown]
	;;#ASMSTART
	v_pk_add_f16 v1, v1, v2;

	;;#ASMEND
	;;#ASMSTART
	v_pk_add_f16 v1, v1, v3;

	;;#ASMEND
	;; [unrolled: 4-line block ×3, first 2 shown]
	v_and_b32_e32 v2, 0xffff, v1
	v_lshrrev_b32_e32 v1, 16, v1
	;;#ASMSTART
	v_cvt_f32_f16 v67, v2;
	;;#ASMEND
	;;#ASMSTART
	v_cvt_f32_f16 v68, v1;
	;;#ASMEND
	global_load_dwordx4 v[1:4], v[7:8], off offset:1536
	s_waitcnt vmcnt(0)
	v_lshrrev_b32_e32 v66, 16, v1
	v_lshrrev_b32_e32 v8, 16, v2
	;; [unrolled: 1-line block ×3, first 2 shown]
	s_and_saveexec_b32 s1, s0
	s_cbranch_execz .LBB111_36
; %bb.62:                               ;   in Loop: Header=BB111_38 Depth=1
	v_cmp_gt_i32_e32 vcc_lo, s27, v37
	v_cmp_gt_i32_e64 s0, s27, v36
	v_cndmask_b32_e32 v1, 0, v1, vcc_lo
	v_cmp_gt_i32_e32 vcc_lo, s27, v46
	v_cndmask_b32_e64 v2, 0, v2, s0
	v_cmp_gt_i32_e64 s0, s27, v35
	v_and_b32_e32 v35, 0xffff0000, v4
	v_cndmask_b32_e32 v66, 0, v66, vcc_lo
	v_cmp_gt_i32_e32 vcc_lo, s27, v39
	v_cndmask_b32_e64 v8, 0, v8, s0
	v_cndmask_b32_sdwa v4, v26, v4, vcc_lo dst_sel:DWORD dst_unused:UNUSED_PAD src0_sel:DWORD src1_sel:WORD_0
	v_cmp_gt_i32_e32 vcc_lo, s27, v34
	v_cndmask_b32_e32 v34, 0, v35, vcc_lo
	v_cmp_gt_i32_e32 vcc_lo, s27, v33
	v_or_b32_e32 v4, v4, v34
	v_cndmask_b32_e32 v3, 0, v3, vcc_lo
	v_cmp_gt_i32_e32 vcc_lo, s27, v32
	v_cndmask_b32_e32 v7, 0, v7, vcc_lo
	s_branch .LBB111_36
.LBB111_63:
	s_or_b32 exec_lo, exec_lo, s6
.LBB111_64:
	s_or_b32 exec_lo, exec_lo, s3
	ds_bpermute_b32 v1, v12, v25
	ds_bpermute_b32 v10, v12, v16
	;; [unrolled: 1-line block ×12, first 2 shown]
	s_mov_b32 s0, exec_lo
	s_waitcnt lgkmcnt(0)
	s_waitcnt_vscnt null, 0x0
	s_barrier
	buffer_gl0_inv
	v_add_f32_e32 v1, v25, v1
	v_add_f32_e32 v16, v16, v10
	;; [unrolled: 1-line block ×12, first 2 shown]
	ds_bpermute_b32 v7, v11, v1
	ds_bpermute_b32 v26, v11, v16
	;; [unrolled: 1-line block ×12, first 2 shown]
	s_waitcnt lgkmcnt(11)
	v_add_f32_e32 v12, v1, v7
	s_waitcnt lgkmcnt(10)
	v_add_f32_e32 v1, v16, v26
	v_and_b32_e32 v16, 28, v50
	s_waitcnt lgkmcnt(9)
	v_add_f32_e32 v11, v2, v8
	s_waitcnt lgkmcnt(8)
	v_add_f32_e32 v10, v3, v9
	;; [unrolled: 2-line block ×9, first 2 shown]
	v_and_b32_e32 v17, 0x3c3, v0
	s_waitcnt lgkmcnt(0)
	v_add_f32_e32 v5, v14, v28
	v_lshrrev_b32_e32 v15, 2, v50
	v_add_nc_u32_e32 v14, 0xe0, v16
	v_mul_u32_u24_e32 v16, 0x180, v49
	v_cmpx_eq_u32_e32 64, v17
	s_cbranch_execz .LBB111_66
; %bb.65:
	v_add_nc_u32_e32 v17, v14, v16
	v_add_nc_u32_e32 v18, 0xfffffd00, v17
	;; [unrolled: 1-line block ×8, first 2 shown]
	ds_write_b32 v18, v12
	ds_write_b32 v19, v11
	;; [unrolled: 1-line block ×7, first 2 shown]
	v_add_nc_u32_e32 v18, 0xfffffde0, v17
	v_add_nc_u32_e32 v19, 0xfffffe00, v17
	;; [unrolled: 1-line block ×5, first 2 shown]
	ds_write_b32 v18, v3
	ds_write_b32 v19, v2
	;; [unrolled: 1-line block ×5, first 2 shown]
.LBB111_66:
	s_or_b32 exec_lo, exec_lo, s0
	v_lshlrev_b32_e32 v15, 2, v15
	v_cmp_eq_u32_e32 vcc_lo, 0, v13
	s_mov_b32 s1, exec_lo
	s_waitcnt lgkmcnt(0)
	s_barrier
	v_add3_u32 v13, 0xe0, v16, v15
	buffer_gl0_inv
	v_cmpx_gt_u32_e32 64, v0
	s_cbranch_execz .LBB111_81
; %bb.67:
	s_and_saveexec_b32 s0, vcc_lo
	s_cbranch_execnz .LBB111_101
; %bb.68:
	s_or_b32 exec_lo, exec_lo, s0
	s_and_saveexec_b32 s0, vcc_lo
	s_cbranch_execnz .LBB111_102
.LBB111_69:
	s_or_b32 exec_lo, exec_lo, s0
	s_and_saveexec_b32 s0, vcc_lo
	s_cbranch_execnz .LBB111_103
.LBB111_70:
	s_or_b32 exec_lo, exec_lo, s0
	s_and_saveexec_b32 s0, vcc_lo
	s_cbranch_execnz .LBB111_104
.LBB111_71:
	s_or_b32 exec_lo, exec_lo, s0
	s_and_saveexec_b32 s0, vcc_lo
	s_cbranch_execnz .LBB111_105
.LBB111_72:
	s_or_b32 exec_lo, exec_lo, s0
	s_and_saveexec_b32 s0, vcc_lo
	s_cbranch_execnz .LBB111_106
.LBB111_73:
	s_or_b32 exec_lo, exec_lo, s0
	s_and_saveexec_b32 s0, vcc_lo
	s_cbranch_execnz .LBB111_107
.LBB111_74:
	s_or_b32 exec_lo, exec_lo, s0
	s_and_saveexec_b32 s0, vcc_lo
	s_cbranch_execnz .LBB111_108
.LBB111_75:
	s_or_b32 exec_lo, exec_lo, s0
	s_and_saveexec_b32 s0, vcc_lo
	s_cbranch_execnz .LBB111_109
.LBB111_76:
	s_or_b32 exec_lo, exec_lo, s0
	s_and_saveexec_b32 s0, vcc_lo
	s_cbranch_execnz .LBB111_110
.LBB111_77:
	s_or_b32 exec_lo, exec_lo, s0
	s_and_saveexec_b32 s0, vcc_lo
	s_cbranch_execnz .LBB111_111
.LBB111_78:
	s_or_b32 exec_lo, exec_lo, s0
	s_and_saveexec_b32 s0, vcc_lo
	s_cbranch_execz .LBB111_80
.LBB111_79:
	ds_read_b32 v15, v13 offset:352
	s_waitcnt lgkmcnt(0)
	v_add_f32_e32 v5, v5, v15
.LBB111_80:
	s_or_b32 exec_lo, exec_lo, s0
.LBB111_81:
	s_or_b32 exec_lo, exec_lo, s1
	v_and_b32_e32 v15, 0x3e3, v0
	s_mov_b32 s1, exec_lo
	s_barrier
	buffer_gl0_inv
	v_cmpx_eq_u32_e32 32, v15
	s_cbranch_execz .LBB111_83
; %bb.82:
	ds_write2_b32 v14, v12, v11 offset1:8
	ds_write2_b32 v14, v10, v9 offset0:16 offset1:24
	ds_write2_b32 v14, v8, v7 offset0:32 offset1:40
	;; [unrolled: 1-line block ×5, first 2 shown]
.LBB111_83:
	s_or_b32 exec_lo, exec_lo, s1
	s_mov_b32 s1, exec_lo
	s_waitcnt lgkmcnt(0)
	s_barrier
	buffer_gl0_inv
	v_cmpx_gt_u32_e32 32, v0
	s_cbranch_execz .LBB111_98
; %bb.84:
	s_and_saveexec_b32 s0, vcc_lo
	s_cbranch_execnz .LBB111_112
; %bb.85:
	s_or_b32 exec_lo, exec_lo, s0
	s_and_saveexec_b32 s0, vcc_lo
	s_cbranch_execnz .LBB111_113
.LBB111_86:
	s_or_b32 exec_lo, exec_lo, s0
	s_and_saveexec_b32 s0, vcc_lo
	s_cbranch_execnz .LBB111_114
.LBB111_87:
	s_or_b32 exec_lo, exec_lo, s0
	s_and_saveexec_b32 s0, vcc_lo
	s_cbranch_execnz .LBB111_115
.LBB111_88:
	s_or_b32 exec_lo, exec_lo, s0
	s_and_saveexec_b32 s0, vcc_lo
	s_cbranch_execnz .LBB111_116
.LBB111_89:
	s_or_b32 exec_lo, exec_lo, s0
	s_and_saveexec_b32 s0, vcc_lo
	s_cbranch_execnz .LBB111_117
.LBB111_90:
	s_or_b32 exec_lo, exec_lo, s0
	s_and_saveexec_b32 s0, vcc_lo
	s_cbranch_execnz .LBB111_118
.LBB111_91:
	s_or_b32 exec_lo, exec_lo, s0
	s_and_saveexec_b32 s0, vcc_lo
	s_cbranch_execnz .LBB111_119
.LBB111_92:
	s_or_b32 exec_lo, exec_lo, s0
	s_and_saveexec_b32 s0, vcc_lo
	s_cbranch_execnz .LBB111_120
.LBB111_93:
	s_or_b32 exec_lo, exec_lo, s0
	s_and_saveexec_b32 s0, vcc_lo
	s_cbranch_execnz .LBB111_121
.LBB111_94:
	s_or_b32 exec_lo, exec_lo, s0
	s_and_saveexec_b32 s0, vcc_lo
	s_cbranch_execnz .LBB111_122
.LBB111_95:
	s_or_b32 exec_lo, exec_lo, s0
	s_and_saveexec_b32 s0, vcc_lo
	s_cbranch_execz .LBB111_97
.LBB111_96:
	ds_read_b32 v13, v13 offset:352
	s_waitcnt lgkmcnt(0)
	v_add_f32_e32 v5, v5, v13
.LBB111_97:
	s_or_b32 exec_lo, exec_lo, s0
.LBB111_98:
	s_or_b32 exec_lo, exec_lo, s1
	s_barrier
	buffer_gl0_inv
	s_mov_b32 s0, exec_lo
	v_cmpx_eq_u32_e32 0, v15
	s_cbranch_execz .LBB111_100
; %bb.99:
	s_mul_i32 s0, s2, 0x60
	s_mul_i32 s2, s7, s10
	s_ashr_i32 s1, s0, 31
	v_lshrrev_b32_e32 v0, 1, v0
	s_lshl_b64 s[0:1], s[0:1], 1
	;;#ASMSTART
	v_cvt_f16_f32 v12, v12;

	;;#ASMEND
	s_add_u32 s4, s24, s0
	s_addc_u32 s5, s25, s1
	s_ashr_i32 s3, s2, 31
	s_lshl_b64 s[0:1], s[2:3], 1
	s_mul_i32 s2, s8, 0x60
	s_add_u32 s4, s4, s0
	s_addc_u32 s5, s5, s1
	s_ashr_i32 s3, s2, 31
	s_lshl_b64 s[0:1], s[2:3], 1
	s_add_u32 s0, s4, s0
	s_addc_u32 s1, s5, s1
	global_store_short v0, v12, s[0:1]
	;;#ASMSTART
	v_cvt_f16_f32 v11, v11;

	;;#ASMEND
	global_store_short v0, v11, s[0:1] offset:16
	;;#ASMSTART
	v_cvt_f16_f32 v10, v10;

	;;#ASMEND
	global_store_short v0, v10, s[0:1] offset:32
	;; [unrolled: 5-line block ×11, first 2 shown]
.LBB111_100:
	s_endpgm
.LBB111_101:
	ds_read_b32 v15, v13
	s_waitcnt lgkmcnt(0)
	v_add_f32_e32 v12, v12, v15
	s_or_b32 exec_lo, exec_lo, s0
	s_and_saveexec_b32 s0, vcc_lo
	s_cbranch_execz .LBB111_69
.LBB111_102:
	ds_read_b32 v15, v13 offset:32
	s_waitcnt lgkmcnt(0)
	v_add_f32_e32 v11, v11, v15
	s_or_b32 exec_lo, exec_lo, s0
	s_and_saveexec_b32 s0, vcc_lo
	s_cbranch_execz .LBB111_70
.LBB111_103:
	ds_read_b32 v15, v13 offset:64
	s_waitcnt lgkmcnt(0)
	v_add_f32_e32 v10, v10, v15
	s_or_b32 exec_lo, exec_lo, s0
	s_and_saveexec_b32 s0, vcc_lo
	s_cbranch_execz .LBB111_71
.LBB111_104:
	ds_read_b32 v15, v13 offset:96
	s_waitcnt lgkmcnt(0)
	v_add_f32_e32 v9, v9, v15
	s_or_b32 exec_lo, exec_lo, s0
	s_and_saveexec_b32 s0, vcc_lo
	s_cbranch_execz .LBB111_72
.LBB111_105:
	ds_read_b32 v15, v13 offset:128
	s_waitcnt lgkmcnt(0)
	v_add_f32_e32 v8, v8, v15
	s_or_b32 exec_lo, exec_lo, s0
	s_and_saveexec_b32 s0, vcc_lo
	s_cbranch_execz .LBB111_73
.LBB111_106:
	ds_read_b32 v15, v13 offset:160
	s_waitcnt lgkmcnt(0)
	v_add_f32_e32 v7, v7, v15
	s_or_b32 exec_lo, exec_lo, s0
	s_and_saveexec_b32 s0, vcc_lo
	s_cbranch_execz .LBB111_74
.LBB111_107:
	ds_read_b32 v15, v13 offset:192
	s_waitcnt lgkmcnt(0)
	v_add_f32_e32 v6, v6, v15
	s_or_b32 exec_lo, exec_lo, s0
	s_and_saveexec_b32 s0, vcc_lo
	s_cbranch_execz .LBB111_75
.LBB111_108:
	ds_read_b32 v15, v13 offset:224
	s_waitcnt lgkmcnt(0)
	v_add_f32_e32 v3, v3, v15
	s_or_b32 exec_lo, exec_lo, s0
	s_and_saveexec_b32 s0, vcc_lo
	s_cbranch_execz .LBB111_76
.LBB111_109:
	ds_read_b32 v15, v13 offset:256
	s_waitcnt lgkmcnt(0)
	v_add_f32_e32 v2, v2, v15
	s_or_b32 exec_lo, exec_lo, s0
	s_and_saveexec_b32 s0, vcc_lo
	s_cbranch_execz .LBB111_77
.LBB111_110:
	ds_read_b32 v15, v13 offset:288
	s_waitcnt lgkmcnt(0)
	v_add_f32_e32 v1, v1, v15
	s_or_b32 exec_lo, exec_lo, s0
	s_and_saveexec_b32 s0, vcc_lo
	s_cbranch_execz .LBB111_78
.LBB111_111:
	ds_read_b32 v15, v13 offset:320
	s_waitcnt lgkmcnt(0)
	v_add_f32_e32 v4, v4, v15
	s_or_b32 exec_lo, exec_lo, s0
	s_and_saveexec_b32 s0, vcc_lo
	s_cbranch_execnz .LBB111_79
	s_branch .LBB111_80
.LBB111_112:
	ds_read_b32 v14, v13
	s_waitcnt lgkmcnt(0)
	v_add_f32_e32 v12, v12, v14
	s_or_b32 exec_lo, exec_lo, s0
	s_and_saveexec_b32 s0, vcc_lo
	s_cbranch_execz .LBB111_86
.LBB111_113:
	ds_read_b32 v14, v13 offset:32
	s_waitcnt lgkmcnt(0)
	v_add_f32_e32 v11, v11, v14
	s_or_b32 exec_lo, exec_lo, s0
	s_and_saveexec_b32 s0, vcc_lo
	s_cbranch_execz .LBB111_87
.LBB111_114:
	ds_read_b32 v14, v13 offset:64
	s_waitcnt lgkmcnt(0)
	v_add_f32_e32 v10, v10, v14
	s_or_b32 exec_lo, exec_lo, s0
	s_and_saveexec_b32 s0, vcc_lo
	s_cbranch_execz .LBB111_88
.LBB111_115:
	ds_read_b32 v14, v13 offset:96
	s_waitcnt lgkmcnt(0)
	v_add_f32_e32 v9, v9, v14
	s_or_b32 exec_lo, exec_lo, s0
	s_and_saveexec_b32 s0, vcc_lo
	s_cbranch_execz .LBB111_89
.LBB111_116:
	ds_read_b32 v14, v13 offset:128
	s_waitcnt lgkmcnt(0)
	v_add_f32_e32 v8, v8, v14
	s_or_b32 exec_lo, exec_lo, s0
	s_and_saveexec_b32 s0, vcc_lo
	s_cbranch_execz .LBB111_90
.LBB111_117:
	ds_read_b32 v14, v13 offset:160
	s_waitcnt lgkmcnt(0)
	v_add_f32_e32 v7, v7, v14
	s_or_b32 exec_lo, exec_lo, s0
	s_and_saveexec_b32 s0, vcc_lo
	s_cbranch_execz .LBB111_91
.LBB111_118:
	ds_read_b32 v14, v13 offset:192
	s_waitcnt lgkmcnt(0)
	v_add_f32_e32 v6, v6, v14
	s_or_b32 exec_lo, exec_lo, s0
	s_and_saveexec_b32 s0, vcc_lo
	s_cbranch_execz .LBB111_92
.LBB111_119:
	ds_read_b32 v14, v13 offset:224
	s_waitcnt lgkmcnt(0)
	v_add_f32_e32 v3, v3, v14
	s_or_b32 exec_lo, exec_lo, s0
	s_and_saveexec_b32 s0, vcc_lo
	s_cbranch_execz .LBB111_93
.LBB111_120:
	ds_read_b32 v14, v13 offset:256
	s_waitcnt lgkmcnt(0)
	v_add_f32_e32 v2, v2, v14
	s_or_b32 exec_lo, exec_lo, s0
	s_and_saveexec_b32 s0, vcc_lo
	s_cbranch_execz .LBB111_94
.LBB111_121:
	ds_read_b32 v14, v13 offset:288
	s_waitcnt lgkmcnt(0)
	v_add_f32_e32 v1, v1, v14
	s_or_b32 exec_lo, exec_lo, s0
	s_and_saveexec_b32 s0, vcc_lo
	s_cbranch_execz .LBB111_95
.LBB111_122:
	ds_read_b32 v14, v13 offset:320
	s_waitcnt lgkmcnt(0)
	v_add_f32_e32 v4, v4, v14
	s_or_b32 exec_lo, exec_lo, s0
	s_and_saveexec_b32 s0, vcc_lo
	s_cbranch_execnz .LBB111_96
	s_branch .LBB111_97
	.section	.rodata,"a",@progbits
	.p2align	6, 0x0
	.amdhsa_kernel _ZN4vllm25paged_attention_v2_kernelIttLi96ELi32ELi128ELNS_18Fp8KVCacheDataTypeE0ELb1ELi512EEEvPfS2_PT_PKS3_PKT0_S9_ifPKiSB_iPKfiiiSD_SD_iiiii
		.amdhsa_group_segment_fixed_size 224
		.amdhsa_private_segment_fixed_size 0
		.amdhsa_kernarg_size 400
		.amdhsa_user_sgpr_count 6
		.amdhsa_user_sgpr_private_segment_buffer 1
		.amdhsa_user_sgpr_dispatch_ptr 0
		.amdhsa_user_sgpr_queue_ptr 0
		.amdhsa_user_sgpr_kernarg_segment_ptr 1
		.amdhsa_user_sgpr_dispatch_id 0
		.amdhsa_user_sgpr_flat_scratch_init 0
		.amdhsa_user_sgpr_private_segment_size 0
		.amdhsa_wavefront_size32 1
		.amdhsa_uses_dynamic_stack 0
		.amdhsa_system_sgpr_private_segment_wavefront_offset 0
		.amdhsa_system_sgpr_workgroup_id_x 1
		.amdhsa_system_sgpr_workgroup_id_y 1
		.amdhsa_system_sgpr_workgroup_id_z 1
		.amdhsa_system_sgpr_workgroup_info 0
		.amdhsa_system_vgpr_workitem_id 0
		.amdhsa_next_free_vgpr 87
		.amdhsa_next_free_sgpr 46
		.amdhsa_reserve_vcc 1
		.amdhsa_reserve_flat_scratch 0
		.amdhsa_float_round_mode_32 0
		.amdhsa_float_round_mode_16_64 0
		.amdhsa_float_denorm_mode_32 3
		.amdhsa_float_denorm_mode_16_64 3
		.amdhsa_dx10_clamp 1
		.amdhsa_ieee_mode 1
		.amdhsa_fp16_overflow 0
		.amdhsa_workgroup_processor_mode 1
		.amdhsa_memory_ordered 1
		.amdhsa_forward_progress 1
		.amdhsa_shared_vgpr_count 0
		.amdhsa_exception_fp_ieee_invalid_op 0
		.amdhsa_exception_fp_denorm_src 0
		.amdhsa_exception_fp_ieee_div_zero 0
		.amdhsa_exception_fp_ieee_overflow 0
		.amdhsa_exception_fp_ieee_underflow 0
		.amdhsa_exception_fp_ieee_inexact 0
		.amdhsa_exception_int_div_zero 0
	.end_amdhsa_kernel
	.section	.text._ZN4vllm25paged_attention_v2_kernelIttLi96ELi32ELi128ELNS_18Fp8KVCacheDataTypeE0ELb1ELi512EEEvPfS2_PT_PKS3_PKT0_S9_ifPKiSB_iPKfiiiSD_SD_iiiii,"axG",@progbits,_ZN4vllm25paged_attention_v2_kernelIttLi96ELi32ELi128ELNS_18Fp8KVCacheDataTypeE0ELb1ELi512EEEvPfS2_PT_PKS3_PKT0_S9_ifPKiSB_iPKfiiiSD_SD_iiiii,comdat
.Lfunc_end111:
	.size	_ZN4vllm25paged_attention_v2_kernelIttLi96ELi32ELi128ELNS_18Fp8KVCacheDataTypeE0ELb1ELi512EEEvPfS2_PT_PKS3_PKT0_S9_ifPKiSB_iPKfiiiSD_SD_iiiii, .Lfunc_end111-_ZN4vllm25paged_attention_v2_kernelIttLi96ELi32ELi128ELNS_18Fp8KVCacheDataTypeE0ELb1ELi512EEEvPfS2_PT_PKS3_PKT0_S9_ifPKiSB_iPKfiiiSD_SD_iiiii
                                        ; -- End function
	.set _ZN4vllm25paged_attention_v2_kernelIttLi96ELi32ELi128ELNS_18Fp8KVCacheDataTypeE0ELb1ELi512EEEvPfS2_PT_PKS3_PKT0_S9_ifPKiSB_iPKfiiiSD_SD_iiiii.num_vgpr, 87
	.set _ZN4vllm25paged_attention_v2_kernelIttLi96ELi32ELi128ELNS_18Fp8KVCacheDataTypeE0ELb1ELi512EEEvPfS2_PT_PKS3_PKT0_S9_ifPKiSB_iPKfiiiSD_SD_iiiii.num_agpr, 0
	.set _ZN4vllm25paged_attention_v2_kernelIttLi96ELi32ELi128ELNS_18Fp8KVCacheDataTypeE0ELb1ELi512EEEvPfS2_PT_PKS3_PKT0_S9_ifPKiSB_iPKfiiiSD_SD_iiiii.numbered_sgpr, 46
	.set _ZN4vllm25paged_attention_v2_kernelIttLi96ELi32ELi128ELNS_18Fp8KVCacheDataTypeE0ELb1ELi512EEEvPfS2_PT_PKS3_PKT0_S9_ifPKiSB_iPKfiiiSD_SD_iiiii.num_named_barrier, 0
	.set _ZN4vllm25paged_attention_v2_kernelIttLi96ELi32ELi128ELNS_18Fp8KVCacheDataTypeE0ELb1ELi512EEEvPfS2_PT_PKS3_PKT0_S9_ifPKiSB_iPKfiiiSD_SD_iiiii.private_seg_size, 0
	.set _ZN4vllm25paged_attention_v2_kernelIttLi96ELi32ELi128ELNS_18Fp8KVCacheDataTypeE0ELb1ELi512EEEvPfS2_PT_PKS3_PKT0_S9_ifPKiSB_iPKfiiiSD_SD_iiiii.uses_vcc, 1
	.set _ZN4vllm25paged_attention_v2_kernelIttLi96ELi32ELi128ELNS_18Fp8KVCacheDataTypeE0ELb1ELi512EEEvPfS2_PT_PKS3_PKT0_S9_ifPKiSB_iPKfiiiSD_SD_iiiii.uses_flat_scratch, 0
	.set _ZN4vllm25paged_attention_v2_kernelIttLi96ELi32ELi128ELNS_18Fp8KVCacheDataTypeE0ELb1ELi512EEEvPfS2_PT_PKS3_PKT0_S9_ifPKiSB_iPKfiiiSD_SD_iiiii.has_dyn_sized_stack, 0
	.set _ZN4vllm25paged_attention_v2_kernelIttLi96ELi32ELi128ELNS_18Fp8KVCacheDataTypeE0ELb1ELi512EEEvPfS2_PT_PKS3_PKT0_S9_ifPKiSB_iPKfiiiSD_SD_iiiii.has_recursion, 0
	.set _ZN4vllm25paged_attention_v2_kernelIttLi96ELi32ELi128ELNS_18Fp8KVCacheDataTypeE0ELb1ELi512EEEvPfS2_PT_PKS3_PKT0_S9_ifPKiSB_iPKfiiiSD_SD_iiiii.has_indirect_call, 0
	.section	.AMDGPU.csdata,"",@progbits
; Kernel info:
; codeLenInByte = 15772
; TotalNumSgprs: 48
; NumVgprs: 87
; ScratchSize: 0
; MemoryBound: 0
; FloatMode: 240
; IeeeMode: 1
; LDSByteSize: 224 bytes/workgroup (compile time only)
; SGPRBlocks: 0
; VGPRBlocks: 10
; NumSGPRsForWavesPerEU: 48
; NumVGPRsForWavesPerEU: 87
; Occupancy: 10
; WaveLimiterHint : 1
; COMPUTE_PGM_RSRC2:SCRATCH_EN: 0
; COMPUTE_PGM_RSRC2:USER_SGPR: 6
; COMPUTE_PGM_RSRC2:TRAP_HANDLER: 0
; COMPUTE_PGM_RSRC2:TGID_X_EN: 1
; COMPUTE_PGM_RSRC2:TGID_Y_EN: 1
; COMPUTE_PGM_RSRC2:TGID_Z_EN: 1
; COMPUTE_PGM_RSRC2:TIDIG_COMP_CNT: 0
	.section	.text._ZN4vllm25paged_attention_v2_kernelIttLi112ELi32ELi128ELNS_18Fp8KVCacheDataTypeE0ELb1ELi512EEEvPfS2_PT_PKS3_PKT0_S9_ifPKiSB_iPKfiiiSD_SD_iiiii,"axG",@progbits,_ZN4vllm25paged_attention_v2_kernelIttLi112ELi32ELi128ELNS_18Fp8KVCacheDataTypeE0ELb1ELi512EEEvPfS2_PT_PKS3_PKT0_S9_ifPKiSB_iPKfiiiSD_SD_iiiii,comdat
	.protected	_ZN4vllm25paged_attention_v2_kernelIttLi112ELi32ELi128ELNS_18Fp8KVCacheDataTypeE0ELb1ELi512EEEvPfS2_PT_PKS3_PKT0_S9_ifPKiSB_iPKfiiiSD_SD_iiiii ; -- Begin function _ZN4vllm25paged_attention_v2_kernelIttLi112ELi32ELi128ELNS_18Fp8KVCacheDataTypeE0ELb1ELi512EEEvPfS2_PT_PKS3_PKT0_S9_ifPKiSB_iPKfiiiSD_SD_iiiii
	.globl	_ZN4vllm25paged_attention_v2_kernelIttLi112ELi32ELi128ELNS_18Fp8KVCacheDataTypeE0ELb1ELi512EEEvPfS2_PT_PKS3_PKT0_S9_ifPKiSB_iPKfiiiSD_SD_iiiii
	.p2align	8
	.type	_ZN4vllm25paged_attention_v2_kernelIttLi112ELi32ELi128ELNS_18Fp8KVCacheDataTypeE0ELb1ELi512EEEvPfS2_PT_PKS3_PKT0_S9_ifPKiSB_iPKfiiiSD_SD_iiiii,@function
_ZN4vllm25paged_attention_v2_kernelIttLi112ELi32ELi128ELNS_18Fp8KVCacheDataTypeE0ELb1ELi512EEEvPfS2_PT_PKS3_PKT0_S9_ifPKiSB_iPKfiiiSD_SD_iiiii: ; @_ZN4vllm25paged_attention_v2_kernelIttLi112ELi32ELi128ELNS_18Fp8KVCacheDataTypeE0ELb1ELi512EEEvPfS2_PT_PKS3_PKT0_S9_ifPKiSB_iPKfiiiSD_SD_iiiii
; %bb.0:
	s_load_dwordx2 s[0:1], s[4:5], 0x40
	s_mov_b32 s26, s7
	s_ashr_i32 s27, s7, 31
	s_lshl_b64 s[2:3], s[26:27], 2
	s_waitcnt lgkmcnt(0)
	s_add_u32 s0, s0, s2
	s_addc_u32 s1, s1, s3
	s_lshl_b32 s37, s8, 9
	s_load_dword s27, s[0:1], 0x0
	s_waitcnt lgkmcnt(0)
	s_cmp_ge_i32 s37, s27
	s_cbranch_scc1 .LBB112_108
; %bb.1:
	s_clause 0x1
	s_load_dword s9, s[4:5], 0x90
	s_load_dwordx2 s[2:3], s[4:5], 0x30
	s_mov_b32 s39, 0
	s_waitcnt lgkmcnt(0)
	s_abs_i32 s10, s9
	s_abs_i32 s0, s2
	v_cvt_f32_u32_e32 v1, s0
	s_sub_i32 s7, 0, s0
	v_rcp_iflag_f32_e32 v1, v1
	v_mul_f32_e32 v1, 0x4f7ffffe, v1
	v_cvt_u32_f32_e32 v1, v1
	v_readfirstlane_b32 s1, v1
	s_mul_i32 s7, s7, s1
	s_mul_hi_u32 s7, s1, s7
	s_add_i32 s1, s1, s7
	s_xor_b32 s7, s9, s2
	s_mul_hi_u32 s1, s10, s1
	s_ashr_i32 s7, s7, 31
	s_mul_i32 s11, s1, s0
	s_sub_i32 s10, s10, s11
	s_add_i32 s11, s1, 1
	s_sub_i32 s12, s10, s0
	s_cmp_ge_u32 s10, s0
	s_cselect_b32 s1, s11, s1
	s_cselect_b32 s10, s12, s10
	s_add_i32 s11, s1, 1
	s_cmp_ge_u32 s10, s0
	s_cselect_b32 s0, s11, s1
	s_abs_i32 s21, s6
	s_xor_b32 s0, s0, s7
	s_sub_i32 s10, s0, s7
	s_load_dwordx2 s[0:1], s[4:5], 0x50
	s_abs_i32 s20, s10
	v_cvt_f32_u32_e32 v1, s20
	s_sub_i32 s11, 0, s20
	v_rcp_iflag_f32_e32 v1, v1
	v_mul_f32_e32 v1, 0x4f7ffffe, v1
	v_cvt_u32_f32_e32 v1, v1
	v_readfirstlane_b32 s7, v1
	s_mul_i32 s11, s11, s7
	s_mul_hi_u32 s11, s7, s11
	s_add_i32 s7, s7, s11
	s_waitcnt lgkmcnt(0)
	s_cmp_eq_u64 s[0:1], 0
	s_mul_hi_u32 s22, s21, s7
	s_cbranch_scc1 .LBB112_3
; %bb.2:
	s_ashr_i32 s7, s6, 31
	s_lshl_b64 s[12:13], s[6:7], 2
	s_add_u32 s0, s0, s12
	s_addc_u32 s1, s1, s13
	s_load_dword s39, s[0:1], 0x0
.LBB112_3:
	s_load_dwordx4 s[12:15], s[4:5], 0x58
	v_lshlrev_b32_e32 v60, 4, v0
	s_ashr_i32 s0, s6, 31
	s_ashr_i32 s1, s10, 31
	s_mul_i32 s10, s6, 0x70
	s_mov_b32 s7, exec_lo
	v_cmpx_gt_u32_e32 14, v0
	s_cbranch_execz .LBB112_5
; %bb.4:
	s_load_dwordx2 s[16:17], s[4:5], 0x18
	s_waitcnt lgkmcnt(0)
	s_mul_i32 s18, s12, s26
	s_ashr_i32 s19, s18, 31
	s_lshl_b64 s[18:19], s[18:19], 1
	s_add_u32 s12, s16, s18
	s_addc_u32 s15, s17, s19
	s_ashr_i32 s11, s10, 31
	s_lshl_b64 s[16:17], s[10:11], 1
	s_add_u32 s16, s12, s16
	s_addc_u32 s17, s15, s17
	global_load_dwordx4 v[1:4], v60, s[16:17]
	s_waitcnt vmcnt(0)
	ds_write_b128 v60, v[1:4]
.LBB112_5:
	s_or_b32 exec_lo, exec_lo, s7
	s_load_dwordx4 s[16:19], s[4:5], 0x78
	s_mul_i32 s7, s22, s20
	s_xor_b32 s0, s0, s1
	s_sub_i32 s1, s21, s7
	s_add_i32 s7, s22, 1
	s_sub_i32 s11, s1, s20
	s_cmp_ge_u32 s1, s20
	s_mov_b32 s21, -1
	s_cselect_b32 s7, s7, s22
	s_cselect_b32 s1, s11, s1
	s_add_i32 s11, s7, 1
	s_cmp_ge_u32 s1, s20
                                        ; implicit-def: $sgpr33
	s_cselect_b32 s1, s11, s7
	s_load_dword s7, s[4:5], 0x88
	s_xor_b32 s1, s1, s0
	s_add_i32 s20, s27, -1
	s_sub_i32 s1, s1, s0
	s_waitcnt lgkmcnt(0)
	s_abs_i32 s15, s20
	s_abs_i32 s11, s19
	s_barrier
	v_cvt_f32_u32_e32 v1, s11
	s_sub_i32 s0, 0, s11
	buffer_gl0_inv
	v_rcp_iflag_f32_e32 v1, v1
	v_mul_f32_e32 v1, 0x4f7ffffe, v1
	v_cvt_u32_f32_e32 v1, v1
	v_readfirstlane_b32 s12, v1
	s_mul_i32 s0, s0, s12
	s_mul_hi_u32 s0, s12, s0
	s_add_i32 s12, s12, s0
	s_cmp_lt_i32 s7, 0
	s_mul_hi_u32 s0, s15, s12
	s_cbranch_scc0 .LBB112_7
; %bb.6:
	s_mul_i32 s2, s16, s2
	s_mov_b32 s21, 0
	s_add_i32 s2, s1, s2
	s_mul_i32 s2, s2, s7
	s_sub_i32 s33, 1, s2
.LBB112_7:
	s_load_dwordx2 s[28:29], s[4:5], 0x38
	s_ashr_i32 s2, s20, 31
	s_andn2_b32 vcc_lo, exec_lo, s21
	s_ashr_i32 s19, s19, 31
	s_cbranch_vccnz .LBB112_9
; %bb.8:
	s_mul_i32 s16, s9, s16
	s_add_i32 s16, s16, s6
	s_mul_i32 s7, s16, s7
	s_add_i32 s33, s7, 1
.LBB112_9:
	s_clause 0x4
	s_load_dword s16, s[4:5], 0x48
	s_load_dwordx2 s[34:35], s[4:5], 0x28
	s_load_dword s7, s[4:5], 0x98
	s_load_dwordx4 s[20:23], s[4:5], 0x0
	s_load_dwordx2 s[24:25], s[4:5], 0x10
	s_mul_i32 s30, s0, s11
	s_xor_b32 s2, s2, s19
	s_sub_i32 s15, s15, s30
	s_add_i32 s36, s0, 1
	v_lshrrev_b32_e32 v57, 5, v0
	v_and_b32_e32 v58, 31, v0
	v_mov_b32_e32 v62, 0xff7fffff
	s_mul_i32 s14, s1, s14
	v_lshl_add_u32 v59, v57, 5, s37
	v_lshlrev_b32_e32 v61, 2, v58
	s_waitcnt lgkmcnt(0)
	s_mul_i32 s30, s16, s26
	s_sub_i32 s16, s15, s11
	s_ashr_i32 s31, s30, 31
	s_cmp_ge_u32 s15, s11
	s_cselect_b32 s0, s36, s0
	s_cselect_b32 s15, s16, s15
	s_add_i32 s16, s0, 1
	s_cmp_ge_u32 s15, s11
	s_cselect_b32 s0, s16, s0
	s_add_i32 s15, s27, 31
	s_lshl_b32 s40, s8, 4
	s_ashr_i32 s16, s15, 31
	v_add_nc_u32_e32 v53, s40, v57
	s_lshr_b32 s16, s16, 27
	s_add_i32 s15, s15, s16
	s_add_i32 s16, s40, 16
	s_ashr_i32 s36, s15, 5
	s_xor_b32 s15, s0, s2
	s_min_i32 s16, s16, s36
	v_ashrrev_i32_e32 v54, 31, v53
	v_cmp_gt_i32_e64 s0, s16, v53
	s_sub_i32 s38, s15, s2
	s_and_saveexec_b32 s41, s0
	s_cbranch_execz .LBB112_17
; %bb.10:
	s_load_dwordx2 s[42:43], s[4:5], 0x20
	s_ashr_i32 s15, s14, 31
	s_sub_i32 s4, s38, s17
	s_lshl_b64 s[44:45], s[14:15], 1
	v_subrev_nc_u32_e32 v5, s27, v58
	v_lshlrev_b32_e32 v3, 4, v58
	v_lshl_or_b32 v7, v57, 7, v61
	v_mov_b32_e32 v63, 0
	v_cmp_neq_f32_e64 vcc_lo, s39, 0
	v_add_nc_u32_e32 v66, 1, v5
	v_lshl_add_u32 v64, v57, 5, s37
	v_mov_b32_e32 v65, 0xff7fffff
	v_mov_b32_e32 v62, 0xff7fffff
	v_add_nc_u32_e32 v67, 0x100, v7
	v_mov_b32_e32 v71, v53
	s_waitcnt lgkmcnt(0)
	s_add_u32 s1, s42, s44
	s_addc_u32 s2, s43, s45
	s_abs_i32 s5, s18
	s_lshl_b64 s[42:43], s[30:31], 2
	v_cvt_f32_u32_e32 v1, s5
	s_sub_i32 s15, 0, s5
	v_add_co_u32 v68, s1, s1, v3
	v_add_co_ci_u32_e64 v69, null, s2, 0, s1
	v_rcp_iflag_f32_e32 v1, v1
	s_add_u32 s1, s28, s42
	s_addc_u32 s2, s29, s43
	s_mov_b32 s42, s13
	v_mul_f32_e32 v1, 0x4f7ffffe, v1
	v_cvt_u32_f32_e32 v4, v1
	v_lshlrev_b64 v[1:2], 2, v[53:54]
	v_mul_lo_u32 v6, s15, v4
	s_mov_b32 s15, 0
	v_add_co_u32 v55, s1, s1, v1
	v_add_co_ci_u32_e64 v56, null, s2, v2, s1
	v_mul_hi_u32 v5, v4, v6
	v_add_nc_u32_e32 v70, v4, v5
	s_branch .LBB112_12
.LBB112_11:                             ;   in Loop: Header=BB112_12 Depth=1
	s_or_b32 exec_lo, exec_lo, s2
	v_add_nc_u32_e32 v71, 4, v71
	v_add_co_u32 v55, s2, v55, 16
	v_add_co_ci_u32_e64 v56, null, 0, v56, s2
	v_cmp_le_i32_e64 s1, s16, v71
	v_add_nc_u32_e32 v64, 0x80, v64
	v_add_nc_u32_e32 v67, 0x200, v67
	s_or_b32 s15, s1, s15
	s_andn2_b32 exec_lo, exec_lo, s15
	s_cbranch_execz .LBB112_16
.LBB112_12:                             ; =>This Inner Loop Header: Depth=1
	v_sub_nc_u32_e32 v1, 0, v64
	v_max_i32_e32 v1, v64, v1
	v_mul_hi_u32 v2, v1, s12
	v_mul_lo_u32 v3, v2, s11
	v_sub_nc_u32_e32 v1, v1, v3
	v_add_nc_u32_e32 v3, 1, v2
	v_subrev_nc_u32_e32 v4, s11, v1
	v_cmp_le_u32_e64 s1, s11, v1
	v_cndmask_b32_e64 v2, v2, v3, s1
	v_cndmask_b32_e64 v1, v1, v4, s1
	v_ashrrev_i32_e32 v3, 31, v64
	v_add_nc_u32_e32 v4, 1, v2
	v_cmp_le_u32_e64 s1, s11, v1
	v_xor_b32_e32 v3, s19, v3
	v_cndmask_b32_e64 v1, v2, v4, s1
	v_xor_b32_e32 v1, v1, v3
	v_sub_nc_u32_e32 v1, v1, v3
	v_add_nc_u32_e32 v2, s33, v1
	v_cmp_ge_i32_e64 s2, s4, v1
	v_sub_nc_u32_e32 v3, 0, v2
	v_max_i32_e32 v3, v2, v3
	v_ashrrev_i32_e32 v2, 31, v2
	v_mul_hi_u32 v4, v3, v70
	v_mul_lo_u32 v4, v4, s5
	v_sub_nc_u32_e32 v3, v3, v4
	v_subrev_nc_u32_e32 v4, s5, v3
	v_cmp_le_u32_e64 s1, s5, v3
	v_cndmask_b32_e64 v3, v3, v4, s1
	v_subrev_nc_u32_e32 v4, s5, v3
	v_cmp_le_u32_e64 s1, s5, v3
	v_cndmask_b32_e64 v3, v3, v4, s1
	v_xor_b32_e32 v3, v3, v2
	v_sub_nc_u32_e32 v2, v3, v2
	v_cmp_ne_u32_e64 s1, 0, v2
	s_and_b32 s1, s1, s2
	s_and_saveexec_b32 s2, s1
	s_xor_b32 s1, exec_lo, s2
; %bb.13:                               ;   in Loop: Header=BB112_12 Depth=1
	ds_write_b32 v67, v65
; %bb.14:                               ;   in Loop: Header=BB112_12 Depth=1
	s_andn2_saveexec_b32 s2, s1
	s_cbranch_execz .LBB112_11
; %bb.15:                               ;   in Loop: Header=BB112_12 Depth=1
	global_load_dword v1, v[55:56], off
	v_add_nc_u32_e32 v3, v66, v64
	v_add_nc_u32_e32 v77, v58, v64
	v_cvt_f32_i32_e32 v3, v3
	v_mul_f32_e32 v3, s39, v3
	v_cndmask_b32_e32 v72, 0, v3, vcc_lo
	s_waitcnt vmcnt(0)
	v_mad_i64_i32 v[1:2], null, v1, s42, 0
	v_lshlrev_b64 v[1:2], 1, v[1:2]
	v_add_co_u32 v1, s1, v68, v1
	v_add_co_ci_u32_e64 v2, null, v69, v2, s1
	s_clause 0x3
	global_load_dwordx4 v[73:76], v[1:2], off
	global_load_dwordx4 v[49:52], v[1:2], off offset:512
	global_load_dwordx4 v[45:48], v[1:2], off offset:1024
	;; [unrolled: 1-line block ×3, first 2 shown]
	v_add_co_u32 v3, s1, 0x800, v1
	v_add_co_ci_u32_e64 v4, null, 0, v2, s1
	v_add_co_u32 v5, s1, v1, 0x1000
	v_add_co_ci_u32_e64 v6, null, 0, v2, s1
	s_clause 0x3
	global_load_dwordx4 v[37:40], v[5:6], off offset:-2048
	global_load_dwordx4 v[33:36], v[3:4], off offset:512
	global_load_dwordx4 v[29:32], v[3:4], off offset:1024
	;; [unrolled: 1-line block ×3, first 2 shown]
	v_add_co_u32 v3, s1, 0x1000, v1
	v_add_co_ci_u32_e64 v4, null, 0, v2, s1
	s_clause 0x3
	global_load_dwordx4 v[21:24], v[5:6], off
	global_load_dwordx4 v[17:20], v[3:4], off offset:512
	global_load_dwordx4 v[13:16], v[3:4], off offset:1024
	;; [unrolled: 1-line block ×3, first 2 shown]
	v_add_co_u32 v1, s1, 0x1800, v1
	v_add_co_ci_u32_e64 v2, null, 0, v2, s1
	s_clause 0x1
	global_load_dwordx4 v[5:8], v[1:2], off
	global_load_dwordx4 v[1:4], v[1:2], off offset:512
	v_cmp_gt_i32_e64 s1, s27, v77
	ds_read_b128 v[77:80], v63
	s_waitcnt lgkmcnt(0)
	v_lshrrev_b32_e32 v81, 16, v77
	v_and_b32_e32 v77, 0xffff, v77
	;;#ASMSTART
	v_cvt_f32_f16 v77, v77;
	;;#ASMEND
	;;#ASMSTART
	v_cvt_f32_f16 v81, v81;
	;;#ASMEND
	s_waitcnt vmcnt(13)
	v_lshrrev_b32_e32 v83, 16, v73
	v_and_b32_e32 v73, 0xffff, v73
	;;#ASMSTART
	v_cvt_f32_f16 v82, v73;
	;;#ASMEND
	v_lshrrev_b32_e32 v73, 16, v78
	v_and_b32_e32 v78, 0xffff, v78
	;;#ASMSTART
	v_cvt_f32_f16 v83, v83;
	;;#ASMEND
	;;#ASMSTART
	v_cvt_f32_f16 v78, v78;
	;;#ASMEND
	;; [unrolled: 3-line block ×3, first 2 shown]
	v_lshrrev_b32_e32 v73, 16, v74
	v_and_b32_e32 v74, 0xffff, v74
	;;#ASMSTART
	v_cvt_f32_f16 v85, v74;
	;;#ASMEND
	;;#ASMSTART
	v_cvt_f32_f16 v86, v73;
	;;#ASMEND
	v_lshrrev_b32_e32 v73, 16, v79
	v_and_b32_e32 v74, 0xffff, v79
	;;#ASMSTART
	v_cvt_f32_f16 v79, v74;
	;;#ASMEND
	;;#ASMSTART
	v_cvt_f32_f16 v87, v73;
	;;#ASMEND
	;; [unrolled: 8-line block ×5, first 2 shown]
	ds_read_b128 v[73:76], v63 offset:16
	s_waitcnt vmcnt(12)
	v_lshrrev_b32_e32 v94, 16, v49
	v_and_b32_e32 v49, 0xffff, v49
	s_waitcnt lgkmcnt(0)
	v_lshrrev_b32_e32 v93, 16, v73
	v_and_b32_e32 v73, 0xffff, v73
	;;#ASMSTART
	v_cvt_f32_f16 v73, v73;
	;;#ASMEND
	;;#ASMSTART
	v_cvt_f32_f16 v93, v93;
	;;#ASMEND
	;; [unrolled: 3-line block ×3, first 2 shown]
	v_mul_f32_e32 v49, v73, v49
	;;#ASMSTART
	v_cvt_f32_f16 v94, v94;
	;;#ASMEND
	v_mul_f32_e32 v73, v93, v94
	v_fmac_f32_e32 v49, v77, v82
	v_lshrrev_b32_e32 v77, 16, v74
	v_and_b32_e32 v74, 0xffff, v74
	v_fmac_f32_e32 v73, v81, v83
	;;#ASMSTART
	v_cvt_f32_f16 v74, v74;
	;;#ASMEND
	v_lshrrev_b32_e32 v81, 16, v50
	v_and_b32_e32 v50, 0xffff, v50
	;;#ASMSTART
	v_cvt_f32_f16 v77, v77;
	;;#ASMEND
	;;#ASMSTART
	v_cvt_f32_f16 v50, v50;
	;;#ASMEND
	v_mul_f32_e32 v74, v74, v50
	;;#ASMSTART
	v_cvt_f32_f16 v81, v81;
	;;#ASMEND
	v_mul_f32_e32 v50, v77, v81
	v_lshrrev_b32_e32 v77, 16, v75
	v_and_b32_e32 v75, 0xffff, v75
	v_fmac_f32_e32 v74, v78, v85
	v_lshrrev_b32_e32 v78, 16, v51
	v_and_b32_e32 v51, 0xffff, v51
	;;#ASMSTART
	v_cvt_f32_f16 v75, v75;
	;;#ASMEND
	;;#ASMSTART
	v_cvt_f32_f16 v77, v77;
	;;#ASMEND
	;; [unrolled: 3-line block ×4, first 2 shown]
	v_mul_f32_e32 v75, v75, v51
	v_mul_f32_e32 v51, v77, v78
	v_lshrrev_b32_e32 v77, 16, v76
	v_and_b32_e32 v76, 0xffff, v76
	;;#ASMSTART
	v_cvt_f32_f16 v76, v76;
	;;#ASMEND
	v_lshrrev_b32_e32 v78, 16, v52
	v_and_b32_e32 v52, 0xffff, v52
	;;#ASMSTART
	v_cvt_f32_f16 v77, v77;
	;;#ASMEND
	;;#ASMSTART
	v_cvt_f32_f16 v52, v52;
	;;#ASMEND
	v_mul_f32_e32 v76, v76, v52
	;;#ASMSTART
	v_cvt_f32_f16 v78, v78;
	;;#ASMEND
	v_fmac_f32_e32 v75, v79, v88
	v_mul_f32_e32 v52, v77, v78
	v_fmac_f32_e32 v50, v84, v86
	v_fmac_f32_e32 v76, v80, v91
	ds_read_b128 v[77:80], v63 offset:32
	s_waitcnt vmcnt(11)
	v_lshrrev_b32_e32 v82, 16, v45
	v_and_b32_e32 v45, 0xffff, v45
	v_fmac_f32_e32 v51, v87, v89
	v_fmac_f32_e32 v52, v90, v92
	s_waitcnt lgkmcnt(0)
	v_lshrrev_b32_e32 v81, 16, v77
	v_and_b32_e32 v77, 0xffff, v77
	;;#ASMSTART
	v_cvt_f32_f16 v77, v77;
	;;#ASMEND
	;;#ASMSTART
	v_cvt_f32_f16 v81, v81;
	;;#ASMEND
	;; [unrolled: 3-line block ×3, first 2 shown]
	v_fmac_f32_e32 v49, v77, v45
	v_lshrrev_b32_e32 v77, 16, v78
	v_and_b32_e32 v45, 0xffff, v78
	v_lshrrev_b32_e32 v78, 16, v46
	v_and_b32_e32 v46, 0xffff, v46
	;;#ASMSTART
	v_cvt_f32_f16 v82, v82;
	;;#ASMEND
	;;#ASMSTART
	v_cvt_f32_f16 v45, v45;
	;;#ASMEND
	;; [unrolled: 3-line block ×5, first 2 shown]
	v_fmac_f32_e32 v74, v45, v46
	v_fmac_f32_e32 v50, v77, v78
	v_lshrrev_b32_e32 v46, 16, v79
	v_and_b32_e32 v45, 0xffff, v79
	v_lshrrev_b32_e32 v77, 16, v47
	v_and_b32_e32 v47, 0xffff, v47
	;;#ASMSTART
	v_cvt_f32_f16 v45, v45;
	;;#ASMEND
	;;#ASMSTART
	v_cvt_f32_f16 v46, v46;
	;;#ASMEND
	;; [unrolled: 3-line block ×4, first 2 shown]
	v_fmac_f32_e32 v75, v45, v47
	v_fmac_f32_e32 v51, v46, v77
	v_lshrrev_b32_e32 v46, 16, v80
	v_and_b32_e32 v45, 0xffff, v80
	v_and_b32_e32 v47, 0xffff, v48
	;;#ASMSTART
	v_cvt_f32_f16 v45, v45;
	;;#ASMEND
	;;#ASMSTART
	v_cvt_f32_f16 v46, v46;
	;;#ASMEND
	v_lshrrev_b32_e32 v77, 16, v48
	;;#ASMSTART
	v_cvt_f32_f16 v47, v47;
	;;#ASMEND
	;;#ASMSTART
	v_cvt_f32_f16 v48, v77;
	;;#ASMEND
	v_fmac_f32_e32 v76, v45, v47
	v_fmac_f32_e32 v52, v46, v48
	ds_read_b128 v[45:48], v63 offset:48
	s_waitcnt vmcnt(10)
	v_lshrrev_b32_e32 v78, 16, v41
	v_and_b32_e32 v41, 0xffff, v41
	v_fmac_f32_e32 v73, v81, v82
	s_waitcnt lgkmcnt(0)
	v_lshrrev_b32_e32 v77, 16, v45
	v_and_b32_e32 v45, 0xffff, v45
	;;#ASMSTART
	v_cvt_f32_f16 v45, v45;
	;;#ASMEND
	;;#ASMSTART
	v_cvt_f32_f16 v77, v77;
	;;#ASMEND
	;; [unrolled: 3-line block ×3, first 2 shown]
	v_fmac_f32_e32 v49, v45, v41
	v_lshrrev_b32_e32 v45, 16, v46
	v_and_b32_e32 v41, 0xffff, v46
	v_lshrrev_b32_e32 v46, 16, v42
	v_and_b32_e32 v42, 0xffff, v42
	;;#ASMSTART
	v_cvt_f32_f16 v78, v78;
	;;#ASMEND
	;;#ASMSTART
	v_cvt_f32_f16 v41, v41;
	;;#ASMEND
	;; [unrolled: 3-line block ×5, first 2 shown]
	v_fmac_f32_e32 v74, v41, v42
	v_fmac_f32_e32 v50, v45, v46
	v_lshrrev_b32_e32 v42, 16, v47
	v_and_b32_e32 v41, 0xffff, v47
	v_lshrrev_b32_e32 v45, 16, v43
	v_and_b32_e32 v43, 0xffff, v43
	;;#ASMSTART
	v_cvt_f32_f16 v41, v41;
	;;#ASMEND
	;;#ASMSTART
	v_cvt_f32_f16 v42, v42;
	;;#ASMEND
	;; [unrolled: 3-line block ×4, first 2 shown]
	v_fmac_f32_e32 v75, v41, v43
	v_fmac_f32_e32 v51, v42, v45
	v_lshrrev_b32_e32 v42, 16, v48
	v_and_b32_e32 v41, 0xffff, v48
	v_and_b32_e32 v43, 0xffff, v44
	;;#ASMSTART
	v_cvt_f32_f16 v41, v41;
	;;#ASMEND
	;;#ASMSTART
	v_cvt_f32_f16 v42, v42;
	;;#ASMEND
	v_lshrrev_b32_e32 v45, 16, v44
	;;#ASMSTART
	v_cvt_f32_f16 v43, v43;
	;;#ASMEND
	;;#ASMSTART
	v_cvt_f32_f16 v44, v45;
	;;#ASMEND
	v_fmac_f32_e32 v76, v41, v43
	v_fmac_f32_e32 v52, v42, v44
	ds_read_b128 v[41:44], v63 offset:64
	s_waitcnt vmcnt(9)
	v_lshrrev_b32_e32 v46, 16, v37
	v_and_b32_e32 v37, 0xffff, v37
	v_fmac_f32_e32 v73, v77, v78
	s_waitcnt lgkmcnt(0)
	v_lshrrev_b32_e32 v45, 16, v41
	v_and_b32_e32 v41, 0xffff, v41
	;;#ASMSTART
	v_cvt_f32_f16 v41, v41;
	;;#ASMEND
	;;#ASMSTART
	v_cvt_f32_f16 v45, v45;
	;;#ASMEND
	;; [unrolled: 3-line block ×3, first 2 shown]
	v_fmac_f32_e32 v49, v41, v37
	v_lshrrev_b32_e32 v41, 16, v42
	v_and_b32_e32 v37, 0xffff, v42
	v_lshrrev_b32_e32 v42, 16, v38
	v_and_b32_e32 v38, 0xffff, v38
	;;#ASMSTART
	v_cvt_f32_f16 v46, v46;
	;;#ASMEND
	;;#ASMSTART
	v_cvt_f32_f16 v37, v37;
	;;#ASMEND
	;; [unrolled: 3-line block ×5, first 2 shown]
	v_fmac_f32_e32 v74, v37, v38
	v_fmac_f32_e32 v50, v41, v42
	v_lshrrev_b32_e32 v38, 16, v43
	v_and_b32_e32 v37, 0xffff, v43
	v_lshrrev_b32_e32 v41, 16, v39
	v_and_b32_e32 v39, 0xffff, v39
	;;#ASMSTART
	v_cvt_f32_f16 v37, v37;
	;;#ASMEND
	;;#ASMSTART
	v_cvt_f32_f16 v38, v38;
	;;#ASMEND
	;; [unrolled: 3-line block ×4, first 2 shown]
	v_fmac_f32_e32 v75, v37, v39
	v_fmac_f32_e32 v51, v38, v41
	v_lshrrev_b32_e32 v38, 16, v44
	v_and_b32_e32 v37, 0xffff, v44
	v_and_b32_e32 v39, 0xffff, v40
	;;#ASMSTART
	v_cvt_f32_f16 v37, v37;
	;;#ASMEND
	;;#ASMSTART
	v_cvt_f32_f16 v38, v38;
	;;#ASMEND
	v_lshrrev_b32_e32 v41, 16, v40
	;;#ASMSTART
	v_cvt_f32_f16 v39, v39;
	;;#ASMEND
	;;#ASMSTART
	v_cvt_f32_f16 v40, v41;
	;;#ASMEND
	v_fmac_f32_e32 v76, v37, v39
	v_fmac_f32_e32 v52, v38, v40
	ds_read_b128 v[37:40], v63 offset:80
	s_waitcnt vmcnt(8)
	v_lshrrev_b32_e32 v42, 16, v33
	v_and_b32_e32 v33, 0xffff, v33
	v_fmac_f32_e32 v73, v45, v46
	s_waitcnt lgkmcnt(0)
	v_lshrrev_b32_e32 v41, 16, v37
	v_and_b32_e32 v37, 0xffff, v37
	;;#ASMSTART
	v_cvt_f32_f16 v37, v37;
	;;#ASMEND
	;;#ASMSTART
	v_cvt_f32_f16 v41, v41;
	;;#ASMEND
	;; [unrolled: 3-line block ×3, first 2 shown]
	v_fmac_f32_e32 v49, v37, v33
	v_lshrrev_b32_e32 v37, 16, v38
	v_and_b32_e32 v33, 0xffff, v38
	v_lshrrev_b32_e32 v38, 16, v34
	v_and_b32_e32 v34, 0xffff, v34
	;;#ASMSTART
	v_cvt_f32_f16 v42, v42;
	;;#ASMEND
	;;#ASMSTART
	v_cvt_f32_f16 v33, v33;
	;;#ASMEND
	;; [unrolled: 3-line block ×5, first 2 shown]
	v_fmac_f32_e32 v74, v33, v34
	v_fmac_f32_e32 v50, v37, v38
	v_lshrrev_b32_e32 v34, 16, v39
	v_and_b32_e32 v33, 0xffff, v39
	v_lshrrev_b32_e32 v37, 16, v35
	v_and_b32_e32 v35, 0xffff, v35
	;;#ASMSTART
	v_cvt_f32_f16 v33, v33;
	;;#ASMEND
	;;#ASMSTART
	v_cvt_f32_f16 v34, v34;
	;;#ASMEND
	;;#ASMSTART
	v_cvt_f32_f16 v35, v35;
	;;#ASMEND
	;;#ASMSTART
	v_cvt_f32_f16 v37, v37;
	;;#ASMEND
	v_fmac_f32_e32 v75, v33, v35
	v_fmac_f32_e32 v51, v34, v37
	v_lshrrev_b32_e32 v34, 16, v40
	v_and_b32_e32 v33, 0xffff, v40
	v_and_b32_e32 v35, 0xffff, v36
	;;#ASMSTART
	v_cvt_f32_f16 v33, v33;
	;;#ASMEND
	;;#ASMSTART
	v_cvt_f32_f16 v34, v34;
	;;#ASMEND
	v_lshrrev_b32_e32 v37, 16, v36
	;;#ASMSTART
	v_cvt_f32_f16 v35, v35;
	;;#ASMEND
	;;#ASMSTART
	v_cvt_f32_f16 v36, v37;
	;;#ASMEND
	v_fmac_f32_e32 v76, v33, v35
	v_fmac_f32_e32 v52, v34, v36
	ds_read_b128 v[33:36], v63 offset:96
	s_waitcnt vmcnt(7)
	v_lshrrev_b32_e32 v38, 16, v29
	v_and_b32_e32 v29, 0xffff, v29
	v_fmac_f32_e32 v73, v41, v42
	s_waitcnt lgkmcnt(0)
	v_lshrrev_b32_e32 v37, 16, v33
	v_and_b32_e32 v33, 0xffff, v33
	;;#ASMSTART
	v_cvt_f32_f16 v33, v33;
	;;#ASMEND
	;;#ASMSTART
	v_cvt_f32_f16 v37, v37;
	;;#ASMEND
	;; [unrolled: 3-line block ×3, first 2 shown]
	v_fmac_f32_e32 v49, v33, v29
	v_lshrrev_b32_e32 v33, 16, v34
	v_and_b32_e32 v29, 0xffff, v34
	v_lshrrev_b32_e32 v34, 16, v30
	v_and_b32_e32 v30, 0xffff, v30
	;;#ASMSTART
	v_cvt_f32_f16 v38, v38;
	;;#ASMEND
	;;#ASMSTART
	v_cvt_f32_f16 v29, v29;
	;;#ASMEND
	;; [unrolled: 3-line block ×5, first 2 shown]
	v_fmac_f32_e32 v74, v29, v30
	v_fmac_f32_e32 v50, v33, v34
	v_lshrrev_b32_e32 v30, 16, v35
	v_and_b32_e32 v29, 0xffff, v35
	v_lshrrev_b32_e32 v33, 16, v31
	v_and_b32_e32 v31, 0xffff, v31
	;;#ASMSTART
	v_cvt_f32_f16 v29, v29;
	;;#ASMEND
	;;#ASMSTART
	v_cvt_f32_f16 v30, v30;
	;;#ASMEND
	;; [unrolled: 3-line block ×4, first 2 shown]
	v_fmac_f32_e32 v75, v29, v31
	v_fmac_f32_e32 v51, v30, v33
	v_lshrrev_b32_e32 v30, 16, v36
	v_and_b32_e32 v29, 0xffff, v36
	v_and_b32_e32 v31, 0xffff, v32
	;;#ASMSTART
	v_cvt_f32_f16 v29, v29;
	;;#ASMEND
	;;#ASMSTART
	v_cvt_f32_f16 v30, v30;
	;;#ASMEND
	v_lshrrev_b32_e32 v33, 16, v32
	;;#ASMSTART
	v_cvt_f32_f16 v31, v31;
	;;#ASMEND
	;;#ASMSTART
	v_cvt_f32_f16 v32, v33;
	;;#ASMEND
	v_fmac_f32_e32 v76, v29, v31
	v_fmac_f32_e32 v52, v30, v32
	ds_read_b128 v[29:32], v63 offset:112
	s_waitcnt vmcnt(6)
	v_lshrrev_b32_e32 v34, 16, v25
	v_and_b32_e32 v25, 0xffff, v25
	v_fmac_f32_e32 v73, v37, v38
	s_waitcnt lgkmcnt(0)
	v_lshrrev_b32_e32 v33, 16, v29
	v_and_b32_e32 v29, 0xffff, v29
	;;#ASMSTART
	v_cvt_f32_f16 v29, v29;
	;;#ASMEND
	;;#ASMSTART
	v_cvt_f32_f16 v33, v33;
	;;#ASMEND
	;; [unrolled: 3-line block ×3, first 2 shown]
	v_fmac_f32_e32 v49, v29, v25
	v_lshrrev_b32_e32 v29, 16, v30
	v_and_b32_e32 v25, 0xffff, v30
	v_lshrrev_b32_e32 v30, 16, v26
	v_and_b32_e32 v26, 0xffff, v26
	;;#ASMSTART
	v_cvt_f32_f16 v34, v34;
	;;#ASMEND
	;;#ASMSTART
	v_cvt_f32_f16 v25, v25;
	;;#ASMEND
	;; [unrolled: 3-line block ×5, first 2 shown]
	v_fmac_f32_e32 v74, v25, v26
	v_fmac_f32_e32 v50, v29, v30
	v_lshrrev_b32_e32 v26, 16, v31
	v_and_b32_e32 v25, 0xffff, v31
	v_lshrrev_b32_e32 v29, 16, v27
	v_and_b32_e32 v27, 0xffff, v27
	;;#ASMSTART
	v_cvt_f32_f16 v25, v25;
	;;#ASMEND
	;;#ASMSTART
	v_cvt_f32_f16 v26, v26;
	;;#ASMEND
	;; [unrolled: 3-line block ×4, first 2 shown]
	v_fmac_f32_e32 v75, v25, v27
	v_fmac_f32_e32 v51, v26, v29
	v_lshrrev_b32_e32 v26, 16, v32
	v_and_b32_e32 v25, 0xffff, v32
	v_and_b32_e32 v27, 0xffff, v28
	;;#ASMSTART
	v_cvt_f32_f16 v25, v25;
	;;#ASMEND
	;;#ASMSTART
	v_cvt_f32_f16 v26, v26;
	;;#ASMEND
	v_lshrrev_b32_e32 v29, 16, v28
	;;#ASMSTART
	v_cvt_f32_f16 v27, v27;
	;;#ASMEND
	;;#ASMSTART
	v_cvt_f32_f16 v28, v29;
	;;#ASMEND
	v_fmac_f32_e32 v76, v25, v27
	v_fmac_f32_e32 v52, v26, v28
	ds_read_b128 v[25:28], v63 offset:128
	s_waitcnt vmcnt(5)
	v_lshrrev_b32_e32 v30, 16, v21
	v_and_b32_e32 v21, 0xffff, v21
	v_fmac_f32_e32 v73, v33, v34
	s_waitcnt lgkmcnt(0)
	v_lshrrev_b32_e32 v29, 16, v25
	v_and_b32_e32 v25, 0xffff, v25
	;;#ASMSTART
	v_cvt_f32_f16 v25, v25;
	;;#ASMEND
	;;#ASMSTART
	v_cvt_f32_f16 v29, v29;
	;;#ASMEND
	;; [unrolled: 3-line block ×3, first 2 shown]
	v_fmac_f32_e32 v49, v25, v21
	v_lshrrev_b32_e32 v25, 16, v26
	v_and_b32_e32 v21, 0xffff, v26
	v_lshrrev_b32_e32 v26, 16, v22
	v_and_b32_e32 v22, 0xffff, v22
	;;#ASMSTART
	v_cvt_f32_f16 v30, v30;
	;;#ASMEND
	;;#ASMSTART
	v_cvt_f32_f16 v21, v21;
	;;#ASMEND
	;; [unrolled: 3-line block ×5, first 2 shown]
	v_fmac_f32_e32 v74, v21, v22
	v_fmac_f32_e32 v50, v25, v26
	v_lshrrev_b32_e32 v22, 16, v27
	v_and_b32_e32 v21, 0xffff, v27
	v_lshrrev_b32_e32 v25, 16, v23
	v_and_b32_e32 v23, 0xffff, v23
	;;#ASMSTART
	v_cvt_f32_f16 v21, v21;
	;;#ASMEND
	;;#ASMSTART
	v_cvt_f32_f16 v22, v22;
	;;#ASMEND
	;; [unrolled: 3-line block ×4, first 2 shown]
	v_fmac_f32_e32 v75, v21, v23
	v_fmac_f32_e32 v51, v22, v25
	v_lshrrev_b32_e32 v22, 16, v28
	v_and_b32_e32 v21, 0xffff, v28
	v_and_b32_e32 v23, 0xffff, v24
	;;#ASMSTART
	v_cvt_f32_f16 v21, v21;
	;;#ASMEND
	;;#ASMSTART
	v_cvt_f32_f16 v22, v22;
	;;#ASMEND
	v_lshrrev_b32_e32 v25, 16, v24
	;;#ASMSTART
	v_cvt_f32_f16 v23, v23;
	;;#ASMEND
	;;#ASMSTART
	v_cvt_f32_f16 v24, v25;
	;;#ASMEND
	v_fmac_f32_e32 v76, v21, v23
	v_fmac_f32_e32 v52, v22, v24
	ds_read_b128 v[21:24], v63 offset:144
	s_waitcnt vmcnt(4)
	v_lshrrev_b32_e32 v26, 16, v17
	v_and_b32_e32 v17, 0xffff, v17
	v_fmac_f32_e32 v73, v29, v30
	s_waitcnt lgkmcnt(0)
	v_lshrrev_b32_e32 v25, 16, v21
	v_and_b32_e32 v21, 0xffff, v21
	;;#ASMSTART
	v_cvt_f32_f16 v21, v21;
	;;#ASMEND
	;;#ASMSTART
	v_cvt_f32_f16 v25, v25;
	;;#ASMEND
	;; [unrolled: 3-line block ×3, first 2 shown]
	v_fmac_f32_e32 v49, v21, v17
	v_lshrrev_b32_e32 v21, 16, v22
	v_and_b32_e32 v17, 0xffff, v22
	v_lshrrev_b32_e32 v22, 16, v18
	v_and_b32_e32 v18, 0xffff, v18
	;;#ASMSTART
	v_cvt_f32_f16 v26, v26;
	;;#ASMEND
	;;#ASMSTART
	v_cvt_f32_f16 v17, v17;
	;;#ASMEND
	;; [unrolled: 3-line block ×5, first 2 shown]
	v_fmac_f32_e32 v74, v17, v18
	v_fmac_f32_e32 v50, v21, v22
	v_lshrrev_b32_e32 v18, 16, v23
	v_and_b32_e32 v17, 0xffff, v23
	v_lshrrev_b32_e32 v21, 16, v19
	v_and_b32_e32 v19, 0xffff, v19
	;;#ASMSTART
	v_cvt_f32_f16 v17, v17;
	;;#ASMEND
	;;#ASMSTART
	v_cvt_f32_f16 v18, v18;
	;;#ASMEND
	;; [unrolled: 3-line block ×4, first 2 shown]
	v_fmac_f32_e32 v75, v17, v19
	v_fmac_f32_e32 v51, v18, v21
	v_lshrrev_b32_e32 v18, 16, v24
	v_and_b32_e32 v17, 0xffff, v24
	v_and_b32_e32 v19, 0xffff, v20
	;;#ASMSTART
	v_cvt_f32_f16 v17, v17;
	;;#ASMEND
	;;#ASMSTART
	v_cvt_f32_f16 v18, v18;
	;;#ASMEND
	v_lshrrev_b32_e32 v21, 16, v20
	;;#ASMSTART
	v_cvt_f32_f16 v19, v19;
	;;#ASMEND
	;;#ASMSTART
	v_cvt_f32_f16 v20, v21;
	;;#ASMEND
	v_fmac_f32_e32 v76, v17, v19
	v_fmac_f32_e32 v52, v18, v20
	ds_read_b128 v[17:20], v63 offset:160
	s_waitcnt vmcnt(3)
	v_lshrrev_b32_e32 v22, 16, v13
	v_and_b32_e32 v13, 0xffff, v13
	v_fmac_f32_e32 v73, v25, v26
	s_waitcnt lgkmcnt(0)
	v_lshrrev_b32_e32 v21, 16, v17
	v_and_b32_e32 v17, 0xffff, v17
	;;#ASMSTART
	v_cvt_f32_f16 v17, v17;
	;;#ASMEND
	;;#ASMSTART
	v_cvt_f32_f16 v21, v21;
	;;#ASMEND
	;; [unrolled: 3-line block ×3, first 2 shown]
	v_fmac_f32_e32 v49, v17, v13
	v_lshrrev_b32_e32 v17, 16, v18
	v_and_b32_e32 v13, 0xffff, v18
	v_lshrrev_b32_e32 v18, 16, v14
	v_and_b32_e32 v14, 0xffff, v14
	;;#ASMSTART
	v_cvt_f32_f16 v22, v22;
	;;#ASMEND
	;;#ASMSTART
	v_cvt_f32_f16 v13, v13;
	;;#ASMEND
	;; [unrolled: 3-line block ×5, first 2 shown]
	v_fmac_f32_e32 v74, v13, v14
	v_fmac_f32_e32 v50, v17, v18
	v_lshrrev_b32_e32 v14, 16, v19
	v_and_b32_e32 v13, 0xffff, v19
	v_lshrrev_b32_e32 v17, 16, v15
	v_and_b32_e32 v15, 0xffff, v15
	;;#ASMSTART
	v_cvt_f32_f16 v13, v13;
	;;#ASMEND
	;;#ASMSTART
	v_cvt_f32_f16 v14, v14;
	;;#ASMEND
	;; [unrolled: 3-line block ×4, first 2 shown]
	v_fmac_f32_e32 v75, v13, v15
	v_fmac_f32_e32 v51, v14, v17
	v_lshrrev_b32_e32 v14, 16, v20
	v_and_b32_e32 v13, 0xffff, v20
	v_and_b32_e32 v15, 0xffff, v16
	;;#ASMSTART
	v_cvt_f32_f16 v13, v13;
	;;#ASMEND
	;;#ASMSTART
	v_cvt_f32_f16 v14, v14;
	;;#ASMEND
	v_lshrrev_b32_e32 v17, 16, v16
	;;#ASMSTART
	v_cvt_f32_f16 v15, v15;
	;;#ASMEND
	;;#ASMSTART
	v_cvt_f32_f16 v16, v17;
	;;#ASMEND
	v_fmac_f32_e32 v76, v13, v15
	v_fmac_f32_e32 v52, v14, v16
	ds_read_b128 v[13:16], v63 offset:176
	s_waitcnt vmcnt(2)
	v_lshrrev_b32_e32 v18, 16, v9
	v_and_b32_e32 v9, 0xffff, v9
	v_fmac_f32_e32 v73, v21, v22
	s_waitcnt lgkmcnt(0)
	v_lshrrev_b32_e32 v17, 16, v13
	v_and_b32_e32 v13, 0xffff, v13
	;;#ASMSTART
	v_cvt_f32_f16 v13, v13;
	;;#ASMEND
	;;#ASMSTART
	v_cvt_f32_f16 v17, v17;
	;;#ASMEND
	;; [unrolled: 3-line block ×3, first 2 shown]
	v_fmac_f32_e32 v49, v13, v9
	v_lshrrev_b32_e32 v13, 16, v14
	v_and_b32_e32 v9, 0xffff, v14
	v_lshrrev_b32_e32 v14, 16, v10
	v_and_b32_e32 v10, 0xffff, v10
	;;#ASMSTART
	v_cvt_f32_f16 v18, v18;
	;;#ASMEND
	;;#ASMSTART
	v_cvt_f32_f16 v9, v9;
	;;#ASMEND
	;;#ASMSTART
	v_cvt_f32_f16 v13, v13;
	;;#ASMEND
	;;#ASMSTART
	v_cvt_f32_f16 v10, v10;
	;;#ASMEND
	;;#ASMSTART
	v_cvt_f32_f16 v14, v14;
	;;#ASMEND
	v_fmac_f32_e32 v74, v9, v10
	v_fmac_f32_e32 v50, v13, v14
	v_lshrrev_b32_e32 v10, 16, v15
	v_and_b32_e32 v9, 0xffff, v15
	v_lshrrev_b32_e32 v13, 16, v11
	v_and_b32_e32 v11, 0xffff, v11
	;;#ASMSTART
	v_cvt_f32_f16 v9, v9;
	;;#ASMEND
	;;#ASMSTART
	v_cvt_f32_f16 v10, v10;
	;;#ASMEND
	;; [unrolled: 3-line block ×4, first 2 shown]
	v_fmac_f32_e32 v75, v9, v11
	v_fmac_f32_e32 v51, v10, v13
	v_lshrrev_b32_e32 v10, 16, v16
	v_and_b32_e32 v9, 0xffff, v16
	v_and_b32_e32 v11, 0xffff, v12
	;;#ASMSTART
	v_cvt_f32_f16 v9, v9;
	;;#ASMEND
	;;#ASMSTART
	v_cvt_f32_f16 v10, v10;
	;;#ASMEND
	v_lshrrev_b32_e32 v13, 16, v12
	;;#ASMSTART
	v_cvt_f32_f16 v11, v11;
	;;#ASMEND
	;;#ASMSTART
	v_cvt_f32_f16 v12, v13;
	;;#ASMEND
	v_fmac_f32_e32 v76, v9, v11
	v_fmac_f32_e32 v52, v10, v12
	ds_read_b128 v[9:12], v63 offset:192
	s_waitcnt vmcnt(1)
	v_lshrrev_b32_e32 v14, 16, v5
	v_and_b32_e32 v5, 0xffff, v5
	v_fmac_f32_e32 v73, v17, v18
	s_waitcnt lgkmcnt(0)
	v_lshrrev_b32_e32 v13, 16, v9
	v_and_b32_e32 v9, 0xffff, v9
	;;#ASMSTART
	v_cvt_f32_f16 v9, v9;
	;;#ASMEND
	;;#ASMSTART
	v_cvt_f32_f16 v13, v13;
	;;#ASMEND
	;; [unrolled: 3-line block ×3, first 2 shown]
	v_fmac_f32_e32 v49, v9, v5
	v_lshrrev_b32_e32 v9, 16, v10
	v_and_b32_e32 v5, 0xffff, v10
	v_lshrrev_b32_e32 v10, 16, v6
	v_and_b32_e32 v6, 0xffff, v6
	;;#ASMSTART
	v_cvt_f32_f16 v14, v14;
	;;#ASMEND
	;;#ASMSTART
	v_cvt_f32_f16 v5, v5;
	;;#ASMEND
	;; [unrolled: 3-line block ×5, first 2 shown]
	v_fmac_f32_e32 v74, v5, v6
	v_fmac_f32_e32 v50, v9, v10
	v_lshrrev_b32_e32 v6, 16, v11
	v_and_b32_e32 v5, 0xffff, v11
	v_lshrrev_b32_e32 v9, 16, v7
	v_and_b32_e32 v7, 0xffff, v7
	;;#ASMSTART
	v_cvt_f32_f16 v5, v5;
	;;#ASMEND
	;;#ASMSTART
	v_cvt_f32_f16 v6, v6;
	;;#ASMEND
	;; [unrolled: 3-line block ×4, first 2 shown]
	v_fmac_f32_e32 v75, v5, v7
	v_fmac_f32_e32 v51, v6, v9
	v_lshrrev_b32_e32 v6, 16, v12
	v_and_b32_e32 v5, 0xffff, v12
	v_and_b32_e32 v7, 0xffff, v8
	;;#ASMSTART
	v_cvt_f32_f16 v5, v5;
	;;#ASMEND
	;;#ASMSTART
	v_cvt_f32_f16 v6, v6;
	;;#ASMEND
	v_lshrrev_b32_e32 v9, 16, v8
	;;#ASMSTART
	v_cvt_f32_f16 v7, v7;
	;;#ASMEND
	;;#ASMSTART
	v_cvt_f32_f16 v8, v9;
	;;#ASMEND
	v_fmac_f32_e32 v76, v5, v7
	v_fmac_f32_e32 v52, v6, v8
	ds_read_b128 v[5:8], v63 offset:208
	v_fmac_f32_e32 v73, v13, v14
	s_waitcnt vmcnt(0)
	v_lshrrev_b32_e32 v10, 16, v1
	v_and_b32_e32 v1, 0xffff, v1
	s_waitcnt lgkmcnt(0)
	v_lshrrev_b32_e32 v9, 16, v5
	v_and_b32_e32 v5, 0xffff, v5
	;;#ASMSTART
	v_cvt_f32_f16 v5, v5;
	;;#ASMEND
	;;#ASMSTART
	v_cvt_f32_f16 v9, v9;
	;;#ASMEND
	;; [unrolled: 3-line block ×3, first 2 shown]
	v_fmac_f32_e32 v49, v5, v1
	v_and_b32_e32 v1, 0xffff, v6
	;;#ASMSTART
	v_cvt_f32_f16 v10, v10;
	;;#ASMEND
	v_fmac_f32_e32 v73, v9, v10
	v_lshrrev_b32_e32 v5, 16, v6
	;;#ASMSTART
	v_cvt_f32_f16 v1, v1;
	;;#ASMEND
	v_lshrrev_b32_e32 v6, 16, v2
	v_and_b32_e32 v2, 0xffff, v2
	;;#ASMSTART
	v_cvt_f32_f16 v5, v5;
	;;#ASMEND
	;;#ASMSTART
	v_cvt_f32_f16 v2, v2;
	;;#ASMEND
	v_fmac_f32_e32 v74, v1, v2
	v_and_b32_e32 v1, 0xffff, v7
	;;#ASMSTART
	v_cvt_f32_f16 v6, v6;
	;;#ASMEND
	v_fmac_f32_e32 v50, v5, v6
	v_lshrrev_b32_e32 v2, 16, v7
	;;#ASMSTART
	v_cvt_f32_f16 v1, v1;
	;;#ASMEND
	v_lshrrev_b32_e32 v5, 16, v3
	v_and_b32_e32 v3, 0xffff, v3
	;;#ASMSTART
	v_cvt_f32_f16 v2, v2;
	;;#ASMEND
	;;#ASMSTART
	v_cvt_f32_f16 v3, v3;
	;;#ASMEND
	v_fmac_f32_e32 v75, v1, v3
	v_and_b32_e32 v1, 0xffff, v8
	;;#ASMSTART
	v_cvt_f32_f16 v5, v5;
	;;#ASMEND
	v_fmac_f32_e32 v51, v2, v5
	v_lshrrev_b32_e32 v2, 16, v8
	;;#ASMSTART
	v_cvt_f32_f16 v1, v1;
	;;#ASMEND
	v_and_b32_e32 v3, 0xffff, v4
	;;#ASMSTART
	v_cvt_f32_f16 v2, v2;
	;;#ASMEND
	;;#ASMSTART
	v_cvt_f32_f16 v3, v3;
	;;#ASMEND
	v_fmac_f32_e32 v76, v1, v3
	v_add_f32_e32 v1, v49, v73
	v_lshrrev_b32_e32 v5, 16, v4
	;;#ASMSTART
	v_cvt_f32_f16 v4, v5;
	;;#ASMEND
	v_fmac_f32_e32 v52, v2, v4
	v_add_f32_e32 v1, v1, v74
	v_add_f32_e32 v1, v50, v1
	;; [unrolled: 1-line block ×6, first 2 shown]
	v_fmac_f32_e32 v72, s3, v1
	v_cndmask_b32_e64 v1, 0, v72, s1
	ds_write_b32 v67, v1
	v_max_f32_e32 v1, v62, v62
	v_max_f32_e32 v1, v1, v72
	v_cndmask_b32_e64 v62, v62, v1, s1
	s_branch .LBB112_11
.LBB112_16:
	s_or_b32 exec_lo, exec_lo, s15
.LBB112_17:
	s_or_b32 exec_lo, exec_lo, s41
	v_mbcnt_lo_u32_b32 v1, -1, 0
	v_max_f32_e32 v5, v62, v62
	v_xor_b32_e32 v2, 16, v1
	v_xor_b32_e32 v4, 8, v1
	v_cmp_gt_i32_e32 vcc_lo, 32, v2
	v_cndmask_b32_e32 v2, v1, v2, vcc_lo
	v_cmp_gt_i32_e32 vcc_lo, 32, v4
	v_lshlrev_b32_e32 v2, 2, v2
	v_cndmask_b32_e32 v4, v1, v4, vcc_lo
	ds_bpermute_b32 v3, v2, v62
	s_waitcnt lgkmcnt(0)
	v_max_f32_e32 v6, v3, v3
	v_lshlrev_b32_e32 v3, 2, v4
	v_max_f32_e32 v4, v5, v6
	v_xor_b32_e32 v6, 4, v1
	ds_bpermute_b32 v5, v3, v4
	v_cmp_gt_i32_e32 vcc_lo, 32, v6
	v_cndmask_b32_e32 v6, v1, v6, vcc_lo
	s_waitcnt lgkmcnt(0)
	v_max_f32_e32 v7, v5, v5
	v_lshlrev_b32_e32 v5, 2, v6
	v_max_f32_e32 v4, v4, v7
	v_xor_b32_e32 v7, 2, v1
	ds_bpermute_b32 v6, v5, v4
	v_cmp_gt_i32_e32 vcc_lo, 32, v7
	v_cndmask_b32_e32 v7, v1, v7, vcc_lo
	v_lshlrev_b32_e32 v12, 2, v7
	v_xor_b32_e32 v7, 1, v1
	v_cmp_gt_i32_e32 vcc_lo, 32, v7
	s_waitcnt lgkmcnt(0)
	v_max_f32_e32 v6, v6, v6
	v_cndmask_b32_e32 v7, v1, v7, vcc_lo
	v_cmp_eq_u32_e32 vcc_lo, 0, v58
	v_max_f32_e32 v4, v4, v6
	v_lshlrev_b32_e32 v11, 2, v7
	ds_bpermute_b32 v6, v12, v4
	s_waitcnt lgkmcnt(0)
	v_max_f32_e32 v6, v6, v6
	v_max_f32_e32 v1, v4, v6
	v_lshlrev_b32_e32 v6, 2, v57
	ds_bpermute_b32 v4, v11, v1
	s_and_saveexec_b32 s1, vcc_lo
	s_cbranch_execz .LBB112_19
; %bb.18:
	s_waitcnt lgkmcnt(0)
	v_max_f32_e32 v4, v4, v4
	v_max_f32_e32 v1, v1, v1
	;; [unrolled: 1-line block ×3, first 2 shown]
	ds_write_b32 v6, v1 offset:224
.LBB112_19:
	s_or_b32 exec_lo, exec_lo, s1
	v_cmp_gt_u32_e64 s1, 4, v58
	v_mov_b32_e32 v1, 0xff7fffff
	s_waitcnt lgkmcnt(0)
	s_barrier
	buffer_gl0_inv
	s_and_saveexec_b32 s2, s1
; %bb.20:
	ds_read_b32 v1, v61 offset:224
; %bb.21:
	s_or_b32 exec_lo, exec_lo, s2
	s_waitcnt lgkmcnt(0)
	ds_bpermute_b32 v4, v12, v1
	v_max_f32_e32 v1, v1, v1
	v_mov_b32_e32 v7, 0
	s_sub_i32 s2, s16, s40
	s_lshl_b32 s2, s2, 5
	s_add_i32 s2, s2, s37
	s_min_i32 s2, s2, s27
	s_sub_i32 s4, s2, s37
	v_cmp_gt_i32_e64 s2, s4, v0
	s_waitcnt lgkmcnt(0)
	v_max_f32_e32 v4, v4, v4
	v_max_f32_e32 v1, v1, v4
	ds_bpermute_b32 v4, v11, v1
	s_waitcnt lgkmcnt(0)
	v_max_f32_e32 v4, v4, v4
	v_max_f32_e32 v1, v1, v4
	v_lshl_add_u32 v4, v0, 2, 0x100
	ds_bpermute_b32 v1, v7, v1
	s_and_saveexec_b32 s5, s2
	s_cbranch_execz .LBB112_25
; %bb.22:
	v_lshl_add_u32 v8, v0, 2, 0x100
	v_mov_b32_e32 v7, 0
	v_mov_b32_e32 v9, v0
	s_mov_b32 s15, 0
	.p2align	6
.LBB112_23:                             ; =>This Inner Loop Header: Depth=1
	ds_read_b32 v10, v8
	v_add_nc_u32_e32 v9, 0x80, v9
	v_cmp_le_i32_e64 s3, s4, v9
	s_or_b32 s15, s3, s15
	s_waitcnt lgkmcnt(0)
	v_sub_f32_e32 v10, v10, v1
	v_mul_f32_e32 v10, 0x3fb8aa3b, v10
	v_exp_f32_e32 v10, v10
	ds_write_b32 v8, v10
	v_add_f32_e32 v7, v7, v10
	v_add_nc_u32_e32 v8, 0x200, v8
	s_andn2_b32 exec_lo, exec_lo, s15
	s_cbranch_execnz .LBB112_23
; %bb.24:
	s_or_b32 exec_lo, exec_lo, s15
.LBB112_25:
	s_or_b32 exec_lo, exec_lo, s5
	ds_bpermute_b32 v2, v2, v7
	s_waitcnt lgkmcnt(0)
	v_add_f32_e32 v2, v7, v2
	ds_bpermute_b32 v3, v3, v2
	s_waitcnt lgkmcnt(0)
	v_add_f32_e32 v2, v2, v3
	;; [unrolled: 3-line block ×5, first 2 shown]
	s_and_saveexec_b32 s3, vcc_lo
; %bb.26:
	ds_write_b32 v6, v2 offset:240
; %bb.27:
	s_or_b32 exec_lo, exec_lo, s3
	s_waitcnt lgkmcnt(0)
	s_barrier
	buffer_gl0_inv
	s_and_saveexec_b32 s3, s1
; %bb.28:
	ds_read_b32 v2, v61 offset:240
; %bb.29:
	s_or_b32 exec_lo, exec_lo, s3
	s_waitcnt lgkmcnt(0)
	ds_bpermute_b32 v3, v12, v2
	s_waitcnt lgkmcnt(0)
	v_add_f32_e32 v2, v2, v3
	ds_bpermute_b32 v3, v11, v2
	s_waitcnt lgkmcnt(0)
	v_add_f32_e32 v2, v2, v3
	v_mov_b32_e32 v3, 0
	ds_bpermute_b32 v2, v3, v2
	s_and_saveexec_b32 s1, s2
	s_cbranch_execz .LBB112_32
; %bb.30:
	s_waitcnt lgkmcnt(0)
	v_add_f32_e32 v3, 0x358637bd, v2
	s_mov_b32 s2, 0
	v_div_scale_f32 v5, null, v3, v3, 1.0
	v_div_scale_f32 v8, vcc_lo, 1.0, v3, 1.0
	v_rcp_f32_e32 v6, v5
	v_fma_f32 v7, -v5, v6, 1.0
	v_fmac_f32_e32 v6, v7, v6
	v_mul_f32_e32 v7, v8, v6
	v_fma_f32 v9, -v5, v7, v8
	v_fmac_f32_e32 v7, v9, v6
	v_fma_f32 v5, -v5, v7, v8
	v_div_fmas_f32 v5, v5, v6, v7
	v_div_fixup_f32 v3, v5, v3, 1.0
	v_mov_b32_e32 v5, v0
.LBB112_31:                             ; =>This Inner Loop Header: Depth=1
	ds_read_b32 v6, v4
	v_add_nc_u32_e32 v5, 0x80, v5
	v_cmp_le_i32_e32 vcc_lo, s4, v5
	s_or_b32 s2, vcc_lo, s2
	s_waitcnt lgkmcnt(0)
	v_mul_f32_e32 v6, v3, v6
	ds_write_b32 v4, v6
	v_add_nc_u32_e32 v4, 0x200, v4
	s_andn2_b32 exec_lo, exec_lo, s2
	s_cbranch_execnz .LBB112_31
.LBB112_32:
	s_or_b32 exec_lo, exec_lo, s1
	s_mul_i32 s1, s7, s26
	s_waitcnt lgkmcnt(0)
	s_mul_i32 s2, s1, s9
	s_mov_b32 s1, exec_lo
	s_barrier
	buffer_gl0_inv
	v_cmpx_eq_u32_e32 0, v0
	s_cbranch_execz .LBB112_34
; %bb.33:
	s_ashr_i32 s3, s2, 31
	s_mul_i32 s40, s7, s6
	s_lshl_b64 s[4:5], s[2:3], 2
	v_mov_b32_e32 v3, 0
	s_add_u32 s3, s22, s4
	s_addc_u32 s6, s23, s5
	s_ashr_i32 s41, s40, 31
	s_lshl_b64 s[22:23], s[40:41], 2
	s_add_u32 s3, s3, s22
	s_addc_u32 s6, s6, s23
	s_ashr_i32 s9, s8, 31
	s_lshl_b64 s[40:41], s[8:9], 2
	s_add_u32 s42, s3, s40
	s_addc_u32 s43, s6, s41
	s_add_u32 s3, s20, s4
	s_addc_u32 s4, s21, s5
	;; [unrolled: 2-line block ×4, first 2 shown]
	global_store_dword v3, v1, s[42:43]
	global_store_dword v3, v2, s[4:5]
.LBB112_34:
	s_or_b32 exec_lo, exec_lo, s1
	v_mov_b32_e32 v27, 0
	v_and_b32_e32 v13, 3, v0
	v_mov_b32_e32 v26, 0
	v_mov_b32_e32 v25, 0
	;; [unrolled: 1-line block ×13, first 2 shown]
	s_and_saveexec_b32 s3, s0
	s_cbranch_execz .LBB112_68
; %bb.35:
	s_ashr_i32 s15, s14, 31
	s_sub_i32 s4, s38, s17
	s_lshl_b64 s[0:1], s[14:15], 1
	v_lshlrev_b32_e32 v3, 3, v0
	s_add_u32 s6, s34, s0
	s_addc_u32 s9, s35, s1
	s_abs_i32 s5, s18
	v_lshlrev_b32_e32 v6, 5, v13
	v_cvt_f32_u32_e32 v1, s5
	s_sub_i32 s0, 0, s5
	v_and_b32_e32 v29, 24, v3
	v_and_b32_e32 v4, 0x1f0, v60
	s_add_i32 s36, s36, -1
	v_rcp_iflag_f32_e32 v5, v1
	v_lshlrev_b64 v[1:2], 2, v[53:54]
	v_mov_b32_e32 v28, 0
	v_add_co_u32 v30, s6, s6, v4
	v_mov_b32_e32 v14, 0
	v_mov_b32_e32 v15, 0
	;; [unrolled: 1-line block ×5, first 2 shown]
	v_mul_f32_e32 v5, 0x4f7ffffe, v5
	v_mov_b32_e32 v19, 0
	v_mov_b32_e32 v20, 0
	;; [unrolled: 1-line block ×4, first 2 shown]
	v_cvt_u32_f32_e32 v7, v5
	v_lshl_or_b32 v5, v57, 7, v6
	v_mov_b32_e32 v23, 0
	v_mov_b32_e32 v24, 0
	;; [unrolled: 1-line block ×3, first 2 shown]
	v_mul_lo_u32 v3, s0, v7
	s_lshl_b64 s[0:1], s[30:31], 2
	v_add_nc_u32_e32 v32, 0x100, v5
	s_add_u32 s0, s28, s0
	s_addc_u32 s1, s29, s1
	v_add_co_u32 v5, vcc_lo, s0, v1
	v_mov_b32_e32 v26, 0
	v_mul_hi_u32 v3, v7, v3
	v_add_co_ci_u32_e64 v31, null, s9, 0, s6
	v_add_co_ci_u32_e64 v6, null, s1, v2, vcc_lo
	v_mov_b32_e32 v27, 0
	s_mov_b32 s9, s13
	s_mov_b32 s6, 0
	v_add_nc_u32_e32 v33, v7, v3
	s_branch .LBB112_38
.LBB112_36:                             ;   in Loop: Header=BB112_38 Depth=1
	s_or_b32 exec_lo, exec_lo, s1
	v_add_f32_e32 v9, v9, v10
	v_add_f32_e32 v10, v70, v71
	;; [unrolled: 1-line block ×3, first 2 shown]
	v_lshlrev_b32_e32 v8, 16, v8
	v_lshlrev_b32_e32 v7, 16, v7
	v_add_f32_e32 v16, v16, v9
	v_add_f32_e32 v17, v17, v10
	v_lshlrev_b32_e32 v10, 16, v72
	v_add_f32_e32 v15, v15, v34
	v_add_f32_e32 v9, v66, v67
	v_add_f32_e32 v34, v64, v65
	v_and_or_b32 v2, 0xffff, v2, v8
	v_and_or_b32 v1, 0xffff, v1, v10
	;; [unrolled: 1-line block ×3, first 2 shown]
	;;#ASMSTART
	v_pk_mul_f16 v1, v39, v1;

	;;#ASMEND
	;;#ASMSTART
	v_pk_mul_f16 v2, v37, v2;

	;;#ASMEND
	;; [unrolled: 4-line block ×4, first 2 shown]
	;;#ASMSTART
	v_pk_add_f16 v1, v1, v2;

	;;#ASMEND
	;;#ASMSTART
	v_pk_add_f16 v1, v1, v3;

	;;#ASMEND
	;;#ASMSTART
	v_pk_add_f16 v1, v1, v4;

	;;#ASMEND
	v_and_b32_e32 v4, 0xffff, v1
	v_lshrrev_b32_e32 v8, 16, v1
	;;#ASMSTART
	v_cvt_f32_f16 v4, v4;
	;;#ASMEND
	v_add_f32_e32 v35, v68, v69
	v_add_f32_e32 v36, v62, v63
	;; [unrolled: 1-line block ×10, first 2 shown]
	;;#ASMSTART
	v_cvt_f32_f16 v8, v8;
	;;#ASMEND
	v_add_f32_e32 v4, v4, v8
	v_add_f32_e32 v18, v18, v35
	;; [unrolled: 1-line block ×10, first 2 shown]
.LBB112_37:                             ;   in Loop: Header=BB112_38 Depth=1
	s_or_b32 exec_lo, exec_lo, s13
	v_add_nc_u32_e32 v53, 4, v53
	v_add_co_u32 v5, s0, v5, 16
	v_add_co_ci_u32_e64 v6, null, 0, v6, s0
	v_cmp_le_i32_e32 vcc_lo, s16, v53
	v_add_nc_u32_e32 v59, 0x80, v59
	v_add_nc_u32_e32 v32, 0x200, v32
	s_or_b32 s6, vcc_lo, s6
	s_andn2_b32 exec_lo, exec_lo, s6
	s_cbranch_execz .LBB112_67
.LBB112_38:                             ; =>This Inner Loop Header: Depth=1
	v_sub_nc_u32_e32 v1, 0, v59
	v_max_i32_e32 v1, v59, v1
	v_mul_hi_u32 v2, v1, s12
	v_mul_lo_u32 v3, v2, s11
	v_sub_nc_u32_e32 v1, v1, v3
	v_add_nc_u32_e32 v3, 1, v2
	v_subrev_nc_u32_e32 v4, s11, v1
	v_cmp_le_u32_e32 vcc_lo, s11, v1
	v_cndmask_b32_e32 v2, v2, v3, vcc_lo
	v_cndmask_b32_e32 v1, v1, v4, vcc_lo
	v_ashrrev_i32_e32 v3, 31, v59
	v_add_nc_u32_e32 v4, 1, v2
	v_cmp_le_u32_e32 vcc_lo, s11, v1
	v_xor_b32_e32 v3, s19, v3
	v_cndmask_b32_e32 v1, v2, v4, vcc_lo
	v_xor_b32_e32 v1, v1, v3
	v_sub_nc_u32_e32 v1, v1, v3
	v_add_nc_u32_e32 v2, s33, v1
	v_cmp_lt_i32_e64 s0, s4, v1
	v_sub_nc_u32_e32 v3, 0, v2
	v_max_i32_e32 v3, v2, v3
	v_ashrrev_i32_e32 v2, 31, v2
	v_mul_hi_u32 v4, v3, v33
	v_mul_lo_u32 v4, v4, s5
	v_sub_nc_u32_e32 v3, v3, v4
	v_subrev_nc_u32_e32 v4, s5, v3
	v_cmp_le_u32_e32 vcc_lo, s5, v3
	v_cndmask_b32_e32 v3, v3, v4, vcc_lo
	v_subrev_nc_u32_e32 v4, s5, v3
	v_cmp_le_u32_e32 vcc_lo, s5, v3
	v_cndmask_b32_e32 v3, v3, v4, vcc_lo
	v_xor_b32_e32 v3, v3, v2
	v_sub_nc_u32_e32 v2, v3, v2
	v_cmp_eq_u32_e32 vcc_lo, 0, v2
	s_or_b32 s0, vcc_lo, s0
	s_and_saveexec_b32 s13, s0
	s_cbranch_execz .LBB112_37
; %bb.39:                               ;   in Loop: Header=BB112_38 Depth=1
	global_load_dword v7, v[5:6], off
	ds_read2_b64 v[1:4], v32 offset1:1
	ds_read2_b64 v[45:48], v32 offset0:2 offset1:3
	v_add_nc_u32_e32 v42, v29, v59
	v_cmp_eq_u32_e64 s0, s36, v53
	s_waitcnt lgkmcnt(1)
	;;#ASMSTART
	v_cvt_f16_f32 v39, v1;

	;;#ASMEND
	;;#ASMSTART
	v_cvt_f16_f32 v37, v2;

	;;#ASMEND
	;; [unrolled: 4-line block ×4, first 2 shown]
	s_waitcnt lgkmcnt(0)
	;;#ASMSTART
	v_cvt_f16_f32 v45, v45;

	;;#ASMEND
	;;#ASMSTART
	v_cvt_f16_f32 v10, v46;

	;;#ASMEND
	;; [unrolled: 4-line block ×4, first 2 shown]
	v_add_nc_u32_e32 v47, 1, v42
	v_add_nc_u32_e32 v40, 2, v42
	;; [unrolled: 1-line block ×7, first 2 shown]
	s_waitcnt vmcnt(0)
	v_mad_i64_i32 v[7:8], null, v7, s9, 0
	v_lshlrev_b64 v[7:8], 1, v[7:8]
	v_add_co_u32 v7, vcc_lo, v30, v7
	v_add_co_ci_u32_e64 v8, null, v31, v8, vcc_lo
	global_load_dwordx4 v[1:4], v[7:8], off
	s_waitcnt vmcnt(0)
	v_lshrrev_b32_e32 v50, 16, v1
	v_lshrrev_b32_e32 v49, 16, v2
	v_lshrrev_b32_e32 v48, 16, v3
	s_and_saveexec_b32 s14, s0
	s_cbranch_execz .LBB112_41
; %bb.40:                               ;   in Loop: Header=BB112_38 Depth=1
	v_cmp_gt_i32_e32 vcc_lo, s27, v42
	v_and_b32_e32 v51, 0xffff0000, v4
	v_cmp_gt_i32_e64 s1, s27, v40
	v_cndmask_b32_e32 v1, 0, v1, vcc_lo
	v_cmp_gt_i32_e32 vcc_lo, s27, v47
	v_cndmask_b32_e64 v2, 0, v2, s1
	v_cmp_gt_i32_e64 s1, s27, v38
	v_cndmask_b32_e32 v50, 0, v50, vcc_lo
	v_cmp_gt_i32_e32 vcc_lo, s27, v46
	v_cndmask_b32_e64 v49, 0, v49, s1
	v_cndmask_b32_sdwa v4, v28, v4, vcc_lo dst_sel:DWORD dst_unused:UNUSED_PAD src0_sel:DWORD src1_sel:WORD_0
	v_cmp_gt_i32_e32 vcc_lo, s27, v36
	v_cndmask_b32_e32 v51, 0, v51, vcc_lo
	v_cmp_gt_i32_e32 vcc_lo, s27, v35
	v_or_b32_e32 v4, v4, v51
	v_cndmask_b32_e32 v3, 0, v3, vcc_lo
	v_cmp_gt_i32_e32 vcc_lo, s27, v34
	v_cndmask_b32_e32 v48, 0, v48, vcc_lo
.LBB112_41:                             ;   in Loop: Header=BB112_38 Depth=1
	s_or_b32 exec_lo, exec_lo, s14
	v_and_b32_e32 v39, 0xffff, v39
	v_and_b32_e32 v44, 0xffff, v44
	v_lshlrev_b32_e32 v50, 16, v50
	v_lshlrev_b32_e32 v48, 16, v48
	v_and_b32_e32 v45, 0xffff, v45
	v_lshl_or_b32 v39, v37, 16, v39
	v_lshl_or_b32 v37, v41, 16, v44
	v_lshlrev_b32_e32 v41, 16, v49
	v_and_b32_e32 v43, 0xffff, v43
	v_and_or_b32 v1, 0xffff, v1, v50
	v_and_or_b32 v3, 0xffff, v3, v48
	;;#ASMSTART
	v_pk_mul_f16 v1, v39, v1;

	;;#ASMEND
	v_and_or_b32 v2, 0xffff, v2, v41
	v_lshl_or_b32 v44, v10, 16, v45
	v_lshl_or_b32 v45, v9, 16, v43
	;;#ASMSTART
	v_pk_mul_f16 v2, v37, v2;

	;;#ASMEND
	;;#ASMSTART
	v_pk_mul_f16 v3, v44, v3;

	;;#ASMEND
	;; [unrolled: 4-line block ×3, first 2 shown]
	;;#ASMSTART
	v_pk_add_f16 v1, v1, v2;

	;;#ASMEND
	;;#ASMSTART
	v_pk_add_f16 v1, v1, v3;

	;;#ASMEND
	;; [unrolled: 4-line block ×3, first 2 shown]
	v_and_b32_e32 v2, 0xffff, v1
	v_lshrrev_b32_e32 v1, 16, v1
	;;#ASMSTART
	v_cvt_f32_f16 v41, v2;
	;;#ASMEND
	;;#ASMSTART
	v_cvt_f32_f16 v43, v1;
	;;#ASMEND
	global_load_dwordx4 v[1:4], v[7:8], off offset:512
	s_waitcnt vmcnt(0)
	v_lshrrev_b32_e32 v48, 16, v1
	v_lshrrev_b32_e32 v10, 16, v2
	;; [unrolled: 1-line block ×3, first 2 shown]
	s_and_saveexec_b32 s14, s0
	s_cbranch_execz .LBB112_43
; %bb.42:                               ;   in Loop: Header=BB112_38 Depth=1
	v_cmp_gt_i32_e32 vcc_lo, s27, v42
	v_and_b32_e32 v49, 0xffff0000, v4
	v_cmp_gt_i32_e64 s1, s27, v40
	v_cndmask_b32_e32 v1, 0, v1, vcc_lo
	v_cmp_gt_i32_e32 vcc_lo, s27, v47
	v_cndmask_b32_e64 v2, 0, v2, s1
	v_cmp_gt_i32_e64 s1, s27, v38
	v_cndmask_b32_e32 v48, 0, v48, vcc_lo
	v_cmp_gt_i32_e32 vcc_lo, s27, v46
	v_cndmask_b32_e64 v10, 0, v10, s1
	v_cndmask_b32_sdwa v4, v28, v4, vcc_lo dst_sel:DWORD dst_unused:UNUSED_PAD src0_sel:DWORD src1_sel:WORD_0
	v_cmp_gt_i32_e32 vcc_lo, s27, v36
	v_cndmask_b32_e32 v49, 0, v49, vcc_lo
	v_cmp_gt_i32_e32 vcc_lo, s27, v35
	v_or_b32_e32 v4, v4, v49
	v_cndmask_b32_e32 v3, 0, v3, vcc_lo
	v_cmp_gt_i32_e32 vcc_lo, s27, v34
	v_cndmask_b32_e32 v9, 0, v9, vcc_lo
.LBB112_43:                             ;   in Loop: Header=BB112_38 Depth=1
	s_or_b32 exec_lo, exec_lo, s14
	v_lshlrev_b32_e32 v48, 16, v48
	v_lshlrev_b32_e32 v10, 16, v10
	;; [unrolled: 1-line block ×3, first 2 shown]
	v_and_or_b32 v1, 0xffff, v1, v48
	v_and_or_b32 v2, 0xffff, v2, v10
	;; [unrolled: 1-line block ×3, first 2 shown]
	;;#ASMSTART
	v_pk_mul_f16 v1, v39, v1;

	;;#ASMEND
	;;#ASMSTART
	v_pk_mul_f16 v2, v37, v2;

	;;#ASMEND
	;; [unrolled: 4-line block ×4, first 2 shown]
	;;#ASMSTART
	v_pk_add_f16 v1, v1, v2;

	;;#ASMEND
	;;#ASMSTART
	v_pk_add_f16 v1, v1, v3;

	;;#ASMEND
	;; [unrolled: 4-line block ×3, first 2 shown]
	v_and_b32_e32 v2, 0xffff, v1
	v_lshrrev_b32_e32 v1, 16, v1
	;;#ASMSTART
	v_cvt_f32_f16 v48, v2;
	;;#ASMEND
	;;#ASMSTART
	v_cvt_f32_f16 v49, v1;
	;;#ASMEND
	global_load_dwordx4 v[1:4], v[7:8], off offset:1024
	s_waitcnt vmcnt(0)
	v_lshrrev_b32_e32 v50, 16, v1
	v_lshrrev_b32_e32 v10, 16, v2
	;; [unrolled: 1-line block ×3, first 2 shown]
	s_and_saveexec_b32 s14, s0
	s_cbranch_execz .LBB112_45
; %bb.44:                               ;   in Loop: Header=BB112_38 Depth=1
	v_cmp_gt_i32_e32 vcc_lo, s27, v42
	v_and_b32_e32 v51, 0xffff0000, v4
	v_cmp_gt_i32_e64 s1, s27, v40
	v_cndmask_b32_e32 v1, 0, v1, vcc_lo
	v_cmp_gt_i32_e32 vcc_lo, s27, v47
	v_cndmask_b32_e64 v2, 0, v2, s1
	v_cmp_gt_i32_e64 s1, s27, v38
	v_cndmask_b32_e32 v50, 0, v50, vcc_lo
	v_cmp_gt_i32_e32 vcc_lo, s27, v46
	v_cndmask_b32_e64 v10, 0, v10, s1
	v_cndmask_b32_sdwa v4, v28, v4, vcc_lo dst_sel:DWORD dst_unused:UNUSED_PAD src0_sel:DWORD src1_sel:WORD_0
	v_cmp_gt_i32_e32 vcc_lo, s27, v36
	v_cndmask_b32_e32 v51, 0, v51, vcc_lo
	v_cmp_gt_i32_e32 vcc_lo, s27, v35
	v_or_b32_e32 v4, v4, v51
	v_cndmask_b32_e32 v3, 0, v3, vcc_lo
	v_cmp_gt_i32_e32 vcc_lo, s27, v34
	v_cndmask_b32_e32 v9, 0, v9, vcc_lo
.LBB112_45:                             ;   in Loop: Header=BB112_38 Depth=1
	s_or_b32 exec_lo, exec_lo, s14
	v_lshlrev_b32_e32 v50, 16, v50
	v_lshlrev_b32_e32 v10, 16, v10
	;; [unrolled: 1-line block ×3, first 2 shown]
	v_and_or_b32 v1, 0xffff, v1, v50
	v_and_or_b32 v2, 0xffff, v2, v10
	v_and_or_b32 v3, 0xffff, v3, v9
	;;#ASMSTART
	v_pk_mul_f16 v1, v39, v1;

	;;#ASMEND
	;;#ASMSTART
	v_pk_mul_f16 v2, v37, v2;

	;;#ASMEND
	;; [unrolled: 4-line block ×4, first 2 shown]
	;;#ASMSTART
	v_pk_add_f16 v1, v1, v2;

	;;#ASMEND
	;;#ASMSTART
	v_pk_add_f16 v1, v1, v3;

	;;#ASMEND
	;; [unrolled: 4-line block ×3, first 2 shown]
	v_and_b32_e32 v2, 0xffff, v1
	v_lshrrev_b32_e32 v1, 16, v1
	;;#ASMSTART
	v_cvt_f32_f16 v50, v2;
	;;#ASMEND
	;;#ASMSTART
	v_cvt_f32_f16 v51, v1;
	;;#ASMEND
	global_load_dwordx4 v[1:4], v[7:8], off offset:1536
	s_waitcnt vmcnt(0)
	v_lshrrev_b32_e32 v52, 16, v1
	v_lshrrev_b32_e32 v10, 16, v2
	v_lshrrev_b32_e32 v9, 16, v3
	s_and_saveexec_b32 s14, s0
	s_cbranch_execz .LBB112_47
; %bb.46:                               ;   in Loop: Header=BB112_38 Depth=1
	v_cmp_gt_i32_e32 vcc_lo, s27, v42
	v_and_b32_e32 v54, 0xffff0000, v4
	v_cmp_gt_i32_e64 s1, s27, v40
	v_cndmask_b32_e32 v1, 0, v1, vcc_lo
	v_cmp_gt_i32_e32 vcc_lo, s27, v47
	v_cndmask_b32_e64 v2, 0, v2, s1
	v_cmp_gt_i32_e64 s1, s27, v38
	v_cndmask_b32_e32 v52, 0, v52, vcc_lo
	v_cmp_gt_i32_e32 vcc_lo, s27, v46
	v_cndmask_b32_e64 v10, 0, v10, s1
	v_cndmask_b32_sdwa v4, v28, v4, vcc_lo dst_sel:DWORD dst_unused:UNUSED_PAD src0_sel:DWORD src1_sel:WORD_0
	v_cmp_gt_i32_e32 vcc_lo, s27, v36
	v_cndmask_b32_e32 v54, 0, v54, vcc_lo
	v_cmp_gt_i32_e32 vcc_lo, s27, v35
	v_or_b32_e32 v4, v4, v54
	v_cndmask_b32_e32 v3, 0, v3, vcc_lo
	v_cmp_gt_i32_e32 vcc_lo, s27, v34
	v_cndmask_b32_e32 v9, 0, v9, vcc_lo
.LBB112_47:                             ;   in Loop: Header=BB112_38 Depth=1
	s_or_b32 exec_lo, exec_lo, s14
	v_lshlrev_b32_e32 v9, 16, v9
	v_lshlrev_b32_e32 v52, 16, v52
	;; [unrolled: 1-line block ×3, first 2 shown]
	v_and_or_b32 v3, 0xffff, v3, v9
	v_add_co_u32 v9, vcc_lo, 0x800, v7
	v_and_or_b32 v1, 0xffff, v1, v52
	v_and_or_b32 v2, 0xffff, v2, v10
	;;#ASMSTART
	v_pk_mul_f16 v1, v39, v1;

	;;#ASMEND
	v_add_co_ci_u32_e64 v10, null, 0, v8, vcc_lo
	;;#ASMSTART
	v_pk_mul_f16 v2, v37, v2;

	;;#ASMEND
	;;#ASMSTART
	v_pk_mul_f16 v3, v44, v3;

	;;#ASMEND
	;; [unrolled: 4-line block ×3, first 2 shown]
	;;#ASMSTART
	v_pk_add_f16 v1, v1, v2;

	;;#ASMEND
	;;#ASMSTART
	v_pk_add_f16 v1, v1, v3;

	;;#ASMEND
	;; [unrolled: 4-line block ×3, first 2 shown]
	v_lshrrev_b32_e32 v2, 16, v1
	v_and_b32_e32 v1, 0xffff, v1
	;;#ASMSTART
	v_cvt_f32_f16 v52, v1;
	;;#ASMEND
	;;#ASMSTART
	v_cvt_f32_f16 v54, v2;
	;;#ASMEND
	global_load_dwordx4 v[1:4], v[9:10], off
	s_waitcnt vmcnt(0)
	v_lshrrev_b32_e32 v60, 16, v1
	v_lshrrev_b32_e32 v56, 16, v2
	;; [unrolled: 1-line block ×3, first 2 shown]
	s_and_saveexec_b32 s14, s0
	s_cbranch_execz .LBB112_49
; %bb.48:                               ;   in Loop: Header=BB112_38 Depth=1
	v_cmp_gt_i32_e32 vcc_lo, s27, v42
	v_and_b32_e32 v61, 0xffff0000, v4
	v_cmp_gt_i32_e64 s1, s27, v40
	v_cndmask_b32_e32 v1, 0, v1, vcc_lo
	v_cmp_gt_i32_e32 vcc_lo, s27, v47
	v_cndmask_b32_e64 v2, 0, v2, s1
	v_cmp_gt_i32_e64 s1, s27, v38
	v_cndmask_b32_e32 v60, 0, v60, vcc_lo
	v_cmp_gt_i32_e32 vcc_lo, s27, v46
	v_cndmask_b32_e64 v56, 0, v56, s1
	v_cndmask_b32_sdwa v4, v28, v4, vcc_lo dst_sel:DWORD dst_unused:UNUSED_PAD src0_sel:DWORD src1_sel:WORD_0
	v_cmp_gt_i32_e32 vcc_lo, s27, v36
	v_cndmask_b32_e32 v61, 0, v61, vcc_lo
	v_cmp_gt_i32_e32 vcc_lo, s27, v35
	v_or_b32_e32 v4, v4, v61
	v_cndmask_b32_e32 v3, 0, v3, vcc_lo
	v_cmp_gt_i32_e32 vcc_lo, s27, v34
	v_cndmask_b32_e32 v55, 0, v55, vcc_lo
.LBB112_49:                             ;   in Loop: Header=BB112_38 Depth=1
	s_or_b32 exec_lo, exec_lo, s14
	v_lshlrev_b32_e32 v60, 16, v60
	v_lshlrev_b32_e32 v56, 16, v56
	;; [unrolled: 1-line block ×3, first 2 shown]
	v_and_or_b32 v1, 0xffff, v1, v60
	v_and_or_b32 v2, 0xffff, v2, v56
	;; [unrolled: 1-line block ×3, first 2 shown]
	;;#ASMSTART
	v_pk_mul_f16 v1, v39, v1;

	;;#ASMEND
	;;#ASMSTART
	v_pk_mul_f16 v2, v37, v2;

	;;#ASMEND
	;;#ASMSTART
	v_pk_mul_f16 v3, v44, v3;

	;;#ASMEND
	;;#ASMSTART
	v_pk_mul_f16 v4, v45, v4;

	;;#ASMEND
	;;#ASMSTART
	v_pk_add_f16 v1, v1, v2;

	;;#ASMEND
	;;#ASMSTART
	v_pk_add_f16 v1, v1, v3;

	;;#ASMEND
	;; [unrolled: 4-line block ×3, first 2 shown]
	v_and_b32_e32 v2, 0xffff, v1
	v_lshrrev_b32_e32 v1, 16, v1
	;;#ASMSTART
	v_cvt_f32_f16 v55, v2;
	;;#ASMEND
	;;#ASMSTART
	v_cvt_f32_f16 v56, v1;
	;;#ASMEND
	global_load_dwordx4 v[1:4], v[9:10], off offset:512
	s_waitcnt vmcnt(0)
	v_lshrrev_b32_e32 v62, 16, v1
	v_lshrrev_b32_e32 v61, 16, v2
	;; [unrolled: 1-line block ×3, first 2 shown]
	s_and_saveexec_b32 s14, s0
	s_cbranch_execz .LBB112_51
; %bb.50:                               ;   in Loop: Header=BB112_38 Depth=1
	v_cmp_gt_i32_e32 vcc_lo, s27, v42
	v_and_b32_e32 v63, 0xffff0000, v4
	v_cmp_gt_i32_e64 s1, s27, v40
	v_cndmask_b32_e32 v1, 0, v1, vcc_lo
	v_cmp_gt_i32_e32 vcc_lo, s27, v47
	v_cndmask_b32_e64 v2, 0, v2, s1
	v_cmp_gt_i32_e64 s1, s27, v38
	v_cndmask_b32_e32 v62, 0, v62, vcc_lo
	v_cmp_gt_i32_e32 vcc_lo, s27, v46
	v_cndmask_b32_e64 v61, 0, v61, s1
	v_cndmask_b32_sdwa v4, v28, v4, vcc_lo dst_sel:DWORD dst_unused:UNUSED_PAD src0_sel:DWORD src1_sel:WORD_0
	v_cmp_gt_i32_e32 vcc_lo, s27, v36
	v_cndmask_b32_e32 v63, 0, v63, vcc_lo
	v_cmp_gt_i32_e32 vcc_lo, s27, v35
	v_or_b32_e32 v4, v4, v63
	v_cndmask_b32_e32 v3, 0, v3, vcc_lo
	v_cmp_gt_i32_e32 vcc_lo, s27, v34
	v_cndmask_b32_e32 v60, 0, v60, vcc_lo
.LBB112_51:                             ;   in Loop: Header=BB112_38 Depth=1
	s_or_b32 exec_lo, exec_lo, s14
	v_lshlrev_b32_e32 v62, 16, v62
	v_lshlrev_b32_e32 v61, 16, v61
	;; [unrolled: 1-line block ×3, first 2 shown]
	v_and_or_b32 v1, 0xffff, v1, v62
	v_and_or_b32 v2, 0xffff, v2, v61
	;; [unrolled: 1-line block ×3, first 2 shown]
	;;#ASMSTART
	v_pk_mul_f16 v1, v39, v1;

	;;#ASMEND
	;;#ASMSTART
	v_pk_mul_f16 v2, v37, v2;

	;;#ASMEND
	;;#ASMSTART
	v_pk_mul_f16 v3, v44, v3;

	;;#ASMEND
	;;#ASMSTART
	v_pk_mul_f16 v4, v45, v4;

	;;#ASMEND
	;;#ASMSTART
	v_pk_add_f16 v1, v1, v2;

	;;#ASMEND
	;;#ASMSTART
	v_pk_add_f16 v1, v1, v3;

	;;#ASMEND
	;; [unrolled: 4-line block ×3, first 2 shown]
	v_and_b32_e32 v2, 0xffff, v1
	v_lshrrev_b32_e32 v1, 16, v1
	;;#ASMSTART
	v_cvt_f32_f16 v60, v2;
	;;#ASMEND
	;;#ASMSTART
	v_cvt_f32_f16 v61, v1;
	;;#ASMEND
	global_load_dwordx4 v[1:4], v[9:10], off offset:1024
	s_waitcnt vmcnt(0)
	v_lshrrev_b32_e32 v64, 16, v1
	v_lshrrev_b32_e32 v63, 16, v2
	;; [unrolled: 1-line block ×3, first 2 shown]
	s_and_saveexec_b32 s14, s0
	s_cbranch_execz .LBB112_53
; %bb.52:                               ;   in Loop: Header=BB112_38 Depth=1
	v_cmp_gt_i32_e32 vcc_lo, s27, v42
	v_and_b32_e32 v65, 0xffff0000, v4
	v_cmp_gt_i32_e64 s1, s27, v40
	v_cndmask_b32_e32 v1, 0, v1, vcc_lo
	v_cmp_gt_i32_e32 vcc_lo, s27, v47
	v_cndmask_b32_e64 v2, 0, v2, s1
	v_cmp_gt_i32_e64 s1, s27, v38
	v_cndmask_b32_e32 v64, 0, v64, vcc_lo
	v_cmp_gt_i32_e32 vcc_lo, s27, v46
	v_cndmask_b32_e64 v63, 0, v63, s1
	v_cndmask_b32_sdwa v4, v28, v4, vcc_lo dst_sel:DWORD dst_unused:UNUSED_PAD src0_sel:DWORD src1_sel:WORD_0
	v_cmp_gt_i32_e32 vcc_lo, s27, v36
	v_cndmask_b32_e32 v65, 0, v65, vcc_lo
	v_cmp_gt_i32_e32 vcc_lo, s27, v35
	v_or_b32_e32 v4, v4, v65
	v_cndmask_b32_e32 v3, 0, v3, vcc_lo
	v_cmp_gt_i32_e32 vcc_lo, s27, v34
	v_cndmask_b32_e32 v62, 0, v62, vcc_lo
.LBB112_53:                             ;   in Loop: Header=BB112_38 Depth=1
	s_or_b32 exec_lo, exec_lo, s14
	v_lshlrev_b32_e32 v64, 16, v64
	v_lshlrev_b32_e32 v63, 16, v63
	;; [unrolled: 1-line block ×3, first 2 shown]
	v_and_or_b32 v1, 0xffff, v1, v64
	v_and_or_b32 v2, 0xffff, v2, v63
	;; [unrolled: 1-line block ×3, first 2 shown]
	;;#ASMSTART
	v_pk_mul_f16 v1, v39, v1;

	;;#ASMEND
	;;#ASMSTART
	v_pk_mul_f16 v2, v37, v2;

	;;#ASMEND
	;; [unrolled: 4-line block ×4, first 2 shown]
	;;#ASMSTART
	v_pk_add_f16 v1, v1, v2;

	;;#ASMEND
	;;#ASMSTART
	v_pk_add_f16 v1, v1, v3;

	;;#ASMEND
	;; [unrolled: 4-line block ×3, first 2 shown]
	v_and_b32_e32 v2, 0xffff, v1
	v_lshrrev_b32_e32 v1, 16, v1
	;;#ASMSTART
	v_cvt_f32_f16 v62, v2;
	;;#ASMEND
	;;#ASMSTART
	v_cvt_f32_f16 v63, v1;
	;;#ASMEND
	global_load_dwordx4 v[1:4], v[9:10], off offset:1536
	s_waitcnt vmcnt(0)
	v_lshrrev_b32_e32 v64, 16, v1
	v_lshrrev_b32_e32 v10, 16, v2
	;; [unrolled: 1-line block ×3, first 2 shown]
	s_and_saveexec_b32 s14, s0
	s_cbranch_execz .LBB112_55
; %bb.54:                               ;   in Loop: Header=BB112_38 Depth=1
	v_cmp_gt_i32_e32 vcc_lo, s27, v42
	v_and_b32_e32 v65, 0xffff0000, v4
	v_cmp_gt_i32_e64 s1, s27, v40
	v_cndmask_b32_e32 v1, 0, v1, vcc_lo
	v_cmp_gt_i32_e32 vcc_lo, s27, v47
	v_cndmask_b32_e64 v2, 0, v2, s1
	v_cmp_gt_i32_e64 s1, s27, v38
	v_cndmask_b32_e32 v64, 0, v64, vcc_lo
	v_cmp_gt_i32_e32 vcc_lo, s27, v46
	v_cndmask_b32_e64 v10, 0, v10, s1
	v_cndmask_b32_sdwa v4, v28, v4, vcc_lo dst_sel:DWORD dst_unused:UNUSED_PAD src0_sel:DWORD src1_sel:WORD_0
	v_cmp_gt_i32_e32 vcc_lo, s27, v36
	v_cndmask_b32_e32 v65, 0, v65, vcc_lo
	v_cmp_gt_i32_e32 vcc_lo, s27, v35
	v_or_b32_e32 v4, v4, v65
	v_cndmask_b32_e32 v3, 0, v3, vcc_lo
	v_cmp_gt_i32_e32 vcc_lo, s27, v34
	v_cndmask_b32_e32 v9, 0, v9, vcc_lo
.LBB112_55:                             ;   in Loop: Header=BB112_38 Depth=1
	s_or_b32 exec_lo, exec_lo, s14
	v_lshlrev_b32_e32 v9, 16, v9
	v_lshlrev_b32_e32 v64, 16, v64
	;; [unrolled: 1-line block ×3, first 2 shown]
	v_and_or_b32 v3, 0xffff, v3, v9
	v_add_co_u32 v9, vcc_lo, 0x1000, v7
	v_and_or_b32 v1, 0xffff, v1, v64
	v_and_or_b32 v2, 0xffff, v2, v10
	;;#ASMSTART
	v_pk_mul_f16 v1, v39, v1;

	;;#ASMEND
	v_add_co_ci_u32_e64 v10, null, 0, v8, vcc_lo
	;;#ASMSTART
	v_pk_mul_f16 v2, v37, v2;

	;;#ASMEND
	;;#ASMSTART
	v_pk_mul_f16 v3, v44, v3;

	;;#ASMEND
	;; [unrolled: 4-line block ×3, first 2 shown]
	;;#ASMSTART
	v_pk_add_f16 v1, v1, v2;

	;;#ASMEND
	;;#ASMSTART
	v_pk_add_f16 v1, v1, v3;

	;;#ASMEND
	;;#ASMSTART
	v_pk_add_f16 v1, v1, v4;

	;;#ASMEND
	v_lshrrev_b32_e32 v2, 16, v1
	v_and_b32_e32 v1, 0xffff, v1
	;;#ASMSTART
	v_cvt_f32_f16 v64, v1;
	;;#ASMEND
	;;#ASMSTART
	v_cvt_f32_f16 v65, v2;
	;;#ASMEND
	global_load_dwordx4 v[1:4], v[9:10], off
	s_waitcnt vmcnt(0)
	v_lshrrev_b32_e32 v68, 16, v1
	v_lshrrev_b32_e32 v67, 16, v2
	;; [unrolled: 1-line block ×3, first 2 shown]
	s_and_saveexec_b32 s14, s0
	s_cbranch_execz .LBB112_57
; %bb.56:                               ;   in Loop: Header=BB112_38 Depth=1
	v_cmp_gt_i32_e32 vcc_lo, s27, v42
	v_and_b32_e32 v69, 0xffff0000, v4
	v_cmp_gt_i32_e64 s1, s27, v40
	v_cndmask_b32_e32 v1, 0, v1, vcc_lo
	v_cmp_gt_i32_e32 vcc_lo, s27, v47
	v_cndmask_b32_e64 v2, 0, v2, s1
	v_cmp_gt_i32_e64 s1, s27, v38
	v_cndmask_b32_e32 v68, 0, v68, vcc_lo
	v_cmp_gt_i32_e32 vcc_lo, s27, v46
	v_cndmask_b32_e64 v67, 0, v67, s1
	v_cndmask_b32_sdwa v4, v28, v4, vcc_lo dst_sel:DWORD dst_unused:UNUSED_PAD src0_sel:DWORD src1_sel:WORD_0
	v_cmp_gt_i32_e32 vcc_lo, s27, v36
	v_cndmask_b32_e32 v69, 0, v69, vcc_lo
	v_cmp_gt_i32_e32 vcc_lo, s27, v35
	v_or_b32_e32 v4, v4, v69
	v_cndmask_b32_e32 v3, 0, v3, vcc_lo
	v_cmp_gt_i32_e32 vcc_lo, s27, v34
	v_cndmask_b32_e32 v66, 0, v66, vcc_lo
.LBB112_57:                             ;   in Loop: Header=BB112_38 Depth=1
	s_or_b32 exec_lo, exec_lo, s14
	v_lshlrev_b32_e32 v68, 16, v68
	v_lshlrev_b32_e32 v67, 16, v67
	;; [unrolled: 1-line block ×3, first 2 shown]
	v_and_or_b32 v1, 0xffff, v1, v68
	v_and_or_b32 v2, 0xffff, v2, v67
	;; [unrolled: 1-line block ×3, first 2 shown]
	;;#ASMSTART
	v_pk_mul_f16 v1, v39, v1;

	;;#ASMEND
	;;#ASMSTART
	v_pk_mul_f16 v2, v37, v2;

	;;#ASMEND
	;; [unrolled: 4-line block ×4, first 2 shown]
	;;#ASMSTART
	v_pk_add_f16 v1, v1, v2;

	;;#ASMEND
	;;#ASMSTART
	v_pk_add_f16 v1, v1, v3;

	;;#ASMEND
	;; [unrolled: 4-line block ×3, first 2 shown]
	v_and_b32_e32 v2, 0xffff, v1
	v_lshrrev_b32_e32 v1, 16, v1
	;;#ASMSTART
	v_cvt_f32_f16 v66, v2;
	;;#ASMEND
	;;#ASMSTART
	v_cvt_f32_f16 v67, v1;
	;;#ASMEND
	global_load_dwordx4 v[1:4], v[9:10], off offset:512
	s_waitcnt vmcnt(0)
	v_lshrrev_b32_e32 v70, 16, v1
	v_lshrrev_b32_e32 v69, 16, v2
	;; [unrolled: 1-line block ×3, first 2 shown]
	s_and_saveexec_b32 s14, s0
	s_cbranch_execz .LBB112_59
; %bb.58:                               ;   in Loop: Header=BB112_38 Depth=1
	v_cmp_gt_i32_e32 vcc_lo, s27, v42
	v_and_b32_e32 v71, 0xffff0000, v4
	v_cmp_gt_i32_e64 s1, s27, v40
	v_cndmask_b32_e32 v1, 0, v1, vcc_lo
	v_cmp_gt_i32_e32 vcc_lo, s27, v47
	v_cndmask_b32_e64 v2, 0, v2, s1
	v_cmp_gt_i32_e64 s1, s27, v38
	v_cndmask_b32_e32 v70, 0, v70, vcc_lo
	v_cmp_gt_i32_e32 vcc_lo, s27, v46
	v_cndmask_b32_e64 v69, 0, v69, s1
	v_cndmask_b32_sdwa v4, v28, v4, vcc_lo dst_sel:DWORD dst_unused:UNUSED_PAD src0_sel:DWORD src1_sel:WORD_0
	v_cmp_gt_i32_e32 vcc_lo, s27, v36
	v_cndmask_b32_e32 v71, 0, v71, vcc_lo
	v_cmp_gt_i32_e32 vcc_lo, s27, v35
	v_or_b32_e32 v4, v4, v71
	v_cndmask_b32_e32 v3, 0, v3, vcc_lo
	v_cmp_gt_i32_e32 vcc_lo, s27, v34
	v_cndmask_b32_e32 v68, 0, v68, vcc_lo
.LBB112_59:                             ;   in Loop: Header=BB112_38 Depth=1
	s_or_b32 exec_lo, exec_lo, s14
	v_lshlrev_b32_e32 v70, 16, v70
	v_lshlrev_b32_e32 v69, 16, v69
	v_lshlrev_b32_e32 v68, 16, v68
	v_and_or_b32 v1, 0xffff, v1, v70
	v_and_or_b32 v2, 0xffff, v2, v69
	;; [unrolled: 1-line block ×3, first 2 shown]
	;;#ASMSTART
	v_pk_mul_f16 v1, v39, v1;

	;;#ASMEND
	;;#ASMSTART
	v_pk_mul_f16 v2, v37, v2;

	;;#ASMEND
	;; [unrolled: 4-line block ×4, first 2 shown]
	;;#ASMSTART
	v_pk_add_f16 v1, v1, v2;

	;;#ASMEND
	;;#ASMSTART
	v_pk_add_f16 v1, v1, v3;

	;;#ASMEND
	;; [unrolled: 4-line block ×3, first 2 shown]
	v_and_b32_e32 v2, 0xffff, v1
	v_lshrrev_b32_e32 v1, 16, v1
	;;#ASMSTART
	v_cvt_f32_f16 v68, v2;
	;;#ASMEND
	;;#ASMSTART
	v_cvt_f32_f16 v69, v1;
	;;#ASMEND
	global_load_dwordx4 v[1:4], v[9:10], off offset:1024
	s_waitcnt vmcnt(0)
	v_lshrrev_b32_e32 v72, 16, v1
	v_lshrrev_b32_e32 v71, 16, v2
	;; [unrolled: 1-line block ×3, first 2 shown]
	s_and_saveexec_b32 s14, s0
	s_cbranch_execz .LBB112_61
; %bb.60:                               ;   in Loop: Header=BB112_38 Depth=1
	v_cmp_gt_i32_e32 vcc_lo, s27, v42
	v_and_b32_e32 v73, 0xffff0000, v4
	v_cmp_gt_i32_e64 s1, s27, v40
	v_cndmask_b32_e32 v1, 0, v1, vcc_lo
	v_cmp_gt_i32_e32 vcc_lo, s27, v47
	v_cndmask_b32_e64 v2, 0, v2, s1
	v_cmp_gt_i32_e64 s1, s27, v38
	v_cndmask_b32_e32 v72, 0, v72, vcc_lo
	v_cmp_gt_i32_e32 vcc_lo, s27, v46
	v_cndmask_b32_e64 v71, 0, v71, s1
	v_cndmask_b32_sdwa v4, v28, v4, vcc_lo dst_sel:DWORD dst_unused:UNUSED_PAD src0_sel:DWORD src1_sel:WORD_0
	v_cmp_gt_i32_e32 vcc_lo, s27, v36
	v_cndmask_b32_e32 v73, 0, v73, vcc_lo
	v_cmp_gt_i32_e32 vcc_lo, s27, v35
	v_or_b32_e32 v4, v4, v73
	v_cndmask_b32_e32 v3, 0, v3, vcc_lo
	v_cmp_gt_i32_e32 vcc_lo, s27, v34
	v_cndmask_b32_e32 v70, 0, v70, vcc_lo
.LBB112_61:                             ;   in Loop: Header=BB112_38 Depth=1
	s_or_b32 exec_lo, exec_lo, s14
	v_lshlrev_b32_e32 v72, 16, v72
	v_lshlrev_b32_e32 v71, 16, v71
	;; [unrolled: 1-line block ×3, first 2 shown]
	v_and_or_b32 v1, 0xffff, v1, v72
	v_and_or_b32 v2, 0xffff, v2, v71
	;; [unrolled: 1-line block ×3, first 2 shown]
	;;#ASMSTART
	v_pk_mul_f16 v1, v39, v1;

	;;#ASMEND
	;;#ASMSTART
	v_pk_mul_f16 v2, v37, v2;

	;;#ASMEND
	;;#ASMSTART
	v_pk_mul_f16 v3, v44, v3;

	;;#ASMEND
	;;#ASMSTART
	v_pk_mul_f16 v4, v45, v4;

	;;#ASMEND
	;;#ASMSTART
	v_pk_add_f16 v1, v1, v2;

	;;#ASMEND
	;;#ASMSTART
	v_pk_add_f16 v1, v1, v3;

	;;#ASMEND
	;; [unrolled: 4-line block ×3, first 2 shown]
	v_and_b32_e32 v2, 0xffff, v1
	v_lshrrev_b32_e32 v1, 16, v1
	;;#ASMSTART
	v_cvt_f32_f16 v70, v2;
	;;#ASMEND
	;;#ASMSTART
	v_cvt_f32_f16 v71, v1;
	;;#ASMEND
	global_load_dwordx4 v[1:4], v[9:10], off offset:1536
	s_waitcnt vmcnt(0)
	v_lshrrev_b32_e32 v72, 16, v1
	v_lshrrev_b32_e32 v10, 16, v2
	v_lshrrev_b32_e32 v9, 16, v3
	s_and_saveexec_b32 s14, s0
	s_cbranch_execz .LBB112_63
; %bb.62:                               ;   in Loop: Header=BB112_38 Depth=1
	v_cmp_gt_i32_e32 vcc_lo, s27, v42
	v_and_b32_e32 v73, 0xffff0000, v4
	v_cmp_gt_i32_e64 s1, s27, v40
	v_cndmask_b32_e32 v1, 0, v1, vcc_lo
	v_cmp_gt_i32_e32 vcc_lo, s27, v47
	v_cndmask_b32_e64 v2, 0, v2, s1
	v_cmp_gt_i32_e64 s1, s27, v38
	v_cndmask_b32_e32 v72, 0, v72, vcc_lo
	v_cmp_gt_i32_e32 vcc_lo, s27, v46
	v_cndmask_b32_e64 v10, 0, v10, s1
	v_cndmask_b32_sdwa v4, v28, v4, vcc_lo dst_sel:DWORD dst_unused:UNUSED_PAD src0_sel:DWORD src1_sel:WORD_0
	v_cmp_gt_i32_e32 vcc_lo, s27, v36
	v_cndmask_b32_e32 v73, 0, v73, vcc_lo
	v_cmp_gt_i32_e32 vcc_lo, s27, v35
	v_or_b32_e32 v4, v4, v73
	v_cndmask_b32_e32 v3, 0, v3, vcc_lo
	v_cmp_gt_i32_e32 vcc_lo, s27, v34
	v_cndmask_b32_e32 v9, 0, v9, vcc_lo
.LBB112_63:                             ;   in Loop: Header=BB112_38 Depth=1
	s_or_b32 exec_lo, exec_lo, s14
	v_lshlrev_b32_e32 v72, 16, v72
	v_lshlrev_b32_e32 v10, 16, v10
	;; [unrolled: 1-line block ×3, first 2 shown]
	v_add_co_u32 v7, vcc_lo, 0x1800, v7
	v_and_or_b32 v1, 0xffff, v1, v72
	v_and_or_b32 v2, 0xffff, v2, v10
	;; [unrolled: 1-line block ×3, first 2 shown]
	;;#ASMSTART
	v_pk_mul_f16 v1, v39, v1;

	;;#ASMEND
	v_add_co_ci_u32_e64 v8, null, 0, v8, vcc_lo
	;;#ASMSTART
	v_pk_mul_f16 v2, v37, v2;

	;;#ASMEND
	;;#ASMSTART
	v_pk_mul_f16 v3, v44, v3;

	;;#ASMEND
	;; [unrolled: 4-line block ×3, first 2 shown]
	;;#ASMSTART
	v_pk_add_f16 v1, v1, v2;

	;;#ASMEND
	;;#ASMSTART
	v_pk_add_f16 v1, v1, v3;

	;;#ASMEND
	;; [unrolled: 4-line block ×3, first 2 shown]
	v_lshrrev_b32_e32 v2, 16, v1
	v_and_b32_e32 v1, 0xffff, v1
	;;#ASMSTART
	v_cvt_f32_f16 v9, v1;
	;;#ASMEND
	;;#ASMSTART
	v_cvt_f32_f16 v10, v2;
	;;#ASMEND
	global_load_dwordx4 v[1:4], v[7:8], off
	s_waitcnt vmcnt(0)
	v_lshrrev_b32_e32 v74, 16, v1
	v_lshrrev_b32_e32 v73, 16, v2
	;; [unrolled: 1-line block ×3, first 2 shown]
	s_and_saveexec_b32 s14, s0
	s_cbranch_execz .LBB112_65
; %bb.64:                               ;   in Loop: Header=BB112_38 Depth=1
	v_cmp_gt_i32_e32 vcc_lo, s27, v42
	v_and_b32_e32 v75, 0xffff0000, v4
	v_cmp_gt_i32_e64 s1, s27, v40
	v_cndmask_b32_e32 v1, 0, v1, vcc_lo
	v_cmp_gt_i32_e32 vcc_lo, s27, v47
	v_cndmask_b32_e64 v2, 0, v2, s1
	v_cmp_gt_i32_e64 s1, s27, v38
	v_cndmask_b32_e32 v74, 0, v74, vcc_lo
	v_cmp_gt_i32_e32 vcc_lo, s27, v46
	v_cndmask_b32_e64 v73, 0, v73, s1
	v_cndmask_b32_sdwa v4, v28, v4, vcc_lo dst_sel:DWORD dst_unused:UNUSED_PAD src0_sel:DWORD src1_sel:WORD_0
	v_cmp_gt_i32_e32 vcc_lo, s27, v36
	v_cndmask_b32_e32 v75, 0, v75, vcc_lo
	v_cmp_gt_i32_e32 vcc_lo, s27, v35
	v_or_b32_e32 v4, v4, v75
	v_cndmask_b32_e32 v3, 0, v3, vcc_lo
	v_cmp_gt_i32_e32 vcc_lo, s27, v34
	v_cndmask_b32_e32 v72, 0, v72, vcc_lo
.LBB112_65:                             ;   in Loop: Header=BB112_38 Depth=1
	s_or_b32 exec_lo, exec_lo, s14
	v_lshlrev_b32_e32 v74, 16, v74
	v_lshlrev_b32_e32 v73, 16, v73
	;; [unrolled: 1-line block ×3, first 2 shown]
	v_and_or_b32 v1, 0xffff, v1, v74
	v_and_or_b32 v2, 0xffff, v2, v73
	;; [unrolled: 1-line block ×3, first 2 shown]
	;;#ASMSTART
	v_pk_mul_f16 v1, v39, v1;

	;;#ASMEND
	;;#ASMSTART
	v_pk_mul_f16 v2, v37, v2;

	;;#ASMEND
	;; [unrolled: 4-line block ×4, first 2 shown]
	;;#ASMSTART
	v_pk_add_f16 v1, v1, v2;

	;;#ASMEND
	;;#ASMSTART
	v_pk_add_f16 v1, v1, v3;

	;;#ASMEND
	;; [unrolled: 4-line block ×3, first 2 shown]
	v_and_b32_e32 v2, 0xffff, v1
	v_lshrrev_b32_e32 v1, 16, v1
	;;#ASMSTART
	v_cvt_f32_f16 v73, v2;
	;;#ASMEND
	;;#ASMSTART
	v_cvt_f32_f16 v74, v1;
	;;#ASMEND
	global_load_dwordx4 v[1:4], v[7:8], off offset:512
	s_waitcnt vmcnt(0)
	v_lshrrev_b32_e32 v72, 16, v1
	v_lshrrev_b32_e32 v8, 16, v2
	;; [unrolled: 1-line block ×3, first 2 shown]
	s_and_saveexec_b32 s1, s0
	s_cbranch_execz .LBB112_36
; %bb.66:                               ;   in Loop: Header=BB112_38 Depth=1
	v_cmp_gt_i32_e32 vcc_lo, s27, v42
	v_cmp_gt_i32_e64 s0, s27, v40
	v_cndmask_b32_e32 v1, 0, v1, vcc_lo
	v_cmp_gt_i32_e32 vcc_lo, s27, v47
	v_cndmask_b32_e64 v2, 0, v2, s0
	v_cmp_gt_i32_e64 s0, s27, v38
	v_and_b32_e32 v38, 0xffff0000, v4
	v_cndmask_b32_e32 v72, 0, v72, vcc_lo
	v_cmp_gt_i32_e32 vcc_lo, s27, v46
	v_cndmask_b32_e64 v8, 0, v8, s0
	v_cndmask_b32_sdwa v4, v28, v4, vcc_lo dst_sel:DWORD dst_unused:UNUSED_PAD src0_sel:DWORD src1_sel:WORD_0
	v_cmp_gt_i32_e32 vcc_lo, s27, v36
	v_cndmask_b32_e32 v36, 0, v38, vcc_lo
	v_cmp_gt_i32_e32 vcc_lo, s27, v35
	v_or_b32_e32 v4, v4, v36
	v_cndmask_b32_e32 v3, 0, v3, vcc_lo
	v_cmp_gt_i32_e32 vcc_lo, s27, v34
	v_cndmask_b32_e32 v7, 0, v7, vcc_lo
	s_branch .LBB112_36
.LBB112_67:
	s_or_b32 exec_lo, exec_lo, s6
.LBB112_68:
	s_or_b32 exec_lo, exec_lo, s3
	ds_bpermute_b32 v1, v12, v27
	ds_bpermute_b32 v29, v12, v16
	;; [unrolled: 1-line block ×14, first 2 shown]
	s_mov_b32 s0, exec_lo
	s_waitcnt lgkmcnt(0)
	s_waitcnt_vscnt null, 0x0
	s_barrier
	buffer_gl0_inv
	v_add_f32_e32 v1, v27, v1
	v_add_f32_e32 v16, v16, v29
	;; [unrolled: 1-line block ×8, first 2 shown]
	ds_bpermute_b32 v21, v11, v1
	v_add_f32_e32 v20, v20, v8
	v_add_f32_e32 v19, v19, v9
	v_add_f32_e32 v18, v18, v10
	v_add_f32_e32 v17, v17, v28
	v_add_f32_e32 v30, v15, v30
	v_add_f32_e32 v32, v14, v12
	ds_bpermute_b32 v33, v11, v16
	ds_bpermute_b32 v22, v11, v2
	;; [unrolled: 1-line block ×13, first 2 shown]
	s_waitcnt lgkmcnt(13)
	v_add_f32_e32 v15, v1, v21
	s_waitcnt lgkmcnt(12)
	v_add_f32_e32 v1, v16, v33
	v_and_b32_e32 v16, 28, v58
	s_waitcnt lgkmcnt(11)
	v_add_f32_e32 v14, v2, v22
	s_waitcnt lgkmcnt(10)
	v_add_f32_e32 v12, v3, v23
	;; [unrolled: 2-line block ×11, first 2 shown]
	v_and_b32_e32 v19, 0x3c3, v0
	s_waitcnt lgkmcnt(0)
	v_add_f32_e32 v5, v32, v35
	v_lshrrev_b32_e32 v17, 2, v58
	v_add_nc_u32_e32 v16, 0x100, v16
	v_mul_u32_u24_e32 v18, 0x1c0, v57
	v_cmpx_eq_u32_e32 64, v19
	s_cbranch_execz .LBB112_70
; %bb.69:
	v_add_nc_u32_e32 v19, v16, v18
	v_add_nc_u32_e32 v20, 0xfffffc80, v19
	;; [unrolled: 1-line block ×7, first 2 shown]
	ds_write_b32 v20, v15
	ds_write_b32 v21, v14
	;; [unrolled: 1-line block ×4, first 2 shown]
	v_add_nc_u32_e32 v20, 0xfffffd40, v19
	v_add_nc_u32_e32 v21, 0xfffffd60, v19
	v_add_nc_u32_e32 v22, 0xfffffd80, v19
	ds_write_b32 v24, v10
	ds_write_b32 v25, v9
	;; [unrolled: 1-line block ×5, first 2 shown]
	v_add_nc_u32_e32 v20, 0xfffffda0, v19
	v_add_nc_u32_e32 v21, 0xfffffdc0, v19
	;; [unrolled: 1-line block ×5, first 2 shown]
	ds_write_b32 v20, v3
	ds_write_b32 v21, v2
	;; [unrolled: 1-line block ×5, first 2 shown]
.LBB112_70:
	s_or_b32 exec_lo, exec_lo, s0
	v_lshlrev_b32_e32 v17, 2, v17
	v_cmp_eq_u32_e32 vcc_lo, 0, v13
	s_mov_b32 s1, exec_lo
	s_waitcnt lgkmcnt(0)
	s_barrier
	v_add3_u32 v13, 0x100, v18, v17
	buffer_gl0_inv
	v_cmpx_gt_u32_e32 64, v0
	s_cbranch_execz .LBB112_87
; %bb.71:
	s_and_saveexec_b32 s0, vcc_lo
	s_cbranch_execnz .LBB112_109
; %bb.72:
	s_or_b32 exec_lo, exec_lo, s0
	s_and_saveexec_b32 s0, vcc_lo
	s_cbranch_execnz .LBB112_110
.LBB112_73:
	s_or_b32 exec_lo, exec_lo, s0
	s_and_saveexec_b32 s0, vcc_lo
	s_cbranch_execnz .LBB112_111
.LBB112_74:
	s_or_b32 exec_lo, exec_lo, s0
	s_and_saveexec_b32 s0, vcc_lo
	s_cbranch_execnz .LBB112_112
.LBB112_75:
	s_or_b32 exec_lo, exec_lo, s0
	s_and_saveexec_b32 s0, vcc_lo
	s_cbranch_execnz .LBB112_113
.LBB112_76:
	s_or_b32 exec_lo, exec_lo, s0
	s_and_saveexec_b32 s0, vcc_lo
	s_cbranch_execnz .LBB112_114
.LBB112_77:
	s_or_b32 exec_lo, exec_lo, s0
	s_and_saveexec_b32 s0, vcc_lo
	s_cbranch_execnz .LBB112_115
.LBB112_78:
	s_or_b32 exec_lo, exec_lo, s0
	s_and_saveexec_b32 s0, vcc_lo
	s_cbranch_execnz .LBB112_116
.LBB112_79:
	s_or_b32 exec_lo, exec_lo, s0
	s_and_saveexec_b32 s0, vcc_lo
	s_cbranch_execnz .LBB112_117
.LBB112_80:
	s_or_b32 exec_lo, exec_lo, s0
	s_and_saveexec_b32 s0, vcc_lo
	s_cbranch_execnz .LBB112_118
.LBB112_81:
	s_or_b32 exec_lo, exec_lo, s0
	s_and_saveexec_b32 s0, vcc_lo
	s_cbranch_execnz .LBB112_119
.LBB112_82:
	s_or_b32 exec_lo, exec_lo, s0
	s_and_saveexec_b32 s0, vcc_lo
	s_cbranch_execnz .LBB112_120
.LBB112_83:
	s_or_b32 exec_lo, exec_lo, s0
	s_and_saveexec_b32 s0, vcc_lo
	s_cbranch_execnz .LBB112_121
.LBB112_84:
	s_or_b32 exec_lo, exec_lo, s0
	s_and_saveexec_b32 s0, vcc_lo
	s_cbranch_execz .LBB112_86
.LBB112_85:
	ds_read_b32 v17, v13 offset:416
	s_waitcnt lgkmcnt(0)
	v_add_f32_e32 v5, v5, v17
.LBB112_86:
	s_or_b32 exec_lo, exec_lo, s0
.LBB112_87:
	s_or_b32 exec_lo, exec_lo, s1
	v_and_b32_e32 v17, 0x3e3, v0
	s_mov_b32 s1, exec_lo
	s_barrier
	buffer_gl0_inv
	v_cmpx_eq_u32_e32 32, v17
	s_cbranch_execz .LBB112_89
; %bb.88:
	ds_write2_b32 v16, v15, v14 offset1:8
	ds_write2_b32 v16, v12, v11 offset0:16 offset1:24
	ds_write2_b32 v16, v10, v9 offset0:32 offset1:40
	;; [unrolled: 1-line block ×6, first 2 shown]
.LBB112_89:
	s_or_b32 exec_lo, exec_lo, s1
	s_mov_b32 s1, exec_lo
	s_waitcnt lgkmcnt(0)
	s_barrier
	buffer_gl0_inv
	v_cmpx_gt_u32_e32 32, v0
	s_cbranch_execz .LBB112_106
; %bb.90:
	s_and_saveexec_b32 s0, vcc_lo
	s_cbranch_execnz .LBB112_122
; %bb.91:
	s_or_b32 exec_lo, exec_lo, s0
	s_and_saveexec_b32 s0, vcc_lo
	s_cbranch_execnz .LBB112_123
.LBB112_92:
	s_or_b32 exec_lo, exec_lo, s0
	s_and_saveexec_b32 s0, vcc_lo
	s_cbranch_execnz .LBB112_124
.LBB112_93:
	s_or_b32 exec_lo, exec_lo, s0
	s_and_saveexec_b32 s0, vcc_lo
	s_cbranch_execnz .LBB112_125
.LBB112_94:
	s_or_b32 exec_lo, exec_lo, s0
	s_and_saveexec_b32 s0, vcc_lo
	s_cbranch_execnz .LBB112_126
.LBB112_95:
	s_or_b32 exec_lo, exec_lo, s0
	s_and_saveexec_b32 s0, vcc_lo
	s_cbranch_execnz .LBB112_127
.LBB112_96:
	s_or_b32 exec_lo, exec_lo, s0
	s_and_saveexec_b32 s0, vcc_lo
	s_cbranch_execnz .LBB112_128
.LBB112_97:
	s_or_b32 exec_lo, exec_lo, s0
	s_and_saveexec_b32 s0, vcc_lo
	s_cbranch_execnz .LBB112_129
.LBB112_98:
	s_or_b32 exec_lo, exec_lo, s0
	s_and_saveexec_b32 s0, vcc_lo
	s_cbranch_execnz .LBB112_130
.LBB112_99:
	s_or_b32 exec_lo, exec_lo, s0
	s_and_saveexec_b32 s0, vcc_lo
	s_cbranch_execnz .LBB112_131
.LBB112_100:
	s_or_b32 exec_lo, exec_lo, s0
	s_and_saveexec_b32 s0, vcc_lo
	s_cbranch_execnz .LBB112_132
.LBB112_101:
	s_or_b32 exec_lo, exec_lo, s0
	s_and_saveexec_b32 s0, vcc_lo
	s_cbranch_execnz .LBB112_133
.LBB112_102:
	s_or_b32 exec_lo, exec_lo, s0
	s_and_saveexec_b32 s0, vcc_lo
	s_cbranch_execnz .LBB112_134
.LBB112_103:
	s_or_b32 exec_lo, exec_lo, s0
	s_and_saveexec_b32 s0, vcc_lo
	s_cbranch_execz .LBB112_105
.LBB112_104:
	ds_read_b32 v13, v13 offset:416
	s_waitcnt lgkmcnt(0)
	v_add_f32_e32 v5, v5, v13
.LBB112_105:
	s_or_b32 exec_lo, exec_lo, s0
.LBB112_106:
	s_or_b32 exec_lo, exec_lo, s1
	s_barrier
	buffer_gl0_inv
	s_mov_b32 s0, exec_lo
	v_cmpx_eq_u32_e32 0, v17
	s_cbranch_execz .LBB112_108
; %bb.107:
	s_mul_i32 s0, s2, 0x70
	s_mul_i32 s2, s7, s10
	s_ashr_i32 s1, s0, 31
	v_lshrrev_b32_e32 v0, 1, v0
	s_lshl_b64 s[0:1], s[0:1], 1
	;;#ASMSTART
	v_cvt_f16_f32 v13, v15;

	;;#ASMEND
	s_add_u32 s4, s24, s0
	s_addc_u32 s5, s25, s1
	s_ashr_i32 s3, s2, 31
	s_lshl_b64 s[0:1], s[2:3], 1
	s_mul_i32 s2, s8, 0x70
	s_add_u32 s4, s4, s0
	s_addc_u32 s5, s5, s1
	s_ashr_i32 s3, s2, 31
	s_lshl_b64 s[0:1], s[2:3], 1
	s_add_u32 s0, s4, s0
	s_addc_u32 s1, s5, s1
	global_store_short v0, v13, s[0:1]
	;;#ASMSTART
	v_cvt_f16_f32 v13, v14;

	;;#ASMEND
	global_store_short v0, v13, s[0:1] offset:16
	;;#ASMSTART
	v_cvt_f16_f32 v12, v12;

	;;#ASMEND
	global_store_short v0, v12, s[0:1] offset:32
	;; [unrolled: 5-line block ×13, first 2 shown]
.LBB112_108:
	s_endpgm
.LBB112_109:
	ds_read_b32 v17, v13
	s_waitcnt lgkmcnt(0)
	v_add_f32_e32 v15, v15, v17
	s_or_b32 exec_lo, exec_lo, s0
	s_and_saveexec_b32 s0, vcc_lo
	s_cbranch_execz .LBB112_73
.LBB112_110:
	ds_read_b32 v17, v13 offset:32
	s_waitcnt lgkmcnt(0)
	v_add_f32_e32 v14, v14, v17
	s_or_b32 exec_lo, exec_lo, s0
	s_and_saveexec_b32 s0, vcc_lo
	s_cbranch_execz .LBB112_74
.LBB112_111:
	ds_read_b32 v17, v13 offset:64
	s_waitcnt lgkmcnt(0)
	v_add_f32_e32 v12, v12, v17
	s_or_b32 exec_lo, exec_lo, s0
	s_and_saveexec_b32 s0, vcc_lo
	s_cbranch_execz .LBB112_75
.LBB112_112:
	ds_read_b32 v17, v13 offset:96
	s_waitcnt lgkmcnt(0)
	v_add_f32_e32 v11, v11, v17
	s_or_b32 exec_lo, exec_lo, s0
	s_and_saveexec_b32 s0, vcc_lo
	s_cbranch_execz .LBB112_76
.LBB112_113:
	ds_read_b32 v17, v13 offset:128
	s_waitcnt lgkmcnt(0)
	v_add_f32_e32 v10, v10, v17
	s_or_b32 exec_lo, exec_lo, s0
	s_and_saveexec_b32 s0, vcc_lo
	s_cbranch_execz .LBB112_77
.LBB112_114:
	ds_read_b32 v17, v13 offset:160
	s_waitcnt lgkmcnt(0)
	v_add_f32_e32 v9, v9, v17
	s_or_b32 exec_lo, exec_lo, s0
	s_and_saveexec_b32 s0, vcc_lo
	s_cbranch_execz .LBB112_78
.LBB112_115:
	ds_read_b32 v17, v13 offset:192
	s_waitcnt lgkmcnt(0)
	v_add_f32_e32 v8, v8, v17
	s_or_b32 exec_lo, exec_lo, s0
	s_and_saveexec_b32 s0, vcc_lo
	s_cbranch_execz .LBB112_79
.LBB112_116:
	ds_read_b32 v17, v13 offset:224
	s_waitcnt lgkmcnt(0)
	v_add_f32_e32 v7, v7, v17
	s_or_b32 exec_lo, exec_lo, s0
	s_and_saveexec_b32 s0, vcc_lo
	s_cbranch_execz .LBB112_80
.LBB112_117:
	ds_read_b32 v17, v13 offset:256
	s_waitcnt lgkmcnt(0)
	v_add_f32_e32 v6, v6, v17
	s_or_b32 exec_lo, exec_lo, s0
	s_and_saveexec_b32 s0, vcc_lo
	s_cbranch_execz .LBB112_81
.LBB112_118:
	ds_read_b32 v17, v13 offset:288
	s_waitcnt lgkmcnt(0)
	v_add_f32_e32 v3, v3, v17
	s_or_b32 exec_lo, exec_lo, s0
	s_and_saveexec_b32 s0, vcc_lo
	s_cbranch_execz .LBB112_82
.LBB112_119:
	ds_read_b32 v17, v13 offset:320
	s_waitcnt lgkmcnt(0)
	v_add_f32_e32 v2, v2, v17
	s_or_b32 exec_lo, exec_lo, s0
	s_and_saveexec_b32 s0, vcc_lo
	s_cbranch_execz .LBB112_83
.LBB112_120:
	ds_read_b32 v17, v13 offset:352
	s_waitcnt lgkmcnt(0)
	v_add_f32_e32 v1, v1, v17
	s_or_b32 exec_lo, exec_lo, s0
	s_and_saveexec_b32 s0, vcc_lo
	s_cbranch_execz .LBB112_84
.LBB112_121:
	ds_read_b32 v17, v13 offset:384
	s_waitcnt lgkmcnt(0)
	v_add_f32_e32 v4, v4, v17
	s_or_b32 exec_lo, exec_lo, s0
	s_and_saveexec_b32 s0, vcc_lo
	s_cbranch_execnz .LBB112_85
	s_branch .LBB112_86
.LBB112_122:
	ds_read_b32 v16, v13
	s_waitcnt lgkmcnt(0)
	v_add_f32_e32 v15, v15, v16
	s_or_b32 exec_lo, exec_lo, s0
	s_and_saveexec_b32 s0, vcc_lo
	s_cbranch_execz .LBB112_92
.LBB112_123:
	ds_read_b32 v16, v13 offset:32
	s_waitcnt lgkmcnt(0)
	v_add_f32_e32 v14, v14, v16
	s_or_b32 exec_lo, exec_lo, s0
	s_and_saveexec_b32 s0, vcc_lo
	s_cbranch_execz .LBB112_93
.LBB112_124:
	ds_read_b32 v16, v13 offset:64
	s_waitcnt lgkmcnt(0)
	v_add_f32_e32 v12, v12, v16
	s_or_b32 exec_lo, exec_lo, s0
	s_and_saveexec_b32 s0, vcc_lo
	s_cbranch_execz .LBB112_94
.LBB112_125:
	ds_read_b32 v16, v13 offset:96
	s_waitcnt lgkmcnt(0)
	v_add_f32_e32 v11, v11, v16
	s_or_b32 exec_lo, exec_lo, s0
	s_and_saveexec_b32 s0, vcc_lo
	s_cbranch_execz .LBB112_95
.LBB112_126:
	ds_read_b32 v16, v13 offset:128
	s_waitcnt lgkmcnt(0)
	v_add_f32_e32 v10, v10, v16
	s_or_b32 exec_lo, exec_lo, s0
	s_and_saveexec_b32 s0, vcc_lo
	s_cbranch_execz .LBB112_96
.LBB112_127:
	ds_read_b32 v16, v13 offset:160
	s_waitcnt lgkmcnt(0)
	v_add_f32_e32 v9, v9, v16
	s_or_b32 exec_lo, exec_lo, s0
	s_and_saveexec_b32 s0, vcc_lo
	s_cbranch_execz .LBB112_97
.LBB112_128:
	ds_read_b32 v16, v13 offset:192
	s_waitcnt lgkmcnt(0)
	v_add_f32_e32 v8, v8, v16
	s_or_b32 exec_lo, exec_lo, s0
	s_and_saveexec_b32 s0, vcc_lo
	s_cbranch_execz .LBB112_98
.LBB112_129:
	ds_read_b32 v16, v13 offset:224
	s_waitcnt lgkmcnt(0)
	v_add_f32_e32 v7, v7, v16
	s_or_b32 exec_lo, exec_lo, s0
	s_and_saveexec_b32 s0, vcc_lo
	s_cbranch_execz .LBB112_99
.LBB112_130:
	ds_read_b32 v16, v13 offset:256
	s_waitcnt lgkmcnt(0)
	v_add_f32_e32 v6, v6, v16
	s_or_b32 exec_lo, exec_lo, s0
	s_and_saveexec_b32 s0, vcc_lo
	s_cbranch_execz .LBB112_100
.LBB112_131:
	ds_read_b32 v16, v13 offset:288
	s_waitcnt lgkmcnt(0)
	v_add_f32_e32 v3, v3, v16
	s_or_b32 exec_lo, exec_lo, s0
	s_and_saveexec_b32 s0, vcc_lo
	s_cbranch_execz .LBB112_101
.LBB112_132:
	ds_read_b32 v16, v13 offset:320
	s_waitcnt lgkmcnt(0)
	v_add_f32_e32 v2, v2, v16
	s_or_b32 exec_lo, exec_lo, s0
	s_and_saveexec_b32 s0, vcc_lo
	s_cbranch_execz .LBB112_102
.LBB112_133:
	ds_read_b32 v16, v13 offset:352
	s_waitcnt lgkmcnt(0)
	v_add_f32_e32 v1, v1, v16
	s_or_b32 exec_lo, exec_lo, s0
	s_and_saveexec_b32 s0, vcc_lo
	s_cbranch_execz .LBB112_103
.LBB112_134:
	ds_read_b32 v16, v13 offset:384
	s_waitcnt lgkmcnt(0)
	v_add_f32_e32 v4, v4, v16
	s_or_b32 exec_lo, exec_lo, s0
	s_and_saveexec_b32 s0, vcc_lo
	s_cbranch_execnz .LBB112_104
	s_branch .LBB112_105
	.section	.rodata,"a",@progbits
	.p2align	6, 0x0
	.amdhsa_kernel _ZN4vllm25paged_attention_v2_kernelIttLi112ELi32ELi128ELNS_18Fp8KVCacheDataTypeE0ELb1ELi512EEEvPfS2_PT_PKS3_PKT0_S9_ifPKiSB_iPKfiiiSD_SD_iiiii
		.amdhsa_group_segment_fixed_size 256
		.amdhsa_private_segment_fixed_size 0
		.amdhsa_kernarg_size 400
		.amdhsa_user_sgpr_count 6
		.amdhsa_user_sgpr_private_segment_buffer 1
		.amdhsa_user_sgpr_dispatch_ptr 0
		.amdhsa_user_sgpr_queue_ptr 0
		.amdhsa_user_sgpr_kernarg_segment_ptr 1
		.amdhsa_user_sgpr_dispatch_id 0
		.amdhsa_user_sgpr_flat_scratch_init 0
		.amdhsa_user_sgpr_private_segment_size 0
		.amdhsa_wavefront_size32 1
		.amdhsa_uses_dynamic_stack 0
		.amdhsa_system_sgpr_private_segment_wavefront_offset 0
		.amdhsa_system_sgpr_workgroup_id_x 1
		.amdhsa_system_sgpr_workgroup_id_y 1
		.amdhsa_system_sgpr_workgroup_id_z 1
		.amdhsa_system_sgpr_workgroup_info 0
		.amdhsa_system_vgpr_workitem_id 0
		.amdhsa_next_free_vgpr 95
		.amdhsa_next_free_sgpr 46
		.amdhsa_reserve_vcc 1
		.amdhsa_reserve_flat_scratch 0
		.amdhsa_float_round_mode_32 0
		.amdhsa_float_round_mode_16_64 0
		.amdhsa_float_denorm_mode_32 3
		.amdhsa_float_denorm_mode_16_64 3
		.amdhsa_dx10_clamp 1
		.amdhsa_ieee_mode 1
		.amdhsa_fp16_overflow 0
		.amdhsa_workgroup_processor_mode 1
		.amdhsa_memory_ordered 1
		.amdhsa_forward_progress 1
		.amdhsa_shared_vgpr_count 0
		.amdhsa_exception_fp_ieee_invalid_op 0
		.amdhsa_exception_fp_denorm_src 0
		.amdhsa_exception_fp_ieee_div_zero 0
		.amdhsa_exception_fp_ieee_overflow 0
		.amdhsa_exception_fp_ieee_underflow 0
		.amdhsa_exception_fp_ieee_inexact 0
		.amdhsa_exception_int_div_zero 0
	.end_amdhsa_kernel
	.section	.text._ZN4vllm25paged_attention_v2_kernelIttLi112ELi32ELi128ELNS_18Fp8KVCacheDataTypeE0ELb1ELi512EEEvPfS2_PT_PKS3_PKT0_S9_ifPKiSB_iPKfiiiSD_SD_iiiii,"axG",@progbits,_ZN4vllm25paged_attention_v2_kernelIttLi112ELi32ELi128ELNS_18Fp8KVCacheDataTypeE0ELb1ELi512EEEvPfS2_PT_PKS3_PKT0_S9_ifPKiSB_iPKfiiiSD_SD_iiiii,comdat
.Lfunc_end112:
	.size	_ZN4vllm25paged_attention_v2_kernelIttLi112ELi32ELi128ELNS_18Fp8KVCacheDataTypeE0ELb1ELi512EEEvPfS2_PT_PKS3_PKT0_S9_ifPKiSB_iPKfiiiSD_SD_iiiii, .Lfunc_end112-_ZN4vllm25paged_attention_v2_kernelIttLi112ELi32ELi128ELNS_18Fp8KVCacheDataTypeE0ELb1ELi512EEEvPfS2_PT_PKS3_PKT0_S9_ifPKiSB_iPKfiiiSD_SD_iiiii
                                        ; -- End function
	.set _ZN4vllm25paged_attention_v2_kernelIttLi112ELi32ELi128ELNS_18Fp8KVCacheDataTypeE0ELb1ELi512EEEvPfS2_PT_PKS3_PKT0_S9_ifPKiSB_iPKfiiiSD_SD_iiiii.num_vgpr, 95
	.set _ZN4vllm25paged_attention_v2_kernelIttLi112ELi32ELi128ELNS_18Fp8KVCacheDataTypeE0ELb1ELi512EEEvPfS2_PT_PKS3_PKT0_S9_ifPKiSB_iPKfiiiSD_SD_iiiii.num_agpr, 0
	.set _ZN4vllm25paged_attention_v2_kernelIttLi112ELi32ELi128ELNS_18Fp8KVCacheDataTypeE0ELb1ELi512EEEvPfS2_PT_PKS3_PKT0_S9_ifPKiSB_iPKfiiiSD_SD_iiiii.numbered_sgpr, 46
	.set _ZN4vllm25paged_attention_v2_kernelIttLi112ELi32ELi128ELNS_18Fp8KVCacheDataTypeE0ELb1ELi512EEEvPfS2_PT_PKS3_PKT0_S9_ifPKiSB_iPKfiiiSD_SD_iiiii.num_named_barrier, 0
	.set _ZN4vllm25paged_attention_v2_kernelIttLi112ELi32ELi128ELNS_18Fp8KVCacheDataTypeE0ELb1ELi512EEEvPfS2_PT_PKS3_PKT0_S9_ifPKiSB_iPKfiiiSD_SD_iiiii.private_seg_size, 0
	.set _ZN4vllm25paged_attention_v2_kernelIttLi112ELi32ELi128ELNS_18Fp8KVCacheDataTypeE0ELb1ELi512EEEvPfS2_PT_PKS3_PKT0_S9_ifPKiSB_iPKfiiiSD_SD_iiiii.uses_vcc, 1
	.set _ZN4vllm25paged_attention_v2_kernelIttLi112ELi32ELi128ELNS_18Fp8KVCacheDataTypeE0ELb1ELi512EEEvPfS2_PT_PKS3_PKT0_S9_ifPKiSB_iPKfiiiSD_SD_iiiii.uses_flat_scratch, 0
	.set _ZN4vllm25paged_attention_v2_kernelIttLi112ELi32ELi128ELNS_18Fp8KVCacheDataTypeE0ELb1ELi512EEEvPfS2_PT_PKS3_PKT0_S9_ifPKiSB_iPKfiiiSD_SD_iiiii.has_dyn_sized_stack, 0
	.set _ZN4vllm25paged_attention_v2_kernelIttLi112ELi32ELi128ELNS_18Fp8KVCacheDataTypeE0ELb1ELi512EEEvPfS2_PT_PKS3_PKT0_S9_ifPKiSB_iPKfiiiSD_SD_iiiii.has_recursion, 0
	.set _ZN4vllm25paged_attention_v2_kernelIttLi112ELi32ELi128ELNS_18Fp8KVCacheDataTypeE0ELb1ELi512EEEvPfS2_PT_PKS3_PKT0_S9_ifPKiSB_iPKfiiiSD_SD_iiiii.has_indirect_call, 0
	.section	.AMDGPU.csdata,"",@progbits
; Kernel info:
; codeLenInByte = 17840
; TotalNumSgprs: 48
; NumVgprs: 95
; ScratchSize: 0
; MemoryBound: 0
; FloatMode: 240
; IeeeMode: 1
; LDSByteSize: 256 bytes/workgroup (compile time only)
; SGPRBlocks: 0
; VGPRBlocks: 11
; NumSGPRsForWavesPerEU: 48
; NumVGPRsForWavesPerEU: 95
; Occupancy: 10
; WaveLimiterHint : 1
; COMPUTE_PGM_RSRC2:SCRATCH_EN: 0
; COMPUTE_PGM_RSRC2:USER_SGPR: 6
; COMPUTE_PGM_RSRC2:TRAP_HANDLER: 0
; COMPUTE_PGM_RSRC2:TGID_X_EN: 1
; COMPUTE_PGM_RSRC2:TGID_Y_EN: 1
; COMPUTE_PGM_RSRC2:TGID_Z_EN: 1
; COMPUTE_PGM_RSRC2:TIDIG_COMP_CNT: 0
	.section	.text._ZN4vllm25paged_attention_v2_kernelIttLi120ELi32ELi128ELNS_18Fp8KVCacheDataTypeE0ELb1ELi512EEEvPfS2_PT_PKS3_PKT0_S9_ifPKiSB_iPKfiiiSD_SD_iiiii,"axG",@progbits,_ZN4vllm25paged_attention_v2_kernelIttLi120ELi32ELi128ELNS_18Fp8KVCacheDataTypeE0ELb1ELi512EEEvPfS2_PT_PKS3_PKT0_S9_ifPKiSB_iPKfiiiSD_SD_iiiii,comdat
	.protected	_ZN4vllm25paged_attention_v2_kernelIttLi120ELi32ELi128ELNS_18Fp8KVCacheDataTypeE0ELb1ELi512EEEvPfS2_PT_PKS3_PKT0_S9_ifPKiSB_iPKfiiiSD_SD_iiiii ; -- Begin function _ZN4vllm25paged_attention_v2_kernelIttLi120ELi32ELi128ELNS_18Fp8KVCacheDataTypeE0ELb1ELi512EEEvPfS2_PT_PKS3_PKT0_S9_ifPKiSB_iPKfiiiSD_SD_iiiii
	.globl	_ZN4vllm25paged_attention_v2_kernelIttLi120ELi32ELi128ELNS_18Fp8KVCacheDataTypeE0ELb1ELi512EEEvPfS2_PT_PKS3_PKT0_S9_ifPKiSB_iPKfiiiSD_SD_iiiii
	.p2align	8
	.type	_ZN4vllm25paged_attention_v2_kernelIttLi120ELi32ELi128ELNS_18Fp8KVCacheDataTypeE0ELb1ELi512EEEvPfS2_PT_PKS3_PKT0_S9_ifPKiSB_iPKfiiiSD_SD_iiiii,@function
_ZN4vllm25paged_attention_v2_kernelIttLi120ELi32ELi128ELNS_18Fp8KVCacheDataTypeE0ELb1ELi512EEEvPfS2_PT_PKS3_PKT0_S9_ifPKiSB_iPKfiiiSD_SD_iiiii: ; @_ZN4vllm25paged_attention_v2_kernelIttLi120ELi32ELi128ELNS_18Fp8KVCacheDataTypeE0ELb1ELi512EEEvPfS2_PT_PKS3_PKT0_S9_ifPKiSB_iPKfiiiSD_SD_iiiii
; %bb.0:
	s_load_dwordx2 s[0:1], s[4:5], 0x40
	s_mov_b32 s26, s7
	s_ashr_i32 s27, s7, 31
	s_lshl_b64 s[2:3], s[26:27], 2
	s_waitcnt lgkmcnt(0)
	s_add_u32 s0, s0, s2
	s_addc_u32 s1, s1, s3
	s_lshl_b32 s37, s8, 9
	s_load_dword s27, s[0:1], 0x0
	s_waitcnt lgkmcnt(0)
	s_cmp_ge_i32 s37, s27
	s_cbranch_scc1 .LBB113_112
; %bb.1:
	s_clause 0x1
	s_load_dword s9, s[4:5], 0x90
	s_load_dwordx2 s[2:3], s[4:5], 0x30
	s_mov_b32 s39, 0
	s_waitcnt lgkmcnt(0)
	s_abs_i32 s10, s9
	s_abs_i32 s0, s2
	v_cvt_f32_u32_e32 v1, s0
	s_sub_i32 s7, 0, s0
	v_rcp_iflag_f32_e32 v1, v1
	v_mul_f32_e32 v1, 0x4f7ffffe, v1
	v_cvt_u32_f32_e32 v1, v1
	v_readfirstlane_b32 s1, v1
	s_mul_i32 s7, s7, s1
	s_mul_hi_u32 s7, s1, s7
	s_add_i32 s1, s1, s7
	s_xor_b32 s7, s9, s2
	s_mul_hi_u32 s1, s10, s1
	s_ashr_i32 s7, s7, 31
	s_mul_i32 s11, s1, s0
	s_sub_i32 s10, s10, s11
	s_add_i32 s11, s1, 1
	s_sub_i32 s12, s10, s0
	s_cmp_ge_u32 s10, s0
	s_cselect_b32 s1, s11, s1
	s_cselect_b32 s10, s12, s10
	s_add_i32 s11, s1, 1
	s_cmp_ge_u32 s10, s0
	s_cselect_b32 s0, s11, s1
	s_abs_i32 s21, s6
	s_xor_b32 s0, s0, s7
	s_sub_i32 s10, s0, s7
	s_load_dwordx2 s[0:1], s[4:5], 0x50
	s_abs_i32 s20, s10
	v_cvt_f32_u32_e32 v1, s20
	s_sub_i32 s11, 0, s20
	v_rcp_iflag_f32_e32 v1, v1
	v_mul_f32_e32 v1, 0x4f7ffffe, v1
	v_cvt_u32_f32_e32 v1, v1
	v_readfirstlane_b32 s7, v1
	s_mul_i32 s11, s11, s7
	s_mul_hi_u32 s11, s7, s11
	s_add_i32 s7, s7, s11
	s_waitcnt lgkmcnt(0)
	s_cmp_eq_u64 s[0:1], 0
	s_mul_hi_u32 s22, s21, s7
	s_cbranch_scc1 .LBB113_3
; %bb.2:
	s_ashr_i32 s7, s6, 31
	s_lshl_b64 s[12:13], s[6:7], 2
	s_add_u32 s0, s0, s12
	s_addc_u32 s1, s1, s13
	s_load_dword s39, s[0:1], 0x0
.LBB113_3:
	s_load_dwordx4 s[12:15], s[4:5], 0x58
	v_lshlrev_b32_e32 v64, 4, v0
	s_ashr_i32 s0, s6, 31
	s_ashr_i32 s1, s10, 31
	s_mul_i32 s10, s6, 0x78
	s_mov_b32 s7, exec_lo
	v_cmpx_gt_u32_e32 15, v0
	s_cbranch_execz .LBB113_5
; %bb.4:
	s_load_dwordx2 s[16:17], s[4:5], 0x18
	s_waitcnt lgkmcnt(0)
	s_mul_i32 s18, s12, s26
	s_ashr_i32 s19, s18, 31
	s_lshl_b64 s[18:19], s[18:19], 1
	s_add_u32 s12, s16, s18
	s_addc_u32 s15, s17, s19
	s_ashr_i32 s11, s10, 31
	s_lshl_b64 s[16:17], s[10:11], 1
	s_add_u32 s16, s12, s16
	s_addc_u32 s17, s15, s17
	global_load_dwordx4 v[1:4], v64, s[16:17]
	s_waitcnt vmcnt(0)
	ds_write_b128 v64, v[1:4]
.LBB113_5:
	s_or_b32 exec_lo, exec_lo, s7
	s_load_dwordx4 s[16:19], s[4:5], 0x78
	s_mul_i32 s7, s22, s20
	s_xor_b32 s0, s0, s1
	s_sub_i32 s1, s21, s7
	s_add_i32 s7, s22, 1
	s_sub_i32 s11, s1, s20
	s_cmp_ge_u32 s1, s20
	s_mov_b32 s21, -1
	s_cselect_b32 s7, s7, s22
	s_cselect_b32 s1, s11, s1
	s_add_i32 s11, s7, 1
	s_cmp_ge_u32 s1, s20
                                        ; implicit-def: $sgpr33
	s_cselect_b32 s1, s11, s7
	s_load_dword s7, s[4:5], 0x88
	s_xor_b32 s1, s1, s0
	s_add_i32 s20, s27, -1
	s_sub_i32 s1, s1, s0
	s_waitcnt lgkmcnt(0)
	s_abs_i32 s15, s20
	s_abs_i32 s11, s19
	s_barrier
	v_cvt_f32_u32_e32 v1, s11
	s_sub_i32 s0, 0, s11
	buffer_gl0_inv
	v_rcp_iflag_f32_e32 v1, v1
	v_mul_f32_e32 v1, 0x4f7ffffe, v1
	v_cvt_u32_f32_e32 v1, v1
	v_readfirstlane_b32 s12, v1
	s_mul_i32 s0, s0, s12
	s_mul_hi_u32 s0, s12, s0
	s_add_i32 s12, s12, s0
	s_cmp_lt_i32 s7, 0
	s_mul_hi_u32 s0, s15, s12
	s_cbranch_scc0 .LBB113_7
; %bb.6:
	s_mul_i32 s2, s16, s2
	s_mov_b32 s21, 0
	s_add_i32 s2, s1, s2
	s_mul_i32 s2, s2, s7
	s_sub_i32 s33, 1, s2
.LBB113_7:
	s_load_dwordx2 s[28:29], s[4:5], 0x38
	s_ashr_i32 s2, s20, 31
	s_andn2_b32 vcc_lo, exec_lo, s21
	s_ashr_i32 s19, s19, 31
	s_cbranch_vccnz .LBB113_9
; %bb.8:
	s_mul_i32 s16, s9, s16
	s_add_i32 s16, s16, s6
	s_mul_i32 s7, s16, s7
	s_add_i32 s33, s7, 1
.LBB113_9:
	s_clause 0x4
	s_load_dword s16, s[4:5], 0x48
	s_load_dwordx2 s[34:35], s[4:5], 0x28
	s_load_dword s7, s[4:5], 0x98
	s_load_dwordx4 s[20:23], s[4:5], 0x0
	s_load_dwordx2 s[24:25], s[4:5], 0x10
	s_mul_i32 s30, s0, s11
	s_xor_b32 s2, s2, s19
	s_sub_i32 s15, s15, s30
	s_add_i32 s36, s0, 1
	v_lshrrev_b32_e32 v61, 5, v0
	v_and_b32_e32 v62, 31, v0
	v_mov_b32_e32 v66, 0xff7fffff
	s_mul_i32 s14, s1, s14
	v_lshl_add_u32 v63, v61, 5, s37
	v_lshlrev_b32_e32 v65, 2, v62
	s_waitcnt lgkmcnt(0)
	s_mul_i32 s30, s16, s26
	s_sub_i32 s16, s15, s11
	s_ashr_i32 s31, s30, 31
	s_cmp_ge_u32 s15, s11
	s_cselect_b32 s0, s36, s0
	s_cselect_b32 s15, s16, s15
	s_add_i32 s16, s0, 1
	s_cmp_ge_u32 s15, s11
	s_cselect_b32 s0, s16, s0
	s_add_i32 s15, s27, 31
	s_lshl_b32 s40, s8, 4
	s_ashr_i32 s16, s15, 31
	v_add_nc_u32_e32 v57, s40, v61
	s_lshr_b32 s16, s16, 27
	s_add_i32 s15, s15, s16
	s_add_i32 s16, s40, 16
	s_ashr_i32 s36, s15, 5
	s_xor_b32 s15, s0, s2
	s_min_i32 s16, s16, s36
	v_ashrrev_i32_e32 v58, 31, v57
	v_cmp_gt_i32_e64 s0, s16, v57
	s_sub_i32 s38, s15, s2
	s_and_saveexec_b32 s41, s0
	s_cbranch_execz .LBB113_17
; %bb.10:
	s_load_dwordx2 s[42:43], s[4:5], 0x20
	s_ashr_i32 s15, s14, 31
	s_sub_i32 s4, s38, s17
	s_lshl_b64 s[44:45], s[14:15], 1
	v_subrev_nc_u32_e32 v5, s27, v62
	v_lshlrev_b32_e32 v3, 4, v62
	v_lshl_or_b32 v7, v61, 7, v65
	v_mov_b32_e32 v67, 0
	v_cmp_neq_f32_e64 vcc_lo, s39, 0
	v_add_nc_u32_e32 v70, 1, v5
	v_lshl_add_u32 v68, v61, 5, s37
	v_mov_b32_e32 v69, 0xff7fffff
	v_mov_b32_e32 v66, 0xff7fffff
	v_add_nc_u32_e32 v71, 0x110, v7
	v_mov_b32_e32 v75, v57
	s_waitcnt lgkmcnt(0)
	s_add_u32 s1, s42, s44
	s_addc_u32 s2, s43, s45
	s_abs_i32 s5, s18
	s_lshl_b64 s[42:43], s[30:31], 2
	v_cvt_f32_u32_e32 v1, s5
	s_sub_i32 s15, 0, s5
	v_add_co_u32 v72, s1, s1, v3
	v_add_co_ci_u32_e64 v73, null, s2, 0, s1
	v_rcp_iflag_f32_e32 v1, v1
	s_add_u32 s1, s28, s42
	s_addc_u32 s2, s29, s43
	s_mov_b32 s42, s13
	v_mul_f32_e32 v1, 0x4f7ffffe, v1
	v_cvt_u32_f32_e32 v4, v1
	v_lshlrev_b64 v[1:2], 2, v[57:58]
	v_mul_lo_u32 v6, s15, v4
	s_mov_b32 s15, 0
	v_add_co_u32 v59, s1, s1, v1
	v_add_co_ci_u32_e64 v60, null, s2, v2, s1
	v_mul_hi_u32 v5, v4, v6
	v_add_nc_u32_e32 v74, v4, v5
	s_branch .LBB113_12
.LBB113_11:                             ;   in Loop: Header=BB113_12 Depth=1
	s_or_b32 exec_lo, exec_lo, s2
	v_add_nc_u32_e32 v75, 4, v75
	v_add_co_u32 v59, s2, v59, 16
	v_add_co_ci_u32_e64 v60, null, 0, v60, s2
	v_cmp_le_i32_e64 s1, s16, v75
	v_add_nc_u32_e32 v68, 0x80, v68
	v_add_nc_u32_e32 v71, 0x200, v71
	s_or_b32 s15, s1, s15
	s_andn2_b32 exec_lo, exec_lo, s15
	s_cbranch_execz .LBB113_16
.LBB113_12:                             ; =>This Inner Loop Header: Depth=1
	v_sub_nc_u32_e32 v1, 0, v68
	v_max_i32_e32 v1, v68, v1
	v_mul_hi_u32 v2, v1, s12
	v_mul_lo_u32 v3, v2, s11
	v_sub_nc_u32_e32 v1, v1, v3
	v_add_nc_u32_e32 v3, 1, v2
	v_subrev_nc_u32_e32 v4, s11, v1
	v_cmp_le_u32_e64 s1, s11, v1
	v_cndmask_b32_e64 v2, v2, v3, s1
	v_cndmask_b32_e64 v1, v1, v4, s1
	v_ashrrev_i32_e32 v3, 31, v68
	v_add_nc_u32_e32 v4, 1, v2
	v_cmp_le_u32_e64 s1, s11, v1
	v_xor_b32_e32 v3, s19, v3
	v_cndmask_b32_e64 v1, v2, v4, s1
	v_xor_b32_e32 v1, v1, v3
	v_sub_nc_u32_e32 v1, v1, v3
	v_add_nc_u32_e32 v2, s33, v1
	v_cmp_ge_i32_e64 s2, s4, v1
	v_sub_nc_u32_e32 v3, 0, v2
	v_max_i32_e32 v3, v2, v3
	v_ashrrev_i32_e32 v2, 31, v2
	v_mul_hi_u32 v4, v3, v74
	v_mul_lo_u32 v4, v4, s5
	v_sub_nc_u32_e32 v3, v3, v4
	v_subrev_nc_u32_e32 v4, s5, v3
	v_cmp_le_u32_e64 s1, s5, v3
	v_cndmask_b32_e64 v3, v3, v4, s1
	v_subrev_nc_u32_e32 v4, s5, v3
	v_cmp_le_u32_e64 s1, s5, v3
	v_cndmask_b32_e64 v3, v3, v4, s1
	v_xor_b32_e32 v3, v3, v2
	v_sub_nc_u32_e32 v2, v3, v2
	v_cmp_ne_u32_e64 s1, 0, v2
	s_and_b32 s1, s1, s2
	s_and_saveexec_b32 s2, s1
	s_xor_b32 s1, exec_lo, s2
; %bb.13:                               ;   in Loop: Header=BB113_12 Depth=1
	ds_write_b32 v71, v69
; %bb.14:                               ;   in Loop: Header=BB113_12 Depth=1
	s_andn2_saveexec_b32 s2, s1
	s_cbranch_execz .LBB113_11
; %bb.15:                               ;   in Loop: Header=BB113_12 Depth=1
	global_load_dword v1, v[59:60], off
	v_add_nc_u32_e32 v3, v70, v68
	v_add_nc_u32_e32 v81, v62, v68
	v_cvt_f32_i32_e32 v3, v3
	v_mul_f32_e32 v3, s39, v3
	v_cndmask_b32_e32 v76, 0, v3, vcc_lo
	s_waitcnt vmcnt(0)
	v_mad_i64_i32 v[1:2], null, v1, s42, 0
	v_lshlrev_b64 v[1:2], 1, v[1:2]
	v_add_co_u32 v1, s1, v72, v1
	v_add_co_ci_u32_e64 v2, null, v73, v2, s1
	s_clause 0x3
	global_load_dwordx4 v[77:80], v[1:2], off
	global_load_dwordx4 v[53:56], v[1:2], off offset:512
	global_load_dwordx4 v[49:52], v[1:2], off offset:1024
	global_load_dwordx4 v[45:48], v[1:2], off offset:1536
	v_add_co_u32 v3, s1, 0x800, v1
	v_add_co_ci_u32_e64 v4, null, 0, v2, s1
	v_add_co_u32 v5, s1, v1, 0x1000
	v_add_co_ci_u32_e64 v6, null, 0, v2, s1
	s_clause 0x3
	global_load_dwordx4 v[41:44], v[5:6], off offset:-2048
	global_load_dwordx4 v[37:40], v[3:4], off offset:512
	global_load_dwordx4 v[33:36], v[3:4], off offset:1024
	;; [unrolled: 1-line block ×3, first 2 shown]
	v_add_co_u32 v3, s1, 0x1000, v1
	v_add_co_ci_u32_e64 v4, null, 0, v2, s1
	s_clause 0x3
	global_load_dwordx4 v[25:28], v[5:6], off
	global_load_dwordx4 v[21:24], v[3:4], off offset:512
	global_load_dwordx4 v[17:20], v[3:4], off offset:1024
	;; [unrolled: 1-line block ×3, first 2 shown]
	v_add_co_u32 v1, s1, 0x1800, v1
	v_add_co_ci_u32_e64 v2, null, 0, v2, s1
	s_clause 0x2
	global_load_dwordx4 v[9:12], v[1:2], off
	global_load_dwordx4 v[5:8], v[1:2], off offset:512
	global_load_dwordx4 v[1:4], v[1:2], off offset:1024
	v_cmp_gt_i32_e64 s1, s27, v81
	ds_read_b128 v[81:84], v67
	s_waitcnt lgkmcnt(0)
	v_lshrrev_b32_e32 v85, 16, v81
	v_and_b32_e32 v81, 0xffff, v81
	;;#ASMSTART
	v_cvt_f32_f16 v81, v81;
	;;#ASMEND
	;;#ASMSTART
	v_cvt_f32_f16 v85, v85;
	;;#ASMEND
	s_waitcnt vmcnt(14)
	v_lshrrev_b32_e32 v87, 16, v77
	v_and_b32_e32 v77, 0xffff, v77
	;;#ASMSTART
	v_cvt_f32_f16 v86, v77;
	;;#ASMEND
	v_lshrrev_b32_e32 v77, 16, v82
	v_and_b32_e32 v82, 0xffff, v82
	;;#ASMSTART
	v_cvt_f32_f16 v87, v87;
	;;#ASMEND
	;;#ASMSTART
	v_cvt_f32_f16 v82, v82;
	;;#ASMEND
	;; [unrolled: 3-line block ×3, first 2 shown]
	v_lshrrev_b32_e32 v77, 16, v78
	v_and_b32_e32 v78, 0xffff, v78
	;;#ASMSTART
	v_cvt_f32_f16 v89, v78;
	;;#ASMEND
	;;#ASMSTART
	v_cvt_f32_f16 v90, v77;
	;;#ASMEND
	v_lshrrev_b32_e32 v77, 16, v83
	v_and_b32_e32 v78, 0xffff, v83
	;;#ASMSTART
	v_cvt_f32_f16 v83, v78;
	;;#ASMEND
	;;#ASMSTART
	v_cvt_f32_f16 v91, v77;
	;;#ASMEND
	;; [unrolled: 8-line block ×5, first 2 shown]
	ds_read_b128 v[77:80], v67 offset:16
	s_waitcnt vmcnt(13)
	v_lshrrev_b32_e32 v98, 16, v53
	v_and_b32_e32 v53, 0xffff, v53
	s_waitcnt lgkmcnt(0)
	v_lshrrev_b32_e32 v97, 16, v77
	v_and_b32_e32 v77, 0xffff, v77
	;;#ASMSTART
	v_cvt_f32_f16 v77, v77;
	;;#ASMEND
	;;#ASMSTART
	v_cvt_f32_f16 v97, v97;
	;;#ASMEND
	;; [unrolled: 3-line block ×3, first 2 shown]
	v_mul_f32_e32 v53, v77, v53
	;;#ASMSTART
	v_cvt_f32_f16 v98, v98;
	;;#ASMEND
	v_mul_f32_e32 v77, v97, v98
	v_fmac_f32_e32 v53, v81, v86
	v_lshrrev_b32_e32 v81, 16, v78
	v_and_b32_e32 v78, 0xffff, v78
	v_fmac_f32_e32 v77, v85, v87
	;;#ASMSTART
	v_cvt_f32_f16 v78, v78;
	;;#ASMEND
	v_lshrrev_b32_e32 v85, 16, v54
	v_and_b32_e32 v54, 0xffff, v54
	;;#ASMSTART
	v_cvt_f32_f16 v81, v81;
	;;#ASMEND
	;;#ASMSTART
	v_cvt_f32_f16 v54, v54;
	;;#ASMEND
	v_mul_f32_e32 v78, v78, v54
	;;#ASMSTART
	v_cvt_f32_f16 v85, v85;
	;;#ASMEND
	v_mul_f32_e32 v54, v81, v85
	v_lshrrev_b32_e32 v81, 16, v79
	v_and_b32_e32 v79, 0xffff, v79
	v_fmac_f32_e32 v78, v82, v89
	v_lshrrev_b32_e32 v82, 16, v55
	v_and_b32_e32 v55, 0xffff, v55
	;;#ASMSTART
	v_cvt_f32_f16 v79, v79;
	;;#ASMEND
	;;#ASMSTART
	v_cvt_f32_f16 v81, v81;
	;;#ASMEND
	;; [unrolled: 3-line block ×4, first 2 shown]
	v_mul_f32_e32 v79, v79, v55
	v_mul_f32_e32 v55, v81, v82
	v_lshrrev_b32_e32 v81, 16, v80
	v_and_b32_e32 v80, 0xffff, v80
	;;#ASMSTART
	v_cvt_f32_f16 v80, v80;
	;;#ASMEND
	v_lshrrev_b32_e32 v82, 16, v56
	v_and_b32_e32 v56, 0xffff, v56
	;;#ASMSTART
	v_cvt_f32_f16 v81, v81;
	;;#ASMEND
	;;#ASMSTART
	v_cvt_f32_f16 v56, v56;
	;;#ASMEND
	v_mul_f32_e32 v80, v80, v56
	;;#ASMSTART
	v_cvt_f32_f16 v82, v82;
	;;#ASMEND
	v_fmac_f32_e32 v79, v83, v92
	v_mul_f32_e32 v56, v81, v82
	v_fmac_f32_e32 v54, v88, v90
	v_fmac_f32_e32 v80, v84, v95
	ds_read_b128 v[81:84], v67 offset:32
	s_waitcnt vmcnt(12)
	v_lshrrev_b32_e32 v86, 16, v49
	v_and_b32_e32 v49, 0xffff, v49
	v_fmac_f32_e32 v55, v91, v93
	v_fmac_f32_e32 v56, v94, v96
	s_waitcnt lgkmcnt(0)
	v_lshrrev_b32_e32 v85, 16, v81
	v_and_b32_e32 v81, 0xffff, v81
	;;#ASMSTART
	v_cvt_f32_f16 v81, v81;
	;;#ASMEND
	;;#ASMSTART
	v_cvt_f32_f16 v85, v85;
	;;#ASMEND
	;; [unrolled: 3-line block ×3, first 2 shown]
	v_fmac_f32_e32 v53, v81, v49
	v_lshrrev_b32_e32 v81, 16, v82
	v_and_b32_e32 v49, 0xffff, v82
	v_lshrrev_b32_e32 v82, 16, v50
	v_and_b32_e32 v50, 0xffff, v50
	;;#ASMSTART
	v_cvt_f32_f16 v86, v86;
	;;#ASMEND
	;;#ASMSTART
	v_cvt_f32_f16 v49, v49;
	;;#ASMEND
	;; [unrolled: 3-line block ×5, first 2 shown]
	v_fmac_f32_e32 v78, v49, v50
	v_fmac_f32_e32 v54, v81, v82
	v_lshrrev_b32_e32 v50, 16, v83
	v_and_b32_e32 v49, 0xffff, v83
	v_lshrrev_b32_e32 v81, 16, v51
	v_and_b32_e32 v51, 0xffff, v51
	;;#ASMSTART
	v_cvt_f32_f16 v49, v49;
	;;#ASMEND
	;;#ASMSTART
	v_cvt_f32_f16 v50, v50;
	;;#ASMEND
	;; [unrolled: 3-line block ×4, first 2 shown]
	v_fmac_f32_e32 v79, v49, v51
	v_fmac_f32_e32 v55, v50, v81
	v_lshrrev_b32_e32 v50, 16, v84
	v_and_b32_e32 v49, 0xffff, v84
	v_and_b32_e32 v51, 0xffff, v52
	;;#ASMSTART
	v_cvt_f32_f16 v49, v49;
	;;#ASMEND
	;;#ASMSTART
	v_cvt_f32_f16 v50, v50;
	;;#ASMEND
	v_lshrrev_b32_e32 v81, 16, v52
	;;#ASMSTART
	v_cvt_f32_f16 v51, v51;
	;;#ASMEND
	;;#ASMSTART
	v_cvt_f32_f16 v52, v81;
	;;#ASMEND
	v_fmac_f32_e32 v80, v49, v51
	v_fmac_f32_e32 v56, v50, v52
	ds_read_b128 v[49:52], v67 offset:48
	s_waitcnt vmcnt(11)
	v_lshrrev_b32_e32 v82, 16, v45
	v_and_b32_e32 v45, 0xffff, v45
	v_fmac_f32_e32 v77, v85, v86
	s_waitcnt lgkmcnt(0)
	v_lshrrev_b32_e32 v81, 16, v49
	v_and_b32_e32 v49, 0xffff, v49
	;;#ASMSTART
	v_cvt_f32_f16 v49, v49;
	;;#ASMEND
	;;#ASMSTART
	v_cvt_f32_f16 v81, v81;
	;;#ASMEND
	;; [unrolled: 3-line block ×3, first 2 shown]
	v_fmac_f32_e32 v53, v49, v45
	v_lshrrev_b32_e32 v49, 16, v50
	v_and_b32_e32 v45, 0xffff, v50
	v_lshrrev_b32_e32 v50, 16, v46
	v_and_b32_e32 v46, 0xffff, v46
	;;#ASMSTART
	v_cvt_f32_f16 v82, v82;
	;;#ASMEND
	;;#ASMSTART
	v_cvt_f32_f16 v45, v45;
	;;#ASMEND
	;; [unrolled: 3-line block ×5, first 2 shown]
	v_fmac_f32_e32 v78, v45, v46
	v_fmac_f32_e32 v54, v49, v50
	v_lshrrev_b32_e32 v46, 16, v51
	v_and_b32_e32 v45, 0xffff, v51
	v_lshrrev_b32_e32 v49, 16, v47
	v_and_b32_e32 v47, 0xffff, v47
	;;#ASMSTART
	v_cvt_f32_f16 v45, v45;
	;;#ASMEND
	;;#ASMSTART
	v_cvt_f32_f16 v46, v46;
	;;#ASMEND
	;; [unrolled: 3-line block ×4, first 2 shown]
	v_fmac_f32_e32 v79, v45, v47
	v_fmac_f32_e32 v55, v46, v49
	v_lshrrev_b32_e32 v46, 16, v52
	v_and_b32_e32 v45, 0xffff, v52
	v_and_b32_e32 v47, 0xffff, v48
	;;#ASMSTART
	v_cvt_f32_f16 v45, v45;
	;;#ASMEND
	;;#ASMSTART
	v_cvt_f32_f16 v46, v46;
	;;#ASMEND
	v_lshrrev_b32_e32 v49, 16, v48
	;;#ASMSTART
	v_cvt_f32_f16 v47, v47;
	;;#ASMEND
	;;#ASMSTART
	v_cvt_f32_f16 v48, v49;
	;;#ASMEND
	v_fmac_f32_e32 v80, v45, v47
	v_fmac_f32_e32 v56, v46, v48
	ds_read_b128 v[45:48], v67 offset:64
	s_waitcnt vmcnt(10)
	v_lshrrev_b32_e32 v50, 16, v41
	v_and_b32_e32 v41, 0xffff, v41
	v_fmac_f32_e32 v77, v81, v82
	s_waitcnt lgkmcnt(0)
	v_lshrrev_b32_e32 v49, 16, v45
	v_and_b32_e32 v45, 0xffff, v45
	;;#ASMSTART
	v_cvt_f32_f16 v45, v45;
	;;#ASMEND
	;;#ASMSTART
	v_cvt_f32_f16 v49, v49;
	;;#ASMEND
	;; [unrolled: 3-line block ×3, first 2 shown]
	v_fmac_f32_e32 v53, v45, v41
	v_lshrrev_b32_e32 v45, 16, v46
	v_and_b32_e32 v41, 0xffff, v46
	v_lshrrev_b32_e32 v46, 16, v42
	v_and_b32_e32 v42, 0xffff, v42
	;;#ASMSTART
	v_cvt_f32_f16 v50, v50;
	;;#ASMEND
	;;#ASMSTART
	v_cvt_f32_f16 v41, v41;
	;;#ASMEND
	;; [unrolled: 3-line block ×5, first 2 shown]
	v_fmac_f32_e32 v78, v41, v42
	v_fmac_f32_e32 v54, v45, v46
	v_lshrrev_b32_e32 v42, 16, v47
	v_and_b32_e32 v41, 0xffff, v47
	v_lshrrev_b32_e32 v45, 16, v43
	v_and_b32_e32 v43, 0xffff, v43
	;;#ASMSTART
	v_cvt_f32_f16 v41, v41;
	;;#ASMEND
	;;#ASMSTART
	v_cvt_f32_f16 v42, v42;
	;;#ASMEND
	;; [unrolled: 3-line block ×4, first 2 shown]
	v_fmac_f32_e32 v79, v41, v43
	v_fmac_f32_e32 v55, v42, v45
	v_lshrrev_b32_e32 v42, 16, v48
	v_and_b32_e32 v41, 0xffff, v48
	v_and_b32_e32 v43, 0xffff, v44
	;;#ASMSTART
	v_cvt_f32_f16 v41, v41;
	;;#ASMEND
	;;#ASMSTART
	v_cvt_f32_f16 v42, v42;
	;;#ASMEND
	v_lshrrev_b32_e32 v45, 16, v44
	;;#ASMSTART
	v_cvt_f32_f16 v43, v43;
	;;#ASMEND
	;;#ASMSTART
	v_cvt_f32_f16 v44, v45;
	;;#ASMEND
	v_fmac_f32_e32 v80, v41, v43
	v_fmac_f32_e32 v56, v42, v44
	ds_read_b128 v[41:44], v67 offset:80
	s_waitcnt vmcnt(9)
	v_lshrrev_b32_e32 v46, 16, v37
	v_and_b32_e32 v37, 0xffff, v37
	v_fmac_f32_e32 v77, v49, v50
	s_waitcnt lgkmcnt(0)
	v_lshrrev_b32_e32 v45, 16, v41
	v_and_b32_e32 v41, 0xffff, v41
	;;#ASMSTART
	v_cvt_f32_f16 v41, v41;
	;;#ASMEND
	;;#ASMSTART
	v_cvt_f32_f16 v45, v45;
	;;#ASMEND
	;; [unrolled: 3-line block ×3, first 2 shown]
	v_fmac_f32_e32 v53, v41, v37
	v_lshrrev_b32_e32 v41, 16, v42
	v_and_b32_e32 v37, 0xffff, v42
	v_lshrrev_b32_e32 v42, 16, v38
	v_and_b32_e32 v38, 0xffff, v38
	;;#ASMSTART
	v_cvt_f32_f16 v46, v46;
	;;#ASMEND
	;;#ASMSTART
	v_cvt_f32_f16 v37, v37;
	;;#ASMEND
	;; [unrolled: 3-line block ×5, first 2 shown]
	v_fmac_f32_e32 v78, v37, v38
	v_fmac_f32_e32 v54, v41, v42
	v_lshrrev_b32_e32 v38, 16, v43
	v_and_b32_e32 v37, 0xffff, v43
	v_lshrrev_b32_e32 v41, 16, v39
	v_and_b32_e32 v39, 0xffff, v39
	;;#ASMSTART
	v_cvt_f32_f16 v37, v37;
	;;#ASMEND
	;;#ASMSTART
	v_cvt_f32_f16 v38, v38;
	;;#ASMEND
	;; [unrolled: 3-line block ×4, first 2 shown]
	v_fmac_f32_e32 v79, v37, v39
	v_fmac_f32_e32 v55, v38, v41
	v_lshrrev_b32_e32 v38, 16, v44
	v_and_b32_e32 v37, 0xffff, v44
	v_and_b32_e32 v39, 0xffff, v40
	;;#ASMSTART
	v_cvt_f32_f16 v37, v37;
	;;#ASMEND
	;;#ASMSTART
	v_cvt_f32_f16 v38, v38;
	;;#ASMEND
	v_lshrrev_b32_e32 v41, 16, v40
	;;#ASMSTART
	v_cvt_f32_f16 v39, v39;
	;;#ASMEND
	;;#ASMSTART
	v_cvt_f32_f16 v40, v41;
	;;#ASMEND
	v_fmac_f32_e32 v80, v37, v39
	v_fmac_f32_e32 v56, v38, v40
	ds_read_b128 v[37:40], v67 offset:96
	s_waitcnt vmcnt(8)
	v_lshrrev_b32_e32 v42, 16, v33
	v_and_b32_e32 v33, 0xffff, v33
	v_fmac_f32_e32 v77, v45, v46
	s_waitcnt lgkmcnt(0)
	v_lshrrev_b32_e32 v41, 16, v37
	v_and_b32_e32 v37, 0xffff, v37
	;;#ASMSTART
	v_cvt_f32_f16 v37, v37;
	;;#ASMEND
	;;#ASMSTART
	v_cvt_f32_f16 v41, v41;
	;;#ASMEND
	;; [unrolled: 3-line block ×3, first 2 shown]
	v_fmac_f32_e32 v53, v37, v33
	v_lshrrev_b32_e32 v37, 16, v38
	v_and_b32_e32 v33, 0xffff, v38
	v_lshrrev_b32_e32 v38, 16, v34
	v_and_b32_e32 v34, 0xffff, v34
	;;#ASMSTART
	v_cvt_f32_f16 v42, v42;
	;;#ASMEND
	;;#ASMSTART
	v_cvt_f32_f16 v33, v33;
	;;#ASMEND
	;; [unrolled: 3-line block ×5, first 2 shown]
	v_fmac_f32_e32 v78, v33, v34
	v_fmac_f32_e32 v54, v37, v38
	v_lshrrev_b32_e32 v34, 16, v39
	v_and_b32_e32 v33, 0xffff, v39
	v_lshrrev_b32_e32 v37, 16, v35
	v_and_b32_e32 v35, 0xffff, v35
	;;#ASMSTART
	v_cvt_f32_f16 v33, v33;
	;;#ASMEND
	;;#ASMSTART
	v_cvt_f32_f16 v34, v34;
	;;#ASMEND
	;; [unrolled: 3-line block ×4, first 2 shown]
	v_fmac_f32_e32 v79, v33, v35
	v_fmac_f32_e32 v55, v34, v37
	v_lshrrev_b32_e32 v34, 16, v40
	v_and_b32_e32 v33, 0xffff, v40
	v_and_b32_e32 v35, 0xffff, v36
	;;#ASMSTART
	v_cvt_f32_f16 v33, v33;
	;;#ASMEND
	;;#ASMSTART
	v_cvt_f32_f16 v34, v34;
	;;#ASMEND
	v_lshrrev_b32_e32 v37, 16, v36
	;;#ASMSTART
	v_cvt_f32_f16 v35, v35;
	;;#ASMEND
	;;#ASMSTART
	v_cvt_f32_f16 v36, v37;
	;;#ASMEND
	v_fmac_f32_e32 v80, v33, v35
	v_fmac_f32_e32 v56, v34, v36
	ds_read_b128 v[33:36], v67 offset:112
	s_waitcnt vmcnt(7)
	v_lshrrev_b32_e32 v38, 16, v29
	v_and_b32_e32 v29, 0xffff, v29
	v_fmac_f32_e32 v77, v41, v42
	s_waitcnt lgkmcnt(0)
	v_lshrrev_b32_e32 v37, 16, v33
	v_and_b32_e32 v33, 0xffff, v33
	;;#ASMSTART
	v_cvt_f32_f16 v33, v33;
	;;#ASMEND
	;;#ASMSTART
	v_cvt_f32_f16 v37, v37;
	;;#ASMEND
	;; [unrolled: 3-line block ×3, first 2 shown]
	v_fmac_f32_e32 v53, v33, v29
	v_lshrrev_b32_e32 v33, 16, v34
	v_and_b32_e32 v29, 0xffff, v34
	v_lshrrev_b32_e32 v34, 16, v30
	v_and_b32_e32 v30, 0xffff, v30
	;;#ASMSTART
	v_cvt_f32_f16 v38, v38;
	;;#ASMEND
	;;#ASMSTART
	v_cvt_f32_f16 v29, v29;
	;;#ASMEND
	;; [unrolled: 3-line block ×5, first 2 shown]
	v_fmac_f32_e32 v78, v29, v30
	v_fmac_f32_e32 v54, v33, v34
	v_lshrrev_b32_e32 v30, 16, v35
	v_and_b32_e32 v29, 0xffff, v35
	v_lshrrev_b32_e32 v33, 16, v31
	v_and_b32_e32 v31, 0xffff, v31
	;;#ASMSTART
	v_cvt_f32_f16 v29, v29;
	;;#ASMEND
	;;#ASMSTART
	v_cvt_f32_f16 v30, v30;
	;;#ASMEND
	;; [unrolled: 3-line block ×4, first 2 shown]
	v_fmac_f32_e32 v79, v29, v31
	v_fmac_f32_e32 v55, v30, v33
	v_lshrrev_b32_e32 v30, 16, v36
	v_and_b32_e32 v29, 0xffff, v36
	v_and_b32_e32 v31, 0xffff, v32
	;;#ASMSTART
	v_cvt_f32_f16 v29, v29;
	;;#ASMEND
	;;#ASMSTART
	v_cvt_f32_f16 v30, v30;
	;;#ASMEND
	v_lshrrev_b32_e32 v33, 16, v32
	;;#ASMSTART
	v_cvt_f32_f16 v31, v31;
	;;#ASMEND
	;;#ASMSTART
	v_cvt_f32_f16 v32, v33;
	;;#ASMEND
	v_fmac_f32_e32 v80, v29, v31
	v_fmac_f32_e32 v56, v30, v32
	ds_read_b128 v[29:32], v67 offset:128
	s_waitcnt vmcnt(6)
	v_lshrrev_b32_e32 v34, 16, v25
	v_and_b32_e32 v25, 0xffff, v25
	v_fmac_f32_e32 v77, v37, v38
	s_waitcnt lgkmcnt(0)
	v_lshrrev_b32_e32 v33, 16, v29
	v_and_b32_e32 v29, 0xffff, v29
	;;#ASMSTART
	v_cvt_f32_f16 v29, v29;
	;;#ASMEND
	;;#ASMSTART
	v_cvt_f32_f16 v33, v33;
	;;#ASMEND
	;; [unrolled: 3-line block ×3, first 2 shown]
	v_fmac_f32_e32 v53, v29, v25
	v_lshrrev_b32_e32 v29, 16, v30
	v_and_b32_e32 v25, 0xffff, v30
	v_lshrrev_b32_e32 v30, 16, v26
	v_and_b32_e32 v26, 0xffff, v26
	;;#ASMSTART
	v_cvt_f32_f16 v34, v34;
	;;#ASMEND
	;;#ASMSTART
	v_cvt_f32_f16 v25, v25;
	;;#ASMEND
	;; [unrolled: 3-line block ×5, first 2 shown]
	v_fmac_f32_e32 v78, v25, v26
	v_fmac_f32_e32 v54, v29, v30
	v_lshrrev_b32_e32 v26, 16, v31
	v_and_b32_e32 v25, 0xffff, v31
	v_lshrrev_b32_e32 v29, 16, v27
	v_and_b32_e32 v27, 0xffff, v27
	;;#ASMSTART
	v_cvt_f32_f16 v25, v25;
	;;#ASMEND
	;;#ASMSTART
	v_cvt_f32_f16 v26, v26;
	;;#ASMEND
	;; [unrolled: 3-line block ×4, first 2 shown]
	v_fmac_f32_e32 v79, v25, v27
	v_fmac_f32_e32 v55, v26, v29
	v_lshrrev_b32_e32 v26, 16, v32
	v_and_b32_e32 v25, 0xffff, v32
	v_and_b32_e32 v27, 0xffff, v28
	;;#ASMSTART
	v_cvt_f32_f16 v25, v25;
	;;#ASMEND
	;;#ASMSTART
	v_cvt_f32_f16 v26, v26;
	;;#ASMEND
	v_lshrrev_b32_e32 v29, 16, v28
	;;#ASMSTART
	v_cvt_f32_f16 v27, v27;
	;;#ASMEND
	;;#ASMSTART
	v_cvt_f32_f16 v28, v29;
	;;#ASMEND
	v_fmac_f32_e32 v80, v25, v27
	v_fmac_f32_e32 v56, v26, v28
	ds_read_b128 v[25:28], v67 offset:144
	s_waitcnt vmcnt(5)
	v_lshrrev_b32_e32 v30, 16, v21
	v_and_b32_e32 v21, 0xffff, v21
	v_fmac_f32_e32 v77, v33, v34
	s_waitcnt lgkmcnt(0)
	v_lshrrev_b32_e32 v29, 16, v25
	v_and_b32_e32 v25, 0xffff, v25
	;;#ASMSTART
	v_cvt_f32_f16 v25, v25;
	;;#ASMEND
	;;#ASMSTART
	v_cvt_f32_f16 v29, v29;
	;;#ASMEND
	;;#ASMSTART
	v_cvt_f32_f16 v21, v21;
	;;#ASMEND
	v_fmac_f32_e32 v53, v25, v21
	v_lshrrev_b32_e32 v25, 16, v26
	v_and_b32_e32 v21, 0xffff, v26
	v_lshrrev_b32_e32 v26, 16, v22
	v_and_b32_e32 v22, 0xffff, v22
	;;#ASMSTART
	v_cvt_f32_f16 v30, v30;
	;;#ASMEND
	;;#ASMSTART
	v_cvt_f32_f16 v21, v21;
	;;#ASMEND
	;; [unrolled: 3-line block ×5, first 2 shown]
	v_fmac_f32_e32 v78, v21, v22
	v_fmac_f32_e32 v54, v25, v26
	v_lshrrev_b32_e32 v22, 16, v27
	v_and_b32_e32 v21, 0xffff, v27
	v_lshrrev_b32_e32 v25, 16, v23
	v_and_b32_e32 v23, 0xffff, v23
	;;#ASMSTART
	v_cvt_f32_f16 v21, v21;
	;;#ASMEND
	;;#ASMSTART
	v_cvt_f32_f16 v22, v22;
	;;#ASMEND
	;; [unrolled: 3-line block ×4, first 2 shown]
	v_fmac_f32_e32 v79, v21, v23
	v_fmac_f32_e32 v55, v22, v25
	v_lshrrev_b32_e32 v22, 16, v28
	v_and_b32_e32 v21, 0xffff, v28
	v_and_b32_e32 v23, 0xffff, v24
	;;#ASMSTART
	v_cvt_f32_f16 v21, v21;
	;;#ASMEND
	;;#ASMSTART
	v_cvt_f32_f16 v22, v22;
	;;#ASMEND
	v_lshrrev_b32_e32 v25, 16, v24
	;;#ASMSTART
	v_cvt_f32_f16 v23, v23;
	;;#ASMEND
	;;#ASMSTART
	v_cvt_f32_f16 v24, v25;
	;;#ASMEND
	v_fmac_f32_e32 v80, v21, v23
	v_fmac_f32_e32 v56, v22, v24
	ds_read_b128 v[21:24], v67 offset:160
	s_waitcnt vmcnt(4)
	v_lshrrev_b32_e32 v26, 16, v17
	v_and_b32_e32 v17, 0xffff, v17
	v_fmac_f32_e32 v77, v29, v30
	s_waitcnt lgkmcnt(0)
	v_lshrrev_b32_e32 v25, 16, v21
	v_and_b32_e32 v21, 0xffff, v21
	;;#ASMSTART
	v_cvt_f32_f16 v21, v21;
	;;#ASMEND
	;;#ASMSTART
	v_cvt_f32_f16 v25, v25;
	;;#ASMEND
	;; [unrolled: 3-line block ×3, first 2 shown]
	v_fmac_f32_e32 v53, v21, v17
	v_lshrrev_b32_e32 v21, 16, v22
	v_and_b32_e32 v17, 0xffff, v22
	v_lshrrev_b32_e32 v22, 16, v18
	v_and_b32_e32 v18, 0xffff, v18
	;;#ASMSTART
	v_cvt_f32_f16 v26, v26;
	;;#ASMEND
	;;#ASMSTART
	v_cvt_f32_f16 v17, v17;
	;;#ASMEND
	;; [unrolled: 3-line block ×5, first 2 shown]
	v_fmac_f32_e32 v78, v17, v18
	v_fmac_f32_e32 v54, v21, v22
	v_lshrrev_b32_e32 v18, 16, v23
	v_and_b32_e32 v17, 0xffff, v23
	v_lshrrev_b32_e32 v21, 16, v19
	v_and_b32_e32 v19, 0xffff, v19
	;;#ASMSTART
	v_cvt_f32_f16 v17, v17;
	;;#ASMEND
	;;#ASMSTART
	v_cvt_f32_f16 v18, v18;
	;;#ASMEND
	;; [unrolled: 3-line block ×4, first 2 shown]
	v_fmac_f32_e32 v79, v17, v19
	v_fmac_f32_e32 v55, v18, v21
	v_lshrrev_b32_e32 v18, 16, v24
	v_and_b32_e32 v17, 0xffff, v24
	v_and_b32_e32 v19, 0xffff, v20
	;;#ASMSTART
	v_cvt_f32_f16 v17, v17;
	;;#ASMEND
	;;#ASMSTART
	v_cvt_f32_f16 v18, v18;
	;;#ASMEND
	v_lshrrev_b32_e32 v21, 16, v20
	;;#ASMSTART
	v_cvt_f32_f16 v19, v19;
	;;#ASMEND
	;;#ASMSTART
	v_cvt_f32_f16 v20, v21;
	;;#ASMEND
	v_fmac_f32_e32 v80, v17, v19
	v_fmac_f32_e32 v56, v18, v20
	ds_read_b128 v[17:20], v67 offset:176
	s_waitcnt vmcnt(3)
	v_lshrrev_b32_e32 v22, 16, v13
	v_and_b32_e32 v13, 0xffff, v13
	v_fmac_f32_e32 v77, v25, v26
	s_waitcnt lgkmcnt(0)
	v_lshrrev_b32_e32 v21, 16, v17
	v_and_b32_e32 v17, 0xffff, v17
	;;#ASMSTART
	v_cvt_f32_f16 v17, v17;
	;;#ASMEND
	;;#ASMSTART
	v_cvt_f32_f16 v21, v21;
	;;#ASMEND
	;; [unrolled: 3-line block ×3, first 2 shown]
	v_fmac_f32_e32 v53, v17, v13
	v_lshrrev_b32_e32 v17, 16, v18
	v_and_b32_e32 v13, 0xffff, v18
	v_lshrrev_b32_e32 v18, 16, v14
	v_and_b32_e32 v14, 0xffff, v14
	;;#ASMSTART
	v_cvt_f32_f16 v22, v22;
	;;#ASMEND
	;;#ASMSTART
	v_cvt_f32_f16 v13, v13;
	;;#ASMEND
	;; [unrolled: 3-line block ×5, first 2 shown]
	v_fmac_f32_e32 v78, v13, v14
	v_fmac_f32_e32 v54, v17, v18
	v_lshrrev_b32_e32 v14, 16, v19
	v_and_b32_e32 v13, 0xffff, v19
	v_lshrrev_b32_e32 v17, 16, v15
	v_and_b32_e32 v15, 0xffff, v15
	;;#ASMSTART
	v_cvt_f32_f16 v13, v13;
	;;#ASMEND
	;;#ASMSTART
	v_cvt_f32_f16 v14, v14;
	;;#ASMEND
	;; [unrolled: 3-line block ×4, first 2 shown]
	v_fmac_f32_e32 v79, v13, v15
	v_fmac_f32_e32 v55, v14, v17
	v_lshrrev_b32_e32 v14, 16, v20
	v_and_b32_e32 v13, 0xffff, v20
	v_and_b32_e32 v15, 0xffff, v16
	;;#ASMSTART
	v_cvt_f32_f16 v13, v13;
	;;#ASMEND
	;;#ASMSTART
	v_cvt_f32_f16 v14, v14;
	;;#ASMEND
	v_lshrrev_b32_e32 v17, 16, v16
	;;#ASMSTART
	v_cvt_f32_f16 v15, v15;
	;;#ASMEND
	;;#ASMSTART
	v_cvt_f32_f16 v16, v17;
	;;#ASMEND
	v_fmac_f32_e32 v80, v13, v15
	v_fmac_f32_e32 v56, v14, v16
	ds_read_b128 v[13:16], v67 offset:192
	s_waitcnt vmcnt(2)
	v_lshrrev_b32_e32 v18, 16, v9
	v_and_b32_e32 v9, 0xffff, v9
	v_fmac_f32_e32 v77, v21, v22
	s_waitcnt lgkmcnt(0)
	v_lshrrev_b32_e32 v17, 16, v13
	v_and_b32_e32 v13, 0xffff, v13
	;;#ASMSTART
	v_cvt_f32_f16 v13, v13;
	;;#ASMEND
	;;#ASMSTART
	v_cvt_f32_f16 v17, v17;
	;;#ASMEND
	;; [unrolled: 3-line block ×3, first 2 shown]
	v_fmac_f32_e32 v53, v13, v9
	v_lshrrev_b32_e32 v13, 16, v14
	v_and_b32_e32 v9, 0xffff, v14
	v_lshrrev_b32_e32 v14, 16, v10
	v_and_b32_e32 v10, 0xffff, v10
	;;#ASMSTART
	v_cvt_f32_f16 v18, v18;
	;;#ASMEND
	;;#ASMSTART
	v_cvt_f32_f16 v9, v9;
	;;#ASMEND
	;; [unrolled: 3-line block ×5, first 2 shown]
	v_fmac_f32_e32 v78, v9, v10
	v_fmac_f32_e32 v54, v13, v14
	v_lshrrev_b32_e32 v10, 16, v15
	v_and_b32_e32 v9, 0xffff, v15
	v_lshrrev_b32_e32 v13, 16, v11
	v_and_b32_e32 v11, 0xffff, v11
	;;#ASMSTART
	v_cvt_f32_f16 v9, v9;
	;;#ASMEND
	;;#ASMSTART
	v_cvt_f32_f16 v10, v10;
	;;#ASMEND
	;; [unrolled: 3-line block ×4, first 2 shown]
	v_fmac_f32_e32 v79, v9, v11
	v_fmac_f32_e32 v55, v10, v13
	v_lshrrev_b32_e32 v10, 16, v16
	v_and_b32_e32 v9, 0xffff, v16
	v_and_b32_e32 v11, 0xffff, v12
	;;#ASMSTART
	v_cvt_f32_f16 v9, v9;
	;;#ASMEND
	;;#ASMSTART
	v_cvt_f32_f16 v10, v10;
	;;#ASMEND
	v_lshrrev_b32_e32 v13, 16, v12
	;;#ASMSTART
	v_cvt_f32_f16 v11, v11;
	;;#ASMEND
	;;#ASMSTART
	v_cvt_f32_f16 v12, v13;
	;;#ASMEND
	v_fmac_f32_e32 v80, v9, v11
	v_fmac_f32_e32 v56, v10, v12
	ds_read_b128 v[9:12], v67 offset:208
	s_waitcnt vmcnt(1)
	v_lshrrev_b32_e32 v14, 16, v5
	v_and_b32_e32 v5, 0xffff, v5
	v_fmac_f32_e32 v77, v17, v18
	s_waitcnt lgkmcnt(0)
	v_lshrrev_b32_e32 v13, 16, v9
	v_and_b32_e32 v9, 0xffff, v9
	;;#ASMSTART
	v_cvt_f32_f16 v9, v9;
	;;#ASMEND
	;;#ASMSTART
	v_cvt_f32_f16 v13, v13;
	;;#ASMEND
	;; [unrolled: 3-line block ×3, first 2 shown]
	v_fmac_f32_e32 v53, v9, v5
	v_lshrrev_b32_e32 v9, 16, v10
	v_and_b32_e32 v5, 0xffff, v10
	v_lshrrev_b32_e32 v10, 16, v6
	v_and_b32_e32 v6, 0xffff, v6
	;;#ASMSTART
	v_cvt_f32_f16 v14, v14;
	;;#ASMEND
	;;#ASMSTART
	v_cvt_f32_f16 v5, v5;
	;;#ASMEND
	;; [unrolled: 3-line block ×5, first 2 shown]
	v_fmac_f32_e32 v78, v5, v6
	v_fmac_f32_e32 v54, v9, v10
	v_lshrrev_b32_e32 v6, 16, v11
	v_and_b32_e32 v5, 0xffff, v11
	v_lshrrev_b32_e32 v9, 16, v7
	v_and_b32_e32 v7, 0xffff, v7
	;;#ASMSTART
	v_cvt_f32_f16 v5, v5;
	;;#ASMEND
	;;#ASMSTART
	v_cvt_f32_f16 v6, v6;
	;;#ASMEND
	;; [unrolled: 3-line block ×4, first 2 shown]
	v_fmac_f32_e32 v79, v5, v7
	v_fmac_f32_e32 v55, v6, v9
	v_lshrrev_b32_e32 v6, 16, v12
	v_and_b32_e32 v5, 0xffff, v12
	v_and_b32_e32 v7, 0xffff, v8
	;;#ASMSTART
	v_cvt_f32_f16 v5, v5;
	;;#ASMEND
	;;#ASMSTART
	v_cvt_f32_f16 v6, v6;
	;;#ASMEND
	v_lshrrev_b32_e32 v9, 16, v8
	;;#ASMSTART
	v_cvt_f32_f16 v7, v7;
	;;#ASMEND
	;;#ASMSTART
	v_cvt_f32_f16 v8, v9;
	;;#ASMEND
	v_fmac_f32_e32 v80, v5, v7
	v_fmac_f32_e32 v56, v6, v8
	ds_read_b128 v[5:8], v67 offset:224
	v_fmac_f32_e32 v77, v13, v14
	s_waitcnt vmcnt(0)
	v_lshrrev_b32_e32 v10, 16, v1
	v_and_b32_e32 v1, 0xffff, v1
	s_waitcnt lgkmcnt(0)
	v_lshrrev_b32_e32 v9, 16, v5
	v_and_b32_e32 v5, 0xffff, v5
	;;#ASMSTART
	v_cvt_f32_f16 v5, v5;
	;;#ASMEND
	;;#ASMSTART
	v_cvt_f32_f16 v9, v9;
	;;#ASMEND
	;; [unrolled: 3-line block ×3, first 2 shown]
	v_fmac_f32_e32 v53, v5, v1
	v_and_b32_e32 v1, 0xffff, v6
	;;#ASMSTART
	v_cvt_f32_f16 v10, v10;
	;;#ASMEND
	v_fmac_f32_e32 v77, v9, v10
	v_lshrrev_b32_e32 v5, 16, v6
	;;#ASMSTART
	v_cvt_f32_f16 v1, v1;
	;;#ASMEND
	v_lshrrev_b32_e32 v6, 16, v2
	v_and_b32_e32 v2, 0xffff, v2
	;;#ASMSTART
	v_cvt_f32_f16 v5, v5;
	;;#ASMEND
	;;#ASMSTART
	v_cvt_f32_f16 v2, v2;
	;;#ASMEND
	v_fmac_f32_e32 v78, v1, v2
	v_and_b32_e32 v1, 0xffff, v7
	;;#ASMSTART
	v_cvt_f32_f16 v6, v6;
	;;#ASMEND
	v_fmac_f32_e32 v54, v5, v6
	v_lshrrev_b32_e32 v2, 16, v7
	;;#ASMSTART
	v_cvt_f32_f16 v1, v1;
	;;#ASMEND
	v_lshrrev_b32_e32 v5, 16, v3
	v_and_b32_e32 v3, 0xffff, v3
	;;#ASMSTART
	v_cvt_f32_f16 v2, v2;
	;;#ASMEND
	;;#ASMSTART
	v_cvt_f32_f16 v3, v3;
	;;#ASMEND
	v_fmac_f32_e32 v79, v1, v3
	v_and_b32_e32 v1, 0xffff, v8
	;;#ASMSTART
	v_cvt_f32_f16 v5, v5;
	;;#ASMEND
	v_fmac_f32_e32 v55, v2, v5
	v_lshrrev_b32_e32 v2, 16, v8
	;;#ASMSTART
	v_cvt_f32_f16 v1, v1;
	;;#ASMEND
	v_and_b32_e32 v3, 0xffff, v4
	;;#ASMSTART
	v_cvt_f32_f16 v2, v2;
	;;#ASMEND
	;;#ASMSTART
	v_cvt_f32_f16 v3, v3;
	;;#ASMEND
	v_fmac_f32_e32 v80, v1, v3
	v_add_f32_e32 v1, v53, v77
	v_lshrrev_b32_e32 v5, 16, v4
	;;#ASMSTART
	v_cvt_f32_f16 v4, v5;
	;;#ASMEND
	v_fmac_f32_e32 v56, v2, v4
	v_add_f32_e32 v1, v1, v78
	v_add_f32_e32 v1, v54, v1
	;; [unrolled: 1-line block ×6, first 2 shown]
	v_fmac_f32_e32 v76, s3, v1
	v_cndmask_b32_e64 v1, 0, v76, s1
	ds_write_b32 v71, v1
	v_max_f32_e32 v1, v66, v66
	v_max_f32_e32 v1, v1, v76
	v_cndmask_b32_e64 v66, v66, v1, s1
	s_branch .LBB113_11
.LBB113_16:
	s_or_b32 exec_lo, exec_lo, s15
.LBB113_17:
	s_or_b32 exec_lo, exec_lo, s41
	v_mbcnt_lo_u32_b32 v1, -1, 0
	v_max_f32_e32 v5, v66, v66
	v_xor_b32_e32 v2, 16, v1
	v_xor_b32_e32 v4, 8, v1
	v_cmp_gt_i32_e32 vcc_lo, 32, v2
	v_cndmask_b32_e32 v2, v1, v2, vcc_lo
	v_cmp_gt_i32_e32 vcc_lo, 32, v4
	v_lshlrev_b32_e32 v2, 2, v2
	v_cndmask_b32_e32 v4, v1, v4, vcc_lo
	ds_bpermute_b32 v3, v2, v66
	s_waitcnt lgkmcnt(0)
	v_max_f32_e32 v6, v3, v3
	v_lshlrev_b32_e32 v3, 2, v4
	v_max_f32_e32 v4, v5, v6
	v_xor_b32_e32 v6, 4, v1
	ds_bpermute_b32 v5, v3, v4
	v_cmp_gt_i32_e32 vcc_lo, 32, v6
	v_cndmask_b32_e32 v6, v1, v6, vcc_lo
	s_waitcnt lgkmcnt(0)
	v_max_f32_e32 v7, v5, v5
	v_lshlrev_b32_e32 v5, 2, v6
	v_max_f32_e32 v4, v4, v7
	v_xor_b32_e32 v7, 2, v1
	ds_bpermute_b32 v6, v5, v4
	v_cmp_gt_i32_e32 vcc_lo, 32, v7
	v_cndmask_b32_e32 v7, v1, v7, vcc_lo
	v_lshlrev_b32_e32 v12, 2, v7
	v_xor_b32_e32 v7, 1, v1
	v_cmp_gt_i32_e32 vcc_lo, 32, v7
	s_waitcnt lgkmcnt(0)
	v_max_f32_e32 v6, v6, v6
	v_cndmask_b32_e32 v7, v1, v7, vcc_lo
	v_cmp_eq_u32_e32 vcc_lo, 0, v62
	v_max_f32_e32 v4, v4, v6
	v_lshlrev_b32_e32 v11, 2, v7
	ds_bpermute_b32 v6, v12, v4
	s_waitcnt lgkmcnt(0)
	v_max_f32_e32 v6, v6, v6
	v_max_f32_e32 v1, v4, v6
	v_lshlrev_b32_e32 v6, 2, v61
	ds_bpermute_b32 v4, v11, v1
	s_and_saveexec_b32 s1, vcc_lo
	s_cbranch_execz .LBB113_19
; %bb.18:
	s_waitcnt lgkmcnt(0)
	v_max_f32_e32 v4, v4, v4
	v_max_f32_e32 v1, v1, v1
	;; [unrolled: 1-line block ×3, first 2 shown]
	ds_write_b32 v6, v1 offset:240
.LBB113_19:
	s_or_b32 exec_lo, exec_lo, s1
	v_cmp_gt_u32_e64 s1, 4, v62
	v_mov_b32_e32 v1, 0xff7fffff
	s_waitcnt lgkmcnt(0)
	s_barrier
	buffer_gl0_inv
	s_and_saveexec_b32 s2, s1
; %bb.20:
	ds_read_b32 v1, v65 offset:240
; %bb.21:
	s_or_b32 exec_lo, exec_lo, s2
	s_waitcnt lgkmcnt(0)
	ds_bpermute_b32 v4, v12, v1
	v_max_f32_e32 v1, v1, v1
	v_mov_b32_e32 v7, 0
	s_sub_i32 s2, s16, s40
	s_lshl_b32 s2, s2, 5
	s_add_i32 s2, s2, s37
	s_min_i32 s2, s2, s27
	s_sub_i32 s4, s2, s37
	v_cmp_gt_i32_e64 s2, s4, v0
	s_waitcnt lgkmcnt(0)
	v_max_f32_e32 v4, v4, v4
	v_max_f32_e32 v1, v1, v4
	ds_bpermute_b32 v4, v11, v1
	s_waitcnt lgkmcnt(0)
	v_max_f32_e32 v4, v4, v4
	v_max_f32_e32 v1, v1, v4
	v_lshl_add_u32 v4, v0, 2, 0x110
	ds_bpermute_b32 v1, v7, v1
	s_and_saveexec_b32 s5, s2
	s_cbranch_execz .LBB113_25
; %bb.22:
	v_lshl_add_u32 v8, v0, 2, 0x110
	v_mov_b32_e32 v7, 0
	v_mov_b32_e32 v9, v0
	s_mov_b32 s15, 0
	.p2align	6
.LBB113_23:                             ; =>This Inner Loop Header: Depth=1
	ds_read_b32 v10, v8
	v_add_nc_u32_e32 v9, 0x80, v9
	v_cmp_le_i32_e64 s3, s4, v9
	s_or_b32 s15, s3, s15
	s_waitcnt lgkmcnt(0)
	v_sub_f32_e32 v10, v10, v1
	v_mul_f32_e32 v10, 0x3fb8aa3b, v10
	v_exp_f32_e32 v10, v10
	ds_write_b32 v8, v10
	v_add_f32_e32 v7, v7, v10
	v_add_nc_u32_e32 v8, 0x200, v8
	s_andn2_b32 exec_lo, exec_lo, s15
	s_cbranch_execnz .LBB113_23
; %bb.24:
	s_or_b32 exec_lo, exec_lo, s15
.LBB113_25:
	s_or_b32 exec_lo, exec_lo, s5
	ds_bpermute_b32 v2, v2, v7
	s_waitcnt lgkmcnt(0)
	v_add_f32_e32 v2, v7, v2
	ds_bpermute_b32 v3, v3, v2
	s_waitcnt lgkmcnt(0)
	v_add_f32_e32 v2, v2, v3
	;; [unrolled: 3-line block ×5, first 2 shown]
	s_and_saveexec_b32 s3, vcc_lo
; %bb.26:
	ds_write_b32 v6, v2 offset:256
; %bb.27:
	s_or_b32 exec_lo, exec_lo, s3
	s_waitcnt lgkmcnt(0)
	s_barrier
	buffer_gl0_inv
	s_and_saveexec_b32 s3, s1
; %bb.28:
	ds_read_b32 v2, v65 offset:256
; %bb.29:
	s_or_b32 exec_lo, exec_lo, s3
	s_waitcnt lgkmcnt(0)
	ds_bpermute_b32 v3, v12, v2
	s_waitcnt lgkmcnt(0)
	v_add_f32_e32 v2, v2, v3
	ds_bpermute_b32 v3, v11, v2
	s_waitcnt lgkmcnt(0)
	v_add_f32_e32 v2, v2, v3
	v_mov_b32_e32 v3, 0
	ds_bpermute_b32 v2, v3, v2
	s_and_saveexec_b32 s1, s2
	s_cbranch_execz .LBB113_32
; %bb.30:
	s_waitcnt lgkmcnt(0)
	v_add_f32_e32 v3, 0x358637bd, v2
	s_mov_b32 s2, 0
	v_div_scale_f32 v5, null, v3, v3, 1.0
	v_div_scale_f32 v8, vcc_lo, 1.0, v3, 1.0
	v_rcp_f32_e32 v6, v5
	v_fma_f32 v7, -v5, v6, 1.0
	v_fmac_f32_e32 v6, v7, v6
	v_mul_f32_e32 v7, v8, v6
	v_fma_f32 v9, -v5, v7, v8
	v_fmac_f32_e32 v7, v9, v6
	v_fma_f32 v5, -v5, v7, v8
	v_div_fmas_f32 v5, v5, v6, v7
	v_div_fixup_f32 v3, v5, v3, 1.0
	v_mov_b32_e32 v5, v0
.LBB113_31:                             ; =>This Inner Loop Header: Depth=1
	ds_read_b32 v6, v4
	v_add_nc_u32_e32 v5, 0x80, v5
	v_cmp_le_i32_e32 vcc_lo, s4, v5
	s_or_b32 s2, vcc_lo, s2
	s_waitcnt lgkmcnt(0)
	v_mul_f32_e32 v6, v3, v6
	ds_write_b32 v4, v6
	v_add_nc_u32_e32 v4, 0x200, v4
	s_andn2_b32 exec_lo, exec_lo, s2
	s_cbranch_execnz .LBB113_31
.LBB113_32:
	s_or_b32 exec_lo, exec_lo, s1
	s_mul_i32 s1, s7, s26
	s_waitcnt lgkmcnt(0)
	s_mul_i32 s2, s1, s9
	s_mov_b32 s1, exec_lo
	s_barrier
	buffer_gl0_inv
	v_cmpx_eq_u32_e32 0, v0
	s_cbranch_execz .LBB113_34
; %bb.33:
	s_ashr_i32 s3, s2, 31
	s_mul_i32 s40, s7, s6
	s_lshl_b64 s[4:5], s[2:3], 2
	v_mov_b32_e32 v3, 0
	s_add_u32 s3, s22, s4
	s_addc_u32 s6, s23, s5
	s_ashr_i32 s41, s40, 31
	s_lshl_b64 s[22:23], s[40:41], 2
	s_add_u32 s3, s3, s22
	s_addc_u32 s6, s6, s23
	s_ashr_i32 s9, s8, 31
	s_lshl_b64 s[40:41], s[8:9], 2
	s_add_u32 s42, s3, s40
	s_addc_u32 s43, s6, s41
	s_add_u32 s3, s20, s4
	s_addc_u32 s4, s21, s5
	;; [unrolled: 2-line block ×4, first 2 shown]
	global_store_dword v3, v1, s[42:43]
	global_store_dword v3, v2, s[4:5]
.LBB113_34:
	s_or_b32 exec_lo, exec_lo, s1
	v_mov_b32_e32 v28, 0
	v_and_b32_e32 v13, 3, v0
	v_mov_b32_e32 v27, 0
	v_mov_b32_e32 v26, 0
	;; [unrolled: 1-line block ×14, first 2 shown]
	s_and_saveexec_b32 s3, s0
	s_cbranch_execz .LBB113_70
; %bb.35:
	s_ashr_i32 s15, s14, 31
	s_sub_i32 s4, s38, s17
	s_lshl_b64 s[0:1], s[14:15], 1
	v_lshlrev_b32_e32 v4, 3, v0
	s_add_u32 s6, s34, s0
	s_addc_u32 s9, s35, s1
	s_abs_i32 s5, s18
	v_lshlrev_b32_e32 v6, 5, v13
	v_cvt_f32_u32_e32 v3, s5
	s_sub_i32 s0, 0, s5
	v_and_b32_e32 v30, 24, v4
	v_lshlrev_b64 v[1:2], 2, v[57:58]
	v_and_b32_e32 v5, 0x1f0, v64
	v_rcp_iflag_f32_e32 v3, v3
	s_add_i32 s36, s36, -1
	v_lshl_or_b32 v6, v61, 7, v6
	v_mov_b32_e32 v29, 0
	v_add_co_u32 v31, s6, s6, v5
	v_mov_b32_e32 v14, 0
	v_mov_b32_e32 v15, 0
	v_mov_b32_e32 v16, 0
	v_mov_b32_e32 v17, 0
	v_mul_f32_e32 v3, 0x4f7ffffe, v3
	v_mov_b32_e32 v18, 0
	v_mov_b32_e32 v19, 0
	;; [unrolled: 1-line block ×4, first 2 shown]
	v_cvt_u32_f32_e32 v3, v3
	v_mov_b32_e32 v22, 0
	v_mov_b32_e32 v23, 0
	;; [unrolled: 1-line block ×4, first 2 shown]
	v_mul_lo_u32 v4, s0, v3
	s_lshl_b64 s[0:1], s[30:31], 2
	v_mov_b32_e32 v26, 0
	s_add_u32 s0, s28, s0
	s_addc_u32 s1, s29, s1
	v_add_co_u32 v5, vcc_lo, s0, v1
	v_mov_b32_e32 v27, 0
	v_mul_hi_u32 v4, v3, v4
	v_add_co_ci_u32_e64 v32, null, s9, 0, s6
	v_add_nc_u32_e32 v33, 0x110, v6
	v_add_co_ci_u32_e64 v6, null, s1, v2, vcc_lo
	v_mov_b32_e32 v28, 0
	s_mov_b32 s9, s13
	v_add_nc_u32_e32 v34, v3, v4
	s_mov_b32 s6, 0
	s_branch .LBB113_38
.LBB113_36:                             ;   in Loop: Header=BB113_38 Depth=1
	s_or_b32 exec_lo, exec_lo, s1
	v_add_f32_e32 v9, v9, v10
	v_add_f32_e32 v10, v69, v70
	v_add_f32_e32 v35, v76, v77
	v_lshlrev_b32_e32 v8, 16, v8
	v_lshlrev_b32_e32 v7, 16, v7
	v_add_f32_e32 v36, v73, v74
	v_add_f32_e32 v19, v19, v10
	v_lshlrev_b32_e32 v10, 16, v75
	v_add_f32_e32 v15, v15, v35
	v_add_f32_e32 v17, v17, v9
	;; [unrolled: 1-line block ×4, first 2 shown]
	v_and_or_b32 v1, 0xffff, v1, v10
	v_and_or_b32 v2, 0xffff, v2, v8
	v_and_or_b32 v3, 0xffff, v3, v7
	;;#ASMSTART
	v_pk_mul_f16 v1, v38, v1;

	;;#ASMEND
	;;#ASMSTART
	v_pk_mul_f16 v2, v37, v2;

	;;#ASMEND
	;;#ASMSTART
	v_pk_mul_f16 v3, v44, v3;

	;;#ASMEND
	;;#ASMSTART
	v_pk_mul_f16 v4, v45, v4;

	;;#ASMEND
	;;#ASMSTART
	v_pk_add_f16 v1, v1, v2;

	;;#ASMEND
	;;#ASMSTART
	v_pk_add_f16 v1, v1, v3;

	;;#ASMEND
	;; [unrolled: 4-line block ×3, first 2 shown]
	v_and_b32_e32 v4, 0xffff, v1
	v_lshrrev_b32_e32 v8, 16, v1
	;;#ASMSTART
	v_cvt_f32_f16 v4, v4;
	;;#ASMEND
	v_add_f32_e32 v16, v16, v36
	v_add_f32_e32 v36, v65, v66
	;; [unrolled: 1-line block ×11, first 2 shown]
	;;#ASMSTART
	v_cvt_f32_f16 v8, v8;
	;;#ASMEND
	v_add_f32_e32 v4, v4, v8
	v_add_f32_e32 v21, v21, v36
	;; [unrolled: 1-line block ×10, first 2 shown]
.LBB113_37:                             ;   in Loop: Header=BB113_38 Depth=1
	s_or_b32 exec_lo, exec_lo, s13
	v_add_nc_u32_e32 v57, 4, v57
	v_add_co_u32 v5, s0, v5, 16
	v_add_co_ci_u32_e64 v6, null, 0, v6, s0
	v_cmp_le_i32_e32 vcc_lo, s16, v57
	v_add_nc_u32_e32 v63, 0x80, v63
	v_add_nc_u32_e32 v33, 0x200, v33
	s_or_b32 s6, vcc_lo, s6
	s_andn2_b32 exec_lo, exec_lo, s6
	s_cbranch_execz .LBB113_69
.LBB113_38:                             ; =>This Inner Loop Header: Depth=1
	v_sub_nc_u32_e32 v1, 0, v63
	v_max_i32_e32 v1, v63, v1
	v_mul_hi_u32 v2, v1, s12
	v_mul_lo_u32 v3, v2, s11
	v_sub_nc_u32_e32 v1, v1, v3
	v_add_nc_u32_e32 v3, 1, v2
	v_subrev_nc_u32_e32 v4, s11, v1
	v_cmp_le_u32_e32 vcc_lo, s11, v1
	v_cndmask_b32_e32 v2, v2, v3, vcc_lo
	v_cndmask_b32_e32 v1, v1, v4, vcc_lo
	v_ashrrev_i32_e32 v3, 31, v63
	v_add_nc_u32_e32 v4, 1, v2
	v_cmp_le_u32_e32 vcc_lo, s11, v1
	v_xor_b32_e32 v3, s19, v3
	v_cndmask_b32_e32 v1, v2, v4, vcc_lo
	v_xor_b32_e32 v1, v1, v3
	v_sub_nc_u32_e32 v1, v1, v3
	v_add_nc_u32_e32 v2, s33, v1
	v_cmp_lt_i32_e64 s0, s4, v1
	v_sub_nc_u32_e32 v3, 0, v2
	v_max_i32_e32 v3, v2, v3
	v_ashrrev_i32_e32 v2, 31, v2
	v_mul_hi_u32 v4, v3, v34
	v_mul_lo_u32 v4, v4, s5
	v_sub_nc_u32_e32 v3, v3, v4
	v_subrev_nc_u32_e32 v4, s5, v3
	v_cmp_le_u32_e32 vcc_lo, s5, v3
	v_cndmask_b32_e32 v3, v3, v4, vcc_lo
	v_subrev_nc_u32_e32 v4, s5, v3
	v_cmp_le_u32_e32 vcc_lo, s5, v3
	v_cndmask_b32_e32 v3, v3, v4, vcc_lo
	v_xor_b32_e32 v3, v3, v2
	v_sub_nc_u32_e32 v2, v3, v2
	v_cmp_eq_u32_e32 vcc_lo, 0, v2
	s_or_b32 s0, vcc_lo, s0
	s_and_saveexec_b32 s13, s0
	s_cbranch_execz .LBB113_37
; %bb.39:                               ;   in Loop: Header=BB113_38 Depth=1
	global_load_dword v7, v[5:6], off
	ds_read2_b64 v[1:4], v33 offset1:1
	ds_read2_b64 v[45:48], v33 offset0:2 offset1:3
	v_cmp_eq_u32_e64 s0, s36, v57
	s_waitcnt lgkmcnt(1)
	;;#ASMSTART
	v_cvt_f16_f32 v38, v1;

	;;#ASMEND
	;;#ASMSTART
	v_cvt_f16_f32 v37, v2;

	;;#ASMEND
	;; [unrolled: 4-line block ×4, first 2 shown]
	s_waitcnt lgkmcnt(0)
	;;#ASMSTART
	v_cvt_f16_f32 v45, v45;

	;;#ASMEND
	;;#ASMSTART
	v_cvt_f16_f32 v10, v46;

	;;#ASMEND
	;;#ASMSTART
	v_cvt_f16_f32 v43, v47;

	;;#ASMEND
	;;#ASMSTART
	v_cvt_f16_f32 v9, v48;

	;;#ASMEND
	v_add_nc_u32_e32 v46, v30, v63
	v_add_nc_u32_e32 v48, 1, v46
	;; [unrolled: 1-line block ×8, first 2 shown]
	s_waitcnt vmcnt(0)
	v_mad_i64_i32 v[7:8], null, v7, s9, 0
	v_lshlrev_b64 v[7:8], 1, v[7:8]
	v_add_co_u32 v7, vcc_lo, v31, v7
	v_add_co_ci_u32_e64 v8, null, v32, v8, vcc_lo
	global_load_dwordx4 v[1:4], v[7:8], off
	s_waitcnt vmcnt(0)
	v_lshrrev_b32_e32 v51, 16, v1
	v_lshrrev_b32_e32 v50, 16, v2
	v_lshrrev_b32_e32 v49, 16, v3
	s_and_saveexec_b32 s14, s0
	s_cbranch_execz .LBB113_41
; %bb.40:                               ;   in Loop: Header=BB113_38 Depth=1
	v_cmp_gt_i32_e32 vcc_lo, s27, v46
	v_and_b32_e32 v52, 0xffff0000, v4
	v_cmp_gt_i32_e64 s1, s27, v42
	v_cndmask_b32_e32 v1, 0, v1, vcc_lo
	v_cmp_gt_i32_e32 vcc_lo, s27, v48
	v_cndmask_b32_e64 v2, 0, v2, s1
	v_cmp_gt_i32_e64 s1, s27, v41
	v_cndmask_b32_e32 v51, 0, v51, vcc_lo
	v_cmp_gt_i32_e32 vcc_lo, s27, v47
	v_cndmask_b32_e64 v50, 0, v50, s1
	v_cndmask_b32_sdwa v4, v29, v4, vcc_lo dst_sel:DWORD dst_unused:UNUSED_PAD src0_sel:DWORD src1_sel:WORD_0
	v_cmp_gt_i32_e32 vcc_lo, s27, v39
	v_cndmask_b32_e32 v52, 0, v52, vcc_lo
	v_cmp_gt_i32_e32 vcc_lo, s27, v36
	v_or_b32_e32 v4, v4, v52
	v_cndmask_b32_e32 v3, 0, v3, vcc_lo
	v_cmp_gt_i32_e32 vcc_lo, s27, v35
	v_cndmask_b32_e32 v49, 0, v49, vcc_lo
.LBB113_41:                             ;   in Loop: Header=BB113_38 Depth=1
	s_or_b32 exec_lo, exec_lo, s14
	v_and_b32_e32 v38, 0xffff, v38
	v_and_b32_e32 v44, 0xffff, v44
	v_lshlrev_b32_e32 v51, 16, v51
	v_lshlrev_b32_e32 v49, 16, v49
	v_and_b32_e32 v45, 0xffff, v45
	v_lshl_or_b32 v38, v37, 16, v38
	v_lshl_or_b32 v37, v40, 16, v44
	v_lshlrev_b32_e32 v40, 16, v50
	v_and_b32_e32 v43, 0xffff, v43
	v_and_or_b32 v1, 0xffff, v1, v51
	v_and_or_b32 v3, 0xffff, v3, v49
	;;#ASMSTART
	v_pk_mul_f16 v1, v38, v1;

	;;#ASMEND
	v_and_or_b32 v2, 0xffff, v2, v40
	v_lshl_or_b32 v44, v10, 16, v45
	v_lshl_or_b32 v45, v9, 16, v43
	;;#ASMSTART
	v_pk_mul_f16 v2, v37, v2;

	;;#ASMEND
	;;#ASMSTART
	v_pk_mul_f16 v3, v44, v3;

	;;#ASMEND
	;; [unrolled: 4-line block ×3, first 2 shown]
	;;#ASMSTART
	v_pk_add_f16 v1, v1, v2;

	;;#ASMEND
	;;#ASMSTART
	v_pk_add_f16 v1, v1, v3;

	;;#ASMEND
	;; [unrolled: 4-line block ×3, first 2 shown]
	v_and_b32_e32 v2, 0xffff, v1
	v_lshrrev_b32_e32 v1, 16, v1
	;;#ASMSTART
	v_cvt_f32_f16 v40, v2;
	;;#ASMEND
	;;#ASMSTART
	v_cvt_f32_f16 v43, v1;
	;;#ASMEND
	global_load_dwordx4 v[1:4], v[7:8], off offset:512
	s_waitcnt vmcnt(0)
	v_lshrrev_b32_e32 v49, 16, v1
	v_lshrrev_b32_e32 v10, 16, v2
	v_lshrrev_b32_e32 v9, 16, v3
	s_and_saveexec_b32 s14, s0
	s_cbranch_execz .LBB113_43
; %bb.42:                               ;   in Loop: Header=BB113_38 Depth=1
	v_cmp_gt_i32_e32 vcc_lo, s27, v46
	v_and_b32_e32 v50, 0xffff0000, v4
	v_cmp_gt_i32_e64 s1, s27, v42
	v_cndmask_b32_e32 v1, 0, v1, vcc_lo
	v_cmp_gt_i32_e32 vcc_lo, s27, v48
	v_cndmask_b32_e64 v2, 0, v2, s1
	v_cmp_gt_i32_e64 s1, s27, v41
	v_cndmask_b32_e32 v49, 0, v49, vcc_lo
	v_cmp_gt_i32_e32 vcc_lo, s27, v47
	v_cndmask_b32_e64 v10, 0, v10, s1
	v_cndmask_b32_sdwa v4, v29, v4, vcc_lo dst_sel:DWORD dst_unused:UNUSED_PAD src0_sel:DWORD src1_sel:WORD_0
	v_cmp_gt_i32_e32 vcc_lo, s27, v39
	v_cndmask_b32_e32 v50, 0, v50, vcc_lo
	v_cmp_gt_i32_e32 vcc_lo, s27, v36
	v_or_b32_e32 v4, v4, v50
	v_cndmask_b32_e32 v3, 0, v3, vcc_lo
	v_cmp_gt_i32_e32 vcc_lo, s27, v35
	v_cndmask_b32_e32 v9, 0, v9, vcc_lo
.LBB113_43:                             ;   in Loop: Header=BB113_38 Depth=1
	s_or_b32 exec_lo, exec_lo, s14
	v_lshlrev_b32_e32 v49, 16, v49
	v_lshlrev_b32_e32 v10, 16, v10
	;; [unrolled: 1-line block ×3, first 2 shown]
	v_and_or_b32 v1, 0xffff, v1, v49
	v_and_or_b32 v2, 0xffff, v2, v10
	;; [unrolled: 1-line block ×3, first 2 shown]
	;;#ASMSTART
	v_pk_mul_f16 v1, v38, v1;

	;;#ASMEND
	;;#ASMSTART
	v_pk_mul_f16 v2, v37, v2;

	;;#ASMEND
	;; [unrolled: 4-line block ×4, first 2 shown]
	;;#ASMSTART
	v_pk_add_f16 v1, v1, v2;

	;;#ASMEND
	;;#ASMSTART
	v_pk_add_f16 v1, v1, v3;

	;;#ASMEND
	;; [unrolled: 4-line block ×3, first 2 shown]
	v_and_b32_e32 v2, 0xffff, v1
	v_lshrrev_b32_e32 v1, 16, v1
	;;#ASMSTART
	v_cvt_f32_f16 v49, v2;
	;;#ASMEND
	;;#ASMSTART
	v_cvt_f32_f16 v50, v1;
	;;#ASMEND
	global_load_dwordx4 v[1:4], v[7:8], off offset:1024
	s_waitcnt vmcnt(0)
	v_lshrrev_b32_e32 v51, 16, v1
	v_lshrrev_b32_e32 v10, 16, v2
	;; [unrolled: 1-line block ×3, first 2 shown]
	s_and_saveexec_b32 s14, s0
	s_cbranch_execz .LBB113_45
; %bb.44:                               ;   in Loop: Header=BB113_38 Depth=1
	v_cmp_gt_i32_e32 vcc_lo, s27, v46
	v_and_b32_e32 v52, 0xffff0000, v4
	v_cmp_gt_i32_e64 s1, s27, v42
	v_cndmask_b32_e32 v1, 0, v1, vcc_lo
	v_cmp_gt_i32_e32 vcc_lo, s27, v48
	v_cndmask_b32_e64 v2, 0, v2, s1
	v_cmp_gt_i32_e64 s1, s27, v41
	v_cndmask_b32_e32 v51, 0, v51, vcc_lo
	v_cmp_gt_i32_e32 vcc_lo, s27, v47
	v_cndmask_b32_e64 v10, 0, v10, s1
	v_cndmask_b32_sdwa v4, v29, v4, vcc_lo dst_sel:DWORD dst_unused:UNUSED_PAD src0_sel:DWORD src1_sel:WORD_0
	v_cmp_gt_i32_e32 vcc_lo, s27, v39
	v_cndmask_b32_e32 v52, 0, v52, vcc_lo
	v_cmp_gt_i32_e32 vcc_lo, s27, v36
	v_or_b32_e32 v4, v4, v52
	v_cndmask_b32_e32 v3, 0, v3, vcc_lo
	v_cmp_gt_i32_e32 vcc_lo, s27, v35
	v_cndmask_b32_e32 v9, 0, v9, vcc_lo
.LBB113_45:                             ;   in Loop: Header=BB113_38 Depth=1
	s_or_b32 exec_lo, exec_lo, s14
	v_lshlrev_b32_e32 v51, 16, v51
	v_lshlrev_b32_e32 v10, 16, v10
	;; [unrolled: 1-line block ×3, first 2 shown]
	v_and_or_b32 v1, 0xffff, v1, v51
	v_and_or_b32 v2, 0xffff, v2, v10
	;; [unrolled: 1-line block ×3, first 2 shown]
	;;#ASMSTART
	v_pk_mul_f16 v1, v38, v1;

	;;#ASMEND
	;;#ASMSTART
	v_pk_mul_f16 v2, v37, v2;

	;;#ASMEND
	;; [unrolled: 4-line block ×4, first 2 shown]
	;;#ASMSTART
	v_pk_add_f16 v1, v1, v2;

	;;#ASMEND
	;;#ASMSTART
	v_pk_add_f16 v1, v1, v3;

	;;#ASMEND
	;; [unrolled: 4-line block ×3, first 2 shown]
	v_and_b32_e32 v2, 0xffff, v1
	v_lshrrev_b32_e32 v1, 16, v1
	;;#ASMSTART
	v_cvt_f32_f16 v51, v2;
	;;#ASMEND
	;;#ASMSTART
	v_cvt_f32_f16 v52, v1;
	;;#ASMEND
	global_load_dwordx4 v[1:4], v[7:8], off offset:1536
	s_waitcnt vmcnt(0)
	v_lshrrev_b32_e32 v53, 16, v1
	v_lshrrev_b32_e32 v10, 16, v2
	;; [unrolled: 1-line block ×3, first 2 shown]
	s_and_saveexec_b32 s14, s0
	s_cbranch_execz .LBB113_47
; %bb.46:                               ;   in Loop: Header=BB113_38 Depth=1
	v_cmp_gt_i32_e32 vcc_lo, s27, v46
	v_and_b32_e32 v54, 0xffff0000, v4
	v_cmp_gt_i32_e64 s1, s27, v42
	v_cndmask_b32_e32 v1, 0, v1, vcc_lo
	v_cmp_gt_i32_e32 vcc_lo, s27, v48
	v_cndmask_b32_e64 v2, 0, v2, s1
	v_cmp_gt_i32_e64 s1, s27, v41
	v_cndmask_b32_e32 v53, 0, v53, vcc_lo
	v_cmp_gt_i32_e32 vcc_lo, s27, v47
	v_cndmask_b32_e64 v10, 0, v10, s1
	v_cndmask_b32_sdwa v4, v29, v4, vcc_lo dst_sel:DWORD dst_unused:UNUSED_PAD src0_sel:DWORD src1_sel:WORD_0
	v_cmp_gt_i32_e32 vcc_lo, s27, v39
	v_cndmask_b32_e32 v54, 0, v54, vcc_lo
	v_cmp_gt_i32_e32 vcc_lo, s27, v36
	v_or_b32_e32 v4, v4, v54
	v_cndmask_b32_e32 v3, 0, v3, vcc_lo
	v_cmp_gt_i32_e32 vcc_lo, s27, v35
	v_cndmask_b32_e32 v9, 0, v9, vcc_lo
.LBB113_47:                             ;   in Loop: Header=BB113_38 Depth=1
	s_or_b32 exec_lo, exec_lo, s14
	v_lshlrev_b32_e32 v9, 16, v9
	v_lshlrev_b32_e32 v53, 16, v53
	;; [unrolled: 1-line block ×3, first 2 shown]
	v_and_or_b32 v3, 0xffff, v3, v9
	v_add_co_u32 v9, vcc_lo, 0x800, v7
	v_and_or_b32 v1, 0xffff, v1, v53
	v_and_or_b32 v2, 0xffff, v2, v10
	;;#ASMSTART
	v_pk_mul_f16 v1, v38, v1;

	;;#ASMEND
	v_add_co_ci_u32_e64 v10, null, 0, v8, vcc_lo
	;;#ASMSTART
	v_pk_mul_f16 v2, v37, v2;

	;;#ASMEND
	;;#ASMSTART
	v_pk_mul_f16 v3, v44, v3;

	;;#ASMEND
	;; [unrolled: 4-line block ×3, first 2 shown]
	;;#ASMSTART
	v_pk_add_f16 v1, v1, v2;

	;;#ASMEND
	;;#ASMSTART
	v_pk_add_f16 v1, v1, v3;

	;;#ASMEND
	;; [unrolled: 4-line block ×3, first 2 shown]
	v_lshrrev_b32_e32 v2, 16, v1
	v_and_b32_e32 v1, 0xffff, v1
	;;#ASMSTART
	v_cvt_f32_f16 v53, v1;
	;;#ASMEND
	;;#ASMSTART
	v_cvt_f32_f16 v54, v2;
	;;#ASMEND
	global_load_dwordx4 v[1:4], v[9:10], off
	s_waitcnt vmcnt(0)
	v_lshrrev_b32_e32 v58, 16, v1
	v_lshrrev_b32_e32 v56, 16, v2
	;; [unrolled: 1-line block ×3, first 2 shown]
	s_and_saveexec_b32 s14, s0
	s_cbranch_execz .LBB113_49
; %bb.48:                               ;   in Loop: Header=BB113_38 Depth=1
	v_cmp_gt_i32_e32 vcc_lo, s27, v46
	v_and_b32_e32 v59, 0xffff0000, v4
	v_cmp_gt_i32_e64 s1, s27, v42
	v_cndmask_b32_e32 v1, 0, v1, vcc_lo
	v_cmp_gt_i32_e32 vcc_lo, s27, v48
	v_cndmask_b32_e64 v2, 0, v2, s1
	v_cmp_gt_i32_e64 s1, s27, v41
	v_cndmask_b32_e32 v58, 0, v58, vcc_lo
	v_cmp_gt_i32_e32 vcc_lo, s27, v47
	v_cndmask_b32_e64 v56, 0, v56, s1
	v_cndmask_b32_sdwa v4, v29, v4, vcc_lo dst_sel:DWORD dst_unused:UNUSED_PAD src0_sel:DWORD src1_sel:WORD_0
	v_cmp_gt_i32_e32 vcc_lo, s27, v39
	v_cndmask_b32_e32 v59, 0, v59, vcc_lo
	v_cmp_gt_i32_e32 vcc_lo, s27, v36
	v_or_b32_e32 v4, v4, v59
	v_cndmask_b32_e32 v3, 0, v3, vcc_lo
	v_cmp_gt_i32_e32 vcc_lo, s27, v35
	v_cndmask_b32_e32 v55, 0, v55, vcc_lo
.LBB113_49:                             ;   in Loop: Header=BB113_38 Depth=1
	s_or_b32 exec_lo, exec_lo, s14
	v_lshlrev_b32_e32 v58, 16, v58
	v_lshlrev_b32_e32 v56, 16, v56
	v_lshlrev_b32_e32 v55, 16, v55
	v_and_or_b32 v1, 0xffff, v1, v58
	v_and_or_b32 v2, 0xffff, v2, v56
	;; [unrolled: 1-line block ×3, first 2 shown]
	;;#ASMSTART
	v_pk_mul_f16 v1, v38, v1;

	;;#ASMEND
	;;#ASMSTART
	v_pk_mul_f16 v2, v37, v2;

	;;#ASMEND
	;; [unrolled: 4-line block ×4, first 2 shown]
	;;#ASMSTART
	v_pk_add_f16 v1, v1, v2;

	;;#ASMEND
	;;#ASMSTART
	v_pk_add_f16 v1, v1, v3;

	;;#ASMEND
	;; [unrolled: 4-line block ×3, first 2 shown]
	v_and_b32_e32 v2, 0xffff, v1
	v_lshrrev_b32_e32 v1, 16, v1
	;;#ASMSTART
	v_cvt_f32_f16 v55, v2;
	;;#ASMEND
	;;#ASMSTART
	v_cvt_f32_f16 v56, v1;
	;;#ASMEND
	global_load_dwordx4 v[1:4], v[9:10], off offset:512
	s_waitcnt vmcnt(0)
	v_lshrrev_b32_e32 v60, 16, v1
	v_lshrrev_b32_e32 v59, 16, v2
	;; [unrolled: 1-line block ×3, first 2 shown]
	s_and_saveexec_b32 s14, s0
	s_cbranch_execz .LBB113_51
; %bb.50:                               ;   in Loop: Header=BB113_38 Depth=1
	v_cmp_gt_i32_e32 vcc_lo, s27, v46
	v_and_b32_e32 v64, 0xffff0000, v4
	v_cmp_gt_i32_e64 s1, s27, v42
	v_cndmask_b32_e32 v1, 0, v1, vcc_lo
	v_cmp_gt_i32_e32 vcc_lo, s27, v48
	v_cndmask_b32_e64 v2, 0, v2, s1
	v_cmp_gt_i32_e64 s1, s27, v41
	v_cndmask_b32_e32 v60, 0, v60, vcc_lo
	v_cmp_gt_i32_e32 vcc_lo, s27, v47
	v_cndmask_b32_e64 v59, 0, v59, s1
	v_cndmask_b32_sdwa v4, v29, v4, vcc_lo dst_sel:DWORD dst_unused:UNUSED_PAD src0_sel:DWORD src1_sel:WORD_0
	v_cmp_gt_i32_e32 vcc_lo, s27, v39
	v_cndmask_b32_e32 v64, 0, v64, vcc_lo
	v_cmp_gt_i32_e32 vcc_lo, s27, v36
	v_or_b32_e32 v4, v4, v64
	v_cndmask_b32_e32 v3, 0, v3, vcc_lo
	v_cmp_gt_i32_e32 vcc_lo, s27, v35
	v_cndmask_b32_e32 v58, 0, v58, vcc_lo
.LBB113_51:                             ;   in Loop: Header=BB113_38 Depth=1
	s_or_b32 exec_lo, exec_lo, s14
	v_lshlrev_b32_e32 v60, 16, v60
	v_lshlrev_b32_e32 v59, 16, v59
	;; [unrolled: 1-line block ×3, first 2 shown]
	v_and_or_b32 v1, 0xffff, v1, v60
	v_and_or_b32 v2, 0xffff, v2, v59
	;; [unrolled: 1-line block ×3, first 2 shown]
	;;#ASMSTART
	v_pk_mul_f16 v1, v38, v1;

	;;#ASMEND
	;;#ASMSTART
	v_pk_mul_f16 v2, v37, v2;

	;;#ASMEND
	;; [unrolled: 4-line block ×4, first 2 shown]
	;;#ASMSTART
	v_pk_add_f16 v1, v1, v2;

	;;#ASMEND
	;;#ASMSTART
	v_pk_add_f16 v1, v1, v3;

	;;#ASMEND
	;; [unrolled: 4-line block ×3, first 2 shown]
	v_and_b32_e32 v2, 0xffff, v1
	v_lshrrev_b32_e32 v1, 16, v1
	;;#ASMSTART
	v_cvt_f32_f16 v58, v2;
	;;#ASMEND
	;;#ASMSTART
	v_cvt_f32_f16 v59, v1;
	;;#ASMEND
	global_load_dwordx4 v[1:4], v[9:10], off offset:1024
	s_waitcnt vmcnt(0)
	v_lshrrev_b32_e32 v65, 16, v1
	v_lshrrev_b32_e32 v64, 16, v2
	v_lshrrev_b32_e32 v60, 16, v3
	s_and_saveexec_b32 s14, s0
	s_cbranch_execz .LBB113_53
; %bb.52:                               ;   in Loop: Header=BB113_38 Depth=1
	v_cmp_gt_i32_e32 vcc_lo, s27, v46
	v_and_b32_e32 v66, 0xffff0000, v4
	v_cmp_gt_i32_e64 s1, s27, v42
	v_cndmask_b32_e32 v1, 0, v1, vcc_lo
	v_cmp_gt_i32_e32 vcc_lo, s27, v48
	v_cndmask_b32_e64 v2, 0, v2, s1
	v_cmp_gt_i32_e64 s1, s27, v41
	v_cndmask_b32_e32 v65, 0, v65, vcc_lo
	v_cmp_gt_i32_e32 vcc_lo, s27, v47
	v_cndmask_b32_e64 v64, 0, v64, s1
	v_cndmask_b32_sdwa v4, v29, v4, vcc_lo dst_sel:DWORD dst_unused:UNUSED_PAD src0_sel:DWORD src1_sel:WORD_0
	v_cmp_gt_i32_e32 vcc_lo, s27, v39
	v_cndmask_b32_e32 v66, 0, v66, vcc_lo
	v_cmp_gt_i32_e32 vcc_lo, s27, v36
	v_or_b32_e32 v4, v4, v66
	v_cndmask_b32_e32 v3, 0, v3, vcc_lo
	v_cmp_gt_i32_e32 vcc_lo, s27, v35
	v_cndmask_b32_e32 v60, 0, v60, vcc_lo
.LBB113_53:                             ;   in Loop: Header=BB113_38 Depth=1
	s_or_b32 exec_lo, exec_lo, s14
	v_lshlrev_b32_e32 v65, 16, v65
	v_lshlrev_b32_e32 v64, 16, v64
	;; [unrolled: 1-line block ×3, first 2 shown]
	v_and_or_b32 v1, 0xffff, v1, v65
	v_and_or_b32 v2, 0xffff, v2, v64
	;; [unrolled: 1-line block ×3, first 2 shown]
	;;#ASMSTART
	v_pk_mul_f16 v1, v38, v1;

	;;#ASMEND
	;;#ASMSTART
	v_pk_mul_f16 v2, v37, v2;

	;;#ASMEND
	;; [unrolled: 4-line block ×4, first 2 shown]
	;;#ASMSTART
	v_pk_add_f16 v1, v1, v2;

	;;#ASMEND
	;;#ASMSTART
	v_pk_add_f16 v1, v1, v3;

	;;#ASMEND
	;; [unrolled: 4-line block ×3, first 2 shown]
	v_and_b32_e32 v2, 0xffff, v1
	v_lshrrev_b32_e32 v1, 16, v1
	;;#ASMSTART
	v_cvt_f32_f16 v60, v2;
	;;#ASMEND
	;;#ASMSTART
	v_cvt_f32_f16 v64, v1;
	;;#ASMEND
	global_load_dwordx4 v[1:4], v[9:10], off offset:1536
	s_waitcnt vmcnt(0)
	v_lshrrev_b32_e32 v65, 16, v1
	v_lshrrev_b32_e32 v10, 16, v2
	;; [unrolled: 1-line block ×3, first 2 shown]
	s_and_saveexec_b32 s14, s0
	s_cbranch_execz .LBB113_55
; %bb.54:                               ;   in Loop: Header=BB113_38 Depth=1
	v_cmp_gt_i32_e32 vcc_lo, s27, v46
	v_and_b32_e32 v66, 0xffff0000, v4
	v_cmp_gt_i32_e64 s1, s27, v42
	v_cndmask_b32_e32 v1, 0, v1, vcc_lo
	v_cmp_gt_i32_e32 vcc_lo, s27, v48
	v_cndmask_b32_e64 v2, 0, v2, s1
	v_cmp_gt_i32_e64 s1, s27, v41
	v_cndmask_b32_e32 v65, 0, v65, vcc_lo
	v_cmp_gt_i32_e32 vcc_lo, s27, v47
	v_cndmask_b32_e64 v10, 0, v10, s1
	v_cndmask_b32_sdwa v4, v29, v4, vcc_lo dst_sel:DWORD dst_unused:UNUSED_PAD src0_sel:DWORD src1_sel:WORD_0
	v_cmp_gt_i32_e32 vcc_lo, s27, v39
	v_cndmask_b32_e32 v66, 0, v66, vcc_lo
	v_cmp_gt_i32_e32 vcc_lo, s27, v36
	v_or_b32_e32 v4, v4, v66
	v_cndmask_b32_e32 v3, 0, v3, vcc_lo
	v_cmp_gt_i32_e32 vcc_lo, s27, v35
	v_cndmask_b32_e32 v9, 0, v9, vcc_lo
.LBB113_55:                             ;   in Loop: Header=BB113_38 Depth=1
	s_or_b32 exec_lo, exec_lo, s14
	v_lshlrev_b32_e32 v9, 16, v9
	v_lshlrev_b32_e32 v65, 16, v65
	;; [unrolled: 1-line block ×3, first 2 shown]
	v_and_or_b32 v3, 0xffff, v3, v9
	v_add_co_u32 v9, vcc_lo, 0x1000, v7
	v_and_or_b32 v1, 0xffff, v1, v65
	v_and_or_b32 v2, 0xffff, v2, v10
	;;#ASMSTART
	v_pk_mul_f16 v1, v38, v1;

	;;#ASMEND
	v_add_co_ci_u32_e64 v10, null, 0, v8, vcc_lo
	;;#ASMSTART
	v_pk_mul_f16 v2, v37, v2;

	;;#ASMEND
	;;#ASMSTART
	v_pk_mul_f16 v3, v44, v3;

	;;#ASMEND
	;; [unrolled: 4-line block ×3, first 2 shown]
	;;#ASMSTART
	v_pk_add_f16 v1, v1, v2;

	;;#ASMEND
	;;#ASMSTART
	v_pk_add_f16 v1, v1, v3;

	;;#ASMEND
	;; [unrolled: 4-line block ×3, first 2 shown]
	v_lshrrev_b32_e32 v2, 16, v1
	v_and_b32_e32 v1, 0xffff, v1
	;;#ASMSTART
	v_cvt_f32_f16 v65, v1;
	;;#ASMEND
	;;#ASMSTART
	v_cvt_f32_f16 v66, v2;
	;;#ASMEND
	global_load_dwordx4 v[1:4], v[9:10], off
	s_waitcnt vmcnt(0)
	v_lshrrev_b32_e32 v69, 16, v1
	v_lshrrev_b32_e32 v68, 16, v2
	;; [unrolled: 1-line block ×3, first 2 shown]
	s_and_saveexec_b32 s14, s0
	s_cbranch_execz .LBB113_57
; %bb.56:                               ;   in Loop: Header=BB113_38 Depth=1
	v_cmp_gt_i32_e32 vcc_lo, s27, v46
	v_and_b32_e32 v70, 0xffff0000, v4
	v_cmp_gt_i32_e64 s1, s27, v42
	v_cndmask_b32_e32 v1, 0, v1, vcc_lo
	v_cmp_gt_i32_e32 vcc_lo, s27, v48
	v_cndmask_b32_e64 v2, 0, v2, s1
	v_cmp_gt_i32_e64 s1, s27, v41
	v_cndmask_b32_e32 v69, 0, v69, vcc_lo
	v_cmp_gt_i32_e32 vcc_lo, s27, v47
	v_cndmask_b32_e64 v68, 0, v68, s1
	v_cndmask_b32_sdwa v4, v29, v4, vcc_lo dst_sel:DWORD dst_unused:UNUSED_PAD src0_sel:DWORD src1_sel:WORD_0
	v_cmp_gt_i32_e32 vcc_lo, s27, v39
	v_cndmask_b32_e32 v70, 0, v70, vcc_lo
	v_cmp_gt_i32_e32 vcc_lo, s27, v36
	v_or_b32_e32 v4, v4, v70
	v_cndmask_b32_e32 v3, 0, v3, vcc_lo
	v_cmp_gt_i32_e32 vcc_lo, s27, v35
	v_cndmask_b32_e32 v67, 0, v67, vcc_lo
.LBB113_57:                             ;   in Loop: Header=BB113_38 Depth=1
	s_or_b32 exec_lo, exec_lo, s14
	v_lshlrev_b32_e32 v69, 16, v69
	v_lshlrev_b32_e32 v68, 16, v68
	;; [unrolled: 1-line block ×3, first 2 shown]
	v_and_or_b32 v1, 0xffff, v1, v69
	v_and_or_b32 v2, 0xffff, v2, v68
	v_and_or_b32 v3, 0xffff, v3, v67
	;;#ASMSTART
	v_pk_mul_f16 v1, v38, v1;

	;;#ASMEND
	;;#ASMSTART
	v_pk_mul_f16 v2, v37, v2;

	;;#ASMEND
	;; [unrolled: 4-line block ×4, first 2 shown]
	;;#ASMSTART
	v_pk_add_f16 v1, v1, v2;

	;;#ASMEND
	;;#ASMSTART
	v_pk_add_f16 v1, v1, v3;

	;;#ASMEND
	;; [unrolled: 4-line block ×3, first 2 shown]
	v_and_b32_e32 v2, 0xffff, v1
	v_lshrrev_b32_e32 v1, 16, v1
	;;#ASMSTART
	v_cvt_f32_f16 v67, v2;
	;;#ASMEND
	;;#ASMSTART
	v_cvt_f32_f16 v68, v1;
	;;#ASMEND
	global_load_dwordx4 v[1:4], v[9:10], off offset:512
	s_waitcnt vmcnt(0)
	v_lshrrev_b32_e32 v71, 16, v1
	v_lshrrev_b32_e32 v70, 16, v2
	;; [unrolled: 1-line block ×3, first 2 shown]
	s_and_saveexec_b32 s14, s0
	s_cbranch_execz .LBB113_59
; %bb.58:                               ;   in Loop: Header=BB113_38 Depth=1
	v_cmp_gt_i32_e32 vcc_lo, s27, v46
	v_and_b32_e32 v72, 0xffff0000, v4
	v_cmp_gt_i32_e64 s1, s27, v42
	v_cndmask_b32_e32 v1, 0, v1, vcc_lo
	v_cmp_gt_i32_e32 vcc_lo, s27, v48
	v_cndmask_b32_e64 v2, 0, v2, s1
	v_cmp_gt_i32_e64 s1, s27, v41
	v_cndmask_b32_e32 v71, 0, v71, vcc_lo
	v_cmp_gt_i32_e32 vcc_lo, s27, v47
	v_cndmask_b32_e64 v70, 0, v70, s1
	v_cndmask_b32_sdwa v4, v29, v4, vcc_lo dst_sel:DWORD dst_unused:UNUSED_PAD src0_sel:DWORD src1_sel:WORD_0
	v_cmp_gt_i32_e32 vcc_lo, s27, v39
	v_cndmask_b32_e32 v72, 0, v72, vcc_lo
	v_cmp_gt_i32_e32 vcc_lo, s27, v36
	v_or_b32_e32 v4, v4, v72
	v_cndmask_b32_e32 v3, 0, v3, vcc_lo
	v_cmp_gt_i32_e32 vcc_lo, s27, v35
	v_cndmask_b32_e32 v69, 0, v69, vcc_lo
.LBB113_59:                             ;   in Loop: Header=BB113_38 Depth=1
	s_or_b32 exec_lo, exec_lo, s14
	v_lshlrev_b32_e32 v71, 16, v71
	v_lshlrev_b32_e32 v70, 16, v70
	;; [unrolled: 1-line block ×3, first 2 shown]
	v_and_or_b32 v1, 0xffff, v1, v71
	v_and_or_b32 v2, 0xffff, v2, v70
	;; [unrolled: 1-line block ×3, first 2 shown]
	;;#ASMSTART
	v_pk_mul_f16 v1, v38, v1;

	;;#ASMEND
	;;#ASMSTART
	v_pk_mul_f16 v2, v37, v2;

	;;#ASMEND
	;; [unrolled: 4-line block ×4, first 2 shown]
	;;#ASMSTART
	v_pk_add_f16 v1, v1, v2;

	;;#ASMEND
	;;#ASMSTART
	v_pk_add_f16 v1, v1, v3;

	;;#ASMEND
	;; [unrolled: 4-line block ×3, first 2 shown]
	v_and_b32_e32 v2, 0xffff, v1
	v_lshrrev_b32_e32 v1, 16, v1
	;;#ASMSTART
	v_cvt_f32_f16 v69, v2;
	;;#ASMEND
	;;#ASMSTART
	v_cvt_f32_f16 v70, v1;
	;;#ASMEND
	global_load_dwordx4 v[1:4], v[9:10], off offset:1024
	s_waitcnt vmcnt(0)
	v_lshrrev_b32_e32 v73, 16, v1
	v_lshrrev_b32_e32 v72, 16, v2
	;; [unrolled: 1-line block ×3, first 2 shown]
	s_and_saveexec_b32 s14, s0
	s_cbranch_execz .LBB113_61
; %bb.60:                               ;   in Loop: Header=BB113_38 Depth=1
	v_cmp_gt_i32_e32 vcc_lo, s27, v46
	v_and_b32_e32 v74, 0xffff0000, v4
	v_cmp_gt_i32_e64 s1, s27, v42
	v_cndmask_b32_e32 v1, 0, v1, vcc_lo
	v_cmp_gt_i32_e32 vcc_lo, s27, v48
	v_cndmask_b32_e64 v2, 0, v2, s1
	v_cmp_gt_i32_e64 s1, s27, v41
	v_cndmask_b32_e32 v73, 0, v73, vcc_lo
	v_cmp_gt_i32_e32 vcc_lo, s27, v47
	v_cndmask_b32_e64 v72, 0, v72, s1
	v_cndmask_b32_sdwa v4, v29, v4, vcc_lo dst_sel:DWORD dst_unused:UNUSED_PAD src0_sel:DWORD src1_sel:WORD_0
	v_cmp_gt_i32_e32 vcc_lo, s27, v39
	v_cndmask_b32_e32 v74, 0, v74, vcc_lo
	v_cmp_gt_i32_e32 vcc_lo, s27, v36
	v_or_b32_e32 v4, v4, v74
	v_cndmask_b32_e32 v3, 0, v3, vcc_lo
	v_cmp_gt_i32_e32 vcc_lo, s27, v35
	v_cndmask_b32_e32 v71, 0, v71, vcc_lo
.LBB113_61:                             ;   in Loop: Header=BB113_38 Depth=1
	s_or_b32 exec_lo, exec_lo, s14
	v_lshlrev_b32_e32 v73, 16, v73
	v_lshlrev_b32_e32 v72, 16, v72
	;; [unrolled: 1-line block ×3, first 2 shown]
	v_and_or_b32 v1, 0xffff, v1, v73
	v_and_or_b32 v2, 0xffff, v2, v72
	;; [unrolled: 1-line block ×3, first 2 shown]
	;;#ASMSTART
	v_pk_mul_f16 v1, v38, v1;

	;;#ASMEND
	;;#ASMSTART
	v_pk_mul_f16 v2, v37, v2;

	;;#ASMEND
	;; [unrolled: 4-line block ×4, first 2 shown]
	;;#ASMSTART
	v_pk_add_f16 v1, v1, v2;

	;;#ASMEND
	;;#ASMSTART
	v_pk_add_f16 v1, v1, v3;

	;;#ASMEND
	;; [unrolled: 4-line block ×3, first 2 shown]
	v_and_b32_e32 v2, 0xffff, v1
	v_lshrrev_b32_e32 v1, 16, v1
	;;#ASMSTART
	v_cvt_f32_f16 v71, v2;
	;;#ASMEND
	;;#ASMSTART
	v_cvt_f32_f16 v72, v1;
	;;#ASMEND
	global_load_dwordx4 v[1:4], v[9:10], off offset:1536
	s_waitcnt vmcnt(0)
	v_lshrrev_b32_e32 v73, 16, v1
	v_lshrrev_b32_e32 v10, 16, v2
	;; [unrolled: 1-line block ×3, first 2 shown]
	s_and_saveexec_b32 s14, s0
	s_cbranch_execz .LBB113_63
; %bb.62:                               ;   in Loop: Header=BB113_38 Depth=1
	v_cmp_gt_i32_e32 vcc_lo, s27, v46
	v_and_b32_e32 v74, 0xffff0000, v4
	v_cmp_gt_i32_e64 s1, s27, v42
	v_cndmask_b32_e32 v1, 0, v1, vcc_lo
	v_cmp_gt_i32_e32 vcc_lo, s27, v48
	v_cndmask_b32_e64 v2, 0, v2, s1
	v_cmp_gt_i32_e64 s1, s27, v41
	v_cndmask_b32_e32 v73, 0, v73, vcc_lo
	v_cmp_gt_i32_e32 vcc_lo, s27, v47
	v_cndmask_b32_e64 v10, 0, v10, s1
	v_cndmask_b32_sdwa v4, v29, v4, vcc_lo dst_sel:DWORD dst_unused:UNUSED_PAD src0_sel:DWORD src1_sel:WORD_0
	v_cmp_gt_i32_e32 vcc_lo, s27, v39
	v_cndmask_b32_e32 v74, 0, v74, vcc_lo
	v_cmp_gt_i32_e32 vcc_lo, s27, v36
	v_or_b32_e32 v4, v4, v74
	v_cndmask_b32_e32 v3, 0, v3, vcc_lo
	v_cmp_gt_i32_e32 vcc_lo, s27, v35
	v_cndmask_b32_e32 v9, 0, v9, vcc_lo
.LBB113_63:                             ;   in Loop: Header=BB113_38 Depth=1
	s_or_b32 exec_lo, exec_lo, s14
	v_lshlrev_b32_e32 v73, 16, v73
	v_lshlrev_b32_e32 v10, 16, v10
	;; [unrolled: 1-line block ×3, first 2 shown]
	v_add_co_u32 v7, vcc_lo, 0x1800, v7
	v_and_or_b32 v1, 0xffff, v1, v73
	v_and_or_b32 v2, 0xffff, v2, v10
	;; [unrolled: 1-line block ×3, first 2 shown]
	;;#ASMSTART
	v_pk_mul_f16 v1, v38, v1;

	;;#ASMEND
	v_add_co_ci_u32_e64 v8, null, 0, v8, vcc_lo
	;;#ASMSTART
	v_pk_mul_f16 v2, v37, v2;

	;;#ASMEND
	;;#ASMSTART
	v_pk_mul_f16 v3, v44, v3;

	;;#ASMEND
	;; [unrolled: 4-line block ×3, first 2 shown]
	;;#ASMSTART
	v_pk_add_f16 v1, v1, v2;

	;;#ASMEND
	;;#ASMSTART
	v_pk_add_f16 v1, v1, v3;

	;;#ASMEND
	;; [unrolled: 4-line block ×3, first 2 shown]
	v_lshrrev_b32_e32 v2, 16, v1
	v_and_b32_e32 v1, 0xffff, v1
	;;#ASMSTART
	v_cvt_f32_f16 v9, v1;
	;;#ASMEND
	;;#ASMSTART
	v_cvt_f32_f16 v10, v2;
	;;#ASMEND
	global_load_dwordx4 v[1:4], v[7:8], off
	s_waitcnt vmcnt(0)
	v_lshrrev_b32_e32 v75, 16, v1
	v_lshrrev_b32_e32 v74, 16, v2
	;; [unrolled: 1-line block ×3, first 2 shown]
	s_and_saveexec_b32 s14, s0
	s_cbranch_execz .LBB113_65
; %bb.64:                               ;   in Loop: Header=BB113_38 Depth=1
	v_cmp_gt_i32_e32 vcc_lo, s27, v46
	v_and_b32_e32 v76, 0xffff0000, v4
	v_cmp_gt_i32_e64 s1, s27, v42
	v_cndmask_b32_e32 v1, 0, v1, vcc_lo
	v_cmp_gt_i32_e32 vcc_lo, s27, v48
	v_cndmask_b32_e64 v2, 0, v2, s1
	v_cmp_gt_i32_e64 s1, s27, v41
	v_cndmask_b32_e32 v75, 0, v75, vcc_lo
	v_cmp_gt_i32_e32 vcc_lo, s27, v47
	v_cndmask_b32_e64 v74, 0, v74, s1
	v_cndmask_b32_sdwa v4, v29, v4, vcc_lo dst_sel:DWORD dst_unused:UNUSED_PAD src0_sel:DWORD src1_sel:WORD_0
	v_cmp_gt_i32_e32 vcc_lo, s27, v39
	v_cndmask_b32_e32 v76, 0, v76, vcc_lo
	v_cmp_gt_i32_e32 vcc_lo, s27, v36
	v_or_b32_e32 v4, v4, v76
	v_cndmask_b32_e32 v3, 0, v3, vcc_lo
	v_cmp_gt_i32_e32 vcc_lo, s27, v35
	v_cndmask_b32_e32 v73, 0, v73, vcc_lo
.LBB113_65:                             ;   in Loop: Header=BB113_38 Depth=1
	s_or_b32 exec_lo, exec_lo, s14
	v_lshlrev_b32_e32 v75, 16, v75
	v_lshlrev_b32_e32 v74, 16, v74
	;; [unrolled: 1-line block ×3, first 2 shown]
	v_and_or_b32 v1, 0xffff, v1, v75
	v_and_or_b32 v2, 0xffff, v2, v74
	;; [unrolled: 1-line block ×3, first 2 shown]
	;;#ASMSTART
	v_pk_mul_f16 v1, v38, v1;

	;;#ASMEND
	;;#ASMSTART
	v_pk_mul_f16 v2, v37, v2;

	;;#ASMEND
	;; [unrolled: 4-line block ×4, first 2 shown]
	;;#ASMSTART
	v_pk_add_f16 v1, v1, v2;

	;;#ASMEND
	;;#ASMSTART
	v_pk_add_f16 v1, v1, v3;

	;;#ASMEND
	;; [unrolled: 4-line block ×3, first 2 shown]
	v_and_b32_e32 v2, 0xffff, v1
	v_lshrrev_b32_e32 v1, 16, v1
	;;#ASMSTART
	v_cvt_f32_f16 v73, v2;
	;;#ASMEND
	;;#ASMSTART
	v_cvt_f32_f16 v74, v1;
	;;#ASMEND
	global_load_dwordx4 v[1:4], v[7:8], off offset:512
	s_waitcnt vmcnt(0)
	v_lshrrev_b32_e32 v77, 16, v1
	v_lshrrev_b32_e32 v76, 16, v2
	;; [unrolled: 1-line block ×3, first 2 shown]
	s_and_saveexec_b32 s14, s0
	s_cbranch_execz .LBB113_67
; %bb.66:                               ;   in Loop: Header=BB113_38 Depth=1
	v_cmp_gt_i32_e32 vcc_lo, s27, v46
	v_and_b32_e32 v78, 0xffff0000, v4
	v_cmp_gt_i32_e64 s1, s27, v42
	v_cndmask_b32_e32 v1, 0, v1, vcc_lo
	v_cmp_gt_i32_e32 vcc_lo, s27, v48
	v_cndmask_b32_e64 v2, 0, v2, s1
	v_cmp_gt_i32_e64 s1, s27, v41
	v_cndmask_b32_e32 v77, 0, v77, vcc_lo
	v_cmp_gt_i32_e32 vcc_lo, s27, v47
	v_cndmask_b32_e64 v76, 0, v76, s1
	v_cndmask_b32_sdwa v4, v29, v4, vcc_lo dst_sel:DWORD dst_unused:UNUSED_PAD src0_sel:DWORD src1_sel:WORD_0
	v_cmp_gt_i32_e32 vcc_lo, s27, v39
	v_cndmask_b32_e32 v78, 0, v78, vcc_lo
	v_cmp_gt_i32_e32 vcc_lo, s27, v36
	v_or_b32_e32 v4, v4, v78
	v_cndmask_b32_e32 v3, 0, v3, vcc_lo
	v_cmp_gt_i32_e32 vcc_lo, s27, v35
	v_cndmask_b32_e32 v75, 0, v75, vcc_lo
.LBB113_67:                             ;   in Loop: Header=BB113_38 Depth=1
	s_or_b32 exec_lo, exec_lo, s14
	v_lshlrev_b32_e32 v77, 16, v77
	v_lshlrev_b32_e32 v76, 16, v76
	;; [unrolled: 1-line block ×3, first 2 shown]
	v_and_or_b32 v1, 0xffff, v1, v77
	v_and_or_b32 v2, 0xffff, v2, v76
	;; [unrolled: 1-line block ×3, first 2 shown]
	;;#ASMSTART
	v_pk_mul_f16 v1, v38, v1;

	;;#ASMEND
	;;#ASMSTART
	v_pk_mul_f16 v2, v37, v2;

	;;#ASMEND
	;; [unrolled: 4-line block ×4, first 2 shown]
	;;#ASMSTART
	v_pk_add_f16 v1, v1, v2;

	;;#ASMEND
	;;#ASMSTART
	v_pk_add_f16 v1, v1, v3;

	;;#ASMEND
	;; [unrolled: 4-line block ×3, first 2 shown]
	v_and_b32_e32 v2, 0xffff, v1
	v_lshrrev_b32_e32 v1, 16, v1
	;;#ASMSTART
	v_cvt_f32_f16 v76, v2;
	;;#ASMEND
	;;#ASMSTART
	v_cvt_f32_f16 v77, v1;
	;;#ASMEND
	global_load_dwordx4 v[1:4], v[7:8], off offset:1024
	s_waitcnt vmcnt(0)
	v_lshrrev_b32_e32 v75, 16, v1
	v_lshrrev_b32_e32 v8, 16, v2
	;; [unrolled: 1-line block ×3, first 2 shown]
	s_and_saveexec_b32 s1, s0
	s_cbranch_execz .LBB113_36
; %bb.68:                               ;   in Loop: Header=BB113_38 Depth=1
	v_cmp_gt_i32_e32 vcc_lo, s27, v46
	v_cmp_gt_i32_e64 s0, s27, v42
	v_cndmask_b32_e32 v1, 0, v1, vcc_lo
	v_cmp_gt_i32_e32 vcc_lo, s27, v48
	v_cndmask_b32_e64 v2, 0, v2, s0
	v_cmp_gt_i32_e64 s0, s27, v41
	v_and_b32_e32 v41, 0xffff0000, v4
	v_cndmask_b32_e32 v75, 0, v75, vcc_lo
	v_cmp_gt_i32_e32 vcc_lo, s27, v47
	v_cndmask_b32_e64 v8, 0, v8, s0
	v_cndmask_b32_sdwa v4, v29, v4, vcc_lo dst_sel:DWORD dst_unused:UNUSED_PAD src0_sel:DWORD src1_sel:WORD_0
	v_cmp_gt_i32_e32 vcc_lo, s27, v39
	v_cndmask_b32_e32 v39, 0, v41, vcc_lo
	v_cmp_gt_i32_e32 vcc_lo, s27, v36
	v_or_b32_e32 v4, v4, v39
	v_cndmask_b32_e32 v3, 0, v3, vcc_lo
	v_cmp_gt_i32_e32 vcc_lo, s27, v35
	v_cndmask_b32_e32 v7, 0, v7, vcc_lo
	s_branch .LBB113_36
.LBB113_69:
	s_or_b32 exec_lo, exec_lo, s6
.LBB113_70:
	s_or_b32 exec_lo, exec_lo, s3
	ds_bpermute_b32 v2, v12, v27
	ds_bpermute_b32 v30, v12, v17
	;; [unrolled: 1-line block ×15, first 2 shown]
	s_mov_b32 s0, exec_lo
	s_waitcnt lgkmcnt(0)
	s_waitcnt_vscnt null, 0x0
	s_barrier
	buffer_gl0_inv
	v_add_f32_e32 v2, v27, v2
	v_add_f32_e32 v17, v17, v30
	;; [unrolled: 1-line block ×8, first 2 shown]
	ds_bpermute_b32 v23, v11, v2
	v_add_f32_e32 v8, v21, v8
	v_add_f32_e32 v20, v20, v9
	;; [unrolled: 1-line block ×6, first 2 shown]
	ds_bpermute_b32 v33, v11, v17
	v_add_f32_e32 v34, v14, v12
	ds_bpermute_b32 v22, v11, v1
	ds_bpermute_b32 v24, v11, v3
	;; [unrolled: 1-line block ×13, first 2 shown]
	s_waitcnt lgkmcnt(14)
	v_add_f32_e32 v15, v2, v23
	s_waitcnt lgkmcnt(13)
	v_add_f32_e32 v2, v17, v33
	v_and_b32_e32 v17, 28, v62
	s_waitcnt lgkmcnt(12)
	v_add_f32_e32 v16, v1, v22
	s_waitcnt lgkmcnt(11)
	v_add_f32_e32 v14, v3, v24
	;; [unrolled: 2-line block ×12, first 2 shown]
	v_and_b32_e32 v20, 0x3c3, v0
	s_waitcnt lgkmcnt(0)
	v_add_f32_e32 v5, v34, v37
	v_lshrrev_b32_e32 v18, 2, v62
	v_add_nc_u32_e32 v17, 0x110, v17
	v_mul_u32_u24_e32 v19, 0x1e0, v61
	v_cmpx_eq_u32_e32 64, v20
	s_cbranch_execz .LBB113_72
; %bb.71:
	v_add_nc_u32_e32 v20, v17, v19
	v_add_nc_u32_e32 v21, 0xfffffc40, v20
	;; [unrolled: 1-line block ×6, first 2 shown]
	ds_write_b32 v21, v16
	ds_write_b32 v22, v15
	ds_write_b32 v23, v14
	ds_write_b32 v24, v12
	ds_write_b32 v25, v11
	v_add_nc_u32_e32 v21, 0xfffffce0, v20
	v_add_nc_u32_e32 v22, 0xfffffd00, v20
	;; [unrolled: 1-line block ×5, first 2 shown]
	ds_write_b32 v21, v10
	ds_write_b32 v22, v9
	;; [unrolled: 1-line block ×5, first 2 shown]
	v_add_nc_u32_e32 v21, 0xfffffd80, v20
	v_add_nc_u32_e32 v22, 0xfffffda0, v20
	;; [unrolled: 1-line block ×5, first 2 shown]
	ds_write_b32 v21, v3
	ds_write_b32 v22, v2
	ds_write_b32 v23, v1
	ds_write_b32 v24, v4
	ds_write_b32 v20, v5
.LBB113_72:
	s_or_b32 exec_lo, exec_lo, s0
	v_lshlrev_b32_e32 v18, 2, v18
	v_cmp_eq_u32_e32 vcc_lo, 0, v13
	s_mov_b32 s1, exec_lo
	s_waitcnt lgkmcnt(0)
	s_barrier
	v_add3_u32 v13, 0x110, v19, v18
	buffer_gl0_inv
	v_cmpx_gt_u32_e32 64, v0
	s_cbranch_execz .LBB113_90
; %bb.73:
	s_and_saveexec_b32 s0, vcc_lo
	s_cbranch_execnz .LBB113_113
; %bb.74:
	s_or_b32 exec_lo, exec_lo, s0
	s_and_saveexec_b32 s0, vcc_lo
	s_cbranch_execnz .LBB113_114
.LBB113_75:
	s_or_b32 exec_lo, exec_lo, s0
	s_and_saveexec_b32 s0, vcc_lo
	s_cbranch_execnz .LBB113_115
.LBB113_76:
	s_or_b32 exec_lo, exec_lo, s0
	s_and_saveexec_b32 s0, vcc_lo
	s_cbranch_execnz .LBB113_116
.LBB113_77:
	s_or_b32 exec_lo, exec_lo, s0
	s_and_saveexec_b32 s0, vcc_lo
	s_cbranch_execnz .LBB113_117
.LBB113_78:
	s_or_b32 exec_lo, exec_lo, s0
	s_and_saveexec_b32 s0, vcc_lo
	s_cbranch_execnz .LBB113_118
.LBB113_79:
	s_or_b32 exec_lo, exec_lo, s0
	s_and_saveexec_b32 s0, vcc_lo
	s_cbranch_execnz .LBB113_119
.LBB113_80:
	s_or_b32 exec_lo, exec_lo, s0
	s_and_saveexec_b32 s0, vcc_lo
	s_cbranch_execnz .LBB113_120
.LBB113_81:
	s_or_b32 exec_lo, exec_lo, s0
	s_and_saveexec_b32 s0, vcc_lo
	s_cbranch_execnz .LBB113_121
.LBB113_82:
	s_or_b32 exec_lo, exec_lo, s0
	s_and_saveexec_b32 s0, vcc_lo
	s_cbranch_execnz .LBB113_122
.LBB113_83:
	s_or_b32 exec_lo, exec_lo, s0
	s_and_saveexec_b32 s0, vcc_lo
	s_cbranch_execnz .LBB113_123
.LBB113_84:
	s_or_b32 exec_lo, exec_lo, s0
	s_and_saveexec_b32 s0, vcc_lo
	s_cbranch_execnz .LBB113_124
.LBB113_85:
	s_or_b32 exec_lo, exec_lo, s0
	s_and_saveexec_b32 s0, vcc_lo
	s_cbranch_execnz .LBB113_125
.LBB113_86:
	s_or_b32 exec_lo, exec_lo, s0
	s_and_saveexec_b32 s0, vcc_lo
	s_cbranch_execnz .LBB113_126
.LBB113_87:
	s_or_b32 exec_lo, exec_lo, s0
	s_and_saveexec_b32 s0, vcc_lo
	s_cbranch_execz .LBB113_89
.LBB113_88:
	ds_read_b32 v18, v13 offset:448
	s_waitcnt lgkmcnt(0)
	v_add_f32_e32 v5, v5, v18
.LBB113_89:
	s_or_b32 exec_lo, exec_lo, s0
.LBB113_90:
	s_or_b32 exec_lo, exec_lo, s1
	v_and_b32_e32 v18, 0x3e3, v0
	s_mov_b32 s1, exec_lo
	s_barrier
	buffer_gl0_inv
	v_cmpx_eq_u32_e32 32, v18
	s_cbranch_execz .LBB113_92
; %bb.91:
	ds_write2_b32 v17, v16, v15 offset1:8
	ds_write2_b32 v17, v14, v12 offset0:16 offset1:24
	ds_write2_b32 v17, v11, v10 offset0:32 offset1:40
	;; [unrolled: 1-line block ×6, first 2 shown]
	ds_write_b32 v17, v5 offset:448
.LBB113_92:
	s_or_b32 exec_lo, exec_lo, s1
	s_mov_b32 s1, exec_lo
	s_waitcnt lgkmcnt(0)
	s_barrier
	buffer_gl0_inv
	v_cmpx_gt_u32_e32 32, v0
	s_cbranch_execz .LBB113_110
; %bb.93:
	s_and_saveexec_b32 s0, vcc_lo
	s_cbranch_execnz .LBB113_127
; %bb.94:
	s_or_b32 exec_lo, exec_lo, s0
	s_and_saveexec_b32 s0, vcc_lo
	s_cbranch_execnz .LBB113_128
.LBB113_95:
	s_or_b32 exec_lo, exec_lo, s0
	s_and_saveexec_b32 s0, vcc_lo
	s_cbranch_execnz .LBB113_129
.LBB113_96:
	s_or_b32 exec_lo, exec_lo, s0
	s_and_saveexec_b32 s0, vcc_lo
	s_cbranch_execnz .LBB113_130
.LBB113_97:
	s_or_b32 exec_lo, exec_lo, s0
	s_and_saveexec_b32 s0, vcc_lo
	s_cbranch_execnz .LBB113_131
.LBB113_98:
	s_or_b32 exec_lo, exec_lo, s0
	s_and_saveexec_b32 s0, vcc_lo
	s_cbranch_execnz .LBB113_132
.LBB113_99:
	s_or_b32 exec_lo, exec_lo, s0
	s_and_saveexec_b32 s0, vcc_lo
	s_cbranch_execnz .LBB113_133
.LBB113_100:
	s_or_b32 exec_lo, exec_lo, s0
	s_and_saveexec_b32 s0, vcc_lo
	s_cbranch_execnz .LBB113_134
.LBB113_101:
	s_or_b32 exec_lo, exec_lo, s0
	s_and_saveexec_b32 s0, vcc_lo
	s_cbranch_execnz .LBB113_135
.LBB113_102:
	s_or_b32 exec_lo, exec_lo, s0
	s_and_saveexec_b32 s0, vcc_lo
	s_cbranch_execnz .LBB113_136
.LBB113_103:
	s_or_b32 exec_lo, exec_lo, s0
	s_and_saveexec_b32 s0, vcc_lo
	s_cbranch_execnz .LBB113_137
.LBB113_104:
	s_or_b32 exec_lo, exec_lo, s0
	s_and_saveexec_b32 s0, vcc_lo
	s_cbranch_execnz .LBB113_138
.LBB113_105:
	s_or_b32 exec_lo, exec_lo, s0
	s_and_saveexec_b32 s0, vcc_lo
	s_cbranch_execnz .LBB113_139
.LBB113_106:
	s_or_b32 exec_lo, exec_lo, s0
	s_and_saveexec_b32 s0, vcc_lo
	s_cbranch_execnz .LBB113_140
.LBB113_107:
	s_or_b32 exec_lo, exec_lo, s0
	s_and_saveexec_b32 s0, vcc_lo
	s_cbranch_execz .LBB113_109
.LBB113_108:
	ds_read_b32 v13, v13 offset:448
	s_waitcnt lgkmcnt(0)
	v_add_f32_e32 v5, v5, v13
.LBB113_109:
	s_or_b32 exec_lo, exec_lo, s0
.LBB113_110:
	s_or_b32 exec_lo, exec_lo, s1
	s_barrier
	buffer_gl0_inv
	s_mov_b32 s0, exec_lo
	v_cmpx_eq_u32_e32 0, v18
	s_cbranch_execz .LBB113_112
; %bb.111:
	s_mul_i32 s0, s2, 0x78
	s_mul_i32 s2, s7, s10
	s_ashr_i32 s1, s0, 31
	v_lshrrev_b32_e32 v0, 1, v0
	s_lshl_b64 s[0:1], s[0:1], 1
	;;#ASMSTART
	v_cvt_f16_f32 v13, v16;

	;;#ASMEND
	s_add_u32 s4, s24, s0
	s_addc_u32 s5, s25, s1
	s_ashr_i32 s3, s2, 31
	s_lshl_b64 s[0:1], s[2:3], 1
	s_mul_i32 s2, s8, 0x78
	s_add_u32 s4, s4, s0
	s_addc_u32 s5, s5, s1
	s_ashr_i32 s3, s2, 31
	s_lshl_b64 s[0:1], s[2:3], 1
	s_add_u32 s0, s4, s0
	s_addc_u32 s1, s5, s1
	global_store_short v0, v13, s[0:1]
	;;#ASMSTART
	v_cvt_f16_f32 v13, v15;

	;;#ASMEND
	global_store_short v0, v13, s[0:1] offset:16
	;;#ASMSTART
	v_cvt_f16_f32 v13, v14;

	;;#ASMEND
	global_store_short v0, v13, s[0:1] offset:32
	;; [unrolled: 5-line block ×14, first 2 shown]
.LBB113_112:
	s_endpgm
.LBB113_113:
	ds_read_b32 v18, v13
	s_waitcnt lgkmcnt(0)
	v_add_f32_e32 v16, v16, v18
	s_or_b32 exec_lo, exec_lo, s0
	s_and_saveexec_b32 s0, vcc_lo
	s_cbranch_execz .LBB113_75
.LBB113_114:
	ds_read_b32 v18, v13 offset:32
	s_waitcnt lgkmcnt(0)
	v_add_f32_e32 v15, v15, v18
	s_or_b32 exec_lo, exec_lo, s0
	s_and_saveexec_b32 s0, vcc_lo
	s_cbranch_execz .LBB113_76
.LBB113_115:
	ds_read_b32 v18, v13 offset:64
	s_waitcnt lgkmcnt(0)
	v_add_f32_e32 v14, v14, v18
	s_or_b32 exec_lo, exec_lo, s0
	s_and_saveexec_b32 s0, vcc_lo
	s_cbranch_execz .LBB113_77
.LBB113_116:
	ds_read_b32 v18, v13 offset:96
	s_waitcnt lgkmcnt(0)
	v_add_f32_e32 v12, v12, v18
	s_or_b32 exec_lo, exec_lo, s0
	s_and_saveexec_b32 s0, vcc_lo
	s_cbranch_execz .LBB113_78
.LBB113_117:
	ds_read_b32 v18, v13 offset:128
	s_waitcnt lgkmcnt(0)
	v_add_f32_e32 v11, v11, v18
	s_or_b32 exec_lo, exec_lo, s0
	s_and_saveexec_b32 s0, vcc_lo
	s_cbranch_execz .LBB113_79
.LBB113_118:
	ds_read_b32 v18, v13 offset:160
	s_waitcnt lgkmcnt(0)
	v_add_f32_e32 v10, v10, v18
	s_or_b32 exec_lo, exec_lo, s0
	s_and_saveexec_b32 s0, vcc_lo
	s_cbranch_execz .LBB113_80
.LBB113_119:
	ds_read_b32 v18, v13 offset:192
	s_waitcnt lgkmcnt(0)
	v_add_f32_e32 v9, v9, v18
	s_or_b32 exec_lo, exec_lo, s0
	s_and_saveexec_b32 s0, vcc_lo
	s_cbranch_execz .LBB113_81
.LBB113_120:
	ds_read_b32 v18, v13 offset:224
	s_waitcnt lgkmcnt(0)
	v_add_f32_e32 v8, v8, v18
	s_or_b32 exec_lo, exec_lo, s0
	s_and_saveexec_b32 s0, vcc_lo
	s_cbranch_execz .LBB113_82
.LBB113_121:
	ds_read_b32 v18, v13 offset:256
	s_waitcnt lgkmcnt(0)
	v_add_f32_e32 v7, v7, v18
	s_or_b32 exec_lo, exec_lo, s0
	s_and_saveexec_b32 s0, vcc_lo
	s_cbranch_execz .LBB113_83
.LBB113_122:
	ds_read_b32 v18, v13 offset:288
	s_waitcnt lgkmcnt(0)
	v_add_f32_e32 v6, v6, v18
	s_or_b32 exec_lo, exec_lo, s0
	s_and_saveexec_b32 s0, vcc_lo
	s_cbranch_execz .LBB113_84
.LBB113_123:
	ds_read_b32 v18, v13 offset:320
	s_waitcnt lgkmcnt(0)
	v_add_f32_e32 v3, v3, v18
	s_or_b32 exec_lo, exec_lo, s0
	s_and_saveexec_b32 s0, vcc_lo
	s_cbranch_execz .LBB113_85
.LBB113_124:
	ds_read_b32 v18, v13 offset:352
	s_waitcnt lgkmcnt(0)
	v_add_f32_e32 v2, v2, v18
	s_or_b32 exec_lo, exec_lo, s0
	s_and_saveexec_b32 s0, vcc_lo
	s_cbranch_execz .LBB113_86
.LBB113_125:
	ds_read_b32 v18, v13 offset:384
	s_waitcnt lgkmcnt(0)
	v_add_f32_e32 v1, v1, v18
	s_or_b32 exec_lo, exec_lo, s0
	s_and_saveexec_b32 s0, vcc_lo
	s_cbranch_execz .LBB113_87
.LBB113_126:
	ds_read_b32 v18, v13 offset:416
	s_waitcnt lgkmcnt(0)
	v_add_f32_e32 v4, v4, v18
	s_or_b32 exec_lo, exec_lo, s0
	s_and_saveexec_b32 s0, vcc_lo
	s_cbranch_execnz .LBB113_88
	s_branch .LBB113_89
.LBB113_127:
	ds_read_b32 v17, v13
	s_waitcnt lgkmcnt(0)
	v_add_f32_e32 v16, v16, v17
	s_or_b32 exec_lo, exec_lo, s0
	s_and_saveexec_b32 s0, vcc_lo
	s_cbranch_execz .LBB113_95
.LBB113_128:
	ds_read_b32 v17, v13 offset:32
	s_waitcnt lgkmcnt(0)
	v_add_f32_e32 v15, v15, v17
	s_or_b32 exec_lo, exec_lo, s0
	s_and_saveexec_b32 s0, vcc_lo
	s_cbranch_execz .LBB113_96
.LBB113_129:
	ds_read_b32 v17, v13 offset:64
	s_waitcnt lgkmcnt(0)
	v_add_f32_e32 v14, v14, v17
	s_or_b32 exec_lo, exec_lo, s0
	s_and_saveexec_b32 s0, vcc_lo
	s_cbranch_execz .LBB113_97
.LBB113_130:
	ds_read_b32 v17, v13 offset:96
	s_waitcnt lgkmcnt(0)
	v_add_f32_e32 v12, v12, v17
	s_or_b32 exec_lo, exec_lo, s0
	s_and_saveexec_b32 s0, vcc_lo
	s_cbranch_execz .LBB113_98
.LBB113_131:
	ds_read_b32 v17, v13 offset:128
	s_waitcnt lgkmcnt(0)
	v_add_f32_e32 v11, v11, v17
	s_or_b32 exec_lo, exec_lo, s0
	s_and_saveexec_b32 s0, vcc_lo
	s_cbranch_execz .LBB113_99
.LBB113_132:
	ds_read_b32 v17, v13 offset:160
	s_waitcnt lgkmcnt(0)
	v_add_f32_e32 v10, v10, v17
	s_or_b32 exec_lo, exec_lo, s0
	s_and_saveexec_b32 s0, vcc_lo
	s_cbranch_execz .LBB113_100
.LBB113_133:
	ds_read_b32 v17, v13 offset:192
	s_waitcnt lgkmcnt(0)
	v_add_f32_e32 v9, v9, v17
	s_or_b32 exec_lo, exec_lo, s0
	s_and_saveexec_b32 s0, vcc_lo
	s_cbranch_execz .LBB113_101
.LBB113_134:
	ds_read_b32 v17, v13 offset:224
	s_waitcnt lgkmcnt(0)
	v_add_f32_e32 v8, v8, v17
	s_or_b32 exec_lo, exec_lo, s0
	s_and_saveexec_b32 s0, vcc_lo
	s_cbranch_execz .LBB113_102
.LBB113_135:
	ds_read_b32 v17, v13 offset:256
	s_waitcnt lgkmcnt(0)
	v_add_f32_e32 v7, v7, v17
	s_or_b32 exec_lo, exec_lo, s0
	s_and_saveexec_b32 s0, vcc_lo
	s_cbranch_execz .LBB113_103
.LBB113_136:
	ds_read_b32 v17, v13 offset:288
	s_waitcnt lgkmcnt(0)
	v_add_f32_e32 v6, v6, v17
	s_or_b32 exec_lo, exec_lo, s0
	s_and_saveexec_b32 s0, vcc_lo
	s_cbranch_execz .LBB113_104
.LBB113_137:
	ds_read_b32 v17, v13 offset:320
	s_waitcnt lgkmcnt(0)
	v_add_f32_e32 v3, v3, v17
	s_or_b32 exec_lo, exec_lo, s0
	s_and_saveexec_b32 s0, vcc_lo
	s_cbranch_execz .LBB113_105
.LBB113_138:
	ds_read_b32 v17, v13 offset:352
	s_waitcnt lgkmcnt(0)
	v_add_f32_e32 v2, v2, v17
	s_or_b32 exec_lo, exec_lo, s0
	s_and_saveexec_b32 s0, vcc_lo
	s_cbranch_execz .LBB113_106
.LBB113_139:
	ds_read_b32 v17, v13 offset:384
	s_waitcnt lgkmcnt(0)
	v_add_f32_e32 v1, v1, v17
	s_or_b32 exec_lo, exec_lo, s0
	s_and_saveexec_b32 s0, vcc_lo
	s_cbranch_execz .LBB113_107
.LBB113_140:
	ds_read_b32 v17, v13 offset:416
	s_waitcnt lgkmcnt(0)
	v_add_f32_e32 v4, v4, v17
	s_or_b32 exec_lo, exec_lo, s0
	s_and_saveexec_b32 s0, vcc_lo
	s_cbranch_execnz .LBB113_108
	s_branch .LBB113_109
	.section	.rodata,"a",@progbits
	.p2align	6, 0x0
	.amdhsa_kernel _ZN4vllm25paged_attention_v2_kernelIttLi120ELi32ELi128ELNS_18Fp8KVCacheDataTypeE0ELb1ELi512EEEvPfS2_PT_PKS3_PKT0_S9_ifPKiSB_iPKfiiiSD_SD_iiiii
		.amdhsa_group_segment_fixed_size 272
		.amdhsa_private_segment_fixed_size 0
		.amdhsa_kernarg_size 400
		.amdhsa_user_sgpr_count 6
		.amdhsa_user_sgpr_private_segment_buffer 1
		.amdhsa_user_sgpr_dispatch_ptr 0
		.amdhsa_user_sgpr_queue_ptr 0
		.amdhsa_user_sgpr_kernarg_segment_ptr 1
		.amdhsa_user_sgpr_dispatch_id 0
		.amdhsa_user_sgpr_flat_scratch_init 0
		.amdhsa_user_sgpr_private_segment_size 0
		.amdhsa_wavefront_size32 1
		.amdhsa_uses_dynamic_stack 0
		.amdhsa_system_sgpr_private_segment_wavefront_offset 0
		.amdhsa_system_sgpr_workgroup_id_x 1
		.amdhsa_system_sgpr_workgroup_id_y 1
		.amdhsa_system_sgpr_workgroup_id_z 1
		.amdhsa_system_sgpr_workgroup_info 0
		.amdhsa_system_vgpr_workitem_id 0
		.amdhsa_next_free_vgpr 99
		.amdhsa_next_free_sgpr 46
		.amdhsa_reserve_vcc 1
		.amdhsa_reserve_flat_scratch 0
		.amdhsa_float_round_mode_32 0
		.amdhsa_float_round_mode_16_64 0
		.amdhsa_float_denorm_mode_32 3
		.amdhsa_float_denorm_mode_16_64 3
		.amdhsa_dx10_clamp 1
		.amdhsa_ieee_mode 1
		.amdhsa_fp16_overflow 0
		.amdhsa_workgroup_processor_mode 1
		.amdhsa_memory_ordered 1
		.amdhsa_forward_progress 1
		.amdhsa_shared_vgpr_count 0
		.amdhsa_exception_fp_ieee_invalid_op 0
		.amdhsa_exception_fp_denorm_src 0
		.amdhsa_exception_fp_ieee_div_zero 0
		.amdhsa_exception_fp_ieee_overflow 0
		.amdhsa_exception_fp_ieee_underflow 0
		.amdhsa_exception_fp_ieee_inexact 0
		.amdhsa_exception_int_div_zero 0
	.end_amdhsa_kernel
	.section	.text._ZN4vllm25paged_attention_v2_kernelIttLi120ELi32ELi128ELNS_18Fp8KVCacheDataTypeE0ELb1ELi512EEEvPfS2_PT_PKS3_PKT0_S9_ifPKiSB_iPKfiiiSD_SD_iiiii,"axG",@progbits,_ZN4vllm25paged_attention_v2_kernelIttLi120ELi32ELi128ELNS_18Fp8KVCacheDataTypeE0ELb1ELi512EEEvPfS2_PT_PKS3_PKT0_S9_ifPKiSB_iPKfiiiSD_SD_iiiii,comdat
.Lfunc_end113:
	.size	_ZN4vllm25paged_attention_v2_kernelIttLi120ELi32ELi128ELNS_18Fp8KVCacheDataTypeE0ELb1ELi512EEEvPfS2_PT_PKS3_PKT0_S9_ifPKiSB_iPKfiiiSD_SD_iiiii, .Lfunc_end113-_ZN4vllm25paged_attention_v2_kernelIttLi120ELi32ELi128ELNS_18Fp8KVCacheDataTypeE0ELb1ELi512EEEvPfS2_PT_PKS3_PKT0_S9_ifPKiSB_iPKfiiiSD_SD_iiiii
                                        ; -- End function
	.set _ZN4vllm25paged_attention_v2_kernelIttLi120ELi32ELi128ELNS_18Fp8KVCacheDataTypeE0ELb1ELi512EEEvPfS2_PT_PKS3_PKT0_S9_ifPKiSB_iPKfiiiSD_SD_iiiii.num_vgpr, 99
	.set _ZN4vllm25paged_attention_v2_kernelIttLi120ELi32ELi128ELNS_18Fp8KVCacheDataTypeE0ELb1ELi512EEEvPfS2_PT_PKS3_PKT0_S9_ifPKiSB_iPKfiiiSD_SD_iiiii.num_agpr, 0
	.set _ZN4vllm25paged_attention_v2_kernelIttLi120ELi32ELi128ELNS_18Fp8KVCacheDataTypeE0ELb1ELi512EEEvPfS2_PT_PKS3_PKT0_S9_ifPKiSB_iPKfiiiSD_SD_iiiii.numbered_sgpr, 46
	.set _ZN4vllm25paged_attention_v2_kernelIttLi120ELi32ELi128ELNS_18Fp8KVCacheDataTypeE0ELb1ELi512EEEvPfS2_PT_PKS3_PKT0_S9_ifPKiSB_iPKfiiiSD_SD_iiiii.num_named_barrier, 0
	.set _ZN4vllm25paged_attention_v2_kernelIttLi120ELi32ELi128ELNS_18Fp8KVCacheDataTypeE0ELb1ELi512EEEvPfS2_PT_PKS3_PKT0_S9_ifPKiSB_iPKfiiiSD_SD_iiiii.private_seg_size, 0
	.set _ZN4vllm25paged_attention_v2_kernelIttLi120ELi32ELi128ELNS_18Fp8KVCacheDataTypeE0ELb1ELi512EEEvPfS2_PT_PKS3_PKT0_S9_ifPKiSB_iPKfiiiSD_SD_iiiii.uses_vcc, 1
	.set _ZN4vllm25paged_attention_v2_kernelIttLi120ELi32ELi128ELNS_18Fp8KVCacheDataTypeE0ELb1ELi512EEEvPfS2_PT_PKS3_PKT0_S9_ifPKiSB_iPKfiiiSD_SD_iiiii.uses_flat_scratch, 0
	.set _ZN4vllm25paged_attention_v2_kernelIttLi120ELi32ELi128ELNS_18Fp8KVCacheDataTypeE0ELb1ELi512EEEvPfS2_PT_PKS3_PKT0_S9_ifPKiSB_iPKfiiiSD_SD_iiiii.has_dyn_sized_stack, 0
	.set _ZN4vllm25paged_attention_v2_kernelIttLi120ELi32ELi128ELNS_18Fp8KVCacheDataTypeE0ELb1ELi512EEEvPfS2_PT_PKS3_PKT0_S9_ifPKiSB_iPKfiiiSD_SD_iiiii.has_recursion, 0
	.set _ZN4vllm25paged_attention_v2_kernelIttLi120ELi32ELi128ELNS_18Fp8KVCacheDataTypeE0ELb1ELi512EEEvPfS2_PT_PKS3_PKT0_S9_ifPKiSB_iPKfiiiSD_SD_iiiii.has_indirect_call, 0
	.section	.AMDGPU.csdata,"",@progbits
; Kernel info:
; codeLenInByte = 18900
; TotalNumSgprs: 48
; NumVgprs: 99
; ScratchSize: 0
; MemoryBound: 0
; FloatMode: 240
; IeeeMode: 1
; LDSByteSize: 272 bytes/workgroup (compile time only)
; SGPRBlocks: 0
; VGPRBlocks: 12
; NumSGPRsForWavesPerEU: 48
; NumVGPRsForWavesPerEU: 99
; Occupancy: 9
; WaveLimiterHint : 1
; COMPUTE_PGM_RSRC2:SCRATCH_EN: 0
; COMPUTE_PGM_RSRC2:USER_SGPR: 6
; COMPUTE_PGM_RSRC2:TRAP_HANDLER: 0
; COMPUTE_PGM_RSRC2:TGID_X_EN: 1
; COMPUTE_PGM_RSRC2:TGID_Y_EN: 1
; COMPUTE_PGM_RSRC2:TGID_Z_EN: 1
; COMPUTE_PGM_RSRC2:TIDIG_COMP_CNT: 0
	.section	.text._ZN4vllm25paged_attention_v2_kernelIttLi128ELi32ELi128ELNS_18Fp8KVCacheDataTypeE0ELb1ELi512EEEvPfS2_PT_PKS3_PKT0_S9_ifPKiSB_iPKfiiiSD_SD_iiiii,"axG",@progbits,_ZN4vllm25paged_attention_v2_kernelIttLi128ELi32ELi128ELNS_18Fp8KVCacheDataTypeE0ELb1ELi512EEEvPfS2_PT_PKS3_PKT0_S9_ifPKiSB_iPKfiiiSD_SD_iiiii,comdat
	.protected	_ZN4vllm25paged_attention_v2_kernelIttLi128ELi32ELi128ELNS_18Fp8KVCacheDataTypeE0ELb1ELi512EEEvPfS2_PT_PKS3_PKT0_S9_ifPKiSB_iPKfiiiSD_SD_iiiii ; -- Begin function _ZN4vllm25paged_attention_v2_kernelIttLi128ELi32ELi128ELNS_18Fp8KVCacheDataTypeE0ELb1ELi512EEEvPfS2_PT_PKS3_PKT0_S9_ifPKiSB_iPKfiiiSD_SD_iiiii
	.globl	_ZN4vllm25paged_attention_v2_kernelIttLi128ELi32ELi128ELNS_18Fp8KVCacheDataTypeE0ELb1ELi512EEEvPfS2_PT_PKS3_PKT0_S9_ifPKiSB_iPKfiiiSD_SD_iiiii
	.p2align	8
	.type	_ZN4vllm25paged_attention_v2_kernelIttLi128ELi32ELi128ELNS_18Fp8KVCacheDataTypeE0ELb1ELi512EEEvPfS2_PT_PKS3_PKT0_S9_ifPKiSB_iPKfiiiSD_SD_iiiii,@function
_ZN4vllm25paged_attention_v2_kernelIttLi128ELi32ELi128ELNS_18Fp8KVCacheDataTypeE0ELb1ELi512EEEvPfS2_PT_PKS3_PKT0_S9_ifPKiSB_iPKfiiiSD_SD_iiiii: ; @_ZN4vllm25paged_attention_v2_kernelIttLi128ELi32ELi128ELNS_18Fp8KVCacheDataTypeE0ELb1ELi512EEEvPfS2_PT_PKS3_PKT0_S9_ifPKiSB_iPKfiiiSD_SD_iiiii
; %bb.0:
	s_load_dwordx2 s[0:1], s[4:5], 0x40
	s_mov_b32 s26, s7
	s_ashr_i32 s27, s7, 31
	s_lshl_b64 s[2:3], s[26:27], 2
	s_waitcnt lgkmcnt(0)
	s_add_u32 s0, s0, s2
	s_addc_u32 s1, s1, s3
	s_lshl_b32 s37, s8, 9
	s_load_dword s27, s[0:1], 0x0
	s_waitcnt lgkmcnt(0)
	s_cmp_ge_i32 s37, s27
	s_cbranch_scc1 .LBB114_116
; %bb.1:
	s_clause 0x1
	s_load_dword s9, s[4:5], 0x90
	s_load_dwordx2 s[2:3], s[4:5], 0x30
	s_mov_b32 s39, 0
	s_waitcnt lgkmcnt(0)
	s_abs_i32 s10, s9
	s_abs_i32 s0, s2
	v_cvt_f32_u32_e32 v1, s0
	s_sub_i32 s7, 0, s0
	v_rcp_iflag_f32_e32 v1, v1
	v_mul_f32_e32 v1, 0x4f7ffffe, v1
	v_cvt_u32_f32_e32 v1, v1
	v_readfirstlane_b32 s1, v1
	s_mul_i32 s7, s7, s1
	s_mul_hi_u32 s7, s1, s7
	s_add_i32 s1, s1, s7
	s_xor_b32 s7, s9, s2
	s_mul_hi_u32 s1, s10, s1
	s_ashr_i32 s7, s7, 31
	s_mul_i32 s11, s1, s0
	s_sub_i32 s10, s10, s11
	s_add_i32 s11, s1, 1
	s_sub_i32 s12, s10, s0
	s_cmp_ge_u32 s10, s0
	s_cselect_b32 s1, s11, s1
	s_cselect_b32 s10, s12, s10
	s_add_i32 s11, s1, 1
	s_cmp_ge_u32 s10, s0
	s_cselect_b32 s0, s11, s1
	s_abs_i32 s21, s6
	s_xor_b32 s0, s0, s7
	s_sub_i32 s10, s0, s7
	s_load_dwordx2 s[0:1], s[4:5], 0x50
	s_abs_i32 s20, s10
	v_cvt_f32_u32_e32 v1, s20
	s_sub_i32 s11, 0, s20
	v_rcp_iflag_f32_e32 v1, v1
	v_mul_f32_e32 v1, 0x4f7ffffe, v1
	v_cvt_u32_f32_e32 v1, v1
	v_readfirstlane_b32 s7, v1
	s_mul_i32 s11, s11, s7
	s_mul_hi_u32 s11, s7, s11
	s_add_i32 s7, s7, s11
	s_waitcnt lgkmcnt(0)
	s_cmp_eq_u64 s[0:1], 0
	s_mul_hi_u32 s22, s21, s7
	s_cbranch_scc1 .LBB114_3
; %bb.2:
	s_ashr_i32 s7, s6, 31
	s_lshl_b64 s[12:13], s[6:7], 2
	s_add_u32 s0, s0, s12
	s_addc_u32 s1, s1, s13
	s_load_dword s39, s[0:1], 0x0
.LBB114_3:
	s_load_dwordx4 s[12:15], s[4:5], 0x58
	v_lshlrev_b32_e32 v68, 4, v0
	s_ashr_i32 s0, s6, 31
	s_ashr_i32 s1, s10, 31
	s_lshl_b32 s10, s6, 7
	s_mov_b32 s7, exec_lo
	v_cmpx_gt_u32_e32 16, v0
	s_cbranch_execz .LBB114_5
; %bb.4:
	s_load_dwordx2 s[16:17], s[4:5], 0x18
	s_waitcnt lgkmcnt(0)
	s_mul_i32 s18, s12, s26
	s_ashr_i32 s19, s18, 31
	s_lshl_b64 s[18:19], s[18:19], 1
	s_add_u32 s12, s16, s18
	s_addc_u32 s15, s17, s19
	s_ashr_i32 s11, s10, 31
	s_lshl_b64 s[16:17], s[10:11], 1
	s_add_u32 s16, s12, s16
	s_addc_u32 s17, s15, s17
	global_load_dwordx4 v[1:4], v68, s[16:17]
	s_waitcnt vmcnt(0)
	ds_write_b128 v68, v[1:4]
.LBB114_5:
	s_or_b32 exec_lo, exec_lo, s7
	s_load_dwordx4 s[16:19], s[4:5], 0x78
	s_mul_i32 s7, s22, s20
	s_xor_b32 s0, s0, s1
	s_sub_i32 s1, s21, s7
	s_add_i32 s7, s22, 1
	s_sub_i32 s11, s1, s20
	s_cmp_ge_u32 s1, s20
	s_mov_b32 s21, -1
	s_cselect_b32 s7, s7, s22
	s_cselect_b32 s1, s11, s1
	s_add_i32 s11, s7, 1
	s_cmp_ge_u32 s1, s20
                                        ; implicit-def: $sgpr33
	s_cselect_b32 s1, s11, s7
	s_load_dword s7, s[4:5], 0x88
	s_xor_b32 s1, s1, s0
	s_add_i32 s20, s27, -1
	s_sub_i32 s1, s1, s0
	s_waitcnt lgkmcnt(0)
	s_abs_i32 s15, s20
	s_abs_i32 s11, s19
	s_barrier
	v_cvt_f32_u32_e32 v1, s11
	s_sub_i32 s0, 0, s11
	buffer_gl0_inv
	v_rcp_iflag_f32_e32 v1, v1
	v_mul_f32_e32 v1, 0x4f7ffffe, v1
	v_cvt_u32_f32_e32 v1, v1
	v_readfirstlane_b32 s12, v1
	s_mul_i32 s0, s0, s12
	s_mul_hi_u32 s0, s12, s0
	s_add_i32 s12, s12, s0
	s_cmp_lt_i32 s7, 0
	s_mul_hi_u32 s0, s15, s12
	s_cbranch_scc0 .LBB114_7
; %bb.6:
	s_mul_i32 s2, s16, s2
	s_mov_b32 s21, 0
	s_add_i32 s2, s1, s2
	s_mul_i32 s2, s2, s7
	s_sub_i32 s33, 1, s2
.LBB114_7:
	s_load_dwordx2 s[28:29], s[4:5], 0x38
	s_ashr_i32 s2, s20, 31
	s_andn2_b32 vcc_lo, exec_lo, s21
	s_ashr_i32 s19, s19, 31
	s_cbranch_vccnz .LBB114_9
; %bb.8:
	s_mul_i32 s16, s9, s16
	s_add_i32 s16, s16, s6
	s_mul_i32 s7, s16, s7
	s_add_i32 s33, s7, 1
.LBB114_9:
	s_clause 0x4
	s_load_dword s16, s[4:5], 0x48
	s_load_dwordx2 s[34:35], s[4:5], 0x28
	s_load_dword s7, s[4:5], 0x98
	s_load_dwordx4 s[20:23], s[4:5], 0x0
	s_load_dwordx2 s[24:25], s[4:5], 0x10
	s_mul_i32 s30, s0, s11
	s_xor_b32 s2, s2, s19
	s_sub_i32 s15, s15, s30
	s_add_i32 s36, s0, 1
	v_lshrrev_b32_e32 v65, 5, v0
	v_and_b32_e32 v66, 31, v0
	v_mov_b32_e32 v70, 0xff7fffff
	s_mul_i32 s14, s1, s14
	v_lshl_add_u32 v67, v65, 5, s37
	v_lshlrev_b32_e32 v69, 2, v66
	s_waitcnt lgkmcnt(0)
	s_mul_i32 s30, s16, s26
	s_sub_i32 s16, s15, s11
	s_ashr_i32 s31, s30, 31
	s_cmp_ge_u32 s15, s11
	s_cselect_b32 s0, s36, s0
	s_cselect_b32 s15, s16, s15
	s_add_i32 s16, s0, 1
	s_cmp_ge_u32 s15, s11
	s_cselect_b32 s0, s16, s0
	s_add_i32 s15, s27, 31
	s_lshl_b32 s40, s8, 4
	s_ashr_i32 s16, s15, 31
	v_add_nc_u32_e32 v61, s40, v65
	s_lshr_b32 s16, s16, 27
	s_add_i32 s15, s15, s16
	s_add_i32 s16, s40, 16
	s_ashr_i32 s36, s15, 5
	s_xor_b32 s15, s0, s2
	s_min_i32 s16, s16, s36
	v_ashrrev_i32_e32 v62, 31, v61
	v_cmp_gt_i32_e64 s0, s16, v61
	s_sub_i32 s38, s15, s2
	s_and_saveexec_b32 s41, s0
	s_cbranch_execz .LBB114_17
; %bb.10:
	s_load_dwordx2 s[42:43], s[4:5], 0x20
	s_ashr_i32 s15, s14, 31
	s_sub_i32 s4, s38, s17
	s_lshl_b64 s[44:45], s[14:15], 1
	v_subrev_nc_u32_e32 v5, s27, v66
	v_lshlrev_b32_e32 v3, 4, v66
	v_lshl_or_b32 v7, v65, 7, v69
	v_mov_b32_e32 v71, 0
	v_cmp_neq_f32_e64 vcc_lo, s39, 0
	v_add_nc_u32_e32 v74, 1, v5
	v_lshl_add_u32 v72, v65, 5, s37
	v_mov_b32_e32 v73, 0xff7fffff
	v_mov_b32_e32 v70, 0xff7fffff
	v_add_nc_u32_e32 v75, 0x120, v7
	v_mov_b32_e32 v79, v61
	s_waitcnt lgkmcnt(0)
	s_add_u32 s1, s42, s44
	s_addc_u32 s2, s43, s45
	s_abs_i32 s5, s18
	s_lshl_b64 s[42:43], s[30:31], 2
	v_cvt_f32_u32_e32 v1, s5
	s_sub_i32 s15, 0, s5
	v_add_co_u32 v76, s1, s1, v3
	v_add_co_ci_u32_e64 v77, null, s2, 0, s1
	v_rcp_iflag_f32_e32 v1, v1
	s_add_u32 s1, s28, s42
	s_addc_u32 s2, s29, s43
	s_mov_b32 s42, s13
	v_mul_f32_e32 v1, 0x4f7ffffe, v1
	v_cvt_u32_f32_e32 v4, v1
	v_lshlrev_b64 v[1:2], 2, v[61:62]
	v_mul_lo_u32 v6, s15, v4
	s_mov_b32 s15, 0
	v_add_co_u32 v63, s1, s1, v1
	v_add_co_ci_u32_e64 v64, null, s2, v2, s1
	v_mul_hi_u32 v5, v4, v6
	v_add_nc_u32_e32 v78, v4, v5
	s_branch .LBB114_12
.LBB114_11:                             ;   in Loop: Header=BB114_12 Depth=1
	s_or_b32 exec_lo, exec_lo, s2
	v_add_nc_u32_e32 v79, 4, v79
	v_add_co_u32 v63, s2, v63, 16
	v_add_co_ci_u32_e64 v64, null, 0, v64, s2
	v_cmp_le_i32_e64 s1, s16, v79
	v_add_nc_u32_e32 v72, 0x80, v72
	v_add_nc_u32_e32 v75, 0x200, v75
	s_or_b32 s15, s1, s15
	s_andn2_b32 exec_lo, exec_lo, s15
	s_cbranch_execz .LBB114_16
.LBB114_12:                             ; =>This Inner Loop Header: Depth=1
	v_sub_nc_u32_e32 v1, 0, v72
	v_max_i32_e32 v1, v72, v1
	v_mul_hi_u32 v2, v1, s12
	v_mul_lo_u32 v3, v2, s11
	v_sub_nc_u32_e32 v1, v1, v3
	v_add_nc_u32_e32 v3, 1, v2
	v_subrev_nc_u32_e32 v4, s11, v1
	v_cmp_le_u32_e64 s1, s11, v1
	v_cndmask_b32_e64 v2, v2, v3, s1
	v_cndmask_b32_e64 v1, v1, v4, s1
	v_ashrrev_i32_e32 v3, 31, v72
	v_add_nc_u32_e32 v4, 1, v2
	v_cmp_le_u32_e64 s1, s11, v1
	v_xor_b32_e32 v3, s19, v3
	v_cndmask_b32_e64 v1, v2, v4, s1
	v_xor_b32_e32 v1, v1, v3
	v_sub_nc_u32_e32 v1, v1, v3
	v_add_nc_u32_e32 v2, s33, v1
	v_cmp_ge_i32_e64 s2, s4, v1
	v_sub_nc_u32_e32 v3, 0, v2
	v_max_i32_e32 v3, v2, v3
	v_ashrrev_i32_e32 v2, 31, v2
	v_mul_hi_u32 v4, v3, v78
	v_mul_lo_u32 v4, v4, s5
	v_sub_nc_u32_e32 v3, v3, v4
	v_subrev_nc_u32_e32 v4, s5, v3
	v_cmp_le_u32_e64 s1, s5, v3
	v_cndmask_b32_e64 v3, v3, v4, s1
	v_subrev_nc_u32_e32 v4, s5, v3
	v_cmp_le_u32_e64 s1, s5, v3
	v_cndmask_b32_e64 v3, v3, v4, s1
	v_xor_b32_e32 v3, v3, v2
	v_sub_nc_u32_e32 v2, v3, v2
	v_cmp_ne_u32_e64 s1, 0, v2
	s_and_b32 s1, s1, s2
	s_and_saveexec_b32 s2, s1
	s_xor_b32 s1, exec_lo, s2
; %bb.13:                               ;   in Loop: Header=BB114_12 Depth=1
	ds_write_b32 v75, v73
; %bb.14:                               ;   in Loop: Header=BB114_12 Depth=1
	s_andn2_saveexec_b32 s2, s1
	s_cbranch_execz .LBB114_11
; %bb.15:                               ;   in Loop: Header=BB114_12 Depth=1
	global_load_dword v1, v[63:64], off
	v_add_nc_u32_e32 v3, v74, v72
	v_add_nc_u32_e32 v85, v66, v72
	v_cvt_f32_i32_e32 v3, v3
	v_mul_f32_e32 v3, s39, v3
	v_cndmask_b32_e32 v80, 0, v3, vcc_lo
	s_waitcnt vmcnt(0)
	v_mad_i64_i32 v[1:2], null, v1, s42, 0
	v_lshlrev_b64 v[1:2], 1, v[1:2]
	v_add_co_u32 v1, s1, v76, v1
	v_add_co_ci_u32_e64 v2, null, v77, v2, s1
	s_clause 0x3
	global_load_dwordx4 v[81:84], v[1:2], off
	global_load_dwordx4 v[57:60], v[1:2], off offset:512
	global_load_dwordx4 v[53:56], v[1:2], off offset:1024
	;; [unrolled: 1-line block ×3, first 2 shown]
	v_add_co_u32 v3, s1, 0x800, v1
	v_add_co_ci_u32_e64 v4, null, 0, v2, s1
	v_add_co_u32 v5, s1, v1, 0x1000
	v_add_co_ci_u32_e64 v6, null, 0, v2, s1
	s_clause 0x3
	global_load_dwordx4 v[45:48], v[5:6], off offset:-2048
	global_load_dwordx4 v[41:44], v[3:4], off offset:512
	global_load_dwordx4 v[37:40], v[3:4], off offset:1024
	;; [unrolled: 1-line block ×3, first 2 shown]
	v_add_co_u32 v3, s1, 0x1000, v1
	v_add_co_ci_u32_e64 v4, null, 0, v2, s1
	s_clause 0x3
	global_load_dwordx4 v[29:32], v[5:6], off
	global_load_dwordx4 v[25:28], v[3:4], off offset:512
	global_load_dwordx4 v[21:24], v[3:4], off offset:1024
	;; [unrolled: 1-line block ×3, first 2 shown]
	v_add_co_u32 v1, s1, 0x1800, v1
	v_add_co_ci_u32_e64 v2, null, 0, v2, s1
	s_clause 0x3
	global_load_dwordx4 v[13:16], v[1:2], off
	global_load_dwordx4 v[9:12], v[1:2], off offset:512
	global_load_dwordx4 v[5:8], v[1:2], off offset:1024
	;; [unrolled: 1-line block ×3, first 2 shown]
	v_cmp_gt_i32_e64 s1, s27, v85
	ds_read_b128 v[85:88], v71
	s_waitcnt lgkmcnt(0)
	v_lshrrev_b32_e32 v89, 16, v85
	v_and_b32_e32 v85, 0xffff, v85
	;;#ASMSTART
	v_cvt_f32_f16 v85, v85;
	;;#ASMEND
	;;#ASMSTART
	v_cvt_f32_f16 v89, v89;
	;;#ASMEND
	s_waitcnt vmcnt(15)
	v_lshrrev_b32_e32 v91, 16, v81
	v_and_b32_e32 v81, 0xffff, v81
	;;#ASMSTART
	v_cvt_f32_f16 v90, v81;
	;;#ASMEND
	v_lshrrev_b32_e32 v81, 16, v86
	v_and_b32_e32 v86, 0xffff, v86
	;;#ASMSTART
	v_cvt_f32_f16 v91, v91;
	;;#ASMEND
	;;#ASMSTART
	v_cvt_f32_f16 v86, v86;
	;;#ASMEND
	;; [unrolled: 3-line block ×3, first 2 shown]
	v_lshrrev_b32_e32 v81, 16, v82
	v_and_b32_e32 v82, 0xffff, v82
	;;#ASMSTART
	v_cvt_f32_f16 v93, v82;
	;;#ASMEND
	;;#ASMSTART
	v_cvt_f32_f16 v94, v81;
	;;#ASMEND
	v_lshrrev_b32_e32 v81, 16, v87
	v_and_b32_e32 v82, 0xffff, v87
	;;#ASMSTART
	v_cvt_f32_f16 v87, v82;
	;;#ASMEND
	;;#ASMSTART
	v_cvt_f32_f16 v95, v81;
	;;#ASMEND
	v_lshrrev_b32_e32 v81, 16, v83
	v_and_b32_e32 v82, 0xffff, v83
	;;#ASMSTART
	v_cvt_f32_f16 v96, v82;
	;;#ASMEND
	;;#ASMSTART
	v_cvt_f32_f16 v97, v81;
	;;#ASMEND
	v_lshrrev_b32_e32 v81, 16, v88
	v_and_b32_e32 v82, 0xffff, v88
	;;#ASMSTART
	v_cvt_f32_f16 v88, v82;
	;;#ASMEND
	;;#ASMSTART
	v_cvt_f32_f16 v98, v81;
	;;#ASMEND
	v_lshrrev_b32_e32 v81, 16, v84
	v_and_b32_e32 v82, 0xffff, v84
	;;#ASMSTART
	v_cvt_f32_f16 v99, v82;
	;;#ASMEND
	;;#ASMSTART
	v_cvt_f32_f16 v100, v81;
	;;#ASMEND
	ds_read_b128 v[81:84], v71 offset:16
	s_waitcnt vmcnt(14)
	v_lshrrev_b32_e32 v102, 16, v57
	v_and_b32_e32 v57, 0xffff, v57
	s_waitcnt lgkmcnt(0)
	v_lshrrev_b32_e32 v101, 16, v81
	v_and_b32_e32 v81, 0xffff, v81
	;;#ASMSTART
	v_cvt_f32_f16 v81, v81;
	;;#ASMEND
	;;#ASMSTART
	v_cvt_f32_f16 v101, v101;
	;;#ASMEND
	;;#ASMSTART
	v_cvt_f32_f16 v57, v57;
	;;#ASMEND
	v_mul_f32_e32 v57, v81, v57
	;;#ASMSTART
	v_cvt_f32_f16 v102, v102;
	;;#ASMEND
	v_mul_f32_e32 v81, v101, v102
	v_fmac_f32_e32 v57, v85, v90
	v_lshrrev_b32_e32 v85, 16, v82
	v_and_b32_e32 v82, 0xffff, v82
	v_fmac_f32_e32 v81, v89, v91
	;;#ASMSTART
	v_cvt_f32_f16 v82, v82;
	;;#ASMEND
	v_lshrrev_b32_e32 v89, 16, v58
	v_and_b32_e32 v58, 0xffff, v58
	;;#ASMSTART
	v_cvt_f32_f16 v85, v85;
	;;#ASMEND
	;;#ASMSTART
	v_cvt_f32_f16 v58, v58;
	;;#ASMEND
	v_mul_f32_e32 v82, v82, v58
	;;#ASMSTART
	v_cvt_f32_f16 v89, v89;
	;;#ASMEND
	v_mul_f32_e32 v58, v85, v89
	v_lshrrev_b32_e32 v85, 16, v83
	v_and_b32_e32 v83, 0xffff, v83
	v_fmac_f32_e32 v82, v86, v93
	v_lshrrev_b32_e32 v86, 16, v59
	v_and_b32_e32 v59, 0xffff, v59
	;;#ASMSTART
	v_cvt_f32_f16 v83, v83;
	;;#ASMEND
	;;#ASMSTART
	v_cvt_f32_f16 v85, v85;
	;;#ASMEND
	;; [unrolled: 3-line block ×4, first 2 shown]
	v_mul_f32_e32 v83, v83, v59
	v_mul_f32_e32 v59, v85, v86
	v_lshrrev_b32_e32 v85, 16, v84
	v_and_b32_e32 v84, 0xffff, v84
	;;#ASMSTART
	v_cvt_f32_f16 v84, v84;
	;;#ASMEND
	v_lshrrev_b32_e32 v86, 16, v60
	v_and_b32_e32 v60, 0xffff, v60
	;;#ASMSTART
	v_cvt_f32_f16 v85, v85;
	;;#ASMEND
	;;#ASMSTART
	v_cvt_f32_f16 v60, v60;
	;;#ASMEND
	v_mul_f32_e32 v84, v84, v60
	;;#ASMSTART
	v_cvt_f32_f16 v86, v86;
	;;#ASMEND
	v_fmac_f32_e32 v83, v87, v96
	v_mul_f32_e32 v60, v85, v86
	v_fmac_f32_e32 v58, v92, v94
	v_fmac_f32_e32 v84, v88, v99
	ds_read_b128 v[85:88], v71 offset:32
	s_waitcnt vmcnt(13)
	v_lshrrev_b32_e32 v90, 16, v53
	v_and_b32_e32 v53, 0xffff, v53
	v_fmac_f32_e32 v59, v95, v97
	v_fmac_f32_e32 v60, v98, v100
	s_waitcnt lgkmcnt(0)
	v_lshrrev_b32_e32 v89, 16, v85
	v_and_b32_e32 v85, 0xffff, v85
	;;#ASMSTART
	v_cvt_f32_f16 v85, v85;
	;;#ASMEND
	;;#ASMSTART
	v_cvt_f32_f16 v89, v89;
	;;#ASMEND
	;; [unrolled: 3-line block ×3, first 2 shown]
	v_fmac_f32_e32 v57, v85, v53
	v_lshrrev_b32_e32 v85, 16, v86
	v_and_b32_e32 v53, 0xffff, v86
	v_lshrrev_b32_e32 v86, 16, v54
	v_and_b32_e32 v54, 0xffff, v54
	;;#ASMSTART
	v_cvt_f32_f16 v90, v90;
	;;#ASMEND
	;;#ASMSTART
	v_cvt_f32_f16 v53, v53;
	;;#ASMEND
	;;#ASMSTART
	v_cvt_f32_f16 v85, v85;
	;;#ASMEND
	;;#ASMSTART
	v_cvt_f32_f16 v54, v54;
	;;#ASMEND
	;;#ASMSTART
	v_cvt_f32_f16 v86, v86;
	;;#ASMEND
	v_fmac_f32_e32 v82, v53, v54
	v_fmac_f32_e32 v58, v85, v86
	v_lshrrev_b32_e32 v54, 16, v87
	v_and_b32_e32 v53, 0xffff, v87
	v_lshrrev_b32_e32 v85, 16, v55
	v_and_b32_e32 v55, 0xffff, v55
	;;#ASMSTART
	v_cvt_f32_f16 v53, v53;
	;;#ASMEND
	;;#ASMSTART
	v_cvt_f32_f16 v54, v54;
	;;#ASMEND
	;;#ASMSTART
	v_cvt_f32_f16 v55, v55;
	;;#ASMEND
	;;#ASMSTART
	v_cvt_f32_f16 v85, v85;
	;;#ASMEND
	v_fmac_f32_e32 v83, v53, v55
	v_fmac_f32_e32 v59, v54, v85
	v_lshrrev_b32_e32 v54, 16, v88
	v_and_b32_e32 v53, 0xffff, v88
	v_and_b32_e32 v55, 0xffff, v56
	;;#ASMSTART
	v_cvt_f32_f16 v53, v53;
	;;#ASMEND
	;;#ASMSTART
	v_cvt_f32_f16 v54, v54;
	;;#ASMEND
	v_lshrrev_b32_e32 v85, 16, v56
	;;#ASMSTART
	v_cvt_f32_f16 v55, v55;
	;;#ASMEND
	;;#ASMSTART
	v_cvt_f32_f16 v56, v85;
	;;#ASMEND
	v_fmac_f32_e32 v84, v53, v55
	v_fmac_f32_e32 v60, v54, v56
	ds_read_b128 v[53:56], v71 offset:48
	s_waitcnt vmcnt(12)
	v_lshrrev_b32_e32 v86, 16, v49
	v_and_b32_e32 v49, 0xffff, v49
	v_fmac_f32_e32 v81, v89, v90
	s_waitcnt lgkmcnt(0)
	v_lshrrev_b32_e32 v85, 16, v53
	v_and_b32_e32 v53, 0xffff, v53
	;;#ASMSTART
	v_cvt_f32_f16 v53, v53;
	;;#ASMEND
	;;#ASMSTART
	v_cvt_f32_f16 v85, v85;
	;;#ASMEND
	;; [unrolled: 3-line block ×3, first 2 shown]
	v_fmac_f32_e32 v57, v53, v49
	v_lshrrev_b32_e32 v53, 16, v54
	v_and_b32_e32 v49, 0xffff, v54
	v_lshrrev_b32_e32 v54, 16, v50
	v_and_b32_e32 v50, 0xffff, v50
	;;#ASMSTART
	v_cvt_f32_f16 v86, v86;
	;;#ASMEND
	;;#ASMSTART
	v_cvt_f32_f16 v49, v49;
	;;#ASMEND
	;;#ASMSTART
	v_cvt_f32_f16 v53, v53;
	;;#ASMEND
	;;#ASMSTART
	v_cvt_f32_f16 v50, v50;
	;;#ASMEND
	;;#ASMSTART
	v_cvt_f32_f16 v54, v54;
	;;#ASMEND
	v_fmac_f32_e32 v82, v49, v50
	v_fmac_f32_e32 v58, v53, v54
	v_lshrrev_b32_e32 v50, 16, v55
	v_and_b32_e32 v49, 0xffff, v55
	v_lshrrev_b32_e32 v53, 16, v51
	v_and_b32_e32 v51, 0xffff, v51
	;;#ASMSTART
	v_cvt_f32_f16 v49, v49;
	;;#ASMEND
	;;#ASMSTART
	v_cvt_f32_f16 v50, v50;
	;;#ASMEND
	;; [unrolled: 3-line block ×4, first 2 shown]
	v_fmac_f32_e32 v83, v49, v51
	v_fmac_f32_e32 v59, v50, v53
	v_lshrrev_b32_e32 v50, 16, v56
	v_and_b32_e32 v49, 0xffff, v56
	v_and_b32_e32 v51, 0xffff, v52
	;;#ASMSTART
	v_cvt_f32_f16 v49, v49;
	;;#ASMEND
	;;#ASMSTART
	v_cvt_f32_f16 v50, v50;
	;;#ASMEND
	v_lshrrev_b32_e32 v53, 16, v52
	;;#ASMSTART
	v_cvt_f32_f16 v51, v51;
	;;#ASMEND
	;;#ASMSTART
	v_cvt_f32_f16 v52, v53;
	;;#ASMEND
	v_fmac_f32_e32 v84, v49, v51
	v_fmac_f32_e32 v60, v50, v52
	ds_read_b128 v[49:52], v71 offset:64
	s_waitcnt vmcnt(11)
	v_lshrrev_b32_e32 v54, 16, v45
	v_and_b32_e32 v45, 0xffff, v45
	v_fmac_f32_e32 v81, v85, v86
	s_waitcnt lgkmcnt(0)
	v_lshrrev_b32_e32 v53, 16, v49
	v_and_b32_e32 v49, 0xffff, v49
	;;#ASMSTART
	v_cvt_f32_f16 v49, v49;
	;;#ASMEND
	;;#ASMSTART
	v_cvt_f32_f16 v53, v53;
	;;#ASMEND
	;; [unrolled: 3-line block ×3, first 2 shown]
	v_fmac_f32_e32 v57, v49, v45
	v_lshrrev_b32_e32 v49, 16, v50
	v_and_b32_e32 v45, 0xffff, v50
	v_lshrrev_b32_e32 v50, 16, v46
	v_and_b32_e32 v46, 0xffff, v46
	;;#ASMSTART
	v_cvt_f32_f16 v54, v54;
	;;#ASMEND
	;;#ASMSTART
	v_cvt_f32_f16 v45, v45;
	;;#ASMEND
	;; [unrolled: 3-line block ×5, first 2 shown]
	v_fmac_f32_e32 v82, v45, v46
	v_fmac_f32_e32 v58, v49, v50
	v_lshrrev_b32_e32 v46, 16, v51
	v_and_b32_e32 v45, 0xffff, v51
	v_lshrrev_b32_e32 v49, 16, v47
	v_and_b32_e32 v47, 0xffff, v47
	;;#ASMSTART
	v_cvt_f32_f16 v45, v45;
	;;#ASMEND
	;;#ASMSTART
	v_cvt_f32_f16 v46, v46;
	;;#ASMEND
	;; [unrolled: 3-line block ×4, first 2 shown]
	v_fmac_f32_e32 v83, v45, v47
	v_fmac_f32_e32 v59, v46, v49
	v_lshrrev_b32_e32 v46, 16, v52
	v_and_b32_e32 v45, 0xffff, v52
	v_and_b32_e32 v47, 0xffff, v48
	;;#ASMSTART
	v_cvt_f32_f16 v45, v45;
	;;#ASMEND
	;;#ASMSTART
	v_cvt_f32_f16 v46, v46;
	;;#ASMEND
	v_lshrrev_b32_e32 v49, 16, v48
	;;#ASMSTART
	v_cvt_f32_f16 v47, v47;
	;;#ASMEND
	;;#ASMSTART
	v_cvt_f32_f16 v48, v49;
	;;#ASMEND
	v_fmac_f32_e32 v84, v45, v47
	v_fmac_f32_e32 v60, v46, v48
	ds_read_b128 v[45:48], v71 offset:80
	s_waitcnt vmcnt(10)
	v_lshrrev_b32_e32 v50, 16, v41
	v_and_b32_e32 v41, 0xffff, v41
	v_fmac_f32_e32 v81, v53, v54
	s_waitcnt lgkmcnt(0)
	v_lshrrev_b32_e32 v49, 16, v45
	v_and_b32_e32 v45, 0xffff, v45
	;;#ASMSTART
	v_cvt_f32_f16 v45, v45;
	;;#ASMEND
	;;#ASMSTART
	v_cvt_f32_f16 v49, v49;
	;;#ASMEND
	;; [unrolled: 3-line block ×3, first 2 shown]
	v_fmac_f32_e32 v57, v45, v41
	v_lshrrev_b32_e32 v45, 16, v46
	v_and_b32_e32 v41, 0xffff, v46
	v_lshrrev_b32_e32 v46, 16, v42
	v_and_b32_e32 v42, 0xffff, v42
	;;#ASMSTART
	v_cvt_f32_f16 v50, v50;
	;;#ASMEND
	;;#ASMSTART
	v_cvt_f32_f16 v41, v41;
	;;#ASMEND
	;; [unrolled: 3-line block ×5, first 2 shown]
	v_fmac_f32_e32 v82, v41, v42
	v_fmac_f32_e32 v58, v45, v46
	v_lshrrev_b32_e32 v42, 16, v47
	v_and_b32_e32 v41, 0xffff, v47
	v_lshrrev_b32_e32 v45, 16, v43
	v_and_b32_e32 v43, 0xffff, v43
	;;#ASMSTART
	v_cvt_f32_f16 v41, v41;
	;;#ASMEND
	;;#ASMSTART
	v_cvt_f32_f16 v42, v42;
	;;#ASMEND
	;; [unrolled: 3-line block ×4, first 2 shown]
	v_fmac_f32_e32 v83, v41, v43
	v_fmac_f32_e32 v59, v42, v45
	v_lshrrev_b32_e32 v42, 16, v48
	v_and_b32_e32 v41, 0xffff, v48
	v_and_b32_e32 v43, 0xffff, v44
	;;#ASMSTART
	v_cvt_f32_f16 v41, v41;
	;;#ASMEND
	;;#ASMSTART
	v_cvt_f32_f16 v42, v42;
	;;#ASMEND
	v_lshrrev_b32_e32 v45, 16, v44
	;;#ASMSTART
	v_cvt_f32_f16 v43, v43;
	;;#ASMEND
	;;#ASMSTART
	v_cvt_f32_f16 v44, v45;
	;;#ASMEND
	v_fmac_f32_e32 v84, v41, v43
	v_fmac_f32_e32 v60, v42, v44
	ds_read_b128 v[41:44], v71 offset:96
	s_waitcnt vmcnt(9)
	v_lshrrev_b32_e32 v46, 16, v37
	v_and_b32_e32 v37, 0xffff, v37
	v_fmac_f32_e32 v81, v49, v50
	s_waitcnt lgkmcnt(0)
	v_lshrrev_b32_e32 v45, 16, v41
	v_and_b32_e32 v41, 0xffff, v41
	;;#ASMSTART
	v_cvt_f32_f16 v41, v41;
	;;#ASMEND
	;;#ASMSTART
	v_cvt_f32_f16 v45, v45;
	;;#ASMEND
	;; [unrolled: 3-line block ×3, first 2 shown]
	v_fmac_f32_e32 v57, v41, v37
	v_lshrrev_b32_e32 v41, 16, v42
	v_and_b32_e32 v37, 0xffff, v42
	v_lshrrev_b32_e32 v42, 16, v38
	v_and_b32_e32 v38, 0xffff, v38
	;;#ASMSTART
	v_cvt_f32_f16 v46, v46;
	;;#ASMEND
	;;#ASMSTART
	v_cvt_f32_f16 v37, v37;
	;;#ASMEND
	;; [unrolled: 3-line block ×5, first 2 shown]
	v_fmac_f32_e32 v82, v37, v38
	v_fmac_f32_e32 v58, v41, v42
	v_lshrrev_b32_e32 v38, 16, v43
	v_and_b32_e32 v37, 0xffff, v43
	v_lshrrev_b32_e32 v41, 16, v39
	v_and_b32_e32 v39, 0xffff, v39
	;;#ASMSTART
	v_cvt_f32_f16 v37, v37;
	;;#ASMEND
	;;#ASMSTART
	v_cvt_f32_f16 v38, v38;
	;;#ASMEND
	;; [unrolled: 3-line block ×4, first 2 shown]
	v_fmac_f32_e32 v83, v37, v39
	v_fmac_f32_e32 v59, v38, v41
	v_lshrrev_b32_e32 v38, 16, v44
	v_and_b32_e32 v37, 0xffff, v44
	v_and_b32_e32 v39, 0xffff, v40
	;;#ASMSTART
	v_cvt_f32_f16 v37, v37;
	;;#ASMEND
	;;#ASMSTART
	v_cvt_f32_f16 v38, v38;
	;;#ASMEND
	v_lshrrev_b32_e32 v41, 16, v40
	;;#ASMSTART
	v_cvt_f32_f16 v39, v39;
	;;#ASMEND
	;;#ASMSTART
	v_cvt_f32_f16 v40, v41;
	;;#ASMEND
	v_fmac_f32_e32 v84, v37, v39
	v_fmac_f32_e32 v60, v38, v40
	ds_read_b128 v[37:40], v71 offset:112
	s_waitcnt vmcnt(8)
	v_lshrrev_b32_e32 v42, 16, v33
	v_and_b32_e32 v33, 0xffff, v33
	v_fmac_f32_e32 v81, v45, v46
	s_waitcnt lgkmcnt(0)
	v_lshrrev_b32_e32 v41, 16, v37
	v_and_b32_e32 v37, 0xffff, v37
	;;#ASMSTART
	v_cvt_f32_f16 v37, v37;
	;;#ASMEND
	;;#ASMSTART
	v_cvt_f32_f16 v41, v41;
	;;#ASMEND
	;; [unrolled: 3-line block ×3, first 2 shown]
	v_fmac_f32_e32 v57, v37, v33
	v_lshrrev_b32_e32 v37, 16, v38
	v_and_b32_e32 v33, 0xffff, v38
	v_lshrrev_b32_e32 v38, 16, v34
	v_and_b32_e32 v34, 0xffff, v34
	;;#ASMSTART
	v_cvt_f32_f16 v42, v42;
	;;#ASMEND
	;;#ASMSTART
	v_cvt_f32_f16 v33, v33;
	;;#ASMEND
	;; [unrolled: 3-line block ×5, first 2 shown]
	v_fmac_f32_e32 v82, v33, v34
	v_fmac_f32_e32 v58, v37, v38
	v_lshrrev_b32_e32 v34, 16, v39
	v_and_b32_e32 v33, 0xffff, v39
	v_lshrrev_b32_e32 v37, 16, v35
	v_and_b32_e32 v35, 0xffff, v35
	;;#ASMSTART
	v_cvt_f32_f16 v33, v33;
	;;#ASMEND
	;;#ASMSTART
	v_cvt_f32_f16 v34, v34;
	;;#ASMEND
	;; [unrolled: 3-line block ×4, first 2 shown]
	v_fmac_f32_e32 v83, v33, v35
	v_fmac_f32_e32 v59, v34, v37
	v_lshrrev_b32_e32 v34, 16, v40
	v_and_b32_e32 v33, 0xffff, v40
	v_and_b32_e32 v35, 0xffff, v36
	;;#ASMSTART
	v_cvt_f32_f16 v33, v33;
	;;#ASMEND
	;;#ASMSTART
	v_cvt_f32_f16 v34, v34;
	;;#ASMEND
	v_lshrrev_b32_e32 v37, 16, v36
	;;#ASMSTART
	v_cvt_f32_f16 v35, v35;
	;;#ASMEND
	;;#ASMSTART
	v_cvt_f32_f16 v36, v37;
	;;#ASMEND
	v_fmac_f32_e32 v84, v33, v35
	v_fmac_f32_e32 v60, v34, v36
	ds_read_b128 v[33:36], v71 offset:128
	s_waitcnt vmcnt(7)
	v_lshrrev_b32_e32 v38, 16, v29
	v_and_b32_e32 v29, 0xffff, v29
	v_fmac_f32_e32 v81, v41, v42
	s_waitcnt lgkmcnt(0)
	v_lshrrev_b32_e32 v37, 16, v33
	v_and_b32_e32 v33, 0xffff, v33
	;;#ASMSTART
	v_cvt_f32_f16 v33, v33;
	;;#ASMEND
	;;#ASMSTART
	v_cvt_f32_f16 v37, v37;
	;;#ASMEND
	;; [unrolled: 3-line block ×3, first 2 shown]
	v_fmac_f32_e32 v57, v33, v29
	v_lshrrev_b32_e32 v33, 16, v34
	v_and_b32_e32 v29, 0xffff, v34
	v_lshrrev_b32_e32 v34, 16, v30
	v_and_b32_e32 v30, 0xffff, v30
	;;#ASMSTART
	v_cvt_f32_f16 v38, v38;
	;;#ASMEND
	;;#ASMSTART
	v_cvt_f32_f16 v29, v29;
	;;#ASMEND
	;; [unrolled: 3-line block ×5, first 2 shown]
	v_fmac_f32_e32 v82, v29, v30
	v_fmac_f32_e32 v58, v33, v34
	v_lshrrev_b32_e32 v30, 16, v35
	v_and_b32_e32 v29, 0xffff, v35
	v_lshrrev_b32_e32 v33, 16, v31
	v_and_b32_e32 v31, 0xffff, v31
	;;#ASMSTART
	v_cvt_f32_f16 v29, v29;
	;;#ASMEND
	;;#ASMSTART
	v_cvt_f32_f16 v30, v30;
	;;#ASMEND
	;; [unrolled: 3-line block ×4, first 2 shown]
	v_fmac_f32_e32 v83, v29, v31
	v_fmac_f32_e32 v59, v30, v33
	v_lshrrev_b32_e32 v30, 16, v36
	v_and_b32_e32 v29, 0xffff, v36
	v_and_b32_e32 v31, 0xffff, v32
	;;#ASMSTART
	v_cvt_f32_f16 v29, v29;
	;;#ASMEND
	;;#ASMSTART
	v_cvt_f32_f16 v30, v30;
	;;#ASMEND
	v_lshrrev_b32_e32 v33, 16, v32
	;;#ASMSTART
	v_cvt_f32_f16 v31, v31;
	;;#ASMEND
	;;#ASMSTART
	v_cvt_f32_f16 v32, v33;
	;;#ASMEND
	v_fmac_f32_e32 v84, v29, v31
	v_fmac_f32_e32 v60, v30, v32
	ds_read_b128 v[29:32], v71 offset:144
	s_waitcnt vmcnt(6)
	v_lshrrev_b32_e32 v34, 16, v25
	v_and_b32_e32 v25, 0xffff, v25
	v_fmac_f32_e32 v81, v37, v38
	s_waitcnt lgkmcnt(0)
	v_lshrrev_b32_e32 v33, 16, v29
	v_and_b32_e32 v29, 0xffff, v29
	;;#ASMSTART
	v_cvt_f32_f16 v29, v29;
	;;#ASMEND
	;;#ASMSTART
	v_cvt_f32_f16 v33, v33;
	;;#ASMEND
	;; [unrolled: 3-line block ×3, first 2 shown]
	v_fmac_f32_e32 v57, v29, v25
	v_lshrrev_b32_e32 v29, 16, v30
	v_and_b32_e32 v25, 0xffff, v30
	v_lshrrev_b32_e32 v30, 16, v26
	v_and_b32_e32 v26, 0xffff, v26
	;;#ASMSTART
	v_cvt_f32_f16 v34, v34;
	;;#ASMEND
	;;#ASMSTART
	v_cvt_f32_f16 v25, v25;
	;;#ASMEND
	;; [unrolled: 3-line block ×5, first 2 shown]
	v_fmac_f32_e32 v82, v25, v26
	v_fmac_f32_e32 v58, v29, v30
	v_lshrrev_b32_e32 v26, 16, v31
	v_and_b32_e32 v25, 0xffff, v31
	v_lshrrev_b32_e32 v29, 16, v27
	v_and_b32_e32 v27, 0xffff, v27
	;;#ASMSTART
	v_cvt_f32_f16 v25, v25;
	;;#ASMEND
	;;#ASMSTART
	v_cvt_f32_f16 v26, v26;
	;;#ASMEND
	;; [unrolled: 3-line block ×4, first 2 shown]
	v_fmac_f32_e32 v83, v25, v27
	v_fmac_f32_e32 v59, v26, v29
	v_lshrrev_b32_e32 v26, 16, v32
	v_and_b32_e32 v25, 0xffff, v32
	v_and_b32_e32 v27, 0xffff, v28
	;;#ASMSTART
	v_cvt_f32_f16 v25, v25;
	;;#ASMEND
	;;#ASMSTART
	v_cvt_f32_f16 v26, v26;
	;;#ASMEND
	v_lshrrev_b32_e32 v29, 16, v28
	;;#ASMSTART
	v_cvt_f32_f16 v27, v27;
	;;#ASMEND
	;;#ASMSTART
	v_cvt_f32_f16 v28, v29;
	;;#ASMEND
	v_fmac_f32_e32 v84, v25, v27
	v_fmac_f32_e32 v60, v26, v28
	ds_read_b128 v[25:28], v71 offset:160
	s_waitcnt vmcnt(5)
	v_lshrrev_b32_e32 v30, 16, v21
	v_and_b32_e32 v21, 0xffff, v21
	v_fmac_f32_e32 v81, v33, v34
	s_waitcnt lgkmcnt(0)
	v_lshrrev_b32_e32 v29, 16, v25
	v_and_b32_e32 v25, 0xffff, v25
	;;#ASMSTART
	v_cvt_f32_f16 v25, v25;
	;;#ASMEND
	;;#ASMSTART
	v_cvt_f32_f16 v29, v29;
	;;#ASMEND
	;; [unrolled: 3-line block ×3, first 2 shown]
	v_fmac_f32_e32 v57, v25, v21
	v_lshrrev_b32_e32 v25, 16, v26
	v_and_b32_e32 v21, 0xffff, v26
	v_lshrrev_b32_e32 v26, 16, v22
	v_and_b32_e32 v22, 0xffff, v22
	;;#ASMSTART
	v_cvt_f32_f16 v30, v30;
	;;#ASMEND
	;;#ASMSTART
	v_cvt_f32_f16 v21, v21;
	;;#ASMEND
	;; [unrolled: 3-line block ×5, first 2 shown]
	v_fmac_f32_e32 v82, v21, v22
	v_fmac_f32_e32 v58, v25, v26
	v_lshrrev_b32_e32 v22, 16, v27
	v_and_b32_e32 v21, 0xffff, v27
	v_lshrrev_b32_e32 v25, 16, v23
	v_and_b32_e32 v23, 0xffff, v23
	;;#ASMSTART
	v_cvt_f32_f16 v21, v21;
	;;#ASMEND
	;;#ASMSTART
	v_cvt_f32_f16 v22, v22;
	;;#ASMEND
	;; [unrolled: 3-line block ×4, first 2 shown]
	v_fmac_f32_e32 v83, v21, v23
	v_fmac_f32_e32 v59, v22, v25
	v_lshrrev_b32_e32 v22, 16, v28
	v_and_b32_e32 v21, 0xffff, v28
	v_and_b32_e32 v23, 0xffff, v24
	;;#ASMSTART
	v_cvt_f32_f16 v21, v21;
	;;#ASMEND
	;;#ASMSTART
	v_cvt_f32_f16 v22, v22;
	;;#ASMEND
	v_lshrrev_b32_e32 v25, 16, v24
	;;#ASMSTART
	v_cvt_f32_f16 v23, v23;
	;;#ASMEND
	;;#ASMSTART
	v_cvt_f32_f16 v24, v25;
	;;#ASMEND
	v_fmac_f32_e32 v84, v21, v23
	v_fmac_f32_e32 v60, v22, v24
	ds_read_b128 v[21:24], v71 offset:176
	s_waitcnt vmcnt(4)
	v_lshrrev_b32_e32 v26, 16, v17
	v_and_b32_e32 v17, 0xffff, v17
	v_fmac_f32_e32 v81, v29, v30
	s_waitcnt lgkmcnt(0)
	v_lshrrev_b32_e32 v25, 16, v21
	v_and_b32_e32 v21, 0xffff, v21
	;;#ASMSTART
	v_cvt_f32_f16 v21, v21;
	;;#ASMEND
	;;#ASMSTART
	v_cvt_f32_f16 v25, v25;
	;;#ASMEND
	;; [unrolled: 3-line block ×3, first 2 shown]
	v_fmac_f32_e32 v57, v21, v17
	v_lshrrev_b32_e32 v21, 16, v22
	v_and_b32_e32 v17, 0xffff, v22
	v_lshrrev_b32_e32 v22, 16, v18
	v_and_b32_e32 v18, 0xffff, v18
	;;#ASMSTART
	v_cvt_f32_f16 v26, v26;
	;;#ASMEND
	;;#ASMSTART
	v_cvt_f32_f16 v17, v17;
	;;#ASMEND
	;; [unrolled: 3-line block ×5, first 2 shown]
	v_fmac_f32_e32 v82, v17, v18
	v_fmac_f32_e32 v58, v21, v22
	v_lshrrev_b32_e32 v18, 16, v23
	v_and_b32_e32 v17, 0xffff, v23
	v_lshrrev_b32_e32 v21, 16, v19
	v_and_b32_e32 v19, 0xffff, v19
	;;#ASMSTART
	v_cvt_f32_f16 v17, v17;
	;;#ASMEND
	;;#ASMSTART
	v_cvt_f32_f16 v18, v18;
	;;#ASMEND
	;; [unrolled: 3-line block ×4, first 2 shown]
	v_fmac_f32_e32 v83, v17, v19
	v_fmac_f32_e32 v59, v18, v21
	v_lshrrev_b32_e32 v18, 16, v24
	v_and_b32_e32 v17, 0xffff, v24
	v_and_b32_e32 v19, 0xffff, v20
	;;#ASMSTART
	v_cvt_f32_f16 v17, v17;
	;;#ASMEND
	;;#ASMSTART
	v_cvt_f32_f16 v18, v18;
	;;#ASMEND
	v_lshrrev_b32_e32 v21, 16, v20
	;;#ASMSTART
	v_cvt_f32_f16 v19, v19;
	;;#ASMEND
	;;#ASMSTART
	v_cvt_f32_f16 v20, v21;
	;;#ASMEND
	v_fmac_f32_e32 v84, v17, v19
	v_fmac_f32_e32 v60, v18, v20
	ds_read_b128 v[17:20], v71 offset:192
	s_waitcnt vmcnt(3)
	v_lshrrev_b32_e32 v22, 16, v13
	v_and_b32_e32 v13, 0xffff, v13
	v_fmac_f32_e32 v81, v25, v26
	s_waitcnt lgkmcnt(0)
	v_lshrrev_b32_e32 v21, 16, v17
	v_and_b32_e32 v17, 0xffff, v17
	;;#ASMSTART
	v_cvt_f32_f16 v17, v17;
	;;#ASMEND
	;;#ASMSTART
	v_cvt_f32_f16 v21, v21;
	;;#ASMEND
	;; [unrolled: 3-line block ×3, first 2 shown]
	v_fmac_f32_e32 v57, v17, v13
	v_lshrrev_b32_e32 v17, 16, v18
	v_and_b32_e32 v13, 0xffff, v18
	v_lshrrev_b32_e32 v18, 16, v14
	v_and_b32_e32 v14, 0xffff, v14
	;;#ASMSTART
	v_cvt_f32_f16 v22, v22;
	;;#ASMEND
	;;#ASMSTART
	v_cvt_f32_f16 v13, v13;
	;;#ASMEND
	;; [unrolled: 3-line block ×5, first 2 shown]
	v_fmac_f32_e32 v82, v13, v14
	v_fmac_f32_e32 v58, v17, v18
	v_lshrrev_b32_e32 v14, 16, v19
	v_and_b32_e32 v13, 0xffff, v19
	v_lshrrev_b32_e32 v17, 16, v15
	v_and_b32_e32 v15, 0xffff, v15
	;;#ASMSTART
	v_cvt_f32_f16 v13, v13;
	;;#ASMEND
	;;#ASMSTART
	v_cvt_f32_f16 v14, v14;
	;;#ASMEND
	;; [unrolled: 3-line block ×4, first 2 shown]
	v_fmac_f32_e32 v83, v13, v15
	v_fmac_f32_e32 v59, v14, v17
	v_lshrrev_b32_e32 v14, 16, v20
	v_and_b32_e32 v13, 0xffff, v20
	v_and_b32_e32 v15, 0xffff, v16
	;;#ASMSTART
	v_cvt_f32_f16 v13, v13;
	;;#ASMEND
	;;#ASMSTART
	v_cvt_f32_f16 v14, v14;
	;;#ASMEND
	v_lshrrev_b32_e32 v17, 16, v16
	;;#ASMSTART
	v_cvt_f32_f16 v15, v15;
	;;#ASMEND
	;;#ASMSTART
	v_cvt_f32_f16 v16, v17;
	;;#ASMEND
	v_fmac_f32_e32 v84, v13, v15
	v_fmac_f32_e32 v60, v14, v16
	ds_read_b128 v[13:16], v71 offset:208
	s_waitcnt vmcnt(2)
	v_lshrrev_b32_e32 v18, 16, v9
	v_and_b32_e32 v9, 0xffff, v9
	v_fmac_f32_e32 v81, v21, v22
	s_waitcnt lgkmcnt(0)
	v_lshrrev_b32_e32 v17, 16, v13
	v_and_b32_e32 v13, 0xffff, v13
	;;#ASMSTART
	v_cvt_f32_f16 v13, v13;
	;;#ASMEND
	;;#ASMSTART
	v_cvt_f32_f16 v17, v17;
	;;#ASMEND
	;; [unrolled: 3-line block ×3, first 2 shown]
	v_fmac_f32_e32 v57, v13, v9
	v_lshrrev_b32_e32 v13, 16, v14
	v_and_b32_e32 v9, 0xffff, v14
	v_lshrrev_b32_e32 v14, 16, v10
	v_and_b32_e32 v10, 0xffff, v10
	;;#ASMSTART
	v_cvt_f32_f16 v18, v18;
	;;#ASMEND
	;;#ASMSTART
	v_cvt_f32_f16 v9, v9;
	;;#ASMEND
	;; [unrolled: 3-line block ×5, first 2 shown]
	v_fmac_f32_e32 v82, v9, v10
	v_fmac_f32_e32 v58, v13, v14
	v_lshrrev_b32_e32 v10, 16, v15
	v_and_b32_e32 v9, 0xffff, v15
	v_lshrrev_b32_e32 v13, 16, v11
	v_and_b32_e32 v11, 0xffff, v11
	;;#ASMSTART
	v_cvt_f32_f16 v9, v9;
	;;#ASMEND
	;;#ASMSTART
	v_cvt_f32_f16 v10, v10;
	;;#ASMEND
	;; [unrolled: 3-line block ×4, first 2 shown]
	v_fmac_f32_e32 v83, v9, v11
	v_fmac_f32_e32 v59, v10, v13
	v_lshrrev_b32_e32 v10, 16, v16
	v_and_b32_e32 v9, 0xffff, v16
	v_and_b32_e32 v11, 0xffff, v12
	;;#ASMSTART
	v_cvt_f32_f16 v9, v9;
	;;#ASMEND
	;;#ASMSTART
	v_cvt_f32_f16 v10, v10;
	;;#ASMEND
	v_lshrrev_b32_e32 v13, 16, v12
	;;#ASMSTART
	v_cvt_f32_f16 v11, v11;
	;;#ASMEND
	;;#ASMSTART
	v_cvt_f32_f16 v12, v13;
	;;#ASMEND
	v_fmac_f32_e32 v84, v9, v11
	v_fmac_f32_e32 v60, v10, v12
	ds_read_b128 v[9:12], v71 offset:224
	s_waitcnt vmcnt(1)
	v_lshrrev_b32_e32 v14, 16, v5
	v_and_b32_e32 v5, 0xffff, v5
	v_fmac_f32_e32 v81, v17, v18
	s_waitcnt lgkmcnt(0)
	v_lshrrev_b32_e32 v13, 16, v9
	v_and_b32_e32 v9, 0xffff, v9
	;;#ASMSTART
	v_cvt_f32_f16 v9, v9;
	;;#ASMEND
	;;#ASMSTART
	v_cvt_f32_f16 v13, v13;
	;;#ASMEND
	;; [unrolled: 3-line block ×3, first 2 shown]
	v_fmac_f32_e32 v57, v9, v5
	v_lshrrev_b32_e32 v9, 16, v10
	v_and_b32_e32 v5, 0xffff, v10
	v_lshrrev_b32_e32 v10, 16, v6
	v_and_b32_e32 v6, 0xffff, v6
	;;#ASMSTART
	v_cvt_f32_f16 v14, v14;
	;;#ASMEND
	;;#ASMSTART
	v_cvt_f32_f16 v5, v5;
	;;#ASMEND
	;; [unrolled: 3-line block ×5, first 2 shown]
	v_fmac_f32_e32 v82, v5, v6
	v_fmac_f32_e32 v58, v9, v10
	v_lshrrev_b32_e32 v6, 16, v11
	v_and_b32_e32 v5, 0xffff, v11
	v_lshrrev_b32_e32 v9, 16, v7
	v_and_b32_e32 v7, 0xffff, v7
	;;#ASMSTART
	v_cvt_f32_f16 v5, v5;
	;;#ASMEND
	;;#ASMSTART
	v_cvt_f32_f16 v6, v6;
	;;#ASMEND
	;; [unrolled: 3-line block ×4, first 2 shown]
	v_fmac_f32_e32 v83, v5, v7
	v_fmac_f32_e32 v59, v6, v9
	v_lshrrev_b32_e32 v6, 16, v12
	v_and_b32_e32 v5, 0xffff, v12
	v_and_b32_e32 v7, 0xffff, v8
	;;#ASMSTART
	v_cvt_f32_f16 v5, v5;
	;;#ASMEND
	;;#ASMSTART
	v_cvt_f32_f16 v6, v6;
	;;#ASMEND
	v_lshrrev_b32_e32 v9, 16, v8
	;;#ASMSTART
	v_cvt_f32_f16 v7, v7;
	;;#ASMEND
	;;#ASMSTART
	v_cvt_f32_f16 v8, v9;
	;;#ASMEND
	v_fmac_f32_e32 v84, v5, v7
	v_fmac_f32_e32 v60, v6, v8
	ds_read_b128 v[5:8], v71 offset:240
	v_fmac_f32_e32 v81, v13, v14
	s_waitcnt vmcnt(0)
	v_lshrrev_b32_e32 v10, 16, v1
	v_and_b32_e32 v1, 0xffff, v1
	s_waitcnt lgkmcnt(0)
	v_lshrrev_b32_e32 v9, 16, v5
	v_and_b32_e32 v5, 0xffff, v5
	;;#ASMSTART
	v_cvt_f32_f16 v5, v5;
	;;#ASMEND
	;;#ASMSTART
	v_cvt_f32_f16 v9, v9;
	;;#ASMEND
	;; [unrolled: 3-line block ×3, first 2 shown]
	v_fmac_f32_e32 v57, v5, v1
	v_and_b32_e32 v1, 0xffff, v6
	;;#ASMSTART
	v_cvt_f32_f16 v10, v10;
	;;#ASMEND
	v_fmac_f32_e32 v81, v9, v10
	v_lshrrev_b32_e32 v5, 16, v6
	;;#ASMSTART
	v_cvt_f32_f16 v1, v1;
	;;#ASMEND
	v_lshrrev_b32_e32 v6, 16, v2
	v_and_b32_e32 v2, 0xffff, v2
	;;#ASMSTART
	v_cvt_f32_f16 v5, v5;
	;;#ASMEND
	;;#ASMSTART
	v_cvt_f32_f16 v2, v2;
	;;#ASMEND
	v_fmac_f32_e32 v82, v1, v2
	v_and_b32_e32 v1, 0xffff, v7
	;;#ASMSTART
	v_cvt_f32_f16 v6, v6;
	;;#ASMEND
	v_fmac_f32_e32 v58, v5, v6
	v_lshrrev_b32_e32 v2, 16, v7
	;;#ASMSTART
	v_cvt_f32_f16 v1, v1;
	;;#ASMEND
	v_lshrrev_b32_e32 v5, 16, v3
	v_and_b32_e32 v3, 0xffff, v3
	;;#ASMSTART
	v_cvt_f32_f16 v2, v2;
	;;#ASMEND
	;;#ASMSTART
	v_cvt_f32_f16 v3, v3;
	;;#ASMEND
	v_fmac_f32_e32 v83, v1, v3
	v_and_b32_e32 v1, 0xffff, v8
	;;#ASMSTART
	v_cvt_f32_f16 v5, v5;
	;;#ASMEND
	v_fmac_f32_e32 v59, v2, v5
	v_lshrrev_b32_e32 v2, 16, v8
	;;#ASMSTART
	v_cvt_f32_f16 v1, v1;
	;;#ASMEND
	v_and_b32_e32 v3, 0xffff, v4
	;;#ASMSTART
	v_cvt_f32_f16 v2, v2;
	;;#ASMEND
	;;#ASMSTART
	v_cvt_f32_f16 v3, v3;
	;;#ASMEND
	v_fmac_f32_e32 v84, v1, v3
	v_add_f32_e32 v1, v57, v81
	v_lshrrev_b32_e32 v5, 16, v4
	;;#ASMSTART
	v_cvt_f32_f16 v4, v5;
	;;#ASMEND
	v_fmac_f32_e32 v60, v2, v4
	v_add_f32_e32 v1, v1, v82
	v_add_f32_e32 v1, v58, v1
	;; [unrolled: 1-line block ×6, first 2 shown]
	v_fmac_f32_e32 v80, s3, v1
	v_cndmask_b32_e64 v1, 0, v80, s1
	ds_write_b32 v75, v1
	v_max_f32_e32 v1, v70, v70
	v_max_f32_e32 v1, v1, v80
	v_cndmask_b32_e64 v70, v70, v1, s1
	s_branch .LBB114_11
.LBB114_16:
	s_or_b32 exec_lo, exec_lo, s15
.LBB114_17:
	s_or_b32 exec_lo, exec_lo, s41
	v_mbcnt_lo_u32_b32 v1, -1, 0
	v_max_f32_e32 v5, v70, v70
	v_xor_b32_e32 v2, 16, v1
	v_xor_b32_e32 v4, 8, v1
	v_cmp_gt_i32_e32 vcc_lo, 32, v2
	v_cndmask_b32_e32 v2, v1, v2, vcc_lo
	v_cmp_gt_i32_e32 vcc_lo, 32, v4
	v_lshlrev_b32_e32 v2, 2, v2
	v_cndmask_b32_e32 v4, v1, v4, vcc_lo
	ds_bpermute_b32 v3, v2, v70
	s_waitcnt lgkmcnt(0)
	v_max_f32_e32 v6, v3, v3
	v_lshlrev_b32_e32 v3, 2, v4
	v_max_f32_e32 v4, v5, v6
	v_xor_b32_e32 v6, 4, v1
	ds_bpermute_b32 v5, v3, v4
	v_cmp_gt_i32_e32 vcc_lo, 32, v6
	v_cndmask_b32_e32 v6, v1, v6, vcc_lo
	s_waitcnt lgkmcnt(0)
	v_max_f32_e32 v7, v5, v5
	v_lshlrev_b32_e32 v5, 2, v6
	v_max_f32_e32 v4, v4, v7
	v_xor_b32_e32 v7, 2, v1
	ds_bpermute_b32 v6, v5, v4
	v_cmp_gt_i32_e32 vcc_lo, 32, v7
	v_cndmask_b32_e32 v7, v1, v7, vcc_lo
	v_lshlrev_b32_e32 v12, 2, v7
	v_xor_b32_e32 v7, 1, v1
	v_cmp_gt_i32_e32 vcc_lo, 32, v7
	s_waitcnt lgkmcnt(0)
	v_max_f32_e32 v6, v6, v6
	v_cndmask_b32_e32 v7, v1, v7, vcc_lo
	v_cmp_eq_u32_e32 vcc_lo, 0, v66
	v_max_f32_e32 v4, v4, v6
	v_lshlrev_b32_e32 v11, 2, v7
	ds_bpermute_b32 v6, v12, v4
	s_waitcnt lgkmcnt(0)
	v_max_f32_e32 v6, v6, v6
	v_max_f32_e32 v1, v4, v6
	v_lshlrev_b32_e32 v6, 2, v65
	ds_bpermute_b32 v4, v11, v1
	s_and_saveexec_b32 s1, vcc_lo
	s_cbranch_execz .LBB114_19
; %bb.18:
	s_waitcnt lgkmcnt(0)
	v_max_f32_e32 v4, v4, v4
	v_max_f32_e32 v1, v1, v1
	v_max_f32_e32 v1, v1, v4
	ds_write_b32 v6, v1 offset:256
.LBB114_19:
	s_or_b32 exec_lo, exec_lo, s1
	v_cmp_gt_u32_e64 s1, 4, v66
	v_mov_b32_e32 v1, 0xff7fffff
	s_waitcnt lgkmcnt(0)
	s_barrier
	buffer_gl0_inv
	s_and_saveexec_b32 s2, s1
; %bb.20:
	ds_read_b32 v1, v69 offset:256
; %bb.21:
	s_or_b32 exec_lo, exec_lo, s2
	s_waitcnt lgkmcnt(0)
	ds_bpermute_b32 v4, v12, v1
	v_max_f32_e32 v1, v1, v1
	v_mov_b32_e32 v7, 0
	s_sub_i32 s2, s16, s40
	s_lshl_b32 s2, s2, 5
	s_add_i32 s2, s2, s37
	s_min_i32 s2, s2, s27
	s_sub_i32 s4, s2, s37
	v_cmp_gt_i32_e64 s2, s4, v0
	s_waitcnt lgkmcnt(0)
	v_max_f32_e32 v4, v4, v4
	v_max_f32_e32 v1, v1, v4
	ds_bpermute_b32 v4, v11, v1
	s_waitcnt lgkmcnt(0)
	v_max_f32_e32 v4, v4, v4
	v_max_f32_e32 v1, v1, v4
	v_lshl_add_u32 v4, v0, 2, 0x120
	ds_bpermute_b32 v1, v7, v1
	s_and_saveexec_b32 s5, s2
	s_cbranch_execz .LBB114_25
; %bb.22:
	v_lshl_add_u32 v8, v0, 2, 0x120
	v_mov_b32_e32 v7, 0
	v_mov_b32_e32 v9, v0
	s_mov_b32 s15, 0
	.p2align	6
.LBB114_23:                             ; =>This Inner Loop Header: Depth=1
	ds_read_b32 v10, v8
	v_add_nc_u32_e32 v9, 0x80, v9
	v_cmp_le_i32_e64 s3, s4, v9
	s_or_b32 s15, s3, s15
	s_waitcnt lgkmcnt(0)
	v_sub_f32_e32 v10, v10, v1
	v_mul_f32_e32 v10, 0x3fb8aa3b, v10
	v_exp_f32_e32 v10, v10
	ds_write_b32 v8, v10
	v_add_f32_e32 v7, v7, v10
	v_add_nc_u32_e32 v8, 0x200, v8
	s_andn2_b32 exec_lo, exec_lo, s15
	s_cbranch_execnz .LBB114_23
; %bb.24:
	s_or_b32 exec_lo, exec_lo, s15
.LBB114_25:
	s_or_b32 exec_lo, exec_lo, s5
	ds_bpermute_b32 v2, v2, v7
	s_waitcnt lgkmcnt(0)
	v_add_f32_e32 v2, v7, v2
	ds_bpermute_b32 v3, v3, v2
	s_waitcnt lgkmcnt(0)
	v_add_f32_e32 v2, v2, v3
	ds_bpermute_b32 v3, v5, v2
	s_waitcnt lgkmcnt(0)
	v_add_f32_e32 v2, v2, v3
	ds_bpermute_b32 v3, v12, v2
	s_waitcnt lgkmcnt(0)
	v_add_f32_e32 v2, v2, v3
	ds_bpermute_b32 v3, v11, v2
	s_waitcnt lgkmcnt(0)
	v_add_f32_e32 v2, v2, v3
	s_and_saveexec_b32 s3, vcc_lo
; %bb.26:
	ds_write_b32 v6, v2 offset:272
; %bb.27:
	s_or_b32 exec_lo, exec_lo, s3
	s_waitcnt lgkmcnt(0)
	s_barrier
	buffer_gl0_inv
	s_and_saveexec_b32 s3, s1
; %bb.28:
	ds_read_b32 v2, v69 offset:272
; %bb.29:
	s_or_b32 exec_lo, exec_lo, s3
	s_waitcnt lgkmcnt(0)
	ds_bpermute_b32 v3, v12, v2
	s_waitcnt lgkmcnt(0)
	v_add_f32_e32 v2, v2, v3
	ds_bpermute_b32 v3, v11, v2
	s_waitcnt lgkmcnt(0)
	v_add_f32_e32 v2, v2, v3
	v_mov_b32_e32 v3, 0
	ds_bpermute_b32 v2, v3, v2
	s_and_saveexec_b32 s1, s2
	s_cbranch_execz .LBB114_32
; %bb.30:
	s_waitcnt lgkmcnt(0)
	v_add_f32_e32 v3, 0x358637bd, v2
	s_mov_b32 s2, 0
	v_div_scale_f32 v5, null, v3, v3, 1.0
	v_div_scale_f32 v8, vcc_lo, 1.0, v3, 1.0
	v_rcp_f32_e32 v6, v5
	v_fma_f32 v7, -v5, v6, 1.0
	v_fmac_f32_e32 v6, v7, v6
	v_mul_f32_e32 v7, v8, v6
	v_fma_f32 v9, -v5, v7, v8
	v_fmac_f32_e32 v7, v9, v6
	v_fma_f32 v5, -v5, v7, v8
	v_div_fmas_f32 v5, v5, v6, v7
	v_div_fixup_f32 v3, v5, v3, 1.0
	v_mov_b32_e32 v5, v0
.LBB114_31:                             ; =>This Inner Loop Header: Depth=1
	ds_read_b32 v6, v4
	v_add_nc_u32_e32 v5, 0x80, v5
	v_cmp_le_i32_e32 vcc_lo, s4, v5
	s_or_b32 s2, vcc_lo, s2
	s_waitcnt lgkmcnt(0)
	v_mul_f32_e32 v6, v3, v6
	ds_write_b32 v4, v6
	v_add_nc_u32_e32 v4, 0x200, v4
	s_andn2_b32 exec_lo, exec_lo, s2
	s_cbranch_execnz .LBB114_31
.LBB114_32:
	s_or_b32 exec_lo, exec_lo, s1
	s_mul_i32 s1, s7, s26
	s_waitcnt lgkmcnt(0)
	s_mul_i32 s2, s1, s9
	s_mov_b32 s1, exec_lo
	s_barrier
	buffer_gl0_inv
	v_cmpx_eq_u32_e32 0, v0
	s_cbranch_execz .LBB114_34
; %bb.33:
	s_ashr_i32 s3, s2, 31
	s_mul_i32 s40, s7, s6
	s_lshl_b64 s[4:5], s[2:3], 2
	v_mov_b32_e32 v3, 0
	s_add_u32 s3, s22, s4
	s_addc_u32 s6, s23, s5
	s_ashr_i32 s41, s40, 31
	s_lshl_b64 s[22:23], s[40:41], 2
	s_add_u32 s3, s3, s22
	s_addc_u32 s6, s6, s23
	s_ashr_i32 s9, s8, 31
	s_lshl_b64 s[40:41], s[8:9], 2
	s_add_u32 s42, s3, s40
	s_addc_u32 s43, s6, s41
	s_add_u32 s3, s20, s4
	s_addc_u32 s4, s21, s5
	s_add_u32 s3, s3, s22
	s_addc_u32 s5, s4, s23
	s_add_u32 s4, s3, s40
	s_addc_u32 s5, s5, s41
	global_store_dword v3, v1, s[42:43]
	global_store_dword v3, v2, s[4:5]
.LBB114_34:
	s_or_b32 exec_lo, exec_lo, s1
	v_mov_b32_e32 v29, 0
	v_and_b32_e32 v13, 3, v0
	v_mov_b32_e32 v28, 0
	v_mov_b32_e32 v27, 0
	;; [unrolled: 1-line block ×15, first 2 shown]
	s_and_saveexec_b32 s3, s0
	s_cbranch_execz .LBB114_72
; %bb.35:
	s_ashr_i32 s15, s14, 31
	s_sub_i32 s4, s38, s17
	s_lshl_b64 s[0:1], s[14:15], 1
	v_lshlrev_b32_e32 v3, 3, v0
	s_add_u32 s6, s34, s0
	s_addc_u32 s9, s35, s1
	s_abs_i32 s5, s18
	v_lshlrev_b32_e32 v6, 5, v13
	v_cvt_f32_u32_e32 v4, s5
	s_sub_i32 s0, 0, s5
	v_and_b32_e32 v31, 24, v3
	v_lshlrev_b64 v[1:2], 2, v[61:62]
	v_and_b32_e32 v5, 0x1f0, v68
	v_rcp_iflag_f32_e32 v4, v4
	s_add_i32 s36, s36, -1
	v_lshl_or_b32 v6, v65, 7, v6
	v_mov_b32_e32 v30, 0
	v_add_co_u32 v32, s6, s6, v5
	v_mov_b32_e32 v14, 0
	v_mov_b32_e32 v15, 0
	;; [unrolled: 1-line block ×4, first 2 shown]
	v_mul_f32_e32 v4, 0x4f7ffffe, v4
	v_mov_b32_e32 v18, 0
	v_mov_b32_e32 v19, 0
	;; [unrolled: 1-line block ×4, first 2 shown]
	v_cvt_u32_f32_e32 v4, v4
	v_mov_b32_e32 v22, 0
	v_mov_b32_e32 v23, 0
	v_mov_b32_e32 v24, 0
	v_mov_b32_e32 v25, 0
	v_mul_lo_u32 v3, s0, v4
	s_lshl_b64 s[0:1], s[30:31], 2
	v_mov_b32_e32 v26, 0
	s_add_u32 s0, s28, s0
	s_addc_u32 s1, s29, s1
	v_add_co_u32 v5, vcc_lo, s0, v1
	v_mov_b32_e32 v27, 0
	v_mul_hi_u32 v3, v4, v3
	v_mov_b32_e32 v28, 0
	v_add_co_ci_u32_e64 v33, null, s9, 0, s6
	v_add_nc_u32_e32 v34, 0x120, v6
	v_add_co_ci_u32_e64 v6, null, s1, v2, vcc_lo
	v_mov_b32_e32 v29, 0
	v_add_nc_u32_e32 v35, v4, v3
	s_mov_b32 s9, s13
	s_mov_b32 s6, 0
	s_branch .LBB114_38
.LBB114_36:                             ;   in Loop: Header=BB114_38 Depth=1
	s_or_b32 exec_lo, exec_lo, s1
	v_add_f32_e32 v9, v9, v10
	v_add_f32_e32 v10, v70, v71
	;; [unrolled: 1-line block ×3, first 2 shown]
	v_lshlrev_b32_e32 v8, 16, v8
	v_lshlrev_b32_e32 v7, 16, v7
	v_add_f32_e32 v37, v76, v77
	v_add_f32_e32 v20, v20, v10
	v_lshlrev_b32_e32 v10, 16, v78
	v_add_f32_e32 v43, v74, v75
	v_add_f32_e32 v15, v15, v36
	;; [unrolled: 1-line block ×4, first 2 shown]
	v_and_or_b32 v1, 0xffff, v1, v10
	v_add_f32_e32 v36, v68, v69
	v_and_or_b32 v2, 0xffff, v2, v8
	v_and_or_b32 v3, 0xffff, v3, v7
	;;#ASMSTART
	v_pk_mul_f16 v1, v39, v1;

	;;#ASMEND
	;;#ASMSTART
	v_pk_mul_f16 v2, v38, v2;

	;;#ASMEND
	;; [unrolled: 4-line block ×4, first 2 shown]
	;;#ASMSTART
	v_pk_add_f16 v1, v1, v2;

	;;#ASMEND
	;;#ASMSTART
	v_pk_add_f16 v1, v1, v3;

	;;#ASMEND
	;; [unrolled: 4-line block ×3, first 2 shown]
	v_and_b32_e32 v4, 0xffff, v1
	v_lshrrev_b32_e32 v8, 16, v1
	;;#ASMSTART
	v_cvt_f32_f16 v4, v4;
	;;#ASMEND
	v_add_f32_e32 v16, v16, v37
	v_add_f32_e32 v17, v17, v43
	;; [unrolled: 1-line block ×12, first 2 shown]
	;;#ASMSTART
	v_cvt_f32_f16 v8, v8;
	;;#ASMEND
	v_add_f32_e32 v4, v4, v8
	v_add_f32_e32 v22, v22, v37
	;; [unrolled: 1-line block ×10, first 2 shown]
.LBB114_37:                             ;   in Loop: Header=BB114_38 Depth=1
	s_or_b32 exec_lo, exec_lo, s13
	v_add_nc_u32_e32 v61, 4, v61
	v_add_co_u32 v5, s0, v5, 16
	v_add_co_ci_u32_e64 v6, null, 0, v6, s0
	v_cmp_le_i32_e32 vcc_lo, s16, v61
	v_add_nc_u32_e32 v67, 0x80, v67
	v_add_nc_u32_e32 v34, 0x200, v34
	s_or_b32 s6, vcc_lo, s6
	s_andn2_b32 exec_lo, exec_lo, s6
	s_cbranch_execz .LBB114_71
.LBB114_38:                             ; =>This Inner Loop Header: Depth=1
	v_sub_nc_u32_e32 v1, 0, v67
	v_max_i32_e32 v1, v67, v1
	v_mul_hi_u32 v2, v1, s12
	v_mul_lo_u32 v3, v2, s11
	v_sub_nc_u32_e32 v1, v1, v3
	v_add_nc_u32_e32 v3, 1, v2
	v_subrev_nc_u32_e32 v4, s11, v1
	v_cmp_le_u32_e32 vcc_lo, s11, v1
	v_cndmask_b32_e32 v2, v2, v3, vcc_lo
	v_cndmask_b32_e32 v1, v1, v4, vcc_lo
	v_ashrrev_i32_e32 v3, 31, v67
	v_add_nc_u32_e32 v4, 1, v2
	v_cmp_le_u32_e32 vcc_lo, s11, v1
	v_xor_b32_e32 v3, s19, v3
	v_cndmask_b32_e32 v1, v2, v4, vcc_lo
	v_xor_b32_e32 v1, v1, v3
	v_sub_nc_u32_e32 v1, v1, v3
	v_add_nc_u32_e32 v2, s33, v1
	v_cmp_lt_i32_e64 s0, s4, v1
	v_sub_nc_u32_e32 v3, 0, v2
	v_max_i32_e32 v3, v2, v3
	v_ashrrev_i32_e32 v2, 31, v2
	v_mul_hi_u32 v4, v3, v35
	v_mul_lo_u32 v4, v4, s5
	v_sub_nc_u32_e32 v3, v3, v4
	v_subrev_nc_u32_e32 v4, s5, v3
	v_cmp_le_u32_e32 vcc_lo, s5, v3
	v_cndmask_b32_e32 v3, v3, v4, vcc_lo
	v_subrev_nc_u32_e32 v4, s5, v3
	v_cmp_le_u32_e32 vcc_lo, s5, v3
	v_cndmask_b32_e32 v3, v3, v4, vcc_lo
	v_xor_b32_e32 v3, v3, v2
	v_sub_nc_u32_e32 v2, v3, v2
	v_cmp_eq_u32_e32 vcc_lo, 0, v2
	s_or_b32 s0, vcc_lo, s0
	s_and_saveexec_b32 s13, s0
	s_cbranch_execz .LBB114_37
; %bb.39:                               ;   in Loop: Header=BB114_38 Depth=1
	global_load_dword v7, v[5:6], off
	ds_read2_b64 v[1:4], v34 offset1:1
	ds_read2_b64 v[44:47], v34 offset0:2 offset1:3
	v_cmp_eq_u32_e64 s0, s36, v61
	s_waitcnt lgkmcnt(1)
	;;#ASMSTART
	v_cvt_f16_f32 v39, v1;

	;;#ASMEND
	;;#ASMSTART
	v_cvt_f16_f32 v38, v2;

	;;#ASMEND
	;; [unrolled: 4-line block ×4, first 2 shown]
	s_waitcnt lgkmcnt(0)
	;;#ASMSTART
	v_cvt_f16_f32 v44, v44;

	;;#ASMEND
	;;#ASMSTART
	v_cvt_f16_f32 v10, v45;

	;;#ASMEND
	;; [unrolled: 4-line block ×4, first 2 shown]
	v_add_nc_u32_e32 v47, v31, v67
	v_add_nc_u32_e32 v49, 1, v47
	;; [unrolled: 1-line block ×8, first 2 shown]
	s_waitcnt vmcnt(0)
	v_mad_i64_i32 v[7:8], null, v7, s9, 0
	v_lshlrev_b64 v[7:8], 1, v[7:8]
	v_add_co_u32 v7, vcc_lo, v32, v7
	v_add_co_ci_u32_e64 v8, null, v33, v8, vcc_lo
	global_load_dwordx4 v[1:4], v[7:8], off
	s_waitcnt vmcnt(0)
	v_lshrrev_b32_e32 v52, 16, v1
	v_lshrrev_b32_e32 v51, 16, v2
	;; [unrolled: 1-line block ×3, first 2 shown]
	s_and_saveexec_b32 s14, s0
	s_cbranch_execz .LBB114_41
; %bb.40:                               ;   in Loop: Header=BB114_38 Depth=1
	v_cmp_gt_i32_e32 vcc_lo, s27, v47
	v_and_b32_e32 v53, 0xffff0000, v4
	v_cmp_gt_i32_e64 s1, s27, v46
	v_cndmask_b32_e32 v1, 0, v1, vcc_lo
	v_cmp_gt_i32_e32 vcc_lo, s27, v49
	v_cndmask_b32_e64 v2, 0, v2, s1
	v_cmp_gt_i32_e64 s1, s27, v45
	v_cndmask_b32_e32 v52, 0, v52, vcc_lo
	v_cmp_gt_i32_e32 vcc_lo, s27, v48
	v_cndmask_b32_e64 v51, 0, v51, s1
	v_cndmask_b32_sdwa v4, v30, v4, vcc_lo dst_sel:DWORD dst_unused:UNUSED_PAD src0_sel:DWORD src1_sel:WORD_0
	v_cmp_gt_i32_e32 vcc_lo, s27, v43
	v_cndmask_b32_e32 v53, 0, v53, vcc_lo
	v_cmp_gt_i32_e32 vcc_lo, s27, v37
	v_or_b32_e32 v4, v4, v53
	v_cndmask_b32_e32 v3, 0, v3, vcc_lo
	v_cmp_gt_i32_e32 vcc_lo, s27, v36
	v_cndmask_b32_e32 v50, 0, v50, vcc_lo
.LBB114_41:                             ;   in Loop: Header=BB114_38 Depth=1
	s_or_b32 exec_lo, exec_lo, s14
	v_and_b32_e32 v39, 0xffff, v39
	v_and_b32_e32 v42, 0xffff, v42
	v_lshlrev_b32_e32 v52, 16, v52
	v_lshlrev_b32_e32 v50, 16, v50
	v_and_b32_e32 v44, 0xffff, v44
	v_lshl_or_b32 v39, v38, 16, v39
	v_lshl_or_b32 v38, v40, 16, v42
	v_lshlrev_b32_e32 v40, 16, v51
	v_and_b32_e32 v41, 0xffff, v41
	v_and_or_b32 v1, 0xffff, v1, v52
	v_and_or_b32 v3, 0xffff, v3, v50
	;;#ASMSTART
	v_pk_mul_f16 v1, v39, v1;

	;;#ASMEND
	v_and_or_b32 v2, 0xffff, v2, v40
	v_lshl_or_b32 v42, v10, 16, v44
	v_lshl_or_b32 v44, v9, 16, v41
	;;#ASMSTART
	v_pk_mul_f16 v2, v38, v2;

	;;#ASMEND
	;;#ASMSTART
	v_pk_mul_f16 v3, v42, v3;

	;;#ASMEND
	;; [unrolled: 4-line block ×3, first 2 shown]
	;;#ASMSTART
	v_pk_add_f16 v1, v1, v2;

	;;#ASMEND
	;;#ASMSTART
	v_pk_add_f16 v1, v1, v3;

	;;#ASMEND
	;; [unrolled: 4-line block ×3, first 2 shown]
	v_and_b32_e32 v2, 0xffff, v1
	v_lshrrev_b32_e32 v1, 16, v1
	;;#ASMSTART
	v_cvt_f32_f16 v40, v2;
	;;#ASMEND
	;;#ASMSTART
	v_cvt_f32_f16 v41, v1;
	;;#ASMEND
	global_load_dwordx4 v[1:4], v[7:8], off offset:512
	s_waitcnt vmcnt(0)
	v_lshrrev_b32_e32 v50, 16, v1
	v_lshrrev_b32_e32 v10, 16, v2
	;; [unrolled: 1-line block ×3, first 2 shown]
	s_and_saveexec_b32 s14, s0
	s_cbranch_execz .LBB114_43
; %bb.42:                               ;   in Loop: Header=BB114_38 Depth=1
	v_cmp_gt_i32_e32 vcc_lo, s27, v47
	v_and_b32_e32 v51, 0xffff0000, v4
	v_cmp_gt_i32_e64 s1, s27, v46
	v_cndmask_b32_e32 v1, 0, v1, vcc_lo
	v_cmp_gt_i32_e32 vcc_lo, s27, v49
	v_cndmask_b32_e64 v2, 0, v2, s1
	v_cmp_gt_i32_e64 s1, s27, v45
	v_cndmask_b32_e32 v50, 0, v50, vcc_lo
	v_cmp_gt_i32_e32 vcc_lo, s27, v48
	v_cndmask_b32_e64 v10, 0, v10, s1
	v_cndmask_b32_sdwa v4, v30, v4, vcc_lo dst_sel:DWORD dst_unused:UNUSED_PAD src0_sel:DWORD src1_sel:WORD_0
	v_cmp_gt_i32_e32 vcc_lo, s27, v43
	v_cndmask_b32_e32 v51, 0, v51, vcc_lo
	v_cmp_gt_i32_e32 vcc_lo, s27, v37
	v_or_b32_e32 v4, v4, v51
	v_cndmask_b32_e32 v3, 0, v3, vcc_lo
	v_cmp_gt_i32_e32 vcc_lo, s27, v36
	v_cndmask_b32_e32 v9, 0, v9, vcc_lo
.LBB114_43:                             ;   in Loop: Header=BB114_38 Depth=1
	s_or_b32 exec_lo, exec_lo, s14
	v_lshlrev_b32_e32 v50, 16, v50
	v_lshlrev_b32_e32 v10, 16, v10
	;; [unrolled: 1-line block ×3, first 2 shown]
	v_and_or_b32 v1, 0xffff, v1, v50
	v_and_or_b32 v2, 0xffff, v2, v10
	;; [unrolled: 1-line block ×3, first 2 shown]
	;;#ASMSTART
	v_pk_mul_f16 v1, v39, v1;

	;;#ASMEND
	;;#ASMSTART
	v_pk_mul_f16 v2, v38, v2;

	;;#ASMEND
	;;#ASMSTART
	v_pk_mul_f16 v3, v42, v3;

	;;#ASMEND
	;;#ASMSTART
	v_pk_mul_f16 v4, v44, v4;

	;;#ASMEND
	;;#ASMSTART
	v_pk_add_f16 v1, v1, v2;

	;;#ASMEND
	;;#ASMSTART
	v_pk_add_f16 v1, v1, v3;

	;;#ASMEND
	;;#ASMSTART
	v_pk_add_f16 v1, v1, v4;

	;;#ASMEND
	v_and_b32_e32 v2, 0xffff, v1
	v_lshrrev_b32_e32 v1, 16, v1
	;;#ASMSTART
	v_cvt_f32_f16 v50, v2;
	;;#ASMEND
	;;#ASMSTART
	v_cvt_f32_f16 v51, v1;
	;;#ASMEND
	global_load_dwordx4 v[1:4], v[7:8], off offset:1024
	s_waitcnt vmcnt(0)
	v_lshrrev_b32_e32 v52, 16, v1
	v_lshrrev_b32_e32 v10, 16, v2
	;; [unrolled: 1-line block ×3, first 2 shown]
	s_and_saveexec_b32 s14, s0
	s_cbranch_execz .LBB114_45
; %bb.44:                               ;   in Loop: Header=BB114_38 Depth=1
	v_cmp_gt_i32_e32 vcc_lo, s27, v47
	v_and_b32_e32 v53, 0xffff0000, v4
	v_cmp_gt_i32_e64 s1, s27, v46
	v_cndmask_b32_e32 v1, 0, v1, vcc_lo
	v_cmp_gt_i32_e32 vcc_lo, s27, v49
	v_cndmask_b32_e64 v2, 0, v2, s1
	v_cmp_gt_i32_e64 s1, s27, v45
	v_cndmask_b32_e32 v52, 0, v52, vcc_lo
	v_cmp_gt_i32_e32 vcc_lo, s27, v48
	v_cndmask_b32_e64 v10, 0, v10, s1
	v_cndmask_b32_sdwa v4, v30, v4, vcc_lo dst_sel:DWORD dst_unused:UNUSED_PAD src0_sel:DWORD src1_sel:WORD_0
	v_cmp_gt_i32_e32 vcc_lo, s27, v43
	v_cndmask_b32_e32 v53, 0, v53, vcc_lo
	v_cmp_gt_i32_e32 vcc_lo, s27, v37
	v_or_b32_e32 v4, v4, v53
	v_cndmask_b32_e32 v3, 0, v3, vcc_lo
	v_cmp_gt_i32_e32 vcc_lo, s27, v36
	v_cndmask_b32_e32 v9, 0, v9, vcc_lo
.LBB114_45:                             ;   in Loop: Header=BB114_38 Depth=1
	s_or_b32 exec_lo, exec_lo, s14
	v_lshlrev_b32_e32 v52, 16, v52
	v_lshlrev_b32_e32 v10, 16, v10
	;; [unrolled: 1-line block ×3, first 2 shown]
	v_and_or_b32 v1, 0xffff, v1, v52
	v_and_or_b32 v2, 0xffff, v2, v10
	v_and_or_b32 v3, 0xffff, v3, v9
	;;#ASMSTART
	v_pk_mul_f16 v1, v39, v1;

	;;#ASMEND
	;;#ASMSTART
	v_pk_mul_f16 v2, v38, v2;

	;;#ASMEND
	;; [unrolled: 4-line block ×4, first 2 shown]
	;;#ASMSTART
	v_pk_add_f16 v1, v1, v2;

	;;#ASMEND
	;;#ASMSTART
	v_pk_add_f16 v1, v1, v3;

	;;#ASMEND
	;; [unrolled: 4-line block ×3, first 2 shown]
	v_and_b32_e32 v2, 0xffff, v1
	v_lshrrev_b32_e32 v1, 16, v1
	;;#ASMSTART
	v_cvt_f32_f16 v52, v2;
	;;#ASMEND
	;;#ASMSTART
	v_cvt_f32_f16 v53, v1;
	;;#ASMEND
	global_load_dwordx4 v[1:4], v[7:8], off offset:1536
	s_waitcnt vmcnt(0)
	v_lshrrev_b32_e32 v54, 16, v1
	v_lshrrev_b32_e32 v10, 16, v2
	;; [unrolled: 1-line block ×3, first 2 shown]
	s_and_saveexec_b32 s14, s0
	s_cbranch_execz .LBB114_47
; %bb.46:                               ;   in Loop: Header=BB114_38 Depth=1
	v_cmp_gt_i32_e32 vcc_lo, s27, v47
	v_and_b32_e32 v55, 0xffff0000, v4
	v_cmp_gt_i32_e64 s1, s27, v46
	v_cndmask_b32_e32 v1, 0, v1, vcc_lo
	v_cmp_gt_i32_e32 vcc_lo, s27, v49
	v_cndmask_b32_e64 v2, 0, v2, s1
	v_cmp_gt_i32_e64 s1, s27, v45
	v_cndmask_b32_e32 v54, 0, v54, vcc_lo
	v_cmp_gt_i32_e32 vcc_lo, s27, v48
	v_cndmask_b32_e64 v10, 0, v10, s1
	v_cndmask_b32_sdwa v4, v30, v4, vcc_lo dst_sel:DWORD dst_unused:UNUSED_PAD src0_sel:DWORD src1_sel:WORD_0
	v_cmp_gt_i32_e32 vcc_lo, s27, v43
	v_cndmask_b32_e32 v55, 0, v55, vcc_lo
	v_cmp_gt_i32_e32 vcc_lo, s27, v37
	v_or_b32_e32 v4, v4, v55
	v_cndmask_b32_e32 v3, 0, v3, vcc_lo
	v_cmp_gt_i32_e32 vcc_lo, s27, v36
	v_cndmask_b32_e32 v9, 0, v9, vcc_lo
.LBB114_47:                             ;   in Loop: Header=BB114_38 Depth=1
	s_or_b32 exec_lo, exec_lo, s14
	v_lshlrev_b32_e32 v9, 16, v9
	v_lshlrev_b32_e32 v54, 16, v54
	;; [unrolled: 1-line block ×3, first 2 shown]
	v_and_or_b32 v3, 0xffff, v3, v9
	v_add_co_u32 v9, vcc_lo, 0x800, v7
	v_and_or_b32 v1, 0xffff, v1, v54
	v_and_or_b32 v2, 0xffff, v2, v10
	;;#ASMSTART
	v_pk_mul_f16 v1, v39, v1;

	;;#ASMEND
	v_add_co_ci_u32_e64 v10, null, 0, v8, vcc_lo
	;;#ASMSTART
	v_pk_mul_f16 v2, v38, v2;

	;;#ASMEND
	;;#ASMSTART
	v_pk_mul_f16 v3, v42, v3;

	;;#ASMEND
	;;#ASMSTART
	v_pk_mul_f16 v4, v44, v4;

	;;#ASMEND
	;;#ASMSTART
	v_pk_add_f16 v1, v1, v2;

	;;#ASMEND
	;;#ASMSTART
	v_pk_add_f16 v1, v1, v3;

	;;#ASMEND
	;; [unrolled: 4-line block ×3, first 2 shown]
	v_lshrrev_b32_e32 v2, 16, v1
	v_and_b32_e32 v1, 0xffff, v1
	;;#ASMSTART
	v_cvt_f32_f16 v54, v1;
	;;#ASMEND
	;;#ASMSTART
	v_cvt_f32_f16 v55, v2;
	;;#ASMEND
	global_load_dwordx4 v[1:4], v[9:10], off
	s_waitcnt vmcnt(0)
	v_lshrrev_b32_e32 v58, 16, v1
	v_lshrrev_b32_e32 v57, 16, v2
	;; [unrolled: 1-line block ×3, first 2 shown]
	s_and_saveexec_b32 s14, s0
	s_cbranch_execz .LBB114_49
; %bb.48:                               ;   in Loop: Header=BB114_38 Depth=1
	v_cmp_gt_i32_e32 vcc_lo, s27, v47
	v_and_b32_e32 v59, 0xffff0000, v4
	v_cmp_gt_i32_e64 s1, s27, v46
	v_cndmask_b32_e32 v1, 0, v1, vcc_lo
	v_cmp_gt_i32_e32 vcc_lo, s27, v49
	v_cndmask_b32_e64 v2, 0, v2, s1
	v_cmp_gt_i32_e64 s1, s27, v45
	v_cndmask_b32_e32 v58, 0, v58, vcc_lo
	v_cmp_gt_i32_e32 vcc_lo, s27, v48
	v_cndmask_b32_e64 v57, 0, v57, s1
	v_cndmask_b32_sdwa v4, v30, v4, vcc_lo dst_sel:DWORD dst_unused:UNUSED_PAD src0_sel:DWORD src1_sel:WORD_0
	v_cmp_gt_i32_e32 vcc_lo, s27, v43
	v_cndmask_b32_e32 v59, 0, v59, vcc_lo
	v_cmp_gt_i32_e32 vcc_lo, s27, v37
	v_or_b32_e32 v4, v4, v59
	v_cndmask_b32_e32 v3, 0, v3, vcc_lo
	v_cmp_gt_i32_e32 vcc_lo, s27, v36
	v_cndmask_b32_e32 v56, 0, v56, vcc_lo
.LBB114_49:                             ;   in Loop: Header=BB114_38 Depth=1
	s_or_b32 exec_lo, exec_lo, s14
	v_lshlrev_b32_e32 v58, 16, v58
	v_lshlrev_b32_e32 v57, 16, v57
	;; [unrolled: 1-line block ×3, first 2 shown]
	v_and_or_b32 v1, 0xffff, v1, v58
	v_and_or_b32 v2, 0xffff, v2, v57
	;; [unrolled: 1-line block ×3, first 2 shown]
	;;#ASMSTART
	v_pk_mul_f16 v1, v39, v1;

	;;#ASMEND
	;;#ASMSTART
	v_pk_mul_f16 v2, v38, v2;

	;;#ASMEND
	;;#ASMSTART
	v_pk_mul_f16 v3, v42, v3;

	;;#ASMEND
	;;#ASMSTART
	v_pk_mul_f16 v4, v44, v4;

	;;#ASMEND
	;;#ASMSTART
	v_pk_add_f16 v1, v1, v2;

	;;#ASMEND
	;;#ASMSTART
	v_pk_add_f16 v1, v1, v3;

	;;#ASMEND
	;; [unrolled: 4-line block ×3, first 2 shown]
	v_and_b32_e32 v2, 0xffff, v1
	v_lshrrev_b32_e32 v1, 16, v1
	;;#ASMSTART
	v_cvt_f32_f16 v56, v2;
	;;#ASMEND
	;;#ASMSTART
	v_cvt_f32_f16 v57, v1;
	;;#ASMEND
	global_load_dwordx4 v[1:4], v[9:10], off offset:512
	s_waitcnt vmcnt(0)
	v_lshrrev_b32_e32 v60, 16, v1
	v_lshrrev_b32_e32 v59, 16, v2
	;; [unrolled: 1-line block ×3, first 2 shown]
	s_and_saveexec_b32 s14, s0
	s_cbranch_execz .LBB114_51
; %bb.50:                               ;   in Loop: Header=BB114_38 Depth=1
	v_cmp_gt_i32_e32 vcc_lo, s27, v47
	v_and_b32_e32 v62, 0xffff0000, v4
	v_cmp_gt_i32_e64 s1, s27, v46
	v_cndmask_b32_e32 v1, 0, v1, vcc_lo
	v_cmp_gt_i32_e32 vcc_lo, s27, v49
	v_cndmask_b32_e64 v2, 0, v2, s1
	v_cmp_gt_i32_e64 s1, s27, v45
	v_cndmask_b32_e32 v60, 0, v60, vcc_lo
	v_cmp_gt_i32_e32 vcc_lo, s27, v48
	v_cndmask_b32_e64 v59, 0, v59, s1
	v_cndmask_b32_sdwa v4, v30, v4, vcc_lo dst_sel:DWORD dst_unused:UNUSED_PAD src0_sel:DWORD src1_sel:WORD_0
	v_cmp_gt_i32_e32 vcc_lo, s27, v43
	v_cndmask_b32_e32 v62, 0, v62, vcc_lo
	v_cmp_gt_i32_e32 vcc_lo, s27, v37
	v_or_b32_e32 v4, v4, v62
	v_cndmask_b32_e32 v3, 0, v3, vcc_lo
	v_cmp_gt_i32_e32 vcc_lo, s27, v36
	v_cndmask_b32_e32 v58, 0, v58, vcc_lo
.LBB114_51:                             ;   in Loop: Header=BB114_38 Depth=1
	s_or_b32 exec_lo, exec_lo, s14
	v_lshlrev_b32_e32 v60, 16, v60
	v_lshlrev_b32_e32 v59, 16, v59
	;; [unrolled: 1-line block ×3, first 2 shown]
	v_and_or_b32 v1, 0xffff, v1, v60
	v_and_or_b32 v2, 0xffff, v2, v59
	;; [unrolled: 1-line block ×3, first 2 shown]
	;;#ASMSTART
	v_pk_mul_f16 v1, v39, v1;

	;;#ASMEND
	;;#ASMSTART
	v_pk_mul_f16 v2, v38, v2;

	;;#ASMEND
	;; [unrolled: 4-line block ×4, first 2 shown]
	;;#ASMSTART
	v_pk_add_f16 v1, v1, v2;

	;;#ASMEND
	;;#ASMSTART
	v_pk_add_f16 v1, v1, v3;

	;;#ASMEND
	;; [unrolled: 4-line block ×3, first 2 shown]
	v_and_b32_e32 v2, 0xffff, v1
	v_lshrrev_b32_e32 v1, 16, v1
	;;#ASMSTART
	v_cvt_f32_f16 v58, v2;
	;;#ASMEND
	;;#ASMSTART
	v_cvt_f32_f16 v59, v1;
	;;#ASMEND
	global_load_dwordx4 v[1:4], v[9:10], off offset:1024
	s_waitcnt vmcnt(0)
	v_lshrrev_b32_e32 v63, 16, v1
	v_lshrrev_b32_e32 v62, 16, v2
	;; [unrolled: 1-line block ×3, first 2 shown]
	s_and_saveexec_b32 s14, s0
	s_cbranch_execz .LBB114_53
; %bb.52:                               ;   in Loop: Header=BB114_38 Depth=1
	v_cmp_gt_i32_e32 vcc_lo, s27, v47
	v_and_b32_e32 v64, 0xffff0000, v4
	v_cmp_gt_i32_e64 s1, s27, v46
	v_cndmask_b32_e32 v1, 0, v1, vcc_lo
	v_cmp_gt_i32_e32 vcc_lo, s27, v49
	v_cndmask_b32_e64 v2, 0, v2, s1
	v_cmp_gt_i32_e64 s1, s27, v45
	v_cndmask_b32_e32 v63, 0, v63, vcc_lo
	v_cmp_gt_i32_e32 vcc_lo, s27, v48
	v_cndmask_b32_e64 v62, 0, v62, s1
	v_cndmask_b32_sdwa v4, v30, v4, vcc_lo dst_sel:DWORD dst_unused:UNUSED_PAD src0_sel:DWORD src1_sel:WORD_0
	v_cmp_gt_i32_e32 vcc_lo, s27, v43
	v_cndmask_b32_e32 v64, 0, v64, vcc_lo
	v_cmp_gt_i32_e32 vcc_lo, s27, v37
	v_or_b32_e32 v4, v4, v64
	v_cndmask_b32_e32 v3, 0, v3, vcc_lo
	v_cmp_gt_i32_e32 vcc_lo, s27, v36
	v_cndmask_b32_e32 v60, 0, v60, vcc_lo
.LBB114_53:                             ;   in Loop: Header=BB114_38 Depth=1
	s_or_b32 exec_lo, exec_lo, s14
	v_lshlrev_b32_e32 v63, 16, v63
	v_lshlrev_b32_e32 v62, 16, v62
	v_lshlrev_b32_e32 v60, 16, v60
	v_and_or_b32 v1, 0xffff, v1, v63
	v_and_or_b32 v2, 0xffff, v2, v62
	;; [unrolled: 1-line block ×3, first 2 shown]
	;;#ASMSTART
	v_pk_mul_f16 v1, v39, v1;

	;;#ASMEND
	;;#ASMSTART
	v_pk_mul_f16 v2, v38, v2;

	;;#ASMEND
	;; [unrolled: 4-line block ×4, first 2 shown]
	;;#ASMSTART
	v_pk_add_f16 v1, v1, v2;

	;;#ASMEND
	;;#ASMSTART
	v_pk_add_f16 v1, v1, v3;

	;;#ASMEND
	;; [unrolled: 4-line block ×3, first 2 shown]
	v_and_b32_e32 v2, 0xffff, v1
	v_lshrrev_b32_e32 v1, 16, v1
	;;#ASMSTART
	v_cvt_f32_f16 v60, v2;
	;;#ASMEND
	;;#ASMSTART
	v_cvt_f32_f16 v62, v1;
	;;#ASMEND
	global_load_dwordx4 v[1:4], v[9:10], off offset:1536
	s_waitcnt vmcnt(0)
	v_lshrrev_b32_e32 v63, 16, v1
	v_lshrrev_b32_e32 v10, 16, v2
	;; [unrolled: 1-line block ×3, first 2 shown]
	s_and_saveexec_b32 s14, s0
	s_cbranch_execz .LBB114_55
; %bb.54:                               ;   in Loop: Header=BB114_38 Depth=1
	v_cmp_gt_i32_e32 vcc_lo, s27, v47
	v_and_b32_e32 v64, 0xffff0000, v4
	v_cmp_gt_i32_e64 s1, s27, v46
	v_cndmask_b32_e32 v1, 0, v1, vcc_lo
	v_cmp_gt_i32_e32 vcc_lo, s27, v49
	v_cndmask_b32_e64 v2, 0, v2, s1
	v_cmp_gt_i32_e64 s1, s27, v45
	v_cndmask_b32_e32 v63, 0, v63, vcc_lo
	v_cmp_gt_i32_e32 vcc_lo, s27, v48
	v_cndmask_b32_e64 v10, 0, v10, s1
	v_cndmask_b32_sdwa v4, v30, v4, vcc_lo dst_sel:DWORD dst_unused:UNUSED_PAD src0_sel:DWORD src1_sel:WORD_0
	v_cmp_gt_i32_e32 vcc_lo, s27, v43
	v_cndmask_b32_e32 v64, 0, v64, vcc_lo
	v_cmp_gt_i32_e32 vcc_lo, s27, v37
	v_or_b32_e32 v4, v4, v64
	v_cndmask_b32_e32 v3, 0, v3, vcc_lo
	v_cmp_gt_i32_e32 vcc_lo, s27, v36
	v_cndmask_b32_e32 v9, 0, v9, vcc_lo
.LBB114_55:                             ;   in Loop: Header=BB114_38 Depth=1
	s_or_b32 exec_lo, exec_lo, s14
	v_lshlrev_b32_e32 v9, 16, v9
	v_lshlrev_b32_e32 v63, 16, v63
	;; [unrolled: 1-line block ×3, first 2 shown]
	v_and_or_b32 v3, 0xffff, v3, v9
	v_add_co_u32 v9, vcc_lo, 0x1000, v7
	v_and_or_b32 v1, 0xffff, v1, v63
	v_and_or_b32 v2, 0xffff, v2, v10
	;;#ASMSTART
	v_pk_mul_f16 v1, v39, v1;

	;;#ASMEND
	v_add_co_ci_u32_e64 v10, null, 0, v8, vcc_lo
	;;#ASMSTART
	v_pk_mul_f16 v2, v38, v2;

	;;#ASMEND
	;;#ASMSTART
	v_pk_mul_f16 v3, v42, v3;

	;;#ASMEND
	;; [unrolled: 4-line block ×3, first 2 shown]
	;;#ASMSTART
	v_pk_add_f16 v1, v1, v2;

	;;#ASMEND
	;;#ASMSTART
	v_pk_add_f16 v1, v1, v3;

	;;#ASMEND
	;;#ASMSTART
	v_pk_add_f16 v1, v1, v4;

	;;#ASMEND
	v_lshrrev_b32_e32 v2, 16, v1
	v_and_b32_e32 v1, 0xffff, v1
	;;#ASMSTART
	v_cvt_f32_f16 v63, v1;
	;;#ASMEND
	;;#ASMSTART
	v_cvt_f32_f16 v64, v2;
	;;#ASMEND
	global_load_dwordx4 v[1:4], v[9:10], off
	s_waitcnt vmcnt(0)
	v_lshrrev_b32_e32 v70, 16, v1
	v_lshrrev_b32_e32 v69, 16, v2
	;; [unrolled: 1-line block ×3, first 2 shown]
	s_and_saveexec_b32 s14, s0
	s_cbranch_execz .LBB114_57
; %bb.56:                               ;   in Loop: Header=BB114_38 Depth=1
	v_cmp_gt_i32_e32 vcc_lo, s27, v47
	v_and_b32_e32 v71, 0xffff0000, v4
	v_cmp_gt_i32_e64 s1, s27, v46
	v_cndmask_b32_e32 v1, 0, v1, vcc_lo
	v_cmp_gt_i32_e32 vcc_lo, s27, v49
	v_cndmask_b32_e64 v2, 0, v2, s1
	v_cmp_gt_i32_e64 s1, s27, v45
	v_cndmask_b32_e32 v70, 0, v70, vcc_lo
	v_cmp_gt_i32_e32 vcc_lo, s27, v48
	v_cndmask_b32_e64 v69, 0, v69, s1
	v_cndmask_b32_sdwa v4, v30, v4, vcc_lo dst_sel:DWORD dst_unused:UNUSED_PAD src0_sel:DWORD src1_sel:WORD_0
	v_cmp_gt_i32_e32 vcc_lo, s27, v43
	v_cndmask_b32_e32 v71, 0, v71, vcc_lo
	v_cmp_gt_i32_e32 vcc_lo, s27, v37
	v_or_b32_e32 v4, v4, v71
	v_cndmask_b32_e32 v3, 0, v3, vcc_lo
	v_cmp_gt_i32_e32 vcc_lo, s27, v36
	v_cndmask_b32_e32 v68, 0, v68, vcc_lo
.LBB114_57:                             ;   in Loop: Header=BB114_38 Depth=1
	s_or_b32 exec_lo, exec_lo, s14
	v_lshlrev_b32_e32 v70, 16, v70
	v_lshlrev_b32_e32 v69, 16, v69
	;; [unrolled: 1-line block ×3, first 2 shown]
	v_and_or_b32 v1, 0xffff, v1, v70
	v_and_or_b32 v2, 0xffff, v2, v69
	;; [unrolled: 1-line block ×3, first 2 shown]
	;;#ASMSTART
	v_pk_mul_f16 v1, v39, v1;

	;;#ASMEND
	;;#ASMSTART
	v_pk_mul_f16 v2, v38, v2;

	;;#ASMEND
	;; [unrolled: 4-line block ×4, first 2 shown]
	;;#ASMSTART
	v_pk_add_f16 v1, v1, v2;

	;;#ASMEND
	;;#ASMSTART
	v_pk_add_f16 v1, v1, v3;

	;;#ASMEND
	;; [unrolled: 4-line block ×3, first 2 shown]
	v_and_b32_e32 v2, 0xffff, v1
	v_lshrrev_b32_e32 v1, 16, v1
	;;#ASMSTART
	v_cvt_f32_f16 v68, v2;
	;;#ASMEND
	;;#ASMSTART
	v_cvt_f32_f16 v69, v1;
	;;#ASMEND
	global_load_dwordx4 v[1:4], v[9:10], off offset:512
	s_waitcnt vmcnt(0)
	v_lshrrev_b32_e32 v72, 16, v1
	v_lshrrev_b32_e32 v71, 16, v2
	;; [unrolled: 1-line block ×3, first 2 shown]
	s_and_saveexec_b32 s14, s0
	s_cbranch_execz .LBB114_59
; %bb.58:                               ;   in Loop: Header=BB114_38 Depth=1
	v_cmp_gt_i32_e32 vcc_lo, s27, v47
	v_and_b32_e32 v73, 0xffff0000, v4
	v_cmp_gt_i32_e64 s1, s27, v46
	v_cndmask_b32_e32 v1, 0, v1, vcc_lo
	v_cmp_gt_i32_e32 vcc_lo, s27, v49
	v_cndmask_b32_e64 v2, 0, v2, s1
	v_cmp_gt_i32_e64 s1, s27, v45
	v_cndmask_b32_e32 v72, 0, v72, vcc_lo
	v_cmp_gt_i32_e32 vcc_lo, s27, v48
	v_cndmask_b32_e64 v71, 0, v71, s1
	v_cndmask_b32_sdwa v4, v30, v4, vcc_lo dst_sel:DWORD dst_unused:UNUSED_PAD src0_sel:DWORD src1_sel:WORD_0
	v_cmp_gt_i32_e32 vcc_lo, s27, v43
	v_cndmask_b32_e32 v73, 0, v73, vcc_lo
	v_cmp_gt_i32_e32 vcc_lo, s27, v37
	v_or_b32_e32 v4, v4, v73
	v_cndmask_b32_e32 v3, 0, v3, vcc_lo
	v_cmp_gt_i32_e32 vcc_lo, s27, v36
	v_cndmask_b32_e32 v70, 0, v70, vcc_lo
.LBB114_59:                             ;   in Loop: Header=BB114_38 Depth=1
	s_or_b32 exec_lo, exec_lo, s14
	v_lshlrev_b32_e32 v72, 16, v72
	v_lshlrev_b32_e32 v71, 16, v71
	;; [unrolled: 1-line block ×3, first 2 shown]
	v_and_or_b32 v1, 0xffff, v1, v72
	v_and_or_b32 v2, 0xffff, v2, v71
	;; [unrolled: 1-line block ×3, first 2 shown]
	;;#ASMSTART
	v_pk_mul_f16 v1, v39, v1;

	;;#ASMEND
	;;#ASMSTART
	v_pk_mul_f16 v2, v38, v2;

	;;#ASMEND
	;; [unrolled: 4-line block ×4, first 2 shown]
	;;#ASMSTART
	v_pk_add_f16 v1, v1, v2;

	;;#ASMEND
	;;#ASMSTART
	v_pk_add_f16 v1, v1, v3;

	;;#ASMEND
	;; [unrolled: 4-line block ×3, first 2 shown]
	v_and_b32_e32 v2, 0xffff, v1
	v_lshrrev_b32_e32 v1, 16, v1
	;;#ASMSTART
	v_cvt_f32_f16 v70, v2;
	;;#ASMEND
	;;#ASMSTART
	v_cvt_f32_f16 v71, v1;
	;;#ASMEND
	global_load_dwordx4 v[1:4], v[9:10], off offset:1024
	s_waitcnt vmcnt(0)
	v_lshrrev_b32_e32 v74, 16, v1
	v_lshrrev_b32_e32 v73, 16, v2
	;; [unrolled: 1-line block ×3, first 2 shown]
	s_and_saveexec_b32 s14, s0
	s_cbranch_execz .LBB114_61
; %bb.60:                               ;   in Loop: Header=BB114_38 Depth=1
	v_cmp_gt_i32_e32 vcc_lo, s27, v47
	v_and_b32_e32 v75, 0xffff0000, v4
	v_cmp_gt_i32_e64 s1, s27, v46
	v_cndmask_b32_e32 v1, 0, v1, vcc_lo
	v_cmp_gt_i32_e32 vcc_lo, s27, v49
	v_cndmask_b32_e64 v2, 0, v2, s1
	v_cmp_gt_i32_e64 s1, s27, v45
	v_cndmask_b32_e32 v74, 0, v74, vcc_lo
	v_cmp_gt_i32_e32 vcc_lo, s27, v48
	v_cndmask_b32_e64 v73, 0, v73, s1
	v_cndmask_b32_sdwa v4, v30, v4, vcc_lo dst_sel:DWORD dst_unused:UNUSED_PAD src0_sel:DWORD src1_sel:WORD_0
	v_cmp_gt_i32_e32 vcc_lo, s27, v43
	v_cndmask_b32_e32 v75, 0, v75, vcc_lo
	v_cmp_gt_i32_e32 vcc_lo, s27, v37
	v_or_b32_e32 v4, v4, v75
	v_cndmask_b32_e32 v3, 0, v3, vcc_lo
	v_cmp_gt_i32_e32 vcc_lo, s27, v36
	v_cndmask_b32_e32 v72, 0, v72, vcc_lo
.LBB114_61:                             ;   in Loop: Header=BB114_38 Depth=1
	s_or_b32 exec_lo, exec_lo, s14
	v_lshlrev_b32_e32 v74, 16, v74
	v_lshlrev_b32_e32 v73, 16, v73
	;; [unrolled: 1-line block ×3, first 2 shown]
	v_and_or_b32 v1, 0xffff, v1, v74
	v_and_or_b32 v2, 0xffff, v2, v73
	;; [unrolled: 1-line block ×3, first 2 shown]
	;;#ASMSTART
	v_pk_mul_f16 v1, v39, v1;

	;;#ASMEND
	;;#ASMSTART
	v_pk_mul_f16 v2, v38, v2;

	;;#ASMEND
	;; [unrolled: 4-line block ×4, first 2 shown]
	;;#ASMSTART
	v_pk_add_f16 v1, v1, v2;

	;;#ASMEND
	;;#ASMSTART
	v_pk_add_f16 v1, v1, v3;

	;;#ASMEND
	;; [unrolled: 4-line block ×3, first 2 shown]
	v_and_b32_e32 v2, 0xffff, v1
	v_lshrrev_b32_e32 v1, 16, v1
	;;#ASMSTART
	v_cvt_f32_f16 v72, v2;
	;;#ASMEND
	;;#ASMSTART
	v_cvt_f32_f16 v73, v1;
	;;#ASMEND
	global_load_dwordx4 v[1:4], v[9:10], off offset:1536
	s_waitcnt vmcnt(0)
	v_lshrrev_b32_e32 v74, 16, v1
	v_lshrrev_b32_e32 v10, 16, v2
	;; [unrolled: 1-line block ×3, first 2 shown]
	s_and_saveexec_b32 s14, s0
	s_cbranch_execz .LBB114_63
; %bb.62:                               ;   in Loop: Header=BB114_38 Depth=1
	v_cmp_gt_i32_e32 vcc_lo, s27, v47
	v_and_b32_e32 v75, 0xffff0000, v4
	v_cmp_gt_i32_e64 s1, s27, v46
	v_cndmask_b32_e32 v1, 0, v1, vcc_lo
	v_cmp_gt_i32_e32 vcc_lo, s27, v49
	v_cndmask_b32_e64 v2, 0, v2, s1
	v_cmp_gt_i32_e64 s1, s27, v45
	v_cndmask_b32_e32 v74, 0, v74, vcc_lo
	v_cmp_gt_i32_e32 vcc_lo, s27, v48
	v_cndmask_b32_e64 v10, 0, v10, s1
	v_cndmask_b32_sdwa v4, v30, v4, vcc_lo dst_sel:DWORD dst_unused:UNUSED_PAD src0_sel:DWORD src1_sel:WORD_0
	v_cmp_gt_i32_e32 vcc_lo, s27, v43
	v_cndmask_b32_e32 v75, 0, v75, vcc_lo
	v_cmp_gt_i32_e32 vcc_lo, s27, v37
	v_or_b32_e32 v4, v4, v75
	v_cndmask_b32_e32 v3, 0, v3, vcc_lo
	v_cmp_gt_i32_e32 vcc_lo, s27, v36
	v_cndmask_b32_e32 v9, 0, v9, vcc_lo
.LBB114_63:                             ;   in Loop: Header=BB114_38 Depth=1
	s_or_b32 exec_lo, exec_lo, s14
	v_lshlrev_b32_e32 v74, 16, v74
	v_lshlrev_b32_e32 v10, 16, v10
	;; [unrolled: 1-line block ×3, first 2 shown]
	v_add_co_u32 v7, vcc_lo, 0x1800, v7
	v_and_or_b32 v1, 0xffff, v1, v74
	v_and_or_b32 v2, 0xffff, v2, v10
	;; [unrolled: 1-line block ×3, first 2 shown]
	;;#ASMSTART
	v_pk_mul_f16 v1, v39, v1;

	;;#ASMEND
	v_add_co_ci_u32_e64 v8, null, 0, v8, vcc_lo
	;;#ASMSTART
	v_pk_mul_f16 v2, v38, v2;

	;;#ASMEND
	;;#ASMSTART
	v_pk_mul_f16 v3, v42, v3;

	;;#ASMEND
	;; [unrolled: 4-line block ×3, first 2 shown]
	;;#ASMSTART
	v_pk_add_f16 v1, v1, v2;

	;;#ASMEND
	;;#ASMSTART
	v_pk_add_f16 v1, v1, v3;

	;;#ASMEND
	;; [unrolled: 4-line block ×3, first 2 shown]
	v_lshrrev_b32_e32 v2, 16, v1
	v_and_b32_e32 v1, 0xffff, v1
	;;#ASMSTART
	v_cvt_f32_f16 v9, v1;
	;;#ASMEND
	;;#ASMSTART
	v_cvt_f32_f16 v10, v2;
	;;#ASMEND
	global_load_dwordx4 v[1:4], v[7:8], off
	s_waitcnt vmcnt(0)
	v_lshrrev_b32_e32 v76, 16, v1
	v_lshrrev_b32_e32 v75, 16, v2
	;; [unrolled: 1-line block ×3, first 2 shown]
	s_and_saveexec_b32 s14, s0
	s_cbranch_execz .LBB114_65
; %bb.64:                               ;   in Loop: Header=BB114_38 Depth=1
	v_cmp_gt_i32_e32 vcc_lo, s27, v47
	v_and_b32_e32 v77, 0xffff0000, v4
	v_cmp_gt_i32_e64 s1, s27, v46
	v_cndmask_b32_e32 v1, 0, v1, vcc_lo
	v_cmp_gt_i32_e32 vcc_lo, s27, v49
	v_cndmask_b32_e64 v2, 0, v2, s1
	v_cmp_gt_i32_e64 s1, s27, v45
	v_cndmask_b32_e32 v76, 0, v76, vcc_lo
	v_cmp_gt_i32_e32 vcc_lo, s27, v48
	v_cndmask_b32_e64 v75, 0, v75, s1
	v_cndmask_b32_sdwa v4, v30, v4, vcc_lo dst_sel:DWORD dst_unused:UNUSED_PAD src0_sel:DWORD src1_sel:WORD_0
	v_cmp_gt_i32_e32 vcc_lo, s27, v43
	v_cndmask_b32_e32 v77, 0, v77, vcc_lo
	v_cmp_gt_i32_e32 vcc_lo, s27, v37
	v_or_b32_e32 v4, v4, v77
	v_cndmask_b32_e32 v3, 0, v3, vcc_lo
	v_cmp_gt_i32_e32 vcc_lo, s27, v36
	v_cndmask_b32_e32 v74, 0, v74, vcc_lo
.LBB114_65:                             ;   in Loop: Header=BB114_38 Depth=1
	s_or_b32 exec_lo, exec_lo, s14
	v_lshlrev_b32_e32 v76, 16, v76
	v_lshlrev_b32_e32 v75, 16, v75
	;; [unrolled: 1-line block ×3, first 2 shown]
	v_and_or_b32 v1, 0xffff, v1, v76
	v_and_or_b32 v2, 0xffff, v2, v75
	;; [unrolled: 1-line block ×3, first 2 shown]
	;;#ASMSTART
	v_pk_mul_f16 v1, v39, v1;

	;;#ASMEND
	;;#ASMSTART
	v_pk_mul_f16 v2, v38, v2;

	;;#ASMEND
	;;#ASMSTART
	v_pk_mul_f16 v3, v42, v3;

	;;#ASMEND
	;;#ASMSTART
	v_pk_mul_f16 v4, v44, v4;

	;;#ASMEND
	;;#ASMSTART
	v_pk_add_f16 v1, v1, v2;

	;;#ASMEND
	;;#ASMSTART
	v_pk_add_f16 v1, v1, v3;

	;;#ASMEND
	;; [unrolled: 4-line block ×3, first 2 shown]
	v_and_b32_e32 v2, 0xffff, v1
	v_lshrrev_b32_e32 v1, 16, v1
	;;#ASMSTART
	v_cvt_f32_f16 v74, v2;
	;;#ASMEND
	;;#ASMSTART
	v_cvt_f32_f16 v75, v1;
	;;#ASMEND
	global_load_dwordx4 v[1:4], v[7:8], off offset:512
	s_waitcnt vmcnt(0)
	v_lshrrev_b32_e32 v78, 16, v1
	v_lshrrev_b32_e32 v77, 16, v2
	;; [unrolled: 1-line block ×3, first 2 shown]
	s_and_saveexec_b32 s14, s0
	s_cbranch_execz .LBB114_67
; %bb.66:                               ;   in Loop: Header=BB114_38 Depth=1
	v_cmp_gt_i32_e32 vcc_lo, s27, v47
	v_and_b32_e32 v79, 0xffff0000, v4
	v_cmp_gt_i32_e64 s1, s27, v46
	v_cndmask_b32_e32 v1, 0, v1, vcc_lo
	v_cmp_gt_i32_e32 vcc_lo, s27, v49
	v_cndmask_b32_e64 v2, 0, v2, s1
	v_cmp_gt_i32_e64 s1, s27, v45
	v_cndmask_b32_e32 v78, 0, v78, vcc_lo
	v_cmp_gt_i32_e32 vcc_lo, s27, v48
	v_cndmask_b32_e64 v77, 0, v77, s1
	v_cndmask_b32_sdwa v4, v30, v4, vcc_lo dst_sel:DWORD dst_unused:UNUSED_PAD src0_sel:DWORD src1_sel:WORD_0
	v_cmp_gt_i32_e32 vcc_lo, s27, v43
	v_cndmask_b32_e32 v79, 0, v79, vcc_lo
	v_cmp_gt_i32_e32 vcc_lo, s27, v37
	v_or_b32_e32 v4, v4, v79
	v_cndmask_b32_e32 v3, 0, v3, vcc_lo
	v_cmp_gt_i32_e32 vcc_lo, s27, v36
	v_cndmask_b32_e32 v76, 0, v76, vcc_lo
.LBB114_67:                             ;   in Loop: Header=BB114_38 Depth=1
	s_or_b32 exec_lo, exec_lo, s14
	v_lshlrev_b32_e32 v78, 16, v78
	v_lshlrev_b32_e32 v77, 16, v77
	;; [unrolled: 1-line block ×3, first 2 shown]
	v_and_or_b32 v1, 0xffff, v1, v78
	v_and_or_b32 v2, 0xffff, v2, v77
	;; [unrolled: 1-line block ×3, first 2 shown]
	;;#ASMSTART
	v_pk_mul_f16 v1, v39, v1;

	;;#ASMEND
	;;#ASMSTART
	v_pk_mul_f16 v2, v38, v2;

	;;#ASMEND
	;; [unrolled: 4-line block ×4, first 2 shown]
	;;#ASMSTART
	v_pk_add_f16 v1, v1, v2;

	;;#ASMEND
	;;#ASMSTART
	v_pk_add_f16 v1, v1, v3;

	;;#ASMEND
	;; [unrolled: 4-line block ×3, first 2 shown]
	v_and_b32_e32 v2, 0xffff, v1
	v_lshrrev_b32_e32 v1, 16, v1
	;;#ASMSTART
	v_cvt_f32_f16 v76, v2;
	;;#ASMEND
	;;#ASMSTART
	v_cvt_f32_f16 v77, v1;
	;;#ASMEND
	global_load_dwordx4 v[1:4], v[7:8], off offset:1024
	s_waitcnt vmcnt(0)
	v_lshrrev_b32_e32 v80, 16, v1
	v_lshrrev_b32_e32 v79, 16, v2
	;; [unrolled: 1-line block ×3, first 2 shown]
	s_and_saveexec_b32 s14, s0
	s_cbranch_execz .LBB114_69
; %bb.68:                               ;   in Loop: Header=BB114_38 Depth=1
	v_cmp_gt_i32_e32 vcc_lo, s27, v47
	v_and_b32_e32 v81, 0xffff0000, v4
	v_cmp_gt_i32_e64 s1, s27, v46
	v_cndmask_b32_e32 v1, 0, v1, vcc_lo
	v_cmp_gt_i32_e32 vcc_lo, s27, v49
	v_cndmask_b32_e64 v2, 0, v2, s1
	v_cmp_gt_i32_e64 s1, s27, v45
	v_cndmask_b32_e32 v80, 0, v80, vcc_lo
	v_cmp_gt_i32_e32 vcc_lo, s27, v48
	v_cndmask_b32_e64 v79, 0, v79, s1
	v_cndmask_b32_sdwa v4, v30, v4, vcc_lo dst_sel:DWORD dst_unused:UNUSED_PAD src0_sel:DWORD src1_sel:WORD_0
	v_cmp_gt_i32_e32 vcc_lo, s27, v43
	v_cndmask_b32_e32 v81, 0, v81, vcc_lo
	v_cmp_gt_i32_e32 vcc_lo, s27, v37
	v_or_b32_e32 v4, v4, v81
	v_cndmask_b32_e32 v3, 0, v3, vcc_lo
	v_cmp_gt_i32_e32 vcc_lo, s27, v36
	v_cndmask_b32_e32 v78, 0, v78, vcc_lo
.LBB114_69:                             ;   in Loop: Header=BB114_38 Depth=1
	s_or_b32 exec_lo, exec_lo, s14
	v_lshlrev_b32_e32 v80, 16, v80
	v_lshlrev_b32_e32 v79, 16, v79
	;; [unrolled: 1-line block ×3, first 2 shown]
	v_and_or_b32 v1, 0xffff, v1, v80
	v_and_or_b32 v2, 0xffff, v2, v79
	;; [unrolled: 1-line block ×3, first 2 shown]
	;;#ASMSTART
	v_pk_mul_f16 v1, v39, v1;

	;;#ASMEND
	;;#ASMSTART
	v_pk_mul_f16 v2, v38, v2;

	;;#ASMEND
	;; [unrolled: 4-line block ×4, first 2 shown]
	;;#ASMSTART
	v_pk_add_f16 v1, v1, v2;

	;;#ASMEND
	;;#ASMSTART
	v_pk_add_f16 v1, v1, v3;

	;;#ASMEND
	;; [unrolled: 4-line block ×3, first 2 shown]
	v_and_b32_e32 v2, 0xffff, v1
	v_lshrrev_b32_e32 v1, 16, v1
	;;#ASMSTART
	v_cvt_f32_f16 v79, v2;
	;;#ASMEND
	;;#ASMSTART
	v_cvt_f32_f16 v80, v1;
	;;#ASMEND
	global_load_dwordx4 v[1:4], v[7:8], off offset:1536
	s_waitcnt vmcnt(0)
	v_lshrrev_b32_e32 v78, 16, v1
	v_lshrrev_b32_e32 v8, 16, v2
	v_lshrrev_b32_e32 v7, 16, v3
	s_and_saveexec_b32 s1, s0
	s_cbranch_execz .LBB114_36
; %bb.70:                               ;   in Loop: Header=BB114_38 Depth=1
	v_cmp_gt_i32_e32 vcc_lo, s27, v47
	v_cmp_gt_i32_e64 s0, s27, v46
	v_cndmask_b32_e32 v1, 0, v1, vcc_lo
	v_cmp_gt_i32_e32 vcc_lo, s27, v49
	v_cndmask_b32_e64 v2, 0, v2, s0
	v_cmp_gt_i32_e64 s0, s27, v45
	v_and_b32_e32 v45, 0xffff0000, v4
	v_cndmask_b32_e32 v78, 0, v78, vcc_lo
	v_cmp_gt_i32_e32 vcc_lo, s27, v48
	v_cndmask_b32_e64 v8, 0, v8, s0
	v_cndmask_b32_sdwa v4, v30, v4, vcc_lo dst_sel:DWORD dst_unused:UNUSED_PAD src0_sel:DWORD src1_sel:WORD_0
	v_cmp_gt_i32_e32 vcc_lo, s27, v43
	v_cndmask_b32_e32 v43, 0, v45, vcc_lo
	v_cmp_gt_i32_e32 vcc_lo, s27, v37
	v_or_b32_e32 v4, v4, v43
	v_cndmask_b32_e32 v3, 0, v3, vcc_lo
	v_cmp_gt_i32_e32 vcc_lo, s27, v36
	v_cndmask_b32_e32 v7, 0, v7, vcc_lo
	s_branch .LBB114_36
.LBB114_71:
	s_or_b32 exec_lo, exec_lo, s6
.LBB114_72:
	s_or_b32 exec_lo, exec_lo, s3
	ds_bpermute_b32 v3, v12, v27
	ds_bpermute_b32 v31, v12, v18
	ds_bpermute_b32 v1, v12, v29
	ds_bpermute_b32 v2, v12, v28
	ds_bpermute_b32 v4, v12, v26
	ds_bpermute_b32 v5, v12, v25
	ds_bpermute_b32 v6, v12, v24
	ds_bpermute_b32 v7, v12, v23
	ds_bpermute_b32 v8, v12, v22
	ds_bpermute_b32 v9, v12, v21
	ds_bpermute_b32 v10, v12, v20
	ds_bpermute_b32 v30, v12, v19
	ds_bpermute_b32 v32, v12, v17
	ds_bpermute_b32 v33, v12, v16
	ds_bpermute_b32 v34, v12, v15
	ds_bpermute_b32 v12, v12, v14
	s_mov_b32 s0, exec_lo
	s_waitcnt lgkmcnt(0)
	s_waitcnt_vscnt null, 0x0
	s_barrier
	buffer_gl0_inv
	v_add_f32_e32 v3, v27, v3
	v_add_f32_e32 v18, v18, v31
	;; [unrolled: 1-line block ×7, first 2 shown]
	ds_bpermute_b32 v26, v11, v3
	v_add_f32_e32 v7, v23, v7
	v_add_f32_e32 v8, v22, v8
	;; [unrolled: 1-line block ×7, first 2 shown]
	ds_bpermute_b32 v35, v11, v18
	v_add_f32_e32 v34, v15, v34
	v_add_f32_e32 v37, v14, v12
	ds_bpermute_b32 v24, v11, v1
	ds_bpermute_b32 v25, v11, v2
	;; [unrolled: 1-line block ×14, first 2 shown]
	s_waitcnt lgkmcnt(15)
	v_add_f32_e32 v15, v3, v26
	s_waitcnt lgkmcnt(14)
	v_add_f32_e32 v3, v18, v35
	v_and_b32_e32 v18, 28, v66
	s_waitcnt lgkmcnt(13)
	v_add_f32_e32 v17, v1, v24
	s_waitcnt lgkmcnt(12)
	v_add_f32_e32 v16, v2, v25
	;; [unrolled: 2-line block ×13, first 2 shown]
	v_and_b32_e32 v21, 0x3c3, v0
	s_waitcnt lgkmcnt(0)
	v_add_f32_e32 v5, v37, v40
	v_lshrrev_b32_e32 v19, 2, v66
	v_add_nc_u32_e32 v18, 0x120, v18
	v_lshlrev_b32_e32 v20, 9, v65
	v_cmpx_eq_u32_e32 64, v21
	s_cbranch_execz .LBB114_74
; %bb.73:
	v_add_nc_u32_e32 v21, v18, v20
	v_add_nc_u32_e32 v22, 0xfffffc00, v21
	;; [unrolled: 1-line block ×7, first 2 shown]
	ds_write_b32 v22, v17
	ds_write_b32 v23, v16
	;; [unrolled: 1-line block ×6, first 2 shown]
	v_add_nc_u32_e32 v22, 0xfffffcc0, v21
	v_add_nc_u32_e32 v23, 0xfffffce0, v21
	;; [unrolled: 1-line block ×5, first 2 shown]
	ds_write_b32 v22, v10
	ds_write_b32 v23, v9
	;; [unrolled: 1-line block ×5, first 2 shown]
	v_add_nc_u32_e32 v22, 0xfffffd60, v21
	v_add_nc_u32_e32 v23, 0xfffffd80, v21
	;; [unrolled: 1-line block ×5, first 2 shown]
	ds_write_b32 v22, v3
	ds_write_b32 v23, v2
	;; [unrolled: 1-line block ×5, first 2 shown]
.LBB114_74:
	s_or_b32 exec_lo, exec_lo, s0
	v_lshlrev_b32_e32 v19, 2, v19
	v_cmp_eq_u32_e32 vcc_lo, 0, v13
	s_mov_b32 s1, exec_lo
	s_waitcnt lgkmcnt(0)
	s_barrier
	v_add3_u32 v13, 0x120, v20, v19
	buffer_gl0_inv
	v_cmpx_gt_u32_e32 64, v0
	s_cbranch_execz .LBB114_93
; %bb.75:
	s_and_saveexec_b32 s0, vcc_lo
	s_cbranch_execnz .LBB114_117
; %bb.76:
	s_or_b32 exec_lo, exec_lo, s0
	s_and_saveexec_b32 s0, vcc_lo
	s_cbranch_execnz .LBB114_118
.LBB114_77:
	s_or_b32 exec_lo, exec_lo, s0
	s_and_saveexec_b32 s0, vcc_lo
	s_cbranch_execnz .LBB114_119
.LBB114_78:
	s_or_b32 exec_lo, exec_lo, s0
	s_and_saveexec_b32 s0, vcc_lo
	s_cbranch_execnz .LBB114_120
.LBB114_79:
	s_or_b32 exec_lo, exec_lo, s0
	s_and_saveexec_b32 s0, vcc_lo
	s_cbranch_execnz .LBB114_121
.LBB114_80:
	s_or_b32 exec_lo, exec_lo, s0
	s_and_saveexec_b32 s0, vcc_lo
	s_cbranch_execnz .LBB114_122
.LBB114_81:
	s_or_b32 exec_lo, exec_lo, s0
	s_and_saveexec_b32 s0, vcc_lo
	s_cbranch_execnz .LBB114_123
.LBB114_82:
	s_or_b32 exec_lo, exec_lo, s0
	s_and_saveexec_b32 s0, vcc_lo
	s_cbranch_execnz .LBB114_124
.LBB114_83:
	s_or_b32 exec_lo, exec_lo, s0
	s_and_saveexec_b32 s0, vcc_lo
	s_cbranch_execnz .LBB114_125
.LBB114_84:
	s_or_b32 exec_lo, exec_lo, s0
	s_and_saveexec_b32 s0, vcc_lo
	s_cbranch_execnz .LBB114_126
.LBB114_85:
	s_or_b32 exec_lo, exec_lo, s0
	s_and_saveexec_b32 s0, vcc_lo
	s_cbranch_execnz .LBB114_127
.LBB114_86:
	s_or_b32 exec_lo, exec_lo, s0
	s_and_saveexec_b32 s0, vcc_lo
	s_cbranch_execnz .LBB114_128
.LBB114_87:
	s_or_b32 exec_lo, exec_lo, s0
	s_and_saveexec_b32 s0, vcc_lo
	s_cbranch_execnz .LBB114_129
.LBB114_88:
	s_or_b32 exec_lo, exec_lo, s0
	s_and_saveexec_b32 s0, vcc_lo
	s_cbranch_execnz .LBB114_130
.LBB114_89:
	s_or_b32 exec_lo, exec_lo, s0
	s_and_saveexec_b32 s0, vcc_lo
	s_cbranch_execnz .LBB114_131
.LBB114_90:
	s_or_b32 exec_lo, exec_lo, s0
	s_and_saveexec_b32 s0, vcc_lo
	s_cbranch_execz .LBB114_92
.LBB114_91:
	ds_read_b32 v19, v13 offset:480
	s_waitcnt lgkmcnt(0)
	v_add_f32_e32 v5, v5, v19
.LBB114_92:
	s_or_b32 exec_lo, exec_lo, s0
.LBB114_93:
	s_or_b32 exec_lo, exec_lo, s1
	v_and_b32_e32 v19, 0x3e3, v0
	s_mov_b32 s1, exec_lo
	s_barrier
	buffer_gl0_inv
	v_cmpx_eq_u32_e32 32, v19
	s_cbranch_execz .LBB114_95
; %bb.94:
	ds_write2_b32 v18, v17, v16 offset1:8
	ds_write2_b32 v18, v15, v14 offset0:16 offset1:24
	ds_write2_b32 v18, v12, v11 offset0:32 offset1:40
	;; [unrolled: 1-line block ×7, first 2 shown]
.LBB114_95:
	s_or_b32 exec_lo, exec_lo, s1
	s_mov_b32 s1, exec_lo
	s_waitcnt lgkmcnt(0)
	s_barrier
	buffer_gl0_inv
	v_cmpx_gt_u32_e32 32, v0
	s_cbranch_execz .LBB114_114
; %bb.96:
	s_and_saveexec_b32 s0, vcc_lo
	s_cbranch_execnz .LBB114_132
; %bb.97:
	s_or_b32 exec_lo, exec_lo, s0
	s_and_saveexec_b32 s0, vcc_lo
	s_cbranch_execnz .LBB114_133
.LBB114_98:
	s_or_b32 exec_lo, exec_lo, s0
	s_and_saveexec_b32 s0, vcc_lo
	s_cbranch_execnz .LBB114_134
.LBB114_99:
	s_or_b32 exec_lo, exec_lo, s0
	s_and_saveexec_b32 s0, vcc_lo
	s_cbranch_execnz .LBB114_135
.LBB114_100:
	s_or_b32 exec_lo, exec_lo, s0
	s_and_saveexec_b32 s0, vcc_lo
	s_cbranch_execnz .LBB114_136
.LBB114_101:
	s_or_b32 exec_lo, exec_lo, s0
	s_and_saveexec_b32 s0, vcc_lo
	s_cbranch_execnz .LBB114_137
.LBB114_102:
	s_or_b32 exec_lo, exec_lo, s0
	s_and_saveexec_b32 s0, vcc_lo
	s_cbranch_execnz .LBB114_138
.LBB114_103:
	s_or_b32 exec_lo, exec_lo, s0
	s_and_saveexec_b32 s0, vcc_lo
	s_cbranch_execnz .LBB114_139
.LBB114_104:
	s_or_b32 exec_lo, exec_lo, s0
	s_and_saveexec_b32 s0, vcc_lo
	s_cbranch_execnz .LBB114_140
.LBB114_105:
	s_or_b32 exec_lo, exec_lo, s0
	s_and_saveexec_b32 s0, vcc_lo
	s_cbranch_execnz .LBB114_141
.LBB114_106:
	s_or_b32 exec_lo, exec_lo, s0
	s_and_saveexec_b32 s0, vcc_lo
	s_cbranch_execnz .LBB114_142
.LBB114_107:
	s_or_b32 exec_lo, exec_lo, s0
	s_and_saveexec_b32 s0, vcc_lo
	s_cbranch_execnz .LBB114_143
.LBB114_108:
	s_or_b32 exec_lo, exec_lo, s0
	s_and_saveexec_b32 s0, vcc_lo
	s_cbranch_execnz .LBB114_144
.LBB114_109:
	s_or_b32 exec_lo, exec_lo, s0
	s_and_saveexec_b32 s0, vcc_lo
	s_cbranch_execnz .LBB114_145
.LBB114_110:
	s_or_b32 exec_lo, exec_lo, s0
	s_and_saveexec_b32 s0, vcc_lo
	s_cbranch_execnz .LBB114_146
.LBB114_111:
	s_or_b32 exec_lo, exec_lo, s0
	s_and_saveexec_b32 s0, vcc_lo
	s_cbranch_execz .LBB114_113
.LBB114_112:
	ds_read_b32 v13, v13 offset:480
	s_waitcnt lgkmcnt(0)
	v_add_f32_e32 v5, v5, v13
.LBB114_113:
	s_or_b32 exec_lo, exec_lo, s0
.LBB114_114:
	s_or_b32 exec_lo, exec_lo, s1
	s_barrier
	buffer_gl0_inv
	s_mov_b32 s0, exec_lo
	v_cmpx_eq_u32_e32 0, v19
	s_cbranch_execz .LBB114_116
; %bb.115:
	s_lshl_b32 s0, s2, 7
	s_mul_i32 s2, s7, s10
	s_ashr_i32 s1, s0, 31
	v_lshrrev_b32_e32 v0, 1, v0
	s_lshl_b64 s[0:1], s[0:1], 1
	;;#ASMSTART
	v_cvt_f16_f32 v13, v17;

	;;#ASMEND
	s_add_u32 s4, s24, s0
	s_addc_u32 s5, s25, s1
	s_ashr_i32 s3, s2, 31
	s_lshl_b64 s[0:1], s[2:3], 1
	s_add_u32 s2, s4, s0
	s_addc_u32 s3, s5, s1
	s_lshl_b32 s0, s8, 7
	s_ashr_i32 s1, s0, 31
	s_lshl_b64 s[0:1], s[0:1], 1
	s_add_u32 s0, s2, s0
	s_addc_u32 s1, s3, s1
	global_store_short v0, v13, s[0:1]
	;;#ASMSTART
	v_cvt_f16_f32 v13, v16;

	;;#ASMEND
	global_store_short v0, v13, s[0:1] offset:16
	;;#ASMSTART
	v_cvt_f16_f32 v13, v15;

	;;#ASMEND
	global_store_short v0, v13, s[0:1] offset:32
	;;#ASMSTART
	v_cvt_f16_f32 v13, v14;

	;;#ASMEND
	global_store_short v0, v13, s[0:1] offset:48
	;;#ASMSTART
	v_cvt_f16_f32 v12, v12;

	;;#ASMEND
	global_store_short v0, v12, s[0:1] offset:64
	;;#ASMSTART
	v_cvt_f16_f32 v11, v11;

	;;#ASMEND
	global_store_short v0, v11, s[0:1] offset:80
	;;#ASMSTART
	v_cvt_f16_f32 v10, v10;

	;;#ASMEND
	global_store_short v0, v10, s[0:1] offset:96
	;;#ASMSTART
	v_cvt_f16_f32 v9, v9;

	;;#ASMEND
	global_store_short v0, v9, s[0:1] offset:112
	;;#ASMSTART
	v_cvt_f16_f32 v8, v8;

	;;#ASMEND
	global_store_short v0, v8, s[0:1] offset:128
	;;#ASMSTART
	v_cvt_f16_f32 v7, v7;

	;;#ASMEND
	global_store_short v0, v7, s[0:1] offset:144
	;;#ASMSTART
	v_cvt_f16_f32 v6, v6;

	;;#ASMEND
	global_store_short v0, v6, s[0:1] offset:160
	;;#ASMSTART
	v_cvt_f16_f32 v3, v3;

	;;#ASMEND
	global_store_short v0, v3, s[0:1] offset:176
	;;#ASMSTART
	v_cvt_f16_f32 v2, v2;

	;;#ASMEND
	global_store_short v0, v2, s[0:1] offset:192
	;;#ASMSTART
	v_cvt_f16_f32 v1, v1;

	;;#ASMEND
	global_store_short v0, v1, s[0:1] offset:208
	;;#ASMSTART
	v_cvt_f16_f32 v1, v4;

	;;#ASMEND
	global_store_short v0, v1, s[0:1] offset:224
	;;#ASMSTART
	v_cvt_f16_f32 v1, v5;

	;;#ASMEND
	global_store_short v0, v1, s[0:1] offset:240
.LBB114_116:
	s_endpgm
.LBB114_117:
	ds_read_b32 v19, v13
	s_waitcnt lgkmcnt(0)
	v_add_f32_e32 v17, v17, v19
	s_or_b32 exec_lo, exec_lo, s0
	s_and_saveexec_b32 s0, vcc_lo
	s_cbranch_execz .LBB114_77
.LBB114_118:
	ds_read_b32 v19, v13 offset:32
	s_waitcnt lgkmcnt(0)
	v_add_f32_e32 v16, v16, v19
	s_or_b32 exec_lo, exec_lo, s0
	s_and_saveexec_b32 s0, vcc_lo
	s_cbranch_execz .LBB114_78
.LBB114_119:
	ds_read_b32 v19, v13 offset:64
	s_waitcnt lgkmcnt(0)
	v_add_f32_e32 v15, v15, v19
	s_or_b32 exec_lo, exec_lo, s0
	s_and_saveexec_b32 s0, vcc_lo
	s_cbranch_execz .LBB114_79
.LBB114_120:
	ds_read_b32 v19, v13 offset:96
	s_waitcnt lgkmcnt(0)
	v_add_f32_e32 v14, v14, v19
	s_or_b32 exec_lo, exec_lo, s0
	s_and_saveexec_b32 s0, vcc_lo
	s_cbranch_execz .LBB114_80
.LBB114_121:
	ds_read_b32 v19, v13 offset:128
	s_waitcnt lgkmcnt(0)
	v_add_f32_e32 v12, v12, v19
	s_or_b32 exec_lo, exec_lo, s0
	s_and_saveexec_b32 s0, vcc_lo
	s_cbranch_execz .LBB114_81
.LBB114_122:
	ds_read_b32 v19, v13 offset:160
	s_waitcnt lgkmcnt(0)
	v_add_f32_e32 v11, v11, v19
	s_or_b32 exec_lo, exec_lo, s0
	s_and_saveexec_b32 s0, vcc_lo
	s_cbranch_execz .LBB114_82
.LBB114_123:
	ds_read_b32 v19, v13 offset:192
	s_waitcnt lgkmcnt(0)
	v_add_f32_e32 v10, v10, v19
	s_or_b32 exec_lo, exec_lo, s0
	s_and_saveexec_b32 s0, vcc_lo
	s_cbranch_execz .LBB114_83
.LBB114_124:
	ds_read_b32 v19, v13 offset:224
	s_waitcnt lgkmcnt(0)
	v_add_f32_e32 v9, v9, v19
	s_or_b32 exec_lo, exec_lo, s0
	s_and_saveexec_b32 s0, vcc_lo
	s_cbranch_execz .LBB114_84
.LBB114_125:
	ds_read_b32 v19, v13 offset:256
	s_waitcnt lgkmcnt(0)
	v_add_f32_e32 v8, v8, v19
	s_or_b32 exec_lo, exec_lo, s0
	s_and_saveexec_b32 s0, vcc_lo
	s_cbranch_execz .LBB114_85
.LBB114_126:
	ds_read_b32 v19, v13 offset:288
	s_waitcnt lgkmcnt(0)
	v_add_f32_e32 v7, v7, v19
	s_or_b32 exec_lo, exec_lo, s0
	s_and_saveexec_b32 s0, vcc_lo
	s_cbranch_execz .LBB114_86
.LBB114_127:
	ds_read_b32 v19, v13 offset:320
	s_waitcnt lgkmcnt(0)
	v_add_f32_e32 v6, v6, v19
	s_or_b32 exec_lo, exec_lo, s0
	s_and_saveexec_b32 s0, vcc_lo
	s_cbranch_execz .LBB114_87
.LBB114_128:
	ds_read_b32 v19, v13 offset:352
	s_waitcnt lgkmcnt(0)
	v_add_f32_e32 v3, v3, v19
	s_or_b32 exec_lo, exec_lo, s0
	s_and_saveexec_b32 s0, vcc_lo
	s_cbranch_execz .LBB114_88
.LBB114_129:
	ds_read_b32 v19, v13 offset:384
	s_waitcnt lgkmcnt(0)
	v_add_f32_e32 v2, v2, v19
	s_or_b32 exec_lo, exec_lo, s0
	s_and_saveexec_b32 s0, vcc_lo
	s_cbranch_execz .LBB114_89
.LBB114_130:
	ds_read_b32 v19, v13 offset:416
	s_waitcnt lgkmcnt(0)
	v_add_f32_e32 v1, v1, v19
	s_or_b32 exec_lo, exec_lo, s0
	s_and_saveexec_b32 s0, vcc_lo
	s_cbranch_execz .LBB114_90
.LBB114_131:
	ds_read_b32 v19, v13 offset:448
	s_waitcnt lgkmcnt(0)
	v_add_f32_e32 v4, v4, v19
	s_or_b32 exec_lo, exec_lo, s0
	s_and_saveexec_b32 s0, vcc_lo
	s_cbranch_execnz .LBB114_91
	s_branch .LBB114_92
.LBB114_132:
	ds_read_b32 v18, v13
	s_waitcnt lgkmcnt(0)
	v_add_f32_e32 v17, v17, v18
	s_or_b32 exec_lo, exec_lo, s0
	s_and_saveexec_b32 s0, vcc_lo
	s_cbranch_execz .LBB114_98
.LBB114_133:
	ds_read_b32 v18, v13 offset:32
	s_waitcnt lgkmcnt(0)
	v_add_f32_e32 v16, v16, v18
	s_or_b32 exec_lo, exec_lo, s0
	s_and_saveexec_b32 s0, vcc_lo
	s_cbranch_execz .LBB114_99
.LBB114_134:
	ds_read_b32 v18, v13 offset:64
	s_waitcnt lgkmcnt(0)
	v_add_f32_e32 v15, v15, v18
	s_or_b32 exec_lo, exec_lo, s0
	s_and_saveexec_b32 s0, vcc_lo
	s_cbranch_execz .LBB114_100
.LBB114_135:
	ds_read_b32 v18, v13 offset:96
	s_waitcnt lgkmcnt(0)
	v_add_f32_e32 v14, v14, v18
	s_or_b32 exec_lo, exec_lo, s0
	s_and_saveexec_b32 s0, vcc_lo
	s_cbranch_execz .LBB114_101
.LBB114_136:
	ds_read_b32 v18, v13 offset:128
	s_waitcnt lgkmcnt(0)
	v_add_f32_e32 v12, v12, v18
	s_or_b32 exec_lo, exec_lo, s0
	s_and_saveexec_b32 s0, vcc_lo
	s_cbranch_execz .LBB114_102
.LBB114_137:
	ds_read_b32 v18, v13 offset:160
	s_waitcnt lgkmcnt(0)
	v_add_f32_e32 v11, v11, v18
	s_or_b32 exec_lo, exec_lo, s0
	s_and_saveexec_b32 s0, vcc_lo
	s_cbranch_execz .LBB114_103
.LBB114_138:
	ds_read_b32 v18, v13 offset:192
	s_waitcnt lgkmcnt(0)
	v_add_f32_e32 v10, v10, v18
	s_or_b32 exec_lo, exec_lo, s0
	s_and_saveexec_b32 s0, vcc_lo
	s_cbranch_execz .LBB114_104
.LBB114_139:
	ds_read_b32 v18, v13 offset:224
	s_waitcnt lgkmcnt(0)
	v_add_f32_e32 v9, v9, v18
	s_or_b32 exec_lo, exec_lo, s0
	s_and_saveexec_b32 s0, vcc_lo
	s_cbranch_execz .LBB114_105
.LBB114_140:
	ds_read_b32 v18, v13 offset:256
	s_waitcnt lgkmcnt(0)
	v_add_f32_e32 v8, v8, v18
	s_or_b32 exec_lo, exec_lo, s0
	s_and_saveexec_b32 s0, vcc_lo
	s_cbranch_execz .LBB114_106
.LBB114_141:
	ds_read_b32 v18, v13 offset:288
	s_waitcnt lgkmcnt(0)
	v_add_f32_e32 v7, v7, v18
	s_or_b32 exec_lo, exec_lo, s0
	s_and_saveexec_b32 s0, vcc_lo
	s_cbranch_execz .LBB114_107
.LBB114_142:
	ds_read_b32 v18, v13 offset:320
	s_waitcnt lgkmcnt(0)
	v_add_f32_e32 v6, v6, v18
	s_or_b32 exec_lo, exec_lo, s0
	s_and_saveexec_b32 s0, vcc_lo
	s_cbranch_execz .LBB114_108
.LBB114_143:
	ds_read_b32 v18, v13 offset:352
	s_waitcnt lgkmcnt(0)
	v_add_f32_e32 v3, v3, v18
	s_or_b32 exec_lo, exec_lo, s0
	s_and_saveexec_b32 s0, vcc_lo
	s_cbranch_execz .LBB114_109
.LBB114_144:
	ds_read_b32 v18, v13 offset:384
	s_waitcnt lgkmcnt(0)
	v_add_f32_e32 v2, v2, v18
	s_or_b32 exec_lo, exec_lo, s0
	s_and_saveexec_b32 s0, vcc_lo
	s_cbranch_execz .LBB114_110
.LBB114_145:
	ds_read_b32 v18, v13 offset:416
	s_waitcnt lgkmcnt(0)
	v_add_f32_e32 v1, v1, v18
	s_or_b32 exec_lo, exec_lo, s0
	s_and_saveexec_b32 s0, vcc_lo
	s_cbranch_execz .LBB114_111
.LBB114_146:
	ds_read_b32 v18, v13 offset:448
	s_waitcnt lgkmcnt(0)
	v_add_f32_e32 v4, v4, v18
	s_or_b32 exec_lo, exec_lo, s0
	s_and_saveexec_b32 s0, vcc_lo
	s_cbranch_execnz .LBB114_112
	s_branch .LBB114_113
	.section	.rodata,"a",@progbits
	.p2align	6, 0x0
	.amdhsa_kernel _ZN4vllm25paged_attention_v2_kernelIttLi128ELi32ELi128ELNS_18Fp8KVCacheDataTypeE0ELb1ELi512EEEvPfS2_PT_PKS3_PKT0_S9_ifPKiSB_iPKfiiiSD_SD_iiiii
		.amdhsa_group_segment_fixed_size 288
		.amdhsa_private_segment_fixed_size 0
		.amdhsa_kernarg_size 400
		.amdhsa_user_sgpr_count 6
		.amdhsa_user_sgpr_private_segment_buffer 1
		.amdhsa_user_sgpr_dispatch_ptr 0
		.amdhsa_user_sgpr_queue_ptr 0
		.amdhsa_user_sgpr_kernarg_segment_ptr 1
		.amdhsa_user_sgpr_dispatch_id 0
		.amdhsa_user_sgpr_flat_scratch_init 0
		.amdhsa_user_sgpr_private_segment_size 0
		.amdhsa_wavefront_size32 1
		.amdhsa_uses_dynamic_stack 0
		.amdhsa_system_sgpr_private_segment_wavefront_offset 0
		.amdhsa_system_sgpr_workgroup_id_x 1
		.amdhsa_system_sgpr_workgroup_id_y 1
		.amdhsa_system_sgpr_workgroup_id_z 1
		.amdhsa_system_sgpr_workgroup_info 0
		.amdhsa_system_vgpr_workitem_id 0
		.amdhsa_next_free_vgpr 103
		.amdhsa_next_free_sgpr 46
		.amdhsa_reserve_vcc 1
		.amdhsa_reserve_flat_scratch 0
		.amdhsa_float_round_mode_32 0
		.amdhsa_float_round_mode_16_64 0
		.amdhsa_float_denorm_mode_32 3
		.amdhsa_float_denorm_mode_16_64 3
		.amdhsa_dx10_clamp 1
		.amdhsa_ieee_mode 1
		.amdhsa_fp16_overflow 0
		.amdhsa_workgroup_processor_mode 1
		.amdhsa_memory_ordered 1
		.amdhsa_forward_progress 1
		.amdhsa_shared_vgpr_count 0
		.amdhsa_exception_fp_ieee_invalid_op 0
		.amdhsa_exception_fp_denorm_src 0
		.amdhsa_exception_fp_ieee_div_zero 0
		.amdhsa_exception_fp_ieee_overflow 0
		.amdhsa_exception_fp_ieee_underflow 0
		.amdhsa_exception_fp_ieee_inexact 0
		.amdhsa_exception_int_div_zero 0
	.end_amdhsa_kernel
	.section	.text._ZN4vllm25paged_attention_v2_kernelIttLi128ELi32ELi128ELNS_18Fp8KVCacheDataTypeE0ELb1ELi512EEEvPfS2_PT_PKS3_PKT0_S9_ifPKiSB_iPKfiiiSD_SD_iiiii,"axG",@progbits,_ZN4vllm25paged_attention_v2_kernelIttLi128ELi32ELi128ELNS_18Fp8KVCacheDataTypeE0ELb1ELi512EEEvPfS2_PT_PKS3_PKT0_S9_ifPKiSB_iPKfiiiSD_SD_iiiii,comdat
.Lfunc_end114:
	.size	_ZN4vllm25paged_attention_v2_kernelIttLi128ELi32ELi128ELNS_18Fp8KVCacheDataTypeE0ELb1ELi512EEEvPfS2_PT_PKS3_PKT0_S9_ifPKiSB_iPKfiiiSD_SD_iiiii, .Lfunc_end114-_ZN4vllm25paged_attention_v2_kernelIttLi128ELi32ELi128ELNS_18Fp8KVCacheDataTypeE0ELb1ELi512EEEvPfS2_PT_PKS3_PKT0_S9_ifPKiSB_iPKfiiiSD_SD_iiiii
                                        ; -- End function
	.set _ZN4vllm25paged_attention_v2_kernelIttLi128ELi32ELi128ELNS_18Fp8KVCacheDataTypeE0ELb1ELi512EEEvPfS2_PT_PKS3_PKT0_S9_ifPKiSB_iPKfiiiSD_SD_iiiii.num_vgpr, 103
	.set _ZN4vllm25paged_attention_v2_kernelIttLi128ELi32ELi128ELNS_18Fp8KVCacheDataTypeE0ELb1ELi512EEEvPfS2_PT_PKS3_PKT0_S9_ifPKiSB_iPKfiiiSD_SD_iiiii.num_agpr, 0
	.set _ZN4vllm25paged_attention_v2_kernelIttLi128ELi32ELi128ELNS_18Fp8KVCacheDataTypeE0ELb1ELi512EEEvPfS2_PT_PKS3_PKT0_S9_ifPKiSB_iPKfiiiSD_SD_iiiii.numbered_sgpr, 46
	.set _ZN4vllm25paged_attention_v2_kernelIttLi128ELi32ELi128ELNS_18Fp8KVCacheDataTypeE0ELb1ELi512EEEvPfS2_PT_PKS3_PKT0_S9_ifPKiSB_iPKfiiiSD_SD_iiiii.num_named_barrier, 0
	.set _ZN4vllm25paged_attention_v2_kernelIttLi128ELi32ELi128ELNS_18Fp8KVCacheDataTypeE0ELb1ELi512EEEvPfS2_PT_PKS3_PKT0_S9_ifPKiSB_iPKfiiiSD_SD_iiiii.private_seg_size, 0
	.set _ZN4vllm25paged_attention_v2_kernelIttLi128ELi32ELi128ELNS_18Fp8KVCacheDataTypeE0ELb1ELi512EEEvPfS2_PT_PKS3_PKT0_S9_ifPKiSB_iPKfiiiSD_SD_iiiii.uses_vcc, 1
	.set _ZN4vllm25paged_attention_v2_kernelIttLi128ELi32ELi128ELNS_18Fp8KVCacheDataTypeE0ELb1ELi512EEEvPfS2_PT_PKS3_PKT0_S9_ifPKiSB_iPKfiiiSD_SD_iiiii.uses_flat_scratch, 0
	.set _ZN4vllm25paged_attention_v2_kernelIttLi128ELi32ELi128ELNS_18Fp8KVCacheDataTypeE0ELb1ELi512EEEvPfS2_PT_PKS3_PKT0_S9_ifPKiSB_iPKfiiiSD_SD_iiiii.has_dyn_sized_stack, 0
	.set _ZN4vllm25paged_attention_v2_kernelIttLi128ELi32ELi128ELNS_18Fp8KVCacheDataTypeE0ELb1ELi512EEEvPfS2_PT_PKS3_PKT0_S9_ifPKiSB_iPKfiiiSD_SD_iiiii.has_recursion, 0
	.set _ZN4vllm25paged_attention_v2_kernelIttLi128ELi32ELi128ELNS_18Fp8KVCacheDataTypeE0ELb1ELi512EEEvPfS2_PT_PKS3_PKT0_S9_ifPKiSB_iPKfiiiSD_SD_iiiii.has_indirect_call, 0
	.section	.AMDGPU.csdata,"",@progbits
; Kernel info:
; codeLenInByte = 19876
; TotalNumSgprs: 48
; NumVgprs: 103
; ScratchSize: 0
; MemoryBound: 0
; FloatMode: 240
; IeeeMode: 1
; LDSByteSize: 288 bytes/workgroup (compile time only)
; SGPRBlocks: 0
; VGPRBlocks: 12
; NumSGPRsForWavesPerEU: 48
; NumVGPRsForWavesPerEU: 103
; Occupancy: 9
; WaveLimiterHint : 1
; COMPUTE_PGM_RSRC2:SCRATCH_EN: 0
; COMPUTE_PGM_RSRC2:USER_SGPR: 6
; COMPUTE_PGM_RSRC2:TRAP_HANDLER: 0
; COMPUTE_PGM_RSRC2:TGID_X_EN: 1
; COMPUTE_PGM_RSRC2:TGID_Y_EN: 1
; COMPUTE_PGM_RSRC2:TGID_Z_EN: 1
; COMPUTE_PGM_RSRC2:TIDIG_COMP_CNT: 0
	.section	.text._ZN4vllm25paged_attention_v2_kernelIttLi192ELi32ELi128ELNS_18Fp8KVCacheDataTypeE0ELb1ELi512EEEvPfS2_PT_PKS3_PKT0_S9_ifPKiSB_iPKfiiiSD_SD_iiiii,"axG",@progbits,_ZN4vllm25paged_attention_v2_kernelIttLi192ELi32ELi128ELNS_18Fp8KVCacheDataTypeE0ELb1ELi512EEEvPfS2_PT_PKS3_PKT0_S9_ifPKiSB_iPKfiiiSD_SD_iiiii,comdat
	.protected	_ZN4vllm25paged_attention_v2_kernelIttLi192ELi32ELi128ELNS_18Fp8KVCacheDataTypeE0ELb1ELi512EEEvPfS2_PT_PKS3_PKT0_S9_ifPKiSB_iPKfiiiSD_SD_iiiii ; -- Begin function _ZN4vllm25paged_attention_v2_kernelIttLi192ELi32ELi128ELNS_18Fp8KVCacheDataTypeE0ELb1ELi512EEEvPfS2_PT_PKS3_PKT0_S9_ifPKiSB_iPKfiiiSD_SD_iiiii
	.globl	_ZN4vllm25paged_attention_v2_kernelIttLi192ELi32ELi128ELNS_18Fp8KVCacheDataTypeE0ELb1ELi512EEEvPfS2_PT_PKS3_PKT0_S9_ifPKiSB_iPKfiiiSD_SD_iiiii
	.p2align	8
	.type	_ZN4vllm25paged_attention_v2_kernelIttLi192ELi32ELi128ELNS_18Fp8KVCacheDataTypeE0ELb1ELi512EEEvPfS2_PT_PKS3_PKT0_S9_ifPKiSB_iPKfiiiSD_SD_iiiii,@function
_ZN4vllm25paged_attention_v2_kernelIttLi192ELi32ELi128ELNS_18Fp8KVCacheDataTypeE0ELb1ELi512EEEvPfS2_PT_PKS3_PKT0_S9_ifPKiSB_iPKfiiiSD_SD_iiiii: ; @_ZN4vllm25paged_attention_v2_kernelIttLi192ELi32ELi128ELNS_18Fp8KVCacheDataTypeE0ELb1ELi512EEEvPfS2_PT_PKS3_PKT0_S9_ifPKiSB_iPKfiiiSD_SD_iiiii
; %bb.0:
	s_mov_b64 s[50:51], s[2:3]
	s_mov_b64 s[48:49], s[0:1]
	s_load_dwordx2 s[0:1], s[4:5], 0x40
	s_add_u32 s48, s48, s9
	s_addc_u32 s49, s49, 0
	s_mov_b32 s26, s7
	s_ashr_i32 s27, s7, 31
	s_lshl_b64 s[2:3], s[26:27], 2
	s_waitcnt lgkmcnt(0)
	s_add_u32 s0, s0, s2
	s_addc_u32 s1, s1, s3
	s_lshl_b32 s36, s8, 9
	s_load_dword s27, s[0:1], 0x0
	s_waitcnt lgkmcnt(0)
	s_cmp_ge_i32 s36, s27
	s_cbranch_scc1 .LBB115_148
; %bb.1:
	s_clause 0x1
	s_load_dword s9, s[4:5], 0x90
	s_load_dwordx2 s[2:3], s[4:5], 0x30
	s_mov_b32 s39, 0
	s_waitcnt lgkmcnt(0)
	s_abs_i32 s10, s9
	s_abs_i32 s0, s2
	v_cvt_f32_u32_e32 v1, s0
	s_sub_i32 s7, 0, s0
	v_rcp_iflag_f32_e32 v1, v1
	v_mul_f32_e32 v1, 0x4f7ffffe, v1
	v_cvt_u32_f32_e32 v1, v1
	v_readfirstlane_b32 s1, v1
	s_mul_i32 s7, s7, s1
	s_mul_hi_u32 s7, s1, s7
	s_add_i32 s1, s1, s7
	s_xor_b32 s7, s9, s2
	s_mul_hi_u32 s1, s10, s1
	s_ashr_i32 s7, s7, 31
	s_mul_i32 s11, s1, s0
	s_sub_i32 s10, s10, s11
	s_add_i32 s11, s1, 1
	s_sub_i32 s12, s10, s0
	s_cmp_ge_u32 s10, s0
	s_cselect_b32 s1, s11, s1
	s_cselect_b32 s10, s12, s10
	s_add_i32 s11, s1, 1
	s_cmp_ge_u32 s10, s0
	s_cselect_b32 s0, s11, s1
	s_abs_i32 s21, s6
	s_xor_b32 s0, s0, s7
	s_sub_i32 s10, s0, s7
	s_load_dwordx2 s[0:1], s[4:5], 0x50
	s_abs_i32 s20, s10
	v_cvt_f32_u32_e32 v1, s20
	s_sub_i32 s11, 0, s20
	v_rcp_iflag_f32_e32 v1, v1
	v_mul_f32_e32 v1, 0x4f7ffffe, v1
	v_cvt_u32_f32_e32 v1, v1
	v_readfirstlane_b32 s7, v1
	s_mul_i32 s11, s11, s7
	s_mul_hi_u32 s11, s7, s11
	s_add_i32 s7, s7, s11
	s_waitcnt lgkmcnt(0)
	s_cmp_eq_u64 s[0:1], 0
	s_mul_hi_u32 s22, s21, s7
	s_cbranch_scc1 .LBB115_3
; %bb.2:
	s_ashr_i32 s7, s6, 31
	s_lshl_b64 s[12:13], s[6:7], 2
	s_add_u32 s0, s0, s12
	s_addc_u32 s1, s1, s13
	s_load_dword s39, s[0:1], 0x0
.LBB115_3:
	s_load_dwordx4 s[12:15], s[4:5], 0x58
	v_lshlrev_b32_e32 v35, 4, v0
	s_ashr_i32 s0, s6, 31
	s_ashr_i32 s1, s10, 31
	s_mul_i32 s10, s6, 0xc0
	s_mov_b32 s7, exec_lo
	v_cmpx_gt_u32_e32 24, v0
	s_cbranch_execz .LBB115_5
; %bb.4:
	s_load_dwordx2 s[16:17], s[4:5], 0x18
	s_waitcnt lgkmcnt(0)
	s_mul_i32 s18, s12, s26
	s_ashr_i32 s19, s18, 31
	s_lshl_b64 s[18:19], s[18:19], 1
	s_add_u32 s12, s16, s18
	s_addc_u32 s15, s17, s19
	s_ashr_i32 s11, s10, 31
	s_lshl_b64 s[16:17], s[10:11], 1
	s_add_u32 s16, s12, s16
	s_addc_u32 s17, s15, s17
	global_load_dwordx4 v[1:4], v35, s[16:17]
	s_waitcnt vmcnt(0)
	ds_write_b128 v35, v[1:4]
.LBB115_5:
	s_or_b32 exec_lo, exec_lo, s7
	s_load_dwordx4 s[16:19], s[4:5], 0x78
	s_mul_i32 s7, s22, s20
	s_xor_b32 s0, s0, s1
	s_sub_i32 s1, s21, s7
	s_add_i32 s7, s22, 1
	s_sub_i32 s11, s1, s20
	s_cmp_ge_u32 s1, s20
	s_mov_b32 s21, -1
	s_cselect_b32 s7, s7, s22
	s_cselect_b32 s1, s11, s1
	s_add_i32 s11, s7, 1
	s_cmp_ge_u32 s1, s20
                                        ; implicit-def: $sgpr33
	s_cselect_b32 s1, s11, s7
	s_load_dword s7, s[4:5], 0x88
	s_xor_b32 s1, s1, s0
	s_add_i32 s20, s27, -1
	s_sub_i32 s1, s1, s0
	s_waitcnt lgkmcnt(0)
	s_abs_i32 s15, s20
	s_abs_i32 s11, s19
	s_barrier
	v_cvt_f32_u32_e32 v1, s11
	s_sub_i32 s0, 0, s11
	buffer_gl0_inv
	v_rcp_iflag_f32_e32 v1, v1
	v_mul_f32_e32 v1, 0x4f7ffffe, v1
	v_cvt_u32_f32_e32 v1, v1
	v_readfirstlane_b32 s12, v1
	s_mul_i32 s0, s0, s12
	s_mul_hi_u32 s0, s12, s0
	s_add_i32 s12, s12, s0
	s_cmp_lt_i32 s7, 0
	s_mul_hi_u32 s0, s15, s12
	s_cbranch_scc0 .LBB115_7
; %bb.6:
	s_mul_i32 s2, s16, s2
	s_mov_b32 s21, 0
	s_add_i32 s2, s1, s2
	s_mul_i32 s2, s2, s7
	s_sub_i32 s33, 1, s2
.LBB115_7:
	s_load_dwordx2 s[28:29], s[4:5], 0x38
	s_ashr_i32 s2, s20, 31
	s_andn2_b32 vcc_lo, exec_lo, s21
	s_ashr_i32 s19, s19, 31
	s_cbranch_vccnz .LBB115_9
; %bb.8:
	s_mul_i32 s16, s9, s16
	s_add_i32 s16, s16, s6
	s_mul_i32 s7, s16, s7
	s_add_i32 s33, s7, 1
.LBB115_9:
	s_clause 0x2
	s_load_dword s16, s[4:5], 0x48
	s_load_dwordx2 s[30:31], s[4:5], 0x28
	s_load_dword s7, s[4:5], 0x98
	s_mul_i32 s20, s0, s11
	s_xor_b32 s2, s2, s19
	s_sub_i32 s15, s15, s20
	s_add_i32 s37, s0, 1
	s_clause 0x1
	s_load_dwordx4 s[20:23], s[4:5], 0x0
	s_load_dwordx2 s[24:25], s[4:5], 0x10
	v_lshrrev_b32_e32 v99, 5, v0
	v_and_b32_e32 v1, 31, v0
	v_mov_b32_e32 v104, 0xff7fffff
	s_mul_i32 s14, s1, s14
	v_lshlrev_b32_e32 v13, 2, v1
	s_waitcnt lgkmcnt(0)
	s_mul_i32 s34, s16, s26
	s_sub_i32 s16, s15, s11
	s_ashr_i32 s35, s34, 31
	s_cmp_ge_u32 s15, s11
	s_cselect_b32 s0, s37, s0
	s_cselect_b32 s15, s16, s15
	s_add_i32 s16, s0, 1
	s_cmp_ge_u32 s15, s11
	s_cselect_b32 s0, s16, s0
	s_add_i32 s15, s27, 31
	s_lshl_b32 s40, s8, 4
	s_ashr_i32 s16, s15, 31
	v_add_nc_u32_e32 v97, s40, v99
	s_lshr_b32 s16, s16, 27
	s_add_i32 s38, s40, 16
	s_add_i32 s15, s15, s16
	s_ashr_i32 s37, s15, 5
	s_xor_b32 s15, s0, s2
	s_min_i32 s16, s38, s37
	s_sub_i32 s38, s15, s2
	v_cmp_gt_i32_e64 s0, s16, v97
	s_and_saveexec_b32 s41, s0
	s_cbranch_execz .LBB115_17
; %bb.10:
	s_load_dwordx2 s[42:43], s[4:5], 0x20
	s_ashr_i32 s15, s14, 31
	s_sub_i32 s4, s38, s17
	s_lshl_b64 s[44:45], s[14:15], 1
	v_and_b32_e32 v2, 31, v0
	v_ashrrev_i32_e32 v98, 31, v97
	v_lshl_or_b32 v7, v99, 7, v13
	v_mov_b32_e32 v105, 0
	v_cmp_neq_f32_e64 vcc_lo, s39, 0
	v_subrev_nc_u32_e32 v5, s27, v2
	v_lshlrev_b32_e32 v3, 4, v2
	v_lshl_add_u32 v106, v99, 5, s36
	v_mov_b32_e32 v104, 0xff7fffff
	v_add_nc_u32_e32 v108, 0x1a0, v7
	v_add_nc_u32_e32 v107, 1, v5
	v_mov_b32_e32 v112, v97
	buffer_store_dword v13, off, s[48:51], 0 ; 4-byte Folded Spill
	s_waitcnt lgkmcnt(0)
	s_add_u32 s1, s42, s44
	s_addc_u32 s2, s43, s45
	s_abs_i32 s5, s18
	s_lshl_b64 s[42:43], s[34:35], 2
	v_cvt_f32_u32_e32 v1, s5
	s_sub_i32 s15, 0, s5
	v_add_co_u32 v109, s1, s1, v3
	v_add_co_ci_u32_e64 v110, null, s2, 0, s1
	v_rcp_iflag_f32_e32 v1, v1
	s_add_u32 s1, s28, s42
	s_addc_u32 s2, s29, s43
	s_mov_b32 s42, s13
	v_mul_f32_e32 v1, 0x4f7ffffe, v1
	v_cvt_u32_f32_e32 v4, v1
	v_lshlrev_b64 v[1:2], 2, v[97:98]
	v_mul_lo_u32 v6, s15, v4
	s_mov_b32 s15, 0
	v_add_co_u32 v98, s1, s1, v1
	v_add_co_ci_u32_e64 v99, null, s2, v2, s1
	v_mul_hi_u32 v5, v4, v6
	v_add_nc_u32_e32 v111, v4, v5
	s_branch .LBB115_12
.LBB115_11:                             ;   in Loop: Header=BB115_12 Depth=1
	s_or_b32 exec_lo, exec_lo, s2
	v_add_nc_u32_e32 v112, 4, v112
	v_add_co_u32 v98, s2, v98, 16
	v_add_co_ci_u32_e64 v99, null, 0, v99, s2
	v_cmp_le_i32_e64 s1, s16, v112
	v_add_nc_u32_e32 v106, 0x80, v106
	v_add_nc_u32_e32 v108, 0x200, v108
	s_or_b32 s15, s1, s15
	s_andn2_b32 exec_lo, exec_lo, s15
	s_cbranch_execz .LBB115_16
.LBB115_12:                             ; =>This Inner Loop Header: Depth=1
	v_sub_nc_u32_e32 v1, 0, v106
	v_max_i32_e32 v1, v106, v1
	v_mul_hi_u32 v2, v1, s12
	v_mul_lo_u32 v3, v2, s11
	v_sub_nc_u32_e32 v1, v1, v3
	v_add_nc_u32_e32 v3, 1, v2
	v_subrev_nc_u32_e32 v4, s11, v1
	v_cmp_le_u32_e64 s1, s11, v1
	v_cndmask_b32_e64 v2, v2, v3, s1
	v_cndmask_b32_e64 v1, v1, v4, s1
	v_ashrrev_i32_e32 v3, 31, v106
	v_add_nc_u32_e32 v4, 1, v2
	v_cmp_le_u32_e64 s1, s11, v1
	v_xor_b32_e32 v3, s19, v3
	v_cndmask_b32_e64 v1, v2, v4, s1
	v_xor_b32_e32 v1, v1, v3
	v_sub_nc_u32_e32 v1, v1, v3
	v_add_nc_u32_e32 v2, s33, v1
	v_cmp_ge_i32_e64 s2, s4, v1
	v_sub_nc_u32_e32 v3, 0, v2
	v_max_i32_e32 v3, v2, v3
	v_ashrrev_i32_e32 v2, 31, v2
	v_mul_hi_u32 v4, v3, v111
	v_mul_lo_u32 v4, v4, s5
	v_sub_nc_u32_e32 v3, v3, v4
	v_subrev_nc_u32_e32 v4, s5, v3
	v_cmp_le_u32_e64 s1, s5, v3
	v_cndmask_b32_e64 v3, v3, v4, s1
	v_subrev_nc_u32_e32 v4, s5, v3
	v_cmp_le_u32_e64 s1, s5, v3
	v_cndmask_b32_e64 v3, v3, v4, s1
	v_xor_b32_e32 v3, v3, v2
	v_sub_nc_u32_e32 v2, v3, v2
	v_cmp_ne_u32_e64 s1, 0, v2
	s_and_b32 s1, s1, s2
	s_and_saveexec_b32 s2, s1
	s_xor_b32 s1, exec_lo, s2
; %bb.13:                               ;   in Loop: Header=BB115_12 Depth=1
	v_mov_b32_e32 v1, 0xff7fffff
	ds_write_b32 v108, v1
; %bb.14:                               ;   in Loop: Header=BB115_12 Depth=1
	s_andn2_saveexec_b32 s2, s1
	s_cbranch_execz .LBB115_11
; %bb.15:                               ;   in Loop: Header=BB115_12 Depth=1
	global_load_dword v1, v[98:99], off
	v_and_b32_e32 v2, 31, v0
	v_add_nc_u32_e32 v3, v107, v106
	v_add_nc_u32_e32 v114, v2, v106
	v_cvt_f32_i32_e32 v3, v3
	v_mul_f32_e32 v3, s39, v3
	v_cndmask_b32_e32 v113, 0, v3, vcc_lo
	s_waitcnt vmcnt(0)
	v_mad_i64_i32 v[1:2], null, v1, s42, 0
	v_lshlrev_b64 v[1:2], 1, v[1:2]
	v_add_co_u32 v1, s1, v109, v1
	v_add_co_ci_u32_e64 v2, null, v110, v2, s1
	s_clause 0x3
	global_load_dwordx4 v[93:96], v[1:2], off
	global_load_dwordx4 v[89:92], v[1:2], off offset:512
	global_load_dwordx4 v[85:88], v[1:2], off offset:1024
	;; [unrolled: 1-line block ×3, first 2 shown]
	v_add_co_u32 v3, s1, 0x800, v1
	v_add_co_ci_u32_e64 v4, null, 0, v2, s1
	v_add_co_u32 v5, s1, v1, 0x1000
	v_add_co_ci_u32_e64 v6, null, 0, v2, s1
	s_clause 0x3
	global_load_dwordx4 v[77:80], v[5:6], off offset:-2048
	global_load_dwordx4 v[73:76], v[3:4], off offset:512
	global_load_dwordx4 v[69:72], v[3:4], off offset:1024
	;; [unrolled: 1-line block ×3, first 2 shown]
	v_add_co_u32 v3, s1, 0x1000, v1
	v_add_co_ci_u32_e64 v4, null, 0, v2, s1
	s_clause 0x3
	global_load_dwordx4 v[61:64], v[5:6], off
	global_load_dwordx4 v[57:60], v[3:4], off offset:512
	global_load_dwordx4 v[53:56], v[3:4], off offset:1024
	;; [unrolled: 1-line block ×3, first 2 shown]
	v_add_co_u32 v3, s1, 0x1800, v1
	v_add_co_ci_u32_e64 v4, null, 0, v2, s1
	v_add_co_u32 v5, s1, v1, 0x2000
	v_add_co_ci_u32_e64 v6, null, 0, v2, s1
	s_clause 0x3
	global_load_dwordx4 v[45:48], v[5:6], off offset:-2048
	global_load_dwordx4 v[41:44], v[3:4], off offset:512
	global_load_dwordx4 v[37:40], v[3:4], off offset:1024
	;; [unrolled: 1-line block ×3, first 2 shown]
	v_add_co_u32 v3, s1, 0x2000, v1
	v_add_co_ci_u32_e64 v4, null, 0, v2, s1
	v_add_co_u32 v1, s1, 0x2800, v1
	v_add_co_ci_u32_e64 v2, null, 0, v2, s1
	s_clause 0x7
	global_load_dwordx4 v[29:32], v[5:6], off
	global_load_dwordx4 v[25:28], v[3:4], off offset:512
	global_load_dwordx4 v[21:24], v[3:4], off offset:1024
	;; [unrolled: 1-line block ×3, first 2 shown]
	global_load_dwordx4 v[13:16], v[1:2], off
	global_load_dwordx4 v[9:12], v[1:2], off offset:512
	global_load_dwordx4 v[5:8], v[1:2], off offset:1024
	;; [unrolled: 1-line block ×3, first 2 shown]
	v_cmp_gt_i32_e64 s1, s27, v114
	ds_read_b128 v[114:117], v105
	s_waitcnt lgkmcnt(0)
	v_lshrrev_b32_e32 v100, 16, v114
	v_and_b32_e32 v101, 0xffff, v114
	;;#ASMSTART
	v_cvt_f32_f16 v118, v101;
	;;#ASMEND
	;;#ASMSTART
	v_cvt_f32_f16 v119, v100;
	;;#ASMEND
	s_waitcnt vmcnt(23)
	v_lshrrev_b32_e32 v100, 16, v93
	v_and_b32_e32 v93, 0xffff, v93
	;;#ASMSTART
	v_cvt_f32_f16 v120, v93;
	;;#ASMEND
	v_lshrrev_b32_e32 v93, 16, v115
	;;#ASMSTART
	v_cvt_f32_f16 v121, v100;
	;;#ASMEND
	v_and_b32_e32 v100, 0xffff, v115
	;;#ASMSTART
	v_cvt_f32_f16 v122, v100;
	;;#ASMEND
	;;#ASMSTART
	v_cvt_f32_f16 v123, v93;
	;;#ASMEND
	v_lshrrev_b32_e32 v93, 16, v94
	v_and_b32_e32 v94, 0xffff, v94
	;;#ASMSTART
	v_cvt_f32_f16 v124, v94;
	;;#ASMEND
	;;#ASMSTART
	v_cvt_f32_f16 v125, v93;
	;;#ASMEND
	v_lshrrev_b32_e32 v93, 16, v116
	;; [unrolled: 8-line block ×5, first 2 shown]
	v_and_b32_e32 v94, 0xffff, v96
	;;#ASMSTART
	v_cvt_f32_f16 v117, v94;
	;;#ASMEND
	;;#ASMSTART
	v_cvt_f32_f16 v103, v93;
	;;#ASMEND
	ds_read_b128 v[93:96], v105 offset:16
	s_waitcnt vmcnt(22)
	v_lshrrev_b32_e32 v101, 16, v89
	v_and_b32_e32 v89, 0xffff, v89
	s_waitcnt lgkmcnt(0)
	v_lshrrev_b32_e32 v100, 16, v93
	v_and_b32_e32 v93, 0xffff, v93
	;;#ASMSTART
	v_cvt_f32_f16 v93, v93;
	;;#ASMEND
	;;#ASMSTART
	v_cvt_f32_f16 v100, v100;
	;;#ASMEND
	;;#ASMSTART
	v_cvt_f32_f16 v89, v89;
	;;#ASMEND
	;;#ASMSTART
	v_cvt_f32_f16 v101, v101;
	;;#ASMEND
	v_mul_f32_e32 v89, v93, v89
	v_mul_f32_e32 v93, v100, v101
	v_lshrrev_b32_e32 v100, 16, v94
	v_and_b32_e32 v94, 0xffff, v94
	v_lshrrev_b32_e32 v101, 16, v90
	v_and_b32_e32 v90, 0xffff, v90
	;;#ASMSTART
	v_cvt_f32_f16 v94, v94;
	;;#ASMEND
	;;#ASMSTART
	v_cvt_f32_f16 v100, v100;
	;;#ASMEND
	;;#ASMSTART
	v_cvt_f32_f16 v90, v90;
	;;#ASMEND
	;;#ASMSTART
	v_cvt_f32_f16 v101, v101;
	;;#ASMEND
	v_mul_f32_e32 v94, v94, v90
	v_mul_f32_e32 v90, v100, v101
	v_lshrrev_b32_e32 v100, 16, v95
	v_and_b32_e32 v95, 0xffff, v95
	;; [unrolled: 18-line block ×3, first 2 shown]
	v_lshrrev_b32_e32 v101, 16, v92
	v_and_b32_e32 v92, 0xffff, v92
	;;#ASMSTART
	v_cvt_f32_f16 v96, v96;
	;;#ASMEND
	;;#ASMSTART
	v_cvt_f32_f16 v100, v100;
	;;#ASMEND
	;; [unrolled: 3-line block ×4, first 2 shown]
	v_mul_f32_e32 v96, v96, v92
	v_mul_f32_e32 v92, v100, v101
	v_fmac_f32_e32 v95, v116, v127
	v_fmac_f32_e32 v89, v118, v120
	;; [unrolled: 1-line block ×5, first 2 shown]
	ds_read_b128 v[114:117], v105 offset:32
	v_fmac_f32_e32 v94, v122, v124
	v_fmac_f32_e32 v90, v123, v125
	v_fmac_f32_e32 v91, v126, v102
	s_waitcnt vmcnt(21)
	v_lshrrev_b32_e32 v102, 16, v85
	v_and_b32_e32 v85, 0xffff, v85
	s_waitcnt lgkmcnt(0)
	v_lshrrev_b32_e32 v101, 16, v114
	v_and_b32_e32 v100, 0xffff, v114
	;;#ASMSTART
	v_cvt_f32_f16 v100, v100;
	;;#ASMEND
	;;#ASMSTART
	v_cvt_f32_f16 v101, v101;
	;;#ASMEND
	;;#ASMSTART
	v_cvt_f32_f16 v85, v85;
	;;#ASMEND
	;;#ASMSTART
	v_cvt_f32_f16 v102, v102;
	;;#ASMEND
	v_fmac_f32_e32 v89, v100, v85
	v_fmac_f32_e32 v93, v101, v102
	v_lshrrev_b32_e32 v100, 16, v115
	v_and_b32_e32 v85, 0xffff, v115
	v_lshrrev_b32_e32 v101, 16, v86
	v_and_b32_e32 v86, 0xffff, v86
	;;#ASMSTART
	v_cvt_f32_f16 v85, v85;
	;;#ASMEND
	;;#ASMSTART
	v_cvt_f32_f16 v100, v100;
	;;#ASMEND
	;;#ASMSTART
	v_cvt_f32_f16 v86, v86;
	;;#ASMEND
	;;#ASMSTART
	v_cvt_f32_f16 v101, v101;
	;;#ASMEND
	v_fmac_f32_e32 v94, v85, v86
	v_fmac_f32_e32 v90, v100, v101
	v_lshrrev_b32_e32 v86, 16, v116
	v_and_b32_e32 v85, 0xffff, v116
	;; [unrolled: 18-line block ×3, first 2 shown]
	v_and_b32_e32 v87, 0xffff, v88
	;;#ASMSTART
	v_cvt_f32_f16 v85, v85;
	;;#ASMEND
	;;#ASMSTART
	v_cvt_f32_f16 v86, v86;
	;;#ASMEND
	v_lshrrev_b32_e32 v100, 16, v88
	;;#ASMSTART
	v_cvt_f32_f16 v87, v87;
	;;#ASMEND
	;;#ASMSTART
	v_cvt_f32_f16 v88, v100;
	;;#ASMEND
	v_fmac_f32_e32 v96, v85, v87
	v_fmac_f32_e32 v92, v86, v88
	ds_read_b128 v[85:88], v105 offset:48
	s_waitcnt vmcnt(20)
	v_lshrrev_b32_e32 v101, 16, v81
	v_and_b32_e32 v81, 0xffff, v81
	s_waitcnt lgkmcnt(0)
	v_lshrrev_b32_e32 v100, 16, v85
	v_and_b32_e32 v85, 0xffff, v85
	;;#ASMSTART
	v_cvt_f32_f16 v85, v85;
	;;#ASMEND
	;;#ASMSTART
	v_cvt_f32_f16 v100, v100;
	;;#ASMEND
	;;#ASMSTART
	v_cvt_f32_f16 v81, v81;
	;;#ASMEND
	v_fmac_f32_e32 v89, v85, v81
	v_lshrrev_b32_e32 v85, 16, v86
	v_and_b32_e32 v81, 0xffff, v86
	v_lshrrev_b32_e32 v86, 16, v82
	v_and_b32_e32 v82, 0xffff, v82
	;;#ASMSTART
	v_cvt_f32_f16 v101, v101;
	;;#ASMEND
	;;#ASMSTART
	v_cvt_f32_f16 v81, v81;
	;;#ASMEND
	;; [unrolled: 3-line block ×5, first 2 shown]
	v_fmac_f32_e32 v94, v81, v82
	v_fmac_f32_e32 v90, v85, v86
	v_lshrrev_b32_e32 v82, 16, v87
	v_and_b32_e32 v81, 0xffff, v87
	v_lshrrev_b32_e32 v85, 16, v83
	v_and_b32_e32 v83, 0xffff, v83
	;;#ASMSTART
	v_cvt_f32_f16 v81, v81;
	;;#ASMEND
	;;#ASMSTART
	v_cvt_f32_f16 v82, v82;
	;;#ASMEND
	;;#ASMSTART
	v_cvt_f32_f16 v83, v83;
	;;#ASMEND
	;;#ASMSTART
	v_cvt_f32_f16 v85, v85;
	;;#ASMEND
	v_fmac_f32_e32 v95, v81, v83
	v_fmac_f32_e32 v91, v82, v85
	v_lshrrev_b32_e32 v82, 16, v88
	v_and_b32_e32 v81, 0xffff, v88
	v_and_b32_e32 v83, 0xffff, v84
	;;#ASMSTART
	v_cvt_f32_f16 v81, v81;
	;;#ASMEND
	;;#ASMSTART
	v_cvt_f32_f16 v82, v82;
	;;#ASMEND
	v_lshrrev_b32_e32 v85, 16, v84
	;;#ASMSTART
	v_cvt_f32_f16 v83, v83;
	;;#ASMEND
	;;#ASMSTART
	v_cvt_f32_f16 v84, v85;
	;;#ASMEND
	v_fmac_f32_e32 v96, v81, v83
	v_fmac_f32_e32 v92, v82, v84
	ds_read_b128 v[81:84], v105 offset:64
	s_waitcnt vmcnt(19)
	v_lshrrev_b32_e32 v86, 16, v77
	v_and_b32_e32 v77, 0xffff, v77
	v_fmac_f32_e32 v93, v100, v101
	s_waitcnt lgkmcnt(0)
	v_lshrrev_b32_e32 v85, 16, v81
	v_and_b32_e32 v81, 0xffff, v81
	;;#ASMSTART
	v_cvt_f32_f16 v81, v81;
	;;#ASMEND
	;;#ASMSTART
	v_cvt_f32_f16 v85, v85;
	;;#ASMEND
	;; [unrolled: 3-line block ×3, first 2 shown]
	v_fmac_f32_e32 v89, v81, v77
	v_lshrrev_b32_e32 v81, 16, v82
	v_and_b32_e32 v77, 0xffff, v82
	v_lshrrev_b32_e32 v82, 16, v78
	v_and_b32_e32 v78, 0xffff, v78
	;;#ASMSTART
	v_cvt_f32_f16 v86, v86;
	;;#ASMEND
	;;#ASMSTART
	v_cvt_f32_f16 v77, v77;
	;;#ASMEND
	;; [unrolled: 3-line block ×5, first 2 shown]
	v_fmac_f32_e32 v94, v77, v78
	v_fmac_f32_e32 v90, v81, v82
	v_lshrrev_b32_e32 v78, 16, v83
	v_and_b32_e32 v77, 0xffff, v83
	v_lshrrev_b32_e32 v81, 16, v79
	v_and_b32_e32 v79, 0xffff, v79
	;;#ASMSTART
	v_cvt_f32_f16 v77, v77;
	;;#ASMEND
	;;#ASMSTART
	v_cvt_f32_f16 v78, v78;
	;;#ASMEND
	;; [unrolled: 3-line block ×4, first 2 shown]
	v_fmac_f32_e32 v95, v77, v79
	v_fmac_f32_e32 v91, v78, v81
	v_lshrrev_b32_e32 v78, 16, v84
	v_and_b32_e32 v77, 0xffff, v84
	v_and_b32_e32 v79, 0xffff, v80
	;;#ASMSTART
	v_cvt_f32_f16 v77, v77;
	;;#ASMEND
	;;#ASMSTART
	v_cvt_f32_f16 v78, v78;
	;;#ASMEND
	v_lshrrev_b32_e32 v81, 16, v80
	;;#ASMSTART
	v_cvt_f32_f16 v79, v79;
	;;#ASMEND
	;;#ASMSTART
	v_cvt_f32_f16 v80, v81;
	;;#ASMEND
	v_fmac_f32_e32 v96, v77, v79
	v_fmac_f32_e32 v92, v78, v80
	ds_read_b128 v[77:80], v105 offset:80
	s_waitcnt vmcnt(18)
	v_lshrrev_b32_e32 v82, 16, v73
	v_and_b32_e32 v73, 0xffff, v73
	v_fmac_f32_e32 v93, v85, v86
	s_waitcnt lgkmcnt(0)
	v_lshrrev_b32_e32 v81, 16, v77
	v_and_b32_e32 v77, 0xffff, v77
	;;#ASMSTART
	v_cvt_f32_f16 v77, v77;
	;;#ASMEND
	;;#ASMSTART
	v_cvt_f32_f16 v81, v81;
	;;#ASMEND
	;; [unrolled: 3-line block ×3, first 2 shown]
	v_fmac_f32_e32 v89, v77, v73
	v_lshrrev_b32_e32 v77, 16, v78
	v_and_b32_e32 v73, 0xffff, v78
	v_lshrrev_b32_e32 v78, 16, v74
	v_and_b32_e32 v74, 0xffff, v74
	;;#ASMSTART
	v_cvt_f32_f16 v82, v82;
	;;#ASMEND
	;;#ASMSTART
	v_cvt_f32_f16 v73, v73;
	;;#ASMEND
	;; [unrolled: 3-line block ×5, first 2 shown]
	v_fmac_f32_e32 v94, v73, v74
	v_fmac_f32_e32 v90, v77, v78
	v_lshrrev_b32_e32 v74, 16, v79
	v_and_b32_e32 v73, 0xffff, v79
	v_lshrrev_b32_e32 v77, 16, v75
	v_and_b32_e32 v75, 0xffff, v75
	;;#ASMSTART
	v_cvt_f32_f16 v73, v73;
	;;#ASMEND
	;;#ASMSTART
	v_cvt_f32_f16 v74, v74;
	;;#ASMEND
	;;#ASMSTART
	v_cvt_f32_f16 v75, v75;
	;;#ASMEND
	;;#ASMSTART
	v_cvt_f32_f16 v77, v77;
	;;#ASMEND
	v_fmac_f32_e32 v95, v73, v75
	v_fmac_f32_e32 v91, v74, v77
	v_lshrrev_b32_e32 v74, 16, v80
	v_and_b32_e32 v73, 0xffff, v80
	v_and_b32_e32 v75, 0xffff, v76
	;;#ASMSTART
	v_cvt_f32_f16 v73, v73;
	;;#ASMEND
	;;#ASMSTART
	v_cvt_f32_f16 v74, v74;
	;;#ASMEND
	v_lshrrev_b32_e32 v77, 16, v76
	;;#ASMSTART
	v_cvt_f32_f16 v75, v75;
	;;#ASMEND
	;;#ASMSTART
	v_cvt_f32_f16 v76, v77;
	;;#ASMEND
	v_fmac_f32_e32 v96, v73, v75
	v_fmac_f32_e32 v92, v74, v76
	ds_read_b128 v[73:76], v105 offset:96
	s_waitcnt vmcnt(17)
	v_lshrrev_b32_e32 v78, 16, v69
	v_and_b32_e32 v69, 0xffff, v69
	v_fmac_f32_e32 v93, v81, v82
	s_waitcnt lgkmcnt(0)
	v_lshrrev_b32_e32 v77, 16, v73
	v_and_b32_e32 v73, 0xffff, v73
	;;#ASMSTART
	v_cvt_f32_f16 v73, v73;
	;;#ASMEND
	;;#ASMSTART
	v_cvt_f32_f16 v77, v77;
	;;#ASMEND
	;; [unrolled: 3-line block ×3, first 2 shown]
	v_fmac_f32_e32 v89, v73, v69
	v_lshrrev_b32_e32 v73, 16, v74
	v_and_b32_e32 v69, 0xffff, v74
	v_lshrrev_b32_e32 v74, 16, v70
	v_and_b32_e32 v70, 0xffff, v70
	;;#ASMSTART
	v_cvt_f32_f16 v78, v78;
	;;#ASMEND
	;;#ASMSTART
	v_cvt_f32_f16 v69, v69;
	;;#ASMEND
	;; [unrolled: 3-line block ×5, first 2 shown]
	v_fmac_f32_e32 v94, v69, v70
	v_fmac_f32_e32 v90, v73, v74
	v_lshrrev_b32_e32 v70, 16, v75
	v_and_b32_e32 v69, 0xffff, v75
	v_lshrrev_b32_e32 v73, 16, v71
	v_and_b32_e32 v71, 0xffff, v71
	;;#ASMSTART
	v_cvt_f32_f16 v69, v69;
	;;#ASMEND
	;;#ASMSTART
	v_cvt_f32_f16 v70, v70;
	;;#ASMEND
	;; [unrolled: 3-line block ×4, first 2 shown]
	v_fmac_f32_e32 v95, v69, v71
	v_fmac_f32_e32 v91, v70, v73
	v_lshrrev_b32_e32 v70, 16, v76
	v_and_b32_e32 v69, 0xffff, v76
	v_and_b32_e32 v71, 0xffff, v72
	;;#ASMSTART
	v_cvt_f32_f16 v69, v69;
	;;#ASMEND
	;;#ASMSTART
	v_cvt_f32_f16 v70, v70;
	;;#ASMEND
	v_lshrrev_b32_e32 v73, 16, v72
	;;#ASMSTART
	v_cvt_f32_f16 v71, v71;
	;;#ASMEND
	;;#ASMSTART
	v_cvt_f32_f16 v72, v73;
	;;#ASMEND
	v_fmac_f32_e32 v96, v69, v71
	v_fmac_f32_e32 v92, v70, v72
	ds_read_b128 v[69:72], v105 offset:112
	s_waitcnt vmcnt(16)
	v_lshrrev_b32_e32 v74, 16, v65
	v_and_b32_e32 v65, 0xffff, v65
	v_fmac_f32_e32 v93, v77, v78
	s_waitcnt lgkmcnt(0)
	v_lshrrev_b32_e32 v73, 16, v69
	v_and_b32_e32 v69, 0xffff, v69
	;;#ASMSTART
	v_cvt_f32_f16 v69, v69;
	;;#ASMEND
	;;#ASMSTART
	v_cvt_f32_f16 v73, v73;
	;;#ASMEND
	;; [unrolled: 3-line block ×3, first 2 shown]
	v_fmac_f32_e32 v89, v69, v65
	v_lshrrev_b32_e32 v69, 16, v70
	v_and_b32_e32 v65, 0xffff, v70
	v_lshrrev_b32_e32 v70, 16, v66
	v_and_b32_e32 v66, 0xffff, v66
	;;#ASMSTART
	v_cvt_f32_f16 v74, v74;
	;;#ASMEND
	;;#ASMSTART
	v_cvt_f32_f16 v65, v65;
	;;#ASMEND
	;; [unrolled: 3-line block ×5, first 2 shown]
	v_fmac_f32_e32 v94, v65, v66
	v_fmac_f32_e32 v90, v69, v70
	v_lshrrev_b32_e32 v66, 16, v71
	v_and_b32_e32 v65, 0xffff, v71
	v_lshrrev_b32_e32 v69, 16, v67
	v_and_b32_e32 v67, 0xffff, v67
	;;#ASMSTART
	v_cvt_f32_f16 v65, v65;
	;;#ASMEND
	;;#ASMSTART
	v_cvt_f32_f16 v66, v66;
	;;#ASMEND
	;; [unrolled: 3-line block ×4, first 2 shown]
	v_fmac_f32_e32 v95, v65, v67
	v_fmac_f32_e32 v91, v66, v69
	v_lshrrev_b32_e32 v66, 16, v72
	v_and_b32_e32 v65, 0xffff, v72
	v_and_b32_e32 v67, 0xffff, v68
	;;#ASMSTART
	v_cvt_f32_f16 v65, v65;
	;;#ASMEND
	;;#ASMSTART
	v_cvt_f32_f16 v66, v66;
	;;#ASMEND
	v_lshrrev_b32_e32 v69, 16, v68
	;;#ASMSTART
	v_cvt_f32_f16 v67, v67;
	;;#ASMEND
	;;#ASMSTART
	v_cvt_f32_f16 v68, v69;
	;;#ASMEND
	v_fmac_f32_e32 v96, v65, v67
	v_fmac_f32_e32 v92, v66, v68
	ds_read_b128 v[65:68], v105 offset:128
	s_waitcnt vmcnt(15)
	v_lshrrev_b32_e32 v70, 16, v61
	v_and_b32_e32 v61, 0xffff, v61
	v_fmac_f32_e32 v93, v73, v74
	s_waitcnt lgkmcnt(0)
	v_lshrrev_b32_e32 v69, 16, v65
	v_and_b32_e32 v65, 0xffff, v65
	;;#ASMSTART
	v_cvt_f32_f16 v65, v65;
	;;#ASMEND
	;;#ASMSTART
	v_cvt_f32_f16 v69, v69;
	;;#ASMEND
	;; [unrolled: 3-line block ×3, first 2 shown]
	v_fmac_f32_e32 v89, v65, v61
	v_lshrrev_b32_e32 v65, 16, v66
	v_and_b32_e32 v61, 0xffff, v66
	v_lshrrev_b32_e32 v66, 16, v62
	v_and_b32_e32 v62, 0xffff, v62
	;;#ASMSTART
	v_cvt_f32_f16 v70, v70;
	;;#ASMEND
	;;#ASMSTART
	v_cvt_f32_f16 v61, v61;
	;;#ASMEND
	;;#ASMSTART
	v_cvt_f32_f16 v65, v65;
	;;#ASMEND
	;;#ASMSTART
	v_cvt_f32_f16 v62, v62;
	;;#ASMEND
	;;#ASMSTART
	v_cvt_f32_f16 v66, v66;
	;;#ASMEND
	v_fmac_f32_e32 v94, v61, v62
	v_fmac_f32_e32 v90, v65, v66
	v_lshrrev_b32_e32 v62, 16, v67
	v_and_b32_e32 v61, 0xffff, v67
	v_lshrrev_b32_e32 v65, 16, v63
	v_and_b32_e32 v63, 0xffff, v63
	;;#ASMSTART
	v_cvt_f32_f16 v61, v61;
	;;#ASMEND
	;;#ASMSTART
	v_cvt_f32_f16 v62, v62;
	;;#ASMEND
	;; [unrolled: 3-line block ×4, first 2 shown]
	v_fmac_f32_e32 v95, v61, v63
	v_fmac_f32_e32 v91, v62, v65
	v_lshrrev_b32_e32 v62, 16, v68
	v_and_b32_e32 v61, 0xffff, v68
	v_and_b32_e32 v63, 0xffff, v64
	;;#ASMSTART
	v_cvt_f32_f16 v61, v61;
	;;#ASMEND
	;;#ASMSTART
	v_cvt_f32_f16 v62, v62;
	;;#ASMEND
	v_lshrrev_b32_e32 v65, 16, v64
	;;#ASMSTART
	v_cvt_f32_f16 v63, v63;
	;;#ASMEND
	;;#ASMSTART
	v_cvt_f32_f16 v64, v65;
	;;#ASMEND
	v_fmac_f32_e32 v96, v61, v63
	v_fmac_f32_e32 v92, v62, v64
	ds_read_b128 v[61:64], v105 offset:144
	s_waitcnt vmcnt(14)
	v_lshrrev_b32_e32 v66, 16, v57
	v_and_b32_e32 v57, 0xffff, v57
	v_fmac_f32_e32 v93, v69, v70
	s_waitcnt lgkmcnt(0)
	v_lshrrev_b32_e32 v65, 16, v61
	v_and_b32_e32 v61, 0xffff, v61
	;;#ASMSTART
	v_cvt_f32_f16 v61, v61;
	;;#ASMEND
	;;#ASMSTART
	v_cvt_f32_f16 v65, v65;
	;;#ASMEND
	;; [unrolled: 3-line block ×3, first 2 shown]
	v_fmac_f32_e32 v89, v61, v57
	v_lshrrev_b32_e32 v61, 16, v62
	v_and_b32_e32 v57, 0xffff, v62
	v_lshrrev_b32_e32 v62, 16, v58
	v_and_b32_e32 v58, 0xffff, v58
	;;#ASMSTART
	v_cvt_f32_f16 v66, v66;
	;;#ASMEND
	;;#ASMSTART
	v_cvt_f32_f16 v57, v57;
	;;#ASMEND
	;; [unrolled: 3-line block ×5, first 2 shown]
	v_fmac_f32_e32 v94, v57, v58
	v_fmac_f32_e32 v90, v61, v62
	v_lshrrev_b32_e32 v58, 16, v63
	v_and_b32_e32 v57, 0xffff, v63
	v_lshrrev_b32_e32 v61, 16, v59
	v_and_b32_e32 v59, 0xffff, v59
	;;#ASMSTART
	v_cvt_f32_f16 v57, v57;
	;;#ASMEND
	;;#ASMSTART
	v_cvt_f32_f16 v58, v58;
	;;#ASMEND
	;; [unrolled: 3-line block ×4, first 2 shown]
	v_fmac_f32_e32 v95, v57, v59
	v_fmac_f32_e32 v91, v58, v61
	v_lshrrev_b32_e32 v58, 16, v64
	v_and_b32_e32 v57, 0xffff, v64
	v_and_b32_e32 v59, 0xffff, v60
	;;#ASMSTART
	v_cvt_f32_f16 v57, v57;
	;;#ASMEND
	;;#ASMSTART
	v_cvt_f32_f16 v58, v58;
	;;#ASMEND
	v_lshrrev_b32_e32 v61, 16, v60
	;;#ASMSTART
	v_cvt_f32_f16 v59, v59;
	;;#ASMEND
	;;#ASMSTART
	v_cvt_f32_f16 v60, v61;
	;;#ASMEND
	v_fmac_f32_e32 v96, v57, v59
	v_fmac_f32_e32 v92, v58, v60
	ds_read_b128 v[57:60], v105 offset:160
	s_waitcnt vmcnt(13)
	v_lshrrev_b32_e32 v62, 16, v53
	v_and_b32_e32 v53, 0xffff, v53
	v_fmac_f32_e32 v93, v65, v66
	s_waitcnt lgkmcnt(0)
	v_lshrrev_b32_e32 v61, 16, v57
	v_and_b32_e32 v57, 0xffff, v57
	;;#ASMSTART
	v_cvt_f32_f16 v57, v57;
	;;#ASMEND
	;;#ASMSTART
	v_cvt_f32_f16 v61, v61;
	;;#ASMEND
	;; [unrolled: 3-line block ×3, first 2 shown]
	v_fmac_f32_e32 v89, v57, v53
	v_lshrrev_b32_e32 v57, 16, v58
	v_and_b32_e32 v53, 0xffff, v58
	v_lshrrev_b32_e32 v58, 16, v54
	v_and_b32_e32 v54, 0xffff, v54
	;;#ASMSTART
	v_cvt_f32_f16 v62, v62;
	;;#ASMEND
	;;#ASMSTART
	v_cvt_f32_f16 v53, v53;
	;;#ASMEND
	;; [unrolled: 3-line block ×5, first 2 shown]
	v_fmac_f32_e32 v94, v53, v54
	v_fmac_f32_e32 v90, v57, v58
	v_lshrrev_b32_e32 v54, 16, v59
	v_and_b32_e32 v53, 0xffff, v59
	v_lshrrev_b32_e32 v57, 16, v55
	v_and_b32_e32 v55, 0xffff, v55
	;;#ASMSTART
	v_cvt_f32_f16 v53, v53;
	;;#ASMEND
	;;#ASMSTART
	v_cvt_f32_f16 v54, v54;
	;;#ASMEND
	;; [unrolled: 3-line block ×4, first 2 shown]
	v_fmac_f32_e32 v95, v53, v55
	v_fmac_f32_e32 v91, v54, v57
	v_lshrrev_b32_e32 v54, 16, v60
	v_and_b32_e32 v53, 0xffff, v60
	v_and_b32_e32 v55, 0xffff, v56
	;;#ASMSTART
	v_cvt_f32_f16 v53, v53;
	;;#ASMEND
	;;#ASMSTART
	v_cvt_f32_f16 v54, v54;
	;;#ASMEND
	v_lshrrev_b32_e32 v57, 16, v56
	;;#ASMSTART
	v_cvt_f32_f16 v55, v55;
	;;#ASMEND
	;;#ASMSTART
	v_cvt_f32_f16 v56, v57;
	;;#ASMEND
	v_fmac_f32_e32 v96, v53, v55
	v_fmac_f32_e32 v92, v54, v56
	ds_read_b128 v[53:56], v105 offset:176
	s_waitcnt vmcnt(12)
	v_lshrrev_b32_e32 v58, 16, v49
	v_and_b32_e32 v49, 0xffff, v49
	v_fmac_f32_e32 v93, v61, v62
	s_waitcnt lgkmcnt(0)
	v_lshrrev_b32_e32 v57, 16, v53
	v_and_b32_e32 v53, 0xffff, v53
	;;#ASMSTART
	v_cvt_f32_f16 v53, v53;
	;;#ASMEND
	;;#ASMSTART
	v_cvt_f32_f16 v57, v57;
	;;#ASMEND
	;; [unrolled: 3-line block ×3, first 2 shown]
	v_fmac_f32_e32 v89, v53, v49
	v_lshrrev_b32_e32 v53, 16, v54
	v_and_b32_e32 v49, 0xffff, v54
	v_lshrrev_b32_e32 v54, 16, v50
	v_and_b32_e32 v50, 0xffff, v50
	;;#ASMSTART
	v_cvt_f32_f16 v58, v58;
	;;#ASMEND
	;;#ASMSTART
	v_cvt_f32_f16 v49, v49;
	;;#ASMEND
	;; [unrolled: 3-line block ×5, first 2 shown]
	v_fmac_f32_e32 v94, v49, v50
	v_fmac_f32_e32 v90, v53, v54
	v_lshrrev_b32_e32 v50, 16, v55
	v_and_b32_e32 v49, 0xffff, v55
	v_lshrrev_b32_e32 v53, 16, v51
	v_and_b32_e32 v51, 0xffff, v51
	;;#ASMSTART
	v_cvt_f32_f16 v49, v49;
	;;#ASMEND
	;;#ASMSTART
	v_cvt_f32_f16 v50, v50;
	;;#ASMEND
	;; [unrolled: 3-line block ×4, first 2 shown]
	v_fmac_f32_e32 v95, v49, v51
	v_fmac_f32_e32 v91, v50, v53
	v_lshrrev_b32_e32 v50, 16, v56
	v_and_b32_e32 v49, 0xffff, v56
	v_and_b32_e32 v51, 0xffff, v52
	;;#ASMSTART
	v_cvt_f32_f16 v49, v49;
	;;#ASMEND
	;;#ASMSTART
	v_cvt_f32_f16 v50, v50;
	;;#ASMEND
	v_lshrrev_b32_e32 v53, 16, v52
	;;#ASMSTART
	v_cvt_f32_f16 v51, v51;
	;;#ASMEND
	;;#ASMSTART
	v_cvt_f32_f16 v52, v53;
	;;#ASMEND
	v_fmac_f32_e32 v96, v49, v51
	v_fmac_f32_e32 v92, v50, v52
	ds_read_b128 v[49:52], v105 offset:192
	s_waitcnt vmcnt(11)
	v_lshrrev_b32_e32 v54, 16, v45
	v_and_b32_e32 v45, 0xffff, v45
	v_fmac_f32_e32 v93, v57, v58
	s_waitcnt lgkmcnt(0)
	v_lshrrev_b32_e32 v53, 16, v49
	v_and_b32_e32 v49, 0xffff, v49
	;;#ASMSTART
	v_cvt_f32_f16 v49, v49;
	;;#ASMEND
	;;#ASMSTART
	v_cvt_f32_f16 v53, v53;
	;;#ASMEND
	;; [unrolled: 3-line block ×3, first 2 shown]
	v_fmac_f32_e32 v89, v49, v45
	v_lshrrev_b32_e32 v49, 16, v50
	v_and_b32_e32 v45, 0xffff, v50
	v_lshrrev_b32_e32 v50, 16, v46
	v_and_b32_e32 v46, 0xffff, v46
	;;#ASMSTART
	v_cvt_f32_f16 v54, v54;
	;;#ASMEND
	;;#ASMSTART
	v_cvt_f32_f16 v45, v45;
	;;#ASMEND
	;; [unrolled: 3-line block ×5, first 2 shown]
	v_fmac_f32_e32 v94, v45, v46
	v_fmac_f32_e32 v90, v49, v50
	v_lshrrev_b32_e32 v46, 16, v51
	v_and_b32_e32 v45, 0xffff, v51
	v_lshrrev_b32_e32 v49, 16, v47
	v_and_b32_e32 v47, 0xffff, v47
	;;#ASMSTART
	v_cvt_f32_f16 v45, v45;
	;;#ASMEND
	;;#ASMSTART
	v_cvt_f32_f16 v46, v46;
	;;#ASMEND
	;; [unrolled: 3-line block ×4, first 2 shown]
	v_fmac_f32_e32 v95, v45, v47
	v_fmac_f32_e32 v91, v46, v49
	v_lshrrev_b32_e32 v46, 16, v52
	v_and_b32_e32 v45, 0xffff, v52
	v_and_b32_e32 v47, 0xffff, v48
	;;#ASMSTART
	v_cvt_f32_f16 v45, v45;
	;;#ASMEND
	;;#ASMSTART
	v_cvt_f32_f16 v46, v46;
	;;#ASMEND
	v_lshrrev_b32_e32 v49, 16, v48
	;;#ASMSTART
	v_cvt_f32_f16 v47, v47;
	;;#ASMEND
	;;#ASMSTART
	v_cvt_f32_f16 v48, v49;
	;;#ASMEND
	v_fmac_f32_e32 v96, v45, v47
	v_fmac_f32_e32 v92, v46, v48
	ds_read_b128 v[45:48], v105 offset:208
	s_waitcnt vmcnt(10)
	v_lshrrev_b32_e32 v50, 16, v41
	v_and_b32_e32 v41, 0xffff, v41
	v_fmac_f32_e32 v93, v53, v54
	s_waitcnt lgkmcnt(0)
	v_lshrrev_b32_e32 v49, 16, v45
	v_and_b32_e32 v45, 0xffff, v45
	;;#ASMSTART
	v_cvt_f32_f16 v45, v45;
	;;#ASMEND
	;;#ASMSTART
	v_cvt_f32_f16 v49, v49;
	;;#ASMEND
	;; [unrolled: 3-line block ×3, first 2 shown]
	v_fmac_f32_e32 v89, v45, v41
	v_lshrrev_b32_e32 v45, 16, v46
	v_and_b32_e32 v41, 0xffff, v46
	v_lshrrev_b32_e32 v46, 16, v42
	v_and_b32_e32 v42, 0xffff, v42
	;;#ASMSTART
	v_cvt_f32_f16 v50, v50;
	;;#ASMEND
	;;#ASMSTART
	v_cvt_f32_f16 v41, v41;
	;;#ASMEND
	;; [unrolled: 3-line block ×5, first 2 shown]
	v_fmac_f32_e32 v94, v41, v42
	v_fmac_f32_e32 v90, v45, v46
	v_lshrrev_b32_e32 v42, 16, v47
	v_and_b32_e32 v41, 0xffff, v47
	v_lshrrev_b32_e32 v45, 16, v43
	v_and_b32_e32 v43, 0xffff, v43
	;;#ASMSTART
	v_cvt_f32_f16 v41, v41;
	;;#ASMEND
	;;#ASMSTART
	v_cvt_f32_f16 v42, v42;
	;;#ASMEND
	;; [unrolled: 3-line block ×4, first 2 shown]
	v_fmac_f32_e32 v95, v41, v43
	v_fmac_f32_e32 v91, v42, v45
	v_lshrrev_b32_e32 v42, 16, v48
	v_and_b32_e32 v41, 0xffff, v48
	v_and_b32_e32 v43, 0xffff, v44
	;;#ASMSTART
	v_cvt_f32_f16 v41, v41;
	;;#ASMEND
	;;#ASMSTART
	v_cvt_f32_f16 v42, v42;
	;;#ASMEND
	v_lshrrev_b32_e32 v45, 16, v44
	;;#ASMSTART
	v_cvt_f32_f16 v43, v43;
	;;#ASMEND
	;;#ASMSTART
	v_cvt_f32_f16 v44, v45;
	;;#ASMEND
	v_fmac_f32_e32 v96, v41, v43
	v_fmac_f32_e32 v92, v42, v44
	ds_read_b128 v[41:44], v105 offset:224
	s_waitcnt vmcnt(9)
	v_lshrrev_b32_e32 v46, 16, v37
	v_and_b32_e32 v37, 0xffff, v37
	v_fmac_f32_e32 v93, v49, v50
	s_waitcnt lgkmcnt(0)
	v_lshrrev_b32_e32 v45, 16, v41
	v_and_b32_e32 v41, 0xffff, v41
	;;#ASMSTART
	v_cvt_f32_f16 v41, v41;
	;;#ASMEND
	;;#ASMSTART
	v_cvt_f32_f16 v45, v45;
	;;#ASMEND
	;; [unrolled: 3-line block ×3, first 2 shown]
	v_fmac_f32_e32 v89, v41, v37
	v_lshrrev_b32_e32 v41, 16, v42
	v_and_b32_e32 v37, 0xffff, v42
	v_lshrrev_b32_e32 v42, 16, v38
	v_and_b32_e32 v38, 0xffff, v38
	;;#ASMSTART
	v_cvt_f32_f16 v46, v46;
	;;#ASMEND
	;;#ASMSTART
	v_cvt_f32_f16 v37, v37;
	;;#ASMEND
	;; [unrolled: 3-line block ×5, first 2 shown]
	v_fmac_f32_e32 v94, v37, v38
	v_fmac_f32_e32 v90, v41, v42
	v_lshrrev_b32_e32 v38, 16, v43
	v_and_b32_e32 v37, 0xffff, v43
	v_lshrrev_b32_e32 v41, 16, v39
	v_and_b32_e32 v39, 0xffff, v39
	;;#ASMSTART
	v_cvt_f32_f16 v37, v37;
	;;#ASMEND
	;;#ASMSTART
	v_cvt_f32_f16 v38, v38;
	;;#ASMEND
	;; [unrolled: 3-line block ×4, first 2 shown]
	v_fmac_f32_e32 v95, v37, v39
	v_fmac_f32_e32 v91, v38, v41
	v_lshrrev_b32_e32 v38, 16, v44
	v_and_b32_e32 v37, 0xffff, v44
	v_and_b32_e32 v39, 0xffff, v40
	;;#ASMSTART
	v_cvt_f32_f16 v37, v37;
	;;#ASMEND
	;;#ASMSTART
	v_cvt_f32_f16 v38, v38;
	;;#ASMEND
	v_lshrrev_b32_e32 v41, 16, v40
	;;#ASMSTART
	v_cvt_f32_f16 v39, v39;
	;;#ASMEND
	;;#ASMSTART
	v_cvt_f32_f16 v40, v41;
	;;#ASMEND
	v_fmac_f32_e32 v96, v37, v39
	v_fmac_f32_e32 v92, v38, v40
	ds_read_b128 v[37:40], v105 offset:240
	s_waitcnt vmcnt(8)
	v_lshrrev_b32_e32 v42, 16, v33
	v_and_b32_e32 v33, 0xffff, v33
	v_fmac_f32_e32 v93, v45, v46
	s_waitcnt lgkmcnt(0)
	v_lshrrev_b32_e32 v41, 16, v37
	v_and_b32_e32 v37, 0xffff, v37
	;;#ASMSTART
	v_cvt_f32_f16 v37, v37;
	;;#ASMEND
	;;#ASMSTART
	v_cvt_f32_f16 v41, v41;
	;;#ASMEND
	;; [unrolled: 3-line block ×3, first 2 shown]
	v_fmac_f32_e32 v89, v37, v33
	v_lshrrev_b32_e32 v37, 16, v38
	v_and_b32_e32 v33, 0xffff, v38
	v_lshrrev_b32_e32 v38, 16, v34
	v_and_b32_e32 v34, 0xffff, v34
	;;#ASMSTART
	v_cvt_f32_f16 v42, v42;
	;;#ASMEND
	;;#ASMSTART
	v_cvt_f32_f16 v33, v33;
	;;#ASMEND
	;;#ASMSTART
	v_cvt_f32_f16 v37, v37;
	;;#ASMEND
	;;#ASMSTART
	v_cvt_f32_f16 v34, v34;
	;;#ASMEND
	;;#ASMSTART
	v_cvt_f32_f16 v38, v38;
	;;#ASMEND
	v_fmac_f32_e32 v94, v33, v34
	v_fmac_f32_e32 v90, v37, v38
	v_lshrrev_b32_e32 v34, 16, v39
	v_and_b32_e32 v33, 0xffff, v39
	v_lshrrev_b32_e32 v37, 16, v35
	v_and_b32_e32 v35, 0xffff, v35
	;;#ASMSTART
	v_cvt_f32_f16 v33, v33;
	;;#ASMEND
	;;#ASMSTART
	v_cvt_f32_f16 v34, v34;
	;;#ASMEND
	;;#ASMSTART
	v_cvt_f32_f16 v35, v35;
	;;#ASMEND
	;;#ASMSTART
	v_cvt_f32_f16 v37, v37;
	;;#ASMEND
	v_fmac_f32_e32 v95, v33, v35
	v_fmac_f32_e32 v91, v34, v37
	v_lshrrev_b32_e32 v34, 16, v40
	v_and_b32_e32 v33, 0xffff, v40
	v_and_b32_e32 v35, 0xffff, v36
	;;#ASMSTART
	v_cvt_f32_f16 v33, v33;
	;;#ASMEND
	;;#ASMSTART
	v_cvt_f32_f16 v34, v34;
	;;#ASMEND
	v_lshrrev_b32_e32 v37, 16, v36
	;;#ASMSTART
	v_cvt_f32_f16 v35, v35;
	;;#ASMEND
	;;#ASMSTART
	v_cvt_f32_f16 v36, v37;
	;;#ASMEND
	v_fmac_f32_e32 v96, v33, v35
	v_fmac_f32_e32 v92, v34, v36
	ds_read_b128 v[33:36], v105 offset:256
	s_waitcnt vmcnt(7)
	v_lshrrev_b32_e32 v38, 16, v29
	v_and_b32_e32 v29, 0xffff, v29
	v_fmac_f32_e32 v93, v41, v42
	s_waitcnt lgkmcnt(0)
	v_lshrrev_b32_e32 v37, 16, v33
	v_and_b32_e32 v33, 0xffff, v33
	;;#ASMSTART
	v_cvt_f32_f16 v33, v33;
	;;#ASMEND
	;;#ASMSTART
	v_cvt_f32_f16 v37, v37;
	;;#ASMEND
	;; [unrolled: 3-line block ×3, first 2 shown]
	v_fmac_f32_e32 v89, v33, v29
	v_lshrrev_b32_e32 v33, 16, v34
	v_and_b32_e32 v29, 0xffff, v34
	v_lshrrev_b32_e32 v34, 16, v30
	v_and_b32_e32 v30, 0xffff, v30
	;;#ASMSTART
	v_cvt_f32_f16 v38, v38;
	;;#ASMEND
	;;#ASMSTART
	v_cvt_f32_f16 v29, v29;
	;;#ASMEND
	;; [unrolled: 3-line block ×5, first 2 shown]
	v_fmac_f32_e32 v94, v29, v30
	v_fmac_f32_e32 v90, v33, v34
	v_lshrrev_b32_e32 v30, 16, v35
	v_and_b32_e32 v29, 0xffff, v35
	v_lshrrev_b32_e32 v33, 16, v31
	v_and_b32_e32 v31, 0xffff, v31
	;;#ASMSTART
	v_cvt_f32_f16 v29, v29;
	;;#ASMEND
	;;#ASMSTART
	v_cvt_f32_f16 v30, v30;
	;;#ASMEND
	;; [unrolled: 3-line block ×4, first 2 shown]
	v_fmac_f32_e32 v95, v29, v31
	v_fmac_f32_e32 v91, v30, v33
	v_lshrrev_b32_e32 v30, 16, v36
	v_and_b32_e32 v29, 0xffff, v36
	v_and_b32_e32 v31, 0xffff, v32
	;;#ASMSTART
	v_cvt_f32_f16 v29, v29;
	;;#ASMEND
	;;#ASMSTART
	v_cvt_f32_f16 v30, v30;
	;;#ASMEND
	v_lshrrev_b32_e32 v33, 16, v32
	;;#ASMSTART
	v_cvt_f32_f16 v31, v31;
	;;#ASMEND
	;;#ASMSTART
	v_cvt_f32_f16 v32, v33;
	;;#ASMEND
	v_fmac_f32_e32 v96, v29, v31
	v_fmac_f32_e32 v92, v30, v32
	ds_read_b128 v[29:32], v105 offset:272
	s_waitcnt vmcnt(6)
	v_lshrrev_b32_e32 v34, 16, v25
	v_and_b32_e32 v25, 0xffff, v25
	v_fmac_f32_e32 v93, v37, v38
	s_waitcnt lgkmcnt(0)
	v_lshrrev_b32_e32 v33, 16, v29
	v_and_b32_e32 v29, 0xffff, v29
	;;#ASMSTART
	v_cvt_f32_f16 v29, v29;
	;;#ASMEND
	;;#ASMSTART
	v_cvt_f32_f16 v33, v33;
	;;#ASMEND
	;; [unrolled: 3-line block ×3, first 2 shown]
	v_fmac_f32_e32 v89, v29, v25
	v_lshrrev_b32_e32 v29, 16, v30
	v_and_b32_e32 v25, 0xffff, v30
	v_lshrrev_b32_e32 v30, 16, v26
	v_and_b32_e32 v26, 0xffff, v26
	;;#ASMSTART
	v_cvt_f32_f16 v34, v34;
	;;#ASMEND
	;;#ASMSTART
	v_cvt_f32_f16 v25, v25;
	;;#ASMEND
	;;#ASMSTART
	v_cvt_f32_f16 v29, v29;
	;;#ASMEND
	;;#ASMSTART
	v_cvt_f32_f16 v26, v26;
	;;#ASMEND
	;;#ASMSTART
	v_cvt_f32_f16 v30, v30;
	;;#ASMEND
	v_fmac_f32_e32 v94, v25, v26
	v_fmac_f32_e32 v90, v29, v30
	v_lshrrev_b32_e32 v26, 16, v31
	v_and_b32_e32 v25, 0xffff, v31
	v_lshrrev_b32_e32 v29, 16, v27
	v_and_b32_e32 v27, 0xffff, v27
	;;#ASMSTART
	v_cvt_f32_f16 v25, v25;
	;;#ASMEND
	;;#ASMSTART
	v_cvt_f32_f16 v26, v26;
	;;#ASMEND
	;;#ASMSTART
	v_cvt_f32_f16 v27, v27;
	;;#ASMEND
	;;#ASMSTART
	v_cvt_f32_f16 v29, v29;
	;;#ASMEND
	v_fmac_f32_e32 v95, v25, v27
	v_fmac_f32_e32 v91, v26, v29
	v_lshrrev_b32_e32 v26, 16, v32
	v_and_b32_e32 v25, 0xffff, v32
	v_and_b32_e32 v27, 0xffff, v28
	;;#ASMSTART
	v_cvt_f32_f16 v25, v25;
	;;#ASMEND
	;;#ASMSTART
	v_cvt_f32_f16 v26, v26;
	;;#ASMEND
	v_lshrrev_b32_e32 v29, 16, v28
	;;#ASMSTART
	v_cvt_f32_f16 v27, v27;
	;;#ASMEND
	;;#ASMSTART
	v_cvt_f32_f16 v28, v29;
	;;#ASMEND
	v_fmac_f32_e32 v96, v25, v27
	v_fmac_f32_e32 v92, v26, v28
	ds_read_b128 v[25:28], v105 offset:288
	s_waitcnt vmcnt(5)
	v_lshrrev_b32_e32 v30, 16, v21
	v_and_b32_e32 v21, 0xffff, v21
	v_fmac_f32_e32 v93, v33, v34
	s_waitcnt lgkmcnt(0)
	v_lshrrev_b32_e32 v29, 16, v25
	v_and_b32_e32 v25, 0xffff, v25
	;;#ASMSTART
	v_cvt_f32_f16 v25, v25;
	;;#ASMEND
	;;#ASMSTART
	v_cvt_f32_f16 v29, v29;
	;;#ASMEND
	;; [unrolled: 3-line block ×3, first 2 shown]
	v_fmac_f32_e32 v89, v25, v21
	v_lshrrev_b32_e32 v25, 16, v26
	v_and_b32_e32 v21, 0xffff, v26
	v_lshrrev_b32_e32 v26, 16, v22
	v_and_b32_e32 v22, 0xffff, v22
	;;#ASMSTART
	v_cvt_f32_f16 v30, v30;
	;;#ASMEND
	;;#ASMSTART
	v_cvt_f32_f16 v21, v21;
	;;#ASMEND
	;; [unrolled: 3-line block ×5, first 2 shown]
	v_fmac_f32_e32 v94, v21, v22
	v_fmac_f32_e32 v90, v25, v26
	v_lshrrev_b32_e32 v22, 16, v27
	v_and_b32_e32 v21, 0xffff, v27
	v_lshrrev_b32_e32 v25, 16, v23
	v_and_b32_e32 v23, 0xffff, v23
	;;#ASMSTART
	v_cvt_f32_f16 v21, v21;
	;;#ASMEND
	;;#ASMSTART
	v_cvt_f32_f16 v22, v22;
	;;#ASMEND
	;; [unrolled: 3-line block ×4, first 2 shown]
	v_fmac_f32_e32 v95, v21, v23
	v_fmac_f32_e32 v91, v22, v25
	v_lshrrev_b32_e32 v22, 16, v28
	v_and_b32_e32 v21, 0xffff, v28
	v_and_b32_e32 v23, 0xffff, v24
	;;#ASMSTART
	v_cvt_f32_f16 v21, v21;
	;;#ASMEND
	;;#ASMSTART
	v_cvt_f32_f16 v22, v22;
	;;#ASMEND
	v_lshrrev_b32_e32 v25, 16, v24
	;;#ASMSTART
	v_cvt_f32_f16 v23, v23;
	;;#ASMEND
	;;#ASMSTART
	v_cvt_f32_f16 v24, v25;
	;;#ASMEND
	v_fmac_f32_e32 v96, v21, v23
	v_fmac_f32_e32 v92, v22, v24
	ds_read_b128 v[21:24], v105 offset:304
	s_waitcnt vmcnt(4)
	v_lshrrev_b32_e32 v26, 16, v17
	v_and_b32_e32 v17, 0xffff, v17
	v_fmac_f32_e32 v93, v29, v30
	s_waitcnt lgkmcnt(0)
	v_lshrrev_b32_e32 v25, 16, v21
	v_and_b32_e32 v21, 0xffff, v21
	;;#ASMSTART
	v_cvt_f32_f16 v21, v21;
	;;#ASMEND
	;;#ASMSTART
	v_cvt_f32_f16 v25, v25;
	;;#ASMEND
	;; [unrolled: 3-line block ×3, first 2 shown]
	v_fmac_f32_e32 v89, v21, v17
	v_lshrrev_b32_e32 v21, 16, v22
	v_and_b32_e32 v17, 0xffff, v22
	v_lshrrev_b32_e32 v22, 16, v18
	v_and_b32_e32 v18, 0xffff, v18
	;;#ASMSTART
	v_cvt_f32_f16 v26, v26;
	;;#ASMEND
	;;#ASMSTART
	v_cvt_f32_f16 v17, v17;
	;;#ASMEND
	;; [unrolled: 3-line block ×5, first 2 shown]
	v_fmac_f32_e32 v94, v17, v18
	v_fmac_f32_e32 v90, v21, v22
	v_lshrrev_b32_e32 v18, 16, v23
	v_and_b32_e32 v17, 0xffff, v23
	v_lshrrev_b32_e32 v21, 16, v19
	v_and_b32_e32 v19, 0xffff, v19
	;;#ASMSTART
	v_cvt_f32_f16 v17, v17;
	;;#ASMEND
	;;#ASMSTART
	v_cvt_f32_f16 v18, v18;
	;;#ASMEND
	;; [unrolled: 3-line block ×4, first 2 shown]
	v_fmac_f32_e32 v95, v17, v19
	v_fmac_f32_e32 v91, v18, v21
	v_lshrrev_b32_e32 v18, 16, v24
	v_and_b32_e32 v17, 0xffff, v24
	v_and_b32_e32 v19, 0xffff, v20
	;;#ASMSTART
	v_cvt_f32_f16 v17, v17;
	;;#ASMEND
	;;#ASMSTART
	v_cvt_f32_f16 v18, v18;
	;;#ASMEND
	v_lshrrev_b32_e32 v21, 16, v20
	;;#ASMSTART
	v_cvt_f32_f16 v19, v19;
	;;#ASMEND
	;;#ASMSTART
	v_cvt_f32_f16 v20, v21;
	;;#ASMEND
	v_fmac_f32_e32 v96, v17, v19
	v_fmac_f32_e32 v92, v18, v20
	ds_read_b128 v[17:20], v105 offset:320
	s_waitcnt vmcnt(3)
	v_lshrrev_b32_e32 v22, 16, v13
	v_and_b32_e32 v13, 0xffff, v13
	v_fmac_f32_e32 v93, v25, v26
	s_waitcnt lgkmcnt(0)
	v_lshrrev_b32_e32 v21, 16, v17
	v_and_b32_e32 v17, 0xffff, v17
	;;#ASMSTART
	v_cvt_f32_f16 v17, v17;
	;;#ASMEND
	;;#ASMSTART
	v_cvt_f32_f16 v21, v21;
	;;#ASMEND
	;; [unrolled: 3-line block ×3, first 2 shown]
	v_fmac_f32_e32 v89, v17, v13
	v_lshrrev_b32_e32 v17, 16, v18
	v_and_b32_e32 v13, 0xffff, v18
	v_lshrrev_b32_e32 v18, 16, v14
	v_and_b32_e32 v14, 0xffff, v14
	;;#ASMSTART
	v_cvt_f32_f16 v22, v22;
	;;#ASMEND
	;;#ASMSTART
	v_cvt_f32_f16 v13, v13;
	;;#ASMEND
	;; [unrolled: 3-line block ×5, first 2 shown]
	v_fmac_f32_e32 v94, v13, v14
	v_fmac_f32_e32 v90, v17, v18
	v_lshrrev_b32_e32 v14, 16, v19
	v_and_b32_e32 v13, 0xffff, v19
	v_lshrrev_b32_e32 v17, 16, v15
	v_and_b32_e32 v15, 0xffff, v15
	;;#ASMSTART
	v_cvt_f32_f16 v13, v13;
	;;#ASMEND
	;;#ASMSTART
	v_cvt_f32_f16 v14, v14;
	;;#ASMEND
	;; [unrolled: 3-line block ×4, first 2 shown]
	v_fmac_f32_e32 v95, v13, v15
	v_fmac_f32_e32 v91, v14, v17
	v_lshrrev_b32_e32 v14, 16, v20
	v_and_b32_e32 v13, 0xffff, v20
	v_and_b32_e32 v15, 0xffff, v16
	;;#ASMSTART
	v_cvt_f32_f16 v13, v13;
	;;#ASMEND
	;;#ASMSTART
	v_cvt_f32_f16 v14, v14;
	;;#ASMEND
	v_lshrrev_b32_e32 v17, 16, v16
	;;#ASMSTART
	v_cvt_f32_f16 v15, v15;
	;;#ASMEND
	;;#ASMSTART
	v_cvt_f32_f16 v16, v17;
	;;#ASMEND
	v_fmac_f32_e32 v96, v13, v15
	v_fmac_f32_e32 v92, v14, v16
	ds_read_b128 v[13:16], v105 offset:336
	s_waitcnt vmcnt(2)
	v_lshrrev_b32_e32 v18, 16, v9
	v_and_b32_e32 v9, 0xffff, v9
	v_fmac_f32_e32 v93, v21, v22
	s_waitcnt lgkmcnt(0)
	v_lshrrev_b32_e32 v17, 16, v13
	v_and_b32_e32 v13, 0xffff, v13
	;;#ASMSTART
	v_cvt_f32_f16 v13, v13;
	;;#ASMEND
	;;#ASMSTART
	v_cvt_f32_f16 v17, v17;
	;;#ASMEND
	;;#ASMSTART
	v_cvt_f32_f16 v9, v9;
	;;#ASMEND
	v_fmac_f32_e32 v89, v13, v9
	v_lshrrev_b32_e32 v13, 16, v14
	v_and_b32_e32 v9, 0xffff, v14
	v_lshrrev_b32_e32 v14, 16, v10
	v_and_b32_e32 v10, 0xffff, v10
	;;#ASMSTART
	v_cvt_f32_f16 v18, v18;
	;;#ASMEND
	;;#ASMSTART
	v_cvt_f32_f16 v9, v9;
	;;#ASMEND
	;; [unrolled: 3-line block ×5, first 2 shown]
	v_fmac_f32_e32 v94, v9, v10
	v_fmac_f32_e32 v90, v13, v14
	v_lshrrev_b32_e32 v10, 16, v15
	v_and_b32_e32 v9, 0xffff, v15
	v_lshrrev_b32_e32 v13, 16, v11
	v_and_b32_e32 v11, 0xffff, v11
	;;#ASMSTART
	v_cvt_f32_f16 v9, v9;
	;;#ASMEND
	;;#ASMSTART
	v_cvt_f32_f16 v10, v10;
	;;#ASMEND
	;; [unrolled: 3-line block ×4, first 2 shown]
	v_fmac_f32_e32 v95, v9, v11
	v_fmac_f32_e32 v91, v10, v13
	v_lshrrev_b32_e32 v10, 16, v16
	v_and_b32_e32 v9, 0xffff, v16
	v_and_b32_e32 v11, 0xffff, v12
	;;#ASMSTART
	v_cvt_f32_f16 v9, v9;
	;;#ASMEND
	;;#ASMSTART
	v_cvt_f32_f16 v10, v10;
	;;#ASMEND
	v_lshrrev_b32_e32 v13, 16, v12
	;;#ASMSTART
	v_cvt_f32_f16 v11, v11;
	;;#ASMEND
	;;#ASMSTART
	v_cvt_f32_f16 v12, v13;
	;;#ASMEND
	v_fmac_f32_e32 v96, v9, v11
	v_fmac_f32_e32 v92, v10, v12
	ds_read_b128 v[9:12], v105 offset:352
	s_waitcnt vmcnt(1)
	v_lshrrev_b32_e32 v14, 16, v5
	v_and_b32_e32 v5, 0xffff, v5
	v_fmac_f32_e32 v93, v17, v18
	s_waitcnt lgkmcnt(0)
	v_lshrrev_b32_e32 v13, 16, v9
	v_and_b32_e32 v9, 0xffff, v9
	;;#ASMSTART
	v_cvt_f32_f16 v9, v9;
	;;#ASMEND
	;;#ASMSTART
	v_cvt_f32_f16 v13, v13;
	;;#ASMEND
	;; [unrolled: 3-line block ×3, first 2 shown]
	v_fmac_f32_e32 v89, v9, v5
	v_lshrrev_b32_e32 v9, 16, v10
	v_and_b32_e32 v5, 0xffff, v10
	v_lshrrev_b32_e32 v10, 16, v6
	v_and_b32_e32 v6, 0xffff, v6
	;;#ASMSTART
	v_cvt_f32_f16 v14, v14;
	;;#ASMEND
	;;#ASMSTART
	v_cvt_f32_f16 v5, v5;
	;;#ASMEND
	;; [unrolled: 3-line block ×5, first 2 shown]
	v_fmac_f32_e32 v94, v5, v6
	v_fmac_f32_e32 v90, v9, v10
	v_lshrrev_b32_e32 v6, 16, v11
	v_and_b32_e32 v5, 0xffff, v11
	v_lshrrev_b32_e32 v9, 16, v7
	v_and_b32_e32 v7, 0xffff, v7
	;;#ASMSTART
	v_cvt_f32_f16 v5, v5;
	;;#ASMEND
	;;#ASMSTART
	v_cvt_f32_f16 v6, v6;
	;;#ASMEND
	;; [unrolled: 3-line block ×4, first 2 shown]
	v_fmac_f32_e32 v95, v5, v7
	v_fmac_f32_e32 v91, v6, v9
	v_lshrrev_b32_e32 v6, 16, v12
	v_and_b32_e32 v5, 0xffff, v12
	v_and_b32_e32 v7, 0xffff, v8
	;;#ASMSTART
	v_cvt_f32_f16 v5, v5;
	;;#ASMEND
	;;#ASMSTART
	v_cvt_f32_f16 v6, v6;
	;;#ASMEND
	v_lshrrev_b32_e32 v9, 16, v8
	;;#ASMSTART
	v_cvt_f32_f16 v7, v7;
	;;#ASMEND
	;;#ASMSTART
	v_cvt_f32_f16 v8, v9;
	;;#ASMEND
	v_fmac_f32_e32 v96, v5, v7
	v_fmac_f32_e32 v92, v6, v8
	ds_read_b128 v[5:8], v105 offset:368
	v_fmac_f32_e32 v93, v13, v14
	s_waitcnt vmcnt(0)
	v_lshrrev_b32_e32 v10, 16, v1
	v_and_b32_e32 v1, 0xffff, v1
	s_waitcnt lgkmcnt(0)
	v_lshrrev_b32_e32 v9, 16, v5
	v_and_b32_e32 v5, 0xffff, v5
	;;#ASMSTART
	v_cvt_f32_f16 v5, v5;
	;;#ASMEND
	;;#ASMSTART
	v_cvt_f32_f16 v9, v9;
	;;#ASMEND
	;; [unrolled: 3-line block ×3, first 2 shown]
	v_fmac_f32_e32 v89, v5, v1
	v_lshrrev_b32_e32 v5, 16, v6
	v_and_b32_e32 v1, 0xffff, v6
	v_lshrrev_b32_e32 v6, 16, v2
	v_and_b32_e32 v2, 0xffff, v2
	;;#ASMSTART
	v_cvt_f32_f16 v10, v10;
	;;#ASMEND
	v_fmac_f32_e32 v93, v9, v10
	;;#ASMSTART
	v_cvt_f32_f16 v1, v1;
	;;#ASMEND
	;;#ASMSTART
	v_cvt_f32_f16 v5, v5;
	;;#ASMEND
	;;#ASMSTART
	v_cvt_f32_f16 v2, v2;
	;;#ASMEND
	v_fmac_f32_e32 v94, v1, v2
	v_lshrrev_b32_e32 v2, 16, v7
	v_and_b32_e32 v1, 0xffff, v7
	;;#ASMSTART
	v_cvt_f32_f16 v6, v6;
	;;#ASMEND
	v_fmac_f32_e32 v90, v5, v6
	;;#ASMSTART
	v_cvt_f32_f16 v1, v1;
	;;#ASMEND
	;;#ASMSTART
	v_cvt_f32_f16 v2, v2;
	;;#ASMEND
	v_lshrrev_b32_e32 v5, 16, v3
	v_and_b32_e32 v3, 0xffff, v3
	;;#ASMSTART
	v_cvt_f32_f16 v3, v3;
	;;#ASMEND
	;;#ASMSTART
	v_cvt_f32_f16 v5, v5;
	;;#ASMEND
	v_fmac_f32_e32 v95, v1, v3
	v_fmac_f32_e32 v91, v2, v5
	v_lshrrev_b32_e32 v1, 16, v8
	v_and_b32_e32 v2, 0xffff, v8
	;;#ASMSTART
	v_cvt_f32_f16 v2, v2;
	;;#ASMEND
	;;#ASMSTART
	v_cvt_f32_f16 v1, v1;
	;;#ASMEND
	v_lshrrev_b32_e32 v3, 16, v4
	v_and_b32_e32 v4, 0xffff, v4
	;;#ASMSTART
	v_cvt_f32_f16 v4, v4;
	;;#ASMEND
	;;#ASMSTART
	v_cvt_f32_f16 v3, v3;
	;;#ASMEND
	v_fmac_f32_e32 v92, v1, v3
	v_add_f32_e32 v1, v89, v93
	v_fmac_f32_e32 v96, v2, v4
	v_add_f32_e32 v1, v1, v94
	v_add_f32_e32 v1, v90, v1
	;; [unrolled: 1-line block ×6, first 2 shown]
	v_fmac_f32_e32 v113, s3, v1
	v_cndmask_b32_e64 v1, 0, v113, s1
	ds_write_b32 v108, v1
	v_max_f32_e32 v1, v104, v104
	v_max_f32_e32 v1, v1, v113
	v_cndmask_b32_e64 v104, v104, v1, s1
	s_branch .LBB115_11
.LBB115_16:
	s_or_b32 exec_lo, exec_lo, s15
	buffer_load_dword v13, off, s[48:51], 0 ; 4-byte Folded Reload
	v_lshrrev_b32_e32 v99, 5, v0
	v_lshlrev_b32_e32 v35, 4, v0
.LBB115_17:
	s_or_b32 exec_lo, exec_lo, s41
	v_mbcnt_lo_u32_b32 v1, -1, 0
	v_max_f32_e32 v5, v104, v104
	v_xor_b32_e32 v2, 16, v1
	v_xor_b32_e32 v4, 8, v1
	v_cmp_gt_i32_e32 vcc_lo, 32, v2
	v_cndmask_b32_e32 v2, v1, v2, vcc_lo
	v_cmp_gt_i32_e32 vcc_lo, 32, v4
	v_lshlrev_b32_e32 v2, 2, v2
	v_cndmask_b32_e32 v4, v1, v4, vcc_lo
	ds_bpermute_b32 v3, v2, v104
	s_waitcnt lgkmcnt(0)
	v_max_f32_e32 v6, v3, v3
	v_lshlrev_b32_e32 v3, 2, v4
	v_max_f32_e32 v4, v5, v6
	v_xor_b32_e32 v6, 4, v1
	ds_bpermute_b32 v5, v3, v4
	v_cmp_gt_i32_e32 vcc_lo, 32, v6
	v_cndmask_b32_e32 v6, v1, v6, vcc_lo
	s_waitcnt lgkmcnt(0)
	v_max_f32_e32 v7, v5, v5
	v_lshlrev_b32_e32 v5, 2, v6
	v_max_f32_e32 v4, v4, v7
	v_xor_b32_e32 v7, 2, v1
	ds_bpermute_b32 v6, v5, v4
	v_cmp_gt_i32_e32 vcc_lo, 32, v7
	v_cndmask_b32_e32 v7, v1, v7, vcc_lo
	v_lshlrev_b32_e32 v10, 2, v7
	v_xor_b32_e32 v7, 1, v1
	v_cmp_gt_i32_e32 vcc_lo, 32, v7
	s_waitcnt lgkmcnt(0)
	v_max_f32_e32 v6, v6, v6
	v_cndmask_b32_e32 v7, v1, v7, vcc_lo
	v_max_f32_e32 v4, v4, v6
	v_lshlrev_b32_e32 v9, 2, v7
	ds_bpermute_b32 v6, v10, v4
	s_waitcnt lgkmcnt(0)
	v_max_f32_e32 v6, v6, v6
	v_max_f32_e32 v1, v4, v6
	v_and_b32_e32 v6, 31, v0
	ds_bpermute_b32 v4, v9, v1
	v_cmp_eq_u32_e32 vcc_lo, 0, v6
	v_lshlrev_b32_e32 v6, 2, v99
	s_and_saveexec_b32 s1, vcc_lo
	s_cbranch_execz .LBB115_19
; %bb.18:
	s_waitcnt lgkmcnt(0)
	v_max_f32_e32 v4, v4, v4
	v_max_f32_e32 v1, v1, v1
	v_max_f32_e32 v1, v1, v4
	ds_write_b32 v6, v1 offset:384
.LBB115_19:
	s_or_b32 exec_lo, exec_lo, s1
	v_and_b32_e32 v1, 31, v0
	s_waitcnt vmcnt(0) lgkmcnt(0)
	s_waitcnt_vscnt null, 0x0
	s_barrier
	buffer_gl0_inv
	v_cmp_gt_u32_e64 s1, 4, v1
	v_mov_b32_e32 v1, 0xff7fffff
	s_and_saveexec_b32 s2, s1
; %bb.20:
	ds_read_b32 v1, v13 offset:384
; %bb.21:
	s_or_b32 exec_lo, exec_lo, s2
	s_waitcnt lgkmcnt(0)
	ds_bpermute_b32 v4, v10, v1
	v_max_f32_e32 v1, v1, v1
	v_mov_b32_e32 v7, 0
	s_sub_i32 s2, s16, s40
	s_lshl_b32 s2, s2, 5
	s_add_i32 s2, s2, s36
	s_min_i32 s2, s2, s27
	s_sub_i32 s4, s2, s36
	v_cmp_gt_i32_e64 s2, s4, v0
	s_waitcnt lgkmcnt(0)
	v_max_f32_e32 v4, v4, v4
	v_max_f32_e32 v1, v1, v4
	ds_bpermute_b32 v4, v9, v1
	s_waitcnt lgkmcnt(0)
	v_max_f32_e32 v4, v4, v4
	v_max_f32_e32 v1, v1, v4
	v_lshl_add_u32 v4, v0, 2, 0x1a0
	ds_bpermute_b32 v1, v7, v1
	s_and_saveexec_b32 s5, s2
	s_cbranch_execz .LBB115_25
; %bb.22:
	v_lshl_add_u32 v8, v0, 2, 0x1a0
	v_mov_b32_e32 v7, 0
	v_mov_b32_e32 v11, v0
	s_mov_b32 s15, 0
	.p2align	6
.LBB115_23:                             ; =>This Inner Loop Header: Depth=1
	ds_read_b32 v12, v8
	v_add_nc_u32_e32 v11, 0x80, v11
	v_cmp_le_i32_e64 s3, s4, v11
	s_or_b32 s15, s3, s15
	s_waitcnt lgkmcnt(0)
	v_sub_f32_e32 v12, v12, v1
	v_mul_f32_e32 v12, 0x3fb8aa3b, v12
	v_exp_f32_e32 v12, v12
	ds_write_b32 v8, v12
	v_add_f32_e32 v7, v7, v12
	v_add_nc_u32_e32 v8, 0x200, v8
	s_andn2_b32 exec_lo, exec_lo, s15
	s_cbranch_execnz .LBB115_23
; %bb.24:
	s_or_b32 exec_lo, exec_lo, s15
.LBB115_25:
	s_or_b32 exec_lo, exec_lo, s5
	ds_bpermute_b32 v2, v2, v7
	s_waitcnt lgkmcnt(0)
	v_add_f32_e32 v2, v7, v2
	ds_bpermute_b32 v3, v3, v2
	s_waitcnt lgkmcnt(0)
	v_add_f32_e32 v2, v2, v3
	ds_bpermute_b32 v3, v5, v2
	s_waitcnt lgkmcnt(0)
	v_add_f32_e32 v2, v2, v3
	ds_bpermute_b32 v3, v10, v2
	s_waitcnt lgkmcnt(0)
	v_add_f32_e32 v2, v2, v3
	ds_bpermute_b32 v3, v9, v2
	s_waitcnt lgkmcnt(0)
	v_add_f32_e32 v2, v2, v3
	s_and_saveexec_b32 s3, vcc_lo
; %bb.26:
	ds_write_b32 v6, v2 offset:400
; %bb.27:
	s_or_b32 exec_lo, exec_lo, s3
	s_waitcnt lgkmcnt(0)
	s_barrier
	buffer_gl0_inv
	s_and_saveexec_b32 s3, s1
; %bb.28:
	ds_read_b32 v2, v13 offset:400
; %bb.29:
	s_or_b32 exec_lo, exec_lo, s3
	s_waitcnt lgkmcnt(0)
	ds_bpermute_b32 v3, v10, v2
	s_waitcnt lgkmcnt(0)
	v_add_f32_e32 v2, v2, v3
	ds_bpermute_b32 v3, v9, v2
	s_waitcnt lgkmcnt(0)
	v_add_f32_e32 v2, v2, v3
	v_mov_b32_e32 v3, 0
	ds_bpermute_b32 v2, v3, v2
	s_and_saveexec_b32 s1, s2
	s_cbranch_execz .LBB115_32
; %bb.30:
	s_waitcnt lgkmcnt(0)
	v_add_f32_e32 v3, 0x358637bd, v2
	s_mov_b32 s2, 0
	v_div_scale_f32 v5, null, v3, v3, 1.0
	v_div_scale_f32 v8, vcc_lo, 1.0, v3, 1.0
	v_rcp_f32_e32 v6, v5
	v_fma_f32 v7, -v5, v6, 1.0
	v_fmac_f32_e32 v6, v7, v6
	v_mul_f32_e32 v7, v8, v6
	v_fma_f32 v11, -v5, v7, v8
	v_fmac_f32_e32 v7, v11, v6
	v_fma_f32 v5, -v5, v7, v8
	v_div_fmas_f32 v5, v5, v6, v7
	v_div_fixup_f32 v3, v5, v3, 1.0
	v_mov_b32_e32 v5, v0
.LBB115_31:                             ; =>This Inner Loop Header: Depth=1
	ds_read_b32 v6, v4
	v_add_nc_u32_e32 v5, 0x80, v5
	v_cmp_le_i32_e32 vcc_lo, s4, v5
	s_or_b32 s2, vcc_lo, s2
	s_waitcnt lgkmcnt(0)
	v_mul_f32_e32 v6, v3, v6
	ds_write_b32 v4, v6
	v_add_nc_u32_e32 v4, 0x200, v4
	s_andn2_b32 exec_lo, exec_lo, s2
	s_cbranch_execnz .LBB115_31
.LBB115_32:
	s_or_b32 exec_lo, exec_lo, s1
	s_mul_i32 s1, s7, s26
	s_waitcnt lgkmcnt(0)
	s_mul_i32 s2, s1, s9
	s_mov_b32 s1, exec_lo
	s_barrier
	buffer_gl0_inv
	v_cmpx_eq_u32_e32 0, v0
	s_cbranch_execz .LBB115_34
; %bb.33:
	s_ashr_i32 s3, s2, 31
	s_mul_i32 s40, s7, s6
	s_lshl_b64 s[4:5], s[2:3], 2
	v_mov_b32_e32 v3, 0
	s_add_u32 s3, s22, s4
	s_addc_u32 s6, s23, s5
	s_ashr_i32 s41, s40, 31
	s_lshl_b64 s[22:23], s[40:41], 2
	s_add_u32 s3, s3, s22
	s_addc_u32 s6, s6, s23
	s_ashr_i32 s9, s8, 31
	s_lshl_b64 s[40:41], s[8:9], 2
	s_add_u32 s42, s3, s40
	s_addc_u32 s43, s6, s41
	s_add_u32 s3, s20, s4
	s_addc_u32 s4, s21, s5
	;; [unrolled: 2-line block ×4, first 2 shown]
	global_store_dword v3, v1, s[42:43]
	global_store_dword v3, v2, s[4:5]
.LBB115_34:
	s_or_b32 exec_lo, exec_lo, s1
	v_mov_b32_e32 v34, 0
	v_mov_b32_e32 v33, 0
	v_mov_b32_e32 v32, 0
	v_mov_b32_e32 v31, 0
	v_mov_b32_e32 v30, 0
	v_mov_b32_e32 v29, 0
	v_mov_b32_e32 v28, 0
	v_mov_b32_e32 v27, 0
	v_mov_b32_e32 v26, 0
	v_mov_b32_e32 v25, 0
	v_mov_b32_e32 v24, 0
	v_mov_b32_e32 v23, 0
	v_mov_b32_e32 v22, 0
	v_mov_b32_e32 v21, 0
	v_mov_b32_e32 v20, 0
	v_mov_b32_e32 v19, 0
	v_mov_b32_e32 v18, 0
	v_mov_b32_e32 v17, 0
	v_mov_b32_e32 v16, 0
	v_mov_b32_e32 v15, 0
	v_mov_b32_e32 v14, 0
	v_mov_b32_e32 v13, 0
	v_mov_b32_e32 v12, 0
	v_mov_b32_e32 v11, 0
	s_and_saveexec_b32 s3, s0
	s_cbranch_execz .LBB115_88
; %bb.35:
	s_lshl_b32 s4, s36, 2
	s_lshl_b64 s[0:1], s[34:35], 2
	s_sub_i32 s4, 0x1a0, s4
	s_add_u32 s5, s28, s0
	s_addc_u32 s6, s29, s1
	s_ashr_i32 s15, s14, 31
	s_sub_i32 s9, s38, s17
	s_lshl_b64 s[0:1], s[14:15], 1
	v_and_b32_e32 v3, 0x1f0, v35
	s_add_u32 s0, s30, s0
	s_addc_u32 s1, s31, s1
	s_abs_i32 s14, s18
	v_lshlrev_b32_e32 v2, 3, v0
	v_cvt_f32_u32_e32 v1, s14
	s_sub_i32 s15, 0, s14
	v_add_co_u32 v37, s0, s0, v3
	v_mov_b32_e32 v35, 0
	v_rcp_iflag_f32_e32 v1, v1
	v_mov_b32_e32 v11, 0
	v_mov_b32_e32 v12, 0
	;; [unrolled: 1-line block ×9, first 2 shown]
	v_mul_f32_e32 v1, 0x4f7ffffe, v1
	v_mov_b32_e32 v20, 0
	v_mov_b32_e32 v21, 0
	;; [unrolled: 1-line block ×4, first 2 shown]
	v_cvt_u32_f32_e32 v1, v1
	v_mov_b32_e32 v24, 0
	v_mov_b32_e32 v25, 0
	;; [unrolled: 1-line block ×4, first 2 shown]
	v_mul_lo_u32 v4, s15, v1
	v_mov_b32_e32 v28, 0
	v_mov_b32_e32 v29, 0
	;; [unrolled: 1-line block ×6, first 2 shown]
	v_and_b32_e32 v36, 24, v2
	v_mul_hi_u32 v4, v1, v4
	v_add_co_ci_u32_e64 v38, null, s1, 0, s0
	v_mov_b32_e32 v34, 0
	s_add_i32 s37, s37, -1
	s_mov_b32 s15, 0
	v_add_nc_u32_e32 v39, v1, v4
	s_branch .LBB115_38
.LBB115_36:                             ;   in Loop: Header=BB115_38 Depth=1
	s_or_b32 exec_lo, exec_lo, s1
	v_add_f32_e32 v7, v7, v8
	v_add_f32_e32 v8, v88, v89
	;; [unrolled: 1-line block ×17, first 2 shown]
	v_lshlrev_b32_e32 v6, 16, v6
	v_add_f32_e32 v25, v25, v8
	v_lshlrev_b32_e32 v8, 16, v94
	v_lshlrev_b32_e32 v5, 16, v5
	v_add_f32_e32 v14, v14, v48
	v_add_f32_e32 v18, v18, v47
	;; [unrolled: 1-line block ×3, first 2 shown]
	v_and_or_b32 v1, 0xffff, v1, v8
	v_add_f32_e32 v48, v74, v75
	v_add_f32_e32 v19, v19, v7
	;; [unrolled: 1-line block ×5, first 2 shown]
	v_and_or_b32 v2, 0xffff, v2, v6
	v_and_or_b32 v3, 0xffff, v3, v5
	;;#ASMSTART
	v_pk_mul_f16 v1, v42, v1;

	;;#ASMEND
	;;#ASMSTART
	v_pk_mul_f16 v2, v41, v2;

	;;#ASMEND
	;; [unrolled: 4-line block ×4, first 2 shown]
	;;#ASMSTART
	v_pk_add_f16 v1, v1, v2;

	;;#ASMEND
	;;#ASMSTART
	v_pk_add_f16 v1, v1, v3;

	;;#ASMEND
	;; [unrolled: 4-line block ×3, first 2 shown]
	v_and_b32_e32 v4, 0xffff, v1
	v_lshrrev_b32_e32 v6, 16, v1
	;;#ASMSTART
	v_cvt_f32_f16 v4, v4;
	;;#ASMEND
	v_add_f32_e32 v22, v22, v47
	v_add_f32_e32 v23, v23, v48
	;; [unrolled: 1-line block ×12, first 2 shown]
	;;#ASMSTART
	v_cvt_f32_f16 v6, v6;
	;;#ASMEND
	v_add_f32_e32 v4, v4, v6
	v_add_f32_e32 v27, v27, v47
	;; [unrolled: 1-line block ×10, first 2 shown]
.LBB115_37:                             ;   in Loop: Header=BB115_38 Depth=1
	s_or_b32 exec_lo, exec_lo, s17
	v_add_nc_u32_e32 v97, 4, v97
	v_cmp_le_i32_e32 vcc_lo, s16, v97
	s_or_b32 s15, vcc_lo, s15
	s_andn2_b32 exec_lo, exec_lo, s15
	s_cbranch_execz .LBB115_87
.LBB115_38:                             ; =>This Inner Loop Header: Depth=1
	v_lshlrev_b32_e32 v1, 5, v97
	v_sub_nc_u32_e32 v2, 0, v1
	v_max_i32_e32 v2, v1, v2
	v_mul_hi_u32 v3, v2, s12
	v_mul_lo_u32 v4, v3, s11
	v_sub_nc_u32_e32 v2, v2, v4
	v_add_nc_u32_e32 v4, 1, v3
	v_subrev_nc_u32_e32 v5, s11, v2
	v_cmp_le_u32_e32 vcc_lo, s11, v2
	v_cndmask_b32_e32 v3, v3, v4, vcc_lo
	v_cndmask_b32_e32 v2, v2, v5, vcc_lo
	v_ashrrev_i32_e32 v4, 31, v1
	v_add_nc_u32_e32 v5, 1, v3
	v_cmp_le_u32_e32 vcc_lo, s11, v2
	v_xor_b32_e32 v4, s19, v4
	v_cndmask_b32_e32 v2, v3, v5, vcc_lo
	v_xor_b32_e32 v2, v2, v4
	v_sub_nc_u32_e32 v2, v2, v4
	v_add_nc_u32_e32 v3, s33, v2
	v_cmp_lt_i32_e64 s0, s9, v2
	v_sub_nc_u32_e32 v4, 0, v3
	v_max_i32_e32 v4, v3, v4
	v_ashrrev_i32_e32 v3, 31, v3
	v_mul_hi_u32 v5, v4, v39
	v_mul_lo_u32 v5, v5, s14
	v_sub_nc_u32_e32 v4, v4, v5
	v_subrev_nc_u32_e32 v5, s14, v4
	v_cmp_le_u32_e32 vcc_lo, s14, v4
	v_cndmask_b32_e32 v4, v4, v5, vcc_lo
	v_subrev_nc_u32_e32 v5, s14, v4
	v_cmp_le_u32_e32 vcc_lo, s14, v4
	v_cndmask_b32_e32 v4, v4, v5, vcc_lo
	v_xor_b32_e32 v4, v4, v3
	v_sub_nc_u32_e32 v3, v4, v3
	v_cmp_eq_u32_e32 vcc_lo, 0, v3
	s_or_b32 s0, vcc_lo, s0
	s_and_saveexec_b32 s17, s0
	s_cbranch_execz .LBB115_37
; %bb.39:                               ;   in Loop: Header=BB115_38 Depth=1
	v_ashrrev_i32_e32 v98, 31, v97
	v_or_b32_e32 v40, v1, v36
	v_cmp_eq_u32_e64 s0, s37, v97
	v_lshlrev_b64 v[2:3], 2, v[97:98]
	v_lshl_add_u32 v6, v40, 2, s4
	v_or_b32_e32 v53, 1, v40
	v_or_b32_e32 v51, 2, v40
	;; [unrolled: 1-line block ×4, first 2 shown]
	v_add_co_u32 v2, vcc_lo, s5, v2
	v_add_co_ci_u32_e64 v3, null, s6, v3, vcc_lo
	global_load_dword v5, v[2:3], off
	ds_read2_b64 v[1:4], v6 offset1:1
	ds_read2_b64 v[46:49], v6 offset0:2 offset1:3
	s_waitcnt lgkmcnt(1)
	;;#ASMSTART
	v_cvt_f16_f32 v42, v1;

	;;#ASMEND
	;;#ASMSTART
	v_cvt_f16_f32 v41, v2;

	;;#ASMEND
	;; [unrolled: 4-line block ×4, first 2 shown]
	s_waitcnt lgkmcnt(0)
	;;#ASMSTART
	v_cvt_f16_f32 v46, v46;

	;;#ASMEND
	;;#ASMSTART
	v_cvt_f16_f32 v8, v47;

	;;#ASMEND
	;; [unrolled: 4-line block ×4, first 2 shown]
	v_or_b32_e32 v48, 4, v40
	v_or_b32_e32 v47, 5, v40
	v_or_b32_e32 v49, 7, v40
	s_waitcnt vmcnt(0)
	v_mad_i64_i32 v[5:6], null, v5, s13, 0
	v_lshlrev_b64 v[5:6], 1, v[5:6]
	v_add_co_u32 v5, vcc_lo, v37, v5
	v_add_co_ci_u32_e64 v6, null, v38, v6, vcc_lo
	global_load_dwordx4 v[1:4], v[5:6], off
	s_waitcnt vmcnt(0)
	v_lshrrev_b32_e32 v56, 16, v1
	v_lshrrev_b32_e32 v55, 16, v2
	v_lshrrev_b32_e32 v54, 16, v3
	s_and_saveexec_b32 s18, s0
	s_cbranch_execz .LBB115_41
; %bb.40:                               ;   in Loop: Header=BB115_38 Depth=1
	v_cmp_gt_i32_e32 vcc_lo, s27, v40
	v_and_b32_e32 v57, 0xffff0000, v4
	v_cmp_gt_i32_e64 s1, s27, v51
	v_cndmask_b32_e32 v1, 0, v1, vcc_lo
	v_cmp_gt_i32_e32 vcc_lo, s27, v53
	v_cndmask_b32_e64 v2, 0, v2, s1
	v_cmp_gt_i32_e64 s1, s27, v50
	v_cndmask_b32_e32 v56, 0, v56, vcc_lo
	v_cmp_gt_i32_e32 vcc_lo, s27, v52
	v_cndmask_b32_e64 v55, 0, v55, s1
	v_cndmask_b32_sdwa v4, v35, v4, vcc_lo dst_sel:DWORD dst_unused:UNUSED_PAD src0_sel:DWORD src1_sel:WORD_0
	v_cmp_gt_i32_e32 vcc_lo, s27, v49
	v_cndmask_b32_e32 v57, 0, v57, vcc_lo
	v_cmp_gt_i32_e32 vcc_lo, s27, v48
	v_or_b32_e32 v4, v4, v57
	v_cndmask_b32_e32 v3, 0, v3, vcc_lo
	v_cmp_gt_i32_e32 vcc_lo, s27, v47
	v_cndmask_b32_e32 v54, 0, v54, vcc_lo
.LBB115_41:                             ;   in Loop: Header=BB115_38 Depth=1
	s_or_b32 exec_lo, exec_lo, s18
	v_and_b32_e32 v42, 0xffff, v42
	v_and_b32_e32 v45, 0xffff, v45
	v_lshlrev_b32_e32 v56, 16, v56
	v_lshlrev_b32_e32 v54, 16, v54
	v_and_b32_e32 v46, 0xffff, v46
	v_lshl_or_b32 v42, v41, 16, v42
	v_lshl_or_b32 v41, v43, 16, v45
	v_lshlrev_b32_e32 v43, 16, v55
	v_and_b32_e32 v44, 0xffff, v44
	v_and_or_b32 v1, 0xffff, v1, v56
	v_and_or_b32 v3, 0xffff, v3, v54
	;;#ASMSTART
	v_pk_mul_f16 v1, v42, v1;

	;;#ASMEND
	v_and_or_b32 v2, 0xffff, v2, v43
	v_lshl_or_b32 v45, v8, 16, v46
	v_lshl_or_b32 v46, v7, 16, v44
	;;#ASMSTART
	v_pk_mul_f16 v2, v41, v2;

	;;#ASMEND
	;;#ASMSTART
	v_pk_mul_f16 v3, v45, v3;

	;;#ASMEND
	;; [unrolled: 4-line block ×3, first 2 shown]
	;;#ASMSTART
	v_pk_add_f16 v1, v1, v2;

	;;#ASMEND
	;;#ASMSTART
	v_pk_add_f16 v1, v1, v3;

	;;#ASMEND
	;;#ASMSTART
	v_pk_add_f16 v1, v1, v4;

	;;#ASMEND
	v_and_b32_e32 v2, 0xffff, v1
	v_lshrrev_b32_e32 v1, 16, v1
	;;#ASMSTART
	v_cvt_f32_f16 v43, v2;
	;;#ASMEND
	;;#ASMSTART
	v_cvt_f32_f16 v44, v1;
	;;#ASMEND
	global_load_dwordx4 v[1:4], v[5:6], off offset:512
	s_waitcnt vmcnt(0)
	v_lshrrev_b32_e32 v54, 16, v1
	v_lshrrev_b32_e32 v8, 16, v2
	;; [unrolled: 1-line block ×3, first 2 shown]
	s_and_saveexec_b32 s18, s0
	s_cbranch_execz .LBB115_43
; %bb.42:                               ;   in Loop: Header=BB115_38 Depth=1
	v_cmp_gt_i32_e32 vcc_lo, s27, v40
	v_and_b32_e32 v55, 0xffff0000, v4
	v_cmp_gt_i32_e64 s1, s27, v51
	v_cndmask_b32_e32 v1, 0, v1, vcc_lo
	v_cmp_gt_i32_e32 vcc_lo, s27, v53
	v_cndmask_b32_e64 v2, 0, v2, s1
	v_cmp_gt_i32_e64 s1, s27, v50
	v_cndmask_b32_e32 v54, 0, v54, vcc_lo
	v_cmp_gt_i32_e32 vcc_lo, s27, v52
	v_cndmask_b32_e64 v8, 0, v8, s1
	v_cndmask_b32_sdwa v4, v35, v4, vcc_lo dst_sel:DWORD dst_unused:UNUSED_PAD src0_sel:DWORD src1_sel:WORD_0
	v_cmp_gt_i32_e32 vcc_lo, s27, v49
	v_cndmask_b32_e32 v55, 0, v55, vcc_lo
	v_cmp_gt_i32_e32 vcc_lo, s27, v48
	v_or_b32_e32 v4, v4, v55
	v_cndmask_b32_e32 v3, 0, v3, vcc_lo
	v_cmp_gt_i32_e32 vcc_lo, s27, v47
	v_cndmask_b32_e32 v7, 0, v7, vcc_lo
.LBB115_43:                             ;   in Loop: Header=BB115_38 Depth=1
	s_or_b32 exec_lo, exec_lo, s18
	v_lshlrev_b32_e32 v54, 16, v54
	v_lshlrev_b32_e32 v8, 16, v8
	v_lshlrev_b32_e32 v7, 16, v7
	v_and_or_b32 v1, 0xffff, v1, v54
	v_and_or_b32 v2, 0xffff, v2, v8
	;; [unrolled: 1-line block ×3, first 2 shown]
	;;#ASMSTART
	v_pk_mul_f16 v1, v42, v1;

	;;#ASMEND
	;;#ASMSTART
	v_pk_mul_f16 v2, v41, v2;

	;;#ASMEND
	;; [unrolled: 4-line block ×4, first 2 shown]
	;;#ASMSTART
	v_pk_add_f16 v1, v1, v2;

	;;#ASMEND
	;;#ASMSTART
	v_pk_add_f16 v1, v1, v3;

	;;#ASMEND
	;; [unrolled: 4-line block ×3, first 2 shown]
	v_and_b32_e32 v2, 0xffff, v1
	v_lshrrev_b32_e32 v1, 16, v1
	;;#ASMSTART
	v_cvt_f32_f16 v54, v2;
	;;#ASMEND
	;;#ASMSTART
	v_cvt_f32_f16 v55, v1;
	;;#ASMEND
	global_load_dwordx4 v[1:4], v[5:6], off offset:1024
	s_waitcnt vmcnt(0)
	v_lshrrev_b32_e32 v56, 16, v1
	v_lshrrev_b32_e32 v8, 16, v2
	;; [unrolled: 1-line block ×3, first 2 shown]
	s_and_saveexec_b32 s18, s0
	s_cbranch_execz .LBB115_45
; %bb.44:                               ;   in Loop: Header=BB115_38 Depth=1
	v_cmp_gt_i32_e32 vcc_lo, s27, v40
	v_and_b32_e32 v57, 0xffff0000, v4
	v_cmp_gt_i32_e64 s1, s27, v51
	v_cndmask_b32_e32 v1, 0, v1, vcc_lo
	v_cmp_gt_i32_e32 vcc_lo, s27, v53
	v_cndmask_b32_e64 v2, 0, v2, s1
	v_cmp_gt_i32_e64 s1, s27, v50
	v_cndmask_b32_e32 v56, 0, v56, vcc_lo
	v_cmp_gt_i32_e32 vcc_lo, s27, v52
	v_cndmask_b32_e64 v8, 0, v8, s1
	v_cndmask_b32_sdwa v4, v35, v4, vcc_lo dst_sel:DWORD dst_unused:UNUSED_PAD src0_sel:DWORD src1_sel:WORD_0
	v_cmp_gt_i32_e32 vcc_lo, s27, v49
	v_cndmask_b32_e32 v57, 0, v57, vcc_lo
	v_cmp_gt_i32_e32 vcc_lo, s27, v48
	v_or_b32_e32 v4, v4, v57
	v_cndmask_b32_e32 v3, 0, v3, vcc_lo
	v_cmp_gt_i32_e32 vcc_lo, s27, v47
	v_cndmask_b32_e32 v7, 0, v7, vcc_lo
.LBB115_45:                             ;   in Loop: Header=BB115_38 Depth=1
	s_or_b32 exec_lo, exec_lo, s18
	v_lshlrev_b32_e32 v56, 16, v56
	v_lshlrev_b32_e32 v8, 16, v8
	;; [unrolled: 1-line block ×3, first 2 shown]
	v_and_or_b32 v1, 0xffff, v1, v56
	v_and_or_b32 v2, 0xffff, v2, v8
	;; [unrolled: 1-line block ×3, first 2 shown]
	;;#ASMSTART
	v_pk_mul_f16 v1, v42, v1;

	;;#ASMEND
	;;#ASMSTART
	v_pk_mul_f16 v2, v41, v2;

	;;#ASMEND
	;; [unrolled: 4-line block ×4, first 2 shown]
	;;#ASMSTART
	v_pk_add_f16 v1, v1, v2;

	;;#ASMEND
	;;#ASMSTART
	v_pk_add_f16 v1, v1, v3;

	;;#ASMEND
	;; [unrolled: 4-line block ×3, first 2 shown]
	v_and_b32_e32 v2, 0xffff, v1
	v_lshrrev_b32_e32 v1, 16, v1
	;;#ASMSTART
	v_cvt_f32_f16 v56, v2;
	;;#ASMEND
	;;#ASMSTART
	v_cvt_f32_f16 v57, v1;
	;;#ASMEND
	global_load_dwordx4 v[1:4], v[5:6], off offset:1536
	s_waitcnt vmcnt(0)
	v_lshrrev_b32_e32 v58, 16, v1
	v_lshrrev_b32_e32 v8, 16, v2
	;; [unrolled: 1-line block ×3, first 2 shown]
	s_and_saveexec_b32 s18, s0
	s_cbranch_execz .LBB115_47
; %bb.46:                               ;   in Loop: Header=BB115_38 Depth=1
	v_cmp_gt_i32_e32 vcc_lo, s27, v40
	v_and_b32_e32 v59, 0xffff0000, v4
	v_cmp_gt_i32_e64 s1, s27, v51
	v_cndmask_b32_e32 v1, 0, v1, vcc_lo
	v_cmp_gt_i32_e32 vcc_lo, s27, v53
	v_cndmask_b32_e64 v2, 0, v2, s1
	v_cmp_gt_i32_e64 s1, s27, v50
	v_cndmask_b32_e32 v58, 0, v58, vcc_lo
	v_cmp_gt_i32_e32 vcc_lo, s27, v52
	v_cndmask_b32_e64 v8, 0, v8, s1
	v_cndmask_b32_sdwa v4, v35, v4, vcc_lo dst_sel:DWORD dst_unused:UNUSED_PAD src0_sel:DWORD src1_sel:WORD_0
	v_cmp_gt_i32_e32 vcc_lo, s27, v49
	v_cndmask_b32_e32 v59, 0, v59, vcc_lo
	v_cmp_gt_i32_e32 vcc_lo, s27, v48
	v_or_b32_e32 v4, v4, v59
	v_cndmask_b32_e32 v3, 0, v3, vcc_lo
	v_cmp_gt_i32_e32 vcc_lo, s27, v47
	v_cndmask_b32_e32 v7, 0, v7, vcc_lo
.LBB115_47:                             ;   in Loop: Header=BB115_38 Depth=1
	s_or_b32 exec_lo, exec_lo, s18
	v_lshlrev_b32_e32 v7, 16, v7
	v_lshlrev_b32_e32 v58, 16, v58
	;; [unrolled: 1-line block ×3, first 2 shown]
	v_and_or_b32 v3, 0xffff, v3, v7
	v_add_co_u32 v7, vcc_lo, 0x800, v5
	v_and_or_b32 v1, 0xffff, v1, v58
	v_and_or_b32 v2, 0xffff, v2, v8
	;;#ASMSTART
	v_pk_mul_f16 v1, v42, v1;

	;;#ASMEND
	v_add_co_ci_u32_e64 v8, null, 0, v6, vcc_lo
	;;#ASMSTART
	v_pk_mul_f16 v2, v41, v2;

	;;#ASMEND
	;;#ASMSTART
	v_pk_mul_f16 v3, v45, v3;

	;;#ASMEND
	;; [unrolled: 4-line block ×3, first 2 shown]
	;;#ASMSTART
	v_pk_add_f16 v1, v1, v2;

	;;#ASMEND
	;;#ASMSTART
	v_pk_add_f16 v1, v1, v3;

	;;#ASMEND
	;; [unrolled: 4-line block ×3, first 2 shown]
	v_lshrrev_b32_e32 v2, 16, v1
	v_and_b32_e32 v1, 0xffff, v1
	;;#ASMSTART
	v_cvt_f32_f16 v58, v1;
	;;#ASMEND
	;;#ASMSTART
	v_cvt_f32_f16 v59, v2;
	;;#ASMEND
	global_load_dwordx4 v[1:4], v[7:8], off
	s_waitcnt vmcnt(0)
	v_lshrrev_b32_e32 v62, 16, v1
	v_lshrrev_b32_e32 v61, 16, v2
	;; [unrolled: 1-line block ×3, first 2 shown]
	s_and_saveexec_b32 s18, s0
	s_cbranch_execz .LBB115_49
; %bb.48:                               ;   in Loop: Header=BB115_38 Depth=1
	v_cmp_gt_i32_e32 vcc_lo, s27, v40
	v_and_b32_e32 v63, 0xffff0000, v4
	v_cmp_gt_i32_e64 s1, s27, v51
	v_cndmask_b32_e32 v1, 0, v1, vcc_lo
	v_cmp_gt_i32_e32 vcc_lo, s27, v53
	v_cndmask_b32_e64 v2, 0, v2, s1
	v_cmp_gt_i32_e64 s1, s27, v50
	v_cndmask_b32_e32 v62, 0, v62, vcc_lo
	v_cmp_gt_i32_e32 vcc_lo, s27, v52
	v_cndmask_b32_e64 v61, 0, v61, s1
	v_cndmask_b32_sdwa v4, v35, v4, vcc_lo dst_sel:DWORD dst_unused:UNUSED_PAD src0_sel:DWORD src1_sel:WORD_0
	v_cmp_gt_i32_e32 vcc_lo, s27, v49
	v_cndmask_b32_e32 v63, 0, v63, vcc_lo
	v_cmp_gt_i32_e32 vcc_lo, s27, v48
	v_or_b32_e32 v4, v4, v63
	v_cndmask_b32_e32 v3, 0, v3, vcc_lo
	v_cmp_gt_i32_e32 vcc_lo, s27, v47
	v_cndmask_b32_e32 v60, 0, v60, vcc_lo
.LBB115_49:                             ;   in Loop: Header=BB115_38 Depth=1
	s_or_b32 exec_lo, exec_lo, s18
	v_lshlrev_b32_e32 v62, 16, v62
	v_lshlrev_b32_e32 v61, 16, v61
	;; [unrolled: 1-line block ×3, first 2 shown]
	v_and_or_b32 v1, 0xffff, v1, v62
	v_and_or_b32 v2, 0xffff, v2, v61
	;; [unrolled: 1-line block ×3, first 2 shown]
	;;#ASMSTART
	v_pk_mul_f16 v1, v42, v1;

	;;#ASMEND
	;;#ASMSTART
	v_pk_mul_f16 v2, v41, v2;

	;;#ASMEND
	;; [unrolled: 4-line block ×4, first 2 shown]
	;;#ASMSTART
	v_pk_add_f16 v1, v1, v2;

	;;#ASMEND
	;;#ASMSTART
	v_pk_add_f16 v1, v1, v3;

	;;#ASMEND
	;; [unrolled: 4-line block ×3, first 2 shown]
	v_and_b32_e32 v2, 0xffff, v1
	v_lshrrev_b32_e32 v1, 16, v1
	;;#ASMSTART
	v_cvt_f32_f16 v60, v2;
	;;#ASMEND
	;;#ASMSTART
	v_cvt_f32_f16 v61, v1;
	;;#ASMEND
	global_load_dwordx4 v[1:4], v[7:8], off offset:512
	s_waitcnt vmcnt(0)
	v_lshrrev_b32_e32 v64, 16, v1
	v_lshrrev_b32_e32 v63, 16, v2
	;; [unrolled: 1-line block ×3, first 2 shown]
	s_and_saveexec_b32 s18, s0
	s_cbranch_execz .LBB115_51
; %bb.50:                               ;   in Loop: Header=BB115_38 Depth=1
	v_cmp_gt_i32_e32 vcc_lo, s27, v40
	v_and_b32_e32 v65, 0xffff0000, v4
	v_cmp_gt_i32_e64 s1, s27, v51
	v_cndmask_b32_e32 v1, 0, v1, vcc_lo
	v_cmp_gt_i32_e32 vcc_lo, s27, v53
	v_cndmask_b32_e64 v2, 0, v2, s1
	v_cmp_gt_i32_e64 s1, s27, v50
	v_cndmask_b32_e32 v64, 0, v64, vcc_lo
	v_cmp_gt_i32_e32 vcc_lo, s27, v52
	v_cndmask_b32_e64 v63, 0, v63, s1
	v_cndmask_b32_sdwa v4, v35, v4, vcc_lo dst_sel:DWORD dst_unused:UNUSED_PAD src0_sel:DWORD src1_sel:WORD_0
	v_cmp_gt_i32_e32 vcc_lo, s27, v49
	v_cndmask_b32_e32 v65, 0, v65, vcc_lo
	v_cmp_gt_i32_e32 vcc_lo, s27, v48
	v_or_b32_e32 v4, v4, v65
	v_cndmask_b32_e32 v3, 0, v3, vcc_lo
	v_cmp_gt_i32_e32 vcc_lo, s27, v47
	v_cndmask_b32_e32 v62, 0, v62, vcc_lo
.LBB115_51:                             ;   in Loop: Header=BB115_38 Depth=1
	s_or_b32 exec_lo, exec_lo, s18
	v_lshlrev_b32_e32 v64, 16, v64
	v_lshlrev_b32_e32 v63, 16, v63
	;; [unrolled: 1-line block ×3, first 2 shown]
	v_and_or_b32 v1, 0xffff, v1, v64
	v_and_or_b32 v2, 0xffff, v2, v63
	;; [unrolled: 1-line block ×3, first 2 shown]
	;;#ASMSTART
	v_pk_mul_f16 v1, v42, v1;

	;;#ASMEND
	;;#ASMSTART
	v_pk_mul_f16 v2, v41, v2;

	;;#ASMEND
	;; [unrolled: 4-line block ×4, first 2 shown]
	;;#ASMSTART
	v_pk_add_f16 v1, v1, v2;

	;;#ASMEND
	;;#ASMSTART
	v_pk_add_f16 v1, v1, v3;

	;;#ASMEND
	;; [unrolled: 4-line block ×3, first 2 shown]
	v_and_b32_e32 v2, 0xffff, v1
	v_lshrrev_b32_e32 v1, 16, v1
	;;#ASMSTART
	v_cvt_f32_f16 v62, v2;
	;;#ASMEND
	;;#ASMSTART
	v_cvt_f32_f16 v63, v1;
	;;#ASMEND
	global_load_dwordx4 v[1:4], v[7:8], off offset:1024
	s_waitcnt vmcnt(0)
	v_lshrrev_b32_e32 v66, 16, v1
	v_lshrrev_b32_e32 v65, 16, v2
	;; [unrolled: 1-line block ×3, first 2 shown]
	s_and_saveexec_b32 s18, s0
	s_cbranch_execz .LBB115_53
; %bb.52:                               ;   in Loop: Header=BB115_38 Depth=1
	v_cmp_gt_i32_e32 vcc_lo, s27, v40
	v_and_b32_e32 v67, 0xffff0000, v4
	v_cmp_gt_i32_e64 s1, s27, v51
	v_cndmask_b32_e32 v1, 0, v1, vcc_lo
	v_cmp_gt_i32_e32 vcc_lo, s27, v53
	v_cndmask_b32_e64 v2, 0, v2, s1
	v_cmp_gt_i32_e64 s1, s27, v50
	v_cndmask_b32_e32 v66, 0, v66, vcc_lo
	v_cmp_gt_i32_e32 vcc_lo, s27, v52
	v_cndmask_b32_e64 v65, 0, v65, s1
	v_cndmask_b32_sdwa v4, v35, v4, vcc_lo dst_sel:DWORD dst_unused:UNUSED_PAD src0_sel:DWORD src1_sel:WORD_0
	v_cmp_gt_i32_e32 vcc_lo, s27, v49
	v_cndmask_b32_e32 v67, 0, v67, vcc_lo
	v_cmp_gt_i32_e32 vcc_lo, s27, v48
	v_or_b32_e32 v4, v4, v67
	v_cndmask_b32_e32 v3, 0, v3, vcc_lo
	v_cmp_gt_i32_e32 vcc_lo, s27, v47
	v_cndmask_b32_e32 v64, 0, v64, vcc_lo
.LBB115_53:                             ;   in Loop: Header=BB115_38 Depth=1
	s_or_b32 exec_lo, exec_lo, s18
	v_lshlrev_b32_e32 v66, 16, v66
	v_lshlrev_b32_e32 v65, 16, v65
	;; [unrolled: 1-line block ×3, first 2 shown]
	v_and_or_b32 v1, 0xffff, v1, v66
	v_and_or_b32 v2, 0xffff, v2, v65
	;; [unrolled: 1-line block ×3, first 2 shown]
	;;#ASMSTART
	v_pk_mul_f16 v1, v42, v1;

	;;#ASMEND
	;;#ASMSTART
	v_pk_mul_f16 v2, v41, v2;

	;;#ASMEND
	;; [unrolled: 4-line block ×4, first 2 shown]
	;;#ASMSTART
	v_pk_add_f16 v1, v1, v2;

	;;#ASMEND
	;;#ASMSTART
	v_pk_add_f16 v1, v1, v3;

	;;#ASMEND
	;; [unrolled: 4-line block ×3, first 2 shown]
	v_and_b32_e32 v2, 0xffff, v1
	v_lshrrev_b32_e32 v1, 16, v1
	;;#ASMSTART
	v_cvt_f32_f16 v64, v2;
	;;#ASMEND
	;;#ASMSTART
	v_cvt_f32_f16 v65, v1;
	;;#ASMEND
	global_load_dwordx4 v[1:4], v[7:8], off offset:1536
	s_waitcnt vmcnt(0)
	v_lshrrev_b32_e32 v66, 16, v1
	v_lshrrev_b32_e32 v8, 16, v2
	;; [unrolled: 1-line block ×3, first 2 shown]
	s_and_saveexec_b32 s18, s0
	s_cbranch_execz .LBB115_55
; %bb.54:                               ;   in Loop: Header=BB115_38 Depth=1
	v_cmp_gt_i32_e32 vcc_lo, s27, v40
	v_and_b32_e32 v67, 0xffff0000, v4
	v_cmp_gt_i32_e64 s1, s27, v51
	v_cndmask_b32_e32 v1, 0, v1, vcc_lo
	v_cmp_gt_i32_e32 vcc_lo, s27, v53
	v_cndmask_b32_e64 v2, 0, v2, s1
	v_cmp_gt_i32_e64 s1, s27, v50
	v_cndmask_b32_e32 v66, 0, v66, vcc_lo
	v_cmp_gt_i32_e32 vcc_lo, s27, v52
	v_cndmask_b32_e64 v8, 0, v8, s1
	v_cndmask_b32_sdwa v4, v35, v4, vcc_lo dst_sel:DWORD dst_unused:UNUSED_PAD src0_sel:DWORD src1_sel:WORD_0
	v_cmp_gt_i32_e32 vcc_lo, s27, v49
	v_cndmask_b32_e32 v67, 0, v67, vcc_lo
	v_cmp_gt_i32_e32 vcc_lo, s27, v48
	v_or_b32_e32 v4, v4, v67
	v_cndmask_b32_e32 v3, 0, v3, vcc_lo
	v_cmp_gt_i32_e32 vcc_lo, s27, v47
	v_cndmask_b32_e32 v7, 0, v7, vcc_lo
.LBB115_55:                             ;   in Loop: Header=BB115_38 Depth=1
	s_or_b32 exec_lo, exec_lo, s18
	v_lshlrev_b32_e32 v7, 16, v7
	v_lshlrev_b32_e32 v66, 16, v66
	;; [unrolled: 1-line block ×3, first 2 shown]
	v_and_or_b32 v3, 0xffff, v3, v7
	v_add_co_u32 v7, vcc_lo, 0x1000, v5
	v_and_or_b32 v1, 0xffff, v1, v66
	v_and_or_b32 v2, 0xffff, v2, v8
	;;#ASMSTART
	v_pk_mul_f16 v1, v42, v1;

	;;#ASMEND
	v_add_co_ci_u32_e64 v8, null, 0, v6, vcc_lo
	;;#ASMSTART
	v_pk_mul_f16 v2, v41, v2;

	;;#ASMEND
	;;#ASMSTART
	v_pk_mul_f16 v3, v45, v3;

	;;#ASMEND
	;; [unrolled: 4-line block ×3, first 2 shown]
	;;#ASMSTART
	v_pk_add_f16 v1, v1, v2;

	;;#ASMEND
	;;#ASMSTART
	v_pk_add_f16 v1, v1, v3;

	;;#ASMEND
	;; [unrolled: 4-line block ×3, first 2 shown]
	v_lshrrev_b32_e32 v2, 16, v1
	v_and_b32_e32 v1, 0xffff, v1
	;;#ASMSTART
	v_cvt_f32_f16 v66, v1;
	;;#ASMEND
	;;#ASMSTART
	v_cvt_f32_f16 v67, v2;
	;;#ASMEND
	global_load_dwordx4 v[1:4], v[7:8], off
	s_waitcnt vmcnt(0)
	v_lshrrev_b32_e32 v70, 16, v1
	v_lshrrev_b32_e32 v69, 16, v2
	;; [unrolled: 1-line block ×3, first 2 shown]
	s_and_saveexec_b32 s18, s0
	s_cbranch_execz .LBB115_57
; %bb.56:                               ;   in Loop: Header=BB115_38 Depth=1
	v_cmp_gt_i32_e32 vcc_lo, s27, v40
	v_and_b32_e32 v71, 0xffff0000, v4
	v_cmp_gt_i32_e64 s1, s27, v51
	v_cndmask_b32_e32 v1, 0, v1, vcc_lo
	v_cmp_gt_i32_e32 vcc_lo, s27, v53
	v_cndmask_b32_e64 v2, 0, v2, s1
	v_cmp_gt_i32_e64 s1, s27, v50
	v_cndmask_b32_e32 v70, 0, v70, vcc_lo
	v_cmp_gt_i32_e32 vcc_lo, s27, v52
	v_cndmask_b32_e64 v69, 0, v69, s1
	v_cndmask_b32_sdwa v4, v35, v4, vcc_lo dst_sel:DWORD dst_unused:UNUSED_PAD src0_sel:DWORD src1_sel:WORD_0
	v_cmp_gt_i32_e32 vcc_lo, s27, v49
	v_cndmask_b32_e32 v71, 0, v71, vcc_lo
	v_cmp_gt_i32_e32 vcc_lo, s27, v48
	v_or_b32_e32 v4, v4, v71
	v_cndmask_b32_e32 v3, 0, v3, vcc_lo
	v_cmp_gt_i32_e32 vcc_lo, s27, v47
	v_cndmask_b32_e32 v68, 0, v68, vcc_lo
.LBB115_57:                             ;   in Loop: Header=BB115_38 Depth=1
	s_or_b32 exec_lo, exec_lo, s18
	v_lshlrev_b32_e32 v70, 16, v70
	v_lshlrev_b32_e32 v69, 16, v69
	;; [unrolled: 1-line block ×3, first 2 shown]
	v_and_or_b32 v1, 0xffff, v1, v70
	v_and_or_b32 v2, 0xffff, v2, v69
	;; [unrolled: 1-line block ×3, first 2 shown]
	;;#ASMSTART
	v_pk_mul_f16 v1, v42, v1;

	;;#ASMEND
	;;#ASMSTART
	v_pk_mul_f16 v2, v41, v2;

	;;#ASMEND
	;; [unrolled: 4-line block ×4, first 2 shown]
	;;#ASMSTART
	v_pk_add_f16 v1, v1, v2;

	;;#ASMEND
	;;#ASMSTART
	v_pk_add_f16 v1, v1, v3;

	;;#ASMEND
	;; [unrolled: 4-line block ×3, first 2 shown]
	v_and_b32_e32 v2, 0xffff, v1
	v_lshrrev_b32_e32 v1, 16, v1
	;;#ASMSTART
	v_cvt_f32_f16 v68, v2;
	;;#ASMEND
	;;#ASMSTART
	v_cvt_f32_f16 v69, v1;
	;;#ASMEND
	global_load_dwordx4 v[1:4], v[7:8], off offset:512
	s_waitcnt vmcnt(0)
	v_lshrrev_b32_e32 v72, 16, v1
	v_lshrrev_b32_e32 v71, 16, v2
	;; [unrolled: 1-line block ×3, first 2 shown]
	s_and_saveexec_b32 s18, s0
	s_cbranch_execz .LBB115_59
; %bb.58:                               ;   in Loop: Header=BB115_38 Depth=1
	v_cmp_gt_i32_e32 vcc_lo, s27, v40
	v_and_b32_e32 v73, 0xffff0000, v4
	v_cmp_gt_i32_e64 s1, s27, v51
	v_cndmask_b32_e32 v1, 0, v1, vcc_lo
	v_cmp_gt_i32_e32 vcc_lo, s27, v53
	v_cndmask_b32_e64 v2, 0, v2, s1
	v_cmp_gt_i32_e64 s1, s27, v50
	v_cndmask_b32_e32 v72, 0, v72, vcc_lo
	v_cmp_gt_i32_e32 vcc_lo, s27, v52
	v_cndmask_b32_e64 v71, 0, v71, s1
	v_cndmask_b32_sdwa v4, v35, v4, vcc_lo dst_sel:DWORD dst_unused:UNUSED_PAD src0_sel:DWORD src1_sel:WORD_0
	v_cmp_gt_i32_e32 vcc_lo, s27, v49
	v_cndmask_b32_e32 v73, 0, v73, vcc_lo
	v_cmp_gt_i32_e32 vcc_lo, s27, v48
	v_or_b32_e32 v4, v4, v73
	v_cndmask_b32_e32 v3, 0, v3, vcc_lo
	v_cmp_gt_i32_e32 vcc_lo, s27, v47
	v_cndmask_b32_e32 v70, 0, v70, vcc_lo
.LBB115_59:                             ;   in Loop: Header=BB115_38 Depth=1
	s_or_b32 exec_lo, exec_lo, s18
	v_lshlrev_b32_e32 v72, 16, v72
	v_lshlrev_b32_e32 v71, 16, v71
	;; [unrolled: 1-line block ×3, first 2 shown]
	v_and_or_b32 v1, 0xffff, v1, v72
	v_and_or_b32 v2, 0xffff, v2, v71
	;; [unrolled: 1-line block ×3, first 2 shown]
	;;#ASMSTART
	v_pk_mul_f16 v1, v42, v1;

	;;#ASMEND
	;;#ASMSTART
	v_pk_mul_f16 v2, v41, v2;

	;;#ASMEND
	;; [unrolled: 4-line block ×4, first 2 shown]
	;;#ASMSTART
	v_pk_add_f16 v1, v1, v2;

	;;#ASMEND
	;;#ASMSTART
	v_pk_add_f16 v1, v1, v3;

	;;#ASMEND
	;; [unrolled: 4-line block ×3, first 2 shown]
	v_and_b32_e32 v2, 0xffff, v1
	v_lshrrev_b32_e32 v1, 16, v1
	;;#ASMSTART
	v_cvt_f32_f16 v70, v2;
	;;#ASMEND
	;;#ASMSTART
	v_cvt_f32_f16 v71, v1;
	;;#ASMEND
	global_load_dwordx4 v[1:4], v[7:8], off offset:1024
	s_waitcnt vmcnt(0)
	v_lshrrev_b32_e32 v74, 16, v1
	v_lshrrev_b32_e32 v73, 16, v2
	;; [unrolled: 1-line block ×3, first 2 shown]
	s_and_saveexec_b32 s18, s0
	s_cbranch_execz .LBB115_61
; %bb.60:                               ;   in Loop: Header=BB115_38 Depth=1
	v_cmp_gt_i32_e32 vcc_lo, s27, v40
	v_and_b32_e32 v75, 0xffff0000, v4
	v_cmp_gt_i32_e64 s1, s27, v51
	v_cndmask_b32_e32 v1, 0, v1, vcc_lo
	v_cmp_gt_i32_e32 vcc_lo, s27, v53
	v_cndmask_b32_e64 v2, 0, v2, s1
	v_cmp_gt_i32_e64 s1, s27, v50
	v_cndmask_b32_e32 v74, 0, v74, vcc_lo
	v_cmp_gt_i32_e32 vcc_lo, s27, v52
	v_cndmask_b32_e64 v73, 0, v73, s1
	v_cndmask_b32_sdwa v4, v35, v4, vcc_lo dst_sel:DWORD dst_unused:UNUSED_PAD src0_sel:DWORD src1_sel:WORD_0
	v_cmp_gt_i32_e32 vcc_lo, s27, v49
	v_cndmask_b32_e32 v75, 0, v75, vcc_lo
	v_cmp_gt_i32_e32 vcc_lo, s27, v48
	v_or_b32_e32 v4, v4, v75
	v_cndmask_b32_e32 v3, 0, v3, vcc_lo
	v_cmp_gt_i32_e32 vcc_lo, s27, v47
	v_cndmask_b32_e32 v72, 0, v72, vcc_lo
.LBB115_61:                             ;   in Loop: Header=BB115_38 Depth=1
	s_or_b32 exec_lo, exec_lo, s18
	v_lshlrev_b32_e32 v74, 16, v74
	v_lshlrev_b32_e32 v73, 16, v73
	v_lshlrev_b32_e32 v72, 16, v72
	v_and_or_b32 v1, 0xffff, v1, v74
	v_and_or_b32 v2, 0xffff, v2, v73
	;; [unrolled: 1-line block ×3, first 2 shown]
	;;#ASMSTART
	v_pk_mul_f16 v1, v42, v1;

	;;#ASMEND
	;;#ASMSTART
	v_pk_mul_f16 v2, v41, v2;

	;;#ASMEND
	;; [unrolled: 4-line block ×4, first 2 shown]
	;;#ASMSTART
	v_pk_add_f16 v1, v1, v2;

	;;#ASMEND
	;;#ASMSTART
	v_pk_add_f16 v1, v1, v3;

	;;#ASMEND
	;; [unrolled: 4-line block ×3, first 2 shown]
	v_and_b32_e32 v2, 0xffff, v1
	v_lshrrev_b32_e32 v1, 16, v1
	;;#ASMSTART
	v_cvt_f32_f16 v72, v2;
	;;#ASMEND
	;;#ASMSTART
	v_cvt_f32_f16 v73, v1;
	;;#ASMEND
	global_load_dwordx4 v[1:4], v[7:8], off offset:1536
	s_waitcnt vmcnt(0)
	v_lshrrev_b32_e32 v74, 16, v1
	v_lshrrev_b32_e32 v8, 16, v2
	;; [unrolled: 1-line block ×3, first 2 shown]
	s_and_saveexec_b32 s18, s0
	s_cbranch_execz .LBB115_63
; %bb.62:                               ;   in Loop: Header=BB115_38 Depth=1
	v_cmp_gt_i32_e32 vcc_lo, s27, v40
	v_and_b32_e32 v75, 0xffff0000, v4
	v_cmp_gt_i32_e64 s1, s27, v51
	v_cndmask_b32_e32 v1, 0, v1, vcc_lo
	v_cmp_gt_i32_e32 vcc_lo, s27, v53
	v_cndmask_b32_e64 v2, 0, v2, s1
	v_cmp_gt_i32_e64 s1, s27, v50
	v_cndmask_b32_e32 v74, 0, v74, vcc_lo
	v_cmp_gt_i32_e32 vcc_lo, s27, v52
	v_cndmask_b32_e64 v8, 0, v8, s1
	v_cndmask_b32_sdwa v4, v35, v4, vcc_lo dst_sel:DWORD dst_unused:UNUSED_PAD src0_sel:DWORD src1_sel:WORD_0
	v_cmp_gt_i32_e32 vcc_lo, s27, v49
	v_cndmask_b32_e32 v75, 0, v75, vcc_lo
	v_cmp_gt_i32_e32 vcc_lo, s27, v48
	v_or_b32_e32 v4, v4, v75
	v_cndmask_b32_e32 v3, 0, v3, vcc_lo
	v_cmp_gt_i32_e32 vcc_lo, s27, v47
	v_cndmask_b32_e32 v7, 0, v7, vcc_lo
.LBB115_63:                             ;   in Loop: Header=BB115_38 Depth=1
	s_or_b32 exec_lo, exec_lo, s18
	v_lshlrev_b32_e32 v7, 16, v7
	v_lshlrev_b32_e32 v74, 16, v74
	;; [unrolled: 1-line block ×3, first 2 shown]
	v_and_or_b32 v3, 0xffff, v3, v7
	v_add_co_u32 v7, vcc_lo, 0x1800, v5
	v_and_or_b32 v1, 0xffff, v1, v74
	v_and_or_b32 v2, 0xffff, v2, v8
	;;#ASMSTART
	v_pk_mul_f16 v1, v42, v1;

	;;#ASMEND
	v_add_co_ci_u32_e64 v8, null, 0, v6, vcc_lo
	;;#ASMSTART
	v_pk_mul_f16 v2, v41, v2;

	;;#ASMEND
	;;#ASMSTART
	v_pk_mul_f16 v3, v45, v3;

	;;#ASMEND
	;; [unrolled: 4-line block ×3, first 2 shown]
	;;#ASMSTART
	v_pk_add_f16 v1, v1, v2;

	;;#ASMEND
	;;#ASMSTART
	v_pk_add_f16 v1, v1, v3;

	;;#ASMEND
	;; [unrolled: 4-line block ×3, first 2 shown]
	v_lshrrev_b32_e32 v2, 16, v1
	v_and_b32_e32 v1, 0xffff, v1
	;;#ASMSTART
	v_cvt_f32_f16 v74, v1;
	;;#ASMEND
	;;#ASMSTART
	v_cvt_f32_f16 v75, v2;
	;;#ASMEND
	global_load_dwordx4 v[1:4], v[7:8], off
	s_waitcnt vmcnt(0)
	v_lshrrev_b32_e32 v78, 16, v1
	v_lshrrev_b32_e32 v77, 16, v2
	;; [unrolled: 1-line block ×3, first 2 shown]
	s_and_saveexec_b32 s18, s0
	s_cbranch_execz .LBB115_65
; %bb.64:                               ;   in Loop: Header=BB115_38 Depth=1
	v_cmp_gt_i32_e32 vcc_lo, s27, v40
	v_and_b32_e32 v79, 0xffff0000, v4
	v_cmp_gt_i32_e64 s1, s27, v51
	v_cndmask_b32_e32 v1, 0, v1, vcc_lo
	v_cmp_gt_i32_e32 vcc_lo, s27, v53
	v_cndmask_b32_e64 v2, 0, v2, s1
	v_cmp_gt_i32_e64 s1, s27, v50
	v_cndmask_b32_e32 v78, 0, v78, vcc_lo
	v_cmp_gt_i32_e32 vcc_lo, s27, v52
	v_cndmask_b32_e64 v77, 0, v77, s1
	v_cndmask_b32_sdwa v4, v35, v4, vcc_lo dst_sel:DWORD dst_unused:UNUSED_PAD src0_sel:DWORD src1_sel:WORD_0
	v_cmp_gt_i32_e32 vcc_lo, s27, v49
	v_cndmask_b32_e32 v79, 0, v79, vcc_lo
	v_cmp_gt_i32_e32 vcc_lo, s27, v48
	v_or_b32_e32 v4, v4, v79
	v_cndmask_b32_e32 v3, 0, v3, vcc_lo
	v_cmp_gt_i32_e32 vcc_lo, s27, v47
	v_cndmask_b32_e32 v76, 0, v76, vcc_lo
.LBB115_65:                             ;   in Loop: Header=BB115_38 Depth=1
	s_or_b32 exec_lo, exec_lo, s18
	v_lshlrev_b32_e32 v78, 16, v78
	v_lshlrev_b32_e32 v77, 16, v77
	;; [unrolled: 1-line block ×3, first 2 shown]
	v_and_or_b32 v1, 0xffff, v1, v78
	v_and_or_b32 v2, 0xffff, v2, v77
	;; [unrolled: 1-line block ×3, first 2 shown]
	;;#ASMSTART
	v_pk_mul_f16 v1, v42, v1;

	;;#ASMEND
	;;#ASMSTART
	v_pk_mul_f16 v2, v41, v2;

	;;#ASMEND
	;; [unrolled: 4-line block ×4, first 2 shown]
	;;#ASMSTART
	v_pk_add_f16 v1, v1, v2;

	;;#ASMEND
	;;#ASMSTART
	v_pk_add_f16 v1, v1, v3;

	;;#ASMEND
	;; [unrolled: 4-line block ×3, first 2 shown]
	v_and_b32_e32 v2, 0xffff, v1
	v_lshrrev_b32_e32 v1, 16, v1
	;;#ASMSTART
	v_cvt_f32_f16 v76, v2;
	;;#ASMEND
	;;#ASMSTART
	v_cvt_f32_f16 v77, v1;
	;;#ASMEND
	global_load_dwordx4 v[1:4], v[7:8], off offset:512
	s_waitcnt vmcnt(0)
	v_lshrrev_b32_e32 v80, 16, v1
	v_lshrrev_b32_e32 v79, 16, v2
	v_lshrrev_b32_e32 v78, 16, v3
	s_and_saveexec_b32 s18, s0
	s_cbranch_execz .LBB115_67
; %bb.66:                               ;   in Loop: Header=BB115_38 Depth=1
	v_cmp_gt_i32_e32 vcc_lo, s27, v40
	v_and_b32_e32 v81, 0xffff0000, v4
	v_cmp_gt_i32_e64 s1, s27, v51
	v_cndmask_b32_e32 v1, 0, v1, vcc_lo
	v_cmp_gt_i32_e32 vcc_lo, s27, v53
	v_cndmask_b32_e64 v2, 0, v2, s1
	v_cmp_gt_i32_e64 s1, s27, v50
	v_cndmask_b32_e32 v80, 0, v80, vcc_lo
	v_cmp_gt_i32_e32 vcc_lo, s27, v52
	v_cndmask_b32_e64 v79, 0, v79, s1
	v_cndmask_b32_sdwa v4, v35, v4, vcc_lo dst_sel:DWORD dst_unused:UNUSED_PAD src0_sel:DWORD src1_sel:WORD_0
	v_cmp_gt_i32_e32 vcc_lo, s27, v49
	v_cndmask_b32_e32 v81, 0, v81, vcc_lo
	v_cmp_gt_i32_e32 vcc_lo, s27, v48
	v_or_b32_e32 v4, v4, v81
	v_cndmask_b32_e32 v3, 0, v3, vcc_lo
	v_cmp_gt_i32_e32 vcc_lo, s27, v47
	v_cndmask_b32_e32 v78, 0, v78, vcc_lo
.LBB115_67:                             ;   in Loop: Header=BB115_38 Depth=1
	s_or_b32 exec_lo, exec_lo, s18
	v_lshlrev_b32_e32 v80, 16, v80
	v_lshlrev_b32_e32 v79, 16, v79
	v_lshlrev_b32_e32 v78, 16, v78
	v_and_or_b32 v1, 0xffff, v1, v80
	v_and_or_b32 v2, 0xffff, v2, v79
	;; [unrolled: 1-line block ×3, first 2 shown]
	;;#ASMSTART
	v_pk_mul_f16 v1, v42, v1;

	;;#ASMEND
	;;#ASMSTART
	v_pk_mul_f16 v2, v41, v2;

	;;#ASMEND
	;; [unrolled: 4-line block ×4, first 2 shown]
	;;#ASMSTART
	v_pk_add_f16 v1, v1, v2;

	;;#ASMEND
	;;#ASMSTART
	v_pk_add_f16 v1, v1, v3;

	;;#ASMEND
	;; [unrolled: 4-line block ×3, first 2 shown]
	v_and_b32_e32 v2, 0xffff, v1
	v_lshrrev_b32_e32 v1, 16, v1
	;;#ASMSTART
	v_cvt_f32_f16 v78, v2;
	;;#ASMEND
	;;#ASMSTART
	v_cvt_f32_f16 v79, v1;
	;;#ASMEND
	global_load_dwordx4 v[1:4], v[7:8], off offset:1024
	s_waitcnt vmcnt(0)
	v_lshrrev_b32_e32 v82, 16, v1
	v_lshrrev_b32_e32 v81, 16, v2
	;; [unrolled: 1-line block ×3, first 2 shown]
	s_and_saveexec_b32 s18, s0
	s_cbranch_execz .LBB115_69
; %bb.68:                               ;   in Loop: Header=BB115_38 Depth=1
	v_cmp_gt_i32_e32 vcc_lo, s27, v40
	v_and_b32_e32 v83, 0xffff0000, v4
	v_cmp_gt_i32_e64 s1, s27, v51
	v_cndmask_b32_e32 v1, 0, v1, vcc_lo
	v_cmp_gt_i32_e32 vcc_lo, s27, v53
	v_cndmask_b32_e64 v2, 0, v2, s1
	v_cmp_gt_i32_e64 s1, s27, v50
	v_cndmask_b32_e32 v82, 0, v82, vcc_lo
	v_cmp_gt_i32_e32 vcc_lo, s27, v52
	v_cndmask_b32_e64 v81, 0, v81, s1
	v_cndmask_b32_sdwa v4, v35, v4, vcc_lo dst_sel:DWORD dst_unused:UNUSED_PAD src0_sel:DWORD src1_sel:WORD_0
	v_cmp_gt_i32_e32 vcc_lo, s27, v49
	v_cndmask_b32_e32 v83, 0, v83, vcc_lo
	v_cmp_gt_i32_e32 vcc_lo, s27, v48
	v_or_b32_e32 v4, v4, v83
	v_cndmask_b32_e32 v3, 0, v3, vcc_lo
	v_cmp_gt_i32_e32 vcc_lo, s27, v47
	v_cndmask_b32_e32 v80, 0, v80, vcc_lo
.LBB115_69:                             ;   in Loop: Header=BB115_38 Depth=1
	s_or_b32 exec_lo, exec_lo, s18
	v_lshlrev_b32_e32 v82, 16, v82
	v_lshlrev_b32_e32 v81, 16, v81
	;; [unrolled: 1-line block ×3, first 2 shown]
	v_and_or_b32 v1, 0xffff, v1, v82
	v_and_or_b32 v2, 0xffff, v2, v81
	;; [unrolled: 1-line block ×3, first 2 shown]
	;;#ASMSTART
	v_pk_mul_f16 v1, v42, v1;

	;;#ASMEND
	;;#ASMSTART
	v_pk_mul_f16 v2, v41, v2;

	;;#ASMEND
	;;#ASMSTART
	v_pk_mul_f16 v3, v45, v3;

	;;#ASMEND
	;;#ASMSTART
	v_pk_mul_f16 v4, v46, v4;

	;;#ASMEND
	;;#ASMSTART
	v_pk_add_f16 v1, v1, v2;

	;;#ASMEND
	;;#ASMSTART
	v_pk_add_f16 v1, v1, v3;

	;;#ASMEND
	;; [unrolled: 4-line block ×3, first 2 shown]
	v_and_b32_e32 v2, 0xffff, v1
	v_lshrrev_b32_e32 v1, 16, v1
	;;#ASMSTART
	v_cvt_f32_f16 v80, v2;
	;;#ASMEND
	;;#ASMSTART
	v_cvt_f32_f16 v81, v1;
	;;#ASMEND
	global_load_dwordx4 v[1:4], v[7:8], off offset:1536
	s_waitcnt vmcnt(0)
	v_lshrrev_b32_e32 v82, 16, v1
	v_lshrrev_b32_e32 v8, 16, v2
	;; [unrolled: 1-line block ×3, first 2 shown]
	s_and_saveexec_b32 s18, s0
	s_cbranch_execz .LBB115_71
; %bb.70:                               ;   in Loop: Header=BB115_38 Depth=1
	v_cmp_gt_i32_e32 vcc_lo, s27, v40
	v_and_b32_e32 v83, 0xffff0000, v4
	v_cmp_gt_i32_e64 s1, s27, v51
	v_cndmask_b32_e32 v1, 0, v1, vcc_lo
	v_cmp_gt_i32_e32 vcc_lo, s27, v53
	v_cndmask_b32_e64 v2, 0, v2, s1
	v_cmp_gt_i32_e64 s1, s27, v50
	v_cndmask_b32_e32 v82, 0, v82, vcc_lo
	v_cmp_gt_i32_e32 vcc_lo, s27, v52
	v_cndmask_b32_e64 v8, 0, v8, s1
	v_cndmask_b32_sdwa v4, v35, v4, vcc_lo dst_sel:DWORD dst_unused:UNUSED_PAD src0_sel:DWORD src1_sel:WORD_0
	v_cmp_gt_i32_e32 vcc_lo, s27, v49
	v_cndmask_b32_e32 v83, 0, v83, vcc_lo
	v_cmp_gt_i32_e32 vcc_lo, s27, v48
	v_or_b32_e32 v4, v4, v83
	v_cndmask_b32_e32 v3, 0, v3, vcc_lo
	v_cmp_gt_i32_e32 vcc_lo, s27, v47
	v_cndmask_b32_e32 v7, 0, v7, vcc_lo
.LBB115_71:                             ;   in Loop: Header=BB115_38 Depth=1
	s_or_b32 exec_lo, exec_lo, s18
	v_lshlrev_b32_e32 v7, 16, v7
	v_lshlrev_b32_e32 v82, 16, v82
	;; [unrolled: 1-line block ×3, first 2 shown]
	v_and_or_b32 v3, 0xffff, v3, v7
	v_add_co_u32 v7, vcc_lo, 0x2000, v5
	v_and_or_b32 v1, 0xffff, v1, v82
	v_and_or_b32 v2, 0xffff, v2, v8
	;;#ASMSTART
	v_pk_mul_f16 v1, v42, v1;

	;;#ASMEND
	v_add_co_ci_u32_e64 v8, null, 0, v6, vcc_lo
	;;#ASMSTART
	v_pk_mul_f16 v2, v41, v2;

	;;#ASMEND
	;;#ASMSTART
	v_pk_mul_f16 v3, v45, v3;

	;;#ASMEND
	;; [unrolled: 4-line block ×3, first 2 shown]
	;;#ASMSTART
	v_pk_add_f16 v1, v1, v2;

	;;#ASMEND
	;;#ASMSTART
	v_pk_add_f16 v1, v1, v3;

	;;#ASMEND
	;; [unrolled: 4-line block ×3, first 2 shown]
	v_lshrrev_b32_e32 v2, 16, v1
	v_and_b32_e32 v1, 0xffff, v1
	;;#ASMSTART
	v_cvt_f32_f16 v82, v1;
	;;#ASMEND
	;;#ASMSTART
	v_cvt_f32_f16 v83, v2;
	;;#ASMEND
	global_load_dwordx4 v[1:4], v[7:8], off
	s_waitcnt vmcnt(0)
	v_lshrrev_b32_e32 v86, 16, v1
	v_lshrrev_b32_e32 v85, 16, v2
	;; [unrolled: 1-line block ×3, first 2 shown]
	s_and_saveexec_b32 s18, s0
	s_cbranch_execz .LBB115_73
; %bb.72:                               ;   in Loop: Header=BB115_38 Depth=1
	v_cmp_gt_i32_e32 vcc_lo, s27, v40
	v_and_b32_e32 v87, 0xffff0000, v4
	v_cmp_gt_i32_e64 s1, s27, v51
	v_cndmask_b32_e32 v1, 0, v1, vcc_lo
	v_cmp_gt_i32_e32 vcc_lo, s27, v53
	v_cndmask_b32_e64 v2, 0, v2, s1
	v_cmp_gt_i32_e64 s1, s27, v50
	v_cndmask_b32_e32 v86, 0, v86, vcc_lo
	v_cmp_gt_i32_e32 vcc_lo, s27, v52
	v_cndmask_b32_e64 v85, 0, v85, s1
	v_cndmask_b32_sdwa v4, v35, v4, vcc_lo dst_sel:DWORD dst_unused:UNUSED_PAD src0_sel:DWORD src1_sel:WORD_0
	v_cmp_gt_i32_e32 vcc_lo, s27, v49
	v_cndmask_b32_e32 v87, 0, v87, vcc_lo
	v_cmp_gt_i32_e32 vcc_lo, s27, v48
	v_or_b32_e32 v4, v4, v87
	v_cndmask_b32_e32 v3, 0, v3, vcc_lo
	v_cmp_gt_i32_e32 vcc_lo, s27, v47
	v_cndmask_b32_e32 v84, 0, v84, vcc_lo
.LBB115_73:                             ;   in Loop: Header=BB115_38 Depth=1
	s_or_b32 exec_lo, exec_lo, s18
	v_lshlrev_b32_e32 v86, 16, v86
	v_lshlrev_b32_e32 v85, 16, v85
	;; [unrolled: 1-line block ×3, first 2 shown]
	v_and_or_b32 v1, 0xffff, v1, v86
	v_and_or_b32 v2, 0xffff, v2, v85
	;; [unrolled: 1-line block ×3, first 2 shown]
	;;#ASMSTART
	v_pk_mul_f16 v1, v42, v1;

	;;#ASMEND
	;;#ASMSTART
	v_pk_mul_f16 v2, v41, v2;

	;;#ASMEND
	;; [unrolled: 4-line block ×4, first 2 shown]
	;;#ASMSTART
	v_pk_add_f16 v1, v1, v2;

	;;#ASMEND
	;;#ASMSTART
	v_pk_add_f16 v1, v1, v3;

	;;#ASMEND
	;; [unrolled: 4-line block ×3, first 2 shown]
	v_and_b32_e32 v2, 0xffff, v1
	v_lshrrev_b32_e32 v1, 16, v1
	;;#ASMSTART
	v_cvt_f32_f16 v84, v2;
	;;#ASMEND
	;;#ASMSTART
	v_cvt_f32_f16 v85, v1;
	;;#ASMEND
	global_load_dwordx4 v[1:4], v[7:8], off offset:512
	s_waitcnt vmcnt(0)
	v_lshrrev_b32_e32 v88, 16, v1
	v_lshrrev_b32_e32 v87, 16, v2
	;; [unrolled: 1-line block ×3, first 2 shown]
	s_and_saveexec_b32 s18, s0
	s_cbranch_execz .LBB115_75
; %bb.74:                               ;   in Loop: Header=BB115_38 Depth=1
	v_cmp_gt_i32_e32 vcc_lo, s27, v40
	v_and_b32_e32 v89, 0xffff0000, v4
	v_cmp_gt_i32_e64 s1, s27, v51
	v_cndmask_b32_e32 v1, 0, v1, vcc_lo
	v_cmp_gt_i32_e32 vcc_lo, s27, v53
	v_cndmask_b32_e64 v2, 0, v2, s1
	v_cmp_gt_i32_e64 s1, s27, v50
	v_cndmask_b32_e32 v88, 0, v88, vcc_lo
	v_cmp_gt_i32_e32 vcc_lo, s27, v52
	v_cndmask_b32_e64 v87, 0, v87, s1
	v_cndmask_b32_sdwa v4, v35, v4, vcc_lo dst_sel:DWORD dst_unused:UNUSED_PAD src0_sel:DWORD src1_sel:WORD_0
	v_cmp_gt_i32_e32 vcc_lo, s27, v49
	v_cndmask_b32_e32 v89, 0, v89, vcc_lo
	v_cmp_gt_i32_e32 vcc_lo, s27, v48
	v_or_b32_e32 v4, v4, v89
	v_cndmask_b32_e32 v3, 0, v3, vcc_lo
	v_cmp_gt_i32_e32 vcc_lo, s27, v47
	v_cndmask_b32_e32 v86, 0, v86, vcc_lo
.LBB115_75:                             ;   in Loop: Header=BB115_38 Depth=1
	s_or_b32 exec_lo, exec_lo, s18
	v_lshlrev_b32_e32 v88, 16, v88
	v_lshlrev_b32_e32 v87, 16, v87
	;; [unrolled: 1-line block ×3, first 2 shown]
	v_and_or_b32 v1, 0xffff, v1, v88
	v_and_or_b32 v2, 0xffff, v2, v87
	;; [unrolled: 1-line block ×3, first 2 shown]
	;;#ASMSTART
	v_pk_mul_f16 v1, v42, v1;

	;;#ASMEND
	;;#ASMSTART
	v_pk_mul_f16 v2, v41, v2;

	;;#ASMEND
	;; [unrolled: 4-line block ×4, first 2 shown]
	;;#ASMSTART
	v_pk_add_f16 v1, v1, v2;

	;;#ASMEND
	;;#ASMSTART
	v_pk_add_f16 v1, v1, v3;

	;;#ASMEND
	;; [unrolled: 4-line block ×3, first 2 shown]
	v_and_b32_e32 v2, 0xffff, v1
	v_lshrrev_b32_e32 v1, 16, v1
	;;#ASMSTART
	v_cvt_f32_f16 v86, v2;
	;;#ASMEND
	;;#ASMSTART
	v_cvt_f32_f16 v87, v1;
	;;#ASMEND
	global_load_dwordx4 v[1:4], v[7:8], off offset:1024
	s_waitcnt vmcnt(0)
	v_lshrrev_b32_e32 v90, 16, v1
	v_lshrrev_b32_e32 v89, 16, v2
	;; [unrolled: 1-line block ×3, first 2 shown]
	s_and_saveexec_b32 s18, s0
	s_cbranch_execz .LBB115_77
; %bb.76:                               ;   in Loop: Header=BB115_38 Depth=1
	v_cmp_gt_i32_e32 vcc_lo, s27, v40
	v_and_b32_e32 v91, 0xffff0000, v4
	v_cmp_gt_i32_e64 s1, s27, v51
	v_cndmask_b32_e32 v1, 0, v1, vcc_lo
	v_cmp_gt_i32_e32 vcc_lo, s27, v53
	v_cndmask_b32_e64 v2, 0, v2, s1
	v_cmp_gt_i32_e64 s1, s27, v50
	v_cndmask_b32_e32 v90, 0, v90, vcc_lo
	v_cmp_gt_i32_e32 vcc_lo, s27, v52
	v_cndmask_b32_e64 v89, 0, v89, s1
	v_cndmask_b32_sdwa v4, v35, v4, vcc_lo dst_sel:DWORD dst_unused:UNUSED_PAD src0_sel:DWORD src1_sel:WORD_0
	v_cmp_gt_i32_e32 vcc_lo, s27, v49
	v_cndmask_b32_e32 v91, 0, v91, vcc_lo
	v_cmp_gt_i32_e32 vcc_lo, s27, v48
	v_or_b32_e32 v4, v4, v91
	v_cndmask_b32_e32 v3, 0, v3, vcc_lo
	v_cmp_gt_i32_e32 vcc_lo, s27, v47
	v_cndmask_b32_e32 v88, 0, v88, vcc_lo
.LBB115_77:                             ;   in Loop: Header=BB115_38 Depth=1
	s_or_b32 exec_lo, exec_lo, s18
	v_lshlrev_b32_e32 v90, 16, v90
	v_lshlrev_b32_e32 v89, 16, v89
	;; [unrolled: 1-line block ×3, first 2 shown]
	v_and_or_b32 v1, 0xffff, v1, v90
	v_and_or_b32 v2, 0xffff, v2, v89
	;; [unrolled: 1-line block ×3, first 2 shown]
	;;#ASMSTART
	v_pk_mul_f16 v1, v42, v1;

	;;#ASMEND
	;;#ASMSTART
	v_pk_mul_f16 v2, v41, v2;

	;;#ASMEND
	;;#ASMSTART
	v_pk_mul_f16 v3, v45, v3;

	;;#ASMEND
	;;#ASMSTART
	v_pk_mul_f16 v4, v46, v4;

	;;#ASMEND
	;;#ASMSTART
	v_pk_add_f16 v1, v1, v2;

	;;#ASMEND
	;;#ASMSTART
	v_pk_add_f16 v1, v1, v3;

	;;#ASMEND
	;; [unrolled: 4-line block ×3, first 2 shown]
	v_and_b32_e32 v2, 0xffff, v1
	v_lshrrev_b32_e32 v1, 16, v1
	;;#ASMSTART
	v_cvt_f32_f16 v88, v2;
	;;#ASMEND
	;;#ASMSTART
	v_cvt_f32_f16 v89, v1;
	;;#ASMEND
	global_load_dwordx4 v[1:4], v[7:8], off offset:1536
	s_waitcnt vmcnt(0)
	v_lshrrev_b32_e32 v90, 16, v1
	v_lshrrev_b32_e32 v8, 16, v2
	;; [unrolled: 1-line block ×3, first 2 shown]
	s_and_saveexec_b32 s18, s0
	s_cbranch_execz .LBB115_79
; %bb.78:                               ;   in Loop: Header=BB115_38 Depth=1
	v_cmp_gt_i32_e32 vcc_lo, s27, v40
	v_and_b32_e32 v91, 0xffff0000, v4
	v_cmp_gt_i32_e64 s1, s27, v51
	v_cndmask_b32_e32 v1, 0, v1, vcc_lo
	v_cmp_gt_i32_e32 vcc_lo, s27, v53
	v_cndmask_b32_e64 v2, 0, v2, s1
	v_cmp_gt_i32_e64 s1, s27, v50
	v_cndmask_b32_e32 v90, 0, v90, vcc_lo
	v_cmp_gt_i32_e32 vcc_lo, s27, v52
	v_cndmask_b32_e64 v8, 0, v8, s1
	v_cndmask_b32_sdwa v4, v35, v4, vcc_lo dst_sel:DWORD dst_unused:UNUSED_PAD src0_sel:DWORD src1_sel:WORD_0
	v_cmp_gt_i32_e32 vcc_lo, s27, v49
	v_cndmask_b32_e32 v91, 0, v91, vcc_lo
	v_cmp_gt_i32_e32 vcc_lo, s27, v48
	v_or_b32_e32 v4, v4, v91
	v_cndmask_b32_e32 v3, 0, v3, vcc_lo
	v_cmp_gt_i32_e32 vcc_lo, s27, v47
	v_cndmask_b32_e32 v7, 0, v7, vcc_lo
.LBB115_79:                             ;   in Loop: Header=BB115_38 Depth=1
	s_or_b32 exec_lo, exec_lo, s18
	v_lshlrev_b32_e32 v90, 16, v90
	v_lshlrev_b32_e32 v8, 16, v8
	;; [unrolled: 1-line block ×3, first 2 shown]
	v_add_co_u32 v5, vcc_lo, 0x2800, v5
	v_and_or_b32 v1, 0xffff, v1, v90
	v_and_or_b32 v2, 0xffff, v2, v8
	;; [unrolled: 1-line block ×3, first 2 shown]
	;;#ASMSTART
	v_pk_mul_f16 v1, v42, v1;

	;;#ASMEND
	v_add_co_ci_u32_e64 v6, null, 0, v6, vcc_lo
	;;#ASMSTART
	v_pk_mul_f16 v2, v41, v2;

	;;#ASMEND
	;;#ASMSTART
	v_pk_mul_f16 v3, v45, v3;

	;;#ASMEND
	;; [unrolled: 4-line block ×3, first 2 shown]
	;;#ASMSTART
	v_pk_add_f16 v1, v1, v2;

	;;#ASMEND
	;;#ASMSTART
	v_pk_add_f16 v1, v1, v3;

	;;#ASMEND
	;;#ASMSTART
	v_pk_add_f16 v1, v1, v4;

	;;#ASMEND
	v_lshrrev_b32_e32 v2, 16, v1
	v_and_b32_e32 v1, 0xffff, v1
	;;#ASMSTART
	v_cvt_f32_f16 v7, v1;
	;;#ASMEND
	;;#ASMSTART
	v_cvt_f32_f16 v8, v2;
	;;#ASMEND
	global_load_dwordx4 v[1:4], v[5:6], off
	s_waitcnt vmcnt(0)
	v_lshrrev_b32_e32 v92, 16, v1
	v_lshrrev_b32_e32 v91, 16, v2
	;; [unrolled: 1-line block ×3, first 2 shown]
	s_and_saveexec_b32 s18, s0
	s_cbranch_execz .LBB115_81
; %bb.80:                               ;   in Loop: Header=BB115_38 Depth=1
	v_cmp_gt_i32_e32 vcc_lo, s27, v40
	v_and_b32_e32 v93, 0xffff0000, v4
	v_cmp_gt_i32_e64 s1, s27, v51
	v_cndmask_b32_e32 v1, 0, v1, vcc_lo
	v_cmp_gt_i32_e32 vcc_lo, s27, v53
	v_cndmask_b32_e64 v2, 0, v2, s1
	v_cmp_gt_i32_e64 s1, s27, v50
	v_cndmask_b32_e32 v92, 0, v92, vcc_lo
	v_cmp_gt_i32_e32 vcc_lo, s27, v52
	v_cndmask_b32_e64 v91, 0, v91, s1
	v_cndmask_b32_sdwa v4, v35, v4, vcc_lo dst_sel:DWORD dst_unused:UNUSED_PAD src0_sel:DWORD src1_sel:WORD_0
	v_cmp_gt_i32_e32 vcc_lo, s27, v49
	v_cndmask_b32_e32 v93, 0, v93, vcc_lo
	v_cmp_gt_i32_e32 vcc_lo, s27, v48
	v_or_b32_e32 v4, v4, v93
	v_cndmask_b32_e32 v3, 0, v3, vcc_lo
	v_cmp_gt_i32_e32 vcc_lo, s27, v47
	v_cndmask_b32_e32 v90, 0, v90, vcc_lo
.LBB115_81:                             ;   in Loop: Header=BB115_38 Depth=1
	s_or_b32 exec_lo, exec_lo, s18
	v_lshlrev_b32_e32 v92, 16, v92
	v_lshlrev_b32_e32 v91, 16, v91
	;; [unrolled: 1-line block ×3, first 2 shown]
	v_and_or_b32 v1, 0xffff, v1, v92
	v_and_or_b32 v2, 0xffff, v2, v91
	;; [unrolled: 1-line block ×3, first 2 shown]
	;;#ASMSTART
	v_pk_mul_f16 v1, v42, v1;

	;;#ASMEND
	;;#ASMSTART
	v_pk_mul_f16 v2, v41, v2;

	;;#ASMEND
	;;#ASMSTART
	v_pk_mul_f16 v3, v45, v3;

	;;#ASMEND
	;;#ASMSTART
	v_pk_mul_f16 v4, v46, v4;

	;;#ASMEND
	;;#ASMSTART
	v_pk_add_f16 v1, v1, v2;

	;;#ASMEND
	;;#ASMSTART
	v_pk_add_f16 v1, v1, v3;

	;;#ASMEND
	;; [unrolled: 4-line block ×3, first 2 shown]
	v_and_b32_e32 v2, 0xffff, v1
	v_lshrrev_b32_e32 v1, 16, v1
	;;#ASMSTART
	v_cvt_f32_f16 v90, v2;
	;;#ASMEND
	;;#ASMSTART
	v_cvt_f32_f16 v91, v1;
	;;#ASMEND
	global_load_dwordx4 v[1:4], v[5:6], off offset:512
	s_waitcnt vmcnt(0)
	v_lshrrev_b32_e32 v94, 16, v1
	v_lshrrev_b32_e32 v93, 16, v2
	;; [unrolled: 1-line block ×3, first 2 shown]
	s_and_saveexec_b32 s18, s0
	s_cbranch_execz .LBB115_83
; %bb.82:                               ;   in Loop: Header=BB115_38 Depth=1
	v_cmp_gt_i32_e32 vcc_lo, s27, v40
	v_and_b32_e32 v95, 0xffff0000, v4
	v_cmp_gt_i32_e64 s1, s27, v51
	v_cndmask_b32_e32 v1, 0, v1, vcc_lo
	v_cmp_gt_i32_e32 vcc_lo, s27, v53
	v_cndmask_b32_e64 v2, 0, v2, s1
	v_cmp_gt_i32_e64 s1, s27, v50
	v_cndmask_b32_e32 v94, 0, v94, vcc_lo
	v_cmp_gt_i32_e32 vcc_lo, s27, v52
	v_cndmask_b32_e64 v93, 0, v93, s1
	v_cndmask_b32_sdwa v4, v35, v4, vcc_lo dst_sel:DWORD dst_unused:UNUSED_PAD src0_sel:DWORD src1_sel:WORD_0
	v_cmp_gt_i32_e32 vcc_lo, s27, v49
	v_cndmask_b32_e32 v95, 0, v95, vcc_lo
	v_cmp_gt_i32_e32 vcc_lo, s27, v48
	v_or_b32_e32 v4, v4, v95
	v_cndmask_b32_e32 v3, 0, v3, vcc_lo
	v_cmp_gt_i32_e32 vcc_lo, s27, v47
	v_cndmask_b32_e32 v92, 0, v92, vcc_lo
.LBB115_83:                             ;   in Loop: Header=BB115_38 Depth=1
	s_or_b32 exec_lo, exec_lo, s18
	v_lshlrev_b32_e32 v94, 16, v94
	v_lshlrev_b32_e32 v93, 16, v93
	v_lshlrev_b32_e32 v92, 16, v92
	v_and_or_b32 v1, 0xffff, v1, v94
	v_and_or_b32 v2, 0xffff, v2, v93
	;; [unrolled: 1-line block ×3, first 2 shown]
	;;#ASMSTART
	v_pk_mul_f16 v1, v42, v1;

	;;#ASMEND
	;;#ASMSTART
	v_pk_mul_f16 v2, v41, v2;

	;;#ASMEND
	;;#ASMSTART
	v_pk_mul_f16 v3, v45, v3;

	;;#ASMEND
	;;#ASMSTART
	v_pk_mul_f16 v4, v46, v4;

	;;#ASMEND
	;;#ASMSTART
	v_pk_add_f16 v1, v1, v2;

	;;#ASMEND
	;;#ASMSTART
	v_pk_add_f16 v1, v1, v3;

	;;#ASMEND
	;; [unrolled: 4-line block ×3, first 2 shown]
	v_and_b32_e32 v2, 0xffff, v1
	v_lshrrev_b32_e32 v1, 16, v1
	;;#ASMSTART
	v_cvt_f32_f16 v92, v2;
	;;#ASMEND
	;;#ASMSTART
	v_cvt_f32_f16 v93, v1;
	;;#ASMEND
	global_load_dwordx4 v[1:4], v[5:6], off offset:1024
	s_waitcnt vmcnt(0)
	v_lshrrev_b32_e32 v96, 16, v1
	v_lshrrev_b32_e32 v95, 16, v2
	;; [unrolled: 1-line block ×3, first 2 shown]
	s_and_saveexec_b32 s18, s0
	s_cbranch_execz .LBB115_85
; %bb.84:                               ;   in Loop: Header=BB115_38 Depth=1
	v_cmp_gt_i32_e32 vcc_lo, s27, v40
	v_and_b32_e32 v98, 0xffff0000, v4
	v_cmp_gt_i32_e64 s1, s27, v51
	v_cndmask_b32_e32 v1, 0, v1, vcc_lo
	v_cmp_gt_i32_e32 vcc_lo, s27, v53
	v_cndmask_b32_e64 v2, 0, v2, s1
	v_cmp_gt_i32_e64 s1, s27, v50
	v_cndmask_b32_e32 v96, 0, v96, vcc_lo
	v_cmp_gt_i32_e32 vcc_lo, s27, v52
	v_cndmask_b32_e64 v95, 0, v95, s1
	v_cndmask_b32_sdwa v4, v35, v4, vcc_lo dst_sel:DWORD dst_unused:UNUSED_PAD src0_sel:DWORD src1_sel:WORD_0
	v_cmp_gt_i32_e32 vcc_lo, s27, v49
	v_cndmask_b32_e32 v98, 0, v98, vcc_lo
	v_cmp_gt_i32_e32 vcc_lo, s27, v48
	v_or_b32_e32 v4, v4, v98
	v_cndmask_b32_e32 v3, 0, v3, vcc_lo
	v_cmp_gt_i32_e32 vcc_lo, s27, v47
	v_cndmask_b32_e32 v94, 0, v94, vcc_lo
.LBB115_85:                             ;   in Loop: Header=BB115_38 Depth=1
	s_or_b32 exec_lo, exec_lo, s18
	v_lshlrev_b32_e32 v96, 16, v96
	v_lshlrev_b32_e32 v95, 16, v95
	;; [unrolled: 1-line block ×3, first 2 shown]
	v_and_or_b32 v1, 0xffff, v1, v96
	v_and_or_b32 v2, 0xffff, v2, v95
	;; [unrolled: 1-line block ×3, first 2 shown]
	;;#ASMSTART
	v_pk_mul_f16 v1, v42, v1;

	;;#ASMEND
	;;#ASMSTART
	v_pk_mul_f16 v2, v41, v2;

	;;#ASMEND
	;; [unrolled: 4-line block ×4, first 2 shown]
	;;#ASMSTART
	v_pk_add_f16 v1, v1, v2;

	;;#ASMEND
	;;#ASMSTART
	v_pk_add_f16 v1, v1, v3;

	;;#ASMEND
	;; [unrolled: 4-line block ×3, first 2 shown]
	v_and_b32_e32 v2, 0xffff, v1
	v_lshrrev_b32_e32 v1, 16, v1
	;;#ASMSTART
	v_cvt_f32_f16 v95, v2;
	;;#ASMEND
	;;#ASMSTART
	v_cvt_f32_f16 v96, v1;
	;;#ASMEND
	global_load_dwordx4 v[1:4], v[5:6], off offset:1536
	s_waitcnt vmcnt(0)
	v_lshrrev_b32_e32 v94, 16, v1
	v_lshrrev_b32_e32 v6, 16, v2
	;; [unrolled: 1-line block ×3, first 2 shown]
	s_and_saveexec_b32 s1, s0
	s_cbranch_execz .LBB115_36
; %bb.86:                               ;   in Loop: Header=BB115_38 Depth=1
	v_cmp_gt_i32_e32 vcc_lo, s27, v40
	v_and_b32_e32 v40, 0xffff0000, v4
	v_cmp_gt_i32_e64 s0, s27, v51
	v_cndmask_b32_e32 v1, 0, v1, vcc_lo
	v_cmp_gt_i32_e32 vcc_lo, s27, v53
	v_cndmask_b32_e64 v2, 0, v2, s0
	v_cmp_gt_i32_e64 s0, s27, v50
	v_cndmask_b32_e32 v94, 0, v94, vcc_lo
	v_cmp_gt_i32_e32 vcc_lo, s27, v52
	v_cndmask_b32_e64 v6, 0, v6, s0
	v_cndmask_b32_sdwa v4, v35, v4, vcc_lo dst_sel:DWORD dst_unused:UNUSED_PAD src0_sel:DWORD src1_sel:WORD_0
	v_cmp_gt_i32_e32 vcc_lo, s27, v49
	v_cndmask_b32_e32 v40, 0, v40, vcc_lo
	v_cmp_gt_i32_e32 vcc_lo, s27, v48
	v_or_b32_e32 v4, v4, v40
	v_cndmask_b32_e32 v3, 0, v3, vcc_lo
	v_cmp_gt_i32_e32 vcc_lo, s27, v47
	v_cndmask_b32_e32 v5, 0, v5, vcc_lo
	s_branch .LBB115_36
.LBB115_87:
	s_or_b32 exec_lo, exec_lo, s15
.LBB115_88:
	s_or_b32 exec_lo, exec_lo, s3
	ds_bpermute_b32 v1, v10, v34
	ds_bpermute_b32 v2, v10, v33
	;; [unrolled: 1-line block ×19, first 2 shown]
	s_mov_b32 s0, exec_lo
	s_waitcnt lgkmcnt(18)
	v_add_f32_e32 v1, v34, v1
	s_waitcnt lgkmcnt(17)
	v_add_f32_e32 v2, v33, v2
	;; [unrolled: 2-line block ×4, first 2 shown]
	ds_bpermute_b32 v33, v10, v17
	ds_bpermute_b32 v3, v9, v1
	;; [unrolled: 1-line block ×5, first 2 shown]
	s_waitcnt lgkmcnt(17)
	v_add_f32_e32 v25, v25, v36
	s_waitcnt lgkmcnt(16)
	v_add_f32_e32 v26, v26, v35
	;; [unrolled: 2-line block ×5, first 2 shown]
	ds_bpermute_b32 v36, v9, v25
	s_waitcnt lgkmcnt(13)
	v_add_f32_e32 v8, v27, v8
	s_waitcnt lgkmcnt(12)
	v_add_f32_e32 v27, v24, v37
	ds_bpermute_b32 v35, v9, v26
	s_waitcnt lgkmcnt(10)
	v_add_f32_e32 v42, v19, v42
	s_waitcnt lgkmcnt(9)
	v_add_f32_e32 v43, v18, v43
	;; [unrolled: 2-line block ×4, first 2 shown]
	ds_bpermute_b32 v24, v9, v5
	ds_bpermute_b32 v28, v9, v6
	s_waitcnt lgkmcnt(8)
	v_add_f32_e32 v33, v17, v33
	s_waitcnt lgkmcnt(7)
	v_add_f32_e32 v4, v1, v3
	;; [unrolled: 2-line block ×5, first 2 shown]
	ds_bpermute_b32 v31, v10, v14
	v_add_f32_e32 v32, v23, v38
	ds_bpermute_b32 v23, v10, v13
	v_add_f32_e32 v34, v22, v39
	ds_bpermute_b32 v22, v10, v12
	ds_bpermute_b32 v10, v10, v11
	v_add_f32_e32 v38, v21, v40
	v_add_f32_e32 v40, v20, v41
	ds_bpermute_b32 v29, v9, v7
	ds_bpermute_b32 v30, v9, v8
	;; [unrolled: 1-line block ×12, first 2 shown]
	s_waitcnt lgkmcnt(15)
	v_add_f32_e32 v31, v14, v31
	v_add_f32_e32 v19, v25, v36
	s_waitcnt lgkmcnt(14)
	v_add_f32_e32 v52, v13, v23
	v_and_b32_e32 v25, 31, v0
	s_waitcnt lgkmcnt(13)
	v_add_f32_e32 v54, v12, v22
	s_waitcnt lgkmcnt(12)
	v_add_f32_e32 v56, v11, v10
	ds_bpermute_b32 v55, v9, v31
	ds_bpermute_b32 v57, v9, v52
	v_add_f32_e32 v20, v26, v35
	ds_bpermute_b32 v58, v9, v54
	ds_bpermute_b32 v9, v9, v56
	v_and_b32_e32 v26, 28, v25
	v_add_f32_e32 v24, v5, v24
	v_add_f32_e32 v23, v6, v28
	s_waitcnt lgkmcnt(15)
	v_add_f32_e32 v22, v7, v29
	s_waitcnt lgkmcnt(14)
	;; [unrolled: 2-line block ×14, first 2 shown]
	v_add_f32_e32 v5, v52, v57
	v_and_b32_e32 v28, 0x3c3, v0
	s_waitcnt lgkmcnt(1)
	v_add_f32_e32 v8, v54, v58
	s_waitcnt lgkmcnt(0)
	v_add_f32_e32 v9, v56, v9
	v_lshrrev_b32_e32 v25, 2, v25
	v_add_nc_u32_e32 v26, 0x1a0, v26
	v_mul_u32_u24_e32 v27, 0x300, v99
	s_waitcnt_vscnt null, 0x0
	s_barrier
	buffer_gl0_inv
	v_cmpx_eq_u32_e32 64, v28
	s_cbranch_execz .LBB115_90
; %bb.89:
	v_add_nc_u32_e32 v28, v26, v27
	v_add_nc_u32_e32 v29, 0xfffffa00, v28
	;; [unrolled: 1-line block ×7, first 2 shown]
	ds_write_b32 v29, v4
	ds_write_b32 v30, v3
	;; [unrolled: 1-line block ×4, first 2 shown]
	v_add_nc_u32_e32 v29, 0xfffffac0, v28
	v_add_nc_u32_e32 v30, 0xfffffae0, v28
	v_add_nc_u32_e32 v31, 0xfffffb00, v28
	ds_write_b32 v33, v24
	ds_write_b32 v34, v23
	ds_write_b32 v29, v22
	ds_write_b32 v30, v21
	ds_write_b32 v31, v20
	v_add_nc_u32_e32 v29, 0xfffffb20, v28
	v_add_nc_u32_e32 v30, 0xfffffb40, v28
	v_add_nc_u32_e32 v31, 0xfffffb60, v28
	v_add_nc_u32_e32 v32, 0xfffffb80, v28
	v_add_nc_u32_e32 v33, 0xfffffba0, v28
	ds_write_b32 v29, v19
	ds_write_b32 v30, v18
	ds_write_b32 v31, v17
	ds_write_b32 v32, v16
	ds_write_b32 v33, v15
	v_add_nc_u32_e32 v29, 0xfffffbc0, v28
	v_add_nc_u32_e32 v30, 0xfffffbe0, v28
	;; [unrolled: 10-line block ×3, first 2 shown]
	v_add_nc_u32_e32 v31, 0xfffffca0, v28
	v_add_nc_u32_e32 v32, 0xfffffcc0, v28
	;; [unrolled: 1-line block ×3, first 2 shown]
	ds_write_b32 v29, v7
	ds_write_b32 v30, v6
	ds_write_b32 v31, v5
	ds_write_b32 v32, v8
	ds_write_b32 v28, v9
.LBB115_90:
	s_or_b32 exec_lo, exec_lo, s0
	v_lshlrev_b32_e32 v25, 2, v25
	v_and_b32_e32 v28, 3, v0
	s_mov_b32 s1, exec_lo
	s_waitcnt lgkmcnt(0)
	s_barrier
	v_add3_u32 v25, 0x1a0, v27, v25
	v_cmp_eq_u32_e32 vcc_lo, 0, v28
	buffer_gl0_inv
	v_cmpx_gt_u32_e32 64, v0
	s_cbranch_execz .LBB115_117
; %bb.91:
	s_and_saveexec_b32 s0, vcc_lo
	s_cbranch_execnz .LBB115_149
; %bb.92:
	s_or_b32 exec_lo, exec_lo, s0
	s_and_saveexec_b32 s0, vcc_lo
	s_cbranch_execnz .LBB115_150
.LBB115_93:
	s_or_b32 exec_lo, exec_lo, s0
	s_and_saveexec_b32 s0, vcc_lo
	s_cbranch_execnz .LBB115_151
.LBB115_94:
	s_or_b32 exec_lo, exec_lo, s0
	s_and_saveexec_b32 s0, vcc_lo
	s_cbranch_execnz .LBB115_152
.LBB115_95:
	s_or_b32 exec_lo, exec_lo, s0
	s_and_saveexec_b32 s0, vcc_lo
	s_cbranch_execnz .LBB115_153
.LBB115_96:
	s_or_b32 exec_lo, exec_lo, s0
	s_and_saveexec_b32 s0, vcc_lo
	s_cbranch_execnz .LBB115_154
.LBB115_97:
	s_or_b32 exec_lo, exec_lo, s0
	s_and_saveexec_b32 s0, vcc_lo
	s_cbranch_execnz .LBB115_155
.LBB115_98:
	s_or_b32 exec_lo, exec_lo, s0
	s_and_saveexec_b32 s0, vcc_lo
	s_cbranch_execnz .LBB115_156
.LBB115_99:
	s_or_b32 exec_lo, exec_lo, s0
	s_and_saveexec_b32 s0, vcc_lo
	s_cbranch_execnz .LBB115_157
.LBB115_100:
	s_or_b32 exec_lo, exec_lo, s0
	s_and_saveexec_b32 s0, vcc_lo
	s_cbranch_execnz .LBB115_158
.LBB115_101:
	s_or_b32 exec_lo, exec_lo, s0
	s_and_saveexec_b32 s0, vcc_lo
	s_cbranch_execnz .LBB115_159
.LBB115_102:
	s_or_b32 exec_lo, exec_lo, s0
	s_and_saveexec_b32 s0, vcc_lo
	s_cbranch_execnz .LBB115_160
.LBB115_103:
	s_or_b32 exec_lo, exec_lo, s0
	s_and_saveexec_b32 s0, vcc_lo
	s_cbranch_execnz .LBB115_161
.LBB115_104:
	s_or_b32 exec_lo, exec_lo, s0
	s_and_saveexec_b32 s0, vcc_lo
	s_cbranch_execnz .LBB115_162
.LBB115_105:
	s_or_b32 exec_lo, exec_lo, s0
	s_and_saveexec_b32 s0, vcc_lo
	s_cbranch_execnz .LBB115_163
.LBB115_106:
	s_or_b32 exec_lo, exec_lo, s0
	s_and_saveexec_b32 s0, vcc_lo
	s_cbranch_execnz .LBB115_164
.LBB115_107:
	s_or_b32 exec_lo, exec_lo, s0
	s_and_saveexec_b32 s0, vcc_lo
	s_cbranch_execnz .LBB115_165
.LBB115_108:
	s_or_b32 exec_lo, exec_lo, s0
	s_and_saveexec_b32 s0, vcc_lo
	s_cbranch_execnz .LBB115_166
.LBB115_109:
	s_or_b32 exec_lo, exec_lo, s0
	s_and_saveexec_b32 s0, vcc_lo
	s_cbranch_execnz .LBB115_167
.LBB115_110:
	s_or_b32 exec_lo, exec_lo, s0
	s_and_saveexec_b32 s0, vcc_lo
	s_cbranch_execnz .LBB115_168
.LBB115_111:
	s_or_b32 exec_lo, exec_lo, s0
	s_and_saveexec_b32 s0, vcc_lo
	s_cbranch_execnz .LBB115_169
.LBB115_112:
	s_or_b32 exec_lo, exec_lo, s0
	s_and_saveexec_b32 s0, vcc_lo
	s_cbranch_execnz .LBB115_170
.LBB115_113:
	s_or_b32 exec_lo, exec_lo, s0
	s_and_saveexec_b32 s0, vcc_lo
	s_cbranch_execnz .LBB115_171
.LBB115_114:
	s_or_b32 exec_lo, exec_lo, s0
	s_and_saveexec_b32 s0, vcc_lo
	s_cbranch_execz .LBB115_116
.LBB115_115:
	ds_read_b32 v27, v25 offset:736
	s_waitcnt lgkmcnt(0)
	v_add_f32_e32 v9, v9, v27
.LBB115_116:
	s_or_b32 exec_lo, exec_lo, s0
.LBB115_117:
	s_or_b32 exec_lo, exec_lo, s1
	v_and_b32_e32 v27, 0x3e3, v0
	s_mov_b32 s1, exec_lo
	s_barrier
	buffer_gl0_inv
	v_cmpx_eq_u32_e32 32, v27
	s_cbranch_execz .LBB115_119
; %bb.118:
	ds_write2_b32 v26, v4, v3 offset1:8
	ds_write2_b32 v26, v2, v1 offset0:16 offset1:24
	ds_write2_b32 v26, v24, v23 offset0:32 offset1:40
	;; [unrolled: 1-line block ×11, first 2 shown]
.LBB115_119:
	s_or_b32 exec_lo, exec_lo, s1
	s_mov_b32 s1, exec_lo
	s_waitcnt lgkmcnt(0)
	s_barrier
	buffer_gl0_inv
	v_cmpx_gt_u32_e32 32, v0
	s_cbranch_execz .LBB115_146
; %bb.120:
	s_and_saveexec_b32 s0, vcc_lo
	s_cbranch_execnz .LBB115_172
; %bb.121:
	s_or_b32 exec_lo, exec_lo, s0
	s_and_saveexec_b32 s0, vcc_lo
	s_cbranch_execnz .LBB115_173
.LBB115_122:
	s_or_b32 exec_lo, exec_lo, s0
	s_and_saveexec_b32 s0, vcc_lo
	s_cbranch_execnz .LBB115_174
.LBB115_123:
	s_or_b32 exec_lo, exec_lo, s0
	s_and_saveexec_b32 s0, vcc_lo
	s_cbranch_execnz .LBB115_175
.LBB115_124:
	s_or_b32 exec_lo, exec_lo, s0
	s_and_saveexec_b32 s0, vcc_lo
	s_cbranch_execnz .LBB115_176
.LBB115_125:
	s_or_b32 exec_lo, exec_lo, s0
	s_and_saveexec_b32 s0, vcc_lo
	s_cbranch_execnz .LBB115_177
.LBB115_126:
	s_or_b32 exec_lo, exec_lo, s0
	s_and_saveexec_b32 s0, vcc_lo
	s_cbranch_execnz .LBB115_178
.LBB115_127:
	s_or_b32 exec_lo, exec_lo, s0
	s_and_saveexec_b32 s0, vcc_lo
	s_cbranch_execnz .LBB115_179
.LBB115_128:
	s_or_b32 exec_lo, exec_lo, s0
	s_and_saveexec_b32 s0, vcc_lo
	s_cbranch_execnz .LBB115_180
.LBB115_129:
	s_or_b32 exec_lo, exec_lo, s0
	s_and_saveexec_b32 s0, vcc_lo
	s_cbranch_execnz .LBB115_181
.LBB115_130:
	s_or_b32 exec_lo, exec_lo, s0
	s_and_saveexec_b32 s0, vcc_lo
	s_cbranch_execnz .LBB115_182
.LBB115_131:
	s_or_b32 exec_lo, exec_lo, s0
	s_and_saveexec_b32 s0, vcc_lo
	s_cbranch_execnz .LBB115_183
.LBB115_132:
	s_or_b32 exec_lo, exec_lo, s0
	s_and_saveexec_b32 s0, vcc_lo
	s_cbranch_execnz .LBB115_184
.LBB115_133:
	s_or_b32 exec_lo, exec_lo, s0
	s_and_saveexec_b32 s0, vcc_lo
	s_cbranch_execnz .LBB115_185
.LBB115_134:
	s_or_b32 exec_lo, exec_lo, s0
	s_and_saveexec_b32 s0, vcc_lo
	s_cbranch_execnz .LBB115_186
.LBB115_135:
	s_or_b32 exec_lo, exec_lo, s0
	s_and_saveexec_b32 s0, vcc_lo
	s_cbranch_execnz .LBB115_187
.LBB115_136:
	s_or_b32 exec_lo, exec_lo, s0
	s_and_saveexec_b32 s0, vcc_lo
	s_cbranch_execnz .LBB115_188
.LBB115_137:
	s_or_b32 exec_lo, exec_lo, s0
	s_and_saveexec_b32 s0, vcc_lo
	s_cbranch_execnz .LBB115_189
.LBB115_138:
	s_or_b32 exec_lo, exec_lo, s0
	s_and_saveexec_b32 s0, vcc_lo
	s_cbranch_execnz .LBB115_190
.LBB115_139:
	s_or_b32 exec_lo, exec_lo, s0
	s_and_saveexec_b32 s0, vcc_lo
	s_cbranch_execnz .LBB115_191
.LBB115_140:
	s_or_b32 exec_lo, exec_lo, s0
	s_and_saveexec_b32 s0, vcc_lo
	s_cbranch_execnz .LBB115_192
.LBB115_141:
	s_or_b32 exec_lo, exec_lo, s0
	s_and_saveexec_b32 s0, vcc_lo
	s_cbranch_execnz .LBB115_193
.LBB115_142:
	s_or_b32 exec_lo, exec_lo, s0
	s_and_saveexec_b32 s0, vcc_lo
	s_cbranch_execnz .LBB115_194
.LBB115_143:
	s_or_b32 exec_lo, exec_lo, s0
	s_and_saveexec_b32 s0, vcc_lo
	s_cbranch_execz .LBB115_145
.LBB115_144:
	ds_read_b32 v25, v25 offset:736
	s_waitcnt lgkmcnt(0)
	v_add_f32_e32 v9, v9, v25
.LBB115_145:
	s_or_b32 exec_lo, exec_lo, s0
.LBB115_146:
	s_or_b32 exec_lo, exec_lo, s1
	s_barrier
	buffer_gl0_inv
	s_mov_b32 s0, exec_lo
	v_cmpx_eq_u32_e32 0, v27
	s_cbranch_execz .LBB115_148
; %bb.147:
	s_mul_i32 s0, s2, 0xc0
	s_mul_i32 s2, s7, s10
	s_ashr_i32 s1, s0, 31
	v_lshrrev_b32_e32 v0, 1, v0
	s_lshl_b64 s[0:1], s[0:1], 1
	;;#ASMSTART
	v_cvt_f16_f32 v4, v4;

	;;#ASMEND
	s_add_u32 s4, s24, s0
	s_addc_u32 s5, s25, s1
	s_ashr_i32 s3, s2, 31
	s_lshl_b64 s[0:1], s[2:3], 1
	s_mul_i32 s2, s8, 0xc0
	s_add_u32 s4, s4, s0
	s_addc_u32 s5, s5, s1
	s_ashr_i32 s3, s2, 31
	s_lshl_b64 s[0:1], s[2:3], 1
	s_add_u32 s0, s4, s0
	s_addc_u32 s1, s5, s1
	global_store_short v0, v4, s[0:1]
	;;#ASMSTART
	v_cvt_f16_f32 v3, v3;

	;;#ASMEND
	global_store_short v0, v3, s[0:1] offset:16
	;;#ASMSTART
	v_cvt_f16_f32 v2, v2;

	;;#ASMEND
	global_store_short v0, v2, s[0:1] offset:32
	;; [unrolled: 5-line block ×23, first 2 shown]
.LBB115_148:
	s_endpgm
.LBB115_149:
	ds_read_b32 v27, v25
	s_waitcnt lgkmcnt(0)
	v_add_f32_e32 v4, v4, v27
	s_or_b32 exec_lo, exec_lo, s0
	s_and_saveexec_b32 s0, vcc_lo
	s_cbranch_execz .LBB115_93
.LBB115_150:
	ds_read_b32 v27, v25 offset:32
	s_waitcnt lgkmcnt(0)
	v_add_f32_e32 v3, v3, v27
	s_or_b32 exec_lo, exec_lo, s0
	s_and_saveexec_b32 s0, vcc_lo
	s_cbranch_execz .LBB115_94
.LBB115_151:
	ds_read_b32 v27, v25 offset:64
	s_waitcnt lgkmcnt(0)
	v_add_f32_e32 v2, v2, v27
	s_or_b32 exec_lo, exec_lo, s0
	s_and_saveexec_b32 s0, vcc_lo
	s_cbranch_execz .LBB115_95
.LBB115_152:
	ds_read_b32 v27, v25 offset:96
	s_waitcnt lgkmcnt(0)
	v_add_f32_e32 v1, v1, v27
	s_or_b32 exec_lo, exec_lo, s0
	s_and_saveexec_b32 s0, vcc_lo
	s_cbranch_execz .LBB115_96
.LBB115_153:
	ds_read_b32 v27, v25 offset:128
	s_waitcnt lgkmcnt(0)
	v_add_f32_e32 v24, v24, v27
	s_or_b32 exec_lo, exec_lo, s0
	s_and_saveexec_b32 s0, vcc_lo
	s_cbranch_execz .LBB115_97
.LBB115_154:
	ds_read_b32 v27, v25 offset:160
	s_waitcnt lgkmcnt(0)
	v_add_f32_e32 v23, v23, v27
	s_or_b32 exec_lo, exec_lo, s0
	s_and_saveexec_b32 s0, vcc_lo
	s_cbranch_execz .LBB115_98
.LBB115_155:
	ds_read_b32 v27, v25 offset:192
	s_waitcnt lgkmcnt(0)
	v_add_f32_e32 v22, v22, v27
	s_or_b32 exec_lo, exec_lo, s0
	s_and_saveexec_b32 s0, vcc_lo
	s_cbranch_execz .LBB115_99
.LBB115_156:
	ds_read_b32 v27, v25 offset:224
	s_waitcnt lgkmcnt(0)
	v_add_f32_e32 v21, v21, v27
	s_or_b32 exec_lo, exec_lo, s0
	s_and_saveexec_b32 s0, vcc_lo
	s_cbranch_execz .LBB115_100
.LBB115_157:
	ds_read_b32 v27, v25 offset:256
	s_waitcnt lgkmcnt(0)
	v_add_f32_e32 v20, v20, v27
	s_or_b32 exec_lo, exec_lo, s0
	s_and_saveexec_b32 s0, vcc_lo
	s_cbranch_execz .LBB115_101
.LBB115_158:
	ds_read_b32 v27, v25 offset:288
	s_waitcnt lgkmcnt(0)
	v_add_f32_e32 v19, v19, v27
	s_or_b32 exec_lo, exec_lo, s0
	s_and_saveexec_b32 s0, vcc_lo
	s_cbranch_execz .LBB115_102
.LBB115_159:
	ds_read_b32 v27, v25 offset:320
	s_waitcnt lgkmcnt(0)
	v_add_f32_e32 v18, v18, v27
	s_or_b32 exec_lo, exec_lo, s0
	s_and_saveexec_b32 s0, vcc_lo
	s_cbranch_execz .LBB115_103
.LBB115_160:
	ds_read_b32 v27, v25 offset:352
	s_waitcnt lgkmcnt(0)
	v_add_f32_e32 v17, v17, v27
	s_or_b32 exec_lo, exec_lo, s0
	s_and_saveexec_b32 s0, vcc_lo
	s_cbranch_execz .LBB115_104
.LBB115_161:
	ds_read_b32 v27, v25 offset:384
	s_waitcnt lgkmcnt(0)
	v_add_f32_e32 v16, v16, v27
	s_or_b32 exec_lo, exec_lo, s0
	s_and_saveexec_b32 s0, vcc_lo
	s_cbranch_execz .LBB115_105
.LBB115_162:
	ds_read_b32 v27, v25 offset:416
	s_waitcnt lgkmcnt(0)
	v_add_f32_e32 v15, v15, v27
	s_or_b32 exec_lo, exec_lo, s0
	s_and_saveexec_b32 s0, vcc_lo
	s_cbranch_execz .LBB115_106
.LBB115_163:
	ds_read_b32 v27, v25 offset:448
	s_waitcnt lgkmcnt(0)
	v_add_f32_e32 v14, v14, v27
	s_or_b32 exec_lo, exec_lo, s0
	s_and_saveexec_b32 s0, vcc_lo
	s_cbranch_execz .LBB115_107
.LBB115_164:
	ds_read_b32 v27, v25 offset:480
	s_waitcnt lgkmcnt(0)
	v_add_f32_e32 v13, v13, v27
	s_or_b32 exec_lo, exec_lo, s0
	s_and_saveexec_b32 s0, vcc_lo
	s_cbranch_execz .LBB115_108
.LBB115_165:
	ds_read_b32 v27, v25 offset:512
	s_waitcnt lgkmcnt(0)
	v_add_f32_e32 v12, v12, v27
	s_or_b32 exec_lo, exec_lo, s0
	s_and_saveexec_b32 s0, vcc_lo
	s_cbranch_execz .LBB115_109
.LBB115_166:
	ds_read_b32 v27, v25 offset:544
	s_waitcnt lgkmcnt(0)
	v_add_f32_e32 v11, v11, v27
	s_or_b32 exec_lo, exec_lo, s0
	s_and_saveexec_b32 s0, vcc_lo
	s_cbranch_execz .LBB115_110
.LBB115_167:
	ds_read_b32 v27, v25 offset:576
	s_waitcnt lgkmcnt(0)
	v_add_f32_e32 v10, v10, v27
	s_or_b32 exec_lo, exec_lo, s0
	s_and_saveexec_b32 s0, vcc_lo
	s_cbranch_execz .LBB115_111
.LBB115_168:
	ds_read_b32 v27, v25 offset:608
	s_waitcnt lgkmcnt(0)
	v_add_f32_e32 v7, v7, v27
	s_or_b32 exec_lo, exec_lo, s0
	s_and_saveexec_b32 s0, vcc_lo
	s_cbranch_execz .LBB115_112
.LBB115_169:
	ds_read_b32 v27, v25 offset:640
	s_waitcnt lgkmcnt(0)
	v_add_f32_e32 v6, v6, v27
	s_or_b32 exec_lo, exec_lo, s0
	s_and_saveexec_b32 s0, vcc_lo
	s_cbranch_execz .LBB115_113
.LBB115_170:
	ds_read_b32 v27, v25 offset:672
	s_waitcnt lgkmcnt(0)
	v_add_f32_e32 v5, v5, v27
	s_or_b32 exec_lo, exec_lo, s0
	s_and_saveexec_b32 s0, vcc_lo
	s_cbranch_execz .LBB115_114
.LBB115_171:
	ds_read_b32 v27, v25 offset:704
	s_waitcnt lgkmcnt(0)
	v_add_f32_e32 v8, v8, v27
	s_or_b32 exec_lo, exec_lo, s0
	s_and_saveexec_b32 s0, vcc_lo
	s_cbranch_execnz .LBB115_115
	s_branch .LBB115_116
.LBB115_172:
	ds_read_b32 v26, v25
	s_waitcnt lgkmcnt(0)
	v_add_f32_e32 v4, v4, v26
	s_or_b32 exec_lo, exec_lo, s0
	s_and_saveexec_b32 s0, vcc_lo
	s_cbranch_execz .LBB115_122
.LBB115_173:
	ds_read_b32 v26, v25 offset:32
	s_waitcnt lgkmcnt(0)
	v_add_f32_e32 v3, v3, v26
	s_or_b32 exec_lo, exec_lo, s0
	s_and_saveexec_b32 s0, vcc_lo
	s_cbranch_execz .LBB115_123
.LBB115_174:
	ds_read_b32 v26, v25 offset:64
	s_waitcnt lgkmcnt(0)
	v_add_f32_e32 v2, v2, v26
	s_or_b32 exec_lo, exec_lo, s0
	s_and_saveexec_b32 s0, vcc_lo
	s_cbranch_execz .LBB115_124
.LBB115_175:
	ds_read_b32 v26, v25 offset:96
	s_waitcnt lgkmcnt(0)
	v_add_f32_e32 v1, v1, v26
	s_or_b32 exec_lo, exec_lo, s0
	s_and_saveexec_b32 s0, vcc_lo
	s_cbranch_execz .LBB115_125
.LBB115_176:
	ds_read_b32 v26, v25 offset:128
	s_waitcnt lgkmcnt(0)
	v_add_f32_e32 v24, v24, v26
	s_or_b32 exec_lo, exec_lo, s0
	s_and_saveexec_b32 s0, vcc_lo
	s_cbranch_execz .LBB115_126
.LBB115_177:
	ds_read_b32 v26, v25 offset:160
	s_waitcnt lgkmcnt(0)
	v_add_f32_e32 v23, v23, v26
	s_or_b32 exec_lo, exec_lo, s0
	s_and_saveexec_b32 s0, vcc_lo
	s_cbranch_execz .LBB115_127
.LBB115_178:
	ds_read_b32 v26, v25 offset:192
	s_waitcnt lgkmcnt(0)
	v_add_f32_e32 v22, v22, v26
	s_or_b32 exec_lo, exec_lo, s0
	s_and_saveexec_b32 s0, vcc_lo
	s_cbranch_execz .LBB115_128
.LBB115_179:
	ds_read_b32 v26, v25 offset:224
	s_waitcnt lgkmcnt(0)
	v_add_f32_e32 v21, v21, v26
	s_or_b32 exec_lo, exec_lo, s0
	s_and_saveexec_b32 s0, vcc_lo
	s_cbranch_execz .LBB115_129
.LBB115_180:
	ds_read_b32 v26, v25 offset:256
	s_waitcnt lgkmcnt(0)
	v_add_f32_e32 v20, v20, v26
	s_or_b32 exec_lo, exec_lo, s0
	s_and_saveexec_b32 s0, vcc_lo
	s_cbranch_execz .LBB115_130
.LBB115_181:
	ds_read_b32 v26, v25 offset:288
	s_waitcnt lgkmcnt(0)
	v_add_f32_e32 v19, v19, v26
	s_or_b32 exec_lo, exec_lo, s0
	s_and_saveexec_b32 s0, vcc_lo
	s_cbranch_execz .LBB115_131
.LBB115_182:
	ds_read_b32 v26, v25 offset:320
	s_waitcnt lgkmcnt(0)
	v_add_f32_e32 v18, v18, v26
	s_or_b32 exec_lo, exec_lo, s0
	s_and_saveexec_b32 s0, vcc_lo
	s_cbranch_execz .LBB115_132
.LBB115_183:
	ds_read_b32 v26, v25 offset:352
	s_waitcnt lgkmcnt(0)
	v_add_f32_e32 v17, v17, v26
	s_or_b32 exec_lo, exec_lo, s0
	s_and_saveexec_b32 s0, vcc_lo
	s_cbranch_execz .LBB115_133
.LBB115_184:
	ds_read_b32 v26, v25 offset:384
	s_waitcnt lgkmcnt(0)
	v_add_f32_e32 v16, v16, v26
	s_or_b32 exec_lo, exec_lo, s0
	s_and_saveexec_b32 s0, vcc_lo
	s_cbranch_execz .LBB115_134
.LBB115_185:
	ds_read_b32 v26, v25 offset:416
	s_waitcnt lgkmcnt(0)
	v_add_f32_e32 v15, v15, v26
	s_or_b32 exec_lo, exec_lo, s0
	s_and_saveexec_b32 s0, vcc_lo
	s_cbranch_execz .LBB115_135
.LBB115_186:
	ds_read_b32 v26, v25 offset:448
	s_waitcnt lgkmcnt(0)
	v_add_f32_e32 v14, v14, v26
	s_or_b32 exec_lo, exec_lo, s0
	s_and_saveexec_b32 s0, vcc_lo
	s_cbranch_execz .LBB115_136
.LBB115_187:
	ds_read_b32 v26, v25 offset:480
	s_waitcnt lgkmcnt(0)
	v_add_f32_e32 v13, v13, v26
	s_or_b32 exec_lo, exec_lo, s0
	s_and_saveexec_b32 s0, vcc_lo
	s_cbranch_execz .LBB115_137
.LBB115_188:
	ds_read_b32 v26, v25 offset:512
	s_waitcnt lgkmcnt(0)
	v_add_f32_e32 v12, v12, v26
	s_or_b32 exec_lo, exec_lo, s0
	s_and_saveexec_b32 s0, vcc_lo
	s_cbranch_execz .LBB115_138
.LBB115_189:
	ds_read_b32 v26, v25 offset:544
	s_waitcnt lgkmcnt(0)
	v_add_f32_e32 v11, v11, v26
	s_or_b32 exec_lo, exec_lo, s0
	s_and_saveexec_b32 s0, vcc_lo
	s_cbranch_execz .LBB115_139
.LBB115_190:
	ds_read_b32 v26, v25 offset:576
	s_waitcnt lgkmcnt(0)
	v_add_f32_e32 v10, v10, v26
	s_or_b32 exec_lo, exec_lo, s0
	s_and_saveexec_b32 s0, vcc_lo
	s_cbranch_execz .LBB115_140
.LBB115_191:
	ds_read_b32 v26, v25 offset:608
	s_waitcnt lgkmcnt(0)
	v_add_f32_e32 v7, v7, v26
	s_or_b32 exec_lo, exec_lo, s0
	s_and_saveexec_b32 s0, vcc_lo
	s_cbranch_execz .LBB115_141
.LBB115_192:
	ds_read_b32 v26, v25 offset:640
	s_waitcnt lgkmcnt(0)
	v_add_f32_e32 v6, v6, v26
	s_or_b32 exec_lo, exec_lo, s0
	s_and_saveexec_b32 s0, vcc_lo
	s_cbranch_execz .LBB115_142
.LBB115_193:
	ds_read_b32 v26, v25 offset:672
	s_waitcnt lgkmcnt(0)
	v_add_f32_e32 v5, v5, v26
	s_or_b32 exec_lo, exec_lo, s0
	s_and_saveexec_b32 s0, vcc_lo
	s_cbranch_execz .LBB115_143
.LBB115_194:
	ds_read_b32 v26, v25 offset:704
	s_waitcnt lgkmcnt(0)
	v_add_f32_e32 v8, v8, v26
	s_or_b32 exec_lo, exec_lo, s0
	s_and_saveexec_b32 s0, vcc_lo
	s_cbranch_execnz .LBB115_144
	s_branch .LBB115_145
	.section	.rodata,"a",@progbits
	.p2align	6, 0x0
	.amdhsa_kernel _ZN4vllm25paged_attention_v2_kernelIttLi192ELi32ELi128ELNS_18Fp8KVCacheDataTypeE0ELb1ELi512EEEvPfS2_PT_PKS3_PKT0_S9_ifPKiSB_iPKfiiiSD_SD_iiiii
		.amdhsa_group_segment_fixed_size 416
		.amdhsa_private_segment_fixed_size 8
		.amdhsa_kernarg_size 400
		.amdhsa_user_sgpr_count 6
		.amdhsa_user_sgpr_private_segment_buffer 1
		.amdhsa_user_sgpr_dispatch_ptr 0
		.amdhsa_user_sgpr_queue_ptr 0
		.amdhsa_user_sgpr_kernarg_segment_ptr 1
		.amdhsa_user_sgpr_dispatch_id 0
		.amdhsa_user_sgpr_flat_scratch_init 0
		.amdhsa_user_sgpr_private_segment_size 0
		.amdhsa_wavefront_size32 1
		.amdhsa_uses_dynamic_stack 0
		.amdhsa_system_sgpr_private_segment_wavefront_offset 1
		.amdhsa_system_sgpr_workgroup_id_x 1
		.amdhsa_system_sgpr_workgroup_id_y 1
		.amdhsa_system_sgpr_workgroup_id_z 1
		.amdhsa_system_sgpr_workgroup_info 0
		.amdhsa_system_vgpr_workitem_id 0
		.amdhsa_next_free_vgpr 128
		.amdhsa_next_free_sgpr 52
		.amdhsa_reserve_vcc 1
		.amdhsa_reserve_flat_scratch 0
		.amdhsa_float_round_mode_32 0
		.amdhsa_float_round_mode_16_64 0
		.amdhsa_float_denorm_mode_32 3
		.amdhsa_float_denorm_mode_16_64 3
		.amdhsa_dx10_clamp 1
		.amdhsa_ieee_mode 1
		.amdhsa_fp16_overflow 0
		.amdhsa_workgroup_processor_mode 1
		.amdhsa_memory_ordered 1
		.amdhsa_forward_progress 1
		.amdhsa_shared_vgpr_count 0
		.amdhsa_exception_fp_ieee_invalid_op 0
		.amdhsa_exception_fp_denorm_src 0
		.amdhsa_exception_fp_ieee_div_zero 0
		.amdhsa_exception_fp_ieee_overflow 0
		.amdhsa_exception_fp_ieee_underflow 0
		.amdhsa_exception_fp_ieee_inexact 0
		.amdhsa_exception_int_div_zero 0
	.end_amdhsa_kernel
	.section	.text._ZN4vllm25paged_attention_v2_kernelIttLi192ELi32ELi128ELNS_18Fp8KVCacheDataTypeE0ELb1ELi512EEEvPfS2_PT_PKS3_PKT0_S9_ifPKiSB_iPKfiiiSD_SD_iiiii,"axG",@progbits,_ZN4vllm25paged_attention_v2_kernelIttLi192ELi32ELi128ELNS_18Fp8KVCacheDataTypeE0ELb1ELi512EEEvPfS2_PT_PKS3_PKT0_S9_ifPKiSB_iPKfiiiSD_SD_iiiii,comdat
.Lfunc_end115:
	.size	_ZN4vllm25paged_attention_v2_kernelIttLi192ELi32ELi128ELNS_18Fp8KVCacheDataTypeE0ELb1ELi512EEEvPfS2_PT_PKS3_PKT0_S9_ifPKiSB_iPKfiiiSD_SD_iiiii, .Lfunc_end115-_ZN4vllm25paged_attention_v2_kernelIttLi192ELi32ELi128ELNS_18Fp8KVCacheDataTypeE0ELb1ELi512EEEvPfS2_PT_PKS3_PKT0_S9_ifPKiSB_iPKfiiiSD_SD_iiiii
                                        ; -- End function
	.set _ZN4vllm25paged_attention_v2_kernelIttLi192ELi32ELi128ELNS_18Fp8KVCacheDataTypeE0ELb1ELi512EEEvPfS2_PT_PKS3_PKT0_S9_ifPKiSB_iPKfiiiSD_SD_iiiii.num_vgpr, 128
	.set _ZN4vllm25paged_attention_v2_kernelIttLi192ELi32ELi128ELNS_18Fp8KVCacheDataTypeE0ELb1ELi512EEEvPfS2_PT_PKS3_PKT0_S9_ifPKiSB_iPKfiiiSD_SD_iiiii.num_agpr, 0
	.set _ZN4vllm25paged_attention_v2_kernelIttLi192ELi32ELi128ELNS_18Fp8KVCacheDataTypeE0ELb1ELi512EEEvPfS2_PT_PKS3_PKT0_S9_ifPKiSB_iPKfiiiSD_SD_iiiii.numbered_sgpr, 52
	.set _ZN4vllm25paged_attention_v2_kernelIttLi192ELi32ELi128ELNS_18Fp8KVCacheDataTypeE0ELb1ELi512EEEvPfS2_PT_PKS3_PKT0_S9_ifPKiSB_iPKfiiiSD_SD_iiiii.num_named_barrier, 0
	.set _ZN4vllm25paged_attention_v2_kernelIttLi192ELi32ELi128ELNS_18Fp8KVCacheDataTypeE0ELb1ELi512EEEvPfS2_PT_PKS3_PKT0_S9_ifPKiSB_iPKfiiiSD_SD_iiiii.private_seg_size, 8
	.set _ZN4vllm25paged_attention_v2_kernelIttLi192ELi32ELi128ELNS_18Fp8KVCacheDataTypeE0ELb1ELi512EEEvPfS2_PT_PKS3_PKT0_S9_ifPKiSB_iPKfiiiSD_SD_iiiii.uses_vcc, 1
	.set _ZN4vllm25paged_attention_v2_kernelIttLi192ELi32ELi128ELNS_18Fp8KVCacheDataTypeE0ELb1ELi512EEEvPfS2_PT_PKS3_PKT0_S9_ifPKiSB_iPKfiiiSD_SD_iiiii.uses_flat_scratch, 0
	.set _ZN4vllm25paged_attention_v2_kernelIttLi192ELi32ELi128ELNS_18Fp8KVCacheDataTypeE0ELb1ELi512EEEvPfS2_PT_PKS3_PKT0_S9_ifPKiSB_iPKfiiiSD_SD_iiiii.has_dyn_sized_stack, 0
	.set _ZN4vllm25paged_attention_v2_kernelIttLi192ELi32ELi128ELNS_18Fp8KVCacheDataTypeE0ELb1ELi512EEEvPfS2_PT_PKS3_PKT0_S9_ifPKiSB_iPKfiiiSD_SD_iiiii.has_recursion, 0
	.set _ZN4vllm25paged_attention_v2_kernelIttLi192ELi32ELi128ELNS_18Fp8KVCacheDataTypeE0ELb1ELi512EEEvPfS2_PT_PKS3_PKT0_S9_ifPKiSB_iPKfiiiSD_SD_iiiii.has_indirect_call, 0
	.section	.AMDGPU.csdata,"",@progbits
; Kernel info:
; codeLenInByte = 28220
; TotalNumSgprs: 54
; NumVgprs: 128
; ScratchSize: 8
; MemoryBound: 0
; FloatMode: 240
; IeeeMode: 1
; LDSByteSize: 416 bytes/workgroup (compile time only)
; SGPRBlocks: 0
; VGPRBlocks: 15
; NumSGPRsForWavesPerEU: 54
; NumVGPRsForWavesPerEU: 128
; Occupancy: 8
; WaveLimiterHint : 1
; COMPUTE_PGM_RSRC2:SCRATCH_EN: 1
; COMPUTE_PGM_RSRC2:USER_SGPR: 6
; COMPUTE_PGM_RSRC2:TRAP_HANDLER: 0
; COMPUTE_PGM_RSRC2:TGID_X_EN: 1
; COMPUTE_PGM_RSRC2:TGID_Y_EN: 1
; COMPUTE_PGM_RSRC2:TGID_Z_EN: 1
; COMPUTE_PGM_RSRC2:TIDIG_COMP_CNT: 0
	.section	.text._ZN4vllm25paged_attention_v2_kernelIttLi256ELi32ELi128ELNS_18Fp8KVCacheDataTypeE0ELb1ELi512EEEvPfS2_PT_PKS3_PKT0_S9_ifPKiSB_iPKfiiiSD_SD_iiiii,"axG",@progbits,_ZN4vllm25paged_attention_v2_kernelIttLi256ELi32ELi128ELNS_18Fp8KVCacheDataTypeE0ELb1ELi512EEEvPfS2_PT_PKS3_PKT0_S9_ifPKiSB_iPKfiiiSD_SD_iiiii,comdat
	.protected	_ZN4vllm25paged_attention_v2_kernelIttLi256ELi32ELi128ELNS_18Fp8KVCacheDataTypeE0ELb1ELi512EEEvPfS2_PT_PKS3_PKT0_S9_ifPKiSB_iPKfiiiSD_SD_iiiii ; -- Begin function _ZN4vllm25paged_attention_v2_kernelIttLi256ELi32ELi128ELNS_18Fp8KVCacheDataTypeE0ELb1ELi512EEEvPfS2_PT_PKS3_PKT0_S9_ifPKiSB_iPKfiiiSD_SD_iiiii
	.globl	_ZN4vllm25paged_attention_v2_kernelIttLi256ELi32ELi128ELNS_18Fp8KVCacheDataTypeE0ELb1ELi512EEEvPfS2_PT_PKS3_PKT0_S9_ifPKiSB_iPKfiiiSD_SD_iiiii
	.p2align	8
	.type	_ZN4vllm25paged_attention_v2_kernelIttLi256ELi32ELi128ELNS_18Fp8KVCacheDataTypeE0ELb1ELi512EEEvPfS2_PT_PKS3_PKT0_S9_ifPKiSB_iPKfiiiSD_SD_iiiii,@function
_ZN4vllm25paged_attention_v2_kernelIttLi256ELi32ELi128ELNS_18Fp8KVCacheDataTypeE0ELb1ELi512EEEvPfS2_PT_PKS3_PKT0_S9_ifPKiSB_iPKfiiiSD_SD_iiiii: ; @_ZN4vllm25paged_attention_v2_kernelIttLi256ELi32ELi128ELNS_18Fp8KVCacheDataTypeE0ELb1ELi512EEEvPfS2_PT_PKS3_PKT0_S9_ifPKiSB_iPKfiiiSD_SD_iiiii
; %bb.0:
	s_mov_b64 s[50:51], s[2:3]
	s_mov_b64 s[48:49], s[0:1]
	s_load_dwordx2 s[0:1], s[4:5], 0x40
	s_add_u32 s48, s48, s9
	s_addc_u32 s49, s49, 0
	s_mov_b32 s26, s7
	s_ashr_i32 s27, s7, 31
	s_lshl_b64 s[2:3], s[26:27], 2
	s_waitcnt lgkmcnt(0)
	s_add_u32 s0, s0, s2
	s_addc_u32 s1, s1, s3
	s_lshl_b32 s38, s8, 9
	s_load_dword s27, s[0:1], 0x0
	s_waitcnt lgkmcnt(0)
	s_cmp_ge_i32 s38, s27
	s_cbranch_scc1 .LBB116_180
; %bb.1:
	s_clause 0x1
	s_load_dword s9, s[4:5], 0x90
	s_load_dwordx2 s[36:37], s[4:5], 0x30
	v_mov_b32_e32 v121, v0
	s_mov_b32 s40, 0
	s_waitcnt lgkmcnt(0)
	s_abs_i32 s3, s9
	s_abs_i32 s0, s36
	v_cvt_f32_u32_e32 v0, s0
	s_sub_i32 s2, 0, s0
	v_rcp_iflag_f32_e32 v0, v0
	v_mul_f32_e32 v0, 0x4f7ffffe, v0
	v_cvt_u32_f32_e32 v0, v0
	v_readfirstlane_b32 s1, v0
	s_mul_i32 s2, s2, s1
	s_mul_hi_u32 s2, s1, s2
	s_add_i32 s1, s1, s2
	s_xor_b32 s2, s9, s36
	s_mul_hi_u32 s1, s3, s1
	s_ashr_i32 s2, s2, 31
	s_mul_i32 s7, s1, s0
	s_sub_i32 s3, s3, s7
	s_add_i32 s7, s1, 1
	s_sub_i32 s10, s3, s0
	s_cmp_ge_u32 s3, s0
	s_cselect_b32 s1, s7, s1
	s_cselect_b32 s3, s10, s3
	s_add_i32 s7, s1, 1
	s_cmp_ge_u32 s3, s0
	s_cselect_b32 s0, s7, s1
	s_xor_b32 s0, s0, s2
	s_sub_i32 s10, s0, s2
	s_load_dwordx2 s[0:1], s[4:5], 0x50
	s_abs_i32 s2, s10
	v_cvt_f32_u32_e32 v0, s2
	s_sub_i32 s3, 0, s2
	v_rcp_iflag_f32_e32 v0, v0
	v_mul_f32_e32 v0, 0x4f7ffffe, v0
	v_cvt_u32_f32_e32 v0, v0
	v_readfirstlane_b32 s7, v0
	s_mul_i32 s3, s3, s7
	s_mul_hi_u32 s11, s7, s3
	s_abs_i32 s3, s6
	s_add_i32 s7, s7, s11
	s_waitcnt lgkmcnt(0)
	s_cmp_eq_u64 s[0:1], 0
	s_mul_hi_u32 s20, s3, s7
	s_cbranch_scc1 .LBB116_3
; %bb.2:
	s_ashr_i32 s7, s6, 31
	s_lshl_b64 s[12:13], s[6:7], 2
	s_add_u32 s0, s0, s12
	s_addc_u32 s1, s1, s13
	s_load_dword s40, s[0:1], 0x0
.LBB116_3:
	s_load_dwordx4 s[12:15], s[4:5], 0x58
	v_cmp_gt_u32_e64 s0, 32, v121
	s_ashr_i32 s1, s6, 31
	s_ashr_i32 s7, s10, 31
	s_lshl_b32 s10, s6, 8
	s_waitcnt lgkmcnt(0)
	s_and_saveexec_b32 s15, s0
	s_cbranch_execz .LBB116_5
; %bb.4:
	s_load_dwordx2 s[16:17], s[4:5], 0x18
	s_mul_i32 s18, s12, s26
	v_lshlrev_b32_e32 v4, 4, v121
	s_ashr_i32 s19, s18, 31
	s_lshl_b64 s[18:19], s[18:19], 1
	s_waitcnt lgkmcnt(0)
	s_add_u32 s12, s16, s18
	s_addc_u32 s18, s17, s19
	s_ashr_i32 s11, s10, 31
	s_lshl_b64 s[16:17], s[10:11], 1
	s_add_u32 s16, s12, s16
	s_addc_u32 s17, s18, s17
	global_load_dwordx4 v[0:3], v4, s[16:17]
	s_waitcnt vmcnt(0)
	ds_write_b128 v4, v[0:3]
.LBB116_5:
	s_or_b32 exec_lo, exec_lo, s15
	s_load_dwordx4 s[16:19], s[4:5], 0x78
	s_mul_i32 s11, s20, s2
	s_xor_b32 s1, s1, s7
	s_sub_i32 s3, s3, s11
	s_add_i32 s7, s20, 1
	s_sub_i32 s11, s3, s2
	s_cmp_ge_u32 s3, s2
	s_mov_b32 s21, -1
	s_cselect_b32 s7, s7, s20
	s_cselect_b32 s3, s11, s3
	s_add_i32 s11, s7, 1
	s_cmp_ge_u32 s3, s2
	s_load_dword s3, s[4:5], 0x88
	s_cselect_b32 s2, s11, s7
	s_add_i32 s7, s27, -1
	s_xor_b32 s2, s2, s1
	s_abs_i32 s15, s7
	s_sub_i32 s2, s2, s1
	s_waitcnt lgkmcnt(0)
	s_barrier
	s_abs_i32 s11, s19
	buffer_gl0_inv
	v_cvt_f32_u32_e32 v0, s11
	s_sub_i32 s1, 0, s11
                                        ; implicit-def: $sgpr33
	v_rcp_iflag_f32_e32 v0, v0
	v_mul_f32_e32 v0, 0x4f7ffffe, v0
	v_cvt_u32_f32_e32 v0, v0
	v_readfirstlane_b32 s12, v0
	s_mul_i32 s1, s1, s12
	s_mul_hi_u32 s1, s12, s1
	s_add_i32 s12, s12, s1
	s_cmp_lt_i32 s3, 0
	s_mul_hi_u32 s1, s15, s12
	s_cbranch_scc0 .LBB116_7
; %bb.6:
	s_mul_i32 s20, s16, s36
	s_mov_b32 s21, 0
	s_add_i32 s20, s2, s20
	s_mul_i32 s20, s20, s3
	s_sub_i32 s33, 1, s20
.LBB116_7:
	s_load_dwordx2 s[28:29], s[4:5], 0x38
	s_ashr_i32 s20, s7, 31
	s_andn2_b32 vcc_lo, exec_lo, s21
	s_ashr_i32 s19, s19, 31
	s_cbranch_vccnz .LBB116_9
; %bb.8:
	s_mul_i32 s7, s9, s16
	s_add_i32 s7, s7, s6
	s_mul_i32 s3, s7, s3
	s_add_i32 s33, s3, 1
.LBB116_9:
	s_clause 0x2
	s_load_dword s3, s[4:5], 0x48
	s_load_dwordx2 s[30:31], s[4:5], 0x28
	s_load_dword s7, s[4:5], 0x98
	s_mul_i32 s16, s1, s11
	s_xor_b32 s39, s20, s19
	s_sub_i32 s15, s15, s16
	s_add_i32 s36, s1, 1
	s_clause 0x1
	s_load_dwordx4 s[20:23], s[4:5], 0x0
	s_load_dwordx2 s[24:25], s[4:5], 0x10
	v_lshrrev_b32_e32 v122, 5, v121
	v_and_b32_e32 v0, 31, v121
	v_mov_b32_e32 v24, 0xff7fffff
	s_mul_i32 s14, s2, s14
	v_lshlrev_b32_e32 v12, 2, v0
	buffer_store_dword v0, off, s[48:51], 0 offset:116 ; 4-byte Folded Spill
	s_waitcnt lgkmcnt(0)
	s_mul_i32 s34, s3, s26
	s_sub_i32 s3, s15, s11
	s_ashr_i32 s35, s34, 31
	s_cmp_ge_u32 s15, s11
	s_cselect_b32 s1, s36, s1
	s_cselect_b32 s3, s3, s15
	s_add_i32 s15, s1, 1
	s_cmp_ge_u32 s3, s11
	s_cselect_b32 s1, s15, s1
	s_add_i32 s3, s27, 31
	s_lshl_b32 s41, s8, 4
	s_ashr_i32 s15, s3, 31
	v_add_nc_u32_e32 v123, s41, v122
	s_lshr_b32 s15, s15, 27
	s_add_i32 s16, s41, 16
	s_add_i32 s3, s3, s15
	s_ashr_i32 s36, s3, 5
	s_xor_b32 s3, s1, s39
	s_min_i32 s16, s16, s36
	s_sub_i32 s39, s3, s39
	v_cmp_gt_i32_e64 s1, s16, v123
	s_and_saveexec_b32 s42, s1
	s_cbranch_execz .LBB116_17
; %bb.10:
	buffer_load_dword v1, off, s[48:51], 0 offset:116 ; 4-byte Folded Reload
	s_load_dwordx2 s[2:3], s[4:5], 0x20
	s_ashr_i32 s15, s14, 31
	s_sub_i32 s4, s39, s17
	s_lshl_b64 s[44:45], s[14:15], 1
	v_ashrrev_i32_e32 v124, 31, v123
	v_lshl_or_b32 v6, v122, 7, v12
	v_cmp_neq_f32_e64 vcc_lo, s40, 0
	v_lshl_add_u32 v25, v122, 5, s38
	v_mov_b32_e32 v24, 0xff7fffff
	v_mov_b32_e32 v28, v123
	v_add_nc_u32_e32 v27, 0x220, v6
	buffer_store_dword v121, off, s[48:51], 0 offset:132 ; 4-byte Folded Spill
	buffer_store_dword v12, off, s[48:51], 0 offset:144 ; 4-byte Folded Spill
	;; [unrolled: 1-line block ×3, first 2 shown]
	s_waitcnt lgkmcnt(0)
	s_add_u32 s15, s2, s44
	s_addc_u32 s43, s3, s45
	s_abs_i32 s5, s18
	v_cvt_f32_u32_e32 v0, s5
	s_sub_i32 s2, 0, s5
	v_rcp_iflag_f32_e32 v0, v0
	v_mul_f32_e32 v0, 0x4f7ffffe, v0
	v_cvt_u32_f32_e32 v3, v0
	v_mul_lo_u32 v5, s2, v3
	s_lshl_b64 s[2:3], s[34:35], 2
	s_add_u32 s2, s28, s2
	s_addc_u32 s3, s29, s3
	s_waitcnt vmcnt(0)
	v_subrev_nc_u32_e32 v4, s27, v1
	v_lshlrev_b32_e32 v2, 4, v1
	v_lshlrev_b64 v[0:1], 2, v[123:124]
	v_add_nc_u32_e32 v4, 1, v4
	v_add_co_u32 v2, s15, s15, v2
	v_add_co_u32 v126, s2, s2, v0
	buffer_store_dword v4, off, s[48:51], 0 offset:124 ; 4-byte Folded Spill
	v_mul_hi_u32 v4, v3, v5
	buffer_store_dword v2, off, s[48:51], 0 offset:128 ; 4-byte Folded Spill
	v_add_co_ci_u32_e64 v2, null, s43, 0, s15
	v_add_co_ci_u32_e64 v127, null, s3, v1, s2
	v_mov_b32_e32 v0, v123
	s_mov_b32 s43, s13
	v_add_nc_u32_e32 v26, v3, v4
	s_mov_b32 s15, 0
	buffer_store_dword v2, off, s[48:51], 0 offset:120 ; 4-byte Folded Spill
	buffer_store_dword v0, off, s[48:51], 0 offset:136 ; 4-byte Folded Spill
	;; [unrolled: 1-line block ×3, first 2 shown]
	s_branch .LBB116_12
.LBB116_11:                             ;   in Loop: Header=BB116_12 Depth=1
	s_or_b32 exec_lo, exec_lo, s3
	v_add_nc_u32_e32 v28, 4, v28
	v_add_co_u32 v126, s3, v126, 16
	v_add_co_ci_u32_e64 v127, null, 0, v127, s3
	v_cmp_le_i32_e64 s2, s16, v28
	v_add_nc_u32_e32 v25, 0x80, v25
	v_add_nc_u32_e32 v27, 0x200, v27
	s_or_b32 s15, s2, s15
	s_andn2_b32 exec_lo, exec_lo, s15
	s_cbranch_execz .LBB116_16
.LBB116_12:                             ; =>This Inner Loop Header: Depth=1
	v_sub_nc_u32_e32 v0, 0, v25
	v_max_i32_e32 v0, v25, v0
	v_mul_hi_u32 v1, v0, s12
	v_mul_lo_u32 v2, v1, s11
	v_sub_nc_u32_e32 v0, v0, v2
	v_add_nc_u32_e32 v2, 1, v1
	v_subrev_nc_u32_e32 v3, s11, v0
	v_cmp_le_u32_e64 s2, s11, v0
	v_cndmask_b32_e64 v1, v1, v2, s2
	v_cndmask_b32_e64 v0, v0, v3, s2
	v_ashrrev_i32_e32 v2, 31, v25
	v_add_nc_u32_e32 v3, 1, v1
	v_cmp_le_u32_e64 s2, s11, v0
	v_xor_b32_e32 v2, s19, v2
	v_cndmask_b32_e64 v0, v1, v3, s2
	v_xor_b32_e32 v0, v0, v2
	v_sub_nc_u32_e32 v0, v0, v2
	v_add_nc_u32_e32 v1, s33, v0
	v_cmp_ge_i32_e64 s3, s4, v0
	v_sub_nc_u32_e32 v2, 0, v1
	v_max_i32_e32 v2, v1, v2
	v_ashrrev_i32_e32 v1, 31, v1
	v_mul_hi_u32 v3, v2, v26
	v_mul_lo_u32 v3, v3, s5
	v_sub_nc_u32_e32 v2, v2, v3
	v_subrev_nc_u32_e32 v3, s5, v2
	v_cmp_le_u32_e64 s2, s5, v2
	v_cndmask_b32_e64 v2, v2, v3, s2
	v_subrev_nc_u32_e32 v3, s5, v2
	v_cmp_le_u32_e64 s2, s5, v2
	v_cndmask_b32_e64 v2, v2, v3, s2
	v_xor_b32_e32 v2, v2, v1
	v_sub_nc_u32_e32 v1, v2, v1
	v_cmp_ne_u32_e64 s2, 0, v1
	s_and_b32 s2, s2, s3
	s_and_saveexec_b32 s3, s2
	s_xor_b32 s2, exec_lo, s3
; %bb.13:                               ;   in Loop: Header=BB116_12 Depth=1
	v_mov_b32_e32 v0, 0xff7fffff
	ds_write_b32 v27, v0
; %bb.14:                               ;   in Loop: Header=BB116_12 Depth=1
	s_andn2_saveexec_b32 s3, s2
	s_cbranch_execz .LBB116_11
; %bb.15:                               ;   in Loop: Header=BB116_12 Depth=1
	global_load_dword v0, v[126:127], off
	s_clause 0x1
	buffer_load_dword v1, off, s[48:51], 0 offset:116
	buffer_load_dword v2, off, s[48:51], 0 offset:128
	v_mov_b32_e32 v21, 0
	s_waitcnt vmcnt(1)
	v_add_nc_u32_e32 v11, v1, v25
	v_mad_i64_i32 v[0:1], null, v0, s43, 0
	v_lshlrev_b64 v[0:1], 1, v[0:1]
	s_waitcnt vmcnt(0)
	v_add_co_u32 v4, s2, v2, v0
	buffer_load_dword v0, off, s[48:51], 0 offset:120 ; 4-byte Folded Reload
	s_waitcnt vmcnt(0)
	v_add_co_ci_u32_e64 v5, null, v0, v1, s2
	buffer_load_dword v0, off, s[48:51], 0 offset:124 ; 4-byte Folded Reload
	v_add_co_u32 v6, s2, 0x800, v4
	v_add_co_ci_u32_e64 v7, null, 0, v5, s2
	v_add_co_u32 v8, s2, v4, 0x1000
	v_add_co_ci_u32_e64 v9, null, 0, v5, s2
	s_waitcnt vmcnt(0)
	v_add_nc_u32_e32 v0, v0, v25
	v_cvt_f32_i32_e32 v0, v0
	v_mul_f32_e32 v0, s40, v0
	v_cndmask_b32_e32 v0, 0, v0, vcc_lo
	buffer_store_dword v0, off, s[48:51], 0 ; 4-byte Folded Spill
	s_clause 0x7
	global_load_dwordx4 v[0:3], v[4:5], off
	global_load_dwordx4 v[121:124], v[4:5], off offset:512
	global_load_dwordx4 v[117:120], v[4:5], off offset:1024
	;; [unrolled: 1-line block ×3, first 2 shown]
	global_load_dwordx4 v[109:112], v[8:9], off offset:-2048
	global_load_dwordx4 v[105:108], v[6:7], off offset:512
	global_load_dwordx4 v[101:104], v[6:7], off offset:1024
	;; [unrolled: 1-line block ×3, first 2 shown]
	v_add_co_u32 v6, s2, 0x1000, v4
	v_add_co_ci_u32_e64 v7, null, 0, v5, s2
	s_clause 0x3
	global_load_dwordx4 v[93:96], v[8:9], off
	global_load_dwordx4 v[89:92], v[6:7], off offset:512
	global_load_dwordx4 v[85:88], v[6:7], off offset:1024
	;; [unrolled: 1-line block ×3, first 2 shown]
	v_add_co_u32 v6, s2, 0x1800, v4
	v_add_co_ci_u32_e64 v7, null, 0, v5, s2
	v_add_co_u32 v8, s2, v4, 0x2000
	v_add_co_ci_u32_e64 v9, null, 0, v5, s2
	s_clause 0x3
	global_load_dwordx4 v[77:80], v[8:9], off offset:-2048
	global_load_dwordx4 v[73:76], v[6:7], off offset:512
	global_load_dwordx4 v[69:72], v[6:7], off offset:1024
	;; [unrolled: 1-line block ×3, first 2 shown]
	v_add_co_u32 v6, s2, 0x2000, v4
	v_add_co_ci_u32_e64 v7, null, 0, v5, s2
	s_clause 0x3
	global_load_dwordx4 v[61:64], v[8:9], off
	global_load_dwordx4 v[57:60], v[6:7], off offset:512
	global_load_dwordx4 v[53:56], v[6:7], off offset:1024
	;; [unrolled: 1-line block ×3, first 2 shown]
	v_add_co_u32 v6, s2, 0x2800, v4
	v_add_co_ci_u32_e64 v7, null, 0, v5, s2
	v_add_co_u32 v8, s2, v4, 0x3000
	v_add_co_ci_u32_e64 v9, null, 0, v5, s2
	s_clause 0x3
	global_load_dwordx4 v[45:48], v[8:9], off offset:-2048
	global_load_dwordx4 v[41:44], v[6:7], off offset:512
	global_load_dwordx4 v[37:40], v[6:7], off offset:1024
	;; [unrolled: 1-line block ×3, first 2 shown]
	v_add_co_u32 v6, s2, 0x3000, v4
	v_add_co_ci_u32_e64 v7, null, 0, v5, s2
	s_clause 0x1
	global_load_dwordx4 v[29:32], v[8:9], off
	global_load_dwordx4 v[12:15], v[6:7], off offset:512
	v_add_co_u32 v4, s2, 0x3800, v4
	v_add_co_ci_u32_e64 v5, null, 0, v5, s2
	v_cmp_gt_i32_e64 s2, s27, v11
	s_waitcnt vmcnt(0)
	buffer_store_dword v12, off, s[48:51], 0 offset:100 ; 4-byte Folded Spill
	buffer_store_dword v13, off, s[48:51], 0 offset:104 ; 4-byte Folded Spill
	;; [unrolled: 1-line block ×4, first 2 shown]
	global_load_dwordx4 v[12:15], v[6:7], off offset:1024
	s_waitcnt vmcnt(0)
	buffer_store_dword v12, off, s[48:51], 0 offset:84 ; 4-byte Folded Spill
	buffer_store_dword v13, off, s[48:51], 0 offset:88 ; 4-byte Folded Spill
	;; [unrolled: 1-line block ×4, first 2 shown]
	global_load_dwordx4 v[6:9], v[6:7], off offset:1536
	s_waitcnt vmcnt(0)
	buffer_store_dword v6, off, s[48:51], 0 offset:68 ; 4-byte Folded Spill
	buffer_store_dword v7, off, s[48:51], 0 offset:72 ; 4-byte Folded Spill
	;; [unrolled: 1-line block ×4, first 2 shown]
	global_load_dwordx4 v[6:9], v[4:5], off
	s_waitcnt vmcnt(0)
	buffer_store_dword v6, off, s[48:51], 0 offset:52 ; 4-byte Folded Spill
	buffer_store_dword v7, off, s[48:51], 0 offset:56 ; 4-byte Folded Spill
	buffer_store_dword v8, off, s[48:51], 0 offset:60 ; 4-byte Folded Spill
	buffer_store_dword v9, off, s[48:51], 0 offset:64 ; 4-byte Folded Spill
	global_load_dwordx4 v[6:9], v[4:5], off offset:512
	s_waitcnt vmcnt(0)
	buffer_store_dword v6, off, s[48:51], 0 offset:36 ; 4-byte Folded Spill
	buffer_store_dword v7, off, s[48:51], 0 offset:40 ; 4-byte Folded Spill
	buffer_store_dword v8, off, s[48:51], 0 offset:44 ; 4-byte Folded Spill
	buffer_store_dword v9, off, s[48:51], 0 offset:48 ; 4-byte Folded Spill
	global_load_dwordx4 v[6:9], v[4:5], off offset:1024
	;; [unrolled: 6-line block ×3, first 2 shown]
	s_waitcnt vmcnt(0)
	buffer_store_dword v4, off, s[48:51], 0 offset:4 ; 4-byte Folded Spill
	buffer_store_dword v5, off, s[48:51], 0 offset:8 ; 4-byte Folded Spill
	buffer_store_dword v6, off, s[48:51], 0 offset:12 ; 4-byte Folded Spill
	buffer_store_dword v7, off, s[48:51], 0 offset:16 ; 4-byte Folded Spill
	ds_read_b128 v[4:7], v21
	s_waitcnt lgkmcnt(0)
	v_lshrrev_b32_e32 v8, 16, v4
	v_and_b32_e32 v4, 0xffff, v4
	;;#ASMSTART
	v_cvt_f32_f16 v11, v4;
	;;#ASMEND
	v_lshrrev_b32_e32 v4, 16, v0
	v_and_b32_e32 v0, 0xffff, v0
	;;#ASMSTART
	v_cvt_f32_f16 v12, v8;
	;;#ASMEND
	;;#ASMSTART
	v_cvt_f32_f16 v10, v0;
	;;#ASMEND
	v_lshrrev_b32_e32 v0, 16, v5
	;;#ASMSTART
	v_cvt_f32_f16 v125, v4;
	;;#ASMEND
	v_and_b32_e32 v4, 0xffff, v5
	;;#ASMSTART
	v_cvt_f32_f16 v14, v4;
	;;#ASMEND
	;;#ASMSTART
	v_cvt_f32_f16 v15, v0;
	;;#ASMEND
	v_lshrrev_b32_e32 v0, 16, v1
	v_and_b32_e32 v1, 0xffff, v1
	;;#ASMSTART
	v_cvt_f32_f16 v16, v1;
	;;#ASMEND
	;;#ASMSTART
	v_cvt_f32_f16 v13, v0;
	;;#ASMEND
	v_lshrrev_b32_e32 v0, 16, v6
	;; [unrolled: 8-line block ×5, first 2 shown]
	v_and_b32_e32 v1, 0xffff, v3
	;;#ASMSTART
	v_cvt_f32_f16 v22, v1;
	;;#ASMEND
	;;#ASMSTART
	v_cvt_f32_f16 v23, v0;
	;;#ASMEND
	ds_read_b128 v[6:9], v21 offset:16
	v_lshrrev_b32_e32 v3, 16, v121
	v_and_b32_e32 v2, 0xffff, v121
	s_waitcnt lgkmcnt(0)
	v_and_b32_e32 v0, 0xffff, v6
	v_lshrrev_b32_e32 v1, 16, v6
	;;#ASMSTART
	v_cvt_f32_f16 v0, v0;
	;;#ASMEND
	;;#ASMSTART
	v_cvt_f32_f16 v1, v1;
	;;#ASMEND
	;;#ASMSTART
	v_cvt_f32_f16 v2, v2;
	;;#ASMEND
	;;#ASMSTART
	v_cvt_f32_f16 v3, v3;
	;;#ASMEND
	v_mul_f32_e32 v0, v0, v2
	v_mul_f32_e32 v1, v1, v3
	v_lshrrev_b32_e32 v3, 16, v7
	v_and_b32_e32 v2, 0xffff, v7
	;;#ASMSTART
	v_cvt_f32_f16 v2, v2;
	;;#ASMEND
	;;#ASMSTART
	v_cvt_f32_f16 v6, v3;
	;;#ASMEND
	v_lshrrev_b32_e32 v7, 16, v122
	v_and_b32_e32 v3, 0xffff, v122
	;;#ASMSTART
	v_cvt_f32_f16 v3, v3;
	;;#ASMEND
	;;#ASMSTART
	v_cvt_f32_f16 v7, v7;
	;;#ASMEND
	v_mul_f32_e32 v3, v2, v3
	v_mul_f32_e32 v2, v6, v7
	v_lshrrev_b32_e32 v7, 16, v8
	v_and_b32_e32 v6, 0xffff, v8
	v_and_b32_e32 v8, 0xffff, v123
	v_fmac_f32_e32 v0, v11, v10
	;;#ASMSTART
	v_cvt_f32_f16 v6, v6;
	;;#ASMEND
	;;#ASMSTART
	v_cvt_f32_f16 v7, v7;
	;;#ASMEND
	v_lshrrev_b32_e32 v10, 16, v123
	;;#ASMSTART
	v_cvt_f32_f16 v8, v8;
	;;#ASMEND
	;;#ASMSTART
	v_cvt_f32_f16 v10, v10;
	;;#ASMEND
	v_mul_f32_e32 v122, v6, v8
	v_mul_f32_e32 v121, v7, v10
	v_lshrrev_b32_e32 v7, 16, v9
	v_and_b32_e32 v6, 0xffff, v9
	v_lshrrev_b32_e32 v9, 16, v124
	v_and_b32_e32 v8, 0xffff, v124
	;;#ASMSTART
	v_cvt_f32_f16 v6, v6;
	;;#ASMEND
	;;#ASMSTART
	v_cvt_f32_f16 v7, v7;
	;;#ASMEND
	;; [unrolled: 3-line block ×4, first 2 shown]
	v_mul_f32_e32 v124, v6, v8
	v_mul_f32_e32 v123, v7, v9
	v_fmac_f32_e32 v1, v12, v125
	v_fmac_f32_e32 v3, v14, v16
	;; [unrolled: 1-line block ×5, first 2 shown]
	ds_read_b128 v[4:7], v21 offset:32
	v_fmac_f32_e32 v122, v18, v20
	v_fmac_f32_e32 v121, v19, v17
	v_lshrrev_b32_e32 v10, 16, v117
	v_and_b32_e32 v9, 0xffff, v117
	s_waitcnt lgkmcnt(0)
	v_lshrrev_b32_e32 v8, 16, v4
	v_and_b32_e32 v4, 0xffff, v4
	;;#ASMSTART
	v_cvt_f32_f16 v4, v4;
	;;#ASMEND
	;;#ASMSTART
	v_cvt_f32_f16 v8, v8;
	;;#ASMEND
	;; [unrolled: 3-line block ×4, first 2 shown]
	v_fmac_f32_e32 v0, v4, v9
	v_fmac_f32_e32 v1, v8, v10
	v_lshrrev_b32_e32 v8, 16, v5
	v_and_b32_e32 v4, 0xffff, v5
	;;#ASMSTART
	v_cvt_f32_f16 v4, v4;
	;;#ASMEND
	;;#ASMSTART
	v_cvt_f32_f16 v5, v8;
	;;#ASMEND
	v_lshrrev_b32_e32 v9, 16, v118
	v_and_b32_e32 v8, 0xffff, v118
	;;#ASMSTART
	v_cvt_f32_f16 v8, v8;
	;;#ASMEND
	;;#ASMSTART
	v_cvt_f32_f16 v9, v9;
	;;#ASMEND
	v_fmac_f32_e32 v3, v4, v8
	v_fmac_f32_e32 v2, v5, v9
	v_lshrrev_b32_e32 v5, 16, v6
	v_and_b32_e32 v4, 0xffff, v6
	v_and_b32_e32 v6, 0xffff, v119
	;;#ASMSTART
	v_cvt_f32_f16 v4, v4;
	;;#ASMEND
	;;#ASMSTART
	v_cvt_f32_f16 v5, v5;
	;;#ASMEND
	v_lshrrev_b32_e32 v8, 16, v119
	;;#ASMSTART
	v_cvt_f32_f16 v6, v6;
	;;#ASMEND
	;;#ASMSTART
	v_cvt_f32_f16 v8, v8;
	;;#ASMEND
	v_fmac_f32_e32 v122, v4, v6
	v_fmac_f32_e32 v121, v5, v8
	v_lshrrev_b32_e32 v5, 16, v7
	v_and_b32_e32 v4, 0xffff, v7
	v_lshrrev_b32_e32 v7, 16, v120
	v_and_b32_e32 v6, 0xffff, v120
	;;#ASMSTART
	v_cvt_f32_f16 v4, v4;
	;;#ASMEND
	;;#ASMSTART
	v_cvt_f32_f16 v5, v5;
	;;#ASMEND
	;;#ASMSTART
	v_cvt_f32_f16 v6, v6;
	;;#ASMEND
	;;#ASMSTART
	v_cvt_f32_f16 v7, v7;
	;;#ASMEND
	v_fmac_f32_e32 v124, v4, v6
	v_fmac_f32_e32 v123, v5, v7
	ds_read_b128 v[4:7], v21 offset:48
	v_lshrrev_b32_e32 v10, 16, v113
	v_and_b32_e32 v9, 0xffff, v113
	s_waitcnt lgkmcnt(0)
	v_lshrrev_b32_e32 v8, 16, v4
	v_and_b32_e32 v4, 0xffff, v4
	;;#ASMSTART
	v_cvt_f32_f16 v4, v4;
	;;#ASMEND
	;;#ASMSTART
	v_cvt_f32_f16 v8, v8;
	;;#ASMEND
	;; [unrolled: 3-line block ×4, first 2 shown]
	v_fmac_f32_e32 v0, v4, v9
	v_fmac_f32_e32 v1, v8, v10
	v_lshrrev_b32_e32 v8, 16, v5
	v_and_b32_e32 v4, 0xffff, v5
	;;#ASMSTART
	v_cvt_f32_f16 v4, v4;
	;;#ASMEND
	;;#ASMSTART
	v_cvt_f32_f16 v5, v8;
	;;#ASMEND
	v_lshrrev_b32_e32 v9, 16, v114
	v_and_b32_e32 v8, 0xffff, v114
	;;#ASMSTART
	v_cvt_f32_f16 v8, v8;
	;;#ASMEND
	;;#ASMSTART
	v_cvt_f32_f16 v9, v9;
	;;#ASMEND
	v_fmac_f32_e32 v3, v4, v8
	v_fmac_f32_e32 v2, v5, v9
	v_lshrrev_b32_e32 v5, 16, v6
	v_and_b32_e32 v4, 0xffff, v6
	v_and_b32_e32 v6, 0xffff, v115
	;;#ASMSTART
	v_cvt_f32_f16 v4, v4;
	;;#ASMEND
	;;#ASMSTART
	v_cvt_f32_f16 v5, v5;
	;;#ASMEND
	v_lshrrev_b32_e32 v8, 16, v115
	;;#ASMSTART
	v_cvt_f32_f16 v6, v6;
	;;#ASMEND
	;;#ASMSTART
	v_cvt_f32_f16 v8, v8;
	;;#ASMEND
	v_fmac_f32_e32 v122, v4, v6
	v_fmac_f32_e32 v121, v5, v8
	v_lshrrev_b32_e32 v5, 16, v7
	v_and_b32_e32 v4, 0xffff, v7
	v_lshrrev_b32_e32 v7, 16, v116
	v_and_b32_e32 v6, 0xffff, v116
	;;#ASMSTART
	v_cvt_f32_f16 v4, v4;
	;;#ASMEND
	;;#ASMSTART
	v_cvt_f32_f16 v5, v5;
	;;#ASMEND
	;;#ASMSTART
	v_cvt_f32_f16 v6, v6;
	;;#ASMEND
	;;#ASMSTART
	v_cvt_f32_f16 v7, v7;
	;;#ASMEND
	v_fmac_f32_e32 v124, v4, v6
	v_fmac_f32_e32 v123, v5, v7
	ds_read_b128 v[4:7], v21 offset:64
	v_lshrrev_b32_e32 v10, 16, v109
	v_and_b32_e32 v9, 0xffff, v109
	s_waitcnt lgkmcnt(0)
	v_lshrrev_b32_e32 v8, 16, v4
	v_and_b32_e32 v4, 0xffff, v4
	;;#ASMSTART
	v_cvt_f32_f16 v4, v4;
	;;#ASMEND
	;;#ASMSTART
	v_cvt_f32_f16 v8, v8;
	;;#ASMEND
	;; [unrolled: 3-line block ×4, first 2 shown]
	v_fmac_f32_e32 v0, v4, v9
	v_fmac_f32_e32 v1, v8, v10
	v_lshrrev_b32_e32 v8, 16, v5
	v_and_b32_e32 v4, 0xffff, v5
	;;#ASMSTART
	v_cvt_f32_f16 v4, v4;
	;;#ASMEND
	;;#ASMSTART
	v_cvt_f32_f16 v5, v8;
	;;#ASMEND
	v_lshrrev_b32_e32 v9, 16, v110
	v_and_b32_e32 v8, 0xffff, v110
	;;#ASMSTART
	v_cvt_f32_f16 v8, v8;
	;;#ASMEND
	;;#ASMSTART
	v_cvt_f32_f16 v9, v9;
	;;#ASMEND
	v_fmac_f32_e32 v3, v4, v8
	v_fmac_f32_e32 v2, v5, v9
	v_lshrrev_b32_e32 v5, 16, v6
	v_and_b32_e32 v4, 0xffff, v6
	v_and_b32_e32 v6, 0xffff, v111
	;;#ASMSTART
	v_cvt_f32_f16 v4, v4;
	;;#ASMEND
	;;#ASMSTART
	v_cvt_f32_f16 v5, v5;
	;;#ASMEND
	v_lshrrev_b32_e32 v8, 16, v111
	;;#ASMSTART
	v_cvt_f32_f16 v6, v6;
	;;#ASMEND
	;;#ASMSTART
	v_cvt_f32_f16 v8, v8;
	;;#ASMEND
	v_fmac_f32_e32 v122, v4, v6
	v_fmac_f32_e32 v121, v5, v8
	v_lshrrev_b32_e32 v5, 16, v7
	v_and_b32_e32 v4, 0xffff, v7
	v_lshrrev_b32_e32 v7, 16, v112
	v_and_b32_e32 v6, 0xffff, v112
	;;#ASMSTART
	v_cvt_f32_f16 v4, v4;
	;;#ASMEND
	;;#ASMSTART
	v_cvt_f32_f16 v5, v5;
	;;#ASMEND
	;; [unrolled: 3-line block ×4, first 2 shown]
	v_fmac_f32_e32 v124, v4, v6
	v_fmac_f32_e32 v123, v5, v7
	ds_read_b128 v[4:7], v21 offset:80
	v_lshrrev_b32_e32 v10, 16, v105
	v_and_b32_e32 v9, 0xffff, v105
	s_waitcnt lgkmcnt(0)
	v_lshrrev_b32_e32 v8, 16, v4
	v_and_b32_e32 v4, 0xffff, v4
	;;#ASMSTART
	v_cvt_f32_f16 v4, v4;
	;;#ASMEND
	;;#ASMSTART
	v_cvt_f32_f16 v8, v8;
	;;#ASMEND
	;; [unrolled: 3-line block ×4, first 2 shown]
	v_fmac_f32_e32 v0, v4, v9
	v_fmac_f32_e32 v1, v8, v10
	v_lshrrev_b32_e32 v8, 16, v5
	v_and_b32_e32 v4, 0xffff, v5
	;;#ASMSTART
	v_cvt_f32_f16 v4, v4;
	;;#ASMEND
	;;#ASMSTART
	v_cvt_f32_f16 v5, v8;
	;;#ASMEND
	v_lshrrev_b32_e32 v9, 16, v106
	v_and_b32_e32 v8, 0xffff, v106
	;;#ASMSTART
	v_cvt_f32_f16 v8, v8;
	;;#ASMEND
	;;#ASMSTART
	v_cvt_f32_f16 v9, v9;
	;;#ASMEND
	v_fmac_f32_e32 v3, v4, v8
	v_fmac_f32_e32 v2, v5, v9
	v_lshrrev_b32_e32 v5, 16, v6
	v_and_b32_e32 v4, 0xffff, v6
	v_and_b32_e32 v6, 0xffff, v107
	;;#ASMSTART
	v_cvt_f32_f16 v4, v4;
	;;#ASMEND
	;;#ASMSTART
	v_cvt_f32_f16 v5, v5;
	;;#ASMEND
	v_lshrrev_b32_e32 v8, 16, v107
	;;#ASMSTART
	v_cvt_f32_f16 v6, v6;
	;;#ASMEND
	;;#ASMSTART
	v_cvt_f32_f16 v8, v8;
	;;#ASMEND
	v_fmac_f32_e32 v122, v4, v6
	v_fmac_f32_e32 v121, v5, v8
	v_lshrrev_b32_e32 v5, 16, v7
	v_and_b32_e32 v4, 0xffff, v7
	v_lshrrev_b32_e32 v7, 16, v108
	v_and_b32_e32 v6, 0xffff, v108
	;;#ASMSTART
	v_cvt_f32_f16 v4, v4;
	;;#ASMEND
	;;#ASMSTART
	v_cvt_f32_f16 v5, v5;
	;;#ASMEND
	;; [unrolled: 3-line block ×4, first 2 shown]
	v_fmac_f32_e32 v124, v4, v6
	v_fmac_f32_e32 v123, v5, v7
	ds_read_b128 v[4:7], v21 offset:96
	v_lshrrev_b32_e32 v10, 16, v101
	v_and_b32_e32 v9, 0xffff, v101
	s_waitcnt lgkmcnt(0)
	v_lshrrev_b32_e32 v8, 16, v4
	v_and_b32_e32 v4, 0xffff, v4
	;;#ASMSTART
	v_cvt_f32_f16 v4, v4;
	;;#ASMEND
	;;#ASMSTART
	v_cvt_f32_f16 v8, v8;
	;;#ASMEND
	;;#ASMSTART
	v_cvt_f32_f16 v9, v9;
	;;#ASMEND
	;;#ASMSTART
	v_cvt_f32_f16 v10, v10;
	;;#ASMEND
	v_fmac_f32_e32 v0, v4, v9
	v_fmac_f32_e32 v1, v8, v10
	v_lshrrev_b32_e32 v8, 16, v5
	v_and_b32_e32 v4, 0xffff, v5
	;;#ASMSTART
	v_cvt_f32_f16 v4, v4;
	;;#ASMEND
	;;#ASMSTART
	v_cvt_f32_f16 v5, v8;
	;;#ASMEND
	v_lshrrev_b32_e32 v9, 16, v102
	v_and_b32_e32 v8, 0xffff, v102
	;;#ASMSTART
	v_cvt_f32_f16 v8, v8;
	;;#ASMEND
	;;#ASMSTART
	v_cvt_f32_f16 v9, v9;
	;;#ASMEND
	v_fmac_f32_e32 v3, v4, v8
	v_fmac_f32_e32 v2, v5, v9
	v_lshrrev_b32_e32 v5, 16, v6
	v_and_b32_e32 v4, 0xffff, v6
	v_and_b32_e32 v6, 0xffff, v103
	;;#ASMSTART
	v_cvt_f32_f16 v4, v4;
	;;#ASMEND
	;;#ASMSTART
	v_cvt_f32_f16 v5, v5;
	;;#ASMEND
	v_lshrrev_b32_e32 v8, 16, v103
	;;#ASMSTART
	v_cvt_f32_f16 v6, v6;
	;;#ASMEND
	;;#ASMSTART
	v_cvt_f32_f16 v8, v8;
	;;#ASMEND
	v_fmac_f32_e32 v122, v4, v6
	v_fmac_f32_e32 v121, v5, v8
	v_lshrrev_b32_e32 v5, 16, v7
	v_and_b32_e32 v4, 0xffff, v7
	v_lshrrev_b32_e32 v7, 16, v104
	v_and_b32_e32 v6, 0xffff, v104
	;;#ASMSTART
	v_cvt_f32_f16 v4, v4;
	;;#ASMEND
	;;#ASMSTART
	v_cvt_f32_f16 v5, v5;
	;;#ASMEND
	;;#ASMSTART
	v_cvt_f32_f16 v6, v6;
	;;#ASMEND
	;;#ASMSTART
	v_cvt_f32_f16 v7, v7;
	;;#ASMEND
	v_fmac_f32_e32 v124, v4, v6
	v_fmac_f32_e32 v123, v5, v7
	ds_read_b128 v[4:7], v21 offset:112
	v_lshrrev_b32_e32 v10, 16, v97
	v_and_b32_e32 v9, 0xffff, v97
	s_waitcnt lgkmcnt(0)
	v_lshrrev_b32_e32 v8, 16, v4
	v_and_b32_e32 v4, 0xffff, v4
	;;#ASMSTART
	v_cvt_f32_f16 v4, v4;
	;;#ASMEND
	;;#ASMSTART
	v_cvt_f32_f16 v8, v8;
	;;#ASMEND
	;; [unrolled: 3-line block ×4, first 2 shown]
	v_fmac_f32_e32 v0, v4, v9
	v_fmac_f32_e32 v1, v8, v10
	v_lshrrev_b32_e32 v8, 16, v5
	v_and_b32_e32 v4, 0xffff, v5
	;;#ASMSTART
	v_cvt_f32_f16 v4, v4;
	;;#ASMEND
	;;#ASMSTART
	v_cvt_f32_f16 v5, v8;
	;;#ASMEND
	v_lshrrev_b32_e32 v9, 16, v98
	v_and_b32_e32 v8, 0xffff, v98
	;;#ASMSTART
	v_cvt_f32_f16 v8, v8;
	;;#ASMEND
	;;#ASMSTART
	v_cvt_f32_f16 v9, v9;
	;;#ASMEND
	v_fmac_f32_e32 v3, v4, v8
	v_fmac_f32_e32 v2, v5, v9
	v_lshrrev_b32_e32 v5, 16, v6
	v_and_b32_e32 v4, 0xffff, v6
	v_and_b32_e32 v6, 0xffff, v99
	;;#ASMSTART
	v_cvt_f32_f16 v4, v4;
	;;#ASMEND
	;;#ASMSTART
	v_cvt_f32_f16 v5, v5;
	;;#ASMEND
	v_lshrrev_b32_e32 v8, 16, v99
	;;#ASMSTART
	v_cvt_f32_f16 v6, v6;
	;;#ASMEND
	;;#ASMSTART
	v_cvt_f32_f16 v8, v8;
	;;#ASMEND
	v_fmac_f32_e32 v122, v4, v6
	v_fmac_f32_e32 v121, v5, v8
	v_lshrrev_b32_e32 v5, 16, v7
	v_and_b32_e32 v4, 0xffff, v7
	v_lshrrev_b32_e32 v7, 16, v100
	v_and_b32_e32 v6, 0xffff, v100
	;;#ASMSTART
	v_cvt_f32_f16 v4, v4;
	;;#ASMEND
	;;#ASMSTART
	v_cvt_f32_f16 v5, v5;
	;;#ASMEND
	;; [unrolled: 3-line block ×4, first 2 shown]
	v_fmac_f32_e32 v124, v4, v6
	v_fmac_f32_e32 v123, v5, v7
	ds_read_b128 v[4:7], v21 offset:128
	v_lshrrev_b32_e32 v10, 16, v93
	v_and_b32_e32 v9, 0xffff, v93
	s_waitcnt lgkmcnt(0)
	v_lshrrev_b32_e32 v8, 16, v4
	v_and_b32_e32 v4, 0xffff, v4
	;;#ASMSTART
	v_cvt_f32_f16 v4, v4;
	;;#ASMEND
	;;#ASMSTART
	v_cvt_f32_f16 v8, v8;
	;;#ASMEND
	;; [unrolled: 3-line block ×4, first 2 shown]
	v_fmac_f32_e32 v0, v4, v9
	v_fmac_f32_e32 v1, v8, v10
	v_lshrrev_b32_e32 v8, 16, v5
	v_and_b32_e32 v4, 0xffff, v5
	;;#ASMSTART
	v_cvt_f32_f16 v4, v4;
	;;#ASMEND
	;;#ASMSTART
	v_cvt_f32_f16 v5, v8;
	;;#ASMEND
	v_lshrrev_b32_e32 v9, 16, v94
	v_and_b32_e32 v8, 0xffff, v94
	;;#ASMSTART
	v_cvt_f32_f16 v8, v8;
	;;#ASMEND
	;;#ASMSTART
	v_cvt_f32_f16 v9, v9;
	;;#ASMEND
	v_fmac_f32_e32 v3, v4, v8
	v_fmac_f32_e32 v2, v5, v9
	v_lshrrev_b32_e32 v5, 16, v6
	v_and_b32_e32 v4, 0xffff, v6
	v_and_b32_e32 v6, 0xffff, v95
	;;#ASMSTART
	v_cvt_f32_f16 v4, v4;
	;;#ASMEND
	;;#ASMSTART
	v_cvt_f32_f16 v5, v5;
	;;#ASMEND
	v_lshrrev_b32_e32 v8, 16, v95
	;;#ASMSTART
	v_cvt_f32_f16 v6, v6;
	;;#ASMEND
	;;#ASMSTART
	v_cvt_f32_f16 v8, v8;
	;;#ASMEND
	v_fmac_f32_e32 v122, v4, v6
	v_fmac_f32_e32 v121, v5, v8
	v_lshrrev_b32_e32 v5, 16, v7
	v_and_b32_e32 v4, 0xffff, v7
	v_lshrrev_b32_e32 v7, 16, v96
	v_and_b32_e32 v6, 0xffff, v96
	;;#ASMSTART
	v_cvt_f32_f16 v4, v4;
	;;#ASMEND
	;;#ASMSTART
	v_cvt_f32_f16 v5, v5;
	;;#ASMEND
	;; [unrolled: 3-line block ×4, first 2 shown]
	v_fmac_f32_e32 v124, v4, v6
	v_fmac_f32_e32 v123, v5, v7
	ds_read_b128 v[4:7], v21 offset:144
	v_lshrrev_b32_e32 v10, 16, v89
	v_and_b32_e32 v9, 0xffff, v89
	s_waitcnt lgkmcnt(0)
	v_lshrrev_b32_e32 v8, 16, v4
	v_and_b32_e32 v4, 0xffff, v4
	;;#ASMSTART
	v_cvt_f32_f16 v4, v4;
	;;#ASMEND
	;;#ASMSTART
	v_cvt_f32_f16 v8, v8;
	;;#ASMEND
	;; [unrolled: 3-line block ×4, first 2 shown]
	v_fmac_f32_e32 v0, v4, v9
	v_fmac_f32_e32 v1, v8, v10
	v_lshrrev_b32_e32 v8, 16, v5
	v_and_b32_e32 v4, 0xffff, v5
	;;#ASMSTART
	v_cvt_f32_f16 v4, v4;
	;;#ASMEND
	;;#ASMSTART
	v_cvt_f32_f16 v5, v8;
	;;#ASMEND
	v_lshrrev_b32_e32 v9, 16, v90
	v_and_b32_e32 v8, 0xffff, v90
	;;#ASMSTART
	v_cvt_f32_f16 v8, v8;
	;;#ASMEND
	;;#ASMSTART
	v_cvt_f32_f16 v9, v9;
	;;#ASMEND
	v_fmac_f32_e32 v3, v4, v8
	v_fmac_f32_e32 v2, v5, v9
	v_lshrrev_b32_e32 v5, 16, v6
	v_and_b32_e32 v4, 0xffff, v6
	v_and_b32_e32 v6, 0xffff, v91
	;;#ASMSTART
	v_cvt_f32_f16 v4, v4;
	;;#ASMEND
	;;#ASMSTART
	v_cvt_f32_f16 v5, v5;
	;;#ASMEND
	v_lshrrev_b32_e32 v8, 16, v91
	;;#ASMSTART
	v_cvt_f32_f16 v6, v6;
	;;#ASMEND
	;;#ASMSTART
	v_cvt_f32_f16 v8, v8;
	;;#ASMEND
	v_fmac_f32_e32 v122, v4, v6
	v_fmac_f32_e32 v121, v5, v8
	v_lshrrev_b32_e32 v5, 16, v7
	v_and_b32_e32 v4, 0xffff, v7
	v_lshrrev_b32_e32 v7, 16, v92
	v_and_b32_e32 v6, 0xffff, v92
	;;#ASMSTART
	v_cvt_f32_f16 v4, v4;
	;;#ASMEND
	;;#ASMSTART
	v_cvt_f32_f16 v5, v5;
	;;#ASMEND
	;; [unrolled: 3-line block ×4, first 2 shown]
	v_fmac_f32_e32 v124, v4, v6
	v_fmac_f32_e32 v123, v5, v7
	ds_read_b128 v[4:7], v21 offset:160
	v_lshrrev_b32_e32 v10, 16, v85
	v_and_b32_e32 v9, 0xffff, v85
	s_waitcnt lgkmcnt(0)
	v_lshrrev_b32_e32 v8, 16, v4
	v_and_b32_e32 v4, 0xffff, v4
	;;#ASMSTART
	v_cvt_f32_f16 v4, v4;
	;;#ASMEND
	;;#ASMSTART
	v_cvt_f32_f16 v8, v8;
	;;#ASMEND
	;;#ASMSTART
	v_cvt_f32_f16 v9, v9;
	;;#ASMEND
	;;#ASMSTART
	v_cvt_f32_f16 v10, v10;
	;;#ASMEND
	v_fmac_f32_e32 v0, v4, v9
	v_fmac_f32_e32 v1, v8, v10
	v_lshrrev_b32_e32 v8, 16, v5
	v_and_b32_e32 v4, 0xffff, v5
	;;#ASMSTART
	v_cvt_f32_f16 v4, v4;
	;;#ASMEND
	;;#ASMSTART
	v_cvt_f32_f16 v5, v8;
	;;#ASMEND
	v_lshrrev_b32_e32 v9, 16, v86
	v_and_b32_e32 v8, 0xffff, v86
	;;#ASMSTART
	v_cvt_f32_f16 v8, v8;
	;;#ASMEND
	;;#ASMSTART
	v_cvt_f32_f16 v9, v9;
	;;#ASMEND
	v_fmac_f32_e32 v3, v4, v8
	v_fmac_f32_e32 v2, v5, v9
	v_lshrrev_b32_e32 v5, 16, v6
	v_and_b32_e32 v4, 0xffff, v6
	v_and_b32_e32 v6, 0xffff, v87
	;;#ASMSTART
	v_cvt_f32_f16 v4, v4;
	;;#ASMEND
	;;#ASMSTART
	v_cvt_f32_f16 v5, v5;
	;;#ASMEND
	v_lshrrev_b32_e32 v8, 16, v87
	;;#ASMSTART
	v_cvt_f32_f16 v6, v6;
	;;#ASMEND
	;;#ASMSTART
	v_cvt_f32_f16 v8, v8;
	;;#ASMEND
	v_fmac_f32_e32 v122, v4, v6
	v_fmac_f32_e32 v121, v5, v8
	v_lshrrev_b32_e32 v5, 16, v7
	v_and_b32_e32 v4, 0xffff, v7
	v_lshrrev_b32_e32 v7, 16, v88
	v_and_b32_e32 v6, 0xffff, v88
	;;#ASMSTART
	v_cvt_f32_f16 v4, v4;
	;;#ASMEND
	;;#ASMSTART
	v_cvt_f32_f16 v5, v5;
	;;#ASMEND
	;; [unrolled: 3-line block ×4, first 2 shown]
	v_fmac_f32_e32 v124, v4, v6
	v_fmac_f32_e32 v123, v5, v7
	ds_read_b128 v[4:7], v21 offset:176
	v_lshrrev_b32_e32 v10, 16, v81
	v_and_b32_e32 v9, 0xffff, v81
	s_waitcnt lgkmcnt(0)
	v_lshrrev_b32_e32 v8, 16, v4
	v_and_b32_e32 v4, 0xffff, v4
	;;#ASMSTART
	v_cvt_f32_f16 v4, v4;
	;;#ASMEND
	;;#ASMSTART
	v_cvt_f32_f16 v8, v8;
	;;#ASMEND
	;; [unrolled: 3-line block ×4, first 2 shown]
	v_fmac_f32_e32 v0, v4, v9
	v_fmac_f32_e32 v1, v8, v10
	v_lshrrev_b32_e32 v8, 16, v5
	v_and_b32_e32 v4, 0xffff, v5
	;;#ASMSTART
	v_cvt_f32_f16 v4, v4;
	;;#ASMEND
	;;#ASMSTART
	v_cvt_f32_f16 v5, v8;
	;;#ASMEND
	v_lshrrev_b32_e32 v9, 16, v82
	v_and_b32_e32 v8, 0xffff, v82
	;;#ASMSTART
	v_cvt_f32_f16 v8, v8;
	;;#ASMEND
	;;#ASMSTART
	v_cvt_f32_f16 v9, v9;
	;;#ASMEND
	v_fmac_f32_e32 v3, v4, v8
	v_fmac_f32_e32 v2, v5, v9
	v_lshrrev_b32_e32 v5, 16, v6
	v_and_b32_e32 v4, 0xffff, v6
	v_and_b32_e32 v6, 0xffff, v83
	;;#ASMSTART
	v_cvt_f32_f16 v4, v4;
	;;#ASMEND
	;;#ASMSTART
	v_cvt_f32_f16 v5, v5;
	;;#ASMEND
	v_lshrrev_b32_e32 v8, 16, v83
	;;#ASMSTART
	v_cvt_f32_f16 v6, v6;
	;;#ASMEND
	;;#ASMSTART
	v_cvt_f32_f16 v8, v8;
	;;#ASMEND
	v_fmac_f32_e32 v122, v4, v6
	v_fmac_f32_e32 v121, v5, v8
	v_lshrrev_b32_e32 v5, 16, v7
	v_and_b32_e32 v4, 0xffff, v7
	v_lshrrev_b32_e32 v7, 16, v84
	v_and_b32_e32 v6, 0xffff, v84
	;;#ASMSTART
	v_cvt_f32_f16 v4, v4;
	;;#ASMEND
	;;#ASMSTART
	v_cvt_f32_f16 v5, v5;
	;;#ASMEND
	;; [unrolled: 3-line block ×4, first 2 shown]
	v_fmac_f32_e32 v124, v4, v6
	v_fmac_f32_e32 v123, v5, v7
	ds_read_b128 v[4:7], v21 offset:192
	v_lshrrev_b32_e32 v10, 16, v77
	v_and_b32_e32 v9, 0xffff, v77
	s_waitcnt lgkmcnt(0)
	v_lshrrev_b32_e32 v8, 16, v4
	v_and_b32_e32 v4, 0xffff, v4
	;;#ASMSTART
	v_cvt_f32_f16 v4, v4;
	;;#ASMEND
	;;#ASMSTART
	v_cvt_f32_f16 v8, v8;
	;;#ASMEND
	;;#ASMSTART
	v_cvt_f32_f16 v9, v9;
	;;#ASMEND
	;;#ASMSTART
	v_cvt_f32_f16 v10, v10;
	;;#ASMEND
	v_fmac_f32_e32 v0, v4, v9
	v_fmac_f32_e32 v1, v8, v10
	v_lshrrev_b32_e32 v8, 16, v5
	v_and_b32_e32 v4, 0xffff, v5
	;;#ASMSTART
	v_cvt_f32_f16 v4, v4;
	;;#ASMEND
	;;#ASMSTART
	v_cvt_f32_f16 v5, v8;
	;;#ASMEND
	v_lshrrev_b32_e32 v9, 16, v78
	v_and_b32_e32 v8, 0xffff, v78
	;;#ASMSTART
	v_cvt_f32_f16 v8, v8;
	;;#ASMEND
	;;#ASMSTART
	v_cvt_f32_f16 v9, v9;
	;;#ASMEND
	v_fmac_f32_e32 v3, v4, v8
	v_fmac_f32_e32 v2, v5, v9
	v_lshrrev_b32_e32 v5, 16, v6
	v_and_b32_e32 v4, 0xffff, v6
	v_and_b32_e32 v6, 0xffff, v79
	;;#ASMSTART
	v_cvt_f32_f16 v4, v4;
	;;#ASMEND
	;;#ASMSTART
	v_cvt_f32_f16 v5, v5;
	;;#ASMEND
	v_lshrrev_b32_e32 v8, 16, v79
	;;#ASMSTART
	v_cvt_f32_f16 v6, v6;
	;;#ASMEND
	;;#ASMSTART
	v_cvt_f32_f16 v8, v8;
	;;#ASMEND
	v_fmac_f32_e32 v122, v4, v6
	v_fmac_f32_e32 v121, v5, v8
	v_lshrrev_b32_e32 v5, 16, v7
	v_and_b32_e32 v4, 0xffff, v7
	v_lshrrev_b32_e32 v7, 16, v80
	v_and_b32_e32 v6, 0xffff, v80
	;;#ASMSTART
	v_cvt_f32_f16 v4, v4;
	;;#ASMEND
	;;#ASMSTART
	v_cvt_f32_f16 v5, v5;
	;;#ASMEND
	;; [unrolled: 3-line block ×4, first 2 shown]
	v_fmac_f32_e32 v124, v4, v6
	v_fmac_f32_e32 v123, v5, v7
	ds_read_b128 v[4:7], v21 offset:208
	v_lshrrev_b32_e32 v10, 16, v73
	v_and_b32_e32 v9, 0xffff, v73
	s_waitcnt lgkmcnt(0)
	v_lshrrev_b32_e32 v8, 16, v4
	v_and_b32_e32 v4, 0xffff, v4
	;;#ASMSTART
	v_cvt_f32_f16 v4, v4;
	;;#ASMEND
	;;#ASMSTART
	v_cvt_f32_f16 v8, v8;
	;;#ASMEND
	;; [unrolled: 3-line block ×4, first 2 shown]
	v_fmac_f32_e32 v0, v4, v9
	v_fmac_f32_e32 v1, v8, v10
	v_lshrrev_b32_e32 v8, 16, v5
	v_and_b32_e32 v4, 0xffff, v5
	;;#ASMSTART
	v_cvt_f32_f16 v4, v4;
	;;#ASMEND
	;;#ASMSTART
	v_cvt_f32_f16 v5, v8;
	;;#ASMEND
	v_lshrrev_b32_e32 v9, 16, v74
	v_and_b32_e32 v8, 0xffff, v74
	;;#ASMSTART
	v_cvt_f32_f16 v8, v8;
	;;#ASMEND
	;;#ASMSTART
	v_cvt_f32_f16 v9, v9;
	;;#ASMEND
	v_fmac_f32_e32 v3, v4, v8
	v_fmac_f32_e32 v2, v5, v9
	v_lshrrev_b32_e32 v5, 16, v6
	v_and_b32_e32 v4, 0xffff, v6
	v_and_b32_e32 v6, 0xffff, v75
	;;#ASMSTART
	v_cvt_f32_f16 v4, v4;
	;;#ASMEND
	;;#ASMSTART
	v_cvt_f32_f16 v5, v5;
	;;#ASMEND
	v_lshrrev_b32_e32 v8, 16, v75
	;;#ASMSTART
	v_cvt_f32_f16 v6, v6;
	;;#ASMEND
	;;#ASMSTART
	v_cvt_f32_f16 v8, v8;
	;;#ASMEND
	v_fmac_f32_e32 v122, v4, v6
	v_fmac_f32_e32 v121, v5, v8
	v_lshrrev_b32_e32 v5, 16, v7
	v_and_b32_e32 v4, 0xffff, v7
	v_lshrrev_b32_e32 v7, 16, v76
	v_and_b32_e32 v6, 0xffff, v76
	;;#ASMSTART
	v_cvt_f32_f16 v4, v4;
	;;#ASMEND
	;;#ASMSTART
	v_cvt_f32_f16 v5, v5;
	;;#ASMEND
	;; [unrolled: 3-line block ×4, first 2 shown]
	v_fmac_f32_e32 v124, v4, v6
	v_fmac_f32_e32 v123, v5, v7
	ds_read_b128 v[4:7], v21 offset:224
	v_lshrrev_b32_e32 v10, 16, v69
	v_and_b32_e32 v9, 0xffff, v69
	s_waitcnt lgkmcnt(0)
	v_lshrrev_b32_e32 v8, 16, v4
	v_and_b32_e32 v4, 0xffff, v4
	;;#ASMSTART
	v_cvt_f32_f16 v4, v4;
	;;#ASMEND
	;;#ASMSTART
	v_cvt_f32_f16 v8, v8;
	;;#ASMEND
	;;#ASMSTART
	v_cvt_f32_f16 v9, v9;
	;;#ASMEND
	;;#ASMSTART
	v_cvt_f32_f16 v10, v10;
	;;#ASMEND
	v_fmac_f32_e32 v0, v4, v9
	v_fmac_f32_e32 v1, v8, v10
	v_lshrrev_b32_e32 v8, 16, v5
	v_and_b32_e32 v4, 0xffff, v5
	;;#ASMSTART
	v_cvt_f32_f16 v4, v4;
	;;#ASMEND
	;;#ASMSTART
	v_cvt_f32_f16 v5, v8;
	;;#ASMEND
	v_lshrrev_b32_e32 v9, 16, v70
	v_and_b32_e32 v8, 0xffff, v70
	;;#ASMSTART
	v_cvt_f32_f16 v8, v8;
	;;#ASMEND
	;;#ASMSTART
	v_cvt_f32_f16 v9, v9;
	;;#ASMEND
	v_fmac_f32_e32 v3, v4, v8
	v_fmac_f32_e32 v2, v5, v9
	v_lshrrev_b32_e32 v5, 16, v6
	v_and_b32_e32 v4, 0xffff, v6
	v_and_b32_e32 v6, 0xffff, v71
	;;#ASMSTART
	v_cvt_f32_f16 v4, v4;
	;;#ASMEND
	;;#ASMSTART
	v_cvt_f32_f16 v5, v5;
	;;#ASMEND
	v_lshrrev_b32_e32 v8, 16, v71
	;;#ASMSTART
	v_cvt_f32_f16 v6, v6;
	;;#ASMEND
	;;#ASMSTART
	v_cvt_f32_f16 v8, v8;
	;;#ASMEND
	v_fmac_f32_e32 v122, v4, v6
	v_fmac_f32_e32 v121, v5, v8
	v_lshrrev_b32_e32 v5, 16, v7
	v_and_b32_e32 v4, 0xffff, v7
	v_lshrrev_b32_e32 v7, 16, v72
	v_and_b32_e32 v6, 0xffff, v72
	;;#ASMSTART
	v_cvt_f32_f16 v4, v4;
	;;#ASMEND
	;;#ASMSTART
	v_cvt_f32_f16 v5, v5;
	;;#ASMEND
	;; [unrolled: 3-line block ×4, first 2 shown]
	v_fmac_f32_e32 v124, v4, v6
	v_fmac_f32_e32 v123, v5, v7
	ds_read_b128 v[4:7], v21 offset:240
	v_lshrrev_b32_e32 v10, 16, v65
	v_and_b32_e32 v9, 0xffff, v65
	s_waitcnt lgkmcnt(0)
	v_lshrrev_b32_e32 v8, 16, v4
	v_and_b32_e32 v4, 0xffff, v4
	;;#ASMSTART
	v_cvt_f32_f16 v4, v4;
	;;#ASMEND
	;;#ASMSTART
	v_cvt_f32_f16 v8, v8;
	;;#ASMEND
	;; [unrolled: 3-line block ×4, first 2 shown]
	v_fmac_f32_e32 v0, v4, v9
	v_fmac_f32_e32 v1, v8, v10
	v_lshrrev_b32_e32 v8, 16, v5
	v_and_b32_e32 v4, 0xffff, v5
	;;#ASMSTART
	v_cvt_f32_f16 v4, v4;
	;;#ASMEND
	;;#ASMSTART
	v_cvt_f32_f16 v5, v8;
	;;#ASMEND
	v_lshrrev_b32_e32 v9, 16, v66
	v_and_b32_e32 v8, 0xffff, v66
	;;#ASMSTART
	v_cvt_f32_f16 v8, v8;
	;;#ASMEND
	;;#ASMSTART
	v_cvt_f32_f16 v9, v9;
	;;#ASMEND
	v_fmac_f32_e32 v3, v4, v8
	v_fmac_f32_e32 v2, v5, v9
	v_lshrrev_b32_e32 v5, 16, v6
	v_and_b32_e32 v4, 0xffff, v6
	v_and_b32_e32 v6, 0xffff, v67
	;;#ASMSTART
	v_cvt_f32_f16 v4, v4;
	;;#ASMEND
	;;#ASMSTART
	v_cvt_f32_f16 v5, v5;
	;;#ASMEND
	v_lshrrev_b32_e32 v8, 16, v67
	;;#ASMSTART
	v_cvt_f32_f16 v6, v6;
	;;#ASMEND
	;;#ASMSTART
	v_cvt_f32_f16 v8, v8;
	;;#ASMEND
	v_fmac_f32_e32 v122, v4, v6
	v_fmac_f32_e32 v121, v5, v8
	v_lshrrev_b32_e32 v5, 16, v7
	v_and_b32_e32 v4, 0xffff, v7
	v_lshrrev_b32_e32 v7, 16, v68
	v_and_b32_e32 v6, 0xffff, v68
	;;#ASMSTART
	v_cvt_f32_f16 v4, v4;
	;;#ASMEND
	;;#ASMSTART
	v_cvt_f32_f16 v5, v5;
	;;#ASMEND
	;;#ASMSTART
	v_cvt_f32_f16 v6, v6;
	;;#ASMEND
	;;#ASMSTART
	v_cvt_f32_f16 v7, v7;
	;;#ASMEND
	v_fmac_f32_e32 v124, v4, v6
	v_fmac_f32_e32 v123, v5, v7
	ds_read_b128 v[4:7], v21 offset:256
	v_lshrrev_b32_e32 v10, 16, v61
	v_and_b32_e32 v9, 0xffff, v61
	s_waitcnt lgkmcnt(0)
	v_lshrrev_b32_e32 v8, 16, v4
	v_and_b32_e32 v4, 0xffff, v4
	;;#ASMSTART
	v_cvt_f32_f16 v4, v4;
	;;#ASMEND
	;;#ASMSTART
	v_cvt_f32_f16 v8, v8;
	;;#ASMEND
	;; [unrolled: 3-line block ×4, first 2 shown]
	v_fmac_f32_e32 v0, v4, v9
	v_fmac_f32_e32 v1, v8, v10
	v_lshrrev_b32_e32 v8, 16, v5
	v_and_b32_e32 v4, 0xffff, v5
	;;#ASMSTART
	v_cvt_f32_f16 v4, v4;
	;;#ASMEND
	;;#ASMSTART
	v_cvt_f32_f16 v5, v8;
	;;#ASMEND
	v_lshrrev_b32_e32 v9, 16, v62
	v_and_b32_e32 v8, 0xffff, v62
	;;#ASMSTART
	v_cvt_f32_f16 v8, v8;
	;;#ASMEND
	;;#ASMSTART
	v_cvt_f32_f16 v9, v9;
	;;#ASMEND
	v_fmac_f32_e32 v3, v4, v8
	v_fmac_f32_e32 v2, v5, v9
	v_lshrrev_b32_e32 v5, 16, v6
	v_and_b32_e32 v4, 0xffff, v6
	v_and_b32_e32 v6, 0xffff, v63
	;;#ASMSTART
	v_cvt_f32_f16 v4, v4;
	;;#ASMEND
	;;#ASMSTART
	v_cvt_f32_f16 v5, v5;
	;;#ASMEND
	v_lshrrev_b32_e32 v8, 16, v63
	;;#ASMSTART
	v_cvt_f32_f16 v6, v6;
	;;#ASMEND
	;;#ASMSTART
	v_cvt_f32_f16 v8, v8;
	;;#ASMEND
	v_fmac_f32_e32 v122, v4, v6
	v_fmac_f32_e32 v121, v5, v8
	v_lshrrev_b32_e32 v5, 16, v7
	v_and_b32_e32 v4, 0xffff, v7
	v_lshrrev_b32_e32 v7, 16, v64
	v_and_b32_e32 v6, 0xffff, v64
	;;#ASMSTART
	v_cvt_f32_f16 v4, v4;
	;;#ASMEND
	;;#ASMSTART
	v_cvt_f32_f16 v5, v5;
	;;#ASMEND
	;;#ASMSTART
	v_cvt_f32_f16 v6, v6;
	;;#ASMEND
	;;#ASMSTART
	v_cvt_f32_f16 v7, v7;
	;;#ASMEND
	v_fmac_f32_e32 v124, v4, v6
	v_fmac_f32_e32 v123, v5, v7
	ds_read_b128 v[4:7], v21 offset:272
	v_lshrrev_b32_e32 v10, 16, v57
	v_and_b32_e32 v9, 0xffff, v57
	s_waitcnt lgkmcnt(0)
	v_lshrrev_b32_e32 v8, 16, v4
	v_and_b32_e32 v4, 0xffff, v4
	;;#ASMSTART
	v_cvt_f32_f16 v4, v4;
	;;#ASMEND
	;;#ASMSTART
	v_cvt_f32_f16 v8, v8;
	;;#ASMEND
	;; [unrolled: 3-line block ×4, first 2 shown]
	v_fmac_f32_e32 v0, v4, v9
	v_fmac_f32_e32 v1, v8, v10
	v_lshrrev_b32_e32 v8, 16, v5
	v_and_b32_e32 v4, 0xffff, v5
	;;#ASMSTART
	v_cvt_f32_f16 v4, v4;
	;;#ASMEND
	;;#ASMSTART
	v_cvt_f32_f16 v5, v8;
	;;#ASMEND
	v_lshrrev_b32_e32 v9, 16, v58
	v_and_b32_e32 v8, 0xffff, v58
	;;#ASMSTART
	v_cvt_f32_f16 v8, v8;
	;;#ASMEND
	;;#ASMSTART
	v_cvt_f32_f16 v9, v9;
	;;#ASMEND
	v_fmac_f32_e32 v3, v4, v8
	v_fmac_f32_e32 v2, v5, v9
	v_lshrrev_b32_e32 v5, 16, v6
	v_and_b32_e32 v4, 0xffff, v6
	v_and_b32_e32 v6, 0xffff, v59
	;;#ASMSTART
	v_cvt_f32_f16 v4, v4;
	;;#ASMEND
	;;#ASMSTART
	v_cvt_f32_f16 v5, v5;
	;;#ASMEND
	v_lshrrev_b32_e32 v8, 16, v59
	;;#ASMSTART
	v_cvt_f32_f16 v6, v6;
	;;#ASMEND
	;;#ASMSTART
	v_cvt_f32_f16 v8, v8;
	;;#ASMEND
	v_fmac_f32_e32 v122, v4, v6
	v_fmac_f32_e32 v121, v5, v8
	v_lshrrev_b32_e32 v5, 16, v7
	v_and_b32_e32 v4, 0xffff, v7
	v_lshrrev_b32_e32 v7, 16, v60
	v_and_b32_e32 v6, 0xffff, v60
	;;#ASMSTART
	v_cvt_f32_f16 v4, v4;
	;;#ASMEND
	;;#ASMSTART
	v_cvt_f32_f16 v5, v5;
	;;#ASMEND
	;; [unrolled: 3-line block ×4, first 2 shown]
	v_fmac_f32_e32 v124, v4, v6
	v_fmac_f32_e32 v123, v5, v7
	ds_read_b128 v[4:7], v21 offset:288
	v_lshrrev_b32_e32 v10, 16, v53
	v_and_b32_e32 v9, 0xffff, v53
	s_waitcnt lgkmcnt(0)
	v_lshrrev_b32_e32 v8, 16, v4
	v_and_b32_e32 v4, 0xffff, v4
	;;#ASMSTART
	v_cvt_f32_f16 v4, v4;
	;;#ASMEND
	;;#ASMSTART
	v_cvt_f32_f16 v8, v8;
	;;#ASMEND
	;; [unrolled: 3-line block ×4, first 2 shown]
	v_fmac_f32_e32 v0, v4, v9
	v_fmac_f32_e32 v1, v8, v10
	v_lshrrev_b32_e32 v8, 16, v5
	v_and_b32_e32 v4, 0xffff, v5
	;;#ASMSTART
	v_cvt_f32_f16 v4, v4;
	;;#ASMEND
	;;#ASMSTART
	v_cvt_f32_f16 v5, v8;
	;;#ASMEND
	v_lshrrev_b32_e32 v9, 16, v54
	v_and_b32_e32 v8, 0xffff, v54
	;;#ASMSTART
	v_cvt_f32_f16 v8, v8;
	;;#ASMEND
	;;#ASMSTART
	v_cvt_f32_f16 v9, v9;
	;;#ASMEND
	v_fmac_f32_e32 v3, v4, v8
	v_fmac_f32_e32 v2, v5, v9
	v_lshrrev_b32_e32 v5, 16, v6
	v_and_b32_e32 v4, 0xffff, v6
	v_and_b32_e32 v6, 0xffff, v55
	;;#ASMSTART
	v_cvt_f32_f16 v4, v4;
	;;#ASMEND
	;;#ASMSTART
	v_cvt_f32_f16 v5, v5;
	;;#ASMEND
	v_lshrrev_b32_e32 v8, 16, v55
	;;#ASMSTART
	v_cvt_f32_f16 v6, v6;
	;;#ASMEND
	;;#ASMSTART
	v_cvt_f32_f16 v8, v8;
	;;#ASMEND
	v_fmac_f32_e32 v122, v4, v6
	v_fmac_f32_e32 v121, v5, v8
	v_lshrrev_b32_e32 v5, 16, v7
	v_and_b32_e32 v4, 0xffff, v7
	v_lshrrev_b32_e32 v7, 16, v56
	v_and_b32_e32 v6, 0xffff, v56
	;;#ASMSTART
	v_cvt_f32_f16 v4, v4;
	;;#ASMEND
	;;#ASMSTART
	v_cvt_f32_f16 v5, v5;
	;;#ASMEND
	;; [unrolled: 3-line block ×4, first 2 shown]
	v_fmac_f32_e32 v124, v4, v6
	v_fmac_f32_e32 v123, v5, v7
	ds_read_b128 v[4:7], v21 offset:304
	v_lshrrev_b32_e32 v10, 16, v49
	v_and_b32_e32 v9, 0xffff, v49
	s_waitcnt lgkmcnt(0)
	v_lshrrev_b32_e32 v8, 16, v4
	v_and_b32_e32 v4, 0xffff, v4
	;;#ASMSTART
	v_cvt_f32_f16 v4, v4;
	;;#ASMEND
	;;#ASMSTART
	v_cvt_f32_f16 v8, v8;
	;;#ASMEND
	;; [unrolled: 3-line block ×4, first 2 shown]
	v_fmac_f32_e32 v0, v4, v9
	v_fmac_f32_e32 v1, v8, v10
	v_lshrrev_b32_e32 v8, 16, v5
	v_and_b32_e32 v4, 0xffff, v5
	;;#ASMSTART
	v_cvt_f32_f16 v4, v4;
	;;#ASMEND
	;;#ASMSTART
	v_cvt_f32_f16 v5, v8;
	;;#ASMEND
	v_lshrrev_b32_e32 v9, 16, v50
	v_and_b32_e32 v8, 0xffff, v50
	;;#ASMSTART
	v_cvt_f32_f16 v8, v8;
	;;#ASMEND
	;;#ASMSTART
	v_cvt_f32_f16 v9, v9;
	;;#ASMEND
	v_fmac_f32_e32 v3, v4, v8
	v_fmac_f32_e32 v2, v5, v9
	v_lshrrev_b32_e32 v5, 16, v6
	v_and_b32_e32 v4, 0xffff, v6
	v_and_b32_e32 v6, 0xffff, v51
	;;#ASMSTART
	v_cvt_f32_f16 v4, v4;
	;;#ASMEND
	;;#ASMSTART
	v_cvt_f32_f16 v5, v5;
	;;#ASMEND
	v_lshrrev_b32_e32 v8, 16, v51
	;;#ASMSTART
	v_cvt_f32_f16 v6, v6;
	;;#ASMEND
	;;#ASMSTART
	v_cvt_f32_f16 v8, v8;
	;;#ASMEND
	v_fmac_f32_e32 v122, v4, v6
	v_fmac_f32_e32 v121, v5, v8
	v_lshrrev_b32_e32 v5, 16, v7
	v_and_b32_e32 v4, 0xffff, v7
	v_lshrrev_b32_e32 v7, 16, v52
	v_and_b32_e32 v6, 0xffff, v52
	;;#ASMSTART
	v_cvt_f32_f16 v4, v4;
	;;#ASMEND
	;;#ASMSTART
	v_cvt_f32_f16 v5, v5;
	;;#ASMEND
	;; [unrolled: 3-line block ×4, first 2 shown]
	v_fmac_f32_e32 v124, v4, v6
	v_fmac_f32_e32 v123, v5, v7
	ds_read_b128 v[4:7], v21 offset:320
	v_lshrrev_b32_e32 v10, 16, v45
	v_and_b32_e32 v9, 0xffff, v45
	s_waitcnt lgkmcnt(0)
	v_lshrrev_b32_e32 v8, 16, v4
	v_and_b32_e32 v4, 0xffff, v4
	;;#ASMSTART
	v_cvt_f32_f16 v4, v4;
	;;#ASMEND
	;;#ASMSTART
	v_cvt_f32_f16 v8, v8;
	;;#ASMEND
	;; [unrolled: 3-line block ×4, first 2 shown]
	v_fmac_f32_e32 v0, v4, v9
	v_fmac_f32_e32 v1, v8, v10
	v_lshrrev_b32_e32 v8, 16, v5
	v_and_b32_e32 v4, 0xffff, v5
	;;#ASMSTART
	v_cvt_f32_f16 v4, v4;
	;;#ASMEND
	;;#ASMSTART
	v_cvt_f32_f16 v5, v8;
	;;#ASMEND
	v_lshrrev_b32_e32 v9, 16, v46
	v_and_b32_e32 v8, 0xffff, v46
	;;#ASMSTART
	v_cvt_f32_f16 v8, v8;
	;;#ASMEND
	;;#ASMSTART
	v_cvt_f32_f16 v9, v9;
	;;#ASMEND
	v_fmac_f32_e32 v3, v4, v8
	v_fmac_f32_e32 v2, v5, v9
	v_lshrrev_b32_e32 v5, 16, v6
	v_and_b32_e32 v4, 0xffff, v6
	v_and_b32_e32 v6, 0xffff, v47
	;;#ASMSTART
	v_cvt_f32_f16 v4, v4;
	;;#ASMEND
	;;#ASMSTART
	v_cvt_f32_f16 v5, v5;
	;;#ASMEND
	v_lshrrev_b32_e32 v8, 16, v47
	;;#ASMSTART
	v_cvt_f32_f16 v6, v6;
	;;#ASMEND
	;;#ASMSTART
	v_cvt_f32_f16 v8, v8;
	;;#ASMEND
	v_fmac_f32_e32 v122, v4, v6
	v_fmac_f32_e32 v121, v5, v8
	v_lshrrev_b32_e32 v5, 16, v7
	v_and_b32_e32 v4, 0xffff, v7
	v_lshrrev_b32_e32 v7, 16, v48
	v_and_b32_e32 v6, 0xffff, v48
	;;#ASMSTART
	v_cvt_f32_f16 v4, v4;
	;;#ASMEND
	;;#ASMSTART
	v_cvt_f32_f16 v5, v5;
	;;#ASMEND
	;; [unrolled: 3-line block ×4, first 2 shown]
	v_fmac_f32_e32 v124, v4, v6
	v_fmac_f32_e32 v123, v5, v7
	ds_read_b128 v[4:7], v21 offset:336
	v_lshrrev_b32_e32 v10, 16, v41
	v_and_b32_e32 v9, 0xffff, v41
	s_waitcnt lgkmcnt(0)
	v_lshrrev_b32_e32 v8, 16, v4
	v_and_b32_e32 v4, 0xffff, v4
	;;#ASMSTART
	v_cvt_f32_f16 v4, v4;
	;;#ASMEND
	;;#ASMSTART
	v_cvt_f32_f16 v8, v8;
	;;#ASMEND
	;; [unrolled: 3-line block ×4, first 2 shown]
	v_fmac_f32_e32 v0, v4, v9
	v_fmac_f32_e32 v1, v8, v10
	v_lshrrev_b32_e32 v8, 16, v5
	v_and_b32_e32 v4, 0xffff, v5
	;;#ASMSTART
	v_cvt_f32_f16 v4, v4;
	;;#ASMEND
	;;#ASMSTART
	v_cvt_f32_f16 v5, v8;
	;;#ASMEND
	v_lshrrev_b32_e32 v9, 16, v42
	v_and_b32_e32 v8, 0xffff, v42
	;;#ASMSTART
	v_cvt_f32_f16 v8, v8;
	;;#ASMEND
	;;#ASMSTART
	v_cvt_f32_f16 v9, v9;
	;;#ASMEND
	v_fmac_f32_e32 v3, v4, v8
	v_fmac_f32_e32 v2, v5, v9
	v_lshrrev_b32_e32 v5, 16, v6
	v_and_b32_e32 v4, 0xffff, v6
	v_and_b32_e32 v6, 0xffff, v43
	;;#ASMSTART
	v_cvt_f32_f16 v4, v4;
	;;#ASMEND
	;;#ASMSTART
	v_cvt_f32_f16 v5, v5;
	;;#ASMEND
	v_lshrrev_b32_e32 v8, 16, v43
	;;#ASMSTART
	v_cvt_f32_f16 v6, v6;
	;;#ASMEND
	;;#ASMSTART
	v_cvt_f32_f16 v8, v8;
	;;#ASMEND
	v_fmac_f32_e32 v122, v4, v6
	v_fmac_f32_e32 v121, v5, v8
	v_lshrrev_b32_e32 v5, 16, v7
	v_and_b32_e32 v4, 0xffff, v7
	v_lshrrev_b32_e32 v7, 16, v44
	v_and_b32_e32 v6, 0xffff, v44
	;;#ASMSTART
	v_cvt_f32_f16 v4, v4;
	;;#ASMEND
	;;#ASMSTART
	v_cvt_f32_f16 v5, v5;
	;;#ASMEND
	;; [unrolled: 3-line block ×4, first 2 shown]
	v_fmac_f32_e32 v124, v4, v6
	v_fmac_f32_e32 v123, v5, v7
	ds_read_b128 v[4:7], v21 offset:352
	v_lshrrev_b32_e32 v10, 16, v37
	v_and_b32_e32 v9, 0xffff, v37
	s_waitcnt lgkmcnt(0)
	v_lshrrev_b32_e32 v8, 16, v4
	v_and_b32_e32 v4, 0xffff, v4
	;;#ASMSTART
	v_cvt_f32_f16 v4, v4;
	;;#ASMEND
	;;#ASMSTART
	v_cvt_f32_f16 v8, v8;
	;;#ASMEND
	;; [unrolled: 3-line block ×4, first 2 shown]
	v_fmac_f32_e32 v0, v4, v9
	v_fmac_f32_e32 v1, v8, v10
	v_lshrrev_b32_e32 v8, 16, v5
	v_and_b32_e32 v4, 0xffff, v5
	;;#ASMSTART
	v_cvt_f32_f16 v4, v4;
	;;#ASMEND
	;;#ASMSTART
	v_cvt_f32_f16 v5, v8;
	;;#ASMEND
	v_lshrrev_b32_e32 v9, 16, v38
	v_and_b32_e32 v8, 0xffff, v38
	;;#ASMSTART
	v_cvt_f32_f16 v8, v8;
	;;#ASMEND
	;;#ASMSTART
	v_cvt_f32_f16 v9, v9;
	;;#ASMEND
	v_fmac_f32_e32 v3, v4, v8
	v_fmac_f32_e32 v2, v5, v9
	v_lshrrev_b32_e32 v5, 16, v6
	v_and_b32_e32 v4, 0xffff, v6
	v_and_b32_e32 v6, 0xffff, v39
	;;#ASMSTART
	v_cvt_f32_f16 v4, v4;
	;;#ASMEND
	;;#ASMSTART
	v_cvt_f32_f16 v5, v5;
	;;#ASMEND
	v_lshrrev_b32_e32 v8, 16, v39
	;;#ASMSTART
	v_cvt_f32_f16 v6, v6;
	;;#ASMEND
	;;#ASMSTART
	v_cvt_f32_f16 v8, v8;
	;;#ASMEND
	v_fmac_f32_e32 v122, v4, v6
	v_fmac_f32_e32 v121, v5, v8
	v_lshrrev_b32_e32 v5, 16, v7
	v_and_b32_e32 v4, 0xffff, v7
	v_lshrrev_b32_e32 v7, 16, v40
	v_and_b32_e32 v6, 0xffff, v40
	;;#ASMSTART
	v_cvt_f32_f16 v4, v4;
	;;#ASMEND
	;;#ASMSTART
	v_cvt_f32_f16 v5, v5;
	;;#ASMEND
	;; [unrolled: 3-line block ×4, first 2 shown]
	v_fmac_f32_e32 v124, v4, v6
	v_fmac_f32_e32 v123, v5, v7
	ds_read_b128 v[4:7], v21 offset:368
	v_lshrrev_b32_e32 v10, 16, v33
	v_and_b32_e32 v9, 0xffff, v33
	s_waitcnt lgkmcnt(0)
	v_lshrrev_b32_e32 v8, 16, v4
	v_and_b32_e32 v4, 0xffff, v4
	;;#ASMSTART
	v_cvt_f32_f16 v4, v4;
	;;#ASMEND
	;;#ASMSTART
	v_cvt_f32_f16 v8, v8;
	;;#ASMEND
	;; [unrolled: 3-line block ×4, first 2 shown]
	v_fmac_f32_e32 v0, v4, v9
	v_fmac_f32_e32 v1, v8, v10
	v_lshrrev_b32_e32 v8, 16, v5
	v_and_b32_e32 v4, 0xffff, v5
	;;#ASMSTART
	v_cvt_f32_f16 v4, v4;
	;;#ASMEND
	;;#ASMSTART
	v_cvt_f32_f16 v5, v8;
	;;#ASMEND
	v_lshrrev_b32_e32 v9, 16, v34
	v_and_b32_e32 v8, 0xffff, v34
	;;#ASMSTART
	v_cvt_f32_f16 v8, v8;
	;;#ASMEND
	;;#ASMSTART
	v_cvt_f32_f16 v9, v9;
	;;#ASMEND
	v_fmac_f32_e32 v3, v4, v8
	v_fmac_f32_e32 v2, v5, v9
	v_lshrrev_b32_e32 v5, 16, v6
	v_and_b32_e32 v4, 0xffff, v6
	v_and_b32_e32 v6, 0xffff, v35
	;;#ASMSTART
	v_cvt_f32_f16 v4, v4;
	;;#ASMEND
	;;#ASMSTART
	v_cvt_f32_f16 v5, v5;
	;;#ASMEND
	v_lshrrev_b32_e32 v8, 16, v35
	;;#ASMSTART
	v_cvt_f32_f16 v6, v6;
	;;#ASMEND
	;;#ASMSTART
	v_cvt_f32_f16 v8, v8;
	;;#ASMEND
	v_fmac_f32_e32 v122, v4, v6
	v_fmac_f32_e32 v121, v5, v8
	v_lshrrev_b32_e32 v5, 16, v7
	v_and_b32_e32 v4, 0xffff, v7
	v_lshrrev_b32_e32 v7, 16, v36
	v_and_b32_e32 v6, 0xffff, v36
	;;#ASMSTART
	v_cvt_f32_f16 v4, v4;
	;;#ASMEND
	;;#ASMSTART
	v_cvt_f32_f16 v5, v5;
	;;#ASMEND
	;; [unrolled: 3-line block ×4, first 2 shown]
	v_fmac_f32_e32 v124, v4, v6
	v_fmac_f32_e32 v123, v5, v7
	ds_read_b128 v[4:7], v21 offset:384
	v_lshrrev_b32_e32 v10, 16, v29
	v_and_b32_e32 v9, 0xffff, v29
	s_waitcnt lgkmcnt(0)
	v_lshrrev_b32_e32 v8, 16, v4
	v_and_b32_e32 v4, 0xffff, v4
	;;#ASMSTART
	v_cvt_f32_f16 v4, v4;
	;;#ASMEND
	;;#ASMSTART
	v_cvt_f32_f16 v8, v8;
	;;#ASMEND
	;; [unrolled: 3-line block ×4, first 2 shown]
	v_fmac_f32_e32 v0, v4, v9
	v_fmac_f32_e32 v1, v8, v10
	v_lshrrev_b32_e32 v8, 16, v5
	v_and_b32_e32 v4, 0xffff, v5
	;;#ASMSTART
	v_cvt_f32_f16 v4, v4;
	;;#ASMEND
	;;#ASMSTART
	v_cvt_f32_f16 v5, v8;
	;;#ASMEND
	v_lshrrev_b32_e32 v9, 16, v30
	v_and_b32_e32 v8, 0xffff, v30
	;;#ASMSTART
	v_cvt_f32_f16 v8, v8;
	;;#ASMEND
	;;#ASMSTART
	v_cvt_f32_f16 v9, v9;
	;;#ASMEND
	v_fmac_f32_e32 v3, v4, v8
	v_fmac_f32_e32 v2, v5, v9
	v_lshrrev_b32_e32 v5, 16, v6
	v_and_b32_e32 v4, 0xffff, v6
	v_and_b32_e32 v6, 0xffff, v31
	;;#ASMSTART
	v_cvt_f32_f16 v4, v4;
	;;#ASMEND
	;;#ASMSTART
	v_cvt_f32_f16 v5, v5;
	;;#ASMEND
	v_lshrrev_b32_e32 v8, 16, v31
	;;#ASMSTART
	v_cvt_f32_f16 v6, v6;
	;;#ASMEND
	;;#ASMSTART
	v_cvt_f32_f16 v8, v8;
	;;#ASMEND
	v_fmac_f32_e32 v122, v4, v6
	v_fmac_f32_e32 v121, v5, v8
	v_lshrrev_b32_e32 v5, 16, v7
	v_and_b32_e32 v4, 0xffff, v7
	v_lshrrev_b32_e32 v7, 16, v32
	v_and_b32_e32 v6, 0xffff, v32
	;;#ASMSTART
	v_cvt_f32_f16 v4, v4;
	;;#ASMEND
	;;#ASMSTART
	v_cvt_f32_f16 v5, v5;
	;;#ASMEND
	;; [unrolled: 3-line block ×4, first 2 shown]
	v_fmac_f32_e32 v124, v4, v6
	v_fmac_f32_e32 v123, v5, v7
	ds_read_b128 v[4:7], v21 offset:400
	s_waitcnt lgkmcnt(0)
	v_lshrrev_b32_e32 v8, 16, v4
	v_and_b32_e32 v4, 0xffff, v4
	;;#ASMSTART
	v_cvt_f32_f16 v4, v4;
	;;#ASMEND
	;;#ASMSTART
	v_cvt_f32_f16 v8, v8;
	;;#ASMEND
	s_clause 0x3
	buffer_load_dword v11, off, s[48:51], 0 offset:100
	buffer_load_dword v12, off, s[48:51], 0 offset:104
	buffer_load_dword v13, off, s[48:51], 0 offset:108
	buffer_load_dword v14, off, s[48:51], 0 offset:112
	s_waitcnt vmcnt(3)
	v_lshrrev_b32_e32 v10, 16, v11
	v_and_b32_e32 v9, 0xffff, v11
	;;#ASMSTART
	v_cvt_f32_f16 v9, v9;
	;;#ASMEND
	;;#ASMSTART
	v_cvt_f32_f16 v10, v10;
	;;#ASMEND
	v_fmac_f32_e32 v0, v4, v9
	v_fmac_f32_e32 v1, v8, v10
	v_lshrrev_b32_e32 v8, 16, v5
	v_and_b32_e32 v4, 0xffff, v5
	;;#ASMSTART
	v_cvt_f32_f16 v4, v4;
	;;#ASMEND
	;;#ASMSTART
	v_cvt_f32_f16 v5, v8;
	;;#ASMEND
	s_waitcnt vmcnt(2)
	v_lshrrev_b32_e32 v9, 16, v12
	v_and_b32_e32 v8, 0xffff, v12
	;;#ASMSTART
	v_cvt_f32_f16 v8, v8;
	;;#ASMEND
	;;#ASMSTART
	v_cvt_f32_f16 v9, v9;
	;;#ASMEND
	v_fmac_f32_e32 v3, v4, v8
	v_fmac_f32_e32 v2, v5, v9
	v_lshrrev_b32_e32 v5, 16, v6
	v_and_b32_e32 v4, 0xffff, v6
	s_waitcnt vmcnt(1)
	v_and_b32_e32 v6, 0xffff, v13
	;;#ASMSTART
	v_cvt_f32_f16 v4, v4;
	;;#ASMEND
	;;#ASMSTART
	v_cvt_f32_f16 v5, v5;
	;;#ASMEND
	v_lshrrev_b32_e32 v8, 16, v13
	;;#ASMSTART
	v_cvt_f32_f16 v6, v6;
	;;#ASMEND
	;;#ASMSTART
	v_cvt_f32_f16 v8, v8;
	;;#ASMEND
	v_fmac_f32_e32 v122, v4, v6
	v_fmac_f32_e32 v121, v5, v8
	v_lshrrev_b32_e32 v5, 16, v7
	v_and_b32_e32 v4, 0xffff, v7
	s_waitcnt vmcnt(0)
	v_lshrrev_b32_e32 v7, 16, v14
	v_and_b32_e32 v6, 0xffff, v14
	;;#ASMSTART
	v_cvt_f32_f16 v4, v4;
	;;#ASMEND
	;;#ASMSTART
	v_cvt_f32_f16 v5, v5;
	;;#ASMEND
	;; [unrolled: 3-line block ×4, first 2 shown]
	v_fmac_f32_e32 v124, v4, v6
	v_fmac_f32_e32 v123, v5, v7
	ds_read_b128 v[4:7], v21 offset:416
	s_waitcnt lgkmcnt(0)
	v_lshrrev_b32_e32 v8, 16, v4
	v_and_b32_e32 v4, 0xffff, v4
	;;#ASMSTART
	v_cvt_f32_f16 v4, v4;
	;;#ASMEND
	;;#ASMSTART
	v_cvt_f32_f16 v8, v8;
	;;#ASMEND
	s_clause 0x3
	buffer_load_dword v11, off, s[48:51], 0 offset:84
	buffer_load_dword v12, off, s[48:51], 0 offset:88
	;; [unrolled: 1-line block ×4, first 2 shown]
	s_waitcnt vmcnt(3)
	v_lshrrev_b32_e32 v10, 16, v11
	v_and_b32_e32 v9, 0xffff, v11
	;;#ASMSTART
	v_cvt_f32_f16 v9, v9;
	;;#ASMEND
	;;#ASMSTART
	v_cvt_f32_f16 v10, v10;
	;;#ASMEND
	v_fmac_f32_e32 v0, v4, v9
	v_fmac_f32_e32 v1, v8, v10
	v_lshrrev_b32_e32 v8, 16, v5
	v_and_b32_e32 v4, 0xffff, v5
	;;#ASMSTART
	v_cvt_f32_f16 v4, v4;
	;;#ASMEND
	;;#ASMSTART
	v_cvt_f32_f16 v5, v8;
	;;#ASMEND
	s_waitcnt vmcnt(2)
	v_lshrrev_b32_e32 v9, 16, v12
	v_and_b32_e32 v8, 0xffff, v12
	;;#ASMSTART
	v_cvt_f32_f16 v8, v8;
	;;#ASMEND
	;;#ASMSTART
	v_cvt_f32_f16 v9, v9;
	;;#ASMEND
	v_fmac_f32_e32 v3, v4, v8
	v_fmac_f32_e32 v2, v5, v9
	v_lshrrev_b32_e32 v5, 16, v6
	v_and_b32_e32 v4, 0xffff, v6
	s_waitcnt vmcnt(1)
	v_and_b32_e32 v6, 0xffff, v13
	;;#ASMSTART
	v_cvt_f32_f16 v4, v4;
	;;#ASMEND
	;;#ASMSTART
	v_cvt_f32_f16 v5, v5;
	;;#ASMEND
	v_lshrrev_b32_e32 v8, 16, v13
	;;#ASMSTART
	v_cvt_f32_f16 v6, v6;
	;;#ASMEND
	;;#ASMSTART
	v_cvt_f32_f16 v8, v8;
	;;#ASMEND
	v_fmac_f32_e32 v122, v4, v6
	v_fmac_f32_e32 v121, v5, v8
	v_lshrrev_b32_e32 v5, 16, v7
	v_and_b32_e32 v4, 0xffff, v7
	s_waitcnt vmcnt(0)
	v_lshrrev_b32_e32 v7, 16, v14
	v_and_b32_e32 v6, 0xffff, v14
	;;#ASMSTART
	v_cvt_f32_f16 v4, v4;
	;;#ASMEND
	;;#ASMSTART
	v_cvt_f32_f16 v5, v5;
	;;#ASMEND
	;; [unrolled: 3-line block ×4, first 2 shown]
	v_fmac_f32_e32 v124, v4, v6
	v_fmac_f32_e32 v123, v5, v7
	ds_read_b128 v[4:7], v21 offset:432
	s_waitcnt lgkmcnt(0)
	v_lshrrev_b32_e32 v8, 16, v4
	v_and_b32_e32 v4, 0xffff, v4
	;;#ASMSTART
	v_cvt_f32_f16 v4, v4;
	;;#ASMEND
	;;#ASMSTART
	v_cvt_f32_f16 v8, v8;
	;;#ASMEND
	s_clause 0x3
	buffer_load_dword v11, off, s[48:51], 0 offset:68
	buffer_load_dword v12, off, s[48:51], 0 offset:72
	;; [unrolled: 1-line block ×4, first 2 shown]
	s_waitcnt vmcnt(3)
	v_lshrrev_b32_e32 v10, 16, v11
	v_and_b32_e32 v9, 0xffff, v11
	;;#ASMSTART
	v_cvt_f32_f16 v9, v9;
	;;#ASMEND
	;;#ASMSTART
	v_cvt_f32_f16 v10, v10;
	;;#ASMEND
	v_fmac_f32_e32 v0, v4, v9
	v_fmac_f32_e32 v1, v8, v10
	v_lshrrev_b32_e32 v8, 16, v5
	v_and_b32_e32 v4, 0xffff, v5
	;;#ASMSTART
	v_cvt_f32_f16 v4, v4;
	;;#ASMEND
	;;#ASMSTART
	v_cvt_f32_f16 v5, v8;
	;;#ASMEND
	s_waitcnt vmcnt(2)
	v_lshrrev_b32_e32 v9, 16, v12
	v_and_b32_e32 v8, 0xffff, v12
	;;#ASMSTART
	v_cvt_f32_f16 v8, v8;
	;;#ASMEND
	;;#ASMSTART
	v_cvt_f32_f16 v9, v9;
	;;#ASMEND
	v_fmac_f32_e32 v3, v4, v8
	v_fmac_f32_e32 v2, v5, v9
	v_lshrrev_b32_e32 v5, 16, v6
	v_and_b32_e32 v4, 0xffff, v6
	s_waitcnt vmcnt(1)
	v_and_b32_e32 v6, 0xffff, v13
	;;#ASMSTART
	v_cvt_f32_f16 v4, v4;
	;;#ASMEND
	;;#ASMSTART
	v_cvt_f32_f16 v5, v5;
	;;#ASMEND
	v_lshrrev_b32_e32 v8, 16, v13
	;;#ASMSTART
	v_cvt_f32_f16 v6, v6;
	;;#ASMEND
	;;#ASMSTART
	v_cvt_f32_f16 v8, v8;
	;;#ASMEND
	v_fmac_f32_e32 v122, v4, v6
	v_fmac_f32_e32 v121, v5, v8
	v_lshrrev_b32_e32 v5, 16, v7
	v_and_b32_e32 v4, 0xffff, v7
	s_waitcnt vmcnt(0)
	v_lshrrev_b32_e32 v7, 16, v14
	v_and_b32_e32 v6, 0xffff, v14
	;;#ASMSTART
	v_cvt_f32_f16 v4, v4;
	;;#ASMEND
	;;#ASMSTART
	v_cvt_f32_f16 v5, v5;
	;;#ASMEND
	;; [unrolled: 3-line block ×4, first 2 shown]
	v_fmac_f32_e32 v124, v4, v6
	v_fmac_f32_e32 v123, v5, v7
	ds_read_b128 v[4:7], v21 offset:448
	s_waitcnt lgkmcnt(0)
	v_lshrrev_b32_e32 v8, 16, v4
	v_and_b32_e32 v4, 0xffff, v4
	;;#ASMSTART
	v_cvt_f32_f16 v4, v4;
	;;#ASMEND
	;;#ASMSTART
	v_cvt_f32_f16 v8, v8;
	;;#ASMEND
	s_clause 0x3
	buffer_load_dword v11, off, s[48:51], 0 offset:52
	buffer_load_dword v12, off, s[48:51], 0 offset:56
	;; [unrolled: 1-line block ×4, first 2 shown]
	s_waitcnt vmcnt(3)
	v_lshrrev_b32_e32 v10, 16, v11
	v_and_b32_e32 v9, 0xffff, v11
	;;#ASMSTART
	v_cvt_f32_f16 v9, v9;
	;;#ASMEND
	;;#ASMSTART
	v_cvt_f32_f16 v10, v10;
	;;#ASMEND
	v_fmac_f32_e32 v0, v4, v9
	v_fmac_f32_e32 v1, v8, v10
	v_lshrrev_b32_e32 v8, 16, v5
	v_and_b32_e32 v4, 0xffff, v5
	;;#ASMSTART
	v_cvt_f32_f16 v4, v4;
	;;#ASMEND
	;;#ASMSTART
	v_cvt_f32_f16 v5, v8;
	;;#ASMEND
	s_waitcnt vmcnt(2)
	v_lshrrev_b32_e32 v9, 16, v12
	v_and_b32_e32 v8, 0xffff, v12
	;;#ASMSTART
	v_cvt_f32_f16 v8, v8;
	;;#ASMEND
	;;#ASMSTART
	v_cvt_f32_f16 v9, v9;
	;;#ASMEND
	v_fmac_f32_e32 v3, v4, v8
	v_fmac_f32_e32 v2, v5, v9
	v_lshrrev_b32_e32 v5, 16, v6
	v_and_b32_e32 v4, 0xffff, v6
	s_waitcnt vmcnt(1)
	v_and_b32_e32 v6, 0xffff, v13
	;;#ASMSTART
	v_cvt_f32_f16 v4, v4;
	;;#ASMEND
	;;#ASMSTART
	v_cvt_f32_f16 v5, v5;
	;;#ASMEND
	v_lshrrev_b32_e32 v8, 16, v13
	;;#ASMSTART
	v_cvt_f32_f16 v6, v6;
	;;#ASMEND
	;;#ASMSTART
	v_cvt_f32_f16 v8, v8;
	;;#ASMEND
	v_fmac_f32_e32 v122, v4, v6
	v_fmac_f32_e32 v121, v5, v8
	v_lshrrev_b32_e32 v5, 16, v7
	v_and_b32_e32 v4, 0xffff, v7
	s_waitcnt vmcnt(0)
	v_lshrrev_b32_e32 v7, 16, v14
	v_and_b32_e32 v6, 0xffff, v14
	;;#ASMSTART
	v_cvt_f32_f16 v4, v4;
	;;#ASMEND
	;;#ASMSTART
	v_cvt_f32_f16 v5, v5;
	;;#ASMEND
	;; [unrolled: 3-line block ×4, first 2 shown]
	v_fmac_f32_e32 v124, v4, v6
	v_fmac_f32_e32 v123, v5, v7
	ds_read_b128 v[4:7], v21 offset:464
	s_waitcnt lgkmcnt(0)
	v_lshrrev_b32_e32 v8, 16, v4
	v_and_b32_e32 v4, 0xffff, v4
	;;#ASMSTART
	v_cvt_f32_f16 v4, v4;
	;;#ASMEND
	;;#ASMSTART
	v_cvt_f32_f16 v8, v8;
	;;#ASMEND
	s_clause 0x3
	buffer_load_dword v11, off, s[48:51], 0 offset:36
	buffer_load_dword v12, off, s[48:51], 0 offset:40
	;; [unrolled: 1-line block ×4, first 2 shown]
	s_waitcnt vmcnt(3)
	v_lshrrev_b32_e32 v10, 16, v11
	v_and_b32_e32 v9, 0xffff, v11
	;;#ASMSTART
	v_cvt_f32_f16 v9, v9;
	;;#ASMEND
	;;#ASMSTART
	v_cvt_f32_f16 v10, v10;
	;;#ASMEND
	v_fmac_f32_e32 v0, v4, v9
	v_fmac_f32_e32 v1, v8, v10
	v_lshrrev_b32_e32 v8, 16, v5
	v_and_b32_e32 v4, 0xffff, v5
	;;#ASMSTART
	v_cvt_f32_f16 v4, v4;
	;;#ASMEND
	;;#ASMSTART
	v_cvt_f32_f16 v5, v8;
	;;#ASMEND
	s_waitcnt vmcnt(2)
	v_lshrrev_b32_e32 v9, 16, v12
	v_and_b32_e32 v8, 0xffff, v12
	;;#ASMSTART
	v_cvt_f32_f16 v8, v8;
	;;#ASMEND
	;;#ASMSTART
	v_cvt_f32_f16 v9, v9;
	;;#ASMEND
	v_fmac_f32_e32 v3, v4, v8
	v_fmac_f32_e32 v2, v5, v9
	v_lshrrev_b32_e32 v5, 16, v6
	v_and_b32_e32 v4, 0xffff, v6
	s_waitcnt vmcnt(1)
	v_and_b32_e32 v6, 0xffff, v13
	;;#ASMSTART
	v_cvt_f32_f16 v4, v4;
	;;#ASMEND
	;;#ASMSTART
	v_cvt_f32_f16 v5, v5;
	;;#ASMEND
	v_lshrrev_b32_e32 v8, 16, v13
	;;#ASMSTART
	v_cvt_f32_f16 v6, v6;
	;;#ASMEND
	;;#ASMSTART
	v_cvt_f32_f16 v8, v8;
	;;#ASMEND
	v_fmac_f32_e32 v122, v4, v6
	v_fmac_f32_e32 v121, v5, v8
	v_lshrrev_b32_e32 v5, 16, v7
	v_and_b32_e32 v4, 0xffff, v7
	s_waitcnt vmcnt(0)
	v_lshrrev_b32_e32 v7, 16, v14
	v_and_b32_e32 v6, 0xffff, v14
	;;#ASMSTART
	v_cvt_f32_f16 v4, v4;
	;;#ASMEND
	;;#ASMSTART
	v_cvt_f32_f16 v5, v5;
	;;#ASMEND
	;; [unrolled: 3-line block ×4, first 2 shown]
	v_fmac_f32_e32 v124, v4, v6
	v_fmac_f32_e32 v123, v5, v7
	ds_read_b128 v[4:7], v21 offset:480
	s_waitcnt lgkmcnt(0)
	v_lshrrev_b32_e32 v8, 16, v4
	v_and_b32_e32 v4, 0xffff, v4
	;;#ASMSTART
	v_cvt_f32_f16 v4, v4;
	;;#ASMEND
	;;#ASMSTART
	v_cvt_f32_f16 v8, v8;
	;;#ASMEND
	s_clause 0x3
	buffer_load_dword v11, off, s[48:51], 0 offset:20
	buffer_load_dword v12, off, s[48:51], 0 offset:24
	;; [unrolled: 1-line block ×4, first 2 shown]
	s_waitcnt vmcnt(3)
	v_lshrrev_b32_e32 v10, 16, v11
	v_and_b32_e32 v9, 0xffff, v11
	;;#ASMSTART
	v_cvt_f32_f16 v9, v9;
	;;#ASMEND
	;;#ASMSTART
	v_cvt_f32_f16 v10, v10;
	;;#ASMEND
	v_fmac_f32_e32 v0, v4, v9
	v_fmac_f32_e32 v1, v8, v10
	v_lshrrev_b32_e32 v8, 16, v5
	v_and_b32_e32 v4, 0xffff, v5
	;;#ASMSTART
	v_cvt_f32_f16 v4, v4;
	;;#ASMEND
	;;#ASMSTART
	v_cvt_f32_f16 v5, v8;
	;;#ASMEND
	s_waitcnt vmcnt(2)
	v_lshrrev_b32_e32 v9, 16, v12
	v_and_b32_e32 v8, 0xffff, v12
	;;#ASMSTART
	v_cvt_f32_f16 v8, v8;
	;;#ASMEND
	;;#ASMSTART
	v_cvt_f32_f16 v9, v9;
	;;#ASMEND
	v_fmac_f32_e32 v3, v4, v8
	v_fmac_f32_e32 v2, v5, v9
	v_lshrrev_b32_e32 v5, 16, v6
	v_and_b32_e32 v4, 0xffff, v6
	s_waitcnt vmcnt(1)
	v_and_b32_e32 v6, 0xffff, v13
	;;#ASMSTART
	v_cvt_f32_f16 v4, v4;
	;;#ASMEND
	;;#ASMSTART
	v_cvt_f32_f16 v5, v5;
	;;#ASMEND
	v_lshrrev_b32_e32 v8, 16, v13
	;;#ASMSTART
	v_cvt_f32_f16 v6, v6;
	;;#ASMEND
	;;#ASMSTART
	v_cvt_f32_f16 v8, v8;
	;;#ASMEND
	v_fmac_f32_e32 v122, v4, v6
	v_fmac_f32_e32 v121, v5, v8
	v_lshrrev_b32_e32 v5, 16, v7
	v_and_b32_e32 v4, 0xffff, v7
	s_waitcnt vmcnt(0)
	v_lshrrev_b32_e32 v7, 16, v14
	v_and_b32_e32 v6, 0xffff, v14
	;;#ASMSTART
	v_cvt_f32_f16 v4, v4;
	;;#ASMEND
	;;#ASMSTART
	v_cvt_f32_f16 v5, v5;
	;;#ASMEND
	;; [unrolled: 3-line block ×4, first 2 shown]
	v_fmac_f32_e32 v124, v4, v6
	v_fmac_f32_e32 v123, v5, v7
	ds_read_b128 v[4:7], v21 offset:496
	s_waitcnt lgkmcnt(0)
	v_lshrrev_b32_e32 v8, 16, v4
	v_and_b32_e32 v4, 0xffff, v4
	;;#ASMSTART
	v_cvt_f32_f16 v4, v4;
	;;#ASMEND
	;;#ASMSTART
	v_cvt_f32_f16 v8, v8;
	;;#ASMEND
	s_clause 0x3
	buffer_load_dword v11, off, s[48:51], 0 offset:4
	buffer_load_dword v12, off, s[48:51], 0 offset:8
	;; [unrolled: 1-line block ×4, first 2 shown]
	s_waitcnt vmcnt(3)
	v_lshrrev_b32_e32 v10, 16, v11
	v_and_b32_e32 v9, 0xffff, v11
	;;#ASMSTART
	v_cvt_f32_f16 v9, v9;
	;;#ASMEND
	;;#ASMSTART
	v_cvt_f32_f16 v10, v10;
	;;#ASMEND
	v_fmac_f32_e32 v0, v4, v9
	v_fmac_f32_e32 v1, v8, v10
	v_lshrrev_b32_e32 v8, 16, v5
	v_and_b32_e32 v4, 0xffff, v5
	;;#ASMSTART
	v_cvt_f32_f16 v4, v4;
	;;#ASMEND
	;;#ASMSTART
	v_cvt_f32_f16 v5, v8;
	;;#ASMEND
	s_waitcnt vmcnt(2)
	v_lshrrev_b32_e32 v9, 16, v12
	v_and_b32_e32 v8, 0xffff, v12
	;;#ASMSTART
	v_cvt_f32_f16 v8, v8;
	;;#ASMEND
	;;#ASMSTART
	v_cvt_f32_f16 v9, v9;
	;;#ASMEND
	v_fmac_f32_e32 v3, v4, v8
	v_fmac_f32_e32 v2, v5, v9
	v_lshrrev_b32_e32 v5, 16, v6
	v_and_b32_e32 v4, 0xffff, v6
	;;#ASMSTART
	v_cvt_f32_f16 v4, v4;
	;;#ASMEND
	;;#ASMSTART
	v_cvt_f32_f16 v5, v5;
	;;#ASMEND
	;; [unrolled: 19-line block ×3, first 2 shown]
	s_waitcnt vmcnt(0)
	v_lshrrev_b32_e32 v4, 16, v14
	v_and_b32_e32 v8, 0xffff, v14
	;;#ASMSTART
	v_cvt_f32_f16 v7, v8;
	;;#ASMEND
	;;#ASMSTART
	v_cvt_f32_f16 v4, v4;
	;;#ASMEND
	v_add_f32_e32 v0, v0, v1
	buffer_load_dword v1, off, s[48:51], 0  ; 4-byte Folded Reload
	v_fmac_f32_e32 v124, v6, v7
	v_fmac_f32_e32 v123, v5, v4
	v_add_f32_e32 v0, v0, v3
	v_add_f32_e32 v0, v2, v0
	;; [unrolled: 1-line block ×6, first 2 shown]
	s_waitcnt vmcnt(0)
	v_fmac_f32_e32 v1, s37, v0
	v_cndmask_b32_e64 v0, 0, v1, s2
	ds_write_b32 v27, v0
	v_max_f32_e32 v0, v24, v24
	v_max_f32_e32 v0, v0, v1
	v_cndmask_b32_e64 v24, v24, v0, s2
	s_branch .LBB116_11
.LBB116_16:
	s_or_b32 exec_lo, exec_lo, s15
	s_clause 0x4
	buffer_load_dword v121, off, s[48:51], 0 offset:132
	buffer_load_dword v122, off, s[48:51], 0 offset:148
	;; [unrolled: 1-line block ×5, first 2 shown]
.LBB116_17:
	s_or_b32 exec_lo, exec_lo, s42
	v_mbcnt_lo_u32_b32 v0, -1, 0
	v_max_f32_e32 v4, v24, v24
	v_xor_b32_e32 v1, 16, v0
	v_xor_b32_e32 v3, 8, v0
	;; [unrolled: 1-line block ×3, first 2 shown]
	v_cmp_gt_i32_e32 vcc_lo, 32, v1
	v_cndmask_b32_e32 v1, v0, v1, vcc_lo
	v_cmp_gt_i32_e32 vcc_lo, 32, v3
	v_lshlrev_b32_e32 v1, 2, v1
	v_cndmask_b32_e32 v3, v0, v3, vcc_lo
	ds_bpermute_b32 v2, v1, v24
	s_waitcnt lgkmcnt(0)
	v_max_f32_e32 v5, v2, v2
	v_lshlrev_b32_e32 v2, 2, v3
	v_max_f32_e32 v3, v4, v5
	v_xor_b32_e32 v5, 4, v0
	ds_bpermute_b32 v4, v2, v3
	v_cmp_gt_i32_e32 vcc_lo, 32, v5
	v_cndmask_b32_e32 v5, v0, v5, vcc_lo
	v_cmp_gt_i32_e32 vcc_lo, 32, v6
	v_lshlrev_b32_e32 v5, 2, v5
	v_cndmask_b32_e32 v6, v0, v6, vcc_lo
	v_lshlrev_b32_e32 v9, 2, v6
	v_xor_b32_e32 v6, 1, v0
	s_waitcnt lgkmcnt(0)
	v_max_f32_e32 v4, v4, v4
	v_cmp_gt_i32_e32 vcc_lo, 32, v6
	v_max_f32_e32 v3, v3, v4
	v_cndmask_b32_e32 v6, v0, v6, vcc_lo
	ds_bpermute_b32 v4, v5, v3
	s_waitcnt lgkmcnt(0)
	v_max_f32_e32 v4, v4, v4
	v_max_f32_e32 v3, v3, v4
	ds_bpermute_b32 v4, v9, v3
	s_waitcnt lgkmcnt(0)
	v_max_f32_e32 v4, v4, v4
	v_max_f32_e32 v0, v3, v4
	v_lshlrev_b32_e32 v4, 2, v6
	buffer_load_dword v6, off, s[48:51], 0 offset:116 ; 4-byte Folded Reload
	ds_bpermute_b32 v3, v4, v0
	s_waitcnt vmcnt(0)
	v_cmp_eq_u32_e32 vcc_lo, 0, v6
	v_lshlrev_b32_e32 v6, 2, v122
	s_and_saveexec_b32 s2, vcc_lo
	s_cbranch_execz .LBB116_19
; %bb.18:
	s_waitcnt lgkmcnt(0)
	v_max_f32_e32 v3, v3, v3
	v_max_f32_e32 v0, v0, v0
	;; [unrolled: 1-line block ×3, first 2 shown]
	ds_write_b32 v6, v0 offset:512
.LBB116_19:
	s_or_b32 exec_lo, exec_lo, s2
	buffer_load_dword v0, off, s[48:51], 0 offset:116 ; 4-byte Folded Reload
	s_waitcnt vmcnt(0) lgkmcnt(0)
	s_waitcnt_vscnt null, 0x0
	s_barrier
	buffer_gl0_inv
	v_cmp_gt_u32_e64 s2, 4, v0
	v_mov_b32_e32 v0, 0xff7fffff
	s_and_saveexec_b32 s3, s2
; %bb.20:
	ds_read_b32 v0, v12 offset:512
; %bb.21:
	s_or_b32 exec_lo, exec_lo, s3
	s_waitcnt lgkmcnt(0)
	ds_bpermute_b32 v3, v9, v0
	v_max_f32_e32 v0, v0, v0
	v_mov_b32_e32 v7, 0
	s_sub_i32 s3, s16, s41
	s_lshl_b32 s3, s3, 5
	s_add_i32 s3, s3, s38
	s_min_i32 s3, s3, s27
	s_sub_i32 s5, s3, s38
	v_cmp_gt_i32_e64 s3, s5, v121
	s_waitcnt lgkmcnt(0)
	v_max_f32_e32 v3, v3, v3
	v_max_f32_e32 v0, v0, v3
	ds_bpermute_b32 v3, v4, v0
	s_waitcnt lgkmcnt(0)
	v_max_f32_e32 v3, v3, v3
	v_max_f32_e32 v0, v0, v3
	v_lshl_add_u32 v3, v121, 2, 0x220
	ds_bpermute_b32 v0, v7, v0
	s_and_saveexec_b32 s15, s3
	s_cbranch_execz .LBB116_25
; %bb.22:
	v_lshl_add_u32 v8, v121, 2, 0x220
	v_mov_b32_e32 v7, 0
	v_mov_b32_e32 v10, v121
	s_mov_b32 s37, 0
	.p2align	6
.LBB116_23:                             ; =>This Inner Loop Header: Depth=1
	ds_read_b32 v11, v8
	v_add_nc_u32_e32 v10, 0x80, v10
	v_cmp_le_i32_e64 s4, s5, v10
	s_or_b32 s37, s4, s37
	s_waitcnt lgkmcnt(0)
	v_sub_f32_e32 v11, v11, v0
	v_mul_f32_e32 v11, 0x3fb8aa3b, v11
	v_exp_f32_e32 v11, v11
	ds_write_b32 v8, v11
	v_add_f32_e32 v7, v7, v11
	v_add_nc_u32_e32 v8, 0x200, v8
	s_andn2_b32 exec_lo, exec_lo, s37
	s_cbranch_execnz .LBB116_23
; %bb.24:
	s_or_b32 exec_lo, exec_lo, s37
.LBB116_25:
	s_or_b32 exec_lo, exec_lo, s15
	ds_bpermute_b32 v1, v1, v7
	s_waitcnt lgkmcnt(0)
	v_add_f32_e32 v1, v7, v1
	ds_bpermute_b32 v2, v2, v1
	s_waitcnt lgkmcnt(0)
	v_add_f32_e32 v1, v1, v2
	;; [unrolled: 3-line block ×5, first 2 shown]
	s_and_saveexec_b32 s4, vcc_lo
; %bb.26:
	ds_write_b32 v6, v1 offset:528
; %bb.27:
	s_or_b32 exec_lo, exec_lo, s4
	s_waitcnt lgkmcnt(0)
	s_barrier
	buffer_gl0_inv
	s_and_saveexec_b32 s4, s2
; %bb.28:
	ds_read_b32 v1, v12 offset:528
; %bb.29:
	s_or_b32 exec_lo, exec_lo, s4
	s_waitcnt lgkmcnt(0)
	ds_bpermute_b32 v2, v9, v1
	s_waitcnt lgkmcnt(0)
	v_add_f32_e32 v1, v1, v2
	ds_bpermute_b32 v2, v4, v1
	s_waitcnt lgkmcnt(0)
	v_add_f32_e32 v1, v1, v2
	v_mov_b32_e32 v2, 0
	ds_bpermute_b32 v1, v2, v1
	s_and_saveexec_b32 s2, s3
	s_cbranch_execz .LBB116_32
; %bb.30:
	s_waitcnt lgkmcnt(0)
	v_add_f32_e32 v2, 0x358637bd, v1
	s_mov_b32 s3, 0
	v_div_scale_f32 v5, null, v2, v2, 1.0
	v_div_scale_f32 v8, vcc_lo, 1.0, v2, 1.0
	v_rcp_f32_e32 v6, v5
	v_fma_f32 v7, -v5, v6, 1.0
	v_fmac_f32_e32 v6, v7, v6
	v_mul_f32_e32 v7, v8, v6
	v_fma_f32 v10, -v5, v7, v8
	v_fmac_f32_e32 v7, v10, v6
	v_fma_f32 v5, -v5, v7, v8
	v_div_fmas_f32 v5, v5, v6, v7
	v_div_fixup_f32 v2, v5, v2, 1.0
	v_mov_b32_e32 v5, v121
.LBB116_31:                             ; =>This Inner Loop Header: Depth=1
	ds_read_b32 v6, v3
	v_add_nc_u32_e32 v5, 0x80, v5
	v_cmp_le_i32_e32 vcc_lo, s5, v5
	s_or_b32 s3, vcc_lo, s3
	s_waitcnt lgkmcnt(0)
	v_mul_f32_e32 v6, v2, v6
	ds_write_b32 v3, v6
	v_add_nc_u32_e32 v3, 0x200, v3
	s_andn2_b32 exec_lo, exec_lo, s3
	s_cbranch_execnz .LBB116_31
.LBB116_32:
	s_or_b32 exec_lo, exec_lo, s2
	s_mul_i32 s2, s7, s26
	s_waitcnt lgkmcnt(0)
	s_mul_i32 s4, s2, s9
	s_mov_b32 s2, exec_lo
	s_barrier
	buffer_gl0_inv
	v_cmpx_eq_u32_e32 0, v121
	s_cbranch_execz .LBB116_34
; %bb.33:
	s_ashr_i32 s5, s4, 31
	s_mul_i32 s42, s7, s6
	s_lshl_b64 s[40:41], s[4:5], 2
	v_mov_b32_e32 v2, 0
	s_add_u32 s3, s22, s40
	s_addc_u32 s5, s23, s41
	s_ashr_i32 s43, s42, 31
	s_lshl_b64 s[22:23], s[42:43], 2
	s_add_u32 s3, s3, s22
	s_addc_u32 s5, s5, s23
	s_ashr_i32 s9, s8, 31
	s_lshl_b64 s[42:43], s[8:9], 2
	s_add_u32 s44, s3, s42
	s_addc_u32 s45, s5, s43
	s_add_u32 s3, s20, s40
	s_addc_u32 s5, s21, s41
	;; [unrolled: 2-line block ×4, first 2 shown]
	global_store_dword v2, v0, s[44:45]
	global_store_dword v2, v1, s[20:21]
.LBB116_34:
	s_or_b32 exec_lo, exec_lo, s2
	v_mov_b32_e32 v41, 0
	v_mov_b32_e32 v40, 0
	v_mov_b32_e32 v39, 0
	v_mov_b32_e32 v38, 0
	v_mov_b32_e32 v37, 0
	v_mov_b32_e32 v36, 0
	v_mov_b32_e32 v35, 0
	v_mov_b32_e32 v34, 0
	v_mov_b32_e32 v33, 0
	v_mov_b32_e32 v32, 0
	v_mov_b32_e32 v31, 0
	v_mov_b32_e32 v30, 0
	v_mov_b32_e32 v29, 0
	v_mov_b32_e32 v28, 0
	v_mov_b32_e32 v27, 0
	v_mov_b32_e32 v26, 0
	v_mov_b32_e32 v25, 0
	v_mov_b32_e32 v24, 0
	v_mov_b32_e32 v23, 0
	v_mov_b32_e32 v22, 0
	v_mov_b32_e32 v21, 0
	v_mov_b32_e32 v20, 0
	v_mov_b32_e32 v19, 0
	v_mov_b32_e32 v18, 0
	v_mov_b32_e32 v17, 0
	v_mov_b32_e32 v16, 0
	v_mov_b32_e32 v15, 0
	v_mov_b32_e32 v14, 0
	v_mov_b32_e32 v13, 0
	v_mov_b32_e32 v12, 0
	v_mov_b32_e32 v11, 0
	v_mov_b32_e32 v10, 0
	s_and_saveexec_b32 s3, s1
	s_cbranch_execz .LBB116_104
; %bb.35:
	s_lshl_b32 s1, s38, 2
	s_lshl_b64 s[20:21], s[34:35], 2
	s_sub_i32 s5, 0x220, s1
	s_add_u32 s6, s28, s20
	s_addc_u32 s9, s29, s21
	s_ashr_i32 s15, s14, 31
	v_lshlrev_b32_e32 v1, 3, v121
	s_lshl_b64 s[20:21], s[14:15], 1
	s_sub_i32 s14, s39, s17
	s_add_u32 s15, s30, s20
	s_addc_u32 s17, s31, s21
	s_abs_i32 s18, s18
	v_and_b32_e32 v3, 0xf8, v1
	v_cvt_f32_u32_e32 v0, s18
	s_sub_i32 s1, 0, s18
	v_or_b32_e32 v5, 0x1f00, v1
	v_mov_b32_e32 v42, 0
	v_mov_b32_e32 v10, 0
	v_rcp_iflag_f32_e32 v0, v0
	v_mov_b32_e32 v11, 0
	v_mov_b32_e32 v12, 0
	;; [unrolled: 1-line block ×9, first 2 shown]
	v_mul_f32_e32 v0, 0x4f7ffffe, v0
	v_mov_b32_e32 v20, 0
	v_mov_b32_e32 v21, 0
	;; [unrolled: 1-line block ×4, first 2 shown]
	v_cvt_u32_f32_e32 v0, v0
	v_mov_b32_e32 v24, 0
	v_mov_b32_e32 v25, 0
	;; [unrolled: 1-line block ×4, first 2 shown]
	v_mul_lo_u32 v2, s1, v0
	v_mov_b32_e32 v28, 0
	v_mov_b32_e32 v29, 0
	;; [unrolled: 1-line block ×7, first 2 shown]
	v_mul_hi_u32 v2, v0, v2
	v_mov_b32_e32 v35, 0
	v_mov_b32_e32 v36, 0
	v_and_b32_e32 v43, 24, v1
	v_lshlrev_b32_e32 v44, 1, v3
	v_lshlrev_b32_e32 v45, 1, v5
	v_mov_b32_e32 v37, 0
	v_mov_b32_e32 v38, 0
	v_add_nc_u32_e32 v46, v0, v2
	v_mov_b32_e32 v39, 0
	v_mov_b32_e32 v40, 0
	;; [unrolled: 1-line block ×3, first 2 shown]
	s_add_i32 s36, s36, -1
	s_mov_b32 s20, 0
	s_branch .LBB116_38
.LBB116_36:                             ;   in Loop: Header=BB116_38 Depth=1
	s_or_b32 exec_lo, exec_lo, s2
	v_add_f32_e32 v7, v7, v8
	v_add_f32_e32 v8, v113, v114
	v_add_f32_e32 v53, v62, v119
	v_add_f32_e32 v54, v117, v118
	v_add_f32_e32 v55, v115, v116
	v_add_f32_e32 v14, v14, v7
	v_add_f32_e32 v15, v15, v8
	v_add_f32_e32 v8, v109, v110
	v_add_f32_e32 v11, v11, v53
	v_add_f32_e32 v7, v111, v112
	v_add_f32_e32 v53, v107, v108
	v_add_f32_e32 v12, v12, v54
	v_add_f32_e32 v17, v17, v8
	v_add_f32_e32 v8, v99, v100
	v_add_f32_e32 v13, v13, v55
	v_add_f32_e32 v54, v105, v106
	v_add_f32_e32 v55, v103, v104
	v_add_f32_e32 v16, v16, v7
	v_add_f32_e32 v22, v22, v8
	v_add_f32_e32 v8, v89, v90
	v_add_f32_e32 v18, v18, v53
	v_add_f32_e32 v7, v101, v102
	v_add_f32_e32 v53, v97, v98
	v_add_f32_e32 v19, v19, v54
	v_add_f32_e32 v27, v27, v8
	v_add_f32_e32 v8, v79, v80
	v_add_f32_e32 v20, v20, v55
	v_add_f32_e32 v54, v95, v96
	v_add_f32_e32 v55, v93, v94
	v_add_f32_e32 v21, v21, v7
	v_add_f32_e32 v32, v32, v8
	v_lshlrev_b32_e32 v8, 16, v61
	v_add_f32_e32 v23, v23, v53
	v_add_f32_e32 v7, v91, v92
	;; [unrolled: 1-line block ×3, first 2 shown]
	v_lshlrev_b32_e32 v6, 16, v6
	v_lshlrev_b32_e32 v5, 16, v5
	v_and_or_b32 v0, 0xffff, v0, v8
	v_add_f32_e32 v24, v24, v54
	v_add_f32_e32 v25, v25, v55
	;; [unrolled: 1-line block ×8, first 2 shown]
	v_and_or_b32 v1, 0xffff, v1, v6
	v_and_or_b32 v2, 0xffff, v2, v5
	;;#ASMSTART
	v_pk_mul_f16 v0, v48, v0;

	;;#ASMEND
	;;#ASMSTART
	v_pk_mul_f16 v1, v47, v1;

	;;#ASMEND
	;; [unrolled: 4-line block ×4, first 2 shown]
	;;#ASMSTART
	v_pk_add_f16 v0, v0, v1;

	;;#ASMEND
	;;#ASMSTART
	v_pk_add_f16 v0, v0, v2;

	;;#ASMEND
	;; [unrolled: 4-line block ×3, first 2 shown]
	v_and_b32_e32 v3, 0xffff, v0
	v_lshrrev_b32_e32 v6, 16, v0
	;;#ASMSTART
	v_cvt_f32_f16 v3, v3;
	;;#ASMEND
	v_add_f32_e32 v29, v29, v54
	v_add_f32_e32 v30, v30, v55
	;; [unrolled: 1-line block ×12, first 2 shown]
	;;#ASMSTART
	v_cvt_f32_f16 v6, v6;
	;;#ASMEND
	v_add_f32_e32 v3, v3, v6
	v_add_f32_e32 v34, v34, v54
	;; [unrolled: 1-line block ×10, first 2 shown]
.LBB116_37:                             ;   in Loop: Header=BB116_38 Depth=1
	s_or_b32 exec_lo, exec_lo, s21
	v_add_nc_u32_e32 v123, 4, v123
	v_cmp_le_i32_e32 vcc_lo, s16, v123
	s_or_b32 s20, vcc_lo, s20
	s_andn2_b32 exec_lo, exec_lo, s20
	s_cbranch_execz .LBB116_103
.LBB116_38:                             ; =>This Inner Loop Header: Depth=1
	v_lshlrev_b32_e32 v0, 5, v123
	v_sub_nc_u32_e32 v1, 0, v0
	v_max_i32_e32 v1, v0, v1
	v_mul_hi_u32 v2, v1, s12
	v_mul_lo_u32 v3, v2, s11
	v_sub_nc_u32_e32 v1, v1, v3
	v_add_nc_u32_e32 v3, 1, v2
	v_subrev_nc_u32_e32 v5, s11, v1
	v_cmp_le_u32_e32 vcc_lo, s11, v1
	v_cndmask_b32_e32 v2, v2, v3, vcc_lo
	v_cndmask_b32_e32 v1, v1, v5, vcc_lo
	v_ashrrev_i32_e32 v3, 31, v0
	v_add_nc_u32_e32 v5, 1, v2
	v_cmp_le_u32_e32 vcc_lo, s11, v1
	v_xor_b32_e32 v3, s19, v3
	v_cndmask_b32_e32 v1, v2, v5, vcc_lo
	v_xor_b32_e32 v1, v1, v3
	v_sub_nc_u32_e32 v1, v1, v3
	v_add_nc_u32_e32 v2, s33, v1
	v_cmp_lt_i32_e64 s1, s14, v1
	v_sub_nc_u32_e32 v3, 0, v2
	v_max_i32_e32 v3, v2, v3
	v_ashrrev_i32_e32 v2, 31, v2
	v_mul_hi_u32 v5, v3, v46
	v_mul_lo_u32 v5, v5, s18
	v_sub_nc_u32_e32 v3, v3, v5
	v_subrev_nc_u32_e32 v5, s18, v3
	v_cmp_le_u32_e32 vcc_lo, s18, v3
	v_cndmask_b32_e32 v3, v3, v5, vcc_lo
	v_subrev_nc_u32_e32 v5, s18, v3
	v_cmp_le_u32_e32 vcc_lo, s18, v3
	v_cndmask_b32_e32 v3, v3, v5, vcc_lo
	v_xor_b32_e32 v3, v3, v2
	v_sub_nc_u32_e32 v2, v3, v2
	v_cmp_eq_u32_e32 vcc_lo, 0, v2
	s_or_b32 s1, vcc_lo, s1
	s_and_saveexec_b32 s21, s1
	s_cbranch_execz .LBB116_37
; %bb.39:                               ;   in Loop: Header=BB116_38 Depth=1
	v_ashrrev_i32_e32 v124, 31, v123
	v_or_b32_e32 v53, v0, v43
	v_cmp_eq_u32_e64 s1, s36, v123
	v_lshlrev_b64 v[1:2], 2, v[123:124]
	v_lshl_add_u32 v7, v53, 2, s5
	v_or_b32_e32 v60, 1, v53
	v_or_b32_e32 v58, 2, v53
	;; [unrolled: 1-line block ×3, first 2 shown]
	v_add_co_u32 v1, vcc_lo, s6, v1
	v_add_co_ci_u32_e64 v2, null, s9, v2, vcc_lo
	ds_read2_b64 v[54:57], v7 offset0:2 offset1:3
	global_load_dword v5, v[1:2], off
	ds_read2_b64 v[0:3], v7 offset1:1
	s_waitcnt lgkmcnt(0)
	;;#ASMSTART
	v_cvt_f16_f32 v48, v0;

	;;#ASMEND
	;;#ASMSTART
	v_cvt_f16_f32 v7, v1;

	;;#ASMEND
	;; [unrolled: 4-line block ×8, first 2 shown]
	v_or_b32_e32 v57, 3, v53
	v_or_b32_e32 v55, 4, v53
	;; [unrolled: 1-line block ×4, first 2 shown]
	s_waitcnt vmcnt(0)
	v_mad_i64_i32 v[5:6], null, v5, s13, 0
	v_lshlrev_b64 v[5:6], 1, v[5:6]
	v_add_co_u32 v61, vcc_lo, s15, v5
	v_add_co_ci_u32_e64 v62, null, s17, v6, vcc_lo
	v_add_co_u32 v5, vcc_lo, v61, v44
	v_add_co_ci_u32_e64 v6, null, 0, v62, vcc_lo
	global_load_dwordx4 v[0:3], v[5:6], off
	s_waitcnt vmcnt(0)
	v_lshrrev_b32_e32 v65, 16, v0
	v_lshrrev_b32_e32 v64, 16, v1
	;; [unrolled: 1-line block ×3, first 2 shown]
	s_and_saveexec_b32 s22, s1
	s_cbranch_execz .LBB116_41
; %bb.40:                               ;   in Loop: Header=BB116_38 Depth=1
	v_cmp_gt_i32_e32 vcc_lo, s27, v53
	v_and_b32_e32 v66, 0xffff0000, v3
	v_cmp_gt_i32_e64 s2, s27, v58
	v_cndmask_b32_e32 v0, 0, v0, vcc_lo
	v_cmp_gt_i32_e32 vcc_lo, s27, v60
	v_cndmask_b32_e64 v1, 0, v1, s2
	v_cmp_gt_i32_e64 s2, s27, v57
	v_cndmask_b32_e32 v65, 0, v65, vcc_lo
	v_cmp_gt_i32_e32 vcc_lo, s27, v59
	v_cndmask_b32_e64 v64, 0, v64, s2
	v_cndmask_b32_sdwa v3, v42, v3, vcc_lo dst_sel:DWORD dst_unused:UNUSED_PAD src0_sel:DWORD src1_sel:WORD_0
	v_cmp_gt_i32_e32 vcc_lo, s27, v56
	v_cndmask_b32_e32 v66, 0, v66, vcc_lo
	v_cmp_gt_i32_e32 vcc_lo, s27, v55
	v_or_b32_e32 v3, v3, v66
	v_cndmask_b32_e32 v2, 0, v2, vcc_lo
	v_cmp_gt_i32_e32 vcc_lo, s27, v54
	v_cndmask_b32_e32 v63, 0, v63, vcc_lo
.LBB116_41:                             ;   in Loop: Header=BB116_38 Depth=1
	s_or_b32 exec_lo, exec_lo, s22
	v_and_b32_e32 v48, 0xffff, v48
	v_lshlrev_b32_e32 v65, 16, v65
	v_lshlrev_b32_e32 v63, 16, v63
	v_and_b32_e32 v51, 0xffff, v51
	v_and_b32_e32 v52, 0xffff, v52
	v_lshl_or_b32 v48, v7, 16, v48
	v_lshlrev_b32_e32 v7, 16, v64
	v_and_b32_e32 v50, 0xffff, v50
	v_and_or_b32 v0, 0xffff, v0, v65
	v_and_or_b32 v2, 0xffff, v2, v63
	;;#ASMSTART
	v_pk_mul_f16 v0, v48, v0;

	;;#ASMEND
	v_and_or_b32 v1, 0xffff, v1, v7
	v_lshl_or_b32 v47, v47, 16, v51
	v_lshl_or_b32 v51, v49, 16, v52
	;; [unrolled: 1-line block ×3, first 2 shown]
	;;#ASMSTART
	v_pk_mul_f16 v1, v47, v1;

	;;#ASMEND
	;;#ASMSTART
	v_pk_mul_f16 v2, v51, v2;

	;;#ASMEND
	;; [unrolled: 4-line block ×3, first 2 shown]
	;;#ASMSTART
	v_pk_add_f16 v0, v0, v1;

	;;#ASMEND
	;;#ASMSTART
	v_pk_add_f16 v0, v0, v2;

	;;#ASMEND
	;; [unrolled: 4-line block ×3, first 2 shown]
	v_and_b32_e32 v1, 0xffff, v0
	v_lshrrev_b32_e32 v0, 16, v0
	;;#ASMSTART
	v_cvt_f32_f16 v49, v1;
	;;#ASMEND
	;;#ASMSTART
	v_cvt_f32_f16 v50, v0;
	;;#ASMEND
	global_load_dwordx4 v[0:3], v[5:6], off offset:512
	s_waitcnt vmcnt(0)
	v_lshrrev_b32_e32 v63, 16, v0
	v_lshrrev_b32_e32 v8, 16, v1
	;; [unrolled: 1-line block ×3, first 2 shown]
	s_and_saveexec_b32 s22, s1
	s_cbranch_execz .LBB116_43
; %bb.42:                               ;   in Loop: Header=BB116_38 Depth=1
	v_cmp_gt_i32_e32 vcc_lo, s27, v53
	v_and_b32_e32 v64, 0xffff0000, v3
	v_cmp_gt_i32_e64 s2, s27, v58
	v_cndmask_b32_e32 v0, 0, v0, vcc_lo
	v_cmp_gt_i32_e32 vcc_lo, s27, v60
	v_cndmask_b32_e64 v1, 0, v1, s2
	v_cmp_gt_i32_e64 s2, s27, v57
	v_cndmask_b32_e32 v63, 0, v63, vcc_lo
	v_cmp_gt_i32_e32 vcc_lo, s27, v59
	v_cndmask_b32_e64 v8, 0, v8, s2
	v_cndmask_b32_sdwa v3, v42, v3, vcc_lo dst_sel:DWORD dst_unused:UNUSED_PAD src0_sel:DWORD src1_sel:WORD_0
	v_cmp_gt_i32_e32 vcc_lo, s27, v56
	v_cndmask_b32_e32 v64, 0, v64, vcc_lo
	v_cmp_gt_i32_e32 vcc_lo, s27, v55
	v_or_b32_e32 v3, v3, v64
	v_cndmask_b32_e32 v2, 0, v2, vcc_lo
	v_cmp_gt_i32_e32 vcc_lo, s27, v54
	v_cndmask_b32_e32 v7, 0, v7, vcc_lo
.LBB116_43:                             ;   in Loop: Header=BB116_38 Depth=1
	s_or_b32 exec_lo, exec_lo, s22
	v_lshlrev_b32_e32 v63, 16, v63
	v_lshlrev_b32_e32 v8, 16, v8
	;; [unrolled: 1-line block ×3, first 2 shown]
	v_and_or_b32 v0, 0xffff, v0, v63
	v_and_or_b32 v1, 0xffff, v1, v8
	;; [unrolled: 1-line block ×3, first 2 shown]
	;;#ASMSTART
	v_pk_mul_f16 v0, v48, v0;

	;;#ASMEND
	;;#ASMSTART
	v_pk_mul_f16 v1, v47, v1;

	;;#ASMEND
	;; [unrolled: 4-line block ×4, first 2 shown]
	;;#ASMSTART
	v_pk_add_f16 v0, v0, v1;

	;;#ASMEND
	;;#ASMSTART
	v_pk_add_f16 v0, v0, v2;

	;;#ASMEND
	;; [unrolled: 4-line block ×3, first 2 shown]
	v_and_b32_e32 v1, 0xffff, v0
	v_lshrrev_b32_e32 v0, 16, v0
	;;#ASMSTART
	v_cvt_f32_f16 v63, v1;
	;;#ASMEND
	;;#ASMSTART
	v_cvt_f32_f16 v64, v0;
	;;#ASMEND
	global_load_dwordx4 v[0:3], v[5:6], off offset:1024
	s_waitcnt vmcnt(0)
	v_lshrrev_b32_e32 v65, 16, v0
	v_lshrrev_b32_e32 v8, 16, v1
	;; [unrolled: 1-line block ×3, first 2 shown]
	s_and_saveexec_b32 s22, s1
	s_cbranch_execz .LBB116_45
; %bb.44:                               ;   in Loop: Header=BB116_38 Depth=1
	v_cmp_gt_i32_e32 vcc_lo, s27, v53
	v_and_b32_e32 v66, 0xffff0000, v3
	v_cmp_gt_i32_e64 s2, s27, v58
	v_cndmask_b32_e32 v0, 0, v0, vcc_lo
	v_cmp_gt_i32_e32 vcc_lo, s27, v60
	v_cndmask_b32_e64 v1, 0, v1, s2
	v_cmp_gt_i32_e64 s2, s27, v57
	v_cndmask_b32_e32 v65, 0, v65, vcc_lo
	v_cmp_gt_i32_e32 vcc_lo, s27, v59
	v_cndmask_b32_e64 v8, 0, v8, s2
	v_cndmask_b32_sdwa v3, v42, v3, vcc_lo dst_sel:DWORD dst_unused:UNUSED_PAD src0_sel:DWORD src1_sel:WORD_0
	v_cmp_gt_i32_e32 vcc_lo, s27, v56
	v_cndmask_b32_e32 v66, 0, v66, vcc_lo
	v_cmp_gt_i32_e32 vcc_lo, s27, v55
	v_or_b32_e32 v3, v3, v66
	v_cndmask_b32_e32 v2, 0, v2, vcc_lo
	v_cmp_gt_i32_e32 vcc_lo, s27, v54
	v_cndmask_b32_e32 v7, 0, v7, vcc_lo
.LBB116_45:                             ;   in Loop: Header=BB116_38 Depth=1
	s_or_b32 exec_lo, exec_lo, s22
	v_lshlrev_b32_e32 v65, 16, v65
	v_lshlrev_b32_e32 v8, 16, v8
	;; [unrolled: 1-line block ×3, first 2 shown]
	v_and_or_b32 v0, 0xffff, v0, v65
	v_and_or_b32 v1, 0xffff, v1, v8
	;; [unrolled: 1-line block ×3, first 2 shown]
	;;#ASMSTART
	v_pk_mul_f16 v0, v48, v0;

	;;#ASMEND
	;;#ASMSTART
	v_pk_mul_f16 v1, v47, v1;

	;;#ASMEND
	;;#ASMSTART
	v_pk_mul_f16 v2, v51, v2;

	;;#ASMEND
	;;#ASMSTART
	v_pk_mul_f16 v3, v52, v3;

	;;#ASMEND
	;;#ASMSTART
	v_pk_add_f16 v0, v0, v1;

	;;#ASMEND
	;;#ASMSTART
	v_pk_add_f16 v0, v0, v2;

	;;#ASMEND
	;; [unrolled: 4-line block ×3, first 2 shown]
	v_and_b32_e32 v1, 0xffff, v0
	v_lshrrev_b32_e32 v0, 16, v0
	;;#ASMSTART
	v_cvt_f32_f16 v65, v1;
	;;#ASMEND
	;;#ASMSTART
	v_cvt_f32_f16 v66, v0;
	;;#ASMEND
	global_load_dwordx4 v[0:3], v[5:6], off offset:1536
	s_waitcnt vmcnt(0)
	v_lshrrev_b32_e32 v67, 16, v0
	v_lshrrev_b32_e32 v8, 16, v1
	;; [unrolled: 1-line block ×3, first 2 shown]
	s_and_saveexec_b32 s22, s1
	s_cbranch_execz .LBB116_47
; %bb.46:                               ;   in Loop: Header=BB116_38 Depth=1
	v_cmp_gt_i32_e32 vcc_lo, s27, v53
	v_and_b32_e32 v68, 0xffff0000, v3
	v_cmp_gt_i32_e64 s2, s27, v58
	v_cndmask_b32_e32 v0, 0, v0, vcc_lo
	v_cmp_gt_i32_e32 vcc_lo, s27, v60
	v_cndmask_b32_e64 v1, 0, v1, s2
	v_cmp_gt_i32_e64 s2, s27, v57
	v_cndmask_b32_e32 v67, 0, v67, vcc_lo
	v_cmp_gt_i32_e32 vcc_lo, s27, v59
	v_cndmask_b32_e64 v8, 0, v8, s2
	v_cndmask_b32_sdwa v3, v42, v3, vcc_lo dst_sel:DWORD dst_unused:UNUSED_PAD src0_sel:DWORD src1_sel:WORD_0
	v_cmp_gt_i32_e32 vcc_lo, s27, v56
	v_cndmask_b32_e32 v68, 0, v68, vcc_lo
	v_cmp_gt_i32_e32 vcc_lo, s27, v55
	v_or_b32_e32 v3, v3, v68
	v_cndmask_b32_e32 v2, 0, v2, vcc_lo
	v_cmp_gt_i32_e32 vcc_lo, s27, v54
	v_cndmask_b32_e32 v7, 0, v7, vcc_lo
.LBB116_47:                             ;   in Loop: Header=BB116_38 Depth=1
	s_or_b32 exec_lo, exec_lo, s22
	v_lshlrev_b32_e32 v7, 16, v7
	v_lshlrev_b32_e32 v67, 16, v67
	;; [unrolled: 1-line block ×3, first 2 shown]
	v_and_or_b32 v2, 0xffff, v2, v7
	v_add_co_u32 v7, vcc_lo, 0x800, v5
	v_and_or_b32 v0, 0xffff, v0, v67
	v_and_or_b32 v1, 0xffff, v1, v8
	;;#ASMSTART
	v_pk_mul_f16 v0, v48, v0;

	;;#ASMEND
	v_add_co_ci_u32_e64 v8, null, 0, v6, vcc_lo
	;;#ASMSTART
	v_pk_mul_f16 v1, v47, v1;

	;;#ASMEND
	;;#ASMSTART
	v_pk_mul_f16 v2, v51, v2;

	;;#ASMEND
	;; [unrolled: 4-line block ×3, first 2 shown]
	;;#ASMSTART
	v_pk_add_f16 v0, v0, v1;

	;;#ASMEND
	;;#ASMSTART
	v_pk_add_f16 v0, v0, v2;

	;;#ASMEND
	;; [unrolled: 4-line block ×3, first 2 shown]
	v_lshrrev_b32_e32 v1, 16, v0
	v_and_b32_e32 v0, 0xffff, v0
	;;#ASMSTART
	v_cvt_f32_f16 v67, v0;
	;;#ASMEND
	;;#ASMSTART
	v_cvt_f32_f16 v68, v1;
	;;#ASMEND
	global_load_dwordx4 v[0:3], v[7:8], off
	s_waitcnt vmcnt(0)
	v_lshrrev_b32_e32 v71, 16, v0
	v_lshrrev_b32_e32 v70, 16, v1
	;; [unrolled: 1-line block ×3, first 2 shown]
	s_and_saveexec_b32 s22, s1
	s_cbranch_execz .LBB116_49
; %bb.48:                               ;   in Loop: Header=BB116_38 Depth=1
	v_cmp_gt_i32_e32 vcc_lo, s27, v53
	v_and_b32_e32 v72, 0xffff0000, v3
	v_cmp_gt_i32_e64 s2, s27, v58
	v_cndmask_b32_e32 v0, 0, v0, vcc_lo
	v_cmp_gt_i32_e32 vcc_lo, s27, v60
	v_cndmask_b32_e64 v1, 0, v1, s2
	v_cmp_gt_i32_e64 s2, s27, v57
	v_cndmask_b32_e32 v71, 0, v71, vcc_lo
	v_cmp_gt_i32_e32 vcc_lo, s27, v59
	v_cndmask_b32_e64 v70, 0, v70, s2
	v_cndmask_b32_sdwa v3, v42, v3, vcc_lo dst_sel:DWORD dst_unused:UNUSED_PAD src0_sel:DWORD src1_sel:WORD_0
	v_cmp_gt_i32_e32 vcc_lo, s27, v56
	v_cndmask_b32_e32 v72, 0, v72, vcc_lo
	v_cmp_gt_i32_e32 vcc_lo, s27, v55
	v_or_b32_e32 v3, v3, v72
	v_cndmask_b32_e32 v2, 0, v2, vcc_lo
	v_cmp_gt_i32_e32 vcc_lo, s27, v54
	v_cndmask_b32_e32 v69, 0, v69, vcc_lo
.LBB116_49:                             ;   in Loop: Header=BB116_38 Depth=1
	s_or_b32 exec_lo, exec_lo, s22
	v_lshlrev_b32_e32 v71, 16, v71
	v_lshlrev_b32_e32 v70, 16, v70
	;; [unrolled: 1-line block ×3, first 2 shown]
	v_and_or_b32 v0, 0xffff, v0, v71
	v_and_or_b32 v1, 0xffff, v1, v70
	;; [unrolled: 1-line block ×3, first 2 shown]
	;;#ASMSTART
	v_pk_mul_f16 v0, v48, v0;

	;;#ASMEND
	;;#ASMSTART
	v_pk_mul_f16 v1, v47, v1;

	;;#ASMEND
	;; [unrolled: 4-line block ×4, first 2 shown]
	;;#ASMSTART
	v_pk_add_f16 v0, v0, v1;

	;;#ASMEND
	;;#ASMSTART
	v_pk_add_f16 v0, v0, v2;

	;;#ASMEND
	;;#ASMSTART
	v_pk_add_f16 v0, v0, v3;

	;;#ASMEND
	v_and_b32_e32 v1, 0xffff, v0
	v_lshrrev_b32_e32 v0, 16, v0
	;;#ASMSTART
	v_cvt_f32_f16 v69, v1;
	;;#ASMEND
	;;#ASMSTART
	v_cvt_f32_f16 v70, v0;
	;;#ASMEND
	global_load_dwordx4 v[0:3], v[7:8], off offset:512
	s_waitcnt vmcnt(0)
	v_lshrrev_b32_e32 v73, 16, v0
	v_lshrrev_b32_e32 v72, 16, v1
	;; [unrolled: 1-line block ×3, first 2 shown]
	s_and_saveexec_b32 s22, s1
	s_cbranch_execz .LBB116_51
; %bb.50:                               ;   in Loop: Header=BB116_38 Depth=1
	v_cmp_gt_i32_e32 vcc_lo, s27, v53
	v_and_b32_e32 v74, 0xffff0000, v3
	v_cmp_gt_i32_e64 s2, s27, v58
	v_cndmask_b32_e32 v0, 0, v0, vcc_lo
	v_cmp_gt_i32_e32 vcc_lo, s27, v60
	v_cndmask_b32_e64 v1, 0, v1, s2
	v_cmp_gt_i32_e64 s2, s27, v57
	v_cndmask_b32_e32 v73, 0, v73, vcc_lo
	v_cmp_gt_i32_e32 vcc_lo, s27, v59
	v_cndmask_b32_e64 v72, 0, v72, s2
	v_cndmask_b32_sdwa v3, v42, v3, vcc_lo dst_sel:DWORD dst_unused:UNUSED_PAD src0_sel:DWORD src1_sel:WORD_0
	v_cmp_gt_i32_e32 vcc_lo, s27, v56
	v_cndmask_b32_e32 v74, 0, v74, vcc_lo
	v_cmp_gt_i32_e32 vcc_lo, s27, v55
	v_or_b32_e32 v3, v3, v74
	v_cndmask_b32_e32 v2, 0, v2, vcc_lo
	v_cmp_gt_i32_e32 vcc_lo, s27, v54
	v_cndmask_b32_e32 v71, 0, v71, vcc_lo
.LBB116_51:                             ;   in Loop: Header=BB116_38 Depth=1
	s_or_b32 exec_lo, exec_lo, s22
	v_lshlrev_b32_e32 v73, 16, v73
	v_lshlrev_b32_e32 v72, 16, v72
	;; [unrolled: 1-line block ×3, first 2 shown]
	v_and_or_b32 v0, 0xffff, v0, v73
	v_and_or_b32 v1, 0xffff, v1, v72
	v_and_or_b32 v2, 0xffff, v2, v71
	;;#ASMSTART
	v_pk_mul_f16 v0, v48, v0;

	;;#ASMEND
	;;#ASMSTART
	v_pk_mul_f16 v1, v47, v1;

	;;#ASMEND
	;; [unrolled: 4-line block ×4, first 2 shown]
	;;#ASMSTART
	v_pk_add_f16 v0, v0, v1;

	;;#ASMEND
	;;#ASMSTART
	v_pk_add_f16 v0, v0, v2;

	;;#ASMEND
	;; [unrolled: 4-line block ×3, first 2 shown]
	v_and_b32_e32 v1, 0xffff, v0
	v_lshrrev_b32_e32 v0, 16, v0
	;;#ASMSTART
	v_cvt_f32_f16 v71, v1;
	;;#ASMEND
	;;#ASMSTART
	v_cvt_f32_f16 v72, v0;
	;;#ASMEND
	global_load_dwordx4 v[0:3], v[7:8], off offset:1024
	s_waitcnt vmcnt(0)
	v_lshrrev_b32_e32 v75, 16, v0
	v_lshrrev_b32_e32 v74, 16, v1
	;; [unrolled: 1-line block ×3, first 2 shown]
	s_and_saveexec_b32 s22, s1
	s_cbranch_execz .LBB116_53
; %bb.52:                               ;   in Loop: Header=BB116_38 Depth=1
	v_cmp_gt_i32_e32 vcc_lo, s27, v53
	v_and_b32_e32 v76, 0xffff0000, v3
	v_cmp_gt_i32_e64 s2, s27, v58
	v_cndmask_b32_e32 v0, 0, v0, vcc_lo
	v_cmp_gt_i32_e32 vcc_lo, s27, v60
	v_cndmask_b32_e64 v1, 0, v1, s2
	v_cmp_gt_i32_e64 s2, s27, v57
	v_cndmask_b32_e32 v75, 0, v75, vcc_lo
	v_cmp_gt_i32_e32 vcc_lo, s27, v59
	v_cndmask_b32_e64 v74, 0, v74, s2
	v_cndmask_b32_sdwa v3, v42, v3, vcc_lo dst_sel:DWORD dst_unused:UNUSED_PAD src0_sel:DWORD src1_sel:WORD_0
	v_cmp_gt_i32_e32 vcc_lo, s27, v56
	v_cndmask_b32_e32 v76, 0, v76, vcc_lo
	v_cmp_gt_i32_e32 vcc_lo, s27, v55
	v_or_b32_e32 v3, v3, v76
	v_cndmask_b32_e32 v2, 0, v2, vcc_lo
	v_cmp_gt_i32_e32 vcc_lo, s27, v54
	v_cndmask_b32_e32 v73, 0, v73, vcc_lo
.LBB116_53:                             ;   in Loop: Header=BB116_38 Depth=1
	s_or_b32 exec_lo, exec_lo, s22
	v_lshlrev_b32_e32 v75, 16, v75
	v_lshlrev_b32_e32 v74, 16, v74
	;; [unrolled: 1-line block ×3, first 2 shown]
	v_and_or_b32 v0, 0xffff, v0, v75
	v_and_or_b32 v1, 0xffff, v1, v74
	v_and_or_b32 v2, 0xffff, v2, v73
	;;#ASMSTART
	v_pk_mul_f16 v0, v48, v0;

	;;#ASMEND
	;;#ASMSTART
	v_pk_mul_f16 v1, v47, v1;

	;;#ASMEND
	;; [unrolled: 4-line block ×4, first 2 shown]
	;;#ASMSTART
	v_pk_add_f16 v0, v0, v1;

	;;#ASMEND
	;;#ASMSTART
	v_pk_add_f16 v0, v0, v2;

	;;#ASMEND
	;; [unrolled: 4-line block ×3, first 2 shown]
	v_and_b32_e32 v1, 0xffff, v0
	v_lshrrev_b32_e32 v0, 16, v0
	;;#ASMSTART
	v_cvt_f32_f16 v73, v1;
	;;#ASMEND
	;;#ASMSTART
	v_cvt_f32_f16 v74, v0;
	;;#ASMEND
	global_load_dwordx4 v[0:3], v[7:8], off offset:1536
	s_waitcnt vmcnt(0)
	v_lshrrev_b32_e32 v75, 16, v0
	v_lshrrev_b32_e32 v8, 16, v1
	;; [unrolled: 1-line block ×3, first 2 shown]
	s_and_saveexec_b32 s22, s1
	s_cbranch_execz .LBB116_55
; %bb.54:                               ;   in Loop: Header=BB116_38 Depth=1
	v_cmp_gt_i32_e32 vcc_lo, s27, v53
	v_and_b32_e32 v76, 0xffff0000, v3
	v_cmp_gt_i32_e64 s2, s27, v58
	v_cndmask_b32_e32 v0, 0, v0, vcc_lo
	v_cmp_gt_i32_e32 vcc_lo, s27, v60
	v_cndmask_b32_e64 v1, 0, v1, s2
	v_cmp_gt_i32_e64 s2, s27, v57
	v_cndmask_b32_e32 v75, 0, v75, vcc_lo
	v_cmp_gt_i32_e32 vcc_lo, s27, v59
	v_cndmask_b32_e64 v8, 0, v8, s2
	v_cndmask_b32_sdwa v3, v42, v3, vcc_lo dst_sel:DWORD dst_unused:UNUSED_PAD src0_sel:DWORD src1_sel:WORD_0
	v_cmp_gt_i32_e32 vcc_lo, s27, v56
	v_cndmask_b32_e32 v76, 0, v76, vcc_lo
	v_cmp_gt_i32_e32 vcc_lo, s27, v55
	v_or_b32_e32 v3, v3, v76
	v_cndmask_b32_e32 v2, 0, v2, vcc_lo
	v_cmp_gt_i32_e32 vcc_lo, s27, v54
	v_cndmask_b32_e32 v7, 0, v7, vcc_lo
.LBB116_55:                             ;   in Loop: Header=BB116_38 Depth=1
	s_or_b32 exec_lo, exec_lo, s22
	v_lshlrev_b32_e32 v7, 16, v7
	v_lshlrev_b32_e32 v75, 16, v75
	v_lshlrev_b32_e32 v8, 16, v8
	v_and_or_b32 v2, 0xffff, v2, v7
	v_add_co_u32 v7, vcc_lo, 0x1000, v5
	v_and_or_b32 v0, 0xffff, v0, v75
	v_and_or_b32 v1, 0xffff, v1, v8
	;;#ASMSTART
	v_pk_mul_f16 v0, v48, v0;

	;;#ASMEND
	v_add_co_ci_u32_e64 v8, null, 0, v6, vcc_lo
	;;#ASMSTART
	v_pk_mul_f16 v1, v47, v1;

	;;#ASMEND
	;;#ASMSTART
	v_pk_mul_f16 v2, v51, v2;

	;;#ASMEND
	;;#ASMSTART
	v_pk_mul_f16 v3, v52, v3;

	;;#ASMEND
	;;#ASMSTART
	v_pk_add_f16 v0, v0, v1;

	;;#ASMEND
	;;#ASMSTART
	v_pk_add_f16 v0, v0, v2;

	;;#ASMEND
	;; [unrolled: 4-line block ×3, first 2 shown]
	v_lshrrev_b32_e32 v1, 16, v0
	v_and_b32_e32 v0, 0xffff, v0
	;;#ASMSTART
	v_cvt_f32_f16 v75, v0;
	;;#ASMEND
	;;#ASMSTART
	v_cvt_f32_f16 v76, v1;
	;;#ASMEND
	global_load_dwordx4 v[0:3], v[7:8], off
	s_waitcnt vmcnt(0)
	v_lshrrev_b32_e32 v79, 16, v0
	v_lshrrev_b32_e32 v78, 16, v1
	v_lshrrev_b32_e32 v77, 16, v2
	s_and_saveexec_b32 s22, s1
	s_cbranch_execz .LBB116_57
; %bb.56:                               ;   in Loop: Header=BB116_38 Depth=1
	v_cmp_gt_i32_e32 vcc_lo, s27, v53
	v_and_b32_e32 v80, 0xffff0000, v3
	v_cmp_gt_i32_e64 s2, s27, v58
	v_cndmask_b32_e32 v0, 0, v0, vcc_lo
	v_cmp_gt_i32_e32 vcc_lo, s27, v60
	v_cndmask_b32_e64 v1, 0, v1, s2
	v_cmp_gt_i32_e64 s2, s27, v57
	v_cndmask_b32_e32 v79, 0, v79, vcc_lo
	v_cmp_gt_i32_e32 vcc_lo, s27, v59
	v_cndmask_b32_e64 v78, 0, v78, s2
	v_cndmask_b32_sdwa v3, v42, v3, vcc_lo dst_sel:DWORD dst_unused:UNUSED_PAD src0_sel:DWORD src1_sel:WORD_0
	v_cmp_gt_i32_e32 vcc_lo, s27, v56
	v_cndmask_b32_e32 v80, 0, v80, vcc_lo
	v_cmp_gt_i32_e32 vcc_lo, s27, v55
	v_or_b32_e32 v3, v3, v80
	v_cndmask_b32_e32 v2, 0, v2, vcc_lo
	v_cmp_gt_i32_e32 vcc_lo, s27, v54
	v_cndmask_b32_e32 v77, 0, v77, vcc_lo
.LBB116_57:                             ;   in Loop: Header=BB116_38 Depth=1
	s_or_b32 exec_lo, exec_lo, s22
	v_lshlrev_b32_e32 v79, 16, v79
	v_lshlrev_b32_e32 v78, 16, v78
	v_lshlrev_b32_e32 v77, 16, v77
	v_and_or_b32 v0, 0xffff, v0, v79
	v_and_or_b32 v1, 0xffff, v1, v78
	;; [unrolled: 1-line block ×3, first 2 shown]
	;;#ASMSTART
	v_pk_mul_f16 v0, v48, v0;

	;;#ASMEND
	;;#ASMSTART
	v_pk_mul_f16 v1, v47, v1;

	;;#ASMEND
	;; [unrolled: 4-line block ×4, first 2 shown]
	;;#ASMSTART
	v_pk_add_f16 v0, v0, v1;

	;;#ASMEND
	;;#ASMSTART
	v_pk_add_f16 v0, v0, v2;

	;;#ASMEND
	;; [unrolled: 4-line block ×3, first 2 shown]
	v_and_b32_e32 v1, 0xffff, v0
	v_lshrrev_b32_e32 v0, 16, v0
	;;#ASMSTART
	v_cvt_f32_f16 v77, v1;
	;;#ASMEND
	;;#ASMSTART
	v_cvt_f32_f16 v78, v0;
	;;#ASMEND
	global_load_dwordx4 v[0:3], v[7:8], off offset:512
	s_waitcnt vmcnt(0)
	v_lshrrev_b32_e32 v81, 16, v0
	v_lshrrev_b32_e32 v80, 16, v1
	;; [unrolled: 1-line block ×3, first 2 shown]
	s_and_saveexec_b32 s22, s1
	s_cbranch_execz .LBB116_59
; %bb.58:                               ;   in Loop: Header=BB116_38 Depth=1
	v_cmp_gt_i32_e32 vcc_lo, s27, v53
	v_and_b32_e32 v82, 0xffff0000, v3
	v_cmp_gt_i32_e64 s2, s27, v58
	v_cndmask_b32_e32 v0, 0, v0, vcc_lo
	v_cmp_gt_i32_e32 vcc_lo, s27, v60
	v_cndmask_b32_e64 v1, 0, v1, s2
	v_cmp_gt_i32_e64 s2, s27, v57
	v_cndmask_b32_e32 v81, 0, v81, vcc_lo
	v_cmp_gt_i32_e32 vcc_lo, s27, v59
	v_cndmask_b32_e64 v80, 0, v80, s2
	v_cndmask_b32_sdwa v3, v42, v3, vcc_lo dst_sel:DWORD dst_unused:UNUSED_PAD src0_sel:DWORD src1_sel:WORD_0
	v_cmp_gt_i32_e32 vcc_lo, s27, v56
	v_cndmask_b32_e32 v82, 0, v82, vcc_lo
	v_cmp_gt_i32_e32 vcc_lo, s27, v55
	v_or_b32_e32 v3, v3, v82
	v_cndmask_b32_e32 v2, 0, v2, vcc_lo
	v_cmp_gt_i32_e32 vcc_lo, s27, v54
	v_cndmask_b32_e32 v79, 0, v79, vcc_lo
.LBB116_59:                             ;   in Loop: Header=BB116_38 Depth=1
	s_or_b32 exec_lo, exec_lo, s22
	v_lshlrev_b32_e32 v81, 16, v81
	v_lshlrev_b32_e32 v80, 16, v80
	;; [unrolled: 1-line block ×3, first 2 shown]
	v_and_or_b32 v0, 0xffff, v0, v81
	v_and_or_b32 v1, 0xffff, v1, v80
	v_and_or_b32 v2, 0xffff, v2, v79
	;;#ASMSTART
	v_pk_mul_f16 v0, v48, v0;

	;;#ASMEND
	;;#ASMSTART
	v_pk_mul_f16 v1, v47, v1;

	;;#ASMEND
	;; [unrolled: 4-line block ×4, first 2 shown]
	;;#ASMSTART
	v_pk_add_f16 v0, v0, v1;

	;;#ASMEND
	;;#ASMSTART
	v_pk_add_f16 v0, v0, v2;

	;;#ASMEND
	;; [unrolled: 4-line block ×3, first 2 shown]
	v_and_b32_e32 v1, 0xffff, v0
	v_lshrrev_b32_e32 v0, 16, v0
	;;#ASMSTART
	v_cvt_f32_f16 v79, v1;
	;;#ASMEND
	;;#ASMSTART
	v_cvt_f32_f16 v80, v0;
	;;#ASMEND
	global_load_dwordx4 v[0:3], v[7:8], off offset:1024
	s_waitcnt vmcnt(0)
	v_lshrrev_b32_e32 v83, 16, v0
	v_lshrrev_b32_e32 v82, 16, v1
	;; [unrolled: 1-line block ×3, first 2 shown]
	s_and_saveexec_b32 s22, s1
	s_cbranch_execz .LBB116_61
; %bb.60:                               ;   in Loop: Header=BB116_38 Depth=1
	v_cmp_gt_i32_e32 vcc_lo, s27, v53
	v_and_b32_e32 v84, 0xffff0000, v3
	v_cmp_gt_i32_e64 s2, s27, v58
	v_cndmask_b32_e32 v0, 0, v0, vcc_lo
	v_cmp_gt_i32_e32 vcc_lo, s27, v60
	v_cndmask_b32_e64 v1, 0, v1, s2
	v_cmp_gt_i32_e64 s2, s27, v57
	v_cndmask_b32_e32 v83, 0, v83, vcc_lo
	v_cmp_gt_i32_e32 vcc_lo, s27, v59
	v_cndmask_b32_e64 v82, 0, v82, s2
	v_cndmask_b32_sdwa v3, v42, v3, vcc_lo dst_sel:DWORD dst_unused:UNUSED_PAD src0_sel:DWORD src1_sel:WORD_0
	v_cmp_gt_i32_e32 vcc_lo, s27, v56
	v_cndmask_b32_e32 v84, 0, v84, vcc_lo
	v_cmp_gt_i32_e32 vcc_lo, s27, v55
	v_or_b32_e32 v3, v3, v84
	v_cndmask_b32_e32 v2, 0, v2, vcc_lo
	v_cmp_gt_i32_e32 vcc_lo, s27, v54
	v_cndmask_b32_e32 v81, 0, v81, vcc_lo
.LBB116_61:                             ;   in Loop: Header=BB116_38 Depth=1
	s_or_b32 exec_lo, exec_lo, s22
	v_lshlrev_b32_e32 v83, 16, v83
	v_lshlrev_b32_e32 v82, 16, v82
	;; [unrolled: 1-line block ×3, first 2 shown]
	v_and_or_b32 v0, 0xffff, v0, v83
	v_and_or_b32 v1, 0xffff, v1, v82
	;; [unrolled: 1-line block ×3, first 2 shown]
	;;#ASMSTART
	v_pk_mul_f16 v0, v48, v0;

	;;#ASMEND
	;;#ASMSTART
	v_pk_mul_f16 v1, v47, v1;

	;;#ASMEND
	;; [unrolled: 4-line block ×4, first 2 shown]
	;;#ASMSTART
	v_pk_add_f16 v0, v0, v1;

	;;#ASMEND
	;;#ASMSTART
	v_pk_add_f16 v0, v0, v2;

	;;#ASMEND
	;; [unrolled: 4-line block ×3, first 2 shown]
	v_and_b32_e32 v1, 0xffff, v0
	v_lshrrev_b32_e32 v0, 16, v0
	;;#ASMSTART
	v_cvt_f32_f16 v81, v1;
	;;#ASMEND
	;;#ASMSTART
	v_cvt_f32_f16 v82, v0;
	;;#ASMEND
	global_load_dwordx4 v[0:3], v[7:8], off offset:1536
	s_waitcnt vmcnt(0)
	v_lshrrev_b32_e32 v83, 16, v0
	v_lshrrev_b32_e32 v8, 16, v1
	;; [unrolled: 1-line block ×3, first 2 shown]
	s_and_saveexec_b32 s22, s1
	s_cbranch_execz .LBB116_63
; %bb.62:                               ;   in Loop: Header=BB116_38 Depth=1
	v_cmp_gt_i32_e32 vcc_lo, s27, v53
	v_and_b32_e32 v84, 0xffff0000, v3
	v_cmp_gt_i32_e64 s2, s27, v58
	v_cndmask_b32_e32 v0, 0, v0, vcc_lo
	v_cmp_gt_i32_e32 vcc_lo, s27, v60
	v_cndmask_b32_e64 v1, 0, v1, s2
	v_cmp_gt_i32_e64 s2, s27, v57
	v_cndmask_b32_e32 v83, 0, v83, vcc_lo
	v_cmp_gt_i32_e32 vcc_lo, s27, v59
	v_cndmask_b32_e64 v8, 0, v8, s2
	v_cndmask_b32_sdwa v3, v42, v3, vcc_lo dst_sel:DWORD dst_unused:UNUSED_PAD src0_sel:DWORD src1_sel:WORD_0
	v_cmp_gt_i32_e32 vcc_lo, s27, v56
	v_cndmask_b32_e32 v84, 0, v84, vcc_lo
	v_cmp_gt_i32_e32 vcc_lo, s27, v55
	v_or_b32_e32 v3, v3, v84
	v_cndmask_b32_e32 v2, 0, v2, vcc_lo
	v_cmp_gt_i32_e32 vcc_lo, s27, v54
	v_cndmask_b32_e32 v7, 0, v7, vcc_lo
.LBB116_63:                             ;   in Loop: Header=BB116_38 Depth=1
	s_or_b32 exec_lo, exec_lo, s22
	v_lshlrev_b32_e32 v7, 16, v7
	v_lshlrev_b32_e32 v83, 16, v83
	v_lshlrev_b32_e32 v8, 16, v8
	v_and_or_b32 v2, 0xffff, v2, v7
	v_add_co_u32 v7, vcc_lo, 0x1800, v5
	v_and_or_b32 v0, 0xffff, v0, v83
	v_and_or_b32 v1, 0xffff, v1, v8
	;;#ASMSTART
	v_pk_mul_f16 v0, v48, v0;

	;;#ASMEND
	v_add_co_ci_u32_e64 v8, null, 0, v6, vcc_lo
	;;#ASMSTART
	v_pk_mul_f16 v1, v47, v1;

	;;#ASMEND
	;;#ASMSTART
	v_pk_mul_f16 v2, v51, v2;

	;;#ASMEND
	;; [unrolled: 4-line block ×3, first 2 shown]
	;;#ASMSTART
	v_pk_add_f16 v0, v0, v1;

	;;#ASMEND
	;;#ASMSTART
	v_pk_add_f16 v0, v0, v2;

	;;#ASMEND
	;; [unrolled: 4-line block ×3, first 2 shown]
	v_lshrrev_b32_e32 v1, 16, v0
	v_and_b32_e32 v0, 0xffff, v0
	;;#ASMSTART
	v_cvt_f32_f16 v83, v0;
	;;#ASMEND
	;;#ASMSTART
	v_cvt_f32_f16 v84, v1;
	;;#ASMEND
	global_load_dwordx4 v[0:3], v[7:8], off
	s_waitcnt vmcnt(0)
	v_lshrrev_b32_e32 v87, 16, v0
	v_lshrrev_b32_e32 v86, 16, v1
	;; [unrolled: 1-line block ×3, first 2 shown]
	s_and_saveexec_b32 s22, s1
	s_cbranch_execz .LBB116_65
; %bb.64:                               ;   in Loop: Header=BB116_38 Depth=1
	v_cmp_gt_i32_e32 vcc_lo, s27, v53
	v_and_b32_e32 v88, 0xffff0000, v3
	v_cmp_gt_i32_e64 s2, s27, v58
	v_cndmask_b32_e32 v0, 0, v0, vcc_lo
	v_cmp_gt_i32_e32 vcc_lo, s27, v60
	v_cndmask_b32_e64 v1, 0, v1, s2
	v_cmp_gt_i32_e64 s2, s27, v57
	v_cndmask_b32_e32 v87, 0, v87, vcc_lo
	v_cmp_gt_i32_e32 vcc_lo, s27, v59
	v_cndmask_b32_e64 v86, 0, v86, s2
	v_cndmask_b32_sdwa v3, v42, v3, vcc_lo dst_sel:DWORD dst_unused:UNUSED_PAD src0_sel:DWORD src1_sel:WORD_0
	v_cmp_gt_i32_e32 vcc_lo, s27, v56
	v_cndmask_b32_e32 v88, 0, v88, vcc_lo
	v_cmp_gt_i32_e32 vcc_lo, s27, v55
	v_or_b32_e32 v3, v3, v88
	v_cndmask_b32_e32 v2, 0, v2, vcc_lo
	v_cmp_gt_i32_e32 vcc_lo, s27, v54
	v_cndmask_b32_e32 v85, 0, v85, vcc_lo
.LBB116_65:                             ;   in Loop: Header=BB116_38 Depth=1
	s_or_b32 exec_lo, exec_lo, s22
	v_lshlrev_b32_e32 v87, 16, v87
	v_lshlrev_b32_e32 v86, 16, v86
	;; [unrolled: 1-line block ×3, first 2 shown]
	v_and_or_b32 v0, 0xffff, v0, v87
	v_and_or_b32 v1, 0xffff, v1, v86
	;; [unrolled: 1-line block ×3, first 2 shown]
	;;#ASMSTART
	v_pk_mul_f16 v0, v48, v0;

	;;#ASMEND
	;;#ASMSTART
	v_pk_mul_f16 v1, v47, v1;

	;;#ASMEND
	;; [unrolled: 4-line block ×4, first 2 shown]
	;;#ASMSTART
	v_pk_add_f16 v0, v0, v1;

	;;#ASMEND
	;;#ASMSTART
	v_pk_add_f16 v0, v0, v2;

	;;#ASMEND
	;; [unrolled: 4-line block ×3, first 2 shown]
	v_and_b32_e32 v1, 0xffff, v0
	v_lshrrev_b32_e32 v0, 16, v0
	;;#ASMSTART
	v_cvt_f32_f16 v85, v1;
	;;#ASMEND
	;;#ASMSTART
	v_cvt_f32_f16 v86, v0;
	;;#ASMEND
	global_load_dwordx4 v[0:3], v[7:8], off offset:512
	s_waitcnt vmcnt(0)
	v_lshrrev_b32_e32 v89, 16, v0
	v_lshrrev_b32_e32 v88, 16, v1
	;; [unrolled: 1-line block ×3, first 2 shown]
	s_and_saveexec_b32 s22, s1
	s_cbranch_execz .LBB116_67
; %bb.66:                               ;   in Loop: Header=BB116_38 Depth=1
	v_cmp_gt_i32_e32 vcc_lo, s27, v53
	v_and_b32_e32 v90, 0xffff0000, v3
	v_cmp_gt_i32_e64 s2, s27, v58
	v_cndmask_b32_e32 v0, 0, v0, vcc_lo
	v_cmp_gt_i32_e32 vcc_lo, s27, v60
	v_cndmask_b32_e64 v1, 0, v1, s2
	v_cmp_gt_i32_e64 s2, s27, v57
	v_cndmask_b32_e32 v89, 0, v89, vcc_lo
	v_cmp_gt_i32_e32 vcc_lo, s27, v59
	v_cndmask_b32_e64 v88, 0, v88, s2
	v_cndmask_b32_sdwa v3, v42, v3, vcc_lo dst_sel:DWORD dst_unused:UNUSED_PAD src0_sel:DWORD src1_sel:WORD_0
	v_cmp_gt_i32_e32 vcc_lo, s27, v56
	v_cndmask_b32_e32 v90, 0, v90, vcc_lo
	v_cmp_gt_i32_e32 vcc_lo, s27, v55
	v_or_b32_e32 v3, v3, v90
	v_cndmask_b32_e32 v2, 0, v2, vcc_lo
	v_cmp_gt_i32_e32 vcc_lo, s27, v54
	v_cndmask_b32_e32 v87, 0, v87, vcc_lo
.LBB116_67:                             ;   in Loop: Header=BB116_38 Depth=1
	s_or_b32 exec_lo, exec_lo, s22
	v_lshlrev_b32_e32 v89, 16, v89
	v_lshlrev_b32_e32 v88, 16, v88
	;; [unrolled: 1-line block ×3, first 2 shown]
	v_and_or_b32 v0, 0xffff, v0, v89
	v_and_or_b32 v1, 0xffff, v1, v88
	;; [unrolled: 1-line block ×3, first 2 shown]
	;;#ASMSTART
	v_pk_mul_f16 v0, v48, v0;

	;;#ASMEND
	;;#ASMSTART
	v_pk_mul_f16 v1, v47, v1;

	;;#ASMEND
	;; [unrolled: 4-line block ×4, first 2 shown]
	;;#ASMSTART
	v_pk_add_f16 v0, v0, v1;

	;;#ASMEND
	;;#ASMSTART
	v_pk_add_f16 v0, v0, v2;

	;;#ASMEND
	;; [unrolled: 4-line block ×3, first 2 shown]
	v_and_b32_e32 v1, 0xffff, v0
	v_lshrrev_b32_e32 v0, 16, v0
	;;#ASMSTART
	v_cvt_f32_f16 v87, v1;
	;;#ASMEND
	;;#ASMSTART
	v_cvt_f32_f16 v88, v0;
	;;#ASMEND
	global_load_dwordx4 v[0:3], v[7:8], off offset:1024
	s_waitcnt vmcnt(0)
	v_lshrrev_b32_e32 v91, 16, v0
	v_lshrrev_b32_e32 v90, 16, v1
	;; [unrolled: 1-line block ×3, first 2 shown]
	s_and_saveexec_b32 s22, s1
	s_cbranch_execz .LBB116_69
; %bb.68:                               ;   in Loop: Header=BB116_38 Depth=1
	v_cmp_gt_i32_e32 vcc_lo, s27, v53
	v_and_b32_e32 v92, 0xffff0000, v3
	v_cmp_gt_i32_e64 s2, s27, v58
	v_cndmask_b32_e32 v0, 0, v0, vcc_lo
	v_cmp_gt_i32_e32 vcc_lo, s27, v60
	v_cndmask_b32_e64 v1, 0, v1, s2
	v_cmp_gt_i32_e64 s2, s27, v57
	v_cndmask_b32_e32 v91, 0, v91, vcc_lo
	v_cmp_gt_i32_e32 vcc_lo, s27, v59
	v_cndmask_b32_e64 v90, 0, v90, s2
	v_cndmask_b32_sdwa v3, v42, v3, vcc_lo dst_sel:DWORD dst_unused:UNUSED_PAD src0_sel:DWORD src1_sel:WORD_0
	v_cmp_gt_i32_e32 vcc_lo, s27, v56
	v_cndmask_b32_e32 v92, 0, v92, vcc_lo
	v_cmp_gt_i32_e32 vcc_lo, s27, v55
	v_or_b32_e32 v3, v3, v92
	v_cndmask_b32_e32 v2, 0, v2, vcc_lo
	v_cmp_gt_i32_e32 vcc_lo, s27, v54
	v_cndmask_b32_e32 v89, 0, v89, vcc_lo
.LBB116_69:                             ;   in Loop: Header=BB116_38 Depth=1
	s_or_b32 exec_lo, exec_lo, s22
	v_lshlrev_b32_e32 v91, 16, v91
	v_lshlrev_b32_e32 v90, 16, v90
	;; [unrolled: 1-line block ×3, first 2 shown]
	v_and_or_b32 v0, 0xffff, v0, v91
	v_and_or_b32 v1, 0xffff, v1, v90
	;; [unrolled: 1-line block ×3, first 2 shown]
	;;#ASMSTART
	v_pk_mul_f16 v0, v48, v0;

	;;#ASMEND
	;;#ASMSTART
	v_pk_mul_f16 v1, v47, v1;

	;;#ASMEND
	;; [unrolled: 4-line block ×4, first 2 shown]
	;;#ASMSTART
	v_pk_add_f16 v0, v0, v1;

	;;#ASMEND
	;;#ASMSTART
	v_pk_add_f16 v0, v0, v2;

	;;#ASMEND
	;; [unrolled: 4-line block ×3, first 2 shown]
	v_and_b32_e32 v1, 0xffff, v0
	v_lshrrev_b32_e32 v0, 16, v0
	;;#ASMSTART
	v_cvt_f32_f16 v89, v1;
	;;#ASMEND
	;;#ASMSTART
	v_cvt_f32_f16 v90, v0;
	;;#ASMEND
	global_load_dwordx4 v[0:3], v[7:8], off offset:1536
	s_waitcnt vmcnt(0)
	v_lshrrev_b32_e32 v91, 16, v0
	v_lshrrev_b32_e32 v8, 16, v1
	v_lshrrev_b32_e32 v7, 16, v2
	s_and_saveexec_b32 s22, s1
	s_cbranch_execz .LBB116_71
; %bb.70:                               ;   in Loop: Header=BB116_38 Depth=1
	v_cmp_gt_i32_e32 vcc_lo, s27, v53
	v_and_b32_e32 v92, 0xffff0000, v3
	v_cmp_gt_i32_e64 s2, s27, v58
	v_cndmask_b32_e32 v0, 0, v0, vcc_lo
	v_cmp_gt_i32_e32 vcc_lo, s27, v60
	v_cndmask_b32_e64 v1, 0, v1, s2
	v_cmp_gt_i32_e64 s2, s27, v57
	v_cndmask_b32_e32 v91, 0, v91, vcc_lo
	v_cmp_gt_i32_e32 vcc_lo, s27, v59
	v_cndmask_b32_e64 v8, 0, v8, s2
	v_cndmask_b32_sdwa v3, v42, v3, vcc_lo dst_sel:DWORD dst_unused:UNUSED_PAD src0_sel:DWORD src1_sel:WORD_0
	v_cmp_gt_i32_e32 vcc_lo, s27, v56
	v_cndmask_b32_e32 v92, 0, v92, vcc_lo
	v_cmp_gt_i32_e32 vcc_lo, s27, v55
	v_or_b32_e32 v3, v3, v92
	v_cndmask_b32_e32 v2, 0, v2, vcc_lo
	v_cmp_gt_i32_e32 vcc_lo, s27, v54
	v_cndmask_b32_e32 v7, 0, v7, vcc_lo
.LBB116_71:                             ;   in Loop: Header=BB116_38 Depth=1
	s_or_b32 exec_lo, exec_lo, s22
	v_lshlrev_b32_e32 v7, 16, v7
	v_lshlrev_b32_e32 v91, 16, v91
	;; [unrolled: 1-line block ×3, first 2 shown]
	v_and_or_b32 v2, 0xffff, v2, v7
	v_add_co_u32 v7, vcc_lo, 0x2000, v5
	v_and_or_b32 v0, 0xffff, v0, v91
	v_and_or_b32 v1, 0xffff, v1, v8
	;;#ASMSTART
	v_pk_mul_f16 v0, v48, v0;

	;;#ASMEND
	v_add_co_ci_u32_e64 v8, null, 0, v6, vcc_lo
	;;#ASMSTART
	v_pk_mul_f16 v1, v47, v1;

	;;#ASMEND
	;;#ASMSTART
	v_pk_mul_f16 v2, v51, v2;

	;;#ASMEND
	;;#ASMSTART
	v_pk_mul_f16 v3, v52, v3;

	;;#ASMEND
	;;#ASMSTART
	v_pk_add_f16 v0, v0, v1;

	;;#ASMEND
	;;#ASMSTART
	v_pk_add_f16 v0, v0, v2;

	;;#ASMEND
	;; [unrolled: 4-line block ×3, first 2 shown]
	v_lshrrev_b32_e32 v1, 16, v0
	v_and_b32_e32 v0, 0xffff, v0
	;;#ASMSTART
	v_cvt_f32_f16 v91, v0;
	;;#ASMEND
	;;#ASMSTART
	v_cvt_f32_f16 v92, v1;
	;;#ASMEND
	global_load_dwordx4 v[0:3], v[7:8], off
	s_waitcnt vmcnt(0)
	v_lshrrev_b32_e32 v95, 16, v0
	v_lshrrev_b32_e32 v94, 16, v1
	v_lshrrev_b32_e32 v93, 16, v2
	s_and_saveexec_b32 s22, s1
	s_cbranch_execz .LBB116_73
; %bb.72:                               ;   in Loop: Header=BB116_38 Depth=1
	v_cmp_gt_i32_e32 vcc_lo, s27, v53
	v_and_b32_e32 v96, 0xffff0000, v3
	v_cmp_gt_i32_e64 s2, s27, v58
	v_cndmask_b32_e32 v0, 0, v0, vcc_lo
	v_cmp_gt_i32_e32 vcc_lo, s27, v60
	v_cndmask_b32_e64 v1, 0, v1, s2
	v_cmp_gt_i32_e64 s2, s27, v57
	v_cndmask_b32_e32 v95, 0, v95, vcc_lo
	v_cmp_gt_i32_e32 vcc_lo, s27, v59
	v_cndmask_b32_e64 v94, 0, v94, s2
	v_cndmask_b32_sdwa v3, v42, v3, vcc_lo dst_sel:DWORD dst_unused:UNUSED_PAD src0_sel:DWORD src1_sel:WORD_0
	v_cmp_gt_i32_e32 vcc_lo, s27, v56
	v_cndmask_b32_e32 v96, 0, v96, vcc_lo
	v_cmp_gt_i32_e32 vcc_lo, s27, v55
	v_or_b32_e32 v3, v3, v96
	v_cndmask_b32_e32 v2, 0, v2, vcc_lo
	v_cmp_gt_i32_e32 vcc_lo, s27, v54
	v_cndmask_b32_e32 v93, 0, v93, vcc_lo
.LBB116_73:                             ;   in Loop: Header=BB116_38 Depth=1
	s_or_b32 exec_lo, exec_lo, s22
	v_lshlrev_b32_e32 v95, 16, v95
	v_lshlrev_b32_e32 v94, 16, v94
	;; [unrolled: 1-line block ×3, first 2 shown]
	v_and_or_b32 v0, 0xffff, v0, v95
	v_and_or_b32 v1, 0xffff, v1, v94
	;; [unrolled: 1-line block ×3, first 2 shown]
	;;#ASMSTART
	v_pk_mul_f16 v0, v48, v0;

	;;#ASMEND
	;;#ASMSTART
	v_pk_mul_f16 v1, v47, v1;

	;;#ASMEND
	;; [unrolled: 4-line block ×4, first 2 shown]
	;;#ASMSTART
	v_pk_add_f16 v0, v0, v1;

	;;#ASMEND
	;;#ASMSTART
	v_pk_add_f16 v0, v0, v2;

	;;#ASMEND
	;;#ASMSTART
	v_pk_add_f16 v0, v0, v3;

	;;#ASMEND
	v_and_b32_e32 v1, 0xffff, v0
	v_lshrrev_b32_e32 v0, 16, v0
	;;#ASMSTART
	v_cvt_f32_f16 v93, v1;
	;;#ASMEND
	;;#ASMSTART
	v_cvt_f32_f16 v94, v0;
	;;#ASMEND
	global_load_dwordx4 v[0:3], v[7:8], off offset:512
	s_waitcnt vmcnt(0)
	v_lshrrev_b32_e32 v97, 16, v0
	v_lshrrev_b32_e32 v96, 16, v1
	v_lshrrev_b32_e32 v95, 16, v2
	s_and_saveexec_b32 s22, s1
	s_cbranch_execz .LBB116_75
; %bb.74:                               ;   in Loop: Header=BB116_38 Depth=1
	v_cmp_gt_i32_e32 vcc_lo, s27, v53
	v_and_b32_e32 v98, 0xffff0000, v3
	v_cmp_gt_i32_e64 s2, s27, v58
	v_cndmask_b32_e32 v0, 0, v0, vcc_lo
	v_cmp_gt_i32_e32 vcc_lo, s27, v60
	v_cndmask_b32_e64 v1, 0, v1, s2
	v_cmp_gt_i32_e64 s2, s27, v57
	v_cndmask_b32_e32 v97, 0, v97, vcc_lo
	v_cmp_gt_i32_e32 vcc_lo, s27, v59
	v_cndmask_b32_e64 v96, 0, v96, s2
	v_cndmask_b32_sdwa v3, v42, v3, vcc_lo dst_sel:DWORD dst_unused:UNUSED_PAD src0_sel:DWORD src1_sel:WORD_0
	v_cmp_gt_i32_e32 vcc_lo, s27, v56
	v_cndmask_b32_e32 v98, 0, v98, vcc_lo
	v_cmp_gt_i32_e32 vcc_lo, s27, v55
	v_or_b32_e32 v3, v3, v98
	v_cndmask_b32_e32 v2, 0, v2, vcc_lo
	v_cmp_gt_i32_e32 vcc_lo, s27, v54
	v_cndmask_b32_e32 v95, 0, v95, vcc_lo
.LBB116_75:                             ;   in Loop: Header=BB116_38 Depth=1
	s_or_b32 exec_lo, exec_lo, s22
	v_lshlrev_b32_e32 v97, 16, v97
	v_lshlrev_b32_e32 v96, 16, v96
	;; [unrolled: 1-line block ×3, first 2 shown]
	v_and_or_b32 v0, 0xffff, v0, v97
	v_and_or_b32 v1, 0xffff, v1, v96
	;; [unrolled: 1-line block ×3, first 2 shown]
	;;#ASMSTART
	v_pk_mul_f16 v0, v48, v0;

	;;#ASMEND
	;;#ASMSTART
	v_pk_mul_f16 v1, v47, v1;

	;;#ASMEND
	;; [unrolled: 4-line block ×4, first 2 shown]
	;;#ASMSTART
	v_pk_add_f16 v0, v0, v1;

	;;#ASMEND
	;;#ASMSTART
	v_pk_add_f16 v0, v0, v2;

	;;#ASMEND
	;; [unrolled: 4-line block ×3, first 2 shown]
	v_and_b32_e32 v1, 0xffff, v0
	v_lshrrev_b32_e32 v0, 16, v0
	;;#ASMSTART
	v_cvt_f32_f16 v95, v1;
	;;#ASMEND
	;;#ASMSTART
	v_cvt_f32_f16 v96, v0;
	;;#ASMEND
	global_load_dwordx4 v[0:3], v[7:8], off offset:1024
	s_waitcnt vmcnt(0)
	v_lshrrev_b32_e32 v99, 16, v0
	v_lshrrev_b32_e32 v98, 16, v1
	;; [unrolled: 1-line block ×3, first 2 shown]
	s_and_saveexec_b32 s22, s1
	s_cbranch_execz .LBB116_77
; %bb.76:                               ;   in Loop: Header=BB116_38 Depth=1
	v_cmp_gt_i32_e32 vcc_lo, s27, v53
	v_and_b32_e32 v100, 0xffff0000, v3
	v_cmp_gt_i32_e64 s2, s27, v58
	v_cndmask_b32_e32 v0, 0, v0, vcc_lo
	v_cmp_gt_i32_e32 vcc_lo, s27, v60
	v_cndmask_b32_e64 v1, 0, v1, s2
	v_cmp_gt_i32_e64 s2, s27, v57
	v_cndmask_b32_e32 v99, 0, v99, vcc_lo
	v_cmp_gt_i32_e32 vcc_lo, s27, v59
	v_cndmask_b32_e64 v98, 0, v98, s2
	v_cndmask_b32_sdwa v3, v42, v3, vcc_lo dst_sel:DWORD dst_unused:UNUSED_PAD src0_sel:DWORD src1_sel:WORD_0
	v_cmp_gt_i32_e32 vcc_lo, s27, v56
	v_cndmask_b32_e32 v100, 0, v100, vcc_lo
	v_cmp_gt_i32_e32 vcc_lo, s27, v55
	v_or_b32_e32 v3, v3, v100
	v_cndmask_b32_e32 v2, 0, v2, vcc_lo
	v_cmp_gt_i32_e32 vcc_lo, s27, v54
	v_cndmask_b32_e32 v97, 0, v97, vcc_lo
.LBB116_77:                             ;   in Loop: Header=BB116_38 Depth=1
	s_or_b32 exec_lo, exec_lo, s22
	v_lshlrev_b32_e32 v99, 16, v99
	v_lshlrev_b32_e32 v98, 16, v98
	;; [unrolled: 1-line block ×3, first 2 shown]
	v_and_or_b32 v0, 0xffff, v0, v99
	v_and_or_b32 v1, 0xffff, v1, v98
	;; [unrolled: 1-line block ×3, first 2 shown]
	;;#ASMSTART
	v_pk_mul_f16 v0, v48, v0;

	;;#ASMEND
	;;#ASMSTART
	v_pk_mul_f16 v1, v47, v1;

	;;#ASMEND
	;; [unrolled: 4-line block ×4, first 2 shown]
	;;#ASMSTART
	v_pk_add_f16 v0, v0, v1;

	;;#ASMEND
	;;#ASMSTART
	v_pk_add_f16 v0, v0, v2;

	;;#ASMEND
	;; [unrolled: 4-line block ×3, first 2 shown]
	v_and_b32_e32 v1, 0xffff, v0
	v_lshrrev_b32_e32 v0, 16, v0
	;;#ASMSTART
	v_cvt_f32_f16 v97, v1;
	;;#ASMEND
	;;#ASMSTART
	v_cvt_f32_f16 v98, v0;
	;;#ASMEND
	global_load_dwordx4 v[0:3], v[7:8], off offset:1536
	s_waitcnt vmcnt(0)
	v_lshrrev_b32_e32 v99, 16, v0
	v_lshrrev_b32_e32 v8, 16, v1
	;; [unrolled: 1-line block ×3, first 2 shown]
	s_and_saveexec_b32 s22, s1
	s_cbranch_execz .LBB116_79
; %bb.78:                               ;   in Loop: Header=BB116_38 Depth=1
	v_cmp_gt_i32_e32 vcc_lo, s27, v53
	v_and_b32_e32 v100, 0xffff0000, v3
	v_cmp_gt_i32_e64 s2, s27, v58
	v_cndmask_b32_e32 v0, 0, v0, vcc_lo
	v_cmp_gt_i32_e32 vcc_lo, s27, v60
	v_cndmask_b32_e64 v1, 0, v1, s2
	v_cmp_gt_i32_e64 s2, s27, v57
	v_cndmask_b32_e32 v99, 0, v99, vcc_lo
	v_cmp_gt_i32_e32 vcc_lo, s27, v59
	v_cndmask_b32_e64 v8, 0, v8, s2
	v_cndmask_b32_sdwa v3, v42, v3, vcc_lo dst_sel:DWORD dst_unused:UNUSED_PAD src0_sel:DWORD src1_sel:WORD_0
	v_cmp_gt_i32_e32 vcc_lo, s27, v56
	v_cndmask_b32_e32 v100, 0, v100, vcc_lo
	v_cmp_gt_i32_e32 vcc_lo, s27, v55
	v_or_b32_e32 v3, v3, v100
	v_cndmask_b32_e32 v2, 0, v2, vcc_lo
	v_cmp_gt_i32_e32 vcc_lo, s27, v54
	v_cndmask_b32_e32 v7, 0, v7, vcc_lo
.LBB116_79:                             ;   in Loop: Header=BB116_38 Depth=1
	s_or_b32 exec_lo, exec_lo, s22
	v_lshlrev_b32_e32 v7, 16, v7
	v_lshlrev_b32_e32 v99, 16, v99
	;; [unrolled: 1-line block ×3, first 2 shown]
	v_and_or_b32 v2, 0xffff, v2, v7
	v_add_co_u32 v7, vcc_lo, 0x2800, v5
	v_and_or_b32 v0, 0xffff, v0, v99
	v_and_or_b32 v1, 0xffff, v1, v8
	;;#ASMSTART
	v_pk_mul_f16 v0, v48, v0;

	;;#ASMEND
	v_add_co_ci_u32_e64 v8, null, 0, v6, vcc_lo
	;;#ASMSTART
	v_pk_mul_f16 v1, v47, v1;

	;;#ASMEND
	;;#ASMSTART
	v_pk_mul_f16 v2, v51, v2;

	;;#ASMEND
	;; [unrolled: 4-line block ×3, first 2 shown]
	;;#ASMSTART
	v_pk_add_f16 v0, v0, v1;

	;;#ASMEND
	;;#ASMSTART
	v_pk_add_f16 v0, v0, v2;

	;;#ASMEND
	;; [unrolled: 4-line block ×3, first 2 shown]
	v_lshrrev_b32_e32 v1, 16, v0
	v_and_b32_e32 v0, 0xffff, v0
	;;#ASMSTART
	v_cvt_f32_f16 v99, v0;
	;;#ASMEND
	;;#ASMSTART
	v_cvt_f32_f16 v100, v1;
	;;#ASMEND
	global_load_dwordx4 v[0:3], v[7:8], off
	s_waitcnt vmcnt(0)
	v_lshrrev_b32_e32 v103, 16, v0
	v_lshrrev_b32_e32 v102, 16, v1
	;; [unrolled: 1-line block ×3, first 2 shown]
	s_and_saveexec_b32 s22, s1
	s_cbranch_execz .LBB116_81
; %bb.80:                               ;   in Loop: Header=BB116_38 Depth=1
	v_cmp_gt_i32_e32 vcc_lo, s27, v53
	v_and_b32_e32 v104, 0xffff0000, v3
	v_cmp_gt_i32_e64 s2, s27, v58
	v_cndmask_b32_e32 v0, 0, v0, vcc_lo
	v_cmp_gt_i32_e32 vcc_lo, s27, v60
	v_cndmask_b32_e64 v1, 0, v1, s2
	v_cmp_gt_i32_e64 s2, s27, v57
	v_cndmask_b32_e32 v103, 0, v103, vcc_lo
	v_cmp_gt_i32_e32 vcc_lo, s27, v59
	v_cndmask_b32_e64 v102, 0, v102, s2
	v_cndmask_b32_sdwa v3, v42, v3, vcc_lo dst_sel:DWORD dst_unused:UNUSED_PAD src0_sel:DWORD src1_sel:WORD_0
	v_cmp_gt_i32_e32 vcc_lo, s27, v56
	v_cndmask_b32_e32 v104, 0, v104, vcc_lo
	v_cmp_gt_i32_e32 vcc_lo, s27, v55
	v_or_b32_e32 v3, v3, v104
	v_cndmask_b32_e32 v2, 0, v2, vcc_lo
	v_cmp_gt_i32_e32 vcc_lo, s27, v54
	v_cndmask_b32_e32 v101, 0, v101, vcc_lo
.LBB116_81:                             ;   in Loop: Header=BB116_38 Depth=1
	s_or_b32 exec_lo, exec_lo, s22
	v_lshlrev_b32_e32 v103, 16, v103
	v_lshlrev_b32_e32 v102, 16, v102
	;; [unrolled: 1-line block ×3, first 2 shown]
	v_and_or_b32 v0, 0xffff, v0, v103
	v_and_or_b32 v1, 0xffff, v1, v102
	;; [unrolled: 1-line block ×3, first 2 shown]
	;;#ASMSTART
	v_pk_mul_f16 v0, v48, v0;

	;;#ASMEND
	;;#ASMSTART
	v_pk_mul_f16 v1, v47, v1;

	;;#ASMEND
	;; [unrolled: 4-line block ×4, first 2 shown]
	;;#ASMSTART
	v_pk_add_f16 v0, v0, v1;

	;;#ASMEND
	;;#ASMSTART
	v_pk_add_f16 v0, v0, v2;

	;;#ASMEND
	;; [unrolled: 4-line block ×3, first 2 shown]
	v_and_b32_e32 v1, 0xffff, v0
	v_lshrrev_b32_e32 v0, 16, v0
	;;#ASMSTART
	v_cvt_f32_f16 v101, v1;
	;;#ASMEND
	;;#ASMSTART
	v_cvt_f32_f16 v102, v0;
	;;#ASMEND
	global_load_dwordx4 v[0:3], v[7:8], off offset:512
	s_waitcnt vmcnt(0)
	v_lshrrev_b32_e32 v105, 16, v0
	v_lshrrev_b32_e32 v104, 16, v1
	;; [unrolled: 1-line block ×3, first 2 shown]
	s_and_saveexec_b32 s22, s1
	s_cbranch_execz .LBB116_83
; %bb.82:                               ;   in Loop: Header=BB116_38 Depth=1
	v_cmp_gt_i32_e32 vcc_lo, s27, v53
	v_and_b32_e32 v106, 0xffff0000, v3
	v_cmp_gt_i32_e64 s2, s27, v58
	v_cndmask_b32_e32 v0, 0, v0, vcc_lo
	v_cmp_gt_i32_e32 vcc_lo, s27, v60
	v_cndmask_b32_e64 v1, 0, v1, s2
	v_cmp_gt_i32_e64 s2, s27, v57
	v_cndmask_b32_e32 v105, 0, v105, vcc_lo
	v_cmp_gt_i32_e32 vcc_lo, s27, v59
	v_cndmask_b32_e64 v104, 0, v104, s2
	v_cndmask_b32_sdwa v3, v42, v3, vcc_lo dst_sel:DWORD dst_unused:UNUSED_PAD src0_sel:DWORD src1_sel:WORD_0
	v_cmp_gt_i32_e32 vcc_lo, s27, v56
	v_cndmask_b32_e32 v106, 0, v106, vcc_lo
	v_cmp_gt_i32_e32 vcc_lo, s27, v55
	v_or_b32_e32 v3, v3, v106
	v_cndmask_b32_e32 v2, 0, v2, vcc_lo
	v_cmp_gt_i32_e32 vcc_lo, s27, v54
	v_cndmask_b32_e32 v103, 0, v103, vcc_lo
.LBB116_83:                             ;   in Loop: Header=BB116_38 Depth=1
	s_or_b32 exec_lo, exec_lo, s22
	v_lshlrev_b32_e32 v105, 16, v105
	v_lshlrev_b32_e32 v104, 16, v104
	v_lshlrev_b32_e32 v103, 16, v103
	v_and_or_b32 v0, 0xffff, v0, v105
	v_and_or_b32 v1, 0xffff, v1, v104
	;; [unrolled: 1-line block ×3, first 2 shown]
	;;#ASMSTART
	v_pk_mul_f16 v0, v48, v0;

	;;#ASMEND
	;;#ASMSTART
	v_pk_mul_f16 v1, v47, v1;

	;;#ASMEND
	;; [unrolled: 4-line block ×4, first 2 shown]
	;;#ASMSTART
	v_pk_add_f16 v0, v0, v1;

	;;#ASMEND
	;;#ASMSTART
	v_pk_add_f16 v0, v0, v2;

	;;#ASMEND
	;; [unrolled: 4-line block ×3, first 2 shown]
	v_and_b32_e32 v1, 0xffff, v0
	v_lshrrev_b32_e32 v0, 16, v0
	;;#ASMSTART
	v_cvt_f32_f16 v103, v1;
	;;#ASMEND
	;;#ASMSTART
	v_cvt_f32_f16 v104, v0;
	;;#ASMEND
	global_load_dwordx4 v[0:3], v[7:8], off offset:1024
	s_waitcnt vmcnt(0)
	v_lshrrev_b32_e32 v107, 16, v0
	v_lshrrev_b32_e32 v106, 16, v1
	;; [unrolled: 1-line block ×3, first 2 shown]
	s_and_saveexec_b32 s22, s1
	s_cbranch_execz .LBB116_85
; %bb.84:                               ;   in Loop: Header=BB116_38 Depth=1
	v_cmp_gt_i32_e32 vcc_lo, s27, v53
	v_and_b32_e32 v108, 0xffff0000, v3
	v_cmp_gt_i32_e64 s2, s27, v58
	v_cndmask_b32_e32 v0, 0, v0, vcc_lo
	v_cmp_gt_i32_e32 vcc_lo, s27, v60
	v_cndmask_b32_e64 v1, 0, v1, s2
	v_cmp_gt_i32_e64 s2, s27, v57
	v_cndmask_b32_e32 v107, 0, v107, vcc_lo
	v_cmp_gt_i32_e32 vcc_lo, s27, v59
	v_cndmask_b32_e64 v106, 0, v106, s2
	v_cndmask_b32_sdwa v3, v42, v3, vcc_lo dst_sel:DWORD dst_unused:UNUSED_PAD src0_sel:DWORD src1_sel:WORD_0
	v_cmp_gt_i32_e32 vcc_lo, s27, v56
	v_cndmask_b32_e32 v108, 0, v108, vcc_lo
	v_cmp_gt_i32_e32 vcc_lo, s27, v55
	v_or_b32_e32 v3, v3, v108
	v_cndmask_b32_e32 v2, 0, v2, vcc_lo
	v_cmp_gt_i32_e32 vcc_lo, s27, v54
	v_cndmask_b32_e32 v105, 0, v105, vcc_lo
.LBB116_85:                             ;   in Loop: Header=BB116_38 Depth=1
	s_or_b32 exec_lo, exec_lo, s22
	v_lshlrev_b32_e32 v107, 16, v107
	v_lshlrev_b32_e32 v106, 16, v106
	;; [unrolled: 1-line block ×3, first 2 shown]
	v_and_or_b32 v0, 0xffff, v0, v107
	v_and_or_b32 v1, 0xffff, v1, v106
	;; [unrolled: 1-line block ×3, first 2 shown]
	;;#ASMSTART
	v_pk_mul_f16 v0, v48, v0;

	;;#ASMEND
	;;#ASMSTART
	v_pk_mul_f16 v1, v47, v1;

	;;#ASMEND
	;; [unrolled: 4-line block ×4, first 2 shown]
	;;#ASMSTART
	v_pk_add_f16 v0, v0, v1;

	;;#ASMEND
	;;#ASMSTART
	v_pk_add_f16 v0, v0, v2;

	;;#ASMEND
	;;#ASMSTART
	v_pk_add_f16 v0, v0, v3;

	;;#ASMEND
	v_and_b32_e32 v1, 0xffff, v0
	v_lshrrev_b32_e32 v0, 16, v0
	;;#ASMSTART
	v_cvt_f32_f16 v105, v1;
	;;#ASMEND
	;;#ASMSTART
	v_cvt_f32_f16 v106, v0;
	;;#ASMEND
	global_load_dwordx4 v[0:3], v[7:8], off offset:1536
	s_waitcnt vmcnt(0)
	v_lshrrev_b32_e32 v107, 16, v0
	v_lshrrev_b32_e32 v8, 16, v1
	;; [unrolled: 1-line block ×3, first 2 shown]
	s_and_saveexec_b32 s22, s1
	s_cbranch_execz .LBB116_87
; %bb.86:                               ;   in Loop: Header=BB116_38 Depth=1
	v_cmp_gt_i32_e32 vcc_lo, s27, v53
	v_and_b32_e32 v108, 0xffff0000, v3
	v_cmp_gt_i32_e64 s2, s27, v58
	v_cndmask_b32_e32 v0, 0, v0, vcc_lo
	v_cmp_gt_i32_e32 vcc_lo, s27, v60
	v_cndmask_b32_e64 v1, 0, v1, s2
	v_cmp_gt_i32_e64 s2, s27, v57
	v_cndmask_b32_e32 v107, 0, v107, vcc_lo
	v_cmp_gt_i32_e32 vcc_lo, s27, v59
	v_cndmask_b32_e64 v8, 0, v8, s2
	v_cndmask_b32_sdwa v3, v42, v3, vcc_lo dst_sel:DWORD dst_unused:UNUSED_PAD src0_sel:DWORD src1_sel:WORD_0
	v_cmp_gt_i32_e32 vcc_lo, s27, v56
	v_cndmask_b32_e32 v108, 0, v108, vcc_lo
	v_cmp_gt_i32_e32 vcc_lo, s27, v55
	v_or_b32_e32 v3, v3, v108
	v_cndmask_b32_e32 v2, 0, v2, vcc_lo
	v_cmp_gt_i32_e32 vcc_lo, s27, v54
	v_cndmask_b32_e32 v7, 0, v7, vcc_lo
.LBB116_87:                             ;   in Loop: Header=BB116_38 Depth=1
	s_or_b32 exec_lo, exec_lo, s22
	v_lshlrev_b32_e32 v7, 16, v7
	v_lshlrev_b32_e32 v107, 16, v107
	v_lshlrev_b32_e32 v8, 16, v8
	v_and_or_b32 v2, 0xffff, v2, v7
	v_add_co_u32 v7, vcc_lo, 0x3000, v5
	v_and_or_b32 v0, 0xffff, v0, v107
	v_and_or_b32 v1, 0xffff, v1, v8
	;;#ASMSTART
	v_pk_mul_f16 v0, v48, v0;

	;;#ASMEND
	v_add_co_ci_u32_e64 v8, null, 0, v6, vcc_lo
	;;#ASMSTART
	v_pk_mul_f16 v1, v47, v1;

	;;#ASMEND
	;;#ASMSTART
	v_pk_mul_f16 v2, v51, v2;

	;;#ASMEND
	;; [unrolled: 4-line block ×3, first 2 shown]
	;;#ASMSTART
	v_pk_add_f16 v0, v0, v1;

	;;#ASMEND
	;;#ASMSTART
	v_pk_add_f16 v0, v0, v2;

	;;#ASMEND
	;; [unrolled: 4-line block ×3, first 2 shown]
	v_lshrrev_b32_e32 v1, 16, v0
	v_and_b32_e32 v0, 0xffff, v0
	;;#ASMSTART
	v_cvt_f32_f16 v107, v0;
	;;#ASMEND
	;;#ASMSTART
	v_cvt_f32_f16 v108, v1;
	;;#ASMEND
	global_load_dwordx4 v[0:3], v[7:8], off
	s_waitcnt vmcnt(0)
	v_lshrrev_b32_e32 v111, 16, v0
	v_lshrrev_b32_e32 v110, 16, v1
	;; [unrolled: 1-line block ×3, first 2 shown]
	s_and_saveexec_b32 s22, s1
	s_cbranch_execz .LBB116_89
; %bb.88:                               ;   in Loop: Header=BB116_38 Depth=1
	v_cmp_gt_i32_e32 vcc_lo, s27, v53
	v_and_b32_e32 v112, 0xffff0000, v3
	v_cmp_gt_i32_e64 s2, s27, v58
	v_cndmask_b32_e32 v0, 0, v0, vcc_lo
	v_cmp_gt_i32_e32 vcc_lo, s27, v60
	v_cndmask_b32_e64 v1, 0, v1, s2
	v_cmp_gt_i32_e64 s2, s27, v57
	v_cndmask_b32_e32 v111, 0, v111, vcc_lo
	v_cmp_gt_i32_e32 vcc_lo, s27, v59
	v_cndmask_b32_e64 v110, 0, v110, s2
	v_cndmask_b32_sdwa v3, v42, v3, vcc_lo dst_sel:DWORD dst_unused:UNUSED_PAD src0_sel:DWORD src1_sel:WORD_0
	v_cmp_gt_i32_e32 vcc_lo, s27, v56
	v_cndmask_b32_e32 v112, 0, v112, vcc_lo
	v_cmp_gt_i32_e32 vcc_lo, s27, v55
	v_or_b32_e32 v3, v3, v112
	v_cndmask_b32_e32 v2, 0, v2, vcc_lo
	v_cmp_gt_i32_e32 vcc_lo, s27, v54
	v_cndmask_b32_e32 v109, 0, v109, vcc_lo
.LBB116_89:                             ;   in Loop: Header=BB116_38 Depth=1
	s_or_b32 exec_lo, exec_lo, s22
	v_lshlrev_b32_e32 v111, 16, v111
	v_lshlrev_b32_e32 v110, 16, v110
	;; [unrolled: 1-line block ×3, first 2 shown]
	v_and_or_b32 v0, 0xffff, v0, v111
	v_and_or_b32 v1, 0xffff, v1, v110
	;; [unrolled: 1-line block ×3, first 2 shown]
	;;#ASMSTART
	v_pk_mul_f16 v0, v48, v0;

	;;#ASMEND
	;;#ASMSTART
	v_pk_mul_f16 v1, v47, v1;

	;;#ASMEND
	;; [unrolled: 4-line block ×4, first 2 shown]
	;;#ASMSTART
	v_pk_add_f16 v0, v0, v1;

	;;#ASMEND
	;;#ASMSTART
	v_pk_add_f16 v0, v0, v2;

	;;#ASMEND
	;; [unrolled: 4-line block ×3, first 2 shown]
	v_and_b32_e32 v1, 0xffff, v0
	v_lshrrev_b32_e32 v0, 16, v0
	;;#ASMSTART
	v_cvt_f32_f16 v109, v1;
	;;#ASMEND
	;;#ASMSTART
	v_cvt_f32_f16 v110, v0;
	;;#ASMEND
	global_load_dwordx4 v[0:3], v[7:8], off offset:512
	s_waitcnt vmcnt(0)
	v_lshrrev_b32_e32 v113, 16, v0
	v_lshrrev_b32_e32 v112, 16, v1
	;; [unrolled: 1-line block ×3, first 2 shown]
	s_and_saveexec_b32 s22, s1
	s_cbranch_execz .LBB116_91
; %bb.90:                               ;   in Loop: Header=BB116_38 Depth=1
	v_cmp_gt_i32_e32 vcc_lo, s27, v53
	v_and_b32_e32 v114, 0xffff0000, v3
	v_cmp_gt_i32_e64 s2, s27, v58
	v_cndmask_b32_e32 v0, 0, v0, vcc_lo
	v_cmp_gt_i32_e32 vcc_lo, s27, v60
	v_cndmask_b32_e64 v1, 0, v1, s2
	v_cmp_gt_i32_e64 s2, s27, v57
	v_cndmask_b32_e32 v113, 0, v113, vcc_lo
	v_cmp_gt_i32_e32 vcc_lo, s27, v59
	v_cndmask_b32_e64 v112, 0, v112, s2
	v_cndmask_b32_sdwa v3, v42, v3, vcc_lo dst_sel:DWORD dst_unused:UNUSED_PAD src0_sel:DWORD src1_sel:WORD_0
	v_cmp_gt_i32_e32 vcc_lo, s27, v56
	v_cndmask_b32_e32 v114, 0, v114, vcc_lo
	v_cmp_gt_i32_e32 vcc_lo, s27, v55
	v_or_b32_e32 v3, v3, v114
	v_cndmask_b32_e32 v2, 0, v2, vcc_lo
	v_cmp_gt_i32_e32 vcc_lo, s27, v54
	v_cndmask_b32_e32 v111, 0, v111, vcc_lo
.LBB116_91:                             ;   in Loop: Header=BB116_38 Depth=1
	s_or_b32 exec_lo, exec_lo, s22
	v_lshlrev_b32_e32 v113, 16, v113
	v_lshlrev_b32_e32 v112, 16, v112
	;; [unrolled: 1-line block ×3, first 2 shown]
	v_and_or_b32 v0, 0xffff, v0, v113
	v_and_or_b32 v1, 0xffff, v1, v112
	;; [unrolled: 1-line block ×3, first 2 shown]
	;;#ASMSTART
	v_pk_mul_f16 v0, v48, v0;

	;;#ASMEND
	;;#ASMSTART
	v_pk_mul_f16 v1, v47, v1;

	;;#ASMEND
	;; [unrolled: 4-line block ×4, first 2 shown]
	;;#ASMSTART
	v_pk_add_f16 v0, v0, v1;

	;;#ASMEND
	;;#ASMSTART
	v_pk_add_f16 v0, v0, v2;

	;;#ASMEND
	;; [unrolled: 4-line block ×3, first 2 shown]
	v_and_b32_e32 v1, 0xffff, v0
	v_lshrrev_b32_e32 v0, 16, v0
	;;#ASMSTART
	v_cvt_f32_f16 v111, v1;
	;;#ASMEND
	;;#ASMSTART
	v_cvt_f32_f16 v112, v0;
	;;#ASMEND
	global_load_dwordx4 v[0:3], v[7:8], off offset:1024
	s_waitcnt vmcnt(0)
	v_lshrrev_b32_e32 v115, 16, v0
	v_lshrrev_b32_e32 v114, 16, v1
	;; [unrolled: 1-line block ×3, first 2 shown]
	s_and_saveexec_b32 s22, s1
	s_cbranch_execz .LBB116_93
; %bb.92:                               ;   in Loop: Header=BB116_38 Depth=1
	v_cmp_gt_i32_e32 vcc_lo, s27, v53
	v_and_b32_e32 v116, 0xffff0000, v3
	v_cmp_gt_i32_e64 s2, s27, v58
	v_cndmask_b32_e32 v0, 0, v0, vcc_lo
	v_cmp_gt_i32_e32 vcc_lo, s27, v60
	v_cndmask_b32_e64 v1, 0, v1, s2
	v_cmp_gt_i32_e64 s2, s27, v57
	v_cndmask_b32_e32 v115, 0, v115, vcc_lo
	v_cmp_gt_i32_e32 vcc_lo, s27, v59
	v_cndmask_b32_e64 v114, 0, v114, s2
	v_cndmask_b32_sdwa v3, v42, v3, vcc_lo dst_sel:DWORD dst_unused:UNUSED_PAD src0_sel:DWORD src1_sel:WORD_0
	v_cmp_gt_i32_e32 vcc_lo, s27, v56
	v_cndmask_b32_e32 v116, 0, v116, vcc_lo
	v_cmp_gt_i32_e32 vcc_lo, s27, v55
	v_or_b32_e32 v3, v3, v116
	v_cndmask_b32_e32 v2, 0, v2, vcc_lo
	v_cmp_gt_i32_e32 vcc_lo, s27, v54
	v_cndmask_b32_e32 v113, 0, v113, vcc_lo
.LBB116_93:                             ;   in Loop: Header=BB116_38 Depth=1
	s_or_b32 exec_lo, exec_lo, s22
	v_lshlrev_b32_e32 v115, 16, v115
	v_lshlrev_b32_e32 v114, 16, v114
	;; [unrolled: 1-line block ×3, first 2 shown]
	v_and_or_b32 v0, 0xffff, v0, v115
	v_and_or_b32 v1, 0xffff, v1, v114
	;; [unrolled: 1-line block ×3, first 2 shown]
	;;#ASMSTART
	v_pk_mul_f16 v0, v48, v0;

	;;#ASMEND
	;;#ASMSTART
	v_pk_mul_f16 v1, v47, v1;

	;;#ASMEND
	;;#ASMSTART
	v_pk_mul_f16 v2, v51, v2;

	;;#ASMEND
	;;#ASMSTART
	v_pk_mul_f16 v3, v52, v3;

	;;#ASMEND
	;;#ASMSTART
	v_pk_add_f16 v0, v0, v1;

	;;#ASMEND
	;;#ASMSTART
	v_pk_add_f16 v0, v0, v2;

	;;#ASMEND
	;; [unrolled: 4-line block ×3, first 2 shown]
	v_and_b32_e32 v1, 0xffff, v0
	v_lshrrev_b32_e32 v0, 16, v0
	;;#ASMSTART
	v_cvt_f32_f16 v113, v1;
	;;#ASMEND
	;;#ASMSTART
	v_cvt_f32_f16 v114, v0;
	;;#ASMEND
	global_load_dwordx4 v[0:3], v[7:8], off offset:1536
	s_waitcnt vmcnt(0)
	v_lshrrev_b32_e32 v115, 16, v0
	v_lshrrev_b32_e32 v8, 16, v1
	;; [unrolled: 1-line block ×3, first 2 shown]
	s_and_saveexec_b32 s22, s1
	s_cbranch_execz .LBB116_95
; %bb.94:                               ;   in Loop: Header=BB116_38 Depth=1
	v_cmp_gt_i32_e32 vcc_lo, s27, v53
	v_and_b32_e32 v116, 0xffff0000, v3
	v_cmp_gt_i32_e64 s2, s27, v58
	v_cndmask_b32_e32 v0, 0, v0, vcc_lo
	v_cmp_gt_i32_e32 vcc_lo, s27, v60
	v_cndmask_b32_e64 v1, 0, v1, s2
	v_cmp_gt_i32_e64 s2, s27, v57
	v_cndmask_b32_e32 v115, 0, v115, vcc_lo
	v_cmp_gt_i32_e32 vcc_lo, s27, v59
	v_cndmask_b32_e64 v8, 0, v8, s2
	v_cndmask_b32_sdwa v3, v42, v3, vcc_lo dst_sel:DWORD dst_unused:UNUSED_PAD src0_sel:DWORD src1_sel:WORD_0
	v_cmp_gt_i32_e32 vcc_lo, s27, v56
	v_cndmask_b32_e32 v116, 0, v116, vcc_lo
	v_cmp_gt_i32_e32 vcc_lo, s27, v55
	v_or_b32_e32 v3, v3, v116
	v_cndmask_b32_e32 v2, 0, v2, vcc_lo
	v_cmp_gt_i32_e32 vcc_lo, s27, v54
	v_cndmask_b32_e32 v7, 0, v7, vcc_lo
.LBB116_95:                             ;   in Loop: Header=BB116_38 Depth=1
	s_or_b32 exec_lo, exec_lo, s22
	v_lshlrev_b32_e32 v115, 16, v115
	v_lshlrev_b32_e32 v8, 16, v8
	;; [unrolled: 1-line block ×3, first 2 shown]
	v_add_co_u32 v5, vcc_lo, 0x3800, v5
	v_and_or_b32 v0, 0xffff, v0, v115
	v_and_or_b32 v1, 0xffff, v1, v8
	;; [unrolled: 1-line block ×3, first 2 shown]
	;;#ASMSTART
	v_pk_mul_f16 v0, v48, v0;

	;;#ASMEND
	v_add_co_ci_u32_e64 v6, null, 0, v6, vcc_lo
	;;#ASMSTART
	v_pk_mul_f16 v1, v47, v1;

	;;#ASMEND
	;;#ASMSTART
	v_pk_mul_f16 v2, v51, v2;

	;;#ASMEND
	;; [unrolled: 4-line block ×3, first 2 shown]
	;;#ASMSTART
	v_pk_add_f16 v0, v0, v1;

	;;#ASMEND
	;;#ASMSTART
	v_pk_add_f16 v0, v0, v2;

	;;#ASMEND
	;; [unrolled: 4-line block ×3, first 2 shown]
	v_lshrrev_b32_e32 v1, 16, v0
	v_and_b32_e32 v0, 0xffff, v0
	;;#ASMSTART
	v_cvt_f32_f16 v7, v0;
	;;#ASMEND
	;;#ASMSTART
	v_cvt_f32_f16 v8, v1;
	;;#ASMEND
	global_load_dwordx4 v[0:3], v[5:6], off
	s_waitcnt vmcnt(0)
	v_lshrrev_b32_e32 v117, 16, v0
	v_lshrrev_b32_e32 v116, 16, v1
	;; [unrolled: 1-line block ×3, first 2 shown]
	s_and_saveexec_b32 s22, s1
	s_cbranch_execz .LBB116_97
; %bb.96:                               ;   in Loop: Header=BB116_38 Depth=1
	v_cmp_gt_i32_e32 vcc_lo, s27, v53
	v_and_b32_e32 v118, 0xffff0000, v3
	v_cmp_gt_i32_e64 s2, s27, v58
	v_cndmask_b32_e32 v0, 0, v0, vcc_lo
	v_cmp_gt_i32_e32 vcc_lo, s27, v60
	v_cndmask_b32_e64 v1, 0, v1, s2
	v_cmp_gt_i32_e64 s2, s27, v57
	v_cndmask_b32_e32 v117, 0, v117, vcc_lo
	v_cmp_gt_i32_e32 vcc_lo, s27, v59
	v_cndmask_b32_e64 v116, 0, v116, s2
	v_cndmask_b32_sdwa v3, v42, v3, vcc_lo dst_sel:DWORD dst_unused:UNUSED_PAD src0_sel:DWORD src1_sel:WORD_0
	v_cmp_gt_i32_e32 vcc_lo, s27, v56
	v_cndmask_b32_e32 v118, 0, v118, vcc_lo
	v_cmp_gt_i32_e32 vcc_lo, s27, v55
	v_or_b32_e32 v3, v3, v118
	v_cndmask_b32_e32 v2, 0, v2, vcc_lo
	v_cmp_gt_i32_e32 vcc_lo, s27, v54
	v_cndmask_b32_e32 v115, 0, v115, vcc_lo
.LBB116_97:                             ;   in Loop: Header=BB116_38 Depth=1
	s_or_b32 exec_lo, exec_lo, s22
	v_lshlrev_b32_e32 v117, 16, v117
	v_lshlrev_b32_e32 v116, 16, v116
	;; [unrolled: 1-line block ×3, first 2 shown]
	v_and_or_b32 v0, 0xffff, v0, v117
	v_and_or_b32 v1, 0xffff, v1, v116
	;; [unrolled: 1-line block ×3, first 2 shown]
	;;#ASMSTART
	v_pk_mul_f16 v0, v48, v0;

	;;#ASMEND
	;;#ASMSTART
	v_pk_mul_f16 v1, v47, v1;

	;;#ASMEND
	;; [unrolled: 4-line block ×4, first 2 shown]
	;;#ASMSTART
	v_pk_add_f16 v0, v0, v1;

	;;#ASMEND
	;;#ASMSTART
	v_pk_add_f16 v0, v0, v2;

	;;#ASMEND
	;; [unrolled: 4-line block ×3, first 2 shown]
	v_and_b32_e32 v1, 0xffff, v0
	v_lshrrev_b32_e32 v0, 16, v0
	;;#ASMSTART
	v_cvt_f32_f16 v115, v1;
	;;#ASMEND
	;;#ASMSTART
	v_cvt_f32_f16 v116, v0;
	;;#ASMEND
	global_load_dwordx4 v[0:3], v[5:6], off offset:512
	s_waitcnt vmcnt(0)
	v_lshrrev_b32_e32 v119, 16, v0
	v_lshrrev_b32_e32 v118, 16, v1
	;; [unrolled: 1-line block ×3, first 2 shown]
	s_and_saveexec_b32 s22, s1
	s_cbranch_execz .LBB116_99
; %bb.98:                               ;   in Loop: Header=BB116_38 Depth=1
	v_cmp_gt_i32_e32 vcc_lo, s27, v53
	v_and_b32_e32 v120, 0xffff0000, v3
	v_cmp_gt_i32_e64 s2, s27, v58
	v_cndmask_b32_e32 v0, 0, v0, vcc_lo
	v_cmp_gt_i32_e32 vcc_lo, s27, v60
	v_cndmask_b32_e64 v1, 0, v1, s2
	v_cmp_gt_i32_e64 s2, s27, v57
	v_cndmask_b32_e32 v119, 0, v119, vcc_lo
	v_cmp_gt_i32_e32 vcc_lo, s27, v59
	v_cndmask_b32_e64 v118, 0, v118, s2
	v_cndmask_b32_sdwa v3, v42, v3, vcc_lo dst_sel:DWORD dst_unused:UNUSED_PAD src0_sel:DWORD src1_sel:WORD_0
	v_cmp_gt_i32_e32 vcc_lo, s27, v56
	v_cndmask_b32_e32 v120, 0, v120, vcc_lo
	v_cmp_gt_i32_e32 vcc_lo, s27, v55
	v_or_b32_e32 v3, v3, v120
	v_cndmask_b32_e32 v2, 0, v2, vcc_lo
	v_cmp_gt_i32_e32 vcc_lo, s27, v54
	v_cndmask_b32_e32 v117, 0, v117, vcc_lo
.LBB116_99:                             ;   in Loop: Header=BB116_38 Depth=1
	s_or_b32 exec_lo, exec_lo, s22
	v_lshlrev_b32_e32 v119, 16, v119
	v_lshlrev_b32_e32 v118, 16, v118
	;; [unrolled: 1-line block ×3, first 2 shown]
	v_and_or_b32 v0, 0xffff, v0, v119
	v_and_or_b32 v1, 0xffff, v1, v118
	;; [unrolled: 1-line block ×3, first 2 shown]
	;;#ASMSTART
	v_pk_mul_f16 v0, v48, v0;

	;;#ASMEND
	;;#ASMSTART
	v_pk_mul_f16 v1, v47, v1;

	;;#ASMEND
	;; [unrolled: 4-line block ×4, first 2 shown]
	;;#ASMSTART
	v_pk_add_f16 v0, v0, v1;

	;;#ASMEND
	;;#ASMSTART
	v_pk_add_f16 v0, v0, v2;

	;;#ASMEND
	;; [unrolled: 4-line block ×3, first 2 shown]
	v_and_b32_e32 v1, 0xffff, v0
	v_lshrrev_b32_e32 v0, 16, v0
	;;#ASMSTART
	v_cvt_f32_f16 v117, v1;
	;;#ASMEND
	;;#ASMSTART
	v_cvt_f32_f16 v118, v0;
	;;#ASMEND
	global_load_dwordx4 v[0:3], v[5:6], off offset:1024
	s_waitcnt vmcnt(0)
	v_lshrrev_b32_e32 v119, 16, v0
	v_lshrrev_b32_e32 v6, 16, v1
	;; [unrolled: 1-line block ×3, first 2 shown]
	s_and_saveexec_b32 s22, s1
	s_cbranch_execz .LBB116_101
; %bb.100:                              ;   in Loop: Header=BB116_38 Depth=1
	v_cmp_gt_i32_e32 vcc_lo, s27, v53
	v_and_b32_e32 v120, 0xffff0000, v3
	v_cmp_gt_i32_e64 s2, s27, v58
	v_cndmask_b32_e32 v0, 0, v0, vcc_lo
	v_cmp_gt_i32_e32 vcc_lo, s27, v60
	v_cndmask_b32_e64 v1, 0, v1, s2
	v_cmp_gt_i32_e64 s2, s27, v57
	v_cndmask_b32_e32 v119, 0, v119, vcc_lo
	v_cmp_gt_i32_e32 vcc_lo, s27, v59
	v_cndmask_b32_e64 v6, 0, v6, s2
	v_cndmask_b32_sdwa v3, v42, v3, vcc_lo dst_sel:DWORD dst_unused:UNUSED_PAD src0_sel:DWORD src1_sel:WORD_0
	v_cmp_gt_i32_e32 vcc_lo, s27, v56
	v_cndmask_b32_e32 v120, 0, v120, vcc_lo
	v_cmp_gt_i32_e32 vcc_lo, s27, v55
	v_or_b32_e32 v3, v3, v120
	v_cndmask_b32_e32 v2, 0, v2, vcc_lo
	v_cmp_gt_i32_e32 vcc_lo, s27, v54
	v_cndmask_b32_e32 v5, 0, v5, vcc_lo
.LBB116_101:                            ;   in Loop: Header=BB116_38 Depth=1
	s_or_b32 exec_lo, exec_lo, s22
	v_lshlrev_b32_e32 v119, 16, v119
	v_lshlrev_b32_e32 v6, 16, v6
	;; [unrolled: 1-line block ×3, first 2 shown]
	v_and_or_b32 v0, 0xffff, v0, v119
	v_and_or_b32 v1, 0xffff, v1, v6
	;; [unrolled: 1-line block ×3, first 2 shown]
	;;#ASMSTART
	v_pk_mul_f16 v0, v48, v0;

	;;#ASMEND
	;;#ASMSTART
	v_pk_mul_f16 v1, v47, v1;

	;;#ASMEND
	;;#ASMSTART
	v_pk_mul_f16 v2, v51, v2;

	;;#ASMEND
	;;#ASMSTART
	v_pk_mul_f16 v3, v52, v3;

	;;#ASMEND
	;;#ASMSTART
	v_pk_add_f16 v0, v0, v1;

	;;#ASMEND
	;;#ASMSTART
	v_pk_add_f16 v0, v0, v2;

	;;#ASMEND
	;; [unrolled: 4-line block ×3, first 2 shown]
	v_lshrrev_b32_e32 v2, 16, v0
	v_and_b32_e32 v3, 0xffff, v0
	v_add_co_u32 v0, vcc_lo, v61, v45
	v_add_co_ci_u32_e64 v1, null, 0, v62, vcc_lo
	;;#ASMSTART
	v_cvt_f32_f16 v62, v3;
	;;#ASMEND
	;;#ASMSTART
	v_cvt_f32_f16 v119, v2;
	;;#ASMEND
	global_load_dwordx4 v[0:3], v[0:1], off
	s_waitcnt vmcnt(0)
	v_lshrrev_b32_e32 v61, 16, v0
	v_lshrrev_b32_e32 v6, 16, v1
	v_lshrrev_b32_e32 v5, 16, v2
	s_and_saveexec_b32 s2, s1
	s_cbranch_execz .LBB116_36
; %bb.102:                              ;   in Loop: Header=BB116_38 Depth=1
	v_cmp_gt_i32_e32 vcc_lo, s27, v53
	v_and_b32_e32 v53, 0xffff0000, v3
	v_cmp_gt_i32_e64 s1, s27, v58
	v_cndmask_b32_e32 v0, 0, v0, vcc_lo
	v_cmp_gt_i32_e32 vcc_lo, s27, v60
	v_cndmask_b32_e64 v1, 0, v1, s1
	v_cmp_gt_i32_e64 s1, s27, v57
	v_cndmask_b32_e32 v61, 0, v61, vcc_lo
	v_cmp_gt_i32_e32 vcc_lo, s27, v59
	v_cndmask_b32_e64 v6, 0, v6, s1
	v_cndmask_b32_sdwa v3, v42, v3, vcc_lo dst_sel:DWORD dst_unused:UNUSED_PAD src0_sel:DWORD src1_sel:WORD_0
	v_cmp_gt_i32_e32 vcc_lo, s27, v56
	v_cndmask_b32_e32 v53, 0, v53, vcc_lo
	v_cmp_gt_i32_e32 vcc_lo, s27, v55
	v_or_b32_e32 v3, v3, v53
	v_cndmask_b32_e32 v2, 0, v2, vcc_lo
	v_cmp_gt_i32_e32 vcc_lo, s27, v54
	v_cndmask_b32_e32 v5, 0, v5, vcc_lo
	s_branch .LBB116_36
.LBB116_103:
	s_or_b32 exec_lo, exec_lo, s20
.LBB116_104:
	s_or_b32 exec_lo, exec_lo, s3
	ds_bpermute_b32 v2, v9, v39
	ds_bpermute_b32 v5, v9, v37
	ds_bpermute_b32 v6, v9, v36
	ds_bpermute_b32 v42, v9, v33
	ds_bpermute_b32 v0, v9, v41
	ds_bpermute_b32 v3, v9, v38
	ds_bpermute_b32 v43, v9, v32
	ds_bpermute_b32 v44, v9, v31
	ds_bpermute_b32 v45, v9, v30
	ds_bpermute_b32 v46, v9, v29
	ds_bpermute_b32 v51, v9, v27
	ds_bpermute_b32 v1, v9, v40
	ds_bpermute_b32 v7, v9, v35
	ds_bpermute_b32 v8, v9, v34
	ds_bpermute_b32 v52, v9, v26
	ds_bpermute_b32 v50, v9, v28
	s_mov_b32 s1, exec_lo
	s_waitcnt lgkmcnt(15)
	v_add_f32_e32 v2, v39, v2
	s_waitcnt lgkmcnt(14)
	v_add_f32_e32 v5, v37, v5
	;; [unrolled: 2-line block ×5, first 2 shown]
	ds_bpermute_b32 v36, v4, v2
	s_waitcnt lgkmcnt(11)
	v_add_f32_e32 v3, v38, v3
	ds_bpermute_b32 v38, v4, v5
	s_waitcnt lgkmcnt(11)
	v_add_f32_e32 v41, v32, v43
	s_waitcnt lgkmcnt(10)
	v_add_f32_e32 v43, v31, v44
	;; [unrolled: 2-line block ×3, first 2 shown]
	ds_bpermute_b32 v45, v4, v33
	s_waitcnt lgkmcnt(7)
	v_add_f32_e32 v1, v40, v1
	s_waitcnt lgkmcnt(6)
	v_add_f32_e32 v35, v35, v7
	;; [unrolled: 2-line block ×3, first 2 shown]
	ds_bpermute_b32 v7, v4, v0
	ds_bpermute_b32 v37, v4, v3
	;; [unrolled: 1-line block ×9, first 2 shown]
	s_waitcnt lgkmcnt(12)
	v_add_f32_e32 v28, v28, v50
	s_waitcnt lgkmcnt(11)
	v_add_f32_e32 v30, v2, v36
	v_add_f32_e32 v36, v29, v46
	s_waitcnt lgkmcnt(10)
	v_add_f32_e32 v5, v5, v38
	v_add_f32_e32 v38, v27, v51
	ds_bpermute_b32 v27, v9, v22
	ds_bpermute_b32 v46, v9, v15
	s_waitcnt lgkmcnt(11)
	v_add_f32_e32 v29, v33, v45
	ds_bpermute_b32 v33, v4, v36
	ds_bpermute_b32 v50, v9, v13
	s_waitcnt lgkmcnt(12)
	v_add_f32_e32 v32, v0, v7
	s_waitcnt lgkmcnt(11)
	v_add_f32_e32 v7, v3, v37
	;; [unrolled: 2-line block ×5, first 2 shown]
	ds_bpermute_b32 v34, v9, v25
	ds_bpermute_b32 v35, v9, v24
	;; [unrolled: 1-line block ×3, first 2 shown]
	v_add_f32_e32 v39, v26, v52
	ds_bpermute_b32 v26, v9, v21
	s_waitcnt lgkmcnt(11)
	v_add_f32_e32 v2, v8, v42
	s_waitcnt lgkmcnt(10)
	v_add_f32_e32 v8, v41, v47
	;; [unrolled: 2-line block ×5, first 2 shown]
	ds_bpermute_b32 v41, v9, v20
	ds_bpermute_b32 v44, v9, v19
	s_waitcnt lgkmcnt(7)
	v_add_f32_e32 v27, v36, v33
	buffer_load_dword v36, off, s[48:51], 0 offset:116 ; 4-byte Folded Reload
	ds_bpermute_b32 v48, v9, v14
	ds_bpermute_b32 v22, v9, v12
	;; [unrolled: 1-line block ×3, first 2 shown]
	v_add_f32_e32 v46, v15, v46
	s_waitcnt lgkmcnt(9)
	v_add_f32_e32 v50, v13, v50
	ds_bpermute_b32 v42, v4, v38
	s_waitcnt lgkmcnt(9)
	v_add_f32_e32 v34, v25, v34
	ds_bpermute_b32 v25, v9, v18
	;; [unrolled: 3-line block ×5, first 2 shown]
	ds_bpermute_b32 v9, v9, v10
	ds_bpermute_b32 v45, v4, v34
	s_waitcnt lgkmcnt(11)
	v_add_f32_e32 v41, v20, v41
	s_waitcnt lgkmcnt(10)
	v_add_f32_e32 v44, v19, v44
	ds_bpermute_b32 v43, v4, v39
	ds_bpermute_b32 v47, v4, v35
	s_waitcnt lgkmcnt(11)
	v_add_f32_e32 v48, v14, v48
	s_waitcnt lgkmcnt(10)
	v_add_f32_e32 v12, v12, v22
	ds_bpermute_b32 v49, v4, v37
	ds_bpermute_b32 v20, v4, v51
	;; [unrolled: 1-line block ×5, first 2 shown]
	s_waitcnt lgkmcnt(12)
	v_add_f32_e32 v53, v18, v25
	ds_bpermute_b32 v18, v4, v41
	s_waitcnt lgkmcnt(12)
	v_add_f32_e32 v54, v17, v24
	ds_bpermute_b32 v17, v4, v44
	;; [unrolled: 3-line block ×3, first 2 shown]
	s_waitcnt lgkmcnt(12)
	v_add_f32_e32 v11, v11, v21
	s_waitcnt lgkmcnt(11)
	v_add_f32_e32 v58, v10, v9
	ds_bpermute_b32 v15, v4, v54
	ds_bpermute_b32 v14, v4, v55
	;; [unrolled: 1-line block ×5, first 2 shown]
	v_add_f32_e32 v26, v28, v40
	ds_bpermute_b32 v28, v4, v58
	s_waitcnt lgkmcnt(16)
	v_add_f32_e32 v23, v34, v45
	v_add_f32_e32 v25, v38, v42
	s_waitcnt lgkmcnt(15)
	v_add_f32_e32 v24, v39, v43
	s_waitcnt lgkmcnt(14)
	;; [unrolled: 2-line block ×7, first 2 shown]
	v_add_f32_e32 v17, v44, v17
	v_add_f32_e32 v13, v46, v13
	s_waitcnt lgkmcnt(6)
	v_add_f32_e32 v16, v53, v16
	v_add_f32_e32 v10, v48, v56
	v_and_b32_e32 v35, 0x3c3, v121
	s_waitcnt lgkmcnt(5)
	v_add_f32_e32 v15, v54, v15
	s_waitcnt lgkmcnt(4)
	v_add_f32_e32 v14, v55, v14
	s_waitcnt lgkmcnt(3)
	v_add_f32_e32 v9, v50, v57
	s_waitcnt lgkmcnt(2)
	v_add_f32_e32 v4, v12, v59
	s_waitcnt lgkmcnt(1)
	v_add_f32_e32 v11, v11, v33
	s_waitcnt vmcnt(0) lgkmcnt(0)
	s_waitcnt_vscnt null, 0x0
	v_add_f32_e32 v12, v58, v28
	s_barrier
	buffer_gl0_inv
	v_and_b32_e32 v34, 28, v36
	v_lshrrev_b32_e32 v28, 2, v36
	v_add_nc_u32_e32 v33, 0x220, v34
	v_lshlrev_b32_e32 v34, 10, v122
	v_cmpx_eq_u32_e32 64, v35
	s_cbranch_execz .LBB116_106
; %bb.105:
	v_add_nc_u32_e32 v35, v33, v34
	v_add_nc_u32_e32 v36, 0xfffff800, v35
	;; [unrolled: 1-line block ×8, first 2 shown]
	ds_write_b32 v36, v32
	ds_write_b32 v37, v31
	;; [unrolled: 1-line block ×7, first 2 shown]
	v_add_nc_u32_e32 v36, 0xfffff8e0, v35
	v_add_nc_u32_e32 v37, 0xfffff900, v35
	v_add_nc_u32_e32 v38, 0xfffff920, v35
	v_add_nc_u32_e32 v39, 0xfffff940, v35
	v_add_nc_u32_e32 v40, 0xfffff960, v35
	ds_write_b32 v36, v2
	ds_write_b32 v37, v29
	ds_write_b32 v38, v8
	ds_write_b32 v39, v6
	ds_write_b32 v40, v3
	v_add_nc_u32_e32 v36, 0xfffff980, v35
	v_add_nc_u32_e32 v37, 0xfffff9a0, v35
	v_add_nc_u32_e32 v38, 0xfffff9c0, v35
	v_add_nc_u32_e32 v39, 0xfffff9e0, v35
	v_add_nc_u32_e32 v40, 0xfffffa00, v35
	ds_write_b32 v36, v27
	ds_write_b32 v37, v26
	ds_write_b32 v38, v25
	ds_write_b32 v39, v24
	ds_write_b32 v40, v23
	;; [unrolled: 10-line block ×5, first 2 shown]
.LBB116_106:
	s_or_b32 exec_lo, exec_lo, s1
	v_lshlrev_b32_e32 v28, 2, v28
	v_and_b32_e32 v35, 3, v121
	s_mov_b32 s2, exec_lo
	s_waitcnt lgkmcnt(0)
	s_barrier
	v_add3_u32 v28, 0x220, v34, v28
	v_cmp_eq_u32_e32 vcc_lo, 0, v35
	buffer_gl0_inv
	v_cmpx_gt_u32_e32 64, v121
	s_cbranch_execz .LBB116_141
; %bb.107:
	s_and_saveexec_b32 s1, vcc_lo
	s_cbranch_execnz .LBB116_181
; %bb.108:
	s_or_b32 exec_lo, exec_lo, s1
	s_and_saveexec_b32 s1, vcc_lo
	s_cbranch_execnz .LBB116_182
.LBB116_109:
	s_or_b32 exec_lo, exec_lo, s1
	s_and_saveexec_b32 s1, vcc_lo
	s_cbranch_execnz .LBB116_183
.LBB116_110:
	s_or_b32 exec_lo, exec_lo, s1
	s_and_saveexec_b32 s1, vcc_lo
	s_cbranch_execnz .LBB116_184
.LBB116_111:
	s_or_b32 exec_lo, exec_lo, s1
	s_and_saveexec_b32 s1, vcc_lo
	s_cbranch_execnz .LBB116_185
.LBB116_112:
	s_or_b32 exec_lo, exec_lo, s1
	s_and_saveexec_b32 s1, vcc_lo
	s_cbranch_execnz .LBB116_186
.LBB116_113:
	s_or_b32 exec_lo, exec_lo, s1
	s_and_saveexec_b32 s1, vcc_lo
	s_cbranch_execnz .LBB116_187
.LBB116_114:
	s_or_b32 exec_lo, exec_lo, s1
	s_and_saveexec_b32 s1, vcc_lo
	s_cbranch_execnz .LBB116_188
.LBB116_115:
	s_or_b32 exec_lo, exec_lo, s1
	s_and_saveexec_b32 s1, vcc_lo
	s_cbranch_execnz .LBB116_189
.LBB116_116:
	s_or_b32 exec_lo, exec_lo, s1
	s_and_saveexec_b32 s1, vcc_lo
	s_cbranch_execnz .LBB116_190
.LBB116_117:
	s_or_b32 exec_lo, exec_lo, s1
	s_and_saveexec_b32 s1, vcc_lo
	s_cbranch_execnz .LBB116_191
.LBB116_118:
	s_or_b32 exec_lo, exec_lo, s1
	s_and_saveexec_b32 s1, vcc_lo
	s_cbranch_execnz .LBB116_192
.LBB116_119:
	s_or_b32 exec_lo, exec_lo, s1
	s_and_saveexec_b32 s1, vcc_lo
	s_cbranch_execnz .LBB116_193
.LBB116_120:
	s_or_b32 exec_lo, exec_lo, s1
	s_and_saveexec_b32 s1, vcc_lo
	s_cbranch_execnz .LBB116_194
.LBB116_121:
	s_or_b32 exec_lo, exec_lo, s1
	s_and_saveexec_b32 s1, vcc_lo
	s_cbranch_execnz .LBB116_195
.LBB116_122:
	s_or_b32 exec_lo, exec_lo, s1
	s_and_saveexec_b32 s1, vcc_lo
	s_cbranch_execnz .LBB116_196
.LBB116_123:
	s_or_b32 exec_lo, exec_lo, s1
	s_and_saveexec_b32 s1, vcc_lo
	s_cbranch_execnz .LBB116_197
.LBB116_124:
	s_or_b32 exec_lo, exec_lo, s1
	s_and_saveexec_b32 s1, vcc_lo
	s_cbranch_execnz .LBB116_198
.LBB116_125:
	s_or_b32 exec_lo, exec_lo, s1
	s_and_saveexec_b32 s1, vcc_lo
	s_cbranch_execnz .LBB116_199
.LBB116_126:
	s_or_b32 exec_lo, exec_lo, s1
	s_and_saveexec_b32 s1, vcc_lo
	s_cbranch_execnz .LBB116_200
.LBB116_127:
	s_or_b32 exec_lo, exec_lo, s1
	s_and_saveexec_b32 s1, vcc_lo
	s_cbranch_execnz .LBB116_201
.LBB116_128:
	s_or_b32 exec_lo, exec_lo, s1
	s_and_saveexec_b32 s1, vcc_lo
	s_cbranch_execnz .LBB116_202
.LBB116_129:
	s_or_b32 exec_lo, exec_lo, s1
	s_and_saveexec_b32 s1, vcc_lo
	s_cbranch_execnz .LBB116_203
.LBB116_130:
	s_or_b32 exec_lo, exec_lo, s1
	s_and_saveexec_b32 s1, vcc_lo
	s_cbranch_execnz .LBB116_204
.LBB116_131:
	s_or_b32 exec_lo, exec_lo, s1
	s_and_saveexec_b32 s1, vcc_lo
	s_cbranch_execnz .LBB116_205
.LBB116_132:
	s_or_b32 exec_lo, exec_lo, s1
	s_and_saveexec_b32 s1, vcc_lo
	s_cbranch_execnz .LBB116_206
.LBB116_133:
	s_or_b32 exec_lo, exec_lo, s1
	s_and_saveexec_b32 s1, vcc_lo
	s_cbranch_execnz .LBB116_207
.LBB116_134:
	s_or_b32 exec_lo, exec_lo, s1
	s_and_saveexec_b32 s1, vcc_lo
	s_cbranch_execnz .LBB116_208
.LBB116_135:
	s_or_b32 exec_lo, exec_lo, s1
	s_and_saveexec_b32 s1, vcc_lo
	s_cbranch_execnz .LBB116_209
.LBB116_136:
	s_or_b32 exec_lo, exec_lo, s1
	s_and_saveexec_b32 s1, vcc_lo
	s_cbranch_execnz .LBB116_210
.LBB116_137:
	s_or_b32 exec_lo, exec_lo, s1
	s_and_saveexec_b32 s1, vcc_lo
	s_cbranch_execnz .LBB116_211
.LBB116_138:
	s_or_b32 exec_lo, exec_lo, s1
	s_and_saveexec_b32 s1, vcc_lo
	s_cbranch_execz .LBB116_140
.LBB116_139:
	ds_read_b32 v34, v28 offset:992
	s_waitcnt lgkmcnt(0)
	v_add_f32_e32 v12, v12, v34
.LBB116_140:
	s_or_b32 exec_lo, exec_lo, s1
.LBB116_141:
	s_or_b32 exec_lo, exec_lo, s2
	v_and_b32_e32 v34, 0x3e3, v121
	s_mov_b32 s2, exec_lo
	s_barrier
	buffer_gl0_inv
	v_cmpx_eq_u32_e32 32, v34
	s_cbranch_execz .LBB116_143
; %bb.142:
	ds_write2_b32 v33, v32, v31 offset1:8
	ds_write2_b32 v33, v30, v7 offset0:16 offset1:24
	ds_write2_b32 v33, v5, v1 offset0:32 offset1:40
	;; [unrolled: 1-line block ×15, first 2 shown]
.LBB116_143:
	s_or_b32 exec_lo, exec_lo, s2
	s_waitcnt lgkmcnt(0)
	s_barrier
	buffer_gl0_inv
	s_and_saveexec_b32 s1, s0
	s_cbranch_execz .LBB116_178
; %bb.144:
	s_and_saveexec_b32 s0, vcc_lo
	s_cbranch_execnz .LBB116_212
; %bb.145:
	s_or_b32 exec_lo, exec_lo, s0
	s_and_saveexec_b32 s0, vcc_lo
	s_cbranch_execnz .LBB116_213
.LBB116_146:
	s_or_b32 exec_lo, exec_lo, s0
	s_and_saveexec_b32 s0, vcc_lo
	s_cbranch_execnz .LBB116_214
.LBB116_147:
	s_or_b32 exec_lo, exec_lo, s0
	s_and_saveexec_b32 s0, vcc_lo
	s_cbranch_execnz .LBB116_215
.LBB116_148:
	s_or_b32 exec_lo, exec_lo, s0
	s_and_saveexec_b32 s0, vcc_lo
	s_cbranch_execnz .LBB116_216
.LBB116_149:
	s_or_b32 exec_lo, exec_lo, s0
	s_and_saveexec_b32 s0, vcc_lo
	s_cbranch_execnz .LBB116_217
.LBB116_150:
	s_or_b32 exec_lo, exec_lo, s0
	s_and_saveexec_b32 s0, vcc_lo
	s_cbranch_execnz .LBB116_218
.LBB116_151:
	s_or_b32 exec_lo, exec_lo, s0
	s_and_saveexec_b32 s0, vcc_lo
	s_cbranch_execnz .LBB116_219
.LBB116_152:
	s_or_b32 exec_lo, exec_lo, s0
	s_and_saveexec_b32 s0, vcc_lo
	s_cbranch_execnz .LBB116_220
.LBB116_153:
	s_or_b32 exec_lo, exec_lo, s0
	s_and_saveexec_b32 s0, vcc_lo
	s_cbranch_execnz .LBB116_221
.LBB116_154:
	s_or_b32 exec_lo, exec_lo, s0
	s_and_saveexec_b32 s0, vcc_lo
	s_cbranch_execnz .LBB116_222
.LBB116_155:
	s_or_b32 exec_lo, exec_lo, s0
	s_and_saveexec_b32 s0, vcc_lo
	s_cbranch_execnz .LBB116_223
.LBB116_156:
	s_or_b32 exec_lo, exec_lo, s0
	s_and_saveexec_b32 s0, vcc_lo
	s_cbranch_execnz .LBB116_224
.LBB116_157:
	s_or_b32 exec_lo, exec_lo, s0
	s_and_saveexec_b32 s0, vcc_lo
	s_cbranch_execnz .LBB116_225
.LBB116_158:
	s_or_b32 exec_lo, exec_lo, s0
	s_and_saveexec_b32 s0, vcc_lo
	s_cbranch_execnz .LBB116_226
.LBB116_159:
	s_or_b32 exec_lo, exec_lo, s0
	s_and_saveexec_b32 s0, vcc_lo
	s_cbranch_execnz .LBB116_227
.LBB116_160:
	s_or_b32 exec_lo, exec_lo, s0
	s_and_saveexec_b32 s0, vcc_lo
	s_cbranch_execnz .LBB116_228
.LBB116_161:
	s_or_b32 exec_lo, exec_lo, s0
	s_and_saveexec_b32 s0, vcc_lo
	s_cbranch_execnz .LBB116_229
.LBB116_162:
	s_or_b32 exec_lo, exec_lo, s0
	s_and_saveexec_b32 s0, vcc_lo
	s_cbranch_execnz .LBB116_230
.LBB116_163:
	s_or_b32 exec_lo, exec_lo, s0
	s_and_saveexec_b32 s0, vcc_lo
	s_cbranch_execnz .LBB116_231
.LBB116_164:
	s_or_b32 exec_lo, exec_lo, s0
	s_and_saveexec_b32 s0, vcc_lo
	s_cbranch_execnz .LBB116_232
.LBB116_165:
	s_or_b32 exec_lo, exec_lo, s0
	s_and_saveexec_b32 s0, vcc_lo
	s_cbranch_execnz .LBB116_233
.LBB116_166:
	s_or_b32 exec_lo, exec_lo, s0
	s_and_saveexec_b32 s0, vcc_lo
	s_cbranch_execnz .LBB116_234
.LBB116_167:
	s_or_b32 exec_lo, exec_lo, s0
	s_and_saveexec_b32 s0, vcc_lo
	s_cbranch_execnz .LBB116_235
.LBB116_168:
	s_or_b32 exec_lo, exec_lo, s0
	s_and_saveexec_b32 s0, vcc_lo
	s_cbranch_execnz .LBB116_236
.LBB116_169:
	s_or_b32 exec_lo, exec_lo, s0
	s_and_saveexec_b32 s0, vcc_lo
	s_cbranch_execnz .LBB116_237
.LBB116_170:
	s_or_b32 exec_lo, exec_lo, s0
	s_and_saveexec_b32 s0, vcc_lo
	s_cbranch_execnz .LBB116_238
.LBB116_171:
	s_or_b32 exec_lo, exec_lo, s0
	s_and_saveexec_b32 s0, vcc_lo
	s_cbranch_execnz .LBB116_239
.LBB116_172:
	s_or_b32 exec_lo, exec_lo, s0
	s_and_saveexec_b32 s0, vcc_lo
	s_cbranch_execnz .LBB116_240
.LBB116_173:
	s_or_b32 exec_lo, exec_lo, s0
	s_and_saveexec_b32 s0, vcc_lo
	s_cbranch_execnz .LBB116_241
.LBB116_174:
	s_or_b32 exec_lo, exec_lo, s0
	s_and_saveexec_b32 s0, vcc_lo
	s_cbranch_execnz .LBB116_242
.LBB116_175:
	s_or_b32 exec_lo, exec_lo, s0
	s_and_saveexec_b32 s0, vcc_lo
	s_cbranch_execz .LBB116_177
.LBB116_176:
	ds_read_b32 v28, v28 offset:992
	s_waitcnt lgkmcnt(0)
	v_add_f32_e32 v12, v12, v28
.LBB116_177:
	s_or_b32 exec_lo, exec_lo, s0
.LBB116_178:
	s_or_b32 exec_lo, exec_lo, s1
	s_barrier
	buffer_gl0_inv
	s_mov_b32 s0, exec_lo
	v_cmpx_eq_u32_e32 0, v34
	s_cbranch_execz .LBB116_180
; %bb.179:
	s_lshl_b32 s0, s4, 8
	s_mul_i32 s2, s7, s10
	s_ashr_i32 s1, s0, 31
	v_lshrrev_b32_e32 v28, 1, v121
	s_lshl_b64 s[0:1], s[0:1], 1
	;;#ASMSTART
	v_cvt_f16_f32 v32, v32;

	;;#ASMEND
	s_add_u32 s4, s24, s0
	s_addc_u32 s5, s25, s1
	s_ashr_i32 s3, s2, 31
	s_lshl_b64 s[0:1], s[2:3], 1
	s_add_u32 s2, s4, s0
	s_addc_u32 s3, s5, s1
	s_lshl_b32 s0, s8, 8
	s_ashr_i32 s1, s0, 31
	s_lshl_b64 s[0:1], s[0:1], 1
	s_add_u32 s0, s2, s0
	s_addc_u32 s1, s3, s1
	global_store_short v28, v32, s[0:1]
	;;#ASMSTART
	v_cvt_f16_f32 v31, v31;

	;;#ASMEND
	global_store_short v28, v31, s[0:1] offset:16
	;;#ASMSTART
	v_cvt_f16_f32 v30, v30;

	;;#ASMEND
	global_store_short v28, v30, s[0:1] offset:32
	;;#ASMSTART
	v_cvt_f16_f32 v7, v7;

	;;#ASMEND
	global_store_short v28, v7, s[0:1] offset:48
	;;#ASMSTART
	v_cvt_f16_f32 v5, v5;

	;;#ASMEND
	global_store_short v28, v5, s[0:1] offset:64
	;;#ASMSTART
	v_cvt_f16_f32 v1, v1;

	;;#ASMEND
	global_store_short v28, v1, s[0:1] offset:80
	;;#ASMSTART
	v_cvt_f16_f32 v0, v0;

	;;#ASMEND
	global_store_short v28, v0, s[0:1] offset:96
	;;#ASMSTART
	v_cvt_f16_f32 v0, v2;

	;;#ASMEND
	global_store_short v28, v0, s[0:1] offset:112
	;;#ASMSTART
	v_cvt_f16_f32 v0, v29;

	;;#ASMEND
	global_store_short v28, v0, s[0:1] offset:128
	;;#ASMSTART
	v_cvt_f16_f32 v0, v8;

	;;#ASMEND
	global_store_short v28, v0, s[0:1] offset:144
	;;#ASMSTART
	v_cvt_f16_f32 v0, v6;

	;;#ASMEND
	global_store_short v28, v0, s[0:1] offset:160
	;;#ASMSTART
	v_cvt_f16_f32 v0, v3;

	;;#ASMEND
	global_store_short v28, v0, s[0:1] offset:176
	;;#ASMSTART
	v_cvt_f16_f32 v0, v27;

	;;#ASMEND
	global_store_short v28, v0, s[0:1] offset:192
	;;#ASMSTART
	v_cvt_f16_f32 v0, v26;

	;;#ASMEND
	global_store_short v28, v0, s[0:1] offset:208
	;;#ASMSTART
	v_cvt_f16_f32 v0, v25;

	;;#ASMEND
	global_store_short v28, v0, s[0:1] offset:224
	;;#ASMSTART
	v_cvt_f16_f32 v0, v24;

	;;#ASMEND
	global_store_short v28, v0, s[0:1] offset:240
	;;#ASMSTART
	v_cvt_f16_f32 v0, v23;

	;;#ASMEND
	global_store_short v28, v0, s[0:1] offset:256
	;;#ASMSTART
	v_cvt_f16_f32 v0, v22;

	;;#ASMEND
	global_store_short v28, v0, s[0:1] offset:272
	;;#ASMSTART
	v_cvt_f16_f32 v0, v21;

	;;#ASMEND
	global_store_short v28, v0, s[0:1] offset:288
	;;#ASMSTART
	v_cvt_f16_f32 v0, v20;

	;;#ASMEND
	global_store_short v28, v0, s[0:1] offset:304
	;;#ASMSTART
	v_cvt_f16_f32 v0, v19;

	;;#ASMEND
	global_store_short v28, v0, s[0:1] offset:320
	;;#ASMSTART
	v_cvt_f16_f32 v0, v18;

	;;#ASMEND
	global_store_short v28, v0, s[0:1] offset:336
	;;#ASMSTART
	v_cvt_f16_f32 v0, v17;

	;;#ASMEND
	global_store_short v28, v0, s[0:1] offset:352
	;;#ASMSTART
	v_cvt_f16_f32 v0, v16;

	;;#ASMEND
	global_store_short v28, v0, s[0:1] offset:368
	;;#ASMSTART
	v_cvt_f16_f32 v0, v15;

	;;#ASMEND
	global_store_short v28, v0, s[0:1] offset:384
	;;#ASMSTART
	v_cvt_f16_f32 v0, v14;

	;;#ASMEND
	global_store_short v28, v0, s[0:1] offset:400
	;;#ASMSTART
	v_cvt_f16_f32 v0, v13;

	;;#ASMEND
	global_store_short v28, v0, s[0:1] offset:416
	;;#ASMSTART
	v_cvt_f16_f32 v0, v10;

	;;#ASMEND
	global_store_short v28, v0, s[0:1] offset:432
	;;#ASMSTART
	v_cvt_f16_f32 v0, v9;

	;;#ASMEND
	global_store_short v28, v0, s[0:1] offset:448
	;;#ASMSTART
	v_cvt_f16_f32 v0, v4;

	;;#ASMEND
	global_store_short v28, v0, s[0:1] offset:464
	;;#ASMSTART
	v_cvt_f16_f32 v0, v11;

	;;#ASMEND
	global_store_short v28, v0, s[0:1] offset:480
	;;#ASMSTART
	v_cvt_f16_f32 v0, v12;

	;;#ASMEND
	global_store_short v28, v0, s[0:1] offset:496
.LBB116_180:
	s_endpgm
.LBB116_181:
	ds_read_b32 v34, v28
	s_waitcnt lgkmcnt(0)
	v_add_f32_e32 v32, v32, v34
	s_or_b32 exec_lo, exec_lo, s1
	s_and_saveexec_b32 s1, vcc_lo
	s_cbranch_execz .LBB116_109
.LBB116_182:
	ds_read_b32 v34, v28 offset:32
	s_waitcnt lgkmcnt(0)
	v_add_f32_e32 v31, v31, v34
	s_or_b32 exec_lo, exec_lo, s1
	s_and_saveexec_b32 s1, vcc_lo
	s_cbranch_execz .LBB116_110
.LBB116_183:
	ds_read_b32 v34, v28 offset:64
	s_waitcnt lgkmcnt(0)
	v_add_f32_e32 v30, v30, v34
	s_or_b32 exec_lo, exec_lo, s1
	s_and_saveexec_b32 s1, vcc_lo
	s_cbranch_execz .LBB116_111
.LBB116_184:
	ds_read_b32 v34, v28 offset:96
	s_waitcnt lgkmcnt(0)
	v_add_f32_e32 v7, v7, v34
	s_or_b32 exec_lo, exec_lo, s1
	s_and_saveexec_b32 s1, vcc_lo
	s_cbranch_execz .LBB116_112
.LBB116_185:
	ds_read_b32 v34, v28 offset:128
	s_waitcnt lgkmcnt(0)
	v_add_f32_e32 v5, v5, v34
	s_or_b32 exec_lo, exec_lo, s1
	s_and_saveexec_b32 s1, vcc_lo
	s_cbranch_execz .LBB116_113
.LBB116_186:
	ds_read_b32 v34, v28 offset:160
	s_waitcnt lgkmcnt(0)
	v_add_f32_e32 v1, v1, v34
	s_or_b32 exec_lo, exec_lo, s1
	s_and_saveexec_b32 s1, vcc_lo
	s_cbranch_execz .LBB116_114
.LBB116_187:
	ds_read_b32 v34, v28 offset:192
	s_waitcnt lgkmcnt(0)
	v_add_f32_e32 v0, v0, v34
	s_or_b32 exec_lo, exec_lo, s1
	s_and_saveexec_b32 s1, vcc_lo
	s_cbranch_execz .LBB116_115
.LBB116_188:
	ds_read_b32 v34, v28 offset:224
	s_waitcnt lgkmcnt(0)
	v_add_f32_e32 v2, v2, v34
	s_or_b32 exec_lo, exec_lo, s1
	s_and_saveexec_b32 s1, vcc_lo
	s_cbranch_execz .LBB116_116
.LBB116_189:
	ds_read_b32 v34, v28 offset:256
	s_waitcnt lgkmcnt(0)
	v_add_f32_e32 v29, v29, v34
	s_or_b32 exec_lo, exec_lo, s1
	s_and_saveexec_b32 s1, vcc_lo
	s_cbranch_execz .LBB116_117
.LBB116_190:
	ds_read_b32 v34, v28 offset:288
	s_waitcnt lgkmcnt(0)
	v_add_f32_e32 v8, v8, v34
	s_or_b32 exec_lo, exec_lo, s1
	s_and_saveexec_b32 s1, vcc_lo
	s_cbranch_execz .LBB116_118
.LBB116_191:
	ds_read_b32 v34, v28 offset:320
	s_waitcnt lgkmcnt(0)
	v_add_f32_e32 v6, v6, v34
	s_or_b32 exec_lo, exec_lo, s1
	s_and_saveexec_b32 s1, vcc_lo
	s_cbranch_execz .LBB116_119
.LBB116_192:
	ds_read_b32 v34, v28 offset:352
	s_waitcnt lgkmcnt(0)
	v_add_f32_e32 v3, v3, v34
	s_or_b32 exec_lo, exec_lo, s1
	s_and_saveexec_b32 s1, vcc_lo
	s_cbranch_execz .LBB116_120
.LBB116_193:
	ds_read_b32 v34, v28 offset:384
	s_waitcnt lgkmcnt(0)
	v_add_f32_e32 v27, v27, v34
	s_or_b32 exec_lo, exec_lo, s1
	s_and_saveexec_b32 s1, vcc_lo
	s_cbranch_execz .LBB116_121
.LBB116_194:
	ds_read_b32 v34, v28 offset:416
	s_waitcnt lgkmcnt(0)
	v_add_f32_e32 v26, v26, v34
	s_or_b32 exec_lo, exec_lo, s1
	s_and_saveexec_b32 s1, vcc_lo
	s_cbranch_execz .LBB116_122
.LBB116_195:
	ds_read_b32 v34, v28 offset:448
	s_waitcnt lgkmcnt(0)
	v_add_f32_e32 v25, v25, v34
	s_or_b32 exec_lo, exec_lo, s1
	s_and_saveexec_b32 s1, vcc_lo
	s_cbranch_execz .LBB116_123
.LBB116_196:
	ds_read_b32 v34, v28 offset:480
	s_waitcnt lgkmcnt(0)
	v_add_f32_e32 v24, v24, v34
	s_or_b32 exec_lo, exec_lo, s1
	s_and_saveexec_b32 s1, vcc_lo
	s_cbranch_execz .LBB116_124
.LBB116_197:
	ds_read_b32 v34, v28 offset:512
	s_waitcnt lgkmcnt(0)
	v_add_f32_e32 v23, v23, v34
	s_or_b32 exec_lo, exec_lo, s1
	s_and_saveexec_b32 s1, vcc_lo
	s_cbranch_execz .LBB116_125
.LBB116_198:
	ds_read_b32 v34, v28 offset:544
	s_waitcnt lgkmcnt(0)
	v_add_f32_e32 v22, v22, v34
	s_or_b32 exec_lo, exec_lo, s1
	s_and_saveexec_b32 s1, vcc_lo
	s_cbranch_execz .LBB116_126
.LBB116_199:
	ds_read_b32 v34, v28 offset:576
	s_waitcnt lgkmcnt(0)
	v_add_f32_e32 v21, v21, v34
	s_or_b32 exec_lo, exec_lo, s1
	s_and_saveexec_b32 s1, vcc_lo
	s_cbranch_execz .LBB116_127
.LBB116_200:
	ds_read_b32 v34, v28 offset:608
	s_waitcnt lgkmcnt(0)
	v_add_f32_e32 v20, v20, v34
	s_or_b32 exec_lo, exec_lo, s1
	s_and_saveexec_b32 s1, vcc_lo
	s_cbranch_execz .LBB116_128
.LBB116_201:
	ds_read_b32 v34, v28 offset:640
	s_waitcnt lgkmcnt(0)
	v_add_f32_e32 v19, v19, v34
	s_or_b32 exec_lo, exec_lo, s1
	s_and_saveexec_b32 s1, vcc_lo
	s_cbranch_execz .LBB116_129
.LBB116_202:
	ds_read_b32 v34, v28 offset:672
	s_waitcnt lgkmcnt(0)
	v_add_f32_e32 v18, v18, v34
	s_or_b32 exec_lo, exec_lo, s1
	s_and_saveexec_b32 s1, vcc_lo
	s_cbranch_execz .LBB116_130
.LBB116_203:
	ds_read_b32 v34, v28 offset:704
	s_waitcnt lgkmcnt(0)
	v_add_f32_e32 v17, v17, v34
	s_or_b32 exec_lo, exec_lo, s1
	s_and_saveexec_b32 s1, vcc_lo
	s_cbranch_execz .LBB116_131
.LBB116_204:
	ds_read_b32 v34, v28 offset:736
	s_waitcnt lgkmcnt(0)
	v_add_f32_e32 v16, v16, v34
	s_or_b32 exec_lo, exec_lo, s1
	s_and_saveexec_b32 s1, vcc_lo
	s_cbranch_execz .LBB116_132
.LBB116_205:
	ds_read_b32 v34, v28 offset:768
	s_waitcnt lgkmcnt(0)
	v_add_f32_e32 v15, v15, v34
	s_or_b32 exec_lo, exec_lo, s1
	s_and_saveexec_b32 s1, vcc_lo
	s_cbranch_execz .LBB116_133
.LBB116_206:
	ds_read_b32 v34, v28 offset:800
	s_waitcnt lgkmcnt(0)
	v_add_f32_e32 v14, v14, v34
	s_or_b32 exec_lo, exec_lo, s1
	s_and_saveexec_b32 s1, vcc_lo
	s_cbranch_execz .LBB116_134
.LBB116_207:
	ds_read_b32 v34, v28 offset:832
	s_waitcnt lgkmcnt(0)
	v_add_f32_e32 v13, v13, v34
	s_or_b32 exec_lo, exec_lo, s1
	s_and_saveexec_b32 s1, vcc_lo
	s_cbranch_execz .LBB116_135
.LBB116_208:
	ds_read_b32 v34, v28 offset:864
	s_waitcnt lgkmcnt(0)
	v_add_f32_e32 v10, v10, v34
	s_or_b32 exec_lo, exec_lo, s1
	s_and_saveexec_b32 s1, vcc_lo
	s_cbranch_execz .LBB116_136
.LBB116_209:
	ds_read_b32 v34, v28 offset:896
	s_waitcnt lgkmcnt(0)
	v_add_f32_e32 v9, v9, v34
	s_or_b32 exec_lo, exec_lo, s1
	s_and_saveexec_b32 s1, vcc_lo
	s_cbranch_execz .LBB116_137
.LBB116_210:
	ds_read_b32 v34, v28 offset:928
	s_waitcnt lgkmcnt(0)
	v_add_f32_e32 v4, v4, v34
	s_or_b32 exec_lo, exec_lo, s1
	s_and_saveexec_b32 s1, vcc_lo
	s_cbranch_execz .LBB116_138
.LBB116_211:
	ds_read_b32 v34, v28 offset:960
	s_waitcnt lgkmcnt(0)
	v_add_f32_e32 v11, v11, v34
	s_or_b32 exec_lo, exec_lo, s1
	s_and_saveexec_b32 s1, vcc_lo
	s_cbranch_execnz .LBB116_139
	s_branch .LBB116_140
.LBB116_212:
	ds_read_b32 v33, v28
	s_waitcnt lgkmcnt(0)
	v_add_f32_e32 v32, v32, v33
	s_or_b32 exec_lo, exec_lo, s0
	s_and_saveexec_b32 s0, vcc_lo
	s_cbranch_execz .LBB116_146
.LBB116_213:
	ds_read_b32 v33, v28 offset:32
	s_waitcnt lgkmcnt(0)
	v_add_f32_e32 v31, v31, v33
	s_or_b32 exec_lo, exec_lo, s0
	s_and_saveexec_b32 s0, vcc_lo
	s_cbranch_execz .LBB116_147
.LBB116_214:
	ds_read_b32 v33, v28 offset:64
	s_waitcnt lgkmcnt(0)
	v_add_f32_e32 v30, v30, v33
	s_or_b32 exec_lo, exec_lo, s0
	s_and_saveexec_b32 s0, vcc_lo
	s_cbranch_execz .LBB116_148
.LBB116_215:
	ds_read_b32 v33, v28 offset:96
	s_waitcnt lgkmcnt(0)
	v_add_f32_e32 v7, v7, v33
	s_or_b32 exec_lo, exec_lo, s0
	s_and_saveexec_b32 s0, vcc_lo
	s_cbranch_execz .LBB116_149
.LBB116_216:
	ds_read_b32 v33, v28 offset:128
	s_waitcnt lgkmcnt(0)
	v_add_f32_e32 v5, v5, v33
	s_or_b32 exec_lo, exec_lo, s0
	s_and_saveexec_b32 s0, vcc_lo
	s_cbranch_execz .LBB116_150
.LBB116_217:
	ds_read_b32 v33, v28 offset:160
	s_waitcnt lgkmcnt(0)
	v_add_f32_e32 v1, v1, v33
	s_or_b32 exec_lo, exec_lo, s0
	s_and_saveexec_b32 s0, vcc_lo
	s_cbranch_execz .LBB116_151
.LBB116_218:
	ds_read_b32 v33, v28 offset:192
	s_waitcnt lgkmcnt(0)
	v_add_f32_e32 v0, v0, v33
	s_or_b32 exec_lo, exec_lo, s0
	s_and_saveexec_b32 s0, vcc_lo
	s_cbranch_execz .LBB116_152
.LBB116_219:
	ds_read_b32 v33, v28 offset:224
	s_waitcnt lgkmcnt(0)
	v_add_f32_e32 v2, v2, v33
	s_or_b32 exec_lo, exec_lo, s0
	s_and_saveexec_b32 s0, vcc_lo
	s_cbranch_execz .LBB116_153
.LBB116_220:
	ds_read_b32 v33, v28 offset:256
	s_waitcnt lgkmcnt(0)
	v_add_f32_e32 v29, v29, v33
	s_or_b32 exec_lo, exec_lo, s0
	s_and_saveexec_b32 s0, vcc_lo
	s_cbranch_execz .LBB116_154
.LBB116_221:
	ds_read_b32 v33, v28 offset:288
	s_waitcnt lgkmcnt(0)
	v_add_f32_e32 v8, v8, v33
	s_or_b32 exec_lo, exec_lo, s0
	s_and_saveexec_b32 s0, vcc_lo
	s_cbranch_execz .LBB116_155
.LBB116_222:
	ds_read_b32 v33, v28 offset:320
	s_waitcnt lgkmcnt(0)
	v_add_f32_e32 v6, v6, v33
	s_or_b32 exec_lo, exec_lo, s0
	s_and_saveexec_b32 s0, vcc_lo
	s_cbranch_execz .LBB116_156
.LBB116_223:
	ds_read_b32 v33, v28 offset:352
	s_waitcnt lgkmcnt(0)
	v_add_f32_e32 v3, v3, v33
	s_or_b32 exec_lo, exec_lo, s0
	s_and_saveexec_b32 s0, vcc_lo
	s_cbranch_execz .LBB116_157
.LBB116_224:
	ds_read_b32 v33, v28 offset:384
	s_waitcnt lgkmcnt(0)
	v_add_f32_e32 v27, v27, v33
	s_or_b32 exec_lo, exec_lo, s0
	s_and_saveexec_b32 s0, vcc_lo
	s_cbranch_execz .LBB116_158
.LBB116_225:
	ds_read_b32 v33, v28 offset:416
	s_waitcnt lgkmcnt(0)
	v_add_f32_e32 v26, v26, v33
	s_or_b32 exec_lo, exec_lo, s0
	s_and_saveexec_b32 s0, vcc_lo
	s_cbranch_execz .LBB116_159
.LBB116_226:
	ds_read_b32 v33, v28 offset:448
	s_waitcnt lgkmcnt(0)
	v_add_f32_e32 v25, v25, v33
	s_or_b32 exec_lo, exec_lo, s0
	s_and_saveexec_b32 s0, vcc_lo
	s_cbranch_execz .LBB116_160
.LBB116_227:
	ds_read_b32 v33, v28 offset:480
	s_waitcnt lgkmcnt(0)
	v_add_f32_e32 v24, v24, v33
	s_or_b32 exec_lo, exec_lo, s0
	s_and_saveexec_b32 s0, vcc_lo
	s_cbranch_execz .LBB116_161
.LBB116_228:
	ds_read_b32 v33, v28 offset:512
	s_waitcnt lgkmcnt(0)
	v_add_f32_e32 v23, v23, v33
	s_or_b32 exec_lo, exec_lo, s0
	s_and_saveexec_b32 s0, vcc_lo
	s_cbranch_execz .LBB116_162
.LBB116_229:
	ds_read_b32 v33, v28 offset:544
	s_waitcnt lgkmcnt(0)
	v_add_f32_e32 v22, v22, v33
	s_or_b32 exec_lo, exec_lo, s0
	s_and_saveexec_b32 s0, vcc_lo
	s_cbranch_execz .LBB116_163
.LBB116_230:
	ds_read_b32 v33, v28 offset:576
	s_waitcnt lgkmcnt(0)
	v_add_f32_e32 v21, v21, v33
	s_or_b32 exec_lo, exec_lo, s0
	s_and_saveexec_b32 s0, vcc_lo
	s_cbranch_execz .LBB116_164
.LBB116_231:
	ds_read_b32 v33, v28 offset:608
	s_waitcnt lgkmcnt(0)
	v_add_f32_e32 v20, v20, v33
	s_or_b32 exec_lo, exec_lo, s0
	s_and_saveexec_b32 s0, vcc_lo
	s_cbranch_execz .LBB116_165
.LBB116_232:
	ds_read_b32 v33, v28 offset:640
	s_waitcnt lgkmcnt(0)
	v_add_f32_e32 v19, v19, v33
	s_or_b32 exec_lo, exec_lo, s0
	s_and_saveexec_b32 s0, vcc_lo
	s_cbranch_execz .LBB116_166
.LBB116_233:
	ds_read_b32 v33, v28 offset:672
	s_waitcnt lgkmcnt(0)
	v_add_f32_e32 v18, v18, v33
	s_or_b32 exec_lo, exec_lo, s0
	s_and_saveexec_b32 s0, vcc_lo
	s_cbranch_execz .LBB116_167
.LBB116_234:
	ds_read_b32 v33, v28 offset:704
	s_waitcnt lgkmcnt(0)
	v_add_f32_e32 v17, v17, v33
	s_or_b32 exec_lo, exec_lo, s0
	s_and_saveexec_b32 s0, vcc_lo
	s_cbranch_execz .LBB116_168
.LBB116_235:
	ds_read_b32 v33, v28 offset:736
	s_waitcnt lgkmcnt(0)
	v_add_f32_e32 v16, v16, v33
	s_or_b32 exec_lo, exec_lo, s0
	s_and_saveexec_b32 s0, vcc_lo
	s_cbranch_execz .LBB116_169
.LBB116_236:
	ds_read_b32 v33, v28 offset:768
	s_waitcnt lgkmcnt(0)
	v_add_f32_e32 v15, v15, v33
	s_or_b32 exec_lo, exec_lo, s0
	s_and_saveexec_b32 s0, vcc_lo
	s_cbranch_execz .LBB116_170
.LBB116_237:
	ds_read_b32 v33, v28 offset:800
	s_waitcnt lgkmcnt(0)
	v_add_f32_e32 v14, v14, v33
	s_or_b32 exec_lo, exec_lo, s0
	s_and_saveexec_b32 s0, vcc_lo
	s_cbranch_execz .LBB116_171
.LBB116_238:
	ds_read_b32 v33, v28 offset:832
	s_waitcnt lgkmcnt(0)
	v_add_f32_e32 v13, v13, v33
	s_or_b32 exec_lo, exec_lo, s0
	s_and_saveexec_b32 s0, vcc_lo
	s_cbranch_execz .LBB116_172
.LBB116_239:
	ds_read_b32 v33, v28 offset:864
	s_waitcnt lgkmcnt(0)
	v_add_f32_e32 v10, v10, v33
	s_or_b32 exec_lo, exec_lo, s0
	s_and_saveexec_b32 s0, vcc_lo
	s_cbranch_execz .LBB116_173
.LBB116_240:
	ds_read_b32 v33, v28 offset:896
	s_waitcnt lgkmcnt(0)
	v_add_f32_e32 v9, v9, v33
	s_or_b32 exec_lo, exec_lo, s0
	s_and_saveexec_b32 s0, vcc_lo
	s_cbranch_execz .LBB116_174
.LBB116_241:
	ds_read_b32 v33, v28 offset:928
	s_waitcnt lgkmcnt(0)
	v_add_f32_e32 v4, v4, v33
	s_or_b32 exec_lo, exec_lo, s0
	s_and_saveexec_b32 s0, vcc_lo
	s_cbranch_execz .LBB116_175
.LBB116_242:
	ds_read_b32 v33, v28 offset:960
	s_waitcnt lgkmcnt(0)
	v_add_f32_e32 v11, v11, v33
	s_or_b32 exec_lo, exec_lo, s0
	s_and_saveexec_b32 s0, vcc_lo
	s_cbranch_execnz .LBB116_176
	s_branch .LBB116_177
	.section	.rodata,"a",@progbits
	.p2align	6, 0x0
	.amdhsa_kernel _ZN4vllm25paged_attention_v2_kernelIttLi256ELi32ELi128ELNS_18Fp8KVCacheDataTypeE0ELb1ELi512EEEvPfS2_PT_PKS3_PKT0_S9_ifPKiSB_iPKfiiiSD_SD_iiiii
		.amdhsa_group_segment_fixed_size 544
		.amdhsa_private_segment_fixed_size 156
		.amdhsa_kernarg_size 400
		.amdhsa_user_sgpr_count 6
		.amdhsa_user_sgpr_private_segment_buffer 1
		.amdhsa_user_sgpr_dispatch_ptr 0
		.amdhsa_user_sgpr_queue_ptr 0
		.amdhsa_user_sgpr_kernarg_segment_ptr 1
		.amdhsa_user_sgpr_dispatch_id 0
		.amdhsa_user_sgpr_flat_scratch_init 0
		.amdhsa_user_sgpr_private_segment_size 0
		.amdhsa_wavefront_size32 1
		.amdhsa_uses_dynamic_stack 0
		.amdhsa_system_sgpr_private_segment_wavefront_offset 1
		.amdhsa_system_sgpr_workgroup_id_x 1
		.amdhsa_system_sgpr_workgroup_id_y 1
		.amdhsa_system_sgpr_workgroup_id_z 1
		.amdhsa_system_sgpr_workgroup_info 0
		.amdhsa_system_vgpr_workitem_id 0
		.amdhsa_next_free_vgpr 128
		.amdhsa_next_free_sgpr 52
		.amdhsa_reserve_vcc 1
		.amdhsa_reserve_flat_scratch 0
		.amdhsa_float_round_mode_32 0
		.amdhsa_float_round_mode_16_64 0
		.amdhsa_float_denorm_mode_32 3
		.amdhsa_float_denorm_mode_16_64 3
		.amdhsa_dx10_clamp 1
		.amdhsa_ieee_mode 1
		.amdhsa_fp16_overflow 0
		.amdhsa_workgroup_processor_mode 1
		.amdhsa_memory_ordered 1
		.amdhsa_forward_progress 1
		.amdhsa_shared_vgpr_count 0
		.amdhsa_exception_fp_ieee_invalid_op 0
		.amdhsa_exception_fp_denorm_src 0
		.amdhsa_exception_fp_ieee_div_zero 0
		.amdhsa_exception_fp_ieee_overflow 0
		.amdhsa_exception_fp_ieee_underflow 0
		.amdhsa_exception_fp_ieee_inexact 0
		.amdhsa_exception_int_div_zero 0
	.end_amdhsa_kernel
	.section	.text._ZN4vllm25paged_attention_v2_kernelIttLi256ELi32ELi128ELNS_18Fp8KVCacheDataTypeE0ELb1ELi512EEEvPfS2_PT_PKS3_PKT0_S9_ifPKiSB_iPKfiiiSD_SD_iiiii,"axG",@progbits,_ZN4vllm25paged_attention_v2_kernelIttLi256ELi32ELi128ELNS_18Fp8KVCacheDataTypeE0ELb1ELi512EEEvPfS2_PT_PKS3_PKT0_S9_ifPKiSB_iPKfiiiSD_SD_iiiii,comdat
.Lfunc_end116:
	.size	_ZN4vllm25paged_attention_v2_kernelIttLi256ELi32ELi128ELNS_18Fp8KVCacheDataTypeE0ELb1ELi512EEEvPfS2_PT_PKS3_PKT0_S9_ifPKiSB_iPKfiiiSD_SD_iiiii, .Lfunc_end116-_ZN4vllm25paged_attention_v2_kernelIttLi256ELi32ELi128ELNS_18Fp8KVCacheDataTypeE0ELb1ELi512EEEvPfS2_PT_PKS3_PKT0_S9_ifPKiSB_iPKfiiiSD_SD_iiiii
                                        ; -- End function
	.set _ZN4vllm25paged_attention_v2_kernelIttLi256ELi32ELi128ELNS_18Fp8KVCacheDataTypeE0ELb1ELi512EEEvPfS2_PT_PKS3_PKT0_S9_ifPKiSB_iPKfiiiSD_SD_iiiii.num_vgpr, 128
	.set _ZN4vllm25paged_attention_v2_kernelIttLi256ELi32ELi128ELNS_18Fp8KVCacheDataTypeE0ELb1ELi512EEEvPfS2_PT_PKS3_PKT0_S9_ifPKiSB_iPKfiiiSD_SD_iiiii.num_agpr, 0
	.set _ZN4vllm25paged_attention_v2_kernelIttLi256ELi32ELi128ELNS_18Fp8KVCacheDataTypeE0ELb1ELi512EEEvPfS2_PT_PKS3_PKT0_S9_ifPKiSB_iPKfiiiSD_SD_iiiii.numbered_sgpr, 52
	.set _ZN4vllm25paged_attention_v2_kernelIttLi256ELi32ELi128ELNS_18Fp8KVCacheDataTypeE0ELb1ELi512EEEvPfS2_PT_PKS3_PKT0_S9_ifPKiSB_iPKfiiiSD_SD_iiiii.num_named_barrier, 0
	.set _ZN4vllm25paged_attention_v2_kernelIttLi256ELi32ELi128ELNS_18Fp8KVCacheDataTypeE0ELb1ELi512EEEvPfS2_PT_PKS3_PKT0_S9_ifPKiSB_iPKfiiiSD_SD_iiiii.private_seg_size, 156
	.set _ZN4vllm25paged_attention_v2_kernelIttLi256ELi32ELi128ELNS_18Fp8KVCacheDataTypeE0ELb1ELi512EEEvPfS2_PT_PKS3_PKT0_S9_ifPKiSB_iPKfiiiSD_SD_iiiii.uses_vcc, 1
	.set _ZN4vllm25paged_attention_v2_kernelIttLi256ELi32ELi128ELNS_18Fp8KVCacheDataTypeE0ELb1ELi512EEEvPfS2_PT_PKS3_PKT0_S9_ifPKiSB_iPKfiiiSD_SD_iiiii.uses_flat_scratch, 0
	.set _ZN4vllm25paged_attention_v2_kernelIttLi256ELi32ELi128ELNS_18Fp8KVCacheDataTypeE0ELb1ELi512EEEvPfS2_PT_PKS3_PKT0_S9_ifPKiSB_iPKfiiiSD_SD_iiiii.has_dyn_sized_stack, 0
	.set _ZN4vllm25paged_attention_v2_kernelIttLi256ELi32ELi128ELNS_18Fp8KVCacheDataTypeE0ELb1ELi512EEEvPfS2_PT_PKS3_PKT0_S9_ifPKiSB_iPKfiiiSD_SD_iiiii.has_recursion, 0
	.set _ZN4vllm25paged_attention_v2_kernelIttLi256ELi32ELi128ELNS_18Fp8KVCacheDataTypeE0ELb1ELi512EEEvPfS2_PT_PKS3_PKT0_S9_ifPKiSB_iPKfiiiSD_SD_iiiii.has_indirect_call, 0
	.section	.AMDGPU.csdata,"",@progbits
; Kernel info:
; codeLenInByte = 37140
; TotalNumSgprs: 54
; NumVgprs: 128
; ScratchSize: 156
; MemoryBound: 0
; FloatMode: 240
; IeeeMode: 1
; LDSByteSize: 544 bytes/workgroup (compile time only)
; SGPRBlocks: 0
; VGPRBlocks: 15
; NumSGPRsForWavesPerEU: 54
; NumVGPRsForWavesPerEU: 128
; Occupancy: 8
; WaveLimiterHint : 1
; COMPUTE_PGM_RSRC2:SCRATCH_EN: 1
; COMPUTE_PGM_RSRC2:USER_SGPR: 6
; COMPUTE_PGM_RSRC2:TRAP_HANDLER: 0
; COMPUTE_PGM_RSRC2:TGID_X_EN: 1
; COMPUTE_PGM_RSRC2:TGID_Y_EN: 1
; COMPUTE_PGM_RSRC2:TGID_Z_EN: 1
; COMPUTE_PGM_RSRC2:TIDIG_COMP_CNT: 0
	.section	.text._ZN4vllm25paged_attention_v2_kernelIttLi32ELi32ELi128ELNS_18Fp8KVCacheDataTypeE0ELb0ELi512EEEvPfS2_PT_PKS3_PKT0_S9_ifPKiSB_iPKfiiiSD_SD_iiiii,"axG",@progbits,_ZN4vllm25paged_attention_v2_kernelIttLi32ELi32ELi128ELNS_18Fp8KVCacheDataTypeE0ELb0ELi512EEEvPfS2_PT_PKS3_PKT0_S9_ifPKiSB_iPKfiiiSD_SD_iiiii,comdat
	.protected	_ZN4vllm25paged_attention_v2_kernelIttLi32ELi32ELi128ELNS_18Fp8KVCacheDataTypeE0ELb0ELi512EEEvPfS2_PT_PKS3_PKT0_S9_ifPKiSB_iPKfiiiSD_SD_iiiii ; -- Begin function _ZN4vllm25paged_attention_v2_kernelIttLi32ELi32ELi128ELNS_18Fp8KVCacheDataTypeE0ELb0ELi512EEEvPfS2_PT_PKS3_PKT0_S9_ifPKiSB_iPKfiiiSD_SD_iiiii
	.globl	_ZN4vllm25paged_attention_v2_kernelIttLi32ELi32ELi128ELNS_18Fp8KVCacheDataTypeE0ELb0ELi512EEEvPfS2_PT_PKS3_PKT0_S9_ifPKiSB_iPKfiiiSD_SD_iiiii
	.p2align	8
	.type	_ZN4vllm25paged_attention_v2_kernelIttLi32ELi32ELi128ELNS_18Fp8KVCacheDataTypeE0ELb0ELi512EEEvPfS2_PT_PKS3_PKT0_S9_ifPKiSB_iPKfiiiSD_SD_iiiii,@function
_ZN4vllm25paged_attention_v2_kernelIttLi32ELi32ELi128ELNS_18Fp8KVCacheDataTypeE0ELb0ELi512EEEvPfS2_PT_PKS3_PKT0_S9_ifPKiSB_iPKfiiiSD_SD_iiiii: ; @_ZN4vllm25paged_attention_v2_kernelIttLi32ELi32ELi128ELNS_18Fp8KVCacheDataTypeE0ELb0ELi512EEEvPfS2_PT_PKS3_PKT0_S9_ifPKiSB_iPKfiiiSD_SD_iiiii
; %bb.0:
	s_load_dwordx2 s[0:1], s[4:5], 0x40
	s_mov_b32 s24, s7
	s_ashr_i32 s25, s7, 31
	s_lshl_b64 s[2:3], s[24:25], 2
	s_waitcnt lgkmcnt(0)
	s_add_u32 s0, s0, s2
	s_addc_u32 s1, s1, s3
	s_lshl_b32 s30, s8, 9
	s_load_dword s25, s[0:1], 0x0
	s_waitcnt lgkmcnt(0)
	s_cmp_ge_i32 s30, s25
	s_cbranch_scc1 .LBB117_58
; %bb.1:
	s_clause 0x1
	s_load_dword s9, s[4:5], 0x90
	s_load_dwordx2 s[2:3], s[4:5], 0x30
	s_mov_b32 s33, 0
	s_waitcnt lgkmcnt(0)
	s_abs_i32 s10, s9
	s_abs_i32 s0, s2
	s_xor_b32 s2, s9, s2
	v_cvt_f32_u32_e32 v1, s0
	s_sub_i32 s7, 0, s0
	s_ashr_i32 s2, s2, 31
	v_rcp_iflag_f32_e32 v1, v1
	v_mul_f32_e32 v1, 0x4f7ffffe, v1
	v_cvt_u32_f32_e32 v1, v1
	v_readfirstlane_b32 s1, v1
	s_mul_i32 s7, s7, s1
	s_mul_hi_u32 s7, s1, s7
	s_add_i32 s1, s1, s7
	s_mul_hi_u32 s1, s10, s1
	s_mul_i32 s7, s1, s0
	s_sub_i32 s7, s10, s7
	s_add_i32 s10, s1, 1
	s_sub_i32 s11, s7, s0
	s_cmp_ge_u32 s7, s0
	s_cselect_b32 s1, s10, s1
	s_cselect_b32 s7, s11, s7
	s_add_i32 s10, s1, 1
	s_cmp_ge_u32 s7, s0
	s_cselect_b32 s0, s10, s1
	s_abs_i32 s29, s6
	s_xor_b32 s0, s0, s2
	s_sub_i32 s10, s0, s2
	s_load_dwordx2 s[0:1], s[4:5], 0x50
	s_abs_i32 s2, s10
	v_cvt_f32_u32_e32 v1, s2
	s_sub_i32 s11, 0, s2
	v_rcp_iflag_f32_e32 v1, v1
	v_mul_f32_e32 v1, 0x4f7ffffe, v1
	v_cvt_u32_f32_e32 v1, v1
	v_readfirstlane_b32 s7, v1
	s_mul_i32 s11, s11, s7
	s_mul_hi_u32 s11, s7, s11
	s_add_i32 s7, s7, s11
	s_waitcnt lgkmcnt(0)
	s_cmp_eq_u64 s[0:1], 0
	s_mul_hi_u32 s28, s29, s7
	s_cbranch_scc1 .LBB117_3
; %bb.2:
	s_ashr_i32 s7, s6, 31
	s_lshl_b64 s[12:13], s[6:7], 2
	s_add_u32 s0, s0, s12
	s_addc_u32 s1, s1, s13
	s_load_dword s33, s[0:1], 0x0
.LBB117_3:
	s_clause 0x1
	s_load_dwordx2 s[22:23], s[4:5], 0x38
	s_load_dwordx4 s[12:15], s[4:5], 0x58
	v_lshlrev_b32_e32 v27, 4, v0
	s_ashr_i32 s0, s6, 31
	s_ashr_i32 s1, s10, 31
	s_lshl_b32 s10, s6, 5
	s_mov_b32 s7, exec_lo
	v_cmpx_gt_u32_e32 4, v0
	s_cbranch_execz .LBB117_5
; %bb.4:
	s_load_dwordx2 s[16:17], s[4:5], 0x18
	s_waitcnt lgkmcnt(0)
	s_mul_i32 s18, s12, s24
	s_ashr_i32 s19, s18, 31
	s_lshl_b64 s[18:19], s[18:19], 1
	s_add_u32 s12, s16, s18
	s_addc_u32 s15, s17, s19
	s_ashr_i32 s11, s10, 31
	s_lshl_b64 s[16:17], s[10:11], 1
	s_add_u32 s16, s12, s16
	s_addc_u32 s17, s15, s17
	global_load_dwordx4 v[1:4], v27, s[16:17]
	s_waitcnt vmcnt(0)
	ds_write_b128 v27, v[1:4]
.LBB117_5:
	s_or_b32 exec_lo, exec_lo, s7
	s_add_i32 s7, s25, 31
	s_clause 0x1
	s_load_dwordx4 s[16:19], s[4:5], 0x0
	s_load_dwordx2 s[20:21], s[4:5], 0x10
	s_ashr_i32 s11, s7, 31
	s_lshl_b32 s31, s8, 4
	s_lshr_b32 s11, s11, 27
	s_mul_i32 s34, s28, s2
	s_add_i32 s7, s7, s11
	s_add_i32 s11, s31, 16
	s_waitcnt lgkmcnt(0)
	s_ashr_i32 s12, s7, 5
	s_clause 0x2
	s_load_dwordx2 s[26:27], s[4:5], 0x28
	s_load_dword s7, s[4:5], 0x98
	s_load_dword s15, s[4:5], 0x48
	s_xor_b32 s0, s0, s1
	s_sub_i32 s1, s29, s34
	s_min_i32 s11, s11, s12
	s_add_i32 s29, s28, 1
	s_sub_i32 s34, s1, s2
	s_cmp_ge_u32 s1, s2
	v_lshrrev_b32_e32 v25, 5, v0
	s_cselect_b32 s28, s29, s28
	s_cselect_b32 s1, s34, s1
	s_add_i32 s29, s28, 1
	s_cmp_ge_u32 s1, s2
	v_add_nc_u32_e32 v21, s31, v25
	v_and_b32_e32 v26, 31, v0
	s_cselect_b32 s1, s29, s28
	v_mov_b32_e32 v29, 0xff7fffff
	s_xor_b32 s1, s1, s0
	v_ashrrev_i32_e32 v22, 31, v21
	s_sub_i32 s1, s1, s0
	v_cmp_gt_i32_e64 s0, s11, v21
	v_lshlrev_b32_e32 v28, 2, v26
	s_waitcnt lgkmcnt(0)
	s_mul_i32 s28, s15, s24
	s_mul_i32 s14, s1, s14
	s_ashr_i32 s29, s28, 31
	s_barrier
	buffer_gl0_inv
	s_and_saveexec_b32 s34, s0
	s_cbranch_execz .LBB117_9
; %bb.6:
	s_load_dwordx2 s[4:5], s[4:5], 0x20
	s_ashr_i32 s15, s14, 31
	v_lshlrev_b32_e32 v3, 4, v26
	s_lshl_b64 s[36:37], s[14:15], 1
	v_lshlrev_b64 v[1:2], 2, v[21:22]
	v_lshlrev_b32_e32 v4, 5, v25
	v_lshl_or_b32 v5, v25, 7, v28
	v_mov_b32_e32 v30, 0
	v_cmp_neq_f32_e64 vcc_lo, s33, 0
	v_mov_b32_e32 v29, 0xff7fffff
	v_add3_u32 v31, s30, v4, v26
	v_add_nc_u32_e32 v32, 0x60, v5
	v_mov_b32_e32 v35, v21
	s_mov_b32 s15, s13
	s_waitcnt lgkmcnt(0)
	s_add_u32 s1, s4, s36
	s_addc_u32 s2, s5, s37
	s_lshl_b64 s[36:37], s[28:29], 2
	v_add_co_u32 v33, s1, s1, v3
	s_sub_i32 s4, 1, s25
	v_add_co_ci_u32_e64 v34, null, s2, 0, s1
	s_add_u32 s1, s22, s36
	s_addc_u32 s2, s23, s37
	v_add_co_u32 v23, s1, s1, v1
	v_add_co_ci_u32_e64 v24, null, s2, v2, s1
	s_mov_b32 s5, 0
.LBB117_7:                              ; =>This Inner Loop Header: Depth=1
	global_load_dword v1, v[23:24], off
	v_add_nc_u32_e32 v36, s4, v31
	v_max_f32_e32 v37, v29, v29
	v_add_nc_u32_e32 v35, 4, v35
	v_cvt_f32_i32_e32 v36, v36
	v_cmp_le_i32_e64 s2, s11, v35
	v_mul_f32_e32 v36, s33, v36
	s_or_b32 s5, s2, s5
	s_waitcnt vmcnt(0)
	v_mad_i64_i32 v[1:2], null, v1, s15, 0
	v_lshlrev_b64 v[1:2], 1, v[1:2]
	v_add_co_u32 v1, s1, v33, v1
	v_add_co_ci_u32_e64 v2, null, v34, v2, s1
	v_add_co_u32 v23, s1, v23, 16
	v_add_co_ci_u32_e64 v24, null, 0, v24, s1
	s_clause 0x3
	global_load_dwordx4 v[13:16], v[1:2], off
	global_load_dwordx4 v[9:12], v[1:2], off offset:512
	global_load_dwordx4 v[5:8], v[1:2], off offset:1024
	;; [unrolled: 1-line block ×3, first 2 shown]
	ds_read_b128 v[17:20], v30
	v_cmp_gt_i32_e64 s1, s25, v31
	v_add_nc_u32_e32 v31, 0x80, v31
	s_waitcnt lgkmcnt(0)
	v_lshrrev_b32_e32 v38, 16, v17
	v_and_b32_e32 v17, 0xffff, v17
	v_lshrrev_b32_e32 v39, 16, v18
	v_and_b32_e32 v40, 0xffff, v18
	;; [unrolled: 2-line block ×4, first 2 shown]
	;;#ASMSTART
	v_cvt_f32_f16 v17, v17;
	;;#ASMEND
	;;#ASMSTART
	v_cvt_f32_f16 v18, v38;
	;;#ASMEND
	s_waitcnt vmcnt(3)
	v_lshrrev_b32_e32 v38, 16, v13
	v_and_b32_e32 v13, 0xffff, v13
	v_lshrrev_b32_e32 v43, 16, v14
	v_and_b32_e32 v14, 0xffff, v14
	v_lshrrev_b32_e32 v44, 16, v15
	v_and_b32_e32 v15, 0xffff, v15
	v_lshrrev_b32_e32 v45, 16, v16
	v_and_b32_e32 v46, 0xffff, v16
	s_waitcnt vmcnt(2)
	v_lshrrev_b32_e32 v47, 16, v9
	v_and_b32_e32 v48, 0xffff, v9
	v_lshrrev_b32_e32 v49, 16, v10
	v_and_b32_e32 v50, 0xffff, v10
	v_lshrrev_b32_e32 v51, 16, v11
	v_and_b32_e32 v52, 0xffff, v11
	v_lshrrev_b32_e32 v53, 16, v12
	v_and_b32_e32 v54, 0xffff, v12
	;; [unrolled: 9-line block ×4, first 2 shown]
	;;#ASMSTART
	v_cvt_f32_f16 v5, v13;
	;;#ASMEND
	;;#ASMSTART
	v_cvt_f32_f16 v6, v38;
	;;#ASMEND
	;; [unrolled: 3-line block ×14, first 2 shown]
	ds_read_b128 v[1:4], v30 offset:16
	s_waitcnt lgkmcnt(0)
	v_lshrrev_b32_e32 v39, 16, v1
	v_and_b32_e32 v1, 0xffff, v1
	v_lshrrev_b32_e32 v43, 16, v2
	v_and_b32_e32 v2, 0xffff, v2
	;; [unrolled: 2-line block ×4, first 2 shown]
	;;#ASMSTART
	v_cvt_f32_f16 v38, v1;
	;;#ASMEND
	;;#ASMSTART
	v_cvt_f32_f16 v39, v39;
	;;#ASMEND
	;; [unrolled: 3-line block ×16, first 2 shown]
	ds_read_b128 v[1:4], v30 offset:32
	v_mul_f32_e32 v39, v39, v41
	v_mul_f32_e32 v41, v43, v45
	;; [unrolled: 1-line block ×8, first 2 shown]
	v_fmac_f32_e32 v39, v18, v6
	v_fmac_f32_e32 v41, v8, v10
	v_fmac_f32_e32 v43, v12, v14
	v_fmac_f32_e32 v38, v17, v5
	v_fmac_f32_e32 v40, v7, v9
	v_fmac_f32_e32 v42, v11, v13
	v_fmac_f32_e32 v44, v15, v19
	v_fmac_f32_e32 v45, v16, v20
	s_waitcnt lgkmcnt(0)
	v_lshrrev_b32_e32 v6, 16, v1
	v_and_b32_e32 v1, 0xffff, v1
	v_lshrrev_b32_e32 v10, 16, v2
	v_and_b32_e32 v2, 0xffff, v2
	v_lshrrev_b32_e32 v14, 16, v3
	v_and_b32_e32 v3, 0xffff, v3
	v_lshrrev_b32_e32 v18, 16, v4
	v_and_b32_e32 v4, 0xffff, v4
	;;#ASMSTART
	v_cvt_f32_f16 v5, v1;
	;;#ASMEND
	;;#ASMSTART
	v_cvt_f32_f16 v6, v6;
	;;#ASMEND
	;; [unrolled: 3-line block ×16, first 2 shown]
	ds_read_b128 v[1:4], v30 offset:48
	v_fmac_f32_e32 v38, v5, v7
	v_fmac_f32_e32 v39, v6, v8
	;; [unrolled: 1-line block ×8, first 2 shown]
	s_waitcnt lgkmcnt(0)
	v_lshrrev_b32_e32 v5, 16, v1
	v_and_b32_e32 v1, 0xffff, v1
	v_lshrrev_b32_e32 v6, 16, v2
	v_and_b32_e32 v7, 0xffff, v2
	;; [unrolled: 2-line block ×4, first 2 shown]
	;;#ASMSTART
	v_cvt_f32_f16 v1, v1;
	;;#ASMEND
	;;#ASMSTART
	v_cvt_f32_f16 v2, v5;
	;;#ASMEND
	;; [unrolled: 3-line block ×4, first 2 shown]
	v_fmac_f32_e32 v38, v1, v3
	v_fmac_f32_e32 v39, v2, v4
	;;#ASMSTART
	v_cvt_f32_f16 v5, v7;
	;;#ASMEND
	;;#ASMSTART
	v_cvt_f32_f16 v6, v6;
	;;#ASMEND
	;; [unrolled: 3-line block ×3, first 2 shown]
	v_fmac_f32_e32 v40, v5, v7
	v_add_f32_e32 v2, v38, v39
	;;#ASMSTART
	v_cvt_f32_f16 v8, v65;
	;;#ASMEND
	v_fmac_f32_e32 v41, v6, v8
	;;#ASMSTART
	v_cvt_f32_f16 v9, v9;
	;;#ASMEND
	;;#ASMSTART
	v_cvt_f32_f16 v10, v10;
	;;#ASMEND
	v_add_f32_e32 v2, v2, v40
	;;#ASMSTART
	v_cvt_f32_f16 v1, v68;
	;;#ASMEND
	v_fmac_f32_e32 v42, v9, v1
	;;#ASMSTART
	v_cvt_f32_f16 v3, v67;
	;;#ASMEND
	v_fmac_f32_e32 v43, v10, v3
	v_add_f32_e32 v1, v41, v2
	;;#ASMSTART
	v_cvt_f32_f16 v4, v12;
	;;#ASMEND
	;;#ASMSTART
	v_cvt_f32_f16 v2, v11;
	;;#ASMEND
	;; [unrolled: 3-line block ×3, first 2 shown]
	v_fmac_f32_e32 v44, v4, v3
	v_add_f32_e32 v1, v1, v42
	;;#ASMSTART
	v_cvt_f32_f16 v3, v69;
	;;#ASMEND
	v_fmac_f32_e32 v45, v2, v3
	v_cndmask_b32_e32 v2, 0, v36, vcc_lo
	v_add_f32_e32 v1, v43, v1
	v_add_f32_e32 v1, v1, v44
	;; [unrolled: 1-line block ×3, first 2 shown]
	v_fmac_f32_e32 v2, s3, v1
	v_cndmask_b32_e64 v1, 0, v2, s1
	v_max_f32_e32 v2, v37, v2
	ds_write_b32 v32, v1
	v_cndmask_b32_e64 v29, v29, v2, s1
	v_add_nc_u32_e32 v32, 0x200, v32
	s_andn2_b32 exec_lo, exec_lo, s5
	s_cbranch_execnz .LBB117_7
; %bb.8:
	s_or_b32 exec_lo, exec_lo, s5
.LBB117_9:
	s_or_b32 exec_lo, exec_lo, s34
	v_mbcnt_lo_u32_b32 v1, -1, 0
	v_max_f32_e32 v5, v29, v29
	v_xor_b32_e32 v2, 16, v1
	v_xor_b32_e32 v4, 8, v1
	v_cmp_gt_i32_e32 vcc_lo, 32, v2
	v_cndmask_b32_e32 v2, v1, v2, vcc_lo
	v_cmp_gt_i32_e32 vcc_lo, 32, v4
	v_lshlrev_b32_e32 v2, 2, v2
	v_cndmask_b32_e32 v4, v1, v4, vcc_lo
	ds_bpermute_b32 v3, v2, v29
	s_waitcnt lgkmcnt(0)
	v_max_f32_e32 v6, v3, v3
	v_lshlrev_b32_e32 v3, 2, v4
	v_max_f32_e32 v4, v5, v6
	v_xor_b32_e32 v6, 4, v1
	ds_bpermute_b32 v5, v3, v4
	v_cmp_gt_i32_e32 vcc_lo, 32, v6
	v_cndmask_b32_e32 v6, v1, v6, vcc_lo
	s_waitcnt lgkmcnt(0)
	v_max_f32_e32 v7, v5, v5
	v_lshlrev_b32_e32 v5, 2, v6
	v_max_f32_e32 v4, v4, v7
	v_xor_b32_e32 v7, 2, v1
	ds_bpermute_b32 v6, v5, v4
	v_cmp_gt_i32_e32 vcc_lo, 32, v7
	v_cndmask_b32_e32 v7, v1, v7, vcc_lo
	v_lshlrev_b32_e32 v9, 2, v7
	v_xor_b32_e32 v7, 1, v1
	v_cmp_gt_i32_e32 vcc_lo, 32, v7
	s_waitcnt lgkmcnt(0)
	v_max_f32_e32 v6, v6, v6
	v_cndmask_b32_e32 v7, v1, v7, vcc_lo
	v_cmp_eq_u32_e32 vcc_lo, 0, v26
	v_max_f32_e32 v4, v4, v6
	v_lshlrev_b32_e32 v10, 2, v7
	ds_bpermute_b32 v6, v9, v4
	s_waitcnt lgkmcnt(0)
	v_max_f32_e32 v6, v6, v6
	v_max_f32_e32 v1, v4, v6
	v_lshlrev_b32_e32 v6, 2, v25
	ds_bpermute_b32 v4, v10, v1
	s_and_saveexec_b32 s1, vcc_lo
	s_cbranch_execz .LBB117_11
; %bb.10:
	s_waitcnt lgkmcnt(0)
	v_max_f32_e32 v4, v4, v4
	v_max_f32_e32 v1, v1, v1
	;; [unrolled: 1-line block ×3, first 2 shown]
	ds_write_b32 v6, v1 offset:64
.LBB117_11:
	s_or_b32 exec_lo, exec_lo, s1
	v_cmp_gt_u32_e64 s1, 4, v26
	v_mov_b32_e32 v1, 0xff7fffff
	s_waitcnt lgkmcnt(0)
	s_barrier
	buffer_gl0_inv
	s_and_saveexec_b32 s2, s1
; %bb.12:
	ds_read_b32 v1, v28 offset:64
; %bb.13:
	s_or_b32 exec_lo, exec_lo, s2
	s_waitcnt lgkmcnt(0)
	ds_bpermute_b32 v4, v9, v1
	v_max_f32_e32 v1, v1, v1
	v_mov_b32_e32 v7, 0
	s_sub_i32 s2, s11, s31
	s_lshl_b32 s2, s2, 5
	s_add_i32 s2, s2, s30
	s_min_i32 s2, s2, s25
	s_sub_i32 s4, s2, s30
	v_cmp_gt_i32_e64 s2, s4, v0
	s_waitcnt lgkmcnt(0)
	v_max_f32_e32 v4, v4, v4
	v_max_f32_e32 v1, v1, v4
	ds_bpermute_b32 v4, v10, v1
	s_waitcnt lgkmcnt(0)
	v_max_f32_e32 v4, v4, v4
	v_max_f32_e32 v1, v1, v4
	v_lshl_add_u32 v4, v0, 2, 0x60
	ds_bpermute_b32 v1, v7, v1
	s_and_saveexec_b32 s5, s2
	s_cbranch_execz .LBB117_17
; %bb.14:
	v_lshl_add_u32 v8, v0, 2, 0x60
	v_mov_b32_e32 v7, 0
	v_mov_b32_e32 v11, v0
	s_mov_b32 s15, 0
	.p2align	6
.LBB117_15:                             ; =>This Inner Loop Header: Depth=1
	ds_read_b32 v12, v8
	v_add_nc_u32_e32 v11, 0x80, v11
	v_cmp_le_i32_e64 s3, s4, v11
	s_or_b32 s15, s3, s15
	s_waitcnt lgkmcnt(0)
	v_sub_f32_e32 v12, v12, v1
	v_mul_f32_e32 v12, 0x3fb8aa3b, v12
	v_exp_f32_e32 v12, v12
	ds_write_b32 v8, v12
	v_add_f32_e32 v7, v7, v12
	v_add_nc_u32_e32 v8, 0x200, v8
	s_andn2_b32 exec_lo, exec_lo, s15
	s_cbranch_execnz .LBB117_15
; %bb.16:
	s_or_b32 exec_lo, exec_lo, s15
.LBB117_17:
	s_or_b32 exec_lo, exec_lo, s5
	ds_bpermute_b32 v2, v2, v7
	s_waitcnt lgkmcnt(0)
	v_add_f32_e32 v2, v7, v2
	ds_bpermute_b32 v3, v3, v2
	s_waitcnt lgkmcnt(0)
	v_add_f32_e32 v2, v2, v3
	;; [unrolled: 3-line block ×5, first 2 shown]
	s_and_saveexec_b32 s3, vcc_lo
; %bb.18:
	ds_write_b32 v6, v2 offset:80
; %bb.19:
	s_or_b32 exec_lo, exec_lo, s3
	s_waitcnt lgkmcnt(0)
	s_barrier
	buffer_gl0_inv
	s_and_saveexec_b32 s3, s1
; %bb.20:
	ds_read_b32 v2, v28 offset:80
; %bb.21:
	s_or_b32 exec_lo, exec_lo, s3
	s_waitcnt lgkmcnt(0)
	ds_bpermute_b32 v3, v9, v2
	s_waitcnt lgkmcnt(0)
	v_add_f32_e32 v2, v2, v3
	ds_bpermute_b32 v3, v10, v2
	s_waitcnt lgkmcnt(0)
	v_add_f32_e32 v2, v2, v3
	v_mov_b32_e32 v3, 0
	ds_bpermute_b32 v2, v3, v2
	s_and_saveexec_b32 s1, s2
	s_cbranch_execz .LBB117_24
; %bb.22:
	s_waitcnt lgkmcnt(0)
	v_add_f32_e32 v3, 0x358637bd, v2
	s_mov_b32 s2, 0
	v_div_scale_f32 v5, null, v3, v3, 1.0
	v_div_scale_f32 v8, vcc_lo, 1.0, v3, 1.0
	v_rcp_f32_e32 v6, v5
	v_fma_f32 v7, -v5, v6, 1.0
	v_fmac_f32_e32 v6, v7, v6
	v_mul_f32_e32 v7, v8, v6
	v_fma_f32 v11, -v5, v7, v8
	v_fmac_f32_e32 v7, v11, v6
	v_fma_f32 v5, -v5, v7, v8
	v_div_fmas_f32 v5, v5, v6, v7
	v_div_fixup_f32 v3, v5, v3, 1.0
	v_mov_b32_e32 v5, v0
.LBB117_23:                             ; =>This Inner Loop Header: Depth=1
	ds_read_b32 v6, v4
	v_add_nc_u32_e32 v5, 0x80, v5
	v_cmp_le_i32_e32 vcc_lo, s4, v5
	s_or_b32 s2, vcc_lo, s2
	s_waitcnt lgkmcnt(0)
	v_mul_f32_e32 v6, v3, v6
	ds_write_b32 v4, v6
	v_add_nc_u32_e32 v4, 0x200, v4
	s_andn2_b32 exec_lo, exec_lo, s2
	s_cbranch_execnz .LBB117_23
.LBB117_24:
	s_or_b32 exec_lo, exec_lo, s1
	s_mul_i32 s1, s7, s24
	s_waitcnt lgkmcnt(0)
	s_mul_i32 s2, s1, s9
	s_mov_b32 s1, exec_lo
	s_barrier
	buffer_gl0_inv
	v_cmpx_eq_u32_e32 0, v0
	s_cbranch_execz .LBB117_26
; %bb.25:
	s_ashr_i32 s3, s2, 31
	s_mul_i32 s34, s7, s6
	s_lshl_b64 s[4:5], s[2:3], 2
	v_mov_b32_e32 v3, 0
	s_add_u32 s3, s18, s4
	s_addc_u32 s6, s19, s5
	s_ashr_i32 s35, s34, 31
	s_lshl_b64 s[18:19], s[34:35], 2
	s_add_u32 s3, s3, s18
	s_addc_u32 s6, s6, s19
	s_ashr_i32 s9, s8, 31
	s_lshl_b64 s[34:35], s[8:9], 2
	s_add_u32 s36, s3, s34
	s_addc_u32 s37, s6, s35
	s_add_u32 s3, s16, s4
	s_addc_u32 s4, s17, s5
	;; [unrolled: 2-line block ×4, first 2 shown]
	global_store_dword v3, v1, s[36:37]
	global_store_dword v3, v2, s[4:5]
.LBB117_26:
	s_or_b32 exec_lo, exec_lo, s1
	v_mov_b32_e32 v13, 0
	v_and_b32_e32 v11, 3, v0
	v_mov_b32_e32 v15, 0
	v_mov_b32_e32 v14, 0
	;; [unrolled: 1-line block ×3, first 2 shown]
	s_and_saveexec_b32 s3, s0
	s_cbranch_execz .LBB117_38
; %bb.27:
	v_lshlrev_b32_e32 v1, 3, v0
	s_ashr_i32 s15, s14, 31
	v_lshlrev_b32_e32 v2, 5, v11
	v_and_b32_e32 v3, 0x1f0, v27
	v_lshl_add_u32 v4, v25, 5, s30
	v_and_b32_e32 v1, 24, v1
	s_lshl_b64 s[0:1], s[14:15], 1
	v_lshl_or_b32 v5, v25, 7, v2
	s_add_u32 s0, s26, s0
	s_addc_u32 s1, s27, s1
	v_add_co_u32 v17, s0, s0, v3
	v_add3_u32 v19, v4, v1, 7
	v_lshlrev_b64 v[1:2], 2, v[21:22]
	v_add_co_ci_u32_e64 v18, null, s1, 0, s0
	s_lshl_b64 s[0:1], s[28:29], 2
	s_add_i32 s12, s12, -1
	s_add_u32 s0, s22, s0
	v_add_nc_u32_e32 v20, 0x60, v5
	s_addc_u32 s1, s23, s1
	v_add_co_u32 v5, vcc_lo, s0, v1
	v_mov_b32_e32 v16, 0
	v_add_co_ci_u32_e64 v6, null, s1, v2, vcc_lo
	v_mov_b32_e32 v12, 0
	v_mov_b32_e32 v14, 0
	;; [unrolled: 1-line block ×4, first 2 shown]
	s_mov_b32 s5, s13
	s_mov_b32 s4, 0
	s_branch .LBB117_29
.LBB117_28:                             ;   in Loop: Header=BB117_29 Depth=1
	s_or_b32 exec_lo, exec_lo, s1
	v_lshlrev_b32_e32 v22, 16, v41
	v_lshlrev_b32_e32 v8, 16, v8
	;; [unrolled: 1-line block ×3, first 2 shown]
	v_add_nc_u32_e32 v21, 4, v21
	v_add_co_u32 v5, s0, v5, 16
	v_and_or_b32 v1, 0xffff, v1, v22
	v_and_or_b32 v2, 0xffff, v2, v8
	v_and_or_b32 v3, 0xffff, v3, v7
	;;#ASMSTART
	v_pk_mul_f16 v1, v32, v1;

	;;#ASMEND
	;;#ASMSTART
	v_pk_mul_f16 v2, v31, v2;

	;;#ASMEND
	;;#ASMSTART
	v_pk_mul_f16 v3, v33, v3;

	;;#ASMEND
	;;#ASMSTART
	v_pk_mul_f16 v4, v34, v4;

	;;#ASMEND
	;;#ASMSTART
	v_pk_add_f16 v1, v1, v2;

	;;#ASMEND
	;;#ASMSTART
	v_pk_add_f16 v1, v1, v3;

	;;#ASMEND
	;; [unrolled: 4-line block ×3, first 2 shown]
	v_and_b32_e32 v4, 0xffff, v1
	v_lshrrev_b32_e32 v7, 16, v1
	;;#ASMSTART
	v_cvt_f32_f16 v4, v4;
	;;#ASMEND
	v_add_f32_e32 v1, v39, v40
	v_add_f32_e32 v2, v37, v38
	;; [unrolled: 1-line block ×3, first 2 shown]
	;;#ASMSTART
	v_cvt_f32_f16 v7, v7;
	;;#ASMEND
	v_add_f32_e32 v4, v4, v7
	v_cmp_le_i32_e32 vcc_lo, s11, v21
	v_add_f32_e32 v14, v14, v1
	v_add_f32_e32 v15, v15, v2
	;; [unrolled: 1-line block ×4, first 2 shown]
	v_add_nc_u32_e32 v19, 0x80, v19
	v_add_nc_u32_e32 v20, 0x200, v20
	v_add_co_ci_u32_e64 v6, null, 0, v6, s0
	s_or_b32 s4, vcc_lo, s4
	s_andn2_b32 exec_lo, exec_lo, s4
	s_cbranch_execz .LBB117_37
.LBB117_29:                             ; =>This Inner Loop Header: Depth=1
	global_load_dword v7, v[5:6], off
	ds_read2_b64 v[1:4], v20 offset1:1
	ds_read2_b64 v[27:30], v20 offset0:2 offset1:3
	v_cmp_eq_u32_e64 s0, s12, v21
	v_add_nc_u32_e32 v24, -4, v19
	v_add_nc_u32_e32 v23, -3, v19
	;; [unrolled: 1-line block ×3, first 2 shown]
	s_waitcnt lgkmcnt(1)
	;;#ASMSTART
	v_cvt_f16_f32 v32, v1;

	;;#ASMEND
	;;#ASMSTART
	v_cvt_f16_f32 v31, v2;

	;;#ASMEND
	;; [unrolled: 4-line block ×4, first 2 shown]
	s_waitcnt lgkmcnt(0)
	;;#ASMSTART
	v_cvt_f16_f32 v38, v27;

	;;#ASMEND
	;;#ASMSTART
	v_cvt_f16_f32 v33, v28;

	;;#ASMEND
	;;#ASMSTART
	v_cvt_f16_f32 v36, v29;

	;;#ASMEND
	;;#ASMSTART
	v_cvt_f16_f32 v34, v30;

	;;#ASMEND
	v_add_nc_u32_e32 v28, -7, v19
	v_add_nc_u32_e32 v30, -6, v19
	;; [unrolled: 1-line block ×4, first 2 shown]
	s_waitcnt vmcnt(0)
	v_mad_i64_i32 v[7:8], null, v7, s5, 0
	v_lshlrev_b64 v[7:8], 1, v[7:8]
	v_add_co_u32 v7, vcc_lo, v17, v7
	v_add_co_ci_u32_e64 v8, null, v18, v8, vcc_lo
	global_load_dwordx4 v[1:4], v[7:8], off
	s_waitcnt vmcnt(0)
	v_lshrrev_b32_e32 v41, 16, v1
	v_lshrrev_b32_e32 v40, 16, v2
	;; [unrolled: 1-line block ×3, first 2 shown]
	s_and_saveexec_b32 s6, s0
	s_cbranch_execz .LBB117_31
; %bb.30:                               ;   in Loop: Header=BB117_29 Depth=1
	v_cmp_gt_i32_e32 vcc_lo, s25, v28
	v_and_b32_e32 v42, 0xffff0000, v4
	v_cmp_gt_i32_e64 s1, s25, v27
	v_cndmask_b32_e32 v1, 0, v1, vcc_lo
	v_cmp_gt_i32_e32 vcc_lo, s25, v30
	v_cndmask_b32_e64 v2, 0, v2, s1
	v_cmp_gt_i32_e64 s1, s25, v24
	v_cndmask_b32_e32 v41, 0, v41, vcc_lo
	v_cmp_gt_i32_e32 vcc_lo, s25, v29
	v_cndmask_b32_e64 v40, 0, v40, s1
	v_cndmask_b32_sdwa v4, v16, v4, vcc_lo dst_sel:DWORD dst_unused:UNUSED_PAD src0_sel:DWORD src1_sel:WORD_0
	v_cmp_gt_i32_e32 vcc_lo, s25, v19
	v_cndmask_b32_e32 v42, 0, v42, vcc_lo
	v_cmp_gt_i32_e32 vcc_lo, s25, v23
	v_or_b32_e32 v4, v4, v42
	v_cndmask_b32_e32 v3, 0, v3, vcc_lo
	v_cmp_gt_i32_e32 vcc_lo, s25, v22
	v_cndmask_b32_e32 v39, 0, v39, vcc_lo
.LBB117_31:                             ;   in Loop: Header=BB117_29 Depth=1
	s_or_b32 exec_lo, exec_lo, s6
	v_and_b32_e32 v32, 0xffff, v32
	v_and_b32_e32 v37, 0xffff, v37
	v_lshlrev_b32_e32 v41, 16, v41
	v_and_b32_e32 v38, 0xffff, v38
	v_and_b32_e32 v36, 0xffff, v36
	v_lshl_or_b32 v32, v31, 16, v32
	v_lshl_or_b32 v31, v35, 16, v37
	v_lshlrev_b32_e32 v35, 16, v40
	v_lshlrev_b32_e32 v37, 16, v39
	v_and_or_b32 v1, 0xffff, v1, v41
	;;#ASMSTART
	v_pk_mul_f16 v1, v32, v1;

	;;#ASMEND
	v_lshl_or_b32 v33, v33, 16, v38
	v_and_or_b32 v2, 0xffff, v2, v35
	v_and_or_b32 v3, 0xffff, v3, v37
	v_lshl_or_b32 v34, v34, 16, v36
	;;#ASMSTART
	v_pk_mul_f16 v2, v31, v2;

	;;#ASMEND
	;;#ASMSTART
	v_pk_mul_f16 v3, v33, v3;

	;;#ASMEND
	;; [unrolled: 4-line block ×3, first 2 shown]
	;;#ASMSTART
	v_pk_add_f16 v1, v1, v2;

	;;#ASMEND
	;;#ASMSTART
	v_pk_add_f16 v1, v1, v3;

	;;#ASMEND
	;; [unrolled: 4-line block ×3, first 2 shown]
	v_and_b32_e32 v2, 0xffff, v1
	v_lshrrev_b32_e32 v1, 16, v1
	;;#ASMSTART
	v_cvt_f32_f16 v35, v2;
	;;#ASMEND
	;;#ASMSTART
	v_cvt_f32_f16 v36, v1;
	;;#ASMEND
	global_load_dwordx4 v[1:4], v[7:8], off offset:512
	s_waitcnt vmcnt(0)
	v_lshrrev_b32_e32 v39, 16, v1
	v_lshrrev_b32_e32 v38, 16, v2
	;; [unrolled: 1-line block ×3, first 2 shown]
	s_and_saveexec_b32 s6, s0
	s_cbranch_execz .LBB117_33
; %bb.32:                               ;   in Loop: Header=BB117_29 Depth=1
	v_cmp_gt_i32_e32 vcc_lo, s25, v28
	v_and_b32_e32 v40, 0xffff0000, v4
	v_cmp_gt_i32_e64 s1, s25, v27
	v_cndmask_b32_e32 v1, 0, v1, vcc_lo
	v_cmp_gt_i32_e32 vcc_lo, s25, v30
	v_cndmask_b32_e64 v2, 0, v2, s1
	v_cmp_gt_i32_e64 s1, s25, v24
	v_cndmask_b32_e32 v39, 0, v39, vcc_lo
	v_cmp_gt_i32_e32 vcc_lo, s25, v29
	v_cndmask_b32_e64 v38, 0, v38, s1
	v_cndmask_b32_sdwa v4, v16, v4, vcc_lo dst_sel:DWORD dst_unused:UNUSED_PAD src0_sel:DWORD src1_sel:WORD_0
	v_cmp_gt_i32_e32 vcc_lo, s25, v19
	v_cndmask_b32_e32 v40, 0, v40, vcc_lo
	v_cmp_gt_i32_e32 vcc_lo, s25, v23
	v_or_b32_e32 v4, v4, v40
	v_cndmask_b32_e32 v3, 0, v3, vcc_lo
	v_cmp_gt_i32_e32 vcc_lo, s25, v22
	v_cndmask_b32_e32 v37, 0, v37, vcc_lo
.LBB117_33:                             ;   in Loop: Header=BB117_29 Depth=1
	s_or_b32 exec_lo, exec_lo, s6
	v_lshlrev_b32_e32 v39, 16, v39
	v_lshlrev_b32_e32 v38, 16, v38
	;; [unrolled: 1-line block ×3, first 2 shown]
	v_and_or_b32 v1, 0xffff, v1, v39
	v_and_or_b32 v2, 0xffff, v2, v38
	;; [unrolled: 1-line block ×3, first 2 shown]
	;;#ASMSTART
	v_pk_mul_f16 v1, v32, v1;

	;;#ASMEND
	;;#ASMSTART
	v_pk_mul_f16 v2, v31, v2;

	;;#ASMEND
	;;#ASMSTART
	v_pk_mul_f16 v3, v33, v3;

	;;#ASMEND
	;;#ASMSTART
	v_pk_mul_f16 v4, v34, v4;

	;;#ASMEND
	;;#ASMSTART
	v_pk_add_f16 v1, v1, v2;

	;;#ASMEND
	;;#ASMSTART
	v_pk_add_f16 v1, v1, v3;

	;;#ASMEND
	;; [unrolled: 4-line block ×3, first 2 shown]
	v_and_b32_e32 v2, 0xffff, v1
	v_lshrrev_b32_e32 v1, 16, v1
	;;#ASMSTART
	v_cvt_f32_f16 v37, v2;
	;;#ASMEND
	;;#ASMSTART
	v_cvt_f32_f16 v38, v1;
	;;#ASMEND
	global_load_dwordx4 v[1:4], v[7:8], off offset:1024
	s_waitcnt vmcnt(0)
	v_lshrrev_b32_e32 v41, 16, v1
	v_lshrrev_b32_e32 v40, 16, v2
	;; [unrolled: 1-line block ×3, first 2 shown]
	s_and_saveexec_b32 s6, s0
	s_cbranch_execz .LBB117_35
; %bb.34:                               ;   in Loop: Header=BB117_29 Depth=1
	v_cmp_gt_i32_e32 vcc_lo, s25, v28
	v_and_b32_e32 v42, 0xffff0000, v4
	v_cmp_gt_i32_e64 s1, s25, v27
	v_cndmask_b32_e32 v1, 0, v1, vcc_lo
	v_cmp_gt_i32_e32 vcc_lo, s25, v30
	v_cndmask_b32_e64 v2, 0, v2, s1
	v_cmp_gt_i32_e64 s1, s25, v24
	v_cndmask_b32_e32 v41, 0, v41, vcc_lo
	v_cmp_gt_i32_e32 vcc_lo, s25, v29
	v_cndmask_b32_e64 v40, 0, v40, s1
	v_cndmask_b32_sdwa v4, v16, v4, vcc_lo dst_sel:DWORD dst_unused:UNUSED_PAD src0_sel:DWORD src1_sel:WORD_0
	v_cmp_gt_i32_e32 vcc_lo, s25, v19
	v_cndmask_b32_e32 v42, 0, v42, vcc_lo
	v_cmp_gt_i32_e32 vcc_lo, s25, v23
	v_or_b32_e32 v4, v4, v42
	v_cndmask_b32_e32 v3, 0, v3, vcc_lo
	v_cmp_gt_i32_e32 vcc_lo, s25, v22
	v_cndmask_b32_e32 v39, 0, v39, vcc_lo
.LBB117_35:                             ;   in Loop: Header=BB117_29 Depth=1
	s_or_b32 exec_lo, exec_lo, s6
	v_lshlrev_b32_e32 v41, 16, v41
	v_lshlrev_b32_e32 v40, 16, v40
	;; [unrolled: 1-line block ×3, first 2 shown]
	v_and_or_b32 v1, 0xffff, v1, v41
	v_and_or_b32 v2, 0xffff, v2, v40
	;; [unrolled: 1-line block ×3, first 2 shown]
	;;#ASMSTART
	v_pk_mul_f16 v1, v32, v1;

	;;#ASMEND
	;;#ASMSTART
	v_pk_mul_f16 v2, v31, v2;

	;;#ASMEND
	;; [unrolled: 4-line block ×4, first 2 shown]
	;;#ASMSTART
	v_pk_add_f16 v1, v1, v2;

	;;#ASMEND
	;;#ASMSTART
	v_pk_add_f16 v1, v1, v3;

	;;#ASMEND
	;;#ASMSTART
	v_pk_add_f16 v1, v1, v4;

	;;#ASMEND
	v_and_b32_e32 v2, 0xffff, v1
	v_lshrrev_b32_e32 v1, 16, v1
	;;#ASMSTART
	v_cvt_f32_f16 v39, v2;
	;;#ASMEND
	;;#ASMSTART
	v_cvt_f32_f16 v40, v1;
	;;#ASMEND
	global_load_dwordx4 v[1:4], v[7:8], off offset:1536
	s_waitcnt vmcnt(0)
	v_lshrrev_b32_e32 v41, 16, v1
	v_lshrrev_b32_e32 v8, 16, v2
	;; [unrolled: 1-line block ×3, first 2 shown]
	s_and_saveexec_b32 s1, s0
	s_cbranch_execz .LBB117_28
; %bb.36:                               ;   in Loop: Header=BB117_29 Depth=1
	v_cmp_gt_i32_e32 vcc_lo, s25, v28
	v_cmp_gt_i32_e64 s0, s25, v27
	v_cndmask_b32_e32 v1, 0, v1, vcc_lo
	v_cmp_gt_i32_e32 vcc_lo, s25, v30
	v_cndmask_b32_e64 v2, 0, v2, s0
	v_cmp_gt_i32_e64 s0, s25, v24
	v_and_b32_e32 v24, 0xffff0000, v4
	v_cndmask_b32_e32 v41, 0, v41, vcc_lo
	v_cmp_gt_i32_e32 vcc_lo, s25, v29
	v_cndmask_b32_e64 v8, 0, v8, s0
	v_cndmask_b32_sdwa v4, v16, v4, vcc_lo dst_sel:DWORD dst_unused:UNUSED_PAD src0_sel:DWORD src1_sel:WORD_0
	v_cmp_gt_i32_e32 vcc_lo, s25, v19
	v_cndmask_b32_e32 v24, 0, v24, vcc_lo
	v_cmp_gt_i32_e32 vcc_lo, s25, v23
	v_or_b32_e32 v4, v4, v24
	v_cndmask_b32_e32 v3, 0, v3, vcc_lo
	v_cmp_gt_i32_e32 vcc_lo, s25, v22
	v_cndmask_b32_e32 v7, 0, v7, vcc_lo
	s_branch .LBB117_28
.LBB117_37:
	s_or_b32 exec_lo, exec_lo, s4
.LBB117_38:
	s_or_b32 exec_lo, exec_lo, s3
	ds_bpermute_b32 v1, v9, v13
	ds_bpermute_b32 v2, v9, v15
	;; [unrolled: 1-line block ×4, first 2 shown]
	v_lshrrev_b32_e32 v5, 2, v26
	s_mov_b32 s0, exec_lo
	s_waitcnt lgkmcnt(0)
	s_waitcnt_vscnt null, 0x0
	s_barrier
	buffer_gl0_inv
	v_add_f32_e32 v1, v13, v1
	v_add_f32_e32 v2, v15, v2
	;; [unrolled: 1-line block ×4, first 2 shown]
	v_and_b32_e32 v4, 28, v26
	ds_bpermute_b32 v3, v10, v1
	ds_bpermute_b32 v9, v10, v2
	;; [unrolled: 1-line block ×4, first 2 shown]
	v_and_b32_e32 v13, 0x3c3, v0
	v_add_nc_u32_e32 v6, 0x60, v4
	s_waitcnt lgkmcnt(3)
	v_add_f32_e32 v4, v1, v3
	s_waitcnt lgkmcnt(2)
	v_add_f32_e32 v3, v2, v9
	s_waitcnt lgkmcnt(1)
	v_add_f32_e32 v2, v7, v12
	s_waitcnt lgkmcnt(0)
	v_add_f32_e32 v1, v8, v10
	v_cmpx_eq_u32_e32 64, v13
	s_cbranch_execz .LBB117_40
; %bb.39:
	v_lshl_add_u32 v7, v25, 7, v6
	v_add_nc_u32_e32 v8, 0xffffff00, v7
	v_add_nc_u32_e32 v9, 0xffffff20, v7
	;; [unrolled: 1-line block ×4, first 2 shown]
	ds_write_b32 v8, v4
	ds_write_b32 v9, v3
	;; [unrolled: 1-line block ×4, first 2 shown]
.LBB117_40:
	s_or_b32 exec_lo, exec_lo, s0
	v_and_b32_e32 v7, 0x3e0, v0
	v_lshlrev_b32_e32 v5, 2, v5
	s_mov_b32 s1, exec_lo
	v_cmp_eq_u32_e32 vcc_lo, 0, v11
	s_waitcnt lgkmcnt(0)
	v_lshlrev_b32_e32 v7, 2, v7
	s_barrier
	buffer_gl0_inv
	v_add3_u32 v5, 0x60, v7, v5
	v_cmpx_gt_u32_e32 64, v0
	s_cbranch_execz .LBB117_47
; %bb.41:
	s_and_saveexec_b32 s0, vcc_lo
	s_cbranch_execnz .LBB117_59
; %bb.42:
	s_or_b32 exec_lo, exec_lo, s0
	s_and_saveexec_b32 s0, vcc_lo
	s_cbranch_execnz .LBB117_60
.LBB117_43:
	s_or_b32 exec_lo, exec_lo, s0
	s_and_saveexec_b32 s0, vcc_lo
	s_cbranch_execnz .LBB117_61
.LBB117_44:
	s_or_b32 exec_lo, exec_lo, s0
	s_and_saveexec_b32 s0, vcc_lo
	s_cbranch_execz .LBB117_46
.LBB117_45:
	ds_read_b32 v7, v5 offset:96
	s_waitcnt lgkmcnt(0)
	v_add_f32_e32 v1, v1, v7
.LBB117_46:
	s_or_b32 exec_lo, exec_lo, s0
.LBB117_47:
	s_or_b32 exec_lo, exec_lo, s1
	v_and_b32_e32 v7, 0x3e3, v0
	s_mov_b32 s1, exec_lo
	s_barrier
	buffer_gl0_inv
	v_cmpx_eq_u32_e32 32, v7
	s_cbranch_execz .LBB117_49
; %bb.48:
	ds_write2_b32 v6, v4, v3 offset1:8
	ds_write2_b32 v6, v2, v1 offset0:16 offset1:24
.LBB117_49:
	s_or_b32 exec_lo, exec_lo, s1
	s_mov_b32 s1, exec_lo
	s_waitcnt lgkmcnt(0)
	s_barrier
	buffer_gl0_inv
	v_cmpx_gt_u32_e32 32, v0
	s_cbranch_execz .LBB117_56
; %bb.50:
	s_and_saveexec_b32 s0, vcc_lo
	s_cbranch_execnz .LBB117_62
; %bb.51:
	s_or_b32 exec_lo, exec_lo, s0
	s_and_saveexec_b32 s0, vcc_lo
	s_cbranch_execnz .LBB117_63
.LBB117_52:
	s_or_b32 exec_lo, exec_lo, s0
	s_and_saveexec_b32 s0, vcc_lo
	s_cbranch_execnz .LBB117_64
.LBB117_53:
	s_or_b32 exec_lo, exec_lo, s0
	s_and_saveexec_b32 s0, vcc_lo
	s_cbranch_execz .LBB117_55
.LBB117_54:
	ds_read_b32 v5, v5 offset:96
	s_waitcnt lgkmcnt(0)
	v_add_f32_e32 v1, v1, v5
.LBB117_55:
	s_or_b32 exec_lo, exec_lo, s0
.LBB117_56:
	s_or_b32 exec_lo, exec_lo, s1
	s_barrier
	buffer_gl0_inv
	s_mov_b32 s0, exec_lo
	v_cmpx_eq_u32_e32 0, v7
	s_cbranch_execz .LBB117_58
; %bb.57:
	s_lshl_b32 s0, s2, 5
	s_mul_i32 s2, s7, s10
	s_ashr_i32 s1, s0, 31
	v_lshrrev_b32_e32 v0, 1, v0
	s_lshl_b64 s[0:1], s[0:1], 1
	;;#ASMSTART
	v_cvt_f16_f32 v4, v4;

	;;#ASMEND
	s_add_u32 s4, s20, s0
	s_addc_u32 s5, s21, s1
	s_ashr_i32 s3, s2, 31
	s_lshl_b64 s[0:1], s[2:3], 1
	s_add_u32 s2, s4, s0
	s_addc_u32 s3, s5, s1
	s_lshl_b32 s0, s8, 5
	s_ashr_i32 s1, s0, 31
	s_lshl_b64 s[0:1], s[0:1], 1
	s_add_u32 s0, s2, s0
	s_addc_u32 s1, s3, s1
	global_store_short v0, v4, s[0:1]
	;;#ASMSTART
	v_cvt_f16_f32 v3, v3;

	;;#ASMEND
	global_store_short v0, v3, s[0:1] offset:16
	;;#ASMSTART
	v_cvt_f16_f32 v2, v2;

	;;#ASMEND
	global_store_short v0, v2, s[0:1] offset:32
	;; [unrolled: 5-line block ×3, first 2 shown]
.LBB117_58:
	s_endpgm
.LBB117_59:
	ds_read_b32 v7, v5
	s_waitcnt lgkmcnt(0)
	v_add_f32_e32 v4, v4, v7
	s_or_b32 exec_lo, exec_lo, s0
	s_and_saveexec_b32 s0, vcc_lo
	s_cbranch_execz .LBB117_43
.LBB117_60:
	ds_read_b32 v7, v5 offset:32
	s_waitcnt lgkmcnt(0)
	v_add_f32_e32 v3, v3, v7
	s_or_b32 exec_lo, exec_lo, s0
	s_and_saveexec_b32 s0, vcc_lo
	s_cbranch_execz .LBB117_44
.LBB117_61:
	ds_read_b32 v7, v5 offset:64
	s_waitcnt lgkmcnt(0)
	v_add_f32_e32 v2, v2, v7
	s_or_b32 exec_lo, exec_lo, s0
	s_and_saveexec_b32 s0, vcc_lo
	s_cbranch_execnz .LBB117_45
	s_branch .LBB117_46
.LBB117_62:
	ds_read_b32 v6, v5
	s_waitcnt lgkmcnt(0)
	v_add_f32_e32 v4, v4, v6
	s_or_b32 exec_lo, exec_lo, s0
	s_and_saveexec_b32 s0, vcc_lo
	s_cbranch_execz .LBB117_52
.LBB117_63:
	ds_read_b32 v6, v5 offset:32
	s_waitcnt lgkmcnt(0)
	v_add_f32_e32 v3, v3, v6
	s_or_b32 exec_lo, exec_lo, s0
	s_and_saveexec_b32 s0, vcc_lo
	s_cbranch_execz .LBB117_53
.LBB117_64:
	ds_read_b32 v6, v5 offset:64
	s_waitcnt lgkmcnt(0)
	v_add_f32_e32 v2, v2, v6
	s_or_b32 exec_lo, exec_lo, s0
	s_and_saveexec_b32 s0, vcc_lo
	s_cbranch_execnz .LBB117_54
	s_branch .LBB117_55
	.section	.rodata,"a",@progbits
	.p2align	6, 0x0
	.amdhsa_kernel _ZN4vllm25paged_attention_v2_kernelIttLi32ELi32ELi128ELNS_18Fp8KVCacheDataTypeE0ELb0ELi512EEEvPfS2_PT_PKS3_PKT0_S9_ifPKiSB_iPKfiiiSD_SD_iiiii
		.amdhsa_group_segment_fixed_size 96
		.amdhsa_private_segment_fixed_size 0
		.amdhsa_kernarg_size 400
		.amdhsa_user_sgpr_count 6
		.amdhsa_user_sgpr_private_segment_buffer 1
		.amdhsa_user_sgpr_dispatch_ptr 0
		.amdhsa_user_sgpr_queue_ptr 0
		.amdhsa_user_sgpr_kernarg_segment_ptr 1
		.amdhsa_user_sgpr_dispatch_id 0
		.amdhsa_user_sgpr_flat_scratch_init 0
		.amdhsa_user_sgpr_private_segment_size 0
		.amdhsa_wavefront_size32 1
		.amdhsa_uses_dynamic_stack 0
		.amdhsa_system_sgpr_private_segment_wavefront_offset 0
		.amdhsa_system_sgpr_workgroup_id_x 1
		.amdhsa_system_sgpr_workgroup_id_y 1
		.amdhsa_system_sgpr_workgroup_id_z 1
		.amdhsa_system_sgpr_workgroup_info 0
		.amdhsa_system_vgpr_workitem_id 0
		.amdhsa_next_free_vgpr 73
		.amdhsa_next_free_sgpr 38
		.amdhsa_reserve_vcc 1
		.amdhsa_reserve_flat_scratch 0
		.amdhsa_float_round_mode_32 0
		.amdhsa_float_round_mode_16_64 0
		.amdhsa_float_denorm_mode_32 3
		.amdhsa_float_denorm_mode_16_64 3
		.amdhsa_dx10_clamp 1
		.amdhsa_ieee_mode 1
		.amdhsa_fp16_overflow 0
		.amdhsa_workgroup_processor_mode 1
		.amdhsa_memory_ordered 1
		.amdhsa_forward_progress 1
		.amdhsa_shared_vgpr_count 0
		.amdhsa_exception_fp_ieee_invalid_op 0
		.amdhsa_exception_fp_denorm_src 0
		.amdhsa_exception_fp_ieee_div_zero 0
		.amdhsa_exception_fp_ieee_overflow 0
		.amdhsa_exception_fp_ieee_underflow 0
		.amdhsa_exception_fp_ieee_inexact 0
		.amdhsa_exception_int_div_zero 0
	.end_amdhsa_kernel
	.section	.text._ZN4vllm25paged_attention_v2_kernelIttLi32ELi32ELi128ELNS_18Fp8KVCacheDataTypeE0ELb0ELi512EEEvPfS2_PT_PKS3_PKT0_S9_ifPKiSB_iPKfiiiSD_SD_iiiii,"axG",@progbits,_ZN4vllm25paged_attention_v2_kernelIttLi32ELi32ELi128ELNS_18Fp8KVCacheDataTypeE0ELb0ELi512EEEvPfS2_PT_PKS3_PKT0_S9_ifPKiSB_iPKfiiiSD_SD_iiiii,comdat
.Lfunc_end117:
	.size	_ZN4vllm25paged_attention_v2_kernelIttLi32ELi32ELi128ELNS_18Fp8KVCacheDataTypeE0ELb0ELi512EEEvPfS2_PT_PKS3_PKT0_S9_ifPKiSB_iPKfiiiSD_SD_iiiii, .Lfunc_end117-_ZN4vllm25paged_attention_v2_kernelIttLi32ELi32ELi128ELNS_18Fp8KVCacheDataTypeE0ELb0ELi512EEEvPfS2_PT_PKS3_PKT0_S9_ifPKiSB_iPKfiiiSD_SD_iiiii
                                        ; -- End function
	.set _ZN4vllm25paged_attention_v2_kernelIttLi32ELi32ELi128ELNS_18Fp8KVCacheDataTypeE0ELb0ELi512EEEvPfS2_PT_PKS3_PKT0_S9_ifPKiSB_iPKfiiiSD_SD_iiiii.num_vgpr, 73
	.set _ZN4vllm25paged_attention_v2_kernelIttLi32ELi32ELi128ELNS_18Fp8KVCacheDataTypeE0ELb0ELi512EEEvPfS2_PT_PKS3_PKT0_S9_ifPKiSB_iPKfiiiSD_SD_iiiii.num_agpr, 0
	.set _ZN4vllm25paged_attention_v2_kernelIttLi32ELi32ELi128ELNS_18Fp8KVCacheDataTypeE0ELb0ELi512EEEvPfS2_PT_PKS3_PKT0_S9_ifPKiSB_iPKfiiiSD_SD_iiiii.numbered_sgpr, 38
	.set _ZN4vllm25paged_attention_v2_kernelIttLi32ELi32ELi128ELNS_18Fp8KVCacheDataTypeE0ELb0ELi512EEEvPfS2_PT_PKS3_PKT0_S9_ifPKiSB_iPKfiiiSD_SD_iiiii.num_named_barrier, 0
	.set _ZN4vllm25paged_attention_v2_kernelIttLi32ELi32ELi128ELNS_18Fp8KVCacheDataTypeE0ELb0ELi512EEEvPfS2_PT_PKS3_PKT0_S9_ifPKiSB_iPKfiiiSD_SD_iiiii.private_seg_size, 0
	.set _ZN4vllm25paged_attention_v2_kernelIttLi32ELi32ELi128ELNS_18Fp8KVCacheDataTypeE0ELb0ELi512EEEvPfS2_PT_PKS3_PKT0_S9_ifPKiSB_iPKfiiiSD_SD_iiiii.uses_vcc, 1
	.set _ZN4vllm25paged_attention_v2_kernelIttLi32ELi32ELi128ELNS_18Fp8KVCacheDataTypeE0ELb0ELi512EEEvPfS2_PT_PKS3_PKT0_S9_ifPKiSB_iPKfiiiSD_SD_iiiii.uses_flat_scratch, 0
	.set _ZN4vllm25paged_attention_v2_kernelIttLi32ELi32ELi128ELNS_18Fp8KVCacheDataTypeE0ELb0ELi512EEEvPfS2_PT_PKS3_PKT0_S9_ifPKiSB_iPKfiiiSD_SD_iiiii.has_dyn_sized_stack, 0
	.set _ZN4vllm25paged_attention_v2_kernelIttLi32ELi32ELi128ELNS_18Fp8KVCacheDataTypeE0ELb0ELi512EEEvPfS2_PT_PKS3_PKT0_S9_ifPKiSB_iPKfiiiSD_SD_iiiii.has_recursion, 0
	.set _ZN4vllm25paged_attention_v2_kernelIttLi32ELi32ELi128ELNS_18Fp8KVCacheDataTypeE0ELb0ELi512EEEvPfS2_PT_PKS3_PKT0_S9_ifPKiSB_iPKfiiiSD_SD_iiiii.has_indirect_call, 0
	.section	.AMDGPU.csdata,"",@progbits
; Kernel info:
; codeLenInByte = 6816
; TotalNumSgprs: 40
; NumVgprs: 73
; ScratchSize: 0
; MemoryBound: 0
; FloatMode: 240
; IeeeMode: 1
; LDSByteSize: 96 bytes/workgroup (compile time only)
; SGPRBlocks: 0
; VGPRBlocks: 9
; NumSGPRsForWavesPerEU: 40
; NumVGPRsForWavesPerEU: 73
; Occupancy: 12
; WaveLimiterHint : 1
; COMPUTE_PGM_RSRC2:SCRATCH_EN: 0
; COMPUTE_PGM_RSRC2:USER_SGPR: 6
; COMPUTE_PGM_RSRC2:TRAP_HANDLER: 0
; COMPUTE_PGM_RSRC2:TGID_X_EN: 1
; COMPUTE_PGM_RSRC2:TGID_Y_EN: 1
; COMPUTE_PGM_RSRC2:TGID_Z_EN: 1
; COMPUTE_PGM_RSRC2:TIDIG_COMP_CNT: 0
	.section	.text._ZN4vllm25paged_attention_v2_kernelIttLi64ELi32ELi128ELNS_18Fp8KVCacheDataTypeE0ELb0ELi512EEEvPfS2_PT_PKS3_PKT0_S9_ifPKiSB_iPKfiiiSD_SD_iiiii,"axG",@progbits,_ZN4vllm25paged_attention_v2_kernelIttLi64ELi32ELi128ELNS_18Fp8KVCacheDataTypeE0ELb0ELi512EEEvPfS2_PT_PKS3_PKT0_S9_ifPKiSB_iPKfiiiSD_SD_iiiii,comdat
	.protected	_ZN4vllm25paged_attention_v2_kernelIttLi64ELi32ELi128ELNS_18Fp8KVCacheDataTypeE0ELb0ELi512EEEvPfS2_PT_PKS3_PKT0_S9_ifPKiSB_iPKfiiiSD_SD_iiiii ; -- Begin function _ZN4vllm25paged_attention_v2_kernelIttLi64ELi32ELi128ELNS_18Fp8KVCacheDataTypeE0ELb0ELi512EEEvPfS2_PT_PKS3_PKT0_S9_ifPKiSB_iPKfiiiSD_SD_iiiii
	.globl	_ZN4vllm25paged_attention_v2_kernelIttLi64ELi32ELi128ELNS_18Fp8KVCacheDataTypeE0ELb0ELi512EEEvPfS2_PT_PKS3_PKT0_S9_ifPKiSB_iPKfiiiSD_SD_iiiii
	.p2align	8
	.type	_ZN4vllm25paged_attention_v2_kernelIttLi64ELi32ELi128ELNS_18Fp8KVCacheDataTypeE0ELb0ELi512EEEvPfS2_PT_PKS3_PKT0_S9_ifPKiSB_iPKfiiiSD_SD_iiiii,@function
_ZN4vllm25paged_attention_v2_kernelIttLi64ELi32ELi128ELNS_18Fp8KVCacheDataTypeE0ELb0ELi512EEEvPfS2_PT_PKS3_PKT0_S9_ifPKiSB_iPKfiiiSD_SD_iiiii: ; @_ZN4vllm25paged_attention_v2_kernelIttLi64ELi32ELi128ELNS_18Fp8KVCacheDataTypeE0ELb0ELi512EEEvPfS2_PT_PKS3_PKT0_S9_ifPKiSB_iPKfiiiSD_SD_iiiii
; %bb.0:
	s_load_dwordx2 s[0:1], s[4:5], 0x40
	s_mov_b32 s24, s7
	s_ashr_i32 s25, s7, 31
	s_lshl_b64 s[2:3], s[24:25], 2
	s_waitcnt lgkmcnt(0)
	s_add_u32 s0, s0, s2
	s_addc_u32 s1, s1, s3
	s_lshl_b32 s30, s8, 9
	s_load_dword s25, s[0:1], 0x0
	s_waitcnt lgkmcnt(0)
	s_cmp_ge_i32 s30, s25
	s_cbranch_scc1 .LBB118_74
; %bb.1:
	s_clause 0x1
	s_load_dword s9, s[4:5], 0x90
	s_load_dwordx2 s[2:3], s[4:5], 0x30
	s_mov_b32 s33, 0
	s_waitcnt lgkmcnt(0)
	s_abs_i32 s10, s9
	s_abs_i32 s0, s2
	s_xor_b32 s2, s9, s2
	v_cvt_f32_u32_e32 v1, s0
	s_sub_i32 s7, 0, s0
	s_ashr_i32 s2, s2, 31
	v_rcp_iflag_f32_e32 v1, v1
	v_mul_f32_e32 v1, 0x4f7ffffe, v1
	v_cvt_u32_f32_e32 v1, v1
	v_readfirstlane_b32 s1, v1
	s_mul_i32 s7, s7, s1
	s_mul_hi_u32 s7, s1, s7
	s_add_i32 s1, s1, s7
	s_mul_hi_u32 s1, s10, s1
	s_mul_i32 s7, s1, s0
	s_sub_i32 s7, s10, s7
	s_add_i32 s10, s1, 1
	s_sub_i32 s11, s7, s0
	s_cmp_ge_u32 s7, s0
	s_cselect_b32 s1, s10, s1
	s_cselect_b32 s7, s11, s7
	s_add_i32 s10, s1, 1
	s_cmp_ge_u32 s7, s0
	s_cselect_b32 s0, s10, s1
	s_abs_i32 s29, s6
	s_xor_b32 s0, s0, s2
	s_sub_i32 s10, s0, s2
	s_load_dwordx2 s[0:1], s[4:5], 0x50
	s_abs_i32 s2, s10
	v_cvt_f32_u32_e32 v1, s2
	s_sub_i32 s11, 0, s2
	v_rcp_iflag_f32_e32 v1, v1
	v_mul_f32_e32 v1, 0x4f7ffffe, v1
	v_cvt_u32_f32_e32 v1, v1
	v_readfirstlane_b32 s7, v1
	s_mul_i32 s11, s11, s7
	s_mul_hi_u32 s11, s7, s11
	s_add_i32 s7, s7, s11
	s_waitcnt lgkmcnt(0)
	s_cmp_eq_u64 s[0:1], 0
	s_mul_hi_u32 s28, s29, s7
	s_cbranch_scc1 .LBB118_3
; %bb.2:
	s_ashr_i32 s7, s6, 31
	s_lshl_b64 s[12:13], s[6:7], 2
	s_add_u32 s0, s0, s12
	s_addc_u32 s1, s1, s13
	s_load_dword s33, s[0:1], 0x0
.LBB118_3:
	s_clause 0x1
	s_load_dwordx2 s[22:23], s[4:5], 0x38
	s_load_dwordx4 s[12:15], s[4:5], 0x58
	v_lshlrev_b32_e32 v9, 4, v0
	s_ashr_i32 s0, s6, 31
	s_ashr_i32 s1, s10, 31
	s_lshl_b32 s10, s6, 6
	s_mov_b32 s7, exec_lo
	v_cmpx_gt_u32_e32 8, v0
	s_cbranch_execz .LBB118_5
; %bb.4:
	s_load_dwordx2 s[16:17], s[4:5], 0x18
	s_waitcnt lgkmcnt(0)
	s_mul_i32 s18, s12, s24
	s_ashr_i32 s19, s18, 31
	s_lshl_b64 s[18:19], s[18:19], 1
	s_add_u32 s12, s16, s18
	s_addc_u32 s15, s17, s19
	s_ashr_i32 s11, s10, 31
	s_lshl_b64 s[16:17], s[10:11], 1
	s_add_u32 s16, s12, s16
	s_addc_u32 s17, s15, s17
	global_load_dwordx4 v[1:4], v9, s[16:17]
	s_waitcnt vmcnt(0)
	ds_write_b128 v9, v[1:4]
.LBB118_5:
	s_or_b32 exec_lo, exec_lo, s7
	s_add_i32 s7, s25, 31
	s_clause 0x1
	s_load_dwordx4 s[16:19], s[4:5], 0x0
	s_load_dwordx2 s[20:21], s[4:5], 0x10
	s_ashr_i32 s11, s7, 31
	s_lshl_b32 s31, s8, 4
	s_lshr_b32 s11, s11, 27
	s_mul_i32 s34, s28, s2
	s_add_i32 s7, s7, s11
	s_add_i32 s11, s31, 16
	s_waitcnt lgkmcnt(0)
	s_ashr_i32 s12, s7, 5
	s_clause 0x2
	s_load_dwordx2 s[26:27], s[4:5], 0x28
	s_load_dword s7, s[4:5], 0x98
	s_load_dword s15, s[4:5], 0x48
	s_xor_b32 s0, s0, s1
	s_sub_i32 s1, s29, s34
	s_min_i32 s11, s11, s12
	s_add_i32 s29, s28, 1
	s_sub_i32 s34, s1, s2
	s_cmp_ge_u32 s1, s2
	v_lshrrev_b32_e32 v10, 5, v0
	s_cselect_b32 s28, s29, s28
	s_cselect_b32 s1, s34, s1
	s_add_i32 s29, s28, 1
	s_cmp_ge_u32 s1, s2
	v_add_nc_u32_e32 v5, s31, v10
	v_and_b32_e32 v11, 31, v0
	s_cselect_b32 s1, s29, s28
	v_mov_b32_e32 v13, 0xff7fffff
	s_xor_b32 s1, s1, s0
	v_ashrrev_i32_e32 v6, 31, v5
	s_sub_i32 s1, s1, s0
	v_cmp_gt_i32_e64 s0, s11, v5
	v_lshlrev_b32_e32 v12, 2, v11
	s_waitcnt lgkmcnt(0)
	s_mul_i32 s28, s15, s24
	s_mul_i32 s14, s1, s14
	s_ashr_i32 s29, s28, 31
	s_barrier
	buffer_gl0_inv
	s_and_saveexec_b32 s34, s0
	s_cbranch_execz .LBB118_9
; %bb.6:
	s_load_dwordx2 s[4:5], s[4:5], 0x20
	s_ashr_i32 s15, s14, 31
	v_lshlrev_b32_e32 v3, 4, v11
	s_lshl_b64 s[36:37], s[14:15], 1
	v_lshlrev_b64 v[1:2], 2, v[5:6]
	v_lshl_or_b32 v7, v10, 7, v12
	v_lshlrev_b32_e32 v4, 5, v10
	v_mov_b32_e32 v14, 0
	v_cmp_neq_f32_e64 vcc_lo, s33, 0
	v_mov_b32_e32 v13, 0xff7fffff
	v_add_nc_u32_e32 v16, 0xa0, v7
	v_add3_u32 v15, s30, v4, v11
	v_mov_b32_e32 v19, v5
	s_mov_b32 s15, s13
	s_waitcnt lgkmcnt(0)
	s_add_u32 s1, s4, s36
	s_addc_u32 s2, s5, s37
	s_lshl_b64 s[36:37], s[28:29], 2
	v_add_co_u32 v17, s1, s1, v3
	s_sub_i32 s4, 1, s25
	v_add_co_ci_u32_e64 v18, null, s2, 0, s1
	s_add_u32 s1, s22, s36
	s_addc_u32 s2, s23, s37
	v_add_co_u32 v7, s1, s1, v1
	v_add_co_ci_u32_e64 v8, null, s2, v2, s1
	s_mov_b32 s5, 0
.LBB118_7:                              ; =>This Inner Loop Header: Depth=1
	global_load_dword v20, v[7:8], off
	ds_read_b128 v[1:4], v14
	v_add_nc_u32_e32 v22, s4, v15
	v_max_f32_e32 v21, v13, v13
	v_add_nc_u32_e32 v19, 4, v19
	v_cvt_f32_i32_e32 v22, v22
	v_cmp_le_i32_e64 s2, s11, v19
	v_mul_f32_e32 v22, s33, v22
	s_or_b32 s5, s2, s5
	s_waitcnt lgkmcnt(0)
	v_lshrrev_b32_e32 v51, 16, v1
	v_and_b32_e32 v52, 0xffff, v1
	v_lshrrev_b32_e32 v53, 16, v2
	v_and_b32_e32 v54, 0xffff, v2
	;; [unrolled: 2-line block ×4, first 2 shown]
	s_waitcnt vmcnt(0)
	v_mad_i64_i32 v[1:2], null, v20, s15, 0
	v_lshlrev_b64 v[1:2], 1, v[1:2]
	v_add_co_u32 v35, s1, v17, v1
	v_add_co_ci_u32_e64 v36, null, v18, v2, s1
	s_clause 0x3
	global_load_dwordx4 v[1:4], v[35:36], off
	global_load_dwordx4 v[23:26], v[35:36], off offset:512
	global_load_dwordx4 v[27:30], v[35:36], off offset:1024
	;; [unrolled: 1-line block ×3, first 2 shown]
	v_add_co_u32 v47, s1, 0x800, v35
	v_add_co_ci_u32_e64 v48, null, 0, v36, s1
	s_clause 0x3
	global_load_dwordx4 v[35:38], v[47:48], off
	global_load_dwordx4 v[39:42], v[47:48], off offset:512
	global_load_dwordx4 v[43:46], v[47:48], off offset:1024
	;; [unrolled: 1-line block ×3, first 2 shown]
	;;#ASMSTART
	v_cvt_f32_f16 v20, v52;
	;;#ASMEND
	;;#ASMSTART
	v_cvt_f32_f16 v51, v51;
	;;#ASMEND
	v_add_co_u32 v7, s1, v7, 16
	v_add_co_ci_u32_e64 v8, null, 0, v8, s1
	v_cmp_gt_i32_e64 s1, s25, v15
	v_add_nc_u32_e32 v15, 0x80, v15
	s_waitcnt vmcnt(7)
	v_lshrrev_b32_e32 v52, 16, v1
	v_and_b32_e32 v1, 0xffff, v1
	v_lshrrev_b32_e32 v59, 16, v2
	v_and_b32_e32 v2, 0xffff, v2
	v_lshrrev_b32_e32 v60, 16, v3
	v_and_b32_e32 v3, 0xffff, v3
	v_lshrrev_b32_e32 v61, 16, v4
	v_and_b32_e32 v4, 0xffff, v4
	s_waitcnt vmcnt(6)
	v_lshrrev_b32_e32 v62, 16, v23
	v_and_b32_e32 v63, 0xffff, v23
	v_lshrrev_b32_e32 v64, 16, v24
	v_and_b32_e32 v65, 0xffff, v24
	v_lshrrev_b32_e32 v66, 16, v25
	v_and_b32_e32 v67, 0xffff, v25
	v_lshrrev_b32_e32 v68, 16, v26
	v_and_b32_e32 v69, 0xffff, v26
	;; [unrolled: 9-line block ×4, first 2 shown]
	s_waitcnt vmcnt(3)
	v_lshrrev_b32_e32 v86, 16, v35
	v_and_b32_e32 v87, 0xffff, v35
	v_lshrrev_b32_e32 v88, 16, v36
	v_and_b32_e32 v89, 0xffff, v36
	;;#ASMSTART
	v_cvt_f32_f16 v23, v1;
	;;#ASMEND
	;;#ASMSTART
	v_cvt_f32_f16 v24, v52;
	;;#ASMEND
	;; [unrolled: 3-line block ×14, first 2 shown]
	ds_read_b128 v[1:4], v14 offset:16
	v_lshrrev_b32_e32 v92, 16, v38
	v_and_b32_e32 v93, 0xffff, v38
	s_waitcnt vmcnt(2)
	v_lshrrev_b32_e32 v55, 16, v42
	v_and_b32_e32 v56, 0xffff, v42
	s_waitcnt vmcnt(1)
	;; [unrolled: 3-line block ×3, first 2 shown]
	v_lshrrev_b32_e32 v108, 16, v50
	v_and_b32_e32 v109, 0xffff, v50
	v_lshrrev_b32_e32 v90, 16, v37
	v_and_b32_e32 v91, 0xffff, v37
	;; [unrolled: 2-line block ×6, first 2 shown]
	v_lshrrev_b32_e32 v59, 16, v44
	s_waitcnt lgkmcnt(0)
	v_lshrrev_b32_e32 v38, 16, v1
	v_and_b32_e32 v1, 0xffff, v1
	v_lshrrev_b32_e32 v42, 16, v2
	v_and_b32_e32 v2, 0xffff, v2
	;; [unrolled: 2-line block ×4, first 2 shown]
	v_and_b32_e32 v60, 0xffff, v44
	v_lshrrev_b32_e32 v61, 16, v45
	v_and_b32_e32 v99, 0xffff, v45
	v_lshrrev_b32_e32 v102, 16, v47
	;; [unrolled: 2-line block ×4, first 2 shown]
	v_and_b32_e32 v107, 0xffff, v49
	;;#ASMSTART
	v_cvt_f32_f16 v37, v1;
	;;#ASMEND
	;;#ASMSTART
	v_cvt_f32_f16 v38, v38;
	;;#ASMEND
	;; [unrolled: 3-line block ×16, first 2 shown]
	ds_read_b128 v[1:4], v14 offset:32
	v_mul_f32_e32 v37, v37, v39
	v_mul_f32_e32 v39, v41, v43
	;; [unrolled: 1-line block ×8, first 2 shown]
	v_fmac_f32_e32 v37, v20, v23
	v_fmac_f32_e32 v39, v25, v27
	;; [unrolled: 1-line block ×8, first 2 shown]
	s_waitcnt lgkmcnt(0)
	v_lshrrev_b32_e32 v23, 16, v1
	v_and_b32_e32 v1, 0xffff, v1
	v_lshrrev_b32_e32 v27, 16, v2
	v_and_b32_e32 v2, 0xffff, v2
	v_lshrrev_b32_e32 v31, 16, v3
	v_and_b32_e32 v3, 0xffff, v3
	v_lshrrev_b32_e32 v35, 16, v4
	v_and_b32_e32 v4, 0xffff, v4
	;;#ASMSTART
	v_cvt_f32_f16 v20, v1;
	;;#ASMEND
	;;#ASMSTART
	v_cvt_f32_f16 v23, v23;
	;;#ASMEND
	;; [unrolled: 3-line block ×16, first 2 shown]
	ds_read_b128 v[1:4], v14 offset:48
	v_fmac_f32_e32 v38, v23, v25
	v_fmac_f32_e32 v40, v27, v29
	;; [unrolled: 1-line block ×8, first 2 shown]
	s_waitcnt lgkmcnt(0)
	v_lshrrev_b32_e32 v23, 16, v1
	v_and_b32_e32 v1, 0xffff, v1
	v_lshrrev_b32_e32 v27, 16, v2
	v_and_b32_e32 v2, 0xffff, v2
	;; [unrolled: 2-line block ×4, first 2 shown]
	;;#ASMSTART
	v_cvt_f32_f16 v20, v1;
	;;#ASMEND
	;;#ASMSTART
	v_cvt_f32_f16 v23, v23;
	;;#ASMEND
	;; [unrolled: 3-line block ×16, first 2 shown]
	ds_read_b128 v[1:4], v14 offset:64
	v_fmac_f32_e32 v38, v23, v25
	v_fmac_f32_e32 v40, v27, v29
	;; [unrolled: 1-line block ×8, first 2 shown]
	s_waitcnt lgkmcnt(0)
	v_lshrrev_b32_e32 v23, 16, v1
	v_and_b32_e32 v1, 0xffff, v1
	v_lshrrev_b32_e32 v27, 16, v2
	v_and_b32_e32 v2, 0xffff, v2
	;; [unrolled: 2-line block ×4, first 2 shown]
	;;#ASMSTART
	v_cvt_f32_f16 v20, v1;
	;;#ASMEND
	;;#ASMSTART
	v_cvt_f32_f16 v23, v23;
	;;#ASMEND
	;; [unrolled: 3-line block ×16, first 2 shown]
	ds_read_b128 v[1:4], v14 offset:80
	v_fmac_f32_e32 v38, v23, v25
	v_fmac_f32_e32 v40, v27, v29
	;; [unrolled: 1-line block ×8, first 2 shown]
	s_waitcnt lgkmcnt(0)
	v_lshrrev_b32_e32 v23, 16, v1
	v_and_b32_e32 v1, 0xffff, v1
	v_lshrrev_b32_e32 v27, 16, v2
	v_and_b32_e32 v2, 0xffff, v2
	;; [unrolled: 2-line block ×4, first 2 shown]
	;;#ASMSTART
	v_cvt_f32_f16 v20, v1;
	;;#ASMEND
	;;#ASMSTART
	v_cvt_f32_f16 v23, v23;
	;;#ASMEND
	;; [unrolled: 3-line block ×16, first 2 shown]
	ds_read_b128 v[1:4], v14 offset:96
	v_fmac_f32_e32 v38, v23, v25
	v_fmac_f32_e32 v40, v27, v29
	;; [unrolled: 1-line block ×8, first 2 shown]
	s_waitcnt lgkmcnt(0)
	v_lshrrev_b32_e32 v23, 16, v1
	v_and_b32_e32 v1, 0xffff, v1
	v_lshrrev_b32_e32 v27, 16, v2
	v_and_b32_e32 v2, 0xffff, v2
	;; [unrolled: 2-line block ×4, first 2 shown]
	;;#ASMSTART
	v_cvt_f32_f16 v20, v1;
	;;#ASMEND
	;;#ASMSTART
	v_cvt_f32_f16 v23, v23;
	;;#ASMEND
	;; [unrolled: 3-line block ×16, first 2 shown]
	ds_read_b128 v[1:4], v14 offset:112
	v_fmac_f32_e32 v37, v20, v24
	v_fmac_f32_e32 v38, v23, v25
	;; [unrolled: 1-line block ×8, first 2 shown]
	s_waitcnt lgkmcnt(0)
	v_lshrrev_b32_e32 v20, 16, v1
	v_and_b32_e32 v1, 0xffff, v1
	v_lshrrev_b32_e32 v23, 16, v2
	v_and_b32_e32 v24, 0xffff, v2
	;; [unrolled: 2-line block ×4, first 2 shown]
	;;#ASMSTART
	v_cvt_f32_f16 v1, v1;
	;;#ASMEND
	;;#ASMSTART
	v_cvt_f32_f16 v2, v20;
	;;#ASMEND
	;; [unrolled: 3-line block ×4, first 2 shown]
	v_fmac_f32_e32 v37, v1, v3
	v_fmac_f32_e32 v38, v2, v4
	;;#ASMSTART
	v_cvt_f32_f16 v20, v24;
	;;#ASMEND
	;;#ASMSTART
	v_cvt_f32_f16 v23, v23;
	;;#ASMEND
	;; [unrolled: 3-line block ×3, first 2 shown]
	v_fmac_f32_e32 v39, v20, v24
	v_add_f32_e32 v2, v37, v38
	;;#ASMSTART
	v_cvt_f32_f16 v25, v104;
	;;#ASMEND
	v_fmac_f32_e32 v40, v23, v25
	;;#ASMSTART
	v_cvt_f32_f16 v26, v26;
	;;#ASMEND
	;;#ASMSTART
	v_cvt_f32_f16 v27, v27;
	;;#ASMEND
	v_add_f32_e32 v2, v2, v39
	;;#ASMSTART
	v_cvt_f32_f16 v1, v107;
	;;#ASMEND
	v_fmac_f32_e32 v41, v26, v1
	;;#ASMSTART
	v_cvt_f32_f16 v3, v106;
	;;#ASMEND
	v_fmac_f32_e32 v42, v27, v3
	v_add_f32_e32 v1, v40, v2
	;;#ASMSTART
	v_cvt_f32_f16 v4, v29;
	;;#ASMEND
	;;#ASMSTART
	v_cvt_f32_f16 v2, v28;
	;;#ASMEND
	;; [unrolled: 3-line block ×3, first 2 shown]
	v_fmac_f32_e32 v43, v4, v3
	v_add_f32_e32 v1, v1, v41
	;;#ASMSTART
	v_cvt_f32_f16 v3, v108;
	;;#ASMEND
	v_fmac_f32_e32 v44, v2, v3
	v_cndmask_b32_e32 v2, 0, v22, vcc_lo
	v_add_f32_e32 v1, v42, v1
	v_add_f32_e32 v1, v1, v43
	;; [unrolled: 1-line block ×3, first 2 shown]
	v_fmac_f32_e32 v2, s3, v1
	v_cndmask_b32_e64 v1, 0, v2, s1
	v_max_f32_e32 v2, v21, v2
	ds_write_b32 v16, v1
	v_cndmask_b32_e64 v13, v13, v2, s1
	v_add_nc_u32_e32 v16, 0x200, v16
	s_andn2_b32 exec_lo, exec_lo, s5
	s_cbranch_execnz .LBB118_7
; %bb.8:
	s_or_b32 exec_lo, exec_lo, s5
.LBB118_9:
	s_or_b32 exec_lo, exec_lo, s34
	v_mbcnt_lo_u32_b32 v1, -1, 0
	v_max_f32_e32 v7, v13, v13
	v_xor_b32_e32 v2, 16, v1
	v_xor_b32_e32 v4, 8, v1
	v_cmp_gt_i32_e32 vcc_lo, 32, v2
	v_cndmask_b32_e32 v2, v1, v2, vcc_lo
	v_cmp_gt_i32_e32 vcc_lo, 32, v4
	v_lshlrev_b32_e32 v2, 2, v2
	v_cndmask_b32_e32 v4, v1, v4, vcc_lo
	ds_bpermute_b32 v3, v2, v13
	s_waitcnt lgkmcnt(0)
	v_max_f32_e32 v8, v3, v3
	v_lshlrev_b32_e32 v3, 2, v4
	v_max_f32_e32 v4, v7, v8
	v_xor_b32_e32 v8, 4, v1
	ds_bpermute_b32 v7, v3, v4
	v_cmp_gt_i32_e32 vcc_lo, 32, v8
	v_cndmask_b32_e32 v8, v1, v8, vcc_lo
	s_waitcnt lgkmcnt(0)
	v_max_f32_e32 v13, v7, v7
	v_lshlrev_b32_e32 v7, 2, v8
	v_max_f32_e32 v4, v4, v13
	v_xor_b32_e32 v13, 2, v1
	ds_bpermute_b32 v8, v7, v4
	v_cmp_gt_i32_e32 vcc_lo, 32, v13
	v_cndmask_b32_e32 v13, v1, v13, vcc_lo
	v_lshlrev_b32_e32 v14, 2, v13
	v_xor_b32_e32 v13, 1, v1
	v_cmp_gt_i32_e32 vcc_lo, 32, v13
	s_waitcnt lgkmcnt(0)
	v_max_f32_e32 v8, v8, v8
	v_cndmask_b32_e32 v13, v1, v13, vcc_lo
	v_cmp_eq_u32_e32 vcc_lo, 0, v11
	v_max_f32_e32 v4, v4, v8
	v_lshlrev_b32_e32 v13, 2, v13
	ds_bpermute_b32 v8, v14, v4
	s_waitcnt lgkmcnt(0)
	v_max_f32_e32 v8, v8, v8
	v_max_f32_e32 v1, v4, v8
	v_lshlrev_b32_e32 v8, 2, v10
	ds_bpermute_b32 v4, v13, v1
	s_and_saveexec_b32 s1, vcc_lo
	s_cbranch_execz .LBB118_11
; %bb.10:
	s_waitcnt lgkmcnt(0)
	v_max_f32_e32 v4, v4, v4
	v_max_f32_e32 v1, v1, v1
	;; [unrolled: 1-line block ×3, first 2 shown]
	ds_write_b32 v8, v1 offset:128
.LBB118_11:
	s_or_b32 exec_lo, exec_lo, s1
	v_cmp_gt_u32_e64 s1, 4, v11
	v_mov_b32_e32 v1, 0xff7fffff
	s_waitcnt lgkmcnt(0)
	s_barrier
	buffer_gl0_inv
	s_and_saveexec_b32 s2, s1
; %bb.12:
	ds_read_b32 v1, v12 offset:128
; %bb.13:
	s_or_b32 exec_lo, exec_lo, s2
	s_waitcnt lgkmcnt(0)
	ds_bpermute_b32 v4, v14, v1
	v_max_f32_e32 v1, v1, v1
	v_mov_b32_e32 v15, 0
	s_sub_i32 s2, s11, s31
	s_lshl_b32 s2, s2, 5
	s_add_i32 s2, s2, s30
	s_min_i32 s2, s2, s25
	s_sub_i32 s4, s2, s30
	v_cmp_gt_i32_e64 s2, s4, v0
	s_waitcnt lgkmcnt(0)
	v_max_f32_e32 v4, v4, v4
	v_max_f32_e32 v1, v1, v4
	ds_bpermute_b32 v4, v13, v1
	s_waitcnt lgkmcnt(0)
	v_max_f32_e32 v4, v4, v4
	v_max_f32_e32 v1, v1, v4
	v_lshl_add_u32 v4, v0, 2, 0xa0
	ds_bpermute_b32 v1, v15, v1
	s_and_saveexec_b32 s5, s2
	s_cbranch_execz .LBB118_17
; %bb.14:
	v_lshl_add_u32 v16, v0, 2, 0xa0
	v_mov_b32_e32 v15, 0
	v_mov_b32_e32 v17, v0
	s_mov_b32 s15, 0
	.p2align	6
.LBB118_15:                             ; =>This Inner Loop Header: Depth=1
	ds_read_b32 v18, v16
	v_add_nc_u32_e32 v17, 0x80, v17
	v_cmp_le_i32_e64 s3, s4, v17
	s_or_b32 s15, s3, s15
	s_waitcnt lgkmcnt(0)
	v_sub_f32_e32 v18, v18, v1
	v_mul_f32_e32 v18, 0x3fb8aa3b, v18
	v_exp_f32_e32 v18, v18
	ds_write_b32 v16, v18
	v_add_f32_e32 v15, v15, v18
	v_add_nc_u32_e32 v16, 0x200, v16
	s_andn2_b32 exec_lo, exec_lo, s15
	s_cbranch_execnz .LBB118_15
; %bb.16:
	s_or_b32 exec_lo, exec_lo, s15
.LBB118_17:
	s_or_b32 exec_lo, exec_lo, s5
	ds_bpermute_b32 v2, v2, v15
	s_waitcnt lgkmcnt(0)
	v_add_f32_e32 v2, v15, v2
	ds_bpermute_b32 v3, v3, v2
	s_waitcnt lgkmcnt(0)
	v_add_f32_e32 v2, v2, v3
	;; [unrolled: 3-line block ×5, first 2 shown]
	s_and_saveexec_b32 s3, vcc_lo
; %bb.18:
	ds_write_b32 v8, v2 offset:144
; %bb.19:
	s_or_b32 exec_lo, exec_lo, s3
	s_waitcnt lgkmcnt(0)
	s_barrier
	buffer_gl0_inv
	s_and_saveexec_b32 s3, s1
; %bb.20:
	ds_read_b32 v2, v12 offset:144
; %bb.21:
	s_or_b32 exec_lo, exec_lo, s3
	s_waitcnt lgkmcnt(0)
	ds_bpermute_b32 v3, v14, v2
	s_waitcnt lgkmcnt(0)
	v_add_f32_e32 v2, v2, v3
	ds_bpermute_b32 v3, v13, v2
	s_waitcnt lgkmcnt(0)
	v_add_f32_e32 v2, v2, v3
	v_mov_b32_e32 v3, 0
	ds_bpermute_b32 v2, v3, v2
	s_and_saveexec_b32 s1, s2
	s_cbranch_execz .LBB118_24
; %bb.22:
	s_waitcnt lgkmcnt(0)
	v_add_f32_e32 v3, 0x358637bd, v2
	s_mov_b32 s2, 0
	v_div_scale_f32 v7, null, v3, v3, 1.0
	v_div_scale_f32 v15, vcc_lo, 1.0, v3, 1.0
	v_rcp_f32_e32 v8, v7
	v_fma_f32 v12, -v7, v8, 1.0
	v_fmac_f32_e32 v8, v12, v8
	v_mul_f32_e32 v12, v15, v8
	v_fma_f32 v16, -v7, v12, v15
	v_fmac_f32_e32 v12, v16, v8
	v_fma_f32 v7, -v7, v12, v15
	v_div_fmas_f32 v7, v7, v8, v12
	v_div_fixup_f32 v3, v7, v3, 1.0
	v_mov_b32_e32 v7, v0
.LBB118_23:                             ; =>This Inner Loop Header: Depth=1
	ds_read_b32 v8, v4
	v_add_nc_u32_e32 v7, 0x80, v7
	v_cmp_le_i32_e32 vcc_lo, s4, v7
	s_or_b32 s2, vcc_lo, s2
	s_waitcnt lgkmcnt(0)
	v_mul_f32_e32 v8, v3, v8
	ds_write_b32 v4, v8
	v_add_nc_u32_e32 v4, 0x200, v4
	s_andn2_b32 exec_lo, exec_lo, s2
	s_cbranch_execnz .LBB118_23
.LBB118_24:
	s_or_b32 exec_lo, exec_lo, s1
	s_mul_i32 s1, s7, s24
	s_waitcnt lgkmcnt(0)
	s_mul_i32 s2, s1, s9
	s_mov_b32 s1, exec_lo
	s_barrier
	buffer_gl0_inv
	v_cmpx_eq_u32_e32 0, v0
	s_cbranch_execz .LBB118_26
; %bb.25:
	s_ashr_i32 s3, s2, 31
	s_mul_i32 s34, s7, s6
	s_lshl_b64 s[4:5], s[2:3], 2
	v_mov_b32_e32 v3, 0
	s_add_u32 s3, s18, s4
	s_addc_u32 s6, s19, s5
	s_ashr_i32 s35, s34, 31
	s_lshl_b64 s[18:19], s[34:35], 2
	s_add_u32 s3, s3, s18
	s_addc_u32 s6, s6, s19
	s_ashr_i32 s9, s8, 31
	s_lshl_b64 s[34:35], s[8:9], 2
	s_add_u32 s36, s3, s34
	s_addc_u32 s37, s6, s35
	s_add_u32 s3, s16, s4
	s_addc_u32 s4, s17, s5
	;; [unrolled: 2-line block ×4, first 2 shown]
	global_store_dword v3, v1, s[36:37]
	global_store_dword v3, v2, s[4:5]
.LBB118_26:
	s_or_b32 exec_lo, exec_lo, s1
	v_mov_b32_e32 v20, 0
	v_and_b32_e32 v12, 3, v0
	v_mov_b32_e32 v22, 0
	v_mov_b32_e32 v21, 0
	;; [unrolled: 1-line block ×7, first 2 shown]
	s_and_saveexec_b32 s3, s0
	s_cbranch_execz .LBB118_46
; %bb.27:
	v_lshlrev_b32_e32 v1, 3, v0
	s_ashr_i32 s15, s14, 31
	v_lshlrev_b32_e32 v2, 5, v12
	v_and_b32_e32 v3, 0x1f0, v9
	v_lshl_add_u32 v4, v10, 5, s30
	v_and_b32_e32 v1, 24, v1
	s_lshl_b64 s[0:1], s[14:15], 1
	v_lshl_or_b32 v7, v10, 7, v2
	s_add_u32 s0, s26, s0
	s_addc_u32 s1, s27, s1
	v_add_co_u32 v24, s0, s0, v3
	v_add3_u32 v26, v4, v1, 7
	v_lshlrev_b64 v[1:2], 2, v[5:6]
	v_add_co_ci_u32_e64 v25, null, s1, 0, s0
	s_lshl_b64 s[0:1], s[28:29], 2
	s_add_i32 s12, s12, -1
	s_add_u32 s0, s22, s0
	s_addc_u32 s1, s23, s1
	v_add_co_u32 v6, vcc_lo, s0, v1
	v_mov_b32_e32 v23, 0
	v_add_nc_u32_e32 v27, 0xa0, v7
	v_add_co_ci_u32_e64 v7, null, s1, v2, vcc_lo
	v_mov_b32_e32 v15, 0
	v_mov_b32_e32 v16, 0
	;; [unrolled: 1-line block ×8, first 2 shown]
	s_mov_b32 s5, s13
	s_mov_b32 s4, 0
	s_branch .LBB118_29
.LBB118_28:                             ;   in Loop: Header=BB118_29 Depth=1
	s_or_b32 exec_lo, exec_lo, s1
	v_lshlrev_b32_e32 v30, 16, v51
	v_lshlrev_b32_e32 v9, 16, v9
	;; [unrolled: 1-line block ×3, first 2 shown]
	v_add_f32_e32 v28, v52, v53
	v_add_f32_e32 v29, v49, v50
	v_and_or_b32 v1, 0xffff, v1, v30
	v_and_or_b32 v2, 0xffff, v2, v9
	;; [unrolled: 1-line block ×3, first 2 shown]
	;;#ASMSTART
	v_pk_mul_f16 v1, v36, v1;

	;;#ASMEND
	;;#ASMSTART
	v_pk_mul_f16 v2, v35, v2;

	;;#ASMEND
	;; [unrolled: 4-line block ×4, first 2 shown]
	;;#ASMSTART
	v_pk_add_f16 v1, v1, v2;

	;;#ASMEND
	;;#ASMSTART
	v_pk_add_f16 v1, v1, v3;

	;;#ASMEND
	;; [unrolled: 4-line block ×3, first 2 shown]
	v_and_b32_e32 v4, 0xffff, v1
	v_add_nc_u32_e32 v5, 4, v5
	v_lshrrev_b32_e32 v8, 16, v1
	;;#ASMSTART
	v_cvt_f32_f16 v4, v4;
	;;#ASMEND
	v_add_f32_e32 v16, v16, v28
	v_add_f32_e32 v17, v17, v29
	;; [unrolled: 1-line block ×7, first 2 shown]
	;;#ASMSTART
	v_cvt_f32_f16 v8, v8;
	;;#ASMEND
	v_add_f32_e32 v4, v4, v8
	v_cmp_le_i32_e32 vcc_lo, s11, v5
	v_add_co_u32 v6, s0, v6, 16
	v_add_f32_e32 v18, v18, v28
	v_add_f32_e32 v19, v19, v29
	;; [unrolled: 1-line block ×6, first 2 shown]
	v_add_nc_u32_e32 v26, 0x80, v26
	v_add_nc_u32_e32 v27, 0x200, v27
	v_add_co_ci_u32_e64 v7, null, 0, v7, s0
	s_or_b32 s4, vcc_lo, s4
	s_andn2_b32 exec_lo, exec_lo, s4
	s_cbranch_execz .LBB118_45
.LBB118_29:                             ; =>This Inner Loop Header: Depth=1
	global_load_dword v8, v[6:7], off
	ds_read2_b64 v[1:4], v27 offset1:1
	ds_read2_b64 v[28:31], v27 offset0:2 offset1:3
	v_add_nc_u32_e32 v32, -7, v26
	v_cmp_eq_u32_e64 s0, s12, v5
	v_add_nc_u32_e32 v34, -6, v26
	v_add_nc_u32_e32 v33, -1, v26
	s_waitcnt lgkmcnt(1)
	;;#ASMSTART
	v_cvt_f16_f32 v36, v1;

	;;#ASMEND
	;;#ASMSTART
	v_cvt_f16_f32 v35, v2;

	;;#ASMEND
	;;#ASMSTART
	v_cvt_f16_f32 v41, v3;

	;;#ASMEND
	;;#ASMSTART
	v_cvt_f16_f32 v39, v4;

	;;#ASMEND
	s_waitcnt lgkmcnt(0)
	;;#ASMSTART
	v_cvt_f16_f32 v42, v28;

	;;#ASMEND
	;;#ASMSTART
	v_cvt_f16_f32 v37, v29;

	;;#ASMEND
	;; [unrolled: 4-line block ×4, first 2 shown]
	v_add_nc_u32_e32 v31, -5, v26
	v_add_nc_u32_e32 v30, -4, v26
	;; [unrolled: 1-line block ×4, first 2 shown]
	s_waitcnt vmcnt(0)
	v_mad_i64_i32 v[8:9], null, v8, s5, 0
	v_lshlrev_b64 v[8:9], 1, v[8:9]
	v_add_co_u32 v8, vcc_lo, v24, v8
	v_add_co_ci_u32_e64 v9, null, v25, v9, vcc_lo
	global_load_dwordx4 v[1:4], v[8:9], off
	s_waitcnt vmcnt(0)
	v_lshrrev_b32_e32 v45, 16, v1
	v_lshrrev_b32_e32 v44, 16, v2
	;; [unrolled: 1-line block ×3, first 2 shown]
	s_and_saveexec_b32 s6, s0
	s_cbranch_execz .LBB118_31
; %bb.30:                               ;   in Loop: Header=BB118_29 Depth=1
	v_cmp_gt_i32_e32 vcc_lo, s25, v32
	v_and_b32_e32 v46, 0xffff0000, v4
	v_cmp_gt_i32_e64 s1, s25, v31
	v_cndmask_b32_e32 v1, 0, v1, vcc_lo
	v_cmp_gt_i32_e32 vcc_lo, s25, v34
	v_cndmask_b32_e64 v2, 0, v2, s1
	v_cmp_gt_i32_e64 s1, s25, v30
	v_cndmask_b32_e32 v45, 0, v45, vcc_lo
	v_cmp_gt_i32_e32 vcc_lo, s25, v33
	v_cndmask_b32_e64 v44, 0, v44, s1
	v_cndmask_b32_sdwa v4, v23, v4, vcc_lo dst_sel:DWORD dst_unused:UNUSED_PAD src0_sel:DWORD src1_sel:WORD_0
	v_cmp_gt_i32_e32 vcc_lo, s25, v26
	v_cndmask_b32_e32 v46, 0, v46, vcc_lo
	v_cmp_gt_i32_e32 vcc_lo, s25, v29
	v_or_b32_e32 v4, v4, v46
	v_cndmask_b32_e32 v3, 0, v3, vcc_lo
	v_cmp_gt_i32_e32 vcc_lo, s25, v28
	v_cndmask_b32_e32 v43, 0, v43, vcc_lo
.LBB118_31:                             ;   in Loop: Header=BB118_29 Depth=1
	s_or_b32 exec_lo, exec_lo, s6
	v_and_b32_e32 v36, 0xffff, v36
	v_and_b32_e32 v41, 0xffff, v41
	v_lshlrev_b32_e32 v45, 16, v45
	v_and_b32_e32 v42, 0xffff, v42
	v_and_b32_e32 v40, 0xffff, v40
	v_lshl_or_b32 v36, v35, 16, v36
	v_lshl_or_b32 v35, v39, 16, v41
	v_lshlrev_b32_e32 v39, 16, v44
	v_lshlrev_b32_e32 v41, 16, v43
	v_and_or_b32 v1, 0xffff, v1, v45
	;;#ASMSTART
	v_pk_mul_f16 v1, v36, v1;

	;;#ASMEND
	v_lshl_or_b32 v37, v37, 16, v42
	v_and_or_b32 v2, 0xffff, v2, v39
	v_and_or_b32 v3, 0xffff, v3, v41
	v_lshl_or_b32 v38, v38, 16, v40
	;;#ASMSTART
	v_pk_mul_f16 v2, v35, v2;

	;;#ASMEND
	;;#ASMSTART
	v_pk_mul_f16 v3, v37, v3;

	;;#ASMEND
	;; [unrolled: 4-line block ×3, first 2 shown]
	;;#ASMSTART
	v_pk_add_f16 v1, v1, v2;

	;;#ASMEND
	;;#ASMSTART
	v_pk_add_f16 v1, v1, v3;

	;;#ASMEND
	;;#ASMSTART
	v_pk_add_f16 v1, v1, v4;

	;;#ASMEND
	v_and_b32_e32 v2, 0xffff, v1
	v_lshrrev_b32_e32 v1, 16, v1
	;;#ASMSTART
	v_cvt_f32_f16 v39, v2;
	;;#ASMEND
	;;#ASMSTART
	v_cvt_f32_f16 v40, v1;
	;;#ASMEND
	global_load_dwordx4 v[1:4], v[8:9], off offset:512
	s_waitcnt vmcnt(0)
	v_lshrrev_b32_e32 v43, 16, v1
	v_lshrrev_b32_e32 v42, 16, v2
	;; [unrolled: 1-line block ×3, first 2 shown]
	s_and_saveexec_b32 s6, s0
	s_cbranch_execz .LBB118_33
; %bb.32:                               ;   in Loop: Header=BB118_29 Depth=1
	v_cmp_gt_i32_e32 vcc_lo, s25, v32
	v_and_b32_e32 v44, 0xffff0000, v4
	v_cmp_gt_i32_e64 s1, s25, v31
	v_cndmask_b32_e32 v1, 0, v1, vcc_lo
	v_cmp_gt_i32_e32 vcc_lo, s25, v34
	v_cndmask_b32_e64 v2, 0, v2, s1
	v_cmp_gt_i32_e64 s1, s25, v30
	v_cndmask_b32_e32 v43, 0, v43, vcc_lo
	v_cmp_gt_i32_e32 vcc_lo, s25, v33
	v_cndmask_b32_e64 v42, 0, v42, s1
	v_cndmask_b32_sdwa v4, v23, v4, vcc_lo dst_sel:DWORD dst_unused:UNUSED_PAD src0_sel:DWORD src1_sel:WORD_0
	v_cmp_gt_i32_e32 vcc_lo, s25, v26
	v_cndmask_b32_e32 v44, 0, v44, vcc_lo
	v_cmp_gt_i32_e32 vcc_lo, s25, v29
	v_or_b32_e32 v4, v4, v44
	v_cndmask_b32_e32 v3, 0, v3, vcc_lo
	v_cmp_gt_i32_e32 vcc_lo, s25, v28
	v_cndmask_b32_e32 v41, 0, v41, vcc_lo
.LBB118_33:                             ;   in Loop: Header=BB118_29 Depth=1
	s_or_b32 exec_lo, exec_lo, s6
	v_lshlrev_b32_e32 v43, 16, v43
	v_lshlrev_b32_e32 v42, 16, v42
	;; [unrolled: 1-line block ×3, first 2 shown]
	v_and_or_b32 v1, 0xffff, v1, v43
	v_and_or_b32 v2, 0xffff, v2, v42
	;; [unrolled: 1-line block ×3, first 2 shown]
	;;#ASMSTART
	v_pk_mul_f16 v1, v36, v1;

	;;#ASMEND
	;;#ASMSTART
	v_pk_mul_f16 v2, v35, v2;

	;;#ASMEND
	;;#ASMSTART
	v_pk_mul_f16 v3, v37, v3;

	;;#ASMEND
	;;#ASMSTART
	v_pk_mul_f16 v4, v38, v4;

	;;#ASMEND
	;;#ASMSTART
	v_pk_add_f16 v1, v1, v2;

	;;#ASMEND
	;;#ASMSTART
	v_pk_add_f16 v1, v1, v3;

	;;#ASMEND
	;; [unrolled: 4-line block ×3, first 2 shown]
	v_and_b32_e32 v2, 0xffff, v1
	v_lshrrev_b32_e32 v1, 16, v1
	;;#ASMSTART
	v_cvt_f32_f16 v41, v2;
	;;#ASMEND
	;;#ASMSTART
	v_cvt_f32_f16 v42, v1;
	;;#ASMEND
	global_load_dwordx4 v[1:4], v[8:9], off offset:1024
	s_waitcnt vmcnt(0)
	v_lshrrev_b32_e32 v45, 16, v1
	v_lshrrev_b32_e32 v44, 16, v2
	;; [unrolled: 1-line block ×3, first 2 shown]
	s_and_saveexec_b32 s6, s0
	s_cbranch_execz .LBB118_35
; %bb.34:                               ;   in Loop: Header=BB118_29 Depth=1
	v_cmp_gt_i32_e32 vcc_lo, s25, v32
	v_and_b32_e32 v46, 0xffff0000, v4
	v_cmp_gt_i32_e64 s1, s25, v31
	v_cndmask_b32_e32 v1, 0, v1, vcc_lo
	v_cmp_gt_i32_e32 vcc_lo, s25, v34
	v_cndmask_b32_e64 v2, 0, v2, s1
	v_cmp_gt_i32_e64 s1, s25, v30
	v_cndmask_b32_e32 v45, 0, v45, vcc_lo
	v_cmp_gt_i32_e32 vcc_lo, s25, v33
	v_cndmask_b32_e64 v44, 0, v44, s1
	v_cndmask_b32_sdwa v4, v23, v4, vcc_lo dst_sel:DWORD dst_unused:UNUSED_PAD src0_sel:DWORD src1_sel:WORD_0
	v_cmp_gt_i32_e32 vcc_lo, s25, v26
	v_cndmask_b32_e32 v46, 0, v46, vcc_lo
	v_cmp_gt_i32_e32 vcc_lo, s25, v29
	v_or_b32_e32 v4, v4, v46
	v_cndmask_b32_e32 v3, 0, v3, vcc_lo
	v_cmp_gt_i32_e32 vcc_lo, s25, v28
	v_cndmask_b32_e32 v43, 0, v43, vcc_lo
.LBB118_35:                             ;   in Loop: Header=BB118_29 Depth=1
	s_or_b32 exec_lo, exec_lo, s6
	v_lshlrev_b32_e32 v45, 16, v45
	v_lshlrev_b32_e32 v44, 16, v44
	;; [unrolled: 1-line block ×3, first 2 shown]
	v_and_or_b32 v1, 0xffff, v1, v45
	v_and_or_b32 v2, 0xffff, v2, v44
	;; [unrolled: 1-line block ×3, first 2 shown]
	;;#ASMSTART
	v_pk_mul_f16 v1, v36, v1;

	;;#ASMEND
	;;#ASMSTART
	v_pk_mul_f16 v2, v35, v2;

	;;#ASMEND
	;; [unrolled: 4-line block ×4, first 2 shown]
	;;#ASMSTART
	v_pk_add_f16 v1, v1, v2;

	;;#ASMEND
	;;#ASMSTART
	v_pk_add_f16 v1, v1, v3;

	;;#ASMEND
	;; [unrolled: 4-line block ×3, first 2 shown]
	v_and_b32_e32 v2, 0xffff, v1
	v_lshrrev_b32_e32 v1, 16, v1
	;;#ASMSTART
	v_cvt_f32_f16 v43, v2;
	;;#ASMEND
	;;#ASMSTART
	v_cvt_f32_f16 v44, v1;
	;;#ASMEND
	global_load_dwordx4 v[1:4], v[8:9], off offset:1536
	s_waitcnt vmcnt(0)
	v_lshrrev_b32_e32 v47, 16, v1
	v_lshrrev_b32_e32 v46, 16, v2
	;; [unrolled: 1-line block ×3, first 2 shown]
	s_and_saveexec_b32 s6, s0
	s_cbranch_execz .LBB118_37
; %bb.36:                               ;   in Loop: Header=BB118_29 Depth=1
	v_cmp_gt_i32_e32 vcc_lo, s25, v32
	v_and_b32_e32 v48, 0xffff0000, v4
	v_cmp_gt_i32_e64 s1, s25, v31
	v_cndmask_b32_e32 v1, 0, v1, vcc_lo
	v_cmp_gt_i32_e32 vcc_lo, s25, v34
	v_cndmask_b32_e64 v2, 0, v2, s1
	v_cmp_gt_i32_e64 s1, s25, v30
	v_cndmask_b32_e32 v47, 0, v47, vcc_lo
	v_cmp_gt_i32_e32 vcc_lo, s25, v33
	v_cndmask_b32_e64 v46, 0, v46, s1
	v_cndmask_b32_sdwa v4, v23, v4, vcc_lo dst_sel:DWORD dst_unused:UNUSED_PAD src0_sel:DWORD src1_sel:WORD_0
	v_cmp_gt_i32_e32 vcc_lo, s25, v26
	v_cndmask_b32_e32 v48, 0, v48, vcc_lo
	v_cmp_gt_i32_e32 vcc_lo, s25, v29
	v_or_b32_e32 v4, v4, v48
	v_cndmask_b32_e32 v3, 0, v3, vcc_lo
	v_cmp_gt_i32_e32 vcc_lo, s25, v28
	v_cndmask_b32_e32 v45, 0, v45, vcc_lo
.LBB118_37:                             ;   in Loop: Header=BB118_29 Depth=1
	s_or_b32 exec_lo, exec_lo, s6
	v_lshlrev_b32_e32 v47, 16, v47
	v_lshlrev_b32_e32 v46, 16, v46
	;; [unrolled: 1-line block ×3, first 2 shown]
	v_add_co_u32 v8, vcc_lo, 0x800, v8
	v_and_or_b32 v1, 0xffff, v1, v47
	v_and_or_b32 v2, 0xffff, v2, v46
	;; [unrolled: 1-line block ×3, first 2 shown]
	;;#ASMSTART
	v_pk_mul_f16 v1, v36, v1;

	;;#ASMEND
	v_add_co_ci_u32_e64 v9, null, 0, v9, vcc_lo
	;;#ASMSTART
	v_pk_mul_f16 v2, v35, v2;

	;;#ASMEND
	;;#ASMSTART
	v_pk_mul_f16 v3, v37, v3;

	;;#ASMEND
	;; [unrolled: 4-line block ×3, first 2 shown]
	;;#ASMSTART
	v_pk_add_f16 v1, v1, v2;

	;;#ASMEND
	;;#ASMSTART
	v_pk_add_f16 v1, v1, v3;

	;;#ASMEND
	;; [unrolled: 4-line block ×3, first 2 shown]
	v_lshrrev_b32_e32 v2, 16, v1
	v_and_b32_e32 v1, 0xffff, v1
	;;#ASMSTART
	v_cvt_f32_f16 v45, v1;
	;;#ASMEND
	;;#ASMSTART
	v_cvt_f32_f16 v46, v2;
	;;#ASMEND
	global_load_dwordx4 v[1:4], v[8:9], off
	s_waitcnt vmcnt(0)
	v_lshrrev_b32_e32 v49, 16, v1
	v_lshrrev_b32_e32 v48, 16, v2
	;; [unrolled: 1-line block ×3, first 2 shown]
	s_and_saveexec_b32 s6, s0
	s_cbranch_execz .LBB118_39
; %bb.38:                               ;   in Loop: Header=BB118_29 Depth=1
	v_cmp_gt_i32_e32 vcc_lo, s25, v32
	v_and_b32_e32 v50, 0xffff0000, v4
	v_cmp_gt_i32_e64 s1, s25, v31
	v_cndmask_b32_e32 v1, 0, v1, vcc_lo
	v_cmp_gt_i32_e32 vcc_lo, s25, v34
	v_cndmask_b32_e64 v2, 0, v2, s1
	v_cmp_gt_i32_e64 s1, s25, v30
	v_cndmask_b32_e32 v49, 0, v49, vcc_lo
	v_cmp_gt_i32_e32 vcc_lo, s25, v33
	v_cndmask_b32_e64 v48, 0, v48, s1
	v_cndmask_b32_sdwa v4, v23, v4, vcc_lo dst_sel:DWORD dst_unused:UNUSED_PAD src0_sel:DWORD src1_sel:WORD_0
	v_cmp_gt_i32_e32 vcc_lo, s25, v26
	v_cndmask_b32_e32 v50, 0, v50, vcc_lo
	v_cmp_gt_i32_e32 vcc_lo, s25, v29
	v_or_b32_e32 v4, v4, v50
	v_cndmask_b32_e32 v3, 0, v3, vcc_lo
	v_cmp_gt_i32_e32 vcc_lo, s25, v28
	v_cndmask_b32_e32 v47, 0, v47, vcc_lo
.LBB118_39:                             ;   in Loop: Header=BB118_29 Depth=1
	s_or_b32 exec_lo, exec_lo, s6
	v_lshlrev_b32_e32 v49, 16, v49
	v_lshlrev_b32_e32 v48, 16, v48
	;; [unrolled: 1-line block ×3, first 2 shown]
	v_and_or_b32 v1, 0xffff, v1, v49
	v_and_or_b32 v2, 0xffff, v2, v48
	v_and_or_b32 v3, 0xffff, v3, v47
	;;#ASMSTART
	v_pk_mul_f16 v1, v36, v1;

	;;#ASMEND
	;;#ASMSTART
	v_pk_mul_f16 v2, v35, v2;

	;;#ASMEND
	;; [unrolled: 4-line block ×4, first 2 shown]
	;;#ASMSTART
	v_pk_add_f16 v1, v1, v2;

	;;#ASMEND
	;;#ASMSTART
	v_pk_add_f16 v1, v1, v3;

	;;#ASMEND
	;; [unrolled: 4-line block ×3, first 2 shown]
	v_and_b32_e32 v2, 0xffff, v1
	v_lshrrev_b32_e32 v1, 16, v1
	;;#ASMSTART
	v_cvt_f32_f16 v47, v2;
	;;#ASMEND
	;;#ASMSTART
	v_cvt_f32_f16 v48, v1;
	;;#ASMEND
	global_load_dwordx4 v[1:4], v[8:9], off offset:512
	s_waitcnt vmcnt(0)
	v_lshrrev_b32_e32 v51, 16, v1
	v_lshrrev_b32_e32 v50, 16, v2
	;; [unrolled: 1-line block ×3, first 2 shown]
	s_and_saveexec_b32 s6, s0
	s_cbranch_execz .LBB118_41
; %bb.40:                               ;   in Loop: Header=BB118_29 Depth=1
	v_cmp_gt_i32_e32 vcc_lo, s25, v32
	v_and_b32_e32 v52, 0xffff0000, v4
	v_cmp_gt_i32_e64 s1, s25, v31
	v_cndmask_b32_e32 v1, 0, v1, vcc_lo
	v_cmp_gt_i32_e32 vcc_lo, s25, v34
	v_cndmask_b32_e64 v2, 0, v2, s1
	v_cmp_gt_i32_e64 s1, s25, v30
	v_cndmask_b32_e32 v51, 0, v51, vcc_lo
	v_cmp_gt_i32_e32 vcc_lo, s25, v33
	v_cndmask_b32_e64 v50, 0, v50, s1
	v_cndmask_b32_sdwa v4, v23, v4, vcc_lo dst_sel:DWORD dst_unused:UNUSED_PAD src0_sel:DWORD src1_sel:WORD_0
	v_cmp_gt_i32_e32 vcc_lo, s25, v26
	v_cndmask_b32_e32 v52, 0, v52, vcc_lo
	v_cmp_gt_i32_e32 vcc_lo, s25, v29
	v_or_b32_e32 v4, v4, v52
	v_cndmask_b32_e32 v3, 0, v3, vcc_lo
	v_cmp_gt_i32_e32 vcc_lo, s25, v28
	v_cndmask_b32_e32 v49, 0, v49, vcc_lo
.LBB118_41:                             ;   in Loop: Header=BB118_29 Depth=1
	s_or_b32 exec_lo, exec_lo, s6
	v_lshlrev_b32_e32 v51, 16, v51
	v_lshlrev_b32_e32 v50, 16, v50
	;; [unrolled: 1-line block ×3, first 2 shown]
	v_and_or_b32 v1, 0xffff, v1, v51
	v_and_or_b32 v2, 0xffff, v2, v50
	;; [unrolled: 1-line block ×3, first 2 shown]
	;;#ASMSTART
	v_pk_mul_f16 v1, v36, v1;

	;;#ASMEND
	;;#ASMSTART
	v_pk_mul_f16 v2, v35, v2;

	;;#ASMEND
	;; [unrolled: 4-line block ×4, first 2 shown]
	;;#ASMSTART
	v_pk_add_f16 v1, v1, v2;

	;;#ASMEND
	;;#ASMSTART
	v_pk_add_f16 v1, v1, v3;

	;;#ASMEND
	;; [unrolled: 4-line block ×3, first 2 shown]
	v_and_b32_e32 v2, 0xffff, v1
	v_lshrrev_b32_e32 v1, 16, v1
	;;#ASMSTART
	v_cvt_f32_f16 v49, v2;
	;;#ASMEND
	;;#ASMSTART
	v_cvt_f32_f16 v50, v1;
	;;#ASMEND
	global_load_dwordx4 v[1:4], v[8:9], off offset:1024
	s_waitcnt vmcnt(0)
	v_lshrrev_b32_e32 v53, 16, v1
	v_lshrrev_b32_e32 v52, 16, v2
	v_lshrrev_b32_e32 v51, 16, v3
	s_and_saveexec_b32 s6, s0
	s_cbranch_execz .LBB118_43
; %bb.42:                               ;   in Loop: Header=BB118_29 Depth=1
	v_cmp_gt_i32_e32 vcc_lo, s25, v32
	v_and_b32_e32 v54, 0xffff0000, v4
	v_cmp_gt_i32_e64 s1, s25, v31
	v_cndmask_b32_e32 v1, 0, v1, vcc_lo
	v_cmp_gt_i32_e32 vcc_lo, s25, v34
	v_cndmask_b32_e64 v2, 0, v2, s1
	v_cmp_gt_i32_e64 s1, s25, v30
	v_cndmask_b32_e32 v53, 0, v53, vcc_lo
	v_cmp_gt_i32_e32 vcc_lo, s25, v33
	v_cndmask_b32_e64 v52, 0, v52, s1
	v_cndmask_b32_sdwa v4, v23, v4, vcc_lo dst_sel:DWORD dst_unused:UNUSED_PAD src0_sel:DWORD src1_sel:WORD_0
	v_cmp_gt_i32_e32 vcc_lo, s25, v26
	v_cndmask_b32_e32 v54, 0, v54, vcc_lo
	v_cmp_gt_i32_e32 vcc_lo, s25, v29
	v_or_b32_e32 v4, v4, v54
	v_cndmask_b32_e32 v3, 0, v3, vcc_lo
	v_cmp_gt_i32_e32 vcc_lo, s25, v28
	v_cndmask_b32_e32 v51, 0, v51, vcc_lo
.LBB118_43:                             ;   in Loop: Header=BB118_29 Depth=1
	s_or_b32 exec_lo, exec_lo, s6
	v_lshlrev_b32_e32 v53, 16, v53
	v_lshlrev_b32_e32 v52, 16, v52
	;; [unrolled: 1-line block ×3, first 2 shown]
	v_and_or_b32 v1, 0xffff, v1, v53
	v_and_or_b32 v2, 0xffff, v2, v52
	;; [unrolled: 1-line block ×3, first 2 shown]
	;;#ASMSTART
	v_pk_mul_f16 v1, v36, v1;

	;;#ASMEND
	;;#ASMSTART
	v_pk_mul_f16 v2, v35, v2;

	;;#ASMEND
	;; [unrolled: 4-line block ×4, first 2 shown]
	;;#ASMSTART
	v_pk_add_f16 v1, v1, v2;

	;;#ASMEND
	;;#ASMSTART
	v_pk_add_f16 v1, v1, v3;

	;;#ASMEND
	;; [unrolled: 4-line block ×3, first 2 shown]
	v_and_b32_e32 v2, 0xffff, v1
	v_lshrrev_b32_e32 v1, 16, v1
	;;#ASMSTART
	v_cvt_f32_f16 v52, v2;
	;;#ASMEND
	;;#ASMSTART
	v_cvt_f32_f16 v53, v1;
	;;#ASMEND
	global_load_dwordx4 v[1:4], v[8:9], off offset:1536
	s_waitcnt vmcnt(0)
	v_lshrrev_b32_e32 v51, 16, v1
	v_lshrrev_b32_e32 v9, 16, v2
	;; [unrolled: 1-line block ×3, first 2 shown]
	s_and_saveexec_b32 s1, s0
	s_cbranch_execz .LBB118_28
; %bb.44:                               ;   in Loop: Header=BB118_29 Depth=1
	v_cmp_gt_i32_e32 vcc_lo, s25, v32
	v_cmp_gt_i32_e64 s0, s25, v31
	v_cndmask_b32_e32 v1, 0, v1, vcc_lo
	v_cmp_gt_i32_e32 vcc_lo, s25, v34
	v_cndmask_b32_e64 v2, 0, v2, s0
	v_cmp_gt_i32_e64 s0, s25, v30
	v_and_b32_e32 v30, 0xffff0000, v4
	v_cndmask_b32_e32 v51, 0, v51, vcc_lo
	v_cmp_gt_i32_e32 vcc_lo, s25, v33
	v_cndmask_b32_e64 v9, 0, v9, s0
	v_cndmask_b32_sdwa v4, v23, v4, vcc_lo dst_sel:DWORD dst_unused:UNUSED_PAD src0_sel:DWORD src1_sel:WORD_0
	v_cmp_gt_i32_e32 vcc_lo, s25, v26
	v_cndmask_b32_e32 v30, 0, v30, vcc_lo
	v_cmp_gt_i32_e32 vcc_lo, s25, v29
	v_or_b32_e32 v4, v4, v30
	v_cndmask_b32_e32 v3, 0, v3, vcc_lo
	v_cmp_gt_i32_e32 vcc_lo, s25, v28
	v_cndmask_b32_e32 v8, 0, v8, vcc_lo
	s_branch .LBB118_28
.LBB118_45:
	s_or_b32 exec_lo, exec_lo, s4
.LBB118_46:
	s_or_b32 exec_lo, exec_lo, s3
	ds_bpermute_b32 v1, v14, v20
	ds_bpermute_b32 v2, v14, v22
	;; [unrolled: 1-line block ×8, first 2 shown]
	v_lshrrev_b32_e32 v9, 2, v11
	v_and_b32_e32 v23, 0x3c3, v0
	s_mov_b32 s0, exec_lo
	s_waitcnt lgkmcnt(0)
	s_waitcnt_vscnt null, 0x0
	s_barrier
	buffer_gl0_inv
	v_add_f32_e32 v1, v20, v1
	v_add_f32_e32 v2, v22, v2
	;; [unrolled: 1-line block ×8, first 2 shown]
	ds_bpermute_b32 v5, v13, v1
	ds_bpermute_b32 v6, v13, v2
	ds_bpermute_b32 v18, v13, v3
	ds_bpermute_b32 v19, v13, v4
	ds_bpermute_b32 v20, v13, v14
	ds_bpermute_b32 v21, v13, v17
	ds_bpermute_b32 v22, v13, v16
	ds_bpermute_b32 v13, v13, v15
	v_and_b32_e32 v7, 28, v11
	v_lshlrev_b32_e32 v11, 8, v10
	v_add_nc_u32_e32 v10, 0xa0, v7
	s_waitcnt lgkmcnt(7)
	v_add_f32_e32 v8, v1, v5
	s_waitcnt lgkmcnt(6)
	v_add_f32_e32 v7, v2, v6
	s_waitcnt lgkmcnt(5)
	v_add_f32_e32 v6, v3, v18
	s_waitcnt lgkmcnt(4)
	v_add_f32_e32 v5, v4, v19
	s_waitcnt lgkmcnt(3)
	v_add_f32_e32 v4, v14, v20
	s_waitcnt lgkmcnt(2)
	v_add_f32_e32 v3, v17, v21
	s_waitcnt lgkmcnt(1)
	v_add_f32_e32 v2, v16, v22
	s_waitcnt lgkmcnt(0)
	v_add_f32_e32 v1, v15, v13
	v_cmpx_eq_u32_e32 64, v23
	s_cbranch_execz .LBB118_48
; %bb.47:
	v_add_nc_u32_e32 v13, v10, v11
	v_add_nc_u32_e32 v14, 0xfffffe00, v13
	;; [unrolled: 1-line block ×9, first 2 shown]
	ds_write_b32 v14, v8
	ds_write_b32 v15, v7
	;; [unrolled: 1-line block ×8, first 2 shown]
.LBB118_48:
	s_or_b32 exec_lo, exec_lo, s0
	v_lshlrev_b32_e32 v9, 2, v9
	s_mov_b32 s1, exec_lo
	v_cmp_eq_u32_e32 vcc_lo, 0, v12
	s_waitcnt lgkmcnt(0)
	s_barrier
	v_add3_u32 v9, 0xa0, v11, v9
	buffer_gl0_inv
	v_cmpx_gt_u32_e32 64, v0
	s_cbranch_execz .LBB118_59
; %bb.49:
	s_and_saveexec_b32 s0, vcc_lo
	s_cbranch_execnz .LBB118_75
; %bb.50:
	s_or_b32 exec_lo, exec_lo, s0
	s_and_saveexec_b32 s0, vcc_lo
	s_cbranch_execnz .LBB118_76
.LBB118_51:
	s_or_b32 exec_lo, exec_lo, s0
	s_and_saveexec_b32 s0, vcc_lo
	s_cbranch_execnz .LBB118_77
.LBB118_52:
	s_or_b32 exec_lo, exec_lo, s0
	s_and_saveexec_b32 s0, vcc_lo
	s_cbranch_execnz .LBB118_78
.LBB118_53:
	s_or_b32 exec_lo, exec_lo, s0
	s_and_saveexec_b32 s0, vcc_lo
	s_cbranch_execnz .LBB118_79
.LBB118_54:
	s_or_b32 exec_lo, exec_lo, s0
	s_and_saveexec_b32 s0, vcc_lo
	s_cbranch_execnz .LBB118_80
.LBB118_55:
	s_or_b32 exec_lo, exec_lo, s0
	s_and_saveexec_b32 s0, vcc_lo
	s_cbranch_execnz .LBB118_81
.LBB118_56:
	s_or_b32 exec_lo, exec_lo, s0
	s_and_saveexec_b32 s0, vcc_lo
	s_cbranch_execz .LBB118_58
.LBB118_57:
	ds_read_b32 v11, v9 offset:224
	s_waitcnt lgkmcnt(0)
	v_add_f32_e32 v1, v1, v11
.LBB118_58:
	s_or_b32 exec_lo, exec_lo, s0
.LBB118_59:
	s_or_b32 exec_lo, exec_lo, s1
	v_and_b32_e32 v11, 0x3e3, v0
	s_mov_b32 s1, exec_lo
	s_barrier
	buffer_gl0_inv
	v_cmpx_eq_u32_e32 32, v11
	s_cbranch_execz .LBB118_61
; %bb.60:
	ds_write2_b32 v10, v8, v7 offset1:8
	ds_write2_b32 v10, v6, v5 offset0:16 offset1:24
	ds_write2_b32 v10, v4, v3 offset0:32 offset1:40
	;; [unrolled: 1-line block ×3, first 2 shown]
.LBB118_61:
	s_or_b32 exec_lo, exec_lo, s1
	s_mov_b32 s1, exec_lo
	s_waitcnt lgkmcnt(0)
	s_barrier
	buffer_gl0_inv
	v_cmpx_gt_u32_e32 32, v0
	s_cbranch_execz .LBB118_72
; %bb.62:
	s_and_saveexec_b32 s0, vcc_lo
	s_cbranch_execnz .LBB118_82
; %bb.63:
	s_or_b32 exec_lo, exec_lo, s0
	s_and_saveexec_b32 s0, vcc_lo
	s_cbranch_execnz .LBB118_83
.LBB118_64:
	s_or_b32 exec_lo, exec_lo, s0
	s_and_saveexec_b32 s0, vcc_lo
	s_cbranch_execnz .LBB118_84
.LBB118_65:
	s_or_b32 exec_lo, exec_lo, s0
	s_and_saveexec_b32 s0, vcc_lo
	s_cbranch_execnz .LBB118_85
.LBB118_66:
	s_or_b32 exec_lo, exec_lo, s0
	s_and_saveexec_b32 s0, vcc_lo
	s_cbranch_execnz .LBB118_86
.LBB118_67:
	s_or_b32 exec_lo, exec_lo, s0
	s_and_saveexec_b32 s0, vcc_lo
	s_cbranch_execnz .LBB118_87
.LBB118_68:
	s_or_b32 exec_lo, exec_lo, s0
	s_and_saveexec_b32 s0, vcc_lo
	s_cbranch_execnz .LBB118_88
.LBB118_69:
	s_or_b32 exec_lo, exec_lo, s0
	s_and_saveexec_b32 s0, vcc_lo
	s_cbranch_execz .LBB118_71
.LBB118_70:
	ds_read_b32 v9, v9 offset:224
	s_waitcnt lgkmcnt(0)
	v_add_f32_e32 v1, v1, v9
.LBB118_71:
	s_or_b32 exec_lo, exec_lo, s0
.LBB118_72:
	s_or_b32 exec_lo, exec_lo, s1
	s_barrier
	buffer_gl0_inv
	s_mov_b32 s0, exec_lo
	v_cmpx_eq_u32_e32 0, v11
	s_cbranch_execz .LBB118_74
; %bb.73:
	s_lshl_b32 s0, s2, 6
	s_mul_i32 s2, s7, s10
	s_ashr_i32 s1, s0, 31
	v_lshrrev_b32_e32 v0, 1, v0
	s_lshl_b64 s[0:1], s[0:1], 1
	;;#ASMSTART
	v_cvt_f16_f32 v8, v8;

	;;#ASMEND
	s_add_u32 s4, s20, s0
	s_addc_u32 s5, s21, s1
	s_ashr_i32 s3, s2, 31
	s_lshl_b64 s[0:1], s[2:3], 1
	s_add_u32 s2, s4, s0
	s_addc_u32 s3, s5, s1
	s_lshl_b32 s0, s8, 6
	s_ashr_i32 s1, s0, 31
	s_lshl_b64 s[0:1], s[0:1], 1
	s_add_u32 s0, s2, s0
	s_addc_u32 s1, s3, s1
	global_store_short v0, v8, s[0:1]
	;;#ASMSTART
	v_cvt_f16_f32 v7, v7;

	;;#ASMEND
	global_store_short v0, v7, s[0:1] offset:16
	;;#ASMSTART
	v_cvt_f16_f32 v6, v6;

	;;#ASMEND
	global_store_short v0, v6, s[0:1] offset:32
	;; [unrolled: 5-line block ×7, first 2 shown]
.LBB118_74:
	s_endpgm
.LBB118_75:
	ds_read_b32 v11, v9
	s_waitcnt lgkmcnt(0)
	v_add_f32_e32 v8, v8, v11
	s_or_b32 exec_lo, exec_lo, s0
	s_and_saveexec_b32 s0, vcc_lo
	s_cbranch_execz .LBB118_51
.LBB118_76:
	ds_read_b32 v11, v9 offset:32
	s_waitcnt lgkmcnt(0)
	v_add_f32_e32 v7, v7, v11
	s_or_b32 exec_lo, exec_lo, s0
	s_and_saveexec_b32 s0, vcc_lo
	s_cbranch_execz .LBB118_52
.LBB118_77:
	ds_read_b32 v11, v9 offset:64
	s_waitcnt lgkmcnt(0)
	v_add_f32_e32 v6, v6, v11
	s_or_b32 exec_lo, exec_lo, s0
	s_and_saveexec_b32 s0, vcc_lo
	s_cbranch_execz .LBB118_53
.LBB118_78:
	ds_read_b32 v11, v9 offset:96
	s_waitcnt lgkmcnt(0)
	v_add_f32_e32 v5, v5, v11
	s_or_b32 exec_lo, exec_lo, s0
	s_and_saveexec_b32 s0, vcc_lo
	s_cbranch_execz .LBB118_54
.LBB118_79:
	ds_read_b32 v11, v9 offset:128
	s_waitcnt lgkmcnt(0)
	v_add_f32_e32 v4, v4, v11
	s_or_b32 exec_lo, exec_lo, s0
	s_and_saveexec_b32 s0, vcc_lo
	s_cbranch_execz .LBB118_55
.LBB118_80:
	ds_read_b32 v11, v9 offset:160
	s_waitcnt lgkmcnt(0)
	v_add_f32_e32 v3, v3, v11
	s_or_b32 exec_lo, exec_lo, s0
	s_and_saveexec_b32 s0, vcc_lo
	s_cbranch_execz .LBB118_56
.LBB118_81:
	ds_read_b32 v11, v9 offset:192
	s_waitcnt lgkmcnt(0)
	v_add_f32_e32 v2, v2, v11
	s_or_b32 exec_lo, exec_lo, s0
	s_and_saveexec_b32 s0, vcc_lo
	s_cbranch_execnz .LBB118_57
	s_branch .LBB118_58
.LBB118_82:
	ds_read_b32 v10, v9
	s_waitcnt lgkmcnt(0)
	v_add_f32_e32 v8, v8, v10
	s_or_b32 exec_lo, exec_lo, s0
	s_and_saveexec_b32 s0, vcc_lo
	s_cbranch_execz .LBB118_64
.LBB118_83:
	ds_read_b32 v10, v9 offset:32
	s_waitcnt lgkmcnt(0)
	v_add_f32_e32 v7, v7, v10
	s_or_b32 exec_lo, exec_lo, s0
	s_and_saveexec_b32 s0, vcc_lo
	s_cbranch_execz .LBB118_65
.LBB118_84:
	ds_read_b32 v10, v9 offset:64
	s_waitcnt lgkmcnt(0)
	v_add_f32_e32 v6, v6, v10
	s_or_b32 exec_lo, exec_lo, s0
	s_and_saveexec_b32 s0, vcc_lo
	s_cbranch_execz .LBB118_66
.LBB118_85:
	ds_read_b32 v10, v9 offset:96
	s_waitcnt lgkmcnt(0)
	v_add_f32_e32 v5, v5, v10
	s_or_b32 exec_lo, exec_lo, s0
	s_and_saveexec_b32 s0, vcc_lo
	s_cbranch_execz .LBB118_67
.LBB118_86:
	ds_read_b32 v10, v9 offset:128
	s_waitcnt lgkmcnt(0)
	v_add_f32_e32 v4, v4, v10
	s_or_b32 exec_lo, exec_lo, s0
	s_and_saveexec_b32 s0, vcc_lo
	s_cbranch_execz .LBB118_68
.LBB118_87:
	ds_read_b32 v10, v9 offset:160
	s_waitcnt lgkmcnt(0)
	v_add_f32_e32 v3, v3, v10
	s_or_b32 exec_lo, exec_lo, s0
	s_and_saveexec_b32 s0, vcc_lo
	s_cbranch_execz .LBB118_69
.LBB118_88:
	ds_read_b32 v10, v9 offset:192
	s_waitcnt lgkmcnt(0)
	v_add_f32_e32 v2, v2, v10
	s_or_b32 exec_lo, exec_lo, s0
	s_and_saveexec_b32 s0, vcc_lo
	s_cbranch_execnz .LBB118_70
	s_branch .LBB118_71
	.section	.rodata,"a",@progbits
	.p2align	6, 0x0
	.amdhsa_kernel _ZN4vllm25paged_attention_v2_kernelIttLi64ELi32ELi128ELNS_18Fp8KVCacheDataTypeE0ELb0ELi512EEEvPfS2_PT_PKS3_PKT0_S9_ifPKiSB_iPKfiiiSD_SD_iiiii
		.amdhsa_group_segment_fixed_size 160
		.amdhsa_private_segment_fixed_size 0
		.amdhsa_kernarg_size 400
		.amdhsa_user_sgpr_count 6
		.amdhsa_user_sgpr_private_segment_buffer 1
		.amdhsa_user_sgpr_dispatch_ptr 0
		.amdhsa_user_sgpr_queue_ptr 0
		.amdhsa_user_sgpr_kernarg_segment_ptr 1
		.amdhsa_user_sgpr_dispatch_id 0
		.amdhsa_user_sgpr_flat_scratch_init 0
		.amdhsa_user_sgpr_private_segment_size 0
		.amdhsa_wavefront_size32 1
		.amdhsa_uses_dynamic_stack 0
		.amdhsa_system_sgpr_private_segment_wavefront_offset 0
		.amdhsa_system_sgpr_workgroup_id_x 1
		.amdhsa_system_sgpr_workgroup_id_y 1
		.amdhsa_system_sgpr_workgroup_id_z 1
		.amdhsa_system_sgpr_workgroup_info 0
		.amdhsa_system_vgpr_workitem_id 0
		.amdhsa_next_free_vgpr 110
		.amdhsa_next_free_sgpr 38
		.amdhsa_reserve_vcc 1
		.amdhsa_reserve_flat_scratch 0
		.amdhsa_float_round_mode_32 0
		.amdhsa_float_round_mode_16_64 0
		.amdhsa_float_denorm_mode_32 3
		.amdhsa_float_denorm_mode_16_64 3
		.amdhsa_dx10_clamp 1
		.amdhsa_ieee_mode 1
		.amdhsa_fp16_overflow 0
		.amdhsa_workgroup_processor_mode 1
		.amdhsa_memory_ordered 1
		.amdhsa_forward_progress 1
		.amdhsa_shared_vgpr_count 0
		.amdhsa_exception_fp_ieee_invalid_op 0
		.amdhsa_exception_fp_denorm_src 0
		.amdhsa_exception_fp_ieee_div_zero 0
		.amdhsa_exception_fp_ieee_overflow 0
		.amdhsa_exception_fp_ieee_underflow 0
		.amdhsa_exception_fp_ieee_inexact 0
		.amdhsa_exception_int_div_zero 0
	.end_amdhsa_kernel
	.section	.text._ZN4vllm25paged_attention_v2_kernelIttLi64ELi32ELi128ELNS_18Fp8KVCacheDataTypeE0ELb0ELi512EEEvPfS2_PT_PKS3_PKT0_S9_ifPKiSB_iPKfiiiSD_SD_iiiii,"axG",@progbits,_ZN4vllm25paged_attention_v2_kernelIttLi64ELi32ELi128ELNS_18Fp8KVCacheDataTypeE0ELb0ELi512EEEvPfS2_PT_PKS3_PKT0_S9_ifPKiSB_iPKfiiiSD_SD_iiiii,comdat
.Lfunc_end118:
	.size	_ZN4vllm25paged_attention_v2_kernelIttLi64ELi32ELi128ELNS_18Fp8KVCacheDataTypeE0ELb0ELi512EEEvPfS2_PT_PKS3_PKT0_S9_ifPKiSB_iPKfiiiSD_SD_iiiii, .Lfunc_end118-_ZN4vllm25paged_attention_v2_kernelIttLi64ELi32ELi128ELNS_18Fp8KVCacheDataTypeE0ELb0ELi512EEEvPfS2_PT_PKS3_PKT0_S9_ifPKiSB_iPKfiiiSD_SD_iiiii
                                        ; -- End function
	.set _ZN4vllm25paged_attention_v2_kernelIttLi64ELi32ELi128ELNS_18Fp8KVCacheDataTypeE0ELb0ELi512EEEvPfS2_PT_PKS3_PKT0_S9_ifPKiSB_iPKfiiiSD_SD_iiiii.num_vgpr, 110
	.set _ZN4vllm25paged_attention_v2_kernelIttLi64ELi32ELi128ELNS_18Fp8KVCacheDataTypeE0ELb0ELi512EEEvPfS2_PT_PKS3_PKT0_S9_ifPKiSB_iPKfiiiSD_SD_iiiii.num_agpr, 0
	.set _ZN4vllm25paged_attention_v2_kernelIttLi64ELi32ELi128ELNS_18Fp8KVCacheDataTypeE0ELb0ELi512EEEvPfS2_PT_PKS3_PKT0_S9_ifPKiSB_iPKfiiiSD_SD_iiiii.numbered_sgpr, 38
	.set _ZN4vllm25paged_attention_v2_kernelIttLi64ELi32ELi128ELNS_18Fp8KVCacheDataTypeE0ELb0ELi512EEEvPfS2_PT_PKS3_PKT0_S9_ifPKiSB_iPKfiiiSD_SD_iiiii.num_named_barrier, 0
	.set _ZN4vllm25paged_attention_v2_kernelIttLi64ELi32ELi128ELNS_18Fp8KVCacheDataTypeE0ELb0ELi512EEEvPfS2_PT_PKS3_PKT0_S9_ifPKiSB_iPKfiiiSD_SD_iiiii.private_seg_size, 0
	.set _ZN4vllm25paged_attention_v2_kernelIttLi64ELi32ELi128ELNS_18Fp8KVCacheDataTypeE0ELb0ELi512EEEvPfS2_PT_PKS3_PKT0_S9_ifPKiSB_iPKfiiiSD_SD_iiiii.uses_vcc, 1
	.set _ZN4vllm25paged_attention_v2_kernelIttLi64ELi32ELi128ELNS_18Fp8KVCacheDataTypeE0ELb0ELi512EEEvPfS2_PT_PKS3_PKT0_S9_ifPKiSB_iPKfiiiSD_SD_iiiii.uses_flat_scratch, 0
	.set _ZN4vllm25paged_attention_v2_kernelIttLi64ELi32ELi128ELNS_18Fp8KVCacheDataTypeE0ELb0ELi512EEEvPfS2_PT_PKS3_PKT0_S9_ifPKiSB_iPKfiiiSD_SD_iiiii.has_dyn_sized_stack, 0
	.set _ZN4vllm25paged_attention_v2_kernelIttLi64ELi32ELi128ELNS_18Fp8KVCacheDataTypeE0ELb0ELi512EEEvPfS2_PT_PKS3_PKT0_S9_ifPKiSB_iPKfiiiSD_SD_iiiii.has_recursion, 0
	.set _ZN4vllm25paged_attention_v2_kernelIttLi64ELi32ELi128ELNS_18Fp8KVCacheDataTypeE0ELb0ELi512EEEvPfS2_PT_PKS3_PKT0_S9_ifPKiSB_iPKfiiiSD_SD_iiiii.has_indirect_call, 0
	.section	.AMDGPU.csdata,"",@progbits
; Kernel info:
; codeLenInByte = 10920
; TotalNumSgprs: 40
; NumVgprs: 110
; ScratchSize: 0
; MemoryBound: 0
; FloatMode: 240
; IeeeMode: 1
; LDSByteSize: 160 bytes/workgroup (compile time only)
; SGPRBlocks: 0
; VGPRBlocks: 13
; NumSGPRsForWavesPerEU: 40
; NumVGPRsForWavesPerEU: 110
; Occupancy: 9
; WaveLimiterHint : 1
; COMPUTE_PGM_RSRC2:SCRATCH_EN: 0
; COMPUTE_PGM_RSRC2:USER_SGPR: 6
; COMPUTE_PGM_RSRC2:TRAP_HANDLER: 0
; COMPUTE_PGM_RSRC2:TGID_X_EN: 1
; COMPUTE_PGM_RSRC2:TGID_Y_EN: 1
; COMPUTE_PGM_RSRC2:TGID_Z_EN: 1
; COMPUTE_PGM_RSRC2:TIDIG_COMP_CNT: 0
	.section	.text._ZN4vllm25paged_attention_v2_kernelIttLi80ELi32ELi128ELNS_18Fp8KVCacheDataTypeE0ELb0ELi512EEEvPfS2_PT_PKS3_PKT0_S9_ifPKiSB_iPKfiiiSD_SD_iiiii,"axG",@progbits,_ZN4vllm25paged_attention_v2_kernelIttLi80ELi32ELi128ELNS_18Fp8KVCacheDataTypeE0ELb0ELi512EEEvPfS2_PT_PKS3_PKT0_S9_ifPKiSB_iPKfiiiSD_SD_iiiii,comdat
	.protected	_ZN4vllm25paged_attention_v2_kernelIttLi80ELi32ELi128ELNS_18Fp8KVCacheDataTypeE0ELb0ELi512EEEvPfS2_PT_PKS3_PKT0_S9_ifPKiSB_iPKfiiiSD_SD_iiiii ; -- Begin function _ZN4vllm25paged_attention_v2_kernelIttLi80ELi32ELi128ELNS_18Fp8KVCacheDataTypeE0ELb0ELi512EEEvPfS2_PT_PKS3_PKT0_S9_ifPKiSB_iPKfiiiSD_SD_iiiii
	.globl	_ZN4vllm25paged_attention_v2_kernelIttLi80ELi32ELi128ELNS_18Fp8KVCacheDataTypeE0ELb0ELi512EEEvPfS2_PT_PKS3_PKT0_S9_ifPKiSB_iPKfiiiSD_SD_iiiii
	.p2align	8
	.type	_ZN4vllm25paged_attention_v2_kernelIttLi80ELi32ELi128ELNS_18Fp8KVCacheDataTypeE0ELb0ELi512EEEvPfS2_PT_PKS3_PKT0_S9_ifPKiSB_iPKfiiiSD_SD_iiiii,@function
_ZN4vllm25paged_attention_v2_kernelIttLi80ELi32ELi128ELNS_18Fp8KVCacheDataTypeE0ELb0ELi512EEEvPfS2_PT_PKS3_PKT0_S9_ifPKiSB_iPKfiiiSD_SD_iiiii: ; @_ZN4vllm25paged_attention_v2_kernelIttLi80ELi32ELi128ELNS_18Fp8KVCacheDataTypeE0ELb0ELi512EEEvPfS2_PT_PKS3_PKT0_S9_ifPKiSB_iPKfiiiSD_SD_iiiii
; %bb.0:
	s_load_dwordx2 s[0:1], s[4:5], 0x40
	s_mov_b32 s24, s7
	s_ashr_i32 s25, s7, 31
	s_lshl_b64 s[2:3], s[24:25], 2
	s_waitcnt lgkmcnt(0)
	s_add_u32 s0, s0, s2
	s_addc_u32 s1, s1, s3
	s_lshl_b32 s30, s8, 9
	s_load_dword s25, s[0:1], 0x0
	s_waitcnt lgkmcnt(0)
	s_cmp_ge_i32 s30, s25
	s_cbranch_scc1 .LBB119_82
; %bb.1:
	s_clause 0x1
	s_load_dword s9, s[4:5], 0x90
	s_load_dwordx2 s[2:3], s[4:5], 0x30
	s_mov_b32 s31, 0
	s_waitcnt lgkmcnt(0)
	s_abs_i32 s10, s9
	s_abs_i32 s0, s2
	s_xor_b32 s2, s9, s2
	v_cvt_f32_u32_e32 v1, s0
	s_sub_i32 s7, 0, s0
	s_ashr_i32 s2, s2, 31
	v_rcp_iflag_f32_e32 v1, v1
	v_mul_f32_e32 v1, 0x4f7ffffe, v1
	v_cvt_u32_f32_e32 v1, v1
	v_readfirstlane_b32 s1, v1
	s_mul_i32 s7, s7, s1
	s_mul_hi_u32 s7, s1, s7
	s_add_i32 s1, s1, s7
	s_mul_hi_u32 s1, s10, s1
	s_mul_i32 s7, s1, s0
	s_sub_i32 s7, s10, s7
	s_add_i32 s10, s1, 1
	s_sub_i32 s11, s7, s0
	s_cmp_ge_u32 s7, s0
	s_cselect_b32 s1, s10, s1
	s_cselect_b32 s7, s11, s7
	s_add_i32 s10, s1, 1
	s_cmp_ge_u32 s7, s0
	s_cselect_b32 s0, s10, s1
	s_abs_i32 s33, s6
	s_xor_b32 s0, s0, s2
	s_sub_i32 s2, s0, s2
	s_load_dwordx2 s[0:1], s[4:5], 0x50
	s_abs_i32 s28, s2
	v_cvt_f32_u32_e32 v1, s28
	s_sub_i32 s10, 0, s28
	v_rcp_iflag_f32_e32 v1, v1
	v_mul_f32_e32 v1, 0x4f7ffffe, v1
	v_cvt_u32_f32_e32 v1, v1
	v_readfirstlane_b32 s7, v1
	s_mul_i32 s10, s10, s7
	s_mul_hi_u32 s10, s7, s10
	s_add_i32 s7, s7, s10
	s_waitcnt lgkmcnt(0)
	s_cmp_eq_u64 s[0:1], 0
	s_mul_hi_u32 s29, s33, s7
	s_cbranch_scc1 .LBB119_3
; %bb.2:
	s_ashr_i32 s7, s6, 31
	s_lshl_b64 s[10:11], s[6:7], 2
	s_add_u32 s0, s0, s10
	s_addc_u32 s1, s1, s11
	s_load_dword s31, s[0:1], 0x0
.LBB119_3:
	s_clause 0x1
	s_load_dwordx2 s[22:23], s[4:5], 0x38
	s_load_dwordx4 s[12:15], s[4:5], 0x58
	v_lshlrev_b32_e32 v43, 4, v0
	s_ashr_i32 s0, s6, 31
	s_ashr_i32 s1, s2, 31
	s_mul_i32 s10, s6, 0x50
	s_mov_b32 s2, exec_lo
	v_cmpx_gt_u32_e32 10, v0
	s_cbranch_execz .LBB119_5
; %bb.4:
	s_load_dwordx2 s[16:17], s[4:5], 0x18
	s_waitcnt lgkmcnt(0)
	s_mul_i32 s18, s12, s24
	s_ashr_i32 s19, s18, 31
	s_lshl_b64 s[18:19], s[18:19], 1
	s_add_u32 s7, s16, s18
	s_addc_u32 s12, s17, s19
	s_ashr_i32 s11, s10, 31
	s_lshl_b64 s[16:17], s[10:11], 1
	s_add_u32 s16, s7, s16
	s_addc_u32 s17, s12, s17
	global_load_dwordx4 v[1:4], v43, s[16:17]
	s_waitcnt vmcnt(0)
	ds_write_b128 v43, v[1:4]
.LBB119_5:
	s_or_b32 exec_lo, exec_lo, s2
	s_add_i32 s7, s25, 31
	s_clause 0x1
	s_load_dwordx4 s[16:19], s[4:5], 0x0
	s_load_dwordx2 s[20:21], s[4:5], 0x10
	s_ashr_i32 s2, s7, 31
	s_mul_i32 s34, s29, s28
	s_lshr_b32 s11, s2, 27
	s_lshl_b32 s2, s8, 4
	s_add_i32 s7, s7, s11
	s_add_i32 s11, s2, 16
	s_waitcnt lgkmcnt(0)
	s_ashr_i32 s12, s7, 5
	s_clause 0x2
	s_load_dwordx2 s[26:27], s[4:5], 0x28
	s_load_dword s7, s[4:5], 0x98
	s_load_dword s15, s[4:5], 0x48
	s_xor_b32 s0, s0, s1
	s_sub_i32 s1, s33, s34
	s_min_i32 s11, s11, s12
	s_add_i32 s33, s29, 1
	s_sub_i32 s34, s1, s28
	s_cmp_ge_u32 s1, s28
	v_lshrrev_b32_e32 v41, 5, v0
	s_cselect_b32 s29, s33, s29
	s_cselect_b32 s1, s34, s1
	s_add_i32 s33, s29, 1
	s_cmp_ge_u32 s1, s28
	v_add_nc_u32_e32 v37, s2, v41
	v_and_b32_e32 v42, 31, v0
	s_cselect_b32 s1, s33, s29
	v_mov_b32_e32 v45, 0xff7fffff
	s_xor_b32 s1, s1, s0
	v_ashrrev_i32_e32 v38, 31, v37
	s_sub_i32 s1, s1, s0
	v_cmp_gt_i32_e64 s0, s11, v37
	v_lshlrev_b32_e32 v44, 2, v42
	s_waitcnt lgkmcnt(0)
	s_mul_i32 s28, s15, s24
	s_mul_i32 s14, s1, s14
	s_ashr_i32 s29, s28, 31
	s_barrier
	buffer_gl0_inv
	s_and_saveexec_b32 s33, s0
	s_cbranch_execz .LBB119_9
; %bb.6:
	s_load_dwordx2 s[4:5], s[4:5], 0x20
	s_ashr_i32 s15, s14, 31
	v_lshlrev_b32_e32 v3, 4, v42
	s_lshl_b64 s[34:35], s[14:15], 1
	v_lshlrev_b64 v[1:2], 2, v[37:38]
	v_lshlrev_b32_e32 v4, 5, v41
	v_lshl_or_b32 v5, v41, 7, v44
	v_mov_b32_e32 v46, 0
	v_cmp_neq_f32_e64 vcc_lo, s31, 0
	v_mov_b32_e32 v45, 0xff7fffff
	v_add3_u32 v47, s30, v4, v42
	v_add_nc_u32_e32 v48, 0xc0, v5
	v_mov_b32_e32 v51, v37
	s_mov_b32 s15, s13
	s_waitcnt lgkmcnt(0)
	s_add_u32 s1, s4, s34
	s_addc_u32 s5, s5, s35
	s_lshl_b64 s[34:35], s[28:29], 2
	v_add_co_u32 v49, s1, s1, v3
	s_sub_i32 s4, 1, s25
	v_add_co_ci_u32_e64 v50, null, s5, 0, s1
	s_add_u32 s1, s22, s34
	s_addc_u32 s5, s23, s35
	v_add_co_u32 v39, s1, s1, v1
	v_add_co_ci_u32_e64 v40, null, s5, v2, s1
	s_mov_b32 s5, 0
.LBB119_7:                              ; =>This Inner Loop Header: Depth=1
	global_load_dword v1, v[39:40], off
	v_add_nc_u32_e32 v3, s4, v47
	v_add_nc_u32_e32 v51, 4, v51
	v_cvt_f32_i32_e32 v3, v3
	v_mul_f32_e32 v3, s31, v3
	v_cndmask_b32_e32 v52, 0, v3, vcc_lo
	s_waitcnt vmcnt(0)
	v_mad_i64_i32 v[1:2], null, v1, s15, 0
	v_lshlrev_b64 v[1:2], 1, v[1:2]
	v_add_co_u32 v1, s1, v49, v1
	v_add_co_ci_u32_e64 v2, null, v50, v2, s1
	s_clause 0x3
	global_load_dwordx4 v[53:56], v[1:2], off
	global_load_dwordx4 v[33:36], v[1:2], off offset:512
	global_load_dwordx4 v[29:32], v[1:2], off offset:1024
	;; [unrolled: 1-line block ×3, first 2 shown]
	v_add_co_u32 v3, s1, 0x800, v1
	v_add_co_ci_u32_e64 v4, null, 0, v2, s1
	v_add_co_u32 v5, s1, v1, 0x1000
	v_add_co_ci_u32_e64 v6, null, 0, v2, s1
	s_clause 0x3
	global_load_dwordx4 v[21:24], v[5:6], off offset:-2048
	global_load_dwordx4 v[17:20], v[3:4], off offset:512
	global_load_dwordx4 v[13:16], v[3:4], off offset:1024
	;; [unrolled: 1-line block ×3, first 2 shown]
	v_add_co_u32 v1, s1, 0x1000, v1
	v_add_co_ci_u32_e64 v2, null, 0, v2, s1
	s_clause 0x1
	global_load_dwordx4 v[5:8], v[5:6], off
	global_load_dwordx4 v[1:4], v[1:2], off offset:512
	ds_read_b128 v[57:60], v46
	v_cmp_gt_i32_e64 s1, s25, v47
	v_add_nc_u32_e32 v47, 0x80, v47
	s_waitcnt lgkmcnt(0)
	v_lshrrev_b32_e32 v61, 16, v57
	v_and_b32_e32 v57, 0xffff, v57
	;;#ASMSTART
	v_cvt_f32_f16 v57, v57;
	;;#ASMEND
	;;#ASMSTART
	v_cvt_f32_f16 v61, v61;
	;;#ASMEND
	s_waitcnt vmcnt(9)
	v_lshrrev_b32_e32 v63, 16, v53
	v_and_b32_e32 v53, 0xffff, v53
	;;#ASMSTART
	v_cvt_f32_f16 v62, v53;
	;;#ASMEND
	v_lshrrev_b32_e32 v53, 16, v58
	v_and_b32_e32 v58, 0xffff, v58
	;;#ASMSTART
	v_cvt_f32_f16 v63, v63;
	;;#ASMEND
	;;#ASMSTART
	v_cvt_f32_f16 v58, v58;
	;;#ASMEND
	;; [unrolled: 3-line block ×3, first 2 shown]
	v_lshrrev_b32_e32 v53, 16, v54
	v_and_b32_e32 v54, 0xffff, v54
	;;#ASMSTART
	v_cvt_f32_f16 v65, v54;
	;;#ASMEND
	;;#ASMSTART
	v_cvt_f32_f16 v66, v53;
	;;#ASMEND
	v_lshrrev_b32_e32 v53, 16, v59
	v_and_b32_e32 v54, 0xffff, v59
	;;#ASMSTART
	v_cvt_f32_f16 v59, v54;
	;;#ASMEND
	;;#ASMSTART
	v_cvt_f32_f16 v67, v53;
	;;#ASMEND
	;; [unrolled: 8-line block ×5, first 2 shown]
	ds_read_b128 v[53:56], v46 offset:16
	s_waitcnt vmcnt(8)
	v_lshrrev_b32_e32 v74, 16, v33
	v_and_b32_e32 v33, 0xffff, v33
	s_waitcnt lgkmcnt(0)
	v_lshrrev_b32_e32 v73, 16, v53
	v_and_b32_e32 v53, 0xffff, v53
	;;#ASMSTART
	v_cvt_f32_f16 v53, v53;
	;;#ASMEND
	;;#ASMSTART
	v_cvt_f32_f16 v73, v73;
	;;#ASMEND
	;; [unrolled: 3-line block ×4, first 2 shown]
	v_mul_f32_e32 v33, v53, v33
	v_mul_f32_e32 v53, v73, v74
	v_fmac_f32_e32 v33, v57, v62
	v_fmac_f32_e32 v53, v61, v63
	v_lshrrev_b32_e32 v57, 16, v54
	v_and_b32_e32 v54, 0xffff, v54
	v_lshrrev_b32_e32 v61, 16, v34
	v_and_b32_e32 v34, 0xffff, v34
	;;#ASMSTART
	v_cvt_f32_f16 v54, v54;
	;;#ASMEND
	;;#ASMSTART
	v_cvt_f32_f16 v57, v57;
	;;#ASMEND
	;; [unrolled: 3-line block ×3, first 2 shown]
	v_mul_f32_e32 v34, v54, v34
	;;#ASMSTART
	v_cvt_f32_f16 v61, v61;
	;;#ASMEND
	v_mul_f32_e32 v54, v57, v61
	v_lshrrev_b32_e32 v57, 16, v55
	v_and_b32_e32 v55, 0xffff, v55
	v_fmac_f32_e32 v34, v58, v65
	v_lshrrev_b32_e32 v58, 16, v35
	v_and_b32_e32 v35, 0xffff, v35
	;;#ASMSTART
	v_cvt_f32_f16 v55, v55;
	;;#ASMEND
	;;#ASMSTART
	v_cvt_f32_f16 v57, v57;
	;;#ASMEND
	;; [unrolled: 3-line block ×4, first 2 shown]
	v_mul_f32_e32 v35, v55, v35
	v_mul_f32_e32 v55, v57, v58
	v_lshrrev_b32_e32 v57, 16, v56
	v_and_b32_e32 v56, 0xffff, v56
	v_lshrrev_b32_e32 v58, 16, v36
	v_and_b32_e32 v36, 0xffff, v36
	;;#ASMSTART
	v_cvt_f32_f16 v56, v56;
	;;#ASMEND
	;;#ASMSTART
	v_cvt_f32_f16 v57, v57;
	;;#ASMEND
	;; [unrolled: 3-line block ×3, first 2 shown]
	v_mul_f32_e32 v36, v56, v36
	;;#ASMSTART
	v_cvt_f32_f16 v58, v58;
	;;#ASMEND
	v_fmac_f32_e32 v35, v59, v68
	v_mul_f32_e32 v56, v57, v58
	v_fmac_f32_e32 v54, v64, v66
	v_fmac_f32_e32 v36, v60, v71
	ds_read_b128 v[57:60], v46 offset:32
	s_waitcnt vmcnt(7)
	v_lshrrev_b32_e32 v62, 16, v29
	v_and_b32_e32 v29, 0xffff, v29
	v_fmac_f32_e32 v55, v67, v69
	v_fmac_f32_e32 v56, v70, v72
	s_waitcnt lgkmcnt(0)
	v_lshrrev_b32_e32 v61, 16, v57
	v_and_b32_e32 v57, 0xffff, v57
	;;#ASMSTART
	v_cvt_f32_f16 v57, v57;
	;;#ASMEND
	;;#ASMSTART
	v_cvt_f32_f16 v61, v61;
	;;#ASMEND
	;; [unrolled: 3-line block ×3, first 2 shown]
	v_fmac_f32_e32 v33, v57, v29
	v_lshrrev_b32_e32 v57, 16, v58
	v_and_b32_e32 v29, 0xffff, v58
	v_lshrrev_b32_e32 v58, 16, v30
	v_and_b32_e32 v30, 0xffff, v30
	;;#ASMSTART
	v_cvt_f32_f16 v62, v62;
	;;#ASMEND
	;;#ASMSTART
	v_cvt_f32_f16 v29, v29;
	;;#ASMEND
	;; [unrolled: 3-line block ×5, first 2 shown]
	v_fmac_f32_e32 v34, v29, v30
	v_fmac_f32_e32 v54, v57, v58
	v_lshrrev_b32_e32 v30, 16, v59
	v_and_b32_e32 v29, 0xffff, v59
	v_lshrrev_b32_e32 v57, 16, v31
	v_and_b32_e32 v31, 0xffff, v31
	;;#ASMSTART
	v_cvt_f32_f16 v29, v29;
	;;#ASMEND
	;;#ASMSTART
	v_cvt_f32_f16 v30, v30;
	;;#ASMEND
	;; [unrolled: 3-line block ×4, first 2 shown]
	v_fmac_f32_e32 v35, v29, v31
	v_fmac_f32_e32 v55, v30, v57
	v_lshrrev_b32_e32 v30, 16, v60
	v_and_b32_e32 v29, 0xffff, v60
	v_and_b32_e32 v31, 0xffff, v32
	;;#ASMSTART
	v_cvt_f32_f16 v29, v29;
	;;#ASMEND
	;;#ASMSTART
	v_cvt_f32_f16 v30, v30;
	;;#ASMEND
	v_lshrrev_b32_e32 v57, 16, v32
	;;#ASMSTART
	v_cvt_f32_f16 v31, v31;
	;;#ASMEND
	;;#ASMSTART
	v_cvt_f32_f16 v32, v57;
	;;#ASMEND
	v_fmac_f32_e32 v36, v29, v31
	v_fmac_f32_e32 v56, v30, v32
	ds_read_b128 v[29:32], v46 offset:48
	s_waitcnt vmcnt(6)
	v_lshrrev_b32_e32 v58, 16, v25
	v_and_b32_e32 v25, 0xffff, v25
	v_fmac_f32_e32 v53, v61, v62
	s_waitcnt lgkmcnt(0)
	v_lshrrev_b32_e32 v57, 16, v29
	v_and_b32_e32 v29, 0xffff, v29
	;;#ASMSTART
	v_cvt_f32_f16 v29, v29;
	;;#ASMEND
	;;#ASMSTART
	v_cvt_f32_f16 v57, v57;
	;;#ASMEND
	;; [unrolled: 3-line block ×3, first 2 shown]
	v_fmac_f32_e32 v33, v29, v25
	v_lshrrev_b32_e32 v29, 16, v30
	v_and_b32_e32 v25, 0xffff, v30
	v_lshrrev_b32_e32 v30, 16, v26
	v_and_b32_e32 v26, 0xffff, v26
	;;#ASMSTART
	v_cvt_f32_f16 v58, v58;
	;;#ASMEND
	;;#ASMSTART
	v_cvt_f32_f16 v25, v25;
	;;#ASMEND
	;; [unrolled: 3-line block ×5, first 2 shown]
	v_fmac_f32_e32 v34, v25, v26
	v_fmac_f32_e32 v54, v29, v30
	v_lshrrev_b32_e32 v26, 16, v31
	v_and_b32_e32 v25, 0xffff, v31
	v_lshrrev_b32_e32 v29, 16, v27
	v_and_b32_e32 v27, 0xffff, v27
	;;#ASMSTART
	v_cvt_f32_f16 v25, v25;
	;;#ASMEND
	;;#ASMSTART
	v_cvt_f32_f16 v26, v26;
	;;#ASMEND
	;; [unrolled: 3-line block ×4, first 2 shown]
	v_fmac_f32_e32 v35, v25, v27
	v_fmac_f32_e32 v55, v26, v29
	v_lshrrev_b32_e32 v26, 16, v32
	v_and_b32_e32 v25, 0xffff, v32
	v_and_b32_e32 v27, 0xffff, v28
	;;#ASMSTART
	v_cvt_f32_f16 v25, v25;
	;;#ASMEND
	;;#ASMSTART
	v_cvt_f32_f16 v26, v26;
	;;#ASMEND
	v_lshrrev_b32_e32 v29, 16, v28
	;;#ASMSTART
	v_cvt_f32_f16 v27, v27;
	;;#ASMEND
	;;#ASMSTART
	v_cvt_f32_f16 v28, v29;
	;;#ASMEND
	v_fmac_f32_e32 v36, v25, v27
	v_fmac_f32_e32 v56, v26, v28
	ds_read_b128 v[25:28], v46 offset:64
	s_waitcnt vmcnt(5)
	v_lshrrev_b32_e32 v30, 16, v21
	v_and_b32_e32 v21, 0xffff, v21
	v_fmac_f32_e32 v53, v57, v58
	s_waitcnt lgkmcnt(0)
	v_lshrrev_b32_e32 v29, 16, v25
	v_and_b32_e32 v25, 0xffff, v25
	;;#ASMSTART
	v_cvt_f32_f16 v25, v25;
	;;#ASMEND
	;;#ASMSTART
	v_cvt_f32_f16 v29, v29;
	;;#ASMEND
	;; [unrolled: 3-line block ×3, first 2 shown]
	v_fmac_f32_e32 v33, v25, v21
	v_lshrrev_b32_e32 v25, 16, v26
	v_and_b32_e32 v21, 0xffff, v26
	v_lshrrev_b32_e32 v26, 16, v22
	v_and_b32_e32 v22, 0xffff, v22
	;;#ASMSTART
	v_cvt_f32_f16 v30, v30;
	;;#ASMEND
	;;#ASMSTART
	v_cvt_f32_f16 v21, v21;
	;;#ASMEND
	;; [unrolled: 3-line block ×5, first 2 shown]
	v_fmac_f32_e32 v34, v21, v22
	v_fmac_f32_e32 v54, v25, v26
	v_lshrrev_b32_e32 v22, 16, v27
	v_and_b32_e32 v21, 0xffff, v27
	v_lshrrev_b32_e32 v25, 16, v23
	v_and_b32_e32 v23, 0xffff, v23
	;;#ASMSTART
	v_cvt_f32_f16 v21, v21;
	;;#ASMEND
	;;#ASMSTART
	v_cvt_f32_f16 v22, v22;
	;;#ASMEND
	;; [unrolled: 3-line block ×4, first 2 shown]
	v_fmac_f32_e32 v35, v21, v23
	v_fmac_f32_e32 v55, v22, v25
	v_lshrrev_b32_e32 v22, 16, v28
	v_and_b32_e32 v21, 0xffff, v28
	v_and_b32_e32 v23, 0xffff, v24
	;;#ASMSTART
	v_cvt_f32_f16 v21, v21;
	;;#ASMEND
	;;#ASMSTART
	v_cvt_f32_f16 v22, v22;
	;;#ASMEND
	v_lshrrev_b32_e32 v25, 16, v24
	;;#ASMSTART
	v_cvt_f32_f16 v23, v23;
	;;#ASMEND
	;;#ASMSTART
	v_cvt_f32_f16 v24, v25;
	;;#ASMEND
	v_fmac_f32_e32 v36, v21, v23
	v_fmac_f32_e32 v56, v22, v24
	ds_read_b128 v[21:24], v46 offset:80
	s_waitcnt vmcnt(4)
	v_lshrrev_b32_e32 v26, 16, v17
	v_and_b32_e32 v17, 0xffff, v17
	v_fmac_f32_e32 v53, v29, v30
	s_waitcnt lgkmcnt(0)
	v_lshrrev_b32_e32 v25, 16, v21
	v_and_b32_e32 v21, 0xffff, v21
	;;#ASMSTART
	v_cvt_f32_f16 v21, v21;
	;;#ASMEND
	;;#ASMSTART
	v_cvt_f32_f16 v25, v25;
	;;#ASMEND
	;; [unrolled: 3-line block ×3, first 2 shown]
	v_fmac_f32_e32 v33, v21, v17
	v_lshrrev_b32_e32 v21, 16, v22
	v_and_b32_e32 v17, 0xffff, v22
	v_lshrrev_b32_e32 v22, 16, v18
	v_and_b32_e32 v18, 0xffff, v18
	;;#ASMSTART
	v_cvt_f32_f16 v26, v26;
	;;#ASMEND
	;;#ASMSTART
	v_cvt_f32_f16 v17, v17;
	;;#ASMEND
	;; [unrolled: 3-line block ×5, first 2 shown]
	v_fmac_f32_e32 v34, v17, v18
	v_fmac_f32_e32 v54, v21, v22
	v_lshrrev_b32_e32 v18, 16, v23
	v_and_b32_e32 v17, 0xffff, v23
	v_lshrrev_b32_e32 v21, 16, v19
	v_and_b32_e32 v19, 0xffff, v19
	;;#ASMSTART
	v_cvt_f32_f16 v17, v17;
	;;#ASMEND
	;;#ASMSTART
	v_cvt_f32_f16 v18, v18;
	;;#ASMEND
	;; [unrolled: 3-line block ×4, first 2 shown]
	v_fmac_f32_e32 v35, v17, v19
	v_fmac_f32_e32 v55, v18, v21
	v_lshrrev_b32_e32 v18, 16, v24
	v_and_b32_e32 v17, 0xffff, v24
	v_and_b32_e32 v19, 0xffff, v20
	;;#ASMSTART
	v_cvt_f32_f16 v17, v17;
	;;#ASMEND
	;;#ASMSTART
	v_cvt_f32_f16 v18, v18;
	;;#ASMEND
	v_lshrrev_b32_e32 v21, 16, v20
	;;#ASMSTART
	v_cvt_f32_f16 v19, v19;
	;;#ASMEND
	;;#ASMSTART
	v_cvt_f32_f16 v20, v21;
	;;#ASMEND
	v_fmac_f32_e32 v36, v17, v19
	v_fmac_f32_e32 v56, v18, v20
	ds_read_b128 v[17:20], v46 offset:96
	s_waitcnt vmcnt(3)
	v_lshrrev_b32_e32 v22, 16, v13
	v_and_b32_e32 v13, 0xffff, v13
	v_fmac_f32_e32 v53, v25, v26
	s_waitcnt lgkmcnt(0)
	v_lshrrev_b32_e32 v21, 16, v17
	v_and_b32_e32 v17, 0xffff, v17
	;;#ASMSTART
	v_cvt_f32_f16 v17, v17;
	;;#ASMEND
	;;#ASMSTART
	v_cvt_f32_f16 v21, v21;
	;;#ASMEND
	;; [unrolled: 3-line block ×3, first 2 shown]
	v_fmac_f32_e32 v33, v17, v13
	v_lshrrev_b32_e32 v17, 16, v18
	v_and_b32_e32 v13, 0xffff, v18
	v_lshrrev_b32_e32 v18, 16, v14
	v_and_b32_e32 v14, 0xffff, v14
	;;#ASMSTART
	v_cvt_f32_f16 v22, v22;
	;;#ASMEND
	;;#ASMSTART
	v_cvt_f32_f16 v13, v13;
	;;#ASMEND
	;; [unrolled: 3-line block ×5, first 2 shown]
	v_fmac_f32_e32 v34, v13, v14
	v_fmac_f32_e32 v54, v17, v18
	v_lshrrev_b32_e32 v14, 16, v19
	v_and_b32_e32 v13, 0xffff, v19
	v_lshrrev_b32_e32 v17, 16, v15
	v_and_b32_e32 v15, 0xffff, v15
	;;#ASMSTART
	v_cvt_f32_f16 v13, v13;
	;;#ASMEND
	;;#ASMSTART
	v_cvt_f32_f16 v14, v14;
	;;#ASMEND
	;; [unrolled: 3-line block ×4, first 2 shown]
	v_fmac_f32_e32 v35, v13, v15
	v_fmac_f32_e32 v55, v14, v17
	v_lshrrev_b32_e32 v14, 16, v20
	v_and_b32_e32 v13, 0xffff, v20
	v_and_b32_e32 v15, 0xffff, v16
	;;#ASMSTART
	v_cvt_f32_f16 v13, v13;
	;;#ASMEND
	;;#ASMSTART
	v_cvt_f32_f16 v14, v14;
	;;#ASMEND
	v_lshrrev_b32_e32 v17, 16, v16
	;;#ASMSTART
	v_cvt_f32_f16 v15, v15;
	;;#ASMEND
	;;#ASMSTART
	v_cvt_f32_f16 v16, v17;
	;;#ASMEND
	v_fmac_f32_e32 v36, v13, v15
	v_fmac_f32_e32 v56, v14, v16
	ds_read_b128 v[13:16], v46 offset:112
	s_waitcnt vmcnt(2)
	v_lshrrev_b32_e32 v18, 16, v9
	v_and_b32_e32 v9, 0xffff, v9
	v_fmac_f32_e32 v53, v21, v22
	s_waitcnt lgkmcnt(0)
	v_lshrrev_b32_e32 v17, 16, v13
	v_and_b32_e32 v13, 0xffff, v13
	;;#ASMSTART
	v_cvt_f32_f16 v13, v13;
	;;#ASMEND
	;;#ASMSTART
	v_cvt_f32_f16 v17, v17;
	;;#ASMEND
	;;#ASMSTART
	v_cvt_f32_f16 v9, v9;
	;;#ASMEND
	v_fmac_f32_e32 v33, v13, v9
	v_lshrrev_b32_e32 v13, 16, v14
	v_and_b32_e32 v9, 0xffff, v14
	v_lshrrev_b32_e32 v14, 16, v10
	v_and_b32_e32 v10, 0xffff, v10
	;;#ASMSTART
	v_cvt_f32_f16 v18, v18;
	;;#ASMEND
	;;#ASMSTART
	v_cvt_f32_f16 v9, v9;
	;;#ASMEND
	;; [unrolled: 3-line block ×5, first 2 shown]
	v_fmac_f32_e32 v34, v9, v10
	v_fmac_f32_e32 v54, v13, v14
	v_lshrrev_b32_e32 v10, 16, v15
	v_and_b32_e32 v9, 0xffff, v15
	v_lshrrev_b32_e32 v13, 16, v11
	v_and_b32_e32 v11, 0xffff, v11
	;;#ASMSTART
	v_cvt_f32_f16 v9, v9;
	;;#ASMEND
	;;#ASMSTART
	v_cvt_f32_f16 v10, v10;
	;;#ASMEND
	;; [unrolled: 3-line block ×4, first 2 shown]
	v_fmac_f32_e32 v35, v9, v11
	v_fmac_f32_e32 v55, v10, v13
	v_lshrrev_b32_e32 v10, 16, v16
	v_and_b32_e32 v9, 0xffff, v16
	v_and_b32_e32 v11, 0xffff, v12
	;;#ASMSTART
	v_cvt_f32_f16 v9, v9;
	;;#ASMEND
	;;#ASMSTART
	v_cvt_f32_f16 v10, v10;
	;;#ASMEND
	v_lshrrev_b32_e32 v13, 16, v12
	;;#ASMSTART
	v_cvt_f32_f16 v11, v11;
	;;#ASMEND
	;;#ASMSTART
	v_cvt_f32_f16 v12, v13;
	;;#ASMEND
	v_fmac_f32_e32 v36, v9, v11
	v_fmac_f32_e32 v56, v10, v12
	ds_read_b128 v[9:12], v46 offset:128
	s_waitcnt vmcnt(1)
	v_lshrrev_b32_e32 v14, 16, v5
	v_and_b32_e32 v5, 0xffff, v5
	v_fmac_f32_e32 v53, v17, v18
	s_waitcnt lgkmcnt(0)
	v_lshrrev_b32_e32 v13, 16, v9
	v_and_b32_e32 v9, 0xffff, v9
	;;#ASMSTART
	v_cvt_f32_f16 v9, v9;
	;;#ASMEND
	;;#ASMSTART
	v_cvt_f32_f16 v13, v13;
	;;#ASMEND
	;;#ASMSTART
	v_cvt_f32_f16 v5, v5;
	;;#ASMEND
	v_fmac_f32_e32 v33, v9, v5
	v_lshrrev_b32_e32 v9, 16, v10
	v_and_b32_e32 v5, 0xffff, v10
	v_lshrrev_b32_e32 v10, 16, v6
	v_and_b32_e32 v6, 0xffff, v6
	;;#ASMSTART
	v_cvt_f32_f16 v14, v14;
	;;#ASMEND
	;;#ASMSTART
	v_cvt_f32_f16 v5, v5;
	;;#ASMEND
	;; [unrolled: 3-line block ×5, first 2 shown]
	v_fmac_f32_e32 v34, v5, v6
	v_fmac_f32_e32 v54, v9, v10
	v_lshrrev_b32_e32 v6, 16, v11
	v_and_b32_e32 v5, 0xffff, v11
	v_lshrrev_b32_e32 v9, 16, v7
	v_and_b32_e32 v7, 0xffff, v7
	;;#ASMSTART
	v_cvt_f32_f16 v5, v5;
	;;#ASMEND
	;;#ASMSTART
	v_cvt_f32_f16 v6, v6;
	;;#ASMEND
	;; [unrolled: 3-line block ×4, first 2 shown]
	v_fmac_f32_e32 v35, v5, v7
	v_fmac_f32_e32 v55, v6, v9
	v_lshrrev_b32_e32 v6, 16, v12
	v_and_b32_e32 v5, 0xffff, v12
	v_and_b32_e32 v7, 0xffff, v8
	;;#ASMSTART
	v_cvt_f32_f16 v5, v5;
	;;#ASMEND
	;;#ASMSTART
	v_cvt_f32_f16 v6, v6;
	;;#ASMEND
	v_lshrrev_b32_e32 v9, 16, v8
	;;#ASMSTART
	v_cvt_f32_f16 v7, v7;
	;;#ASMEND
	;;#ASMSTART
	v_cvt_f32_f16 v8, v9;
	;;#ASMEND
	v_fmac_f32_e32 v36, v5, v7
	v_fmac_f32_e32 v56, v6, v8
	ds_read_b128 v[5:8], v46 offset:144
	v_fmac_f32_e32 v53, v13, v14
	s_waitcnt vmcnt(0)
	v_lshrrev_b32_e32 v10, 16, v1
	v_and_b32_e32 v1, 0xffff, v1
	s_waitcnt lgkmcnt(0)
	v_lshrrev_b32_e32 v9, 16, v5
	v_and_b32_e32 v5, 0xffff, v5
	;;#ASMSTART
	v_cvt_f32_f16 v5, v5;
	;;#ASMEND
	;;#ASMSTART
	v_cvt_f32_f16 v9, v9;
	;;#ASMEND
	;; [unrolled: 3-line block ×3, first 2 shown]
	v_fmac_f32_e32 v33, v5, v1
	v_and_b32_e32 v1, 0xffff, v6
	;;#ASMSTART
	v_cvt_f32_f16 v10, v10;
	;;#ASMEND
	v_fmac_f32_e32 v53, v9, v10
	v_lshrrev_b32_e32 v5, 16, v6
	;;#ASMSTART
	v_cvt_f32_f16 v1, v1;
	;;#ASMEND
	v_lshrrev_b32_e32 v6, 16, v2
	v_and_b32_e32 v2, 0xffff, v2
	;;#ASMSTART
	v_cvt_f32_f16 v5, v5;
	;;#ASMEND
	;;#ASMSTART
	v_cvt_f32_f16 v2, v2;
	;;#ASMEND
	v_fmac_f32_e32 v34, v1, v2
	v_and_b32_e32 v1, 0xffff, v7
	;;#ASMSTART
	v_cvt_f32_f16 v6, v6;
	;;#ASMEND
	v_fmac_f32_e32 v54, v5, v6
	v_lshrrev_b32_e32 v2, 16, v7
	;;#ASMSTART
	v_cvt_f32_f16 v1, v1;
	;;#ASMEND
	v_lshrrev_b32_e32 v5, 16, v3
	v_and_b32_e32 v3, 0xffff, v3
	;;#ASMSTART
	v_cvt_f32_f16 v2, v2;
	;;#ASMEND
	;;#ASMSTART
	v_cvt_f32_f16 v3, v3;
	;;#ASMEND
	v_fmac_f32_e32 v35, v1, v3
	v_and_b32_e32 v1, 0xffff, v8
	;;#ASMSTART
	v_cvt_f32_f16 v5, v5;
	;;#ASMEND
	v_fmac_f32_e32 v55, v2, v5
	v_lshrrev_b32_e32 v2, 16, v8
	;;#ASMSTART
	v_cvt_f32_f16 v1, v1;
	;;#ASMEND
	v_and_b32_e32 v3, 0xffff, v4
	;;#ASMSTART
	v_cvt_f32_f16 v2, v2;
	;;#ASMEND
	;;#ASMSTART
	v_cvt_f32_f16 v3, v3;
	;;#ASMEND
	v_fmac_f32_e32 v36, v1, v3
	v_add_f32_e32 v1, v33, v53
	v_lshrrev_b32_e32 v5, 16, v4
	;;#ASMSTART
	v_cvt_f32_f16 v4, v5;
	;;#ASMEND
	v_fmac_f32_e32 v56, v2, v4
	v_add_f32_e32 v1, v1, v34
	v_add_f32_e32 v1, v54, v1
	;; [unrolled: 1-line block ×6, first 2 shown]
	v_fmac_f32_e32 v52, s3, v1
	v_cndmask_b32_e64 v1, 0, v52, s1
	ds_write_b32 v48, v1
	v_max_f32_e32 v1, v45, v45
	v_add_nc_u32_e32 v48, 0x200, v48
	v_max_f32_e32 v1, v1, v52
	v_cndmask_b32_e64 v45, v45, v1, s1
	v_add_co_u32 v39, s1, v39, 16
	v_add_co_ci_u32_e64 v40, null, 0, v40, s1
	v_cmp_le_i32_e64 s1, s11, v51
	s_or_b32 s5, s1, s5
	s_andn2_b32 exec_lo, exec_lo, s5
	s_cbranch_execnz .LBB119_7
; %bb.8:
	s_or_b32 exec_lo, exec_lo, s5
.LBB119_9:
	s_or_b32 exec_lo, exec_lo, s33
	v_mbcnt_lo_u32_b32 v1, -1, 0
	v_max_f32_e32 v5, v45, v45
	v_xor_b32_e32 v2, 16, v1
	v_xor_b32_e32 v4, 8, v1
	v_cmp_gt_i32_e32 vcc_lo, 32, v2
	v_cndmask_b32_e32 v2, v1, v2, vcc_lo
	v_cmp_gt_i32_e32 vcc_lo, 32, v4
	v_lshlrev_b32_e32 v2, 2, v2
	v_cndmask_b32_e32 v4, v1, v4, vcc_lo
	ds_bpermute_b32 v3, v2, v45
	s_waitcnt lgkmcnt(0)
	v_max_f32_e32 v6, v3, v3
	v_lshlrev_b32_e32 v3, 2, v4
	v_max_f32_e32 v4, v5, v6
	v_xor_b32_e32 v6, 4, v1
	ds_bpermute_b32 v5, v3, v4
	v_cmp_gt_i32_e32 vcc_lo, 32, v6
	v_cndmask_b32_e32 v6, v1, v6, vcc_lo
	s_waitcnt lgkmcnt(0)
	v_max_f32_e32 v7, v5, v5
	v_lshlrev_b32_e32 v5, 2, v6
	v_max_f32_e32 v4, v4, v7
	v_xor_b32_e32 v7, 2, v1
	ds_bpermute_b32 v6, v5, v4
	v_cmp_gt_i32_e32 vcc_lo, 32, v7
	v_cndmask_b32_e32 v7, v1, v7, vcc_lo
	v_lshlrev_b32_e32 v12, 2, v7
	v_xor_b32_e32 v7, 1, v1
	v_cmp_gt_i32_e32 vcc_lo, 32, v7
	s_waitcnt lgkmcnt(0)
	v_max_f32_e32 v6, v6, v6
	v_cndmask_b32_e32 v7, v1, v7, vcc_lo
	v_cmp_eq_u32_e32 vcc_lo, 0, v42
	v_max_f32_e32 v4, v4, v6
	v_lshlrev_b32_e32 v11, 2, v7
	ds_bpermute_b32 v6, v12, v4
	s_waitcnt lgkmcnt(0)
	v_max_f32_e32 v6, v6, v6
	v_max_f32_e32 v1, v4, v6
	v_lshlrev_b32_e32 v6, 2, v41
	ds_bpermute_b32 v4, v11, v1
	s_and_saveexec_b32 s1, vcc_lo
	s_cbranch_execz .LBB119_11
; %bb.10:
	s_waitcnt lgkmcnt(0)
	v_max_f32_e32 v4, v4, v4
	v_max_f32_e32 v1, v1, v1
	;; [unrolled: 1-line block ×3, first 2 shown]
	ds_write_b32 v6, v1 offset:160
.LBB119_11:
	s_or_b32 exec_lo, exec_lo, s1
	v_cmp_gt_u32_e64 s1, 4, v42
	v_mov_b32_e32 v1, 0xff7fffff
	s_waitcnt lgkmcnt(0)
	s_barrier
	buffer_gl0_inv
	s_and_saveexec_b32 s3, s1
; %bb.12:
	ds_read_b32 v1, v44 offset:160
; %bb.13:
	s_or_b32 exec_lo, exec_lo, s3
	s_waitcnt lgkmcnt(0)
	ds_bpermute_b32 v4, v12, v1
	v_max_f32_e32 v1, v1, v1
	v_mov_b32_e32 v7, 0
	s_sub_i32 s2, s11, s2
	s_lshl_b32 s2, s2, 5
	s_add_i32 s2, s2, s30
	s_min_i32 s2, s2, s25
	s_sub_i32 s4, s2, s30
	v_cmp_gt_i32_e64 s2, s4, v0
	s_waitcnt lgkmcnt(0)
	v_max_f32_e32 v4, v4, v4
	v_max_f32_e32 v1, v1, v4
	ds_bpermute_b32 v4, v11, v1
	s_waitcnt lgkmcnt(0)
	v_max_f32_e32 v4, v4, v4
	v_max_f32_e32 v1, v1, v4
	v_lshl_add_u32 v4, v0, 2, 0xc0
	ds_bpermute_b32 v1, v7, v1
	s_and_saveexec_b32 s5, s2
	s_cbranch_execz .LBB119_17
; %bb.14:
	v_lshl_add_u32 v8, v0, 2, 0xc0
	v_mov_b32_e32 v7, 0
	v_mov_b32_e32 v9, v0
	s_mov_b32 s15, 0
	.p2align	6
.LBB119_15:                             ; =>This Inner Loop Header: Depth=1
	ds_read_b32 v10, v8
	v_add_nc_u32_e32 v9, 0x80, v9
	v_cmp_le_i32_e64 s3, s4, v9
	s_or_b32 s15, s3, s15
	s_waitcnt lgkmcnt(0)
	v_sub_f32_e32 v10, v10, v1
	v_mul_f32_e32 v10, 0x3fb8aa3b, v10
	v_exp_f32_e32 v10, v10
	ds_write_b32 v8, v10
	v_add_f32_e32 v7, v7, v10
	v_add_nc_u32_e32 v8, 0x200, v8
	s_andn2_b32 exec_lo, exec_lo, s15
	s_cbranch_execnz .LBB119_15
; %bb.16:
	s_or_b32 exec_lo, exec_lo, s15
.LBB119_17:
	s_or_b32 exec_lo, exec_lo, s5
	ds_bpermute_b32 v2, v2, v7
	s_waitcnt lgkmcnt(0)
	v_add_f32_e32 v2, v7, v2
	ds_bpermute_b32 v3, v3, v2
	s_waitcnt lgkmcnt(0)
	v_add_f32_e32 v2, v2, v3
	;; [unrolled: 3-line block ×5, first 2 shown]
	s_and_saveexec_b32 s3, vcc_lo
; %bb.18:
	ds_write_b32 v6, v2 offset:176
; %bb.19:
	s_or_b32 exec_lo, exec_lo, s3
	s_waitcnt lgkmcnt(0)
	s_barrier
	buffer_gl0_inv
	s_and_saveexec_b32 s3, s1
; %bb.20:
	ds_read_b32 v2, v44 offset:176
; %bb.21:
	s_or_b32 exec_lo, exec_lo, s3
	s_waitcnt lgkmcnt(0)
	ds_bpermute_b32 v3, v12, v2
	s_waitcnt lgkmcnt(0)
	v_add_f32_e32 v2, v2, v3
	ds_bpermute_b32 v3, v11, v2
	s_waitcnt lgkmcnt(0)
	v_add_f32_e32 v2, v2, v3
	v_mov_b32_e32 v3, 0
	ds_bpermute_b32 v2, v3, v2
	s_and_saveexec_b32 s1, s2
	s_cbranch_execz .LBB119_24
; %bb.22:
	s_waitcnt lgkmcnt(0)
	v_add_f32_e32 v3, 0x358637bd, v2
	s_mov_b32 s2, 0
	v_div_scale_f32 v5, null, v3, v3, 1.0
	v_div_scale_f32 v8, vcc_lo, 1.0, v3, 1.0
	v_rcp_f32_e32 v6, v5
	v_fma_f32 v7, -v5, v6, 1.0
	v_fmac_f32_e32 v6, v7, v6
	v_mul_f32_e32 v7, v8, v6
	v_fma_f32 v9, -v5, v7, v8
	v_fmac_f32_e32 v7, v9, v6
	v_fma_f32 v5, -v5, v7, v8
	v_div_fmas_f32 v5, v5, v6, v7
	v_div_fixup_f32 v3, v5, v3, 1.0
	v_mov_b32_e32 v5, v0
.LBB119_23:                             ; =>This Inner Loop Header: Depth=1
	ds_read_b32 v6, v4
	v_add_nc_u32_e32 v5, 0x80, v5
	v_cmp_le_i32_e32 vcc_lo, s4, v5
	s_or_b32 s2, vcc_lo, s2
	s_waitcnt lgkmcnt(0)
	v_mul_f32_e32 v6, v3, v6
	ds_write_b32 v4, v6
	v_add_nc_u32_e32 v4, 0x200, v4
	s_andn2_b32 exec_lo, exec_lo, s2
	s_cbranch_execnz .LBB119_23
.LBB119_24:
	s_or_b32 exec_lo, exec_lo, s1
	s_mul_i32 s1, s7, s24
	s_waitcnt lgkmcnt(0)
	s_mul_i32 s2, s1, s9
	s_mov_b32 s1, exec_lo
	s_barrier
	buffer_gl0_inv
	v_cmpx_eq_u32_e32 0, v0
	s_cbranch_execz .LBB119_26
; %bb.25:
	s_ashr_i32 s3, s2, 31
	s_mul_i32 s34, s7, s6
	s_lshl_b64 s[4:5], s[2:3], 2
	v_mov_b32_e32 v3, 0
	s_add_u32 s3, s18, s4
	s_addc_u32 s6, s19, s5
	s_ashr_i32 s35, s34, 31
	s_lshl_b64 s[18:19], s[34:35], 2
	s_add_u32 s3, s3, s18
	s_addc_u32 s6, s6, s19
	s_ashr_i32 s9, s8, 31
	s_lshl_b64 s[34:35], s[8:9], 2
	s_add_u32 s36, s3, s34
	s_addc_u32 s37, s6, s35
	s_add_u32 s3, s16, s4
	s_addc_u32 s4, s17, s5
	;; [unrolled: 2-line block ×4, first 2 shown]
	global_store_dword v3, v1, s[36:37]
	global_store_dword v3, v2, s[4:5]
.LBB119_26:
	s_or_b32 exec_lo, exec_lo, s1
	v_mov_b32_e32 v21, 0
	v_and_b32_e32 v13, 3, v0
	v_mov_b32_e32 v23, 0
	v_mov_b32_e32 v22, 0
	;; [unrolled: 1-line block ×9, first 2 shown]
	s_and_saveexec_b32 s3, s0
	s_cbranch_execz .LBB119_50
; %bb.27:
	v_lshlrev_b32_e32 v1, 3, v0
	s_ashr_i32 s15, s14, 31
	v_lshlrev_b32_e32 v2, 5, v13
	v_and_b32_e32 v3, 0x1f0, v43
	v_lshl_add_u32 v4, v41, 5, s30
	v_and_b32_e32 v1, 24, v1
	s_lshl_b64 s[0:1], s[14:15], 1
	v_lshl_or_b32 v5, v41, 7, v2
	s_add_u32 s0, s26, s0
	s_addc_u32 s1, s27, s1
	v_add_co_u32 v25, s0, s0, v3
	v_add3_u32 v27, v4, v1, 7
	v_lshlrev_b64 v[1:2], 2, v[37:38]
	v_add_co_ci_u32_e64 v26, null, s1, 0, s0
	s_lshl_b64 s[0:1], s[28:29], 2
	s_add_i32 s12, s12, -1
	s_add_u32 s0, s22, s0
	v_add_nc_u32_e32 v28, 0xc0, v5
	s_addc_u32 s1, s23, s1
	v_add_co_u32 v5, vcc_lo, s0, v1
	v_mov_b32_e32 v24, 0
	v_add_co_ci_u32_e64 v6, null, s1, v2, vcc_lo
	v_mov_b32_e32 v14, 0
	v_mov_b32_e32 v15, 0
	;; [unrolled: 1-line block ×10, first 2 shown]
	s_mov_b32 s5, s13
	s_mov_b32 s4, 0
	s_branch .LBB119_29
.LBB119_28:                             ;   in Loop: Header=BB119_29 Depth=1
	s_or_b32 exec_lo, exec_lo, s1
	v_add_f32_e32 v9, v9, v10
	v_lshlrev_b32_e32 v8, 16, v8
	v_lshlrev_b32_e32 v7, 16, v7
	v_add_f32_e32 v29, v58, v59
	v_add_f32_e32 v10, v55, v56
	;; [unrolled: 1-line block ×3, first 2 shown]
	v_lshlrev_b32_e32 v9, 16, v57
	v_and_or_b32 v2, 0xffff, v2, v8
	v_and_or_b32 v3, 0xffff, v3, v7
	v_add_nc_u32_e32 v37, 4, v37
	v_add_f32_e32 v30, v53, v54
	v_and_or_b32 v1, 0xffff, v1, v9
	;;#ASMSTART
	v_pk_mul_f16 v1, v36, v1;

	;;#ASMEND
	;;#ASMSTART
	v_pk_mul_f16 v2, v34, v2;

	;;#ASMEND
	;; [unrolled: 4-line block ×4, first 2 shown]
	;;#ASMSTART
	v_pk_add_f16 v1, v1, v2;

	;;#ASMEND
	;;#ASMSTART
	v_pk_add_f16 v1, v1, v3;

	;;#ASMEND
	;; [unrolled: 4-line block ×3, first 2 shown]
	v_and_b32_e32 v4, 0xffff, v1
	v_lshrrev_b32_e32 v7, 16, v1
	;;#ASMSTART
	v_cvt_f32_f16 v4, v4;
	;;#ASMEND
	v_add_f32_e32 v15, v15, v29
	v_add_f32_e32 v17, v17, v10
	;; [unrolled: 1-line block ×7, first 2 shown]
	;;#ASMSTART
	v_cvt_f32_f16 v7, v7;
	;;#ASMEND
	v_add_f32_e32 v4, v4, v7
	v_cmp_le_i32_e32 vcc_lo, s11, v37
	v_add_co_u32 v5, s0, v5, 16
	v_add_f32_e32 v18, v18, v30
	v_add_f32_e32 v19, v19, v10
	;; [unrolled: 1-line block ×7, first 2 shown]
	v_add_nc_u32_e32 v27, 0x80, v27
	v_add_nc_u32_e32 v28, 0x200, v28
	v_add_co_ci_u32_e64 v6, null, 0, v6, s0
	s_or_b32 s4, vcc_lo, s4
	s_andn2_b32 exec_lo, exec_lo, s4
	s_cbranch_execz .LBB119_49
.LBB119_29:                             ; =>This Inner Loop Header: Depth=1
	global_load_dword v7, v[5:6], off
	ds_read2_b64 v[1:4], v28 offset1:1
	ds_read2_b64 v[29:32], v28 offset0:2 offset1:3
	v_add_nc_u32_e32 v33, -7, v27
	v_cmp_eq_u32_e64 s0, s12, v37
	v_add_nc_u32_e32 v38, -6, v27
	v_add_nc_u32_e32 v35, -1, v27
	s_waitcnt lgkmcnt(1)
	;;#ASMSTART
	v_cvt_f16_f32 v36, v1;

	;;#ASMEND
	;;#ASMSTART
	v_cvt_f16_f32 v34, v2;

	;;#ASMEND
	;; [unrolled: 4-line block ×4, first 2 shown]
	s_waitcnt lgkmcnt(0)
	;;#ASMSTART
	v_cvt_f16_f32 v44, v29;

	;;#ASMEND
	;;#ASMSTART
	v_cvt_f16_f32 v10, v30;

	;;#ASMEND
	;; [unrolled: 4-line block ×4, first 2 shown]
	v_add_nc_u32_e32 v32, -5, v27
	v_add_nc_u32_e32 v31, -4, v27
	;; [unrolled: 1-line block ×4, first 2 shown]
	s_waitcnt vmcnt(0)
	v_mad_i64_i32 v[7:8], null, v7, s5, 0
	v_lshlrev_b64 v[7:8], 1, v[7:8]
	v_add_co_u32 v7, vcc_lo, v25, v7
	v_add_co_ci_u32_e64 v8, null, v26, v8, vcc_lo
	global_load_dwordx4 v[1:4], v[7:8], off
	s_waitcnt vmcnt(0)
	v_lshrrev_b32_e32 v47, 16, v1
	v_lshrrev_b32_e32 v46, 16, v2
	;; [unrolled: 1-line block ×3, first 2 shown]
	s_and_saveexec_b32 s6, s0
	s_cbranch_execz .LBB119_31
; %bb.30:                               ;   in Loop: Header=BB119_29 Depth=1
	v_cmp_gt_i32_e32 vcc_lo, s25, v33
	v_and_b32_e32 v48, 0xffff0000, v4
	v_cmp_gt_i32_e64 s1, s25, v32
	v_cndmask_b32_e32 v1, 0, v1, vcc_lo
	v_cmp_gt_i32_e32 vcc_lo, s25, v38
	v_cndmask_b32_e64 v2, 0, v2, s1
	v_cmp_gt_i32_e64 s1, s25, v31
	v_cndmask_b32_e32 v47, 0, v47, vcc_lo
	v_cmp_gt_i32_e32 vcc_lo, s25, v35
	v_cndmask_b32_e64 v46, 0, v46, s1
	v_cndmask_b32_sdwa v4, v24, v4, vcc_lo dst_sel:DWORD dst_unused:UNUSED_PAD src0_sel:DWORD src1_sel:WORD_0
	v_cmp_gt_i32_e32 vcc_lo, s25, v27
	v_cndmask_b32_e32 v48, 0, v48, vcc_lo
	v_cmp_gt_i32_e32 vcc_lo, s25, v30
	v_or_b32_e32 v4, v4, v48
	v_cndmask_b32_e32 v3, 0, v3, vcc_lo
	v_cmp_gt_i32_e32 vcc_lo, s25, v29
	v_cndmask_b32_e32 v45, 0, v45, vcc_lo
.LBB119_31:                             ;   in Loop: Header=BB119_29 Depth=1
	s_or_b32 exec_lo, exec_lo, s6
	v_and_b32_e32 v36, 0xffff, v36
	v_and_b32_e32 v43, 0xffff, v43
	v_lshlrev_b32_e32 v47, 16, v47
	v_lshlrev_b32_e32 v45, 16, v45
	v_and_b32_e32 v44, 0xffff, v44
	v_lshl_or_b32 v36, v34, 16, v36
	v_lshl_or_b32 v34, v39, 16, v43
	v_lshlrev_b32_e32 v43, 16, v46
	v_and_b32_e32 v40, 0xffff, v40
	v_and_or_b32 v1, 0xffff, v1, v47
	v_and_or_b32 v3, 0xffff, v3, v45
	;;#ASMSTART
	v_pk_mul_f16 v1, v36, v1;

	;;#ASMEND
	v_and_or_b32 v2, 0xffff, v2, v43
	v_lshl_or_b32 v39, v10, 16, v44
	v_lshl_or_b32 v40, v9, 16, v40
	;;#ASMSTART
	v_pk_mul_f16 v2, v34, v2;

	;;#ASMEND
	;;#ASMSTART
	v_pk_mul_f16 v3, v39, v3;

	;;#ASMEND
	;; [unrolled: 4-line block ×3, first 2 shown]
	;;#ASMSTART
	v_pk_add_f16 v1, v1, v2;

	;;#ASMEND
	;;#ASMSTART
	v_pk_add_f16 v1, v1, v3;

	;;#ASMEND
	;;#ASMSTART
	v_pk_add_f16 v1, v1, v4;

	;;#ASMEND
	v_and_b32_e32 v2, 0xffff, v1
	v_lshrrev_b32_e32 v1, 16, v1
	;;#ASMSTART
	v_cvt_f32_f16 v43, v2;
	;;#ASMEND
	;;#ASMSTART
	v_cvt_f32_f16 v44, v1;
	;;#ASMEND
	global_load_dwordx4 v[1:4], v[7:8], off offset:512
	s_waitcnt vmcnt(0)
	v_lshrrev_b32_e32 v45, 16, v1
	v_lshrrev_b32_e32 v10, 16, v2
	;; [unrolled: 1-line block ×3, first 2 shown]
	s_and_saveexec_b32 s6, s0
	s_cbranch_execz .LBB119_33
; %bb.32:                               ;   in Loop: Header=BB119_29 Depth=1
	v_cmp_gt_i32_e32 vcc_lo, s25, v33
	v_and_b32_e32 v46, 0xffff0000, v4
	v_cmp_gt_i32_e64 s1, s25, v32
	v_cndmask_b32_e32 v1, 0, v1, vcc_lo
	v_cmp_gt_i32_e32 vcc_lo, s25, v38
	v_cndmask_b32_e64 v2, 0, v2, s1
	v_cmp_gt_i32_e64 s1, s25, v31
	v_cndmask_b32_e32 v45, 0, v45, vcc_lo
	v_cmp_gt_i32_e32 vcc_lo, s25, v35
	v_cndmask_b32_e64 v10, 0, v10, s1
	v_cndmask_b32_sdwa v4, v24, v4, vcc_lo dst_sel:DWORD dst_unused:UNUSED_PAD src0_sel:DWORD src1_sel:WORD_0
	v_cmp_gt_i32_e32 vcc_lo, s25, v27
	v_cndmask_b32_e32 v46, 0, v46, vcc_lo
	v_cmp_gt_i32_e32 vcc_lo, s25, v30
	v_or_b32_e32 v4, v4, v46
	v_cndmask_b32_e32 v3, 0, v3, vcc_lo
	v_cmp_gt_i32_e32 vcc_lo, s25, v29
	v_cndmask_b32_e32 v9, 0, v9, vcc_lo
.LBB119_33:                             ;   in Loop: Header=BB119_29 Depth=1
	s_or_b32 exec_lo, exec_lo, s6
	v_lshlrev_b32_e32 v45, 16, v45
	v_lshlrev_b32_e32 v10, 16, v10
	;; [unrolled: 1-line block ×3, first 2 shown]
	v_and_or_b32 v1, 0xffff, v1, v45
	v_and_or_b32 v2, 0xffff, v2, v10
	;; [unrolled: 1-line block ×3, first 2 shown]
	;;#ASMSTART
	v_pk_mul_f16 v1, v36, v1;

	;;#ASMEND
	;;#ASMSTART
	v_pk_mul_f16 v2, v34, v2;

	;;#ASMEND
	;; [unrolled: 4-line block ×4, first 2 shown]
	;;#ASMSTART
	v_pk_add_f16 v1, v1, v2;

	;;#ASMEND
	;;#ASMSTART
	v_pk_add_f16 v1, v1, v3;

	;;#ASMEND
	;; [unrolled: 4-line block ×3, first 2 shown]
	v_and_b32_e32 v2, 0xffff, v1
	v_lshrrev_b32_e32 v1, 16, v1
	;;#ASMSTART
	v_cvt_f32_f16 v45, v2;
	;;#ASMEND
	;;#ASMSTART
	v_cvt_f32_f16 v46, v1;
	;;#ASMEND
	global_load_dwordx4 v[1:4], v[7:8], off offset:1024
	s_waitcnt vmcnt(0)
	v_lshrrev_b32_e32 v47, 16, v1
	v_lshrrev_b32_e32 v10, 16, v2
	;; [unrolled: 1-line block ×3, first 2 shown]
	s_and_saveexec_b32 s6, s0
	s_cbranch_execz .LBB119_35
; %bb.34:                               ;   in Loop: Header=BB119_29 Depth=1
	v_cmp_gt_i32_e32 vcc_lo, s25, v33
	v_and_b32_e32 v48, 0xffff0000, v4
	v_cmp_gt_i32_e64 s1, s25, v32
	v_cndmask_b32_e32 v1, 0, v1, vcc_lo
	v_cmp_gt_i32_e32 vcc_lo, s25, v38
	v_cndmask_b32_e64 v2, 0, v2, s1
	v_cmp_gt_i32_e64 s1, s25, v31
	v_cndmask_b32_e32 v47, 0, v47, vcc_lo
	v_cmp_gt_i32_e32 vcc_lo, s25, v35
	v_cndmask_b32_e64 v10, 0, v10, s1
	v_cndmask_b32_sdwa v4, v24, v4, vcc_lo dst_sel:DWORD dst_unused:UNUSED_PAD src0_sel:DWORD src1_sel:WORD_0
	v_cmp_gt_i32_e32 vcc_lo, s25, v27
	v_cndmask_b32_e32 v48, 0, v48, vcc_lo
	v_cmp_gt_i32_e32 vcc_lo, s25, v30
	v_or_b32_e32 v4, v4, v48
	v_cndmask_b32_e32 v3, 0, v3, vcc_lo
	v_cmp_gt_i32_e32 vcc_lo, s25, v29
	v_cndmask_b32_e32 v9, 0, v9, vcc_lo
.LBB119_35:                             ;   in Loop: Header=BB119_29 Depth=1
	s_or_b32 exec_lo, exec_lo, s6
	v_lshlrev_b32_e32 v47, 16, v47
	v_lshlrev_b32_e32 v10, 16, v10
	;; [unrolled: 1-line block ×3, first 2 shown]
	v_and_or_b32 v1, 0xffff, v1, v47
	v_and_or_b32 v2, 0xffff, v2, v10
	;; [unrolled: 1-line block ×3, first 2 shown]
	;;#ASMSTART
	v_pk_mul_f16 v1, v36, v1;

	;;#ASMEND
	;;#ASMSTART
	v_pk_mul_f16 v2, v34, v2;

	;;#ASMEND
	;; [unrolled: 4-line block ×4, first 2 shown]
	;;#ASMSTART
	v_pk_add_f16 v1, v1, v2;

	;;#ASMEND
	;;#ASMSTART
	v_pk_add_f16 v1, v1, v3;

	;;#ASMEND
	;; [unrolled: 4-line block ×3, first 2 shown]
	v_and_b32_e32 v2, 0xffff, v1
	v_lshrrev_b32_e32 v1, 16, v1
	;;#ASMSTART
	v_cvt_f32_f16 v47, v2;
	;;#ASMEND
	;;#ASMSTART
	v_cvt_f32_f16 v48, v1;
	;;#ASMEND
	global_load_dwordx4 v[1:4], v[7:8], off offset:1536
	s_waitcnt vmcnt(0)
	v_lshrrev_b32_e32 v49, 16, v1
	v_lshrrev_b32_e32 v10, 16, v2
	;; [unrolled: 1-line block ×3, first 2 shown]
	s_and_saveexec_b32 s6, s0
	s_cbranch_execz .LBB119_37
; %bb.36:                               ;   in Loop: Header=BB119_29 Depth=1
	v_cmp_gt_i32_e32 vcc_lo, s25, v33
	v_and_b32_e32 v50, 0xffff0000, v4
	v_cmp_gt_i32_e64 s1, s25, v32
	v_cndmask_b32_e32 v1, 0, v1, vcc_lo
	v_cmp_gt_i32_e32 vcc_lo, s25, v38
	v_cndmask_b32_e64 v2, 0, v2, s1
	v_cmp_gt_i32_e64 s1, s25, v31
	v_cndmask_b32_e32 v49, 0, v49, vcc_lo
	v_cmp_gt_i32_e32 vcc_lo, s25, v35
	v_cndmask_b32_e64 v10, 0, v10, s1
	v_cndmask_b32_sdwa v4, v24, v4, vcc_lo dst_sel:DWORD dst_unused:UNUSED_PAD src0_sel:DWORD src1_sel:WORD_0
	v_cmp_gt_i32_e32 vcc_lo, s25, v27
	v_cndmask_b32_e32 v50, 0, v50, vcc_lo
	v_cmp_gt_i32_e32 vcc_lo, s25, v30
	v_or_b32_e32 v4, v4, v50
	v_cndmask_b32_e32 v3, 0, v3, vcc_lo
	v_cmp_gt_i32_e32 vcc_lo, s25, v29
	v_cndmask_b32_e32 v9, 0, v9, vcc_lo
.LBB119_37:                             ;   in Loop: Header=BB119_29 Depth=1
	s_or_b32 exec_lo, exec_lo, s6
	v_lshlrev_b32_e32 v9, 16, v9
	v_lshlrev_b32_e32 v49, 16, v49
	;; [unrolled: 1-line block ×3, first 2 shown]
	v_and_or_b32 v3, 0xffff, v3, v9
	v_add_co_u32 v9, vcc_lo, 0x800, v7
	v_and_or_b32 v1, 0xffff, v1, v49
	v_and_or_b32 v2, 0xffff, v2, v10
	;;#ASMSTART
	v_pk_mul_f16 v1, v36, v1;

	;;#ASMEND
	v_add_co_ci_u32_e64 v10, null, 0, v8, vcc_lo
	;;#ASMSTART
	v_pk_mul_f16 v2, v34, v2;

	;;#ASMEND
	;;#ASMSTART
	v_pk_mul_f16 v3, v39, v3;

	;;#ASMEND
	;; [unrolled: 4-line block ×3, first 2 shown]
	;;#ASMSTART
	v_pk_add_f16 v1, v1, v2;

	;;#ASMEND
	;;#ASMSTART
	v_pk_add_f16 v1, v1, v3;

	;;#ASMEND
	;; [unrolled: 4-line block ×3, first 2 shown]
	v_lshrrev_b32_e32 v2, 16, v1
	v_and_b32_e32 v1, 0xffff, v1
	;;#ASMSTART
	v_cvt_f32_f16 v49, v1;
	;;#ASMEND
	;;#ASMSTART
	v_cvt_f32_f16 v50, v2;
	;;#ASMEND
	global_load_dwordx4 v[1:4], v[9:10], off
	s_waitcnt vmcnt(0)
	v_lshrrev_b32_e32 v53, 16, v1
	v_lshrrev_b32_e32 v52, 16, v2
	;; [unrolled: 1-line block ×3, first 2 shown]
	s_and_saveexec_b32 s6, s0
	s_cbranch_execz .LBB119_39
; %bb.38:                               ;   in Loop: Header=BB119_29 Depth=1
	v_cmp_gt_i32_e32 vcc_lo, s25, v33
	v_and_b32_e32 v54, 0xffff0000, v4
	v_cmp_gt_i32_e64 s1, s25, v32
	v_cndmask_b32_e32 v1, 0, v1, vcc_lo
	v_cmp_gt_i32_e32 vcc_lo, s25, v38
	v_cndmask_b32_e64 v2, 0, v2, s1
	v_cmp_gt_i32_e64 s1, s25, v31
	v_cndmask_b32_e32 v53, 0, v53, vcc_lo
	v_cmp_gt_i32_e32 vcc_lo, s25, v35
	v_cndmask_b32_e64 v52, 0, v52, s1
	v_cndmask_b32_sdwa v4, v24, v4, vcc_lo dst_sel:DWORD dst_unused:UNUSED_PAD src0_sel:DWORD src1_sel:WORD_0
	v_cmp_gt_i32_e32 vcc_lo, s25, v27
	v_cndmask_b32_e32 v54, 0, v54, vcc_lo
	v_cmp_gt_i32_e32 vcc_lo, s25, v30
	v_or_b32_e32 v4, v4, v54
	v_cndmask_b32_e32 v3, 0, v3, vcc_lo
	v_cmp_gt_i32_e32 vcc_lo, s25, v29
	v_cndmask_b32_e32 v51, 0, v51, vcc_lo
.LBB119_39:                             ;   in Loop: Header=BB119_29 Depth=1
	s_or_b32 exec_lo, exec_lo, s6
	v_lshlrev_b32_e32 v53, 16, v53
	v_lshlrev_b32_e32 v52, 16, v52
	;; [unrolled: 1-line block ×3, first 2 shown]
	v_and_or_b32 v1, 0xffff, v1, v53
	v_and_or_b32 v2, 0xffff, v2, v52
	;; [unrolled: 1-line block ×3, first 2 shown]
	;;#ASMSTART
	v_pk_mul_f16 v1, v36, v1;

	;;#ASMEND
	;;#ASMSTART
	v_pk_mul_f16 v2, v34, v2;

	;;#ASMEND
	;; [unrolled: 4-line block ×4, first 2 shown]
	;;#ASMSTART
	v_pk_add_f16 v1, v1, v2;

	;;#ASMEND
	;;#ASMSTART
	v_pk_add_f16 v1, v1, v3;

	;;#ASMEND
	;; [unrolled: 4-line block ×3, first 2 shown]
	v_and_b32_e32 v2, 0xffff, v1
	v_lshrrev_b32_e32 v1, 16, v1
	;;#ASMSTART
	v_cvt_f32_f16 v51, v2;
	;;#ASMEND
	;;#ASMSTART
	v_cvt_f32_f16 v52, v1;
	;;#ASMEND
	global_load_dwordx4 v[1:4], v[9:10], off offset:512
	s_waitcnt vmcnt(0)
	v_lshrrev_b32_e32 v55, 16, v1
	v_lshrrev_b32_e32 v54, 16, v2
	;; [unrolled: 1-line block ×3, first 2 shown]
	s_and_saveexec_b32 s6, s0
	s_cbranch_execz .LBB119_41
; %bb.40:                               ;   in Loop: Header=BB119_29 Depth=1
	v_cmp_gt_i32_e32 vcc_lo, s25, v33
	v_and_b32_e32 v56, 0xffff0000, v4
	v_cmp_gt_i32_e64 s1, s25, v32
	v_cndmask_b32_e32 v1, 0, v1, vcc_lo
	v_cmp_gt_i32_e32 vcc_lo, s25, v38
	v_cndmask_b32_e64 v2, 0, v2, s1
	v_cmp_gt_i32_e64 s1, s25, v31
	v_cndmask_b32_e32 v55, 0, v55, vcc_lo
	v_cmp_gt_i32_e32 vcc_lo, s25, v35
	v_cndmask_b32_e64 v54, 0, v54, s1
	v_cndmask_b32_sdwa v4, v24, v4, vcc_lo dst_sel:DWORD dst_unused:UNUSED_PAD src0_sel:DWORD src1_sel:WORD_0
	v_cmp_gt_i32_e32 vcc_lo, s25, v27
	v_cndmask_b32_e32 v56, 0, v56, vcc_lo
	v_cmp_gt_i32_e32 vcc_lo, s25, v30
	v_or_b32_e32 v4, v4, v56
	v_cndmask_b32_e32 v3, 0, v3, vcc_lo
	v_cmp_gt_i32_e32 vcc_lo, s25, v29
	v_cndmask_b32_e32 v53, 0, v53, vcc_lo
.LBB119_41:                             ;   in Loop: Header=BB119_29 Depth=1
	s_or_b32 exec_lo, exec_lo, s6
	v_lshlrev_b32_e32 v55, 16, v55
	v_lshlrev_b32_e32 v54, 16, v54
	;; [unrolled: 1-line block ×3, first 2 shown]
	v_and_or_b32 v1, 0xffff, v1, v55
	v_and_or_b32 v2, 0xffff, v2, v54
	;; [unrolled: 1-line block ×3, first 2 shown]
	;;#ASMSTART
	v_pk_mul_f16 v1, v36, v1;

	;;#ASMEND
	;;#ASMSTART
	v_pk_mul_f16 v2, v34, v2;

	;;#ASMEND
	;; [unrolled: 4-line block ×4, first 2 shown]
	;;#ASMSTART
	v_pk_add_f16 v1, v1, v2;

	;;#ASMEND
	;;#ASMSTART
	v_pk_add_f16 v1, v1, v3;

	;;#ASMEND
	;; [unrolled: 4-line block ×3, first 2 shown]
	v_and_b32_e32 v2, 0xffff, v1
	v_lshrrev_b32_e32 v1, 16, v1
	;;#ASMSTART
	v_cvt_f32_f16 v53, v2;
	;;#ASMEND
	;;#ASMSTART
	v_cvt_f32_f16 v54, v1;
	;;#ASMEND
	global_load_dwordx4 v[1:4], v[9:10], off offset:1024
	s_waitcnt vmcnt(0)
	v_lshrrev_b32_e32 v57, 16, v1
	v_lshrrev_b32_e32 v56, 16, v2
	;; [unrolled: 1-line block ×3, first 2 shown]
	s_and_saveexec_b32 s6, s0
	s_cbranch_execz .LBB119_43
; %bb.42:                               ;   in Loop: Header=BB119_29 Depth=1
	v_cmp_gt_i32_e32 vcc_lo, s25, v33
	v_and_b32_e32 v58, 0xffff0000, v4
	v_cmp_gt_i32_e64 s1, s25, v32
	v_cndmask_b32_e32 v1, 0, v1, vcc_lo
	v_cmp_gt_i32_e32 vcc_lo, s25, v38
	v_cndmask_b32_e64 v2, 0, v2, s1
	v_cmp_gt_i32_e64 s1, s25, v31
	v_cndmask_b32_e32 v57, 0, v57, vcc_lo
	v_cmp_gt_i32_e32 vcc_lo, s25, v35
	v_cndmask_b32_e64 v56, 0, v56, s1
	v_cndmask_b32_sdwa v4, v24, v4, vcc_lo dst_sel:DWORD dst_unused:UNUSED_PAD src0_sel:DWORD src1_sel:WORD_0
	v_cmp_gt_i32_e32 vcc_lo, s25, v27
	v_cndmask_b32_e32 v58, 0, v58, vcc_lo
	v_cmp_gt_i32_e32 vcc_lo, s25, v30
	v_or_b32_e32 v4, v4, v58
	v_cndmask_b32_e32 v3, 0, v3, vcc_lo
	v_cmp_gt_i32_e32 vcc_lo, s25, v29
	v_cndmask_b32_e32 v55, 0, v55, vcc_lo
.LBB119_43:                             ;   in Loop: Header=BB119_29 Depth=1
	s_or_b32 exec_lo, exec_lo, s6
	v_lshlrev_b32_e32 v57, 16, v57
	v_lshlrev_b32_e32 v56, 16, v56
	v_lshlrev_b32_e32 v55, 16, v55
	v_and_or_b32 v1, 0xffff, v1, v57
	v_and_or_b32 v2, 0xffff, v2, v56
	;; [unrolled: 1-line block ×3, first 2 shown]
	;;#ASMSTART
	v_pk_mul_f16 v1, v36, v1;

	;;#ASMEND
	;;#ASMSTART
	v_pk_mul_f16 v2, v34, v2;

	;;#ASMEND
	;; [unrolled: 4-line block ×4, first 2 shown]
	;;#ASMSTART
	v_pk_add_f16 v1, v1, v2;

	;;#ASMEND
	;;#ASMSTART
	v_pk_add_f16 v1, v1, v3;

	;;#ASMEND
	;; [unrolled: 4-line block ×3, first 2 shown]
	v_and_b32_e32 v2, 0xffff, v1
	v_lshrrev_b32_e32 v1, 16, v1
	;;#ASMSTART
	v_cvt_f32_f16 v55, v2;
	;;#ASMEND
	;;#ASMSTART
	v_cvt_f32_f16 v56, v1;
	;;#ASMEND
	global_load_dwordx4 v[1:4], v[9:10], off offset:1536
	s_waitcnt vmcnt(0)
	v_lshrrev_b32_e32 v57, 16, v1
	v_lshrrev_b32_e32 v10, 16, v2
	;; [unrolled: 1-line block ×3, first 2 shown]
	s_and_saveexec_b32 s6, s0
	s_cbranch_execz .LBB119_45
; %bb.44:                               ;   in Loop: Header=BB119_29 Depth=1
	v_cmp_gt_i32_e32 vcc_lo, s25, v33
	v_and_b32_e32 v58, 0xffff0000, v4
	v_cmp_gt_i32_e64 s1, s25, v32
	v_cndmask_b32_e32 v1, 0, v1, vcc_lo
	v_cmp_gt_i32_e32 vcc_lo, s25, v38
	v_cndmask_b32_e64 v2, 0, v2, s1
	v_cmp_gt_i32_e64 s1, s25, v31
	v_cndmask_b32_e32 v57, 0, v57, vcc_lo
	v_cmp_gt_i32_e32 vcc_lo, s25, v35
	v_cndmask_b32_e64 v10, 0, v10, s1
	v_cndmask_b32_sdwa v4, v24, v4, vcc_lo dst_sel:DWORD dst_unused:UNUSED_PAD src0_sel:DWORD src1_sel:WORD_0
	v_cmp_gt_i32_e32 vcc_lo, s25, v27
	v_cndmask_b32_e32 v58, 0, v58, vcc_lo
	v_cmp_gt_i32_e32 vcc_lo, s25, v30
	v_or_b32_e32 v4, v4, v58
	v_cndmask_b32_e32 v3, 0, v3, vcc_lo
	v_cmp_gt_i32_e32 vcc_lo, s25, v29
	v_cndmask_b32_e32 v9, 0, v9, vcc_lo
.LBB119_45:                             ;   in Loop: Header=BB119_29 Depth=1
	s_or_b32 exec_lo, exec_lo, s6
	v_lshlrev_b32_e32 v57, 16, v57
	v_lshlrev_b32_e32 v10, 16, v10
	v_lshlrev_b32_e32 v9, 16, v9
	v_add_co_u32 v7, vcc_lo, 0x1000, v7
	v_and_or_b32 v1, 0xffff, v1, v57
	v_and_or_b32 v2, 0xffff, v2, v10
	;; [unrolled: 1-line block ×3, first 2 shown]
	;;#ASMSTART
	v_pk_mul_f16 v1, v36, v1;

	;;#ASMEND
	v_add_co_ci_u32_e64 v8, null, 0, v8, vcc_lo
	;;#ASMSTART
	v_pk_mul_f16 v2, v34, v2;

	;;#ASMEND
	;;#ASMSTART
	v_pk_mul_f16 v3, v39, v3;

	;;#ASMEND
	;; [unrolled: 4-line block ×3, first 2 shown]
	;;#ASMSTART
	v_pk_add_f16 v1, v1, v2;

	;;#ASMEND
	;;#ASMSTART
	v_pk_add_f16 v1, v1, v3;

	;;#ASMEND
	;; [unrolled: 4-line block ×3, first 2 shown]
	v_lshrrev_b32_e32 v2, 16, v1
	v_and_b32_e32 v1, 0xffff, v1
	;;#ASMSTART
	v_cvt_f32_f16 v9, v1;
	;;#ASMEND
	;;#ASMSTART
	v_cvt_f32_f16 v10, v2;
	;;#ASMEND
	global_load_dwordx4 v[1:4], v[7:8], off
	s_waitcnt vmcnt(0)
	v_lshrrev_b32_e32 v59, 16, v1
	v_lshrrev_b32_e32 v58, 16, v2
	;; [unrolled: 1-line block ×3, first 2 shown]
	s_and_saveexec_b32 s6, s0
	s_cbranch_execz .LBB119_47
; %bb.46:                               ;   in Loop: Header=BB119_29 Depth=1
	v_cmp_gt_i32_e32 vcc_lo, s25, v33
	v_and_b32_e32 v60, 0xffff0000, v4
	v_cmp_gt_i32_e64 s1, s25, v32
	v_cndmask_b32_e32 v1, 0, v1, vcc_lo
	v_cmp_gt_i32_e32 vcc_lo, s25, v38
	v_cndmask_b32_e64 v2, 0, v2, s1
	v_cmp_gt_i32_e64 s1, s25, v31
	v_cndmask_b32_e32 v59, 0, v59, vcc_lo
	v_cmp_gt_i32_e32 vcc_lo, s25, v35
	v_cndmask_b32_e64 v58, 0, v58, s1
	v_cndmask_b32_sdwa v4, v24, v4, vcc_lo dst_sel:DWORD dst_unused:UNUSED_PAD src0_sel:DWORD src1_sel:WORD_0
	v_cmp_gt_i32_e32 vcc_lo, s25, v27
	v_cndmask_b32_e32 v60, 0, v60, vcc_lo
	v_cmp_gt_i32_e32 vcc_lo, s25, v30
	v_or_b32_e32 v4, v4, v60
	v_cndmask_b32_e32 v3, 0, v3, vcc_lo
	v_cmp_gt_i32_e32 vcc_lo, s25, v29
	v_cndmask_b32_e32 v57, 0, v57, vcc_lo
.LBB119_47:                             ;   in Loop: Header=BB119_29 Depth=1
	s_or_b32 exec_lo, exec_lo, s6
	v_lshlrev_b32_e32 v59, 16, v59
	v_lshlrev_b32_e32 v58, 16, v58
	;; [unrolled: 1-line block ×3, first 2 shown]
	v_and_or_b32 v1, 0xffff, v1, v59
	v_and_or_b32 v2, 0xffff, v2, v58
	;; [unrolled: 1-line block ×3, first 2 shown]
	;;#ASMSTART
	v_pk_mul_f16 v1, v36, v1;

	;;#ASMEND
	;;#ASMSTART
	v_pk_mul_f16 v2, v34, v2;

	;;#ASMEND
	;; [unrolled: 4-line block ×4, first 2 shown]
	;;#ASMSTART
	v_pk_add_f16 v1, v1, v2;

	;;#ASMEND
	;;#ASMSTART
	v_pk_add_f16 v1, v1, v3;

	;;#ASMEND
	;; [unrolled: 4-line block ×3, first 2 shown]
	v_and_b32_e32 v2, 0xffff, v1
	v_lshrrev_b32_e32 v1, 16, v1
	;;#ASMSTART
	v_cvt_f32_f16 v58, v2;
	;;#ASMEND
	;;#ASMSTART
	v_cvt_f32_f16 v59, v1;
	;;#ASMEND
	global_load_dwordx4 v[1:4], v[7:8], off offset:512
	s_waitcnt vmcnt(0)
	v_lshrrev_b32_e32 v57, 16, v1
	v_lshrrev_b32_e32 v8, 16, v2
	;; [unrolled: 1-line block ×3, first 2 shown]
	s_and_saveexec_b32 s1, s0
	s_cbranch_execz .LBB119_28
; %bb.48:                               ;   in Loop: Header=BB119_29 Depth=1
	v_cmp_gt_i32_e32 vcc_lo, s25, v33
	v_cmp_gt_i32_e64 s0, s25, v32
	v_cndmask_b32_e32 v1, 0, v1, vcc_lo
	v_cmp_gt_i32_e32 vcc_lo, s25, v38
	v_cndmask_b32_e64 v2, 0, v2, s0
	v_cmp_gt_i32_e64 s0, s25, v31
	v_and_b32_e32 v31, 0xffff0000, v4
	v_cndmask_b32_e32 v57, 0, v57, vcc_lo
	v_cmp_gt_i32_e32 vcc_lo, s25, v35
	v_cndmask_b32_e64 v8, 0, v8, s0
	v_cndmask_b32_sdwa v4, v24, v4, vcc_lo dst_sel:DWORD dst_unused:UNUSED_PAD src0_sel:DWORD src1_sel:WORD_0
	v_cmp_gt_i32_e32 vcc_lo, s25, v27
	v_cndmask_b32_e32 v31, 0, v31, vcc_lo
	v_cmp_gt_i32_e32 vcc_lo, s25, v30
	v_or_b32_e32 v4, v4, v31
	v_cndmask_b32_e32 v3, 0, v3, vcc_lo
	v_cmp_gt_i32_e32 vcc_lo, s25, v29
	v_cndmask_b32_e32 v7, 0, v7, vcc_lo
	s_branch .LBB119_28
.LBB119_49:
	s_or_b32 exec_lo, exec_lo, s4
.LBB119_50:
	s_or_b32 exec_lo, exec_lo, s3
	ds_bpermute_b32 v1, v12, v21
	ds_bpermute_b32 v2, v12, v23
	;; [unrolled: 1-line block ×10, first 2 shown]
	v_and_b32_e32 v27, 0x3c3, v0
	s_mov_b32 s0, exec_lo
	s_waitcnt lgkmcnt(0)
	s_waitcnt_vscnt null, 0x0
	s_barrier
	buffer_gl0_inv
	v_add_f32_e32 v1, v21, v1
	v_add_f32_e32 v2, v23, v2
	;; [unrolled: 1-line block ×10, first 2 shown]
	ds_bpermute_b32 v6, v11, v1
	ds_bpermute_b32 v7, v11, v2
	;; [unrolled: 1-line block ×10, first 2 shown]
	v_and_b32_e32 v9, 28, v42
	v_lshrrev_b32_e32 v11, 2, v42
	v_mul_u32_u24_e32 v14, 0x140, v41
	v_add_nc_u32_e32 v12, 0xc0, v9
	s_waitcnt lgkmcnt(9)
	v_add_f32_e32 v10, v1, v6
	s_waitcnt lgkmcnt(8)
	v_add_f32_e32 v9, v2, v7
	s_waitcnt lgkmcnt(7)
	v_add_f32_e32 v8, v3, v8
	s_waitcnt lgkmcnt(6)
	v_add_f32_e32 v7, v4, v20
	s_waitcnt lgkmcnt(5)
	v_add_f32_e32 v6, v5, v21
	s_waitcnt lgkmcnt(4)
	v_add_f32_e32 v5, v18, v22
	s_waitcnt lgkmcnt(3)
	v_add_f32_e32 v4, v17, v23
	s_waitcnt lgkmcnt(2)
	v_add_f32_e32 v3, v16, v24
	s_waitcnt lgkmcnt(1)
	v_add_f32_e32 v2, v15, v25
	s_waitcnt lgkmcnt(0)
	v_add_f32_e32 v1, v19, v26
	v_cmpx_eq_u32_e32 64, v27
	s_cbranch_execz .LBB119_52
; %bb.51:
	v_add_nc_u32_e32 v15, v12, v14
	v_add_nc_u32_e32 v16, 0xfffffd80, v15
	;; [unrolled: 1-line block ×6, first 2 shown]
	ds_write_b32 v16, v10
	ds_write_b32 v17, v9
	;; [unrolled: 1-line block ×5, first 2 shown]
	v_add_nc_u32_e32 v16, 0xfffffe20, v15
	v_add_nc_u32_e32 v17, 0xfffffe40, v15
	;; [unrolled: 1-line block ×5, first 2 shown]
	ds_write_b32 v16, v5
	ds_write_b32 v17, v4
	;; [unrolled: 1-line block ×5, first 2 shown]
.LBB119_52:
	s_or_b32 exec_lo, exec_lo, s0
	v_lshlrev_b32_e32 v11, 2, v11
	s_mov_b32 s1, exec_lo
	v_cmp_eq_u32_e32 vcc_lo, 0, v13
	s_waitcnt lgkmcnt(0)
	s_barrier
	v_add3_u32 v11, 0xc0, v14, v11
	buffer_gl0_inv
	v_cmpx_gt_u32_e32 64, v0
	s_cbranch_execz .LBB119_65
; %bb.53:
	s_and_saveexec_b32 s0, vcc_lo
	s_cbranch_execnz .LBB119_83
; %bb.54:
	s_or_b32 exec_lo, exec_lo, s0
	s_and_saveexec_b32 s0, vcc_lo
	s_cbranch_execnz .LBB119_84
.LBB119_55:
	s_or_b32 exec_lo, exec_lo, s0
	s_and_saveexec_b32 s0, vcc_lo
	s_cbranch_execnz .LBB119_85
.LBB119_56:
	s_or_b32 exec_lo, exec_lo, s0
	s_and_saveexec_b32 s0, vcc_lo
	s_cbranch_execnz .LBB119_86
.LBB119_57:
	s_or_b32 exec_lo, exec_lo, s0
	s_and_saveexec_b32 s0, vcc_lo
	s_cbranch_execnz .LBB119_87
.LBB119_58:
	s_or_b32 exec_lo, exec_lo, s0
	s_and_saveexec_b32 s0, vcc_lo
	s_cbranch_execnz .LBB119_88
.LBB119_59:
	s_or_b32 exec_lo, exec_lo, s0
	s_and_saveexec_b32 s0, vcc_lo
	s_cbranch_execnz .LBB119_89
.LBB119_60:
	s_or_b32 exec_lo, exec_lo, s0
	s_and_saveexec_b32 s0, vcc_lo
	s_cbranch_execnz .LBB119_90
.LBB119_61:
	s_or_b32 exec_lo, exec_lo, s0
	s_and_saveexec_b32 s0, vcc_lo
	s_cbranch_execnz .LBB119_91
.LBB119_62:
	s_or_b32 exec_lo, exec_lo, s0
	s_and_saveexec_b32 s0, vcc_lo
	s_cbranch_execz .LBB119_64
.LBB119_63:
	ds_read_b32 v13, v11 offset:288
	s_waitcnt lgkmcnt(0)
	v_add_f32_e32 v1, v1, v13
.LBB119_64:
	s_or_b32 exec_lo, exec_lo, s0
.LBB119_65:
	s_or_b32 exec_lo, exec_lo, s1
	v_and_b32_e32 v13, 0x3e3, v0
	s_mov_b32 s1, exec_lo
	s_barrier
	buffer_gl0_inv
	v_cmpx_eq_u32_e32 32, v13
	s_cbranch_execz .LBB119_67
; %bb.66:
	ds_write2_b32 v12, v10, v9 offset1:8
	ds_write2_b32 v12, v8, v7 offset0:16 offset1:24
	ds_write2_b32 v12, v6, v5 offset0:32 offset1:40
	;; [unrolled: 1-line block ×4, first 2 shown]
.LBB119_67:
	s_or_b32 exec_lo, exec_lo, s1
	s_mov_b32 s1, exec_lo
	s_waitcnt lgkmcnt(0)
	s_barrier
	buffer_gl0_inv
	v_cmpx_gt_u32_e32 32, v0
	s_cbranch_execz .LBB119_80
; %bb.68:
	s_and_saveexec_b32 s0, vcc_lo
	s_cbranch_execnz .LBB119_92
; %bb.69:
	s_or_b32 exec_lo, exec_lo, s0
	s_and_saveexec_b32 s0, vcc_lo
	s_cbranch_execnz .LBB119_93
.LBB119_70:
	s_or_b32 exec_lo, exec_lo, s0
	s_and_saveexec_b32 s0, vcc_lo
	s_cbranch_execnz .LBB119_94
.LBB119_71:
	s_or_b32 exec_lo, exec_lo, s0
	s_and_saveexec_b32 s0, vcc_lo
	s_cbranch_execnz .LBB119_95
.LBB119_72:
	s_or_b32 exec_lo, exec_lo, s0
	s_and_saveexec_b32 s0, vcc_lo
	s_cbranch_execnz .LBB119_96
.LBB119_73:
	s_or_b32 exec_lo, exec_lo, s0
	s_and_saveexec_b32 s0, vcc_lo
	s_cbranch_execnz .LBB119_97
.LBB119_74:
	s_or_b32 exec_lo, exec_lo, s0
	s_and_saveexec_b32 s0, vcc_lo
	s_cbranch_execnz .LBB119_98
.LBB119_75:
	s_or_b32 exec_lo, exec_lo, s0
	s_and_saveexec_b32 s0, vcc_lo
	s_cbranch_execnz .LBB119_99
.LBB119_76:
	s_or_b32 exec_lo, exec_lo, s0
	s_and_saveexec_b32 s0, vcc_lo
	s_cbranch_execnz .LBB119_100
.LBB119_77:
	s_or_b32 exec_lo, exec_lo, s0
	s_and_saveexec_b32 s0, vcc_lo
	s_cbranch_execz .LBB119_79
.LBB119_78:
	ds_read_b32 v11, v11 offset:288
	s_waitcnt lgkmcnt(0)
	v_add_f32_e32 v1, v1, v11
.LBB119_79:
	s_or_b32 exec_lo, exec_lo, s0
.LBB119_80:
	s_or_b32 exec_lo, exec_lo, s1
	s_barrier
	buffer_gl0_inv
	s_mov_b32 s0, exec_lo
	v_cmpx_eq_u32_e32 0, v13
	s_cbranch_execz .LBB119_82
; %bb.81:
	s_mul_i32 s0, s2, 0x50
	s_mul_i32 s2, s7, s10
	s_ashr_i32 s1, s0, 31
	v_lshrrev_b32_e32 v0, 1, v0
	s_lshl_b64 s[0:1], s[0:1], 1
	;;#ASMSTART
	v_cvt_f16_f32 v10, v10;

	;;#ASMEND
	s_add_u32 s4, s20, s0
	s_addc_u32 s5, s21, s1
	s_ashr_i32 s3, s2, 31
	s_lshl_b64 s[0:1], s[2:3], 1
	s_mul_i32 s2, s8, 0x50
	s_add_u32 s4, s4, s0
	s_addc_u32 s5, s5, s1
	s_ashr_i32 s3, s2, 31
	s_lshl_b64 s[0:1], s[2:3], 1
	s_add_u32 s0, s4, s0
	s_addc_u32 s1, s5, s1
	global_store_short v0, v10, s[0:1]
	;;#ASMSTART
	v_cvt_f16_f32 v9, v9;

	;;#ASMEND
	global_store_short v0, v9, s[0:1] offset:16
	;;#ASMSTART
	v_cvt_f16_f32 v8, v8;

	;;#ASMEND
	global_store_short v0, v8, s[0:1] offset:32
	;; [unrolled: 5-line block ×9, first 2 shown]
.LBB119_82:
	s_endpgm
.LBB119_83:
	ds_read_b32 v13, v11
	s_waitcnt lgkmcnt(0)
	v_add_f32_e32 v10, v10, v13
	s_or_b32 exec_lo, exec_lo, s0
	s_and_saveexec_b32 s0, vcc_lo
	s_cbranch_execz .LBB119_55
.LBB119_84:
	ds_read_b32 v13, v11 offset:32
	s_waitcnt lgkmcnt(0)
	v_add_f32_e32 v9, v9, v13
	s_or_b32 exec_lo, exec_lo, s0
	s_and_saveexec_b32 s0, vcc_lo
	s_cbranch_execz .LBB119_56
.LBB119_85:
	ds_read_b32 v13, v11 offset:64
	s_waitcnt lgkmcnt(0)
	v_add_f32_e32 v8, v8, v13
	s_or_b32 exec_lo, exec_lo, s0
	s_and_saveexec_b32 s0, vcc_lo
	s_cbranch_execz .LBB119_57
.LBB119_86:
	ds_read_b32 v13, v11 offset:96
	s_waitcnt lgkmcnt(0)
	v_add_f32_e32 v7, v7, v13
	s_or_b32 exec_lo, exec_lo, s0
	s_and_saveexec_b32 s0, vcc_lo
	s_cbranch_execz .LBB119_58
.LBB119_87:
	ds_read_b32 v13, v11 offset:128
	s_waitcnt lgkmcnt(0)
	v_add_f32_e32 v6, v6, v13
	s_or_b32 exec_lo, exec_lo, s0
	s_and_saveexec_b32 s0, vcc_lo
	s_cbranch_execz .LBB119_59
.LBB119_88:
	ds_read_b32 v13, v11 offset:160
	s_waitcnt lgkmcnt(0)
	v_add_f32_e32 v5, v5, v13
	s_or_b32 exec_lo, exec_lo, s0
	s_and_saveexec_b32 s0, vcc_lo
	s_cbranch_execz .LBB119_60
.LBB119_89:
	ds_read_b32 v13, v11 offset:192
	s_waitcnt lgkmcnt(0)
	v_add_f32_e32 v4, v4, v13
	s_or_b32 exec_lo, exec_lo, s0
	s_and_saveexec_b32 s0, vcc_lo
	s_cbranch_execz .LBB119_61
.LBB119_90:
	ds_read_b32 v13, v11 offset:224
	s_waitcnt lgkmcnt(0)
	v_add_f32_e32 v3, v3, v13
	s_or_b32 exec_lo, exec_lo, s0
	s_and_saveexec_b32 s0, vcc_lo
	s_cbranch_execz .LBB119_62
.LBB119_91:
	ds_read_b32 v13, v11 offset:256
	s_waitcnt lgkmcnt(0)
	v_add_f32_e32 v2, v2, v13
	s_or_b32 exec_lo, exec_lo, s0
	s_and_saveexec_b32 s0, vcc_lo
	s_cbranch_execnz .LBB119_63
	s_branch .LBB119_64
.LBB119_92:
	ds_read_b32 v12, v11
	s_waitcnt lgkmcnt(0)
	v_add_f32_e32 v10, v10, v12
	s_or_b32 exec_lo, exec_lo, s0
	s_and_saveexec_b32 s0, vcc_lo
	s_cbranch_execz .LBB119_70
.LBB119_93:
	ds_read_b32 v12, v11 offset:32
	s_waitcnt lgkmcnt(0)
	v_add_f32_e32 v9, v9, v12
	s_or_b32 exec_lo, exec_lo, s0
	s_and_saveexec_b32 s0, vcc_lo
	s_cbranch_execz .LBB119_71
.LBB119_94:
	ds_read_b32 v12, v11 offset:64
	s_waitcnt lgkmcnt(0)
	v_add_f32_e32 v8, v8, v12
	s_or_b32 exec_lo, exec_lo, s0
	s_and_saveexec_b32 s0, vcc_lo
	s_cbranch_execz .LBB119_72
.LBB119_95:
	ds_read_b32 v12, v11 offset:96
	s_waitcnt lgkmcnt(0)
	v_add_f32_e32 v7, v7, v12
	s_or_b32 exec_lo, exec_lo, s0
	s_and_saveexec_b32 s0, vcc_lo
	s_cbranch_execz .LBB119_73
.LBB119_96:
	ds_read_b32 v12, v11 offset:128
	s_waitcnt lgkmcnt(0)
	v_add_f32_e32 v6, v6, v12
	s_or_b32 exec_lo, exec_lo, s0
	s_and_saveexec_b32 s0, vcc_lo
	s_cbranch_execz .LBB119_74
.LBB119_97:
	ds_read_b32 v12, v11 offset:160
	s_waitcnt lgkmcnt(0)
	v_add_f32_e32 v5, v5, v12
	s_or_b32 exec_lo, exec_lo, s0
	s_and_saveexec_b32 s0, vcc_lo
	s_cbranch_execz .LBB119_75
.LBB119_98:
	ds_read_b32 v12, v11 offset:192
	s_waitcnt lgkmcnt(0)
	v_add_f32_e32 v4, v4, v12
	s_or_b32 exec_lo, exec_lo, s0
	s_and_saveexec_b32 s0, vcc_lo
	s_cbranch_execz .LBB119_76
.LBB119_99:
	ds_read_b32 v12, v11 offset:224
	s_waitcnt lgkmcnt(0)
	v_add_f32_e32 v3, v3, v12
	s_or_b32 exec_lo, exec_lo, s0
	s_and_saveexec_b32 s0, vcc_lo
	s_cbranch_execz .LBB119_77
.LBB119_100:
	ds_read_b32 v12, v11 offset:256
	s_waitcnt lgkmcnt(0)
	v_add_f32_e32 v2, v2, v12
	s_or_b32 exec_lo, exec_lo, s0
	s_and_saveexec_b32 s0, vcc_lo
	s_cbranch_execnz .LBB119_78
	s_branch .LBB119_79
	.section	.rodata,"a",@progbits
	.p2align	6, 0x0
	.amdhsa_kernel _ZN4vllm25paged_attention_v2_kernelIttLi80ELi32ELi128ELNS_18Fp8KVCacheDataTypeE0ELb0ELi512EEEvPfS2_PT_PKS3_PKT0_S9_ifPKiSB_iPKfiiiSD_SD_iiiii
		.amdhsa_group_segment_fixed_size 192
		.amdhsa_private_segment_fixed_size 0
		.amdhsa_kernarg_size 400
		.amdhsa_user_sgpr_count 6
		.amdhsa_user_sgpr_private_segment_buffer 1
		.amdhsa_user_sgpr_dispatch_ptr 0
		.amdhsa_user_sgpr_queue_ptr 0
		.amdhsa_user_sgpr_kernarg_segment_ptr 1
		.amdhsa_user_sgpr_dispatch_id 0
		.amdhsa_user_sgpr_flat_scratch_init 0
		.amdhsa_user_sgpr_private_segment_size 0
		.amdhsa_wavefront_size32 1
		.amdhsa_uses_dynamic_stack 0
		.amdhsa_system_sgpr_private_segment_wavefront_offset 0
		.amdhsa_system_sgpr_workgroup_id_x 1
		.amdhsa_system_sgpr_workgroup_id_y 1
		.amdhsa_system_sgpr_workgroup_id_z 1
		.amdhsa_system_sgpr_workgroup_info 0
		.amdhsa_system_vgpr_workitem_id 0
		.amdhsa_next_free_vgpr 75
		.amdhsa_next_free_sgpr 38
		.amdhsa_reserve_vcc 1
		.amdhsa_reserve_flat_scratch 0
		.amdhsa_float_round_mode_32 0
		.amdhsa_float_round_mode_16_64 0
		.amdhsa_float_denorm_mode_32 3
		.amdhsa_float_denorm_mode_16_64 3
		.amdhsa_dx10_clamp 1
		.amdhsa_ieee_mode 1
		.amdhsa_fp16_overflow 0
		.amdhsa_workgroup_processor_mode 1
		.amdhsa_memory_ordered 1
		.amdhsa_forward_progress 1
		.amdhsa_shared_vgpr_count 0
		.amdhsa_exception_fp_ieee_invalid_op 0
		.amdhsa_exception_fp_denorm_src 0
		.amdhsa_exception_fp_ieee_div_zero 0
		.amdhsa_exception_fp_ieee_overflow 0
		.amdhsa_exception_fp_ieee_underflow 0
		.amdhsa_exception_fp_ieee_inexact 0
		.amdhsa_exception_int_div_zero 0
	.end_amdhsa_kernel
	.section	.text._ZN4vllm25paged_attention_v2_kernelIttLi80ELi32ELi128ELNS_18Fp8KVCacheDataTypeE0ELb0ELi512EEEvPfS2_PT_PKS3_PKT0_S9_ifPKiSB_iPKfiiiSD_SD_iiiii,"axG",@progbits,_ZN4vllm25paged_attention_v2_kernelIttLi80ELi32ELi128ELNS_18Fp8KVCacheDataTypeE0ELb0ELi512EEEvPfS2_PT_PKS3_PKT0_S9_ifPKiSB_iPKfiiiSD_SD_iiiii,comdat
.Lfunc_end119:
	.size	_ZN4vllm25paged_attention_v2_kernelIttLi80ELi32ELi128ELNS_18Fp8KVCacheDataTypeE0ELb0ELi512EEEvPfS2_PT_PKS3_PKT0_S9_ifPKiSB_iPKfiiiSD_SD_iiiii, .Lfunc_end119-_ZN4vllm25paged_attention_v2_kernelIttLi80ELi32ELi128ELNS_18Fp8KVCacheDataTypeE0ELb0ELi512EEEvPfS2_PT_PKS3_PKT0_S9_ifPKiSB_iPKfiiiSD_SD_iiiii
                                        ; -- End function
	.set _ZN4vllm25paged_attention_v2_kernelIttLi80ELi32ELi128ELNS_18Fp8KVCacheDataTypeE0ELb0ELi512EEEvPfS2_PT_PKS3_PKT0_S9_ifPKiSB_iPKfiiiSD_SD_iiiii.num_vgpr, 75
	.set _ZN4vllm25paged_attention_v2_kernelIttLi80ELi32ELi128ELNS_18Fp8KVCacheDataTypeE0ELb0ELi512EEEvPfS2_PT_PKS3_PKT0_S9_ifPKiSB_iPKfiiiSD_SD_iiiii.num_agpr, 0
	.set _ZN4vllm25paged_attention_v2_kernelIttLi80ELi32ELi128ELNS_18Fp8KVCacheDataTypeE0ELb0ELi512EEEvPfS2_PT_PKS3_PKT0_S9_ifPKiSB_iPKfiiiSD_SD_iiiii.numbered_sgpr, 38
	.set _ZN4vllm25paged_attention_v2_kernelIttLi80ELi32ELi128ELNS_18Fp8KVCacheDataTypeE0ELb0ELi512EEEvPfS2_PT_PKS3_PKT0_S9_ifPKiSB_iPKfiiiSD_SD_iiiii.num_named_barrier, 0
	.set _ZN4vllm25paged_attention_v2_kernelIttLi80ELi32ELi128ELNS_18Fp8KVCacheDataTypeE0ELb0ELi512EEEvPfS2_PT_PKS3_PKT0_S9_ifPKiSB_iPKfiiiSD_SD_iiiii.private_seg_size, 0
	.set _ZN4vllm25paged_attention_v2_kernelIttLi80ELi32ELi128ELNS_18Fp8KVCacheDataTypeE0ELb0ELi512EEEvPfS2_PT_PKS3_PKT0_S9_ifPKiSB_iPKfiiiSD_SD_iiiii.uses_vcc, 1
	.set _ZN4vllm25paged_attention_v2_kernelIttLi80ELi32ELi128ELNS_18Fp8KVCacheDataTypeE0ELb0ELi512EEEvPfS2_PT_PKS3_PKT0_S9_ifPKiSB_iPKfiiiSD_SD_iiiii.uses_flat_scratch, 0
	.set _ZN4vllm25paged_attention_v2_kernelIttLi80ELi32ELi128ELNS_18Fp8KVCacheDataTypeE0ELb0ELi512EEEvPfS2_PT_PKS3_PKT0_S9_ifPKiSB_iPKfiiiSD_SD_iiiii.has_dyn_sized_stack, 0
	.set _ZN4vllm25paged_attention_v2_kernelIttLi80ELi32ELi128ELNS_18Fp8KVCacheDataTypeE0ELb0ELi512EEEvPfS2_PT_PKS3_PKT0_S9_ifPKiSB_iPKfiiiSD_SD_iiiii.has_recursion, 0
	.set _ZN4vllm25paged_attention_v2_kernelIttLi80ELi32ELi128ELNS_18Fp8KVCacheDataTypeE0ELb0ELi512EEEvPfS2_PT_PKS3_PKT0_S9_ifPKiSB_iPKfiiiSD_SD_iiiii.has_indirect_call, 0
	.section	.AMDGPU.csdata,"",@progbits
; Kernel info:
; codeLenInByte = 13064
; TotalNumSgprs: 40
; NumVgprs: 75
; ScratchSize: 0
; MemoryBound: 0
; FloatMode: 240
; IeeeMode: 1
; LDSByteSize: 192 bytes/workgroup (compile time only)
; SGPRBlocks: 0
; VGPRBlocks: 9
; NumSGPRsForWavesPerEU: 40
; NumVGPRsForWavesPerEU: 75
; Occupancy: 12
; WaveLimiterHint : 1
; COMPUTE_PGM_RSRC2:SCRATCH_EN: 0
; COMPUTE_PGM_RSRC2:USER_SGPR: 6
; COMPUTE_PGM_RSRC2:TRAP_HANDLER: 0
; COMPUTE_PGM_RSRC2:TGID_X_EN: 1
; COMPUTE_PGM_RSRC2:TGID_Y_EN: 1
; COMPUTE_PGM_RSRC2:TGID_Z_EN: 1
; COMPUTE_PGM_RSRC2:TIDIG_COMP_CNT: 0
	.section	.text._ZN4vllm25paged_attention_v2_kernelIttLi96ELi32ELi128ELNS_18Fp8KVCacheDataTypeE0ELb0ELi512EEEvPfS2_PT_PKS3_PKT0_S9_ifPKiSB_iPKfiiiSD_SD_iiiii,"axG",@progbits,_ZN4vllm25paged_attention_v2_kernelIttLi96ELi32ELi128ELNS_18Fp8KVCacheDataTypeE0ELb0ELi512EEEvPfS2_PT_PKS3_PKT0_S9_ifPKiSB_iPKfiiiSD_SD_iiiii,comdat
	.protected	_ZN4vllm25paged_attention_v2_kernelIttLi96ELi32ELi128ELNS_18Fp8KVCacheDataTypeE0ELb0ELi512EEEvPfS2_PT_PKS3_PKT0_S9_ifPKiSB_iPKfiiiSD_SD_iiiii ; -- Begin function _ZN4vllm25paged_attention_v2_kernelIttLi96ELi32ELi128ELNS_18Fp8KVCacheDataTypeE0ELb0ELi512EEEvPfS2_PT_PKS3_PKT0_S9_ifPKiSB_iPKfiiiSD_SD_iiiii
	.globl	_ZN4vllm25paged_attention_v2_kernelIttLi96ELi32ELi128ELNS_18Fp8KVCacheDataTypeE0ELb0ELi512EEEvPfS2_PT_PKS3_PKT0_S9_ifPKiSB_iPKfiiiSD_SD_iiiii
	.p2align	8
	.type	_ZN4vllm25paged_attention_v2_kernelIttLi96ELi32ELi128ELNS_18Fp8KVCacheDataTypeE0ELb0ELi512EEEvPfS2_PT_PKS3_PKT0_S9_ifPKiSB_iPKfiiiSD_SD_iiiii,@function
_ZN4vllm25paged_attention_v2_kernelIttLi96ELi32ELi128ELNS_18Fp8KVCacheDataTypeE0ELb0ELi512EEEvPfS2_PT_PKS3_PKT0_S9_ifPKiSB_iPKfiiiSD_SD_iiiii: ; @_ZN4vllm25paged_attention_v2_kernelIttLi96ELi32ELi128ELNS_18Fp8KVCacheDataTypeE0ELb0ELi512EEEvPfS2_PT_PKS3_PKT0_S9_ifPKiSB_iPKfiiiSD_SD_iiiii
; %bb.0:
	s_load_dwordx2 s[0:1], s[4:5], 0x40
	s_mov_b32 s24, s7
	s_ashr_i32 s25, s7, 31
	s_lshl_b64 s[2:3], s[24:25], 2
	s_waitcnt lgkmcnt(0)
	s_add_u32 s0, s0, s2
	s_addc_u32 s1, s1, s3
	s_lshl_b32 s30, s8, 9
	s_load_dword s25, s[0:1], 0x0
	s_waitcnt lgkmcnt(0)
	s_cmp_ge_i32 s30, s25
	s_cbranch_scc1 .LBB120_90
; %bb.1:
	s_clause 0x1
	s_load_dword s9, s[4:5], 0x90
	s_load_dwordx2 s[2:3], s[4:5], 0x30
	s_mov_b32 s31, 0
	s_waitcnt lgkmcnt(0)
	s_abs_i32 s10, s9
	s_abs_i32 s0, s2
	s_xor_b32 s2, s9, s2
	v_cvt_f32_u32_e32 v1, s0
	s_sub_i32 s7, 0, s0
	s_ashr_i32 s2, s2, 31
	v_rcp_iflag_f32_e32 v1, v1
	v_mul_f32_e32 v1, 0x4f7ffffe, v1
	v_cvt_u32_f32_e32 v1, v1
	v_readfirstlane_b32 s1, v1
	s_mul_i32 s7, s7, s1
	s_mul_hi_u32 s7, s1, s7
	s_add_i32 s1, s1, s7
	s_mul_hi_u32 s1, s10, s1
	s_mul_i32 s7, s1, s0
	s_sub_i32 s7, s10, s7
	s_add_i32 s10, s1, 1
	s_sub_i32 s11, s7, s0
	s_cmp_ge_u32 s7, s0
	s_cselect_b32 s1, s10, s1
	s_cselect_b32 s7, s11, s7
	s_add_i32 s10, s1, 1
	s_cmp_ge_u32 s7, s0
	s_cselect_b32 s0, s10, s1
	s_abs_i32 s33, s6
	s_xor_b32 s0, s0, s2
	s_sub_i32 s2, s0, s2
	s_load_dwordx2 s[0:1], s[4:5], 0x50
	s_abs_i32 s28, s2
	v_cvt_f32_u32_e32 v1, s28
	s_sub_i32 s10, 0, s28
	v_rcp_iflag_f32_e32 v1, v1
	v_mul_f32_e32 v1, 0x4f7ffffe, v1
	v_cvt_u32_f32_e32 v1, v1
	v_readfirstlane_b32 s7, v1
	s_mul_i32 s10, s10, s7
	s_mul_hi_u32 s10, s7, s10
	s_add_i32 s7, s7, s10
	s_waitcnt lgkmcnt(0)
	s_cmp_eq_u64 s[0:1], 0
	s_mul_hi_u32 s29, s33, s7
	s_cbranch_scc1 .LBB120_3
; %bb.2:
	s_ashr_i32 s7, s6, 31
	s_lshl_b64 s[10:11], s[6:7], 2
	s_add_u32 s0, s0, s10
	s_addc_u32 s1, s1, s11
	s_load_dword s31, s[0:1], 0x0
.LBB120_3:
	s_clause 0x1
	s_load_dwordx2 s[22:23], s[4:5], 0x38
	s_load_dwordx4 s[12:15], s[4:5], 0x58
	v_lshlrev_b32_e32 v55, 4, v0
	s_ashr_i32 s0, s6, 31
	s_ashr_i32 s1, s2, 31
	s_mul_i32 s10, s6, 0x60
	s_mov_b32 s2, exec_lo
	v_cmpx_gt_u32_e32 12, v0
	s_cbranch_execz .LBB120_5
; %bb.4:
	s_load_dwordx2 s[16:17], s[4:5], 0x18
	s_waitcnt lgkmcnt(0)
	s_mul_i32 s18, s12, s24
	s_ashr_i32 s19, s18, 31
	s_lshl_b64 s[18:19], s[18:19], 1
	s_add_u32 s7, s16, s18
	s_addc_u32 s12, s17, s19
	s_ashr_i32 s11, s10, 31
	s_lshl_b64 s[16:17], s[10:11], 1
	s_add_u32 s16, s7, s16
	s_addc_u32 s17, s12, s17
	global_load_dwordx4 v[1:4], v55, s[16:17]
	s_waitcnt vmcnt(0)
	ds_write_b128 v55, v[1:4]
.LBB120_5:
	s_or_b32 exec_lo, exec_lo, s2
	s_add_i32 s7, s25, 31
	s_clause 0x1
	s_load_dwordx4 s[16:19], s[4:5], 0x0
	s_load_dwordx2 s[20:21], s[4:5], 0x10
	s_ashr_i32 s2, s7, 31
	s_mul_i32 s34, s29, s28
	s_lshr_b32 s11, s2, 27
	s_lshl_b32 s2, s8, 4
	s_add_i32 s7, s7, s11
	s_add_i32 s11, s2, 16
	s_waitcnt lgkmcnt(0)
	s_ashr_i32 s12, s7, 5
	s_clause 0x2
	s_load_dwordx2 s[26:27], s[4:5], 0x28
	s_load_dword s7, s[4:5], 0x98
	s_load_dword s15, s[4:5], 0x48
	s_xor_b32 s0, s0, s1
	s_sub_i32 s1, s33, s34
	s_min_i32 s11, s11, s12
	s_add_i32 s33, s29, 1
	s_sub_i32 s34, s1, s28
	s_cmp_ge_u32 s1, s28
	v_lshrrev_b32_e32 v53, 5, v0
	s_cselect_b32 s29, s33, s29
	s_cselect_b32 s1, s34, s1
	s_add_i32 s33, s29, 1
	s_cmp_ge_u32 s1, s28
	v_add_nc_u32_e32 v49, s2, v53
	v_and_b32_e32 v54, 31, v0
	s_cselect_b32 s1, s33, s29
	v_mov_b32_e32 v57, 0xff7fffff
	s_xor_b32 s1, s1, s0
	v_ashrrev_i32_e32 v50, 31, v49
	s_sub_i32 s1, s1, s0
	v_cmp_gt_i32_e64 s0, s11, v49
	v_lshlrev_b32_e32 v56, 2, v54
	s_waitcnt lgkmcnt(0)
	s_mul_i32 s28, s15, s24
	s_mul_i32 s14, s1, s14
	s_ashr_i32 s29, s28, 31
	s_barrier
	buffer_gl0_inv
	s_and_saveexec_b32 s33, s0
	s_cbranch_execz .LBB120_9
; %bb.6:
	s_load_dwordx2 s[4:5], s[4:5], 0x20
	s_ashr_i32 s15, s14, 31
	v_lshlrev_b32_e32 v3, 4, v54
	s_lshl_b64 s[34:35], s[14:15], 1
	v_lshlrev_b64 v[1:2], 2, v[49:50]
	v_lshlrev_b32_e32 v4, 5, v53
	v_lshl_or_b32 v5, v53, 7, v56
	v_mov_b32_e32 v58, 0
	v_cmp_neq_f32_e64 vcc_lo, s31, 0
	v_mov_b32_e32 v57, 0xff7fffff
	v_add3_u32 v59, s30, v4, v54
	v_add_nc_u32_e32 v60, 0xe0, v5
	v_mov_b32_e32 v63, v49
	s_mov_b32 s15, s13
	s_waitcnt lgkmcnt(0)
	s_add_u32 s1, s4, s34
	s_addc_u32 s5, s5, s35
	s_lshl_b64 s[34:35], s[28:29], 2
	v_add_co_u32 v61, s1, s1, v3
	s_sub_i32 s4, 1, s25
	v_add_co_ci_u32_e64 v62, null, s5, 0, s1
	s_add_u32 s1, s22, s34
	s_addc_u32 s5, s23, s35
	v_add_co_u32 v51, s1, s1, v1
	v_add_co_ci_u32_e64 v52, null, s5, v2, s1
	s_mov_b32 s5, 0
.LBB120_7:                              ; =>This Inner Loop Header: Depth=1
	global_load_dword v1, v[51:52], off
	v_add_nc_u32_e32 v3, s4, v59
	v_add_nc_u32_e32 v63, 4, v63
	v_cvt_f32_i32_e32 v3, v3
	v_mul_f32_e32 v3, s31, v3
	v_cndmask_b32_e32 v64, 0, v3, vcc_lo
	s_waitcnt vmcnt(0)
	v_mad_i64_i32 v[1:2], null, v1, s15, 0
	v_lshlrev_b64 v[1:2], 1, v[1:2]
	v_add_co_u32 v1, s1, v61, v1
	v_add_co_ci_u32_e64 v2, null, v62, v2, s1
	s_clause 0x3
	global_load_dwordx4 v[45:48], v[1:2], off
	global_load_dwordx4 v[41:44], v[1:2], off offset:512
	global_load_dwordx4 v[37:40], v[1:2], off offset:1024
	;; [unrolled: 1-line block ×3, first 2 shown]
	v_add_co_u32 v3, s1, 0x800, v1
	v_add_co_ci_u32_e64 v4, null, 0, v2, s1
	v_add_co_u32 v5, s1, v1, 0x1000
	v_add_co_ci_u32_e64 v6, null, 0, v2, s1
	s_clause 0x3
	global_load_dwordx4 v[29:32], v[5:6], off offset:-2048
	global_load_dwordx4 v[25:28], v[3:4], off offset:512
	global_load_dwordx4 v[21:24], v[3:4], off offset:1024
	;; [unrolled: 1-line block ×3, first 2 shown]
	v_add_co_u32 v1, s1, 0x1000, v1
	v_add_co_ci_u32_e64 v2, null, 0, v2, s1
	s_clause 0x3
	global_load_dwordx4 v[13:16], v[5:6], off
	global_load_dwordx4 v[9:12], v[1:2], off offset:512
	global_load_dwordx4 v[5:8], v[1:2], off offset:1024
	;; [unrolled: 1-line block ×3, first 2 shown]
	ds_read_b128 v[65:68], v58
	v_cmp_gt_i32_e64 s1, s25, v59
	v_add_nc_u32_e32 v59, 0x80, v59
	s_waitcnt lgkmcnt(0)
	v_lshrrev_b32_e32 v69, 16, v65
	v_and_b32_e32 v65, 0xffff, v65
	;;#ASMSTART
	v_cvt_f32_f16 v65, v65;
	;;#ASMEND
	;;#ASMSTART
	v_cvt_f32_f16 v69, v69;
	;;#ASMEND
	s_waitcnt vmcnt(11)
	v_lshrrev_b32_e32 v71, 16, v45
	v_and_b32_e32 v45, 0xffff, v45
	;;#ASMSTART
	v_cvt_f32_f16 v70, v45;
	;;#ASMEND
	v_lshrrev_b32_e32 v45, 16, v66
	v_and_b32_e32 v66, 0xffff, v66
	;;#ASMSTART
	v_cvt_f32_f16 v71, v71;
	;;#ASMEND
	;;#ASMSTART
	v_cvt_f32_f16 v66, v66;
	;;#ASMEND
	;; [unrolled: 3-line block ×3, first 2 shown]
	v_lshrrev_b32_e32 v45, 16, v46
	v_and_b32_e32 v46, 0xffff, v46
	;;#ASMSTART
	v_cvt_f32_f16 v73, v46;
	;;#ASMEND
	;;#ASMSTART
	v_cvt_f32_f16 v74, v45;
	;;#ASMEND
	v_lshrrev_b32_e32 v45, 16, v67
	v_and_b32_e32 v46, 0xffff, v67
	;;#ASMSTART
	v_cvt_f32_f16 v67, v46;
	;;#ASMEND
	;;#ASMSTART
	v_cvt_f32_f16 v75, v45;
	;;#ASMEND
	;; [unrolled: 8-line block ×5, first 2 shown]
	ds_read_b128 v[45:48], v58 offset:16
	s_waitcnt vmcnt(10)
	v_lshrrev_b32_e32 v82, 16, v41
	v_and_b32_e32 v41, 0xffff, v41
	s_waitcnt lgkmcnt(0)
	v_lshrrev_b32_e32 v81, 16, v45
	v_and_b32_e32 v45, 0xffff, v45
	;;#ASMSTART
	v_cvt_f32_f16 v45, v45;
	;;#ASMEND
	;;#ASMSTART
	v_cvt_f32_f16 v81, v81;
	;;#ASMEND
	;;#ASMSTART
	v_cvt_f32_f16 v41, v41;
	;;#ASMEND
	;;#ASMSTART
	v_cvt_f32_f16 v82, v82;
	;;#ASMEND
	v_mul_f32_e32 v41, v45, v41
	v_mul_f32_e32 v45, v81, v82
	v_fmac_f32_e32 v41, v65, v70
	v_fmac_f32_e32 v45, v69, v71
	v_lshrrev_b32_e32 v65, 16, v46
	v_and_b32_e32 v46, 0xffff, v46
	v_lshrrev_b32_e32 v69, 16, v42
	v_and_b32_e32 v42, 0xffff, v42
	;;#ASMSTART
	v_cvt_f32_f16 v46, v46;
	;;#ASMEND
	;;#ASMSTART
	v_cvt_f32_f16 v65, v65;
	;;#ASMEND
	;; [unrolled: 3-line block ×3, first 2 shown]
	v_mul_f32_e32 v42, v46, v42
	;;#ASMSTART
	v_cvt_f32_f16 v69, v69;
	;;#ASMEND
	v_mul_f32_e32 v46, v65, v69
	v_lshrrev_b32_e32 v65, 16, v47
	v_and_b32_e32 v47, 0xffff, v47
	v_fmac_f32_e32 v42, v66, v73
	v_lshrrev_b32_e32 v66, 16, v43
	v_and_b32_e32 v43, 0xffff, v43
	;;#ASMSTART
	v_cvt_f32_f16 v47, v47;
	;;#ASMEND
	;;#ASMSTART
	v_cvt_f32_f16 v65, v65;
	;;#ASMEND
	;; [unrolled: 3-line block ×4, first 2 shown]
	v_mul_f32_e32 v43, v47, v43
	v_mul_f32_e32 v47, v65, v66
	v_lshrrev_b32_e32 v65, 16, v48
	v_and_b32_e32 v48, 0xffff, v48
	v_lshrrev_b32_e32 v66, 16, v44
	v_and_b32_e32 v44, 0xffff, v44
	;;#ASMSTART
	v_cvt_f32_f16 v48, v48;
	;;#ASMEND
	;;#ASMSTART
	v_cvt_f32_f16 v65, v65;
	;;#ASMEND
	;; [unrolled: 3-line block ×3, first 2 shown]
	v_mul_f32_e32 v44, v48, v44
	;;#ASMSTART
	v_cvt_f32_f16 v66, v66;
	;;#ASMEND
	v_fmac_f32_e32 v43, v67, v76
	v_mul_f32_e32 v48, v65, v66
	v_fmac_f32_e32 v46, v72, v74
	v_fmac_f32_e32 v44, v68, v79
	ds_read_b128 v[65:68], v58 offset:32
	s_waitcnt vmcnt(9)
	v_lshrrev_b32_e32 v70, 16, v37
	v_and_b32_e32 v37, 0xffff, v37
	v_fmac_f32_e32 v47, v75, v77
	v_fmac_f32_e32 v48, v78, v80
	s_waitcnt lgkmcnt(0)
	v_lshrrev_b32_e32 v69, 16, v65
	v_and_b32_e32 v65, 0xffff, v65
	;;#ASMSTART
	v_cvt_f32_f16 v65, v65;
	;;#ASMEND
	;;#ASMSTART
	v_cvt_f32_f16 v69, v69;
	;;#ASMEND
	;; [unrolled: 3-line block ×3, first 2 shown]
	v_fmac_f32_e32 v41, v65, v37
	v_lshrrev_b32_e32 v65, 16, v66
	v_and_b32_e32 v37, 0xffff, v66
	v_lshrrev_b32_e32 v66, 16, v38
	v_and_b32_e32 v38, 0xffff, v38
	;;#ASMSTART
	v_cvt_f32_f16 v70, v70;
	;;#ASMEND
	;;#ASMSTART
	v_cvt_f32_f16 v37, v37;
	;;#ASMEND
	;; [unrolled: 3-line block ×5, first 2 shown]
	v_fmac_f32_e32 v42, v37, v38
	v_fmac_f32_e32 v46, v65, v66
	v_lshrrev_b32_e32 v38, 16, v67
	v_and_b32_e32 v37, 0xffff, v67
	v_lshrrev_b32_e32 v65, 16, v39
	v_and_b32_e32 v39, 0xffff, v39
	;;#ASMSTART
	v_cvt_f32_f16 v37, v37;
	;;#ASMEND
	;;#ASMSTART
	v_cvt_f32_f16 v38, v38;
	;;#ASMEND
	;; [unrolled: 3-line block ×4, first 2 shown]
	v_fmac_f32_e32 v43, v37, v39
	v_fmac_f32_e32 v47, v38, v65
	v_lshrrev_b32_e32 v38, 16, v68
	v_and_b32_e32 v37, 0xffff, v68
	v_and_b32_e32 v39, 0xffff, v40
	;;#ASMSTART
	v_cvt_f32_f16 v37, v37;
	;;#ASMEND
	;;#ASMSTART
	v_cvt_f32_f16 v38, v38;
	;;#ASMEND
	v_lshrrev_b32_e32 v65, 16, v40
	;;#ASMSTART
	v_cvt_f32_f16 v39, v39;
	;;#ASMEND
	;;#ASMSTART
	v_cvt_f32_f16 v40, v65;
	;;#ASMEND
	v_fmac_f32_e32 v44, v37, v39
	v_fmac_f32_e32 v48, v38, v40
	ds_read_b128 v[37:40], v58 offset:48
	s_waitcnt vmcnt(8)
	v_lshrrev_b32_e32 v66, 16, v33
	v_and_b32_e32 v33, 0xffff, v33
	v_fmac_f32_e32 v45, v69, v70
	s_waitcnt lgkmcnt(0)
	v_lshrrev_b32_e32 v65, 16, v37
	v_and_b32_e32 v37, 0xffff, v37
	;;#ASMSTART
	v_cvt_f32_f16 v37, v37;
	;;#ASMEND
	;;#ASMSTART
	v_cvt_f32_f16 v65, v65;
	;;#ASMEND
	;; [unrolled: 3-line block ×3, first 2 shown]
	v_fmac_f32_e32 v41, v37, v33
	v_lshrrev_b32_e32 v37, 16, v38
	v_and_b32_e32 v33, 0xffff, v38
	v_lshrrev_b32_e32 v38, 16, v34
	v_and_b32_e32 v34, 0xffff, v34
	;;#ASMSTART
	v_cvt_f32_f16 v66, v66;
	;;#ASMEND
	;;#ASMSTART
	v_cvt_f32_f16 v33, v33;
	;;#ASMEND
	;; [unrolled: 3-line block ×5, first 2 shown]
	v_fmac_f32_e32 v42, v33, v34
	v_fmac_f32_e32 v46, v37, v38
	v_lshrrev_b32_e32 v34, 16, v39
	v_and_b32_e32 v33, 0xffff, v39
	v_lshrrev_b32_e32 v37, 16, v35
	v_and_b32_e32 v35, 0xffff, v35
	;;#ASMSTART
	v_cvt_f32_f16 v33, v33;
	;;#ASMEND
	;;#ASMSTART
	v_cvt_f32_f16 v34, v34;
	;;#ASMEND
	;; [unrolled: 3-line block ×4, first 2 shown]
	v_fmac_f32_e32 v43, v33, v35
	v_fmac_f32_e32 v47, v34, v37
	v_lshrrev_b32_e32 v34, 16, v40
	v_and_b32_e32 v33, 0xffff, v40
	v_and_b32_e32 v35, 0xffff, v36
	;;#ASMSTART
	v_cvt_f32_f16 v33, v33;
	;;#ASMEND
	;;#ASMSTART
	v_cvt_f32_f16 v34, v34;
	;;#ASMEND
	v_lshrrev_b32_e32 v37, 16, v36
	;;#ASMSTART
	v_cvt_f32_f16 v35, v35;
	;;#ASMEND
	;;#ASMSTART
	v_cvt_f32_f16 v36, v37;
	;;#ASMEND
	v_fmac_f32_e32 v44, v33, v35
	v_fmac_f32_e32 v48, v34, v36
	ds_read_b128 v[33:36], v58 offset:64
	s_waitcnt vmcnt(7)
	v_lshrrev_b32_e32 v38, 16, v29
	v_and_b32_e32 v29, 0xffff, v29
	v_fmac_f32_e32 v45, v65, v66
	s_waitcnt lgkmcnt(0)
	v_lshrrev_b32_e32 v37, 16, v33
	v_and_b32_e32 v33, 0xffff, v33
	;;#ASMSTART
	v_cvt_f32_f16 v33, v33;
	;;#ASMEND
	;;#ASMSTART
	v_cvt_f32_f16 v37, v37;
	;;#ASMEND
	;;#ASMSTART
	v_cvt_f32_f16 v29, v29;
	;;#ASMEND
	v_fmac_f32_e32 v41, v33, v29
	v_lshrrev_b32_e32 v33, 16, v34
	v_and_b32_e32 v29, 0xffff, v34
	v_lshrrev_b32_e32 v34, 16, v30
	v_and_b32_e32 v30, 0xffff, v30
	;;#ASMSTART
	v_cvt_f32_f16 v38, v38;
	;;#ASMEND
	;;#ASMSTART
	v_cvt_f32_f16 v29, v29;
	;;#ASMEND
	;; [unrolled: 3-line block ×5, first 2 shown]
	v_fmac_f32_e32 v42, v29, v30
	v_fmac_f32_e32 v46, v33, v34
	v_lshrrev_b32_e32 v30, 16, v35
	v_and_b32_e32 v29, 0xffff, v35
	v_lshrrev_b32_e32 v33, 16, v31
	v_and_b32_e32 v31, 0xffff, v31
	;;#ASMSTART
	v_cvt_f32_f16 v29, v29;
	;;#ASMEND
	;;#ASMSTART
	v_cvt_f32_f16 v30, v30;
	;;#ASMEND
	;; [unrolled: 3-line block ×4, first 2 shown]
	v_fmac_f32_e32 v43, v29, v31
	v_fmac_f32_e32 v47, v30, v33
	v_lshrrev_b32_e32 v30, 16, v36
	v_and_b32_e32 v29, 0xffff, v36
	v_and_b32_e32 v31, 0xffff, v32
	;;#ASMSTART
	v_cvt_f32_f16 v29, v29;
	;;#ASMEND
	;;#ASMSTART
	v_cvt_f32_f16 v30, v30;
	;;#ASMEND
	v_lshrrev_b32_e32 v33, 16, v32
	;;#ASMSTART
	v_cvt_f32_f16 v31, v31;
	;;#ASMEND
	;;#ASMSTART
	v_cvt_f32_f16 v32, v33;
	;;#ASMEND
	v_fmac_f32_e32 v44, v29, v31
	v_fmac_f32_e32 v48, v30, v32
	ds_read_b128 v[29:32], v58 offset:80
	s_waitcnt vmcnt(6)
	v_lshrrev_b32_e32 v34, 16, v25
	v_and_b32_e32 v25, 0xffff, v25
	v_fmac_f32_e32 v45, v37, v38
	s_waitcnt lgkmcnt(0)
	v_lshrrev_b32_e32 v33, 16, v29
	v_and_b32_e32 v29, 0xffff, v29
	;;#ASMSTART
	v_cvt_f32_f16 v29, v29;
	;;#ASMEND
	;;#ASMSTART
	v_cvt_f32_f16 v33, v33;
	;;#ASMEND
	;; [unrolled: 3-line block ×3, first 2 shown]
	v_fmac_f32_e32 v41, v29, v25
	v_lshrrev_b32_e32 v29, 16, v30
	v_and_b32_e32 v25, 0xffff, v30
	v_lshrrev_b32_e32 v30, 16, v26
	v_and_b32_e32 v26, 0xffff, v26
	;;#ASMSTART
	v_cvt_f32_f16 v34, v34;
	;;#ASMEND
	;;#ASMSTART
	v_cvt_f32_f16 v25, v25;
	;;#ASMEND
	;; [unrolled: 3-line block ×5, first 2 shown]
	v_fmac_f32_e32 v42, v25, v26
	v_fmac_f32_e32 v46, v29, v30
	v_lshrrev_b32_e32 v26, 16, v31
	v_and_b32_e32 v25, 0xffff, v31
	v_lshrrev_b32_e32 v29, 16, v27
	v_and_b32_e32 v27, 0xffff, v27
	;;#ASMSTART
	v_cvt_f32_f16 v25, v25;
	;;#ASMEND
	;;#ASMSTART
	v_cvt_f32_f16 v26, v26;
	;;#ASMEND
	;; [unrolled: 3-line block ×4, first 2 shown]
	v_fmac_f32_e32 v43, v25, v27
	v_fmac_f32_e32 v47, v26, v29
	v_lshrrev_b32_e32 v26, 16, v32
	v_and_b32_e32 v25, 0xffff, v32
	v_and_b32_e32 v27, 0xffff, v28
	;;#ASMSTART
	v_cvt_f32_f16 v25, v25;
	;;#ASMEND
	;;#ASMSTART
	v_cvt_f32_f16 v26, v26;
	;;#ASMEND
	v_lshrrev_b32_e32 v29, 16, v28
	;;#ASMSTART
	v_cvt_f32_f16 v27, v27;
	;;#ASMEND
	;;#ASMSTART
	v_cvt_f32_f16 v28, v29;
	;;#ASMEND
	v_fmac_f32_e32 v44, v25, v27
	v_fmac_f32_e32 v48, v26, v28
	ds_read_b128 v[25:28], v58 offset:96
	s_waitcnt vmcnt(5)
	v_lshrrev_b32_e32 v30, 16, v21
	v_and_b32_e32 v21, 0xffff, v21
	v_fmac_f32_e32 v45, v33, v34
	s_waitcnt lgkmcnt(0)
	v_lshrrev_b32_e32 v29, 16, v25
	v_and_b32_e32 v25, 0xffff, v25
	;;#ASMSTART
	v_cvt_f32_f16 v25, v25;
	;;#ASMEND
	;;#ASMSTART
	v_cvt_f32_f16 v29, v29;
	;;#ASMEND
	;; [unrolled: 3-line block ×3, first 2 shown]
	v_fmac_f32_e32 v41, v25, v21
	v_lshrrev_b32_e32 v25, 16, v26
	v_and_b32_e32 v21, 0xffff, v26
	v_lshrrev_b32_e32 v26, 16, v22
	v_and_b32_e32 v22, 0xffff, v22
	;;#ASMSTART
	v_cvt_f32_f16 v30, v30;
	;;#ASMEND
	;;#ASMSTART
	v_cvt_f32_f16 v21, v21;
	;;#ASMEND
	;; [unrolled: 3-line block ×5, first 2 shown]
	v_fmac_f32_e32 v42, v21, v22
	v_fmac_f32_e32 v46, v25, v26
	v_lshrrev_b32_e32 v22, 16, v27
	v_and_b32_e32 v21, 0xffff, v27
	v_lshrrev_b32_e32 v25, 16, v23
	v_and_b32_e32 v23, 0xffff, v23
	;;#ASMSTART
	v_cvt_f32_f16 v21, v21;
	;;#ASMEND
	;;#ASMSTART
	v_cvt_f32_f16 v22, v22;
	;;#ASMEND
	;; [unrolled: 3-line block ×4, first 2 shown]
	v_fmac_f32_e32 v43, v21, v23
	v_fmac_f32_e32 v47, v22, v25
	v_lshrrev_b32_e32 v22, 16, v28
	v_and_b32_e32 v21, 0xffff, v28
	v_and_b32_e32 v23, 0xffff, v24
	;;#ASMSTART
	v_cvt_f32_f16 v21, v21;
	;;#ASMEND
	;;#ASMSTART
	v_cvt_f32_f16 v22, v22;
	;;#ASMEND
	v_lshrrev_b32_e32 v25, 16, v24
	;;#ASMSTART
	v_cvt_f32_f16 v23, v23;
	;;#ASMEND
	;;#ASMSTART
	v_cvt_f32_f16 v24, v25;
	;;#ASMEND
	v_fmac_f32_e32 v44, v21, v23
	v_fmac_f32_e32 v48, v22, v24
	ds_read_b128 v[21:24], v58 offset:112
	s_waitcnt vmcnt(4)
	v_lshrrev_b32_e32 v26, 16, v17
	v_and_b32_e32 v17, 0xffff, v17
	v_fmac_f32_e32 v45, v29, v30
	s_waitcnt lgkmcnt(0)
	v_lshrrev_b32_e32 v25, 16, v21
	v_and_b32_e32 v21, 0xffff, v21
	;;#ASMSTART
	v_cvt_f32_f16 v21, v21;
	;;#ASMEND
	;;#ASMSTART
	v_cvt_f32_f16 v25, v25;
	;;#ASMEND
	;; [unrolled: 3-line block ×3, first 2 shown]
	v_fmac_f32_e32 v41, v21, v17
	v_lshrrev_b32_e32 v21, 16, v22
	v_and_b32_e32 v17, 0xffff, v22
	v_lshrrev_b32_e32 v22, 16, v18
	v_and_b32_e32 v18, 0xffff, v18
	;;#ASMSTART
	v_cvt_f32_f16 v26, v26;
	;;#ASMEND
	;;#ASMSTART
	v_cvt_f32_f16 v17, v17;
	;;#ASMEND
	;; [unrolled: 3-line block ×5, first 2 shown]
	v_fmac_f32_e32 v42, v17, v18
	v_fmac_f32_e32 v46, v21, v22
	v_lshrrev_b32_e32 v18, 16, v23
	v_and_b32_e32 v17, 0xffff, v23
	v_lshrrev_b32_e32 v21, 16, v19
	v_and_b32_e32 v19, 0xffff, v19
	;;#ASMSTART
	v_cvt_f32_f16 v17, v17;
	;;#ASMEND
	;;#ASMSTART
	v_cvt_f32_f16 v18, v18;
	;;#ASMEND
	;; [unrolled: 3-line block ×4, first 2 shown]
	v_fmac_f32_e32 v43, v17, v19
	v_fmac_f32_e32 v47, v18, v21
	v_lshrrev_b32_e32 v18, 16, v24
	v_and_b32_e32 v17, 0xffff, v24
	v_and_b32_e32 v19, 0xffff, v20
	;;#ASMSTART
	v_cvt_f32_f16 v17, v17;
	;;#ASMEND
	;;#ASMSTART
	v_cvt_f32_f16 v18, v18;
	;;#ASMEND
	v_lshrrev_b32_e32 v21, 16, v20
	;;#ASMSTART
	v_cvt_f32_f16 v19, v19;
	;;#ASMEND
	;;#ASMSTART
	v_cvt_f32_f16 v20, v21;
	;;#ASMEND
	v_fmac_f32_e32 v44, v17, v19
	v_fmac_f32_e32 v48, v18, v20
	ds_read_b128 v[17:20], v58 offset:128
	s_waitcnt vmcnt(3)
	v_lshrrev_b32_e32 v22, 16, v13
	v_and_b32_e32 v13, 0xffff, v13
	v_fmac_f32_e32 v45, v25, v26
	s_waitcnt lgkmcnt(0)
	v_lshrrev_b32_e32 v21, 16, v17
	v_and_b32_e32 v17, 0xffff, v17
	;;#ASMSTART
	v_cvt_f32_f16 v17, v17;
	;;#ASMEND
	;;#ASMSTART
	v_cvt_f32_f16 v21, v21;
	;;#ASMEND
	;; [unrolled: 3-line block ×3, first 2 shown]
	v_fmac_f32_e32 v41, v17, v13
	v_lshrrev_b32_e32 v17, 16, v18
	v_and_b32_e32 v13, 0xffff, v18
	v_lshrrev_b32_e32 v18, 16, v14
	v_and_b32_e32 v14, 0xffff, v14
	;;#ASMSTART
	v_cvt_f32_f16 v22, v22;
	;;#ASMEND
	;;#ASMSTART
	v_cvt_f32_f16 v13, v13;
	;;#ASMEND
	;; [unrolled: 3-line block ×5, first 2 shown]
	v_fmac_f32_e32 v42, v13, v14
	v_fmac_f32_e32 v46, v17, v18
	v_lshrrev_b32_e32 v14, 16, v19
	v_and_b32_e32 v13, 0xffff, v19
	v_lshrrev_b32_e32 v17, 16, v15
	v_and_b32_e32 v15, 0xffff, v15
	;;#ASMSTART
	v_cvt_f32_f16 v13, v13;
	;;#ASMEND
	;;#ASMSTART
	v_cvt_f32_f16 v14, v14;
	;;#ASMEND
	;; [unrolled: 3-line block ×4, first 2 shown]
	v_fmac_f32_e32 v43, v13, v15
	v_fmac_f32_e32 v47, v14, v17
	v_lshrrev_b32_e32 v14, 16, v20
	v_and_b32_e32 v13, 0xffff, v20
	v_and_b32_e32 v15, 0xffff, v16
	;;#ASMSTART
	v_cvt_f32_f16 v13, v13;
	;;#ASMEND
	;;#ASMSTART
	v_cvt_f32_f16 v14, v14;
	;;#ASMEND
	v_lshrrev_b32_e32 v17, 16, v16
	;;#ASMSTART
	v_cvt_f32_f16 v15, v15;
	;;#ASMEND
	;;#ASMSTART
	v_cvt_f32_f16 v16, v17;
	;;#ASMEND
	v_fmac_f32_e32 v44, v13, v15
	v_fmac_f32_e32 v48, v14, v16
	ds_read_b128 v[13:16], v58 offset:144
	s_waitcnt vmcnt(2)
	v_lshrrev_b32_e32 v18, 16, v9
	v_and_b32_e32 v9, 0xffff, v9
	v_fmac_f32_e32 v45, v21, v22
	s_waitcnt lgkmcnt(0)
	v_lshrrev_b32_e32 v17, 16, v13
	v_and_b32_e32 v13, 0xffff, v13
	;;#ASMSTART
	v_cvt_f32_f16 v13, v13;
	;;#ASMEND
	;;#ASMSTART
	v_cvt_f32_f16 v17, v17;
	;;#ASMEND
	;; [unrolled: 3-line block ×3, first 2 shown]
	v_fmac_f32_e32 v41, v13, v9
	v_lshrrev_b32_e32 v13, 16, v14
	v_and_b32_e32 v9, 0xffff, v14
	v_lshrrev_b32_e32 v14, 16, v10
	v_and_b32_e32 v10, 0xffff, v10
	;;#ASMSTART
	v_cvt_f32_f16 v18, v18;
	;;#ASMEND
	;;#ASMSTART
	v_cvt_f32_f16 v9, v9;
	;;#ASMEND
	;; [unrolled: 3-line block ×5, first 2 shown]
	v_fmac_f32_e32 v42, v9, v10
	v_fmac_f32_e32 v46, v13, v14
	v_lshrrev_b32_e32 v10, 16, v15
	v_and_b32_e32 v9, 0xffff, v15
	v_lshrrev_b32_e32 v13, 16, v11
	v_and_b32_e32 v11, 0xffff, v11
	;;#ASMSTART
	v_cvt_f32_f16 v9, v9;
	;;#ASMEND
	;;#ASMSTART
	v_cvt_f32_f16 v10, v10;
	;;#ASMEND
	;; [unrolled: 3-line block ×4, first 2 shown]
	v_fmac_f32_e32 v43, v9, v11
	v_fmac_f32_e32 v47, v10, v13
	v_lshrrev_b32_e32 v10, 16, v16
	v_and_b32_e32 v9, 0xffff, v16
	v_and_b32_e32 v11, 0xffff, v12
	;;#ASMSTART
	v_cvt_f32_f16 v9, v9;
	;;#ASMEND
	;;#ASMSTART
	v_cvt_f32_f16 v10, v10;
	;;#ASMEND
	v_lshrrev_b32_e32 v13, 16, v12
	;;#ASMSTART
	v_cvt_f32_f16 v11, v11;
	;;#ASMEND
	;;#ASMSTART
	v_cvt_f32_f16 v12, v13;
	;;#ASMEND
	v_fmac_f32_e32 v44, v9, v11
	v_fmac_f32_e32 v48, v10, v12
	ds_read_b128 v[9:12], v58 offset:160
	s_waitcnt vmcnt(1)
	v_lshrrev_b32_e32 v14, 16, v5
	v_and_b32_e32 v5, 0xffff, v5
	v_fmac_f32_e32 v45, v17, v18
	s_waitcnt lgkmcnt(0)
	v_lshrrev_b32_e32 v13, 16, v9
	v_and_b32_e32 v9, 0xffff, v9
	;;#ASMSTART
	v_cvt_f32_f16 v9, v9;
	;;#ASMEND
	;;#ASMSTART
	v_cvt_f32_f16 v13, v13;
	;;#ASMEND
	;; [unrolled: 3-line block ×3, first 2 shown]
	v_fmac_f32_e32 v41, v9, v5
	v_lshrrev_b32_e32 v9, 16, v10
	v_and_b32_e32 v5, 0xffff, v10
	v_lshrrev_b32_e32 v10, 16, v6
	v_and_b32_e32 v6, 0xffff, v6
	;;#ASMSTART
	v_cvt_f32_f16 v14, v14;
	;;#ASMEND
	;;#ASMSTART
	v_cvt_f32_f16 v5, v5;
	;;#ASMEND
	;; [unrolled: 3-line block ×5, first 2 shown]
	v_fmac_f32_e32 v42, v5, v6
	v_fmac_f32_e32 v46, v9, v10
	v_lshrrev_b32_e32 v6, 16, v11
	v_and_b32_e32 v5, 0xffff, v11
	v_lshrrev_b32_e32 v9, 16, v7
	v_and_b32_e32 v7, 0xffff, v7
	;;#ASMSTART
	v_cvt_f32_f16 v5, v5;
	;;#ASMEND
	;;#ASMSTART
	v_cvt_f32_f16 v6, v6;
	;;#ASMEND
	;;#ASMSTART
	v_cvt_f32_f16 v7, v7;
	;;#ASMEND
	;;#ASMSTART
	v_cvt_f32_f16 v9, v9;
	;;#ASMEND
	v_fmac_f32_e32 v43, v5, v7
	v_fmac_f32_e32 v47, v6, v9
	v_lshrrev_b32_e32 v6, 16, v12
	v_and_b32_e32 v5, 0xffff, v12
	v_and_b32_e32 v7, 0xffff, v8
	;;#ASMSTART
	v_cvt_f32_f16 v5, v5;
	;;#ASMEND
	;;#ASMSTART
	v_cvt_f32_f16 v6, v6;
	;;#ASMEND
	v_lshrrev_b32_e32 v9, 16, v8
	;;#ASMSTART
	v_cvt_f32_f16 v7, v7;
	;;#ASMEND
	;;#ASMSTART
	v_cvt_f32_f16 v8, v9;
	;;#ASMEND
	v_fmac_f32_e32 v44, v5, v7
	v_fmac_f32_e32 v48, v6, v8
	ds_read_b128 v[5:8], v58 offset:176
	v_fmac_f32_e32 v45, v13, v14
	s_waitcnt vmcnt(0)
	v_lshrrev_b32_e32 v10, 16, v1
	v_and_b32_e32 v1, 0xffff, v1
	s_waitcnt lgkmcnt(0)
	v_lshrrev_b32_e32 v9, 16, v5
	v_and_b32_e32 v5, 0xffff, v5
	;;#ASMSTART
	v_cvt_f32_f16 v5, v5;
	;;#ASMEND
	;;#ASMSTART
	v_cvt_f32_f16 v9, v9;
	;;#ASMEND
	;; [unrolled: 3-line block ×3, first 2 shown]
	v_fmac_f32_e32 v41, v5, v1
	v_and_b32_e32 v1, 0xffff, v6
	;;#ASMSTART
	v_cvt_f32_f16 v10, v10;
	;;#ASMEND
	v_fmac_f32_e32 v45, v9, v10
	v_lshrrev_b32_e32 v5, 16, v6
	;;#ASMSTART
	v_cvt_f32_f16 v1, v1;
	;;#ASMEND
	v_lshrrev_b32_e32 v6, 16, v2
	v_and_b32_e32 v2, 0xffff, v2
	;;#ASMSTART
	v_cvt_f32_f16 v5, v5;
	;;#ASMEND
	;;#ASMSTART
	v_cvt_f32_f16 v2, v2;
	;;#ASMEND
	v_fmac_f32_e32 v42, v1, v2
	v_and_b32_e32 v1, 0xffff, v7
	;;#ASMSTART
	v_cvt_f32_f16 v6, v6;
	;;#ASMEND
	v_fmac_f32_e32 v46, v5, v6
	v_lshrrev_b32_e32 v2, 16, v7
	;;#ASMSTART
	v_cvt_f32_f16 v1, v1;
	;;#ASMEND
	v_lshrrev_b32_e32 v5, 16, v3
	v_and_b32_e32 v3, 0xffff, v3
	;;#ASMSTART
	v_cvt_f32_f16 v2, v2;
	;;#ASMEND
	;;#ASMSTART
	v_cvt_f32_f16 v3, v3;
	;;#ASMEND
	v_fmac_f32_e32 v43, v1, v3
	v_and_b32_e32 v1, 0xffff, v8
	;;#ASMSTART
	v_cvt_f32_f16 v5, v5;
	;;#ASMEND
	v_fmac_f32_e32 v47, v2, v5
	v_lshrrev_b32_e32 v2, 16, v8
	;;#ASMSTART
	v_cvt_f32_f16 v1, v1;
	;;#ASMEND
	v_and_b32_e32 v3, 0xffff, v4
	;;#ASMSTART
	v_cvt_f32_f16 v2, v2;
	;;#ASMEND
	;;#ASMSTART
	v_cvt_f32_f16 v3, v3;
	;;#ASMEND
	v_fmac_f32_e32 v44, v1, v3
	v_add_f32_e32 v1, v41, v45
	v_lshrrev_b32_e32 v5, 16, v4
	;;#ASMSTART
	v_cvt_f32_f16 v4, v5;
	;;#ASMEND
	v_fmac_f32_e32 v48, v2, v4
	v_add_f32_e32 v1, v1, v42
	v_add_f32_e32 v1, v46, v1
	;; [unrolled: 1-line block ×6, first 2 shown]
	v_fmac_f32_e32 v64, s3, v1
	v_cndmask_b32_e64 v1, 0, v64, s1
	ds_write_b32 v60, v1
	v_max_f32_e32 v1, v57, v57
	v_add_nc_u32_e32 v60, 0x200, v60
	v_max_f32_e32 v1, v1, v64
	v_cndmask_b32_e64 v57, v57, v1, s1
	v_add_co_u32 v51, s1, v51, 16
	v_add_co_ci_u32_e64 v52, null, 0, v52, s1
	v_cmp_le_i32_e64 s1, s11, v63
	s_or_b32 s5, s1, s5
	s_andn2_b32 exec_lo, exec_lo, s5
	s_cbranch_execnz .LBB120_7
; %bb.8:
	s_or_b32 exec_lo, exec_lo, s5
.LBB120_9:
	s_or_b32 exec_lo, exec_lo, s33
	v_mbcnt_lo_u32_b32 v1, -1, 0
	v_max_f32_e32 v5, v57, v57
	v_xor_b32_e32 v2, 16, v1
	v_xor_b32_e32 v4, 8, v1
	v_cmp_gt_i32_e32 vcc_lo, 32, v2
	v_cndmask_b32_e32 v2, v1, v2, vcc_lo
	v_cmp_gt_i32_e32 vcc_lo, 32, v4
	v_lshlrev_b32_e32 v2, 2, v2
	v_cndmask_b32_e32 v4, v1, v4, vcc_lo
	ds_bpermute_b32 v3, v2, v57
	s_waitcnt lgkmcnt(0)
	v_max_f32_e32 v6, v3, v3
	v_lshlrev_b32_e32 v3, 2, v4
	v_max_f32_e32 v4, v5, v6
	v_xor_b32_e32 v6, 4, v1
	ds_bpermute_b32 v5, v3, v4
	v_cmp_gt_i32_e32 vcc_lo, 32, v6
	v_cndmask_b32_e32 v6, v1, v6, vcc_lo
	s_waitcnt lgkmcnt(0)
	v_max_f32_e32 v7, v5, v5
	v_lshlrev_b32_e32 v5, 2, v6
	v_max_f32_e32 v4, v4, v7
	v_xor_b32_e32 v7, 2, v1
	ds_bpermute_b32 v6, v5, v4
	v_cmp_gt_i32_e32 vcc_lo, 32, v7
	v_cndmask_b32_e32 v7, v1, v7, vcc_lo
	v_lshlrev_b32_e32 v12, 2, v7
	v_xor_b32_e32 v7, 1, v1
	v_cmp_gt_i32_e32 vcc_lo, 32, v7
	s_waitcnt lgkmcnt(0)
	v_max_f32_e32 v6, v6, v6
	v_cndmask_b32_e32 v7, v1, v7, vcc_lo
	v_cmp_eq_u32_e32 vcc_lo, 0, v54
	v_max_f32_e32 v4, v4, v6
	v_lshlrev_b32_e32 v11, 2, v7
	ds_bpermute_b32 v6, v12, v4
	s_waitcnt lgkmcnt(0)
	v_max_f32_e32 v6, v6, v6
	v_max_f32_e32 v1, v4, v6
	v_lshlrev_b32_e32 v6, 2, v53
	ds_bpermute_b32 v4, v11, v1
	s_and_saveexec_b32 s1, vcc_lo
	s_cbranch_execz .LBB120_11
; %bb.10:
	s_waitcnt lgkmcnt(0)
	v_max_f32_e32 v4, v4, v4
	v_max_f32_e32 v1, v1, v1
	;; [unrolled: 1-line block ×3, first 2 shown]
	ds_write_b32 v6, v1 offset:192
.LBB120_11:
	s_or_b32 exec_lo, exec_lo, s1
	v_cmp_gt_u32_e64 s1, 4, v54
	v_mov_b32_e32 v1, 0xff7fffff
	s_waitcnt lgkmcnt(0)
	s_barrier
	buffer_gl0_inv
	s_and_saveexec_b32 s3, s1
; %bb.12:
	ds_read_b32 v1, v56 offset:192
; %bb.13:
	s_or_b32 exec_lo, exec_lo, s3
	s_waitcnt lgkmcnt(0)
	ds_bpermute_b32 v4, v12, v1
	v_max_f32_e32 v1, v1, v1
	v_mov_b32_e32 v7, 0
	s_sub_i32 s2, s11, s2
	s_lshl_b32 s2, s2, 5
	s_add_i32 s2, s2, s30
	s_min_i32 s2, s2, s25
	s_sub_i32 s4, s2, s30
	v_cmp_gt_i32_e64 s2, s4, v0
	s_waitcnt lgkmcnt(0)
	v_max_f32_e32 v4, v4, v4
	v_max_f32_e32 v1, v1, v4
	ds_bpermute_b32 v4, v11, v1
	s_waitcnt lgkmcnt(0)
	v_max_f32_e32 v4, v4, v4
	v_max_f32_e32 v1, v1, v4
	v_lshl_add_u32 v4, v0, 2, 0xe0
	ds_bpermute_b32 v1, v7, v1
	s_and_saveexec_b32 s5, s2
	s_cbranch_execz .LBB120_17
; %bb.14:
	v_lshl_add_u32 v8, v0, 2, 0xe0
	v_mov_b32_e32 v7, 0
	v_mov_b32_e32 v9, v0
	s_mov_b32 s15, 0
	.p2align	6
.LBB120_15:                             ; =>This Inner Loop Header: Depth=1
	ds_read_b32 v10, v8
	v_add_nc_u32_e32 v9, 0x80, v9
	v_cmp_le_i32_e64 s3, s4, v9
	s_or_b32 s15, s3, s15
	s_waitcnt lgkmcnt(0)
	v_sub_f32_e32 v10, v10, v1
	v_mul_f32_e32 v10, 0x3fb8aa3b, v10
	v_exp_f32_e32 v10, v10
	ds_write_b32 v8, v10
	v_add_f32_e32 v7, v7, v10
	v_add_nc_u32_e32 v8, 0x200, v8
	s_andn2_b32 exec_lo, exec_lo, s15
	s_cbranch_execnz .LBB120_15
; %bb.16:
	s_or_b32 exec_lo, exec_lo, s15
.LBB120_17:
	s_or_b32 exec_lo, exec_lo, s5
	ds_bpermute_b32 v2, v2, v7
	s_waitcnt lgkmcnt(0)
	v_add_f32_e32 v2, v7, v2
	ds_bpermute_b32 v3, v3, v2
	s_waitcnt lgkmcnt(0)
	v_add_f32_e32 v2, v2, v3
	;; [unrolled: 3-line block ×5, first 2 shown]
	s_and_saveexec_b32 s3, vcc_lo
; %bb.18:
	ds_write_b32 v6, v2 offset:208
; %bb.19:
	s_or_b32 exec_lo, exec_lo, s3
	s_waitcnt lgkmcnt(0)
	s_barrier
	buffer_gl0_inv
	s_and_saveexec_b32 s3, s1
; %bb.20:
	ds_read_b32 v2, v56 offset:208
; %bb.21:
	s_or_b32 exec_lo, exec_lo, s3
	s_waitcnt lgkmcnt(0)
	ds_bpermute_b32 v3, v12, v2
	s_waitcnt lgkmcnt(0)
	v_add_f32_e32 v2, v2, v3
	ds_bpermute_b32 v3, v11, v2
	s_waitcnt lgkmcnt(0)
	v_add_f32_e32 v2, v2, v3
	v_mov_b32_e32 v3, 0
	ds_bpermute_b32 v2, v3, v2
	s_and_saveexec_b32 s1, s2
	s_cbranch_execz .LBB120_24
; %bb.22:
	s_waitcnt lgkmcnt(0)
	v_add_f32_e32 v3, 0x358637bd, v2
	s_mov_b32 s2, 0
	v_div_scale_f32 v5, null, v3, v3, 1.0
	v_div_scale_f32 v8, vcc_lo, 1.0, v3, 1.0
	v_rcp_f32_e32 v6, v5
	v_fma_f32 v7, -v5, v6, 1.0
	v_fmac_f32_e32 v6, v7, v6
	v_mul_f32_e32 v7, v8, v6
	v_fma_f32 v9, -v5, v7, v8
	v_fmac_f32_e32 v7, v9, v6
	v_fma_f32 v5, -v5, v7, v8
	v_div_fmas_f32 v5, v5, v6, v7
	v_div_fixup_f32 v3, v5, v3, 1.0
	v_mov_b32_e32 v5, v0
.LBB120_23:                             ; =>This Inner Loop Header: Depth=1
	ds_read_b32 v6, v4
	v_add_nc_u32_e32 v5, 0x80, v5
	v_cmp_le_i32_e32 vcc_lo, s4, v5
	s_or_b32 s2, vcc_lo, s2
	s_waitcnt lgkmcnt(0)
	v_mul_f32_e32 v6, v3, v6
	ds_write_b32 v4, v6
	v_add_nc_u32_e32 v4, 0x200, v4
	s_andn2_b32 exec_lo, exec_lo, s2
	s_cbranch_execnz .LBB120_23
.LBB120_24:
	s_or_b32 exec_lo, exec_lo, s1
	s_mul_i32 s1, s7, s24
	s_waitcnt lgkmcnt(0)
	s_mul_i32 s2, s1, s9
	s_mov_b32 s1, exec_lo
	s_barrier
	buffer_gl0_inv
	v_cmpx_eq_u32_e32 0, v0
	s_cbranch_execz .LBB120_26
; %bb.25:
	s_ashr_i32 s3, s2, 31
	s_mul_i32 s34, s7, s6
	s_lshl_b64 s[4:5], s[2:3], 2
	v_mov_b32_e32 v3, 0
	s_add_u32 s3, s18, s4
	s_addc_u32 s6, s19, s5
	s_ashr_i32 s35, s34, 31
	s_lshl_b64 s[18:19], s[34:35], 2
	s_add_u32 s3, s3, s18
	s_addc_u32 s6, s6, s19
	s_ashr_i32 s9, s8, 31
	s_lshl_b64 s[34:35], s[8:9], 2
	s_add_u32 s36, s3, s34
	s_addc_u32 s37, s6, s35
	s_add_u32 s3, s16, s4
	s_addc_u32 s4, s17, s5
	;; [unrolled: 2-line block ×4, first 2 shown]
	global_store_dword v3, v1, s[36:37]
	global_store_dword v3, v2, s[4:5]
.LBB120_26:
	s_or_b32 exec_lo, exec_lo, s1
	v_mov_b32_e32 v23, 0
	v_and_b32_e32 v13, 3, v0
	v_mov_b32_e32 v25, 0
	v_mov_b32_e32 v24, 0
	;; [unrolled: 1-line block ×11, first 2 shown]
	s_and_saveexec_b32 s3, s0
	s_cbranch_execz .LBB120_54
; %bb.27:
	v_lshlrev_b32_e32 v1, 3, v0
	s_ashr_i32 s15, s14, 31
	v_lshlrev_b32_e32 v2, 5, v13
	v_and_b32_e32 v3, 0x1f0, v55
	v_lshl_add_u32 v4, v53, 5, s30
	v_and_b32_e32 v1, 24, v1
	s_lshl_b64 s[0:1], s[14:15], 1
	v_lshl_or_b32 v5, v53, 7, v2
	s_add_u32 s0, s26, s0
	s_addc_u32 s1, s27, s1
	v_add_co_u32 v27, s0, s0, v3
	v_add3_u32 v29, v4, v1, 7
	v_lshlrev_b64 v[1:2], 2, v[49:50]
	v_add_co_ci_u32_e64 v28, null, s1, 0, s0
	s_lshl_b64 s[0:1], s[28:29], 2
	s_add_i32 s12, s12, -1
	s_add_u32 s0, s22, s0
	v_add_nc_u32_e32 v30, 0xe0, v5
	s_addc_u32 s1, s23, s1
	v_add_co_u32 v5, vcc_lo, s0, v1
	v_mov_b32_e32 v26, 0
	v_add_co_ci_u32_e64 v6, null, s1, v2, vcc_lo
	v_mov_b32_e32 v14, 0
	v_mov_b32_e32 v15, 0
	;; [unrolled: 1-line block ×12, first 2 shown]
	s_mov_b32 s5, s13
	s_mov_b32 s4, 0
	s_branch .LBB120_29
.LBB120_28:                             ;   in Loop: Header=BB120_29 Depth=1
	s_or_b32 exec_lo, exec_lo, s1
	v_add_f32_e32 v9, v9, v10
	v_add_f32_e32 v31, v64, v65
	v_lshlrev_b32_e32 v8, 16, v8
	v_lshlrev_b32_e32 v7, 16, v7
	v_add_f32_e32 v10, v57, v58
	v_add_f32_e32 v18, v18, v9
	v_lshlrev_b32_e32 v9, 16, v63
	v_add_f32_e32 v15, v15, v31
	v_add_f32_e32 v31, v55, v56
	v_and_or_b32 v2, 0xffff, v2, v8
	v_and_or_b32 v3, 0xffff, v3, v7
	;; [unrolled: 1-line block ×3, first 2 shown]
	;;#ASMSTART
	v_pk_mul_f16 v1, v37, v1;

	;;#ASMEND
	;;#ASMSTART
	v_pk_mul_f16 v2, v35, v2;

	;;#ASMEND
	;; [unrolled: 4-line block ×4, first 2 shown]
	;;#ASMSTART
	v_pk_add_f16 v1, v1, v2;

	;;#ASMEND
	;;#ASMSTART
	v_pk_add_f16 v1, v1, v3;

	;;#ASMEND
	;;#ASMSTART
	v_pk_add_f16 v1, v1, v4;

	;;#ASMEND
	v_and_b32_e32 v4, 0xffff, v1
	v_add_nc_u32_e32 v49, 4, v49
	v_lshrrev_b32_e32 v7, 16, v1
	;;#ASMSTART
	v_cvt_f32_f16 v4, v4;
	;;#ASMEND
	v_add_f32_e32 v32, v61, v62
	v_add_f32_e32 v33, v59, v60
	;; [unrolled: 1-line block ×9, first 2 shown]
	;;#ASMSTART
	v_cvt_f32_f16 v7, v7;
	;;#ASMEND
	v_add_f32_e32 v4, v4, v7
	v_cmp_le_i32_e32 vcc_lo, s11, v49
	v_add_co_u32 v5, s0, v5, 16
	v_add_f32_e32 v16, v16, v32
	v_add_f32_e32 v17, v17, v33
	;; [unrolled: 1-line block ×8, first 2 shown]
	v_add_nc_u32_e32 v29, 0x80, v29
	v_add_nc_u32_e32 v30, 0x200, v30
	v_add_co_ci_u32_e64 v6, null, 0, v6, s0
	s_or_b32 s4, vcc_lo, s4
	s_andn2_b32 exec_lo, exec_lo, s4
	s_cbranch_execz .LBB120_53
.LBB120_29:                             ; =>This Inner Loop Header: Depth=1
	global_load_dword v7, v[5:6], off
	ds_read2_b64 v[1:4], v30 offset1:1
	ds_read2_b64 v[31:34], v30 offset0:2 offset1:3
	v_add_nc_u32_e32 v36, -7, v29
	v_cmp_eq_u32_e64 s0, s12, v49
	v_add_nc_u32_e32 v41, -6, v29
	v_add_nc_u32_e32 v40, -1, v29
	s_waitcnt lgkmcnt(1)
	;;#ASMSTART
	v_cvt_f16_f32 v37, v1;

	;;#ASMEND
	;;#ASMSTART
	v_cvt_f16_f32 v35, v2;

	;;#ASMEND
	;; [unrolled: 4-line block ×4, first 2 shown]
	s_waitcnt lgkmcnt(0)
	;;#ASMSTART
	v_cvt_f16_f32 v43, v31;

	;;#ASMEND
	;;#ASMSTART
	v_cvt_f16_f32 v10, v32;

	;;#ASMEND
	;; [unrolled: 4-line block ×4, first 2 shown]
	v_add_nc_u32_e32 v34, -5, v29
	v_add_nc_u32_e32 v33, -4, v29
	v_add_nc_u32_e32 v32, -3, v29
	v_add_nc_u32_e32 v31, -2, v29
	s_waitcnt vmcnt(0)
	v_mad_i64_i32 v[7:8], null, v7, s5, 0
	v_lshlrev_b64 v[7:8], 1, v[7:8]
	v_add_co_u32 v7, vcc_lo, v27, v7
	v_add_co_ci_u32_e64 v8, null, v28, v8, vcc_lo
	global_load_dwordx4 v[1:4], v[7:8], off
	s_waitcnt vmcnt(0)
	v_lshrrev_b32_e32 v46, 16, v1
	v_lshrrev_b32_e32 v45, 16, v2
	;; [unrolled: 1-line block ×3, first 2 shown]
	s_and_saveexec_b32 s6, s0
	s_cbranch_execz .LBB120_31
; %bb.30:                               ;   in Loop: Header=BB120_29 Depth=1
	v_cmp_gt_i32_e32 vcc_lo, s25, v36
	v_and_b32_e32 v47, 0xffff0000, v4
	v_cmp_gt_i32_e64 s1, s25, v34
	v_cndmask_b32_e32 v1, 0, v1, vcc_lo
	v_cmp_gt_i32_e32 vcc_lo, s25, v41
	v_cndmask_b32_e64 v2, 0, v2, s1
	v_cmp_gt_i32_e64 s1, s25, v33
	v_cndmask_b32_e32 v46, 0, v46, vcc_lo
	v_cmp_gt_i32_e32 vcc_lo, s25, v40
	v_cndmask_b32_e64 v45, 0, v45, s1
	v_cndmask_b32_sdwa v4, v26, v4, vcc_lo dst_sel:DWORD dst_unused:UNUSED_PAD src0_sel:DWORD src1_sel:WORD_0
	v_cmp_gt_i32_e32 vcc_lo, s25, v29
	v_cndmask_b32_e32 v47, 0, v47, vcc_lo
	v_cmp_gt_i32_e32 vcc_lo, s25, v32
	v_or_b32_e32 v4, v4, v47
	v_cndmask_b32_e32 v3, 0, v3, vcc_lo
	v_cmp_gt_i32_e32 vcc_lo, s25, v31
	v_cndmask_b32_e32 v44, 0, v44, vcc_lo
.LBB120_31:                             ;   in Loop: Header=BB120_29 Depth=1
	s_or_b32 exec_lo, exec_lo, s6
	v_and_b32_e32 v37, 0xffff, v37
	v_and_b32_e32 v42, 0xffff, v42
	v_lshlrev_b32_e32 v46, 16, v46
	v_lshlrev_b32_e32 v44, 16, v44
	v_and_b32_e32 v43, 0xffff, v43
	v_lshl_or_b32 v37, v35, 16, v37
	v_lshl_or_b32 v35, v38, 16, v42
	v_lshlrev_b32_e32 v42, 16, v45
	v_and_b32_e32 v39, 0xffff, v39
	v_and_or_b32 v1, 0xffff, v1, v46
	v_and_or_b32 v3, 0xffff, v3, v44
	;;#ASMSTART
	v_pk_mul_f16 v1, v37, v1;

	;;#ASMEND
	v_and_or_b32 v2, 0xffff, v2, v42
	v_lshl_or_b32 v38, v10, 16, v43
	v_lshl_or_b32 v39, v9, 16, v39
	;;#ASMSTART
	v_pk_mul_f16 v2, v35, v2;

	;;#ASMEND
	;;#ASMSTART
	v_pk_mul_f16 v3, v38, v3;

	;;#ASMEND
	;; [unrolled: 4-line block ×3, first 2 shown]
	;;#ASMSTART
	v_pk_add_f16 v1, v1, v2;

	;;#ASMEND
	;;#ASMSTART
	v_pk_add_f16 v1, v1, v3;

	;;#ASMEND
	;;#ASMSTART
	v_pk_add_f16 v1, v1, v4;

	;;#ASMEND
	v_and_b32_e32 v2, 0xffff, v1
	v_lshrrev_b32_e32 v1, 16, v1
	;;#ASMSTART
	v_cvt_f32_f16 v42, v2;
	;;#ASMEND
	;;#ASMSTART
	v_cvt_f32_f16 v43, v1;
	;;#ASMEND
	global_load_dwordx4 v[1:4], v[7:8], off offset:512
	s_waitcnt vmcnt(0)
	v_lshrrev_b32_e32 v44, 16, v1
	v_lshrrev_b32_e32 v10, 16, v2
	;; [unrolled: 1-line block ×3, first 2 shown]
	s_and_saveexec_b32 s6, s0
	s_cbranch_execz .LBB120_33
; %bb.32:                               ;   in Loop: Header=BB120_29 Depth=1
	v_cmp_gt_i32_e32 vcc_lo, s25, v36
	v_and_b32_e32 v45, 0xffff0000, v4
	v_cmp_gt_i32_e64 s1, s25, v34
	v_cndmask_b32_e32 v1, 0, v1, vcc_lo
	v_cmp_gt_i32_e32 vcc_lo, s25, v41
	v_cndmask_b32_e64 v2, 0, v2, s1
	v_cmp_gt_i32_e64 s1, s25, v33
	v_cndmask_b32_e32 v44, 0, v44, vcc_lo
	v_cmp_gt_i32_e32 vcc_lo, s25, v40
	v_cndmask_b32_e64 v10, 0, v10, s1
	v_cndmask_b32_sdwa v4, v26, v4, vcc_lo dst_sel:DWORD dst_unused:UNUSED_PAD src0_sel:DWORD src1_sel:WORD_0
	v_cmp_gt_i32_e32 vcc_lo, s25, v29
	v_cndmask_b32_e32 v45, 0, v45, vcc_lo
	v_cmp_gt_i32_e32 vcc_lo, s25, v32
	v_or_b32_e32 v4, v4, v45
	v_cndmask_b32_e32 v3, 0, v3, vcc_lo
	v_cmp_gt_i32_e32 vcc_lo, s25, v31
	v_cndmask_b32_e32 v9, 0, v9, vcc_lo
.LBB120_33:                             ;   in Loop: Header=BB120_29 Depth=1
	s_or_b32 exec_lo, exec_lo, s6
	v_lshlrev_b32_e32 v44, 16, v44
	v_lshlrev_b32_e32 v10, 16, v10
	v_lshlrev_b32_e32 v9, 16, v9
	v_and_or_b32 v1, 0xffff, v1, v44
	v_and_or_b32 v2, 0xffff, v2, v10
	;; [unrolled: 1-line block ×3, first 2 shown]
	;;#ASMSTART
	v_pk_mul_f16 v1, v37, v1;

	;;#ASMEND
	;;#ASMSTART
	v_pk_mul_f16 v2, v35, v2;

	;;#ASMEND
	;; [unrolled: 4-line block ×4, first 2 shown]
	;;#ASMSTART
	v_pk_add_f16 v1, v1, v2;

	;;#ASMEND
	;;#ASMSTART
	v_pk_add_f16 v1, v1, v3;

	;;#ASMEND
	;; [unrolled: 4-line block ×3, first 2 shown]
	v_and_b32_e32 v2, 0xffff, v1
	v_lshrrev_b32_e32 v1, 16, v1
	;;#ASMSTART
	v_cvt_f32_f16 v44, v2;
	;;#ASMEND
	;;#ASMSTART
	v_cvt_f32_f16 v45, v1;
	;;#ASMEND
	global_load_dwordx4 v[1:4], v[7:8], off offset:1024
	s_waitcnt vmcnt(0)
	v_lshrrev_b32_e32 v46, 16, v1
	v_lshrrev_b32_e32 v10, 16, v2
	;; [unrolled: 1-line block ×3, first 2 shown]
	s_and_saveexec_b32 s6, s0
	s_cbranch_execz .LBB120_35
; %bb.34:                               ;   in Loop: Header=BB120_29 Depth=1
	v_cmp_gt_i32_e32 vcc_lo, s25, v36
	v_and_b32_e32 v47, 0xffff0000, v4
	v_cmp_gt_i32_e64 s1, s25, v34
	v_cndmask_b32_e32 v1, 0, v1, vcc_lo
	v_cmp_gt_i32_e32 vcc_lo, s25, v41
	v_cndmask_b32_e64 v2, 0, v2, s1
	v_cmp_gt_i32_e64 s1, s25, v33
	v_cndmask_b32_e32 v46, 0, v46, vcc_lo
	v_cmp_gt_i32_e32 vcc_lo, s25, v40
	v_cndmask_b32_e64 v10, 0, v10, s1
	v_cndmask_b32_sdwa v4, v26, v4, vcc_lo dst_sel:DWORD dst_unused:UNUSED_PAD src0_sel:DWORD src1_sel:WORD_0
	v_cmp_gt_i32_e32 vcc_lo, s25, v29
	v_cndmask_b32_e32 v47, 0, v47, vcc_lo
	v_cmp_gt_i32_e32 vcc_lo, s25, v32
	v_or_b32_e32 v4, v4, v47
	v_cndmask_b32_e32 v3, 0, v3, vcc_lo
	v_cmp_gt_i32_e32 vcc_lo, s25, v31
	v_cndmask_b32_e32 v9, 0, v9, vcc_lo
.LBB120_35:                             ;   in Loop: Header=BB120_29 Depth=1
	s_or_b32 exec_lo, exec_lo, s6
	v_lshlrev_b32_e32 v46, 16, v46
	v_lshlrev_b32_e32 v10, 16, v10
	;; [unrolled: 1-line block ×3, first 2 shown]
	v_and_or_b32 v1, 0xffff, v1, v46
	v_and_or_b32 v2, 0xffff, v2, v10
	;; [unrolled: 1-line block ×3, first 2 shown]
	;;#ASMSTART
	v_pk_mul_f16 v1, v37, v1;

	;;#ASMEND
	;;#ASMSTART
	v_pk_mul_f16 v2, v35, v2;

	;;#ASMEND
	;; [unrolled: 4-line block ×4, first 2 shown]
	;;#ASMSTART
	v_pk_add_f16 v1, v1, v2;

	;;#ASMEND
	;;#ASMSTART
	v_pk_add_f16 v1, v1, v3;

	;;#ASMEND
	;; [unrolled: 4-line block ×3, first 2 shown]
	v_and_b32_e32 v2, 0xffff, v1
	v_lshrrev_b32_e32 v1, 16, v1
	;;#ASMSTART
	v_cvt_f32_f16 v46, v2;
	;;#ASMEND
	;;#ASMSTART
	v_cvt_f32_f16 v47, v1;
	;;#ASMEND
	global_load_dwordx4 v[1:4], v[7:8], off offset:1536
	s_waitcnt vmcnt(0)
	v_lshrrev_b32_e32 v48, 16, v1
	v_lshrrev_b32_e32 v10, 16, v2
	;; [unrolled: 1-line block ×3, first 2 shown]
	s_and_saveexec_b32 s6, s0
	s_cbranch_execz .LBB120_37
; %bb.36:                               ;   in Loop: Header=BB120_29 Depth=1
	v_cmp_gt_i32_e32 vcc_lo, s25, v36
	v_and_b32_e32 v50, 0xffff0000, v4
	v_cmp_gt_i32_e64 s1, s25, v34
	v_cndmask_b32_e32 v1, 0, v1, vcc_lo
	v_cmp_gt_i32_e32 vcc_lo, s25, v41
	v_cndmask_b32_e64 v2, 0, v2, s1
	v_cmp_gt_i32_e64 s1, s25, v33
	v_cndmask_b32_e32 v48, 0, v48, vcc_lo
	v_cmp_gt_i32_e32 vcc_lo, s25, v40
	v_cndmask_b32_e64 v10, 0, v10, s1
	v_cndmask_b32_sdwa v4, v26, v4, vcc_lo dst_sel:DWORD dst_unused:UNUSED_PAD src0_sel:DWORD src1_sel:WORD_0
	v_cmp_gt_i32_e32 vcc_lo, s25, v29
	v_cndmask_b32_e32 v50, 0, v50, vcc_lo
	v_cmp_gt_i32_e32 vcc_lo, s25, v32
	v_or_b32_e32 v4, v4, v50
	v_cndmask_b32_e32 v3, 0, v3, vcc_lo
	v_cmp_gt_i32_e32 vcc_lo, s25, v31
	v_cndmask_b32_e32 v9, 0, v9, vcc_lo
.LBB120_37:                             ;   in Loop: Header=BB120_29 Depth=1
	s_or_b32 exec_lo, exec_lo, s6
	v_lshlrev_b32_e32 v9, 16, v9
	v_lshlrev_b32_e32 v48, 16, v48
	;; [unrolled: 1-line block ×3, first 2 shown]
	v_and_or_b32 v3, 0xffff, v3, v9
	v_add_co_u32 v9, vcc_lo, 0x800, v7
	v_and_or_b32 v1, 0xffff, v1, v48
	v_and_or_b32 v2, 0xffff, v2, v10
	;;#ASMSTART
	v_pk_mul_f16 v1, v37, v1;

	;;#ASMEND
	v_add_co_ci_u32_e64 v10, null, 0, v8, vcc_lo
	;;#ASMSTART
	v_pk_mul_f16 v2, v35, v2;

	;;#ASMEND
	;;#ASMSTART
	v_pk_mul_f16 v3, v38, v3;

	;;#ASMEND
	;; [unrolled: 4-line block ×3, first 2 shown]
	;;#ASMSTART
	v_pk_add_f16 v1, v1, v2;

	;;#ASMEND
	;;#ASMSTART
	v_pk_add_f16 v1, v1, v3;

	;;#ASMEND
	;; [unrolled: 4-line block ×3, first 2 shown]
	v_lshrrev_b32_e32 v2, 16, v1
	v_and_b32_e32 v1, 0xffff, v1
	;;#ASMSTART
	v_cvt_f32_f16 v48, v1;
	;;#ASMEND
	;;#ASMSTART
	v_cvt_f32_f16 v50, v2;
	;;#ASMEND
	global_load_dwordx4 v[1:4], v[9:10], off
	s_waitcnt vmcnt(0)
	v_lshrrev_b32_e32 v55, 16, v1
	v_lshrrev_b32_e32 v52, 16, v2
	;; [unrolled: 1-line block ×3, first 2 shown]
	s_and_saveexec_b32 s6, s0
	s_cbranch_execz .LBB120_39
; %bb.38:                               ;   in Loop: Header=BB120_29 Depth=1
	v_cmp_gt_i32_e32 vcc_lo, s25, v36
	v_and_b32_e32 v56, 0xffff0000, v4
	v_cmp_gt_i32_e64 s1, s25, v34
	v_cndmask_b32_e32 v1, 0, v1, vcc_lo
	v_cmp_gt_i32_e32 vcc_lo, s25, v41
	v_cndmask_b32_e64 v2, 0, v2, s1
	v_cmp_gt_i32_e64 s1, s25, v33
	v_cndmask_b32_e32 v55, 0, v55, vcc_lo
	v_cmp_gt_i32_e32 vcc_lo, s25, v40
	v_cndmask_b32_e64 v52, 0, v52, s1
	v_cndmask_b32_sdwa v4, v26, v4, vcc_lo dst_sel:DWORD dst_unused:UNUSED_PAD src0_sel:DWORD src1_sel:WORD_0
	v_cmp_gt_i32_e32 vcc_lo, s25, v29
	v_cndmask_b32_e32 v56, 0, v56, vcc_lo
	v_cmp_gt_i32_e32 vcc_lo, s25, v32
	v_or_b32_e32 v4, v4, v56
	v_cndmask_b32_e32 v3, 0, v3, vcc_lo
	v_cmp_gt_i32_e32 vcc_lo, s25, v31
	v_cndmask_b32_e32 v51, 0, v51, vcc_lo
.LBB120_39:                             ;   in Loop: Header=BB120_29 Depth=1
	s_or_b32 exec_lo, exec_lo, s6
	v_lshlrev_b32_e32 v55, 16, v55
	v_lshlrev_b32_e32 v52, 16, v52
	;; [unrolled: 1-line block ×3, first 2 shown]
	v_and_or_b32 v1, 0xffff, v1, v55
	v_and_or_b32 v2, 0xffff, v2, v52
	;; [unrolled: 1-line block ×3, first 2 shown]
	;;#ASMSTART
	v_pk_mul_f16 v1, v37, v1;

	;;#ASMEND
	;;#ASMSTART
	v_pk_mul_f16 v2, v35, v2;

	;;#ASMEND
	;; [unrolled: 4-line block ×4, first 2 shown]
	;;#ASMSTART
	v_pk_add_f16 v1, v1, v2;

	;;#ASMEND
	;;#ASMSTART
	v_pk_add_f16 v1, v1, v3;

	;;#ASMEND
	;; [unrolled: 4-line block ×3, first 2 shown]
	v_and_b32_e32 v2, 0xffff, v1
	v_lshrrev_b32_e32 v1, 16, v1
	;;#ASMSTART
	v_cvt_f32_f16 v51, v2;
	;;#ASMEND
	;;#ASMSTART
	v_cvt_f32_f16 v52, v1;
	;;#ASMEND
	global_load_dwordx4 v[1:4], v[9:10], off offset:512
	s_waitcnt vmcnt(0)
	v_lshrrev_b32_e32 v57, 16, v1
	v_lshrrev_b32_e32 v56, 16, v2
	;; [unrolled: 1-line block ×3, first 2 shown]
	s_and_saveexec_b32 s6, s0
	s_cbranch_execz .LBB120_41
; %bb.40:                               ;   in Loop: Header=BB120_29 Depth=1
	v_cmp_gt_i32_e32 vcc_lo, s25, v36
	v_and_b32_e32 v58, 0xffff0000, v4
	v_cmp_gt_i32_e64 s1, s25, v34
	v_cndmask_b32_e32 v1, 0, v1, vcc_lo
	v_cmp_gt_i32_e32 vcc_lo, s25, v41
	v_cndmask_b32_e64 v2, 0, v2, s1
	v_cmp_gt_i32_e64 s1, s25, v33
	v_cndmask_b32_e32 v57, 0, v57, vcc_lo
	v_cmp_gt_i32_e32 vcc_lo, s25, v40
	v_cndmask_b32_e64 v56, 0, v56, s1
	v_cndmask_b32_sdwa v4, v26, v4, vcc_lo dst_sel:DWORD dst_unused:UNUSED_PAD src0_sel:DWORD src1_sel:WORD_0
	v_cmp_gt_i32_e32 vcc_lo, s25, v29
	v_cndmask_b32_e32 v58, 0, v58, vcc_lo
	v_cmp_gt_i32_e32 vcc_lo, s25, v32
	v_or_b32_e32 v4, v4, v58
	v_cndmask_b32_e32 v3, 0, v3, vcc_lo
	v_cmp_gt_i32_e32 vcc_lo, s25, v31
	v_cndmask_b32_e32 v55, 0, v55, vcc_lo
.LBB120_41:                             ;   in Loop: Header=BB120_29 Depth=1
	s_or_b32 exec_lo, exec_lo, s6
	v_lshlrev_b32_e32 v57, 16, v57
	v_lshlrev_b32_e32 v56, 16, v56
	;; [unrolled: 1-line block ×3, first 2 shown]
	v_and_or_b32 v1, 0xffff, v1, v57
	v_and_or_b32 v2, 0xffff, v2, v56
	;; [unrolled: 1-line block ×3, first 2 shown]
	;;#ASMSTART
	v_pk_mul_f16 v1, v37, v1;

	;;#ASMEND
	;;#ASMSTART
	v_pk_mul_f16 v2, v35, v2;

	;;#ASMEND
	;; [unrolled: 4-line block ×4, first 2 shown]
	;;#ASMSTART
	v_pk_add_f16 v1, v1, v2;

	;;#ASMEND
	;;#ASMSTART
	v_pk_add_f16 v1, v1, v3;

	;;#ASMEND
	;; [unrolled: 4-line block ×3, first 2 shown]
	v_and_b32_e32 v2, 0xffff, v1
	v_lshrrev_b32_e32 v1, 16, v1
	;;#ASMSTART
	v_cvt_f32_f16 v55, v2;
	;;#ASMEND
	;;#ASMSTART
	v_cvt_f32_f16 v56, v1;
	;;#ASMEND
	global_load_dwordx4 v[1:4], v[9:10], off offset:1024
	s_waitcnt vmcnt(0)
	v_lshrrev_b32_e32 v59, 16, v1
	v_lshrrev_b32_e32 v58, 16, v2
	;; [unrolled: 1-line block ×3, first 2 shown]
	s_and_saveexec_b32 s6, s0
	s_cbranch_execz .LBB120_43
; %bb.42:                               ;   in Loop: Header=BB120_29 Depth=1
	v_cmp_gt_i32_e32 vcc_lo, s25, v36
	v_and_b32_e32 v60, 0xffff0000, v4
	v_cmp_gt_i32_e64 s1, s25, v34
	v_cndmask_b32_e32 v1, 0, v1, vcc_lo
	v_cmp_gt_i32_e32 vcc_lo, s25, v41
	v_cndmask_b32_e64 v2, 0, v2, s1
	v_cmp_gt_i32_e64 s1, s25, v33
	v_cndmask_b32_e32 v59, 0, v59, vcc_lo
	v_cmp_gt_i32_e32 vcc_lo, s25, v40
	v_cndmask_b32_e64 v58, 0, v58, s1
	v_cndmask_b32_sdwa v4, v26, v4, vcc_lo dst_sel:DWORD dst_unused:UNUSED_PAD src0_sel:DWORD src1_sel:WORD_0
	v_cmp_gt_i32_e32 vcc_lo, s25, v29
	v_cndmask_b32_e32 v60, 0, v60, vcc_lo
	v_cmp_gt_i32_e32 vcc_lo, s25, v32
	v_or_b32_e32 v4, v4, v60
	v_cndmask_b32_e32 v3, 0, v3, vcc_lo
	v_cmp_gt_i32_e32 vcc_lo, s25, v31
	v_cndmask_b32_e32 v57, 0, v57, vcc_lo
.LBB120_43:                             ;   in Loop: Header=BB120_29 Depth=1
	s_or_b32 exec_lo, exec_lo, s6
	v_lshlrev_b32_e32 v59, 16, v59
	v_lshlrev_b32_e32 v58, 16, v58
	;; [unrolled: 1-line block ×3, first 2 shown]
	v_and_or_b32 v1, 0xffff, v1, v59
	v_and_or_b32 v2, 0xffff, v2, v58
	v_and_or_b32 v3, 0xffff, v3, v57
	;;#ASMSTART
	v_pk_mul_f16 v1, v37, v1;

	;;#ASMEND
	;;#ASMSTART
	v_pk_mul_f16 v2, v35, v2;

	;;#ASMEND
	;; [unrolled: 4-line block ×4, first 2 shown]
	;;#ASMSTART
	v_pk_add_f16 v1, v1, v2;

	;;#ASMEND
	;;#ASMSTART
	v_pk_add_f16 v1, v1, v3;

	;;#ASMEND
	;;#ASMSTART
	v_pk_add_f16 v1, v1, v4;

	;;#ASMEND
	v_and_b32_e32 v2, 0xffff, v1
	v_lshrrev_b32_e32 v1, 16, v1
	;;#ASMSTART
	v_cvt_f32_f16 v57, v2;
	;;#ASMEND
	;;#ASMSTART
	v_cvt_f32_f16 v58, v1;
	;;#ASMEND
	global_load_dwordx4 v[1:4], v[9:10], off offset:1536
	s_waitcnt vmcnt(0)
	v_lshrrev_b32_e32 v59, 16, v1
	v_lshrrev_b32_e32 v10, 16, v2
	;; [unrolled: 1-line block ×3, first 2 shown]
	s_and_saveexec_b32 s6, s0
	s_cbranch_execz .LBB120_45
; %bb.44:                               ;   in Loop: Header=BB120_29 Depth=1
	v_cmp_gt_i32_e32 vcc_lo, s25, v36
	v_and_b32_e32 v60, 0xffff0000, v4
	v_cmp_gt_i32_e64 s1, s25, v34
	v_cndmask_b32_e32 v1, 0, v1, vcc_lo
	v_cmp_gt_i32_e32 vcc_lo, s25, v41
	v_cndmask_b32_e64 v2, 0, v2, s1
	v_cmp_gt_i32_e64 s1, s25, v33
	v_cndmask_b32_e32 v59, 0, v59, vcc_lo
	v_cmp_gt_i32_e32 vcc_lo, s25, v40
	v_cndmask_b32_e64 v10, 0, v10, s1
	v_cndmask_b32_sdwa v4, v26, v4, vcc_lo dst_sel:DWORD dst_unused:UNUSED_PAD src0_sel:DWORD src1_sel:WORD_0
	v_cmp_gt_i32_e32 vcc_lo, s25, v29
	v_cndmask_b32_e32 v60, 0, v60, vcc_lo
	v_cmp_gt_i32_e32 vcc_lo, s25, v32
	v_or_b32_e32 v4, v4, v60
	v_cndmask_b32_e32 v3, 0, v3, vcc_lo
	v_cmp_gt_i32_e32 vcc_lo, s25, v31
	v_cndmask_b32_e32 v9, 0, v9, vcc_lo
.LBB120_45:                             ;   in Loop: Header=BB120_29 Depth=1
	s_or_b32 exec_lo, exec_lo, s6
	v_lshlrev_b32_e32 v59, 16, v59
	v_lshlrev_b32_e32 v10, 16, v10
	;; [unrolled: 1-line block ×3, first 2 shown]
	v_add_co_u32 v7, vcc_lo, 0x1000, v7
	v_and_or_b32 v1, 0xffff, v1, v59
	v_and_or_b32 v2, 0xffff, v2, v10
	;; [unrolled: 1-line block ×3, first 2 shown]
	;;#ASMSTART
	v_pk_mul_f16 v1, v37, v1;

	;;#ASMEND
	v_add_co_ci_u32_e64 v8, null, 0, v8, vcc_lo
	;;#ASMSTART
	v_pk_mul_f16 v2, v35, v2;

	;;#ASMEND
	;;#ASMSTART
	v_pk_mul_f16 v3, v38, v3;

	;;#ASMEND
	;; [unrolled: 4-line block ×3, first 2 shown]
	;;#ASMSTART
	v_pk_add_f16 v1, v1, v2;

	;;#ASMEND
	;;#ASMSTART
	v_pk_add_f16 v1, v1, v3;

	;;#ASMEND
	;; [unrolled: 4-line block ×3, first 2 shown]
	v_lshrrev_b32_e32 v2, 16, v1
	v_and_b32_e32 v1, 0xffff, v1
	;;#ASMSTART
	v_cvt_f32_f16 v9, v1;
	;;#ASMEND
	;;#ASMSTART
	v_cvt_f32_f16 v10, v2;
	;;#ASMEND
	global_load_dwordx4 v[1:4], v[7:8], off
	s_waitcnt vmcnt(0)
	v_lshrrev_b32_e32 v61, 16, v1
	v_lshrrev_b32_e32 v60, 16, v2
	;; [unrolled: 1-line block ×3, first 2 shown]
	s_and_saveexec_b32 s6, s0
	s_cbranch_execz .LBB120_47
; %bb.46:                               ;   in Loop: Header=BB120_29 Depth=1
	v_cmp_gt_i32_e32 vcc_lo, s25, v36
	v_and_b32_e32 v62, 0xffff0000, v4
	v_cmp_gt_i32_e64 s1, s25, v34
	v_cndmask_b32_e32 v1, 0, v1, vcc_lo
	v_cmp_gt_i32_e32 vcc_lo, s25, v41
	v_cndmask_b32_e64 v2, 0, v2, s1
	v_cmp_gt_i32_e64 s1, s25, v33
	v_cndmask_b32_e32 v61, 0, v61, vcc_lo
	v_cmp_gt_i32_e32 vcc_lo, s25, v40
	v_cndmask_b32_e64 v60, 0, v60, s1
	v_cndmask_b32_sdwa v4, v26, v4, vcc_lo dst_sel:DWORD dst_unused:UNUSED_PAD src0_sel:DWORD src1_sel:WORD_0
	v_cmp_gt_i32_e32 vcc_lo, s25, v29
	v_cndmask_b32_e32 v62, 0, v62, vcc_lo
	v_cmp_gt_i32_e32 vcc_lo, s25, v32
	v_or_b32_e32 v4, v4, v62
	v_cndmask_b32_e32 v3, 0, v3, vcc_lo
	v_cmp_gt_i32_e32 vcc_lo, s25, v31
	v_cndmask_b32_e32 v59, 0, v59, vcc_lo
.LBB120_47:                             ;   in Loop: Header=BB120_29 Depth=1
	s_or_b32 exec_lo, exec_lo, s6
	v_lshlrev_b32_e32 v61, 16, v61
	v_lshlrev_b32_e32 v60, 16, v60
	v_lshlrev_b32_e32 v59, 16, v59
	v_and_or_b32 v1, 0xffff, v1, v61
	v_and_or_b32 v2, 0xffff, v2, v60
	;; [unrolled: 1-line block ×3, first 2 shown]
	;;#ASMSTART
	v_pk_mul_f16 v1, v37, v1;

	;;#ASMEND
	;;#ASMSTART
	v_pk_mul_f16 v2, v35, v2;

	;;#ASMEND
	;; [unrolled: 4-line block ×4, first 2 shown]
	;;#ASMSTART
	v_pk_add_f16 v1, v1, v2;

	;;#ASMEND
	;;#ASMSTART
	v_pk_add_f16 v1, v1, v3;

	;;#ASMEND
	;; [unrolled: 4-line block ×3, first 2 shown]
	v_and_b32_e32 v2, 0xffff, v1
	v_lshrrev_b32_e32 v1, 16, v1
	;;#ASMSTART
	v_cvt_f32_f16 v59, v2;
	;;#ASMEND
	;;#ASMSTART
	v_cvt_f32_f16 v60, v1;
	;;#ASMEND
	global_load_dwordx4 v[1:4], v[7:8], off offset:512
	s_waitcnt vmcnt(0)
	v_lshrrev_b32_e32 v63, 16, v1
	v_lshrrev_b32_e32 v62, 16, v2
	;; [unrolled: 1-line block ×3, first 2 shown]
	s_and_saveexec_b32 s6, s0
	s_cbranch_execz .LBB120_49
; %bb.48:                               ;   in Loop: Header=BB120_29 Depth=1
	v_cmp_gt_i32_e32 vcc_lo, s25, v36
	v_and_b32_e32 v64, 0xffff0000, v4
	v_cmp_gt_i32_e64 s1, s25, v34
	v_cndmask_b32_e32 v1, 0, v1, vcc_lo
	v_cmp_gt_i32_e32 vcc_lo, s25, v41
	v_cndmask_b32_e64 v2, 0, v2, s1
	v_cmp_gt_i32_e64 s1, s25, v33
	v_cndmask_b32_e32 v63, 0, v63, vcc_lo
	v_cmp_gt_i32_e32 vcc_lo, s25, v40
	v_cndmask_b32_e64 v62, 0, v62, s1
	v_cndmask_b32_sdwa v4, v26, v4, vcc_lo dst_sel:DWORD dst_unused:UNUSED_PAD src0_sel:DWORD src1_sel:WORD_0
	v_cmp_gt_i32_e32 vcc_lo, s25, v29
	v_cndmask_b32_e32 v64, 0, v64, vcc_lo
	v_cmp_gt_i32_e32 vcc_lo, s25, v32
	v_or_b32_e32 v4, v4, v64
	v_cndmask_b32_e32 v3, 0, v3, vcc_lo
	v_cmp_gt_i32_e32 vcc_lo, s25, v31
	v_cndmask_b32_e32 v61, 0, v61, vcc_lo
.LBB120_49:                             ;   in Loop: Header=BB120_29 Depth=1
	s_or_b32 exec_lo, exec_lo, s6
	v_lshlrev_b32_e32 v63, 16, v63
	v_lshlrev_b32_e32 v62, 16, v62
	;; [unrolled: 1-line block ×3, first 2 shown]
	v_and_or_b32 v1, 0xffff, v1, v63
	v_and_or_b32 v2, 0xffff, v2, v62
	;; [unrolled: 1-line block ×3, first 2 shown]
	;;#ASMSTART
	v_pk_mul_f16 v1, v37, v1;

	;;#ASMEND
	;;#ASMSTART
	v_pk_mul_f16 v2, v35, v2;

	;;#ASMEND
	;;#ASMSTART
	v_pk_mul_f16 v3, v38, v3;

	;;#ASMEND
	;;#ASMSTART
	v_pk_mul_f16 v4, v39, v4;

	;;#ASMEND
	;;#ASMSTART
	v_pk_add_f16 v1, v1, v2;

	;;#ASMEND
	;;#ASMSTART
	v_pk_add_f16 v1, v1, v3;

	;;#ASMEND
	;; [unrolled: 4-line block ×3, first 2 shown]
	v_and_b32_e32 v2, 0xffff, v1
	v_lshrrev_b32_e32 v1, 16, v1
	;;#ASMSTART
	v_cvt_f32_f16 v61, v2;
	;;#ASMEND
	;;#ASMSTART
	v_cvt_f32_f16 v62, v1;
	;;#ASMEND
	global_load_dwordx4 v[1:4], v[7:8], off offset:1024
	s_waitcnt vmcnt(0)
	v_lshrrev_b32_e32 v65, 16, v1
	v_lshrrev_b32_e32 v64, 16, v2
	;; [unrolled: 1-line block ×3, first 2 shown]
	s_and_saveexec_b32 s6, s0
	s_cbranch_execz .LBB120_51
; %bb.50:                               ;   in Loop: Header=BB120_29 Depth=1
	v_cmp_gt_i32_e32 vcc_lo, s25, v36
	v_and_b32_e32 v66, 0xffff0000, v4
	v_cmp_gt_i32_e64 s1, s25, v34
	v_cndmask_b32_e32 v1, 0, v1, vcc_lo
	v_cmp_gt_i32_e32 vcc_lo, s25, v41
	v_cndmask_b32_e64 v2, 0, v2, s1
	v_cmp_gt_i32_e64 s1, s25, v33
	v_cndmask_b32_e32 v65, 0, v65, vcc_lo
	v_cmp_gt_i32_e32 vcc_lo, s25, v40
	v_cndmask_b32_e64 v64, 0, v64, s1
	v_cndmask_b32_sdwa v4, v26, v4, vcc_lo dst_sel:DWORD dst_unused:UNUSED_PAD src0_sel:DWORD src1_sel:WORD_0
	v_cmp_gt_i32_e32 vcc_lo, s25, v29
	v_cndmask_b32_e32 v66, 0, v66, vcc_lo
	v_cmp_gt_i32_e32 vcc_lo, s25, v32
	v_or_b32_e32 v4, v4, v66
	v_cndmask_b32_e32 v3, 0, v3, vcc_lo
	v_cmp_gt_i32_e32 vcc_lo, s25, v31
	v_cndmask_b32_e32 v63, 0, v63, vcc_lo
.LBB120_51:                             ;   in Loop: Header=BB120_29 Depth=1
	s_or_b32 exec_lo, exec_lo, s6
	v_lshlrev_b32_e32 v65, 16, v65
	v_lshlrev_b32_e32 v64, 16, v64
	;; [unrolled: 1-line block ×3, first 2 shown]
	v_and_or_b32 v1, 0xffff, v1, v65
	v_and_or_b32 v2, 0xffff, v2, v64
	v_and_or_b32 v3, 0xffff, v3, v63
	;;#ASMSTART
	v_pk_mul_f16 v1, v37, v1;

	;;#ASMEND
	;;#ASMSTART
	v_pk_mul_f16 v2, v35, v2;

	;;#ASMEND
	;; [unrolled: 4-line block ×4, first 2 shown]
	;;#ASMSTART
	v_pk_add_f16 v1, v1, v2;

	;;#ASMEND
	;;#ASMSTART
	v_pk_add_f16 v1, v1, v3;

	;;#ASMEND
	;; [unrolled: 4-line block ×3, first 2 shown]
	v_and_b32_e32 v2, 0xffff, v1
	v_lshrrev_b32_e32 v1, 16, v1
	;;#ASMSTART
	v_cvt_f32_f16 v64, v2;
	;;#ASMEND
	;;#ASMSTART
	v_cvt_f32_f16 v65, v1;
	;;#ASMEND
	global_load_dwordx4 v[1:4], v[7:8], off offset:1536
	s_waitcnt vmcnt(0)
	v_lshrrev_b32_e32 v63, 16, v1
	v_lshrrev_b32_e32 v8, 16, v2
	;; [unrolled: 1-line block ×3, first 2 shown]
	s_and_saveexec_b32 s1, s0
	s_cbranch_execz .LBB120_28
; %bb.52:                               ;   in Loop: Header=BB120_29 Depth=1
	v_cmp_gt_i32_e32 vcc_lo, s25, v36
	v_cmp_gt_i32_e64 s0, s25, v34
	v_cndmask_b32_e32 v1, 0, v1, vcc_lo
	v_cmp_gt_i32_e32 vcc_lo, s25, v41
	v_cndmask_b32_e64 v2, 0, v2, s0
	v_cmp_gt_i32_e64 s0, s25, v33
	v_and_b32_e32 v33, 0xffff0000, v4
	v_cndmask_b32_e32 v63, 0, v63, vcc_lo
	v_cmp_gt_i32_e32 vcc_lo, s25, v40
	v_cndmask_b32_e64 v8, 0, v8, s0
	v_cndmask_b32_sdwa v4, v26, v4, vcc_lo dst_sel:DWORD dst_unused:UNUSED_PAD src0_sel:DWORD src1_sel:WORD_0
	v_cmp_gt_i32_e32 vcc_lo, s25, v29
	v_cndmask_b32_e32 v33, 0, v33, vcc_lo
	v_cmp_gt_i32_e32 vcc_lo, s25, v32
	v_or_b32_e32 v4, v4, v33
	v_cndmask_b32_e32 v3, 0, v3, vcc_lo
	v_cmp_gt_i32_e32 vcc_lo, s25, v31
	v_cndmask_b32_e32 v7, 0, v7, vcc_lo
	s_branch .LBB120_28
.LBB120_53:
	s_or_b32 exec_lo, exec_lo, s4
.LBB120_54:
	s_or_b32 exec_lo, exec_lo, s3
	ds_bpermute_b32 v1, v12, v23
	ds_bpermute_b32 v10, v12, v16
	;; [unrolled: 1-line block ×12, first 2 shown]
	s_mov_b32 s0, exec_lo
	s_waitcnt lgkmcnt(0)
	s_waitcnt_vscnt null, 0x0
	s_barrier
	buffer_gl0_inv
	v_add_f32_e32 v1, v23, v1
	v_add_f32_e32 v16, v16, v10
	;; [unrolled: 1-line block ×12, first 2 shown]
	ds_bpermute_b32 v7, v11, v1
	ds_bpermute_b32 v26, v11, v16
	;; [unrolled: 1-line block ×12, first 2 shown]
	s_waitcnt lgkmcnt(11)
	v_add_f32_e32 v12, v1, v7
	s_waitcnt lgkmcnt(10)
	v_add_f32_e32 v1, v16, v26
	v_and_b32_e32 v16, 28, v54
	s_waitcnt lgkmcnt(9)
	v_add_f32_e32 v11, v2, v8
	s_waitcnt lgkmcnt(8)
	v_add_f32_e32 v10, v3, v9
	;; [unrolled: 2-line block ×9, first 2 shown]
	v_and_b32_e32 v17, 0x3c3, v0
	s_waitcnt lgkmcnt(0)
	v_add_f32_e32 v5, v14, v28
	v_lshrrev_b32_e32 v15, 2, v54
	v_add_nc_u32_e32 v14, 0xe0, v16
	v_mul_u32_u24_e32 v16, 0x180, v53
	v_cmpx_eq_u32_e32 64, v17
	s_cbranch_execz .LBB120_56
; %bb.55:
	v_add_nc_u32_e32 v17, v14, v16
	v_add_nc_u32_e32 v18, 0xfffffd00, v17
	;; [unrolled: 1-line block ×8, first 2 shown]
	ds_write_b32 v18, v12
	ds_write_b32 v19, v11
	;; [unrolled: 1-line block ×7, first 2 shown]
	v_add_nc_u32_e32 v18, 0xfffffde0, v17
	v_add_nc_u32_e32 v19, 0xfffffe00, v17
	;; [unrolled: 1-line block ×5, first 2 shown]
	ds_write_b32 v18, v3
	ds_write_b32 v19, v2
	;; [unrolled: 1-line block ×5, first 2 shown]
.LBB120_56:
	s_or_b32 exec_lo, exec_lo, s0
	v_lshlrev_b32_e32 v15, 2, v15
	v_cmp_eq_u32_e32 vcc_lo, 0, v13
	s_mov_b32 s1, exec_lo
	s_waitcnt lgkmcnt(0)
	s_barrier
	v_add3_u32 v13, 0xe0, v16, v15
	buffer_gl0_inv
	v_cmpx_gt_u32_e32 64, v0
	s_cbranch_execz .LBB120_71
; %bb.57:
	s_and_saveexec_b32 s0, vcc_lo
	s_cbranch_execnz .LBB120_91
; %bb.58:
	s_or_b32 exec_lo, exec_lo, s0
	s_and_saveexec_b32 s0, vcc_lo
	s_cbranch_execnz .LBB120_92
.LBB120_59:
	s_or_b32 exec_lo, exec_lo, s0
	s_and_saveexec_b32 s0, vcc_lo
	s_cbranch_execnz .LBB120_93
.LBB120_60:
	s_or_b32 exec_lo, exec_lo, s0
	s_and_saveexec_b32 s0, vcc_lo
	s_cbranch_execnz .LBB120_94
.LBB120_61:
	s_or_b32 exec_lo, exec_lo, s0
	s_and_saveexec_b32 s0, vcc_lo
	s_cbranch_execnz .LBB120_95
.LBB120_62:
	s_or_b32 exec_lo, exec_lo, s0
	s_and_saveexec_b32 s0, vcc_lo
	s_cbranch_execnz .LBB120_96
.LBB120_63:
	s_or_b32 exec_lo, exec_lo, s0
	s_and_saveexec_b32 s0, vcc_lo
	s_cbranch_execnz .LBB120_97
.LBB120_64:
	s_or_b32 exec_lo, exec_lo, s0
	s_and_saveexec_b32 s0, vcc_lo
	s_cbranch_execnz .LBB120_98
.LBB120_65:
	s_or_b32 exec_lo, exec_lo, s0
	s_and_saveexec_b32 s0, vcc_lo
	s_cbranch_execnz .LBB120_99
.LBB120_66:
	s_or_b32 exec_lo, exec_lo, s0
	s_and_saveexec_b32 s0, vcc_lo
	s_cbranch_execnz .LBB120_100
.LBB120_67:
	s_or_b32 exec_lo, exec_lo, s0
	s_and_saveexec_b32 s0, vcc_lo
	s_cbranch_execnz .LBB120_101
.LBB120_68:
	s_or_b32 exec_lo, exec_lo, s0
	s_and_saveexec_b32 s0, vcc_lo
	s_cbranch_execz .LBB120_70
.LBB120_69:
	ds_read_b32 v15, v13 offset:352
	s_waitcnt lgkmcnt(0)
	v_add_f32_e32 v5, v5, v15
.LBB120_70:
	s_or_b32 exec_lo, exec_lo, s0
.LBB120_71:
	s_or_b32 exec_lo, exec_lo, s1
	v_and_b32_e32 v15, 0x3e3, v0
	s_mov_b32 s1, exec_lo
	s_barrier
	buffer_gl0_inv
	v_cmpx_eq_u32_e32 32, v15
	s_cbranch_execz .LBB120_73
; %bb.72:
	ds_write2_b32 v14, v12, v11 offset1:8
	ds_write2_b32 v14, v10, v9 offset0:16 offset1:24
	ds_write2_b32 v14, v8, v7 offset0:32 offset1:40
	;; [unrolled: 1-line block ×5, first 2 shown]
.LBB120_73:
	s_or_b32 exec_lo, exec_lo, s1
	s_mov_b32 s1, exec_lo
	s_waitcnt lgkmcnt(0)
	s_barrier
	buffer_gl0_inv
	v_cmpx_gt_u32_e32 32, v0
	s_cbranch_execz .LBB120_88
; %bb.74:
	s_and_saveexec_b32 s0, vcc_lo
	s_cbranch_execnz .LBB120_102
; %bb.75:
	s_or_b32 exec_lo, exec_lo, s0
	s_and_saveexec_b32 s0, vcc_lo
	s_cbranch_execnz .LBB120_103
.LBB120_76:
	s_or_b32 exec_lo, exec_lo, s0
	s_and_saveexec_b32 s0, vcc_lo
	s_cbranch_execnz .LBB120_104
.LBB120_77:
	s_or_b32 exec_lo, exec_lo, s0
	s_and_saveexec_b32 s0, vcc_lo
	s_cbranch_execnz .LBB120_105
.LBB120_78:
	s_or_b32 exec_lo, exec_lo, s0
	s_and_saveexec_b32 s0, vcc_lo
	s_cbranch_execnz .LBB120_106
.LBB120_79:
	s_or_b32 exec_lo, exec_lo, s0
	s_and_saveexec_b32 s0, vcc_lo
	s_cbranch_execnz .LBB120_107
.LBB120_80:
	s_or_b32 exec_lo, exec_lo, s0
	s_and_saveexec_b32 s0, vcc_lo
	s_cbranch_execnz .LBB120_108
.LBB120_81:
	s_or_b32 exec_lo, exec_lo, s0
	s_and_saveexec_b32 s0, vcc_lo
	s_cbranch_execnz .LBB120_109
.LBB120_82:
	s_or_b32 exec_lo, exec_lo, s0
	s_and_saveexec_b32 s0, vcc_lo
	s_cbranch_execnz .LBB120_110
.LBB120_83:
	s_or_b32 exec_lo, exec_lo, s0
	s_and_saveexec_b32 s0, vcc_lo
	s_cbranch_execnz .LBB120_111
.LBB120_84:
	s_or_b32 exec_lo, exec_lo, s0
	s_and_saveexec_b32 s0, vcc_lo
	s_cbranch_execnz .LBB120_112
.LBB120_85:
	s_or_b32 exec_lo, exec_lo, s0
	s_and_saveexec_b32 s0, vcc_lo
	s_cbranch_execz .LBB120_87
.LBB120_86:
	ds_read_b32 v13, v13 offset:352
	s_waitcnt lgkmcnt(0)
	v_add_f32_e32 v5, v5, v13
.LBB120_87:
	s_or_b32 exec_lo, exec_lo, s0
.LBB120_88:
	s_or_b32 exec_lo, exec_lo, s1
	s_barrier
	buffer_gl0_inv
	s_mov_b32 s0, exec_lo
	v_cmpx_eq_u32_e32 0, v15
	s_cbranch_execz .LBB120_90
; %bb.89:
	s_mul_i32 s0, s2, 0x60
	s_mul_i32 s2, s7, s10
	s_ashr_i32 s1, s0, 31
	v_lshrrev_b32_e32 v0, 1, v0
	s_lshl_b64 s[0:1], s[0:1], 1
	;;#ASMSTART
	v_cvt_f16_f32 v12, v12;

	;;#ASMEND
	s_add_u32 s4, s20, s0
	s_addc_u32 s5, s21, s1
	s_ashr_i32 s3, s2, 31
	s_lshl_b64 s[0:1], s[2:3], 1
	s_mul_i32 s2, s8, 0x60
	s_add_u32 s4, s4, s0
	s_addc_u32 s5, s5, s1
	s_ashr_i32 s3, s2, 31
	s_lshl_b64 s[0:1], s[2:3], 1
	s_add_u32 s0, s4, s0
	s_addc_u32 s1, s5, s1
	global_store_short v0, v12, s[0:1]
	;;#ASMSTART
	v_cvt_f16_f32 v11, v11;

	;;#ASMEND
	global_store_short v0, v11, s[0:1] offset:16
	;;#ASMSTART
	v_cvt_f16_f32 v10, v10;

	;;#ASMEND
	global_store_short v0, v10, s[0:1] offset:32
	;; [unrolled: 5-line block ×11, first 2 shown]
.LBB120_90:
	s_endpgm
.LBB120_91:
	ds_read_b32 v15, v13
	s_waitcnt lgkmcnt(0)
	v_add_f32_e32 v12, v12, v15
	s_or_b32 exec_lo, exec_lo, s0
	s_and_saveexec_b32 s0, vcc_lo
	s_cbranch_execz .LBB120_59
.LBB120_92:
	ds_read_b32 v15, v13 offset:32
	s_waitcnt lgkmcnt(0)
	v_add_f32_e32 v11, v11, v15
	s_or_b32 exec_lo, exec_lo, s0
	s_and_saveexec_b32 s0, vcc_lo
	s_cbranch_execz .LBB120_60
.LBB120_93:
	ds_read_b32 v15, v13 offset:64
	s_waitcnt lgkmcnt(0)
	v_add_f32_e32 v10, v10, v15
	s_or_b32 exec_lo, exec_lo, s0
	s_and_saveexec_b32 s0, vcc_lo
	s_cbranch_execz .LBB120_61
.LBB120_94:
	ds_read_b32 v15, v13 offset:96
	s_waitcnt lgkmcnt(0)
	v_add_f32_e32 v9, v9, v15
	s_or_b32 exec_lo, exec_lo, s0
	s_and_saveexec_b32 s0, vcc_lo
	s_cbranch_execz .LBB120_62
.LBB120_95:
	ds_read_b32 v15, v13 offset:128
	s_waitcnt lgkmcnt(0)
	v_add_f32_e32 v8, v8, v15
	s_or_b32 exec_lo, exec_lo, s0
	s_and_saveexec_b32 s0, vcc_lo
	s_cbranch_execz .LBB120_63
.LBB120_96:
	ds_read_b32 v15, v13 offset:160
	s_waitcnt lgkmcnt(0)
	v_add_f32_e32 v7, v7, v15
	s_or_b32 exec_lo, exec_lo, s0
	s_and_saveexec_b32 s0, vcc_lo
	s_cbranch_execz .LBB120_64
.LBB120_97:
	ds_read_b32 v15, v13 offset:192
	s_waitcnt lgkmcnt(0)
	v_add_f32_e32 v6, v6, v15
	s_or_b32 exec_lo, exec_lo, s0
	s_and_saveexec_b32 s0, vcc_lo
	s_cbranch_execz .LBB120_65
.LBB120_98:
	ds_read_b32 v15, v13 offset:224
	s_waitcnt lgkmcnt(0)
	v_add_f32_e32 v3, v3, v15
	s_or_b32 exec_lo, exec_lo, s0
	s_and_saveexec_b32 s0, vcc_lo
	s_cbranch_execz .LBB120_66
.LBB120_99:
	ds_read_b32 v15, v13 offset:256
	s_waitcnt lgkmcnt(0)
	v_add_f32_e32 v2, v2, v15
	s_or_b32 exec_lo, exec_lo, s0
	s_and_saveexec_b32 s0, vcc_lo
	s_cbranch_execz .LBB120_67
.LBB120_100:
	ds_read_b32 v15, v13 offset:288
	s_waitcnt lgkmcnt(0)
	v_add_f32_e32 v1, v1, v15
	s_or_b32 exec_lo, exec_lo, s0
	s_and_saveexec_b32 s0, vcc_lo
	s_cbranch_execz .LBB120_68
.LBB120_101:
	ds_read_b32 v15, v13 offset:320
	s_waitcnt lgkmcnt(0)
	v_add_f32_e32 v4, v4, v15
	s_or_b32 exec_lo, exec_lo, s0
	s_and_saveexec_b32 s0, vcc_lo
	s_cbranch_execnz .LBB120_69
	s_branch .LBB120_70
.LBB120_102:
	ds_read_b32 v14, v13
	s_waitcnt lgkmcnt(0)
	v_add_f32_e32 v12, v12, v14
	s_or_b32 exec_lo, exec_lo, s0
	s_and_saveexec_b32 s0, vcc_lo
	s_cbranch_execz .LBB120_76
.LBB120_103:
	ds_read_b32 v14, v13 offset:32
	s_waitcnt lgkmcnt(0)
	v_add_f32_e32 v11, v11, v14
	s_or_b32 exec_lo, exec_lo, s0
	s_and_saveexec_b32 s0, vcc_lo
	s_cbranch_execz .LBB120_77
.LBB120_104:
	ds_read_b32 v14, v13 offset:64
	s_waitcnt lgkmcnt(0)
	v_add_f32_e32 v10, v10, v14
	s_or_b32 exec_lo, exec_lo, s0
	s_and_saveexec_b32 s0, vcc_lo
	s_cbranch_execz .LBB120_78
.LBB120_105:
	ds_read_b32 v14, v13 offset:96
	s_waitcnt lgkmcnt(0)
	v_add_f32_e32 v9, v9, v14
	s_or_b32 exec_lo, exec_lo, s0
	s_and_saveexec_b32 s0, vcc_lo
	s_cbranch_execz .LBB120_79
.LBB120_106:
	ds_read_b32 v14, v13 offset:128
	s_waitcnt lgkmcnt(0)
	v_add_f32_e32 v8, v8, v14
	s_or_b32 exec_lo, exec_lo, s0
	s_and_saveexec_b32 s0, vcc_lo
	s_cbranch_execz .LBB120_80
.LBB120_107:
	ds_read_b32 v14, v13 offset:160
	s_waitcnt lgkmcnt(0)
	v_add_f32_e32 v7, v7, v14
	s_or_b32 exec_lo, exec_lo, s0
	s_and_saveexec_b32 s0, vcc_lo
	s_cbranch_execz .LBB120_81
.LBB120_108:
	ds_read_b32 v14, v13 offset:192
	s_waitcnt lgkmcnt(0)
	v_add_f32_e32 v6, v6, v14
	s_or_b32 exec_lo, exec_lo, s0
	s_and_saveexec_b32 s0, vcc_lo
	s_cbranch_execz .LBB120_82
.LBB120_109:
	ds_read_b32 v14, v13 offset:224
	s_waitcnt lgkmcnt(0)
	v_add_f32_e32 v3, v3, v14
	s_or_b32 exec_lo, exec_lo, s0
	s_and_saveexec_b32 s0, vcc_lo
	s_cbranch_execz .LBB120_83
.LBB120_110:
	ds_read_b32 v14, v13 offset:256
	s_waitcnt lgkmcnt(0)
	v_add_f32_e32 v2, v2, v14
	s_or_b32 exec_lo, exec_lo, s0
	s_and_saveexec_b32 s0, vcc_lo
	s_cbranch_execz .LBB120_84
.LBB120_111:
	ds_read_b32 v14, v13 offset:288
	s_waitcnt lgkmcnt(0)
	v_add_f32_e32 v1, v1, v14
	s_or_b32 exec_lo, exec_lo, s0
	s_and_saveexec_b32 s0, vcc_lo
	s_cbranch_execz .LBB120_85
.LBB120_112:
	ds_read_b32 v14, v13 offset:320
	s_waitcnt lgkmcnt(0)
	v_add_f32_e32 v4, v4, v14
	s_or_b32 exec_lo, exec_lo, s0
	s_and_saveexec_b32 s0, vcc_lo
	s_cbranch_execnz .LBB120_86
	s_branch .LBB120_87
	.section	.rodata,"a",@progbits
	.p2align	6, 0x0
	.amdhsa_kernel _ZN4vllm25paged_attention_v2_kernelIttLi96ELi32ELi128ELNS_18Fp8KVCacheDataTypeE0ELb0ELi512EEEvPfS2_PT_PKS3_PKT0_S9_ifPKiSB_iPKfiiiSD_SD_iiiii
		.amdhsa_group_segment_fixed_size 224
		.amdhsa_private_segment_fixed_size 0
		.amdhsa_kernarg_size 400
		.amdhsa_user_sgpr_count 6
		.amdhsa_user_sgpr_private_segment_buffer 1
		.amdhsa_user_sgpr_dispatch_ptr 0
		.amdhsa_user_sgpr_queue_ptr 0
		.amdhsa_user_sgpr_kernarg_segment_ptr 1
		.amdhsa_user_sgpr_dispatch_id 0
		.amdhsa_user_sgpr_flat_scratch_init 0
		.amdhsa_user_sgpr_private_segment_size 0
		.amdhsa_wavefront_size32 1
		.amdhsa_uses_dynamic_stack 0
		.amdhsa_system_sgpr_private_segment_wavefront_offset 0
		.amdhsa_system_sgpr_workgroup_id_x 1
		.amdhsa_system_sgpr_workgroup_id_y 1
		.amdhsa_system_sgpr_workgroup_id_z 1
		.amdhsa_system_sgpr_workgroup_info 0
		.amdhsa_system_vgpr_workitem_id 0
		.amdhsa_next_free_vgpr 83
		.amdhsa_next_free_sgpr 38
		.amdhsa_reserve_vcc 1
		.amdhsa_reserve_flat_scratch 0
		.amdhsa_float_round_mode_32 0
		.amdhsa_float_round_mode_16_64 0
		.amdhsa_float_denorm_mode_32 3
		.amdhsa_float_denorm_mode_16_64 3
		.amdhsa_dx10_clamp 1
		.amdhsa_ieee_mode 1
		.amdhsa_fp16_overflow 0
		.amdhsa_workgroup_processor_mode 1
		.amdhsa_memory_ordered 1
		.amdhsa_forward_progress 1
		.amdhsa_shared_vgpr_count 0
		.amdhsa_exception_fp_ieee_invalid_op 0
		.amdhsa_exception_fp_denorm_src 0
		.amdhsa_exception_fp_ieee_div_zero 0
		.amdhsa_exception_fp_ieee_overflow 0
		.amdhsa_exception_fp_ieee_underflow 0
		.amdhsa_exception_fp_ieee_inexact 0
		.amdhsa_exception_int_div_zero 0
	.end_amdhsa_kernel
	.section	.text._ZN4vllm25paged_attention_v2_kernelIttLi96ELi32ELi128ELNS_18Fp8KVCacheDataTypeE0ELb0ELi512EEEvPfS2_PT_PKS3_PKT0_S9_ifPKiSB_iPKfiiiSD_SD_iiiii,"axG",@progbits,_ZN4vllm25paged_attention_v2_kernelIttLi96ELi32ELi128ELNS_18Fp8KVCacheDataTypeE0ELb0ELi512EEEvPfS2_PT_PKS3_PKT0_S9_ifPKiSB_iPKfiiiSD_SD_iiiii,comdat
.Lfunc_end120:
	.size	_ZN4vllm25paged_attention_v2_kernelIttLi96ELi32ELi128ELNS_18Fp8KVCacheDataTypeE0ELb0ELi512EEEvPfS2_PT_PKS3_PKT0_S9_ifPKiSB_iPKfiiiSD_SD_iiiii, .Lfunc_end120-_ZN4vllm25paged_attention_v2_kernelIttLi96ELi32ELi128ELNS_18Fp8KVCacheDataTypeE0ELb0ELi512EEEvPfS2_PT_PKS3_PKT0_S9_ifPKiSB_iPKfiiiSD_SD_iiiii
                                        ; -- End function
	.set _ZN4vllm25paged_attention_v2_kernelIttLi96ELi32ELi128ELNS_18Fp8KVCacheDataTypeE0ELb0ELi512EEEvPfS2_PT_PKS3_PKT0_S9_ifPKiSB_iPKfiiiSD_SD_iiiii.num_vgpr, 83
	.set _ZN4vllm25paged_attention_v2_kernelIttLi96ELi32ELi128ELNS_18Fp8KVCacheDataTypeE0ELb0ELi512EEEvPfS2_PT_PKS3_PKT0_S9_ifPKiSB_iPKfiiiSD_SD_iiiii.num_agpr, 0
	.set _ZN4vllm25paged_attention_v2_kernelIttLi96ELi32ELi128ELNS_18Fp8KVCacheDataTypeE0ELb0ELi512EEEvPfS2_PT_PKS3_PKT0_S9_ifPKiSB_iPKfiiiSD_SD_iiiii.numbered_sgpr, 38
	.set _ZN4vllm25paged_attention_v2_kernelIttLi96ELi32ELi128ELNS_18Fp8KVCacheDataTypeE0ELb0ELi512EEEvPfS2_PT_PKS3_PKT0_S9_ifPKiSB_iPKfiiiSD_SD_iiiii.num_named_barrier, 0
	.set _ZN4vllm25paged_attention_v2_kernelIttLi96ELi32ELi128ELNS_18Fp8KVCacheDataTypeE0ELb0ELi512EEEvPfS2_PT_PKS3_PKT0_S9_ifPKiSB_iPKfiiiSD_SD_iiiii.private_seg_size, 0
	.set _ZN4vllm25paged_attention_v2_kernelIttLi96ELi32ELi128ELNS_18Fp8KVCacheDataTypeE0ELb0ELi512EEEvPfS2_PT_PKS3_PKT0_S9_ifPKiSB_iPKfiiiSD_SD_iiiii.uses_vcc, 1
	.set _ZN4vllm25paged_attention_v2_kernelIttLi96ELi32ELi128ELNS_18Fp8KVCacheDataTypeE0ELb0ELi512EEEvPfS2_PT_PKS3_PKT0_S9_ifPKiSB_iPKfiiiSD_SD_iiiii.uses_flat_scratch, 0
	.set _ZN4vllm25paged_attention_v2_kernelIttLi96ELi32ELi128ELNS_18Fp8KVCacheDataTypeE0ELb0ELi512EEEvPfS2_PT_PKS3_PKT0_S9_ifPKiSB_iPKfiiiSD_SD_iiiii.has_dyn_sized_stack, 0
	.set _ZN4vllm25paged_attention_v2_kernelIttLi96ELi32ELi128ELNS_18Fp8KVCacheDataTypeE0ELb0ELi512EEEvPfS2_PT_PKS3_PKT0_S9_ifPKiSB_iPKfiiiSD_SD_iiiii.has_recursion, 0
	.set _ZN4vllm25paged_attention_v2_kernelIttLi96ELi32ELi128ELNS_18Fp8KVCacheDataTypeE0ELb0ELi512EEEvPfS2_PT_PKS3_PKT0_S9_ifPKiSB_iPKfiiiSD_SD_iiiii.has_indirect_call, 0
	.section	.AMDGPU.csdata,"",@progbits
; Kernel info:
; codeLenInByte = 15048
; TotalNumSgprs: 40
; NumVgprs: 83
; ScratchSize: 0
; MemoryBound: 0
; FloatMode: 240
; IeeeMode: 1
; LDSByteSize: 224 bytes/workgroup (compile time only)
; SGPRBlocks: 0
; VGPRBlocks: 10
; NumSGPRsForWavesPerEU: 40
; NumVGPRsForWavesPerEU: 83
; Occupancy: 10
; WaveLimiterHint : 1
; COMPUTE_PGM_RSRC2:SCRATCH_EN: 0
; COMPUTE_PGM_RSRC2:USER_SGPR: 6
; COMPUTE_PGM_RSRC2:TRAP_HANDLER: 0
; COMPUTE_PGM_RSRC2:TGID_X_EN: 1
; COMPUTE_PGM_RSRC2:TGID_Y_EN: 1
; COMPUTE_PGM_RSRC2:TGID_Z_EN: 1
; COMPUTE_PGM_RSRC2:TIDIG_COMP_CNT: 0
	.section	.text._ZN4vllm25paged_attention_v2_kernelIttLi112ELi32ELi128ELNS_18Fp8KVCacheDataTypeE0ELb0ELi512EEEvPfS2_PT_PKS3_PKT0_S9_ifPKiSB_iPKfiiiSD_SD_iiiii,"axG",@progbits,_ZN4vllm25paged_attention_v2_kernelIttLi112ELi32ELi128ELNS_18Fp8KVCacheDataTypeE0ELb0ELi512EEEvPfS2_PT_PKS3_PKT0_S9_ifPKiSB_iPKfiiiSD_SD_iiiii,comdat
	.protected	_ZN4vllm25paged_attention_v2_kernelIttLi112ELi32ELi128ELNS_18Fp8KVCacheDataTypeE0ELb0ELi512EEEvPfS2_PT_PKS3_PKT0_S9_ifPKiSB_iPKfiiiSD_SD_iiiii ; -- Begin function _ZN4vllm25paged_attention_v2_kernelIttLi112ELi32ELi128ELNS_18Fp8KVCacheDataTypeE0ELb0ELi512EEEvPfS2_PT_PKS3_PKT0_S9_ifPKiSB_iPKfiiiSD_SD_iiiii
	.globl	_ZN4vllm25paged_attention_v2_kernelIttLi112ELi32ELi128ELNS_18Fp8KVCacheDataTypeE0ELb0ELi512EEEvPfS2_PT_PKS3_PKT0_S9_ifPKiSB_iPKfiiiSD_SD_iiiii
	.p2align	8
	.type	_ZN4vllm25paged_attention_v2_kernelIttLi112ELi32ELi128ELNS_18Fp8KVCacheDataTypeE0ELb0ELi512EEEvPfS2_PT_PKS3_PKT0_S9_ifPKiSB_iPKfiiiSD_SD_iiiii,@function
_ZN4vllm25paged_attention_v2_kernelIttLi112ELi32ELi128ELNS_18Fp8KVCacheDataTypeE0ELb0ELi512EEEvPfS2_PT_PKS3_PKT0_S9_ifPKiSB_iPKfiiiSD_SD_iiiii: ; @_ZN4vllm25paged_attention_v2_kernelIttLi112ELi32ELi128ELNS_18Fp8KVCacheDataTypeE0ELb0ELi512EEEvPfS2_PT_PKS3_PKT0_S9_ifPKiSB_iPKfiiiSD_SD_iiiii
; %bb.0:
	s_load_dwordx2 s[0:1], s[4:5], 0x40
	s_mov_b32 s24, s7
	s_ashr_i32 s25, s7, 31
	s_lshl_b64 s[2:3], s[24:25], 2
	s_waitcnt lgkmcnt(0)
	s_add_u32 s0, s0, s2
	s_addc_u32 s1, s1, s3
	s_lshl_b32 s30, s8, 9
	s_load_dword s25, s[0:1], 0x0
	s_waitcnt lgkmcnt(0)
	s_cmp_ge_i32 s30, s25
	s_cbranch_scc1 .LBB121_98
; %bb.1:
	s_clause 0x1
	s_load_dword s9, s[4:5], 0x90
	s_load_dwordx2 s[2:3], s[4:5], 0x30
	s_mov_b32 s31, 0
	s_waitcnt lgkmcnt(0)
	s_abs_i32 s10, s9
	s_abs_i32 s0, s2
	s_xor_b32 s2, s9, s2
	v_cvt_f32_u32_e32 v1, s0
	s_sub_i32 s7, 0, s0
	s_ashr_i32 s2, s2, 31
	v_rcp_iflag_f32_e32 v1, v1
	v_mul_f32_e32 v1, 0x4f7ffffe, v1
	v_cvt_u32_f32_e32 v1, v1
	v_readfirstlane_b32 s1, v1
	s_mul_i32 s7, s7, s1
	s_mul_hi_u32 s7, s1, s7
	s_add_i32 s1, s1, s7
	s_mul_hi_u32 s1, s10, s1
	s_mul_i32 s7, s1, s0
	s_sub_i32 s7, s10, s7
	s_add_i32 s10, s1, 1
	s_sub_i32 s11, s7, s0
	s_cmp_ge_u32 s7, s0
	s_cselect_b32 s1, s10, s1
	s_cselect_b32 s7, s11, s7
	s_add_i32 s10, s1, 1
	s_cmp_ge_u32 s7, s0
	s_cselect_b32 s0, s10, s1
	s_abs_i32 s33, s6
	s_xor_b32 s0, s0, s2
	s_sub_i32 s2, s0, s2
	s_load_dwordx2 s[0:1], s[4:5], 0x50
	s_abs_i32 s28, s2
	v_cvt_f32_u32_e32 v1, s28
	s_sub_i32 s10, 0, s28
	v_rcp_iflag_f32_e32 v1, v1
	v_mul_f32_e32 v1, 0x4f7ffffe, v1
	v_cvt_u32_f32_e32 v1, v1
	v_readfirstlane_b32 s7, v1
	s_mul_i32 s10, s10, s7
	s_mul_hi_u32 s10, s7, s10
	s_add_i32 s7, s7, s10
	s_waitcnt lgkmcnt(0)
	s_cmp_eq_u64 s[0:1], 0
	s_mul_hi_u32 s29, s33, s7
	s_cbranch_scc1 .LBB121_3
; %bb.2:
	s_ashr_i32 s7, s6, 31
	s_lshl_b64 s[10:11], s[6:7], 2
	s_add_u32 s0, s0, s10
	s_addc_u32 s1, s1, s11
	s_load_dword s31, s[0:1], 0x0
.LBB121_3:
	s_clause 0x1
	s_load_dwordx2 s[22:23], s[4:5], 0x38
	s_load_dwordx4 s[12:15], s[4:5], 0x58
	v_lshlrev_b32_e32 v63, 4, v0
	s_ashr_i32 s0, s6, 31
	s_ashr_i32 s1, s2, 31
	s_mul_i32 s10, s6, 0x70
	s_mov_b32 s2, exec_lo
	v_cmpx_gt_u32_e32 14, v0
	s_cbranch_execz .LBB121_5
; %bb.4:
	s_load_dwordx2 s[16:17], s[4:5], 0x18
	s_waitcnt lgkmcnt(0)
	s_mul_i32 s18, s12, s24
	s_ashr_i32 s19, s18, 31
	s_lshl_b64 s[18:19], s[18:19], 1
	s_add_u32 s7, s16, s18
	s_addc_u32 s12, s17, s19
	s_ashr_i32 s11, s10, 31
	s_lshl_b64 s[16:17], s[10:11], 1
	s_add_u32 s16, s7, s16
	s_addc_u32 s17, s12, s17
	global_load_dwordx4 v[1:4], v63, s[16:17]
	s_waitcnt vmcnt(0)
	ds_write_b128 v63, v[1:4]
.LBB121_5:
	s_or_b32 exec_lo, exec_lo, s2
	s_add_i32 s7, s25, 31
	s_clause 0x1
	s_load_dwordx4 s[16:19], s[4:5], 0x0
	s_load_dwordx2 s[20:21], s[4:5], 0x10
	s_ashr_i32 s2, s7, 31
	s_mul_i32 s34, s29, s28
	s_lshr_b32 s11, s2, 27
	s_lshl_b32 s2, s8, 4
	s_add_i32 s7, s7, s11
	s_add_i32 s11, s2, 16
	s_waitcnt lgkmcnt(0)
	s_ashr_i32 s12, s7, 5
	s_clause 0x2
	s_load_dwordx2 s[26:27], s[4:5], 0x28
	s_load_dword s7, s[4:5], 0x98
	s_load_dword s15, s[4:5], 0x48
	s_xor_b32 s0, s0, s1
	s_sub_i32 s1, s33, s34
	s_min_i32 s11, s11, s12
	s_add_i32 s33, s29, 1
	s_sub_i32 s34, s1, s28
	s_cmp_ge_u32 s1, s28
	v_lshrrev_b32_e32 v61, 5, v0
	s_cselect_b32 s29, s33, s29
	s_cselect_b32 s1, s34, s1
	s_add_i32 s33, s29, 1
	s_cmp_ge_u32 s1, s28
	v_add_nc_u32_e32 v57, s2, v61
	v_and_b32_e32 v62, 31, v0
	s_cselect_b32 s1, s33, s29
	v_mov_b32_e32 v65, 0xff7fffff
	s_xor_b32 s1, s1, s0
	v_ashrrev_i32_e32 v58, 31, v57
	s_sub_i32 s1, s1, s0
	v_cmp_gt_i32_e64 s0, s11, v57
	v_lshlrev_b32_e32 v64, 2, v62
	s_waitcnt lgkmcnt(0)
	s_mul_i32 s28, s15, s24
	s_mul_i32 s14, s1, s14
	s_ashr_i32 s29, s28, 31
	s_barrier
	buffer_gl0_inv
	s_and_saveexec_b32 s33, s0
	s_cbranch_execz .LBB121_9
; %bb.6:
	s_load_dwordx2 s[4:5], s[4:5], 0x20
	s_ashr_i32 s15, s14, 31
	v_lshlrev_b32_e32 v3, 4, v62
	s_lshl_b64 s[34:35], s[14:15], 1
	v_lshlrev_b64 v[1:2], 2, v[57:58]
	v_lshlrev_b32_e32 v4, 5, v61
	v_lshl_or_b32 v5, v61, 7, v64
	v_mov_b32_e32 v66, 0
	v_cmp_neq_f32_e64 vcc_lo, s31, 0
	v_mov_b32_e32 v65, 0xff7fffff
	v_add3_u32 v67, s30, v4, v62
	v_add_nc_u32_e32 v68, 0x100, v5
	v_mov_b32_e32 v71, v57
	s_mov_b32 s15, s13
	s_waitcnt lgkmcnt(0)
	s_add_u32 s1, s4, s34
	s_addc_u32 s5, s5, s35
	s_lshl_b64 s[34:35], s[28:29], 2
	v_add_co_u32 v69, s1, s1, v3
	s_sub_i32 s4, 1, s25
	v_add_co_ci_u32_e64 v70, null, s5, 0, s1
	s_add_u32 s1, s22, s34
	s_addc_u32 s5, s23, s35
	v_add_co_u32 v59, s1, s1, v1
	v_add_co_ci_u32_e64 v60, null, s5, v2, s1
	s_mov_b32 s5, 0
.LBB121_7:                              ; =>This Inner Loop Header: Depth=1
	global_load_dword v1, v[59:60], off
	v_add_nc_u32_e32 v3, s4, v67
	v_add_nc_u32_e32 v71, 4, v71
	v_cvt_f32_i32_e32 v3, v3
	v_mul_f32_e32 v3, s31, v3
	v_cndmask_b32_e32 v72, 0, v3, vcc_lo
	s_waitcnt vmcnt(0)
	v_mad_i64_i32 v[1:2], null, v1, s15, 0
	v_lshlrev_b64 v[1:2], 1, v[1:2]
	v_add_co_u32 v1, s1, v69, v1
	v_add_co_ci_u32_e64 v2, null, v70, v2, s1
	s_clause 0x3
	global_load_dwordx4 v[53:56], v[1:2], off
	global_load_dwordx4 v[49:52], v[1:2], off offset:512
	global_load_dwordx4 v[45:48], v[1:2], off offset:1024
	;; [unrolled: 1-line block ×3, first 2 shown]
	v_add_co_u32 v3, s1, 0x800, v1
	v_add_co_ci_u32_e64 v4, null, 0, v2, s1
	v_add_co_u32 v5, s1, v1, 0x1000
	v_add_co_ci_u32_e64 v6, null, 0, v2, s1
	s_clause 0x3
	global_load_dwordx4 v[37:40], v[5:6], off offset:-2048
	global_load_dwordx4 v[33:36], v[3:4], off offset:512
	global_load_dwordx4 v[29:32], v[3:4], off offset:1024
	;; [unrolled: 1-line block ×3, first 2 shown]
	v_add_co_u32 v3, s1, 0x1000, v1
	v_add_co_ci_u32_e64 v4, null, 0, v2, s1
	s_clause 0x3
	global_load_dwordx4 v[21:24], v[5:6], off
	global_load_dwordx4 v[17:20], v[3:4], off offset:512
	global_load_dwordx4 v[13:16], v[3:4], off offset:1024
	;; [unrolled: 1-line block ×3, first 2 shown]
	v_add_co_u32 v1, s1, 0x1800, v1
	v_add_co_ci_u32_e64 v2, null, 0, v2, s1
	s_clause 0x1
	global_load_dwordx4 v[5:8], v[1:2], off
	global_load_dwordx4 v[1:4], v[1:2], off offset:512
	ds_read_b128 v[73:76], v66
	v_cmp_gt_i32_e64 s1, s25, v67
	v_add_nc_u32_e32 v67, 0x80, v67
	s_waitcnt lgkmcnt(0)
	v_lshrrev_b32_e32 v77, 16, v73
	v_and_b32_e32 v73, 0xffff, v73
	;;#ASMSTART
	v_cvt_f32_f16 v73, v73;
	;;#ASMEND
	;;#ASMSTART
	v_cvt_f32_f16 v77, v77;
	;;#ASMEND
	s_waitcnt vmcnt(13)
	v_lshrrev_b32_e32 v79, 16, v53
	v_and_b32_e32 v53, 0xffff, v53
	;;#ASMSTART
	v_cvt_f32_f16 v78, v53;
	;;#ASMEND
	v_lshrrev_b32_e32 v53, 16, v74
	v_and_b32_e32 v74, 0xffff, v74
	;;#ASMSTART
	v_cvt_f32_f16 v79, v79;
	;;#ASMEND
	;;#ASMSTART
	v_cvt_f32_f16 v74, v74;
	;;#ASMEND
	;; [unrolled: 3-line block ×3, first 2 shown]
	v_lshrrev_b32_e32 v53, 16, v54
	v_and_b32_e32 v54, 0xffff, v54
	;;#ASMSTART
	v_cvt_f32_f16 v81, v54;
	;;#ASMEND
	;;#ASMSTART
	v_cvt_f32_f16 v82, v53;
	;;#ASMEND
	v_lshrrev_b32_e32 v53, 16, v75
	v_and_b32_e32 v54, 0xffff, v75
	;;#ASMSTART
	v_cvt_f32_f16 v75, v54;
	;;#ASMEND
	;;#ASMSTART
	v_cvt_f32_f16 v83, v53;
	;;#ASMEND
	;; [unrolled: 8-line block ×5, first 2 shown]
	ds_read_b128 v[53:56], v66 offset:16
	s_waitcnt vmcnt(12)
	v_lshrrev_b32_e32 v90, 16, v49
	v_and_b32_e32 v49, 0xffff, v49
	s_waitcnt lgkmcnt(0)
	v_lshrrev_b32_e32 v89, 16, v53
	v_and_b32_e32 v53, 0xffff, v53
	;;#ASMSTART
	v_cvt_f32_f16 v53, v53;
	;;#ASMEND
	;;#ASMSTART
	v_cvt_f32_f16 v89, v89;
	;;#ASMEND
	;; [unrolled: 3-line block ×4, first 2 shown]
	v_mul_f32_e32 v49, v53, v49
	v_mul_f32_e32 v53, v89, v90
	v_fmac_f32_e32 v49, v73, v78
	v_fmac_f32_e32 v53, v77, v79
	v_lshrrev_b32_e32 v73, 16, v54
	v_and_b32_e32 v54, 0xffff, v54
	v_lshrrev_b32_e32 v77, 16, v50
	v_and_b32_e32 v50, 0xffff, v50
	;;#ASMSTART
	v_cvt_f32_f16 v54, v54;
	;;#ASMEND
	;;#ASMSTART
	v_cvt_f32_f16 v73, v73;
	;;#ASMEND
	;; [unrolled: 3-line block ×3, first 2 shown]
	v_mul_f32_e32 v50, v54, v50
	;;#ASMSTART
	v_cvt_f32_f16 v77, v77;
	;;#ASMEND
	v_mul_f32_e32 v54, v73, v77
	v_lshrrev_b32_e32 v73, 16, v55
	v_and_b32_e32 v55, 0xffff, v55
	v_fmac_f32_e32 v50, v74, v81
	v_lshrrev_b32_e32 v74, 16, v51
	v_and_b32_e32 v51, 0xffff, v51
	;;#ASMSTART
	v_cvt_f32_f16 v55, v55;
	;;#ASMEND
	;;#ASMSTART
	v_cvt_f32_f16 v73, v73;
	;;#ASMEND
	;; [unrolled: 3-line block ×4, first 2 shown]
	v_mul_f32_e32 v51, v55, v51
	v_mul_f32_e32 v55, v73, v74
	v_lshrrev_b32_e32 v73, 16, v56
	v_and_b32_e32 v56, 0xffff, v56
	v_lshrrev_b32_e32 v74, 16, v52
	v_and_b32_e32 v52, 0xffff, v52
	;;#ASMSTART
	v_cvt_f32_f16 v56, v56;
	;;#ASMEND
	;;#ASMSTART
	v_cvt_f32_f16 v73, v73;
	;;#ASMEND
	;; [unrolled: 3-line block ×3, first 2 shown]
	v_mul_f32_e32 v52, v56, v52
	;;#ASMSTART
	v_cvt_f32_f16 v74, v74;
	;;#ASMEND
	v_fmac_f32_e32 v51, v75, v84
	v_mul_f32_e32 v56, v73, v74
	v_fmac_f32_e32 v54, v80, v82
	v_fmac_f32_e32 v52, v76, v87
	ds_read_b128 v[73:76], v66 offset:32
	s_waitcnt vmcnt(11)
	v_lshrrev_b32_e32 v78, 16, v45
	v_and_b32_e32 v45, 0xffff, v45
	v_fmac_f32_e32 v55, v83, v85
	v_fmac_f32_e32 v56, v86, v88
	s_waitcnt lgkmcnt(0)
	v_lshrrev_b32_e32 v77, 16, v73
	v_and_b32_e32 v73, 0xffff, v73
	;;#ASMSTART
	v_cvt_f32_f16 v73, v73;
	;;#ASMEND
	;;#ASMSTART
	v_cvt_f32_f16 v77, v77;
	;;#ASMEND
	;; [unrolled: 3-line block ×3, first 2 shown]
	v_fmac_f32_e32 v49, v73, v45
	v_lshrrev_b32_e32 v73, 16, v74
	v_and_b32_e32 v45, 0xffff, v74
	v_lshrrev_b32_e32 v74, 16, v46
	v_and_b32_e32 v46, 0xffff, v46
	;;#ASMSTART
	v_cvt_f32_f16 v78, v78;
	;;#ASMEND
	;;#ASMSTART
	v_cvt_f32_f16 v45, v45;
	;;#ASMEND
	;; [unrolled: 3-line block ×5, first 2 shown]
	v_fmac_f32_e32 v50, v45, v46
	v_fmac_f32_e32 v54, v73, v74
	v_lshrrev_b32_e32 v46, 16, v75
	v_and_b32_e32 v45, 0xffff, v75
	v_lshrrev_b32_e32 v73, 16, v47
	v_and_b32_e32 v47, 0xffff, v47
	;;#ASMSTART
	v_cvt_f32_f16 v45, v45;
	;;#ASMEND
	;;#ASMSTART
	v_cvt_f32_f16 v46, v46;
	;;#ASMEND
	;;#ASMSTART
	v_cvt_f32_f16 v47, v47;
	;;#ASMEND
	;;#ASMSTART
	v_cvt_f32_f16 v73, v73;
	;;#ASMEND
	v_fmac_f32_e32 v51, v45, v47
	v_fmac_f32_e32 v55, v46, v73
	v_lshrrev_b32_e32 v46, 16, v76
	v_and_b32_e32 v45, 0xffff, v76
	v_and_b32_e32 v47, 0xffff, v48
	;;#ASMSTART
	v_cvt_f32_f16 v45, v45;
	;;#ASMEND
	;;#ASMSTART
	v_cvt_f32_f16 v46, v46;
	;;#ASMEND
	v_lshrrev_b32_e32 v73, 16, v48
	;;#ASMSTART
	v_cvt_f32_f16 v47, v47;
	;;#ASMEND
	;;#ASMSTART
	v_cvt_f32_f16 v48, v73;
	;;#ASMEND
	v_fmac_f32_e32 v52, v45, v47
	v_fmac_f32_e32 v56, v46, v48
	ds_read_b128 v[45:48], v66 offset:48
	s_waitcnt vmcnt(10)
	v_lshrrev_b32_e32 v74, 16, v41
	v_and_b32_e32 v41, 0xffff, v41
	v_fmac_f32_e32 v53, v77, v78
	s_waitcnt lgkmcnt(0)
	v_lshrrev_b32_e32 v73, 16, v45
	v_and_b32_e32 v45, 0xffff, v45
	;;#ASMSTART
	v_cvt_f32_f16 v45, v45;
	;;#ASMEND
	;;#ASMSTART
	v_cvt_f32_f16 v73, v73;
	;;#ASMEND
	;; [unrolled: 3-line block ×3, first 2 shown]
	v_fmac_f32_e32 v49, v45, v41
	v_lshrrev_b32_e32 v45, 16, v46
	v_and_b32_e32 v41, 0xffff, v46
	v_lshrrev_b32_e32 v46, 16, v42
	v_and_b32_e32 v42, 0xffff, v42
	;;#ASMSTART
	v_cvt_f32_f16 v74, v74;
	;;#ASMEND
	;;#ASMSTART
	v_cvt_f32_f16 v41, v41;
	;;#ASMEND
	;; [unrolled: 3-line block ×5, first 2 shown]
	v_fmac_f32_e32 v50, v41, v42
	v_fmac_f32_e32 v54, v45, v46
	v_lshrrev_b32_e32 v42, 16, v47
	v_and_b32_e32 v41, 0xffff, v47
	v_lshrrev_b32_e32 v45, 16, v43
	v_and_b32_e32 v43, 0xffff, v43
	;;#ASMSTART
	v_cvt_f32_f16 v41, v41;
	;;#ASMEND
	;;#ASMSTART
	v_cvt_f32_f16 v42, v42;
	;;#ASMEND
	;; [unrolled: 3-line block ×4, first 2 shown]
	v_fmac_f32_e32 v51, v41, v43
	v_fmac_f32_e32 v55, v42, v45
	v_lshrrev_b32_e32 v42, 16, v48
	v_and_b32_e32 v41, 0xffff, v48
	v_and_b32_e32 v43, 0xffff, v44
	;;#ASMSTART
	v_cvt_f32_f16 v41, v41;
	;;#ASMEND
	;;#ASMSTART
	v_cvt_f32_f16 v42, v42;
	;;#ASMEND
	v_lshrrev_b32_e32 v45, 16, v44
	;;#ASMSTART
	v_cvt_f32_f16 v43, v43;
	;;#ASMEND
	;;#ASMSTART
	v_cvt_f32_f16 v44, v45;
	;;#ASMEND
	v_fmac_f32_e32 v52, v41, v43
	v_fmac_f32_e32 v56, v42, v44
	ds_read_b128 v[41:44], v66 offset:64
	s_waitcnt vmcnt(9)
	v_lshrrev_b32_e32 v46, 16, v37
	v_and_b32_e32 v37, 0xffff, v37
	v_fmac_f32_e32 v53, v73, v74
	s_waitcnt lgkmcnt(0)
	v_lshrrev_b32_e32 v45, 16, v41
	v_and_b32_e32 v41, 0xffff, v41
	;;#ASMSTART
	v_cvt_f32_f16 v41, v41;
	;;#ASMEND
	;;#ASMSTART
	v_cvt_f32_f16 v45, v45;
	;;#ASMEND
	;;#ASMSTART
	v_cvt_f32_f16 v37, v37;
	;;#ASMEND
	v_fmac_f32_e32 v49, v41, v37
	v_lshrrev_b32_e32 v41, 16, v42
	v_and_b32_e32 v37, 0xffff, v42
	v_lshrrev_b32_e32 v42, 16, v38
	v_and_b32_e32 v38, 0xffff, v38
	;;#ASMSTART
	v_cvt_f32_f16 v46, v46;
	;;#ASMEND
	;;#ASMSTART
	v_cvt_f32_f16 v37, v37;
	;;#ASMEND
	;;#ASMSTART
	v_cvt_f32_f16 v41, v41;
	;;#ASMEND
	;;#ASMSTART
	v_cvt_f32_f16 v38, v38;
	;;#ASMEND
	;;#ASMSTART
	v_cvt_f32_f16 v42, v42;
	;;#ASMEND
	v_fmac_f32_e32 v50, v37, v38
	v_fmac_f32_e32 v54, v41, v42
	v_lshrrev_b32_e32 v38, 16, v43
	v_and_b32_e32 v37, 0xffff, v43
	v_lshrrev_b32_e32 v41, 16, v39
	v_and_b32_e32 v39, 0xffff, v39
	;;#ASMSTART
	v_cvt_f32_f16 v37, v37;
	;;#ASMEND
	;;#ASMSTART
	v_cvt_f32_f16 v38, v38;
	;;#ASMEND
	;; [unrolled: 3-line block ×4, first 2 shown]
	v_fmac_f32_e32 v51, v37, v39
	v_fmac_f32_e32 v55, v38, v41
	v_lshrrev_b32_e32 v38, 16, v44
	v_and_b32_e32 v37, 0xffff, v44
	v_and_b32_e32 v39, 0xffff, v40
	;;#ASMSTART
	v_cvt_f32_f16 v37, v37;
	;;#ASMEND
	;;#ASMSTART
	v_cvt_f32_f16 v38, v38;
	;;#ASMEND
	v_lshrrev_b32_e32 v41, 16, v40
	;;#ASMSTART
	v_cvt_f32_f16 v39, v39;
	;;#ASMEND
	;;#ASMSTART
	v_cvt_f32_f16 v40, v41;
	;;#ASMEND
	v_fmac_f32_e32 v52, v37, v39
	v_fmac_f32_e32 v56, v38, v40
	ds_read_b128 v[37:40], v66 offset:80
	s_waitcnt vmcnt(8)
	v_lshrrev_b32_e32 v42, 16, v33
	v_and_b32_e32 v33, 0xffff, v33
	v_fmac_f32_e32 v53, v45, v46
	s_waitcnt lgkmcnt(0)
	v_lshrrev_b32_e32 v41, 16, v37
	v_and_b32_e32 v37, 0xffff, v37
	;;#ASMSTART
	v_cvt_f32_f16 v37, v37;
	;;#ASMEND
	;;#ASMSTART
	v_cvt_f32_f16 v41, v41;
	;;#ASMEND
	;; [unrolled: 3-line block ×3, first 2 shown]
	v_fmac_f32_e32 v49, v37, v33
	v_lshrrev_b32_e32 v37, 16, v38
	v_and_b32_e32 v33, 0xffff, v38
	v_lshrrev_b32_e32 v38, 16, v34
	v_and_b32_e32 v34, 0xffff, v34
	;;#ASMSTART
	v_cvt_f32_f16 v42, v42;
	;;#ASMEND
	;;#ASMSTART
	v_cvt_f32_f16 v33, v33;
	;;#ASMEND
	;; [unrolled: 3-line block ×5, first 2 shown]
	v_fmac_f32_e32 v50, v33, v34
	v_fmac_f32_e32 v54, v37, v38
	v_lshrrev_b32_e32 v34, 16, v39
	v_and_b32_e32 v33, 0xffff, v39
	v_lshrrev_b32_e32 v37, 16, v35
	v_and_b32_e32 v35, 0xffff, v35
	;;#ASMSTART
	v_cvt_f32_f16 v33, v33;
	;;#ASMEND
	;;#ASMSTART
	v_cvt_f32_f16 v34, v34;
	;;#ASMEND
	;; [unrolled: 3-line block ×4, first 2 shown]
	v_fmac_f32_e32 v51, v33, v35
	v_fmac_f32_e32 v55, v34, v37
	v_lshrrev_b32_e32 v34, 16, v40
	v_and_b32_e32 v33, 0xffff, v40
	v_and_b32_e32 v35, 0xffff, v36
	;;#ASMSTART
	v_cvt_f32_f16 v33, v33;
	;;#ASMEND
	;;#ASMSTART
	v_cvt_f32_f16 v34, v34;
	;;#ASMEND
	v_lshrrev_b32_e32 v37, 16, v36
	;;#ASMSTART
	v_cvt_f32_f16 v35, v35;
	;;#ASMEND
	;;#ASMSTART
	v_cvt_f32_f16 v36, v37;
	;;#ASMEND
	v_fmac_f32_e32 v52, v33, v35
	v_fmac_f32_e32 v56, v34, v36
	ds_read_b128 v[33:36], v66 offset:96
	s_waitcnt vmcnt(7)
	v_lshrrev_b32_e32 v38, 16, v29
	v_and_b32_e32 v29, 0xffff, v29
	v_fmac_f32_e32 v53, v41, v42
	s_waitcnt lgkmcnt(0)
	v_lshrrev_b32_e32 v37, 16, v33
	v_and_b32_e32 v33, 0xffff, v33
	;;#ASMSTART
	v_cvt_f32_f16 v33, v33;
	;;#ASMEND
	;;#ASMSTART
	v_cvt_f32_f16 v37, v37;
	;;#ASMEND
	;;#ASMSTART
	v_cvt_f32_f16 v29, v29;
	;;#ASMEND
	v_fmac_f32_e32 v49, v33, v29
	v_lshrrev_b32_e32 v33, 16, v34
	v_and_b32_e32 v29, 0xffff, v34
	v_lshrrev_b32_e32 v34, 16, v30
	v_and_b32_e32 v30, 0xffff, v30
	;;#ASMSTART
	v_cvt_f32_f16 v38, v38;
	;;#ASMEND
	;;#ASMSTART
	v_cvt_f32_f16 v29, v29;
	;;#ASMEND
	;; [unrolled: 3-line block ×5, first 2 shown]
	v_fmac_f32_e32 v50, v29, v30
	v_fmac_f32_e32 v54, v33, v34
	v_lshrrev_b32_e32 v30, 16, v35
	v_and_b32_e32 v29, 0xffff, v35
	v_lshrrev_b32_e32 v33, 16, v31
	v_and_b32_e32 v31, 0xffff, v31
	;;#ASMSTART
	v_cvt_f32_f16 v29, v29;
	;;#ASMEND
	;;#ASMSTART
	v_cvt_f32_f16 v30, v30;
	;;#ASMEND
	;; [unrolled: 3-line block ×4, first 2 shown]
	v_fmac_f32_e32 v51, v29, v31
	v_fmac_f32_e32 v55, v30, v33
	v_lshrrev_b32_e32 v30, 16, v36
	v_and_b32_e32 v29, 0xffff, v36
	v_and_b32_e32 v31, 0xffff, v32
	;;#ASMSTART
	v_cvt_f32_f16 v29, v29;
	;;#ASMEND
	;;#ASMSTART
	v_cvt_f32_f16 v30, v30;
	;;#ASMEND
	v_lshrrev_b32_e32 v33, 16, v32
	;;#ASMSTART
	v_cvt_f32_f16 v31, v31;
	;;#ASMEND
	;;#ASMSTART
	v_cvt_f32_f16 v32, v33;
	;;#ASMEND
	v_fmac_f32_e32 v52, v29, v31
	v_fmac_f32_e32 v56, v30, v32
	ds_read_b128 v[29:32], v66 offset:112
	s_waitcnt vmcnt(6)
	v_lshrrev_b32_e32 v34, 16, v25
	v_and_b32_e32 v25, 0xffff, v25
	v_fmac_f32_e32 v53, v37, v38
	s_waitcnt lgkmcnt(0)
	v_lshrrev_b32_e32 v33, 16, v29
	v_and_b32_e32 v29, 0xffff, v29
	;;#ASMSTART
	v_cvt_f32_f16 v29, v29;
	;;#ASMEND
	;;#ASMSTART
	v_cvt_f32_f16 v33, v33;
	;;#ASMEND
	;;#ASMSTART
	v_cvt_f32_f16 v25, v25;
	;;#ASMEND
	v_fmac_f32_e32 v49, v29, v25
	v_lshrrev_b32_e32 v29, 16, v30
	v_and_b32_e32 v25, 0xffff, v30
	v_lshrrev_b32_e32 v30, 16, v26
	v_and_b32_e32 v26, 0xffff, v26
	;;#ASMSTART
	v_cvt_f32_f16 v34, v34;
	;;#ASMEND
	;;#ASMSTART
	v_cvt_f32_f16 v25, v25;
	;;#ASMEND
	;; [unrolled: 3-line block ×5, first 2 shown]
	v_fmac_f32_e32 v50, v25, v26
	v_fmac_f32_e32 v54, v29, v30
	v_lshrrev_b32_e32 v26, 16, v31
	v_and_b32_e32 v25, 0xffff, v31
	v_lshrrev_b32_e32 v29, 16, v27
	v_and_b32_e32 v27, 0xffff, v27
	;;#ASMSTART
	v_cvt_f32_f16 v25, v25;
	;;#ASMEND
	;;#ASMSTART
	v_cvt_f32_f16 v26, v26;
	;;#ASMEND
	;; [unrolled: 3-line block ×4, first 2 shown]
	v_fmac_f32_e32 v51, v25, v27
	v_fmac_f32_e32 v55, v26, v29
	v_lshrrev_b32_e32 v26, 16, v32
	v_and_b32_e32 v25, 0xffff, v32
	v_and_b32_e32 v27, 0xffff, v28
	;;#ASMSTART
	v_cvt_f32_f16 v25, v25;
	;;#ASMEND
	;;#ASMSTART
	v_cvt_f32_f16 v26, v26;
	;;#ASMEND
	v_lshrrev_b32_e32 v29, 16, v28
	;;#ASMSTART
	v_cvt_f32_f16 v27, v27;
	;;#ASMEND
	;;#ASMSTART
	v_cvt_f32_f16 v28, v29;
	;;#ASMEND
	v_fmac_f32_e32 v52, v25, v27
	v_fmac_f32_e32 v56, v26, v28
	ds_read_b128 v[25:28], v66 offset:128
	s_waitcnt vmcnt(5)
	v_lshrrev_b32_e32 v30, 16, v21
	v_and_b32_e32 v21, 0xffff, v21
	v_fmac_f32_e32 v53, v33, v34
	s_waitcnt lgkmcnt(0)
	v_lshrrev_b32_e32 v29, 16, v25
	v_and_b32_e32 v25, 0xffff, v25
	;;#ASMSTART
	v_cvt_f32_f16 v25, v25;
	;;#ASMEND
	;;#ASMSTART
	v_cvt_f32_f16 v29, v29;
	;;#ASMEND
	;;#ASMSTART
	v_cvt_f32_f16 v21, v21;
	;;#ASMEND
	v_fmac_f32_e32 v49, v25, v21
	v_lshrrev_b32_e32 v25, 16, v26
	v_and_b32_e32 v21, 0xffff, v26
	v_lshrrev_b32_e32 v26, 16, v22
	v_and_b32_e32 v22, 0xffff, v22
	;;#ASMSTART
	v_cvt_f32_f16 v30, v30;
	;;#ASMEND
	;;#ASMSTART
	v_cvt_f32_f16 v21, v21;
	;;#ASMEND
	;; [unrolled: 3-line block ×5, first 2 shown]
	v_fmac_f32_e32 v50, v21, v22
	v_fmac_f32_e32 v54, v25, v26
	v_lshrrev_b32_e32 v22, 16, v27
	v_and_b32_e32 v21, 0xffff, v27
	v_lshrrev_b32_e32 v25, 16, v23
	v_and_b32_e32 v23, 0xffff, v23
	;;#ASMSTART
	v_cvt_f32_f16 v21, v21;
	;;#ASMEND
	;;#ASMSTART
	v_cvt_f32_f16 v22, v22;
	;;#ASMEND
	;; [unrolled: 3-line block ×4, first 2 shown]
	v_fmac_f32_e32 v51, v21, v23
	v_fmac_f32_e32 v55, v22, v25
	v_lshrrev_b32_e32 v22, 16, v28
	v_and_b32_e32 v21, 0xffff, v28
	v_and_b32_e32 v23, 0xffff, v24
	;;#ASMSTART
	v_cvt_f32_f16 v21, v21;
	;;#ASMEND
	;;#ASMSTART
	v_cvt_f32_f16 v22, v22;
	;;#ASMEND
	v_lshrrev_b32_e32 v25, 16, v24
	;;#ASMSTART
	v_cvt_f32_f16 v23, v23;
	;;#ASMEND
	;;#ASMSTART
	v_cvt_f32_f16 v24, v25;
	;;#ASMEND
	v_fmac_f32_e32 v52, v21, v23
	v_fmac_f32_e32 v56, v22, v24
	ds_read_b128 v[21:24], v66 offset:144
	s_waitcnt vmcnt(4)
	v_lshrrev_b32_e32 v26, 16, v17
	v_and_b32_e32 v17, 0xffff, v17
	v_fmac_f32_e32 v53, v29, v30
	s_waitcnt lgkmcnt(0)
	v_lshrrev_b32_e32 v25, 16, v21
	v_and_b32_e32 v21, 0xffff, v21
	;;#ASMSTART
	v_cvt_f32_f16 v21, v21;
	;;#ASMEND
	;;#ASMSTART
	v_cvt_f32_f16 v25, v25;
	;;#ASMEND
	;; [unrolled: 3-line block ×3, first 2 shown]
	v_fmac_f32_e32 v49, v21, v17
	v_lshrrev_b32_e32 v21, 16, v22
	v_and_b32_e32 v17, 0xffff, v22
	v_lshrrev_b32_e32 v22, 16, v18
	v_and_b32_e32 v18, 0xffff, v18
	;;#ASMSTART
	v_cvt_f32_f16 v26, v26;
	;;#ASMEND
	;;#ASMSTART
	v_cvt_f32_f16 v17, v17;
	;;#ASMEND
	;; [unrolled: 3-line block ×5, first 2 shown]
	v_fmac_f32_e32 v50, v17, v18
	v_fmac_f32_e32 v54, v21, v22
	v_lshrrev_b32_e32 v18, 16, v23
	v_and_b32_e32 v17, 0xffff, v23
	v_lshrrev_b32_e32 v21, 16, v19
	v_and_b32_e32 v19, 0xffff, v19
	;;#ASMSTART
	v_cvt_f32_f16 v17, v17;
	;;#ASMEND
	;;#ASMSTART
	v_cvt_f32_f16 v18, v18;
	;;#ASMEND
	;; [unrolled: 3-line block ×4, first 2 shown]
	v_fmac_f32_e32 v51, v17, v19
	v_fmac_f32_e32 v55, v18, v21
	v_lshrrev_b32_e32 v18, 16, v24
	v_and_b32_e32 v17, 0xffff, v24
	v_and_b32_e32 v19, 0xffff, v20
	;;#ASMSTART
	v_cvt_f32_f16 v17, v17;
	;;#ASMEND
	;;#ASMSTART
	v_cvt_f32_f16 v18, v18;
	;;#ASMEND
	v_lshrrev_b32_e32 v21, 16, v20
	;;#ASMSTART
	v_cvt_f32_f16 v19, v19;
	;;#ASMEND
	;;#ASMSTART
	v_cvt_f32_f16 v20, v21;
	;;#ASMEND
	v_fmac_f32_e32 v52, v17, v19
	v_fmac_f32_e32 v56, v18, v20
	ds_read_b128 v[17:20], v66 offset:160
	s_waitcnt vmcnt(3)
	v_lshrrev_b32_e32 v22, 16, v13
	v_and_b32_e32 v13, 0xffff, v13
	v_fmac_f32_e32 v53, v25, v26
	s_waitcnt lgkmcnt(0)
	v_lshrrev_b32_e32 v21, 16, v17
	v_and_b32_e32 v17, 0xffff, v17
	;;#ASMSTART
	v_cvt_f32_f16 v17, v17;
	;;#ASMEND
	;;#ASMSTART
	v_cvt_f32_f16 v21, v21;
	;;#ASMEND
	;; [unrolled: 3-line block ×3, first 2 shown]
	v_fmac_f32_e32 v49, v17, v13
	v_lshrrev_b32_e32 v17, 16, v18
	v_and_b32_e32 v13, 0xffff, v18
	v_lshrrev_b32_e32 v18, 16, v14
	v_and_b32_e32 v14, 0xffff, v14
	;;#ASMSTART
	v_cvt_f32_f16 v22, v22;
	;;#ASMEND
	;;#ASMSTART
	v_cvt_f32_f16 v13, v13;
	;;#ASMEND
	;; [unrolled: 3-line block ×5, first 2 shown]
	v_fmac_f32_e32 v50, v13, v14
	v_fmac_f32_e32 v54, v17, v18
	v_lshrrev_b32_e32 v14, 16, v19
	v_and_b32_e32 v13, 0xffff, v19
	v_lshrrev_b32_e32 v17, 16, v15
	v_and_b32_e32 v15, 0xffff, v15
	;;#ASMSTART
	v_cvt_f32_f16 v13, v13;
	;;#ASMEND
	;;#ASMSTART
	v_cvt_f32_f16 v14, v14;
	;;#ASMEND
	;; [unrolled: 3-line block ×4, first 2 shown]
	v_fmac_f32_e32 v51, v13, v15
	v_fmac_f32_e32 v55, v14, v17
	v_lshrrev_b32_e32 v14, 16, v20
	v_and_b32_e32 v13, 0xffff, v20
	v_and_b32_e32 v15, 0xffff, v16
	;;#ASMSTART
	v_cvt_f32_f16 v13, v13;
	;;#ASMEND
	;;#ASMSTART
	v_cvt_f32_f16 v14, v14;
	;;#ASMEND
	v_lshrrev_b32_e32 v17, 16, v16
	;;#ASMSTART
	v_cvt_f32_f16 v15, v15;
	;;#ASMEND
	;;#ASMSTART
	v_cvt_f32_f16 v16, v17;
	;;#ASMEND
	v_fmac_f32_e32 v52, v13, v15
	v_fmac_f32_e32 v56, v14, v16
	ds_read_b128 v[13:16], v66 offset:176
	s_waitcnt vmcnt(2)
	v_lshrrev_b32_e32 v18, 16, v9
	v_and_b32_e32 v9, 0xffff, v9
	v_fmac_f32_e32 v53, v21, v22
	s_waitcnt lgkmcnt(0)
	v_lshrrev_b32_e32 v17, 16, v13
	v_and_b32_e32 v13, 0xffff, v13
	;;#ASMSTART
	v_cvt_f32_f16 v13, v13;
	;;#ASMEND
	;;#ASMSTART
	v_cvt_f32_f16 v17, v17;
	;;#ASMEND
	;; [unrolled: 3-line block ×3, first 2 shown]
	v_fmac_f32_e32 v49, v13, v9
	v_lshrrev_b32_e32 v13, 16, v14
	v_and_b32_e32 v9, 0xffff, v14
	v_lshrrev_b32_e32 v14, 16, v10
	v_and_b32_e32 v10, 0xffff, v10
	;;#ASMSTART
	v_cvt_f32_f16 v18, v18;
	;;#ASMEND
	;;#ASMSTART
	v_cvt_f32_f16 v9, v9;
	;;#ASMEND
	;; [unrolled: 3-line block ×5, first 2 shown]
	v_fmac_f32_e32 v50, v9, v10
	v_fmac_f32_e32 v54, v13, v14
	v_lshrrev_b32_e32 v10, 16, v15
	v_and_b32_e32 v9, 0xffff, v15
	v_lshrrev_b32_e32 v13, 16, v11
	v_and_b32_e32 v11, 0xffff, v11
	;;#ASMSTART
	v_cvt_f32_f16 v9, v9;
	;;#ASMEND
	;;#ASMSTART
	v_cvt_f32_f16 v10, v10;
	;;#ASMEND
	;; [unrolled: 3-line block ×4, first 2 shown]
	v_fmac_f32_e32 v51, v9, v11
	v_fmac_f32_e32 v55, v10, v13
	v_lshrrev_b32_e32 v10, 16, v16
	v_and_b32_e32 v9, 0xffff, v16
	v_and_b32_e32 v11, 0xffff, v12
	;;#ASMSTART
	v_cvt_f32_f16 v9, v9;
	;;#ASMEND
	;;#ASMSTART
	v_cvt_f32_f16 v10, v10;
	;;#ASMEND
	v_lshrrev_b32_e32 v13, 16, v12
	;;#ASMSTART
	v_cvt_f32_f16 v11, v11;
	;;#ASMEND
	;;#ASMSTART
	v_cvt_f32_f16 v12, v13;
	;;#ASMEND
	v_fmac_f32_e32 v52, v9, v11
	v_fmac_f32_e32 v56, v10, v12
	ds_read_b128 v[9:12], v66 offset:192
	s_waitcnt vmcnt(1)
	v_lshrrev_b32_e32 v14, 16, v5
	v_and_b32_e32 v5, 0xffff, v5
	v_fmac_f32_e32 v53, v17, v18
	s_waitcnt lgkmcnt(0)
	v_lshrrev_b32_e32 v13, 16, v9
	v_and_b32_e32 v9, 0xffff, v9
	;;#ASMSTART
	v_cvt_f32_f16 v9, v9;
	;;#ASMEND
	;;#ASMSTART
	v_cvt_f32_f16 v13, v13;
	;;#ASMEND
	;; [unrolled: 3-line block ×3, first 2 shown]
	v_fmac_f32_e32 v49, v9, v5
	v_lshrrev_b32_e32 v9, 16, v10
	v_and_b32_e32 v5, 0xffff, v10
	v_lshrrev_b32_e32 v10, 16, v6
	v_and_b32_e32 v6, 0xffff, v6
	;;#ASMSTART
	v_cvt_f32_f16 v14, v14;
	;;#ASMEND
	;;#ASMSTART
	v_cvt_f32_f16 v5, v5;
	;;#ASMEND
	;;#ASMSTART
	v_cvt_f32_f16 v9, v9;
	;;#ASMEND
	;;#ASMSTART
	v_cvt_f32_f16 v6, v6;
	;;#ASMEND
	;;#ASMSTART
	v_cvt_f32_f16 v10, v10;
	;;#ASMEND
	v_fmac_f32_e32 v50, v5, v6
	v_fmac_f32_e32 v54, v9, v10
	v_lshrrev_b32_e32 v6, 16, v11
	v_and_b32_e32 v5, 0xffff, v11
	v_lshrrev_b32_e32 v9, 16, v7
	v_and_b32_e32 v7, 0xffff, v7
	;;#ASMSTART
	v_cvt_f32_f16 v5, v5;
	;;#ASMEND
	;;#ASMSTART
	v_cvt_f32_f16 v6, v6;
	;;#ASMEND
	;; [unrolled: 3-line block ×4, first 2 shown]
	v_fmac_f32_e32 v51, v5, v7
	v_fmac_f32_e32 v55, v6, v9
	v_lshrrev_b32_e32 v6, 16, v12
	v_and_b32_e32 v5, 0xffff, v12
	v_and_b32_e32 v7, 0xffff, v8
	;;#ASMSTART
	v_cvt_f32_f16 v5, v5;
	;;#ASMEND
	;;#ASMSTART
	v_cvt_f32_f16 v6, v6;
	;;#ASMEND
	v_lshrrev_b32_e32 v9, 16, v8
	;;#ASMSTART
	v_cvt_f32_f16 v7, v7;
	;;#ASMEND
	;;#ASMSTART
	v_cvt_f32_f16 v8, v9;
	;;#ASMEND
	v_fmac_f32_e32 v52, v5, v7
	v_fmac_f32_e32 v56, v6, v8
	ds_read_b128 v[5:8], v66 offset:208
	v_fmac_f32_e32 v53, v13, v14
	s_waitcnt vmcnt(0)
	v_lshrrev_b32_e32 v10, 16, v1
	v_and_b32_e32 v1, 0xffff, v1
	s_waitcnt lgkmcnt(0)
	v_lshrrev_b32_e32 v9, 16, v5
	v_and_b32_e32 v5, 0xffff, v5
	;;#ASMSTART
	v_cvt_f32_f16 v5, v5;
	;;#ASMEND
	;;#ASMSTART
	v_cvt_f32_f16 v9, v9;
	;;#ASMEND
	;; [unrolled: 3-line block ×3, first 2 shown]
	v_fmac_f32_e32 v49, v5, v1
	v_and_b32_e32 v1, 0xffff, v6
	;;#ASMSTART
	v_cvt_f32_f16 v10, v10;
	;;#ASMEND
	v_fmac_f32_e32 v53, v9, v10
	v_lshrrev_b32_e32 v5, 16, v6
	;;#ASMSTART
	v_cvt_f32_f16 v1, v1;
	;;#ASMEND
	v_lshrrev_b32_e32 v6, 16, v2
	v_and_b32_e32 v2, 0xffff, v2
	;;#ASMSTART
	v_cvt_f32_f16 v5, v5;
	;;#ASMEND
	;;#ASMSTART
	v_cvt_f32_f16 v2, v2;
	;;#ASMEND
	v_fmac_f32_e32 v50, v1, v2
	v_and_b32_e32 v1, 0xffff, v7
	;;#ASMSTART
	v_cvt_f32_f16 v6, v6;
	;;#ASMEND
	v_fmac_f32_e32 v54, v5, v6
	v_lshrrev_b32_e32 v2, 16, v7
	;;#ASMSTART
	v_cvt_f32_f16 v1, v1;
	;;#ASMEND
	v_lshrrev_b32_e32 v5, 16, v3
	v_and_b32_e32 v3, 0xffff, v3
	;;#ASMSTART
	v_cvt_f32_f16 v2, v2;
	;;#ASMEND
	;;#ASMSTART
	v_cvt_f32_f16 v3, v3;
	;;#ASMEND
	v_fmac_f32_e32 v51, v1, v3
	v_and_b32_e32 v1, 0xffff, v8
	;;#ASMSTART
	v_cvt_f32_f16 v5, v5;
	;;#ASMEND
	v_fmac_f32_e32 v55, v2, v5
	v_lshrrev_b32_e32 v2, 16, v8
	;;#ASMSTART
	v_cvt_f32_f16 v1, v1;
	;;#ASMEND
	v_and_b32_e32 v3, 0xffff, v4
	;;#ASMSTART
	v_cvt_f32_f16 v2, v2;
	;;#ASMEND
	;;#ASMSTART
	v_cvt_f32_f16 v3, v3;
	;;#ASMEND
	v_fmac_f32_e32 v52, v1, v3
	v_add_f32_e32 v1, v49, v53
	v_lshrrev_b32_e32 v5, 16, v4
	;;#ASMSTART
	v_cvt_f32_f16 v4, v5;
	;;#ASMEND
	v_fmac_f32_e32 v56, v2, v4
	v_add_f32_e32 v1, v1, v50
	v_add_f32_e32 v1, v54, v1
	;; [unrolled: 1-line block ×6, first 2 shown]
	v_fmac_f32_e32 v72, s3, v1
	v_cndmask_b32_e64 v1, 0, v72, s1
	ds_write_b32 v68, v1
	v_max_f32_e32 v1, v65, v65
	v_add_nc_u32_e32 v68, 0x200, v68
	v_max_f32_e32 v1, v1, v72
	v_cndmask_b32_e64 v65, v65, v1, s1
	v_add_co_u32 v59, s1, v59, 16
	v_add_co_ci_u32_e64 v60, null, 0, v60, s1
	v_cmp_le_i32_e64 s1, s11, v71
	s_or_b32 s5, s1, s5
	s_andn2_b32 exec_lo, exec_lo, s5
	s_cbranch_execnz .LBB121_7
; %bb.8:
	s_or_b32 exec_lo, exec_lo, s5
.LBB121_9:
	s_or_b32 exec_lo, exec_lo, s33
	v_mbcnt_lo_u32_b32 v1, -1, 0
	v_max_f32_e32 v5, v65, v65
	v_xor_b32_e32 v2, 16, v1
	v_xor_b32_e32 v4, 8, v1
	v_cmp_gt_i32_e32 vcc_lo, 32, v2
	v_cndmask_b32_e32 v2, v1, v2, vcc_lo
	v_cmp_gt_i32_e32 vcc_lo, 32, v4
	v_lshlrev_b32_e32 v2, 2, v2
	v_cndmask_b32_e32 v4, v1, v4, vcc_lo
	ds_bpermute_b32 v3, v2, v65
	s_waitcnt lgkmcnt(0)
	v_max_f32_e32 v6, v3, v3
	v_lshlrev_b32_e32 v3, 2, v4
	v_max_f32_e32 v4, v5, v6
	v_xor_b32_e32 v6, 4, v1
	ds_bpermute_b32 v5, v3, v4
	v_cmp_gt_i32_e32 vcc_lo, 32, v6
	v_cndmask_b32_e32 v6, v1, v6, vcc_lo
	s_waitcnt lgkmcnt(0)
	v_max_f32_e32 v7, v5, v5
	v_lshlrev_b32_e32 v5, 2, v6
	v_max_f32_e32 v4, v4, v7
	v_xor_b32_e32 v7, 2, v1
	ds_bpermute_b32 v6, v5, v4
	v_cmp_gt_i32_e32 vcc_lo, 32, v7
	v_cndmask_b32_e32 v7, v1, v7, vcc_lo
	v_lshlrev_b32_e32 v12, 2, v7
	v_xor_b32_e32 v7, 1, v1
	v_cmp_gt_i32_e32 vcc_lo, 32, v7
	s_waitcnt lgkmcnt(0)
	v_max_f32_e32 v6, v6, v6
	v_cndmask_b32_e32 v7, v1, v7, vcc_lo
	v_cmp_eq_u32_e32 vcc_lo, 0, v62
	v_max_f32_e32 v4, v4, v6
	v_lshlrev_b32_e32 v11, 2, v7
	ds_bpermute_b32 v6, v12, v4
	s_waitcnt lgkmcnt(0)
	v_max_f32_e32 v6, v6, v6
	v_max_f32_e32 v1, v4, v6
	v_lshlrev_b32_e32 v6, 2, v61
	ds_bpermute_b32 v4, v11, v1
	s_and_saveexec_b32 s1, vcc_lo
	s_cbranch_execz .LBB121_11
; %bb.10:
	s_waitcnt lgkmcnt(0)
	v_max_f32_e32 v4, v4, v4
	v_max_f32_e32 v1, v1, v1
	;; [unrolled: 1-line block ×3, first 2 shown]
	ds_write_b32 v6, v1 offset:224
.LBB121_11:
	s_or_b32 exec_lo, exec_lo, s1
	v_cmp_gt_u32_e64 s1, 4, v62
	v_mov_b32_e32 v1, 0xff7fffff
	s_waitcnt lgkmcnt(0)
	s_barrier
	buffer_gl0_inv
	s_and_saveexec_b32 s3, s1
; %bb.12:
	ds_read_b32 v1, v64 offset:224
; %bb.13:
	s_or_b32 exec_lo, exec_lo, s3
	s_waitcnt lgkmcnt(0)
	ds_bpermute_b32 v4, v12, v1
	v_max_f32_e32 v1, v1, v1
	v_mov_b32_e32 v7, 0
	s_sub_i32 s2, s11, s2
	s_lshl_b32 s2, s2, 5
	s_add_i32 s2, s2, s30
	s_min_i32 s2, s2, s25
	s_sub_i32 s4, s2, s30
	v_cmp_gt_i32_e64 s2, s4, v0
	s_waitcnt lgkmcnt(0)
	v_max_f32_e32 v4, v4, v4
	v_max_f32_e32 v1, v1, v4
	ds_bpermute_b32 v4, v11, v1
	s_waitcnt lgkmcnt(0)
	v_max_f32_e32 v4, v4, v4
	v_max_f32_e32 v1, v1, v4
	v_lshl_add_u32 v4, v0, 2, 0x100
	ds_bpermute_b32 v1, v7, v1
	s_and_saveexec_b32 s5, s2
	s_cbranch_execz .LBB121_17
; %bb.14:
	v_lshl_add_u32 v8, v0, 2, 0x100
	v_mov_b32_e32 v7, 0
	v_mov_b32_e32 v9, v0
	s_mov_b32 s15, 0
	.p2align	6
.LBB121_15:                             ; =>This Inner Loop Header: Depth=1
	ds_read_b32 v10, v8
	v_add_nc_u32_e32 v9, 0x80, v9
	v_cmp_le_i32_e64 s3, s4, v9
	s_or_b32 s15, s3, s15
	s_waitcnt lgkmcnt(0)
	v_sub_f32_e32 v10, v10, v1
	v_mul_f32_e32 v10, 0x3fb8aa3b, v10
	v_exp_f32_e32 v10, v10
	ds_write_b32 v8, v10
	v_add_f32_e32 v7, v7, v10
	v_add_nc_u32_e32 v8, 0x200, v8
	s_andn2_b32 exec_lo, exec_lo, s15
	s_cbranch_execnz .LBB121_15
; %bb.16:
	s_or_b32 exec_lo, exec_lo, s15
.LBB121_17:
	s_or_b32 exec_lo, exec_lo, s5
	ds_bpermute_b32 v2, v2, v7
	s_waitcnt lgkmcnt(0)
	v_add_f32_e32 v2, v7, v2
	ds_bpermute_b32 v3, v3, v2
	s_waitcnt lgkmcnt(0)
	v_add_f32_e32 v2, v2, v3
	;; [unrolled: 3-line block ×5, first 2 shown]
	s_and_saveexec_b32 s3, vcc_lo
; %bb.18:
	ds_write_b32 v6, v2 offset:240
; %bb.19:
	s_or_b32 exec_lo, exec_lo, s3
	s_waitcnt lgkmcnt(0)
	s_barrier
	buffer_gl0_inv
	s_and_saveexec_b32 s3, s1
; %bb.20:
	ds_read_b32 v2, v64 offset:240
; %bb.21:
	s_or_b32 exec_lo, exec_lo, s3
	s_waitcnt lgkmcnt(0)
	ds_bpermute_b32 v3, v12, v2
	s_waitcnt lgkmcnt(0)
	v_add_f32_e32 v2, v2, v3
	ds_bpermute_b32 v3, v11, v2
	s_waitcnt lgkmcnt(0)
	v_add_f32_e32 v2, v2, v3
	v_mov_b32_e32 v3, 0
	ds_bpermute_b32 v2, v3, v2
	s_and_saveexec_b32 s1, s2
	s_cbranch_execz .LBB121_24
; %bb.22:
	s_waitcnt lgkmcnt(0)
	v_add_f32_e32 v3, 0x358637bd, v2
	s_mov_b32 s2, 0
	v_div_scale_f32 v5, null, v3, v3, 1.0
	v_div_scale_f32 v8, vcc_lo, 1.0, v3, 1.0
	v_rcp_f32_e32 v6, v5
	v_fma_f32 v7, -v5, v6, 1.0
	v_fmac_f32_e32 v6, v7, v6
	v_mul_f32_e32 v7, v8, v6
	v_fma_f32 v9, -v5, v7, v8
	v_fmac_f32_e32 v7, v9, v6
	v_fma_f32 v5, -v5, v7, v8
	v_div_fmas_f32 v5, v5, v6, v7
	v_div_fixup_f32 v3, v5, v3, 1.0
	v_mov_b32_e32 v5, v0
.LBB121_23:                             ; =>This Inner Loop Header: Depth=1
	ds_read_b32 v6, v4
	v_add_nc_u32_e32 v5, 0x80, v5
	v_cmp_le_i32_e32 vcc_lo, s4, v5
	s_or_b32 s2, vcc_lo, s2
	s_waitcnt lgkmcnt(0)
	v_mul_f32_e32 v6, v3, v6
	ds_write_b32 v4, v6
	v_add_nc_u32_e32 v4, 0x200, v4
	s_andn2_b32 exec_lo, exec_lo, s2
	s_cbranch_execnz .LBB121_23
.LBB121_24:
	s_or_b32 exec_lo, exec_lo, s1
	s_mul_i32 s1, s7, s24
	s_waitcnt lgkmcnt(0)
	s_mul_i32 s2, s1, s9
	s_mov_b32 s1, exec_lo
	s_barrier
	buffer_gl0_inv
	v_cmpx_eq_u32_e32 0, v0
	s_cbranch_execz .LBB121_26
; %bb.25:
	s_ashr_i32 s3, s2, 31
	s_mul_i32 s34, s7, s6
	s_lshl_b64 s[4:5], s[2:3], 2
	v_mov_b32_e32 v3, 0
	s_add_u32 s3, s18, s4
	s_addc_u32 s6, s19, s5
	s_ashr_i32 s35, s34, 31
	s_lshl_b64 s[18:19], s[34:35], 2
	s_add_u32 s3, s3, s18
	s_addc_u32 s6, s6, s19
	s_ashr_i32 s9, s8, 31
	s_lshl_b64 s[34:35], s[8:9], 2
	s_add_u32 s36, s3, s34
	s_addc_u32 s37, s6, s35
	s_add_u32 s3, s16, s4
	s_addc_u32 s4, s17, s5
	;; [unrolled: 2-line block ×4, first 2 shown]
	global_store_dword v3, v1, s[36:37]
	global_store_dword v3, v2, s[4:5]
.LBB121_26:
	s_or_b32 exec_lo, exec_lo, s1
	v_mov_b32_e32 v25, 0
	v_and_b32_e32 v13, 3, v0
	v_mov_b32_e32 v27, 0
	v_mov_b32_e32 v26, 0
	;; [unrolled: 1-line block ×13, first 2 shown]
	s_and_saveexec_b32 s3, s0
	s_cbranch_execz .LBB121_58
; %bb.27:
	v_lshlrev_b32_e32 v1, 3, v0
	s_ashr_i32 s15, s14, 31
	v_lshlrev_b32_e32 v2, 5, v13
	v_and_b32_e32 v3, 0x1f0, v63
	v_lshl_add_u32 v4, v61, 5, s30
	v_and_b32_e32 v1, 24, v1
	s_lshl_b64 s[0:1], s[14:15], 1
	v_lshl_or_b32 v5, v61, 7, v2
	s_add_u32 s0, s26, s0
	s_addc_u32 s1, s27, s1
	v_add_co_u32 v29, s0, s0, v3
	v_add3_u32 v31, v4, v1, 7
	v_lshlrev_b64 v[1:2], 2, v[57:58]
	v_add_co_ci_u32_e64 v30, null, s1, 0, s0
	s_lshl_b64 s[0:1], s[28:29], 2
	s_add_i32 s12, s12, -1
	s_add_u32 s0, s22, s0
	v_add_nc_u32_e32 v32, 0x100, v5
	s_addc_u32 s1, s23, s1
	v_add_co_u32 v5, vcc_lo, s0, v1
	v_mov_b32_e32 v28, 0
	v_add_co_ci_u32_e64 v6, null, s1, v2, vcc_lo
	v_mov_b32_e32 v14, 0
	v_mov_b32_e32 v15, 0
	;; [unrolled: 1-line block ×14, first 2 shown]
	s_mov_b32 s5, s13
	s_mov_b32 s4, 0
	s_branch .LBB121_29
.LBB121_28:                             ;   in Loop: Header=BB121_29 Depth=1
	s_or_b32 exec_lo, exec_lo, s1
	v_add_f32_e32 v9, v9, v10
	v_add_f32_e32 v33, v70, v71
	;; [unrolled: 1-line block ×3, first 2 shown]
	v_lshlrev_b32_e32 v8, 16, v8
	v_lshlrev_b32_e32 v7, 16, v7
	v_add_f32_e32 v16, v16, v9
	v_add_f32_e32 v9, v65, v66
	;; [unrolled: 1-line block ×7, first 2 shown]
	v_lshlrev_b32_e32 v9, 16, v69
	v_and_or_b32 v2, 0xffff, v2, v8
	v_and_or_b32 v3, 0xffff, v3, v7
	v_add_nc_u32_e32 v57, 4, v57
	v_add_f32_e32 v34, v56, v58
	v_and_or_b32 v1, 0xffff, v1, v9
	;;#ASMSTART
	v_pk_mul_f16 v1, v36, v1;

	;;#ASMEND
	;;#ASMSTART
	v_pk_mul_f16 v2, v35, v2;

	;;#ASMEND
	;; [unrolled: 4-line block ×4, first 2 shown]
	;;#ASMSTART
	v_pk_add_f16 v1, v1, v2;

	;;#ASMEND
	;;#ASMSTART
	v_pk_add_f16 v1, v1, v3;

	;;#ASMEND
	;; [unrolled: 4-line block ×3, first 2 shown]
	v_and_b32_e32 v4, 0xffff, v1
	v_lshrrev_b32_e32 v7, 16, v1
	;;#ASMSTART
	v_cvt_f32_f16 v4, v4;
	;;#ASMEND
	v_add_f32_e32 v37, v54, v55
	v_add_f32_e32 v19, v19, v10
	;; [unrolled: 1-line block ×8, first 2 shown]
	;;#ASMSTART
	v_cvt_f32_f16 v7, v7;
	;;#ASMEND
	v_add_f32_e32 v4, v4, v7
	v_cmp_le_i32_e32 vcc_lo, s11, v57
	v_add_co_u32 v5, s0, v5, 16
	v_add_f32_e32 v21, v21, v34
	v_add_f32_e32 v22, v22, v37
	;; [unrolled: 1-line block ×8, first 2 shown]
	v_add_nc_u32_e32 v31, 0x80, v31
	v_add_nc_u32_e32 v32, 0x200, v32
	v_add_co_ci_u32_e64 v6, null, 0, v6, s0
	s_or_b32 s4, vcc_lo, s4
	s_andn2_b32 exec_lo, exec_lo, s4
	s_cbranch_execz .LBB121_57
.LBB121_29:                             ; =>This Inner Loop Header: Depth=1
	global_load_dword v7, v[5:6], off
	ds_read2_b64 v[1:4], v32 offset1:1
	ds_read2_b64 v[43:46], v32 offset0:2 offset1:3
	v_add_nc_u32_e32 v40, -7, v31
	v_cmp_eq_u32_e64 s0, s12, v57
	v_add_nc_u32_e32 v38, -5, v31
	v_add_nc_u32_e32 v37, -4, v31
	;; [unrolled: 1-line block ×4, first 2 shown]
	s_waitcnt lgkmcnt(1)
	;;#ASMSTART
	v_cvt_f16_f32 v36, v1;

	;;#ASMEND
	;;#ASMSTART
	v_cvt_f16_f32 v35, v2;

	;;#ASMEND
	;; [unrolled: 4-line block ×4, first 2 shown]
	s_waitcnt lgkmcnt(0)
	;;#ASMSTART
	v_cvt_f16_f32 v43, v43;

	;;#ASMEND
	;;#ASMSTART
	v_cvt_f16_f32 v10, v44;

	;;#ASMEND
	;; [unrolled: 4-line block ×4, first 2 shown]
	v_add_nc_u32_e32 v45, -6, v31
	v_add_nc_u32_e32 v44, -1, v31
	s_waitcnt vmcnt(0)
	v_mad_i64_i32 v[7:8], null, v7, s5, 0
	v_lshlrev_b64 v[7:8], 1, v[7:8]
	v_add_co_u32 v7, vcc_lo, v29, v7
	v_add_co_ci_u32_e64 v8, null, v30, v8, vcc_lo
	global_load_dwordx4 v[1:4], v[7:8], off
	s_waitcnt vmcnt(0)
	v_lshrrev_b32_e32 v48, 16, v1
	v_lshrrev_b32_e32 v47, 16, v2
	;; [unrolled: 1-line block ×3, first 2 shown]
	s_and_saveexec_b32 s6, s0
	s_cbranch_execz .LBB121_31
; %bb.30:                               ;   in Loop: Header=BB121_29 Depth=1
	v_cmp_gt_i32_e32 vcc_lo, s25, v40
	v_and_b32_e32 v49, 0xffff0000, v4
	v_cmp_gt_i32_e64 s1, s25, v38
	v_cndmask_b32_e32 v1, 0, v1, vcc_lo
	v_cmp_gt_i32_e32 vcc_lo, s25, v45
	v_cndmask_b32_e64 v2, 0, v2, s1
	v_cmp_gt_i32_e64 s1, s25, v37
	v_cndmask_b32_e32 v48, 0, v48, vcc_lo
	v_cmp_gt_i32_e32 vcc_lo, s25, v44
	v_cndmask_b32_e64 v47, 0, v47, s1
	v_cndmask_b32_sdwa v4, v28, v4, vcc_lo dst_sel:DWORD dst_unused:UNUSED_PAD src0_sel:DWORD src1_sel:WORD_0
	v_cmp_gt_i32_e32 vcc_lo, s25, v31
	v_cndmask_b32_e32 v49, 0, v49, vcc_lo
	v_cmp_gt_i32_e32 vcc_lo, s25, v34
	v_or_b32_e32 v4, v4, v49
	v_cndmask_b32_e32 v3, 0, v3, vcc_lo
	v_cmp_gt_i32_e32 vcc_lo, s25, v33
	v_cndmask_b32_e32 v46, 0, v46, vcc_lo
.LBB121_31:                             ;   in Loop: Header=BB121_29 Depth=1
	s_or_b32 exec_lo, exec_lo, s6
	v_and_b32_e32 v36, 0xffff, v36
	v_and_b32_e32 v42, 0xffff, v42
	v_lshlrev_b32_e32 v48, 16, v48
	v_lshlrev_b32_e32 v46, 16, v46
	v_and_b32_e32 v43, 0xffff, v43
	v_lshl_or_b32 v36, v35, 16, v36
	v_lshl_or_b32 v35, v39, 16, v42
	v_lshlrev_b32_e32 v42, 16, v47
	v_and_b32_e32 v41, 0xffff, v41
	v_and_or_b32 v1, 0xffff, v1, v48
	v_and_or_b32 v3, 0xffff, v3, v46
	;;#ASMSTART
	v_pk_mul_f16 v1, v36, v1;

	;;#ASMEND
	v_and_or_b32 v2, 0xffff, v2, v42
	v_lshl_or_b32 v39, v10, 16, v43
	v_lshl_or_b32 v41, v9, 16, v41
	;;#ASMSTART
	v_pk_mul_f16 v2, v35, v2;

	;;#ASMEND
	;;#ASMSTART
	v_pk_mul_f16 v3, v39, v3;

	;;#ASMEND
	;; [unrolled: 4-line block ×3, first 2 shown]
	;;#ASMSTART
	v_pk_add_f16 v1, v1, v2;

	;;#ASMEND
	;;#ASMSTART
	v_pk_add_f16 v1, v1, v3;

	;;#ASMEND
	;; [unrolled: 4-line block ×3, first 2 shown]
	v_and_b32_e32 v2, 0xffff, v1
	v_lshrrev_b32_e32 v1, 16, v1
	;;#ASMSTART
	v_cvt_f32_f16 v42, v2;
	;;#ASMEND
	;;#ASMSTART
	v_cvt_f32_f16 v43, v1;
	;;#ASMEND
	global_load_dwordx4 v[1:4], v[7:8], off offset:512
	s_waitcnt vmcnt(0)
	v_lshrrev_b32_e32 v46, 16, v1
	v_lshrrev_b32_e32 v10, 16, v2
	;; [unrolled: 1-line block ×3, first 2 shown]
	s_and_saveexec_b32 s6, s0
	s_cbranch_execz .LBB121_33
; %bb.32:                               ;   in Loop: Header=BB121_29 Depth=1
	v_cmp_gt_i32_e32 vcc_lo, s25, v40
	v_and_b32_e32 v47, 0xffff0000, v4
	v_cmp_gt_i32_e64 s1, s25, v38
	v_cndmask_b32_e32 v1, 0, v1, vcc_lo
	v_cmp_gt_i32_e32 vcc_lo, s25, v45
	v_cndmask_b32_e64 v2, 0, v2, s1
	v_cmp_gt_i32_e64 s1, s25, v37
	v_cndmask_b32_e32 v46, 0, v46, vcc_lo
	v_cmp_gt_i32_e32 vcc_lo, s25, v44
	v_cndmask_b32_e64 v10, 0, v10, s1
	v_cndmask_b32_sdwa v4, v28, v4, vcc_lo dst_sel:DWORD dst_unused:UNUSED_PAD src0_sel:DWORD src1_sel:WORD_0
	v_cmp_gt_i32_e32 vcc_lo, s25, v31
	v_cndmask_b32_e32 v47, 0, v47, vcc_lo
	v_cmp_gt_i32_e32 vcc_lo, s25, v34
	v_or_b32_e32 v4, v4, v47
	v_cndmask_b32_e32 v3, 0, v3, vcc_lo
	v_cmp_gt_i32_e32 vcc_lo, s25, v33
	v_cndmask_b32_e32 v9, 0, v9, vcc_lo
.LBB121_33:                             ;   in Loop: Header=BB121_29 Depth=1
	s_or_b32 exec_lo, exec_lo, s6
	v_lshlrev_b32_e32 v46, 16, v46
	v_lshlrev_b32_e32 v10, 16, v10
	;; [unrolled: 1-line block ×3, first 2 shown]
	v_and_or_b32 v1, 0xffff, v1, v46
	v_and_or_b32 v2, 0xffff, v2, v10
	;; [unrolled: 1-line block ×3, first 2 shown]
	;;#ASMSTART
	v_pk_mul_f16 v1, v36, v1;

	;;#ASMEND
	;;#ASMSTART
	v_pk_mul_f16 v2, v35, v2;

	;;#ASMEND
	;; [unrolled: 4-line block ×4, first 2 shown]
	;;#ASMSTART
	v_pk_add_f16 v1, v1, v2;

	;;#ASMEND
	;;#ASMSTART
	v_pk_add_f16 v1, v1, v3;

	;;#ASMEND
	;; [unrolled: 4-line block ×3, first 2 shown]
	v_and_b32_e32 v2, 0xffff, v1
	v_lshrrev_b32_e32 v1, 16, v1
	;;#ASMSTART
	v_cvt_f32_f16 v46, v2;
	;;#ASMEND
	;;#ASMSTART
	v_cvt_f32_f16 v47, v1;
	;;#ASMEND
	global_load_dwordx4 v[1:4], v[7:8], off offset:1024
	s_waitcnt vmcnt(0)
	v_lshrrev_b32_e32 v48, 16, v1
	v_lshrrev_b32_e32 v10, 16, v2
	;; [unrolled: 1-line block ×3, first 2 shown]
	s_and_saveexec_b32 s6, s0
	s_cbranch_execz .LBB121_35
; %bb.34:                               ;   in Loop: Header=BB121_29 Depth=1
	v_cmp_gt_i32_e32 vcc_lo, s25, v40
	v_and_b32_e32 v49, 0xffff0000, v4
	v_cmp_gt_i32_e64 s1, s25, v38
	v_cndmask_b32_e32 v1, 0, v1, vcc_lo
	v_cmp_gt_i32_e32 vcc_lo, s25, v45
	v_cndmask_b32_e64 v2, 0, v2, s1
	v_cmp_gt_i32_e64 s1, s25, v37
	v_cndmask_b32_e32 v48, 0, v48, vcc_lo
	v_cmp_gt_i32_e32 vcc_lo, s25, v44
	v_cndmask_b32_e64 v10, 0, v10, s1
	v_cndmask_b32_sdwa v4, v28, v4, vcc_lo dst_sel:DWORD dst_unused:UNUSED_PAD src0_sel:DWORD src1_sel:WORD_0
	v_cmp_gt_i32_e32 vcc_lo, s25, v31
	v_cndmask_b32_e32 v49, 0, v49, vcc_lo
	v_cmp_gt_i32_e32 vcc_lo, s25, v34
	v_or_b32_e32 v4, v4, v49
	v_cndmask_b32_e32 v3, 0, v3, vcc_lo
	v_cmp_gt_i32_e32 vcc_lo, s25, v33
	v_cndmask_b32_e32 v9, 0, v9, vcc_lo
.LBB121_35:                             ;   in Loop: Header=BB121_29 Depth=1
	s_or_b32 exec_lo, exec_lo, s6
	v_lshlrev_b32_e32 v48, 16, v48
	v_lshlrev_b32_e32 v10, 16, v10
	v_lshlrev_b32_e32 v9, 16, v9
	v_and_or_b32 v1, 0xffff, v1, v48
	v_and_or_b32 v2, 0xffff, v2, v10
	;; [unrolled: 1-line block ×3, first 2 shown]
	;;#ASMSTART
	v_pk_mul_f16 v1, v36, v1;

	;;#ASMEND
	;;#ASMSTART
	v_pk_mul_f16 v2, v35, v2;

	;;#ASMEND
	;; [unrolled: 4-line block ×4, first 2 shown]
	;;#ASMSTART
	v_pk_add_f16 v1, v1, v2;

	;;#ASMEND
	;;#ASMSTART
	v_pk_add_f16 v1, v1, v3;

	;;#ASMEND
	;; [unrolled: 4-line block ×3, first 2 shown]
	v_and_b32_e32 v2, 0xffff, v1
	v_lshrrev_b32_e32 v1, 16, v1
	;;#ASMSTART
	v_cvt_f32_f16 v48, v2;
	;;#ASMEND
	;;#ASMSTART
	v_cvt_f32_f16 v49, v1;
	;;#ASMEND
	global_load_dwordx4 v[1:4], v[7:8], off offset:1536
	s_waitcnt vmcnt(0)
	v_lshrrev_b32_e32 v50, 16, v1
	v_lshrrev_b32_e32 v10, 16, v2
	;; [unrolled: 1-line block ×3, first 2 shown]
	s_and_saveexec_b32 s6, s0
	s_cbranch_execz .LBB121_37
; %bb.36:                               ;   in Loop: Header=BB121_29 Depth=1
	v_cmp_gt_i32_e32 vcc_lo, s25, v40
	v_and_b32_e32 v51, 0xffff0000, v4
	v_cmp_gt_i32_e64 s1, s25, v38
	v_cndmask_b32_e32 v1, 0, v1, vcc_lo
	v_cmp_gt_i32_e32 vcc_lo, s25, v45
	v_cndmask_b32_e64 v2, 0, v2, s1
	v_cmp_gt_i32_e64 s1, s25, v37
	v_cndmask_b32_e32 v50, 0, v50, vcc_lo
	v_cmp_gt_i32_e32 vcc_lo, s25, v44
	v_cndmask_b32_e64 v10, 0, v10, s1
	v_cndmask_b32_sdwa v4, v28, v4, vcc_lo dst_sel:DWORD dst_unused:UNUSED_PAD src0_sel:DWORD src1_sel:WORD_0
	v_cmp_gt_i32_e32 vcc_lo, s25, v31
	v_cndmask_b32_e32 v51, 0, v51, vcc_lo
	v_cmp_gt_i32_e32 vcc_lo, s25, v34
	v_or_b32_e32 v4, v4, v51
	v_cndmask_b32_e32 v3, 0, v3, vcc_lo
	v_cmp_gt_i32_e32 vcc_lo, s25, v33
	v_cndmask_b32_e32 v9, 0, v9, vcc_lo
.LBB121_37:                             ;   in Loop: Header=BB121_29 Depth=1
	s_or_b32 exec_lo, exec_lo, s6
	v_lshlrev_b32_e32 v9, 16, v9
	v_lshlrev_b32_e32 v50, 16, v50
	v_lshlrev_b32_e32 v10, 16, v10
	v_and_or_b32 v3, 0xffff, v3, v9
	v_add_co_u32 v9, vcc_lo, 0x800, v7
	v_and_or_b32 v1, 0xffff, v1, v50
	v_and_or_b32 v2, 0xffff, v2, v10
	;;#ASMSTART
	v_pk_mul_f16 v1, v36, v1;

	;;#ASMEND
	v_add_co_ci_u32_e64 v10, null, 0, v8, vcc_lo
	;;#ASMSTART
	v_pk_mul_f16 v2, v35, v2;

	;;#ASMEND
	;;#ASMSTART
	v_pk_mul_f16 v3, v39, v3;

	;;#ASMEND
	;; [unrolled: 4-line block ×3, first 2 shown]
	;;#ASMSTART
	v_pk_add_f16 v1, v1, v2;

	;;#ASMEND
	;;#ASMSTART
	v_pk_add_f16 v1, v1, v3;

	;;#ASMEND
	;; [unrolled: 4-line block ×3, first 2 shown]
	v_lshrrev_b32_e32 v2, 16, v1
	v_and_b32_e32 v1, 0xffff, v1
	;;#ASMSTART
	v_cvt_f32_f16 v50, v1;
	;;#ASMEND
	;;#ASMSTART
	v_cvt_f32_f16 v51, v2;
	;;#ASMEND
	global_load_dwordx4 v[1:4], v[9:10], off
	s_waitcnt vmcnt(0)
	v_lshrrev_b32_e32 v54, 16, v1
	v_lshrrev_b32_e32 v53, 16, v2
	;; [unrolled: 1-line block ×3, first 2 shown]
	s_and_saveexec_b32 s6, s0
	s_cbranch_execz .LBB121_39
; %bb.38:                               ;   in Loop: Header=BB121_29 Depth=1
	v_cmp_gt_i32_e32 vcc_lo, s25, v40
	v_and_b32_e32 v55, 0xffff0000, v4
	v_cmp_gt_i32_e64 s1, s25, v38
	v_cndmask_b32_e32 v1, 0, v1, vcc_lo
	v_cmp_gt_i32_e32 vcc_lo, s25, v45
	v_cndmask_b32_e64 v2, 0, v2, s1
	v_cmp_gt_i32_e64 s1, s25, v37
	v_cndmask_b32_e32 v54, 0, v54, vcc_lo
	v_cmp_gt_i32_e32 vcc_lo, s25, v44
	v_cndmask_b32_e64 v53, 0, v53, s1
	v_cndmask_b32_sdwa v4, v28, v4, vcc_lo dst_sel:DWORD dst_unused:UNUSED_PAD src0_sel:DWORD src1_sel:WORD_0
	v_cmp_gt_i32_e32 vcc_lo, s25, v31
	v_cndmask_b32_e32 v55, 0, v55, vcc_lo
	v_cmp_gt_i32_e32 vcc_lo, s25, v34
	v_or_b32_e32 v4, v4, v55
	v_cndmask_b32_e32 v3, 0, v3, vcc_lo
	v_cmp_gt_i32_e32 vcc_lo, s25, v33
	v_cndmask_b32_e32 v52, 0, v52, vcc_lo
.LBB121_39:                             ;   in Loop: Header=BB121_29 Depth=1
	s_or_b32 exec_lo, exec_lo, s6
	v_lshlrev_b32_e32 v54, 16, v54
	v_lshlrev_b32_e32 v53, 16, v53
	;; [unrolled: 1-line block ×3, first 2 shown]
	v_and_or_b32 v1, 0xffff, v1, v54
	v_and_or_b32 v2, 0xffff, v2, v53
	;; [unrolled: 1-line block ×3, first 2 shown]
	;;#ASMSTART
	v_pk_mul_f16 v1, v36, v1;

	;;#ASMEND
	;;#ASMSTART
	v_pk_mul_f16 v2, v35, v2;

	;;#ASMEND
	;; [unrolled: 4-line block ×4, first 2 shown]
	;;#ASMSTART
	v_pk_add_f16 v1, v1, v2;

	;;#ASMEND
	;;#ASMSTART
	v_pk_add_f16 v1, v1, v3;

	;;#ASMEND
	;;#ASMSTART
	v_pk_add_f16 v1, v1, v4;

	;;#ASMEND
	v_and_b32_e32 v2, 0xffff, v1
	v_lshrrev_b32_e32 v1, 16, v1
	;;#ASMSTART
	v_cvt_f32_f16 v52, v2;
	;;#ASMEND
	;;#ASMSTART
	v_cvt_f32_f16 v53, v1;
	;;#ASMEND
	global_load_dwordx4 v[1:4], v[9:10], off offset:512
	s_waitcnt vmcnt(0)
	v_lshrrev_b32_e32 v56, 16, v1
	v_lshrrev_b32_e32 v55, 16, v2
	;; [unrolled: 1-line block ×3, first 2 shown]
	s_and_saveexec_b32 s6, s0
	s_cbranch_execz .LBB121_41
; %bb.40:                               ;   in Loop: Header=BB121_29 Depth=1
	v_cmp_gt_i32_e32 vcc_lo, s25, v40
	v_and_b32_e32 v58, 0xffff0000, v4
	v_cmp_gt_i32_e64 s1, s25, v38
	v_cndmask_b32_e32 v1, 0, v1, vcc_lo
	v_cmp_gt_i32_e32 vcc_lo, s25, v45
	v_cndmask_b32_e64 v2, 0, v2, s1
	v_cmp_gt_i32_e64 s1, s25, v37
	v_cndmask_b32_e32 v56, 0, v56, vcc_lo
	v_cmp_gt_i32_e32 vcc_lo, s25, v44
	v_cndmask_b32_e64 v55, 0, v55, s1
	v_cndmask_b32_sdwa v4, v28, v4, vcc_lo dst_sel:DWORD dst_unused:UNUSED_PAD src0_sel:DWORD src1_sel:WORD_0
	v_cmp_gt_i32_e32 vcc_lo, s25, v31
	v_cndmask_b32_e32 v58, 0, v58, vcc_lo
	v_cmp_gt_i32_e32 vcc_lo, s25, v34
	v_or_b32_e32 v4, v4, v58
	v_cndmask_b32_e32 v3, 0, v3, vcc_lo
	v_cmp_gt_i32_e32 vcc_lo, s25, v33
	v_cndmask_b32_e32 v54, 0, v54, vcc_lo
.LBB121_41:                             ;   in Loop: Header=BB121_29 Depth=1
	s_or_b32 exec_lo, exec_lo, s6
	v_lshlrev_b32_e32 v56, 16, v56
	v_lshlrev_b32_e32 v55, 16, v55
	;; [unrolled: 1-line block ×3, first 2 shown]
	v_and_or_b32 v1, 0xffff, v1, v56
	v_and_or_b32 v2, 0xffff, v2, v55
	v_and_or_b32 v3, 0xffff, v3, v54
	;;#ASMSTART
	v_pk_mul_f16 v1, v36, v1;

	;;#ASMEND
	;;#ASMSTART
	v_pk_mul_f16 v2, v35, v2;

	;;#ASMEND
	;; [unrolled: 4-line block ×4, first 2 shown]
	;;#ASMSTART
	v_pk_add_f16 v1, v1, v2;

	;;#ASMEND
	;;#ASMSTART
	v_pk_add_f16 v1, v1, v3;

	;;#ASMEND
	;; [unrolled: 4-line block ×3, first 2 shown]
	v_and_b32_e32 v2, 0xffff, v1
	v_lshrrev_b32_e32 v1, 16, v1
	;;#ASMSTART
	v_cvt_f32_f16 v54, v2;
	;;#ASMEND
	;;#ASMSTART
	v_cvt_f32_f16 v55, v1;
	;;#ASMEND
	global_load_dwordx4 v[1:4], v[9:10], off offset:1024
	s_waitcnt vmcnt(0)
	v_lshrrev_b32_e32 v59, 16, v1
	v_lshrrev_b32_e32 v58, 16, v2
	;; [unrolled: 1-line block ×3, first 2 shown]
	s_and_saveexec_b32 s6, s0
	s_cbranch_execz .LBB121_43
; %bb.42:                               ;   in Loop: Header=BB121_29 Depth=1
	v_cmp_gt_i32_e32 vcc_lo, s25, v40
	v_and_b32_e32 v60, 0xffff0000, v4
	v_cmp_gt_i32_e64 s1, s25, v38
	v_cndmask_b32_e32 v1, 0, v1, vcc_lo
	v_cmp_gt_i32_e32 vcc_lo, s25, v45
	v_cndmask_b32_e64 v2, 0, v2, s1
	v_cmp_gt_i32_e64 s1, s25, v37
	v_cndmask_b32_e32 v59, 0, v59, vcc_lo
	v_cmp_gt_i32_e32 vcc_lo, s25, v44
	v_cndmask_b32_e64 v58, 0, v58, s1
	v_cndmask_b32_sdwa v4, v28, v4, vcc_lo dst_sel:DWORD dst_unused:UNUSED_PAD src0_sel:DWORD src1_sel:WORD_0
	v_cmp_gt_i32_e32 vcc_lo, s25, v31
	v_cndmask_b32_e32 v60, 0, v60, vcc_lo
	v_cmp_gt_i32_e32 vcc_lo, s25, v34
	v_or_b32_e32 v4, v4, v60
	v_cndmask_b32_e32 v3, 0, v3, vcc_lo
	v_cmp_gt_i32_e32 vcc_lo, s25, v33
	v_cndmask_b32_e32 v56, 0, v56, vcc_lo
.LBB121_43:                             ;   in Loop: Header=BB121_29 Depth=1
	s_or_b32 exec_lo, exec_lo, s6
	v_lshlrev_b32_e32 v59, 16, v59
	v_lshlrev_b32_e32 v58, 16, v58
	;; [unrolled: 1-line block ×3, first 2 shown]
	v_and_or_b32 v1, 0xffff, v1, v59
	v_and_or_b32 v2, 0xffff, v2, v58
	;; [unrolled: 1-line block ×3, first 2 shown]
	;;#ASMSTART
	v_pk_mul_f16 v1, v36, v1;

	;;#ASMEND
	;;#ASMSTART
	v_pk_mul_f16 v2, v35, v2;

	;;#ASMEND
	;; [unrolled: 4-line block ×4, first 2 shown]
	;;#ASMSTART
	v_pk_add_f16 v1, v1, v2;

	;;#ASMEND
	;;#ASMSTART
	v_pk_add_f16 v1, v1, v3;

	;;#ASMEND
	;; [unrolled: 4-line block ×3, first 2 shown]
	v_and_b32_e32 v2, 0xffff, v1
	v_lshrrev_b32_e32 v1, 16, v1
	;;#ASMSTART
	v_cvt_f32_f16 v56, v2;
	;;#ASMEND
	;;#ASMSTART
	v_cvt_f32_f16 v58, v1;
	;;#ASMEND
	global_load_dwordx4 v[1:4], v[9:10], off offset:1536
	s_waitcnt vmcnt(0)
	v_lshrrev_b32_e32 v59, 16, v1
	v_lshrrev_b32_e32 v10, 16, v2
	;; [unrolled: 1-line block ×3, first 2 shown]
	s_and_saveexec_b32 s6, s0
	s_cbranch_execz .LBB121_45
; %bb.44:                               ;   in Loop: Header=BB121_29 Depth=1
	v_cmp_gt_i32_e32 vcc_lo, s25, v40
	v_and_b32_e32 v60, 0xffff0000, v4
	v_cmp_gt_i32_e64 s1, s25, v38
	v_cndmask_b32_e32 v1, 0, v1, vcc_lo
	v_cmp_gt_i32_e32 vcc_lo, s25, v45
	v_cndmask_b32_e64 v2, 0, v2, s1
	v_cmp_gt_i32_e64 s1, s25, v37
	v_cndmask_b32_e32 v59, 0, v59, vcc_lo
	v_cmp_gt_i32_e32 vcc_lo, s25, v44
	v_cndmask_b32_e64 v10, 0, v10, s1
	v_cndmask_b32_sdwa v4, v28, v4, vcc_lo dst_sel:DWORD dst_unused:UNUSED_PAD src0_sel:DWORD src1_sel:WORD_0
	v_cmp_gt_i32_e32 vcc_lo, s25, v31
	v_cndmask_b32_e32 v60, 0, v60, vcc_lo
	v_cmp_gt_i32_e32 vcc_lo, s25, v34
	v_or_b32_e32 v4, v4, v60
	v_cndmask_b32_e32 v3, 0, v3, vcc_lo
	v_cmp_gt_i32_e32 vcc_lo, s25, v33
	v_cndmask_b32_e32 v9, 0, v9, vcc_lo
.LBB121_45:                             ;   in Loop: Header=BB121_29 Depth=1
	s_or_b32 exec_lo, exec_lo, s6
	v_lshlrev_b32_e32 v9, 16, v9
	v_lshlrev_b32_e32 v59, 16, v59
	;; [unrolled: 1-line block ×3, first 2 shown]
	v_and_or_b32 v3, 0xffff, v3, v9
	v_add_co_u32 v9, vcc_lo, 0x1000, v7
	v_and_or_b32 v1, 0xffff, v1, v59
	v_and_or_b32 v2, 0xffff, v2, v10
	;;#ASMSTART
	v_pk_mul_f16 v1, v36, v1;

	;;#ASMEND
	v_add_co_ci_u32_e64 v10, null, 0, v8, vcc_lo
	;;#ASMSTART
	v_pk_mul_f16 v2, v35, v2;

	;;#ASMEND
	;;#ASMSTART
	v_pk_mul_f16 v3, v39, v3;

	;;#ASMEND
	;; [unrolled: 4-line block ×3, first 2 shown]
	;;#ASMSTART
	v_pk_add_f16 v1, v1, v2;

	;;#ASMEND
	;;#ASMSTART
	v_pk_add_f16 v1, v1, v3;

	;;#ASMEND
	;; [unrolled: 4-line block ×3, first 2 shown]
	v_lshrrev_b32_e32 v2, 16, v1
	v_and_b32_e32 v1, 0xffff, v1
	;;#ASMSTART
	v_cvt_f32_f16 v59, v1;
	;;#ASMEND
	;;#ASMSTART
	v_cvt_f32_f16 v60, v2;
	;;#ASMEND
	global_load_dwordx4 v[1:4], v[9:10], off
	s_waitcnt vmcnt(0)
	v_lshrrev_b32_e32 v65, 16, v1
	v_lshrrev_b32_e32 v64, 16, v2
	;; [unrolled: 1-line block ×3, first 2 shown]
	s_and_saveexec_b32 s6, s0
	s_cbranch_execz .LBB121_47
; %bb.46:                               ;   in Loop: Header=BB121_29 Depth=1
	v_cmp_gt_i32_e32 vcc_lo, s25, v40
	v_and_b32_e32 v66, 0xffff0000, v4
	v_cmp_gt_i32_e64 s1, s25, v38
	v_cndmask_b32_e32 v1, 0, v1, vcc_lo
	v_cmp_gt_i32_e32 vcc_lo, s25, v45
	v_cndmask_b32_e64 v2, 0, v2, s1
	v_cmp_gt_i32_e64 s1, s25, v37
	v_cndmask_b32_e32 v65, 0, v65, vcc_lo
	v_cmp_gt_i32_e32 vcc_lo, s25, v44
	v_cndmask_b32_e64 v64, 0, v64, s1
	v_cndmask_b32_sdwa v4, v28, v4, vcc_lo dst_sel:DWORD dst_unused:UNUSED_PAD src0_sel:DWORD src1_sel:WORD_0
	v_cmp_gt_i32_e32 vcc_lo, s25, v31
	v_cndmask_b32_e32 v66, 0, v66, vcc_lo
	v_cmp_gt_i32_e32 vcc_lo, s25, v34
	v_or_b32_e32 v4, v4, v66
	v_cndmask_b32_e32 v3, 0, v3, vcc_lo
	v_cmp_gt_i32_e32 vcc_lo, s25, v33
	v_cndmask_b32_e32 v63, 0, v63, vcc_lo
.LBB121_47:                             ;   in Loop: Header=BB121_29 Depth=1
	s_or_b32 exec_lo, exec_lo, s6
	v_lshlrev_b32_e32 v65, 16, v65
	v_lshlrev_b32_e32 v64, 16, v64
	;; [unrolled: 1-line block ×3, first 2 shown]
	v_and_or_b32 v1, 0xffff, v1, v65
	v_and_or_b32 v2, 0xffff, v2, v64
	;; [unrolled: 1-line block ×3, first 2 shown]
	;;#ASMSTART
	v_pk_mul_f16 v1, v36, v1;

	;;#ASMEND
	;;#ASMSTART
	v_pk_mul_f16 v2, v35, v2;

	;;#ASMEND
	;; [unrolled: 4-line block ×4, first 2 shown]
	;;#ASMSTART
	v_pk_add_f16 v1, v1, v2;

	;;#ASMEND
	;;#ASMSTART
	v_pk_add_f16 v1, v1, v3;

	;;#ASMEND
	;; [unrolled: 4-line block ×3, first 2 shown]
	v_and_b32_e32 v2, 0xffff, v1
	v_lshrrev_b32_e32 v1, 16, v1
	;;#ASMSTART
	v_cvt_f32_f16 v63, v2;
	;;#ASMEND
	;;#ASMSTART
	v_cvt_f32_f16 v64, v1;
	;;#ASMEND
	global_load_dwordx4 v[1:4], v[9:10], off offset:512
	s_waitcnt vmcnt(0)
	v_lshrrev_b32_e32 v67, 16, v1
	v_lshrrev_b32_e32 v66, 16, v2
	;; [unrolled: 1-line block ×3, first 2 shown]
	s_and_saveexec_b32 s6, s0
	s_cbranch_execz .LBB121_49
; %bb.48:                               ;   in Loop: Header=BB121_29 Depth=1
	v_cmp_gt_i32_e32 vcc_lo, s25, v40
	v_and_b32_e32 v68, 0xffff0000, v4
	v_cmp_gt_i32_e64 s1, s25, v38
	v_cndmask_b32_e32 v1, 0, v1, vcc_lo
	v_cmp_gt_i32_e32 vcc_lo, s25, v45
	v_cndmask_b32_e64 v2, 0, v2, s1
	v_cmp_gt_i32_e64 s1, s25, v37
	v_cndmask_b32_e32 v67, 0, v67, vcc_lo
	v_cmp_gt_i32_e32 vcc_lo, s25, v44
	v_cndmask_b32_e64 v66, 0, v66, s1
	v_cndmask_b32_sdwa v4, v28, v4, vcc_lo dst_sel:DWORD dst_unused:UNUSED_PAD src0_sel:DWORD src1_sel:WORD_0
	v_cmp_gt_i32_e32 vcc_lo, s25, v31
	v_cndmask_b32_e32 v68, 0, v68, vcc_lo
	v_cmp_gt_i32_e32 vcc_lo, s25, v34
	v_or_b32_e32 v4, v4, v68
	v_cndmask_b32_e32 v3, 0, v3, vcc_lo
	v_cmp_gt_i32_e32 vcc_lo, s25, v33
	v_cndmask_b32_e32 v65, 0, v65, vcc_lo
.LBB121_49:                             ;   in Loop: Header=BB121_29 Depth=1
	s_or_b32 exec_lo, exec_lo, s6
	v_lshlrev_b32_e32 v67, 16, v67
	v_lshlrev_b32_e32 v66, 16, v66
	;; [unrolled: 1-line block ×3, first 2 shown]
	v_and_or_b32 v1, 0xffff, v1, v67
	v_and_or_b32 v2, 0xffff, v2, v66
	;; [unrolled: 1-line block ×3, first 2 shown]
	;;#ASMSTART
	v_pk_mul_f16 v1, v36, v1;

	;;#ASMEND
	;;#ASMSTART
	v_pk_mul_f16 v2, v35, v2;

	;;#ASMEND
	;; [unrolled: 4-line block ×4, first 2 shown]
	;;#ASMSTART
	v_pk_add_f16 v1, v1, v2;

	;;#ASMEND
	;;#ASMSTART
	v_pk_add_f16 v1, v1, v3;

	;;#ASMEND
	;; [unrolled: 4-line block ×3, first 2 shown]
	v_and_b32_e32 v2, 0xffff, v1
	v_lshrrev_b32_e32 v1, 16, v1
	;;#ASMSTART
	v_cvt_f32_f16 v65, v2;
	;;#ASMEND
	;;#ASMSTART
	v_cvt_f32_f16 v66, v1;
	;;#ASMEND
	global_load_dwordx4 v[1:4], v[9:10], off offset:1024
	s_waitcnt vmcnt(0)
	v_lshrrev_b32_e32 v69, 16, v1
	v_lshrrev_b32_e32 v68, 16, v2
	v_lshrrev_b32_e32 v67, 16, v3
	s_and_saveexec_b32 s6, s0
	s_cbranch_execz .LBB121_51
; %bb.50:                               ;   in Loop: Header=BB121_29 Depth=1
	v_cmp_gt_i32_e32 vcc_lo, s25, v40
	v_and_b32_e32 v70, 0xffff0000, v4
	v_cmp_gt_i32_e64 s1, s25, v38
	v_cndmask_b32_e32 v1, 0, v1, vcc_lo
	v_cmp_gt_i32_e32 vcc_lo, s25, v45
	v_cndmask_b32_e64 v2, 0, v2, s1
	v_cmp_gt_i32_e64 s1, s25, v37
	v_cndmask_b32_e32 v69, 0, v69, vcc_lo
	v_cmp_gt_i32_e32 vcc_lo, s25, v44
	v_cndmask_b32_e64 v68, 0, v68, s1
	v_cndmask_b32_sdwa v4, v28, v4, vcc_lo dst_sel:DWORD dst_unused:UNUSED_PAD src0_sel:DWORD src1_sel:WORD_0
	v_cmp_gt_i32_e32 vcc_lo, s25, v31
	v_cndmask_b32_e32 v70, 0, v70, vcc_lo
	v_cmp_gt_i32_e32 vcc_lo, s25, v34
	v_or_b32_e32 v4, v4, v70
	v_cndmask_b32_e32 v3, 0, v3, vcc_lo
	v_cmp_gt_i32_e32 vcc_lo, s25, v33
	v_cndmask_b32_e32 v67, 0, v67, vcc_lo
.LBB121_51:                             ;   in Loop: Header=BB121_29 Depth=1
	s_or_b32 exec_lo, exec_lo, s6
	v_lshlrev_b32_e32 v69, 16, v69
	v_lshlrev_b32_e32 v68, 16, v68
	;; [unrolled: 1-line block ×3, first 2 shown]
	v_and_or_b32 v1, 0xffff, v1, v69
	v_and_or_b32 v2, 0xffff, v2, v68
	;; [unrolled: 1-line block ×3, first 2 shown]
	;;#ASMSTART
	v_pk_mul_f16 v1, v36, v1;

	;;#ASMEND
	;;#ASMSTART
	v_pk_mul_f16 v2, v35, v2;

	;;#ASMEND
	;; [unrolled: 4-line block ×4, first 2 shown]
	;;#ASMSTART
	v_pk_add_f16 v1, v1, v2;

	;;#ASMEND
	;;#ASMSTART
	v_pk_add_f16 v1, v1, v3;

	;;#ASMEND
	;; [unrolled: 4-line block ×3, first 2 shown]
	v_and_b32_e32 v2, 0xffff, v1
	v_lshrrev_b32_e32 v1, 16, v1
	;;#ASMSTART
	v_cvt_f32_f16 v67, v2;
	;;#ASMEND
	;;#ASMSTART
	v_cvt_f32_f16 v68, v1;
	;;#ASMEND
	global_load_dwordx4 v[1:4], v[9:10], off offset:1536
	s_waitcnt vmcnt(0)
	v_lshrrev_b32_e32 v69, 16, v1
	v_lshrrev_b32_e32 v10, 16, v2
	;; [unrolled: 1-line block ×3, first 2 shown]
	s_and_saveexec_b32 s6, s0
	s_cbranch_execz .LBB121_53
; %bb.52:                               ;   in Loop: Header=BB121_29 Depth=1
	v_cmp_gt_i32_e32 vcc_lo, s25, v40
	v_and_b32_e32 v70, 0xffff0000, v4
	v_cmp_gt_i32_e64 s1, s25, v38
	v_cndmask_b32_e32 v1, 0, v1, vcc_lo
	v_cmp_gt_i32_e32 vcc_lo, s25, v45
	v_cndmask_b32_e64 v2, 0, v2, s1
	v_cmp_gt_i32_e64 s1, s25, v37
	v_cndmask_b32_e32 v69, 0, v69, vcc_lo
	v_cmp_gt_i32_e32 vcc_lo, s25, v44
	v_cndmask_b32_e64 v10, 0, v10, s1
	v_cndmask_b32_sdwa v4, v28, v4, vcc_lo dst_sel:DWORD dst_unused:UNUSED_PAD src0_sel:DWORD src1_sel:WORD_0
	v_cmp_gt_i32_e32 vcc_lo, s25, v31
	v_cndmask_b32_e32 v70, 0, v70, vcc_lo
	v_cmp_gt_i32_e32 vcc_lo, s25, v34
	v_or_b32_e32 v4, v4, v70
	v_cndmask_b32_e32 v3, 0, v3, vcc_lo
	v_cmp_gt_i32_e32 vcc_lo, s25, v33
	v_cndmask_b32_e32 v9, 0, v9, vcc_lo
.LBB121_53:                             ;   in Loop: Header=BB121_29 Depth=1
	s_or_b32 exec_lo, exec_lo, s6
	v_lshlrev_b32_e32 v69, 16, v69
	v_lshlrev_b32_e32 v10, 16, v10
	;; [unrolled: 1-line block ×3, first 2 shown]
	v_add_co_u32 v7, vcc_lo, 0x1800, v7
	v_and_or_b32 v1, 0xffff, v1, v69
	v_and_or_b32 v2, 0xffff, v2, v10
	;; [unrolled: 1-line block ×3, first 2 shown]
	;;#ASMSTART
	v_pk_mul_f16 v1, v36, v1;

	;;#ASMEND
	v_add_co_ci_u32_e64 v8, null, 0, v8, vcc_lo
	;;#ASMSTART
	v_pk_mul_f16 v2, v35, v2;

	;;#ASMEND
	;;#ASMSTART
	v_pk_mul_f16 v3, v39, v3;

	;;#ASMEND
	;;#ASMSTART
	v_pk_mul_f16 v4, v41, v4;

	;;#ASMEND
	;;#ASMSTART
	v_pk_add_f16 v1, v1, v2;

	;;#ASMEND
	;;#ASMSTART
	v_pk_add_f16 v1, v1, v3;

	;;#ASMEND
	;; [unrolled: 4-line block ×3, first 2 shown]
	v_lshrrev_b32_e32 v2, 16, v1
	v_and_b32_e32 v1, 0xffff, v1
	;;#ASMSTART
	v_cvt_f32_f16 v9, v1;
	;;#ASMEND
	;;#ASMSTART
	v_cvt_f32_f16 v10, v2;
	;;#ASMEND
	global_load_dwordx4 v[1:4], v[7:8], off
	s_waitcnt vmcnt(0)
	v_lshrrev_b32_e32 v71, 16, v1
	v_lshrrev_b32_e32 v70, 16, v2
	;; [unrolled: 1-line block ×3, first 2 shown]
	s_and_saveexec_b32 s6, s0
	s_cbranch_execz .LBB121_55
; %bb.54:                               ;   in Loop: Header=BB121_29 Depth=1
	v_cmp_gt_i32_e32 vcc_lo, s25, v40
	v_and_b32_e32 v72, 0xffff0000, v4
	v_cmp_gt_i32_e64 s1, s25, v38
	v_cndmask_b32_e32 v1, 0, v1, vcc_lo
	v_cmp_gt_i32_e32 vcc_lo, s25, v45
	v_cndmask_b32_e64 v2, 0, v2, s1
	v_cmp_gt_i32_e64 s1, s25, v37
	v_cndmask_b32_e32 v71, 0, v71, vcc_lo
	v_cmp_gt_i32_e32 vcc_lo, s25, v44
	v_cndmask_b32_e64 v70, 0, v70, s1
	v_cndmask_b32_sdwa v4, v28, v4, vcc_lo dst_sel:DWORD dst_unused:UNUSED_PAD src0_sel:DWORD src1_sel:WORD_0
	v_cmp_gt_i32_e32 vcc_lo, s25, v31
	v_cndmask_b32_e32 v72, 0, v72, vcc_lo
	v_cmp_gt_i32_e32 vcc_lo, s25, v34
	v_or_b32_e32 v4, v4, v72
	v_cndmask_b32_e32 v3, 0, v3, vcc_lo
	v_cmp_gt_i32_e32 vcc_lo, s25, v33
	v_cndmask_b32_e32 v69, 0, v69, vcc_lo
.LBB121_55:                             ;   in Loop: Header=BB121_29 Depth=1
	s_or_b32 exec_lo, exec_lo, s6
	v_lshlrev_b32_e32 v71, 16, v71
	v_lshlrev_b32_e32 v70, 16, v70
	;; [unrolled: 1-line block ×3, first 2 shown]
	v_and_or_b32 v1, 0xffff, v1, v71
	v_and_or_b32 v2, 0xffff, v2, v70
	;; [unrolled: 1-line block ×3, first 2 shown]
	;;#ASMSTART
	v_pk_mul_f16 v1, v36, v1;

	;;#ASMEND
	;;#ASMSTART
	v_pk_mul_f16 v2, v35, v2;

	;;#ASMEND
	;; [unrolled: 4-line block ×4, first 2 shown]
	;;#ASMSTART
	v_pk_add_f16 v1, v1, v2;

	;;#ASMEND
	;;#ASMSTART
	v_pk_add_f16 v1, v1, v3;

	;;#ASMEND
	;; [unrolled: 4-line block ×3, first 2 shown]
	v_and_b32_e32 v2, 0xffff, v1
	v_lshrrev_b32_e32 v1, 16, v1
	;;#ASMSTART
	v_cvt_f32_f16 v70, v2;
	;;#ASMEND
	;;#ASMSTART
	v_cvt_f32_f16 v71, v1;
	;;#ASMEND
	global_load_dwordx4 v[1:4], v[7:8], off offset:512
	s_waitcnt vmcnt(0)
	v_lshrrev_b32_e32 v69, 16, v1
	v_lshrrev_b32_e32 v8, 16, v2
	;; [unrolled: 1-line block ×3, first 2 shown]
	s_and_saveexec_b32 s1, s0
	s_cbranch_execz .LBB121_28
; %bb.56:                               ;   in Loop: Header=BB121_29 Depth=1
	v_cmp_gt_i32_e32 vcc_lo, s25, v40
	v_cmp_gt_i32_e64 s0, s25, v38
	v_cndmask_b32_e32 v1, 0, v1, vcc_lo
	v_cmp_gt_i32_e32 vcc_lo, s25, v45
	v_cndmask_b32_e64 v2, 0, v2, s0
	v_cmp_gt_i32_e64 s0, s25, v37
	v_and_b32_e32 v37, 0xffff0000, v4
	v_cndmask_b32_e32 v69, 0, v69, vcc_lo
	v_cmp_gt_i32_e32 vcc_lo, s25, v44
	v_cndmask_b32_e64 v8, 0, v8, s0
	v_cndmask_b32_sdwa v4, v28, v4, vcc_lo dst_sel:DWORD dst_unused:UNUSED_PAD src0_sel:DWORD src1_sel:WORD_0
	v_cmp_gt_i32_e32 vcc_lo, s25, v31
	v_cndmask_b32_e32 v37, 0, v37, vcc_lo
	v_cmp_gt_i32_e32 vcc_lo, s25, v34
	v_or_b32_e32 v4, v4, v37
	v_cndmask_b32_e32 v3, 0, v3, vcc_lo
	v_cmp_gt_i32_e32 vcc_lo, s25, v33
	v_cndmask_b32_e32 v7, 0, v7, vcc_lo
	s_branch .LBB121_28
.LBB121_57:
	s_or_b32 exec_lo, exec_lo, s4
.LBB121_58:
	s_or_b32 exec_lo, exec_lo, s3
	ds_bpermute_b32 v1, v12, v25
	ds_bpermute_b32 v29, v12, v16
	;; [unrolled: 1-line block ×14, first 2 shown]
	s_mov_b32 s0, exec_lo
	s_waitcnt lgkmcnt(0)
	s_waitcnt_vscnt null, 0x0
	s_barrier
	buffer_gl0_inv
	v_add_f32_e32 v1, v25, v1
	v_add_f32_e32 v16, v16, v29
	;; [unrolled: 1-line block ×8, first 2 shown]
	ds_bpermute_b32 v21, v11, v1
	v_add_f32_e32 v20, v20, v8
	v_add_f32_e32 v19, v19, v9
	;; [unrolled: 1-line block ×6, first 2 shown]
	ds_bpermute_b32 v33, v11, v16
	ds_bpermute_b32 v22, v11, v2
	;; [unrolled: 1-line block ×13, first 2 shown]
	s_waitcnt lgkmcnt(13)
	v_add_f32_e32 v15, v1, v21
	s_waitcnt lgkmcnt(12)
	v_add_f32_e32 v1, v16, v33
	v_and_b32_e32 v16, 28, v62
	s_waitcnt lgkmcnt(11)
	v_add_f32_e32 v14, v2, v22
	s_waitcnt lgkmcnt(10)
	v_add_f32_e32 v12, v3, v23
	;; [unrolled: 2-line block ×11, first 2 shown]
	v_and_b32_e32 v19, 0x3c3, v0
	s_waitcnt lgkmcnt(0)
	v_add_f32_e32 v5, v32, v35
	v_lshrrev_b32_e32 v17, 2, v62
	v_add_nc_u32_e32 v16, 0x100, v16
	v_mul_u32_u24_e32 v18, 0x1c0, v61
	v_cmpx_eq_u32_e32 64, v19
	s_cbranch_execz .LBB121_60
; %bb.59:
	v_add_nc_u32_e32 v19, v16, v18
	v_add_nc_u32_e32 v20, 0xfffffc80, v19
	;; [unrolled: 1-line block ×7, first 2 shown]
	ds_write_b32 v20, v15
	ds_write_b32 v21, v14
	;; [unrolled: 1-line block ×4, first 2 shown]
	v_add_nc_u32_e32 v20, 0xfffffd40, v19
	v_add_nc_u32_e32 v21, 0xfffffd60, v19
	;; [unrolled: 1-line block ×3, first 2 shown]
	ds_write_b32 v24, v10
	ds_write_b32 v25, v9
	;; [unrolled: 1-line block ×5, first 2 shown]
	v_add_nc_u32_e32 v20, 0xfffffda0, v19
	v_add_nc_u32_e32 v21, 0xfffffdc0, v19
	;; [unrolled: 1-line block ×5, first 2 shown]
	ds_write_b32 v20, v3
	ds_write_b32 v21, v2
	;; [unrolled: 1-line block ×5, first 2 shown]
.LBB121_60:
	s_or_b32 exec_lo, exec_lo, s0
	v_lshlrev_b32_e32 v17, 2, v17
	v_cmp_eq_u32_e32 vcc_lo, 0, v13
	s_mov_b32 s1, exec_lo
	s_waitcnt lgkmcnt(0)
	s_barrier
	v_add3_u32 v13, 0x100, v18, v17
	buffer_gl0_inv
	v_cmpx_gt_u32_e32 64, v0
	s_cbranch_execz .LBB121_77
; %bb.61:
	s_and_saveexec_b32 s0, vcc_lo
	s_cbranch_execnz .LBB121_99
; %bb.62:
	s_or_b32 exec_lo, exec_lo, s0
	s_and_saveexec_b32 s0, vcc_lo
	s_cbranch_execnz .LBB121_100
.LBB121_63:
	s_or_b32 exec_lo, exec_lo, s0
	s_and_saveexec_b32 s0, vcc_lo
	s_cbranch_execnz .LBB121_101
.LBB121_64:
	s_or_b32 exec_lo, exec_lo, s0
	s_and_saveexec_b32 s0, vcc_lo
	s_cbranch_execnz .LBB121_102
.LBB121_65:
	s_or_b32 exec_lo, exec_lo, s0
	s_and_saveexec_b32 s0, vcc_lo
	s_cbranch_execnz .LBB121_103
.LBB121_66:
	s_or_b32 exec_lo, exec_lo, s0
	s_and_saveexec_b32 s0, vcc_lo
	s_cbranch_execnz .LBB121_104
.LBB121_67:
	s_or_b32 exec_lo, exec_lo, s0
	s_and_saveexec_b32 s0, vcc_lo
	s_cbranch_execnz .LBB121_105
.LBB121_68:
	s_or_b32 exec_lo, exec_lo, s0
	s_and_saveexec_b32 s0, vcc_lo
	s_cbranch_execnz .LBB121_106
.LBB121_69:
	s_or_b32 exec_lo, exec_lo, s0
	s_and_saveexec_b32 s0, vcc_lo
	s_cbranch_execnz .LBB121_107
.LBB121_70:
	s_or_b32 exec_lo, exec_lo, s0
	s_and_saveexec_b32 s0, vcc_lo
	s_cbranch_execnz .LBB121_108
.LBB121_71:
	s_or_b32 exec_lo, exec_lo, s0
	s_and_saveexec_b32 s0, vcc_lo
	s_cbranch_execnz .LBB121_109
.LBB121_72:
	s_or_b32 exec_lo, exec_lo, s0
	s_and_saveexec_b32 s0, vcc_lo
	s_cbranch_execnz .LBB121_110
.LBB121_73:
	s_or_b32 exec_lo, exec_lo, s0
	s_and_saveexec_b32 s0, vcc_lo
	s_cbranch_execnz .LBB121_111
.LBB121_74:
	s_or_b32 exec_lo, exec_lo, s0
	s_and_saveexec_b32 s0, vcc_lo
	s_cbranch_execz .LBB121_76
.LBB121_75:
	ds_read_b32 v17, v13 offset:416
	s_waitcnt lgkmcnt(0)
	v_add_f32_e32 v5, v5, v17
.LBB121_76:
	s_or_b32 exec_lo, exec_lo, s0
.LBB121_77:
	s_or_b32 exec_lo, exec_lo, s1
	v_and_b32_e32 v17, 0x3e3, v0
	s_mov_b32 s1, exec_lo
	s_barrier
	buffer_gl0_inv
	v_cmpx_eq_u32_e32 32, v17
	s_cbranch_execz .LBB121_79
; %bb.78:
	ds_write2_b32 v16, v15, v14 offset1:8
	ds_write2_b32 v16, v12, v11 offset0:16 offset1:24
	ds_write2_b32 v16, v10, v9 offset0:32 offset1:40
	;; [unrolled: 1-line block ×6, first 2 shown]
.LBB121_79:
	s_or_b32 exec_lo, exec_lo, s1
	s_mov_b32 s1, exec_lo
	s_waitcnt lgkmcnt(0)
	s_barrier
	buffer_gl0_inv
	v_cmpx_gt_u32_e32 32, v0
	s_cbranch_execz .LBB121_96
; %bb.80:
	s_and_saveexec_b32 s0, vcc_lo
	s_cbranch_execnz .LBB121_112
; %bb.81:
	s_or_b32 exec_lo, exec_lo, s0
	s_and_saveexec_b32 s0, vcc_lo
	s_cbranch_execnz .LBB121_113
.LBB121_82:
	s_or_b32 exec_lo, exec_lo, s0
	s_and_saveexec_b32 s0, vcc_lo
	s_cbranch_execnz .LBB121_114
.LBB121_83:
	s_or_b32 exec_lo, exec_lo, s0
	s_and_saveexec_b32 s0, vcc_lo
	s_cbranch_execnz .LBB121_115
.LBB121_84:
	s_or_b32 exec_lo, exec_lo, s0
	s_and_saveexec_b32 s0, vcc_lo
	s_cbranch_execnz .LBB121_116
.LBB121_85:
	s_or_b32 exec_lo, exec_lo, s0
	s_and_saveexec_b32 s0, vcc_lo
	s_cbranch_execnz .LBB121_117
.LBB121_86:
	s_or_b32 exec_lo, exec_lo, s0
	s_and_saveexec_b32 s0, vcc_lo
	s_cbranch_execnz .LBB121_118
.LBB121_87:
	s_or_b32 exec_lo, exec_lo, s0
	s_and_saveexec_b32 s0, vcc_lo
	s_cbranch_execnz .LBB121_119
.LBB121_88:
	s_or_b32 exec_lo, exec_lo, s0
	s_and_saveexec_b32 s0, vcc_lo
	s_cbranch_execnz .LBB121_120
.LBB121_89:
	s_or_b32 exec_lo, exec_lo, s0
	s_and_saveexec_b32 s0, vcc_lo
	s_cbranch_execnz .LBB121_121
.LBB121_90:
	s_or_b32 exec_lo, exec_lo, s0
	s_and_saveexec_b32 s0, vcc_lo
	s_cbranch_execnz .LBB121_122
.LBB121_91:
	s_or_b32 exec_lo, exec_lo, s0
	s_and_saveexec_b32 s0, vcc_lo
	s_cbranch_execnz .LBB121_123
.LBB121_92:
	s_or_b32 exec_lo, exec_lo, s0
	s_and_saveexec_b32 s0, vcc_lo
	s_cbranch_execnz .LBB121_124
.LBB121_93:
	s_or_b32 exec_lo, exec_lo, s0
	s_and_saveexec_b32 s0, vcc_lo
	s_cbranch_execz .LBB121_95
.LBB121_94:
	ds_read_b32 v13, v13 offset:416
	s_waitcnt lgkmcnt(0)
	v_add_f32_e32 v5, v5, v13
.LBB121_95:
	s_or_b32 exec_lo, exec_lo, s0
.LBB121_96:
	s_or_b32 exec_lo, exec_lo, s1
	s_barrier
	buffer_gl0_inv
	s_mov_b32 s0, exec_lo
	v_cmpx_eq_u32_e32 0, v17
	s_cbranch_execz .LBB121_98
; %bb.97:
	s_mul_i32 s0, s2, 0x70
	s_mul_i32 s2, s7, s10
	s_ashr_i32 s1, s0, 31
	v_lshrrev_b32_e32 v0, 1, v0
	s_lshl_b64 s[0:1], s[0:1], 1
	;;#ASMSTART
	v_cvt_f16_f32 v13, v15;

	;;#ASMEND
	s_add_u32 s4, s20, s0
	s_addc_u32 s5, s21, s1
	s_ashr_i32 s3, s2, 31
	s_lshl_b64 s[0:1], s[2:3], 1
	s_mul_i32 s2, s8, 0x70
	s_add_u32 s4, s4, s0
	s_addc_u32 s5, s5, s1
	s_ashr_i32 s3, s2, 31
	s_lshl_b64 s[0:1], s[2:3], 1
	s_add_u32 s0, s4, s0
	s_addc_u32 s1, s5, s1
	global_store_short v0, v13, s[0:1]
	;;#ASMSTART
	v_cvt_f16_f32 v13, v14;

	;;#ASMEND
	global_store_short v0, v13, s[0:1] offset:16
	;;#ASMSTART
	v_cvt_f16_f32 v12, v12;

	;;#ASMEND
	global_store_short v0, v12, s[0:1] offset:32
	;; [unrolled: 5-line block ×13, first 2 shown]
.LBB121_98:
	s_endpgm
.LBB121_99:
	ds_read_b32 v17, v13
	s_waitcnt lgkmcnt(0)
	v_add_f32_e32 v15, v15, v17
	s_or_b32 exec_lo, exec_lo, s0
	s_and_saveexec_b32 s0, vcc_lo
	s_cbranch_execz .LBB121_63
.LBB121_100:
	ds_read_b32 v17, v13 offset:32
	s_waitcnt lgkmcnt(0)
	v_add_f32_e32 v14, v14, v17
	s_or_b32 exec_lo, exec_lo, s0
	s_and_saveexec_b32 s0, vcc_lo
	s_cbranch_execz .LBB121_64
.LBB121_101:
	ds_read_b32 v17, v13 offset:64
	s_waitcnt lgkmcnt(0)
	v_add_f32_e32 v12, v12, v17
	s_or_b32 exec_lo, exec_lo, s0
	s_and_saveexec_b32 s0, vcc_lo
	s_cbranch_execz .LBB121_65
.LBB121_102:
	ds_read_b32 v17, v13 offset:96
	s_waitcnt lgkmcnt(0)
	v_add_f32_e32 v11, v11, v17
	s_or_b32 exec_lo, exec_lo, s0
	s_and_saveexec_b32 s0, vcc_lo
	s_cbranch_execz .LBB121_66
.LBB121_103:
	ds_read_b32 v17, v13 offset:128
	s_waitcnt lgkmcnt(0)
	v_add_f32_e32 v10, v10, v17
	s_or_b32 exec_lo, exec_lo, s0
	s_and_saveexec_b32 s0, vcc_lo
	s_cbranch_execz .LBB121_67
.LBB121_104:
	ds_read_b32 v17, v13 offset:160
	s_waitcnt lgkmcnt(0)
	v_add_f32_e32 v9, v9, v17
	s_or_b32 exec_lo, exec_lo, s0
	s_and_saveexec_b32 s0, vcc_lo
	s_cbranch_execz .LBB121_68
.LBB121_105:
	ds_read_b32 v17, v13 offset:192
	s_waitcnt lgkmcnt(0)
	v_add_f32_e32 v8, v8, v17
	s_or_b32 exec_lo, exec_lo, s0
	s_and_saveexec_b32 s0, vcc_lo
	s_cbranch_execz .LBB121_69
.LBB121_106:
	ds_read_b32 v17, v13 offset:224
	s_waitcnt lgkmcnt(0)
	v_add_f32_e32 v7, v7, v17
	s_or_b32 exec_lo, exec_lo, s0
	s_and_saveexec_b32 s0, vcc_lo
	s_cbranch_execz .LBB121_70
.LBB121_107:
	ds_read_b32 v17, v13 offset:256
	s_waitcnt lgkmcnt(0)
	v_add_f32_e32 v6, v6, v17
	s_or_b32 exec_lo, exec_lo, s0
	s_and_saveexec_b32 s0, vcc_lo
	s_cbranch_execz .LBB121_71
.LBB121_108:
	ds_read_b32 v17, v13 offset:288
	s_waitcnt lgkmcnt(0)
	v_add_f32_e32 v3, v3, v17
	s_or_b32 exec_lo, exec_lo, s0
	s_and_saveexec_b32 s0, vcc_lo
	s_cbranch_execz .LBB121_72
.LBB121_109:
	ds_read_b32 v17, v13 offset:320
	s_waitcnt lgkmcnt(0)
	v_add_f32_e32 v2, v2, v17
	s_or_b32 exec_lo, exec_lo, s0
	s_and_saveexec_b32 s0, vcc_lo
	s_cbranch_execz .LBB121_73
.LBB121_110:
	ds_read_b32 v17, v13 offset:352
	s_waitcnt lgkmcnt(0)
	v_add_f32_e32 v1, v1, v17
	s_or_b32 exec_lo, exec_lo, s0
	s_and_saveexec_b32 s0, vcc_lo
	s_cbranch_execz .LBB121_74
.LBB121_111:
	ds_read_b32 v17, v13 offset:384
	s_waitcnt lgkmcnt(0)
	v_add_f32_e32 v4, v4, v17
	s_or_b32 exec_lo, exec_lo, s0
	s_and_saveexec_b32 s0, vcc_lo
	s_cbranch_execnz .LBB121_75
	s_branch .LBB121_76
.LBB121_112:
	ds_read_b32 v16, v13
	s_waitcnt lgkmcnt(0)
	v_add_f32_e32 v15, v15, v16
	s_or_b32 exec_lo, exec_lo, s0
	s_and_saveexec_b32 s0, vcc_lo
	s_cbranch_execz .LBB121_82
.LBB121_113:
	ds_read_b32 v16, v13 offset:32
	s_waitcnt lgkmcnt(0)
	v_add_f32_e32 v14, v14, v16
	s_or_b32 exec_lo, exec_lo, s0
	s_and_saveexec_b32 s0, vcc_lo
	s_cbranch_execz .LBB121_83
.LBB121_114:
	ds_read_b32 v16, v13 offset:64
	s_waitcnt lgkmcnt(0)
	v_add_f32_e32 v12, v12, v16
	s_or_b32 exec_lo, exec_lo, s0
	s_and_saveexec_b32 s0, vcc_lo
	s_cbranch_execz .LBB121_84
.LBB121_115:
	ds_read_b32 v16, v13 offset:96
	s_waitcnt lgkmcnt(0)
	v_add_f32_e32 v11, v11, v16
	s_or_b32 exec_lo, exec_lo, s0
	s_and_saveexec_b32 s0, vcc_lo
	s_cbranch_execz .LBB121_85
.LBB121_116:
	ds_read_b32 v16, v13 offset:128
	s_waitcnt lgkmcnt(0)
	v_add_f32_e32 v10, v10, v16
	s_or_b32 exec_lo, exec_lo, s0
	s_and_saveexec_b32 s0, vcc_lo
	s_cbranch_execz .LBB121_86
.LBB121_117:
	ds_read_b32 v16, v13 offset:160
	s_waitcnt lgkmcnt(0)
	v_add_f32_e32 v9, v9, v16
	s_or_b32 exec_lo, exec_lo, s0
	s_and_saveexec_b32 s0, vcc_lo
	s_cbranch_execz .LBB121_87
.LBB121_118:
	ds_read_b32 v16, v13 offset:192
	s_waitcnt lgkmcnt(0)
	v_add_f32_e32 v8, v8, v16
	s_or_b32 exec_lo, exec_lo, s0
	s_and_saveexec_b32 s0, vcc_lo
	s_cbranch_execz .LBB121_88
.LBB121_119:
	ds_read_b32 v16, v13 offset:224
	s_waitcnt lgkmcnt(0)
	v_add_f32_e32 v7, v7, v16
	s_or_b32 exec_lo, exec_lo, s0
	s_and_saveexec_b32 s0, vcc_lo
	s_cbranch_execz .LBB121_89
.LBB121_120:
	ds_read_b32 v16, v13 offset:256
	s_waitcnt lgkmcnt(0)
	v_add_f32_e32 v6, v6, v16
	s_or_b32 exec_lo, exec_lo, s0
	s_and_saveexec_b32 s0, vcc_lo
	s_cbranch_execz .LBB121_90
.LBB121_121:
	ds_read_b32 v16, v13 offset:288
	s_waitcnt lgkmcnt(0)
	v_add_f32_e32 v3, v3, v16
	s_or_b32 exec_lo, exec_lo, s0
	s_and_saveexec_b32 s0, vcc_lo
	s_cbranch_execz .LBB121_91
.LBB121_122:
	ds_read_b32 v16, v13 offset:320
	s_waitcnt lgkmcnt(0)
	v_add_f32_e32 v2, v2, v16
	s_or_b32 exec_lo, exec_lo, s0
	s_and_saveexec_b32 s0, vcc_lo
	s_cbranch_execz .LBB121_92
.LBB121_123:
	ds_read_b32 v16, v13 offset:352
	s_waitcnt lgkmcnt(0)
	v_add_f32_e32 v1, v1, v16
	s_or_b32 exec_lo, exec_lo, s0
	s_and_saveexec_b32 s0, vcc_lo
	s_cbranch_execz .LBB121_93
.LBB121_124:
	ds_read_b32 v16, v13 offset:384
	s_waitcnt lgkmcnt(0)
	v_add_f32_e32 v4, v4, v16
	s_or_b32 exec_lo, exec_lo, s0
	s_and_saveexec_b32 s0, vcc_lo
	s_cbranch_execnz .LBB121_94
	s_branch .LBB121_95
	.section	.rodata,"a",@progbits
	.p2align	6, 0x0
	.amdhsa_kernel _ZN4vllm25paged_attention_v2_kernelIttLi112ELi32ELi128ELNS_18Fp8KVCacheDataTypeE0ELb0ELi512EEEvPfS2_PT_PKS3_PKT0_S9_ifPKiSB_iPKfiiiSD_SD_iiiii
		.amdhsa_group_segment_fixed_size 256
		.amdhsa_private_segment_fixed_size 0
		.amdhsa_kernarg_size 400
		.amdhsa_user_sgpr_count 6
		.amdhsa_user_sgpr_private_segment_buffer 1
		.amdhsa_user_sgpr_dispatch_ptr 0
		.amdhsa_user_sgpr_queue_ptr 0
		.amdhsa_user_sgpr_kernarg_segment_ptr 1
		.amdhsa_user_sgpr_dispatch_id 0
		.amdhsa_user_sgpr_flat_scratch_init 0
		.amdhsa_user_sgpr_private_segment_size 0
		.amdhsa_wavefront_size32 1
		.amdhsa_uses_dynamic_stack 0
		.amdhsa_system_sgpr_private_segment_wavefront_offset 0
		.amdhsa_system_sgpr_workgroup_id_x 1
		.amdhsa_system_sgpr_workgroup_id_y 1
		.amdhsa_system_sgpr_workgroup_id_z 1
		.amdhsa_system_sgpr_workgroup_info 0
		.amdhsa_system_vgpr_workitem_id 0
		.amdhsa_next_free_vgpr 91
		.amdhsa_next_free_sgpr 38
		.amdhsa_reserve_vcc 1
		.amdhsa_reserve_flat_scratch 0
		.amdhsa_float_round_mode_32 0
		.amdhsa_float_round_mode_16_64 0
		.amdhsa_float_denorm_mode_32 3
		.amdhsa_float_denorm_mode_16_64 3
		.amdhsa_dx10_clamp 1
		.amdhsa_ieee_mode 1
		.amdhsa_fp16_overflow 0
		.amdhsa_workgroup_processor_mode 1
		.amdhsa_memory_ordered 1
		.amdhsa_forward_progress 1
		.amdhsa_shared_vgpr_count 0
		.amdhsa_exception_fp_ieee_invalid_op 0
		.amdhsa_exception_fp_denorm_src 0
		.amdhsa_exception_fp_ieee_div_zero 0
		.amdhsa_exception_fp_ieee_overflow 0
		.amdhsa_exception_fp_ieee_underflow 0
		.amdhsa_exception_fp_ieee_inexact 0
		.amdhsa_exception_int_div_zero 0
	.end_amdhsa_kernel
	.section	.text._ZN4vllm25paged_attention_v2_kernelIttLi112ELi32ELi128ELNS_18Fp8KVCacheDataTypeE0ELb0ELi512EEEvPfS2_PT_PKS3_PKT0_S9_ifPKiSB_iPKfiiiSD_SD_iiiii,"axG",@progbits,_ZN4vllm25paged_attention_v2_kernelIttLi112ELi32ELi128ELNS_18Fp8KVCacheDataTypeE0ELb0ELi512EEEvPfS2_PT_PKS3_PKT0_S9_ifPKiSB_iPKfiiiSD_SD_iiiii,comdat
.Lfunc_end121:
	.size	_ZN4vllm25paged_attention_v2_kernelIttLi112ELi32ELi128ELNS_18Fp8KVCacheDataTypeE0ELb0ELi512EEEvPfS2_PT_PKS3_PKT0_S9_ifPKiSB_iPKfiiiSD_SD_iiiii, .Lfunc_end121-_ZN4vllm25paged_attention_v2_kernelIttLi112ELi32ELi128ELNS_18Fp8KVCacheDataTypeE0ELb0ELi512EEEvPfS2_PT_PKS3_PKT0_S9_ifPKiSB_iPKfiiiSD_SD_iiiii
                                        ; -- End function
	.set _ZN4vllm25paged_attention_v2_kernelIttLi112ELi32ELi128ELNS_18Fp8KVCacheDataTypeE0ELb0ELi512EEEvPfS2_PT_PKS3_PKT0_S9_ifPKiSB_iPKfiiiSD_SD_iiiii.num_vgpr, 91
	.set _ZN4vllm25paged_attention_v2_kernelIttLi112ELi32ELi128ELNS_18Fp8KVCacheDataTypeE0ELb0ELi512EEEvPfS2_PT_PKS3_PKT0_S9_ifPKiSB_iPKfiiiSD_SD_iiiii.num_agpr, 0
	.set _ZN4vllm25paged_attention_v2_kernelIttLi112ELi32ELi128ELNS_18Fp8KVCacheDataTypeE0ELb0ELi512EEEvPfS2_PT_PKS3_PKT0_S9_ifPKiSB_iPKfiiiSD_SD_iiiii.numbered_sgpr, 38
	.set _ZN4vllm25paged_attention_v2_kernelIttLi112ELi32ELi128ELNS_18Fp8KVCacheDataTypeE0ELb0ELi512EEEvPfS2_PT_PKS3_PKT0_S9_ifPKiSB_iPKfiiiSD_SD_iiiii.num_named_barrier, 0
	.set _ZN4vllm25paged_attention_v2_kernelIttLi112ELi32ELi128ELNS_18Fp8KVCacheDataTypeE0ELb0ELi512EEEvPfS2_PT_PKS3_PKT0_S9_ifPKiSB_iPKfiiiSD_SD_iiiii.private_seg_size, 0
	.set _ZN4vllm25paged_attention_v2_kernelIttLi112ELi32ELi128ELNS_18Fp8KVCacheDataTypeE0ELb0ELi512EEEvPfS2_PT_PKS3_PKT0_S9_ifPKiSB_iPKfiiiSD_SD_iiiii.uses_vcc, 1
	.set _ZN4vllm25paged_attention_v2_kernelIttLi112ELi32ELi128ELNS_18Fp8KVCacheDataTypeE0ELb0ELi512EEEvPfS2_PT_PKS3_PKT0_S9_ifPKiSB_iPKfiiiSD_SD_iiiii.uses_flat_scratch, 0
	.set _ZN4vllm25paged_attention_v2_kernelIttLi112ELi32ELi128ELNS_18Fp8KVCacheDataTypeE0ELb0ELi512EEEvPfS2_PT_PKS3_PKT0_S9_ifPKiSB_iPKfiiiSD_SD_iiiii.has_dyn_sized_stack, 0
	.set _ZN4vllm25paged_attention_v2_kernelIttLi112ELi32ELi128ELNS_18Fp8KVCacheDataTypeE0ELb0ELi512EEEvPfS2_PT_PKS3_PKT0_S9_ifPKiSB_iPKfiiiSD_SD_iiiii.has_recursion, 0
	.set _ZN4vllm25paged_attention_v2_kernelIttLi112ELi32ELi128ELNS_18Fp8KVCacheDataTypeE0ELb0ELi512EEEvPfS2_PT_PKS3_PKT0_S9_ifPKiSB_iPKfiiiSD_SD_iiiii.has_indirect_call, 0
	.section	.AMDGPU.csdata,"",@progbits
; Kernel info:
; codeLenInByte = 17180
; TotalNumSgprs: 40
; NumVgprs: 91
; ScratchSize: 0
; MemoryBound: 0
; FloatMode: 240
; IeeeMode: 1
; LDSByteSize: 256 bytes/workgroup (compile time only)
; SGPRBlocks: 0
; VGPRBlocks: 11
; NumSGPRsForWavesPerEU: 40
; NumVGPRsForWavesPerEU: 91
; Occupancy: 10
; WaveLimiterHint : 1
; COMPUTE_PGM_RSRC2:SCRATCH_EN: 0
; COMPUTE_PGM_RSRC2:USER_SGPR: 6
; COMPUTE_PGM_RSRC2:TRAP_HANDLER: 0
; COMPUTE_PGM_RSRC2:TGID_X_EN: 1
; COMPUTE_PGM_RSRC2:TGID_Y_EN: 1
; COMPUTE_PGM_RSRC2:TGID_Z_EN: 1
; COMPUTE_PGM_RSRC2:TIDIG_COMP_CNT: 0
	.section	.text._ZN4vllm25paged_attention_v2_kernelIttLi120ELi32ELi128ELNS_18Fp8KVCacheDataTypeE0ELb0ELi512EEEvPfS2_PT_PKS3_PKT0_S9_ifPKiSB_iPKfiiiSD_SD_iiiii,"axG",@progbits,_ZN4vllm25paged_attention_v2_kernelIttLi120ELi32ELi128ELNS_18Fp8KVCacheDataTypeE0ELb0ELi512EEEvPfS2_PT_PKS3_PKT0_S9_ifPKiSB_iPKfiiiSD_SD_iiiii,comdat
	.protected	_ZN4vllm25paged_attention_v2_kernelIttLi120ELi32ELi128ELNS_18Fp8KVCacheDataTypeE0ELb0ELi512EEEvPfS2_PT_PKS3_PKT0_S9_ifPKiSB_iPKfiiiSD_SD_iiiii ; -- Begin function _ZN4vllm25paged_attention_v2_kernelIttLi120ELi32ELi128ELNS_18Fp8KVCacheDataTypeE0ELb0ELi512EEEvPfS2_PT_PKS3_PKT0_S9_ifPKiSB_iPKfiiiSD_SD_iiiii
	.globl	_ZN4vllm25paged_attention_v2_kernelIttLi120ELi32ELi128ELNS_18Fp8KVCacheDataTypeE0ELb0ELi512EEEvPfS2_PT_PKS3_PKT0_S9_ifPKiSB_iPKfiiiSD_SD_iiiii
	.p2align	8
	.type	_ZN4vllm25paged_attention_v2_kernelIttLi120ELi32ELi128ELNS_18Fp8KVCacheDataTypeE0ELb0ELi512EEEvPfS2_PT_PKS3_PKT0_S9_ifPKiSB_iPKfiiiSD_SD_iiiii,@function
_ZN4vllm25paged_attention_v2_kernelIttLi120ELi32ELi128ELNS_18Fp8KVCacheDataTypeE0ELb0ELi512EEEvPfS2_PT_PKS3_PKT0_S9_ifPKiSB_iPKfiiiSD_SD_iiiii: ; @_ZN4vllm25paged_attention_v2_kernelIttLi120ELi32ELi128ELNS_18Fp8KVCacheDataTypeE0ELb0ELi512EEEvPfS2_PT_PKS3_PKT0_S9_ifPKiSB_iPKfiiiSD_SD_iiiii
; %bb.0:
	s_load_dwordx2 s[0:1], s[4:5], 0x40
	s_mov_b32 s24, s7
	s_ashr_i32 s25, s7, 31
	s_lshl_b64 s[2:3], s[24:25], 2
	s_waitcnt lgkmcnt(0)
	s_add_u32 s0, s0, s2
	s_addc_u32 s1, s1, s3
	s_lshl_b32 s30, s8, 9
	s_load_dword s25, s[0:1], 0x0
	s_waitcnt lgkmcnt(0)
	s_cmp_ge_i32 s30, s25
	s_cbranch_scc1 .LBB122_102
; %bb.1:
	s_clause 0x1
	s_load_dword s9, s[4:5], 0x90
	s_load_dwordx2 s[2:3], s[4:5], 0x30
	s_mov_b32 s31, 0
	s_waitcnt lgkmcnt(0)
	s_abs_i32 s10, s9
	s_abs_i32 s0, s2
	s_xor_b32 s2, s9, s2
	v_cvt_f32_u32_e32 v1, s0
	s_sub_i32 s7, 0, s0
	s_ashr_i32 s2, s2, 31
	v_rcp_iflag_f32_e32 v1, v1
	v_mul_f32_e32 v1, 0x4f7ffffe, v1
	v_cvt_u32_f32_e32 v1, v1
	v_readfirstlane_b32 s1, v1
	s_mul_i32 s7, s7, s1
	s_mul_hi_u32 s7, s1, s7
	s_add_i32 s1, s1, s7
	s_mul_hi_u32 s1, s10, s1
	s_mul_i32 s7, s1, s0
	s_sub_i32 s7, s10, s7
	s_add_i32 s10, s1, 1
	s_sub_i32 s11, s7, s0
	s_cmp_ge_u32 s7, s0
	s_cselect_b32 s1, s10, s1
	s_cselect_b32 s7, s11, s7
	s_add_i32 s10, s1, 1
	s_cmp_ge_u32 s7, s0
	s_cselect_b32 s0, s10, s1
	s_abs_i32 s33, s6
	s_xor_b32 s0, s0, s2
	s_sub_i32 s2, s0, s2
	s_load_dwordx2 s[0:1], s[4:5], 0x50
	s_abs_i32 s28, s2
	v_cvt_f32_u32_e32 v1, s28
	s_sub_i32 s10, 0, s28
	v_rcp_iflag_f32_e32 v1, v1
	v_mul_f32_e32 v1, 0x4f7ffffe, v1
	v_cvt_u32_f32_e32 v1, v1
	v_readfirstlane_b32 s7, v1
	s_mul_i32 s10, s10, s7
	s_mul_hi_u32 s10, s7, s10
	s_add_i32 s7, s7, s10
	s_waitcnt lgkmcnt(0)
	s_cmp_eq_u64 s[0:1], 0
	s_mul_hi_u32 s29, s33, s7
	s_cbranch_scc1 .LBB122_3
; %bb.2:
	s_ashr_i32 s7, s6, 31
	s_lshl_b64 s[10:11], s[6:7], 2
	s_add_u32 s0, s0, s10
	s_addc_u32 s1, s1, s11
	s_load_dword s31, s[0:1], 0x0
.LBB122_3:
	s_clause 0x1
	s_load_dwordx2 s[22:23], s[4:5], 0x38
	s_load_dwordx4 s[12:15], s[4:5], 0x58
	v_lshlrev_b32_e32 v67, 4, v0
	s_ashr_i32 s0, s6, 31
	s_ashr_i32 s1, s2, 31
	s_mul_i32 s10, s6, 0x78
	s_mov_b32 s2, exec_lo
	v_cmpx_gt_u32_e32 15, v0
	s_cbranch_execz .LBB122_5
; %bb.4:
	s_load_dwordx2 s[16:17], s[4:5], 0x18
	s_waitcnt lgkmcnt(0)
	s_mul_i32 s18, s12, s24
	s_ashr_i32 s19, s18, 31
	s_lshl_b64 s[18:19], s[18:19], 1
	s_add_u32 s7, s16, s18
	s_addc_u32 s12, s17, s19
	s_ashr_i32 s11, s10, 31
	s_lshl_b64 s[16:17], s[10:11], 1
	s_add_u32 s16, s7, s16
	s_addc_u32 s17, s12, s17
	global_load_dwordx4 v[1:4], v67, s[16:17]
	s_waitcnt vmcnt(0)
	ds_write_b128 v67, v[1:4]
.LBB122_5:
	s_or_b32 exec_lo, exec_lo, s2
	s_add_i32 s7, s25, 31
	s_clause 0x1
	s_load_dwordx4 s[16:19], s[4:5], 0x0
	s_load_dwordx2 s[20:21], s[4:5], 0x10
	s_ashr_i32 s2, s7, 31
	s_mul_i32 s34, s29, s28
	s_lshr_b32 s11, s2, 27
	s_lshl_b32 s2, s8, 4
	s_add_i32 s7, s7, s11
	s_add_i32 s11, s2, 16
	s_waitcnt lgkmcnt(0)
	s_ashr_i32 s12, s7, 5
	s_clause 0x2
	s_load_dwordx2 s[26:27], s[4:5], 0x28
	s_load_dword s7, s[4:5], 0x98
	s_load_dword s15, s[4:5], 0x48
	s_xor_b32 s0, s0, s1
	s_sub_i32 s1, s33, s34
	s_min_i32 s11, s11, s12
	s_add_i32 s33, s29, 1
	s_sub_i32 s34, s1, s28
	s_cmp_ge_u32 s1, s28
	v_lshrrev_b32_e32 v65, 5, v0
	s_cselect_b32 s29, s33, s29
	s_cselect_b32 s1, s34, s1
	s_add_i32 s33, s29, 1
	s_cmp_ge_u32 s1, s28
	v_add_nc_u32_e32 v61, s2, v65
	v_and_b32_e32 v66, 31, v0
	s_cselect_b32 s1, s33, s29
	v_mov_b32_e32 v69, 0xff7fffff
	s_xor_b32 s1, s1, s0
	v_ashrrev_i32_e32 v62, 31, v61
	s_sub_i32 s1, s1, s0
	v_cmp_gt_i32_e64 s0, s11, v61
	v_lshlrev_b32_e32 v68, 2, v66
	s_waitcnt lgkmcnt(0)
	s_mul_i32 s28, s15, s24
	s_mul_i32 s14, s1, s14
	s_ashr_i32 s29, s28, 31
	s_barrier
	buffer_gl0_inv
	s_and_saveexec_b32 s33, s0
	s_cbranch_execz .LBB122_9
; %bb.6:
	s_load_dwordx2 s[4:5], s[4:5], 0x20
	s_ashr_i32 s15, s14, 31
	v_lshlrev_b32_e32 v3, 4, v66
	s_lshl_b64 s[34:35], s[14:15], 1
	v_lshlrev_b64 v[1:2], 2, v[61:62]
	v_lshlrev_b32_e32 v4, 5, v65
	v_lshl_or_b32 v5, v65, 7, v68
	v_mov_b32_e32 v70, 0
	v_cmp_neq_f32_e64 vcc_lo, s31, 0
	v_mov_b32_e32 v69, 0xff7fffff
	v_add3_u32 v71, s30, v4, v66
	v_add_nc_u32_e32 v72, 0x110, v5
	v_mov_b32_e32 v75, v61
	s_mov_b32 s15, s13
	s_waitcnt lgkmcnt(0)
	s_add_u32 s1, s4, s34
	s_addc_u32 s5, s5, s35
	s_lshl_b64 s[34:35], s[28:29], 2
	v_add_co_u32 v73, s1, s1, v3
	s_sub_i32 s4, 1, s25
	v_add_co_ci_u32_e64 v74, null, s5, 0, s1
	s_add_u32 s1, s22, s34
	s_addc_u32 s5, s23, s35
	v_add_co_u32 v63, s1, s1, v1
	v_add_co_ci_u32_e64 v64, null, s5, v2, s1
	s_mov_b32 s5, 0
.LBB122_7:                              ; =>This Inner Loop Header: Depth=1
	global_load_dword v1, v[63:64], off
	v_add_nc_u32_e32 v3, s4, v71
	v_add_nc_u32_e32 v75, 4, v75
	v_cvt_f32_i32_e32 v3, v3
	v_mul_f32_e32 v3, s31, v3
	v_cndmask_b32_e32 v76, 0, v3, vcc_lo
	s_waitcnt vmcnt(0)
	v_mad_i64_i32 v[1:2], null, v1, s15, 0
	v_lshlrev_b64 v[1:2], 1, v[1:2]
	v_add_co_u32 v1, s1, v73, v1
	v_add_co_ci_u32_e64 v2, null, v74, v2, s1
	s_clause 0x3
	global_load_dwordx4 v[57:60], v[1:2], off
	global_load_dwordx4 v[53:56], v[1:2], off offset:512
	global_load_dwordx4 v[49:52], v[1:2], off offset:1024
	global_load_dwordx4 v[45:48], v[1:2], off offset:1536
	v_add_co_u32 v3, s1, 0x800, v1
	v_add_co_ci_u32_e64 v4, null, 0, v2, s1
	v_add_co_u32 v5, s1, v1, 0x1000
	v_add_co_ci_u32_e64 v6, null, 0, v2, s1
	s_clause 0x3
	global_load_dwordx4 v[41:44], v[5:6], off offset:-2048
	global_load_dwordx4 v[37:40], v[3:4], off offset:512
	global_load_dwordx4 v[33:36], v[3:4], off offset:1024
	;; [unrolled: 1-line block ×3, first 2 shown]
	v_add_co_u32 v3, s1, 0x1000, v1
	v_add_co_ci_u32_e64 v4, null, 0, v2, s1
	s_clause 0x3
	global_load_dwordx4 v[25:28], v[5:6], off
	global_load_dwordx4 v[21:24], v[3:4], off offset:512
	global_load_dwordx4 v[17:20], v[3:4], off offset:1024
	;; [unrolled: 1-line block ×3, first 2 shown]
	v_add_co_u32 v1, s1, 0x1800, v1
	v_add_co_ci_u32_e64 v2, null, 0, v2, s1
	s_clause 0x2
	global_load_dwordx4 v[9:12], v[1:2], off
	global_load_dwordx4 v[5:8], v[1:2], off offset:512
	global_load_dwordx4 v[1:4], v[1:2], off offset:1024
	ds_read_b128 v[77:80], v70
	v_cmp_gt_i32_e64 s1, s25, v71
	v_add_nc_u32_e32 v71, 0x80, v71
	s_waitcnt lgkmcnt(0)
	v_lshrrev_b32_e32 v81, 16, v77
	v_and_b32_e32 v77, 0xffff, v77
	;;#ASMSTART
	v_cvt_f32_f16 v77, v77;
	;;#ASMEND
	;;#ASMSTART
	v_cvt_f32_f16 v81, v81;
	;;#ASMEND
	s_waitcnt vmcnt(14)
	v_lshrrev_b32_e32 v83, 16, v57
	v_and_b32_e32 v57, 0xffff, v57
	;;#ASMSTART
	v_cvt_f32_f16 v82, v57;
	;;#ASMEND
	v_lshrrev_b32_e32 v57, 16, v78
	v_and_b32_e32 v78, 0xffff, v78
	;;#ASMSTART
	v_cvt_f32_f16 v83, v83;
	;;#ASMEND
	;;#ASMSTART
	v_cvt_f32_f16 v78, v78;
	;;#ASMEND
	;; [unrolled: 3-line block ×3, first 2 shown]
	v_lshrrev_b32_e32 v57, 16, v58
	v_and_b32_e32 v58, 0xffff, v58
	;;#ASMSTART
	v_cvt_f32_f16 v85, v58;
	;;#ASMEND
	;;#ASMSTART
	v_cvt_f32_f16 v86, v57;
	;;#ASMEND
	v_lshrrev_b32_e32 v57, 16, v79
	v_and_b32_e32 v58, 0xffff, v79
	;;#ASMSTART
	v_cvt_f32_f16 v79, v58;
	;;#ASMEND
	;;#ASMSTART
	v_cvt_f32_f16 v87, v57;
	;;#ASMEND
	;; [unrolled: 8-line block ×5, first 2 shown]
	ds_read_b128 v[57:60], v70 offset:16
	s_waitcnt vmcnt(13)
	v_lshrrev_b32_e32 v94, 16, v53
	v_and_b32_e32 v53, 0xffff, v53
	s_waitcnt lgkmcnt(0)
	v_lshrrev_b32_e32 v93, 16, v57
	v_and_b32_e32 v57, 0xffff, v57
	;;#ASMSTART
	v_cvt_f32_f16 v57, v57;
	;;#ASMEND
	;;#ASMSTART
	v_cvt_f32_f16 v93, v93;
	;;#ASMEND
	;; [unrolled: 3-line block ×4, first 2 shown]
	v_mul_f32_e32 v53, v57, v53
	v_mul_f32_e32 v57, v93, v94
	v_fmac_f32_e32 v53, v77, v82
	v_fmac_f32_e32 v57, v81, v83
	v_lshrrev_b32_e32 v77, 16, v58
	v_and_b32_e32 v58, 0xffff, v58
	v_lshrrev_b32_e32 v81, 16, v54
	v_and_b32_e32 v54, 0xffff, v54
	;;#ASMSTART
	v_cvt_f32_f16 v58, v58;
	;;#ASMEND
	;;#ASMSTART
	v_cvt_f32_f16 v77, v77;
	;;#ASMEND
	;; [unrolled: 3-line block ×3, first 2 shown]
	v_mul_f32_e32 v54, v58, v54
	;;#ASMSTART
	v_cvt_f32_f16 v81, v81;
	;;#ASMEND
	v_mul_f32_e32 v58, v77, v81
	v_lshrrev_b32_e32 v77, 16, v59
	v_and_b32_e32 v59, 0xffff, v59
	v_fmac_f32_e32 v54, v78, v85
	v_lshrrev_b32_e32 v78, 16, v55
	v_and_b32_e32 v55, 0xffff, v55
	;;#ASMSTART
	v_cvt_f32_f16 v59, v59;
	;;#ASMEND
	;;#ASMSTART
	v_cvt_f32_f16 v77, v77;
	;;#ASMEND
	;; [unrolled: 3-line block ×4, first 2 shown]
	v_mul_f32_e32 v55, v59, v55
	v_mul_f32_e32 v59, v77, v78
	v_lshrrev_b32_e32 v77, 16, v60
	v_and_b32_e32 v60, 0xffff, v60
	v_lshrrev_b32_e32 v78, 16, v56
	v_and_b32_e32 v56, 0xffff, v56
	;;#ASMSTART
	v_cvt_f32_f16 v60, v60;
	;;#ASMEND
	;;#ASMSTART
	v_cvt_f32_f16 v77, v77;
	;;#ASMEND
	;; [unrolled: 3-line block ×3, first 2 shown]
	v_mul_f32_e32 v56, v60, v56
	;;#ASMSTART
	v_cvt_f32_f16 v78, v78;
	;;#ASMEND
	v_fmac_f32_e32 v55, v79, v88
	v_mul_f32_e32 v60, v77, v78
	v_fmac_f32_e32 v58, v84, v86
	v_fmac_f32_e32 v56, v80, v91
	ds_read_b128 v[77:80], v70 offset:32
	s_waitcnt vmcnt(12)
	v_lshrrev_b32_e32 v82, 16, v49
	v_and_b32_e32 v49, 0xffff, v49
	v_fmac_f32_e32 v59, v87, v89
	v_fmac_f32_e32 v60, v90, v92
	s_waitcnt lgkmcnt(0)
	v_lshrrev_b32_e32 v81, 16, v77
	v_and_b32_e32 v77, 0xffff, v77
	;;#ASMSTART
	v_cvt_f32_f16 v77, v77;
	;;#ASMEND
	;;#ASMSTART
	v_cvt_f32_f16 v81, v81;
	;;#ASMEND
	;; [unrolled: 3-line block ×3, first 2 shown]
	v_fmac_f32_e32 v53, v77, v49
	v_lshrrev_b32_e32 v77, 16, v78
	v_and_b32_e32 v49, 0xffff, v78
	v_lshrrev_b32_e32 v78, 16, v50
	v_and_b32_e32 v50, 0xffff, v50
	;;#ASMSTART
	v_cvt_f32_f16 v82, v82;
	;;#ASMEND
	;;#ASMSTART
	v_cvt_f32_f16 v49, v49;
	;;#ASMEND
	;;#ASMSTART
	v_cvt_f32_f16 v77, v77;
	;;#ASMEND
	;;#ASMSTART
	v_cvt_f32_f16 v50, v50;
	;;#ASMEND
	;;#ASMSTART
	v_cvt_f32_f16 v78, v78;
	;;#ASMEND
	v_fmac_f32_e32 v54, v49, v50
	v_fmac_f32_e32 v58, v77, v78
	v_lshrrev_b32_e32 v50, 16, v79
	v_and_b32_e32 v49, 0xffff, v79
	v_lshrrev_b32_e32 v77, 16, v51
	v_and_b32_e32 v51, 0xffff, v51
	;;#ASMSTART
	v_cvt_f32_f16 v49, v49;
	;;#ASMEND
	;;#ASMSTART
	v_cvt_f32_f16 v50, v50;
	;;#ASMEND
	;;#ASMSTART
	v_cvt_f32_f16 v51, v51;
	;;#ASMEND
	;;#ASMSTART
	v_cvt_f32_f16 v77, v77;
	;;#ASMEND
	v_fmac_f32_e32 v55, v49, v51
	v_fmac_f32_e32 v59, v50, v77
	v_lshrrev_b32_e32 v50, 16, v80
	v_and_b32_e32 v49, 0xffff, v80
	v_and_b32_e32 v51, 0xffff, v52
	;;#ASMSTART
	v_cvt_f32_f16 v49, v49;
	;;#ASMEND
	;;#ASMSTART
	v_cvt_f32_f16 v50, v50;
	;;#ASMEND
	v_lshrrev_b32_e32 v77, 16, v52
	;;#ASMSTART
	v_cvt_f32_f16 v51, v51;
	;;#ASMEND
	;;#ASMSTART
	v_cvt_f32_f16 v52, v77;
	;;#ASMEND
	v_fmac_f32_e32 v56, v49, v51
	v_fmac_f32_e32 v60, v50, v52
	ds_read_b128 v[49:52], v70 offset:48
	s_waitcnt vmcnt(11)
	v_lshrrev_b32_e32 v78, 16, v45
	v_and_b32_e32 v45, 0xffff, v45
	v_fmac_f32_e32 v57, v81, v82
	s_waitcnt lgkmcnt(0)
	v_lshrrev_b32_e32 v77, 16, v49
	v_and_b32_e32 v49, 0xffff, v49
	;;#ASMSTART
	v_cvt_f32_f16 v49, v49;
	;;#ASMEND
	;;#ASMSTART
	v_cvt_f32_f16 v77, v77;
	;;#ASMEND
	;; [unrolled: 3-line block ×3, first 2 shown]
	v_fmac_f32_e32 v53, v49, v45
	v_lshrrev_b32_e32 v49, 16, v50
	v_and_b32_e32 v45, 0xffff, v50
	v_lshrrev_b32_e32 v50, 16, v46
	v_and_b32_e32 v46, 0xffff, v46
	;;#ASMSTART
	v_cvt_f32_f16 v78, v78;
	;;#ASMEND
	;;#ASMSTART
	v_cvt_f32_f16 v45, v45;
	;;#ASMEND
	;; [unrolled: 3-line block ×5, first 2 shown]
	v_fmac_f32_e32 v54, v45, v46
	v_fmac_f32_e32 v58, v49, v50
	v_lshrrev_b32_e32 v46, 16, v51
	v_and_b32_e32 v45, 0xffff, v51
	v_lshrrev_b32_e32 v49, 16, v47
	v_and_b32_e32 v47, 0xffff, v47
	;;#ASMSTART
	v_cvt_f32_f16 v45, v45;
	;;#ASMEND
	;;#ASMSTART
	v_cvt_f32_f16 v46, v46;
	;;#ASMEND
	;; [unrolled: 3-line block ×4, first 2 shown]
	v_fmac_f32_e32 v55, v45, v47
	v_fmac_f32_e32 v59, v46, v49
	v_lshrrev_b32_e32 v46, 16, v52
	v_and_b32_e32 v45, 0xffff, v52
	v_and_b32_e32 v47, 0xffff, v48
	;;#ASMSTART
	v_cvt_f32_f16 v45, v45;
	;;#ASMEND
	;;#ASMSTART
	v_cvt_f32_f16 v46, v46;
	;;#ASMEND
	v_lshrrev_b32_e32 v49, 16, v48
	;;#ASMSTART
	v_cvt_f32_f16 v47, v47;
	;;#ASMEND
	;;#ASMSTART
	v_cvt_f32_f16 v48, v49;
	;;#ASMEND
	v_fmac_f32_e32 v56, v45, v47
	v_fmac_f32_e32 v60, v46, v48
	ds_read_b128 v[45:48], v70 offset:64
	s_waitcnt vmcnt(10)
	v_lshrrev_b32_e32 v50, 16, v41
	v_and_b32_e32 v41, 0xffff, v41
	v_fmac_f32_e32 v57, v77, v78
	s_waitcnt lgkmcnt(0)
	v_lshrrev_b32_e32 v49, 16, v45
	v_and_b32_e32 v45, 0xffff, v45
	;;#ASMSTART
	v_cvt_f32_f16 v45, v45;
	;;#ASMEND
	;;#ASMSTART
	v_cvt_f32_f16 v49, v49;
	;;#ASMEND
	;; [unrolled: 3-line block ×3, first 2 shown]
	v_fmac_f32_e32 v53, v45, v41
	v_lshrrev_b32_e32 v45, 16, v46
	v_and_b32_e32 v41, 0xffff, v46
	v_lshrrev_b32_e32 v46, 16, v42
	v_and_b32_e32 v42, 0xffff, v42
	;;#ASMSTART
	v_cvt_f32_f16 v50, v50;
	;;#ASMEND
	;;#ASMSTART
	v_cvt_f32_f16 v41, v41;
	;;#ASMEND
	;; [unrolled: 3-line block ×5, first 2 shown]
	v_fmac_f32_e32 v54, v41, v42
	v_fmac_f32_e32 v58, v45, v46
	v_lshrrev_b32_e32 v42, 16, v47
	v_and_b32_e32 v41, 0xffff, v47
	v_lshrrev_b32_e32 v45, 16, v43
	v_and_b32_e32 v43, 0xffff, v43
	;;#ASMSTART
	v_cvt_f32_f16 v41, v41;
	;;#ASMEND
	;;#ASMSTART
	v_cvt_f32_f16 v42, v42;
	;;#ASMEND
	;; [unrolled: 3-line block ×4, first 2 shown]
	v_fmac_f32_e32 v55, v41, v43
	v_fmac_f32_e32 v59, v42, v45
	v_lshrrev_b32_e32 v42, 16, v48
	v_and_b32_e32 v41, 0xffff, v48
	v_and_b32_e32 v43, 0xffff, v44
	;;#ASMSTART
	v_cvt_f32_f16 v41, v41;
	;;#ASMEND
	;;#ASMSTART
	v_cvt_f32_f16 v42, v42;
	;;#ASMEND
	v_lshrrev_b32_e32 v45, 16, v44
	;;#ASMSTART
	v_cvt_f32_f16 v43, v43;
	;;#ASMEND
	;;#ASMSTART
	v_cvt_f32_f16 v44, v45;
	;;#ASMEND
	v_fmac_f32_e32 v56, v41, v43
	v_fmac_f32_e32 v60, v42, v44
	ds_read_b128 v[41:44], v70 offset:80
	s_waitcnt vmcnt(9)
	v_lshrrev_b32_e32 v46, 16, v37
	v_and_b32_e32 v37, 0xffff, v37
	v_fmac_f32_e32 v57, v49, v50
	s_waitcnt lgkmcnt(0)
	v_lshrrev_b32_e32 v45, 16, v41
	v_and_b32_e32 v41, 0xffff, v41
	;;#ASMSTART
	v_cvt_f32_f16 v41, v41;
	;;#ASMEND
	;;#ASMSTART
	v_cvt_f32_f16 v45, v45;
	;;#ASMEND
	;; [unrolled: 3-line block ×3, first 2 shown]
	v_fmac_f32_e32 v53, v41, v37
	v_lshrrev_b32_e32 v41, 16, v42
	v_and_b32_e32 v37, 0xffff, v42
	v_lshrrev_b32_e32 v42, 16, v38
	v_and_b32_e32 v38, 0xffff, v38
	;;#ASMSTART
	v_cvt_f32_f16 v46, v46;
	;;#ASMEND
	;;#ASMSTART
	v_cvt_f32_f16 v37, v37;
	;;#ASMEND
	;;#ASMSTART
	v_cvt_f32_f16 v41, v41;
	;;#ASMEND
	;;#ASMSTART
	v_cvt_f32_f16 v38, v38;
	;;#ASMEND
	;;#ASMSTART
	v_cvt_f32_f16 v42, v42;
	;;#ASMEND
	v_fmac_f32_e32 v54, v37, v38
	v_fmac_f32_e32 v58, v41, v42
	v_lshrrev_b32_e32 v38, 16, v43
	v_and_b32_e32 v37, 0xffff, v43
	v_lshrrev_b32_e32 v41, 16, v39
	v_and_b32_e32 v39, 0xffff, v39
	;;#ASMSTART
	v_cvt_f32_f16 v37, v37;
	;;#ASMEND
	;;#ASMSTART
	v_cvt_f32_f16 v38, v38;
	;;#ASMEND
	;; [unrolled: 3-line block ×4, first 2 shown]
	v_fmac_f32_e32 v55, v37, v39
	v_fmac_f32_e32 v59, v38, v41
	v_lshrrev_b32_e32 v38, 16, v44
	v_and_b32_e32 v37, 0xffff, v44
	v_and_b32_e32 v39, 0xffff, v40
	;;#ASMSTART
	v_cvt_f32_f16 v37, v37;
	;;#ASMEND
	;;#ASMSTART
	v_cvt_f32_f16 v38, v38;
	;;#ASMEND
	v_lshrrev_b32_e32 v41, 16, v40
	;;#ASMSTART
	v_cvt_f32_f16 v39, v39;
	;;#ASMEND
	;;#ASMSTART
	v_cvt_f32_f16 v40, v41;
	;;#ASMEND
	v_fmac_f32_e32 v56, v37, v39
	v_fmac_f32_e32 v60, v38, v40
	ds_read_b128 v[37:40], v70 offset:96
	s_waitcnt vmcnt(8)
	v_lshrrev_b32_e32 v42, 16, v33
	v_and_b32_e32 v33, 0xffff, v33
	v_fmac_f32_e32 v57, v45, v46
	s_waitcnt lgkmcnt(0)
	v_lshrrev_b32_e32 v41, 16, v37
	v_and_b32_e32 v37, 0xffff, v37
	;;#ASMSTART
	v_cvt_f32_f16 v37, v37;
	;;#ASMEND
	;;#ASMSTART
	v_cvt_f32_f16 v41, v41;
	;;#ASMEND
	;; [unrolled: 3-line block ×3, first 2 shown]
	v_fmac_f32_e32 v53, v37, v33
	v_lshrrev_b32_e32 v37, 16, v38
	v_and_b32_e32 v33, 0xffff, v38
	v_lshrrev_b32_e32 v38, 16, v34
	v_and_b32_e32 v34, 0xffff, v34
	;;#ASMSTART
	v_cvt_f32_f16 v42, v42;
	;;#ASMEND
	;;#ASMSTART
	v_cvt_f32_f16 v33, v33;
	;;#ASMEND
	;; [unrolled: 3-line block ×5, first 2 shown]
	v_fmac_f32_e32 v54, v33, v34
	v_fmac_f32_e32 v58, v37, v38
	v_lshrrev_b32_e32 v34, 16, v39
	v_and_b32_e32 v33, 0xffff, v39
	v_lshrrev_b32_e32 v37, 16, v35
	v_and_b32_e32 v35, 0xffff, v35
	;;#ASMSTART
	v_cvt_f32_f16 v33, v33;
	;;#ASMEND
	;;#ASMSTART
	v_cvt_f32_f16 v34, v34;
	;;#ASMEND
	;; [unrolled: 3-line block ×4, first 2 shown]
	v_fmac_f32_e32 v55, v33, v35
	v_fmac_f32_e32 v59, v34, v37
	v_lshrrev_b32_e32 v34, 16, v40
	v_and_b32_e32 v33, 0xffff, v40
	v_and_b32_e32 v35, 0xffff, v36
	;;#ASMSTART
	v_cvt_f32_f16 v33, v33;
	;;#ASMEND
	;;#ASMSTART
	v_cvt_f32_f16 v34, v34;
	;;#ASMEND
	v_lshrrev_b32_e32 v37, 16, v36
	;;#ASMSTART
	v_cvt_f32_f16 v35, v35;
	;;#ASMEND
	;;#ASMSTART
	v_cvt_f32_f16 v36, v37;
	;;#ASMEND
	v_fmac_f32_e32 v56, v33, v35
	v_fmac_f32_e32 v60, v34, v36
	ds_read_b128 v[33:36], v70 offset:112
	s_waitcnt vmcnt(7)
	v_lshrrev_b32_e32 v38, 16, v29
	v_and_b32_e32 v29, 0xffff, v29
	v_fmac_f32_e32 v57, v41, v42
	s_waitcnt lgkmcnt(0)
	v_lshrrev_b32_e32 v37, 16, v33
	v_and_b32_e32 v33, 0xffff, v33
	;;#ASMSTART
	v_cvt_f32_f16 v33, v33;
	;;#ASMEND
	;;#ASMSTART
	v_cvt_f32_f16 v37, v37;
	;;#ASMEND
	;; [unrolled: 3-line block ×3, first 2 shown]
	v_fmac_f32_e32 v53, v33, v29
	v_lshrrev_b32_e32 v33, 16, v34
	v_and_b32_e32 v29, 0xffff, v34
	v_lshrrev_b32_e32 v34, 16, v30
	v_and_b32_e32 v30, 0xffff, v30
	;;#ASMSTART
	v_cvt_f32_f16 v38, v38;
	;;#ASMEND
	;;#ASMSTART
	v_cvt_f32_f16 v29, v29;
	;;#ASMEND
	;; [unrolled: 3-line block ×5, first 2 shown]
	v_fmac_f32_e32 v54, v29, v30
	v_fmac_f32_e32 v58, v33, v34
	v_lshrrev_b32_e32 v30, 16, v35
	v_and_b32_e32 v29, 0xffff, v35
	v_lshrrev_b32_e32 v33, 16, v31
	v_and_b32_e32 v31, 0xffff, v31
	;;#ASMSTART
	v_cvt_f32_f16 v29, v29;
	;;#ASMEND
	;;#ASMSTART
	v_cvt_f32_f16 v30, v30;
	;;#ASMEND
	;; [unrolled: 3-line block ×4, first 2 shown]
	v_fmac_f32_e32 v55, v29, v31
	v_fmac_f32_e32 v59, v30, v33
	v_lshrrev_b32_e32 v30, 16, v36
	v_and_b32_e32 v29, 0xffff, v36
	v_and_b32_e32 v31, 0xffff, v32
	;;#ASMSTART
	v_cvt_f32_f16 v29, v29;
	;;#ASMEND
	;;#ASMSTART
	v_cvt_f32_f16 v30, v30;
	;;#ASMEND
	v_lshrrev_b32_e32 v33, 16, v32
	;;#ASMSTART
	v_cvt_f32_f16 v31, v31;
	;;#ASMEND
	;;#ASMSTART
	v_cvt_f32_f16 v32, v33;
	;;#ASMEND
	v_fmac_f32_e32 v56, v29, v31
	v_fmac_f32_e32 v60, v30, v32
	ds_read_b128 v[29:32], v70 offset:128
	s_waitcnt vmcnt(6)
	v_lshrrev_b32_e32 v34, 16, v25
	v_and_b32_e32 v25, 0xffff, v25
	v_fmac_f32_e32 v57, v37, v38
	s_waitcnt lgkmcnt(0)
	v_lshrrev_b32_e32 v33, 16, v29
	v_and_b32_e32 v29, 0xffff, v29
	;;#ASMSTART
	v_cvt_f32_f16 v29, v29;
	;;#ASMEND
	;;#ASMSTART
	v_cvt_f32_f16 v33, v33;
	;;#ASMEND
	;; [unrolled: 3-line block ×3, first 2 shown]
	v_fmac_f32_e32 v53, v29, v25
	v_lshrrev_b32_e32 v29, 16, v30
	v_and_b32_e32 v25, 0xffff, v30
	v_lshrrev_b32_e32 v30, 16, v26
	v_and_b32_e32 v26, 0xffff, v26
	;;#ASMSTART
	v_cvt_f32_f16 v34, v34;
	;;#ASMEND
	;;#ASMSTART
	v_cvt_f32_f16 v25, v25;
	;;#ASMEND
	;; [unrolled: 3-line block ×5, first 2 shown]
	v_fmac_f32_e32 v54, v25, v26
	v_fmac_f32_e32 v58, v29, v30
	v_lshrrev_b32_e32 v26, 16, v31
	v_and_b32_e32 v25, 0xffff, v31
	v_lshrrev_b32_e32 v29, 16, v27
	v_and_b32_e32 v27, 0xffff, v27
	;;#ASMSTART
	v_cvt_f32_f16 v25, v25;
	;;#ASMEND
	;;#ASMSTART
	v_cvt_f32_f16 v26, v26;
	;;#ASMEND
	;; [unrolled: 3-line block ×4, first 2 shown]
	v_fmac_f32_e32 v55, v25, v27
	v_fmac_f32_e32 v59, v26, v29
	v_lshrrev_b32_e32 v26, 16, v32
	v_and_b32_e32 v25, 0xffff, v32
	v_and_b32_e32 v27, 0xffff, v28
	;;#ASMSTART
	v_cvt_f32_f16 v25, v25;
	;;#ASMEND
	;;#ASMSTART
	v_cvt_f32_f16 v26, v26;
	;;#ASMEND
	v_lshrrev_b32_e32 v29, 16, v28
	;;#ASMSTART
	v_cvt_f32_f16 v27, v27;
	;;#ASMEND
	;;#ASMSTART
	v_cvt_f32_f16 v28, v29;
	;;#ASMEND
	v_fmac_f32_e32 v56, v25, v27
	v_fmac_f32_e32 v60, v26, v28
	ds_read_b128 v[25:28], v70 offset:144
	s_waitcnt vmcnt(5)
	v_lshrrev_b32_e32 v30, 16, v21
	v_and_b32_e32 v21, 0xffff, v21
	v_fmac_f32_e32 v57, v33, v34
	s_waitcnt lgkmcnt(0)
	v_lshrrev_b32_e32 v29, 16, v25
	v_and_b32_e32 v25, 0xffff, v25
	;;#ASMSTART
	v_cvt_f32_f16 v25, v25;
	;;#ASMEND
	;;#ASMSTART
	v_cvt_f32_f16 v29, v29;
	;;#ASMEND
	;; [unrolled: 3-line block ×3, first 2 shown]
	v_fmac_f32_e32 v53, v25, v21
	v_lshrrev_b32_e32 v25, 16, v26
	v_and_b32_e32 v21, 0xffff, v26
	v_lshrrev_b32_e32 v26, 16, v22
	v_and_b32_e32 v22, 0xffff, v22
	;;#ASMSTART
	v_cvt_f32_f16 v30, v30;
	;;#ASMEND
	;;#ASMSTART
	v_cvt_f32_f16 v21, v21;
	;;#ASMEND
	;; [unrolled: 3-line block ×5, first 2 shown]
	v_fmac_f32_e32 v54, v21, v22
	v_fmac_f32_e32 v58, v25, v26
	v_lshrrev_b32_e32 v22, 16, v27
	v_and_b32_e32 v21, 0xffff, v27
	v_lshrrev_b32_e32 v25, 16, v23
	v_and_b32_e32 v23, 0xffff, v23
	;;#ASMSTART
	v_cvt_f32_f16 v21, v21;
	;;#ASMEND
	;;#ASMSTART
	v_cvt_f32_f16 v22, v22;
	;;#ASMEND
	;; [unrolled: 3-line block ×4, first 2 shown]
	v_fmac_f32_e32 v55, v21, v23
	v_fmac_f32_e32 v59, v22, v25
	v_lshrrev_b32_e32 v22, 16, v28
	v_and_b32_e32 v21, 0xffff, v28
	v_and_b32_e32 v23, 0xffff, v24
	;;#ASMSTART
	v_cvt_f32_f16 v21, v21;
	;;#ASMEND
	;;#ASMSTART
	v_cvt_f32_f16 v22, v22;
	;;#ASMEND
	v_lshrrev_b32_e32 v25, 16, v24
	;;#ASMSTART
	v_cvt_f32_f16 v23, v23;
	;;#ASMEND
	;;#ASMSTART
	v_cvt_f32_f16 v24, v25;
	;;#ASMEND
	v_fmac_f32_e32 v56, v21, v23
	v_fmac_f32_e32 v60, v22, v24
	ds_read_b128 v[21:24], v70 offset:160
	s_waitcnt vmcnt(4)
	v_lshrrev_b32_e32 v26, 16, v17
	v_and_b32_e32 v17, 0xffff, v17
	v_fmac_f32_e32 v57, v29, v30
	s_waitcnt lgkmcnt(0)
	v_lshrrev_b32_e32 v25, 16, v21
	v_and_b32_e32 v21, 0xffff, v21
	;;#ASMSTART
	v_cvt_f32_f16 v21, v21;
	;;#ASMEND
	;;#ASMSTART
	v_cvt_f32_f16 v25, v25;
	;;#ASMEND
	;; [unrolled: 3-line block ×3, first 2 shown]
	v_fmac_f32_e32 v53, v21, v17
	v_lshrrev_b32_e32 v21, 16, v22
	v_and_b32_e32 v17, 0xffff, v22
	v_lshrrev_b32_e32 v22, 16, v18
	v_and_b32_e32 v18, 0xffff, v18
	;;#ASMSTART
	v_cvt_f32_f16 v26, v26;
	;;#ASMEND
	;;#ASMSTART
	v_cvt_f32_f16 v17, v17;
	;;#ASMEND
	;; [unrolled: 3-line block ×5, first 2 shown]
	v_fmac_f32_e32 v54, v17, v18
	v_fmac_f32_e32 v58, v21, v22
	v_lshrrev_b32_e32 v18, 16, v23
	v_and_b32_e32 v17, 0xffff, v23
	v_lshrrev_b32_e32 v21, 16, v19
	v_and_b32_e32 v19, 0xffff, v19
	;;#ASMSTART
	v_cvt_f32_f16 v17, v17;
	;;#ASMEND
	;;#ASMSTART
	v_cvt_f32_f16 v18, v18;
	;;#ASMEND
	;; [unrolled: 3-line block ×4, first 2 shown]
	v_fmac_f32_e32 v55, v17, v19
	v_fmac_f32_e32 v59, v18, v21
	v_lshrrev_b32_e32 v18, 16, v24
	v_and_b32_e32 v17, 0xffff, v24
	v_and_b32_e32 v19, 0xffff, v20
	;;#ASMSTART
	v_cvt_f32_f16 v17, v17;
	;;#ASMEND
	;;#ASMSTART
	v_cvt_f32_f16 v18, v18;
	;;#ASMEND
	v_lshrrev_b32_e32 v21, 16, v20
	;;#ASMSTART
	v_cvt_f32_f16 v19, v19;
	;;#ASMEND
	;;#ASMSTART
	v_cvt_f32_f16 v20, v21;
	;;#ASMEND
	v_fmac_f32_e32 v56, v17, v19
	v_fmac_f32_e32 v60, v18, v20
	ds_read_b128 v[17:20], v70 offset:176
	s_waitcnt vmcnt(3)
	v_lshrrev_b32_e32 v22, 16, v13
	v_and_b32_e32 v13, 0xffff, v13
	v_fmac_f32_e32 v57, v25, v26
	s_waitcnt lgkmcnt(0)
	v_lshrrev_b32_e32 v21, 16, v17
	v_and_b32_e32 v17, 0xffff, v17
	;;#ASMSTART
	v_cvt_f32_f16 v17, v17;
	;;#ASMEND
	;;#ASMSTART
	v_cvt_f32_f16 v21, v21;
	;;#ASMEND
	;; [unrolled: 3-line block ×3, first 2 shown]
	v_fmac_f32_e32 v53, v17, v13
	v_lshrrev_b32_e32 v17, 16, v18
	v_and_b32_e32 v13, 0xffff, v18
	v_lshrrev_b32_e32 v18, 16, v14
	v_and_b32_e32 v14, 0xffff, v14
	;;#ASMSTART
	v_cvt_f32_f16 v22, v22;
	;;#ASMEND
	;;#ASMSTART
	v_cvt_f32_f16 v13, v13;
	;;#ASMEND
	;; [unrolled: 3-line block ×5, first 2 shown]
	v_fmac_f32_e32 v54, v13, v14
	v_fmac_f32_e32 v58, v17, v18
	v_lshrrev_b32_e32 v14, 16, v19
	v_and_b32_e32 v13, 0xffff, v19
	v_lshrrev_b32_e32 v17, 16, v15
	v_and_b32_e32 v15, 0xffff, v15
	;;#ASMSTART
	v_cvt_f32_f16 v13, v13;
	;;#ASMEND
	;;#ASMSTART
	v_cvt_f32_f16 v14, v14;
	;;#ASMEND
	;; [unrolled: 3-line block ×4, first 2 shown]
	v_fmac_f32_e32 v55, v13, v15
	v_fmac_f32_e32 v59, v14, v17
	v_lshrrev_b32_e32 v14, 16, v20
	v_and_b32_e32 v13, 0xffff, v20
	v_and_b32_e32 v15, 0xffff, v16
	;;#ASMSTART
	v_cvt_f32_f16 v13, v13;
	;;#ASMEND
	;;#ASMSTART
	v_cvt_f32_f16 v14, v14;
	;;#ASMEND
	v_lshrrev_b32_e32 v17, 16, v16
	;;#ASMSTART
	v_cvt_f32_f16 v15, v15;
	;;#ASMEND
	;;#ASMSTART
	v_cvt_f32_f16 v16, v17;
	;;#ASMEND
	v_fmac_f32_e32 v56, v13, v15
	v_fmac_f32_e32 v60, v14, v16
	ds_read_b128 v[13:16], v70 offset:192
	s_waitcnt vmcnt(2)
	v_lshrrev_b32_e32 v18, 16, v9
	v_and_b32_e32 v9, 0xffff, v9
	v_fmac_f32_e32 v57, v21, v22
	s_waitcnt lgkmcnt(0)
	v_lshrrev_b32_e32 v17, 16, v13
	v_and_b32_e32 v13, 0xffff, v13
	;;#ASMSTART
	v_cvt_f32_f16 v13, v13;
	;;#ASMEND
	;;#ASMSTART
	v_cvt_f32_f16 v17, v17;
	;;#ASMEND
	;; [unrolled: 3-line block ×3, first 2 shown]
	v_fmac_f32_e32 v53, v13, v9
	v_lshrrev_b32_e32 v13, 16, v14
	v_and_b32_e32 v9, 0xffff, v14
	v_lshrrev_b32_e32 v14, 16, v10
	v_and_b32_e32 v10, 0xffff, v10
	;;#ASMSTART
	v_cvt_f32_f16 v18, v18;
	;;#ASMEND
	;;#ASMSTART
	v_cvt_f32_f16 v9, v9;
	;;#ASMEND
	;; [unrolled: 3-line block ×5, first 2 shown]
	v_fmac_f32_e32 v54, v9, v10
	v_fmac_f32_e32 v58, v13, v14
	v_lshrrev_b32_e32 v10, 16, v15
	v_and_b32_e32 v9, 0xffff, v15
	v_lshrrev_b32_e32 v13, 16, v11
	v_and_b32_e32 v11, 0xffff, v11
	;;#ASMSTART
	v_cvt_f32_f16 v9, v9;
	;;#ASMEND
	;;#ASMSTART
	v_cvt_f32_f16 v10, v10;
	;;#ASMEND
	;; [unrolled: 3-line block ×4, first 2 shown]
	v_fmac_f32_e32 v55, v9, v11
	v_fmac_f32_e32 v59, v10, v13
	v_lshrrev_b32_e32 v10, 16, v16
	v_and_b32_e32 v9, 0xffff, v16
	v_and_b32_e32 v11, 0xffff, v12
	;;#ASMSTART
	v_cvt_f32_f16 v9, v9;
	;;#ASMEND
	;;#ASMSTART
	v_cvt_f32_f16 v10, v10;
	;;#ASMEND
	v_lshrrev_b32_e32 v13, 16, v12
	;;#ASMSTART
	v_cvt_f32_f16 v11, v11;
	;;#ASMEND
	;;#ASMSTART
	v_cvt_f32_f16 v12, v13;
	;;#ASMEND
	v_fmac_f32_e32 v56, v9, v11
	v_fmac_f32_e32 v60, v10, v12
	ds_read_b128 v[9:12], v70 offset:208
	s_waitcnt vmcnt(1)
	v_lshrrev_b32_e32 v14, 16, v5
	v_and_b32_e32 v5, 0xffff, v5
	v_fmac_f32_e32 v57, v17, v18
	s_waitcnt lgkmcnt(0)
	v_lshrrev_b32_e32 v13, 16, v9
	v_and_b32_e32 v9, 0xffff, v9
	;;#ASMSTART
	v_cvt_f32_f16 v9, v9;
	;;#ASMEND
	;;#ASMSTART
	v_cvt_f32_f16 v13, v13;
	;;#ASMEND
	;; [unrolled: 3-line block ×3, first 2 shown]
	v_fmac_f32_e32 v53, v9, v5
	v_lshrrev_b32_e32 v9, 16, v10
	v_and_b32_e32 v5, 0xffff, v10
	v_lshrrev_b32_e32 v10, 16, v6
	v_and_b32_e32 v6, 0xffff, v6
	;;#ASMSTART
	v_cvt_f32_f16 v14, v14;
	;;#ASMEND
	;;#ASMSTART
	v_cvt_f32_f16 v5, v5;
	;;#ASMEND
	;; [unrolled: 3-line block ×5, first 2 shown]
	v_fmac_f32_e32 v54, v5, v6
	v_fmac_f32_e32 v58, v9, v10
	v_lshrrev_b32_e32 v6, 16, v11
	v_and_b32_e32 v5, 0xffff, v11
	v_lshrrev_b32_e32 v9, 16, v7
	v_and_b32_e32 v7, 0xffff, v7
	;;#ASMSTART
	v_cvt_f32_f16 v5, v5;
	;;#ASMEND
	;;#ASMSTART
	v_cvt_f32_f16 v6, v6;
	;;#ASMEND
	;; [unrolled: 3-line block ×4, first 2 shown]
	v_fmac_f32_e32 v55, v5, v7
	v_fmac_f32_e32 v59, v6, v9
	v_lshrrev_b32_e32 v6, 16, v12
	v_and_b32_e32 v5, 0xffff, v12
	v_and_b32_e32 v7, 0xffff, v8
	;;#ASMSTART
	v_cvt_f32_f16 v5, v5;
	;;#ASMEND
	;;#ASMSTART
	v_cvt_f32_f16 v6, v6;
	;;#ASMEND
	v_lshrrev_b32_e32 v9, 16, v8
	;;#ASMSTART
	v_cvt_f32_f16 v7, v7;
	;;#ASMEND
	;;#ASMSTART
	v_cvt_f32_f16 v8, v9;
	;;#ASMEND
	v_fmac_f32_e32 v56, v5, v7
	v_fmac_f32_e32 v60, v6, v8
	ds_read_b128 v[5:8], v70 offset:224
	v_fmac_f32_e32 v57, v13, v14
	s_waitcnt vmcnt(0)
	v_lshrrev_b32_e32 v10, 16, v1
	v_and_b32_e32 v1, 0xffff, v1
	s_waitcnt lgkmcnt(0)
	v_lshrrev_b32_e32 v9, 16, v5
	v_and_b32_e32 v5, 0xffff, v5
	;;#ASMSTART
	v_cvt_f32_f16 v5, v5;
	;;#ASMEND
	;;#ASMSTART
	v_cvt_f32_f16 v9, v9;
	;;#ASMEND
	;; [unrolled: 3-line block ×3, first 2 shown]
	v_fmac_f32_e32 v53, v5, v1
	v_and_b32_e32 v1, 0xffff, v6
	;;#ASMSTART
	v_cvt_f32_f16 v10, v10;
	;;#ASMEND
	v_fmac_f32_e32 v57, v9, v10
	v_lshrrev_b32_e32 v5, 16, v6
	;;#ASMSTART
	v_cvt_f32_f16 v1, v1;
	;;#ASMEND
	v_lshrrev_b32_e32 v6, 16, v2
	v_and_b32_e32 v2, 0xffff, v2
	;;#ASMSTART
	v_cvt_f32_f16 v5, v5;
	;;#ASMEND
	;;#ASMSTART
	v_cvt_f32_f16 v2, v2;
	;;#ASMEND
	v_fmac_f32_e32 v54, v1, v2
	v_and_b32_e32 v1, 0xffff, v7
	;;#ASMSTART
	v_cvt_f32_f16 v6, v6;
	;;#ASMEND
	v_fmac_f32_e32 v58, v5, v6
	v_lshrrev_b32_e32 v2, 16, v7
	;;#ASMSTART
	v_cvt_f32_f16 v1, v1;
	;;#ASMEND
	v_lshrrev_b32_e32 v5, 16, v3
	v_and_b32_e32 v3, 0xffff, v3
	;;#ASMSTART
	v_cvt_f32_f16 v2, v2;
	;;#ASMEND
	;;#ASMSTART
	v_cvt_f32_f16 v3, v3;
	;;#ASMEND
	v_fmac_f32_e32 v55, v1, v3
	v_and_b32_e32 v1, 0xffff, v8
	;;#ASMSTART
	v_cvt_f32_f16 v5, v5;
	;;#ASMEND
	v_fmac_f32_e32 v59, v2, v5
	v_lshrrev_b32_e32 v2, 16, v8
	;;#ASMSTART
	v_cvt_f32_f16 v1, v1;
	;;#ASMEND
	v_and_b32_e32 v3, 0xffff, v4
	;;#ASMSTART
	v_cvt_f32_f16 v2, v2;
	;;#ASMEND
	;;#ASMSTART
	v_cvt_f32_f16 v3, v3;
	;;#ASMEND
	v_fmac_f32_e32 v56, v1, v3
	v_add_f32_e32 v1, v53, v57
	v_lshrrev_b32_e32 v5, 16, v4
	;;#ASMSTART
	v_cvt_f32_f16 v4, v5;
	;;#ASMEND
	v_fmac_f32_e32 v60, v2, v4
	v_add_f32_e32 v1, v1, v54
	v_add_f32_e32 v1, v58, v1
	;; [unrolled: 1-line block ×6, first 2 shown]
	v_fmac_f32_e32 v76, s3, v1
	v_cndmask_b32_e64 v1, 0, v76, s1
	ds_write_b32 v72, v1
	v_max_f32_e32 v1, v69, v69
	v_add_nc_u32_e32 v72, 0x200, v72
	v_max_f32_e32 v1, v1, v76
	v_cndmask_b32_e64 v69, v69, v1, s1
	v_add_co_u32 v63, s1, v63, 16
	v_add_co_ci_u32_e64 v64, null, 0, v64, s1
	v_cmp_le_i32_e64 s1, s11, v75
	s_or_b32 s5, s1, s5
	s_andn2_b32 exec_lo, exec_lo, s5
	s_cbranch_execnz .LBB122_7
; %bb.8:
	s_or_b32 exec_lo, exec_lo, s5
.LBB122_9:
	s_or_b32 exec_lo, exec_lo, s33
	v_mbcnt_lo_u32_b32 v1, -1, 0
	v_max_f32_e32 v5, v69, v69
	v_xor_b32_e32 v2, 16, v1
	v_xor_b32_e32 v4, 8, v1
	v_cmp_gt_i32_e32 vcc_lo, 32, v2
	v_cndmask_b32_e32 v2, v1, v2, vcc_lo
	v_cmp_gt_i32_e32 vcc_lo, 32, v4
	v_lshlrev_b32_e32 v2, 2, v2
	v_cndmask_b32_e32 v4, v1, v4, vcc_lo
	ds_bpermute_b32 v3, v2, v69
	s_waitcnt lgkmcnt(0)
	v_max_f32_e32 v6, v3, v3
	v_lshlrev_b32_e32 v3, 2, v4
	v_max_f32_e32 v4, v5, v6
	v_xor_b32_e32 v6, 4, v1
	ds_bpermute_b32 v5, v3, v4
	v_cmp_gt_i32_e32 vcc_lo, 32, v6
	v_cndmask_b32_e32 v6, v1, v6, vcc_lo
	s_waitcnt lgkmcnt(0)
	v_max_f32_e32 v7, v5, v5
	v_lshlrev_b32_e32 v5, 2, v6
	v_max_f32_e32 v4, v4, v7
	v_xor_b32_e32 v7, 2, v1
	ds_bpermute_b32 v6, v5, v4
	v_cmp_gt_i32_e32 vcc_lo, 32, v7
	v_cndmask_b32_e32 v7, v1, v7, vcc_lo
	v_lshlrev_b32_e32 v12, 2, v7
	v_xor_b32_e32 v7, 1, v1
	v_cmp_gt_i32_e32 vcc_lo, 32, v7
	s_waitcnt lgkmcnt(0)
	v_max_f32_e32 v6, v6, v6
	v_cndmask_b32_e32 v7, v1, v7, vcc_lo
	v_cmp_eq_u32_e32 vcc_lo, 0, v66
	v_max_f32_e32 v4, v4, v6
	v_lshlrev_b32_e32 v11, 2, v7
	ds_bpermute_b32 v6, v12, v4
	s_waitcnt lgkmcnt(0)
	v_max_f32_e32 v6, v6, v6
	v_max_f32_e32 v1, v4, v6
	v_lshlrev_b32_e32 v6, 2, v65
	ds_bpermute_b32 v4, v11, v1
	s_and_saveexec_b32 s1, vcc_lo
	s_cbranch_execz .LBB122_11
; %bb.10:
	s_waitcnt lgkmcnt(0)
	v_max_f32_e32 v4, v4, v4
	v_max_f32_e32 v1, v1, v1
	;; [unrolled: 1-line block ×3, first 2 shown]
	ds_write_b32 v6, v1 offset:240
.LBB122_11:
	s_or_b32 exec_lo, exec_lo, s1
	v_cmp_gt_u32_e64 s1, 4, v66
	v_mov_b32_e32 v1, 0xff7fffff
	s_waitcnt lgkmcnt(0)
	s_barrier
	buffer_gl0_inv
	s_and_saveexec_b32 s3, s1
; %bb.12:
	ds_read_b32 v1, v68 offset:240
; %bb.13:
	s_or_b32 exec_lo, exec_lo, s3
	s_waitcnt lgkmcnt(0)
	ds_bpermute_b32 v4, v12, v1
	v_max_f32_e32 v1, v1, v1
	v_mov_b32_e32 v7, 0
	s_sub_i32 s2, s11, s2
	s_lshl_b32 s2, s2, 5
	s_add_i32 s2, s2, s30
	s_min_i32 s2, s2, s25
	s_sub_i32 s4, s2, s30
	v_cmp_gt_i32_e64 s2, s4, v0
	s_waitcnt lgkmcnt(0)
	v_max_f32_e32 v4, v4, v4
	v_max_f32_e32 v1, v1, v4
	ds_bpermute_b32 v4, v11, v1
	s_waitcnt lgkmcnt(0)
	v_max_f32_e32 v4, v4, v4
	v_max_f32_e32 v1, v1, v4
	v_lshl_add_u32 v4, v0, 2, 0x110
	ds_bpermute_b32 v1, v7, v1
	s_and_saveexec_b32 s5, s2
	s_cbranch_execz .LBB122_17
; %bb.14:
	v_lshl_add_u32 v8, v0, 2, 0x110
	v_mov_b32_e32 v7, 0
	v_mov_b32_e32 v9, v0
	s_mov_b32 s15, 0
	.p2align	6
.LBB122_15:                             ; =>This Inner Loop Header: Depth=1
	ds_read_b32 v10, v8
	v_add_nc_u32_e32 v9, 0x80, v9
	v_cmp_le_i32_e64 s3, s4, v9
	s_or_b32 s15, s3, s15
	s_waitcnt lgkmcnt(0)
	v_sub_f32_e32 v10, v10, v1
	v_mul_f32_e32 v10, 0x3fb8aa3b, v10
	v_exp_f32_e32 v10, v10
	ds_write_b32 v8, v10
	v_add_f32_e32 v7, v7, v10
	v_add_nc_u32_e32 v8, 0x200, v8
	s_andn2_b32 exec_lo, exec_lo, s15
	s_cbranch_execnz .LBB122_15
; %bb.16:
	s_or_b32 exec_lo, exec_lo, s15
.LBB122_17:
	s_or_b32 exec_lo, exec_lo, s5
	ds_bpermute_b32 v2, v2, v7
	s_waitcnt lgkmcnt(0)
	v_add_f32_e32 v2, v7, v2
	ds_bpermute_b32 v3, v3, v2
	s_waitcnt lgkmcnt(0)
	v_add_f32_e32 v2, v2, v3
	;; [unrolled: 3-line block ×5, first 2 shown]
	s_and_saveexec_b32 s3, vcc_lo
; %bb.18:
	ds_write_b32 v6, v2 offset:256
; %bb.19:
	s_or_b32 exec_lo, exec_lo, s3
	s_waitcnt lgkmcnt(0)
	s_barrier
	buffer_gl0_inv
	s_and_saveexec_b32 s3, s1
; %bb.20:
	ds_read_b32 v2, v68 offset:256
; %bb.21:
	s_or_b32 exec_lo, exec_lo, s3
	s_waitcnt lgkmcnt(0)
	ds_bpermute_b32 v3, v12, v2
	s_waitcnt lgkmcnt(0)
	v_add_f32_e32 v2, v2, v3
	ds_bpermute_b32 v3, v11, v2
	s_waitcnt lgkmcnt(0)
	v_add_f32_e32 v2, v2, v3
	v_mov_b32_e32 v3, 0
	ds_bpermute_b32 v2, v3, v2
	s_and_saveexec_b32 s1, s2
	s_cbranch_execz .LBB122_24
; %bb.22:
	s_waitcnt lgkmcnt(0)
	v_add_f32_e32 v3, 0x358637bd, v2
	s_mov_b32 s2, 0
	v_div_scale_f32 v5, null, v3, v3, 1.0
	v_div_scale_f32 v8, vcc_lo, 1.0, v3, 1.0
	v_rcp_f32_e32 v6, v5
	v_fma_f32 v7, -v5, v6, 1.0
	v_fmac_f32_e32 v6, v7, v6
	v_mul_f32_e32 v7, v8, v6
	v_fma_f32 v9, -v5, v7, v8
	v_fmac_f32_e32 v7, v9, v6
	v_fma_f32 v5, -v5, v7, v8
	v_div_fmas_f32 v5, v5, v6, v7
	v_div_fixup_f32 v3, v5, v3, 1.0
	v_mov_b32_e32 v5, v0
.LBB122_23:                             ; =>This Inner Loop Header: Depth=1
	ds_read_b32 v6, v4
	v_add_nc_u32_e32 v5, 0x80, v5
	v_cmp_le_i32_e32 vcc_lo, s4, v5
	s_or_b32 s2, vcc_lo, s2
	s_waitcnt lgkmcnt(0)
	v_mul_f32_e32 v6, v3, v6
	ds_write_b32 v4, v6
	v_add_nc_u32_e32 v4, 0x200, v4
	s_andn2_b32 exec_lo, exec_lo, s2
	s_cbranch_execnz .LBB122_23
.LBB122_24:
	s_or_b32 exec_lo, exec_lo, s1
	s_mul_i32 s1, s7, s24
	s_waitcnt lgkmcnt(0)
	s_mul_i32 s2, s1, s9
	s_mov_b32 s1, exec_lo
	s_barrier
	buffer_gl0_inv
	v_cmpx_eq_u32_e32 0, v0
	s_cbranch_execz .LBB122_26
; %bb.25:
	s_ashr_i32 s3, s2, 31
	s_mul_i32 s34, s7, s6
	s_lshl_b64 s[4:5], s[2:3], 2
	v_mov_b32_e32 v3, 0
	s_add_u32 s3, s18, s4
	s_addc_u32 s6, s19, s5
	s_ashr_i32 s35, s34, 31
	s_lshl_b64 s[18:19], s[34:35], 2
	s_add_u32 s3, s3, s18
	s_addc_u32 s6, s6, s19
	s_ashr_i32 s9, s8, 31
	s_lshl_b64 s[34:35], s[8:9], 2
	s_add_u32 s36, s3, s34
	s_addc_u32 s37, s6, s35
	s_add_u32 s3, s16, s4
	s_addc_u32 s4, s17, s5
	;; [unrolled: 2-line block ×4, first 2 shown]
	global_store_dword v3, v1, s[36:37]
	global_store_dword v3, v2, s[4:5]
.LBB122_26:
	s_or_b32 exec_lo, exec_lo, s1
	v_mov_b32_e32 v26, 0
	v_and_b32_e32 v13, 3, v0
	v_mov_b32_e32 v28, 0
	v_mov_b32_e32 v27, 0
	v_mov_b32_e32 v25, 0
	v_mov_b32_e32 v24, 0
	v_mov_b32_e32 v23, 0
	v_mov_b32_e32 v22, 0
	v_mov_b32_e32 v21, 0
	v_mov_b32_e32 v20, 0
	v_mov_b32_e32 v19, 0
	v_mov_b32_e32 v18, 0
	v_mov_b32_e32 v17, 0
	v_mov_b32_e32 v16, 0
	v_mov_b32_e32 v15, 0
	v_mov_b32_e32 v14, 0
	s_and_saveexec_b32 s3, s0
	s_cbranch_execz .LBB122_60
; %bb.27:
	v_lshlrev_b32_e32 v1, 3, v0
	s_ashr_i32 s15, s14, 31
	v_lshlrev_b32_e32 v2, 5, v13
	v_and_b32_e32 v3, 0x1f0, v67
	v_lshl_add_u32 v4, v65, 5, s30
	v_and_b32_e32 v1, 24, v1
	s_lshl_b64 s[0:1], s[14:15], 1
	v_lshl_or_b32 v5, v65, 7, v2
	s_add_u32 s0, s26, s0
	s_addc_u32 s1, s27, s1
	v_add_co_u32 v30, s0, s0, v3
	v_add3_u32 v32, v4, v1, 7
	v_lshlrev_b64 v[1:2], 2, v[61:62]
	v_add_co_ci_u32_e64 v31, null, s1, 0, s0
	s_lshl_b64 s[0:1], s[28:29], 2
	s_add_i32 s12, s12, -1
	s_add_u32 s0, s22, s0
	v_add_nc_u32_e32 v33, 0x110, v5
	s_addc_u32 s1, s23, s1
	v_add_co_u32 v5, vcc_lo, s0, v1
	v_mov_b32_e32 v29, 0
	v_add_co_ci_u32_e64 v6, null, s1, v2, vcc_lo
	v_mov_b32_e32 v14, 0
	v_mov_b32_e32 v15, 0
	;; [unrolled: 1-line block ×15, first 2 shown]
	s_mov_b32 s5, s13
	s_mov_b32 s4, 0
	s_branch .LBB122_29
.LBB122_28:                             ;   in Loop: Header=BB122_29 Depth=1
	s_or_b32 exec_lo, exec_lo, s1
	v_add_f32_e32 v9, v9, v10
	v_add_f32_e32 v34, v73, v74
	;; [unrolled: 1-line block ×3, first 2 shown]
	v_lshlrev_b32_e32 v8, 16, v8
	v_lshlrev_b32_e32 v7, 16, v7
	v_add_f32_e32 v17, v17, v9
	v_add_f32_e32 v9, v64, v67
	v_add_f32_e32 v35, v70, v71
	v_add_f32_e32 v15, v15, v34
	v_add_f32_e32 v18, v18, v10
	v_add_f32_e32 v10, v62, v63
	v_add_f32_e32 v19, v19, v9
	v_lshlrev_b32_e32 v9, 16, v72
	v_add_f32_e32 v34, v59, v60
	v_and_or_b32 v2, 0xffff, v2, v8
	v_and_or_b32 v3, 0xffff, v3, v7
	v_add_nc_u32_e32 v61, 4, v61
	v_and_or_b32 v1, 0xffff, v1, v9
	;;#ASMSTART
	v_pk_mul_f16 v1, v37, v1;

	;;#ASMEND
	;;#ASMSTART
	v_pk_mul_f16 v2, v36, v2;

	;;#ASMEND
	;; [unrolled: 4-line block ×4, first 2 shown]
	;;#ASMSTART
	v_pk_add_f16 v1, v1, v2;

	;;#ASMEND
	;;#ASMSTART
	v_pk_add_f16 v1, v1, v3;

	;;#ASMEND
	;;#ASMSTART
	v_pk_add_f16 v1, v1, v4;

	;;#ASMEND
	v_and_b32_e32 v4, 0xffff, v1
	v_lshrrev_b32_e32 v7, 16, v1
	;;#ASMSTART
	v_cvt_f32_f16 v4, v4;
	;;#ASMEND
	v_add_f32_e32 v16, v16, v35
	v_add_f32_e32 v35, v57, v58
	;; [unrolled: 1-line block ×10, first 2 shown]
	;;#ASMSTART
	v_cvt_f32_f16 v7, v7;
	;;#ASMEND
	v_add_f32_e32 v4, v4, v7
	v_cmp_le_i32_e32 vcc_lo, s11, v61
	v_add_co_u32 v5, s0, v5, 16
	v_add_f32_e32 v22, v22, v35
	v_add_f32_e32 v23, v23, v39
	;; [unrolled: 1-line block ×8, first 2 shown]
	v_add_nc_u32_e32 v32, 0x80, v32
	v_add_nc_u32_e32 v33, 0x200, v33
	v_add_co_ci_u32_e64 v6, null, 0, v6, s0
	s_or_b32 s4, vcc_lo, s4
	s_andn2_b32 exec_lo, exec_lo, s4
	s_cbranch_execz .LBB122_59
.LBB122_29:                             ; =>This Inner Loop Header: Depth=1
	global_load_dword v7, v[5:6], off
	ds_read2_b64 v[1:4], v33 offset1:1
	ds_read2_b64 v[39:42], v33 offset0:2 offset1:3
	v_cmp_eq_u32_e64 s0, s12, v61
	v_add_nc_u32_e32 v46, -6, v32
	v_add_nc_u32_e32 v35, -3, v32
	;; [unrolled: 1-line block ×4, first 2 shown]
	s_waitcnt lgkmcnt(1)
	;;#ASMSTART
	v_cvt_f16_f32 v37, v1;

	;;#ASMEND
	;;#ASMSTART
	v_cvt_f16_f32 v36, v2;

	;;#ASMEND
	;; [unrolled: 4-line block ×4, first 2 shown]
	s_waitcnt lgkmcnt(0)
	;;#ASMSTART
	v_cvt_f16_f32 v44, v39;

	;;#ASMEND
	;;#ASMSTART
	v_cvt_f16_f32 v10, v40;

	;;#ASMEND
	;; [unrolled: 4-line block ×4, first 2 shown]
	v_add_nc_u32_e32 v42, -7, v32
	v_add_nc_u32_e32 v41, -5, v32
	;; [unrolled: 1-line block ×3, first 2 shown]
	s_waitcnt vmcnt(0)
	v_mad_i64_i32 v[7:8], null, v7, s5, 0
	v_lshlrev_b64 v[7:8], 1, v[7:8]
	v_add_co_u32 v7, vcc_lo, v30, v7
	v_add_co_ci_u32_e64 v8, null, v31, v8, vcc_lo
	global_load_dwordx4 v[1:4], v[7:8], off
	s_waitcnt vmcnt(0)
	v_lshrrev_b32_e32 v49, 16, v1
	v_lshrrev_b32_e32 v48, 16, v2
	;; [unrolled: 1-line block ×3, first 2 shown]
	s_and_saveexec_b32 s6, s0
	s_cbranch_execz .LBB122_31
; %bb.30:                               ;   in Loop: Header=BB122_29 Depth=1
	v_cmp_gt_i32_e32 vcc_lo, s25, v42
	v_and_b32_e32 v50, 0xffff0000, v4
	v_cmp_gt_i32_e64 s1, s25, v41
	v_cndmask_b32_e32 v1, 0, v1, vcc_lo
	v_cmp_gt_i32_e32 vcc_lo, s25, v46
	v_cndmask_b32_e64 v2, 0, v2, s1
	v_cmp_gt_i32_e64 s1, s25, v39
	v_cndmask_b32_e32 v49, 0, v49, vcc_lo
	v_cmp_gt_i32_e32 vcc_lo, s25, v45
	v_cndmask_b32_e64 v48, 0, v48, s1
	v_cndmask_b32_sdwa v4, v29, v4, vcc_lo dst_sel:DWORD dst_unused:UNUSED_PAD src0_sel:DWORD src1_sel:WORD_0
	v_cmp_gt_i32_e32 vcc_lo, s25, v32
	v_cndmask_b32_e32 v50, 0, v50, vcc_lo
	v_cmp_gt_i32_e32 vcc_lo, s25, v35
	v_or_b32_e32 v4, v4, v50
	v_cndmask_b32_e32 v3, 0, v3, vcc_lo
	v_cmp_gt_i32_e32 vcc_lo, s25, v34
	v_cndmask_b32_e32 v47, 0, v47, vcc_lo
.LBB122_31:                             ;   in Loop: Header=BB122_29 Depth=1
	s_or_b32 exec_lo, exec_lo, s6
	v_and_b32_e32 v37, 0xffff, v37
	v_and_b32_e32 v43, 0xffff, v43
	v_lshlrev_b32_e32 v49, 16, v49
	v_lshlrev_b32_e32 v47, 16, v47
	v_and_b32_e32 v44, 0xffff, v44
	v_lshl_or_b32 v37, v36, 16, v37
	v_lshl_or_b32 v36, v38, 16, v43
	v_lshlrev_b32_e32 v43, 16, v48
	v_and_b32_e32 v40, 0xffff, v40
	v_and_or_b32 v1, 0xffff, v1, v49
	v_and_or_b32 v3, 0xffff, v3, v47
	;;#ASMSTART
	v_pk_mul_f16 v1, v37, v1;

	;;#ASMEND
	v_and_or_b32 v2, 0xffff, v2, v43
	v_lshl_or_b32 v38, v10, 16, v44
	v_lshl_or_b32 v40, v9, 16, v40
	;;#ASMSTART
	v_pk_mul_f16 v2, v36, v2;

	;;#ASMEND
	;;#ASMSTART
	v_pk_mul_f16 v3, v38, v3;

	;;#ASMEND
	;;#ASMSTART
	v_pk_mul_f16 v4, v40, v4;

	;;#ASMEND
	;;#ASMSTART
	v_pk_add_f16 v1, v1, v2;

	;;#ASMEND
	;;#ASMSTART
	v_pk_add_f16 v1, v1, v3;

	;;#ASMEND
	;; [unrolled: 4-line block ×3, first 2 shown]
	v_and_b32_e32 v2, 0xffff, v1
	v_lshrrev_b32_e32 v1, 16, v1
	;;#ASMSTART
	v_cvt_f32_f16 v43, v2;
	;;#ASMEND
	;;#ASMSTART
	v_cvt_f32_f16 v44, v1;
	;;#ASMEND
	global_load_dwordx4 v[1:4], v[7:8], off offset:512
	s_waitcnt vmcnt(0)
	v_lshrrev_b32_e32 v47, 16, v1
	v_lshrrev_b32_e32 v10, 16, v2
	;; [unrolled: 1-line block ×3, first 2 shown]
	s_and_saveexec_b32 s6, s0
	s_cbranch_execz .LBB122_33
; %bb.32:                               ;   in Loop: Header=BB122_29 Depth=1
	v_cmp_gt_i32_e32 vcc_lo, s25, v42
	v_and_b32_e32 v48, 0xffff0000, v4
	v_cmp_gt_i32_e64 s1, s25, v41
	v_cndmask_b32_e32 v1, 0, v1, vcc_lo
	v_cmp_gt_i32_e32 vcc_lo, s25, v46
	v_cndmask_b32_e64 v2, 0, v2, s1
	v_cmp_gt_i32_e64 s1, s25, v39
	v_cndmask_b32_e32 v47, 0, v47, vcc_lo
	v_cmp_gt_i32_e32 vcc_lo, s25, v45
	v_cndmask_b32_e64 v10, 0, v10, s1
	v_cndmask_b32_sdwa v4, v29, v4, vcc_lo dst_sel:DWORD dst_unused:UNUSED_PAD src0_sel:DWORD src1_sel:WORD_0
	v_cmp_gt_i32_e32 vcc_lo, s25, v32
	v_cndmask_b32_e32 v48, 0, v48, vcc_lo
	v_cmp_gt_i32_e32 vcc_lo, s25, v35
	v_or_b32_e32 v4, v4, v48
	v_cndmask_b32_e32 v3, 0, v3, vcc_lo
	v_cmp_gt_i32_e32 vcc_lo, s25, v34
	v_cndmask_b32_e32 v9, 0, v9, vcc_lo
.LBB122_33:                             ;   in Loop: Header=BB122_29 Depth=1
	s_or_b32 exec_lo, exec_lo, s6
	v_lshlrev_b32_e32 v47, 16, v47
	v_lshlrev_b32_e32 v10, 16, v10
	;; [unrolled: 1-line block ×3, first 2 shown]
	v_and_or_b32 v1, 0xffff, v1, v47
	v_and_or_b32 v2, 0xffff, v2, v10
	;; [unrolled: 1-line block ×3, first 2 shown]
	;;#ASMSTART
	v_pk_mul_f16 v1, v37, v1;

	;;#ASMEND
	;;#ASMSTART
	v_pk_mul_f16 v2, v36, v2;

	;;#ASMEND
	;; [unrolled: 4-line block ×4, first 2 shown]
	;;#ASMSTART
	v_pk_add_f16 v1, v1, v2;

	;;#ASMEND
	;;#ASMSTART
	v_pk_add_f16 v1, v1, v3;

	;;#ASMEND
	;; [unrolled: 4-line block ×3, first 2 shown]
	v_and_b32_e32 v2, 0xffff, v1
	v_lshrrev_b32_e32 v1, 16, v1
	;;#ASMSTART
	v_cvt_f32_f16 v47, v2;
	;;#ASMEND
	;;#ASMSTART
	v_cvt_f32_f16 v48, v1;
	;;#ASMEND
	global_load_dwordx4 v[1:4], v[7:8], off offset:1024
	s_waitcnt vmcnt(0)
	v_lshrrev_b32_e32 v49, 16, v1
	v_lshrrev_b32_e32 v10, 16, v2
	;; [unrolled: 1-line block ×3, first 2 shown]
	s_and_saveexec_b32 s6, s0
	s_cbranch_execz .LBB122_35
; %bb.34:                               ;   in Loop: Header=BB122_29 Depth=1
	v_cmp_gt_i32_e32 vcc_lo, s25, v42
	v_and_b32_e32 v50, 0xffff0000, v4
	v_cmp_gt_i32_e64 s1, s25, v41
	v_cndmask_b32_e32 v1, 0, v1, vcc_lo
	v_cmp_gt_i32_e32 vcc_lo, s25, v46
	v_cndmask_b32_e64 v2, 0, v2, s1
	v_cmp_gt_i32_e64 s1, s25, v39
	v_cndmask_b32_e32 v49, 0, v49, vcc_lo
	v_cmp_gt_i32_e32 vcc_lo, s25, v45
	v_cndmask_b32_e64 v10, 0, v10, s1
	v_cndmask_b32_sdwa v4, v29, v4, vcc_lo dst_sel:DWORD dst_unused:UNUSED_PAD src0_sel:DWORD src1_sel:WORD_0
	v_cmp_gt_i32_e32 vcc_lo, s25, v32
	v_cndmask_b32_e32 v50, 0, v50, vcc_lo
	v_cmp_gt_i32_e32 vcc_lo, s25, v35
	v_or_b32_e32 v4, v4, v50
	v_cndmask_b32_e32 v3, 0, v3, vcc_lo
	v_cmp_gt_i32_e32 vcc_lo, s25, v34
	v_cndmask_b32_e32 v9, 0, v9, vcc_lo
.LBB122_35:                             ;   in Loop: Header=BB122_29 Depth=1
	s_or_b32 exec_lo, exec_lo, s6
	v_lshlrev_b32_e32 v49, 16, v49
	v_lshlrev_b32_e32 v10, 16, v10
	;; [unrolled: 1-line block ×3, first 2 shown]
	v_and_or_b32 v1, 0xffff, v1, v49
	v_and_or_b32 v2, 0xffff, v2, v10
	;; [unrolled: 1-line block ×3, first 2 shown]
	;;#ASMSTART
	v_pk_mul_f16 v1, v37, v1;

	;;#ASMEND
	;;#ASMSTART
	v_pk_mul_f16 v2, v36, v2;

	;;#ASMEND
	;; [unrolled: 4-line block ×4, first 2 shown]
	;;#ASMSTART
	v_pk_add_f16 v1, v1, v2;

	;;#ASMEND
	;;#ASMSTART
	v_pk_add_f16 v1, v1, v3;

	;;#ASMEND
	;; [unrolled: 4-line block ×3, first 2 shown]
	v_and_b32_e32 v2, 0xffff, v1
	v_lshrrev_b32_e32 v1, 16, v1
	;;#ASMSTART
	v_cvt_f32_f16 v49, v2;
	;;#ASMEND
	;;#ASMSTART
	v_cvt_f32_f16 v50, v1;
	;;#ASMEND
	global_load_dwordx4 v[1:4], v[7:8], off offset:1536
	s_waitcnt vmcnt(0)
	v_lshrrev_b32_e32 v51, 16, v1
	v_lshrrev_b32_e32 v10, 16, v2
	;; [unrolled: 1-line block ×3, first 2 shown]
	s_and_saveexec_b32 s6, s0
	s_cbranch_execz .LBB122_37
; %bb.36:                               ;   in Loop: Header=BB122_29 Depth=1
	v_cmp_gt_i32_e32 vcc_lo, s25, v42
	v_and_b32_e32 v52, 0xffff0000, v4
	v_cmp_gt_i32_e64 s1, s25, v41
	v_cndmask_b32_e32 v1, 0, v1, vcc_lo
	v_cmp_gt_i32_e32 vcc_lo, s25, v46
	v_cndmask_b32_e64 v2, 0, v2, s1
	v_cmp_gt_i32_e64 s1, s25, v39
	v_cndmask_b32_e32 v51, 0, v51, vcc_lo
	v_cmp_gt_i32_e32 vcc_lo, s25, v45
	v_cndmask_b32_e64 v10, 0, v10, s1
	v_cndmask_b32_sdwa v4, v29, v4, vcc_lo dst_sel:DWORD dst_unused:UNUSED_PAD src0_sel:DWORD src1_sel:WORD_0
	v_cmp_gt_i32_e32 vcc_lo, s25, v32
	v_cndmask_b32_e32 v52, 0, v52, vcc_lo
	v_cmp_gt_i32_e32 vcc_lo, s25, v35
	v_or_b32_e32 v4, v4, v52
	v_cndmask_b32_e32 v3, 0, v3, vcc_lo
	v_cmp_gt_i32_e32 vcc_lo, s25, v34
	v_cndmask_b32_e32 v9, 0, v9, vcc_lo
.LBB122_37:                             ;   in Loop: Header=BB122_29 Depth=1
	s_or_b32 exec_lo, exec_lo, s6
	v_lshlrev_b32_e32 v9, 16, v9
	v_lshlrev_b32_e32 v51, 16, v51
	v_lshlrev_b32_e32 v10, 16, v10
	v_and_or_b32 v3, 0xffff, v3, v9
	v_add_co_u32 v9, vcc_lo, 0x800, v7
	v_and_or_b32 v1, 0xffff, v1, v51
	v_and_or_b32 v2, 0xffff, v2, v10
	;;#ASMSTART
	v_pk_mul_f16 v1, v37, v1;

	;;#ASMEND
	v_add_co_ci_u32_e64 v10, null, 0, v8, vcc_lo
	;;#ASMSTART
	v_pk_mul_f16 v2, v36, v2;

	;;#ASMEND
	;;#ASMSTART
	v_pk_mul_f16 v3, v38, v3;

	;;#ASMEND
	;; [unrolled: 4-line block ×3, first 2 shown]
	;;#ASMSTART
	v_pk_add_f16 v1, v1, v2;

	;;#ASMEND
	;;#ASMSTART
	v_pk_add_f16 v1, v1, v3;

	;;#ASMEND
	;; [unrolled: 4-line block ×3, first 2 shown]
	v_lshrrev_b32_e32 v2, 16, v1
	v_and_b32_e32 v1, 0xffff, v1
	;;#ASMSTART
	v_cvt_f32_f16 v51, v1;
	;;#ASMEND
	;;#ASMSTART
	v_cvt_f32_f16 v52, v2;
	;;#ASMEND
	global_load_dwordx4 v[1:4], v[9:10], off
	s_waitcnt vmcnt(0)
	v_lshrrev_b32_e32 v55, 16, v1
	v_lshrrev_b32_e32 v54, 16, v2
	;; [unrolled: 1-line block ×3, first 2 shown]
	s_and_saveexec_b32 s6, s0
	s_cbranch_execz .LBB122_39
; %bb.38:                               ;   in Loop: Header=BB122_29 Depth=1
	v_cmp_gt_i32_e32 vcc_lo, s25, v42
	v_and_b32_e32 v56, 0xffff0000, v4
	v_cmp_gt_i32_e64 s1, s25, v41
	v_cndmask_b32_e32 v1, 0, v1, vcc_lo
	v_cmp_gt_i32_e32 vcc_lo, s25, v46
	v_cndmask_b32_e64 v2, 0, v2, s1
	v_cmp_gt_i32_e64 s1, s25, v39
	v_cndmask_b32_e32 v55, 0, v55, vcc_lo
	v_cmp_gt_i32_e32 vcc_lo, s25, v45
	v_cndmask_b32_e64 v54, 0, v54, s1
	v_cndmask_b32_sdwa v4, v29, v4, vcc_lo dst_sel:DWORD dst_unused:UNUSED_PAD src0_sel:DWORD src1_sel:WORD_0
	v_cmp_gt_i32_e32 vcc_lo, s25, v32
	v_cndmask_b32_e32 v56, 0, v56, vcc_lo
	v_cmp_gt_i32_e32 vcc_lo, s25, v35
	v_or_b32_e32 v4, v4, v56
	v_cndmask_b32_e32 v3, 0, v3, vcc_lo
	v_cmp_gt_i32_e32 vcc_lo, s25, v34
	v_cndmask_b32_e32 v53, 0, v53, vcc_lo
.LBB122_39:                             ;   in Loop: Header=BB122_29 Depth=1
	s_or_b32 exec_lo, exec_lo, s6
	v_lshlrev_b32_e32 v55, 16, v55
	v_lshlrev_b32_e32 v54, 16, v54
	;; [unrolled: 1-line block ×3, first 2 shown]
	v_and_or_b32 v1, 0xffff, v1, v55
	v_and_or_b32 v2, 0xffff, v2, v54
	;; [unrolled: 1-line block ×3, first 2 shown]
	;;#ASMSTART
	v_pk_mul_f16 v1, v37, v1;

	;;#ASMEND
	;;#ASMSTART
	v_pk_mul_f16 v2, v36, v2;

	;;#ASMEND
	;; [unrolled: 4-line block ×4, first 2 shown]
	;;#ASMSTART
	v_pk_add_f16 v1, v1, v2;

	;;#ASMEND
	;;#ASMSTART
	v_pk_add_f16 v1, v1, v3;

	;;#ASMEND
	;; [unrolled: 4-line block ×3, first 2 shown]
	v_and_b32_e32 v2, 0xffff, v1
	v_lshrrev_b32_e32 v1, 16, v1
	;;#ASMSTART
	v_cvt_f32_f16 v53, v2;
	;;#ASMEND
	;;#ASMSTART
	v_cvt_f32_f16 v54, v1;
	;;#ASMEND
	global_load_dwordx4 v[1:4], v[9:10], off offset:512
	s_waitcnt vmcnt(0)
	v_lshrrev_b32_e32 v57, 16, v1
	v_lshrrev_b32_e32 v56, 16, v2
	;; [unrolled: 1-line block ×3, first 2 shown]
	s_and_saveexec_b32 s6, s0
	s_cbranch_execz .LBB122_41
; %bb.40:                               ;   in Loop: Header=BB122_29 Depth=1
	v_cmp_gt_i32_e32 vcc_lo, s25, v42
	v_and_b32_e32 v58, 0xffff0000, v4
	v_cmp_gt_i32_e64 s1, s25, v41
	v_cndmask_b32_e32 v1, 0, v1, vcc_lo
	v_cmp_gt_i32_e32 vcc_lo, s25, v46
	v_cndmask_b32_e64 v2, 0, v2, s1
	v_cmp_gt_i32_e64 s1, s25, v39
	v_cndmask_b32_e32 v57, 0, v57, vcc_lo
	v_cmp_gt_i32_e32 vcc_lo, s25, v45
	v_cndmask_b32_e64 v56, 0, v56, s1
	v_cndmask_b32_sdwa v4, v29, v4, vcc_lo dst_sel:DWORD dst_unused:UNUSED_PAD src0_sel:DWORD src1_sel:WORD_0
	v_cmp_gt_i32_e32 vcc_lo, s25, v32
	v_cndmask_b32_e32 v58, 0, v58, vcc_lo
	v_cmp_gt_i32_e32 vcc_lo, s25, v35
	v_or_b32_e32 v4, v4, v58
	v_cndmask_b32_e32 v3, 0, v3, vcc_lo
	v_cmp_gt_i32_e32 vcc_lo, s25, v34
	v_cndmask_b32_e32 v55, 0, v55, vcc_lo
.LBB122_41:                             ;   in Loop: Header=BB122_29 Depth=1
	s_or_b32 exec_lo, exec_lo, s6
	v_lshlrev_b32_e32 v57, 16, v57
	v_lshlrev_b32_e32 v56, 16, v56
	;; [unrolled: 1-line block ×3, first 2 shown]
	v_and_or_b32 v1, 0xffff, v1, v57
	v_and_or_b32 v2, 0xffff, v2, v56
	;; [unrolled: 1-line block ×3, first 2 shown]
	;;#ASMSTART
	v_pk_mul_f16 v1, v37, v1;

	;;#ASMEND
	;;#ASMSTART
	v_pk_mul_f16 v2, v36, v2;

	;;#ASMEND
	;; [unrolled: 4-line block ×4, first 2 shown]
	;;#ASMSTART
	v_pk_add_f16 v1, v1, v2;

	;;#ASMEND
	;;#ASMSTART
	v_pk_add_f16 v1, v1, v3;

	;;#ASMEND
	;; [unrolled: 4-line block ×3, first 2 shown]
	v_and_b32_e32 v2, 0xffff, v1
	v_lshrrev_b32_e32 v1, 16, v1
	;;#ASMSTART
	v_cvt_f32_f16 v55, v2;
	;;#ASMEND
	;;#ASMSTART
	v_cvt_f32_f16 v56, v1;
	;;#ASMEND
	global_load_dwordx4 v[1:4], v[9:10], off offset:1024
	s_waitcnt vmcnt(0)
	v_lshrrev_b32_e32 v59, 16, v1
	v_lshrrev_b32_e32 v58, 16, v2
	v_lshrrev_b32_e32 v57, 16, v3
	s_and_saveexec_b32 s6, s0
	s_cbranch_execz .LBB122_43
; %bb.42:                               ;   in Loop: Header=BB122_29 Depth=1
	v_cmp_gt_i32_e32 vcc_lo, s25, v42
	v_and_b32_e32 v60, 0xffff0000, v4
	v_cmp_gt_i32_e64 s1, s25, v41
	v_cndmask_b32_e32 v1, 0, v1, vcc_lo
	v_cmp_gt_i32_e32 vcc_lo, s25, v46
	v_cndmask_b32_e64 v2, 0, v2, s1
	v_cmp_gt_i32_e64 s1, s25, v39
	v_cndmask_b32_e32 v59, 0, v59, vcc_lo
	v_cmp_gt_i32_e32 vcc_lo, s25, v45
	v_cndmask_b32_e64 v58, 0, v58, s1
	v_cndmask_b32_sdwa v4, v29, v4, vcc_lo dst_sel:DWORD dst_unused:UNUSED_PAD src0_sel:DWORD src1_sel:WORD_0
	v_cmp_gt_i32_e32 vcc_lo, s25, v32
	v_cndmask_b32_e32 v60, 0, v60, vcc_lo
	v_cmp_gt_i32_e32 vcc_lo, s25, v35
	v_or_b32_e32 v4, v4, v60
	v_cndmask_b32_e32 v3, 0, v3, vcc_lo
	v_cmp_gt_i32_e32 vcc_lo, s25, v34
	v_cndmask_b32_e32 v57, 0, v57, vcc_lo
.LBB122_43:                             ;   in Loop: Header=BB122_29 Depth=1
	s_or_b32 exec_lo, exec_lo, s6
	v_lshlrev_b32_e32 v59, 16, v59
	v_lshlrev_b32_e32 v58, 16, v58
	;; [unrolled: 1-line block ×3, first 2 shown]
	v_and_or_b32 v1, 0xffff, v1, v59
	v_and_or_b32 v2, 0xffff, v2, v58
	v_and_or_b32 v3, 0xffff, v3, v57
	;;#ASMSTART
	v_pk_mul_f16 v1, v37, v1;

	;;#ASMEND
	;;#ASMSTART
	v_pk_mul_f16 v2, v36, v2;

	;;#ASMEND
	;;#ASMSTART
	v_pk_mul_f16 v3, v38, v3;

	;;#ASMEND
	;;#ASMSTART
	v_pk_mul_f16 v4, v40, v4;

	;;#ASMEND
	;;#ASMSTART
	v_pk_add_f16 v1, v1, v2;

	;;#ASMEND
	;;#ASMSTART
	v_pk_add_f16 v1, v1, v3;

	;;#ASMEND
	;; [unrolled: 4-line block ×3, first 2 shown]
	v_and_b32_e32 v2, 0xffff, v1
	v_lshrrev_b32_e32 v1, 16, v1
	;;#ASMSTART
	v_cvt_f32_f16 v57, v2;
	;;#ASMEND
	;;#ASMSTART
	v_cvt_f32_f16 v58, v1;
	;;#ASMEND
	global_load_dwordx4 v[1:4], v[9:10], off offset:1536
	s_waitcnt vmcnt(0)
	v_lshrrev_b32_e32 v59, 16, v1
	v_lshrrev_b32_e32 v10, 16, v2
	;; [unrolled: 1-line block ×3, first 2 shown]
	s_and_saveexec_b32 s6, s0
	s_cbranch_execz .LBB122_45
; %bb.44:                               ;   in Loop: Header=BB122_29 Depth=1
	v_cmp_gt_i32_e32 vcc_lo, s25, v42
	v_and_b32_e32 v60, 0xffff0000, v4
	v_cmp_gt_i32_e64 s1, s25, v41
	v_cndmask_b32_e32 v1, 0, v1, vcc_lo
	v_cmp_gt_i32_e32 vcc_lo, s25, v46
	v_cndmask_b32_e64 v2, 0, v2, s1
	v_cmp_gt_i32_e64 s1, s25, v39
	v_cndmask_b32_e32 v59, 0, v59, vcc_lo
	v_cmp_gt_i32_e32 vcc_lo, s25, v45
	v_cndmask_b32_e64 v10, 0, v10, s1
	v_cndmask_b32_sdwa v4, v29, v4, vcc_lo dst_sel:DWORD dst_unused:UNUSED_PAD src0_sel:DWORD src1_sel:WORD_0
	v_cmp_gt_i32_e32 vcc_lo, s25, v32
	v_cndmask_b32_e32 v60, 0, v60, vcc_lo
	v_cmp_gt_i32_e32 vcc_lo, s25, v35
	v_or_b32_e32 v4, v4, v60
	v_cndmask_b32_e32 v3, 0, v3, vcc_lo
	v_cmp_gt_i32_e32 vcc_lo, s25, v34
	v_cndmask_b32_e32 v9, 0, v9, vcc_lo
.LBB122_45:                             ;   in Loop: Header=BB122_29 Depth=1
	s_or_b32 exec_lo, exec_lo, s6
	v_lshlrev_b32_e32 v9, 16, v9
	v_lshlrev_b32_e32 v59, 16, v59
	;; [unrolled: 1-line block ×3, first 2 shown]
	v_and_or_b32 v3, 0xffff, v3, v9
	v_add_co_u32 v9, vcc_lo, 0x1000, v7
	v_and_or_b32 v1, 0xffff, v1, v59
	v_and_or_b32 v2, 0xffff, v2, v10
	;;#ASMSTART
	v_pk_mul_f16 v1, v37, v1;

	;;#ASMEND
	v_add_co_ci_u32_e64 v10, null, 0, v8, vcc_lo
	;;#ASMSTART
	v_pk_mul_f16 v2, v36, v2;

	;;#ASMEND
	;;#ASMSTART
	v_pk_mul_f16 v3, v38, v3;

	;;#ASMEND
	;; [unrolled: 4-line block ×3, first 2 shown]
	;;#ASMSTART
	v_pk_add_f16 v1, v1, v2;

	;;#ASMEND
	;;#ASMSTART
	v_pk_add_f16 v1, v1, v3;

	;;#ASMEND
	;; [unrolled: 4-line block ×3, first 2 shown]
	v_lshrrev_b32_e32 v2, 16, v1
	v_and_b32_e32 v1, 0xffff, v1
	;;#ASMSTART
	v_cvt_f32_f16 v59, v1;
	;;#ASMEND
	;;#ASMSTART
	v_cvt_f32_f16 v60, v2;
	;;#ASMEND
	global_load_dwordx4 v[1:4], v[9:10], off
	s_waitcnt vmcnt(0)
	v_lshrrev_b32_e32 v64, 16, v1
	v_lshrrev_b32_e32 v63, 16, v2
	;; [unrolled: 1-line block ×3, first 2 shown]
	s_and_saveexec_b32 s6, s0
	s_cbranch_execz .LBB122_47
; %bb.46:                               ;   in Loop: Header=BB122_29 Depth=1
	v_cmp_gt_i32_e32 vcc_lo, s25, v42
	v_and_b32_e32 v67, 0xffff0000, v4
	v_cmp_gt_i32_e64 s1, s25, v41
	v_cndmask_b32_e32 v1, 0, v1, vcc_lo
	v_cmp_gt_i32_e32 vcc_lo, s25, v46
	v_cndmask_b32_e64 v2, 0, v2, s1
	v_cmp_gt_i32_e64 s1, s25, v39
	v_cndmask_b32_e32 v64, 0, v64, vcc_lo
	v_cmp_gt_i32_e32 vcc_lo, s25, v45
	v_cndmask_b32_e64 v63, 0, v63, s1
	v_cndmask_b32_sdwa v4, v29, v4, vcc_lo dst_sel:DWORD dst_unused:UNUSED_PAD src0_sel:DWORD src1_sel:WORD_0
	v_cmp_gt_i32_e32 vcc_lo, s25, v32
	v_cndmask_b32_e32 v67, 0, v67, vcc_lo
	v_cmp_gt_i32_e32 vcc_lo, s25, v35
	v_or_b32_e32 v4, v4, v67
	v_cndmask_b32_e32 v3, 0, v3, vcc_lo
	v_cmp_gt_i32_e32 vcc_lo, s25, v34
	v_cndmask_b32_e32 v62, 0, v62, vcc_lo
.LBB122_47:                             ;   in Loop: Header=BB122_29 Depth=1
	s_or_b32 exec_lo, exec_lo, s6
	v_lshlrev_b32_e32 v64, 16, v64
	v_lshlrev_b32_e32 v63, 16, v63
	;; [unrolled: 1-line block ×3, first 2 shown]
	v_and_or_b32 v1, 0xffff, v1, v64
	v_and_or_b32 v2, 0xffff, v2, v63
	;; [unrolled: 1-line block ×3, first 2 shown]
	;;#ASMSTART
	v_pk_mul_f16 v1, v37, v1;

	;;#ASMEND
	;;#ASMSTART
	v_pk_mul_f16 v2, v36, v2;

	;;#ASMEND
	;; [unrolled: 4-line block ×4, first 2 shown]
	;;#ASMSTART
	v_pk_add_f16 v1, v1, v2;

	;;#ASMEND
	;;#ASMSTART
	v_pk_add_f16 v1, v1, v3;

	;;#ASMEND
	;; [unrolled: 4-line block ×3, first 2 shown]
	v_and_b32_e32 v2, 0xffff, v1
	v_lshrrev_b32_e32 v1, 16, v1
	;;#ASMSTART
	v_cvt_f32_f16 v62, v2;
	;;#ASMEND
	;;#ASMSTART
	v_cvt_f32_f16 v63, v1;
	;;#ASMEND
	global_load_dwordx4 v[1:4], v[9:10], off offset:512
	s_waitcnt vmcnt(0)
	v_lshrrev_b32_e32 v68, 16, v1
	v_lshrrev_b32_e32 v67, 16, v2
	;; [unrolled: 1-line block ×3, first 2 shown]
	s_and_saveexec_b32 s6, s0
	s_cbranch_execz .LBB122_49
; %bb.48:                               ;   in Loop: Header=BB122_29 Depth=1
	v_cmp_gt_i32_e32 vcc_lo, s25, v42
	v_and_b32_e32 v69, 0xffff0000, v4
	v_cmp_gt_i32_e64 s1, s25, v41
	v_cndmask_b32_e32 v1, 0, v1, vcc_lo
	v_cmp_gt_i32_e32 vcc_lo, s25, v46
	v_cndmask_b32_e64 v2, 0, v2, s1
	v_cmp_gt_i32_e64 s1, s25, v39
	v_cndmask_b32_e32 v68, 0, v68, vcc_lo
	v_cmp_gt_i32_e32 vcc_lo, s25, v45
	v_cndmask_b32_e64 v67, 0, v67, s1
	v_cndmask_b32_sdwa v4, v29, v4, vcc_lo dst_sel:DWORD dst_unused:UNUSED_PAD src0_sel:DWORD src1_sel:WORD_0
	v_cmp_gt_i32_e32 vcc_lo, s25, v32
	v_cndmask_b32_e32 v69, 0, v69, vcc_lo
	v_cmp_gt_i32_e32 vcc_lo, s25, v35
	v_or_b32_e32 v4, v4, v69
	v_cndmask_b32_e32 v3, 0, v3, vcc_lo
	v_cmp_gt_i32_e32 vcc_lo, s25, v34
	v_cndmask_b32_e32 v64, 0, v64, vcc_lo
.LBB122_49:                             ;   in Loop: Header=BB122_29 Depth=1
	s_or_b32 exec_lo, exec_lo, s6
	v_lshlrev_b32_e32 v68, 16, v68
	v_lshlrev_b32_e32 v67, 16, v67
	v_lshlrev_b32_e32 v64, 16, v64
	v_and_or_b32 v1, 0xffff, v1, v68
	v_and_or_b32 v2, 0xffff, v2, v67
	v_and_or_b32 v3, 0xffff, v3, v64
	;;#ASMSTART
	v_pk_mul_f16 v1, v37, v1;

	;;#ASMEND
	;;#ASMSTART
	v_pk_mul_f16 v2, v36, v2;

	;;#ASMEND
	;; [unrolled: 4-line block ×4, first 2 shown]
	;;#ASMSTART
	v_pk_add_f16 v1, v1, v2;

	;;#ASMEND
	;;#ASMSTART
	v_pk_add_f16 v1, v1, v3;

	;;#ASMEND
	;; [unrolled: 4-line block ×3, first 2 shown]
	v_and_b32_e32 v2, 0xffff, v1
	v_lshrrev_b32_e32 v1, 16, v1
	;;#ASMSTART
	v_cvt_f32_f16 v64, v2;
	;;#ASMEND
	;;#ASMSTART
	v_cvt_f32_f16 v67, v1;
	;;#ASMEND
	global_load_dwordx4 v[1:4], v[9:10], off offset:1024
	s_waitcnt vmcnt(0)
	v_lshrrev_b32_e32 v70, 16, v1
	v_lshrrev_b32_e32 v69, 16, v2
	;; [unrolled: 1-line block ×3, first 2 shown]
	s_and_saveexec_b32 s6, s0
	s_cbranch_execz .LBB122_51
; %bb.50:                               ;   in Loop: Header=BB122_29 Depth=1
	v_cmp_gt_i32_e32 vcc_lo, s25, v42
	v_and_b32_e32 v71, 0xffff0000, v4
	v_cmp_gt_i32_e64 s1, s25, v41
	v_cndmask_b32_e32 v1, 0, v1, vcc_lo
	v_cmp_gt_i32_e32 vcc_lo, s25, v46
	v_cndmask_b32_e64 v2, 0, v2, s1
	v_cmp_gt_i32_e64 s1, s25, v39
	v_cndmask_b32_e32 v70, 0, v70, vcc_lo
	v_cmp_gt_i32_e32 vcc_lo, s25, v45
	v_cndmask_b32_e64 v69, 0, v69, s1
	v_cndmask_b32_sdwa v4, v29, v4, vcc_lo dst_sel:DWORD dst_unused:UNUSED_PAD src0_sel:DWORD src1_sel:WORD_0
	v_cmp_gt_i32_e32 vcc_lo, s25, v32
	v_cndmask_b32_e32 v71, 0, v71, vcc_lo
	v_cmp_gt_i32_e32 vcc_lo, s25, v35
	v_or_b32_e32 v4, v4, v71
	v_cndmask_b32_e32 v3, 0, v3, vcc_lo
	v_cmp_gt_i32_e32 vcc_lo, s25, v34
	v_cndmask_b32_e32 v68, 0, v68, vcc_lo
.LBB122_51:                             ;   in Loop: Header=BB122_29 Depth=1
	s_or_b32 exec_lo, exec_lo, s6
	v_lshlrev_b32_e32 v70, 16, v70
	v_lshlrev_b32_e32 v69, 16, v69
	;; [unrolled: 1-line block ×3, first 2 shown]
	v_and_or_b32 v1, 0xffff, v1, v70
	v_and_or_b32 v2, 0xffff, v2, v69
	;; [unrolled: 1-line block ×3, first 2 shown]
	;;#ASMSTART
	v_pk_mul_f16 v1, v37, v1;

	;;#ASMEND
	;;#ASMSTART
	v_pk_mul_f16 v2, v36, v2;

	;;#ASMEND
	;; [unrolled: 4-line block ×4, first 2 shown]
	;;#ASMSTART
	v_pk_add_f16 v1, v1, v2;

	;;#ASMEND
	;;#ASMSTART
	v_pk_add_f16 v1, v1, v3;

	;;#ASMEND
	;; [unrolled: 4-line block ×3, first 2 shown]
	v_and_b32_e32 v2, 0xffff, v1
	v_lshrrev_b32_e32 v1, 16, v1
	;;#ASMSTART
	v_cvt_f32_f16 v68, v2;
	;;#ASMEND
	;;#ASMSTART
	v_cvt_f32_f16 v69, v1;
	;;#ASMEND
	global_load_dwordx4 v[1:4], v[9:10], off offset:1536
	s_waitcnt vmcnt(0)
	v_lshrrev_b32_e32 v70, 16, v1
	v_lshrrev_b32_e32 v10, 16, v2
	;; [unrolled: 1-line block ×3, first 2 shown]
	s_and_saveexec_b32 s6, s0
	s_cbranch_execz .LBB122_53
; %bb.52:                               ;   in Loop: Header=BB122_29 Depth=1
	v_cmp_gt_i32_e32 vcc_lo, s25, v42
	v_and_b32_e32 v71, 0xffff0000, v4
	v_cmp_gt_i32_e64 s1, s25, v41
	v_cndmask_b32_e32 v1, 0, v1, vcc_lo
	v_cmp_gt_i32_e32 vcc_lo, s25, v46
	v_cndmask_b32_e64 v2, 0, v2, s1
	v_cmp_gt_i32_e64 s1, s25, v39
	v_cndmask_b32_e32 v70, 0, v70, vcc_lo
	v_cmp_gt_i32_e32 vcc_lo, s25, v45
	v_cndmask_b32_e64 v10, 0, v10, s1
	v_cndmask_b32_sdwa v4, v29, v4, vcc_lo dst_sel:DWORD dst_unused:UNUSED_PAD src0_sel:DWORD src1_sel:WORD_0
	v_cmp_gt_i32_e32 vcc_lo, s25, v32
	v_cndmask_b32_e32 v71, 0, v71, vcc_lo
	v_cmp_gt_i32_e32 vcc_lo, s25, v35
	v_or_b32_e32 v4, v4, v71
	v_cndmask_b32_e32 v3, 0, v3, vcc_lo
	v_cmp_gt_i32_e32 vcc_lo, s25, v34
	v_cndmask_b32_e32 v9, 0, v9, vcc_lo
.LBB122_53:                             ;   in Loop: Header=BB122_29 Depth=1
	s_or_b32 exec_lo, exec_lo, s6
	v_lshlrev_b32_e32 v70, 16, v70
	v_lshlrev_b32_e32 v10, 16, v10
	;; [unrolled: 1-line block ×3, first 2 shown]
	v_add_co_u32 v7, vcc_lo, 0x1800, v7
	v_and_or_b32 v1, 0xffff, v1, v70
	v_and_or_b32 v2, 0xffff, v2, v10
	;; [unrolled: 1-line block ×3, first 2 shown]
	;;#ASMSTART
	v_pk_mul_f16 v1, v37, v1;

	;;#ASMEND
	v_add_co_ci_u32_e64 v8, null, 0, v8, vcc_lo
	;;#ASMSTART
	v_pk_mul_f16 v2, v36, v2;

	;;#ASMEND
	;;#ASMSTART
	v_pk_mul_f16 v3, v38, v3;

	;;#ASMEND
	;;#ASMSTART
	v_pk_mul_f16 v4, v40, v4;

	;;#ASMEND
	;;#ASMSTART
	v_pk_add_f16 v1, v1, v2;

	;;#ASMEND
	;;#ASMSTART
	v_pk_add_f16 v1, v1, v3;

	;;#ASMEND
	;; [unrolled: 4-line block ×3, first 2 shown]
	v_lshrrev_b32_e32 v2, 16, v1
	v_and_b32_e32 v1, 0xffff, v1
	;;#ASMSTART
	v_cvt_f32_f16 v9, v1;
	;;#ASMEND
	;;#ASMSTART
	v_cvt_f32_f16 v10, v2;
	;;#ASMEND
	global_load_dwordx4 v[1:4], v[7:8], off
	s_waitcnt vmcnt(0)
	v_lshrrev_b32_e32 v72, 16, v1
	v_lshrrev_b32_e32 v71, 16, v2
	;; [unrolled: 1-line block ×3, first 2 shown]
	s_and_saveexec_b32 s6, s0
	s_cbranch_execz .LBB122_55
; %bb.54:                               ;   in Loop: Header=BB122_29 Depth=1
	v_cmp_gt_i32_e32 vcc_lo, s25, v42
	v_and_b32_e32 v73, 0xffff0000, v4
	v_cmp_gt_i32_e64 s1, s25, v41
	v_cndmask_b32_e32 v1, 0, v1, vcc_lo
	v_cmp_gt_i32_e32 vcc_lo, s25, v46
	v_cndmask_b32_e64 v2, 0, v2, s1
	v_cmp_gt_i32_e64 s1, s25, v39
	v_cndmask_b32_e32 v72, 0, v72, vcc_lo
	v_cmp_gt_i32_e32 vcc_lo, s25, v45
	v_cndmask_b32_e64 v71, 0, v71, s1
	v_cndmask_b32_sdwa v4, v29, v4, vcc_lo dst_sel:DWORD dst_unused:UNUSED_PAD src0_sel:DWORD src1_sel:WORD_0
	v_cmp_gt_i32_e32 vcc_lo, s25, v32
	v_cndmask_b32_e32 v73, 0, v73, vcc_lo
	v_cmp_gt_i32_e32 vcc_lo, s25, v35
	v_or_b32_e32 v4, v4, v73
	v_cndmask_b32_e32 v3, 0, v3, vcc_lo
	v_cmp_gt_i32_e32 vcc_lo, s25, v34
	v_cndmask_b32_e32 v70, 0, v70, vcc_lo
.LBB122_55:                             ;   in Loop: Header=BB122_29 Depth=1
	s_or_b32 exec_lo, exec_lo, s6
	v_lshlrev_b32_e32 v72, 16, v72
	v_lshlrev_b32_e32 v71, 16, v71
	;; [unrolled: 1-line block ×3, first 2 shown]
	v_and_or_b32 v1, 0xffff, v1, v72
	v_and_or_b32 v2, 0xffff, v2, v71
	;; [unrolled: 1-line block ×3, first 2 shown]
	;;#ASMSTART
	v_pk_mul_f16 v1, v37, v1;

	;;#ASMEND
	;;#ASMSTART
	v_pk_mul_f16 v2, v36, v2;

	;;#ASMEND
	;; [unrolled: 4-line block ×4, first 2 shown]
	;;#ASMSTART
	v_pk_add_f16 v1, v1, v2;

	;;#ASMEND
	;;#ASMSTART
	v_pk_add_f16 v1, v1, v3;

	;;#ASMEND
	;; [unrolled: 4-line block ×3, first 2 shown]
	v_and_b32_e32 v2, 0xffff, v1
	v_lshrrev_b32_e32 v1, 16, v1
	;;#ASMSTART
	v_cvt_f32_f16 v70, v2;
	;;#ASMEND
	;;#ASMSTART
	v_cvt_f32_f16 v71, v1;
	;;#ASMEND
	global_load_dwordx4 v[1:4], v[7:8], off offset:512
	s_waitcnt vmcnt(0)
	v_lshrrev_b32_e32 v74, 16, v1
	v_lshrrev_b32_e32 v73, 16, v2
	;; [unrolled: 1-line block ×3, first 2 shown]
	s_and_saveexec_b32 s6, s0
	s_cbranch_execz .LBB122_57
; %bb.56:                               ;   in Loop: Header=BB122_29 Depth=1
	v_cmp_gt_i32_e32 vcc_lo, s25, v42
	v_and_b32_e32 v75, 0xffff0000, v4
	v_cmp_gt_i32_e64 s1, s25, v41
	v_cndmask_b32_e32 v1, 0, v1, vcc_lo
	v_cmp_gt_i32_e32 vcc_lo, s25, v46
	v_cndmask_b32_e64 v2, 0, v2, s1
	v_cmp_gt_i32_e64 s1, s25, v39
	v_cndmask_b32_e32 v74, 0, v74, vcc_lo
	v_cmp_gt_i32_e32 vcc_lo, s25, v45
	v_cndmask_b32_e64 v73, 0, v73, s1
	v_cndmask_b32_sdwa v4, v29, v4, vcc_lo dst_sel:DWORD dst_unused:UNUSED_PAD src0_sel:DWORD src1_sel:WORD_0
	v_cmp_gt_i32_e32 vcc_lo, s25, v32
	v_cndmask_b32_e32 v75, 0, v75, vcc_lo
	v_cmp_gt_i32_e32 vcc_lo, s25, v35
	v_or_b32_e32 v4, v4, v75
	v_cndmask_b32_e32 v3, 0, v3, vcc_lo
	v_cmp_gt_i32_e32 vcc_lo, s25, v34
	v_cndmask_b32_e32 v72, 0, v72, vcc_lo
.LBB122_57:                             ;   in Loop: Header=BB122_29 Depth=1
	s_or_b32 exec_lo, exec_lo, s6
	v_lshlrev_b32_e32 v74, 16, v74
	v_lshlrev_b32_e32 v73, 16, v73
	;; [unrolled: 1-line block ×3, first 2 shown]
	v_and_or_b32 v1, 0xffff, v1, v74
	v_and_or_b32 v2, 0xffff, v2, v73
	;; [unrolled: 1-line block ×3, first 2 shown]
	;;#ASMSTART
	v_pk_mul_f16 v1, v37, v1;

	;;#ASMEND
	;;#ASMSTART
	v_pk_mul_f16 v2, v36, v2;

	;;#ASMEND
	;; [unrolled: 4-line block ×4, first 2 shown]
	;;#ASMSTART
	v_pk_add_f16 v1, v1, v2;

	;;#ASMEND
	;;#ASMSTART
	v_pk_add_f16 v1, v1, v3;

	;;#ASMEND
	;; [unrolled: 4-line block ×3, first 2 shown]
	v_and_b32_e32 v2, 0xffff, v1
	v_lshrrev_b32_e32 v1, 16, v1
	;;#ASMSTART
	v_cvt_f32_f16 v73, v2;
	;;#ASMEND
	;;#ASMSTART
	v_cvt_f32_f16 v74, v1;
	;;#ASMEND
	global_load_dwordx4 v[1:4], v[7:8], off offset:1024
	s_waitcnt vmcnt(0)
	v_lshrrev_b32_e32 v72, 16, v1
	v_lshrrev_b32_e32 v8, 16, v2
	;; [unrolled: 1-line block ×3, first 2 shown]
	s_and_saveexec_b32 s1, s0
	s_cbranch_execz .LBB122_28
; %bb.58:                               ;   in Loop: Header=BB122_29 Depth=1
	v_cmp_gt_i32_e32 vcc_lo, s25, v42
	v_cmp_gt_i32_e64 s0, s25, v41
	v_cndmask_b32_e32 v1, 0, v1, vcc_lo
	v_cmp_gt_i32_e32 vcc_lo, s25, v46
	v_cndmask_b32_e64 v2, 0, v2, s0
	v_cmp_gt_i32_e64 s0, s25, v39
	v_and_b32_e32 v39, 0xffff0000, v4
	v_cndmask_b32_e32 v72, 0, v72, vcc_lo
	v_cmp_gt_i32_e32 vcc_lo, s25, v45
	v_cndmask_b32_e64 v8, 0, v8, s0
	v_cndmask_b32_sdwa v4, v29, v4, vcc_lo dst_sel:DWORD dst_unused:UNUSED_PAD src0_sel:DWORD src1_sel:WORD_0
	v_cmp_gt_i32_e32 vcc_lo, s25, v32
	v_cndmask_b32_e32 v39, 0, v39, vcc_lo
	v_cmp_gt_i32_e32 vcc_lo, s25, v35
	v_or_b32_e32 v4, v4, v39
	v_cndmask_b32_e32 v3, 0, v3, vcc_lo
	v_cmp_gt_i32_e32 vcc_lo, s25, v34
	v_cndmask_b32_e32 v7, 0, v7, vcc_lo
	s_branch .LBB122_28
.LBB122_59:
	s_or_b32 exec_lo, exec_lo, s4
.LBB122_60:
	s_or_b32 exec_lo, exec_lo, s3
	ds_bpermute_b32 v2, v12, v28
	ds_bpermute_b32 v30, v12, v17
	;; [unrolled: 1-line block ×15, first 2 shown]
	s_mov_b32 s0, exec_lo
	s_waitcnt lgkmcnt(0)
	s_waitcnt_vscnt null, 0x0
	s_barrier
	buffer_gl0_inv
	v_add_f32_e32 v2, v28, v2
	v_add_f32_e32 v17, v17, v30
	;; [unrolled: 1-line block ×8, first 2 shown]
	ds_bpermute_b32 v23, v11, v2
	v_add_f32_e32 v8, v21, v8
	v_add_f32_e32 v20, v20, v9
	;; [unrolled: 1-line block ×6, first 2 shown]
	ds_bpermute_b32 v33, v11, v17
	v_add_f32_e32 v34, v14, v12
	ds_bpermute_b32 v22, v11, v1
	ds_bpermute_b32 v24, v11, v3
	;; [unrolled: 1-line block ×13, first 2 shown]
	s_waitcnt lgkmcnt(14)
	v_add_f32_e32 v15, v2, v23
	s_waitcnt lgkmcnt(13)
	v_add_f32_e32 v2, v17, v33
	v_and_b32_e32 v17, 28, v66
	s_waitcnt lgkmcnt(12)
	v_add_f32_e32 v16, v1, v22
	s_waitcnt lgkmcnt(11)
	v_add_f32_e32 v14, v3, v24
	;; [unrolled: 2-line block ×12, first 2 shown]
	v_and_b32_e32 v20, 0x3c3, v0
	s_waitcnt lgkmcnt(0)
	v_add_f32_e32 v5, v34, v37
	v_lshrrev_b32_e32 v18, 2, v66
	v_add_nc_u32_e32 v17, 0x110, v17
	v_mul_u32_u24_e32 v19, 0x1e0, v65
	v_cmpx_eq_u32_e32 64, v20
	s_cbranch_execz .LBB122_62
; %bb.61:
	v_add_nc_u32_e32 v20, v17, v19
	v_add_nc_u32_e32 v21, 0xfffffc40, v20
	;; [unrolled: 1-line block ×6, first 2 shown]
	ds_write_b32 v21, v16
	ds_write_b32 v22, v15
	;; [unrolled: 1-line block ×5, first 2 shown]
	v_add_nc_u32_e32 v21, 0xfffffce0, v20
	v_add_nc_u32_e32 v22, 0xfffffd00, v20
	;; [unrolled: 1-line block ×5, first 2 shown]
	ds_write_b32 v21, v10
	ds_write_b32 v22, v9
	ds_write_b32 v23, v8
	ds_write_b32 v24, v7
	ds_write_b32 v25, v6
	v_add_nc_u32_e32 v21, 0xfffffd80, v20
	v_add_nc_u32_e32 v22, 0xfffffda0, v20
	;; [unrolled: 1-line block ×5, first 2 shown]
	ds_write_b32 v21, v3
	ds_write_b32 v22, v2
	;; [unrolled: 1-line block ×5, first 2 shown]
.LBB122_62:
	s_or_b32 exec_lo, exec_lo, s0
	v_lshlrev_b32_e32 v18, 2, v18
	v_cmp_eq_u32_e32 vcc_lo, 0, v13
	s_mov_b32 s1, exec_lo
	s_waitcnt lgkmcnt(0)
	s_barrier
	v_add3_u32 v13, 0x110, v19, v18
	buffer_gl0_inv
	v_cmpx_gt_u32_e32 64, v0
	s_cbranch_execz .LBB122_80
; %bb.63:
	s_and_saveexec_b32 s0, vcc_lo
	s_cbranch_execnz .LBB122_103
; %bb.64:
	s_or_b32 exec_lo, exec_lo, s0
	s_and_saveexec_b32 s0, vcc_lo
	s_cbranch_execnz .LBB122_104
.LBB122_65:
	s_or_b32 exec_lo, exec_lo, s0
	s_and_saveexec_b32 s0, vcc_lo
	s_cbranch_execnz .LBB122_105
.LBB122_66:
	s_or_b32 exec_lo, exec_lo, s0
	s_and_saveexec_b32 s0, vcc_lo
	s_cbranch_execnz .LBB122_106
.LBB122_67:
	s_or_b32 exec_lo, exec_lo, s0
	s_and_saveexec_b32 s0, vcc_lo
	s_cbranch_execnz .LBB122_107
.LBB122_68:
	s_or_b32 exec_lo, exec_lo, s0
	s_and_saveexec_b32 s0, vcc_lo
	s_cbranch_execnz .LBB122_108
.LBB122_69:
	s_or_b32 exec_lo, exec_lo, s0
	s_and_saveexec_b32 s0, vcc_lo
	s_cbranch_execnz .LBB122_109
.LBB122_70:
	s_or_b32 exec_lo, exec_lo, s0
	s_and_saveexec_b32 s0, vcc_lo
	s_cbranch_execnz .LBB122_110
.LBB122_71:
	s_or_b32 exec_lo, exec_lo, s0
	s_and_saveexec_b32 s0, vcc_lo
	s_cbranch_execnz .LBB122_111
.LBB122_72:
	s_or_b32 exec_lo, exec_lo, s0
	s_and_saveexec_b32 s0, vcc_lo
	s_cbranch_execnz .LBB122_112
.LBB122_73:
	s_or_b32 exec_lo, exec_lo, s0
	s_and_saveexec_b32 s0, vcc_lo
	s_cbranch_execnz .LBB122_113
.LBB122_74:
	s_or_b32 exec_lo, exec_lo, s0
	s_and_saveexec_b32 s0, vcc_lo
	s_cbranch_execnz .LBB122_114
.LBB122_75:
	s_or_b32 exec_lo, exec_lo, s0
	s_and_saveexec_b32 s0, vcc_lo
	s_cbranch_execnz .LBB122_115
.LBB122_76:
	s_or_b32 exec_lo, exec_lo, s0
	s_and_saveexec_b32 s0, vcc_lo
	s_cbranch_execnz .LBB122_116
.LBB122_77:
	s_or_b32 exec_lo, exec_lo, s0
	s_and_saveexec_b32 s0, vcc_lo
	s_cbranch_execz .LBB122_79
.LBB122_78:
	ds_read_b32 v18, v13 offset:448
	s_waitcnt lgkmcnt(0)
	v_add_f32_e32 v5, v5, v18
.LBB122_79:
	s_or_b32 exec_lo, exec_lo, s0
.LBB122_80:
	s_or_b32 exec_lo, exec_lo, s1
	v_and_b32_e32 v18, 0x3e3, v0
	s_mov_b32 s1, exec_lo
	s_barrier
	buffer_gl0_inv
	v_cmpx_eq_u32_e32 32, v18
	s_cbranch_execz .LBB122_82
; %bb.81:
	ds_write2_b32 v17, v16, v15 offset1:8
	ds_write2_b32 v17, v14, v12 offset0:16 offset1:24
	ds_write2_b32 v17, v11, v10 offset0:32 offset1:40
	;; [unrolled: 1-line block ×6, first 2 shown]
	ds_write_b32 v17, v5 offset:448
.LBB122_82:
	s_or_b32 exec_lo, exec_lo, s1
	s_mov_b32 s1, exec_lo
	s_waitcnt lgkmcnt(0)
	s_barrier
	buffer_gl0_inv
	v_cmpx_gt_u32_e32 32, v0
	s_cbranch_execz .LBB122_100
; %bb.83:
	s_and_saveexec_b32 s0, vcc_lo
	s_cbranch_execnz .LBB122_117
; %bb.84:
	s_or_b32 exec_lo, exec_lo, s0
	s_and_saveexec_b32 s0, vcc_lo
	s_cbranch_execnz .LBB122_118
.LBB122_85:
	s_or_b32 exec_lo, exec_lo, s0
	s_and_saveexec_b32 s0, vcc_lo
	s_cbranch_execnz .LBB122_119
.LBB122_86:
	s_or_b32 exec_lo, exec_lo, s0
	s_and_saveexec_b32 s0, vcc_lo
	s_cbranch_execnz .LBB122_120
.LBB122_87:
	s_or_b32 exec_lo, exec_lo, s0
	s_and_saveexec_b32 s0, vcc_lo
	s_cbranch_execnz .LBB122_121
.LBB122_88:
	s_or_b32 exec_lo, exec_lo, s0
	s_and_saveexec_b32 s0, vcc_lo
	s_cbranch_execnz .LBB122_122
.LBB122_89:
	s_or_b32 exec_lo, exec_lo, s0
	s_and_saveexec_b32 s0, vcc_lo
	s_cbranch_execnz .LBB122_123
.LBB122_90:
	s_or_b32 exec_lo, exec_lo, s0
	s_and_saveexec_b32 s0, vcc_lo
	s_cbranch_execnz .LBB122_124
.LBB122_91:
	s_or_b32 exec_lo, exec_lo, s0
	s_and_saveexec_b32 s0, vcc_lo
	s_cbranch_execnz .LBB122_125
.LBB122_92:
	s_or_b32 exec_lo, exec_lo, s0
	s_and_saveexec_b32 s0, vcc_lo
	s_cbranch_execnz .LBB122_126
.LBB122_93:
	s_or_b32 exec_lo, exec_lo, s0
	s_and_saveexec_b32 s0, vcc_lo
	s_cbranch_execnz .LBB122_127
.LBB122_94:
	s_or_b32 exec_lo, exec_lo, s0
	s_and_saveexec_b32 s0, vcc_lo
	s_cbranch_execnz .LBB122_128
.LBB122_95:
	s_or_b32 exec_lo, exec_lo, s0
	s_and_saveexec_b32 s0, vcc_lo
	s_cbranch_execnz .LBB122_129
.LBB122_96:
	s_or_b32 exec_lo, exec_lo, s0
	s_and_saveexec_b32 s0, vcc_lo
	s_cbranch_execnz .LBB122_130
.LBB122_97:
	s_or_b32 exec_lo, exec_lo, s0
	s_and_saveexec_b32 s0, vcc_lo
	s_cbranch_execz .LBB122_99
.LBB122_98:
	ds_read_b32 v13, v13 offset:448
	s_waitcnt lgkmcnt(0)
	v_add_f32_e32 v5, v5, v13
.LBB122_99:
	s_or_b32 exec_lo, exec_lo, s0
.LBB122_100:
	s_or_b32 exec_lo, exec_lo, s1
	s_barrier
	buffer_gl0_inv
	s_mov_b32 s0, exec_lo
	v_cmpx_eq_u32_e32 0, v18
	s_cbranch_execz .LBB122_102
; %bb.101:
	s_mul_i32 s0, s2, 0x78
	s_mul_i32 s2, s7, s10
	s_ashr_i32 s1, s0, 31
	v_lshrrev_b32_e32 v0, 1, v0
	s_lshl_b64 s[0:1], s[0:1], 1
	;;#ASMSTART
	v_cvt_f16_f32 v13, v16;

	;;#ASMEND
	s_add_u32 s4, s20, s0
	s_addc_u32 s5, s21, s1
	s_ashr_i32 s3, s2, 31
	s_lshl_b64 s[0:1], s[2:3], 1
	s_mul_i32 s2, s8, 0x78
	s_add_u32 s4, s4, s0
	s_addc_u32 s5, s5, s1
	s_ashr_i32 s3, s2, 31
	s_lshl_b64 s[0:1], s[2:3], 1
	s_add_u32 s0, s4, s0
	s_addc_u32 s1, s5, s1
	global_store_short v0, v13, s[0:1]
	;;#ASMSTART
	v_cvt_f16_f32 v13, v15;

	;;#ASMEND
	global_store_short v0, v13, s[0:1] offset:16
	;;#ASMSTART
	v_cvt_f16_f32 v13, v14;

	;;#ASMEND
	global_store_short v0, v13, s[0:1] offset:32
	;; [unrolled: 5-line block ×14, first 2 shown]
.LBB122_102:
	s_endpgm
.LBB122_103:
	ds_read_b32 v18, v13
	s_waitcnt lgkmcnt(0)
	v_add_f32_e32 v16, v16, v18
	s_or_b32 exec_lo, exec_lo, s0
	s_and_saveexec_b32 s0, vcc_lo
	s_cbranch_execz .LBB122_65
.LBB122_104:
	ds_read_b32 v18, v13 offset:32
	s_waitcnt lgkmcnt(0)
	v_add_f32_e32 v15, v15, v18
	s_or_b32 exec_lo, exec_lo, s0
	s_and_saveexec_b32 s0, vcc_lo
	s_cbranch_execz .LBB122_66
.LBB122_105:
	ds_read_b32 v18, v13 offset:64
	s_waitcnt lgkmcnt(0)
	v_add_f32_e32 v14, v14, v18
	s_or_b32 exec_lo, exec_lo, s0
	s_and_saveexec_b32 s0, vcc_lo
	s_cbranch_execz .LBB122_67
.LBB122_106:
	ds_read_b32 v18, v13 offset:96
	s_waitcnt lgkmcnt(0)
	v_add_f32_e32 v12, v12, v18
	s_or_b32 exec_lo, exec_lo, s0
	s_and_saveexec_b32 s0, vcc_lo
	s_cbranch_execz .LBB122_68
.LBB122_107:
	ds_read_b32 v18, v13 offset:128
	s_waitcnt lgkmcnt(0)
	v_add_f32_e32 v11, v11, v18
	s_or_b32 exec_lo, exec_lo, s0
	s_and_saveexec_b32 s0, vcc_lo
	s_cbranch_execz .LBB122_69
.LBB122_108:
	ds_read_b32 v18, v13 offset:160
	s_waitcnt lgkmcnt(0)
	v_add_f32_e32 v10, v10, v18
	s_or_b32 exec_lo, exec_lo, s0
	s_and_saveexec_b32 s0, vcc_lo
	s_cbranch_execz .LBB122_70
.LBB122_109:
	ds_read_b32 v18, v13 offset:192
	s_waitcnt lgkmcnt(0)
	v_add_f32_e32 v9, v9, v18
	s_or_b32 exec_lo, exec_lo, s0
	s_and_saveexec_b32 s0, vcc_lo
	s_cbranch_execz .LBB122_71
.LBB122_110:
	ds_read_b32 v18, v13 offset:224
	s_waitcnt lgkmcnt(0)
	v_add_f32_e32 v8, v8, v18
	s_or_b32 exec_lo, exec_lo, s0
	s_and_saveexec_b32 s0, vcc_lo
	s_cbranch_execz .LBB122_72
.LBB122_111:
	ds_read_b32 v18, v13 offset:256
	s_waitcnt lgkmcnt(0)
	v_add_f32_e32 v7, v7, v18
	s_or_b32 exec_lo, exec_lo, s0
	s_and_saveexec_b32 s0, vcc_lo
	s_cbranch_execz .LBB122_73
.LBB122_112:
	ds_read_b32 v18, v13 offset:288
	s_waitcnt lgkmcnt(0)
	v_add_f32_e32 v6, v6, v18
	s_or_b32 exec_lo, exec_lo, s0
	s_and_saveexec_b32 s0, vcc_lo
	s_cbranch_execz .LBB122_74
.LBB122_113:
	ds_read_b32 v18, v13 offset:320
	s_waitcnt lgkmcnt(0)
	v_add_f32_e32 v3, v3, v18
	s_or_b32 exec_lo, exec_lo, s0
	s_and_saveexec_b32 s0, vcc_lo
	s_cbranch_execz .LBB122_75
.LBB122_114:
	ds_read_b32 v18, v13 offset:352
	s_waitcnt lgkmcnt(0)
	v_add_f32_e32 v2, v2, v18
	s_or_b32 exec_lo, exec_lo, s0
	s_and_saveexec_b32 s0, vcc_lo
	s_cbranch_execz .LBB122_76
.LBB122_115:
	ds_read_b32 v18, v13 offset:384
	s_waitcnt lgkmcnt(0)
	v_add_f32_e32 v1, v1, v18
	s_or_b32 exec_lo, exec_lo, s0
	s_and_saveexec_b32 s0, vcc_lo
	s_cbranch_execz .LBB122_77
.LBB122_116:
	ds_read_b32 v18, v13 offset:416
	s_waitcnt lgkmcnt(0)
	v_add_f32_e32 v4, v4, v18
	s_or_b32 exec_lo, exec_lo, s0
	s_and_saveexec_b32 s0, vcc_lo
	s_cbranch_execnz .LBB122_78
	s_branch .LBB122_79
.LBB122_117:
	ds_read_b32 v17, v13
	s_waitcnt lgkmcnt(0)
	v_add_f32_e32 v16, v16, v17
	s_or_b32 exec_lo, exec_lo, s0
	s_and_saveexec_b32 s0, vcc_lo
	s_cbranch_execz .LBB122_85
.LBB122_118:
	ds_read_b32 v17, v13 offset:32
	s_waitcnt lgkmcnt(0)
	v_add_f32_e32 v15, v15, v17
	s_or_b32 exec_lo, exec_lo, s0
	s_and_saveexec_b32 s0, vcc_lo
	s_cbranch_execz .LBB122_86
.LBB122_119:
	ds_read_b32 v17, v13 offset:64
	s_waitcnt lgkmcnt(0)
	v_add_f32_e32 v14, v14, v17
	s_or_b32 exec_lo, exec_lo, s0
	s_and_saveexec_b32 s0, vcc_lo
	s_cbranch_execz .LBB122_87
.LBB122_120:
	ds_read_b32 v17, v13 offset:96
	s_waitcnt lgkmcnt(0)
	v_add_f32_e32 v12, v12, v17
	s_or_b32 exec_lo, exec_lo, s0
	s_and_saveexec_b32 s0, vcc_lo
	s_cbranch_execz .LBB122_88
.LBB122_121:
	ds_read_b32 v17, v13 offset:128
	s_waitcnt lgkmcnt(0)
	v_add_f32_e32 v11, v11, v17
	s_or_b32 exec_lo, exec_lo, s0
	s_and_saveexec_b32 s0, vcc_lo
	s_cbranch_execz .LBB122_89
.LBB122_122:
	ds_read_b32 v17, v13 offset:160
	s_waitcnt lgkmcnt(0)
	v_add_f32_e32 v10, v10, v17
	s_or_b32 exec_lo, exec_lo, s0
	s_and_saveexec_b32 s0, vcc_lo
	s_cbranch_execz .LBB122_90
.LBB122_123:
	ds_read_b32 v17, v13 offset:192
	s_waitcnt lgkmcnt(0)
	v_add_f32_e32 v9, v9, v17
	s_or_b32 exec_lo, exec_lo, s0
	s_and_saveexec_b32 s0, vcc_lo
	s_cbranch_execz .LBB122_91
.LBB122_124:
	ds_read_b32 v17, v13 offset:224
	s_waitcnt lgkmcnt(0)
	v_add_f32_e32 v8, v8, v17
	s_or_b32 exec_lo, exec_lo, s0
	s_and_saveexec_b32 s0, vcc_lo
	s_cbranch_execz .LBB122_92
.LBB122_125:
	ds_read_b32 v17, v13 offset:256
	s_waitcnt lgkmcnt(0)
	v_add_f32_e32 v7, v7, v17
	s_or_b32 exec_lo, exec_lo, s0
	s_and_saveexec_b32 s0, vcc_lo
	s_cbranch_execz .LBB122_93
.LBB122_126:
	ds_read_b32 v17, v13 offset:288
	s_waitcnt lgkmcnt(0)
	v_add_f32_e32 v6, v6, v17
	s_or_b32 exec_lo, exec_lo, s0
	s_and_saveexec_b32 s0, vcc_lo
	s_cbranch_execz .LBB122_94
.LBB122_127:
	ds_read_b32 v17, v13 offset:320
	s_waitcnt lgkmcnt(0)
	v_add_f32_e32 v3, v3, v17
	s_or_b32 exec_lo, exec_lo, s0
	s_and_saveexec_b32 s0, vcc_lo
	s_cbranch_execz .LBB122_95
.LBB122_128:
	ds_read_b32 v17, v13 offset:352
	s_waitcnt lgkmcnt(0)
	v_add_f32_e32 v2, v2, v17
	s_or_b32 exec_lo, exec_lo, s0
	s_and_saveexec_b32 s0, vcc_lo
	s_cbranch_execz .LBB122_96
.LBB122_129:
	ds_read_b32 v17, v13 offset:384
	s_waitcnt lgkmcnt(0)
	v_add_f32_e32 v1, v1, v17
	s_or_b32 exec_lo, exec_lo, s0
	s_and_saveexec_b32 s0, vcc_lo
	s_cbranch_execz .LBB122_97
.LBB122_130:
	ds_read_b32 v17, v13 offset:416
	s_waitcnt lgkmcnt(0)
	v_add_f32_e32 v4, v4, v17
	s_or_b32 exec_lo, exec_lo, s0
	s_and_saveexec_b32 s0, vcc_lo
	s_cbranch_execnz .LBB122_98
	s_branch .LBB122_99
	.section	.rodata,"a",@progbits
	.p2align	6, 0x0
	.amdhsa_kernel _ZN4vllm25paged_attention_v2_kernelIttLi120ELi32ELi128ELNS_18Fp8KVCacheDataTypeE0ELb0ELi512EEEvPfS2_PT_PKS3_PKT0_S9_ifPKiSB_iPKfiiiSD_SD_iiiii
		.amdhsa_group_segment_fixed_size 272
		.amdhsa_private_segment_fixed_size 0
		.amdhsa_kernarg_size 400
		.amdhsa_user_sgpr_count 6
		.amdhsa_user_sgpr_private_segment_buffer 1
		.amdhsa_user_sgpr_dispatch_ptr 0
		.amdhsa_user_sgpr_queue_ptr 0
		.amdhsa_user_sgpr_kernarg_segment_ptr 1
		.amdhsa_user_sgpr_dispatch_id 0
		.amdhsa_user_sgpr_flat_scratch_init 0
		.amdhsa_user_sgpr_private_segment_size 0
		.amdhsa_wavefront_size32 1
		.amdhsa_uses_dynamic_stack 0
		.amdhsa_system_sgpr_private_segment_wavefront_offset 0
		.amdhsa_system_sgpr_workgroup_id_x 1
		.amdhsa_system_sgpr_workgroup_id_y 1
		.amdhsa_system_sgpr_workgroup_id_z 1
		.amdhsa_system_sgpr_workgroup_info 0
		.amdhsa_system_vgpr_workitem_id 0
		.amdhsa_next_free_vgpr 95
		.amdhsa_next_free_sgpr 38
		.amdhsa_reserve_vcc 1
		.amdhsa_reserve_flat_scratch 0
		.amdhsa_float_round_mode_32 0
		.amdhsa_float_round_mode_16_64 0
		.amdhsa_float_denorm_mode_32 3
		.amdhsa_float_denorm_mode_16_64 3
		.amdhsa_dx10_clamp 1
		.amdhsa_ieee_mode 1
		.amdhsa_fp16_overflow 0
		.amdhsa_workgroup_processor_mode 1
		.amdhsa_memory_ordered 1
		.amdhsa_forward_progress 1
		.amdhsa_shared_vgpr_count 0
		.amdhsa_exception_fp_ieee_invalid_op 0
		.amdhsa_exception_fp_denorm_src 0
		.amdhsa_exception_fp_ieee_div_zero 0
		.amdhsa_exception_fp_ieee_overflow 0
		.amdhsa_exception_fp_ieee_underflow 0
		.amdhsa_exception_fp_ieee_inexact 0
		.amdhsa_exception_int_div_zero 0
	.end_amdhsa_kernel
	.section	.text._ZN4vllm25paged_attention_v2_kernelIttLi120ELi32ELi128ELNS_18Fp8KVCacheDataTypeE0ELb0ELi512EEEvPfS2_PT_PKS3_PKT0_S9_ifPKiSB_iPKfiiiSD_SD_iiiii,"axG",@progbits,_ZN4vllm25paged_attention_v2_kernelIttLi120ELi32ELi128ELNS_18Fp8KVCacheDataTypeE0ELb0ELi512EEEvPfS2_PT_PKS3_PKT0_S9_ifPKiSB_iPKfiiiSD_SD_iiiii,comdat
.Lfunc_end122:
	.size	_ZN4vllm25paged_attention_v2_kernelIttLi120ELi32ELi128ELNS_18Fp8KVCacheDataTypeE0ELb0ELi512EEEvPfS2_PT_PKS3_PKT0_S9_ifPKiSB_iPKfiiiSD_SD_iiiii, .Lfunc_end122-_ZN4vllm25paged_attention_v2_kernelIttLi120ELi32ELi128ELNS_18Fp8KVCacheDataTypeE0ELb0ELi512EEEvPfS2_PT_PKS3_PKT0_S9_ifPKiSB_iPKfiiiSD_SD_iiiii
                                        ; -- End function
	.set _ZN4vllm25paged_attention_v2_kernelIttLi120ELi32ELi128ELNS_18Fp8KVCacheDataTypeE0ELb0ELi512EEEvPfS2_PT_PKS3_PKT0_S9_ifPKiSB_iPKfiiiSD_SD_iiiii.num_vgpr, 95
	.set _ZN4vllm25paged_attention_v2_kernelIttLi120ELi32ELi128ELNS_18Fp8KVCacheDataTypeE0ELb0ELi512EEEvPfS2_PT_PKS3_PKT0_S9_ifPKiSB_iPKfiiiSD_SD_iiiii.num_agpr, 0
	.set _ZN4vllm25paged_attention_v2_kernelIttLi120ELi32ELi128ELNS_18Fp8KVCacheDataTypeE0ELb0ELi512EEEvPfS2_PT_PKS3_PKT0_S9_ifPKiSB_iPKfiiiSD_SD_iiiii.numbered_sgpr, 38
	.set _ZN4vllm25paged_attention_v2_kernelIttLi120ELi32ELi128ELNS_18Fp8KVCacheDataTypeE0ELb0ELi512EEEvPfS2_PT_PKS3_PKT0_S9_ifPKiSB_iPKfiiiSD_SD_iiiii.num_named_barrier, 0
	.set _ZN4vllm25paged_attention_v2_kernelIttLi120ELi32ELi128ELNS_18Fp8KVCacheDataTypeE0ELb0ELi512EEEvPfS2_PT_PKS3_PKT0_S9_ifPKiSB_iPKfiiiSD_SD_iiiii.private_seg_size, 0
	.set _ZN4vllm25paged_attention_v2_kernelIttLi120ELi32ELi128ELNS_18Fp8KVCacheDataTypeE0ELb0ELi512EEEvPfS2_PT_PKS3_PKT0_S9_ifPKiSB_iPKfiiiSD_SD_iiiii.uses_vcc, 1
	.set _ZN4vllm25paged_attention_v2_kernelIttLi120ELi32ELi128ELNS_18Fp8KVCacheDataTypeE0ELb0ELi512EEEvPfS2_PT_PKS3_PKT0_S9_ifPKiSB_iPKfiiiSD_SD_iiiii.uses_flat_scratch, 0
	.set _ZN4vllm25paged_attention_v2_kernelIttLi120ELi32ELi128ELNS_18Fp8KVCacheDataTypeE0ELb0ELi512EEEvPfS2_PT_PKS3_PKT0_S9_ifPKiSB_iPKfiiiSD_SD_iiiii.has_dyn_sized_stack, 0
	.set _ZN4vllm25paged_attention_v2_kernelIttLi120ELi32ELi128ELNS_18Fp8KVCacheDataTypeE0ELb0ELi512EEEvPfS2_PT_PKS3_PKT0_S9_ifPKiSB_iPKfiiiSD_SD_iiiii.has_recursion, 0
	.set _ZN4vllm25paged_attention_v2_kernelIttLi120ELi32ELi128ELNS_18Fp8KVCacheDataTypeE0ELb0ELi512EEEvPfS2_PT_PKS3_PKT0_S9_ifPKiSB_iPKfiiiSD_SD_iiiii.has_indirect_call, 0
	.section	.AMDGPU.csdata,"",@progbits
; Kernel info:
; codeLenInByte = 18176
; TotalNumSgprs: 40
; NumVgprs: 95
; ScratchSize: 0
; MemoryBound: 0
; FloatMode: 240
; IeeeMode: 1
; LDSByteSize: 272 bytes/workgroup (compile time only)
; SGPRBlocks: 0
; VGPRBlocks: 11
; NumSGPRsForWavesPerEU: 40
; NumVGPRsForWavesPerEU: 95
; Occupancy: 10
; WaveLimiterHint : 1
; COMPUTE_PGM_RSRC2:SCRATCH_EN: 0
; COMPUTE_PGM_RSRC2:USER_SGPR: 6
; COMPUTE_PGM_RSRC2:TRAP_HANDLER: 0
; COMPUTE_PGM_RSRC2:TGID_X_EN: 1
; COMPUTE_PGM_RSRC2:TGID_Y_EN: 1
; COMPUTE_PGM_RSRC2:TGID_Z_EN: 1
; COMPUTE_PGM_RSRC2:TIDIG_COMP_CNT: 0
	.section	.text._ZN4vllm25paged_attention_v2_kernelIttLi128ELi32ELi128ELNS_18Fp8KVCacheDataTypeE0ELb0ELi512EEEvPfS2_PT_PKS3_PKT0_S9_ifPKiSB_iPKfiiiSD_SD_iiiii,"axG",@progbits,_ZN4vllm25paged_attention_v2_kernelIttLi128ELi32ELi128ELNS_18Fp8KVCacheDataTypeE0ELb0ELi512EEEvPfS2_PT_PKS3_PKT0_S9_ifPKiSB_iPKfiiiSD_SD_iiiii,comdat
	.protected	_ZN4vllm25paged_attention_v2_kernelIttLi128ELi32ELi128ELNS_18Fp8KVCacheDataTypeE0ELb0ELi512EEEvPfS2_PT_PKS3_PKT0_S9_ifPKiSB_iPKfiiiSD_SD_iiiii ; -- Begin function _ZN4vllm25paged_attention_v2_kernelIttLi128ELi32ELi128ELNS_18Fp8KVCacheDataTypeE0ELb0ELi512EEEvPfS2_PT_PKS3_PKT0_S9_ifPKiSB_iPKfiiiSD_SD_iiiii
	.globl	_ZN4vllm25paged_attention_v2_kernelIttLi128ELi32ELi128ELNS_18Fp8KVCacheDataTypeE0ELb0ELi512EEEvPfS2_PT_PKS3_PKT0_S9_ifPKiSB_iPKfiiiSD_SD_iiiii
	.p2align	8
	.type	_ZN4vllm25paged_attention_v2_kernelIttLi128ELi32ELi128ELNS_18Fp8KVCacheDataTypeE0ELb0ELi512EEEvPfS2_PT_PKS3_PKT0_S9_ifPKiSB_iPKfiiiSD_SD_iiiii,@function
_ZN4vllm25paged_attention_v2_kernelIttLi128ELi32ELi128ELNS_18Fp8KVCacheDataTypeE0ELb0ELi512EEEvPfS2_PT_PKS3_PKT0_S9_ifPKiSB_iPKfiiiSD_SD_iiiii: ; @_ZN4vllm25paged_attention_v2_kernelIttLi128ELi32ELi128ELNS_18Fp8KVCacheDataTypeE0ELb0ELi512EEEvPfS2_PT_PKS3_PKT0_S9_ifPKiSB_iPKfiiiSD_SD_iiiii
; %bb.0:
	s_load_dwordx2 s[0:1], s[4:5], 0x40
	s_mov_b32 s24, s7
	s_ashr_i32 s25, s7, 31
	s_lshl_b64 s[2:3], s[24:25], 2
	s_waitcnt lgkmcnt(0)
	s_add_u32 s0, s0, s2
	s_addc_u32 s1, s1, s3
	s_lshl_b32 s30, s8, 9
	s_load_dword s25, s[0:1], 0x0
	s_waitcnt lgkmcnt(0)
	s_cmp_ge_i32 s30, s25
	s_cbranch_scc1 .LBB123_106
; %bb.1:
	s_clause 0x1
	s_load_dword s9, s[4:5], 0x90
	s_load_dwordx2 s[2:3], s[4:5], 0x30
	s_mov_b32 s31, 0
	s_waitcnt lgkmcnt(0)
	s_abs_i32 s10, s9
	s_abs_i32 s0, s2
	s_xor_b32 s2, s9, s2
	v_cvt_f32_u32_e32 v1, s0
	s_sub_i32 s7, 0, s0
	s_ashr_i32 s2, s2, 31
	v_rcp_iflag_f32_e32 v1, v1
	v_mul_f32_e32 v1, 0x4f7ffffe, v1
	v_cvt_u32_f32_e32 v1, v1
	v_readfirstlane_b32 s1, v1
	s_mul_i32 s7, s7, s1
	s_mul_hi_u32 s7, s1, s7
	s_add_i32 s1, s1, s7
	s_mul_hi_u32 s1, s10, s1
	s_mul_i32 s7, s1, s0
	s_sub_i32 s7, s10, s7
	s_add_i32 s10, s1, 1
	s_sub_i32 s11, s7, s0
	s_cmp_ge_u32 s7, s0
	s_cselect_b32 s1, s10, s1
	s_cselect_b32 s7, s11, s7
	s_add_i32 s10, s1, 1
	s_cmp_ge_u32 s7, s0
	s_cselect_b32 s0, s10, s1
	s_abs_i32 s33, s6
	s_xor_b32 s0, s0, s2
	s_sub_i32 s2, s0, s2
	s_load_dwordx2 s[0:1], s[4:5], 0x50
	s_abs_i32 s28, s2
	v_cvt_f32_u32_e32 v1, s28
	s_sub_i32 s10, 0, s28
	v_rcp_iflag_f32_e32 v1, v1
	v_mul_f32_e32 v1, 0x4f7ffffe, v1
	v_cvt_u32_f32_e32 v1, v1
	v_readfirstlane_b32 s7, v1
	s_mul_i32 s10, s10, s7
	s_mul_hi_u32 s10, s7, s10
	s_add_i32 s7, s7, s10
	s_waitcnt lgkmcnt(0)
	s_cmp_eq_u64 s[0:1], 0
	s_mul_hi_u32 s29, s33, s7
	s_cbranch_scc1 .LBB123_3
; %bb.2:
	s_ashr_i32 s7, s6, 31
	s_lshl_b64 s[10:11], s[6:7], 2
	s_add_u32 s0, s0, s10
	s_addc_u32 s1, s1, s11
	s_load_dword s31, s[0:1], 0x0
.LBB123_3:
	s_clause 0x1
	s_load_dwordx2 s[22:23], s[4:5], 0x38
	s_load_dwordx4 s[12:15], s[4:5], 0x58
	v_lshlrev_b32_e32 v71, 4, v0
	s_ashr_i32 s0, s6, 31
	s_ashr_i32 s1, s2, 31
	s_lshl_b32 s10, s6, 7
	s_mov_b32 s2, exec_lo
	v_cmpx_gt_u32_e32 16, v0
	s_cbranch_execz .LBB123_5
; %bb.4:
	s_load_dwordx2 s[16:17], s[4:5], 0x18
	s_waitcnt lgkmcnt(0)
	s_mul_i32 s18, s12, s24
	s_ashr_i32 s19, s18, 31
	s_lshl_b64 s[18:19], s[18:19], 1
	s_add_u32 s7, s16, s18
	s_addc_u32 s12, s17, s19
	s_ashr_i32 s11, s10, 31
	s_lshl_b64 s[16:17], s[10:11], 1
	s_add_u32 s16, s7, s16
	s_addc_u32 s17, s12, s17
	global_load_dwordx4 v[1:4], v71, s[16:17]
	s_waitcnt vmcnt(0)
	ds_write_b128 v71, v[1:4]
.LBB123_5:
	s_or_b32 exec_lo, exec_lo, s2
	s_add_i32 s7, s25, 31
	s_clause 0x1
	s_load_dwordx4 s[16:19], s[4:5], 0x0
	s_load_dwordx2 s[20:21], s[4:5], 0x10
	s_ashr_i32 s2, s7, 31
	s_mul_i32 s34, s29, s28
	s_lshr_b32 s11, s2, 27
	s_lshl_b32 s2, s8, 4
	s_add_i32 s7, s7, s11
	s_add_i32 s11, s2, 16
	s_waitcnt lgkmcnt(0)
	s_ashr_i32 s12, s7, 5
	s_clause 0x2
	s_load_dwordx2 s[26:27], s[4:5], 0x28
	s_load_dword s7, s[4:5], 0x98
	s_load_dword s15, s[4:5], 0x48
	s_xor_b32 s0, s0, s1
	s_sub_i32 s1, s33, s34
	s_min_i32 s11, s11, s12
	s_add_i32 s33, s29, 1
	s_sub_i32 s34, s1, s28
	s_cmp_ge_u32 s1, s28
	v_lshrrev_b32_e32 v69, 5, v0
	s_cselect_b32 s29, s33, s29
	s_cselect_b32 s1, s34, s1
	s_add_i32 s33, s29, 1
	s_cmp_ge_u32 s1, s28
	v_add_nc_u32_e32 v65, s2, v69
	v_and_b32_e32 v70, 31, v0
	s_cselect_b32 s1, s33, s29
	v_mov_b32_e32 v73, 0xff7fffff
	s_xor_b32 s1, s1, s0
	v_ashrrev_i32_e32 v66, 31, v65
	s_sub_i32 s1, s1, s0
	v_cmp_gt_i32_e64 s0, s11, v65
	v_lshlrev_b32_e32 v72, 2, v70
	s_waitcnt lgkmcnt(0)
	s_mul_i32 s28, s15, s24
	s_mul_i32 s14, s1, s14
	s_ashr_i32 s29, s28, 31
	s_barrier
	buffer_gl0_inv
	s_and_saveexec_b32 s33, s0
	s_cbranch_execz .LBB123_9
; %bb.6:
	s_load_dwordx2 s[4:5], s[4:5], 0x20
	s_ashr_i32 s15, s14, 31
	v_lshlrev_b32_e32 v3, 4, v70
	s_lshl_b64 s[34:35], s[14:15], 1
	v_lshlrev_b64 v[1:2], 2, v[65:66]
	v_lshlrev_b32_e32 v4, 5, v69
	v_lshl_or_b32 v5, v69, 7, v72
	v_mov_b32_e32 v74, 0
	v_cmp_neq_f32_e64 vcc_lo, s31, 0
	v_mov_b32_e32 v73, 0xff7fffff
	v_add3_u32 v75, s30, v4, v70
	v_add_nc_u32_e32 v76, 0x120, v5
	v_mov_b32_e32 v79, v65
	s_mov_b32 s15, s13
	s_waitcnt lgkmcnt(0)
	s_add_u32 s1, s4, s34
	s_addc_u32 s5, s5, s35
	s_lshl_b64 s[34:35], s[28:29], 2
	v_add_co_u32 v77, s1, s1, v3
	s_sub_i32 s4, 1, s25
	v_add_co_ci_u32_e64 v78, null, s5, 0, s1
	s_add_u32 s1, s22, s34
	s_addc_u32 s5, s23, s35
	v_add_co_u32 v67, s1, s1, v1
	v_add_co_ci_u32_e64 v68, null, s5, v2, s1
	s_mov_b32 s5, 0
.LBB123_7:                              ; =>This Inner Loop Header: Depth=1
	global_load_dword v1, v[67:68], off
	v_add_nc_u32_e32 v3, s4, v75
	v_add_nc_u32_e32 v79, 4, v79
	v_cvt_f32_i32_e32 v3, v3
	v_mul_f32_e32 v3, s31, v3
	v_cndmask_b32_e32 v80, 0, v3, vcc_lo
	s_waitcnt vmcnt(0)
	v_mad_i64_i32 v[1:2], null, v1, s15, 0
	v_lshlrev_b64 v[1:2], 1, v[1:2]
	v_add_co_u32 v1, s1, v77, v1
	v_add_co_ci_u32_e64 v2, null, v78, v2, s1
	s_clause 0x3
	global_load_dwordx4 v[61:64], v[1:2], off
	global_load_dwordx4 v[57:60], v[1:2], off offset:512
	global_load_dwordx4 v[53:56], v[1:2], off offset:1024
	;; [unrolled: 1-line block ×3, first 2 shown]
	v_add_co_u32 v3, s1, 0x800, v1
	v_add_co_ci_u32_e64 v4, null, 0, v2, s1
	v_add_co_u32 v5, s1, v1, 0x1000
	v_add_co_ci_u32_e64 v6, null, 0, v2, s1
	s_clause 0x3
	global_load_dwordx4 v[45:48], v[5:6], off offset:-2048
	global_load_dwordx4 v[41:44], v[3:4], off offset:512
	global_load_dwordx4 v[37:40], v[3:4], off offset:1024
	;; [unrolled: 1-line block ×3, first 2 shown]
	v_add_co_u32 v3, s1, 0x1000, v1
	v_add_co_ci_u32_e64 v4, null, 0, v2, s1
	s_clause 0x3
	global_load_dwordx4 v[29:32], v[5:6], off
	global_load_dwordx4 v[25:28], v[3:4], off offset:512
	global_load_dwordx4 v[21:24], v[3:4], off offset:1024
	;; [unrolled: 1-line block ×3, first 2 shown]
	v_add_co_u32 v1, s1, 0x1800, v1
	v_add_co_ci_u32_e64 v2, null, 0, v2, s1
	s_clause 0x3
	global_load_dwordx4 v[13:16], v[1:2], off
	global_load_dwordx4 v[9:12], v[1:2], off offset:512
	global_load_dwordx4 v[5:8], v[1:2], off offset:1024
	;; [unrolled: 1-line block ×3, first 2 shown]
	ds_read_b128 v[81:84], v74
	v_cmp_gt_i32_e64 s1, s25, v75
	v_add_nc_u32_e32 v75, 0x80, v75
	s_waitcnt lgkmcnt(0)
	v_lshrrev_b32_e32 v85, 16, v81
	v_and_b32_e32 v81, 0xffff, v81
	;;#ASMSTART
	v_cvt_f32_f16 v81, v81;
	;;#ASMEND
	;;#ASMSTART
	v_cvt_f32_f16 v85, v85;
	;;#ASMEND
	s_waitcnt vmcnt(15)
	v_lshrrev_b32_e32 v87, 16, v61
	v_and_b32_e32 v61, 0xffff, v61
	;;#ASMSTART
	v_cvt_f32_f16 v86, v61;
	;;#ASMEND
	v_lshrrev_b32_e32 v61, 16, v82
	v_and_b32_e32 v82, 0xffff, v82
	;;#ASMSTART
	v_cvt_f32_f16 v87, v87;
	;;#ASMEND
	;;#ASMSTART
	v_cvt_f32_f16 v82, v82;
	;;#ASMEND
	;; [unrolled: 3-line block ×3, first 2 shown]
	v_lshrrev_b32_e32 v61, 16, v62
	v_and_b32_e32 v62, 0xffff, v62
	;;#ASMSTART
	v_cvt_f32_f16 v89, v62;
	;;#ASMEND
	;;#ASMSTART
	v_cvt_f32_f16 v90, v61;
	;;#ASMEND
	v_lshrrev_b32_e32 v61, 16, v83
	v_and_b32_e32 v62, 0xffff, v83
	;;#ASMSTART
	v_cvt_f32_f16 v83, v62;
	;;#ASMEND
	;;#ASMSTART
	v_cvt_f32_f16 v91, v61;
	;;#ASMEND
	;; [unrolled: 8-line block ×5, first 2 shown]
	ds_read_b128 v[61:64], v74 offset:16
	s_waitcnt vmcnt(14)
	v_lshrrev_b32_e32 v98, 16, v57
	v_and_b32_e32 v57, 0xffff, v57
	s_waitcnt lgkmcnt(0)
	v_lshrrev_b32_e32 v97, 16, v61
	v_and_b32_e32 v61, 0xffff, v61
	;;#ASMSTART
	v_cvt_f32_f16 v61, v61;
	;;#ASMEND
	;;#ASMSTART
	v_cvt_f32_f16 v97, v97;
	;;#ASMEND
	;; [unrolled: 3-line block ×4, first 2 shown]
	v_mul_f32_e32 v57, v61, v57
	v_mul_f32_e32 v61, v97, v98
	v_fmac_f32_e32 v57, v81, v86
	v_fmac_f32_e32 v61, v85, v87
	v_lshrrev_b32_e32 v81, 16, v62
	v_and_b32_e32 v62, 0xffff, v62
	v_lshrrev_b32_e32 v85, 16, v58
	v_and_b32_e32 v58, 0xffff, v58
	;;#ASMSTART
	v_cvt_f32_f16 v62, v62;
	;;#ASMEND
	;;#ASMSTART
	v_cvt_f32_f16 v81, v81;
	;;#ASMEND
	;; [unrolled: 3-line block ×3, first 2 shown]
	v_mul_f32_e32 v58, v62, v58
	;;#ASMSTART
	v_cvt_f32_f16 v85, v85;
	;;#ASMEND
	v_mul_f32_e32 v62, v81, v85
	v_lshrrev_b32_e32 v81, 16, v63
	v_and_b32_e32 v63, 0xffff, v63
	v_fmac_f32_e32 v58, v82, v89
	v_lshrrev_b32_e32 v82, 16, v59
	v_and_b32_e32 v59, 0xffff, v59
	;;#ASMSTART
	v_cvt_f32_f16 v63, v63;
	;;#ASMEND
	;;#ASMSTART
	v_cvt_f32_f16 v81, v81;
	;;#ASMEND
	;; [unrolled: 3-line block ×4, first 2 shown]
	v_mul_f32_e32 v59, v63, v59
	v_mul_f32_e32 v63, v81, v82
	v_lshrrev_b32_e32 v81, 16, v64
	v_and_b32_e32 v64, 0xffff, v64
	v_lshrrev_b32_e32 v82, 16, v60
	v_and_b32_e32 v60, 0xffff, v60
	;;#ASMSTART
	v_cvt_f32_f16 v64, v64;
	;;#ASMEND
	;;#ASMSTART
	v_cvt_f32_f16 v81, v81;
	;;#ASMEND
	;; [unrolled: 3-line block ×3, first 2 shown]
	v_mul_f32_e32 v60, v64, v60
	;;#ASMSTART
	v_cvt_f32_f16 v82, v82;
	;;#ASMEND
	v_fmac_f32_e32 v59, v83, v92
	v_mul_f32_e32 v64, v81, v82
	v_fmac_f32_e32 v62, v88, v90
	v_fmac_f32_e32 v60, v84, v95
	ds_read_b128 v[81:84], v74 offset:32
	s_waitcnt vmcnt(13)
	v_lshrrev_b32_e32 v86, 16, v53
	v_and_b32_e32 v53, 0xffff, v53
	v_fmac_f32_e32 v63, v91, v93
	v_fmac_f32_e32 v64, v94, v96
	s_waitcnt lgkmcnt(0)
	v_lshrrev_b32_e32 v85, 16, v81
	v_and_b32_e32 v81, 0xffff, v81
	;;#ASMSTART
	v_cvt_f32_f16 v81, v81;
	;;#ASMEND
	;;#ASMSTART
	v_cvt_f32_f16 v85, v85;
	;;#ASMEND
	;;#ASMSTART
	v_cvt_f32_f16 v53, v53;
	;;#ASMEND
	v_fmac_f32_e32 v57, v81, v53
	v_lshrrev_b32_e32 v81, 16, v82
	v_and_b32_e32 v53, 0xffff, v82
	v_lshrrev_b32_e32 v82, 16, v54
	v_and_b32_e32 v54, 0xffff, v54
	;;#ASMSTART
	v_cvt_f32_f16 v86, v86;
	;;#ASMEND
	;;#ASMSTART
	v_cvt_f32_f16 v53, v53;
	;;#ASMEND
	;; [unrolled: 3-line block ×5, first 2 shown]
	v_fmac_f32_e32 v58, v53, v54
	v_fmac_f32_e32 v62, v81, v82
	v_lshrrev_b32_e32 v54, 16, v83
	v_and_b32_e32 v53, 0xffff, v83
	v_lshrrev_b32_e32 v81, 16, v55
	v_and_b32_e32 v55, 0xffff, v55
	;;#ASMSTART
	v_cvt_f32_f16 v53, v53;
	;;#ASMEND
	;;#ASMSTART
	v_cvt_f32_f16 v54, v54;
	;;#ASMEND
	;; [unrolled: 3-line block ×4, first 2 shown]
	v_fmac_f32_e32 v59, v53, v55
	v_fmac_f32_e32 v63, v54, v81
	v_lshrrev_b32_e32 v54, 16, v84
	v_and_b32_e32 v53, 0xffff, v84
	v_and_b32_e32 v55, 0xffff, v56
	;;#ASMSTART
	v_cvt_f32_f16 v53, v53;
	;;#ASMEND
	;;#ASMSTART
	v_cvt_f32_f16 v54, v54;
	;;#ASMEND
	v_lshrrev_b32_e32 v81, 16, v56
	;;#ASMSTART
	v_cvt_f32_f16 v55, v55;
	;;#ASMEND
	;;#ASMSTART
	v_cvt_f32_f16 v56, v81;
	;;#ASMEND
	v_fmac_f32_e32 v60, v53, v55
	v_fmac_f32_e32 v64, v54, v56
	ds_read_b128 v[53:56], v74 offset:48
	s_waitcnt vmcnt(12)
	v_lshrrev_b32_e32 v82, 16, v49
	v_and_b32_e32 v49, 0xffff, v49
	v_fmac_f32_e32 v61, v85, v86
	s_waitcnt lgkmcnt(0)
	v_lshrrev_b32_e32 v81, 16, v53
	v_and_b32_e32 v53, 0xffff, v53
	;;#ASMSTART
	v_cvt_f32_f16 v53, v53;
	;;#ASMEND
	;;#ASMSTART
	v_cvt_f32_f16 v81, v81;
	;;#ASMEND
	;; [unrolled: 3-line block ×3, first 2 shown]
	v_fmac_f32_e32 v57, v53, v49
	v_lshrrev_b32_e32 v53, 16, v54
	v_and_b32_e32 v49, 0xffff, v54
	v_lshrrev_b32_e32 v54, 16, v50
	v_and_b32_e32 v50, 0xffff, v50
	;;#ASMSTART
	v_cvt_f32_f16 v82, v82;
	;;#ASMEND
	;;#ASMSTART
	v_cvt_f32_f16 v49, v49;
	;;#ASMEND
	;; [unrolled: 3-line block ×5, first 2 shown]
	v_fmac_f32_e32 v58, v49, v50
	v_fmac_f32_e32 v62, v53, v54
	v_lshrrev_b32_e32 v50, 16, v55
	v_and_b32_e32 v49, 0xffff, v55
	v_lshrrev_b32_e32 v53, 16, v51
	v_and_b32_e32 v51, 0xffff, v51
	;;#ASMSTART
	v_cvt_f32_f16 v49, v49;
	;;#ASMEND
	;;#ASMSTART
	v_cvt_f32_f16 v50, v50;
	;;#ASMEND
	;;#ASMSTART
	v_cvt_f32_f16 v51, v51;
	;;#ASMEND
	;;#ASMSTART
	v_cvt_f32_f16 v53, v53;
	;;#ASMEND
	v_fmac_f32_e32 v59, v49, v51
	v_fmac_f32_e32 v63, v50, v53
	v_lshrrev_b32_e32 v50, 16, v56
	v_and_b32_e32 v49, 0xffff, v56
	v_and_b32_e32 v51, 0xffff, v52
	;;#ASMSTART
	v_cvt_f32_f16 v49, v49;
	;;#ASMEND
	;;#ASMSTART
	v_cvt_f32_f16 v50, v50;
	;;#ASMEND
	v_lshrrev_b32_e32 v53, 16, v52
	;;#ASMSTART
	v_cvt_f32_f16 v51, v51;
	;;#ASMEND
	;;#ASMSTART
	v_cvt_f32_f16 v52, v53;
	;;#ASMEND
	v_fmac_f32_e32 v60, v49, v51
	v_fmac_f32_e32 v64, v50, v52
	ds_read_b128 v[49:52], v74 offset:64
	s_waitcnt vmcnt(11)
	v_lshrrev_b32_e32 v54, 16, v45
	v_and_b32_e32 v45, 0xffff, v45
	v_fmac_f32_e32 v61, v81, v82
	s_waitcnt lgkmcnt(0)
	v_lshrrev_b32_e32 v53, 16, v49
	v_and_b32_e32 v49, 0xffff, v49
	;;#ASMSTART
	v_cvt_f32_f16 v49, v49;
	;;#ASMEND
	;;#ASMSTART
	v_cvt_f32_f16 v53, v53;
	;;#ASMEND
	;; [unrolled: 3-line block ×3, first 2 shown]
	v_fmac_f32_e32 v57, v49, v45
	v_lshrrev_b32_e32 v49, 16, v50
	v_and_b32_e32 v45, 0xffff, v50
	v_lshrrev_b32_e32 v50, 16, v46
	v_and_b32_e32 v46, 0xffff, v46
	;;#ASMSTART
	v_cvt_f32_f16 v54, v54;
	;;#ASMEND
	;;#ASMSTART
	v_cvt_f32_f16 v45, v45;
	;;#ASMEND
	;; [unrolled: 3-line block ×5, first 2 shown]
	v_fmac_f32_e32 v58, v45, v46
	v_fmac_f32_e32 v62, v49, v50
	v_lshrrev_b32_e32 v46, 16, v51
	v_and_b32_e32 v45, 0xffff, v51
	v_lshrrev_b32_e32 v49, 16, v47
	v_and_b32_e32 v47, 0xffff, v47
	;;#ASMSTART
	v_cvt_f32_f16 v45, v45;
	;;#ASMEND
	;;#ASMSTART
	v_cvt_f32_f16 v46, v46;
	;;#ASMEND
	;; [unrolled: 3-line block ×4, first 2 shown]
	v_fmac_f32_e32 v59, v45, v47
	v_fmac_f32_e32 v63, v46, v49
	v_lshrrev_b32_e32 v46, 16, v52
	v_and_b32_e32 v45, 0xffff, v52
	v_and_b32_e32 v47, 0xffff, v48
	;;#ASMSTART
	v_cvt_f32_f16 v45, v45;
	;;#ASMEND
	;;#ASMSTART
	v_cvt_f32_f16 v46, v46;
	;;#ASMEND
	v_lshrrev_b32_e32 v49, 16, v48
	;;#ASMSTART
	v_cvt_f32_f16 v47, v47;
	;;#ASMEND
	;;#ASMSTART
	v_cvt_f32_f16 v48, v49;
	;;#ASMEND
	v_fmac_f32_e32 v60, v45, v47
	v_fmac_f32_e32 v64, v46, v48
	ds_read_b128 v[45:48], v74 offset:80
	s_waitcnt vmcnt(10)
	v_lshrrev_b32_e32 v50, 16, v41
	v_and_b32_e32 v41, 0xffff, v41
	v_fmac_f32_e32 v61, v53, v54
	s_waitcnt lgkmcnt(0)
	v_lshrrev_b32_e32 v49, 16, v45
	v_and_b32_e32 v45, 0xffff, v45
	;;#ASMSTART
	v_cvt_f32_f16 v45, v45;
	;;#ASMEND
	;;#ASMSTART
	v_cvt_f32_f16 v49, v49;
	;;#ASMEND
	;; [unrolled: 3-line block ×3, first 2 shown]
	v_fmac_f32_e32 v57, v45, v41
	v_lshrrev_b32_e32 v45, 16, v46
	v_and_b32_e32 v41, 0xffff, v46
	v_lshrrev_b32_e32 v46, 16, v42
	v_and_b32_e32 v42, 0xffff, v42
	;;#ASMSTART
	v_cvt_f32_f16 v50, v50;
	;;#ASMEND
	;;#ASMSTART
	v_cvt_f32_f16 v41, v41;
	;;#ASMEND
	;; [unrolled: 3-line block ×5, first 2 shown]
	v_fmac_f32_e32 v58, v41, v42
	v_fmac_f32_e32 v62, v45, v46
	v_lshrrev_b32_e32 v42, 16, v47
	v_and_b32_e32 v41, 0xffff, v47
	v_lshrrev_b32_e32 v45, 16, v43
	v_and_b32_e32 v43, 0xffff, v43
	;;#ASMSTART
	v_cvt_f32_f16 v41, v41;
	;;#ASMEND
	;;#ASMSTART
	v_cvt_f32_f16 v42, v42;
	;;#ASMEND
	;; [unrolled: 3-line block ×4, first 2 shown]
	v_fmac_f32_e32 v59, v41, v43
	v_fmac_f32_e32 v63, v42, v45
	v_lshrrev_b32_e32 v42, 16, v48
	v_and_b32_e32 v41, 0xffff, v48
	v_and_b32_e32 v43, 0xffff, v44
	;;#ASMSTART
	v_cvt_f32_f16 v41, v41;
	;;#ASMEND
	;;#ASMSTART
	v_cvt_f32_f16 v42, v42;
	;;#ASMEND
	v_lshrrev_b32_e32 v45, 16, v44
	;;#ASMSTART
	v_cvt_f32_f16 v43, v43;
	;;#ASMEND
	;;#ASMSTART
	v_cvt_f32_f16 v44, v45;
	;;#ASMEND
	v_fmac_f32_e32 v60, v41, v43
	v_fmac_f32_e32 v64, v42, v44
	ds_read_b128 v[41:44], v74 offset:96
	s_waitcnt vmcnt(9)
	v_lshrrev_b32_e32 v46, 16, v37
	v_and_b32_e32 v37, 0xffff, v37
	v_fmac_f32_e32 v61, v49, v50
	s_waitcnt lgkmcnt(0)
	v_lshrrev_b32_e32 v45, 16, v41
	v_and_b32_e32 v41, 0xffff, v41
	;;#ASMSTART
	v_cvt_f32_f16 v41, v41;
	;;#ASMEND
	;;#ASMSTART
	v_cvt_f32_f16 v45, v45;
	;;#ASMEND
	;; [unrolled: 3-line block ×3, first 2 shown]
	v_fmac_f32_e32 v57, v41, v37
	v_lshrrev_b32_e32 v41, 16, v42
	v_and_b32_e32 v37, 0xffff, v42
	v_lshrrev_b32_e32 v42, 16, v38
	v_and_b32_e32 v38, 0xffff, v38
	;;#ASMSTART
	v_cvt_f32_f16 v46, v46;
	;;#ASMEND
	;;#ASMSTART
	v_cvt_f32_f16 v37, v37;
	;;#ASMEND
	;; [unrolled: 3-line block ×5, first 2 shown]
	v_fmac_f32_e32 v58, v37, v38
	v_fmac_f32_e32 v62, v41, v42
	v_lshrrev_b32_e32 v38, 16, v43
	v_and_b32_e32 v37, 0xffff, v43
	v_lshrrev_b32_e32 v41, 16, v39
	v_and_b32_e32 v39, 0xffff, v39
	;;#ASMSTART
	v_cvt_f32_f16 v37, v37;
	;;#ASMEND
	;;#ASMSTART
	v_cvt_f32_f16 v38, v38;
	;;#ASMEND
	;; [unrolled: 3-line block ×4, first 2 shown]
	v_fmac_f32_e32 v59, v37, v39
	v_fmac_f32_e32 v63, v38, v41
	v_lshrrev_b32_e32 v38, 16, v44
	v_and_b32_e32 v37, 0xffff, v44
	v_and_b32_e32 v39, 0xffff, v40
	;;#ASMSTART
	v_cvt_f32_f16 v37, v37;
	;;#ASMEND
	;;#ASMSTART
	v_cvt_f32_f16 v38, v38;
	;;#ASMEND
	v_lshrrev_b32_e32 v41, 16, v40
	;;#ASMSTART
	v_cvt_f32_f16 v39, v39;
	;;#ASMEND
	;;#ASMSTART
	v_cvt_f32_f16 v40, v41;
	;;#ASMEND
	v_fmac_f32_e32 v60, v37, v39
	v_fmac_f32_e32 v64, v38, v40
	ds_read_b128 v[37:40], v74 offset:112
	s_waitcnt vmcnt(8)
	v_lshrrev_b32_e32 v42, 16, v33
	v_and_b32_e32 v33, 0xffff, v33
	v_fmac_f32_e32 v61, v45, v46
	s_waitcnt lgkmcnt(0)
	v_lshrrev_b32_e32 v41, 16, v37
	v_and_b32_e32 v37, 0xffff, v37
	;;#ASMSTART
	v_cvt_f32_f16 v37, v37;
	;;#ASMEND
	;;#ASMSTART
	v_cvt_f32_f16 v41, v41;
	;;#ASMEND
	;; [unrolled: 3-line block ×3, first 2 shown]
	v_fmac_f32_e32 v57, v37, v33
	v_lshrrev_b32_e32 v37, 16, v38
	v_and_b32_e32 v33, 0xffff, v38
	v_lshrrev_b32_e32 v38, 16, v34
	v_and_b32_e32 v34, 0xffff, v34
	;;#ASMSTART
	v_cvt_f32_f16 v42, v42;
	;;#ASMEND
	;;#ASMSTART
	v_cvt_f32_f16 v33, v33;
	;;#ASMEND
	;; [unrolled: 3-line block ×5, first 2 shown]
	v_fmac_f32_e32 v58, v33, v34
	v_fmac_f32_e32 v62, v37, v38
	v_lshrrev_b32_e32 v34, 16, v39
	v_and_b32_e32 v33, 0xffff, v39
	v_lshrrev_b32_e32 v37, 16, v35
	v_and_b32_e32 v35, 0xffff, v35
	;;#ASMSTART
	v_cvt_f32_f16 v33, v33;
	;;#ASMEND
	;;#ASMSTART
	v_cvt_f32_f16 v34, v34;
	;;#ASMEND
	;; [unrolled: 3-line block ×4, first 2 shown]
	v_fmac_f32_e32 v59, v33, v35
	v_fmac_f32_e32 v63, v34, v37
	v_lshrrev_b32_e32 v34, 16, v40
	v_and_b32_e32 v33, 0xffff, v40
	v_and_b32_e32 v35, 0xffff, v36
	;;#ASMSTART
	v_cvt_f32_f16 v33, v33;
	;;#ASMEND
	;;#ASMSTART
	v_cvt_f32_f16 v34, v34;
	;;#ASMEND
	v_lshrrev_b32_e32 v37, 16, v36
	;;#ASMSTART
	v_cvt_f32_f16 v35, v35;
	;;#ASMEND
	;;#ASMSTART
	v_cvt_f32_f16 v36, v37;
	;;#ASMEND
	v_fmac_f32_e32 v60, v33, v35
	v_fmac_f32_e32 v64, v34, v36
	ds_read_b128 v[33:36], v74 offset:128
	s_waitcnt vmcnt(7)
	v_lshrrev_b32_e32 v38, 16, v29
	v_and_b32_e32 v29, 0xffff, v29
	v_fmac_f32_e32 v61, v41, v42
	s_waitcnt lgkmcnt(0)
	v_lshrrev_b32_e32 v37, 16, v33
	v_and_b32_e32 v33, 0xffff, v33
	;;#ASMSTART
	v_cvt_f32_f16 v33, v33;
	;;#ASMEND
	;;#ASMSTART
	v_cvt_f32_f16 v37, v37;
	;;#ASMEND
	;; [unrolled: 3-line block ×3, first 2 shown]
	v_fmac_f32_e32 v57, v33, v29
	v_lshrrev_b32_e32 v33, 16, v34
	v_and_b32_e32 v29, 0xffff, v34
	v_lshrrev_b32_e32 v34, 16, v30
	v_and_b32_e32 v30, 0xffff, v30
	;;#ASMSTART
	v_cvt_f32_f16 v38, v38;
	;;#ASMEND
	;;#ASMSTART
	v_cvt_f32_f16 v29, v29;
	;;#ASMEND
	;; [unrolled: 3-line block ×5, first 2 shown]
	v_fmac_f32_e32 v58, v29, v30
	v_fmac_f32_e32 v62, v33, v34
	v_lshrrev_b32_e32 v30, 16, v35
	v_and_b32_e32 v29, 0xffff, v35
	v_lshrrev_b32_e32 v33, 16, v31
	v_and_b32_e32 v31, 0xffff, v31
	;;#ASMSTART
	v_cvt_f32_f16 v29, v29;
	;;#ASMEND
	;;#ASMSTART
	v_cvt_f32_f16 v30, v30;
	;;#ASMEND
	;; [unrolled: 3-line block ×4, first 2 shown]
	v_fmac_f32_e32 v59, v29, v31
	v_fmac_f32_e32 v63, v30, v33
	v_lshrrev_b32_e32 v30, 16, v36
	v_and_b32_e32 v29, 0xffff, v36
	v_and_b32_e32 v31, 0xffff, v32
	;;#ASMSTART
	v_cvt_f32_f16 v29, v29;
	;;#ASMEND
	;;#ASMSTART
	v_cvt_f32_f16 v30, v30;
	;;#ASMEND
	v_lshrrev_b32_e32 v33, 16, v32
	;;#ASMSTART
	v_cvt_f32_f16 v31, v31;
	;;#ASMEND
	;;#ASMSTART
	v_cvt_f32_f16 v32, v33;
	;;#ASMEND
	v_fmac_f32_e32 v60, v29, v31
	v_fmac_f32_e32 v64, v30, v32
	ds_read_b128 v[29:32], v74 offset:144
	s_waitcnt vmcnt(6)
	v_lshrrev_b32_e32 v34, 16, v25
	v_and_b32_e32 v25, 0xffff, v25
	v_fmac_f32_e32 v61, v37, v38
	s_waitcnt lgkmcnt(0)
	v_lshrrev_b32_e32 v33, 16, v29
	v_and_b32_e32 v29, 0xffff, v29
	;;#ASMSTART
	v_cvt_f32_f16 v29, v29;
	;;#ASMEND
	;;#ASMSTART
	v_cvt_f32_f16 v33, v33;
	;;#ASMEND
	;; [unrolled: 3-line block ×3, first 2 shown]
	v_fmac_f32_e32 v57, v29, v25
	v_lshrrev_b32_e32 v29, 16, v30
	v_and_b32_e32 v25, 0xffff, v30
	v_lshrrev_b32_e32 v30, 16, v26
	v_and_b32_e32 v26, 0xffff, v26
	;;#ASMSTART
	v_cvt_f32_f16 v34, v34;
	;;#ASMEND
	;;#ASMSTART
	v_cvt_f32_f16 v25, v25;
	;;#ASMEND
	;; [unrolled: 3-line block ×5, first 2 shown]
	v_fmac_f32_e32 v58, v25, v26
	v_fmac_f32_e32 v62, v29, v30
	v_lshrrev_b32_e32 v26, 16, v31
	v_and_b32_e32 v25, 0xffff, v31
	v_lshrrev_b32_e32 v29, 16, v27
	v_and_b32_e32 v27, 0xffff, v27
	;;#ASMSTART
	v_cvt_f32_f16 v25, v25;
	;;#ASMEND
	;;#ASMSTART
	v_cvt_f32_f16 v26, v26;
	;;#ASMEND
	;; [unrolled: 3-line block ×4, first 2 shown]
	v_fmac_f32_e32 v59, v25, v27
	v_fmac_f32_e32 v63, v26, v29
	v_lshrrev_b32_e32 v26, 16, v32
	v_and_b32_e32 v25, 0xffff, v32
	v_and_b32_e32 v27, 0xffff, v28
	;;#ASMSTART
	v_cvt_f32_f16 v25, v25;
	;;#ASMEND
	;;#ASMSTART
	v_cvt_f32_f16 v26, v26;
	;;#ASMEND
	v_lshrrev_b32_e32 v29, 16, v28
	;;#ASMSTART
	v_cvt_f32_f16 v27, v27;
	;;#ASMEND
	;;#ASMSTART
	v_cvt_f32_f16 v28, v29;
	;;#ASMEND
	v_fmac_f32_e32 v60, v25, v27
	v_fmac_f32_e32 v64, v26, v28
	ds_read_b128 v[25:28], v74 offset:160
	s_waitcnt vmcnt(5)
	v_lshrrev_b32_e32 v30, 16, v21
	v_and_b32_e32 v21, 0xffff, v21
	v_fmac_f32_e32 v61, v33, v34
	s_waitcnt lgkmcnt(0)
	v_lshrrev_b32_e32 v29, 16, v25
	v_and_b32_e32 v25, 0xffff, v25
	;;#ASMSTART
	v_cvt_f32_f16 v25, v25;
	;;#ASMEND
	;;#ASMSTART
	v_cvt_f32_f16 v29, v29;
	;;#ASMEND
	;; [unrolled: 3-line block ×3, first 2 shown]
	v_fmac_f32_e32 v57, v25, v21
	v_lshrrev_b32_e32 v25, 16, v26
	v_and_b32_e32 v21, 0xffff, v26
	v_lshrrev_b32_e32 v26, 16, v22
	v_and_b32_e32 v22, 0xffff, v22
	;;#ASMSTART
	v_cvt_f32_f16 v30, v30;
	;;#ASMEND
	;;#ASMSTART
	v_cvt_f32_f16 v21, v21;
	;;#ASMEND
	;; [unrolled: 3-line block ×5, first 2 shown]
	v_fmac_f32_e32 v58, v21, v22
	v_fmac_f32_e32 v62, v25, v26
	v_lshrrev_b32_e32 v22, 16, v27
	v_and_b32_e32 v21, 0xffff, v27
	v_lshrrev_b32_e32 v25, 16, v23
	v_and_b32_e32 v23, 0xffff, v23
	;;#ASMSTART
	v_cvt_f32_f16 v21, v21;
	;;#ASMEND
	;;#ASMSTART
	v_cvt_f32_f16 v22, v22;
	;;#ASMEND
	;; [unrolled: 3-line block ×4, first 2 shown]
	v_fmac_f32_e32 v59, v21, v23
	v_fmac_f32_e32 v63, v22, v25
	v_lshrrev_b32_e32 v22, 16, v28
	v_and_b32_e32 v21, 0xffff, v28
	v_and_b32_e32 v23, 0xffff, v24
	;;#ASMSTART
	v_cvt_f32_f16 v21, v21;
	;;#ASMEND
	;;#ASMSTART
	v_cvt_f32_f16 v22, v22;
	;;#ASMEND
	v_lshrrev_b32_e32 v25, 16, v24
	;;#ASMSTART
	v_cvt_f32_f16 v23, v23;
	;;#ASMEND
	;;#ASMSTART
	v_cvt_f32_f16 v24, v25;
	;;#ASMEND
	v_fmac_f32_e32 v60, v21, v23
	v_fmac_f32_e32 v64, v22, v24
	ds_read_b128 v[21:24], v74 offset:176
	s_waitcnt vmcnt(4)
	v_lshrrev_b32_e32 v26, 16, v17
	v_and_b32_e32 v17, 0xffff, v17
	v_fmac_f32_e32 v61, v29, v30
	s_waitcnt lgkmcnt(0)
	v_lshrrev_b32_e32 v25, 16, v21
	v_and_b32_e32 v21, 0xffff, v21
	;;#ASMSTART
	v_cvt_f32_f16 v21, v21;
	;;#ASMEND
	;;#ASMSTART
	v_cvt_f32_f16 v25, v25;
	;;#ASMEND
	;; [unrolled: 3-line block ×3, first 2 shown]
	v_fmac_f32_e32 v57, v21, v17
	v_lshrrev_b32_e32 v21, 16, v22
	v_and_b32_e32 v17, 0xffff, v22
	v_lshrrev_b32_e32 v22, 16, v18
	v_and_b32_e32 v18, 0xffff, v18
	;;#ASMSTART
	v_cvt_f32_f16 v26, v26;
	;;#ASMEND
	;;#ASMSTART
	v_cvt_f32_f16 v17, v17;
	;;#ASMEND
	;; [unrolled: 3-line block ×5, first 2 shown]
	v_fmac_f32_e32 v58, v17, v18
	v_fmac_f32_e32 v62, v21, v22
	v_lshrrev_b32_e32 v18, 16, v23
	v_and_b32_e32 v17, 0xffff, v23
	v_lshrrev_b32_e32 v21, 16, v19
	v_and_b32_e32 v19, 0xffff, v19
	;;#ASMSTART
	v_cvt_f32_f16 v17, v17;
	;;#ASMEND
	;;#ASMSTART
	v_cvt_f32_f16 v18, v18;
	;;#ASMEND
	;; [unrolled: 3-line block ×4, first 2 shown]
	v_fmac_f32_e32 v59, v17, v19
	v_fmac_f32_e32 v63, v18, v21
	v_lshrrev_b32_e32 v18, 16, v24
	v_and_b32_e32 v17, 0xffff, v24
	v_and_b32_e32 v19, 0xffff, v20
	;;#ASMSTART
	v_cvt_f32_f16 v17, v17;
	;;#ASMEND
	;;#ASMSTART
	v_cvt_f32_f16 v18, v18;
	;;#ASMEND
	v_lshrrev_b32_e32 v21, 16, v20
	;;#ASMSTART
	v_cvt_f32_f16 v19, v19;
	;;#ASMEND
	;;#ASMSTART
	v_cvt_f32_f16 v20, v21;
	;;#ASMEND
	v_fmac_f32_e32 v60, v17, v19
	v_fmac_f32_e32 v64, v18, v20
	ds_read_b128 v[17:20], v74 offset:192
	s_waitcnt vmcnt(3)
	v_lshrrev_b32_e32 v22, 16, v13
	v_and_b32_e32 v13, 0xffff, v13
	v_fmac_f32_e32 v61, v25, v26
	s_waitcnt lgkmcnt(0)
	v_lshrrev_b32_e32 v21, 16, v17
	v_and_b32_e32 v17, 0xffff, v17
	;;#ASMSTART
	v_cvt_f32_f16 v17, v17;
	;;#ASMEND
	;;#ASMSTART
	v_cvt_f32_f16 v21, v21;
	;;#ASMEND
	;; [unrolled: 3-line block ×3, first 2 shown]
	v_fmac_f32_e32 v57, v17, v13
	v_lshrrev_b32_e32 v17, 16, v18
	v_and_b32_e32 v13, 0xffff, v18
	v_lshrrev_b32_e32 v18, 16, v14
	v_and_b32_e32 v14, 0xffff, v14
	;;#ASMSTART
	v_cvt_f32_f16 v22, v22;
	;;#ASMEND
	;;#ASMSTART
	v_cvt_f32_f16 v13, v13;
	;;#ASMEND
	;; [unrolled: 3-line block ×5, first 2 shown]
	v_fmac_f32_e32 v58, v13, v14
	v_fmac_f32_e32 v62, v17, v18
	v_lshrrev_b32_e32 v14, 16, v19
	v_and_b32_e32 v13, 0xffff, v19
	v_lshrrev_b32_e32 v17, 16, v15
	v_and_b32_e32 v15, 0xffff, v15
	;;#ASMSTART
	v_cvt_f32_f16 v13, v13;
	;;#ASMEND
	;;#ASMSTART
	v_cvt_f32_f16 v14, v14;
	;;#ASMEND
	;; [unrolled: 3-line block ×4, first 2 shown]
	v_fmac_f32_e32 v59, v13, v15
	v_fmac_f32_e32 v63, v14, v17
	v_lshrrev_b32_e32 v14, 16, v20
	v_and_b32_e32 v13, 0xffff, v20
	v_and_b32_e32 v15, 0xffff, v16
	;;#ASMSTART
	v_cvt_f32_f16 v13, v13;
	;;#ASMEND
	;;#ASMSTART
	v_cvt_f32_f16 v14, v14;
	;;#ASMEND
	v_lshrrev_b32_e32 v17, 16, v16
	;;#ASMSTART
	v_cvt_f32_f16 v15, v15;
	;;#ASMEND
	;;#ASMSTART
	v_cvt_f32_f16 v16, v17;
	;;#ASMEND
	v_fmac_f32_e32 v60, v13, v15
	v_fmac_f32_e32 v64, v14, v16
	ds_read_b128 v[13:16], v74 offset:208
	s_waitcnt vmcnt(2)
	v_lshrrev_b32_e32 v18, 16, v9
	v_and_b32_e32 v9, 0xffff, v9
	v_fmac_f32_e32 v61, v21, v22
	s_waitcnt lgkmcnt(0)
	v_lshrrev_b32_e32 v17, 16, v13
	v_and_b32_e32 v13, 0xffff, v13
	;;#ASMSTART
	v_cvt_f32_f16 v13, v13;
	;;#ASMEND
	;;#ASMSTART
	v_cvt_f32_f16 v17, v17;
	;;#ASMEND
	;; [unrolled: 3-line block ×3, first 2 shown]
	v_fmac_f32_e32 v57, v13, v9
	v_lshrrev_b32_e32 v13, 16, v14
	v_and_b32_e32 v9, 0xffff, v14
	v_lshrrev_b32_e32 v14, 16, v10
	v_and_b32_e32 v10, 0xffff, v10
	;;#ASMSTART
	v_cvt_f32_f16 v18, v18;
	;;#ASMEND
	;;#ASMSTART
	v_cvt_f32_f16 v9, v9;
	;;#ASMEND
	;; [unrolled: 3-line block ×5, first 2 shown]
	v_fmac_f32_e32 v58, v9, v10
	v_fmac_f32_e32 v62, v13, v14
	v_lshrrev_b32_e32 v10, 16, v15
	v_and_b32_e32 v9, 0xffff, v15
	v_lshrrev_b32_e32 v13, 16, v11
	v_and_b32_e32 v11, 0xffff, v11
	;;#ASMSTART
	v_cvt_f32_f16 v9, v9;
	;;#ASMEND
	;;#ASMSTART
	v_cvt_f32_f16 v10, v10;
	;;#ASMEND
	;; [unrolled: 3-line block ×4, first 2 shown]
	v_fmac_f32_e32 v59, v9, v11
	v_fmac_f32_e32 v63, v10, v13
	v_lshrrev_b32_e32 v10, 16, v16
	v_and_b32_e32 v9, 0xffff, v16
	v_and_b32_e32 v11, 0xffff, v12
	;;#ASMSTART
	v_cvt_f32_f16 v9, v9;
	;;#ASMEND
	;;#ASMSTART
	v_cvt_f32_f16 v10, v10;
	;;#ASMEND
	v_lshrrev_b32_e32 v13, 16, v12
	;;#ASMSTART
	v_cvt_f32_f16 v11, v11;
	;;#ASMEND
	;;#ASMSTART
	v_cvt_f32_f16 v12, v13;
	;;#ASMEND
	v_fmac_f32_e32 v60, v9, v11
	v_fmac_f32_e32 v64, v10, v12
	ds_read_b128 v[9:12], v74 offset:224
	s_waitcnt vmcnt(1)
	v_lshrrev_b32_e32 v14, 16, v5
	v_and_b32_e32 v5, 0xffff, v5
	v_fmac_f32_e32 v61, v17, v18
	s_waitcnt lgkmcnt(0)
	v_lshrrev_b32_e32 v13, 16, v9
	v_and_b32_e32 v9, 0xffff, v9
	;;#ASMSTART
	v_cvt_f32_f16 v9, v9;
	;;#ASMEND
	;;#ASMSTART
	v_cvt_f32_f16 v13, v13;
	;;#ASMEND
	;; [unrolled: 3-line block ×3, first 2 shown]
	v_fmac_f32_e32 v57, v9, v5
	v_lshrrev_b32_e32 v9, 16, v10
	v_and_b32_e32 v5, 0xffff, v10
	v_lshrrev_b32_e32 v10, 16, v6
	v_and_b32_e32 v6, 0xffff, v6
	;;#ASMSTART
	v_cvt_f32_f16 v14, v14;
	;;#ASMEND
	;;#ASMSTART
	v_cvt_f32_f16 v5, v5;
	;;#ASMEND
	;; [unrolled: 3-line block ×5, first 2 shown]
	v_fmac_f32_e32 v58, v5, v6
	v_fmac_f32_e32 v62, v9, v10
	v_lshrrev_b32_e32 v6, 16, v11
	v_and_b32_e32 v5, 0xffff, v11
	v_lshrrev_b32_e32 v9, 16, v7
	v_and_b32_e32 v7, 0xffff, v7
	;;#ASMSTART
	v_cvt_f32_f16 v5, v5;
	;;#ASMEND
	;;#ASMSTART
	v_cvt_f32_f16 v6, v6;
	;;#ASMEND
	;; [unrolled: 3-line block ×4, first 2 shown]
	v_fmac_f32_e32 v59, v5, v7
	v_fmac_f32_e32 v63, v6, v9
	v_lshrrev_b32_e32 v6, 16, v12
	v_and_b32_e32 v5, 0xffff, v12
	v_and_b32_e32 v7, 0xffff, v8
	;;#ASMSTART
	v_cvt_f32_f16 v5, v5;
	;;#ASMEND
	;;#ASMSTART
	v_cvt_f32_f16 v6, v6;
	;;#ASMEND
	v_lshrrev_b32_e32 v9, 16, v8
	;;#ASMSTART
	v_cvt_f32_f16 v7, v7;
	;;#ASMEND
	;;#ASMSTART
	v_cvt_f32_f16 v8, v9;
	;;#ASMEND
	v_fmac_f32_e32 v60, v5, v7
	v_fmac_f32_e32 v64, v6, v8
	ds_read_b128 v[5:8], v74 offset:240
	v_fmac_f32_e32 v61, v13, v14
	s_waitcnt vmcnt(0)
	v_lshrrev_b32_e32 v10, 16, v1
	v_and_b32_e32 v1, 0xffff, v1
	s_waitcnt lgkmcnt(0)
	v_lshrrev_b32_e32 v9, 16, v5
	v_and_b32_e32 v5, 0xffff, v5
	;;#ASMSTART
	v_cvt_f32_f16 v5, v5;
	;;#ASMEND
	;;#ASMSTART
	v_cvt_f32_f16 v9, v9;
	;;#ASMEND
	;; [unrolled: 3-line block ×3, first 2 shown]
	v_fmac_f32_e32 v57, v5, v1
	v_and_b32_e32 v1, 0xffff, v6
	;;#ASMSTART
	v_cvt_f32_f16 v10, v10;
	;;#ASMEND
	v_fmac_f32_e32 v61, v9, v10
	v_lshrrev_b32_e32 v5, 16, v6
	;;#ASMSTART
	v_cvt_f32_f16 v1, v1;
	;;#ASMEND
	v_lshrrev_b32_e32 v6, 16, v2
	v_and_b32_e32 v2, 0xffff, v2
	;;#ASMSTART
	v_cvt_f32_f16 v5, v5;
	;;#ASMEND
	;;#ASMSTART
	v_cvt_f32_f16 v2, v2;
	;;#ASMEND
	v_fmac_f32_e32 v58, v1, v2
	v_and_b32_e32 v1, 0xffff, v7
	;;#ASMSTART
	v_cvt_f32_f16 v6, v6;
	;;#ASMEND
	v_fmac_f32_e32 v62, v5, v6
	v_lshrrev_b32_e32 v2, 16, v7
	;;#ASMSTART
	v_cvt_f32_f16 v1, v1;
	;;#ASMEND
	v_lshrrev_b32_e32 v5, 16, v3
	v_and_b32_e32 v3, 0xffff, v3
	;;#ASMSTART
	v_cvt_f32_f16 v2, v2;
	;;#ASMEND
	;;#ASMSTART
	v_cvt_f32_f16 v3, v3;
	;;#ASMEND
	v_fmac_f32_e32 v59, v1, v3
	v_and_b32_e32 v1, 0xffff, v8
	;;#ASMSTART
	v_cvt_f32_f16 v5, v5;
	;;#ASMEND
	v_fmac_f32_e32 v63, v2, v5
	v_lshrrev_b32_e32 v2, 16, v8
	;;#ASMSTART
	v_cvt_f32_f16 v1, v1;
	;;#ASMEND
	v_and_b32_e32 v3, 0xffff, v4
	;;#ASMSTART
	v_cvt_f32_f16 v2, v2;
	;;#ASMEND
	;;#ASMSTART
	v_cvt_f32_f16 v3, v3;
	;;#ASMEND
	v_fmac_f32_e32 v60, v1, v3
	v_add_f32_e32 v1, v57, v61
	v_lshrrev_b32_e32 v5, 16, v4
	;;#ASMSTART
	v_cvt_f32_f16 v4, v5;
	;;#ASMEND
	v_fmac_f32_e32 v64, v2, v4
	v_add_f32_e32 v1, v1, v58
	v_add_f32_e32 v1, v62, v1
	;; [unrolled: 1-line block ×6, first 2 shown]
	v_fmac_f32_e32 v80, s3, v1
	v_cndmask_b32_e64 v1, 0, v80, s1
	ds_write_b32 v76, v1
	v_max_f32_e32 v1, v73, v73
	v_add_nc_u32_e32 v76, 0x200, v76
	v_max_f32_e32 v1, v1, v80
	v_cndmask_b32_e64 v73, v73, v1, s1
	v_add_co_u32 v67, s1, v67, 16
	v_add_co_ci_u32_e64 v68, null, 0, v68, s1
	v_cmp_le_i32_e64 s1, s11, v79
	s_or_b32 s5, s1, s5
	s_andn2_b32 exec_lo, exec_lo, s5
	s_cbranch_execnz .LBB123_7
; %bb.8:
	s_or_b32 exec_lo, exec_lo, s5
.LBB123_9:
	s_or_b32 exec_lo, exec_lo, s33
	v_mbcnt_lo_u32_b32 v1, -1, 0
	v_max_f32_e32 v5, v73, v73
	v_xor_b32_e32 v2, 16, v1
	v_xor_b32_e32 v4, 8, v1
	v_cmp_gt_i32_e32 vcc_lo, 32, v2
	v_cndmask_b32_e32 v2, v1, v2, vcc_lo
	v_cmp_gt_i32_e32 vcc_lo, 32, v4
	v_lshlrev_b32_e32 v2, 2, v2
	v_cndmask_b32_e32 v4, v1, v4, vcc_lo
	ds_bpermute_b32 v3, v2, v73
	s_waitcnt lgkmcnt(0)
	v_max_f32_e32 v6, v3, v3
	v_lshlrev_b32_e32 v3, 2, v4
	v_max_f32_e32 v4, v5, v6
	v_xor_b32_e32 v6, 4, v1
	ds_bpermute_b32 v5, v3, v4
	v_cmp_gt_i32_e32 vcc_lo, 32, v6
	v_cndmask_b32_e32 v6, v1, v6, vcc_lo
	s_waitcnt lgkmcnt(0)
	v_max_f32_e32 v7, v5, v5
	v_lshlrev_b32_e32 v5, 2, v6
	v_max_f32_e32 v4, v4, v7
	v_xor_b32_e32 v7, 2, v1
	ds_bpermute_b32 v6, v5, v4
	v_cmp_gt_i32_e32 vcc_lo, 32, v7
	v_cndmask_b32_e32 v7, v1, v7, vcc_lo
	v_lshlrev_b32_e32 v12, 2, v7
	v_xor_b32_e32 v7, 1, v1
	v_cmp_gt_i32_e32 vcc_lo, 32, v7
	s_waitcnt lgkmcnt(0)
	v_max_f32_e32 v6, v6, v6
	v_cndmask_b32_e32 v7, v1, v7, vcc_lo
	v_cmp_eq_u32_e32 vcc_lo, 0, v70
	v_max_f32_e32 v4, v4, v6
	v_lshlrev_b32_e32 v11, 2, v7
	ds_bpermute_b32 v6, v12, v4
	s_waitcnt lgkmcnt(0)
	v_max_f32_e32 v6, v6, v6
	v_max_f32_e32 v1, v4, v6
	v_lshlrev_b32_e32 v6, 2, v69
	ds_bpermute_b32 v4, v11, v1
	s_and_saveexec_b32 s1, vcc_lo
	s_cbranch_execz .LBB123_11
; %bb.10:
	s_waitcnt lgkmcnt(0)
	v_max_f32_e32 v4, v4, v4
	v_max_f32_e32 v1, v1, v1
	;; [unrolled: 1-line block ×3, first 2 shown]
	ds_write_b32 v6, v1 offset:256
.LBB123_11:
	s_or_b32 exec_lo, exec_lo, s1
	v_cmp_gt_u32_e64 s1, 4, v70
	v_mov_b32_e32 v1, 0xff7fffff
	s_waitcnt lgkmcnt(0)
	s_barrier
	buffer_gl0_inv
	s_and_saveexec_b32 s3, s1
; %bb.12:
	ds_read_b32 v1, v72 offset:256
; %bb.13:
	s_or_b32 exec_lo, exec_lo, s3
	s_waitcnt lgkmcnt(0)
	ds_bpermute_b32 v4, v12, v1
	v_max_f32_e32 v1, v1, v1
	v_mov_b32_e32 v7, 0
	s_sub_i32 s2, s11, s2
	s_lshl_b32 s2, s2, 5
	s_add_i32 s2, s2, s30
	s_min_i32 s2, s2, s25
	s_sub_i32 s4, s2, s30
	v_cmp_gt_i32_e64 s2, s4, v0
	s_waitcnt lgkmcnt(0)
	v_max_f32_e32 v4, v4, v4
	v_max_f32_e32 v1, v1, v4
	ds_bpermute_b32 v4, v11, v1
	s_waitcnt lgkmcnt(0)
	v_max_f32_e32 v4, v4, v4
	v_max_f32_e32 v1, v1, v4
	v_lshl_add_u32 v4, v0, 2, 0x120
	ds_bpermute_b32 v1, v7, v1
	s_and_saveexec_b32 s5, s2
	s_cbranch_execz .LBB123_17
; %bb.14:
	v_lshl_add_u32 v8, v0, 2, 0x120
	v_mov_b32_e32 v7, 0
	v_mov_b32_e32 v9, v0
	s_mov_b32 s15, 0
	.p2align	6
.LBB123_15:                             ; =>This Inner Loop Header: Depth=1
	ds_read_b32 v10, v8
	v_add_nc_u32_e32 v9, 0x80, v9
	v_cmp_le_i32_e64 s3, s4, v9
	s_or_b32 s15, s3, s15
	s_waitcnt lgkmcnt(0)
	v_sub_f32_e32 v10, v10, v1
	v_mul_f32_e32 v10, 0x3fb8aa3b, v10
	v_exp_f32_e32 v10, v10
	ds_write_b32 v8, v10
	v_add_f32_e32 v7, v7, v10
	v_add_nc_u32_e32 v8, 0x200, v8
	s_andn2_b32 exec_lo, exec_lo, s15
	s_cbranch_execnz .LBB123_15
; %bb.16:
	s_or_b32 exec_lo, exec_lo, s15
.LBB123_17:
	s_or_b32 exec_lo, exec_lo, s5
	ds_bpermute_b32 v2, v2, v7
	s_waitcnt lgkmcnt(0)
	v_add_f32_e32 v2, v7, v2
	ds_bpermute_b32 v3, v3, v2
	s_waitcnt lgkmcnt(0)
	v_add_f32_e32 v2, v2, v3
	;; [unrolled: 3-line block ×5, first 2 shown]
	s_and_saveexec_b32 s3, vcc_lo
; %bb.18:
	ds_write_b32 v6, v2 offset:272
; %bb.19:
	s_or_b32 exec_lo, exec_lo, s3
	s_waitcnt lgkmcnt(0)
	s_barrier
	buffer_gl0_inv
	s_and_saveexec_b32 s3, s1
; %bb.20:
	ds_read_b32 v2, v72 offset:272
; %bb.21:
	s_or_b32 exec_lo, exec_lo, s3
	s_waitcnt lgkmcnt(0)
	ds_bpermute_b32 v3, v12, v2
	s_waitcnt lgkmcnt(0)
	v_add_f32_e32 v2, v2, v3
	ds_bpermute_b32 v3, v11, v2
	s_waitcnt lgkmcnt(0)
	v_add_f32_e32 v2, v2, v3
	v_mov_b32_e32 v3, 0
	ds_bpermute_b32 v2, v3, v2
	s_and_saveexec_b32 s1, s2
	s_cbranch_execz .LBB123_24
; %bb.22:
	s_waitcnt lgkmcnt(0)
	v_add_f32_e32 v3, 0x358637bd, v2
	s_mov_b32 s2, 0
	v_div_scale_f32 v5, null, v3, v3, 1.0
	v_div_scale_f32 v8, vcc_lo, 1.0, v3, 1.0
	v_rcp_f32_e32 v6, v5
	v_fma_f32 v7, -v5, v6, 1.0
	v_fmac_f32_e32 v6, v7, v6
	v_mul_f32_e32 v7, v8, v6
	v_fma_f32 v9, -v5, v7, v8
	v_fmac_f32_e32 v7, v9, v6
	v_fma_f32 v5, -v5, v7, v8
	v_div_fmas_f32 v5, v5, v6, v7
	v_div_fixup_f32 v3, v5, v3, 1.0
	v_mov_b32_e32 v5, v0
.LBB123_23:                             ; =>This Inner Loop Header: Depth=1
	ds_read_b32 v6, v4
	v_add_nc_u32_e32 v5, 0x80, v5
	v_cmp_le_i32_e32 vcc_lo, s4, v5
	s_or_b32 s2, vcc_lo, s2
	s_waitcnt lgkmcnt(0)
	v_mul_f32_e32 v6, v3, v6
	ds_write_b32 v4, v6
	v_add_nc_u32_e32 v4, 0x200, v4
	s_andn2_b32 exec_lo, exec_lo, s2
	s_cbranch_execnz .LBB123_23
.LBB123_24:
	s_or_b32 exec_lo, exec_lo, s1
	s_mul_i32 s1, s7, s24
	s_waitcnt lgkmcnt(0)
	s_mul_i32 s2, s1, s9
	s_mov_b32 s1, exec_lo
	s_barrier
	buffer_gl0_inv
	v_cmpx_eq_u32_e32 0, v0
	s_cbranch_execz .LBB123_26
; %bb.25:
	s_ashr_i32 s3, s2, 31
	s_mul_i32 s34, s7, s6
	s_lshl_b64 s[4:5], s[2:3], 2
	v_mov_b32_e32 v3, 0
	s_add_u32 s3, s18, s4
	s_addc_u32 s6, s19, s5
	s_ashr_i32 s35, s34, 31
	s_lshl_b64 s[18:19], s[34:35], 2
	s_add_u32 s3, s3, s18
	s_addc_u32 s6, s6, s19
	s_ashr_i32 s9, s8, 31
	s_lshl_b64 s[34:35], s[8:9], 2
	s_add_u32 s36, s3, s34
	s_addc_u32 s37, s6, s35
	s_add_u32 s3, s16, s4
	s_addc_u32 s4, s17, s5
	;; [unrolled: 2-line block ×4, first 2 shown]
	global_store_dword v3, v1, s[36:37]
	global_store_dword v3, v2, s[4:5]
.LBB123_26:
	s_or_b32 exec_lo, exec_lo, s1
	v_mov_b32_e32 v27, 0
	v_and_b32_e32 v13, 3, v0
	v_mov_b32_e32 v29, 0
	v_mov_b32_e32 v28, 0
	;; [unrolled: 1-line block ×15, first 2 shown]
	s_and_saveexec_b32 s3, s0
	s_cbranch_execz .LBB123_62
; %bb.27:
	v_lshlrev_b32_e32 v1, 3, v0
	s_ashr_i32 s15, s14, 31
	v_lshlrev_b32_e32 v2, 5, v13
	v_and_b32_e32 v3, 0x1f0, v71
	v_lshl_add_u32 v4, v69, 5, s30
	v_and_b32_e32 v1, 24, v1
	s_lshl_b64 s[0:1], s[14:15], 1
	v_lshl_or_b32 v5, v69, 7, v2
	s_add_u32 s0, s26, s0
	s_addc_u32 s1, s27, s1
	v_add_co_u32 v31, s0, s0, v3
	v_add3_u32 v33, v4, v1, 7
	v_lshlrev_b64 v[1:2], 2, v[65:66]
	v_add_co_ci_u32_e64 v32, null, s1, 0, s0
	s_lshl_b64 s[0:1], s[28:29], 2
	s_add_i32 s12, s12, -1
	s_add_u32 s0, s22, s0
	v_add_nc_u32_e32 v34, 0x120, v5
	s_addc_u32 s1, s23, s1
	v_add_co_u32 v5, vcc_lo, s0, v1
	v_mov_b32_e32 v30, 0
	v_add_co_ci_u32_e64 v6, null, s1, v2, vcc_lo
	v_mov_b32_e32 v14, 0
	v_mov_b32_e32 v15, 0
	;; [unrolled: 1-line block ×16, first 2 shown]
	s_mov_b32 s5, s13
	s_mov_b32 s4, 0
	s_branch .LBB123_29
.LBB123_28:                             ;   in Loop: Header=BB123_29 Depth=1
	s_or_b32 exec_lo, exec_lo, s1
	v_add_f32_e32 v9, v9, v10
	v_add_f32_e32 v35, v76, v77
	;; [unrolled: 1-line block ×3, first 2 shown]
	v_lshlrev_b32_e32 v8, 16, v8
	v_lshlrev_b32_e32 v7, 16, v7
	v_add_f32_e32 v18, v18, v9
	v_add_f32_e32 v9, v64, v66
	;; [unrolled: 1-line block ×7, first 2 shown]
	v_lshlrev_b32_e32 v9, 16, v75
	v_add_f32_e32 v10, v62, v63
	v_add_f32_e32 v35, v60, v61
	v_and_or_b32 v2, 0xffff, v2, v8
	v_and_or_b32 v3, 0xffff, v3, v7
	;; [unrolled: 1-line block ×3, first 2 shown]
	;;#ASMSTART
	v_pk_mul_f16 v1, v38, v1;

	;;#ASMEND
	;;#ASMSTART
	v_pk_mul_f16 v2, v37, v2;

	;;#ASMEND
	;; [unrolled: 4-line block ×4, first 2 shown]
	;;#ASMSTART
	v_pk_add_f16 v1, v1, v2;

	;;#ASMEND
	;;#ASMSTART
	v_pk_add_f16 v1, v1, v3;

	;;#ASMEND
	;; [unrolled: 4-line block ×3, first 2 shown]
	v_and_b32_e32 v4, 0xffff, v1
	v_add_nc_u32_e32 v65, 4, v65
	v_lshrrev_b32_e32 v7, 16, v1
	;;#ASMSTART
	v_cvt_f32_f16 v4, v4;
	;;#ASMEND
	v_add_f32_e32 v16, v16, v36
	v_add_f32_e32 v17, v17, v41
	;; [unrolled: 1-line block ×11, first 2 shown]
	;;#ASMSTART
	v_cvt_f32_f16 v7, v7;
	;;#ASMEND
	v_add_f32_e32 v4, v4, v7
	v_cmp_le_i32_e32 vcc_lo, s11, v65
	v_add_co_u32 v5, s0, v5, 16
	v_add_f32_e32 v23, v23, v36
	v_add_f32_e32 v24, v24, v41
	;; [unrolled: 1-line block ×8, first 2 shown]
	v_add_nc_u32_e32 v33, 0x80, v33
	v_add_nc_u32_e32 v34, 0x200, v34
	v_add_co_ci_u32_e64 v6, null, 0, v6, s0
	s_or_b32 s4, vcc_lo, s4
	s_andn2_b32 exec_lo, exec_lo, s4
	s_cbranch_execz .LBB123_61
.LBB123_29:                             ; =>This Inner Loop Header: Depth=1
	global_load_dword v7, v[5:6], off
	ds_read2_b64 v[1:4], v34 offset1:1
	ds_read2_b64 v[44:47], v34 offset0:2 offset1:3
	v_cmp_eq_u32_e64 s0, s12, v65
	v_add_nc_u32_e32 v43, -5, v33
	v_add_nc_u32_e32 v41, -4, v33
	;; [unrolled: 1-line block ×4, first 2 shown]
	s_waitcnt lgkmcnt(1)
	;;#ASMSTART
	v_cvt_f16_f32 v38, v1;

	;;#ASMEND
	;;#ASMSTART
	v_cvt_f16_f32 v37, v2;

	;;#ASMEND
	;; [unrolled: 4-line block ×4, first 2 shown]
	s_waitcnt lgkmcnt(0)
	;;#ASMSTART
	v_cvt_f16_f32 v44, v44;

	;;#ASMEND
	;;#ASMSTART
	v_cvt_f16_f32 v10, v45;

	;;#ASMEND
	;; [unrolled: 4-line block ×4, first 2 shown]
	v_add_nc_u32_e32 v45, -7, v33
	v_add_nc_u32_e32 v47, -6, v33
	;; [unrolled: 1-line block ×3, first 2 shown]
	s_waitcnt vmcnt(0)
	v_mad_i64_i32 v[7:8], null, v7, s5, 0
	v_lshlrev_b64 v[7:8], 1, v[7:8]
	v_add_co_u32 v7, vcc_lo, v31, v7
	v_add_co_ci_u32_e64 v8, null, v32, v8, vcc_lo
	global_load_dwordx4 v[1:4], v[7:8], off
	s_waitcnt vmcnt(0)
	v_lshrrev_b32_e32 v50, 16, v1
	v_lshrrev_b32_e32 v49, 16, v2
	;; [unrolled: 1-line block ×3, first 2 shown]
	s_and_saveexec_b32 s6, s0
	s_cbranch_execz .LBB123_31
; %bb.30:                               ;   in Loop: Header=BB123_29 Depth=1
	v_cmp_gt_i32_e32 vcc_lo, s25, v45
	v_and_b32_e32 v51, 0xffff0000, v4
	v_cmp_gt_i32_e64 s1, s25, v43
	v_cndmask_b32_e32 v1, 0, v1, vcc_lo
	v_cmp_gt_i32_e32 vcc_lo, s25, v47
	v_cndmask_b32_e64 v2, 0, v2, s1
	v_cmp_gt_i32_e64 s1, s25, v41
	v_cndmask_b32_e32 v50, 0, v50, vcc_lo
	v_cmp_gt_i32_e32 vcc_lo, s25, v46
	v_cndmask_b32_e64 v49, 0, v49, s1
	v_cndmask_b32_sdwa v4, v30, v4, vcc_lo dst_sel:DWORD dst_unused:UNUSED_PAD src0_sel:DWORD src1_sel:WORD_0
	v_cmp_gt_i32_e32 vcc_lo, s25, v33
	v_cndmask_b32_e32 v51, 0, v51, vcc_lo
	v_cmp_gt_i32_e32 vcc_lo, s25, v36
	v_or_b32_e32 v4, v4, v51
	v_cndmask_b32_e32 v3, 0, v3, vcc_lo
	v_cmp_gt_i32_e32 vcc_lo, s25, v35
	v_cndmask_b32_e32 v48, 0, v48, vcc_lo
.LBB123_31:                             ;   in Loop: Header=BB123_29 Depth=1
	s_or_b32 exec_lo, exec_lo, s6
	v_and_b32_e32 v38, 0xffff, v38
	v_and_b32_e32 v42, 0xffff, v42
	v_lshlrev_b32_e32 v50, 16, v50
	v_lshlrev_b32_e32 v48, 16, v48
	v_and_b32_e32 v44, 0xffff, v44
	v_lshl_or_b32 v38, v37, 16, v38
	v_lshl_or_b32 v37, v39, 16, v42
	v_lshlrev_b32_e32 v42, 16, v49
	v_and_b32_e32 v40, 0xffff, v40
	v_and_or_b32 v1, 0xffff, v1, v50
	v_and_or_b32 v3, 0xffff, v3, v48
	;;#ASMSTART
	v_pk_mul_f16 v1, v38, v1;

	;;#ASMEND
	v_and_or_b32 v2, 0xffff, v2, v42
	v_lshl_or_b32 v39, v10, 16, v44
	v_lshl_or_b32 v40, v9, 16, v40
	;;#ASMSTART
	v_pk_mul_f16 v2, v37, v2;

	;;#ASMEND
	;;#ASMSTART
	v_pk_mul_f16 v3, v39, v3;

	;;#ASMEND
	;; [unrolled: 4-line block ×3, first 2 shown]
	;;#ASMSTART
	v_pk_add_f16 v1, v1, v2;

	;;#ASMEND
	;;#ASMSTART
	v_pk_add_f16 v1, v1, v3;

	;;#ASMEND
	;; [unrolled: 4-line block ×3, first 2 shown]
	v_and_b32_e32 v2, 0xffff, v1
	v_lshrrev_b32_e32 v1, 16, v1
	;;#ASMSTART
	v_cvt_f32_f16 v42, v2;
	;;#ASMEND
	;;#ASMSTART
	v_cvt_f32_f16 v44, v1;
	;;#ASMEND
	global_load_dwordx4 v[1:4], v[7:8], off offset:512
	s_waitcnt vmcnt(0)
	v_lshrrev_b32_e32 v48, 16, v1
	v_lshrrev_b32_e32 v10, 16, v2
	;; [unrolled: 1-line block ×3, first 2 shown]
	s_and_saveexec_b32 s6, s0
	s_cbranch_execz .LBB123_33
; %bb.32:                               ;   in Loop: Header=BB123_29 Depth=1
	v_cmp_gt_i32_e32 vcc_lo, s25, v45
	v_and_b32_e32 v49, 0xffff0000, v4
	v_cmp_gt_i32_e64 s1, s25, v43
	v_cndmask_b32_e32 v1, 0, v1, vcc_lo
	v_cmp_gt_i32_e32 vcc_lo, s25, v47
	v_cndmask_b32_e64 v2, 0, v2, s1
	v_cmp_gt_i32_e64 s1, s25, v41
	v_cndmask_b32_e32 v48, 0, v48, vcc_lo
	v_cmp_gt_i32_e32 vcc_lo, s25, v46
	v_cndmask_b32_e64 v10, 0, v10, s1
	v_cndmask_b32_sdwa v4, v30, v4, vcc_lo dst_sel:DWORD dst_unused:UNUSED_PAD src0_sel:DWORD src1_sel:WORD_0
	v_cmp_gt_i32_e32 vcc_lo, s25, v33
	v_cndmask_b32_e32 v49, 0, v49, vcc_lo
	v_cmp_gt_i32_e32 vcc_lo, s25, v36
	v_or_b32_e32 v4, v4, v49
	v_cndmask_b32_e32 v3, 0, v3, vcc_lo
	v_cmp_gt_i32_e32 vcc_lo, s25, v35
	v_cndmask_b32_e32 v9, 0, v9, vcc_lo
.LBB123_33:                             ;   in Loop: Header=BB123_29 Depth=1
	s_or_b32 exec_lo, exec_lo, s6
	v_lshlrev_b32_e32 v48, 16, v48
	v_lshlrev_b32_e32 v10, 16, v10
	;; [unrolled: 1-line block ×3, first 2 shown]
	v_and_or_b32 v1, 0xffff, v1, v48
	v_and_or_b32 v2, 0xffff, v2, v10
	;; [unrolled: 1-line block ×3, first 2 shown]
	;;#ASMSTART
	v_pk_mul_f16 v1, v38, v1;

	;;#ASMEND
	;;#ASMSTART
	v_pk_mul_f16 v2, v37, v2;

	;;#ASMEND
	;; [unrolled: 4-line block ×4, first 2 shown]
	;;#ASMSTART
	v_pk_add_f16 v1, v1, v2;

	;;#ASMEND
	;;#ASMSTART
	v_pk_add_f16 v1, v1, v3;

	;;#ASMEND
	;; [unrolled: 4-line block ×3, first 2 shown]
	v_and_b32_e32 v2, 0xffff, v1
	v_lshrrev_b32_e32 v1, 16, v1
	;;#ASMSTART
	v_cvt_f32_f16 v48, v2;
	;;#ASMEND
	;;#ASMSTART
	v_cvt_f32_f16 v49, v1;
	;;#ASMEND
	global_load_dwordx4 v[1:4], v[7:8], off offset:1024
	s_waitcnt vmcnt(0)
	v_lshrrev_b32_e32 v50, 16, v1
	v_lshrrev_b32_e32 v10, 16, v2
	;; [unrolled: 1-line block ×3, first 2 shown]
	s_and_saveexec_b32 s6, s0
	s_cbranch_execz .LBB123_35
; %bb.34:                               ;   in Loop: Header=BB123_29 Depth=1
	v_cmp_gt_i32_e32 vcc_lo, s25, v45
	v_and_b32_e32 v51, 0xffff0000, v4
	v_cmp_gt_i32_e64 s1, s25, v43
	v_cndmask_b32_e32 v1, 0, v1, vcc_lo
	v_cmp_gt_i32_e32 vcc_lo, s25, v47
	v_cndmask_b32_e64 v2, 0, v2, s1
	v_cmp_gt_i32_e64 s1, s25, v41
	v_cndmask_b32_e32 v50, 0, v50, vcc_lo
	v_cmp_gt_i32_e32 vcc_lo, s25, v46
	v_cndmask_b32_e64 v10, 0, v10, s1
	v_cndmask_b32_sdwa v4, v30, v4, vcc_lo dst_sel:DWORD dst_unused:UNUSED_PAD src0_sel:DWORD src1_sel:WORD_0
	v_cmp_gt_i32_e32 vcc_lo, s25, v33
	v_cndmask_b32_e32 v51, 0, v51, vcc_lo
	v_cmp_gt_i32_e32 vcc_lo, s25, v36
	v_or_b32_e32 v4, v4, v51
	v_cndmask_b32_e32 v3, 0, v3, vcc_lo
	v_cmp_gt_i32_e32 vcc_lo, s25, v35
	v_cndmask_b32_e32 v9, 0, v9, vcc_lo
.LBB123_35:                             ;   in Loop: Header=BB123_29 Depth=1
	s_or_b32 exec_lo, exec_lo, s6
	v_lshlrev_b32_e32 v50, 16, v50
	v_lshlrev_b32_e32 v10, 16, v10
	;; [unrolled: 1-line block ×3, first 2 shown]
	v_and_or_b32 v1, 0xffff, v1, v50
	v_and_or_b32 v2, 0xffff, v2, v10
	;; [unrolled: 1-line block ×3, first 2 shown]
	;;#ASMSTART
	v_pk_mul_f16 v1, v38, v1;

	;;#ASMEND
	;;#ASMSTART
	v_pk_mul_f16 v2, v37, v2;

	;;#ASMEND
	;; [unrolled: 4-line block ×4, first 2 shown]
	;;#ASMSTART
	v_pk_add_f16 v1, v1, v2;

	;;#ASMEND
	;;#ASMSTART
	v_pk_add_f16 v1, v1, v3;

	;;#ASMEND
	;; [unrolled: 4-line block ×3, first 2 shown]
	v_and_b32_e32 v2, 0xffff, v1
	v_lshrrev_b32_e32 v1, 16, v1
	;;#ASMSTART
	v_cvt_f32_f16 v50, v2;
	;;#ASMEND
	;;#ASMSTART
	v_cvt_f32_f16 v51, v1;
	;;#ASMEND
	global_load_dwordx4 v[1:4], v[7:8], off offset:1536
	s_waitcnt vmcnt(0)
	v_lshrrev_b32_e32 v52, 16, v1
	v_lshrrev_b32_e32 v10, 16, v2
	;; [unrolled: 1-line block ×3, first 2 shown]
	s_and_saveexec_b32 s6, s0
	s_cbranch_execz .LBB123_37
; %bb.36:                               ;   in Loop: Header=BB123_29 Depth=1
	v_cmp_gt_i32_e32 vcc_lo, s25, v45
	v_and_b32_e32 v53, 0xffff0000, v4
	v_cmp_gt_i32_e64 s1, s25, v43
	v_cndmask_b32_e32 v1, 0, v1, vcc_lo
	v_cmp_gt_i32_e32 vcc_lo, s25, v47
	v_cndmask_b32_e64 v2, 0, v2, s1
	v_cmp_gt_i32_e64 s1, s25, v41
	v_cndmask_b32_e32 v52, 0, v52, vcc_lo
	v_cmp_gt_i32_e32 vcc_lo, s25, v46
	v_cndmask_b32_e64 v10, 0, v10, s1
	v_cndmask_b32_sdwa v4, v30, v4, vcc_lo dst_sel:DWORD dst_unused:UNUSED_PAD src0_sel:DWORD src1_sel:WORD_0
	v_cmp_gt_i32_e32 vcc_lo, s25, v33
	v_cndmask_b32_e32 v53, 0, v53, vcc_lo
	v_cmp_gt_i32_e32 vcc_lo, s25, v36
	v_or_b32_e32 v4, v4, v53
	v_cndmask_b32_e32 v3, 0, v3, vcc_lo
	v_cmp_gt_i32_e32 vcc_lo, s25, v35
	v_cndmask_b32_e32 v9, 0, v9, vcc_lo
.LBB123_37:                             ;   in Loop: Header=BB123_29 Depth=1
	s_or_b32 exec_lo, exec_lo, s6
	v_lshlrev_b32_e32 v9, 16, v9
	v_lshlrev_b32_e32 v52, 16, v52
	;; [unrolled: 1-line block ×3, first 2 shown]
	v_and_or_b32 v3, 0xffff, v3, v9
	v_add_co_u32 v9, vcc_lo, 0x800, v7
	v_and_or_b32 v1, 0xffff, v1, v52
	v_and_or_b32 v2, 0xffff, v2, v10
	;;#ASMSTART
	v_pk_mul_f16 v1, v38, v1;

	;;#ASMEND
	v_add_co_ci_u32_e64 v10, null, 0, v8, vcc_lo
	;;#ASMSTART
	v_pk_mul_f16 v2, v37, v2;

	;;#ASMEND
	;;#ASMSTART
	v_pk_mul_f16 v3, v39, v3;

	;;#ASMEND
	;; [unrolled: 4-line block ×3, first 2 shown]
	;;#ASMSTART
	v_pk_add_f16 v1, v1, v2;

	;;#ASMEND
	;;#ASMSTART
	v_pk_add_f16 v1, v1, v3;

	;;#ASMEND
	;; [unrolled: 4-line block ×3, first 2 shown]
	v_lshrrev_b32_e32 v2, 16, v1
	v_and_b32_e32 v1, 0xffff, v1
	;;#ASMSTART
	v_cvt_f32_f16 v52, v1;
	;;#ASMEND
	;;#ASMSTART
	v_cvt_f32_f16 v53, v2;
	;;#ASMEND
	global_load_dwordx4 v[1:4], v[9:10], off
	s_waitcnt vmcnt(0)
	v_lshrrev_b32_e32 v56, 16, v1
	v_lshrrev_b32_e32 v55, 16, v2
	;; [unrolled: 1-line block ×3, first 2 shown]
	s_and_saveexec_b32 s6, s0
	s_cbranch_execz .LBB123_39
; %bb.38:                               ;   in Loop: Header=BB123_29 Depth=1
	v_cmp_gt_i32_e32 vcc_lo, s25, v45
	v_and_b32_e32 v57, 0xffff0000, v4
	v_cmp_gt_i32_e64 s1, s25, v43
	v_cndmask_b32_e32 v1, 0, v1, vcc_lo
	v_cmp_gt_i32_e32 vcc_lo, s25, v47
	v_cndmask_b32_e64 v2, 0, v2, s1
	v_cmp_gt_i32_e64 s1, s25, v41
	v_cndmask_b32_e32 v56, 0, v56, vcc_lo
	v_cmp_gt_i32_e32 vcc_lo, s25, v46
	v_cndmask_b32_e64 v55, 0, v55, s1
	v_cndmask_b32_sdwa v4, v30, v4, vcc_lo dst_sel:DWORD dst_unused:UNUSED_PAD src0_sel:DWORD src1_sel:WORD_0
	v_cmp_gt_i32_e32 vcc_lo, s25, v33
	v_cndmask_b32_e32 v57, 0, v57, vcc_lo
	v_cmp_gt_i32_e32 vcc_lo, s25, v36
	v_or_b32_e32 v4, v4, v57
	v_cndmask_b32_e32 v3, 0, v3, vcc_lo
	v_cmp_gt_i32_e32 vcc_lo, s25, v35
	v_cndmask_b32_e32 v54, 0, v54, vcc_lo
.LBB123_39:                             ;   in Loop: Header=BB123_29 Depth=1
	s_or_b32 exec_lo, exec_lo, s6
	v_lshlrev_b32_e32 v56, 16, v56
	v_lshlrev_b32_e32 v55, 16, v55
	;; [unrolled: 1-line block ×3, first 2 shown]
	v_and_or_b32 v1, 0xffff, v1, v56
	v_and_or_b32 v2, 0xffff, v2, v55
	v_and_or_b32 v3, 0xffff, v3, v54
	;;#ASMSTART
	v_pk_mul_f16 v1, v38, v1;

	;;#ASMEND
	;;#ASMSTART
	v_pk_mul_f16 v2, v37, v2;

	;;#ASMEND
	;; [unrolled: 4-line block ×4, first 2 shown]
	;;#ASMSTART
	v_pk_add_f16 v1, v1, v2;

	;;#ASMEND
	;;#ASMSTART
	v_pk_add_f16 v1, v1, v3;

	;;#ASMEND
	;; [unrolled: 4-line block ×3, first 2 shown]
	v_and_b32_e32 v2, 0xffff, v1
	v_lshrrev_b32_e32 v1, 16, v1
	;;#ASMSTART
	v_cvt_f32_f16 v54, v2;
	;;#ASMEND
	;;#ASMSTART
	v_cvt_f32_f16 v55, v1;
	;;#ASMEND
	global_load_dwordx4 v[1:4], v[9:10], off offset:512
	s_waitcnt vmcnt(0)
	v_lshrrev_b32_e32 v58, 16, v1
	v_lshrrev_b32_e32 v57, 16, v2
	;; [unrolled: 1-line block ×3, first 2 shown]
	s_and_saveexec_b32 s6, s0
	s_cbranch_execz .LBB123_41
; %bb.40:                               ;   in Loop: Header=BB123_29 Depth=1
	v_cmp_gt_i32_e32 vcc_lo, s25, v45
	v_and_b32_e32 v59, 0xffff0000, v4
	v_cmp_gt_i32_e64 s1, s25, v43
	v_cndmask_b32_e32 v1, 0, v1, vcc_lo
	v_cmp_gt_i32_e32 vcc_lo, s25, v47
	v_cndmask_b32_e64 v2, 0, v2, s1
	v_cmp_gt_i32_e64 s1, s25, v41
	v_cndmask_b32_e32 v58, 0, v58, vcc_lo
	v_cmp_gt_i32_e32 vcc_lo, s25, v46
	v_cndmask_b32_e64 v57, 0, v57, s1
	v_cndmask_b32_sdwa v4, v30, v4, vcc_lo dst_sel:DWORD dst_unused:UNUSED_PAD src0_sel:DWORD src1_sel:WORD_0
	v_cmp_gt_i32_e32 vcc_lo, s25, v33
	v_cndmask_b32_e32 v59, 0, v59, vcc_lo
	v_cmp_gt_i32_e32 vcc_lo, s25, v36
	v_or_b32_e32 v4, v4, v59
	v_cndmask_b32_e32 v3, 0, v3, vcc_lo
	v_cmp_gt_i32_e32 vcc_lo, s25, v35
	v_cndmask_b32_e32 v56, 0, v56, vcc_lo
.LBB123_41:                             ;   in Loop: Header=BB123_29 Depth=1
	s_or_b32 exec_lo, exec_lo, s6
	v_lshlrev_b32_e32 v58, 16, v58
	v_lshlrev_b32_e32 v57, 16, v57
	;; [unrolled: 1-line block ×3, first 2 shown]
	v_and_or_b32 v1, 0xffff, v1, v58
	v_and_or_b32 v2, 0xffff, v2, v57
	;; [unrolled: 1-line block ×3, first 2 shown]
	;;#ASMSTART
	v_pk_mul_f16 v1, v38, v1;

	;;#ASMEND
	;;#ASMSTART
	v_pk_mul_f16 v2, v37, v2;

	;;#ASMEND
	;; [unrolled: 4-line block ×4, first 2 shown]
	;;#ASMSTART
	v_pk_add_f16 v1, v1, v2;

	;;#ASMEND
	;;#ASMSTART
	v_pk_add_f16 v1, v1, v3;

	;;#ASMEND
	;; [unrolled: 4-line block ×3, first 2 shown]
	v_and_b32_e32 v2, 0xffff, v1
	v_lshrrev_b32_e32 v1, 16, v1
	;;#ASMSTART
	v_cvt_f32_f16 v56, v2;
	;;#ASMEND
	;;#ASMSTART
	v_cvt_f32_f16 v57, v1;
	;;#ASMEND
	global_load_dwordx4 v[1:4], v[9:10], off offset:1024
	s_waitcnt vmcnt(0)
	v_lshrrev_b32_e32 v60, 16, v1
	v_lshrrev_b32_e32 v59, 16, v2
	;; [unrolled: 1-line block ×3, first 2 shown]
	s_and_saveexec_b32 s6, s0
	s_cbranch_execz .LBB123_43
; %bb.42:                               ;   in Loop: Header=BB123_29 Depth=1
	v_cmp_gt_i32_e32 vcc_lo, s25, v45
	v_and_b32_e32 v61, 0xffff0000, v4
	v_cmp_gt_i32_e64 s1, s25, v43
	v_cndmask_b32_e32 v1, 0, v1, vcc_lo
	v_cmp_gt_i32_e32 vcc_lo, s25, v47
	v_cndmask_b32_e64 v2, 0, v2, s1
	v_cmp_gt_i32_e64 s1, s25, v41
	v_cndmask_b32_e32 v60, 0, v60, vcc_lo
	v_cmp_gt_i32_e32 vcc_lo, s25, v46
	v_cndmask_b32_e64 v59, 0, v59, s1
	v_cndmask_b32_sdwa v4, v30, v4, vcc_lo dst_sel:DWORD dst_unused:UNUSED_PAD src0_sel:DWORD src1_sel:WORD_0
	v_cmp_gt_i32_e32 vcc_lo, s25, v33
	v_cndmask_b32_e32 v61, 0, v61, vcc_lo
	v_cmp_gt_i32_e32 vcc_lo, s25, v36
	v_or_b32_e32 v4, v4, v61
	v_cndmask_b32_e32 v3, 0, v3, vcc_lo
	v_cmp_gt_i32_e32 vcc_lo, s25, v35
	v_cndmask_b32_e32 v58, 0, v58, vcc_lo
.LBB123_43:                             ;   in Loop: Header=BB123_29 Depth=1
	s_or_b32 exec_lo, exec_lo, s6
	v_lshlrev_b32_e32 v60, 16, v60
	v_lshlrev_b32_e32 v59, 16, v59
	;; [unrolled: 1-line block ×3, first 2 shown]
	v_and_or_b32 v1, 0xffff, v1, v60
	v_and_or_b32 v2, 0xffff, v2, v59
	;; [unrolled: 1-line block ×3, first 2 shown]
	;;#ASMSTART
	v_pk_mul_f16 v1, v38, v1;

	;;#ASMEND
	;;#ASMSTART
	v_pk_mul_f16 v2, v37, v2;

	;;#ASMEND
	;; [unrolled: 4-line block ×4, first 2 shown]
	;;#ASMSTART
	v_pk_add_f16 v1, v1, v2;

	;;#ASMEND
	;;#ASMSTART
	v_pk_add_f16 v1, v1, v3;

	;;#ASMEND
	;; [unrolled: 4-line block ×3, first 2 shown]
	v_and_b32_e32 v2, 0xffff, v1
	v_lshrrev_b32_e32 v1, 16, v1
	;;#ASMSTART
	v_cvt_f32_f16 v58, v2;
	;;#ASMEND
	;;#ASMSTART
	v_cvt_f32_f16 v59, v1;
	;;#ASMEND
	global_load_dwordx4 v[1:4], v[9:10], off offset:1536
	s_waitcnt vmcnt(0)
	v_lshrrev_b32_e32 v60, 16, v1
	v_lshrrev_b32_e32 v10, 16, v2
	;; [unrolled: 1-line block ×3, first 2 shown]
	s_and_saveexec_b32 s6, s0
	s_cbranch_execz .LBB123_45
; %bb.44:                               ;   in Loop: Header=BB123_29 Depth=1
	v_cmp_gt_i32_e32 vcc_lo, s25, v45
	v_and_b32_e32 v61, 0xffff0000, v4
	v_cmp_gt_i32_e64 s1, s25, v43
	v_cndmask_b32_e32 v1, 0, v1, vcc_lo
	v_cmp_gt_i32_e32 vcc_lo, s25, v47
	v_cndmask_b32_e64 v2, 0, v2, s1
	v_cmp_gt_i32_e64 s1, s25, v41
	v_cndmask_b32_e32 v60, 0, v60, vcc_lo
	v_cmp_gt_i32_e32 vcc_lo, s25, v46
	v_cndmask_b32_e64 v10, 0, v10, s1
	v_cndmask_b32_sdwa v4, v30, v4, vcc_lo dst_sel:DWORD dst_unused:UNUSED_PAD src0_sel:DWORD src1_sel:WORD_0
	v_cmp_gt_i32_e32 vcc_lo, s25, v33
	v_cndmask_b32_e32 v61, 0, v61, vcc_lo
	v_cmp_gt_i32_e32 vcc_lo, s25, v36
	v_or_b32_e32 v4, v4, v61
	v_cndmask_b32_e32 v3, 0, v3, vcc_lo
	v_cmp_gt_i32_e32 vcc_lo, s25, v35
	v_cndmask_b32_e32 v9, 0, v9, vcc_lo
.LBB123_45:                             ;   in Loop: Header=BB123_29 Depth=1
	s_or_b32 exec_lo, exec_lo, s6
	v_lshlrev_b32_e32 v9, 16, v9
	v_lshlrev_b32_e32 v60, 16, v60
	;; [unrolled: 1-line block ×3, first 2 shown]
	v_and_or_b32 v3, 0xffff, v3, v9
	v_add_co_u32 v9, vcc_lo, 0x1000, v7
	v_and_or_b32 v1, 0xffff, v1, v60
	v_and_or_b32 v2, 0xffff, v2, v10
	;;#ASMSTART
	v_pk_mul_f16 v1, v38, v1;

	;;#ASMEND
	v_add_co_ci_u32_e64 v10, null, 0, v8, vcc_lo
	;;#ASMSTART
	v_pk_mul_f16 v2, v37, v2;

	;;#ASMEND
	;;#ASMSTART
	v_pk_mul_f16 v3, v39, v3;

	;;#ASMEND
	;; [unrolled: 4-line block ×3, first 2 shown]
	;;#ASMSTART
	v_pk_add_f16 v1, v1, v2;

	;;#ASMEND
	;;#ASMSTART
	v_pk_add_f16 v1, v1, v3;

	;;#ASMEND
	;; [unrolled: 4-line block ×3, first 2 shown]
	v_lshrrev_b32_e32 v2, 16, v1
	v_and_b32_e32 v1, 0xffff, v1
	;;#ASMSTART
	v_cvt_f32_f16 v60, v1;
	;;#ASMEND
	;;#ASMSTART
	v_cvt_f32_f16 v61, v2;
	;;#ASMEND
	global_load_dwordx4 v[1:4], v[9:10], off
	s_waitcnt vmcnt(0)
	v_lshrrev_b32_e32 v64, 16, v1
	v_lshrrev_b32_e32 v63, 16, v2
	v_lshrrev_b32_e32 v62, 16, v3
	s_and_saveexec_b32 s6, s0
	s_cbranch_execz .LBB123_47
; %bb.46:                               ;   in Loop: Header=BB123_29 Depth=1
	v_cmp_gt_i32_e32 vcc_lo, s25, v45
	v_and_b32_e32 v66, 0xffff0000, v4
	v_cmp_gt_i32_e64 s1, s25, v43
	v_cndmask_b32_e32 v1, 0, v1, vcc_lo
	v_cmp_gt_i32_e32 vcc_lo, s25, v47
	v_cndmask_b32_e64 v2, 0, v2, s1
	v_cmp_gt_i32_e64 s1, s25, v41
	v_cndmask_b32_e32 v64, 0, v64, vcc_lo
	v_cmp_gt_i32_e32 vcc_lo, s25, v46
	v_cndmask_b32_e64 v63, 0, v63, s1
	v_cndmask_b32_sdwa v4, v30, v4, vcc_lo dst_sel:DWORD dst_unused:UNUSED_PAD src0_sel:DWORD src1_sel:WORD_0
	v_cmp_gt_i32_e32 vcc_lo, s25, v33
	v_cndmask_b32_e32 v66, 0, v66, vcc_lo
	v_cmp_gt_i32_e32 vcc_lo, s25, v36
	v_or_b32_e32 v4, v4, v66
	v_cndmask_b32_e32 v3, 0, v3, vcc_lo
	v_cmp_gt_i32_e32 vcc_lo, s25, v35
	v_cndmask_b32_e32 v62, 0, v62, vcc_lo
.LBB123_47:                             ;   in Loop: Header=BB123_29 Depth=1
	s_or_b32 exec_lo, exec_lo, s6
	v_lshlrev_b32_e32 v64, 16, v64
	v_lshlrev_b32_e32 v63, 16, v63
	;; [unrolled: 1-line block ×3, first 2 shown]
	v_and_or_b32 v1, 0xffff, v1, v64
	v_and_or_b32 v2, 0xffff, v2, v63
	;; [unrolled: 1-line block ×3, first 2 shown]
	;;#ASMSTART
	v_pk_mul_f16 v1, v38, v1;

	;;#ASMEND
	;;#ASMSTART
	v_pk_mul_f16 v2, v37, v2;

	;;#ASMEND
	;;#ASMSTART
	v_pk_mul_f16 v3, v39, v3;

	;;#ASMEND
	;;#ASMSTART
	v_pk_mul_f16 v4, v40, v4;

	;;#ASMEND
	;;#ASMSTART
	v_pk_add_f16 v1, v1, v2;

	;;#ASMEND
	;;#ASMSTART
	v_pk_add_f16 v1, v1, v3;

	;;#ASMEND
	;; [unrolled: 4-line block ×3, first 2 shown]
	v_and_b32_e32 v2, 0xffff, v1
	v_lshrrev_b32_e32 v1, 16, v1
	;;#ASMSTART
	v_cvt_f32_f16 v62, v2;
	;;#ASMEND
	;;#ASMSTART
	v_cvt_f32_f16 v63, v1;
	;;#ASMEND
	global_load_dwordx4 v[1:4], v[9:10], off offset:512
	s_waitcnt vmcnt(0)
	v_lshrrev_b32_e32 v67, 16, v1
	v_lshrrev_b32_e32 v66, 16, v2
	;; [unrolled: 1-line block ×3, first 2 shown]
	s_and_saveexec_b32 s6, s0
	s_cbranch_execz .LBB123_49
; %bb.48:                               ;   in Loop: Header=BB123_29 Depth=1
	v_cmp_gt_i32_e32 vcc_lo, s25, v45
	v_and_b32_e32 v68, 0xffff0000, v4
	v_cmp_gt_i32_e64 s1, s25, v43
	v_cndmask_b32_e32 v1, 0, v1, vcc_lo
	v_cmp_gt_i32_e32 vcc_lo, s25, v47
	v_cndmask_b32_e64 v2, 0, v2, s1
	v_cmp_gt_i32_e64 s1, s25, v41
	v_cndmask_b32_e32 v67, 0, v67, vcc_lo
	v_cmp_gt_i32_e32 vcc_lo, s25, v46
	v_cndmask_b32_e64 v66, 0, v66, s1
	v_cndmask_b32_sdwa v4, v30, v4, vcc_lo dst_sel:DWORD dst_unused:UNUSED_PAD src0_sel:DWORD src1_sel:WORD_0
	v_cmp_gt_i32_e32 vcc_lo, s25, v33
	v_cndmask_b32_e32 v68, 0, v68, vcc_lo
	v_cmp_gt_i32_e32 vcc_lo, s25, v36
	v_or_b32_e32 v4, v4, v68
	v_cndmask_b32_e32 v3, 0, v3, vcc_lo
	v_cmp_gt_i32_e32 vcc_lo, s25, v35
	v_cndmask_b32_e32 v64, 0, v64, vcc_lo
.LBB123_49:                             ;   in Loop: Header=BB123_29 Depth=1
	s_or_b32 exec_lo, exec_lo, s6
	v_lshlrev_b32_e32 v67, 16, v67
	v_lshlrev_b32_e32 v66, 16, v66
	;; [unrolled: 1-line block ×3, first 2 shown]
	v_and_or_b32 v1, 0xffff, v1, v67
	v_and_or_b32 v2, 0xffff, v2, v66
	;; [unrolled: 1-line block ×3, first 2 shown]
	;;#ASMSTART
	v_pk_mul_f16 v1, v38, v1;

	;;#ASMEND
	;;#ASMSTART
	v_pk_mul_f16 v2, v37, v2;

	;;#ASMEND
	;; [unrolled: 4-line block ×4, first 2 shown]
	;;#ASMSTART
	v_pk_add_f16 v1, v1, v2;

	;;#ASMEND
	;;#ASMSTART
	v_pk_add_f16 v1, v1, v3;

	;;#ASMEND
	;;#ASMSTART
	v_pk_add_f16 v1, v1, v4;

	;;#ASMEND
	v_and_b32_e32 v2, 0xffff, v1
	v_lshrrev_b32_e32 v1, 16, v1
	;;#ASMSTART
	v_cvt_f32_f16 v64, v2;
	;;#ASMEND
	;;#ASMSTART
	v_cvt_f32_f16 v66, v1;
	;;#ASMEND
	global_load_dwordx4 v[1:4], v[9:10], off offset:1024
	s_waitcnt vmcnt(0)
	v_lshrrev_b32_e32 v71, 16, v1
	v_lshrrev_b32_e32 v68, 16, v2
	;; [unrolled: 1-line block ×3, first 2 shown]
	s_and_saveexec_b32 s6, s0
	s_cbranch_execz .LBB123_51
; %bb.50:                               ;   in Loop: Header=BB123_29 Depth=1
	v_cmp_gt_i32_e32 vcc_lo, s25, v45
	v_and_b32_e32 v72, 0xffff0000, v4
	v_cmp_gt_i32_e64 s1, s25, v43
	v_cndmask_b32_e32 v1, 0, v1, vcc_lo
	v_cmp_gt_i32_e32 vcc_lo, s25, v47
	v_cndmask_b32_e64 v2, 0, v2, s1
	v_cmp_gt_i32_e64 s1, s25, v41
	v_cndmask_b32_e32 v71, 0, v71, vcc_lo
	v_cmp_gt_i32_e32 vcc_lo, s25, v46
	v_cndmask_b32_e64 v68, 0, v68, s1
	v_cndmask_b32_sdwa v4, v30, v4, vcc_lo dst_sel:DWORD dst_unused:UNUSED_PAD src0_sel:DWORD src1_sel:WORD_0
	v_cmp_gt_i32_e32 vcc_lo, s25, v33
	v_cndmask_b32_e32 v72, 0, v72, vcc_lo
	v_cmp_gt_i32_e32 vcc_lo, s25, v36
	v_or_b32_e32 v4, v4, v72
	v_cndmask_b32_e32 v3, 0, v3, vcc_lo
	v_cmp_gt_i32_e32 vcc_lo, s25, v35
	v_cndmask_b32_e32 v67, 0, v67, vcc_lo
.LBB123_51:                             ;   in Loop: Header=BB123_29 Depth=1
	s_or_b32 exec_lo, exec_lo, s6
	v_lshlrev_b32_e32 v71, 16, v71
	v_lshlrev_b32_e32 v68, 16, v68
	;; [unrolled: 1-line block ×3, first 2 shown]
	v_and_or_b32 v1, 0xffff, v1, v71
	v_and_or_b32 v2, 0xffff, v2, v68
	v_and_or_b32 v3, 0xffff, v3, v67
	;;#ASMSTART
	v_pk_mul_f16 v1, v38, v1;

	;;#ASMEND
	;;#ASMSTART
	v_pk_mul_f16 v2, v37, v2;

	;;#ASMEND
	;; [unrolled: 4-line block ×4, first 2 shown]
	;;#ASMSTART
	v_pk_add_f16 v1, v1, v2;

	;;#ASMEND
	;;#ASMSTART
	v_pk_add_f16 v1, v1, v3;

	;;#ASMEND
	;; [unrolled: 4-line block ×3, first 2 shown]
	v_and_b32_e32 v2, 0xffff, v1
	v_lshrrev_b32_e32 v1, 16, v1
	;;#ASMSTART
	v_cvt_f32_f16 v67, v2;
	;;#ASMEND
	;;#ASMSTART
	v_cvt_f32_f16 v68, v1;
	;;#ASMEND
	global_load_dwordx4 v[1:4], v[9:10], off offset:1536
	s_waitcnt vmcnt(0)
	v_lshrrev_b32_e32 v71, 16, v1
	v_lshrrev_b32_e32 v10, 16, v2
	;; [unrolled: 1-line block ×3, first 2 shown]
	s_and_saveexec_b32 s6, s0
	s_cbranch_execz .LBB123_53
; %bb.52:                               ;   in Loop: Header=BB123_29 Depth=1
	v_cmp_gt_i32_e32 vcc_lo, s25, v45
	v_and_b32_e32 v72, 0xffff0000, v4
	v_cmp_gt_i32_e64 s1, s25, v43
	v_cndmask_b32_e32 v1, 0, v1, vcc_lo
	v_cmp_gt_i32_e32 vcc_lo, s25, v47
	v_cndmask_b32_e64 v2, 0, v2, s1
	v_cmp_gt_i32_e64 s1, s25, v41
	v_cndmask_b32_e32 v71, 0, v71, vcc_lo
	v_cmp_gt_i32_e32 vcc_lo, s25, v46
	v_cndmask_b32_e64 v10, 0, v10, s1
	v_cndmask_b32_sdwa v4, v30, v4, vcc_lo dst_sel:DWORD dst_unused:UNUSED_PAD src0_sel:DWORD src1_sel:WORD_0
	v_cmp_gt_i32_e32 vcc_lo, s25, v33
	v_cndmask_b32_e32 v72, 0, v72, vcc_lo
	v_cmp_gt_i32_e32 vcc_lo, s25, v36
	v_or_b32_e32 v4, v4, v72
	v_cndmask_b32_e32 v3, 0, v3, vcc_lo
	v_cmp_gt_i32_e32 vcc_lo, s25, v35
	v_cndmask_b32_e32 v9, 0, v9, vcc_lo
.LBB123_53:                             ;   in Loop: Header=BB123_29 Depth=1
	s_or_b32 exec_lo, exec_lo, s6
	v_lshlrev_b32_e32 v71, 16, v71
	v_lshlrev_b32_e32 v10, 16, v10
	;; [unrolled: 1-line block ×3, first 2 shown]
	v_add_co_u32 v7, vcc_lo, 0x1800, v7
	v_and_or_b32 v1, 0xffff, v1, v71
	v_and_or_b32 v2, 0xffff, v2, v10
	;; [unrolled: 1-line block ×3, first 2 shown]
	;;#ASMSTART
	v_pk_mul_f16 v1, v38, v1;

	;;#ASMEND
	v_add_co_ci_u32_e64 v8, null, 0, v8, vcc_lo
	;;#ASMSTART
	v_pk_mul_f16 v2, v37, v2;

	;;#ASMEND
	;;#ASMSTART
	v_pk_mul_f16 v3, v39, v3;

	;;#ASMEND
	;; [unrolled: 4-line block ×3, first 2 shown]
	;;#ASMSTART
	v_pk_add_f16 v1, v1, v2;

	;;#ASMEND
	;;#ASMSTART
	v_pk_add_f16 v1, v1, v3;

	;;#ASMEND
	;;#ASMSTART
	v_pk_add_f16 v1, v1, v4;

	;;#ASMEND
	v_lshrrev_b32_e32 v2, 16, v1
	v_and_b32_e32 v1, 0xffff, v1
	;;#ASMSTART
	v_cvt_f32_f16 v9, v1;
	;;#ASMEND
	;;#ASMSTART
	v_cvt_f32_f16 v10, v2;
	;;#ASMEND
	global_load_dwordx4 v[1:4], v[7:8], off
	s_waitcnt vmcnt(0)
	v_lshrrev_b32_e32 v73, 16, v1
	v_lshrrev_b32_e32 v72, 16, v2
	;; [unrolled: 1-line block ×3, first 2 shown]
	s_and_saveexec_b32 s6, s0
	s_cbranch_execz .LBB123_55
; %bb.54:                               ;   in Loop: Header=BB123_29 Depth=1
	v_cmp_gt_i32_e32 vcc_lo, s25, v45
	v_and_b32_e32 v74, 0xffff0000, v4
	v_cmp_gt_i32_e64 s1, s25, v43
	v_cndmask_b32_e32 v1, 0, v1, vcc_lo
	v_cmp_gt_i32_e32 vcc_lo, s25, v47
	v_cndmask_b32_e64 v2, 0, v2, s1
	v_cmp_gt_i32_e64 s1, s25, v41
	v_cndmask_b32_e32 v73, 0, v73, vcc_lo
	v_cmp_gt_i32_e32 vcc_lo, s25, v46
	v_cndmask_b32_e64 v72, 0, v72, s1
	v_cndmask_b32_sdwa v4, v30, v4, vcc_lo dst_sel:DWORD dst_unused:UNUSED_PAD src0_sel:DWORD src1_sel:WORD_0
	v_cmp_gt_i32_e32 vcc_lo, s25, v33
	v_cndmask_b32_e32 v74, 0, v74, vcc_lo
	v_cmp_gt_i32_e32 vcc_lo, s25, v36
	v_or_b32_e32 v4, v4, v74
	v_cndmask_b32_e32 v3, 0, v3, vcc_lo
	v_cmp_gt_i32_e32 vcc_lo, s25, v35
	v_cndmask_b32_e32 v71, 0, v71, vcc_lo
.LBB123_55:                             ;   in Loop: Header=BB123_29 Depth=1
	s_or_b32 exec_lo, exec_lo, s6
	v_lshlrev_b32_e32 v73, 16, v73
	v_lshlrev_b32_e32 v72, 16, v72
	;; [unrolled: 1-line block ×3, first 2 shown]
	v_and_or_b32 v1, 0xffff, v1, v73
	v_and_or_b32 v2, 0xffff, v2, v72
	;; [unrolled: 1-line block ×3, first 2 shown]
	;;#ASMSTART
	v_pk_mul_f16 v1, v38, v1;

	;;#ASMEND
	;;#ASMSTART
	v_pk_mul_f16 v2, v37, v2;

	;;#ASMEND
	;; [unrolled: 4-line block ×4, first 2 shown]
	;;#ASMSTART
	v_pk_add_f16 v1, v1, v2;

	;;#ASMEND
	;;#ASMSTART
	v_pk_add_f16 v1, v1, v3;

	;;#ASMEND
	;; [unrolled: 4-line block ×3, first 2 shown]
	v_and_b32_e32 v2, 0xffff, v1
	v_lshrrev_b32_e32 v1, 16, v1
	;;#ASMSTART
	v_cvt_f32_f16 v71, v2;
	;;#ASMEND
	;;#ASMSTART
	v_cvt_f32_f16 v72, v1;
	;;#ASMEND
	global_load_dwordx4 v[1:4], v[7:8], off offset:512
	s_waitcnt vmcnt(0)
	v_lshrrev_b32_e32 v75, 16, v1
	v_lshrrev_b32_e32 v74, 16, v2
	;; [unrolled: 1-line block ×3, first 2 shown]
	s_and_saveexec_b32 s6, s0
	s_cbranch_execz .LBB123_57
; %bb.56:                               ;   in Loop: Header=BB123_29 Depth=1
	v_cmp_gt_i32_e32 vcc_lo, s25, v45
	v_and_b32_e32 v76, 0xffff0000, v4
	v_cmp_gt_i32_e64 s1, s25, v43
	v_cndmask_b32_e32 v1, 0, v1, vcc_lo
	v_cmp_gt_i32_e32 vcc_lo, s25, v47
	v_cndmask_b32_e64 v2, 0, v2, s1
	v_cmp_gt_i32_e64 s1, s25, v41
	v_cndmask_b32_e32 v75, 0, v75, vcc_lo
	v_cmp_gt_i32_e32 vcc_lo, s25, v46
	v_cndmask_b32_e64 v74, 0, v74, s1
	v_cndmask_b32_sdwa v4, v30, v4, vcc_lo dst_sel:DWORD dst_unused:UNUSED_PAD src0_sel:DWORD src1_sel:WORD_0
	v_cmp_gt_i32_e32 vcc_lo, s25, v33
	v_cndmask_b32_e32 v76, 0, v76, vcc_lo
	v_cmp_gt_i32_e32 vcc_lo, s25, v36
	v_or_b32_e32 v4, v4, v76
	v_cndmask_b32_e32 v3, 0, v3, vcc_lo
	v_cmp_gt_i32_e32 vcc_lo, s25, v35
	v_cndmask_b32_e32 v73, 0, v73, vcc_lo
.LBB123_57:                             ;   in Loop: Header=BB123_29 Depth=1
	s_or_b32 exec_lo, exec_lo, s6
	v_lshlrev_b32_e32 v75, 16, v75
	v_lshlrev_b32_e32 v74, 16, v74
	;; [unrolled: 1-line block ×3, first 2 shown]
	v_and_or_b32 v1, 0xffff, v1, v75
	v_and_or_b32 v2, 0xffff, v2, v74
	v_and_or_b32 v3, 0xffff, v3, v73
	;;#ASMSTART
	v_pk_mul_f16 v1, v38, v1;

	;;#ASMEND
	;;#ASMSTART
	v_pk_mul_f16 v2, v37, v2;

	;;#ASMEND
	;; [unrolled: 4-line block ×4, first 2 shown]
	;;#ASMSTART
	v_pk_add_f16 v1, v1, v2;

	;;#ASMEND
	;;#ASMSTART
	v_pk_add_f16 v1, v1, v3;

	;;#ASMEND
	;;#ASMSTART
	v_pk_add_f16 v1, v1, v4;

	;;#ASMEND
	v_and_b32_e32 v2, 0xffff, v1
	v_lshrrev_b32_e32 v1, 16, v1
	;;#ASMSTART
	v_cvt_f32_f16 v73, v2;
	;;#ASMEND
	;;#ASMSTART
	v_cvt_f32_f16 v74, v1;
	;;#ASMEND
	global_load_dwordx4 v[1:4], v[7:8], off offset:1024
	s_waitcnt vmcnt(0)
	v_lshrrev_b32_e32 v77, 16, v1
	v_lshrrev_b32_e32 v76, 16, v2
	;; [unrolled: 1-line block ×3, first 2 shown]
	s_and_saveexec_b32 s6, s0
	s_cbranch_execz .LBB123_59
; %bb.58:                               ;   in Loop: Header=BB123_29 Depth=1
	v_cmp_gt_i32_e32 vcc_lo, s25, v45
	v_and_b32_e32 v78, 0xffff0000, v4
	v_cmp_gt_i32_e64 s1, s25, v43
	v_cndmask_b32_e32 v1, 0, v1, vcc_lo
	v_cmp_gt_i32_e32 vcc_lo, s25, v47
	v_cndmask_b32_e64 v2, 0, v2, s1
	v_cmp_gt_i32_e64 s1, s25, v41
	v_cndmask_b32_e32 v77, 0, v77, vcc_lo
	v_cmp_gt_i32_e32 vcc_lo, s25, v46
	v_cndmask_b32_e64 v76, 0, v76, s1
	v_cndmask_b32_sdwa v4, v30, v4, vcc_lo dst_sel:DWORD dst_unused:UNUSED_PAD src0_sel:DWORD src1_sel:WORD_0
	v_cmp_gt_i32_e32 vcc_lo, s25, v33
	v_cndmask_b32_e32 v78, 0, v78, vcc_lo
	v_cmp_gt_i32_e32 vcc_lo, s25, v36
	v_or_b32_e32 v4, v4, v78
	v_cndmask_b32_e32 v3, 0, v3, vcc_lo
	v_cmp_gt_i32_e32 vcc_lo, s25, v35
	v_cndmask_b32_e32 v75, 0, v75, vcc_lo
.LBB123_59:                             ;   in Loop: Header=BB123_29 Depth=1
	s_or_b32 exec_lo, exec_lo, s6
	v_lshlrev_b32_e32 v77, 16, v77
	v_lshlrev_b32_e32 v76, 16, v76
	;; [unrolled: 1-line block ×3, first 2 shown]
	v_and_or_b32 v1, 0xffff, v1, v77
	v_and_or_b32 v2, 0xffff, v2, v76
	;; [unrolled: 1-line block ×3, first 2 shown]
	;;#ASMSTART
	v_pk_mul_f16 v1, v38, v1;

	;;#ASMEND
	;;#ASMSTART
	v_pk_mul_f16 v2, v37, v2;

	;;#ASMEND
	;; [unrolled: 4-line block ×4, first 2 shown]
	;;#ASMSTART
	v_pk_add_f16 v1, v1, v2;

	;;#ASMEND
	;;#ASMSTART
	v_pk_add_f16 v1, v1, v3;

	;;#ASMEND
	;;#ASMSTART
	v_pk_add_f16 v1, v1, v4;

	;;#ASMEND
	v_and_b32_e32 v2, 0xffff, v1
	v_lshrrev_b32_e32 v1, 16, v1
	;;#ASMSTART
	v_cvt_f32_f16 v76, v2;
	;;#ASMEND
	;;#ASMSTART
	v_cvt_f32_f16 v77, v1;
	;;#ASMEND
	global_load_dwordx4 v[1:4], v[7:8], off offset:1536
	s_waitcnt vmcnt(0)
	v_lshrrev_b32_e32 v75, 16, v1
	v_lshrrev_b32_e32 v8, 16, v2
	;; [unrolled: 1-line block ×3, first 2 shown]
	s_and_saveexec_b32 s1, s0
	s_cbranch_execz .LBB123_28
; %bb.60:                               ;   in Loop: Header=BB123_29 Depth=1
	v_cmp_gt_i32_e32 vcc_lo, s25, v45
	v_cmp_gt_i32_e64 s0, s25, v43
	v_cndmask_b32_e32 v1, 0, v1, vcc_lo
	v_cmp_gt_i32_e32 vcc_lo, s25, v47
	v_cndmask_b32_e64 v2, 0, v2, s0
	v_cmp_gt_i32_e64 s0, s25, v41
	v_and_b32_e32 v41, 0xffff0000, v4
	v_cndmask_b32_e32 v75, 0, v75, vcc_lo
	v_cmp_gt_i32_e32 vcc_lo, s25, v46
	v_cndmask_b32_e64 v8, 0, v8, s0
	v_cndmask_b32_sdwa v4, v30, v4, vcc_lo dst_sel:DWORD dst_unused:UNUSED_PAD src0_sel:DWORD src1_sel:WORD_0
	v_cmp_gt_i32_e32 vcc_lo, s25, v33
	v_cndmask_b32_e32 v41, 0, v41, vcc_lo
	v_cmp_gt_i32_e32 vcc_lo, s25, v36
	v_or_b32_e32 v4, v4, v41
	v_cndmask_b32_e32 v3, 0, v3, vcc_lo
	v_cmp_gt_i32_e32 vcc_lo, s25, v35
	v_cndmask_b32_e32 v7, 0, v7, vcc_lo
	s_branch .LBB123_28
.LBB123_61:
	s_or_b32 exec_lo, exec_lo, s4
.LBB123_62:
	s_or_b32 exec_lo, exec_lo, s3
	ds_bpermute_b32 v3, v12, v28
	ds_bpermute_b32 v31, v12, v18
	;; [unrolled: 1-line block ×16, first 2 shown]
	s_mov_b32 s0, exec_lo
	s_waitcnt lgkmcnt(0)
	s_waitcnt_vscnt null, 0x0
	s_barrier
	buffer_gl0_inv
	v_add_f32_e32 v3, v28, v3
	v_add_f32_e32 v18, v18, v31
	;; [unrolled: 1-line block ×7, first 2 shown]
	ds_bpermute_b32 v26, v11, v3
	v_add_f32_e32 v7, v23, v7
	v_add_f32_e32 v8, v22, v8
	;; [unrolled: 1-line block ×7, first 2 shown]
	ds_bpermute_b32 v35, v11, v18
	v_add_f32_e32 v34, v15, v34
	v_add_f32_e32 v37, v14, v12
	ds_bpermute_b32 v24, v11, v1
	ds_bpermute_b32 v25, v11, v2
	;; [unrolled: 1-line block ×14, first 2 shown]
	s_waitcnt lgkmcnt(15)
	v_add_f32_e32 v15, v3, v26
	s_waitcnt lgkmcnt(14)
	v_add_f32_e32 v3, v18, v35
	v_and_b32_e32 v18, 28, v70
	s_waitcnt lgkmcnt(13)
	v_add_f32_e32 v17, v1, v24
	s_waitcnt lgkmcnt(12)
	v_add_f32_e32 v16, v2, v25
	;; [unrolled: 2-line block ×13, first 2 shown]
	v_and_b32_e32 v21, 0x3c3, v0
	s_waitcnt lgkmcnt(0)
	v_add_f32_e32 v5, v37, v40
	v_lshrrev_b32_e32 v19, 2, v70
	v_add_nc_u32_e32 v18, 0x120, v18
	v_lshlrev_b32_e32 v20, 9, v69
	v_cmpx_eq_u32_e32 64, v21
	s_cbranch_execz .LBB123_64
; %bb.63:
	v_add_nc_u32_e32 v21, v18, v20
	v_add_nc_u32_e32 v22, 0xfffffc00, v21
	;; [unrolled: 1-line block ×7, first 2 shown]
	ds_write_b32 v22, v17
	ds_write_b32 v23, v16
	;; [unrolled: 1-line block ×6, first 2 shown]
	v_add_nc_u32_e32 v22, 0xfffffcc0, v21
	v_add_nc_u32_e32 v23, 0xfffffce0, v21
	;; [unrolled: 1-line block ×5, first 2 shown]
	ds_write_b32 v22, v10
	ds_write_b32 v23, v9
	;; [unrolled: 1-line block ×5, first 2 shown]
	v_add_nc_u32_e32 v22, 0xfffffd60, v21
	v_add_nc_u32_e32 v23, 0xfffffd80, v21
	;; [unrolled: 1-line block ×5, first 2 shown]
	ds_write_b32 v22, v3
	ds_write_b32 v23, v2
	;; [unrolled: 1-line block ×5, first 2 shown]
.LBB123_64:
	s_or_b32 exec_lo, exec_lo, s0
	v_lshlrev_b32_e32 v19, 2, v19
	v_cmp_eq_u32_e32 vcc_lo, 0, v13
	s_mov_b32 s1, exec_lo
	s_waitcnt lgkmcnt(0)
	s_barrier
	v_add3_u32 v13, 0x120, v20, v19
	buffer_gl0_inv
	v_cmpx_gt_u32_e32 64, v0
	s_cbranch_execz .LBB123_83
; %bb.65:
	s_and_saveexec_b32 s0, vcc_lo
	s_cbranch_execnz .LBB123_107
; %bb.66:
	s_or_b32 exec_lo, exec_lo, s0
	s_and_saveexec_b32 s0, vcc_lo
	s_cbranch_execnz .LBB123_108
.LBB123_67:
	s_or_b32 exec_lo, exec_lo, s0
	s_and_saveexec_b32 s0, vcc_lo
	s_cbranch_execnz .LBB123_109
.LBB123_68:
	s_or_b32 exec_lo, exec_lo, s0
	s_and_saveexec_b32 s0, vcc_lo
	s_cbranch_execnz .LBB123_110
.LBB123_69:
	s_or_b32 exec_lo, exec_lo, s0
	s_and_saveexec_b32 s0, vcc_lo
	s_cbranch_execnz .LBB123_111
.LBB123_70:
	s_or_b32 exec_lo, exec_lo, s0
	s_and_saveexec_b32 s0, vcc_lo
	s_cbranch_execnz .LBB123_112
.LBB123_71:
	s_or_b32 exec_lo, exec_lo, s0
	s_and_saveexec_b32 s0, vcc_lo
	s_cbranch_execnz .LBB123_113
.LBB123_72:
	s_or_b32 exec_lo, exec_lo, s0
	s_and_saveexec_b32 s0, vcc_lo
	s_cbranch_execnz .LBB123_114
.LBB123_73:
	s_or_b32 exec_lo, exec_lo, s0
	s_and_saveexec_b32 s0, vcc_lo
	s_cbranch_execnz .LBB123_115
.LBB123_74:
	s_or_b32 exec_lo, exec_lo, s0
	s_and_saveexec_b32 s0, vcc_lo
	s_cbranch_execnz .LBB123_116
.LBB123_75:
	s_or_b32 exec_lo, exec_lo, s0
	s_and_saveexec_b32 s0, vcc_lo
	s_cbranch_execnz .LBB123_117
.LBB123_76:
	s_or_b32 exec_lo, exec_lo, s0
	s_and_saveexec_b32 s0, vcc_lo
	s_cbranch_execnz .LBB123_118
.LBB123_77:
	s_or_b32 exec_lo, exec_lo, s0
	s_and_saveexec_b32 s0, vcc_lo
	s_cbranch_execnz .LBB123_119
.LBB123_78:
	s_or_b32 exec_lo, exec_lo, s0
	s_and_saveexec_b32 s0, vcc_lo
	s_cbranch_execnz .LBB123_120
.LBB123_79:
	s_or_b32 exec_lo, exec_lo, s0
	s_and_saveexec_b32 s0, vcc_lo
	s_cbranch_execnz .LBB123_121
.LBB123_80:
	s_or_b32 exec_lo, exec_lo, s0
	s_and_saveexec_b32 s0, vcc_lo
	s_cbranch_execz .LBB123_82
.LBB123_81:
	ds_read_b32 v19, v13 offset:480
	s_waitcnt lgkmcnt(0)
	v_add_f32_e32 v5, v5, v19
.LBB123_82:
	s_or_b32 exec_lo, exec_lo, s0
.LBB123_83:
	s_or_b32 exec_lo, exec_lo, s1
	v_and_b32_e32 v19, 0x3e3, v0
	s_mov_b32 s1, exec_lo
	s_barrier
	buffer_gl0_inv
	v_cmpx_eq_u32_e32 32, v19
	s_cbranch_execz .LBB123_85
; %bb.84:
	ds_write2_b32 v18, v17, v16 offset1:8
	ds_write2_b32 v18, v15, v14 offset0:16 offset1:24
	ds_write2_b32 v18, v12, v11 offset0:32 offset1:40
	;; [unrolled: 1-line block ×7, first 2 shown]
.LBB123_85:
	s_or_b32 exec_lo, exec_lo, s1
	s_mov_b32 s1, exec_lo
	s_waitcnt lgkmcnt(0)
	s_barrier
	buffer_gl0_inv
	v_cmpx_gt_u32_e32 32, v0
	s_cbranch_execz .LBB123_104
; %bb.86:
	s_and_saveexec_b32 s0, vcc_lo
	s_cbranch_execnz .LBB123_122
; %bb.87:
	s_or_b32 exec_lo, exec_lo, s0
	s_and_saveexec_b32 s0, vcc_lo
	s_cbranch_execnz .LBB123_123
.LBB123_88:
	s_or_b32 exec_lo, exec_lo, s0
	s_and_saveexec_b32 s0, vcc_lo
	s_cbranch_execnz .LBB123_124
.LBB123_89:
	s_or_b32 exec_lo, exec_lo, s0
	s_and_saveexec_b32 s0, vcc_lo
	s_cbranch_execnz .LBB123_125
.LBB123_90:
	s_or_b32 exec_lo, exec_lo, s0
	s_and_saveexec_b32 s0, vcc_lo
	s_cbranch_execnz .LBB123_126
.LBB123_91:
	s_or_b32 exec_lo, exec_lo, s0
	s_and_saveexec_b32 s0, vcc_lo
	s_cbranch_execnz .LBB123_127
.LBB123_92:
	s_or_b32 exec_lo, exec_lo, s0
	s_and_saveexec_b32 s0, vcc_lo
	s_cbranch_execnz .LBB123_128
.LBB123_93:
	s_or_b32 exec_lo, exec_lo, s0
	s_and_saveexec_b32 s0, vcc_lo
	s_cbranch_execnz .LBB123_129
.LBB123_94:
	s_or_b32 exec_lo, exec_lo, s0
	s_and_saveexec_b32 s0, vcc_lo
	s_cbranch_execnz .LBB123_130
.LBB123_95:
	s_or_b32 exec_lo, exec_lo, s0
	s_and_saveexec_b32 s0, vcc_lo
	s_cbranch_execnz .LBB123_131
.LBB123_96:
	s_or_b32 exec_lo, exec_lo, s0
	s_and_saveexec_b32 s0, vcc_lo
	s_cbranch_execnz .LBB123_132
.LBB123_97:
	s_or_b32 exec_lo, exec_lo, s0
	s_and_saveexec_b32 s0, vcc_lo
	s_cbranch_execnz .LBB123_133
.LBB123_98:
	s_or_b32 exec_lo, exec_lo, s0
	s_and_saveexec_b32 s0, vcc_lo
	s_cbranch_execnz .LBB123_134
.LBB123_99:
	s_or_b32 exec_lo, exec_lo, s0
	s_and_saveexec_b32 s0, vcc_lo
	s_cbranch_execnz .LBB123_135
.LBB123_100:
	s_or_b32 exec_lo, exec_lo, s0
	s_and_saveexec_b32 s0, vcc_lo
	s_cbranch_execnz .LBB123_136
.LBB123_101:
	s_or_b32 exec_lo, exec_lo, s0
	s_and_saveexec_b32 s0, vcc_lo
	s_cbranch_execz .LBB123_103
.LBB123_102:
	ds_read_b32 v13, v13 offset:480
	s_waitcnt lgkmcnt(0)
	v_add_f32_e32 v5, v5, v13
.LBB123_103:
	s_or_b32 exec_lo, exec_lo, s0
.LBB123_104:
	s_or_b32 exec_lo, exec_lo, s1
	s_barrier
	buffer_gl0_inv
	s_mov_b32 s0, exec_lo
	v_cmpx_eq_u32_e32 0, v19
	s_cbranch_execz .LBB123_106
; %bb.105:
	s_lshl_b32 s0, s2, 7
	s_mul_i32 s2, s7, s10
	s_ashr_i32 s1, s0, 31
	v_lshrrev_b32_e32 v0, 1, v0
	s_lshl_b64 s[0:1], s[0:1], 1
	;;#ASMSTART
	v_cvt_f16_f32 v13, v17;

	;;#ASMEND
	s_add_u32 s4, s20, s0
	s_addc_u32 s5, s21, s1
	s_ashr_i32 s3, s2, 31
	s_lshl_b64 s[0:1], s[2:3], 1
	s_add_u32 s2, s4, s0
	s_addc_u32 s3, s5, s1
	s_lshl_b32 s0, s8, 7
	s_ashr_i32 s1, s0, 31
	s_lshl_b64 s[0:1], s[0:1], 1
	s_add_u32 s0, s2, s0
	s_addc_u32 s1, s3, s1
	global_store_short v0, v13, s[0:1]
	;;#ASMSTART
	v_cvt_f16_f32 v13, v16;

	;;#ASMEND
	global_store_short v0, v13, s[0:1] offset:16
	;;#ASMSTART
	v_cvt_f16_f32 v13, v15;

	;;#ASMEND
	global_store_short v0, v13, s[0:1] offset:32
	;; [unrolled: 5-line block ×15, first 2 shown]
.LBB123_106:
	s_endpgm
.LBB123_107:
	ds_read_b32 v19, v13
	s_waitcnt lgkmcnt(0)
	v_add_f32_e32 v17, v17, v19
	s_or_b32 exec_lo, exec_lo, s0
	s_and_saveexec_b32 s0, vcc_lo
	s_cbranch_execz .LBB123_67
.LBB123_108:
	ds_read_b32 v19, v13 offset:32
	s_waitcnt lgkmcnt(0)
	v_add_f32_e32 v16, v16, v19
	s_or_b32 exec_lo, exec_lo, s0
	s_and_saveexec_b32 s0, vcc_lo
	s_cbranch_execz .LBB123_68
.LBB123_109:
	ds_read_b32 v19, v13 offset:64
	s_waitcnt lgkmcnt(0)
	v_add_f32_e32 v15, v15, v19
	s_or_b32 exec_lo, exec_lo, s0
	s_and_saveexec_b32 s0, vcc_lo
	s_cbranch_execz .LBB123_69
.LBB123_110:
	ds_read_b32 v19, v13 offset:96
	s_waitcnt lgkmcnt(0)
	v_add_f32_e32 v14, v14, v19
	s_or_b32 exec_lo, exec_lo, s0
	s_and_saveexec_b32 s0, vcc_lo
	s_cbranch_execz .LBB123_70
.LBB123_111:
	ds_read_b32 v19, v13 offset:128
	s_waitcnt lgkmcnt(0)
	v_add_f32_e32 v12, v12, v19
	s_or_b32 exec_lo, exec_lo, s0
	s_and_saveexec_b32 s0, vcc_lo
	s_cbranch_execz .LBB123_71
.LBB123_112:
	ds_read_b32 v19, v13 offset:160
	s_waitcnt lgkmcnt(0)
	v_add_f32_e32 v11, v11, v19
	s_or_b32 exec_lo, exec_lo, s0
	s_and_saveexec_b32 s0, vcc_lo
	s_cbranch_execz .LBB123_72
.LBB123_113:
	ds_read_b32 v19, v13 offset:192
	s_waitcnt lgkmcnt(0)
	v_add_f32_e32 v10, v10, v19
	s_or_b32 exec_lo, exec_lo, s0
	s_and_saveexec_b32 s0, vcc_lo
	s_cbranch_execz .LBB123_73
.LBB123_114:
	ds_read_b32 v19, v13 offset:224
	s_waitcnt lgkmcnt(0)
	v_add_f32_e32 v9, v9, v19
	s_or_b32 exec_lo, exec_lo, s0
	s_and_saveexec_b32 s0, vcc_lo
	s_cbranch_execz .LBB123_74
.LBB123_115:
	ds_read_b32 v19, v13 offset:256
	s_waitcnt lgkmcnt(0)
	v_add_f32_e32 v8, v8, v19
	s_or_b32 exec_lo, exec_lo, s0
	s_and_saveexec_b32 s0, vcc_lo
	s_cbranch_execz .LBB123_75
.LBB123_116:
	ds_read_b32 v19, v13 offset:288
	s_waitcnt lgkmcnt(0)
	v_add_f32_e32 v7, v7, v19
	s_or_b32 exec_lo, exec_lo, s0
	s_and_saveexec_b32 s0, vcc_lo
	s_cbranch_execz .LBB123_76
.LBB123_117:
	ds_read_b32 v19, v13 offset:320
	s_waitcnt lgkmcnt(0)
	v_add_f32_e32 v6, v6, v19
	s_or_b32 exec_lo, exec_lo, s0
	s_and_saveexec_b32 s0, vcc_lo
	s_cbranch_execz .LBB123_77
.LBB123_118:
	ds_read_b32 v19, v13 offset:352
	s_waitcnt lgkmcnt(0)
	v_add_f32_e32 v3, v3, v19
	s_or_b32 exec_lo, exec_lo, s0
	s_and_saveexec_b32 s0, vcc_lo
	s_cbranch_execz .LBB123_78
.LBB123_119:
	ds_read_b32 v19, v13 offset:384
	s_waitcnt lgkmcnt(0)
	v_add_f32_e32 v2, v2, v19
	s_or_b32 exec_lo, exec_lo, s0
	s_and_saveexec_b32 s0, vcc_lo
	s_cbranch_execz .LBB123_79
.LBB123_120:
	ds_read_b32 v19, v13 offset:416
	s_waitcnt lgkmcnt(0)
	v_add_f32_e32 v1, v1, v19
	s_or_b32 exec_lo, exec_lo, s0
	s_and_saveexec_b32 s0, vcc_lo
	s_cbranch_execz .LBB123_80
.LBB123_121:
	ds_read_b32 v19, v13 offset:448
	s_waitcnt lgkmcnt(0)
	v_add_f32_e32 v4, v4, v19
	s_or_b32 exec_lo, exec_lo, s0
	s_and_saveexec_b32 s0, vcc_lo
	s_cbranch_execnz .LBB123_81
	s_branch .LBB123_82
.LBB123_122:
	ds_read_b32 v18, v13
	s_waitcnt lgkmcnt(0)
	v_add_f32_e32 v17, v17, v18
	s_or_b32 exec_lo, exec_lo, s0
	s_and_saveexec_b32 s0, vcc_lo
	s_cbranch_execz .LBB123_88
.LBB123_123:
	ds_read_b32 v18, v13 offset:32
	s_waitcnt lgkmcnt(0)
	v_add_f32_e32 v16, v16, v18
	s_or_b32 exec_lo, exec_lo, s0
	s_and_saveexec_b32 s0, vcc_lo
	s_cbranch_execz .LBB123_89
.LBB123_124:
	ds_read_b32 v18, v13 offset:64
	s_waitcnt lgkmcnt(0)
	v_add_f32_e32 v15, v15, v18
	s_or_b32 exec_lo, exec_lo, s0
	s_and_saveexec_b32 s0, vcc_lo
	s_cbranch_execz .LBB123_90
.LBB123_125:
	ds_read_b32 v18, v13 offset:96
	s_waitcnt lgkmcnt(0)
	v_add_f32_e32 v14, v14, v18
	s_or_b32 exec_lo, exec_lo, s0
	s_and_saveexec_b32 s0, vcc_lo
	s_cbranch_execz .LBB123_91
.LBB123_126:
	ds_read_b32 v18, v13 offset:128
	s_waitcnt lgkmcnt(0)
	v_add_f32_e32 v12, v12, v18
	s_or_b32 exec_lo, exec_lo, s0
	s_and_saveexec_b32 s0, vcc_lo
	s_cbranch_execz .LBB123_92
.LBB123_127:
	ds_read_b32 v18, v13 offset:160
	s_waitcnt lgkmcnt(0)
	v_add_f32_e32 v11, v11, v18
	s_or_b32 exec_lo, exec_lo, s0
	s_and_saveexec_b32 s0, vcc_lo
	s_cbranch_execz .LBB123_93
.LBB123_128:
	ds_read_b32 v18, v13 offset:192
	s_waitcnt lgkmcnt(0)
	v_add_f32_e32 v10, v10, v18
	s_or_b32 exec_lo, exec_lo, s0
	s_and_saveexec_b32 s0, vcc_lo
	s_cbranch_execz .LBB123_94
.LBB123_129:
	ds_read_b32 v18, v13 offset:224
	s_waitcnt lgkmcnt(0)
	v_add_f32_e32 v9, v9, v18
	s_or_b32 exec_lo, exec_lo, s0
	s_and_saveexec_b32 s0, vcc_lo
	s_cbranch_execz .LBB123_95
.LBB123_130:
	ds_read_b32 v18, v13 offset:256
	s_waitcnt lgkmcnt(0)
	v_add_f32_e32 v8, v8, v18
	s_or_b32 exec_lo, exec_lo, s0
	s_and_saveexec_b32 s0, vcc_lo
	s_cbranch_execz .LBB123_96
.LBB123_131:
	ds_read_b32 v18, v13 offset:288
	s_waitcnt lgkmcnt(0)
	v_add_f32_e32 v7, v7, v18
	s_or_b32 exec_lo, exec_lo, s0
	s_and_saveexec_b32 s0, vcc_lo
	s_cbranch_execz .LBB123_97
.LBB123_132:
	ds_read_b32 v18, v13 offset:320
	s_waitcnt lgkmcnt(0)
	v_add_f32_e32 v6, v6, v18
	s_or_b32 exec_lo, exec_lo, s0
	s_and_saveexec_b32 s0, vcc_lo
	s_cbranch_execz .LBB123_98
.LBB123_133:
	ds_read_b32 v18, v13 offset:352
	s_waitcnt lgkmcnt(0)
	v_add_f32_e32 v3, v3, v18
	s_or_b32 exec_lo, exec_lo, s0
	s_and_saveexec_b32 s0, vcc_lo
	s_cbranch_execz .LBB123_99
.LBB123_134:
	ds_read_b32 v18, v13 offset:384
	s_waitcnt lgkmcnt(0)
	v_add_f32_e32 v2, v2, v18
	s_or_b32 exec_lo, exec_lo, s0
	s_and_saveexec_b32 s0, vcc_lo
	s_cbranch_execz .LBB123_100
.LBB123_135:
	ds_read_b32 v18, v13 offset:416
	s_waitcnt lgkmcnt(0)
	v_add_f32_e32 v1, v1, v18
	s_or_b32 exec_lo, exec_lo, s0
	s_and_saveexec_b32 s0, vcc_lo
	s_cbranch_execz .LBB123_101
.LBB123_136:
	ds_read_b32 v18, v13 offset:448
	s_waitcnt lgkmcnt(0)
	v_add_f32_e32 v4, v4, v18
	s_or_b32 exec_lo, exec_lo, s0
	s_and_saveexec_b32 s0, vcc_lo
	s_cbranch_execnz .LBB123_102
	s_branch .LBB123_103
	.section	.rodata,"a",@progbits
	.p2align	6, 0x0
	.amdhsa_kernel _ZN4vllm25paged_attention_v2_kernelIttLi128ELi32ELi128ELNS_18Fp8KVCacheDataTypeE0ELb0ELi512EEEvPfS2_PT_PKS3_PKT0_S9_ifPKiSB_iPKfiiiSD_SD_iiiii
		.amdhsa_group_segment_fixed_size 288
		.amdhsa_private_segment_fixed_size 0
		.amdhsa_kernarg_size 400
		.amdhsa_user_sgpr_count 6
		.amdhsa_user_sgpr_private_segment_buffer 1
		.amdhsa_user_sgpr_dispatch_ptr 0
		.amdhsa_user_sgpr_queue_ptr 0
		.amdhsa_user_sgpr_kernarg_segment_ptr 1
		.amdhsa_user_sgpr_dispatch_id 0
		.amdhsa_user_sgpr_flat_scratch_init 0
		.amdhsa_user_sgpr_private_segment_size 0
		.amdhsa_wavefront_size32 1
		.amdhsa_uses_dynamic_stack 0
		.amdhsa_system_sgpr_private_segment_wavefront_offset 0
		.amdhsa_system_sgpr_workgroup_id_x 1
		.amdhsa_system_sgpr_workgroup_id_y 1
		.amdhsa_system_sgpr_workgroup_id_z 1
		.amdhsa_system_sgpr_workgroup_info 0
		.amdhsa_system_vgpr_workitem_id 0
		.amdhsa_next_free_vgpr 99
		.amdhsa_next_free_sgpr 38
		.amdhsa_reserve_vcc 1
		.amdhsa_reserve_flat_scratch 0
		.amdhsa_float_round_mode_32 0
		.amdhsa_float_round_mode_16_64 0
		.amdhsa_float_denorm_mode_32 3
		.amdhsa_float_denorm_mode_16_64 3
		.amdhsa_dx10_clamp 1
		.amdhsa_ieee_mode 1
		.amdhsa_fp16_overflow 0
		.amdhsa_workgroup_processor_mode 1
		.amdhsa_memory_ordered 1
		.amdhsa_forward_progress 1
		.amdhsa_shared_vgpr_count 0
		.amdhsa_exception_fp_ieee_invalid_op 0
		.amdhsa_exception_fp_denorm_src 0
		.amdhsa_exception_fp_ieee_div_zero 0
		.amdhsa_exception_fp_ieee_overflow 0
		.amdhsa_exception_fp_ieee_underflow 0
		.amdhsa_exception_fp_ieee_inexact 0
		.amdhsa_exception_int_div_zero 0
	.end_amdhsa_kernel
	.section	.text._ZN4vllm25paged_attention_v2_kernelIttLi128ELi32ELi128ELNS_18Fp8KVCacheDataTypeE0ELb0ELi512EEEvPfS2_PT_PKS3_PKT0_S9_ifPKiSB_iPKfiiiSD_SD_iiiii,"axG",@progbits,_ZN4vllm25paged_attention_v2_kernelIttLi128ELi32ELi128ELNS_18Fp8KVCacheDataTypeE0ELb0ELi512EEEvPfS2_PT_PKS3_PKT0_S9_ifPKiSB_iPKfiiiSD_SD_iiiii,comdat
.Lfunc_end123:
	.size	_ZN4vllm25paged_attention_v2_kernelIttLi128ELi32ELi128ELNS_18Fp8KVCacheDataTypeE0ELb0ELi512EEEvPfS2_PT_PKS3_PKT0_S9_ifPKiSB_iPKfiiiSD_SD_iiiii, .Lfunc_end123-_ZN4vllm25paged_attention_v2_kernelIttLi128ELi32ELi128ELNS_18Fp8KVCacheDataTypeE0ELb0ELi512EEEvPfS2_PT_PKS3_PKT0_S9_ifPKiSB_iPKfiiiSD_SD_iiiii
                                        ; -- End function
	.set _ZN4vllm25paged_attention_v2_kernelIttLi128ELi32ELi128ELNS_18Fp8KVCacheDataTypeE0ELb0ELi512EEEvPfS2_PT_PKS3_PKT0_S9_ifPKiSB_iPKfiiiSD_SD_iiiii.num_vgpr, 99
	.set _ZN4vllm25paged_attention_v2_kernelIttLi128ELi32ELi128ELNS_18Fp8KVCacheDataTypeE0ELb0ELi512EEEvPfS2_PT_PKS3_PKT0_S9_ifPKiSB_iPKfiiiSD_SD_iiiii.num_agpr, 0
	.set _ZN4vllm25paged_attention_v2_kernelIttLi128ELi32ELi128ELNS_18Fp8KVCacheDataTypeE0ELb0ELi512EEEvPfS2_PT_PKS3_PKT0_S9_ifPKiSB_iPKfiiiSD_SD_iiiii.numbered_sgpr, 38
	.set _ZN4vllm25paged_attention_v2_kernelIttLi128ELi32ELi128ELNS_18Fp8KVCacheDataTypeE0ELb0ELi512EEEvPfS2_PT_PKS3_PKT0_S9_ifPKiSB_iPKfiiiSD_SD_iiiii.num_named_barrier, 0
	.set _ZN4vllm25paged_attention_v2_kernelIttLi128ELi32ELi128ELNS_18Fp8KVCacheDataTypeE0ELb0ELi512EEEvPfS2_PT_PKS3_PKT0_S9_ifPKiSB_iPKfiiiSD_SD_iiiii.private_seg_size, 0
	.set _ZN4vllm25paged_attention_v2_kernelIttLi128ELi32ELi128ELNS_18Fp8KVCacheDataTypeE0ELb0ELi512EEEvPfS2_PT_PKS3_PKT0_S9_ifPKiSB_iPKfiiiSD_SD_iiiii.uses_vcc, 1
	.set _ZN4vllm25paged_attention_v2_kernelIttLi128ELi32ELi128ELNS_18Fp8KVCacheDataTypeE0ELb0ELi512EEEvPfS2_PT_PKS3_PKT0_S9_ifPKiSB_iPKfiiiSD_SD_iiiii.uses_flat_scratch, 0
	.set _ZN4vllm25paged_attention_v2_kernelIttLi128ELi32ELi128ELNS_18Fp8KVCacheDataTypeE0ELb0ELi512EEEvPfS2_PT_PKS3_PKT0_S9_ifPKiSB_iPKfiiiSD_SD_iiiii.has_dyn_sized_stack, 0
	.set _ZN4vllm25paged_attention_v2_kernelIttLi128ELi32ELi128ELNS_18Fp8KVCacheDataTypeE0ELb0ELi512EEEvPfS2_PT_PKS3_PKT0_S9_ifPKiSB_iPKfiiiSD_SD_iiiii.has_recursion, 0
	.set _ZN4vllm25paged_attention_v2_kernelIttLi128ELi32ELi128ELNS_18Fp8KVCacheDataTypeE0ELb0ELi512EEEvPfS2_PT_PKS3_PKT0_S9_ifPKiSB_iPKfiiiSD_SD_iiiii.has_indirect_call, 0
	.section	.AMDGPU.csdata,"",@progbits
; Kernel info:
; codeLenInByte = 19152
; TotalNumSgprs: 40
; NumVgprs: 99
; ScratchSize: 0
; MemoryBound: 0
; FloatMode: 240
; IeeeMode: 1
; LDSByteSize: 288 bytes/workgroup (compile time only)
; SGPRBlocks: 0
; VGPRBlocks: 12
; NumSGPRsForWavesPerEU: 40
; NumVGPRsForWavesPerEU: 99
; Occupancy: 9
; WaveLimiterHint : 1
; COMPUTE_PGM_RSRC2:SCRATCH_EN: 0
; COMPUTE_PGM_RSRC2:USER_SGPR: 6
; COMPUTE_PGM_RSRC2:TRAP_HANDLER: 0
; COMPUTE_PGM_RSRC2:TGID_X_EN: 1
; COMPUTE_PGM_RSRC2:TGID_Y_EN: 1
; COMPUTE_PGM_RSRC2:TGID_Z_EN: 1
; COMPUTE_PGM_RSRC2:TIDIG_COMP_CNT: 0
	.section	.text._ZN4vllm25paged_attention_v2_kernelIttLi192ELi32ELi128ELNS_18Fp8KVCacheDataTypeE0ELb0ELi512EEEvPfS2_PT_PKS3_PKT0_S9_ifPKiSB_iPKfiiiSD_SD_iiiii,"axG",@progbits,_ZN4vllm25paged_attention_v2_kernelIttLi192ELi32ELi128ELNS_18Fp8KVCacheDataTypeE0ELb0ELi512EEEvPfS2_PT_PKS3_PKT0_S9_ifPKiSB_iPKfiiiSD_SD_iiiii,comdat
	.protected	_ZN4vllm25paged_attention_v2_kernelIttLi192ELi32ELi128ELNS_18Fp8KVCacheDataTypeE0ELb0ELi512EEEvPfS2_PT_PKS3_PKT0_S9_ifPKiSB_iPKfiiiSD_SD_iiiii ; -- Begin function _ZN4vllm25paged_attention_v2_kernelIttLi192ELi32ELi128ELNS_18Fp8KVCacheDataTypeE0ELb0ELi512EEEvPfS2_PT_PKS3_PKT0_S9_ifPKiSB_iPKfiiiSD_SD_iiiii
	.globl	_ZN4vllm25paged_attention_v2_kernelIttLi192ELi32ELi128ELNS_18Fp8KVCacheDataTypeE0ELb0ELi512EEEvPfS2_PT_PKS3_PKT0_S9_ifPKiSB_iPKfiiiSD_SD_iiiii
	.p2align	8
	.type	_ZN4vllm25paged_attention_v2_kernelIttLi192ELi32ELi128ELNS_18Fp8KVCacheDataTypeE0ELb0ELi512EEEvPfS2_PT_PKS3_PKT0_S9_ifPKiSB_iPKfiiiSD_SD_iiiii,@function
_ZN4vllm25paged_attention_v2_kernelIttLi192ELi32ELi128ELNS_18Fp8KVCacheDataTypeE0ELb0ELi512EEEvPfS2_PT_PKS3_PKT0_S9_ifPKiSB_iPKfiiiSD_SD_iiiii: ; @_ZN4vllm25paged_attention_v2_kernelIttLi192ELi32ELi128ELNS_18Fp8KVCacheDataTypeE0ELb0ELi512EEEvPfS2_PT_PKS3_PKT0_S9_ifPKiSB_iPKfiiiSD_SD_iiiii
; %bb.0:
	s_load_dwordx2 s[0:1], s[4:5], 0x40
	s_mov_b32 s22, s7
	s_ashr_i32 s23, s7, 31
	s_lshl_b64 s[2:3], s[22:23], 2
	s_waitcnt lgkmcnt(0)
	s_add_u32 s0, s0, s2
	s_addc_u32 s1, s1, s3
	s_lshl_b32 s30, s8, 9
	s_load_dword s23, s[0:1], 0x0
	s_waitcnt lgkmcnt(0)
	s_cmp_ge_i32 s30, s23
	s_cbranch_scc1 .LBB124_138
; %bb.1:
	s_clause 0x1
	s_load_dword s9, s[4:5], 0x90
	s_load_dwordx2 s[2:3], s[4:5], 0x30
	s_mov_b32 s31, 0
	s_waitcnt lgkmcnt(0)
	s_abs_i32 s10, s9
	s_abs_i32 s0, s2
	s_xor_b32 s2, s9, s2
	v_cvt_f32_u32_e32 v1, s0
	s_sub_i32 s7, 0, s0
	s_ashr_i32 s2, s2, 31
	v_rcp_iflag_f32_e32 v1, v1
	v_mul_f32_e32 v1, 0x4f7ffffe, v1
	v_cvt_u32_f32_e32 v1, v1
	v_readfirstlane_b32 s1, v1
	s_mul_i32 s7, s7, s1
	s_mul_hi_u32 s7, s1, s7
	s_add_i32 s1, s1, s7
	s_mul_hi_u32 s1, s10, s1
	s_mul_i32 s7, s1, s0
	s_sub_i32 s7, s10, s7
	s_add_i32 s10, s1, 1
	s_sub_i32 s11, s7, s0
	s_cmp_ge_u32 s7, s0
	s_cselect_b32 s1, s10, s1
	s_cselect_b32 s7, s11, s7
	s_add_i32 s10, s1, 1
	s_cmp_ge_u32 s7, s0
	s_cselect_b32 s0, s10, s1
	s_abs_i32 s33, s6
	s_xor_b32 s0, s0, s2
	s_sub_i32 s2, s0, s2
	s_load_dwordx2 s[0:1], s[4:5], 0x50
	s_abs_i32 s28, s2
	v_cvt_f32_u32_e32 v1, s28
	s_sub_i32 s10, 0, s28
	v_rcp_iflag_f32_e32 v1, v1
	v_mul_f32_e32 v1, 0x4f7ffffe, v1
	v_cvt_u32_f32_e32 v1, v1
	v_readfirstlane_b32 s7, v1
	s_mul_i32 s10, s10, s7
	s_mul_hi_u32 s10, s7, s10
	s_add_i32 s7, s7, s10
	s_waitcnt lgkmcnt(0)
	s_cmp_eq_u64 s[0:1], 0
	s_mul_hi_u32 s29, s33, s7
	s_cbranch_scc1 .LBB124_3
; %bb.2:
	s_ashr_i32 s7, s6, 31
	s_lshl_b64 s[10:11], s[6:7], 2
	s_add_u32 s0, s0, s10
	s_addc_u32 s1, s1, s11
	s_load_dword s31, s[0:1], 0x0
.LBB124_3:
	s_clause 0x1
	s_load_dwordx2 s[24:25], s[4:5], 0x38
	s_load_dwordx4 s[12:15], s[4:5], 0x58
	v_lshlrev_b32_e32 v36, 4, v0
	s_ashr_i32 s0, s6, 31
	s_ashr_i32 s1, s2, 31
	s_mul_i32 s10, s6, 0xc0
	s_mov_b32 s2, exec_lo
	v_cmpx_gt_u32_e32 24, v0
	s_cbranch_execz .LBB124_5
; %bb.4:
	s_load_dwordx2 s[16:17], s[4:5], 0x18
	s_waitcnt lgkmcnt(0)
	s_mul_i32 s18, s12, s22
	s_ashr_i32 s19, s18, 31
	s_lshl_b64 s[18:19], s[18:19], 1
	s_add_u32 s7, s16, s18
	s_addc_u32 s12, s17, s19
	s_ashr_i32 s11, s10, 31
	s_lshl_b64 s[16:17], s[10:11], 1
	s_add_u32 s16, s7, s16
	s_addc_u32 s17, s12, s17
	global_load_dwordx4 v[1:4], v36, s[16:17]
	s_waitcnt vmcnt(0)
	ds_write_b128 v36, v[1:4]
.LBB124_5:
	s_or_b32 exec_lo, exec_lo, s2
	s_add_i32 s7, s23, 31
	s_clause 0x1
	s_load_dwordx4 s[16:19], s[4:5], 0x0
	s_load_dwordx2 s[20:21], s[4:5], 0x10
	s_ashr_i32 s2, s7, 31
	s_mul_i32 s34, s29, s28
	s_lshr_b32 s11, s2, 27
	s_lshl_b32 s2, s8, 4
	s_add_i32 s7, s7, s11
	s_add_i32 s11, s2, 16
	s_waitcnt lgkmcnt(0)
	s_ashr_i32 s12, s7, 5
	s_clause 0x2
	s_load_dwordx2 s[26:27], s[4:5], 0x28
	s_load_dword s7, s[4:5], 0x98
	s_load_dword s15, s[4:5], 0x48
	s_xor_b32 s0, s0, s1
	s_sub_i32 s1, s33, s34
	s_min_i32 s11, s11, s12
	s_add_i32 s33, s29, 1
	s_sub_i32 s34, s1, s28
	s_cmp_ge_u32 s1, s28
	v_lshrrev_b32_e32 v100, 5, v0
	s_cselect_b32 s29, s33, s29
	s_cselect_b32 s1, s34, s1
	s_add_i32 s33, s29, 1
	s_cmp_ge_u32 s1, s28
	v_add_nc_u32_e32 v97, s2, v100
	v_and_b32_e32 v101, 31, v0
	s_cselect_b32 s1, s33, s29
	v_mov_b32_e32 v104, 0xff7fffff
	s_xor_b32 s1, s1, s0
	s_waitcnt lgkmcnt(0)
	s_sub_i32 s1, s1, s0
	v_cmp_gt_i32_e64 s0, s11, v97
	v_lshlrev_b32_e32 v13, 2, v101
	s_mul_i32 s28, s15, s22
	s_mul_i32 s14, s1, s14
	s_ashr_i32 s29, s28, 31
	s_barrier
	buffer_gl0_inv
	s_and_saveexec_b32 s33, s0
	s_cbranch_execz .LBB124_9
; %bb.6:
	s_load_dwordx2 s[4:5], s[4:5], 0x20
	v_lshlrev_b32_e32 v1, 5, v100
	v_lshl_or_b32 v2, v100, 7, v13
	v_ashrrev_i32_e32 v98, 31, v97
	s_ashr_i32 s15, s14, 31
	v_lshlrev_b32_e32 v3, 4, v101
	s_lshl_b64 s[34:35], s[14:15], 1
	v_add3_u32 v106, s30, v1, v101
	v_add_nc_u32_e32 v107, 0x1a0, v2
	v_lshlrev_b64 v[1:2], 2, v[97:98]
	v_mov_b32_e32 v105, 0
	v_cmp_neq_f32_e64 vcc_lo, s31, 0
	v_mov_b32_e32 v104, 0xff7fffff
	v_mov_b32_e32 v110, v97
	s_mov_b32 s15, s13
	s_waitcnt lgkmcnt(0)
	s_add_u32 s1, s4, s34
	s_addc_u32 s5, s5, s35
	s_lshl_b64 s[34:35], s[28:29], 2
	v_add_co_u32 v108, s1, s1, v3
	s_sub_i32 s4, 1, s23
	v_add_co_ci_u32_e64 v109, null, s5, 0, s1
	s_add_u32 s1, s24, s34
	s_addc_u32 s5, s25, s35
	v_add_co_u32 v98, s1, s1, v1
	v_add_co_ci_u32_e64 v99, null, s5, v2, s1
	s_mov_b32 s5, 0
.LBB124_7:                              ; =>This Inner Loop Header: Depth=1
	global_load_dword v1, v[98:99], off
	v_add_nc_u32_e32 v3, s4, v106
	v_add_nc_u32_e32 v110, 4, v110
	v_cvt_f32_i32_e32 v3, v3
	v_mul_f32_e32 v3, s31, v3
	v_cndmask_b32_e32 v111, 0, v3, vcc_lo
	s_waitcnt vmcnt(0)
	v_mad_i64_i32 v[1:2], null, v1, s15, 0
	v_lshlrev_b64 v[1:2], 1, v[1:2]
	v_add_co_u32 v1, s1, v108, v1
	v_add_co_ci_u32_e64 v2, null, v109, v2, s1
	s_clause 0x3
	global_load_dwordx4 v[93:96], v[1:2], off
	global_load_dwordx4 v[89:92], v[1:2], off offset:512
	global_load_dwordx4 v[85:88], v[1:2], off offset:1024
	;; [unrolled: 1-line block ×3, first 2 shown]
	v_add_co_u32 v3, s1, 0x800, v1
	v_add_co_ci_u32_e64 v4, null, 0, v2, s1
	v_add_co_u32 v5, s1, v1, 0x1000
	v_add_co_ci_u32_e64 v6, null, 0, v2, s1
	s_clause 0x3
	global_load_dwordx4 v[77:80], v[5:6], off offset:-2048
	global_load_dwordx4 v[73:76], v[3:4], off offset:512
	global_load_dwordx4 v[69:72], v[3:4], off offset:1024
	;; [unrolled: 1-line block ×3, first 2 shown]
	v_add_co_u32 v3, s1, 0x1000, v1
	v_add_co_ci_u32_e64 v4, null, 0, v2, s1
	s_clause 0x3
	global_load_dwordx4 v[61:64], v[5:6], off
	global_load_dwordx4 v[57:60], v[3:4], off offset:512
	global_load_dwordx4 v[53:56], v[3:4], off offset:1024
	;; [unrolled: 1-line block ×3, first 2 shown]
	v_add_co_u32 v3, s1, 0x1800, v1
	v_add_co_ci_u32_e64 v4, null, 0, v2, s1
	v_add_co_u32 v5, s1, v1, 0x2000
	v_add_co_ci_u32_e64 v6, null, 0, v2, s1
	s_clause 0x3
	global_load_dwordx4 v[45:48], v[5:6], off offset:-2048
	global_load_dwordx4 v[41:44], v[3:4], off offset:512
	global_load_dwordx4 v[37:40], v[3:4], off offset:1024
	;; [unrolled: 1-line block ×3, first 2 shown]
	v_add_co_u32 v3, s1, 0x2000, v1
	v_add_co_ci_u32_e64 v4, null, 0, v2, s1
	v_add_co_u32 v1, s1, 0x2800, v1
	v_add_co_ci_u32_e64 v2, null, 0, v2, s1
	s_clause 0x7
	global_load_dwordx4 v[29:32], v[5:6], off
	global_load_dwordx4 v[25:28], v[3:4], off offset:512
	global_load_dwordx4 v[21:24], v[3:4], off offset:1024
	;; [unrolled: 1-line block ×3, first 2 shown]
	global_load_dwordx4 v[13:16], v[1:2], off
	global_load_dwordx4 v[9:12], v[1:2], off offset:512
	global_load_dwordx4 v[5:8], v[1:2], off offset:1024
	;; [unrolled: 1-line block ×3, first 2 shown]
	ds_read_b128 v[112:115], v105
	v_cmp_gt_i32_e64 s1, s23, v106
	v_add_nc_u32_e32 v106, 0x80, v106
	s_waitcnt lgkmcnt(0)
	v_lshrrev_b32_e32 v102, 16, v112
	v_and_b32_e32 v103, 0xffff, v112
	;;#ASMSTART
	v_cvt_f32_f16 v112, v103;
	;;#ASMEND
	;;#ASMSTART
	v_cvt_f32_f16 v116, v102;
	;;#ASMEND
	s_waitcnt vmcnt(23)
	v_lshrrev_b32_e32 v102, 16, v93
	v_and_b32_e32 v93, 0xffff, v93
	;;#ASMSTART
	v_cvt_f32_f16 v117, v93;
	;;#ASMEND
	v_lshrrev_b32_e32 v93, 16, v113
	;;#ASMSTART
	v_cvt_f32_f16 v118, v102;
	;;#ASMEND
	v_and_b32_e32 v102, 0xffff, v113
	;;#ASMSTART
	v_cvt_f32_f16 v113, v102;
	;;#ASMEND
	;;#ASMSTART
	v_cvt_f32_f16 v119, v93;
	;;#ASMEND
	v_lshrrev_b32_e32 v93, 16, v94
	v_and_b32_e32 v94, 0xffff, v94
	;;#ASMSTART
	v_cvt_f32_f16 v120, v94;
	;;#ASMEND
	;;#ASMSTART
	v_cvt_f32_f16 v121, v93;
	;;#ASMEND
	v_lshrrev_b32_e32 v93, 16, v114
	v_and_b32_e32 v94, 0xffff, v114
	;;#ASMSTART
	v_cvt_f32_f16 v114, v94;
	;;#ASMEND
	;;#ASMSTART
	v_cvt_f32_f16 v122, v93;
	;;#ASMEND
	v_lshrrev_b32_e32 v93, 16, v95
	v_and_b32_e32 v94, 0xffff, v95
	;;#ASMSTART
	v_cvt_f32_f16 v123, v94;
	;;#ASMEND
	;;#ASMSTART
	v_cvt_f32_f16 v124, v93;
	;;#ASMEND
	v_lshrrev_b32_e32 v93, 16, v115
	v_and_b32_e32 v94, 0xffff, v115
	;;#ASMSTART
	v_cvt_f32_f16 v115, v94;
	;;#ASMEND
	;;#ASMSTART
	v_cvt_f32_f16 v125, v93;
	;;#ASMEND
	v_lshrrev_b32_e32 v93, 16, v96
	v_and_b32_e32 v94, 0xffff, v96
	;;#ASMSTART
	v_cvt_f32_f16 v126, v94;
	;;#ASMEND
	;;#ASMSTART
	v_cvt_f32_f16 v127, v93;
	;;#ASMEND
	ds_read_b128 v[93:96], v105 offset:16
	s_waitcnt vmcnt(22)
	v_lshrrev_b32_e32 v103, 16, v89
	v_and_b32_e32 v89, 0xffff, v89
	s_waitcnt lgkmcnt(0)
	v_lshrrev_b32_e32 v102, 16, v93
	v_and_b32_e32 v93, 0xffff, v93
	;;#ASMSTART
	v_cvt_f32_f16 v93, v93;
	;;#ASMEND
	;;#ASMSTART
	v_cvt_f32_f16 v102, v102;
	;;#ASMEND
	;;#ASMSTART
	v_cvt_f32_f16 v89, v89;
	;;#ASMEND
	;;#ASMSTART
	v_cvt_f32_f16 v103, v103;
	;;#ASMEND
	v_mul_f32_e32 v89, v93, v89
	v_mul_f32_e32 v93, v102, v103
	v_lshrrev_b32_e32 v102, 16, v94
	v_and_b32_e32 v94, 0xffff, v94
	v_lshrrev_b32_e32 v103, 16, v90
	v_and_b32_e32 v90, 0xffff, v90
	;;#ASMSTART
	v_cvt_f32_f16 v94, v94;
	;;#ASMEND
	;;#ASMSTART
	v_cvt_f32_f16 v102, v102;
	;;#ASMEND
	;;#ASMSTART
	v_cvt_f32_f16 v90, v90;
	;;#ASMEND
	;;#ASMSTART
	v_cvt_f32_f16 v103, v103;
	;;#ASMEND
	v_mul_f32_e32 v90, v94, v90
	v_mul_f32_e32 v94, v102, v103
	v_lshrrev_b32_e32 v102, 16, v95
	v_and_b32_e32 v95, 0xffff, v95
	;; [unrolled: 18-line block ×3, first 2 shown]
	v_lshrrev_b32_e32 v103, 16, v92
	v_and_b32_e32 v92, 0xffff, v92
	;;#ASMSTART
	v_cvt_f32_f16 v96, v96;
	;;#ASMEND
	;;#ASMSTART
	v_cvt_f32_f16 v102, v102;
	;;#ASMEND
	;; [unrolled: 3-line block ×3, first 2 shown]
	v_mul_f32_e32 v92, v96, v92
	v_fmac_f32_e32 v89, v112, v117
	v_fmac_f32_e32 v90, v113, v120
	;; [unrolled: 1-line block ×3, first 2 shown]
	;;#ASMSTART
	v_cvt_f32_f16 v103, v103;
	;;#ASMEND
	v_fmac_f32_e32 v92, v115, v126
	ds_read_b128 v[112:115], v105 offset:32
	v_fmac_f32_e32 v93, v116, v118
	v_mul_f32_e32 v96, v102, v103
	v_fmac_f32_e32 v94, v119, v121
	v_fmac_f32_e32 v95, v122, v124
	;; [unrolled: 1-line block ×3, first 2 shown]
	s_waitcnt lgkmcnt(0)
	v_lshrrev_b32_e32 v103, 16, v112
	v_and_b32_e32 v102, 0xffff, v112
	s_waitcnt vmcnt(21)
	v_lshrrev_b32_e32 v112, 16, v85
	v_and_b32_e32 v85, 0xffff, v85
	;;#ASMSTART
	v_cvt_f32_f16 v102, v102;
	;;#ASMEND
	;;#ASMSTART
	v_cvt_f32_f16 v103, v103;
	;;#ASMEND
	;;#ASMSTART
	v_cvt_f32_f16 v85, v85;
	;;#ASMEND
	;;#ASMSTART
	v_cvt_f32_f16 v112, v112;
	;;#ASMEND
	v_fmac_f32_e32 v89, v102, v85
	v_fmac_f32_e32 v93, v103, v112
	v_lshrrev_b32_e32 v102, 16, v113
	v_and_b32_e32 v85, 0xffff, v113
	v_lshrrev_b32_e32 v103, 16, v86
	v_and_b32_e32 v86, 0xffff, v86
	;;#ASMSTART
	v_cvt_f32_f16 v85, v85;
	;;#ASMEND
	;;#ASMSTART
	v_cvt_f32_f16 v102, v102;
	;;#ASMEND
	;;#ASMSTART
	v_cvt_f32_f16 v86, v86;
	;;#ASMEND
	;;#ASMSTART
	v_cvt_f32_f16 v103, v103;
	;;#ASMEND
	v_fmac_f32_e32 v90, v85, v86
	v_fmac_f32_e32 v94, v102, v103
	v_lshrrev_b32_e32 v86, 16, v114
	v_and_b32_e32 v85, 0xffff, v114
	;; [unrolled: 18-line block ×3, first 2 shown]
	v_and_b32_e32 v87, 0xffff, v88
	;;#ASMSTART
	v_cvt_f32_f16 v85, v85;
	;;#ASMEND
	;;#ASMSTART
	v_cvt_f32_f16 v86, v86;
	;;#ASMEND
	v_lshrrev_b32_e32 v102, 16, v88
	;;#ASMSTART
	v_cvt_f32_f16 v87, v87;
	;;#ASMEND
	;;#ASMSTART
	v_cvt_f32_f16 v88, v102;
	;;#ASMEND
	v_fmac_f32_e32 v92, v85, v87
	v_fmac_f32_e32 v96, v86, v88
	ds_read_b128 v[85:88], v105 offset:48
	s_waitcnt vmcnt(20)
	v_lshrrev_b32_e32 v103, 16, v81
	v_and_b32_e32 v81, 0xffff, v81
	s_waitcnt lgkmcnt(0)
	v_lshrrev_b32_e32 v102, 16, v85
	v_and_b32_e32 v85, 0xffff, v85
	;;#ASMSTART
	v_cvt_f32_f16 v85, v85;
	;;#ASMEND
	;;#ASMSTART
	v_cvt_f32_f16 v102, v102;
	;;#ASMEND
	;; [unrolled: 3-line block ×3, first 2 shown]
	v_fmac_f32_e32 v89, v85, v81
	v_lshrrev_b32_e32 v85, 16, v86
	v_and_b32_e32 v81, 0xffff, v86
	v_lshrrev_b32_e32 v86, 16, v82
	v_and_b32_e32 v82, 0xffff, v82
	;;#ASMSTART
	v_cvt_f32_f16 v103, v103;
	;;#ASMEND
	;;#ASMSTART
	v_cvt_f32_f16 v81, v81;
	;;#ASMEND
	;; [unrolled: 3-line block ×5, first 2 shown]
	v_fmac_f32_e32 v90, v81, v82
	v_fmac_f32_e32 v94, v85, v86
	v_lshrrev_b32_e32 v82, 16, v87
	v_and_b32_e32 v81, 0xffff, v87
	v_lshrrev_b32_e32 v85, 16, v83
	v_and_b32_e32 v83, 0xffff, v83
	;;#ASMSTART
	v_cvt_f32_f16 v81, v81;
	;;#ASMEND
	;;#ASMSTART
	v_cvt_f32_f16 v82, v82;
	;;#ASMEND
	;; [unrolled: 3-line block ×4, first 2 shown]
	v_fmac_f32_e32 v91, v81, v83
	v_fmac_f32_e32 v95, v82, v85
	v_lshrrev_b32_e32 v82, 16, v88
	v_and_b32_e32 v81, 0xffff, v88
	v_and_b32_e32 v83, 0xffff, v84
	;;#ASMSTART
	v_cvt_f32_f16 v81, v81;
	;;#ASMEND
	;;#ASMSTART
	v_cvt_f32_f16 v82, v82;
	;;#ASMEND
	v_lshrrev_b32_e32 v85, 16, v84
	;;#ASMSTART
	v_cvt_f32_f16 v83, v83;
	;;#ASMEND
	;;#ASMSTART
	v_cvt_f32_f16 v84, v85;
	;;#ASMEND
	v_fmac_f32_e32 v92, v81, v83
	v_fmac_f32_e32 v96, v82, v84
	ds_read_b128 v[81:84], v105 offset:64
	s_waitcnt vmcnt(19)
	v_lshrrev_b32_e32 v86, 16, v77
	v_and_b32_e32 v77, 0xffff, v77
	v_fmac_f32_e32 v93, v102, v103
	s_waitcnt lgkmcnt(0)
	v_lshrrev_b32_e32 v85, 16, v81
	v_and_b32_e32 v81, 0xffff, v81
	;;#ASMSTART
	v_cvt_f32_f16 v81, v81;
	;;#ASMEND
	;;#ASMSTART
	v_cvt_f32_f16 v85, v85;
	;;#ASMEND
	;; [unrolled: 3-line block ×3, first 2 shown]
	v_fmac_f32_e32 v89, v81, v77
	v_lshrrev_b32_e32 v81, 16, v82
	v_and_b32_e32 v77, 0xffff, v82
	v_lshrrev_b32_e32 v82, 16, v78
	v_and_b32_e32 v78, 0xffff, v78
	;;#ASMSTART
	v_cvt_f32_f16 v86, v86;
	;;#ASMEND
	;;#ASMSTART
	v_cvt_f32_f16 v77, v77;
	;;#ASMEND
	;; [unrolled: 3-line block ×5, first 2 shown]
	v_fmac_f32_e32 v90, v77, v78
	v_fmac_f32_e32 v94, v81, v82
	v_lshrrev_b32_e32 v78, 16, v83
	v_and_b32_e32 v77, 0xffff, v83
	v_lshrrev_b32_e32 v81, 16, v79
	v_and_b32_e32 v79, 0xffff, v79
	;;#ASMSTART
	v_cvt_f32_f16 v77, v77;
	;;#ASMEND
	;;#ASMSTART
	v_cvt_f32_f16 v78, v78;
	;;#ASMEND
	;; [unrolled: 3-line block ×4, first 2 shown]
	v_fmac_f32_e32 v91, v77, v79
	v_fmac_f32_e32 v95, v78, v81
	v_lshrrev_b32_e32 v78, 16, v84
	v_and_b32_e32 v77, 0xffff, v84
	v_and_b32_e32 v79, 0xffff, v80
	;;#ASMSTART
	v_cvt_f32_f16 v77, v77;
	;;#ASMEND
	;;#ASMSTART
	v_cvt_f32_f16 v78, v78;
	;;#ASMEND
	v_lshrrev_b32_e32 v81, 16, v80
	;;#ASMSTART
	v_cvt_f32_f16 v79, v79;
	;;#ASMEND
	;;#ASMSTART
	v_cvt_f32_f16 v80, v81;
	;;#ASMEND
	v_fmac_f32_e32 v92, v77, v79
	v_fmac_f32_e32 v96, v78, v80
	ds_read_b128 v[77:80], v105 offset:80
	s_waitcnt vmcnt(18)
	v_lshrrev_b32_e32 v82, 16, v73
	v_and_b32_e32 v73, 0xffff, v73
	v_fmac_f32_e32 v93, v85, v86
	s_waitcnt lgkmcnt(0)
	v_lshrrev_b32_e32 v81, 16, v77
	v_and_b32_e32 v77, 0xffff, v77
	;;#ASMSTART
	v_cvt_f32_f16 v77, v77;
	;;#ASMEND
	;;#ASMSTART
	v_cvt_f32_f16 v81, v81;
	;;#ASMEND
	;; [unrolled: 3-line block ×3, first 2 shown]
	v_fmac_f32_e32 v89, v77, v73
	v_lshrrev_b32_e32 v77, 16, v78
	v_and_b32_e32 v73, 0xffff, v78
	v_lshrrev_b32_e32 v78, 16, v74
	v_and_b32_e32 v74, 0xffff, v74
	;;#ASMSTART
	v_cvt_f32_f16 v82, v82;
	;;#ASMEND
	;;#ASMSTART
	v_cvt_f32_f16 v73, v73;
	;;#ASMEND
	;; [unrolled: 3-line block ×5, first 2 shown]
	v_fmac_f32_e32 v90, v73, v74
	v_fmac_f32_e32 v94, v77, v78
	v_lshrrev_b32_e32 v74, 16, v79
	v_and_b32_e32 v73, 0xffff, v79
	v_lshrrev_b32_e32 v77, 16, v75
	v_and_b32_e32 v75, 0xffff, v75
	;;#ASMSTART
	v_cvt_f32_f16 v73, v73;
	;;#ASMEND
	;;#ASMSTART
	v_cvt_f32_f16 v74, v74;
	;;#ASMEND
	;; [unrolled: 3-line block ×4, first 2 shown]
	v_fmac_f32_e32 v91, v73, v75
	v_fmac_f32_e32 v95, v74, v77
	v_lshrrev_b32_e32 v74, 16, v80
	v_and_b32_e32 v73, 0xffff, v80
	v_and_b32_e32 v75, 0xffff, v76
	;;#ASMSTART
	v_cvt_f32_f16 v73, v73;
	;;#ASMEND
	;;#ASMSTART
	v_cvt_f32_f16 v74, v74;
	;;#ASMEND
	v_lshrrev_b32_e32 v77, 16, v76
	;;#ASMSTART
	v_cvt_f32_f16 v75, v75;
	;;#ASMEND
	;;#ASMSTART
	v_cvt_f32_f16 v76, v77;
	;;#ASMEND
	v_fmac_f32_e32 v92, v73, v75
	v_fmac_f32_e32 v96, v74, v76
	ds_read_b128 v[73:76], v105 offset:96
	s_waitcnt vmcnt(17)
	v_lshrrev_b32_e32 v78, 16, v69
	v_and_b32_e32 v69, 0xffff, v69
	v_fmac_f32_e32 v93, v81, v82
	s_waitcnt lgkmcnt(0)
	v_lshrrev_b32_e32 v77, 16, v73
	v_and_b32_e32 v73, 0xffff, v73
	;;#ASMSTART
	v_cvt_f32_f16 v73, v73;
	;;#ASMEND
	;;#ASMSTART
	v_cvt_f32_f16 v77, v77;
	;;#ASMEND
	;; [unrolled: 3-line block ×3, first 2 shown]
	v_fmac_f32_e32 v89, v73, v69
	v_lshrrev_b32_e32 v73, 16, v74
	v_and_b32_e32 v69, 0xffff, v74
	v_lshrrev_b32_e32 v74, 16, v70
	v_and_b32_e32 v70, 0xffff, v70
	;;#ASMSTART
	v_cvt_f32_f16 v78, v78;
	;;#ASMEND
	;;#ASMSTART
	v_cvt_f32_f16 v69, v69;
	;;#ASMEND
	;; [unrolled: 3-line block ×5, first 2 shown]
	v_fmac_f32_e32 v90, v69, v70
	v_fmac_f32_e32 v94, v73, v74
	v_lshrrev_b32_e32 v70, 16, v75
	v_and_b32_e32 v69, 0xffff, v75
	v_lshrrev_b32_e32 v73, 16, v71
	v_and_b32_e32 v71, 0xffff, v71
	;;#ASMSTART
	v_cvt_f32_f16 v69, v69;
	;;#ASMEND
	;;#ASMSTART
	v_cvt_f32_f16 v70, v70;
	;;#ASMEND
	;; [unrolled: 3-line block ×4, first 2 shown]
	v_fmac_f32_e32 v91, v69, v71
	v_fmac_f32_e32 v95, v70, v73
	v_lshrrev_b32_e32 v70, 16, v76
	v_and_b32_e32 v69, 0xffff, v76
	v_and_b32_e32 v71, 0xffff, v72
	;;#ASMSTART
	v_cvt_f32_f16 v69, v69;
	;;#ASMEND
	;;#ASMSTART
	v_cvt_f32_f16 v70, v70;
	;;#ASMEND
	v_lshrrev_b32_e32 v73, 16, v72
	;;#ASMSTART
	v_cvt_f32_f16 v71, v71;
	;;#ASMEND
	;;#ASMSTART
	v_cvt_f32_f16 v72, v73;
	;;#ASMEND
	v_fmac_f32_e32 v92, v69, v71
	v_fmac_f32_e32 v96, v70, v72
	ds_read_b128 v[69:72], v105 offset:112
	s_waitcnt vmcnt(16)
	v_lshrrev_b32_e32 v74, 16, v65
	v_and_b32_e32 v65, 0xffff, v65
	v_fmac_f32_e32 v93, v77, v78
	s_waitcnt lgkmcnt(0)
	v_lshrrev_b32_e32 v73, 16, v69
	v_and_b32_e32 v69, 0xffff, v69
	;;#ASMSTART
	v_cvt_f32_f16 v69, v69;
	;;#ASMEND
	;;#ASMSTART
	v_cvt_f32_f16 v73, v73;
	;;#ASMEND
	;; [unrolled: 3-line block ×3, first 2 shown]
	v_fmac_f32_e32 v89, v69, v65
	v_lshrrev_b32_e32 v69, 16, v70
	v_and_b32_e32 v65, 0xffff, v70
	v_lshrrev_b32_e32 v70, 16, v66
	v_and_b32_e32 v66, 0xffff, v66
	;;#ASMSTART
	v_cvt_f32_f16 v74, v74;
	;;#ASMEND
	;;#ASMSTART
	v_cvt_f32_f16 v65, v65;
	;;#ASMEND
	;; [unrolled: 3-line block ×5, first 2 shown]
	v_fmac_f32_e32 v90, v65, v66
	v_fmac_f32_e32 v94, v69, v70
	v_lshrrev_b32_e32 v66, 16, v71
	v_and_b32_e32 v65, 0xffff, v71
	v_lshrrev_b32_e32 v69, 16, v67
	v_and_b32_e32 v67, 0xffff, v67
	;;#ASMSTART
	v_cvt_f32_f16 v65, v65;
	;;#ASMEND
	;;#ASMSTART
	v_cvt_f32_f16 v66, v66;
	;;#ASMEND
	;; [unrolled: 3-line block ×4, first 2 shown]
	v_fmac_f32_e32 v91, v65, v67
	v_fmac_f32_e32 v95, v66, v69
	v_lshrrev_b32_e32 v66, 16, v72
	v_and_b32_e32 v65, 0xffff, v72
	v_and_b32_e32 v67, 0xffff, v68
	;;#ASMSTART
	v_cvt_f32_f16 v65, v65;
	;;#ASMEND
	;;#ASMSTART
	v_cvt_f32_f16 v66, v66;
	;;#ASMEND
	v_lshrrev_b32_e32 v69, 16, v68
	;;#ASMSTART
	v_cvt_f32_f16 v67, v67;
	;;#ASMEND
	;;#ASMSTART
	v_cvt_f32_f16 v68, v69;
	;;#ASMEND
	v_fmac_f32_e32 v92, v65, v67
	v_fmac_f32_e32 v96, v66, v68
	ds_read_b128 v[65:68], v105 offset:128
	s_waitcnt vmcnt(15)
	v_lshrrev_b32_e32 v70, 16, v61
	v_and_b32_e32 v61, 0xffff, v61
	v_fmac_f32_e32 v93, v73, v74
	s_waitcnt lgkmcnt(0)
	v_lshrrev_b32_e32 v69, 16, v65
	v_and_b32_e32 v65, 0xffff, v65
	;;#ASMSTART
	v_cvt_f32_f16 v65, v65;
	;;#ASMEND
	;;#ASMSTART
	v_cvt_f32_f16 v69, v69;
	;;#ASMEND
	;; [unrolled: 3-line block ×3, first 2 shown]
	v_fmac_f32_e32 v89, v65, v61
	v_lshrrev_b32_e32 v65, 16, v66
	v_and_b32_e32 v61, 0xffff, v66
	v_lshrrev_b32_e32 v66, 16, v62
	v_and_b32_e32 v62, 0xffff, v62
	;;#ASMSTART
	v_cvt_f32_f16 v70, v70;
	;;#ASMEND
	;;#ASMSTART
	v_cvt_f32_f16 v61, v61;
	;;#ASMEND
	;; [unrolled: 3-line block ×5, first 2 shown]
	v_fmac_f32_e32 v90, v61, v62
	v_fmac_f32_e32 v94, v65, v66
	v_lshrrev_b32_e32 v62, 16, v67
	v_and_b32_e32 v61, 0xffff, v67
	v_lshrrev_b32_e32 v65, 16, v63
	v_and_b32_e32 v63, 0xffff, v63
	;;#ASMSTART
	v_cvt_f32_f16 v61, v61;
	;;#ASMEND
	;;#ASMSTART
	v_cvt_f32_f16 v62, v62;
	;;#ASMEND
	;; [unrolled: 3-line block ×4, first 2 shown]
	v_fmac_f32_e32 v91, v61, v63
	v_fmac_f32_e32 v95, v62, v65
	v_lshrrev_b32_e32 v62, 16, v68
	v_and_b32_e32 v61, 0xffff, v68
	v_and_b32_e32 v63, 0xffff, v64
	;;#ASMSTART
	v_cvt_f32_f16 v61, v61;
	;;#ASMEND
	;;#ASMSTART
	v_cvt_f32_f16 v62, v62;
	;;#ASMEND
	v_lshrrev_b32_e32 v65, 16, v64
	;;#ASMSTART
	v_cvt_f32_f16 v63, v63;
	;;#ASMEND
	;;#ASMSTART
	v_cvt_f32_f16 v64, v65;
	;;#ASMEND
	v_fmac_f32_e32 v92, v61, v63
	v_fmac_f32_e32 v96, v62, v64
	ds_read_b128 v[61:64], v105 offset:144
	s_waitcnt vmcnt(14)
	v_lshrrev_b32_e32 v66, 16, v57
	v_and_b32_e32 v57, 0xffff, v57
	v_fmac_f32_e32 v93, v69, v70
	s_waitcnt lgkmcnt(0)
	v_lshrrev_b32_e32 v65, 16, v61
	v_and_b32_e32 v61, 0xffff, v61
	;;#ASMSTART
	v_cvt_f32_f16 v61, v61;
	;;#ASMEND
	;;#ASMSTART
	v_cvt_f32_f16 v65, v65;
	;;#ASMEND
	;;#ASMSTART
	v_cvt_f32_f16 v57, v57;
	;;#ASMEND
	v_fmac_f32_e32 v89, v61, v57
	v_lshrrev_b32_e32 v61, 16, v62
	v_and_b32_e32 v57, 0xffff, v62
	v_lshrrev_b32_e32 v62, 16, v58
	v_and_b32_e32 v58, 0xffff, v58
	;;#ASMSTART
	v_cvt_f32_f16 v66, v66;
	;;#ASMEND
	;;#ASMSTART
	v_cvt_f32_f16 v57, v57;
	;;#ASMEND
	;; [unrolled: 3-line block ×5, first 2 shown]
	v_fmac_f32_e32 v90, v57, v58
	v_fmac_f32_e32 v94, v61, v62
	v_lshrrev_b32_e32 v58, 16, v63
	v_and_b32_e32 v57, 0xffff, v63
	v_lshrrev_b32_e32 v61, 16, v59
	v_and_b32_e32 v59, 0xffff, v59
	;;#ASMSTART
	v_cvt_f32_f16 v57, v57;
	;;#ASMEND
	;;#ASMSTART
	v_cvt_f32_f16 v58, v58;
	;;#ASMEND
	;; [unrolled: 3-line block ×4, first 2 shown]
	v_fmac_f32_e32 v91, v57, v59
	v_fmac_f32_e32 v95, v58, v61
	v_lshrrev_b32_e32 v58, 16, v64
	v_and_b32_e32 v57, 0xffff, v64
	v_and_b32_e32 v59, 0xffff, v60
	;;#ASMSTART
	v_cvt_f32_f16 v57, v57;
	;;#ASMEND
	;;#ASMSTART
	v_cvt_f32_f16 v58, v58;
	;;#ASMEND
	v_lshrrev_b32_e32 v61, 16, v60
	;;#ASMSTART
	v_cvt_f32_f16 v59, v59;
	;;#ASMEND
	;;#ASMSTART
	v_cvt_f32_f16 v60, v61;
	;;#ASMEND
	v_fmac_f32_e32 v92, v57, v59
	v_fmac_f32_e32 v96, v58, v60
	ds_read_b128 v[57:60], v105 offset:160
	s_waitcnt vmcnt(13)
	v_lshrrev_b32_e32 v62, 16, v53
	v_and_b32_e32 v53, 0xffff, v53
	v_fmac_f32_e32 v93, v65, v66
	s_waitcnt lgkmcnt(0)
	v_lshrrev_b32_e32 v61, 16, v57
	v_and_b32_e32 v57, 0xffff, v57
	;;#ASMSTART
	v_cvt_f32_f16 v57, v57;
	;;#ASMEND
	;;#ASMSTART
	v_cvt_f32_f16 v61, v61;
	;;#ASMEND
	;; [unrolled: 3-line block ×3, first 2 shown]
	v_fmac_f32_e32 v89, v57, v53
	v_lshrrev_b32_e32 v57, 16, v58
	v_and_b32_e32 v53, 0xffff, v58
	v_lshrrev_b32_e32 v58, 16, v54
	v_and_b32_e32 v54, 0xffff, v54
	;;#ASMSTART
	v_cvt_f32_f16 v62, v62;
	;;#ASMEND
	;;#ASMSTART
	v_cvt_f32_f16 v53, v53;
	;;#ASMEND
	;; [unrolled: 3-line block ×5, first 2 shown]
	v_fmac_f32_e32 v90, v53, v54
	v_fmac_f32_e32 v94, v57, v58
	v_lshrrev_b32_e32 v54, 16, v59
	v_and_b32_e32 v53, 0xffff, v59
	v_lshrrev_b32_e32 v57, 16, v55
	v_and_b32_e32 v55, 0xffff, v55
	;;#ASMSTART
	v_cvt_f32_f16 v53, v53;
	;;#ASMEND
	;;#ASMSTART
	v_cvt_f32_f16 v54, v54;
	;;#ASMEND
	;; [unrolled: 3-line block ×4, first 2 shown]
	v_fmac_f32_e32 v91, v53, v55
	v_fmac_f32_e32 v95, v54, v57
	v_lshrrev_b32_e32 v54, 16, v60
	v_and_b32_e32 v53, 0xffff, v60
	v_and_b32_e32 v55, 0xffff, v56
	;;#ASMSTART
	v_cvt_f32_f16 v53, v53;
	;;#ASMEND
	;;#ASMSTART
	v_cvt_f32_f16 v54, v54;
	;;#ASMEND
	v_lshrrev_b32_e32 v57, 16, v56
	;;#ASMSTART
	v_cvt_f32_f16 v55, v55;
	;;#ASMEND
	;;#ASMSTART
	v_cvt_f32_f16 v56, v57;
	;;#ASMEND
	v_fmac_f32_e32 v92, v53, v55
	v_fmac_f32_e32 v96, v54, v56
	ds_read_b128 v[53:56], v105 offset:176
	s_waitcnt vmcnt(12)
	v_lshrrev_b32_e32 v58, 16, v49
	v_and_b32_e32 v49, 0xffff, v49
	v_fmac_f32_e32 v93, v61, v62
	s_waitcnt lgkmcnt(0)
	v_lshrrev_b32_e32 v57, 16, v53
	v_and_b32_e32 v53, 0xffff, v53
	;;#ASMSTART
	v_cvt_f32_f16 v53, v53;
	;;#ASMEND
	;;#ASMSTART
	v_cvt_f32_f16 v57, v57;
	;;#ASMEND
	;; [unrolled: 3-line block ×3, first 2 shown]
	v_fmac_f32_e32 v89, v53, v49
	v_lshrrev_b32_e32 v53, 16, v54
	v_and_b32_e32 v49, 0xffff, v54
	v_lshrrev_b32_e32 v54, 16, v50
	v_and_b32_e32 v50, 0xffff, v50
	;;#ASMSTART
	v_cvt_f32_f16 v58, v58;
	;;#ASMEND
	;;#ASMSTART
	v_cvt_f32_f16 v49, v49;
	;;#ASMEND
	;; [unrolled: 3-line block ×5, first 2 shown]
	v_fmac_f32_e32 v90, v49, v50
	v_fmac_f32_e32 v94, v53, v54
	v_lshrrev_b32_e32 v50, 16, v55
	v_and_b32_e32 v49, 0xffff, v55
	v_lshrrev_b32_e32 v53, 16, v51
	v_and_b32_e32 v51, 0xffff, v51
	;;#ASMSTART
	v_cvt_f32_f16 v49, v49;
	;;#ASMEND
	;;#ASMSTART
	v_cvt_f32_f16 v50, v50;
	;;#ASMEND
	;; [unrolled: 3-line block ×4, first 2 shown]
	v_fmac_f32_e32 v91, v49, v51
	v_fmac_f32_e32 v95, v50, v53
	v_lshrrev_b32_e32 v50, 16, v56
	v_and_b32_e32 v49, 0xffff, v56
	v_and_b32_e32 v51, 0xffff, v52
	;;#ASMSTART
	v_cvt_f32_f16 v49, v49;
	;;#ASMEND
	;;#ASMSTART
	v_cvt_f32_f16 v50, v50;
	;;#ASMEND
	v_lshrrev_b32_e32 v53, 16, v52
	;;#ASMSTART
	v_cvt_f32_f16 v51, v51;
	;;#ASMEND
	;;#ASMSTART
	v_cvt_f32_f16 v52, v53;
	;;#ASMEND
	v_fmac_f32_e32 v92, v49, v51
	v_fmac_f32_e32 v96, v50, v52
	ds_read_b128 v[49:52], v105 offset:192
	s_waitcnt vmcnt(11)
	v_lshrrev_b32_e32 v54, 16, v45
	v_and_b32_e32 v45, 0xffff, v45
	v_fmac_f32_e32 v93, v57, v58
	s_waitcnt lgkmcnt(0)
	v_lshrrev_b32_e32 v53, 16, v49
	v_and_b32_e32 v49, 0xffff, v49
	;;#ASMSTART
	v_cvt_f32_f16 v49, v49;
	;;#ASMEND
	;;#ASMSTART
	v_cvt_f32_f16 v53, v53;
	;;#ASMEND
	;; [unrolled: 3-line block ×3, first 2 shown]
	v_fmac_f32_e32 v89, v49, v45
	v_lshrrev_b32_e32 v49, 16, v50
	v_and_b32_e32 v45, 0xffff, v50
	v_lshrrev_b32_e32 v50, 16, v46
	v_and_b32_e32 v46, 0xffff, v46
	;;#ASMSTART
	v_cvt_f32_f16 v54, v54;
	;;#ASMEND
	;;#ASMSTART
	v_cvt_f32_f16 v45, v45;
	;;#ASMEND
	;; [unrolled: 3-line block ×5, first 2 shown]
	v_fmac_f32_e32 v90, v45, v46
	v_fmac_f32_e32 v94, v49, v50
	v_lshrrev_b32_e32 v46, 16, v51
	v_and_b32_e32 v45, 0xffff, v51
	v_lshrrev_b32_e32 v49, 16, v47
	v_and_b32_e32 v47, 0xffff, v47
	;;#ASMSTART
	v_cvt_f32_f16 v45, v45;
	;;#ASMEND
	;;#ASMSTART
	v_cvt_f32_f16 v46, v46;
	;;#ASMEND
	;; [unrolled: 3-line block ×4, first 2 shown]
	v_fmac_f32_e32 v91, v45, v47
	v_fmac_f32_e32 v95, v46, v49
	v_lshrrev_b32_e32 v46, 16, v52
	v_and_b32_e32 v45, 0xffff, v52
	v_and_b32_e32 v47, 0xffff, v48
	;;#ASMSTART
	v_cvt_f32_f16 v45, v45;
	;;#ASMEND
	;;#ASMSTART
	v_cvt_f32_f16 v46, v46;
	;;#ASMEND
	v_lshrrev_b32_e32 v49, 16, v48
	;;#ASMSTART
	v_cvt_f32_f16 v47, v47;
	;;#ASMEND
	;;#ASMSTART
	v_cvt_f32_f16 v48, v49;
	;;#ASMEND
	v_fmac_f32_e32 v92, v45, v47
	v_fmac_f32_e32 v96, v46, v48
	ds_read_b128 v[45:48], v105 offset:208
	s_waitcnt vmcnt(10)
	v_lshrrev_b32_e32 v50, 16, v41
	v_and_b32_e32 v41, 0xffff, v41
	v_fmac_f32_e32 v93, v53, v54
	s_waitcnt lgkmcnt(0)
	v_lshrrev_b32_e32 v49, 16, v45
	v_and_b32_e32 v45, 0xffff, v45
	;;#ASMSTART
	v_cvt_f32_f16 v45, v45;
	;;#ASMEND
	;;#ASMSTART
	v_cvt_f32_f16 v49, v49;
	;;#ASMEND
	;;#ASMSTART
	v_cvt_f32_f16 v41, v41;
	;;#ASMEND
	v_fmac_f32_e32 v89, v45, v41
	v_lshrrev_b32_e32 v45, 16, v46
	v_and_b32_e32 v41, 0xffff, v46
	v_lshrrev_b32_e32 v46, 16, v42
	v_and_b32_e32 v42, 0xffff, v42
	;;#ASMSTART
	v_cvt_f32_f16 v50, v50;
	;;#ASMEND
	;;#ASMSTART
	v_cvt_f32_f16 v41, v41;
	;;#ASMEND
	;; [unrolled: 3-line block ×5, first 2 shown]
	v_fmac_f32_e32 v90, v41, v42
	v_fmac_f32_e32 v94, v45, v46
	v_lshrrev_b32_e32 v42, 16, v47
	v_and_b32_e32 v41, 0xffff, v47
	v_lshrrev_b32_e32 v45, 16, v43
	v_and_b32_e32 v43, 0xffff, v43
	;;#ASMSTART
	v_cvt_f32_f16 v41, v41;
	;;#ASMEND
	;;#ASMSTART
	v_cvt_f32_f16 v42, v42;
	;;#ASMEND
	;; [unrolled: 3-line block ×4, first 2 shown]
	v_fmac_f32_e32 v91, v41, v43
	v_fmac_f32_e32 v95, v42, v45
	v_lshrrev_b32_e32 v42, 16, v48
	v_and_b32_e32 v41, 0xffff, v48
	v_and_b32_e32 v43, 0xffff, v44
	;;#ASMSTART
	v_cvt_f32_f16 v41, v41;
	;;#ASMEND
	;;#ASMSTART
	v_cvt_f32_f16 v42, v42;
	;;#ASMEND
	v_lshrrev_b32_e32 v45, 16, v44
	;;#ASMSTART
	v_cvt_f32_f16 v43, v43;
	;;#ASMEND
	;;#ASMSTART
	v_cvt_f32_f16 v44, v45;
	;;#ASMEND
	v_fmac_f32_e32 v92, v41, v43
	v_fmac_f32_e32 v96, v42, v44
	ds_read_b128 v[41:44], v105 offset:224
	s_waitcnt vmcnt(9)
	v_lshrrev_b32_e32 v46, 16, v37
	v_and_b32_e32 v37, 0xffff, v37
	v_fmac_f32_e32 v93, v49, v50
	s_waitcnt lgkmcnt(0)
	v_lshrrev_b32_e32 v45, 16, v41
	v_and_b32_e32 v41, 0xffff, v41
	;;#ASMSTART
	v_cvt_f32_f16 v41, v41;
	;;#ASMEND
	;;#ASMSTART
	v_cvt_f32_f16 v45, v45;
	;;#ASMEND
	;; [unrolled: 3-line block ×3, first 2 shown]
	v_fmac_f32_e32 v89, v41, v37
	v_lshrrev_b32_e32 v41, 16, v42
	v_and_b32_e32 v37, 0xffff, v42
	v_lshrrev_b32_e32 v42, 16, v38
	v_and_b32_e32 v38, 0xffff, v38
	;;#ASMSTART
	v_cvt_f32_f16 v46, v46;
	;;#ASMEND
	;;#ASMSTART
	v_cvt_f32_f16 v37, v37;
	;;#ASMEND
	;; [unrolled: 3-line block ×5, first 2 shown]
	v_fmac_f32_e32 v90, v37, v38
	v_fmac_f32_e32 v94, v41, v42
	v_lshrrev_b32_e32 v38, 16, v43
	v_and_b32_e32 v37, 0xffff, v43
	v_lshrrev_b32_e32 v41, 16, v39
	v_and_b32_e32 v39, 0xffff, v39
	;;#ASMSTART
	v_cvt_f32_f16 v37, v37;
	;;#ASMEND
	;;#ASMSTART
	v_cvt_f32_f16 v38, v38;
	;;#ASMEND
	;;#ASMSTART
	v_cvt_f32_f16 v39, v39;
	;;#ASMEND
	;;#ASMSTART
	v_cvt_f32_f16 v41, v41;
	;;#ASMEND
	v_fmac_f32_e32 v91, v37, v39
	v_fmac_f32_e32 v95, v38, v41
	v_lshrrev_b32_e32 v38, 16, v44
	v_and_b32_e32 v37, 0xffff, v44
	v_and_b32_e32 v39, 0xffff, v40
	;;#ASMSTART
	v_cvt_f32_f16 v37, v37;
	;;#ASMEND
	;;#ASMSTART
	v_cvt_f32_f16 v38, v38;
	;;#ASMEND
	v_lshrrev_b32_e32 v41, 16, v40
	;;#ASMSTART
	v_cvt_f32_f16 v39, v39;
	;;#ASMEND
	;;#ASMSTART
	v_cvt_f32_f16 v40, v41;
	;;#ASMEND
	v_fmac_f32_e32 v92, v37, v39
	v_fmac_f32_e32 v96, v38, v40
	ds_read_b128 v[37:40], v105 offset:240
	s_waitcnt vmcnt(8)
	v_lshrrev_b32_e32 v42, 16, v33
	v_and_b32_e32 v33, 0xffff, v33
	v_fmac_f32_e32 v93, v45, v46
	s_waitcnt lgkmcnt(0)
	v_lshrrev_b32_e32 v41, 16, v37
	v_and_b32_e32 v37, 0xffff, v37
	;;#ASMSTART
	v_cvt_f32_f16 v37, v37;
	;;#ASMEND
	;;#ASMSTART
	v_cvt_f32_f16 v41, v41;
	;;#ASMEND
	;; [unrolled: 3-line block ×3, first 2 shown]
	v_fmac_f32_e32 v89, v37, v33
	v_lshrrev_b32_e32 v37, 16, v38
	v_and_b32_e32 v33, 0xffff, v38
	v_lshrrev_b32_e32 v38, 16, v34
	v_and_b32_e32 v34, 0xffff, v34
	;;#ASMSTART
	v_cvt_f32_f16 v42, v42;
	;;#ASMEND
	;;#ASMSTART
	v_cvt_f32_f16 v33, v33;
	;;#ASMEND
	;; [unrolled: 3-line block ×5, first 2 shown]
	v_fmac_f32_e32 v90, v33, v34
	v_fmac_f32_e32 v94, v37, v38
	v_lshrrev_b32_e32 v34, 16, v39
	v_and_b32_e32 v33, 0xffff, v39
	v_lshrrev_b32_e32 v37, 16, v35
	v_and_b32_e32 v35, 0xffff, v35
	;;#ASMSTART
	v_cvt_f32_f16 v33, v33;
	;;#ASMEND
	;;#ASMSTART
	v_cvt_f32_f16 v34, v34;
	;;#ASMEND
	;; [unrolled: 3-line block ×4, first 2 shown]
	v_fmac_f32_e32 v91, v33, v35
	v_fmac_f32_e32 v95, v34, v37
	v_lshrrev_b32_e32 v34, 16, v40
	v_and_b32_e32 v33, 0xffff, v40
	v_and_b32_e32 v35, 0xffff, v36
	;;#ASMSTART
	v_cvt_f32_f16 v33, v33;
	;;#ASMEND
	;;#ASMSTART
	v_cvt_f32_f16 v34, v34;
	;;#ASMEND
	v_lshrrev_b32_e32 v37, 16, v36
	;;#ASMSTART
	v_cvt_f32_f16 v35, v35;
	;;#ASMEND
	;;#ASMSTART
	v_cvt_f32_f16 v36, v37;
	;;#ASMEND
	v_fmac_f32_e32 v92, v33, v35
	v_fmac_f32_e32 v96, v34, v36
	ds_read_b128 v[33:36], v105 offset:256
	s_waitcnt vmcnt(7)
	v_lshrrev_b32_e32 v38, 16, v29
	v_and_b32_e32 v29, 0xffff, v29
	v_fmac_f32_e32 v93, v41, v42
	s_waitcnt lgkmcnt(0)
	v_lshrrev_b32_e32 v37, 16, v33
	v_and_b32_e32 v33, 0xffff, v33
	;;#ASMSTART
	v_cvt_f32_f16 v33, v33;
	;;#ASMEND
	;;#ASMSTART
	v_cvt_f32_f16 v37, v37;
	;;#ASMEND
	;; [unrolled: 3-line block ×3, first 2 shown]
	v_fmac_f32_e32 v89, v33, v29
	v_lshrrev_b32_e32 v33, 16, v34
	v_and_b32_e32 v29, 0xffff, v34
	v_lshrrev_b32_e32 v34, 16, v30
	v_and_b32_e32 v30, 0xffff, v30
	;;#ASMSTART
	v_cvt_f32_f16 v38, v38;
	;;#ASMEND
	;;#ASMSTART
	v_cvt_f32_f16 v29, v29;
	;;#ASMEND
	;; [unrolled: 3-line block ×5, first 2 shown]
	v_fmac_f32_e32 v90, v29, v30
	v_fmac_f32_e32 v94, v33, v34
	v_lshrrev_b32_e32 v30, 16, v35
	v_and_b32_e32 v29, 0xffff, v35
	v_lshrrev_b32_e32 v33, 16, v31
	v_and_b32_e32 v31, 0xffff, v31
	;;#ASMSTART
	v_cvt_f32_f16 v29, v29;
	;;#ASMEND
	;;#ASMSTART
	v_cvt_f32_f16 v30, v30;
	;;#ASMEND
	;; [unrolled: 3-line block ×4, first 2 shown]
	v_fmac_f32_e32 v91, v29, v31
	v_fmac_f32_e32 v95, v30, v33
	v_lshrrev_b32_e32 v30, 16, v36
	v_and_b32_e32 v29, 0xffff, v36
	v_and_b32_e32 v31, 0xffff, v32
	;;#ASMSTART
	v_cvt_f32_f16 v29, v29;
	;;#ASMEND
	;;#ASMSTART
	v_cvt_f32_f16 v30, v30;
	;;#ASMEND
	v_lshrrev_b32_e32 v33, 16, v32
	;;#ASMSTART
	v_cvt_f32_f16 v31, v31;
	;;#ASMEND
	;;#ASMSTART
	v_cvt_f32_f16 v32, v33;
	;;#ASMEND
	v_fmac_f32_e32 v92, v29, v31
	v_fmac_f32_e32 v96, v30, v32
	ds_read_b128 v[29:32], v105 offset:272
	s_waitcnt vmcnt(6)
	v_lshrrev_b32_e32 v34, 16, v25
	v_and_b32_e32 v25, 0xffff, v25
	v_fmac_f32_e32 v93, v37, v38
	s_waitcnt lgkmcnt(0)
	v_lshrrev_b32_e32 v33, 16, v29
	v_and_b32_e32 v29, 0xffff, v29
	;;#ASMSTART
	v_cvt_f32_f16 v29, v29;
	;;#ASMEND
	;;#ASMSTART
	v_cvt_f32_f16 v33, v33;
	;;#ASMEND
	;; [unrolled: 3-line block ×3, first 2 shown]
	v_fmac_f32_e32 v89, v29, v25
	v_lshrrev_b32_e32 v29, 16, v30
	v_and_b32_e32 v25, 0xffff, v30
	v_lshrrev_b32_e32 v30, 16, v26
	v_and_b32_e32 v26, 0xffff, v26
	;;#ASMSTART
	v_cvt_f32_f16 v34, v34;
	;;#ASMEND
	;;#ASMSTART
	v_cvt_f32_f16 v25, v25;
	;;#ASMEND
	;; [unrolled: 3-line block ×5, first 2 shown]
	v_fmac_f32_e32 v90, v25, v26
	v_fmac_f32_e32 v94, v29, v30
	v_lshrrev_b32_e32 v26, 16, v31
	v_and_b32_e32 v25, 0xffff, v31
	v_lshrrev_b32_e32 v29, 16, v27
	v_and_b32_e32 v27, 0xffff, v27
	;;#ASMSTART
	v_cvt_f32_f16 v25, v25;
	;;#ASMEND
	;;#ASMSTART
	v_cvt_f32_f16 v26, v26;
	;;#ASMEND
	;; [unrolled: 3-line block ×4, first 2 shown]
	v_fmac_f32_e32 v91, v25, v27
	v_fmac_f32_e32 v95, v26, v29
	v_lshrrev_b32_e32 v26, 16, v32
	v_and_b32_e32 v25, 0xffff, v32
	v_and_b32_e32 v27, 0xffff, v28
	;;#ASMSTART
	v_cvt_f32_f16 v25, v25;
	;;#ASMEND
	;;#ASMSTART
	v_cvt_f32_f16 v26, v26;
	;;#ASMEND
	v_lshrrev_b32_e32 v29, 16, v28
	;;#ASMSTART
	v_cvt_f32_f16 v27, v27;
	;;#ASMEND
	;;#ASMSTART
	v_cvt_f32_f16 v28, v29;
	;;#ASMEND
	v_fmac_f32_e32 v92, v25, v27
	v_fmac_f32_e32 v96, v26, v28
	ds_read_b128 v[25:28], v105 offset:288
	s_waitcnt vmcnt(5)
	v_lshrrev_b32_e32 v30, 16, v21
	v_and_b32_e32 v21, 0xffff, v21
	v_fmac_f32_e32 v93, v33, v34
	s_waitcnt lgkmcnt(0)
	v_lshrrev_b32_e32 v29, 16, v25
	v_and_b32_e32 v25, 0xffff, v25
	;;#ASMSTART
	v_cvt_f32_f16 v25, v25;
	;;#ASMEND
	;;#ASMSTART
	v_cvt_f32_f16 v29, v29;
	;;#ASMEND
	;; [unrolled: 3-line block ×3, first 2 shown]
	v_fmac_f32_e32 v89, v25, v21
	v_lshrrev_b32_e32 v25, 16, v26
	v_and_b32_e32 v21, 0xffff, v26
	v_lshrrev_b32_e32 v26, 16, v22
	v_and_b32_e32 v22, 0xffff, v22
	;;#ASMSTART
	v_cvt_f32_f16 v30, v30;
	;;#ASMEND
	;;#ASMSTART
	v_cvt_f32_f16 v21, v21;
	;;#ASMEND
	;; [unrolled: 3-line block ×5, first 2 shown]
	v_fmac_f32_e32 v90, v21, v22
	v_fmac_f32_e32 v94, v25, v26
	v_lshrrev_b32_e32 v22, 16, v27
	v_and_b32_e32 v21, 0xffff, v27
	v_lshrrev_b32_e32 v25, 16, v23
	v_and_b32_e32 v23, 0xffff, v23
	;;#ASMSTART
	v_cvt_f32_f16 v21, v21;
	;;#ASMEND
	;;#ASMSTART
	v_cvt_f32_f16 v22, v22;
	;;#ASMEND
	;; [unrolled: 3-line block ×4, first 2 shown]
	v_fmac_f32_e32 v91, v21, v23
	v_fmac_f32_e32 v95, v22, v25
	v_lshrrev_b32_e32 v22, 16, v28
	v_and_b32_e32 v21, 0xffff, v28
	v_and_b32_e32 v23, 0xffff, v24
	;;#ASMSTART
	v_cvt_f32_f16 v21, v21;
	;;#ASMEND
	;;#ASMSTART
	v_cvt_f32_f16 v22, v22;
	;;#ASMEND
	v_lshrrev_b32_e32 v25, 16, v24
	;;#ASMSTART
	v_cvt_f32_f16 v23, v23;
	;;#ASMEND
	;;#ASMSTART
	v_cvt_f32_f16 v24, v25;
	;;#ASMEND
	v_fmac_f32_e32 v92, v21, v23
	v_fmac_f32_e32 v96, v22, v24
	ds_read_b128 v[21:24], v105 offset:304
	s_waitcnt vmcnt(4)
	v_lshrrev_b32_e32 v26, 16, v17
	v_and_b32_e32 v17, 0xffff, v17
	v_fmac_f32_e32 v93, v29, v30
	s_waitcnt lgkmcnt(0)
	v_lshrrev_b32_e32 v25, 16, v21
	v_and_b32_e32 v21, 0xffff, v21
	;;#ASMSTART
	v_cvt_f32_f16 v21, v21;
	;;#ASMEND
	;;#ASMSTART
	v_cvt_f32_f16 v25, v25;
	;;#ASMEND
	;;#ASMSTART
	v_cvt_f32_f16 v17, v17;
	;;#ASMEND
	v_fmac_f32_e32 v89, v21, v17
	v_lshrrev_b32_e32 v21, 16, v22
	v_and_b32_e32 v17, 0xffff, v22
	v_lshrrev_b32_e32 v22, 16, v18
	v_and_b32_e32 v18, 0xffff, v18
	;;#ASMSTART
	v_cvt_f32_f16 v26, v26;
	;;#ASMEND
	;;#ASMSTART
	v_cvt_f32_f16 v17, v17;
	;;#ASMEND
	;; [unrolled: 3-line block ×5, first 2 shown]
	v_fmac_f32_e32 v90, v17, v18
	v_fmac_f32_e32 v94, v21, v22
	v_lshrrev_b32_e32 v18, 16, v23
	v_and_b32_e32 v17, 0xffff, v23
	v_lshrrev_b32_e32 v21, 16, v19
	v_and_b32_e32 v19, 0xffff, v19
	;;#ASMSTART
	v_cvt_f32_f16 v17, v17;
	;;#ASMEND
	;;#ASMSTART
	v_cvt_f32_f16 v18, v18;
	;;#ASMEND
	;; [unrolled: 3-line block ×4, first 2 shown]
	v_fmac_f32_e32 v91, v17, v19
	v_fmac_f32_e32 v95, v18, v21
	v_lshrrev_b32_e32 v18, 16, v24
	v_and_b32_e32 v17, 0xffff, v24
	v_and_b32_e32 v19, 0xffff, v20
	;;#ASMSTART
	v_cvt_f32_f16 v17, v17;
	;;#ASMEND
	;;#ASMSTART
	v_cvt_f32_f16 v18, v18;
	;;#ASMEND
	v_lshrrev_b32_e32 v21, 16, v20
	;;#ASMSTART
	v_cvt_f32_f16 v19, v19;
	;;#ASMEND
	;;#ASMSTART
	v_cvt_f32_f16 v20, v21;
	;;#ASMEND
	v_fmac_f32_e32 v92, v17, v19
	v_fmac_f32_e32 v96, v18, v20
	ds_read_b128 v[17:20], v105 offset:320
	s_waitcnt vmcnt(3)
	v_lshrrev_b32_e32 v22, 16, v13
	v_and_b32_e32 v13, 0xffff, v13
	v_fmac_f32_e32 v93, v25, v26
	s_waitcnt lgkmcnt(0)
	v_lshrrev_b32_e32 v21, 16, v17
	v_and_b32_e32 v17, 0xffff, v17
	;;#ASMSTART
	v_cvt_f32_f16 v17, v17;
	;;#ASMEND
	;;#ASMSTART
	v_cvt_f32_f16 v21, v21;
	;;#ASMEND
	;; [unrolled: 3-line block ×3, first 2 shown]
	v_fmac_f32_e32 v89, v17, v13
	v_lshrrev_b32_e32 v17, 16, v18
	v_and_b32_e32 v13, 0xffff, v18
	v_lshrrev_b32_e32 v18, 16, v14
	v_and_b32_e32 v14, 0xffff, v14
	;;#ASMSTART
	v_cvt_f32_f16 v22, v22;
	;;#ASMEND
	;;#ASMSTART
	v_cvt_f32_f16 v13, v13;
	;;#ASMEND
	;; [unrolled: 3-line block ×5, first 2 shown]
	v_fmac_f32_e32 v90, v13, v14
	v_fmac_f32_e32 v94, v17, v18
	v_lshrrev_b32_e32 v14, 16, v19
	v_and_b32_e32 v13, 0xffff, v19
	v_lshrrev_b32_e32 v17, 16, v15
	v_and_b32_e32 v15, 0xffff, v15
	;;#ASMSTART
	v_cvt_f32_f16 v13, v13;
	;;#ASMEND
	;;#ASMSTART
	v_cvt_f32_f16 v14, v14;
	;;#ASMEND
	;; [unrolled: 3-line block ×4, first 2 shown]
	v_fmac_f32_e32 v91, v13, v15
	v_fmac_f32_e32 v95, v14, v17
	v_lshrrev_b32_e32 v14, 16, v20
	v_and_b32_e32 v13, 0xffff, v20
	v_and_b32_e32 v15, 0xffff, v16
	;;#ASMSTART
	v_cvt_f32_f16 v13, v13;
	;;#ASMEND
	;;#ASMSTART
	v_cvt_f32_f16 v14, v14;
	;;#ASMEND
	v_lshrrev_b32_e32 v17, 16, v16
	;;#ASMSTART
	v_cvt_f32_f16 v15, v15;
	;;#ASMEND
	;;#ASMSTART
	v_cvt_f32_f16 v16, v17;
	;;#ASMEND
	v_fmac_f32_e32 v92, v13, v15
	v_fmac_f32_e32 v96, v14, v16
	ds_read_b128 v[13:16], v105 offset:336
	s_waitcnt vmcnt(2)
	v_lshrrev_b32_e32 v18, 16, v9
	v_and_b32_e32 v9, 0xffff, v9
	v_fmac_f32_e32 v93, v21, v22
	s_waitcnt lgkmcnt(0)
	v_lshrrev_b32_e32 v17, 16, v13
	v_and_b32_e32 v13, 0xffff, v13
	;;#ASMSTART
	v_cvt_f32_f16 v13, v13;
	;;#ASMEND
	;;#ASMSTART
	v_cvt_f32_f16 v17, v17;
	;;#ASMEND
	;; [unrolled: 3-line block ×3, first 2 shown]
	v_fmac_f32_e32 v89, v13, v9
	v_lshrrev_b32_e32 v13, 16, v14
	v_and_b32_e32 v9, 0xffff, v14
	v_lshrrev_b32_e32 v14, 16, v10
	v_and_b32_e32 v10, 0xffff, v10
	;;#ASMSTART
	v_cvt_f32_f16 v18, v18;
	;;#ASMEND
	;;#ASMSTART
	v_cvt_f32_f16 v9, v9;
	;;#ASMEND
	;; [unrolled: 3-line block ×5, first 2 shown]
	v_fmac_f32_e32 v90, v9, v10
	v_fmac_f32_e32 v94, v13, v14
	v_lshrrev_b32_e32 v10, 16, v15
	v_and_b32_e32 v9, 0xffff, v15
	v_lshrrev_b32_e32 v13, 16, v11
	v_and_b32_e32 v11, 0xffff, v11
	;;#ASMSTART
	v_cvt_f32_f16 v9, v9;
	;;#ASMEND
	;;#ASMSTART
	v_cvt_f32_f16 v10, v10;
	;;#ASMEND
	;; [unrolled: 3-line block ×4, first 2 shown]
	v_fmac_f32_e32 v91, v9, v11
	v_fmac_f32_e32 v95, v10, v13
	v_lshrrev_b32_e32 v10, 16, v16
	v_and_b32_e32 v9, 0xffff, v16
	v_and_b32_e32 v11, 0xffff, v12
	;;#ASMSTART
	v_cvt_f32_f16 v9, v9;
	;;#ASMEND
	;;#ASMSTART
	v_cvt_f32_f16 v10, v10;
	;;#ASMEND
	v_lshrrev_b32_e32 v13, 16, v12
	;;#ASMSTART
	v_cvt_f32_f16 v11, v11;
	;;#ASMEND
	;;#ASMSTART
	v_cvt_f32_f16 v12, v13;
	;;#ASMEND
	v_fmac_f32_e32 v92, v9, v11
	v_fmac_f32_e32 v96, v10, v12
	ds_read_b128 v[9:12], v105 offset:352
	s_waitcnt vmcnt(1)
	v_lshrrev_b32_e32 v14, 16, v5
	v_and_b32_e32 v5, 0xffff, v5
	v_fmac_f32_e32 v93, v17, v18
	s_waitcnt lgkmcnt(0)
	v_lshrrev_b32_e32 v13, 16, v9
	v_and_b32_e32 v9, 0xffff, v9
	;;#ASMSTART
	v_cvt_f32_f16 v9, v9;
	;;#ASMEND
	;;#ASMSTART
	v_cvt_f32_f16 v13, v13;
	;;#ASMEND
	;; [unrolled: 3-line block ×3, first 2 shown]
	v_fmac_f32_e32 v89, v9, v5
	v_lshrrev_b32_e32 v9, 16, v10
	v_and_b32_e32 v5, 0xffff, v10
	v_lshrrev_b32_e32 v10, 16, v6
	v_and_b32_e32 v6, 0xffff, v6
	;;#ASMSTART
	v_cvt_f32_f16 v14, v14;
	;;#ASMEND
	;;#ASMSTART
	v_cvt_f32_f16 v5, v5;
	;;#ASMEND
	;;#ASMSTART
	v_cvt_f32_f16 v9, v9;
	;;#ASMEND
	;;#ASMSTART
	v_cvt_f32_f16 v6, v6;
	;;#ASMEND
	;;#ASMSTART
	v_cvt_f32_f16 v10, v10;
	;;#ASMEND
	v_fmac_f32_e32 v90, v5, v6
	v_fmac_f32_e32 v94, v9, v10
	v_lshrrev_b32_e32 v6, 16, v11
	v_and_b32_e32 v5, 0xffff, v11
	v_lshrrev_b32_e32 v9, 16, v7
	v_and_b32_e32 v7, 0xffff, v7
	;;#ASMSTART
	v_cvt_f32_f16 v5, v5;
	;;#ASMEND
	;;#ASMSTART
	v_cvt_f32_f16 v6, v6;
	;;#ASMEND
	;;#ASMSTART
	v_cvt_f32_f16 v7, v7;
	;;#ASMEND
	;;#ASMSTART
	v_cvt_f32_f16 v9, v9;
	;;#ASMEND
	v_fmac_f32_e32 v91, v5, v7
	v_fmac_f32_e32 v95, v6, v9
	v_lshrrev_b32_e32 v6, 16, v12
	v_and_b32_e32 v5, 0xffff, v12
	v_and_b32_e32 v7, 0xffff, v8
	;;#ASMSTART
	v_cvt_f32_f16 v5, v5;
	;;#ASMEND
	;;#ASMSTART
	v_cvt_f32_f16 v6, v6;
	;;#ASMEND
	v_lshrrev_b32_e32 v9, 16, v8
	;;#ASMSTART
	v_cvt_f32_f16 v7, v7;
	;;#ASMEND
	;;#ASMSTART
	v_cvt_f32_f16 v8, v9;
	;;#ASMEND
	v_fmac_f32_e32 v92, v5, v7
	v_fmac_f32_e32 v96, v6, v8
	ds_read_b128 v[5:8], v105 offset:368
	v_fmac_f32_e32 v93, v13, v14
	s_waitcnt vmcnt(0)
	v_lshrrev_b32_e32 v10, 16, v1
	v_and_b32_e32 v1, 0xffff, v1
	s_waitcnt lgkmcnt(0)
	v_lshrrev_b32_e32 v9, 16, v5
	v_and_b32_e32 v5, 0xffff, v5
	;;#ASMSTART
	v_cvt_f32_f16 v5, v5;
	;;#ASMEND
	;;#ASMSTART
	v_cvt_f32_f16 v9, v9;
	;;#ASMEND
	;; [unrolled: 3-line block ×3, first 2 shown]
	v_fmac_f32_e32 v89, v5, v1
	v_and_b32_e32 v1, 0xffff, v6
	;;#ASMSTART
	v_cvt_f32_f16 v10, v10;
	;;#ASMEND
	v_fmac_f32_e32 v93, v9, v10
	v_lshrrev_b32_e32 v5, 16, v6
	;;#ASMSTART
	v_cvt_f32_f16 v1, v1;
	;;#ASMEND
	v_lshrrev_b32_e32 v6, 16, v2
	v_and_b32_e32 v2, 0xffff, v2
	;;#ASMSTART
	v_cvt_f32_f16 v5, v5;
	;;#ASMEND
	;;#ASMSTART
	v_cvt_f32_f16 v2, v2;
	;;#ASMEND
	v_fmac_f32_e32 v90, v1, v2
	v_and_b32_e32 v1, 0xffff, v7
	;;#ASMSTART
	v_cvt_f32_f16 v6, v6;
	;;#ASMEND
	v_fmac_f32_e32 v94, v5, v6
	v_lshrrev_b32_e32 v2, 16, v7
	;;#ASMSTART
	v_cvt_f32_f16 v1, v1;
	;;#ASMEND
	v_lshrrev_b32_e32 v5, 16, v3
	v_and_b32_e32 v3, 0xffff, v3
	;;#ASMSTART
	v_cvt_f32_f16 v2, v2;
	;;#ASMEND
	;;#ASMSTART
	v_cvt_f32_f16 v3, v3;
	;;#ASMEND
	v_fmac_f32_e32 v91, v1, v3
	v_and_b32_e32 v1, 0xffff, v8
	;;#ASMSTART
	v_cvt_f32_f16 v5, v5;
	;;#ASMEND
	v_fmac_f32_e32 v95, v2, v5
	v_lshrrev_b32_e32 v2, 16, v8
	;;#ASMSTART
	v_cvt_f32_f16 v1, v1;
	;;#ASMEND
	v_and_b32_e32 v3, 0xffff, v4
	;;#ASMSTART
	v_cvt_f32_f16 v2, v2;
	;;#ASMEND
	;;#ASMSTART
	v_cvt_f32_f16 v3, v3;
	;;#ASMEND
	v_fmac_f32_e32 v92, v1, v3
	v_add_f32_e32 v1, v89, v93
	v_lshrrev_b32_e32 v5, 16, v4
	;;#ASMSTART
	v_cvt_f32_f16 v4, v5;
	;;#ASMEND
	v_fmac_f32_e32 v96, v2, v4
	v_add_f32_e32 v1, v1, v90
	v_add_f32_e32 v1, v94, v1
	;; [unrolled: 1-line block ×6, first 2 shown]
	v_fmac_f32_e32 v111, s3, v1
	v_cndmask_b32_e64 v1, 0, v111, s1
	ds_write_b32 v107, v1
	v_max_f32_e32 v1, v104, v104
	v_add_nc_u32_e32 v107, 0x200, v107
	v_max_f32_e32 v1, v1, v111
	v_cndmask_b32_e64 v104, v104, v1, s1
	v_add_co_u32 v98, s1, v98, 16
	v_add_co_ci_u32_e64 v99, null, 0, v99, s1
	v_cmp_le_i32_e64 s1, s11, v110
	s_or_b32 s5, s1, s5
	s_andn2_b32 exec_lo, exec_lo, s5
	s_cbranch_execnz .LBB124_7
; %bb.8:
	s_or_b32 exec_lo, exec_lo, s5
	v_lshlrev_b32_e32 v36, 4, v0
	v_lshlrev_b32_e32 v13, 2, v101
.LBB124_9:
	s_or_b32 exec_lo, exec_lo, s33
	v_mbcnt_lo_u32_b32 v1, -1, 0
	v_max_f32_e32 v5, v104, v104
	v_xor_b32_e32 v2, 16, v1
	v_xor_b32_e32 v4, 8, v1
	v_cmp_gt_i32_e32 vcc_lo, 32, v2
	v_cndmask_b32_e32 v2, v1, v2, vcc_lo
	v_cmp_gt_i32_e32 vcc_lo, 32, v4
	v_lshlrev_b32_e32 v2, 2, v2
	v_cndmask_b32_e32 v4, v1, v4, vcc_lo
	ds_bpermute_b32 v3, v2, v104
	s_waitcnt lgkmcnt(0)
	v_max_f32_e32 v6, v3, v3
	v_lshlrev_b32_e32 v3, 2, v4
	v_max_f32_e32 v4, v5, v6
	v_xor_b32_e32 v6, 4, v1
	ds_bpermute_b32 v5, v3, v4
	v_cmp_gt_i32_e32 vcc_lo, 32, v6
	v_cndmask_b32_e32 v6, v1, v6, vcc_lo
	s_waitcnt lgkmcnt(0)
	v_max_f32_e32 v7, v5, v5
	v_lshlrev_b32_e32 v5, 2, v6
	v_max_f32_e32 v4, v4, v7
	v_xor_b32_e32 v7, 2, v1
	ds_bpermute_b32 v6, v5, v4
	v_cmp_gt_i32_e32 vcc_lo, 32, v7
	v_cndmask_b32_e32 v7, v1, v7, vcc_lo
	v_lshlrev_b32_e32 v10, 2, v7
	v_xor_b32_e32 v7, 1, v1
	v_cmp_gt_i32_e32 vcc_lo, 32, v7
	s_waitcnt lgkmcnt(0)
	v_max_f32_e32 v6, v6, v6
	v_cndmask_b32_e32 v7, v1, v7, vcc_lo
	v_cmp_eq_u32_e32 vcc_lo, 0, v101
	v_max_f32_e32 v4, v4, v6
	v_lshlrev_b32_e32 v9, 2, v7
	ds_bpermute_b32 v6, v10, v4
	s_waitcnt lgkmcnt(0)
	v_max_f32_e32 v6, v6, v6
	v_max_f32_e32 v1, v4, v6
	v_lshlrev_b32_e32 v6, 2, v100
	ds_bpermute_b32 v4, v9, v1
	s_and_saveexec_b32 s1, vcc_lo
	s_cbranch_execz .LBB124_11
; %bb.10:
	s_waitcnt lgkmcnt(0)
	v_max_f32_e32 v4, v4, v4
	v_max_f32_e32 v1, v1, v1
	;; [unrolled: 1-line block ×3, first 2 shown]
	ds_write_b32 v6, v1 offset:384
.LBB124_11:
	s_or_b32 exec_lo, exec_lo, s1
	v_cmp_gt_u32_e64 s1, 4, v101
	v_mov_b32_e32 v1, 0xff7fffff
	s_waitcnt lgkmcnt(0)
	s_barrier
	buffer_gl0_inv
	s_and_saveexec_b32 s3, s1
; %bb.12:
	ds_read_b32 v1, v13 offset:384
; %bb.13:
	s_or_b32 exec_lo, exec_lo, s3
	s_waitcnt lgkmcnt(0)
	ds_bpermute_b32 v4, v10, v1
	v_max_f32_e32 v1, v1, v1
	v_mov_b32_e32 v7, 0
	s_sub_i32 s2, s11, s2
	s_lshl_b32 s2, s2, 5
	s_add_i32 s2, s2, s30
	s_min_i32 s2, s2, s23
	s_sub_i32 s4, s2, s30
	v_cmp_gt_i32_e64 s2, s4, v0
	s_waitcnt lgkmcnt(0)
	v_max_f32_e32 v4, v4, v4
	v_max_f32_e32 v1, v1, v4
	ds_bpermute_b32 v4, v9, v1
	s_waitcnt lgkmcnt(0)
	v_max_f32_e32 v4, v4, v4
	v_max_f32_e32 v1, v1, v4
	v_lshl_add_u32 v4, v0, 2, 0x1a0
	ds_bpermute_b32 v1, v7, v1
	s_and_saveexec_b32 s5, s2
	s_cbranch_execz .LBB124_17
; %bb.14:
	v_lshl_add_u32 v8, v0, 2, 0x1a0
	v_mov_b32_e32 v7, 0
	v_mov_b32_e32 v11, v0
	s_mov_b32 s15, 0
	.p2align	6
.LBB124_15:                             ; =>This Inner Loop Header: Depth=1
	ds_read_b32 v12, v8
	v_add_nc_u32_e32 v11, 0x80, v11
	v_cmp_le_i32_e64 s3, s4, v11
	s_or_b32 s15, s3, s15
	s_waitcnt lgkmcnt(0)
	v_sub_f32_e32 v12, v12, v1
	v_mul_f32_e32 v12, 0x3fb8aa3b, v12
	v_exp_f32_e32 v12, v12
	ds_write_b32 v8, v12
	v_add_f32_e32 v7, v7, v12
	v_add_nc_u32_e32 v8, 0x200, v8
	s_andn2_b32 exec_lo, exec_lo, s15
	s_cbranch_execnz .LBB124_15
; %bb.16:
	s_or_b32 exec_lo, exec_lo, s15
.LBB124_17:
	s_or_b32 exec_lo, exec_lo, s5
	ds_bpermute_b32 v2, v2, v7
	s_waitcnt lgkmcnt(0)
	v_add_f32_e32 v2, v7, v2
	ds_bpermute_b32 v3, v3, v2
	s_waitcnt lgkmcnt(0)
	v_add_f32_e32 v2, v2, v3
	;; [unrolled: 3-line block ×5, first 2 shown]
	s_and_saveexec_b32 s3, vcc_lo
; %bb.18:
	ds_write_b32 v6, v2 offset:400
; %bb.19:
	s_or_b32 exec_lo, exec_lo, s3
	s_waitcnt lgkmcnt(0)
	s_barrier
	buffer_gl0_inv
	s_and_saveexec_b32 s3, s1
; %bb.20:
	ds_read_b32 v2, v13 offset:400
; %bb.21:
	s_or_b32 exec_lo, exec_lo, s3
	s_waitcnt lgkmcnt(0)
	ds_bpermute_b32 v3, v10, v2
	s_waitcnt lgkmcnt(0)
	v_add_f32_e32 v2, v2, v3
	ds_bpermute_b32 v3, v9, v2
	s_waitcnt lgkmcnt(0)
	v_add_f32_e32 v2, v2, v3
	v_mov_b32_e32 v3, 0
	ds_bpermute_b32 v2, v3, v2
	s_and_saveexec_b32 s1, s2
	s_cbranch_execz .LBB124_24
; %bb.22:
	s_waitcnt lgkmcnt(0)
	v_add_f32_e32 v3, 0x358637bd, v2
	s_mov_b32 s2, 0
	v_div_scale_f32 v5, null, v3, v3, 1.0
	v_div_scale_f32 v8, vcc_lo, 1.0, v3, 1.0
	v_rcp_f32_e32 v6, v5
	v_fma_f32 v7, -v5, v6, 1.0
	v_fmac_f32_e32 v6, v7, v6
	v_mul_f32_e32 v7, v8, v6
	v_fma_f32 v11, -v5, v7, v8
	v_fmac_f32_e32 v7, v11, v6
	v_fma_f32 v5, -v5, v7, v8
	v_div_fmas_f32 v5, v5, v6, v7
	v_div_fixup_f32 v3, v5, v3, 1.0
	v_mov_b32_e32 v5, v0
.LBB124_23:                             ; =>This Inner Loop Header: Depth=1
	ds_read_b32 v6, v4
	v_add_nc_u32_e32 v5, 0x80, v5
	v_cmp_le_i32_e32 vcc_lo, s4, v5
	s_or_b32 s2, vcc_lo, s2
	s_waitcnt lgkmcnt(0)
	v_mul_f32_e32 v6, v3, v6
	ds_write_b32 v4, v6
	v_add_nc_u32_e32 v4, 0x200, v4
	s_andn2_b32 exec_lo, exec_lo, s2
	s_cbranch_execnz .LBB124_23
.LBB124_24:
	s_or_b32 exec_lo, exec_lo, s1
	s_mul_i32 s1, s7, s22
	s_waitcnt lgkmcnt(0)
	s_mul_i32 s2, s1, s9
	s_mov_b32 s1, exec_lo
	s_barrier
	buffer_gl0_inv
	v_cmpx_eq_u32_e32 0, v0
	s_cbranch_execz .LBB124_26
; %bb.25:
	s_ashr_i32 s3, s2, 31
	s_mul_i32 s34, s7, s6
	s_lshl_b64 s[4:5], s[2:3], 2
	v_mov_b32_e32 v3, 0
	s_add_u32 s3, s18, s4
	s_addc_u32 s6, s19, s5
	s_ashr_i32 s35, s34, 31
	s_lshl_b64 s[18:19], s[34:35], 2
	s_add_u32 s3, s3, s18
	s_addc_u32 s6, s6, s19
	s_ashr_i32 s9, s8, 31
	s_lshl_b64 s[34:35], s[8:9], 2
	s_add_u32 s36, s3, s34
	s_addc_u32 s37, s6, s35
	s_add_u32 s3, s16, s4
	s_addc_u32 s4, s17, s5
	s_add_u32 s3, s3, s18
	s_addc_u32 s5, s4, s19
	s_add_u32 s4, s3, s34
	s_addc_u32 s5, s5, s35
	global_store_dword v3, v1, s[36:37]
	global_store_dword v3, v2, s[4:5]
.LBB124_26:
	s_or_b32 exec_lo, exec_lo, s1
	v_mov_b32_e32 v33, 0
	v_mov_b32_e32 v34, 0
	;; [unrolled: 1-line block ×24, first 2 shown]
	s_and_saveexec_b32 s3, s0
	s_cbranch_execz .LBB124_78
; %bb.27:
	v_lshlrev_b32_e32 v1, 3, v0
	s_lshl_b64 s[0:1], s[28:29], 2
	v_mov_b32_e32 v11, 0
	s_add_u32 s4, s24, s0
	s_addc_u32 s5, s25, s1
	s_lshl_b32 s0, s30, 2
	s_ashr_i32 s15, s14, 31
	v_and_b32_e32 v35, 24, v1
	v_and_b32_e32 v1, 0x1f0, v36
	s_sub_i32 s6, 0x1a0, s0
	s_lshl_b64 s[0:1], s[14:15], 1
	v_mov_b32_e32 v36, 0
	s_add_u32 s0, s26, s0
	s_addc_u32 s1, s27, s1
	v_add_co_u32 v37, s0, s0, v1
	v_add_co_ci_u32_e64 v38, null, s1, 0, s0
	v_mov_b32_e32 v12, 0
	v_mov_b32_e32 v13, 0
	;; [unrolled: 1-line block ×23, first 2 shown]
	s_mov_b32 s9, s13
	s_add_i32 s13, s12, -1
	s_mov_b32 s12, 0
	s_branch .LBB124_29
.LBB124_28:                             ;   in Loop: Header=BB124_29 Depth=1
	s_or_b32 exec_lo, exec_lo, s1
	v_add_f32_e32 v7, v7, v8
	v_add_f32_e32 v8, v87, v88
	;; [unrolled: 1-line block ×19, first 2 shown]
	v_lshlrev_b32_e32 v8, 16, v93
	v_add_f32_e32 v39, v75, v76
	v_lshlrev_b32_e32 v6, 16, v6
	v_lshlrev_b32_e32 v5, 16, v5
	v_add_f32_e32 v18, v18, v46
	v_and_or_b32 v1, 0xffff, v1, v8
	v_add_f32_e32 v19, v19, v47
	v_add_f32_e32 v46, v73, v74
	;; [unrolled: 1-line block ×7, first 2 shown]
	v_and_or_b32 v2, 0xffff, v2, v6
	v_and_or_b32 v3, 0xffff, v3, v5
	;;#ASMSTART
	v_pk_mul_f16 v1, v41, v1;

	;;#ASMEND
	;;#ASMSTART
	v_pk_mul_f16 v2, v40, v2;

	;;#ASMEND
	;; [unrolled: 4-line block ×4, first 2 shown]
	;;#ASMSTART
	v_pk_add_f16 v1, v1, v2;

	;;#ASMEND
	;;#ASMSTART
	v_pk_add_f16 v1, v1, v3;

	;;#ASMEND
	;; [unrolled: 4-line block ×3, first 2 shown]
	v_and_b32_e32 v3, 0xffff, v1
	v_add_nc_u32_e32 v97, 4, v97
	v_lshrrev_b32_e32 v4, 16, v1
	;;#ASMSTART
	v_cvt_f32_f16 v3, v3;
	;;#ASMEND
	v_add_f32_e32 v23, v23, v46
	v_add_f32_e32 v24, v24, v47
	v_add_f32_e32 v46, v63, v64
	v_add_f32_e32 v47, v61, v62
	v_add_f32_e32 v25, v25, v7
	v_add_f32_e32 v27, v27, v39
	v_add_f32_e32 v7, v59, v60
	v_add_f32_e32 v39, v57, v58
	v_add_f32_e32 v5, v55, v56
	v_add_f32_e32 v1, v53, v54
	v_add_f32_e32 v2, v44, v45
	;;#ASMSTART
	v_cvt_f32_f16 v4, v4;
	;;#ASMEND
	v_add_f32_e32 v3, v3, v4
	v_cmp_le_i32_e32 vcc_lo, s11, v97
	v_add_f32_e32 v28, v28, v46
	v_add_f32_e32 v29, v29, v47
	;; [unrolled: 1-line block ×8, first 2 shown]
	s_or_b32 s12, vcc_lo, s12
	s_andn2_b32 exec_lo, exec_lo, s12
	s_cbranch_execz .LBB124_77
.LBB124_29:                             ; =>This Inner Loop Header: Depth=1
	v_ashrrev_i32_e32 v98, 31, v97
	v_lshl_or_b32 v39, v97, 5, v35
	v_cmp_eq_u32_e64 s0, s13, v97
	v_lshlrev_b64 v[1:2], 2, v[97:98]
	v_lshl_add_u32 v6, v39, 2, s6
	v_or_b32_e32 v52, 1, v39
	v_or_b32_e32 v50, 2, v39
	;; [unrolled: 1-line block ×4, first 2 shown]
	v_add_co_u32 v1, vcc_lo, s4, v1
	v_add_co_ci_u32_e64 v2, null, s5, v2, vcc_lo
	global_load_dword v5, v[1:2], off
	ds_read2_b64 v[1:4], v6 offset1:1
	ds_read2_b64 v[45:48], v6 offset0:2 offset1:3
	s_waitcnt lgkmcnt(1)
	;;#ASMSTART
	v_cvt_f16_f32 v41, v1;

	;;#ASMEND
	;;#ASMSTART
	v_cvt_f16_f32 v40, v2;

	;;#ASMEND
	;; [unrolled: 4-line block ×4, first 2 shown]
	s_waitcnt lgkmcnt(0)
	;;#ASMSTART
	v_cvt_f16_f32 v45, v45;

	;;#ASMEND
	;;#ASMSTART
	v_cvt_f16_f32 v8, v46;

	;;#ASMEND
	;; [unrolled: 4-line block ×4, first 2 shown]
	v_or_b32_e32 v47, 4, v39
	v_or_b32_e32 v46, 5, v39
	;; [unrolled: 1-line block ×3, first 2 shown]
	s_waitcnt vmcnt(0)
	v_mad_i64_i32 v[5:6], null, v5, s9, 0
	v_lshlrev_b64 v[5:6], 1, v[5:6]
	v_add_co_u32 v5, vcc_lo, v37, v5
	v_add_co_ci_u32_e64 v6, null, v38, v6, vcc_lo
	global_load_dwordx4 v[1:4], v[5:6], off
	s_waitcnt vmcnt(0)
	v_lshrrev_b32_e32 v55, 16, v1
	v_lshrrev_b32_e32 v54, 16, v2
	v_lshrrev_b32_e32 v53, 16, v3
	s_and_saveexec_b32 s14, s0
	s_cbranch_execz .LBB124_31
; %bb.30:                               ;   in Loop: Header=BB124_29 Depth=1
	v_cmp_gt_i32_e32 vcc_lo, s23, v39
	v_and_b32_e32 v56, 0xffff0000, v4
	v_cmp_gt_i32_e64 s1, s23, v50
	v_cndmask_b32_e32 v1, 0, v1, vcc_lo
	v_cmp_gt_i32_e32 vcc_lo, s23, v52
	v_cndmask_b32_e64 v2, 0, v2, s1
	v_cmp_gt_i32_e64 s1, s23, v49
	v_cndmask_b32_e32 v55, 0, v55, vcc_lo
	v_cmp_gt_i32_e32 vcc_lo, s23, v51
	v_cndmask_b32_e64 v54, 0, v54, s1
	v_cndmask_b32_sdwa v4, v36, v4, vcc_lo dst_sel:DWORD dst_unused:UNUSED_PAD src0_sel:DWORD src1_sel:WORD_0
	v_cmp_gt_i32_e32 vcc_lo, s23, v48
	v_cndmask_b32_e32 v56, 0, v56, vcc_lo
	v_cmp_gt_i32_e32 vcc_lo, s23, v47
	v_or_b32_e32 v4, v4, v56
	v_cndmask_b32_e32 v3, 0, v3, vcc_lo
	v_cmp_gt_i32_e32 vcc_lo, s23, v46
	v_cndmask_b32_e32 v53, 0, v53, vcc_lo
.LBB124_31:                             ;   in Loop: Header=BB124_29 Depth=1
	s_or_b32 exec_lo, exec_lo, s14
	v_and_b32_e32 v41, 0xffff, v41
	v_and_b32_e32 v44, 0xffff, v44
	v_lshlrev_b32_e32 v55, 16, v55
	v_lshlrev_b32_e32 v53, 16, v53
	v_and_b32_e32 v45, 0xffff, v45
	v_lshl_or_b32 v41, v40, 16, v41
	v_lshl_or_b32 v40, v42, 16, v44
	v_lshlrev_b32_e32 v44, 16, v54
	v_and_b32_e32 v43, 0xffff, v43
	v_and_or_b32 v1, 0xffff, v1, v55
	v_and_or_b32 v3, 0xffff, v3, v53
	;;#ASMSTART
	v_pk_mul_f16 v1, v41, v1;

	;;#ASMEND
	v_and_or_b32 v2, 0xffff, v2, v44
	v_lshl_or_b32 v42, v8, 16, v45
	v_lshl_or_b32 v43, v7, 16, v43
	;;#ASMSTART
	v_pk_mul_f16 v2, v40, v2;

	;;#ASMEND
	;;#ASMSTART
	v_pk_mul_f16 v3, v42, v3;

	;;#ASMEND
	;; [unrolled: 4-line block ×3, first 2 shown]
	;;#ASMSTART
	v_pk_add_f16 v1, v1, v2;

	;;#ASMEND
	;;#ASMSTART
	v_pk_add_f16 v1, v1, v3;

	;;#ASMEND
	;;#ASMSTART
	v_pk_add_f16 v1, v1, v4;

	;;#ASMEND
	v_and_b32_e32 v2, 0xffff, v1
	v_lshrrev_b32_e32 v1, 16, v1
	;;#ASMSTART
	v_cvt_f32_f16 v44, v2;
	;;#ASMEND
	;;#ASMSTART
	v_cvt_f32_f16 v45, v1;
	;;#ASMEND
	global_load_dwordx4 v[1:4], v[5:6], off offset:512
	s_waitcnt vmcnt(0)
	v_lshrrev_b32_e32 v53, 16, v1
	v_lshrrev_b32_e32 v8, 16, v2
	;; [unrolled: 1-line block ×3, first 2 shown]
	s_and_saveexec_b32 s14, s0
	s_cbranch_execz .LBB124_33
; %bb.32:                               ;   in Loop: Header=BB124_29 Depth=1
	v_cmp_gt_i32_e32 vcc_lo, s23, v39
	v_and_b32_e32 v54, 0xffff0000, v4
	v_cmp_gt_i32_e64 s1, s23, v50
	v_cndmask_b32_e32 v1, 0, v1, vcc_lo
	v_cmp_gt_i32_e32 vcc_lo, s23, v52
	v_cndmask_b32_e64 v2, 0, v2, s1
	v_cmp_gt_i32_e64 s1, s23, v49
	v_cndmask_b32_e32 v53, 0, v53, vcc_lo
	v_cmp_gt_i32_e32 vcc_lo, s23, v51
	v_cndmask_b32_e64 v8, 0, v8, s1
	v_cndmask_b32_sdwa v4, v36, v4, vcc_lo dst_sel:DWORD dst_unused:UNUSED_PAD src0_sel:DWORD src1_sel:WORD_0
	v_cmp_gt_i32_e32 vcc_lo, s23, v48
	v_cndmask_b32_e32 v54, 0, v54, vcc_lo
	v_cmp_gt_i32_e32 vcc_lo, s23, v47
	v_or_b32_e32 v4, v4, v54
	v_cndmask_b32_e32 v3, 0, v3, vcc_lo
	v_cmp_gt_i32_e32 vcc_lo, s23, v46
	v_cndmask_b32_e32 v7, 0, v7, vcc_lo
.LBB124_33:                             ;   in Loop: Header=BB124_29 Depth=1
	s_or_b32 exec_lo, exec_lo, s14
	v_lshlrev_b32_e32 v53, 16, v53
	v_lshlrev_b32_e32 v8, 16, v8
	;; [unrolled: 1-line block ×3, first 2 shown]
	v_and_or_b32 v1, 0xffff, v1, v53
	v_and_or_b32 v2, 0xffff, v2, v8
	;; [unrolled: 1-line block ×3, first 2 shown]
	;;#ASMSTART
	v_pk_mul_f16 v1, v41, v1;

	;;#ASMEND
	;;#ASMSTART
	v_pk_mul_f16 v2, v40, v2;

	;;#ASMEND
	;; [unrolled: 4-line block ×4, first 2 shown]
	;;#ASMSTART
	v_pk_add_f16 v1, v1, v2;

	;;#ASMEND
	;;#ASMSTART
	v_pk_add_f16 v1, v1, v3;

	;;#ASMEND
	;; [unrolled: 4-line block ×3, first 2 shown]
	v_and_b32_e32 v2, 0xffff, v1
	v_lshrrev_b32_e32 v1, 16, v1
	;;#ASMSTART
	v_cvt_f32_f16 v53, v2;
	;;#ASMEND
	;;#ASMSTART
	v_cvt_f32_f16 v54, v1;
	;;#ASMEND
	global_load_dwordx4 v[1:4], v[5:6], off offset:1024
	s_waitcnt vmcnt(0)
	v_lshrrev_b32_e32 v55, 16, v1
	v_lshrrev_b32_e32 v8, 16, v2
	;; [unrolled: 1-line block ×3, first 2 shown]
	s_and_saveexec_b32 s14, s0
	s_cbranch_execz .LBB124_35
; %bb.34:                               ;   in Loop: Header=BB124_29 Depth=1
	v_cmp_gt_i32_e32 vcc_lo, s23, v39
	v_and_b32_e32 v56, 0xffff0000, v4
	v_cmp_gt_i32_e64 s1, s23, v50
	v_cndmask_b32_e32 v1, 0, v1, vcc_lo
	v_cmp_gt_i32_e32 vcc_lo, s23, v52
	v_cndmask_b32_e64 v2, 0, v2, s1
	v_cmp_gt_i32_e64 s1, s23, v49
	v_cndmask_b32_e32 v55, 0, v55, vcc_lo
	v_cmp_gt_i32_e32 vcc_lo, s23, v51
	v_cndmask_b32_e64 v8, 0, v8, s1
	v_cndmask_b32_sdwa v4, v36, v4, vcc_lo dst_sel:DWORD dst_unused:UNUSED_PAD src0_sel:DWORD src1_sel:WORD_0
	v_cmp_gt_i32_e32 vcc_lo, s23, v48
	v_cndmask_b32_e32 v56, 0, v56, vcc_lo
	v_cmp_gt_i32_e32 vcc_lo, s23, v47
	v_or_b32_e32 v4, v4, v56
	v_cndmask_b32_e32 v3, 0, v3, vcc_lo
	v_cmp_gt_i32_e32 vcc_lo, s23, v46
	v_cndmask_b32_e32 v7, 0, v7, vcc_lo
.LBB124_35:                             ;   in Loop: Header=BB124_29 Depth=1
	s_or_b32 exec_lo, exec_lo, s14
	v_lshlrev_b32_e32 v55, 16, v55
	v_lshlrev_b32_e32 v8, 16, v8
	;; [unrolled: 1-line block ×3, first 2 shown]
	v_and_or_b32 v1, 0xffff, v1, v55
	v_and_or_b32 v2, 0xffff, v2, v8
	;; [unrolled: 1-line block ×3, first 2 shown]
	;;#ASMSTART
	v_pk_mul_f16 v1, v41, v1;

	;;#ASMEND
	;;#ASMSTART
	v_pk_mul_f16 v2, v40, v2;

	;;#ASMEND
	;; [unrolled: 4-line block ×4, first 2 shown]
	;;#ASMSTART
	v_pk_add_f16 v1, v1, v2;

	;;#ASMEND
	;;#ASMSTART
	v_pk_add_f16 v1, v1, v3;

	;;#ASMEND
	;; [unrolled: 4-line block ×3, first 2 shown]
	v_and_b32_e32 v2, 0xffff, v1
	v_lshrrev_b32_e32 v1, 16, v1
	;;#ASMSTART
	v_cvt_f32_f16 v55, v2;
	;;#ASMEND
	;;#ASMSTART
	v_cvt_f32_f16 v56, v1;
	;;#ASMEND
	global_load_dwordx4 v[1:4], v[5:6], off offset:1536
	s_waitcnt vmcnt(0)
	v_lshrrev_b32_e32 v57, 16, v1
	v_lshrrev_b32_e32 v8, 16, v2
	;; [unrolled: 1-line block ×3, first 2 shown]
	s_and_saveexec_b32 s14, s0
	s_cbranch_execz .LBB124_37
; %bb.36:                               ;   in Loop: Header=BB124_29 Depth=1
	v_cmp_gt_i32_e32 vcc_lo, s23, v39
	v_and_b32_e32 v58, 0xffff0000, v4
	v_cmp_gt_i32_e64 s1, s23, v50
	v_cndmask_b32_e32 v1, 0, v1, vcc_lo
	v_cmp_gt_i32_e32 vcc_lo, s23, v52
	v_cndmask_b32_e64 v2, 0, v2, s1
	v_cmp_gt_i32_e64 s1, s23, v49
	v_cndmask_b32_e32 v57, 0, v57, vcc_lo
	v_cmp_gt_i32_e32 vcc_lo, s23, v51
	v_cndmask_b32_e64 v8, 0, v8, s1
	v_cndmask_b32_sdwa v4, v36, v4, vcc_lo dst_sel:DWORD dst_unused:UNUSED_PAD src0_sel:DWORD src1_sel:WORD_0
	v_cmp_gt_i32_e32 vcc_lo, s23, v48
	v_cndmask_b32_e32 v58, 0, v58, vcc_lo
	v_cmp_gt_i32_e32 vcc_lo, s23, v47
	v_or_b32_e32 v4, v4, v58
	v_cndmask_b32_e32 v3, 0, v3, vcc_lo
	v_cmp_gt_i32_e32 vcc_lo, s23, v46
	v_cndmask_b32_e32 v7, 0, v7, vcc_lo
.LBB124_37:                             ;   in Loop: Header=BB124_29 Depth=1
	s_or_b32 exec_lo, exec_lo, s14
	v_lshlrev_b32_e32 v7, 16, v7
	v_lshlrev_b32_e32 v57, 16, v57
	;; [unrolled: 1-line block ×3, first 2 shown]
	v_and_or_b32 v3, 0xffff, v3, v7
	v_add_co_u32 v7, vcc_lo, 0x800, v5
	v_and_or_b32 v1, 0xffff, v1, v57
	v_and_or_b32 v2, 0xffff, v2, v8
	;;#ASMSTART
	v_pk_mul_f16 v1, v41, v1;

	;;#ASMEND
	v_add_co_ci_u32_e64 v8, null, 0, v6, vcc_lo
	;;#ASMSTART
	v_pk_mul_f16 v2, v40, v2;

	;;#ASMEND
	;;#ASMSTART
	v_pk_mul_f16 v3, v42, v3;

	;;#ASMEND
	;; [unrolled: 4-line block ×3, first 2 shown]
	;;#ASMSTART
	v_pk_add_f16 v1, v1, v2;

	;;#ASMEND
	;;#ASMSTART
	v_pk_add_f16 v1, v1, v3;

	;;#ASMEND
	;; [unrolled: 4-line block ×3, first 2 shown]
	v_lshrrev_b32_e32 v2, 16, v1
	v_and_b32_e32 v1, 0xffff, v1
	;;#ASMSTART
	v_cvt_f32_f16 v57, v1;
	;;#ASMEND
	;;#ASMSTART
	v_cvt_f32_f16 v58, v2;
	;;#ASMEND
	global_load_dwordx4 v[1:4], v[7:8], off
	s_waitcnt vmcnt(0)
	v_lshrrev_b32_e32 v61, 16, v1
	v_lshrrev_b32_e32 v60, 16, v2
	;; [unrolled: 1-line block ×3, first 2 shown]
	s_and_saveexec_b32 s14, s0
	s_cbranch_execz .LBB124_39
; %bb.38:                               ;   in Loop: Header=BB124_29 Depth=1
	v_cmp_gt_i32_e32 vcc_lo, s23, v39
	v_and_b32_e32 v62, 0xffff0000, v4
	v_cmp_gt_i32_e64 s1, s23, v50
	v_cndmask_b32_e32 v1, 0, v1, vcc_lo
	v_cmp_gt_i32_e32 vcc_lo, s23, v52
	v_cndmask_b32_e64 v2, 0, v2, s1
	v_cmp_gt_i32_e64 s1, s23, v49
	v_cndmask_b32_e32 v61, 0, v61, vcc_lo
	v_cmp_gt_i32_e32 vcc_lo, s23, v51
	v_cndmask_b32_e64 v60, 0, v60, s1
	v_cndmask_b32_sdwa v4, v36, v4, vcc_lo dst_sel:DWORD dst_unused:UNUSED_PAD src0_sel:DWORD src1_sel:WORD_0
	v_cmp_gt_i32_e32 vcc_lo, s23, v48
	v_cndmask_b32_e32 v62, 0, v62, vcc_lo
	v_cmp_gt_i32_e32 vcc_lo, s23, v47
	v_or_b32_e32 v4, v4, v62
	v_cndmask_b32_e32 v3, 0, v3, vcc_lo
	v_cmp_gt_i32_e32 vcc_lo, s23, v46
	v_cndmask_b32_e32 v59, 0, v59, vcc_lo
.LBB124_39:                             ;   in Loop: Header=BB124_29 Depth=1
	s_or_b32 exec_lo, exec_lo, s14
	v_lshlrev_b32_e32 v61, 16, v61
	v_lshlrev_b32_e32 v60, 16, v60
	;; [unrolled: 1-line block ×3, first 2 shown]
	v_and_or_b32 v1, 0xffff, v1, v61
	v_and_or_b32 v2, 0xffff, v2, v60
	;; [unrolled: 1-line block ×3, first 2 shown]
	;;#ASMSTART
	v_pk_mul_f16 v1, v41, v1;

	;;#ASMEND
	;;#ASMSTART
	v_pk_mul_f16 v2, v40, v2;

	;;#ASMEND
	;; [unrolled: 4-line block ×4, first 2 shown]
	;;#ASMSTART
	v_pk_add_f16 v1, v1, v2;

	;;#ASMEND
	;;#ASMSTART
	v_pk_add_f16 v1, v1, v3;

	;;#ASMEND
	;; [unrolled: 4-line block ×3, first 2 shown]
	v_and_b32_e32 v2, 0xffff, v1
	v_lshrrev_b32_e32 v1, 16, v1
	;;#ASMSTART
	v_cvt_f32_f16 v59, v2;
	;;#ASMEND
	;;#ASMSTART
	v_cvt_f32_f16 v60, v1;
	;;#ASMEND
	global_load_dwordx4 v[1:4], v[7:8], off offset:512
	s_waitcnt vmcnt(0)
	v_lshrrev_b32_e32 v63, 16, v1
	v_lshrrev_b32_e32 v62, 16, v2
	v_lshrrev_b32_e32 v61, 16, v3
	s_and_saveexec_b32 s14, s0
	s_cbranch_execz .LBB124_41
; %bb.40:                               ;   in Loop: Header=BB124_29 Depth=1
	v_cmp_gt_i32_e32 vcc_lo, s23, v39
	v_and_b32_e32 v64, 0xffff0000, v4
	v_cmp_gt_i32_e64 s1, s23, v50
	v_cndmask_b32_e32 v1, 0, v1, vcc_lo
	v_cmp_gt_i32_e32 vcc_lo, s23, v52
	v_cndmask_b32_e64 v2, 0, v2, s1
	v_cmp_gt_i32_e64 s1, s23, v49
	v_cndmask_b32_e32 v63, 0, v63, vcc_lo
	v_cmp_gt_i32_e32 vcc_lo, s23, v51
	v_cndmask_b32_e64 v62, 0, v62, s1
	v_cndmask_b32_sdwa v4, v36, v4, vcc_lo dst_sel:DWORD dst_unused:UNUSED_PAD src0_sel:DWORD src1_sel:WORD_0
	v_cmp_gt_i32_e32 vcc_lo, s23, v48
	v_cndmask_b32_e32 v64, 0, v64, vcc_lo
	v_cmp_gt_i32_e32 vcc_lo, s23, v47
	v_or_b32_e32 v4, v4, v64
	v_cndmask_b32_e32 v3, 0, v3, vcc_lo
	v_cmp_gt_i32_e32 vcc_lo, s23, v46
	v_cndmask_b32_e32 v61, 0, v61, vcc_lo
.LBB124_41:                             ;   in Loop: Header=BB124_29 Depth=1
	s_or_b32 exec_lo, exec_lo, s14
	v_lshlrev_b32_e32 v63, 16, v63
	v_lshlrev_b32_e32 v62, 16, v62
	;; [unrolled: 1-line block ×3, first 2 shown]
	v_and_or_b32 v1, 0xffff, v1, v63
	v_and_or_b32 v2, 0xffff, v2, v62
	;; [unrolled: 1-line block ×3, first 2 shown]
	;;#ASMSTART
	v_pk_mul_f16 v1, v41, v1;

	;;#ASMEND
	;;#ASMSTART
	v_pk_mul_f16 v2, v40, v2;

	;;#ASMEND
	;;#ASMSTART
	v_pk_mul_f16 v3, v42, v3;

	;;#ASMEND
	;;#ASMSTART
	v_pk_mul_f16 v4, v43, v4;

	;;#ASMEND
	;;#ASMSTART
	v_pk_add_f16 v1, v1, v2;

	;;#ASMEND
	;;#ASMSTART
	v_pk_add_f16 v1, v1, v3;

	;;#ASMEND
	;; [unrolled: 4-line block ×3, first 2 shown]
	v_and_b32_e32 v2, 0xffff, v1
	v_lshrrev_b32_e32 v1, 16, v1
	;;#ASMSTART
	v_cvt_f32_f16 v61, v2;
	;;#ASMEND
	;;#ASMSTART
	v_cvt_f32_f16 v62, v1;
	;;#ASMEND
	global_load_dwordx4 v[1:4], v[7:8], off offset:1024
	s_waitcnt vmcnt(0)
	v_lshrrev_b32_e32 v65, 16, v1
	v_lshrrev_b32_e32 v64, 16, v2
	;; [unrolled: 1-line block ×3, first 2 shown]
	s_and_saveexec_b32 s14, s0
	s_cbranch_execz .LBB124_43
; %bb.42:                               ;   in Loop: Header=BB124_29 Depth=1
	v_cmp_gt_i32_e32 vcc_lo, s23, v39
	v_and_b32_e32 v66, 0xffff0000, v4
	v_cmp_gt_i32_e64 s1, s23, v50
	v_cndmask_b32_e32 v1, 0, v1, vcc_lo
	v_cmp_gt_i32_e32 vcc_lo, s23, v52
	v_cndmask_b32_e64 v2, 0, v2, s1
	v_cmp_gt_i32_e64 s1, s23, v49
	v_cndmask_b32_e32 v65, 0, v65, vcc_lo
	v_cmp_gt_i32_e32 vcc_lo, s23, v51
	v_cndmask_b32_e64 v64, 0, v64, s1
	v_cndmask_b32_sdwa v4, v36, v4, vcc_lo dst_sel:DWORD dst_unused:UNUSED_PAD src0_sel:DWORD src1_sel:WORD_0
	v_cmp_gt_i32_e32 vcc_lo, s23, v48
	v_cndmask_b32_e32 v66, 0, v66, vcc_lo
	v_cmp_gt_i32_e32 vcc_lo, s23, v47
	v_or_b32_e32 v4, v4, v66
	v_cndmask_b32_e32 v3, 0, v3, vcc_lo
	v_cmp_gt_i32_e32 vcc_lo, s23, v46
	v_cndmask_b32_e32 v63, 0, v63, vcc_lo
.LBB124_43:                             ;   in Loop: Header=BB124_29 Depth=1
	s_or_b32 exec_lo, exec_lo, s14
	v_lshlrev_b32_e32 v65, 16, v65
	v_lshlrev_b32_e32 v64, 16, v64
	;; [unrolled: 1-line block ×3, first 2 shown]
	v_and_or_b32 v1, 0xffff, v1, v65
	v_and_or_b32 v2, 0xffff, v2, v64
	;; [unrolled: 1-line block ×3, first 2 shown]
	;;#ASMSTART
	v_pk_mul_f16 v1, v41, v1;

	;;#ASMEND
	;;#ASMSTART
	v_pk_mul_f16 v2, v40, v2;

	;;#ASMEND
	;; [unrolled: 4-line block ×4, first 2 shown]
	;;#ASMSTART
	v_pk_add_f16 v1, v1, v2;

	;;#ASMEND
	;;#ASMSTART
	v_pk_add_f16 v1, v1, v3;

	;;#ASMEND
	;; [unrolled: 4-line block ×3, first 2 shown]
	v_and_b32_e32 v2, 0xffff, v1
	v_lshrrev_b32_e32 v1, 16, v1
	;;#ASMSTART
	v_cvt_f32_f16 v63, v2;
	;;#ASMEND
	;;#ASMSTART
	v_cvt_f32_f16 v64, v1;
	;;#ASMEND
	global_load_dwordx4 v[1:4], v[7:8], off offset:1536
	s_waitcnt vmcnt(0)
	v_lshrrev_b32_e32 v65, 16, v1
	v_lshrrev_b32_e32 v8, 16, v2
	;; [unrolled: 1-line block ×3, first 2 shown]
	s_and_saveexec_b32 s14, s0
	s_cbranch_execz .LBB124_45
; %bb.44:                               ;   in Loop: Header=BB124_29 Depth=1
	v_cmp_gt_i32_e32 vcc_lo, s23, v39
	v_and_b32_e32 v66, 0xffff0000, v4
	v_cmp_gt_i32_e64 s1, s23, v50
	v_cndmask_b32_e32 v1, 0, v1, vcc_lo
	v_cmp_gt_i32_e32 vcc_lo, s23, v52
	v_cndmask_b32_e64 v2, 0, v2, s1
	v_cmp_gt_i32_e64 s1, s23, v49
	v_cndmask_b32_e32 v65, 0, v65, vcc_lo
	v_cmp_gt_i32_e32 vcc_lo, s23, v51
	v_cndmask_b32_e64 v8, 0, v8, s1
	v_cndmask_b32_sdwa v4, v36, v4, vcc_lo dst_sel:DWORD dst_unused:UNUSED_PAD src0_sel:DWORD src1_sel:WORD_0
	v_cmp_gt_i32_e32 vcc_lo, s23, v48
	v_cndmask_b32_e32 v66, 0, v66, vcc_lo
	v_cmp_gt_i32_e32 vcc_lo, s23, v47
	v_or_b32_e32 v4, v4, v66
	v_cndmask_b32_e32 v3, 0, v3, vcc_lo
	v_cmp_gt_i32_e32 vcc_lo, s23, v46
	v_cndmask_b32_e32 v7, 0, v7, vcc_lo
.LBB124_45:                             ;   in Loop: Header=BB124_29 Depth=1
	s_or_b32 exec_lo, exec_lo, s14
	v_lshlrev_b32_e32 v7, 16, v7
	v_lshlrev_b32_e32 v65, 16, v65
	;; [unrolled: 1-line block ×3, first 2 shown]
	v_and_or_b32 v3, 0xffff, v3, v7
	v_add_co_u32 v7, vcc_lo, 0x1000, v5
	v_and_or_b32 v1, 0xffff, v1, v65
	v_and_or_b32 v2, 0xffff, v2, v8
	;;#ASMSTART
	v_pk_mul_f16 v1, v41, v1;

	;;#ASMEND
	v_add_co_ci_u32_e64 v8, null, 0, v6, vcc_lo
	;;#ASMSTART
	v_pk_mul_f16 v2, v40, v2;

	;;#ASMEND
	;;#ASMSTART
	v_pk_mul_f16 v3, v42, v3;

	;;#ASMEND
	;; [unrolled: 4-line block ×3, first 2 shown]
	;;#ASMSTART
	v_pk_add_f16 v1, v1, v2;

	;;#ASMEND
	;;#ASMSTART
	v_pk_add_f16 v1, v1, v3;

	;;#ASMEND
	;; [unrolled: 4-line block ×3, first 2 shown]
	v_lshrrev_b32_e32 v2, 16, v1
	v_and_b32_e32 v1, 0xffff, v1
	;;#ASMSTART
	v_cvt_f32_f16 v65, v1;
	;;#ASMEND
	;;#ASMSTART
	v_cvt_f32_f16 v66, v2;
	;;#ASMEND
	global_load_dwordx4 v[1:4], v[7:8], off
	s_waitcnt vmcnt(0)
	v_lshrrev_b32_e32 v69, 16, v1
	v_lshrrev_b32_e32 v68, 16, v2
	;; [unrolled: 1-line block ×3, first 2 shown]
	s_and_saveexec_b32 s14, s0
	s_cbranch_execz .LBB124_47
; %bb.46:                               ;   in Loop: Header=BB124_29 Depth=1
	v_cmp_gt_i32_e32 vcc_lo, s23, v39
	v_and_b32_e32 v70, 0xffff0000, v4
	v_cmp_gt_i32_e64 s1, s23, v50
	v_cndmask_b32_e32 v1, 0, v1, vcc_lo
	v_cmp_gt_i32_e32 vcc_lo, s23, v52
	v_cndmask_b32_e64 v2, 0, v2, s1
	v_cmp_gt_i32_e64 s1, s23, v49
	v_cndmask_b32_e32 v69, 0, v69, vcc_lo
	v_cmp_gt_i32_e32 vcc_lo, s23, v51
	v_cndmask_b32_e64 v68, 0, v68, s1
	v_cndmask_b32_sdwa v4, v36, v4, vcc_lo dst_sel:DWORD dst_unused:UNUSED_PAD src0_sel:DWORD src1_sel:WORD_0
	v_cmp_gt_i32_e32 vcc_lo, s23, v48
	v_cndmask_b32_e32 v70, 0, v70, vcc_lo
	v_cmp_gt_i32_e32 vcc_lo, s23, v47
	v_or_b32_e32 v4, v4, v70
	v_cndmask_b32_e32 v3, 0, v3, vcc_lo
	v_cmp_gt_i32_e32 vcc_lo, s23, v46
	v_cndmask_b32_e32 v67, 0, v67, vcc_lo
.LBB124_47:                             ;   in Loop: Header=BB124_29 Depth=1
	s_or_b32 exec_lo, exec_lo, s14
	v_lshlrev_b32_e32 v69, 16, v69
	v_lshlrev_b32_e32 v68, 16, v68
	;; [unrolled: 1-line block ×3, first 2 shown]
	v_and_or_b32 v1, 0xffff, v1, v69
	v_and_or_b32 v2, 0xffff, v2, v68
	;; [unrolled: 1-line block ×3, first 2 shown]
	;;#ASMSTART
	v_pk_mul_f16 v1, v41, v1;

	;;#ASMEND
	;;#ASMSTART
	v_pk_mul_f16 v2, v40, v2;

	;;#ASMEND
	;; [unrolled: 4-line block ×4, first 2 shown]
	;;#ASMSTART
	v_pk_add_f16 v1, v1, v2;

	;;#ASMEND
	;;#ASMSTART
	v_pk_add_f16 v1, v1, v3;

	;;#ASMEND
	;; [unrolled: 4-line block ×3, first 2 shown]
	v_and_b32_e32 v2, 0xffff, v1
	v_lshrrev_b32_e32 v1, 16, v1
	;;#ASMSTART
	v_cvt_f32_f16 v67, v2;
	;;#ASMEND
	;;#ASMSTART
	v_cvt_f32_f16 v68, v1;
	;;#ASMEND
	global_load_dwordx4 v[1:4], v[7:8], off offset:512
	s_waitcnt vmcnt(0)
	v_lshrrev_b32_e32 v71, 16, v1
	v_lshrrev_b32_e32 v70, 16, v2
	;; [unrolled: 1-line block ×3, first 2 shown]
	s_and_saveexec_b32 s14, s0
	s_cbranch_execz .LBB124_49
; %bb.48:                               ;   in Loop: Header=BB124_29 Depth=1
	v_cmp_gt_i32_e32 vcc_lo, s23, v39
	v_and_b32_e32 v72, 0xffff0000, v4
	v_cmp_gt_i32_e64 s1, s23, v50
	v_cndmask_b32_e32 v1, 0, v1, vcc_lo
	v_cmp_gt_i32_e32 vcc_lo, s23, v52
	v_cndmask_b32_e64 v2, 0, v2, s1
	v_cmp_gt_i32_e64 s1, s23, v49
	v_cndmask_b32_e32 v71, 0, v71, vcc_lo
	v_cmp_gt_i32_e32 vcc_lo, s23, v51
	v_cndmask_b32_e64 v70, 0, v70, s1
	v_cndmask_b32_sdwa v4, v36, v4, vcc_lo dst_sel:DWORD dst_unused:UNUSED_PAD src0_sel:DWORD src1_sel:WORD_0
	v_cmp_gt_i32_e32 vcc_lo, s23, v48
	v_cndmask_b32_e32 v72, 0, v72, vcc_lo
	v_cmp_gt_i32_e32 vcc_lo, s23, v47
	v_or_b32_e32 v4, v4, v72
	v_cndmask_b32_e32 v3, 0, v3, vcc_lo
	v_cmp_gt_i32_e32 vcc_lo, s23, v46
	v_cndmask_b32_e32 v69, 0, v69, vcc_lo
.LBB124_49:                             ;   in Loop: Header=BB124_29 Depth=1
	s_or_b32 exec_lo, exec_lo, s14
	v_lshlrev_b32_e32 v71, 16, v71
	v_lshlrev_b32_e32 v70, 16, v70
	;; [unrolled: 1-line block ×3, first 2 shown]
	v_and_or_b32 v1, 0xffff, v1, v71
	v_and_or_b32 v2, 0xffff, v2, v70
	;; [unrolled: 1-line block ×3, first 2 shown]
	;;#ASMSTART
	v_pk_mul_f16 v1, v41, v1;

	;;#ASMEND
	;;#ASMSTART
	v_pk_mul_f16 v2, v40, v2;

	;;#ASMEND
	;; [unrolled: 4-line block ×4, first 2 shown]
	;;#ASMSTART
	v_pk_add_f16 v1, v1, v2;

	;;#ASMEND
	;;#ASMSTART
	v_pk_add_f16 v1, v1, v3;

	;;#ASMEND
	;; [unrolled: 4-line block ×3, first 2 shown]
	v_and_b32_e32 v2, 0xffff, v1
	v_lshrrev_b32_e32 v1, 16, v1
	;;#ASMSTART
	v_cvt_f32_f16 v69, v2;
	;;#ASMEND
	;;#ASMSTART
	v_cvt_f32_f16 v70, v1;
	;;#ASMEND
	global_load_dwordx4 v[1:4], v[7:8], off offset:1024
	s_waitcnt vmcnt(0)
	v_lshrrev_b32_e32 v73, 16, v1
	v_lshrrev_b32_e32 v72, 16, v2
	;; [unrolled: 1-line block ×3, first 2 shown]
	s_and_saveexec_b32 s14, s0
	s_cbranch_execz .LBB124_51
; %bb.50:                               ;   in Loop: Header=BB124_29 Depth=1
	v_cmp_gt_i32_e32 vcc_lo, s23, v39
	v_and_b32_e32 v74, 0xffff0000, v4
	v_cmp_gt_i32_e64 s1, s23, v50
	v_cndmask_b32_e32 v1, 0, v1, vcc_lo
	v_cmp_gt_i32_e32 vcc_lo, s23, v52
	v_cndmask_b32_e64 v2, 0, v2, s1
	v_cmp_gt_i32_e64 s1, s23, v49
	v_cndmask_b32_e32 v73, 0, v73, vcc_lo
	v_cmp_gt_i32_e32 vcc_lo, s23, v51
	v_cndmask_b32_e64 v72, 0, v72, s1
	v_cndmask_b32_sdwa v4, v36, v4, vcc_lo dst_sel:DWORD dst_unused:UNUSED_PAD src0_sel:DWORD src1_sel:WORD_0
	v_cmp_gt_i32_e32 vcc_lo, s23, v48
	v_cndmask_b32_e32 v74, 0, v74, vcc_lo
	v_cmp_gt_i32_e32 vcc_lo, s23, v47
	v_or_b32_e32 v4, v4, v74
	v_cndmask_b32_e32 v3, 0, v3, vcc_lo
	v_cmp_gt_i32_e32 vcc_lo, s23, v46
	v_cndmask_b32_e32 v71, 0, v71, vcc_lo
.LBB124_51:                             ;   in Loop: Header=BB124_29 Depth=1
	s_or_b32 exec_lo, exec_lo, s14
	v_lshlrev_b32_e32 v73, 16, v73
	v_lshlrev_b32_e32 v72, 16, v72
	;; [unrolled: 1-line block ×3, first 2 shown]
	v_and_or_b32 v1, 0xffff, v1, v73
	v_and_or_b32 v2, 0xffff, v2, v72
	;; [unrolled: 1-line block ×3, first 2 shown]
	;;#ASMSTART
	v_pk_mul_f16 v1, v41, v1;

	;;#ASMEND
	;;#ASMSTART
	v_pk_mul_f16 v2, v40, v2;

	;;#ASMEND
	;; [unrolled: 4-line block ×4, first 2 shown]
	;;#ASMSTART
	v_pk_add_f16 v1, v1, v2;

	;;#ASMEND
	;;#ASMSTART
	v_pk_add_f16 v1, v1, v3;

	;;#ASMEND
	;; [unrolled: 4-line block ×3, first 2 shown]
	v_and_b32_e32 v2, 0xffff, v1
	v_lshrrev_b32_e32 v1, 16, v1
	;;#ASMSTART
	v_cvt_f32_f16 v71, v2;
	;;#ASMEND
	;;#ASMSTART
	v_cvt_f32_f16 v72, v1;
	;;#ASMEND
	global_load_dwordx4 v[1:4], v[7:8], off offset:1536
	s_waitcnt vmcnt(0)
	v_lshrrev_b32_e32 v73, 16, v1
	v_lshrrev_b32_e32 v8, 16, v2
	;; [unrolled: 1-line block ×3, first 2 shown]
	s_and_saveexec_b32 s14, s0
	s_cbranch_execz .LBB124_53
; %bb.52:                               ;   in Loop: Header=BB124_29 Depth=1
	v_cmp_gt_i32_e32 vcc_lo, s23, v39
	v_and_b32_e32 v74, 0xffff0000, v4
	v_cmp_gt_i32_e64 s1, s23, v50
	v_cndmask_b32_e32 v1, 0, v1, vcc_lo
	v_cmp_gt_i32_e32 vcc_lo, s23, v52
	v_cndmask_b32_e64 v2, 0, v2, s1
	v_cmp_gt_i32_e64 s1, s23, v49
	v_cndmask_b32_e32 v73, 0, v73, vcc_lo
	v_cmp_gt_i32_e32 vcc_lo, s23, v51
	v_cndmask_b32_e64 v8, 0, v8, s1
	v_cndmask_b32_sdwa v4, v36, v4, vcc_lo dst_sel:DWORD dst_unused:UNUSED_PAD src0_sel:DWORD src1_sel:WORD_0
	v_cmp_gt_i32_e32 vcc_lo, s23, v48
	v_cndmask_b32_e32 v74, 0, v74, vcc_lo
	v_cmp_gt_i32_e32 vcc_lo, s23, v47
	v_or_b32_e32 v4, v4, v74
	v_cndmask_b32_e32 v3, 0, v3, vcc_lo
	v_cmp_gt_i32_e32 vcc_lo, s23, v46
	v_cndmask_b32_e32 v7, 0, v7, vcc_lo
.LBB124_53:                             ;   in Loop: Header=BB124_29 Depth=1
	s_or_b32 exec_lo, exec_lo, s14
	v_lshlrev_b32_e32 v7, 16, v7
	v_lshlrev_b32_e32 v73, 16, v73
	;; [unrolled: 1-line block ×3, first 2 shown]
	v_and_or_b32 v3, 0xffff, v3, v7
	v_add_co_u32 v7, vcc_lo, 0x1800, v5
	v_and_or_b32 v1, 0xffff, v1, v73
	v_and_or_b32 v2, 0xffff, v2, v8
	;;#ASMSTART
	v_pk_mul_f16 v1, v41, v1;

	;;#ASMEND
	v_add_co_ci_u32_e64 v8, null, 0, v6, vcc_lo
	;;#ASMSTART
	v_pk_mul_f16 v2, v40, v2;

	;;#ASMEND
	;;#ASMSTART
	v_pk_mul_f16 v3, v42, v3;

	;;#ASMEND
	;; [unrolled: 4-line block ×3, first 2 shown]
	;;#ASMSTART
	v_pk_add_f16 v1, v1, v2;

	;;#ASMEND
	;;#ASMSTART
	v_pk_add_f16 v1, v1, v3;

	;;#ASMEND
	;; [unrolled: 4-line block ×3, first 2 shown]
	v_lshrrev_b32_e32 v2, 16, v1
	v_and_b32_e32 v1, 0xffff, v1
	;;#ASMSTART
	v_cvt_f32_f16 v73, v1;
	;;#ASMEND
	;;#ASMSTART
	v_cvt_f32_f16 v74, v2;
	;;#ASMEND
	global_load_dwordx4 v[1:4], v[7:8], off
	s_waitcnt vmcnt(0)
	v_lshrrev_b32_e32 v77, 16, v1
	v_lshrrev_b32_e32 v76, 16, v2
	;; [unrolled: 1-line block ×3, first 2 shown]
	s_and_saveexec_b32 s14, s0
	s_cbranch_execz .LBB124_55
; %bb.54:                               ;   in Loop: Header=BB124_29 Depth=1
	v_cmp_gt_i32_e32 vcc_lo, s23, v39
	v_and_b32_e32 v78, 0xffff0000, v4
	v_cmp_gt_i32_e64 s1, s23, v50
	v_cndmask_b32_e32 v1, 0, v1, vcc_lo
	v_cmp_gt_i32_e32 vcc_lo, s23, v52
	v_cndmask_b32_e64 v2, 0, v2, s1
	v_cmp_gt_i32_e64 s1, s23, v49
	v_cndmask_b32_e32 v77, 0, v77, vcc_lo
	v_cmp_gt_i32_e32 vcc_lo, s23, v51
	v_cndmask_b32_e64 v76, 0, v76, s1
	v_cndmask_b32_sdwa v4, v36, v4, vcc_lo dst_sel:DWORD dst_unused:UNUSED_PAD src0_sel:DWORD src1_sel:WORD_0
	v_cmp_gt_i32_e32 vcc_lo, s23, v48
	v_cndmask_b32_e32 v78, 0, v78, vcc_lo
	v_cmp_gt_i32_e32 vcc_lo, s23, v47
	v_or_b32_e32 v4, v4, v78
	v_cndmask_b32_e32 v3, 0, v3, vcc_lo
	v_cmp_gt_i32_e32 vcc_lo, s23, v46
	v_cndmask_b32_e32 v75, 0, v75, vcc_lo
.LBB124_55:                             ;   in Loop: Header=BB124_29 Depth=1
	s_or_b32 exec_lo, exec_lo, s14
	v_lshlrev_b32_e32 v77, 16, v77
	v_lshlrev_b32_e32 v76, 16, v76
	v_lshlrev_b32_e32 v75, 16, v75
	v_and_or_b32 v1, 0xffff, v1, v77
	v_and_or_b32 v2, 0xffff, v2, v76
	;; [unrolled: 1-line block ×3, first 2 shown]
	;;#ASMSTART
	v_pk_mul_f16 v1, v41, v1;

	;;#ASMEND
	;;#ASMSTART
	v_pk_mul_f16 v2, v40, v2;

	;;#ASMEND
	;;#ASMSTART
	v_pk_mul_f16 v3, v42, v3;

	;;#ASMEND
	;;#ASMSTART
	v_pk_mul_f16 v4, v43, v4;

	;;#ASMEND
	;;#ASMSTART
	v_pk_add_f16 v1, v1, v2;

	;;#ASMEND
	;;#ASMSTART
	v_pk_add_f16 v1, v1, v3;

	;;#ASMEND
	;; [unrolled: 4-line block ×3, first 2 shown]
	v_and_b32_e32 v2, 0xffff, v1
	v_lshrrev_b32_e32 v1, 16, v1
	;;#ASMSTART
	v_cvt_f32_f16 v75, v2;
	;;#ASMEND
	;;#ASMSTART
	v_cvt_f32_f16 v76, v1;
	;;#ASMEND
	global_load_dwordx4 v[1:4], v[7:8], off offset:512
	s_waitcnt vmcnt(0)
	v_lshrrev_b32_e32 v79, 16, v1
	v_lshrrev_b32_e32 v78, 16, v2
	;; [unrolled: 1-line block ×3, first 2 shown]
	s_and_saveexec_b32 s14, s0
	s_cbranch_execz .LBB124_57
; %bb.56:                               ;   in Loop: Header=BB124_29 Depth=1
	v_cmp_gt_i32_e32 vcc_lo, s23, v39
	v_and_b32_e32 v80, 0xffff0000, v4
	v_cmp_gt_i32_e64 s1, s23, v50
	v_cndmask_b32_e32 v1, 0, v1, vcc_lo
	v_cmp_gt_i32_e32 vcc_lo, s23, v52
	v_cndmask_b32_e64 v2, 0, v2, s1
	v_cmp_gt_i32_e64 s1, s23, v49
	v_cndmask_b32_e32 v79, 0, v79, vcc_lo
	v_cmp_gt_i32_e32 vcc_lo, s23, v51
	v_cndmask_b32_e64 v78, 0, v78, s1
	v_cndmask_b32_sdwa v4, v36, v4, vcc_lo dst_sel:DWORD dst_unused:UNUSED_PAD src0_sel:DWORD src1_sel:WORD_0
	v_cmp_gt_i32_e32 vcc_lo, s23, v48
	v_cndmask_b32_e32 v80, 0, v80, vcc_lo
	v_cmp_gt_i32_e32 vcc_lo, s23, v47
	v_or_b32_e32 v4, v4, v80
	v_cndmask_b32_e32 v3, 0, v3, vcc_lo
	v_cmp_gt_i32_e32 vcc_lo, s23, v46
	v_cndmask_b32_e32 v77, 0, v77, vcc_lo
.LBB124_57:                             ;   in Loop: Header=BB124_29 Depth=1
	s_or_b32 exec_lo, exec_lo, s14
	v_lshlrev_b32_e32 v79, 16, v79
	v_lshlrev_b32_e32 v78, 16, v78
	;; [unrolled: 1-line block ×3, first 2 shown]
	v_and_or_b32 v1, 0xffff, v1, v79
	v_and_or_b32 v2, 0xffff, v2, v78
	;; [unrolled: 1-line block ×3, first 2 shown]
	;;#ASMSTART
	v_pk_mul_f16 v1, v41, v1;

	;;#ASMEND
	;;#ASMSTART
	v_pk_mul_f16 v2, v40, v2;

	;;#ASMEND
	;; [unrolled: 4-line block ×4, first 2 shown]
	;;#ASMSTART
	v_pk_add_f16 v1, v1, v2;

	;;#ASMEND
	;;#ASMSTART
	v_pk_add_f16 v1, v1, v3;

	;;#ASMEND
	;; [unrolled: 4-line block ×3, first 2 shown]
	v_and_b32_e32 v2, 0xffff, v1
	v_lshrrev_b32_e32 v1, 16, v1
	;;#ASMSTART
	v_cvt_f32_f16 v77, v2;
	;;#ASMEND
	;;#ASMSTART
	v_cvt_f32_f16 v78, v1;
	;;#ASMEND
	global_load_dwordx4 v[1:4], v[7:8], off offset:1024
	s_waitcnt vmcnt(0)
	v_lshrrev_b32_e32 v81, 16, v1
	v_lshrrev_b32_e32 v80, 16, v2
	;; [unrolled: 1-line block ×3, first 2 shown]
	s_and_saveexec_b32 s14, s0
	s_cbranch_execz .LBB124_59
; %bb.58:                               ;   in Loop: Header=BB124_29 Depth=1
	v_cmp_gt_i32_e32 vcc_lo, s23, v39
	v_and_b32_e32 v82, 0xffff0000, v4
	v_cmp_gt_i32_e64 s1, s23, v50
	v_cndmask_b32_e32 v1, 0, v1, vcc_lo
	v_cmp_gt_i32_e32 vcc_lo, s23, v52
	v_cndmask_b32_e64 v2, 0, v2, s1
	v_cmp_gt_i32_e64 s1, s23, v49
	v_cndmask_b32_e32 v81, 0, v81, vcc_lo
	v_cmp_gt_i32_e32 vcc_lo, s23, v51
	v_cndmask_b32_e64 v80, 0, v80, s1
	v_cndmask_b32_sdwa v4, v36, v4, vcc_lo dst_sel:DWORD dst_unused:UNUSED_PAD src0_sel:DWORD src1_sel:WORD_0
	v_cmp_gt_i32_e32 vcc_lo, s23, v48
	v_cndmask_b32_e32 v82, 0, v82, vcc_lo
	v_cmp_gt_i32_e32 vcc_lo, s23, v47
	v_or_b32_e32 v4, v4, v82
	v_cndmask_b32_e32 v3, 0, v3, vcc_lo
	v_cmp_gt_i32_e32 vcc_lo, s23, v46
	v_cndmask_b32_e32 v79, 0, v79, vcc_lo
.LBB124_59:                             ;   in Loop: Header=BB124_29 Depth=1
	s_or_b32 exec_lo, exec_lo, s14
	v_lshlrev_b32_e32 v81, 16, v81
	v_lshlrev_b32_e32 v80, 16, v80
	;; [unrolled: 1-line block ×3, first 2 shown]
	v_and_or_b32 v1, 0xffff, v1, v81
	v_and_or_b32 v2, 0xffff, v2, v80
	;; [unrolled: 1-line block ×3, first 2 shown]
	;;#ASMSTART
	v_pk_mul_f16 v1, v41, v1;

	;;#ASMEND
	;;#ASMSTART
	v_pk_mul_f16 v2, v40, v2;

	;;#ASMEND
	;; [unrolled: 4-line block ×4, first 2 shown]
	;;#ASMSTART
	v_pk_add_f16 v1, v1, v2;

	;;#ASMEND
	;;#ASMSTART
	v_pk_add_f16 v1, v1, v3;

	;;#ASMEND
	;; [unrolled: 4-line block ×3, first 2 shown]
	v_and_b32_e32 v2, 0xffff, v1
	v_lshrrev_b32_e32 v1, 16, v1
	;;#ASMSTART
	v_cvt_f32_f16 v79, v2;
	;;#ASMEND
	;;#ASMSTART
	v_cvt_f32_f16 v80, v1;
	;;#ASMEND
	global_load_dwordx4 v[1:4], v[7:8], off offset:1536
	s_waitcnt vmcnt(0)
	v_lshrrev_b32_e32 v81, 16, v1
	v_lshrrev_b32_e32 v8, 16, v2
	;; [unrolled: 1-line block ×3, first 2 shown]
	s_and_saveexec_b32 s14, s0
	s_cbranch_execz .LBB124_61
; %bb.60:                               ;   in Loop: Header=BB124_29 Depth=1
	v_cmp_gt_i32_e32 vcc_lo, s23, v39
	v_and_b32_e32 v82, 0xffff0000, v4
	v_cmp_gt_i32_e64 s1, s23, v50
	v_cndmask_b32_e32 v1, 0, v1, vcc_lo
	v_cmp_gt_i32_e32 vcc_lo, s23, v52
	v_cndmask_b32_e64 v2, 0, v2, s1
	v_cmp_gt_i32_e64 s1, s23, v49
	v_cndmask_b32_e32 v81, 0, v81, vcc_lo
	v_cmp_gt_i32_e32 vcc_lo, s23, v51
	v_cndmask_b32_e64 v8, 0, v8, s1
	v_cndmask_b32_sdwa v4, v36, v4, vcc_lo dst_sel:DWORD dst_unused:UNUSED_PAD src0_sel:DWORD src1_sel:WORD_0
	v_cmp_gt_i32_e32 vcc_lo, s23, v48
	v_cndmask_b32_e32 v82, 0, v82, vcc_lo
	v_cmp_gt_i32_e32 vcc_lo, s23, v47
	v_or_b32_e32 v4, v4, v82
	v_cndmask_b32_e32 v3, 0, v3, vcc_lo
	v_cmp_gt_i32_e32 vcc_lo, s23, v46
	v_cndmask_b32_e32 v7, 0, v7, vcc_lo
.LBB124_61:                             ;   in Loop: Header=BB124_29 Depth=1
	s_or_b32 exec_lo, exec_lo, s14
	v_lshlrev_b32_e32 v7, 16, v7
	v_lshlrev_b32_e32 v81, 16, v81
	;; [unrolled: 1-line block ×3, first 2 shown]
	v_and_or_b32 v3, 0xffff, v3, v7
	v_add_co_u32 v7, vcc_lo, 0x2000, v5
	v_and_or_b32 v1, 0xffff, v1, v81
	v_and_or_b32 v2, 0xffff, v2, v8
	;;#ASMSTART
	v_pk_mul_f16 v1, v41, v1;

	;;#ASMEND
	v_add_co_ci_u32_e64 v8, null, 0, v6, vcc_lo
	;;#ASMSTART
	v_pk_mul_f16 v2, v40, v2;

	;;#ASMEND
	;;#ASMSTART
	v_pk_mul_f16 v3, v42, v3;

	;;#ASMEND
	;; [unrolled: 4-line block ×3, first 2 shown]
	;;#ASMSTART
	v_pk_add_f16 v1, v1, v2;

	;;#ASMEND
	;;#ASMSTART
	v_pk_add_f16 v1, v1, v3;

	;;#ASMEND
	;; [unrolled: 4-line block ×3, first 2 shown]
	v_lshrrev_b32_e32 v2, 16, v1
	v_and_b32_e32 v1, 0xffff, v1
	;;#ASMSTART
	v_cvt_f32_f16 v81, v1;
	;;#ASMEND
	;;#ASMSTART
	v_cvt_f32_f16 v82, v2;
	;;#ASMEND
	global_load_dwordx4 v[1:4], v[7:8], off
	s_waitcnt vmcnt(0)
	v_lshrrev_b32_e32 v85, 16, v1
	v_lshrrev_b32_e32 v84, 16, v2
	;; [unrolled: 1-line block ×3, first 2 shown]
	s_and_saveexec_b32 s14, s0
	s_cbranch_execz .LBB124_63
; %bb.62:                               ;   in Loop: Header=BB124_29 Depth=1
	v_cmp_gt_i32_e32 vcc_lo, s23, v39
	v_and_b32_e32 v86, 0xffff0000, v4
	v_cmp_gt_i32_e64 s1, s23, v50
	v_cndmask_b32_e32 v1, 0, v1, vcc_lo
	v_cmp_gt_i32_e32 vcc_lo, s23, v52
	v_cndmask_b32_e64 v2, 0, v2, s1
	v_cmp_gt_i32_e64 s1, s23, v49
	v_cndmask_b32_e32 v85, 0, v85, vcc_lo
	v_cmp_gt_i32_e32 vcc_lo, s23, v51
	v_cndmask_b32_e64 v84, 0, v84, s1
	v_cndmask_b32_sdwa v4, v36, v4, vcc_lo dst_sel:DWORD dst_unused:UNUSED_PAD src0_sel:DWORD src1_sel:WORD_0
	v_cmp_gt_i32_e32 vcc_lo, s23, v48
	v_cndmask_b32_e32 v86, 0, v86, vcc_lo
	v_cmp_gt_i32_e32 vcc_lo, s23, v47
	v_or_b32_e32 v4, v4, v86
	v_cndmask_b32_e32 v3, 0, v3, vcc_lo
	v_cmp_gt_i32_e32 vcc_lo, s23, v46
	v_cndmask_b32_e32 v83, 0, v83, vcc_lo
.LBB124_63:                             ;   in Loop: Header=BB124_29 Depth=1
	s_or_b32 exec_lo, exec_lo, s14
	v_lshlrev_b32_e32 v85, 16, v85
	v_lshlrev_b32_e32 v84, 16, v84
	;; [unrolled: 1-line block ×3, first 2 shown]
	v_and_or_b32 v1, 0xffff, v1, v85
	v_and_or_b32 v2, 0xffff, v2, v84
	;; [unrolled: 1-line block ×3, first 2 shown]
	;;#ASMSTART
	v_pk_mul_f16 v1, v41, v1;

	;;#ASMEND
	;;#ASMSTART
	v_pk_mul_f16 v2, v40, v2;

	;;#ASMEND
	;; [unrolled: 4-line block ×4, first 2 shown]
	;;#ASMSTART
	v_pk_add_f16 v1, v1, v2;

	;;#ASMEND
	;;#ASMSTART
	v_pk_add_f16 v1, v1, v3;

	;;#ASMEND
	;; [unrolled: 4-line block ×3, first 2 shown]
	v_and_b32_e32 v2, 0xffff, v1
	v_lshrrev_b32_e32 v1, 16, v1
	;;#ASMSTART
	v_cvt_f32_f16 v83, v2;
	;;#ASMEND
	;;#ASMSTART
	v_cvt_f32_f16 v84, v1;
	;;#ASMEND
	global_load_dwordx4 v[1:4], v[7:8], off offset:512
	s_waitcnt vmcnt(0)
	v_lshrrev_b32_e32 v87, 16, v1
	v_lshrrev_b32_e32 v86, 16, v2
	;; [unrolled: 1-line block ×3, first 2 shown]
	s_and_saveexec_b32 s14, s0
	s_cbranch_execz .LBB124_65
; %bb.64:                               ;   in Loop: Header=BB124_29 Depth=1
	v_cmp_gt_i32_e32 vcc_lo, s23, v39
	v_and_b32_e32 v88, 0xffff0000, v4
	v_cmp_gt_i32_e64 s1, s23, v50
	v_cndmask_b32_e32 v1, 0, v1, vcc_lo
	v_cmp_gt_i32_e32 vcc_lo, s23, v52
	v_cndmask_b32_e64 v2, 0, v2, s1
	v_cmp_gt_i32_e64 s1, s23, v49
	v_cndmask_b32_e32 v87, 0, v87, vcc_lo
	v_cmp_gt_i32_e32 vcc_lo, s23, v51
	v_cndmask_b32_e64 v86, 0, v86, s1
	v_cndmask_b32_sdwa v4, v36, v4, vcc_lo dst_sel:DWORD dst_unused:UNUSED_PAD src0_sel:DWORD src1_sel:WORD_0
	v_cmp_gt_i32_e32 vcc_lo, s23, v48
	v_cndmask_b32_e32 v88, 0, v88, vcc_lo
	v_cmp_gt_i32_e32 vcc_lo, s23, v47
	v_or_b32_e32 v4, v4, v88
	v_cndmask_b32_e32 v3, 0, v3, vcc_lo
	v_cmp_gt_i32_e32 vcc_lo, s23, v46
	v_cndmask_b32_e32 v85, 0, v85, vcc_lo
.LBB124_65:                             ;   in Loop: Header=BB124_29 Depth=1
	s_or_b32 exec_lo, exec_lo, s14
	v_lshlrev_b32_e32 v87, 16, v87
	v_lshlrev_b32_e32 v86, 16, v86
	;; [unrolled: 1-line block ×3, first 2 shown]
	v_and_or_b32 v1, 0xffff, v1, v87
	v_and_or_b32 v2, 0xffff, v2, v86
	;; [unrolled: 1-line block ×3, first 2 shown]
	;;#ASMSTART
	v_pk_mul_f16 v1, v41, v1;

	;;#ASMEND
	;;#ASMSTART
	v_pk_mul_f16 v2, v40, v2;

	;;#ASMEND
	;; [unrolled: 4-line block ×4, first 2 shown]
	;;#ASMSTART
	v_pk_add_f16 v1, v1, v2;

	;;#ASMEND
	;;#ASMSTART
	v_pk_add_f16 v1, v1, v3;

	;;#ASMEND
	;; [unrolled: 4-line block ×3, first 2 shown]
	v_and_b32_e32 v2, 0xffff, v1
	v_lshrrev_b32_e32 v1, 16, v1
	;;#ASMSTART
	v_cvt_f32_f16 v85, v2;
	;;#ASMEND
	;;#ASMSTART
	v_cvt_f32_f16 v86, v1;
	;;#ASMEND
	global_load_dwordx4 v[1:4], v[7:8], off offset:1024
	s_waitcnt vmcnt(0)
	v_lshrrev_b32_e32 v89, 16, v1
	v_lshrrev_b32_e32 v88, 16, v2
	;; [unrolled: 1-line block ×3, first 2 shown]
	s_and_saveexec_b32 s14, s0
	s_cbranch_execz .LBB124_67
; %bb.66:                               ;   in Loop: Header=BB124_29 Depth=1
	v_cmp_gt_i32_e32 vcc_lo, s23, v39
	v_and_b32_e32 v90, 0xffff0000, v4
	v_cmp_gt_i32_e64 s1, s23, v50
	v_cndmask_b32_e32 v1, 0, v1, vcc_lo
	v_cmp_gt_i32_e32 vcc_lo, s23, v52
	v_cndmask_b32_e64 v2, 0, v2, s1
	v_cmp_gt_i32_e64 s1, s23, v49
	v_cndmask_b32_e32 v89, 0, v89, vcc_lo
	v_cmp_gt_i32_e32 vcc_lo, s23, v51
	v_cndmask_b32_e64 v88, 0, v88, s1
	v_cndmask_b32_sdwa v4, v36, v4, vcc_lo dst_sel:DWORD dst_unused:UNUSED_PAD src0_sel:DWORD src1_sel:WORD_0
	v_cmp_gt_i32_e32 vcc_lo, s23, v48
	v_cndmask_b32_e32 v90, 0, v90, vcc_lo
	v_cmp_gt_i32_e32 vcc_lo, s23, v47
	v_or_b32_e32 v4, v4, v90
	v_cndmask_b32_e32 v3, 0, v3, vcc_lo
	v_cmp_gt_i32_e32 vcc_lo, s23, v46
	v_cndmask_b32_e32 v87, 0, v87, vcc_lo
.LBB124_67:                             ;   in Loop: Header=BB124_29 Depth=1
	s_or_b32 exec_lo, exec_lo, s14
	v_lshlrev_b32_e32 v89, 16, v89
	v_lshlrev_b32_e32 v88, 16, v88
	;; [unrolled: 1-line block ×3, first 2 shown]
	v_and_or_b32 v1, 0xffff, v1, v89
	v_and_or_b32 v2, 0xffff, v2, v88
	v_and_or_b32 v3, 0xffff, v3, v87
	;;#ASMSTART
	v_pk_mul_f16 v1, v41, v1;

	;;#ASMEND
	;;#ASMSTART
	v_pk_mul_f16 v2, v40, v2;

	;;#ASMEND
	;; [unrolled: 4-line block ×4, first 2 shown]
	;;#ASMSTART
	v_pk_add_f16 v1, v1, v2;

	;;#ASMEND
	;;#ASMSTART
	v_pk_add_f16 v1, v1, v3;

	;;#ASMEND
	;; [unrolled: 4-line block ×3, first 2 shown]
	v_and_b32_e32 v2, 0xffff, v1
	v_lshrrev_b32_e32 v1, 16, v1
	;;#ASMSTART
	v_cvt_f32_f16 v87, v2;
	;;#ASMEND
	;;#ASMSTART
	v_cvt_f32_f16 v88, v1;
	;;#ASMEND
	global_load_dwordx4 v[1:4], v[7:8], off offset:1536
	s_waitcnt vmcnt(0)
	v_lshrrev_b32_e32 v89, 16, v1
	v_lshrrev_b32_e32 v8, 16, v2
	;; [unrolled: 1-line block ×3, first 2 shown]
	s_and_saveexec_b32 s14, s0
	s_cbranch_execz .LBB124_69
; %bb.68:                               ;   in Loop: Header=BB124_29 Depth=1
	v_cmp_gt_i32_e32 vcc_lo, s23, v39
	v_and_b32_e32 v90, 0xffff0000, v4
	v_cmp_gt_i32_e64 s1, s23, v50
	v_cndmask_b32_e32 v1, 0, v1, vcc_lo
	v_cmp_gt_i32_e32 vcc_lo, s23, v52
	v_cndmask_b32_e64 v2, 0, v2, s1
	v_cmp_gt_i32_e64 s1, s23, v49
	v_cndmask_b32_e32 v89, 0, v89, vcc_lo
	v_cmp_gt_i32_e32 vcc_lo, s23, v51
	v_cndmask_b32_e64 v8, 0, v8, s1
	v_cndmask_b32_sdwa v4, v36, v4, vcc_lo dst_sel:DWORD dst_unused:UNUSED_PAD src0_sel:DWORD src1_sel:WORD_0
	v_cmp_gt_i32_e32 vcc_lo, s23, v48
	v_cndmask_b32_e32 v90, 0, v90, vcc_lo
	v_cmp_gt_i32_e32 vcc_lo, s23, v47
	v_or_b32_e32 v4, v4, v90
	v_cndmask_b32_e32 v3, 0, v3, vcc_lo
	v_cmp_gt_i32_e32 vcc_lo, s23, v46
	v_cndmask_b32_e32 v7, 0, v7, vcc_lo
.LBB124_69:                             ;   in Loop: Header=BB124_29 Depth=1
	s_or_b32 exec_lo, exec_lo, s14
	v_lshlrev_b32_e32 v89, 16, v89
	v_lshlrev_b32_e32 v8, 16, v8
	;; [unrolled: 1-line block ×3, first 2 shown]
	v_add_co_u32 v5, vcc_lo, 0x2800, v5
	v_and_or_b32 v1, 0xffff, v1, v89
	v_and_or_b32 v2, 0xffff, v2, v8
	;; [unrolled: 1-line block ×3, first 2 shown]
	;;#ASMSTART
	v_pk_mul_f16 v1, v41, v1;

	;;#ASMEND
	v_add_co_ci_u32_e64 v6, null, 0, v6, vcc_lo
	;;#ASMSTART
	v_pk_mul_f16 v2, v40, v2;

	;;#ASMEND
	;;#ASMSTART
	v_pk_mul_f16 v3, v42, v3;

	;;#ASMEND
	;; [unrolled: 4-line block ×3, first 2 shown]
	;;#ASMSTART
	v_pk_add_f16 v1, v1, v2;

	;;#ASMEND
	;;#ASMSTART
	v_pk_add_f16 v1, v1, v3;

	;;#ASMEND
	;; [unrolled: 4-line block ×3, first 2 shown]
	v_lshrrev_b32_e32 v2, 16, v1
	v_and_b32_e32 v1, 0xffff, v1
	;;#ASMSTART
	v_cvt_f32_f16 v7, v1;
	;;#ASMEND
	;;#ASMSTART
	v_cvt_f32_f16 v8, v2;
	;;#ASMEND
	global_load_dwordx4 v[1:4], v[5:6], off
	s_waitcnt vmcnt(0)
	v_lshrrev_b32_e32 v91, 16, v1
	v_lshrrev_b32_e32 v90, 16, v2
	;; [unrolled: 1-line block ×3, first 2 shown]
	s_and_saveexec_b32 s14, s0
	s_cbranch_execz .LBB124_71
; %bb.70:                               ;   in Loop: Header=BB124_29 Depth=1
	v_cmp_gt_i32_e32 vcc_lo, s23, v39
	v_and_b32_e32 v92, 0xffff0000, v4
	v_cmp_gt_i32_e64 s1, s23, v50
	v_cndmask_b32_e32 v1, 0, v1, vcc_lo
	v_cmp_gt_i32_e32 vcc_lo, s23, v52
	v_cndmask_b32_e64 v2, 0, v2, s1
	v_cmp_gt_i32_e64 s1, s23, v49
	v_cndmask_b32_e32 v91, 0, v91, vcc_lo
	v_cmp_gt_i32_e32 vcc_lo, s23, v51
	v_cndmask_b32_e64 v90, 0, v90, s1
	v_cndmask_b32_sdwa v4, v36, v4, vcc_lo dst_sel:DWORD dst_unused:UNUSED_PAD src0_sel:DWORD src1_sel:WORD_0
	v_cmp_gt_i32_e32 vcc_lo, s23, v48
	v_cndmask_b32_e32 v92, 0, v92, vcc_lo
	v_cmp_gt_i32_e32 vcc_lo, s23, v47
	v_or_b32_e32 v4, v4, v92
	v_cndmask_b32_e32 v3, 0, v3, vcc_lo
	v_cmp_gt_i32_e32 vcc_lo, s23, v46
	v_cndmask_b32_e32 v89, 0, v89, vcc_lo
.LBB124_71:                             ;   in Loop: Header=BB124_29 Depth=1
	s_or_b32 exec_lo, exec_lo, s14
	v_lshlrev_b32_e32 v91, 16, v91
	v_lshlrev_b32_e32 v90, 16, v90
	;; [unrolled: 1-line block ×3, first 2 shown]
	v_and_or_b32 v1, 0xffff, v1, v91
	v_and_or_b32 v2, 0xffff, v2, v90
	;; [unrolled: 1-line block ×3, first 2 shown]
	;;#ASMSTART
	v_pk_mul_f16 v1, v41, v1;

	;;#ASMEND
	;;#ASMSTART
	v_pk_mul_f16 v2, v40, v2;

	;;#ASMEND
	;; [unrolled: 4-line block ×4, first 2 shown]
	;;#ASMSTART
	v_pk_add_f16 v1, v1, v2;

	;;#ASMEND
	;;#ASMSTART
	v_pk_add_f16 v1, v1, v3;

	;;#ASMEND
	;; [unrolled: 4-line block ×3, first 2 shown]
	v_and_b32_e32 v2, 0xffff, v1
	v_lshrrev_b32_e32 v1, 16, v1
	;;#ASMSTART
	v_cvt_f32_f16 v89, v2;
	;;#ASMEND
	;;#ASMSTART
	v_cvt_f32_f16 v90, v1;
	;;#ASMEND
	global_load_dwordx4 v[1:4], v[5:6], off offset:512
	s_waitcnt vmcnt(0)
	v_lshrrev_b32_e32 v93, 16, v1
	v_lshrrev_b32_e32 v92, 16, v2
	;; [unrolled: 1-line block ×3, first 2 shown]
	s_and_saveexec_b32 s14, s0
	s_cbranch_execz .LBB124_73
; %bb.72:                               ;   in Loop: Header=BB124_29 Depth=1
	v_cmp_gt_i32_e32 vcc_lo, s23, v39
	v_and_b32_e32 v94, 0xffff0000, v4
	v_cmp_gt_i32_e64 s1, s23, v50
	v_cndmask_b32_e32 v1, 0, v1, vcc_lo
	v_cmp_gt_i32_e32 vcc_lo, s23, v52
	v_cndmask_b32_e64 v2, 0, v2, s1
	v_cmp_gt_i32_e64 s1, s23, v49
	v_cndmask_b32_e32 v93, 0, v93, vcc_lo
	v_cmp_gt_i32_e32 vcc_lo, s23, v51
	v_cndmask_b32_e64 v92, 0, v92, s1
	v_cndmask_b32_sdwa v4, v36, v4, vcc_lo dst_sel:DWORD dst_unused:UNUSED_PAD src0_sel:DWORD src1_sel:WORD_0
	v_cmp_gt_i32_e32 vcc_lo, s23, v48
	v_cndmask_b32_e32 v94, 0, v94, vcc_lo
	v_cmp_gt_i32_e32 vcc_lo, s23, v47
	v_or_b32_e32 v4, v4, v94
	v_cndmask_b32_e32 v3, 0, v3, vcc_lo
	v_cmp_gt_i32_e32 vcc_lo, s23, v46
	v_cndmask_b32_e32 v91, 0, v91, vcc_lo
.LBB124_73:                             ;   in Loop: Header=BB124_29 Depth=1
	s_or_b32 exec_lo, exec_lo, s14
	v_lshlrev_b32_e32 v93, 16, v93
	v_lshlrev_b32_e32 v92, 16, v92
	;; [unrolled: 1-line block ×3, first 2 shown]
	v_and_or_b32 v1, 0xffff, v1, v93
	v_and_or_b32 v2, 0xffff, v2, v92
	;; [unrolled: 1-line block ×3, first 2 shown]
	;;#ASMSTART
	v_pk_mul_f16 v1, v41, v1;

	;;#ASMEND
	;;#ASMSTART
	v_pk_mul_f16 v2, v40, v2;

	;;#ASMEND
	;; [unrolled: 4-line block ×4, first 2 shown]
	;;#ASMSTART
	v_pk_add_f16 v1, v1, v2;

	;;#ASMEND
	;;#ASMSTART
	v_pk_add_f16 v1, v1, v3;

	;;#ASMEND
	;;#ASMSTART
	v_pk_add_f16 v1, v1, v4;

	;;#ASMEND
	v_and_b32_e32 v2, 0xffff, v1
	v_lshrrev_b32_e32 v1, 16, v1
	;;#ASMSTART
	v_cvt_f32_f16 v91, v2;
	;;#ASMEND
	;;#ASMSTART
	v_cvt_f32_f16 v92, v1;
	;;#ASMEND
	global_load_dwordx4 v[1:4], v[5:6], off offset:1024
	s_waitcnt vmcnt(0)
	v_lshrrev_b32_e32 v95, 16, v1
	v_lshrrev_b32_e32 v94, 16, v2
	;; [unrolled: 1-line block ×3, first 2 shown]
	s_and_saveexec_b32 s14, s0
	s_cbranch_execz .LBB124_75
; %bb.74:                               ;   in Loop: Header=BB124_29 Depth=1
	v_cmp_gt_i32_e32 vcc_lo, s23, v39
	v_and_b32_e32 v96, 0xffff0000, v4
	v_cmp_gt_i32_e64 s1, s23, v50
	v_cndmask_b32_e32 v1, 0, v1, vcc_lo
	v_cmp_gt_i32_e32 vcc_lo, s23, v52
	v_cndmask_b32_e64 v2, 0, v2, s1
	v_cmp_gt_i32_e64 s1, s23, v49
	v_cndmask_b32_e32 v95, 0, v95, vcc_lo
	v_cmp_gt_i32_e32 vcc_lo, s23, v51
	v_cndmask_b32_e64 v94, 0, v94, s1
	v_cndmask_b32_sdwa v4, v36, v4, vcc_lo dst_sel:DWORD dst_unused:UNUSED_PAD src0_sel:DWORD src1_sel:WORD_0
	v_cmp_gt_i32_e32 vcc_lo, s23, v48
	v_cndmask_b32_e32 v96, 0, v96, vcc_lo
	v_cmp_gt_i32_e32 vcc_lo, s23, v47
	v_or_b32_e32 v4, v4, v96
	v_cndmask_b32_e32 v3, 0, v3, vcc_lo
	v_cmp_gt_i32_e32 vcc_lo, s23, v46
	v_cndmask_b32_e32 v93, 0, v93, vcc_lo
.LBB124_75:                             ;   in Loop: Header=BB124_29 Depth=1
	s_or_b32 exec_lo, exec_lo, s14
	v_lshlrev_b32_e32 v95, 16, v95
	v_lshlrev_b32_e32 v94, 16, v94
	;; [unrolled: 1-line block ×3, first 2 shown]
	v_and_or_b32 v1, 0xffff, v1, v95
	v_and_or_b32 v2, 0xffff, v2, v94
	;; [unrolled: 1-line block ×3, first 2 shown]
	;;#ASMSTART
	v_pk_mul_f16 v1, v41, v1;

	;;#ASMEND
	;;#ASMSTART
	v_pk_mul_f16 v2, v40, v2;

	;;#ASMEND
	;; [unrolled: 4-line block ×4, first 2 shown]
	;;#ASMSTART
	v_pk_add_f16 v1, v1, v2;

	;;#ASMEND
	;;#ASMSTART
	v_pk_add_f16 v1, v1, v3;

	;;#ASMEND
	;; [unrolled: 4-line block ×3, first 2 shown]
	v_and_b32_e32 v2, 0xffff, v1
	v_lshrrev_b32_e32 v1, 16, v1
	;;#ASMSTART
	v_cvt_f32_f16 v94, v2;
	;;#ASMEND
	;;#ASMSTART
	v_cvt_f32_f16 v95, v1;
	;;#ASMEND
	global_load_dwordx4 v[1:4], v[5:6], off offset:1536
	s_waitcnt vmcnt(0)
	v_lshrrev_b32_e32 v93, 16, v1
	v_lshrrev_b32_e32 v6, 16, v2
	;; [unrolled: 1-line block ×3, first 2 shown]
	s_and_saveexec_b32 s1, s0
	s_cbranch_execz .LBB124_28
; %bb.76:                               ;   in Loop: Header=BB124_29 Depth=1
	v_cmp_gt_i32_e32 vcc_lo, s23, v39
	v_and_b32_e32 v39, 0xffff0000, v4
	v_cmp_gt_i32_e64 s0, s23, v50
	v_cndmask_b32_e32 v1, 0, v1, vcc_lo
	v_cmp_gt_i32_e32 vcc_lo, s23, v52
	v_cndmask_b32_e64 v2, 0, v2, s0
	v_cmp_gt_i32_e64 s0, s23, v49
	v_cndmask_b32_e32 v93, 0, v93, vcc_lo
	v_cmp_gt_i32_e32 vcc_lo, s23, v51
	v_cndmask_b32_e64 v6, 0, v6, s0
	v_cndmask_b32_sdwa v4, v36, v4, vcc_lo dst_sel:DWORD dst_unused:UNUSED_PAD src0_sel:DWORD src1_sel:WORD_0
	v_cmp_gt_i32_e32 vcc_lo, s23, v48
	v_cndmask_b32_e32 v39, 0, v39, vcc_lo
	v_cmp_gt_i32_e32 vcc_lo, s23, v47
	v_or_b32_e32 v4, v4, v39
	v_cndmask_b32_e32 v3, 0, v3, vcc_lo
	v_cmp_gt_i32_e32 vcc_lo, s23, v46
	v_cndmask_b32_e32 v5, 0, v5, vcc_lo
	s_branch .LBB124_28
.LBB124_77:
	s_or_b32 exec_lo, exec_lo, s12
.LBB124_78:
	s_or_b32 exec_lo, exec_lo, s3
	ds_bpermute_b32 v1, v10, v33
	ds_bpermute_b32 v2, v10, v34
	;; [unrolled: 1-line block ×19, first 2 shown]
	s_mov_b32 s0, exec_lo
	s_waitcnt lgkmcnt(18)
	v_add_f32_e32 v1, v33, v1
	s_waitcnt lgkmcnt(17)
	v_add_f32_e32 v2, v34, v2
	;; [unrolled: 2-line block ×4, first 2 shown]
	ds_bpermute_b32 v33, v10, v17
	ds_bpermute_b32 v3, v9, v1
	;; [unrolled: 1-line block ×5, first 2 shown]
	s_waitcnt lgkmcnt(17)
	v_add_f32_e32 v26, v26, v35
	s_waitcnt lgkmcnt(16)
	v_add_f32_e32 v5, v30, v5
	;; [unrolled: 2-line block ×7, first 2 shown]
	ds_bpermute_b32 v35, v9, v26
	s_waitcnt lgkmcnt(9)
	v_add_f32_e32 v42, v19, v42
	s_waitcnt lgkmcnt(8)
	v_add_f32_e32 v43, v18, v43
	;; [unrolled: 2-line block ×4, first 2 shown]
	ds_bpermute_b32 v24, v9, v5
	ds_bpermute_b32 v28, v9, v6
	;; [unrolled: 1-line block ×3, first 2 shown]
	s_waitcnt lgkmcnt(8)
	v_add_f32_e32 v33, v17, v33
	s_waitcnt lgkmcnt(7)
	v_add_f32_e32 v4, v1, v3
	;; [unrolled: 2-line block ×5, first 2 shown]
	ds_bpermute_b32 v31, v10, v14
	v_add_f32_e32 v32, v23, v38
	ds_bpermute_b32 v23, v10, v13
	v_add_f32_e32 v34, v22, v39
	ds_bpermute_b32 v22, v10, v12
	ds_bpermute_b32 v10, v10, v11
	v_add_f32_e32 v38, v21, v40
	v_add_f32_e32 v40, v20, v41
	ds_bpermute_b32 v30, v9, v8
	ds_bpermute_b32 v36, v9, v25
	;; [unrolled: 1-line block ×12, first 2 shown]
	s_waitcnt lgkmcnt(15)
	v_add_f32_e32 v31, v14, v31
	v_add_f32_e32 v20, v26, v35
	s_waitcnt lgkmcnt(14)
	v_add_f32_e32 v52, v13, v23
	v_and_b32_e32 v26, 28, v101
	s_waitcnt lgkmcnt(13)
	v_add_f32_e32 v54, v12, v22
	s_waitcnt lgkmcnt(12)
	v_add_f32_e32 v56, v11, v10
	ds_bpermute_b32 v55, v9, v31
	ds_bpermute_b32 v57, v9, v52
	v_add_f32_e32 v24, v5, v24
	ds_bpermute_b32 v58, v9, v54
	ds_bpermute_b32 v9, v9, v56
	v_add_f32_e32 v23, v6, v28
	v_add_f32_e32 v22, v7, v29
	s_waitcnt lgkmcnt(15)
	v_add_f32_e32 v21, v8, v30
	s_waitcnt lgkmcnt(14)
	;; [unrolled: 2-line block ×12, first 2 shown]
	v_add_f32_e32 v7, v47, v53
	v_and_b32_e32 v28, 0x3c3, v0
	s_waitcnt lgkmcnt(3)
	v_add_f32_e32 v6, v31, v55
	s_waitcnt lgkmcnt(2)
	v_add_f32_e32 v5, v52, v57
	v_lshrrev_b32_e32 v25, 2, v101
	s_waitcnt lgkmcnt(1)
	v_add_f32_e32 v8, v54, v58
	s_waitcnt lgkmcnt(0)
	v_add_f32_e32 v9, v56, v9
	v_add_nc_u32_e32 v26, 0x1a0, v26
	v_mul_u32_u24_e32 v27, 0x300, v100
	s_waitcnt_vscnt null, 0x0
	s_barrier
	buffer_gl0_inv
	v_cmpx_eq_u32_e32 64, v28
	s_cbranch_execz .LBB124_80
; %bb.79:
	v_add_nc_u32_e32 v28, v26, v27
	v_add_nc_u32_e32 v29, 0xfffffa00, v28
	;; [unrolled: 1-line block ×7, first 2 shown]
	ds_write_b32 v29, v4
	ds_write_b32 v30, v3
	;; [unrolled: 1-line block ×4, first 2 shown]
	v_add_nc_u32_e32 v29, 0xfffffac0, v28
	v_add_nc_u32_e32 v30, 0xfffffae0, v28
	v_add_nc_u32_e32 v31, 0xfffffb00, v28
	ds_write_b32 v33, v24
	ds_write_b32 v34, v23
	ds_write_b32 v29, v22
	ds_write_b32 v30, v21
	ds_write_b32 v31, v20
	v_add_nc_u32_e32 v29, 0xfffffb20, v28
	v_add_nc_u32_e32 v30, 0xfffffb40, v28
	v_add_nc_u32_e32 v31, 0xfffffb60, v28
	v_add_nc_u32_e32 v32, 0xfffffb80, v28
	v_add_nc_u32_e32 v33, 0xfffffba0, v28
	ds_write_b32 v29, v19
	ds_write_b32 v30, v18
	ds_write_b32 v31, v17
	ds_write_b32 v32, v16
	ds_write_b32 v33, v15
	v_add_nc_u32_e32 v29, 0xfffffbc0, v28
	v_add_nc_u32_e32 v30, 0xfffffbe0, v28
	;; [unrolled: 10-line block ×3, first 2 shown]
	v_add_nc_u32_e32 v31, 0xfffffca0, v28
	v_add_nc_u32_e32 v32, 0xfffffcc0, v28
	v_add_nc_u32_e32 v28, 0xfffffce0, v28
	ds_write_b32 v29, v7
	ds_write_b32 v30, v6
	;; [unrolled: 1-line block ×5, first 2 shown]
.LBB124_80:
	s_or_b32 exec_lo, exec_lo, s0
	v_lshlrev_b32_e32 v25, 2, v25
	v_and_b32_e32 v28, 3, v0
	s_mov_b32 s1, exec_lo
	s_waitcnt lgkmcnt(0)
	s_barrier
	v_add3_u32 v25, 0x1a0, v27, v25
	v_cmp_eq_u32_e32 vcc_lo, 0, v28
	buffer_gl0_inv
	v_cmpx_gt_u32_e32 64, v0
	s_cbranch_execz .LBB124_107
; %bb.81:
	s_and_saveexec_b32 s0, vcc_lo
	s_cbranch_execnz .LBB124_139
; %bb.82:
	s_or_b32 exec_lo, exec_lo, s0
	s_and_saveexec_b32 s0, vcc_lo
	s_cbranch_execnz .LBB124_140
.LBB124_83:
	s_or_b32 exec_lo, exec_lo, s0
	s_and_saveexec_b32 s0, vcc_lo
	s_cbranch_execnz .LBB124_141
.LBB124_84:
	s_or_b32 exec_lo, exec_lo, s0
	s_and_saveexec_b32 s0, vcc_lo
	s_cbranch_execnz .LBB124_142
.LBB124_85:
	s_or_b32 exec_lo, exec_lo, s0
	s_and_saveexec_b32 s0, vcc_lo
	s_cbranch_execnz .LBB124_143
.LBB124_86:
	s_or_b32 exec_lo, exec_lo, s0
	s_and_saveexec_b32 s0, vcc_lo
	s_cbranch_execnz .LBB124_144
.LBB124_87:
	s_or_b32 exec_lo, exec_lo, s0
	s_and_saveexec_b32 s0, vcc_lo
	s_cbranch_execnz .LBB124_145
.LBB124_88:
	s_or_b32 exec_lo, exec_lo, s0
	s_and_saveexec_b32 s0, vcc_lo
	s_cbranch_execnz .LBB124_146
.LBB124_89:
	s_or_b32 exec_lo, exec_lo, s0
	s_and_saveexec_b32 s0, vcc_lo
	s_cbranch_execnz .LBB124_147
.LBB124_90:
	s_or_b32 exec_lo, exec_lo, s0
	s_and_saveexec_b32 s0, vcc_lo
	s_cbranch_execnz .LBB124_148
.LBB124_91:
	s_or_b32 exec_lo, exec_lo, s0
	s_and_saveexec_b32 s0, vcc_lo
	s_cbranch_execnz .LBB124_149
.LBB124_92:
	s_or_b32 exec_lo, exec_lo, s0
	s_and_saveexec_b32 s0, vcc_lo
	s_cbranch_execnz .LBB124_150
.LBB124_93:
	s_or_b32 exec_lo, exec_lo, s0
	s_and_saveexec_b32 s0, vcc_lo
	s_cbranch_execnz .LBB124_151
.LBB124_94:
	s_or_b32 exec_lo, exec_lo, s0
	s_and_saveexec_b32 s0, vcc_lo
	s_cbranch_execnz .LBB124_152
.LBB124_95:
	s_or_b32 exec_lo, exec_lo, s0
	s_and_saveexec_b32 s0, vcc_lo
	s_cbranch_execnz .LBB124_153
.LBB124_96:
	s_or_b32 exec_lo, exec_lo, s0
	s_and_saveexec_b32 s0, vcc_lo
	s_cbranch_execnz .LBB124_154
.LBB124_97:
	s_or_b32 exec_lo, exec_lo, s0
	s_and_saveexec_b32 s0, vcc_lo
	s_cbranch_execnz .LBB124_155
.LBB124_98:
	s_or_b32 exec_lo, exec_lo, s0
	s_and_saveexec_b32 s0, vcc_lo
	s_cbranch_execnz .LBB124_156
.LBB124_99:
	s_or_b32 exec_lo, exec_lo, s0
	s_and_saveexec_b32 s0, vcc_lo
	s_cbranch_execnz .LBB124_157
.LBB124_100:
	s_or_b32 exec_lo, exec_lo, s0
	s_and_saveexec_b32 s0, vcc_lo
	s_cbranch_execnz .LBB124_158
.LBB124_101:
	s_or_b32 exec_lo, exec_lo, s0
	s_and_saveexec_b32 s0, vcc_lo
	s_cbranch_execnz .LBB124_159
.LBB124_102:
	s_or_b32 exec_lo, exec_lo, s0
	s_and_saveexec_b32 s0, vcc_lo
	s_cbranch_execnz .LBB124_160
.LBB124_103:
	s_or_b32 exec_lo, exec_lo, s0
	s_and_saveexec_b32 s0, vcc_lo
	s_cbranch_execnz .LBB124_161
.LBB124_104:
	s_or_b32 exec_lo, exec_lo, s0
	s_and_saveexec_b32 s0, vcc_lo
	s_cbranch_execz .LBB124_106
.LBB124_105:
	ds_read_b32 v27, v25 offset:736
	s_waitcnt lgkmcnt(0)
	v_add_f32_e32 v9, v9, v27
.LBB124_106:
	s_or_b32 exec_lo, exec_lo, s0
.LBB124_107:
	s_or_b32 exec_lo, exec_lo, s1
	v_and_b32_e32 v27, 0x3e3, v0
	s_mov_b32 s1, exec_lo
	s_barrier
	buffer_gl0_inv
	v_cmpx_eq_u32_e32 32, v27
	s_cbranch_execz .LBB124_109
; %bb.108:
	ds_write2_b32 v26, v4, v3 offset1:8
	ds_write2_b32 v26, v2, v1 offset0:16 offset1:24
	ds_write2_b32 v26, v24, v23 offset0:32 offset1:40
	;; [unrolled: 1-line block ×11, first 2 shown]
.LBB124_109:
	s_or_b32 exec_lo, exec_lo, s1
	s_mov_b32 s1, exec_lo
	s_waitcnt lgkmcnt(0)
	s_barrier
	buffer_gl0_inv
	v_cmpx_gt_u32_e32 32, v0
	s_cbranch_execz .LBB124_136
; %bb.110:
	s_and_saveexec_b32 s0, vcc_lo
	s_cbranch_execnz .LBB124_162
; %bb.111:
	s_or_b32 exec_lo, exec_lo, s0
	s_and_saveexec_b32 s0, vcc_lo
	s_cbranch_execnz .LBB124_163
.LBB124_112:
	s_or_b32 exec_lo, exec_lo, s0
	s_and_saveexec_b32 s0, vcc_lo
	s_cbranch_execnz .LBB124_164
.LBB124_113:
	s_or_b32 exec_lo, exec_lo, s0
	s_and_saveexec_b32 s0, vcc_lo
	s_cbranch_execnz .LBB124_165
.LBB124_114:
	s_or_b32 exec_lo, exec_lo, s0
	s_and_saveexec_b32 s0, vcc_lo
	s_cbranch_execnz .LBB124_166
.LBB124_115:
	s_or_b32 exec_lo, exec_lo, s0
	s_and_saveexec_b32 s0, vcc_lo
	s_cbranch_execnz .LBB124_167
.LBB124_116:
	s_or_b32 exec_lo, exec_lo, s0
	s_and_saveexec_b32 s0, vcc_lo
	s_cbranch_execnz .LBB124_168
.LBB124_117:
	s_or_b32 exec_lo, exec_lo, s0
	s_and_saveexec_b32 s0, vcc_lo
	s_cbranch_execnz .LBB124_169
.LBB124_118:
	s_or_b32 exec_lo, exec_lo, s0
	s_and_saveexec_b32 s0, vcc_lo
	s_cbranch_execnz .LBB124_170
.LBB124_119:
	s_or_b32 exec_lo, exec_lo, s0
	s_and_saveexec_b32 s0, vcc_lo
	s_cbranch_execnz .LBB124_171
.LBB124_120:
	s_or_b32 exec_lo, exec_lo, s0
	s_and_saveexec_b32 s0, vcc_lo
	s_cbranch_execnz .LBB124_172
.LBB124_121:
	s_or_b32 exec_lo, exec_lo, s0
	s_and_saveexec_b32 s0, vcc_lo
	s_cbranch_execnz .LBB124_173
.LBB124_122:
	s_or_b32 exec_lo, exec_lo, s0
	s_and_saveexec_b32 s0, vcc_lo
	s_cbranch_execnz .LBB124_174
.LBB124_123:
	s_or_b32 exec_lo, exec_lo, s0
	s_and_saveexec_b32 s0, vcc_lo
	s_cbranch_execnz .LBB124_175
.LBB124_124:
	s_or_b32 exec_lo, exec_lo, s0
	s_and_saveexec_b32 s0, vcc_lo
	s_cbranch_execnz .LBB124_176
.LBB124_125:
	s_or_b32 exec_lo, exec_lo, s0
	s_and_saveexec_b32 s0, vcc_lo
	s_cbranch_execnz .LBB124_177
.LBB124_126:
	s_or_b32 exec_lo, exec_lo, s0
	s_and_saveexec_b32 s0, vcc_lo
	s_cbranch_execnz .LBB124_178
.LBB124_127:
	s_or_b32 exec_lo, exec_lo, s0
	s_and_saveexec_b32 s0, vcc_lo
	s_cbranch_execnz .LBB124_179
.LBB124_128:
	s_or_b32 exec_lo, exec_lo, s0
	s_and_saveexec_b32 s0, vcc_lo
	s_cbranch_execnz .LBB124_180
.LBB124_129:
	s_or_b32 exec_lo, exec_lo, s0
	s_and_saveexec_b32 s0, vcc_lo
	s_cbranch_execnz .LBB124_181
.LBB124_130:
	s_or_b32 exec_lo, exec_lo, s0
	s_and_saveexec_b32 s0, vcc_lo
	s_cbranch_execnz .LBB124_182
.LBB124_131:
	s_or_b32 exec_lo, exec_lo, s0
	s_and_saveexec_b32 s0, vcc_lo
	s_cbranch_execnz .LBB124_183
.LBB124_132:
	s_or_b32 exec_lo, exec_lo, s0
	s_and_saveexec_b32 s0, vcc_lo
	s_cbranch_execnz .LBB124_184
.LBB124_133:
	s_or_b32 exec_lo, exec_lo, s0
	s_and_saveexec_b32 s0, vcc_lo
	s_cbranch_execz .LBB124_135
.LBB124_134:
	ds_read_b32 v25, v25 offset:736
	s_waitcnt lgkmcnt(0)
	v_add_f32_e32 v9, v9, v25
.LBB124_135:
	s_or_b32 exec_lo, exec_lo, s0
.LBB124_136:
	s_or_b32 exec_lo, exec_lo, s1
	s_barrier
	buffer_gl0_inv
	s_mov_b32 s0, exec_lo
	v_cmpx_eq_u32_e32 0, v27
	s_cbranch_execz .LBB124_138
; %bb.137:
	s_mul_i32 s0, s2, 0xc0
	s_mul_i32 s2, s7, s10
	s_ashr_i32 s1, s0, 31
	v_lshrrev_b32_e32 v0, 1, v0
	s_lshl_b64 s[0:1], s[0:1], 1
	;;#ASMSTART
	v_cvt_f16_f32 v4, v4;

	;;#ASMEND
	s_add_u32 s4, s20, s0
	s_addc_u32 s5, s21, s1
	s_ashr_i32 s3, s2, 31
	s_lshl_b64 s[0:1], s[2:3], 1
	s_mul_i32 s2, s8, 0xc0
	s_add_u32 s4, s4, s0
	s_addc_u32 s5, s5, s1
	s_ashr_i32 s3, s2, 31
	s_lshl_b64 s[0:1], s[2:3], 1
	s_add_u32 s0, s4, s0
	s_addc_u32 s1, s5, s1
	global_store_short v0, v4, s[0:1]
	;;#ASMSTART
	v_cvt_f16_f32 v3, v3;

	;;#ASMEND
	global_store_short v0, v3, s[0:1] offset:16
	;;#ASMSTART
	v_cvt_f16_f32 v2, v2;

	;;#ASMEND
	global_store_short v0, v2, s[0:1] offset:32
	;; [unrolled: 5-line block ×23, first 2 shown]
.LBB124_138:
	s_endpgm
.LBB124_139:
	ds_read_b32 v27, v25
	s_waitcnt lgkmcnt(0)
	v_add_f32_e32 v4, v4, v27
	s_or_b32 exec_lo, exec_lo, s0
	s_and_saveexec_b32 s0, vcc_lo
	s_cbranch_execz .LBB124_83
.LBB124_140:
	ds_read_b32 v27, v25 offset:32
	s_waitcnt lgkmcnt(0)
	v_add_f32_e32 v3, v3, v27
	s_or_b32 exec_lo, exec_lo, s0
	s_and_saveexec_b32 s0, vcc_lo
	s_cbranch_execz .LBB124_84
.LBB124_141:
	ds_read_b32 v27, v25 offset:64
	s_waitcnt lgkmcnt(0)
	v_add_f32_e32 v2, v2, v27
	s_or_b32 exec_lo, exec_lo, s0
	s_and_saveexec_b32 s0, vcc_lo
	s_cbranch_execz .LBB124_85
.LBB124_142:
	ds_read_b32 v27, v25 offset:96
	s_waitcnt lgkmcnt(0)
	v_add_f32_e32 v1, v1, v27
	s_or_b32 exec_lo, exec_lo, s0
	s_and_saveexec_b32 s0, vcc_lo
	s_cbranch_execz .LBB124_86
.LBB124_143:
	ds_read_b32 v27, v25 offset:128
	s_waitcnt lgkmcnt(0)
	v_add_f32_e32 v24, v24, v27
	s_or_b32 exec_lo, exec_lo, s0
	s_and_saveexec_b32 s0, vcc_lo
	s_cbranch_execz .LBB124_87
.LBB124_144:
	ds_read_b32 v27, v25 offset:160
	s_waitcnt lgkmcnt(0)
	v_add_f32_e32 v23, v23, v27
	s_or_b32 exec_lo, exec_lo, s0
	s_and_saveexec_b32 s0, vcc_lo
	s_cbranch_execz .LBB124_88
.LBB124_145:
	ds_read_b32 v27, v25 offset:192
	s_waitcnt lgkmcnt(0)
	v_add_f32_e32 v22, v22, v27
	s_or_b32 exec_lo, exec_lo, s0
	s_and_saveexec_b32 s0, vcc_lo
	s_cbranch_execz .LBB124_89
.LBB124_146:
	ds_read_b32 v27, v25 offset:224
	s_waitcnt lgkmcnt(0)
	v_add_f32_e32 v21, v21, v27
	s_or_b32 exec_lo, exec_lo, s0
	s_and_saveexec_b32 s0, vcc_lo
	s_cbranch_execz .LBB124_90
.LBB124_147:
	ds_read_b32 v27, v25 offset:256
	s_waitcnt lgkmcnt(0)
	v_add_f32_e32 v20, v20, v27
	s_or_b32 exec_lo, exec_lo, s0
	s_and_saveexec_b32 s0, vcc_lo
	s_cbranch_execz .LBB124_91
.LBB124_148:
	ds_read_b32 v27, v25 offset:288
	s_waitcnt lgkmcnt(0)
	v_add_f32_e32 v19, v19, v27
	s_or_b32 exec_lo, exec_lo, s0
	s_and_saveexec_b32 s0, vcc_lo
	s_cbranch_execz .LBB124_92
.LBB124_149:
	ds_read_b32 v27, v25 offset:320
	s_waitcnt lgkmcnt(0)
	v_add_f32_e32 v18, v18, v27
	s_or_b32 exec_lo, exec_lo, s0
	s_and_saveexec_b32 s0, vcc_lo
	s_cbranch_execz .LBB124_93
.LBB124_150:
	ds_read_b32 v27, v25 offset:352
	s_waitcnt lgkmcnt(0)
	v_add_f32_e32 v17, v17, v27
	s_or_b32 exec_lo, exec_lo, s0
	s_and_saveexec_b32 s0, vcc_lo
	s_cbranch_execz .LBB124_94
.LBB124_151:
	ds_read_b32 v27, v25 offset:384
	s_waitcnt lgkmcnt(0)
	v_add_f32_e32 v16, v16, v27
	s_or_b32 exec_lo, exec_lo, s0
	s_and_saveexec_b32 s0, vcc_lo
	s_cbranch_execz .LBB124_95
.LBB124_152:
	ds_read_b32 v27, v25 offset:416
	s_waitcnt lgkmcnt(0)
	v_add_f32_e32 v15, v15, v27
	s_or_b32 exec_lo, exec_lo, s0
	s_and_saveexec_b32 s0, vcc_lo
	s_cbranch_execz .LBB124_96
.LBB124_153:
	ds_read_b32 v27, v25 offset:448
	s_waitcnt lgkmcnt(0)
	v_add_f32_e32 v14, v14, v27
	s_or_b32 exec_lo, exec_lo, s0
	s_and_saveexec_b32 s0, vcc_lo
	s_cbranch_execz .LBB124_97
.LBB124_154:
	ds_read_b32 v27, v25 offset:480
	s_waitcnt lgkmcnt(0)
	v_add_f32_e32 v13, v13, v27
	s_or_b32 exec_lo, exec_lo, s0
	s_and_saveexec_b32 s0, vcc_lo
	s_cbranch_execz .LBB124_98
.LBB124_155:
	ds_read_b32 v27, v25 offset:512
	s_waitcnt lgkmcnt(0)
	v_add_f32_e32 v12, v12, v27
	s_or_b32 exec_lo, exec_lo, s0
	s_and_saveexec_b32 s0, vcc_lo
	s_cbranch_execz .LBB124_99
.LBB124_156:
	ds_read_b32 v27, v25 offset:544
	s_waitcnt lgkmcnt(0)
	v_add_f32_e32 v11, v11, v27
	s_or_b32 exec_lo, exec_lo, s0
	s_and_saveexec_b32 s0, vcc_lo
	s_cbranch_execz .LBB124_100
.LBB124_157:
	ds_read_b32 v27, v25 offset:576
	s_waitcnt lgkmcnt(0)
	v_add_f32_e32 v10, v10, v27
	s_or_b32 exec_lo, exec_lo, s0
	s_and_saveexec_b32 s0, vcc_lo
	s_cbranch_execz .LBB124_101
.LBB124_158:
	ds_read_b32 v27, v25 offset:608
	s_waitcnt lgkmcnt(0)
	v_add_f32_e32 v7, v7, v27
	s_or_b32 exec_lo, exec_lo, s0
	s_and_saveexec_b32 s0, vcc_lo
	s_cbranch_execz .LBB124_102
.LBB124_159:
	ds_read_b32 v27, v25 offset:640
	s_waitcnt lgkmcnt(0)
	v_add_f32_e32 v6, v6, v27
	s_or_b32 exec_lo, exec_lo, s0
	s_and_saveexec_b32 s0, vcc_lo
	s_cbranch_execz .LBB124_103
.LBB124_160:
	ds_read_b32 v27, v25 offset:672
	s_waitcnt lgkmcnt(0)
	v_add_f32_e32 v5, v5, v27
	s_or_b32 exec_lo, exec_lo, s0
	s_and_saveexec_b32 s0, vcc_lo
	s_cbranch_execz .LBB124_104
.LBB124_161:
	ds_read_b32 v27, v25 offset:704
	s_waitcnt lgkmcnt(0)
	v_add_f32_e32 v8, v8, v27
	s_or_b32 exec_lo, exec_lo, s0
	s_and_saveexec_b32 s0, vcc_lo
	s_cbranch_execnz .LBB124_105
	s_branch .LBB124_106
.LBB124_162:
	ds_read_b32 v26, v25
	s_waitcnt lgkmcnt(0)
	v_add_f32_e32 v4, v4, v26
	s_or_b32 exec_lo, exec_lo, s0
	s_and_saveexec_b32 s0, vcc_lo
	s_cbranch_execz .LBB124_112
.LBB124_163:
	ds_read_b32 v26, v25 offset:32
	s_waitcnt lgkmcnt(0)
	v_add_f32_e32 v3, v3, v26
	s_or_b32 exec_lo, exec_lo, s0
	s_and_saveexec_b32 s0, vcc_lo
	s_cbranch_execz .LBB124_113
.LBB124_164:
	ds_read_b32 v26, v25 offset:64
	s_waitcnt lgkmcnt(0)
	v_add_f32_e32 v2, v2, v26
	s_or_b32 exec_lo, exec_lo, s0
	s_and_saveexec_b32 s0, vcc_lo
	s_cbranch_execz .LBB124_114
.LBB124_165:
	ds_read_b32 v26, v25 offset:96
	s_waitcnt lgkmcnt(0)
	v_add_f32_e32 v1, v1, v26
	s_or_b32 exec_lo, exec_lo, s0
	s_and_saveexec_b32 s0, vcc_lo
	s_cbranch_execz .LBB124_115
.LBB124_166:
	ds_read_b32 v26, v25 offset:128
	s_waitcnt lgkmcnt(0)
	v_add_f32_e32 v24, v24, v26
	s_or_b32 exec_lo, exec_lo, s0
	s_and_saveexec_b32 s0, vcc_lo
	s_cbranch_execz .LBB124_116
.LBB124_167:
	ds_read_b32 v26, v25 offset:160
	s_waitcnt lgkmcnt(0)
	v_add_f32_e32 v23, v23, v26
	s_or_b32 exec_lo, exec_lo, s0
	s_and_saveexec_b32 s0, vcc_lo
	s_cbranch_execz .LBB124_117
.LBB124_168:
	ds_read_b32 v26, v25 offset:192
	s_waitcnt lgkmcnt(0)
	v_add_f32_e32 v22, v22, v26
	s_or_b32 exec_lo, exec_lo, s0
	s_and_saveexec_b32 s0, vcc_lo
	s_cbranch_execz .LBB124_118
.LBB124_169:
	ds_read_b32 v26, v25 offset:224
	s_waitcnt lgkmcnt(0)
	v_add_f32_e32 v21, v21, v26
	s_or_b32 exec_lo, exec_lo, s0
	s_and_saveexec_b32 s0, vcc_lo
	s_cbranch_execz .LBB124_119
.LBB124_170:
	ds_read_b32 v26, v25 offset:256
	s_waitcnt lgkmcnt(0)
	v_add_f32_e32 v20, v20, v26
	s_or_b32 exec_lo, exec_lo, s0
	s_and_saveexec_b32 s0, vcc_lo
	s_cbranch_execz .LBB124_120
.LBB124_171:
	ds_read_b32 v26, v25 offset:288
	s_waitcnt lgkmcnt(0)
	v_add_f32_e32 v19, v19, v26
	s_or_b32 exec_lo, exec_lo, s0
	s_and_saveexec_b32 s0, vcc_lo
	s_cbranch_execz .LBB124_121
.LBB124_172:
	ds_read_b32 v26, v25 offset:320
	s_waitcnt lgkmcnt(0)
	v_add_f32_e32 v18, v18, v26
	s_or_b32 exec_lo, exec_lo, s0
	s_and_saveexec_b32 s0, vcc_lo
	s_cbranch_execz .LBB124_122
.LBB124_173:
	ds_read_b32 v26, v25 offset:352
	s_waitcnt lgkmcnt(0)
	v_add_f32_e32 v17, v17, v26
	s_or_b32 exec_lo, exec_lo, s0
	s_and_saveexec_b32 s0, vcc_lo
	s_cbranch_execz .LBB124_123
.LBB124_174:
	ds_read_b32 v26, v25 offset:384
	s_waitcnt lgkmcnt(0)
	v_add_f32_e32 v16, v16, v26
	s_or_b32 exec_lo, exec_lo, s0
	s_and_saveexec_b32 s0, vcc_lo
	s_cbranch_execz .LBB124_124
.LBB124_175:
	ds_read_b32 v26, v25 offset:416
	s_waitcnt lgkmcnt(0)
	v_add_f32_e32 v15, v15, v26
	s_or_b32 exec_lo, exec_lo, s0
	s_and_saveexec_b32 s0, vcc_lo
	s_cbranch_execz .LBB124_125
.LBB124_176:
	ds_read_b32 v26, v25 offset:448
	s_waitcnt lgkmcnt(0)
	v_add_f32_e32 v14, v14, v26
	s_or_b32 exec_lo, exec_lo, s0
	s_and_saveexec_b32 s0, vcc_lo
	s_cbranch_execz .LBB124_126
.LBB124_177:
	ds_read_b32 v26, v25 offset:480
	s_waitcnt lgkmcnt(0)
	v_add_f32_e32 v13, v13, v26
	s_or_b32 exec_lo, exec_lo, s0
	s_and_saveexec_b32 s0, vcc_lo
	s_cbranch_execz .LBB124_127
.LBB124_178:
	ds_read_b32 v26, v25 offset:512
	s_waitcnt lgkmcnt(0)
	v_add_f32_e32 v12, v12, v26
	s_or_b32 exec_lo, exec_lo, s0
	s_and_saveexec_b32 s0, vcc_lo
	s_cbranch_execz .LBB124_128
.LBB124_179:
	ds_read_b32 v26, v25 offset:544
	s_waitcnt lgkmcnt(0)
	v_add_f32_e32 v11, v11, v26
	s_or_b32 exec_lo, exec_lo, s0
	s_and_saveexec_b32 s0, vcc_lo
	s_cbranch_execz .LBB124_129
.LBB124_180:
	ds_read_b32 v26, v25 offset:576
	s_waitcnt lgkmcnt(0)
	v_add_f32_e32 v10, v10, v26
	s_or_b32 exec_lo, exec_lo, s0
	s_and_saveexec_b32 s0, vcc_lo
	s_cbranch_execz .LBB124_130
.LBB124_181:
	ds_read_b32 v26, v25 offset:608
	s_waitcnt lgkmcnt(0)
	v_add_f32_e32 v7, v7, v26
	s_or_b32 exec_lo, exec_lo, s0
	s_and_saveexec_b32 s0, vcc_lo
	s_cbranch_execz .LBB124_131
.LBB124_182:
	ds_read_b32 v26, v25 offset:640
	s_waitcnt lgkmcnt(0)
	v_add_f32_e32 v6, v6, v26
	s_or_b32 exec_lo, exec_lo, s0
	s_and_saveexec_b32 s0, vcc_lo
	s_cbranch_execz .LBB124_132
.LBB124_183:
	ds_read_b32 v26, v25 offset:672
	s_waitcnt lgkmcnt(0)
	v_add_f32_e32 v5, v5, v26
	s_or_b32 exec_lo, exec_lo, s0
	s_and_saveexec_b32 s0, vcc_lo
	s_cbranch_execz .LBB124_133
.LBB124_184:
	ds_read_b32 v26, v25 offset:704
	s_waitcnt lgkmcnt(0)
	v_add_f32_e32 v8, v8, v26
	s_or_b32 exec_lo, exec_lo, s0
	s_and_saveexec_b32 s0, vcc_lo
	s_cbranch_execnz .LBB124_134
	s_branch .LBB124_135
	.section	.rodata,"a",@progbits
	.p2align	6, 0x0
	.amdhsa_kernel _ZN4vllm25paged_attention_v2_kernelIttLi192ELi32ELi128ELNS_18Fp8KVCacheDataTypeE0ELb0ELi512EEEvPfS2_PT_PKS3_PKT0_S9_ifPKiSB_iPKfiiiSD_SD_iiiii
		.amdhsa_group_segment_fixed_size 416
		.amdhsa_private_segment_fixed_size 0
		.amdhsa_kernarg_size 400
		.amdhsa_user_sgpr_count 6
		.amdhsa_user_sgpr_private_segment_buffer 1
		.amdhsa_user_sgpr_dispatch_ptr 0
		.amdhsa_user_sgpr_queue_ptr 0
		.amdhsa_user_sgpr_kernarg_segment_ptr 1
		.amdhsa_user_sgpr_dispatch_id 0
		.amdhsa_user_sgpr_flat_scratch_init 0
		.amdhsa_user_sgpr_private_segment_size 0
		.amdhsa_wavefront_size32 1
		.amdhsa_uses_dynamic_stack 0
		.amdhsa_system_sgpr_private_segment_wavefront_offset 0
		.amdhsa_system_sgpr_workgroup_id_x 1
		.amdhsa_system_sgpr_workgroup_id_y 1
		.amdhsa_system_sgpr_workgroup_id_z 1
		.amdhsa_system_sgpr_workgroup_info 0
		.amdhsa_system_vgpr_workitem_id 0
		.amdhsa_next_free_vgpr 128
		.amdhsa_next_free_sgpr 38
		.amdhsa_reserve_vcc 1
		.amdhsa_reserve_flat_scratch 0
		.amdhsa_float_round_mode_32 0
		.amdhsa_float_round_mode_16_64 0
		.amdhsa_float_denorm_mode_32 3
		.amdhsa_float_denorm_mode_16_64 3
		.amdhsa_dx10_clamp 1
		.amdhsa_ieee_mode 1
		.amdhsa_fp16_overflow 0
		.amdhsa_workgroup_processor_mode 1
		.amdhsa_memory_ordered 1
		.amdhsa_forward_progress 1
		.amdhsa_shared_vgpr_count 0
		.amdhsa_exception_fp_ieee_invalid_op 0
		.amdhsa_exception_fp_denorm_src 0
		.amdhsa_exception_fp_ieee_div_zero 0
		.amdhsa_exception_fp_ieee_overflow 0
		.amdhsa_exception_fp_ieee_underflow 0
		.amdhsa_exception_fp_ieee_inexact 0
		.amdhsa_exception_int_div_zero 0
	.end_amdhsa_kernel
	.section	.text._ZN4vllm25paged_attention_v2_kernelIttLi192ELi32ELi128ELNS_18Fp8KVCacheDataTypeE0ELb0ELi512EEEvPfS2_PT_PKS3_PKT0_S9_ifPKiSB_iPKfiiiSD_SD_iiiii,"axG",@progbits,_ZN4vllm25paged_attention_v2_kernelIttLi192ELi32ELi128ELNS_18Fp8KVCacheDataTypeE0ELb0ELi512EEEvPfS2_PT_PKS3_PKT0_S9_ifPKiSB_iPKfiiiSD_SD_iiiii,comdat
.Lfunc_end124:
	.size	_ZN4vllm25paged_attention_v2_kernelIttLi192ELi32ELi128ELNS_18Fp8KVCacheDataTypeE0ELb0ELi512EEEvPfS2_PT_PKS3_PKT0_S9_ifPKiSB_iPKfiiiSD_SD_iiiii, .Lfunc_end124-_ZN4vllm25paged_attention_v2_kernelIttLi192ELi32ELi128ELNS_18Fp8KVCacheDataTypeE0ELb0ELi512EEEvPfS2_PT_PKS3_PKT0_S9_ifPKiSB_iPKfiiiSD_SD_iiiii
                                        ; -- End function
	.set _ZN4vllm25paged_attention_v2_kernelIttLi192ELi32ELi128ELNS_18Fp8KVCacheDataTypeE0ELb0ELi512EEEvPfS2_PT_PKS3_PKT0_S9_ifPKiSB_iPKfiiiSD_SD_iiiii.num_vgpr, 128
	.set _ZN4vllm25paged_attention_v2_kernelIttLi192ELi32ELi128ELNS_18Fp8KVCacheDataTypeE0ELb0ELi512EEEvPfS2_PT_PKS3_PKT0_S9_ifPKiSB_iPKfiiiSD_SD_iiiii.num_agpr, 0
	.set _ZN4vllm25paged_attention_v2_kernelIttLi192ELi32ELi128ELNS_18Fp8KVCacheDataTypeE0ELb0ELi512EEEvPfS2_PT_PKS3_PKT0_S9_ifPKiSB_iPKfiiiSD_SD_iiiii.numbered_sgpr, 38
	.set _ZN4vllm25paged_attention_v2_kernelIttLi192ELi32ELi128ELNS_18Fp8KVCacheDataTypeE0ELb0ELi512EEEvPfS2_PT_PKS3_PKT0_S9_ifPKiSB_iPKfiiiSD_SD_iiiii.num_named_barrier, 0
	.set _ZN4vllm25paged_attention_v2_kernelIttLi192ELi32ELi128ELNS_18Fp8KVCacheDataTypeE0ELb0ELi512EEEvPfS2_PT_PKS3_PKT0_S9_ifPKiSB_iPKfiiiSD_SD_iiiii.private_seg_size, 0
	.set _ZN4vllm25paged_attention_v2_kernelIttLi192ELi32ELi128ELNS_18Fp8KVCacheDataTypeE0ELb0ELi512EEEvPfS2_PT_PKS3_PKT0_S9_ifPKiSB_iPKfiiiSD_SD_iiiii.uses_vcc, 1
	.set _ZN4vllm25paged_attention_v2_kernelIttLi192ELi32ELi128ELNS_18Fp8KVCacheDataTypeE0ELb0ELi512EEEvPfS2_PT_PKS3_PKT0_S9_ifPKiSB_iPKfiiiSD_SD_iiiii.uses_flat_scratch, 0
	.set _ZN4vllm25paged_attention_v2_kernelIttLi192ELi32ELi128ELNS_18Fp8KVCacheDataTypeE0ELb0ELi512EEEvPfS2_PT_PKS3_PKT0_S9_ifPKiSB_iPKfiiiSD_SD_iiiii.has_dyn_sized_stack, 0
	.set _ZN4vllm25paged_attention_v2_kernelIttLi192ELi32ELi128ELNS_18Fp8KVCacheDataTypeE0ELb0ELi512EEEvPfS2_PT_PKS3_PKT0_S9_ifPKiSB_iPKfiiiSD_SD_iiiii.has_recursion, 0
	.set _ZN4vllm25paged_attention_v2_kernelIttLi192ELi32ELi128ELNS_18Fp8KVCacheDataTypeE0ELb0ELi512EEEvPfS2_PT_PKS3_PKT0_S9_ifPKiSB_iPKfiiiSD_SD_iiiii.has_indirect_call, 0
	.section	.AMDGPU.csdata,"",@progbits
; Kernel info:
; codeLenInByte = 27420
; TotalNumSgprs: 40
; NumVgprs: 128
; ScratchSize: 0
; MemoryBound: 0
; FloatMode: 240
; IeeeMode: 1
; LDSByteSize: 416 bytes/workgroup (compile time only)
; SGPRBlocks: 0
; VGPRBlocks: 15
; NumSGPRsForWavesPerEU: 40
; NumVGPRsForWavesPerEU: 128
; Occupancy: 8
; WaveLimiterHint : 1
; COMPUTE_PGM_RSRC2:SCRATCH_EN: 0
; COMPUTE_PGM_RSRC2:USER_SGPR: 6
; COMPUTE_PGM_RSRC2:TRAP_HANDLER: 0
; COMPUTE_PGM_RSRC2:TGID_X_EN: 1
; COMPUTE_PGM_RSRC2:TGID_Y_EN: 1
; COMPUTE_PGM_RSRC2:TGID_Z_EN: 1
; COMPUTE_PGM_RSRC2:TIDIG_COMP_CNT: 0
	.section	.text._ZN4vllm25paged_attention_v2_kernelIttLi256ELi32ELi128ELNS_18Fp8KVCacheDataTypeE0ELb0ELi512EEEvPfS2_PT_PKS3_PKT0_S9_ifPKiSB_iPKfiiiSD_SD_iiiii,"axG",@progbits,_ZN4vllm25paged_attention_v2_kernelIttLi256ELi32ELi128ELNS_18Fp8KVCacheDataTypeE0ELb0ELi512EEEvPfS2_PT_PKS3_PKT0_S9_ifPKiSB_iPKfiiiSD_SD_iiiii,comdat
	.protected	_ZN4vllm25paged_attention_v2_kernelIttLi256ELi32ELi128ELNS_18Fp8KVCacheDataTypeE0ELb0ELi512EEEvPfS2_PT_PKS3_PKT0_S9_ifPKiSB_iPKfiiiSD_SD_iiiii ; -- Begin function _ZN4vllm25paged_attention_v2_kernelIttLi256ELi32ELi128ELNS_18Fp8KVCacheDataTypeE0ELb0ELi512EEEvPfS2_PT_PKS3_PKT0_S9_ifPKiSB_iPKfiiiSD_SD_iiiii
	.globl	_ZN4vllm25paged_attention_v2_kernelIttLi256ELi32ELi128ELNS_18Fp8KVCacheDataTypeE0ELb0ELi512EEEvPfS2_PT_PKS3_PKT0_S9_ifPKiSB_iPKfiiiSD_SD_iiiii
	.p2align	8
	.type	_ZN4vllm25paged_attention_v2_kernelIttLi256ELi32ELi128ELNS_18Fp8KVCacheDataTypeE0ELb0ELi512EEEvPfS2_PT_PKS3_PKT0_S9_ifPKiSB_iPKfiiiSD_SD_iiiii,@function
_ZN4vllm25paged_attention_v2_kernelIttLi256ELi32ELi128ELNS_18Fp8KVCacheDataTypeE0ELb0ELi512EEEvPfS2_PT_PKS3_PKT0_S9_ifPKiSB_iPKfiiiSD_SD_iiiii: ; @_ZN4vllm25paged_attention_v2_kernelIttLi256ELi32ELi128ELNS_18Fp8KVCacheDataTypeE0ELb0ELi512EEEvPfS2_PT_PKS3_PKT0_S9_ifPKiSB_iPKfiiiSD_SD_iiiii
; %bb.0:
	s_mov_b64 s[42:43], s[2:3]
	s_mov_b64 s[40:41], s[0:1]
	s_load_dwordx2 s[0:1], s[4:5], 0x40
	s_add_u32 s40, s40, s9
	s_addc_u32 s41, s41, 0
	s_mov_b32 s26, s7
	s_ashr_i32 s27, s7, 31
	s_lshl_b64 s[2:3], s[26:27], 2
	s_waitcnt lgkmcnt(0)
	s_add_u32 s0, s0, s2
	s_addc_u32 s1, s1, s3
	s_lshl_b32 s30, s8, 9
	s_load_dword s27, s[0:1], 0x0
	s_waitcnt lgkmcnt(0)
	s_cmp_ge_i32 s30, s27
	s_cbranch_scc1 .LBB125_170
; %bb.1:
	s_clause 0x1
	s_load_dword s9, s[4:5], 0x90
	s_load_dwordx2 s[2:3], s[4:5], 0x30
	s_mov_b32 s33, 0
	s_waitcnt lgkmcnt(0)
	s_abs_i32 s10, s9
	s_abs_i32 s0, s2
	s_xor_b32 s2, s9, s2
	v_cvt_f32_u32_e32 v1, s0
	s_sub_i32 s7, 0, s0
	s_ashr_i32 s2, s2, 31
	v_rcp_iflag_f32_e32 v1, v1
	v_mul_f32_e32 v1, 0x4f7ffffe, v1
	v_cvt_u32_f32_e32 v1, v1
	v_readfirstlane_b32 s1, v1
	s_mul_i32 s7, s7, s1
	s_mul_hi_u32 s7, s1, s7
	s_add_i32 s1, s1, s7
	s_mul_hi_u32 s1, s10, s1
	s_mul_i32 s7, s1, s0
	s_sub_i32 s7, s10, s7
	s_add_i32 s10, s1, 1
	s_sub_i32 s11, s7, s0
	s_cmp_ge_u32 s7, s0
	s_cselect_b32 s1, s10, s1
	s_cselect_b32 s7, s11, s7
	s_add_i32 s10, s1, 1
	s_cmp_ge_u32 s7, s0
	s_cselect_b32 s0, s10, s1
	s_abs_i32 s29, s6
	s_xor_b32 s0, s0, s2
	s_sub_i32 s10, s0, s2
	s_load_dwordx2 s[0:1], s[4:5], 0x50
	s_abs_i32 s2, s10
	v_cvt_f32_u32_e32 v1, s2
	s_sub_i32 s11, 0, s2
	v_rcp_iflag_f32_e32 v1, v1
	v_mul_f32_e32 v1, 0x4f7ffffe, v1
	v_cvt_u32_f32_e32 v1, v1
	v_readfirstlane_b32 s7, v1
	s_mul_i32 s11, s11, s7
	s_mul_hi_u32 s11, s7, s11
	s_add_i32 s7, s7, s11
	s_waitcnt lgkmcnt(0)
	s_cmp_eq_u64 s[0:1], 0
	s_mul_hi_u32 s28, s29, s7
	s_cbranch_scc1 .LBB125_3
; %bb.2:
	s_ashr_i32 s7, s6, 31
	s_lshl_b64 s[12:13], s[6:7], 2
	s_add_u32 s0, s0, s12
	s_addc_u32 s1, s1, s13
	s_load_dword s33, s[0:1], 0x0
.LBB125_3:
	s_clause 0x1
	s_load_dwordx2 s[24:25], s[4:5], 0x38
	s_load_dwordx4 s[12:15], s[4:5], 0x58
	v_cmp_gt_u32_e64 s0, 32, v0
	s_ashr_i32 s1, s6, 31
	s_waitcnt lgkmcnt(0)
	s_ashr_i32 s15, s10, 31
	s_lshl_b32 s10, s6, 8
	s_and_saveexec_b32 s7, s0
	s_cbranch_execz .LBB125_5
; %bb.4:
	s_load_dwordx2 s[16:17], s[4:5], 0x18
	s_mul_i32 s18, s12, s26
	v_lshlrev_b32_e32 v5, 4, v0
	s_ashr_i32 s19, s18, 31
	s_lshl_b64 s[18:19], s[18:19], 1
	s_waitcnt lgkmcnt(0)
	s_add_u32 s12, s16, s18
	s_addc_u32 s18, s17, s19
	s_ashr_i32 s11, s10, 31
	s_lshl_b64 s[16:17], s[10:11], 1
	s_add_u32 s16, s12, s16
	s_addc_u32 s17, s18, s17
	global_load_dwordx4 v[1:4], v5, s[16:17]
	s_waitcnt vmcnt(0)
	ds_write_b128 v5, v[1:4]
.LBB125_5:
	s_or_b32 exec_lo, exec_lo, s7
	s_add_i32 s7, s27, 31
	s_clause 0x1
	s_load_dwordx4 s[16:19], s[4:5], 0x0
	s_load_dwordx2 s[20:21], s[4:5], 0x10
	s_ashr_i32 s11, s7, 31
	s_lshl_b32 s31, s8, 4
	s_lshr_b32 s11, s11, 27
	s_mul_i32 s35, s28, s2
	s_add_i32 s7, s7, s11
	s_add_i32 s11, s31, 16
	s_ashr_i32 s12, s7, 5
	s_clause 0x2
	s_load_dwordx2 s[22:23], s[4:5], 0x28
	s_load_dword s7, s[4:5], 0x98
	s_load_dword s34, s[4:5], 0x48
	s_xor_b32 s1, s1, s15
	s_sub_i32 s15, s29, s35
	s_min_i32 s11, s11, s12
	s_add_i32 s29, s28, 1
	s_sub_i32 s35, s15, s2
	s_cmp_ge_u32 s15, s2
	v_lshrrev_b32_e32 v121, 5, v0
	s_cselect_b32 s28, s29, s28
	s_cselect_b32 s15, s35, s15
	s_add_i32 s29, s28, 1
	s_cmp_ge_u32 s15, s2
	v_add_nc_u32_e32 v123, s31, v121
	v_and_b32_e32 v122, 31, v0
	s_cselect_b32 s2, s29, s28
	v_mov_b32_e32 v5, 0xff7fffff
	s_xor_b32 s2, s2, s1
	s_waitcnt lgkmcnt(0)
	s_sub_i32 s2, s2, s1
	v_cmp_gt_i32_e64 s1, s11, v123
	v_lshlrev_b32_e32 v13, 2, v122
	s_mul_i32 s28, s34, s26
	s_mul_i32 s14, s2, s14
	s_ashr_i32 s29, s28, 31
	s_barrier
	buffer_gl0_inv
	s_and_saveexec_b32 s34, s1
	s_cbranch_execz .LBB125_9
; %bb.6:
	s_load_dwordx2 s[4:5], s[4:5], 0x20
	s_ashr_i32 s15, s14, 31
	v_lshlrev_b32_e32 v2, 4, v122
	buffer_store_dword v0, off, s[40:43], 0 offset:116 ; 4-byte Folded Spill
	v_lshlrev_b32_e32 v0, 5, v121
	v_lshl_or_b32 v1, v121, 7, v13
	v_ashrrev_i32_e32 v124, 31, v123
	s_lshl_b64 s[36:37], s[14:15], 1
	buffer_store_dword v121, off, s[40:43], 0 offset:120 ; 4-byte Folded Spill
	buffer_store_dword v13, off, s[40:43], 0 offset:132 ; 4-byte Folded Spill
	v_add3_u32 v3, s30, v0, v122
	v_add_nc_u32_e32 v4, 0x220, v1
	v_lshlrev_b64 v[0:1], 2, v[123:124]
	v_cmp_neq_f32_e64 vcc_lo, s33, 0
	v_mov_b32_e32 v5, 0xff7fffff
	s_mov_b32 s15, s13
	buffer_store_dword v122, off, s[40:43], 0 offset:136 ; 4-byte Folded Spill
	s_waitcnt lgkmcnt(0)
	s_add_u32 s2, s4, s36
	s_addc_u32 s5, s5, s37
	v_add_co_u32 v2, s2, s2, v2
	s_lshl_b64 s[36:37], s[28:29], 2
	s_sub_i32 s4, 1, s27
	buffer_store_dword v2, off, s[40:43], 0 offset:108 ; 4-byte Folded Spill
	v_add_co_ci_u32_e64 v2, null, s5, 0, s2
	s_add_u32 s2, s24, s36
	s_addc_u32 s5, s25, s37
	v_add_co_u32 v6, s2, s2, v0
	v_add_co_ci_u32_e64 v7, null, s5, v1, s2
	v_mov_b32_e32 v0, v123
	s_mov_b32 s5, 0
	buffer_store_dword v2, off, s[40:43], 0 offset:112 ; 4-byte Folded Spill
	buffer_store_dword v0, off, s[40:43], 0 offset:124 ; 4-byte Folded Spill
	;; [unrolled: 1-line block ×3, first 2 shown]
.LBB125_7:                              ; =>This Inner Loop Header: Depth=1
	buffer_store_dword v0, off, s[40:43], 0 offset:20 ; 4-byte Folded Spill
	buffer_store_dword v6, off, s[40:43], 0 offset:12 ; 4-byte Folded Spill
	;; [unrolled: 1-line block ×4, first 2 shown]
	buffer_store_dword v3, off, s[40:43], 0 ; 4-byte Folded Spill
	buffer_store_dword v5, off, s[40:43], 0 offset:4 ; 4-byte Folded Spill
	buffer_load_dword v2, off, s[40:43], 0 offset:108 ; 4-byte Folded Reload
	v_mov_b32_e32 v20, 0
	global_load_dword v0, v[6:7], off
	s_waitcnt vmcnt(0)
	v_mad_i64_i32 v[0:1], null, v0, s15, 0
	v_lshlrev_b64 v[0:1], 1, v[0:1]
	v_add_co_u32 v0, s2, v2, v0
	buffer_load_dword v2, off, s[40:43], 0 offset:112 ; 4-byte Folded Reload
	s_waitcnt vmcnt(0)
	v_add_co_ci_u32_e64 v1, null, v2, v1, s2
	v_add_nc_u32_e32 v2, s4, v3
	v_cvt_f32_i32_e32 v2, v2
	v_mul_f32_e32 v2, s33, v2
	v_cndmask_b32_e32 v2, 0, v2, vcc_lo
	buffer_store_dword v2, off, s[40:43], 0 offset:24 ; 4-byte Folded Spill
	v_add_co_u32 v2, s2, 0x800, v0
	v_add_co_ci_u32_e64 v3, null, 0, v1, s2
	v_add_co_u32 v9, s2, v0, 0x1000
	v_add_co_ci_u32_e64 v10, null, 0, v1, s2
	s_clause 0x7
	global_load_dwordx4 v[4:7], v[0:1], off
	global_load_dwordx4 v[121:124], v[0:1], off offset:512
	global_load_dwordx4 v[117:120], v[0:1], off offset:1024
	;; [unrolled: 1-line block ×3, first 2 shown]
	global_load_dwordx4 v[109:112], v[9:10], off offset:-2048
	global_load_dwordx4 v[105:108], v[2:3], off offset:512
	global_load_dwordx4 v[101:104], v[2:3], off offset:1024
	;; [unrolled: 1-line block ×3, first 2 shown]
	v_add_co_u32 v2, s2, 0x1000, v0
	v_add_co_ci_u32_e64 v3, null, 0, v1, s2
	s_clause 0x3
	global_load_dwordx4 v[93:96], v[9:10], off
	global_load_dwordx4 v[89:92], v[2:3], off offset:512
	global_load_dwordx4 v[85:88], v[2:3], off offset:1024
	;; [unrolled: 1-line block ×3, first 2 shown]
	v_add_co_u32 v2, s2, 0x1800, v0
	v_add_co_ci_u32_e64 v3, null, 0, v1, s2
	v_add_co_u32 v9, s2, v0, 0x2000
	v_add_co_ci_u32_e64 v10, null, 0, v1, s2
	s_clause 0x3
	global_load_dwordx4 v[77:80], v[9:10], off offset:-2048
	global_load_dwordx4 v[73:76], v[2:3], off offset:512
	global_load_dwordx4 v[69:72], v[2:3], off offset:1024
	;; [unrolled: 1-line block ×3, first 2 shown]
	v_add_co_u32 v2, s2, 0x2000, v0
	v_add_co_ci_u32_e64 v3, null, 0, v1, s2
	s_clause 0x3
	global_load_dwordx4 v[61:64], v[9:10], off
	global_load_dwordx4 v[57:60], v[2:3], off offset:512
	global_load_dwordx4 v[53:56], v[2:3], off offset:1024
	global_load_dwordx4 v[49:52], v[2:3], off offset:1536
	v_add_co_u32 v2, s2, 0x2800, v0
	v_add_co_ci_u32_e64 v3, null, 0, v1, s2
	v_add_co_u32 v9, s2, v0, 0x3000
	v_add_co_ci_u32_e64 v10, null, 0, v1, s2
	s_clause 0x3
	global_load_dwordx4 v[45:48], v[9:10], off offset:-2048
	global_load_dwordx4 v[41:44], v[2:3], off offset:512
	global_load_dwordx4 v[37:40], v[2:3], off offset:1024
	;; [unrolled: 1-line block ×3, first 2 shown]
	v_add_co_u32 v2, s2, 0x3000, v0
	v_add_co_ci_u32_e64 v3, null, 0, v1, s2
	s_clause 0x3
	global_load_dwordx4 v[29:32], v[9:10], off
	global_load_dwordx4 v[25:28], v[2:3], off offset:512
	global_load_dwordx4 v[21:24], v[2:3], off offset:1024
	;; [unrolled: 1-line block ×3, first 2 shown]
	v_add_co_u32 v0, s2, 0x3800, v0
	v_add_co_ci_u32_e64 v1, null, 0, v1, s2
	s_waitcnt vmcnt(0)
	buffer_store_dword v8, off, s[40:43], 0 offset:92 ; 4-byte Folded Spill
	buffer_store_dword v9, off, s[40:43], 0 offset:96 ; 4-byte Folded Spill
	;; [unrolled: 1-line block ×4, first 2 shown]
	global_load_dwordx4 v[8:11], v[0:1], off
	v_lshrrev_b32_e32 v19, 16, v121
	s_waitcnt vmcnt(0)
	buffer_store_dword v8, off, s[40:43], 0 offset:76 ; 4-byte Folded Spill
	buffer_store_dword v9, off, s[40:43], 0 offset:80 ; 4-byte Folded Spill
	buffer_store_dword v10, off, s[40:43], 0 offset:84 ; 4-byte Folded Spill
	buffer_store_dword v11, off, s[40:43], 0 offset:88 ; 4-byte Folded Spill
	global_load_dwordx4 v[8:11], v[0:1], off offset:512
	s_waitcnt vmcnt(0)
	buffer_store_dword v8, off, s[40:43], 0 offset:60 ; 4-byte Folded Spill
	buffer_store_dword v9, off, s[40:43], 0 offset:64 ; 4-byte Folded Spill
	buffer_store_dword v10, off, s[40:43], 0 offset:68 ; 4-byte Folded Spill
	buffer_store_dword v11, off, s[40:43], 0 offset:72 ; 4-byte Folded Spill
	global_load_dwordx4 v[8:11], v[0:1], off offset:1024
	;; [unrolled: 6-line block ×3, first 2 shown]
	s_waitcnt vmcnt(0)
	buffer_store_dword v0, off, s[40:43], 0 offset:28 ; 4-byte Folded Spill
	buffer_store_dword v1, off, s[40:43], 0 offset:32 ; 4-byte Folded Spill
	;; [unrolled: 1-line block ×4, first 2 shown]
	buffer_load_dword v0, off, s[40:43], 0  ; 4-byte Folded Reload
	s_waitcnt vmcnt(0)
	v_cmp_gt_i32_e64 s2, s27, v0
	ds_read_b128 v[0:3], v20
	s_waitcnt lgkmcnt(0)
	v_lshrrev_b32_e32 v8, 16, v0
	v_and_b32_e32 v0, 0xffff, v0
	;;#ASMSTART
	v_cvt_f32_f16 v125, v0;
	;;#ASMEND
	v_lshrrev_b32_e32 v0, 16, v4
	;;#ASMSTART
	v_cvt_f32_f16 v126, v8;
	;;#ASMEND
	v_and_b32_e32 v4, 0xffff, v4
	;;#ASMSTART
	v_cvt_f32_f16 v127, v4;
	;;#ASMEND
	;;#ASMSTART
	v_cvt_f32_f16 v8, v0;
	;;#ASMEND
	v_lshrrev_b32_e32 v0, 16, v1
	v_and_b32_e32 v1, 0xffff, v1
	;;#ASMSTART
	v_cvt_f32_f16 v9, v1;
	;;#ASMEND
	;;#ASMSTART
	v_cvt_f32_f16 v10, v0;
	;;#ASMEND
	v_lshrrev_b32_e32 v0, 16, v5
	;; [unrolled: 8-line block ×6, first 2 shown]
	v_and_b32_e32 v1, 0xffff, v7
	;;#ASMSTART
	v_cvt_f32_f16 v7, v1;
	;;#ASMEND
	;;#ASMSTART
	v_cvt_f32_f16 v18, v0;
	;;#ASMEND
	ds_read_b128 v[2:5], v20 offset:16
	s_waitcnt lgkmcnt(0)
	v_lshrrev_b32_e32 v1, 16, v2
	v_and_b32_e32 v0, 0xffff, v2
	;;#ASMSTART
	v_cvt_f32_f16 v0, v0;
	;;#ASMEND
	;;#ASMSTART
	v_cvt_f32_f16 v1, v1;
	;;#ASMEND
	v_and_b32_e32 v2, 0xffff, v121
	;;#ASMSTART
	v_cvt_f32_f16 v2, v2;
	;;#ASMEND
	;;#ASMSTART
	v_cvt_f32_f16 v19, v19;
	;;#ASMEND
	v_mul_f32_e32 v1, v1, v19
	v_mul_f32_e32 v0, v0, v2
	v_and_b32_e32 v2, 0xffff, v3
	;;#ASMSTART
	v_cvt_f32_f16 v2, v2;
	;;#ASMEND
	v_lshrrev_b32_e32 v19, 16, v122
	v_fmac_f32_e32 v1, v126, v8
	v_lshrrev_b32_e32 v8, 16, v3
	;;#ASMSTART
	v_cvt_f32_f16 v3, v8;
	;;#ASMEND
	v_and_b32_e32 v8, 0xffff, v122
	;;#ASMSTART
	v_cvt_f32_f16 v8, v8;
	;;#ASMEND
	v_mul_f32_e32 v2, v2, v8
	v_lshrrev_b32_e32 v8, 16, v4
	v_and_b32_e32 v4, 0xffff, v4
	;;#ASMSTART
	v_cvt_f32_f16 v19, v19;
	;;#ASMEND
	v_mul_f32_e32 v3, v3, v19
	v_fmac_f32_e32 v2, v9, v12
	v_and_b32_e32 v9, 0xffff, v123
	;;#ASMSTART
	v_cvt_f32_f16 v4, v4;
	;;#ASMEND
	;;#ASMSTART
	v_cvt_f32_f16 v8, v8;
	;;#ASMEND
	;; [unrolled: 3-line block ×3, first 2 shown]
	v_mul_f32_e32 v121, v4, v9
	v_fmac_f32_e32 v3, v10, v11
	v_lshrrev_b32_e32 v10, 16, v123
	v_and_b32_e32 v4, 0xffff, v5
	;;#ASMSTART
	v_cvt_f32_f16 v10, v10;
	;;#ASMEND
	v_fmac_f32_e32 v121, v13, v6
	v_lshrrev_b32_e32 v6, 16, v5
	;;#ASMSTART
	v_cvt_f32_f16 v4, v4;
	;;#ASMEND
	;;#ASMSTART
	v_cvt_f32_f16 v5, v6;
	;;#ASMEND
	v_and_b32_e32 v6, 0xffff, v124
	;;#ASMSTART
	v_cvt_f32_f16 v6, v6;
	;;#ASMEND
	v_mul_f32_e32 v123, v4, v6
	v_mul_f32_e32 v122, v8, v10
	v_lshrrev_b32_e32 v8, 16, v124
	;;#ASMSTART
	v_cvt_f32_f16 v8, v8;
	;;#ASMEND
	v_mul_f32_e32 v124, v5, v8
	v_fmac_f32_e32 v123, v16, v7
	ds_read_b128 v[4:7], v20 offset:32
	v_fmac_f32_e32 v0, v125, v127
	v_fmac_f32_e32 v122, v14, v15
	v_lshrrev_b32_e32 v10, 16, v117
	v_and_b32_e32 v9, 0xffff, v117
	v_fmac_f32_e32 v124, v17, v18
	s_waitcnt lgkmcnt(0)
	v_lshrrev_b32_e32 v8, 16, v4
	v_and_b32_e32 v4, 0xffff, v4
	;;#ASMSTART
	v_cvt_f32_f16 v4, v4;
	;;#ASMEND
	;;#ASMSTART
	v_cvt_f32_f16 v8, v8;
	;;#ASMEND
	;; [unrolled: 3-line block ×4, first 2 shown]
	v_fmac_f32_e32 v0, v4, v9
	v_fmac_f32_e32 v1, v8, v10
	v_lshrrev_b32_e32 v8, 16, v5
	v_and_b32_e32 v4, 0xffff, v5
	;;#ASMSTART
	v_cvt_f32_f16 v4, v4;
	;;#ASMEND
	;;#ASMSTART
	v_cvt_f32_f16 v5, v8;
	;;#ASMEND
	v_lshrrev_b32_e32 v9, 16, v118
	v_and_b32_e32 v8, 0xffff, v118
	;;#ASMSTART
	v_cvt_f32_f16 v8, v8;
	;;#ASMEND
	;;#ASMSTART
	v_cvt_f32_f16 v9, v9;
	;;#ASMEND
	v_fmac_f32_e32 v2, v4, v8
	v_fmac_f32_e32 v3, v5, v9
	v_lshrrev_b32_e32 v5, 16, v6
	v_and_b32_e32 v4, 0xffff, v6
	v_and_b32_e32 v6, 0xffff, v119
	;;#ASMSTART
	v_cvt_f32_f16 v4, v4;
	;;#ASMEND
	;;#ASMSTART
	v_cvt_f32_f16 v5, v5;
	;;#ASMEND
	v_lshrrev_b32_e32 v8, 16, v119
	;;#ASMSTART
	v_cvt_f32_f16 v6, v6;
	;;#ASMEND
	;;#ASMSTART
	v_cvt_f32_f16 v8, v8;
	;;#ASMEND
	v_fmac_f32_e32 v121, v4, v6
	v_fmac_f32_e32 v122, v5, v8
	v_lshrrev_b32_e32 v5, 16, v7
	v_and_b32_e32 v4, 0xffff, v7
	v_lshrrev_b32_e32 v7, 16, v120
	v_and_b32_e32 v6, 0xffff, v120
	;;#ASMSTART
	v_cvt_f32_f16 v4, v4;
	;;#ASMEND
	;;#ASMSTART
	v_cvt_f32_f16 v5, v5;
	;;#ASMEND
	;; [unrolled: 3-line block ×4, first 2 shown]
	v_fmac_f32_e32 v123, v4, v6
	v_fmac_f32_e32 v124, v5, v7
	ds_read_b128 v[4:7], v20 offset:48
	v_lshrrev_b32_e32 v10, 16, v113
	v_and_b32_e32 v9, 0xffff, v113
	s_waitcnt lgkmcnt(0)
	v_lshrrev_b32_e32 v8, 16, v4
	v_and_b32_e32 v4, 0xffff, v4
	;;#ASMSTART
	v_cvt_f32_f16 v4, v4;
	;;#ASMEND
	;;#ASMSTART
	v_cvt_f32_f16 v8, v8;
	;;#ASMEND
	;; [unrolled: 3-line block ×4, first 2 shown]
	v_fmac_f32_e32 v0, v4, v9
	v_fmac_f32_e32 v1, v8, v10
	v_lshrrev_b32_e32 v8, 16, v5
	v_and_b32_e32 v4, 0xffff, v5
	;;#ASMSTART
	v_cvt_f32_f16 v4, v4;
	;;#ASMEND
	;;#ASMSTART
	v_cvt_f32_f16 v5, v8;
	;;#ASMEND
	v_lshrrev_b32_e32 v9, 16, v114
	v_and_b32_e32 v8, 0xffff, v114
	;;#ASMSTART
	v_cvt_f32_f16 v8, v8;
	;;#ASMEND
	;;#ASMSTART
	v_cvt_f32_f16 v9, v9;
	;;#ASMEND
	v_fmac_f32_e32 v2, v4, v8
	v_fmac_f32_e32 v3, v5, v9
	v_lshrrev_b32_e32 v5, 16, v6
	v_and_b32_e32 v4, 0xffff, v6
	v_and_b32_e32 v6, 0xffff, v115
	;;#ASMSTART
	v_cvt_f32_f16 v4, v4;
	;;#ASMEND
	;;#ASMSTART
	v_cvt_f32_f16 v5, v5;
	;;#ASMEND
	v_lshrrev_b32_e32 v8, 16, v115
	;;#ASMSTART
	v_cvt_f32_f16 v6, v6;
	;;#ASMEND
	;;#ASMSTART
	v_cvt_f32_f16 v8, v8;
	;;#ASMEND
	v_fmac_f32_e32 v121, v4, v6
	v_fmac_f32_e32 v122, v5, v8
	v_lshrrev_b32_e32 v5, 16, v7
	v_and_b32_e32 v4, 0xffff, v7
	v_lshrrev_b32_e32 v7, 16, v116
	v_and_b32_e32 v6, 0xffff, v116
	;;#ASMSTART
	v_cvt_f32_f16 v4, v4;
	;;#ASMEND
	;;#ASMSTART
	v_cvt_f32_f16 v5, v5;
	;;#ASMEND
	;;#ASMSTART
	v_cvt_f32_f16 v6, v6;
	;;#ASMEND
	;;#ASMSTART
	v_cvt_f32_f16 v7, v7;
	;;#ASMEND
	v_fmac_f32_e32 v123, v4, v6
	v_fmac_f32_e32 v124, v5, v7
	ds_read_b128 v[4:7], v20 offset:64
	v_lshrrev_b32_e32 v10, 16, v109
	v_and_b32_e32 v9, 0xffff, v109
	s_waitcnt lgkmcnt(0)
	v_lshrrev_b32_e32 v8, 16, v4
	v_and_b32_e32 v4, 0xffff, v4
	;;#ASMSTART
	v_cvt_f32_f16 v4, v4;
	;;#ASMEND
	;;#ASMSTART
	v_cvt_f32_f16 v8, v8;
	;;#ASMEND
	;; [unrolled: 3-line block ×4, first 2 shown]
	v_fmac_f32_e32 v0, v4, v9
	v_fmac_f32_e32 v1, v8, v10
	v_lshrrev_b32_e32 v8, 16, v5
	v_and_b32_e32 v4, 0xffff, v5
	;;#ASMSTART
	v_cvt_f32_f16 v4, v4;
	;;#ASMEND
	;;#ASMSTART
	v_cvt_f32_f16 v5, v8;
	;;#ASMEND
	v_lshrrev_b32_e32 v9, 16, v110
	v_and_b32_e32 v8, 0xffff, v110
	;;#ASMSTART
	v_cvt_f32_f16 v8, v8;
	;;#ASMEND
	;;#ASMSTART
	v_cvt_f32_f16 v9, v9;
	;;#ASMEND
	v_fmac_f32_e32 v2, v4, v8
	v_fmac_f32_e32 v3, v5, v9
	v_lshrrev_b32_e32 v5, 16, v6
	v_and_b32_e32 v4, 0xffff, v6
	v_and_b32_e32 v6, 0xffff, v111
	;;#ASMSTART
	v_cvt_f32_f16 v4, v4;
	;;#ASMEND
	;;#ASMSTART
	v_cvt_f32_f16 v5, v5;
	;;#ASMEND
	v_lshrrev_b32_e32 v8, 16, v111
	;;#ASMSTART
	v_cvt_f32_f16 v6, v6;
	;;#ASMEND
	;;#ASMSTART
	v_cvt_f32_f16 v8, v8;
	;;#ASMEND
	v_fmac_f32_e32 v121, v4, v6
	v_fmac_f32_e32 v122, v5, v8
	v_lshrrev_b32_e32 v5, 16, v7
	v_and_b32_e32 v4, 0xffff, v7
	v_lshrrev_b32_e32 v7, 16, v112
	v_and_b32_e32 v6, 0xffff, v112
	;;#ASMSTART
	v_cvt_f32_f16 v4, v4;
	;;#ASMEND
	;;#ASMSTART
	v_cvt_f32_f16 v5, v5;
	;;#ASMEND
	;; [unrolled: 3-line block ×4, first 2 shown]
	v_fmac_f32_e32 v123, v4, v6
	v_fmac_f32_e32 v124, v5, v7
	ds_read_b128 v[4:7], v20 offset:80
	v_lshrrev_b32_e32 v10, 16, v105
	v_and_b32_e32 v9, 0xffff, v105
	s_waitcnt lgkmcnt(0)
	v_lshrrev_b32_e32 v8, 16, v4
	v_and_b32_e32 v4, 0xffff, v4
	;;#ASMSTART
	v_cvt_f32_f16 v4, v4;
	;;#ASMEND
	;;#ASMSTART
	v_cvt_f32_f16 v8, v8;
	;;#ASMEND
	;; [unrolled: 3-line block ×4, first 2 shown]
	v_fmac_f32_e32 v0, v4, v9
	v_fmac_f32_e32 v1, v8, v10
	v_lshrrev_b32_e32 v8, 16, v5
	v_and_b32_e32 v4, 0xffff, v5
	;;#ASMSTART
	v_cvt_f32_f16 v4, v4;
	;;#ASMEND
	;;#ASMSTART
	v_cvt_f32_f16 v5, v8;
	;;#ASMEND
	v_lshrrev_b32_e32 v9, 16, v106
	v_and_b32_e32 v8, 0xffff, v106
	;;#ASMSTART
	v_cvt_f32_f16 v8, v8;
	;;#ASMEND
	;;#ASMSTART
	v_cvt_f32_f16 v9, v9;
	;;#ASMEND
	v_fmac_f32_e32 v2, v4, v8
	v_fmac_f32_e32 v3, v5, v9
	v_lshrrev_b32_e32 v5, 16, v6
	v_and_b32_e32 v4, 0xffff, v6
	v_and_b32_e32 v6, 0xffff, v107
	;;#ASMSTART
	v_cvt_f32_f16 v4, v4;
	;;#ASMEND
	;;#ASMSTART
	v_cvt_f32_f16 v5, v5;
	;;#ASMEND
	v_lshrrev_b32_e32 v8, 16, v107
	;;#ASMSTART
	v_cvt_f32_f16 v6, v6;
	;;#ASMEND
	;;#ASMSTART
	v_cvt_f32_f16 v8, v8;
	;;#ASMEND
	v_fmac_f32_e32 v121, v4, v6
	v_fmac_f32_e32 v122, v5, v8
	v_lshrrev_b32_e32 v5, 16, v7
	v_and_b32_e32 v4, 0xffff, v7
	v_lshrrev_b32_e32 v7, 16, v108
	v_and_b32_e32 v6, 0xffff, v108
	;;#ASMSTART
	v_cvt_f32_f16 v4, v4;
	;;#ASMEND
	;;#ASMSTART
	v_cvt_f32_f16 v5, v5;
	;;#ASMEND
	;; [unrolled: 3-line block ×4, first 2 shown]
	v_fmac_f32_e32 v123, v4, v6
	v_fmac_f32_e32 v124, v5, v7
	ds_read_b128 v[4:7], v20 offset:96
	v_lshrrev_b32_e32 v10, 16, v101
	v_and_b32_e32 v9, 0xffff, v101
	s_waitcnt lgkmcnt(0)
	v_lshrrev_b32_e32 v8, 16, v4
	v_and_b32_e32 v4, 0xffff, v4
	;;#ASMSTART
	v_cvt_f32_f16 v4, v4;
	;;#ASMEND
	;;#ASMSTART
	v_cvt_f32_f16 v8, v8;
	;;#ASMEND
	;; [unrolled: 3-line block ×4, first 2 shown]
	v_fmac_f32_e32 v0, v4, v9
	v_fmac_f32_e32 v1, v8, v10
	v_lshrrev_b32_e32 v8, 16, v5
	v_and_b32_e32 v4, 0xffff, v5
	;;#ASMSTART
	v_cvt_f32_f16 v4, v4;
	;;#ASMEND
	;;#ASMSTART
	v_cvt_f32_f16 v5, v8;
	;;#ASMEND
	v_lshrrev_b32_e32 v9, 16, v102
	v_and_b32_e32 v8, 0xffff, v102
	;;#ASMSTART
	v_cvt_f32_f16 v8, v8;
	;;#ASMEND
	;;#ASMSTART
	v_cvt_f32_f16 v9, v9;
	;;#ASMEND
	v_fmac_f32_e32 v2, v4, v8
	v_fmac_f32_e32 v3, v5, v9
	v_lshrrev_b32_e32 v5, 16, v6
	v_and_b32_e32 v4, 0xffff, v6
	v_and_b32_e32 v6, 0xffff, v103
	;;#ASMSTART
	v_cvt_f32_f16 v4, v4;
	;;#ASMEND
	;;#ASMSTART
	v_cvt_f32_f16 v5, v5;
	;;#ASMEND
	v_lshrrev_b32_e32 v8, 16, v103
	;;#ASMSTART
	v_cvt_f32_f16 v6, v6;
	;;#ASMEND
	;;#ASMSTART
	v_cvt_f32_f16 v8, v8;
	;;#ASMEND
	v_fmac_f32_e32 v121, v4, v6
	v_fmac_f32_e32 v122, v5, v8
	v_lshrrev_b32_e32 v5, 16, v7
	v_and_b32_e32 v4, 0xffff, v7
	v_lshrrev_b32_e32 v7, 16, v104
	v_and_b32_e32 v6, 0xffff, v104
	;;#ASMSTART
	v_cvt_f32_f16 v4, v4;
	;;#ASMEND
	;;#ASMSTART
	v_cvt_f32_f16 v5, v5;
	;;#ASMEND
	;; [unrolled: 3-line block ×4, first 2 shown]
	v_fmac_f32_e32 v123, v4, v6
	v_fmac_f32_e32 v124, v5, v7
	ds_read_b128 v[4:7], v20 offset:112
	v_lshrrev_b32_e32 v10, 16, v97
	v_and_b32_e32 v9, 0xffff, v97
	s_waitcnt lgkmcnt(0)
	v_lshrrev_b32_e32 v8, 16, v4
	v_and_b32_e32 v4, 0xffff, v4
	;;#ASMSTART
	v_cvt_f32_f16 v4, v4;
	;;#ASMEND
	;;#ASMSTART
	v_cvt_f32_f16 v8, v8;
	;;#ASMEND
	;; [unrolled: 3-line block ×4, first 2 shown]
	v_fmac_f32_e32 v0, v4, v9
	v_fmac_f32_e32 v1, v8, v10
	v_lshrrev_b32_e32 v8, 16, v5
	v_and_b32_e32 v4, 0xffff, v5
	;;#ASMSTART
	v_cvt_f32_f16 v4, v4;
	;;#ASMEND
	;;#ASMSTART
	v_cvt_f32_f16 v5, v8;
	;;#ASMEND
	v_lshrrev_b32_e32 v9, 16, v98
	v_and_b32_e32 v8, 0xffff, v98
	;;#ASMSTART
	v_cvt_f32_f16 v8, v8;
	;;#ASMEND
	;;#ASMSTART
	v_cvt_f32_f16 v9, v9;
	;;#ASMEND
	v_fmac_f32_e32 v2, v4, v8
	v_fmac_f32_e32 v3, v5, v9
	v_lshrrev_b32_e32 v5, 16, v6
	v_and_b32_e32 v4, 0xffff, v6
	v_and_b32_e32 v6, 0xffff, v99
	;;#ASMSTART
	v_cvt_f32_f16 v4, v4;
	;;#ASMEND
	;;#ASMSTART
	v_cvt_f32_f16 v5, v5;
	;;#ASMEND
	v_lshrrev_b32_e32 v8, 16, v99
	;;#ASMSTART
	v_cvt_f32_f16 v6, v6;
	;;#ASMEND
	;;#ASMSTART
	v_cvt_f32_f16 v8, v8;
	;;#ASMEND
	v_fmac_f32_e32 v121, v4, v6
	v_fmac_f32_e32 v122, v5, v8
	v_lshrrev_b32_e32 v5, 16, v7
	v_and_b32_e32 v4, 0xffff, v7
	v_lshrrev_b32_e32 v7, 16, v100
	v_and_b32_e32 v6, 0xffff, v100
	;;#ASMSTART
	v_cvt_f32_f16 v4, v4;
	;;#ASMEND
	;;#ASMSTART
	v_cvt_f32_f16 v5, v5;
	;;#ASMEND
	;; [unrolled: 3-line block ×4, first 2 shown]
	v_fmac_f32_e32 v123, v4, v6
	v_fmac_f32_e32 v124, v5, v7
	ds_read_b128 v[4:7], v20 offset:128
	v_lshrrev_b32_e32 v10, 16, v93
	v_and_b32_e32 v9, 0xffff, v93
	s_waitcnt lgkmcnt(0)
	v_lshrrev_b32_e32 v8, 16, v4
	v_and_b32_e32 v4, 0xffff, v4
	;;#ASMSTART
	v_cvt_f32_f16 v4, v4;
	;;#ASMEND
	;;#ASMSTART
	v_cvt_f32_f16 v8, v8;
	;;#ASMEND
	;; [unrolled: 3-line block ×4, first 2 shown]
	v_fmac_f32_e32 v0, v4, v9
	v_fmac_f32_e32 v1, v8, v10
	v_lshrrev_b32_e32 v8, 16, v5
	v_and_b32_e32 v4, 0xffff, v5
	;;#ASMSTART
	v_cvt_f32_f16 v4, v4;
	;;#ASMEND
	;;#ASMSTART
	v_cvt_f32_f16 v5, v8;
	;;#ASMEND
	v_lshrrev_b32_e32 v9, 16, v94
	v_and_b32_e32 v8, 0xffff, v94
	;;#ASMSTART
	v_cvt_f32_f16 v8, v8;
	;;#ASMEND
	;;#ASMSTART
	v_cvt_f32_f16 v9, v9;
	;;#ASMEND
	v_fmac_f32_e32 v2, v4, v8
	v_fmac_f32_e32 v3, v5, v9
	v_lshrrev_b32_e32 v5, 16, v6
	v_and_b32_e32 v4, 0xffff, v6
	v_and_b32_e32 v6, 0xffff, v95
	;;#ASMSTART
	v_cvt_f32_f16 v4, v4;
	;;#ASMEND
	;;#ASMSTART
	v_cvt_f32_f16 v5, v5;
	;;#ASMEND
	v_lshrrev_b32_e32 v8, 16, v95
	;;#ASMSTART
	v_cvt_f32_f16 v6, v6;
	;;#ASMEND
	;;#ASMSTART
	v_cvt_f32_f16 v8, v8;
	;;#ASMEND
	v_fmac_f32_e32 v121, v4, v6
	v_fmac_f32_e32 v122, v5, v8
	v_lshrrev_b32_e32 v5, 16, v7
	v_and_b32_e32 v4, 0xffff, v7
	v_lshrrev_b32_e32 v7, 16, v96
	v_and_b32_e32 v6, 0xffff, v96
	;;#ASMSTART
	v_cvt_f32_f16 v4, v4;
	;;#ASMEND
	;;#ASMSTART
	v_cvt_f32_f16 v5, v5;
	;;#ASMEND
	;; [unrolled: 3-line block ×4, first 2 shown]
	v_fmac_f32_e32 v123, v4, v6
	v_fmac_f32_e32 v124, v5, v7
	ds_read_b128 v[4:7], v20 offset:144
	v_lshrrev_b32_e32 v10, 16, v89
	v_and_b32_e32 v9, 0xffff, v89
	s_waitcnt lgkmcnt(0)
	v_lshrrev_b32_e32 v8, 16, v4
	v_and_b32_e32 v4, 0xffff, v4
	;;#ASMSTART
	v_cvt_f32_f16 v4, v4;
	;;#ASMEND
	;;#ASMSTART
	v_cvt_f32_f16 v8, v8;
	;;#ASMEND
	;; [unrolled: 3-line block ×4, first 2 shown]
	v_fmac_f32_e32 v0, v4, v9
	v_fmac_f32_e32 v1, v8, v10
	v_lshrrev_b32_e32 v8, 16, v5
	v_and_b32_e32 v4, 0xffff, v5
	;;#ASMSTART
	v_cvt_f32_f16 v4, v4;
	;;#ASMEND
	;;#ASMSTART
	v_cvt_f32_f16 v5, v8;
	;;#ASMEND
	v_lshrrev_b32_e32 v9, 16, v90
	v_and_b32_e32 v8, 0xffff, v90
	;;#ASMSTART
	v_cvt_f32_f16 v8, v8;
	;;#ASMEND
	;;#ASMSTART
	v_cvt_f32_f16 v9, v9;
	;;#ASMEND
	v_fmac_f32_e32 v2, v4, v8
	v_fmac_f32_e32 v3, v5, v9
	v_lshrrev_b32_e32 v5, 16, v6
	v_and_b32_e32 v4, 0xffff, v6
	v_and_b32_e32 v6, 0xffff, v91
	;;#ASMSTART
	v_cvt_f32_f16 v4, v4;
	;;#ASMEND
	;;#ASMSTART
	v_cvt_f32_f16 v5, v5;
	;;#ASMEND
	v_lshrrev_b32_e32 v8, 16, v91
	;;#ASMSTART
	v_cvt_f32_f16 v6, v6;
	;;#ASMEND
	;;#ASMSTART
	v_cvt_f32_f16 v8, v8;
	;;#ASMEND
	v_fmac_f32_e32 v121, v4, v6
	v_fmac_f32_e32 v122, v5, v8
	v_lshrrev_b32_e32 v5, 16, v7
	v_and_b32_e32 v4, 0xffff, v7
	v_lshrrev_b32_e32 v7, 16, v92
	v_and_b32_e32 v6, 0xffff, v92
	;;#ASMSTART
	v_cvt_f32_f16 v4, v4;
	;;#ASMEND
	;;#ASMSTART
	v_cvt_f32_f16 v5, v5;
	;;#ASMEND
	;; [unrolled: 3-line block ×4, first 2 shown]
	v_fmac_f32_e32 v123, v4, v6
	v_fmac_f32_e32 v124, v5, v7
	ds_read_b128 v[4:7], v20 offset:160
	v_lshrrev_b32_e32 v10, 16, v85
	v_and_b32_e32 v9, 0xffff, v85
	s_waitcnt lgkmcnt(0)
	v_lshrrev_b32_e32 v8, 16, v4
	v_and_b32_e32 v4, 0xffff, v4
	;;#ASMSTART
	v_cvt_f32_f16 v4, v4;
	;;#ASMEND
	;;#ASMSTART
	v_cvt_f32_f16 v8, v8;
	;;#ASMEND
	;; [unrolled: 3-line block ×4, first 2 shown]
	v_fmac_f32_e32 v0, v4, v9
	v_fmac_f32_e32 v1, v8, v10
	v_lshrrev_b32_e32 v8, 16, v5
	v_and_b32_e32 v4, 0xffff, v5
	;;#ASMSTART
	v_cvt_f32_f16 v4, v4;
	;;#ASMEND
	;;#ASMSTART
	v_cvt_f32_f16 v5, v8;
	;;#ASMEND
	v_lshrrev_b32_e32 v9, 16, v86
	v_and_b32_e32 v8, 0xffff, v86
	;;#ASMSTART
	v_cvt_f32_f16 v8, v8;
	;;#ASMEND
	;;#ASMSTART
	v_cvt_f32_f16 v9, v9;
	;;#ASMEND
	v_fmac_f32_e32 v2, v4, v8
	v_fmac_f32_e32 v3, v5, v9
	v_lshrrev_b32_e32 v5, 16, v6
	v_and_b32_e32 v4, 0xffff, v6
	v_and_b32_e32 v6, 0xffff, v87
	;;#ASMSTART
	v_cvt_f32_f16 v4, v4;
	;;#ASMEND
	;;#ASMSTART
	v_cvt_f32_f16 v5, v5;
	;;#ASMEND
	v_lshrrev_b32_e32 v8, 16, v87
	;;#ASMSTART
	v_cvt_f32_f16 v6, v6;
	;;#ASMEND
	;;#ASMSTART
	v_cvt_f32_f16 v8, v8;
	;;#ASMEND
	v_fmac_f32_e32 v121, v4, v6
	v_fmac_f32_e32 v122, v5, v8
	v_lshrrev_b32_e32 v5, 16, v7
	v_and_b32_e32 v4, 0xffff, v7
	v_lshrrev_b32_e32 v7, 16, v88
	v_and_b32_e32 v6, 0xffff, v88
	;;#ASMSTART
	v_cvt_f32_f16 v4, v4;
	;;#ASMEND
	;;#ASMSTART
	v_cvt_f32_f16 v5, v5;
	;;#ASMEND
	;; [unrolled: 3-line block ×4, first 2 shown]
	v_fmac_f32_e32 v123, v4, v6
	v_fmac_f32_e32 v124, v5, v7
	ds_read_b128 v[4:7], v20 offset:176
	v_lshrrev_b32_e32 v10, 16, v81
	v_and_b32_e32 v9, 0xffff, v81
	s_waitcnt lgkmcnt(0)
	v_lshrrev_b32_e32 v8, 16, v4
	v_and_b32_e32 v4, 0xffff, v4
	;;#ASMSTART
	v_cvt_f32_f16 v4, v4;
	;;#ASMEND
	;;#ASMSTART
	v_cvt_f32_f16 v8, v8;
	;;#ASMEND
	;; [unrolled: 3-line block ×4, first 2 shown]
	v_fmac_f32_e32 v0, v4, v9
	v_fmac_f32_e32 v1, v8, v10
	v_lshrrev_b32_e32 v8, 16, v5
	v_and_b32_e32 v4, 0xffff, v5
	;;#ASMSTART
	v_cvt_f32_f16 v4, v4;
	;;#ASMEND
	;;#ASMSTART
	v_cvt_f32_f16 v5, v8;
	;;#ASMEND
	v_lshrrev_b32_e32 v9, 16, v82
	v_and_b32_e32 v8, 0xffff, v82
	;;#ASMSTART
	v_cvt_f32_f16 v8, v8;
	;;#ASMEND
	;;#ASMSTART
	v_cvt_f32_f16 v9, v9;
	;;#ASMEND
	v_fmac_f32_e32 v2, v4, v8
	v_fmac_f32_e32 v3, v5, v9
	v_lshrrev_b32_e32 v5, 16, v6
	v_and_b32_e32 v4, 0xffff, v6
	v_and_b32_e32 v6, 0xffff, v83
	;;#ASMSTART
	v_cvt_f32_f16 v4, v4;
	;;#ASMEND
	;;#ASMSTART
	v_cvt_f32_f16 v5, v5;
	;;#ASMEND
	v_lshrrev_b32_e32 v8, 16, v83
	;;#ASMSTART
	v_cvt_f32_f16 v6, v6;
	;;#ASMEND
	;;#ASMSTART
	v_cvt_f32_f16 v8, v8;
	;;#ASMEND
	v_fmac_f32_e32 v121, v4, v6
	v_fmac_f32_e32 v122, v5, v8
	v_lshrrev_b32_e32 v5, 16, v7
	v_and_b32_e32 v4, 0xffff, v7
	v_lshrrev_b32_e32 v7, 16, v84
	v_and_b32_e32 v6, 0xffff, v84
	;;#ASMSTART
	v_cvt_f32_f16 v4, v4;
	;;#ASMEND
	;;#ASMSTART
	v_cvt_f32_f16 v5, v5;
	;;#ASMEND
	;; [unrolled: 3-line block ×4, first 2 shown]
	v_fmac_f32_e32 v123, v4, v6
	v_fmac_f32_e32 v124, v5, v7
	ds_read_b128 v[4:7], v20 offset:192
	v_lshrrev_b32_e32 v10, 16, v77
	v_and_b32_e32 v9, 0xffff, v77
	s_waitcnt lgkmcnt(0)
	v_lshrrev_b32_e32 v8, 16, v4
	v_and_b32_e32 v4, 0xffff, v4
	;;#ASMSTART
	v_cvt_f32_f16 v4, v4;
	;;#ASMEND
	;;#ASMSTART
	v_cvt_f32_f16 v8, v8;
	;;#ASMEND
	;; [unrolled: 3-line block ×4, first 2 shown]
	v_fmac_f32_e32 v0, v4, v9
	v_fmac_f32_e32 v1, v8, v10
	v_lshrrev_b32_e32 v8, 16, v5
	v_and_b32_e32 v4, 0xffff, v5
	;;#ASMSTART
	v_cvt_f32_f16 v4, v4;
	;;#ASMEND
	;;#ASMSTART
	v_cvt_f32_f16 v5, v8;
	;;#ASMEND
	v_lshrrev_b32_e32 v9, 16, v78
	v_and_b32_e32 v8, 0xffff, v78
	;;#ASMSTART
	v_cvt_f32_f16 v8, v8;
	;;#ASMEND
	;;#ASMSTART
	v_cvt_f32_f16 v9, v9;
	;;#ASMEND
	v_fmac_f32_e32 v2, v4, v8
	v_fmac_f32_e32 v3, v5, v9
	v_lshrrev_b32_e32 v5, 16, v6
	v_and_b32_e32 v4, 0xffff, v6
	v_and_b32_e32 v6, 0xffff, v79
	;;#ASMSTART
	v_cvt_f32_f16 v4, v4;
	;;#ASMEND
	;;#ASMSTART
	v_cvt_f32_f16 v5, v5;
	;;#ASMEND
	v_lshrrev_b32_e32 v8, 16, v79
	;;#ASMSTART
	v_cvt_f32_f16 v6, v6;
	;;#ASMEND
	;;#ASMSTART
	v_cvt_f32_f16 v8, v8;
	;;#ASMEND
	v_fmac_f32_e32 v121, v4, v6
	v_fmac_f32_e32 v122, v5, v8
	v_lshrrev_b32_e32 v5, 16, v7
	v_and_b32_e32 v4, 0xffff, v7
	v_lshrrev_b32_e32 v7, 16, v80
	v_and_b32_e32 v6, 0xffff, v80
	;;#ASMSTART
	v_cvt_f32_f16 v4, v4;
	;;#ASMEND
	;;#ASMSTART
	v_cvt_f32_f16 v5, v5;
	;;#ASMEND
	;;#ASMSTART
	v_cvt_f32_f16 v6, v6;
	;;#ASMEND
	;;#ASMSTART
	v_cvt_f32_f16 v7, v7;
	;;#ASMEND
	v_fmac_f32_e32 v123, v4, v6
	v_fmac_f32_e32 v124, v5, v7
	ds_read_b128 v[4:7], v20 offset:208
	v_lshrrev_b32_e32 v10, 16, v73
	v_and_b32_e32 v9, 0xffff, v73
	s_waitcnt lgkmcnt(0)
	v_lshrrev_b32_e32 v8, 16, v4
	v_and_b32_e32 v4, 0xffff, v4
	;;#ASMSTART
	v_cvt_f32_f16 v4, v4;
	;;#ASMEND
	;;#ASMSTART
	v_cvt_f32_f16 v8, v8;
	;;#ASMEND
	;;#ASMSTART
	v_cvt_f32_f16 v9, v9;
	;;#ASMEND
	;;#ASMSTART
	v_cvt_f32_f16 v10, v10;
	;;#ASMEND
	v_fmac_f32_e32 v0, v4, v9
	v_fmac_f32_e32 v1, v8, v10
	v_lshrrev_b32_e32 v8, 16, v5
	v_and_b32_e32 v4, 0xffff, v5
	;;#ASMSTART
	v_cvt_f32_f16 v4, v4;
	;;#ASMEND
	;;#ASMSTART
	v_cvt_f32_f16 v5, v8;
	;;#ASMEND
	v_lshrrev_b32_e32 v9, 16, v74
	v_and_b32_e32 v8, 0xffff, v74
	;;#ASMSTART
	v_cvt_f32_f16 v8, v8;
	;;#ASMEND
	;;#ASMSTART
	v_cvt_f32_f16 v9, v9;
	;;#ASMEND
	v_fmac_f32_e32 v2, v4, v8
	v_fmac_f32_e32 v3, v5, v9
	v_lshrrev_b32_e32 v5, 16, v6
	v_and_b32_e32 v4, 0xffff, v6
	v_and_b32_e32 v6, 0xffff, v75
	;;#ASMSTART
	v_cvt_f32_f16 v4, v4;
	;;#ASMEND
	;;#ASMSTART
	v_cvt_f32_f16 v5, v5;
	;;#ASMEND
	v_lshrrev_b32_e32 v8, 16, v75
	;;#ASMSTART
	v_cvt_f32_f16 v6, v6;
	;;#ASMEND
	;;#ASMSTART
	v_cvt_f32_f16 v8, v8;
	;;#ASMEND
	v_fmac_f32_e32 v121, v4, v6
	v_fmac_f32_e32 v122, v5, v8
	v_lshrrev_b32_e32 v5, 16, v7
	v_and_b32_e32 v4, 0xffff, v7
	v_lshrrev_b32_e32 v7, 16, v76
	v_and_b32_e32 v6, 0xffff, v76
	;;#ASMSTART
	v_cvt_f32_f16 v4, v4;
	;;#ASMEND
	;;#ASMSTART
	v_cvt_f32_f16 v5, v5;
	;;#ASMEND
	;; [unrolled: 3-line block ×4, first 2 shown]
	v_fmac_f32_e32 v123, v4, v6
	v_fmac_f32_e32 v124, v5, v7
	ds_read_b128 v[4:7], v20 offset:224
	v_lshrrev_b32_e32 v10, 16, v69
	v_and_b32_e32 v9, 0xffff, v69
	s_waitcnt lgkmcnt(0)
	v_lshrrev_b32_e32 v8, 16, v4
	v_and_b32_e32 v4, 0xffff, v4
	;;#ASMSTART
	v_cvt_f32_f16 v4, v4;
	;;#ASMEND
	;;#ASMSTART
	v_cvt_f32_f16 v8, v8;
	;;#ASMEND
	;; [unrolled: 3-line block ×4, first 2 shown]
	v_fmac_f32_e32 v0, v4, v9
	v_fmac_f32_e32 v1, v8, v10
	v_lshrrev_b32_e32 v8, 16, v5
	v_and_b32_e32 v4, 0xffff, v5
	;;#ASMSTART
	v_cvt_f32_f16 v4, v4;
	;;#ASMEND
	;;#ASMSTART
	v_cvt_f32_f16 v5, v8;
	;;#ASMEND
	v_lshrrev_b32_e32 v9, 16, v70
	v_and_b32_e32 v8, 0xffff, v70
	;;#ASMSTART
	v_cvt_f32_f16 v8, v8;
	;;#ASMEND
	;;#ASMSTART
	v_cvt_f32_f16 v9, v9;
	;;#ASMEND
	v_fmac_f32_e32 v2, v4, v8
	v_fmac_f32_e32 v3, v5, v9
	v_lshrrev_b32_e32 v5, 16, v6
	v_and_b32_e32 v4, 0xffff, v6
	v_and_b32_e32 v6, 0xffff, v71
	;;#ASMSTART
	v_cvt_f32_f16 v4, v4;
	;;#ASMEND
	;;#ASMSTART
	v_cvt_f32_f16 v5, v5;
	;;#ASMEND
	v_lshrrev_b32_e32 v8, 16, v71
	;;#ASMSTART
	v_cvt_f32_f16 v6, v6;
	;;#ASMEND
	;;#ASMSTART
	v_cvt_f32_f16 v8, v8;
	;;#ASMEND
	v_fmac_f32_e32 v121, v4, v6
	v_fmac_f32_e32 v122, v5, v8
	v_lshrrev_b32_e32 v5, 16, v7
	v_and_b32_e32 v4, 0xffff, v7
	v_lshrrev_b32_e32 v7, 16, v72
	v_and_b32_e32 v6, 0xffff, v72
	;;#ASMSTART
	v_cvt_f32_f16 v4, v4;
	;;#ASMEND
	;;#ASMSTART
	v_cvt_f32_f16 v5, v5;
	;;#ASMEND
	;; [unrolled: 3-line block ×4, first 2 shown]
	v_fmac_f32_e32 v123, v4, v6
	v_fmac_f32_e32 v124, v5, v7
	ds_read_b128 v[4:7], v20 offset:240
	v_lshrrev_b32_e32 v10, 16, v65
	v_and_b32_e32 v9, 0xffff, v65
	s_waitcnt lgkmcnt(0)
	v_lshrrev_b32_e32 v8, 16, v4
	v_and_b32_e32 v4, 0xffff, v4
	;;#ASMSTART
	v_cvt_f32_f16 v4, v4;
	;;#ASMEND
	;;#ASMSTART
	v_cvt_f32_f16 v8, v8;
	;;#ASMEND
	;; [unrolled: 3-line block ×4, first 2 shown]
	v_fmac_f32_e32 v0, v4, v9
	v_fmac_f32_e32 v1, v8, v10
	v_lshrrev_b32_e32 v8, 16, v5
	v_and_b32_e32 v4, 0xffff, v5
	;;#ASMSTART
	v_cvt_f32_f16 v4, v4;
	;;#ASMEND
	;;#ASMSTART
	v_cvt_f32_f16 v5, v8;
	;;#ASMEND
	v_lshrrev_b32_e32 v9, 16, v66
	v_and_b32_e32 v8, 0xffff, v66
	;;#ASMSTART
	v_cvt_f32_f16 v8, v8;
	;;#ASMEND
	;;#ASMSTART
	v_cvt_f32_f16 v9, v9;
	;;#ASMEND
	v_fmac_f32_e32 v2, v4, v8
	v_fmac_f32_e32 v3, v5, v9
	v_lshrrev_b32_e32 v5, 16, v6
	v_and_b32_e32 v4, 0xffff, v6
	v_and_b32_e32 v6, 0xffff, v67
	;;#ASMSTART
	v_cvt_f32_f16 v4, v4;
	;;#ASMEND
	;;#ASMSTART
	v_cvt_f32_f16 v5, v5;
	;;#ASMEND
	v_lshrrev_b32_e32 v8, 16, v67
	;;#ASMSTART
	v_cvt_f32_f16 v6, v6;
	;;#ASMEND
	;;#ASMSTART
	v_cvt_f32_f16 v8, v8;
	;;#ASMEND
	v_fmac_f32_e32 v121, v4, v6
	v_fmac_f32_e32 v122, v5, v8
	v_lshrrev_b32_e32 v5, 16, v7
	v_and_b32_e32 v4, 0xffff, v7
	v_lshrrev_b32_e32 v7, 16, v68
	v_and_b32_e32 v6, 0xffff, v68
	;;#ASMSTART
	v_cvt_f32_f16 v4, v4;
	;;#ASMEND
	;;#ASMSTART
	v_cvt_f32_f16 v5, v5;
	;;#ASMEND
	;; [unrolled: 3-line block ×4, first 2 shown]
	v_fmac_f32_e32 v123, v4, v6
	v_fmac_f32_e32 v124, v5, v7
	ds_read_b128 v[4:7], v20 offset:256
	v_lshrrev_b32_e32 v10, 16, v61
	v_and_b32_e32 v9, 0xffff, v61
	s_waitcnt lgkmcnt(0)
	v_lshrrev_b32_e32 v8, 16, v4
	v_and_b32_e32 v4, 0xffff, v4
	;;#ASMSTART
	v_cvt_f32_f16 v4, v4;
	;;#ASMEND
	;;#ASMSTART
	v_cvt_f32_f16 v8, v8;
	;;#ASMEND
	;; [unrolled: 3-line block ×4, first 2 shown]
	v_fmac_f32_e32 v0, v4, v9
	v_fmac_f32_e32 v1, v8, v10
	v_lshrrev_b32_e32 v8, 16, v5
	v_and_b32_e32 v4, 0xffff, v5
	;;#ASMSTART
	v_cvt_f32_f16 v4, v4;
	;;#ASMEND
	;;#ASMSTART
	v_cvt_f32_f16 v5, v8;
	;;#ASMEND
	v_lshrrev_b32_e32 v9, 16, v62
	v_and_b32_e32 v8, 0xffff, v62
	;;#ASMSTART
	v_cvt_f32_f16 v8, v8;
	;;#ASMEND
	;;#ASMSTART
	v_cvt_f32_f16 v9, v9;
	;;#ASMEND
	v_fmac_f32_e32 v2, v4, v8
	v_fmac_f32_e32 v3, v5, v9
	v_lshrrev_b32_e32 v5, 16, v6
	v_and_b32_e32 v4, 0xffff, v6
	v_and_b32_e32 v6, 0xffff, v63
	;;#ASMSTART
	v_cvt_f32_f16 v4, v4;
	;;#ASMEND
	;;#ASMSTART
	v_cvt_f32_f16 v5, v5;
	;;#ASMEND
	v_lshrrev_b32_e32 v8, 16, v63
	;;#ASMSTART
	v_cvt_f32_f16 v6, v6;
	;;#ASMEND
	;;#ASMSTART
	v_cvt_f32_f16 v8, v8;
	;;#ASMEND
	v_fmac_f32_e32 v121, v4, v6
	v_fmac_f32_e32 v122, v5, v8
	v_lshrrev_b32_e32 v5, 16, v7
	v_and_b32_e32 v4, 0xffff, v7
	v_lshrrev_b32_e32 v7, 16, v64
	v_and_b32_e32 v6, 0xffff, v64
	;;#ASMSTART
	v_cvt_f32_f16 v4, v4;
	;;#ASMEND
	;;#ASMSTART
	v_cvt_f32_f16 v5, v5;
	;;#ASMEND
	;; [unrolled: 3-line block ×4, first 2 shown]
	v_fmac_f32_e32 v123, v4, v6
	v_fmac_f32_e32 v124, v5, v7
	ds_read_b128 v[4:7], v20 offset:272
	v_lshrrev_b32_e32 v10, 16, v57
	v_and_b32_e32 v9, 0xffff, v57
	s_waitcnt lgkmcnt(0)
	v_lshrrev_b32_e32 v8, 16, v4
	v_and_b32_e32 v4, 0xffff, v4
	;;#ASMSTART
	v_cvt_f32_f16 v4, v4;
	;;#ASMEND
	;;#ASMSTART
	v_cvt_f32_f16 v8, v8;
	;;#ASMEND
	;; [unrolled: 3-line block ×4, first 2 shown]
	v_fmac_f32_e32 v0, v4, v9
	v_fmac_f32_e32 v1, v8, v10
	v_lshrrev_b32_e32 v8, 16, v5
	v_and_b32_e32 v4, 0xffff, v5
	;;#ASMSTART
	v_cvt_f32_f16 v4, v4;
	;;#ASMEND
	;;#ASMSTART
	v_cvt_f32_f16 v5, v8;
	;;#ASMEND
	v_lshrrev_b32_e32 v9, 16, v58
	v_and_b32_e32 v8, 0xffff, v58
	;;#ASMSTART
	v_cvt_f32_f16 v8, v8;
	;;#ASMEND
	;;#ASMSTART
	v_cvt_f32_f16 v9, v9;
	;;#ASMEND
	v_fmac_f32_e32 v2, v4, v8
	v_fmac_f32_e32 v3, v5, v9
	v_lshrrev_b32_e32 v5, 16, v6
	v_and_b32_e32 v4, 0xffff, v6
	v_and_b32_e32 v6, 0xffff, v59
	;;#ASMSTART
	v_cvt_f32_f16 v4, v4;
	;;#ASMEND
	;;#ASMSTART
	v_cvt_f32_f16 v5, v5;
	;;#ASMEND
	v_lshrrev_b32_e32 v8, 16, v59
	;;#ASMSTART
	v_cvt_f32_f16 v6, v6;
	;;#ASMEND
	;;#ASMSTART
	v_cvt_f32_f16 v8, v8;
	;;#ASMEND
	v_fmac_f32_e32 v121, v4, v6
	v_fmac_f32_e32 v122, v5, v8
	v_lshrrev_b32_e32 v5, 16, v7
	v_and_b32_e32 v4, 0xffff, v7
	v_lshrrev_b32_e32 v7, 16, v60
	v_and_b32_e32 v6, 0xffff, v60
	;;#ASMSTART
	v_cvt_f32_f16 v4, v4;
	;;#ASMEND
	;;#ASMSTART
	v_cvt_f32_f16 v5, v5;
	;;#ASMEND
	;; [unrolled: 3-line block ×4, first 2 shown]
	v_fmac_f32_e32 v123, v4, v6
	v_fmac_f32_e32 v124, v5, v7
	ds_read_b128 v[4:7], v20 offset:288
	v_lshrrev_b32_e32 v10, 16, v53
	v_and_b32_e32 v9, 0xffff, v53
	s_waitcnt lgkmcnt(0)
	v_lshrrev_b32_e32 v8, 16, v4
	v_and_b32_e32 v4, 0xffff, v4
	;;#ASMSTART
	v_cvt_f32_f16 v4, v4;
	;;#ASMEND
	;;#ASMSTART
	v_cvt_f32_f16 v8, v8;
	;;#ASMEND
	;; [unrolled: 3-line block ×4, first 2 shown]
	v_fmac_f32_e32 v0, v4, v9
	v_fmac_f32_e32 v1, v8, v10
	v_lshrrev_b32_e32 v8, 16, v5
	v_and_b32_e32 v4, 0xffff, v5
	;;#ASMSTART
	v_cvt_f32_f16 v4, v4;
	;;#ASMEND
	;;#ASMSTART
	v_cvt_f32_f16 v5, v8;
	;;#ASMEND
	v_lshrrev_b32_e32 v9, 16, v54
	v_and_b32_e32 v8, 0xffff, v54
	;;#ASMSTART
	v_cvt_f32_f16 v8, v8;
	;;#ASMEND
	;;#ASMSTART
	v_cvt_f32_f16 v9, v9;
	;;#ASMEND
	v_fmac_f32_e32 v2, v4, v8
	v_fmac_f32_e32 v3, v5, v9
	v_lshrrev_b32_e32 v5, 16, v6
	v_and_b32_e32 v4, 0xffff, v6
	v_and_b32_e32 v6, 0xffff, v55
	;;#ASMSTART
	v_cvt_f32_f16 v4, v4;
	;;#ASMEND
	;;#ASMSTART
	v_cvt_f32_f16 v5, v5;
	;;#ASMEND
	v_lshrrev_b32_e32 v8, 16, v55
	;;#ASMSTART
	v_cvt_f32_f16 v6, v6;
	;;#ASMEND
	;;#ASMSTART
	v_cvt_f32_f16 v8, v8;
	;;#ASMEND
	v_fmac_f32_e32 v121, v4, v6
	v_fmac_f32_e32 v122, v5, v8
	v_lshrrev_b32_e32 v5, 16, v7
	v_and_b32_e32 v4, 0xffff, v7
	v_lshrrev_b32_e32 v7, 16, v56
	v_and_b32_e32 v6, 0xffff, v56
	;;#ASMSTART
	v_cvt_f32_f16 v4, v4;
	;;#ASMEND
	;;#ASMSTART
	v_cvt_f32_f16 v5, v5;
	;;#ASMEND
	;; [unrolled: 3-line block ×4, first 2 shown]
	v_fmac_f32_e32 v123, v4, v6
	v_fmac_f32_e32 v124, v5, v7
	ds_read_b128 v[4:7], v20 offset:304
	v_lshrrev_b32_e32 v10, 16, v49
	v_and_b32_e32 v9, 0xffff, v49
	s_waitcnt lgkmcnt(0)
	v_lshrrev_b32_e32 v8, 16, v4
	v_and_b32_e32 v4, 0xffff, v4
	;;#ASMSTART
	v_cvt_f32_f16 v4, v4;
	;;#ASMEND
	;;#ASMSTART
	v_cvt_f32_f16 v8, v8;
	;;#ASMEND
	;; [unrolled: 3-line block ×4, first 2 shown]
	v_fmac_f32_e32 v0, v4, v9
	v_fmac_f32_e32 v1, v8, v10
	v_lshrrev_b32_e32 v8, 16, v5
	v_and_b32_e32 v4, 0xffff, v5
	;;#ASMSTART
	v_cvt_f32_f16 v4, v4;
	;;#ASMEND
	;;#ASMSTART
	v_cvt_f32_f16 v5, v8;
	;;#ASMEND
	v_lshrrev_b32_e32 v9, 16, v50
	v_and_b32_e32 v8, 0xffff, v50
	;;#ASMSTART
	v_cvt_f32_f16 v8, v8;
	;;#ASMEND
	;;#ASMSTART
	v_cvt_f32_f16 v9, v9;
	;;#ASMEND
	v_fmac_f32_e32 v2, v4, v8
	v_fmac_f32_e32 v3, v5, v9
	v_lshrrev_b32_e32 v5, 16, v6
	v_and_b32_e32 v4, 0xffff, v6
	v_and_b32_e32 v6, 0xffff, v51
	;;#ASMSTART
	v_cvt_f32_f16 v4, v4;
	;;#ASMEND
	;;#ASMSTART
	v_cvt_f32_f16 v5, v5;
	;;#ASMEND
	v_lshrrev_b32_e32 v8, 16, v51
	;;#ASMSTART
	v_cvt_f32_f16 v6, v6;
	;;#ASMEND
	;;#ASMSTART
	v_cvt_f32_f16 v8, v8;
	;;#ASMEND
	v_fmac_f32_e32 v121, v4, v6
	v_fmac_f32_e32 v122, v5, v8
	v_lshrrev_b32_e32 v5, 16, v7
	v_and_b32_e32 v4, 0xffff, v7
	v_lshrrev_b32_e32 v7, 16, v52
	v_and_b32_e32 v6, 0xffff, v52
	;;#ASMSTART
	v_cvt_f32_f16 v4, v4;
	;;#ASMEND
	;;#ASMSTART
	v_cvt_f32_f16 v5, v5;
	;;#ASMEND
	;; [unrolled: 3-line block ×4, first 2 shown]
	v_fmac_f32_e32 v123, v4, v6
	v_fmac_f32_e32 v124, v5, v7
	ds_read_b128 v[4:7], v20 offset:320
	v_lshrrev_b32_e32 v10, 16, v45
	v_and_b32_e32 v9, 0xffff, v45
	s_waitcnt lgkmcnt(0)
	v_lshrrev_b32_e32 v8, 16, v4
	v_and_b32_e32 v4, 0xffff, v4
	;;#ASMSTART
	v_cvt_f32_f16 v4, v4;
	;;#ASMEND
	;;#ASMSTART
	v_cvt_f32_f16 v8, v8;
	;;#ASMEND
	;; [unrolled: 3-line block ×4, first 2 shown]
	v_fmac_f32_e32 v0, v4, v9
	v_fmac_f32_e32 v1, v8, v10
	v_lshrrev_b32_e32 v8, 16, v5
	v_and_b32_e32 v4, 0xffff, v5
	;;#ASMSTART
	v_cvt_f32_f16 v4, v4;
	;;#ASMEND
	;;#ASMSTART
	v_cvt_f32_f16 v5, v8;
	;;#ASMEND
	v_lshrrev_b32_e32 v9, 16, v46
	v_and_b32_e32 v8, 0xffff, v46
	;;#ASMSTART
	v_cvt_f32_f16 v8, v8;
	;;#ASMEND
	;;#ASMSTART
	v_cvt_f32_f16 v9, v9;
	;;#ASMEND
	v_fmac_f32_e32 v2, v4, v8
	v_fmac_f32_e32 v3, v5, v9
	v_lshrrev_b32_e32 v5, 16, v6
	v_and_b32_e32 v4, 0xffff, v6
	v_and_b32_e32 v6, 0xffff, v47
	;;#ASMSTART
	v_cvt_f32_f16 v4, v4;
	;;#ASMEND
	;;#ASMSTART
	v_cvt_f32_f16 v5, v5;
	;;#ASMEND
	v_lshrrev_b32_e32 v8, 16, v47
	;;#ASMSTART
	v_cvt_f32_f16 v6, v6;
	;;#ASMEND
	;;#ASMSTART
	v_cvt_f32_f16 v8, v8;
	;;#ASMEND
	v_fmac_f32_e32 v121, v4, v6
	v_fmac_f32_e32 v122, v5, v8
	v_lshrrev_b32_e32 v5, 16, v7
	v_and_b32_e32 v4, 0xffff, v7
	v_lshrrev_b32_e32 v7, 16, v48
	v_and_b32_e32 v6, 0xffff, v48
	;;#ASMSTART
	v_cvt_f32_f16 v4, v4;
	;;#ASMEND
	;;#ASMSTART
	v_cvt_f32_f16 v5, v5;
	;;#ASMEND
	;; [unrolled: 3-line block ×4, first 2 shown]
	v_fmac_f32_e32 v123, v4, v6
	v_fmac_f32_e32 v124, v5, v7
	ds_read_b128 v[4:7], v20 offset:336
	v_lshrrev_b32_e32 v10, 16, v41
	v_and_b32_e32 v9, 0xffff, v41
	s_waitcnt lgkmcnt(0)
	v_lshrrev_b32_e32 v8, 16, v4
	v_and_b32_e32 v4, 0xffff, v4
	;;#ASMSTART
	v_cvt_f32_f16 v4, v4;
	;;#ASMEND
	;;#ASMSTART
	v_cvt_f32_f16 v8, v8;
	;;#ASMEND
	;; [unrolled: 3-line block ×4, first 2 shown]
	v_fmac_f32_e32 v0, v4, v9
	v_fmac_f32_e32 v1, v8, v10
	v_lshrrev_b32_e32 v8, 16, v5
	v_and_b32_e32 v4, 0xffff, v5
	;;#ASMSTART
	v_cvt_f32_f16 v4, v4;
	;;#ASMEND
	;;#ASMSTART
	v_cvt_f32_f16 v5, v8;
	;;#ASMEND
	v_lshrrev_b32_e32 v9, 16, v42
	v_and_b32_e32 v8, 0xffff, v42
	;;#ASMSTART
	v_cvt_f32_f16 v8, v8;
	;;#ASMEND
	;;#ASMSTART
	v_cvt_f32_f16 v9, v9;
	;;#ASMEND
	v_fmac_f32_e32 v2, v4, v8
	v_fmac_f32_e32 v3, v5, v9
	v_lshrrev_b32_e32 v5, 16, v6
	v_and_b32_e32 v4, 0xffff, v6
	v_and_b32_e32 v6, 0xffff, v43
	;;#ASMSTART
	v_cvt_f32_f16 v4, v4;
	;;#ASMEND
	;;#ASMSTART
	v_cvt_f32_f16 v5, v5;
	;;#ASMEND
	v_lshrrev_b32_e32 v8, 16, v43
	;;#ASMSTART
	v_cvt_f32_f16 v6, v6;
	;;#ASMEND
	;;#ASMSTART
	v_cvt_f32_f16 v8, v8;
	;;#ASMEND
	v_fmac_f32_e32 v121, v4, v6
	v_fmac_f32_e32 v122, v5, v8
	v_lshrrev_b32_e32 v5, 16, v7
	v_and_b32_e32 v4, 0xffff, v7
	v_lshrrev_b32_e32 v7, 16, v44
	v_and_b32_e32 v6, 0xffff, v44
	;;#ASMSTART
	v_cvt_f32_f16 v4, v4;
	;;#ASMEND
	;;#ASMSTART
	v_cvt_f32_f16 v5, v5;
	;;#ASMEND
	;; [unrolled: 3-line block ×4, first 2 shown]
	v_fmac_f32_e32 v123, v4, v6
	v_fmac_f32_e32 v124, v5, v7
	ds_read_b128 v[4:7], v20 offset:352
	v_lshrrev_b32_e32 v10, 16, v37
	v_and_b32_e32 v9, 0xffff, v37
	s_waitcnt lgkmcnt(0)
	v_lshrrev_b32_e32 v8, 16, v4
	v_and_b32_e32 v4, 0xffff, v4
	;;#ASMSTART
	v_cvt_f32_f16 v4, v4;
	;;#ASMEND
	;;#ASMSTART
	v_cvt_f32_f16 v8, v8;
	;;#ASMEND
	;; [unrolled: 3-line block ×4, first 2 shown]
	v_fmac_f32_e32 v0, v4, v9
	v_fmac_f32_e32 v1, v8, v10
	v_lshrrev_b32_e32 v8, 16, v5
	v_and_b32_e32 v4, 0xffff, v5
	;;#ASMSTART
	v_cvt_f32_f16 v4, v4;
	;;#ASMEND
	;;#ASMSTART
	v_cvt_f32_f16 v5, v8;
	;;#ASMEND
	v_lshrrev_b32_e32 v9, 16, v38
	v_and_b32_e32 v8, 0xffff, v38
	;;#ASMSTART
	v_cvt_f32_f16 v8, v8;
	;;#ASMEND
	;;#ASMSTART
	v_cvt_f32_f16 v9, v9;
	;;#ASMEND
	v_fmac_f32_e32 v2, v4, v8
	v_fmac_f32_e32 v3, v5, v9
	v_lshrrev_b32_e32 v5, 16, v6
	v_and_b32_e32 v4, 0xffff, v6
	v_and_b32_e32 v6, 0xffff, v39
	;;#ASMSTART
	v_cvt_f32_f16 v4, v4;
	;;#ASMEND
	;;#ASMSTART
	v_cvt_f32_f16 v5, v5;
	;;#ASMEND
	v_lshrrev_b32_e32 v8, 16, v39
	;;#ASMSTART
	v_cvt_f32_f16 v6, v6;
	;;#ASMEND
	;;#ASMSTART
	v_cvt_f32_f16 v8, v8;
	;;#ASMEND
	v_fmac_f32_e32 v121, v4, v6
	v_fmac_f32_e32 v122, v5, v8
	v_lshrrev_b32_e32 v5, 16, v7
	v_and_b32_e32 v4, 0xffff, v7
	v_lshrrev_b32_e32 v7, 16, v40
	v_and_b32_e32 v6, 0xffff, v40
	;;#ASMSTART
	v_cvt_f32_f16 v4, v4;
	;;#ASMEND
	;;#ASMSTART
	v_cvt_f32_f16 v5, v5;
	;;#ASMEND
	;; [unrolled: 3-line block ×4, first 2 shown]
	v_fmac_f32_e32 v123, v4, v6
	v_fmac_f32_e32 v124, v5, v7
	ds_read_b128 v[4:7], v20 offset:368
	v_lshrrev_b32_e32 v10, 16, v33
	v_and_b32_e32 v9, 0xffff, v33
	s_waitcnt lgkmcnt(0)
	v_lshrrev_b32_e32 v8, 16, v4
	v_and_b32_e32 v4, 0xffff, v4
	;;#ASMSTART
	v_cvt_f32_f16 v4, v4;
	;;#ASMEND
	;;#ASMSTART
	v_cvt_f32_f16 v8, v8;
	;;#ASMEND
	;; [unrolled: 3-line block ×4, first 2 shown]
	v_fmac_f32_e32 v0, v4, v9
	v_fmac_f32_e32 v1, v8, v10
	v_lshrrev_b32_e32 v8, 16, v5
	v_and_b32_e32 v4, 0xffff, v5
	;;#ASMSTART
	v_cvt_f32_f16 v4, v4;
	;;#ASMEND
	;;#ASMSTART
	v_cvt_f32_f16 v5, v8;
	;;#ASMEND
	v_lshrrev_b32_e32 v9, 16, v34
	v_and_b32_e32 v8, 0xffff, v34
	;;#ASMSTART
	v_cvt_f32_f16 v8, v8;
	;;#ASMEND
	;;#ASMSTART
	v_cvt_f32_f16 v9, v9;
	;;#ASMEND
	v_fmac_f32_e32 v2, v4, v8
	v_fmac_f32_e32 v3, v5, v9
	v_lshrrev_b32_e32 v5, 16, v6
	v_and_b32_e32 v4, 0xffff, v6
	v_and_b32_e32 v6, 0xffff, v35
	;;#ASMSTART
	v_cvt_f32_f16 v4, v4;
	;;#ASMEND
	;;#ASMSTART
	v_cvt_f32_f16 v5, v5;
	;;#ASMEND
	v_lshrrev_b32_e32 v8, 16, v35
	;;#ASMSTART
	v_cvt_f32_f16 v6, v6;
	;;#ASMEND
	;;#ASMSTART
	v_cvt_f32_f16 v8, v8;
	;;#ASMEND
	v_fmac_f32_e32 v121, v4, v6
	v_fmac_f32_e32 v122, v5, v8
	v_lshrrev_b32_e32 v5, 16, v7
	v_and_b32_e32 v4, 0xffff, v7
	v_lshrrev_b32_e32 v7, 16, v36
	v_and_b32_e32 v6, 0xffff, v36
	;;#ASMSTART
	v_cvt_f32_f16 v4, v4;
	;;#ASMEND
	;;#ASMSTART
	v_cvt_f32_f16 v5, v5;
	;;#ASMEND
	;; [unrolled: 3-line block ×4, first 2 shown]
	v_fmac_f32_e32 v123, v4, v6
	v_fmac_f32_e32 v124, v5, v7
	ds_read_b128 v[4:7], v20 offset:384
	v_lshrrev_b32_e32 v10, 16, v29
	v_and_b32_e32 v9, 0xffff, v29
	s_waitcnt lgkmcnt(0)
	v_lshrrev_b32_e32 v8, 16, v4
	v_and_b32_e32 v4, 0xffff, v4
	;;#ASMSTART
	v_cvt_f32_f16 v4, v4;
	;;#ASMEND
	;;#ASMSTART
	v_cvt_f32_f16 v8, v8;
	;;#ASMEND
	;; [unrolled: 3-line block ×4, first 2 shown]
	v_fmac_f32_e32 v0, v4, v9
	v_fmac_f32_e32 v1, v8, v10
	v_lshrrev_b32_e32 v8, 16, v5
	v_and_b32_e32 v4, 0xffff, v5
	;;#ASMSTART
	v_cvt_f32_f16 v4, v4;
	;;#ASMEND
	;;#ASMSTART
	v_cvt_f32_f16 v5, v8;
	;;#ASMEND
	v_lshrrev_b32_e32 v9, 16, v30
	v_and_b32_e32 v8, 0xffff, v30
	;;#ASMSTART
	v_cvt_f32_f16 v8, v8;
	;;#ASMEND
	;;#ASMSTART
	v_cvt_f32_f16 v9, v9;
	;;#ASMEND
	v_fmac_f32_e32 v2, v4, v8
	v_fmac_f32_e32 v3, v5, v9
	v_lshrrev_b32_e32 v5, 16, v6
	v_and_b32_e32 v4, 0xffff, v6
	v_and_b32_e32 v6, 0xffff, v31
	;;#ASMSTART
	v_cvt_f32_f16 v4, v4;
	;;#ASMEND
	;;#ASMSTART
	v_cvt_f32_f16 v5, v5;
	;;#ASMEND
	v_lshrrev_b32_e32 v8, 16, v31
	;;#ASMSTART
	v_cvt_f32_f16 v6, v6;
	;;#ASMEND
	;;#ASMSTART
	v_cvt_f32_f16 v8, v8;
	;;#ASMEND
	v_fmac_f32_e32 v121, v4, v6
	v_fmac_f32_e32 v122, v5, v8
	v_lshrrev_b32_e32 v5, 16, v7
	v_and_b32_e32 v4, 0xffff, v7
	v_lshrrev_b32_e32 v7, 16, v32
	v_and_b32_e32 v6, 0xffff, v32
	;;#ASMSTART
	v_cvt_f32_f16 v4, v4;
	;;#ASMEND
	;;#ASMSTART
	v_cvt_f32_f16 v5, v5;
	;;#ASMEND
	;;#ASMSTART
	v_cvt_f32_f16 v6, v6;
	;;#ASMEND
	;;#ASMSTART
	v_cvt_f32_f16 v7, v7;
	;;#ASMEND
	v_fmac_f32_e32 v123, v4, v6
	v_fmac_f32_e32 v124, v5, v7
	ds_read_b128 v[4:7], v20 offset:400
	v_lshrrev_b32_e32 v10, 16, v25
	v_and_b32_e32 v9, 0xffff, v25
	s_waitcnt lgkmcnt(0)
	v_lshrrev_b32_e32 v8, 16, v4
	v_and_b32_e32 v4, 0xffff, v4
	;;#ASMSTART
	v_cvt_f32_f16 v4, v4;
	;;#ASMEND
	;;#ASMSTART
	v_cvt_f32_f16 v8, v8;
	;;#ASMEND
	;; [unrolled: 3-line block ×4, first 2 shown]
	v_fmac_f32_e32 v0, v4, v9
	v_fmac_f32_e32 v1, v8, v10
	v_lshrrev_b32_e32 v8, 16, v5
	v_and_b32_e32 v4, 0xffff, v5
	;;#ASMSTART
	v_cvt_f32_f16 v4, v4;
	;;#ASMEND
	;;#ASMSTART
	v_cvt_f32_f16 v5, v8;
	;;#ASMEND
	v_lshrrev_b32_e32 v9, 16, v26
	v_and_b32_e32 v8, 0xffff, v26
	;;#ASMSTART
	v_cvt_f32_f16 v8, v8;
	;;#ASMEND
	;;#ASMSTART
	v_cvt_f32_f16 v9, v9;
	;;#ASMEND
	v_fmac_f32_e32 v2, v4, v8
	v_fmac_f32_e32 v3, v5, v9
	v_lshrrev_b32_e32 v5, 16, v6
	v_and_b32_e32 v4, 0xffff, v6
	v_and_b32_e32 v6, 0xffff, v27
	;;#ASMSTART
	v_cvt_f32_f16 v4, v4;
	;;#ASMEND
	;;#ASMSTART
	v_cvt_f32_f16 v5, v5;
	;;#ASMEND
	v_lshrrev_b32_e32 v8, 16, v27
	;;#ASMSTART
	v_cvt_f32_f16 v6, v6;
	;;#ASMEND
	;;#ASMSTART
	v_cvt_f32_f16 v8, v8;
	;;#ASMEND
	v_fmac_f32_e32 v121, v4, v6
	v_fmac_f32_e32 v122, v5, v8
	v_lshrrev_b32_e32 v5, 16, v7
	v_and_b32_e32 v4, 0xffff, v7
	v_lshrrev_b32_e32 v7, 16, v28
	v_and_b32_e32 v6, 0xffff, v28
	;;#ASMSTART
	v_cvt_f32_f16 v4, v4;
	;;#ASMEND
	;;#ASMSTART
	v_cvt_f32_f16 v5, v5;
	;;#ASMEND
	;;#ASMSTART
	v_cvt_f32_f16 v6, v6;
	;;#ASMEND
	;;#ASMSTART
	v_cvt_f32_f16 v7, v7;
	;;#ASMEND
	v_fmac_f32_e32 v123, v4, v6
	v_fmac_f32_e32 v124, v5, v7
	ds_read_b128 v[4:7], v20 offset:416
	v_lshrrev_b32_e32 v10, 16, v21
	v_and_b32_e32 v9, 0xffff, v21
	s_waitcnt lgkmcnt(0)
	v_lshrrev_b32_e32 v8, 16, v4
	v_and_b32_e32 v4, 0xffff, v4
	;;#ASMSTART
	v_cvt_f32_f16 v4, v4;
	;;#ASMEND
	;;#ASMSTART
	v_cvt_f32_f16 v8, v8;
	;;#ASMEND
	;; [unrolled: 3-line block ×4, first 2 shown]
	v_fmac_f32_e32 v0, v4, v9
	v_fmac_f32_e32 v1, v8, v10
	v_lshrrev_b32_e32 v8, 16, v5
	v_and_b32_e32 v4, 0xffff, v5
	;;#ASMSTART
	v_cvt_f32_f16 v4, v4;
	;;#ASMEND
	;;#ASMSTART
	v_cvt_f32_f16 v5, v8;
	;;#ASMEND
	v_lshrrev_b32_e32 v9, 16, v22
	v_and_b32_e32 v8, 0xffff, v22
	;;#ASMSTART
	v_cvt_f32_f16 v8, v8;
	;;#ASMEND
	;;#ASMSTART
	v_cvt_f32_f16 v9, v9;
	;;#ASMEND
	v_fmac_f32_e32 v2, v4, v8
	v_fmac_f32_e32 v3, v5, v9
	v_lshrrev_b32_e32 v5, 16, v6
	v_and_b32_e32 v4, 0xffff, v6
	v_and_b32_e32 v6, 0xffff, v23
	;;#ASMSTART
	v_cvt_f32_f16 v4, v4;
	;;#ASMEND
	;;#ASMSTART
	v_cvt_f32_f16 v5, v5;
	;;#ASMEND
	v_lshrrev_b32_e32 v8, 16, v23
	;;#ASMSTART
	v_cvt_f32_f16 v6, v6;
	;;#ASMEND
	;;#ASMSTART
	v_cvt_f32_f16 v8, v8;
	;;#ASMEND
	v_fmac_f32_e32 v121, v4, v6
	v_fmac_f32_e32 v122, v5, v8
	v_lshrrev_b32_e32 v5, 16, v7
	v_and_b32_e32 v4, 0xffff, v7
	v_lshrrev_b32_e32 v7, 16, v24
	v_and_b32_e32 v6, 0xffff, v24
	;;#ASMSTART
	v_cvt_f32_f16 v4, v4;
	;;#ASMEND
	;;#ASMSTART
	v_cvt_f32_f16 v5, v5;
	;;#ASMEND
	;;#ASMSTART
	v_cvt_f32_f16 v6, v6;
	;;#ASMEND
	;;#ASMSTART
	v_cvt_f32_f16 v7, v7;
	;;#ASMEND
	v_fmac_f32_e32 v123, v4, v6
	v_fmac_f32_e32 v124, v5, v7
	ds_read_b128 v[4:7], v20 offset:432
	s_waitcnt lgkmcnt(0)
	v_lshrrev_b32_e32 v8, 16, v4
	v_and_b32_e32 v4, 0xffff, v4
	;;#ASMSTART
	v_cvt_f32_f16 v4, v4;
	;;#ASMEND
	;;#ASMSTART
	v_cvt_f32_f16 v8, v8;
	;;#ASMEND
	s_clause 0x3
	buffer_load_dword v11, off, s[40:43], 0 offset:92
	buffer_load_dword v12, off, s[40:43], 0 offset:96
	;; [unrolled: 1-line block ×4, first 2 shown]
	s_waitcnt vmcnt(3)
	v_lshrrev_b32_e32 v10, 16, v11
	v_and_b32_e32 v9, 0xffff, v11
	;;#ASMSTART
	v_cvt_f32_f16 v9, v9;
	;;#ASMEND
	;;#ASMSTART
	v_cvt_f32_f16 v10, v10;
	;;#ASMEND
	v_fmac_f32_e32 v0, v4, v9
	v_fmac_f32_e32 v1, v8, v10
	v_lshrrev_b32_e32 v8, 16, v5
	v_and_b32_e32 v4, 0xffff, v5
	;;#ASMSTART
	v_cvt_f32_f16 v4, v4;
	;;#ASMEND
	;;#ASMSTART
	v_cvt_f32_f16 v5, v8;
	;;#ASMEND
	s_waitcnt vmcnt(2)
	v_lshrrev_b32_e32 v9, 16, v12
	v_and_b32_e32 v8, 0xffff, v12
	;;#ASMSTART
	v_cvt_f32_f16 v8, v8;
	;;#ASMEND
	;;#ASMSTART
	v_cvt_f32_f16 v9, v9;
	;;#ASMEND
	v_fmac_f32_e32 v2, v4, v8
	v_fmac_f32_e32 v3, v5, v9
	v_lshrrev_b32_e32 v5, 16, v6
	v_and_b32_e32 v4, 0xffff, v6
	s_waitcnt vmcnt(1)
	v_and_b32_e32 v6, 0xffff, v13
	;;#ASMSTART
	v_cvt_f32_f16 v4, v4;
	;;#ASMEND
	;;#ASMSTART
	v_cvt_f32_f16 v5, v5;
	;;#ASMEND
	v_lshrrev_b32_e32 v8, 16, v13
	;;#ASMSTART
	v_cvt_f32_f16 v6, v6;
	;;#ASMEND
	;;#ASMSTART
	v_cvt_f32_f16 v8, v8;
	;;#ASMEND
	v_fmac_f32_e32 v121, v4, v6
	v_fmac_f32_e32 v122, v5, v8
	v_lshrrev_b32_e32 v5, 16, v7
	v_and_b32_e32 v4, 0xffff, v7
	s_waitcnt vmcnt(0)
	v_lshrrev_b32_e32 v7, 16, v14
	v_and_b32_e32 v6, 0xffff, v14
	;;#ASMSTART
	v_cvt_f32_f16 v4, v4;
	;;#ASMEND
	;;#ASMSTART
	v_cvt_f32_f16 v5, v5;
	;;#ASMEND
	;; [unrolled: 3-line block ×4, first 2 shown]
	v_fmac_f32_e32 v123, v4, v6
	v_fmac_f32_e32 v124, v5, v7
	ds_read_b128 v[4:7], v20 offset:448
	s_waitcnt lgkmcnt(0)
	v_lshrrev_b32_e32 v8, 16, v4
	v_and_b32_e32 v4, 0xffff, v4
	;;#ASMSTART
	v_cvt_f32_f16 v4, v4;
	;;#ASMEND
	;;#ASMSTART
	v_cvt_f32_f16 v8, v8;
	;;#ASMEND
	s_clause 0x3
	buffer_load_dword v11, off, s[40:43], 0 offset:76
	buffer_load_dword v12, off, s[40:43], 0 offset:80
	;; [unrolled: 1-line block ×4, first 2 shown]
	s_waitcnt vmcnt(3)
	v_lshrrev_b32_e32 v10, 16, v11
	v_and_b32_e32 v9, 0xffff, v11
	;;#ASMSTART
	v_cvt_f32_f16 v9, v9;
	;;#ASMEND
	;;#ASMSTART
	v_cvt_f32_f16 v10, v10;
	;;#ASMEND
	v_fmac_f32_e32 v0, v4, v9
	v_fmac_f32_e32 v1, v8, v10
	v_lshrrev_b32_e32 v8, 16, v5
	v_and_b32_e32 v4, 0xffff, v5
	;;#ASMSTART
	v_cvt_f32_f16 v4, v4;
	;;#ASMEND
	;;#ASMSTART
	v_cvt_f32_f16 v5, v8;
	;;#ASMEND
	s_waitcnt vmcnt(2)
	v_lshrrev_b32_e32 v9, 16, v12
	v_and_b32_e32 v8, 0xffff, v12
	;;#ASMSTART
	v_cvt_f32_f16 v8, v8;
	;;#ASMEND
	;;#ASMSTART
	v_cvt_f32_f16 v9, v9;
	;;#ASMEND
	v_fmac_f32_e32 v2, v4, v8
	v_fmac_f32_e32 v3, v5, v9
	v_lshrrev_b32_e32 v5, 16, v6
	v_and_b32_e32 v4, 0xffff, v6
	s_waitcnt vmcnt(1)
	v_and_b32_e32 v6, 0xffff, v13
	;;#ASMSTART
	v_cvt_f32_f16 v4, v4;
	;;#ASMEND
	;;#ASMSTART
	v_cvt_f32_f16 v5, v5;
	;;#ASMEND
	v_lshrrev_b32_e32 v8, 16, v13
	;;#ASMSTART
	v_cvt_f32_f16 v6, v6;
	;;#ASMEND
	;;#ASMSTART
	v_cvt_f32_f16 v8, v8;
	;;#ASMEND
	v_fmac_f32_e32 v121, v4, v6
	v_fmac_f32_e32 v122, v5, v8
	v_lshrrev_b32_e32 v5, 16, v7
	v_and_b32_e32 v4, 0xffff, v7
	s_waitcnt vmcnt(0)
	v_lshrrev_b32_e32 v7, 16, v14
	v_and_b32_e32 v6, 0xffff, v14
	;;#ASMSTART
	v_cvt_f32_f16 v4, v4;
	;;#ASMEND
	;;#ASMSTART
	v_cvt_f32_f16 v5, v5;
	;;#ASMEND
	;; [unrolled: 3-line block ×4, first 2 shown]
	v_fmac_f32_e32 v123, v4, v6
	v_fmac_f32_e32 v124, v5, v7
	ds_read_b128 v[4:7], v20 offset:464
	s_waitcnt lgkmcnt(0)
	v_lshrrev_b32_e32 v8, 16, v4
	v_and_b32_e32 v4, 0xffff, v4
	;;#ASMSTART
	v_cvt_f32_f16 v4, v4;
	;;#ASMEND
	;;#ASMSTART
	v_cvt_f32_f16 v8, v8;
	;;#ASMEND
	s_clause 0x3
	buffer_load_dword v11, off, s[40:43], 0 offset:60
	buffer_load_dword v12, off, s[40:43], 0 offset:64
	;; [unrolled: 1-line block ×4, first 2 shown]
	s_waitcnt vmcnt(3)
	v_lshrrev_b32_e32 v10, 16, v11
	v_and_b32_e32 v9, 0xffff, v11
	;;#ASMSTART
	v_cvt_f32_f16 v9, v9;
	;;#ASMEND
	;;#ASMSTART
	v_cvt_f32_f16 v10, v10;
	;;#ASMEND
	v_fmac_f32_e32 v0, v4, v9
	v_fmac_f32_e32 v1, v8, v10
	v_lshrrev_b32_e32 v8, 16, v5
	v_and_b32_e32 v4, 0xffff, v5
	;;#ASMSTART
	v_cvt_f32_f16 v4, v4;
	;;#ASMEND
	;;#ASMSTART
	v_cvt_f32_f16 v5, v8;
	;;#ASMEND
	s_waitcnt vmcnt(2)
	v_lshrrev_b32_e32 v9, 16, v12
	v_and_b32_e32 v8, 0xffff, v12
	;;#ASMSTART
	v_cvt_f32_f16 v8, v8;
	;;#ASMEND
	;;#ASMSTART
	v_cvt_f32_f16 v9, v9;
	;;#ASMEND
	v_fmac_f32_e32 v2, v4, v8
	v_fmac_f32_e32 v3, v5, v9
	v_lshrrev_b32_e32 v5, 16, v6
	v_and_b32_e32 v4, 0xffff, v6
	s_waitcnt vmcnt(1)
	v_and_b32_e32 v6, 0xffff, v13
	;;#ASMSTART
	v_cvt_f32_f16 v4, v4;
	;;#ASMEND
	;;#ASMSTART
	v_cvt_f32_f16 v5, v5;
	;;#ASMEND
	v_lshrrev_b32_e32 v8, 16, v13
	;;#ASMSTART
	v_cvt_f32_f16 v6, v6;
	;;#ASMEND
	;;#ASMSTART
	v_cvt_f32_f16 v8, v8;
	;;#ASMEND
	v_fmac_f32_e32 v121, v4, v6
	v_fmac_f32_e32 v122, v5, v8
	v_lshrrev_b32_e32 v5, 16, v7
	v_and_b32_e32 v4, 0xffff, v7
	s_waitcnt vmcnt(0)
	v_lshrrev_b32_e32 v7, 16, v14
	v_and_b32_e32 v6, 0xffff, v14
	;;#ASMSTART
	v_cvt_f32_f16 v4, v4;
	;;#ASMEND
	;;#ASMSTART
	v_cvt_f32_f16 v5, v5;
	;;#ASMEND
	;; [unrolled: 3-line block ×4, first 2 shown]
	v_fmac_f32_e32 v123, v4, v6
	v_fmac_f32_e32 v124, v5, v7
	ds_read_b128 v[4:7], v20 offset:480
	s_waitcnt lgkmcnt(0)
	v_lshrrev_b32_e32 v8, 16, v4
	v_and_b32_e32 v4, 0xffff, v4
	;;#ASMSTART
	v_cvt_f32_f16 v4, v4;
	;;#ASMEND
	;;#ASMSTART
	v_cvt_f32_f16 v8, v8;
	;;#ASMEND
	s_clause 0x3
	buffer_load_dword v11, off, s[40:43], 0 offset:44
	buffer_load_dword v12, off, s[40:43], 0 offset:48
	;; [unrolled: 1-line block ×4, first 2 shown]
	s_waitcnt vmcnt(3)
	v_lshrrev_b32_e32 v10, 16, v11
	v_and_b32_e32 v9, 0xffff, v11
	;;#ASMSTART
	v_cvt_f32_f16 v9, v9;
	;;#ASMEND
	;;#ASMSTART
	v_cvt_f32_f16 v10, v10;
	;;#ASMEND
	v_fmac_f32_e32 v0, v4, v9
	v_fmac_f32_e32 v1, v8, v10
	v_lshrrev_b32_e32 v8, 16, v5
	v_and_b32_e32 v4, 0xffff, v5
	;;#ASMSTART
	v_cvt_f32_f16 v4, v4;
	;;#ASMEND
	;;#ASMSTART
	v_cvt_f32_f16 v5, v8;
	;;#ASMEND
	s_waitcnt vmcnt(2)
	v_lshrrev_b32_e32 v9, 16, v12
	v_and_b32_e32 v8, 0xffff, v12
	;;#ASMSTART
	v_cvt_f32_f16 v8, v8;
	;;#ASMEND
	;;#ASMSTART
	v_cvt_f32_f16 v9, v9;
	;;#ASMEND
	v_fmac_f32_e32 v2, v4, v8
	v_fmac_f32_e32 v3, v5, v9
	v_lshrrev_b32_e32 v5, 16, v6
	v_and_b32_e32 v4, 0xffff, v6
	s_waitcnt vmcnt(1)
	v_and_b32_e32 v6, 0xffff, v13
	;;#ASMSTART
	v_cvt_f32_f16 v4, v4;
	;;#ASMEND
	;;#ASMSTART
	v_cvt_f32_f16 v5, v5;
	;;#ASMEND
	v_lshrrev_b32_e32 v8, 16, v13
	;;#ASMSTART
	v_cvt_f32_f16 v6, v6;
	;;#ASMEND
	;;#ASMSTART
	v_cvt_f32_f16 v8, v8;
	;;#ASMEND
	v_fmac_f32_e32 v121, v4, v6
	v_fmac_f32_e32 v122, v5, v8
	v_lshrrev_b32_e32 v5, 16, v7
	v_and_b32_e32 v4, 0xffff, v7
	s_waitcnt vmcnt(0)
	v_lshrrev_b32_e32 v7, 16, v14
	v_and_b32_e32 v6, 0xffff, v14
	;;#ASMSTART
	v_cvt_f32_f16 v4, v4;
	;;#ASMEND
	;;#ASMSTART
	v_cvt_f32_f16 v5, v5;
	;;#ASMEND
	;; [unrolled: 3-line block ×4, first 2 shown]
	v_fmac_f32_e32 v123, v4, v6
	v_fmac_f32_e32 v124, v5, v7
	ds_read_b128 v[4:7], v20 offset:496
	s_waitcnt lgkmcnt(0)
	v_lshrrev_b32_e32 v8, 16, v4
	v_and_b32_e32 v4, 0xffff, v4
	;;#ASMSTART
	v_cvt_f32_f16 v4, v4;
	;;#ASMEND
	;;#ASMSTART
	v_cvt_f32_f16 v8, v8;
	;;#ASMEND
	s_clause 0x3
	buffer_load_dword v11, off, s[40:43], 0 offset:28
	buffer_load_dword v12, off, s[40:43], 0 offset:32
	;; [unrolled: 1-line block ×4, first 2 shown]
	s_waitcnt vmcnt(3)
	v_lshrrev_b32_e32 v10, 16, v11
	v_and_b32_e32 v9, 0xffff, v11
	;;#ASMSTART
	v_cvt_f32_f16 v9, v9;
	;;#ASMEND
	;;#ASMSTART
	v_cvt_f32_f16 v10, v10;
	;;#ASMEND
	v_fmac_f32_e32 v0, v4, v9
	v_fmac_f32_e32 v1, v8, v10
	v_lshrrev_b32_e32 v8, 16, v5
	v_and_b32_e32 v4, 0xffff, v5
	;;#ASMSTART
	v_cvt_f32_f16 v4, v4;
	;;#ASMEND
	;;#ASMSTART
	v_cvt_f32_f16 v5, v8;
	;;#ASMEND
	s_waitcnt vmcnt(2)
	v_lshrrev_b32_e32 v9, 16, v12
	v_and_b32_e32 v8, 0xffff, v12
	;;#ASMSTART
	v_cvt_f32_f16 v8, v8;
	;;#ASMEND
	;;#ASMSTART
	v_cvt_f32_f16 v9, v9;
	;;#ASMEND
	v_fmac_f32_e32 v2, v4, v8
	v_fmac_f32_e32 v3, v5, v9
	v_lshrrev_b32_e32 v5, 16, v6
	v_and_b32_e32 v4, 0xffff, v6
	s_waitcnt vmcnt(1)
	v_and_b32_e32 v6, 0xffff, v13
	;;#ASMSTART
	v_cvt_f32_f16 v4, v4;
	;;#ASMEND
	;;#ASMSTART
	v_cvt_f32_f16 v5, v5;
	;;#ASMEND
	v_lshrrev_b32_e32 v8, 16, v13
	;;#ASMSTART
	v_cvt_f32_f16 v6, v6;
	;;#ASMEND
	;;#ASMSTART
	v_cvt_f32_f16 v8, v8;
	;;#ASMEND
	v_fmac_f32_e32 v121, v4, v6
	v_fmac_f32_e32 v122, v5, v8
	v_lshrrev_b32_e32 v5, 16, v7
	v_and_b32_e32 v4, 0xffff, v7
	s_waitcnt vmcnt(0)
	v_lshrrev_b32_e32 v7, 16, v14
	v_and_b32_e32 v6, 0xffff, v14
	;;#ASMSTART
	v_cvt_f32_f16 v4, v4;
	;;#ASMEND
	;;#ASMSTART
	v_cvt_f32_f16 v5, v5;
	;;#ASMEND
	;; [unrolled: 3-line block ×4, first 2 shown]
	v_fmac_f32_e32 v123, v4, v6
	buffer_load_dword v4, off, s[40:43], 0 offset:8 ; 4-byte Folded Reload
	v_fmac_f32_e32 v124, v5, v7
	s_clause 0x2
	buffer_load_dword v6, off, s[40:43], 0 offset:12
	buffer_load_dword v7, off, s[40:43], 0 offset:16
	buffer_load_dword v5, off, s[40:43], 0 offset:4
	v_add_f32_e32 v0, v0, v1
	buffer_load_dword v1, off, s[40:43], 0 offset:24 ; 4-byte Folded Reload
	v_add_f32_e32 v0, v0, v2
	v_add_f32_e32 v0, v3, v0
	buffer_load_dword v3, off, s[40:43], 0  ; 4-byte Folded Reload
	v_add_f32_e32 v0, v0, v121
	v_add_f32_e32 v0, v122, v0
	;; [unrolled: 1-line block ×4, first 2 shown]
	s_waitcnt vmcnt(1)
	v_fmac_f32_e32 v1, s3, v0
	v_cndmask_b32_e64 v0, 0, v1, s2
	ds_write_b32 v4, v0
	v_max_f32_e32 v0, v5, v5
	v_add_nc_u32_e32 v4, 0x200, v4
	v_max_f32_e32 v0, v0, v1
	v_cndmask_b32_e64 v5, v5, v0, s2
	buffer_load_dword v0, off, s[40:43], 0 offset:20 ; 4-byte Folded Reload
	v_add_co_u32 v6, s2, v6, 16
	v_add_co_ci_u32_e64 v7, null, 0, v7, s2
	s_waitcnt vmcnt(1)
	v_add_nc_u32_e32 v3, 0x80, v3
	s_waitcnt vmcnt(0)
	v_add_nc_u32_e32 v0, 4, v0
	v_cmp_le_i32_e64 s2, s11, v0
	s_or_b32 s5, s2, s5
	s_andn2_b32 exec_lo, exec_lo, s5
	s_cbranch_execnz .LBB125_7
; %bb.8:
	s_or_b32 exec_lo, exec_lo, s5
	s_clause 0x5
	buffer_load_dword v0, off, s[40:43], 0 offset:116
	buffer_load_dword v121, off, s[40:43], 0 offset:120
	;; [unrolled: 1-line block ×6, first 2 shown]
.LBB125_9:
	s_or_b32 exec_lo, exec_lo, s34
	v_mbcnt_lo_u32_b32 v1, -1, 0
	v_xor_b32_e32 v2, 16, v1
	v_xor_b32_e32 v4, 8, v1
	v_cmp_gt_i32_e32 vcc_lo, 32, v2
	v_cndmask_b32_e32 v2, v1, v2, vcc_lo
	v_cmp_gt_i32_e32 vcc_lo, 32, v4
	v_lshlrev_b32_e32 v2, 2, v2
	v_cndmask_b32_e32 v4, v1, v4, vcc_lo
	ds_bpermute_b32 v3, v2, v5
	v_max_f32_e32 v5, v5, v5
	s_waitcnt lgkmcnt(0)
	v_max_f32_e32 v6, v3, v3
	v_lshlrev_b32_e32 v3, 2, v4
	v_max_f32_e32 v4, v5, v6
	v_xor_b32_e32 v6, 4, v1
	ds_bpermute_b32 v5, v3, v4
	v_cmp_gt_i32_e32 vcc_lo, 32, v6
	v_cndmask_b32_e32 v6, v1, v6, vcc_lo
	s_waitcnt lgkmcnt(0)
	v_max_f32_e32 v7, v5, v5
	v_lshlrev_b32_e32 v5, 2, v6
	v_max_f32_e32 v4, v4, v7
	v_xor_b32_e32 v7, 2, v1
	ds_bpermute_b32 v6, v5, v4
	v_cmp_gt_i32_e32 vcc_lo, 32, v7
	v_cndmask_b32_e32 v7, v1, v7, vcc_lo
	v_lshlrev_b32_e32 v10, 2, v7
	v_xor_b32_e32 v7, 1, v1
	v_cmp_gt_i32_e32 vcc_lo, 32, v7
	s_waitcnt lgkmcnt(0)
	v_max_f32_e32 v6, v6, v6
	v_cndmask_b32_e32 v7, v1, v7, vcc_lo
	s_waitcnt vmcnt(3)
	v_cmp_eq_u32_e32 vcc_lo, 0, v122
	v_max_f32_e32 v4, v4, v6
	v_lshlrev_b32_e32 v9, 2, v7
	ds_bpermute_b32 v6, v10, v4
	s_waitcnt lgkmcnt(0)
	v_max_f32_e32 v6, v6, v6
	v_max_f32_e32 v1, v4, v6
	v_lshlrev_b32_e32 v6, 2, v121
	ds_bpermute_b32 v4, v9, v1
	s_and_saveexec_b32 s2, vcc_lo
	s_cbranch_execz .LBB125_11
; %bb.10:
	s_waitcnt lgkmcnt(0)
	v_max_f32_e32 v4, v4, v4
	v_max_f32_e32 v1, v1, v1
	;; [unrolled: 1-line block ×3, first 2 shown]
	ds_write_b32 v6, v1 offset:512
.LBB125_11:
	s_or_b32 exec_lo, exec_lo, s2
	v_cmp_gt_u32_e64 s2, 4, v122
	v_mov_b32_e32 v1, 0xff7fffff
	s_waitcnt vmcnt(0) lgkmcnt(0)
	s_waitcnt_vscnt null, 0x0
	s_barrier
	buffer_gl0_inv
	s_and_saveexec_b32 s3, s2
; %bb.12:
	ds_read_b32 v1, v13 offset:512
; %bb.13:
	s_or_b32 exec_lo, exec_lo, s3
	s_waitcnt lgkmcnt(0)
	ds_bpermute_b32 v4, v10, v1
	v_max_f32_e32 v1, v1, v1
	v_mov_b32_e32 v7, 0
	s_sub_i32 s3, s11, s31
	s_lshl_b32 s3, s3, 5
	s_add_i32 s3, s3, s30
	s_min_i32 s3, s3, s27
	s_sub_i32 s5, s3, s30
	v_cmp_gt_i32_e64 s3, s5, v0
	s_waitcnt lgkmcnt(0)
	v_max_f32_e32 v4, v4, v4
	v_max_f32_e32 v1, v1, v4
	ds_bpermute_b32 v4, v9, v1
	s_waitcnt lgkmcnt(0)
	v_max_f32_e32 v4, v4, v4
	v_max_f32_e32 v1, v1, v4
	v_lshl_add_u32 v4, v0, 2, 0x220
	ds_bpermute_b32 v1, v7, v1
	s_and_saveexec_b32 s15, s3
	s_cbranch_execz .LBB125_17
; %bb.14:
	v_lshl_add_u32 v8, v0, 2, 0x220
	v_mov_b32_e32 v7, 0
	v_mov_b32_e32 v11, v0
	s_mov_b32 s31, 0
	.p2align	6
.LBB125_15:                             ; =>This Inner Loop Header: Depth=1
	ds_read_b32 v12, v8
	v_add_nc_u32_e32 v11, 0x80, v11
	v_cmp_le_i32_e64 s4, s5, v11
	s_or_b32 s31, s4, s31
	s_waitcnt lgkmcnt(0)
	v_sub_f32_e32 v12, v12, v1
	v_mul_f32_e32 v12, 0x3fb8aa3b, v12
	v_exp_f32_e32 v12, v12
	ds_write_b32 v8, v12
	v_add_f32_e32 v7, v7, v12
	v_add_nc_u32_e32 v8, 0x200, v8
	s_andn2_b32 exec_lo, exec_lo, s31
	s_cbranch_execnz .LBB125_15
; %bb.16:
	s_or_b32 exec_lo, exec_lo, s31
.LBB125_17:
	s_or_b32 exec_lo, exec_lo, s15
	ds_bpermute_b32 v2, v2, v7
	s_waitcnt lgkmcnt(0)
	v_add_f32_e32 v2, v7, v2
	ds_bpermute_b32 v3, v3, v2
	s_waitcnt lgkmcnt(0)
	v_add_f32_e32 v2, v2, v3
	;; [unrolled: 3-line block ×5, first 2 shown]
	s_and_saveexec_b32 s4, vcc_lo
; %bb.18:
	ds_write_b32 v6, v2 offset:528
; %bb.19:
	s_or_b32 exec_lo, exec_lo, s4
	s_waitcnt lgkmcnt(0)
	s_barrier
	buffer_gl0_inv
	s_and_saveexec_b32 s4, s2
; %bb.20:
	ds_read_b32 v2, v13 offset:528
; %bb.21:
	s_or_b32 exec_lo, exec_lo, s4
	s_waitcnt lgkmcnt(0)
	ds_bpermute_b32 v3, v10, v2
	s_waitcnt lgkmcnt(0)
	v_add_f32_e32 v2, v2, v3
	ds_bpermute_b32 v3, v9, v2
	s_waitcnt lgkmcnt(0)
	v_add_f32_e32 v2, v2, v3
	v_mov_b32_e32 v3, 0
	ds_bpermute_b32 v2, v3, v2
	s_and_saveexec_b32 s2, s3
	s_cbranch_execz .LBB125_24
; %bb.22:
	s_waitcnt lgkmcnt(0)
	v_add_f32_e32 v3, 0x358637bd, v2
	s_mov_b32 s3, 0
	v_div_scale_f32 v5, null, v3, v3, 1.0
	v_div_scale_f32 v8, vcc_lo, 1.0, v3, 1.0
	v_rcp_f32_e32 v6, v5
	v_fma_f32 v7, -v5, v6, 1.0
	v_fmac_f32_e32 v6, v7, v6
	v_mul_f32_e32 v7, v8, v6
	v_fma_f32 v11, -v5, v7, v8
	v_fmac_f32_e32 v7, v11, v6
	v_fma_f32 v5, -v5, v7, v8
	v_div_fmas_f32 v5, v5, v6, v7
	v_div_fixup_f32 v3, v5, v3, 1.0
	v_mov_b32_e32 v5, v0
.LBB125_23:                             ; =>This Inner Loop Header: Depth=1
	ds_read_b32 v6, v4
	v_add_nc_u32_e32 v5, 0x80, v5
	v_cmp_le_i32_e32 vcc_lo, s5, v5
	s_or_b32 s3, vcc_lo, s3
	s_waitcnt lgkmcnt(0)
	v_mul_f32_e32 v6, v3, v6
	ds_write_b32 v4, v6
	v_add_nc_u32_e32 v4, 0x200, v4
	s_andn2_b32 exec_lo, exec_lo, s3
	s_cbranch_execnz .LBB125_23
.LBB125_24:
	s_or_b32 exec_lo, exec_lo, s2
	s_mul_i32 s2, s7, s26
	s_waitcnt lgkmcnt(0)
	s_mul_i32 s4, s2, s9
	s_mov_b32 s2, exec_lo
	s_barrier
	buffer_gl0_inv
	v_cmpx_eq_u32_e32 0, v0
	s_cbranch_execz .LBB125_26
; %bb.25:
	s_ashr_i32 s5, s4, 31
	s_mul_i32 s36, s7, s6
	s_lshl_b64 s[34:35], s[4:5], 2
	v_mov_b32_e32 v3, 0
	s_add_u32 s3, s18, s34
	s_addc_u32 s5, s19, s35
	s_ashr_i32 s37, s36, 31
	s_lshl_b64 s[18:19], s[36:37], 2
	s_add_u32 s3, s3, s18
	s_addc_u32 s5, s5, s19
	s_ashr_i32 s9, s8, 31
	s_lshl_b64 s[36:37], s[8:9], 2
	s_add_u32 s38, s3, s36
	s_addc_u32 s39, s5, s37
	s_add_u32 s3, s16, s34
	s_addc_u32 s5, s17, s35
	;; [unrolled: 2-line block ×4, first 2 shown]
	global_store_dword v3, v1, s[38:39]
	global_store_dword v3, v2, s[16:17]
.LBB125_26:
	s_or_b32 exec_lo, exec_lo, s2
	v_mov_b32_e32 v41, 0
	v_mov_b32_e32 v42, 0
	;; [unrolled: 1-line block ×32, first 2 shown]
	s_and_saveexec_b32 s3, s1
	s_cbranch_execz .LBB125_94
; %bb.27:
	v_lshlrev_b32_e32 v1, 3, v0
	s_lshl_b64 s[16:17], s[28:29], 2
	v_mov_b32_e32 v44, 0
	s_add_u32 s5, s24, s16
	s_addc_u32 s6, s25, s17
	v_and_b32_e32 v43, 24, v1
	v_and_b32_e32 v2, 0xf8, v1
	v_or_b32_e32 v1, 0x1f00, v1
	s_ashr_i32 s15, s14, 31
	s_lshl_b32 s1, s30, 2
	s_lshl_b64 s[14:15], s[14:15], 1
	v_lshlrev_b32_e32 v45, 1, v2
	v_lshlrev_b32_e32 v46, 1, v1
	v_mov_b32_e32 v11, 0
	v_mov_b32_e32 v12, 0
	;; [unrolled: 1-line block ×32, first 2 shown]
	s_sub_i32 s9, 0x220, s1
	s_add_u32 s14, s22, s14
	s_addc_u32 s15, s23, s15
	s_add_i32 s16, s12, -1
	s_mov_b32 s12, 0
	s_branch .LBB125_29
.LBB125_28:                             ;   in Loop: Header=BB125_29 Depth=1
	s_or_b32 exec_lo, exec_lo, s2
	v_add_f32_e32 v7, v7, v8
	v_add_f32_e32 v8, v113, v114
	;; [unrolled: 1-line block ×31, first 2 shown]
	v_lshlrev_b32_e32 v8, 16, v61
	v_add_f32_e32 v55, v91, v92
	v_add_f32_e32 v23, v23, v7
	;; [unrolled: 1-line block ×5, first 2 shown]
	v_lshlrev_b32_e32 v6, 16, v6
	v_lshlrev_b32_e32 v5, 16, v5
	v_and_or_b32 v1, 0xffff, v1, v8
	v_add_f32_e32 v26, v26, v54
	v_add_f32_e32 v27, v27, v55
	v_add_f32_e32 v54, v83, v84
	v_add_f32_e32 v55, v81, v82
	v_add_f32_e32 v28, v28, v7
	v_add_f32_e32 v30, v30, v53
	v_add_f32_e32 v7, v79, v80
	v_add_f32_e32 v53, v75, v76
	v_and_or_b32 v2, 0xffff, v2, v6
	v_and_or_b32 v3, 0xffff, v3, v5
	;;#ASMSTART
	v_pk_mul_f16 v1, v48, v1;

	;;#ASMEND
	;;#ASMSTART
	v_pk_mul_f16 v2, v47, v2;

	;;#ASMEND
	;;#ASMSTART
	v_pk_mul_f16 v3, v49, v3;

	;;#ASMEND
	;;#ASMSTART
	v_pk_mul_f16 v4, v50, v4;

	;;#ASMEND
	;;#ASMSTART
	v_pk_add_f16 v1, v1, v2;

	;;#ASMEND
	;;#ASMSTART
	v_pk_add_f16 v1, v1, v3;

	;;#ASMEND
	;; [unrolled: 4-line block ×3, first 2 shown]
	v_and_b32_e32 v3, 0xffff, v1
	v_add_nc_u32_e32 v123, 4, v123
	v_lshrrev_b32_e32 v4, 16, v1
	;;#ASMSTART
	v_cvt_f32_f16 v3, v3;
	;;#ASMEND
	v_add_f32_e32 v31, v31, v54
	v_add_f32_e32 v32, v32, v55
	;; [unrolled: 1-line block ×11, first 2 shown]
	;;#ASMSTART
	v_cvt_f32_f16 v4, v4;
	;;#ASMEND
	v_add_f32_e32 v3, v3, v4
	v_cmp_le_i32_e32 vcc_lo, s11, v123
	v_add_f32_e32 v36, v36, v54
	v_add_f32_e32 v37, v37, v55
	;; [unrolled: 1-line block ×8, first 2 shown]
	s_or_b32 s12, vcc_lo, s12
	s_andn2_b32 exec_lo, exec_lo, s12
	s_cbranch_execz .LBB125_93
.LBB125_29:                             ; =>This Inner Loop Header: Depth=1
	v_ashrrev_i32_e32 v124, 31, v123
	v_lshl_or_b32 v53, v123, 5, v43
	v_cmp_eq_u32_e64 s1, s16, v123
	v_lshlrev_b64 v[1:2], 2, v[123:124]
	v_lshl_add_u32 v7, v53, 2, s9
	v_or_b32_e32 v60, 1, v53
	v_or_b32_e32 v58, 2, v53
	v_or_b32_e32 v59, 6, v53
	v_add_co_u32 v1, vcc_lo, s5, v1
	v_add_co_ci_u32_e64 v2, null, s6, v2, vcc_lo
	ds_read2_b64 v[54:57], v7 offset0:2 offset1:3
	global_load_dword v5, v[1:2], off
	ds_read2_b64 v[1:4], v7 offset1:1
	s_waitcnt lgkmcnt(0)
	;;#ASMSTART
	v_cvt_f16_f32 v48, v1;

	;;#ASMEND
	;;#ASMSTART
	v_cvt_f16_f32 v7, v2;

	;;#ASMEND
	;; [unrolled: 4-line block ×8, first 2 shown]
	v_or_b32_e32 v57, 3, v53
	v_or_b32_e32 v55, 4, v53
	v_or_b32_e32 v54, 5, v53
	v_or_b32_e32 v56, 7, v53
	s_waitcnt vmcnt(0)
	v_mad_i64_i32 v[5:6], null, v5, s13, 0
	v_lshlrev_b64 v[5:6], 1, v[5:6]
	v_add_co_u32 v61, vcc_lo, s14, v5
	v_add_co_ci_u32_e64 v62, null, s15, v6, vcc_lo
	v_add_co_u32 v5, vcc_lo, v61, v45
	v_add_co_ci_u32_e64 v6, null, 0, v62, vcc_lo
	global_load_dwordx4 v[1:4], v[5:6], off
	s_waitcnt vmcnt(0)
	v_lshrrev_b32_e32 v65, 16, v1
	v_lshrrev_b32_e32 v64, 16, v2
	v_lshrrev_b32_e32 v63, 16, v3
	s_and_saveexec_b32 s17, s1
	s_cbranch_execz .LBB125_31
; %bb.30:                               ;   in Loop: Header=BB125_29 Depth=1
	v_cmp_gt_i32_e32 vcc_lo, s27, v53
	v_and_b32_e32 v66, 0xffff0000, v4
	v_cmp_gt_i32_e64 s2, s27, v58
	v_cndmask_b32_e32 v1, 0, v1, vcc_lo
	v_cmp_gt_i32_e32 vcc_lo, s27, v60
	v_cndmask_b32_e64 v2, 0, v2, s2
	v_cmp_gt_i32_e64 s2, s27, v57
	v_cndmask_b32_e32 v65, 0, v65, vcc_lo
	v_cmp_gt_i32_e32 vcc_lo, s27, v59
	v_cndmask_b32_e64 v64, 0, v64, s2
	v_cndmask_b32_sdwa v4, v44, v4, vcc_lo dst_sel:DWORD dst_unused:UNUSED_PAD src0_sel:DWORD src1_sel:WORD_0
	v_cmp_gt_i32_e32 vcc_lo, s27, v56
	v_cndmask_b32_e32 v66, 0, v66, vcc_lo
	v_cmp_gt_i32_e32 vcc_lo, s27, v55
	v_or_b32_e32 v4, v4, v66
	v_cndmask_b32_e32 v3, 0, v3, vcc_lo
	v_cmp_gt_i32_e32 vcc_lo, s27, v54
	v_cndmask_b32_e32 v63, 0, v63, vcc_lo
.LBB125_31:                             ;   in Loop: Header=BB125_29 Depth=1
	s_or_b32 exec_lo, exec_lo, s17
	v_and_b32_e32 v48, 0xffff, v48
	v_and_b32_e32 v51, 0xffff, v51
	v_lshlrev_b32_e32 v65, 16, v65
	v_and_b32_e32 v52, 0xffff, v52
	v_and_b32_e32 v50, 0xffff, v50
	v_lshl_or_b32 v48, v7, 16, v48
	v_lshl_or_b32 v47, v47, 16, v51
	v_lshlrev_b32_e32 v7, 16, v64
	v_lshlrev_b32_e32 v51, 16, v63
	v_and_or_b32 v1, 0xffff, v1, v65
	;;#ASMSTART
	v_pk_mul_f16 v1, v48, v1;

	;;#ASMEND
	v_lshl_or_b32 v49, v49, 16, v52
	v_and_or_b32 v2, 0xffff, v2, v7
	v_and_or_b32 v3, 0xffff, v3, v51
	v_lshl_or_b32 v50, v8, 16, v50
	;;#ASMSTART
	v_pk_mul_f16 v2, v47, v2;

	;;#ASMEND
	;;#ASMSTART
	v_pk_mul_f16 v3, v49, v3;

	;;#ASMEND
	;; [unrolled: 4-line block ×3, first 2 shown]
	;;#ASMSTART
	v_pk_add_f16 v1, v1, v2;

	;;#ASMEND
	;;#ASMSTART
	v_pk_add_f16 v1, v1, v3;

	;;#ASMEND
	;;#ASMSTART
	v_pk_add_f16 v1, v1, v4;

	;;#ASMEND
	v_and_b32_e32 v2, 0xffff, v1
	v_lshrrev_b32_e32 v1, 16, v1
	;;#ASMSTART
	v_cvt_f32_f16 v51, v2;
	;;#ASMEND
	;;#ASMSTART
	v_cvt_f32_f16 v52, v1;
	;;#ASMEND
	global_load_dwordx4 v[1:4], v[5:6], off offset:512
	s_waitcnt vmcnt(0)
	v_lshrrev_b32_e32 v63, 16, v1
	v_lshrrev_b32_e32 v8, 16, v2
	;; [unrolled: 1-line block ×3, first 2 shown]
	s_and_saveexec_b32 s17, s1
	s_cbranch_execz .LBB125_33
; %bb.32:                               ;   in Loop: Header=BB125_29 Depth=1
	v_cmp_gt_i32_e32 vcc_lo, s27, v53
	v_and_b32_e32 v64, 0xffff0000, v4
	v_cmp_gt_i32_e64 s2, s27, v58
	v_cndmask_b32_e32 v1, 0, v1, vcc_lo
	v_cmp_gt_i32_e32 vcc_lo, s27, v60
	v_cndmask_b32_e64 v2, 0, v2, s2
	v_cmp_gt_i32_e64 s2, s27, v57
	v_cndmask_b32_e32 v63, 0, v63, vcc_lo
	v_cmp_gt_i32_e32 vcc_lo, s27, v59
	v_cndmask_b32_e64 v8, 0, v8, s2
	v_cndmask_b32_sdwa v4, v44, v4, vcc_lo dst_sel:DWORD dst_unused:UNUSED_PAD src0_sel:DWORD src1_sel:WORD_0
	v_cmp_gt_i32_e32 vcc_lo, s27, v56
	v_cndmask_b32_e32 v64, 0, v64, vcc_lo
	v_cmp_gt_i32_e32 vcc_lo, s27, v55
	v_or_b32_e32 v4, v4, v64
	v_cndmask_b32_e32 v3, 0, v3, vcc_lo
	v_cmp_gt_i32_e32 vcc_lo, s27, v54
	v_cndmask_b32_e32 v7, 0, v7, vcc_lo
.LBB125_33:                             ;   in Loop: Header=BB125_29 Depth=1
	s_or_b32 exec_lo, exec_lo, s17
	v_lshlrev_b32_e32 v63, 16, v63
	v_lshlrev_b32_e32 v8, 16, v8
	;; [unrolled: 1-line block ×3, first 2 shown]
	v_and_or_b32 v1, 0xffff, v1, v63
	v_and_or_b32 v2, 0xffff, v2, v8
	;; [unrolled: 1-line block ×3, first 2 shown]
	;;#ASMSTART
	v_pk_mul_f16 v1, v48, v1;

	;;#ASMEND
	;;#ASMSTART
	v_pk_mul_f16 v2, v47, v2;

	;;#ASMEND
	;; [unrolled: 4-line block ×4, first 2 shown]
	;;#ASMSTART
	v_pk_add_f16 v1, v1, v2;

	;;#ASMEND
	;;#ASMSTART
	v_pk_add_f16 v1, v1, v3;

	;;#ASMEND
	;; [unrolled: 4-line block ×3, first 2 shown]
	v_and_b32_e32 v2, 0xffff, v1
	v_lshrrev_b32_e32 v1, 16, v1
	;;#ASMSTART
	v_cvt_f32_f16 v63, v2;
	;;#ASMEND
	;;#ASMSTART
	v_cvt_f32_f16 v64, v1;
	;;#ASMEND
	global_load_dwordx4 v[1:4], v[5:6], off offset:1024
	s_waitcnt vmcnt(0)
	v_lshrrev_b32_e32 v65, 16, v1
	v_lshrrev_b32_e32 v8, 16, v2
	;; [unrolled: 1-line block ×3, first 2 shown]
	s_and_saveexec_b32 s17, s1
	s_cbranch_execz .LBB125_35
; %bb.34:                               ;   in Loop: Header=BB125_29 Depth=1
	v_cmp_gt_i32_e32 vcc_lo, s27, v53
	v_and_b32_e32 v66, 0xffff0000, v4
	v_cmp_gt_i32_e64 s2, s27, v58
	v_cndmask_b32_e32 v1, 0, v1, vcc_lo
	v_cmp_gt_i32_e32 vcc_lo, s27, v60
	v_cndmask_b32_e64 v2, 0, v2, s2
	v_cmp_gt_i32_e64 s2, s27, v57
	v_cndmask_b32_e32 v65, 0, v65, vcc_lo
	v_cmp_gt_i32_e32 vcc_lo, s27, v59
	v_cndmask_b32_e64 v8, 0, v8, s2
	v_cndmask_b32_sdwa v4, v44, v4, vcc_lo dst_sel:DWORD dst_unused:UNUSED_PAD src0_sel:DWORD src1_sel:WORD_0
	v_cmp_gt_i32_e32 vcc_lo, s27, v56
	v_cndmask_b32_e32 v66, 0, v66, vcc_lo
	v_cmp_gt_i32_e32 vcc_lo, s27, v55
	v_or_b32_e32 v4, v4, v66
	v_cndmask_b32_e32 v3, 0, v3, vcc_lo
	v_cmp_gt_i32_e32 vcc_lo, s27, v54
	v_cndmask_b32_e32 v7, 0, v7, vcc_lo
.LBB125_35:                             ;   in Loop: Header=BB125_29 Depth=1
	s_or_b32 exec_lo, exec_lo, s17
	v_lshlrev_b32_e32 v65, 16, v65
	v_lshlrev_b32_e32 v8, 16, v8
	;; [unrolled: 1-line block ×3, first 2 shown]
	v_and_or_b32 v1, 0xffff, v1, v65
	v_and_or_b32 v2, 0xffff, v2, v8
	v_and_or_b32 v3, 0xffff, v3, v7
	;;#ASMSTART
	v_pk_mul_f16 v1, v48, v1;

	;;#ASMEND
	;;#ASMSTART
	v_pk_mul_f16 v2, v47, v2;

	;;#ASMEND
	;; [unrolled: 4-line block ×4, first 2 shown]
	;;#ASMSTART
	v_pk_add_f16 v1, v1, v2;

	;;#ASMEND
	;;#ASMSTART
	v_pk_add_f16 v1, v1, v3;

	;;#ASMEND
	;; [unrolled: 4-line block ×3, first 2 shown]
	v_and_b32_e32 v2, 0xffff, v1
	v_lshrrev_b32_e32 v1, 16, v1
	;;#ASMSTART
	v_cvt_f32_f16 v65, v2;
	;;#ASMEND
	;;#ASMSTART
	v_cvt_f32_f16 v66, v1;
	;;#ASMEND
	global_load_dwordx4 v[1:4], v[5:6], off offset:1536
	s_waitcnt vmcnt(0)
	v_lshrrev_b32_e32 v67, 16, v1
	v_lshrrev_b32_e32 v8, 16, v2
	;; [unrolled: 1-line block ×3, first 2 shown]
	s_and_saveexec_b32 s17, s1
	s_cbranch_execz .LBB125_37
; %bb.36:                               ;   in Loop: Header=BB125_29 Depth=1
	v_cmp_gt_i32_e32 vcc_lo, s27, v53
	v_and_b32_e32 v68, 0xffff0000, v4
	v_cmp_gt_i32_e64 s2, s27, v58
	v_cndmask_b32_e32 v1, 0, v1, vcc_lo
	v_cmp_gt_i32_e32 vcc_lo, s27, v60
	v_cndmask_b32_e64 v2, 0, v2, s2
	v_cmp_gt_i32_e64 s2, s27, v57
	v_cndmask_b32_e32 v67, 0, v67, vcc_lo
	v_cmp_gt_i32_e32 vcc_lo, s27, v59
	v_cndmask_b32_e64 v8, 0, v8, s2
	v_cndmask_b32_sdwa v4, v44, v4, vcc_lo dst_sel:DWORD dst_unused:UNUSED_PAD src0_sel:DWORD src1_sel:WORD_0
	v_cmp_gt_i32_e32 vcc_lo, s27, v56
	v_cndmask_b32_e32 v68, 0, v68, vcc_lo
	v_cmp_gt_i32_e32 vcc_lo, s27, v55
	v_or_b32_e32 v4, v4, v68
	v_cndmask_b32_e32 v3, 0, v3, vcc_lo
	v_cmp_gt_i32_e32 vcc_lo, s27, v54
	v_cndmask_b32_e32 v7, 0, v7, vcc_lo
.LBB125_37:                             ;   in Loop: Header=BB125_29 Depth=1
	s_or_b32 exec_lo, exec_lo, s17
	v_lshlrev_b32_e32 v7, 16, v7
	v_lshlrev_b32_e32 v67, 16, v67
	;; [unrolled: 1-line block ×3, first 2 shown]
	v_and_or_b32 v3, 0xffff, v3, v7
	v_add_co_u32 v7, vcc_lo, 0x800, v5
	v_and_or_b32 v1, 0xffff, v1, v67
	v_and_or_b32 v2, 0xffff, v2, v8
	;;#ASMSTART
	v_pk_mul_f16 v1, v48, v1;

	;;#ASMEND
	v_add_co_ci_u32_e64 v8, null, 0, v6, vcc_lo
	;;#ASMSTART
	v_pk_mul_f16 v2, v47, v2;

	;;#ASMEND
	;;#ASMSTART
	v_pk_mul_f16 v3, v49, v3;

	;;#ASMEND
	;; [unrolled: 4-line block ×3, first 2 shown]
	;;#ASMSTART
	v_pk_add_f16 v1, v1, v2;

	;;#ASMEND
	;;#ASMSTART
	v_pk_add_f16 v1, v1, v3;

	;;#ASMEND
	;;#ASMSTART
	v_pk_add_f16 v1, v1, v4;

	;;#ASMEND
	v_lshrrev_b32_e32 v2, 16, v1
	v_and_b32_e32 v1, 0xffff, v1
	;;#ASMSTART
	v_cvt_f32_f16 v67, v1;
	;;#ASMEND
	;;#ASMSTART
	v_cvt_f32_f16 v68, v2;
	;;#ASMEND
	global_load_dwordx4 v[1:4], v[7:8], off
	s_waitcnt vmcnt(0)
	v_lshrrev_b32_e32 v71, 16, v1
	v_lshrrev_b32_e32 v70, 16, v2
	;; [unrolled: 1-line block ×3, first 2 shown]
	s_and_saveexec_b32 s17, s1
	s_cbranch_execz .LBB125_39
; %bb.38:                               ;   in Loop: Header=BB125_29 Depth=1
	v_cmp_gt_i32_e32 vcc_lo, s27, v53
	v_and_b32_e32 v72, 0xffff0000, v4
	v_cmp_gt_i32_e64 s2, s27, v58
	v_cndmask_b32_e32 v1, 0, v1, vcc_lo
	v_cmp_gt_i32_e32 vcc_lo, s27, v60
	v_cndmask_b32_e64 v2, 0, v2, s2
	v_cmp_gt_i32_e64 s2, s27, v57
	v_cndmask_b32_e32 v71, 0, v71, vcc_lo
	v_cmp_gt_i32_e32 vcc_lo, s27, v59
	v_cndmask_b32_e64 v70, 0, v70, s2
	v_cndmask_b32_sdwa v4, v44, v4, vcc_lo dst_sel:DWORD dst_unused:UNUSED_PAD src0_sel:DWORD src1_sel:WORD_0
	v_cmp_gt_i32_e32 vcc_lo, s27, v56
	v_cndmask_b32_e32 v72, 0, v72, vcc_lo
	v_cmp_gt_i32_e32 vcc_lo, s27, v55
	v_or_b32_e32 v4, v4, v72
	v_cndmask_b32_e32 v3, 0, v3, vcc_lo
	v_cmp_gt_i32_e32 vcc_lo, s27, v54
	v_cndmask_b32_e32 v69, 0, v69, vcc_lo
.LBB125_39:                             ;   in Loop: Header=BB125_29 Depth=1
	s_or_b32 exec_lo, exec_lo, s17
	v_lshlrev_b32_e32 v71, 16, v71
	v_lshlrev_b32_e32 v70, 16, v70
	;; [unrolled: 1-line block ×3, first 2 shown]
	v_and_or_b32 v1, 0xffff, v1, v71
	v_and_or_b32 v2, 0xffff, v2, v70
	;; [unrolled: 1-line block ×3, first 2 shown]
	;;#ASMSTART
	v_pk_mul_f16 v1, v48, v1;

	;;#ASMEND
	;;#ASMSTART
	v_pk_mul_f16 v2, v47, v2;

	;;#ASMEND
	;; [unrolled: 4-line block ×4, first 2 shown]
	;;#ASMSTART
	v_pk_add_f16 v1, v1, v2;

	;;#ASMEND
	;;#ASMSTART
	v_pk_add_f16 v1, v1, v3;

	;;#ASMEND
	;; [unrolled: 4-line block ×3, first 2 shown]
	v_and_b32_e32 v2, 0xffff, v1
	v_lshrrev_b32_e32 v1, 16, v1
	;;#ASMSTART
	v_cvt_f32_f16 v69, v2;
	;;#ASMEND
	;;#ASMSTART
	v_cvt_f32_f16 v70, v1;
	;;#ASMEND
	global_load_dwordx4 v[1:4], v[7:8], off offset:512
	s_waitcnt vmcnt(0)
	v_lshrrev_b32_e32 v73, 16, v1
	v_lshrrev_b32_e32 v72, 16, v2
	;; [unrolled: 1-line block ×3, first 2 shown]
	s_and_saveexec_b32 s17, s1
	s_cbranch_execz .LBB125_41
; %bb.40:                               ;   in Loop: Header=BB125_29 Depth=1
	v_cmp_gt_i32_e32 vcc_lo, s27, v53
	v_and_b32_e32 v74, 0xffff0000, v4
	v_cmp_gt_i32_e64 s2, s27, v58
	v_cndmask_b32_e32 v1, 0, v1, vcc_lo
	v_cmp_gt_i32_e32 vcc_lo, s27, v60
	v_cndmask_b32_e64 v2, 0, v2, s2
	v_cmp_gt_i32_e64 s2, s27, v57
	v_cndmask_b32_e32 v73, 0, v73, vcc_lo
	v_cmp_gt_i32_e32 vcc_lo, s27, v59
	v_cndmask_b32_e64 v72, 0, v72, s2
	v_cndmask_b32_sdwa v4, v44, v4, vcc_lo dst_sel:DWORD dst_unused:UNUSED_PAD src0_sel:DWORD src1_sel:WORD_0
	v_cmp_gt_i32_e32 vcc_lo, s27, v56
	v_cndmask_b32_e32 v74, 0, v74, vcc_lo
	v_cmp_gt_i32_e32 vcc_lo, s27, v55
	v_or_b32_e32 v4, v4, v74
	v_cndmask_b32_e32 v3, 0, v3, vcc_lo
	v_cmp_gt_i32_e32 vcc_lo, s27, v54
	v_cndmask_b32_e32 v71, 0, v71, vcc_lo
.LBB125_41:                             ;   in Loop: Header=BB125_29 Depth=1
	s_or_b32 exec_lo, exec_lo, s17
	v_lshlrev_b32_e32 v73, 16, v73
	v_lshlrev_b32_e32 v72, 16, v72
	;; [unrolled: 1-line block ×3, first 2 shown]
	v_and_or_b32 v1, 0xffff, v1, v73
	v_and_or_b32 v2, 0xffff, v2, v72
	;; [unrolled: 1-line block ×3, first 2 shown]
	;;#ASMSTART
	v_pk_mul_f16 v1, v48, v1;

	;;#ASMEND
	;;#ASMSTART
	v_pk_mul_f16 v2, v47, v2;

	;;#ASMEND
	;; [unrolled: 4-line block ×4, first 2 shown]
	;;#ASMSTART
	v_pk_add_f16 v1, v1, v2;

	;;#ASMEND
	;;#ASMSTART
	v_pk_add_f16 v1, v1, v3;

	;;#ASMEND
	;; [unrolled: 4-line block ×3, first 2 shown]
	v_and_b32_e32 v2, 0xffff, v1
	v_lshrrev_b32_e32 v1, 16, v1
	;;#ASMSTART
	v_cvt_f32_f16 v71, v2;
	;;#ASMEND
	;;#ASMSTART
	v_cvt_f32_f16 v72, v1;
	;;#ASMEND
	global_load_dwordx4 v[1:4], v[7:8], off offset:1024
	s_waitcnt vmcnt(0)
	v_lshrrev_b32_e32 v75, 16, v1
	v_lshrrev_b32_e32 v74, 16, v2
	;; [unrolled: 1-line block ×3, first 2 shown]
	s_and_saveexec_b32 s17, s1
	s_cbranch_execz .LBB125_43
; %bb.42:                               ;   in Loop: Header=BB125_29 Depth=1
	v_cmp_gt_i32_e32 vcc_lo, s27, v53
	v_and_b32_e32 v76, 0xffff0000, v4
	v_cmp_gt_i32_e64 s2, s27, v58
	v_cndmask_b32_e32 v1, 0, v1, vcc_lo
	v_cmp_gt_i32_e32 vcc_lo, s27, v60
	v_cndmask_b32_e64 v2, 0, v2, s2
	v_cmp_gt_i32_e64 s2, s27, v57
	v_cndmask_b32_e32 v75, 0, v75, vcc_lo
	v_cmp_gt_i32_e32 vcc_lo, s27, v59
	v_cndmask_b32_e64 v74, 0, v74, s2
	v_cndmask_b32_sdwa v4, v44, v4, vcc_lo dst_sel:DWORD dst_unused:UNUSED_PAD src0_sel:DWORD src1_sel:WORD_0
	v_cmp_gt_i32_e32 vcc_lo, s27, v56
	v_cndmask_b32_e32 v76, 0, v76, vcc_lo
	v_cmp_gt_i32_e32 vcc_lo, s27, v55
	v_or_b32_e32 v4, v4, v76
	v_cndmask_b32_e32 v3, 0, v3, vcc_lo
	v_cmp_gt_i32_e32 vcc_lo, s27, v54
	v_cndmask_b32_e32 v73, 0, v73, vcc_lo
.LBB125_43:                             ;   in Loop: Header=BB125_29 Depth=1
	s_or_b32 exec_lo, exec_lo, s17
	v_lshlrev_b32_e32 v75, 16, v75
	v_lshlrev_b32_e32 v74, 16, v74
	;; [unrolled: 1-line block ×3, first 2 shown]
	v_and_or_b32 v1, 0xffff, v1, v75
	v_and_or_b32 v2, 0xffff, v2, v74
	;; [unrolled: 1-line block ×3, first 2 shown]
	;;#ASMSTART
	v_pk_mul_f16 v1, v48, v1;

	;;#ASMEND
	;;#ASMSTART
	v_pk_mul_f16 v2, v47, v2;

	;;#ASMEND
	;; [unrolled: 4-line block ×4, first 2 shown]
	;;#ASMSTART
	v_pk_add_f16 v1, v1, v2;

	;;#ASMEND
	;;#ASMSTART
	v_pk_add_f16 v1, v1, v3;

	;;#ASMEND
	;; [unrolled: 4-line block ×3, first 2 shown]
	v_and_b32_e32 v2, 0xffff, v1
	v_lshrrev_b32_e32 v1, 16, v1
	;;#ASMSTART
	v_cvt_f32_f16 v73, v2;
	;;#ASMEND
	;;#ASMSTART
	v_cvt_f32_f16 v74, v1;
	;;#ASMEND
	global_load_dwordx4 v[1:4], v[7:8], off offset:1536
	s_waitcnt vmcnt(0)
	v_lshrrev_b32_e32 v75, 16, v1
	v_lshrrev_b32_e32 v8, 16, v2
	;; [unrolled: 1-line block ×3, first 2 shown]
	s_and_saveexec_b32 s17, s1
	s_cbranch_execz .LBB125_45
; %bb.44:                               ;   in Loop: Header=BB125_29 Depth=1
	v_cmp_gt_i32_e32 vcc_lo, s27, v53
	v_and_b32_e32 v76, 0xffff0000, v4
	v_cmp_gt_i32_e64 s2, s27, v58
	v_cndmask_b32_e32 v1, 0, v1, vcc_lo
	v_cmp_gt_i32_e32 vcc_lo, s27, v60
	v_cndmask_b32_e64 v2, 0, v2, s2
	v_cmp_gt_i32_e64 s2, s27, v57
	v_cndmask_b32_e32 v75, 0, v75, vcc_lo
	v_cmp_gt_i32_e32 vcc_lo, s27, v59
	v_cndmask_b32_e64 v8, 0, v8, s2
	v_cndmask_b32_sdwa v4, v44, v4, vcc_lo dst_sel:DWORD dst_unused:UNUSED_PAD src0_sel:DWORD src1_sel:WORD_0
	v_cmp_gt_i32_e32 vcc_lo, s27, v56
	v_cndmask_b32_e32 v76, 0, v76, vcc_lo
	v_cmp_gt_i32_e32 vcc_lo, s27, v55
	v_or_b32_e32 v4, v4, v76
	v_cndmask_b32_e32 v3, 0, v3, vcc_lo
	v_cmp_gt_i32_e32 vcc_lo, s27, v54
	v_cndmask_b32_e32 v7, 0, v7, vcc_lo
.LBB125_45:                             ;   in Loop: Header=BB125_29 Depth=1
	s_or_b32 exec_lo, exec_lo, s17
	v_lshlrev_b32_e32 v7, 16, v7
	v_lshlrev_b32_e32 v75, 16, v75
	;; [unrolled: 1-line block ×3, first 2 shown]
	v_and_or_b32 v3, 0xffff, v3, v7
	v_add_co_u32 v7, vcc_lo, 0x1000, v5
	v_and_or_b32 v1, 0xffff, v1, v75
	v_and_or_b32 v2, 0xffff, v2, v8
	;;#ASMSTART
	v_pk_mul_f16 v1, v48, v1;

	;;#ASMEND
	v_add_co_ci_u32_e64 v8, null, 0, v6, vcc_lo
	;;#ASMSTART
	v_pk_mul_f16 v2, v47, v2;

	;;#ASMEND
	;;#ASMSTART
	v_pk_mul_f16 v3, v49, v3;

	;;#ASMEND
	;; [unrolled: 4-line block ×3, first 2 shown]
	;;#ASMSTART
	v_pk_add_f16 v1, v1, v2;

	;;#ASMEND
	;;#ASMSTART
	v_pk_add_f16 v1, v1, v3;

	;;#ASMEND
	;; [unrolled: 4-line block ×3, first 2 shown]
	v_lshrrev_b32_e32 v2, 16, v1
	v_and_b32_e32 v1, 0xffff, v1
	;;#ASMSTART
	v_cvt_f32_f16 v75, v1;
	;;#ASMEND
	;;#ASMSTART
	v_cvt_f32_f16 v76, v2;
	;;#ASMEND
	global_load_dwordx4 v[1:4], v[7:8], off
	s_waitcnt vmcnt(0)
	v_lshrrev_b32_e32 v79, 16, v1
	v_lshrrev_b32_e32 v78, 16, v2
	;; [unrolled: 1-line block ×3, first 2 shown]
	s_and_saveexec_b32 s17, s1
	s_cbranch_execz .LBB125_47
; %bb.46:                               ;   in Loop: Header=BB125_29 Depth=1
	v_cmp_gt_i32_e32 vcc_lo, s27, v53
	v_and_b32_e32 v80, 0xffff0000, v4
	v_cmp_gt_i32_e64 s2, s27, v58
	v_cndmask_b32_e32 v1, 0, v1, vcc_lo
	v_cmp_gt_i32_e32 vcc_lo, s27, v60
	v_cndmask_b32_e64 v2, 0, v2, s2
	v_cmp_gt_i32_e64 s2, s27, v57
	v_cndmask_b32_e32 v79, 0, v79, vcc_lo
	v_cmp_gt_i32_e32 vcc_lo, s27, v59
	v_cndmask_b32_e64 v78, 0, v78, s2
	v_cndmask_b32_sdwa v4, v44, v4, vcc_lo dst_sel:DWORD dst_unused:UNUSED_PAD src0_sel:DWORD src1_sel:WORD_0
	v_cmp_gt_i32_e32 vcc_lo, s27, v56
	v_cndmask_b32_e32 v80, 0, v80, vcc_lo
	v_cmp_gt_i32_e32 vcc_lo, s27, v55
	v_or_b32_e32 v4, v4, v80
	v_cndmask_b32_e32 v3, 0, v3, vcc_lo
	v_cmp_gt_i32_e32 vcc_lo, s27, v54
	v_cndmask_b32_e32 v77, 0, v77, vcc_lo
.LBB125_47:                             ;   in Loop: Header=BB125_29 Depth=1
	s_or_b32 exec_lo, exec_lo, s17
	v_lshlrev_b32_e32 v79, 16, v79
	v_lshlrev_b32_e32 v78, 16, v78
	;; [unrolled: 1-line block ×3, first 2 shown]
	v_and_or_b32 v1, 0xffff, v1, v79
	v_and_or_b32 v2, 0xffff, v2, v78
	;; [unrolled: 1-line block ×3, first 2 shown]
	;;#ASMSTART
	v_pk_mul_f16 v1, v48, v1;

	;;#ASMEND
	;;#ASMSTART
	v_pk_mul_f16 v2, v47, v2;

	;;#ASMEND
	;; [unrolled: 4-line block ×4, first 2 shown]
	;;#ASMSTART
	v_pk_add_f16 v1, v1, v2;

	;;#ASMEND
	;;#ASMSTART
	v_pk_add_f16 v1, v1, v3;

	;;#ASMEND
	;; [unrolled: 4-line block ×3, first 2 shown]
	v_and_b32_e32 v2, 0xffff, v1
	v_lshrrev_b32_e32 v1, 16, v1
	;;#ASMSTART
	v_cvt_f32_f16 v77, v2;
	;;#ASMEND
	;;#ASMSTART
	v_cvt_f32_f16 v78, v1;
	;;#ASMEND
	global_load_dwordx4 v[1:4], v[7:8], off offset:512
	s_waitcnt vmcnt(0)
	v_lshrrev_b32_e32 v81, 16, v1
	v_lshrrev_b32_e32 v80, 16, v2
	;; [unrolled: 1-line block ×3, first 2 shown]
	s_and_saveexec_b32 s17, s1
	s_cbranch_execz .LBB125_49
; %bb.48:                               ;   in Loop: Header=BB125_29 Depth=1
	v_cmp_gt_i32_e32 vcc_lo, s27, v53
	v_and_b32_e32 v82, 0xffff0000, v4
	v_cmp_gt_i32_e64 s2, s27, v58
	v_cndmask_b32_e32 v1, 0, v1, vcc_lo
	v_cmp_gt_i32_e32 vcc_lo, s27, v60
	v_cndmask_b32_e64 v2, 0, v2, s2
	v_cmp_gt_i32_e64 s2, s27, v57
	v_cndmask_b32_e32 v81, 0, v81, vcc_lo
	v_cmp_gt_i32_e32 vcc_lo, s27, v59
	v_cndmask_b32_e64 v80, 0, v80, s2
	v_cndmask_b32_sdwa v4, v44, v4, vcc_lo dst_sel:DWORD dst_unused:UNUSED_PAD src0_sel:DWORD src1_sel:WORD_0
	v_cmp_gt_i32_e32 vcc_lo, s27, v56
	v_cndmask_b32_e32 v82, 0, v82, vcc_lo
	v_cmp_gt_i32_e32 vcc_lo, s27, v55
	v_or_b32_e32 v4, v4, v82
	v_cndmask_b32_e32 v3, 0, v3, vcc_lo
	v_cmp_gt_i32_e32 vcc_lo, s27, v54
	v_cndmask_b32_e32 v79, 0, v79, vcc_lo
.LBB125_49:                             ;   in Loop: Header=BB125_29 Depth=1
	s_or_b32 exec_lo, exec_lo, s17
	v_lshlrev_b32_e32 v81, 16, v81
	v_lshlrev_b32_e32 v80, 16, v80
	;; [unrolled: 1-line block ×3, first 2 shown]
	v_and_or_b32 v1, 0xffff, v1, v81
	v_and_or_b32 v2, 0xffff, v2, v80
	;; [unrolled: 1-line block ×3, first 2 shown]
	;;#ASMSTART
	v_pk_mul_f16 v1, v48, v1;

	;;#ASMEND
	;;#ASMSTART
	v_pk_mul_f16 v2, v47, v2;

	;;#ASMEND
	;; [unrolled: 4-line block ×4, first 2 shown]
	;;#ASMSTART
	v_pk_add_f16 v1, v1, v2;

	;;#ASMEND
	;;#ASMSTART
	v_pk_add_f16 v1, v1, v3;

	;;#ASMEND
	;; [unrolled: 4-line block ×3, first 2 shown]
	v_and_b32_e32 v2, 0xffff, v1
	v_lshrrev_b32_e32 v1, 16, v1
	;;#ASMSTART
	v_cvt_f32_f16 v79, v2;
	;;#ASMEND
	;;#ASMSTART
	v_cvt_f32_f16 v80, v1;
	;;#ASMEND
	global_load_dwordx4 v[1:4], v[7:8], off offset:1024
	s_waitcnt vmcnt(0)
	v_lshrrev_b32_e32 v83, 16, v1
	v_lshrrev_b32_e32 v82, 16, v2
	v_lshrrev_b32_e32 v81, 16, v3
	s_and_saveexec_b32 s17, s1
	s_cbranch_execz .LBB125_51
; %bb.50:                               ;   in Loop: Header=BB125_29 Depth=1
	v_cmp_gt_i32_e32 vcc_lo, s27, v53
	v_and_b32_e32 v84, 0xffff0000, v4
	v_cmp_gt_i32_e64 s2, s27, v58
	v_cndmask_b32_e32 v1, 0, v1, vcc_lo
	v_cmp_gt_i32_e32 vcc_lo, s27, v60
	v_cndmask_b32_e64 v2, 0, v2, s2
	v_cmp_gt_i32_e64 s2, s27, v57
	v_cndmask_b32_e32 v83, 0, v83, vcc_lo
	v_cmp_gt_i32_e32 vcc_lo, s27, v59
	v_cndmask_b32_e64 v82, 0, v82, s2
	v_cndmask_b32_sdwa v4, v44, v4, vcc_lo dst_sel:DWORD dst_unused:UNUSED_PAD src0_sel:DWORD src1_sel:WORD_0
	v_cmp_gt_i32_e32 vcc_lo, s27, v56
	v_cndmask_b32_e32 v84, 0, v84, vcc_lo
	v_cmp_gt_i32_e32 vcc_lo, s27, v55
	v_or_b32_e32 v4, v4, v84
	v_cndmask_b32_e32 v3, 0, v3, vcc_lo
	v_cmp_gt_i32_e32 vcc_lo, s27, v54
	v_cndmask_b32_e32 v81, 0, v81, vcc_lo
.LBB125_51:                             ;   in Loop: Header=BB125_29 Depth=1
	s_or_b32 exec_lo, exec_lo, s17
	v_lshlrev_b32_e32 v83, 16, v83
	v_lshlrev_b32_e32 v82, 16, v82
	v_lshlrev_b32_e32 v81, 16, v81
	v_and_or_b32 v1, 0xffff, v1, v83
	v_and_or_b32 v2, 0xffff, v2, v82
	v_and_or_b32 v3, 0xffff, v3, v81
	;;#ASMSTART
	v_pk_mul_f16 v1, v48, v1;

	;;#ASMEND
	;;#ASMSTART
	v_pk_mul_f16 v2, v47, v2;

	;;#ASMEND
	;; [unrolled: 4-line block ×4, first 2 shown]
	;;#ASMSTART
	v_pk_add_f16 v1, v1, v2;

	;;#ASMEND
	;;#ASMSTART
	v_pk_add_f16 v1, v1, v3;

	;;#ASMEND
	;; [unrolled: 4-line block ×3, first 2 shown]
	v_and_b32_e32 v2, 0xffff, v1
	v_lshrrev_b32_e32 v1, 16, v1
	;;#ASMSTART
	v_cvt_f32_f16 v81, v2;
	;;#ASMEND
	;;#ASMSTART
	v_cvt_f32_f16 v82, v1;
	;;#ASMEND
	global_load_dwordx4 v[1:4], v[7:8], off offset:1536
	s_waitcnt vmcnt(0)
	v_lshrrev_b32_e32 v83, 16, v1
	v_lshrrev_b32_e32 v8, 16, v2
	v_lshrrev_b32_e32 v7, 16, v3
	s_and_saveexec_b32 s17, s1
	s_cbranch_execz .LBB125_53
; %bb.52:                               ;   in Loop: Header=BB125_29 Depth=1
	v_cmp_gt_i32_e32 vcc_lo, s27, v53
	v_and_b32_e32 v84, 0xffff0000, v4
	v_cmp_gt_i32_e64 s2, s27, v58
	v_cndmask_b32_e32 v1, 0, v1, vcc_lo
	v_cmp_gt_i32_e32 vcc_lo, s27, v60
	v_cndmask_b32_e64 v2, 0, v2, s2
	v_cmp_gt_i32_e64 s2, s27, v57
	v_cndmask_b32_e32 v83, 0, v83, vcc_lo
	v_cmp_gt_i32_e32 vcc_lo, s27, v59
	v_cndmask_b32_e64 v8, 0, v8, s2
	v_cndmask_b32_sdwa v4, v44, v4, vcc_lo dst_sel:DWORD dst_unused:UNUSED_PAD src0_sel:DWORD src1_sel:WORD_0
	v_cmp_gt_i32_e32 vcc_lo, s27, v56
	v_cndmask_b32_e32 v84, 0, v84, vcc_lo
	v_cmp_gt_i32_e32 vcc_lo, s27, v55
	v_or_b32_e32 v4, v4, v84
	v_cndmask_b32_e32 v3, 0, v3, vcc_lo
	v_cmp_gt_i32_e32 vcc_lo, s27, v54
	v_cndmask_b32_e32 v7, 0, v7, vcc_lo
.LBB125_53:                             ;   in Loop: Header=BB125_29 Depth=1
	s_or_b32 exec_lo, exec_lo, s17
	v_lshlrev_b32_e32 v7, 16, v7
	v_lshlrev_b32_e32 v83, 16, v83
	;; [unrolled: 1-line block ×3, first 2 shown]
	v_and_or_b32 v3, 0xffff, v3, v7
	v_add_co_u32 v7, vcc_lo, 0x1800, v5
	v_and_or_b32 v1, 0xffff, v1, v83
	v_and_or_b32 v2, 0xffff, v2, v8
	;;#ASMSTART
	v_pk_mul_f16 v1, v48, v1;

	;;#ASMEND
	v_add_co_ci_u32_e64 v8, null, 0, v6, vcc_lo
	;;#ASMSTART
	v_pk_mul_f16 v2, v47, v2;

	;;#ASMEND
	;;#ASMSTART
	v_pk_mul_f16 v3, v49, v3;

	;;#ASMEND
	;; [unrolled: 4-line block ×3, first 2 shown]
	;;#ASMSTART
	v_pk_add_f16 v1, v1, v2;

	;;#ASMEND
	;;#ASMSTART
	v_pk_add_f16 v1, v1, v3;

	;;#ASMEND
	;; [unrolled: 4-line block ×3, first 2 shown]
	v_lshrrev_b32_e32 v2, 16, v1
	v_and_b32_e32 v1, 0xffff, v1
	;;#ASMSTART
	v_cvt_f32_f16 v83, v1;
	;;#ASMEND
	;;#ASMSTART
	v_cvt_f32_f16 v84, v2;
	;;#ASMEND
	global_load_dwordx4 v[1:4], v[7:8], off
	s_waitcnt vmcnt(0)
	v_lshrrev_b32_e32 v87, 16, v1
	v_lshrrev_b32_e32 v86, 16, v2
	;; [unrolled: 1-line block ×3, first 2 shown]
	s_and_saveexec_b32 s17, s1
	s_cbranch_execz .LBB125_55
; %bb.54:                               ;   in Loop: Header=BB125_29 Depth=1
	v_cmp_gt_i32_e32 vcc_lo, s27, v53
	v_and_b32_e32 v88, 0xffff0000, v4
	v_cmp_gt_i32_e64 s2, s27, v58
	v_cndmask_b32_e32 v1, 0, v1, vcc_lo
	v_cmp_gt_i32_e32 vcc_lo, s27, v60
	v_cndmask_b32_e64 v2, 0, v2, s2
	v_cmp_gt_i32_e64 s2, s27, v57
	v_cndmask_b32_e32 v87, 0, v87, vcc_lo
	v_cmp_gt_i32_e32 vcc_lo, s27, v59
	v_cndmask_b32_e64 v86, 0, v86, s2
	v_cndmask_b32_sdwa v4, v44, v4, vcc_lo dst_sel:DWORD dst_unused:UNUSED_PAD src0_sel:DWORD src1_sel:WORD_0
	v_cmp_gt_i32_e32 vcc_lo, s27, v56
	v_cndmask_b32_e32 v88, 0, v88, vcc_lo
	v_cmp_gt_i32_e32 vcc_lo, s27, v55
	v_or_b32_e32 v4, v4, v88
	v_cndmask_b32_e32 v3, 0, v3, vcc_lo
	v_cmp_gt_i32_e32 vcc_lo, s27, v54
	v_cndmask_b32_e32 v85, 0, v85, vcc_lo
.LBB125_55:                             ;   in Loop: Header=BB125_29 Depth=1
	s_or_b32 exec_lo, exec_lo, s17
	v_lshlrev_b32_e32 v87, 16, v87
	v_lshlrev_b32_e32 v86, 16, v86
	;; [unrolled: 1-line block ×3, first 2 shown]
	v_and_or_b32 v1, 0xffff, v1, v87
	v_and_or_b32 v2, 0xffff, v2, v86
	;; [unrolled: 1-line block ×3, first 2 shown]
	;;#ASMSTART
	v_pk_mul_f16 v1, v48, v1;

	;;#ASMEND
	;;#ASMSTART
	v_pk_mul_f16 v2, v47, v2;

	;;#ASMEND
	;; [unrolled: 4-line block ×4, first 2 shown]
	;;#ASMSTART
	v_pk_add_f16 v1, v1, v2;

	;;#ASMEND
	;;#ASMSTART
	v_pk_add_f16 v1, v1, v3;

	;;#ASMEND
	;; [unrolled: 4-line block ×3, first 2 shown]
	v_and_b32_e32 v2, 0xffff, v1
	v_lshrrev_b32_e32 v1, 16, v1
	;;#ASMSTART
	v_cvt_f32_f16 v85, v2;
	;;#ASMEND
	;;#ASMSTART
	v_cvt_f32_f16 v86, v1;
	;;#ASMEND
	global_load_dwordx4 v[1:4], v[7:8], off offset:512
	s_waitcnt vmcnt(0)
	v_lshrrev_b32_e32 v89, 16, v1
	v_lshrrev_b32_e32 v88, 16, v2
	v_lshrrev_b32_e32 v87, 16, v3
	s_and_saveexec_b32 s17, s1
	s_cbranch_execz .LBB125_57
; %bb.56:                               ;   in Loop: Header=BB125_29 Depth=1
	v_cmp_gt_i32_e32 vcc_lo, s27, v53
	v_and_b32_e32 v90, 0xffff0000, v4
	v_cmp_gt_i32_e64 s2, s27, v58
	v_cndmask_b32_e32 v1, 0, v1, vcc_lo
	v_cmp_gt_i32_e32 vcc_lo, s27, v60
	v_cndmask_b32_e64 v2, 0, v2, s2
	v_cmp_gt_i32_e64 s2, s27, v57
	v_cndmask_b32_e32 v89, 0, v89, vcc_lo
	v_cmp_gt_i32_e32 vcc_lo, s27, v59
	v_cndmask_b32_e64 v88, 0, v88, s2
	v_cndmask_b32_sdwa v4, v44, v4, vcc_lo dst_sel:DWORD dst_unused:UNUSED_PAD src0_sel:DWORD src1_sel:WORD_0
	v_cmp_gt_i32_e32 vcc_lo, s27, v56
	v_cndmask_b32_e32 v90, 0, v90, vcc_lo
	v_cmp_gt_i32_e32 vcc_lo, s27, v55
	v_or_b32_e32 v4, v4, v90
	v_cndmask_b32_e32 v3, 0, v3, vcc_lo
	v_cmp_gt_i32_e32 vcc_lo, s27, v54
	v_cndmask_b32_e32 v87, 0, v87, vcc_lo
.LBB125_57:                             ;   in Loop: Header=BB125_29 Depth=1
	s_or_b32 exec_lo, exec_lo, s17
	v_lshlrev_b32_e32 v89, 16, v89
	v_lshlrev_b32_e32 v88, 16, v88
	;; [unrolled: 1-line block ×3, first 2 shown]
	v_and_or_b32 v1, 0xffff, v1, v89
	v_and_or_b32 v2, 0xffff, v2, v88
	;; [unrolled: 1-line block ×3, first 2 shown]
	;;#ASMSTART
	v_pk_mul_f16 v1, v48, v1;

	;;#ASMEND
	;;#ASMSTART
	v_pk_mul_f16 v2, v47, v2;

	;;#ASMEND
	;; [unrolled: 4-line block ×4, first 2 shown]
	;;#ASMSTART
	v_pk_add_f16 v1, v1, v2;

	;;#ASMEND
	;;#ASMSTART
	v_pk_add_f16 v1, v1, v3;

	;;#ASMEND
	;; [unrolled: 4-line block ×3, first 2 shown]
	v_and_b32_e32 v2, 0xffff, v1
	v_lshrrev_b32_e32 v1, 16, v1
	;;#ASMSTART
	v_cvt_f32_f16 v87, v2;
	;;#ASMEND
	;;#ASMSTART
	v_cvt_f32_f16 v88, v1;
	;;#ASMEND
	global_load_dwordx4 v[1:4], v[7:8], off offset:1024
	s_waitcnt vmcnt(0)
	v_lshrrev_b32_e32 v91, 16, v1
	v_lshrrev_b32_e32 v90, 16, v2
	;; [unrolled: 1-line block ×3, first 2 shown]
	s_and_saveexec_b32 s17, s1
	s_cbranch_execz .LBB125_59
; %bb.58:                               ;   in Loop: Header=BB125_29 Depth=1
	v_cmp_gt_i32_e32 vcc_lo, s27, v53
	v_and_b32_e32 v92, 0xffff0000, v4
	v_cmp_gt_i32_e64 s2, s27, v58
	v_cndmask_b32_e32 v1, 0, v1, vcc_lo
	v_cmp_gt_i32_e32 vcc_lo, s27, v60
	v_cndmask_b32_e64 v2, 0, v2, s2
	v_cmp_gt_i32_e64 s2, s27, v57
	v_cndmask_b32_e32 v91, 0, v91, vcc_lo
	v_cmp_gt_i32_e32 vcc_lo, s27, v59
	v_cndmask_b32_e64 v90, 0, v90, s2
	v_cndmask_b32_sdwa v4, v44, v4, vcc_lo dst_sel:DWORD dst_unused:UNUSED_PAD src0_sel:DWORD src1_sel:WORD_0
	v_cmp_gt_i32_e32 vcc_lo, s27, v56
	v_cndmask_b32_e32 v92, 0, v92, vcc_lo
	v_cmp_gt_i32_e32 vcc_lo, s27, v55
	v_or_b32_e32 v4, v4, v92
	v_cndmask_b32_e32 v3, 0, v3, vcc_lo
	v_cmp_gt_i32_e32 vcc_lo, s27, v54
	v_cndmask_b32_e32 v89, 0, v89, vcc_lo
.LBB125_59:                             ;   in Loop: Header=BB125_29 Depth=1
	s_or_b32 exec_lo, exec_lo, s17
	v_lshlrev_b32_e32 v91, 16, v91
	v_lshlrev_b32_e32 v90, 16, v90
	;; [unrolled: 1-line block ×3, first 2 shown]
	v_and_or_b32 v1, 0xffff, v1, v91
	v_and_or_b32 v2, 0xffff, v2, v90
	;; [unrolled: 1-line block ×3, first 2 shown]
	;;#ASMSTART
	v_pk_mul_f16 v1, v48, v1;

	;;#ASMEND
	;;#ASMSTART
	v_pk_mul_f16 v2, v47, v2;

	;;#ASMEND
	;; [unrolled: 4-line block ×4, first 2 shown]
	;;#ASMSTART
	v_pk_add_f16 v1, v1, v2;

	;;#ASMEND
	;;#ASMSTART
	v_pk_add_f16 v1, v1, v3;

	;;#ASMEND
	;; [unrolled: 4-line block ×3, first 2 shown]
	v_and_b32_e32 v2, 0xffff, v1
	v_lshrrev_b32_e32 v1, 16, v1
	;;#ASMSTART
	v_cvt_f32_f16 v89, v2;
	;;#ASMEND
	;;#ASMSTART
	v_cvt_f32_f16 v90, v1;
	;;#ASMEND
	global_load_dwordx4 v[1:4], v[7:8], off offset:1536
	s_waitcnt vmcnt(0)
	v_lshrrev_b32_e32 v91, 16, v1
	v_lshrrev_b32_e32 v8, 16, v2
	v_lshrrev_b32_e32 v7, 16, v3
	s_and_saveexec_b32 s17, s1
	s_cbranch_execz .LBB125_61
; %bb.60:                               ;   in Loop: Header=BB125_29 Depth=1
	v_cmp_gt_i32_e32 vcc_lo, s27, v53
	v_and_b32_e32 v92, 0xffff0000, v4
	v_cmp_gt_i32_e64 s2, s27, v58
	v_cndmask_b32_e32 v1, 0, v1, vcc_lo
	v_cmp_gt_i32_e32 vcc_lo, s27, v60
	v_cndmask_b32_e64 v2, 0, v2, s2
	v_cmp_gt_i32_e64 s2, s27, v57
	v_cndmask_b32_e32 v91, 0, v91, vcc_lo
	v_cmp_gt_i32_e32 vcc_lo, s27, v59
	v_cndmask_b32_e64 v8, 0, v8, s2
	v_cndmask_b32_sdwa v4, v44, v4, vcc_lo dst_sel:DWORD dst_unused:UNUSED_PAD src0_sel:DWORD src1_sel:WORD_0
	v_cmp_gt_i32_e32 vcc_lo, s27, v56
	v_cndmask_b32_e32 v92, 0, v92, vcc_lo
	v_cmp_gt_i32_e32 vcc_lo, s27, v55
	v_or_b32_e32 v4, v4, v92
	v_cndmask_b32_e32 v3, 0, v3, vcc_lo
	v_cmp_gt_i32_e32 vcc_lo, s27, v54
	v_cndmask_b32_e32 v7, 0, v7, vcc_lo
.LBB125_61:                             ;   in Loop: Header=BB125_29 Depth=1
	s_or_b32 exec_lo, exec_lo, s17
	v_lshlrev_b32_e32 v7, 16, v7
	v_lshlrev_b32_e32 v91, 16, v91
	;; [unrolled: 1-line block ×3, first 2 shown]
	v_and_or_b32 v3, 0xffff, v3, v7
	v_add_co_u32 v7, vcc_lo, 0x2000, v5
	v_and_or_b32 v1, 0xffff, v1, v91
	v_and_or_b32 v2, 0xffff, v2, v8
	;;#ASMSTART
	v_pk_mul_f16 v1, v48, v1;

	;;#ASMEND
	v_add_co_ci_u32_e64 v8, null, 0, v6, vcc_lo
	;;#ASMSTART
	v_pk_mul_f16 v2, v47, v2;

	;;#ASMEND
	;;#ASMSTART
	v_pk_mul_f16 v3, v49, v3;

	;;#ASMEND
	;; [unrolled: 4-line block ×3, first 2 shown]
	;;#ASMSTART
	v_pk_add_f16 v1, v1, v2;

	;;#ASMEND
	;;#ASMSTART
	v_pk_add_f16 v1, v1, v3;

	;;#ASMEND
	;; [unrolled: 4-line block ×3, first 2 shown]
	v_lshrrev_b32_e32 v2, 16, v1
	v_and_b32_e32 v1, 0xffff, v1
	;;#ASMSTART
	v_cvt_f32_f16 v91, v1;
	;;#ASMEND
	;;#ASMSTART
	v_cvt_f32_f16 v92, v2;
	;;#ASMEND
	global_load_dwordx4 v[1:4], v[7:8], off
	s_waitcnt vmcnt(0)
	v_lshrrev_b32_e32 v95, 16, v1
	v_lshrrev_b32_e32 v94, 16, v2
	;; [unrolled: 1-line block ×3, first 2 shown]
	s_and_saveexec_b32 s17, s1
	s_cbranch_execz .LBB125_63
; %bb.62:                               ;   in Loop: Header=BB125_29 Depth=1
	v_cmp_gt_i32_e32 vcc_lo, s27, v53
	v_and_b32_e32 v96, 0xffff0000, v4
	v_cmp_gt_i32_e64 s2, s27, v58
	v_cndmask_b32_e32 v1, 0, v1, vcc_lo
	v_cmp_gt_i32_e32 vcc_lo, s27, v60
	v_cndmask_b32_e64 v2, 0, v2, s2
	v_cmp_gt_i32_e64 s2, s27, v57
	v_cndmask_b32_e32 v95, 0, v95, vcc_lo
	v_cmp_gt_i32_e32 vcc_lo, s27, v59
	v_cndmask_b32_e64 v94, 0, v94, s2
	v_cndmask_b32_sdwa v4, v44, v4, vcc_lo dst_sel:DWORD dst_unused:UNUSED_PAD src0_sel:DWORD src1_sel:WORD_0
	v_cmp_gt_i32_e32 vcc_lo, s27, v56
	v_cndmask_b32_e32 v96, 0, v96, vcc_lo
	v_cmp_gt_i32_e32 vcc_lo, s27, v55
	v_or_b32_e32 v4, v4, v96
	v_cndmask_b32_e32 v3, 0, v3, vcc_lo
	v_cmp_gt_i32_e32 vcc_lo, s27, v54
	v_cndmask_b32_e32 v93, 0, v93, vcc_lo
.LBB125_63:                             ;   in Loop: Header=BB125_29 Depth=1
	s_or_b32 exec_lo, exec_lo, s17
	v_lshlrev_b32_e32 v95, 16, v95
	v_lshlrev_b32_e32 v94, 16, v94
	;; [unrolled: 1-line block ×3, first 2 shown]
	v_and_or_b32 v1, 0xffff, v1, v95
	v_and_or_b32 v2, 0xffff, v2, v94
	;; [unrolled: 1-line block ×3, first 2 shown]
	;;#ASMSTART
	v_pk_mul_f16 v1, v48, v1;

	;;#ASMEND
	;;#ASMSTART
	v_pk_mul_f16 v2, v47, v2;

	;;#ASMEND
	;; [unrolled: 4-line block ×4, first 2 shown]
	;;#ASMSTART
	v_pk_add_f16 v1, v1, v2;

	;;#ASMEND
	;;#ASMSTART
	v_pk_add_f16 v1, v1, v3;

	;;#ASMEND
	;; [unrolled: 4-line block ×3, first 2 shown]
	v_and_b32_e32 v2, 0xffff, v1
	v_lshrrev_b32_e32 v1, 16, v1
	;;#ASMSTART
	v_cvt_f32_f16 v93, v2;
	;;#ASMEND
	;;#ASMSTART
	v_cvt_f32_f16 v94, v1;
	;;#ASMEND
	global_load_dwordx4 v[1:4], v[7:8], off offset:512
	s_waitcnt vmcnt(0)
	v_lshrrev_b32_e32 v97, 16, v1
	v_lshrrev_b32_e32 v96, 16, v2
	;; [unrolled: 1-line block ×3, first 2 shown]
	s_and_saveexec_b32 s17, s1
	s_cbranch_execz .LBB125_65
; %bb.64:                               ;   in Loop: Header=BB125_29 Depth=1
	v_cmp_gt_i32_e32 vcc_lo, s27, v53
	v_and_b32_e32 v98, 0xffff0000, v4
	v_cmp_gt_i32_e64 s2, s27, v58
	v_cndmask_b32_e32 v1, 0, v1, vcc_lo
	v_cmp_gt_i32_e32 vcc_lo, s27, v60
	v_cndmask_b32_e64 v2, 0, v2, s2
	v_cmp_gt_i32_e64 s2, s27, v57
	v_cndmask_b32_e32 v97, 0, v97, vcc_lo
	v_cmp_gt_i32_e32 vcc_lo, s27, v59
	v_cndmask_b32_e64 v96, 0, v96, s2
	v_cndmask_b32_sdwa v4, v44, v4, vcc_lo dst_sel:DWORD dst_unused:UNUSED_PAD src0_sel:DWORD src1_sel:WORD_0
	v_cmp_gt_i32_e32 vcc_lo, s27, v56
	v_cndmask_b32_e32 v98, 0, v98, vcc_lo
	v_cmp_gt_i32_e32 vcc_lo, s27, v55
	v_or_b32_e32 v4, v4, v98
	v_cndmask_b32_e32 v3, 0, v3, vcc_lo
	v_cmp_gt_i32_e32 vcc_lo, s27, v54
	v_cndmask_b32_e32 v95, 0, v95, vcc_lo
.LBB125_65:                             ;   in Loop: Header=BB125_29 Depth=1
	s_or_b32 exec_lo, exec_lo, s17
	v_lshlrev_b32_e32 v97, 16, v97
	v_lshlrev_b32_e32 v96, 16, v96
	;; [unrolled: 1-line block ×3, first 2 shown]
	v_and_or_b32 v1, 0xffff, v1, v97
	v_and_or_b32 v2, 0xffff, v2, v96
	;; [unrolled: 1-line block ×3, first 2 shown]
	;;#ASMSTART
	v_pk_mul_f16 v1, v48, v1;

	;;#ASMEND
	;;#ASMSTART
	v_pk_mul_f16 v2, v47, v2;

	;;#ASMEND
	;; [unrolled: 4-line block ×4, first 2 shown]
	;;#ASMSTART
	v_pk_add_f16 v1, v1, v2;

	;;#ASMEND
	;;#ASMSTART
	v_pk_add_f16 v1, v1, v3;

	;;#ASMEND
	;; [unrolled: 4-line block ×3, first 2 shown]
	v_and_b32_e32 v2, 0xffff, v1
	v_lshrrev_b32_e32 v1, 16, v1
	;;#ASMSTART
	v_cvt_f32_f16 v95, v2;
	;;#ASMEND
	;;#ASMSTART
	v_cvt_f32_f16 v96, v1;
	;;#ASMEND
	global_load_dwordx4 v[1:4], v[7:8], off offset:1024
	s_waitcnt vmcnt(0)
	v_lshrrev_b32_e32 v99, 16, v1
	v_lshrrev_b32_e32 v98, 16, v2
	;; [unrolled: 1-line block ×3, first 2 shown]
	s_and_saveexec_b32 s17, s1
	s_cbranch_execz .LBB125_67
; %bb.66:                               ;   in Loop: Header=BB125_29 Depth=1
	v_cmp_gt_i32_e32 vcc_lo, s27, v53
	v_and_b32_e32 v100, 0xffff0000, v4
	v_cmp_gt_i32_e64 s2, s27, v58
	v_cndmask_b32_e32 v1, 0, v1, vcc_lo
	v_cmp_gt_i32_e32 vcc_lo, s27, v60
	v_cndmask_b32_e64 v2, 0, v2, s2
	v_cmp_gt_i32_e64 s2, s27, v57
	v_cndmask_b32_e32 v99, 0, v99, vcc_lo
	v_cmp_gt_i32_e32 vcc_lo, s27, v59
	v_cndmask_b32_e64 v98, 0, v98, s2
	v_cndmask_b32_sdwa v4, v44, v4, vcc_lo dst_sel:DWORD dst_unused:UNUSED_PAD src0_sel:DWORD src1_sel:WORD_0
	v_cmp_gt_i32_e32 vcc_lo, s27, v56
	v_cndmask_b32_e32 v100, 0, v100, vcc_lo
	v_cmp_gt_i32_e32 vcc_lo, s27, v55
	v_or_b32_e32 v4, v4, v100
	v_cndmask_b32_e32 v3, 0, v3, vcc_lo
	v_cmp_gt_i32_e32 vcc_lo, s27, v54
	v_cndmask_b32_e32 v97, 0, v97, vcc_lo
.LBB125_67:                             ;   in Loop: Header=BB125_29 Depth=1
	s_or_b32 exec_lo, exec_lo, s17
	v_lshlrev_b32_e32 v99, 16, v99
	v_lshlrev_b32_e32 v98, 16, v98
	;; [unrolled: 1-line block ×3, first 2 shown]
	v_and_or_b32 v1, 0xffff, v1, v99
	v_and_or_b32 v2, 0xffff, v2, v98
	;; [unrolled: 1-line block ×3, first 2 shown]
	;;#ASMSTART
	v_pk_mul_f16 v1, v48, v1;

	;;#ASMEND
	;;#ASMSTART
	v_pk_mul_f16 v2, v47, v2;

	;;#ASMEND
	;; [unrolled: 4-line block ×4, first 2 shown]
	;;#ASMSTART
	v_pk_add_f16 v1, v1, v2;

	;;#ASMEND
	;;#ASMSTART
	v_pk_add_f16 v1, v1, v3;

	;;#ASMEND
	;; [unrolled: 4-line block ×3, first 2 shown]
	v_and_b32_e32 v2, 0xffff, v1
	v_lshrrev_b32_e32 v1, 16, v1
	;;#ASMSTART
	v_cvt_f32_f16 v97, v2;
	;;#ASMEND
	;;#ASMSTART
	v_cvt_f32_f16 v98, v1;
	;;#ASMEND
	global_load_dwordx4 v[1:4], v[7:8], off offset:1536
	s_waitcnt vmcnt(0)
	v_lshrrev_b32_e32 v99, 16, v1
	v_lshrrev_b32_e32 v8, 16, v2
	v_lshrrev_b32_e32 v7, 16, v3
	s_and_saveexec_b32 s17, s1
	s_cbranch_execz .LBB125_69
; %bb.68:                               ;   in Loop: Header=BB125_29 Depth=1
	v_cmp_gt_i32_e32 vcc_lo, s27, v53
	v_and_b32_e32 v100, 0xffff0000, v4
	v_cmp_gt_i32_e64 s2, s27, v58
	v_cndmask_b32_e32 v1, 0, v1, vcc_lo
	v_cmp_gt_i32_e32 vcc_lo, s27, v60
	v_cndmask_b32_e64 v2, 0, v2, s2
	v_cmp_gt_i32_e64 s2, s27, v57
	v_cndmask_b32_e32 v99, 0, v99, vcc_lo
	v_cmp_gt_i32_e32 vcc_lo, s27, v59
	v_cndmask_b32_e64 v8, 0, v8, s2
	v_cndmask_b32_sdwa v4, v44, v4, vcc_lo dst_sel:DWORD dst_unused:UNUSED_PAD src0_sel:DWORD src1_sel:WORD_0
	v_cmp_gt_i32_e32 vcc_lo, s27, v56
	v_cndmask_b32_e32 v100, 0, v100, vcc_lo
	v_cmp_gt_i32_e32 vcc_lo, s27, v55
	v_or_b32_e32 v4, v4, v100
	v_cndmask_b32_e32 v3, 0, v3, vcc_lo
	v_cmp_gt_i32_e32 vcc_lo, s27, v54
	v_cndmask_b32_e32 v7, 0, v7, vcc_lo
.LBB125_69:                             ;   in Loop: Header=BB125_29 Depth=1
	s_or_b32 exec_lo, exec_lo, s17
	v_lshlrev_b32_e32 v7, 16, v7
	v_lshlrev_b32_e32 v99, 16, v99
	;; [unrolled: 1-line block ×3, first 2 shown]
	v_and_or_b32 v3, 0xffff, v3, v7
	v_add_co_u32 v7, vcc_lo, 0x2800, v5
	v_and_or_b32 v1, 0xffff, v1, v99
	v_and_or_b32 v2, 0xffff, v2, v8
	;;#ASMSTART
	v_pk_mul_f16 v1, v48, v1;

	;;#ASMEND
	v_add_co_ci_u32_e64 v8, null, 0, v6, vcc_lo
	;;#ASMSTART
	v_pk_mul_f16 v2, v47, v2;

	;;#ASMEND
	;;#ASMSTART
	v_pk_mul_f16 v3, v49, v3;

	;;#ASMEND
	;; [unrolled: 4-line block ×3, first 2 shown]
	;;#ASMSTART
	v_pk_add_f16 v1, v1, v2;

	;;#ASMEND
	;;#ASMSTART
	v_pk_add_f16 v1, v1, v3;

	;;#ASMEND
	;; [unrolled: 4-line block ×3, first 2 shown]
	v_lshrrev_b32_e32 v2, 16, v1
	v_and_b32_e32 v1, 0xffff, v1
	;;#ASMSTART
	v_cvt_f32_f16 v99, v1;
	;;#ASMEND
	;;#ASMSTART
	v_cvt_f32_f16 v100, v2;
	;;#ASMEND
	global_load_dwordx4 v[1:4], v[7:8], off
	s_waitcnt vmcnt(0)
	v_lshrrev_b32_e32 v103, 16, v1
	v_lshrrev_b32_e32 v102, 16, v2
	;; [unrolled: 1-line block ×3, first 2 shown]
	s_and_saveexec_b32 s17, s1
	s_cbranch_execz .LBB125_71
; %bb.70:                               ;   in Loop: Header=BB125_29 Depth=1
	v_cmp_gt_i32_e32 vcc_lo, s27, v53
	v_and_b32_e32 v104, 0xffff0000, v4
	v_cmp_gt_i32_e64 s2, s27, v58
	v_cndmask_b32_e32 v1, 0, v1, vcc_lo
	v_cmp_gt_i32_e32 vcc_lo, s27, v60
	v_cndmask_b32_e64 v2, 0, v2, s2
	v_cmp_gt_i32_e64 s2, s27, v57
	v_cndmask_b32_e32 v103, 0, v103, vcc_lo
	v_cmp_gt_i32_e32 vcc_lo, s27, v59
	v_cndmask_b32_e64 v102, 0, v102, s2
	v_cndmask_b32_sdwa v4, v44, v4, vcc_lo dst_sel:DWORD dst_unused:UNUSED_PAD src0_sel:DWORD src1_sel:WORD_0
	v_cmp_gt_i32_e32 vcc_lo, s27, v56
	v_cndmask_b32_e32 v104, 0, v104, vcc_lo
	v_cmp_gt_i32_e32 vcc_lo, s27, v55
	v_or_b32_e32 v4, v4, v104
	v_cndmask_b32_e32 v3, 0, v3, vcc_lo
	v_cmp_gt_i32_e32 vcc_lo, s27, v54
	v_cndmask_b32_e32 v101, 0, v101, vcc_lo
.LBB125_71:                             ;   in Loop: Header=BB125_29 Depth=1
	s_or_b32 exec_lo, exec_lo, s17
	v_lshlrev_b32_e32 v103, 16, v103
	v_lshlrev_b32_e32 v102, 16, v102
	;; [unrolled: 1-line block ×3, first 2 shown]
	v_and_or_b32 v1, 0xffff, v1, v103
	v_and_or_b32 v2, 0xffff, v2, v102
	;; [unrolled: 1-line block ×3, first 2 shown]
	;;#ASMSTART
	v_pk_mul_f16 v1, v48, v1;

	;;#ASMEND
	;;#ASMSTART
	v_pk_mul_f16 v2, v47, v2;

	;;#ASMEND
	;; [unrolled: 4-line block ×4, first 2 shown]
	;;#ASMSTART
	v_pk_add_f16 v1, v1, v2;

	;;#ASMEND
	;;#ASMSTART
	v_pk_add_f16 v1, v1, v3;

	;;#ASMEND
	;; [unrolled: 4-line block ×3, first 2 shown]
	v_and_b32_e32 v2, 0xffff, v1
	v_lshrrev_b32_e32 v1, 16, v1
	;;#ASMSTART
	v_cvt_f32_f16 v101, v2;
	;;#ASMEND
	;;#ASMSTART
	v_cvt_f32_f16 v102, v1;
	;;#ASMEND
	global_load_dwordx4 v[1:4], v[7:8], off offset:512
	s_waitcnt vmcnt(0)
	v_lshrrev_b32_e32 v105, 16, v1
	v_lshrrev_b32_e32 v104, 16, v2
	v_lshrrev_b32_e32 v103, 16, v3
	s_and_saveexec_b32 s17, s1
	s_cbranch_execz .LBB125_73
; %bb.72:                               ;   in Loop: Header=BB125_29 Depth=1
	v_cmp_gt_i32_e32 vcc_lo, s27, v53
	v_and_b32_e32 v106, 0xffff0000, v4
	v_cmp_gt_i32_e64 s2, s27, v58
	v_cndmask_b32_e32 v1, 0, v1, vcc_lo
	v_cmp_gt_i32_e32 vcc_lo, s27, v60
	v_cndmask_b32_e64 v2, 0, v2, s2
	v_cmp_gt_i32_e64 s2, s27, v57
	v_cndmask_b32_e32 v105, 0, v105, vcc_lo
	v_cmp_gt_i32_e32 vcc_lo, s27, v59
	v_cndmask_b32_e64 v104, 0, v104, s2
	v_cndmask_b32_sdwa v4, v44, v4, vcc_lo dst_sel:DWORD dst_unused:UNUSED_PAD src0_sel:DWORD src1_sel:WORD_0
	v_cmp_gt_i32_e32 vcc_lo, s27, v56
	v_cndmask_b32_e32 v106, 0, v106, vcc_lo
	v_cmp_gt_i32_e32 vcc_lo, s27, v55
	v_or_b32_e32 v4, v4, v106
	v_cndmask_b32_e32 v3, 0, v3, vcc_lo
	v_cmp_gt_i32_e32 vcc_lo, s27, v54
	v_cndmask_b32_e32 v103, 0, v103, vcc_lo
.LBB125_73:                             ;   in Loop: Header=BB125_29 Depth=1
	s_or_b32 exec_lo, exec_lo, s17
	v_lshlrev_b32_e32 v105, 16, v105
	v_lshlrev_b32_e32 v104, 16, v104
	;; [unrolled: 1-line block ×3, first 2 shown]
	v_and_or_b32 v1, 0xffff, v1, v105
	v_and_or_b32 v2, 0xffff, v2, v104
	;; [unrolled: 1-line block ×3, first 2 shown]
	;;#ASMSTART
	v_pk_mul_f16 v1, v48, v1;

	;;#ASMEND
	;;#ASMSTART
	v_pk_mul_f16 v2, v47, v2;

	;;#ASMEND
	;; [unrolled: 4-line block ×4, first 2 shown]
	;;#ASMSTART
	v_pk_add_f16 v1, v1, v2;

	;;#ASMEND
	;;#ASMSTART
	v_pk_add_f16 v1, v1, v3;

	;;#ASMEND
	;; [unrolled: 4-line block ×3, first 2 shown]
	v_and_b32_e32 v2, 0xffff, v1
	v_lshrrev_b32_e32 v1, 16, v1
	;;#ASMSTART
	v_cvt_f32_f16 v103, v2;
	;;#ASMEND
	;;#ASMSTART
	v_cvt_f32_f16 v104, v1;
	;;#ASMEND
	global_load_dwordx4 v[1:4], v[7:8], off offset:1024
	s_waitcnt vmcnt(0)
	v_lshrrev_b32_e32 v107, 16, v1
	v_lshrrev_b32_e32 v106, 16, v2
	;; [unrolled: 1-line block ×3, first 2 shown]
	s_and_saveexec_b32 s17, s1
	s_cbranch_execz .LBB125_75
; %bb.74:                               ;   in Loop: Header=BB125_29 Depth=1
	v_cmp_gt_i32_e32 vcc_lo, s27, v53
	v_and_b32_e32 v108, 0xffff0000, v4
	v_cmp_gt_i32_e64 s2, s27, v58
	v_cndmask_b32_e32 v1, 0, v1, vcc_lo
	v_cmp_gt_i32_e32 vcc_lo, s27, v60
	v_cndmask_b32_e64 v2, 0, v2, s2
	v_cmp_gt_i32_e64 s2, s27, v57
	v_cndmask_b32_e32 v107, 0, v107, vcc_lo
	v_cmp_gt_i32_e32 vcc_lo, s27, v59
	v_cndmask_b32_e64 v106, 0, v106, s2
	v_cndmask_b32_sdwa v4, v44, v4, vcc_lo dst_sel:DWORD dst_unused:UNUSED_PAD src0_sel:DWORD src1_sel:WORD_0
	v_cmp_gt_i32_e32 vcc_lo, s27, v56
	v_cndmask_b32_e32 v108, 0, v108, vcc_lo
	v_cmp_gt_i32_e32 vcc_lo, s27, v55
	v_or_b32_e32 v4, v4, v108
	v_cndmask_b32_e32 v3, 0, v3, vcc_lo
	v_cmp_gt_i32_e32 vcc_lo, s27, v54
	v_cndmask_b32_e32 v105, 0, v105, vcc_lo
.LBB125_75:                             ;   in Loop: Header=BB125_29 Depth=1
	s_or_b32 exec_lo, exec_lo, s17
	v_lshlrev_b32_e32 v107, 16, v107
	v_lshlrev_b32_e32 v106, 16, v106
	;; [unrolled: 1-line block ×3, first 2 shown]
	v_and_or_b32 v1, 0xffff, v1, v107
	v_and_or_b32 v2, 0xffff, v2, v106
	;; [unrolled: 1-line block ×3, first 2 shown]
	;;#ASMSTART
	v_pk_mul_f16 v1, v48, v1;

	;;#ASMEND
	;;#ASMSTART
	v_pk_mul_f16 v2, v47, v2;

	;;#ASMEND
	;; [unrolled: 4-line block ×4, first 2 shown]
	;;#ASMSTART
	v_pk_add_f16 v1, v1, v2;

	;;#ASMEND
	;;#ASMSTART
	v_pk_add_f16 v1, v1, v3;

	;;#ASMEND
	;; [unrolled: 4-line block ×3, first 2 shown]
	v_and_b32_e32 v2, 0xffff, v1
	v_lshrrev_b32_e32 v1, 16, v1
	;;#ASMSTART
	v_cvt_f32_f16 v105, v2;
	;;#ASMEND
	;;#ASMSTART
	v_cvt_f32_f16 v106, v1;
	;;#ASMEND
	global_load_dwordx4 v[1:4], v[7:8], off offset:1536
	s_waitcnt vmcnt(0)
	v_lshrrev_b32_e32 v107, 16, v1
	v_lshrrev_b32_e32 v8, 16, v2
	;; [unrolled: 1-line block ×3, first 2 shown]
	s_and_saveexec_b32 s17, s1
	s_cbranch_execz .LBB125_77
; %bb.76:                               ;   in Loop: Header=BB125_29 Depth=1
	v_cmp_gt_i32_e32 vcc_lo, s27, v53
	v_and_b32_e32 v108, 0xffff0000, v4
	v_cmp_gt_i32_e64 s2, s27, v58
	v_cndmask_b32_e32 v1, 0, v1, vcc_lo
	v_cmp_gt_i32_e32 vcc_lo, s27, v60
	v_cndmask_b32_e64 v2, 0, v2, s2
	v_cmp_gt_i32_e64 s2, s27, v57
	v_cndmask_b32_e32 v107, 0, v107, vcc_lo
	v_cmp_gt_i32_e32 vcc_lo, s27, v59
	v_cndmask_b32_e64 v8, 0, v8, s2
	v_cndmask_b32_sdwa v4, v44, v4, vcc_lo dst_sel:DWORD dst_unused:UNUSED_PAD src0_sel:DWORD src1_sel:WORD_0
	v_cmp_gt_i32_e32 vcc_lo, s27, v56
	v_cndmask_b32_e32 v108, 0, v108, vcc_lo
	v_cmp_gt_i32_e32 vcc_lo, s27, v55
	v_or_b32_e32 v4, v4, v108
	v_cndmask_b32_e32 v3, 0, v3, vcc_lo
	v_cmp_gt_i32_e32 vcc_lo, s27, v54
	v_cndmask_b32_e32 v7, 0, v7, vcc_lo
.LBB125_77:                             ;   in Loop: Header=BB125_29 Depth=1
	s_or_b32 exec_lo, exec_lo, s17
	v_lshlrev_b32_e32 v7, 16, v7
	v_lshlrev_b32_e32 v107, 16, v107
	;; [unrolled: 1-line block ×3, first 2 shown]
	v_and_or_b32 v3, 0xffff, v3, v7
	v_add_co_u32 v7, vcc_lo, 0x3000, v5
	v_and_or_b32 v1, 0xffff, v1, v107
	v_and_or_b32 v2, 0xffff, v2, v8
	;;#ASMSTART
	v_pk_mul_f16 v1, v48, v1;

	;;#ASMEND
	v_add_co_ci_u32_e64 v8, null, 0, v6, vcc_lo
	;;#ASMSTART
	v_pk_mul_f16 v2, v47, v2;

	;;#ASMEND
	;;#ASMSTART
	v_pk_mul_f16 v3, v49, v3;

	;;#ASMEND
	;; [unrolled: 4-line block ×3, first 2 shown]
	;;#ASMSTART
	v_pk_add_f16 v1, v1, v2;

	;;#ASMEND
	;;#ASMSTART
	v_pk_add_f16 v1, v1, v3;

	;;#ASMEND
	;; [unrolled: 4-line block ×3, first 2 shown]
	v_lshrrev_b32_e32 v2, 16, v1
	v_and_b32_e32 v1, 0xffff, v1
	;;#ASMSTART
	v_cvt_f32_f16 v107, v1;
	;;#ASMEND
	;;#ASMSTART
	v_cvt_f32_f16 v108, v2;
	;;#ASMEND
	global_load_dwordx4 v[1:4], v[7:8], off
	s_waitcnt vmcnt(0)
	v_lshrrev_b32_e32 v111, 16, v1
	v_lshrrev_b32_e32 v110, 16, v2
	v_lshrrev_b32_e32 v109, 16, v3
	s_and_saveexec_b32 s17, s1
	s_cbranch_execz .LBB125_79
; %bb.78:                               ;   in Loop: Header=BB125_29 Depth=1
	v_cmp_gt_i32_e32 vcc_lo, s27, v53
	v_and_b32_e32 v112, 0xffff0000, v4
	v_cmp_gt_i32_e64 s2, s27, v58
	v_cndmask_b32_e32 v1, 0, v1, vcc_lo
	v_cmp_gt_i32_e32 vcc_lo, s27, v60
	v_cndmask_b32_e64 v2, 0, v2, s2
	v_cmp_gt_i32_e64 s2, s27, v57
	v_cndmask_b32_e32 v111, 0, v111, vcc_lo
	v_cmp_gt_i32_e32 vcc_lo, s27, v59
	v_cndmask_b32_e64 v110, 0, v110, s2
	v_cndmask_b32_sdwa v4, v44, v4, vcc_lo dst_sel:DWORD dst_unused:UNUSED_PAD src0_sel:DWORD src1_sel:WORD_0
	v_cmp_gt_i32_e32 vcc_lo, s27, v56
	v_cndmask_b32_e32 v112, 0, v112, vcc_lo
	v_cmp_gt_i32_e32 vcc_lo, s27, v55
	v_or_b32_e32 v4, v4, v112
	v_cndmask_b32_e32 v3, 0, v3, vcc_lo
	v_cmp_gt_i32_e32 vcc_lo, s27, v54
	v_cndmask_b32_e32 v109, 0, v109, vcc_lo
.LBB125_79:                             ;   in Loop: Header=BB125_29 Depth=1
	s_or_b32 exec_lo, exec_lo, s17
	v_lshlrev_b32_e32 v111, 16, v111
	v_lshlrev_b32_e32 v110, 16, v110
	;; [unrolled: 1-line block ×3, first 2 shown]
	v_and_or_b32 v1, 0xffff, v1, v111
	v_and_or_b32 v2, 0xffff, v2, v110
	;; [unrolled: 1-line block ×3, first 2 shown]
	;;#ASMSTART
	v_pk_mul_f16 v1, v48, v1;

	;;#ASMEND
	;;#ASMSTART
	v_pk_mul_f16 v2, v47, v2;

	;;#ASMEND
	;; [unrolled: 4-line block ×4, first 2 shown]
	;;#ASMSTART
	v_pk_add_f16 v1, v1, v2;

	;;#ASMEND
	;;#ASMSTART
	v_pk_add_f16 v1, v1, v3;

	;;#ASMEND
	;;#ASMSTART
	v_pk_add_f16 v1, v1, v4;

	;;#ASMEND
	v_and_b32_e32 v2, 0xffff, v1
	v_lshrrev_b32_e32 v1, 16, v1
	;;#ASMSTART
	v_cvt_f32_f16 v109, v2;
	;;#ASMEND
	;;#ASMSTART
	v_cvt_f32_f16 v110, v1;
	;;#ASMEND
	global_load_dwordx4 v[1:4], v[7:8], off offset:512
	s_waitcnt vmcnt(0)
	v_lshrrev_b32_e32 v113, 16, v1
	v_lshrrev_b32_e32 v112, 16, v2
	;; [unrolled: 1-line block ×3, first 2 shown]
	s_and_saveexec_b32 s17, s1
	s_cbranch_execz .LBB125_81
; %bb.80:                               ;   in Loop: Header=BB125_29 Depth=1
	v_cmp_gt_i32_e32 vcc_lo, s27, v53
	v_and_b32_e32 v114, 0xffff0000, v4
	v_cmp_gt_i32_e64 s2, s27, v58
	v_cndmask_b32_e32 v1, 0, v1, vcc_lo
	v_cmp_gt_i32_e32 vcc_lo, s27, v60
	v_cndmask_b32_e64 v2, 0, v2, s2
	v_cmp_gt_i32_e64 s2, s27, v57
	v_cndmask_b32_e32 v113, 0, v113, vcc_lo
	v_cmp_gt_i32_e32 vcc_lo, s27, v59
	v_cndmask_b32_e64 v112, 0, v112, s2
	v_cndmask_b32_sdwa v4, v44, v4, vcc_lo dst_sel:DWORD dst_unused:UNUSED_PAD src0_sel:DWORD src1_sel:WORD_0
	v_cmp_gt_i32_e32 vcc_lo, s27, v56
	v_cndmask_b32_e32 v114, 0, v114, vcc_lo
	v_cmp_gt_i32_e32 vcc_lo, s27, v55
	v_or_b32_e32 v4, v4, v114
	v_cndmask_b32_e32 v3, 0, v3, vcc_lo
	v_cmp_gt_i32_e32 vcc_lo, s27, v54
	v_cndmask_b32_e32 v111, 0, v111, vcc_lo
.LBB125_81:                             ;   in Loop: Header=BB125_29 Depth=1
	s_or_b32 exec_lo, exec_lo, s17
	v_lshlrev_b32_e32 v113, 16, v113
	v_lshlrev_b32_e32 v112, 16, v112
	;; [unrolled: 1-line block ×3, first 2 shown]
	v_and_or_b32 v1, 0xffff, v1, v113
	v_and_or_b32 v2, 0xffff, v2, v112
	v_and_or_b32 v3, 0xffff, v3, v111
	;;#ASMSTART
	v_pk_mul_f16 v1, v48, v1;

	;;#ASMEND
	;;#ASMSTART
	v_pk_mul_f16 v2, v47, v2;

	;;#ASMEND
	;; [unrolled: 4-line block ×4, first 2 shown]
	;;#ASMSTART
	v_pk_add_f16 v1, v1, v2;

	;;#ASMEND
	;;#ASMSTART
	v_pk_add_f16 v1, v1, v3;

	;;#ASMEND
	;; [unrolled: 4-line block ×3, first 2 shown]
	v_and_b32_e32 v2, 0xffff, v1
	v_lshrrev_b32_e32 v1, 16, v1
	;;#ASMSTART
	v_cvt_f32_f16 v111, v2;
	;;#ASMEND
	;;#ASMSTART
	v_cvt_f32_f16 v112, v1;
	;;#ASMEND
	global_load_dwordx4 v[1:4], v[7:8], off offset:1024
	s_waitcnt vmcnt(0)
	v_lshrrev_b32_e32 v115, 16, v1
	v_lshrrev_b32_e32 v114, 16, v2
	;; [unrolled: 1-line block ×3, first 2 shown]
	s_and_saveexec_b32 s17, s1
	s_cbranch_execz .LBB125_83
; %bb.82:                               ;   in Loop: Header=BB125_29 Depth=1
	v_cmp_gt_i32_e32 vcc_lo, s27, v53
	v_and_b32_e32 v116, 0xffff0000, v4
	v_cmp_gt_i32_e64 s2, s27, v58
	v_cndmask_b32_e32 v1, 0, v1, vcc_lo
	v_cmp_gt_i32_e32 vcc_lo, s27, v60
	v_cndmask_b32_e64 v2, 0, v2, s2
	v_cmp_gt_i32_e64 s2, s27, v57
	v_cndmask_b32_e32 v115, 0, v115, vcc_lo
	v_cmp_gt_i32_e32 vcc_lo, s27, v59
	v_cndmask_b32_e64 v114, 0, v114, s2
	v_cndmask_b32_sdwa v4, v44, v4, vcc_lo dst_sel:DWORD dst_unused:UNUSED_PAD src0_sel:DWORD src1_sel:WORD_0
	v_cmp_gt_i32_e32 vcc_lo, s27, v56
	v_cndmask_b32_e32 v116, 0, v116, vcc_lo
	v_cmp_gt_i32_e32 vcc_lo, s27, v55
	v_or_b32_e32 v4, v4, v116
	v_cndmask_b32_e32 v3, 0, v3, vcc_lo
	v_cmp_gt_i32_e32 vcc_lo, s27, v54
	v_cndmask_b32_e32 v113, 0, v113, vcc_lo
.LBB125_83:                             ;   in Loop: Header=BB125_29 Depth=1
	s_or_b32 exec_lo, exec_lo, s17
	v_lshlrev_b32_e32 v115, 16, v115
	v_lshlrev_b32_e32 v114, 16, v114
	;; [unrolled: 1-line block ×3, first 2 shown]
	v_and_or_b32 v1, 0xffff, v1, v115
	v_and_or_b32 v2, 0xffff, v2, v114
	;; [unrolled: 1-line block ×3, first 2 shown]
	;;#ASMSTART
	v_pk_mul_f16 v1, v48, v1;

	;;#ASMEND
	;;#ASMSTART
	v_pk_mul_f16 v2, v47, v2;

	;;#ASMEND
	;; [unrolled: 4-line block ×4, first 2 shown]
	;;#ASMSTART
	v_pk_add_f16 v1, v1, v2;

	;;#ASMEND
	;;#ASMSTART
	v_pk_add_f16 v1, v1, v3;

	;;#ASMEND
	;; [unrolled: 4-line block ×3, first 2 shown]
	v_and_b32_e32 v2, 0xffff, v1
	v_lshrrev_b32_e32 v1, 16, v1
	;;#ASMSTART
	v_cvt_f32_f16 v113, v2;
	;;#ASMEND
	;;#ASMSTART
	v_cvt_f32_f16 v114, v1;
	;;#ASMEND
	global_load_dwordx4 v[1:4], v[7:8], off offset:1536
	s_waitcnt vmcnt(0)
	v_lshrrev_b32_e32 v115, 16, v1
	v_lshrrev_b32_e32 v8, 16, v2
	;; [unrolled: 1-line block ×3, first 2 shown]
	s_and_saveexec_b32 s17, s1
	s_cbranch_execz .LBB125_85
; %bb.84:                               ;   in Loop: Header=BB125_29 Depth=1
	v_cmp_gt_i32_e32 vcc_lo, s27, v53
	v_and_b32_e32 v116, 0xffff0000, v4
	v_cmp_gt_i32_e64 s2, s27, v58
	v_cndmask_b32_e32 v1, 0, v1, vcc_lo
	v_cmp_gt_i32_e32 vcc_lo, s27, v60
	v_cndmask_b32_e64 v2, 0, v2, s2
	v_cmp_gt_i32_e64 s2, s27, v57
	v_cndmask_b32_e32 v115, 0, v115, vcc_lo
	v_cmp_gt_i32_e32 vcc_lo, s27, v59
	v_cndmask_b32_e64 v8, 0, v8, s2
	v_cndmask_b32_sdwa v4, v44, v4, vcc_lo dst_sel:DWORD dst_unused:UNUSED_PAD src0_sel:DWORD src1_sel:WORD_0
	v_cmp_gt_i32_e32 vcc_lo, s27, v56
	v_cndmask_b32_e32 v116, 0, v116, vcc_lo
	v_cmp_gt_i32_e32 vcc_lo, s27, v55
	v_or_b32_e32 v4, v4, v116
	v_cndmask_b32_e32 v3, 0, v3, vcc_lo
	v_cmp_gt_i32_e32 vcc_lo, s27, v54
	v_cndmask_b32_e32 v7, 0, v7, vcc_lo
.LBB125_85:                             ;   in Loop: Header=BB125_29 Depth=1
	s_or_b32 exec_lo, exec_lo, s17
	v_lshlrev_b32_e32 v115, 16, v115
	v_lshlrev_b32_e32 v8, 16, v8
	;; [unrolled: 1-line block ×3, first 2 shown]
	v_add_co_u32 v5, vcc_lo, 0x3800, v5
	v_and_or_b32 v1, 0xffff, v1, v115
	v_and_or_b32 v2, 0xffff, v2, v8
	;; [unrolled: 1-line block ×3, first 2 shown]
	;;#ASMSTART
	v_pk_mul_f16 v1, v48, v1;

	;;#ASMEND
	v_add_co_ci_u32_e64 v6, null, 0, v6, vcc_lo
	;;#ASMSTART
	v_pk_mul_f16 v2, v47, v2;

	;;#ASMEND
	;;#ASMSTART
	v_pk_mul_f16 v3, v49, v3;

	;;#ASMEND
	;; [unrolled: 4-line block ×3, first 2 shown]
	;;#ASMSTART
	v_pk_add_f16 v1, v1, v2;

	;;#ASMEND
	;;#ASMSTART
	v_pk_add_f16 v1, v1, v3;

	;;#ASMEND
	;; [unrolled: 4-line block ×3, first 2 shown]
	v_lshrrev_b32_e32 v2, 16, v1
	v_and_b32_e32 v1, 0xffff, v1
	;;#ASMSTART
	v_cvt_f32_f16 v7, v1;
	;;#ASMEND
	;;#ASMSTART
	v_cvt_f32_f16 v8, v2;
	;;#ASMEND
	global_load_dwordx4 v[1:4], v[5:6], off
	s_waitcnt vmcnt(0)
	v_lshrrev_b32_e32 v117, 16, v1
	v_lshrrev_b32_e32 v116, 16, v2
	;; [unrolled: 1-line block ×3, first 2 shown]
	s_and_saveexec_b32 s17, s1
	s_cbranch_execz .LBB125_87
; %bb.86:                               ;   in Loop: Header=BB125_29 Depth=1
	v_cmp_gt_i32_e32 vcc_lo, s27, v53
	v_and_b32_e32 v118, 0xffff0000, v4
	v_cmp_gt_i32_e64 s2, s27, v58
	v_cndmask_b32_e32 v1, 0, v1, vcc_lo
	v_cmp_gt_i32_e32 vcc_lo, s27, v60
	v_cndmask_b32_e64 v2, 0, v2, s2
	v_cmp_gt_i32_e64 s2, s27, v57
	v_cndmask_b32_e32 v117, 0, v117, vcc_lo
	v_cmp_gt_i32_e32 vcc_lo, s27, v59
	v_cndmask_b32_e64 v116, 0, v116, s2
	v_cndmask_b32_sdwa v4, v44, v4, vcc_lo dst_sel:DWORD dst_unused:UNUSED_PAD src0_sel:DWORD src1_sel:WORD_0
	v_cmp_gt_i32_e32 vcc_lo, s27, v56
	v_cndmask_b32_e32 v118, 0, v118, vcc_lo
	v_cmp_gt_i32_e32 vcc_lo, s27, v55
	v_or_b32_e32 v4, v4, v118
	v_cndmask_b32_e32 v3, 0, v3, vcc_lo
	v_cmp_gt_i32_e32 vcc_lo, s27, v54
	v_cndmask_b32_e32 v115, 0, v115, vcc_lo
.LBB125_87:                             ;   in Loop: Header=BB125_29 Depth=1
	s_or_b32 exec_lo, exec_lo, s17
	v_lshlrev_b32_e32 v117, 16, v117
	v_lshlrev_b32_e32 v116, 16, v116
	;; [unrolled: 1-line block ×3, first 2 shown]
	v_and_or_b32 v1, 0xffff, v1, v117
	v_and_or_b32 v2, 0xffff, v2, v116
	;; [unrolled: 1-line block ×3, first 2 shown]
	;;#ASMSTART
	v_pk_mul_f16 v1, v48, v1;

	;;#ASMEND
	;;#ASMSTART
	v_pk_mul_f16 v2, v47, v2;

	;;#ASMEND
	;; [unrolled: 4-line block ×4, first 2 shown]
	;;#ASMSTART
	v_pk_add_f16 v1, v1, v2;

	;;#ASMEND
	;;#ASMSTART
	v_pk_add_f16 v1, v1, v3;

	;;#ASMEND
	;; [unrolled: 4-line block ×3, first 2 shown]
	v_and_b32_e32 v2, 0xffff, v1
	v_lshrrev_b32_e32 v1, 16, v1
	;;#ASMSTART
	v_cvt_f32_f16 v115, v2;
	;;#ASMEND
	;;#ASMSTART
	v_cvt_f32_f16 v116, v1;
	;;#ASMEND
	global_load_dwordx4 v[1:4], v[5:6], off offset:512
	s_waitcnt vmcnt(0)
	v_lshrrev_b32_e32 v119, 16, v1
	v_lshrrev_b32_e32 v118, 16, v2
	;; [unrolled: 1-line block ×3, first 2 shown]
	s_and_saveexec_b32 s17, s1
	s_cbranch_execz .LBB125_89
; %bb.88:                               ;   in Loop: Header=BB125_29 Depth=1
	v_cmp_gt_i32_e32 vcc_lo, s27, v53
	v_and_b32_e32 v120, 0xffff0000, v4
	v_cmp_gt_i32_e64 s2, s27, v58
	v_cndmask_b32_e32 v1, 0, v1, vcc_lo
	v_cmp_gt_i32_e32 vcc_lo, s27, v60
	v_cndmask_b32_e64 v2, 0, v2, s2
	v_cmp_gt_i32_e64 s2, s27, v57
	v_cndmask_b32_e32 v119, 0, v119, vcc_lo
	v_cmp_gt_i32_e32 vcc_lo, s27, v59
	v_cndmask_b32_e64 v118, 0, v118, s2
	v_cndmask_b32_sdwa v4, v44, v4, vcc_lo dst_sel:DWORD dst_unused:UNUSED_PAD src0_sel:DWORD src1_sel:WORD_0
	v_cmp_gt_i32_e32 vcc_lo, s27, v56
	v_cndmask_b32_e32 v120, 0, v120, vcc_lo
	v_cmp_gt_i32_e32 vcc_lo, s27, v55
	v_or_b32_e32 v4, v4, v120
	v_cndmask_b32_e32 v3, 0, v3, vcc_lo
	v_cmp_gt_i32_e32 vcc_lo, s27, v54
	v_cndmask_b32_e32 v117, 0, v117, vcc_lo
.LBB125_89:                             ;   in Loop: Header=BB125_29 Depth=1
	s_or_b32 exec_lo, exec_lo, s17
	v_lshlrev_b32_e32 v119, 16, v119
	v_lshlrev_b32_e32 v118, 16, v118
	;; [unrolled: 1-line block ×3, first 2 shown]
	v_and_or_b32 v1, 0xffff, v1, v119
	v_and_or_b32 v2, 0xffff, v2, v118
	;; [unrolled: 1-line block ×3, first 2 shown]
	;;#ASMSTART
	v_pk_mul_f16 v1, v48, v1;

	;;#ASMEND
	;;#ASMSTART
	v_pk_mul_f16 v2, v47, v2;

	;;#ASMEND
	;; [unrolled: 4-line block ×4, first 2 shown]
	;;#ASMSTART
	v_pk_add_f16 v1, v1, v2;

	;;#ASMEND
	;;#ASMSTART
	v_pk_add_f16 v1, v1, v3;

	;;#ASMEND
	;; [unrolled: 4-line block ×3, first 2 shown]
	v_and_b32_e32 v2, 0xffff, v1
	v_lshrrev_b32_e32 v1, 16, v1
	;;#ASMSTART
	v_cvt_f32_f16 v117, v2;
	;;#ASMEND
	;;#ASMSTART
	v_cvt_f32_f16 v118, v1;
	;;#ASMEND
	global_load_dwordx4 v[1:4], v[5:6], off offset:1024
	s_waitcnt vmcnt(0)
	v_lshrrev_b32_e32 v119, 16, v1
	v_lshrrev_b32_e32 v6, 16, v2
	;; [unrolled: 1-line block ×3, first 2 shown]
	s_and_saveexec_b32 s17, s1
	s_cbranch_execz .LBB125_91
; %bb.90:                               ;   in Loop: Header=BB125_29 Depth=1
	v_cmp_gt_i32_e32 vcc_lo, s27, v53
	v_and_b32_e32 v120, 0xffff0000, v4
	v_cmp_gt_i32_e64 s2, s27, v58
	v_cndmask_b32_e32 v1, 0, v1, vcc_lo
	v_cmp_gt_i32_e32 vcc_lo, s27, v60
	v_cndmask_b32_e64 v2, 0, v2, s2
	v_cmp_gt_i32_e64 s2, s27, v57
	v_cndmask_b32_e32 v119, 0, v119, vcc_lo
	v_cmp_gt_i32_e32 vcc_lo, s27, v59
	v_cndmask_b32_e64 v6, 0, v6, s2
	v_cndmask_b32_sdwa v4, v44, v4, vcc_lo dst_sel:DWORD dst_unused:UNUSED_PAD src0_sel:DWORD src1_sel:WORD_0
	v_cmp_gt_i32_e32 vcc_lo, s27, v56
	v_cndmask_b32_e32 v120, 0, v120, vcc_lo
	v_cmp_gt_i32_e32 vcc_lo, s27, v55
	v_or_b32_e32 v4, v4, v120
	v_cndmask_b32_e32 v3, 0, v3, vcc_lo
	v_cmp_gt_i32_e32 vcc_lo, s27, v54
	v_cndmask_b32_e32 v5, 0, v5, vcc_lo
.LBB125_91:                             ;   in Loop: Header=BB125_29 Depth=1
	s_or_b32 exec_lo, exec_lo, s17
	v_lshlrev_b32_e32 v119, 16, v119
	v_lshlrev_b32_e32 v6, 16, v6
	;; [unrolled: 1-line block ×3, first 2 shown]
	v_and_or_b32 v1, 0xffff, v1, v119
	v_and_or_b32 v2, 0xffff, v2, v6
	v_and_or_b32 v3, 0xffff, v3, v5
	;;#ASMSTART
	v_pk_mul_f16 v1, v48, v1;

	;;#ASMEND
	;;#ASMSTART
	v_pk_mul_f16 v2, v47, v2;

	;;#ASMEND
	;; [unrolled: 4-line block ×4, first 2 shown]
	;;#ASMSTART
	v_pk_add_f16 v1, v1, v2;

	;;#ASMEND
	;;#ASMSTART
	v_pk_add_f16 v1, v1, v3;

	;;#ASMEND
	;; [unrolled: 4-line block ×3, first 2 shown]
	v_lshrrev_b32_e32 v3, 16, v1
	v_and_b32_e32 v4, 0xffff, v1
	v_add_co_u32 v1, vcc_lo, v61, v46
	v_add_co_ci_u32_e64 v2, null, 0, v62, vcc_lo
	;;#ASMSTART
	v_cvt_f32_f16 v62, v4;
	;;#ASMEND
	;;#ASMSTART
	v_cvt_f32_f16 v119, v3;
	;;#ASMEND
	global_load_dwordx4 v[1:4], v[1:2], off
	s_waitcnt vmcnt(0)
	v_lshrrev_b32_e32 v61, 16, v1
	v_lshrrev_b32_e32 v6, 16, v2
	;; [unrolled: 1-line block ×3, first 2 shown]
	s_and_saveexec_b32 s2, s1
	s_cbranch_execz .LBB125_28
; %bb.92:                               ;   in Loop: Header=BB125_29 Depth=1
	v_cmp_gt_i32_e32 vcc_lo, s27, v53
	v_and_b32_e32 v53, 0xffff0000, v4
	v_cmp_gt_i32_e64 s1, s27, v58
	v_cndmask_b32_e32 v1, 0, v1, vcc_lo
	v_cmp_gt_i32_e32 vcc_lo, s27, v60
	v_cndmask_b32_e64 v2, 0, v2, s1
	v_cmp_gt_i32_e64 s1, s27, v57
	v_cndmask_b32_e32 v61, 0, v61, vcc_lo
	v_cmp_gt_i32_e32 vcc_lo, s27, v59
	v_cndmask_b32_e64 v6, 0, v6, s1
	v_cndmask_b32_sdwa v4, v44, v4, vcc_lo dst_sel:DWORD dst_unused:UNUSED_PAD src0_sel:DWORD src1_sel:WORD_0
	v_cmp_gt_i32_e32 vcc_lo, s27, v56
	v_cndmask_b32_e32 v53, 0, v53, vcc_lo
	v_cmp_gt_i32_e32 vcc_lo, s27, v55
	v_or_b32_e32 v4, v4, v53
	v_cndmask_b32_e32 v3, 0, v3, vcc_lo
	v_cmp_gt_i32_e32 vcc_lo, s27, v54
	v_cndmask_b32_e32 v5, 0, v5, vcc_lo
	s_branch .LBB125_28
.LBB125_93:
	s_or_b32 exec_lo, exec_lo, s12
.LBB125_94:
	s_or_b32 exec_lo, exec_lo, s3
	ds_bpermute_b32 v1, v10, v41
	ds_bpermute_b32 v2, v10, v42
	;; [unrolled: 1-line block ×16, first 2 shown]
	s_mov_b32 s1, exec_lo
	s_waitcnt lgkmcnt(0)
	s_waitcnt_vscnt null, 0x0
	s_barrier
	buffer_gl0_inv
	v_add_f32_e32 v1, v41, v1
	v_add_f32_e32 v2, v42, v2
	;; [unrolled: 1-line block ×8, first 2 shown]
	ds_bpermute_b32 v7, v9, v1
	ds_bpermute_b32 v35, v9, v2
	;; [unrolled: 1-line block ×6, first 2 shown]
	v_add_f32_e32 v42, v33, v44
	v_add_f32_e32 v44, v32, v45
	;; [unrolled: 1-line block ×4, first 2 shown]
	ds_bpermute_b32 v37, v9, v3
	ds_bpermute_b32 v43, v9, v8
	;; [unrolled: 1-line block ×6, first 2 shown]
	v_add_f32_e32 v29, v29, v51
	ds_bpermute_b32 v51, v10, v14
	s_waitcnt lgkmcnt(12)
	v_add_f32_e32 v33, v1, v7
	s_waitcnt lgkmcnt(11)
	v_add_f32_e32 v32, v2, v35
	;; [unrolled: 2-line block ×6, first 2 shown]
	ds_bpermute_b32 v35, v10, v26
	ds_bpermute_b32 v36, v10, v25
	;; [unrolled: 1-line block ×3, first 2 shown]
	v_add_f32_e32 v39, v28, v52
	ds_bpermute_b32 v28, v10, v23
	v_add_f32_e32 v40, v27, v53
	ds_bpermute_b32 v27, v10, v22
	s_waitcnt lgkmcnt(11)
	v_add_f32_e32 v31, v3, v37
	s_waitcnt lgkmcnt(10)
	v_add_f32_e32 v3, v8, v43
	v_add_f32_e32 v37, v30, v47
	s_waitcnt lgkmcnt(9)
	v_add_f32_e32 v8, v42, v48
	s_waitcnt lgkmcnt(8)
	;; [unrolled: 2-line block ×3, first 2 shown]
	v_add_f32_e32 v4, v45, v50
	ds_bpermute_b32 v42, v10, v21
	ds_bpermute_b32 v45, v10, v20
	;; [unrolled: 1-line block ×4, first 2 shown]
	s_waitcnt lgkmcnt(10)
	v_add_f32_e32 v30, v34, v46
	ds_bpermute_b32 v34, v9, v37
	ds_bpermute_b32 v41, v9, v29
	s_waitcnt lgkmcnt(10)
	v_add_f32_e32 v35, v26, v35
	ds_bpermute_b32 v26, v10, v19
	s_waitcnt lgkmcnt(10)
	v_add_f32_e32 v36, v25, v36
	ds_bpermute_b32 v25, v10, v18
	s_waitcnt lgkmcnt(10)
	v_add_f32_e32 v38, v24, v38
	ds_bpermute_b32 v24, v10, v17
	s_waitcnt lgkmcnt(10)
	v_add_f32_e32 v52, v23, v28
	ds_bpermute_b32 v23, v10, v13
	s_waitcnt lgkmcnt(10)
	v_add_f32_e32 v53, v22, v27
	ds_bpermute_b32 v22, v10, v12
	ds_bpermute_b32 v10, v10, v11
	;; [unrolled: 1-line block ×3, first 2 shown]
	v_add_f32_e32 v51, v14, v51
	s_waitcnt lgkmcnt(12)
	v_add_f32_e32 v42, v21, v42
	s_waitcnt lgkmcnt(11)
	;; [unrolled: 2-line block ×4, first 2 shown]
	v_add_f32_e32 v49, v15, v49
	ds_bpermute_b32 v43, v9, v39
	ds_bpermute_b32 v44, v9, v40
	;; [unrolled: 1-line block ×4, first 2 shown]
	s_waitcnt lgkmcnt(10)
	v_add_f32_e32 v54, v19, v26
	ds_bpermute_b32 v21, v9, v52
	s_waitcnt lgkmcnt(10)
	v_add_f32_e32 v55, v18, v25
	ds_bpermute_b32 v20, v9, v53
	;; [unrolled: 3-line block ×4, first 2 shown]
	s_waitcnt lgkmcnt(10)
	v_add_f32_e32 v12, v12, v22
	s_waitcnt lgkmcnt(9)
	v_add_f32_e32 v59, v11, v10
	ds_bpermute_b32 v17, v9, v54
	ds_bpermute_b32 v16, v9, v55
	;; [unrolled: 1-line block ×7, first 2 shown]
	v_add_f32_e32 v28, v37, v34
	ds_bpermute_b32 v34, v9, v12
	v_add_f32_e32 v27, v29, v41
	ds_bpermute_b32 v29, v9, v59
	s_waitcnt lgkmcnt(17)
	v_add_f32_e32 v24, v35, v46
	v_and_b32_e32 v35, 28, v122
	s_waitcnt lgkmcnt(16)
	v_add_f32_e32 v26, v39, v43
	s_waitcnt lgkmcnt(15)
	v_add_f32_e32 v25, v40, v44
	;; [unrolled: 2-line block ×16, first 2 shown]
	v_and_b32_e32 v36, 0x3c3, v0
	s_waitcnt lgkmcnt(0)
	v_add_f32_e32 v13, v59, v29
	v_lshrrev_b32_e32 v29, 2, v122
	v_add_nc_u32_e32 v34, 0x220, v35
	v_lshlrev_b32_e32 v35, 10, v121
	v_cmpx_eq_u32_e32 64, v36
	s_cbranch_execz .LBB125_96
; %bb.95:
	v_add_nc_u32_e32 v36, v34, v35
	v_add_nc_u32_e32 v37, 0xfffff800, v36
	;; [unrolled: 1-line block ×8, first 2 shown]
	ds_write_b32 v37, v33
	ds_write_b32 v38, v32
	;; [unrolled: 1-line block ×7, first 2 shown]
	v_add_nc_u32_e32 v37, 0xfffff8e0, v36
	v_add_nc_u32_e32 v38, 0xfffff900, v36
	v_add_nc_u32_e32 v39, 0xfffff920, v36
	v_add_nc_u32_e32 v40, 0xfffff940, v36
	v_add_nc_u32_e32 v41, 0xfffff960, v36
	ds_write_b32 v37, v3
	ds_write_b32 v38, v30
	ds_write_b32 v39, v8
	ds_write_b32 v40, v6
	ds_write_b32 v41, v4
	v_add_nc_u32_e32 v37, 0xfffff980, v36
	v_add_nc_u32_e32 v38, 0xfffff9a0, v36
	v_add_nc_u32_e32 v39, 0xfffff9c0, v36
	v_add_nc_u32_e32 v40, 0xfffff9e0, v36
	v_add_nc_u32_e32 v41, 0xfffffa00, v36
	ds_write_b32 v37, v28
	ds_write_b32 v38, v27
	ds_write_b32 v39, v26
	ds_write_b32 v40, v25
	ds_write_b32 v41, v24
	;; [unrolled: 10-line block ×5, first 2 shown]
.LBB125_96:
	s_or_b32 exec_lo, exec_lo, s1
	v_lshlrev_b32_e32 v29, 2, v29
	v_and_b32_e32 v36, 3, v0
	s_mov_b32 s2, exec_lo
	s_waitcnt lgkmcnt(0)
	s_barrier
	v_add3_u32 v29, 0x220, v35, v29
	v_cmp_eq_u32_e32 vcc_lo, 0, v36
	buffer_gl0_inv
	v_cmpx_gt_u32_e32 64, v0
	s_cbranch_execz .LBB125_131
; %bb.97:
	s_and_saveexec_b32 s1, vcc_lo
	s_cbranch_execnz .LBB125_171
; %bb.98:
	s_or_b32 exec_lo, exec_lo, s1
	s_and_saveexec_b32 s1, vcc_lo
	s_cbranch_execnz .LBB125_172
.LBB125_99:
	s_or_b32 exec_lo, exec_lo, s1
	s_and_saveexec_b32 s1, vcc_lo
	s_cbranch_execnz .LBB125_173
.LBB125_100:
	s_or_b32 exec_lo, exec_lo, s1
	s_and_saveexec_b32 s1, vcc_lo
	s_cbranch_execnz .LBB125_174
.LBB125_101:
	s_or_b32 exec_lo, exec_lo, s1
	s_and_saveexec_b32 s1, vcc_lo
	s_cbranch_execnz .LBB125_175
.LBB125_102:
	s_or_b32 exec_lo, exec_lo, s1
	s_and_saveexec_b32 s1, vcc_lo
	s_cbranch_execnz .LBB125_176
.LBB125_103:
	s_or_b32 exec_lo, exec_lo, s1
	s_and_saveexec_b32 s1, vcc_lo
	s_cbranch_execnz .LBB125_177
.LBB125_104:
	s_or_b32 exec_lo, exec_lo, s1
	s_and_saveexec_b32 s1, vcc_lo
	s_cbranch_execnz .LBB125_178
.LBB125_105:
	s_or_b32 exec_lo, exec_lo, s1
	s_and_saveexec_b32 s1, vcc_lo
	s_cbranch_execnz .LBB125_179
.LBB125_106:
	s_or_b32 exec_lo, exec_lo, s1
	s_and_saveexec_b32 s1, vcc_lo
	s_cbranch_execnz .LBB125_180
.LBB125_107:
	s_or_b32 exec_lo, exec_lo, s1
	s_and_saveexec_b32 s1, vcc_lo
	s_cbranch_execnz .LBB125_181
.LBB125_108:
	s_or_b32 exec_lo, exec_lo, s1
	s_and_saveexec_b32 s1, vcc_lo
	s_cbranch_execnz .LBB125_182
.LBB125_109:
	s_or_b32 exec_lo, exec_lo, s1
	s_and_saveexec_b32 s1, vcc_lo
	s_cbranch_execnz .LBB125_183
.LBB125_110:
	s_or_b32 exec_lo, exec_lo, s1
	s_and_saveexec_b32 s1, vcc_lo
	s_cbranch_execnz .LBB125_184
.LBB125_111:
	s_or_b32 exec_lo, exec_lo, s1
	s_and_saveexec_b32 s1, vcc_lo
	s_cbranch_execnz .LBB125_185
.LBB125_112:
	s_or_b32 exec_lo, exec_lo, s1
	s_and_saveexec_b32 s1, vcc_lo
	s_cbranch_execnz .LBB125_186
.LBB125_113:
	s_or_b32 exec_lo, exec_lo, s1
	s_and_saveexec_b32 s1, vcc_lo
	s_cbranch_execnz .LBB125_187
.LBB125_114:
	s_or_b32 exec_lo, exec_lo, s1
	s_and_saveexec_b32 s1, vcc_lo
	s_cbranch_execnz .LBB125_188
.LBB125_115:
	s_or_b32 exec_lo, exec_lo, s1
	s_and_saveexec_b32 s1, vcc_lo
	s_cbranch_execnz .LBB125_189
.LBB125_116:
	s_or_b32 exec_lo, exec_lo, s1
	s_and_saveexec_b32 s1, vcc_lo
	s_cbranch_execnz .LBB125_190
.LBB125_117:
	s_or_b32 exec_lo, exec_lo, s1
	s_and_saveexec_b32 s1, vcc_lo
	s_cbranch_execnz .LBB125_191
.LBB125_118:
	s_or_b32 exec_lo, exec_lo, s1
	s_and_saveexec_b32 s1, vcc_lo
	s_cbranch_execnz .LBB125_192
.LBB125_119:
	s_or_b32 exec_lo, exec_lo, s1
	s_and_saveexec_b32 s1, vcc_lo
	s_cbranch_execnz .LBB125_193
.LBB125_120:
	s_or_b32 exec_lo, exec_lo, s1
	s_and_saveexec_b32 s1, vcc_lo
	s_cbranch_execnz .LBB125_194
.LBB125_121:
	s_or_b32 exec_lo, exec_lo, s1
	s_and_saveexec_b32 s1, vcc_lo
	s_cbranch_execnz .LBB125_195
.LBB125_122:
	s_or_b32 exec_lo, exec_lo, s1
	s_and_saveexec_b32 s1, vcc_lo
	s_cbranch_execnz .LBB125_196
.LBB125_123:
	s_or_b32 exec_lo, exec_lo, s1
	s_and_saveexec_b32 s1, vcc_lo
	s_cbranch_execnz .LBB125_197
.LBB125_124:
	s_or_b32 exec_lo, exec_lo, s1
	s_and_saveexec_b32 s1, vcc_lo
	s_cbranch_execnz .LBB125_198
.LBB125_125:
	s_or_b32 exec_lo, exec_lo, s1
	s_and_saveexec_b32 s1, vcc_lo
	s_cbranch_execnz .LBB125_199
.LBB125_126:
	s_or_b32 exec_lo, exec_lo, s1
	s_and_saveexec_b32 s1, vcc_lo
	s_cbranch_execnz .LBB125_200
.LBB125_127:
	s_or_b32 exec_lo, exec_lo, s1
	s_and_saveexec_b32 s1, vcc_lo
	s_cbranch_execnz .LBB125_201
.LBB125_128:
	s_or_b32 exec_lo, exec_lo, s1
	s_and_saveexec_b32 s1, vcc_lo
	s_cbranch_execz .LBB125_130
.LBB125_129:
	ds_read_b32 v35, v29 offset:992
	s_waitcnt lgkmcnt(0)
	v_add_f32_e32 v13, v13, v35
.LBB125_130:
	s_or_b32 exec_lo, exec_lo, s1
.LBB125_131:
	s_or_b32 exec_lo, exec_lo, s2
	v_and_b32_e32 v35, 0x3e3, v0
	s_mov_b32 s2, exec_lo
	s_barrier
	buffer_gl0_inv
	v_cmpx_eq_u32_e32 32, v35
	s_cbranch_execz .LBB125_133
; %bb.132:
	ds_write2_b32 v34, v33, v32 offset1:8
	ds_write2_b32 v34, v31, v7 offset0:16 offset1:24
	ds_write2_b32 v34, v5, v2 offset0:32 offset1:40
	;; [unrolled: 1-line block ×15, first 2 shown]
.LBB125_133:
	s_or_b32 exec_lo, exec_lo, s2
	s_waitcnt lgkmcnt(0)
	s_barrier
	buffer_gl0_inv
	s_and_saveexec_b32 s1, s0
	s_cbranch_execz .LBB125_168
; %bb.134:
	s_and_saveexec_b32 s0, vcc_lo
	s_cbranch_execnz .LBB125_202
; %bb.135:
	s_or_b32 exec_lo, exec_lo, s0
	s_and_saveexec_b32 s0, vcc_lo
	s_cbranch_execnz .LBB125_203
.LBB125_136:
	s_or_b32 exec_lo, exec_lo, s0
	s_and_saveexec_b32 s0, vcc_lo
	s_cbranch_execnz .LBB125_204
.LBB125_137:
	s_or_b32 exec_lo, exec_lo, s0
	s_and_saveexec_b32 s0, vcc_lo
	s_cbranch_execnz .LBB125_205
.LBB125_138:
	s_or_b32 exec_lo, exec_lo, s0
	s_and_saveexec_b32 s0, vcc_lo
	s_cbranch_execnz .LBB125_206
.LBB125_139:
	s_or_b32 exec_lo, exec_lo, s0
	s_and_saveexec_b32 s0, vcc_lo
	s_cbranch_execnz .LBB125_207
.LBB125_140:
	s_or_b32 exec_lo, exec_lo, s0
	s_and_saveexec_b32 s0, vcc_lo
	s_cbranch_execnz .LBB125_208
.LBB125_141:
	s_or_b32 exec_lo, exec_lo, s0
	s_and_saveexec_b32 s0, vcc_lo
	s_cbranch_execnz .LBB125_209
.LBB125_142:
	s_or_b32 exec_lo, exec_lo, s0
	s_and_saveexec_b32 s0, vcc_lo
	s_cbranch_execnz .LBB125_210
.LBB125_143:
	s_or_b32 exec_lo, exec_lo, s0
	s_and_saveexec_b32 s0, vcc_lo
	s_cbranch_execnz .LBB125_211
.LBB125_144:
	s_or_b32 exec_lo, exec_lo, s0
	s_and_saveexec_b32 s0, vcc_lo
	s_cbranch_execnz .LBB125_212
.LBB125_145:
	s_or_b32 exec_lo, exec_lo, s0
	s_and_saveexec_b32 s0, vcc_lo
	s_cbranch_execnz .LBB125_213
.LBB125_146:
	s_or_b32 exec_lo, exec_lo, s0
	s_and_saveexec_b32 s0, vcc_lo
	s_cbranch_execnz .LBB125_214
.LBB125_147:
	s_or_b32 exec_lo, exec_lo, s0
	s_and_saveexec_b32 s0, vcc_lo
	s_cbranch_execnz .LBB125_215
.LBB125_148:
	s_or_b32 exec_lo, exec_lo, s0
	s_and_saveexec_b32 s0, vcc_lo
	s_cbranch_execnz .LBB125_216
.LBB125_149:
	s_or_b32 exec_lo, exec_lo, s0
	s_and_saveexec_b32 s0, vcc_lo
	s_cbranch_execnz .LBB125_217
.LBB125_150:
	s_or_b32 exec_lo, exec_lo, s0
	s_and_saveexec_b32 s0, vcc_lo
	s_cbranch_execnz .LBB125_218
.LBB125_151:
	s_or_b32 exec_lo, exec_lo, s0
	s_and_saveexec_b32 s0, vcc_lo
	s_cbranch_execnz .LBB125_219
.LBB125_152:
	s_or_b32 exec_lo, exec_lo, s0
	s_and_saveexec_b32 s0, vcc_lo
	s_cbranch_execnz .LBB125_220
.LBB125_153:
	s_or_b32 exec_lo, exec_lo, s0
	s_and_saveexec_b32 s0, vcc_lo
	s_cbranch_execnz .LBB125_221
.LBB125_154:
	s_or_b32 exec_lo, exec_lo, s0
	s_and_saveexec_b32 s0, vcc_lo
	s_cbranch_execnz .LBB125_222
.LBB125_155:
	s_or_b32 exec_lo, exec_lo, s0
	s_and_saveexec_b32 s0, vcc_lo
	s_cbranch_execnz .LBB125_223
.LBB125_156:
	s_or_b32 exec_lo, exec_lo, s0
	s_and_saveexec_b32 s0, vcc_lo
	s_cbranch_execnz .LBB125_224
.LBB125_157:
	s_or_b32 exec_lo, exec_lo, s0
	s_and_saveexec_b32 s0, vcc_lo
	s_cbranch_execnz .LBB125_225
.LBB125_158:
	s_or_b32 exec_lo, exec_lo, s0
	s_and_saveexec_b32 s0, vcc_lo
	s_cbranch_execnz .LBB125_226
.LBB125_159:
	s_or_b32 exec_lo, exec_lo, s0
	s_and_saveexec_b32 s0, vcc_lo
	s_cbranch_execnz .LBB125_227
.LBB125_160:
	s_or_b32 exec_lo, exec_lo, s0
	s_and_saveexec_b32 s0, vcc_lo
	s_cbranch_execnz .LBB125_228
.LBB125_161:
	s_or_b32 exec_lo, exec_lo, s0
	s_and_saveexec_b32 s0, vcc_lo
	s_cbranch_execnz .LBB125_229
.LBB125_162:
	s_or_b32 exec_lo, exec_lo, s0
	s_and_saveexec_b32 s0, vcc_lo
	s_cbranch_execnz .LBB125_230
.LBB125_163:
	s_or_b32 exec_lo, exec_lo, s0
	s_and_saveexec_b32 s0, vcc_lo
	s_cbranch_execnz .LBB125_231
.LBB125_164:
	s_or_b32 exec_lo, exec_lo, s0
	s_and_saveexec_b32 s0, vcc_lo
	s_cbranch_execnz .LBB125_232
.LBB125_165:
	s_or_b32 exec_lo, exec_lo, s0
	s_and_saveexec_b32 s0, vcc_lo
	s_cbranch_execz .LBB125_167
.LBB125_166:
	ds_read_b32 v29, v29 offset:992
	s_waitcnt lgkmcnt(0)
	v_add_f32_e32 v13, v13, v29
.LBB125_167:
	s_or_b32 exec_lo, exec_lo, s0
.LBB125_168:
	s_or_b32 exec_lo, exec_lo, s1
	s_barrier
	buffer_gl0_inv
	s_mov_b32 s0, exec_lo
	v_cmpx_eq_u32_e32 0, v35
	s_cbranch_execz .LBB125_170
; %bb.169:
	s_lshl_b32 s0, s4, 8
	s_mul_i32 s2, s7, s10
	s_ashr_i32 s1, s0, 31
	v_lshrrev_b32_e32 v0, 1, v0
	s_lshl_b64 s[0:1], s[0:1], 1
	;;#ASMSTART
	v_cvt_f16_f32 v29, v33;

	;;#ASMEND
	s_add_u32 s4, s20, s0
	s_addc_u32 s5, s21, s1
	s_ashr_i32 s3, s2, 31
	s_lshl_b64 s[0:1], s[2:3], 1
	s_add_u32 s2, s4, s0
	s_addc_u32 s3, s5, s1
	s_lshl_b32 s0, s8, 8
	s_ashr_i32 s1, s0, 31
	s_lshl_b64 s[0:1], s[0:1], 1
	s_add_u32 s0, s2, s0
	s_addc_u32 s1, s3, s1
	global_store_short v0, v29, s[0:1]
	;;#ASMSTART
	v_cvt_f16_f32 v29, v32;

	;;#ASMEND
	global_store_short v0, v29, s[0:1] offset:16
	;;#ASMSTART
	v_cvt_f16_f32 v29, v31;

	;;#ASMEND
	global_store_short v0, v29, s[0:1] offset:32
	;; [unrolled: 5-line block ×31, first 2 shown]
.LBB125_170:
	s_endpgm
.LBB125_171:
	ds_read_b32 v35, v29
	s_waitcnt lgkmcnt(0)
	v_add_f32_e32 v33, v33, v35
	s_or_b32 exec_lo, exec_lo, s1
	s_and_saveexec_b32 s1, vcc_lo
	s_cbranch_execz .LBB125_99
.LBB125_172:
	ds_read_b32 v35, v29 offset:32
	s_waitcnt lgkmcnt(0)
	v_add_f32_e32 v32, v32, v35
	s_or_b32 exec_lo, exec_lo, s1
	s_and_saveexec_b32 s1, vcc_lo
	s_cbranch_execz .LBB125_100
.LBB125_173:
	ds_read_b32 v35, v29 offset:64
	s_waitcnt lgkmcnt(0)
	v_add_f32_e32 v31, v31, v35
	s_or_b32 exec_lo, exec_lo, s1
	s_and_saveexec_b32 s1, vcc_lo
	s_cbranch_execz .LBB125_101
.LBB125_174:
	ds_read_b32 v35, v29 offset:96
	s_waitcnt lgkmcnt(0)
	v_add_f32_e32 v7, v7, v35
	s_or_b32 exec_lo, exec_lo, s1
	s_and_saveexec_b32 s1, vcc_lo
	s_cbranch_execz .LBB125_102
.LBB125_175:
	ds_read_b32 v35, v29 offset:128
	s_waitcnt lgkmcnt(0)
	v_add_f32_e32 v5, v5, v35
	s_or_b32 exec_lo, exec_lo, s1
	s_and_saveexec_b32 s1, vcc_lo
	s_cbranch_execz .LBB125_103
.LBB125_176:
	ds_read_b32 v35, v29 offset:160
	s_waitcnt lgkmcnt(0)
	v_add_f32_e32 v2, v2, v35
	s_or_b32 exec_lo, exec_lo, s1
	s_and_saveexec_b32 s1, vcc_lo
	s_cbranch_execz .LBB125_104
.LBB125_177:
	ds_read_b32 v35, v29 offset:192
	s_waitcnt lgkmcnt(0)
	v_add_f32_e32 v1, v1, v35
	s_or_b32 exec_lo, exec_lo, s1
	s_and_saveexec_b32 s1, vcc_lo
	s_cbranch_execz .LBB125_105
.LBB125_178:
	ds_read_b32 v35, v29 offset:224
	s_waitcnt lgkmcnt(0)
	v_add_f32_e32 v3, v3, v35
	s_or_b32 exec_lo, exec_lo, s1
	s_and_saveexec_b32 s1, vcc_lo
	s_cbranch_execz .LBB125_106
.LBB125_179:
	ds_read_b32 v35, v29 offset:256
	s_waitcnt lgkmcnt(0)
	v_add_f32_e32 v30, v30, v35
	s_or_b32 exec_lo, exec_lo, s1
	s_and_saveexec_b32 s1, vcc_lo
	s_cbranch_execz .LBB125_107
.LBB125_180:
	ds_read_b32 v35, v29 offset:288
	s_waitcnt lgkmcnt(0)
	v_add_f32_e32 v8, v8, v35
	s_or_b32 exec_lo, exec_lo, s1
	s_and_saveexec_b32 s1, vcc_lo
	s_cbranch_execz .LBB125_108
.LBB125_181:
	ds_read_b32 v35, v29 offset:320
	s_waitcnt lgkmcnt(0)
	v_add_f32_e32 v6, v6, v35
	s_or_b32 exec_lo, exec_lo, s1
	s_and_saveexec_b32 s1, vcc_lo
	s_cbranch_execz .LBB125_109
.LBB125_182:
	ds_read_b32 v35, v29 offset:352
	s_waitcnt lgkmcnt(0)
	v_add_f32_e32 v4, v4, v35
	s_or_b32 exec_lo, exec_lo, s1
	s_and_saveexec_b32 s1, vcc_lo
	s_cbranch_execz .LBB125_110
.LBB125_183:
	ds_read_b32 v35, v29 offset:384
	s_waitcnt lgkmcnt(0)
	v_add_f32_e32 v28, v28, v35
	s_or_b32 exec_lo, exec_lo, s1
	s_and_saveexec_b32 s1, vcc_lo
	s_cbranch_execz .LBB125_111
.LBB125_184:
	ds_read_b32 v35, v29 offset:416
	s_waitcnt lgkmcnt(0)
	v_add_f32_e32 v27, v27, v35
	s_or_b32 exec_lo, exec_lo, s1
	s_and_saveexec_b32 s1, vcc_lo
	s_cbranch_execz .LBB125_112
.LBB125_185:
	ds_read_b32 v35, v29 offset:448
	s_waitcnt lgkmcnt(0)
	v_add_f32_e32 v26, v26, v35
	s_or_b32 exec_lo, exec_lo, s1
	s_and_saveexec_b32 s1, vcc_lo
	s_cbranch_execz .LBB125_113
.LBB125_186:
	ds_read_b32 v35, v29 offset:480
	s_waitcnt lgkmcnt(0)
	v_add_f32_e32 v25, v25, v35
	s_or_b32 exec_lo, exec_lo, s1
	s_and_saveexec_b32 s1, vcc_lo
	s_cbranch_execz .LBB125_114
.LBB125_187:
	ds_read_b32 v35, v29 offset:512
	s_waitcnt lgkmcnt(0)
	v_add_f32_e32 v24, v24, v35
	s_or_b32 exec_lo, exec_lo, s1
	s_and_saveexec_b32 s1, vcc_lo
	s_cbranch_execz .LBB125_115
.LBB125_188:
	ds_read_b32 v35, v29 offset:544
	s_waitcnt lgkmcnt(0)
	v_add_f32_e32 v23, v23, v35
	s_or_b32 exec_lo, exec_lo, s1
	s_and_saveexec_b32 s1, vcc_lo
	s_cbranch_execz .LBB125_116
.LBB125_189:
	ds_read_b32 v35, v29 offset:576
	s_waitcnt lgkmcnt(0)
	v_add_f32_e32 v22, v22, v35
	s_or_b32 exec_lo, exec_lo, s1
	s_and_saveexec_b32 s1, vcc_lo
	s_cbranch_execz .LBB125_117
.LBB125_190:
	ds_read_b32 v35, v29 offset:608
	s_waitcnt lgkmcnt(0)
	v_add_f32_e32 v21, v21, v35
	s_or_b32 exec_lo, exec_lo, s1
	s_and_saveexec_b32 s1, vcc_lo
	s_cbranch_execz .LBB125_118
.LBB125_191:
	ds_read_b32 v35, v29 offset:640
	s_waitcnt lgkmcnt(0)
	v_add_f32_e32 v20, v20, v35
	s_or_b32 exec_lo, exec_lo, s1
	s_and_saveexec_b32 s1, vcc_lo
	s_cbranch_execz .LBB125_119
.LBB125_192:
	ds_read_b32 v35, v29 offset:672
	s_waitcnt lgkmcnt(0)
	v_add_f32_e32 v19, v19, v35
	s_or_b32 exec_lo, exec_lo, s1
	s_and_saveexec_b32 s1, vcc_lo
	s_cbranch_execz .LBB125_120
.LBB125_193:
	ds_read_b32 v35, v29 offset:704
	s_waitcnt lgkmcnt(0)
	v_add_f32_e32 v18, v18, v35
	s_or_b32 exec_lo, exec_lo, s1
	s_and_saveexec_b32 s1, vcc_lo
	s_cbranch_execz .LBB125_121
.LBB125_194:
	ds_read_b32 v35, v29 offset:736
	s_waitcnt lgkmcnt(0)
	v_add_f32_e32 v17, v17, v35
	s_or_b32 exec_lo, exec_lo, s1
	s_and_saveexec_b32 s1, vcc_lo
	s_cbranch_execz .LBB125_122
.LBB125_195:
	ds_read_b32 v35, v29 offset:768
	s_waitcnt lgkmcnt(0)
	v_add_f32_e32 v16, v16, v35
	s_or_b32 exec_lo, exec_lo, s1
	s_and_saveexec_b32 s1, vcc_lo
	s_cbranch_execz .LBB125_123
.LBB125_196:
	ds_read_b32 v35, v29 offset:800
	s_waitcnt lgkmcnt(0)
	v_add_f32_e32 v15, v15, v35
	s_or_b32 exec_lo, exec_lo, s1
	s_and_saveexec_b32 s1, vcc_lo
	s_cbranch_execz .LBB125_124
.LBB125_197:
	ds_read_b32 v35, v29 offset:832
	s_waitcnt lgkmcnt(0)
	v_add_f32_e32 v14, v14, v35
	s_or_b32 exec_lo, exec_lo, s1
	s_and_saveexec_b32 s1, vcc_lo
	s_cbranch_execz .LBB125_125
.LBB125_198:
	ds_read_b32 v35, v29 offset:864
	s_waitcnt lgkmcnt(0)
	v_add_f32_e32 v11, v11, v35
	s_or_b32 exec_lo, exec_lo, s1
	s_and_saveexec_b32 s1, vcc_lo
	s_cbranch_execz .LBB125_126
.LBB125_199:
	ds_read_b32 v35, v29 offset:896
	s_waitcnt lgkmcnt(0)
	v_add_f32_e32 v10, v10, v35
	s_or_b32 exec_lo, exec_lo, s1
	s_and_saveexec_b32 s1, vcc_lo
	s_cbranch_execz .LBB125_127
.LBB125_200:
	ds_read_b32 v35, v29 offset:928
	s_waitcnt lgkmcnt(0)
	v_add_f32_e32 v9, v9, v35
	s_or_b32 exec_lo, exec_lo, s1
	s_and_saveexec_b32 s1, vcc_lo
	s_cbranch_execz .LBB125_128
.LBB125_201:
	ds_read_b32 v35, v29 offset:960
	s_waitcnt lgkmcnt(0)
	v_add_f32_e32 v12, v12, v35
	s_or_b32 exec_lo, exec_lo, s1
	s_and_saveexec_b32 s1, vcc_lo
	s_cbranch_execnz .LBB125_129
	s_branch .LBB125_130
.LBB125_202:
	ds_read_b32 v34, v29
	s_waitcnt lgkmcnt(0)
	v_add_f32_e32 v33, v33, v34
	s_or_b32 exec_lo, exec_lo, s0
	s_and_saveexec_b32 s0, vcc_lo
	s_cbranch_execz .LBB125_136
.LBB125_203:
	ds_read_b32 v34, v29 offset:32
	s_waitcnt lgkmcnt(0)
	v_add_f32_e32 v32, v32, v34
	s_or_b32 exec_lo, exec_lo, s0
	s_and_saveexec_b32 s0, vcc_lo
	s_cbranch_execz .LBB125_137
.LBB125_204:
	ds_read_b32 v34, v29 offset:64
	s_waitcnt lgkmcnt(0)
	v_add_f32_e32 v31, v31, v34
	s_or_b32 exec_lo, exec_lo, s0
	s_and_saveexec_b32 s0, vcc_lo
	s_cbranch_execz .LBB125_138
.LBB125_205:
	ds_read_b32 v34, v29 offset:96
	s_waitcnt lgkmcnt(0)
	v_add_f32_e32 v7, v7, v34
	s_or_b32 exec_lo, exec_lo, s0
	s_and_saveexec_b32 s0, vcc_lo
	s_cbranch_execz .LBB125_139
.LBB125_206:
	ds_read_b32 v34, v29 offset:128
	s_waitcnt lgkmcnt(0)
	v_add_f32_e32 v5, v5, v34
	s_or_b32 exec_lo, exec_lo, s0
	s_and_saveexec_b32 s0, vcc_lo
	s_cbranch_execz .LBB125_140
.LBB125_207:
	ds_read_b32 v34, v29 offset:160
	s_waitcnt lgkmcnt(0)
	v_add_f32_e32 v2, v2, v34
	s_or_b32 exec_lo, exec_lo, s0
	s_and_saveexec_b32 s0, vcc_lo
	s_cbranch_execz .LBB125_141
.LBB125_208:
	ds_read_b32 v34, v29 offset:192
	s_waitcnt lgkmcnt(0)
	v_add_f32_e32 v1, v1, v34
	s_or_b32 exec_lo, exec_lo, s0
	s_and_saveexec_b32 s0, vcc_lo
	s_cbranch_execz .LBB125_142
.LBB125_209:
	ds_read_b32 v34, v29 offset:224
	s_waitcnt lgkmcnt(0)
	v_add_f32_e32 v3, v3, v34
	s_or_b32 exec_lo, exec_lo, s0
	s_and_saveexec_b32 s0, vcc_lo
	s_cbranch_execz .LBB125_143
.LBB125_210:
	ds_read_b32 v34, v29 offset:256
	s_waitcnt lgkmcnt(0)
	v_add_f32_e32 v30, v30, v34
	s_or_b32 exec_lo, exec_lo, s0
	s_and_saveexec_b32 s0, vcc_lo
	s_cbranch_execz .LBB125_144
.LBB125_211:
	ds_read_b32 v34, v29 offset:288
	s_waitcnt lgkmcnt(0)
	v_add_f32_e32 v8, v8, v34
	s_or_b32 exec_lo, exec_lo, s0
	s_and_saveexec_b32 s0, vcc_lo
	s_cbranch_execz .LBB125_145
.LBB125_212:
	ds_read_b32 v34, v29 offset:320
	s_waitcnt lgkmcnt(0)
	v_add_f32_e32 v6, v6, v34
	s_or_b32 exec_lo, exec_lo, s0
	s_and_saveexec_b32 s0, vcc_lo
	s_cbranch_execz .LBB125_146
.LBB125_213:
	ds_read_b32 v34, v29 offset:352
	s_waitcnt lgkmcnt(0)
	v_add_f32_e32 v4, v4, v34
	s_or_b32 exec_lo, exec_lo, s0
	s_and_saveexec_b32 s0, vcc_lo
	s_cbranch_execz .LBB125_147
.LBB125_214:
	ds_read_b32 v34, v29 offset:384
	s_waitcnt lgkmcnt(0)
	v_add_f32_e32 v28, v28, v34
	s_or_b32 exec_lo, exec_lo, s0
	s_and_saveexec_b32 s0, vcc_lo
	s_cbranch_execz .LBB125_148
.LBB125_215:
	ds_read_b32 v34, v29 offset:416
	s_waitcnt lgkmcnt(0)
	v_add_f32_e32 v27, v27, v34
	s_or_b32 exec_lo, exec_lo, s0
	s_and_saveexec_b32 s0, vcc_lo
	s_cbranch_execz .LBB125_149
.LBB125_216:
	ds_read_b32 v34, v29 offset:448
	s_waitcnt lgkmcnt(0)
	v_add_f32_e32 v26, v26, v34
	s_or_b32 exec_lo, exec_lo, s0
	s_and_saveexec_b32 s0, vcc_lo
	s_cbranch_execz .LBB125_150
.LBB125_217:
	ds_read_b32 v34, v29 offset:480
	s_waitcnt lgkmcnt(0)
	v_add_f32_e32 v25, v25, v34
	s_or_b32 exec_lo, exec_lo, s0
	s_and_saveexec_b32 s0, vcc_lo
	s_cbranch_execz .LBB125_151
.LBB125_218:
	ds_read_b32 v34, v29 offset:512
	s_waitcnt lgkmcnt(0)
	v_add_f32_e32 v24, v24, v34
	s_or_b32 exec_lo, exec_lo, s0
	s_and_saveexec_b32 s0, vcc_lo
	s_cbranch_execz .LBB125_152
.LBB125_219:
	ds_read_b32 v34, v29 offset:544
	s_waitcnt lgkmcnt(0)
	v_add_f32_e32 v23, v23, v34
	s_or_b32 exec_lo, exec_lo, s0
	s_and_saveexec_b32 s0, vcc_lo
	s_cbranch_execz .LBB125_153
.LBB125_220:
	ds_read_b32 v34, v29 offset:576
	s_waitcnt lgkmcnt(0)
	v_add_f32_e32 v22, v22, v34
	s_or_b32 exec_lo, exec_lo, s0
	s_and_saveexec_b32 s0, vcc_lo
	s_cbranch_execz .LBB125_154
.LBB125_221:
	ds_read_b32 v34, v29 offset:608
	s_waitcnt lgkmcnt(0)
	v_add_f32_e32 v21, v21, v34
	s_or_b32 exec_lo, exec_lo, s0
	s_and_saveexec_b32 s0, vcc_lo
	s_cbranch_execz .LBB125_155
.LBB125_222:
	ds_read_b32 v34, v29 offset:640
	s_waitcnt lgkmcnt(0)
	v_add_f32_e32 v20, v20, v34
	s_or_b32 exec_lo, exec_lo, s0
	s_and_saveexec_b32 s0, vcc_lo
	s_cbranch_execz .LBB125_156
.LBB125_223:
	ds_read_b32 v34, v29 offset:672
	s_waitcnt lgkmcnt(0)
	v_add_f32_e32 v19, v19, v34
	s_or_b32 exec_lo, exec_lo, s0
	s_and_saveexec_b32 s0, vcc_lo
	s_cbranch_execz .LBB125_157
.LBB125_224:
	ds_read_b32 v34, v29 offset:704
	s_waitcnt lgkmcnt(0)
	v_add_f32_e32 v18, v18, v34
	s_or_b32 exec_lo, exec_lo, s0
	s_and_saveexec_b32 s0, vcc_lo
	s_cbranch_execz .LBB125_158
.LBB125_225:
	ds_read_b32 v34, v29 offset:736
	s_waitcnt lgkmcnt(0)
	v_add_f32_e32 v17, v17, v34
	s_or_b32 exec_lo, exec_lo, s0
	s_and_saveexec_b32 s0, vcc_lo
	s_cbranch_execz .LBB125_159
.LBB125_226:
	ds_read_b32 v34, v29 offset:768
	s_waitcnt lgkmcnt(0)
	v_add_f32_e32 v16, v16, v34
	s_or_b32 exec_lo, exec_lo, s0
	s_and_saveexec_b32 s0, vcc_lo
	s_cbranch_execz .LBB125_160
.LBB125_227:
	ds_read_b32 v34, v29 offset:800
	s_waitcnt lgkmcnt(0)
	v_add_f32_e32 v15, v15, v34
	s_or_b32 exec_lo, exec_lo, s0
	s_and_saveexec_b32 s0, vcc_lo
	s_cbranch_execz .LBB125_161
.LBB125_228:
	ds_read_b32 v34, v29 offset:832
	s_waitcnt lgkmcnt(0)
	v_add_f32_e32 v14, v14, v34
	s_or_b32 exec_lo, exec_lo, s0
	s_and_saveexec_b32 s0, vcc_lo
	s_cbranch_execz .LBB125_162
.LBB125_229:
	ds_read_b32 v34, v29 offset:864
	s_waitcnt lgkmcnt(0)
	v_add_f32_e32 v11, v11, v34
	s_or_b32 exec_lo, exec_lo, s0
	s_and_saveexec_b32 s0, vcc_lo
	s_cbranch_execz .LBB125_163
.LBB125_230:
	ds_read_b32 v34, v29 offset:896
	s_waitcnt lgkmcnt(0)
	v_add_f32_e32 v10, v10, v34
	s_or_b32 exec_lo, exec_lo, s0
	s_and_saveexec_b32 s0, vcc_lo
	s_cbranch_execz .LBB125_164
.LBB125_231:
	ds_read_b32 v34, v29 offset:928
	s_waitcnt lgkmcnt(0)
	v_add_f32_e32 v9, v9, v34
	s_or_b32 exec_lo, exec_lo, s0
	s_and_saveexec_b32 s0, vcc_lo
	s_cbranch_execz .LBB125_165
.LBB125_232:
	ds_read_b32 v34, v29 offset:960
	s_waitcnt lgkmcnt(0)
	v_add_f32_e32 v12, v12, v34
	s_or_b32 exec_lo, exec_lo, s0
	s_and_saveexec_b32 s0, vcc_lo
	s_cbranch_execnz .LBB125_166
	s_branch .LBB125_167
	.section	.rodata,"a",@progbits
	.p2align	6, 0x0
	.amdhsa_kernel _ZN4vllm25paged_attention_v2_kernelIttLi256ELi32ELi128ELNS_18Fp8KVCacheDataTypeE0ELb0ELi512EEEvPfS2_PT_PKS3_PKT0_S9_ifPKiSB_iPKfiiiSD_SD_iiiii
		.amdhsa_group_segment_fixed_size 544
		.amdhsa_private_segment_fixed_size 144
		.amdhsa_kernarg_size 400
		.amdhsa_user_sgpr_count 6
		.amdhsa_user_sgpr_private_segment_buffer 1
		.amdhsa_user_sgpr_dispatch_ptr 0
		.amdhsa_user_sgpr_queue_ptr 0
		.amdhsa_user_sgpr_kernarg_segment_ptr 1
		.amdhsa_user_sgpr_dispatch_id 0
		.amdhsa_user_sgpr_flat_scratch_init 0
		.amdhsa_user_sgpr_private_segment_size 0
		.amdhsa_wavefront_size32 1
		.amdhsa_uses_dynamic_stack 0
		.amdhsa_system_sgpr_private_segment_wavefront_offset 1
		.amdhsa_system_sgpr_workgroup_id_x 1
		.amdhsa_system_sgpr_workgroup_id_y 1
		.amdhsa_system_sgpr_workgroup_id_z 1
		.amdhsa_system_sgpr_workgroup_info 0
		.amdhsa_system_vgpr_workitem_id 0
		.amdhsa_next_free_vgpr 128
		.amdhsa_next_free_sgpr 44
		.amdhsa_reserve_vcc 1
		.amdhsa_reserve_flat_scratch 0
		.amdhsa_float_round_mode_32 0
		.amdhsa_float_round_mode_16_64 0
		.amdhsa_float_denorm_mode_32 3
		.amdhsa_float_denorm_mode_16_64 3
		.amdhsa_dx10_clamp 1
		.amdhsa_ieee_mode 1
		.amdhsa_fp16_overflow 0
		.amdhsa_workgroup_processor_mode 1
		.amdhsa_memory_ordered 1
		.amdhsa_forward_progress 1
		.amdhsa_shared_vgpr_count 0
		.amdhsa_exception_fp_ieee_invalid_op 0
		.amdhsa_exception_fp_denorm_src 0
		.amdhsa_exception_fp_ieee_div_zero 0
		.amdhsa_exception_fp_ieee_overflow 0
		.amdhsa_exception_fp_ieee_underflow 0
		.amdhsa_exception_fp_ieee_inexact 0
		.amdhsa_exception_int_div_zero 0
	.end_amdhsa_kernel
	.section	.text._ZN4vllm25paged_attention_v2_kernelIttLi256ELi32ELi128ELNS_18Fp8KVCacheDataTypeE0ELb0ELi512EEEvPfS2_PT_PKS3_PKT0_S9_ifPKiSB_iPKfiiiSD_SD_iiiii,"axG",@progbits,_ZN4vllm25paged_attention_v2_kernelIttLi256ELi32ELi128ELNS_18Fp8KVCacheDataTypeE0ELb0ELi512EEEvPfS2_PT_PKS3_PKT0_S9_ifPKiSB_iPKfiiiSD_SD_iiiii,comdat
.Lfunc_end125:
	.size	_ZN4vllm25paged_attention_v2_kernelIttLi256ELi32ELi128ELNS_18Fp8KVCacheDataTypeE0ELb0ELi512EEEvPfS2_PT_PKS3_PKT0_S9_ifPKiSB_iPKfiiiSD_SD_iiiii, .Lfunc_end125-_ZN4vllm25paged_attention_v2_kernelIttLi256ELi32ELi128ELNS_18Fp8KVCacheDataTypeE0ELb0ELi512EEEvPfS2_PT_PKS3_PKT0_S9_ifPKiSB_iPKfiiiSD_SD_iiiii
                                        ; -- End function
	.set _ZN4vllm25paged_attention_v2_kernelIttLi256ELi32ELi128ELNS_18Fp8KVCacheDataTypeE0ELb0ELi512EEEvPfS2_PT_PKS3_PKT0_S9_ifPKiSB_iPKfiiiSD_SD_iiiii.num_vgpr, 128
	.set _ZN4vllm25paged_attention_v2_kernelIttLi256ELi32ELi128ELNS_18Fp8KVCacheDataTypeE0ELb0ELi512EEEvPfS2_PT_PKS3_PKT0_S9_ifPKiSB_iPKfiiiSD_SD_iiiii.num_agpr, 0
	.set _ZN4vllm25paged_attention_v2_kernelIttLi256ELi32ELi128ELNS_18Fp8KVCacheDataTypeE0ELb0ELi512EEEvPfS2_PT_PKS3_PKT0_S9_ifPKiSB_iPKfiiiSD_SD_iiiii.numbered_sgpr, 44
	.set _ZN4vllm25paged_attention_v2_kernelIttLi256ELi32ELi128ELNS_18Fp8KVCacheDataTypeE0ELb0ELi512EEEvPfS2_PT_PKS3_PKT0_S9_ifPKiSB_iPKfiiiSD_SD_iiiii.num_named_barrier, 0
	.set _ZN4vllm25paged_attention_v2_kernelIttLi256ELi32ELi128ELNS_18Fp8KVCacheDataTypeE0ELb0ELi512EEEvPfS2_PT_PKS3_PKT0_S9_ifPKiSB_iPKfiiiSD_SD_iiiii.private_seg_size, 144
	.set _ZN4vllm25paged_attention_v2_kernelIttLi256ELi32ELi128ELNS_18Fp8KVCacheDataTypeE0ELb0ELi512EEEvPfS2_PT_PKS3_PKT0_S9_ifPKiSB_iPKfiiiSD_SD_iiiii.uses_vcc, 1
	.set _ZN4vllm25paged_attention_v2_kernelIttLi256ELi32ELi128ELNS_18Fp8KVCacheDataTypeE0ELb0ELi512EEEvPfS2_PT_PKS3_PKT0_S9_ifPKiSB_iPKfiiiSD_SD_iiiii.uses_flat_scratch, 0
	.set _ZN4vllm25paged_attention_v2_kernelIttLi256ELi32ELi128ELNS_18Fp8KVCacheDataTypeE0ELb0ELi512EEEvPfS2_PT_PKS3_PKT0_S9_ifPKiSB_iPKfiiiSD_SD_iiiii.has_dyn_sized_stack, 0
	.set _ZN4vllm25paged_attention_v2_kernelIttLi256ELi32ELi128ELNS_18Fp8KVCacheDataTypeE0ELb0ELi512EEEvPfS2_PT_PKS3_PKT0_S9_ifPKiSB_iPKfiiiSD_SD_iiiii.has_recursion, 0
	.set _ZN4vllm25paged_attention_v2_kernelIttLi256ELi32ELi128ELNS_18Fp8KVCacheDataTypeE0ELb0ELi512EEEvPfS2_PT_PKS3_PKT0_S9_ifPKiSB_iPKfiiiSD_SD_iiiii.has_indirect_call, 0
	.section	.AMDGPU.csdata,"",@progbits
; Kernel info:
; codeLenInByte = 36292
; TotalNumSgprs: 46
; NumVgprs: 128
; ScratchSize: 144
; MemoryBound: 0
; FloatMode: 240
; IeeeMode: 1
; LDSByteSize: 544 bytes/workgroup (compile time only)
; SGPRBlocks: 0
; VGPRBlocks: 15
; NumSGPRsForWavesPerEU: 46
; NumVGPRsForWavesPerEU: 128
; Occupancy: 8
; WaveLimiterHint : 1
; COMPUTE_PGM_RSRC2:SCRATCH_EN: 1
; COMPUTE_PGM_RSRC2:USER_SGPR: 6
; COMPUTE_PGM_RSRC2:TRAP_HANDLER: 0
; COMPUTE_PGM_RSRC2:TGID_X_EN: 1
; COMPUTE_PGM_RSRC2:TGID_Y_EN: 1
; COMPUTE_PGM_RSRC2:TGID_Z_EN: 1
; COMPUTE_PGM_RSRC2:TIDIG_COMP_CNT: 0
	.section	.text._ZN4vllm25paged_attention_v2_kernelI14__hip_bfloat16S1_Li32ELi8ELi128ELNS_18Fp8KVCacheDataTypeE0ELb1ELi512EEEvPfS3_PT_PKS4_PKT0_SA_ifPKiSC_iPKfiiiSE_SE_iiiii,"axG",@progbits,_ZN4vllm25paged_attention_v2_kernelI14__hip_bfloat16S1_Li32ELi8ELi128ELNS_18Fp8KVCacheDataTypeE0ELb1ELi512EEEvPfS3_PT_PKS4_PKT0_SA_ifPKiSC_iPKfiiiSE_SE_iiiii,comdat
	.protected	_ZN4vllm25paged_attention_v2_kernelI14__hip_bfloat16S1_Li32ELi8ELi128ELNS_18Fp8KVCacheDataTypeE0ELb1ELi512EEEvPfS3_PT_PKS4_PKT0_SA_ifPKiSC_iPKfiiiSE_SE_iiiii ; -- Begin function _ZN4vllm25paged_attention_v2_kernelI14__hip_bfloat16S1_Li32ELi8ELi128ELNS_18Fp8KVCacheDataTypeE0ELb1ELi512EEEvPfS3_PT_PKS4_PKT0_SA_ifPKiSC_iPKfiiiSE_SE_iiiii
	.globl	_ZN4vllm25paged_attention_v2_kernelI14__hip_bfloat16S1_Li32ELi8ELi128ELNS_18Fp8KVCacheDataTypeE0ELb1ELi512EEEvPfS3_PT_PKS4_PKT0_SA_ifPKiSC_iPKfiiiSE_SE_iiiii
	.p2align	8
	.type	_ZN4vllm25paged_attention_v2_kernelI14__hip_bfloat16S1_Li32ELi8ELi128ELNS_18Fp8KVCacheDataTypeE0ELb1ELi512EEEvPfS3_PT_PKS4_PKT0_SA_ifPKiSC_iPKfiiiSE_SE_iiiii,@function
_ZN4vllm25paged_attention_v2_kernelI14__hip_bfloat16S1_Li32ELi8ELi128ELNS_18Fp8KVCacheDataTypeE0ELb1ELi512EEEvPfS3_PT_PKS4_PKT0_SA_ifPKiSC_iPKfiiiSE_SE_iiiii: ; @_ZN4vllm25paged_attention_v2_kernelI14__hip_bfloat16S1_Li32ELi8ELi128ELNS_18Fp8KVCacheDataTypeE0ELb1ELi512EEEvPfS3_PT_PKS4_PKT0_SA_ifPKiSC_iPKfiiiSE_SE_iiiii
; %bb.0:
	s_load_dwordx2 s[0:1], s[4:5], 0x40
	s_mov_b32 s26, s7
	s_ashr_i32 s27, s7, 31
	s_lshl_b64 s[2:3], s[26:27], 2
	s_waitcnt lgkmcnt(0)
	s_add_u32 s0, s0, s2
	s_addc_u32 s1, s1, s3
	s_lshl_b32 s38, s8, 9
	s_load_dword s27, s[0:1], 0x0
	s_waitcnt lgkmcnt(0)
	s_cmp_ge_i32 s38, s27
	s_cbranch_scc1 .LBB126_56
; %bb.1:
	s_clause 0x1
	s_load_dword s9, s[4:5], 0x90
	s_load_dwordx2 s[36:37], s[4:5], 0x30
	s_mov_b32 s40, 0
	s_waitcnt lgkmcnt(0)
	s_abs_i32 s3, s9
	s_abs_i32 s0, s36
	v_cvt_f32_u32_e32 v1, s0
	s_sub_i32 s2, 0, s0
	v_rcp_iflag_f32_e32 v1, v1
	v_mul_f32_e32 v1, 0x4f7ffffe, v1
	v_cvt_u32_f32_e32 v1, v1
	v_readfirstlane_b32 s1, v1
	s_mul_i32 s2, s2, s1
	s_mul_hi_u32 s2, s1, s2
	s_add_i32 s1, s1, s2
	s_xor_b32 s2, s9, s36
	s_mul_hi_u32 s1, s3, s1
	s_ashr_i32 s2, s2, 31
	s_mul_i32 s7, s1, s0
	s_sub_i32 s3, s3, s7
	s_add_i32 s7, s1, 1
	s_sub_i32 s10, s3, s0
	s_cmp_ge_u32 s3, s0
	s_cselect_b32 s1, s7, s1
	s_cselect_b32 s3, s10, s3
	s_add_i32 s7, s1, 1
	s_cmp_ge_u32 s3, s0
	s_cselect_b32 s0, s7, s1
	s_xor_b32 s0, s0, s2
	s_sub_i32 s10, s0, s2
	s_load_dwordx2 s[0:1], s[4:5], 0x50
	s_abs_i32 s2, s10
	v_cvt_f32_u32_e32 v1, s2
	s_sub_i32 s3, 0, s2
	v_rcp_iflag_f32_e32 v1, v1
	v_mul_f32_e32 v1, 0x4f7ffffe, v1
	v_cvt_u32_f32_e32 v1, v1
	v_readfirstlane_b32 s7, v1
	s_mul_i32 s3, s3, s7
	s_mul_hi_u32 s11, s7, s3
	s_abs_i32 s3, s6
	s_add_i32 s7, s7, s11
	s_waitcnt lgkmcnt(0)
	s_cmp_eq_u64 s[0:1], 0
	s_mul_hi_u32 s20, s3, s7
	s_cbranch_scc1 .LBB126_3
; %bb.2:
	s_ashr_i32 s7, s6, 31
	s_lshl_b64 s[12:13], s[6:7], 2
	s_add_u32 s0, s0, s12
	s_addc_u32 s1, s1, s13
	s_load_dword s40, s[0:1], 0x0
.LBB126_3:
	s_load_dwordx4 s[12:15], s[4:5], 0x58
	v_and_b32_e32 v1, 3, v0
	v_lshlrev_b32_e32 v2, 2, v0
	s_ashr_i32 s0, s6, 31
	s_ashr_i32 s1, s10, 31
	s_lshl_b32 s10, s6, 5
	s_mov_b32 s7, exec_lo
	v_cmpx_gt_u32_e32 16, v0
	s_cbranch_execz .LBB126_5
; %bb.4:
	s_load_dwordx2 s[16:17], s[4:5], 0x18
	s_waitcnt lgkmcnt(0)
	s_mul_i32 s18, s12, s26
	v_and_b32_e32 v4, 0x3fc, v0
	s_ashr_i32 s19, s18, 31
	s_lshl_b64 s[18:19], s[18:19], 1
	v_lshl_add_u32 v4, v1, 4, v4
	s_add_u32 s12, s16, s18
	s_addc_u32 s15, s17, s19
	s_ashr_i32 s11, s10, 31
	s_lshl_b64 s[16:17], s[10:11], 1
	s_add_u32 s16, s12, s16
	s_addc_u32 s17, s15, s17
	global_load_dword v3, v2, s[16:17]
	s_waitcnt vmcnt(0)
	ds_write_b32 v4, v3
.LBB126_5:
	s_or_b32 exec_lo, exec_lo, s7
	s_load_dwordx4 s[16:19], s[4:5], 0x78
	s_mul_i32 s7, s20, s2
	s_xor_b32 s0, s0, s1
	s_sub_i32 s1, s3, s7
	s_add_i32 s3, s20, 1
	s_sub_i32 s7, s1, s2
	s_cmp_ge_u32 s1, s2
                                        ; implicit-def: $sgpr33
	s_cselect_b32 s3, s3, s20
	s_cselect_b32 s1, s7, s1
	s_add_i32 s7, s3, 1
	s_cmp_ge_u32 s1, s2
	s_mov_b32 s20, -1
	s_cselect_b32 s1, s7, s3
	s_load_dword s3, s[4:5], 0x88
	s_xor_b32 s1, s1, s0
	s_add_i32 s7, s27, -1
	s_sub_i32 s1, s1, s0
	s_abs_i32 s2, s7
	s_waitcnt lgkmcnt(0)
	s_abs_i32 s11, s19
	s_barrier
	v_cvt_f32_u32_e32 v3, s11
	s_sub_i32 s0, 0, s11
	buffer_gl0_inv
	v_rcp_iflag_f32_e32 v3, v3
	v_mul_f32_e32 v3, 0x4f7ffffe, v3
	v_cvt_u32_f32_e32 v3, v3
	v_readfirstlane_b32 s12, v3
	s_mul_i32 s0, s0, s12
	s_mul_hi_u32 s0, s12, s0
	s_add_i32 s12, s12, s0
	s_cmp_lt_i32 s3, 0
	s_mul_hi_u32 s0, s2, s12
	s_cbranch_scc0 .LBB126_7
; %bb.6:
	s_mul_i32 s15, s16, s36
	s_mov_b32 s20, 0
	s_add_i32 s15, s1, s15
	s_mul_i32 s15, s15, s3
	s_sub_i32 s33, 1, s15
.LBB126_7:
	s_load_dwordx2 s[28:29], s[4:5], 0x38
	s_ashr_i32 s15, s7, 31
	s_andn2_b32 vcc_lo, exec_lo, s20
	s_ashr_i32 s19, s19, 31
	s_cbranch_vccnz .LBB126_9
; %bb.8:
	s_mul_i32 s7, s9, s16
	s_add_i32 s7, s7, s6
	s_mul_i32 s3, s7, s3
	s_add_i32 s33, s3, 1
.LBB126_9:
	s_clause 0x4
	s_load_dword s3, s[4:5], 0x48
	s_load_dwordx2 s[34:35], s[4:5], 0x28
	s_load_dword s7, s[4:5], 0x98
	s_load_dwordx4 s[20:23], s[4:5], 0x0
	s_load_dwordx2 s[24:25], s[4:5], 0x10
	s_mul_i32 s16, s0, s11
	s_xor_b32 s15, s15, s19
	s_sub_i32 s2, s2, s16
	s_add_i32 s36, s0, 1
	v_lshrrev_b32_e32 v16, 5, v0
	v_mov_b32_e32 v4, 0xff7fffff
	v_mbcnt_lo_u32_b32 v3, -1, 0
	s_mul_i32 s14, s1, s14
	v_lshl_add_u32 v17, v16, 3, s38
	s_waitcnt lgkmcnt(0)
	s_mul_i32 s30, s3, s26
	s_sub_i32 s3, s2, s11
	s_ashr_i32 s31, s30, 31
	s_cmp_ge_u32 s2, s11
	s_cselect_b32 s0, s36, s0
	s_cselect_b32 s2, s3, s2
	s_add_i32 s3, s0, 1
	s_cmp_ge_u32 s2, s11
	s_cselect_b32 s0, s3, s0
	s_add_i32 s2, s27, 7
	s_lshl_b32 s41, s8, 6
	s_ashr_i32 s3, s2, 31
	v_or_b32_e32 v13, s41, v16
	s_lshr_b32 s3, s3, 29
	s_add_i32 s2, s2, s3
	s_add_i32 s3, s41, 64
	s_ashr_i32 s36, s2, 3
	s_xor_b32 s2, s0, s15
	s_min_i32 s16, s3, s36
	v_ashrrev_i32_e32 v14, 31, v13
	v_cmp_gt_i32_e64 s0, s16, v13
	s_sub_i32 s39, s2, s15
	s_and_saveexec_b32 s42, s0
	s_cbranch_execz .LBB126_21
; %bb.10:
	s_load_dwordx2 s[2:3], s[4:5], 0x20
	s_ashr_i32 s15, s14, 31
	s_sub_i32 s4, s39, s17
	s_lshl_b64 s[44:45], s[14:15], 1
	v_bfe_u32 v5, v0, 2, 3
	v_cmp_eq_u32_e32 vcc_lo, 0, v1
	v_and_b32_e32 v15, 12, v2
	v_lshlrev_b32_e32 v6, 4, v1
	v_lshlrev_b64 v[1:2], 2, v[13:14]
	v_lshlrev_b32_e32 v11, 2, v5
	v_subrev_nc_u32_e32 v18, s27, v5
	v_lshlrev_b32_e32 v21, 4, v5
	v_cmp_neq_f32_e64 s1, s40, 0
	v_lshl_add_u32 v7, v16, 3, s38
	v_lshl_or_b32 v19, v16, 5, v11
	v_add_nc_u32_e32 v11, 1, v18
	v_mov_b32_e32 v8, 0xff7fffff
	v_xor_b32_e32 v9, 2, v3
	v_xor_b32_e32 v10, 1, v3
	s_waitcnt lgkmcnt(0)
	s_add_u32 s15, s2, s44
	s_addc_u32 s43, s3, s45
	s_abs_i32 s5, s18
	v_cvt_f32_u32_e32 v4, s5
	s_sub_i32 s2, 0, s5
	v_rcp_iflag_f32_e32 v4, v4
	v_mul_f32_e32 v12, 0x4f7ffffe, v4
	v_mov_b32_e32 v4, 0xff7fffff
	v_cvt_u32_f32_e32 v20, v12
	v_add_nc_u32_e32 v12, 0x60, v19
	v_add_co_u32 v19, s15, s15, v21
	v_add_co_ci_u32_e64 v21, null, s43, 0, s15
	v_mul_lo_u32 v18, s2, v20
	s_lshl_b64 s[2:3], s[30:31], 2
	s_mov_b32 s15, 0
	s_add_u32 s2, s28, s2
	s_addc_u32 s3, s29, s3
	v_add_co_u32 v1, s2, s2, v1
	v_add_co_ci_u32_e64 v2, null, s3, v2, s2
	v_mul_hi_u32 v22, v20, v18
	v_add_co_u32 v15, s2, v19, v15
	v_add_co_ci_u32_e64 v18, null, 0, v21, s2
	s_mov_b32 s43, s13
	v_add_nc_u32_e32 v19, v20, v22
	v_mov_b32_e32 v20, v13
	s_branch .LBB126_13
.LBB126_11:                             ;   in Loop: Header=BB126_13 Depth=1
	s_or_b32 exec_lo, exec_lo, s44
.LBB126_12:                             ;   in Loop: Header=BB126_13 Depth=1
	s_or_b32 exec_lo, exec_lo, s3
	v_add_nc_u32_e32 v20, 4, v20
	v_add_co_u32 v1, s3, v1, 16
	v_add_co_ci_u32_e64 v2, null, 0, v2, s3
	v_cmp_le_i32_e64 s2, s16, v20
	v_add_nc_u32_e32 v7, 32, v7
	v_add_nc_u32_e32 v12, 0x80, v12
	s_or_b32 s15, s2, s15
	s_andn2_b32 exec_lo, exec_lo, s15
	s_cbranch_execz .LBB126_20
.LBB126_13:                             ; =>This Inner Loop Header: Depth=1
	v_sub_nc_u32_e32 v21, 0, v7
	v_max_i32_e32 v21, v7, v21
	s_waitcnt lgkmcnt(0)
	v_mul_hi_u32 v22, v21, s12
	v_mul_lo_u32 v23, v22, s11
	v_sub_nc_u32_e32 v21, v21, v23
	v_add_nc_u32_e32 v23, 1, v22
	v_subrev_nc_u32_e32 v24, s11, v21
	v_cmp_le_u32_e64 s2, s11, v21
	v_cndmask_b32_e64 v22, v22, v23, s2
	v_cndmask_b32_e64 v21, v21, v24, s2
	v_ashrrev_i32_e32 v23, 31, v7
	v_add_nc_u32_e32 v24, 1, v22
	v_cmp_le_u32_e64 s2, s11, v21
	v_xor_b32_e32 v23, s19, v23
	v_cndmask_b32_e64 v21, v22, v24, s2
	v_xor_b32_e32 v21, v21, v23
	v_sub_nc_u32_e32 v21, v21, v23
	v_add_nc_u32_e32 v22, s33, v21
	v_cmp_ge_i32_e64 s3, s4, v21
	v_sub_nc_u32_e32 v23, 0, v22
	v_max_i32_e32 v23, v22, v23
	v_ashrrev_i32_e32 v22, 31, v22
	v_mul_hi_u32 v24, v23, v19
	v_mul_lo_u32 v24, v24, s5
	v_sub_nc_u32_e32 v23, v23, v24
	v_subrev_nc_u32_e32 v24, s5, v23
	v_cmp_le_u32_e64 s2, s5, v23
	v_cndmask_b32_e64 v23, v23, v24, s2
	v_subrev_nc_u32_e32 v24, s5, v23
	v_cmp_le_u32_e64 s2, s5, v23
	v_cndmask_b32_e64 v23, v23, v24, s2
	v_xor_b32_e32 v23, v23, v22
	v_sub_nc_u32_e32 v22, v23, v22
	v_cmp_ne_u32_e64 s2, 0, v22
	s_and_b32 s2, s2, s3
	s_and_saveexec_b32 s3, s2
	s_xor_b32 s2, exec_lo, s3
	s_cbranch_execz .LBB126_17
; %bb.14:                               ;   in Loop: Header=BB126_13 Depth=1
	s_and_saveexec_b32 s3, vcc_lo
; %bb.15:                               ;   in Loop: Header=BB126_13 Depth=1
	ds_write_b32 v12, v8
; %bb.16:                               ;   in Loop: Header=BB126_13 Depth=1
	s_or_b32 exec_lo, exec_lo, s3
.LBB126_17:                             ;   in Loop: Header=BB126_13 Depth=1
	s_andn2_saveexec_b32 s3, s2
	s_cbranch_execz .LBB126_12
; %bb.18:                               ;   in Loop: Header=BB126_13 Depth=1
	global_load_dword v21, v[1:2], off
	s_waitcnt vmcnt(0)
	v_mad_i64_i32 v[21:22], null, v21, s43, 0
	v_lshlrev_b64 v[21:22], 1, v[21:22]
	v_add_co_u32 v21, s2, v15, v21
	v_add_co_ci_u32_e64 v22, null, v18, v22, s2
	v_cmp_gt_i32_e64 s2, 32, v9
	s_clause 0x3
	global_load_dword v25, v[21:22], off offset:128
	global_load_dword v26, v[21:22], off
	global_load_dword v27, v[21:22], off offset:256
	global_load_dword v28, v[21:22], off offset:384
	ds_read_b128 v[21:24], v6
	s_waitcnt lgkmcnt(0)
	v_lshlrev_b32_e32 v30, 16, v22
	v_and_b32_e32 v22, 0xffff0000, v22
	v_lshlrev_b32_e32 v29, 16, v21
	v_and_b32_e32 v21, 0xffff0000, v21
	;; [unrolled: 2-line block ×3, first 2 shown]
	v_lshlrev_b32_e32 v32, 16, v24
	s_waitcnt vmcnt(3)
	v_lshlrev_b32_e32 v33, 16, v25
	v_and_b32_e32 v25, 0xffff0000, v25
	s_waitcnt vmcnt(2)
	v_lshlrev_b32_e32 v34, 16, v26
	v_and_b32_e32 v26, 0xffff0000, v26
	v_mul_f32_e32 v30, v30, v33
	v_mul_f32_e32 v22, v22, v25
	s_waitcnt vmcnt(1)
	v_lshlrev_b32_e32 v25, 16, v27
	v_and_b32_e32 v27, 0xffff0000, v27
	v_fmac_f32_e32 v30, v29, v34
	v_fmac_f32_e32 v22, v21, v26
	v_and_b32_e32 v21, 0xffff0000, v24
	s_waitcnt vmcnt(0)
	v_lshlrev_b32_e32 v24, 16, v28
	v_and_b32_e32 v26, 0xffff0000, v28
	v_fmac_f32_e32 v30, v31, v25
	v_fmac_f32_e32 v22, v23, v27
	v_cndmask_b32_e64 v23, v3, v9, s2
	v_cmp_gt_i32_e64 s2, 32, v10
	v_fmac_f32_e32 v30, v32, v24
	v_fmac_f32_e32 v22, v21, v26
	v_lshlrev_b32_e32 v21, 2, v23
	v_cndmask_b32_e64 v23, v3, v10, s2
	v_add_f32_e32 v22, v30, v22
	v_lshlrev_b32_e32 v23, 2, v23
	ds_bpermute_b32 v21, v21, v22
	s_waitcnt lgkmcnt(0)
	v_add_f32_e32 v21, v22, v21
	ds_bpermute_b32 v22, v23, v21
	s_and_saveexec_b32 s44, vcc_lo
	s_cbranch_execz .LBB126_11
; %bb.19:                               ;   in Loop: Header=BB126_13 Depth=1
	v_add_nc_u32_e32 v23, v11, v7
	s_waitcnt lgkmcnt(0)
	v_add_f32_e32 v21, v21, v22
	v_cvt_f32_i32_e32 v23, v23
	v_mul_f32_e32 v23, s40, v23
	v_cndmask_b32_e64 v22, 0, v23, s1
	v_max_f32_e32 v23, v4, v4
	v_fmac_f32_e32 v22, s37, v21
	v_add_nc_u32_e32 v21, v5, v7
	v_max_f32_e32 v23, v23, v22
	v_cmp_gt_i32_e64 s2, s27, v21
	v_cndmask_b32_e64 v21, 0, v22, s2
	v_cndmask_b32_e64 v4, v4, v23, s2
	ds_write_b32 v12, v21
	s_branch .LBB126_11
.LBB126_20:
	s_or_b32 exec_lo, exec_lo, s15
.LBB126_21:
	s_or_b32 exec_lo, exec_lo, s42
	v_xor_b32_e32 v1, 16, v3
	v_xor_b32_e32 v5, 8, v3
	v_max_f32_e32 v6, v4, v4
	v_and_b32_e32 v18, 31, v0
	v_cmp_gt_i32_e32 vcc_lo, 32, v1
	v_cndmask_b32_e32 v1, v3, v1, vcc_lo
	v_cmp_gt_i32_e32 vcc_lo, 32, v5
	v_lshlrev_b32_e32 v2, 2, v1
	ds_bpermute_b32 v1, v2, v4
	v_cndmask_b32_e32 v4, v3, v5, vcc_lo
	v_lshlrev_b32_e32 v4, 2, v4
	s_waitcnt lgkmcnt(0)
	v_max_f32_e32 v1, v1, v1
	v_max_f32_e32 v1, v6, v1
	v_xor_b32_e32 v6, 4, v3
	ds_bpermute_b32 v5, v4, v1
	v_cmp_gt_i32_e32 vcc_lo, 32, v6
	v_cndmask_b32_e32 v6, v3, v6, vcc_lo
	v_cmp_eq_u32_e32 vcc_lo, 0, v18
	v_lshlrev_b32_e32 v7, 2, v6
	s_waitcnt lgkmcnt(0)
	v_max_f32_e32 v5, v5, v5
	v_max_f32_e32 v1, v1, v5
	v_lshlrev_b32_e32 v5, 2, v16
	ds_bpermute_b32 v6, v7, v1
	s_and_saveexec_b32 s1, vcc_lo
	s_cbranch_execz .LBB126_23
; %bb.22:
	s_waitcnt lgkmcnt(0)
	v_max_f32_e32 v6, v6, v6
	v_max_f32_e32 v1, v1, v1
	;; [unrolled: 1-line block ×3, first 2 shown]
	ds_write_b32 v5, v1 offset:64
.LBB126_23:
	s_or_b32 exec_lo, exec_lo, s1
	v_cmp_gt_u32_e64 s1, 4, v18
	v_mov_b32_e32 v1, 0xff7fffff
	s_waitcnt lgkmcnt(0)
	v_lshlrev_b32_e32 v6, 2, v18
	s_barrier
	buffer_gl0_inv
	s_and_saveexec_b32 s2, s1
; %bb.24:
	ds_read_b32 v1, v6 offset:64
; %bb.25:
	s_or_b32 exec_lo, exec_lo, s2
	v_xor_b32_e32 v8, 2, v3
	v_xor_b32_e32 v10, 1, v3
	v_cmp_gt_i32_e64 s2, 32, v8
	v_cndmask_b32_e64 v8, v3, v8, s2
	v_cmp_gt_i32_e64 s2, 32, v10
	v_lshlrev_b32_e32 v8, 2, v8
	v_cndmask_b32_e64 v3, v3, v10, s2
	s_sub_i32 s2, s16, s41
	s_lshl_b32 s2, s2, 3
	s_waitcnt lgkmcnt(0)
	ds_bpermute_b32 v9, v8, v1
	v_max_f32_e32 v1, v1, v1
	s_add_i32 s2, s2, s38
	s_min_i32 s2, s2, s27
	s_sub_i32 s4, s2, s38
	v_cmp_gt_i32_e64 s2, s4, v0
	s_waitcnt lgkmcnt(0)
	v_max_f32_e32 v10, v9, v9
	v_lshlrev_b32_e32 v9, 2, v3
	v_max_f32_e32 v1, v1, v10
	v_mov_b32_e32 v10, 0
	ds_bpermute_b32 v3, v9, v1
	s_waitcnt lgkmcnt(0)
	v_max_f32_e32 v3, v3, v3
	v_max_f32_e32 v1, v1, v3
	v_lshl_add_u32 v3, v0, 2, 0x60
	ds_bpermute_b32 v1, v10, v1
	s_and_saveexec_b32 s5, s2
	s_cbranch_execz .LBB126_29
; %bb.26:
	v_lshl_add_u32 v11, v0, 2, 0x60
	v_mov_b32_e32 v10, 0
	v_mov_b32_e32 v12, v0
	s_mov_b32 s15, 0
	.p2align	6
.LBB126_27:                             ; =>This Inner Loop Header: Depth=1
	ds_read_b32 v15, v11
	v_add_nc_u32_e32 v12, 0x80, v12
	v_cmp_le_i32_e64 s3, s4, v12
	s_or_b32 s15, s3, s15
	s_waitcnt lgkmcnt(0)
	v_sub_f32_e32 v15, v15, v1
	v_mul_f32_e32 v15, 0x3fb8aa3b, v15
	v_exp_f32_e32 v15, v15
	ds_write_b32 v11, v15
	v_add_f32_e32 v10, v10, v15
	v_add_nc_u32_e32 v11, 0x200, v11
	s_andn2_b32 exec_lo, exec_lo, s15
	s_cbranch_execnz .LBB126_27
; %bb.28:
	s_or_b32 exec_lo, exec_lo, s15
.LBB126_29:
	s_or_b32 exec_lo, exec_lo, s5
	ds_bpermute_b32 v2, v2, v10
	s_waitcnt lgkmcnt(0)
	v_add_f32_e32 v2, v10, v2
	ds_bpermute_b32 v4, v4, v2
	s_waitcnt lgkmcnt(0)
	v_add_f32_e32 v2, v2, v4
	;; [unrolled: 3-line block ×5, first 2 shown]
	s_and_saveexec_b32 s3, vcc_lo
; %bb.30:
	ds_write_b32 v5, v2 offset:80
; %bb.31:
	s_or_b32 exec_lo, exec_lo, s3
	s_waitcnt lgkmcnt(0)
	s_barrier
	buffer_gl0_inv
	s_and_saveexec_b32 s3, s1
; %bb.32:
	ds_read_b32 v2, v6 offset:80
; %bb.33:
	s_or_b32 exec_lo, exec_lo, s3
	s_waitcnt lgkmcnt(0)
	ds_bpermute_b32 v4, v8, v2
	s_waitcnt lgkmcnt(0)
	v_add_f32_e32 v2, v2, v4
	ds_bpermute_b32 v4, v9, v2
	s_waitcnt lgkmcnt(0)
	v_add_f32_e32 v2, v2, v4
	v_mov_b32_e32 v4, 0
	ds_bpermute_b32 v2, v4, v2
	s_and_saveexec_b32 s1, s2
	s_cbranch_execz .LBB126_36
; %bb.34:
	s_waitcnt lgkmcnt(0)
	v_add_f32_e32 v4, 0x358637bd, v2
	s_mov_b32 s2, 0
	v_div_scale_f32 v5, null, v4, v4, 1.0
	v_div_scale_f32 v8, vcc_lo, 1.0, v4, 1.0
	v_rcp_f32_e32 v6, v5
	v_fma_f32 v7, -v5, v6, 1.0
	v_fmac_f32_e32 v6, v7, v6
	v_mul_f32_e32 v7, v8, v6
	v_fma_f32 v9, -v5, v7, v8
	v_fmac_f32_e32 v7, v9, v6
	v_fma_f32 v5, -v5, v7, v8
	v_div_fmas_f32 v5, v5, v6, v7
	v_div_fixup_f32 v4, v5, v4, 1.0
	v_mov_b32_e32 v5, v0
.LBB126_35:                             ; =>This Inner Loop Header: Depth=1
	ds_read_b32 v6, v3
	v_add_nc_u32_e32 v5, 0x80, v5
	v_cmp_le_i32_e32 vcc_lo, s4, v5
	s_or_b32 s2, vcc_lo, s2
	s_waitcnt lgkmcnt(0)
	v_mul_f32_e32 v6, v4, v6
	ds_write_b32 v3, v6
	v_add_nc_u32_e32 v3, 0x200, v3
	s_andn2_b32 exec_lo, exec_lo, s2
	s_cbranch_execnz .LBB126_35
.LBB126_36:
	s_or_b32 exec_lo, exec_lo, s1
	s_mul_i32 s1, s7, s26
	s_waitcnt lgkmcnt(0)
	s_mul_i32 s2, s1, s9
	s_mov_b32 s1, exec_lo
	s_barrier
	buffer_gl0_inv
	v_cmpx_eq_u32_e32 0, v0
	s_cbranch_execz .LBB126_38
; %bb.37:
	s_ashr_i32 s3, s2, 31
	s_mul_i32 s40, s7, s6
	s_lshl_b64 s[4:5], s[2:3], 2
	v_mov_b32_e32 v3, 0
	s_add_u32 s3, s22, s4
	s_addc_u32 s6, s23, s5
	s_ashr_i32 s41, s40, 31
	s_lshl_b64 s[22:23], s[40:41], 2
	s_add_u32 s3, s3, s22
	s_addc_u32 s6, s6, s23
	s_ashr_i32 s9, s8, 31
	s_lshl_b64 s[40:41], s[8:9], 2
	s_add_u32 s42, s3, s40
	s_addc_u32 s43, s6, s41
	s_add_u32 s3, s20, s4
	s_addc_u32 s4, s21, s5
	;; [unrolled: 2-line block ×4, first 2 shown]
	global_store_dword v3, v1, s[42:43]
	global_store_dword v3, v2, s[4:5]
.LBB126_38:
	s_or_b32 exec_lo, exec_lo, s1
	v_mov_b32_e32 v19, 0
	s_and_saveexec_b32 s3, s0
	s_cbranch_execz .LBB126_46
; %bb.39:
	s_ashr_i32 s15, s14, 31
	s_sub_i32 s4, s39, s17
	s_lshl_b64 s[0:1], s[14:15], 1
	v_lshlrev_b32_e32 v5, 4, v18
	s_add_u32 s6, s34, s0
	s_addc_u32 s9, s35, s1
	s_abs_i32 s5, s18
	s_add_i32 s36, s36, -1
	v_cvt_f32_u32_e32 v1, s5
	s_sub_i32 s0, 0, s5
	v_add_co_u32 v22, s6, s6, v5
	v_mov_b32_e32 v20, 0
	v_rcp_iflag_f32_e32 v1, v1
	v_lshl_add_u32 v21, v16, 5, 0x60
	v_add_co_ci_u32_e64 v23, null, s9, 0, s6
	v_mov_b32_e32 v19, 0
	s_mov_b32 s6, s13
	s_mov_b32 s13, s27
	;; [unrolled: 1-line block ×3, first 2 shown]
	v_mul_f32_e32 v1, 0x4f7ffffe, v1
	v_cvt_u32_f32_e32 v3, v1
	v_lshlrev_b64 v[1:2], 2, v[13:14]
	v_mul_lo_u32 v4, s0, v3
	s_lshl_b64 s[0:1], s[30:31], 2
	s_add_u32 s0, s28, s0
	s_addc_u32 s1, s29, s1
	v_add_co_u32 v14, vcc_lo, s0, v1
	v_add_co_ci_u32_e64 v15, null, s1, v2, vcc_lo
	v_mul_hi_u32 v4, v3, v4
	v_add_nc_u32_e32 v24, v3, v4
	s_branch .LBB126_42
.LBB126_40:                             ;   in Loop: Header=BB126_42 Depth=1
	s_or_b32 exec_lo, exec_lo, s15
	s_waitcnt lgkmcnt(1)
	v_bfe_u32 v25, v9, 16, 1
	v_or_b32_e32 v26, 0x400000, v9
	v_bfe_u32 v27, v10, 16, 1
	v_cmp_u_f32_e32 vcc_lo, v9, v9
	v_bfe_u32 v28, v11, 16, 1
	v_add3_u32 v25, v25, v9, 0x7fff
	v_or_b32_e32 v29, 0x400000, v10
	v_add3_u32 v27, v27, v10, 0x7fff
	v_or_b32_e32 v30, 0x400000, v11
	v_add3_u32 v28, v28, v11, 0x7fff
	v_cndmask_b32_e32 v9, v25, v26, vcc_lo
	v_cmp_u_f32_e32 vcc_lo, v10, v10
	v_bfe_u32 v25, v12, 16, 1
	s_waitcnt lgkmcnt(0)
	v_bfe_u32 v26, v5, 16, 1
	v_and_b32_e32 v9, 0xffff0000, v9
	v_cndmask_b32_e32 v10, v27, v29, vcc_lo
	v_cmp_u_f32_e32 vcc_lo, v11, v11
	v_add3_u32 v25, v25, v12, 0x7fff
	v_or_b32_e32 v27, 0x400000, v12
	v_add3_u32 v26, v26, v5, 0x7fff
	v_bfe_u32 v29, v6, 16, 1
	v_cndmask_b32_e32 v11, v28, v30, vcc_lo
	v_cmp_u_f32_e32 vcc_lo, v12, v12
	v_or_b32_e32 v28, 0x400000, v5
	v_and_b32_e32 v10, 0xffff0000, v10
	v_cndmask_b32_e32 v12, v25, v27, vcc_lo
	v_cmp_u_f32_e32 vcc_lo, v5, v5
	v_add3_u32 v25, v29, v6, 0x7fff
	v_bfe_u32 v27, v7, 16, 1
	v_cndmask_b32_e32 v5, v26, v28, vcc_lo
	v_or_b32_e32 v26, 0x400000, v6
	s_waitcnt vmcnt(0)
	v_lshlrev_b32_e32 v28, 16, v1
	v_cmp_u_f32_e32 vcc_lo, v6, v6
	v_and_b32_e32 v1, 0xffff0000, v1
	v_and_b32_e32 v5, 0xffff0000, v5
	v_mul_f32_e32 v9, v9, v28
	v_cndmask_b32_e32 v6, v25, v26, vcc_lo
	v_add3_u32 v25, v27, v7, 0x7fff
	v_or_b32_e32 v26, 0x400000, v7
	v_bfe_u32 v27, v8, 16, 1
	v_cmp_u_f32_e32 vcc_lo, v7, v7
	v_mul_f32_e32 v1, v10, v1
	v_and_b32_e32 v10, 0xffff0000, v11
	v_lshlrev_b32_e32 v11, 16, v2
	v_and_b32_e32 v2, 0xffff0000, v2
	v_cndmask_b32_e32 v7, v25, v26, vcc_lo
	v_add3_u32 v25, v27, v8, 0x7fff
	v_or_b32_e32 v26, 0x400000, v8
	v_bfe_u32 v27, v9, 16, 1
	v_cmp_u_f32_e32 vcc_lo, v8, v8
	v_mul_f32_e32 v10, v10, v11
	v_and_b32_e32 v11, 0xffff0000, v12
	v_and_b32_e32 v6, 0xffff0000, v6
	v_cndmask_b32_e32 v8, v25, v26, vcc_lo
	v_add3_u32 v25, v27, v9, 0x7fff
	v_or_b32_e32 v26, 0x400000, v9
	v_bfe_u32 v27, v1, 16, 1
	v_cmp_u_f32_e32 vcc_lo, v9, v9
	v_mul_f32_e32 v2, v11, v2
	v_lshlrev_b32_e32 v11, 16, v3
	v_and_b32_e32 v3, 0xffff0000, v3
	v_add3_u32 v12, v27, v1, 0x7fff
	v_cndmask_b32_e32 v9, v25, v26, vcc_lo
	v_or_b32_e32 v25, 0x400000, v1
	v_bfe_u32 v26, v10, 16, 1
	v_cmp_u_f32_e32 vcc_lo, v1, v1
	v_mul_f32_e32 v5, v5, v11
	v_mul_f32_e32 v3, v6, v3
	v_and_b32_e32 v6, 0xffff0000, v7
	v_lshlrev_b32_e32 v7, 16, v4
	v_cndmask_b32_e32 v1, v12, v25, vcc_lo
	v_add3_u32 v12, v26, v10, 0x7fff
	v_or_b32_e32 v25, 0x400000, v10
	v_bfe_u32 v26, v2, 16, 1
	v_cmp_u_f32_e32 vcc_lo, v10, v10
	v_and_b32_e32 v8, 0xffff0000, v8
	v_and_b32_e32 v4, 0xffff0000, v4
	v_mul_f32_e32 v6, v6, v7
	v_add3_u32 v11, v26, v2, 0x7fff
	v_cndmask_b32_e32 v10, v12, v25, vcc_lo
	v_or_b32_e32 v12, 0x400000, v2
	v_bfe_u32 v25, v5, 16, 1
	v_cmp_u_f32_e32 vcc_lo, v2, v2
	v_mul_f32_e32 v4, v8, v4
	v_or_b32_e32 v7, 0x400000, v5
	v_and_b32_e32 v1, 0xffff0000, v1
	v_and_b32_e32 v9, 0xffff0000, v9
	v_cndmask_b32_e32 v2, v11, v12, vcc_lo
	v_bfe_u32 v11, v3, 16, 1
	v_add3_u32 v12, v25, v5, 0x7fff
	v_cmp_u_f32_e32 vcc_lo, v5, v5
	v_bfe_u32 v26, v4, 16, 1
	v_bfe_u32 v25, v6, 16, 1
	v_add3_u32 v8, v11, v3, 0x7fff
	v_or_b32_e32 v11, 0x400000, v3
	v_cndmask_b32_e32 v5, v12, v7, vcc_lo
	v_cmp_u_f32_e32 vcc_lo, v3, v3
	v_add3_u32 v7, v25, v6, 0x7fff
	v_and_b32_e32 v2, 0xffff0000, v2
	v_and_b32_e32 v10, 0xffff0000, v10
	v_or_b32_e32 v12, 0x400000, v6
	v_cndmask_b32_e32 v3, v8, v11, vcc_lo
	v_add3_u32 v8, v26, v4, 0x7fff
	v_or_b32_e32 v11, 0x400000, v4
	v_cmp_u_f32_e32 vcc_lo, v4, v4
	v_add_f32_e32 v1, v9, v1
	v_add_f32_e32 v2, v10, v2
	v_and_b32_e32 v3, 0xffff0000, v3
	v_and_b32_e32 v5, 0xffff0000, v5
	v_cndmask_b32_e32 v4, v8, v11, vcc_lo
	v_cmp_u_f32_e32 vcc_lo, v6, v6
	v_add_f32_e32 v1, v2, v1
	v_add_f32_e32 v2, v5, v3
	v_and_b32_e32 v3, 0xffff0000, v4
	v_cndmask_b32_e32 v6, v7, v12, vcc_lo
	v_add_f32_e32 v1, v2, v1
	v_and_b32_e32 v4, 0xffff0000, v6
	v_add_f32_e32 v2, v4, v3
	v_add_f32_e32 v1, v2, v1
	;; [unrolled: 1-line block ×3, first 2 shown]
.LBB126_41:                             ;   in Loop: Header=BB126_42 Depth=1
	s_or_b32 exec_lo, exec_lo, s14
	v_add_nc_u32_e32 v13, 4, v13
	v_add_co_u32 v14, s0, v14, 16
	v_add_co_ci_u32_e64 v15, null, 0, v15, s0
	v_cmp_le_i32_e32 vcc_lo, s16, v13
	v_add_nc_u32_e32 v17, 32, v17
	v_add_nc_u32_e32 v21, 0x80, v21
	s_or_b32 s9, vcc_lo, s9
	s_andn2_b32 exec_lo, exec_lo, s9
	s_cbranch_execz .LBB126_45
.LBB126_42:                             ; =>This Inner Loop Header: Depth=1
	v_sub_nc_u32_e32 v1, 0, v17
	v_max_i32_e32 v1, v17, v1
	v_mul_hi_u32 v2, v1, s12
	v_mul_lo_u32 v3, v2, s11
	v_sub_nc_u32_e32 v1, v1, v3
	v_add_nc_u32_e32 v3, 1, v2
	v_subrev_nc_u32_e32 v4, s11, v1
	v_cmp_le_u32_e32 vcc_lo, s11, v1
	v_cndmask_b32_e32 v2, v2, v3, vcc_lo
	v_cndmask_b32_e32 v1, v1, v4, vcc_lo
	v_ashrrev_i32_e32 v3, 31, v17
	v_add_nc_u32_e32 v4, 1, v2
	v_cmp_le_u32_e32 vcc_lo, s11, v1
	v_xor_b32_e32 v3, s19, v3
	v_cndmask_b32_e32 v1, v2, v4, vcc_lo
	v_xor_b32_e32 v1, v1, v3
	v_sub_nc_u32_e32 v1, v1, v3
	v_add_nc_u32_e32 v2, s33, v1
	v_cmp_lt_i32_e64 s0, s4, v1
	v_sub_nc_u32_e32 v3, 0, v2
	v_max_i32_e32 v3, v2, v3
	v_ashrrev_i32_e32 v2, 31, v2
	v_mul_hi_u32 v4, v3, v24
	v_mul_lo_u32 v4, v4, s5
	v_sub_nc_u32_e32 v3, v3, v4
	v_subrev_nc_u32_e32 v4, s5, v3
	v_cmp_le_u32_e32 vcc_lo, s5, v3
	v_cndmask_b32_e32 v3, v3, v4, vcc_lo
	v_subrev_nc_u32_e32 v4, s5, v3
	v_cmp_le_u32_e32 vcc_lo, s5, v3
	v_cndmask_b32_e32 v3, v3, v4, vcc_lo
	v_xor_b32_e32 v3, v3, v2
	v_sub_nc_u32_e32 v2, v3, v2
	v_cmp_eq_u32_e32 vcc_lo, 0, v2
	s_or_b32 s0, vcc_lo, s0
	s_and_saveexec_b32 s14, s0
	s_cbranch_execz .LBB126_41
; %bb.43:                               ;   in Loop: Header=BB126_42 Depth=1
	global_load_dword v1, v[14:15], off
	s_mov_b32 s15, exec_lo
	s_waitcnt vmcnt(0)
	v_mad_i64_i32 v[1:2], null, v1, s6, 0
	v_lshlrev_b64 v[1:2], 1, v[1:2]
	v_add_co_u32 v1, vcc_lo, v22, v1
	v_add_co_ci_u32_e64 v2, null, v23, v2, vcc_lo
	global_load_dwordx4 v[1:4], v[1:2], off
	ds_read2_b64 v[9:12], v21 offset1:1
	ds_read2_b64 v[5:8], v21 offset0:2 offset1:3
	v_cmpx_eq_u32_e64 s36, v13
	s_cbranch_execz .LBB126_40
; %bb.44:                               ;   in Loop: Header=BB126_42 Depth=1
	v_add_nc_u32_e32 v25, 1, v17
	v_or_b32_e32 v26, 3, v17
	v_cmp_gt_i32_e32 vcc_lo, s27, v17
	v_or_b32_e32 v27, 2, v17
	v_or_b32_e32 v29, 7, v17
	v_cmp_gt_i32_e64 s0, s13, v26
	s_waitcnt vmcnt(0)
	v_cndmask_b32_e32 v28, 0, v1, vcc_lo
	v_cmp_gt_i32_e32 vcc_lo, s13, v25
	v_cmp_gt_i32_e64 s1, s27, v27
	v_or_b32_e32 v26, 5, v17
	v_or_b32_e32 v27, 4, v17
	v_cndmask_b32_sdwa v1, v20, v1, vcc_lo dst_sel:DWORD dst_unused:UNUSED_PAD src0_sel:DWORD src1_sel:WORD_1
	s_mov_b32 vcc_lo, s0
	v_cndmask_b32_e64 v25, 0, v2, s1
	v_cndmask_b32_sdwa v2, v20, v2, vcc_lo dst_sel:DWORD dst_unused:UNUSED_PAD src0_sel:DWORD src1_sel:WORD_1
	v_cmp_gt_i32_e32 vcc_lo, s13, v26
	v_cmp_gt_i32_e64 s0, s27, v27
	v_or_b32_e32 v27, 6, v17
	v_perm_b32 v1, v1, v28, 0x5040100
	v_perm_b32 v2, v2, v25, 0x5040100
	v_cndmask_b32_e64 v26, 0, v3, s0
	v_cmp_gt_i32_e64 s0, s13, v29
	v_cndmask_b32_sdwa v3, v20, v3, vcc_lo dst_sel:DWORD dst_unused:UNUSED_PAD src0_sel:DWORD src1_sel:WORD_1
	v_cmp_gt_i32_e32 vcc_lo, s27, v27
	v_perm_b32 v3, v3, v26, 0x5040100
	v_cndmask_b32_e32 v27, 0, v4, vcc_lo
	s_mov_b32 vcc_lo, s0
	v_cndmask_b32_sdwa v4, v20, v4, vcc_lo dst_sel:DWORD dst_unused:UNUSED_PAD src0_sel:DWORD src1_sel:WORD_1
	v_perm_b32 v4, v4, v27, 0x5040100
	s_branch .LBB126_40
.LBB126_45:
	s_or_b32 exec_lo, exec_lo, s9
.LBB126_46:
	s_or_b32 exec_lo, exec_lo, s3
	v_and_b32_e32 v2, 0x3c0, v0
	v_lshl_add_u32 v1, v18, 2, 0x60
	s_mov_b32 s0, exec_lo
	s_waitcnt_vscnt null, 0x0
	s_barrier
	buffer_gl0_inv
	v_cmpx_eq_u32_e32 64, v2
; %bb.47:
	v_lshlrev_b32_e32 v2, 7, v16
	v_add3_u32 v2, v1, v2, 0xffffff00
	ds_write_b32 v2, v19
; %bb.48:
	s_or_b32 exec_lo, exec_lo, s0
	v_and_b32_e32 v3, 0x3e0, v0
	s_mov_b32 s0, exec_lo
	s_waitcnt lgkmcnt(0)
	s_barrier
	buffer_gl0_inv
	v_lshl_add_u32 v2, v3, 2, v1
	v_cmpx_gt_u32_e32 64, v0
	s_cbranch_execz .LBB126_50
; %bb.49:
	ds_read_b32 v4, v2
	s_waitcnt lgkmcnt(0)
	v_add_f32_e32 v19, v19, v4
.LBB126_50:
	s_or_b32 exec_lo, exec_lo, s0
	s_mov_b32 s0, exec_lo
	s_barrier
	buffer_gl0_inv
	v_cmpx_eq_u32_e32 32, v3
; %bb.51:
	ds_write_b32 v1, v19
; %bb.52:
	s_or_b32 exec_lo, exec_lo, s0
	v_cmp_gt_u32_e32 vcc_lo, 32, v0
	s_waitcnt lgkmcnt(0)
	s_barrier
	buffer_gl0_inv
	s_and_saveexec_b32 s0, vcc_lo
	s_cbranch_execz .LBB126_54
; %bb.53:
	ds_read_b32 v0, v2
	s_waitcnt lgkmcnt(0)
	v_add_f32_e32 v19, v19, v0
.LBB126_54:
	s_or_b32 exec_lo, exec_lo, s0
	s_barrier
	buffer_gl0_inv
	s_and_saveexec_b32 s0, vcc_lo
	s_cbranch_execz .LBB126_56
; %bb.55:
	s_lshl_b32 s0, s2, 5
	s_mul_i32 s2, s7, s10
	s_ashr_i32 s1, s0, 31
	v_bfe_u32 v0, v19, 16, 1
	s_lshl_b64 s[0:1], s[0:1], 1
	v_or_b32_e32 v1, 0x400000, v19
	s_add_u32 s4, s24, s0
	s_addc_u32 s5, s25, s1
	s_ashr_i32 s3, s2, 31
	v_add3_u32 v0, v0, v19, 0x7fff
	s_lshl_b64 s[0:1], s[2:3], 1
	v_cmp_u_f32_e32 vcc_lo, v19, v19
	s_add_u32 s2, s4, s0
	s_addc_u32 s3, s5, s1
	s_lshl_b32 s0, s8, 5
	v_lshlrev_b32_e32 v2, 1, v18
	s_ashr_i32 s1, s0, 31
	v_cndmask_b32_e32 v0, v0, v1, vcc_lo
	s_lshl_b64 s[0:1], s[0:1], 1
	s_add_u32 s0, s2, s0
	s_addc_u32 s1, s3, s1
	global_store_short_d16_hi v2, v0, s[0:1]
.LBB126_56:
	s_endpgm
	.section	.rodata,"a",@progbits
	.p2align	6, 0x0
	.amdhsa_kernel _ZN4vllm25paged_attention_v2_kernelI14__hip_bfloat16S1_Li32ELi8ELi128ELNS_18Fp8KVCacheDataTypeE0ELb1ELi512EEEvPfS3_PT_PKS4_PKT0_SA_ifPKiSC_iPKfiiiSE_SE_iiiii
		.amdhsa_group_segment_fixed_size 96
		.amdhsa_private_segment_fixed_size 0
		.amdhsa_kernarg_size 400
		.amdhsa_user_sgpr_count 6
		.amdhsa_user_sgpr_private_segment_buffer 1
		.amdhsa_user_sgpr_dispatch_ptr 0
		.amdhsa_user_sgpr_queue_ptr 0
		.amdhsa_user_sgpr_kernarg_segment_ptr 1
		.amdhsa_user_sgpr_dispatch_id 0
		.amdhsa_user_sgpr_flat_scratch_init 0
		.amdhsa_user_sgpr_private_segment_size 0
		.amdhsa_wavefront_size32 1
		.amdhsa_uses_dynamic_stack 0
		.amdhsa_system_sgpr_private_segment_wavefront_offset 0
		.amdhsa_system_sgpr_workgroup_id_x 1
		.amdhsa_system_sgpr_workgroup_id_y 1
		.amdhsa_system_sgpr_workgroup_id_z 1
		.amdhsa_system_sgpr_workgroup_info 0
		.amdhsa_system_vgpr_workitem_id 0
		.amdhsa_next_free_vgpr 35
		.amdhsa_next_free_sgpr 46
		.amdhsa_reserve_vcc 1
		.amdhsa_reserve_flat_scratch 0
		.amdhsa_float_round_mode_32 0
		.amdhsa_float_round_mode_16_64 0
		.amdhsa_float_denorm_mode_32 3
		.amdhsa_float_denorm_mode_16_64 3
		.amdhsa_dx10_clamp 1
		.amdhsa_ieee_mode 1
		.amdhsa_fp16_overflow 0
		.amdhsa_workgroup_processor_mode 1
		.amdhsa_memory_ordered 1
		.amdhsa_forward_progress 1
		.amdhsa_shared_vgpr_count 0
		.amdhsa_exception_fp_ieee_invalid_op 0
		.amdhsa_exception_fp_denorm_src 0
		.amdhsa_exception_fp_ieee_div_zero 0
		.amdhsa_exception_fp_ieee_overflow 0
		.amdhsa_exception_fp_ieee_underflow 0
		.amdhsa_exception_fp_ieee_inexact 0
		.amdhsa_exception_int_div_zero 0
	.end_amdhsa_kernel
	.section	.text._ZN4vllm25paged_attention_v2_kernelI14__hip_bfloat16S1_Li32ELi8ELi128ELNS_18Fp8KVCacheDataTypeE0ELb1ELi512EEEvPfS3_PT_PKS4_PKT0_SA_ifPKiSC_iPKfiiiSE_SE_iiiii,"axG",@progbits,_ZN4vllm25paged_attention_v2_kernelI14__hip_bfloat16S1_Li32ELi8ELi128ELNS_18Fp8KVCacheDataTypeE0ELb1ELi512EEEvPfS3_PT_PKS4_PKT0_SA_ifPKiSC_iPKfiiiSE_SE_iiiii,comdat
.Lfunc_end126:
	.size	_ZN4vllm25paged_attention_v2_kernelI14__hip_bfloat16S1_Li32ELi8ELi128ELNS_18Fp8KVCacheDataTypeE0ELb1ELi512EEEvPfS3_PT_PKS4_PKT0_SA_ifPKiSC_iPKfiiiSE_SE_iiiii, .Lfunc_end126-_ZN4vllm25paged_attention_v2_kernelI14__hip_bfloat16S1_Li32ELi8ELi128ELNS_18Fp8KVCacheDataTypeE0ELb1ELi512EEEvPfS3_PT_PKS4_PKT0_SA_ifPKiSC_iPKfiiiSE_SE_iiiii
                                        ; -- End function
	.set _ZN4vllm25paged_attention_v2_kernelI14__hip_bfloat16S1_Li32ELi8ELi128ELNS_18Fp8KVCacheDataTypeE0ELb1ELi512EEEvPfS3_PT_PKS4_PKT0_SA_ifPKiSC_iPKfiiiSE_SE_iiiii.num_vgpr, 35
	.set _ZN4vllm25paged_attention_v2_kernelI14__hip_bfloat16S1_Li32ELi8ELi128ELNS_18Fp8KVCacheDataTypeE0ELb1ELi512EEEvPfS3_PT_PKS4_PKT0_SA_ifPKiSC_iPKfiiiSE_SE_iiiii.num_agpr, 0
	.set _ZN4vllm25paged_attention_v2_kernelI14__hip_bfloat16S1_Li32ELi8ELi128ELNS_18Fp8KVCacheDataTypeE0ELb1ELi512EEEvPfS3_PT_PKS4_PKT0_SA_ifPKiSC_iPKfiiiSE_SE_iiiii.numbered_sgpr, 46
	.set _ZN4vllm25paged_attention_v2_kernelI14__hip_bfloat16S1_Li32ELi8ELi128ELNS_18Fp8KVCacheDataTypeE0ELb1ELi512EEEvPfS3_PT_PKS4_PKT0_SA_ifPKiSC_iPKfiiiSE_SE_iiiii.num_named_barrier, 0
	.set _ZN4vllm25paged_attention_v2_kernelI14__hip_bfloat16S1_Li32ELi8ELi128ELNS_18Fp8KVCacheDataTypeE0ELb1ELi512EEEvPfS3_PT_PKS4_PKT0_SA_ifPKiSC_iPKfiiiSE_SE_iiiii.private_seg_size, 0
	.set _ZN4vllm25paged_attention_v2_kernelI14__hip_bfloat16S1_Li32ELi8ELi128ELNS_18Fp8KVCacheDataTypeE0ELb1ELi512EEEvPfS3_PT_PKS4_PKT0_SA_ifPKiSC_iPKfiiiSE_SE_iiiii.uses_vcc, 1
	.set _ZN4vllm25paged_attention_v2_kernelI14__hip_bfloat16S1_Li32ELi8ELi128ELNS_18Fp8KVCacheDataTypeE0ELb1ELi512EEEvPfS3_PT_PKS4_PKT0_SA_ifPKiSC_iPKfiiiSE_SE_iiiii.uses_flat_scratch, 0
	.set _ZN4vllm25paged_attention_v2_kernelI14__hip_bfloat16S1_Li32ELi8ELi128ELNS_18Fp8KVCacheDataTypeE0ELb1ELi512EEEvPfS3_PT_PKS4_PKT0_SA_ifPKiSC_iPKfiiiSE_SE_iiiii.has_dyn_sized_stack, 0
	.set _ZN4vllm25paged_attention_v2_kernelI14__hip_bfloat16S1_Li32ELi8ELi128ELNS_18Fp8KVCacheDataTypeE0ELb1ELi512EEEvPfS3_PT_PKS4_PKT0_SA_ifPKiSC_iPKfiiiSE_SE_iiiii.has_recursion, 0
	.set _ZN4vllm25paged_attention_v2_kernelI14__hip_bfloat16S1_Li32ELi8ELi128ELNS_18Fp8KVCacheDataTypeE0ELb1ELi512EEEvPfS3_PT_PKS4_PKT0_SA_ifPKiSC_iPKfiiiSE_SE_iiiii.has_indirect_call, 0
	.section	.AMDGPU.csdata,"",@progbits
; Kernel info:
; codeLenInByte = 4596
; TotalNumSgprs: 48
; NumVgprs: 35
; ScratchSize: 0
; MemoryBound: 0
; FloatMode: 240
; IeeeMode: 1
; LDSByteSize: 96 bytes/workgroup (compile time only)
; SGPRBlocks: 0
; VGPRBlocks: 4
; NumSGPRsForWavesPerEU: 48
; NumVGPRsForWavesPerEU: 35
; Occupancy: 16
; WaveLimiterHint : 1
; COMPUTE_PGM_RSRC2:SCRATCH_EN: 0
; COMPUTE_PGM_RSRC2:USER_SGPR: 6
; COMPUTE_PGM_RSRC2:TRAP_HANDLER: 0
; COMPUTE_PGM_RSRC2:TGID_X_EN: 1
; COMPUTE_PGM_RSRC2:TGID_Y_EN: 1
; COMPUTE_PGM_RSRC2:TGID_Z_EN: 1
; COMPUTE_PGM_RSRC2:TIDIG_COMP_CNT: 0
	.section	.text._ZN4vllm32paged_attention_v2_reduce_kernelI14__hip_bfloat16Li32ELi128ELi512EEEvPT_PKfS5_PKS2_PKii,"axG",@progbits,_ZN4vllm32paged_attention_v2_reduce_kernelI14__hip_bfloat16Li32ELi128ELi512EEEvPT_PKfS5_PKS2_PKii,comdat
	.protected	_ZN4vllm32paged_attention_v2_reduce_kernelI14__hip_bfloat16Li32ELi128ELi512EEEvPT_PKfS5_PKS2_PKii ; -- Begin function _ZN4vllm32paged_attention_v2_reduce_kernelI14__hip_bfloat16Li32ELi128ELi512EEEvPT_PKfS5_PKS2_PKii
	.globl	_ZN4vllm32paged_attention_v2_reduce_kernelI14__hip_bfloat16Li32ELi128ELi512EEEvPT_PKfS5_PKS2_PKii
	.p2align	8
	.type	_ZN4vllm32paged_attention_v2_reduce_kernelI14__hip_bfloat16Li32ELi128ELi512EEEvPT_PKfS5_PKS2_PKii,@function
_ZN4vllm32paged_attention_v2_reduce_kernelI14__hip_bfloat16Li32ELi128ELi512EEEvPT_PKfS5_PKS2_PKii: ; @_ZN4vllm32paged_attention_v2_reduce_kernelI14__hip_bfloat16Li32ELi128ELi512EEEvPT_PKfS5_PKS2_PKii
; %bb.0:
	s_load_dwordx4 s[8:11], s[4:5], 0x18
	s_add_u32 s14, s4, 48
	s_mov_b32 s12, s7
	s_addc_u32 s15, s5, 0
	s_ashr_i32 s13, s7, 31
	s_lshl_b64 s[0:1], s[12:13], 2
	s_waitcnt lgkmcnt(0)
	s_add_u32 s0, s10, s0
	s_addc_u32 s1, s11, s1
	s_load_dword s22, s[0:1], 0x0
	s_clause 0x2
	s_load_dwordx2 s[10:11], s[4:5], 0x0
	s_load_dword s7, s[4:5], 0x28
	s_load_dword s13, s[4:5], 0x30
	s_waitcnt lgkmcnt(0)
	s_add_i32 s0, s22, -1
	s_cmpk_gt_u32 s0, 0x1ff
	s_mov_b32 s0, -1
	s_cbranch_scc0 .LBB127_26
; %bb.1:
	s_load_dwordx2 s[2:3], s[4:5], 0x8
	s_add_i32 s0, s22, 0x1ff
	s_mul_i32 s20, s13, s12
	s_ashr_i32 s1, s0, 31
	v_mov_b32_e32 v4, 0xff7fffff
	s_lshr_b32 s1, s1, 23
	v_lshlrev_b32_e32 v3, 2, v0
	s_add_i32 s0, s0, s1
	s_mul_i32 s16, s20, s7
	s_ashr_i32 s21, s0, 9
	s_mul_i32 s18, s7, s6
	v_cmp_gt_i32_e32 vcc_lo, s21, v0
	s_ashr_i32 s17, s16, 31
	s_ashr_i32 s19, s18, 31
	s_and_saveexec_b32 s1, vcc_lo
	s_cbranch_execz .LBB127_5
; %bb.2:
	s_load_dword s0, s[14:15], 0xc
	s_load_dwordx2 s[24:25], s[4:5], 0x10
	s_lshl_b64 s[26:27], s[16:17], 2
	s_lshl_b64 s[28:29], s[18:19], 2
	v_add_nc_u32_e32 v5, 32, v3
	v_mov_b32_e32 v4, 0xff7fffff
	v_mov_b32_e32 v6, v0
	s_waitcnt lgkmcnt(0)
	s_and_b32 s4, s0, 0xffff
	s_add_u32 s0, s26, s28
	s_addc_u32 s5, s27, s29
	s_add_u32 s0, s24, s0
	s_addc_u32 s5, s25, s5
	v_add_co_u32 v1, s0, s0, v3
	v_add_co_ci_u32_e64 v2, null, s5, 0, s0
	s_mov_b32 s5, 0
	s_lshl_b32 s23, s4, 2
	.p2align	6
.LBB127_3:                              ; =>This Inner Loop Header: Depth=1
	global_load_dword v7, v[1:2], off
	v_add_nc_u32_e32 v6, s4, v6
	v_max_f32_e32 v4, v4, v4
	v_add_co_u32 v1, s0, v1, s23
	v_add_co_ci_u32_e64 v2, null, 0, v2, s0
	v_cmp_le_i32_e64 s0, s21, v6
	s_or_b32 s5, s0, s5
	s_waitcnt vmcnt(0)
	v_max_f32_e32 v8, v7, v7
	ds_write_b32 v5, v7
	v_add_nc_u32_e32 v5, s23, v5
	v_max_f32_e32 v4, v4, v8
	s_andn2_b32 exec_lo, exec_lo, s5
	s_cbranch_execnz .LBB127_3
; %bb.4:
	s_or_b32 exec_lo, exec_lo, s5
.LBB127_5:
	s_or_b32 exec_lo, exec_lo, s1
	v_mbcnt_lo_u32_b32 v1, -1, 0
	s_waitcnt lgkmcnt(0)
	s_barrier
	buffer_gl0_inv
	v_xor_b32_e32 v2, 16, v1
	v_xor_b32_e32 v5, 8, v1
	v_cmp_gt_i32_e64 s0, 32, v2
	v_cndmask_b32_e64 v2, v1, v2, s0
	v_cmp_gt_i32_e64 s0, 32, v5
	v_lshlrev_b32_e32 v6, 2, v2
	v_cndmask_b32_e64 v5, v1, v5, s0
	ds_bpermute_b32 v2, v6, v4
	v_max_f32_e32 v4, v4, v4
	v_lshlrev_b32_e32 v7, 2, v5
	v_xor_b32_e32 v5, 4, v1
	v_cmp_gt_i32_e64 s0, 32, v5
	v_cndmask_b32_e64 v5, v1, v5, s0
	v_lshlrev_b32_e32 v8, 2, v5
	v_xor_b32_e32 v5, 2, v1
	s_waitcnt lgkmcnt(0)
	v_max_f32_e32 v2, v2, v2
	v_cmp_gt_i32_e64 s0, 32, v5
	v_max_f32_e32 v2, v4, v2
	v_cndmask_b32_e64 v5, v1, v5, s0
	ds_bpermute_b32 v4, v7, v2
	s_waitcnt lgkmcnt(0)
	v_max_f32_e32 v4, v4, v4
	v_max_f32_e32 v2, v2, v4
	ds_bpermute_b32 v4, v8, v2
	s_waitcnt lgkmcnt(0)
	v_max_f32_e32 v9, v4, v4
	v_lshlrev_b32_e32 v4, 2, v5
	v_max_f32_e32 v2, v2, v9
	v_xor_b32_e32 v9, 1, v1
	ds_bpermute_b32 v5, v4, v2
	v_cmp_gt_i32_e64 s0, 32, v9
	v_cndmask_b32_e64 v1, v1, v9, s0
	v_lshrrev_b32_e32 v9, 5, v0
	v_lshlrev_b32_e32 v9, 2, v9
	s_waitcnt lgkmcnt(0)
	v_max_f32_e32 v5, v5, v5
	v_max_f32_e32 v2, v2, v5
	v_lshlrev_b32_e32 v5, 2, v1
	v_and_b32_e32 v1, 31, v0
	ds_bpermute_b32 v10, v5, v2
	v_cmp_eq_u32_e64 s0, 0, v1
	s_and_saveexec_b32 s1, s0
	s_cbranch_execz .LBB127_7
; %bb.6:
	s_waitcnt lgkmcnt(0)
	v_max_f32_e32 v10, v10, v10
	v_max_f32_e32 v2, v2, v2
	v_max_f32_e32 v2, v2, v10
	ds_write_b32 v9, v2
.LBB127_7:
	s_or_b32 exec_lo, exec_lo, s1
	v_cmp_gt_u32_e64 s1, 4, v1
	v_mov_b32_e32 v2, 0xff7fffff
	s_waitcnt lgkmcnt(0)
	v_lshlrev_b32_e32 v10, 2, v1
	s_barrier
	buffer_gl0_inv
	s_and_saveexec_b32 s4, s1
; %bb.8:
	ds_read_b32 v2, v10
; %bb.9:
	s_or_b32 exec_lo, exec_lo, s4
	s_waitcnt lgkmcnt(0)
	ds_bpermute_b32 v1, v4, v2
	v_max_f32_e32 v2, v2, v2
	v_mov_b32_e32 v11, 0
	s_lshl_b32 s4, s21, 2
	s_waitcnt lgkmcnt(0)
	v_max_f32_e32 v1, v1, v1
	v_max_f32_e32 v1, v2, v1
	ds_bpermute_b32 v2, v5, v1
	s_waitcnt lgkmcnt(0)
	v_max_f32_e32 v2, v2, v2
	v_max_f32_e32 v1, v1, v2
	ds_bpermute_b32 v12, v11, v1
	s_and_saveexec_b32 s5, vcc_lo
	s_cbranch_execz .LBB127_13
; %bb.10:
	s_load_dword s23, s[14:15], 0xc
	s_lshl_b64 s[24:25], s[16:17], 2
	s_lshl_b64 s[26:27], s[18:19], 2
	v_mov_b32_e32 v11, 0
	v_add_nc_u32_e32 v13, 32, v3
	s_waitcnt lgkmcnt(0)
	s_and_b32 s17, s23, 0xffff
	s_add_u32 s19, s24, s26
	s_addc_u32 s23, s25, s27
	s_add_u32 s2, s2, s19
	s_addc_u32 s3, s3, s23
	v_add_co_u32 v1, s2, s2, v3
	v_add_co_ci_u32_e64 v2, null, s3, 0, s2
	v_mov_b32_e32 v3, v0
	s_mov_b32 s3, 0
	s_lshl_b32 s19, s17, 2
	s_inst_prefetch 0x1
	.p2align	6
.LBB127_11:                             ; =>This Inner Loop Header: Depth=1
	global_load_dword v14, v[1:2], off
	ds_read_b32 v15, v13
	v_add_nc_u32_e32 v3, s17, v3
	s_waitcnt lgkmcnt(0)
	v_sub_f32_e32 v15, v15, v12
	v_mul_f32_e32 v16, 0x3fb8aa3b, v15
	v_cmp_ngt_f32_e32 vcc_lo, 0xc2ce8ed0, v15
	v_cmp_nlt_f32_e64 s2, 0x42b17218, v15
	v_fma_f32 v17, 0x3fb8aa3b, v15, -v16
	v_rndne_f32_e32 v18, v16
	v_fmac_f32_e32 v17, 0x32a5705f, v15
	v_sub_f32_e32 v16, v16, v18
	v_add_f32_e32 v16, v16, v17
	v_cvt_i32_f32_e32 v17, v18
	v_exp_f32_e32 v16, v16
	v_ldexp_f32 v16, v16, v17
	v_add_nc_u32_e32 v17, s4, v13
	v_add_nc_u32_e32 v13, s19, v13
	v_cndmask_b32_e32 v16, 0, v16, vcc_lo
	v_add_co_u32 v1, vcc_lo, v1, s19
	v_add_co_ci_u32_e64 v2, null, 0, v2, vcc_lo
	v_cndmask_b32_e64 v15, 0x7f800000, v16, s2
	v_cmp_le_i32_e32 vcc_lo, s21, v3
	s_or_b32 s3, vcc_lo, s3
	s_waitcnt vmcnt(0)
	v_mul_f32_e32 v16, v14, v15
	v_fmac_f32_e32 v11, v14, v15
	ds_write_b32 v17, v16
	s_andn2_b32 exec_lo, exec_lo, s3
	s_cbranch_execnz .LBB127_11
; %bb.12:
	s_inst_prefetch 0x2
	s_or_b32 exec_lo, exec_lo, s3
.LBB127_13:
	s_or_b32 exec_lo, exec_lo, s5
	ds_bpermute_b32 v1, v6, v11
	s_waitcnt lgkmcnt(0)
	s_barrier
	buffer_gl0_inv
	v_add_f32_e32 v1, v11, v1
	ds_bpermute_b32 v2, v7, v1
	s_waitcnt lgkmcnt(0)
	v_add_f32_e32 v1, v1, v2
	ds_bpermute_b32 v2, v8, v1
	s_waitcnt lgkmcnt(0)
	;; [unrolled: 3-line block ×4, first 2 shown]
	v_add_f32_e32 v1, v1, v2
	s_and_saveexec_b32 s2, s0
; %bb.14:
	ds_write_b32 v9, v1 offset:16
; %bb.15:
	s_or_b32 exec_lo, exec_lo, s2
	s_waitcnt lgkmcnt(0)
	s_barrier
	buffer_gl0_inv
	s_and_saveexec_b32 s0, s1
; %bb.16:
	ds_read_b32 v1, v10 offset:16
; %bb.17:
	s_or_b32 exec_lo, exec_lo, s0
	s_waitcnt lgkmcnt(0)
	ds_bpermute_b32 v2, v4, v1
	s_mov_b32 s0, exec_lo
	s_waitcnt lgkmcnt(0)
	v_add_f32_e32 v1, v1, v2
	ds_bpermute_b32 v2, v5, v1
	s_waitcnt lgkmcnt(0)
	v_add_f32_e32 v1, v1, v2
	v_mov_b32_e32 v2, 0
	ds_bpermute_b32 v2, v2, v1
	v_cmpx_gt_u32_e32 32, v0
	s_cbranch_execz .LBB127_25
; %bb.18:
	s_cmp_gt_i32 s22, 0
	s_mov_b32 s1, 0
	s_cbranch_scc1 .LBB127_20
; %bb.19:
	v_mov_b32_e32 v1, 0
	v_mov_b32_e32 v3, 0
	s_andn2_b32 vcc_lo, exec_lo, s1
	s_cbranch_vccz .LBB127_21
	s_branch .LBB127_24
.LBB127_20:
	v_mov_b32_e32 v3, 0
.LBB127_21:
	s_waitcnt lgkmcnt(0)
	v_add_f32_e32 v4, 0x358637bd, v2
	s_lshl_b32 s16, s16, 5
	s_lshl_b32 s18, s18, 5
	s_ashr_i32 s17, s16, 31
	s_ashr_i32 s19, s18, 31
	v_div_scale_f32 v2, null, v4, v4, 1.0
	v_div_scale_f32 v5, vcc_lo, 1.0, v4, 1.0
	s_add_i32 s2, s4, 32
	v_rcp_f32_e32 v3, v2
	s_lshl_b64 s[4:5], s[16:17], 1
	s_lshl_b64 s[16:17], s[18:19], 1
	s_max_i32 s1, s21, 1
	s_add_u32 s3, s4, s16
	s_addc_u32 s4, s5, s17
	s_add_u32 s3, s8, s3
	s_addc_u32 s4, s9, s4
	v_fma_f32 v1, -v2, v3, 1.0
	v_fmac_f32_e32 v3, v1, v3
	v_mov_b32_e32 v1, 0
	v_mul_f32_e32 v6, v5, v3
	v_fma_f32 v7, -v2, v6, v5
	v_fmac_f32_e32 v6, v7, v3
	v_lshlrev_b32_e32 v7, 1, v0
	v_fma_f32 v2, -v2, v6, v5
	v_div_fmas_f32 v5, v2, v3, v6
	v_add_co_u32 v2, s3, s3, v7
	v_add_co_ci_u32_e64 v3, null, s4, 0, s3
	v_div_fixup_f32 v4, v5, v4, 1.0
	v_mov_b32_e32 v5, v1
.LBB127_22:                             ; =>This Inner Loop Header: Depth=1
	global_load_ushort v6, v[2:3], off
	v_mov_b32_e32 v7, s2
	v_add_co_u32 v2, vcc_lo, v2, 64
	v_add_co_ci_u32_e64 v3, null, 0, v3, vcc_lo
	ds_read_b32 v7, v7
	s_add_i32 s1, s1, -1
	s_add_i32 s2, s2, 4
	s_cmp_eq_u32 s1, 0
	s_waitcnt vmcnt(0)
	v_lshlrev_b32_e32 v6, 16, v6
	s_waitcnt lgkmcnt(0)
	v_mul_f32_e32 v6, v7, v6
	v_fmac_f32_e32 v5, v4, v6
	s_cbranch_scc0 .LBB127_22
; %bb.23:
	v_bfe_u32 v2, v5, 16, 1
	v_or_b32_e32 v3, 0x400000, v5
	v_cmp_u_f32_e32 vcc_lo, v5, v5
	v_add3_u32 v2, v2, v5, 0x7fff
	v_cndmask_b32_e32 v2, v2, v3, vcc_lo
	v_lshrrev_b32_e32 v3, 16, v2
.LBB127_24:
	s_lshl_b32 s2, s20, 5
	s_waitcnt lgkmcnt(0)
	v_lshlrev_b64 v[1:2], 1, v[0:1]
	s_ashr_i32 s3, s2, 31
	s_lshl_b64 s[2:3], s[2:3], 1
	s_add_u32 s1, s10, s2
	s_addc_u32 s4, s11, s3
	s_lshl_b32 s2, s6, 5
	s_ashr_i32 s3, s2, 31
	s_lshl_b64 s[2:3], s[2:3], 1
	s_add_u32 s1, s1, s2
	s_addc_u32 s2, s4, s3
	v_add_co_u32 v1, vcc_lo, s1, v1
	v_add_co_ci_u32_e64 v2, null, s2, v2, vcc_lo
	global_store_short v[1:2], v3, off
.LBB127_25:
	s_or_b32 exec_lo, exec_lo, s0
	s_mov_b32 s0, 0
.LBB127_26:
	s_and_b32 vcc_lo, exec_lo, s0
	s_cbranch_vccz .LBB127_35
; %bb.27:
	s_mov_b32 s0, exec_lo
	v_cmpx_gt_u32_e32 32, v0
	s_cbranch_execz .LBB127_35
; %bb.28:
	s_load_dword s0, s[14:15], 0xc
	s_mul_i32 s13, s13, s12
	s_mul_i32 s1, s7, s6
	s_mul_i32 s7, s7, s13
	s_lshl_b32 s2, s6, 5
	s_lshl_b32 s12, s13, 5
	;; [unrolled: 1-line block ×4, first 2 shown]
	v_cmp_gt_u32_e32 vcc_lo, 29, v0
	s_ashr_i32 s3, s2, 31
	s_ashr_i32 s13, s12, 31
	;; [unrolled: 1-line block ×4, first 2 shown]
	s_waitcnt lgkmcnt(0)
	s_and_b32 s1, s0, 0xffff
	s_cmp_eq_u32 s1, 1
	s_cselect_b32 s0, -1, 0
	s_and_b32 s15, vcc_lo, s0
	s_mov_b32 s0, -1
	s_and_saveexec_b32 s14, s15
	s_cbranch_execz .LBB127_32
; %bb.29:
	s_lshl_b64 s[16:17], s[6:7], 1
	s_lshl_b64 s[18:19], s[4:5], 1
	v_lshlrev_b32_e32 v1, 1, v0
	s_add_u32 s0, s16, s18
	s_addc_u32 s15, s17, s19
	s_add_u32 s0, s8, s0
	s_addc_u32 s15, s9, s15
	s_lshl_b64 s[16:17], s[12:13], 1
	s_lshl_b64 s[18:19], s[2:3], 1
	v_add_co_u32 v2, s0, s0, v1
	v_add_co_ci_u32_e64 v3, null, s15, 0, s0
	s_add_u32 s0, s16, s18
	v_sub_nc_u32_e32 v5, 32, v0
	s_addc_u32 s15, s17, s19
	s_add_u32 s0, s10, s0
	s_addc_u32 s15, s11, s15
	v_add_co_u32 v4, s0, s0, v1
	v_and_b32_e32 v6, 60, v5
	v_add_co_ci_u32_e64 v7, null, s15, 0, s0
	v_add_co_u32 v1, vcc_lo, v2, 4
	v_add_co_ci_u32_e64 v2, null, 0, v3, vcc_lo
	v_add_co_u32 v3, vcc_lo, v4, 4
	v_add_co_ci_u32_e64 v4, null, 0, v7, vcc_lo
	v_mov_b32_e32 v7, v6
	s_mov_b32 s15, 0
	.p2align	6
.LBB127_30:                             ; =>This Inner Loop Header: Depth=1
	global_load_dwordx2 v[8:9], v[1:2], off offset:-4
	v_add_nc_u32_e32 v7, -4, v7
	v_add_co_u32 v1, vcc_lo, v1, 8
	v_add_co_ci_u32_e64 v2, null, 0, v2, vcc_lo
	v_cmp_eq_u32_e32 vcc_lo, 0, v7
	s_or_b32 s15, vcc_lo, s15
	s_waitcnt vmcnt(0)
	global_store_dwordx2 v[3:4], v[8:9], off offset:-4
	v_add_co_u32 v3, s0, v3, 8
	v_add_co_ci_u32_e64 v4, null, 0, v4, s0
	s_andn2_b32 exec_lo, exec_lo, s15
	s_cbranch_execnz .LBB127_30
; %bb.31:
	s_or_b32 exec_lo, exec_lo, s15
	v_cmp_ne_u32_e32 vcc_lo, v5, v6
	v_add_nc_u32_e32 v0, v0, v6
	s_orn2_b32 s0, vcc_lo, exec_lo
.LBB127_32:
	s_or_b32 exec_lo, exec_lo, s14
	s_and_b32 exec_lo, exec_lo, s0
	s_cbranch_execz .LBB127_35
; %bb.33:
	s_lshl_b64 s[12:13], s[12:13], 1
	v_lshlrev_b32_e32 v1, 1, v0
	s_add_u32 s0, s10, s12
	s_addc_u32 s10, s11, s13
	s_lshl_b64 s[2:3], s[2:3], 1
	v_mov_b32_e32 v2, 0
	s_add_u32 s2, s0, s2
	s_addc_u32 s3, s10, s3
	s_lshl_b64 s[6:7], s[6:7], 1
	s_add_u32 s0, s8, s6
	s_addc_u32 s6, s9, s7
	s_lshl_b64 s[4:5], s[4:5], 1
	s_add_u32 s4, s0, s4
	s_addc_u32 s5, s6, s5
	s_mov_b32 s6, 0
	s_lshl_b32 s7, s1, 1
	.p2align	6
.LBB127_34:                             ; =>This Inner Loop Header: Depth=1
	v_add_co_u32 v3, vcc_lo, s4, v1
	v_add_co_ci_u32_e64 v4, null, s5, v2, vcc_lo
	v_add_nc_u32_e32 v0, s1, v0
	global_load_ushort v5, v[3:4], off
	v_add_co_u32 v3, vcc_lo, s2, v1
	v_add_co_ci_u32_e64 v4, null, s3, v2, vcc_lo
	v_cmp_lt_u32_e32 vcc_lo, 31, v0
	v_add_co_u32 v1, s0, v1, s7
	v_add_co_ci_u32_e64 v2, null, 0, v2, s0
	s_or_b32 s6, vcc_lo, s6
	s_waitcnt vmcnt(0)
	global_store_short v[3:4], v5, off
	s_andn2_b32 exec_lo, exec_lo, s6
	s_cbranch_execnz .LBB127_34
.LBB127_35:
	s_endpgm
	.section	.rodata,"a",@progbits
	.p2align	6, 0x0
	.amdhsa_kernel _ZN4vllm32paged_attention_v2_reduce_kernelI14__hip_bfloat16Li32ELi128ELi512EEEvPT_PKfS5_PKS2_PKii
		.amdhsa_group_segment_fixed_size 32
		.amdhsa_private_segment_fixed_size 0
		.amdhsa_kernarg_size 304
		.amdhsa_user_sgpr_count 6
		.amdhsa_user_sgpr_private_segment_buffer 1
		.amdhsa_user_sgpr_dispatch_ptr 0
		.amdhsa_user_sgpr_queue_ptr 0
		.amdhsa_user_sgpr_kernarg_segment_ptr 1
		.amdhsa_user_sgpr_dispatch_id 0
		.amdhsa_user_sgpr_flat_scratch_init 0
		.amdhsa_user_sgpr_private_segment_size 0
		.amdhsa_wavefront_size32 1
		.amdhsa_uses_dynamic_stack 0
		.amdhsa_system_sgpr_private_segment_wavefront_offset 0
		.amdhsa_system_sgpr_workgroup_id_x 1
		.amdhsa_system_sgpr_workgroup_id_y 1
		.amdhsa_system_sgpr_workgroup_id_z 0
		.amdhsa_system_sgpr_workgroup_info 0
		.amdhsa_system_vgpr_workitem_id 0
		.amdhsa_next_free_vgpr 19
		.amdhsa_next_free_sgpr 30
		.amdhsa_reserve_vcc 1
		.amdhsa_reserve_flat_scratch 0
		.amdhsa_float_round_mode_32 0
		.amdhsa_float_round_mode_16_64 0
		.amdhsa_float_denorm_mode_32 3
		.amdhsa_float_denorm_mode_16_64 3
		.amdhsa_dx10_clamp 1
		.amdhsa_ieee_mode 1
		.amdhsa_fp16_overflow 0
		.amdhsa_workgroup_processor_mode 1
		.amdhsa_memory_ordered 1
		.amdhsa_forward_progress 1
		.amdhsa_shared_vgpr_count 0
		.amdhsa_exception_fp_ieee_invalid_op 0
		.amdhsa_exception_fp_denorm_src 0
		.amdhsa_exception_fp_ieee_div_zero 0
		.amdhsa_exception_fp_ieee_overflow 0
		.amdhsa_exception_fp_ieee_underflow 0
		.amdhsa_exception_fp_ieee_inexact 0
		.amdhsa_exception_int_div_zero 0
	.end_amdhsa_kernel
	.section	.text._ZN4vllm32paged_attention_v2_reduce_kernelI14__hip_bfloat16Li32ELi128ELi512EEEvPT_PKfS5_PKS2_PKii,"axG",@progbits,_ZN4vllm32paged_attention_v2_reduce_kernelI14__hip_bfloat16Li32ELi128ELi512EEEvPT_PKfS5_PKS2_PKii,comdat
.Lfunc_end127:
	.size	_ZN4vllm32paged_attention_v2_reduce_kernelI14__hip_bfloat16Li32ELi128ELi512EEEvPT_PKfS5_PKS2_PKii, .Lfunc_end127-_ZN4vllm32paged_attention_v2_reduce_kernelI14__hip_bfloat16Li32ELi128ELi512EEEvPT_PKfS5_PKS2_PKii
                                        ; -- End function
	.set _ZN4vllm32paged_attention_v2_reduce_kernelI14__hip_bfloat16Li32ELi128ELi512EEEvPT_PKfS5_PKS2_PKii.num_vgpr, 19
	.set _ZN4vllm32paged_attention_v2_reduce_kernelI14__hip_bfloat16Li32ELi128ELi512EEEvPT_PKfS5_PKS2_PKii.num_agpr, 0
	.set _ZN4vllm32paged_attention_v2_reduce_kernelI14__hip_bfloat16Li32ELi128ELi512EEEvPT_PKfS5_PKS2_PKii.numbered_sgpr, 30
	.set _ZN4vllm32paged_attention_v2_reduce_kernelI14__hip_bfloat16Li32ELi128ELi512EEEvPT_PKfS5_PKS2_PKii.num_named_barrier, 0
	.set _ZN4vllm32paged_attention_v2_reduce_kernelI14__hip_bfloat16Li32ELi128ELi512EEEvPT_PKfS5_PKS2_PKii.private_seg_size, 0
	.set _ZN4vllm32paged_attention_v2_reduce_kernelI14__hip_bfloat16Li32ELi128ELi512EEEvPT_PKfS5_PKS2_PKii.uses_vcc, 1
	.set _ZN4vllm32paged_attention_v2_reduce_kernelI14__hip_bfloat16Li32ELi128ELi512EEEvPT_PKfS5_PKS2_PKii.uses_flat_scratch, 0
	.set _ZN4vllm32paged_attention_v2_reduce_kernelI14__hip_bfloat16Li32ELi128ELi512EEEvPT_PKfS5_PKS2_PKii.has_dyn_sized_stack, 0
	.set _ZN4vllm32paged_attention_v2_reduce_kernelI14__hip_bfloat16Li32ELi128ELi512EEEvPT_PKfS5_PKS2_PKii.has_recursion, 0
	.set _ZN4vllm32paged_attention_v2_reduce_kernelI14__hip_bfloat16Li32ELi128ELi512EEEvPT_PKfS5_PKS2_PKii.has_indirect_call, 0
	.section	.AMDGPU.csdata,"",@progbits
; Kernel info:
; codeLenInByte = 2332
; TotalNumSgprs: 32
; NumVgprs: 19
; ScratchSize: 0
; MemoryBound: 0
; FloatMode: 240
; IeeeMode: 1
; LDSByteSize: 32 bytes/workgroup (compile time only)
; SGPRBlocks: 0
; VGPRBlocks: 2
; NumSGPRsForWavesPerEU: 32
; NumVGPRsForWavesPerEU: 19
; Occupancy: 16
; WaveLimiterHint : 0
; COMPUTE_PGM_RSRC2:SCRATCH_EN: 0
; COMPUTE_PGM_RSRC2:USER_SGPR: 6
; COMPUTE_PGM_RSRC2:TRAP_HANDLER: 0
; COMPUTE_PGM_RSRC2:TGID_X_EN: 1
; COMPUTE_PGM_RSRC2:TGID_Y_EN: 1
; COMPUTE_PGM_RSRC2:TGID_Z_EN: 0
; COMPUTE_PGM_RSRC2:TIDIG_COMP_CNT: 0
	.section	.text._ZN4vllm25paged_attention_v2_kernelI14__hip_bfloat16S1_Li64ELi8ELi128ELNS_18Fp8KVCacheDataTypeE0ELb1ELi512EEEvPfS3_PT_PKS4_PKT0_SA_ifPKiSC_iPKfiiiSE_SE_iiiii,"axG",@progbits,_ZN4vllm25paged_attention_v2_kernelI14__hip_bfloat16S1_Li64ELi8ELi128ELNS_18Fp8KVCacheDataTypeE0ELb1ELi512EEEvPfS3_PT_PKS4_PKT0_SA_ifPKiSC_iPKfiiiSE_SE_iiiii,comdat
	.protected	_ZN4vllm25paged_attention_v2_kernelI14__hip_bfloat16S1_Li64ELi8ELi128ELNS_18Fp8KVCacheDataTypeE0ELb1ELi512EEEvPfS3_PT_PKS4_PKT0_SA_ifPKiSC_iPKfiiiSE_SE_iiiii ; -- Begin function _ZN4vllm25paged_attention_v2_kernelI14__hip_bfloat16S1_Li64ELi8ELi128ELNS_18Fp8KVCacheDataTypeE0ELb1ELi512EEEvPfS3_PT_PKS4_PKT0_SA_ifPKiSC_iPKfiiiSE_SE_iiiii
	.globl	_ZN4vllm25paged_attention_v2_kernelI14__hip_bfloat16S1_Li64ELi8ELi128ELNS_18Fp8KVCacheDataTypeE0ELb1ELi512EEEvPfS3_PT_PKS4_PKT0_SA_ifPKiSC_iPKfiiiSE_SE_iiiii
	.p2align	8
	.type	_ZN4vllm25paged_attention_v2_kernelI14__hip_bfloat16S1_Li64ELi8ELi128ELNS_18Fp8KVCacheDataTypeE0ELb1ELi512EEEvPfS3_PT_PKS4_PKT0_SA_ifPKiSC_iPKfiiiSE_SE_iiiii,@function
_ZN4vllm25paged_attention_v2_kernelI14__hip_bfloat16S1_Li64ELi8ELi128ELNS_18Fp8KVCacheDataTypeE0ELb1ELi512EEEvPfS3_PT_PKS4_PKT0_SA_ifPKiSC_iPKfiiiSE_SE_iiiii: ; @_ZN4vllm25paged_attention_v2_kernelI14__hip_bfloat16S1_Li64ELi8ELi128ELNS_18Fp8KVCacheDataTypeE0ELb1ELi512EEEvPfS3_PT_PKS4_PKT0_SA_ifPKiSC_iPKfiiiSE_SE_iiiii
; %bb.0:
	s_load_dwordx2 s[0:1], s[4:5], 0x40
	s_mov_b32 s26, s7
	s_ashr_i32 s27, s7, 31
	s_lshl_b64 s[2:3], s[26:27], 2
	s_waitcnt lgkmcnt(0)
	s_add_u32 s0, s0, s2
	s_addc_u32 s1, s1, s3
	s_lshl_b32 s39, s8, 9
	s_load_dword s27, s[0:1], 0x0
	s_waitcnt lgkmcnt(0)
	s_cmp_ge_i32 s39, s27
	s_cbranch_scc1 .LBB128_58
; %bb.1:
	s_clause 0x1
	s_load_dword s9, s[4:5], 0x90
	s_load_dwordx2 s[36:37], s[4:5], 0x30
	s_mov_b32 s41, 0
	s_waitcnt lgkmcnt(0)
	s_abs_i32 s3, s9
	s_abs_i32 s0, s36
	v_cvt_f32_u32_e32 v1, s0
	s_sub_i32 s2, 0, s0
	v_rcp_iflag_f32_e32 v1, v1
	v_mul_f32_e32 v1, 0x4f7ffffe, v1
	v_cvt_u32_f32_e32 v1, v1
	v_readfirstlane_b32 s1, v1
	s_mul_i32 s2, s2, s1
	s_mul_hi_u32 s2, s1, s2
	s_add_i32 s1, s1, s2
	s_xor_b32 s2, s9, s36
	s_mul_hi_u32 s1, s3, s1
	s_ashr_i32 s2, s2, 31
	s_mul_i32 s7, s1, s0
	s_sub_i32 s3, s3, s7
	s_add_i32 s7, s1, 1
	s_sub_i32 s10, s3, s0
	s_cmp_ge_u32 s3, s0
	s_cselect_b32 s1, s7, s1
	s_cselect_b32 s3, s10, s3
	s_add_i32 s7, s1, 1
	s_cmp_ge_u32 s3, s0
	s_cselect_b32 s0, s7, s1
	s_xor_b32 s0, s0, s2
	s_sub_i32 s10, s0, s2
	s_load_dwordx2 s[0:1], s[4:5], 0x50
	s_abs_i32 s2, s10
	v_cvt_f32_u32_e32 v1, s2
	s_sub_i32 s3, 0, s2
	v_rcp_iflag_f32_e32 v1, v1
	v_mul_f32_e32 v1, 0x4f7ffffe, v1
	v_cvt_u32_f32_e32 v1, v1
	v_readfirstlane_b32 s7, v1
	s_mul_i32 s3, s3, s7
	s_mul_hi_u32 s11, s7, s3
	s_abs_i32 s3, s6
	s_add_i32 s7, s7, s11
	s_waitcnt lgkmcnt(0)
	s_cmp_eq_u64 s[0:1], 0
	s_mul_hi_u32 s20, s3, s7
	s_cbranch_scc1 .LBB128_3
; %bb.2:
	s_ashr_i32 s7, s6, 31
	s_lshl_b64 s[12:13], s[6:7], 2
	s_add_u32 s0, s0, s12
	s_addc_u32 s1, s1, s13
	s_load_dword s41, s[0:1], 0x0
.LBB128_3:
	s_load_dwordx4 s[12:15], s[4:5], 0x58
	v_and_b32_e32 v1, 3, v0
	v_cmp_gt_u32_e64 s0, 32, v0
	v_lshlrev_b32_e32 v2, 2, v0
	s_ashr_i32 s1, s6, 31
	s_ashr_i32 s7, s10, 31
	s_lshl_b32 s10, s6, 6
	s_waitcnt lgkmcnt(0)
	s_and_saveexec_b32 s15, s0
	s_cbranch_execz .LBB128_5
; %bb.4:
	s_load_dwordx2 s[16:17], s[4:5], 0x18
	s_mul_i32 s18, s12, s26
	v_and_b32_e32 v4, 0x3fc, v0
	s_ashr_i32 s19, s18, 31
	s_lshl_b64 s[18:19], s[18:19], 1
	v_lshl_add_u32 v4, v1, 5, v4
	s_waitcnt lgkmcnt(0)
	s_add_u32 s12, s16, s18
	s_addc_u32 s18, s17, s19
	s_ashr_i32 s11, s10, 31
	s_lshl_b64 s[16:17], s[10:11], 1
	s_add_u32 s16, s12, s16
	s_addc_u32 s17, s18, s17
	global_load_dword v3, v2, s[16:17]
	s_waitcnt vmcnt(0)
	ds_write_b32 v4, v3
.LBB128_5:
	s_or_b32 exec_lo, exec_lo, s15
	s_load_dwordx4 s[16:19], s[4:5], 0x78
	s_mul_i32 s11, s20, s2
	s_xor_b32 s1, s1, s7
	s_sub_i32 s3, s3, s11
	s_add_i32 s7, s20, 1
	s_sub_i32 s11, s3, s2
	s_cmp_ge_u32 s3, s2
	s_mov_b32 s15, -1
	s_cselect_b32 s7, s7, s20
	s_cselect_b32 s3, s11, s3
	s_add_i32 s11, s7, 1
	s_cmp_ge_u32 s3, s2
                                        ; implicit-def: $sgpr38
	s_cselect_b32 s2, s11, s7
	s_load_dword s7, s[4:5], 0x88
	s_xor_b32 s2, s2, s1
	s_add_i32 s12, s27, -1
	s_sub_i32 s2, s2, s1
	s_abs_i32 s3, s12
	s_waitcnt lgkmcnt(0)
	s_abs_i32 s11, s19
	s_barrier
	v_cvt_f32_u32_e32 v3, s11
	s_sub_i32 s1, 0, s11
	buffer_gl0_inv
	v_rcp_iflag_f32_e32 v3, v3
	v_mul_f32_e32 v3, 0x4f7ffffe, v3
	v_cvt_u32_f32_e32 v3, v3
	v_readfirstlane_b32 s33, v3
	s_mul_i32 s1, s1, s33
	s_mul_hi_u32 s1, s33, s1
	s_add_i32 s33, s33, s1
	s_cmp_lt_i32 s7, 0
	s_mul_hi_u32 s1, s3, s33
	s_cbranch_scc0 .LBB128_7
; %bb.6:
	s_mul_i32 s15, s16, s36
	s_add_i32 s15, s2, s15
	s_mul_i32 s15, s15, s7
	s_sub_i32 s38, 1, s15
	s_mov_b32 s15, 0
.LBB128_7:
	s_load_dwordx2 s[28:29], s[4:5], 0x38
	s_ashr_i32 s12, s12, 31
	s_andn2_b32 vcc_lo, exec_lo, s15
	s_ashr_i32 s19, s19, 31
	s_cbranch_vccnz .LBB128_9
; %bb.8:
	s_mul_i32 s15, s9, s16
	s_add_i32 s15, s15, s6
	s_mul_i32 s7, s15, s7
	s_add_i32 s38, s7, 1
.LBB128_9:
	s_clause 0x4
	s_load_dword s15, s[4:5], 0x48
	s_load_dwordx2 s[34:35], s[4:5], 0x28
	s_load_dword s7, s[4:5], 0x98
	s_load_dwordx4 s[20:23], s[4:5], 0x0
	s_load_dwordx2 s[24:25], s[4:5], 0x10
	s_xor_b32 s40, s12, s19
	s_mul_i32 s12, s1, s11
	s_add_i32 s16, s1, 1
	s_sub_i32 s3, s3, s12
	v_lshrrev_b32_e32 v20, 5, v0
	s_sub_i32 s12, s3, s11
	v_mov_b32_e32 v4, 0xff7fffff
	v_mbcnt_lo_u32_b32 v3, -1, 0
	s_mul_i32 s14, s2, s14
	v_lshl_add_u32 v21, v20, 3, s39
	s_waitcnt lgkmcnt(0)
	s_mul_i32 s30, s15, s26
	s_ashr_i32 s31, s30, 31
	s_cmp_ge_u32 s3, s11
	s_cselect_b32 s1, s16, s1
	s_cselect_b32 s3, s12, s3
	s_add_i32 s12, s1, 1
	s_cmp_ge_u32 s3, s11
	s_cselect_b32 s1, s12, s1
	s_add_i32 s3, s27, 7
	s_lshl_b32 s12, s8, 6
	s_ashr_i32 s15, s3, 31
	v_or_b32_e32 v17, s12, v20
	s_lshr_b32 s15, s15, 29
	s_add_i32 s3, s3, s15
	s_add_i32 s15, s12, 64
	s_ashr_i32 s36, s3, 3
	s_xor_b32 s3, s1, s40
	s_min_i32 s16, s15, s36
	v_ashrrev_i32_e32 v18, 31, v17
	v_cmp_gt_i32_e64 s1, s16, v17
	s_sub_i32 s40, s3, s40
	s_and_saveexec_b32 s42, s1
	s_cbranch_execz .LBB128_21
; %bb.10:
	s_load_dwordx2 s[2:3], s[4:5], 0x20
	s_ashr_i32 s15, s14, 31
	s_sub_i32 s5, s40, s17
	s_lshl_b64 s[44:45], s[14:15], 1
	v_bfe_u32 v5, v0, 2, 3
	v_cmp_eq_u32_e32 vcc_lo, 0, v1
	v_and_b32_e32 v13, 12, v2
	v_lshlrev_b32_e32 v6, 5, v1
	v_lshlrev_b64 v[1:2], 2, v[17:18]
	v_lshlrev_b32_e32 v11, 2, v5
	v_subrev_nc_u32_e32 v14, s27, v5
	v_lshlrev_b32_e32 v19, 4, v5
	v_lshl_add_u32 v7, v20, 3, s39
	v_mov_b32_e32 v8, 0xff7fffff
	v_lshl_or_b32 v15, v20, 5, v11
	v_add_nc_u32_e32 v11, 1, v14
	v_xor_b32_e32 v9, 2, v3
	v_xor_b32_e32 v10, 1, v3
	s_waitcnt lgkmcnt(0)
	s_add_u32 s4, s2, s44
	s_addc_u32 s3, s3, s45
	s_abs_i32 s15, s18
	s_lshl_b64 s[44:45], s[30:31], 2
	v_cvt_f32_u32_e32 v4, s15
	s_sub_i32 s43, 0, s15
	v_cmp_neq_f32_e64 s2, s41, 0
	v_rcp_iflag_f32_e32 v4, v4
	v_mul_f32_e32 v12, 0x4f7ffffe, v4
	v_mov_b32_e32 v4, 0xff7fffff
	v_cvt_u32_f32_e32 v16, v12
	v_add_nc_u32_e32 v12, 0xa0, v15
	v_add_co_u32 v15, s4, s4, v19
	v_add_co_ci_u32_e64 v19, null, s3, 0, s4
	v_mul_lo_u32 v14, s43, v16
	s_add_u32 s3, s28, s44
	s_addc_u32 s4, s29, s45
	v_add_co_u32 v1, s3, s3, v1
	v_add_co_ci_u32_e64 v2, null, s4, v2, s3
	v_add_co_u32 v13, s3, v15, v13
	v_mul_hi_u32 v22, v16, v14
	v_add_co_ci_u32_e64 v14, null, 0, v19, s3
	s_mov_b32 s43, 0
	s_mov_b32 s44, s13
	v_add_nc_u32_e32 v15, v16, v22
	v_mov_b32_e32 v16, v17
	s_branch .LBB128_13
.LBB128_11:                             ;   in Loop: Header=BB128_13 Depth=1
	s_or_b32 exec_lo, exec_lo, s45
.LBB128_12:                             ;   in Loop: Header=BB128_13 Depth=1
	s_or_b32 exec_lo, exec_lo, s4
	v_add_nc_u32_e32 v16, 4, v16
	v_add_co_u32 v1, s4, v1, 16
	v_add_co_ci_u32_e64 v2, null, 0, v2, s4
	v_cmp_le_i32_e64 s3, s16, v16
	v_add_nc_u32_e32 v7, 32, v7
	v_add_nc_u32_e32 v12, 0x80, v12
	s_or_b32 s43, s3, s43
	s_andn2_b32 exec_lo, exec_lo, s43
	s_cbranch_execz .LBB128_20
.LBB128_13:                             ; =>This Inner Loop Header: Depth=1
	v_sub_nc_u32_e32 v19, 0, v7
	v_max_i32_e32 v19, v7, v19
	s_waitcnt lgkmcnt(0)
	v_mul_hi_u32 v22, v19, s33
	v_mul_lo_u32 v23, v22, s11
	v_sub_nc_u32_e32 v19, v19, v23
	v_add_nc_u32_e32 v23, 1, v22
	v_subrev_nc_u32_e32 v24, s11, v19
	v_cmp_le_u32_e64 s3, s11, v19
	v_cndmask_b32_e64 v22, v22, v23, s3
	v_cndmask_b32_e64 v19, v19, v24, s3
	v_ashrrev_i32_e32 v23, 31, v7
	v_add_nc_u32_e32 v24, 1, v22
	v_cmp_le_u32_e64 s3, s11, v19
	v_xor_b32_e32 v23, s19, v23
	v_cndmask_b32_e64 v19, v22, v24, s3
	v_xor_b32_e32 v19, v19, v23
	v_sub_nc_u32_e32 v19, v19, v23
	v_add_nc_u32_e32 v22, s38, v19
	v_cmp_ge_i32_e64 s4, s5, v19
	v_sub_nc_u32_e32 v23, 0, v22
	v_max_i32_e32 v23, v22, v23
	v_ashrrev_i32_e32 v22, 31, v22
	v_mul_hi_u32 v24, v23, v15
	v_mul_lo_u32 v24, v24, s15
	v_sub_nc_u32_e32 v23, v23, v24
	v_subrev_nc_u32_e32 v24, s15, v23
	v_cmp_le_u32_e64 s3, s15, v23
	v_cndmask_b32_e64 v23, v23, v24, s3
	v_subrev_nc_u32_e32 v24, s15, v23
	v_cmp_le_u32_e64 s3, s15, v23
	v_cndmask_b32_e64 v23, v23, v24, s3
	v_xor_b32_e32 v23, v23, v22
	v_sub_nc_u32_e32 v22, v23, v22
	v_cmp_ne_u32_e64 s3, 0, v22
	s_and_b32 s3, s3, s4
	s_and_saveexec_b32 s4, s3
	s_xor_b32 s3, exec_lo, s4
	s_cbranch_execz .LBB128_17
; %bb.14:                               ;   in Loop: Header=BB128_13 Depth=1
	s_and_saveexec_b32 s4, vcc_lo
; %bb.15:                               ;   in Loop: Header=BB128_13 Depth=1
	ds_write_b32 v12, v8
; %bb.16:                               ;   in Loop: Header=BB128_13 Depth=1
	s_or_b32 exec_lo, exec_lo, s4
.LBB128_17:                             ;   in Loop: Header=BB128_13 Depth=1
	s_andn2_saveexec_b32 s4, s3
	s_cbranch_execz .LBB128_12
; %bb.18:                               ;   in Loop: Header=BB128_13 Depth=1
	global_load_dword v19, v[1:2], off
	s_waitcnt vmcnt(0)
	v_mad_i64_i32 v[22:23], null, v19, s44, 0
	v_lshlrev_b64 v[22:23], 1, v[22:23]
	v_add_co_u32 v22, s3, v13, v22
	v_add_co_ci_u32_e64 v23, null, v14, v23, s3
	v_cmp_gt_i32_e64 s3, 32, v9
	s_clause 0x7
	global_load_dword v19, v[22:23], off offset:128
	global_load_dword v30, v[22:23], off
	global_load_dword v31, v[22:23], off offset:256
	global_load_dword v32, v[22:23], off offset:384
	;; [unrolled: 1-line block ×6, first 2 shown]
	ds_read_b128 v[22:25], v6
	ds_read_b128 v[26:29], v6 offset:16
	s_waitcnt lgkmcnt(1)
	v_lshlrev_b32_e32 v38, 16, v23
	v_and_b32_e32 v23, 0xffff0000, v23
	v_lshlrev_b32_e32 v37, 16, v22
	v_and_b32_e32 v22, 0xffff0000, v22
	v_lshlrev_b32_e32 v39, 16, v24
	v_lshlrev_b32_e32 v40, 16, v25
	s_waitcnt lgkmcnt(0)
	v_lshlrev_b32_e32 v41, 16, v26
	v_lshlrev_b32_e32 v42, 16, v27
	;; [unrolled: 1-line block ×4, first 2 shown]
	s_waitcnt vmcnt(7)
	v_lshlrev_b32_e32 v45, 16, v19
	v_and_b32_e32 v19, 0xffff0000, v19
	s_waitcnt vmcnt(6)
	v_lshlrev_b32_e32 v46, 16, v30
	v_and_b32_e32 v30, 0xffff0000, v30
	v_mul_f32_e32 v38, v38, v45
	v_mul_f32_e32 v19, v23, v19
	v_and_b32_e32 v23, 0xffff0000, v24
	s_waitcnt vmcnt(5)
	v_lshlrev_b32_e32 v24, 16, v31
	v_and_b32_e32 v31, 0xffff0000, v31
	v_fmac_f32_e32 v38, v37, v46
	v_fmac_f32_e32 v19, v22, v30
	v_and_b32_e32 v22, 0xffff0000, v25
	s_waitcnt vmcnt(4)
	v_lshlrev_b32_e32 v25, 16, v32
	v_and_b32_e32 v30, 0xffff0000, v32
	v_fmac_f32_e32 v38, v39, v24
	v_fmac_f32_e32 v19, v23, v31
	;; [unrolled: 6-line block ×6, first 2 shown]
	v_cndmask_b32_e64 v23, v3, v9, s3
	v_cmp_gt_i32_e64 s3, 32, v10
	v_fmac_f32_e32 v38, v44, v25
	v_fmac_f32_e32 v19, v22, v27
	v_lshlrev_b32_e32 v22, 2, v23
	v_cndmask_b32_e64 v23, v3, v10, s3
	v_add_f32_e32 v19, v38, v19
	v_lshlrev_b32_e32 v23, 2, v23
	ds_bpermute_b32 v22, v22, v19
	s_waitcnt lgkmcnt(0)
	v_add_f32_e32 v19, v19, v22
	ds_bpermute_b32 v22, v23, v19
	s_and_saveexec_b32 s45, vcc_lo
	s_cbranch_execz .LBB128_11
; %bb.19:                               ;   in Loop: Header=BB128_13 Depth=1
	v_add_nc_u32_e32 v23, v11, v7
	s_waitcnt lgkmcnt(0)
	v_add_f32_e32 v19, v19, v22
	v_cvt_f32_i32_e32 v23, v23
	v_mul_f32_e32 v23, s41, v23
	v_cndmask_b32_e64 v22, 0, v23, s2
	v_max_f32_e32 v23, v4, v4
	v_fmac_f32_e32 v22, s37, v19
	v_add_nc_u32_e32 v19, v5, v7
	v_max_f32_e32 v23, v23, v22
	v_cmp_gt_i32_e64 s3, s27, v19
	v_cndmask_b32_e64 v19, 0, v22, s3
	v_cndmask_b32_e64 v4, v4, v23, s3
	ds_write_b32 v12, v19
	s_branch .LBB128_11
.LBB128_20:
	s_or_b32 exec_lo, exec_lo, s43
.LBB128_21:
	s_or_b32 exec_lo, exec_lo, s42
	v_xor_b32_e32 v1, 16, v3
	v_xor_b32_e32 v5, 8, v3
	v_max_f32_e32 v6, v4, v4
	s_waitcnt lgkmcnt(0)
	v_and_b32_e32 v22, 31, v0
	v_cmp_gt_i32_e32 vcc_lo, 32, v1
	v_cndmask_b32_e32 v1, v3, v1, vcc_lo
	v_cmp_gt_i32_e32 vcc_lo, 32, v5
	v_lshlrev_b32_e32 v2, 2, v1
	ds_bpermute_b32 v1, v2, v4
	v_cndmask_b32_e32 v4, v3, v5, vcc_lo
	v_lshlrev_b32_e32 v4, 2, v4
	s_waitcnt lgkmcnt(0)
	v_max_f32_e32 v1, v1, v1
	v_max_f32_e32 v1, v6, v1
	v_xor_b32_e32 v6, 4, v3
	ds_bpermute_b32 v5, v4, v1
	v_cmp_gt_i32_e32 vcc_lo, 32, v6
	v_cndmask_b32_e32 v6, v3, v6, vcc_lo
	v_cmp_eq_u32_e32 vcc_lo, 0, v22
	v_lshlrev_b32_e32 v7, 2, v6
	s_waitcnt lgkmcnt(0)
	v_max_f32_e32 v5, v5, v5
	v_max_f32_e32 v1, v1, v5
	v_lshlrev_b32_e32 v5, 2, v20
	ds_bpermute_b32 v6, v7, v1
	s_and_saveexec_b32 s2, vcc_lo
	s_cbranch_execz .LBB128_23
; %bb.22:
	s_waitcnt lgkmcnt(0)
	v_max_f32_e32 v6, v6, v6
	v_max_f32_e32 v1, v1, v1
	;; [unrolled: 1-line block ×3, first 2 shown]
	ds_write_b32 v5, v1 offset:128
.LBB128_23:
	s_or_b32 exec_lo, exec_lo, s2
	v_cmp_gt_u32_e64 s2, 4, v22
	v_mov_b32_e32 v1, 0xff7fffff
	s_waitcnt lgkmcnt(0)
	v_lshlrev_b32_e32 v6, 2, v22
	s_barrier
	buffer_gl0_inv
	s_and_saveexec_b32 s3, s2
; %bb.24:
	ds_read_b32 v1, v6 offset:128
; %bb.25:
	s_or_b32 exec_lo, exec_lo, s3
	v_xor_b32_e32 v8, 2, v3
	v_xor_b32_e32 v10, 1, v3
	v_cmp_gt_i32_e64 s3, 32, v8
	v_cndmask_b32_e64 v8, v3, v8, s3
	v_cmp_gt_i32_e64 s3, 32, v10
	v_lshlrev_b32_e32 v8, 2, v8
	v_cndmask_b32_e64 v3, v3, v10, s3
	s_sub_i32 s3, s16, s12
	s_lshl_b32 s3, s3, 3
	s_waitcnt lgkmcnt(0)
	ds_bpermute_b32 v9, v8, v1
	v_max_f32_e32 v1, v1, v1
	s_add_i32 s3, s3, s39
	s_min_i32 s3, s3, s27
	s_sub_i32 s5, s3, s39
	v_cmp_gt_i32_e64 s3, s5, v0
	s_waitcnt lgkmcnt(0)
	v_max_f32_e32 v10, v9, v9
	v_lshlrev_b32_e32 v9, 2, v3
	v_max_f32_e32 v1, v1, v10
	v_mov_b32_e32 v10, 0
	ds_bpermute_b32 v3, v9, v1
	s_waitcnt lgkmcnt(0)
	v_max_f32_e32 v3, v3, v3
	v_max_f32_e32 v1, v1, v3
	v_lshl_add_u32 v3, v0, 2, 0xa0
	ds_bpermute_b32 v1, v10, v1
	s_and_saveexec_b32 s15, s3
	s_cbranch_execz .LBB128_29
; %bb.26:
	v_lshl_add_u32 v11, v0, 2, 0xa0
	v_mov_b32_e32 v10, 0
	v_mov_b32_e32 v12, v0
	s_mov_b32 s37, 0
	.p2align	6
.LBB128_27:                             ; =>This Inner Loop Header: Depth=1
	ds_read_b32 v13, v11
	v_add_nc_u32_e32 v12, 0x80, v12
	v_cmp_le_i32_e64 s4, s5, v12
	s_or_b32 s37, s4, s37
	s_waitcnt lgkmcnt(0)
	v_sub_f32_e32 v13, v13, v1
	v_mul_f32_e32 v13, 0x3fb8aa3b, v13
	v_exp_f32_e32 v13, v13
	ds_write_b32 v11, v13
	v_add_f32_e32 v10, v10, v13
	v_add_nc_u32_e32 v11, 0x200, v11
	s_andn2_b32 exec_lo, exec_lo, s37
	s_cbranch_execnz .LBB128_27
; %bb.28:
	s_or_b32 exec_lo, exec_lo, s37
.LBB128_29:
	s_or_b32 exec_lo, exec_lo, s15
	ds_bpermute_b32 v2, v2, v10
	s_waitcnt lgkmcnt(0)
	v_add_f32_e32 v2, v10, v2
	ds_bpermute_b32 v4, v4, v2
	s_waitcnt lgkmcnt(0)
	v_add_f32_e32 v2, v2, v4
	;; [unrolled: 3-line block ×5, first 2 shown]
	s_and_saveexec_b32 s4, vcc_lo
; %bb.30:
	ds_write_b32 v5, v2 offset:144
; %bb.31:
	s_or_b32 exec_lo, exec_lo, s4
	s_waitcnt lgkmcnt(0)
	s_barrier
	buffer_gl0_inv
	s_and_saveexec_b32 s4, s2
; %bb.32:
	ds_read_b32 v2, v6 offset:144
; %bb.33:
	s_or_b32 exec_lo, exec_lo, s4
	s_waitcnt lgkmcnt(0)
	ds_bpermute_b32 v4, v8, v2
	s_waitcnt lgkmcnt(0)
	v_add_f32_e32 v2, v2, v4
	ds_bpermute_b32 v4, v9, v2
	s_waitcnt lgkmcnt(0)
	v_add_f32_e32 v2, v2, v4
	v_mov_b32_e32 v4, 0
	ds_bpermute_b32 v2, v4, v2
	s_and_saveexec_b32 s2, s3
	s_cbranch_execz .LBB128_36
; %bb.34:
	s_waitcnt lgkmcnt(0)
	v_add_f32_e32 v4, 0x358637bd, v2
	s_mov_b32 s3, 0
	v_div_scale_f32 v5, null, v4, v4, 1.0
	v_div_scale_f32 v8, vcc_lo, 1.0, v4, 1.0
	v_rcp_f32_e32 v6, v5
	v_fma_f32 v7, -v5, v6, 1.0
	v_fmac_f32_e32 v6, v7, v6
	v_mul_f32_e32 v7, v8, v6
	v_fma_f32 v9, -v5, v7, v8
	v_fmac_f32_e32 v7, v9, v6
	v_fma_f32 v5, -v5, v7, v8
	v_div_fmas_f32 v5, v5, v6, v7
	v_div_fixup_f32 v4, v5, v4, 1.0
	v_mov_b32_e32 v5, v0
.LBB128_35:                             ; =>This Inner Loop Header: Depth=1
	ds_read_b32 v6, v3
	v_add_nc_u32_e32 v5, 0x80, v5
	v_cmp_le_i32_e32 vcc_lo, s5, v5
	s_or_b32 s3, vcc_lo, s3
	s_waitcnt lgkmcnt(0)
	v_mul_f32_e32 v6, v4, v6
	ds_write_b32 v3, v6
	v_add_nc_u32_e32 v3, 0x200, v3
	s_andn2_b32 exec_lo, exec_lo, s3
	s_cbranch_execnz .LBB128_35
.LBB128_36:
	s_or_b32 exec_lo, exec_lo, s2
	s_mul_i32 s2, s7, s26
	s_waitcnt lgkmcnt(0)
	s_mul_i32 s4, s2, s9
	s_mov_b32 s2, exec_lo
	s_barrier
	buffer_gl0_inv
	v_cmpx_eq_u32_e32 0, v0
	s_cbranch_execz .LBB128_38
; %bb.37:
	s_ashr_i32 s5, s4, 31
	s_mul_i32 s44, s7, s6
	s_lshl_b64 s[42:43], s[4:5], 2
	v_mov_b32_e32 v3, 0
	s_add_u32 s3, s22, s42
	s_addc_u32 s5, s23, s43
	s_ashr_i32 s45, s44, 31
	s_lshl_b64 s[22:23], s[44:45], 2
	s_add_u32 s3, s3, s22
	s_addc_u32 s5, s5, s23
	s_ashr_i32 s9, s8, 31
	s_lshl_b64 s[8:9], s[8:9], 2
	s_add_u32 s44, s3, s8
	s_addc_u32 s45, s5, s9
	s_add_u32 s3, s20, s42
	s_addc_u32 s5, s21, s43
	;; [unrolled: 2-line block ×4, first 2 shown]
	global_store_dword v3, v1, s[44:45]
	global_store_dword v3, v2, s[8:9]
.LBB128_38:
	s_or_b32 exec_lo, exec_lo, s2
	v_mov_b32_e32 v24, 0
	v_mov_b32_e32 v23, 0
	s_and_saveexec_b32 s5, s1
	s_cbranch_execz .LBB128_48
; %bb.39:
	s_ashr_i32 s15, s14, 31
	s_sub_i32 s6, s40, s17
	s_lshl_b64 s[2:3], s[14:15], 1
	v_lshlrev_b32_e32 v5, 4, v22
	s_add_u32 s1, s34, s2
	s_addc_u32 s9, s35, s3
	s_abs_i32 s8, s18
	s_add_i32 s36, s36, -1
	v_cvt_f32_u32_e32 v1, s8
	s_sub_i32 s2, 0, s8
	v_add_co_u32 v27, s1, s1, v5
	v_add_co_ci_u32_e64 v28, null, s9, 0, s1
	v_rcp_iflag_f32_e32 v1, v1
	v_mov_b32_e32 v25, 0
	v_lshl_add_u32 v26, v20, 5, 0xa0
	v_mov_b32_e32 v23, 0
	v_mov_b32_e32 v24, 0
	s_mov_b32 s9, s13
	s_mov_b32 s14, s27
	;; [unrolled: 1-line block ×3, first 2 shown]
	v_mul_f32_e32 v1, 0x4f7ffffe, v1
	v_cvt_u32_f32_e32 v3, v1
	v_lshlrev_b64 v[1:2], 2, v[17:18]
	v_mul_lo_u32 v4, s2, v3
	s_lshl_b64 s[2:3], s[30:31], 2
	s_add_u32 s1, s28, s2
	s_addc_u32 s2, s29, s3
	v_add_co_u32 v18, vcc_lo, s1, v1
	v_add_co_ci_u32_e64 v19, null, s2, v2, vcc_lo
	v_mul_hi_u32 v4, v3, v4
	v_add_nc_u32_e32 v29, v3, v4
	s_branch .LBB128_42
.LBB128_40:                             ;   in Loop: Header=BB128_42 Depth=1
	s_or_b32 exec_lo, exec_lo, s3
	s_waitcnt lgkmcnt(1)
	v_bfe_u32 v30, v13, 16, 1
	v_or_b32_e32 v31, 0x400000, v13
	v_bfe_u32 v32, v14, 16, 1
	v_cmp_u_f32_e32 vcc_lo, v13, v13
	v_bfe_u32 v33, v15, 16, 1
	v_add3_u32 v30, v30, v13, 0x7fff
	v_or_b32_e32 v34, 0x400000, v14
	v_add3_u32 v32, v32, v14, 0x7fff
	v_or_b32_e32 v35, 0x400000, v15
	v_add3_u32 v33, v33, v15, 0x7fff
	v_cndmask_b32_e32 v13, v30, v31, vcc_lo
	v_cmp_u_f32_e32 vcc_lo, v14, v14
	v_bfe_u32 v30, v16, 16, 1
	s_waitcnt lgkmcnt(0)
	v_bfe_u32 v31, v9, 16, 1
	v_and_b32_e32 v13, 0xffff0000, v13
	v_cndmask_b32_e32 v14, v32, v34, vcc_lo
	v_cmp_u_f32_e32 vcc_lo, v15, v15
	v_add3_u32 v30, v30, v16, 0x7fff
	v_or_b32_e32 v32, 0x400000, v16
	v_add3_u32 v31, v31, v9, 0x7fff
	v_bfe_u32 v34, v10, 16, 1
	v_cndmask_b32_e32 v15, v33, v35, vcc_lo
	v_cmp_u_f32_e32 vcc_lo, v16, v16
	v_or_b32_e32 v33, 0x400000, v9
	v_and_b32_e32 v14, 0xffff0000, v14
	v_and_b32_e32 v15, 0xffff0000, v15
	v_cndmask_b32_e32 v16, v30, v32, vcc_lo
	v_cmp_u_f32_e32 vcc_lo, v9, v9
	v_add3_u32 v30, v34, v10, 0x7fff
	v_bfe_u32 v32, v11, 16, 1
	s_waitcnt vmcnt(1)
	v_lshlrev_b32_e32 v34, 16, v6
	v_and_b32_e32 v16, 0xffff0000, v16
	v_cndmask_b32_e32 v9, v31, v33, vcc_lo
	v_or_b32_e32 v31, 0x400000, v10
	v_lshlrev_b32_e32 v33, 16, v5
	v_cmp_u_f32_e32 vcc_lo, v10, v10
	v_and_b32_e32 v5, 0xffff0000, v5
	v_mul_f32_e32 v34, v15, v34
	v_and_b32_e32 v6, 0xffff0000, v6
	v_mul_f32_e32 v33, v13, v33
	v_cndmask_b32_e32 v10, v30, v31, vcc_lo
	v_add3_u32 v30, v32, v11, 0x7fff
	v_or_b32_e32 v31, 0x400000, v11
	v_bfe_u32 v32, v12, 16, 1
	v_cmp_u_f32_e32 vcc_lo, v11, v11
	v_mul_f32_e32 v5, v14, v5
	v_mul_f32_e32 v6, v16, v6
	v_and_b32_e32 v9, 0xffff0000, v9
	v_or_b32_e32 v36, 0x400000, v34
	v_cndmask_b32_e32 v11, v30, v31, vcc_lo
	v_add3_u32 v30, v32, v12, 0x7fff
	v_or_b32_e32 v31, 0x400000, v12
	v_bfe_u32 v32, v33, 16, 1
	v_cmp_u_f32_e32 vcc_lo, v12, v12
	v_or_b32_e32 v35, 0x400000, v5
	v_bfe_u32 v37, v6, 16, 1
	v_and_b32_e32 v10, 0xffff0000, v10
	v_and_b32_e32 v11, 0xffff0000, v11
	v_cndmask_b32_e32 v12, v30, v31, vcc_lo
	v_add3_u32 v30, v32, v33, 0x7fff
	v_or_b32_e32 v31, 0x400000, v33
	v_bfe_u32 v32, v5, 16, 1
	v_cmp_u_f32_e32 vcc_lo, v33, v33
	v_lshlrev_b32_e32 v33, 16, v7
	v_and_b32_e32 v7, 0xffff0000, v7
	v_and_b32_e32 v12, 0xffff0000, v12
	v_cndmask_b32_e32 v30, v30, v31, vcc_lo
	v_add3_u32 v31, v32, v5, 0x7fff
	v_bfe_u32 v32, v34, 16, 1
	v_cmp_u_f32_e32 vcc_lo, v5, v5
	v_mul_f32_e32 v33, v9, v33
	v_mul_f32_e32 v7, v10, v7
	v_and_b32_e32 v30, 0xffff0000, v30
	v_add3_u32 v32, v32, v34, 0x7fff
	v_cndmask_b32_e32 v5, v31, v35, vcc_lo
	v_cmp_u_f32_e32 vcc_lo, v34, v34
	v_bfe_u32 v34, v33, 16, 1
	v_lshlrev_b32_e32 v35, 16, v8
	v_and_b32_e32 v8, 0xffff0000, v8
	v_and_b32_e32 v5, 0xffff0000, v5
	v_cndmask_b32_e32 v31, v32, v36, vcc_lo
	v_add3_u32 v32, v37, v6, 0x7fff
	v_or_b32_e32 v36, 0x400000, v6
	v_cmp_u_f32_e32 vcc_lo, v6, v6
	v_add3_u32 v34, v34, v33, 0x7fff
	v_or_b32_e32 v37, 0x400000, v33
	v_mul_f32_e32 v35, v11, v35
	v_mul_f32_e32 v8, v12, v8
	v_cndmask_b32_e32 v6, v32, v36, vcc_lo
	v_bfe_u32 v32, v7, 16, 1
	v_cmp_u_f32_e32 vcc_lo, v33, v33
	v_or_b32_e32 v36, 0x400000, v7
	v_and_b32_e32 v31, 0xffff0000, v31
	v_and_b32_e32 v6, 0xffff0000, v6
	v_add3_u32 v32, v32, v7, 0x7fff
	v_cndmask_b32_e32 v33, v34, v37, vcc_lo
	v_bfe_u32 v34, v35, 16, 1
	v_cmp_u_f32_e32 vcc_lo, v7, v7
	v_or_b32_e32 v37, 0x400000, v35
	v_add_f32_e32 v5, v30, v5
	v_add_f32_e32 v6, v31, v6
	v_add3_u32 v34, v34, v35, 0x7fff
	v_cndmask_b32_e32 v7, v32, v36, vcc_lo
	v_cmp_u_f32_e32 vcc_lo, v35, v35
	s_waitcnt vmcnt(0)
	v_lshlrev_b32_e32 v36, 16, v1
	v_and_b32_e32 v1, 0xffff0000, v1
	v_or_b32_e32 v35, 0x400000, v8
	v_and_b32_e32 v7, 0xffff0000, v7
	v_cndmask_b32_e32 v32, v34, v37, vcc_lo
	v_bfe_u32 v34, v8, 16, 1
	v_mul_f32_e32 v13, v13, v36
	v_and_b32_e32 v30, 0xffff0000, v33
	v_cmp_u_f32_e32 vcc_lo, v8, v8
	v_add_f32_e32 v5, v6, v5
	v_add3_u32 v34, v34, v8, 0x7fff
	v_bfe_u32 v6, v13, 16, 1
	v_mul_f32_e32 v1, v14, v1
	v_lshlrev_b32_e32 v14, 16, v2
	v_add_f32_e32 v7, v30, v7
	v_cndmask_b32_e32 v8, v34, v35, vcc_lo
	v_add3_u32 v6, v6, v13, 0x7fff
	v_or_b32_e32 v30, 0x400000, v13
	v_bfe_u32 v31, v1, 16, 1
	v_mul_f32_e32 v14, v15, v14
	v_and_b32_e32 v2, 0xffff0000, v2
	v_cmp_u_f32_e32 vcc_lo, v13, v13
	v_or_b32_e32 v15, 0x400000, v1
	v_add3_u32 v13, v31, v1, 0x7fff
	v_and_b32_e32 v8, 0xffff0000, v8
	v_mul_f32_e32 v2, v16, v2
	v_cndmask_b32_e32 v6, v6, v30, vcc_lo
	v_bfe_u32 v30, v14, 16, 1
	v_lshlrev_b32_e32 v16, 16, v3
	v_cmp_u_f32_e32 vcc_lo, v1, v1
	v_and_b32_e32 v3, 0xffff0000, v3
	v_and_b32_e32 v6, 0xffff0000, v6
	v_add_f32_e32 v5, v7, v5
	v_mul_f32_e32 v9, v9, v16
	v_cndmask_b32_e32 v1, v13, v15, vcc_lo
	v_add3_u32 v13, v30, v14, 0x7fff
	v_or_b32_e32 v15, 0x400000, v14
	v_bfe_u32 v30, v2, 16, 1
	v_cmp_u_f32_e32 vcc_lo, v14, v14
	v_bfe_u32 v16, v9, 16, 1
	v_mul_f32_e32 v3, v10, v3
	v_lshlrev_b32_e32 v10, 16, v4
	v_add3_u32 v14, v30, v2, 0x7fff
	v_cndmask_b32_e32 v13, v13, v15, vcc_lo
	v_or_b32_e32 v15, 0x400000, v2
	v_and_b32_e32 v4, 0xffff0000, v4
	v_cmp_u_f32_e32 vcc_lo, v2, v2
	v_mul_f32_e32 v10, v11, v10
	v_or_b32_e32 v11, 0x400000, v9
	v_and_b32_e32 v1, 0xffff0000, v1
	v_mul_f32_e32 v4, v12, v4
	v_cndmask_b32_e32 v2, v14, v15, vcc_lo
	v_bfe_u32 v14, v3, 16, 1
	v_add3_u32 v15, v16, v9, 0x7fff
	v_cmp_u_f32_e32 vcc_lo, v9, v9
	v_bfe_u32 v30, v4, 16, 1
	v_bfe_u32 v16, v10, 16, 1
	v_add3_u32 v12, v14, v3, 0x7fff
	v_or_b32_e32 v14, 0x400000, v3
	v_cndmask_b32_e32 v9, v15, v11, vcc_lo
	v_cmp_u_f32_e32 vcc_lo, v3, v3
	v_add3_u32 v11, v16, v10, 0x7fff
	v_and_b32_e32 v2, 0xffff0000, v2
	v_and_b32_e32 v13, 0xffff0000, v13
	v_or_b32_e32 v15, 0x400000, v10
	v_cndmask_b32_e32 v3, v12, v14, vcc_lo
	v_add3_u32 v12, v30, v4, 0x7fff
	v_or_b32_e32 v14, 0x400000, v4
	v_cmp_u_f32_e32 vcc_lo, v4, v4
	v_add_f32_e32 v1, v6, v1
	v_add_f32_e32 v2, v13, v2
	v_and_b32_e32 v3, 0xffff0000, v3
	v_and_b32_e32 v6, 0xffff0000, v9
	v_cndmask_b32_e32 v4, v12, v14, vcc_lo
	v_cmp_u_f32_e32 vcc_lo, v10, v10
	v_and_b32_e32 v10, 0xffff0000, v32
	v_add_f32_e32 v1, v2, v1
	v_add_f32_e32 v2, v6, v3
	v_and_b32_e32 v3, 0xffff0000, v4
	v_cndmask_b32_e32 v9, v11, v15, vcc_lo
	v_add_f32_e32 v6, v10, v8
	v_add_f32_e32 v1, v2, v1
	v_and_b32_e32 v4, 0xffff0000, v9
	v_add_f32_e32 v2, v4, v3
	v_add_f32_e32 v3, v6, v5
	;; [unrolled: 1-line block ×5, first 2 shown]
.LBB128_41:                             ;   in Loop: Header=BB128_42 Depth=1
	s_or_b32 exec_lo, exec_lo, s15
	v_add_nc_u32_e32 v17, 4, v17
	v_add_co_u32 v18, s1, v18, 16
	v_add_co_ci_u32_e64 v19, null, 0, v19, s1
	v_cmp_le_i32_e32 vcc_lo, s16, v17
	v_add_nc_u32_e32 v21, 32, v21
	v_add_nc_u32_e32 v26, 0x80, v26
	s_or_b32 s13, vcc_lo, s13
	s_andn2_b32 exec_lo, exec_lo, s13
	s_cbranch_execz .LBB128_47
.LBB128_42:                             ; =>This Inner Loop Header: Depth=1
	v_sub_nc_u32_e32 v1, 0, v21
	v_max_i32_e32 v1, v21, v1
	v_mul_hi_u32 v2, v1, s33
	v_mul_lo_u32 v3, v2, s11
	v_sub_nc_u32_e32 v1, v1, v3
	v_add_nc_u32_e32 v3, 1, v2
	v_subrev_nc_u32_e32 v4, s11, v1
	v_cmp_le_u32_e32 vcc_lo, s11, v1
	v_cndmask_b32_e32 v2, v2, v3, vcc_lo
	v_cndmask_b32_e32 v1, v1, v4, vcc_lo
	v_ashrrev_i32_e32 v3, 31, v21
	v_add_nc_u32_e32 v4, 1, v2
	v_cmp_le_u32_e32 vcc_lo, s11, v1
	v_xor_b32_e32 v3, s19, v3
	v_cndmask_b32_e32 v1, v2, v4, vcc_lo
	v_xor_b32_e32 v1, v1, v3
	v_sub_nc_u32_e32 v1, v1, v3
	v_add_nc_u32_e32 v2, s38, v1
	v_cmp_lt_i32_e64 s1, s6, v1
	v_sub_nc_u32_e32 v3, 0, v2
	v_max_i32_e32 v3, v2, v3
	v_ashrrev_i32_e32 v2, 31, v2
	v_mul_hi_u32 v4, v3, v29
	v_mul_lo_u32 v4, v4, s8
	v_sub_nc_u32_e32 v3, v3, v4
	v_subrev_nc_u32_e32 v4, s8, v3
	v_cmp_le_u32_e32 vcc_lo, s8, v3
	v_cndmask_b32_e32 v3, v3, v4, vcc_lo
	v_subrev_nc_u32_e32 v4, s8, v3
	v_cmp_le_u32_e32 vcc_lo, s8, v3
	v_cndmask_b32_e32 v3, v3, v4, vcc_lo
	v_xor_b32_e32 v3, v3, v2
	v_sub_nc_u32_e32 v2, v3, v2
	v_cmp_eq_u32_e32 vcc_lo, 0, v2
	s_or_b32 s1, vcc_lo, s1
	s_and_saveexec_b32 s15, s1
	s_cbranch_execz .LBB128_41
; %bb.43:                               ;   in Loop: Header=BB128_42 Depth=1
	global_load_dword v1, v[18:19], off
	v_cmp_eq_u32_e64 s1, s36, v17
	v_add_nc_u32_e32 v36, 1, v21
	v_or_b32_e32 v34, 3, v21
	v_or_b32_e32 v35, 2, v21
	;; [unrolled: 1-line block ×6, first 2 shown]
	s_waitcnt vmcnt(0)
	v_mad_i64_i32 v[1:2], null, v1, s9, 0
	v_lshlrev_b64 v[1:2], 1, v[1:2]
	v_add_co_u32 v1, vcc_lo, v27, v1
	v_add_co_ci_u32_e64 v2, null, v28, v2, vcc_lo
	global_load_dwordx4 v[5:8], v[1:2], off
	ds_read2_b64 v[13:16], v26 offset1:1
	ds_read2_b64 v[9:12], v26 offset0:2 offset1:3
	s_and_saveexec_b32 s17, s1
	s_cbranch_execz .LBB128_45
; %bb.44:                               ;   in Loop: Header=BB128_42 Depth=1
	v_cmp_gt_i32_e64 s2, s27, v21
	v_cmp_gt_i32_e32 vcc_lo, s14, v36
	v_cmp_gt_i32_e64 s3, s27, v35
	s_waitcnt vmcnt(0)
	v_cndmask_b32_e64 v3, 0, v5, s2
	v_cmp_gt_i32_e64 s2, s14, v34
	v_cndmask_b32_sdwa v5, v25, v5, vcc_lo dst_sel:DWORD dst_unused:UNUSED_PAD src0_sel:DWORD src1_sel:WORD_1
	v_cndmask_b32_e64 v4, 0, v6, s3
	v_cmp_gt_i32_e64 s3, s14, v33
	s_mov_b32 vcc_lo, s2
	v_cmp_gt_i32_e64 s2, s14, v31
	v_cndmask_b32_sdwa v6, v25, v6, vcc_lo dst_sel:DWORD dst_unused:UNUSED_PAD src0_sel:DWORD src1_sel:WORD_1
	v_cmp_gt_i32_e32 vcc_lo, s27, v32
	v_perm_b32 v5, v5, v3, 0x5040100
	v_perm_b32 v6, v6, v4, 0x5040100
	v_cndmask_b32_e32 v37, 0, v7, vcc_lo
	s_mov_b32 vcc_lo, s3
	v_cndmask_b32_sdwa v7, v25, v7, vcc_lo dst_sel:DWORD dst_unused:UNUSED_PAD src0_sel:DWORD src1_sel:WORD_1
	v_cmp_gt_i32_e32 vcc_lo, s27, v30
	v_perm_b32 v7, v7, v37, 0x5040100
	v_cndmask_b32_e32 v38, 0, v8, vcc_lo
	s_mov_b32 vcc_lo, s2
	v_cndmask_b32_sdwa v8, v25, v8, vcc_lo dst_sel:DWORD dst_unused:UNUSED_PAD src0_sel:DWORD src1_sel:WORD_1
	v_perm_b32 v8, v8, v38, 0x5040100
.LBB128_45:                             ;   in Loop: Header=BB128_42 Depth=1
	s_or_b32 exec_lo, exec_lo, s17
	global_load_dwordx4 v[1:4], v[1:2], off offset:512
	s_and_saveexec_b32 s3, s1
	s_cbranch_execz .LBB128_40
; %bb.46:                               ;   in Loop: Header=BB128_42 Depth=1
	v_cmp_gt_i32_e64 s1, s27, v21
	v_cmp_gt_i32_e32 vcc_lo, s14, v36
	v_cmp_gt_i32_e64 s2, s27, v35
	s_waitcnt vmcnt(0)
	v_cndmask_b32_e64 v36, 0, v1, s1
	v_cmp_gt_i32_e64 s1, s14, v34
	v_cndmask_b32_sdwa v1, v25, v1, vcc_lo dst_sel:DWORD dst_unused:UNUSED_PAD src0_sel:DWORD src1_sel:WORD_1
	v_cndmask_b32_e64 v34, 0, v2, s2
	v_cmp_gt_i32_e64 s2, s14, v33
	s_mov_b32 vcc_lo, s1
	v_cmp_gt_i32_e64 s1, s14, v31
	v_cndmask_b32_sdwa v2, v25, v2, vcc_lo dst_sel:DWORD dst_unused:UNUSED_PAD src0_sel:DWORD src1_sel:WORD_1
	v_cmp_gt_i32_e32 vcc_lo, s27, v32
	v_perm_b32 v1, v1, v36, 0x5040100
	v_perm_b32 v2, v2, v34, 0x5040100
	v_cndmask_b32_e32 v32, 0, v3, vcc_lo
	s_mov_b32 vcc_lo, s2
	v_cndmask_b32_sdwa v3, v25, v3, vcc_lo dst_sel:DWORD dst_unused:UNUSED_PAD src0_sel:DWORD src1_sel:WORD_1
	v_cmp_gt_i32_e32 vcc_lo, s27, v30
	v_perm_b32 v3, v3, v32, 0x5040100
	v_cndmask_b32_e32 v30, 0, v4, vcc_lo
	s_mov_b32 vcc_lo, s1
	v_cndmask_b32_sdwa v4, v25, v4, vcc_lo dst_sel:DWORD dst_unused:UNUSED_PAD src0_sel:DWORD src1_sel:WORD_1
	v_perm_b32 v4, v4, v30, 0x5040100
	s_branch .LBB128_40
.LBB128_47:
	s_or_b32 exec_lo, exec_lo, s13
.LBB128_48:
	s_or_b32 exec_lo, exec_lo, s5
	v_lshl_add_u32 v2, v22, 2, 0xa0
	v_and_b32_e32 v3, 0x3c0, v0
	s_mov_b32 s1, exec_lo
	s_waitcnt_vscnt null, 0x0
	s_barrier
	v_lshl_add_u32 v1, v20, 8, v2
	buffer_gl0_inv
	v_cmpx_eq_u32_e32 64, v3
	s_cbranch_execz .LBB128_50
; %bb.49:
	v_add_nc_u32_e32 v3, 0xfffffe00, v1
	v_add_nc_u32_e32 v4, 0xfffffe80, v1
	ds_write_b32 v3, v23
	ds_write_b32 v4, v24
.LBB128_50:
	s_or_b32 exec_lo, exec_lo, s1
	s_mov_b32 s1, exec_lo
	s_waitcnt lgkmcnt(0)
	s_barrier
	buffer_gl0_inv
	v_cmpx_gt_u32_e32 64, v0
	s_cbranch_execz .LBB128_52
; %bb.51:
	ds_read2_b32 v[3:4], v1 offset1:32
	s_waitcnt lgkmcnt(0)
	v_add_f32_e32 v23, v23, v3
	v_add_f32_e32 v24, v24, v4
.LBB128_52:
	s_or_b32 exec_lo, exec_lo, s1
	v_and_b32_e32 v3, 0x3e0, v0
	s_mov_b32 s1, exec_lo
	s_barrier
	buffer_gl0_inv
	v_cmpx_eq_u32_e32 32, v3
; %bb.53:
	ds_write2_b32 v2, v23, v24 offset1:32
; %bb.54:
	s_or_b32 exec_lo, exec_lo, s1
	s_waitcnt lgkmcnt(0)
	s_barrier
	buffer_gl0_inv
	s_and_saveexec_b32 s1, s0
	s_cbranch_execz .LBB128_56
; %bb.55:
	ds_read2_b32 v[1:2], v1 offset1:32
	s_waitcnt lgkmcnt(0)
	v_add_f32_e32 v23, v23, v1
	v_add_f32_e32 v24, v24, v2
.LBB128_56:
	s_or_b32 exec_lo, exec_lo, s1
	s_barrier
	buffer_gl0_inv
	s_and_saveexec_b32 s1, s0
	s_cbranch_execz .LBB128_58
; %bb.57:
	s_lshl_b32 s0, s4, 6
	v_bfe_u32 v1, v23, 16, 1
	s_ashr_i32 s1, s0, 31
	s_mul_i32 s2, s7, s10
	s_lshl_b64 s[0:1], s[0:1], 1
	v_bfe_u32 v2, v24, 16, 1
	v_add3_u32 v1, v1, v23, 0x7fff
	v_or_b32_e32 v3, 0x400000, v23
	v_cmp_u_f32_e32 vcc_lo, v23, v23
	s_add_u32 s4, s24, s0
	s_addc_u32 s5, s25, s1
	s_ashr_i32 s3, s2, 31
	v_add3_u32 v2, v2, v24, 0x7fff
	s_lshl_b64 s[0:1], s[2:3], 1
	v_or_b32_e32 v4, 0x400000, v24
	v_cndmask_b32_e32 v1, v1, v3, vcc_lo
	v_cmp_u_f32_e32 vcc_lo, v24, v24
	s_add_u32 s2, s4, s0
	s_addc_u32 s3, s5, s1
	s_ashr_i32 s13, s12, 31
	v_lshlrev_b32_e32 v0, 1, v0
	s_lshl_b64 s[0:1], s[12:13], 1
	v_cndmask_b32_e32 v2, v2, v4, vcc_lo
	s_add_u32 s0, s2, s0
	s_addc_u32 s1, s3, s1
	global_store_short_d16_hi v0, v1, s[0:1]
	global_store_short_d16_hi v0, v2, s[0:1] offset:64
.LBB128_58:
	s_endpgm
	.section	.rodata,"a",@progbits
	.p2align	6, 0x0
	.amdhsa_kernel _ZN4vllm25paged_attention_v2_kernelI14__hip_bfloat16S1_Li64ELi8ELi128ELNS_18Fp8KVCacheDataTypeE0ELb1ELi512EEEvPfS3_PT_PKS4_PKT0_SA_ifPKiSC_iPKfiiiSE_SE_iiiii
		.amdhsa_group_segment_fixed_size 160
		.amdhsa_private_segment_fixed_size 0
		.amdhsa_kernarg_size 400
		.amdhsa_user_sgpr_count 6
		.amdhsa_user_sgpr_private_segment_buffer 1
		.amdhsa_user_sgpr_dispatch_ptr 0
		.amdhsa_user_sgpr_queue_ptr 0
		.amdhsa_user_sgpr_kernarg_segment_ptr 1
		.amdhsa_user_sgpr_dispatch_id 0
		.amdhsa_user_sgpr_flat_scratch_init 0
		.amdhsa_user_sgpr_private_segment_size 0
		.amdhsa_wavefront_size32 1
		.amdhsa_uses_dynamic_stack 0
		.amdhsa_system_sgpr_private_segment_wavefront_offset 0
		.amdhsa_system_sgpr_workgroup_id_x 1
		.amdhsa_system_sgpr_workgroup_id_y 1
		.amdhsa_system_sgpr_workgroup_id_z 1
		.amdhsa_system_sgpr_workgroup_info 0
		.amdhsa_system_vgpr_workitem_id 0
		.amdhsa_next_free_vgpr 47
		.amdhsa_next_free_sgpr 46
		.amdhsa_reserve_vcc 1
		.amdhsa_reserve_flat_scratch 0
		.amdhsa_float_round_mode_32 0
		.amdhsa_float_round_mode_16_64 0
		.amdhsa_float_denorm_mode_32 3
		.amdhsa_float_denorm_mode_16_64 3
		.amdhsa_dx10_clamp 1
		.amdhsa_ieee_mode 1
		.amdhsa_fp16_overflow 0
		.amdhsa_workgroup_processor_mode 1
		.amdhsa_memory_ordered 1
		.amdhsa_forward_progress 1
		.amdhsa_shared_vgpr_count 0
		.amdhsa_exception_fp_ieee_invalid_op 0
		.amdhsa_exception_fp_denorm_src 0
		.amdhsa_exception_fp_ieee_div_zero 0
		.amdhsa_exception_fp_ieee_overflow 0
		.amdhsa_exception_fp_ieee_underflow 0
		.amdhsa_exception_fp_ieee_inexact 0
		.amdhsa_exception_int_div_zero 0
	.end_amdhsa_kernel
	.section	.text._ZN4vllm25paged_attention_v2_kernelI14__hip_bfloat16S1_Li64ELi8ELi128ELNS_18Fp8KVCacheDataTypeE0ELb1ELi512EEEvPfS3_PT_PKS4_PKT0_SA_ifPKiSC_iPKfiiiSE_SE_iiiii,"axG",@progbits,_ZN4vllm25paged_attention_v2_kernelI14__hip_bfloat16S1_Li64ELi8ELi128ELNS_18Fp8KVCacheDataTypeE0ELb1ELi512EEEvPfS3_PT_PKS4_PKT0_SA_ifPKiSC_iPKfiiiSE_SE_iiiii,comdat
.Lfunc_end128:
	.size	_ZN4vllm25paged_attention_v2_kernelI14__hip_bfloat16S1_Li64ELi8ELi128ELNS_18Fp8KVCacheDataTypeE0ELb1ELi512EEEvPfS3_PT_PKS4_PKT0_SA_ifPKiSC_iPKfiiiSE_SE_iiiii, .Lfunc_end128-_ZN4vllm25paged_attention_v2_kernelI14__hip_bfloat16S1_Li64ELi8ELi128ELNS_18Fp8KVCacheDataTypeE0ELb1ELi512EEEvPfS3_PT_PKS4_PKT0_SA_ifPKiSC_iPKfiiiSE_SE_iiiii
                                        ; -- End function
	.set _ZN4vllm25paged_attention_v2_kernelI14__hip_bfloat16S1_Li64ELi8ELi128ELNS_18Fp8KVCacheDataTypeE0ELb1ELi512EEEvPfS3_PT_PKS4_PKT0_SA_ifPKiSC_iPKfiiiSE_SE_iiiii.num_vgpr, 47
	.set _ZN4vllm25paged_attention_v2_kernelI14__hip_bfloat16S1_Li64ELi8ELi128ELNS_18Fp8KVCacheDataTypeE0ELb1ELi512EEEvPfS3_PT_PKS4_PKT0_SA_ifPKiSC_iPKfiiiSE_SE_iiiii.num_agpr, 0
	.set _ZN4vllm25paged_attention_v2_kernelI14__hip_bfloat16S1_Li64ELi8ELi128ELNS_18Fp8KVCacheDataTypeE0ELb1ELi512EEEvPfS3_PT_PKS4_PKT0_SA_ifPKiSC_iPKfiiiSE_SE_iiiii.numbered_sgpr, 46
	.set _ZN4vllm25paged_attention_v2_kernelI14__hip_bfloat16S1_Li64ELi8ELi128ELNS_18Fp8KVCacheDataTypeE0ELb1ELi512EEEvPfS3_PT_PKS4_PKT0_SA_ifPKiSC_iPKfiiiSE_SE_iiiii.num_named_barrier, 0
	.set _ZN4vllm25paged_attention_v2_kernelI14__hip_bfloat16S1_Li64ELi8ELi128ELNS_18Fp8KVCacheDataTypeE0ELb1ELi512EEEvPfS3_PT_PKS4_PKT0_SA_ifPKiSC_iPKfiiiSE_SE_iiiii.private_seg_size, 0
	.set _ZN4vllm25paged_attention_v2_kernelI14__hip_bfloat16S1_Li64ELi8ELi128ELNS_18Fp8KVCacheDataTypeE0ELb1ELi512EEEvPfS3_PT_PKS4_PKT0_SA_ifPKiSC_iPKfiiiSE_SE_iiiii.uses_vcc, 1
	.set _ZN4vllm25paged_attention_v2_kernelI14__hip_bfloat16S1_Li64ELi8ELi128ELNS_18Fp8KVCacheDataTypeE0ELb1ELi512EEEvPfS3_PT_PKS4_PKT0_SA_ifPKiSC_iPKfiiiSE_SE_iiiii.uses_flat_scratch, 0
	.set _ZN4vllm25paged_attention_v2_kernelI14__hip_bfloat16S1_Li64ELi8ELi128ELNS_18Fp8KVCacheDataTypeE0ELb1ELi512EEEvPfS3_PT_PKS4_PKT0_SA_ifPKiSC_iPKfiiiSE_SE_iiiii.has_dyn_sized_stack, 0
	.set _ZN4vllm25paged_attention_v2_kernelI14__hip_bfloat16S1_Li64ELi8ELi128ELNS_18Fp8KVCacheDataTypeE0ELb1ELi512EEEvPfS3_PT_PKS4_PKT0_SA_ifPKiSC_iPKfiiiSE_SE_iiiii.has_recursion, 0
	.set _ZN4vllm25paged_attention_v2_kernelI14__hip_bfloat16S1_Li64ELi8ELi128ELNS_18Fp8KVCacheDataTypeE0ELb1ELi512EEEvPfS3_PT_PKS4_PKT0_SA_ifPKiSC_iPKfiiiSE_SE_iiiii.has_indirect_call, 0
	.section	.AMDGPU.csdata,"",@progbits
; Kernel info:
; codeLenInByte = 5520
; TotalNumSgprs: 48
; NumVgprs: 47
; ScratchSize: 0
; MemoryBound: 0
; FloatMode: 240
; IeeeMode: 1
; LDSByteSize: 160 bytes/workgroup (compile time only)
; SGPRBlocks: 0
; VGPRBlocks: 5
; NumSGPRsForWavesPerEU: 48
; NumVGPRsForWavesPerEU: 47
; Occupancy: 16
; WaveLimiterHint : 1
; COMPUTE_PGM_RSRC2:SCRATCH_EN: 0
; COMPUTE_PGM_RSRC2:USER_SGPR: 6
; COMPUTE_PGM_RSRC2:TRAP_HANDLER: 0
; COMPUTE_PGM_RSRC2:TGID_X_EN: 1
; COMPUTE_PGM_RSRC2:TGID_Y_EN: 1
; COMPUTE_PGM_RSRC2:TGID_Z_EN: 1
; COMPUTE_PGM_RSRC2:TIDIG_COMP_CNT: 0
	.section	.text._ZN4vllm32paged_attention_v2_reduce_kernelI14__hip_bfloat16Li64ELi128ELi512EEEvPT_PKfS5_PKS2_PKii,"axG",@progbits,_ZN4vllm32paged_attention_v2_reduce_kernelI14__hip_bfloat16Li64ELi128ELi512EEEvPT_PKfS5_PKS2_PKii,comdat
	.protected	_ZN4vllm32paged_attention_v2_reduce_kernelI14__hip_bfloat16Li64ELi128ELi512EEEvPT_PKfS5_PKS2_PKii ; -- Begin function _ZN4vllm32paged_attention_v2_reduce_kernelI14__hip_bfloat16Li64ELi128ELi512EEEvPT_PKfS5_PKS2_PKii
	.globl	_ZN4vllm32paged_attention_v2_reduce_kernelI14__hip_bfloat16Li64ELi128ELi512EEEvPT_PKfS5_PKS2_PKii
	.p2align	8
	.type	_ZN4vllm32paged_attention_v2_reduce_kernelI14__hip_bfloat16Li64ELi128ELi512EEEvPT_PKfS5_PKS2_PKii,@function
_ZN4vllm32paged_attention_v2_reduce_kernelI14__hip_bfloat16Li64ELi128ELi512EEEvPT_PKfS5_PKS2_PKii: ; @_ZN4vllm32paged_attention_v2_reduce_kernelI14__hip_bfloat16Li64ELi128ELi512EEEvPT_PKfS5_PKS2_PKii
; %bb.0:
	s_load_dwordx4 s[8:11], s[4:5], 0x18
	s_add_u32 s14, s4, 48
	s_mov_b32 s12, s7
	s_addc_u32 s15, s5, 0
	s_ashr_i32 s13, s7, 31
	s_lshl_b64 s[0:1], s[12:13], 2
	s_waitcnt lgkmcnt(0)
	s_add_u32 s0, s10, s0
	s_addc_u32 s1, s11, s1
	s_load_dword s22, s[0:1], 0x0
	s_clause 0x2
	s_load_dwordx2 s[10:11], s[4:5], 0x0
	s_load_dword s7, s[4:5], 0x28
	s_load_dword s13, s[4:5], 0x30
	s_waitcnt lgkmcnt(0)
	s_add_i32 s0, s22, -1
	s_cmpk_gt_u32 s0, 0x1ff
	s_mov_b32 s0, -1
	s_cbranch_scc0 .LBB129_26
; %bb.1:
	s_load_dwordx2 s[2:3], s[4:5], 0x8
	s_add_i32 s0, s22, 0x1ff
	s_mul_i32 s20, s13, s12
	s_ashr_i32 s1, s0, 31
	v_mov_b32_e32 v4, 0xff7fffff
	s_lshr_b32 s1, s1, 23
	v_lshlrev_b32_e32 v3, 2, v0
	s_add_i32 s0, s0, s1
	s_mul_i32 s16, s20, s7
	s_ashr_i32 s21, s0, 9
	s_mul_i32 s18, s7, s6
	v_cmp_gt_i32_e32 vcc_lo, s21, v0
	s_ashr_i32 s17, s16, 31
	s_ashr_i32 s19, s18, 31
	s_and_saveexec_b32 s1, vcc_lo
	s_cbranch_execz .LBB129_5
; %bb.2:
	s_load_dword s0, s[14:15], 0xc
	s_load_dwordx2 s[24:25], s[4:5], 0x10
	s_lshl_b64 s[26:27], s[16:17], 2
	s_lshl_b64 s[28:29], s[18:19], 2
	v_add_nc_u32_e32 v5, 32, v3
	v_mov_b32_e32 v4, 0xff7fffff
	v_mov_b32_e32 v6, v0
	s_waitcnt lgkmcnt(0)
	s_and_b32 s4, s0, 0xffff
	s_add_u32 s0, s26, s28
	s_addc_u32 s5, s27, s29
	s_add_u32 s0, s24, s0
	s_addc_u32 s5, s25, s5
	v_add_co_u32 v1, s0, s0, v3
	v_add_co_ci_u32_e64 v2, null, s5, 0, s0
	s_mov_b32 s5, 0
	s_lshl_b32 s23, s4, 2
	.p2align	6
.LBB129_3:                              ; =>This Inner Loop Header: Depth=1
	global_load_dword v7, v[1:2], off
	v_add_nc_u32_e32 v6, s4, v6
	v_max_f32_e32 v4, v4, v4
	v_add_co_u32 v1, s0, v1, s23
	v_add_co_ci_u32_e64 v2, null, 0, v2, s0
	v_cmp_le_i32_e64 s0, s21, v6
	s_or_b32 s5, s0, s5
	s_waitcnt vmcnt(0)
	v_max_f32_e32 v8, v7, v7
	ds_write_b32 v5, v7
	v_add_nc_u32_e32 v5, s23, v5
	v_max_f32_e32 v4, v4, v8
	s_andn2_b32 exec_lo, exec_lo, s5
	s_cbranch_execnz .LBB129_3
; %bb.4:
	s_or_b32 exec_lo, exec_lo, s5
.LBB129_5:
	s_or_b32 exec_lo, exec_lo, s1
	v_mbcnt_lo_u32_b32 v1, -1, 0
	s_waitcnt lgkmcnt(0)
	s_barrier
	buffer_gl0_inv
	v_xor_b32_e32 v2, 16, v1
	v_xor_b32_e32 v5, 8, v1
	v_cmp_gt_i32_e64 s0, 32, v2
	v_cndmask_b32_e64 v2, v1, v2, s0
	v_cmp_gt_i32_e64 s0, 32, v5
	v_lshlrev_b32_e32 v6, 2, v2
	v_cndmask_b32_e64 v5, v1, v5, s0
	ds_bpermute_b32 v2, v6, v4
	v_max_f32_e32 v4, v4, v4
	v_lshlrev_b32_e32 v7, 2, v5
	v_xor_b32_e32 v5, 4, v1
	v_cmp_gt_i32_e64 s0, 32, v5
	v_cndmask_b32_e64 v5, v1, v5, s0
	v_lshlrev_b32_e32 v8, 2, v5
	v_xor_b32_e32 v5, 2, v1
	s_waitcnt lgkmcnt(0)
	v_max_f32_e32 v2, v2, v2
	v_cmp_gt_i32_e64 s0, 32, v5
	v_max_f32_e32 v2, v4, v2
	v_cndmask_b32_e64 v5, v1, v5, s0
	ds_bpermute_b32 v4, v7, v2
	s_waitcnt lgkmcnt(0)
	v_max_f32_e32 v4, v4, v4
	v_max_f32_e32 v2, v2, v4
	ds_bpermute_b32 v4, v8, v2
	s_waitcnt lgkmcnt(0)
	v_max_f32_e32 v9, v4, v4
	v_lshlrev_b32_e32 v4, 2, v5
	v_max_f32_e32 v2, v2, v9
	v_xor_b32_e32 v9, 1, v1
	ds_bpermute_b32 v5, v4, v2
	v_cmp_gt_i32_e64 s0, 32, v9
	v_cndmask_b32_e64 v1, v1, v9, s0
	v_lshrrev_b32_e32 v9, 5, v0
	v_lshlrev_b32_e32 v9, 2, v9
	s_waitcnt lgkmcnt(0)
	v_max_f32_e32 v5, v5, v5
	v_max_f32_e32 v2, v2, v5
	v_lshlrev_b32_e32 v5, 2, v1
	v_and_b32_e32 v1, 31, v0
	ds_bpermute_b32 v10, v5, v2
	v_cmp_eq_u32_e64 s0, 0, v1
	s_and_saveexec_b32 s1, s0
	s_cbranch_execz .LBB129_7
; %bb.6:
	s_waitcnt lgkmcnt(0)
	v_max_f32_e32 v10, v10, v10
	v_max_f32_e32 v2, v2, v2
	;; [unrolled: 1-line block ×3, first 2 shown]
	ds_write_b32 v9, v2
.LBB129_7:
	s_or_b32 exec_lo, exec_lo, s1
	v_cmp_gt_u32_e64 s1, 4, v1
	v_mov_b32_e32 v2, 0xff7fffff
	s_waitcnt lgkmcnt(0)
	v_lshlrev_b32_e32 v10, 2, v1
	s_barrier
	buffer_gl0_inv
	s_and_saveexec_b32 s4, s1
; %bb.8:
	ds_read_b32 v2, v10
; %bb.9:
	s_or_b32 exec_lo, exec_lo, s4
	s_waitcnt lgkmcnt(0)
	ds_bpermute_b32 v1, v4, v2
	v_max_f32_e32 v2, v2, v2
	v_mov_b32_e32 v11, 0
	s_lshl_b32 s4, s21, 2
	s_waitcnt lgkmcnt(0)
	v_max_f32_e32 v1, v1, v1
	v_max_f32_e32 v1, v2, v1
	ds_bpermute_b32 v2, v5, v1
	s_waitcnt lgkmcnt(0)
	v_max_f32_e32 v2, v2, v2
	v_max_f32_e32 v1, v1, v2
	ds_bpermute_b32 v12, v11, v1
	s_and_saveexec_b32 s5, vcc_lo
	s_cbranch_execz .LBB129_13
; %bb.10:
	s_load_dword s23, s[14:15], 0xc
	s_lshl_b64 s[24:25], s[16:17], 2
	s_lshl_b64 s[26:27], s[18:19], 2
	v_mov_b32_e32 v11, 0
	v_add_nc_u32_e32 v13, 32, v3
	s_waitcnt lgkmcnt(0)
	s_and_b32 s17, s23, 0xffff
	s_add_u32 s19, s24, s26
	s_addc_u32 s23, s25, s27
	s_add_u32 s2, s2, s19
	s_addc_u32 s3, s3, s23
	v_add_co_u32 v1, s2, s2, v3
	v_add_co_ci_u32_e64 v2, null, s3, 0, s2
	v_mov_b32_e32 v3, v0
	s_mov_b32 s3, 0
	s_lshl_b32 s19, s17, 2
	s_inst_prefetch 0x1
	.p2align	6
.LBB129_11:                             ; =>This Inner Loop Header: Depth=1
	global_load_dword v14, v[1:2], off
	ds_read_b32 v15, v13
	v_add_nc_u32_e32 v3, s17, v3
	s_waitcnt lgkmcnt(0)
	v_sub_f32_e32 v15, v15, v12
	v_mul_f32_e32 v16, 0x3fb8aa3b, v15
	v_cmp_ngt_f32_e32 vcc_lo, 0xc2ce8ed0, v15
	v_cmp_nlt_f32_e64 s2, 0x42b17218, v15
	v_fma_f32 v17, 0x3fb8aa3b, v15, -v16
	v_rndne_f32_e32 v18, v16
	v_fmac_f32_e32 v17, 0x32a5705f, v15
	v_sub_f32_e32 v16, v16, v18
	v_add_f32_e32 v16, v16, v17
	v_cvt_i32_f32_e32 v17, v18
	v_exp_f32_e32 v16, v16
	v_ldexp_f32 v16, v16, v17
	v_add_nc_u32_e32 v17, s4, v13
	v_add_nc_u32_e32 v13, s19, v13
	v_cndmask_b32_e32 v16, 0, v16, vcc_lo
	v_add_co_u32 v1, vcc_lo, v1, s19
	v_add_co_ci_u32_e64 v2, null, 0, v2, vcc_lo
	v_cndmask_b32_e64 v15, 0x7f800000, v16, s2
	v_cmp_le_i32_e32 vcc_lo, s21, v3
	s_or_b32 s3, vcc_lo, s3
	s_waitcnt vmcnt(0)
	v_mul_f32_e32 v16, v14, v15
	v_fmac_f32_e32 v11, v14, v15
	ds_write_b32 v17, v16
	s_andn2_b32 exec_lo, exec_lo, s3
	s_cbranch_execnz .LBB129_11
; %bb.12:
	s_inst_prefetch 0x2
	s_or_b32 exec_lo, exec_lo, s3
.LBB129_13:
	s_or_b32 exec_lo, exec_lo, s5
	ds_bpermute_b32 v1, v6, v11
	s_waitcnt lgkmcnt(0)
	s_barrier
	buffer_gl0_inv
	v_add_f32_e32 v1, v11, v1
	ds_bpermute_b32 v2, v7, v1
	s_waitcnt lgkmcnt(0)
	v_add_f32_e32 v1, v1, v2
	ds_bpermute_b32 v2, v8, v1
	s_waitcnt lgkmcnt(0)
	v_add_f32_e32 v1, v1, v2
	ds_bpermute_b32 v2, v4, v1
	s_waitcnt lgkmcnt(0)
	v_add_f32_e32 v1, v1, v2
	ds_bpermute_b32 v2, v5, v1
	s_waitcnt lgkmcnt(0)
	v_add_f32_e32 v1, v1, v2
	s_and_saveexec_b32 s2, s0
; %bb.14:
	ds_write_b32 v9, v1 offset:16
; %bb.15:
	s_or_b32 exec_lo, exec_lo, s2
	s_waitcnt lgkmcnt(0)
	s_barrier
	buffer_gl0_inv
	s_and_saveexec_b32 s0, s1
; %bb.16:
	ds_read_b32 v1, v10 offset:16
; %bb.17:
	s_or_b32 exec_lo, exec_lo, s0
	s_waitcnt lgkmcnt(0)
	ds_bpermute_b32 v2, v4, v1
	s_mov_b32 s0, exec_lo
	s_waitcnt lgkmcnt(0)
	v_add_f32_e32 v1, v1, v2
	ds_bpermute_b32 v2, v5, v1
	s_waitcnt lgkmcnt(0)
	v_add_f32_e32 v1, v1, v2
	v_mov_b32_e32 v2, 0
	ds_bpermute_b32 v2, v2, v1
	v_cmpx_gt_u32_e32 64, v0
	s_cbranch_execz .LBB129_25
; %bb.18:
	s_cmp_gt_i32 s22, 0
	s_mov_b32 s1, 0
	s_cbranch_scc1 .LBB129_20
; %bb.19:
	v_mov_b32_e32 v1, 0
	v_mov_b32_e32 v3, 0
	s_andn2_b32 vcc_lo, exec_lo, s1
	s_cbranch_vccz .LBB129_21
	s_branch .LBB129_24
.LBB129_20:
	v_mov_b32_e32 v3, 0
.LBB129_21:
	s_waitcnt lgkmcnt(0)
	v_add_f32_e32 v4, 0x358637bd, v2
	s_lshl_b32 s16, s16, 6
	s_lshl_b32 s18, s18, 6
	s_ashr_i32 s17, s16, 31
	s_ashr_i32 s19, s18, 31
	v_div_scale_f32 v2, null, v4, v4, 1.0
	v_div_scale_f32 v5, vcc_lo, 1.0, v4, 1.0
	s_add_i32 s2, s4, 32
	v_rcp_f32_e32 v3, v2
	s_lshl_b64 s[4:5], s[16:17], 1
	s_lshl_b64 s[16:17], s[18:19], 1
	s_max_i32 s1, s21, 1
	s_add_u32 s3, s4, s16
	s_addc_u32 s4, s5, s17
	s_add_u32 s3, s8, s3
	s_addc_u32 s4, s9, s4
	v_fma_f32 v1, -v2, v3, 1.0
	v_fmac_f32_e32 v3, v1, v3
	v_mov_b32_e32 v1, 0
	v_mul_f32_e32 v6, v5, v3
	v_fma_f32 v7, -v2, v6, v5
	v_fmac_f32_e32 v6, v7, v3
	v_lshlrev_b32_e32 v7, 1, v0
	v_fma_f32 v2, -v2, v6, v5
	v_div_fmas_f32 v5, v2, v3, v6
	v_add_co_u32 v2, s3, s3, v7
	v_add_co_ci_u32_e64 v3, null, s4, 0, s3
	v_div_fixup_f32 v4, v5, v4, 1.0
	v_mov_b32_e32 v5, v1
	.p2align	6
.LBB129_22:                             ; =>This Inner Loop Header: Depth=1
	global_load_ushort v6, v[2:3], off
	v_mov_b32_e32 v7, s2
	v_add_co_u32 v2, vcc_lo, 0x80, v2
	v_add_co_ci_u32_e64 v3, null, 0, v3, vcc_lo
	ds_read_b32 v7, v7
	s_add_i32 s1, s1, -1
	s_add_i32 s2, s2, 4
	s_cmp_eq_u32 s1, 0
	s_waitcnt vmcnt(0)
	v_lshlrev_b32_e32 v6, 16, v6
	s_waitcnt lgkmcnt(0)
	v_mul_f32_e32 v6, v7, v6
	v_fmac_f32_e32 v5, v4, v6
	s_cbranch_scc0 .LBB129_22
; %bb.23:
	v_bfe_u32 v2, v5, 16, 1
	v_or_b32_e32 v3, 0x400000, v5
	v_cmp_u_f32_e32 vcc_lo, v5, v5
	v_add3_u32 v2, v2, v5, 0x7fff
	v_cndmask_b32_e32 v2, v2, v3, vcc_lo
	v_lshrrev_b32_e32 v3, 16, v2
.LBB129_24:
	s_lshl_b32 s2, s20, 6
	s_waitcnt lgkmcnt(0)
	v_lshlrev_b64 v[1:2], 1, v[0:1]
	s_ashr_i32 s3, s2, 31
	s_lshl_b64 s[2:3], s[2:3], 1
	s_add_u32 s1, s10, s2
	s_addc_u32 s4, s11, s3
	s_lshl_b32 s2, s6, 6
	s_ashr_i32 s3, s2, 31
	s_lshl_b64 s[2:3], s[2:3], 1
	s_add_u32 s1, s1, s2
	s_addc_u32 s2, s4, s3
	v_add_co_u32 v1, vcc_lo, s1, v1
	v_add_co_ci_u32_e64 v2, null, s2, v2, vcc_lo
	global_store_short v[1:2], v3, off
.LBB129_25:
	s_or_b32 exec_lo, exec_lo, s0
	s_mov_b32 s0, 0
.LBB129_26:
	s_and_b32 vcc_lo, exec_lo, s0
	s_cbranch_vccz .LBB129_35
; %bb.27:
	s_mov_b32 s0, exec_lo
	v_cmpx_gt_u32_e32 64, v0
	s_cbranch_execz .LBB129_35
; %bb.28:
	s_load_dword s0, s[14:15], 0xc
	s_mul_i32 s13, s13, s12
	s_mul_i32 s1, s7, s6
	;; [unrolled: 1-line block ×3, first 2 shown]
	s_lshl_b32 s2, s6, 6
	s_lshl_b32 s12, s13, 6
	;; [unrolled: 1-line block ×4, first 2 shown]
	v_cmp_gt_u32_e32 vcc_lo, 61, v0
	s_ashr_i32 s3, s2, 31
	s_ashr_i32 s13, s12, 31
	;; [unrolled: 1-line block ×4, first 2 shown]
	s_waitcnt lgkmcnt(0)
	s_and_b32 s1, s0, 0xffff
	s_cmp_eq_u32 s1, 1
	s_cselect_b32 s0, -1, 0
	s_and_b32 s15, vcc_lo, s0
	s_mov_b32 s0, -1
	s_and_saveexec_b32 s14, s15
	s_cbranch_execz .LBB129_32
; %bb.29:
	s_lshl_b64 s[16:17], s[6:7], 1
	s_lshl_b64 s[18:19], s[4:5], 1
	v_lshlrev_b32_e32 v1, 1, v0
	s_add_u32 s0, s16, s18
	s_addc_u32 s15, s17, s19
	s_add_u32 s0, s8, s0
	s_addc_u32 s15, s9, s15
	s_lshl_b64 s[16:17], s[12:13], 1
	s_lshl_b64 s[18:19], s[2:3], 1
	v_add_co_u32 v2, s0, s0, v1
	v_add_co_ci_u32_e64 v3, null, s15, 0, s0
	s_add_u32 s0, s16, s18
	v_sub_nc_u32_e32 v5, 64, v0
	s_addc_u32 s15, s17, s19
	s_add_u32 s0, s10, s0
	s_addc_u32 s15, s11, s15
	v_add_co_u32 v4, s0, s0, v1
	v_and_b32_e32 v6, 0x7c, v5
	v_add_co_ci_u32_e64 v7, null, s15, 0, s0
	v_add_co_u32 v1, vcc_lo, v2, 4
	v_add_co_ci_u32_e64 v2, null, 0, v3, vcc_lo
	v_add_co_u32 v3, vcc_lo, v4, 4
	v_add_co_ci_u32_e64 v4, null, 0, v7, vcc_lo
	v_mov_b32_e32 v7, v6
	s_mov_b32 s15, 0
	.p2align	6
.LBB129_30:                             ; =>This Inner Loop Header: Depth=1
	global_load_dwordx2 v[8:9], v[1:2], off offset:-4
	v_add_nc_u32_e32 v7, -4, v7
	v_add_co_u32 v1, vcc_lo, v1, 8
	v_add_co_ci_u32_e64 v2, null, 0, v2, vcc_lo
	v_cmp_eq_u32_e32 vcc_lo, 0, v7
	s_or_b32 s15, vcc_lo, s15
	s_waitcnt vmcnt(0)
	global_store_dwordx2 v[3:4], v[8:9], off offset:-4
	v_add_co_u32 v3, s0, v3, 8
	v_add_co_ci_u32_e64 v4, null, 0, v4, s0
	s_andn2_b32 exec_lo, exec_lo, s15
	s_cbranch_execnz .LBB129_30
; %bb.31:
	s_or_b32 exec_lo, exec_lo, s15
	v_cmp_ne_u32_e32 vcc_lo, v5, v6
	v_add_nc_u32_e32 v0, v0, v6
	s_orn2_b32 s0, vcc_lo, exec_lo
.LBB129_32:
	s_or_b32 exec_lo, exec_lo, s14
	s_and_b32 exec_lo, exec_lo, s0
	s_cbranch_execz .LBB129_35
; %bb.33:
	s_lshl_b64 s[12:13], s[12:13], 1
	v_lshlrev_b32_e32 v1, 1, v0
	s_add_u32 s0, s10, s12
	s_addc_u32 s10, s11, s13
	s_lshl_b64 s[2:3], s[2:3], 1
	v_mov_b32_e32 v2, 0
	s_add_u32 s2, s0, s2
	s_addc_u32 s3, s10, s3
	s_lshl_b64 s[6:7], s[6:7], 1
	s_add_u32 s0, s8, s6
	s_addc_u32 s6, s9, s7
	s_lshl_b64 s[4:5], s[4:5], 1
	s_add_u32 s4, s0, s4
	s_addc_u32 s5, s6, s5
	s_mov_b32 s6, 0
	s_lshl_b32 s7, s1, 1
	.p2align	6
.LBB129_34:                             ; =>This Inner Loop Header: Depth=1
	v_add_co_u32 v3, vcc_lo, s4, v1
	v_add_co_ci_u32_e64 v4, null, s5, v2, vcc_lo
	v_add_nc_u32_e32 v0, s1, v0
	global_load_ushort v5, v[3:4], off
	v_add_co_u32 v3, vcc_lo, s2, v1
	v_add_co_ci_u32_e64 v4, null, s3, v2, vcc_lo
	v_cmp_lt_u32_e32 vcc_lo, 63, v0
	v_add_co_u32 v1, s0, v1, s7
	v_add_co_ci_u32_e64 v2, null, 0, v2, s0
	s_or_b32 s6, vcc_lo, s6
	s_waitcnt vmcnt(0)
	global_store_short v[3:4], v5, off
	s_andn2_b32 exec_lo, exec_lo, s6
	s_cbranch_execnz .LBB129_34
.LBB129_35:
	s_endpgm
	.section	.rodata,"a",@progbits
	.p2align	6, 0x0
	.amdhsa_kernel _ZN4vllm32paged_attention_v2_reduce_kernelI14__hip_bfloat16Li64ELi128ELi512EEEvPT_PKfS5_PKS2_PKii
		.amdhsa_group_segment_fixed_size 32
		.amdhsa_private_segment_fixed_size 0
		.amdhsa_kernarg_size 304
		.amdhsa_user_sgpr_count 6
		.amdhsa_user_sgpr_private_segment_buffer 1
		.amdhsa_user_sgpr_dispatch_ptr 0
		.amdhsa_user_sgpr_queue_ptr 0
		.amdhsa_user_sgpr_kernarg_segment_ptr 1
		.amdhsa_user_sgpr_dispatch_id 0
		.amdhsa_user_sgpr_flat_scratch_init 0
		.amdhsa_user_sgpr_private_segment_size 0
		.amdhsa_wavefront_size32 1
		.amdhsa_uses_dynamic_stack 0
		.amdhsa_system_sgpr_private_segment_wavefront_offset 0
		.amdhsa_system_sgpr_workgroup_id_x 1
		.amdhsa_system_sgpr_workgroup_id_y 1
		.amdhsa_system_sgpr_workgroup_id_z 0
		.amdhsa_system_sgpr_workgroup_info 0
		.amdhsa_system_vgpr_workitem_id 0
		.amdhsa_next_free_vgpr 19
		.amdhsa_next_free_sgpr 30
		.amdhsa_reserve_vcc 1
		.amdhsa_reserve_flat_scratch 0
		.amdhsa_float_round_mode_32 0
		.amdhsa_float_round_mode_16_64 0
		.amdhsa_float_denorm_mode_32 3
		.amdhsa_float_denorm_mode_16_64 3
		.amdhsa_dx10_clamp 1
		.amdhsa_ieee_mode 1
		.amdhsa_fp16_overflow 0
		.amdhsa_workgroup_processor_mode 1
		.amdhsa_memory_ordered 1
		.amdhsa_forward_progress 1
		.amdhsa_shared_vgpr_count 0
		.amdhsa_exception_fp_ieee_invalid_op 0
		.amdhsa_exception_fp_denorm_src 0
		.amdhsa_exception_fp_ieee_div_zero 0
		.amdhsa_exception_fp_ieee_overflow 0
		.amdhsa_exception_fp_ieee_underflow 0
		.amdhsa_exception_fp_ieee_inexact 0
		.amdhsa_exception_int_div_zero 0
	.end_amdhsa_kernel
	.section	.text._ZN4vllm32paged_attention_v2_reduce_kernelI14__hip_bfloat16Li64ELi128ELi512EEEvPT_PKfS5_PKS2_PKii,"axG",@progbits,_ZN4vllm32paged_attention_v2_reduce_kernelI14__hip_bfloat16Li64ELi128ELi512EEEvPT_PKfS5_PKS2_PKii,comdat
.Lfunc_end129:
	.size	_ZN4vllm32paged_attention_v2_reduce_kernelI14__hip_bfloat16Li64ELi128ELi512EEEvPT_PKfS5_PKS2_PKii, .Lfunc_end129-_ZN4vllm32paged_attention_v2_reduce_kernelI14__hip_bfloat16Li64ELi128ELi512EEEvPT_PKfS5_PKS2_PKii
                                        ; -- End function
	.set _ZN4vllm32paged_attention_v2_reduce_kernelI14__hip_bfloat16Li64ELi128ELi512EEEvPT_PKfS5_PKS2_PKii.num_vgpr, 19
	.set _ZN4vllm32paged_attention_v2_reduce_kernelI14__hip_bfloat16Li64ELi128ELi512EEEvPT_PKfS5_PKS2_PKii.num_agpr, 0
	.set _ZN4vllm32paged_attention_v2_reduce_kernelI14__hip_bfloat16Li64ELi128ELi512EEEvPT_PKfS5_PKS2_PKii.numbered_sgpr, 30
	.set _ZN4vllm32paged_attention_v2_reduce_kernelI14__hip_bfloat16Li64ELi128ELi512EEEvPT_PKfS5_PKS2_PKii.num_named_barrier, 0
	.set _ZN4vllm32paged_attention_v2_reduce_kernelI14__hip_bfloat16Li64ELi128ELi512EEEvPT_PKfS5_PKS2_PKii.private_seg_size, 0
	.set _ZN4vllm32paged_attention_v2_reduce_kernelI14__hip_bfloat16Li64ELi128ELi512EEEvPT_PKfS5_PKS2_PKii.uses_vcc, 1
	.set _ZN4vllm32paged_attention_v2_reduce_kernelI14__hip_bfloat16Li64ELi128ELi512EEEvPT_PKfS5_PKS2_PKii.uses_flat_scratch, 0
	.set _ZN4vllm32paged_attention_v2_reduce_kernelI14__hip_bfloat16Li64ELi128ELi512EEEvPT_PKfS5_PKS2_PKii.has_dyn_sized_stack, 0
	.set _ZN4vllm32paged_attention_v2_reduce_kernelI14__hip_bfloat16Li64ELi128ELi512EEEvPT_PKfS5_PKS2_PKii.has_recursion, 0
	.set _ZN4vllm32paged_attention_v2_reduce_kernelI14__hip_bfloat16Li64ELi128ELi512EEEvPT_PKfS5_PKS2_PKii.has_indirect_call, 0
	.section	.AMDGPU.csdata,"",@progbits
; Kernel info:
; codeLenInByte = 2332
; TotalNumSgprs: 32
; NumVgprs: 19
; ScratchSize: 0
; MemoryBound: 0
; FloatMode: 240
; IeeeMode: 1
; LDSByteSize: 32 bytes/workgroup (compile time only)
; SGPRBlocks: 0
; VGPRBlocks: 2
; NumSGPRsForWavesPerEU: 32
; NumVGPRsForWavesPerEU: 19
; Occupancy: 16
; WaveLimiterHint : 0
; COMPUTE_PGM_RSRC2:SCRATCH_EN: 0
; COMPUTE_PGM_RSRC2:USER_SGPR: 6
; COMPUTE_PGM_RSRC2:TRAP_HANDLER: 0
; COMPUTE_PGM_RSRC2:TGID_X_EN: 1
; COMPUTE_PGM_RSRC2:TGID_Y_EN: 1
; COMPUTE_PGM_RSRC2:TGID_Z_EN: 0
; COMPUTE_PGM_RSRC2:TIDIG_COMP_CNT: 0
	.section	.text._ZN4vllm25paged_attention_v2_kernelI14__hip_bfloat16S1_Li80ELi8ELi128ELNS_18Fp8KVCacheDataTypeE0ELb1ELi512EEEvPfS3_PT_PKS4_PKT0_SA_ifPKiSC_iPKfiiiSE_SE_iiiii,"axG",@progbits,_ZN4vllm25paged_attention_v2_kernelI14__hip_bfloat16S1_Li80ELi8ELi128ELNS_18Fp8KVCacheDataTypeE0ELb1ELi512EEEvPfS3_PT_PKS4_PKT0_SA_ifPKiSC_iPKfiiiSE_SE_iiiii,comdat
	.protected	_ZN4vllm25paged_attention_v2_kernelI14__hip_bfloat16S1_Li80ELi8ELi128ELNS_18Fp8KVCacheDataTypeE0ELb1ELi512EEEvPfS3_PT_PKS4_PKT0_SA_ifPKiSC_iPKfiiiSE_SE_iiiii ; -- Begin function _ZN4vllm25paged_attention_v2_kernelI14__hip_bfloat16S1_Li80ELi8ELi128ELNS_18Fp8KVCacheDataTypeE0ELb1ELi512EEEvPfS3_PT_PKS4_PKT0_SA_ifPKiSC_iPKfiiiSE_SE_iiiii
	.globl	_ZN4vllm25paged_attention_v2_kernelI14__hip_bfloat16S1_Li80ELi8ELi128ELNS_18Fp8KVCacheDataTypeE0ELb1ELi512EEEvPfS3_PT_PKS4_PKT0_SA_ifPKiSC_iPKfiiiSE_SE_iiiii
	.p2align	8
	.type	_ZN4vllm25paged_attention_v2_kernelI14__hip_bfloat16S1_Li80ELi8ELi128ELNS_18Fp8KVCacheDataTypeE0ELb1ELi512EEEvPfS3_PT_PKS4_PKT0_SA_ifPKiSC_iPKfiiiSE_SE_iiiii,@function
_ZN4vllm25paged_attention_v2_kernelI14__hip_bfloat16S1_Li80ELi8ELi128ELNS_18Fp8KVCacheDataTypeE0ELb1ELi512EEEvPfS3_PT_PKS4_PKT0_SA_ifPKiSC_iPKfiiiSE_SE_iiiii: ; @_ZN4vllm25paged_attention_v2_kernelI14__hip_bfloat16S1_Li80ELi8ELi128ELNS_18Fp8KVCacheDataTypeE0ELb1ELi512EEEvPfS3_PT_PKS4_PKT0_SA_ifPKiSC_iPKfiiiSE_SE_iiiii
; %bb.0:
	s_load_dwordx2 s[0:1], s[4:5], 0x40
	s_mov_b32 s10, s7
	s_ashr_i32 s11, s7, 31
	s_lshl_b64 s[2:3], s[10:11], 2
	s_waitcnt lgkmcnt(0)
	s_add_u32 s0, s0, s2
	s_addc_u32 s1, s1, s3
	s_lshl_b32 s11, s8, 9
	s_load_dword s33, s[0:1], 0x0
	s_waitcnt lgkmcnt(0)
	s_cmp_ge_i32 s11, s33
	s_cbranch_scc1 .LBB130_69
; %bb.1:
	s_clause 0x1
	s_load_dword s9, s[4:5], 0x90
	s_load_dwordx2 s[28:29], s[4:5], 0x30
	s_mov_b32 s43, 0
	s_waitcnt lgkmcnt(0)
	s_abs_i32 s3, s9
	s_abs_i32 s0, s28
	v_cvt_f32_u32_e32 v1, s0
	s_sub_i32 s2, 0, s0
	v_rcp_iflag_f32_e32 v1, v1
	v_mul_f32_e32 v1, 0x4f7ffffe, v1
	v_cvt_u32_f32_e32 v1, v1
	v_readfirstlane_b32 s1, v1
	s_mul_i32 s2, s2, s1
	s_mul_hi_u32 s2, s1, s2
	s_add_i32 s1, s1, s2
	s_xor_b32 s2, s9, s28
	s_mul_hi_u32 s1, s3, s1
	s_ashr_i32 s2, s2, 31
	s_mul_i32 s7, s1, s0
	s_sub_i32 s3, s3, s7
	s_add_i32 s7, s1, 1
	s_sub_i32 s12, s3, s0
	s_cmp_ge_u32 s3, s0
	s_cselect_b32 s1, s7, s1
	s_cselect_b32 s3, s12, s3
	s_add_i32 s7, s1, 1
	s_cmp_ge_u32 s3, s0
	s_cselect_b32 s0, s7, s1
	s_xor_b32 s0, s0, s2
	s_sub_i32 s16, s0, s2
	s_load_dwordx2 s[0:1], s[4:5], 0x50
	s_abs_i32 s2, s16
	v_cvt_f32_u32_e32 v1, s2
	s_sub_i32 s3, 0, s2
	v_rcp_iflag_f32_e32 v1, v1
	v_mul_f32_e32 v1, 0x4f7ffffe, v1
	v_cvt_u32_f32_e32 v1, v1
	v_readfirstlane_b32 s7, v1
	s_mul_i32 s3, s3, s7
	s_mul_hi_u32 s12, s7, s3
	s_abs_i32 s3, s6
	s_add_i32 s7, s7, s12
	s_waitcnt lgkmcnt(0)
	s_cmp_eq_u64 s[0:1], 0
	s_mul_hi_u32 s20, s3, s7
	s_cbranch_scc1 .LBB130_3
; %bb.2:
	s_ashr_i32 s7, s6, 31
	s_lshl_b64 s[12:13], s[6:7], 2
	s_add_u32 s0, s0, s12
	s_addc_u32 s1, s1, s13
	s_load_dword s43, s[0:1], 0x0
.LBB130_3:
	s_load_dwordx4 s[12:15], s[4:5], 0x58
	v_and_b32_e32 v1, 3, v0
	v_lshlrev_b32_e32 v2, 2, v0
	s_ashr_i32 s0, s6, 31
	s_ashr_i32 s1, s16, 31
	s_mul_i32 s24, s6, 0x50
	s_mov_b32 s7, exec_lo
	v_cmpx_gt_u32_e32 40, v0
	s_cbranch_execz .LBB130_5
; %bb.4:
	s_load_dwordx2 s[16:17], s[4:5], 0x18
	s_waitcnt lgkmcnt(0)
	s_mul_i32 s18, s12, s10
	v_and_b32_e32 v4, 0x3fc, v0
	s_ashr_i32 s19, s18, 31
	s_lshl_b64 s[18:19], s[18:19], 1
	v_mad_u32_u24 v4, v1, 40, v4
	s_add_u32 s12, s16, s18
	s_addc_u32 s15, s17, s19
	s_ashr_i32 s25, s24, 31
	s_lshl_b64 s[16:17], s[24:25], 1
	s_add_u32 s16, s12, s16
	s_addc_u32 s17, s15, s17
	global_load_dword v3, v2, s[16:17]
	s_waitcnt vmcnt(0)
	ds_write_b32 v4, v3
.LBB130_5:
	s_or_b32 exec_lo, exec_lo, s7
	s_load_dwordx4 s[16:19], s[4:5], 0x78
	s_mul_i32 s7, s20, s2
	s_xor_b32 s0, s0, s1
	s_sub_i32 s1, s3, s7
	s_add_i32 s3, s20, 1
	s_sub_i32 s7, s1, s2
	s_cmp_ge_u32 s1, s2
	s_waitcnt lgkmcnt(0)
	s_mov_b32 s12, -1
	s_cselect_b32 s3, s3, s20
	s_cselect_b32 s1, s7, s1
	s_add_i32 s7, s3, 1
	s_cmp_ge_u32 s1, s2
                                        ; implicit-def: $sgpr40
	s_cselect_b32 s1, s7, s3
	s_load_dword s3, s[4:5], 0x88
	s_xor_b32 s1, s1, s0
	s_add_i32 s7, s33, -1
	s_sub_i32 s1, s1, s0
	s_abs_i32 s2, s7
	s_waitcnt lgkmcnt(0)
	s_abs_i32 s38, s19
	s_barrier
	v_cvt_f32_u32_e32 v3, s38
	s_sub_i32 s0, 0, s38
	buffer_gl0_inv
	v_rcp_iflag_f32_e32 v3, v3
	v_mul_f32_e32 v3, 0x4f7ffffe, v3
	v_cvt_u32_f32_e32 v3, v3
	v_readfirstlane_b32 s39, v3
	s_mul_i32 s0, s0, s39
	s_mul_hi_u32 s0, s39, s0
	s_add_i32 s39, s39, s0
	s_cmp_lt_i32 s3, 0
	s_mul_hi_u32 s0, s2, s39
	s_cbranch_scc0 .LBB130_7
; %bb.6:
	s_mul_i32 s12, s16, s28
	s_add_i32 s12, s1, s12
	s_mul_i32 s12, s12, s3
	s_sub_i32 s40, 1, s12
	s_mov_b32 s12, 0
.LBB130_7:
	s_load_dwordx2 s[30:31], s[4:5], 0x38
	s_ashr_i32 s7, s7, 31
	s_andn2_b32 vcc_lo, exec_lo, s12
	s_ashr_i32 s41, s19, 31
	s_cbranch_vccnz .LBB130_9
; %bb.8:
	s_mul_i32 s12, s9, s16
	s_add_i32 s12, s12, s6
	s_mul_i32 s3, s12, s3
	s_add_i32 s40, s3, 1
.LBB130_9:
	s_clause 0x4
	s_load_dword s3, s[4:5], 0x48
	s_load_dwordx2 s[36:37], s[4:5], 0x28
	s_load_dword s25, s[4:5], 0x98
	s_load_dwordx4 s[20:23], s[4:5], 0x0
	s_load_dwordx2 s[26:27], s[4:5], 0x10
	s_xor_b32 s12, s7, s41
	s_mul_i32 s7, s0, s38
	s_add_i32 s15, s0, 1
	s_sub_i32 s2, s2, s7
	v_lshrrev_b32_e32 v20, 5, v0
	v_mov_b32_e32 v4, 0xff7fffff
	v_mbcnt_lo_u32_b32 v3, -1, 0
	s_mul_i32 s14, s1, s14
	v_lshl_add_u32 v21, v20, 3, s11
	s_waitcnt lgkmcnt(0)
	s_mul_i32 s34, s3, s10
	s_sub_i32 s3, s2, s38
	s_ashr_i32 s35, s34, 31
	s_cmp_ge_u32 s2, s38
	s_cselect_b32 s0, s15, s0
	s_cselect_b32 s2, s3, s2
	s_add_i32 s3, s0, 1
	s_cmp_ge_u32 s2, s38
	s_cselect_b32 s0, s3, s0
	s_add_i32 s2, s33, 7
	s_lshl_b32 s16, s8, 6
	s_ashr_i32 s3, s2, 31
	v_or_b32_e32 v17, s16, v20
	s_lshr_b32 s3, s3, 29
	s_add_i32 s2, s2, s3
	s_add_i32 s3, s16, 64
	s_ashr_i32 s7, s2, 3
	s_xor_b32 s2, s0, s12
	s_min_i32 s42, s3, s7
	v_ashrrev_i32_e32 v18, 31, v17
	v_cmp_gt_i32_e64 s0, s42, v17
	s_sub_i32 s12, s2, s12
	s_and_saveexec_b32 s19, s0
	s_cbranch_execz .LBB130_21
; %bb.10:
	s_load_dwordx2 s[2:3], s[4:5], 0x20
	s_ashr_i32 s15, s14, 31
	s_sub_i32 s4, s12, s17
	s_lshl_b64 s[44:45], s[14:15], 1
	v_bfe_u32 v5, v0, 2, 3
	v_cmp_eq_u32_e32 vcc_lo, 0, v1
	v_and_b32_e32 v13, 12, v2
	v_mul_u32_u24_e32 v6, 40, v1
	v_lshlrev_b64 v[1:2], 2, v[17:18]
	v_lshlrev_b32_e32 v11, 2, v5
	v_subrev_nc_u32_e32 v14, s33, v5
	v_lshlrev_b32_e32 v19, 4, v5
	v_cmp_neq_f32_e64 s1, s43, 0
	v_lshl_add_u32 v7, v20, 3, s11
	v_lshl_or_b32 v15, v20, 5, v11
	v_add_nc_u32_e32 v11, 1, v14
	v_mov_b32_e32 v8, 0xff7fffff
	v_xor_b32_e32 v9, 2, v3
	v_xor_b32_e32 v10, 1, v3
	s_waitcnt lgkmcnt(0)
	s_add_u32 s15, s2, s44
	s_addc_u32 s28, s3, s45
	s_abs_i32 s5, s18
	v_cvt_f32_u32_e32 v4, s5
	s_sub_i32 s2, 0, s5
	v_rcp_iflag_f32_e32 v4, v4
	v_mul_f32_e32 v12, 0x4f7ffffe, v4
	v_mov_b32_e32 v4, 0xff7fffff
	v_cvt_u32_f32_e32 v16, v12
	v_add_nc_u32_e32 v12, 0xc0, v15
	v_add_co_u32 v15, s15, s15, v19
	v_add_co_ci_u32_e64 v19, null, s28, 0, s15
	v_mul_lo_u32 v14, s2, v16
	s_lshl_b64 s[2:3], s[34:35], 2
	s_mov_b32 s15, 0
	s_add_u32 s2, s30, s2
	s_addc_u32 s3, s31, s3
	v_add_co_u32 v1, s2, s2, v1
	v_add_co_ci_u32_e64 v2, null, s3, v2, s2
	v_mul_hi_u32 v22, v16, v14
	v_add_co_u32 v13, s2, v15, v13
	v_add_co_ci_u32_e64 v14, null, 0, v19, s2
	s_mov_b32 s28, s13
	v_add_nc_u32_e32 v15, v16, v22
	v_mov_b32_e32 v16, v17
	s_branch .LBB130_13
.LBB130_11:                             ;   in Loop: Header=BB130_13 Depth=1
	s_or_b32 exec_lo, exec_lo, s44
.LBB130_12:                             ;   in Loop: Header=BB130_13 Depth=1
	s_or_b32 exec_lo, exec_lo, s3
	v_add_nc_u32_e32 v16, 4, v16
	v_add_co_u32 v1, s3, v1, 16
	v_add_co_ci_u32_e64 v2, null, 0, v2, s3
	v_cmp_le_i32_e64 s2, s42, v16
	v_add_nc_u32_e32 v7, 32, v7
	v_add_nc_u32_e32 v12, 0x80, v12
	s_or_b32 s15, s2, s15
	s_andn2_b32 exec_lo, exec_lo, s15
	s_cbranch_execz .LBB130_20
.LBB130_13:                             ; =>This Inner Loop Header: Depth=1
	v_sub_nc_u32_e32 v19, 0, v7
	v_max_i32_e32 v19, v7, v19
	s_waitcnt lgkmcnt(0)
	v_mul_hi_u32 v22, v19, s39
	v_mul_lo_u32 v23, v22, s38
	v_sub_nc_u32_e32 v19, v19, v23
	v_add_nc_u32_e32 v23, 1, v22
	v_subrev_nc_u32_e32 v24, s38, v19
	v_cmp_le_u32_e64 s2, s38, v19
	v_cndmask_b32_e64 v22, v22, v23, s2
	v_cndmask_b32_e64 v19, v19, v24, s2
	v_ashrrev_i32_e32 v23, 31, v7
	v_add_nc_u32_e32 v24, 1, v22
	v_cmp_le_u32_e64 s2, s38, v19
	v_xor_b32_e32 v23, s41, v23
	v_cndmask_b32_e64 v19, v22, v24, s2
	v_xor_b32_e32 v19, v19, v23
	v_sub_nc_u32_e32 v19, v19, v23
	v_add_nc_u32_e32 v22, s40, v19
	v_cmp_ge_i32_e64 s3, s4, v19
	v_sub_nc_u32_e32 v23, 0, v22
	v_max_i32_e32 v23, v22, v23
	v_ashrrev_i32_e32 v22, 31, v22
	v_mul_hi_u32 v24, v23, v15
	v_mul_lo_u32 v24, v24, s5
	v_sub_nc_u32_e32 v23, v23, v24
	v_subrev_nc_u32_e32 v24, s5, v23
	v_cmp_le_u32_e64 s2, s5, v23
	v_cndmask_b32_e64 v23, v23, v24, s2
	v_subrev_nc_u32_e32 v24, s5, v23
	v_cmp_le_u32_e64 s2, s5, v23
	v_cndmask_b32_e64 v23, v23, v24, s2
	v_xor_b32_e32 v23, v23, v22
	v_sub_nc_u32_e32 v22, v23, v22
	v_cmp_ne_u32_e64 s2, 0, v22
	s_and_b32 s2, s2, s3
	s_and_saveexec_b32 s3, s2
	s_xor_b32 s2, exec_lo, s3
	s_cbranch_execz .LBB130_17
; %bb.14:                               ;   in Loop: Header=BB130_13 Depth=1
	s_and_saveexec_b32 s3, vcc_lo
; %bb.15:                               ;   in Loop: Header=BB130_13 Depth=1
	ds_write_b32 v12, v8
; %bb.16:                               ;   in Loop: Header=BB130_13 Depth=1
	s_or_b32 exec_lo, exec_lo, s3
.LBB130_17:                             ;   in Loop: Header=BB130_13 Depth=1
	s_andn2_saveexec_b32 s3, s2
	s_cbranch_execz .LBB130_12
; %bb.18:                               ;   in Loop: Header=BB130_13 Depth=1
	global_load_dword v19, v[1:2], off
	s_waitcnt vmcnt(0)
	v_mad_i64_i32 v[22:23], null, v19, s28, 0
	v_lshlrev_b64 v[22:23], 1, v[22:23]
	v_add_co_u32 v22, s2, v13, v22
	v_add_co_ci_u32_e64 v23, null, v14, v23, s2
	v_cmp_gt_i32_e64 s2, 32, v9
	s_clause 0x9
	global_load_dword v19, v[22:23], off offset:128
	global_load_dword v32, v[22:23], off
	global_load_dword v33, v[22:23], off offset:256
	global_load_dword v34, v[22:23], off offset:384
	;; [unrolled: 1-line block ×8, first 2 shown]
	ds_read2_b64 v[22:25], v6 offset1:1
	ds_read2_b64 v[26:29], v6 offset0:2 offset1:3
	ds_read_b64 v[30:31], v6 offset:32
	s_waitcnt lgkmcnt(2)
	v_lshlrev_b32_e32 v42, 16, v23
	v_and_b32_e32 v23, 0xffff0000, v23
	v_lshlrev_b32_e32 v41, 16, v22
	v_and_b32_e32 v22, 0xffff0000, v22
	v_lshlrev_b32_e32 v43, 16, v24
	v_lshlrev_b32_e32 v44, 16, v25
	s_waitcnt lgkmcnt(1)
	v_lshlrev_b32_e32 v45, 16, v26
	v_lshlrev_b32_e32 v46, 16, v27
	v_lshlrev_b32_e32 v47, 16, v28
	v_lshlrev_b32_e32 v48, 16, v29
	s_waitcnt lgkmcnt(0)
	v_lshlrev_b32_e32 v49, 16, v30
	v_lshlrev_b32_e32 v50, 16, v31
	s_waitcnt vmcnt(9)
	v_lshlrev_b32_e32 v51, 16, v19
	v_and_b32_e32 v19, 0xffff0000, v19
	s_waitcnt vmcnt(8)
	v_lshlrev_b32_e32 v52, 16, v32
	v_and_b32_e32 v32, 0xffff0000, v32
	v_mul_f32_e32 v42, v42, v51
	v_mul_f32_e32 v19, v23, v19
	v_and_b32_e32 v23, 0xffff0000, v24
	s_waitcnt vmcnt(7)
	v_lshlrev_b32_e32 v24, 16, v33
	v_and_b32_e32 v33, 0xffff0000, v33
	v_fmac_f32_e32 v42, v41, v52
	v_fmac_f32_e32 v19, v22, v32
	v_and_b32_e32 v22, 0xffff0000, v25
	s_waitcnt vmcnt(6)
	v_lshlrev_b32_e32 v25, 16, v34
	v_and_b32_e32 v32, 0xffff0000, v34
	v_fmac_f32_e32 v42, v43, v24
	v_fmac_f32_e32 v19, v23, v33
	;; [unrolled: 6-line block ×8, first 2 shown]
	v_cndmask_b32_e64 v23, v3, v9, s2
	v_cmp_gt_i32_e64 s2, 32, v10
	v_fmac_f32_e32 v42, v50, v25
	v_fmac_f32_e32 v19, v22, v27
	v_lshlrev_b32_e32 v22, 2, v23
	v_cndmask_b32_e64 v23, v3, v10, s2
	v_add_f32_e32 v19, v42, v19
	v_lshlrev_b32_e32 v23, 2, v23
	ds_bpermute_b32 v22, v22, v19
	s_waitcnt lgkmcnt(0)
	v_add_f32_e32 v19, v19, v22
	ds_bpermute_b32 v22, v23, v19
	s_and_saveexec_b32 s44, vcc_lo
	s_cbranch_execz .LBB130_11
; %bb.19:                               ;   in Loop: Header=BB130_13 Depth=1
	v_add_nc_u32_e32 v23, v11, v7
	s_waitcnt lgkmcnt(0)
	v_add_f32_e32 v19, v19, v22
	v_cvt_f32_i32_e32 v23, v23
	v_mul_f32_e32 v23, s43, v23
	v_cndmask_b32_e64 v22, 0, v23, s1
	v_max_f32_e32 v23, v4, v4
	v_fmac_f32_e32 v22, s29, v19
	v_add_nc_u32_e32 v19, v5, v7
	v_max_f32_e32 v23, v23, v22
	v_cmp_gt_i32_e64 s2, s33, v19
	v_cndmask_b32_e64 v19, 0, v22, s2
	v_cndmask_b32_e64 v4, v4, v23, s2
	ds_write_b32 v12, v19
	s_branch .LBB130_11
.LBB130_20:
	s_or_b32 exec_lo, exec_lo, s15
.LBB130_21:
	s_or_b32 exec_lo, exec_lo, s19
	v_xor_b32_e32 v1, 16, v3
	v_xor_b32_e32 v5, 8, v3
	v_max_f32_e32 v6, v4, v4
	s_waitcnt lgkmcnt(0)
	v_and_b32_e32 v22, 31, v0
	v_cmp_gt_i32_e32 vcc_lo, 32, v1
	v_cndmask_b32_e32 v1, v3, v1, vcc_lo
	v_cmp_gt_i32_e32 vcc_lo, 32, v5
	v_lshlrev_b32_e32 v2, 2, v1
	ds_bpermute_b32 v1, v2, v4
	v_cndmask_b32_e32 v4, v3, v5, vcc_lo
	v_lshlrev_b32_e32 v4, 2, v4
	s_waitcnt lgkmcnt(0)
	v_max_f32_e32 v1, v1, v1
	v_max_f32_e32 v1, v6, v1
	v_xor_b32_e32 v6, 4, v3
	ds_bpermute_b32 v5, v4, v1
	v_cmp_gt_i32_e32 vcc_lo, 32, v6
	v_cndmask_b32_e32 v6, v3, v6, vcc_lo
	v_cmp_eq_u32_e32 vcc_lo, 0, v22
	v_lshlrev_b32_e32 v7, 2, v6
	s_waitcnt lgkmcnt(0)
	v_max_f32_e32 v5, v5, v5
	v_max_f32_e32 v1, v1, v5
	v_lshlrev_b32_e32 v5, 2, v20
	ds_bpermute_b32 v6, v7, v1
	s_and_saveexec_b32 s1, vcc_lo
	s_cbranch_execz .LBB130_23
; %bb.22:
	s_waitcnt lgkmcnt(0)
	v_max_f32_e32 v6, v6, v6
	v_max_f32_e32 v1, v1, v1
	;; [unrolled: 1-line block ×3, first 2 shown]
	ds_write_b32 v5, v1 offset:160
.LBB130_23:
	s_or_b32 exec_lo, exec_lo, s1
	v_cmp_gt_u32_e64 s1, 4, v22
	v_mov_b32_e32 v1, 0xff7fffff
	s_waitcnt lgkmcnt(0)
	v_lshlrev_b32_e32 v6, 2, v22
	s_barrier
	buffer_gl0_inv
	s_and_saveexec_b32 s2, s1
; %bb.24:
	ds_read_b32 v1, v6 offset:160
; %bb.25:
	s_or_b32 exec_lo, exec_lo, s2
	v_xor_b32_e32 v8, 2, v3
	v_xor_b32_e32 v10, 1, v3
	v_lshl_add_u32 v23, v0, 2, 0xc0
	v_cmp_gt_i32_e64 s2, 32, v8
	v_cndmask_b32_e64 v8, v3, v8, s2
	v_cmp_gt_i32_e64 s2, 32, v10
	v_lshlrev_b32_e32 v8, 2, v8
	v_cndmask_b32_e64 v3, v3, v10, s2
	s_sub_i32 s2, s42, s16
	s_lshl_b32 s2, s2, 3
	s_waitcnt lgkmcnt(0)
	ds_bpermute_b32 v9, v8, v1
	v_max_f32_e32 v1, v1, v1
	v_lshlrev_b32_e32 v3, 2, v3
	s_add_i32 s2, s2, s11
	s_min_i32 s2, s2, s33
	s_sub_i32 s4, s2, s11
	v_cmp_gt_i32_e64 s2, s4, v0
	s_waitcnt lgkmcnt(0)
	v_max_f32_e32 v9, v9, v9
	v_max_f32_e32 v1, v1, v9
	ds_bpermute_b32 v9, v3, v1
	s_waitcnt lgkmcnt(0)
	v_max_f32_e32 v9, v9, v9
	v_max_f32_e32 v1, v1, v9
	v_mov_b32_e32 v9, 0
	ds_bpermute_b32 v1, v9, v1
	s_and_saveexec_b32 s5, s2
	s_cbranch_execz .LBB130_29
; %bb.26:
	v_lshl_add_u32 v10, v0, 2, 0xc0
	v_mov_b32_e32 v9, 0
	v_mov_b32_e32 v11, v0
	s_mov_b32 s11, 0
	.p2align	6
.LBB130_27:                             ; =>This Inner Loop Header: Depth=1
	ds_read_b32 v12, v10
	v_add_nc_u32_e32 v11, 0x80, v11
	v_cmp_le_i32_e64 s3, s4, v11
	s_or_b32 s11, s3, s11
	s_waitcnt lgkmcnt(0)
	v_sub_f32_e32 v12, v12, v1
	v_mul_f32_e32 v12, 0x3fb8aa3b, v12
	v_exp_f32_e32 v12, v12
	ds_write_b32 v10, v12
	v_add_f32_e32 v9, v9, v12
	v_add_nc_u32_e32 v10, 0x200, v10
	s_andn2_b32 exec_lo, exec_lo, s11
	s_cbranch_execnz .LBB130_27
; %bb.28:
	s_or_b32 exec_lo, exec_lo, s11
.LBB130_29:
	s_or_b32 exec_lo, exec_lo, s5
	ds_bpermute_b32 v2, v2, v9
	s_waitcnt lgkmcnt(0)
	v_add_f32_e32 v2, v9, v2
	ds_bpermute_b32 v4, v4, v2
	s_waitcnt lgkmcnt(0)
	v_add_f32_e32 v2, v2, v4
	;; [unrolled: 3-line block ×5, first 2 shown]
	s_and_saveexec_b32 s3, vcc_lo
; %bb.30:
	ds_write_b32 v5, v2 offset:176
; %bb.31:
	s_or_b32 exec_lo, exec_lo, s3
	s_waitcnt lgkmcnt(0)
	s_barrier
	buffer_gl0_inv
	s_and_saveexec_b32 s3, s1
; %bb.32:
	ds_read_b32 v2, v6 offset:176
; %bb.33:
	s_or_b32 exec_lo, exec_lo, s3
	s_waitcnt lgkmcnt(0)
	ds_bpermute_b32 v4, v8, v2
	s_waitcnt lgkmcnt(0)
	v_add_f32_e32 v2, v2, v4
	ds_bpermute_b32 v3, v3, v2
	s_waitcnt lgkmcnt(0)
	v_add_f32_e32 v2, v2, v3
	v_mov_b32_e32 v3, 0
	ds_bpermute_b32 v2, v3, v2
	s_and_saveexec_b32 s1, s2
	s_cbranch_execz .LBB130_36
; %bb.34:
	s_waitcnt lgkmcnt(0)
	v_add_f32_e32 v4, 0x358637bd, v2
	s_mov_b32 s2, 0
	v_div_scale_f32 v3, null, v4, v4, 1.0
	v_div_scale_f32 v7, vcc_lo, 1.0, v4, 1.0
	v_rcp_f32_e32 v5, v3
	v_fma_f32 v6, -v3, v5, 1.0
	v_fmac_f32_e32 v5, v6, v5
	v_mul_f32_e32 v6, v7, v5
	v_fma_f32 v8, -v3, v6, v7
	v_fmac_f32_e32 v6, v8, v5
	v_fma_f32 v3, -v3, v6, v7
	v_div_fmas_f32 v5, v3, v5, v6
	v_mov_b32_e32 v3, v23
	v_div_fixup_f32 v4, v5, v4, 1.0
	v_mov_b32_e32 v5, v0
.LBB130_35:                             ; =>This Inner Loop Header: Depth=1
	ds_read_b32 v6, v3
	v_add_nc_u32_e32 v5, 0x80, v5
	v_cmp_le_i32_e32 vcc_lo, s4, v5
	s_or_b32 s2, vcc_lo, s2
	s_waitcnt lgkmcnt(0)
	v_mul_f32_e32 v6, v4, v6
	ds_write_b32 v3, v6
	v_add_nc_u32_e32 v3, 0x200, v3
	s_andn2_b32 exec_lo, exec_lo, s2
	s_cbranch_execnz .LBB130_35
.LBB130_36:
	s_or_b32 exec_lo, exec_lo, s1
	s_mul_i32 s1, s25, s10
	s_waitcnt lgkmcnt(0)
	s_mul_i32 s28, s1, s9
	s_mov_b32 s1, exec_lo
	s_barrier
	buffer_gl0_inv
	v_cmpx_eq_u32_e32 0, v0
	s_cbranch_execz .LBB130_38
; %bb.37:
	s_ashr_i32 s29, s28, 31
	s_mul_i32 s4, s25, s6
	s_lshl_b64 s[2:3], s[28:29], 2
	v_mov_b32_e32 v3, 0
	s_add_u32 s6, s22, s2
	s_addc_u32 s9, s23, s3
	s_ashr_i32 s5, s4, 31
	s_lshl_b64 s[4:5], s[4:5], 2
	s_add_u32 s6, s6, s4
	s_addc_u32 s15, s9, s5
	s_ashr_i32 s9, s8, 31
	s_lshl_b64 s[10:11], s[8:9], 2
	s_add_u32 s22, s6, s10
	s_addc_u32 s23, s15, s11
	s_add_u32 s2, s20, s2
	s_addc_u32 s3, s21, s3
	;; [unrolled: 2-line block ×4, first 2 shown]
	global_store_dword v3, v1, s[22:23]
	global_store_dword v3, v2, s[2:3]
.LBB130_38:
	s_or_b32 exec_lo, exec_lo, s1
	v_mov_b32_e32 v26, 0
	v_or_b32_e32 v27, 64, v22
	v_mov_b32_e32 v25, 0
	v_mov_b32_e32 v24, 0
	s_and_saveexec_b32 s20, s0
	s_cbranch_execz .LBB130_52
; %bb.39:
	s_ashr_i32 s15, s14, 31
	s_sub_i32 s21, s12, s17
	s_lshl_b64 s[0:1], s[14:15], 1
	v_lshlrev_b32_e32 v3, 3, v22
	s_add_u32 s22, s36, s0
	s_addc_u32 s23, s37, s1
	s_abs_i32 s29, s18
	s_lshl_b64 s[2:3], s[34:35], 2
	v_cvt_f32_u32_e32 v1, s29
	s_sub_i32 s1, 0, s29
	v_lshlrev_b32_e32 v30, 1, v3
	v_lshlrev_b32_e32 v5, 3, v27
	s_add_i32 s36, s7, -1
	v_rcp_iflag_f32_e32 v1, v1
	v_mov_b32_e32 v28, 0
	v_cmp_gt_u32_e64 s0, 0x50, v27
	v_lshl_add_u32 v29, v20, 5, 0xc0
	v_mov_b32_e32 v24, 0
	v_mov_b32_e32 v25, 0
	v_lshlrev_b32_e32 v31, 1, v5
	v_mov_b32_e32 v26, 0
	s_mov_b32 s34, s33
	v_mul_f32_e32 v1, 0x4f7ffffe, v1
	v_cvt_u32_f32_e32 v4, v1
	v_lshlrev_b64 v[1:2], 2, v[17:18]
	v_mul_lo_u32 v6, s1, v4
	s_add_u32 s1, s30, s2
	s_addc_u32 s2, s31, s3
	v_add_co_u32 v18, vcc_lo, s1, v1
	v_add_co_ci_u32_e64 v19, null, s2, v2, vcc_lo
	s_mov_b32 s30, s13
	v_mul_hi_u32 v3, v4, v6
	s_mov_b32 s31, 0
	v_add_nc_u32_e32 v32, v4, v3
	s_branch .LBB130_43
.LBB130_40:                             ;   in Loop: Header=BB130_43 Depth=1
	s_or_b32 exec_lo, exec_lo, s43
	v_perm_b32 v11, v42, v41, 0x7060302
	s_waitcnt vmcnt(0)
	v_and_b32_e32 v41, 0xffff0000, v1
	v_perm_b32 v12, v44, v43, 0x7060302
	v_lshlrev_b32_e32 v1, 16, v1
	v_and_b32_e32 v43, 0xffff0000, v2
	v_and_b32_e32 v42, 0xffff0000, v11
	v_lshlrev_b32_e32 v11, 16, v11
	v_lshlrev_b32_e32 v2, 16, v2
	v_perm_b32 v33, v46, v45, 0x7060302
	v_perm_b32 v34, v48, v47, 0x7060302
	v_mul_f32_e32 v41, v42, v41
	v_and_b32_e32 v42, 0xffff0000, v12
	v_lshlrev_b32_e32 v12, 16, v12
	v_mul_f32_e32 v1, v11, v1
	v_and_b32_e32 v11, 0xffff0000, v3
	v_bfe_u32 v44, v41, 16, 1
	v_mul_f32_e32 v42, v42, v43
	v_mul_f32_e32 v2, v12, v2
	v_bfe_u32 v12, v1, 16, 1
	v_or_b32_e32 v43, 0x400000, v41
	v_add3_u32 v44, v44, v41, 0x7fff
	v_cmp_u_f32_e32 vcc_lo, v41, v41
	v_or_b32_e32 v45, 0x400000, v1
	v_bfe_u32 v46, v42, 16, 1
	v_add3_u32 v12, v12, v1, 0x7fff
	v_lshlrev_b32_e32 v3, 16, v3
	v_cndmask_b32_e32 v41, v44, v43, vcc_lo
	v_and_b32_e32 v43, 0xffff0000, v33
	v_cmp_u_f32_e32 vcc_lo, v1, v1
	v_or_b32_e32 v44, 0x400000, v42
	v_lshlrev_b32_e32 v33, 16, v33
	v_and_b32_e32 v41, 0xffff0000, v41
	v_mul_f32_e32 v11, v43, v11
	v_cndmask_b32_e32 v1, v12, v45, vcc_lo
	v_add3_u32 v12, v46, v42, 0x7fff
	v_bfe_u32 v45, v2, 16, 1
	v_cmp_u_f32_e32 vcc_lo, v42, v42
	v_or_b32_e32 v43, 0x400000, v2
	v_mul_f32_e32 v3, v33, v3
	v_and_b32_e32 v33, 0xffff0000, v4
	v_add3_u32 v42, v45, v2, 0x7fff
	v_cndmask_b32_e32 v12, v12, v44, vcc_lo
	v_bfe_u32 v44, v11, 16, 1
	v_and_b32_e32 v45, 0xffff0000, v34
	v_lshlrev_b32_e32 v4, 16, v4
	v_lshlrev_b32_e32 v34, 16, v34
	v_cmp_u_f32_e32 vcc_lo, v2, v2
	v_and_b32_e32 v1, 0xffff0000, v1
	v_mul_f32_e32 v33, v45, v33
	v_and_b32_e32 v12, 0xffff0000, v12
	v_mul_f32_e32 v4, v34, v4
	v_cndmask_b32_e32 v2, v42, v43, vcc_lo
	v_bfe_u32 v42, v3, 16, 1
	v_add3_u32 v43, v44, v11, 0x7fff
	v_or_b32_e32 v34, 0x400000, v11
	v_cmp_u_f32_e32 vcc_lo, v11, v11
	v_or_b32_e32 v44, 0x400000, v3
	v_add3_u32 v42, v42, v3, 0x7fff
	v_bfe_u32 v46, v4, 16, 1
	v_bfe_u32 v45, v33, 16, 1
	v_cndmask_b32_e32 v11, v43, v34, vcc_lo
	v_cmp_u_f32_e32 vcc_lo, v3, v3
	v_or_b32_e32 v43, 0x400000, v4
	v_and_b32_e32 v2, 0xffff0000, v2
	v_add3_u32 v34, v45, v33, 0x7fff
	v_add_f32_e32 v1, v1, v41
	v_cndmask_b32_e32 v3, v42, v44, vcc_lo
	v_add3_u32 v42, v46, v4, 0x7fff
	v_cmp_u_f32_e32 vcc_lo, v4, v4
	v_or_b32_e32 v44, 0x400000, v33
	v_add_f32_e32 v2, v2, v12
	v_and_b32_e32 v3, 0xffff0000, v3
	v_and_b32_e32 v11, 0xffff0000, v11
	v_cndmask_b32_e32 v4, v42, v43, vcc_lo
	v_cmp_u_f32_e32 vcc_lo, v33, v33
	v_add_f32_e32 v1, v2, v1
	v_add_f32_e32 v2, v3, v11
	v_and_b32_e32 v3, 0xffff0000, v4
	v_cndmask_b32_e32 v12, v34, v44, vcc_lo
	v_add_f32_e32 v1, v2, v1
	v_and_b32_e32 v4, 0xffff0000, v12
	v_add_f32_e32 v2, v3, v4
	v_add_f32_e32 v1, v2, v1
	;; [unrolled: 1-line block ×3, first 2 shown]
.LBB130_41:                             ;   in Loop: Header=BB130_43 Depth=1
	s_or_b32 exec_lo, exec_lo, s37
	v_bfe_u32 v1, v16, 16, 1
	v_bfe_u32 v2, v40, 16, 1
	v_or_b32_e32 v3, 0x400000, v16
	v_or_b32_e32 v4, 0x400000, v40
	v_bfe_u32 v11, v39, 16, 1
	v_add3_u32 v1, v1, v16, 0x7fff
	v_add3_u32 v2, v2, v40, 0x7fff
	v_bfe_u32 v12, v38, 16, 1
	v_bfe_u32 v16, v37, 16, 1
	v_or_b32_e32 v33, 0x400000, v37
	v_cndmask_b32_e64 v1, v1, v3, s11
	v_cndmask_b32_e64 v2, v2, v4, s18
	v_add3_u32 v3, v11, v39, 0x7fff
	v_or_b32_e32 v4, 0x400000, v39
	v_add3_u32 v11, v12, v38, 0x7fff
	v_or_b32_e32 v12, 0x400000, v38
	v_add3_u32 v16, v16, v37, 0x7fff
	v_bfe_u32 v34, v15, 16, 1
	v_cndmask_b32_e64 v3, v3, v4, s17
	v_and_b32_e32 v2, 0xffff0000, v2
	v_cndmask_b32_e64 v11, v11, v12, s13
	v_and_b32_e32 v1, 0xffff0000, v1
	;; [unrolled: 2-line block ×3, first 2 shown]
	v_add3_u32 v16, v34, v15, 0x7fff
	v_and_b32_e32 v11, 0xffff0000, v11
	v_or_b32_e32 v15, 0x400000, v15
	v_add_f32_e32 v1, v2, v1
	v_and_b32_e32 v12, 0xffff0000, v12
	v_bfe_u32 v33, v35, 16, 1
	v_add_f32_e32 v2, v11, v3
	v_cndmask_b32_e64 v3, v16, v15, s10
	v_bfe_u32 v15, v14, 16, 1
	v_bfe_u32 v16, v8, 16, 1
	v_add3_u32 v33, v33, v35, 0x7fff
	v_add_f32_e32 v1, v2, v1
	v_bfe_u32 v2, v13, 16, 1
	v_and_b32_e32 v3, 0xffff0000, v3
	v_add3_u32 v15, v15, v14, 0x7fff
	v_or_b32_e32 v14, 0x400000, v14
	v_or_b32_e32 v35, 0x400000, v35
	v_add3_u32 v2, v2, v13, 0x7fff
	v_or_b32_e32 v13, 0x400000, v13
	v_add_f32_e32 v3, v3, v12
	v_bfe_u32 v12, v7, 16, 1
	v_cndmask_b32_e64 v14, v15, v14, s7
	v_bfe_u32 v15, v9, 16, 1
	v_cndmask_b32_e64 v2, v2, v13, s9
	v_bfe_u32 v13, v10, 16, 1
	v_add3_u32 v12, v12, v7, 0x7fff
	v_or_b32_e32 v7, 0x400000, v7
	v_bfe_u32 v4, v36, 16, 1
	v_cndmask_b32_e64 v11, v33, v35, s16
	v_add3_u32 v13, v13, v10, 0x7fff
	v_or_b32_e32 v10, 0x400000, v10
	v_add3_u32 v15, v15, v9, 0x7fff
	v_or_b32_e32 v9, 0x400000, v9
	;; [unrolled: 2-line block ×3, first 2 shown]
	v_bfe_u32 v33, v6, 16, 1
	v_cndmask_b32_e64 v7, v12, v7, s3
	v_cndmask_b32_e64 v10, v13, v10, s4
	v_bfe_u32 v13, v5, 16, 1
	v_add3_u32 v4, v4, v36, 0x7fff
	v_or_b32_e32 v34, 0x400000, v36
	v_cndmask_b32_e64 v9, v15, v9, s5
	v_cndmask_b32_e64 v8, v16, v8, s6
	v_add3_u32 v12, v33, v6, 0x7fff
	v_and_b32_e32 v2, 0xffff0000, v2
	v_and_b32_e32 v14, 0xffff0000, v14
	;; [unrolled: 1-line block ×4, first 2 shown]
	v_or_b32_e32 v6, 0x400000, v6
	v_add3_u32 v13, v13, v5, 0x7fff
	v_or_b32_e32 v5, 0x400000, v5
	v_cndmask_b32_e64 v4, v4, v34, s15
	v_add_f32_e32 v2, v2, v14
	v_add_f32_e32 v7, v10, v7
	v_and_b32_e32 v8, 0xffff0000, v8
	v_and_b32_e32 v9, 0xffff0000, v9
	v_cndmask_b32_e64 v5, v13, v5, s2
	v_cndmask_b32_e64 v6, v12, v6, s1
	v_and_b32_e32 v11, 0xffff0000, v11
	v_and_b32_e32 v4, 0xffff0000, v4
	v_add_f32_e32 v2, v7, v2
	v_add_f32_e32 v7, v8, v9
	v_and_b32_e32 v5, 0xffff0000, v5
	v_and_b32_e32 v6, 0xffff0000, v6
	v_add_f32_e32 v1, v3, v1
	v_add_f32_e32 v3, v11, v4
	;; [unrolled: 1-line block ×8, first 2 shown]
.LBB130_42:                             ;   in Loop: Header=BB130_43 Depth=1
	s_or_b32 exec_lo, exec_lo, s35
	v_add_nc_u32_e32 v17, 4, v17
	v_add_co_u32 v18, s1, v18, 16
	v_add_co_ci_u32_e64 v19, null, 0, v19, s1
	v_cmp_le_i32_e32 vcc_lo, s42, v17
	v_add_nc_u32_e32 v21, 32, v21
	v_add_nc_u32_e32 v29, 0x80, v29
	s_or_b32 s31, vcc_lo, s31
	s_andn2_b32 exec_lo, exec_lo, s31
	s_cbranch_execz .LBB130_51
.LBB130_43:                             ; =>This Inner Loop Header: Depth=1
	v_sub_nc_u32_e32 v1, 0, v21
	v_max_i32_e32 v1, v21, v1
	v_mul_hi_u32 v2, v1, s39
	v_mul_lo_u32 v3, v2, s38
	v_sub_nc_u32_e32 v1, v1, v3
	v_add_nc_u32_e32 v3, 1, v2
	v_subrev_nc_u32_e32 v4, s38, v1
	v_cmp_le_u32_e32 vcc_lo, s38, v1
	v_cndmask_b32_e32 v2, v2, v3, vcc_lo
	v_cndmask_b32_e32 v1, v1, v4, vcc_lo
	v_ashrrev_i32_e32 v3, 31, v21
	v_add_nc_u32_e32 v4, 1, v2
	v_cmp_le_u32_e32 vcc_lo, s38, v1
	v_xor_b32_e32 v3, s41, v3
	v_cndmask_b32_e32 v1, v2, v4, vcc_lo
	v_xor_b32_e32 v1, v1, v3
	v_sub_nc_u32_e32 v1, v1, v3
	v_add_nc_u32_e32 v2, s40, v1
	v_cmp_lt_i32_e64 s1, s21, v1
	v_sub_nc_u32_e32 v3, 0, v2
	v_max_i32_e32 v3, v2, v3
	v_ashrrev_i32_e32 v2, 31, v2
	v_mul_hi_u32 v4, v3, v32
	v_mul_lo_u32 v4, v4, s29
	v_sub_nc_u32_e32 v3, v3, v4
	v_subrev_nc_u32_e32 v4, s29, v3
	v_cmp_le_u32_e32 vcc_lo, s29, v3
	v_cndmask_b32_e32 v3, v3, v4, vcc_lo
	v_subrev_nc_u32_e32 v4, s29, v3
	v_cmp_le_u32_e32 vcc_lo, s29, v3
	v_cndmask_b32_e32 v3, v3, v4, vcc_lo
	v_xor_b32_e32 v3, v3, v2
	v_sub_nc_u32_e32 v2, v3, v2
	v_cmp_eq_u32_e32 vcc_lo, 0, v2
	s_or_b32 s1, vcc_lo, s1
	s_and_saveexec_b32 s35, s1
	s_cbranch_execz .LBB130_42
; %bb.44:                               ;   in Loop: Header=BB130_43 Depth=1
	global_load_dword v1, v[18:19], off
	v_cmp_eq_u32_e64 s12, s36, v17
	s_waitcnt vmcnt(0)
	v_mad_i64_i32 v[1:2], null, v1, s30, 0
	v_lshlrev_b64 v[1:2], 1, v[1:2]
	v_add_co_u32 v33, vcc_lo, s22, v1
	v_add_co_ci_u32_e64 v34, null, s23, v2, vcc_lo
	v_add_co_u32 v9, vcc_lo, v33, v30
	v_add_co_ci_u32_e64 v10, null, 0, v34, vcc_lo
	global_load_dwordx4 v[1:4], v[9:10], off
	ds_read2_b64 v[13:16], v29 offset1:1
	ds_read2_b64 v[5:8], v29 offset0:2 offset1:3
	s_and_saveexec_b32 s3, s12
	s_cbranch_execz .LBB130_46
; %bb.45:                               ;   in Loop: Header=BB130_43 Depth=1
	v_add_nc_u32_e32 v11, 1, v21
	v_or_b32_e32 v12, 3, v21
	v_cmp_gt_i32_e32 vcc_lo, s33, v21
	v_or_b32_e32 v35, 2, v21
	v_or_b32_e32 v37, 7, v21
	v_cmp_gt_i32_e64 s1, s34, v12
	s_waitcnt vmcnt(0)
	v_cndmask_b32_e32 v36, 0, v1, vcc_lo
	v_cmp_gt_i32_e32 vcc_lo, s34, v11
	v_cmp_gt_i32_e64 s2, s33, v35
	v_or_b32_e32 v12, 5, v21
	v_or_b32_e32 v35, 4, v21
	v_cndmask_b32_sdwa v1, v28, v1, vcc_lo dst_sel:DWORD dst_unused:UNUSED_PAD src0_sel:DWORD src1_sel:WORD_1
	s_mov_b32 vcc_lo, s1
	v_cndmask_b32_e64 v11, 0, v2, s2
	v_cndmask_b32_sdwa v2, v28, v2, vcc_lo dst_sel:DWORD dst_unused:UNUSED_PAD src0_sel:DWORD src1_sel:WORD_1
	v_cmp_gt_i32_e32 vcc_lo, s34, v12
	v_cmp_gt_i32_e64 s1, s33, v35
	v_or_b32_e32 v35, 6, v21
	v_perm_b32 v1, v1, v36, 0x5040100
	v_perm_b32 v2, v2, v11, 0x5040100
	v_cndmask_b32_e64 v12, 0, v3, s1
	v_cmp_gt_i32_e64 s1, s34, v37
	v_cndmask_b32_sdwa v3, v28, v3, vcc_lo dst_sel:DWORD dst_unused:UNUSED_PAD src0_sel:DWORD src1_sel:WORD_1
	v_cmp_gt_i32_e32 vcc_lo, s33, v35
	v_perm_b32 v3, v3, v12, 0x5040100
	v_cndmask_b32_e32 v35, 0, v4, vcc_lo
	s_mov_b32 vcc_lo, s1
	v_cndmask_b32_sdwa v4, v28, v4, vcc_lo dst_sel:DWORD dst_unused:UNUSED_PAD src0_sel:DWORD src1_sel:WORD_1
	v_perm_b32 v4, v4, v35, 0x5040100
.LBB130_46:                             ;   in Loop: Header=BB130_43 Depth=1
	s_or_b32 exec_lo, exec_lo, s3
	global_load_dwordx4 v[9:12], v[9:10], off offset:512
	s_and_saveexec_b32 s3, s12
	s_cbranch_execz .LBB130_48
; %bb.47:                               ;   in Loop: Header=BB130_43 Depth=1
	v_add_nc_u32_e32 v35, 1, v21
	v_or_b32_e32 v36, 3, v21
	v_cmp_gt_i32_e32 vcc_lo, s33, v21
	v_or_b32_e32 v37, 2, v21
	v_or_b32_e32 v39, 7, v21
	v_cmp_gt_i32_e64 s1, s34, v36
	s_waitcnt vmcnt(0)
	v_cndmask_b32_e32 v38, 0, v9, vcc_lo
	v_cmp_gt_i32_e32 vcc_lo, s34, v35
	v_cmp_gt_i32_e64 s2, s33, v37
	v_or_b32_e32 v36, 5, v21
	v_or_b32_e32 v37, 4, v21
	v_cndmask_b32_sdwa v9, v28, v9, vcc_lo dst_sel:DWORD dst_unused:UNUSED_PAD src0_sel:DWORD src1_sel:WORD_1
	s_mov_b32 vcc_lo, s1
	v_cndmask_b32_e64 v35, 0, v10, s2
	v_cndmask_b32_sdwa v10, v28, v10, vcc_lo dst_sel:DWORD dst_unused:UNUSED_PAD src0_sel:DWORD src1_sel:WORD_1
	v_cmp_gt_i32_e32 vcc_lo, s34, v36
	v_cmp_gt_i32_e64 s1, s33, v37
	v_or_b32_e32 v37, 6, v21
	v_perm_b32 v9, v9, v38, 0x5040100
	v_perm_b32 v10, v10, v35, 0x5040100
	v_cndmask_b32_e64 v36, 0, v11, s1
	v_cmp_gt_i32_e64 s1, s34, v39
	v_cndmask_b32_sdwa v11, v28, v11, vcc_lo dst_sel:DWORD dst_unused:UNUSED_PAD src0_sel:DWORD src1_sel:WORD_1
	v_cmp_gt_i32_e32 vcc_lo, s33, v37
	v_perm_b32 v11, v11, v36, 0x5040100
	v_cndmask_b32_e32 v37, 0, v12, vcc_lo
	s_mov_b32 vcc_lo, s1
	v_cndmask_b32_sdwa v12, v28, v12, vcc_lo dst_sel:DWORD dst_unused:UNUSED_PAD src0_sel:DWORD src1_sel:WORD_1
	v_perm_b32 v12, v12, v37, 0x5040100
.LBB130_48:                             ;   in Loop: Header=BB130_43 Depth=1
	s_or_b32 exec_lo, exec_lo, s3
	s_waitcnt lgkmcnt(1)
	v_bfe_u32 v35, v13, 16, 1
	v_or_b32_e32 v36, 0x400000, v13
	v_bfe_u32 v37, v14, 16, 1
	v_cmp_u_f32_e32 vcc_lo, v13, v13
	v_bfe_u32 v38, v15, 16, 1
	v_add3_u32 v35, v35, v13, 0x7fff
	v_or_b32_e32 v39, 0x400000, v14
	v_add3_u32 v37, v37, v14, 0x7fff
	v_or_b32_e32 v40, 0x400000, v15
	v_add3_u32 v38, v38, v15, 0x7fff
	v_cndmask_b32_e32 v41, v35, v36, vcc_lo
	v_cmp_u_f32_e32 vcc_lo, v14, v14
	v_bfe_u32 v13, v16, 16, 1
	s_waitcnt lgkmcnt(0)
	v_bfe_u32 v14, v5, 16, 1
	v_bfe_u32 v35, v6, 16, 1
	v_or_b32_e32 v36, 0x400000, v5
	v_cndmask_b32_e32 v42, v37, v39, vcc_lo
	v_cmp_u_f32_e32 vcc_lo, v15, v15
	v_add3_u32 v13, v13, v16, 0x7fff
	v_or_b32_e32 v15, 0x400000, v16
	v_add3_u32 v14, v14, v5, 0x7fff
	s_waitcnt vmcnt(0)
	v_and_b32_e32 v51, 0xffff0000, v10
	v_cndmask_b32_e32 v43, v38, v40, vcc_lo
	v_cmp_u_f32_e32 vcc_lo, v16, v16
	v_cndmask_b32_e32 v44, v13, v15, vcc_lo
	v_cmp_u_f32_e32 vcc_lo, v5, v5
	v_add3_u32 v13, v35, v6, 0x7fff
	v_or_b32_e32 v15, 0x400000, v6
	v_bfe_u32 v5, v7, 16, 1
	v_or_b32_e32 v35, 0x400000, v8
	v_cndmask_b32_e32 v45, v14, v36, vcc_lo
	v_cmp_u_f32_e32 vcc_lo, v6, v6
	v_bfe_u32 v6, v8, 16, 1
	v_add3_u32 v5, v5, v7, 0x7fff
	v_and_b32_e32 v14, 0xffff0000, v1
	v_lshlrev_b32_e32 v1, 16, v1
	v_cndmask_b32_e32 v46, v13, v15, vcc_lo
	v_or_b32_e32 v15, 0x400000, v7
	v_cmp_u_f32_e32 vcc_lo, v7, v7
	v_and_b32_e32 v13, 0xffff0000, v42
	v_add3_u32 v6, v6, v8, 0x7fff
	v_and_b32_e32 v7, 0xffff0000, v2
	v_lshlrev_b32_e32 v2, 16, v2
	v_cndmask_b32_e32 v47, v5, v15, vcc_lo
	v_cmp_u_f32_e32 vcc_lo, v8, v8
	v_mul_f32_e32 v16, v13, v14
	v_and_b32_e32 v5, 0xffff0000, v41
	v_and_b32_e32 v8, 0xffff0000, v43
	;; [unrolled: 1-line block ×3, first 2 shown]
	v_cndmask_b32_e32 v48, v6, v35, vcc_lo
	v_and_b32_e32 v6, 0xffff0000, v44
	v_and_b32_e32 v50, 0xffff0000, v45
	v_lshlrev_b32_e32 v3, 16, v3
	v_and_b32_e32 v49, 0xffff0000, v46
	v_mul_f32_e32 v40, v5, v1
	v_mul_f32_e32 v39, v6, v7
	;; [unrolled: 1-line block ×4, first 2 shown]
	v_and_b32_e32 v1, 0xffff0000, v48
	v_and_b32_e32 v2, 0xffff0000, v4
	;; [unrolled: 1-line block ×3, first 2 shown]
	v_lshlrev_b32_e32 v4, 16, v4
	v_and_b32_e32 v7, 0xffff0000, v9
	v_lshlrev_b32_e32 v9, 16, v9
	v_mul_f32_e32 v37, v49, v14
	v_mul_f32_e32 v36, v1, v2
	v_mul_f32_e32 v35, v3, v4
	v_mul_f32_e32 v14, v13, v7
	v_mul_f32_e32 v13, v5, v9
	v_mul_f32_e32 v7, v6, v51
	v_lshlrev_b32_e32 v2, 16, v10
	v_and_b32_e32 v4, 0xffff0000, v11
	v_lshlrev_b32_e32 v5, 16, v11
	v_and_b32_e32 v6, 0xffff0000, v12
	v_lshlrev_b32_e32 v11, 16, v12
	v_mul_f32_e32 v10, v8, v2
	v_mul_f32_e32 v9, v49, v4
	;; [unrolled: 1-line block ×5, first 2 shown]
	v_cmp_u_f32_e64 s11, v16, v16
	v_cmp_u_f32_e64 s18, v40, v40
	;; [unrolled: 1-line block ×16, first 2 shown]
	s_and_saveexec_b32 s37, s0
	s_cbranch_execz .LBB130_41
; %bb.49:                               ;   in Loop: Header=BB130_43 Depth=1
	v_add_co_u32 v1, vcc_lo, v33, v31
	v_add_co_ci_u32_e64 v2, null, 0, v34, vcc_lo
	global_load_dwordx4 v[1:4], v[1:2], off
	s_and_saveexec_b32 s43, s12
	s_cbranch_execz .LBB130_40
; %bb.50:                               ;   in Loop: Header=BB130_43 Depth=1
	v_add_nc_u32_e32 v11, 1, v21
	v_or_b32_e32 v12, 3, v21
	v_cmp_gt_i32_e32 vcc_lo, s33, v21
	v_or_b32_e32 v33, 2, v21
	v_or_b32_e32 v49, 7, v21
	v_cmp_gt_i32_e64 s12, s34, v12
	s_waitcnt vmcnt(0)
	v_cndmask_b32_e32 v34, 0, v1, vcc_lo
	v_cmp_gt_i32_e32 vcc_lo, s34, v11
	v_cmp_gt_i32_e64 s19, s33, v33
	v_or_b32_e32 v12, 5, v21
	v_or_b32_e32 v33, 4, v21
	v_cndmask_b32_sdwa v1, v28, v1, vcc_lo dst_sel:DWORD dst_unused:UNUSED_PAD src0_sel:DWORD src1_sel:WORD_1
	s_mov_b32 vcc_lo, s12
	v_cndmask_b32_e64 v11, 0, v2, s19
	v_cndmask_b32_sdwa v2, v28, v2, vcc_lo dst_sel:DWORD dst_unused:UNUSED_PAD src0_sel:DWORD src1_sel:WORD_1
	v_cmp_gt_i32_e32 vcc_lo, s34, v12
	v_cmp_gt_i32_e64 s12, s33, v33
	v_or_b32_e32 v33, 6, v21
	v_perm_b32 v1, v1, v34, 0x5040100
	v_perm_b32 v2, v2, v11, 0x5040100
	v_cndmask_b32_e64 v12, 0, v3, s12
	v_cmp_gt_i32_e64 s12, s34, v49
	v_cndmask_b32_sdwa v3, v28, v3, vcc_lo dst_sel:DWORD dst_unused:UNUSED_PAD src0_sel:DWORD src1_sel:WORD_1
	v_cmp_gt_i32_e32 vcc_lo, s33, v33
	v_perm_b32 v3, v3, v12, 0x5040100
	v_cndmask_b32_e32 v33, 0, v4, vcc_lo
	s_mov_b32 vcc_lo, s12
	v_cndmask_b32_sdwa v4, v28, v4, vcc_lo dst_sel:DWORD dst_unused:UNUSED_PAD src0_sel:DWORD src1_sel:WORD_1
	v_perm_b32 v4, v4, v33, 0x5040100
	s_branch .LBB130_40
.LBB130_51:
	s_or_b32 exec_lo, exec_lo, s31
.LBB130_52:
	s_or_b32 exec_lo, exec_lo, s20
	s_movk_i32 s0, 0x140
	v_and_b32_e32 v2, 0x3c0, v0
	v_mad_u32_u24 v1, v20, s0, 0xc0
	s_mov_b32 s0, exec_lo
	s_waitcnt_vscnt null, 0x0
	s_barrier
	buffer_gl0_inv
	v_cmpx_eq_u32_e32 64, v2
	s_cbranch_execz .LBB130_55
; %bb.53:
	v_add_nc_u32_e32 v2, 0xfffffd80, v1
	v_cmp_gt_u32_e32 vcc_lo, 0x50, v27
	v_lshl_add_u32 v3, v22, 2, v2
	ds_write2_b32 v3, v26, v25 offset1:32
	s_and_b32 exec_lo, exec_lo, vcc_lo
; %bb.54:
	v_lshl_add_u32 v2, v27, 2, v2
	ds_write_b32 v2, v24
.LBB130_55:
	s_or_b32 exec_lo, exec_lo, s0
	v_lshl_add_u32 v3, v22, 2, v1
	s_mov_b32 s0, exec_lo
	s_waitcnt lgkmcnt(0)
	s_barrier
	buffer_gl0_inv
	v_cmpx_gt_u32_e32 64, v0
	s_cbranch_execz .LBB130_59
; %bb.56:
	v_lshl_or_b32 v2, v0, 2, 0x80
	s_mov_b32 s1, exec_lo
	v_add_nc_u32_e32 v4, v1, v2
	ds_read_b32 v2, v3
	ds_read_b32 v4, v4
	v_cmpx_gt_u32_e32 0x50, v27
	s_cbranch_execz .LBB130_58
; %bb.57:
	ds_read_b32 v5, v3 offset:256
	s_waitcnt lgkmcnt(0)
	v_add_f32_e32 v24, v24, v5
.LBB130_58:
	s_or_b32 exec_lo, exec_lo, s1
	s_waitcnt lgkmcnt(1)
	v_add_f32_e32 v26, v26, v2
	s_waitcnt lgkmcnt(0)
	v_add_f32_e32 v25, v25, v4
.LBB130_59:
	s_or_b32 exec_lo, exec_lo, s0
	v_and_b32_e32 v2, 0x3e0, v0
	s_mov_b32 s0, exec_lo
	s_barrier
	buffer_gl0_inv
	v_cmpx_eq_u32_e32 32, v2
	s_cbranch_execz .LBB130_62
; %bb.60:
	v_lshl_add_u32 v2, v22, 2, 0xc0
	v_cmp_gt_u32_e32 vcc_lo, 0x50, v27
	ds_write_b32 v2, v26
	ds_write_b32 v23, v25
	s_and_b32 exec_lo, exec_lo, vcc_lo
; %bb.61:
	ds_write_b32 v2, v24 offset:256
.LBB130_62:
	s_or_b32 exec_lo, exec_lo, s0
	v_cmp_gt_u32_e32 vcc_lo, 32, v0
	v_or_b32_e32 v2, 64, v0
	s_waitcnt lgkmcnt(0)
	s_barrier
	buffer_gl0_inv
	s_and_saveexec_b32 s1, vcc_lo
	s_cbranch_execz .LBB130_66
; %bb.63:
	v_lshl_add_u32 v4, v0, 2, v1
	s_mov_b32 s2, exec_lo
	ds_read_b32 v1, v3
	ds_read_b32 v3, v4 offset:128
	v_cmpx_gt_u32_e32 0x50, v2
	s_cbranch_execz .LBB130_65
; %bb.64:
	ds_read_b32 v4, v4 offset:256
	s_waitcnt lgkmcnt(0)
	v_add_f32_e32 v24, v24, v4
.LBB130_65:
	s_or_b32 exec_lo, exec_lo, s2
	s_waitcnt lgkmcnt(1)
	v_add_f32_e32 v26, v26, v1
	s_waitcnt lgkmcnt(0)
	v_add_f32_e32 v25, v25, v3
.LBB130_66:
	s_or_b32 exec_lo, exec_lo, s1
	s_barrier
	buffer_gl0_inv
	s_and_saveexec_b32 s0, vcc_lo
	s_cbranch_execz .LBB130_69
; %bb.67:
	v_bfe_u32 v1, v26, 16, 1
	s_mul_i32 s0, s28, 0x50
	v_bfe_u32 v3, v25, 16, 1
	s_ashr_i32 s1, s0, 31
	v_or_b32_e32 v4, 0x400000, v26
	s_lshl_b64 s[0:1], s[0:1], 1
	v_add3_u32 v1, v1, v26, 0x7fff
	v_cmp_u_f32_e32 vcc_lo, v26, v26
	s_mul_i32 s2, s25, s24
	s_add_u32 s4, s26, s0
	s_addc_u32 s1, s27, s1
	s_ashr_i32 s3, s2, 31
	v_add3_u32 v3, v3, v25, 0x7fff
	s_lshl_b64 s[2:3], s[2:3], 1
	v_or_b32_e32 v5, 0x400000, v25
	v_cndmask_b32_e32 v1, v1, v4, vcc_lo
	v_cmp_u_f32_e32 vcc_lo, v25, v25
	s_mul_i32 s0, s8, 0x50
	s_add_u32 s2, s4, s2
	s_addc_u32 s3, s1, s3
	s_ashr_i32 s1, s0, 31
	v_lshlrev_b32_e32 v0, 1, v0
	s_lshl_b64 s[0:1], s[0:1], 1
	v_cndmask_b32_e32 v3, v3, v5, vcc_lo
	v_cmp_gt_u32_e32 vcc_lo, 0x50, v2
	s_add_u32 s0, s2, s0
	s_addc_u32 s1, s3, s1
	global_store_short_d16_hi v0, v1, s[0:1]
	global_store_short_d16_hi v0, v3, s[0:1] offset:64
	s_and_b32 exec_lo, exec_lo, vcc_lo
	s_cbranch_execz .LBB130_69
; %bb.68:
	v_bfe_u32 v1, v24, 16, 1
	v_or_b32_e32 v2, 0x400000, v24
	v_cmp_u_f32_e32 vcc_lo, v24, v24
	v_add_co_u32 v0, s0, s0, v0
	v_add3_u32 v3, v1, v24, 0x7fff
	v_add_co_ci_u32_e64 v1, null, s1, 0, s0
	v_cndmask_b32_e32 v2, v3, v2, vcc_lo
	global_store_short_d16_hi v[0:1], v2, off offset:128
.LBB130_69:
	s_endpgm
	.section	.rodata,"a",@progbits
	.p2align	6, 0x0
	.amdhsa_kernel _ZN4vllm25paged_attention_v2_kernelI14__hip_bfloat16S1_Li80ELi8ELi128ELNS_18Fp8KVCacheDataTypeE0ELb1ELi512EEEvPfS3_PT_PKS4_PKT0_SA_ifPKiSC_iPKfiiiSE_SE_iiiii
		.amdhsa_group_segment_fixed_size 192
		.amdhsa_private_segment_fixed_size 0
		.amdhsa_kernarg_size 400
		.amdhsa_user_sgpr_count 6
		.amdhsa_user_sgpr_private_segment_buffer 1
		.amdhsa_user_sgpr_dispatch_ptr 0
		.amdhsa_user_sgpr_queue_ptr 0
		.amdhsa_user_sgpr_kernarg_segment_ptr 1
		.amdhsa_user_sgpr_dispatch_id 0
		.amdhsa_user_sgpr_flat_scratch_init 0
		.amdhsa_user_sgpr_private_segment_size 0
		.amdhsa_wavefront_size32 1
		.amdhsa_uses_dynamic_stack 0
		.amdhsa_system_sgpr_private_segment_wavefront_offset 0
		.amdhsa_system_sgpr_workgroup_id_x 1
		.amdhsa_system_sgpr_workgroup_id_y 1
		.amdhsa_system_sgpr_workgroup_id_z 1
		.amdhsa_system_sgpr_workgroup_info 0
		.amdhsa_system_vgpr_workitem_id 0
		.amdhsa_next_free_vgpr 53
		.amdhsa_next_free_sgpr 46
		.amdhsa_reserve_vcc 1
		.amdhsa_reserve_flat_scratch 0
		.amdhsa_float_round_mode_32 0
		.amdhsa_float_round_mode_16_64 0
		.amdhsa_float_denorm_mode_32 3
		.amdhsa_float_denorm_mode_16_64 3
		.amdhsa_dx10_clamp 1
		.amdhsa_ieee_mode 1
		.amdhsa_fp16_overflow 0
		.amdhsa_workgroup_processor_mode 1
		.amdhsa_memory_ordered 1
		.amdhsa_forward_progress 1
		.amdhsa_shared_vgpr_count 0
		.amdhsa_exception_fp_ieee_invalid_op 0
		.amdhsa_exception_fp_denorm_src 0
		.amdhsa_exception_fp_ieee_div_zero 0
		.amdhsa_exception_fp_ieee_overflow 0
		.amdhsa_exception_fp_ieee_underflow 0
		.amdhsa_exception_fp_ieee_inexact 0
		.amdhsa_exception_int_div_zero 0
	.end_amdhsa_kernel
	.section	.text._ZN4vllm25paged_attention_v2_kernelI14__hip_bfloat16S1_Li80ELi8ELi128ELNS_18Fp8KVCacheDataTypeE0ELb1ELi512EEEvPfS3_PT_PKS4_PKT0_SA_ifPKiSC_iPKfiiiSE_SE_iiiii,"axG",@progbits,_ZN4vllm25paged_attention_v2_kernelI14__hip_bfloat16S1_Li80ELi8ELi128ELNS_18Fp8KVCacheDataTypeE0ELb1ELi512EEEvPfS3_PT_PKS4_PKT0_SA_ifPKiSC_iPKfiiiSE_SE_iiiii,comdat
.Lfunc_end130:
	.size	_ZN4vllm25paged_attention_v2_kernelI14__hip_bfloat16S1_Li80ELi8ELi128ELNS_18Fp8KVCacheDataTypeE0ELb1ELi512EEEvPfS3_PT_PKS4_PKT0_SA_ifPKiSC_iPKfiiiSE_SE_iiiii, .Lfunc_end130-_ZN4vllm25paged_attention_v2_kernelI14__hip_bfloat16S1_Li80ELi8ELi128ELNS_18Fp8KVCacheDataTypeE0ELb1ELi512EEEvPfS3_PT_PKS4_PKT0_SA_ifPKiSC_iPKfiiiSE_SE_iiiii
                                        ; -- End function
	.set _ZN4vllm25paged_attention_v2_kernelI14__hip_bfloat16S1_Li80ELi8ELi128ELNS_18Fp8KVCacheDataTypeE0ELb1ELi512EEEvPfS3_PT_PKS4_PKT0_SA_ifPKiSC_iPKfiiiSE_SE_iiiii.num_vgpr, 53
	.set _ZN4vllm25paged_attention_v2_kernelI14__hip_bfloat16S1_Li80ELi8ELi128ELNS_18Fp8KVCacheDataTypeE0ELb1ELi512EEEvPfS3_PT_PKS4_PKT0_SA_ifPKiSC_iPKfiiiSE_SE_iiiii.num_agpr, 0
	.set _ZN4vllm25paged_attention_v2_kernelI14__hip_bfloat16S1_Li80ELi8ELi128ELNS_18Fp8KVCacheDataTypeE0ELb1ELi512EEEvPfS3_PT_PKS4_PKT0_SA_ifPKiSC_iPKfiiiSE_SE_iiiii.numbered_sgpr, 46
	.set _ZN4vllm25paged_attention_v2_kernelI14__hip_bfloat16S1_Li80ELi8ELi128ELNS_18Fp8KVCacheDataTypeE0ELb1ELi512EEEvPfS3_PT_PKS4_PKT0_SA_ifPKiSC_iPKfiiiSE_SE_iiiii.num_named_barrier, 0
	.set _ZN4vllm25paged_attention_v2_kernelI14__hip_bfloat16S1_Li80ELi8ELi128ELNS_18Fp8KVCacheDataTypeE0ELb1ELi512EEEvPfS3_PT_PKS4_PKT0_SA_ifPKiSC_iPKfiiiSE_SE_iiiii.private_seg_size, 0
	.set _ZN4vllm25paged_attention_v2_kernelI14__hip_bfloat16S1_Li80ELi8ELi128ELNS_18Fp8KVCacheDataTypeE0ELb1ELi512EEEvPfS3_PT_PKS4_PKT0_SA_ifPKiSC_iPKfiiiSE_SE_iiiii.uses_vcc, 1
	.set _ZN4vllm25paged_attention_v2_kernelI14__hip_bfloat16S1_Li80ELi8ELi128ELNS_18Fp8KVCacheDataTypeE0ELb1ELi512EEEvPfS3_PT_PKS4_PKT0_SA_ifPKiSC_iPKfiiiSE_SE_iiiii.uses_flat_scratch, 0
	.set _ZN4vllm25paged_attention_v2_kernelI14__hip_bfloat16S1_Li80ELi8ELi128ELNS_18Fp8KVCacheDataTypeE0ELb1ELi512EEEvPfS3_PT_PKS4_PKT0_SA_ifPKiSC_iPKfiiiSE_SE_iiiii.has_dyn_sized_stack, 0
	.set _ZN4vllm25paged_attention_v2_kernelI14__hip_bfloat16S1_Li80ELi8ELi128ELNS_18Fp8KVCacheDataTypeE0ELb1ELi512EEEvPfS3_PT_PKS4_PKT0_SA_ifPKiSC_iPKfiiiSE_SE_iiiii.has_recursion, 0
	.set _ZN4vllm25paged_attention_v2_kernelI14__hip_bfloat16S1_Li80ELi8ELi128ELNS_18Fp8KVCacheDataTypeE0ELb1ELi512EEEvPfS3_PT_PKS4_PKT0_SA_ifPKiSC_iPKfiiiSE_SE_iiiii.has_indirect_call, 0
	.section	.AMDGPU.csdata,"",@progbits
; Kernel info:
; codeLenInByte = 6912
; TotalNumSgprs: 48
; NumVgprs: 53
; ScratchSize: 0
; MemoryBound: 0
; FloatMode: 240
; IeeeMode: 1
; LDSByteSize: 192 bytes/workgroup (compile time only)
; SGPRBlocks: 0
; VGPRBlocks: 6
; NumSGPRsForWavesPerEU: 48
; NumVGPRsForWavesPerEU: 53
; Occupancy: 16
; WaveLimiterHint : 1
; COMPUTE_PGM_RSRC2:SCRATCH_EN: 0
; COMPUTE_PGM_RSRC2:USER_SGPR: 6
; COMPUTE_PGM_RSRC2:TRAP_HANDLER: 0
; COMPUTE_PGM_RSRC2:TGID_X_EN: 1
; COMPUTE_PGM_RSRC2:TGID_Y_EN: 1
; COMPUTE_PGM_RSRC2:TGID_Z_EN: 1
; COMPUTE_PGM_RSRC2:TIDIG_COMP_CNT: 0
	.section	.text._ZN4vllm32paged_attention_v2_reduce_kernelI14__hip_bfloat16Li80ELi128ELi512EEEvPT_PKfS5_PKS2_PKii,"axG",@progbits,_ZN4vllm32paged_attention_v2_reduce_kernelI14__hip_bfloat16Li80ELi128ELi512EEEvPT_PKfS5_PKS2_PKii,comdat
	.protected	_ZN4vllm32paged_attention_v2_reduce_kernelI14__hip_bfloat16Li80ELi128ELi512EEEvPT_PKfS5_PKS2_PKii ; -- Begin function _ZN4vllm32paged_attention_v2_reduce_kernelI14__hip_bfloat16Li80ELi128ELi512EEEvPT_PKfS5_PKS2_PKii
	.globl	_ZN4vllm32paged_attention_v2_reduce_kernelI14__hip_bfloat16Li80ELi128ELi512EEEvPT_PKfS5_PKS2_PKii
	.p2align	8
	.type	_ZN4vllm32paged_attention_v2_reduce_kernelI14__hip_bfloat16Li80ELi128ELi512EEEvPT_PKfS5_PKS2_PKii,@function
_ZN4vllm32paged_attention_v2_reduce_kernelI14__hip_bfloat16Li80ELi128ELi512EEEvPT_PKfS5_PKS2_PKii: ; @_ZN4vllm32paged_attention_v2_reduce_kernelI14__hip_bfloat16Li80ELi128ELi512EEEvPT_PKfS5_PKS2_PKii
; %bb.0:
	s_load_dwordx4 s[8:11], s[4:5], 0x18
	s_add_u32 s14, s4, 48
	s_mov_b32 s12, s7
	s_addc_u32 s15, s5, 0
	s_ashr_i32 s13, s7, 31
	s_lshl_b64 s[0:1], s[12:13], 2
	s_waitcnt lgkmcnt(0)
	s_add_u32 s0, s10, s0
	s_addc_u32 s1, s11, s1
	s_load_dword s22, s[0:1], 0x0
	s_clause 0x2
	s_load_dwordx2 s[10:11], s[4:5], 0x0
	s_load_dword s7, s[4:5], 0x28
	s_load_dword s13, s[4:5], 0x30
	s_waitcnt lgkmcnt(0)
	s_add_i32 s0, s22, -1
	s_cmpk_gt_u32 s0, 0x1ff
	s_mov_b32 s0, -1
	s_cbranch_scc0 .LBB131_26
; %bb.1:
	s_load_dwordx2 s[2:3], s[4:5], 0x8
	s_add_i32 s0, s22, 0x1ff
	s_mul_i32 s20, s13, s12
	s_ashr_i32 s1, s0, 31
	v_mov_b32_e32 v4, 0xff7fffff
	s_lshr_b32 s1, s1, 23
	v_lshlrev_b32_e32 v3, 2, v0
	s_add_i32 s0, s0, s1
	s_mul_i32 s16, s20, s7
	s_ashr_i32 s21, s0, 9
	s_mul_i32 s18, s7, s6
	v_cmp_gt_i32_e32 vcc_lo, s21, v0
	s_ashr_i32 s17, s16, 31
	s_ashr_i32 s19, s18, 31
	s_and_saveexec_b32 s1, vcc_lo
	s_cbranch_execz .LBB131_5
; %bb.2:
	s_load_dword s0, s[14:15], 0xc
	s_load_dwordx2 s[24:25], s[4:5], 0x10
	s_lshl_b64 s[26:27], s[16:17], 2
	s_lshl_b64 s[28:29], s[18:19], 2
	v_add_nc_u32_e32 v5, 32, v3
	v_mov_b32_e32 v4, 0xff7fffff
	v_mov_b32_e32 v6, v0
	s_waitcnt lgkmcnt(0)
	s_and_b32 s4, s0, 0xffff
	s_add_u32 s0, s26, s28
	s_addc_u32 s5, s27, s29
	s_add_u32 s0, s24, s0
	s_addc_u32 s5, s25, s5
	v_add_co_u32 v1, s0, s0, v3
	v_add_co_ci_u32_e64 v2, null, s5, 0, s0
	s_mov_b32 s5, 0
	s_lshl_b32 s23, s4, 2
	.p2align	6
.LBB131_3:                              ; =>This Inner Loop Header: Depth=1
	global_load_dword v7, v[1:2], off
	v_add_nc_u32_e32 v6, s4, v6
	v_max_f32_e32 v4, v4, v4
	v_add_co_u32 v1, s0, v1, s23
	v_add_co_ci_u32_e64 v2, null, 0, v2, s0
	v_cmp_le_i32_e64 s0, s21, v6
	s_or_b32 s5, s0, s5
	s_waitcnt vmcnt(0)
	v_max_f32_e32 v8, v7, v7
	ds_write_b32 v5, v7
	v_add_nc_u32_e32 v5, s23, v5
	v_max_f32_e32 v4, v4, v8
	s_andn2_b32 exec_lo, exec_lo, s5
	s_cbranch_execnz .LBB131_3
; %bb.4:
	s_or_b32 exec_lo, exec_lo, s5
.LBB131_5:
	s_or_b32 exec_lo, exec_lo, s1
	v_mbcnt_lo_u32_b32 v1, -1, 0
	s_waitcnt lgkmcnt(0)
	s_barrier
	buffer_gl0_inv
	v_xor_b32_e32 v2, 16, v1
	v_xor_b32_e32 v5, 8, v1
	v_cmp_gt_i32_e64 s0, 32, v2
	v_cndmask_b32_e64 v2, v1, v2, s0
	v_cmp_gt_i32_e64 s0, 32, v5
	v_lshlrev_b32_e32 v6, 2, v2
	v_cndmask_b32_e64 v5, v1, v5, s0
	ds_bpermute_b32 v2, v6, v4
	v_max_f32_e32 v4, v4, v4
	v_lshlrev_b32_e32 v7, 2, v5
	v_xor_b32_e32 v5, 4, v1
	v_cmp_gt_i32_e64 s0, 32, v5
	v_cndmask_b32_e64 v5, v1, v5, s0
	v_lshlrev_b32_e32 v8, 2, v5
	v_xor_b32_e32 v5, 2, v1
	s_waitcnt lgkmcnt(0)
	v_max_f32_e32 v2, v2, v2
	v_cmp_gt_i32_e64 s0, 32, v5
	v_max_f32_e32 v2, v4, v2
	v_cndmask_b32_e64 v5, v1, v5, s0
	ds_bpermute_b32 v4, v7, v2
	s_waitcnt lgkmcnt(0)
	v_max_f32_e32 v4, v4, v4
	v_max_f32_e32 v2, v2, v4
	ds_bpermute_b32 v4, v8, v2
	s_waitcnt lgkmcnt(0)
	v_max_f32_e32 v9, v4, v4
	v_lshlrev_b32_e32 v4, 2, v5
	v_max_f32_e32 v2, v2, v9
	v_xor_b32_e32 v9, 1, v1
	ds_bpermute_b32 v5, v4, v2
	v_cmp_gt_i32_e64 s0, 32, v9
	v_cndmask_b32_e64 v1, v1, v9, s0
	v_lshrrev_b32_e32 v9, 5, v0
	v_lshlrev_b32_e32 v9, 2, v9
	s_waitcnt lgkmcnt(0)
	v_max_f32_e32 v5, v5, v5
	v_max_f32_e32 v2, v2, v5
	v_lshlrev_b32_e32 v5, 2, v1
	v_and_b32_e32 v1, 31, v0
	ds_bpermute_b32 v10, v5, v2
	v_cmp_eq_u32_e64 s0, 0, v1
	s_and_saveexec_b32 s1, s0
	s_cbranch_execz .LBB131_7
; %bb.6:
	s_waitcnt lgkmcnt(0)
	v_max_f32_e32 v10, v10, v10
	v_max_f32_e32 v2, v2, v2
	;; [unrolled: 1-line block ×3, first 2 shown]
	ds_write_b32 v9, v2
.LBB131_7:
	s_or_b32 exec_lo, exec_lo, s1
	v_cmp_gt_u32_e64 s1, 4, v1
	v_mov_b32_e32 v2, 0xff7fffff
	s_waitcnt lgkmcnt(0)
	v_lshlrev_b32_e32 v10, 2, v1
	s_barrier
	buffer_gl0_inv
	s_and_saveexec_b32 s4, s1
; %bb.8:
	ds_read_b32 v2, v10
; %bb.9:
	s_or_b32 exec_lo, exec_lo, s4
	s_waitcnt lgkmcnt(0)
	ds_bpermute_b32 v1, v4, v2
	v_max_f32_e32 v2, v2, v2
	v_mov_b32_e32 v11, 0
	s_lshl_b32 s4, s21, 2
	s_waitcnt lgkmcnt(0)
	v_max_f32_e32 v1, v1, v1
	v_max_f32_e32 v1, v2, v1
	ds_bpermute_b32 v2, v5, v1
	s_waitcnt lgkmcnt(0)
	v_max_f32_e32 v2, v2, v2
	v_max_f32_e32 v1, v1, v2
	ds_bpermute_b32 v12, v11, v1
	s_and_saveexec_b32 s5, vcc_lo
	s_cbranch_execz .LBB131_13
; %bb.10:
	s_load_dword s23, s[14:15], 0xc
	s_lshl_b64 s[24:25], s[16:17], 2
	s_lshl_b64 s[26:27], s[18:19], 2
	v_mov_b32_e32 v11, 0
	v_add_nc_u32_e32 v13, 32, v3
	s_waitcnt lgkmcnt(0)
	s_and_b32 s17, s23, 0xffff
	s_add_u32 s19, s24, s26
	s_addc_u32 s23, s25, s27
	s_add_u32 s2, s2, s19
	s_addc_u32 s3, s3, s23
	v_add_co_u32 v1, s2, s2, v3
	v_add_co_ci_u32_e64 v2, null, s3, 0, s2
	v_mov_b32_e32 v3, v0
	s_mov_b32 s3, 0
	s_lshl_b32 s19, s17, 2
	s_inst_prefetch 0x1
	.p2align	6
.LBB131_11:                             ; =>This Inner Loop Header: Depth=1
	global_load_dword v14, v[1:2], off
	ds_read_b32 v15, v13
	v_add_nc_u32_e32 v3, s17, v3
	s_waitcnt lgkmcnt(0)
	v_sub_f32_e32 v15, v15, v12
	v_mul_f32_e32 v16, 0x3fb8aa3b, v15
	v_cmp_ngt_f32_e32 vcc_lo, 0xc2ce8ed0, v15
	v_cmp_nlt_f32_e64 s2, 0x42b17218, v15
	v_fma_f32 v17, 0x3fb8aa3b, v15, -v16
	v_rndne_f32_e32 v18, v16
	v_fmac_f32_e32 v17, 0x32a5705f, v15
	v_sub_f32_e32 v16, v16, v18
	v_add_f32_e32 v16, v16, v17
	v_cvt_i32_f32_e32 v17, v18
	v_exp_f32_e32 v16, v16
	v_ldexp_f32 v16, v16, v17
	v_add_nc_u32_e32 v17, s4, v13
	v_add_nc_u32_e32 v13, s19, v13
	v_cndmask_b32_e32 v16, 0, v16, vcc_lo
	v_add_co_u32 v1, vcc_lo, v1, s19
	v_add_co_ci_u32_e64 v2, null, 0, v2, vcc_lo
	v_cndmask_b32_e64 v15, 0x7f800000, v16, s2
	v_cmp_le_i32_e32 vcc_lo, s21, v3
	s_or_b32 s3, vcc_lo, s3
	s_waitcnt vmcnt(0)
	v_mul_f32_e32 v16, v14, v15
	v_fmac_f32_e32 v11, v14, v15
	ds_write_b32 v17, v16
	s_andn2_b32 exec_lo, exec_lo, s3
	s_cbranch_execnz .LBB131_11
; %bb.12:
	s_inst_prefetch 0x2
	s_or_b32 exec_lo, exec_lo, s3
.LBB131_13:
	s_or_b32 exec_lo, exec_lo, s5
	ds_bpermute_b32 v1, v6, v11
	s_waitcnt lgkmcnt(0)
	s_barrier
	buffer_gl0_inv
	v_add_f32_e32 v1, v11, v1
	ds_bpermute_b32 v2, v7, v1
	s_waitcnt lgkmcnt(0)
	v_add_f32_e32 v1, v1, v2
	ds_bpermute_b32 v2, v8, v1
	s_waitcnt lgkmcnt(0)
	;; [unrolled: 3-line block ×4, first 2 shown]
	v_add_f32_e32 v1, v1, v2
	s_and_saveexec_b32 s2, s0
; %bb.14:
	ds_write_b32 v9, v1 offset:16
; %bb.15:
	s_or_b32 exec_lo, exec_lo, s2
	s_waitcnt lgkmcnt(0)
	s_barrier
	buffer_gl0_inv
	s_and_saveexec_b32 s0, s1
; %bb.16:
	ds_read_b32 v1, v10 offset:16
; %bb.17:
	s_or_b32 exec_lo, exec_lo, s0
	s_waitcnt lgkmcnt(0)
	ds_bpermute_b32 v2, v4, v1
	s_mov_b32 s0, exec_lo
	s_waitcnt lgkmcnt(0)
	v_add_f32_e32 v1, v1, v2
	ds_bpermute_b32 v2, v5, v1
	s_waitcnt lgkmcnt(0)
	v_add_f32_e32 v1, v1, v2
	v_mov_b32_e32 v2, 0
	ds_bpermute_b32 v3, v2, v1
	v_cmpx_gt_u32_e32 0x50, v0
	s_cbranch_execz .LBB131_25
; %bb.18:
	s_cmp_gt_i32 s22, 0
	s_mov_b32 s1, 0
	s_cbranch_scc1 .LBB131_20
; %bb.19:
	v_mov_b32_e32 v1, 0
	v_mov_b32_e32 v2, 0
	s_andn2_b32 vcc_lo, exec_lo, s1
	s_cbranch_vccz .LBB131_21
	s_branch .LBB131_24
.LBB131_20:
	v_mov_b32_e32 v2, 0
.LBB131_21:
	s_waitcnt lgkmcnt(0)
	v_add_f32_e32 v4, 0x358637bd, v3
	s_mulk_i32 s16, 0x50
	s_mulk_i32 s18, 0x50
	s_ashr_i32 s17, s16, 31
	s_ashr_i32 s19, s18, 31
	v_div_scale_f32 v2, null, v4, v4, 1.0
	v_div_scale_f32 v5, vcc_lo, 1.0, v4, 1.0
	s_add_i32 s2, s4, 32
	v_rcp_f32_e32 v3, v2
	s_lshl_b64 s[4:5], s[16:17], 1
	s_lshl_b64 s[16:17], s[18:19], 1
	s_max_i32 s1, s21, 1
	s_add_u32 s3, s4, s16
	s_addc_u32 s4, s5, s17
	s_add_u32 s3, s8, s3
	s_addc_u32 s4, s9, s4
	v_fma_f32 v1, -v2, v3, 1.0
	v_fmac_f32_e32 v3, v1, v3
	v_mov_b32_e32 v1, 0
	v_mul_f32_e32 v6, v5, v3
	v_fma_f32 v7, -v2, v6, v5
	v_fmac_f32_e32 v6, v7, v3
	v_lshlrev_b32_e32 v7, 1, v0
	v_fma_f32 v2, -v2, v6, v5
	v_div_fmas_f32 v5, v2, v3, v6
	v_add_co_u32 v2, s3, s3, v7
	v_add_co_ci_u32_e64 v3, null, s4, 0, s3
	v_div_fixup_f32 v4, v5, v4, 1.0
	v_mov_b32_e32 v5, v1
	.p2align	6
.LBB131_22:                             ; =>This Inner Loop Header: Depth=1
	global_load_ushort v6, v[2:3], off
	v_mov_b32_e32 v7, s2
	v_add_co_u32 v2, vcc_lo, 0xa0, v2
	v_add_co_ci_u32_e64 v3, null, 0, v3, vcc_lo
	ds_read_b32 v7, v7
	s_add_i32 s1, s1, -1
	s_add_i32 s2, s2, 4
	s_cmp_eq_u32 s1, 0
	s_waitcnt vmcnt(0)
	v_lshlrev_b32_e32 v6, 16, v6
	s_waitcnt lgkmcnt(0)
	v_mul_f32_e32 v6, v7, v6
	v_fmac_f32_e32 v5, v4, v6
	s_cbranch_scc0 .LBB131_22
; %bb.23:
	v_bfe_u32 v2, v5, 16, 1
	v_or_b32_e32 v3, 0x400000, v5
	v_cmp_u_f32_e32 vcc_lo, v5, v5
	v_add3_u32 v2, v2, v5, 0x7fff
	v_cndmask_b32_e32 v2, v2, v3, vcc_lo
	v_lshrrev_b32_e32 v2, 16, v2
.LBB131_24:
	s_mul_i32 s2, s20, 0x50
	s_mul_i32 s4, s6, 0x50
	s_ashr_i32 s3, s2, 31
	s_waitcnt lgkmcnt(0)
	v_lshlrev_b64 v[3:4], 1, v[0:1]
	s_lshl_b64 s[2:3], s[2:3], 1
	s_add_u32 s1, s10, s2
	s_addc_u32 s16, s11, s3
	s_ashr_i32 s5, s4, 31
	s_lshl_b64 s[2:3], s[4:5], 1
	s_add_u32 s1, s1, s2
	s_addc_u32 s2, s16, s3
	v_add_co_u32 v3, vcc_lo, s1, v3
	v_add_co_ci_u32_e64 v4, null, s2, v4, vcc_lo
	global_store_short v[3:4], v2, off
.LBB131_25:
	s_or_b32 exec_lo, exec_lo, s0
	s_mov_b32 s0, 0
.LBB131_26:
	s_and_b32 vcc_lo, exec_lo, s0
	s_cbranch_vccz .LBB131_35
; %bb.27:
	s_mov_b32 s0, exec_lo
	v_cmpx_gt_u32_e32 0x50, v0
	s_cbranch_execz .LBB131_35
; %bb.28:
	s_load_dword s0, s[14:15], 0xc
	s_mul_i32 s1, s13, s12
	s_mul_i32 s4, s6, 0x50
	;; [unrolled: 1-line block ×5, first 2 shown]
	v_cmp_gt_u32_e32 vcc_lo, 0x4d, v0
	s_ashr_i32 s5, s4, 31
	s_ashr_i32 s13, s12, 31
	;; [unrolled: 1-line block ×4, first 2 shown]
	s_waitcnt lgkmcnt(0)
	s_and_b32 s1, s0, 0xffff
	s_cmp_eq_u32 s1, 1
	s_cselect_b32 s0, -1, 0
	s_and_b32 s15, vcc_lo, s0
	s_mov_b32 s0, -1
	s_and_saveexec_b32 s14, s15
	s_cbranch_execz .LBB131_32
; %bb.29:
	s_lshl_b64 s[16:17], s[6:7], 1
	s_lshl_b64 s[18:19], s[2:3], 1
	v_lshlrev_b32_e32 v1, 1, v0
	s_add_u32 s0, s16, s18
	s_addc_u32 s15, s17, s19
	s_add_u32 s0, s8, s0
	s_addc_u32 s15, s9, s15
	s_lshl_b64 s[16:17], s[12:13], 1
	s_lshl_b64 s[18:19], s[4:5], 1
	v_add_co_u32 v2, s0, s0, v1
	v_add_co_ci_u32_e64 v3, null, s15, 0, s0
	s_add_u32 s0, s16, s18
	v_sub_nc_u32_e32 v5, 0x50, v0
	s_addc_u32 s15, s17, s19
	s_add_u32 s0, s10, s0
	s_addc_u32 s15, s11, s15
	v_add_co_u32 v4, s0, s0, v1
	v_and_b32_e32 v6, 0x7c, v5
	v_add_co_ci_u32_e64 v7, null, s15, 0, s0
	v_add_co_u32 v1, vcc_lo, v2, 4
	v_add_co_ci_u32_e64 v2, null, 0, v3, vcc_lo
	v_add_co_u32 v3, vcc_lo, v4, 4
	v_add_co_ci_u32_e64 v4, null, 0, v7, vcc_lo
	v_mov_b32_e32 v7, v6
	s_mov_b32 s15, 0
	.p2align	6
.LBB131_30:                             ; =>This Inner Loop Header: Depth=1
	global_load_dwordx2 v[8:9], v[1:2], off offset:-4
	v_add_nc_u32_e32 v7, -4, v7
	v_add_co_u32 v1, vcc_lo, v1, 8
	v_add_co_ci_u32_e64 v2, null, 0, v2, vcc_lo
	v_cmp_eq_u32_e32 vcc_lo, 0, v7
	s_or_b32 s15, vcc_lo, s15
	s_waitcnt vmcnt(0)
	global_store_dwordx2 v[3:4], v[8:9], off offset:-4
	v_add_co_u32 v3, s0, v3, 8
	v_add_co_ci_u32_e64 v4, null, 0, v4, s0
	s_andn2_b32 exec_lo, exec_lo, s15
	s_cbranch_execnz .LBB131_30
; %bb.31:
	s_or_b32 exec_lo, exec_lo, s15
	v_cmp_ne_u32_e32 vcc_lo, v5, v6
	v_add_nc_u32_e32 v0, v0, v6
	s_orn2_b32 s0, vcc_lo, exec_lo
.LBB131_32:
	s_or_b32 exec_lo, exec_lo, s14
	s_and_b32 exec_lo, exec_lo, s0
	s_cbranch_execz .LBB131_35
; %bb.33:
	s_lshl_b64 s[12:13], s[12:13], 1
	v_lshlrev_b32_e32 v1, 1, v0
	s_add_u32 s0, s10, s12
	s_addc_u32 s10, s11, s13
	s_lshl_b64 s[4:5], s[4:5], 1
	v_mov_b32_e32 v2, 0
	s_add_u32 s4, s0, s4
	s_addc_u32 s5, s10, s5
	s_lshl_b64 s[6:7], s[6:7], 1
	s_add_u32 s0, s8, s6
	s_addc_u32 s6, s9, s7
	s_lshl_b64 s[2:3], s[2:3], 1
	s_add_u32 s2, s0, s2
	s_addc_u32 s3, s6, s3
	s_mov_b32 s6, 0
	s_lshl_b32 s7, s1, 1
	.p2align	6
.LBB131_34:                             ; =>This Inner Loop Header: Depth=1
	v_add_co_u32 v3, vcc_lo, s2, v1
	v_add_co_ci_u32_e64 v4, null, s3, v2, vcc_lo
	v_add_nc_u32_e32 v0, s1, v0
	global_load_ushort v5, v[3:4], off
	v_add_co_u32 v3, vcc_lo, s4, v1
	v_add_co_ci_u32_e64 v4, null, s5, v2, vcc_lo
	v_cmp_lt_u32_e32 vcc_lo, 0x4f, v0
	v_add_co_u32 v1, s0, v1, s7
	v_add_co_ci_u32_e64 v2, null, 0, v2, s0
	s_or_b32 s6, vcc_lo, s6
	s_waitcnt vmcnt(0)
	global_store_short v[3:4], v5, off
	s_andn2_b32 exec_lo, exec_lo, s6
	s_cbranch_execnz .LBB131_34
.LBB131_35:
	s_endpgm
	.section	.rodata,"a",@progbits
	.p2align	6, 0x0
	.amdhsa_kernel _ZN4vllm32paged_attention_v2_reduce_kernelI14__hip_bfloat16Li80ELi128ELi512EEEvPT_PKfS5_PKS2_PKii
		.amdhsa_group_segment_fixed_size 32
		.amdhsa_private_segment_fixed_size 0
		.amdhsa_kernarg_size 304
		.amdhsa_user_sgpr_count 6
		.amdhsa_user_sgpr_private_segment_buffer 1
		.amdhsa_user_sgpr_dispatch_ptr 0
		.amdhsa_user_sgpr_queue_ptr 0
		.amdhsa_user_sgpr_kernarg_segment_ptr 1
		.amdhsa_user_sgpr_dispatch_id 0
		.amdhsa_user_sgpr_flat_scratch_init 0
		.amdhsa_user_sgpr_private_segment_size 0
		.amdhsa_wavefront_size32 1
		.amdhsa_uses_dynamic_stack 0
		.amdhsa_system_sgpr_private_segment_wavefront_offset 0
		.amdhsa_system_sgpr_workgroup_id_x 1
		.amdhsa_system_sgpr_workgroup_id_y 1
		.amdhsa_system_sgpr_workgroup_id_z 0
		.amdhsa_system_sgpr_workgroup_info 0
		.amdhsa_system_vgpr_workitem_id 0
		.amdhsa_next_free_vgpr 19
		.amdhsa_next_free_sgpr 30
		.amdhsa_reserve_vcc 1
		.amdhsa_reserve_flat_scratch 0
		.amdhsa_float_round_mode_32 0
		.amdhsa_float_round_mode_16_64 0
		.amdhsa_float_denorm_mode_32 3
		.amdhsa_float_denorm_mode_16_64 3
		.amdhsa_dx10_clamp 1
		.amdhsa_ieee_mode 1
		.amdhsa_fp16_overflow 0
		.amdhsa_workgroup_processor_mode 1
		.amdhsa_memory_ordered 1
		.amdhsa_forward_progress 1
		.amdhsa_shared_vgpr_count 0
		.amdhsa_exception_fp_ieee_invalid_op 0
		.amdhsa_exception_fp_denorm_src 0
		.amdhsa_exception_fp_ieee_div_zero 0
		.amdhsa_exception_fp_ieee_overflow 0
		.amdhsa_exception_fp_ieee_underflow 0
		.amdhsa_exception_fp_ieee_inexact 0
		.amdhsa_exception_int_div_zero 0
	.end_amdhsa_kernel
	.section	.text._ZN4vllm32paged_attention_v2_reduce_kernelI14__hip_bfloat16Li80ELi128ELi512EEEvPT_PKfS5_PKS2_PKii,"axG",@progbits,_ZN4vllm32paged_attention_v2_reduce_kernelI14__hip_bfloat16Li80ELi128ELi512EEEvPT_PKfS5_PKS2_PKii,comdat
.Lfunc_end131:
	.size	_ZN4vllm32paged_attention_v2_reduce_kernelI14__hip_bfloat16Li80ELi128ELi512EEEvPT_PKfS5_PKS2_PKii, .Lfunc_end131-_ZN4vllm32paged_attention_v2_reduce_kernelI14__hip_bfloat16Li80ELi128ELi512EEEvPT_PKfS5_PKS2_PKii
                                        ; -- End function
	.set _ZN4vllm32paged_attention_v2_reduce_kernelI14__hip_bfloat16Li80ELi128ELi512EEEvPT_PKfS5_PKS2_PKii.num_vgpr, 19
	.set _ZN4vllm32paged_attention_v2_reduce_kernelI14__hip_bfloat16Li80ELi128ELi512EEEvPT_PKfS5_PKS2_PKii.num_agpr, 0
	.set _ZN4vllm32paged_attention_v2_reduce_kernelI14__hip_bfloat16Li80ELi128ELi512EEEvPT_PKfS5_PKS2_PKii.numbered_sgpr, 30
	.set _ZN4vllm32paged_attention_v2_reduce_kernelI14__hip_bfloat16Li80ELi128ELi512EEEvPT_PKfS5_PKS2_PKii.num_named_barrier, 0
	.set _ZN4vllm32paged_attention_v2_reduce_kernelI14__hip_bfloat16Li80ELi128ELi512EEEvPT_PKfS5_PKS2_PKii.private_seg_size, 0
	.set _ZN4vllm32paged_attention_v2_reduce_kernelI14__hip_bfloat16Li80ELi128ELi512EEEvPT_PKfS5_PKS2_PKii.uses_vcc, 1
	.set _ZN4vllm32paged_attention_v2_reduce_kernelI14__hip_bfloat16Li80ELi128ELi512EEEvPT_PKfS5_PKS2_PKii.uses_flat_scratch, 0
	.set _ZN4vllm32paged_attention_v2_reduce_kernelI14__hip_bfloat16Li80ELi128ELi512EEEvPT_PKfS5_PKS2_PKii.has_dyn_sized_stack, 0
	.set _ZN4vllm32paged_attention_v2_reduce_kernelI14__hip_bfloat16Li80ELi128ELi512EEEvPT_PKfS5_PKS2_PKii.has_recursion, 0
	.set _ZN4vllm32paged_attention_v2_reduce_kernelI14__hip_bfloat16Li80ELi128ELi512EEEvPT_PKfS5_PKS2_PKii.has_indirect_call, 0
	.section	.AMDGPU.csdata,"",@progbits
; Kernel info:
; codeLenInByte = 2400
; TotalNumSgprs: 32
; NumVgprs: 19
; ScratchSize: 0
; MemoryBound: 0
; FloatMode: 240
; IeeeMode: 1
; LDSByteSize: 32 bytes/workgroup (compile time only)
; SGPRBlocks: 0
; VGPRBlocks: 2
; NumSGPRsForWavesPerEU: 32
; NumVGPRsForWavesPerEU: 19
; Occupancy: 16
; WaveLimiterHint : 0
; COMPUTE_PGM_RSRC2:SCRATCH_EN: 0
; COMPUTE_PGM_RSRC2:USER_SGPR: 6
; COMPUTE_PGM_RSRC2:TRAP_HANDLER: 0
; COMPUTE_PGM_RSRC2:TGID_X_EN: 1
; COMPUTE_PGM_RSRC2:TGID_Y_EN: 1
; COMPUTE_PGM_RSRC2:TGID_Z_EN: 0
; COMPUTE_PGM_RSRC2:TIDIG_COMP_CNT: 0
	.section	.text._ZN4vllm25paged_attention_v2_kernelI14__hip_bfloat16S1_Li96ELi8ELi128ELNS_18Fp8KVCacheDataTypeE0ELb1ELi512EEEvPfS3_PT_PKS4_PKT0_SA_ifPKiSC_iPKfiiiSE_SE_iiiii,"axG",@progbits,_ZN4vllm25paged_attention_v2_kernelI14__hip_bfloat16S1_Li96ELi8ELi128ELNS_18Fp8KVCacheDataTypeE0ELb1ELi512EEEvPfS3_PT_PKS4_PKT0_SA_ifPKiSC_iPKfiiiSE_SE_iiiii,comdat
	.protected	_ZN4vllm25paged_attention_v2_kernelI14__hip_bfloat16S1_Li96ELi8ELi128ELNS_18Fp8KVCacheDataTypeE0ELb1ELi512EEEvPfS3_PT_PKS4_PKT0_SA_ifPKiSC_iPKfiiiSE_SE_iiiii ; -- Begin function _ZN4vllm25paged_attention_v2_kernelI14__hip_bfloat16S1_Li96ELi8ELi128ELNS_18Fp8KVCacheDataTypeE0ELb1ELi512EEEvPfS3_PT_PKS4_PKT0_SA_ifPKiSC_iPKfiiiSE_SE_iiiii
	.globl	_ZN4vllm25paged_attention_v2_kernelI14__hip_bfloat16S1_Li96ELi8ELi128ELNS_18Fp8KVCacheDataTypeE0ELb1ELi512EEEvPfS3_PT_PKS4_PKT0_SA_ifPKiSC_iPKfiiiSE_SE_iiiii
	.p2align	8
	.type	_ZN4vllm25paged_attention_v2_kernelI14__hip_bfloat16S1_Li96ELi8ELi128ELNS_18Fp8KVCacheDataTypeE0ELb1ELi512EEEvPfS3_PT_PKS4_PKT0_SA_ifPKiSC_iPKfiiiSE_SE_iiiii,@function
_ZN4vllm25paged_attention_v2_kernelI14__hip_bfloat16S1_Li96ELi8ELi128ELNS_18Fp8KVCacheDataTypeE0ELb1ELi512EEEvPfS3_PT_PKS4_PKT0_SA_ifPKiSC_iPKfiiiSE_SE_iiiii: ; @_ZN4vllm25paged_attention_v2_kernelI14__hip_bfloat16S1_Li96ELi8ELi128ELNS_18Fp8KVCacheDataTypeE0ELb1ELi512EEEvPfS3_PT_PKS4_PKT0_SA_ifPKiSC_iPKfiiiSE_SE_iiiii
; %bb.0:
	s_load_dwordx2 s[0:1], s[4:5], 0x40
	s_mov_b32 s26, s7
	s_ashr_i32 s27, s7, 31
	s_lshl_b64 s[2:3], s[26:27], 2
	s_waitcnt lgkmcnt(0)
	s_add_u32 s0, s0, s2
	s_addc_u32 s1, s1, s3
	s_lshl_b32 s38, s8, 9
	s_load_dword s27, s[0:1], 0x0
	s_waitcnt lgkmcnt(0)
	s_cmp_ge_i32 s38, s27
	s_cbranch_scc1 .LBB132_60
; %bb.1:
	s_clause 0x1
	s_load_dword s9, s[4:5], 0x90
	s_load_dwordx2 s[36:37], s[4:5], 0x30
	s_mov_b32 s40, 0
	s_waitcnt lgkmcnt(0)
	s_abs_i32 s3, s9
	s_abs_i32 s0, s36
	v_cvt_f32_u32_e32 v1, s0
	s_sub_i32 s2, 0, s0
	v_rcp_iflag_f32_e32 v1, v1
	v_mul_f32_e32 v1, 0x4f7ffffe, v1
	v_cvt_u32_f32_e32 v1, v1
	v_readfirstlane_b32 s1, v1
	s_mul_i32 s2, s2, s1
	s_mul_hi_u32 s2, s1, s2
	s_add_i32 s1, s1, s2
	s_xor_b32 s2, s9, s36
	s_mul_hi_u32 s1, s3, s1
	s_ashr_i32 s2, s2, 31
	s_mul_i32 s7, s1, s0
	s_sub_i32 s3, s3, s7
	s_add_i32 s7, s1, 1
	s_sub_i32 s10, s3, s0
	s_cmp_ge_u32 s3, s0
	s_cselect_b32 s1, s7, s1
	s_cselect_b32 s3, s10, s3
	s_add_i32 s7, s1, 1
	s_cmp_ge_u32 s3, s0
	s_cselect_b32 s0, s7, s1
	s_xor_b32 s0, s0, s2
	s_sub_i32 s10, s0, s2
	s_load_dwordx2 s[0:1], s[4:5], 0x50
	s_abs_i32 s2, s10
	v_cvt_f32_u32_e32 v1, s2
	s_sub_i32 s3, 0, s2
	v_rcp_iflag_f32_e32 v1, v1
	v_mul_f32_e32 v1, 0x4f7ffffe, v1
	v_cvt_u32_f32_e32 v1, v1
	v_readfirstlane_b32 s7, v1
	s_mul_i32 s3, s3, s7
	s_mul_hi_u32 s11, s7, s3
	s_abs_i32 s3, s6
	s_add_i32 s7, s7, s11
	s_waitcnt lgkmcnt(0)
	s_cmp_eq_u64 s[0:1], 0
	s_mul_hi_u32 s20, s3, s7
	s_cbranch_scc1 .LBB132_3
; %bb.2:
	s_ashr_i32 s7, s6, 31
	s_lshl_b64 s[12:13], s[6:7], 2
	s_add_u32 s0, s0, s12
	s_addc_u32 s1, s1, s13
	s_load_dword s40, s[0:1], 0x0
.LBB132_3:
	s_load_dwordx4 s[12:15], s[4:5], 0x58
	v_and_b32_e32 v1, 3, v0
	v_lshlrev_b32_e32 v2, 2, v0
	s_ashr_i32 s0, s6, 31
	s_ashr_i32 s1, s10, 31
	s_mul_i32 s10, s6, 0x60
	s_mov_b32 s7, exec_lo
	v_cmpx_gt_u32_e32 48, v0
	s_cbranch_execz .LBB132_5
; %bb.4:
	s_load_dwordx2 s[16:17], s[4:5], 0x18
	s_waitcnt lgkmcnt(0)
	s_mul_i32 s18, s12, s26
	v_and_b32_e32 v4, 0x3fc, v0
	s_ashr_i32 s19, s18, 31
	s_lshl_b64 s[18:19], s[18:19], 1
	v_mad_u32_u24 v4, v1, 48, v4
	s_add_u32 s12, s16, s18
	s_addc_u32 s15, s17, s19
	s_ashr_i32 s11, s10, 31
	s_lshl_b64 s[16:17], s[10:11], 1
	s_add_u32 s16, s12, s16
	s_addc_u32 s17, s15, s17
	global_load_dword v3, v2, s[16:17]
	s_waitcnt vmcnt(0)
	ds_write_b32 v4, v3
.LBB132_5:
	s_or_b32 exec_lo, exec_lo, s7
	s_load_dwordx4 s[16:19], s[4:5], 0x78
	s_mul_i32 s7, s20, s2
	s_xor_b32 s0, s0, s1
	s_sub_i32 s1, s3, s7
	s_add_i32 s3, s20, 1
	s_sub_i32 s7, s1, s2
	s_cmp_ge_u32 s1, s2
                                        ; implicit-def: $sgpr33
	s_cselect_b32 s3, s3, s20
	s_cselect_b32 s1, s7, s1
	s_add_i32 s7, s3, 1
	s_cmp_ge_u32 s1, s2
	s_mov_b32 s20, -1
	s_cselect_b32 s1, s7, s3
	s_load_dword s3, s[4:5], 0x88
	s_xor_b32 s1, s1, s0
	s_add_i32 s7, s27, -1
	s_sub_i32 s1, s1, s0
	s_abs_i32 s2, s7
	s_waitcnt lgkmcnt(0)
	s_abs_i32 s11, s19
	s_barrier
	v_cvt_f32_u32_e32 v3, s11
	s_sub_i32 s0, 0, s11
	buffer_gl0_inv
	v_rcp_iflag_f32_e32 v3, v3
	v_mul_f32_e32 v3, 0x4f7ffffe, v3
	v_cvt_u32_f32_e32 v3, v3
	v_readfirstlane_b32 s12, v3
	s_mul_i32 s0, s0, s12
	s_mul_hi_u32 s0, s12, s0
	s_add_i32 s12, s12, s0
	s_cmp_lt_i32 s3, 0
	s_mul_hi_u32 s0, s2, s12
	s_cbranch_scc0 .LBB132_7
; %bb.6:
	s_mul_i32 s15, s16, s36
	s_mov_b32 s20, 0
	s_add_i32 s15, s1, s15
	s_mul_i32 s15, s15, s3
	s_sub_i32 s33, 1, s15
.LBB132_7:
	s_load_dwordx2 s[28:29], s[4:5], 0x38
	s_ashr_i32 s15, s7, 31
	s_andn2_b32 vcc_lo, exec_lo, s20
	s_ashr_i32 s19, s19, 31
	s_cbranch_vccnz .LBB132_9
; %bb.8:
	s_mul_i32 s7, s9, s16
	s_add_i32 s7, s7, s6
	s_mul_i32 s3, s7, s3
	s_add_i32 s33, s3, 1
.LBB132_9:
	s_clause 0x4
	s_load_dword s3, s[4:5], 0x48
	s_load_dwordx2 s[34:35], s[4:5], 0x28
	s_load_dword s7, s[4:5], 0x98
	s_load_dwordx4 s[20:23], s[4:5], 0x0
	s_load_dwordx2 s[24:25], s[4:5], 0x10
	s_mul_i32 s16, s0, s11
	s_xor_b32 s15, s15, s19
	s_sub_i32 s2, s2, s16
	s_add_i32 s36, s0, 1
	v_lshrrev_b32_e32 v24, 5, v0
	v_mov_b32_e32 v4, 0xff7fffff
	v_mbcnt_lo_u32_b32 v3, -1, 0
	s_mul_i32 s14, s1, s14
	v_lshl_add_u32 v25, v24, 3, s38
	s_waitcnt lgkmcnt(0)
	s_mul_i32 s30, s3, s26
	s_sub_i32 s3, s2, s11
	s_ashr_i32 s31, s30, 31
	s_cmp_ge_u32 s2, s11
	s_cselect_b32 s0, s36, s0
	s_cselect_b32 s2, s3, s2
	s_add_i32 s3, s0, 1
	s_cmp_ge_u32 s2, s11
	s_cselect_b32 s0, s3, s0
	s_add_i32 s2, s27, 7
	s_lshl_b32 s41, s8, 6
	s_ashr_i32 s3, s2, 31
	v_or_b32_e32 v21, s41, v24
	s_lshr_b32 s3, s3, 29
	s_add_i32 s2, s2, s3
	s_add_i32 s3, s41, 64
	s_ashr_i32 s36, s2, 3
	s_xor_b32 s2, s0, s15
	s_min_i32 s16, s3, s36
	v_ashrrev_i32_e32 v22, 31, v21
	v_cmp_gt_i32_e64 s0, s16, v21
	s_sub_i32 s39, s2, s15
	s_and_saveexec_b32 s42, s0
	s_cbranch_execz .LBB132_21
; %bb.10:
	s_load_dwordx2 s[2:3], s[4:5], 0x20
	s_ashr_i32 s15, s14, 31
	s_sub_i32 s4, s39, s17
	s_lshl_b64 s[44:45], s[14:15], 1
	v_bfe_u32 v5, v0, 2, 3
	v_cmp_eq_u32_e32 vcc_lo, 0, v1
	v_and_b32_e32 v13, 12, v2
	v_mul_u32_u24_e32 v6, 48, v1
	v_lshlrev_b64 v[1:2], 2, v[21:22]
	v_lshlrev_b32_e32 v11, 2, v5
	v_subrev_nc_u32_e32 v14, s27, v5
	v_lshlrev_b32_e32 v17, 4, v5
	v_cmp_neq_f32_e64 s1, s40, 0
	v_lshl_add_u32 v7, v24, 3, s38
	v_lshl_or_b32 v15, v24, 5, v11
	v_add_nc_u32_e32 v11, 1, v14
	v_mov_b32_e32 v8, 0xff7fffff
	v_xor_b32_e32 v9, 2, v3
	v_xor_b32_e32 v10, 1, v3
	s_waitcnt lgkmcnt(0)
	s_add_u32 s15, s2, s44
	s_addc_u32 s43, s3, s45
	s_abs_i32 s5, s18
	v_cvt_f32_u32_e32 v4, s5
	s_sub_i32 s2, 0, s5
	v_rcp_iflag_f32_e32 v4, v4
	v_mul_f32_e32 v12, 0x4f7ffffe, v4
	v_mov_b32_e32 v4, 0xff7fffff
	v_cvt_u32_f32_e32 v16, v12
	v_add_nc_u32_e32 v12, 0xe0, v15
	v_add_co_u32 v15, s15, s15, v17
	v_add_co_ci_u32_e64 v17, null, s43, 0, s15
	v_mul_lo_u32 v14, s2, v16
	s_lshl_b64 s[2:3], s[30:31], 2
	s_mov_b32 s15, 0
	s_add_u32 s2, s28, s2
	s_addc_u32 s3, s29, s3
	v_add_co_u32 v1, s2, s2, v1
	v_add_co_ci_u32_e64 v2, null, s3, v2, s2
	v_mul_hi_u32 v18, v16, v14
	v_add_co_u32 v13, s2, v15, v13
	v_add_co_ci_u32_e64 v14, null, 0, v17, s2
	s_mov_b32 s43, s13
	v_add_nc_u32_e32 v15, v16, v18
	v_mov_b32_e32 v16, v21
	s_branch .LBB132_13
.LBB132_11:                             ;   in Loop: Header=BB132_13 Depth=1
	s_or_b32 exec_lo, exec_lo, s44
.LBB132_12:                             ;   in Loop: Header=BB132_13 Depth=1
	s_or_b32 exec_lo, exec_lo, s3
	v_add_nc_u32_e32 v16, 4, v16
	v_add_co_u32 v1, s3, v1, 16
	v_add_co_ci_u32_e64 v2, null, 0, v2, s3
	v_cmp_le_i32_e64 s2, s16, v16
	v_add_nc_u32_e32 v7, 32, v7
	v_add_nc_u32_e32 v12, 0x80, v12
	s_or_b32 s15, s2, s15
	s_andn2_b32 exec_lo, exec_lo, s15
	s_cbranch_execz .LBB132_20
.LBB132_13:                             ; =>This Inner Loop Header: Depth=1
	v_sub_nc_u32_e32 v17, 0, v7
	v_max_i32_e32 v17, v7, v17
	s_waitcnt lgkmcnt(0)
	v_mul_hi_u32 v18, v17, s12
	v_mul_lo_u32 v19, v18, s11
	v_sub_nc_u32_e32 v17, v17, v19
	v_add_nc_u32_e32 v19, 1, v18
	v_subrev_nc_u32_e32 v20, s11, v17
	v_cmp_le_u32_e64 s2, s11, v17
	v_cndmask_b32_e64 v18, v18, v19, s2
	v_cndmask_b32_e64 v17, v17, v20, s2
	v_ashrrev_i32_e32 v19, 31, v7
	v_add_nc_u32_e32 v20, 1, v18
	v_cmp_le_u32_e64 s2, s11, v17
	v_xor_b32_e32 v19, s19, v19
	v_cndmask_b32_e64 v17, v18, v20, s2
	v_xor_b32_e32 v17, v17, v19
	v_sub_nc_u32_e32 v17, v17, v19
	v_add_nc_u32_e32 v18, s33, v17
	v_cmp_ge_i32_e64 s3, s4, v17
	v_sub_nc_u32_e32 v19, 0, v18
	v_max_i32_e32 v19, v18, v19
	v_ashrrev_i32_e32 v18, 31, v18
	v_mul_hi_u32 v20, v19, v15
	v_mul_lo_u32 v20, v20, s5
	v_sub_nc_u32_e32 v19, v19, v20
	v_subrev_nc_u32_e32 v20, s5, v19
	v_cmp_le_u32_e64 s2, s5, v19
	v_cndmask_b32_e64 v19, v19, v20, s2
	v_subrev_nc_u32_e32 v20, s5, v19
	v_cmp_le_u32_e64 s2, s5, v19
	v_cndmask_b32_e64 v19, v19, v20, s2
	v_xor_b32_e32 v19, v19, v18
	v_sub_nc_u32_e32 v18, v19, v18
	v_cmp_ne_u32_e64 s2, 0, v18
	s_and_b32 s2, s2, s3
	s_and_saveexec_b32 s3, s2
	s_xor_b32 s2, exec_lo, s3
	s_cbranch_execz .LBB132_17
; %bb.14:                               ;   in Loop: Header=BB132_13 Depth=1
	s_and_saveexec_b32 s3, vcc_lo
; %bb.15:                               ;   in Loop: Header=BB132_13 Depth=1
	ds_write_b32 v12, v8
; %bb.16:                               ;   in Loop: Header=BB132_13 Depth=1
	s_or_b32 exec_lo, exec_lo, s3
.LBB132_17:                             ;   in Loop: Header=BB132_13 Depth=1
	s_andn2_saveexec_b32 s3, s2
	s_cbranch_execz .LBB132_12
; %bb.18:                               ;   in Loop: Header=BB132_13 Depth=1
	global_load_dword v17, v[1:2], off
	s_waitcnt vmcnt(0)
	v_mad_i64_i32 v[17:18], null, v17, s43, 0
	v_lshlrev_b64 v[17:18], 1, v[17:18]
	v_add_co_u32 v17, s2, v13, v17
	v_add_co_ci_u32_e64 v18, null, v14, v18, s2
	v_cmp_gt_i32_e64 s2, 32, v9
	s_clause 0xb
	global_load_dword v23, v[17:18], off offset:128
	global_load_dword v34, v[17:18], off
	global_load_dword v35, v[17:18], off offset:256
	global_load_dword v36, v[17:18], off offset:384
	;; [unrolled: 1-line block ×10, first 2 shown]
	ds_read_b128 v[17:20], v6
	ds_read_b128 v[26:29], v6 offset:16
	ds_read_b128 v[30:33], v6 offset:32
	s_waitcnt lgkmcnt(2)
	v_lshlrev_b32_e32 v46, 16, v18
	v_and_b32_e32 v18, 0xffff0000, v18
	v_lshlrev_b32_e32 v45, 16, v17
	v_and_b32_e32 v17, 0xffff0000, v17
	v_lshlrev_b32_e32 v47, 16, v19
	v_and_b32_e32 v19, 0xffff0000, v19
	v_lshlrev_b32_e32 v48, 16, v20
	s_waitcnt lgkmcnt(1)
	v_lshlrev_b32_e32 v49, 16, v26
	v_lshlrev_b32_e32 v50, 16, v27
	;; [unrolled: 1-line block ×4, first 2 shown]
	s_waitcnt lgkmcnt(0)
	v_lshlrev_b32_e32 v53, 16, v30
	v_lshlrev_b32_e32 v54, 16, v31
	;; [unrolled: 1-line block ×4, first 2 shown]
	s_waitcnt vmcnt(11)
	v_lshlrev_b32_e32 v57, 16, v23
	v_and_b32_e32 v23, 0xffff0000, v23
	s_waitcnt vmcnt(10)
	v_lshlrev_b32_e32 v58, 16, v34
	v_and_b32_e32 v34, 0xffff0000, v34
	v_mul_f32_e32 v46, v46, v57
	v_mul_f32_e32 v18, v18, v23
	s_waitcnt vmcnt(9)
	v_lshlrev_b32_e32 v23, 16, v35
	v_and_b32_e32 v35, 0xffff0000, v35
	v_fmac_f32_e32 v46, v45, v58
	v_fmac_f32_e32 v18, v17, v34
	v_and_b32_e32 v17, 0xffff0000, v20
	s_waitcnt vmcnt(8)
	v_lshlrev_b32_e32 v20, 16, v36
	v_and_b32_e32 v34, 0xffff0000, v36
	v_fmac_f32_e32 v46, v47, v23
	v_fmac_f32_e32 v18, v19, v35
	v_and_b32_e32 v19, 0xffff0000, v26
	;; [unrolled: 6-line block ×9, first 2 shown]
	s_waitcnt vmcnt(0)
	v_lshlrev_b32_e32 v20, 16, v44
	v_and_b32_e32 v27, 0xffff0000, v44
	v_fmac_f32_e32 v46, v55, v23
	v_fmac_f32_e32 v18, v19, v26
	v_cndmask_b32_e64 v19, v3, v9, s2
	v_cmp_gt_i32_e64 s2, 32, v10
	v_fmac_f32_e32 v46, v56, v20
	v_fmac_f32_e32 v18, v17, v27
	v_lshlrev_b32_e32 v17, 2, v19
	v_cndmask_b32_e64 v19, v3, v10, s2
	v_add_f32_e32 v18, v46, v18
	v_lshlrev_b32_e32 v19, 2, v19
	ds_bpermute_b32 v17, v17, v18
	s_waitcnt lgkmcnt(0)
	v_add_f32_e32 v17, v18, v17
	ds_bpermute_b32 v18, v19, v17
	s_and_saveexec_b32 s44, vcc_lo
	s_cbranch_execz .LBB132_11
; %bb.19:                               ;   in Loop: Header=BB132_13 Depth=1
	v_add_nc_u32_e32 v19, v11, v7
	s_waitcnt lgkmcnt(0)
	v_add_f32_e32 v17, v17, v18
	v_cvt_f32_i32_e32 v19, v19
	v_mul_f32_e32 v19, s40, v19
	v_cndmask_b32_e64 v18, 0, v19, s1
	v_max_f32_e32 v19, v4, v4
	v_fmac_f32_e32 v18, s37, v17
	v_add_nc_u32_e32 v17, v5, v7
	v_max_f32_e32 v19, v19, v18
	v_cmp_gt_i32_e64 s2, s27, v17
	v_cndmask_b32_e64 v17, 0, v18, s2
	v_cndmask_b32_e64 v4, v4, v19, s2
	ds_write_b32 v12, v17
	s_branch .LBB132_11
.LBB132_20:
	s_or_b32 exec_lo, exec_lo, s15
.LBB132_21:
	s_or_b32 exec_lo, exec_lo, s42
	v_xor_b32_e32 v1, 16, v3
	v_xor_b32_e32 v5, 8, v3
	v_max_f32_e32 v6, v4, v4
	v_and_b32_e32 v26, 31, v0
	v_cmp_gt_i32_e32 vcc_lo, 32, v1
	v_cndmask_b32_e32 v1, v3, v1, vcc_lo
	v_cmp_gt_i32_e32 vcc_lo, 32, v5
	v_lshlrev_b32_e32 v2, 2, v1
	ds_bpermute_b32 v1, v2, v4
	v_cndmask_b32_e32 v4, v3, v5, vcc_lo
	v_lshlrev_b32_e32 v4, 2, v4
	s_waitcnt lgkmcnt(0)
	v_max_f32_e32 v1, v1, v1
	v_max_f32_e32 v1, v6, v1
	v_xor_b32_e32 v6, 4, v3
	ds_bpermute_b32 v5, v4, v1
	v_cmp_gt_i32_e32 vcc_lo, 32, v6
	v_cndmask_b32_e32 v6, v3, v6, vcc_lo
	v_cmp_eq_u32_e32 vcc_lo, 0, v26
	v_lshlrev_b32_e32 v7, 2, v6
	s_waitcnt lgkmcnt(0)
	v_max_f32_e32 v5, v5, v5
	v_max_f32_e32 v1, v1, v5
	v_lshlrev_b32_e32 v5, 2, v24
	ds_bpermute_b32 v6, v7, v1
	s_and_saveexec_b32 s1, vcc_lo
	s_cbranch_execz .LBB132_23
; %bb.22:
	s_waitcnt lgkmcnt(0)
	v_max_f32_e32 v6, v6, v6
	v_max_f32_e32 v1, v1, v1
	;; [unrolled: 1-line block ×3, first 2 shown]
	ds_write_b32 v5, v1 offset:192
.LBB132_23:
	s_or_b32 exec_lo, exec_lo, s1
	v_cmp_gt_u32_e64 s1, 4, v26
	v_mov_b32_e32 v1, 0xff7fffff
	s_waitcnt lgkmcnt(0)
	v_lshlrev_b32_e32 v6, 2, v26
	s_barrier
	buffer_gl0_inv
	s_and_saveexec_b32 s2, s1
; %bb.24:
	ds_read_b32 v1, v6 offset:192
; %bb.25:
	s_or_b32 exec_lo, exec_lo, s2
	v_xor_b32_e32 v8, 2, v3
	v_xor_b32_e32 v10, 1, v3
	v_cmp_gt_i32_e64 s2, 32, v8
	v_cndmask_b32_e64 v8, v3, v8, s2
	v_cmp_gt_i32_e64 s2, 32, v10
	v_lshlrev_b32_e32 v8, 2, v8
	v_cndmask_b32_e64 v3, v3, v10, s2
	s_sub_i32 s2, s16, s41
	s_lshl_b32 s2, s2, 3
	s_waitcnt lgkmcnt(0)
	ds_bpermute_b32 v9, v8, v1
	v_max_f32_e32 v1, v1, v1
	s_add_i32 s2, s2, s38
	s_min_i32 s2, s2, s27
	s_sub_i32 s4, s2, s38
	v_cmp_gt_i32_e64 s2, s4, v0
	s_waitcnt lgkmcnt(0)
	v_max_f32_e32 v10, v9, v9
	v_lshlrev_b32_e32 v9, 2, v3
	v_max_f32_e32 v1, v1, v10
	v_mov_b32_e32 v10, 0
	ds_bpermute_b32 v3, v9, v1
	s_waitcnt lgkmcnt(0)
	v_max_f32_e32 v3, v3, v3
	v_max_f32_e32 v1, v1, v3
	v_lshl_add_u32 v3, v0, 2, 0xe0
	ds_bpermute_b32 v1, v10, v1
	s_and_saveexec_b32 s5, s2
	s_cbranch_execz .LBB132_29
; %bb.26:
	v_lshl_add_u32 v11, v0, 2, 0xe0
	v_mov_b32_e32 v10, 0
	v_mov_b32_e32 v12, v0
	s_mov_b32 s15, 0
	.p2align	6
.LBB132_27:                             ; =>This Inner Loop Header: Depth=1
	ds_read_b32 v13, v11
	v_add_nc_u32_e32 v12, 0x80, v12
	v_cmp_le_i32_e64 s3, s4, v12
	s_or_b32 s15, s3, s15
	s_waitcnt lgkmcnt(0)
	v_sub_f32_e32 v13, v13, v1
	v_mul_f32_e32 v13, 0x3fb8aa3b, v13
	v_exp_f32_e32 v13, v13
	ds_write_b32 v11, v13
	v_add_f32_e32 v10, v10, v13
	v_add_nc_u32_e32 v11, 0x200, v11
	s_andn2_b32 exec_lo, exec_lo, s15
	s_cbranch_execnz .LBB132_27
; %bb.28:
	s_or_b32 exec_lo, exec_lo, s15
.LBB132_29:
	s_or_b32 exec_lo, exec_lo, s5
	ds_bpermute_b32 v2, v2, v10
	s_waitcnt lgkmcnt(0)
	v_add_f32_e32 v2, v10, v2
	ds_bpermute_b32 v4, v4, v2
	s_waitcnt lgkmcnt(0)
	v_add_f32_e32 v2, v2, v4
	;; [unrolled: 3-line block ×5, first 2 shown]
	s_and_saveexec_b32 s3, vcc_lo
; %bb.30:
	ds_write_b32 v5, v2 offset:208
; %bb.31:
	s_or_b32 exec_lo, exec_lo, s3
	s_waitcnt lgkmcnt(0)
	s_barrier
	buffer_gl0_inv
	s_and_saveexec_b32 s3, s1
; %bb.32:
	ds_read_b32 v2, v6 offset:208
; %bb.33:
	s_or_b32 exec_lo, exec_lo, s3
	s_waitcnt lgkmcnt(0)
	ds_bpermute_b32 v4, v8, v2
	s_waitcnt lgkmcnt(0)
	v_add_f32_e32 v2, v2, v4
	ds_bpermute_b32 v4, v9, v2
	s_waitcnt lgkmcnt(0)
	v_add_f32_e32 v2, v2, v4
	v_mov_b32_e32 v4, 0
	ds_bpermute_b32 v2, v4, v2
	s_and_saveexec_b32 s1, s2
	s_cbranch_execz .LBB132_36
; %bb.34:
	s_waitcnt lgkmcnt(0)
	v_add_f32_e32 v4, 0x358637bd, v2
	s_mov_b32 s2, 0
	v_div_scale_f32 v5, null, v4, v4, 1.0
	v_div_scale_f32 v8, vcc_lo, 1.0, v4, 1.0
	v_rcp_f32_e32 v6, v5
	v_fma_f32 v7, -v5, v6, 1.0
	v_fmac_f32_e32 v6, v7, v6
	v_mul_f32_e32 v7, v8, v6
	v_fma_f32 v9, -v5, v7, v8
	v_fmac_f32_e32 v7, v9, v6
	v_fma_f32 v5, -v5, v7, v8
	v_div_fmas_f32 v5, v5, v6, v7
	v_div_fixup_f32 v4, v5, v4, 1.0
	v_mov_b32_e32 v5, v0
.LBB132_35:                             ; =>This Inner Loop Header: Depth=1
	ds_read_b32 v6, v3
	v_add_nc_u32_e32 v5, 0x80, v5
	v_cmp_le_i32_e32 vcc_lo, s4, v5
	s_or_b32 s2, vcc_lo, s2
	s_waitcnt lgkmcnt(0)
	v_mul_f32_e32 v6, v4, v6
	ds_write_b32 v3, v6
	v_add_nc_u32_e32 v3, 0x200, v3
	s_andn2_b32 exec_lo, exec_lo, s2
	s_cbranch_execnz .LBB132_35
.LBB132_36:
	s_or_b32 exec_lo, exec_lo, s1
	s_mul_i32 s1, s7, s26
	s_waitcnt lgkmcnt(0)
	s_mul_i32 s4, s1, s9
	s_mov_b32 s1, exec_lo
	s_barrier
	buffer_gl0_inv
	v_cmpx_eq_u32_e32 0, v0
	s_cbranch_execz .LBB132_38
; %bb.37:
	s_ashr_i32 s5, s4, 31
	s_mul_i32 s40, s7, s6
	s_lshl_b64 s[2:3], s[4:5], 2
	v_mov_b32_e32 v3, 0
	s_add_u32 s5, s22, s2
	s_addc_u32 s6, s23, s3
	s_ashr_i32 s41, s40, 31
	s_lshl_b64 s[22:23], s[40:41], 2
	s_add_u32 s5, s5, s22
	s_addc_u32 s6, s6, s23
	s_ashr_i32 s9, s8, 31
	s_lshl_b64 s[40:41], s[8:9], 2
	s_add_u32 s42, s5, s40
	s_addc_u32 s43, s6, s41
	s_add_u32 s2, s20, s2
	s_addc_u32 s3, s21, s3
	s_add_u32 s2, s2, s22
	s_addc_u32 s3, s3, s23
	s_add_u32 s2, s2, s40
	s_addc_u32 s3, s3, s41
	global_store_dword v3, v1, s[42:43]
	global_store_dword v3, v2, s[2:3]
.LBB132_38:
	s_or_b32 exec_lo, exec_lo, s1
	v_mov_b32_e32 v29, 0
	v_mov_b32_e32 v28, 0
	;; [unrolled: 1-line block ×3, first 2 shown]
	s_and_saveexec_b32 s3, s0
	s_cbranch_execz .LBB132_50
; %bb.39:
	s_ashr_i32 s15, s14, 31
	s_sub_i32 s5, s39, s17
	s_lshl_b64 s[0:1], s[14:15], 1
	v_lshlrev_b32_e32 v4, 4, v26
	s_add_u32 s2, s34, s0
	s_addc_u32 s9, s35, s1
	s_abs_i32 s6, s18
	s_add_i32 s36, s36, -1
	v_cvt_f32_u32_e32 v1, s6
	s_sub_i32 s0, 0, s6
	v_add_co_u32 v32, s2, s2, v4
	v_mov_b32_e32 v30, 0
	v_rcp_iflag_f32_e32 v1, v1
	v_lshl_add_u32 v31, v24, 5, 0xe0
	v_mov_b32_e32 v27, 0
	v_mov_b32_e32 v28, 0
	v_add_co_ci_u32_e64 v33, null, s9, 0, s2
	v_mov_b32_e32 v29, 0
	s_mov_b32 s9, s13
	s_mov_b32 s14, s27
	;; [unrolled: 1-line block ×3, first 2 shown]
	v_mul_f32_e32 v1, 0x4f7ffffe, v1
	v_cvt_u32_f32_e32 v3, v1
	v_lshlrev_b64 v[1:2], 2, v[21:22]
	v_mul_lo_u32 v5, s0, v3
	s_lshl_b64 s[0:1], s[30:31], 2
	s_add_u32 s0, s28, s0
	s_addc_u32 s1, s29, s1
	v_add_co_u32 v22, vcc_lo, s0, v1
	v_add_co_ci_u32_e64 v23, null, s1, v2, vcc_lo
	v_mul_hi_u32 v5, v3, v5
	v_add_nc_u32_e32 v34, v3, v5
	s_branch .LBB132_42
.LBB132_40:                             ;   in Loop: Header=BB132_42 Depth=1
	s_or_b32 exec_lo, exec_lo, s2
	s_waitcnt lgkmcnt(1)
	v_bfe_u32 v35, v17, 16, 1
	v_bfe_u32 v36, v18, 16, 1
	v_or_b32_e32 v37, 0x400000, v17
	v_cmp_u_f32_e32 vcc_lo, v17, v17
	v_or_b32_e32 v38, 0x400000, v18
	v_add3_u32 v35, v35, v17, 0x7fff
	v_bfe_u32 v39, v19, 16, 1
	v_add3_u32 v36, v36, v18, 0x7fff
	v_bfe_u32 v40, v20, 16, 1
	v_cndmask_b32_e32 v17, v35, v37, vcc_lo
	v_cmp_u_f32_e32 vcc_lo, v18, v18
	v_add3_u32 v35, v39, v19, 0x7fff
	s_waitcnt lgkmcnt(0)
	v_bfe_u32 v37, v9, 16, 1
	v_or_b32_e32 v39, 0x400000, v20
	v_and_b32_e32 v17, 0xffff0000, v17
	v_cndmask_b32_e32 v18, v36, v38, vcc_lo
	v_or_b32_e32 v36, 0x400000, v19
	v_cmp_u_f32_e32 vcc_lo, v19, v19
	v_add3_u32 v38, v40, v20, 0x7fff
	s_waitcnt vmcnt(1)
	v_and_b32_e32 v40, 0xffff0000, v14
	v_and_b32_e32 v18, 0xffff0000, v18
	v_lshlrev_b32_e32 v14, 16, v14
	v_cndmask_b32_e32 v19, v35, v36, vcc_lo
	v_cmp_u_f32_e32 vcc_lo, v20, v20
	v_add3_u32 v35, v37, v9, 0x7fff
	v_or_b32_e32 v36, 0x400000, v9
	v_bfe_u32 v37, v10, 16, 1
	v_and_b32_e32 v19, 0xffff0000, v19
	v_cndmask_b32_e32 v20, v38, v39, vcc_lo
	v_cmp_u_f32_e32 vcc_lo, v9, v9
	v_or_b32_e32 v38, 0x400000, v10
	v_add3_u32 v37, v37, v10, 0x7fff
	v_or_b32_e32 v39, 0x400000, v11
	v_and_b32_e32 v20, 0xffff0000, v20
	v_cndmask_b32_e32 v9, v35, v36, vcc_lo
	v_bfe_u32 v35, v11, 16, 1
	v_and_b32_e32 v36, 0xffff0000, v13
	v_cmp_u_f32_e32 vcc_lo, v10, v10
	v_lshlrev_b32_e32 v13, 16, v13
	v_mul_f32_e32 v14, v19, v14
	v_add3_u32 v35, v35, v11, 0x7fff
	v_mul_f32_e32 v36, v18, v36
	v_cndmask_b32_e32 v10, v37, v38, vcc_lo
	v_bfe_u32 v37, v12, 16, 1
	v_cmp_u_f32_e32 vcc_lo, v11, v11
	v_or_b32_e32 v38, 0x400000, v12
	v_mul_f32_e32 v13, v17, v13
	v_and_b32_e32 v10, 0xffff0000, v10
	v_add3_u32 v37, v37, v12, 0x7fff
	v_cndmask_b32_e32 v11, v35, v39, vcc_lo
	v_bfe_u32 v35, v36, 16, 1
	v_cmp_u_f32_e32 vcc_lo, v12, v12
	v_or_b32_e32 v39, 0x400000, v36
	v_and_b32_e32 v9, 0xffff0000, v9
	v_and_b32_e32 v11, 0xffff0000, v11
	v_add3_u32 v35, v35, v36, 0x7fff
	v_cndmask_b32_e32 v12, v37, v38, vcc_lo
	v_cmp_u_f32_e32 vcc_lo, v36, v36
	v_bfe_u32 v36, v13, 16, 1
	v_mul_f32_e32 v37, v20, v40
	v_and_b32_e32 v38, 0xffff0000, v15
	v_lshlrev_b32_e32 v15, 16, v15
	v_cndmask_b32_e32 v35, v35, v39, vcc_lo
	v_add3_u32 v36, v36, v13, 0x7fff
	v_or_b32_e32 v39, 0x400000, v13
	v_bfe_u32 v40, v37, 16, 1
	v_cmp_u_f32_e32 vcc_lo, v13, v13
	v_mul_f32_e32 v38, v10, v38
	v_mul_f32_e32 v15, v9, v15
	v_and_b32_e32 v12, 0xffff0000, v12
	v_and_b32_e32 v35, 0xffff0000, v35
	v_cndmask_b32_e32 v13, v36, v39, vcc_lo
	v_add3_u32 v36, v40, v37, 0x7fff
	v_or_b32_e32 v39, 0x400000, v37
	v_bfe_u32 v40, v14, 16, 1
	v_cmp_u_f32_e32 vcc_lo, v37, v37
	v_bfe_u32 v41, v38, 16, 1
	v_or_b32_e32 v42, 0x400000, v38
	v_bfe_u32 v43, v15, 16, 1
	v_add3_u32 v37, v40, v14, 0x7fff
	v_cndmask_b32_e32 v36, v36, v39, vcc_lo
	v_or_b32_e32 v39, 0x400000, v14
	v_cmp_u_f32_e32 vcc_lo, v14, v14
	v_add3_u32 v40, v41, v38, 0x7fff
	v_and_b32_e32 v41, 0xffff0000, v16
	v_lshlrev_b32_e32 v16, 16, v16
	v_and_b32_e32 v13, 0xffff0000, v13
	v_cndmask_b32_e32 v14, v37, v39, vcc_lo
	v_cmp_u_f32_e32 vcc_lo, v38, v38
	v_mul_f32_e32 v37, v12, v41
	v_add3_u32 v39, v43, v15, 0x7fff
	v_and_b32_e32 v36, 0xffff0000, v36
	v_and_b32_e32 v14, 0xffff0000, v14
	v_cndmask_b32_e32 v38, v40, v42, vcc_lo
	v_or_b32_e32 v40, 0x400000, v15
	v_cmp_u_f32_e32 vcc_lo, v15, v15
	v_bfe_u32 v41, v37, 16, 1
	v_mul_f32_e32 v16, v11, v16
	v_add_f32_e32 v13, v13, v35
	v_add_f32_e32 v14, v14, v36
	v_cndmask_b32_e32 v15, v39, v40, vcc_lo
	v_add3_u32 v39, v41, v37, 0x7fff
	v_or_b32_e32 v40, 0x400000, v37
	v_cmp_u_f32_e32 vcc_lo, v37, v37
	v_and_b32_e32 v35, 0xffff0000, v1
	v_and_b32_e32 v15, 0xffff0000, v15
	;; [unrolled: 1-line block ×3, first 2 shown]
	v_add_f32_e32 v13, v14, v13
	v_cndmask_b32_e32 v37, v39, v40, vcc_lo
	v_bfe_u32 v39, v16, 16, 1
	v_mul_f32_e32 v14, v18, v35
	v_add_f32_e32 v15, v15, v36
	v_lshlrev_b32_e32 v1, 16, v1
	v_cmp_u_f32_e32 vcc_lo, v16, v16
	v_add3_u32 v38, v39, v16, 0x7fff
	v_or_b32_e32 v39, 0x400000, v16
	v_bfe_u32 v35, v14, 16, 1
	v_add_f32_e32 v13, v15, v13
	v_and_b32_e32 v15, 0xffff0000, v2
	v_mul_f32_e32 v1, v17, v1
	v_cndmask_b32_e32 v16, v38, v39, vcc_lo
	v_add3_u32 v35, v35, v14, 0x7fff
	v_or_b32_e32 v36, 0x400000, v14
	v_mul_f32_e32 v15, v20, v15
	v_bfe_u32 v38, v1, 16, 1
	v_cmp_u_f32_e32 vcc_lo, v14, v14
	v_lshlrev_b32_e32 v2, 16, v2
	v_or_b32_e32 v39, 0x400000, v1
	v_or_b32_e32 v40, 0x400000, v15
	v_and_b32_e32 v16, 0xffff0000, v16
	v_cndmask_b32_e32 v14, v35, v36, vcc_lo
	v_bfe_u32 v35, v15, 16, 1
	v_add3_u32 v36, v38, v1, 0x7fff
	v_and_b32_e32 v38, 0xffff0000, v3
	v_mul_f32_e32 v2, v19, v2
	v_cmp_u_f32_e32 vcc_lo, v1, v1
	v_add3_u32 v35, v35, v15, 0x7fff
	v_lshlrev_b32_e32 v3, 16, v3
	v_mul_f32_e32 v38, v10, v38
	v_and_b32_e32 v14, 0xffff0000, v14
	v_cndmask_b32_e32 v1, v36, v39, vcc_lo
	v_bfe_u32 v36, v2, 16, 1
	v_cmp_u_f32_e32 vcc_lo, v15, v15
	v_and_b32_e32 v39, 0xffff0000, v4
	v_mul_f32_e32 v3, v9, v3
	v_or_b32_e32 v41, 0x400000, v38
	v_add3_u32 v36, v36, v2, 0x7fff
	v_cndmask_b32_e32 v15, v35, v40, vcc_lo
	v_bfe_u32 v35, v38, 16, 1
	v_or_b32_e32 v40, 0x400000, v2
	v_cmp_u_f32_e32 vcc_lo, v2, v2
	v_mul_f32_e32 v39, v12, v39
	v_lshlrev_b32_e32 v4, 16, v4
	v_add3_u32 v35, v35, v38, 0x7fff
	v_and_b32_e32 v1, 0xffff0000, v1
	v_cndmask_b32_e32 v2, v36, v40, vcc_lo
	v_bfe_u32 v36, v3, 16, 1
	v_cmp_u_f32_e32 vcc_lo, v38, v38
	v_bfe_u32 v40, v39, 16, 1
	v_or_b32_e32 v38, 0x400000, v3
	v_mul_f32_e32 v4, v11, v4
	v_add3_u32 v36, v36, v3, 0x7fff
	v_cndmask_b32_e32 v35, v35, v41, vcc_lo
	v_cmp_u_f32_e32 vcc_lo, v3, v3
	v_add3_u32 v40, v40, v39, 0x7fff
	v_or_b32_e32 v41, 0x400000, v39
	v_and_b32_e32 v2, 0xffff0000, v2
	v_and_b32_e32 v15, 0xffff0000, v15
	v_cndmask_b32_e32 v3, v36, v38, vcc_lo
	v_cmp_u_f32_e32 vcc_lo, v39, v39
	v_bfe_u32 v38, v4, 16, 1
	v_add_f32_e32 v1, v1, v14
	v_add_f32_e32 v2, v2, v15
	v_and_b32_e32 v3, 0xffff0000, v3
	v_cndmask_b32_e32 v36, v40, v41, vcc_lo
	s_waitcnt vmcnt(0)
	v_and_b32_e32 v40, 0xffff0000, v5
	v_and_b32_e32 v14, 0xffff0000, v35
	v_lshlrev_b32_e32 v5, 16, v5
	v_add3_u32 v38, v38, v4, 0x7fff
	v_or_b32_e32 v39, 0x400000, v4
	v_mul_f32_e32 v15, v18, v40
	v_cmp_u_f32_e32 vcc_lo, v4, v4
	v_add_f32_e32 v1, v2, v1
	v_add_f32_e32 v3, v3, v14
	v_mul_f32_e32 v5, v17, v5
	v_bfe_u32 v2, v15, 16, 1
	v_and_b32_e32 v14, 0xffff0000, v6
	v_cndmask_b32_e32 v4, v38, v39, vcc_lo
	v_or_b32_e32 v17, 0x400000, v15
	v_bfe_u32 v18, v5, 16, 1
	v_add3_u32 v2, v2, v15, 0x7fff
	v_mul_f32_e32 v14, v20, v14
	v_lshlrev_b32_e32 v6, 16, v6
	v_cmp_u_f32_e32 vcc_lo, v15, v15
	v_add3_u32 v15, v18, v5, 0x7fff
	v_and_b32_e32 v37, 0xffff0000, v37
	v_bfe_u32 v18, v14, 16, 1
	v_mul_f32_e32 v6, v19, v6
	v_cndmask_b32_e32 v2, v2, v17, vcc_lo
	v_or_b32_e32 v17, 0x400000, v5
	v_and_b32_e32 v19, 0xffff0000, v7
	v_cmp_u_f32_e32 vcc_lo, v5, v5
	v_lshlrev_b32_e32 v7, 16, v7
	v_and_b32_e32 v2, 0xffff0000, v2
	v_and_b32_e32 v4, 0xffff0000, v4
	v_mul_f32_e32 v10, v10, v19
	v_cndmask_b32_e32 v5, v15, v17, vcc_lo
	v_add3_u32 v15, v18, v14, 0x7fff
	v_or_b32_e32 v17, 0x400000, v14
	v_bfe_u32 v18, v6, 16, 1
	v_cmp_u_f32_e32 vcc_lo, v14, v14
	v_mul_f32_e32 v7, v9, v7
	v_and_b32_e32 v9, 0xffff0000, v8
	v_lshlrev_b32_e32 v8, 16, v8
	v_and_b32_e32 v5, 0xffff0000, v5
	v_cndmask_b32_e32 v14, v15, v17, vcc_lo
	v_add3_u32 v15, v18, v6, 0x7fff
	v_or_b32_e32 v17, 0x400000, v6
	v_bfe_u32 v18, v10, 16, 1
	v_cmp_u_f32_e32 vcc_lo, v6, v6
	v_mul_f32_e32 v8, v11, v8
	v_or_b32_e32 v11, 0x400000, v10
	v_mul_f32_e32 v9, v12, v9
	v_and_b32_e32 v14, 0xffff0000, v14
	v_cndmask_b32_e32 v6, v15, v17, vcc_lo
	v_bfe_u32 v15, v7, 16, 1
	v_add3_u32 v17, v18, v10, 0x7fff
	v_cmp_u_f32_e32 vcc_lo, v10, v10
	v_bfe_u32 v19, v8, 16, 1
	v_bfe_u32 v18, v9, 16, 1
	v_add3_u32 v12, v15, v7, 0x7fff
	v_or_b32_e32 v15, 0x400000, v7
	v_cndmask_b32_e32 v10, v17, v11, vcc_lo
	v_cmp_u_f32_e32 vcc_lo, v7, v7
	v_add3_u32 v11, v18, v9, 0x7fff
	v_and_b32_e32 v6, 0xffff0000, v6
	v_or_b32_e32 v17, 0x400000, v9
	v_add_f32_e32 v2, v5, v2
	v_cndmask_b32_e32 v7, v12, v15, vcc_lo
	v_add3_u32 v12, v19, v8, 0x7fff
	v_or_b32_e32 v15, 0x400000, v8
	v_cmp_u_f32_e32 vcc_lo, v8, v8
	v_add_f32_e32 v5, v6, v14
	v_and_b32_e32 v6, 0xffff0000, v7
	v_and_b32_e32 v7, 0xffff0000, v10
	v_and_b32_e32 v10, 0xffff0000, v36
	v_cndmask_b32_e32 v8, v12, v15, vcc_lo
	v_cmp_u_f32_e32 vcc_lo, v9, v9
	v_add_f32_e32 v2, v5, v2
	v_add_f32_e32 v5, v6, v7
	;; [unrolled: 1-line block ×3, first 2 shown]
	v_and_b32_e32 v6, 0xffff0000, v8
	v_cndmask_b32_e32 v9, v11, v17, vcc_lo
	v_add_f32_e32 v8, v16, v37
	v_add_f32_e32 v3, v4, v10
	;; [unrolled: 1-line block ×3, first 2 shown]
	v_and_b32_e32 v7, 0xffff0000, v9
	v_add_f32_e32 v5, v8, v13
	v_add_f32_e32 v1, v3, v1
	v_add_f32_e32 v4, v6, v7
	v_add_f32_e32 v28, v28, v5
	v_add_f32_e32 v29, v29, v1
	v_add_f32_e32 v2, v4, v2
	v_add_f32_e32 v27, v27, v2
.LBB132_41:                             ;   in Loop: Header=BB132_42 Depth=1
	s_or_b32 exec_lo, exec_lo, s15
	v_add_nc_u32_e32 v21, 4, v21
	v_add_co_u32 v22, s0, v22, 16
	v_add_co_ci_u32_e64 v23, null, 0, v23, s0
	v_cmp_le_i32_e32 vcc_lo, s16, v21
	v_add_nc_u32_e32 v25, 32, v25
	v_add_nc_u32_e32 v31, 0x80, v31
	s_or_b32 s13, vcc_lo, s13
	s_andn2_b32 exec_lo, exec_lo, s13
	s_cbranch_execz .LBB132_49
.LBB132_42:                             ; =>This Inner Loop Header: Depth=1
	v_sub_nc_u32_e32 v1, 0, v25
	v_max_i32_e32 v1, v25, v1
	v_mul_hi_u32 v2, v1, s12
	v_mul_lo_u32 v3, v2, s11
	v_sub_nc_u32_e32 v1, v1, v3
	v_add_nc_u32_e32 v3, 1, v2
	v_subrev_nc_u32_e32 v4, s11, v1
	v_cmp_le_u32_e32 vcc_lo, s11, v1
	v_cndmask_b32_e32 v2, v2, v3, vcc_lo
	v_cndmask_b32_e32 v1, v1, v4, vcc_lo
	v_ashrrev_i32_e32 v3, 31, v25
	v_add_nc_u32_e32 v4, 1, v2
	v_cmp_le_u32_e32 vcc_lo, s11, v1
	v_xor_b32_e32 v3, s19, v3
	v_cndmask_b32_e32 v1, v2, v4, vcc_lo
	v_xor_b32_e32 v1, v1, v3
	v_sub_nc_u32_e32 v1, v1, v3
	v_add_nc_u32_e32 v2, s33, v1
	v_cmp_lt_i32_e64 s0, s5, v1
	v_sub_nc_u32_e32 v3, 0, v2
	v_max_i32_e32 v3, v2, v3
	v_ashrrev_i32_e32 v2, 31, v2
	v_mul_hi_u32 v4, v3, v34
	v_mul_lo_u32 v4, v4, s6
	v_sub_nc_u32_e32 v3, v3, v4
	v_subrev_nc_u32_e32 v4, s6, v3
	v_cmp_le_u32_e32 vcc_lo, s6, v3
	v_cndmask_b32_e32 v3, v3, v4, vcc_lo
	v_subrev_nc_u32_e32 v4, s6, v3
	v_cmp_le_u32_e32 vcc_lo, s6, v3
	v_cndmask_b32_e32 v3, v3, v4, vcc_lo
	v_xor_b32_e32 v3, v3, v2
	v_sub_nc_u32_e32 v2, v3, v2
	v_cmp_eq_u32_e32 vcc_lo, 0, v2
	s_or_b32 s0, vcc_lo, s0
	s_and_saveexec_b32 s15, s0
	s_cbranch_execz .LBB132_41
; %bb.43:                               ;   in Loop: Header=BB132_42 Depth=1
	global_load_dword v1, v[22:23], off
	v_cmp_eq_u32_e64 s0, s36, v21
	v_add_nc_u32_e32 v41, 1, v25
	v_or_b32_e32 v39, 3, v25
	v_or_b32_e32 v40, 2, v25
	v_or_b32_e32 v38, 5, v25
	v_or_b32_e32 v37, 4, v25
	v_or_b32_e32 v36, 7, v25
	v_or_b32_e32 v35, 6, v25
	s_waitcnt vmcnt(0)
	v_mad_i64_i32 v[1:2], null, v1, s9, 0
	v_lshlrev_b64 v[1:2], 1, v[1:2]
	v_add_co_u32 v5, vcc_lo, v32, v1
	v_add_co_ci_u32_e64 v6, null, v33, v2, vcc_lo
	global_load_dwordx4 v[1:4], v[5:6], off
	ds_read2_b64 v[17:20], v31 offset1:1
	ds_read2_b64 v[9:12], v31 offset0:2 offset1:3
	s_and_saveexec_b32 s17, s0
	s_cbranch_execnz .LBB132_46
; %bb.44:                               ;   in Loop: Header=BB132_42 Depth=1
	s_or_b32 exec_lo, exec_lo, s17
	global_load_dwordx4 v[13:16], v[5:6], off offset:512
	s_and_saveexec_b32 s17, s0
	s_cbranch_execnz .LBB132_47
.LBB132_45:                             ;   in Loop: Header=BB132_42 Depth=1
	s_or_b32 exec_lo, exec_lo, s17
	global_load_dwordx4 v[5:8], v[5:6], off offset:1024
	s_and_saveexec_b32 s2, s0
	s_cbranch_execz .LBB132_40
	s_branch .LBB132_48
.LBB132_46:                             ;   in Loop: Header=BB132_42 Depth=1
	v_cmp_gt_i32_e64 s1, s27, v25
	v_cmp_gt_i32_e32 vcc_lo, s14, v41
	v_cmp_gt_i32_e64 s2, s27, v40
	s_waitcnt vmcnt(0)
	v_cndmask_b32_e64 v7, 0, v1, s1
	v_cmp_gt_i32_e64 s1, s14, v39
	v_cndmask_b32_sdwa v1, v30, v1, vcc_lo dst_sel:DWORD dst_unused:UNUSED_PAD src0_sel:DWORD src1_sel:WORD_1
	v_cndmask_b32_e64 v8, 0, v2, s2
	v_cmp_gt_i32_e64 s2, s14, v38
	s_mov_b32 vcc_lo, s1
	v_cmp_gt_i32_e64 s1, s14, v36
	v_cndmask_b32_sdwa v2, v30, v2, vcc_lo dst_sel:DWORD dst_unused:UNUSED_PAD src0_sel:DWORD src1_sel:WORD_1
	v_cmp_gt_i32_e32 vcc_lo, s27, v37
	v_perm_b32 v1, v1, v7, 0x5040100
	v_perm_b32 v2, v2, v8, 0x5040100
	v_cndmask_b32_e32 v13, 0, v3, vcc_lo
	s_mov_b32 vcc_lo, s2
	v_cndmask_b32_sdwa v3, v30, v3, vcc_lo dst_sel:DWORD dst_unused:UNUSED_PAD src0_sel:DWORD src1_sel:WORD_1
	v_cmp_gt_i32_e32 vcc_lo, s27, v35
	v_perm_b32 v3, v3, v13, 0x5040100
	v_cndmask_b32_e32 v14, 0, v4, vcc_lo
	s_mov_b32 vcc_lo, s1
	v_cndmask_b32_sdwa v4, v30, v4, vcc_lo dst_sel:DWORD dst_unused:UNUSED_PAD src0_sel:DWORD src1_sel:WORD_1
	v_perm_b32 v4, v4, v14, 0x5040100
	s_or_b32 exec_lo, exec_lo, s17
	global_load_dwordx4 v[13:16], v[5:6], off offset:512
	s_and_saveexec_b32 s17, s0
	s_cbranch_execz .LBB132_45
.LBB132_47:                             ;   in Loop: Header=BB132_42 Depth=1
	v_cmp_gt_i32_e64 s1, s27, v25
	v_cmp_gt_i32_e32 vcc_lo, s14, v41
	v_cmp_gt_i32_e64 s2, s27, v40
	s_waitcnt vmcnt(0)
	v_cndmask_b32_e64 v7, 0, v13, s1
	v_cmp_gt_i32_e64 s1, s14, v39
	v_cndmask_b32_sdwa v13, v30, v13, vcc_lo dst_sel:DWORD dst_unused:UNUSED_PAD src0_sel:DWORD src1_sel:WORD_1
	v_cndmask_b32_e64 v8, 0, v14, s2
	v_cmp_gt_i32_e64 s2, s14, v38
	s_mov_b32 vcc_lo, s1
	v_cmp_gt_i32_e64 s1, s14, v36
	v_cndmask_b32_sdwa v14, v30, v14, vcc_lo dst_sel:DWORD dst_unused:UNUSED_PAD src0_sel:DWORD src1_sel:WORD_1
	v_cmp_gt_i32_e32 vcc_lo, s27, v37
	v_perm_b32 v13, v13, v7, 0x5040100
	v_perm_b32 v14, v14, v8, 0x5040100
	v_cndmask_b32_e32 v42, 0, v15, vcc_lo
	s_mov_b32 vcc_lo, s2
	v_cndmask_b32_sdwa v15, v30, v15, vcc_lo dst_sel:DWORD dst_unused:UNUSED_PAD src0_sel:DWORD src1_sel:WORD_1
	v_cmp_gt_i32_e32 vcc_lo, s27, v35
	v_perm_b32 v15, v15, v42, 0x5040100
	v_cndmask_b32_e32 v43, 0, v16, vcc_lo
	s_mov_b32 vcc_lo, s1
	v_cndmask_b32_sdwa v16, v30, v16, vcc_lo dst_sel:DWORD dst_unused:UNUSED_PAD src0_sel:DWORD src1_sel:WORD_1
	v_perm_b32 v16, v16, v43, 0x5040100
	s_or_b32 exec_lo, exec_lo, s17
	global_load_dwordx4 v[5:8], v[5:6], off offset:1024
	s_and_saveexec_b32 s2, s0
	s_cbranch_execz .LBB132_40
.LBB132_48:                             ;   in Loop: Header=BB132_42 Depth=1
	v_cmp_gt_i32_e64 s0, s27, v25
	v_cmp_gt_i32_e32 vcc_lo, s14, v41
	v_cmp_gt_i32_e64 s1, s27, v40
	s_waitcnt vmcnt(0)
	v_cndmask_b32_e64 v41, 0, v5, s0
	v_cmp_gt_i32_e64 s0, s14, v39
	v_cndmask_b32_sdwa v5, v30, v5, vcc_lo dst_sel:DWORD dst_unused:UNUSED_PAD src0_sel:DWORD src1_sel:WORD_1
	v_cndmask_b32_e64 v39, 0, v6, s1
	v_cmp_gt_i32_e64 s1, s14, v38
	s_mov_b32 vcc_lo, s0
	v_cmp_gt_i32_e64 s0, s14, v36
	v_cndmask_b32_sdwa v6, v30, v6, vcc_lo dst_sel:DWORD dst_unused:UNUSED_PAD src0_sel:DWORD src1_sel:WORD_1
	v_cmp_gt_i32_e32 vcc_lo, s27, v37
	v_perm_b32 v5, v5, v41, 0x5040100
	v_perm_b32 v6, v6, v39, 0x5040100
	v_cndmask_b32_e32 v37, 0, v7, vcc_lo
	s_mov_b32 vcc_lo, s1
	v_cndmask_b32_sdwa v7, v30, v7, vcc_lo dst_sel:DWORD dst_unused:UNUSED_PAD src0_sel:DWORD src1_sel:WORD_1
	v_cmp_gt_i32_e32 vcc_lo, s27, v35
	v_perm_b32 v7, v7, v37, 0x5040100
	v_cndmask_b32_e32 v35, 0, v8, vcc_lo
	s_mov_b32 vcc_lo, s0
	v_cndmask_b32_sdwa v8, v30, v8, vcc_lo dst_sel:DWORD dst_unused:UNUSED_PAD src0_sel:DWORD src1_sel:WORD_1
	v_perm_b32 v8, v8, v35, 0x5040100
	s_branch .LBB132_40
.LBB132_49:
	s_or_b32 exec_lo, exec_lo, s13
.LBB132_50:
	s_or_b32 exec_lo, exec_lo, s3
	v_lshl_add_u32 v2, v26, 2, 0xe0
	v_and_b32_e32 v3, 0x3c0, v0
	s_mov_b32 s0, exec_lo
	s_waitcnt_vscnt null, 0x0
	s_barrier
	v_mad_u32_u24 v1, 0x180, v24, v2
	buffer_gl0_inv
	v_cmpx_eq_u32_e32 64, v3
	s_cbranch_execz .LBB132_52
; %bb.51:
	v_add_nc_u32_e32 v3, 0xfffffd00, v1
	v_add_nc_u32_e32 v4, 0xfffffd80, v1
	;; [unrolled: 1-line block ×3, first 2 shown]
	ds_write_b32 v3, v29
	ds_write_b32 v4, v28
	;; [unrolled: 1-line block ×3, first 2 shown]
.LBB132_52:
	s_or_b32 exec_lo, exec_lo, s0
	s_mov_b32 s0, exec_lo
	s_waitcnt lgkmcnt(0)
	s_barrier
	buffer_gl0_inv
	v_cmpx_gt_u32_e32 64, v0
	s_cbranch_execz .LBB132_54
; %bb.53:
	ds_read2_b32 v[3:4], v1 offset1:32
	ds_read_b32 v5, v1 offset:256
	s_waitcnt lgkmcnt(1)
	v_add_f32_e32 v29, v29, v3
	v_add_f32_e32 v28, v28, v4
	s_waitcnt lgkmcnt(0)
	v_add_f32_e32 v27, v27, v5
.LBB132_54:
	s_or_b32 exec_lo, exec_lo, s0
	v_and_b32_e32 v3, 0x3e0, v0
	s_mov_b32 s0, exec_lo
	s_barrier
	buffer_gl0_inv
	v_cmpx_eq_u32_e32 32, v3
	s_cbranch_execz .LBB132_56
; %bb.55:
	ds_write2_b32 v2, v29, v28 offset1:32
	ds_write_b32 v2, v27 offset:256
.LBB132_56:
	s_or_b32 exec_lo, exec_lo, s0
	v_cmp_gt_u32_e32 vcc_lo, 32, v0
	s_waitcnt lgkmcnt(0)
	s_barrier
	buffer_gl0_inv
	s_and_saveexec_b32 s0, vcc_lo
	s_cbranch_execz .LBB132_58
; %bb.57:
	ds_read2_b32 v[2:3], v1 offset1:32
	ds_read_b32 v1, v1 offset:256
	s_waitcnt lgkmcnt(1)
	v_add_f32_e32 v29, v29, v2
	v_add_f32_e32 v28, v28, v3
	s_waitcnt lgkmcnt(0)
	v_add_f32_e32 v27, v27, v1
.LBB132_58:
	s_or_b32 exec_lo, exec_lo, s0
	s_barrier
	buffer_gl0_inv
	s_and_saveexec_b32 s0, vcc_lo
	s_cbranch_execz .LBB132_60
; %bb.59:
	v_bfe_u32 v1, v29, 16, 1
	s_mul_i32 s0, s4, 0x60
	v_bfe_u32 v2, v28, 16, 1
	v_or_b32_e32 v4, 0x400000, v29
	v_cmp_u_f32_e32 vcc_lo, v29, v29
	v_add3_u32 v1, v1, v29, 0x7fff
	s_ashr_i32 s1, s0, 31
	s_mul_i32 s2, s7, s10
	s_lshl_b64 s[0:1], s[0:1], 1
	v_bfe_u32 v3, v27, 16, 1
	s_add_u32 s4, s24, s0
	v_add3_u32 v2, v2, v28, 0x7fff
	v_or_b32_e32 v5, 0x400000, v28
	v_cndmask_b32_e32 v1, v1, v4, vcc_lo
	v_cmp_u_f32_e32 vcc_lo, v28, v28
	s_addc_u32 s1, s25, s1
	s_ashr_i32 s3, s2, 31
	s_mul_i32 s0, s8, 0x60
	s_lshl_b64 s[2:3], s[2:3], 1
	v_add3_u32 v3, v3, v27, 0x7fff
	s_add_u32 s2, s4, s2
	v_or_b32_e32 v6, 0x400000, v27
	v_cndmask_b32_e32 v2, v2, v5, vcc_lo
	v_cmp_u_f32_e32 vcc_lo, v27, v27
	s_addc_u32 s3, s1, s3
	s_ashr_i32 s1, s0, 31
	v_lshlrev_b32_e32 v0, 1, v0
	s_lshl_b64 s[0:1], s[0:1], 1
	v_cndmask_b32_e32 v3, v3, v6, vcc_lo
	s_add_u32 s0, s2, s0
	s_addc_u32 s1, s3, s1
	global_store_short_d16_hi v0, v1, s[0:1]
	global_store_short_d16_hi v0, v2, s[0:1] offset:64
	global_store_short_d16_hi v0, v3, s[0:1] offset:128
.LBB132_60:
	s_endpgm
	.section	.rodata,"a",@progbits
	.p2align	6, 0x0
	.amdhsa_kernel _ZN4vllm25paged_attention_v2_kernelI14__hip_bfloat16S1_Li96ELi8ELi128ELNS_18Fp8KVCacheDataTypeE0ELb1ELi512EEEvPfS3_PT_PKS4_PKT0_SA_ifPKiSC_iPKfiiiSE_SE_iiiii
		.amdhsa_group_segment_fixed_size 224
		.amdhsa_private_segment_fixed_size 0
		.amdhsa_kernarg_size 400
		.amdhsa_user_sgpr_count 6
		.amdhsa_user_sgpr_private_segment_buffer 1
		.amdhsa_user_sgpr_dispatch_ptr 0
		.amdhsa_user_sgpr_queue_ptr 0
		.amdhsa_user_sgpr_kernarg_segment_ptr 1
		.amdhsa_user_sgpr_dispatch_id 0
		.amdhsa_user_sgpr_flat_scratch_init 0
		.amdhsa_user_sgpr_private_segment_size 0
		.amdhsa_wavefront_size32 1
		.amdhsa_uses_dynamic_stack 0
		.amdhsa_system_sgpr_private_segment_wavefront_offset 0
		.amdhsa_system_sgpr_workgroup_id_x 1
		.amdhsa_system_sgpr_workgroup_id_y 1
		.amdhsa_system_sgpr_workgroup_id_z 1
		.amdhsa_system_sgpr_workgroup_info 0
		.amdhsa_system_vgpr_workitem_id 0
		.amdhsa_next_free_vgpr 59
		.amdhsa_next_free_sgpr 46
		.amdhsa_reserve_vcc 1
		.amdhsa_reserve_flat_scratch 0
		.amdhsa_float_round_mode_32 0
		.amdhsa_float_round_mode_16_64 0
		.amdhsa_float_denorm_mode_32 3
		.amdhsa_float_denorm_mode_16_64 3
		.amdhsa_dx10_clamp 1
		.amdhsa_ieee_mode 1
		.amdhsa_fp16_overflow 0
		.amdhsa_workgroup_processor_mode 1
		.amdhsa_memory_ordered 1
		.amdhsa_forward_progress 1
		.amdhsa_shared_vgpr_count 0
		.amdhsa_exception_fp_ieee_invalid_op 0
		.amdhsa_exception_fp_denorm_src 0
		.amdhsa_exception_fp_ieee_div_zero 0
		.amdhsa_exception_fp_ieee_overflow 0
		.amdhsa_exception_fp_ieee_underflow 0
		.amdhsa_exception_fp_ieee_inexact 0
		.amdhsa_exception_int_div_zero 0
	.end_amdhsa_kernel
	.section	.text._ZN4vllm25paged_attention_v2_kernelI14__hip_bfloat16S1_Li96ELi8ELi128ELNS_18Fp8KVCacheDataTypeE0ELb1ELi512EEEvPfS3_PT_PKS4_PKT0_SA_ifPKiSC_iPKfiiiSE_SE_iiiii,"axG",@progbits,_ZN4vllm25paged_attention_v2_kernelI14__hip_bfloat16S1_Li96ELi8ELi128ELNS_18Fp8KVCacheDataTypeE0ELb1ELi512EEEvPfS3_PT_PKS4_PKT0_SA_ifPKiSC_iPKfiiiSE_SE_iiiii,comdat
.Lfunc_end132:
	.size	_ZN4vllm25paged_attention_v2_kernelI14__hip_bfloat16S1_Li96ELi8ELi128ELNS_18Fp8KVCacheDataTypeE0ELb1ELi512EEEvPfS3_PT_PKS4_PKT0_SA_ifPKiSC_iPKfiiiSE_SE_iiiii, .Lfunc_end132-_ZN4vllm25paged_attention_v2_kernelI14__hip_bfloat16S1_Li96ELi8ELi128ELNS_18Fp8KVCacheDataTypeE0ELb1ELi512EEEvPfS3_PT_PKS4_PKT0_SA_ifPKiSC_iPKfiiiSE_SE_iiiii
                                        ; -- End function
	.set _ZN4vllm25paged_attention_v2_kernelI14__hip_bfloat16S1_Li96ELi8ELi128ELNS_18Fp8KVCacheDataTypeE0ELb1ELi512EEEvPfS3_PT_PKS4_PKT0_SA_ifPKiSC_iPKfiiiSE_SE_iiiii.num_vgpr, 59
	.set _ZN4vllm25paged_attention_v2_kernelI14__hip_bfloat16S1_Li96ELi8ELi128ELNS_18Fp8KVCacheDataTypeE0ELb1ELi512EEEvPfS3_PT_PKS4_PKT0_SA_ifPKiSC_iPKfiiiSE_SE_iiiii.num_agpr, 0
	.set _ZN4vllm25paged_attention_v2_kernelI14__hip_bfloat16S1_Li96ELi8ELi128ELNS_18Fp8KVCacheDataTypeE0ELb1ELi512EEEvPfS3_PT_PKS4_PKT0_SA_ifPKiSC_iPKfiiiSE_SE_iiiii.numbered_sgpr, 46
	.set _ZN4vllm25paged_attention_v2_kernelI14__hip_bfloat16S1_Li96ELi8ELi128ELNS_18Fp8KVCacheDataTypeE0ELb1ELi512EEEvPfS3_PT_PKS4_PKT0_SA_ifPKiSC_iPKfiiiSE_SE_iiiii.num_named_barrier, 0
	.set _ZN4vllm25paged_attention_v2_kernelI14__hip_bfloat16S1_Li96ELi8ELi128ELNS_18Fp8KVCacheDataTypeE0ELb1ELi512EEEvPfS3_PT_PKS4_PKT0_SA_ifPKiSC_iPKfiiiSE_SE_iiiii.private_seg_size, 0
	.set _ZN4vllm25paged_attention_v2_kernelI14__hip_bfloat16S1_Li96ELi8ELi128ELNS_18Fp8KVCacheDataTypeE0ELb1ELi512EEEvPfS3_PT_PKS4_PKT0_SA_ifPKiSC_iPKfiiiSE_SE_iiiii.uses_vcc, 1
	.set _ZN4vllm25paged_attention_v2_kernelI14__hip_bfloat16S1_Li96ELi8ELi128ELNS_18Fp8KVCacheDataTypeE0ELb1ELi512EEEvPfS3_PT_PKS4_PKT0_SA_ifPKiSC_iPKfiiiSE_SE_iiiii.uses_flat_scratch, 0
	.set _ZN4vllm25paged_attention_v2_kernelI14__hip_bfloat16S1_Li96ELi8ELi128ELNS_18Fp8KVCacheDataTypeE0ELb1ELi512EEEvPfS3_PT_PKS4_PKT0_SA_ifPKiSC_iPKfiiiSE_SE_iiiii.has_dyn_sized_stack, 0
	.set _ZN4vllm25paged_attention_v2_kernelI14__hip_bfloat16S1_Li96ELi8ELi128ELNS_18Fp8KVCacheDataTypeE0ELb1ELi512EEEvPfS3_PT_PKS4_PKT0_SA_ifPKiSC_iPKfiiiSE_SE_iiiii.has_recursion, 0
	.set _ZN4vllm25paged_attention_v2_kernelI14__hip_bfloat16S1_Li96ELi8ELi128ELNS_18Fp8KVCacheDataTypeE0ELb1ELi512EEEvPfS3_PT_PKS4_PKT0_SA_ifPKiSC_iPKfiiiSE_SE_iiiii.has_indirect_call, 0
	.section	.AMDGPU.csdata,"",@progbits
; Kernel info:
; codeLenInByte = 6544
; TotalNumSgprs: 48
; NumVgprs: 59
; ScratchSize: 0
; MemoryBound: 0
; FloatMode: 240
; IeeeMode: 1
; LDSByteSize: 224 bytes/workgroup (compile time only)
; SGPRBlocks: 0
; VGPRBlocks: 7
; NumSGPRsForWavesPerEU: 48
; NumVGPRsForWavesPerEU: 59
; Occupancy: 16
; WaveLimiterHint : 1
; COMPUTE_PGM_RSRC2:SCRATCH_EN: 0
; COMPUTE_PGM_RSRC2:USER_SGPR: 6
; COMPUTE_PGM_RSRC2:TRAP_HANDLER: 0
; COMPUTE_PGM_RSRC2:TGID_X_EN: 1
; COMPUTE_PGM_RSRC2:TGID_Y_EN: 1
; COMPUTE_PGM_RSRC2:TGID_Z_EN: 1
; COMPUTE_PGM_RSRC2:TIDIG_COMP_CNT: 0
	.section	.text._ZN4vllm32paged_attention_v2_reduce_kernelI14__hip_bfloat16Li96ELi128ELi512EEEvPT_PKfS5_PKS2_PKii,"axG",@progbits,_ZN4vllm32paged_attention_v2_reduce_kernelI14__hip_bfloat16Li96ELi128ELi512EEEvPT_PKfS5_PKS2_PKii,comdat
	.protected	_ZN4vllm32paged_attention_v2_reduce_kernelI14__hip_bfloat16Li96ELi128ELi512EEEvPT_PKfS5_PKS2_PKii ; -- Begin function _ZN4vllm32paged_attention_v2_reduce_kernelI14__hip_bfloat16Li96ELi128ELi512EEEvPT_PKfS5_PKS2_PKii
	.globl	_ZN4vllm32paged_attention_v2_reduce_kernelI14__hip_bfloat16Li96ELi128ELi512EEEvPT_PKfS5_PKS2_PKii
	.p2align	8
	.type	_ZN4vllm32paged_attention_v2_reduce_kernelI14__hip_bfloat16Li96ELi128ELi512EEEvPT_PKfS5_PKS2_PKii,@function
_ZN4vllm32paged_attention_v2_reduce_kernelI14__hip_bfloat16Li96ELi128ELi512EEEvPT_PKfS5_PKS2_PKii: ; @_ZN4vllm32paged_attention_v2_reduce_kernelI14__hip_bfloat16Li96ELi128ELi512EEEvPT_PKfS5_PKS2_PKii
; %bb.0:
	s_load_dwordx4 s[8:11], s[4:5], 0x18
	s_add_u32 s14, s4, 48
	s_mov_b32 s12, s7
	s_addc_u32 s15, s5, 0
	s_ashr_i32 s13, s7, 31
	s_lshl_b64 s[0:1], s[12:13], 2
	s_waitcnt lgkmcnt(0)
	s_add_u32 s0, s10, s0
	s_addc_u32 s1, s11, s1
	s_load_dword s22, s[0:1], 0x0
	s_clause 0x2
	s_load_dwordx2 s[10:11], s[4:5], 0x0
	s_load_dword s7, s[4:5], 0x28
	s_load_dword s13, s[4:5], 0x30
	s_waitcnt lgkmcnt(0)
	s_add_i32 s0, s22, -1
	s_cmpk_gt_u32 s0, 0x1ff
	s_mov_b32 s0, -1
	s_cbranch_scc0 .LBB133_26
; %bb.1:
	s_load_dwordx2 s[2:3], s[4:5], 0x8
	s_add_i32 s0, s22, 0x1ff
	s_mul_i32 s20, s13, s12
	s_ashr_i32 s1, s0, 31
	v_mov_b32_e32 v4, 0xff7fffff
	s_lshr_b32 s1, s1, 23
	v_lshlrev_b32_e32 v3, 2, v0
	s_add_i32 s0, s0, s1
	s_mul_i32 s16, s20, s7
	s_ashr_i32 s21, s0, 9
	s_mul_i32 s18, s7, s6
	v_cmp_gt_i32_e32 vcc_lo, s21, v0
	s_ashr_i32 s17, s16, 31
	s_ashr_i32 s19, s18, 31
	s_and_saveexec_b32 s1, vcc_lo
	s_cbranch_execz .LBB133_5
; %bb.2:
	s_load_dword s0, s[14:15], 0xc
	s_load_dwordx2 s[24:25], s[4:5], 0x10
	s_lshl_b64 s[26:27], s[16:17], 2
	s_lshl_b64 s[28:29], s[18:19], 2
	v_add_nc_u32_e32 v5, 32, v3
	v_mov_b32_e32 v4, 0xff7fffff
	v_mov_b32_e32 v6, v0
	s_waitcnt lgkmcnt(0)
	s_and_b32 s4, s0, 0xffff
	s_add_u32 s0, s26, s28
	s_addc_u32 s5, s27, s29
	s_add_u32 s0, s24, s0
	s_addc_u32 s5, s25, s5
	v_add_co_u32 v1, s0, s0, v3
	v_add_co_ci_u32_e64 v2, null, s5, 0, s0
	s_mov_b32 s5, 0
	s_lshl_b32 s23, s4, 2
	.p2align	6
.LBB133_3:                              ; =>This Inner Loop Header: Depth=1
	global_load_dword v7, v[1:2], off
	v_add_nc_u32_e32 v6, s4, v6
	v_max_f32_e32 v4, v4, v4
	v_add_co_u32 v1, s0, v1, s23
	v_add_co_ci_u32_e64 v2, null, 0, v2, s0
	v_cmp_le_i32_e64 s0, s21, v6
	s_or_b32 s5, s0, s5
	s_waitcnt vmcnt(0)
	v_max_f32_e32 v8, v7, v7
	ds_write_b32 v5, v7
	v_add_nc_u32_e32 v5, s23, v5
	v_max_f32_e32 v4, v4, v8
	s_andn2_b32 exec_lo, exec_lo, s5
	s_cbranch_execnz .LBB133_3
; %bb.4:
	s_or_b32 exec_lo, exec_lo, s5
.LBB133_5:
	s_or_b32 exec_lo, exec_lo, s1
	v_mbcnt_lo_u32_b32 v1, -1, 0
	s_waitcnt lgkmcnt(0)
	s_barrier
	buffer_gl0_inv
	v_xor_b32_e32 v2, 16, v1
	v_xor_b32_e32 v5, 8, v1
	v_cmp_gt_i32_e64 s0, 32, v2
	v_cndmask_b32_e64 v2, v1, v2, s0
	v_cmp_gt_i32_e64 s0, 32, v5
	v_lshlrev_b32_e32 v6, 2, v2
	v_cndmask_b32_e64 v5, v1, v5, s0
	ds_bpermute_b32 v2, v6, v4
	v_max_f32_e32 v4, v4, v4
	v_lshlrev_b32_e32 v7, 2, v5
	v_xor_b32_e32 v5, 4, v1
	v_cmp_gt_i32_e64 s0, 32, v5
	v_cndmask_b32_e64 v5, v1, v5, s0
	v_lshlrev_b32_e32 v8, 2, v5
	v_xor_b32_e32 v5, 2, v1
	s_waitcnt lgkmcnt(0)
	v_max_f32_e32 v2, v2, v2
	v_cmp_gt_i32_e64 s0, 32, v5
	v_max_f32_e32 v2, v4, v2
	v_cndmask_b32_e64 v5, v1, v5, s0
	ds_bpermute_b32 v4, v7, v2
	s_waitcnt lgkmcnt(0)
	v_max_f32_e32 v4, v4, v4
	v_max_f32_e32 v2, v2, v4
	ds_bpermute_b32 v4, v8, v2
	s_waitcnt lgkmcnt(0)
	v_max_f32_e32 v9, v4, v4
	v_lshlrev_b32_e32 v4, 2, v5
	v_max_f32_e32 v2, v2, v9
	v_xor_b32_e32 v9, 1, v1
	ds_bpermute_b32 v5, v4, v2
	v_cmp_gt_i32_e64 s0, 32, v9
	v_cndmask_b32_e64 v1, v1, v9, s0
	v_lshrrev_b32_e32 v9, 5, v0
	v_lshlrev_b32_e32 v9, 2, v9
	s_waitcnt lgkmcnt(0)
	v_max_f32_e32 v5, v5, v5
	v_max_f32_e32 v2, v2, v5
	v_lshlrev_b32_e32 v5, 2, v1
	v_and_b32_e32 v1, 31, v0
	ds_bpermute_b32 v10, v5, v2
	v_cmp_eq_u32_e64 s0, 0, v1
	s_and_saveexec_b32 s1, s0
	s_cbranch_execz .LBB133_7
; %bb.6:
	s_waitcnt lgkmcnt(0)
	v_max_f32_e32 v10, v10, v10
	v_max_f32_e32 v2, v2, v2
	;; [unrolled: 1-line block ×3, first 2 shown]
	ds_write_b32 v9, v2
.LBB133_7:
	s_or_b32 exec_lo, exec_lo, s1
	v_cmp_gt_u32_e64 s1, 4, v1
	v_mov_b32_e32 v2, 0xff7fffff
	s_waitcnt lgkmcnt(0)
	v_lshlrev_b32_e32 v10, 2, v1
	s_barrier
	buffer_gl0_inv
	s_and_saveexec_b32 s4, s1
; %bb.8:
	ds_read_b32 v2, v10
; %bb.9:
	s_or_b32 exec_lo, exec_lo, s4
	s_waitcnt lgkmcnt(0)
	ds_bpermute_b32 v1, v4, v2
	v_max_f32_e32 v2, v2, v2
	v_mov_b32_e32 v11, 0
	s_lshl_b32 s4, s21, 2
	s_waitcnt lgkmcnt(0)
	v_max_f32_e32 v1, v1, v1
	v_max_f32_e32 v1, v2, v1
	ds_bpermute_b32 v2, v5, v1
	s_waitcnt lgkmcnt(0)
	v_max_f32_e32 v2, v2, v2
	v_max_f32_e32 v1, v1, v2
	ds_bpermute_b32 v12, v11, v1
	s_and_saveexec_b32 s5, vcc_lo
	s_cbranch_execz .LBB133_13
; %bb.10:
	s_load_dword s23, s[14:15], 0xc
	s_lshl_b64 s[24:25], s[16:17], 2
	s_lshl_b64 s[26:27], s[18:19], 2
	v_mov_b32_e32 v11, 0
	v_add_nc_u32_e32 v13, 32, v3
	s_waitcnt lgkmcnt(0)
	s_and_b32 s17, s23, 0xffff
	s_add_u32 s19, s24, s26
	s_addc_u32 s23, s25, s27
	s_add_u32 s2, s2, s19
	s_addc_u32 s3, s3, s23
	v_add_co_u32 v1, s2, s2, v3
	v_add_co_ci_u32_e64 v2, null, s3, 0, s2
	v_mov_b32_e32 v3, v0
	s_mov_b32 s3, 0
	s_lshl_b32 s19, s17, 2
	s_inst_prefetch 0x1
	.p2align	6
.LBB133_11:                             ; =>This Inner Loop Header: Depth=1
	global_load_dword v14, v[1:2], off
	ds_read_b32 v15, v13
	v_add_nc_u32_e32 v3, s17, v3
	s_waitcnt lgkmcnt(0)
	v_sub_f32_e32 v15, v15, v12
	v_mul_f32_e32 v16, 0x3fb8aa3b, v15
	v_cmp_ngt_f32_e32 vcc_lo, 0xc2ce8ed0, v15
	v_cmp_nlt_f32_e64 s2, 0x42b17218, v15
	v_fma_f32 v17, 0x3fb8aa3b, v15, -v16
	v_rndne_f32_e32 v18, v16
	v_fmac_f32_e32 v17, 0x32a5705f, v15
	v_sub_f32_e32 v16, v16, v18
	v_add_f32_e32 v16, v16, v17
	v_cvt_i32_f32_e32 v17, v18
	v_exp_f32_e32 v16, v16
	v_ldexp_f32 v16, v16, v17
	v_add_nc_u32_e32 v17, s4, v13
	v_add_nc_u32_e32 v13, s19, v13
	v_cndmask_b32_e32 v16, 0, v16, vcc_lo
	v_add_co_u32 v1, vcc_lo, v1, s19
	v_add_co_ci_u32_e64 v2, null, 0, v2, vcc_lo
	v_cndmask_b32_e64 v15, 0x7f800000, v16, s2
	v_cmp_le_i32_e32 vcc_lo, s21, v3
	s_or_b32 s3, vcc_lo, s3
	s_waitcnt vmcnt(0)
	v_mul_f32_e32 v16, v14, v15
	v_fmac_f32_e32 v11, v14, v15
	ds_write_b32 v17, v16
	s_andn2_b32 exec_lo, exec_lo, s3
	s_cbranch_execnz .LBB133_11
; %bb.12:
	s_inst_prefetch 0x2
	s_or_b32 exec_lo, exec_lo, s3
.LBB133_13:
	s_or_b32 exec_lo, exec_lo, s5
	ds_bpermute_b32 v1, v6, v11
	s_waitcnt lgkmcnt(0)
	s_barrier
	buffer_gl0_inv
	v_add_f32_e32 v1, v11, v1
	ds_bpermute_b32 v2, v7, v1
	s_waitcnt lgkmcnt(0)
	v_add_f32_e32 v1, v1, v2
	ds_bpermute_b32 v2, v8, v1
	s_waitcnt lgkmcnt(0)
	;; [unrolled: 3-line block ×4, first 2 shown]
	v_add_f32_e32 v1, v1, v2
	s_and_saveexec_b32 s2, s0
; %bb.14:
	ds_write_b32 v9, v1 offset:16
; %bb.15:
	s_or_b32 exec_lo, exec_lo, s2
	s_waitcnt lgkmcnt(0)
	s_barrier
	buffer_gl0_inv
	s_and_saveexec_b32 s0, s1
; %bb.16:
	ds_read_b32 v1, v10 offset:16
; %bb.17:
	s_or_b32 exec_lo, exec_lo, s0
	s_waitcnt lgkmcnt(0)
	ds_bpermute_b32 v2, v4, v1
	s_mov_b32 s0, exec_lo
	s_waitcnt lgkmcnt(0)
	v_add_f32_e32 v1, v1, v2
	ds_bpermute_b32 v2, v5, v1
	s_waitcnt lgkmcnt(0)
	v_add_f32_e32 v1, v1, v2
	v_mov_b32_e32 v2, 0
	ds_bpermute_b32 v3, v2, v1
	v_cmpx_gt_u32_e32 0x60, v0
	s_cbranch_execz .LBB133_25
; %bb.18:
	s_cmp_gt_i32 s22, 0
	s_mov_b32 s1, 0
	s_cbranch_scc1 .LBB133_20
; %bb.19:
	v_mov_b32_e32 v1, 0
	v_mov_b32_e32 v2, 0
	s_andn2_b32 vcc_lo, exec_lo, s1
	s_cbranch_vccz .LBB133_21
	s_branch .LBB133_24
.LBB133_20:
	v_mov_b32_e32 v2, 0
.LBB133_21:
	s_waitcnt lgkmcnt(0)
	v_add_f32_e32 v4, 0x358637bd, v3
	s_mulk_i32 s16, 0x60
	s_mulk_i32 s18, 0x60
	s_ashr_i32 s17, s16, 31
	s_ashr_i32 s19, s18, 31
	v_div_scale_f32 v2, null, v4, v4, 1.0
	v_div_scale_f32 v5, vcc_lo, 1.0, v4, 1.0
	s_add_i32 s2, s4, 32
	v_rcp_f32_e32 v3, v2
	s_lshl_b64 s[4:5], s[16:17], 1
	s_lshl_b64 s[16:17], s[18:19], 1
	s_max_i32 s1, s21, 1
	s_add_u32 s3, s4, s16
	s_addc_u32 s4, s5, s17
	s_add_u32 s3, s8, s3
	s_addc_u32 s4, s9, s4
	v_fma_f32 v1, -v2, v3, 1.0
	v_fmac_f32_e32 v3, v1, v3
	v_mov_b32_e32 v1, 0
	v_mul_f32_e32 v6, v5, v3
	v_fma_f32 v7, -v2, v6, v5
	v_fmac_f32_e32 v6, v7, v3
	v_lshlrev_b32_e32 v7, 1, v0
	v_fma_f32 v2, -v2, v6, v5
	v_div_fmas_f32 v5, v2, v3, v6
	v_add_co_u32 v2, s3, s3, v7
	v_add_co_ci_u32_e64 v3, null, s4, 0, s3
	v_div_fixup_f32 v4, v5, v4, 1.0
	v_mov_b32_e32 v5, v1
	.p2align	6
.LBB133_22:                             ; =>This Inner Loop Header: Depth=1
	global_load_ushort v6, v[2:3], off
	v_mov_b32_e32 v7, s2
	v_add_co_u32 v2, vcc_lo, 0xc0, v2
	v_add_co_ci_u32_e64 v3, null, 0, v3, vcc_lo
	ds_read_b32 v7, v7
	s_add_i32 s1, s1, -1
	s_add_i32 s2, s2, 4
	s_cmp_eq_u32 s1, 0
	s_waitcnt vmcnt(0)
	v_lshlrev_b32_e32 v6, 16, v6
	s_waitcnt lgkmcnt(0)
	v_mul_f32_e32 v6, v7, v6
	v_fmac_f32_e32 v5, v4, v6
	s_cbranch_scc0 .LBB133_22
; %bb.23:
	v_bfe_u32 v2, v5, 16, 1
	v_or_b32_e32 v3, 0x400000, v5
	v_cmp_u_f32_e32 vcc_lo, v5, v5
	v_add3_u32 v2, v2, v5, 0x7fff
	v_cndmask_b32_e32 v2, v2, v3, vcc_lo
	v_lshrrev_b32_e32 v2, 16, v2
.LBB133_24:
	s_mul_i32 s2, s20, 0x60
	s_mul_i32 s4, s6, 0x60
	s_ashr_i32 s3, s2, 31
	s_waitcnt lgkmcnt(0)
	v_lshlrev_b64 v[3:4], 1, v[0:1]
	s_lshl_b64 s[2:3], s[2:3], 1
	s_add_u32 s1, s10, s2
	s_addc_u32 s16, s11, s3
	s_ashr_i32 s5, s4, 31
	s_lshl_b64 s[2:3], s[4:5], 1
	s_add_u32 s1, s1, s2
	s_addc_u32 s2, s16, s3
	v_add_co_u32 v3, vcc_lo, s1, v3
	v_add_co_ci_u32_e64 v4, null, s2, v4, vcc_lo
	global_store_short v[3:4], v2, off
.LBB133_25:
	s_or_b32 exec_lo, exec_lo, s0
	s_mov_b32 s0, 0
.LBB133_26:
	s_and_b32 vcc_lo, exec_lo, s0
	s_cbranch_vccz .LBB133_35
; %bb.27:
	s_mov_b32 s0, exec_lo
	v_cmpx_gt_u32_e32 0x60, v0
	s_cbranch_execz .LBB133_35
; %bb.28:
	s_load_dword s0, s[14:15], 0xc
	s_mul_i32 s1, s13, s12
	s_mul_i32 s4, s6, 0x60
	;; [unrolled: 1-line block ×5, first 2 shown]
	v_cmp_gt_u32_e32 vcc_lo, 0x5d, v0
	s_ashr_i32 s5, s4, 31
	s_ashr_i32 s13, s12, 31
	;; [unrolled: 1-line block ×4, first 2 shown]
	s_waitcnt lgkmcnt(0)
	s_and_b32 s1, s0, 0xffff
	s_cmp_eq_u32 s1, 1
	s_cselect_b32 s0, -1, 0
	s_and_b32 s15, vcc_lo, s0
	s_mov_b32 s0, -1
	s_and_saveexec_b32 s14, s15
	s_cbranch_execz .LBB133_32
; %bb.29:
	s_lshl_b64 s[16:17], s[6:7], 1
	s_lshl_b64 s[18:19], s[2:3], 1
	v_lshlrev_b32_e32 v1, 1, v0
	s_add_u32 s0, s16, s18
	s_addc_u32 s15, s17, s19
	s_add_u32 s0, s8, s0
	s_addc_u32 s15, s9, s15
	s_lshl_b64 s[16:17], s[12:13], 1
	s_lshl_b64 s[18:19], s[4:5], 1
	v_add_co_u32 v2, s0, s0, v1
	v_add_co_ci_u32_e64 v3, null, s15, 0, s0
	s_add_u32 s0, s16, s18
	v_sub_nc_u32_e32 v5, 0x60, v0
	s_addc_u32 s15, s17, s19
	s_add_u32 s0, s10, s0
	s_addc_u32 s15, s11, s15
	v_add_co_u32 v4, s0, s0, v1
	v_and_b32_e32 v6, 0x7c, v5
	v_add_co_ci_u32_e64 v7, null, s15, 0, s0
	v_add_co_u32 v1, vcc_lo, v2, 4
	v_add_co_ci_u32_e64 v2, null, 0, v3, vcc_lo
	v_add_co_u32 v3, vcc_lo, v4, 4
	v_add_co_ci_u32_e64 v4, null, 0, v7, vcc_lo
	v_mov_b32_e32 v7, v6
	s_mov_b32 s15, 0
	.p2align	6
.LBB133_30:                             ; =>This Inner Loop Header: Depth=1
	global_load_dwordx2 v[8:9], v[1:2], off offset:-4
	v_add_nc_u32_e32 v7, -4, v7
	v_add_co_u32 v1, vcc_lo, v1, 8
	v_add_co_ci_u32_e64 v2, null, 0, v2, vcc_lo
	v_cmp_eq_u32_e32 vcc_lo, 0, v7
	s_or_b32 s15, vcc_lo, s15
	s_waitcnt vmcnt(0)
	global_store_dwordx2 v[3:4], v[8:9], off offset:-4
	v_add_co_u32 v3, s0, v3, 8
	v_add_co_ci_u32_e64 v4, null, 0, v4, s0
	s_andn2_b32 exec_lo, exec_lo, s15
	s_cbranch_execnz .LBB133_30
; %bb.31:
	s_or_b32 exec_lo, exec_lo, s15
	v_cmp_ne_u32_e32 vcc_lo, v5, v6
	v_add_nc_u32_e32 v0, v0, v6
	s_orn2_b32 s0, vcc_lo, exec_lo
.LBB133_32:
	s_or_b32 exec_lo, exec_lo, s14
	s_and_b32 exec_lo, exec_lo, s0
	s_cbranch_execz .LBB133_35
; %bb.33:
	s_lshl_b64 s[12:13], s[12:13], 1
	v_lshlrev_b32_e32 v1, 1, v0
	s_add_u32 s0, s10, s12
	s_addc_u32 s10, s11, s13
	s_lshl_b64 s[4:5], s[4:5], 1
	v_mov_b32_e32 v2, 0
	s_add_u32 s4, s0, s4
	s_addc_u32 s5, s10, s5
	s_lshl_b64 s[6:7], s[6:7], 1
	s_add_u32 s0, s8, s6
	s_addc_u32 s6, s9, s7
	s_lshl_b64 s[2:3], s[2:3], 1
	s_add_u32 s2, s0, s2
	s_addc_u32 s3, s6, s3
	s_mov_b32 s6, 0
	s_lshl_b32 s7, s1, 1
	.p2align	6
.LBB133_34:                             ; =>This Inner Loop Header: Depth=1
	v_add_co_u32 v3, vcc_lo, s2, v1
	v_add_co_ci_u32_e64 v4, null, s3, v2, vcc_lo
	v_add_nc_u32_e32 v0, s1, v0
	global_load_ushort v5, v[3:4], off
	v_add_co_u32 v3, vcc_lo, s4, v1
	v_add_co_ci_u32_e64 v4, null, s5, v2, vcc_lo
	v_cmp_lt_u32_e32 vcc_lo, 0x5f, v0
	v_add_co_u32 v1, s0, v1, s7
	v_add_co_ci_u32_e64 v2, null, 0, v2, s0
	s_or_b32 s6, vcc_lo, s6
	s_waitcnt vmcnt(0)
	global_store_short v[3:4], v5, off
	s_andn2_b32 exec_lo, exec_lo, s6
	s_cbranch_execnz .LBB133_34
.LBB133_35:
	s_endpgm
	.section	.rodata,"a",@progbits
	.p2align	6, 0x0
	.amdhsa_kernel _ZN4vllm32paged_attention_v2_reduce_kernelI14__hip_bfloat16Li96ELi128ELi512EEEvPT_PKfS5_PKS2_PKii
		.amdhsa_group_segment_fixed_size 32
		.amdhsa_private_segment_fixed_size 0
		.amdhsa_kernarg_size 304
		.amdhsa_user_sgpr_count 6
		.amdhsa_user_sgpr_private_segment_buffer 1
		.amdhsa_user_sgpr_dispatch_ptr 0
		.amdhsa_user_sgpr_queue_ptr 0
		.amdhsa_user_sgpr_kernarg_segment_ptr 1
		.amdhsa_user_sgpr_dispatch_id 0
		.amdhsa_user_sgpr_flat_scratch_init 0
		.amdhsa_user_sgpr_private_segment_size 0
		.amdhsa_wavefront_size32 1
		.amdhsa_uses_dynamic_stack 0
		.amdhsa_system_sgpr_private_segment_wavefront_offset 0
		.amdhsa_system_sgpr_workgroup_id_x 1
		.amdhsa_system_sgpr_workgroup_id_y 1
		.amdhsa_system_sgpr_workgroup_id_z 0
		.amdhsa_system_sgpr_workgroup_info 0
		.amdhsa_system_vgpr_workitem_id 0
		.amdhsa_next_free_vgpr 19
		.amdhsa_next_free_sgpr 30
		.amdhsa_reserve_vcc 1
		.amdhsa_reserve_flat_scratch 0
		.amdhsa_float_round_mode_32 0
		.amdhsa_float_round_mode_16_64 0
		.amdhsa_float_denorm_mode_32 3
		.amdhsa_float_denorm_mode_16_64 3
		.amdhsa_dx10_clamp 1
		.amdhsa_ieee_mode 1
		.amdhsa_fp16_overflow 0
		.amdhsa_workgroup_processor_mode 1
		.amdhsa_memory_ordered 1
		.amdhsa_forward_progress 1
		.amdhsa_shared_vgpr_count 0
		.amdhsa_exception_fp_ieee_invalid_op 0
		.amdhsa_exception_fp_denorm_src 0
		.amdhsa_exception_fp_ieee_div_zero 0
		.amdhsa_exception_fp_ieee_overflow 0
		.amdhsa_exception_fp_ieee_underflow 0
		.amdhsa_exception_fp_ieee_inexact 0
		.amdhsa_exception_int_div_zero 0
	.end_amdhsa_kernel
	.section	.text._ZN4vllm32paged_attention_v2_reduce_kernelI14__hip_bfloat16Li96ELi128ELi512EEEvPT_PKfS5_PKS2_PKii,"axG",@progbits,_ZN4vllm32paged_attention_v2_reduce_kernelI14__hip_bfloat16Li96ELi128ELi512EEEvPT_PKfS5_PKS2_PKii,comdat
.Lfunc_end133:
	.size	_ZN4vllm32paged_attention_v2_reduce_kernelI14__hip_bfloat16Li96ELi128ELi512EEEvPT_PKfS5_PKS2_PKii, .Lfunc_end133-_ZN4vllm32paged_attention_v2_reduce_kernelI14__hip_bfloat16Li96ELi128ELi512EEEvPT_PKfS5_PKS2_PKii
                                        ; -- End function
	.set _ZN4vllm32paged_attention_v2_reduce_kernelI14__hip_bfloat16Li96ELi128ELi512EEEvPT_PKfS5_PKS2_PKii.num_vgpr, 19
	.set _ZN4vllm32paged_attention_v2_reduce_kernelI14__hip_bfloat16Li96ELi128ELi512EEEvPT_PKfS5_PKS2_PKii.num_agpr, 0
	.set _ZN4vllm32paged_attention_v2_reduce_kernelI14__hip_bfloat16Li96ELi128ELi512EEEvPT_PKfS5_PKS2_PKii.numbered_sgpr, 30
	.set _ZN4vllm32paged_attention_v2_reduce_kernelI14__hip_bfloat16Li96ELi128ELi512EEEvPT_PKfS5_PKS2_PKii.num_named_barrier, 0
	.set _ZN4vllm32paged_attention_v2_reduce_kernelI14__hip_bfloat16Li96ELi128ELi512EEEvPT_PKfS5_PKS2_PKii.private_seg_size, 0
	.set _ZN4vllm32paged_attention_v2_reduce_kernelI14__hip_bfloat16Li96ELi128ELi512EEEvPT_PKfS5_PKS2_PKii.uses_vcc, 1
	.set _ZN4vllm32paged_attention_v2_reduce_kernelI14__hip_bfloat16Li96ELi128ELi512EEEvPT_PKfS5_PKS2_PKii.uses_flat_scratch, 0
	.set _ZN4vllm32paged_attention_v2_reduce_kernelI14__hip_bfloat16Li96ELi128ELi512EEEvPT_PKfS5_PKS2_PKii.has_dyn_sized_stack, 0
	.set _ZN4vllm32paged_attention_v2_reduce_kernelI14__hip_bfloat16Li96ELi128ELi512EEEvPT_PKfS5_PKS2_PKii.has_recursion, 0
	.set _ZN4vllm32paged_attention_v2_reduce_kernelI14__hip_bfloat16Li96ELi128ELi512EEEvPT_PKfS5_PKS2_PKii.has_indirect_call, 0
	.section	.AMDGPU.csdata,"",@progbits
; Kernel info:
; codeLenInByte = 2400
; TotalNumSgprs: 32
; NumVgprs: 19
; ScratchSize: 0
; MemoryBound: 0
; FloatMode: 240
; IeeeMode: 1
; LDSByteSize: 32 bytes/workgroup (compile time only)
; SGPRBlocks: 0
; VGPRBlocks: 2
; NumSGPRsForWavesPerEU: 32
; NumVGPRsForWavesPerEU: 19
; Occupancy: 16
; WaveLimiterHint : 0
; COMPUTE_PGM_RSRC2:SCRATCH_EN: 0
; COMPUTE_PGM_RSRC2:USER_SGPR: 6
; COMPUTE_PGM_RSRC2:TRAP_HANDLER: 0
; COMPUTE_PGM_RSRC2:TGID_X_EN: 1
; COMPUTE_PGM_RSRC2:TGID_Y_EN: 1
; COMPUTE_PGM_RSRC2:TGID_Z_EN: 0
; COMPUTE_PGM_RSRC2:TIDIG_COMP_CNT: 0
	.section	.text._ZN4vllm25paged_attention_v2_kernelI14__hip_bfloat16S1_Li112ELi8ELi128ELNS_18Fp8KVCacheDataTypeE0ELb1ELi512EEEvPfS3_PT_PKS4_PKT0_SA_ifPKiSC_iPKfiiiSE_SE_iiiii,"axG",@progbits,_ZN4vllm25paged_attention_v2_kernelI14__hip_bfloat16S1_Li112ELi8ELi128ELNS_18Fp8KVCacheDataTypeE0ELb1ELi512EEEvPfS3_PT_PKS4_PKT0_SA_ifPKiSC_iPKfiiiSE_SE_iiiii,comdat
	.protected	_ZN4vllm25paged_attention_v2_kernelI14__hip_bfloat16S1_Li112ELi8ELi128ELNS_18Fp8KVCacheDataTypeE0ELb1ELi512EEEvPfS3_PT_PKS4_PKT0_SA_ifPKiSC_iPKfiiiSE_SE_iiiii ; -- Begin function _ZN4vllm25paged_attention_v2_kernelI14__hip_bfloat16S1_Li112ELi8ELi128ELNS_18Fp8KVCacheDataTypeE0ELb1ELi512EEEvPfS3_PT_PKS4_PKT0_SA_ifPKiSC_iPKfiiiSE_SE_iiiii
	.globl	_ZN4vllm25paged_attention_v2_kernelI14__hip_bfloat16S1_Li112ELi8ELi128ELNS_18Fp8KVCacheDataTypeE0ELb1ELi512EEEvPfS3_PT_PKS4_PKT0_SA_ifPKiSC_iPKfiiiSE_SE_iiiii
	.p2align	8
	.type	_ZN4vllm25paged_attention_v2_kernelI14__hip_bfloat16S1_Li112ELi8ELi128ELNS_18Fp8KVCacheDataTypeE0ELb1ELi512EEEvPfS3_PT_PKS4_PKT0_SA_ifPKiSC_iPKfiiiSE_SE_iiiii,@function
_ZN4vllm25paged_attention_v2_kernelI14__hip_bfloat16S1_Li112ELi8ELi128ELNS_18Fp8KVCacheDataTypeE0ELb1ELi512EEEvPfS3_PT_PKS4_PKT0_SA_ifPKiSC_iPKfiiiSE_SE_iiiii: ; @_ZN4vllm25paged_attention_v2_kernelI14__hip_bfloat16S1_Li112ELi8ELi128ELNS_18Fp8KVCacheDataTypeE0ELb1ELi512EEEvPfS3_PT_PKS4_PKT0_SA_ifPKiSC_iPKfiiiSE_SE_iiiii
; %bb.0:
	s_load_dwordx2 s[0:1], s[4:5], 0x40
	s_mov_b32 s10, s7
	s_ashr_i32 s11, s7, 31
	s_lshl_b64 s[2:3], s[10:11], 2
	s_waitcnt lgkmcnt(0)
	s_add_u32 s0, s0, s2
	s_addc_u32 s1, s1, s3
	s_lshl_b32 s11, s8, 9
	s_load_dword s33, s[0:1], 0x0
	s_waitcnt lgkmcnt(0)
	s_cmp_ge_i32 s11, s33
	s_cbranch_scc1 .LBB134_71
; %bb.1:
	s_clause 0x1
	s_load_dword s9, s[4:5], 0x90
	s_load_dwordx2 s[34:35], s[4:5], 0x30
	s_mov_b32 s43, 0
	s_waitcnt lgkmcnt(0)
	s_abs_i32 s3, s9
	s_abs_i32 s0, s34
	v_cvt_f32_u32_e32 v1, s0
	s_sub_i32 s2, 0, s0
	v_rcp_iflag_f32_e32 v1, v1
	v_mul_f32_e32 v1, 0x4f7ffffe, v1
	v_cvt_u32_f32_e32 v1, v1
	v_readfirstlane_b32 s1, v1
	s_mul_i32 s2, s2, s1
	s_mul_hi_u32 s2, s1, s2
	s_add_i32 s1, s1, s2
	s_xor_b32 s2, s9, s34
	s_mul_hi_u32 s1, s3, s1
	s_ashr_i32 s2, s2, 31
	s_mul_i32 s7, s1, s0
	s_sub_i32 s3, s3, s7
	s_add_i32 s7, s1, 1
	s_sub_i32 s12, s3, s0
	s_cmp_ge_u32 s3, s0
	s_cselect_b32 s1, s7, s1
	s_cselect_b32 s3, s12, s3
	s_add_i32 s7, s1, 1
	s_cmp_ge_u32 s3, s0
	s_cselect_b32 s0, s7, s1
	s_xor_b32 s0, s0, s2
	s_sub_i32 s16, s0, s2
	s_load_dwordx2 s[0:1], s[4:5], 0x50
	s_abs_i32 s2, s16
	v_cvt_f32_u32_e32 v1, s2
	s_sub_i32 s3, 0, s2
	v_rcp_iflag_f32_e32 v1, v1
	v_mul_f32_e32 v1, 0x4f7ffffe, v1
	v_cvt_u32_f32_e32 v1, v1
	v_readfirstlane_b32 s7, v1
	s_mul_i32 s3, s3, s7
	s_mul_hi_u32 s12, s7, s3
	s_abs_i32 s3, s6
	s_add_i32 s7, s7, s12
	s_waitcnt lgkmcnt(0)
	s_cmp_eq_u64 s[0:1], 0
	s_mul_hi_u32 s20, s3, s7
	s_cbranch_scc1 .LBB134_3
; %bb.2:
	s_ashr_i32 s7, s6, 31
	s_lshl_b64 s[12:13], s[6:7], 2
	s_add_u32 s0, s0, s12
	s_addc_u32 s1, s1, s13
	s_load_dword s43, s[0:1], 0x0
.LBB134_3:
	s_load_dwordx4 s[12:15], s[4:5], 0x58
	v_and_b32_e32 v1, 3, v0
	v_lshlrev_b32_e32 v2, 2, v0
	s_ashr_i32 s0, s6, 31
	s_ashr_i32 s1, s16, 31
	s_mul_i32 s28, s6, 0x70
	s_mov_b32 s7, exec_lo
	v_cmpx_gt_u32_e32 56, v0
	s_cbranch_execz .LBB134_5
; %bb.4:
	s_load_dwordx2 s[16:17], s[4:5], 0x18
	s_waitcnt lgkmcnt(0)
	s_mul_i32 s18, s12, s10
	v_and_b32_e32 v4, 0x3fc, v0
	s_ashr_i32 s19, s18, 31
	s_lshl_b64 s[18:19], s[18:19], 1
	v_mad_u32_u24 v4, v1, 56, v4
	s_add_u32 s12, s16, s18
	s_addc_u32 s15, s17, s19
	s_ashr_i32 s29, s28, 31
	s_lshl_b64 s[16:17], s[28:29], 1
	s_add_u32 s16, s12, s16
	s_addc_u32 s17, s15, s17
	global_load_dword v3, v2, s[16:17]
	s_waitcnt vmcnt(0)
	ds_write_b32 v4, v3
.LBB134_5:
	s_or_b32 exec_lo, exec_lo, s7
	s_load_dwordx4 s[16:19], s[4:5], 0x78
	s_mul_i32 s7, s20, s2
	s_xor_b32 s0, s0, s1
	s_sub_i32 s1, s3, s7
	s_add_i32 s3, s20, 1
	s_sub_i32 s7, s1, s2
	s_cmp_ge_u32 s1, s2
	s_waitcnt lgkmcnt(0)
	s_mov_b32 s12, -1
	s_cselect_b32 s3, s3, s20
	s_cselect_b32 s1, s7, s1
	s_add_i32 s7, s3, 1
	s_cmp_ge_u32 s1, s2
                                        ; implicit-def: $sgpr40
	s_cselect_b32 s1, s7, s3
	s_load_dword s3, s[4:5], 0x88
	s_xor_b32 s1, s1, s0
	s_add_i32 s7, s33, -1
	s_sub_i32 s1, s1, s0
	s_abs_i32 s2, s7
	s_waitcnt lgkmcnt(0)
	s_abs_i32 s38, s19
	s_barrier
	v_cvt_f32_u32_e32 v3, s38
	s_sub_i32 s0, 0, s38
	buffer_gl0_inv
	v_rcp_iflag_f32_e32 v3, v3
	v_mul_f32_e32 v3, 0x4f7ffffe, v3
	v_cvt_u32_f32_e32 v3, v3
	v_readfirstlane_b32 s39, v3
	s_mul_i32 s0, s0, s39
	s_mul_hi_u32 s0, s39, s0
	s_add_i32 s39, s39, s0
	s_cmp_lt_i32 s3, 0
	s_mul_hi_u32 s0, s2, s39
	s_cbranch_scc0 .LBB134_7
; %bb.6:
	s_mul_i32 s12, s16, s34
	s_add_i32 s12, s1, s12
	s_mul_i32 s12, s12, s3
	s_sub_i32 s40, 1, s12
	s_mov_b32 s12, 0
.LBB134_7:
	s_load_dwordx2 s[24:25], s[4:5], 0x38
	s_ashr_i32 s7, s7, 31
	s_andn2_b32 vcc_lo, exec_lo, s12
	s_ashr_i32 s41, s19, 31
	s_cbranch_vccnz .LBB134_9
; %bb.8:
	s_mul_i32 s12, s9, s16
	s_add_i32 s12, s12, s6
	s_mul_i32 s3, s12, s3
	s_add_i32 s40, s3, 1
.LBB134_9:
	s_clause 0x4
	s_load_dword s3, s[4:5], 0x48
	s_load_dwordx2 s[36:37], s[4:5], 0x28
	s_load_dword s29, s[4:5], 0x98
	s_load_dwordx4 s[20:23], s[4:5], 0x0
	s_load_dwordx2 s[30:31], s[4:5], 0x10
	s_mul_i32 s12, s0, s38
	s_xor_b32 s7, s7, s41
	s_sub_i32 s2, s2, s12
	s_add_i32 s15, s0, 1
	v_lshrrev_b32_e32 v24, 5, v0
	v_mov_b32_e32 v4, 0xff7fffff
	v_mbcnt_lo_u32_b32 v3, -1, 0
	s_mul_i32 s14, s1, s14
	v_lshl_add_u32 v25, v24, 3, s11
	s_waitcnt lgkmcnt(0)
	s_mul_i32 s26, s3, s10
	s_sub_i32 s3, s2, s38
	s_ashr_i32 s27, s26, 31
	s_cmp_ge_u32 s2, s38
	s_cselect_b32 s0, s15, s0
	s_cselect_b32 s2, s3, s2
	s_add_i32 s3, s0, 1
	s_cmp_ge_u32 s2, s38
	s_cselect_b32 s0, s3, s0
	s_add_i32 s2, s33, 7
	s_lshl_b32 s12, s8, 6
	s_ashr_i32 s3, s2, 31
	v_or_b32_e32 v21, s12, v24
	s_lshr_b32 s3, s3, 29
	s_add_i32 s2, s2, s3
	s_add_i32 s3, s12, 64
	s_ashr_i32 s45, s2, 3
	s_xor_b32 s2, s0, s7
	s_min_i32 s42, s3, s45
	v_ashrrev_i32_e32 v22, 31, v21
	v_cmp_gt_i32_e64 s0, s42, v21
	s_sub_i32 s7, s2, s7
	s_and_saveexec_b32 s16, s0
	s_cbranch_execz .LBB134_21
; %bb.10:
	s_load_dwordx2 s[2:3], s[4:5], 0x20
	s_ashr_i32 s15, s14, 31
	s_sub_i32 s4, s7, s17
	s_lshl_b64 s[46:47], s[14:15], 1
	v_bfe_u32 v5, v0, 2, 3
	v_cmp_eq_u32_e32 vcc_lo, 0, v1
	v_and_b32_e32 v13, 12, v2
	v_mul_u32_u24_e32 v6, 56, v1
	v_lshlrev_b64 v[1:2], 2, v[21:22]
	v_lshlrev_b32_e32 v11, 2, v5
	v_subrev_nc_u32_e32 v14, s33, v5
	v_lshlrev_b32_e32 v17, 4, v5
	v_cmp_neq_f32_e64 s1, s43, 0
	v_lshl_add_u32 v7, v24, 3, s11
	v_lshl_or_b32 v15, v24, 5, v11
	v_add_nc_u32_e32 v11, 1, v14
	v_mov_b32_e32 v8, 0xff7fffff
	v_xor_b32_e32 v9, 2, v3
	v_xor_b32_e32 v10, 1, v3
	s_waitcnt lgkmcnt(0)
	s_add_u32 s15, s2, s46
	s_addc_u32 s19, s3, s47
	s_abs_i32 s5, s18
	v_cvt_f32_u32_e32 v4, s5
	s_sub_i32 s2, 0, s5
	v_rcp_iflag_f32_e32 v4, v4
	v_mul_f32_e32 v12, 0x4f7ffffe, v4
	v_mov_b32_e32 v4, 0xff7fffff
	v_cvt_u32_f32_e32 v16, v12
	v_add_nc_u32_e32 v12, 0x100, v15
	v_add_co_u32 v15, s15, s15, v17
	v_add_co_ci_u32_e64 v17, null, s19, 0, s15
	v_mul_lo_u32 v14, s2, v16
	s_lshl_b64 s[2:3], s[26:27], 2
	s_mov_b32 s15, 0
	s_add_u32 s2, s24, s2
	s_addc_u32 s3, s25, s3
	v_add_co_u32 v1, s2, s2, v1
	v_add_co_ci_u32_e64 v2, null, s3, v2, s2
	v_mul_hi_u32 v18, v16, v14
	v_add_co_u32 v13, s2, v15, v13
	v_add_co_ci_u32_e64 v14, null, 0, v17, s2
	s_mov_b32 s19, s13
	v_add_nc_u32_e32 v15, v16, v18
	v_mov_b32_e32 v16, v21
	s_branch .LBB134_13
.LBB134_11:                             ;   in Loop: Header=BB134_13 Depth=1
	s_or_b32 exec_lo, exec_lo, s34
.LBB134_12:                             ;   in Loop: Header=BB134_13 Depth=1
	s_or_b32 exec_lo, exec_lo, s3
	v_add_nc_u32_e32 v16, 4, v16
	v_add_co_u32 v1, s3, v1, 16
	v_add_co_ci_u32_e64 v2, null, 0, v2, s3
	v_cmp_le_i32_e64 s2, s42, v16
	v_add_nc_u32_e32 v7, 32, v7
	v_add_nc_u32_e32 v12, 0x80, v12
	s_or_b32 s15, s2, s15
	s_andn2_b32 exec_lo, exec_lo, s15
	s_cbranch_execz .LBB134_20
.LBB134_13:                             ; =>This Inner Loop Header: Depth=1
	v_sub_nc_u32_e32 v17, 0, v7
	v_max_i32_e32 v17, v7, v17
	s_waitcnt lgkmcnt(0)
	v_mul_hi_u32 v18, v17, s39
	v_mul_lo_u32 v19, v18, s38
	v_sub_nc_u32_e32 v17, v17, v19
	v_add_nc_u32_e32 v19, 1, v18
	v_subrev_nc_u32_e32 v20, s38, v17
	v_cmp_le_u32_e64 s2, s38, v17
	v_cndmask_b32_e64 v18, v18, v19, s2
	v_cndmask_b32_e64 v17, v17, v20, s2
	v_ashrrev_i32_e32 v19, 31, v7
	v_add_nc_u32_e32 v20, 1, v18
	v_cmp_le_u32_e64 s2, s38, v17
	v_xor_b32_e32 v19, s41, v19
	v_cndmask_b32_e64 v17, v18, v20, s2
	v_xor_b32_e32 v17, v17, v19
	v_sub_nc_u32_e32 v17, v17, v19
	v_add_nc_u32_e32 v18, s40, v17
	v_cmp_ge_i32_e64 s3, s4, v17
	v_sub_nc_u32_e32 v19, 0, v18
	v_max_i32_e32 v19, v18, v19
	v_ashrrev_i32_e32 v18, 31, v18
	v_mul_hi_u32 v20, v19, v15
	v_mul_lo_u32 v20, v20, s5
	v_sub_nc_u32_e32 v19, v19, v20
	v_subrev_nc_u32_e32 v20, s5, v19
	v_cmp_le_u32_e64 s2, s5, v19
	v_cndmask_b32_e64 v19, v19, v20, s2
	v_subrev_nc_u32_e32 v20, s5, v19
	v_cmp_le_u32_e64 s2, s5, v19
	v_cndmask_b32_e64 v19, v19, v20, s2
	v_xor_b32_e32 v19, v19, v18
	v_sub_nc_u32_e32 v18, v19, v18
	v_cmp_ne_u32_e64 s2, 0, v18
	s_and_b32 s2, s2, s3
	s_and_saveexec_b32 s3, s2
	s_xor_b32 s2, exec_lo, s3
	s_cbranch_execz .LBB134_17
; %bb.14:                               ;   in Loop: Header=BB134_13 Depth=1
	s_and_saveexec_b32 s3, vcc_lo
; %bb.15:                               ;   in Loop: Header=BB134_13 Depth=1
	ds_write_b32 v12, v8
; %bb.16:                               ;   in Loop: Header=BB134_13 Depth=1
	s_or_b32 exec_lo, exec_lo, s3
.LBB134_17:                             ;   in Loop: Header=BB134_13 Depth=1
	s_andn2_saveexec_b32 s3, s2
	s_cbranch_execz .LBB134_12
; %bb.18:                               ;   in Loop: Header=BB134_13 Depth=1
	global_load_dword v17, v[1:2], off
	s_waitcnt vmcnt(0)
	v_mad_i64_i32 v[17:18], null, v17, s19, 0
	v_lshlrev_b64 v[17:18], 1, v[17:18]
	v_add_co_u32 v17, s2, v13, v17
	v_add_co_ci_u32_e64 v18, null, v14, v18, s2
	v_cmp_gt_i32_e64 s2, 32, v9
	s_clause 0xd
	global_load_dword v23, v[17:18], off offset:128
	global_load_dword v36, v[17:18], off
	global_load_dword v37, v[17:18], off offset:256
	global_load_dword v38, v[17:18], off offset:384
	;; [unrolled: 1-line block ×12, first 2 shown]
	ds_read2_b64 v[17:20], v6 offset1:1
	ds_read2_b64 v[26:29], v6 offset0:2 offset1:3
	ds_read2_b64 v[30:33], v6 offset0:4 offset1:5
	ds_read_b64 v[34:35], v6 offset:48
	s_waitcnt lgkmcnt(3)
	v_lshlrev_b32_e32 v50, 16, v18
	v_and_b32_e32 v18, 0xffff0000, v18
	v_lshlrev_b32_e32 v49, 16, v17
	v_and_b32_e32 v17, 0xffff0000, v17
	;; [unrolled: 2-line block ×3, first 2 shown]
	v_lshlrev_b32_e32 v52, 16, v20
	s_waitcnt lgkmcnt(2)
	v_lshlrev_b32_e32 v53, 16, v26
	v_lshlrev_b32_e32 v54, 16, v27
	;; [unrolled: 1-line block ×4, first 2 shown]
	s_waitcnt lgkmcnt(1)
	v_lshlrev_b32_e32 v57, 16, v30
	v_lshlrev_b32_e32 v58, 16, v31
	;; [unrolled: 1-line block ×4, first 2 shown]
	s_waitcnt lgkmcnt(0)
	v_lshlrev_b32_e32 v61, 16, v34
	v_lshlrev_b32_e32 v62, 16, v35
	s_waitcnt vmcnt(13)
	v_lshlrev_b32_e32 v63, 16, v23
	v_and_b32_e32 v23, 0xffff0000, v23
	s_waitcnt vmcnt(12)
	v_lshlrev_b32_e32 v64, 16, v36
	v_and_b32_e32 v36, 0xffff0000, v36
	v_mul_f32_e32 v50, v50, v63
	v_mul_f32_e32 v18, v18, v23
	s_waitcnt vmcnt(11)
	v_lshlrev_b32_e32 v23, 16, v37
	v_and_b32_e32 v37, 0xffff0000, v37
	v_fmac_f32_e32 v50, v49, v64
	v_fmac_f32_e32 v18, v17, v36
	v_and_b32_e32 v17, 0xffff0000, v20
	s_waitcnt vmcnt(10)
	v_lshlrev_b32_e32 v20, 16, v38
	v_and_b32_e32 v36, 0xffff0000, v38
	v_fmac_f32_e32 v50, v51, v23
	v_fmac_f32_e32 v18, v19, v37
	v_and_b32_e32 v19, 0xffff0000, v26
	;; [unrolled: 6-line block ×11, first 2 shown]
	s_waitcnt vmcnt(0)
	v_lshlrev_b32_e32 v20, 16, v48
	v_and_b32_e32 v27, 0xffff0000, v48
	v_fmac_f32_e32 v50, v61, v23
	v_fmac_f32_e32 v18, v19, v26
	v_cndmask_b32_e64 v19, v3, v9, s2
	v_cmp_gt_i32_e64 s2, 32, v10
	v_fmac_f32_e32 v50, v62, v20
	v_fmac_f32_e32 v18, v17, v27
	v_lshlrev_b32_e32 v17, 2, v19
	v_cndmask_b32_e64 v19, v3, v10, s2
	v_add_f32_e32 v18, v50, v18
	v_lshlrev_b32_e32 v19, 2, v19
	ds_bpermute_b32 v17, v17, v18
	s_waitcnt lgkmcnt(0)
	v_add_f32_e32 v17, v18, v17
	ds_bpermute_b32 v18, v19, v17
	s_and_saveexec_b32 s34, vcc_lo
	s_cbranch_execz .LBB134_11
; %bb.19:                               ;   in Loop: Header=BB134_13 Depth=1
	v_add_nc_u32_e32 v19, v11, v7
	s_waitcnt lgkmcnt(0)
	v_add_f32_e32 v17, v17, v18
	v_cvt_f32_i32_e32 v19, v19
	v_mul_f32_e32 v19, s43, v19
	v_cndmask_b32_e64 v18, 0, v19, s1
	v_max_f32_e32 v19, v4, v4
	v_fmac_f32_e32 v18, s35, v17
	v_add_nc_u32_e32 v17, v5, v7
	v_max_f32_e32 v19, v19, v18
	v_cmp_gt_i32_e64 s2, s33, v17
	v_cndmask_b32_e64 v17, 0, v18, s2
	v_cndmask_b32_e64 v4, v4, v19, s2
	ds_write_b32 v12, v17
	s_branch .LBB134_11
.LBB134_20:
	s_or_b32 exec_lo, exec_lo, s15
.LBB134_21:
	s_or_b32 exec_lo, exec_lo, s16
	v_xor_b32_e32 v1, 16, v3
	v_xor_b32_e32 v5, 8, v3
	v_max_f32_e32 v6, v4, v4
	v_and_b32_e32 v26, 31, v0
	v_cmp_gt_i32_e32 vcc_lo, 32, v1
	v_cndmask_b32_e32 v1, v3, v1, vcc_lo
	v_cmp_gt_i32_e32 vcc_lo, 32, v5
	v_lshlrev_b32_e32 v2, 2, v1
	ds_bpermute_b32 v1, v2, v4
	v_cndmask_b32_e32 v4, v3, v5, vcc_lo
	v_lshlrev_b32_e32 v4, 2, v4
	s_waitcnt lgkmcnt(0)
	v_max_f32_e32 v1, v1, v1
	v_max_f32_e32 v1, v6, v1
	v_xor_b32_e32 v6, 4, v3
	ds_bpermute_b32 v5, v4, v1
	v_cmp_gt_i32_e32 vcc_lo, 32, v6
	v_cndmask_b32_e32 v6, v3, v6, vcc_lo
	v_cmp_eq_u32_e32 vcc_lo, 0, v26
	v_lshlrev_b32_e32 v7, 2, v6
	s_waitcnt lgkmcnt(0)
	v_max_f32_e32 v5, v5, v5
	v_max_f32_e32 v1, v1, v5
	v_lshlrev_b32_e32 v5, 2, v24
	ds_bpermute_b32 v6, v7, v1
	s_and_saveexec_b32 s1, vcc_lo
	s_cbranch_execz .LBB134_23
; %bb.22:
	s_waitcnt lgkmcnt(0)
	v_max_f32_e32 v6, v6, v6
	v_max_f32_e32 v1, v1, v1
	;; [unrolled: 1-line block ×3, first 2 shown]
	ds_write_b32 v5, v1 offset:224
.LBB134_23:
	s_or_b32 exec_lo, exec_lo, s1
	v_cmp_gt_u32_e64 s1, 4, v26
	v_mov_b32_e32 v1, 0xff7fffff
	s_waitcnt lgkmcnt(0)
	v_lshlrev_b32_e32 v6, 2, v26
	s_barrier
	buffer_gl0_inv
	s_and_saveexec_b32 s2, s1
; %bb.24:
	ds_read_b32 v1, v6 offset:224
; %bb.25:
	s_or_b32 exec_lo, exec_lo, s2
	v_xor_b32_e32 v8, 2, v3
	v_xor_b32_e32 v10, 1, v3
	v_lshl_add_u32 v27, v0, 2, 0x100
	v_cmp_gt_i32_e64 s2, 32, v8
	v_cndmask_b32_e64 v8, v3, v8, s2
	v_cmp_gt_i32_e64 s2, 32, v10
	v_lshlrev_b32_e32 v8, 2, v8
	v_cndmask_b32_e64 v3, v3, v10, s2
	s_sub_i32 s2, s42, s12
	s_lshl_b32 s2, s2, 3
	s_waitcnt lgkmcnt(0)
	ds_bpermute_b32 v9, v8, v1
	v_max_f32_e32 v1, v1, v1
	v_lshlrev_b32_e32 v3, 2, v3
	s_add_i32 s2, s2, s11
	s_min_i32 s2, s2, s33
	s_sub_i32 s4, s2, s11
	v_cmp_gt_i32_e64 s2, s4, v0
	s_waitcnt lgkmcnt(0)
	v_max_f32_e32 v9, v9, v9
	v_max_f32_e32 v1, v1, v9
	ds_bpermute_b32 v9, v3, v1
	s_waitcnt lgkmcnt(0)
	v_max_f32_e32 v9, v9, v9
	v_max_f32_e32 v1, v1, v9
	v_mov_b32_e32 v9, 0
	ds_bpermute_b32 v1, v9, v1
	s_and_saveexec_b32 s5, s2
	s_cbranch_execz .LBB134_29
; %bb.26:
	v_lshl_add_u32 v10, v0, 2, 0x100
	v_mov_b32_e32 v9, 0
	v_mov_b32_e32 v11, v0
	s_mov_b32 s11, 0
	.p2align	6
.LBB134_27:                             ; =>This Inner Loop Header: Depth=1
	ds_read_b32 v12, v10
	v_add_nc_u32_e32 v11, 0x80, v11
	v_cmp_le_i32_e64 s3, s4, v11
	s_or_b32 s11, s3, s11
	s_waitcnt lgkmcnt(0)
	v_sub_f32_e32 v12, v12, v1
	v_mul_f32_e32 v12, 0x3fb8aa3b, v12
	v_exp_f32_e32 v12, v12
	ds_write_b32 v10, v12
	v_add_f32_e32 v9, v9, v12
	v_add_nc_u32_e32 v10, 0x200, v10
	s_andn2_b32 exec_lo, exec_lo, s11
	s_cbranch_execnz .LBB134_27
; %bb.28:
	s_or_b32 exec_lo, exec_lo, s11
.LBB134_29:
	s_or_b32 exec_lo, exec_lo, s5
	ds_bpermute_b32 v2, v2, v9
	s_waitcnt lgkmcnt(0)
	v_add_f32_e32 v2, v9, v2
	ds_bpermute_b32 v4, v4, v2
	s_waitcnt lgkmcnt(0)
	v_add_f32_e32 v2, v2, v4
	ds_bpermute_b32 v4, v7, v2
	s_waitcnt lgkmcnt(0)
	v_add_f32_e32 v2, v2, v4
	ds_bpermute_b32 v4, v8, v2
	s_waitcnt lgkmcnt(0)
	v_add_f32_e32 v2, v2, v4
	ds_bpermute_b32 v4, v3, v2
	s_waitcnt lgkmcnt(0)
	v_add_f32_e32 v2, v2, v4
	s_and_saveexec_b32 s3, vcc_lo
; %bb.30:
	ds_write_b32 v5, v2 offset:240
; %bb.31:
	s_or_b32 exec_lo, exec_lo, s3
	s_waitcnt lgkmcnt(0)
	s_barrier
	buffer_gl0_inv
	s_and_saveexec_b32 s3, s1
; %bb.32:
	ds_read_b32 v2, v6 offset:240
; %bb.33:
	s_or_b32 exec_lo, exec_lo, s3
	s_waitcnt lgkmcnt(0)
	ds_bpermute_b32 v4, v8, v2
	s_waitcnt lgkmcnt(0)
	v_add_f32_e32 v2, v2, v4
	ds_bpermute_b32 v3, v3, v2
	s_waitcnt lgkmcnt(0)
	v_add_f32_e32 v2, v2, v3
	v_mov_b32_e32 v3, 0
	ds_bpermute_b32 v2, v3, v2
	s_and_saveexec_b32 s1, s2
	s_cbranch_execz .LBB134_36
; %bb.34:
	s_waitcnt lgkmcnt(0)
	v_add_f32_e32 v4, 0x358637bd, v2
	s_mov_b32 s2, 0
	v_div_scale_f32 v3, null, v4, v4, 1.0
	v_div_scale_f32 v7, vcc_lo, 1.0, v4, 1.0
	v_rcp_f32_e32 v5, v3
	v_fma_f32 v6, -v3, v5, 1.0
	v_fmac_f32_e32 v5, v6, v5
	v_mul_f32_e32 v6, v7, v5
	v_fma_f32 v8, -v3, v6, v7
	v_fmac_f32_e32 v6, v8, v5
	v_fma_f32 v3, -v3, v6, v7
	v_div_fmas_f32 v5, v3, v5, v6
	v_mov_b32_e32 v3, v27
	v_div_fixup_f32 v4, v5, v4, 1.0
	v_mov_b32_e32 v5, v0
.LBB134_35:                             ; =>This Inner Loop Header: Depth=1
	ds_read_b32 v6, v3
	v_add_nc_u32_e32 v5, 0x80, v5
	v_cmp_le_i32_e32 vcc_lo, s4, v5
	s_or_b32 s2, vcc_lo, s2
	s_waitcnt lgkmcnt(0)
	v_mul_f32_e32 v6, v4, v6
	ds_write_b32 v3, v6
	v_add_nc_u32_e32 v3, 0x200, v3
	s_andn2_b32 exec_lo, exec_lo, s2
	s_cbranch_execnz .LBB134_35
.LBB134_36:
	s_or_b32 exec_lo, exec_lo, s1
	s_mul_i32 s1, s29, s10
	s_waitcnt lgkmcnt(0)
	s_mul_i32 s34, s1, s9
	s_mov_b32 s1, exec_lo
	s_barrier
	buffer_gl0_inv
	v_cmpx_eq_u32_e32 0, v0
	s_cbranch_execz .LBB134_38
; %bb.37:
	s_ashr_i32 s35, s34, 31
	s_mul_i32 s4, s29, s6
	s_lshl_b64 s[2:3], s[34:35], 2
	v_mov_b32_e32 v3, 0
	s_add_u32 s6, s22, s2
	s_addc_u32 s9, s23, s3
	s_ashr_i32 s5, s4, 31
	s_lshl_b64 s[4:5], s[4:5], 2
	s_add_u32 s6, s6, s4
	s_addc_u32 s12, s9, s5
	s_ashr_i32 s9, s8, 31
	s_lshl_b64 s[10:11], s[8:9], 2
	s_add_u32 s22, s6, s10
	s_addc_u32 s23, s12, s11
	s_add_u32 s2, s20, s2
	s_addc_u32 s3, s21, s3
	;; [unrolled: 2-line block ×4, first 2 shown]
	global_store_dword v3, v1, s[22:23]
	global_store_dword v3, v2, s[2:3]
.LBB134_38:
	s_or_b32 exec_lo, exec_lo, s1
	v_mov_b32_e32 v31, 0
	v_mov_b32_e32 v30, 0
	;; [unrolled: 1-line block ×4, first 2 shown]
	s_and_saveexec_b32 s35, s0
	s_cbranch_execz .LBB134_54
; %bb.39:
	s_ashr_i32 s15, s14, 31
	s_sub_i32 s43, s7, s17
	s_lshl_b64 s[0:1], s[14:15], 1
	v_lshlrev_b32_e32 v3, 3, v26
	s_add_u32 s36, s36, s0
	s_addc_u32 s37, s37, s1
	s_abs_i32 s44, s18
	v_or_b32_e32 v4, 0x60, v26
	v_cvt_f32_u32_e32 v1, s44
	s_sub_i32 s0, 0, s44
	v_lshlrev_b32_e32 v34, 1, v3
	s_lshl_b64 s[2:3], s[26:27], 2
	s_add_i32 s45, s45, -1
	v_rcp_iflag_f32_e32 v1, v1
	s_add_u32 s1, s24, s2
	s_addc_u32 s2, s25, s3
	v_mov_b32_e32 v32, 0
	v_lshl_add_u32 v33, v24, 5, 0x100
	v_mov_b32_e32 v28, 0
	v_mov_b32_e32 v29, 0
	;; [unrolled: 1-line block ×4, first 2 shown]
	s_mov_b32 s46, s13
	v_mul_f32_e32 v1, 0x4f7ffffe, v1
	s_mov_b32 s48, s33
	s_mov_b32 s47, 0
	v_cvt_u32_f32_e32 v5, v1
	v_lshlrev_b64 v[1:2], 2, v[21:22]
	v_mul_lo_u32 v6, s0, v5
	v_cmp_gt_u32_e64 s0, 0x70, v4
	v_lshlrev_b32_e32 v4, 3, v4
	v_add_co_u32 v22, vcc_lo, s1, v1
	v_add_co_ci_u32_e64 v23, null, s2, v2, vcc_lo
	v_lshlrev_b32_e32 v35, 1, v4
	v_mul_hi_u32 v3, v5, v6
	v_add_nc_u32_e32 v36, v5, v3
	s_branch .LBB134_43
.LBB134_40:                             ;   in Loop: Header=BB134_43 Depth=1
	s_or_b32 exec_lo, exec_lo, s51
	v_perm_b32 v14, v51, v50, 0x7060302
	s_waitcnt vmcnt(0)
	v_and_b32_e32 v38, 0xffff0000, v1
	v_perm_b32 v15, v53, v52, 0x7060302
	v_lshlrev_b32_e32 v1, 16, v1
	v_and_b32_e32 v51, 0xffff0000, v2
	v_and_b32_e32 v50, 0xffff0000, v14
	v_lshlrev_b32_e32 v14, 16, v14
	v_lshlrev_b32_e32 v2, 16, v2
	v_perm_b32 v16, v55, v54, 0x7060302
	v_perm_b32 v37, v57, v56, 0x7060302
	v_mul_f32_e32 v38, v50, v38
	v_and_b32_e32 v50, 0xffff0000, v15
	v_lshlrev_b32_e32 v15, 16, v15
	v_mul_f32_e32 v1, v14, v1
	v_and_b32_e32 v14, 0xffff0000, v3
	v_bfe_u32 v52, v38, 16, 1
	v_mul_f32_e32 v50, v50, v51
	v_mul_f32_e32 v2, v15, v2
	v_bfe_u32 v15, v1, 16, 1
	v_or_b32_e32 v51, 0x400000, v38
	v_add3_u32 v52, v52, v38, 0x7fff
	v_cmp_u_f32_e32 vcc_lo, v38, v38
	v_or_b32_e32 v53, 0x400000, v1
	v_bfe_u32 v54, v50, 16, 1
	v_add3_u32 v15, v15, v1, 0x7fff
	v_lshlrev_b32_e32 v3, 16, v3
	v_cndmask_b32_e32 v38, v52, v51, vcc_lo
	v_and_b32_e32 v51, 0xffff0000, v16
	v_cmp_u_f32_e32 vcc_lo, v1, v1
	v_or_b32_e32 v52, 0x400000, v50
	v_lshlrev_b32_e32 v16, 16, v16
	v_and_b32_e32 v38, 0xffff0000, v38
	v_mul_f32_e32 v14, v51, v14
	v_cndmask_b32_e32 v1, v15, v53, vcc_lo
	v_add3_u32 v15, v54, v50, 0x7fff
	v_bfe_u32 v53, v2, 16, 1
	v_cmp_u_f32_e32 vcc_lo, v50, v50
	v_or_b32_e32 v51, 0x400000, v2
	v_mul_f32_e32 v3, v16, v3
	v_and_b32_e32 v16, 0xffff0000, v4
	v_add3_u32 v50, v53, v2, 0x7fff
	v_cndmask_b32_e32 v15, v15, v52, vcc_lo
	v_bfe_u32 v52, v14, 16, 1
	v_and_b32_e32 v53, 0xffff0000, v37
	v_lshlrev_b32_e32 v4, 16, v4
	v_lshlrev_b32_e32 v37, 16, v37
	v_cmp_u_f32_e32 vcc_lo, v2, v2
	v_and_b32_e32 v1, 0xffff0000, v1
	v_mul_f32_e32 v16, v53, v16
	v_and_b32_e32 v15, 0xffff0000, v15
	v_mul_f32_e32 v4, v37, v4
	v_cndmask_b32_e32 v2, v50, v51, vcc_lo
	v_bfe_u32 v50, v3, 16, 1
	v_add3_u32 v51, v52, v14, 0x7fff
	v_or_b32_e32 v37, 0x400000, v14
	v_cmp_u_f32_e32 vcc_lo, v14, v14
	v_or_b32_e32 v52, 0x400000, v3
	v_add3_u32 v50, v50, v3, 0x7fff
	v_bfe_u32 v54, v4, 16, 1
	v_bfe_u32 v53, v16, 16, 1
	v_cndmask_b32_e32 v14, v51, v37, vcc_lo
	v_cmp_u_f32_e32 vcc_lo, v3, v3
	v_or_b32_e32 v51, 0x400000, v4
	v_and_b32_e32 v2, 0xffff0000, v2
	v_add3_u32 v37, v53, v16, 0x7fff
	v_add_f32_e32 v1, v1, v38
	v_cndmask_b32_e32 v3, v50, v52, vcc_lo
	v_add3_u32 v50, v54, v4, 0x7fff
	v_cmp_u_f32_e32 vcc_lo, v4, v4
	v_or_b32_e32 v52, 0x400000, v16
	v_add_f32_e32 v2, v2, v15
	v_and_b32_e32 v3, 0xffff0000, v3
	v_and_b32_e32 v14, 0xffff0000, v14
	v_cndmask_b32_e32 v4, v50, v51, vcc_lo
	v_cmp_u_f32_e32 vcc_lo, v16, v16
	v_add_f32_e32 v1, v2, v1
	v_add_f32_e32 v2, v3, v14
	v_and_b32_e32 v3, 0xffff0000, v4
	v_cndmask_b32_e32 v15, v37, v52, vcc_lo
	v_add_f32_e32 v1, v2, v1
	v_and_b32_e32 v4, 0xffff0000, v15
	v_add_f32_e32 v2, v3, v4
	v_add_f32_e32 v1, v2, v1
	;; [unrolled: 1-line block ×3, first 2 shown]
.LBB134_41:                             ;   in Loop: Header=BB134_43 Depth=1
	s_or_b32 exec_lo, exec_lo, s50
	v_bfe_u32 v1, v47, 16, 1
	v_or_b32_e32 v2, 0x400000, v47
	v_bfe_u32 v3, v46, 16, 1
	v_bfe_u32 v14, v45, 16, 1
	;; [unrolled: 1-line block ×3, first 2 shown]
	v_add3_u32 v1, v1, v47, 0x7fff
	v_bfe_u32 v16, v49, 16, 1
	v_or_b32_e32 v4, 0x400000, v46
	v_add3_u32 v3, v3, v46, 0x7fff
	v_add3_u32 v14, v14, v45, 0x7fff
	v_cndmask_b32_e64 v1, v1, v2, s25
	v_or_b32_e32 v2, 0x400000, v45
	v_add3_u32 v15, v15, v44, 0x7fff
	v_or_b32_e32 v37, 0x400000, v44
	v_add3_u32 v16, v16, v49, 0x7fff
	v_or_b32_e32 v38, 0x400000, v49
	v_bfe_u32 v44, v48, 16, 1
	v_cndmask_b32_e64 v3, v3, v4, s21
	v_cndmask_b32_e64 v2, v14, v2, s22
	;; [unrolled: 1-line block ×4, first 2 shown]
	v_add3_u32 v15, v44, v48, 0x7fff
	v_or_b32_e32 v16, 0x400000, v48
	v_bfe_u32 v37, v43, 16, 1
	v_and_b32_e32 v3, 0xffff0000, v3
	v_and_b32_e32 v1, 0xffff0000, v1
	;; [unrolled: 1-line block ×4, first 2 shown]
	v_cndmask_b32_e64 v15, v15, v16, s24
	v_add3_u32 v37, v37, v43, 0x7fff
	v_add_f32_e32 v1, v3, v1
	v_bfe_u32 v16, v41, 16, 1
	v_add_f32_e32 v2, v4, v2
	v_and_b32_e32 v3, 0xffff0000, v15
	v_and_b32_e32 v4, 0xffff0000, v14
	v_or_b32_e32 v14, 0x400000, v43
	v_add3_u32 v15, v16, v41, 0x7fff
	v_add_f32_e32 v1, v2, v1
	v_or_b32_e32 v16, 0x400000, v41
	v_add_f32_e32 v2, v3, v4
	v_cndmask_b32_e64 v3, v37, v14, s20
	v_bfe_u32 v4, v19, 16, 1
	v_or_b32_e32 v37, 0x400000, v40
	v_cndmask_b32_e64 v14, v15, v16, s18
	v_add_f32_e32 v1, v2, v1
	v_and_b32_e32 v2, 0xffff0000, v3
	v_add3_u32 v3, v4, v19, 0x7fff
	v_or_b32_e32 v4, 0x400000, v19
	v_bfe_u32 v15, v42, 16, 1
	v_bfe_u32 v19, v40, 16, 1
	v_or_b32_e32 v16, 0x400000, v42
	v_or_b32_e32 v38, 0x400000, v39
	v_cndmask_b32_e64 v3, v3, v4, s16
	v_bfe_u32 v4, v39, 16, 1
	v_add3_u32 v15, v15, v42, 0x7fff
	v_add3_u32 v19, v19, v40, 0x7fff
	v_and_b32_e32 v14, 0xffff0000, v14
	v_and_b32_e32 v3, 0xffff0000, v3
	v_add3_u32 v4, v4, v39, 0x7fff
	v_cndmask_b32_e64 v15, v15, v16, s19
	v_bfe_u32 v16, v20, 16, 1
	v_cndmask_b32_e64 v19, v19, v37, s17
	v_bfe_u32 v39, v17, 16, 1
	v_cndmask_b32_e64 v4, v4, v38, s14
	v_and_b32_e32 v15, 0xffff0000, v15
	v_add3_u32 v16, v16, v20, 0x7fff
	v_or_b32_e32 v20, 0x400000, v20
	v_and_b32_e32 v19, 0xffff0000, v19
	v_and_b32_e32 v4, 0xffff0000, v4
	v_bfe_u32 v37, v18, 16, 1
	v_add_f32_e32 v3, v15, v3
	v_cndmask_b32_e64 v16, v16, v20, s15
	v_add3_u32 v20, v39, v17, 0x7fff
	v_or_b32_e32 v17, 0x400000, v17
	v_add_f32_e32 v4, v4, v19
	v_add3_u32 v37, v37, v18, 0x7fff
	v_or_b32_e32 v18, 0x400000, v18
	v_and_b32_e32 v16, 0xffff0000, v16
	v_cndmask_b32_e64 v15, v20, v17, s11
	v_add_f32_e32 v3, v4, v3
	v_bfe_u32 v4, v11, 16, 1
	v_cndmask_b32_e64 v17, v37, v18, s12
	v_bfe_u32 v18, v12, 16, 1
	v_and_b32_e32 v15, 0xffff0000, v15
	v_bfe_u32 v19, v8, 16, 1
	v_add3_u32 v4, v4, v11, 0x7fff
	v_or_b32_e32 v11, 0x400000, v11
	v_add3_u32 v18, v18, v12, 0x7fff
	v_or_b32_e32 v12, 0x400000, v12
	v_add_f32_e32 v15, v15, v16
	v_bfe_u32 v16, v7, 16, 1
	v_cndmask_b32_e64 v4, v4, v11, s10
	v_bfe_u32 v11, v10, 16, 1
	v_cndmask_b32_e64 v12, v18, v12, s9
	v_bfe_u32 v18, v9, 16, 1
	v_add3_u32 v16, v16, v7, 0x7fff
	v_or_b32_e32 v7, 0x400000, v7
	v_add3_u32 v11, v11, v10, 0x7fff
	v_or_b32_e32 v10, 0x400000, v10
	v_bfe_u32 v38, v13, 16, 1
	v_add3_u32 v18, v18, v9, 0x7fff
	v_or_b32_e32 v9, 0x400000, v9
	v_add3_u32 v19, v19, v8, 0x7fff
	v_or_b32_e32 v8, 0x400000, v8
	v_bfe_u32 v20, v6, 16, 1
	v_cndmask_b32_e64 v7, v16, v7, s3
	v_cndmask_b32_e64 v10, v11, v10, s5
	v_bfe_u32 v16, v5, 16, 1
	v_add3_u32 v38, v38, v13, 0x7fff
	v_or_b32_e32 v13, 0x400000, v13
	v_cndmask_b32_e64 v9, v18, v9, s6
	v_cndmask_b32_e64 v8, v19, v8, s7
	v_add3_u32 v11, v20, v6, 0x7fff
	v_and_b32_e32 v4, 0xffff0000, v4
	v_and_b32_e32 v12, 0xffff0000, v12
	;; [unrolled: 1-line block ×4, first 2 shown]
	v_or_b32_e32 v6, 0x400000, v6
	v_add3_u32 v16, v16, v5, 0x7fff
	v_or_b32_e32 v5, 0x400000, v5
	v_cndmask_b32_e64 v13, v38, v13, s13
	v_add_f32_e32 v4, v4, v12
	v_add_f32_e32 v7, v10, v7
	v_and_b32_e32 v8, 0xffff0000, v8
	v_and_b32_e32 v9, 0xffff0000, v9
	v_cndmask_b32_e64 v5, v16, v5, s2
	v_cndmask_b32_e64 v6, v11, v6, s1
	v_and_b32_e32 v13, 0xffff0000, v13
	v_and_b32_e32 v10, 0xffff0000, v17
	v_add_f32_e32 v4, v7, v4
	v_add_f32_e32 v7, v8, v9
	v_and_b32_e32 v5, 0xffff0000, v5
	v_and_b32_e32 v6, 0xffff0000, v6
	v_add_f32_e32 v2, v2, v14
	v_add_f32_e32 v3, v15, v3
	;; [unrolled: 1-line block ×11, first 2 shown]
.LBB134_42:                             ;   in Loop: Header=BB134_43 Depth=1
	s_or_b32 exec_lo, exec_lo, s49
	v_add_nc_u32_e32 v21, 4, v21
	v_add_co_u32 v22, s1, v22, 16
	v_add_co_ci_u32_e64 v23, null, 0, v23, s1
	v_cmp_le_i32_e32 vcc_lo, s42, v21
	v_add_nc_u32_e32 v25, 32, v25
	v_add_nc_u32_e32 v33, 0x80, v33
	s_or_b32 s47, vcc_lo, s47
	s_andn2_b32 exec_lo, exec_lo, s47
	s_cbranch_execz .LBB134_53
.LBB134_43:                             ; =>This Inner Loop Header: Depth=1
	v_sub_nc_u32_e32 v1, 0, v25
	v_max_i32_e32 v1, v25, v1
	v_mul_hi_u32 v2, v1, s39
	v_mul_lo_u32 v3, v2, s38
	v_sub_nc_u32_e32 v1, v1, v3
	v_add_nc_u32_e32 v3, 1, v2
	v_subrev_nc_u32_e32 v4, s38, v1
	v_cmp_le_u32_e32 vcc_lo, s38, v1
	v_cndmask_b32_e32 v2, v2, v3, vcc_lo
	v_cndmask_b32_e32 v1, v1, v4, vcc_lo
	v_ashrrev_i32_e32 v3, 31, v25
	v_add_nc_u32_e32 v4, 1, v2
	v_cmp_le_u32_e32 vcc_lo, s38, v1
	v_xor_b32_e32 v3, s41, v3
	v_cndmask_b32_e32 v1, v2, v4, vcc_lo
	v_xor_b32_e32 v1, v1, v3
	v_sub_nc_u32_e32 v1, v1, v3
	v_add_nc_u32_e32 v2, s40, v1
	v_cmp_lt_i32_e64 s1, s43, v1
	v_sub_nc_u32_e32 v3, 0, v2
	v_max_i32_e32 v3, v2, v3
	v_ashrrev_i32_e32 v2, 31, v2
	v_mul_hi_u32 v4, v3, v36
	v_mul_lo_u32 v4, v4, s44
	v_sub_nc_u32_e32 v3, v3, v4
	v_subrev_nc_u32_e32 v4, s44, v3
	v_cmp_le_u32_e32 vcc_lo, s44, v3
	v_cndmask_b32_e32 v3, v3, v4, vcc_lo
	v_subrev_nc_u32_e32 v4, s44, v3
	v_cmp_le_u32_e32 vcc_lo, s44, v3
	v_cndmask_b32_e32 v3, v3, v4, vcc_lo
	v_xor_b32_e32 v3, v3, v2
	v_sub_nc_u32_e32 v2, v3, v2
	v_cmp_eq_u32_e32 vcc_lo, 0, v2
	s_or_b32 s1, vcc_lo, s1
	s_and_saveexec_b32 s49, s1
	s_cbranch_execz .LBB134_42
; %bb.44:                               ;   in Loop: Header=BB134_43 Depth=1
	global_load_dword v1, v[22:23], off
	v_cmp_eq_u32_e64 s4, s45, v21
	s_waitcnt vmcnt(0)
	v_mad_i64_i32 v[1:2], null, v1, s46, 0
	v_lshlrev_b64 v[1:2], 1, v[1:2]
	v_add_co_u32 v37, vcc_lo, s36, v1
	v_add_co_ci_u32_e64 v38, null, s37, v2, vcc_lo
	v_add_co_u32 v13, vcc_lo, v37, v34
	v_add_co_ci_u32_e64 v14, null, 0, v38, vcc_lo
	global_load_dwordx4 v[1:4], v[13:14], off
	ds_read2_b64 v[9:12], v33 offset1:1
	ds_read2_b64 v[5:8], v33 offset0:2 offset1:3
	s_and_saveexec_b32 s3, s4
	s_cbranch_execnz .LBB134_51
; %bb.45:                               ;   in Loop: Header=BB134_43 Depth=1
	s_or_b32 exec_lo, exec_lo, s3
	global_load_dwordx4 v[17:20], v[13:14], off offset:512
	s_and_saveexec_b32 s3, s4
	s_cbranch_execnz .LBB134_52
.LBB134_46:                             ;   in Loop: Header=BB134_43 Depth=1
	s_or_b32 exec_lo, exec_lo, s3
	global_load_dwordx4 v[13:16], v[13:14], off offset:1024
	s_and_saveexec_b32 s3, s4
	s_cbranch_execz .LBB134_48
.LBB134_47:                             ;   in Loop: Header=BB134_43 Depth=1
	v_add_nc_u32_e32 v39, 1, v25
	v_or_b32_e32 v40, 3, v25
	v_cmp_gt_i32_e32 vcc_lo, s33, v25
	v_or_b32_e32 v41, 2, v25
	v_or_b32_e32 v43, 7, v25
	v_cmp_gt_i32_e64 s1, s48, v40
	s_waitcnt vmcnt(0)
	v_cndmask_b32_e32 v42, 0, v13, vcc_lo
	v_cmp_gt_i32_e32 vcc_lo, s48, v39
	v_cmp_gt_i32_e64 s2, s33, v41
	v_or_b32_e32 v40, 5, v25
	v_or_b32_e32 v41, 4, v25
	v_cndmask_b32_sdwa v13, v32, v13, vcc_lo dst_sel:DWORD dst_unused:UNUSED_PAD src0_sel:DWORD src1_sel:WORD_1
	s_mov_b32 vcc_lo, s1
	v_cndmask_b32_e64 v39, 0, v14, s2
	v_cndmask_b32_sdwa v14, v32, v14, vcc_lo dst_sel:DWORD dst_unused:UNUSED_PAD src0_sel:DWORD src1_sel:WORD_1
	v_cmp_gt_i32_e32 vcc_lo, s48, v40
	v_cmp_gt_i32_e64 s1, s33, v41
	v_or_b32_e32 v41, 6, v25
	v_perm_b32 v13, v13, v42, 0x5040100
	v_perm_b32 v14, v14, v39, 0x5040100
	v_cndmask_b32_e64 v40, 0, v15, s1
	v_cmp_gt_i32_e64 s1, s48, v43
	v_cndmask_b32_sdwa v15, v32, v15, vcc_lo dst_sel:DWORD dst_unused:UNUSED_PAD src0_sel:DWORD src1_sel:WORD_1
	v_cmp_gt_i32_e32 vcc_lo, s33, v41
	v_perm_b32 v15, v15, v40, 0x5040100
	v_cndmask_b32_e32 v41, 0, v16, vcc_lo
	s_mov_b32 vcc_lo, s1
	v_cndmask_b32_sdwa v16, v32, v16, vcc_lo dst_sel:DWORD dst_unused:UNUSED_PAD src0_sel:DWORD src1_sel:WORD_1
	v_perm_b32 v16, v16, v41, 0x5040100
.LBB134_48:                             ;   in Loop: Header=BB134_43 Depth=1
	s_or_b32 exec_lo, exec_lo, s3
	s_waitcnt lgkmcnt(1)
	v_bfe_u32 v39, v9, 16, 1
	v_or_b32_e32 v40, 0x400000, v9
	v_bfe_u32 v41, v10, 16, 1
	v_cmp_u_f32_e32 vcc_lo, v9, v9
	v_bfe_u32 v42, v11, 16, 1
	v_add3_u32 v39, v39, v9, 0x7fff
	v_or_b32_e32 v43, 0x400000, v10
	v_add3_u32 v41, v41, v10, 0x7fff
	v_or_b32_e32 v44, 0x400000, v11
	v_add3_u32 v42, v42, v11, 0x7fff
	v_cndmask_b32_e32 v50, v39, v40, vcc_lo
	v_cmp_u_f32_e32 vcc_lo, v10, v10
	v_bfe_u32 v9, v12, 16, 1
	s_waitcnt lgkmcnt(0)
	v_bfe_u32 v10, v5, 16, 1
	v_or_b32_e32 v39, 0x400000, v5
	v_bfe_u32 v40, v6, 16, 1
	v_cndmask_b32_e32 v51, v41, v43, vcc_lo
	v_cmp_u_f32_e32 vcc_lo, v11, v11
	v_add3_u32 v9, v9, v12, 0x7fff
	v_or_b32_e32 v11, 0x400000, v12
	v_add3_u32 v10, v10, v5, 0x7fff
	v_cndmask_b32_e32 v52, v42, v44, vcc_lo
	v_cmp_u_f32_e32 vcc_lo, v12, v12
	v_bfe_u32 v12, v8, 16, 1
	v_and_b32_e32 v59, 0xffff0000, v52
	v_cndmask_b32_e32 v53, v9, v11, vcc_lo
	v_cmp_u_f32_e32 vcc_lo, v5, v5
	v_bfe_u32 v9, v7, 16, 1
	v_add3_u32 v5, v40, v6, 0x7fff
	v_or_b32_e32 v11, 0x400000, v7
	v_and_b32_e32 v58, 0xffff0000, v53
	v_cndmask_b32_e32 v54, v10, v39, vcc_lo
	v_or_b32_e32 v10, 0x400000, v6
	v_cmp_u_f32_e32 vcc_lo, v6, v6
	v_add3_u32 v9, v9, v7, 0x7fff
	v_and_b32_e32 v6, 0xffff0000, v51
	v_cndmask_b32_e32 v55, v5, v10, vcc_lo
	v_cmp_u_f32_e32 vcc_lo, v7, v7
	v_add3_u32 v5, v12, v8, 0x7fff
	s_waitcnt vmcnt(1)
	v_and_b32_e32 v7, 0xffff0000, v17
	v_lshlrev_b32_e32 v10, 16, v17
	v_or_b32_e32 v17, 0x400000, v8
	v_cndmask_b32_e32 v56, v9, v11, vcc_lo
	v_and_b32_e32 v9, 0xffff0000, v50
	v_cmp_u_f32_e32 vcc_lo, v8, v8
	v_mul_f32_e32 v47, v6, v7
	v_and_b32_e32 v7, 0xffff0000, v19
	v_and_b32_e32 v8, 0xffff0000, v54
	v_mul_f32_e32 v46, v9, v10
	v_cndmask_b32_e32 v57, v5, v17, vcc_lo
	v_and_b32_e32 v5, 0xffff0000, v55
	v_lshlrev_b32_e32 v10, 16, v19
	v_and_b32_e32 v11, 0xffff0000, v18
	v_lshlrev_b32_e32 v12, 16, v18
	v_and_b32_e32 v17, 0xffff0000, v1
	v_mul_f32_e32 v49, v5, v7
	v_mul_f32_e32 v48, v8, v10
	v_lshlrev_b32_e32 v1, 16, v1
	v_and_b32_e32 v7, 0xffff0000, v2
	v_lshlrev_b32_e32 v2, 16, v2
	v_and_b32_e32 v10, 0xffff0000, v3
	v_lshlrev_b32_e32 v3, 16, v3
	v_mul_f32_e32 v45, v58, v11
	v_mul_f32_e32 v44, v59, v12
	v_and_b32_e32 v60, 0xffff0000, v57
	v_and_b32_e32 v11, 0xffff0000, v20
	;; [unrolled: 1-line block ×3, first 2 shown]
	v_lshlrev_b32_e32 v12, 16, v20
	v_mul_f32_e32 v19, v6, v17
	v_mul_f32_e32 v42, v9, v1
	;; [unrolled: 1-line block ×4, first 2 shown]
	v_and_b32_e32 v1, 0xffff0000, v4
	v_lshlrev_b32_e32 v2, 16, v4
	s_waitcnt vmcnt(0)
	v_and_b32_e32 v3, 0xffff0000, v13
	v_lshlrev_b32_e32 v4, 16, v13
	v_mul_f32_e32 v41, v60, v11
	v_mul_f32_e32 v43, v61, v12
	;; [unrolled: 1-line block ×3, first 2 shown]
	v_and_b32_e32 v7, 0xffff0000, v14
	v_mul_f32_e32 v18, v60, v1
	v_mul_f32_e32 v13, v61, v2
	;; [unrolled: 1-line block ×4, first 2 shown]
	v_lshlrev_b32_e32 v1, 16, v14
	v_and_b32_e32 v2, 0xffff0000, v15
	v_lshlrev_b32_e32 v3, 16, v15
	v_and_b32_e32 v4, 0xffff0000, v16
	v_lshlrev_b32_e32 v14, 16, v16
	v_mul_f32_e32 v20, v5, v10
	v_mul_f32_e32 v7, v58, v7
	;; [unrolled: 1-line block ×7, first 2 shown]
	v_cmp_u_f32_e64 s25, v47, v47
	v_cmp_u_f32_e64 s21, v46, v46
	;; [unrolled: 1-line block ×24, first 2 shown]
	s_and_saveexec_b32 s50, s0
	s_cbranch_execz .LBB134_41
; %bb.49:                               ;   in Loop: Header=BB134_43 Depth=1
	v_add_co_u32 v1, vcc_lo, v37, v35
	v_add_co_ci_u32_e64 v2, null, 0, v38, vcc_lo
	global_load_dwordx4 v[1:4], v[1:2], off
	s_and_saveexec_b32 s51, s4
	s_cbranch_execz .LBB134_40
; %bb.50:                               ;   in Loop: Header=BB134_43 Depth=1
	v_add_nc_u32_e32 v14, 1, v25
	v_or_b32_e32 v15, 3, v25
	v_cmp_gt_i32_e32 vcc_lo, s33, v25
	v_or_b32_e32 v16, 2, v25
	v_or_b32_e32 v38, 7, v25
	v_cmp_gt_i32_e64 s4, s48, v15
	s_waitcnt vmcnt(0)
	v_cndmask_b32_e32 v37, 0, v1, vcc_lo
	v_cmp_gt_i32_e32 vcc_lo, s48, v14
	v_cmp_gt_i32_e64 s27, s33, v16
	v_or_b32_e32 v15, 5, v25
	v_or_b32_e32 v16, 4, v25
	v_cndmask_b32_sdwa v1, v32, v1, vcc_lo dst_sel:DWORD dst_unused:UNUSED_PAD src0_sel:DWORD src1_sel:WORD_1
	s_mov_b32 vcc_lo, s4
	v_cndmask_b32_e64 v14, 0, v2, s27
	v_cndmask_b32_sdwa v2, v32, v2, vcc_lo dst_sel:DWORD dst_unused:UNUSED_PAD src0_sel:DWORD src1_sel:WORD_1
	v_cmp_gt_i32_e32 vcc_lo, s48, v15
	v_cmp_gt_i32_e64 s4, s33, v16
	v_or_b32_e32 v16, 6, v25
	v_perm_b32 v1, v1, v37, 0x5040100
	v_perm_b32 v2, v2, v14, 0x5040100
	v_cndmask_b32_e64 v15, 0, v3, s4
	v_cmp_gt_i32_e64 s4, s48, v38
	v_cndmask_b32_sdwa v3, v32, v3, vcc_lo dst_sel:DWORD dst_unused:UNUSED_PAD src0_sel:DWORD src1_sel:WORD_1
	v_cmp_gt_i32_e32 vcc_lo, s33, v16
	v_perm_b32 v3, v3, v15, 0x5040100
	v_cndmask_b32_e32 v16, 0, v4, vcc_lo
	s_mov_b32 vcc_lo, s4
	v_cndmask_b32_sdwa v4, v32, v4, vcc_lo dst_sel:DWORD dst_unused:UNUSED_PAD src0_sel:DWORD src1_sel:WORD_1
	v_perm_b32 v4, v4, v16, 0x5040100
	s_branch .LBB134_40
.LBB134_51:                             ;   in Loop: Header=BB134_43 Depth=1
	v_add_nc_u32_e32 v15, 1, v25
	v_or_b32_e32 v16, 3, v25
	v_cmp_gt_i32_e32 vcc_lo, s33, v25
	v_or_b32_e32 v17, 2, v25
	v_or_b32_e32 v19, 7, v25
	v_cmp_gt_i32_e64 s1, s48, v16
	s_waitcnt vmcnt(0)
	v_cndmask_b32_e32 v18, 0, v1, vcc_lo
	v_cmp_gt_i32_e32 vcc_lo, s48, v15
	v_cmp_gt_i32_e64 s2, s33, v17
	v_or_b32_e32 v16, 5, v25
	v_or_b32_e32 v17, 4, v25
	v_cndmask_b32_sdwa v1, v32, v1, vcc_lo dst_sel:DWORD dst_unused:UNUSED_PAD src0_sel:DWORD src1_sel:WORD_1
	s_mov_b32 vcc_lo, s1
	v_cndmask_b32_e64 v15, 0, v2, s2
	v_cndmask_b32_sdwa v2, v32, v2, vcc_lo dst_sel:DWORD dst_unused:UNUSED_PAD src0_sel:DWORD src1_sel:WORD_1
	v_cmp_gt_i32_e32 vcc_lo, s48, v16
	v_cmp_gt_i32_e64 s1, s33, v17
	v_or_b32_e32 v17, 6, v25
	v_perm_b32 v1, v1, v18, 0x5040100
	v_perm_b32 v2, v2, v15, 0x5040100
	v_cndmask_b32_e64 v16, 0, v3, s1
	v_cmp_gt_i32_e64 s1, s48, v19
	v_cndmask_b32_sdwa v3, v32, v3, vcc_lo dst_sel:DWORD dst_unused:UNUSED_PAD src0_sel:DWORD src1_sel:WORD_1
	v_cmp_gt_i32_e32 vcc_lo, s33, v17
	v_perm_b32 v3, v3, v16, 0x5040100
	v_cndmask_b32_e32 v17, 0, v4, vcc_lo
	s_mov_b32 vcc_lo, s1
	v_cndmask_b32_sdwa v4, v32, v4, vcc_lo dst_sel:DWORD dst_unused:UNUSED_PAD src0_sel:DWORD src1_sel:WORD_1
	v_perm_b32 v4, v4, v17, 0x5040100
	s_or_b32 exec_lo, exec_lo, s3
	global_load_dwordx4 v[17:20], v[13:14], off offset:512
	s_and_saveexec_b32 s3, s4
	s_cbranch_execz .LBB134_46
.LBB134_52:                             ;   in Loop: Header=BB134_43 Depth=1
	v_add_nc_u32_e32 v15, 1, v25
	v_or_b32_e32 v16, 3, v25
	v_cmp_gt_i32_e32 vcc_lo, s33, v25
	v_or_b32_e32 v39, 2, v25
	v_or_b32_e32 v41, 7, v25
	v_cmp_gt_i32_e64 s1, s48, v16
	s_waitcnt vmcnt(0)
	v_cndmask_b32_e32 v40, 0, v17, vcc_lo
	v_cmp_gt_i32_e32 vcc_lo, s48, v15
	v_cmp_gt_i32_e64 s2, s33, v39
	v_or_b32_e32 v16, 5, v25
	v_or_b32_e32 v39, 4, v25
	v_cndmask_b32_sdwa v17, v32, v17, vcc_lo dst_sel:DWORD dst_unused:UNUSED_PAD src0_sel:DWORD src1_sel:WORD_1
	s_mov_b32 vcc_lo, s1
	v_cndmask_b32_e64 v15, 0, v18, s2
	v_cndmask_b32_sdwa v18, v32, v18, vcc_lo dst_sel:DWORD dst_unused:UNUSED_PAD src0_sel:DWORD src1_sel:WORD_1
	v_cmp_gt_i32_e32 vcc_lo, s48, v16
	v_cmp_gt_i32_e64 s1, s33, v39
	v_or_b32_e32 v39, 6, v25
	v_perm_b32 v17, v17, v40, 0x5040100
	v_perm_b32 v18, v18, v15, 0x5040100
	v_cndmask_b32_e64 v16, 0, v19, s1
	v_cmp_gt_i32_e64 s1, s48, v41
	v_cndmask_b32_sdwa v19, v32, v19, vcc_lo dst_sel:DWORD dst_unused:UNUSED_PAD src0_sel:DWORD src1_sel:WORD_1
	v_cmp_gt_i32_e32 vcc_lo, s33, v39
	v_perm_b32 v19, v19, v16, 0x5040100
	v_cndmask_b32_e32 v39, 0, v20, vcc_lo
	s_mov_b32 vcc_lo, s1
	v_cndmask_b32_sdwa v20, v32, v20, vcc_lo dst_sel:DWORD dst_unused:UNUSED_PAD src0_sel:DWORD src1_sel:WORD_1
	v_perm_b32 v20, v20, v39, 0x5040100
	s_or_b32 exec_lo, exec_lo, s3
	global_load_dwordx4 v[13:16], v[13:14], off offset:1024
	s_and_saveexec_b32 s3, s4
	s_cbranch_execnz .LBB134_47
	s_branch .LBB134_48
.LBB134_53:
	s_or_b32 exec_lo, exec_lo, s47
.LBB134_54:
	s_or_b32 exec_lo, exec_lo, s35
	s_movk_i32 s0, 0x1c0
	v_and_b32_e32 v1, 0x3c0, v0
	v_mad_u32_u24 v4, v24, s0, 0x100
	v_or_b32_e32 v3, 0x60, v0
	s_mov_b32 s0, exec_lo
	s_waitcnt_vscnt null, 0x0
	s_barrier
	buffer_gl0_inv
	v_cmpx_eq_u32_e32 64, v1
	s_cbranch_execz .LBB134_57
; %bb.55:
	v_add_nc_u32_e32 v1, 0xfffffc80, v4
	v_cmp_gt_u32_e32 vcc_lo, 0x70, v3
	v_lshl_add_u32 v2, v26, 2, v1
	ds_write2_b32 v2, v31, v30 offset1:32
	ds_write_b32 v2, v29 offset:256
	s_and_b32 exec_lo, exec_lo, vcc_lo
; %bb.56:
	v_lshl_add_u32 v1, v3, 2, v1
	ds_write_b32 v1, v28
.LBB134_57:
	s_or_b32 exec_lo, exec_lo, s0
	v_lshl_add_u32 v5, v26, 2, v4
	s_mov_b32 s0, exec_lo
	s_waitcnt lgkmcnt(0)
	s_barrier
	buffer_gl0_inv
	v_cmpx_gt_u32_e32 64, v0
	s_cbranch_execz .LBB134_61
; %bb.58:
	v_lshl_or_b32 v1, v0, 2, 0x80
	s_mov_b32 s1, exec_lo
	v_add_nc_u32_e32 v6, v4, v1
	ds_read2st64_b32 v[1:2], v5 offset1:1
	ds_read_b32 v6, v6
	v_cmpx_gt_u32_e32 0x70, v3
	s_cbranch_execz .LBB134_60
; %bb.59:
	v_lshl_add_u32 v7, v3, 2, v4
	ds_read_b32 v7, v7
	s_waitcnt lgkmcnt(0)
	v_add_f32_e32 v28, v28, v7
.LBB134_60:
	s_or_b32 exec_lo, exec_lo, s1
	s_waitcnt lgkmcnt(1)
	v_add_f32_e32 v31, v31, v1
	s_waitcnt lgkmcnt(0)
	v_add_f32_e32 v30, v30, v6
	v_add_f32_e32 v29, v29, v2
.LBB134_61:
	s_or_b32 exec_lo, exec_lo, s0
	v_and_b32_e32 v1, 0x3e0, v0
	s_mov_b32 s0, exec_lo
	s_barrier
	buffer_gl0_inv
	v_cmpx_eq_u32_e32 32, v1
	s_cbranch_execz .LBB134_64
; %bb.62:
	v_lshl_add_u32 v1, v26, 2, 0x100
	v_cmp_gt_u32_e32 vcc_lo, 0x70, v3
	ds_write_b32 v1, v31
	ds_write_b32 v27, v30
	ds_write_b32 v1, v29 offset:256
	s_and_b32 exec_lo, exec_lo, vcc_lo
; %bb.63:
	v_lshl_add_u32 v1, v3, 2, 0x100
	ds_write_b32 v1, v28
.LBB134_64:
	s_or_b32 exec_lo, exec_lo, s0
	v_cmp_gt_u32_e32 vcc_lo, 32, v0
	s_waitcnt lgkmcnt(0)
	s_barrier
	buffer_gl0_inv
	s_and_saveexec_b32 s1, vcc_lo
	s_cbranch_execz .LBB134_68
; %bb.65:
	v_lshl_add_u32 v6, v0, 2, v4
	s_mov_b32 s2, exec_lo
	ds_read_b32 v4, v5
	ds_read2_b32 v[1:2], v6 offset0:32 offset1:64
	v_cmpx_gt_u32_e32 0x70, v3
	s_cbranch_execz .LBB134_67
; %bb.66:
	ds_read_b32 v5, v6 offset:384
	s_waitcnt lgkmcnt(0)
	v_add_f32_e32 v28, v28, v5
.LBB134_67:
	s_or_b32 exec_lo, exec_lo, s2
	s_waitcnt lgkmcnt(1)
	v_add_f32_e32 v31, v31, v4
	s_waitcnt lgkmcnt(0)
	v_add_f32_e32 v30, v30, v1
	v_add_f32_e32 v29, v29, v2
.LBB134_68:
	s_or_b32 exec_lo, exec_lo, s1
	s_barrier
	buffer_gl0_inv
	s_and_saveexec_b32 s0, vcc_lo
	s_cbranch_execz .LBB134_71
; %bb.69:
	v_bfe_u32 v1, v31, 16, 1
	v_bfe_u32 v2, v30, 16, 1
	v_or_b32_e32 v5, 0x400000, v31
	v_cmp_u_f32_e32 vcc_lo, v31, v31
	s_mul_i32 s0, s34, 0x70
	v_add3_u32 v1, v1, v31, 0x7fff
	s_ashr_i32 s1, s0, 31
	v_bfe_u32 v4, v29, 16, 1
	s_lshl_b64 s[0:1], s[0:1], 1
	v_add3_u32 v2, v2, v30, 0x7fff
	v_or_b32_e32 v6, 0x400000, v30
	v_cndmask_b32_e32 v1, v1, v5, vcc_lo
	v_cmp_u_f32_e32 vcc_lo, v30, v30
	s_mul_i32 s2, s29, s28
	s_add_u32 s4, s30, s0
	s_addc_u32 s1, s31, s1
	s_ashr_i32 s3, s2, 31
	v_add3_u32 v4, v4, v29, 0x7fff
	s_lshl_b64 s[2:3], s[2:3], 1
	v_or_b32_e32 v7, 0x400000, v29
	v_cndmask_b32_e32 v2, v2, v6, vcc_lo
	v_cmp_u_f32_e32 vcc_lo, v29, v29
	s_mul_i32 s0, s8, 0x70
	s_add_u32 s2, s4, s2
	s_addc_u32 s3, s1, s3
	s_ashr_i32 s1, s0, 31
	v_lshlrev_b32_e32 v0, 1, v0
	s_lshl_b64 s[0:1], s[0:1], 1
	v_cndmask_b32_e32 v4, v4, v7, vcc_lo
	v_cmp_gt_u32_e32 vcc_lo, 0x70, v3
	s_add_u32 s0, s2, s0
	s_addc_u32 s1, s3, s1
	global_store_short_d16_hi v0, v1, s[0:1]
	global_store_short_d16_hi v0, v2, s[0:1] offset:64
	global_store_short_d16_hi v0, v4, s[0:1] offset:128
	s_and_b32 exec_lo, exec_lo, vcc_lo
	s_cbranch_execz .LBB134_71
; %bb.70:
	v_bfe_u32 v1, v28, 16, 1
	v_or_b32_e32 v2, 0x400000, v28
	v_cmp_u_f32_e32 vcc_lo, v28, v28
	v_add_co_u32 v0, s0, s0, v0
	v_add3_u32 v3, v1, v28, 0x7fff
	v_add_co_ci_u32_e64 v1, null, s1, 0, s0
	v_cndmask_b32_e32 v2, v3, v2, vcc_lo
	global_store_short_d16_hi v[0:1], v2, off offset:192
.LBB134_71:
	s_endpgm
	.section	.rodata,"a",@progbits
	.p2align	6, 0x0
	.amdhsa_kernel _ZN4vllm25paged_attention_v2_kernelI14__hip_bfloat16S1_Li112ELi8ELi128ELNS_18Fp8KVCacheDataTypeE0ELb1ELi512EEEvPfS3_PT_PKS4_PKT0_SA_ifPKiSC_iPKfiiiSE_SE_iiiii
		.amdhsa_group_segment_fixed_size 256
		.amdhsa_private_segment_fixed_size 0
		.amdhsa_kernarg_size 400
		.amdhsa_user_sgpr_count 6
		.amdhsa_user_sgpr_private_segment_buffer 1
		.amdhsa_user_sgpr_dispatch_ptr 0
		.amdhsa_user_sgpr_queue_ptr 0
		.amdhsa_user_sgpr_kernarg_segment_ptr 1
		.amdhsa_user_sgpr_dispatch_id 0
		.amdhsa_user_sgpr_flat_scratch_init 0
		.amdhsa_user_sgpr_private_segment_size 0
		.amdhsa_wavefront_size32 1
		.amdhsa_uses_dynamic_stack 0
		.amdhsa_system_sgpr_private_segment_wavefront_offset 0
		.amdhsa_system_sgpr_workgroup_id_x 1
		.amdhsa_system_sgpr_workgroup_id_y 1
		.amdhsa_system_sgpr_workgroup_id_z 1
		.amdhsa_system_sgpr_workgroup_info 0
		.amdhsa_system_vgpr_workitem_id 0
		.amdhsa_next_free_vgpr 65
		.amdhsa_next_free_sgpr 52
		.amdhsa_reserve_vcc 1
		.amdhsa_reserve_flat_scratch 0
		.amdhsa_float_round_mode_32 0
		.amdhsa_float_round_mode_16_64 0
		.amdhsa_float_denorm_mode_32 3
		.amdhsa_float_denorm_mode_16_64 3
		.amdhsa_dx10_clamp 1
		.amdhsa_ieee_mode 1
		.amdhsa_fp16_overflow 0
		.amdhsa_workgroup_processor_mode 1
		.amdhsa_memory_ordered 1
		.amdhsa_forward_progress 1
		.amdhsa_shared_vgpr_count 0
		.amdhsa_exception_fp_ieee_invalid_op 0
		.amdhsa_exception_fp_denorm_src 0
		.amdhsa_exception_fp_ieee_div_zero 0
		.amdhsa_exception_fp_ieee_overflow 0
		.amdhsa_exception_fp_ieee_underflow 0
		.amdhsa_exception_fp_ieee_inexact 0
		.amdhsa_exception_int_div_zero 0
	.end_amdhsa_kernel
	.section	.text._ZN4vllm25paged_attention_v2_kernelI14__hip_bfloat16S1_Li112ELi8ELi128ELNS_18Fp8KVCacheDataTypeE0ELb1ELi512EEEvPfS3_PT_PKS4_PKT0_SA_ifPKiSC_iPKfiiiSE_SE_iiiii,"axG",@progbits,_ZN4vllm25paged_attention_v2_kernelI14__hip_bfloat16S1_Li112ELi8ELi128ELNS_18Fp8KVCacheDataTypeE0ELb1ELi512EEEvPfS3_PT_PKS4_PKT0_SA_ifPKiSC_iPKfiiiSE_SE_iiiii,comdat
.Lfunc_end134:
	.size	_ZN4vllm25paged_attention_v2_kernelI14__hip_bfloat16S1_Li112ELi8ELi128ELNS_18Fp8KVCacheDataTypeE0ELb1ELi512EEEvPfS3_PT_PKS4_PKT0_SA_ifPKiSC_iPKfiiiSE_SE_iiiii, .Lfunc_end134-_ZN4vllm25paged_attention_v2_kernelI14__hip_bfloat16S1_Li112ELi8ELi128ELNS_18Fp8KVCacheDataTypeE0ELb1ELi512EEEvPfS3_PT_PKS4_PKT0_SA_ifPKiSC_iPKfiiiSE_SE_iiiii
                                        ; -- End function
	.set _ZN4vllm25paged_attention_v2_kernelI14__hip_bfloat16S1_Li112ELi8ELi128ELNS_18Fp8KVCacheDataTypeE0ELb1ELi512EEEvPfS3_PT_PKS4_PKT0_SA_ifPKiSC_iPKfiiiSE_SE_iiiii.num_vgpr, 65
	.set _ZN4vllm25paged_attention_v2_kernelI14__hip_bfloat16S1_Li112ELi8ELi128ELNS_18Fp8KVCacheDataTypeE0ELb1ELi512EEEvPfS3_PT_PKS4_PKT0_SA_ifPKiSC_iPKfiiiSE_SE_iiiii.num_agpr, 0
	.set _ZN4vllm25paged_attention_v2_kernelI14__hip_bfloat16S1_Li112ELi8ELi128ELNS_18Fp8KVCacheDataTypeE0ELb1ELi512EEEvPfS3_PT_PKS4_PKT0_SA_ifPKiSC_iPKfiiiSE_SE_iiiii.numbered_sgpr, 52
	.set _ZN4vllm25paged_attention_v2_kernelI14__hip_bfloat16S1_Li112ELi8ELi128ELNS_18Fp8KVCacheDataTypeE0ELb1ELi512EEEvPfS3_PT_PKS4_PKT0_SA_ifPKiSC_iPKfiiiSE_SE_iiiii.num_named_barrier, 0
	.set _ZN4vllm25paged_attention_v2_kernelI14__hip_bfloat16S1_Li112ELi8ELi128ELNS_18Fp8KVCacheDataTypeE0ELb1ELi512EEEvPfS3_PT_PKS4_PKT0_SA_ifPKiSC_iPKfiiiSE_SE_iiiii.private_seg_size, 0
	.set _ZN4vllm25paged_attention_v2_kernelI14__hip_bfloat16S1_Li112ELi8ELi128ELNS_18Fp8KVCacheDataTypeE0ELb1ELi512EEEvPfS3_PT_PKS4_PKT0_SA_ifPKiSC_iPKfiiiSE_SE_iiiii.uses_vcc, 1
	.set _ZN4vllm25paged_attention_v2_kernelI14__hip_bfloat16S1_Li112ELi8ELi128ELNS_18Fp8KVCacheDataTypeE0ELb1ELi512EEEvPfS3_PT_PKS4_PKT0_SA_ifPKiSC_iPKfiiiSE_SE_iiiii.uses_flat_scratch, 0
	.set _ZN4vllm25paged_attention_v2_kernelI14__hip_bfloat16S1_Li112ELi8ELi128ELNS_18Fp8KVCacheDataTypeE0ELb1ELi512EEEvPfS3_PT_PKS4_PKT0_SA_ifPKiSC_iPKfiiiSE_SE_iiiii.has_dyn_sized_stack, 0
	.set _ZN4vllm25paged_attention_v2_kernelI14__hip_bfloat16S1_Li112ELi8ELi128ELNS_18Fp8KVCacheDataTypeE0ELb1ELi512EEEvPfS3_PT_PKS4_PKT0_SA_ifPKiSC_iPKfiiiSE_SE_iiiii.has_recursion, 0
	.set _ZN4vllm25paged_attention_v2_kernelI14__hip_bfloat16S1_Li112ELi8ELi128ELNS_18Fp8KVCacheDataTypeE0ELb1ELi512EEEvPfS3_PT_PKS4_PKT0_SA_ifPKiSC_iPKfiiiSE_SE_iiiii.has_indirect_call, 0
	.section	.AMDGPU.csdata,"",@progbits
; Kernel info:
; codeLenInByte = 7996
; TotalNumSgprs: 54
; NumVgprs: 65
; ScratchSize: 0
; MemoryBound: 0
; FloatMode: 240
; IeeeMode: 1
; LDSByteSize: 256 bytes/workgroup (compile time only)
; SGPRBlocks: 0
; VGPRBlocks: 8
; NumSGPRsForWavesPerEU: 54
; NumVGPRsForWavesPerEU: 65
; Occupancy: 12
; WaveLimiterHint : 1
; COMPUTE_PGM_RSRC2:SCRATCH_EN: 0
; COMPUTE_PGM_RSRC2:USER_SGPR: 6
; COMPUTE_PGM_RSRC2:TRAP_HANDLER: 0
; COMPUTE_PGM_RSRC2:TGID_X_EN: 1
; COMPUTE_PGM_RSRC2:TGID_Y_EN: 1
; COMPUTE_PGM_RSRC2:TGID_Z_EN: 1
; COMPUTE_PGM_RSRC2:TIDIG_COMP_CNT: 0
	.section	.text._ZN4vllm32paged_attention_v2_reduce_kernelI14__hip_bfloat16Li112ELi128ELi512EEEvPT_PKfS5_PKS2_PKii,"axG",@progbits,_ZN4vllm32paged_attention_v2_reduce_kernelI14__hip_bfloat16Li112ELi128ELi512EEEvPT_PKfS5_PKS2_PKii,comdat
	.protected	_ZN4vllm32paged_attention_v2_reduce_kernelI14__hip_bfloat16Li112ELi128ELi512EEEvPT_PKfS5_PKS2_PKii ; -- Begin function _ZN4vllm32paged_attention_v2_reduce_kernelI14__hip_bfloat16Li112ELi128ELi512EEEvPT_PKfS5_PKS2_PKii
	.globl	_ZN4vllm32paged_attention_v2_reduce_kernelI14__hip_bfloat16Li112ELi128ELi512EEEvPT_PKfS5_PKS2_PKii
	.p2align	8
	.type	_ZN4vllm32paged_attention_v2_reduce_kernelI14__hip_bfloat16Li112ELi128ELi512EEEvPT_PKfS5_PKS2_PKii,@function
_ZN4vllm32paged_attention_v2_reduce_kernelI14__hip_bfloat16Li112ELi128ELi512EEEvPT_PKfS5_PKS2_PKii: ; @_ZN4vllm32paged_attention_v2_reduce_kernelI14__hip_bfloat16Li112ELi128ELi512EEEvPT_PKfS5_PKS2_PKii
; %bb.0:
	s_load_dwordx4 s[8:11], s[4:5], 0x18
	s_add_u32 s14, s4, 48
	s_mov_b32 s12, s7
	s_addc_u32 s15, s5, 0
	s_ashr_i32 s13, s7, 31
	s_lshl_b64 s[0:1], s[12:13], 2
	s_waitcnt lgkmcnt(0)
	s_add_u32 s0, s10, s0
	s_addc_u32 s1, s11, s1
	s_load_dword s22, s[0:1], 0x0
	s_clause 0x2
	s_load_dwordx2 s[10:11], s[4:5], 0x0
	s_load_dword s7, s[4:5], 0x28
	s_load_dword s13, s[4:5], 0x30
	s_waitcnt lgkmcnt(0)
	s_add_i32 s0, s22, -1
	s_cmpk_gt_u32 s0, 0x1ff
	s_mov_b32 s0, -1
	s_cbranch_scc0 .LBB135_26
; %bb.1:
	s_load_dwordx2 s[2:3], s[4:5], 0x8
	s_add_i32 s0, s22, 0x1ff
	s_mul_i32 s20, s13, s12
	s_ashr_i32 s1, s0, 31
	v_mov_b32_e32 v4, 0xff7fffff
	s_lshr_b32 s1, s1, 23
	v_lshlrev_b32_e32 v3, 2, v0
	s_add_i32 s0, s0, s1
	s_mul_i32 s16, s20, s7
	s_ashr_i32 s21, s0, 9
	s_mul_i32 s18, s7, s6
	v_cmp_gt_i32_e32 vcc_lo, s21, v0
	s_ashr_i32 s17, s16, 31
	s_ashr_i32 s19, s18, 31
	s_and_saveexec_b32 s1, vcc_lo
	s_cbranch_execz .LBB135_5
; %bb.2:
	s_load_dword s0, s[14:15], 0xc
	s_load_dwordx2 s[24:25], s[4:5], 0x10
	s_lshl_b64 s[26:27], s[16:17], 2
	s_lshl_b64 s[28:29], s[18:19], 2
	v_add_nc_u32_e32 v5, 32, v3
	v_mov_b32_e32 v4, 0xff7fffff
	v_mov_b32_e32 v6, v0
	s_waitcnt lgkmcnt(0)
	s_and_b32 s4, s0, 0xffff
	s_add_u32 s0, s26, s28
	s_addc_u32 s5, s27, s29
	s_add_u32 s0, s24, s0
	s_addc_u32 s5, s25, s5
	v_add_co_u32 v1, s0, s0, v3
	v_add_co_ci_u32_e64 v2, null, s5, 0, s0
	s_mov_b32 s5, 0
	s_lshl_b32 s23, s4, 2
	.p2align	6
.LBB135_3:                              ; =>This Inner Loop Header: Depth=1
	global_load_dword v7, v[1:2], off
	v_add_nc_u32_e32 v6, s4, v6
	v_max_f32_e32 v4, v4, v4
	v_add_co_u32 v1, s0, v1, s23
	v_add_co_ci_u32_e64 v2, null, 0, v2, s0
	v_cmp_le_i32_e64 s0, s21, v6
	s_or_b32 s5, s0, s5
	s_waitcnt vmcnt(0)
	v_max_f32_e32 v8, v7, v7
	ds_write_b32 v5, v7
	v_add_nc_u32_e32 v5, s23, v5
	v_max_f32_e32 v4, v4, v8
	s_andn2_b32 exec_lo, exec_lo, s5
	s_cbranch_execnz .LBB135_3
; %bb.4:
	s_or_b32 exec_lo, exec_lo, s5
.LBB135_5:
	s_or_b32 exec_lo, exec_lo, s1
	v_mbcnt_lo_u32_b32 v1, -1, 0
	s_waitcnt lgkmcnt(0)
	s_barrier
	buffer_gl0_inv
	v_xor_b32_e32 v2, 16, v1
	v_xor_b32_e32 v5, 8, v1
	v_cmp_gt_i32_e64 s0, 32, v2
	v_cndmask_b32_e64 v2, v1, v2, s0
	v_cmp_gt_i32_e64 s0, 32, v5
	v_lshlrev_b32_e32 v6, 2, v2
	v_cndmask_b32_e64 v5, v1, v5, s0
	ds_bpermute_b32 v2, v6, v4
	v_max_f32_e32 v4, v4, v4
	v_lshlrev_b32_e32 v7, 2, v5
	v_xor_b32_e32 v5, 4, v1
	v_cmp_gt_i32_e64 s0, 32, v5
	v_cndmask_b32_e64 v5, v1, v5, s0
	v_lshlrev_b32_e32 v8, 2, v5
	v_xor_b32_e32 v5, 2, v1
	s_waitcnt lgkmcnt(0)
	v_max_f32_e32 v2, v2, v2
	v_cmp_gt_i32_e64 s0, 32, v5
	v_max_f32_e32 v2, v4, v2
	v_cndmask_b32_e64 v5, v1, v5, s0
	ds_bpermute_b32 v4, v7, v2
	s_waitcnt lgkmcnt(0)
	v_max_f32_e32 v4, v4, v4
	v_max_f32_e32 v2, v2, v4
	ds_bpermute_b32 v4, v8, v2
	s_waitcnt lgkmcnt(0)
	v_max_f32_e32 v9, v4, v4
	v_lshlrev_b32_e32 v4, 2, v5
	v_max_f32_e32 v2, v2, v9
	v_xor_b32_e32 v9, 1, v1
	ds_bpermute_b32 v5, v4, v2
	v_cmp_gt_i32_e64 s0, 32, v9
	v_cndmask_b32_e64 v1, v1, v9, s0
	v_lshrrev_b32_e32 v9, 5, v0
	v_lshlrev_b32_e32 v9, 2, v9
	s_waitcnt lgkmcnt(0)
	v_max_f32_e32 v5, v5, v5
	v_max_f32_e32 v2, v2, v5
	v_lshlrev_b32_e32 v5, 2, v1
	v_and_b32_e32 v1, 31, v0
	ds_bpermute_b32 v10, v5, v2
	v_cmp_eq_u32_e64 s0, 0, v1
	s_and_saveexec_b32 s1, s0
	s_cbranch_execz .LBB135_7
; %bb.6:
	s_waitcnt lgkmcnt(0)
	v_max_f32_e32 v10, v10, v10
	v_max_f32_e32 v2, v2, v2
	v_max_f32_e32 v2, v2, v10
	ds_write_b32 v9, v2
.LBB135_7:
	s_or_b32 exec_lo, exec_lo, s1
	v_cmp_gt_u32_e64 s1, 4, v1
	v_mov_b32_e32 v2, 0xff7fffff
	s_waitcnt lgkmcnt(0)
	v_lshlrev_b32_e32 v10, 2, v1
	s_barrier
	buffer_gl0_inv
	s_and_saveexec_b32 s4, s1
; %bb.8:
	ds_read_b32 v2, v10
; %bb.9:
	s_or_b32 exec_lo, exec_lo, s4
	s_waitcnt lgkmcnt(0)
	ds_bpermute_b32 v1, v4, v2
	v_max_f32_e32 v2, v2, v2
	v_mov_b32_e32 v11, 0
	s_lshl_b32 s4, s21, 2
	s_waitcnt lgkmcnt(0)
	v_max_f32_e32 v1, v1, v1
	v_max_f32_e32 v1, v2, v1
	ds_bpermute_b32 v2, v5, v1
	s_waitcnt lgkmcnt(0)
	v_max_f32_e32 v2, v2, v2
	v_max_f32_e32 v1, v1, v2
	ds_bpermute_b32 v12, v11, v1
	s_and_saveexec_b32 s5, vcc_lo
	s_cbranch_execz .LBB135_13
; %bb.10:
	s_load_dword s23, s[14:15], 0xc
	s_lshl_b64 s[24:25], s[16:17], 2
	s_lshl_b64 s[26:27], s[18:19], 2
	v_mov_b32_e32 v11, 0
	v_add_nc_u32_e32 v13, 32, v3
	s_waitcnt lgkmcnt(0)
	s_and_b32 s17, s23, 0xffff
	s_add_u32 s19, s24, s26
	s_addc_u32 s23, s25, s27
	s_add_u32 s2, s2, s19
	s_addc_u32 s3, s3, s23
	v_add_co_u32 v1, s2, s2, v3
	v_add_co_ci_u32_e64 v2, null, s3, 0, s2
	v_mov_b32_e32 v3, v0
	s_mov_b32 s3, 0
	s_lshl_b32 s19, s17, 2
	s_inst_prefetch 0x1
	.p2align	6
.LBB135_11:                             ; =>This Inner Loop Header: Depth=1
	global_load_dword v14, v[1:2], off
	ds_read_b32 v15, v13
	v_add_nc_u32_e32 v3, s17, v3
	s_waitcnt lgkmcnt(0)
	v_sub_f32_e32 v15, v15, v12
	v_mul_f32_e32 v16, 0x3fb8aa3b, v15
	v_cmp_ngt_f32_e32 vcc_lo, 0xc2ce8ed0, v15
	v_cmp_nlt_f32_e64 s2, 0x42b17218, v15
	v_fma_f32 v17, 0x3fb8aa3b, v15, -v16
	v_rndne_f32_e32 v18, v16
	v_fmac_f32_e32 v17, 0x32a5705f, v15
	v_sub_f32_e32 v16, v16, v18
	v_add_f32_e32 v16, v16, v17
	v_cvt_i32_f32_e32 v17, v18
	v_exp_f32_e32 v16, v16
	v_ldexp_f32 v16, v16, v17
	v_add_nc_u32_e32 v17, s4, v13
	v_add_nc_u32_e32 v13, s19, v13
	v_cndmask_b32_e32 v16, 0, v16, vcc_lo
	v_add_co_u32 v1, vcc_lo, v1, s19
	v_add_co_ci_u32_e64 v2, null, 0, v2, vcc_lo
	v_cndmask_b32_e64 v15, 0x7f800000, v16, s2
	v_cmp_le_i32_e32 vcc_lo, s21, v3
	s_or_b32 s3, vcc_lo, s3
	s_waitcnt vmcnt(0)
	v_mul_f32_e32 v16, v14, v15
	v_fmac_f32_e32 v11, v14, v15
	ds_write_b32 v17, v16
	s_andn2_b32 exec_lo, exec_lo, s3
	s_cbranch_execnz .LBB135_11
; %bb.12:
	s_inst_prefetch 0x2
	s_or_b32 exec_lo, exec_lo, s3
.LBB135_13:
	s_or_b32 exec_lo, exec_lo, s5
	ds_bpermute_b32 v1, v6, v11
	s_waitcnt lgkmcnt(0)
	s_barrier
	buffer_gl0_inv
	v_add_f32_e32 v1, v11, v1
	ds_bpermute_b32 v2, v7, v1
	s_waitcnt lgkmcnt(0)
	v_add_f32_e32 v1, v1, v2
	ds_bpermute_b32 v2, v8, v1
	s_waitcnt lgkmcnt(0)
	;; [unrolled: 3-line block ×4, first 2 shown]
	v_add_f32_e32 v1, v1, v2
	s_and_saveexec_b32 s2, s0
; %bb.14:
	ds_write_b32 v9, v1 offset:16
; %bb.15:
	s_or_b32 exec_lo, exec_lo, s2
	s_waitcnt lgkmcnt(0)
	s_barrier
	buffer_gl0_inv
	s_and_saveexec_b32 s0, s1
; %bb.16:
	ds_read_b32 v1, v10 offset:16
; %bb.17:
	s_or_b32 exec_lo, exec_lo, s0
	s_waitcnt lgkmcnt(0)
	ds_bpermute_b32 v2, v4, v1
	s_mov_b32 s0, exec_lo
	s_waitcnt lgkmcnt(0)
	v_add_f32_e32 v1, v1, v2
	ds_bpermute_b32 v2, v5, v1
	s_waitcnt lgkmcnt(0)
	v_add_f32_e32 v1, v1, v2
	v_mov_b32_e32 v2, 0
	ds_bpermute_b32 v3, v2, v1
	v_cmpx_gt_u32_e32 0x70, v0
	s_cbranch_execz .LBB135_25
; %bb.18:
	s_cmp_gt_i32 s22, 0
	s_mov_b32 s1, 0
	s_cbranch_scc1 .LBB135_20
; %bb.19:
	v_mov_b32_e32 v1, 0
	v_mov_b32_e32 v2, 0
	s_andn2_b32 vcc_lo, exec_lo, s1
	s_cbranch_vccz .LBB135_21
	s_branch .LBB135_24
.LBB135_20:
	v_mov_b32_e32 v2, 0
.LBB135_21:
	s_waitcnt lgkmcnt(0)
	v_add_f32_e32 v4, 0x358637bd, v3
	s_mulk_i32 s16, 0x70
	s_mulk_i32 s18, 0x70
	s_ashr_i32 s17, s16, 31
	s_ashr_i32 s19, s18, 31
	v_div_scale_f32 v2, null, v4, v4, 1.0
	v_div_scale_f32 v5, vcc_lo, 1.0, v4, 1.0
	s_add_i32 s2, s4, 32
	v_rcp_f32_e32 v3, v2
	s_lshl_b64 s[4:5], s[16:17], 1
	s_lshl_b64 s[16:17], s[18:19], 1
	s_max_i32 s1, s21, 1
	s_add_u32 s3, s4, s16
	s_addc_u32 s4, s5, s17
	s_add_u32 s3, s8, s3
	s_addc_u32 s4, s9, s4
	v_fma_f32 v1, -v2, v3, 1.0
	v_fmac_f32_e32 v3, v1, v3
	v_mov_b32_e32 v1, 0
	v_mul_f32_e32 v6, v5, v3
	v_fma_f32 v7, -v2, v6, v5
	v_fmac_f32_e32 v6, v7, v3
	v_lshlrev_b32_e32 v7, 1, v0
	v_fma_f32 v2, -v2, v6, v5
	v_div_fmas_f32 v5, v2, v3, v6
	v_add_co_u32 v2, s3, s3, v7
	v_add_co_ci_u32_e64 v3, null, s4, 0, s3
	v_div_fixup_f32 v4, v5, v4, 1.0
	v_mov_b32_e32 v5, v1
	.p2align	6
.LBB135_22:                             ; =>This Inner Loop Header: Depth=1
	global_load_ushort v6, v[2:3], off
	v_mov_b32_e32 v7, s2
	v_add_co_u32 v2, vcc_lo, 0xe0, v2
	v_add_co_ci_u32_e64 v3, null, 0, v3, vcc_lo
	ds_read_b32 v7, v7
	s_add_i32 s1, s1, -1
	s_add_i32 s2, s2, 4
	s_cmp_eq_u32 s1, 0
	s_waitcnt vmcnt(0)
	v_lshlrev_b32_e32 v6, 16, v6
	s_waitcnt lgkmcnt(0)
	v_mul_f32_e32 v6, v7, v6
	v_fmac_f32_e32 v5, v4, v6
	s_cbranch_scc0 .LBB135_22
; %bb.23:
	v_bfe_u32 v2, v5, 16, 1
	v_or_b32_e32 v3, 0x400000, v5
	v_cmp_u_f32_e32 vcc_lo, v5, v5
	v_add3_u32 v2, v2, v5, 0x7fff
	v_cndmask_b32_e32 v2, v2, v3, vcc_lo
	v_lshrrev_b32_e32 v2, 16, v2
.LBB135_24:
	s_mul_i32 s2, s20, 0x70
	s_mul_i32 s4, s6, 0x70
	s_ashr_i32 s3, s2, 31
	s_waitcnt lgkmcnt(0)
	v_lshlrev_b64 v[3:4], 1, v[0:1]
	s_lshl_b64 s[2:3], s[2:3], 1
	s_add_u32 s1, s10, s2
	s_addc_u32 s16, s11, s3
	s_ashr_i32 s5, s4, 31
	s_lshl_b64 s[2:3], s[4:5], 1
	s_add_u32 s1, s1, s2
	s_addc_u32 s2, s16, s3
	v_add_co_u32 v3, vcc_lo, s1, v3
	v_add_co_ci_u32_e64 v4, null, s2, v4, vcc_lo
	global_store_short v[3:4], v2, off
.LBB135_25:
	s_or_b32 exec_lo, exec_lo, s0
	s_mov_b32 s0, 0
.LBB135_26:
	s_and_b32 vcc_lo, exec_lo, s0
	s_cbranch_vccz .LBB135_35
; %bb.27:
	s_mov_b32 s0, exec_lo
	v_cmpx_gt_u32_e32 0x70, v0
	s_cbranch_execz .LBB135_35
; %bb.28:
	s_load_dword s0, s[14:15], 0xc
	s_mul_i32 s1, s13, s12
	s_mul_i32 s4, s6, 0x70
	;; [unrolled: 1-line block ×5, first 2 shown]
	v_cmp_gt_u32_e32 vcc_lo, 0x6d, v0
	s_ashr_i32 s5, s4, 31
	s_ashr_i32 s13, s12, 31
	;; [unrolled: 1-line block ×4, first 2 shown]
	s_waitcnt lgkmcnt(0)
	s_and_b32 s1, s0, 0xffff
	s_cmp_eq_u32 s1, 1
	s_cselect_b32 s0, -1, 0
	s_and_b32 s15, vcc_lo, s0
	s_mov_b32 s0, -1
	s_and_saveexec_b32 s14, s15
	s_cbranch_execz .LBB135_32
; %bb.29:
	s_lshl_b64 s[16:17], s[6:7], 1
	s_lshl_b64 s[18:19], s[2:3], 1
	v_lshlrev_b32_e32 v1, 1, v0
	s_add_u32 s0, s16, s18
	s_addc_u32 s15, s17, s19
	s_add_u32 s0, s8, s0
	s_addc_u32 s15, s9, s15
	s_lshl_b64 s[16:17], s[12:13], 1
	s_lshl_b64 s[18:19], s[4:5], 1
	v_add_co_u32 v2, s0, s0, v1
	v_add_co_ci_u32_e64 v3, null, s15, 0, s0
	s_add_u32 s0, s16, s18
	v_sub_nc_u32_e32 v5, 0x70, v0
	s_addc_u32 s15, s17, s19
	s_add_u32 s0, s10, s0
	s_addc_u32 s15, s11, s15
	v_add_co_u32 v4, s0, s0, v1
	v_and_b32_e32 v6, 0x7c, v5
	v_add_co_ci_u32_e64 v7, null, s15, 0, s0
	v_add_co_u32 v1, vcc_lo, v2, 4
	v_add_co_ci_u32_e64 v2, null, 0, v3, vcc_lo
	v_add_co_u32 v3, vcc_lo, v4, 4
	v_add_co_ci_u32_e64 v4, null, 0, v7, vcc_lo
	v_mov_b32_e32 v7, v6
	s_mov_b32 s15, 0
	.p2align	6
.LBB135_30:                             ; =>This Inner Loop Header: Depth=1
	global_load_dwordx2 v[8:9], v[1:2], off offset:-4
	v_add_nc_u32_e32 v7, -4, v7
	v_add_co_u32 v1, vcc_lo, v1, 8
	v_add_co_ci_u32_e64 v2, null, 0, v2, vcc_lo
	v_cmp_eq_u32_e32 vcc_lo, 0, v7
	s_or_b32 s15, vcc_lo, s15
	s_waitcnt vmcnt(0)
	global_store_dwordx2 v[3:4], v[8:9], off offset:-4
	v_add_co_u32 v3, s0, v3, 8
	v_add_co_ci_u32_e64 v4, null, 0, v4, s0
	s_andn2_b32 exec_lo, exec_lo, s15
	s_cbranch_execnz .LBB135_30
; %bb.31:
	s_or_b32 exec_lo, exec_lo, s15
	v_cmp_ne_u32_e32 vcc_lo, v5, v6
	v_add_nc_u32_e32 v0, v0, v6
	s_orn2_b32 s0, vcc_lo, exec_lo
.LBB135_32:
	s_or_b32 exec_lo, exec_lo, s14
	s_and_b32 exec_lo, exec_lo, s0
	s_cbranch_execz .LBB135_35
; %bb.33:
	s_lshl_b64 s[12:13], s[12:13], 1
	v_lshlrev_b32_e32 v1, 1, v0
	s_add_u32 s0, s10, s12
	s_addc_u32 s10, s11, s13
	s_lshl_b64 s[4:5], s[4:5], 1
	v_mov_b32_e32 v2, 0
	s_add_u32 s4, s0, s4
	s_addc_u32 s5, s10, s5
	s_lshl_b64 s[6:7], s[6:7], 1
	s_add_u32 s0, s8, s6
	s_addc_u32 s6, s9, s7
	s_lshl_b64 s[2:3], s[2:3], 1
	s_add_u32 s2, s0, s2
	s_addc_u32 s3, s6, s3
	s_mov_b32 s6, 0
	s_lshl_b32 s7, s1, 1
	.p2align	6
.LBB135_34:                             ; =>This Inner Loop Header: Depth=1
	v_add_co_u32 v3, vcc_lo, s2, v1
	v_add_co_ci_u32_e64 v4, null, s3, v2, vcc_lo
	v_add_nc_u32_e32 v0, s1, v0
	global_load_ushort v5, v[3:4], off
	v_add_co_u32 v3, vcc_lo, s4, v1
	v_add_co_ci_u32_e64 v4, null, s5, v2, vcc_lo
	v_cmp_lt_u32_e32 vcc_lo, 0x6f, v0
	v_add_co_u32 v1, s0, v1, s7
	v_add_co_ci_u32_e64 v2, null, 0, v2, s0
	s_or_b32 s6, vcc_lo, s6
	s_waitcnt vmcnt(0)
	global_store_short v[3:4], v5, off
	s_andn2_b32 exec_lo, exec_lo, s6
	s_cbranch_execnz .LBB135_34
.LBB135_35:
	s_endpgm
	.section	.rodata,"a",@progbits
	.p2align	6, 0x0
	.amdhsa_kernel _ZN4vllm32paged_attention_v2_reduce_kernelI14__hip_bfloat16Li112ELi128ELi512EEEvPT_PKfS5_PKS2_PKii
		.amdhsa_group_segment_fixed_size 32
		.amdhsa_private_segment_fixed_size 0
		.amdhsa_kernarg_size 304
		.amdhsa_user_sgpr_count 6
		.amdhsa_user_sgpr_private_segment_buffer 1
		.amdhsa_user_sgpr_dispatch_ptr 0
		.amdhsa_user_sgpr_queue_ptr 0
		.amdhsa_user_sgpr_kernarg_segment_ptr 1
		.amdhsa_user_sgpr_dispatch_id 0
		.amdhsa_user_sgpr_flat_scratch_init 0
		.amdhsa_user_sgpr_private_segment_size 0
		.amdhsa_wavefront_size32 1
		.amdhsa_uses_dynamic_stack 0
		.amdhsa_system_sgpr_private_segment_wavefront_offset 0
		.amdhsa_system_sgpr_workgroup_id_x 1
		.amdhsa_system_sgpr_workgroup_id_y 1
		.amdhsa_system_sgpr_workgroup_id_z 0
		.amdhsa_system_sgpr_workgroup_info 0
		.amdhsa_system_vgpr_workitem_id 0
		.amdhsa_next_free_vgpr 19
		.amdhsa_next_free_sgpr 30
		.amdhsa_reserve_vcc 1
		.amdhsa_reserve_flat_scratch 0
		.amdhsa_float_round_mode_32 0
		.amdhsa_float_round_mode_16_64 0
		.amdhsa_float_denorm_mode_32 3
		.amdhsa_float_denorm_mode_16_64 3
		.amdhsa_dx10_clamp 1
		.amdhsa_ieee_mode 1
		.amdhsa_fp16_overflow 0
		.amdhsa_workgroup_processor_mode 1
		.amdhsa_memory_ordered 1
		.amdhsa_forward_progress 1
		.amdhsa_shared_vgpr_count 0
		.amdhsa_exception_fp_ieee_invalid_op 0
		.amdhsa_exception_fp_denorm_src 0
		.amdhsa_exception_fp_ieee_div_zero 0
		.amdhsa_exception_fp_ieee_overflow 0
		.amdhsa_exception_fp_ieee_underflow 0
		.amdhsa_exception_fp_ieee_inexact 0
		.amdhsa_exception_int_div_zero 0
	.end_amdhsa_kernel
	.section	.text._ZN4vllm32paged_attention_v2_reduce_kernelI14__hip_bfloat16Li112ELi128ELi512EEEvPT_PKfS5_PKS2_PKii,"axG",@progbits,_ZN4vllm32paged_attention_v2_reduce_kernelI14__hip_bfloat16Li112ELi128ELi512EEEvPT_PKfS5_PKS2_PKii,comdat
.Lfunc_end135:
	.size	_ZN4vllm32paged_attention_v2_reduce_kernelI14__hip_bfloat16Li112ELi128ELi512EEEvPT_PKfS5_PKS2_PKii, .Lfunc_end135-_ZN4vllm32paged_attention_v2_reduce_kernelI14__hip_bfloat16Li112ELi128ELi512EEEvPT_PKfS5_PKS2_PKii
                                        ; -- End function
	.set _ZN4vllm32paged_attention_v2_reduce_kernelI14__hip_bfloat16Li112ELi128ELi512EEEvPT_PKfS5_PKS2_PKii.num_vgpr, 19
	.set _ZN4vllm32paged_attention_v2_reduce_kernelI14__hip_bfloat16Li112ELi128ELi512EEEvPT_PKfS5_PKS2_PKii.num_agpr, 0
	.set _ZN4vllm32paged_attention_v2_reduce_kernelI14__hip_bfloat16Li112ELi128ELi512EEEvPT_PKfS5_PKS2_PKii.numbered_sgpr, 30
	.set _ZN4vllm32paged_attention_v2_reduce_kernelI14__hip_bfloat16Li112ELi128ELi512EEEvPT_PKfS5_PKS2_PKii.num_named_barrier, 0
	.set _ZN4vllm32paged_attention_v2_reduce_kernelI14__hip_bfloat16Li112ELi128ELi512EEEvPT_PKfS5_PKS2_PKii.private_seg_size, 0
	.set _ZN4vllm32paged_attention_v2_reduce_kernelI14__hip_bfloat16Li112ELi128ELi512EEEvPT_PKfS5_PKS2_PKii.uses_vcc, 1
	.set _ZN4vllm32paged_attention_v2_reduce_kernelI14__hip_bfloat16Li112ELi128ELi512EEEvPT_PKfS5_PKS2_PKii.uses_flat_scratch, 0
	.set _ZN4vllm32paged_attention_v2_reduce_kernelI14__hip_bfloat16Li112ELi128ELi512EEEvPT_PKfS5_PKS2_PKii.has_dyn_sized_stack, 0
	.set _ZN4vllm32paged_attention_v2_reduce_kernelI14__hip_bfloat16Li112ELi128ELi512EEEvPT_PKfS5_PKS2_PKii.has_recursion, 0
	.set _ZN4vllm32paged_attention_v2_reduce_kernelI14__hip_bfloat16Li112ELi128ELi512EEEvPT_PKfS5_PKS2_PKii.has_indirect_call, 0
	.section	.AMDGPU.csdata,"",@progbits
; Kernel info:
; codeLenInByte = 2400
; TotalNumSgprs: 32
; NumVgprs: 19
; ScratchSize: 0
; MemoryBound: 0
; FloatMode: 240
; IeeeMode: 1
; LDSByteSize: 32 bytes/workgroup (compile time only)
; SGPRBlocks: 0
; VGPRBlocks: 2
; NumSGPRsForWavesPerEU: 32
; NumVGPRsForWavesPerEU: 19
; Occupancy: 16
; WaveLimiterHint : 0
; COMPUTE_PGM_RSRC2:SCRATCH_EN: 0
; COMPUTE_PGM_RSRC2:USER_SGPR: 6
; COMPUTE_PGM_RSRC2:TRAP_HANDLER: 0
; COMPUTE_PGM_RSRC2:TGID_X_EN: 1
; COMPUTE_PGM_RSRC2:TGID_Y_EN: 1
; COMPUTE_PGM_RSRC2:TGID_Z_EN: 0
; COMPUTE_PGM_RSRC2:TIDIG_COMP_CNT: 0
	.section	.text._ZN4vllm25paged_attention_v2_kernelI14__hip_bfloat16S1_Li120ELi8ELi128ELNS_18Fp8KVCacheDataTypeE0ELb1ELi512EEEvPfS3_PT_PKS4_PKT0_SA_ifPKiSC_iPKfiiiSE_SE_iiiii,"axG",@progbits,_ZN4vllm25paged_attention_v2_kernelI14__hip_bfloat16S1_Li120ELi8ELi128ELNS_18Fp8KVCacheDataTypeE0ELb1ELi512EEEvPfS3_PT_PKS4_PKT0_SA_ifPKiSC_iPKfiiiSE_SE_iiiii,comdat
	.protected	_ZN4vllm25paged_attention_v2_kernelI14__hip_bfloat16S1_Li120ELi8ELi128ELNS_18Fp8KVCacheDataTypeE0ELb1ELi512EEEvPfS3_PT_PKS4_PKT0_SA_ifPKiSC_iPKfiiiSE_SE_iiiii ; -- Begin function _ZN4vllm25paged_attention_v2_kernelI14__hip_bfloat16S1_Li120ELi8ELi128ELNS_18Fp8KVCacheDataTypeE0ELb1ELi512EEEvPfS3_PT_PKS4_PKT0_SA_ifPKiSC_iPKfiiiSE_SE_iiiii
	.globl	_ZN4vllm25paged_attention_v2_kernelI14__hip_bfloat16S1_Li120ELi8ELi128ELNS_18Fp8KVCacheDataTypeE0ELb1ELi512EEEvPfS3_PT_PKS4_PKT0_SA_ifPKiSC_iPKfiiiSE_SE_iiiii
	.p2align	8
	.type	_ZN4vllm25paged_attention_v2_kernelI14__hip_bfloat16S1_Li120ELi8ELi128ELNS_18Fp8KVCacheDataTypeE0ELb1ELi512EEEvPfS3_PT_PKS4_PKT0_SA_ifPKiSC_iPKfiiiSE_SE_iiiii,@function
_ZN4vllm25paged_attention_v2_kernelI14__hip_bfloat16S1_Li120ELi8ELi128ELNS_18Fp8KVCacheDataTypeE0ELb1ELi512EEEvPfS3_PT_PKS4_PKT0_SA_ifPKiSC_iPKfiiiSE_SE_iiiii: ; @_ZN4vllm25paged_attention_v2_kernelI14__hip_bfloat16S1_Li120ELi8ELi128ELNS_18Fp8KVCacheDataTypeE0ELb1ELi512EEEvPfS3_PT_PKS4_PKT0_SA_ifPKiSC_iPKfiiiSE_SE_iiiii
; %bb.0:
	s_load_dwordx2 s[0:1], s[4:5], 0x40
	s_mov_b32 s10, s7
	s_ashr_i32 s11, s7, 31
	s_lshl_b64 s[2:3], s[10:11], 2
	s_waitcnt lgkmcnt(0)
	s_add_u32 s0, s0, s2
	s_addc_u32 s1, s1, s3
	s_lshl_b32 s11, s8, 9
	s_load_dword s33, s[0:1], 0x0
	s_waitcnt lgkmcnt(0)
	s_cmp_ge_i32 s11, s33
	s_cbranch_scc1 .LBB136_71
; %bb.1:
	s_clause 0x1
	s_load_dword s9, s[4:5], 0x90
	s_load_dwordx2 s[34:35], s[4:5], 0x30
	s_mov_b32 s43, 0
	s_waitcnt lgkmcnt(0)
	s_abs_i32 s3, s9
	s_abs_i32 s0, s34
	v_cvt_f32_u32_e32 v1, s0
	s_sub_i32 s2, 0, s0
	v_rcp_iflag_f32_e32 v1, v1
	v_mul_f32_e32 v1, 0x4f7ffffe, v1
	v_cvt_u32_f32_e32 v1, v1
	v_readfirstlane_b32 s1, v1
	s_mul_i32 s2, s2, s1
	s_mul_hi_u32 s2, s1, s2
	s_add_i32 s1, s1, s2
	s_xor_b32 s2, s9, s34
	s_mul_hi_u32 s1, s3, s1
	s_ashr_i32 s2, s2, 31
	s_mul_i32 s7, s1, s0
	s_sub_i32 s3, s3, s7
	s_add_i32 s7, s1, 1
	s_sub_i32 s12, s3, s0
	s_cmp_ge_u32 s3, s0
	s_cselect_b32 s1, s7, s1
	s_cselect_b32 s3, s12, s3
	s_add_i32 s7, s1, 1
	s_cmp_ge_u32 s3, s0
	s_cselect_b32 s0, s7, s1
	s_xor_b32 s0, s0, s2
	s_sub_i32 s16, s0, s2
	s_load_dwordx2 s[0:1], s[4:5], 0x50
	s_abs_i32 s2, s16
	v_cvt_f32_u32_e32 v1, s2
	s_sub_i32 s3, 0, s2
	v_rcp_iflag_f32_e32 v1, v1
	v_mul_f32_e32 v1, 0x4f7ffffe, v1
	v_cvt_u32_f32_e32 v1, v1
	v_readfirstlane_b32 s7, v1
	s_mul_i32 s3, s3, s7
	s_mul_hi_u32 s12, s7, s3
	s_abs_i32 s3, s6
	s_add_i32 s7, s7, s12
	s_waitcnt lgkmcnt(0)
	s_cmp_eq_u64 s[0:1], 0
	s_mul_hi_u32 s20, s3, s7
	s_cbranch_scc1 .LBB136_3
; %bb.2:
	s_ashr_i32 s7, s6, 31
	s_lshl_b64 s[12:13], s[6:7], 2
	s_add_u32 s0, s0, s12
	s_addc_u32 s1, s1, s13
	s_load_dword s43, s[0:1], 0x0
.LBB136_3:
	s_load_dwordx4 s[12:15], s[4:5], 0x58
	v_and_b32_e32 v1, 3, v0
	v_lshlrev_b32_e32 v2, 2, v0
	s_ashr_i32 s0, s6, 31
	s_ashr_i32 s1, s16, 31
	s_mul_i32 s28, s6, 0x78
	s_mov_b32 s7, exec_lo
	v_cmpx_gt_u32_e32 60, v0
	s_cbranch_execz .LBB136_5
; %bb.4:
	s_load_dwordx2 s[16:17], s[4:5], 0x18
	s_waitcnt lgkmcnt(0)
	s_mul_i32 s18, s12, s10
	v_and_b32_e32 v4, 0x3fc, v0
	s_ashr_i32 s19, s18, 31
	s_lshl_b64 s[18:19], s[18:19], 1
	v_mad_u32_u24 v4, v1, 60, v4
	s_add_u32 s12, s16, s18
	s_addc_u32 s15, s17, s19
	s_ashr_i32 s29, s28, 31
	s_lshl_b64 s[16:17], s[28:29], 1
	s_add_u32 s16, s12, s16
	s_addc_u32 s17, s15, s17
	global_load_dword v3, v2, s[16:17]
	s_waitcnt vmcnt(0)
	ds_write_b32 v4, v3
.LBB136_5:
	s_or_b32 exec_lo, exec_lo, s7
	s_load_dwordx4 s[16:19], s[4:5], 0x78
	s_mul_i32 s7, s20, s2
	s_xor_b32 s0, s0, s1
	s_sub_i32 s1, s3, s7
	s_add_i32 s3, s20, 1
	s_sub_i32 s7, s1, s2
	s_cmp_ge_u32 s1, s2
	s_waitcnt lgkmcnt(0)
	s_mov_b32 s12, -1
	s_cselect_b32 s3, s3, s20
	s_cselect_b32 s1, s7, s1
	s_add_i32 s7, s3, 1
	s_cmp_ge_u32 s1, s2
                                        ; implicit-def: $sgpr40
	s_cselect_b32 s1, s7, s3
	s_load_dword s3, s[4:5], 0x88
	s_xor_b32 s1, s1, s0
	s_add_i32 s7, s33, -1
	s_sub_i32 s1, s1, s0
	s_abs_i32 s2, s7
	s_waitcnt lgkmcnt(0)
	s_abs_i32 s38, s19
	s_barrier
	v_cvt_f32_u32_e32 v3, s38
	s_sub_i32 s0, 0, s38
	buffer_gl0_inv
	v_rcp_iflag_f32_e32 v3, v3
	v_mul_f32_e32 v3, 0x4f7ffffe, v3
	v_cvt_u32_f32_e32 v3, v3
	v_readfirstlane_b32 s39, v3
	s_mul_i32 s0, s0, s39
	s_mul_hi_u32 s0, s39, s0
	s_add_i32 s39, s39, s0
	s_cmp_lt_i32 s3, 0
	s_mul_hi_u32 s0, s2, s39
	s_cbranch_scc0 .LBB136_7
; %bb.6:
	s_mul_i32 s12, s16, s34
	s_add_i32 s12, s1, s12
	s_mul_i32 s12, s12, s3
	s_sub_i32 s40, 1, s12
	s_mov_b32 s12, 0
.LBB136_7:
	s_load_dwordx2 s[24:25], s[4:5], 0x38
	s_ashr_i32 s7, s7, 31
	s_andn2_b32 vcc_lo, exec_lo, s12
	s_ashr_i32 s41, s19, 31
	s_cbranch_vccnz .LBB136_9
; %bb.8:
	s_mul_i32 s12, s9, s16
	s_add_i32 s12, s12, s6
	s_mul_i32 s3, s12, s3
	s_add_i32 s40, s3, 1
.LBB136_9:
	s_clause 0x4
	s_load_dword s3, s[4:5], 0x48
	s_load_dwordx2 s[36:37], s[4:5], 0x28
	s_load_dword s29, s[4:5], 0x98
	s_load_dwordx4 s[20:23], s[4:5], 0x0
	s_load_dwordx2 s[30:31], s[4:5], 0x10
	s_mul_i32 s12, s0, s38
	s_xor_b32 s7, s7, s41
	s_sub_i32 s2, s2, s12
	s_add_i32 s15, s0, 1
	v_lshrrev_b32_e32 v24, 5, v0
	v_mov_b32_e32 v4, 0xff7fffff
	v_mbcnt_lo_u32_b32 v3, -1, 0
	s_mul_i32 s14, s1, s14
	v_lshl_add_u32 v25, v24, 3, s11
	s_waitcnt lgkmcnt(0)
	s_mul_i32 s26, s3, s10
	s_sub_i32 s3, s2, s38
	s_ashr_i32 s27, s26, 31
	s_cmp_ge_u32 s2, s38
	s_cselect_b32 s0, s15, s0
	s_cselect_b32 s2, s3, s2
	s_add_i32 s3, s0, 1
	s_cmp_ge_u32 s2, s38
	s_cselect_b32 s0, s3, s0
	s_add_i32 s2, s33, 7
	s_lshl_b32 s12, s8, 6
	s_ashr_i32 s3, s2, 31
	v_or_b32_e32 v21, s12, v24
	s_lshr_b32 s3, s3, 29
	s_add_i32 s2, s2, s3
	s_add_i32 s3, s12, 64
	s_ashr_i32 s45, s2, 3
	s_xor_b32 s2, s0, s7
	s_min_i32 s42, s3, s45
	v_ashrrev_i32_e32 v22, 31, v21
	v_cmp_gt_i32_e64 s0, s42, v21
	s_sub_i32 s7, s2, s7
	s_and_saveexec_b32 s16, s0
	s_cbranch_execz .LBB136_21
; %bb.10:
	s_load_dwordx2 s[2:3], s[4:5], 0x20
	s_ashr_i32 s15, s14, 31
	s_sub_i32 s4, s7, s17
	s_lshl_b64 s[46:47], s[14:15], 1
	v_bfe_u32 v5, v0, 2, 3
	v_cmp_eq_u32_e32 vcc_lo, 0, v1
	v_and_b32_e32 v13, 12, v2
	v_mul_u32_u24_e32 v6, 60, v1
	v_lshlrev_b64 v[1:2], 2, v[21:22]
	v_lshlrev_b32_e32 v11, 2, v5
	v_subrev_nc_u32_e32 v14, s33, v5
	v_lshlrev_b32_e32 v17, 4, v5
	v_cmp_neq_f32_e64 s1, s43, 0
	v_lshl_add_u32 v7, v24, 3, s11
	v_lshl_or_b32 v15, v24, 5, v11
	v_add_nc_u32_e32 v11, 1, v14
	v_mov_b32_e32 v8, 0xff7fffff
	v_xor_b32_e32 v9, 2, v3
	v_xor_b32_e32 v10, 1, v3
	s_waitcnt lgkmcnt(0)
	s_add_u32 s15, s2, s46
	s_addc_u32 s19, s3, s47
	s_abs_i32 s5, s18
	v_cvt_f32_u32_e32 v4, s5
	s_sub_i32 s2, 0, s5
	v_rcp_iflag_f32_e32 v4, v4
	v_mul_f32_e32 v12, 0x4f7ffffe, v4
	v_mov_b32_e32 v4, 0xff7fffff
	v_cvt_u32_f32_e32 v16, v12
	v_add_nc_u32_e32 v12, 0x110, v15
	v_add_co_u32 v15, s15, s15, v17
	v_add_co_ci_u32_e64 v17, null, s19, 0, s15
	v_mul_lo_u32 v14, s2, v16
	s_lshl_b64 s[2:3], s[26:27], 2
	s_mov_b32 s15, 0
	s_add_u32 s2, s24, s2
	s_addc_u32 s3, s25, s3
	v_add_co_u32 v1, s2, s2, v1
	v_add_co_ci_u32_e64 v2, null, s3, v2, s2
	v_mul_hi_u32 v18, v16, v14
	v_add_co_u32 v13, s2, v15, v13
	v_add_co_ci_u32_e64 v14, null, 0, v17, s2
	s_mov_b32 s19, s13
	v_add_nc_u32_e32 v15, v16, v18
	v_mov_b32_e32 v16, v21
	s_branch .LBB136_13
.LBB136_11:                             ;   in Loop: Header=BB136_13 Depth=1
	s_or_b32 exec_lo, exec_lo, s34
.LBB136_12:                             ;   in Loop: Header=BB136_13 Depth=1
	s_or_b32 exec_lo, exec_lo, s3
	v_add_nc_u32_e32 v16, 4, v16
	v_add_co_u32 v1, s3, v1, 16
	v_add_co_ci_u32_e64 v2, null, 0, v2, s3
	v_cmp_le_i32_e64 s2, s42, v16
	v_add_nc_u32_e32 v7, 32, v7
	v_add_nc_u32_e32 v12, 0x80, v12
	s_or_b32 s15, s2, s15
	s_andn2_b32 exec_lo, exec_lo, s15
	s_cbranch_execz .LBB136_20
.LBB136_13:                             ; =>This Inner Loop Header: Depth=1
	v_sub_nc_u32_e32 v17, 0, v7
	v_max_i32_e32 v17, v7, v17
	s_waitcnt lgkmcnt(0)
	v_mul_hi_u32 v18, v17, s39
	v_mul_lo_u32 v19, v18, s38
	v_sub_nc_u32_e32 v17, v17, v19
	v_add_nc_u32_e32 v19, 1, v18
	v_subrev_nc_u32_e32 v20, s38, v17
	v_cmp_le_u32_e64 s2, s38, v17
	v_cndmask_b32_e64 v18, v18, v19, s2
	v_cndmask_b32_e64 v17, v17, v20, s2
	v_ashrrev_i32_e32 v19, 31, v7
	v_add_nc_u32_e32 v20, 1, v18
	v_cmp_le_u32_e64 s2, s38, v17
	v_xor_b32_e32 v19, s41, v19
	v_cndmask_b32_e64 v17, v18, v20, s2
	v_xor_b32_e32 v17, v17, v19
	v_sub_nc_u32_e32 v17, v17, v19
	v_add_nc_u32_e32 v18, s40, v17
	v_cmp_ge_i32_e64 s3, s4, v17
	v_sub_nc_u32_e32 v19, 0, v18
	v_max_i32_e32 v19, v18, v19
	v_ashrrev_i32_e32 v18, 31, v18
	v_mul_hi_u32 v20, v19, v15
	v_mul_lo_u32 v20, v20, s5
	v_sub_nc_u32_e32 v19, v19, v20
	v_subrev_nc_u32_e32 v20, s5, v19
	v_cmp_le_u32_e64 s2, s5, v19
	v_cndmask_b32_e64 v19, v19, v20, s2
	v_subrev_nc_u32_e32 v20, s5, v19
	v_cmp_le_u32_e64 s2, s5, v19
	v_cndmask_b32_e64 v19, v19, v20, s2
	v_xor_b32_e32 v19, v19, v18
	v_sub_nc_u32_e32 v18, v19, v18
	v_cmp_ne_u32_e64 s2, 0, v18
	s_and_b32 s2, s2, s3
	s_and_saveexec_b32 s3, s2
	s_xor_b32 s2, exec_lo, s3
	s_cbranch_execz .LBB136_17
; %bb.14:                               ;   in Loop: Header=BB136_13 Depth=1
	s_and_saveexec_b32 s3, vcc_lo
; %bb.15:                               ;   in Loop: Header=BB136_13 Depth=1
	ds_write_b32 v12, v8
; %bb.16:                               ;   in Loop: Header=BB136_13 Depth=1
	s_or_b32 exec_lo, exec_lo, s3
.LBB136_17:                             ;   in Loop: Header=BB136_13 Depth=1
	s_andn2_saveexec_b32 s3, s2
	s_cbranch_execz .LBB136_12
; %bb.18:                               ;   in Loop: Header=BB136_13 Depth=1
	global_load_dword v17, v[1:2], off
	s_waitcnt vmcnt(0)
	v_mad_i64_i32 v[17:18], null, v17, s19, 0
	v_lshlrev_b64 v[17:18], 1, v[17:18]
	v_add_co_u32 v17, s2, v13, v17
	v_add_co_ci_u32_e64 v18, null, v14, v18, s2
	v_cmp_gt_i32_e64 s2, 32, v9
	s_clause 0xe
	global_load_dword v23, v[17:18], off offset:128
	global_load_dword v36, v[17:18], off
	global_load_dword v37, v[17:18], off offset:256
	global_load_dword v38, v[17:18], off offset:384
	;; [unrolled: 1-line block ×13, first 2 shown]
	ds_read2_b32 v[17:18], v6 offset1:1
	ds_read2_b32 v[19:20], v6 offset0:2 offset1:3
	ds_read2_b32 v[26:27], v6 offset0:4 offset1:5
	;; [unrolled: 1-line block ×6, first 2 shown]
	ds_read_b32 v50, v6 offset:56
	s_waitcnt lgkmcnt(7)
	v_lshlrev_b32_e32 v52, 16, v18
	v_and_b32_e32 v18, 0xffff0000, v18
	v_lshlrev_b32_e32 v51, 16, v17
	v_and_b32_e32 v17, 0xffff0000, v17
	s_waitcnt lgkmcnt(6)
	v_lshlrev_b32_e32 v53, 16, v19
	v_and_b32_e32 v19, 0xffff0000, v19
	v_lshlrev_b32_e32 v54, 16, v20
	s_waitcnt lgkmcnt(5)
	v_lshlrev_b32_e32 v55, 16, v26
	v_lshlrev_b32_e32 v56, 16, v27
	s_waitcnt lgkmcnt(4)
	v_lshlrev_b32_e32 v57, 16, v28
	;; [unrolled: 3-line block ×6, first 2 shown]
	s_waitcnt vmcnt(14)
	v_lshlrev_b32_e32 v66, 16, v23
	v_and_b32_e32 v23, 0xffff0000, v23
	s_waitcnt vmcnt(13)
	v_lshlrev_b32_e32 v67, 16, v36
	v_and_b32_e32 v36, 0xffff0000, v36
	v_mul_f32_e32 v52, v52, v66
	v_mul_f32_e32 v18, v18, v23
	s_waitcnt vmcnt(12)
	v_lshlrev_b32_e32 v23, 16, v37
	v_and_b32_e32 v37, 0xffff0000, v37
	v_fmac_f32_e32 v52, v51, v67
	v_fmac_f32_e32 v18, v17, v36
	v_and_b32_e32 v17, 0xffff0000, v20
	s_waitcnt vmcnt(11)
	v_lshlrev_b32_e32 v20, 16, v38
	v_and_b32_e32 v36, 0xffff0000, v38
	v_fmac_f32_e32 v52, v53, v23
	v_fmac_f32_e32 v18, v19, v37
	v_and_b32_e32 v19, 0xffff0000, v26
	s_waitcnt vmcnt(10)
	v_lshlrev_b32_e32 v23, 16, v39
	v_and_b32_e32 v26, 0xffff0000, v39
	v_fmac_f32_e32 v52, v54, v20
	v_fmac_f32_e32 v18, v17, v36
	v_and_b32_e32 v17, 0xffff0000, v27
	s_waitcnt vmcnt(9)
	v_lshlrev_b32_e32 v20, 16, v40
	v_and_b32_e32 v27, 0xffff0000, v40
	v_fmac_f32_e32 v52, v55, v23
	v_fmac_f32_e32 v18, v19, v26
	v_and_b32_e32 v19, 0xffff0000, v28
	s_waitcnt vmcnt(8)
	v_lshlrev_b32_e32 v23, 16, v41
	v_and_b32_e32 v26, 0xffff0000, v41
	v_fmac_f32_e32 v52, v56, v20
	v_fmac_f32_e32 v18, v17, v27
	v_and_b32_e32 v17, 0xffff0000, v29
	s_waitcnt vmcnt(7)
	v_lshlrev_b32_e32 v20, 16, v42
	v_and_b32_e32 v27, 0xffff0000, v42
	v_fmac_f32_e32 v52, v57, v23
	v_fmac_f32_e32 v18, v19, v26
	v_and_b32_e32 v19, 0xffff0000, v30
	s_waitcnt vmcnt(6)
	v_lshlrev_b32_e32 v23, 16, v43
	v_and_b32_e32 v26, 0xffff0000, v43
	v_fmac_f32_e32 v52, v58, v20
	v_fmac_f32_e32 v18, v17, v27
	v_and_b32_e32 v17, 0xffff0000, v31
	s_waitcnt vmcnt(5)
	v_lshlrev_b32_e32 v20, 16, v44
	v_and_b32_e32 v27, 0xffff0000, v44
	v_fmac_f32_e32 v52, v59, v23
	v_fmac_f32_e32 v18, v19, v26
	v_and_b32_e32 v19, 0xffff0000, v32
	s_waitcnt vmcnt(4)
	v_lshlrev_b32_e32 v23, 16, v45
	v_and_b32_e32 v26, 0xffff0000, v45
	v_fmac_f32_e32 v52, v60, v20
	v_fmac_f32_e32 v18, v17, v27
	v_and_b32_e32 v17, 0xffff0000, v33
	s_waitcnt vmcnt(3)
	v_lshlrev_b32_e32 v20, 16, v46
	v_and_b32_e32 v27, 0xffff0000, v46
	v_fmac_f32_e32 v52, v61, v23
	v_fmac_f32_e32 v18, v19, v26
	v_and_b32_e32 v19, 0xffff0000, v34
	s_waitcnt vmcnt(2)
	v_lshlrev_b32_e32 v23, 16, v47
	v_and_b32_e32 v26, 0xffff0000, v47
	v_fmac_f32_e32 v52, v62, v20
	v_fmac_f32_e32 v18, v17, v27
	v_and_b32_e32 v17, 0xffff0000, v35
	s_waitcnt vmcnt(1)
	v_lshlrev_b32_e32 v20, 16, v48
	v_and_b32_e32 v27, 0xffff0000, v48
	v_fmac_f32_e32 v52, v63, v23
	v_fmac_f32_e32 v18, v19, v26
	v_and_b32_e32 v19, 0xffff0000, v50
	s_waitcnt vmcnt(0)
	v_lshlrev_b32_e32 v23, 16, v49
	v_and_b32_e32 v26, 0xffff0000, v49
	v_fmac_f32_e32 v52, v64, v20
	v_fmac_f32_e32 v18, v17, v27
	v_cndmask_b32_e64 v17, v3, v9, s2
	v_cmp_gt_i32_e64 s2, 32, v10
	v_fmac_f32_e32 v52, v65, v23
	v_fmac_f32_e32 v18, v19, v26
	v_lshlrev_b32_e32 v17, 2, v17
	v_cndmask_b32_e64 v19, v3, v10, s2
	v_add_f32_e32 v18, v52, v18
	v_lshlrev_b32_e32 v19, 2, v19
	ds_bpermute_b32 v17, v17, v18
	s_waitcnt lgkmcnt(0)
	v_add_f32_e32 v17, v18, v17
	ds_bpermute_b32 v18, v19, v17
	s_and_saveexec_b32 s34, vcc_lo
	s_cbranch_execz .LBB136_11
; %bb.19:                               ;   in Loop: Header=BB136_13 Depth=1
	v_add_nc_u32_e32 v19, v11, v7
	s_waitcnt lgkmcnt(0)
	v_add_f32_e32 v17, v17, v18
	v_cvt_f32_i32_e32 v19, v19
	v_mul_f32_e32 v19, s43, v19
	v_cndmask_b32_e64 v18, 0, v19, s1
	v_max_f32_e32 v19, v4, v4
	v_fmac_f32_e32 v18, s35, v17
	v_add_nc_u32_e32 v17, v5, v7
	v_max_f32_e32 v19, v19, v18
	v_cmp_gt_i32_e64 s2, s33, v17
	v_cndmask_b32_e64 v17, 0, v18, s2
	v_cndmask_b32_e64 v4, v4, v19, s2
	ds_write_b32 v12, v17
	s_branch .LBB136_11
.LBB136_20:
	s_or_b32 exec_lo, exec_lo, s15
.LBB136_21:
	s_or_b32 exec_lo, exec_lo, s16
	v_xor_b32_e32 v1, 16, v3
	v_xor_b32_e32 v5, 8, v3
	v_max_f32_e32 v6, v4, v4
	v_and_b32_e32 v26, 31, v0
	v_cmp_gt_i32_e32 vcc_lo, 32, v1
	v_cndmask_b32_e32 v1, v3, v1, vcc_lo
	v_cmp_gt_i32_e32 vcc_lo, 32, v5
	v_lshlrev_b32_e32 v2, 2, v1
	ds_bpermute_b32 v1, v2, v4
	v_cndmask_b32_e32 v4, v3, v5, vcc_lo
	v_lshlrev_b32_e32 v4, 2, v4
	s_waitcnt lgkmcnt(0)
	v_max_f32_e32 v1, v1, v1
	v_max_f32_e32 v1, v6, v1
	v_xor_b32_e32 v6, 4, v3
	ds_bpermute_b32 v5, v4, v1
	v_cmp_gt_i32_e32 vcc_lo, 32, v6
	v_cndmask_b32_e32 v6, v3, v6, vcc_lo
	v_cmp_eq_u32_e32 vcc_lo, 0, v26
	v_lshlrev_b32_e32 v7, 2, v6
	s_waitcnt lgkmcnt(0)
	v_max_f32_e32 v5, v5, v5
	v_max_f32_e32 v1, v1, v5
	v_lshlrev_b32_e32 v5, 2, v24
	ds_bpermute_b32 v6, v7, v1
	s_and_saveexec_b32 s1, vcc_lo
	s_cbranch_execz .LBB136_23
; %bb.22:
	s_waitcnt lgkmcnt(0)
	v_max_f32_e32 v6, v6, v6
	v_max_f32_e32 v1, v1, v1
	;; [unrolled: 1-line block ×3, first 2 shown]
	ds_write_b32 v5, v1 offset:240
.LBB136_23:
	s_or_b32 exec_lo, exec_lo, s1
	v_cmp_gt_u32_e64 s1, 4, v26
	v_mov_b32_e32 v1, 0xff7fffff
	s_waitcnt lgkmcnt(0)
	v_lshlrev_b32_e32 v6, 2, v26
	s_barrier
	buffer_gl0_inv
	s_and_saveexec_b32 s2, s1
; %bb.24:
	ds_read_b32 v1, v6 offset:240
; %bb.25:
	s_or_b32 exec_lo, exec_lo, s2
	v_xor_b32_e32 v8, 2, v3
	v_xor_b32_e32 v10, 1, v3
	v_lshl_add_u32 v27, v0, 2, 0x110
	v_cmp_gt_i32_e64 s2, 32, v8
	v_cndmask_b32_e64 v8, v3, v8, s2
	v_cmp_gt_i32_e64 s2, 32, v10
	v_lshlrev_b32_e32 v8, 2, v8
	v_cndmask_b32_e64 v3, v3, v10, s2
	s_sub_i32 s2, s42, s12
	s_lshl_b32 s2, s2, 3
	s_waitcnt lgkmcnt(0)
	ds_bpermute_b32 v9, v8, v1
	v_max_f32_e32 v1, v1, v1
	v_lshlrev_b32_e32 v3, 2, v3
	s_add_i32 s2, s2, s11
	s_min_i32 s2, s2, s33
	s_sub_i32 s4, s2, s11
	v_cmp_gt_i32_e64 s2, s4, v0
	s_waitcnt lgkmcnt(0)
	v_max_f32_e32 v9, v9, v9
	v_max_f32_e32 v1, v1, v9
	ds_bpermute_b32 v9, v3, v1
	s_waitcnt lgkmcnt(0)
	v_max_f32_e32 v9, v9, v9
	v_max_f32_e32 v1, v1, v9
	v_mov_b32_e32 v9, 0
	ds_bpermute_b32 v1, v9, v1
	s_and_saveexec_b32 s5, s2
	s_cbranch_execz .LBB136_29
; %bb.26:
	v_lshl_add_u32 v10, v0, 2, 0x110
	v_mov_b32_e32 v9, 0
	v_mov_b32_e32 v11, v0
	s_mov_b32 s11, 0
	.p2align	6
.LBB136_27:                             ; =>This Inner Loop Header: Depth=1
	ds_read_b32 v12, v10
	v_add_nc_u32_e32 v11, 0x80, v11
	v_cmp_le_i32_e64 s3, s4, v11
	s_or_b32 s11, s3, s11
	s_waitcnt lgkmcnt(0)
	v_sub_f32_e32 v12, v12, v1
	v_mul_f32_e32 v12, 0x3fb8aa3b, v12
	v_exp_f32_e32 v12, v12
	ds_write_b32 v10, v12
	v_add_f32_e32 v9, v9, v12
	v_add_nc_u32_e32 v10, 0x200, v10
	s_andn2_b32 exec_lo, exec_lo, s11
	s_cbranch_execnz .LBB136_27
; %bb.28:
	s_or_b32 exec_lo, exec_lo, s11
.LBB136_29:
	s_or_b32 exec_lo, exec_lo, s5
	ds_bpermute_b32 v2, v2, v9
	s_waitcnt lgkmcnt(0)
	v_add_f32_e32 v2, v9, v2
	ds_bpermute_b32 v4, v4, v2
	s_waitcnt lgkmcnt(0)
	v_add_f32_e32 v2, v2, v4
	;; [unrolled: 3-line block ×5, first 2 shown]
	s_and_saveexec_b32 s3, vcc_lo
; %bb.30:
	ds_write_b32 v5, v2 offset:256
; %bb.31:
	s_or_b32 exec_lo, exec_lo, s3
	s_waitcnt lgkmcnt(0)
	s_barrier
	buffer_gl0_inv
	s_and_saveexec_b32 s3, s1
; %bb.32:
	ds_read_b32 v2, v6 offset:256
; %bb.33:
	s_or_b32 exec_lo, exec_lo, s3
	s_waitcnt lgkmcnt(0)
	ds_bpermute_b32 v4, v8, v2
	s_waitcnt lgkmcnt(0)
	v_add_f32_e32 v2, v2, v4
	ds_bpermute_b32 v3, v3, v2
	s_waitcnt lgkmcnt(0)
	v_add_f32_e32 v2, v2, v3
	v_mov_b32_e32 v3, 0
	ds_bpermute_b32 v2, v3, v2
	s_and_saveexec_b32 s1, s2
	s_cbranch_execz .LBB136_36
; %bb.34:
	s_waitcnt lgkmcnt(0)
	v_add_f32_e32 v4, 0x358637bd, v2
	s_mov_b32 s2, 0
	v_div_scale_f32 v3, null, v4, v4, 1.0
	v_div_scale_f32 v7, vcc_lo, 1.0, v4, 1.0
	v_rcp_f32_e32 v5, v3
	v_fma_f32 v6, -v3, v5, 1.0
	v_fmac_f32_e32 v5, v6, v5
	v_mul_f32_e32 v6, v7, v5
	v_fma_f32 v8, -v3, v6, v7
	v_fmac_f32_e32 v6, v8, v5
	v_fma_f32 v3, -v3, v6, v7
	v_div_fmas_f32 v5, v3, v5, v6
	v_mov_b32_e32 v3, v27
	v_div_fixup_f32 v4, v5, v4, 1.0
	v_mov_b32_e32 v5, v0
.LBB136_35:                             ; =>This Inner Loop Header: Depth=1
	ds_read_b32 v6, v3
	v_add_nc_u32_e32 v5, 0x80, v5
	v_cmp_le_i32_e32 vcc_lo, s4, v5
	s_or_b32 s2, vcc_lo, s2
	s_waitcnt lgkmcnt(0)
	v_mul_f32_e32 v6, v4, v6
	ds_write_b32 v3, v6
	v_add_nc_u32_e32 v3, 0x200, v3
	s_andn2_b32 exec_lo, exec_lo, s2
	s_cbranch_execnz .LBB136_35
.LBB136_36:
	s_or_b32 exec_lo, exec_lo, s1
	s_mul_i32 s1, s29, s10
	s_waitcnt lgkmcnt(0)
	s_mul_i32 s34, s1, s9
	s_mov_b32 s1, exec_lo
	s_barrier
	buffer_gl0_inv
	v_cmpx_eq_u32_e32 0, v0
	s_cbranch_execz .LBB136_38
; %bb.37:
	s_ashr_i32 s35, s34, 31
	s_mul_i32 s4, s29, s6
	s_lshl_b64 s[2:3], s[34:35], 2
	v_mov_b32_e32 v3, 0
	s_add_u32 s6, s22, s2
	s_addc_u32 s9, s23, s3
	s_ashr_i32 s5, s4, 31
	s_lshl_b64 s[4:5], s[4:5], 2
	s_add_u32 s6, s6, s4
	s_addc_u32 s12, s9, s5
	s_ashr_i32 s9, s8, 31
	s_lshl_b64 s[10:11], s[8:9], 2
	s_add_u32 s22, s6, s10
	s_addc_u32 s23, s12, s11
	s_add_u32 s2, s20, s2
	s_addc_u32 s3, s21, s3
	;; [unrolled: 2-line block ×4, first 2 shown]
	global_store_dword v3, v1, s[22:23]
	global_store_dword v3, v2, s[2:3]
.LBB136_38:
	s_or_b32 exec_lo, exec_lo, s1
	v_mov_b32_e32 v31, 0
	v_mov_b32_e32 v30, 0
	;; [unrolled: 1-line block ×4, first 2 shown]
	s_and_saveexec_b32 s35, s0
	s_cbranch_execz .LBB136_54
; %bb.39:
	s_ashr_i32 s15, s14, 31
	s_sub_i32 s43, s7, s17
	s_lshl_b64 s[0:1], s[14:15], 1
	v_lshlrev_b32_e32 v3, 3, v26
	s_add_u32 s36, s36, s0
	s_addc_u32 s37, s37, s1
	s_abs_i32 s44, s18
	v_or_b32_e32 v4, 0x60, v26
	v_cvt_f32_u32_e32 v1, s44
	s_sub_i32 s0, 0, s44
	v_lshlrev_b32_e32 v34, 1, v3
	s_lshl_b64 s[2:3], s[26:27], 2
	s_add_i32 s45, s45, -1
	v_rcp_iflag_f32_e32 v1, v1
	s_add_u32 s1, s24, s2
	s_addc_u32 s2, s25, s3
	v_mov_b32_e32 v32, 0
	v_lshl_add_u32 v33, v24, 5, 0x110
	v_mov_b32_e32 v28, 0
	v_mov_b32_e32 v29, 0
	;; [unrolled: 1-line block ×4, first 2 shown]
	s_mov_b32 s46, s13
	v_mul_f32_e32 v1, 0x4f7ffffe, v1
	s_mov_b32 s48, s33
	s_mov_b32 s47, 0
	v_cvt_u32_f32_e32 v5, v1
	v_lshlrev_b64 v[1:2], 2, v[21:22]
	v_mul_lo_u32 v6, s0, v5
	v_cmp_gt_u32_e64 s0, 0x78, v4
	v_lshlrev_b32_e32 v4, 3, v4
	v_add_co_u32 v22, vcc_lo, s1, v1
	v_add_co_ci_u32_e64 v23, null, s2, v2, vcc_lo
	v_lshlrev_b32_e32 v35, 1, v4
	v_mul_hi_u32 v3, v5, v6
	v_add_nc_u32_e32 v36, v5, v3
	s_branch .LBB136_43
.LBB136_40:                             ;   in Loop: Header=BB136_43 Depth=1
	s_or_b32 exec_lo, exec_lo, s51
	v_perm_b32 v14, v51, v50, 0x7060302
	s_waitcnt vmcnt(0)
	v_and_b32_e32 v38, 0xffff0000, v1
	v_perm_b32 v15, v53, v52, 0x7060302
	v_lshlrev_b32_e32 v1, 16, v1
	v_and_b32_e32 v51, 0xffff0000, v2
	v_and_b32_e32 v50, 0xffff0000, v14
	v_lshlrev_b32_e32 v14, 16, v14
	v_lshlrev_b32_e32 v2, 16, v2
	v_perm_b32 v16, v55, v54, 0x7060302
	v_perm_b32 v37, v57, v56, 0x7060302
	v_mul_f32_e32 v38, v50, v38
	v_and_b32_e32 v50, 0xffff0000, v15
	v_lshlrev_b32_e32 v15, 16, v15
	v_mul_f32_e32 v1, v14, v1
	v_and_b32_e32 v14, 0xffff0000, v3
	v_bfe_u32 v52, v38, 16, 1
	v_mul_f32_e32 v50, v50, v51
	v_mul_f32_e32 v2, v15, v2
	v_bfe_u32 v15, v1, 16, 1
	v_or_b32_e32 v51, 0x400000, v38
	v_add3_u32 v52, v52, v38, 0x7fff
	v_cmp_u_f32_e32 vcc_lo, v38, v38
	v_or_b32_e32 v53, 0x400000, v1
	v_bfe_u32 v54, v50, 16, 1
	v_add3_u32 v15, v15, v1, 0x7fff
	v_lshlrev_b32_e32 v3, 16, v3
	v_cndmask_b32_e32 v38, v52, v51, vcc_lo
	v_and_b32_e32 v51, 0xffff0000, v16
	v_cmp_u_f32_e32 vcc_lo, v1, v1
	v_or_b32_e32 v52, 0x400000, v50
	v_lshlrev_b32_e32 v16, 16, v16
	v_and_b32_e32 v38, 0xffff0000, v38
	v_mul_f32_e32 v14, v51, v14
	v_cndmask_b32_e32 v1, v15, v53, vcc_lo
	v_add3_u32 v15, v54, v50, 0x7fff
	v_bfe_u32 v53, v2, 16, 1
	v_cmp_u_f32_e32 vcc_lo, v50, v50
	v_or_b32_e32 v51, 0x400000, v2
	v_mul_f32_e32 v3, v16, v3
	v_and_b32_e32 v16, 0xffff0000, v4
	v_add3_u32 v50, v53, v2, 0x7fff
	v_cndmask_b32_e32 v15, v15, v52, vcc_lo
	v_bfe_u32 v52, v14, 16, 1
	v_and_b32_e32 v53, 0xffff0000, v37
	v_lshlrev_b32_e32 v4, 16, v4
	v_lshlrev_b32_e32 v37, 16, v37
	v_cmp_u_f32_e32 vcc_lo, v2, v2
	v_and_b32_e32 v1, 0xffff0000, v1
	v_mul_f32_e32 v16, v53, v16
	v_and_b32_e32 v15, 0xffff0000, v15
	v_mul_f32_e32 v4, v37, v4
	v_cndmask_b32_e32 v2, v50, v51, vcc_lo
	v_bfe_u32 v50, v3, 16, 1
	v_add3_u32 v51, v52, v14, 0x7fff
	v_or_b32_e32 v37, 0x400000, v14
	v_cmp_u_f32_e32 vcc_lo, v14, v14
	v_or_b32_e32 v52, 0x400000, v3
	v_add3_u32 v50, v50, v3, 0x7fff
	v_bfe_u32 v54, v4, 16, 1
	v_bfe_u32 v53, v16, 16, 1
	v_cndmask_b32_e32 v14, v51, v37, vcc_lo
	v_cmp_u_f32_e32 vcc_lo, v3, v3
	v_or_b32_e32 v51, 0x400000, v4
	v_and_b32_e32 v2, 0xffff0000, v2
	v_add3_u32 v37, v53, v16, 0x7fff
	v_add_f32_e32 v1, v1, v38
	v_cndmask_b32_e32 v3, v50, v52, vcc_lo
	v_add3_u32 v50, v54, v4, 0x7fff
	v_cmp_u_f32_e32 vcc_lo, v4, v4
	v_or_b32_e32 v52, 0x400000, v16
	v_add_f32_e32 v2, v2, v15
	v_and_b32_e32 v3, 0xffff0000, v3
	v_and_b32_e32 v14, 0xffff0000, v14
	v_cndmask_b32_e32 v4, v50, v51, vcc_lo
	v_cmp_u_f32_e32 vcc_lo, v16, v16
	v_add_f32_e32 v1, v2, v1
	v_add_f32_e32 v2, v3, v14
	v_and_b32_e32 v3, 0xffff0000, v4
	v_cndmask_b32_e32 v15, v37, v52, vcc_lo
	v_add_f32_e32 v1, v2, v1
	v_and_b32_e32 v4, 0xffff0000, v15
	v_add_f32_e32 v2, v3, v4
	v_add_f32_e32 v1, v2, v1
	;; [unrolled: 1-line block ×3, first 2 shown]
.LBB136_41:                             ;   in Loop: Header=BB136_43 Depth=1
	s_or_b32 exec_lo, exec_lo, s50
	v_bfe_u32 v1, v47, 16, 1
	v_or_b32_e32 v2, 0x400000, v47
	v_bfe_u32 v3, v46, 16, 1
	v_bfe_u32 v14, v45, 16, 1
	;; [unrolled: 1-line block ×3, first 2 shown]
	v_add3_u32 v1, v1, v47, 0x7fff
	v_bfe_u32 v16, v49, 16, 1
	v_or_b32_e32 v4, 0x400000, v46
	v_add3_u32 v3, v3, v46, 0x7fff
	v_add3_u32 v14, v14, v45, 0x7fff
	v_cndmask_b32_e64 v1, v1, v2, s25
	v_or_b32_e32 v2, 0x400000, v45
	v_add3_u32 v15, v15, v44, 0x7fff
	v_or_b32_e32 v37, 0x400000, v44
	v_add3_u32 v16, v16, v49, 0x7fff
	v_or_b32_e32 v38, 0x400000, v49
	v_bfe_u32 v44, v48, 16, 1
	v_cndmask_b32_e64 v3, v3, v4, s21
	v_cndmask_b32_e64 v2, v14, v2, s22
	;; [unrolled: 1-line block ×4, first 2 shown]
	v_add3_u32 v15, v44, v48, 0x7fff
	v_or_b32_e32 v16, 0x400000, v48
	v_bfe_u32 v37, v43, 16, 1
	v_and_b32_e32 v3, 0xffff0000, v3
	v_and_b32_e32 v1, 0xffff0000, v1
	;; [unrolled: 1-line block ×4, first 2 shown]
	v_cndmask_b32_e64 v15, v15, v16, s24
	v_add3_u32 v37, v37, v43, 0x7fff
	v_add_f32_e32 v1, v3, v1
	v_bfe_u32 v16, v41, 16, 1
	v_add_f32_e32 v2, v4, v2
	v_and_b32_e32 v3, 0xffff0000, v15
	v_and_b32_e32 v4, 0xffff0000, v14
	v_or_b32_e32 v14, 0x400000, v43
	v_add3_u32 v15, v16, v41, 0x7fff
	v_add_f32_e32 v1, v2, v1
	v_or_b32_e32 v16, 0x400000, v41
	v_add_f32_e32 v2, v3, v4
	v_cndmask_b32_e64 v3, v37, v14, s20
	v_bfe_u32 v4, v19, 16, 1
	v_or_b32_e32 v37, 0x400000, v40
	v_cndmask_b32_e64 v14, v15, v16, s18
	v_add_f32_e32 v1, v2, v1
	v_and_b32_e32 v2, 0xffff0000, v3
	v_add3_u32 v3, v4, v19, 0x7fff
	v_or_b32_e32 v4, 0x400000, v19
	v_bfe_u32 v15, v42, 16, 1
	v_bfe_u32 v19, v40, 16, 1
	v_or_b32_e32 v16, 0x400000, v42
	v_or_b32_e32 v38, 0x400000, v39
	v_cndmask_b32_e64 v3, v3, v4, s16
	v_bfe_u32 v4, v39, 16, 1
	v_add3_u32 v15, v15, v42, 0x7fff
	v_add3_u32 v19, v19, v40, 0x7fff
	v_and_b32_e32 v14, 0xffff0000, v14
	v_and_b32_e32 v3, 0xffff0000, v3
	v_add3_u32 v4, v4, v39, 0x7fff
	v_cndmask_b32_e64 v15, v15, v16, s19
	v_bfe_u32 v16, v20, 16, 1
	v_cndmask_b32_e64 v19, v19, v37, s17
	v_bfe_u32 v39, v17, 16, 1
	v_cndmask_b32_e64 v4, v4, v38, s14
	v_and_b32_e32 v15, 0xffff0000, v15
	v_add3_u32 v16, v16, v20, 0x7fff
	v_or_b32_e32 v20, 0x400000, v20
	v_and_b32_e32 v19, 0xffff0000, v19
	v_and_b32_e32 v4, 0xffff0000, v4
	v_bfe_u32 v37, v18, 16, 1
	v_add_f32_e32 v3, v15, v3
	v_cndmask_b32_e64 v16, v16, v20, s15
	v_add3_u32 v20, v39, v17, 0x7fff
	v_or_b32_e32 v17, 0x400000, v17
	v_add_f32_e32 v4, v4, v19
	v_add3_u32 v37, v37, v18, 0x7fff
	v_or_b32_e32 v18, 0x400000, v18
	v_and_b32_e32 v16, 0xffff0000, v16
	v_cndmask_b32_e64 v15, v20, v17, s11
	v_add_f32_e32 v3, v4, v3
	v_bfe_u32 v4, v11, 16, 1
	v_cndmask_b32_e64 v17, v37, v18, s12
	v_bfe_u32 v18, v12, 16, 1
	v_and_b32_e32 v15, 0xffff0000, v15
	v_bfe_u32 v19, v8, 16, 1
	v_add3_u32 v4, v4, v11, 0x7fff
	v_or_b32_e32 v11, 0x400000, v11
	v_add3_u32 v18, v18, v12, 0x7fff
	v_or_b32_e32 v12, 0x400000, v12
	v_add_f32_e32 v15, v15, v16
	v_bfe_u32 v16, v7, 16, 1
	v_cndmask_b32_e64 v4, v4, v11, s10
	v_bfe_u32 v11, v10, 16, 1
	v_cndmask_b32_e64 v12, v18, v12, s9
	v_bfe_u32 v18, v9, 16, 1
	v_add3_u32 v16, v16, v7, 0x7fff
	v_or_b32_e32 v7, 0x400000, v7
	v_add3_u32 v11, v11, v10, 0x7fff
	v_or_b32_e32 v10, 0x400000, v10
	v_bfe_u32 v38, v13, 16, 1
	v_add3_u32 v18, v18, v9, 0x7fff
	v_or_b32_e32 v9, 0x400000, v9
	v_add3_u32 v19, v19, v8, 0x7fff
	v_or_b32_e32 v8, 0x400000, v8
	v_bfe_u32 v20, v6, 16, 1
	v_cndmask_b32_e64 v7, v16, v7, s3
	v_cndmask_b32_e64 v10, v11, v10, s5
	v_bfe_u32 v16, v5, 16, 1
	v_add3_u32 v38, v38, v13, 0x7fff
	v_or_b32_e32 v13, 0x400000, v13
	v_cndmask_b32_e64 v9, v18, v9, s6
	v_cndmask_b32_e64 v8, v19, v8, s7
	v_add3_u32 v11, v20, v6, 0x7fff
	v_and_b32_e32 v4, 0xffff0000, v4
	v_and_b32_e32 v12, 0xffff0000, v12
	;; [unrolled: 1-line block ×4, first 2 shown]
	v_or_b32_e32 v6, 0x400000, v6
	v_add3_u32 v16, v16, v5, 0x7fff
	v_or_b32_e32 v5, 0x400000, v5
	v_cndmask_b32_e64 v13, v38, v13, s13
	v_add_f32_e32 v4, v4, v12
	v_add_f32_e32 v7, v10, v7
	v_and_b32_e32 v8, 0xffff0000, v8
	v_and_b32_e32 v9, 0xffff0000, v9
	v_cndmask_b32_e64 v5, v16, v5, s2
	v_cndmask_b32_e64 v6, v11, v6, s1
	v_and_b32_e32 v13, 0xffff0000, v13
	v_and_b32_e32 v10, 0xffff0000, v17
	v_add_f32_e32 v4, v7, v4
	v_add_f32_e32 v7, v8, v9
	v_and_b32_e32 v5, 0xffff0000, v5
	v_and_b32_e32 v6, 0xffff0000, v6
	v_add_f32_e32 v2, v2, v14
	v_add_f32_e32 v3, v15, v3
	v_add_f32_e32 v8, v13, v10
	v_add_f32_e32 v4, v7, v4
	v_add_f32_e32 v5, v5, v6
	v_add_f32_e32 v1, v2, v1
	v_add_f32_e32 v2, v8, v3
	v_add_f32_e32 v3, v5, v4
	v_add_f32_e32 v30, v30, v1
	v_add_f32_e32 v31, v31, v2
	v_add_f32_e32 v29, v29, v3
.LBB136_42:                             ;   in Loop: Header=BB136_43 Depth=1
	s_or_b32 exec_lo, exec_lo, s49
	v_add_nc_u32_e32 v21, 4, v21
	v_add_co_u32 v22, s1, v22, 16
	v_add_co_ci_u32_e64 v23, null, 0, v23, s1
	v_cmp_le_i32_e32 vcc_lo, s42, v21
	v_add_nc_u32_e32 v25, 32, v25
	v_add_nc_u32_e32 v33, 0x80, v33
	s_or_b32 s47, vcc_lo, s47
	s_andn2_b32 exec_lo, exec_lo, s47
	s_cbranch_execz .LBB136_53
.LBB136_43:                             ; =>This Inner Loop Header: Depth=1
	v_sub_nc_u32_e32 v1, 0, v25
	v_max_i32_e32 v1, v25, v1
	v_mul_hi_u32 v2, v1, s39
	v_mul_lo_u32 v3, v2, s38
	v_sub_nc_u32_e32 v1, v1, v3
	v_add_nc_u32_e32 v3, 1, v2
	v_subrev_nc_u32_e32 v4, s38, v1
	v_cmp_le_u32_e32 vcc_lo, s38, v1
	v_cndmask_b32_e32 v2, v2, v3, vcc_lo
	v_cndmask_b32_e32 v1, v1, v4, vcc_lo
	v_ashrrev_i32_e32 v3, 31, v25
	v_add_nc_u32_e32 v4, 1, v2
	v_cmp_le_u32_e32 vcc_lo, s38, v1
	v_xor_b32_e32 v3, s41, v3
	v_cndmask_b32_e32 v1, v2, v4, vcc_lo
	v_xor_b32_e32 v1, v1, v3
	v_sub_nc_u32_e32 v1, v1, v3
	v_add_nc_u32_e32 v2, s40, v1
	v_cmp_lt_i32_e64 s1, s43, v1
	v_sub_nc_u32_e32 v3, 0, v2
	v_max_i32_e32 v3, v2, v3
	v_ashrrev_i32_e32 v2, 31, v2
	v_mul_hi_u32 v4, v3, v36
	v_mul_lo_u32 v4, v4, s44
	v_sub_nc_u32_e32 v3, v3, v4
	v_subrev_nc_u32_e32 v4, s44, v3
	v_cmp_le_u32_e32 vcc_lo, s44, v3
	v_cndmask_b32_e32 v3, v3, v4, vcc_lo
	v_subrev_nc_u32_e32 v4, s44, v3
	v_cmp_le_u32_e32 vcc_lo, s44, v3
	v_cndmask_b32_e32 v3, v3, v4, vcc_lo
	v_xor_b32_e32 v3, v3, v2
	v_sub_nc_u32_e32 v2, v3, v2
	v_cmp_eq_u32_e32 vcc_lo, 0, v2
	s_or_b32 s1, vcc_lo, s1
	s_and_saveexec_b32 s49, s1
	s_cbranch_execz .LBB136_42
; %bb.44:                               ;   in Loop: Header=BB136_43 Depth=1
	global_load_dword v1, v[22:23], off
	v_cmp_eq_u32_e64 s4, s45, v21
	s_waitcnt vmcnt(0)
	v_mad_i64_i32 v[1:2], null, v1, s46, 0
	v_lshlrev_b64 v[1:2], 1, v[1:2]
	v_add_co_u32 v37, vcc_lo, s36, v1
	v_add_co_ci_u32_e64 v38, null, s37, v2, vcc_lo
	v_add_co_u32 v13, vcc_lo, v37, v34
	v_add_co_ci_u32_e64 v14, null, 0, v38, vcc_lo
	global_load_dwordx4 v[1:4], v[13:14], off
	ds_read2_b64 v[9:12], v33 offset1:1
	ds_read2_b64 v[5:8], v33 offset0:2 offset1:3
	s_and_saveexec_b32 s3, s4
	s_cbranch_execnz .LBB136_51
; %bb.45:                               ;   in Loop: Header=BB136_43 Depth=1
	s_or_b32 exec_lo, exec_lo, s3
	global_load_dwordx4 v[17:20], v[13:14], off offset:512
	s_and_saveexec_b32 s3, s4
	s_cbranch_execnz .LBB136_52
.LBB136_46:                             ;   in Loop: Header=BB136_43 Depth=1
	s_or_b32 exec_lo, exec_lo, s3
	global_load_dwordx4 v[13:16], v[13:14], off offset:1024
	s_and_saveexec_b32 s3, s4
	s_cbranch_execz .LBB136_48
.LBB136_47:                             ;   in Loop: Header=BB136_43 Depth=1
	v_add_nc_u32_e32 v39, 1, v25
	v_or_b32_e32 v40, 3, v25
	v_cmp_gt_i32_e32 vcc_lo, s33, v25
	v_or_b32_e32 v41, 2, v25
	v_or_b32_e32 v43, 7, v25
	v_cmp_gt_i32_e64 s1, s48, v40
	s_waitcnt vmcnt(0)
	v_cndmask_b32_e32 v42, 0, v13, vcc_lo
	v_cmp_gt_i32_e32 vcc_lo, s48, v39
	v_cmp_gt_i32_e64 s2, s33, v41
	v_or_b32_e32 v40, 5, v25
	v_or_b32_e32 v41, 4, v25
	v_cndmask_b32_sdwa v13, v32, v13, vcc_lo dst_sel:DWORD dst_unused:UNUSED_PAD src0_sel:DWORD src1_sel:WORD_1
	s_mov_b32 vcc_lo, s1
	v_cndmask_b32_e64 v39, 0, v14, s2
	v_cndmask_b32_sdwa v14, v32, v14, vcc_lo dst_sel:DWORD dst_unused:UNUSED_PAD src0_sel:DWORD src1_sel:WORD_1
	v_cmp_gt_i32_e32 vcc_lo, s48, v40
	v_cmp_gt_i32_e64 s1, s33, v41
	v_or_b32_e32 v41, 6, v25
	v_perm_b32 v13, v13, v42, 0x5040100
	v_perm_b32 v14, v14, v39, 0x5040100
	v_cndmask_b32_e64 v40, 0, v15, s1
	v_cmp_gt_i32_e64 s1, s48, v43
	v_cndmask_b32_sdwa v15, v32, v15, vcc_lo dst_sel:DWORD dst_unused:UNUSED_PAD src0_sel:DWORD src1_sel:WORD_1
	v_cmp_gt_i32_e32 vcc_lo, s33, v41
	v_perm_b32 v15, v15, v40, 0x5040100
	v_cndmask_b32_e32 v41, 0, v16, vcc_lo
	s_mov_b32 vcc_lo, s1
	v_cndmask_b32_sdwa v16, v32, v16, vcc_lo dst_sel:DWORD dst_unused:UNUSED_PAD src0_sel:DWORD src1_sel:WORD_1
	v_perm_b32 v16, v16, v41, 0x5040100
.LBB136_48:                             ;   in Loop: Header=BB136_43 Depth=1
	s_or_b32 exec_lo, exec_lo, s3
	s_waitcnt lgkmcnt(1)
	v_bfe_u32 v39, v9, 16, 1
	v_or_b32_e32 v40, 0x400000, v9
	v_bfe_u32 v41, v10, 16, 1
	v_cmp_u_f32_e32 vcc_lo, v9, v9
	v_bfe_u32 v42, v11, 16, 1
	v_add3_u32 v39, v39, v9, 0x7fff
	v_or_b32_e32 v43, 0x400000, v10
	v_add3_u32 v41, v41, v10, 0x7fff
	v_or_b32_e32 v44, 0x400000, v11
	v_add3_u32 v42, v42, v11, 0x7fff
	v_cndmask_b32_e32 v50, v39, v40, vcc_lo
	v_cmp_u_f32_e32 vcc_lo, v10, v10
	v_bfe_u32 v9, v12, 16, 1
	s_waitcnt lgkmcnt(0)
	v_bfe_u32 v10, v5, 16, 1
	v_or_b32_e32 v39, 0x400000, v5
	v_bfe_u32 v40, v6, 16, 1
	v_cndmask_b32_e32 v51, v41, v43, vcc_lo
	v_cmp_u_f32_e32 vcc_lo, v11, v11
	v_add3_u32 v9, v9, v12, 0x7fff
	v_or_b32_e32 v11, 0x400000, v12
	v_add3_u32 v10, v10, v5, 0x7fff
	v_cndmask_b32_e32 v52, v42, v44, vcc_lo
	v_cmp_u_f32_e32 vcc_lo, v12, v12
	v_bfe_u32 v12, v8, 16, 1
	v_and_b32_e32 v59, 0xffff0000, v52
	v_cndmask_b32_e32 v53, v9, v11, vcc_lo
	v_cmp_u_f32_e32 vcc_lo, v5, v5
	v_bfe_u32 v9, v7, 16, 1
	v_add3_u32 v5, v40, v6, 0x7fff
	v_or_b32_e32 v11, 0x400000, v7
	v_and_b32_e32 v58, 0xffff0000, v53
	v_cndmask_b32_e32 v54, v10, v39, vcc_lo
	v_or_b32_e32 v10, 0x400000, v6
	v_cmp_u_f32_e32 vcc_lo, v6, v6
	v_add3_u32 v9, v9, v7, 0x7fff
	v_and_b32_e32 v6, 0xffff0000, v51
	v_cndmask_b32_e32 v55, v5, v10, vcc_lo
	v_cmp_u_f32_e32 vcc_lo, v7, v7
	v_add3_u32 v5, v12, v8, 0x7fff
	s_waitcnt vmcnt(1)
	v_and_b32_e32 v7, 0xffff0000, v17
	v_lshlrev_b32_e32 v10, 16, v17
	v_or_b32_e32 v17, 0x400000, v8
	v_cndmask_b32_e32 v56, v9, v11, vcc_lo
	v_and_b32_e32 v9, 0xffff0000, v50
	v_cmp_u_f32_e32 vcc_lo, v8, v8
	v_mul_f32_e32 v47, v6, v7
	v_and_b32_e32 v7, 0xffff0000, v19
	v_and_b32_e32 v8, 0xffff0000, v54
	v_mul_f32_e32 v46, v9, v10
	v_cndmask_b32_e32 v57, v5, v17, vcc_lo
	v_and_b32_e32 v5, 0xffff0000, v55
	v_lshlrev_b32_e32 v10, 16, v19
	v_and_b32_e32 v11, 0xffff0000, v18
	v_lshlrev_b32_e32 v12, 16, v18
	v_and_b32_e32 v17, 0xffff0000, v1
	v_mul_f32_e32 v49, v5, v7
	v_mul_f32_e32 v48, v8, v10
	v_lshlrev_b32_e32 v1, 16, v1
	v_and_b32_e32 v7, 0xffff0000, v2
	v_lshlrev_b32_e32 v2, 16, v2
	v_and_b32_e32 v10, 0xffff0000, v3
	v_lshlrev_b32_e32 v3, 16, v3
	v_mul_f32_e32 v45, v58, v11
	v_mul_f32_e32 v44, v59, v12
	v_and_b32_e32 v60, 0xffff0000, v57
	v_and_b32_e32 v11, 0xffff0000, v20
	;; [unrolled: 1-line block ×3, first 2 shown]
	v_lshlrev_b32_e32 v12, 16, v20
	v_mul_f32_e32 v19, v6, v17
	v_mul_f32_e32 v42, v9, v1
	;; [unrolled: 1-line block ×4, first 2 shown]
	v_and_b32_e32 v1, 0xffff0000, v4
	v_lshlrev_b32_e32 v2, 16, v4
	s_waitcnt vmcnt(0)
	v_and_b32_e32 v3, 0xffff0000, v13
	v_lshlrev_b32_e32 v4, 16, v13
	v_mul_f32_e32 v41, v60, v11
	v_mul_f32_e32 v43, v61, v12
	;; [unrolled: 1-line block ×3, first 2 shown]
	v_and_b32_e32 v7, 0xffff0000, v14
	v_mul_f32_e32 v18, v60, v1
	v_mul_f32_e32 v13, v61, v2
	;; [unrolled: 1-line block ×4, first 2 shown]
	v_lshlrev_b32_e32 v1, 16, v14
	v_and_b32_e32 v2, 0xffff0000, v15
	v_lshlrev_b32_e32 v3, 16, v15
	v_and_b32_e32 v4, 0xffff0000, v16
	v_lshlrev_b32_e32 v14, 16, v16
	v_mul_f32_e32 v20, v5, v10
	v_mul_f32_e32 v7, v58, v7
	;; [unrolled: 1-line block ×7, first 2 shown]
	v_cmp_u_f32_e64 s25, v47, v47
	v_cmp_u_f32_e64 s21, v46, v46
	;; [unrolled: 1-line block ×24, first 2 shown]
	s_and_saveexec_b32 s50, s0
	s_cbranch_execz .LBB136_41
; %bb.49:                               ;   in Loop: Header=BB136_43 Depth=1
	v_add_co_u32 v1, vcc_lo, v37, v35
	v_add_co_ci_u32_e64 v2, null, 0, v38, vcc_lo
	global_load_dwordx4 v[1:4], v[1:2], off
	s_and_saveexec_b32 s51, s4
	s_cbranch_execz .LBB136_40
; %bb.50:                               ;   in Loop: Header=BB136_43 Depth=1
	v_add_nc_u32_e32 v14, 1, v25
	v_or_b32_e32 v15, 3, v25
	v_cmp_gt_i32_e32 vcc_lo, s33, v25
	v_or_b32_e32 v16, 2, v25
	v_or_b32_e32 v38, 7, v25
	v_cmp_gt_i32_e64 s4, s48, v15
	s_waitcnt vmcnt(0)
	v_cndmask_b32_e32 v37, 0, v1, vcc_lo
	v_cmp_gt_i32_e32 vcc_lo, s48, v14
	v_cmp_gt_i32_e64 s27, s33, v16
	v_or_b32_e32 v15, 5, v25
	v_or_b32_e32 v16, 4, v25
	v_cndmask_b32_sdwa v1, v32, v1, vcc_lo dst_sel:DWORD dst_unused:UNUSED_PAD src0_sel:DWORD src1_sel:WORD_1
	s_mov_b32 vcc_lo, s4
	v_cndmask_b32_e64 v14, 0, v2, s27
	v_cndmask_b32_sdwa v2, v32, v2, vcc_lo dst_sel:DWORD dst_unused:UNUSED_PAD src0_sel:DWORD src1_sel:WORD_1
	v_cmp_gt_i32_e32 vcc_lo, s48, v15
	v_cmp_gt_i32_e64 s4, s33, v16
	v_or_b32_e32 v16, 6, v25
	v_perm_b32 v1, v1, v37, 0x5040100
	v_perm_b32 v2, v2, v14, 0x5040100
	v_cndmask_b32_e64 v15, 0, v3, s4
	v_cmp_gt_i32_e64 s4, s48, v38
	v_cndmask_b32_sdwa v3, v32, v3, vcc_lo dst_sel:DWORD dst_unused:UNUSED_PAD src0_sel:DWORD src1_sel:WORD_1
	v_cmp_gt_i32_e32 vcc_lo, s33, v16
	v_perm_b32 v3, v3, v15, 0x5040100
	v_cndmask_b32_e32 v16, 0, v4, vcc_lo
	s_mov_b32 vcc_lo, s4
	v_cndmask_b32_sdwa v4, v32, v4, vcc_lo dst_sel:DWORD dst_unused:UNUSED_PAD src0_sel:DWORD src1_sel:WORD_1
	v_perm_b32 v4, v4, v16, 0x5040100
	s_branch .LBB136_40
.LBB136_51:                             ;   in Loop: Header=BB136_43 Depth=1
	v_add_nc_u32_e32 v15, 1, v25
	v_or_b32_e32 v16, 3, v25
	v_cmp_gt_i32_e32 vcc_lo, s33, v25
	v_or_b32_e32 v17, 2, v25
	v_or_b32_e32 v19, 7, v25
	v_cmp_gt_i32_e64 s1, s48, v16
	s_waitcnt vmcnt(0)
	v_cndmask_b32_e32 v18, 0, v1, vcc_lo
	v_cmp_gt_i32_e32 vcc_lo, s48, v15
	v_cmp_gt_i32_e64 s2, s33, v17
	v_or_b32_e32 v16, 5, v25
	v_or_b32_e32 v17, 4, v25
	v_cndmask_b32_sdwa v1, v32, v1, vcc_lo dst_sel:DWORD dst_unused:UNUSED_PAD src0_sel:DWORD src1_sel:WORD_1
	s_mov_b32 vcc_lo, s1
	v_cndmask_b32_e64 v15, 0, v2, s2
	v_cndmask_b32_sdwa v2, v32, v2, vcc_lo dst_sel:DWORD dst_unused:UNUSED_PAD src0_sel:DWORD src1_sel:WORD_1
	v_cmp_gt_i32_e32 vcc_lo, s48, v16
	v_cmp_gt_i32_e64 s1, s33, v17
	v_or_b32_e32 v17, 6, v25
	v_perm_b32 v1, v1, v18, 0x5040100
	v_perm_b32 v2, v2, v15, 0x5040100
	v_cndmask_b32_e64 v16, 0, v3, s1
	v_cmp_gt_i32_e64 s1, s48, v19
	v_cndmask_b32_sdwa v3, v32, v3, vcc_lo dst_sel:DWORD dst_unused:UNUSED_PAD src0_sel:DWORD src1_sel:WORD_1
	v_cmp_gt_i32_e32 vcc_lo, s33, v17
	v_perm_b32 v3, v3, v16, 0x5040100
	v_cndmask_b32_e32 v17, 0, v4, vcc_lo
	s_mov_b32 vcc_lo, s1
	v_cndmask_b32_sdwa v4, v32, v4, vcc_lo dst_sel:DWORD dst_unused:UNUSED_PAD src0_sel:DWORD src1_sel:WORD_1
	v_perm_b32 v4, v4, v17, 0x5040100
	s_or_b32 exec_lo, exec_lo, s3
	global_load_dwordx4 v[17:20], v[13:14], off offset:512
	s_and_saveexec_b32 s3, s4
	s_cbranch_execz .LBB136_46
.LBB136_52:                             ;   in Loop: Header=BB136_43 Depth=1
	v_add_nc_u32_e32 v15, 1, v25
	v_or_b32_e32 v16, 3, v25
	v_cmp_gt_i32_e32 vcc_lo, s33, v25
	v_or_b32_e32 v39, 2, v25
	v_or_b32_e32 v41, 7, v25
	v_cmp_gt_i32_e64 s1, s48, v16
	s_waitcnt vmcnt(0)
	v_cndmask_b32_e32 v40, 0, v17, vcc_lo
	v_cmp_gt_i32_e32 vcc_lo, s48, v15
	v_cmp_gt_i32_e64 s2, s33, v39
	v_or_b32_e32 v16, 5, v25
	v_or_b32_e32 v39, 4, v25
	v_cndmask_b32_sdwa v17, v32, v17, vcc_lo dst_sel:DWORD dst_unused:UNUSED_PAD src0_sel:DWORD src1_sel:WORD_1
	s_mov_b32 vcc_lo, s1
	v_cndmask_b32_e64 v15, 0, v18, s2
	v_cndmask_b32_sdwa v18, v32, v18, vcc_lo dst_sel:DWORD dst_unused:UNUSED_PAD src0_sel:DWORD src1_sel:WORD_1
	v_cmp_gt_i32_e32 vcc_lo, s48, v16
	v_cmp_gt_i32_e64 s1, s33, v39
	v_or_b32_e32 v39, 6, v25
	v_perm_b32 v17, v17, v40, 0x5040100
	v_perm_b32 v18, v18, v15, 0x5040100
	v_cndmask_b32_e64 v16, 0, v19, s1
	v_cmp_gt_i32_e64 s1, s48, v41
	v_cndmask_b32_sdwa v19, v32, v19, vcc_lo dst_sel:DWORD dst_unused:UNUSED_PAD src0_sel:DWORD src1_sel:WORD_1
	v_cmp_gt_i32_e32 vcc_lo, s33, v39
	v_perm_b32 v19, v19, v16, 0x5040100
	v_cndmask_b32_e32 v39, 0, v20, vcc_lo
	s_mov_b32 vcc_lo, s1
	v_cndmask_b32_sdwa v20, v32, v20, vcc_lo dst_sel:DWORD dst_unused:UNUSED_PAD src0_sel:DWORD src1_sel:WORD_1
	v_perm_b32 v20, v20, v39, 0x5040100
	s_or_b32 exec_lo, exec_lo, s3
	global_load_dwordx4 v[13:16], v[13:14], off offset:1024
	s_and_saveexec_b32 s3, s4
	s_cbranch_execnz .LBB136_47
	s_branch .LBB136_48
.LBB136_53:
	s_or_b32 exec_lo, exec_lo, s47
.LBB136_54:
	s_or_b32 exec_lo, exec_lo, s35
	s_movk_i32 s0, 0x1e0
	v_and_b32_e32 v1, 0x3c0, v0
	v_mad_u32_u24 v4, v24, s0, 0x110
	v_or_b32_e32 v3, 0x60, v0
	s_mov_b32 s0, exec_lo
	s_waitcnt_vscnt null, 0x0
	s_barrier
	buffer_gl0_inv
	v_cmpx_eq_u32_e32 64, v1
	s_cbranch_execz .LBB136_57
; %bb.55:
	v_add_nc_u32_e32 v1, 0xfffffc40, v4
	v_cmp_gt_u32_e32 vcc_lo, 0x78, v3
	v_lshl_add_u32 v2, v26, 2, v1
	ds_write2_b32 v2, v31, v30 offset1:32
	ds_write_b32 v2, v29 offset:256
	s_and_b32 exec_lo, exec_lo, vcc_lo
; %bb.56:
	v_lshl_add_u32 v1, v3, 2, v1
	ds_write_b32 v1, v28
.LBB136_57:
	s_or_b32 exec_lo, exec_lo, s0
	v_lshl_add_u32 v5, v26, 2, v4
	s_mov_b32 s0, exec_lo
	s_waitcnt lgkmcnt(0)
	s_barrier
	buffer_gl0_inv
	v_cmpx_gt_u32_e32 64, v0
	s_cbranch_execz .LBB136_61
; %bb.58:
	v_lshl_or_b32 v1, v0, 2, 0x80
	s_mov_b32 s1, exec_lo
	v_add_nc_u32_e32 v6, v4, v1
	ds_read2st64_b32 v[1:2], v5 offset1:1
	ds_read_b32 v6, v6
	v_cmpx_gt_u32_e32 0x78, v3
	s_cbranch_execz .LBB136_60
; %bb.59:
	v_lshl_add_u32 v7, v3, 2, v4
	ds_read_b32 v7, v7
	s_waitcnt lgkmcnt(0)
	v_add_f32_e32 v28, v28, v7
.LBB136_60:
	s_or_b32 exec_lo, exec_lo, s1
	s_waitcnt lgkmcnt(1)
	v_add_f32_e32 v31, v31, v1
	s_waitcnt lgkmcnt(0)
	v_add_f32_e32 v30, v30, v6
	v_add_f32_e32 v29, v29, v2
.LBB136_61:
	s_or_b32 exec_lo, exec_lo, s0
	v_and_b32_e32 v1, 0x3e0, v0
	s_mov_b32 s0, exec_lo
	s_barrier
	buffer_gl0_inv
	v_cmpx_eq_u32_e32 32, v1
	s_cbranch_execz .LBB136_64
; %bb.62:
	v_lshl_add_u32 v1, v26, 2, 0x110
	v_cmp_gt_u32_e32 vcc_lo, 0x78, v3
	ds_write_b32 v1, v31
	ds_write_b32 v27, v30
	ds_write_b32 v1, v29 offset:256
	s_and_b32 exec_lo, exec_lo, vcc_lo
; %bb.63:
	v_lshl_add_u32 v1, v3, 2, 0x110
	ds_write_b32 v1, v28
.LBB136_64:
	s_or_b32 exec_lo, exec_lo, s0
	v_cmp_gt_u32_e32 vcc_lo, 32, v0
	s_waitcnt lgkmcnt(0)
	s_barrier
	buffer_gl0_inv
	s_and_saveexec_b32 s1, vcc_lo
	s_cbranch_execz .LBB136_68
; %bb.65:
	v_lshl_add_u32 v6, v0, 2, v4
	s_mov_b32 s2, exec_lo
	ds_read_b32 v4, v5
	ds_read2_b32 v[1:2], v6 offset0:32 offset1:64
	v_cmpx_gt_u32_e32 0x78, v3
	s_cbranch_execz .LBB136_67
; %bb.66:
	ds_read_b32 v5, v6 offset:384
	s_waitcnt lgkmcnt(0)
	v_add_f32_e32 v28, v28, v5
.LBB136_67:
	s_or_b32 exec_lo, exec_lo, s2
	s_waitcnt lgkmcnt(1)
	v_add_f32_e32 v31, v31, v4
	s_waitcnt lgkmcnt(0)
	v_add_f32_e32 v30, v30, v1
	v_add_f32_e32 v29, v29, v2
.LBB136_68:
	s_or_b32 exec_lo, exec_lo, s1
	s_barrier
	buffer_gl0_inv
	s_and_saveexec_b32 s0, vcc_lo
	s_cbranch_execz .LBB136_71
; %bb.69:
	v_bfe_u32 v1, v31, 16, 1
	v_bfe_u32 v2, v30, 16, 1
	v_or_b32_e32 v5, 0x400000, v31
	v_cmp_u_f32_e32 vcc_lo, v31, v31
	s_mul_i32 s0, s34, 0x78
	v_add3_u32 v1, v1, v31, 0x7fff
	s_ashr_i32 s1, s0, 31
	v_bfe_u32 v4, v29, 16, 1
	s_lshl_b64 s[0:1], s[0:1], 1
	v_add3_u32 v2, v2, v30, 0x7fff
	v_or_b32_e32 v6, 0x400000, v30
	v_cndmask_b32_e32 v1, v1, v5, vcc_lo
	v_cmp_u_f32_e32 vcc_lo, v30, v30
	s_mul_i32 s2, s29, s28
	s_add_u32 s4, s30, s0
	s_addc_u32 s1, s31, s1
	s_ashr_i32 s3, s2, 31
	v_add3_u32 v4, v4, v29, 0x7fff
	s_lshl_b64 s[2:3], s[2:3], 1
	v_or_b32_e32 v7, 0x400000, v29
	v_cndmask_b32_e32 v2, v2, v6, vcc_lo
	v_cmp_u_f32_e32 vcc_lo, v29, v29
	s_mul_i32 s0, s8, 0x78
	s_add_u32 s2, s4, s2
	s_addc_u32 s3, s1, s3
	s_ashr_i32 s1, s0, 31
	v_lshlrev_b32_e32 v0, 1, v0
	s_lshl_b64 s[0:1], s[0:1], 1
	v_cndmask_b32_e32 v4, v4, v7, vcc_lo
	v_cmp_gt_u32_e32 vcc_lo, 0x78, v3
	s_add_u32 s0, s2, s0
	s_addc_u32 s1, s3, s1
	global_store_short_d16_hi v0, v1, s[0:1]
	global_store_short_d16_hi v0, v2, s[0:1] offset:64
	global_store_short_d16_hi v0, v4, s[0:1] offset:128
	s_and_b32 exec_lo, exec_lo, vcc_lo
	s_cbranch_execz .LBB136_71
; %bb.70:
	v_bfe_u32 v1, v28, 16, 1
	v_or_b32_e32 v2, 0x400000, v28
	v_cmp_u_f32_e32 vcc_lo, v28, v28
	v_add_co_u32 v0, s0, s0, v0
	v_add3_u32 v3, v1, v28, 0x7fff
	v_add_co_ci_u32_e64 v1, null, s1, 0, s0
	v_cndmask_b32_e32 v2, v3, v2, vcc_lo
	global_store_short_d16_hi v[0:1], v2, off offset:192
.LBB136_71:
	s_endpgm
	.section	.rodata,"a",@progbits
	.p2align	6, 0x0
	.amdhsa_kernel _ZN4vllm25paged_attention_v2_kernelI14__hip_bfloat16S1_Li120ELi8ELi128ELNS_18Fp8KVCacheDataTypeE0ELb1ELi512EEEvPfS3_PT_PKS4_PKT0_SA_ifPKiSC_iPKfiiiSE_SE_iiiii
		.amdhsa_group_segment_fixed_size 272
		.amdhsa_private_segment_fixed_size 0
		.amdhsa_kernarg_size 400
		.amdhsa_user_sgpr_count 6
		.amdhsa_user_sgpr_private_segment_buffer 1
		.amdhsa_user_sgpr_dispatch_ptr 0
		.amdhsa_user_sgpr_queue_ptr 0
		.amdhsa_user_sgpr_kernarg_segment_ptr 1
		.amdhsa_user_sgpr_dispatch_id 0
		.amdhsa_user_sgpr_flat_scratch_init 0
		.amdhsa_user_sgpr_private_segment_size 0
		.amdhsa_wavefront_size32 1
		.amdhsa_uses_dynamic_stack 0
		.amdhsa_system_sgpr_private_segment_wavefront_offset 0
		.amdhsa_system_sgpr_workgroup_id_x 1
		.amdhsa_system_sgpr_workgroup_id_y 1
		.amdhsa_system_sgpr_workgroup_id_z 1
		.amdhsa_system_sgpr_workgroup_info 0
		.amdhsa_system_vgpr_workitem_id 0
		.amdhsa_next_free_vgpr 68
		.amdhsa_next_free_sgpr 52
		.amdhsa_reserve_vcc 1
		.amdhsa_reserve_flat_scratch 0
		.amdhsa_float_round_mode_32 0
		.amdhsa_float_round_mode_16_64 0
		.amdhsa_float_denorm_mode_32 3
		.amdhsa_float_denorm_mode_16_64 3
		.amdhsa_dx10_clamp 1
		.amdhsa_ieee_mode 1
		.amdhsa_fp16_overflow 0
		.amdhsa_workgroup_processor_mode 1
		.amdhsa_memory_ordered 1
		.amdhsa_forward_progress 1
		.amdhsa_shared_vgpr_count 0
		.amdhsa_exception_fp_ieee_invalid_op 0
		.amdhsa_exception_fp_denorm_src 0
		.amdhsa_exception_fp_ieee_div_zero 0
		.amdhsa_exception_fp_ieee_overflow 0
		.amdhsa_exception_fp_ieee_underflow 0
		.amdhsa_exception_fp_ieee_inexact 0
		.amdhsa_exception_int_div_zero 0
	.end_amdhsa_kernel
	.section	.text._ZN4vllm25paged_attention_v2_kernelI14__hip_bfloat16S1_Li120ELi8ELi128ELNS_18Fp8KVCacheDataTypeE0ELb1ELi512EEEvPfS3_PT_PKS4_PKT0_SA_ifPKiSC_iPKfiiiSE_SE_iiiii,"axG",@progbits,_ZN4vllm25paged_attention_v2_kernelI14__hip_bfloat16S1_Li120ELi8ELi128ELNS_18Fp8KVCacheDataTypeE0ELb1ELi512EEEvPfS3_PT_PKS4_PKT0_SA_ifPKiSC_iPKfiiiSE_SE_iiiii,comdat
.Lfunc_end136:
	.size	_ZN4vllm25paged_attention_v2_kernelI14__hip_bfloat16S1_Li120ELi8ELi128ELNS_18Fp8KVCacheDataTypeE0ELb1ELi512EEEvPfS3_PT_PKS4_PKT0_SA_ifPKiSC_iPKfiiiSE_SE_iiiii, .Lfunc_end136-_ZN4vllm25paged_attention_v2_kernelI14__hip_bfloat16S1_Li120ELi8ELi128ELNS_18Fp8KVCacheDataTypeE0ELb1ELi512EEEvPfS3_PT_PKS4_PKT0_SA_ifPKiSC_iPKfiiiSE_SE_iiiii
                                        ; -- End function
	.set _ZN4vllm25paged_attention_v2_kernelI14__hip_bfloat16S1_Li120ELi8ELi128ELNS_18Fp8KVCacheDataTypeE0ELb1ELi512EEEvPfS3_PT_PKS4_PKT0_SA_ifPKiSC_iPKfiiiSE_SE_iiiii.num_vgpr, 68
	.set _ZN4vllm25paged_attention_v2_kernelI14__hip_bfloat16S1_Li120ELi8ELi128ELNS_18Fp8KVCacheDataTypeE0ELb1ELi512EEEvPfS3_PT_PKS4_PKT0_SA_ifPKiSC_iPKfiiiSE_SE_iiiii.num_agpr, 0
	.set _ZN4vllm25paged_attention_v2_kernelI14__hip_bfloat16S1_Li120ELi8ELi128ELNS_18Fp8KVCacheDataTypeE0ELb1ELi512EEEvPfS3_PT_PKS4_PKT0_SA_ifPKiSC_iPKfiiiSE_SE_iiiii.numbered_sgpr, 52
	.set _ZN4vllm25paged_attention_v2_kernelI14__hip_bfloat16S1_Li120ELi8ELi128ELNS_18Fp8KVCacheDataTypeE0ELb1ELi512EEEvPfS3_PT_PKS4_PKT0_SA_ifPKiSC_iPKfiiiSE_SE_iiiii.num_named_barrier, 0
	.set _ZN4vllm25paged_attention_v2_kernelI14__hip_bfloat16S1_Li120ELi8ELi128ELNS_18Fp8KVCacheDataTypeE0ELb1ELi512EEEvPfS3_PT_PKS4_PKT0_SA_ifPKiSC_iPKfiiiSE_SE_iiiii.private_seg_size, 0
	.set _ZN4vllm25paged_attention_v2_kernelI14__hip_bfloat16S1_Li120ELi8ELi128ELNS_18Fp8KVCacheDataTypeE0ELb1ELi512EEEvPfS3_PT_PKS4_PKT0_SA_ifPKiSC_iPKfiiiSE_SE_iiiii.uses_vcc, 1
	.set _ZN4vllm25paged_attention_v2_kernelI14__hip_bfloat16S1_Li120ELi8ELi128ELNS_18Fp8KVCacheDataTypeE0ELb1ELi512EEEvPfS3_PT_PKS4_PKT0_SA_ifPKiSC_iPKfiiiSE_SE_iiiii.uses_flat_scratch, 0
	.set _ZN4vllm25paged_attention_v2_kernelI14__hip_bfloat16S1_Li120ELi8ELi128ELNS_18Fp8KVCacheDataTypeE0ELb1ELi512EEEvPfS3_PT_PKS4_PKT0_SA_ifPKiSC_iPKfiiiSE_SE_iiiii.has_dyn_sized_stack, 0
	.set _ZN4vllm25paged_attention_v2_kernelI14__hip_bfloat16S1_Li120ELi8ELi128ELNS_18Fp8KVCacheDataTypeE0ELb1ELi512EEEvPfS3_PT_PKS4_PKT0_SA_ifPKiSC_iPKfiiiSE_SE_iiiii.has_recursion, 0
	.set _ZN4vllm25paged_attention_v2_kernelI14__hip_bfloat16S1_Li120ELi8ELi128ELNS_18Fp8KVCacheDataTypeE0ELb1ELi512EEEvPfS3_PT_PKS4_PKT0_SA_ifPKiSC_iPKfiiiSE_SE_iiiii.has_indirect_call, 0
	.section	.AMDGPU.csdata,"",@progbits
; Kernel info:
; codeLenInByte = 8060
; TotalNumSgprs: 54
; NumVgprs: 68
; ScratchSize: 0
; MemoryBound: 0
; FloatMode: 240
; IeeeMode: 1
; LDSByteSize: 272 bytes/workgroup (compile time only)
; SGPRBlocks: 0
; VGPRBlocks: 8
; NumSGPRsForWavesPerEU: 54
; NumVGPRsForWavesPerEU: 68
; Occupancy: 12
; WaveLimiterHint : 1
; COMPUTE_PGM_RSRC2:SCRATCH_EN: 0
; COMPUTE_PGM_RSRC2:USER_SGPR: 6
; COMPUTE_PGM_RSRC2:TRAP_HANDLER: 0
; COMPUTE_PGM_RSRC2:TGID_X_EN: 1
; COMPUTE_PGM_RSRC2:TGID_Y_EN: 1
; COMPUTE_PGM_RSRC2:TGID_Z_EN: 1
; COMPUTE_PGM_RSRC2:TIDIG_COMP_CNT: 0
	.section	.text._ZN4vllm32paged_attention_v2_reduce_kernelI14__hip_bfloat16Li120ELi128ELi512EEEvPT_PKfS5_PKS2_PKii,"axG",@progbits,_ZN4vllm32paged_attention_v2_reduce_kernelI14__hip_bfloat16Li120ELi128ELi512EEEvPT_PKfS5_PKS2_PKii,comdat
	.protected	_ZN4vllm32paged_attention_v2_reduce_kernelI14__hip_bfloat16Li120ELi128ELi512EEEvPT_PKfS5_PKS2_PKii ; -- Begin function _ZN4vllm32paged_attention_v2_reduce_kernelI14__hip_bfloat16Li120ELi128ELi512EEEvPT_PKfS5_PKS2_PKii
	.globl	_ZN4vllm32paged_attention_v2_reduce_kernelI14__hip_bfloat16Li120ELi128ELi512EEEvPT_PKfS5_PKS2_PKii
	.p2align	8
	.type	_ZN4vllm32paged_attention_v2_reduce_kernelI14__hip_bfloat16Li120ELi128ELi512EEEvPT_PKfS5_PKS2_PKii,@function
_ZN4vllm32paged_attention_v2_reduce_kernelI14__hip_bfloat16Li120ELi128ELi512EEEvPT_PKfS5_PKS2_PKii: ; @_ZN4vllm32paged_attention_v2_reduce_kernelI14__hip_bfloat16Li120ELi128ELi512EEEvPT_PKfS5_PKS2_PKii
; %bb.0:
	s_load_dwordx4 s[8:11], s[4:5], 0x18
	s_add_u32 s14, s4, 48
	s_mov_b32 s12, s7
	s_addc_u32 s15, s5, 0
	s_ashr_i32 s13, s7, 31
	s_lshl_b64 s[0:1], s[12:13], 2
	s_waitcnt lgkmcnt(0)
	s_add_u32 s0, s10, s0
	s_addc_u32 s1, s11, s1
	s_load_dword s22, s[0:1], 0x0
	s_clause 0x2
	s_load_dwordx2 s[10:11], s[4:5], 0x0
	s_load_dword s7, s[4:5], 0x28
	s_load_dword s13, s[4:5], 0x30
	s_waitcnt lgkmcnt(0)
	s_add_i32 s0, s22, -1
	s_cmpk_gt_u32 s0, 0x1ff
	s_mov_b32 s0, -1
	s_cbranch_scc0 .LBB137_26
; %bb.1:
	s_load_dwordx2 s[2:3], s[4:5], 0x8
	s_add_i32 s0, s22, 0x1ff
	s_mul_i32 s20, s13, s12
	s_ashr_i32 s1, s0, 31
	v_mov_b32_e32 v4, 0xff7fffff
	s_lshr_b32 s1, s1, 23
	v_lshlrev_b32_e32 v3, 2, v0
	s_add_i32 s0, s0, s1
	s_mul_i32 s16, s20, s7
	s_ashr_i32 s21, s0, 9
	s_mul_i32 s18, s7, s6
	v_cmp_gt_i32_e32 vcc_lo, s21, v0
	s_ashr_i32 s17, s16, 31
	s_ashr_i32 s19, s18, 31
	s_and_saveexec_b32 s1, vcc_lo
	s_cbranch_execz .LBB137_5
; %bb.2:
	s_load_dword s0, s[14:15], 0xc
	s_load_dwordx2 s[24:25], s[4:5], 0x10
	s_lshl_b64 s[26:27], s[16:17], 2
	s_lshl_b64 s[28:29], s[18:19], 2
	v_add_nc_u32_e32 v5, 32, v3
	v_mov_b32_e32 v4, 0xff7fffff
	v_mov_b32_e32 v6, v0
	s_waitcnt lgkmcnt(0)
	s_and_b32 s4, s0, 0xffff
	s_add_u32 s0, s26, s28
	s_addc_u32 s5, s27, s29
	s_add_u32 s0, s24, s0
	s_addc_u32 s5, s25, s5
	v_add_co_u32 v1, s0, s0, v3
	v_add_co_ci_u32_e64 v2, null, s5, 0, s0
	s_mov_b32 s5, 0
	s_lshl_b32 s23, s4, 2
	.p2align	6
.LBB137_3:                              ; =>This Inner Loop Header: Depth=1
	global_load_dword v7, v[1:2], off
	v_add_nc_u32_e32 v6, s4, v6
	v_max_f32_e32 v4, v4, v4
	v_add_co_u32 v1, s0, v1, s23
	v_add_co_ci_u32_e64 v2, null, 0, v2, s0
	v_cmp_le_i32_e64 s0, s21, v6
	s_or_b32 s5, s0, s5
	s_waitcnt vmcnt(0)
	v_max_f32_e32 v8, v7, v7
	ds_write_b32 v5, v7
	v_add_nc_u32_e32 v5, s23, v5
	v_max_f32_e32 v4, v4, v8
	s_andn2_b32 exec_lo, exec_lo, s5
	s_cbranch_execnz .LBB137_3
; %bb.4:
	s_or_b32 exec_lo, exec_lo, s5
.LBB137_5:
	s_or_b32 exec_lo, exec_lo, s1
	v_mbcnt_lo_u32_b32 v1, -1, 0
	s_waitcnt lgkmcnt(0)
	s_barrier
	buffer_gl0_inv
	v_xor_b32_e32 v2, 16, v1
	v_xor_b32_e32 v5, 8, v1
	v_cmp_gt_i32_e64 s0, 32, v2
	v_cndmask_b32_e64 v2, v1, v2, s0
	v_cmp_gt_i32_e64 s0, 32, v5
	v_lshlrev_b32_e32 v6, 2, v2
	v_cndmask_b32_e64 v5, v1, v5, s0
	ds_bpermute_b32 v2, v6, v4
	v_max_f32_e32 v4, v4, v4
	v_lshlrev_b32_e32 v7, 2, v5
	v_xor_b32_e32 v5, 4, v1
	v_cmp_gt_i32_e64 s0, 32, v5
	v_cndmask_b32_e64 v5, v1, v5, s0
	v_lshlrev_b32_e32 v8, 2, v5
	v_xor_b32_e32 v5, 2, v1
	s_waitcnt lgkmcnt(0)
	v_max_f32_e32 v2, v2, v2
	v_cmp_gt_i32_e64 s0, 32, v5
	v_max_f32_e32 v2, v4, v2
	v_cndmask_b32_e64 v5, v1, v5, s0
	ds_bpermute_b32 v4, v7, v2
	s_waitcnt lgkmcnt(0)
	v_max_f32_e32 v4, v4, v4
	v_max_f32_e32 v2, v2, v4
	ds_bpermute_b32 v4, v8, v2
	s_waitcnt lgkmcnt(0)
	v_max_f32_e32 v9, v4, v4
	v_lshlrev_b32_e32 v4, 2, v5
	v_max_f32_e32 v2, v2, v9
	v_xor_b32_e32 v9, 1, v1
	ds_bpermute_b32 v5, v4, v2
	v_cmp_gt_i32_e64 s0, 32, v9
	v_cndmask_b32_e64 v1, v1, v9, s0
	v_lshrrev_b32_e32 v9, 5, v0
	v_lshlrev_b32_e32 v9, 2, v9
	s_waitcnt lgkmcnt(0)
	v_max_f32_e32 v5, v5, v5
	v_max_f32_e32 v2, v2, v5
	v_lshlrev_b32_e32 v5, 2, v1
	v_and_b32_e32 v1, 31, v0
	ds_bpermute_b32 v10, v5, v2
	v_cmp_eq_u32_e64 s0, 0, v1
	s_and_saveexec_b32 s1, s0
	s_cbranch_execz .LBB137_7
; %bb.6:
	s_waitcnt lgkmcnt(0)
	v_max_f32_e32 v10, v10, v10
	v_max_f32_e32 v2, v2, v2
	;; [unrolled: 1-line block ×3, first 2 shown]
	ds_write_b32 v9, v2
.LBB137_7:
	s_or_b32 exec_lo, exec_lo, s1
	v_cmp_gt_u32_e64 s1, 4, v1
	v_mov_b32_e32 v2, 0xff7fffff
	s_waitcnt lgkmcnt(0)
	v_lshlrev_b32_e32 v10, 2, v1
	s_barrier
	buffer_gl0_inv
	s_and_saveexec_b32 s4, s1
; %bb.8:
	ds_read_b32 v2, v10
; %bb.9:
	s_or_b32 exec_lo, exec_lo, s4
	s_waitcnt lgkmcnt(0)
	ds_bpermute_b32 v1, v4, v2
	v_max_f32_e32 v2, v2, v2
	v_mov_b32_e32 v11, 0
	s_lshl_b32 s4, s21, 2
	s_waitcnt lgkmcnt(0)
	v_max_f32_e32 v1, v1, v1
	v_max_f32_e32 v1, v2, v1
	ds_bpermute_b32 v2, v5, v1
	s_waitcnt lgkmcnt(0)
	v_max_f32_e32 v2, v2, v2
	v_max_f32_e32 v1, v1, v2
	ds_bpermute_b32 v12, v11, v1
	s_and_saveexec_b32 s5, vcc_lo
	s_cbranch_execz .LBB137_13
; %bb.10:
	s_load_dword s23, s[14:15], 0xc
	s_lshl_b64 s[24:25], s[16:17], 2
	s_lshl_b64 s[26:27], s[18:19], 2
	v_mov_b32_e32 v11, 0
	v_add_nc_u32_e32 v13, 32, v3
	s_waitcnt lgkmcnt(0)
	s_and_b32 s17, s23, 0xffff
	s_add_u32 s19, s24, s26
	s_addc_u32 s23, s25, s27
	s_add_u32 s2, s2, s19
	s_addc_u32 s3, s3, s23
	v_add_co_u32 v1, s2, s2, v3
	v_add_co_ci_u32_e64 v2, null, s3, 0, s2
	v_mov_b32_e32 v3, v0
	s_mov_b32 s3, 0
	s_lshl_b32 s19, s17, 2
	s_inst_prefetch 0x1
	.p2align	6
.LBB137_11:                             ; =>This Inner Loop Header: Depth=1
	global_load_dword v14, v[1:2], off
	ds_read_b32 v15, v13
	v_add_nc_u32_e32 v3, s17, v3
	s_waitcnt lgkmcnt(0)
	v_sub_f32_e32 v15, v15, v12
	v_mul_f32_e32 v16, 0x3fb8aa3b, v15
	v_cmp_ngt_f32_e32 vcc_lo, 0xc2ce8ed0, v15
	v_cmp_nlt_f32_e64 s2, 0x42b17218, v15
	v_fma_f32 v17, 0x3fb8aa3b, v15, -v16
	v_rndne_f32_e32 v18, v16
	v_fmac_f32_e32 v17, 0x32a5705f, v15
	v_sub_f32_e32 v16, v16, v18
	v_add_f32_e32 v16, v16, v17
	v_cvt_i32_f32_e32 v17, v18
	v_exp_f32_e32 v16, v16
	v_ldexp_f32 v16, v16, v17
	v_add_nc_u32_e32 v17, s4, v13
	v_add_nc_u32_e32 v13, s19, v13
	v_cndmask_b32_e32 v16, 0, v16, vcc_lo
	v_add_co_u32 v1, vcc_lo, v1, s19
	v_add_co_ci_u32_e64 v2, null, 0, v2, vcc_lo
	v_cndmask_b32_e64 v15, 0x7f800000, v16, s2
	v_cmp_le_i32_e32 vcc_lo, s21, v3
	s_or_b32 s3, vcc_lo, s3
	s_waitcnt vmcnt(0)
	v_mul_f32_e32 v16, v14, v15
	v_fmac_f32_e32 v11, v14, v15
	ds_write_b32 v17, v16
	s_andn2_b32 exec_lo, exec_lo, s3
	s_cbranch_execnz .LBB137_11
; %bb.12:
	s_inst_prefetch 0x2
	s_or_b32 exec_lo, exec_lo, s3
.LBB137_13:
	s_or_b32 exec_lo, exec_lo, s5
	ds_bpermute_b32 v1, v6, v11
	s_waitcnt lgkmcnt(0)
	s_barrier
	buffer_gl0_inv
	v_add_f32_e32 v1, v11, v1
	ds_bpermute_b32 v2, v7, v1
	s_waitcnt lgkmcnt(0)
	v_add_f32_e32 v1, v1, v2
	ds_bpermute_b32 v2, v8, v1
	s_waitcnt lgkmcnt(0)
	;; [unrolled: 3-line block ×4, first 2 shown]
	v_add_f32_e32 v1, v1, v2
	s_and_saveexec_b32 s2, s0
; %bb.14:
	ds_write_b32 v9, v1 offset:16
; %bb.15:
	s_or_b32 exec_lo, exec_lo, s2
	s_waitcnt lgkmcnt(0)
	s_barrier
	buffer_gl0_inv
	s_and_saveexec_b32 s0, s1
; %bb.16:
	ds_read_b32 v1, v10 offset:16
; %bb.17:
	s_or_b32 exec_lo, exec_lo, s0
	s_waitcnt lgkmcnt(0)
	ds_bpermute_b32 v2, v4, v1
	s_mov_b32 s0, exec_lo
	s_waitcnt lgkmcnt(0)
	v_add_f32_e32 v1, v1, v2
	ds_bpermute_b32 v2, v5, v1
	s_waitcnt lgkmcnt(0)
	v_add_f32_e32 v1, v1, v2
	v_mov_b32_e32 v2, 0
	ds_bpermute_b32 v3, v2, v1
	v_cmpx_gt_u32_e32 0x78, v0
	s_cbranch_execz .LBB137_25
; %bb.18:
	s_cmp_gt_i32 s22, 0
	s_mov_b32 s1, 0
	s_cbranch_scc1 .LBB137_20
; %bb.19:
	v_mov_b32_e32 v1, 0
	v_mov_b32_e32 v2, 0
	s_andn2_b32 vcc_lo, exec_lo, s1
	s_cbranch_vccz .LBB137_21
	s_branch .LBB137_24
.LBB137_20:
	v_mov_b32_e32 v2, 0
.LBB137_21:
	s_waitcnt lgkmcnt(0)
	v_add_f32_e32 v4, 0x358637bd, v3
	s_mulk_i32 s16, 0x78
	s_mulk_i32 s18, 0x78
	s_ashr_i32 s17, s16, 31
	s_ashr_i32 s19, s18, 31
	v_div_scale_f32 v2, null, v4, v4, 1.0
	v_div_scale_f32 v5, vcc_lo, 1.0, v4, 1.0
	s_add_i32 s2, s4, 32
	v_rcp_f32_e32 v3, v2
	s_lshl_b64 s[4:5], s[16:17], 1
	s_lshl_b64 s[16:17], s[18:19], 1
	s_max_i32 s1, s21, 1
	s_add_u32 s3, s4, s16
	s_addc_u32 s4, s5, s17
	s_add_u32 s3, s8, s3
	s_addc_u32 s4, s9, s4
	v_fma_f32 v1, -v2, v3, 1.0
	v_fmac_f32_e32 v3, v1, v3
	v_mov_b32_e32 v1, 0
	v_mul_f32_e32 v6, v5, v3
	v_fma_f32 v7, -v2, v6, v5
	v_fmac_f32_e32 v6, v7, v3
	v_lshlrev_b32_e32 v7, 1, v0
	v_fma_f32 v2, -v2, v6, v5
	v_div_fmas_f32 v5, v2, v3, v6
	v_add_co_u32 v2, s3, s3, v7
	v_add_co_ci_u32_e64 v3, null, s4, 0, s3
	v_div_fixup_f32 v4, v5, v4, 1.0
	v_mov_b32_e32 v5, v1
	.p2align	6
.LBB137_22:                             ; =>This Inner Loop Header: Depth=1
	global_load_ushort v6, v[2:3], off
	v_mov_b32_e32 v7, s2
	v_add_co_u32 v2, vcc_lo, 0xf0, v2
	v_add_co_ci_u32_e64 v3, null, 0, v3, vcc_lo
	ds_read_b32 v7, v7
	s_add_i32 s1, s1, -1
	s_add_i32 s2, s2, 4
	s_cmp_eq_u32 s1, 0
	s_waitcnt vmcnt(0)
	v_lshlrev_b32_e32 v6, 16, v6
	s_waitcnt lgkmcnt(0)
	v_mul_f32_e32 v6, v7, v6
	v_fmac_f32_e32 v5, v4, v6
	s_cbranch_scc0 .LBB137_22
; %bb.23:
	v_bfe_u32 v2, v5, 16, 1
	v_or_b32_e32 v3, 0x400000, v5
	v_cmp_u_f32_e32 vcc_lo, v5, v5
	v_add3_u32 v2, v2, v5, 0x7fff
	v_cndmask_b32_e32 v2, v2, v3, vcc_lo
	v_lshrrev_b32_e32 v2, 16, v2
.LBB137_24:
	s_mul_i32 s2, s20, 0x78
	s_mul_i32 s4, s6, 0x78
	s_ashr_i32 s3, s2, 31
	s_waitcnt lgkmcnt(0)
	v_lshlrev_b64 v[3:4], 1, v[0:1]
	s_lshl_b64 s[2:3], s[2:3], 1
	s_add_u32 s1, s10, s2
	s_addc_u32 s16, s11, s3
	s_ashr_i32 s5, s4, 31
	s_lshl_b64 s[2:3], s[4:5], 1
	s_add_u32 s1, s1, s2
	s_addc_u32 s2, s16, s3
	v_add_co_u32 v3, vcc_lo, s1, v3
	v_add_co_ci_u32_e64 v4, null, s2, v4, vcc_lo
	global_store_short v[3:4], v2, off
.LBB137_25:
	s_or_b32 exec_lo, exec_lo, s0
	s_mov_b32 s0, 0
.LBB137_26:
	s_and_b32 vcc_lo, exec_lo, s0
	s_cbranch_vccz .LBB137_35
; %bb.27:
	s_mov_b32 s0, exec_lo
	v_cmpx_gt_u32_e32 0x78, v0
	s_cbranch_execz .LBB137_35
; %bb.28:
	s_load_dword s0, s[14:15], 0xc
	s_mul_i32 s1, s13, s12
	s_mul_i32 s4, s6, 0x78
	;; [unrolled: 1-line block ×5, first 2 shown]
	v_cmp_gt_u32_e32 vcc_lo, 0x75, v0
	s_ashr_i32 s5, s4, 31
	s_ashr_i32 s13, s12, 31
	;; [unrolled: 1-line block ×4, first 2 shown]
	s_waitcnt lgkmcnt(0)
	s_and_b32 s1, s0, 0xffff
	s_cmp_eq_u32 s1, 1
	s_cselect_b32 s0, -1, 0
	s_and_b32 s15, vcc_lo, s0
	s_mov_b32 s0, -1
	s_and_saveexec_b32 s14, s15
	s_cbranch_execz .LBB137_32
; %bb.29:
	s_lshl_b64 s[16:17], s[6:7], 1
	s_lshl_b64 s[18:19], s[2:3], 1
	v_lshlrev_b32_e32 v1, 1, v0
	s_add_u32 s0, s16, s18
	s_addc_u32 s15, s17, s19
	s_add_u32 s0, s8, s0
	s_addc_u32 s15, s9, s15
	s_lshl_b64 s[16:17], s[12:13], 1
	s_lshl_b64 s[18:19], s[4:5], 1
	v_add_co_u32 v2, s0, s0, v1
	v_add_co_ci_u32_e64 v3, null, s15, 0, s0
	s_add_u32 s0, s16, s18
	v_sub_nc_u32_e32 v5, 0x78, v0
	s_addc_u32 s15, s17, s19
	s_add_u32 s0, s10, s0
	s_addc_u32 s15, s11, s15
	v_add_co_u32 v4, s0, s0, v1
	v_and_b32_e32 v6, 0x7c, v5
	v_add_co_ci_u32_e64 v7, null, s15, 0, s0
	v_add_co_u32 v1, vcc_lo, v2, 4
	v_add_co_ci_u32_e64 v2, null, 0, v3, vcc_lo
	v_add_co_u32 v3, vcc_lo, v4, 4
	v_add_co_ci_u32_e64 v4, null, 0, v7, vcc_lo
	v_mov_b32_e32 v7, v6
	s_mov_b32 s15, 0
	.p2align	6
.LBB137_30:                             ; =>This Inner Loop Header: Depth=1
	global_load_dwordx2 v[8:9], v[1:2], off offset:-4
	v_add_nc_u32_e32 v7, -4, v7
	v_add_co_u32 v1, vcc_lo, v1, 8
	v_add_co_ci_u32_e64 v2, null, 0, v2, vcc_lo
	v_cmp_eq_u32_e32 vcc_lo, 0, v7
	s_or_b32 s15, vcc_lo, s15
	s_waitcnt vmcnt(0)
	global_store_dwordx2 v[3:4], v[8:9], off offset:-4
	v_add_co_u32 v3, s0, v3, 8
	v_add_co_ci_u32_e64 v4, null, 0, v4, s0
	s_andn2_b32 exec_lo, exec_lo, s15
	s_cbranch_execnz .LBB137_30
; %bb.31:
	s_or_b32 exec_lo, exec_lo, s15
	v_cmp_ne_u32_e32 vcc_lo, v5, v6
	v_add_nc_u32_e32 v0, v0, v6
	s_orn2_b32 s0, vcc_lo, exec_lo
.LBB137_32:
	s_or_b32 exec_lo, exec_lo, s14
	s_and_b32 exec_lo, exec_lo, s0
	s_cbranch_execz .LBB137_35
; %bb.33:
	s_lshl_b64 s[12:13], s[12:13], 1
	v_lshlrev_b32_e32 v1, 1, v0
	s_add_u32 s0, s10, s12
	s_addc_u32 s10, s11, s13
	s_lshl_b64 s[4:5], s[4:5], 1
	v_mov_b32_e32 v2, 0
	s_add_u32 s4, s0, s4
	s_addc_u32 s5, s10, s5
	s_lshl_b64 s[6:7], s[6:7], 1
	s_add_u32 s0, s8, s6
	s_addc_u32 s6, s9, s7
	s_lshl_b64 s[2:3], s[2:3], 1
	s_add_u32 s2, s0, s2
	s_addc_u32 s3, s6, s3
	s_mov_b32 s6, 0
	s_lshl_b32 s7, s1, 1
	.p2align	6
.LBB137_34:                             ; =>This Inner Loop Header: Depth=1
	v_add_co_u32 v3, vcc_lo, s2, v1
	v_add_co_ci_u32_e64 v4, null, s3, v2, vcc_lo
	v_add_nc_u32_e32 v0, s1, v0
	global_load_ushort v5, v[3:4], off
	v_add_co_u32 v3, vcc_lo, s4, v1
	v_add_co_ci_u32_e64 v4, null, s5, v2, vcc_lo
	v_cmp_lt_u32_e32 vcc_lo, 0x77, v0
	v_add_co_u32 v1, s0, v1, s7
	v_add_co_ci_u32_e64 v2, null, 0, v2, s0
	s_or_b32 s6, vcc_lo, s6
	s_waitcnt vmcnt(0)
	global_store_short v[3:4], v5, off
	s_andn2_b32 exec_lo, exec_lo, s6
	s_cbranch_execnz .LBB137_34
.LBB137_35:
	s_endpgm
	.section	.rodata,"a",@progbits
	.p2align	6, 0x0
	.amdhsa_kernel _ZN4vllm32paged_attention_v2_reduce_kernelI14__hip_bfloat16Li120ELi128ELi512EEEvPT_PKfS5_PKS2_PKii
		.amdhsa_group_segment_fixed_size 32
		.amdhsa_private_segment_fixed_size 0
		.amdhsa_kernarg_size 304
		.amdhsa_user_sgpr_count 6
		.amdhsa_user_sgpr_private_segment_buffer 1
		.amdhsa_user_sgpr_dispatch_ptr 0
		.amdhsa_user_sgpr_queue_ptr 0
		.amdhsa_user_sgpr_kernarg_segment_ptr 1
		.amdhsa_user_sgpr_dispatch_id 0
		.amdhsa_user_sgpr_flat_scratch_init 0
		.amdhsa_user_sgpr_private_segment_size 0
		.amdhsa_wavefront_size32 1
		.amdhsa_uses_dynamic_stack 0
		.amdhsa_system_sgpr_private_segment_wavefront_offset 0
		.amdhsa_system_sgpr_workgroup_id_x 1
		.amdhsa_system_sgpr_workgroup_id_y 1
		.amdhsa_system_sgpr_workgroup_id_z 0
		.amdhsa_system_sgpr_workgroup_info 0
		.amdhsa_system_vgpr_workitem_id 0
		.amdhsa_next_free_vgpr 19
		.amdhsa_next_free_sgpr 30
		.amdhsa_reserve_vcc 1
		.amdhsa_reserve_flat_scratch 0
		.amdhsa_float_round_mode_32 0
		.amdhsa_float_round_mode_16_64 0
		.amdhsa_float_denorm_mode_32 3
		.amdhsa_float_denorm_mode_16_64 3
		.amdhsa_dx10_clamp 1
		.amdhsa_ieee_mode 1
		.amdhsa_fp16_overflow 0
		.amdhsa_workgroup_processor_mode 1
		.amdhsa_memory_ordered 1
		.amdhsa_forward_progress 1
		.amdhsa_shared_vgpr_count 0
		.amdhsa_exception_fp_ieee_invalid_op 0
		.amdhsa_exception_fp_denorm_src 0
		.amdhsa_exception_fp_ieee_div_zero 0
		.amdhsa_exception_fp_ieee_overflow 0
		.amdhsa_exception_fp_ieee_underflow 0
		.amdhsa_exception_fp_ieee_inexact 0
		.amdhsa_exception_int_div_zero 0
	.end_amdhsa_kernel
	.section	.text._ZN4vllm32paged_attention_v2_reduce_kernelI14__hip_bfloat16Li120ELi128ELi512EEEvPT_PKfS5_PKS2_PKii,"axG",@progbits,_ZN4vllm32paged_attention_v2_reduce_kernelI14__hip_bfloat16Li120ELi128ELi512EEEvPT_PKfS5_PKS2_PKii,comdat
.Lfunc_end137:
	.size	_ZN4vllm32paged_attention_v2_reduce_kernelI14__hip_bfloat16Li120ELi128ELi512EEEvPT_PKfS5_PKS2_PKii, .Lfunc_end137-_ZN4vllm32paged_attention_v2_reduce_kernelI14__hip_bfloat16Li120ELi128ELi512EEEvPT_PKfS5_PKS2_PKii
                                        ; -- End function
	.set _ZN4vllm32paged_attention_v2_reduce_kernelI14__hip_bfloat16Li120ELi128ELi512EEEvPT_PKfS5_PKS2_PKii.num_vgpr, 19
	.set _ZN4vllm32paged_attention_v2_reduce_kernelI14__hip_bfloat16Li120ELi128ELi512EEEvPT_PKfS5_PKS2_PKii.num_agpr, 0
	.set _ZN4vllm32paged_attention_v2_reduce_kernelI14__hip_bfloat16Li120ELi128ELi512EEEvPT_PKfS5_PKS2_PKii.numbered_sgpr, 30
	.set _ZN4vllm32paged_attention_v2_reduce_kernelI14__hip_bfloat16Li120ELi128ELi512EEEvPT_PKfS5_PKS2_PKii.num_named_barrier, 0
	.set _ZN4vllm32paged_attention_v2_reduce_kernelI14__hip_bfloat16Li120ELi128ELi512EEEvPT_PKfS5_PKS2_PKii.private_seg_size, 0
	.set _ZN4vllm32paged_attention_v2_reduce_kernelI14__hip_bfloat16Li120ELi128ELi512EEEvPT_PKfS5_PKS2_PKii.uses_vcc, 1
	.set _ZN4vllm32paged_attention_v2_reduce_kernelI14__hip_bfloat16Li120ELi128ELi512EEEvPT_PKfS5_PKS2_PKii.uses_flat_scratch, 0
	.set _ZN4vllm32paged_attention_v2_reduce_kernelI14__hip_bfloat16Li120ELi128ELi512EEEvPT_PKfS5_PKS2_PKii.has_dyn_sized_stack, 0
	.set _ZN4vllm32paged_attention_v2_reduce_kernelI14__hip_bfloat16Li120ELi128ELi512EEEvPT_PKfS5_PKS2_PKii.has_recursion, 0
	.set _ZN4vllm32paged_attention_v2_reduce_kernelI14__hip_bfloat16Li120ELi128ELi512EEEvPT_PKfS5_PKS2_PKii.has_indirect_call, 0
	.section	.AMDGPU.csdata,"",@progbits
; Kernel info:
; codeLenInByte = 2400
; TotalNumSgprs: 32
; NumVgprs: 19
; ScratchSize: 0
; MemoryBound: 0
; FloatMode: 240
; IeeeMode: 1
; LDSByteSize: 32 bytes/workgroup (compile time only)
; SGPRBlocks: 0
; VGPRBlocks: 2
; NumSGPRsForWavesPerEU: 32
; NumVGPRsForWavesPerEU: 19
; Occupancy: 16
; WaveLimiterHint : 0
; COMPUTE_PGM_RSRC2:SCRATCH_EN: 0
; COMPUTE_PGM_RSRC2:USER_SGPR: 6
; COMPUTE_PGM_RSRC2:TRAP_HANDLER: 0
; COMPUTE_PGM_RSRC2:TGID_X_EN: 1
; COMPUTE_PGM_RSRC2:TGID_Y_EN: 1
; COMPUTE_PGM_RSRC2:TGID_Z_EN: 0
; COMPUTE_PGM_RSRC2:TIDIG_COMP_CNT: 0
	.section	.text._ZN4vllm25paged_attention_v2_kernelI14__hip_bfloat16S1_Li128ELi8ELi128ELNS_18Fp8KVCacheDataTypeE0ELb1ELi512EEEvPfS3_PT_PKS4_PKT0_SA_ifPKiSC_iPKfiiiSE_SE_iiiii,"axG",@progbits,_ZN4vllm25paged_attention_v2_kernelI14__hip_bfloat16S1_Li128ELi8ELi128ELNS_18Fp8KVCacheDataTypeE0ELb1ELi512EEEvPfS3_PT_PKS4_PKT0_SA_ifPKiSC_iPKfiiiSE_SE_iiiii,comdat
	.protected	_ZN4vllm25paged_attention_v2_kernelI14__hip_bfloat16S1_Li128ELi8ELi128ELNS_18Fp8KVCacheDataTypeE0ELb1ELi512EEEvPfS3_PT_PKS4_PKT0_SA_ifPKiSC_iPKfiiiSE_SE_iiiii ; -- Begin function _ZN4vllm25paged_attention_v2_kernelI14__hip_bfloat16S1_Li128ELi8ELi128ELNS_18Fp8KVCacheDataTypeE0ELb1ELi512EEEvPfS3_PT_PKS4_PKT0_SA_ifPKiSC_iPKfiiiSE_SE_iiiii
	.globl	_ZN4vllm25paged_attention_v2_kernelI14__hip_bfloat16S1_Li128ELi8ELi128ELNS_18Fp8KVCacheDataTypeE0ELb1ELi512EEEvPfS3_PT_PKS4_PKT0_SA_ifPKiSC_iPKfiiiSE_SE_iiiii
	.p2align	8
	.type	_ZN4vllm25paged_attention_v2_kernelI14__hip_bfloat16S1_Li128ELi8ELi128ELNS_18Fp8KVCacheDataTypeE0ELb1ELi512EEEvPfS3_PT_PKS4_PKT0_SA_ifPKiSC_iPKfiiiSE_SE_iiiii,@function
_ZN4vllm25paged_attention_v2_kernelI14__hip_bfloat16S1_Li128ELi8ELi128ELNS_18Fp8KVCacheDataTypeE0ELb1ELi512EEEvPfS3_PT_PKS4_PKT0_SA_ifPKiSC_iPKfiiiSE_SE_iiiii: ; @_ZN4vllm25paged_attention_v2_kernelI14__hip_bfloat16S1_Li128ELi8ELi128ELNS_18Fp8KVCacheDataTypeE0ELb1ELi512EEEvPfS3_PT_PKS4_PKT0_SA_ifPKiSC_iPKfiiiSE_SE_iiiii
; %bb.0:
	s_load_dwordx2 s[0:1], s[4:5], 0x40
	s_mov_b32 s26, s7
	s_ashr_i32 s27, s7, 31
	s_lshl_b64 s[2:3], s[26:27], 2
	s_waitcnt lgkmcnt(0)
	s_add_u32 s0, s0, s2
	s_addc_u32 s1, s1, s3
	s_lshl_b32 s38, s8, 9
	s_load_dword s27, s[0:1], 0x0
	s_waitcnt lgkmcnt(0)
	s_cmp_ge_i32 s38, s27
	s_cbranch_scc1 .LBB138_62
; %bb.1:
	s_clause 0x1
	s_load_dword s9, s[4:5], 0x90
	s_load_dwordx2 s[36:37], s[4:5], 0x30
	s_mov_b32 s40, 0
	s_waitcnt lgkmcnt(0)
	s_abs_i32 s3, s9
	s_abs_i32 s0, s36
	v_cvt_f32_u32_e32 v1, s0
	s_sub_i32 s2, 0, s0
	v_rcp_iflag_f32_e32 v1, v1
	v_mul_f32_e32 v1, 0x4f7ffffe, v1
	v_cvt_u32_f32_e32 v1, v1
	v_readfirstlane_b32 s1, v1
	s_mul_i32 s2, s2, s1
	s_mul_hi_u32 s2, s1, s2
	s_add_i32 s1, s1, s2
	s_xor_b32 s2, s9, s36
	s_mul_hi_u32 s1, s3, s1
	s_ashr_i32 s2, s2, 31
	s_mul_i32 s7, s1, s0
	s_sub_i32 s3, s3, s7
	s_add_i32 s7, s1, 1
	s_sub_i32 s10, s3, s0
	s_cmp_ge_u32 s3, s0
	s_cselect_b32 s1, s7, s1
	s_cselect_b32 s3, s10, s3
	s_add_i32 s7, s1, 1
	s_cmp_ge_u32 s3, s0
	s_cselect_b32 s0, s7, s1
	s_xor_b32 s0, s0, s2
	s_sub_i32 s10, s0, s2
	s_load_dwordx2 s[0:1], s[4:5], 0x50
	s_abs_i32 s2, s10
	v_cvt_f32_u32_e32 v1, s2
	s_sub_i32 s3, 0, s2
	v_rcp_iflag_f32_e32 v1, v1
	v_mul_f32_e32 v1, 0x4f7ffffe, v1
	v_cvt_u32_f32_e32 v1, v1
	v_readfirstlane_b32 s7, v1
	s_mul_i32 s3, s3, s7
	s_mul_hi_u32 s11, s7, s3
	s_abs_i32 s3, s6
	s_add_i32 s7, s7, s11
	s_waitcnt lgkmcnt(0)
	s_cmp_eq_u64 s[0:1], 0
	s_mul_hi_u32 s20, s3, s7
	s_cbranch_scc1 .LBB138_3
; %bb.2:
	s_ashr_i32 s7, s6, 31
	s_lshl_b64 s[12:13], s[6:7], 2
	s_add_u32 s0, s0, s12
	s_addc_u32 s1, s1, s13
	s_load_dword s40, s[0:1], 0x0
.LBB138_3:
	s_load_dwordx4 s[12:15], s[4:5], 0x58
	v_and_b32_e32 v1, 3, v0
	v_cmp_gt_u32_e64 s0, 64, v0
	v_lshlrev_b32_e32 v2, 2, v0
	s_ashr_i32 s1, s6, 31
	s_ashr_i32 s7, s10, 31
	s_lshl_b32 s10, s6, 7
	s_waitcnt lgkmcnt(0)
	s_and_saveexec_b32 s15, s0
	s_cbranch_execz .LBB138_5
; %bb.4:
	s_load_dwordx2 s[16:17], s[4:5], 0x18
	s_mul_i32 s18, s12, s26
	v_and_b32_e32 v4, 0x3fc, v0
	s_ashr_i32 s19, s18, 31
	s_lshl_b64 s[18:19], s[18:19], 1
	v_lshl_add_u32 v4, v1, 6, v4
	s_waitcnt lgkmcnt(0)
	s_add_u32 s12, s16, s18
	s_addc_u32 s18, s17, s19
	s_ashr_i32 s11, s10, 31
	s_lshl_b64 s[16:17], s[10:11], 1
	s_add_u32 s16, s12, s16
	s_addc_u32 s17, s18, s17
	global_load_dword v3, v2, s[16:17]
	s_waitcnt vmcnt(0)
	ds_write_b32 v4, v3
.LBB138_5:
	s_or_b32 exec_lo, exec_lo, s15
	s_load_dwordx4 s[16:19], s[4:5], 0x78
	s_mul_i32 s11, s20, s2
	s_xor_b32 s1, s1, s7
	s_sub_i32 s3, s3, s11
	s_add_i32 s7, s20, 1
	s_sub_i32 s11, s3, s2
	s_cmp_ge_u32 s3, s2
                                        ; implicit-def: $sgpr33
	s_cselect_b32 s7, s7, s20
	s_cselect_b32 s3, s11, s3
	s_add_i32 s11, s7, 1
	s_cmp_ge_u32 s3, s2
	s_mov_b32 s20, -1
	s_cselect_b32 s2, s11, s7
	s_load_dword s7, s[4:5], 0x88
	s_xor_b32 s2, s2, s1
	s_add_i32 s15, s27, -1
	s_sub_i32 s2, s2, s1
	s_abs_i32 s3, s15
	s_waitcnt lgkmcnt(0)
	s_abs_i32 s11, s19
	s_barrier
	v_cvt_f32_u32_e32 v3, s11
	s_sub_i32 s1, 0, s11
	buffer_gl0_inv
	v_rcp_iflag_f32_e32 v3, v3
	v_mul_f32_e32 v3, 0x4f7ffffe, v3
	v_cvt_u32_f32_e32 v3, v3
	v_readfirstlane_b32 s12, v3
	s_mul_i32 s1, s1, s12
	s_mul_hi_u32 s1, s12, s1
	s_add_i32 s12, s12, s1
	s_cmp_lt_i32 s7, 0
	s_mul_hi_u32 s1, s3, s12
	s_cbranch_scc0 .LBB138_7
; %bb.6:
	s_mul_i32 s20, s16, s36
	s_add_i32 s20, s2, s20
	s_mul_i32 s20, s20, s7
	s_sub_i32 s33, 1, s20
	s_mov_b32 s20, 0
.LBB138_7:
	s_load_dwordx2 s[28:29], s[4:5], 0x38
	s_ashr_i32 s15, s15, 31
	s_andn2_b32 vcc_lo, exec_lo, s20
	s_ashr_i32 s19, s19, 31
	s_cbranch_vccnz .LBB138_9
; %bb.8:
	s_mul_i32 s16, s9, s16
	s_add_i32 s16, s16, s6
	s_mul_i32 s7, s16, s7
	s_add_i32 s33, s7, 1
.LBB138_9:
	s_clause 0x4
	s_load_dword s16, s[4:5], 0x48
	s_load_dwordx2 s[34:35], s[4:5], 0x28
	s_load_dword s7, s[4:5], 0x98
	s_load_dwordx4 s[20:23], s[4:5], 0x0
	s_load_dwordx2 s[24:25], s[4:5], 0x10
	s_mul_i32 s30, s1, s11
	s_xor_b32 s15, s15, s19
	s_sub_i32 s3, s3, s30
	s_add_i32 s36, s1, 1
	v_lshrrev_b32_e32 v28, 5, v0
	v_mov_b32_e32 v12, 0xff7fffff
	v_mbcnt_lo_u32_b32 v11, -1, 0
	s_mul_i32 s14, s2, s14
	v_lshl_add_u32 v29, v28, 3, s38
	s_waitcnt lgkmcnt(0)
	s_mul_i32 s30, s16, s26
	s_sub_i32 s16, s3, s11
	s_ashr_i32 s31, s30, 31
	s_cmp_ge_u32 s3, s11
	s_cselect_b32 s1, s36, s1
	s_cselect_b32 s3, s16, s3
	s_add_i32 s16, s1, 1
	s_cmp_ge_u32 s3, s11
	s_cselect_b32 s1, s16, s1
	s_add_i32 s3, s27, 7
	s_lshl_b32 s41, s8, 6
	s_ashr_i32 s16, s3, 31
	v_or_b32_e32 v25, s41, v28
	s_lshr_b32 s16, s16, 29
	s_add_i32 s3, s3, s16
	s_add_i32 s16, s41, 64
	s_ashr_i32 s36, s3, 3
	s_xor_b32 s3, s1, s15
	s_min_i32 s16, s16, s36
	v_ashrrev_i32_e32 v26, 31, v25
	v_cmp_gt_i32_e64 s1, s16, v25
	s_sub_i32 s39, s3, s15
	s_and_saveexec_b32 s42, s1
	s_cbranch_execz .LBB138_21
; %bb.10:
	s_load_dwordx2 s[2:3], s[4:5], 0x20
	s_ashr_i32 s15, s14, 31
	s_sub_i32 s5, s39, s17
	s_lshl_b64 s[44:45], s[14:15], 1
	v_bfe_u32 v13, v0, 2, 3
	v_cmp_eq_u32_e32 vcc_lo, 0, v1
	v_and_b32_e32 v4, 12, v2
	v_lshlrev_b32_e32 v14, 6, v1
	v_lshlrev_b64 v[1:2], 2, v[25:26]
	v_lshlrev_b32_e32 v5, 2, v13
	v_subrev_nc_u32_e32 v6, s27, v13
	v_lshlrev_b32_e32 v7, 4, v13
	v_lshl_add_u32 v15, v28, 3, s38
	v_mov_b32_e32 v16, 0xff7fffff
	v_lshl_or_b32 v5, v28, 5, v5
	v_add_nc_u32_e32 v19, 1, v6
	v_xor_b32_e32 v17, 2, v11
	v_xor_b32_e32 v18, 1, v11
	v_mov_b32_e32 v12, 0xff7fffff
	v_add_nc_u32_e32 v20, 0x120, v5
	s_waitcnt lgkmcnt(0)
	s_add_u32 s4, s2, s44
	s_addc_u32 s3, s3, s45
	s_abs_i32 s15, s18
	s_lshl_b64 s[44:45], s[30:31], 2
	v_cvt_f32_u32_e32 v3, s15
	s_sub_i32 s43, 0, s15
	v_add_co_u32 v6, s4, s4, v7
	v_add_co_ci_u32_e64 v7, null, s3, 0, s4
	v_rcp_iflag_f32_e32 v3, v3
	s_add_u32 s3, s28, s44
	s_addc_u32 s4, s29, s45
	v_add_co_u32 v9, s3, s3, v1
	v_add_co_ci_u32_e64 v10, null, s4, v2, s3
	v_add_co_u32 v21, s3, v6, v4
	v_cmp_neq_f32_e64 s2, s40, 0
	v_mul_f32_e32 v3, 0x4f7ffffe, v3
	v_add_co_ci_u32_e64 v22, null, 0, v7, s3
	v_mov_b32_e32 v24, v25
	s_mov_b32 s44, s13
	v_cvt_u32_f32_e32 v3, v3
	v_mul_lo_u32 v5, s43, v3
	s_mov_b32 s43, 0
	v_mul_hi_u32 v5, v3, v5
	v_add_nc_u32_e32 v23, v3, v5
	s_branch .LBB138_13
.LBB138_11:                             ;   in Loop: Header=BB138_13 Depth=1
	s_or_b32 exec_lo, exec_lo, s45
.LBB138_12:                             ;   in Loop: Header=BB138_13 Depth=1
	s_or_b32 exec_lo, exec_lo, s4
	v_add_nc_u32_e32 v24, 4, v24
	v_add_co_u32 v9, s4, v9, 16
	v_add_co_ci_u32_e64 v10, null, 0, v10, s4
	v_cmp_le_i32_e64 s3, s16, v24
	v_add_nc_u32_e32 v15, 32, v15
	v_add_nc_u32_e32 v20, 0x80, v20
	s_or_b32 s43, s3, s43
	s_andn2_b32 exec_lo, exec_lo, s43
	s_cbranch_execz .LBB138_20
.LBB138_13:                             ; =>This Inner Loop Header: Depth=1
	v_sub_nc_u32_e32 v1, 0, v15
	v_max_i32_e32 v1, v15, v1
	s_waitcnt lgkmcnt(0)
	v_mul_hi_u32 v2, v1, s12
	v_mul_lo_u32 v3, v2, s11
	v_sub_nc_u32_e32 v1, v1, v3
	v_add_nc_u32_e32 v3, 1, v2
	v_subrev_nc_u32_e32 v4, s11, v1
	v_cmp_le_u32_e64 s3, s11, v1
	v_cndmask_b32_e64 v2, v2, v3, s3
	v_cndmask_b32_e64 v1, v1, v4, s3
	v_ashrrev_i32_e32 v3, 31, v15
	v_add_nc_u32_e32 v4, 1, v2
	v_cmp_le_u32_e64 s3, s11, v1
	v_xor_b32_e32 v3, s19, v3
	v_cndmask_b32_e64 v1, v2, v4, s3
	v_xor_b32_e32 v1, v1, v3
	v_sub_nc_u32_e32 v1, v1, v3
	v_add_nc_u32_e32 v2, s33, v1
	v_cmp_ge_i32_e64 s4, s5, v1
	v_sub_nc_u32_e32 v3, 0, v2
	v_max_i32_e32 v3, v2, v3
	v_ashrrev_i32_e32 v2, 31, v2
	v_mul_hi_u32 v4, v3, v23
	v_mul_lo_u32 v4, v4, s15
	v_sub_nc_u32_e32 v3, v3, v4
	v_subrev_nc_u32_e32 v4, s15, v3
	v_cmp_le_u32_e64 s3, s15, v3
	v_cndmask_b32_e64 v3, v3, v4, s3
	v_subrev_nc_u32_e32 v4, s15, v3
	v_cmp_le_u32_e64 s3, s15, v3
	v_cndmask_b32_e64 v3, v3, v4, s3
	v_xor_b32_e32 v3, v3, v2
	v_sub_nc_u32_e32 v2, v3, v2
	v_cmp_ne_u32_e64 s3, 0, v2
	s_and_b32 s3, s3, s4
	s_and_saveexec_b32 s4, s3
	s_xor_b32 s3, exec_lo, s4
	s_cbranch_execz .LBB138_17
; %bb.14:                               ;   in Loop: Header=BB138_13 Depth=1
	s_and_saveexec_b32 s4, vcc_lo
; %bb.15:                               ;   in Loop: Header=BB138_13 Depth=1
	ds_write_b32 v20, v16
; %bb.16:                               ;   in Loop: Header=BB138_13 Depth=1
	s_or_b32 exec_lo, exec_lo, s4
.LBB138_17:                             ;   in Loop: Header=BB138_13 Depth=1
	s_andn2_saveexec_b32 s4, s3
	s_cbranch_execz .LBB138_12
; %bb.18:                               ;   in Loop: Header=BB138_13 Depth=1
	global_load_dword v1, v[9:10], off
	s_waitcnt vmcnt(0)
	v_mad_i64_i32 v[1:2], null, v1, s44, 0
	v_lshlrev_b64 v[1:2], 1, v[1:2]
	v_add_co_u32 v1, s3, v21, v1
	v_add_co_ci_u32_e64 v2, null, v22, v2, s3
	v_cmp_gt_i32_e64 s3, 32, v17
	s_clause 0xf
	global_load_dword v42, v[1:2], off offset:128
	global_load_dword v43, v[1:2], off offset:256
	;; [unrolled: 1-line block ×7, first 2 shown]
	global_load_dword v49, v[1:2], off
	global_load_dword v50, v[1:2], off offset:1024
	global_load_dword v51, v[1:2], off offset:1152
	;; [unrolled: 1-line block ×8, first 2 shown]
	ds_read_b128 v[34:37], v14
	ds_read_b128 v[38:41], v14 offset:16
	ds_read_b128 v[5:8], v14 offset:32
	ds_read_b128 v[1:4], v14 offset:48
	s_waitcnt lgkmcnt(3)
	v_lshlrev_b32_e32 v54, 16, v35
	v_and_b32_e32 v35, 0xffff0000, v35
	v_lshlrev_b32_e32 v53, 16, v34
	v_and_b32_e32 v34, 0xffff0000, v34
	;; [unrolled: 2-line block ×4, first 2 shown]
	s_waitcnt lgkmcnt(2)
	v_lshlrev_b32_e32 v57, 16, v38
	v_lshlrev_b32_e32 v58, 16, v39
	v_lshlrev_b32_e32 v59, 16, v40
	v_lshlrev_b32_e32 v60, 16, v41
	s_waitcnt lgkmcnt(1)
	v_lshlrev_b32_e32 v61, 16, v5
	v_and_b32_e32 v5, 0xffff0000, v5
	v_lshlrev_b32_e32 v62, 16, v6
	v_and_b32_e32 v6, 0xffff0000, v6
	v_lshlrev_b32_e32 v63, 16, v7
	v_lshlrev_b32_e32 v64, 16, v8
	s_waitcnt lgkmcnt(0)
	v_lshlrev_b32_e32 v65, 16, v1
	v_and_b32_e32 v1, 0xffff0000, v1
	v_lshlrev_b32_e32 v67, 16, v2
	v_and_b32_e32 v2, 0xffff0000, v2
	s_waitcnt vmcnt(15)
	v_lshlrev_b32_e32 v66, 16, v42
	v_and_b32_e32 v42, 0xffff0000, v42
	v_mul_f32_e32 v54, v54, v66
	v_mul_f32_e32 v35, v35, v42
	s_waitcnt vmcnt(8)
	v_lshlrev_b32_e32 v68, 16, v49
	v_and_b32_e32 v49, 0xffff0000, v49
	v_lshlrev_b32_e32 v66, 16, v43
	v_and_b32_e32 v43, 0xffff0000, v43
	v_lshlrev_b32_e32 v42, 16, v3
	v_fmac_f32_e32 v54, v53, v68
	v_fmac_f32_e32 v35, v34, v49
	v_lshlrev_b32_e32 v49, 16, v44
	v_and_b32_e32 v44, 0xffff0000, v44
	v_lshlrev_b32_e32 v34, 16, v4
	v_fmac_f32_e32 v54, v55, v66
	v_fmac_f32_e32 v35, v36, v43
	v_and_b32_e32 v36, 0xffff0000, v38
	v_lshlrev_b32_e32 v38, 16, v45
	v_and_b32_e32 v43, 0xffff0000, v45
	v_fmac_f32_e32 v54, v56, v49
	v_fmac_f32_e32 v35, v37, v44
	v_and_b32_e32 v37, 0xffff0000, v39
	v_lshlrev_b32_e32 v39, 16, v46
	v_and_b32_e32 v44, 0xffff0000, v46
	;; [unrolled: 5-line block ×4, first 2 shown]
	v_fmac_f32_e32 v54, v59, v38
	v_fmac_f32_e32 v35, v36, v40
	s_waitcnt vmcnt(7)
	v_lshlrev_b32_e32 v36, 16, v50
	v_and_b32_e32 v38, 0xffff0000, v50
	v_fmac_f32_e32 v54, v60, v39
	v_fmac_f32_e32 v35, v37, v41
	s_waitcnt vmcnt(6)
	v_lshlrev_b32_e32 v37, 16, v51
	v_and_b32_e32 v39, 0xffff0000, v51
	v_fmac_f32_e32 v54, v61, v36
	v_fmac_f32_e32 v35, v5, v38
	v_and_b32_e32 v5, 0xffff0000, v7
	s_waitcnt vmcnt(5)
	v_lshlrev_b32_e32 v7, 16, v52
	v_and_b32_e32 v36, 0xffff0000, v52
	v_fmac_f32_e32 v54, v62, v37
	v_fmac_f32_e32 v35, v6, v39
	v_and_b32_e32 v6, 0xffff0000, v8
	s_waitcnt vmcnt(4)
	v_lshlrev_b32_e32 v8, 16, v33
	v_and_b32_e32 v33, 0xffff0000, v33
	v_fmac_f32_e32 v54, v63, v7
	v_fmac_f32_e32 v35, v5, v36
	s_waitcnt vmcnt(3)
	v_lshlrev_b32_e32 v5, 16, v32
	v_and_b32_e32 v7, 0xffff0000, v32
	v_fmac_f32_e32 v54, v64, v8
	v_fmac_f32_e32 v35, v6, v33
	;; [unrolled: 5-line block ×3, first 2 shown]
	v_and_b32_e32 v1, 0xffff0000, v3
	s_waitcnt vmcnt(1)
	v_lshlrev_b32_e32 v3, 16, v30
	v_and_b32_e32 v5, 0xffff0000, v30
	v_fmac_f32_e32 v54, v67, v6
	v_fmac_f32_e32 v35, v2, v8
	v_and_b32_e32 v2, 0xffff0000, v4
	s_waitcnt vmcnt(0)
	v_lshlrev_b32_e32 v4, 16, v27
	v_and_b32_e32 v6, 0xffff0000, v27
	v_fmac_f32_e32 v54, v42, v3
	v_fmac_f32_e32 v35, v1, v5
	v_cndmask_b32_e64 v1, v11, v17, s3
	v_cmp_gt_i32_e64 s3, 32, v18
	v_fmac_f32_e32 v54, v34, v4
	v_fmac_f32_e32 v35, v2, v6
	v_lshlrev_b32_e32 v1, 2, v1
	v_cndmask_b32_e64 v3, v11, v18, s3
	v_add_f32_e32 v2, v54, v35
	v_lshlrev_b32_e32 v3, 2, v3
	ds_bpermute_b32 v1, v1, v2
	s_waitcnt lgkmcnt(0)
	v_add_f32_e32 v1, v2, v1
	ds_bpermute_b32 v2, v3, v1
	s_and_saveexec_b32 s45, vcc_lo
	s_cbranch_execz .LBB138_11
; %bb.19:                               ;   in Loop: Header=BB138_13 Depth=1
	v_add_nc_u32_e32 v3, v19, v15
	s_waitcnt lgkmcnt(0)
	v_add_f32_e32 v1, v1, v2
	v_cvt_f32_i32_e32 v3, v3
	v_mul_f32_e32 v3, s40, v3
	v_cndmask_b32_e64 v2, 0, v3, s2
	v_max_f32_e32 v3, v12, v12
	v_fmac_f32_e32 v2, s37, v1
	v_add_nc_u32_e32 v1, v13, v15
	v_max_f32_e32 v3, v3, v2
	v_cmp_gt_i32_e64 s3, s27, v1
	v_cndmask_b32_e64 v1, 0, v2, s3
	v_cndmask_b32_e64 v12, v12, v3, s3
	ds_write_b32 v20, v1
	s_branch .LBB138_11
.LBB138_20:
	s_or_b32 exec_lo, exec_lo, s43
.LBB138_21:
	s_or_b32 exec_lo, exec_lo, s42
	v_xor_b32_e32 v1, 16, v11
	v_xor_b32_e32 v3, 8, v11
	v_max_f32_e32 v5, v12, v12
	v_and_b32_e32 v30, 31, v0
	v_cmp_gt_i32_e32 vcc_lo, 32, v1
	v_cndmask_b32_e32 v1, v11, v1, vcc_lo
	v_cmp_gt_i32_e32 vcc_lo, 32, v3
	s_waitcnt lgkmcnt(0)
	v_lshlrev_b32_e32 v2, 2, v1
	v_cndmask_b32_e32 v3, v11, v3, vcc_lo
	ds_bpermute_b32 v1, v2, v12
	v_lshlrev_b32_e32 v4, 2, v3
	s_waitcnt lgkmcnt(0)
	v_max_f32_e32 v1, v1, v1
	v_max_f32_e32 v1, v5, v1
	v_xor_b32_e32 v5, 4, v11
	ds_bpermute_b32 v3, v4, v1
	v_cmp_gt_i32_e32 vcc_lo, 32, v5
	v_cndmask_b32_e32 v5, v11, v5, vcc_lo
	v_cmp_eq_u32_e32 vcc_lo, 0, v30
	v_lshlrev_b32_e32 v7, 2, v5
	v_lshlrev_b32_e32 v5, 2, v28
	s_waitcnt lgkmcnt(0)
	v_max_f32_e32 v3, v3, v3
	v_max_f32_e32 v1, v1, v3
	ds_bpermute_b32 v3, v7, v1
	s_and_saveexec_b32 s2, vcc_lo
	s_cbranch_execz .LBB138_23
; %bb.22:
	s_waitcnt lgkmcnt(0)
	v_max_f32_e32 v3, v3, v3
	v_max_f32_e32 v1, v1, v1
	v_max_f32_e32 v1, v1, v3
	ds_write_b32 v5, v1 offset:256
.LBB138_23:
	s_or_b32 exec_lo, exec_lo, s2
	v_cmp_gt_u32_e64 s2, 4, v30
	v_mov_b32_e32 v1, 0xff7fffff
	v_lshlrev_b32_e32 v6, 2, v30
	s_waitcnt lgkmcnt(0)
	s_barrier
	buffer_gl0_inv
	s_and_saveexec_b32 s3, s2
; %bb.24:
	ds_read_b32 v1, v6 offset:256
; %bb.25:
	s_or_b32 exec_lo, exec_lo, s3
	v_xor_b32_e32 v3, 2, v11
	v_xor_b32_e32 v9, 1, v11
	v_mov_b32_e32 v10, 0
	v_cmp_gt_i32_e64 s3, 32, v3
	v_cndmask_b32_e64 v3, v11, v3, s3
	v_cmp_gt_i32_e64 s3, 32, v9
	v_lshlrev_b32_e32 v8, 2, v3
	v_cndmask_b32_e64 v9, v11, v9, s3
	s_sub_i32 s3, s16, s41
	s_lshl_b32 s3, s3, 3
	s_waitcnt lgkmcnt(0)
	ds_bpermute_b32 v3, v8, v1
	v_max_f32_e32 v1, v1, v1
	v_lshlrev_b32_e32 v9, 2, v9
	s_add_i32 s3, s3, s38
	s_min_i32 s3, s3, s27
	s_sub_i32 s5, s3, s38
	v_cmp_gt_i32_e64 s3, s5, v0
	s_waitcnt lgkmcnt(0)
	v_max_f32_e32 v3, v3, v3
	v_max_f32_e32 v1, v1, v3
	ds_bpermute_b32 v3, v9, v1
	s_waitcnt lgkmcnt(0)
	v_max_f32_e32 v3, v3, v3
	v_max_f32_e32 v1, v1, v3
	v_lshl_add_u32 v3, v0, 2, 0x120
	ds_bpermute_b32 v1, v10, v1
	s_and_saveexec_b32 s15, s3
	s_cbranch_execz .LBB138_29
; %bb.26:
	v_lshl_add_u32 v11, v0, 2, 0x120
	v_mov_b32_e32 v10, 0
	v_mov_b32_e32 v12, v0
	s_mov_b32 s37, 0
	.p2align	6
.LBB138_27:                             ; =>This Inner Loop Header: Depth=1
	ds_read_b32 v13, v11
	v_add_nc_u32_e32 v12, 0x80, v12
	v_cmp_le_i32_e64 s4, s5, v12
	s_or_b32 s37, s4, s37
	s_waitcnt lgkmcnt(0)
	v_sub_f32_e32 v13, v13, v1
	v_mul_f32_e32 v13, 0x3fb8aa3b, v13
	v_exp_f32_e32 v13, v13
	ds_write_b32 v11, v13
	v_add_f32_e32 v10, v10, v13
	v_add_nc_u32_e32 v11, 0x200, v11
	s_andn2_b32 exec_lo, exec_lo, s37
	s_cbranch_execnz .LBB138_27
; %bb.28:
	s_or_b32 exec_lo, exec_lo, s37
.LBB138_29:
	s_or_b32 exec_lo, exec_lo, s15
	ds_bpermute_b32 v2, v2, v10
	s_waitcnt lgkmcnt(0)
	v_add_f32_e32 v2, v10, v2
	ds_bpermute_b32 v4, v4, v2
	s_waitcnt lgkmcnt(0)
	v_add_f32_e32 v2, v2, v4
	;; [unrolled: 3-line block ×5, first 2 shown]
	s_and_saveexec_b32 s4, vcc_lo
; %bb.30:
	ds_write_b32 v5, v2 offset:272
; %bb.31:
	s_or_b32 exec_lo, exec_lo, s4
	s_waitcnt lgkmcnt(0)
	s_barrier
	buffer_gl0_inv
	s_and_saveexec_b32 s4, s2
; %bb.32:
	ds_read_b32 v2, v6 offset:272
; %bb.33:
	s_or_b32 exec_lo, exec_lo, s4
	s_waitcnt lgkmcnt(0)
	ds_bpermute_b32 v4, v8, v2
	s_waitcnt lgkmcnt(0)
	v_add_f32_e32 v2, v2, v4
	ds_bpermute_b32 v4, v9, v2
	s_waitcnt lgkmcnt(0)
	v_add_f32_e32 v2, v2, v4
	v_mov_b32_e32 v4, 0
	ds_bpermute_b32 v2, v4, v2
	s_and_saveexec_b32 s2, s3
	s_cbranch_execz .LBB138_36
; %bb.34:
	s_waitcnt lgkmcnt(0)
	v_add_f32_e32 v4, 0x358637bd, v2
	s_mov_b32 s3, 0
	v_div_scale_f32 v5, null, v4, v4, 1.0
	v_div_scale_f32 v8, vcc_lo, 1.0, v4, 1.0
	v_rcp_f32_e32 v6, v5
	v_fma_f32 v7, -v5, v6, 1.0
	v_fmac_f32_e32 v6, v7, v6
	v_mul_f32_e32 v7, v8, v6
	v_fma_f32 v9, -v5, v7, v8
	v_fmac_f32_e32 v7, v9, v6
	v_fma_f32 v5, -v5, v7, v8
	v_div_fmas_f32 v5, v5, v6, v7
	v_div_fixup_f32 v4, v5, v4, 1.0
	v_mov_b32_e32 v5, v0
.LBB138_35:                             ; =>This Inner Loop Header: Depth=1
	ds_read_b32 v6, v3
	v_add_nc_u32_e32 v5, 0x80, v5
	v_cmp_le_i32_e32 vcc_lo, s5, v5
	s_or_b32 s3, vcc_lo, s3
	s_waitcnt lgkmcnt(0)
	v_mul_f32_e32 v6, v4, v6
	ds_write_b32 v3, v6
	v_add_nc_u32_e32 v3, 0x200, v3
	s_andn2_b32 exec_lo, exec_lo, s3
	s_cbranch_execnz .LBB138_35
.LBB138_36:
	s_or_b32 exec_lo, exec_lo, s2
	s_mul_i32 s2, s7, s26
	s_waitcnt lgkmcnt(0)
	s_mul_i32 s4, s2, s9
	s_mov_b32 s2, exec_lo
	s_barrier
	buffer_gl0_inv
	v_cmpx_eq_u32_e32 0, v0
	s_cbranch_execz .LBB138_38
; %bb.37:
	s_ashr_i32 s5, s4, 31
	s_mul_i32 s42, s7, s6
	s_lshl_b64 s[40:41], s[4:5], 2
	v_mov_b32_e32 v3, 0
	s_add_u32 s3, s22, s40
	s_addc_u32 s5, s23, s41
	s_ashr_i32 s43, s42, 31
	s_lshl_b64 s[22:23], s[42:43], 2
	s_add_u32 s3, s3, s22
	s_addc_u32 s5, s5, s23
	s_ashr_i32 s9, s8, 31
	s_lshl_b64 s[42:43], s[8:9], 2
	s_add_u32 s44, s3, s42
	s_addc_u32 s45, s5, s43
	s_add_u32 s3, s20, s40
	s_addc_u32 s5, s21, s41
	;; [unrolled: 2-line block ×4, first 2 shown]
	global_store_dword v3, v1, s[44:45]
	global_store_dword v3, v2, s[20:21]
.LBB138_38:
	s_or_b32 exec_lo, exec_lo, s2
	v_mov_b32_e32 v34, 0
	v_mov_b32_e32 v33, 0
	;; [unrolled: 1-line block ×4, first 2 shown]
	s_and_saveexec_b32 s5, s1
	s_cbranch_execz .LBB138_52
; %bb.39:
	s_ashr_i32 s15, s14, 31
	s_sub_i32 s6, s39, s17
	s_lshl_b64 s[2:3], s[14:15], 1
	v_lshlrev_b32_e32 v4, 4, v30
	s_add_u32 s1, s34, s2
	s_addc_u32 s14, s35, s3
	s_abs_i32 s9, s18
	s_add_i32 s36, s36, -1
	v_cvt_f32_u32_e32 v1, s9
	s_sub_i32 s2, 0, s9
	v_add_co_u32 v37, s1, s1, v4
	v_add_co_ci_u32_e64 v38, null, s14, 0, s1
	v_rcp_iflag_f32_e32 v1, v1
	v_mov_b32_e32 v35, 0
	v_lshl_add_u32 v36, v28, 5, 0x120
	v_mov_b32_e32 v31, 0
	v_mov_b32_e32 v32, 0
	;; [unrolled: 1-line block ×4, first 2 shown]
	s_mov_b32 s15, s27
	s_mov_b32 s14, 0
	v_mul_f32_e32 v1, 0x4f7ffffe, v1
	v_cvt_u32_f32_e32 v3, v1
	v_lshlrev_b64 v[1:2], 2, v[25:26]
	v_mul_lo_u32 v5, s2, v3
	s_lshl_b64 s[2:3], s[30:31], 2
	s_add_u32 s1, s28, s2
	s_addc_u32 s2, s29, s3
	v_add_co_u32 v26, vcc_lo, s1, v1
	v_add_co_ci_u32_e64 v27, null, s2, v2, vcc_lo
	v_mul_hi_u32 v5, v3, v5
	v_add_nc_u32_e32 v39, v3, v5
	s_branch .LBB138_42
.LBB138_40:                             ;   in Loop: Header=BB138_42 Depth=1
	s_or_b32 exec_lo, exec_lo, s3
	s_waitcnt lgkmcnt(1)
	v_bfe_u32 v40, v17, 16, 1
	v_bfe_u32 v41, v18, 16, 1
	v_or_b32_e32 v42, 0x400000, v17
	v_cmp_u_f32_e32 vcc_lo, v17, v17
	v_or_b32_e32 v43, 0x400000, v18
	v_add3_u32 v40, v40, v17, 0x7fff
	v_bfe_u32 v44, v19, 16, 1
	v_add3_u32 v41, v41, v18, 0x7fff
	v_bfe_u32 v45, v20, 16, 1
	v_cndmask_b32_e32 v40, v40, v42, vcc_lo
	v_cmp_u_f32_e32 vcc_lo, v18, v18
	v_add3_u32 v18, v44, v19, 0x7fff
	v_add3_u32 v42, v45, v20, 0x7fff
	s_waitcnt lgkmcnt(0)
	v_bfe_u32 v44, v13, 16, 1
	v_cndmask_b32_e32 v17, v41, v43, vcc_lo
	v_or_b32_e32 v41, 0x400000, v19
	v_cmp_u_f32_e32 vcc_lo, v19, v19
	v_or_b32_e32 v43, 0x400000, v20
	v_bfe_u32 v19, v14, 16, 1
	v_and_b32_e32 v17, 0xffff0000, v17
	v_cndmask_b32_e32 v18, v18, v41, vcc_lo
	v_cmp_u_f32_e32 vcc_lo, v20, v20
	v_add3_u32 v41, v44, v13, 0x7fff
	v_add3_u32 v19, v19, v14, 0x7fff
	v_bfe_u32 v44, v15, 16, 1
	v_and_b32_e32 v18, 0xffff0000, v18
	v_cndmask_b32_e32 v20, v42, v43, vcc_lo
	v_or_b32_e32 v42, 0x400000, v13
	v_cmp_u_f32_e32 vcc_lo, v13, v13
	v_or_b32_e32 v43, 0x400000, v14
	v_and_b32_e32 v13, 0xffff0000, v40
	v_or_b32_e32 v40, 0x400000, v15
	v_cndmask_b32_e32 v41, v41, v42, vcc_lo
	v_cmp_u_f32_e32 vcc_lo, v14, v14
	v_bfe_u32 v42, v16, 16, 1
	v_cndmask_b32_e32 v14, v19, v43, vcc_lo
	s_waitcnt vmcnt(1)
	v_and_b32_e32 v43, 0xffff0000, v21
	v_add3_u32 v19, v44, v15, 0x7fff
	v_lshlrev_b32_e32 v21, 16, v21
	v_cmp_u_f32_e32 vcc_lo, v15, v15
	v_add3_u32 v42, v42, v16, 0x7fff
	v_mul_f32_e32 v43, v17, v43
	v_or_b32_e32 v44, 0x400000, v16
	v_mul_f32_e32 v21, v13, v21
	v_cndmask_b32_e32 v40, v19, v40, vcc_lo
	v_cmp_u_f32_e32 vcc_lo, v16, v16
	v_bfe_u32 v15, v43, 16, 1
	v_and_b32_e32 v16, 0xffff0000, v20
	v_bfe_u32 v19, v21, 16, 1
	v_and_b32_e32 v20, 0xffff0000, v22
	v_cndmask_b32_e32 v42, v42, v44, vcc_lo
	v_add3_u32 v15, v15, v43, 0x7fff
	v_or_b32_e32 v44, 0x400000, v43
	v_cmp_u_f32_e32 vcc_lo, v43, v43
	v_add3_u32 v19, v19, v21, 0x7fff
	v_or_b32_e32 v45, 0x400000, v21
	v_mul_f32_e32 v20, v16, v20
	v_lshlrev_b32_e32 v22, 16, v22
	v_cndmask_b32_e32 v43, v15, v44, vcc_lo
	v_cmp_u_f32_e32 vcc_lo, v21, v21
	v_and_b32_e32 v15, 0xffff0000, v41
	v_bfe_u32 v44, v20, 16, 1
	v_mul_f32_e32 v22, v18, v22
	v_and_b32_e32 v43, 0xffff0000, v43
	v_cndmask_b32_e32 v21, v19, v45, vcc_lo
	v_and_b32_e32 v19, 0xffff0000, v14
	v_and_b32_e32 v14, 0xffff0000, v23
	v_lshlrev_b32_e32 v23, 16, v23
	v_add3_u32 v41, v44, v20, 0x7fff
	v_or_b32_e32 v44, 0x400000, v20
	v_bfe_u32 v45, v22, 16, 1
	v_mul_f32_e32 v46, v19, v14
	v_cmp_u_f32_e32 vcc_lo, v20, v20
	v_mul_f32_e32 v23, v15, v23
	v_and_b32_e32 v14, 0xffff0000, v42
	v_add3_u32 v20, v45, v22, 0x7fff
	v_bfe_u32 v45, v46, 16, 1
	v_cndmask_b32_e32 v41, v41, v44, vcc_lo
	v_or_b32_e32 v44, 0x400000, v22
	v_and_b32_e32 v42, 0xffff0000, v24
	v_cmp_u_f32_e32 vcc_lo, v22, v22
	v_bfe_u32 v47, v23, 16, 1
	v_lshlrev_b32_e32 v24, 16, v24
	v_and_b32_e32 v21, 0xffff0000, v21
	v_mul_f32_e32 v42, v14, v42
	v_cndmask_b32_e32 v22, v20, v44, vcc_lo
	v_add3_u32 v44, v45, v46, 0x7fff
	v_or_b32_e32 v45, 0x400000, v46
	v_and_b32_e32 v20, 0xffff0000, v40
	v_cmp_u_f32_e32 vcc_lo, v46, v46
	v_add3_u32 v47, v47, v23, 0x7fff
	v_or_b32_e32 v40, 0x400000, v23
	v_bfe_u32 v48, v42, 16, 1
	v_mul_f32_e32 v24, v20, v24
	v_cndmask_b32_e32 v44, v44, v45, vcc_lo
	v_cmp_u_f32_e32 vcc_lo, v23, v23
	v_or_b32_e32 v45, 0x400000, v42
	v_and_b32_e32 v22, 0xffff0000, v22
	v_bfe_u32 v46, v24, 16, 1
	v_and_b32_e32 v41, 0xffff0000, v41
	v_cndmask_b32_e32 v23, v47, v40, vcc_lo
	v_add3_u32 v40, v48, v42, 0x7fff
	v_cmp_u_f32_e32 vcc_lo, v42, v42
	v_add3_u32 v42, v46, v24, 0x7fff
	v_add_f32_e32 v21, v21, v43
	v_add_f32_e32 v22, v22, v41
	v_and_b32_e32 v23, 0xffff0000, v23
	v_cndmask_b32_e32 v40, v40, v45, vcc_lo
	v_or_b32_e32 v45, 0x400000, v24
	v_and_b32_e32 v41, 0xffff0000, v44
	v_and_b32_e32 v43, 0xffff0000, v9
	v_cmp_u_f32_e32 vcc_lo, v24, v24
	v_lshlrev_b32_e32 v9, 16, v9
	v_add_f32_e32 v21, v22, v21
	v_add_f32_e32 v22, v23, v41
	v_mul_f32_e32 v23, v17, v43
	v_cndmask_b32_e32 v24, v42, v45, vcc_lo
	v_mul_f32_e32 v41, v13, v9
	v_and_b32_e32 v40, 0xffff0000, v40
	v_and_b32_e32 v42, 0xffff0000, v10
	v_bfe_u32 v43, v23, 16, 1
	v_and_b32_e32 v24, 0xffff0000, v24
	v_add_f32_e32 v9, v22, v21
	v_bfe_u32 v22, v41, 16, 1
	v_cmp_u_f32_e32 vcc_lo, v23, v23
	v_lshlrev_b32_e32 v10, 16, v10
	v_add_f32_e32 v21, v24, v40
	v_mul_f32_e32 v24, v16, v42
	v_add3_u32 v40, v43, v23, 0x7fff
	v_or_b32_e32 v42, 0x400000, v23
	v_add3_u32 v22, v22, v41, 0x7fff
	v_or_b32_e32 v43, 0x400000, v41
	v_bfe_u32 v44, v24, 16, 1
	v_mul_f32_e32 v10, v18, v10
	v_cndmask_b32_e32 v23, v40, v42, vcc_lo
	v_cmp_u_f32_e32 vcc_lo, v41, v41
	v_or_b32_e32 v41, 0x400000, v24
	v_add3_u32 v40, v44, v24, 0x7fff
	v_and_b32_e32 v42, 0xffff0000, v11
	v_lshlrev_b32_e32 v11, 16, v11
	v_cndmask_b32_e32 v22, v22, v43, vcc_lo
	v_cmp_u_f32_e32 vcc_lo, v24, v24
	v_bfe_u32 v43, v10, 16, 1
	v_and_b32_e32 v23, 0xffff0000, v23
	v_mul_f32_e32 v11, v15, v11
	v_and_b32_e32 v22, 0xffff0000, v22
	v_cndmask_b32_e32 v24, v40, v41, vcc_lo
	v_mul_f32_e32 v40, v19, v42
	v_add3_u32 v41, v43, v10, 0x7fff
	v_or_b32_e32 v42, 0x400000, v10
	v_and_b32_e32 v43, 0xffff0000, v12
	v_cmp_u_f32_e32 vcc_lo, v10, v10
	v_bfe_u32 v44, v40, 16, 1
	v_bfe_u32 v45, v11, 16, 1
	v_lshlrev_b32_e32 v12, 16, v12
	v_and_b32_e32 v24, 0xffff0000, v24
	v_cndmask_b32_e32 v10, v41, v42, vcc_lo
	v_mul_f32_e32 v41, v14, v43
	v_add3_u32 v42, v44, v40, 0x7fff
	v_or_b32_e32 v43, 0x400000, v40
	v_cmp_u_f32_e32 vcc_lo, v40, v40
	v_add3_u32 v44, v45, v11, 0x7fff
	v_or_b32_e32 v45, 0x400000, v11
	v_bfe_u32 v46, v41, 16, 1
	v_and_b32_e32 v10, 0xffff0000, v10
	v_cndmask_b32_e32 v40, v42, v43, vcc_lo
	v_cmp_u_f32_e32 vcc_lo, v11, v11
	v_or_b32_e32 v43, 0x400000, v41
	v_add3_u32 v42, v46, v41, 0x7fff
	v_mul_f32_e32 v12, v20, v12
	v_add_f32_e32 v22, v22, v23
	v_cndmask_b32_e32 v11, v44, v45, vcc_lo
	v_cmp_u_f32_e32 vcc_lo, v41, v41
	v_add_f32_e32 v10, v10, v24
	v_and_b32_e32 v23, 0xffff0000, v1
	v_and_b32_e32 v24, 0xffff0000, v40
	v_and_b32_e32 v11, 0xffff0000, v11
	v_cndmask_b32_e32 v41, v42, v43, vcc_lo
	v_bfe_u32 v42, v12, 16, 1
	v_add_f32_e32 v10, v10, v22
	v_mul_f32_e32 v22, v17, v23
	v_add_f32_e32 v11, v11, v24
	v_lshlrev_b32_e32 v1, 16, v1
	v_add3_u32 v40, v42, v12, 0x7fff
	v_or_b32_e32 v42, 0x400000, v12
	v_cmp_u_f32_e32 vcc_lo, v12, v12
	v_bfe_u32 v23, v22, 16, 1
	v_add_f32_e32 v10, v11, v10
	v_and_b32_e32 v11, 0xffff0000, v2
	v_mul_f32_e32 v1, v13, v1
	v_cndmask_b32_e32 v12, v40, v42, vcc_lo
	v_add3_u32 v23, v23, v22, 0x7fff
	v_or_b32_e32 v24, 0x400000, v22
	v_mul_f32_e32 v11, v16, v11
	v_and_b32_e32 v40, 0xffff0000, v41
	v_bfe_u32 v41, v1, 16, 1
	v_cmp_u_f32_e32 vcc_lo, v22, v22
	v_lshlrev_b32_e32 v2, 16, v2
	v_or_b32_e32 v42, 0x400000, v1
	v_or_b32_e32 v43, 0x400000, v11
	v_and_b32_e32 v12, 0xffff0000, v12
	v_cndmask_b32_e32 v22, v23, v24, vcc_lo
	v_bfe_u32 v23, v11, 16, 1
	v_add3_u32 v24, v41, v1, 0x7fff
	v_and_b32_e32 v41, 0xffff0000, v3
	v_mul_f32_e32 v2, v18, v2
	v_cmp_u_f32_e32 vcc_lo, v1, v1
	v_add3_u32 v23, v23, v11, 0x7fff
	v_lshlrev_b32_e32 v3, 16, v3
	v_mul_f32_e32 v41, v19, v41
	v_and_b32_e32 v22, 0xffff0000, v22
	v_cndmask_b32_e32 v1, v24, v42, vcc_lo
	v_bfe_u32 v24, v2, 16, 1
	v_cmp_u_f32_e32 vcc_lo, v11, v11
	v_and_b32_e32 v42, 0xffff0000, v4
	v_mul_f32_e32 v3, v15, v3
	v_or_b32_e32 v44, 0x400000, v41
	v_add3_u32 v24, v24, v2, 0x7fff
	v_cndmask_b32_e32 v11, v23, v43, vcc_lo
	v_bfe_u32 v23, v41, 16, 1
	v_or_b32_e32 v43, 0x400000, v2
	v_cmp_u_f32_e32 vcc_lo, v2, v2
	v_mul_f32_e32 v42, v14, v42
	v_lshlrev_b32_e32 v4, 16, v4
	v_add3_u32 v23, v23, v41, 0x7fff
	v_and_b32_e32 v1, 0xffff0000, v1
	v_cndmask_b32_e32 v2, v24, v43, vcc_lo
	v_bfe_u32 v24, v3, 16, 1
	v_cmp_u_f32_e32 vcc_lo, v41, v41
	v_bfe_u32 v43, v42, 16, 1
	v_or_b32_e32 v41, 0x400000, v3
	v_mul_f32_e32 v4, v20, v4
	v_add3_u32 v24, v24, v3, 0x7fff
	v_cndmask_b32_e32 v23, v23, v44, vcc_lo
	v_cmp_u_f32_e32 vcc_lo, v3, v3
	v_add3_u32 v43, v43, v42, 0x7fff
	v_or_b32_e32 v44, 0x400000, v42
	v_and_b32_e32 v2, 0xffff0000, v2
	v_and_b32_e32 v11, 0xffff0000, v11
	v_cndmask_b32_e32 v3, v24, v41, vcc_lo
	v_cmp_u_f32_e32 vcc_lo, v42, v42
	v_bfe_u32 v41, v4, 16, 1
	v_add_f32_e32 v1, v1, v22
	v_add_f32_e32 v2, v2, v11
	v_and_b32_e32 v3, 0xffff0000, v3
	v_cndmask_b32_e32 v24, v43, v44, vcc_lo
	s_waitcnt vmcnt(0)
	v_and_b32_e32 v43, 0xffff0000, v5
	v_and_b32_e32 v11, 0xffff0000, v23
	v_lshlrev_b32_e32 v5, 16, v5
	v_add3_u32 v41, v41, v4, 0x7fff
	v_or_b32_e32 v42, 0x400000, v4
	v_mul_f32_e32 v17, v17, v43
	v_cmp_u_f32_e32 vcc_lo, v4, v4
	v_add_f32_e32 v1, v2, v1
	v_add_f32_e32 v3, v3, v11
	v_mul_f32_e32 v5, v13, v5
	v_bfe_u32 v2, v17, 16, 1
	v_and_b32_e32 v11, 0xffff0000, v6
	v_cndmask_b32_e32 v4, v41, v42, vcc_lo
	v_or_b32_e32 v13, 0x400000, v17
	v_bfe_u32 v22, v5, 16, 1
	v_add3_u32 v2, v2, v17, 0x7fff
	v_mul_f32_e32 v11, v16, v11
	v_lshlrev_b32_e32 v6, 16, v6
	v_cmp_u_f32_e32 vcc_lo, v17, v17
	v_or_b32_e32 v16, 0x400000, v5
	v_and_b32_e32 v4, 0xffff0000, v4
	v_bfe_u32 v17, v11, 16, 1
	v_mul_f32_e32 v6, v18, v6
	v_cndmask_b32_e32 v2, v2, v13, vcc_lo
	v_add3_u32 v13, v22, v5, 0x7fff
	v_and_b32_e32 v18, 0xffff0000, v7
	v_cmp_u_f32_e32 vcc_lo, v5, v5
	v_lshlrev_b32_e32 v7, 16, v7
	v_and_b32_e32 v2, 0xffff0000, v2
	v_add_f32_e32 v1, v3, v1
	v_mul_f32_e32 v18, v19, v18
	v_cndmask_b32_e32 v5, v13, v16, vcc_lo
	v_add3_u32 v13, v17, v11, 0x7fff
	v_or_b32_e32 v16, 0x400000, v11
	v_bfe_u32 v17, v6, 16, 1
	v_cmp_u_f32_e32 vcc_lo, v11, v11
	v_mul_f32_e32 v7, v15, v7
	v_and_b32_e32 v15, 0xffff0000, v8
	v_lshlrev_b32_e32 v8, 16, v8
	v_and_b32_e32 v5, 0xffff0000, v5
	v_cndmask_b32_e32 v11, v13, v16, vcc_lo
	v_add3_u32 v13, v17, v6, 0x7fff
	v_or_b32_e32 v16, 0x400000, v6
	v_bfe_u32 v17, v18, 16, 1
	v_cmp_u_f32_e32 vcc_lo, v6, v6
	v_mul_f32_e32 v14, v14, v15
	v_mul_f32_e32 v8, v20, v8
	v_or_b32_e32 v15, 0x400000, v18
	v_and_b32_e32 v11, 0xffff0000, v11
	v_cndmask_b32_e32 v6, v13, v16, vcc_lo
	v_bfe_u32 v13, v7, 16, 1
	v_add3_u32 v16, v17, v18, 0x7fff
	v_cmp_u_f32_e32 vcc_lo, v18, v18
	v_or_b32_e32 v17, 0x400000, v7
	v_bfe_u32 v20, v8, 16, 1
	v_add3_u32 v13, v13, v7, 0x7fff
	v_bfe_u32 v19, v14, 16, 1
	v_cndmask_b32_e32 v15, v16, v15, vcc_lo
	v_cmp_u_f32_e32 vcc_lo, v7, v7
	v_add3_u32 v16, v20, v8, 0x7fff
	v_and_b32_e32 v6, 0xffff0000, v6
	v_or_b32_e32 v18, 0x400000, v14
	v_add_f32_e32 v2, v5, v2
	v_cndmask_b32_e32 v7, v13, v17, vcc_lo
	v_or_b32_e32 v17, 0x400000, v8
	v_cmp_u_f32_e32 vcc_lo, v8, v8
	v_add3_u32 v13, v19, v14, 0x7fff
	v_add_f32_e32 v5, v6, v11
	v_and_b32_e32 v6, 0xffff0000, v7
	v_and_b32_e32 v7, 0xffff0000, v15
	v_cndmask_b32_e32 v8, v16, v17, vcc_lo
	v_cmp_u_f32_e32 vcc_lo, v14, v14
	v_add_f32_e32 v2, v5, v2
	v_add_f32_e32 v5, v6, v7
	v_and_b32_e32 v6, 0xffff0000, v8
	v_cndmask_b32_e32 v11, v13, v18, vcc_lo
	v_and_b32_e32 v13, 0xffff0000, v24
	v_add_f32_e32 v8, v12, v40
	v_add_f32_e32 v2, v5, v2
	;; [unrolled: 1-line block ×3, first 2 shown]
	v_and_b32_e32 v7, 0xffff0000, v11
	v_add_f32_e32 v3, v4, v13
	v_add_f32_e32 v32, v32, v5
	;; [unrolled: 1-line block ×9, first 2 shown]
.LBB138_41:                             ;   in Loop: Header=BB138_42 Depth=1
	s_or_b32 exec_lo, exec_lo, s17
	v_add_nc_u32_e32 v25, 4, v25
	v_add_co_u32 v26, s1, v26, 16
	v_add_co_ci_u32_e64 v27, null, 0, v27, s1
	v_cmp_le_i32_e32 vcc_lo, s16, v25
	v_add_nc_u32_e32 v29, 32, v29
	v_add_nc_u32_e32 v36, 0x80, v36
	s_or_b32 s14, vcc_lo, s14
	s_andn2_b32 exec_lo, exec_lo, s14
	s_cbranch_execz .LBB138_51
.LBB138_42:                             ; =>This Inner Loop Header: Depth=1
	v_sub_nc_u32_e32 v1, 0, v29
	v_max_i32_e32 v1, v29, v1
	v_mul_hi_u32 v2, v1, s12
	v_mul_lo_u32 v3, v2, s11
	v_sub_nc_u32_e32 v1, v1, v3
	v_add_nc_u32_e32 v3, 1, v2
	v_subrev_nc_u32_e32 v4, s11, v1
	v_cmp_le_u32_e32 vcc_lo, s11, v1
	v_cndmask_b32_e32 v2, v2, v3, vcc_lo
	v_cndmask_b32_e32 v1, v1, v4, vcc_lo
	v_ashrrev_i32_e32 v3, 31, v29
	v_add_nc_u32_e32 v4, 1, v2
	v_cmp_le_u32_e32 vcc_lo, s11, v1
	v_xor_b32_e32 v3, s19, v3
	v_cndmask_b32_e32 v1, v2, v4, vcc_lo
	v_xor_b32_e32 v1, v1, v3
	v_sub_nc_u32_e32 v1, v1, v3
	v_add_nc_u32_e32 v2, s33, v1
	v_cmp_lt_i32_e64 s1, s6, v1
	v_sub_nc_u32_e32 v3, 0, v2
	v_max_i32_e32 v3, v2, v3
	v_ashrrev_i32_e32 v2, 31, v2
	v_mul_hi_u32 v4, v3, v39
	v_mul_lo_u32 v4, v4, s9
	v_sub_nc_u32_e32 v3, v3, v4
	v_subrev_nc_u32_e32 v4, s9, v3
	v_cmp_le_u32_e32 vcc_lo, s9, v3
	v_cndmask_b32_e32 v3, v3, v4, vcc_lo
	v_subrev_nc_u32_e32 v4, s9, v3
	v_cmp_le_u32_e32 vcc_lo, s9, v3
	v_cndmask_b32_e32 v3, v3, v4, vcc_lo
	v_xor_b32_e32 v3, v3, v2
	v_sub_nc_u32_e32 v2, v3, v2
	v_cmp_eq_u32_e32 vcc_lo, 0, v2
	s_or_b32 s1, vcc_lo, s1
	s_and_saveexec_b32 s17, s1
	s_cbranch_execz .LBB138_41
; %bb.43:                               ;   in Loop: Header=BB138_42 Depth=1
	global_load_dword v1, v[26:27], off
	v_cmp_eq_u32_e64 s1, s36, v25
	v_add_nc_u32_e32 v46, 1, v29
	v_or_b32_e32 v44, 3, v29
	v_or_b32_e32 v45, 2, v29
	;; [unrolled: 1-line block ×6, first 2 shown]
	s_waitcnt vmcnt(0)
	v_mad_i64_i32 v[1:2], null, v1, s13, 0
	v_lshlrev_b64 v[1:2], 1, v[1:2]
	v_add_co_u32 v5, vcc_lo, v37, v1
	v_add_co_ci_u32_e64 v6, null, v38, v2, vcc_lo
	global_load_dwordx4 v[1:4], v[5:6], off
	ds_read2_b64 v[17:20], v36 offset1:1
	ds_read2_b64 v[13:16], v36 offset0:2 offset1:3
	s_and_saveexec_b32 s18, s1
	s_cbranch_execnz .LBB138_47
; %bb.44:                               ;   in Loop: Header=BB138_42 Depth=1
	s_or_b32 exec_lo, exec_lo, s18
	global_load_dwordx4 v[9:12], v[5:6], off offset:512
	s_and_saveexec_b32 s18, s1
	s_cbranch_execnz .LBB138_48
.LBB138_45:                             ;   in Loop: Header=BB138_42 Depth=1
	s_or_b32 exec_lo, exec_lo, s18
	global_load_dwordx4 v[21:24], v[5:6], off offset:1024
	s_and_saveexec_b32 s18, s1
	s_cbranch_execnz .LBB138_49
.LBB138_46:                             ;   in Loop: Header=BB138_42 Depth=1
	s_or_b32 exec_lo, exec_lo, s18
	global_load_dwordx4 v[5:8], v[5:6], off offset:1536
	s_and_saveexec_b32 s3, s1
	s_cbranch_execz .LBB138_40
	s_branch .LBB138_50
.LBB138_47:                             ;   in Loop: Header=BB138_42 Depth=1
	v_cmp_gt_i32_e64 s2, s27, v29
	v_cmp_gt_i32_e32 vcc_lo, s15, v46
	v_cmp_gt_i32_e64 s3, s27, v45
	s_waitcnt vmcnt(0)
	v_cndmask_b32_e64 v7, 0, v1, s2
	v_cmp_gt_i32_e64 s2, s15, v44
	v_cndmask_b32_sdwa v1, v35, v1, vcc_lo dst_sel:DWORD dst_unused:UNUSED_PAD src0_sel:DWORD src1_sel:WORD_1
	v_cndmask_b32_e64 v8, 0, v2, s3
	v_cmp_gt_i32_e64 s3, s15, v43
	s_mov_b32 vcc_lo, s2
	v_cmp_gt_i32_e64 s2, s15, v41
	v_cndmask_b32_sdwa v2, v35, v2, vcc_lo dst_sel:DWORD dst_unused:UNUSED_PAD src0_sel:DWORD src1_sel:WORD_1
	v_cmp_gt_i32_e32 vcc_lo, s27, v42
	v_perm_b32 v1, v1, v7, 0x5040100
	v_perm_b32 v2, v2, v8, 0x5040100
	v_cndmask_b32_e32 v9, 0, v3, vcc_lo
	s_mov_b32 vcc_lo, s3
	v_cndmask_b32_sdwa v3, v35, v3, vcc_lo dst_sel:DWORD dst_unused:UNUSED_PAD src0_sel:DWORD src1_sel:WORD_1
	v_cmp_gt_i32_e32 vcc_lo, s27, v40
	v_perm_b32 v3, v3, v9, 0x5040100
	v_cndmask_b32_e32 v10, 0, v4, vcc_lo
	s_mov_b32 vcc_lo, s2
	v_cndmask_b32_sdwa v4, v35, v4, vcc_lo dst_sel:DWORD dst_unused:UNUSED_PAD src0_sel:DWORD src1_sel:WORD_1
	v_perm_b32 v4, v4, v10, 0x5040100
	s_or_b32 exec_lo, exec_lo, s18
	global_load_dwordx4 v[9:12], v[5:6], off offset:512
	s_and_saveexec_b32 s18, s1
	s_cbranch_execz .LBB138_45
.LBB138_48:                             ;   in Loop: Header=BB138_42 Depth=1
	v_cmp_gt_i32_e64 s2, s27, v29
	v_cmp_gt_i32_e32 vcc_lo, s15, v46
	v_cmp_gt_i32_e64 s3, s27, v45
	s_waitcnt vmcnt(0)
	v_cndmask_b32_e64 v7, 0, v9, s2
	v_cmp_gt_i32_e64 s2, s15, v44
	v_cndmask_b32_sdwa v9, v35, v9, vcc_lo dst_sel:DWORD dst_unused:UNUSED_PAD src0_sel:DWORD src1_sel:WORD_1
	v_cndmask_b32_e64 v8, 0, v10, s3
	v_cmp_gt_i32_e64 s3, s15, v43
	s_mov_b32 vcc_lo, s2
	v_cmp_gt_i32_e64 s2, s15, v41
	v_cndmask_b32_sdwa v10, v35, v10, vcc_lo dst_sel:DWORD dst_unused:UNUSED_PAD src0_sel:DWORD src1_sel:WORD_1
	v_cmp_gt_i32_e32 vcc_lo, s27, v42
	v_perm_b32 v9, v9, v7, 0x5040100
	v_perm_b32 v10, v10, v8, 0x5040100
	v_cndmask_b32_e32 v21, 0, v11, vcc_lo
	s_mov_b32 vcc_lo, s3
	v_cndmask_b32_sdwa v11, v35, v11, vcc_lo dst_sel:DWORD dst_unused:UNUSED_PAD src0_sel:DWORD src1_sel:WORD_1
	v_cmp_gt_i32_e32 vcc_lo, s27, v40
	v_perm_b32 v11, v11, v21, 0x5040100
	v_cndmask_b32_e32 v22, 0, v12, vcc_lo
	s_mov_b32 vcc_lo, s2
	v_cndmask_b32_sdwa v12, v35, v12, vcc_lo dst_sel:DWORD dst_unused:UNUSED_PAD src0_sel:DWORD src1_sel:WORD_1
	v_perm_b32 v12, v12, v22, 0x5040100
	s_or_b32 exec_lo, exec_lo, s18
	global_load_dwordx4 v[21:24], v[5:6], off offset:1024
	s_and_saveexec_b32 s18, s1
	s_cbranch_execz .LBB138_46
.LBB138_49:                             ;   in Loop: Header=BB138_42 Depth=1
	v_cmp_gt_i32_e64 s2, s27, v29
	v_cmp_gt_i32_e32 vcc_lo, s15, v46
	v_cmp_gt_i32_e64 s3, s27, v45
	s_waitcnt vmcnt(0)
	v_cndmask_b32_e64 v7, 0, v21, s2
	v_cmp_gt_i32_e64 s2, s15, v44
	v_cndmask_b32_sdwa v21, v35, v21, vcc_lo dst_sel:DWORD dst_unused:UNUSED_PAD src0_sel:DWORD src1_sel:WORD_1
	v_cndmask_b32_e64 v8, 0, v22, s3
	v_cmp_gt_i32_e64 s3, s15, v43
	s_mov_b32 vcc_lo, s2
	v_cmp_gt_i32_e64 s2, s15, v41
	v_cndmask_b32_sdwa v22, v35, v22, vcc_lo dst_sel:DWORD dst_unused:UNUSED_PAD src0_sel:DWORD src1_sel:WORD_1
	v_cmp_gt_i32_e32 vcc_lo, s27, v42
	v_perm_b32 v21, v21, v7, 0x5040100
	v_perm_b32 v22, v22, v8, 0x5040100
	v_cndmask_b32_e32 v47, 0, v23, vcc_lo
	s_mov_b32 vcc_lo, s3
	v_cndmask_b32_sdwa v23, v35, v23, vcc_lo dst_sel:DWORD dst_unused:UNUSED_PAD src0_sel:DWORD src1_sel:WORD_1
	v_cmp_gt_i32_e32 vcc_lo, s27, v40
	v_perm_b32 v23, v23, v47, 0x5040100
	v_cndmask_b32_e32 v48, 0, v24, vcc_lo
	s_mov_b32 vcc_lo, s2
	v_cndmask_b32_sdwa v24, v35, v24, vcc_lo dst_sel:DWORD dst_unused:UNUSED_PAD src0_sel:DWORD src1_sel:WORD_1
	v_perm_b32 v24, v24, v48, 0x5040100
	s_or_b32 exec_lo, exec_lo, s18
	global_load_dwordx4 v[5:8], v[5:6], off offset:1536
	s_and_saveexec_b32 s3, s1
	s_cbranch_execz .LBB138_40
.LBB138_50:                             ;   in Loop: Header=BB138_42 Depth=1
	v_cmp_gt_i32_e64 s1, s27, v29
	v_cmp_gt_i32_e32 vcc_lo, s15, v46
	v_cmp_gt_i32_e64 s2, s27, v45
	s_waitcnt vmcnt(0)
	v_cndmask_b32_e64 v46, 0, v5, s1
	v_cmp_gt_i32_e64 s1, s15, v44
	v_cndmask_b32_sdwa v5, v35, v5, vcc_lo dst_sel:DWORD dst_unused:UNUSED_PAD src0_sel:DWORD src1_sel:WORD_1
	v_cndmask_b32_e64 v44, 0, v6, s2
	v_cmp_gt_i32_e64 s2, s15, v43
	s_mov_b32 vcc_lo, s1
	v_cmp_gt_i32_e64 s1, s15, v41
	v_cndmask_b32_sdwa v6, v35, v6, vcc_lo dst_sel:DWORD dst_unused:UNUSED_PAD src0_sel:DWORD src1_sel:WORD_1
	v_cmp_gt_i32_e32 vcc_lo, s27, v42
	v_perm_b32 v5, v5, v46, 0x5040100
	v_perm_b32 v6, v6, v44, 0x5040100
	v_cndmask_b32_e32 v42, 0, v7, vcc_lo
	s_mov_b32 vcc_lo, s2
	v_cndmask_b32_sdwa v7, v35, v7, vcc_lo dst_sel:DWORD dst_unused:UNUSED_PAD src0_sel:DWORD src1_sel:WORD_1
	v_cmp_gt_i32_e32 vcc_lo, s27, v40
	v_perm_b32 v7, v7, v42, 0x5040100
	v_cndmask_b32_e32 v40, 0, v8, vcc_lo
	s_mov_b32 vcc_lo, s1
	v_cndmask_b32_sdwa v8, v35, v8, vcc_lo dst_sel:DWORD dst_unused:UNUSED_PAD src0_sel:DWORD src1_sel:WORD_1
	v_perm_b32 v8, v8, v40, 0x5040100
	s_branch .LBB138_40
.LBB138_51:
	s_or_b32 exec_lo, exec_lo, s14
.LBB138_52:
	s_or_b32 exec_lo, exec_lo, s5
	v_lshl_add_u32 v2, v30, 2, 0x120
	v_and_b32_e32 v3, 0x3c0, v0
	s_mov_b32 s1, exec_lo
	s_waitcnt_vscnt null, 0x0
	s_barrier
	v_lshl_add_u32 v1, v28, 9, v2
	buffer_gl0_inv
	v_cmpx_eq_u32_e32 64, v3
	s_cbranch_execz .LBB138_54
; %bb.53:
	v_add_nc_u32_e32 v3, 0xfffffc00, v1
	v_add_nc_u32_e32 v4, 0xfffffc80, v1
	;; [unrolled: 1-line block ×4, first 2 shown]
	ds_write_b32 v3, v34
	ds_write_b32 v4, v33
	;; [unrolled: 1-line block ×4, first 2 shown]
.LBB138_54:
	s_or_b32 exec_lo, exec_lo, s1
	s_waitcnt lgkmcnt(0)
	s_barrier
	buffer_gl0_inv
	s_and_saveexec_b32 s1, s0
	s_cbranch_execz .LBB138_56
; %bb.55:
	ds_read2_b32 v[3:4], v1 offset1:32
	ds_read2_b32 v[5:6], v1 offset0:64 offset1:96
	s_waitcnt lgkmcnt(1)
	v_add_f32_e32 v34, v34, v3
	v_add_f32_e32 v33, v33, v4
	s_waitcnt lgkmcnt(0)
	v_add_f32_e32 v32, v32, v5
	v_add_f32_e32 v31, v31, v6
.LBB138_56:
	s_or_b32 exec_lo, exec_lo, s1
	v_and_b32_e32 v3, 0x3e0, v0
	s_mov_b32 s0, exec_lo
	s_barrier
	buffer_gl0_inv
	v_cmpx_eq_u32_e32 32, v3
	s_cbranch_execz .LBB138_58
; %bb.57:
	ds_write2_b32 v2, v34, v33 offset1:32
	ds_write2_b32 v2, v32, v31 offset0:64 offset1:96
.LBB138_58:
	s_or_b32 exec_lo, exec_lo, s0
	v_cmp_gt_u32_e32 vcc_lo, 32, v0
	s_waitcnt lgkmcnt(0)
	s_barrier
	buffer_gl0_inv
	s_and_saveexec_b32 s0, vcc_lo
	s_cbranch_execz .LBB138_60
; %bb.59:
	ds_read2_b32 v[2:3], v1 offset1:32
	ds_read2_b32 v[4:5], v1 offset0:64 offset1:96
	s_waitcnt lgkmcnt(1)
	v_add_f32_e32 v34, v34, v2
	v_add_f32_e32 v33, v33, v3
	s_waitcnt lgkmcnt(0)
	v_add_f32_e32 v32, v32, v4
	v_add_f32_e32 v31, v31, v5
.LBB138_60:
	s_or_b32 exec_lo, exec_lo, s0
	s_barrier
	buffer_gl0_inv
	s_and_saveexec_b32 s0, vcc_lo
	s_cbranch_execz .LBB138_62
; %bb.61:
	v_bfe_u32 v1, v34, 16, 1
	v_or_b32_e32 v2, 0x400000, v34
	v_bfe_u32 v3, v33, 16, 1
	v_cmp_u_f32_e32 vcc_lo, v34, v34
	s_lshl_b32 s0, s4, 7
	v_add3_u32 v1, v1, v34, 0x7fff
	s_ashr_i32 s1, s0, 31
	v_bfe_u32 v4, v32, 16, 1
	s_lshl_b64 s[0:1], s[0:1], 1
	v_add3_u32 v3, v3, v33, 0x7fff
	v_cndmask_b32_e32 v1, v1, v2, vcc_lo
	v_or_b32_e32 v5, 0x400000, v33
	v_cmp_u_f32_e32 vcc_lo, v33, v33
	s_mul_i32 s2, s7, s10
	s_add_u32 s4, s24, s0
	s_addc_u32 s5, s25, s1
	s_ashr_i32 s3, s2, 31
	v_bfe_u32 v2, v31, 16, 1
	s_lshl_b64 s[0:1], s[2:3], 1
	v_add3_u32 v4, v4, v32, 0x7fff
	v_or_b32_e32 v6, 0x400000, v32
	v_cndmask_b32_e32 v3, v3, v5, vcc_lo
	v_cmp_u_f32_e32 vcc_lo, v32, v32
	s_add_u32 s2, s4, s0
	s_addc_u32 s3, s5, s1
	s_lshl_b32 s0, s8, 7
	v_add3_u32 v2, v2, v31, 0x7fff
	s_ashr_i32 s1, s0, 31
	v_or_b32_e32 v7, 0x400000, v31
	v_cndmask_b32_e32 v4, v4, v6, vcc_lo
	v_cmp_u_f32_e32 vcc_lo, v31, v31
	v_lshlrev_b32_e32 v0, 1, v0
	s_lshl_b64 s[0:1], s[0:1], 1
	s_add_u32 s0, s2, s0
	s_addc_u32 s1, s3, s1
	v_cndmask_b32_e32 v2, v2, v7, vcc_lo
	global_store_short_d16_hi v0, v1, s[0:1]
	global_store_short_d16_hi v0, v3, s[0:1] offset:64
	global_store_short_d16_hi v0, v4, s[0:1] offset:128
	;; [unrolled: 1-line block ×3, first 2 shown]
.LBB138_62:
	s_endpgm
	.section	.rodata,"a",@progbits
	.p2align	6, 0x0
	.amdhsa_kernel _ZN4vllm25paged_attention_v2_kernelI14__hip_bfloat16S1_Li128ELi8ELi128ELNS_18Fp8KVCacheDataTypeE0ELb1ELi512EEEvPfS3_PT_PKS4_PKT0_SA_ifPKiSC_iPKfiiiSE_SE_iiiii
		.amdhsa_group_segment_fixed_size 288
		.amdhsa_private_segment_fixed_size 0
		.amdhsa_kernarg_size 400
		.amdhsa_user_sgpr_count 6
		.amdhsa_user_sgpr_private_segment_buffer 1
		.amdhsa_user_sgpr_dispatch_ptr 0
		.amdhsa_user_sgpr_queue_ptr 0
		.amdhsa_user_sgpr_kernarg_segment_ptr 1
		.amdhsa_user_sgpr_dispatch_id 0
		.amdhsa_user_sgpr_flat_scratch_init 0
		.amdhsa_user_sgpr_private_segment_size 0
		.amdhsa_wavefront_size32 1
		.amdhsa_uses_dynamic_stack 0
		.amdhsa_system_sgpr_private_segment_wavefront_offset 0
		.amdhsa_system_sgpr_workgroup_id_x 1
		.amdhsa_system_sgpr_workgroup_id_y 1
		.amdhsa_system_sgpr_workgroup_id_z 1
		.amdhsa_system_sgpr_workgroup_info 0
		.amdhsa_system_vgpr_workitem_id 0
		.amdhsa_next_free_vgpr 69
		.amdhsa_next_free_sgpr 46
		.amdhsa_reserve_vcc 1
		.amdhsa_reserve_flat_scratch 0
		.amdhsa_float_round_mode_32 0
		.amdhsa_float_round_mode_16_64 0
		.amdhsa_float_denorm_mode_32 3
		.amdhsa_float_denorm_mode_16_64 3
		.amdhsa_dx10_clamp 1
		.amdhsa_ieee_mode 1
		.amdhsa_fp16_overflow 0
		.amdhsa_workgroup_processor_mode 1
		.amdhsa_memory_ordered 1
		.amdhsa_forward_progress 1
		.amdhsa_shared_vgpr_count 0
		.amdhsa_exception_fp_ieee_invalid_op 0
		.amdhsa_exception_fp_denorm_src 0
		.amdhsa_exception_fp_ieee_div_zero 0
		.amdhsa_exception_fp_ieee_overflow 0
		.amdhsa_exception_fp_ieee_underflow 0
		.amdhsa_exception_fp_ieee_inexact 0
		.amdhsa_exception_int_div_zero 0
	.end_amdhsa_kernel
	.section	.text._ZN4vllm25paged_attention_v2_kernelI14__hip_bfloat16S1_Li128ELi8ELi128ELNS_18Fp8KVCacheDataTypeE0ELb1ELi512EEEvPfS3_PT_PKS4_PKT0_SA_ifPKiSC_iPKfiiiSE_SE_iiiii,"axG",@progbits,_ZN4vllm25paged_attention_v2_kernelI14__hip_bfloat16S1_Li128ELi8ELi128ELNS_18Fp8KVCacheDataTypeE0ELb1ELi512EEEvPfS3_PT_PKS4_PKT0_SA_ifPKiSC_iPKfiiiSE_SE_iiiii,comdat
.Lfunc_end138:
	.size	_ZN4vllm25paged_attention_v2_kernelI14__hip_bfloat16S1_Li128ELi8ELi128ELNS_18Fp8KVCacheDataTypeE0ELb1ELi512EEEvPfS3_PT_PKS4_PKT0_SA_ifPKiSC_iPKfiiiSE_SE_iiiii, .Lfunc_end138-_ZN4vllm25paged_attention_v2_kernelI14__hip_bfloat16S1_Li128ELi8ELi128ELNS_18Fp8KVCacheDataTypeE0ELb1ELi512EEEvPfS3_PT_PKS4_PKT0_SA_ifPKiSC_iPKfiiiSE_SE_iiiii
                                        ; -- End function
	.set _ZN4vllm25paged_attention_v2_kernelI14__hip_bfloat16S1_Li128ELi8ELi128ELNS_18Fp8KVCacheDataTypeE0ELb1ELi512EEEvPfS3_PT_PKS4_PKT0_SA_ifPKiSC_iPKfiiiSE_SE_iiiii.num_vgpr, 69
	.set _ZN4vllm25paged_attention_v2_kernelI14__hip_bfloat16S1_Li128ELi8ELi128ELNS_18Fp8KVCacheDataTypeE0ELb1ELi512EEEvPfS3_PT_PKS4_PKT0_SA_ifPKiSC_iPKfiiiSE_SE_iiiii.num_agpr, 0
	.set _ZN4vllm25paged_attention_v2_kernelI14__hip_bfloat16S1_Li128ELi8ELi128ELNS_18Fp8KVCacheDataTypeE0ELb1ELi512EEEvPfS3_PT_PKS4_PKT0_SA_ifPKiSC_iPKfiiiSE_SE_iiiii.numbered_sgpr, 46
	.set _ZN4vllm25paged_attention_v2_kernelI14__hip_bfloat16S1_Li128ELi8ELi128ELNS_18Fp8KVCacheDataTypeE0ELb1ELi512EEEvPfS3_PT_PKS4_PKT0_SA_ifPKiSC_iPKfiiiSE_SE_iiiii.num_named_barrier, 0
	.set _ZN4vllm25paged_attention_v2_kernelI14__hip_bfloat16S1_Li128ELi8ELi128ELNS_18Fp8KVCacheDataTypeE0ELb1ELi512EEEvPfS3_PT_PKS4_PKT0_SA_ifPKiSC_iPKfiiiSE_SE_iiiii.private_seg_size, 0
	.set _ZN4vllm25paged_attention_v2_kernelI14__hip_bfloat16S1_Li128ELi8ELi128ELNS_18Fp8KVCacheDataTypeE0ELb1ELi512EEEvPfS3_PT_PKS4_PKT0_SA_ifPKiSC_iPKfiiiSE_SE_iiiii.uses_vcc, 1
	.set _ZN4vllm25paged_attention_v2_kernelI14__hip_bfloat16S1_Li128ELi8ELi128ELNS_18Fp8KVCacheDataTypeE0ELb1ELi512EEEvPfS3_PT_PKS4_PKT0_SA_ifPKiSC_iPKfiiiSE_SE_iiiii.uses_flat_scratch, 0
	.set _ZN4vllm25paged_attention_v2_kernelI14__hip_bfloat16S1_Li128ELi8ELi128ELNS_18Fp8KVCacheDataTypeE0ELb1ELi512EEEvPfS3_PT_PKS4_PKT0_SA_ifPKiSC_iPKfiiiSE_SE_iiiii.has_dyn_sized_stack, 0
	.set _ZN4vllm25paged_attention_v2_kernelI14__hip_bfloat16S1_Li128ELi8ELi128ELNS_18Fp8KVCacheDataTypeE0ELb1ELi512EEEvPfS3_PT_PKS4_PKT0_SA_ifPKiSC_iPKfiiiSE_SE_iiiii.has_recursion, 0
	.set _ZN4vllm25paged_attention_v2_kernelI14__hip_bfloat16S1_Li128ELi8ELi128ELNS_18Fp8KVCacheDataTypeE0ELb1ELi512EEEvPfS3_PT_PKS4_PKT0_SA_ifPKiSC_iPKfiiiSE_SE_iiiii.has_indirect_call, 0
	.section	.AMDGPU.csdata,"",@progbits
; Kernel info:
; codeLenInByte = 7468
; TotalNumSgprs: 48
; NumVgprs: 69
; ScratchSize: 0
; MemoryBound: 0
; FloatMode: 240
; IeeeMode: 1
; LDSByteSize: 288 bytes/workgroup (compile time only)
; SGPRBlocks: 0
; VGPRBlocks: 8
; NumSGPRsForWavesPerEU: 48
; NumVGPRsForWavesPerEU: 69
; Occupancy: 12
; WaveLimiterHint : 1
; COMPUTE_PGM_RSRC2:SCRATCH_EN: 0
; COMPUTE_PGM_RSRC2:USER_SGPR: 6
; COMPUTE_PGM_RSRC2:TRAP_HANDLER: 0
; COMPUTE_PGM_RSRC2:TGID_X_EN: 1
; COMPUTE_PGM_RSRC2:TGID_Y_EN: 1
; COMPUTE_PGM_RSRC2:TGID_Z_EN: 1
; COMPUTE_PGM_RSRC2:TIDIG_COMP_CNT: 0
	.section	.text._ZN4vllm32paged_attention_v2_reduce_kernelI14__hip_bfloat16Li128ELi128ELi512EEEvPT_PKfS5_PKS2_PKii,"axG",@progbits,_ZN4vllm32paged_attention_v2_reduce_kernelI14__hip_bfloat16Li128ELi128ELi512EEEvPT_PKfS5_PKS2_PKii,comdat
	.protected	_ZN4vllm32paged_attention_v2_reduce_kernelI14__hip_bfloat16Li128ELi128ELi512EEEvPT_PKfS5_PKS2_PKii ; -- Begin function _ZN4vllm32paged_attention_v2_reduce_kernelI14__hip_bfloat16Li128ELi128ELi512EEEvPT_PKfS5_PKS2_PKii
	.globl	_ZN4vllm32paged_attention_v2_reduce_kernelI14__hip_bfloat16Li128ELi128ELi512EEEvPT_PKfS5_PKS2_PKii
	.p2align	8
	.type	_ZN4vllm32paged_attention_v2_reduce_kernelI14__hip_bfloat16Li128ELi128ELi512EEEvPT_PKfS5_PKS2_PKii,@function
_ZN4vllm32paged_attention_v2_reduce_kernelI14__hip_bfloat16Li128ELi128ELi512EEEvPT_PKfS5_PKS2_PKii: ; @_ZN4vllm32paged_attention_v2_reduce_kernelI14__hip_bfloat16Li128ELi128ELi512EEEvPT_PKfS5_PKS2_PKii
; %bb.0:
	s_load_dwordx4 s[8:11], s[4:5], 0x18
	s_add_u32 s14, s4, 48
	s_mov_b32 s12, s7
	s_addc_u32 s15, s5, 0
	s_ashr_i32 s13, s7, 31
	s_lshl_b64 s[0:1], s[12:13], 2
	s_waitcnt lgkmcnt(0)
	s_add_u32 s0, s10, s0
	s_addc_u32 s1, s11, s1
	s_load_dword s22, s[0:1], 0x0
	s_clause 0x2
	s_load_dwordx2 s[10:11], s[4:5], 0x0
	s_load_dword s7, s[4:5], 0x28
	s_load_dword s13, s[4:5], 0x30
	s_waitcnt lgkmcnt(0)
	s_add_i32 s0, s22, -1
	s_cmpk_gt_u32 s0, 0x1ff
	s_mov_b32 s0, -1
	s_cbranch_scc0 .LBB139_26
; %bb.1:
	s_load_dwordx2 s[2:3], s[4:5], 0x8
	s_add_i32 s0, s22, 0x1ff
	s_mul_i32 s20, s13, s12
	s_ashr_i32 s1, s0, 31
	v_mov_b32_e32 v4, 0xff7fffff
	s_lshr_b32 s1, s1, 23
	v_lshlrev_b32_e32 v3, 2, v0
	s_add_i32 s0, s0, s1
	s_mul_i32 s16, s20, s7
	s_ashr_i32 s21, s0, 9
	s_mul_i32 s18, s7, s6
	v_cmp_gt_i32_e32 vcc_lo, s21, v0
	s_ashr_i32 s17, s16, 31
	s_ashr_i32 s19, s18, 31
	s_and_saveexec_b32 s1, vcc_lo
	s_cbranch_execz .LBB139_5
; %bb.2:
	s_load_dword s0, s[14:15], 0xc
	s_load_dwordx2 s[24:25], s[4:5], 0x10
	s_lshl_b64 s[26:27], s[16:17], 2
	s_lshl_b64 s[28:29], s[18:19], 2
	v_add_nc_u32_e32 v5, 32, v3
	v_mov_b32_e32 v4, 0xff7fffff
	v_mov_b32_e32 v6, v0
	s_waitcnt lgkmcnt(0)
	s_and_b32 s4, s0, 0xffff
	s_add_u32 s0, s26, s28
	s_addc_u32 s5, s27, s29
	s_add_u32 s0, s24, s0
	s_addc_u32 s5, s25, s5
	v_add_co_u32 v1, s0, s0, v3
	v_add_co_ci_u32_e64 v2, null, s5, 0, s0
	s_mov_b32 s5, 0
	s_lshl_b32 s23, s4, 2
	.p2align	6
.LBB139_3:                              ; =>This Inner Loop Header: Depth=1
	global_load_dword v7, v[1:2], off
	v_add_nc_u32_e32 v6, s4, v6
	v_max_f32_e32 v4, v4, v4
	v_add_co_u32 v1, s0, v1, s23
	v_add_co_ci_u32_e64 v2, null, 0, v2, s0
	v_cmp_le_i32_e64 s0, s21, v6
	s_or_b32 s5, s0, s5
	s_waitcnt vmcnt(0)
	v_max_f32_e32 v8, v7, v7
	ds_write_b32 v5, v7
	v_add_nc_u32_e32 v5, s23, v5
	v_max_f32_e32 v4, v4, v8
	s_andn2_b32 exec_lo, exec_lo, s5
	s_cbranch_execnz .LBB139_3
; %bb.4:
	s_or_b32 exec_lo, exec_lo, s5
.LBB139_5:
	s_or_b32 exec_lo, exec_lo, s1
	v_mbcnt_lo_u32_b32 v1, -1, 0
	s_waitcnt lgkmcnt(0)
	s_barrier
	buffer_gl0_inv
	v_xor_b32_e32 v2, 16, v1
	v_xor_b32_e32 v5, 8, v1
	v_cmp_gt_i32_e64 s0, 32, v2
	v_cndmask_b32_e64 v2, v1, v2, s0
	v_cmp_gt_i32_e64 s0, 32, v5
	v_lshlrev_b32_e32 v6, 2, v2
	v_cndmask_b32_e64 v5, v1, v5, s0
	ds_bpermute_b32 v2, v6, v4
	v_max_f32_e32 v4, v4, v4
	v_lshlrev_b32_e32 v7, 2, v5
	v_xor_b32_e32 v5, 4, v1
	v_cmp_gt_i32_e64 s0, 32, v5
	v_cndmask_b32_e64 v5, v1, v5, s0
	v_lshlrev_b32_e32 v8, 2, v5
	v_xor_b32_e32 v5, 2, v1
	s_waitcnt lgkmcnt(0)
	v_max_f32_e32 v2, v2, v2
	v_cmp_gt_i32_e64 s0, 32, v5
	v_max_f32_e32 v2, v4, v2
	v_cndmask_b32_e64 v5, v1, v5, s0
	ds_bpermute_b32 v4, v7, v2
	s_waitcnt lgkmcnt(0)
	v_max_f32_e32 v4, v4, v4
	v_max_f32_e32 v2, v2, v4
	ds_bpermute_b32 v4, v8, v2
	s_waitcnt lgkmcnt(0)
	v_max_f32_e32 v9, v4, v4
	v_lshlrev_b32_e32 v4, 2, v5
	v_max_f32_e32 v2, v2, v9
	v_xor_b32_e32 v9, 1, v1
	ds_bpermute_b32 v5, v4, v2
	v_cmp_gt_i32_e64 s0, 32, v9
	v_cndmask_b32_e64 v1, v1, v9, s0
	v_lshrrev_b32_e32 v9, 5, v0
	v_lshlrev_b32_e32 v9, 2, v9
	s_waitcnt lgkmcnt(0)
	v_max_f32_e32 v5, v5, v5
	v_max_f32_e32 v2, v2, v5
	v_lshlrev_b32_e32 v5, 2, v1
	v_and_b32_e32 v1, 31, v0
	ds_bpermute_b32 v10, v5, v2
	v_cmp_eq_u32_e64 s0, 0, v1
	s_and_saveexec_b32 s1, s0
	s_cbranch_execz .LBB139_7
; %bb.6:
	s_waitcnt lgkmcnt(0)
	v_max_f32_e32 v10, v10, v10
	v_max_f32_e32 v2, v2, v2
	;; [unrolled: 1-line block ×3, first 2 shown]
	ds_write_b32 v9, v2
.LBB139_7:
	s_or_b32 exec_lo, exec_lo, s1
	v_cmp_gt_u32_e64 s1, 4, v1
	v_mov_b32_e32 v2, 0xff7fffff
	s_waitcnt lgkmcnt(0)
	v_lshlrev_b32_e32 v10, 2, v1
	s_barrier
	buffer_gl0_inv
	s_and_saveexec_b32 s4, s1
; %bb.8:
	ds_read_b32 v2, v10
; %bb.9:
	s_or_b32 exec_lo, exec_lo, s4
	s_waitcnt lgkmcnt(0)
	ds_bpermute_b32 v1, v4, v2
	v_max_f32_e32 v2, v2, v2
	v_mov_b32_e32 v11, 0
	s_lshl_b32 s4, s21, 2
	s_waitcnt lgkmcnt(0)
	v_max_f32_e32 v1, v1, v1
	v_max_f32_e32 v1, v2, v1
	ds_bpermute_b32 v2, v5, v1
	s_waitcnt lgkmcnt(0)
	v_max_f32_e32 v2, v2, v2
	v_max_f32_e32 v1, v1, v2
	ds_bpermute_b32 v12, v11, v1
	s_and_saveexec_b32 s5, vcc_lo
	s_cbranch_execz .LBB139_13
; %bb.10:
	s_load_dword s23, s[14:15], 0xc
	s_lshl_b64 s[24:25], s[16:17], 2
	s_lshl_b64 s[26:27], s[18:19], 2
	v_mov_b32_e32 v11, 0
	v_add_nc_u32_e32 v13, 32, v3
	s_waitcnt lgkmcnt(0)
	s_and_b32 s17, s23, 0xffff
	s_add_u32 s19, s24, s26
	s_addc_u32 s23, s25, s27
	s_add_u32 s2, s2, s19
	s_addc_u32 s3, s3, s23
	v_add_co_u32 v1, s2, s2, v3
	v_add_co_ci_u32_e64 v2, null, s3, 0, s2
	v_mov_b32_e32 v3, v0
	s_mov_b32 s3, 0
	s_lshl_b32 s19, s17, 2
	s_inst_prefetch 0x1
	.p2align	6
.LBB139_11:                             ; =>This Inner Loop Header: Depth=1
	global_load_dword v14, v[1:2], off
	ds_read_b32 v15, v13
	v_add_nc_u32_e32 v3, s17, v3
	s_waitcnt lgkmcnt(0)
	v_sub_f32_e32 v15, v15, v12
	v_mul_f32_e32 v16, 0x3fb8aa3b, v15
	v_cmp_ngt_f32_e32 vcc_lo, 0xc2ce8ed0, v15
	v_cmp_nlt_f32_e64 s2, 0x42b17218, v15
	v_fma_f32 v17, 0x3fb8aa3b, v15, -v16
	v_rndne_f32_e32 v18, v16
	v_fmac_f32_e32 v17, 0x32a5705f, v15
	v_sub_f32_e32 v16, v16, v18
	v_add_f32_e32 v16, v16, v17
	v_cvt_i32_f32_e32 v17, v18
	v_exp_f32_e32 v16, v16
	v_ldexp_f32 v16, v16, v17
	v_add_nc_u32_e32 v17, s4, v13
	v_add_nc_u32_e32 v13, s19, v13
	v_cndmask_b32_e32 v16, 0, v16, vcc_lo
	v_add_co_u32 v1, vcc_lo, v1, s19
	v_add_co_ci_u32_e64 v2, null, 0, v2, vcc_lo
	v_cndmask_b32_e64 v15, 0x7f800000, v16, s2
	v_cmp_le_i32_e32 vcc_lo, s21, v3
	s_or_b32 s3, vcc_lo, s3
	s_waitcnt vmcnt(0)
	v_mul_f32_e32 v16, v14, v15
	v_fmac_f32_e32 v11, v14, v15
	ds_write_b32 v17, v16
	s_andn2_b32 exec_lo, exec_lo, s3
	s_cbranch_execnz .LBB139_11
; %bb.12:
	s_inst_prefetch 0x2
	s_or_b32 exec_lo, exec_lo, s3
.LBB139_13:
	s_or_b32 exec_lo, exec_lo, s5
	ds_bpermute_b32 v1, v6, v11
	s_waitcnt lgkmcnt(0)
	s_barrier
	buffer_gl0_inv
	v_add_f32_e32 v1, v11, v1
	ds_bpermute_b32 v2, v7, v1
	s_waitcnt lgkmcnt(0)
	v_add_f32_e32 v1, v1, v2
	ds_bpermute_b32 v2, v8, v1
	s_waitcnt lgkmcnt(0)
	;; [unrolled: 3-line block ×4, first 2 shown]
	v_add_f32_e32 v1, v1, v2
	s_and_saveexec_b32 s2, s0
; %bb.14:
	ds_write_b32 v9, v1 offset:16
; %bb.15:
	s_or_b32 exec_lo, exec_lo, s2
	s_waitcnt lgkmcnt(0)
	s_barrier
	buffer_gl0_inv
	s_and_saveexec_b32 s0, s1
; %bb.16:
	ds_read_b32 v1, v10 offset:16
; %bb.17:
	s_or_b32 exec_lo, exec_lo, s0
	s_waitcnt lgkmcnt(0)
	ds_bpermute_b32 v2, v4, v1
	s_mov_b32 s0, exec_lo
	s_waitcnt lgkmcnt(0)
	v_add_f32_e32 v1, v1, v2
	ds_bpermute_b32 v2, v5, v1
	s_waitcnt lgkmcnt(0)
	v_add_f32_e32 v1, v1, v2
	v_mov_b32_e32 v2, 0
	ds_bpermute_b32 v2, v2, v1
	v_cmpx_gt_u32_e32 0x80, v0
	s_cbranch_execz .LBB139_25
; %bb.18:
	s_cmp_gt_i32 s22, 0
	s_mov_b32 s1, 0
	s_cbranch_scc1 .LBB139_20
; %bb.19:
	v_mov_b32_e32 v1, 0
	v_mov_b32_e32 v3, 0
	s_andn2_b32 vcc_lo, exec_lo, s1
	s_cbranch_vccz .LBB139_21
	s_branch .LBB139_24
.LBB139_20:
	v_mov_b32_e32 v3, 0
.LBB139_21:
	s_waitcnt lgkmcnt(0)
	v_add_f32_e32 v4, 0x358637bd, v2
	s_lshl_b32 s16, s16, 7
	s_lshl_b32 s18, s18, 7
	s_ashr_i32 s17, s16, 31
	s_ashr_i32 s19, s18, 31
	v_div_scale_f32 v2, null, v4, v4, 1.0
	v_div_scale_f32 v5, vcc_lo, 1.0, v4, 1.0
	s_add_i32 s2, s4, 32
	v_rcp_f32_e32 v3, v2
	s_lshl_b64 s[4:5], s[16:17], 1
	s_lshl_b64 s[16:17], s[18:19], 1
	s_max_i32 s1, s21, 1
	s_add_u32 s3, s4, s16
	s_addc_u32 s4, s5, s17
	s_add_u32 s3, s8, s3
	s_addc_u32 s4, s9, s4
	v_fma_f32 v1, -v2, v3, 1.0
	v_fmac_f32_e32 v3, v1, v3
	v_mov_b32_e32 v1, 0
	v_mul_f32_e32 v6, v5, v3
	v_fma_f32 v7, -v2, v6, v5
	v_fmac_f32_e32 v6, v7, v3
	v_lshlrev_b32_e32 v7, 1, v0
	v_fma_f32 v2, -v2, v6, v5
	v_div_fmas_f32 v5, v2, v3, v6
	v_add_co_u32 v2, s3, s3, v7
	v_add_co_ci_u32_e64 v3, null, s4, 0, s3
	v_div_fixup_f32 v4, v5, v4, 1.0
	v_mov_b32_e32 v5, v1
	.p2align	6
.LBB139_22:                             ; =>This Inner Loop Header: Depth=1
	global_load_ushort v6, v[2:3], off
	v_mov_b32_e32 v7, s2
	v_add_co_u32 v2, vcc_lo, 0x100, v2
	v_add_co_ci_u32_e64 v3, null, 0, v3, vcc_lo
	ds_read_b32 v7, v7
	s_add_i32 s1, s1, -1
	s_add_i32 s2, s2, 4
	s_cmp_eq_u32 s1, 0
	s_waitcnt vmcnt(0)
	v_lshlrev_b32_e32 v6, 16, v6
	s_waitcnt lgkmcnt(0)
	v_mul_f32_e32 v6, v7, v6
	v_fmac_f32_e32 v5, v4, v6
	s_cbranch_scc0 .LBB139_22
; %bb.23:
	v_bfe_u32 v2, v5, 16, 1
	v_or_b32_e32 v3, 0x400000, v5
	v_cmp_u_f32_e32 vcc_lo, v5, v5
	v_add3_u32 v2, v2, v5, 0x7fff
	v_cndmask_b32_e32 v2, v2, v3, vcc_lo
	v_lshrrev_b32_e32 v3, 16, v2
.LBB139_24:
	s_lshl_b32 s2, s20, 7
	s_waitcnt lgkmcnt(0)
	v_lshlrev_b64 v[1:2], 1, v[0:1]
	s_ashr_i32 s3, s2, 31
	s_lshl_b64 s[2:3], s[2:3], 1
	s_add_u32 s1, s10, s2
	s_addc_u32 s4, s11, s3
	s_lshl_b32 s2, s6, 7
	s_ashr_i32 s3, s2, 31
	s_lshl_b64 s[2:3], s[2:3], 1
	s_add_u32 s1, s1, s2
	s_addc_u32 s2, s4, s3
	v_add_co_u32 v1, vcc_lo, s1, v1
	v_add_co_ci_u32_e64 v2, null, s2, v2, vcc_lo
	global_store_short v[1:2], v3, off
.LBB139_25:
	s_or_b32 exec_lo, exec_lo, s0
	s_mov_b32 s0, 0
.LBB139_26:
	s_and_b32 vcc_lo, exec_lo, s0
	s_cbranch_vccz .LBB139_35
; %bb.27:
	s_mov_b32 s0, exec_lo
	v_cmpx_gt_u32_e32 0x80, v0
	s_cbranch_execz .LBB139_35
; %bb.28:
	s_load_dword s0, s[14:15], 0xc
	s_mul_i32 s13, s13, s12
	s_mul_i32 s1, s7, s6
	;; [unrolled: 1-line block ×3, first 2 shown]
	s_lshl_b32 s2, s6, 7
	s_lshl_b32 s12, s13, 7
	;; [unrolled: 1-line block ×4, first 2 shown]
	v_cmp_gt_u32_e32 vcc_lo, 0x7d, v0
	s_ashr_i32 s3, s2, 31
	s_ashr_i32 s13, s12, 31
	;; [unrolled: 1-line block ×4, first 2 shown]
	s_waitcnt lgkmcnt(0)
	s_and_b32 s1, s0, 0xffff
	s_cmp_eq_u32 s1, 1
	s_cselect_b32 s0, -1, 0
	s_and_b32 s15, vcc_lo, s0
	s_mov_b32 s0, -1
	s_and_saveexec_b32 s14, s15
	s_cbranch_execz .LBB139_32
; %bb.29:
	s_lshl_b64 s[16:17], s[6:7], 1
	s_lshl_b64 s[18:19], s[4:5], 1
	v_lshlrev_b32_e32 v1, 1, v0
	s_add_u32 s0, s16, s18
	s_addc_u32 s15, s17, s19
	s_add_u32 s0, s8, s0
	s_addc_u32 s15, s9, s15
	s_lshl_b64 s[16:17], s[12:13], 1
	s_lshl_b64 s[18:19], s[2:3], 1
	v_add_co_u32 v2, s0, s0, v1
	v_add_co_ci_u32_e64 v3, null, s15, 0, s0
	s_add_u32 s0, s16, s18
	v_sub_nc_u32_e32 v5, 0x80, v0
	s_addc_u32 s15, s17, s19
	s_add_u32 s0, s10, s0
	s_addc_u32 s15, s11, s15
	v_add_co_u32 v4, s0, s0, v1
	v_and_b32_e32 v6, 0xfc, v5
	v_add_co_ci_u32_e64 v7, null, s15, 0, s0
	v_add_co_u32 v1, vcc_lo, v2, 4
	v_add_co_ci_u32_e64 v2, null, 0, v3, vcc_lo
	v_add_co_u32 v3, vcc_lo, v4, 4
	v_add_co_ci_u32_e64 v4, null, 0, v7, vcc_lo
	v_mov_b32_e32 v7, v6
	s_mov_b32 s15, 0
	.p2align	6
.LBB139_30:                             ; =>This Inner Loop Header: Depth=1
	global_load_dwordx2 v[8:9], v[1:2], off offset:-4
	v_add_nc_u32_e32 v7, -4, v7
	v_add_co_u32 v1, vcc_lo, v1, 8
	v_add_co_ci_u32_e64 v2, null, 0, v2, vcc_lo
	v_cmp_eq_u32_e32 vcc_lo, 0, v7
	s_or_b32 s15, vcc_lo, s15
	s_waitcnt vmcnt(0)
	global_store_dwordx2 v[3:4], v[8:9], off offset:-4
	v_add_co_u32 v3, s0, v3, 8
	v_add_co_ci_u32_e64 v4, null, 0, v4, s0
	s_andn2_b32 exec_lo, exec_lo, s15
	s_cbranch_execnz .LBB139_30
; %bb.31:
	s_or_b32 exec_lo, exec_lo, s15
	v_cmp_ne_u32_e32 vcc_lo, v5, v6
	v_add_nc_u32_e32 v0, v0, v6
	s_orn2_b32 s0, vcc_lo, exec_lo
.LBB139_32:
	s_or_b32 exec_lo, exec_lo, s14
	s_and_b32 exec_lo, exec_lo, s0
	s_cbranch_execz .LBB139_35
; %bb.33:
	s_lshl_b64 s[12:13], s[12:13], 1
	v_lshlrev_b32_e32 v1, 1, v0
	s_add_u32 s0, s10, s12
	s_addc_u32 s10, s11, s13
	s_lshl_b64 s[2:3], s[2:3], 1
	v_mov_b32_e32 v2, 0
	s_add_u32 s2, s0, s2
	s_addc_u32 s3, s10, s3
	s_lshl_b64 s[6:7], s[6:7], 1
	s_add_u32 s0, s8, s6
	s_addc_u32 s6, s9, s7
	s_lshl_b64 s[4:5], s[4:5], 1
	s_add_u32 s4, s0, s4
	s_addc_u32 s5, s6, s5
	s_mov_b32 s6, 0
	s_lshl_b32 s7, s1, 1
	.p2align	6
.LBB139_34:                             ; =>This Inner Loop Header: Depth=1
	v_add_co_u32 v3, vcc_lo, s4, v1
	v_add_co_ci_u32_e64 v4, null, s5, v2, vcc_lo
	v_add_nc_u32_e32 v0, s1, v0
	global_load_ushort v5, v[3:4], off
	v_add_co_u32 v3, vcc_lo, s2, v1
	v_add_co_ci_u32_e64 v4, null, s3, v2, vcc_lo
	v_cmp_lt_u32_e32 vcc_lo, 0x7f, v0
	v_add_co_u32 v1, s0, v1, s7
	v_add_co_ci_u32_e64 v2, null, 0, v2, s0
	s_or_b32 s6, vcc_lo, s6
	s_waitcnt vmcnt(0)
	global_store_short v[3:4], v5, off
	s_andn2_b32 exec_lo, exec_lo, s6
	s_cbranch_execnz .LBB139_34
.LBB139_35:
	s_endpgm
	.section	.rodata,"a",@progbits
	.p2align	6, 0x0
	.amdhsa_kernel _ZN4vllm32paged_attention_v2_reduce_kernelI14__hip_bfloat16Li128ELi128ELi512EEEvPT_PKfS5_PKS2_PKii
		.amdhsa_group_segment_fixed_size 32
		.amdhsa_private_segment_fixed_size 0
		.amdhsa_kernarg_size 304
		.amdhsa_user_sgpr_count 6
		.amdhsa_user_sgpr_private_segment_buffer 1
		.amdhsa_user_sgpr_dispatch_ptr 0
		.amdhsa_user_sgpr_queue_ptr 0
		.amdhsa_user_sgpr_kernarg_segment_ptr 1
		.amdhsa_user_sgpr_dispatch_id 0
		.amdhsa_user_sgpr_flat_scratch_init 0
		.amdhsa_user_sgpr_private_segment_size 0
		.amdhsa_wavefront_size32 1
		.amdhsa_uses_dynamic_stack 0
		.amdhsa_system_sgpr_private_segment_wavefront_offset 0
		.amdhsa_system_sgpr_workgroup_id_x 1
		.amdhsa_system_sgpr_workgroup_id_y 1
		.amdhsa_system_sgpr_workgroup_id_z 0
		.amdhsa_system_sgpr_workgroup_info 0
		.amdhsa_system_vgpr_workitem_id 0
		.amdhsa_next_free_vgpr 19
		.amdhsa_next_free_sgpr 30
		.amdhsa_reserve_vcc 1
		.amdhsa_reserve_flat_scratch 0
		.amdhsa_float_round_mode_32 0
		.amdhsa_float_round_mode_16_64 0
		.amdhsa_float_denorm_mode_32 3
		.amdhsa_float_denorm_mode_16_64 3
		.amdhsa_dx10_clamp 1
		.amdhsa_ieee_mode 1
		.amdhsa_fp16_overflow 0
		.amdhsa_workgroup_processor_mode 1
		.amdhsa_memory_ordered 1
		.amdhsa_forward_progress 1
		.amdhsa_shared_vgpr_count 0
		.amdhsa_exception_fp_ieee_invalid_op 0
		.amdhsa_exception_fp_denorm_src 0
		.amdhsa_exception_fp_ieee_div_zero 0
		.amdhsa_exception_fp_ieee_overflow 0
		.amdhsa_exception_fp_ieee_underflow 0
		.amdhsa_exception_fp_ieee_inexact 0
		.amdhsa_exception_int_div_zero 0
	.end_amdhsa_kernel
	.section	.text._ZN4vllm32paged_attention_v2_reduce_kernelI14__hip_bfloat16Li128ELi128ELi512EEEvPT_PKfS5_PKS2_PKii,"axG",@progbits,_ZN4vllm32paged_attention_v2_reduce_kernelI14__hip_bfloat16Li128ELi128ELi512EEEvPT_PKfS5_PKS2_PKii,comdat
.Lfunc_end139:
	.size	_ZN4vllm32paged_attention_v2_reduce_kernelI14__hip_bfloat16Li128ELi128ELi512EEEvPT_PKfS5_PKS2_PKii, .Lfunc_end139-_ZN4vllm32paged_attention_v2_reduce_kernelI14__hip_bfloat16Li128ELi128ELi512EEEvPT_PKfS5_PKS2_PKii
                                        ; -- End function
	.set _ZN4vllm32paged_attention_v2_reduce_kernelI14__hip_bfloat16Li128ELi128ELi512EEEvPT_PKfS5_PKS2_PKii.num_vgpr, 19
	.set _ZN4vllm32paged_attention_v2_reduce_kernelI14__hip_bfloat16Li128ELi128ELi512EEEvPT_PKfS5_PKS2_PKii.num_agpr, 0
	.set _ZN4vllm32paged_attention_v2_reduce_kernelI14__hip_bfloat16Li128ELi128ELi512EEEvPT_PKfS5_PKS2_PKii.numbered_sgpr, 30
	.set _ZN4vllm32paged_attention_v2_reduce_kernelI14__hip_bfloat16Li128ELi128ELi512EEEvPT_PKfS5_PKS2_PKii.num_named_barrier, 0
	.set _ZN4vllm32paged_attention_v2_reduce_kernelI14__hip_bfloat16Li128ELi128ELi512EEEvPT_PKfS5_PKS2_PKii.private_seg_size, 0
	.set _ZN4vllm32paged_attention_v2_reduce_kernelI14__hip_bfloat16Li128ELi128ELi512EEEvPT_PKfS5_PKS2_PKii.uses_vcc, 1
	.set _ZN4vllm32paged_attention_v2_reduce_kernelI14__hip_bfloat16Li128ELi128ELi512EEEvPT_PKfS5_PKS2_PKii.uses_flat_scratch, 0
	.set _ZN4vllm32paged_attention_v2_reduce_kernelI14__hip_bfloat16Li128ELi128ELi512EEEvPT_PKfS5_PKS2_PKii.has_dyn_sized_stack, 0
	.set _ZN4vllm32paged_attention_v2_reduce_kernelI14__hip_bfloat16Li128ELi128ELi512EEEvPT_PKfS5_PKS2_PKii.has_recursion, 0
	.set _ZN4vllm32paged_attention_v2_reduce_kernelI14__hip_bfloat16Li128ELi128ELi512EEEvPT_PKfS5_PKS2_PKii.has_indirect_call, 0
	.section	.AMDGPU.csdata,"",@progbits
; Kernel info:
; codeLenInByte = 2400
; TotalNumSgprs: 32
; NumVgprs: 19
; ScratchSize: 0
; MemoryBound: 0
; FloatMode: 240
; IeeeMode: 1
; LDSByteSize: 32 bytes/workgroup (compile time only)
; SGPRBlocks: 0
; VGPRBlocks: 2
; NumSGPRsForWavesPerEU: 32
; NumVGPRsForWavesPerEU: 19
; Occupancy: 16
; WaveLimiterHint : 0
; COMPUTE_PGM_RSRC2:SCRATCH_EN: 0
; COMPUTE_PGM_RSRC2:USER_SGPR: 6
; COMPUTE_PGM_RSRC2:TRAP_HANDLER: 0
; COMPUTE_PGM_RSRC2:TGID_X_EN: 1
; COMPUTE_PGM_RSRC2:TGID_Y_EN: 1
; COMPUTE_PGM_RSRC2:TGID_Z_EN: 0
; COMPUTE_PGM_RSRC2:TIDIG_COMP_CNT: 0
	.section	.text._ZN4vllm25paged_attention_v2_kernelI14__hip_bfloat16S1_Li192ELi8ELi128ELNS_18Fp8KVCacheDataTypeE0ELb1ELi512EEEvPfS3_PT_PKS4_PKT0_SA_ifPKiSC_iPKfiiiSE_SE_iiiii,"axG",@progbits,_ZN4vllm25paged_attention_v2_kernelI14__hip_bfloat16S1_Li192ELi8ELi128ELNS_18Fp8KVCacheDataTypeE0ELb1ELi512EEEvPfS3_PT_PKS4_PKT0_SA_ifPKiSC_iPKfiiiSE_SE_iiiii,comdat
	.protected	_ZN4vllm25paged_attention_v2_kernelI14__hip_bfloat16S1_Li192ELi8ELi128ELNS_18Fp8KVCacheDataTypeE0ELb1ELi512EEEvPfS3_PT_PKS4_PKT0_SA_ifPKiSC_iPKfiiiSE_SE_iiiii ; -- Begin function _ZN4vllm25paged_attention_v2_kernelI14__hip_bfloat16S1_Li192ELi8ELi128ELNS_18Fp8KVCacheDataTypeE0ELb1ELi512EEEvPfS3_PT_PKS4_PKT0_SA_ifPKiSC_iPKfiiiSE_SE_iiiii
	.globl	_ZN4vllm25paged_attention_v2_kernelI14__hip_bfloat16S1_Li192ELi8ELi128ELNS_18Fp8KVCacheDataTypeE0ELb1ELi512EEEvPfS3_PT_PKS4_PKT0_SA_ifPKiSC_iPKfiiiSE_SE_iiiii
	.p2align	8
	.type	_ZN4vllm25paged_attention_v2_kernelI14__hip_bfloat16S1_Li192ELi8ELi128ELNS_18Fp8KVCacheDataTypeE0ELb1ELi512EEEvPfS3_PT_PKS4_PKT0_SA_ifPKiSC_iPKfiiiSE_SE_iiiii,@function
_ZN4vllm25paged_attention_v2_kernelI14__hip_bfloat16S1_Li192ELi8ELi128ELNS_18Fp8KVCacheDataTypeE0ELb1ELi512EEEvPfS3_PT_PKS4_PKT0_SA_ifPKiSC_iPKfiiiSE_SE_iiiii: ; @_ZN4vllm25paged_attention_v2_kernelI14__hip_bfloat16S1_Li192ELi8ELi128ELNS_18Fp8KVCacheDataTypeE0ELb1ELi512EEEvPfS3_PT_PKS4_PKT0_SA_ifPKiSC_iPKfiiiSE_SE_iiiii
; %bb.0:
	s_load_dwordx2 s[0:1], s[4:5], 0x40
	s_mov_b32 s26, s7
	s_ashr_i32 s27, s7, 31
	s_lshl_b64 s[2:3], s[26:27], 2
	s_waitcnt lgkmcnt(0)
	s_add_u32 s0, s0, s2
	s_addc_u32 s1, s1, s3
	s_lshl_b32 s38, s8, 9
	s_load_dword s27, s[0:1], 0x0
	s_waitcnt lgkmcnt(0)
	s_cmp_ge_i32 s38, s27
	s_cbranch_scc1 .LBB140_66
; %bb.1:
	s_clause 0x1
	s_load_dword s9, s[4:5], 0x90
	s_load_dwordx2 s[36:37], s[4:5], 0x30
	s_mov_b32 s40, 0
	s_waitcnt lgkmcnt(0)
	s_abs_i32 s3, s9
	s_abs_i32 s0, s36
	v_cvt_f32_u32_e32 v1, s0
	s_sub_i32 s2, 0, s0
	v_rcp_iflag_f32_e32 v1, v1
	v_mul_f32_e32 v1, 0x4f7ffffe, v1
	v_cvt_u32_f32_e32 v1, v1
	v_readfirstlane_b32 s1, v1
	s_mul_i32 s2, s2, s1
	s_mul_hi_u32 s2, s1, s2
	s_add_i32 s1, s1, s2
	s_xor_b32 s2, s9, s36
	s_mul_hi_u32 s1, s3, s1
	s_ashr_i32 s2, s2, 31
	s_mul_i32 s7, s1, s0
	s_sub_i32 s3, s3, s7
	s_add_i32 s7, s1, 1
	s_sub_i32 s10, s3, s0
	s_cmp_ge_u32 s3, s0
	s_cselect_b32 s1, s7, s1
	s_cselect_b32 s3, s10, s3
	s_add_i32 s7, s1, 1
	s_cmp_ge_u32 s3, s0
	s_cselect_b32 s0, s7, s1
	s_xor_b32 s0, s0, s2
	s_sub_i32 s10, s0, s2
	s_load_dwordx2 s[0:1], s[4:5], 0x50
	s_abs_i32 s2, s10
	v_cvt_f32_u32_e32 v1, s2
	s_sub_i32 s3, 0, s2
	v_rcp_iflag_f32_e32 v1, v1
	v_mul_f32_e32 v1, 0x4f7ffffe, v1
	v_cvt_u32_f32_e32 v1, v1
	v_readfirstlane_b32 s7, v1
	s_mul_i32 s3, s3, s7
	s_mul_hi_u32 s11, s7, s3
	s_abs_i32 s3, s6
	s_add_i32 s7, s7, s11
	s_waitcnt lgkmcnt(0)
	s_cmp_eq_u64 s[0:1], 0
	s_mul_hi_u32 s20, s3, s7
	s_cbranch_scc1 .LBB140_3
; %bb.2:
	s_ashr_i32 s7, s6, 31
	s_lshl_b64 s[12:13], s[6:7], 2
	s_add_u32 s0, s0, s12
	s_addc_u32 s1, s1, s13
	s_load_dword s40, s[0:1], 0x0
.LBB140_3:
	s_load_dwordx4 s[12:15], s[4:5], 0x58
	v_and_b32_e32 v1, 3, v0
	v_lshlrev_b32_e32 v2, 2, v0
	s_ashr_i32 s0, s6, 31
	s_ashr_i32 s1, s10, 31
	s_mul_i32 s10, s6, 0xc0
	s_mov_b32 s7, exec_lo
	v_cmpx_gt_u32_e32 0x60, v0
	s_cbranch_execz .LBB140_5
; %bb.4:
	s_load_dwordx2 s[16:17], s[4:5], 0x18
	s_waitcnt lgkmcnt(0)
	s_mul_i32 s18, s12, s26
	v_and_b32_e32 v4, 0x3fc, v0
	s_ashr_i32 s19, s18, 31
	s_lshl_b64 s[18:19], s[18:19], 1
	v_mad_u32_u24 v4, 0x60, v1, v4
	s_add_u32 s12, s16, s18
	s_addc_u32 s15, s17, s19
	s_ashr_i32 s11, s10, 31
	s_lshl_b64 s[16:17], s[10:11], 1
	s_add_u32 s16, s12, s16
	s_addc_u32 s17, s15, s17
	global_load_dword v3, v2, s[16:17]
	s_waitcnt vmcnt(0)
	ds_write_b32 v4, v3
.LBB140_5:
	s_or_b32 exec_lo, exec_lo, s7
	s_load_dwordx4 s[16:19], s[4:5], 0x78
	s_mul_i32 s7, s20, s2
	s_xor_b32 s0, s0, s1
	s_sub_i32 s1, s3, s7
	s_add_i32 s3, s20, 1
	s_sub_i32 s7, s1, s2
	s_cmp_ge_u32 s1, s2
                                        ; implicit-def: $sgpr33
	s_cselect_b32 s3, s3, s20
	s_cselect_b32 s1, s7, s1
	s_add_i32 s7, s3, 1
	s_cmp_ge_u32 s1, s2
	s_mov_b32 s20, -1
	s_cselect_b32 s1, s7, s3
	s_load_dword s3, s[4:5], 0x88
	s_xor_b32 s1, s1, s0
	s_add_i32 s7, s27, -1
	s_sub_i32 s1, s1, s0
	s_abs_i32 s2, s7
	s_waitcnt lgkmcnt(0)
	s_abs_i32 s11, s19
	s_barrier
	v_cvt_f32_u32_e32 v3, s11
	s_sub_i32 s0, 0, s11
	buffer_gl0_inv
	v_rcp_iflag_f32_e32 v3, v3
	v_mul_f32_e32 v3, 0x4f7ffffe, v3
	v_cvt_u32_f32_e32 v3, v3
	v_readfirstlane_b32 s12, v3
	s_mul_i32 s0, s0, s12
	s_mul_hi_u32 s0, s12, s0
	s_add_i32 s12, s12, s0
	s_cmp_lt_i32 s3, 0
	s_mul_hi_u32 s0, s2, s12
	s_cbranch_scc0 .LBB140_7
; %bb.6:
	s_mul_i32 s15, s16, s36
	s_mov_b32 s20, 0
	s_add_i32 s15, s1, s15
	s_mul_i32 s15, s15, s3
	s_sub_i32 s33, 1, s15
.LBB140_7:
	s_load_dwordx2 s[28:29], s[4:5], 0x38
	s_ashr_i32 s15, s7, 31
	s_andn2_b32 vcc_lo, exec_lo, s20
	s_ashr_i32 s19, s19, 31
	s_cbranch_vccnz .LBB140_9
; %bb.8:
	s_mul_i32 s7, s9, s16
	s_add_i32 s7, s7, s6
	s_mul_i32 s3, s7, s3
	s_add_i32 s33, s3, 1
.LBB140_9:
	s_clause 0x4
	s_load_dword s3, s[4:5], 0x48
	s_load_dwordx2 s[34:35], s[4:5], 0x28
	s_load_dword s7, s[4:5], 0x98
	s_load_dwordx4 s[20:23], s[4:5], 0x0
	s_load_dwordx2 s[24:25], s[4:5], 0x10
	s_mul_i32 s16, s0, s11
	s_xor_b32 s15, s15, s19
	s_sub_i32 s2, s2, s16
	s_add_i32 s36, s0, 1
	v_lshrrev_b32_e32 v36, 5, v0
	v_mov_b32_e32 v12, 0xff7fffff
	v_mbcnt_lo_u32_b32 v11, -1, 0
	s_mul_i32 s14, s1, s14
	v_lshl_add_u32 v37, v36, 3, s38
	s_waitcnt lgkmcnt(0)
	s_mul_i32 s30, s3, s26
	s_sub_i32 s3, s2, s11
	s_ashr_i32 s31, s30, 31
	s_cmp_ge_u32 s2, s11
	s_cselect_b32 s0, s36, s0
	s_cselect_b32 s2, s3, s2
	s_add_i32 s3, s0, 1
	s_cmp_ge_u32 s2, s11
	s_cselect_b32 s0, s3, s0
	s_add_i32 s2, s27, 7
	s_lshl_b32 s41, s8, 6
	s_ashr_i32 s3, s2, 31
	v_or_b32_e32 v33, s41, v36
	s_lshr_b32 s3, s3, 29
	s_add_i32 s2, s2, s3
	s_add_i32 s3, s41, 64
	s_ashr_i32 s36, s2, 3
	s_xor_b32 s2, s0, s15
	s_min_i32 s16, s3, s36
	v_ashrrev_i32_e32 v34, 31, v33
	v_cmp_gt_i32_e64 s0, s16, v33
	s_sub_i32 s39, s2, s15
	s_and_saveexec_b32 s42, s0
	s_cbranch_execz .LBB140_21
; %bb.10:
	s_load_dwordx2 s[2:3], s[4:5], 0x20
	s_ashr_i32 s15, s14, 31
	s_sub_i32 s4, s39, s17
	s_lshl_b64 s[44:45], s[14:15], 1
	v_bfe_u32 v13, v0, 2, 3
	v_cmp_eq_u32_e32 vcc_lo, 0, v1
	v_and_b32_e32 v4, 12, v2
	v_mul_u32_u24_e32 v14, 0x60, v1
	v_lshlrev_b64 v[1:2], 2, v[33:34]
	v_lshlrev_b32_e32 v5, 2, v13
	v_subrev_nc_u32_e32 v6, s27, v13
	v_lshlrev_b32_e32 v7, 4, v13
	v_cmp_neq_f32_e64 s1, s40, 0
	v_lshl_add_u32 v15, v36, 3, s38
	v_lshl_or_b32 v5, v36, 5, v5
	v_add_nc_u32_e32 v19, 1, v6
	v_mov_b32_e32 v16, 0xff7fffff
	v_xor_b32_e32 v17, 2, v11
	v_xor_b32_e32 v18, 1, v11
	v_add_nc_u32_e32 v20, 0x1a0, v5
	s_waitcnt lgkmcnt(0)
	s_add_u32 s15, s2, s44
	s_addc_u32 s43, s3, s45
	s_abs_i32 s5, s18
	v_add_co_u32 v6, s15, s15, v7
	v_cvt_f32_u32_e32 v3, s5
	s_sub_i32 s2, 0, s5
	v_add_co_ci_u32_e64 v7, null, s43, 0, s15
	v_mov_b32_e32 v12, 0xff7fffff
	v_rcp_iflag_f32_e32 v3, v3
	v_mov_b32_e32 v24, v33
	s_mov_b32 s15, 0
	s_mov_b32 s43, s13
	v_mul_f32_e32 v3, 0x4f7ffffe, v3
	v_cvt_u32_f32_e32 v3, v3
	v_mul_lo_u32 v5, s2, v3
	s_lshl_b64 s[2:3], s[30:31], 2
	s_add_u32 s2, s28, s2
	s_addc_u32 s3, s29, s3
	v_add_co_u32 v9, s2, s2, v1
	v_add_co_ci_u32_e64 v10, null, s3, v2, s2
	v_mul_hi_u32 v5, v3, v5
	v_add_co_u32 v21, s2, v6, v4
	v_add_co_ci_u32_e64 v22, null, 0, v7, s2
	v_add_nc_u32_e32 v23, v3, v5
	s_branch .LBB140_13
.LBB140_11:                             ;   in Loop: Header=BB140_13 Depth=1
	s_or_b32 exec_lo, exec_lo, s44
.LBB140_12:                             ;   in Loop: Header=BB140_13 Depth=1
	s_or_b32 exec_lo, exec_lo, s3
	v_add_nc_u32_e32 v24, 4, v24
	v_add_co_u32 v9, s3, v9, 16
	v_add_co_ci_u32_e64 v10, null, 0, v10, s3
	v_cmp_le_i32_e64 s2, s16, v24
	v_add_nc_u32_e32 v15, 32, v15
	v_add_nc_u32_e32 v20, 0x80, v20
	s_or_b32 s15, s2, s15
	s_andn2_b32 exec_lo, exec_lo, s15
	s_cbranch_execz .LBB140_20
.LBB140_13:                             ; =>This Inner Loop Header: Depth=1
	v_sub_nc_u32_e32 v1, 0, v15
	v_max_i32_e32 v1, v15, v1
	s_waitcnt lgkmcnt(0)
	v_mul_hi_u32 v2, v1, s12
	v_mul_lo_u32 v3, v2, s11
	v_sub_nc_u32_e32 v1, v1, v3
	v_add_nc_u32_e32 v3, 1, v2
	v_subrev_nc_u32_e32 v4, s11, v1
	v_cmp_le_u32_e64 s2, s11, v1
	v_cndmask_b32_e64 v2, v2, v3, s2
	v_cndmask_b32_e64 v1, v1, v4, s2
	v_ashrrev_i32_e32 v3, 31, v15
	v_add_nc_u32_e32 v4, 1, v2
	v_cmp_le_u32_e64 s2, s11, v1
	v_xor_b32_e32 v3, s19, v3
	v_cndmask_b32_e64 v1, v2, v4, s2
	v_xor_b32_e32 v1, v1, v3
	v_sub_nc_u32_e32 v1, v1, v3
	v_add_nc_u32_e32 v2, s33, v1
	v_cmp_ge_i32_e64 s3, s4, v1
	v_sub_nc_u32_e32 v3, 0, v2
	v_max_i32_e32 v3, v2, v3
	v_ashrrev_i32_e32 v2, 31, v2
	v_mul_hi_u32 v4, v3, v23
	v_mul_lo_u32 v4, v4, s5
	v_sub_nc_u32_e32 v3, v3, v4
	v_subrev_nc_u32_e32 v4, s5, v3
	v_cmp_le_u32_e64 s2, s5, v3
	v_cndmask_b32_e64 v3, v3, v4, s2
	v_subrev_nc_u32_e32 v4, s5, v3
	v_cmp_le_u32_e64 s2, s5, v3
	v_cndmask_b32_e64 v3, v3, v4, s2
	v_xor_b32_e32 v3, v3, v2
	v_sub_nc_u32_e32 v2, v3, v2
	v_cmp_ne_u32_e64 s2, 0, v2
	s_and_b32 s2, s2, s3
	s_and_saveexec_b32 s3, s2
	s_xor_b32 s2, exec_lo, s3
	s_cbranch_execz .LBB140_17
; %bb.14:                               ;   in Loop: Header=BB140_13 Depth=1
	s_and_saveexec_b32 s3, vcc_lo
; %bb.15:                               ;   in Loop: Header=BB140_13 Depth=1
	ds_write_b32 v20, v16
; %bb.16:                               ;   in Loop: Header=BB140_13 Depth=1
	s_or_b32 exec_lo, exec_lo, s3
.LBB140_17:                             ;   in Loop: Header=BB140_13 Depth=1
	s_andn2_saveexec_b32 s3, s2
	s_cbranch_execz .LBB140_12
; %bb.18:                               ;   in Loop: Header=BB140_13 Depth=1
	global_load_dword v1, v[9:10], off
	s_waitcnt vmcnt(0)
	v_mad_i64_i32 v[1:2], null, v1, s43, 0
	v_lshlrev_b64 v[1:2], 1, v[1:2]
	v_add_co_u32 v1, s2, v21, v1
	v_add_co_ci_u32_e64 v2, null, v22, v2, s2
	s_clause 0xf
	global_load_dword v39, v[1:2], off offset:128
	global_load_dword v38, v[1:2], off offset:256
	;; [unrolled: 1-line block ×7, first 2 shown]
	global_load_dword v41, v[1:2], off
	global_load_dword v31, v[1:2], off offset:1024
	global_load_dword v27, v[1:2], off offset:1152
	;; [unrolled: 1-line block ×8, first 2 shown]
	v_add_co_u32 v1, s2, 0x800, v1
	v_add_co_ci_u32_e64 v2, null, 0, v2, s2
	v_cmp_gt_i32_e64 s2, 32, v17
	s_clause 0x7
	global_load_dword v52, v[1:2], off
	global_load_dword v51, v[1:2], off offset:128
	global_load_dword v50, v[1:2], off offset:256
	;; [unrolled: 1-line block ×7, first 2 shown]
	ds_read_b128 v[53:56], v14
	ds_read_b128 v[57:60], v14 offset:16
	ds_read_b128 v[61:64], v14 offset:32
	;; [unrolled: 1-line block ×5, first 2 shown]
	s_waitcnt lgkmcnt(5)
	v_lshlrev_b32_e32 v70, 16, v54
	v_and_b32_e32 v54, 0xffff0000, v54
	v_lshlrev_b32_e32 v69, 16, v53
	v_and_b32_e32 v53, 0xffff0000, v53
	v_lshlrev_b32_e32 v71, 16, v55
	v_and_b32_e32 v55, 0xffff0000, v55
	v_lshlrev_b32_e32 v72, 16, v56
	v_and_b32_e32 v56, 0xffff0000, v56
	s_waitcnt lgkmcnt(4)
	v_lshlrev_b32_e32 v73, 16, v57
	v_and_b32_e32 v57, 0xffff0000, v57
	v_lshlrev_b32_e32 v74, 16, v58
	v_and_b32_e32 v58, 0xffff0000, v58
	v_lshlrev_b32_e32 v75, 16, v59
	v_and_b32_e32 v59, 0xffff0000, v59
	v_lshlrev_b32_e32 v76, 16, v60
	v_and_b32_e32 v60, 0xffff0000, v60
	;; [unrolled: 9-line block ×3, first 2 shown]
	s_waitcnt lgkmcnt(2)
	v_lshlrev_b32_e32 v81, 16, v65
	v_lshlrev_b32_e32 v83, 16, v66
	s_waitcnt vmcnt(23)
	v_lshlrev_b32_e32 v82, 16, v39
	v_and_b32_e32 v39, 0xffff0000, v39
	v_mul_f32_e32 v70, v70, v82
	v_mul_f32_e32 v39, v54, v39
	s_waitcnt vmcnt(16)
	v_lshlrev_b32_e32 v84, 16, v41
	v_and_b32_e32 v41, 0xffff0000, v41
	v_lshlrev_b32_e32 v82, 16, v38
	v_and_b32_e32 v38, 0xffff0000, v38
	v_lshlrev_b32_e32 v54, 16, v67
	v_fmac_f32_e32 v70, v69, v84
	v_fmac_f32_e32 v39, v53, v41
	v_lshlrev_b32_e32 v53, 16, v32
	v_and_b32_e32 v32, 0xffff0000, v32
	v_lshlrev_b32_e32 v41, 16, v68
	v_fmac_f32_e32 v70, v71, v82
	v_fmac_f32_e32 v39, v55, v38
	v_lshlrev_b32_e32 v55, 16, v30
	v_and_b32_e32 v30, 0xffff0000, v30
	s_waitcnt lgkmcnt(1)
	v_lshlrev_b32_e32 v38, 16, v5
	v_fmac_f32_e32 v70, v72, v53
	v_fmac_f32_e32 v39, v56, v32
	v_lshlrev_b32_e32 v53, 16, v26
	v_and_b32_e32 v26, 0xffff0000, v26
	v_and_b32_e32 v5, 0xffff0000, v5
	v_fmac_f32_e32 v70, v73, v55
	v_fmac_f32_e32 v39, v57, v30
	v_lshlrev_b32_e32 v55, 16, v25
	v_and_b32_e32 v25, 0xffff0000, v25
	v_lshlrev_b32_e32 v32, 16, v6
	v_fmac_f32_e32 v70, v74, v53
	v_fmac_f32_e32 v39, v58, v26
	v_lshlrev_b32_e32 v53, 16, v35
	v_and_b32_e32 v35, 0xffff0000, v35
	v_and_b32_e32 v6, 0xffff0000, v6
	v_fmac_f32_e32 v70, v75, v55
	v_fmac_f32_e32 v39, v59, v25
	s_waitcnt vmcnt(15)
	v_lshlrev_b32_e32 v55, 16, v31
	v_and_b32_e32 v31, 0xffff0000, v31
	v_lshlrev_b32_e32 v30, 16, v7
	v_fmac_f32_e32 v70, v76, v53
	v_fmac_f32_e32 v39, v60, v35
	s_waitcnt vmcnt(14)
	v_lshlrev_b32_e32 v53, 16, v27
	v_and_b32_e32 v27, 0xffff0000, v27
	v_lshlrev_b32_e32 v26, 16, v8
	v_fmac_f32_e32 v70, v77, v55
	v_fmac_f32_e32 v39, v61, v31
	s_waitcnt vmcnt(13)
	v_lshlrev_b32_e32 v55, 16, v28
	v_and_b32_e32 v28, 0xffff0000, v28
	s_waitcnt lgkmcnt(0)
	v_lshlrev_b32_e32 v25, 16, v1
	v_fmac_f32_e32 v70, v78, v53
	v_fmac_f32_e32 v39, v62, v27
	s_waitcnt vmcnt(12)
	v_lshlrev_b32_e32 v53, 16, v29
	v_and_b32_e32 v29, 0xffff0000, v29
	v_and_b32_e32 v1, 0xffff0000, v1
	v_fmac_f32_e32 v70, v79, v55
	v_fmac_f32_e32 v39, v63, v28
	v_and_b32_e32 v28, 0xffff0000, v65
	s_waitcnt vmcnt(11)
	v_lshlrev_b32_e32 v55, 16, v40
	v_and_b32_e32 v40, 0xffff0000, v40
	v_fmac_f32_e32 v70, v80, v53
	v_fmac_f32_e32 v39, v64, v29
	v_and_b32_e32 v29, 0xffff0000, v66
	s_waitcnt vmcnt(10)
	v_lshlrev_b32_e32 v53, 16, v42
	;; [unrolled: 6-line block ×4, first 2 shown]
	v_and_b32_e32 v44, 0xffff0000, v44
	v_fmac_f32_e32 v70, v54, v40
	v_fmac_f32_e32 v39, v28, v46
	s_waitcnt vmcnt(7)
	v_lshlrev_b32_e32 v28, 16, v52
	v_and_b32_e32 v40, 0xffff0000, v52
	v_lshlrev_b32_e32 v35, 16, v2
	v_fmac_f32_e32 v70, v41, v42
	v_fmac_f32_e32 v39, v29, v44
	s_waitcnt vmcnt(6)
	v_lshlrev_b32_e32 v29, 16, v51
	v_and_b32_e32 v41, 0xffff0000, v51
	v_and_b32_e32 v2, 0xffff0000, v2
	v_fmac_f32_e32 v70, v38, v28
	v_fmac_f32_e32 v39, v5, v40
	v_and_b32_e32 v5, 0xffff0000, v7
	s_waitcnt vmcnt(5)
	v_lshlrev_b32_e32 v7, 16, v50
	v_and_b32_e32 v28, 0xffff0000, v50
	v_fmac_f32_e32 v70, v32, v29
	v_fmac_f32_e32 v39, v6, v41
	v_and_b32_e32 v6, 0xffff0000, v8
	s_waitcnt vmcnt(4)
	v_lshlrev_b32_e32 v8, 16, v49
	v_and_b32_e32 v29, 0xffff0000, v49
	v_fmac_f32_e32 v70, v30, v7
	v_fmac_f32_e32 v39, v5, v28
	s_waitcnt vmcnt(3)
	v_lshlrev_b32_e32 v5, 16, v48
	v_and_b32_e32 v7, 0xffff0000, v48
	v_lshlrev_b32_e32 v31, 16, v3
	v_fmac_f32_e32 v70, v26, v8
	v_fmac_f32_e32 v39, v6, v29
	s_waitcnt vmcnt(2)
	v_lshlrev_b32_e32 v6, 16, v47
	v_and_b32_e32 v8, 0xffff0000, v47
	v_lshlrev_b32_e32 v27, 16, v4
	v_fmac_f32_e32 v70, v25, v5
	v_fmac_f32_e32 v39, v1, v7
	v_and_b32_e32 v1, 0xffff0000, v3
	s_waitcnt vmcnt(1)
	v_lshlrev_b32_e32 v3, 16, v45
	v_and_b32_e32 v5, 0xffff0000, v45
	v_fmac_f32_e32 v70, v35, v6
	v_fmac_f32_e32 v39, v2, v8
	v_and_b32_e32 v2, 0xffff0000, v4
	s_waitcnt vmcnt(0)
	v_lshlrev_b32_e32 v4, 16, v43
	v_and_b32_e32 v6, 0xffff0000, v43
	v_fmac_f32_e32 v70, v31, v3
	v_fmac_f32_e32 v39, v1, v5
	v_cndmask_b32_e64 v1, v11, v17, s2
	v_cmp_gt_i32_e64 s2, 32, v18
	v_fmac_f32_e32 v70, v27, v4
	v_fmac_f32_e32 v39, v2, v6
	v_lshlrev_b32_e32 v1, 2, v1
	v_cndmask_b32_e64 v3, v11, v18, s2
	v_add_f32_e32 v2, v70, v39
	v_lshlrev_b32_e32 v3, 2, v3
	ds_bpermute_b32 v1, v1, v2
	s_waitcnt lgkmcnt(0)
	v_add_f32_e32 v1, v2, v1
	ds_bpermute_b32 v2, v3, v1
	s_and_saveexec_b32 s44, vcc_lo
	s_cbranch_execz .LBB140_11
; %bb.19:                               ;   in Loop: Header=BB140_13 Depth=1
	v_add_nc_u32_e32 v3, v19, v15
	s_waitcnt lgkmcnt(0)
	v_add_f32_e32 v1, v1, v2
	v_cvt_f32_i32_e32 v3, v3
	v_mul_f32_e32 v3, s40, v3
	v_cndmask_b32_e64 v2, 0, v3, s1
	v_max_f32_e32 v3, v12, v12
	v_fmac_f32_e32 v2, s37, v1
	v_add_nc_u32_e32 v1, v13, v15
	v_max_f32_e32 v3, v3, v2
	v_cmp_gt_i32_e64 s2, s27, v1
	v_cndmask_b32_e64 v1, 0, v2, s2
	v_cndmask_b32_e64 v12, v12, v3, s2
	ds_write_b32 v20, v1
	s_branch .LBB140_11
.LBB140_20:
	s_or_b32 exec_lo, exec_lo, s15
.LBB140_21:
	s_or_b32 exec_lo, exec_lo, s42
	v_xor_b32_e32 v1, 16, v11
	v_xor_b32_e32 v3, 8, v11
	v_max_f32_e32 v5, v12, v12
	v_and_b32_e32 v38, 31, v0
	v_cmp_gt_i32_e32 vcc_lo, 32, v1
	v_cndmask_b32_e32 v1, v11, v1, vcc_lo
	v_cmp_gt_i32_e32 vcc_lo, 32, v3
	s_waitcnt lgkmcnt(0)
	v_lshlrev_b32_e32 v2, 2, v1
	v_cndmask_b32_e32 v3, v11, v3, vcc_lo
	ds_bpermute_b32 v1, v2, v12
	v_lshlrev_b32_e32 v4, 2, v3
	s_waitcnt lgkmcnt(0)
	v_max_f32_e32 v1, v1, v1
	v_max_f32_e32 v1, v5, v1
	v_xor_b32_e32 v5, 4, v11
	ds_bpermute_b32 v3, v4, v1
	v_cmp_gt_i32_e32 vcc_lo, 32, v5
	v_cndmask_b32_e32 v5, v11, v5, vcc_lo
	v_cmp_eq_u32_e32 vcc_lo, 0, v38
	v_lshlrev_b32_e32 v7, 2, v5
	v_lshlrev_b32_e32 v5, 2, v36
	s_waitcnt lgkmcnt(0)
	v_max_f32_e32 v3, v3, v3
	v_max_f32_e32 v1, v1, v3
	ds_bpermute_b32 v3, v7, v1
	s_and_saveexec_b32 s1, vcc_lo
	s_cbranch_execz .LBB140_23
; %bb.22:
	s_waitcnt lgkmcnt(0)
	v_max_f32_e32 v3, v3, v3
	v_max_f32_e32 v1, v1, v1
	;; [unrolled: 1-line block ×3, first 2 shown]
	ds_write_b32 v5, v1 offset:384
.LBB140_23:
	s_or_b32 exec_lo, exec_lo, s1
	v_cmp_gt_u32_e64 s1, 4, v38
	v_mov_b32_e32 v1, 0xff7fffff
	v_lshlrev_b32_e32 v6, 2, v38
	s_waitcnt lgkmcnt(0)
	s_barrier
	buffer_gl0_inv
	s_and_saveexec_b32 s2, s1
; %bb.24:
	ds_read_b32 v1, v6 offset:384
; %bb.25:
	s_or_b32 exec_lo, exec_lo, s2
	v_xor_b32_e32 v3, 2, v11
	v_xor_b32_e32 v9, 1, v11
	v_mov_b32_e32 v10, 0
	v_cmp_gt_i32_e64 s2, 32, v3
	v_cndmask_b32_e64 v3, v11, v3, s2
	v_cmp_gt_i32_e64 s2, 32, v9
	v_lshlrev_b32_e32 v8, 2, v3
	v_cndmask_b32_e64 v9, v11, v9, s2
	s_sub_i32 s2, s16, s41
	s_lshl_b32 s2, s2, 3
	s_waitcnt lgkmcnt(0)
	ds_bpermute_b32 v3, v8, v1
	v_max_f32_e32 v1, v1, v1
	v_lshlrev_b32_e32 v9, 2, v9
	s_add_i32 s2, s2, s38
	s_min_i32 s2, s2, s27
	s_sub_i32 s4, s2, s38
	v_cmp_gt_i32_e64 s2, s4, v0
	s_waitcnt lgkmcnt(0)
	v_max_f32_e32 v3, v3, v3
	v_max_f32_e32 v1, v1, v3
	ds_bpermute_b32 v3, v9, v1
	s_waitcnt lgkmcnt(0)
	v_max_f32_e32 v3, v3, v3
	v_max_f32_e32 v1, v1, v3
	v_lshl_add_u32 v3, v0, 2, 0x1a0
	ds_bpermute_b32 v1, v10, v1
	s_and_saveexec_b32 s5, s2
	s_cbranch_execz .LBB140_29
; %bb.26:
	v_lshl_add_u32 v11, v0, 2, 0x1a0
	v_mov_b32_e32 v10, 0
	v_mov_b32_e32 v12, v0
	s_mov_b32 s15, 0
	.p2align	6
.LBB140_27:                             ; =>This Inner Loop Header: Depth=1
	ds_read_b32 v13, v11
	v_add_nc_u32_e32 v12, 0x80, v12
	v_cmp_le_i32_e64 s3, s4, v12
	s_or_b32 s15, s3, s15
	s_waitcnt lgkmcnt(0)
	v_sub_f32_e32 v13, v13, v1
	v_mul_f32_e32 v13, 0x3fb8aa3b, v13
	v_exp_f32_e32 v13, v13
	ds_write_b32 v11, v13
	v_add_f32_e32 v10, v10, v13
	v_add_nc_u32_e32 v11, 0x200, v11
	s_andn2_b32 exec_lo, exec_lo, s15
	s_cbranch_execnz .LBB140_27
; %bb.28:
	s_or_b32 exec_lo, exec_lo, s15
.LBB140_29:
	s_or_b32 exec_lo, exec_lo, s5
	ds_bpermute_b32 v2, v2, v10
	s_waitcnt lgkmcnt(0)
	v_add_f32_e32 v2, v10, v2
	ds_bpermute_b32 v4, v4, v2
	s_waitcnt lgkmcnt(0)
	v_add_f32_e32 v2, v2, v4
	;; [unrolled: 3-line block ×5, first 2 shown]
	s_and_saveexec_b32 s3, vcc_lo
; %bb.30:
	ds_write_b32 v5, v2 offset:400
; %bb.31:
	s_or_b32 exec_lo, exec_lo, s3
	s_waitcnt lgkmcnt(0)
	s_barrier
	buffer_gl0_inv
	s_and_saveexec_b32 s3, s1
; %bb.32:
	ds_read_b32 v2, v6 offset:400
; %bb.33:
	s_or_b32 exec_lo, exec_lo, s3
	s_waitcnt lgkmcnt(0)
	ds_bpermute_b32 v4, v8, v2
	s_waitcnt lgkmcnt(0)
	v_add_f32_e32 v2, v2, v4
	ds_bpermute_b32 v4, v9, v2
	s_waitcnt lgkmcnt(0)
	v_add_f32_e32 v2, v2, v4
	v_mov_b32_e32 v4, 0
	ds_bpermute_b32 v2, v4, v2
	s_and_saveexec_b32 s1, s2
	s_cbranch_execz .LBB140_36
; %bb.34:
	s_waitcnt lgkmcnt(0)
	v_add_f32_e32 v4, 0x358637bd, v2
	s_mov_b32 s2, 0
	v_div_scale_f32 v5, null, v4, v4, 1.0
	v_div_scale_f32 v8, vcc_lo, 1.0, v4, 1.0
	v_rcp_f32_e32 v6, v5
	v_fma_f32 v7, -v5, v6, 1.0
	v_fmac_f32_e32 v6, v7, v6
	v_mul_f32_e32 v7, v8, v6
	v_fma_f32 v9, -v5, v7, v8
	v_fmac_f32_e32 v7, v9, v6
	v_fma_f32 v5, -v5, v7, v8
	v_div_fmas_f32 v5, v5, v6, v7
	v_div_fixup_f32 v4, v5, v4, 1.0
	v_mov_b32_e32 v5, v0
.LBB140_35:                             ; =>This Inner Loop Header: Depth=1
	ds_read_b32 v6, v3
	v_add_nc_u32_e32 v5, 0x80, v5
	v_cmp_le_i32_e32 vcc_lo, s4, v5
	s_or_b32 s2, vcc_lo, s2
	s_waitcnt lgkmcnt(0)
	v_mul_f32_e32 v6, v4, v6
	ds_write_b32 v3, v6
	v_add_nc_u32_e32 v3, 0x200, v3
	s_andn2_b32 exec_lo, exec_lo, s2
	s_cbranch_execnz .LBB140_35
.LBB140_36:
	s_or_b32 exec_lo, exec_lo, s1
	s_mul_i32 s1, s7, s26
	s_waitcnt lgkmcnt(0)
	s_mul_i32 s4, s1, s9
	s_mov_b32 s1, exec_lo
	s_barrier
	buffer_gl0_inv
	v_cmpx_eq_u32_e32 0, v0
	s_cbranch_execz .LBB140_38
; %bb.37:
	s_ashr_i32 s5, s4, 31
	s_mul_i32 s40, s7, s6
	s_lshl_b64 s[2:3], s[4:5], 2
	v_mov_b32_e32 v3, 0
	s_add_u32 s5, s22, s2
	s_addc_u32 s6, s23, s3
	s_ashr_i32 s41, s40, 31
	s_lshl_b64 s[22:23], s[40:41], 2
	s_add_u32 s5, s5, s22
	s_addc_u32 s6, s6, s23
	s_ashr_i32 s9, s8, 31
	s_lshl_b64 s[40:41], s[8:9], 2
	s_add_u32 s42, s5, s40
	s_addc_u32 s43, s6, s41
	s_add_u32 s2, s20, s2
	s_addc_u32 s3, s21, s3
	;; [unrolled: 2-line block ×4, first 2 shown]
	global_store_dword v3, v1, s[42:43]
	global_store_dword v3, v2, s[2:3]
.LBB140_38:
	s_or_b32 exec_lo, exec_lo, s1
	v_mov_b32_e32 v44, 0
	v_mov_b32_e32 v43, 0
	;; [unrolled: 1-line block ×6, first 2 shown]
	s_and_saveexec_b32 s3, s0
	s_cbranch_execz .LBB140_56
; %bb.39:
	s_ashr_i32 s15, s14, 31
	s_sub_i32 s5, s39, s17
	s_lshl_b64 s[0:1], s[14:15], 1
	v_lshlrev_b32_e32 v3, 4, v38
	s_add_u32 s2, s34, s0
	s_addc_u32 s14, s35, s1
	s_abs_i32 s6, s18
	s_add_i32 s9, s36, -1
	v_cvt_f32_u32_e32 v1, s6
	s_sub_i32 s0, 0, s6
	v_add_co_u32 v47, s2, s2, v3
	v_mov_b32_e32 v45, 0
	v_rcp_iflag_f32_e32 v1, v1
	v_lshl_add_u32 v46, v36, 5, 0x1a0
	v_mov_b32_e32 v39, 0
	v_mov_b32_e32 v40, 0
	;; [unrolled: 1-line block ×5, first 2 shown]
	v_add_co_ci_u32_e64 v48, null, s14, 0, s2
	v_mov_b32_e32 v44, 0
	v_mul_f32_e32 v1, 0x4f7ffffe, v1
	s_mov_b32 s15, s27
	s_mov_b32 s14, 0
	v_cvt_u32_f32_e32 v4, v1
	v_lshlrev_b64 v[1:2], 2, v[33:34]
	v_mul_lo_u32 v5, s0, v4
	s_lshl_b64 s[0:1], s[30:31], 2
	s_add_u32 s0, s28, s0
	s_addc_u32 s1, s29, s1
	v_add_co_u32 v34, vcc_lo, s0, v1
	v_add_co_ci_u32_e64 v35, null, s1, v2, vcc_lo
	v_mul_hi_u32 v5, v4, v5
	v_add_nc_u32_e32 v49, v4, v5
	s_branch .LBB140_42
.LBB140_40:                             ;   in Loop: Header=BB140_42 Depth=1
	s_or_b32 exec_lo, exec_lo, s2
	s_waitcnt lgkmcnt(1)
	v_bfe_u32 v50, v25, 16, 1
	v_or_b32_e32 v51, 0x400000, v25
	v_bfe_u32 v52, v26, 16, 1
	v_cmp_u_f32_e32 vcc_lo, v25, v25
	v_bfe_u32 v53, v27, 16, 1
	v_add3_u32 v50, v50, v25, 0x7fff
	v_or_b32_e32 v54, 0x400000, v26
	v_add3_u32 v52, v52, v26, 0x7fff
	v_or_b32_e32 v55, 0x400000, v27
	v_add3_u32 v53, v53, v27, 0x7fff
	v_cndmask_b32_e32 v25, v50, v51, vcc_lo
	v_cmp_u_f32_e32 vcc_lo, v26, v26
	v_bfe_u32 v50, v28, 16, 1
	s_waitcnt lgkmcnt(0)
	v_bfe_u32 v51, v17, 16, 1
	s_waitcnt vmcnt(1)
	v_and_b32_e32 v57, 0xffff0000, v32
	v_cndmask_b32_e32 v26, v52, v54, vcc_lo
	v_cmp_u_f32_e32 vcc_lo, v27, v27
	v_add3_u32 v50, v50, v28, 0x7fff
	v_or_b32_e32 v52, 0x400000, v28
	v_add3_u32 v51, v51, v17, 0x7fff
	v_bfe_u32 v54, v18, 16, 1
	v_cndmask_b32_e32 v27, v53, v55, vcc_lo
	v_cmp_u_f32_e32 vcc_lo, v28, v28
	v_or_b32_e32 v53, 0x400000, v17
	v_cndmask_b32_e32 v28, v50, v52, vcc_lo
	v_cmp_u_f32_e32 vcc_lo, v17, v17
	v_or_b32_e32 v52, 0x400000, v18
	v_and_b32_e32 v17, 0xffff0000, v26
	v_and_b32_e32 v26, 0xffff0000, v29
	v_cndmask_b32_e32 v50, v51, v53, vcc_lo
	v_add3_u32 v51, v54, v18, 0x7fff
	v_bfe_u32 v53, v19, 16, 1
	v_cmp_u_f32_e32 vcc_lo, v18, v18
	v_bfe_u32 v54, v20, 16, 1
	v_mul_f32_e32 v26, v17, v26
	v_and_b32_e32 v18, 0xffff0000, v25
	v_lshlrev_b32_e32 v25, 16, v29
	v_cndmask_b32_e32 v51, v51, v52, vcc_lo
	v_add3_u32 v52, v53, v19, 0x7fff
	v_or_b32_e32 v53, 0x400000, v19
	v_cmp_u_f32_e32 vcc_lo, v19, v19
	v_add3_u32 v19, v54, v20, 0x7fff
	v_mul_f32_e32 v54, v18, v25
	v_and_b32_e32 v25, 0xffff0000, v28
	v_and_b32_e32 v28, 0xffff0000, v30
	v_cndmask_b32_e32 v29, v52, v53, vcc_lo
	v_or_b32_e32 v52, 0x400000, v20
	v_bfe_u32 v53, v26, 16, 1
	v_cmp_u_f32_e32 vcc_lo, v20, v20
	v_bfe_u32 v55, v54, 16, 1
	v_mul_f32_e32 v28, v25, v28
	v_and_b32_e32 v20, 0xffff0000, v27
	v_lshlrev_b32_e32 v27, 16, v30
	v_cndmask_b32_e32 v19, v19, v52, vcc_lo
	v_add3_u32 v52, v53, v26, 0x7fff
	v_or_b32_e32 v53, 0x400000, v26
	v_cmp_u_f32_e32 vcc_lo, v26, v26
	v_mul_f32_e32 v56, v20, v27
	v_and_b32_e32 v26, 0xffff0000, v51
	v_and_b32_e32 v27, 0xffff0000, v31
	v_lshlrev_b32_e32 v31, 16, v31
	v_cndmask_b32_e32 v30, v52, v53, vcc_lo
	v_add3_u32 v52, v55, v54, 0x7fff
	v_or_b32_e32 v53, 0x400000, v54
	v_bfe_u32 v55, v28, 16, 1
	v_cmp_u_f32_e32 vcc_lo, v54, v54
	v_bfe_u32 v54, v56, 16, 1
	v_and_b32_e32 v19, 0xffff0000, v19
	v_and_b32_e32 v30, 0xffff0000, v30
	v_cndmask_b32_e32 v51, v52, v53, vcc_lo
	v_add3_u32 v52, v55, v28, 0x7fff
	v_or_b32_e32 v53, 0x400000, v28
	v_mul_f32_e32 v55, v26, v27
	v_and_b32_e32 v27, 0xffff0000, v50
	v_cmp_u_f32_e32 vcc_lo, v28, v28
	v_and_b32_e32 v28, 0xffff0000, v29
	v_lshlrev_b32_e32 v29, 16, v32
	v_and_b32_e32 v51, 0xffff0000, v51
	v_mul_f32_e32 v31, v27, v31
	v_cndmask_b32_e32 v50, v52, v53, vcc_lo
	v_add3_u32 v52, v54, v56, 0x7fff
	v_or_b32_e32 v53, 0x400000, v56
	v_bfe_u32 v54, v55, 16, 1
	v_cmp_u_f32_e32 vcc_lo, v56, v56
	v_mul_f32_e32 v29, v28, v29
	v_or_b32_e32 v56, 0x400000, v55
	v_and_b32_e32 v50, 0xffff0000, v50
	v_add_f32_e32 v30, v51, v30
	v_cndmask_b32_e32 v32, v52, v53, vcc_lo
	v_bfe_u32 v52, v31, 16, 1
	v_add3_u32 v53, v54, v55, 0x7fff
	v_cmp_u_f32_e32 vcc_lo, v55, v55
	v_mul_f32_e32 v54, v19, v57
	v_or_b32_e32 v57, 0x400000, v31
	v_add3_u32 v52, v52, v31, 0x7fff
	v_bfe_u32 v59, v29, 16, 1
	v_cndmask_b32_e32 v53, v53, v56, vcc_lo
	v_cmp_u_f32_e32 vcc_lo, v31, v31
	v_bfe_u32 v58, v54, 16, 1
	v_or_b32_e32 v56, 0x400000, v29
	v_add3_u32 v55, v59, v29, 0x7fff
	v_and_b32_e32 v32, 0xffff0000, v32
	v_cndmask_b32_e32 v31, v52, v57, vcc_lo
	v_cmp_u_f32_e32 vcc_lo, v29, v29
	v_add3_u32 v52, v58, v54, 0x7fff
	v_or_b32_e32 v57, 0x400000, v54
	v_add_f32_e32 v32, v32, v50
	v_and_b32_e32 v31, 0xffff0000, v31
	v_cndmask_b32_e32 v29, v55, v56, vcc_lo
	v_cmp_u_f32_e32 vcc_lo, v54, v54
	v_and_b32_e32 v50, 0xffff0000, v53
	v_add_f32_e32 v30, v32, v30
	v_and_b32_e32 v29, 0xffff0000, v29
	v_cndmask_b32_e32 v51, v52, v57, vcc_lo
	v_add_f32_e32 v31, v31, v50
	v_and_b32_e32 v50, 0xffff0000, v21
	v_lshlrev_b32_e32 v21, 16, v21
	v_and_b32_e32 v52, 0xffff0000, v24
	v_and_b32_e32 v32, 0xffff0000, v51
	v_add_f32_e32 v30, v31, v30
	v_mul_f32_e32 v31, v17, v50
	v_mul_f32_e32 v21, v18, v21
	v_and_b32_e32 v50, 0xffff0000, v22
	v_add_f32_e32 v29, v29, v32
	v_lshlrev_b32_e32 v22, 16, v22
	v_cmp_u_f32_e32 vcc_lo, v31, v31
	v_bfe_u32 v32, v21, 16, 1
	v_mul_f32_e32 v50, v25, v50
	v_add_f32_e32 v29, v29, v30
	v_bfe_u32 v30, v31, 16, 1
	v_or_b32_e32 v51, 0x400000, v21
	v_add3_u32 v32, v32, v21, 0x7fff
	v_mul_f32_e32 v22, v20, v22
	v_add_f32_e32 v40, v40, v29
	v_add3_u32 v29, v30, v31, 0x7fff
	v_or_b32_e32 v30, 0x400000, v31
	v_and_b32_e32 v31, 0xffff0000, v23
	v_lshlrev_b32_e32 v23, 16, v23
	v_lshlrev_b32_e32 v24, 16, v24
	v_cndmask_b32_e32 v29, v29, v30, vcc_lo
	v_bfe_u32 v30, v50, 16, 1
	v_cmp_u_f32_e32 vcc_lo, v21, v21
	v_mul_f32_e32 v31, v26, v31
	v_mul_f32_e32 v23, v27, v23
	;; [unrolled: 1-line block ×3, first 2 shown]
	v_add3_u32 v30, v30, v50, 0x7fff
	v_cndmask_b32_e32 v21, v32, v51, vcc_lo
	v_or_b32_e32 v32, 0x400000, v50
	v_bfe_u32 v51, v22, 16, 1
	v_cmp_u_f32_e32 vcc_lo, v50, v50
	v_or_b32_e32 v50, 0x400000, v22
	v_bfe_u32 v53, v23, 16, 1
	v_and_b32_e32 v21, 0xffff0000, v21
	v_and_b32_e32 v29, 0xffff0000, v29
	v_cndmask_b32_e32 v30, v30, v32, vcc_lo
	v_add3_u32 v32, v51, v22, 0x7fff
	v_bfe_u32 v51, v31, 16, 1
	v_cmp_u_f32_e32 vcc_lo, v22, v22
	v_add_f32_e32 v21, v21, v29
	v_and_b32_e32 v30, 0xffff0000, v30
	v_cndmask_b32_e32 v22, v32, v50, vcc_lo
	v_add3_u32 v32, v51, v31, 0x7fff
	v_mul_f32_e32 v50, v19, v52
	v_or_b32_e32 v51, 0x400000, v31
	v_cmp_u_f32_e32 vcc_lo, v31, v31
	v_add3_u32 v52, v53, v23, 0x7fff
	v_or_b32_e32 v53, 0x400000, v23
	v_bfe_u32 v54, v50, 16, 1
	v_and_b32_e32 v22, 0xffff0000, v22
	v_cndmask_b32_e32 v31, v32, v51, vcc_lo
	v_cmp_u_f32_e32 vcc_lo, v23, v23
	v_or_b32_e32 v51, 0x400000, v50
	v_add3_u32 v32, v54, v50, 0x7fff
	v_add_f32_e32 v22, v22, v30
	v_and_b32_e32 v30, 0xffff0000, v13
	v_cndmask_b32_e32 v23, v52, v53, vcc_lo
	v_bfe_u32 v52, v24, 16, 1
	v_cmp_u_f32_e32 vcc_lo, v50, v50
	v_and_b32_e32 v29, 0xffff0000, v31
	v_lshlrev_b32_e32 v13, 16, v13
	v_and_b32_e32 v23, 0xffff0000, v23
	v_add3_u32 v50, v52, v24, 0x7fff
	v_cndmask_b32_e32 v32, v32, v51, vcc_lo
	v_or_b32_e32 v51, 0x400000, v24
	v_cmp_u_f32_e32 vcc_lo, v24, v24
	v_add_f32_e32 v21, v22, v21
	v_mul_f32_e32 v22, v17, v30
	v_add_f32_e32 v23, v23, v29
	v_mul_f32_e32 v29, v18, v13
	v_cndmask_b32_e32 v24, v50, v51, vcc_lo
	v_and_b32_e32 v30, 0xffff0000, v32
	v_bfe_u32 v31, v22, 16, 1
	v_and_b32_e32 v32, 0xffff0000, v14
	v_add_f32_e32 v13, v23, v21
	v_and_b32_e32 v24, 0xffff0000, v24
	v_bfe_u32 v23, v29, 16, 1
	v_lshlrev_b32_e32 v14, 16, v14
	v_cmp_u_f32_e32 vcc_lo, v22, v22
	v_and_b32_e32 v50, 0xffff0000, v16
	v_add_f32_e32 v21, v24, v30
	v_add3_u32 v24, v31, v22, 0x7fff
	v_or_b32_e32 v30, 0x400000, v22
	v_mul_f32_e32 v31, v25, v32
	v_add3_u32 v23, v23, v29, 0x7fff
	v_or_b32_e32 v32, 0x400000, v29
	v_mul_f32_e32 v14, v20, v14
	v_cndmask_b32_e32 v22, v24, v30, vcc_lo
	v_bfe_u32 v24, v31, 16, 1
	v_cmp_u_f32_e32 vcc_lo, v29, v29
	v_and_b32_e32 v29, 0xffff0000, v15
	v_or_b32_e32 v30, 0x400000, v31
	v_lshlrev_b32_e32 v15, 16, v15
	v_add3_u32 v24, v24, v31, 0x7fff
	v_cndmask_b32_e32 v23, v23, v32, vcc_lo
	v_bfe_u32 v32, v14, 16, 1
	v_mul_f32_e32 v29, v26, v29
	v_cmp_u_f32_e32 vcc_lo, v31, v31
	v_mul_f32_e32 v15, v27, v15
	v_or_b32_e32 v31, 0x400000, v14
	v_lshlrev_b32_e32 v16, 16, v16
	v_and_b32_e32 v23, 0xffff0000, v23
	v_cndmask_b32_e32 v24, v24, v30, vcc_lo
	v_add3_u32 v30, v32, v14, 0x7fff
	v_bfe_u32 v32, v29, 16, 1
	v_cmp_u_f32_e32 vcc_lo, v14, v14
	v_bfe_u32 v51, v15, 16, 1
	v_mul_f32_e32 v16, v28, v16
	v_and_b32_e32 v22, 0xffff0000, v22
	v_and_b32_e32 v24, 0xffff0000, v24
	v_cndmask_b32_e32 v14, v30, v31, vcc_lo
	v_add3_u32 v30, v32, v29, 0x7fff
	v_mul_f32_e32 v31, v19, v50
	v_or_b32_e32 v32, 0x400000, v29
	v_cmp_u_f32_e32 vcc_lo, v29, v29
	v_add3_u32 v50, v51, v15, 0x7fff
	v_or_b32_e32 v51, 0x400000, v15
	v_bfe_u32 v52, v31, 16, 1
	v_and_b32_e32 v14, 0xffff0000, v14
	v_cndmask_b32_e32 v29, v30, v32, vcc_lo
	v_cmp_u_f32_e32 vcc_lo, v15, v15
	v_or_b32_e32 v32, 0x400000, v31
	v_add3_u32 v30, v52, v31, 0x7fff
	v_add_f32_e32 v22, v23, v22
	v_add_f32_e32 v14, v14, v24
	v_cndmask_b32_e32 v15, v50, v51, vcc_lo
	v_bfe_u32 v50, v16, 16, 1
	v_cmp_u_f32_e32 vcc_lo, v31, v31
	v_and_b32_e32 v24, 0xffff0000, v5
	v_and_b32_e32 v23, 0xffff0000, v29
	;; [unrolled: 1-line block ×3, first 2 shown]
	v_add3_u32 v31, v50, v16, 0x7fff
	v_cndmask_b32_e32 v30, v30, v32, vcc_lo
	v_or_b32_e32 v32, 0x400000, v16
	v_cmp_u_f32_e32 vcc_lo, v16, v16
	v_lshlrev_b32_e32 v5, 16, v5
	v_add_f32_e32 v14, v14, v22
	v_mul_f32_e32 v22, v17, v24
	v_add_f32_e32 v15, v15, v23
	v_cndmask_b32_e32 v16, v31, v32, vcc_lo
	v_mul_f32_e32 v23, v18, v5
	v_and_b32_e32 v24, 0xffff0000, v30
	v_and_b32_e32 v29, 0xffff0000, v6
	v_bfe_u32 v30, v22, 16, 1
	v_and_b32_e32 v16, 0xffff0000, v16
	v_add_f32_e32 v5, v15, v14
	v_bfe_u32 v15, v23, 16, 1
	v_cmp_u_f32_e32 vcc_lo, v22, v22
	v_lshlrev_b32_e32 v6, 16, v6
	v_add_f32_e32 v14, v16, v24
	v_mul_f32_e32 v16, v25, v29
	v_add3_u32 v24, v30, v22, 0x7fff
	v_or_b32_e32 v29, 0x400000, v22
	v_add3_u32 v15, v15, v23, 0x7fff
	v_or_b32_e32 v30, 0x400000, v23
	v_bfe_u32 v31, v16, 16, 1
	v_mul_f32_e32 v6, v20, v6
	v_cndmask_b32_e32 v22, v24, v29, vcc_lo
	v_cmp_u_f32_e32 vcc_lo, v23, v23
	v_or_b32_e32 v24, 0x400000, v16
	v_add3_u32 v23, v31, v16, 0x7fff
	v_and_b32_e32 v29, 0xffff0000, v7
	v_lshlrev_b32_e32 v7, 16, v7
	v_cndmask_b32_e32 v15, v15, v30, vcc_lo
	v_cmp_u_f32_e32 vcc_lo, v16, v16
	v_bfe_u32 v30, v6, 16, 1
	v_and_b32_e32 v22, 0xffff0000, v22
	v_mul_f32_e32 v7, v27, v7
	v_and_b32_e32 v15, 0xffff0000, v15
	v_cndmask_b32_e32 v16, v23, v24, vcc_lo
	v_mul_f32_e32 v23, v26, v29
	v_add3_u32 v24, v30, v6, 0x7fff
	v_or_b32_e32 v29, 0x400000, v6
	v_and_b32_e32 v30, 0xffff0000, v8
	v_cmp_u_f32_e32 vcc_lo, v6, v6
	v_bfe_u32 v31, v23, 16, 1
	v_bfe_u32 v32, v7, 16, 1
	v_lshlrev_b32_e32 v8, 16, v8
	v_and_b32_e32 v16, 0xffff0000, v16
	v_cndmask_b32_e32 v6, v24, v29, vcc_lo
	v_mul_f32_e32 v24, v19, v30
	v_add3_u32 v29, v31, v23, 0x7fff
	v_or_b32_e32 v30, 0x400000, v23
	v_cmp_u_f32_e32 vcc_lo, v23, v23
	v_add3_u32 v31, v32, v7, 0x7fff
	v_or_b32_e32 v32, 0x400000, v7
	v_bfe_u32 v50, v24, 16, 1
	v_and_b32_e32 v6, 0xffff0000, v6
	v_cndmask_b32_e32 v23, v29, v30, vcc_lo
	v_cmp_u_f32_e32 vcc_lo, v7, v7
	v_or_b32_e32 v30, 0x400000, v24
	v_add3_u32 v29, v50, v24, 0x7fff
	v_mul_f32_e32 v8, v28, v8
	v_add_f32_e32 v15, v15, v22
	v_cndmask_b32_e32 v7, v31, v32, vcc_lo
	v_cmp_u_f32_e32 vcc_lo, v24, v24
	v_add_f32_e32 v6, v6, v16
	v_and_b32_e32 v16, 0xffff0000, v1
	v_and_b32_e32 v22, 0xffff0000, v23
	;; [unrolled: 1-line block ×3, first 2 shown]
	v_cndmask_b32_e32 v24, v29, v30, vcc_lo
	v_bfe_u32 v29, v8, 16, 1
	v_add_f32_e32 v6, v6, v15
	v_mul_f32_e32 v15, v17, v16
	v_add_f32_e32 v7, v7, v22
	v_lshlrev_b32_e32 v1, 16, v1
	v_add3_u32 v23, v29, v8, 0x7fff
	v_or_b32_e32 v29, 0x400000, v8
	v_cmp_u_f32_e32 vcc_lo, v8, v8
	v_bfe_u32 v16, v15, 16, 1
	v_add_f32_e32 v6, v7, v6
	v_and_b32_e32 v7, 0xffff0000, v2
	v_mul_f32_e32 v1, v18, v1
	v_cndmask_b32_e32 v8, v23, v29, vcc_lo
	v_add3_u32 v16, v16, v15, 0x7fff
	v_or_b32_e32 v22, 0x400000, v15
	v_mul_f32_e32 v7, v25, v7
	v_and_b32_e32 v23, 0xffff0000, v24
	v_bfe_u32 v24, v1, 16, 1
	v_cmp_u_f32_e32 vcc_lo, v15, v15
	v_lshlrev_b32_e32 v2, 16, v2
	v_or_b32_e32 v29, 0x400000, v1
	v_or_b32_e32 v30, 0x400000, v7
	v_and_b32_e32 v8, 0xffff0000, v8
	v_cndmask_b32_e32 v15, v16, v22, vcc_lo
	v_bfe_u32 v16, v7, 16, 1
	v_add3_u32 v22, v24, v1, 0x7fff
	v_and_b32_e32 v24, 0xffff0000, v3
	v_mul_f32_e32 v2, v20, v2
	v_cmp_u_f32_e32 vcc_lo, v1, v1
	v_add3_u32 v16, v16, v7, 0x7fff
	v_lshlrev_b32_e32 v3, 16, v3
	v_mul_f32_e32 v24, v26, v24
	v_and_b32_e32 v15, 0xffff0000, v15
	v_cndmask_b32_e32 v1, v22, v29, vcc_lo
	v_bfe_u32 v22, v2, 16, 1
	v_cmp_u_f32_e32 vcc_lo, v7, v7
	v_and_b32_e32 v29, 0xffff0000, v4
	v_mul_f32_e32 v3, v27, v3
	v_or_b32_e32 v31, 0x400000, v24
	v_add3_u32 v22, v22, v2, 0x7fff
	v_cndmask_b32_e32 v7, v16, v30, vcc_lo
	v_bfe_u32 v16, v24, 16, 1
	v_or_b32_e32 v30, 0x400000, v2
	v_cmp_u_f32_e32 vcc_lo, v2, v2
	v_mul_f32_e32 v29, v19, v29
	v_lshlrev_b32_e32 v4, 16, v4
	v_add3_u32 v16, v16, v24, 0x7fff
	v_and_b32_e32 v1, 0xffff0000, v1
	v_cndmask_b32_e32 v2, v22, v30, vcc_lo
	v_bfe_u32 v22, v3, 16, 1
	v_cmp_u_f32_e32 vcc_lo, v24, v24
	v_bfe_u32 v30, v29, 16, 1
	v_or_b32_e32 v24, 0x400000, v3
	v_mul_f32_e32 v4, v28, v4
	v_add3_u32 v22, v22, v3, 0x7fff
	v_cndmask_b32_e32 v16, v16, v31, vcc_lo
	v_cmp_u_f32_e32 vcc_lo, v3, v3
	v_add3_u32 v30, v30, v29, 0x7fff
	v_or_b32_e32 v31, 0x400000, v29
	v_and_b32_e32 v2, 0xffff0000, v2
	v_and_b32_e32 v7, 0xffff0000, v7
	v_cndmask_b32_e32 v3, v22, v24, vcc_lo
	v_cmp_u_f32_e32 vcc_lo, v29, v29
	v_bfe_u32 v24, v4, 16, 1
	v_add_f32_e32 v1, v1, v15
	v_add_f32_e32 v2, v2, v7
	v_and_b32_e32 v3, 0xffff0000, v3
	v_cndmask_b32_e32 v22, v30, v31, vcc_lo
	s_waitcnt vmcnt(0)
	v_and_b32_e32 v30, 0xffff0000, v9
	v_and_b32_e32 v7, 0xffff0000, v16
	v_lshlrev_b32_e32 v9, 16, v9
	v_add3_u32 v24, v24, v4, 0x7fff
	v_or_b32_e32 v29, 0x400000, v4
	v_mul_f32_e32 v15, v17, v30
	v_cmp_u_f32_e32 vcc_lo, v4, v4
	v_add_f32_e32 v1, v2, v1
	v_add_f32_e32 v3, v3, v7
	v_mul_f32_e32 v7, v18, v9
	v_bfe_u32 v2, v15, 16, 1
	v_and_b32_e32 v9, 0xffff0000, v10
	v_cndmask_b32_e32 v4, v24, v29, vcc_lo
	v_or_b32_e32 v16, 0x400000, v15
	v_bfe_u32 v17, v7, 16, 1
	v_add3_u32 v2, v2, v15, 0x7fff
	v_mul_f32_e32 v9, v25, v9
	v_lshlrev_b32_e32 v10, 16, v10
	v_cmp_u_f32_e32 vcc_lo, v15, v15
	v_add3_u32 v15, v17, v7, 0x7fff
	v_and_b32_e32 v18, 0xffff0000, v11
	v_bfe_u32 v17, v9, 16, 1
	v_mul_f32_e32 v10, v20, v10
	v_cndmask_b32_e32 v2, v2, v16, vcc_lo
	v_or_b32_e32 v16, 0x400000, v7
	v_cmp_u_f32_e32 vcc_lo, v7, v7
	v_mul_f32_e32 v18, v26, v18
	v_lshlrev_b32_e32 v11, 16, v11
	v_and_b32_e32 v20, 0xffff0000, v12
	v_lshlrev_b32_e32 v12, 16, v12
	v_cndmask_b32_e32 v7, v15, v16, vcc_lo
	v_add3_u32 v15, v17, v9, 0x7fff
	v_or_b32_e32 v16, 0x400000, v9
	v_bfe_u32 v17, v10, 16, 1
	v_cmp_u_f32_e32 vcc_lo, v9, v9
	v_mul_f32_e32 v11, v27, v11
	v_mul_f32_e32 v12, v28, v12
	v_and_b32_e32 v7, 0xffff0000, v7
	v_and_b32_e32 v2, 0xffff0000, v2
	v_cndmask_b32_e32 v9, v15, v16, vcc_lo
	v_add3_u32 v15, v17, v10, 0x7fff
	v_or_b32_e32 v16, 0x400000, v10
	v_bfe_u32 v17, v18, 16, 1
	v_cmp_u_f32_e32 vcc_lo, v10, v10
	v_bfe_u32 v25, v12, 16, 1
	v_and_b32_e32 v9, 0xffff0000, v9
	v_add_f32_e32 v2, v7, v2
	v_and_b32_e32 v4, 0xffff0000, v4
	v_cndmask_b32_e32 v10, v15, v16, vcc_lo
	v_bfe_u32 v15, v11, 16, 1
	v_add3_u32 v16, v17, v18, 0x7fff
	v_mul_f32_e32 v17, v19, v20
	v_or_b32_e32 v19, 0x400000, v18
	v_cmp_u_f32_e32 vcc_lo, v18, v18
	v_add3_u32 v15, v15, v11, 0x7fff
	v_or_b32_e32 v20, 0x400000, v11
	v_bfe_u32 v24, v17, 16, 1
	v_add3_u32 v18, v25, v12, 0x7fff
	v_cndmask_b32_e32 v16, v16, v19, vcc_lo
	v_cmp_u_f32_e32 vcc_lo, v11, v11
	v_or_b32_e32 v19, 0x400000, v12
	v_and_b32_e32 v10, 0xffff0000, v10
	v_add_f32_e32 v8, v8, v23
	v_add_f32_e32 v1, v3, v1
	v_cndmask_b32_e32 v11, v15, v20, vcc_lo
	v_cmp_u_f32_e32 vcc_lo, v12, v12
	v_add3_u32 v15, v24, v17, 0x7fff
	v_or_b32_e32 v20, 0x400000, v17
	v_add_f32_e32 v7, v10, v9
	v_and_b32_e32 v9, 0xffff0000, v11
	v_cndmask_b32_e32 v12, v18, v19, vcc_lo
	v_cmp_u_f32_e32 vcc_lo, v17, v17
	v_and_b32_e32 v10, 0xffff0000, v16
	v_add_f32_e32 v2, v7, v2
	v_add_f32_e32 v5, v14, v5
	;; [unrolled: 1-line block ×3, first 2 shown]
	v_cndmask_b32_e32 v11, v15, v20, vcc_lo
	v_and_b32_e32 v15, 0xffff0000, v22
	v_add_f32_e32 v7, v9, v10
	v_and_b32_e32 v9, 0xffff0000, v12
	v_add_f32_e32 v42, v42, v5
	;; [unrolled: 2-line block ×3, first 2 shown]
	v_add_f32_e32 v2, v7, v2
	v_add_f32_e32 v7, v21, v13
	;; [unrolled: 1-line block ×9, first 2 shown]
.LBB140_41:                             ;   in Loop: Header=BB140_42 Depth=1
	s_or_b32 exec_lo, exec_lo, s17
	v_add_nc_u32_e32 v33, 4, v33
	v_add_co_u32 v34, s0, v34, 16
	v_add_co_ci_u32_e64 v35, null, 0, v35, s0
	v_cmp_le_i32_e32 vcc_lo, s16, v33
	v_add_nc_u32_e32 v37, 32, v37
	v_add_nc_u32_e32 v46, 0x80, v46
	s_or_b32 s14, vcc_lo, s14
	s_andn2_b32 exec_lo, exec_lo, s14
	s_cbranch_execz .LBB140_55
.LBB140_42:                             ; =>This Inner Loop Header: Depth=1
	v_sub_nc_u32_e32 v1, 0, v37
	v_max_i32_e32 v1, v37, v1
	v_mul_hi_u32 v2, v1, s12
	v_mul_lo_u32 v3, v2, s11
	v_sub_nc_u32_e32 v1, v1, v3
	v_add_nc_u32_e32 v3, 1, v2
	v_subrev_nc_u32_e32 v4, s11, v1
	v_cmp_le_u32_e32 vcc_lo, s11, v1
	v_cndmask_b32_e32 v2, v2, v3, vcc_lo
	v_cndmask_b32_e32 v1, v1, v4, vcc_lo
	v_ashrrev_i32_e32 v3, 31, v37
	v_add_nc_u32_e32 v4, 1, v2
	v_cmp_le_u32_e32 vcc_lo, s11, v1
	v_xor_b32_e32 v3, s19, v3
	v_cndmask_b32_e32 v1, v2, v4, vcc_lo
	v_xor_b32_e32 v1, v1, v3
	v_sub_nc_u32_e32 v1, v1, v3
	v_add_nc_u32_e32 v2, s33, v1
	v_cmp_lt_i32_e64 s0, s5, v1
	v_sub_nc_u32_e32 v3, 0, v2
	v_max_i32_e32 v3, v2, v3
	v_ashrrev_i32_e32 v2, 31, v2
	v_mul_hi_u32 v4, v3, v49
	v_mul_lo_u32 v4, v4, s6
	v_sub_nc_u32_e32 v3, v3, v4
	v_subrev_nc_u32_e32 v4, s6, v3
	v_cmp_le_u32_e32 vcc_lo, s6, v3
	v_cndmask_b32_e32 v3, v3, v4, vcc_lo
	v_subrev_nc_u32_e32 v4, s6, v3
	v_cmp_le_u32_e32 vcc_lo, s6, v3
	v_cndmask_b32_e32 v3, v3, v4, vcc_lo
	v_xor_b32_e32 v3, v3, v2
	v_sub_nc_u32_e32 v2, v3, v2
	v_cmp_eq_u32_e32 vcc_lo, 0, v2
	s_or_b32 s0, vcc_lo, s0
	s_and_saveexec_b32 s17, s0
	s_cbranch_execz .LBB140_41
; %bb.43:                               ;   in Loop: Header=BB140_42 Depth=1
	global_load_dword v1, v[34:35], off
	v_cmp_eq_u32_e64 s0, s9, v33
	v_add_nc_u32_e32 v56, 1, v37
	v_or_b32_e32 v54, 3, v37
	v_or_b32_e32 v55, 2, v37
	;; [unrolled: 1-line block ×6, first 2 shown]
	s_waitcnt vmcnt(0)
	v_mad_i64_i32 v[1:2], null, v1, s13, 0
	v_lshlrev_b64 v[1:2], 1, v[1:2]
	v_add_co_u32 v9, vcc_lo, v47, v1
	v_add_co_ci_u32_e64 v10, null, v48, v2, vcc_lo
	global_load_dwordx4 v[1:4], v[9:10], off
	ds_read2_b64 v[25:28], v46 offset1:1
	ds_read2_b64 v[17:20], v46 offset0:2 offset1:3
	s_and_saveexec_b32 s18, s0
	s_cbranch_execnz .LBB140_52
; %bb.44:                               ;   in Loop: Header=BB140_42 Depth=1
	s_or_b32 exec_lo, exec_lo, s18
	global_load_dwordx4 v[5:8], v[9:10], off offset:512
	s_and_saveexec_b32 s18, s0
	s_cbranch_execnz .LBB140_53
.LBB140_45:                             ;   in Loop: Header=BB140_42 Depth=1
	s_or_b32 exec_lo, exec_lo, s18
	global_load_dwordx4 v[13:16], v[9:10], off offset:1024
	s_and_saveexec_b32 s18, s0
	s_cbranch_execnz .LBB140_54
.LBB140_46:                             ;   in Loop: Header=BB140_42 Depth=1
	s_or_b32 exec_lo, exec_lo, s18
	global_load_dwordx4 v[21:24], v[9:10], off offset:1536
	s_and_saveexec_b32 s18, s0
	s_cbranch_execz .LBB140_48
.LBB140_47:                             ;   in Loop: Header=BB140_42 Depth=1
	v_cmp_gt_i32_e64 s1, s27, v37
	v_cmp_gt_i32_e32 vcc_lo, s15, v56
	v_cmp_gt_i32_e64 s2, s27, v55
	s_waitcnt vmcnt(0)
	v_cndmask_b32_e64 v11, 0, v21, s1
	v_cmp_gt_i32_e64 s1, s15, v54
	v_cndmask_b32_sdwa v21, v45, v21, vcc_lo dst_sel:DWORD dst_unused:UNUSED_PAD src0_sel:DWORD src1_sel:WORD_1
	v_cndmask_b32_e64 v12, 0, v22, s2
	v_cmp_gt_i32_e64 s2, s15, v53
	s_mov_b32 vcc_lo, s1
	v_cmp_gt_i32_e64 s1, s15, v51
	v_cndmask_b32_sdwa v22, v45, v22, vcc_lo dst_sel:DWORD dst_unused:UNUSED_PAD src0_sel:DWORD src1_sel:WORD_1
	v_cmp_gt_i32_e32 vcc_lo, s27, v52
	v_perm_b32 v21, v21, v11, 0x5040100
	v_perm_b32 v22, v22, v12, 0x5040100
	v_cndmask_b32_e32 v29, 0, v23, vcc_lo
	s_mov_b32 vcc_lo, s2
	v_cndmask_b32_sdwa v23, v45, v23, vcc_lo dst_sel:DWORD dst_unused:UNUSED_PAD src0_sel:DWORD src1_sel:WORD_1
	v_cmp_gt_i32_e32 vcc_lo, s27, v50
	v_perm_b32 v23, v23, v29, 0x5040100
	v_cndmask_b32_e32 v30, 0, v24, vcc_lo
	s_mov_b32 vcc_lo, s1
	v_cndmask_b32_sdwa v24, v45, v24, vcc_lo dst_sel:DWORD dst_unused:UNUSED_PAD src0_sel:DWORD src1_sel:WORD_1
	v_perm_b32 v24, v24, v30, 0x5040100
.LBB140_48:                             ;   in Loop: Header=BB140_42 Depth=1
	s_or_b32 exec_lo, exec_lo, s18
	v_add_co_u32 v9, vcc_lo, 0x800, v9
	v_add_co_ci_u32_e64 v10, null, 0, v10, vcc_lo
	global_load_dwordx4 v[29:32], v[9:10], off
	s_and_saveexec_b32 s18, s0
	s_cbranch_execz .LBB140_50
; %bb.49:                               ;   in Loop: Header=BB140_42 Depth=1
	v_cmp_gt_i32_e64 s1, s27, v37
	v_cmp_gt_i32_e32 vcc_lo, s15, v56
	v_cmp_gt_i32_e64 s2, s27, v55
	s_waitcnt vmcnt(0)
	v_cndmask_b32_e64 v11, 0, v29, s1
	v_cmp_gt_i32_e64 s1, s15, v54
	v_cndmask_b32_sdwa v29, v45, v29, vcc_lo dst_sel:DWORD dst_unused:UNUSED_PAD src0_sel:DWORD src1_sel:WORD_1
	v_cndmask_b32_e64 v12, 0, v30, s2
	v_cmp_gt_i32_e64 s2, s15, v53
	s_mov_b32 vcc_lo, s1
	v_cmp_gt_i32_e64 s1, s15, v51
	v_cndmask_b32_sdwa v30, v45, v30, vcc_lo dst_sel:DWORD dst_unused:UNUSED_PAD src0_sel:DWORD src1_sel:WORD_1
	v_cmp_gt_i32_e32 vcc_lo, s27, v52
	v_perm_b32 v29, v29, v11, 0x5040100
	v_perm_b32 v30, v30, v12, 0x5040100
	v_cndmask_b32_e32 v57, 0, v31, vcc_lo
	s_mov_b32 vcc_lo, s2
	v_cndmask_b32_sdwa v31, v45, v31, vcc_lo dst_sel:DWORD dst_unused:UNUSED_PAD src0_sel:DWORD src1_sel:WORD_1
	v_cmp_gt_i32_e32 vcc_lo, s27, v50
	v_perm_b32 v31, v31, v57, 0x5040100
	v_cndmask_b32_e32 v58, 0, v32, vcc_lo
	s_mov_b32 vcc_lo, s1
	v_cndmask_b32_sdwa v32, v45, v32, vcc_lo dst_sel:DWORD dst_unused:UNUSED_PAD src0_sel:DWORD src1_sel:WORD_1
	v_perm_b32 v32, v32, v58, 0x5040100
.LBB140_50:                             ;   in Loop: Header=BB140_42 Depth=1
	s_or_b32 exec_lo, exec_lo, s18
	global_load_dwordx4 v[9:12], v[9:10], off offset:512
	s_and_saveexec_b32 s2, s0
	s_cbranch_execz .LBB140_40
; %bb.51:                               ;   in Loop: Header=BB140_42 Depth=1
	v_cmp_gt_i32_e64 s0, s27, v37
	v_cmp_gt_i32_e32 vcc_lo, s15, v56
	v_cmp_gt_i32_e64 s1, s27, v55
	s_waitcnt vmcnt(0)
	v_cndmask_b32_e64 v56, 0, v9, s0
	v_cmp_gt_i32_e64 s0, s15, v54
	v_cndmask_b32_sdwa v9, v45, v9, vcc_lo dst_sel:DWORD dst_unused:UNUSED_PAD src0_sel:DWORD src1_sel:WORD_1
	v_cndmask_b32_e64 v54, 0, v10, s1
	v_cmp_gt_i32_e64 s1, s15, v53
	s_mov_b32 vcc_lo, s0
	v_cmp_gt_i32_e64 s0, s15, v51
	v_cndmask_b32_sdwa v10, v45, v10, vcc_lo dst_sel:DWORD dst_unused:UNUSED_PAD src0_sel:DWORD src1_sel:WORD_1
	v_cmp_gt_i32_e32 vcc_lo, s27, v52
	v_perm_b32 v9, v9, v56, 0x5040100
	v_perm_b32 v10, v10, v54, 0x5040100
	v_cndmask_b32_e32 v52, 0, v11, vcc_lo
	s_mov_b32 vcc_lo, s1
	v_cndmask_b32_sdwa v11, v45, v11, vcc_lo dst_sel:DWORD dst_unused:UNUSED_PAD src0_sel:DWORD src1_sel:WORD_1
	v_cmp_gt_i32_e32 vcc_lo, s27, v50
	v_perm_b32 v11, v11, v52, 0x5040100
	v_cndmask_b32_e32 v50, 0, v12, vcc_lo
	s_mov_b32 vcc_lo, s0
	v_cndmask_b32_sdwa v12, v45, v12, vcc_lo dst_sel:DWORD dst_unused:UNUSED_PAD src0_sel:DWORD src1_sel:WORD_1
	v_perm_b32 v12, v12, v50, 0x5040100
	s_branch .LBB140_40
.LBB140_52:                             ;   in Loop: Header=BB140_42 Depth=1
	v_cmp_gt_i32_e64 s1, s27, v37
	v_cmp_gt_i32_e32 vcc_lo, s15, v56
	v_cmp_gt_i32_e64 s2, s27, v55
	s_waitcnt vmcnt(0)
	v_cndmask_b32_e64 v5, 0, v1, s1
	v_cmp_gt_i32_e64 s1, s15, v54
	v_cndmask_b32_sdwa v1, v45, v1, vcc_lo dst_sel:DWORD dst_unused:UNUSED_PAD src0_sel:DWORD src1_sel:WORD_1
	v_cndmask_b32_e64 v6, 0, v2, s2
	v_cmp_gt_i32_e64 s2, s15, v53
	s_mov_b32 vcc_lo, s1
	v_cmp_gt_i32_e64 s1, s15, v51
	v_cndmask_b32_sdwa v2, v45, v2, vcc_lo dst_sel:DWORD dst_unused:UNUSED_PAD src0_sel:DWORD src1_sel:WORD_1
	v_cmp_gt_i32_e32 vcc_lo, s27, v52
	v_perm_b32 v1, v1, v5, 0x5040100
	v_perm_b32 v2, v2, v6, 0x5040100
	v_cndmask_b32_e32 v7, 0, v3, vcc_lo
	s_mov_b32 vcc_lo, s2
	v_cndmask_b32_sdwa v3, v45, v3, vcc_lo dst_sel:DWORD dst_unused:UNUSED_PAD src0_sel:DWORD src1_sel:WORD_1
	v_cmp_gt_i32_e32 vcc_lo, s27, v50
	v_perm_b32 v3, v3, v7, 0x5040100
	v_cndmask_b32_e32 v8, 0, v4, vcc_lo
	s_mov_b32 vcc_lo, s1
	v_cndmask_b32_sdwa v4, v45, v4, vcc_lo dst_sel:DWORD dst_unused:UNUSED_PAD src0_sel:DWORD src1_sel:WORD_1
	v_perm_b32 v4, v4, v8, 0x5040100
	s_or_b32 exec_lo, exec_lo, s18
	global_load_dwordx4 v[5:8], v[9:10], off offset:512
	s_and_saveexec_b32 s18, s0
	s_cbranch_execz .LBB140_45
.LBB140_53:                             ;   in Loop: Header=BB140_42 Depth=1
	v_cmp_gt_i32_e64 s1, s27, v37
	v_cmp_gt_i32_e32 vcc_lo, s15, v56
	v_cmp_gt_i32_e64 s2, s27, v55
	s_waitcnt vmcnt(0)
	v_cndmask_b32_e64 v11, 0, v5, s1
	v_cmp_gt_i32_e64 s1, s15, v54
	v_cndmask_b32_sdwa v5, v45, v5, vcc_lo dst_sel:DWORD dst_unused:UNUSED_PAD src0_sel:DWORD src1_sel:WORD_1
	v_cndmask_b32_e64 v12, 0, v6, s2
	v_cmp_gt_i32_e64 s2, s15, v53
	s_mov_b32 vcc_lo, s1
	v_cmp_gt_i32_e64 s1, s15, v51
	v_cndmask_b32_sdwa v6, v45, v6, vcc_lo dst_sel:DWORD dst_unused:UNUSED_PAD src0_sel:DWORD src1_sel:WORD_1
	v_cmp_gt_i32_e32 vcc_lo, s27, v52
	v_perm_b32 v5, v5, v11, 0x5040100
	v_perm_b32 v6, v6, v12, 0x5040100
	v_cndmask_b32_e32 v13, 0, v7, vcc_lo
	s_mov_b32 vcc_lo, s2
	v_cndmask_b32_sdwa v7, v45, v7, vcc_lo dst_sel:DWORD dst_unused:UNUSED_PAD src0_sel:DWORD src1_sel:WORD_1
	v_cmp_gt_i32_e32 vcc_lo, s27, v50
	v_perm_b32 v7, v7, v13, 0x5040100
	v_cndmask_b32_e32 v14, 0, v8, vcc_lo
	s_mov_b32 vcc_lo, s1
	v_cndmask_b32_sdwa v8, v45, v8, vcc_lo dst_sel:DWORD dst_unused:UNUSED_PAD src0_sel:DWORD src1_sel:WORD_1
	v_perm_b32 v8, v8, v14, 0x5040100
	s_or_b32 exec_lo, exec_lo, s18
	global_load_dwordx4 v[13:16], v[9:10], off offset:1024
	s_and_saveexec_b32 s18, s0
	s_cbranch_execz .LBB140_46
.LBB140_54:                             ;   in Loop: Header=BB140_42 Depth=1
	v_cmp_gt_i32_e64 s1, s27, v37
	v_cmp_gt_i32_e32 vcc_lo, s15, v56
	v_cmp_gt_i32_e64 s2, s27, v55
	s_waitcnt vmcnt(0)
	v_cndmask_b32_e64 v11, 0, v13, s1
	v_cmp_gt_i32_e64 s1, s15, v54
	v_cndmask_b32_sdwa v13, v45, v13, vcc_lo dst_sel:DWORD dst_unused:UNUSED_PAD src0_sel:DWORD src1_sel:WORD_1
	v_cndmask_b32_e64 v12, 0, v14, s2
	v_cmp_gt_i32_e64 s2, s15, v53
	s_mov_b32 vcc_lo, s1
	v_cmp_gt_i32_e64 s1, s15, v51
	v_cndmask_b32_sdwa v14, v45, v14, vcc_lo dst_sel:DWORD dst_unused:UNUSED_PAD src0_sel:DWORD src1_sel:WORD_1
	v_cmp_gt_i32_e32 vcc_lo, s27, v52
	v_perm_b32 v13, v13, v11, 0x5040100
	v_perm_b32 v14, v14, v12, 0x5040100
	v_cndmask_b32_e32 v21, 0, v15, vcc_lo
	s_mov_b32 vcc_lo, s2
	v_cndmask_b32_sdwa v15, v45, v15, vcc_lo dst_sel:DWORD dst_unused:UNUSED_PAD src0_sel:DWORD src1_sel:WORD_1
	v_cmp_gt_i32_e32 vcc_lo, s27, v50
	v_perm_b32 v15, v15, v21, 0x5040100
	v_cndmask_b32_e32 v22, 0, v16, vcc_lo
	s_mov_b32 vcc_lo, s1
	v_cndmask_b32_sdwa v16, v45, v16, vcc_lo dst_sel:DWORD dst_unused:UNUSED_PAD src0_sel:DWORD src1_sel:WORD_1
	v_perm_b32 v16, v16, v22, 0x5040100
	s_or_b32 exec_lo, exec_lo, s18
	global_load_dwordx4 v[21:24], v[9:10], off offset:1536
	s_and_saveexec_b32 s18, s0
	s_cbranch_execnz .LBB140_47
	s_branch .LBB140_48
.LBB140_55:
	s_or_b32 exec_lo, exec_lo, s14
.LBB140_56:
	s_or_b32 exec_lo, exec_lo, s3
	v_lshl_add_u32 v2, v38, 2, 0x1a0
	v_and_b32_e32 v3, 0x3c0, v0
	s_mov_b32 s0, exec_lo
	s_waitcnt_vscnt null, 0x0
	s_barrier
	v_mad_u32_u24 v1, 0x300, v36, v2
	buffer_gl0_inv
	v_cmpx_eq_u32_e32 64, v3
	s_cbranch_execz .LBB140_58
; %bb.57:
	v_add_nc_u32_e32 v3, 0xfffffa00, v1
	v_add_nc_u32_e32 v4, 0xfffffa80, v1
	;; [unrolled: 1-line block ×5, first 2 shown]
	ds_write_b32 v3, v44
	v_add_nc_u32_e32 v3, 0xfffffc80, v1
	ds_write_b32 v4, v43
	ds_write_b32 v5, v42
	;; [unrolled: 1-line block ×5, first 2 shown]
.LBB140_58:
	s_or_b32 exec_lo, exec_lo, s0
	s_mov_b32 s0, exec_lo
	s_waitcnt lgkmcnt(0)
	s_barrier
	buffer_gl0_inv
	v_cmpx_gt_u32_e32 64, v0
	s_cbranch_execz .LBB140_60
; %bb.59:
	ds_read2_b32 v[3:4], v1 offset1:32
	ds_read2_b32 v[5:6], v1 offset0:64 offset1:96
	ds_read2_b32 v[7:8], v1 offset0:128 offset1:160
	s_waitcnt lgkmcnt(2)
	v_add_f32_e32 v44, v44, v3
	v_add_f32_e32 v43, v43, v4
	s_waitcnt lgkmcnt(1)
	v_add_f32_e32 v42, v42, v5
	v_add_f32_e32 v41, v41, v6
	;; [unrolled: 3-line block ×3, first 2 shown]
.LBB140_60:
	s_or_b32 exec_lo, exec_lo, s0
	v_and_b32_e32 v3, 0x3e0, v0
	s_mov_b32 s0, exec_lo
	s_barrier
	buffer_gl0_inv
	v_cmpx_eq_u32_e32 32, v3
	s_cbranch_execz .LBB140_62
; %bb.61:
	ds_write2_b32 v2, v44, v43 offset1:32
	ds_write2_b32 v2, v42, v41 offset0:64 offset1:96
	ds_write2_b32 v2, v40, v39 offset0:128 offset1:160
.LBB140_62:
	s_or_b32 exec_lo, exec_lo, s0
	v_cmp_gt_u32_e32 vcc_lo, 32, v0
	s_waitcnt lgkmcnt(0)
	s_barrier
	buffer_gl0_inv
	s_and_saveexec_b32 s0, vcc_lo
	s_cbranch_execz .LBB140_64
; %bb.63:
	ds_read2_b32 v[2:3], v1 offset1:32
	ds_read2_b32 v[4:5], v1 offset0:64 offset1:96
	ds_read2_b32 v[6:7], v1 offset0:128 offset1:160
	s_waitcnt lgkmcnt(2)
	v_add_f32_e32 v44, v44, v2
	v_add_f32_e32 v43, v43, v3
	s_waitcnt lgkmcnt(1)
	v_add_f32_e32 v42, v42, v4
	v_add_f32_e32 v41, v41, v5
	;; [unrolled: 3-line block ×3, first 2 shown]
.LBB140_64:
	s_or_b32 exec_lo, exec_lo, s0
	s_barrier
	buffer_gl0_inv
	s_and_saveexec_b32 s0, vcc_lo
	s_cbranch_execz .LBB140_66
; %bb.65:
	s_mul_i32 s0, s4, 0xc0
	v_bfe_u32 v1, v44, 16, 1
	s_ashr_i32 s1, s0, 31
	s_mul_i32 s2, s7, s10
	s_lshl_b64 s[0:1], s[0:1], 1
	v_or_b32_e32 v2, 0x400000, v44
	s_add_u32 s4, s24, s0
	s_addc_u32 s1, s25, s1
	s_ashr_i32 s3, s2, 31
	v_add3_u32 v1, v1, v44, 0x7fff
	s_lshl_b64 s[2:3], s[2:3], 1
	v_bfe_u32 v3, v43, 16, 1
	v_cmp_u_f32_e32 vcc_lo, v44, v44
	s_mul_i32 s0, s8, 0xc0
	s_add_u32 s2, s4, s2
	s_addc_u32 s3, s1, s3
	s_ashr_i32 s1, s0, 31
	v_lshlrev_b32_e32 v0, 1, v0
	s_lshl_b64 s[0:1], s[0:1], 1
	v_cndmask_b32_e32 v1, v1, v2, vcc_lo
	v_bfe_u32 v2, v42, 16, 1
	v_add3_u32 v3, v3, v43, 0x7fff
	v_or_b32_e32 v4, 0x400000, v43
	v_cmp_u_f32_e32 vcc_lo, v43, v43
	s_add_u32 s0, s2, s0
	s_addc_u32 s1, s3, s1
	v_bfe_u32 v5, v40, 16, 1
	global_store_short_d16_hi v0, v1, s[0:1]
	v_add3_u32 v1, v2, v42, 0x7fff
	v_or_b32_e32 v2, 0x400000, v42
	v_cndmask_b32_e32 v3, v3, v4, vcc_lo
	v_bfe_u32 v4, v41, 16, 1
	v_cmp_u_f32_e32 vcc_lo, v42, v42
	v_or_b32_e32 v6, 0x400000, v41
	v_add3_u32 v5, v5, v40, 0x7fff
	v_or_b32_e32 v7, 0x400000, v40
	v_add3_u32 v4, v4, v41, 0x7fff
	v_cndmask_b32_e32 v1, v1, v2, vcc_lo
	v_cmp_u_f32_e32 vcc_lo, v41, v41
	v_bfe_u32 v2, v39, 16, 1
	v_or_b32_e32 v8, 0x400000, v39
	v_cndmask_b32_e32 v4, v4, v6, vcc_lo
	v_cmp_u_f32_e32 vcc_lo, v40, v40
	v_add3_u32 v2, v2, v39, 0x7fff
	v_cndmask_b32_e32 v5, v5, v7, vcc_lo
	v_cmp_u_f32_e32 vcc_lo, v39, v39
	v_cndmask_b32_e32 v2, v2, v8, vcc_lo
	global_store_short_d16_hi v0, v3, s[0:1] offset:64
	global_store_short_d16_hi v0, v1, s[0:1] offset:128
	global_store_short_d16_hi v0, v4, s[0:1] offset:192
	global_store_short_d16_hi v0, v5, s[0:1] offset:256
	global_store_short_d16_hi v0, v2, s[0:1] offset:320
.LBB140_66:
	s_endpgm
	.section	.rodata,"a",@progbits
	.p2align	6, 0x0
	.amdhsa_kernel _ZN4vllm25paged_attention_v2_kernelI14__hip_bfloat16S1_Li192ELi8ELi128ELNS_18Fp8KVCacheDataTypeE0ELb1ELi512EEEvPfS3_PT_PKS4_PKT0_SA_ifPKiSC_iPKfiiiSE_SE_iiiii
		.amdhsa_group_segment_fixed_size 416
		.amdhsa_private_segment_fixed_size 0
		.amdhsa_kernarg_size 400
		.amdhsa_user_sgpr_count 6
		.amdhsa_user_sgpr_private_segment_buffer 1
		.amdhsa_user_sgpr_dispatch_ptr 0
		.amdhsa_user_sgpr_queue_ptr 0
		.amdhsa_user_sgpr_kernarg_segment_ptr 1
		.amdhsa_user_sgpr_dispatch_id 0
		.amdhsa_user_sgpr_flat_scratch_init 0
		.amdhsa_user_sgpr_private_segment_size 0
		.amdhsa_wavefront_size32 1
		.amdhsa_uses_dynamic_stack 0
		.amdhsa_system_sgpr_private_segment_wavefront_offset 0
		.amdhsa_system_sgpr_workgroup_id_x 1
		.amdhsa_system_sgpr_workgroup_id_y 1
		.amdhsa_system_sgpr_workgroup_id_z 1
		.amdhsa_system_sgpr_workgroup_info 0
		.amdhsa_system_vgpr_workitem_id 0
		.amdhsa_next_free_vgpr 85
		.amdhsa_next_free_sgpr 46
		.amdhsa_reserve_vcc 1
		.amdhsa_reserve_flat_scratch 0
		.amdhsa_float_round_mode_32 0
		.amdhsa_float_round_mode_16_64 0
		.amdhsa_float_denorm_mode_32 3
		.amdhsa_float_denorm_mode_16_64 3
		.amdhsa_dx10_clamp 1
		.amdhsa_ieee_mode 1
		.amdhsa_fp16_overflow 0
		.amdhsa_workgroup_processor_mode 1
		.amdhsa_memory_ordered 1
		.amdhsa_forward_progress 1
		.amdhsa_shared_vgpr_count 0
		.amdhsa_exception_fp_ieee_invalid_op 0
		.amdhsa_exception_fp_denorm_src 0
		.amdhsa_exception_fp_ieee_div_zero 0
		.amdhsa_exception_fp_ieee_overflow 0
		.amdhsa_exception_fp_ieee_underflow 0
		.amdhsa_exception_fp_ieee_inexact 0
		.amdhsa_exception_int_div_zero 0
	.end_amdhsa_kernel
	.section	.text._ZN4vllm25paged_attention_v2_kernelI14__hip_bfloat16S1_Li192ELi8ELi128ELNS_18Fp8KVCacheDataTypeE0ELb1ELi512EEEvPfS3_PT_PKS4_PKT0_SA_ifPKiSC_iPKfiiiSE_SE_iiiii,"axG",@progbits,_ZN4vllm25paged_attention_v2_kernelI14__hip_bfloat16S1_Li192ELi8ELi128ELNS_18Fp8KVCacheDataTypeE0ELb1ELi512EEEvPfS3_PT_PKS4_PKT0_SA_ifPKiSC_iPKfiiiSE_SE_iiiii,comdat
.Lfunc_end140:
	.size	_ZN4vllm25paged_attention_v2_kernelI14__hip_bfloat16S1_Li192ELi8ELi128ELNS_18Fp8KVCacheDataTypeE0ELb1ELi512EEEvPfS3_PT_PKS4_PKT0_SA_ifPKiSC_iPKfiiiSE_SE_iiiii, .Lfunc_end140-_ZN4vllm25paged_attention_v2_kernelI14__hip_bfloat16S1_Li192ELi8ELi128ELNS_18Fp8KVCacheDataTypeE0ELb1ELi512EEEvPfS3_PT_PKS4_PKT0_SA_ifPKiSC_iPKfiiiSE_SE_iiiii
                                        ; -- End function
	.set _ZN4vllm25paged_attention_v2_kernelI14__hip_bfloat16S1_Li192ELi8ELi128ELNS_18Fp8KVCacheDataTypeE0ELb1ELi512EEEvPfS3_PT_PKS4_PKT0_SA_ifPKiSC_iPKfiiiSE_SE_iiiii.num_vgpr, 85
	.set _ZN4vllm25paged_attention_v2_kernelI14__hip_bfloat16S1_Li192ELi8ELi128ELNS_18Fp8KVCacheDataTypeE0ELb1ELi512EEEvPfS3_PT_PKS4_PKT0_SA_ifPKiSC_iPKfiiiSE_SE_iiiii.num_agpr, 0
	.set _ZN4vllm25paged_attention_v2_kernelI14__hip_bfloat16S1_Li192ELi8ELi128ELNS_18Fp8KVCacheDataTypeE0ELb1ELi512EEEvPfS3_PT_PKS4_PKT0_SA_ifPKiSC_iPKfiiiSE_SE_iiiii.numbered_sgpr, 46
	.set _ZN4vllm25paged_attention_v2_kernelI14__hip_bfloat16S1_Li192ELi8ELi128ELNS_18Fp8KVCacheDataTypeE0ELb1ELi512EEEvPfS3_PT_PKS4_PKT0_SA_ifPKiSC_iPKfiiiSE_SE_iiiii.num_named_barrier, 0
	.set _ZN4vllm25paged_attention_v2_kernelI14__hip_bfloat16S1_Li192ELi8ELi128ELNS_18Fp8KVCacheDataTypeE0ELb1ELi512EEEvPfS3_PT_PKS4_PKT0_SA_ifPKiSC_iPKfiiiSE_SE_iiiii.private_seg_size, 0
	.set _ZN4vllm25paged_attention_v2_kernelI14__hip_bfloat16S1_Li192ELi8ELi128ELNS_18Fp8KVCacheDataTypeE0ELb1ELi512EEEvPfS3_PT_PKS4_PKT0_SA_ifPKiSC_iPKfiiiSE_SE_iiiii.uses_vcc, 1
	.set _ZN4vllm25paged_attention_v2_kernelI14__hip_bfloat16S1_Li192ELi8ELi128ELNS_18Fp8KVCacheDataTypeE0ELb1ELi512EEEvPfS3_PT_PKS4_PKT0_SA_ifPKiSC_iPKfiiiSE_SE_iiiii.uses_flat_scratch, 0
	.set _ZN4vllm25paged_attention_v2_kernelI14__hip_bfloat16S1_Li192ELi8ELi128ELNS_18Fp8KVCacheDataTypeE0ELb1ELi512EEEvPfS3_PT_PKS4_PKT0_SA_ifPKiSC_iPKfiiiSE_SE_iiiii.has_dyn_sized_stack, 0
	.set _ZN4vllm25paged_attention_v2_kernelI14__hip_bfloat16S1_Li192ELi8ELi128ELNS_18Fp8KVCacheDataTypeE0ELb1ELi512EEEvPfS3_PT_PKS4_PKT0_SA_ifPKiSC_iPKfiiiSE_SE_iiiii.has_recursion, 0
	.set _ZN4vllm25paged_attention_v2_kernelI14__hip_bfloat16S1_Li192ELi8ELi128ELNS_18Fp8KVCacheDataTypeE0ELb1ELi512EEEvPfS3_PT_PKS4_PKT0_SA_ifPKiSC_iPKfiiiSE_SE_iiiii.has_indirect_call, 0
	.section	.AMDGPU.csdata,"",@progbits
; Kernel info:
; codeLenInByte = 9384
; TotalNumSgprs: 48
; NumVgprs: 85
; ScratchSize: 0
; MemoryBound: 0
; FloatMode: 240
; IeeeMode: 1
; LDSByteSize: 416 bytes/workgroup (compile time only)
; SGPRBlocks: 0
; VGPRBlocks: 10
; NumSGPRsForWavesPerEU: 48
; NumVGPRsForWavesPerEU: 85
; Occupancy: 10
; WaveLimiterHint : 1
; COMPUTE_PGM_RSRC2:SCRATCH_EN: 0
; COMPUTE_PGM_RSRC2:USER_SGPR: 6
; COMPUTE_PGM_RSRC2:TRAP_HANDLER: 0
; COMPUTE_PGM_RSRC2:TGID_X_EN: 1
; COMPUTE_PGM_RSRC2:TGID_Y_EN: 1
; COMPUTE_PGM_RSRC2:TGID_Z_EN: 1
; COMPUTE_PGM_RSRC2:TIDIG_COMP_CNT: 0
	.section	.text._ZN4vllm32paged_attention_v2_reduce_kernelI14__hip_bfloat16Li192ELi128ELi512EEEvPT_PKfS5_PKS2_PKii,"axG",@progbits,_ZN4vllm32paged_attention_v2_reduce_kernelI14__hip_bfloat16Li192ELi128ELi512EEEvPT_PKfS5_PKS2_PKii,comdat
	.protected	_ZN4vllm32paged_attention_v2_reduce_kernelI14__hip_bfloat16Li192ELi128ELi512EEEvPT_PKfS5_PKS2_PKii ; -- Begin function _ZN4vllm32paged_attention_v2_reduce_kernelI14__hip_bfloat16Li192ELi128ELi512EEEvPT_PKfS5_PKS2_PKii
	.globl	_ZN4vllm32paged_attention_v2_reduce_kernelI14__hip_bfloat16Li192ELi128ELi512EEEvPT_PKfS5_PKS2_PKii
	.p2align	8
	.type	_ZN4vllm32paged_attention_v2_reduce_kernelI14__hip_bfloat16Li192ELi128ELi512EEEvPT_PKfS5_PKS2_PKii,@function
_ZN4vllm32paged_attention_v2_reduce_kernelI14__hip_bfloat16Li192ELi128ELi512EEEvPT_PKfS5_PKS2_PKii: ; @_ZN4vllm32paged_attention_v2_reduce_kernelI14__hip_bfloat16Li192ELi128ELi512EEEvPT_PKfS5_PKS2_PKii
; %bb.0:
	s_load_dwordx4 s[8:11], s[4:5], 0x18
	s_add_u32 s14, s4, 48
	s_mov_b32 s12, s7
	s_addc_u32 s15, s5, 0
	s_ashr_i32 s13, s7, 31
	s_lshl_b64 s[0:1], s[12:13], 2
	s_waitcnt lgkmcnt(0)
	s_add_u32 s0, s10, s0
	s_addc_u32 s1, s11, s1
	s_load_dword s22, s[0:1], 0x0
	s_clause 0x2
	s_load_dwordx2 s[10:11], s[4:5], 0x0
	s_load_dword s7, s[4:5], 0x28
	s_load_dword s13, s[4:5], 0x30
	s_waitcnt lgkmcnt(0)
	s_add_i32 s0, s22, -1
	s_cmpk_gt_u32 s0, 0x1ff
	s_mov_b32 s0, -1
	s_cbranch_scc0 .LBB141_33
; %bb.1:
	s_load_dwordx2 s[2:3], s[4:5], 0x8
	s_add_i32 s0, s22, 0x1ff
	s_mul_i32 s20, s13, s12
	s_ashr_i32 s1, s0, 31
	v_mov_b32_e32 v4, 0xff7fffff
	s_lshr_b32 s1, s1, 23
	v_lshlrev_b32_e32 v3, 2, v0
	s_add_i32 s0, s0, s1
	s_mul_i32 s16, s20, s7
	s_ashr_i32 s21, s0, 9
	s_mul_i32 s18, s7, s6
	v_cmp_gt_i32_e32 vcc_lo, s21, v0
	s_ashr_i32 s17, s16, 31
	s_ashr_i32 s19, s18, 31
	s_and_saveexec_b32 s1, vcc_lo
	s_cbranch_execz .LBB141_5
; %bb.2:
	s_load_dword s0, s[14:15], 0xc
	s_load_dwordx2 s[24:25], s[4:5], 0x10
	s_lshl_b64 s[26:27], s[16:17], 2
	s_lshl_b64 s[28:29], s[18:19], 2
	v_add_nc_u32_e32 v5, 32, v3
	v_mov_b32_e32 v4, 0xff7fffff
	v_mov_b32_e32 v6, v0
	s_waitcnt lgkmcnt(0)
	s_and_b32 s4, s0, 0xffff
	s_add_u32 s0, s26, s28
	s_addc_u32 s5, s27, s29
	s_add_u32 s0, s24, s0
	s_addc_u32 s5, s25, s5
	v_add_co_u32 v1, s0, s0, v3
	v_add_co_ci_u32_e64 v2, null, s5, 0, s0
	s_mov_b32 s5, 0
	s_lshl_b32 s23, s4, 2
	.p2align	6
.LBB141_3:                              ; =>This Inner Loop Header: Depth=1
	global_load_dword v7, v[1:2], off
	v_add_nc_u32_e32 v6, s4, v6
	v_max_f32_e32 v4, v4, v4
	v_add_co_u32 v1, s0, v1, s23
	v_add_co_ci_u32_e64 v2, null, 0, v2, s0
	v_cmp_le_i32_e64 s0, s21, v6
	s_or_b32 s5, s0, s5
	s_waitcnt vmcnt(0)
	v_max_f32_e32 v8, v7, v7
	ds_write_b32 v5, v7
	v_add_nc_u32_e32 v5, s23, v5
	v_max_f32_e32 v4, v4, v8
	s_andn2_b32 exec_lo, exec_lo, s5
	s_cbranch_execnz .LBB141_3
; %bb.4:
	s_or_b32 exec_lo, exec_lo, s5
.LBB141_5:
	s_or_b32 exec_lo, exec_lo, s1
	v_mbcnt_lo_u32_b32 v1, -1, 0
	s_waitcnt lgkmcnt(0)
	s_barrier
	buffer_gl0_inv
	v_xor_b32_e32 v2, 16, v1
	v_xor_b32_e32 v5, 8, v1
	v_cmp_gt_i32_e64 s0, 32, v2
	v_cndmask_b32_e64 v2, v1, v2, s0
	v_cmp_gt_i32_e64 s0, 32, v5
	v_lshlrev_b32_e32 v6, 2, v2
	v_cndmask_b32_e64 v5, v1, v5, s0
	ds_bpermute_b32 v2, v6, v4
	v_max_f32_e32 v4, v4, v4
	v_lshlrev_b32_e32 v7, 2, v5
	v_xor_b32_e32 v5, 4, v1
	v_cmp_gt_i32_e64 s0, 32, v5
	v_cndmask_b32_e64 v5, v1, v5, s0
	v_lshlrev_b32_e32 v8, 2, v5
	v_xor_b32_e32 v5, 2, v1
	s_waitcnt lgkmcnt(0)
	v_max_f32_e32 v2, v2, v2
	v_cmp_gt_i32_e64 s0, 32, v5
	v_max_f32_e32 v2, v4, v2
	v_cndmask_b32_e64 v5, v1, v5, s0
	ds_bpermute_b32 v4, v7, v2
	s_waitcnt lgkmcnt(0)
	v_max_f32_e32 v4, v4, v4
	v_max_f32_e32 v2, v2, v4
	ds_bpermute_b32 v4, v8, v2
	s_waitcnt lgkmcnt(0)
	v_max_f32_e32 v9, v4, v4
	v_lshlrev_b32_e32 v4, 2, v5
	v_max_f32_e32 v2, v2, v9
	v_xor_b32_e32 v9, 1, v1
	ds_bpermute_b32 v5, v4, v2
	v_cmp_gt_i32_e64 s0, 32, v9
	v_cndmask_b32_e64 v1, v1, v9, s0
	v_lshrrev_b32_e32 v9, 5, v0
	v_lshlrev_b32_e32 v9, 2, v9
	s_waitcnt lgkmcnt(0)
	v_max_f32_e32 v5, v5, v5
	v_max_f32_e32 v2, v2, v5
	v_lshlrev_b32_e32 v5, 2, v1
	v_and_b32_e32 v1, 31, v0
	ds_bpermute_b32 v10, v5, v2
	v_cmp_eq_u32_e64 s0, 0, v1
	s_and_saveexec_b32 s1, s0
	s_cbranch_execz .LBB141_7
; %bb.6:
	s_waitcnt lgkmcnt(0)
	v_max_f32_e32 v10, v10, v10
	v_max_f32_e32 v2, v2, v2
	;; [unrolled: 1-line block ×3, first 2 shown]
	ds_write_b32 v9, v2
.LBB141_7:
	s_or_b32 exec_lo, exec_lo, s1
	v_cmp_gt_u32_e64 s1, 4, v1
	v_mov_b32_e32 v2, 0xff7fffff
	s_waitcnt lgkmcnt(0)
	v_lshlrev_b32_e32 v10, 2, v1
	s_barrier
	buffer_gl0_inv
	s_and_saveexec_b32 s4, s1
; %bb.8:
	ds_read_b32 v2, v10
; %bb.9:
	s_or_b32 exec_lo, exec_lo, s4
	s_waitcnt lgkmcnt(0)
	ds_bpermute_b32 v1, v4, v2
	v_max_f32_e32 v2, v2, v2
	v_mov_b32_e32 v11, 0
	s_lshl_b32 s5, s21, 2
	s_waitcnt lgkmcnt(0)
	v_max_f32_e32 v1, v1, v1
	v_max_f32_e32 v1, v2, v1
	ds_bpermute_b32 v2, v5, v1
	s_waitcnt lgkmcnt(0)
	v_max_f32_e32 v2, v2, v2
	v_max_f32_e32 v1, v1, v2
	ds_bpermute_b32 v12, v11, v1
	s_and_saveexec_b32 s4, vcc_lo
	s_cbranch_execz .LBB141_13
; %bb.10:
	s_load_dword s23, s[14:15], 0xc
	s_lshl_b64 s[24:25], s[16:17], 2
	s_lshl_b64 s[26:27], s[18:19], 2
	v_mov_b32_e32 v11, 0
	v_add_nc_u32_e32 v13, 32, v3
	s_waitcnt lgkmcnt(0)
	s_and_b32 s17, s23, 0xffff
	s_add_u32 s19, s24, s26
	s_addc_u32 s23, s25, s27
	s_add_u32 s2, s2, s19
	s_addc_u32 s3, s3, s23
	v_add_co_u32 v1, s2, s2, v3
	v_add_co_ci_u32_e64 v2, null, s3, 0, s2
	v_mov_b32_e32 v3, v0
	s_mov_b32 s3, 0
	s_lshl_b32 s19, s17, 2
	s_inst_prefetch 0x1
	.p2align	6
.LBB141_11:                             ; =>This Inner Loop Header: Depth=1
	global_load_dword v14, v[1:2], off
	ds_read_b32 v15, v13
	v_add_nc_u32_e32 v3, s17, v3
	s_waitcnt lgkmcnt(0)
	v_sub_f32_e32 v15, v15, v12
	v_mul_f32_e32 v16, 0x3fb8aa3b, v15
	v_cmp_ngt_f32_e32 vcc_lo, 0xc2ce8ed0, v15
	v_cmp_nlt_f32_e64 s2, 0x42b17218, v15
	v_fma_f32 v17, 0x3fb8aa3b, v15, -v16
	v_rndne_f32_e32 v18, v16
	v_fmac_f32_e32 v17, 0x32a5705f, v15
	v_sub_f32_e32 v16, v16, v18
	v_add_f32_e32 v16, v16, v17
	v_cvt_i32_f32_e32 v17, v18
	v_exp_f32_e32 v16, v16
	v_ldexp_f32 v16, v16, v17
	v_add_nc_u32_e32 v17, s5, v13
	v_add_nc_u32_e32 v13, s19, v13
	v_cndmask_b32_e32 v16, 0, v16, vcc_lo
	v_add_co_u32 v1, vcc_lo, v1, s19
	v_add_co_ci_u32_e64 v2, null, 0, v2, vcc_lo
	v_cndmask_b32_e64 v15, 0x7f800000, v16, s2
	v_cmp_le_i32_e32 vcc_lo, s21, v3
	s_or_b32 s3, vcc_lo, s3
	s_waitcnt vmcnt(0)
	v_mul_f32_e32 v16, v14, v15
	v_fmac_f32_e32 v11, v14, v15
	ds_write_b32 v17, v16
	s_andn2_b32 exec_lo, exec_lo, s3
	s_cbranch_execnz .LBB141_11
; %bb.12:
	s_inst_prefetch 0x2
	s_or_b32 exec_lo, exec_lo, s3
.LBB141_13:
	s_or_b32 exec_lo, exec_lo, s4
	ds_bpermute_b32 v1, v6, v11
	s_waitcnt lgkmcnt(0)
	s_barrier
	buffer_gl0_inv
	v_add_f32_e32 v1, v11, v1
	ds_bpermute_b32 v2, v7, v1
	s_waitcnt lgkmcnt(0)
	v_add_f32_e32 v1, v1, v2
	ds_bpermute_b32 v2, v8, v1
	s_waitcnt lgkmcnt(0)
	;; [unrolled: 3-line block ×4, first 2 shown]
	v_add_f32_e32 v1, v1, v2
	s_and_saveexec_b32 s2, s0
; %bb.14:
	ds_write_b32 v9, v1 offset:16
; %bb.15:
	s_or_b32 exec_lo, exec_lo, s2
	s_waitcnt lgkmcnt(0)
	s_barrier
	buffer_gl0_inv
	s_and_saveexec_b32 s0, s1
; %bb.16:
	ds_read_b32 v1, v10 offset:16
; %bb.17:
	s_or_b32 exec_lo, exec_lo, s0
	s_waitcnt lgkmcnt(0)
	ds_bpermute_b32 v2, v4, v1
	s_mov_b32 s4, exec_lo
	s_waitcnt lgkmcnt(0)
	v_add_f32_e32 v1, v1, v2
	ds_bpermute_b32 v2, v5, v1
	s_waitcnt lgkmcnt(0)
	v_add_f32_e32 v1, v1, v2
	v_mov_b32_e32 v2, 0
	ds_bpermute_b32 v1, v2, v1
	v_cmpx_gt_u32_e32 0xc0, v0
	s_cbranch_execz .LBB141_32
; %bb.18:
	s_waitcnt lgkmcnt(0)
	v_add_f32_e32 v2, 0x358637bd, v1
	s_mul_i32 s0, s16, 0xc0
	s_mul_i32 s2, s18, 0xc0
	s_ashr_i32 s1, s0, 31
	s_ashr_i32 s3, s2, 31
	v_div_scale_f32 v1, null, v2, v2, 1.0
	v_div_scale_f32 v5, vcc_lo, 1.0, v2, 1.0
	s_cmp_gt_i32 s22, 0
	v_rcp_f32_e32 v3, v1
	s_cselect_b32 s17, -1, 0
	s_mov_b32 s16, 0
	v_fma_f32 v4, -v1, v3, 1.0
	v_fmac_f32_e32 v3, v4, v3
	v_mul_f32_e32 v4, v5, v3
	v_fma_f32 v6, -v1, v4, v5
	v_fmac_f32_e32 v4, v6, v3
	v_fma_f32 v1, -v1, v4, v5
	v_div_fmas_f32 v3, v1, v3, v4
	s_and_b32 vcc_lo, exec_lo, s17
	s_cbranch_vccnz .LBB141_20
; %bb.19:
	v_mov_b32_e32 v1, 0
	s_branch .LBB141_21
.LBB141_20:
	s_mov_b32 s16, -1
.LBB141_21:
	v_div_fixup_f32 v5, v3, v2, 1.0
	v_mov_b32_e32 v6, 0
	s_add_i32 s5, s5, 32
	s_andn2_b32 vcc_lo, exec_lo, s16
	s_max_i32 s16, s21, 1
	s_cbranch_vccnz .LBB141_25
; %bb.22:
	s_lshl_b64 s[18:19], s[0:1], 1
	s_lshl_b64 s[22:23], s[2:3], 1
	v_lshlrev_b32_e32 v2, 1, v0
	s_add_u32 s18, s18, s22
	s_addc_u32 s19, s19, s23
	v_mov_b32_e32 v1, 0
	s_add_u32 s18, s8, s18
	s_addc_u32 s19, s9, s19
	v_add_co_u32 v2, s18, s18, v2
	v_add_co_ci_u32_e64 v3, null, s19, 0, s18
	v_mov_b32_e32 v4, v1
	s_mov_b32 s18, s5
	s_mov_b32 s19, s16
	.p2align	6
.LBB141_23:                             ; =>This Inner Loop Header: Depth=1
	global_load_ushort v6, v[2:3], off
	v_mov_b32_e32 v7, s18
	v_add_co_u32 v2, vcc_lo, 0x180, v2
	v_add_co_ci_u32_e64 v3, null, 0, v3, vcc_lo
	ds_read_b32 v7, v7
	s_add_i32 s19, s19, -1
	s_add_i32 s18, s18, 4
	s_cmp_eq_u32 s19, 0
	s_waitcnt vmcnt(0)
	v_lshlrev_b32_e32 v6, 16, v6
	s_waitcnt lgkmcnt(0)
	v_mul_f32_e32 v6, v7, v6
	v_fmac_f32_e32 v4, v5, v6
	s_cbranch_scc0 .LBB141_23
; %bb.24:
	v_bfe_u32 v2, v4, 16, 1
	v_or_b32_e32 v3, 0x400000, v4
	v_cmp_u_f32_e32 vcc_lo, v4, v4
	v_add3_u32 v2, v2, v4, 0x7fff
	v_cndmask_b32_e32 v2, v2, v3, vcc_lo
	v_lshrrev_b32_e32 v6, 16, v2
.LBB141_25:
	s_mul_i32 s18, s20, 0xc0
	s_mul_i32 s20, s6, 0xc0
	s_ashr_i32 s19, s18, 31
	v_lshlrev_b64 v[3:4], 1, v[0:1]
	s_lshl_b64 s[18:19], s[18:19], 1
	s_add_u32 s22, s10, s18
	s_addc_u32 s23, s11, s19
	s_ashr_i32 s21, s20, 31
	s_lshl_b64 s[18:19], s[20:21], 1
	s_add_u32 s18, s22, s18
	s_addc_u32 s19, s23, s19
	v_add_co_u32 v1, vcc_lo, s18, v3
	v_add_co_ci_u32_e64 v2, null, s19, v4, vcc_lo
	v_cmp_gt_u32_e32 vcc_lo, 64, v0
	global_store_short v[1:2], v6, off
	s_and_b32 exec_lo, exec_lo, vcc_lo
	s_cbranch_execz .LBB141_32
; %bb.26:
	s_andn2_b32 vcc_lo, exec_lo, s17
	s_cbranch_vccnz .LBB141_30
; %bb.27:
	s_lshl_b64 s[0:1], s[0:1], 1
	s_lshl_b64 s[2:3], s[2:3], 1
	v_mov_b32_e32 v6, 0
	s_add_u32 s0, s0, s2
	s_addc_u32 s1, s1, s3
	s_add_u32 s0, s8, s0
	s_addc_u32 s1, s9, s1
	v_add_co_u32 v3, vcc_lo, s0, v3
	v_add_co_ci_u32_e64 v4, null, s1, v4, vcc_lo
	v_add_co_u32 v3, vcc_lo, 0x100, v3
	v_add_co_ci_u32_e64 v4, null, 0, v4, vcc_lo
	.p2align	6
.LBB141_28:                             ; =>This Inner Loop Header: Depth=1
	global_load_ushort v7, v[3:4], off
	v_mov_b32_e32 v8, s5
	v_add_co_u32 v3, vcc_lo, 0x180, v3
	v_add_co_ci_u32_e64 v4, null, 0, v4, vcc_lo
	ds_read_b32 v8, v8
	s_add_i32 s16, s16, -1
	s_add_i32 s5, s5, 4
	s_cmp_lg_u32 s16, 0
	s_waitcnt vmcnt(0)
	v_lshlrev_b32_e32 v7, 16, v7
	s_waitcnt lgkmcnt(0)
	v_mul_f32_e32 v7, v8, v7
	v_fmac_f32_e32 v6, v5, v7
	s_cbranch_scc1 .LBB141_28
; %bb.29:
	v_bfe_u32 v3, v6, 16, 1
	v_or_b32_e32 v4, 0x400000, v6
	v_cmp_u_f32_e32 vcc_lo, v6, v6
	v_add3_u32 v3, v3, v6, 0x7fff
	v_cndmask_b32_e32 v3, v3, v4, vcc_lo
	v_lshrrev_b32_e32 v3, 16, v3
	s_branch .LBB141_31
.LBB141_30:
	v_mov_b32_e32 v3, 0
.LBB141_31:
	global_store_short v[1:2], v3, off offset:256
.LBB141_32:
	s_or_b32 exec_lo, exec_lo, s4
	s_mov_b32 s0, 0
.LBB141_33:
	s_and_b32 vcc_lo, exec_lo, s0
	s_cbranch_vccz .LBB141_42
; %bb.34:
	s_mov_b32 s0, exec_lo
	v_cmpx_gt_u32_e32 0xc0, v0
	s_cbranch_execz .LBB141_42
; %bb.35:
	s_load_dword s0, s[14:15], 0xc
	s_mul_i32 s1, s13, s12
	s_mul_i32 s4, s6, 0xc0
	;; [unrolled: 1-line block ×5, first 2 shown]
	v_cmp_gt_u32_e32 vcc_lo, 0xbd, v0
	s_ashr_i32 s5, s4, 31
	s_ashr_i32 s13, s12, 31
	;; [unrolled: 1-line block ×4, first 2 shown]
	s_waitcnt lgkmcnt(0)
	s_and_b32 s1, s0, 0xffff
	s_cmp_eq_u32 s1, 1
	s_cselect_b32 s0, -1, 0
	s_and_b32 s15, vcc_lo, s0
	s_mov_b32 s0, -1
	s_and_saveexec_b32 s14, s15
	s_cbranch_execz .LBB141_39
; %bb.36:
	s_lshl_b64 s[16:17], s[6:7], 1
	s_lshl_b64 s[18:19], s[2:3], 1
	v_lshlrev_b32_e32 v1, 1, v0
	s_add_u32 s0, s16, s18
	s_addc_u32 s15, s17, s19
	s_add_u32 s0, s8, s0
	s_addc_u32 s15, s9, s15
	s_lshl_b64 s[16:17], s[12:13], 1
	s_lshl_b64 s[18:19], s[4:5], 1
	v_add_co_u32 v2, s0, s0, v1
	v_add_co_ci_u32_e64 v3, null, s15, 0, s0
	s_add_u32 s0, s16, s18
	v_sub_nc_u32_e32 v5, 0xc0, v0
	s_addc_u32 s15, s17, s19
	s_add_u32 s0, s10, s0
	s_addc_u32 s15, s11, s15
	v_add_co_u32 v4, s0, s0, v1
	v_and_b32_e32 v6, 0xfc, v5
	v_add_co_ci_u32_e64 v7, null, s15, 0, s0
	v_add_co_u32 v1, vcc_lo, v2, 4
	v_add_co_ci_u32_e64 v2, null, 0, v3, vcc_lo
	v_add_co_u32 v3, vcc_lo, v4, 4
	v_add_co_ci_u32_e64 v4, null, 0, v7, vcc_lo
	v_mov_b32_e32 v7, v6
	s_mov_b32 s15, 0
	.p2align	6
.LBB141_37:                             ; =>This Inner Loop Header: Depth=1
	global_load_dwordx2 v[8:9], v[1:2], off offset:-4
	v_add_nc_u32_e32 v7, -4, v7
	v_add_co_u32 v1, vcc_lo, v1, 8
	v_add_co_ci_u32_e64 v2, null, 0, v2, vcc_lo
	v_cmp_eq_u32_e32 vcc_lo, 0, v7
	s_or_b32 s15, vcc_lo, s15
	s_waitcnt vmcnt(0)
	global_store_dwordx2 v[3:4], v[8:9], off offset:-4
	v_add_co_u32 v3, s0, v3, 8
	v_add_co_ci_u32_e64 v4, null, 0, v4, s0
	s_andn2_b32 exec_lo, exec_lo, s15
	s_cbranch_execnz .LBB141_37
; %bb.38:
	s_or_b32 exec_lo, exec_lo, s15
	v_cmp_ne_u32_e32 vcc_lo, v5, v6
	v_add_nc_u32_e32 v0, v0, v6
	s_orn2_b32 s0, vcc_lo, exec_lo
.LBB141_39:
	s_or_b32 exec_lo, exec_lo, s14
	s_and_b32 exec_lo, exec_lo, s0
	s_cbranch_execz .LBB141_42
; %bb.40:
	s_lshl_b64 s[12:13], s[12:13], 1
	v_lshlrev_b32_e32 v1, 1, v0
	s_add_u32 s0, s10, s12
	s_addc_u32 s10, s11, s13
	s_lshl_b64 s[4:5], s[4:5], 1
	v_mov_b32_e32 v2, 0
	s_add_u32 s4, s0, s4
	s_addc_u32 s5, s10, s5
	s_lshl_b64 s[6:7], s[6:7], 1
	s_add_u32 s0, s8, s6
	s_addc_u32 s6, s9, s7
	s_lshl_b64 s[2:3], s[2:3], 1
	s_add_u32 s2, s0, s2
	s_addc_u32 s3, s6, s3
	s_mov_b32 s6, 0
	s_lshl_b32 s7, s1, 1
	.p2align	6
.LBB141_41:                             ; =>This Inner Loop Header: Depth=1
	v_add_co_u32 v3, vcc_lo, s2, v1
	v_add_co_ci_u32_e64 v4, null, s3, v2, vcc_lo
	v_add_nc_u32_e32 v0, s1, v0
	global_load_ushort v5, v[3:4], off
	v_add_co_u32 v3, vcc_lo, s4, v1
	v_add_co_ci_u32_e64 v4, null, s5, v2, vcc_lo
	v_cmp_lt_u32_e32 vcc_lo, 0xbf, v0
	v_add_co_u32 v1, s0, v1, s7
	v_add_co_ci_u32_e64 v2, null, 0, v2, s0
	s_or_b32 s6, vcc_lo, s6
	s_waitcnt vmcnt(0)
	global_store_short v[3:4], v5, off
	s_andn2_b32 exec_lo, exec_lo, s6
	s_cbranch_execnz .LBB141_41
.LBB141_42:
	s_endpgm
	.section	.rodata,"a",@progbits
	.p2align	6, 0x0
	.amdhsa_kernel _ZN4vllm32paged_attention_v2_reduce_kernelI14__hip_bfloat16Li192ELi128ELi512EEEvPT_PKfS5_PKS2_PKii
		.amdhsa_group_segment_fixed_size 32
		.amdhsa_private_segment_fixed_size 0
		.amdhsa_kernarg_size 304
		.amdhsa_user_sgpr_count 6
		.amdhsa_user_sgpr_private_segment_buffer 1
		.amdhsa_user_sgpr_dispatch_ptr 0
		.amdhsa_user_sgpr_queue_ptr 0
		.amdhsa_user_sgpr_kernarg_segment_ptr 1
		.amdhsa_user_sgpr_dispatch_id 0
		.amdhsa_user_sgpr_flat_scratch_init 0
		.amdhsa_user_sgpr_private_segment_size 0
		.amdhsa_wavefront_size32 1
		.amdhsa_uses_dynamic_stack 0
		.amdhsa_system_sgpr_private_segment_wavefront_offset 0
		.amdhsa_system_sgpr_workgroup_id_x 1
		.amdhsa_system_sgpr_workgroup_id_y 1
		.amdhsa_system_sgpr_workgroup_id_z 0
		.amdhsa_system_sgpr_workgroup_info 0
		.amdhsa_system_vgpr_workitem_id 0
		.amdhsa_next_free_vgpr 19
		.amdhsa_next_free_sgpr 30
		.amdhsa_reserve_vcc 1
		.amdhsa_reserve_flat_scratch 0
		.amdhsa_float_round_mode_32 0
		.amdhsa_float_round_mode_16_64 0
		.amdhsa_float_denorm_mode_32 3
		.amdhsa_float_denorm_mode_16_64 3
		.amdhsa_dx10_clamp 1
		.amdhsa_ieee_mode 1
		.amdhsa_fp16_overflow 0
		.amdhsa_workgroup_processor_mode 1
		.amdhsa_memory_ordered 1
		.amdhsa_forward_progress 1
		.amdhsa_shared_vgpr_count 0
		.amdhsa_exception_fp_ieee_invalid_op 0
		.amdhsa_exception_fp_denorm_src 0
		.amdhsa_exception_fp_ieee_div_zero 0
		.amdhsa_exception_fp_ieee_overflow 0
		.amdhsa_exception_fp_ieee_underflow 0
		.amdhsa_exception_fp_ieee_inexact 0
		.amdhsa_exception_int_div_zero 0
	.end_amdhsa_kernel
	.section	.text._ZN4vllm32paged_attention_v2_reduce_kernelI14__hip_bfloat16Li192ELi128ELi512EEEvPT_PKfS5_PKS2_PKii,"axG",@progbits,_ZN4vllm32paged_attention_v2_reduce_kernelI14__hip_bfloat16Li192ELi128ELi512EEEvPT_PKfS5_PKS2_PKii,comdat
.Lfunc_end141:
	.size	_ZN4vllm32paged_attention_v2_reduce_kernelI14__hip_bfloat16Li192ELi128ELi512EEEvPT_PKfS5_PKS2_PKii, .Lfunc_end141-_ZN4vllm32paged_attention_v2_reduce_kernelI14__hip_bfloat16Li192ELi128ELi512EEEvPT_PKfS5_PKS2_PKii
                                        ; -- End function
	.set _ZN4vllm32paged_attention_v2_reduce_kernelI14__hip_bfloat16Li192ELi128ELi512EEEvPT_PKfS5_PKS2_PKii.num_vgpr, 19
	.set _ZN4vllm32paged_attention_v2_reduce_kernelI14__hip_bfloat16Li192ELi128ELi512EEEvPT_PKfS5_PKS2_PKii.num_agpr, 0
	.set _ZN4vllm32paged_attention_v2_reduce_kernelI14__hip_bfloat16Li192ELi128ELi512EEEvPT_PKfS5_PKS2_PKii.numbered_sgpr, 30
	.set _ZN4vllm32paged_attention_v2_reduce_kernelI14__hip_bfloat16Li192ELi128ELi512EEEvPT_PKfS5_PKS2_PKii.num_named_barrier, 0
	.set _ZN4vllm32paged_attention_v2_reduce_kernelI14__hip_bfloat16Li192ELi128ELi512EEEvPT_PKfS5_PKS2_PKii.private_seg_size, 0
	.set _ZN4vllm32paged_attention_v2_reduce_kernelI14__hip_bfloat16Li192ELi128ELi512EEEvPT_PKfS5_PKS2_PKii.uses_vcc, 1
	.set _ZN4vllm32paged_attention_v2_reduce_kernelI14__hip_bfloat16Li192ELi128ELi512EEEvPT_PKfS5_PKS2_PKii.uses_flat_scratch, 0
	.set _ZN4vllm32paged_attention_v2_reduce_kernelI14__hip_bfloat16Li192ELi128ELi512EEEvPT_PKfS5_PKS2_PKii.has_dyn_sized_stack, 0
	.set _ZN4vllm32paged_attention_v2_reduce_kernelI14__hip_bfloat16Li192ELi128ELi512EEEvPT_PKfS5_PKS2_PKii.has_recursion, 0
	.set _ZN4vllm32paged_attention_v2_reduce_kernelI14__hip_bfloat16Li192ELi128ELi512EEEvPT_PKfS5_PKS2_PKii.has_indirect_call, 0
	.section	.AMDGPU.csdata,"",@progbits
; Kernel info:
; codeLenInByte = 2656
; TotalNumSgprs: 32
; NumVgprs: 19
; ScratchSize: 0
; MemoryBound: 0
; FloatMode: 240
; IeeeMode: 1
; LDSByteSize: 32 bytes/workgroup (compile time only)
; SGPRBlocks: 0
; VGPRBlocks: 2
; NumSGPRsForWavesPerEU: 32
; NumVGPRsForWavesPerEU: 19
; Occupancy: 16
; WaveLimiterHint : 0
; COMPUTE_PGM_RSRC2:SCRATCH_EN: 0
; COMPUTE_PGM_RSRC2:USER_SGPR: 6
; COMPUTE_PGM_RSRC2:TRAP_HANDLER: 0
; COMPUTE_PGM_RSRC2:TGID_X_EN: 1
; COMPUTE_PGM_RSRC2:TGID_Y_EN: 1
; COMPUTE_PGM_RSRC2:TGID_Z_EN: 0
; COMPUTE_PGM_RSRC2:TIDIG_COMP_CNT: 0
	.section	.text._ZN4vllm25paged_attention_v2_kernelI14__hip_bfloat16S1_Li256ELi8ELi128ELNS_18Fp8KVCacheDataTypeE0ELb1ELi512EEEvPfS3_PT_PKS4_PKT0_SA_ifPKiSC_iPKfiiiSE_SE_iiiii,"axG",@progbits,_ZN4vllm25paged_attention_v2_kernelI14__hip_bfloat16S1_Li256ELi8ELi128ELNS_18Fp8KVCacheDataTypeE0ELb1ELi512EEEvPfS3_PT_PKS4_PKT0_SA_ifPKiSC_iPKfiiiSE_SE_iiiii,comdat
	.protected	_ZN4vllm25paged_attention_v2_kernelI14__hip_bfloat16S1_Li256ELi8ELi128ELNS_18Fp8KVCacheDataTypeE0ELb1ELi512EEEvPfS3_PT_PKS4_PKT0_SA_ifPKiSC_iPKfiiiSE_SE_iiiii ; -- Begin function _ZN4vllm25paged_attention_v2_kernelI14__hip_bfloat16S1_Li256ELi8ELi128ELNS_18Fp8KVCacheDataTypeE0ELb1ELi512EEEvPfS3_PT_PKS4_PKT0_SA_ifPKiSC_iPKfiiiSE_SE_iiiii
	.globl	_ZN4vllm25paged_attention_v2_kernelI14__hip_bfloat16S1_Li256ELi8ELi128ELNS_18Fp8KVCacheDataTypeE0ELb1ELi512EEEvPfS3_PT_PKS4_PKT0_SA_ifPKiSC_iPKfiiiSE_SE_iiiii
	.p2align	8
	.type	_ZN4vllm25paged_attention_v2_kernelI14__hip_bfloat16S1_Li256ELi8ELi128ELNS_18Fp8KVCacheDataTypeE0ELb1ELi512EEEvPfS3_PT_PKS4_PKT0_SA_ifPKiSC_iPKfiiiSE_SE_iiiii,@function
_ZN4vllm25paged_attention_v2_kernelI14__hip_bfloat16S1_Li256ELi8ELi128ELNS_18Fp8KVCacheDataTypeE0ELb1ELi512EEEvPfS3_PT_PKS4_PKT0_SA_ifPKiSC_iPKfiiiSE_SE_iiiii: ; @_ZN4vllm25paged_attention_v2_kernelI14__hip_bfloat16S1_Li256ELi8ELi128ELNS_18Fp8KVCacheDataTypeE0ELb1ELi512EEEvPfS3_PT_PKS4_PKT0_SA_ifPKiSC_iPKfiiiSE_SE_iiiii
; %bb.0:
	s_load_dwordx2 s[0:1], s[4:5], 0x40
	s_mov_b32 s26, s7
	s_ashr_i32 s27, s7, 31
	s_lshl_b64 s[2:3], s[26:27], 2
	s_waitcnt lgkmcnt(0)
	s_add_u32 s0, s0, s2
	s_addc_u32 s1, s1, s3
	s_lshl_b32 s38, s8, 9
	s_load_dword s27, s[0:1], 0x0
	s_waitcnt lgkmcnt(0)
	s_cmp_ge_i32 s38, s27
	s_cbranch_scc1 .LBB142_70
; %bb.1:
	s_clause 0x1
	s_load_dword s9, s[4:5], 0x90
	s_load_dwordx2 s[36:37], s[4:5], 0x30
	s_mov_b32 s40, 0
	s_waitcnt lgkmcnt(0)
	s_abs_i32 s3, s9
	s_abs_i32 s0, s36
	v_cvt_f32_u32_e32 v1, s0
	s_sub_i32 s2, 0, s0
	v_rcp_iflag_f32_e32 v1, v1
	v_mul_f32_e32 v1, 0x4f7ffffe, v1
	v_cvt_u32_f32_e32 v1, v1
	v_readfirstlane_b32 s1, v1
	s_mul_i32 s2, s2, s1
	s_mul_hi_u32 s2, s1, s2
	s_add_i32 s1, s1, s2
	s_xor_b32 s2, s9, s36
	s_mul_hi_u32 s1, s3, s1
	s_ashr_i32 s2, s2, 31
	s_mul_i32 s7, s1, s0
	s_sub_i32 s3, s3, s7
	s_add_i32 s7, s1, 1
	s_sub_i32 s10, s3, s0
	s_cmp_ge_u32 s3, s0
	s_cselect_b32 s1, s7, s1
	s_cselect_b32 s3, s10, s3
	s_add_i32 s7, s1, 1
	s_cmp_ge_u32 s3, s0
	s_cselect_b32 s0, s7, s1
	s_xor_b32 s0, s0, s2
	s_sub_i32 s10, s0, s2
	s_load_dwordx2 s[0:1], s[4:5], 0x50
	s_abs_i32 s2, s10
	v_cvt_f32_u32_e32 v1, s2
	s_sub_i32 s3, 0, s2
	v_rcp_iflag_f32_e32 v1, v1
	v_mul_f32_e32 v1, 0x4f7ffffe, v1
	v_cvt_u32_f32_e32 v1, v1
	v_readfirstlane_b32 s7, v1
	s_mul_i32 s3, s3, s7
	s_mul_hi_u32 s11, s7, s3
	s_abs_i32 s3, s6
	s_add_i32 s7, s7, s11
	s_waitcnt lgkmcnt(0)
	s_cmp_eq_u64 s[0:1], 0
	s_mul_hi_u32 s20, s3, s7
	s_cbranch_scc1 .LBB142_3
; %bb.2:
	s_ashr_i32 s7, s6, 31
	s_lshl_b64 s[12:13], s[6:7], 2
	s_add_u32 s0, s0, s12
	s_addc_u32 s1, s1, s13
	s_load_dword s40, s[0:1], 0x0
.LBB142_3:
	s_load_dwordx4 s[12:15], s[4:5], 0x58
	v_and_b32_e32 v1, 3, v0
	v_lshlrev_b32_e32 v2, 2, v0
	s_ashr_i32 s0, s6, 31
	s_ashr_i32 s1, s10, 31
	s_lshl_b32 s10, s6, 8
	s_mov_b32 s7, exec_lo
	v_cmpx_gt_u32_e32 0x80, v0
	s_cbranch_execz .LBB142_5
; %bb.4:
	s_load_dwordx2 s[16:17], s[4:5], 0x18
	s_waitcnt lgkmcnt(0)
	s_mul_i32 s18, s12, s26
	v_and_b32_e32 v4, 0x3fc, v0
	s_ashr_i32 s19, s18, 31
	s_lshl_b64 s[18:19], s[18:19], 1
	v_lshl_add_u32 v4, v1, 7, v4
	s_add_u32 s12, s16, s18
	s_addc_u32 s15, s17, s19
	s_ashr_i32 s11, s10, 31
	s_lshl_b64 s[16:17], s[10:11], 1
	s_add_u32 s16, s12, s16
	s_addc_u32 s17, s15, s17
	global_load_dword v3, v2, s[16:17]
	s_waitcnt vmcnt(0)
	ds_write_b32 v4, v3
.LBB142_5:
	s_or_b32 exec_lo, exec_lo, s7
	s_load_dwordx4 s[16:19], s[4:5], 0x78
	s_mul_i32 s7, s20, s2
	s_xor_b32 s0, s0, s1
	s_sub_i32 s1, s3, s7
	s_add_i32 s3, s20, 1
	s_sub_i32 s7, s1, s2
	s_cmp_ge_u32 s1, s2
                                        ; implicit-def: $sgpr33
	s_cselect_b32 s3, s3, s20
	s_cselect_b32 s1, s7, s1
	s_add_i32 s7, s3, 1
	s_cmp_ge_u32 s1, s2
	s_mov_b32 s20, -1
	s_cselect_b32 s1, s7, s3
	s_load_dword s3, s[4:5], 0x88
	s_xor_b32 s1, s1, s0
	s_add_i32 s7, s27, -1
	s_sub_i32 s1, s1, s0
	s_abs_i32 s2, s7
	s_waitcnt lgkmcnt(0)
	s_abs_i32 s11, s19
	s_barrier
	v_cvt_f32_u32_e32 v3, s11
	s_sub_i32 s0, 0, s11
	buffer_gl0_inv
	v_rcp_iflag_f32_e32 v3, v3
	v_mul_f32_e32 v3, 0x4f7ffffe, v3
	v_cvt_u32_f32_e32 v3, v3
	v_readfirstlane_b32 s12, v3
	s_mul_i32 s0, s0, s12
	s_mul_hi_u32 s0, s12, s0
	s_add_i32 s12, s12, s0
	s_cmp_lt_i32 s3, 0
	s_mul_hi_u32 s0, s2, s12
	s_cbranch_scc0 .LBB142_7
; %bb.6:
	s_mul_i32 s15, s16, s36
	s_mov_b32 s20, 0
	s_add_i32 s15, s1, s15
	s_mul_i32 s15, s15, s3
	s_sub_i32 s33, 1, s15
.LBB142_7:
	s_load_dwordx2 s[28:29], s[4:5], 0x38
	s_ashr_i32 s15, s7, 31
	s_andn2_b32 vcc_lo, exec_lo, s20
	s_ashr_i32 s19, s19, 31
	s_cbranch_vccnz .LBB142_9
; %bb.8:
	s_mul_i32 s7, s9, s16
	s_add_i32 s7, s7, s6
	s_mul_i32 s3, s7, s3
	s_add_i32 s33, s3, 1
.LBB142_9:
	s_clause 0x4
	s_load_dword s3, s[4:5], 0x48
	s_load_dwordx2 s[34:35], s[4:5], 0x28
	s_load_dword s7, s[4:5], 0x98
	s_load_dwordx4 s[20:23], s[4:5], 0x0
	s_load_dwordx2 s[24:25], s[4:5], 0x10
	s_mul_i32 s16, s0, s11
	s_xor_b32 s15, s15, s19
	s_sub_i32 s2, s2, s16
	s_add_i32 s36, s0, 1
	v_lshrrev_b32_e32 v44, 5, v0
	v_mov_b32_e32 v4, 0xff7fffff
	v_mbcnt_lo_u32_b32 v3, -1, 0
	s_mul_i32 s14, s1, s14
	v_lshl_add_u32 v45, v44, 3, s38
	s_waitcnt lgkmcnt(0)
	s_mul_i32 s30, s3, s26
	s_sub_i32 s3, s2, s11
	s_ashr_i32 s31, s30, 31
	s_cmp_ge_u32 s2, s11
	s_cselect_b32 s0, s36, s0
	s_cselect_b32 s2, s3, s2
	s_add_i32 s3, s0, 1
	s_cmp_ge_u32 s2, s11
	s_cselect_b32 s0, s3, s0
	s_add_i32 s2, s27, 7
	s_lshl_b32 s41, s8, 6
	s_ashr_i32 s3, s2, 31
	v_or_b32_e32 v41, s41, v44
	s_lshr_b32 s3, s3, 29
	s_add_i32 s2, s2, s3
	s_add_i32 s3, s41, 64
	s_ashr_i32 s36, s2, 3
	s_xor_b32 s2, s0, s15
	s_min_i32 s16, s3, s36
	v_ashrrev_i32_e32 v42, 31, v41
	v_cmp_gt_i32_e64 s0, s16, v41
	s_sub_i32 s39, s2, s15
	s_and_saveexec_b32 s42, s0
	s_cbranch_execz .LBB142_21
; %bb.10:
	s_load_dwordx2 s[2:3], s[4:5], 0x20
	s_ashr_i32 s15, s14, 31
	s_sub_i32 s4, s39, s17
	s_lshl_b64 s[44:45], s[14:15], 1
	v_bfe_u32 v5, v0, 2, 3
	v_cmp_eq_u32_e32 vcc_lo, 0, v1
	v_and_b32_e32 v13, 12, v2
	v_lshlrev_b32_e32 v6, 7, v1
	v_lshlrev_b64 v[1:2], 2, v[41:42]
	v_lshlrev_b32_e32 v11, 2, v5
	v_subrev_nc_u32_e32 v14, s27, v5
	v_lshlrev_b32_e32 v17, 4, v5
	v_cmp_neq_f32_e64 s1, s40, 0
	v_lshl_add_u32 v7, v44, 3, s38
	v_lshl_or_b32 v15, v44, 5, v11
	v_add_nc_u32_e32 v11, 1, v14
	v_mov_b32_e32 v8, 0xff7fffff
	v_xor_b32_e32 v9, 2, v3
	v_xor_b32_e32 v10, 1, v3
	s_waitcnt lgkmcnt(0)
	s_add_u32 s15, s2, s44
	s_addc_u32 s43, s3, s45
	s_abs_i32 s5, s18
	v_cvt_f32_u32_e32 v4, s5
	s_sub_i32 s2, 0, s5
	v_rcp_iflag_f32_e32 v4, v4
	v_mul_f32_e32 v12, 0x4f7ffffe, v4
	v_mov_b32_e32 v4, 0xff7fffff
	v_cvt_u32_f32_e32 v16, v12
	v_add_nc_u32_e32 v12, 0x220, v15
	v_add_co_u32 v15, s15, s15, v17
	v_add_co_ci_u32_e64 v17, null, s43, 0, s15
	v_mul_lo_u32 v14, s2, v16
	s_lshl_b64 s[2:3], s[30:31], 2
	s_mov_b32 s15, 0
	s_add_u32 s2, s28, s2
	s_addc_u32 s3, s29, s3
	v_add_co_u32 v1, s2, s2, v1
	v_add_co_ci_u32_e64 v2, null, s3, v2, s2
	v_mul_hi_u32 v18, v16, v14
	v_add_co_u32 v13, s2, v15, v13
	v_add_co_ci_u32_e64 v14, null, 0, v17, s2
	s_mov_b32 s43, s13
	v_add_nc_u32_e32 v15, v16, v18
	v_mov_b32_e32 v16, v41
	s_branch .LBB142_13
.LBB142_11:                             ;   in Loop: Header=BB142_13 Depth=1
	s_or_b32 exec_lo, exec_lo, s44
.LBB142_12:                             ;   in Loop: Header=BB142_13 Depth=1
	s_or_b32 exec_lo, exec_lo, s3
	v_add_nc_u32_e32 v16, 4, v16
	v_add_co_u32 v1, s3, v1, 16
	v_add_co_ci_u32_e64 v2, null, 0, v2, s3
	v_cmp_le_i32_e64 s2, s16, v16
	v_add_nc_u32_e32 v7, 32, v7
	v_add_nc_u32_e32 v12, 0x80, v12
	s_or_b32 s15, s2, s15
	s_andn2_b32 exec_lo, exec_lo, s15
	s_cbranch_execz .LBB142_20
.LBB142_13:                             ; =>This Inner Loop Header: Depth=1
	v_sub_nc_u32_e32 v17, 0, v7
	v_max_i32_e32 v17, v7, v17
	s_waitcnt lgkmcnt(0)
	v_mul_hi_u32 v18, v17, s12
	v_mul_lo_u32 v19, v18, s11
	v_sub_nc_u32_e32 v17, v17, v19
	v_add_nc_u32_e32 v19, 1, v18
	v_subrev_nc_u32_e32 v20, s11, v17
	v_cmp_le_u32_e64 s2, s11, v17
	v_cndmask_b32_e64 v18, v18, v19, s2
	v_cndmask_b32_e64 v17, v17, v20, s2
	v_ashrrev_i32_e32 v19, 31, v7
	v_add_nc_u32_e32 v20, 1, v18
	v_cmp_le_u32_e64 s2, s11, v17
	v_xor_b32_e32 v19, s19, v19
	v_cndmask_b32_e64 v17, v18, v20, s2
	v_xor_b32_e32 v17, v17, v19
	v_sub_nc_u32_e32 v17, v17, v19
	v_add_nc_u32_e32 v18, s33, v17
	v_cmp_ge_i32_e64 s3, s4, v17
	v_sub_nc_u32_e32 v19, 0, v18
	v_max_i32_e32 v19, v18, v19
	v_ashrrev_i32_e32 v18, 31, v18
	v_mul_hi_u32 v20, v19, v15
	v_mul_lo_u32 v20, v20, s5
	v_sub_nc_u32_e32 v19, v19, v20
	v_subrev_nc_u32_e32 v20, s5, v19
	v_cmp_le_u32_e64 s2, s5, v19
	v_cndmask_b32_e64 v19, v19, v20, s2
	v_subrev_nc_u32_e32 v20, s5, v19
	v_cmp_le_u32_e64 s2, s5, v19
	v_cndmask_b32_e64 v19, v19, v20, s2
	v_xor_b32_e32 v19, v19, v18
	v_sub_nc_u32_e32 v18, v19, v18
	v_cmp_ne_u32_e64 s2, 0, v18
	s_and_b32 s2, s2, s3
	s_and_saveexec_b32 s3, s2
	s_xor_b32 s2, exec_lo, s3
	s_cbranch_execz .LBB142_17
; %bb.14:                               ;   in Loop: Header=BB142_13 Depth=1
	s_and_saveexec_b32 s3, vcc_lo
; %bb.15:                               ;   in Loop: Header=BB142_13 Depth=1
	ds_write_b32 v12, v8
; %bb.16:                               ;   in Loop: Header=BB142_13 Depth=1
	s_or_b32 exec_lo, exec_lo, s3
.LBB142_17:                             ;   in Loop: Header=BB142_13 Depth=1
	s_andn2_saveexec_b32 s3, s2
	s_cbranch_execz .LBB142_12
; %bb.18:                               ;   in Loop: Header=BB142_13 Depth=1
	global_load_dword v17, v[1:2], off
	s_waitcnt vmcnt(0)
	v_mad_i64_i32 v[17:18], null, v17, s43, 0
	v_lshlrev_b64 v[17:18], 1, v[17:18]
	v_add_co_u32 v17, s2, v13, v17
	v_add_co_ci_u32_e64 v18, null, v14, v18, s2
	s_clause 0xe
	global_load_dword v26, v[17:18], off offset:128
	global_load_dword v39, v[17:18], off offset:256
	;; [unrolled: 1-line block ×7, first 2 shown]
	global_load_dword v28, v[17:18], off
	global_load_dword v65, v[17:18], off offset:1024
	global_load_dword v66, v[17:18], off offset:1152
	;; [unrolled: 1-line block ×7, first 2 shown]
	v_add_co_u32 v35, s2, 0x800, v17
	v_add_co_ci_u32_e64 v36, null, 0, v18, s2
	s_clause 0x10
	global_load_dword v72, v[17:18], off offset:1920
	global_load_dword v34, v[35:36], off
	global_load_dword v33, v[35:36], off offset:128
	global_load_dword v32, v[35:36], off offset:256
	;; [unrolled: 1-line block ×15, first 2 shown]
	ds_read_b128 v[35:38], v6
	ds_read_b128 v[46:49], v6 offset:16
	ds_read_b128 v[50:53], v6 offset:32
	;; [unrolled: 1-line block ×4, first 2 shown]
	v_cmp_gt_i32_e64 s2, 32, v9
	s_waitcnt lgkmcnt(4)
	v_lshlrev_b32_e32 v74, 16, v36
	v_lshlrev_b32_e32 v75, 16, v37
	;; [unrolled: 1-line block ×3, first 2 shown]
	v_and_b32_e32 v36, 0xffff0000, v36
	v_and_b32_e32 v85, 0xffff0000, v37
	;; [unrolled: 1-line block ×3, first 2 shown]
	v_lshlrev_b32_e32 v73, 16, v35
	s_waitcnt lgkmcnt(3)
	v_lshlrev_b32_e32 v79, 16, v48
	v_and_b32_e32 v35, 0xffff0000, v35
	v_and_b32_e32 v87, 0xffff0000, v48
	v_lshlrev_b32_e32 v77, 16, v46
	v_and_b32_e32 v46, 0xffff0000, v46
	v_lshlrev_b32_e32 v78, 16, v47
	v_lshlrev_b32_e32 v80, 16, v49
	v_and_b32_e32 v47, 0xffff0000, v47
	v_and_b32_e32 v88, 0xffff0000, v49
	s_waitcnt lgkmcnt(2)
	v_lshlrev_b32_e32 v81, 16, v50
	v_and_b32_e32 v89, 0xffff0000, v50
	v_lshlrev_b32_e32 v82, 16, v51
	v_and_b32_e32 v90, 0xffff0000, v51
	;; [unrolled: 2-line block ×4, first 2 shown]
	s_waitcnt lgkmcnt(1)
	v_lshlrev_b32_e32 v93, 16, v54
	v_and_b32_e32 v54, 0xffff0000, v54
	v_lshlrev_b32_e32 v94, 16, v55
	v_and_b32_e32 v55, 0xffff0000, v55
	;; [unrolled: 2-line block ×3, first 2 shown]
	s_waitcnt vmcnt(31)
	v_lshlrev_b32_e32 v37, 16, v26
	v_and_b32_e32 v38, 0xffff0000, v26
	s_waitcnt vmcnt(27)
	v_and_b32_e32 v49, 0xffff0000, v62
	v_mul_f32_e32 v26, v74, v37
	v_lshlrev_b32_e32 v74, 16, v56
	s_waitcnt vmcnt(24)
	v_lshlrev_b32_e32 v48, 16, v28
	v_and_b32_e32 v37, 0xffff0000, v28
	v_mul_f32_e32 v28, v36, v38
	v_lshlrev_b32_e32 v36, 16, v39
	v_and_b32_e32 v39, 0xffff0000, v39
	v_fmac_f32_e32 v26, v73, v48
	v_lshlrev_b32_e32 v48, 16, v40
	v_fmac_f32_e32 v28, v35, v37
	v_and_b32_e32 v40, 0xffff0000, v40
	v_and_b32_e32 v56, 0xffff0000, v56
	v_fmac_f32_e32 v26, v75, v36
	ds_read_b128 v[35:38], v6 offset:80
	v_fmac_f32_e32 v28, v85, v39
	s_waitcnt lgkmcnt(1)
	v_lshlrev_b32_e32 v39, 16, v58
	v_and_b32_e32 v58, 0xffff0000, v58
	v_fmac_f32_e32 v26, v76, v48
	v_lshlrev_b32_e32 v48, 16, v43
	v_fmac_f32_e32 v28, v86, v40
	v_and_b32_e32 v43, 0xffff0000, v43
	v_lshlrev_b32_e32 v73, 16, v59
	v_and_b32_e32 v59, 0xffff0000, v59
	v_fmac_f32_e32 v26, v77, v48
	v_lshlrev_b32_e32 v48, 16, v62
	v_fmac_f32_e32 v28, v46, v43
	v_lshlrev_b32_e32 v43, 16, v63
	v_and_b32_e32 v62, 0xffff0000, v63
	v_and_b32_e32 v63, 0xffff0000, v64
	v_fmac_f32_e32 v26, v78, v48
	v_fmac_f32_e32 v28, v47, v49
	ds_read_b128 v[46:49], v6 offset:96
	ds_read_b128 v[50:53], v6 offset:112
	v_lshlrev_b32_e32 v75, 16, v60
	v_and_b32_e32 v60, 0xffff0000, v60
	v_fmac_f32_e32 v26, v79, v43
	v_lshlrev_b32_e32 v43, 16, v64
	v_fmac_f32_e32 v28, v87, v62
	s_waitcnt vmcnt(23)
	v_lshlrev_b32_e32 v64, 16, v65
	v_and_b32_e32 v65, 0xffff0000, v65
	v_lshlrev_b32_e32 v40, 16, v61
	v_fmac_f32_e32 v26, v80, v43
	v_fmac_f32_e32 v28, v88, v63
	s_waitcnt vmcnt(22)
	v_lshlrev_b32_e32 v63, 16, v66
	v_and_b32_e32 v66, 0xffff0000, v66
	v_and_b32_e32 v61, 0xffff0000, v61
	v_fmac_f32_e32 v26, v81, v64
	v_fmac_f32_e32 v28, v89, v65
	s_waitcnt vmcnt(21)
	v_lshlrev_b32_e32 v65, 16, v67
	v_and_b32_e32 v67, 0xffff0000, v67
	s_waitcnt lgkmcnt(2)
	v_lshlrev_b32_e32 v62, 16, v35
	v_fmac_f32_e32 v26, v82, v63
	v_fmac_f32_e32 v28, v90, v66
	s_waitcnt vmcnt(20)
	v_lshlrev_b32_e32 v66, 16, v68
	v_and_b32_e32 v68, 0xffff0000, v68
	v_and_b32_e32 v35, 0xffff0000, v35
	v_fmac_f32_e32 v26, v83, v65
	v_fmac_f32_e32 v28, v91, v67
	s_waitcnt vmcnt(19)
	v_lshlrev_b32_e32 v65, 16, v69
	v_and_b32_e32 v67, 0xffff0000, v69
	v_lshlrev_b32_e32 v43, 16, v36
	v_fmac_f32_e32 v26, v84, v66
	v_fmac_f32_e32 v28, v92, v68
	s_waitcnt vmcnt(18)
	v_lshlrev_b32_e32 v66, 16, v70
	v_and_b32_e32 v68, 0xffff0000, v70
	v_and_b32_e32 v36, 0xffff0000, v36
	v_fmac_f32_e32 v26, v93, v65
	v_fmac_f32_e32 v28, v54, v67
	s_waitcnt vmcnt(17)
	v_lshlrev_b32_e32 v54, 16, v71
	v_and_b32_e32 v65, 0xffff0000, v71
	v_lshlrev_b32_e32 v64, 16, v37
	v_fmac_f32_e32 v26, v94, v66
	v_fmac_f32_e32 v28, v55, v68
	s_waitcnt vmcnt(16)
	v_lshlrev_b32_e32 v55, 16, v72
	v_and_b32_e32 v66, 0xffff0000, v72
	v_and_b32_e32 v37, 0xffff0000, v37
	v_fmac_f32_e32 v26, v74, v54
	v_fmac_f32_e32 v28, v56, v65
	s_waitcnt vmcnt(15)
	v_lshlrev_b32_e32 v56, 16, v34
	v_and_b32_e32 v34, 0xffff0000, v34
	v_lshlrev_b32_e32 v63, 16, v38
	v_fmac_f32_e32 v26, v95, v55
	v_fmac_f32_e32 v28, v57, v66
	s_waitcnt vmcnt(14)
	v_lshlrev_b32_e32 v55, 16, v33
	v_and_b32_e32 v33, 0xffff0000, v33
	v_and_b32_e32 v38, 0xffff0000, v38
	v_fmac_f32_e32 v26, v39, v56
	v_fmac_f32_e32 v28, v58, v34
	s_waitcnt vmcnt(13)
	v_lshlrev_b32_e32 v39, 16, v32
	v_and_b32_e32 v32, 0xffff0000, v32
	s_waitcnt lgkmcnt(1)
	v_lshlrev_b32_e32 v34, 16, v47
	v_fmac_f32_e32 v26, v73, v55
	v_fmac_f32_e32 v28, v59, v33
	v_and_b32_e32 v33, 0xffff0000, v47
	s_waitcnt vmcnt(12)
	v_lshlrev_b32_e32 v47, 16, v31
	v_and_b32_e32 v31, 0xffff0000, v31
	v_fmac_f32_e32 v26, v75, v39
	v_fmac_f32_e32 v28, v60, v32
	s_waitcnt vmcnt(11)
	v_lshlrev_b32_e32 v39, 16, v30
	v_and_b32_e32 v30, 0xffff0000, v30
	v_lshlrev_b32_e32 v54, 16, v46
	v_fmac_f32_e32 v26, v40, v47
	v_fmac_f32_e32 v28, v61, v31
	s_waitcnt vmcnt(10)
	v_lshlrev_b32_e32 v40, 16, v29
	v_and_b32_e32 v29, 0xffff0000, v29
	v_and_b32_e32 v46, 0xffff0000, v46
	v_fmac_f32_e32 v26, v62, v39
	v_fmac_f32_e32 v28, v35, v30
	s_waitcnt vmcnt(9)
	v_lshlrev_b32_e32 v35, 16, v27
	v_and_b32_e32 v27, 0xffff0000, v27
	v_lshlrev_b32_e32 v32, 16, v48
	v_fmac_f32_e32 v26, v43, v40
	v_fmac_f32_e32 v28, v36, v29
	s_waitcnt vmcnt(8)
	v_lshlrev_b32_e32 v36, 16, v25
	v_and_b32_e32 v25, 0xffff0000, v25
	;; [unrolled: 12-line block ×3, first 2 shown]
	v_and_b32_e32 v29, 0xffff0000, v49
	v_fmac_f32_e32 v26, v54, v35
	v_fmac_f32_e32 v28, v46, v24
	s_waitcnt vmcnt(5)
	v_lshlrev_b32_e32 v35, 16, v22
	v_and_b32_e32 v22, 0xffff0000, v22
	s_waitcnt lgkmcnt(0)
	v_lshlrev_b32_e32 v27, 16, v50
	v_fmac_f32_e32 v26, v36, v34
	v_fmac_f32_e32 v28, v23, v33
	s_waitcnt vmcnt(4)
	v_lshlrev_b32_e32 v33, 16, v21
	v_and_b32_e32 v21, 0xffff0000, v21
	v_and_b32_e32 v25, 0xffff0000, v50
	v_fmac_f32_e32 v26, v35, v32
	v_fmac_f32_e32 v28, v22, v31
	s_waitcnt vmcnt(3)
	v_lshlrev_b32_e32 v31, 16, v20
	v_and_b32_e32 v20, 0xffff0000, v20
	v_lshlrev_b32_e32 v24, 16, v51
	v_fmac_f32_e32 v26, v33, v30
	v_fmac_f32_e32 v28, v21, v29
	v_and_b32_e32 v23, 0xffff0000, v51
	s_waitcnt vmcnt(2)
	v_lshlrev_b32_e32 v29, 16, v19
	v_and_b32_e32 v19, 0xffff0000, v19
	v_fmac_f32_e32 v26, v31, v27
	v_fmac_f32_e32 v28, v20, v25
	v_lshlrev_b32_e32 v22, 16, v52
	v_and_b32_e32 v21, 0xffff0000, v52
	s_waitcnt vmcnt(1)
	v_lshlrev_b32_e32 v25, 16, v18
	v_and_b32_e32 v18, 0xffff0000, v18
	v_fmac_f32_e32 v26, v29, v24
	v_fmac_f32_e32 v28, v19, v23
	v_lshlrev_b32_e32 v20, 16, v53
	v_and_b32_e32 v19, 0xffff0000, v53
	s_waitcnt vmcnt(0)
	v_lshlrev_b32_e32 v23, 16, v17
	v_and_b32_e32 v17, 0xffff0000, v17
	v_fmac_f32_e32 v26, v25, v22
	v_fmac_f32_e32 v28, v18, v21
	v_cndmask_b32_e64 v18, v3, v9, s2
	v_cmp_gt_i32_e64 s2, 32, v10
	v_fmac_f32_e32 v26, v23, v20
	v_fmac_f32_e32 v28, v17, v19
	v_lshlrev_b32_e32 v17, 2, v18
	v_cndmask_b32_e64 v19, v3, v10, s2
	v_add_f32_e32 v18, v26, v28
	v_lshlrev_b32_e32 v19, 2, v19
	ds_bpermute_b32 v17, v17, v18
	s_waitcnt lgkmcnt(0)
	v_add_f32_e32 v17, v18, v17
	ds_bpermute_b32 v18, v19, v17
	s_and_saveexec_b32 s44, vcc_lo
	s_cbranch_execz .LBB142_11
; %bb.19:                               ;   in Loop: Header=BB142_13 Depth=1
	v_add_nc_u32_e32 v19, v11, v7
	s_waitcnt lgkmcnt(0)
	v_add_f32_e32 v17, v17, v18
	v_cvt_f32_i32_e32 v19, v19
	v_mul_f32_e32 v19, s40, v19
	v_cndmask_b32_e64 v18, 0, v19, s1
	v_max_f32_e32 v19, v4, v4
	v_fmac_f32_e32 v18, s37, v17
	v_add_nc_u32_e32 v17, v5, v7
	v_max_f32_e32 v19, v19, v18
	v_cmp_gt_i32_e64 s2, s27, v17
	v_cndmask_b32_e64 v17, 0, v18, s2
	v_cndmask_b32_e64 v4, v4, v19, s2
	ds_write_b32 v12, v17
	s_branch .LBB142_11
.LBB142_20:
	s_or_b32 exec_lo, exec_lo, s15
.LBB142_21:
	s_or_b32 exec_lo, exec_lo, s42
	v_xor_b32_e32 v1, 16, v3
	v_xor_b32_e32 v5, 8, v3
	v_max_f32_e32 v6, v4, v4
	v_and_b32_e32 v46, 31, v0
	v_cmp_gt_i32_e32 vcc_lo, 32, v1
	v_cndmask_b32_e32 v1, v3, v1, vcc_lo
	v_cmp_gt_i32_e32 vcc_lo, 32, v5
	v_lshlrev_b32_e32 v2, 2, v1
	ds_bpermute_b32 v1, v2, v4
	v_cndmask_b32_e32 v4, v3, v5, vcc_lo
	v_lshlrev_b32_e32 v4, 2, v4
	s_waitcnt lgkmcnt(0)
	v_max_f32_e32 v1, v1, v1
	v_max_f32_e32 v1, v6, v1
	v_xor_b32_e32 v6, 4, v3
	ds_bpermute_b32 v5, v4, v1
	v_cmp_gt_i32_e32 vcc_lo, 32, v6
	v_cndmask_b32_e32 v6, v3, v6, vcc_lo
	v_cmp_eq_u32_e32 vcc_lo, 0, v46
	v_lshlrev_b32_e32 v7, 2, v6
	s_waitcnt lgkmcnt(0)
	v_max_f32_e32 v5, v5, v5
	v_max_f32_e32 v1, v1, v5
	v_lshlrev_b32_e32 v5, 2, v44
	ds_bpermute_b32 v6, v7, v1
	s_and_saveexec_b32 s1, vcc_lo
	s_cbranch_execz .LBB142_23
; %bb.22:
	s_waitcnt lgkmcnt(0)
	v_max_f32_e32 v6, v6, v6
	v_max_f32_e32 v1, v1, v1
	;; [unrolled: 1-line block ×3, first 2 shown]
	ds_write_b32 v5, v1 offset:512
.LBB142_23:
	s_or_b32 exec_lo, exec_lo, s1
	v_cmp_gt_u32_e64 s1, 4, v46
	v_mov_b32_e32 v1, 0xff7fffff
	s_waitcnt lgkmcnt(0)
	v_lshlrev_b32_e32 v6, 2, v46
	s_barrier
	buffer_gl0_inv
	s_and_saveexec_b32 s2, s1
; %bb.24:
	ds_read_b32 v1, v6 offset:512
; %bb.25:
	s_or_b32 exec_lo, exec_lo, s2
	v_xor_b32_e32 v8, 2, v3
	v_xor_b32_e32 v10, 1, v3
	v_cmp_gt_i32_e64 s2, 32, v8
	v_cndmask_b32_e64 v8, v3, v8, s2
	v_cmp_gt_i32_e64 s2, 32, v10
	v_lshlrev_b32_e32 v8, 2, v8
	v_cndmask_b32_e64 v3, v3, v10, s2
	s_sub_i32 s2, s16, s41
	s_lshl_b32 s2, s2, 3
	s_waitcnt lgkmcnt(0)
	ds_bpermute_b32 v9, v8, v1
	v_max_f32_e32 v1, v1, v1
	s_add_i32 s2, s2, s38
	s_min_i32 s2, s2, s27
	s_sub_i32 s4, s2, s38
	v_cmp_gt_i32_e64 s2, s4, v0
	s_waitcnt lgkmcnt(0)
	v_max_f32_e32 v10, v9, v9
	v_lshlrev_b32_e32 v9, 2, v3
	v_max_f32_e32 v1, v1, v10
	v_mov_b32_e32 v10, 0
	ds_bpermute_b32 v3, v9, v1
	s_waitcnt lgkmcnt(0)
	v_max_f32_e32 v3, v3, v3
	v_max_f32_e32 v1, v1, v3
	v_lshl_add_u32 v3, v0, 2, 0x220
	ds_bpermute_b32 v1, v10, v1
	s_and_saveexec_b32 s5, s2
	s_cbranch_execz .LBB142_29
; %bb.26:
	v_lshl_add_u32 v11, v0, 2, 0x220
	v_mov_b32_e32 v10, 0
	v_mov_b32_e32 v12, v0
	s_mov_b32 s15, 0
	.p2align	6
.LBB142_27:                             ; =>This Inner Loop Header: Depth=1
	ds_read_b32 v13, v11
	v_add_nc_u32_e32 v12, 0x80, v12
	v_cmp_le_i32_e64 s3, s4, v12
	s_or_b32 s15, s3, s15
	s_waitcnt lgkmcnt(0)
	v_sub_f32_e32 v13, v13, v1
	v_mul_f32_e32 v13, 0x3fb8aa3b, v13
	v_exp_f32_e32 v13, v13
	ds_write_b32 v11, v13
	v_add_f32_e32 v10, v10, v13
	v_add_nc_u32_e32 v11, 0x200, v11
	s_andn2_b32 exec_lo, exec_lo, s15
	s_cbranch_execnz .LBB142_27
; %bb.28:
	s_or_b32 exec_lo, exec_lo, s15
.LBB142_29:
	s_or_b32 exec_lo, exec_lo, s5
	ds_bpermute_b32 v2, v2, v10
	s_waitcnt lgkmcnt(0)
	v_add_f32_e32 v2, v10, v2
	ds_bpermute_b32 v4, v4, v2
	s_waitcnt lgkmcnt(0)
	v_add_f32_e32 v2, v2, v4
	;; [unrolled: 3-line block ×5, first 2 shown]
	s_and_saveexec_b32 s3, vcc_lo
; %bb.30:
	ds_write_b32 v5, v2 offset:528
; %bb.31:
	s_or_b32 exec_lo, exec_lo, s3
	s_waitcnt lgkmcnt(0)
	s_barrier
	buffer_gl0_inv
	s_and_saveexec_b32 s3, s1
; %bb.32:
	ds_read_b32 v2, v6 offset:528
; %bb.33:
	s_or_b32 exec_lo, exec_lo, s3
	s_waitcnt lgkmcnt(0)
	ds_bpermute_b32 v4, v8, v2
	s_waitcnt lgkmcnt(0)
	v_add_f32_e32 v2, v2, v4
	ds_bpermute_b32 v4, v9, v2
	s_waitcnt lgkmcnt(0)
	v_add_f32_e32 v2, v2, v4
	v_mov_b32_e32 v4, 0
	ds_bpermute_b32 v2, v4, v2
	s_and_saveexec_b32 s1, s2
	s_cbranch_execz .LBB142_36
; %bb.34:
	s_waitcnt lgkmcnt(0)
	v_add_f32_e32 v4, 0x358637bd, v2
	s_mov_b32 s2, 0
	v_div_scale_f32 v5, null, v4, v4, 1.0
	v_div_scale_f32 v8, vcc_lo, 1.0, v4, 1.0
	v_rcp_f32_e32 v6, v5
	v_fma_f32 v7, -v5, v6, 1.0
	v_fmac_f32_e32 v6, v7, v6
	v_mul_f32_e32 v7, v8, v6
	v_fma_f32 v9, -v5, v7, v8
	v_fmac_f32_e32 v7, v9, v6
	v_fma_f32 v5, -v5, v7, v8
	v_div_fmas_f32 v5, v5, v6, v7
	v_div_fixup_f32 v4, v5, v4, 1.0
	v_mov_b32_e32 v5, v0
.LBB142_35:                             ; =>This Inner Loop Header: Depth=1
	ds_read_b32 v6, v3
	v_add_nc_u32_e32 v5, 0x80, v5
	v_cmp_le_i32_e32 vcc_lo, s4, v5
	s_or_b32 s2, vcc_lo, s2
	s_waitcnt lgkmcnt(0)
	v_mul_f32_e32 v6, v4, v6
	ds_write_b32 v3, v6
	v_add_nc_u32_e32 v3, 0x200, v3
	s_andn2_b32 exec_lo, exec_lo, s2
	s_cbranch_execnz .LBB142_35
.LBB142_36:
	s_or_b32 exec_lo, exec_lo, s1
	s_mul_i32 s1, s7, s26
	s_waitcnt lgkmcnt(0)
	s_mul_i32 s4, s1, s9
	s_mov_b32 s1, exec_lo
	s_barrier
	buffer_gl0_inv
	v_cmpx_eq_u32_e32 0, v0
	s_cbranch_execz .LBB142_38
; %bb.37:
	s_ashr_i32 s5, s4, 31
	s_mul_i32 s40, s7, s6
	s_lshl_b64 s[2:3], s[4:5], 2
	v_mov_b32_e32 v3, 0
	s_add_u32 s5, s22, s2
	s_addc_u32 s6, s23, s3
	s_ashr_i32 s41, s40, 31
	s_lshl_b64 s[22:23], s[40:41], 2
	s_add_u32 s5, s5, s22
	s_addc_u32 s6, s6, s23
	s_ashr_i32 s9, s8, 31
	s_lshl_b64 s[40:41], s[8:9], 2
	s_add_u32 s42, s5, s40
	s_addc_u32 s43, s6, s41
	s_add_u32 s2, s20, s2
	s_addc_u32 s3, s21, s3
	;; [unrolled: 2-line block ×4, first 2 shown]
	global_store_dword v3, v1, s[42:43]
	global_store_dword v3, v2, s[2:3]
.LBB142_38:
	s_or_b32 exec_lo, exec_lo, s1
	v_mov_b32_e32 v54, 0
	v_mov_b32_e32 v53, 0
	;; [unrolled: 1-line block ×8, first 2 shown]
	s_and_saveexec_b32 s3, s0
	s_cbranch_execz .LBB142_60
; %bb.39:
	s_ashr_i32 s15, s14, 31
	s_sub_i32 s5, s39, s17
	s_lshl_b64 s[0:1], s[14:15], 1
	v_lshlrev_b32_e32 v4, 4, v46
	s_add_u32 s2, s34, s0
	s_addc_u32 s14, s35, s1
	s_abs_i32 s6, s18
	s_add_i32 s9, s36, -1
	v_cvt_f32_u32_e32 v1, s6
	s_sub_i32 s0, 0, s6
	v_add_co_u32 v57, s2, s2, v4
	v_mov_b32_e32 v55, 0
	v_rcp_iflag_f32_e32 v1, v1
	v_lshl_add_u32 v56, v44, 5, 0x220
	v_mov_b32_e32 v47, 0
	v_mov_b32_e32 v48, 0
	;; [unrolled: 1-line block ×7, first 2 shown]
	v_add_co_ci_u32_e64 v58, null, s14, 0, s2
	v_mul_f32_e32 v3, 0x4f7ffffe, v1
	v_lshlrev_b64 v[1:2], 2, v[41:42]
	v_mov_b32_e32 v54, 0
	s_mov_b32 s15, s27
	s_mov_b32 s14, 0
	v_cvt_u32_f32_e32 v3, v3
	v_mul_lo_u32 v5, s0, v3
	s_lshl_b64 s[0:1], s[30:31], 2
	s_add_u32 s0, s28, s0
	s_addc_u32 s1, s29, s1
	v_add_co_u32 v42, vcc_lo, s0, v1
	v_add_co_ci_u32_e64 v43, null, s1, v2, vcc_lo
	v_mul_hi_u32 v5, v3, v5
	v_add_nc_u32_e32 v59, v3, v5
	s_branch .LBB142_42
.LBB142_40:                             ;   in Loop: Header=BB142_42 Depth=1
	s_or_b32 exec_lo, exec_lo, s2
	s_waitcnt lgkmcnt(1)
	v_bfe_u32 v60, v29, 16, 1
	v_or_b32_e32 v61, 0x400000, v29
	v_bfe_u32 v62, v30, 16, 1
	v_cmp_u_f32_e32 vcc_lo, v29, v29
	v_bfe_u32 v63, v31, 16, 1
	v_add3_u32 v60, v60, v29, 0x7fff
	v_or_b32_e32 v64, 0x400000, v30
	v_add3_u32 v62, v62, v30, 0x7fff
	v_or_b32_e32 v65, 0x400000, v31
	v_add3_u32 v63, v63, v31, 0x7fff
	v_cndmask_b32_e32 v29, v60, v61, vcc_lo
	v_cmp_u_f32_e32 vcc_lo, v30, v30
	v_bfe_u32 v60, v32, 16, 1
	s_waitcnt lgkmcnt(0)
	v_bfe_u32 v61, v25, 16, 1
	v_cndmask_b32_e32 v30, v62, v64, vcc_lo
	v_cmp_u_f32_e32 vcc_lo, v31, v31
	v_add3_u32 v60, v60, v32, 0x7fff
	v_or_b32_e32 v62, 0x400000, v32
	v_add3_u32 v61, v61, v25, 0x7fff
	v_bfe_u32 v64, v26, 16, 1
	v_cndmask_b32_e32 v31, v63, v65, vcc_lo
	v_cmp_u_f32_e32 vcc_lo, v32, v32
	v_or_b32_e32 v63, 0x400000, v25
	v_cndmask_b32_e32 v32, v60, v62, vcc_lo
	v_cmp_u_f32_e32 vcc_lo, v25, v25
	v_or_b32_e32 v62, 0x400000, v26
	v_and_b32_e32 v25, 0xffff0000, v30
	s_waitcnt vmcnt(1)
	v_and_b32_e32 v30, 0xffff0000, v37
	v_cndmask_b32_e32 v60, v61, v63, vcc_lo
	v_add3_u32 v61, v64, v26, 0x7fff
	v_bfe_u32 v63, v27, 16, 1
	v_cmp_u_f32_e32 vcc_lo, v26, v26
	v_bfe_u32 v64, v28, 16, 1
	v_mul_f32_e32 v30, v25, v30
	v_and_b32_e32 v26, 0xffff0000, v29
	v_lshlrev_b32_e32 v29, 16, v37
	v_cndmask_b32_e32 v61, v61, v62, vcc_lo
	v_add3_u32 v62, v63, v27, 0x7fff
	v_or_b32_e32 v63, 0x400000, v27
	v_cmp_u_f32_e32 vcc_lo, v27, v27
	v_add3_u32 v27, v64, v28, 0x7fff
	v_mul_f32_e32 v64, v26, v29
	v_and_b32_e32 v29, 0xffff0000, v32
	v_and_b32_e32 v32, 0xffff0000, v38
	v_cndmask_b32_e32 v37, v62, v63, vcc_lo
	v_or_b32_e32 v62, 0x400000, v28
	v_bfe_u32 v63, v30, 16, 1
	v_cmp_u_f32_e32 vcc_lo, v28, v28
	v_bfe_u32 v65, v64, 16, 1
	v_mul_f32_e32 v32, v29, v32
	v_and_b32_e32 v28, 0xffff0000, v31
	v_lshlrev_b32_e32 v31, 16, v38
	v_cndmask_b32_e32 v27, v27, v62, vcc_lo
	v_add3_u32 v62, v63, v30, 0x7fff
	v_or_b32_e32 v63, 0x400000, v30
	v_cmp_u_f32_e32 vcc_lo, v30, v30
	v_mul_f32_e32 v66, v28, v31
	v_and_b32_e32 v30, 0xffff0000, v61
	v_and_b32_e32 v31, 0xffff0000, v39
	v_lshlrev_b32_e32 v39, 16, v39
	v_cndmask_b32_e32 v38, v62, v63, vcc_lo
	v_add3_u32 v62, v65, v64, 0x7fff
	v_or_b32_e32 v63, 0x400000, v64
	v_bfe_u32 v65, v32, 16, 1
	v_cmp_u_f32_e32 vcc_lo, v64, v64
	v_bfe_u32 v64, v66, 16, 1
	v_and_b32_e32 v27, 0xffff0000, v27
	v_and_b32_e32 v38, 0xffff0000, v38
	v_cndmask_b32_e32 v61, v62, v63, vcc_lo
	v_add3_u32 v62, v65, v32, 0x7fff
	v_or_b32_e32 v63, 0x400000, v32
	v_cmp_u_f32_e32 vcc_lo, v32, v32
	v_mul_f32_e32 v65, v30, v31
	v_and_b32_e32 v31, 0xffff0000, v60
	v_add3_u32 v32, v64, v66, 0x7fff
	v_and_b32_e32 v64, 0xffff0000, v40
	v_cndmask_b32_e32 v60, v62, v63, vcc_lo
	v_or_b32_e32 v62, 0x400000, v66
	v_cmp_u_f32_e32 vcc_lo, v66, v66
	v_bfe_u32 v63, v65, 16, 1
	v_mul_f32_e32 v39, v31, v39
	v_mul_f32_e32 v64, v27, v64
	v_and_b32_e32 v61, 0xffff0000, v61
	v_cndmask_b32_e32 v62, v32, v62, vcc_lo
	v_and_b32_e32 v32, 0xffff0000, v37
	v_lshlrev_b32_e32 v37, 16, v40
	v_add3_u32 v63, v63, v65, 0x7fff
	v_bfe_u32 v66, v39, 16, 1
	v_or_b32_e32 v40, 0x400000, v65
	v_cmp_u_f32_e32 vcc_lo, v65, v65
	v_mul_f32_e32 v37, v32, v37
	v_or_b32_e32 v67, 0x400000, v39
	v_add3_u32 v66, v66, v39, 0x7fff
	v_bfe_u32 v68, v64, 16, 1
	v_cndmask_b32_e32 v40, v63, v40, vcc_lo
	v_cmp_u_f32_e32 vcc_lo, v39, v39
	v_bfe_u32 v65, v37, 16, 1
	v_and_b32_e32 v62, 0xffff0000, v62
	v_add3_u32 v63, v68, v64, 0x7fff
	v_and_b32_e32 v60, 0xffff0000, v60
	v_cndmask_b32_e32 v39, v66, v67, vcc_lo
	v_add3_u32 v65, v65, v37, 0x7fff
	v_or_b32_e32 v67, 0x400000, v37
	v_cmp_u_f32_e32 vcc_lo, v37, v37
	v_or_b32_e32 v66, 0x400000, v64
	v_and_b32_e32 v39, 0xffff0000, v39
	v_and_b32_e32 v40, 0xffff0000, v40
	v_add_f32_e32 v38, v61, v38
	v_cndmask_b32_e32 v37, v65, v67, vcc_lo
	v_cmp_u_f32_e32 vcc_lo, v64, v64
	v_add_f32_e32 v60, v62, v60
	v_add_f32_e32 v39, v39, v40
	v_and_b32_e32 v40, 0xffff0000, v33
	v_and_b32_e32 v37, 0xffff0000, v37
	v_cndmask_b32_e32 v61, v63, v66, vcc_lo
	v_add_f32_e32 v38, v60, v38
	v_lshlrev_b32_e32 v33, 16, v33
	v_mul_f32_e32 v40, v25, v40
	v_and_b32_e32 v60, 0xffff0000, v61
	v_add_f32_e32 v38, v39, v38
	v_mul_f32_e32 v33, v26, v33
	v_and_b32_e32 v39, 0xffff0000, v34
	v_cmp_u_f32_e32 vcc_lo, v40, v40
	v_add_f32_e32 v37, v37, v60
	v_bfe_u32 v60, v40, 16, 1
	v_bfe_u32 v61, v33, 16, 1
	v_or_b32_e32 v62, 0x400000, v33
	v_lshlrev_b32_e32 v34, 16, v34
	v_add_f32_e32 v37, v37, v38
	v_mul_f32_e32 v38, v29, v39
	v_add3_u32 v39, v60, v40, 0x7fff
	v_or_b32_e32 v60, 0x400000, v40
	v_add3_u32 v61, v61, v33, 0x7fff
	v_mul_f32_e32 v34, v28, v34
	v_bfe_u32 v63, v38, 16, 1
	v_add_f32_e32 v48, v48, v37
	v_cndmask_b32_e32 v39, v39, v60, vcc_lo
	v_cmp_u_f32_e32 vcc_lo, v33, v33
	v_or_b32_e32 v60, 0x400000, v38
	v_add3_u32 v40, v63, v38, 0x7fff
	v_and_b32_e32 v39, 0xffff0000, v39
	v_cndmask_b32_e32 v33, v61, v62, vcc_lo
	v_and_b32_e32 v61, 0xffff0000, v35
	v_cmp_u_f32_e32 vcc_lo, v38, v38
	v_lshlrev_b32_e32 v35, 16, v35
	v_bfe_u32 v62, v34, 16, 1
	v_and_b32_e32 v33, 0xffff0000, v33
	v_cndmask_b32_e32 v38, v40, v60, vcc_lo
	v_mul_f32_e32 v40, v30, v61
	v_mul_f32_e32 v35, v31, v35
	v_add3_u32 v60, v62, v34, 0x7fff
	v_or_b32_e32 v61, 0x400000, v34
	v_and_b32_e32 v62, 0xffff0000, v36
	v_bfe_u32 v63, v40, 16, 1
	v_cmp_u_f32_e32 vcc_lo, v34, v34
	v_bfe_u32 v64, v35, 16, 1
	v_lshlrev_b32_e32 v36, 16, v36
	v_and_b32_e32 v38, 0xffff0000, v38
	v_add_f32_e32 v33, v33, v39
	v_cndmask_b32_e32 v34, v60, v61, vcc_lo
	v_mul_f32_e32 v60, v27, v62
	v_add3_u32 v61, v63, v40, 0x7fff
	v_or_b32_e32 v62, 0x400000, v40
	v_cmp_u_f32_e32 vcc_lo, v40, v40
	v_add3_u32 v63, v64, v35, 0x7fff
	v_or_b32_e32 v64, 0x400000, v35
	v_bfe_u32 v65, v60, 16, 1
	v_and_b32_e32 v34, 0xffff0000, v34
	v_cndmask_b32_e32 v40, v61, v62, vcc_lo
	v_cmp_u_f32_e32 vcc_lo, v35, v35
	v_or_b32_e32 v62, 0x400000, v60
	v_add3_u32 v61, v65, v60, 0x7fff
	v_mul_f32_e32 v36, v32, v36
	v_add_f32_e32 v34, v34, v38
	v_cndmask_b32_e32 v35, v63, v64, vcc_lo
	v_cmp_u_f32_e32 vcc_lo, v60, v60
	v_and_b32_e32 v38, 0xffff0000, v21
	v_and_b32_e32 v39, 0xffff0000, v40
	v_add_f32_e32 v33, v34, v33
	v_and_b32_e32 v35, 0xffff0000, v35
	v_cndmask_b32_e32 v60, v61, v62, vcc_lo
	v_bfe_u32 v61, v36, 16, 1
	v_mul_f32_e32 v34, v25, v38
	v_lshlrev_b32_e32 v21, 16, v21
	v_add_f32_e32 v35, v35, v39
	v_cmp_u_f32_e32 vcc_lo, v36, v36
	v_add3_u32 v40, v61, v36, 0x7fff
	v_or_b32_e32 v61, 0x400000, v36
	v_bfe_u32 v38, v34, 16, 1
	v_add_f32_e32 v33, v35, v33
	v_mul_f32_e32 v21, v26, v21
	v_and_b32_e32 v35, 0xffff0000, v22
	v_cndmask_b32_e32 v36, v40, v61, vcc_lo
	v_add3_u32 v38, v38, v34, 0x7fff
	v_or_b32_e32 v39, 0x400000, v34
	v_bfe_u32 v40, v21, 16, 1
	v_mul_f32_e32 v35, v29, v35
	v_lshlrev_b32_e32 v22, 16, v22
	v_cmp_u_f32_e32 vcc_lo, v34, v34
	v_and_b32_e32 v61, 0xffff0000, v23
	v_lshlrev_b32_e32 v23, 16, v23
	v_and_b32_e32 v62, 0xffff0000, v24
	v_mul_f32_e32 v22, v28, v22
	v_cndmask_b32_e32 v34, v38, v39, vcc_lo
	v_add3_u32 v38, v40, v21, 0x7fff
	v_or_b32_e32 v39, 0x400000, v21
	v_bfe_u32 v40, v35, 16, 1
	v_cmp_u_f32_e32 vcc_lo, v21, v21
	v_mul_f32_e32 v61, v30, v61
	v_mul_f32_e32 v23, v31, v23
	v_lshlrev_b32_e32 v24, 16, v24
	v_and_b32_e32 v34, 0xffff0000, v34
	v_cndmask_b32_e32 v21, v38, v39, vcc_lo
	v_add3_u32 v38, v40, v35, 0x7fff
	v_or_b32_e32 v39, 0x400000, v35
	v_bfe_u32 v40, v22, 16, 1
	v_cmp_u_f32_e32 vcc_lo, v35, v35
	v_mul_f32_e32 v24, v32, v24
	v_or_b32_e32 v63, 0x400000, v23
	v_and_b32_e32 v21, 0xffff0000, v21
	v_and_b32_e32 v36, 0xffff0000, v36
	v_cndmask_b32_e32 v35, v38, v39, vcc_lo
	v_add3_u32 v38, v40, v22, 0x7fff
	v_or_b32_e32 v39, 0x400000, v22
	v_bfe_u32 v40, v61, 16, 1
	v_cmp_u_f32_e32 vcc_lo, v22, v22
	v_bfe_u32 v65, v24, 16, 1
	v_and_b32_e32 v35, 0xffff0000, v35
	v_add_f32_e32 v21, v21, v34
	v_cndmask_b32_e32 v22, v38, v39, vcc_lo
	v_bfe_u32 v38, v23, 16, 1
	v_add3_u32 v39, v40, v61, 0x7fff
	v_mul_f32_e32 v40, v27, v62
	v_or_b32_e32 v62, 0x400000, v61
	v_cmp_u_f32_e32 vcc_lo, v61, v61
	v_add3_u32 v38, v38, v23, 0x7fff
	v_add3_u32 v61, v65, v24, 0x7fff
	v_bfe_u32 v64, v40, 16, 1
	v_and_b32_e32 v22, 0xffff0000, v22
	v_cndmask_b32_e32 v39, v39, v62, vcc_lo
	v_cmp_u_f32_e32 vcc_lo, v23, v23
	v_or_b32_e32 v62, 0x400000, v24
	v_add_f32_e32 v22, v22, v35
	v_and_b32_e32 v34, 0xffff0000, v39
	v_cndmask_b32_e32 v23, v38, v63, vcc_lo
	v_cmp_u_f32_e32 vcc_lo, v24, v24
	v_add3_u32 v38, v64, v40, 0x7fff
	v_or_b32_e32 v63, 0x400000, v40
	v_add_f32_e32 v21, v22, v21
	v_and_b32_e32 v23, 0xffff0000, v23
	v_cndmask_b32_e32 v24, v61, v62, vcc_lo
	v_cmp_u_f32_e32 vcc_lo, v40, v40
	v_add_f32_e32 v22, v23, v34
	v_and_b32_e32 v23, 0xffff0000, v24
	v_cndmask_b32_e32 v35, v38, v63, vcc_lo
	v_and_b32_e32 v38, 0xffff0000, v60
	v_and_b32_e32 v34, 0xffff0000, v17
	v_lshlrev_b32_e32 v17, 16, v17
	v_add_f32_e32 v21, v22, v21
	v_and_b32_e32 v24, 0xffff0000, v35
	v_add_f32_e32 v35, v36, v38
	v_mul_f32_e32 v17, v26, v17
	v_add_f32_e32 v22, v23, v24
	v_mul_f32_e32 v23, v25, v34
	v_add_f32_e32 v24, v35, v33
	v_and_b32_e32 v33, 0xffff0000, v18
	v_lshlrev_b32_e32 v18, 16, v18
	v_add_f32_e32 v21, v22, v21
	v_bfe_u32 v22, v23, 16, 1
	v_add_f32_e32 v49, v49, v24
	v_bfe_u32 v24, v17, 16, 1
	v_mul_f32_e32 v33, v29, v33
	v_add_f32_e32 v50, v50, v21
	v_add3_u32 v21, v22, v23, 0x7fff
	v_or_b32_e32 v22, 0x400000, v23
	v_cmp_u_f32_e32 vcc_lo, v23, v23
	v_add3_u32 v24, v24, v17, 0x7fff
	v_or_b32_e32 v34, 0x400000, v17
	v_mul_f32_e32 v18, v28, v18
	v_and_b32_e32 v23, 0xffff0000, v19
	v_cndmask_b32_e32 v21, v21, v22, vcc_lo
	v_bfe_u32 v22, v33, 16, 1
	v_cmp_u_f32_e32 vcc_lo, v17, v17
	v_lshlrev_b32_e32 v19, 16, v19
	v_mul_f32_e32 v23, v30, v23
	v_and_b32_e32 v35, 0xffff0000, v20
	v_add3_u32 v22, v22, v33, 0x7fff
	v_cndmask_b32_e32 v17, v24, v34, vcc_lo
	v_or_b32_e32 v24, 0x400000, v33
	v_bfe_u32 v34, v18, 16, 1
	v_cmp_u_f32_e32 vcc_lo, v33, v33
	v_mul_f32_e32 v19, v31, v19
	v_or_b32_e32 v33, 0x400000, v18
	v_lshlrev_b32_e32 v20, 16, v20
	v_and_b32_e32 v17, 0xffff0000, v17
	v_cndmask_b32_e32 v22, v22, v24, vcc_lo
	v_add3_u32 v24, v34, v18, 0x7fff
	v_bfe_u32 v34, v23, 16, 1
	v_cmp_u_f32_e32 vcc_lo, v18, v18
	v_bfe_u32 v36, v19, 16, 1
	v_mul_f32_e32 v20, v32, v20
	v_and_b32_e32 v21, 0xffff0000, v21
	v_and_b32_e32 v22, 0xffff0000, v22
	v_cndmask_b32_e32 v18, v24, v33, vcc_lo
	v_add3_u32 v24, v34, v23, 0x7fff
	v_mul_f32_e32 v33, v27, v35
	v_or_b32_e32 v34, 0x400000, v23
	v_cmp_u_f32_e32 vcc_lo, v23, v23
	v_add3_u32 v35, v36, v19, 0x7fff
	v_or_b32_e32 v36, 0x400000, v19
	v_bfe_u32 v37, v33, 16, 1
	v_and_b32_e32 v18, 0xffff0000, v18
	v_cndmask_b32_e32 v23, v24, v34, vcc_lo
	v_cmp_u_f32_e32 vcc_lo, v19, v19
	v_or_b32_e32 v34, 0x400000, v33
	v_add3_u32 v24, v37, v33, 0x7fff
	v_add_f32_e32 v17, v17, v21
	v_add_f32_e32 v18, v18, v22
	v_cndmask_b32_e32 v19, v35, v36, vcc_lo
	v_bfe_u32 v35, v20, 16, 1
	v_cmp_u_f32_e32 vcc_lo, v33, v33
	v_and_b32_e32 v22, 0xffff0000, v13
	v_and_b32_e32 v21, 0xffff0000, v23
	;; [unrolled: 1-line block ×3, first 2 shown]
	v_add3_u32 v33, v35, v20, 0x7fff
	v_cndmask_b32_e32 v24, v24, v34, vcc_lo
	v_or_b32_e32 v34, 0x400000, v20
	v_cmp_u_f32_e32 vcc_lo, v20, v20
	v_lshlrev_b32_e32 v13, 16, v13
	v_add_f32_e32 v17, v18, v17
	v_mul_f32_e32 v18, v25, v22
	v_add_f32_e32 v19, v19, v21
	v_cndmask_b32_e32 v20, v33, v34, vcc_lo
	v_mul_f32_e32 v21, v26, v13
	v_and_b32_e32 v22, 0xffff0000, v24
	v_bfe_u32 v23, v18, 16, 1
	v_and_b32_e32 v24, 0xffff0000, v14
	v_and_b32_e32 v20, 0xffff0000, v20
	v_add_f32_e32 v13, v19, v17
	v_bfe_u32 v19, v21, 16, 1
	v_lshlrev_b32_e32 v14, 16, v14
	v_cmp_u_f32_e32 vcc_lo, v18, v18
	v_add_f32_e32 v17, v20, v22
	v_add3_u32 v20, v23, v18, 0x7fff
	v_or_b32_e32 v22, 0x400000, v18
	v_mul_f32_e32 v23, v29, v24
	v_add3_u32 v19, v19, v21, 0x7fff
	v_or_b32_e32 v24, 0x400000, v21
	v_mul_f32_e32 v14, v28, v14
	v_cndmask_b32_e32 v18, v20, v22, vcc_lo
	v_bfe_u32 v20, v23, 16, 1
	v_cmp_u_f32_e32 vcc_lo, v21, v21
	v_and_b32_e32 v21, 0xffff0000, v15
	v_or_b32_e32 v22, 0x400000, v23
	v_lshlrev_b32_e32 v15, 16, v15
	v_add3_u32 v20, v20, v23, 0x7fff
	v_cndmask_b32_e32 v19, v19, v24, vcc_lo
	v_bfe_u32 v24, v14, 16, 1
	v_mul_f32_e32 v21, v30, v21
	v_cmp_u_f32_e32 vcc_lo, v23, v23
	v_mul_f32_e32 v15, v31, v15
	v_or_b32_e32 v23, 0x400000, v14
	v_and_b32_e32 v33, 0xffff0000, v16
	v_lshlrev_b32_e32 v16, 16, v16
	v_cndmask_b32_e32 v20, v20, v22, vcc_lo
	v_add3_u32 v22, v24, v14, 0x7fff
	v_bfe_u32 v24, v21, 16, 1
	v_cmp_u_f32_e32 vcc_lo, v14, v14
	v_bfe_u32 v34, v15, 16, 1
	v_mul_f32_e32 v16, v32, v16
	v_and_b32_e32 v19, 0xffff0000, v19
	v_and_b32_e32 v18, 0xffff0000, v18
	v_cndmask_b32_e32 v14, v22, v23, vcc_lo
	v_add3_u32 v22, v24, v21, 0x7fff
	v_mul_f32_e32 v23, v27, v33
	v_or_b32_e32 v24, 0x400000, v21
	v_cmp_u_f32_e32 vcc_lo, v21, v21
	v_add3_u32 v33, v34, v15, 0x7fff
	v_or_b32_e32 v34, 0x400000, v15
	v_bfe_u32 v35, v23, 16, 1
	v_and_b32_e32 v14, 0xffff0000, v14
	v_cndmask_b32_e32 v21, v22, v24, vcc_lo
	v_cmp_u_f32_e32 vcc_lo, v15, v15
	v_or_b32_e32 v24, 0x400000, v23
	v_add3_u32 v22, v35, v23, 0x7fff
	v_and_b32_e32 v20, 0xffff0000, v20
	v_add_f32_e32 v18, v19, v18
	v_cndmask_b32_e32 v15, v33, v34, vcc_lo
	v_bfe_u32 v33, v16, 16, 1
	v_cmp_u_f32_e32 vcc_lo, v23, v23
	v_add_f32_e32 v14, v14, v20
	v_and_b32_e32 v20, 0xffff0000, v5
	v_and_b32_e32 v15, 0xffff0000, v15
	v_add3_u32 v23, v33, v16, 0x7fff
	v_cndmask_b32_e32 v22, v22, v24, vcc_lo
	v_or_b32_e32 v24, 0x400000, v16
	v_cmp_u_f32_e32 vcc_lo, v16, v16
	v_and_b32_e32 v19, 0xffff0000, v21
	v_lshlrev_b32_e32 v5, 16, v5
	v_add_f32_e32 v14, v14, v18
	v_mul_f32_e32 v18, v25, v20
	v_cndmask_b32_e32 v16, v23, v24, vcc_lo
	v_add_f32_e32 v15, v15, v19
	v_mul_f32_e32 v19, v26, v5
	v_and_b32_e32 v20, 0xffff0000, v22
	v_and_b32_e32 v21, 0xffff0000, v6
	;; [unrolled: 1-line block ×3, first 2 shown]
	v_bfe_u32 v22, v18, 16, 1
	v_add_f32_e32 v5, v15, v14
	v_bfe_u32 v15, v19, 16, 1
	v_cmp_u_f32_e32 vcc_lo, v18, v18
	v_add_f32_e32 v14, v16, v20
	v_mul_f32_e32 v16, v29, v21
	v_add3_u32 v20, v22, v18, 0x7fff
	v_or_b32_e32 v21, 0x400000, v18
	v_add3_u32 v15, v15, v19, 0x7fff
	v_or_b32_e32 v22, 0x400000, v19
	v_bfe_u32 v23, v16, 16, 1
	v_lshlrev_b32_e32 v6, 16, v6
	v_cndmask_b32_e32 v18, v20, v21, vcc_lo
	v_cmp_u_f32_e32 vcc_lo, v19, v19
	v_or_b32_e32 v20, 0x400000, v16
	v_add3_u32 v19, v23, v16, 0x7fff
	v_mul_f32_e32 v6, v28, v6
	v_and_b32_e32 v21, 0xffff0000, v7
	v_cndmask_b32_e32 v15, v15, v22, vcc_lo
	v_cmp_u_f32_e32 vcc_lo, v16, v16
	v_lshlrev_b32_e32 v7, 16, v7
	v_bfe_u32 v22, v6, 16, 1
	v_and_b32_e32 v18, 0xffff0000, v18
	v_and_b32_e32 v15, 0xffff0000, v15
	v_cndmask_b32_e32 v16, v19, v20, vcc_lo
	v_mul_f32_e32 v19, v30, v21
	v_mul_f32_e32 v7, v31, v7
	v_add3_u32 v20, v22, v6, 0x7fff
	v_or_b32_e32 v21, 0x400000, v6
	v_and_b32_e32 v22, 0xffff0000, v8
	v_bfe_u32 v23, v19, 16, 1
	v_cmp_u_f32_e32 vcc_lo, v6, v6
	v_bfe_u32 v24, v7, 16, 1
	v_lshlrev_b32_e32 v8, 16, v8
	v_and_b32_e32 v16, 0xffff0000, v16
	v_add_f32_e32 v15, v15, v18
	v_cndmask_b32_e32 v6, v20, v21, vcc_lo
	v_mul_f32_e32 v20, v27, v22
	v_add3_u32 v21, v23, v19, 0x7fff
	v_or_b32_e32 v22, 0x400000, v19
	v_cmp_u_f32_e32 vcc_lo, v19, v19
	v_add3_u32 v23, v24, v7, 0x7fff
	v_or_b32_e32 v24, 0x400000, v7
	v_bfe_u32 v33, v20, 16, 1
	v_and_b32_e32 v6, 0xffff0000, v6
	v_cndmask_b32_e32 v19, v21, v22, vcc_lo
	v_cmp_u_f32_e32 vcc_lo, v7, v7
	v_or_b32_e32 v22, 0x400000, v20
	v_add3_u32 v21, v33, v20, 0x7fff
	v_mul_f32_e32 v8, v32, v8
	v_add_f32_e32 v6, v6, v16
	v_cndmask_b32_e32 v7, v23, v24, vcc_lo
	v_cmp_u_f32_e32 vcc_lo, v20, v20
	v_and_b32_e32 v16, 0xffff0000, v1
	v_and_b32_e32 v18, 0xffff0000, v19
	v_add_f32_e32 v6, v6, v15
	v_and_b32_e32 v7, 0xffff0000, v7
	v_cndmask_b32_e32 v20, v21, v22, vcc_lo
	v_bfe_u32 v21, v8, 16, 1
	v_mul_f32_e32 v15, v25, v16
	v_lshlrev_b32_e32 v1, 16, v1
	v_add_f32_e32 v7, v7, v18
	v_cmp_u_f32_e32 vcc_lo, v8, v8
	v_add3_u32 v19, v21, v8, 0x7fff
	v_or_b32_e32 v21, 0x400000, v8
	v_bfe_u32 v16, v15, 16, 1
	v_add_f32_e32 v6, v7, v6
	v_and_b32_e32 v7, 0xffff0000, v2
	v_mul_f32_e32 v1, v26, v1
	v_cndmask_b32_e32 v8, v19, v21, vcc_lo
	v_add3_u32 v16, v16, v15, 0x7fff
	v_or_b32_e32 v18, 0x400000, v15
	v_mul_f32_e32 v7, v29, v7
	v_and_b32_e32 v19, 0xffff0000, v20
	v_bfe_u32 v20, v1, 16, 1
	v_cmp_u_f32_e32 vcc_lo, v15, v15
	v_lshlrev_b32_e32 v2, 16, v2
	v_or_b32_e32 v21, 0x400000, v1
	v_or_b32_e32 v22, 0x400000, v7
	v_and_b32_e32 v8, 0xffff0000, v8
	v_cndmask_b32_e32 v15, v16, v18, vcc_lo
	v_bfe_u32 v16, v7, 16, 1
	v_add3_u32 v18, v20, v1, 0x7fff
	v_and_b32_e32 v20, 0xffff0000, v3
	v_mul_f32_e32 v2, v28, v2
	v_cmp_u_f32_e32 vcc_lo, v1, v1
	v_add3_u32 v16, v16, v7, 0x7fff
	v_lshlrev_b32_e32 v3, 16, v3
	v_mul_f32_e32 v20, v30, v20
	v_and_b32_e32 v15, 0xffff0000, v15
	v_cndmask_b32_e32 v1, v18, v21, vcc_lo
	v_bfe_u32 v18, v2, 16, 1
	v_cmp_u_f32_e32 vcc_lo, v7, v7
	v_and_b32_e32 v21, 0xffff0000, v4
	v_mul_f32_e32 v3, v31, v3
	v_or_b32_e32 v23, 0x400000, v20
	v_add3_u32 v18, v18, v2, 0x7fff
	v_cndmask_b32_e32 v7, v16, v22, vcc_lo
	v_bfe_u32 v16, v20, 16, 1
	v_or_b32_e32 v22, 0x400000, v2
	v_cmp_u_f32_e32 vcc_lo, v2, v2
	v_mul_f32_e32 v21, v27, v21
	v_lshlrev_b32_e32 v4, 16, v4
	v_add3_u32 v16, v16, v20, 0x7fff
	v_and_b32_e32 v1, 0xffff0000, v1
	v_cndmask_b32_e32 v2, v18, v22, vcc_lo
	v_bfe_u32 v18, v3, 16, 1
	v_cmp_u_f32_e32 vcc_lo, v20, v20
	v_bfe_u32 v22, v21, 16, 1
	v_or_b32_e32 v20, 0x400000, v3
	v_mul_f32_e32 v4, v32, v4
	v_add3_u32 v18, v18, v3, 0x7fff
	v_cndmask_b32_e32 v16, v16, v23, vcc_lo
	v_cmp_u_f32_e32 vcc_lo, v3, v3
	v_add3_u32 v22, v22, v21, 0x7fff
	v_or_b32_e32 v23, 0x400000, v21
	v_and_b32_e32 v2, 0xffff0000, v2
	v_and_b32_e32 v7, 0xffff0000, v7
	v_cndmask_b32_e32 v3, v18, v20, vcc_lo
	v_cmp_u_f32_e32 vcc_lo, v21, v21
	v_bfe_u32 v20, v4, 16, 1
	v_add_f32_e32 v1, v1, v15
	v_add_f32_e32 v2, v2, v7
	v_and_b32_e32 v3, 0xffff0000, v3
	v_cndmask_b32_e32 v18, v22, v23, vcc_lo
	s_waitcnt vmcnt(0)
	v_and_b32_e32 v22, 0xffff0000, v9
	v_and_b32_e32 v7, 0xffff0000, v16
	v_lshlrev_b32_e32 v9, 16, v9
	v_add3_u32 v20, v20, v4, 0x7fff
	v_or_b32_e32 v21, 0x400000, v4
	v_mul_f32_e32 v15, v25, v22
	v_cmp_u_f32_e32 vcc_lo, v4, v4
	v_add_f32_e32 v1, v2, v1
	v_add_f32_e32 v3, v3, v7
	v_mul_f32_e32 v7, v26, v9
	v_bfe_u32 v2, v15, 16, 1
	v_and_b32_e32 v9, 0xffff0000, v10
	v_cndmask_b32_e32 v4, v20, v21, vcc_lo
	v_or_b32_e32 v16, 0x400000, v15
	v_bfe_u32 v20, v7, 16, 1
	v_add3_u32 v2, v2, v15, 0x7fff
	v_mul_f32_e32 v9, v29, v9
	v_lshlrev_b32_e32 v10, 16, v10
	v_cmp_u_f32_e32 vcc_lo, v15, v15
	v_add3_u32 v15, v20, v7, 0x7fff
	v_and_b32_e32 v21, 0xffff0000, v11
	v_bfe_u32 v20, v9, 16, 1
	v_mul_f32_e32 v10, v28, v10
	v_cndmask_b32_e32 v2, v2, v16, vcc_lo
	v_or_b32_e32 v16, 0x400000, v7
	v_cmp_u_f32_e32 vcc_lo, v7, v7
	v_mul_f32_e32 v21, v30, v21
	v_lshlrev_b32_e32 v11, 16, v11
	v_and_b32_e32 v22, 0xffff0000, v12
	v_lshlrev_b32_e32 v12, 16, v12
	v_cndmask_b32_e32 v7, v15, v16, vcc_lo
	v_add3_u32 v15, v20, v9, 0x7fff
	v_or_b32_e32 v16, 0x400000, v9
	v_bfe_u32 v20, v10, 16, 1
	v_cmp_u_f32_e32 vcc_lo, v9, v9
	v_mul_f32_e32 v11, v31, v11
	v_mul_f32_e32 v12, v32, v12
	v_and_b32_e32 v7, 0xffff0000, v7
	v_and_b32_e32 v2, 0xffff0000, v2
	v_cndmask_b32_e32 v9, v15, v16, vcc_lo
	v_add3_u32 v15, v20, v10, 0x7fff
	v_or_b32_e32 v16, 0x400000, v10
	v_bfe_u32 v20, v21, 16, 1
	v_cmp_u_f32_e32 vcc_lo, v10, v10
	v_or_b32_e32 v23, 0x400000, v11
	v_bfe_u32 v25, v12, 16, 1
	v_and_b32_e32 v9, 0xffff0000, v9
	v_add_f32_e32 v2, v7, v2
	v_cndmask_b32_e32 v10, v15, v16, vcc_lo
	v_bfe_u32 v15, v11, 16, 1
	v_add3_u32 v16, v20, v21, 0x7fff
	v_mul_f32_e32 v20, v27, v22
	v_or_b32_e32 v22, 0x400000, v21
	v_cmp_u_f32_e32 vcc_lo, v21, v21
	v_add3_u32 v15, v15, v11, 0x7fff
	v_add3_u32 v21, v25, v12, 0x7fff
	v_bfe_u32 v24, v20, 16, 1
	v_and_b32_e32 v10, 0xffff0000, v10
	v_cndmask_b32_e32 v16, v16, v22, vcc_lo
	v_cmp_u_f32_e32 vcc_lo, v11, v11
	v_or_b32_e32 v22, 0x400000, v12
	v_and_b32_e32 v4, 0xffff0000, v4
	v_add_f32_e32 v7, v10, v9
	v_and_b32_e32 v10, 0xffff0000, v16
	v_cndmask_b32_e32 v11, v15, v23, vcc_lo
	v_cmp_u_f32_e32 vcc_lo, v12, v12
	v_add3_u32 v15, v24, v20, 0x7fff
	v_or_b32_e32 v23, 0x400000, v20
	v_add_f32_e32 v2, v7, v2
	v_and_b32_e32 v9, 0xffff0000, v11
	v_cndmask_b32_e32 v12, v21, v22, vcc_lo
	v_cmp_u_f32_e32 vcc_lo, v20, v20
	v_add_f32_e32 v8, v8, v19
	v_add_f32_e32 v1, v3, v1
	;; [unrolled: 1-line block ×3, first 2 shown]
	v_and_b32_e32 v9, 0xffff0000, v12
	v_cndmask_b32_e32 v11, v15, v23, vcc_lo
	v_and_b32_e32 v15, 0xffff0000, v18
	v_add_f32_e32 v5, v14, v5
	v_add_f32_e32 v2, v7, v2
	;; [unrolled: 1-line block ×3, first 2 shown]
	v_and_b32_e32 v10, 0xffff0000, v11
	v_add_f32_e32 v3, v4, v15
	v_add_f32_e32 v6, v8, v6
	;; [unrolled: 1-line block ×10, first 2 shown]
.LBB142_41:                             ;   in Loop: Header=BB142_42 Depth=1
	s_or_b32 exec_lo, exec_lo, s17
	v_add_nc_u32_e32 v41, 4, v41
	v_add_co_u32 v42, s0, v42, 16
	v_add_co_ci_u32_e64 v43, null, 0, v43, s0
	v_cmp_le_i32_e32 vcc_lo, s16, v41
	v_add_nc_u32_e32 v45, 32, v45
	v_add_nc_u32_e32 v56, 0x80, v56
	s_or_b32 s14, vcc_lo, s14
	s_andn2_b32 exec_lo, exec_lo, s14
	s_cbranch_execz .LBB142_59
.LBB142_42:                             ; =>This Inner Loop Header: Depth=1
	v_sub_nc_u32_e32 v1, 0, v45
	v_max_i32_e32 v1, v45, v1
	v_mul_hi_u32 v2, v1, s12
	v_mul_lo_u32 v3, v2, s11
	v_sub_nc_u32_e32 v1, v1, v3
	v_add_nc_u32_e32 v3, 1, v2
	v_subrev_nc_u32_e32 v4, s11, v1
	v_cmp_le_u32_e32 vcc_lo, s11, v1
	v_cndmask_b32_e32 v2, v2, v3, vcc_lo
	v_cndmask_b32_e32 v1, v1, v4, vcc_lo
	v_ashrrev_i32_e32 v3, 31, v45
	v_add_nc_u32_e32 v4, 1, v2
	v_cmp_le_u32_e32 vcc_lo, s11, v1
	v_xor_b32_e32 v3, s19, v3
	v_cndmask_b32_e32 v1, v2, v4, vcc_lo
	v_xor_b32_e32 v1, v1, v3
	v_sub_nc_u32_e32 v1, v1, v3
	v_add_nc_u32_e32 v2, s33, v1
	v_cmp_lt_i32_e64 s0, s5, v1
	v_sub_nc_u32_e32 v3, 0, v2
	v_max_i32_e32 v3, v2, v3
	v_ashrrev_i32_e32 v2, 31, v2
	v_mul_hi_u32 v4, v3, v59
	v_mul_lo_u32 v4, v4, s6
	v_sub_nc_u32_e32 v3, v3, v4
	v_subrev_nc_u32_e32 v4, s6, v3
	v_cmp_le_u32_e32 vcc_lo, s6, v3
	v_cndmask_b32_e32 v3, v3, v4, vcc_lo
	v_subrev_nc_u32_e32 v4, s6, v3
	v_cmp_le_u32_e32 vcc_lo, s6, v3
	v_cndmask_b32_e32 v3, v3, v4, vcc_lo
	v_xor_b32_e32 v3, v3, v2
	v_sub_nc_u32_e32 v2, v3, v2
	v_cmp_eq_u32_e32 vcc_lo, 0, v2
	s_or_b32 s0, vcc_lo, s0
	s_and_saveexec_b32 s17, s0
	s_cbranch_execz .LBB142_41
; %bb.43:                               ;   in Loop: Header=BB142_42 Depth=1
	global_load_dword v1, v[42:43], off
	v_cmp_eq_u32_e64 s0, s9, v41
	v_add_nc_u32_e32 v66, 1, v45
	v_or_b32_e32 v64, 3, v45
	v_or_b32_e32 v65, 2, v45
	;; [unrolled: 1-line block ×6, first 2 shown]
	s_waitcnt vmcnt(0)
	v_mad_i64_i32 v[1:2], null, v1, s13, 0
	v_lshlrev_b64 v[1:2], 1, v[1:2]
	v_add_co_u32 v9, vcc_lo, v57, v1
	v_add_co_ci_u32_e64 v10, null, v58, v2, vcc_lo
	global_load_dwordx4 v[1:4], v[9:10], off
	ds_read2_b64 v[29:32], v56 offset1:1
	ds_read2_b64 v[25:28], v56 offset0:2 offset1:3
	s_and_saveexec_b32 s18, s0
	s_cbranch_execnz .LBB142_52
; %bb.44:                               ;   in Loop: Header=BB142_42 Depth=1
	s_or_b32 exec_lo, exec_lo, s18
	global_load_dwordx4 v[5:8], v[9:10], off offset:512
	s_and_saveexec_b32 s18, s0
	s_cbranch_execnz .LBB142_53
.LBB142_45:                             ;   in Loop: Header=BB142_42 Depth=1
	s_or_b32 exec_lo, exec_lo, s18
	global_load_dwordx4 v[13:16], v[9:10], off offset:1024
	s_and_saveexec_b32 s18, s0
	s_cbranch_execnz .LBB142_54
.LBB142_46:                             ;   in Loop: Header=BB142_42 Depth=1
	s_or_b32 exec_lo, exec_lo, s18
	global_load_dwordx4 v[17:20], v[9:10], off offset:1536
	s_and_saveexec_b32 s18, s0
	s_cbranch_execz .LBB142_48
.LBB142_47:                             ;   in Loop: Header=BB142_42 Depth=1
	v_cmp_gt_i32_e64 s1, s27, v45
	v_cmp_gt_i32_e32 vcc_lo, s15, v66
	v_cmp_gt_i32_e64 s2, s27, v65
	s_waitcnt vmcnt(0)
	v_cndmask_b32_e64 v11, 0, v17, s1
	v_cmp_gt_i32_e64 s1, s15, v64
	v_cndmask_b32_sdwa v17, v55, v17, vcc_lo dst_sel:DWORD dst_unused:UNUSED_PAD src0_sel:DWORD src1_sel:WORD_1
	v_cndmask_b32_e64 v12, 0, v18, s2
	v_cmp_gt_i32_e64 s2, s15, v63
	s_mov_b32 vcc_lo, s1
	v_cmp_gt_i32_e64 s1, s15, v61
	v_cndmask_b32_sdwa v18, v55, v18, vcc_lo dst_sel:DWORD dst_unused:UNUSED_PAD src0_sel:DWORD src1_sel:WORD_1
	v_cmp_gt_i32_e32 vcc_lo, s27, v62
	v_perm_b32 v17, v17, v11, 0x5040100
	v_perm_b32 v18, v18, v12, 0x5040100
	v_cndmask_b32_e32 v21, 0, v19, vcc_lo
	s_mov_b32 vcc_lo, s2
	v_cndmask_b32_sdwa v19, v55, v19, vcc_lo dst_sel:DWORD dst_unused:UNUSED_PAD src0_sel:DWORD src1_sel:WORD_1
	v_cmp_gt_i32_e32 vcc_lo, s27, v60
	v_perm_b32 v19, v19, v21, 0x5040100
	v_cndmask_b32_e32 v22, 0, v20, vcc_lo
	s_mov_b32 vcc_lo, s1
	v_cndmask_b32_sdwa v20, v55, v20, vcc_lo dst_sel:DWORD dst_unused:UNUSED_PAD src0_sel:DWORD src1_sel:WORD_1
	v_perm_b32 v20, v20, v22, 0x5040100
.LBB142_48:                             ;   in Loop: Header=BB142_42 Depth=1
	s_or_b32 exec_lo, exec_lo, s18
	v_add_co_u32 v9, vcc_lo, 0x800, v9
	v_add_co_ci_u32_e64 v10, null, 0, v10, vcc_lo
	global_load_dwordx4 v[21:24], v[9:10], off
	s_and_saveexec_b32 s18, s0
	s_cbranch_execnz .LBB142_55
; %bb.49:                               ;   in Loop: Header=BB142_42 Depth=1
	s_or_b32 exec_lo, exec_lo, s18
	global_load_dwordx4 v[33:36], v[9:10], off offset:512
	s_and_saveexec_b32 s18, s0
	s_cbranch_execnz .LBB142_56
.LBB142_50:                             ;   in Loop: Header=BB142_42 Depth=1
	s_or_b32 exec_lo, exec_lo, s18
	global_load_dwordx4 v[37:40], v[9:10], off offset:1024
	s_and_saveexec_b32 s18, s0
	s_cbranch_execnz .LBB142_57
.LBB142_51:                             ;   in Loop: Header=BB142_42 Depth=1
	s_or_b32 exec_lo, exec_lo, s18
	global_load_dwordx4 v[9:12], v[9:10], off offset:1536
	s_and_saveexec_b32 s2, s0
	s_cbranch_execz .LBB142_40
	s_branch .LBB142_58
.LBB142_52:                             ;   in Loop: Header=BB142_42 Depth=1
	v_cmp_gt_i32_e64 s1, s27, v45
	v_cmp_gt_i32_e32 vcc_lo, s15, v66
	v_cmp_gt_i32_e64 s2, s27, v65
	s_waitcnt vmcnt(0)
	v_cndmask_b32_e64 v5, 0, v1, s1
	v_cmp_gt_i32_e64 s1, s15, v64
	v_cndmask_b32_sdwa v1, v55, v1, vcc_lo dst_sel:DWORD dst_unused:UNUSED_PAD src0_sel:DWORD src1_sel:WORD_1
	v_cndmask_b32_e64 v6, 0, v2, s2
	v_cmp_gt_i32_e64 s2, s15, v63
	s_mov_b32 vcc_lo, s1
	v_cmp_gt_i32_e64 s1, s15, v61
	v_cndmask_b32_sdwa v2, v55, v2, vcc_lo dst_sel:DWORD dst_unused:UNUSED_PAD src0_sel:DWORD src1_sel:WORD_1
	v_cmp_gt_i32_e32 vcc_lo, s27, v62
	v_perm_b32 v1, v1, v5, 0x5040100
	v_perm_b32 v2, v2, v6, 0x5040100
	v_cndmask_b32_e32 v7, 0, v3, vcc_lo
	s_mov_b32 vcc_lo, s2
	v_cndmask_b32_sdwa v3, v55, v3, vcc_lo dst_sel:DWORD dst_unused:UNUSED_PAD src0_sel:DWORD src1_sel:WORD_1
	v_cmp_gt_i32_e32 vcc_lo, s27, v60
	v_perm_b32 v3, v3, v7, 0x5040100
	v_cndmask_b32_e32 v8, 0, v4, vcc_lo
	s_mov_b32 vcc_lo, s1
	v_cndmask_b32_sdwa v4, v55, v4, vcc_lo dst_sel:DWORD dst_unused:UNUSED_PAD src0_sel:DWORD src1_sel:WORD_1
	v_perm_b32 v4, v4, v8, 0x5040100
	s_or_b32 exec_lo, exec_lo, s18
	global_load_dwordx4 v[5:8], v[9:10], off offset:512
	s_and_saveexec_b32 s18, s0
	s_cbranch_execz .LBB142_45
.LBB142_53:                             ;   in Loop: Header=BB142_42 Depth=1
	v_cmp_gt_i32_e64 s1, s27, v45
	v_cmp_gt_i32_e32 vcc_lo, s15, v66
	v_cmp_gt_i32_e64 s2, s27, v65
	s_waitcnt vmcnt(0)
	v_cndmask_b32_e64 v11, 0, v5, s1
	v_cmp_gt_i32_e64 s1, s15, v64
	v_cndmask_b32_sdwa v5, v55, v5, vcc_lo dst_sel:DWORD dst_unused:UNUSED_PAD src0_sel:DWORD src1_sel:WORD_1
	v_cndmask_b32_e64 v12, 0, v6, s2
	v_cmp_gt_i32_e64 s2, s15, v63
	s_mov_b32 vcc_lo, s1
	v_cmp_gt_i32_e64 s1, s15, v61
	v_cndmask_b32_sdwa v6, v55, v6, vcc_lo dst_sel:DWORD dst_unused:UNUSED_PAD src0_sel:DWORD src1_sel:WORD_1
	v_cmp_gt_i32_e32 vcc_lo, s27, v62
	v_perm_b32 v5, v5, v11, 0x5040100
	v_perm_b32 v6, v6, v12, 0x5040100
	v_cndmask_b32_e32 v13, 0, v7, vcc_lo
	s_mov_b32 vcc_lo, s2
	v_cndmask_b32_sdwa v7, v55, v7, vcc_lo dst_sel:DWORD dst_unused:UNUSED_PAD src0_sel:DWORD src1_sel:WORD_1
	v_cmp_gt_i32_e32 vcc_lo, s27, v60
	v_perm_b32 v7, v7, v13, 0x5040100
	v_cndmask_b32_e32 v14, 0, v8, vcc_lo
	s_mov_b32 vcc_lo, s1
	v_cndmask_b32_sdwa v8, v55, v8, vcc_lo dst_sel:DWORD dst_unused:UNUSED_PAD src0_sel:DWORD src1_sel:WORD_1
	v_perm_b32 v8, v8, v14, 0x5040100
	s_or_b32 exec_lo, exec_lo, s18
	global_load_dwordx4 v[13:16], v[9:10], off offset:1024
	s_and_saveexec_b32 s18, s0
	s_cbranch_execz .LBB142_46
.LBB142_54:                             ;   in Loop: Header=BB142_42 Depth=1
	v_cmp_gt_i32_e64 s1, s27, v45
	v_cmp_gt_i32_e32 vcc_lo, s15, v66
	v_cmp_gt_i32_e64 s2, s27, v65
	s_waitcnt vmcnt(0)
	v_cndmask_b32_e64 v11, 0, v13, s1
	v_cmp_gt_i32_e64 s1, s15, v64
	v_cndmask_b32_sdwa v13, v55, v13, vcc_lo dst_sel:DWORD dst_unused:UNUSED_PAD src0_sel:DWORD src1_sel:WORD_1
	v_cndmask_b32_e64 v12, 0, v14, s2
	v_cmp_gt_i32_e64 s2, s15, v63
	s_mov_b32 vcc_lo, s1
	v_cmp_gt_i32_e64 s1, s15, v61
	v_cndmask_b32_sdwa v14, v55, v14, vcc_lo dst_sel:DWORD dst_unused:UNUSED_PAD src0_sel:DWORD src1_sel:WORD_1
	v_cmp_gt_i32_e32 vcc_lo, s27, v62
	v_perm_b32 v13, v13, v11, 0x5040100
	v_perm_b32 v14, v14, v12, 0x5040100
	v_cndmask_b32_e32 v17, 0, v15, vcc_lo
	s_mov_b32 vcc_lo, s2
	v_cndmask_b32_sdwa v15, v55, v15, vcc_lo dst_sel:DWORD dst_unused:UNUSED_PAD src0_sel:DWORD src1_sel:WORD_1
	v_cmp_gt_i32_e32 vcc_lo, s27, v60
	v_perm_b32 v15, v15, v17, 0x5040100
	v_cndmask_b32_e32 v18, 0, v16, vcc_lo
	s_mov_b32 vcc_lo, s1
	v_cndmask_b32_sdwa v16, v55, v16, vcc_lo dst_sel:DWORD dst_unused:UNUSED_PAD src0_sel:DWORD src1_sel:WORD_1
	v_perm_b32 v16, v16, v18, 0x5040100
	s_or_b32 exec_lo, exec_lo, s18
	global_load_dwordx4 v[17:20], v[9:10], off offset:1536
	s_and_saveexec_b32 s18, s0
	s_cbranch_execnz .LBB142_47
	s_branch .LBB142_48
.LBB142_55:                             ;   in Loop: Header=BB142_42 Depth=1
	v_cmp_gt_i32_e64 s1, s27, v45
	v_cmp_gt_i32_e32 vcc_lo, s15, v66
	v_cmp_gt_i32_e64 s2, s27, v65
	s_waitcnt vmcnt(0)
	v_cndmask_b32_e64 v11, 0, v21, s1
	v_cmp_gt_i32_e64 s1, s15, v64
	v_cndmask_b32_sdwa v21, v55, v21, vcc_lo dst_sel:DWORD dst_unused:UNUSED_PAD src0_sel:DWORD src1_sel:WORD_1
	v_cndmask_b32_e64 v12, 0, v22, s2
	v_cmp_gt_i32_e64 s2, s15, v63
	s_mov_b32 vcc_lo, s1
	v_cmp_gt_i32_e64 s1, s15, v61
	v_cndmask_b32_sdwa v22, v55, v22, vcc_lo dst_sel:DWORD dst_unused:UNUSED_PAD src0_sel:DWORD src1_sel:WORD_1
	v_cmp_gt_i32_e32 vcc_lo, s27, v62
	v_perm_b32 v21, v21, v11, 0x5040100
	v_perm_b32 v22, v22, v12, 0x5040100
	v_cndmask_b32_e32 v33, 0, v23, vcc_lo
	s_mov_b32 vcc_lo, s2
	v_cndmask_b32_sdwa v23, v55, v23, vcc_lo dst_sel:DWORD dst_unused:UNUSED_PAD src0_sel:DWORD src1_sel:WORD_1
	v_cmp_gt_i32_e32 vcc_lo, s27, v60
	v_perm_b32 v23, v23, v33, 0x5040100
	v_cndmask_b32_e32 v34, 0, v24, vcc_lo
	s_mov_b32 vcc_lo, s1
	v_cndmask_b32_sdwa v24, v55, v24, vcc_lo dst_sel:DWORD dst_unused:UNUSED_PAD src0_sel:DWORD src1_sel:WORD_1
	v_perm_b32 v24, v24, v34, 0x5040100
	s_or_b32 exec_lo, exec_lo, s18
	global_load_dwordx4 v[33:36], v[9:10], off offset:512
	s_and_saveexec_b32 s18, s0
	s_cbranch_execz .LBB142_50
.LBB142_56:                             ;   in Loop: Header=BB142_42 Depth=1
	v_cmp_gt_i32_e64 s1, s27, v45
	v_cmp_gt_i32_e32 vcc_lo, s15, v66
	v_cmp_gt_i32_e64 s2, s27, v65
	s_waitcnt vmcnt(0)
	v_cndmask_b32_e64 v11, 0, v33, s1
	v_cmp_gt_i32_e64 s1, s15, v64
	v_cndmask_b32_sdwa v33, v55, v33, vcc_lo dst_sel:DWORD dst_unused:UNUSED_PAD src0_sel:DWORD src1_sel:WORD_1
	v_cndmask_b32_e64 v12, 0, v34, s2
	v_cmp_gt_i32_e64 s2, s15, v63
	s_mov_b32 vcc_lo, s1
	v_cmp_gt_i32_e64 s1, s15, v61
	v_cndmask_b32_sdwa v34, v55, v34, vcc_lo dst_sel:DWORD dst_unused:UNUSED_PAD src0_sel:DWORD src1_sel:WORD_1
	v_cmp_gt_i32_e32 vcc_lo, s27, v62
	v_perm_b32 v33, v33, v11, 0x5040100
	v_perm_b32 v34, v34, v12, 0x5040100
	v_cndmask_b32_e32 v37, 0, v35, vcc_lo
	s_mov_b32 vcc_lo, s2
	v_cndmask_b32_sdwa v35, v55, v35, vcc_lo dst_sel:DWORD dst_unused:UNUSED_PAD src0_sel:DWORD src1_sel:WORD_1
	v_cmp_gt_i32_e32 vcc_lo, s27, v60
	v_perm_b32 v35, v35, v37, 0x5040100
	v_cndmask_b32_e32 v38, 0, v36, vcc_lo
	s_mov_b32 vcc_lo, s1
	v_cndmask_b32_sdwa v36, v55, v36, vcc_lo dst_sel:DWORD dst_unused:UNUSED_PAD src0_sel:DWORD src1_sel:WORD_1
	v_perm_b32 v36, v36, v38, 0x5040100
	s_or_b32 exec_lo, exec_lo, s18
	global_load_dwordx4 v[37:40], v[9:10], off offset:1024
	s_and_saveexec_b32 s18, s0
	s_cbranch_execz .LBB142_51
.LBB142_57:                             ;   in Loop: Header=BB142_42 Depth=1
	v_cmp_gt_i32_e64 s1, s27, v45
	v_cmp_gt_i32_e32 vcc_lo, s15, v66
	v_cmp_gt_i32_e64 s2, s27, v65
	s_waitcnt vmcnt(0)
	v_cndmask_b32_e64 v11, 0, v37, s1
	v_cmp_gt_i32_e64 s1, s15, v64
	v_cndmask_b32_sdwa v37, v55, v37, vcc_lo dst_sel:DWORD dst_unused:UNUSED_PAD src0_sel:DWORD src1_sel:WORD_1
	v_cndmask_b32_e64 v12, 0, v38, s2
	v_cmp_gt_i32_e64 s2, s15, v63
	s_mov_b32 vcc_lo, s1
	v_cmp_gt_i32_e64 s1, s15, v61
	v_cndmask_b32_sdwa v38, v55, v38, vcc_lo dst_sel:DWORD dst_unused:UNUSED_PAD src0_sel:DWORD src1_sel:WORD_1
	v_cmp_gt_i32_e32 vcc_lo, s27, v62
	v_perm_b32 v37, v37, v11, 0x5040100
	v_perm_b32 v38, v38, v12, 0x5040100
	v_cndmask_b32_e32 v67, 0, v39, vcc_lo
	s_mov_b32 vcc_lo, s2
	v_cndmask_b32_sdwa v39, v55, v39, vcc_lo dst_sel:DWORD dst_unused:UNUSED_PAD src0_sel:DWORD src1_sel:WORD_1
	v_cmp_gt_i32_e32 vcc_lo, s27, v60
	v_perm_b32 v39, v39, v67, 0x5040100
	v_cndmask_b32_e32 v68, 0, v40, vcc_lo
	s_mov_b32 vcc_lo, s1
	v_cndmask_b32_sdwa v40, v55, v40, vcc_lo dst_sel:DWORD dst_unused:UNUSED_PAD src0_sel:DWORD src1_sel:WORD_1
	v_perm_b32 v40, v40, v68, 0x5040100
	s_or_b32 exec_lo, exec_lo, s18
	global_load_dwordx4 v[9:12], v[9:10], off offset:1536
	s_and_saveexec_b32 s2, s0
	s_cbranch_execz .LBB142_40
.LBB142_58:                             ;   in Loop: Header=BB142_42 Depth=1
	v_cmp_gt_i32_e64 s0, s27, v45
	v_cmp_gt_i32_e32 vcc_lo, s15, v66
	v_cmp_gt_i32_e64 s1, s27, v65
	s_waitcnt vmcnt(0)
	v_cndmask_b32_e64 v66, 0, v9, s0
	v_cmp_gt_i32_e64 s0, s15, v64
	v_cndmask_b32_sdwa v9, v55, v9, vcc_lo dst_sel:DWORD dst_unused:UNUSED_PAD src0_sel:DWORD src1_sel:WORD_1
	v_cndmask_b32_e64 v64, 0, v10, s1
	v_cmp_gt_i32_e64 s1, s15, v63
	s_mov_b32 vcc_lo, s0
	v_cmp_gt_i32_e64 s0, s15, v61
	v_cndmask_b32_sdwa v10, v55, v10, vcc_lo dst_sel:DWORD dst_unused:UNUSED_PAD src0_sel:DWORD src1_sel:WORD_1
	v_cmp_gt_i32_e32 vcc_lo, s27, v62
	v_perm_b32 v9, v9, v66, 0x5040100
	v_perm_b32 v10, v10, v64, 0x5040100
	v_cndmask_b32_e32 v62, 0, v11, vcc_lo
	s_mov_b32 vcc_lo, s1
	v_cndmask_b32_sdwa v11, v55, v11, vcc_lo dst_sel:DWORD dst_unused:UNUSED_PAD src0_sel:DWORD src1_sel:WORD_1
	v_cmp_gt_i32_e32 vcc_lo, s27, v60
	v_perm_b32 v11, v11, v62, 0x5040100
	v_cndmask_b32_e32 v60, 0, v12, vcc_lo
	s_mov_b32 vcc_lo, s0
	v_cndmask_b32_sdwa v12, v55, v12, vcc_lo dst_sel:DWORD dst_unused:UNUSED_PAD src0_sel:DWORD src1_sel:WORD_1
	v_perm_b32 v12, v12, v60, 0x5040100
	s_branch .LBB142_40
.LBB142_59:
	s_or_b32 exec_lo, exec_lo, s14
.LBB142_60:
	s_or_b32 exec_lo, exec_lo, s3
	v_lshl_add_u32 v2, v46, 2, 0x220
	v_and_b32_e32 v3, 0x3c0, v0
	s_mov_b32 s0, exec_lo
	s_waitcnt_vscnt null, 0x0
	s_barrier
	v_lshl_add_u32 v1, v44, 10, v2
	buffer_gl0_inv
	v_cmpx_eq_u32_e32 64, v3
	s_cbranch_execz .LBB142_62
; %bb.61:
	v_add_nc_u32_e32 v3, 0xfffff800, v1
	v_add_nc_u32_e32 v4, 0xfffff880, v1
	;; [unrolled: 1-line block ×5, first 2 shown]
	ds_write_b32 v3, v54
	ds_write_b32 v4, v53
	;; [unrolled: 1-line block ×3, first 2 shown]
	v_add_nc_u32_e32 v3, 0xfffff980, v1
	v_add_nc_u32_e32 v4, 0xfffffa00, v1
	v_add_nc_u32_e32 v5, 0xfffffa80, v1
	ds_write_b32 v3, v51
	ds_write_b32 v4, v50
	;; [unrolled: 1-line block ×5, first 2 shown]
.LBB142_62:
	s_or_b32 exec_lo, exec_lo, s0
	s_mov_b32 s0, exec_lo
	s_waitcnt lgkmcnt(0)
	s_barrier
	buffer_gl0_inv
	v_cmpx_gt_u32_e32 64, v0
	s_cbranch_execz .LBB142_64
; %bb.63:
	ds_read2_b32 v[3:4], v1 offset1:32
	ds_read2_b32 v[5:6], v1 offset0:64 offset1:96
	ds_read2_b32 v[7:8], v1 offset0:128 offset1:160
	;; [unrolled: 1-line block ×3, first 2 shown]
	s_waitcnt lgkmcnt(3)
	v_add_f32_e32 v54, v54, v3
	v_add_f32_e32 v53, v53, v4
	s_waitcnt lgkmcnt(2)
	v_add_f32_e32 v52, v52, v5
	v_add_f32_e32 v51, v51, v6
	;; [unrolled: 3-line block ×4, first 2 shown]
.LBB142_64:
	s_or_b32 exec_lo, exec_lo, s0
	v_and_b32_e32 v3, 0x3e0, v0
	s_mov_b32 s0, exec_lo
	s_barrier
	buffer_gl0_inv
	v_cmpx_eq_u32_e32 32, v3
	s_cbranch_execz .LBB142_66
; %bb.65:
	ds_write2_b32 v2, v54, v53 offset1:32
	ds_write2_b32 v2, v52, v51 offset0:64 offset1:96
	ds_write2_b32 v2, v50, v49 offset0:128 offset1:160
	ds_write2_b32 v2, v48, v47 offset0:192 offset1:224
.LBB142_66:
	s_or_b32 exec_lo, exec_lo, s0
	v_cmp_gt_u32_e32 vcc_lo, 32, v0
	s_waitcnt lgkmcnt(0)
	s_barrier
	buffer_gl0_inv
	s_and_saveexec_b32 s0, vcc_lo
	s_cbranch_execz .LBB142_68
; %bb.67:
	ds_read2_b32 v[2:3], v1 offset1:32
	ds_read2_b32 v[4:5], v1 offset0:64 offset1:96
	ds_read2_b32 v[6:7], v1 offset0:128 offset1:160
	;; [unrolled: 1-line block ×3, first 2 shown]
	s_waitcnt lgkmcnt(3)
	v_add_f32_e32 v54, v54, v2
	v_add_f32_e32 v53, v53, v3
	s_waitcnt lgkmcnt(2)
	v_add_f32_e32 v52, v52, v4
	v_add_f32_e32 v51, v51, v5
	;; [unrolled: 3-line block ×4, first 2 shown]
.LBB142_68:
	s_or_b32 exec_lo, exec_lo, s0
	s_barrier
	buffer_gl0_inv
	s_and_saveexec_b32 s0, vcc_lo
	s_cbranch_execz .LBB142_70
; %bb.69:
	s_lshl_b32 s0, s4, 8
	s_mul_i32 s2, s7, s10
	s_ashr_i32 s1, s0, 31
	v_bfe_u32 v1, v54, 16, 1
	s_lshl_b64 s[0:1], s[0:1], 1
	v_or_b32_e32 v2, 0x400000, v54
	s_add_u32 s4, s24, s0
	s_addc_u32 s5, s25, s1
	s_ashr_i32 s3, s2, 31
	v_add3_u32 v1, v1, v54, 0x7fff
	s_lshl_b64 s[0:1], s[2:3], 1
	v_bfe_u32 v3, v53, 16, 1
	s_add_u32 s2, s4, s0
	v_cmp_u_f32_e32 vcc_lo, v54, v54
	s_addc_u32 s3, s5, s1
	s_lshl_b32 s0, s8, 8
	v_lshlrev_b32_e32 v0, 1, v0
	s_ashr_i32 s1, s0, 31
	v_cndmask_b32_e32 v1, v1, v2, vcc_lo
	s_lshl_b64 s[0:1], s[0:1], 1
	v_bfe_u32 v2, v52, 16, 1
	v_add3_u32 v3, v3, v53, 0x7fff
	v_or_b32_e32 v4, 0x400000, v53
	v_cmp_u_f32_e32 vcc_lo, v53, v53
	s_add_u32 s0, s2, s0
	s_addc_u32 s1, s3, s1
	v_bfe_u32 v5, v48, 16, 1
	global_store_short_d16_hi v0, v1, s[0:1]
	v_add3_u32 v1, v2, v52, 0x7fff
	v_or_b32_e32 v2, 0x400000, v52
	v_cndmask_b32_e32 v3, v3, v4, vcc_lo
	v_bfe_u32 v4, v51, 16, 1
	v_cmp_u_f32_e32 vcc_lo, v52, v52
	v_or_b32_e32 v6, 0x400000, v49
	v_add3_u32 v5, v5, v48, 0x7fff
	global_store_short_d16_hi v0, v3, s[0:1] offset:64
	v_add3_u32 v3, v4, v51, 0x7fff
	v_cndmask_b32_e32 v1, v1, v2, vcc_lo
	v_bfe_u32 v2, v50, 16, 1
	v_or_b32_e32 v4, 0x400000, v51
	v_cmp_u_f32_e32 vcc_lo, v51, v51
	v_or_b32_e32 v7, 0x400000, v48
	global_store_short_d16_hi v0, v1, s[0:1] offset:128
	v_add3_u32 v1, v2, v50, 0x7fff
	v_or_b32_e32 v2, 0x400000, v50
	v_cndmask_b32_e32 v3, v3, v4, vcc_lo
	v_bfe_u32 v4, v49, 16, 1
	v_cmp_u_f32_e32 vcc_lo, v50, v50
	v_or_b32_e32 v8, 0x400000, v47
	v_add3_u32 v4, v4, v49, 0x7fff
	v_cndmask_b32_e32 v1, v1, v2, vcc_lo
	v_cmp_u_f32_e32 vcc_lo, v49, v49
	v_bfe_u32 v2, v47, 16, 1
	v_cndmask_b32_e32 v4, v4, v6, vcc_lo
	v_cmp_u_f32_e32 vcc_lo, v48, v48
	v_add3_u32 v2, v2, v47, 0x7fff
	v_cndmask_b32_e32 v5, v5, v7, vcc_lo
	v_cmp_u_f32_e32 vcc_lo, v47, v47
	v_cndmask_b32_e32 v2, v2, v8, vcc_lo
	global_store_short_d16_hi v0, v3, s[0:1] offset:192
	global_store_short_d16_hi v0, v1, s[0:1] offset:256
	;; [unrolled: 1-line block ×5, first 2 shown]
.LBB142_70:
	s_endpgm
	.section	.rodata,"a",@progbits
	.p2align	6, 0x0
	.amdhsa_kernel _ZN4vllm25paged_attention_v2_kernelI14__hip_bfloat16S1_Li256ELi8ELi128ELNS_18Fp8KVCacheDataTypeE0ELb1ELi512EEEvPfS3_PT_PKS4_PKT0_SA_ifPKiSC_iPKfiiiSE_SE_iiiii
		.amdhsa_group_segment_fixed_size 544
		.amdhsa_private_segment_fixed_size 0
		.amdhsa_kernarg_size 400
		.amdhsa_user_sgpr_count 6
		.amdhsa_user_sgpr_private_segment_buffer 1
		.amdhsa_user_sgpr_dispatch_ptr 0
		.amdhsa_user_sgpr_queue_ptr 0
		.amdhsa_user_sgpr_kernarg_segment_ptr 1
		.amdhsa_user_sgpr_dispatch_id 0
		.amdhsa_user_sgpr_flat_scratch_init 0
		.amdhsa_user_sgpr_private_segment_size 0
		.amdhsa_wavefront_size32 1
		.amdhsa_uses_dynamic_stack 0
		.amdhsa_system_sgpr_private_segment_wavefront_offset 0
		.amdhsa_system_sgpr_workgroup_id_x 1
		.amdhsa_system_sgpr_workgroup_id_y 1
		.amdhsa_system_sgpr_workgroup_id_z 1
		.amdhsa_system_sgpr_workgroup_info 0
		.amdhsa_system_vgpr_workitem_id 0
		.amdhsa_next_free_vgpr 96
		.amdhsa_next_free_sgpr 46
		.amdhsa_reserve_vcc 1
		.amdhsa_reserve_flat_scratch 0
		.amdhsa_float_round_mode_32 0
		.amdhsa_float_round_mode_16_64 0
		.amdhsa_float_denorm_mode_32 3
		.amdhsa_float_denorm_mode_16_64 3
		.amdhsa_dx10_clamp 1
		.amdhsa_ieee_mode 1
		.amdhsa_fp16_overflow 0
		.amdhsa_workgroup_processor_mode 1
		.amdhsa_memory_ordered 1
		.amdhsa_forward_progress 1
		.amdhsa_shared_vgpr_count 0
		.amdhsa_exception_fp_ieee_invalid_op 0
		.amdhsa_exception_fp_denorm_src 0
		.amdhsa_exception_fp_ieee_div_zero 0
		.amdhsa_exception_fp_ieee_overflow 0
		.amdhsa_exception_fp_ieee_underflow 0
		.amdhsa_exception_fp_ieee_inexact 0
		.amdhsa_exception_int_div_zero 0
	.end_amdhsa_kernel
	.section	.text._ZN4vllm25paged_attention_v2_kernelI14__hip_bfloat16S1_Li256ELi8ELi128ELNS_18Fp8KVCacheDataTypeE0ELb1ELi512EEEvPfS3_PT_PKS4_PKT0_SA_ifPKiSC_iPKfiiiSE_SE_iiiii,"axG",@progbits,_ZN4vllm25paged_attention_v2_kernelI14__hip_bfloat16S1_Li256ELi8ELi128ELNS_18Fp8KVCacheDataTypeE0ELb1ELi512EEEvPfS3_PT_PKS4_PKT0_SA_ifPKiSC_iPKfiiiSE_SE_iiiii,comdat
.Lfunc_end142:
	.size	_ZN4vllm25paged_attention_v2_kernelI14__hip_bfloat16S1_Li256ELi8ELi128ELNS_18Fp8KVCacheDataTypeE0ELb1ELi512EEEvPfS3_PT_PKS4_PKT0_SA_ifPKiSC_iPKfiiiSE_SE_iiiii, .Lfunc_end142-_ZN4vllm25paged_attention_v2_kernelI14__hip_bfloat16S1_Li256ELi8ELi128ELNS_18Fp8KVCacheDataTypeE0ELb1ELi512EEEvPfS3_PT_PKS4_PKT0_SA_ifPKiSC_iPKfiiiSE_SE_iiiii
                                        ; -- End function
	.set _ZN4vllm25paged_attention_v2_kernelI14__hip_bfloat16S1_Li256ELi8ELi128ELNS_18Fp8KVCacheDataTypeE0ELb1ELi512EEEvPfS3_PT_PKS4_PKT0_SA_ifPKiSC_iPKfiiiSE_SE_iiiii.num_vgpr, 96
	.set _ZN4vllm25paged_attention_v2_kernelI14__hip_bfloat16S1_Li256ELi8ELi128ELNS_18Fp8KVCacheDataTypeE0ELb1ELi512EEEvPfS3_PT_PKS4_PKT0_SA_ifPKiSC_iPKfiiiSE_SE_iiiii.num_agpr, 0
	.set _ZN4vllm25paged_attention_v2_kernelI14__hip_bfloat16S1_Li256ELi8ELi128ELNS_18Fp8KVCacheDataTypeE0ELb1ELi512EEEvPfS3_PT_PKS4_PKT0_SA_ifPKiSC_iPKfiiiSE_SE_iiiii.numbered_sgpr, 46
	.set _ZN4vllm25paged_attention_v2_kernelI14__hip_bfloat16S1_Li256ELi8ELi128ELNS_18Fp8KVCacheDataTypeE0ELb1ELi512EEEvPfS3_PT_PKS4_PKT0_SA_ifPKiSC_iPKfiiiSE_SE_iiiii.num_named_barrier, 0
	.set _ZN4vllm25paged_attention_v2_kernelI14__hip_bfloat16S1_Li256ELi8ELi128ELNS_18Fp8KVCacheDataTypeE0ELb1ELi512EEEvPfS3_PT_PKS4_PKT0_SA_ifPKiSC_iPKfiiiSE_SE_iiiii.private_seg_size, 0
	.set _ZN4vllm25paged_attention_v2_kernelI14__hip_bfloat16S1_Li256ELi8ELi128ELNS_18Fp8KVCacheDataTypeE0ELb1ELi512EEEvPfS3_PT_PKS4_PKT0_SA_ifPKiSC_iPKfiiiSE_SE_iiiii.uses_vcc, 1
	.set _ZN4vllm25paged_attention_v2_kernelI14__hip_bfloat16S1_Li256ELi8ELi128ELNS_18Fp8KVCacheDataTypeE0ELb1ELi512EEEvPfS3_PT_PKS4_PKT0_SA_ifPKiSC_iPKfiiiSE_SE_iiiii.uses_flat_scratch, 0
	.set _ZN4vllm25paged_attention_v2_kernelI14__hip_bfloat16S1_Li256ELi8ELi128ELNS_18Fp8KVCacheDataTypeE0ELb1ELi512EEEvPfS3_PT_PKS4_PKT0_SA_ifPKiSC_iPKfiiiSE_SE_iiiii.has_dyn_sized_stack, 0
	.set _ZN4vllm25paged_attention_v2_kernelI14__hip_bfloat16S1_Li256ELi8ELi128ELNS_18Fp8KVCacheDataTypeE0ELb1ELi512EEEvPfS3_PT_PKS4_PKT0_SA_ifPKiSC_iPKfiiiSE_SE_iiiii.has_recursion, 0
	.set _ZN4vllm25paged_attention_v2_kernelI14__hip_bfloat16S1_Li256ELi8ELi128ELNS_18Fp8KVCacheDataTypeE0ELb1ELi512EEEvPfS3_PT_PKS4_PKT0_SA_ifPKiSC_iPKfiiiSE_SE_iiiii.has_indirect_call, 0
	.section	.AMDGPU.csdata,"",@progbits
; Kernel info:
; codeLenInByte = 11316
; TotalNumSgprs: 48
; NumVgprs: 96
; ScratchSize: 0
; MemoryBound: 0
; FloatMode: 240
; IeeeMode: 1
; LDSByteSize: 544 bytes/workgroup (compile time only)
; SGPRBlocks: 0
; VGPRBlocks: 11
; NumSGPRsForWavesPerEU: 48
; NumVGPRsForWavesPerEU: 96
; Occupancy: 10
; WaveLimiterHint : 1
; COMPUTE_PGM_RSRC2:SCRATCH_EN: 0
; COMPUTE_PGM_RSRC2:USER_SGPR: 6
; COMPUTE_PGM_RSRC2:TRAP_HANDLER: 0
; COMPUTE_PGM_RSRC2:TGID_X_EN: 1
; COMPUTE_PGM_RSRC2:TGID_Y_EN: 1
; COMPUTE_PGM_RSRC2:TGID_Z_EN: 1
; COMPUTE_PGM_RSRC2:TIDIG_COMP_CNT: 0
	.section	.text._ZN4vllm32paged_attention_v2_reduce_kernelI14__hip_bfloat16Li256ELi128ELi512EEEvPT_PKfS5_PKS2_PKii,"axG",@progbits,_ZN4vllm32paged_attention_v2_reduce_kernelI14__hip_bfloat16Li256ELi128ELi512EEEvPT_PKfS5_PKS2_PKii,comdat
	.protected	_ZN4vllm32paged_attention_v2_reduce_kernelI14__hip_bfloat16Li256ELi128ELi512EEEvPT_PKfS5_PKS2_PKii ; -- Begin function _ZN4vllm32paged_attention_v2_reduce_kernelI14__hip_bfloat16Li256ELi128ELi512EEEvPT_PKfS5_PKS2_PKii
	.globl	_ZN4vllm32paged_attention_v2_reduce_kernelI14__hip_bfloat16Li256ELi128ELi512EEEvPT_PKfS5_PKS2_PKii
	.p2align	8
	.type	_ZN4vllm32paged_attention_v2_reduce_kernelI14__hip_bfloat16Li256ELi128ELi512EEEvPT_PKfS5_PKS2_PKii,@function
_ZN4vllm32paged_attention_v2_reduce_kernelI14__hip_bfloat16Li256ELi128ELi512EEEvPT_PKfS5_PKS2_PKii: ; @_ZN4vllm32paged_attention_v2_reduce_kernelI14__hip_bfloat16Li256ELi128ELi512EEEvPT_PKfS5_PKS2_PKii
; %bb.0:
	s_load_dwordx4 s[8:11], s[4:5], 0x18
	s_add_u32 s14, s4, 48
	s_mov_b32 s12, s7
	s_addc_u32 s15, s5, 0
	s_ashr_i32 s13, s7, 31
	s_lshl_b64 s[0:1], s[12:13], 2
	s_waitcnt lgkmcnt(0)
	s_add_u32 s0, s10, s0
	s_addc_u32 s1, s11, s1
	s_load_dword s22, s[0:1], 0x0
	s_clause 0x2
	s_load_dwordx2 s[10:11], s[4:5], 0x0
	s_load_dword s7, s[4:5], 0x28
	s_load_dword s13, s[4:5], 0x30
	s_waitcnt lgkmcnt(0)
	s_add_i32 s0, s22, -1
	s_cmpk_gt_u32 s0, 0x1ff
	s_mov_b32 s0, -1
	s_cbranch_scc0 .LBB143_33
; %bb.1:
	s_load_dwordx2 s[2:3], s[4:5], 0x8
	s_add_i32 s0, s22, 0x1ff
	s_mul_i32 s20, s13, s12
	s_ashr_i32 s1, s0, 31
	v_mov_b32_e32 v4, 0xff7fffff
	s_lshr_b32 s1, s1, 23
	v_lshlrev_b32_e32 v3, 2, v0
	s_add_i32 s0, s0, s1
	s_mul_i32 s16, s20, s7
	s_ashr_i32 s21, s0, 9
	s_mul_i32 s18, s7, s6
	v_cmp_gt_i32_e32 vcc_lo, s21, v0
	s_ashr_i32 s17, s16, 31
	s_ashr_i32 s19, s18, 31
	s_and_saveexec_b32 s1, vcc_lo
	s_cbranch_execz .LBB143_5
; %bb.2:
	s_load_dword s0, s[14:15], 0xc
	s_load_dwordx2 s[24:25], s[4:5], 0x10
	s_lshl_b64 s[26:27], s[16:17], 2
	s_lshl_b64 s[28:29], s[18:19], 2
	v_add_nc_u32_e32 v5, 32, v3
	v_mov_b32_e32 v4, 0xff7fffff
	v_mov_b32_e32 v6, v0
	s_waitcnt lgkmcnt(0)
	s_and_b32 s4, s0, 0xffff
	s_add_u32 s0, s26, s28
	s_addc_u32 s5, s27, s29
	s_add_u32 s0, s24, s0
	s_addc_u32 s5, s25, s5
	v_add_co_u32 v1, s0, s0, v3
	v_add_co_ci_u32_e64 v2, null, s5, 0, s0
	s_mov_b32 s5, 0
	s_lshl_b32 s23, s4, 2
	.p2align	6
.LBB143_3:                              ; =>This Inner Loop Header: Depth=1
	global_load_dword v7, v[1:2], off
	v_add_nc_u32_e32 v6, s4, v6
	v_max_f32_e32 v4, v4, v4
	v_add_co_u32 v1, s0, v1, s23
	v_add_co_ci_u32_e64 v2, null, 0, v2, s0
	v_cmp_le_i32_e64 s0, s21, v6
	s_or_b32 s5, s0, s5
	s_waitcnt vmcnt(0)
	v_max_f32_e32 v8, v7, v7
	ds_write_b32 v5, v7
	v_add_nc_u32_e32 v5, s23, v5
	v_max_f32_e32 v4, v4, v8
	s_andn2_b32 exec_lo, exec_lo, s5
	s_cbranch_execnz .LBB143_3
; %bb.4:
	s_or_b32 exec_lo, exec_lo, s5
.LBB143_5:
	s_or_b32 exec_lo, exec_lo, s1
	v_mbcnt_lo_u32_b32 v1, -1, 0
	s_waitcnt lgkmcnt(0)
	s_barrier
	buffer_gl0_inv
	v_xor_b32_e32 v2, 16, v1
	v_xor_b32_e32 v5, 8, v1
	v_cmp_gt_i32_e64 s0, 32, v2
	v_cndmask_b32_e64 v2, v1, v2, s0
	v_cmp_gt_i32_e64 s0, 32, v5
	v_lshlrev_b32_e32 v6, 2, v2
	v_cndmask_b32_e64 v5, v1, v5, s0
	ds_bpermute_b32 v2, v6, v4
	v_max_f32_e32 v4, v4, v4
	v_lshlrev_b32_e32 v7, 2, v5
	v_xor_b32_e32 v5, 4, v1
	v_cmp_gt_i32_e64 s0, 32, v5
	v_cndmask_b32_e64 v5, v1, v5, s0
	v_lshlrev_b32_e32 v8, 2, v5
	v_xor_b32_e32 v5, 2, v1
	s_waitcnt lgkmcnt(0)
	v_max_f32_e32 v2, v2, v2
	v_cmp_gt_i32_e64 s0, 32, v5
	v_max_f32_e32 v2, v4, v2
	v_cndmask_b32_e64 v5, v1, v5, s0
	ds_bpermute_b32 v4, v7, v2
	s_waitcnt lgkmcnt(0)
	v_max_f32_e32 v4, v4, v4
	v_max_f32_e32 v2, v2, v4
	ds_bpermute_b32 v4, v8, v2
	s_waitcnt lgkmcnt(0)
	v_max_f32_e32 v9, v4, v4
	v_lshlrev_b32_e32 v4, 2, v5
	v_max_f32_e32 v2, v2, v9
	v_xor_b32_e32 v9, 1, v1
	ds_bpermute_b32 v5, v4, v2
	v_cmp_gt_i32_e64 s0, 32, v9
	v_cndmask_b32_e64 v1, v1, v9, s0
	v_lshrrev_b32_e32 v9, 5, v0
	v_lshlrev_b32_e32 v9, 2, v9
	s_waitcnt lgkmcnt(0)
	v_max_f32_e32 v5, v5, v5
	v_max_f32_e32 v2, v2, v5
	v_lshlrev_b32_e32 v5, 2, v1
	v_and_b32_e32 v1, 31, v0
	ds_bpermute_b32 v10, v5, v2
	v_cmp_eq_u32_e64 s0, 0, v1
	s_and_saveexec_b32 s1, s0
	s_cbranch_execz .LBB143_7
; %bb.6:
	s_waitcnt lgkmcnt(0)
	v_max_f32_e32 v10, v10, v10
	v_max_f32_e32 v2, v2, v2
	v_max_f32_e32 v2, v2, v10
	ds_write_b32 v9, v2
.LBB143_7:
	s_or_b32 exec_lo, exec_lo, s1
	v_cmp_gt_u32_e64 s1, 4, v1
	v_mov_b32_e32 v2, 0xff7fffff
	s_waitcnt lgkmcnt(0)
	v_lshlrev_b32_e32 v10, 2, v1
	s_barrier
	buffer_gl0_inv
	s_and_saveexec_b32 s4, s1
; %bb.8:
	ds_read_b32 v2, v10
; %bb.9:
	s_or_b32 exec_lo, exec_lo, s4
	s_waitcnt lgkmcnt(0)
	ds_bpermute_b32 v1, v4, v2
	v_max_f32_e32 v2, v2, v2
	v_mov_b32_e32 v11, 0
	s_lshl_b32 s5, s21, 2
	s_waitcnt lgkmcnt(0)
	v_max_f32_e32 v1, v1, v1
	v_max_f32_e32 v1, v2, v1
	ds_bpermute_b32 v2, v5, v1
	s_waitcnt lgkmcnt(0)
	v_max_f32_e32 v2, v2, v2
	v_max_f32_e32 v1, v1, v2
	ds_bpermute_b32 v12, v11, v1
	s_and_saveexec_b32 s4, vcc_lo
	s_cbranch_execz .LBB143_13
; %bb.10:
	s_load_dword s23, s[14:15], 0xc
	s_lshl_b64 s[24:25], s[16:17], 2
	s_lshl_b64 s[26:27], s[18:19], 2
	v_mov_b32_e32 v11, 0
	v_add_nc_u32_e32 v13, 32, v3
	s_waitcnt lgkmcnt(0)
	s_and_b32 s17, s23, 0xffff
	s_add_u32 s19, s24, s26
	s_addc_u32 s23, s25, s27
	s_add_u32 s2, s2, s19
	s_addc_u32 s3, s3, s23
	v_add_co_u32 v1, s2, s2, v3
	v_add_co_ci_u32_e64 v2, null, s3, 0, s2
	v_mov_b32_e32 v3, v0
	s_mov_b32 s3, 0
	s_lshl_b32 s19, s17, 2
	s_inst_prefetch 0x1
	.p2align	6
.LBB143_11:                             ; =>This Inner Loop Header: Depth=1
	global_load_dword v14, v[1:2], off
	ds_read_b32 v15, v13
	v_add_nc_u32_e32 v3, s17, v3
	s_waitcnt lgkmcnt(0)
	v_sub_f32_e32 v15, v15, v12
	v_mul_f32_e32 v16, 0x3fb8aa3b, v15
	v_cmp_ngt_f32_e32 vcc_lo, 0xc2ce8ed0, v15
	v_cmp_nlt_f32_e64 s2, 0x42b17218, v15
	v_fma_f32 v17, 0x3fb8aa3b, v15, -v16
	v_rndne_f32_e32 v18, v16
	v_fmac_f32_e32 v17, 0x32a5705f, v15
	v_sub_f32_e32 v16, v16, v18
	v_add_f32_e32 v16, v16, v17
	v_cvt_i32_f32_e32 v17, v18
	v_exp_f32_e32 v16, v16
	v_ldexp_f32 v16, v16, v17
	v_add_nc_u32_e32 v17, s5, v13
	v_add_nc_u32_e32 v13, s19, v13
	v_cndmask_b32_e32 v16, 0, v16, vcc_lo
	v_add_co_u32 v1, vcc_lo, v1, s19
	v_add_co_ci_u32_e64 v2, null, 0, v2, vcc_lo
	v_cndmask_b32_e64 v15, 0x7f800000, v16, s2
	v_cmp_le_i32_e32 vcc_lo, s21, v3
	s_or_b32 s3, vcc_lo, s3
	s_waitcnt vmcnt(0)
	v_mul_f32_e32 v16, v14, v15
	v_fmac_f32_e32 v11, v14, v15
	ds_write_b32 v17, v16
	s_andn2_b32 exec_lo, exec_lo, s3
	s_cbranch_execnz .LBB143_11
; %bb.12:
	s_inst_prefetch 0x2
	s_or_b32 exec_lo, exec_lo, s3
.LBB143_13:
	s_or_b32 exec_lo, exec_lo, s4
	ds_bpermute_b32 v1, v6, v11
	s_waitcnt lgkmcnt(0)
	s_barrier
	buffer_gl0_inv
	v_add_f32_e32 v1, v11, v1
	ds_bpermute_b32 v2, v7, v1
	s_waitcnt lgkmcnt(0)
	v_add_f32_e32 v1, v1, v2
	ds_bpermute_b32 v2, v8, v1
	s_waitcnt lgkmcnt(0)
	;; [unrolled: 3-line block ×4, first 2 shown]
	v_add_f32_e32 v1, v1, v2
	s_and_saveexec_b32 s2, s0
; %bb.14:
	ds_write_b32 v9, v1 offset:16
; %bb.15:
	s_or_b32 exec_lo, exec_lo, s2
	s_waitcnt lgkmcnt(0)
	s_barrier
	buffer_gl0_inv
	s_and_saveexec_b32 s0, s1
; %bb.16:
	ds_read_b32 v1, v10 offset:16
; %bb.17:
	s_or_b32 exec_lo, exec_lo, s0
	s_waitcnt lgkmcnt(0)
	ds_bpermute_b32 v2, v4, v1
	s_mov_b32 s4, exec_lo
	s_waitcnt lgkmcnt(0)
	v_add_f32_e32 v1, v1, v2
	ds_bpermute_b32 v2, v5, v1
	s_waitcnt lgkmcnt(0)
	v_add_f32_e32 v1, v1, v2
	v_mov_b32_e32 v2, 0
	ds_bpermute_b32 v1, v2, v1
	v_cmpx_gt_u32_e32 0x100, v0
	s_cbranch_execz .LBB143_32
; %bb.18:
	s_waitcnt lgkmcnt(0)
	v_add_f32_e32 v2, 0x358637bd, v1
	s_lshl_b32 s0, s16, 8
	s_lshl_b32 s2, s18, 8
	s_ashr_i32 s1, s0, 31
	s_ashr_i32 s3, s2, 31
	v_div_scale_f32 v1, null, v2, v2, 1.0
	v_div_scale_f32 v5, vcc_lo, 1.0, v2, 1.0
	s_cmp_gt_i32 s22, 0
	v_rcp_f32_e32 v3, v1
	s_cselect_b32 s17, -1, 0
	s_mov_b32 s16, 0
	v_fma_f32 v4, -v1, v3, 1.0
	v_fmac_f32_e32 v3, v4, v3
	v_mul_f32_e32 v4, v5, v3
	v_fma_f32 v6, -v1, v4, v5
	v_fmac_f32_e32 v4, v6, v3
	v_fma_f32 v1, -v1, v4, v5
	v_div_fmas_f32 v3, v1, v3, v4
	s_and_b32 vcc_lo, exec_lo, s17
	s_cbranch_vccnz .LBB143_20
; %bb.19:
	v_mov_b32_e32 v1, 0
	s_branch .LBB143_21
.LBB143_20:
	s_mov_b32 s16, -1
.LBB143_21:
	v_div_fixup_f32 v5, v3, v2, 1.0
	v_mov_b32_e32 v6, 0
	s_add_i32 s5, s5, 32
	s_andn2_b32 vcc_lo, exec_lo, s16
	s_max_i32 s16, s21, 1
	s_cbranch_vccnz .LBB143_25
; %bb.22:
	s_lshl_b64 s[18:19], s[0:1], 1
	s_lshl_b64 s[22:23], s[2:3], 1
	v_lshlrev_b32_e32 v2, 1, v0
	s_add_u32 s18, s18, s22
	s_addc_u32 s19, s19, s23
	v_mov_b32_e32 v1, 0
	s_add_u32 s18, s8, s18
	s_addc_u32 s19, s9, s19
	v_add_co_u32 v2, s18, s18, v2
	v_add_co_ci_u32_e64 v3, null, s19, 0, s18
	v_mov_b32_e32 v4, v1
	s_mov_b32 s18, s5
	s_mov_b32 s19, s16
	.p2align	6
.LBB143_23:                             ; =>This Inner Loop Header: Depth=1
	global_load_ushort v6, v[2:3], off
	v_mov_b32_e32 v7, s18
	v_add_co_u32 v2, vcc_lo, 0x200, v2
	v_add_co_ci_u32_e64 v3, null, 0, v3, vcc_lo
	ds_read_b32 v7, v7
	s_add_i32 s19, s19, -1
	s_add_i32 s18, s18, 4
	s_cmp_eq_u32 s19, 0
	s_waitcnt vmcnt(0)
	v_lshlrev_b32_e32 v6, 16, v6
	s_waitcnt lgkmcnt(0)
	v_mul_f32_e32 v6, v7, v6
	v_fmac_f32_e32 v4, v5, v6
	s_cbranch_scc0 .LBB143_23
; %bb.24:
	v_bfe_u32 v2, v4, 16, 1
	v_or_b32_e32 v3, 0x400000, v4
	v_cmp_u_f32_e32 vcc_lo, v4, v4
	v_add3_u32 v2, v2, v4, 0x7fff
	v_cndmask_b32_e32 v2, v2, v3, vcc_lo
	v_lshrrev_b32_e32 v6, 16, v2
.LBB143_25:
	s_lshl_b32 s18, s20, 8
	v_lshlrev_b64 v[3:4], 1, v[0:1]
	s_ashr_i32 s19, s18, 31
	s_lshl_b64 s[18:19], s[18:19], 1
	s_add_u32 s20, s10, s18
	s_addc_u32 s21, s11, s19
	s_lshl_b32 s18, s6, 8
	s_ashr_i32 s19, s18, 31
	s_lshl_b64 s[18:19], s[18:19], 1
	s_add_u32 s18, s20, s18
	s_addc_u32 s19, s21, s19
	v_add_co_u32 v1, vcc_lo, s18, v3
	v_add_co_ci_u32_e64 v2, null, s19, v4, vcc_lo
	v_cmp_gt_u32_e32 vcc_lo, 0x80, v0
	global_store_short v[1:2], v6, off
	s_and_b32 exec_lo, exec_lo, vcc_lo
	s_cbranch_execz .LBB143_32
; %bb.26:
	s_andn2_b32 vcc_lo, exec_lo, s17
	s_cbranch_vccnz .LBB143_30
; %bb.27:
	s_lshl_b64 s[0:1], s[0:1], 1
	s_lshl_b64 s[2:3], s[2:3], 1
	v_mov_b32_e32 v6, 0
	s_add_u32 s0, s0, s2
	s_addc_u32 s1, s1, s3
	s_add_u32 s0, s8, s0
	s_addc_u32 s1, s9, s1
	v_add_co_u32 v3, vcc_lo, s0, v3
	v_add_co_ci_u32_e64 v4, null, s1, v4, vcc_lo
	v_add_co_u32 v3, vcc_lo, 0x100, v3
	v_add_co_ci_u32_e64 v4, null, 0, v4, vcc_lo
	.p2align	6
.LBB143_28:                             ; =>This Inner Loop Header: Depth=1
	global_load_ushort v7, v[3:4], off
	v_mov_b32_e32 v8, s5
	v_add_co_u32 v3, vcc_lo, 0x200, v3
	v_add_co_ci_u32_e64 v4, null, 0, v4, vcc_lo
	ds_read_b32 v8, v8
	s_add_i32 s16, s16, -1
	s_add_i32 s5, s5, 4
	s_cmp_lg_u32 s16, 0
	s_waitcnt vmcnt(0)
	v_lshlrev_b32_e32 v7, 16, v7
	s_waitcnt lgkmcnt(0)
	v_mul_f32_e32 v7, v8, v7
	v_fmac_f32_e32 v6, v5, v7
	s_cbranch_scc1 .LBB143_28
; %bb.29:
	v_bfe_u32 v3, v6, 16, 1
	v_or_b32_e32 v4, 0x400000, v6
	v_cmp_u_f32_e32 vcc_lo, v6, v6
	v_add3_u32 v3, v3, v6, 0x7fff
	v_cndmask_b32_e32 v3, v3, v4, vcc_lo
	v_lshrrev_b32_e32 v3, 16, v3
	s_branch .LBB143_31
.LBB143_30:
	v_mov_b32_e32 v3, 0
.LBB143_31:
	global_store_short v[1:2], v3, off offset:256
.LBB143_32:
	s_or_b32 exec_lo, exec_lo, s4
	s_mov_b32 s0, 0
.LBB143_33:
	s_and_b32 vcc_lo, exec_lo, s0
	s_cbranch_vccz .LBB143_42
; %bb.34:
	s_mov_b32 s0, exec_lo
	v_cmpx_gt_u32_e32 0x100, v0
	s_cbranch_execz .LBB143_42
; %bb.35:
	s_load_dword s0, s[14:15], 0xc
	s_mul_i32 s13, s13, s12
	s_mul_i32 s1, s7, s6
	;; [unrolled: 1-line block ×3, first 2 shown]
	s_lshl_b32 s2, s6, 8
	s_lshl_b32 s12, s13, 8
	;; [unrolled: 1-line block ×4, first 2 shown]
	v_cmp_gt_u32_e32 vcc_lo, 0xfd, v0
	s_ashr_i32 s3, s2, 31
	s_ashr_i32 s13, s12, 31
	;; [unrolled: 1-line block ×4, first 2 shown]
	s_waitcnt lgkmcnt(0)
	s_and_b32 s1, s0, 0xffff
	s_cmp_eq_u32 s1, 1
	s_cselect_b32 s0, -1, 0
	s_and_b32 s15, vcc_lo, s0
	s_mov_b32 s0, -1
	s_and_saveexec_b32 s14, s15
	s_cbranch_execz .LBB143_39
; %bb.36:
	s_lshl_b64 s[16:17], s[6:7], 1
	s_lshl_b64 s[18:19], s[4:5], 1
	v_lshlrev_b32_e32 v1, 1, v0
	s_add_u32 s0, s16, s18
	s_addc_u32 s15, s17, s19
	s_add_u32 s0, s8, s0
	s_addc_u32 s15, s9, s15
	s_lshl_b64 s[16:17], s[12:13], 1
	s_lshl_b64 s[18:19], s[2:3], 1
	v_add_co_u32 v2, s0, s0, v1
	v_add_co_ci_u32_e64 v3, null, s15, 0, s0
	s_add_u32 s0, s16, s18
	v_sub_nc_u32_e32 v5, 0x100, v0
	s_addc_u32 s15, s17, s19
	s_add_u32 s0, s10, s0
	s_addc_u32 s15, s11, s15
	v_add_co_u32 v4, s0, s0, v1
	v_and_b32_e32 v6, 0x1fc, v5
	v_add_co_ci_u32_e64 v7, null, s15, 0, s0
	v_add_co_u32 v1, vcc_lo, v2, 4
	v_add_co_ci_u32_e64 v2, null, 0, v3, vcc_lo
	v_add_co_u32 v3, vcc_lo, v4, 4
	v_add_co_ci_u32_e64 v4, null, 0, v7, vcc_lo
	v_mov_b32_e32 v7, v6
	s_mov_b32 s15, 0
	.p2align	6
.LBB143_37:                             ; =>This Inner Loop Header: Depth=1
	global_load_dwordx2 v[8:9], v[1:2], off offset:-4
	v_add_nc_u32_e32 v7, -4, v7
	v_add_co_u32 v1, vcc_lo, v1, 8
	v_add_co_ci_u32_e64 v2, null, 0, v2, vcc_lo
	v_cmp_eq_u32_e32 vcc_lo, 0, v7
	s_or_b32 s15, vcc_lo, s15
	s_waitcnt vmcnt(0)
	global_store_dwordx2 v[3:4], v[8:9], off offset:-4
	v_add_co_u32 v3, s0, v3, 8
	v_add_co_ci_u32_e64 v4, null, 0, v4, s0
	s_andn2_b32 exec_lo, exec_lo, s15
	s_cbranch_execnz .LBB143_37
; %bb.38:
	s_or_b32 exec_lo, exec_lo, s15
	v_cmp_ne_u32_e32 vcc_lo, v5, v6
	v_add_nc_u32_e32 v0, v0, v6
	s_orn2_b32 s0, vcc_lo, exec_lo
.LBB143_39:
	s_or_b32 exec_lo, exec_lo, s14
	s_and_b32 exec_lo, exec_lo, s0
	s_cbranch_execz .LBB143_42
; %bb.40:
	s_lshl_b64 s[12:13], s[12:13], 1
	v_lshlrev_b32_e32 v1, 1, v0
	s_add_u32 s0, s10, s12
	s_addc_u32 s10, s11, s13
	s_lshl_b64 s[2:3], s[2:3], 1
	v_mov_b32_e32 v2, 0
	s_add_u32 s2, s0, s2
	s_addc_u32 s3, s10, s3
	s_lshl_b64 s[6:7], s[6:7], 1
	s_add_u32 s0, s8, s6
	s_addc_u32 s6, s9, s7
	s_lshl_b64 s[4:5], s[4:5], 1
	s_add_u32 s4, s0, s4
	s_addc_u32 s5, s6, s5
	s_mov_b32 s6, 0
	s_lshl_b32 s7, s1, 1
	.p2align	6
.LBB143_41:                             ; =>This Inner Loop Header: Depth=1
	v_add_co_u32 v3, vcc_lo, s4, v1
	v_add_co_ci_u32_e64 v4, null, s5, v2, vcc_lo
	v_add_nc_u32_e32 v0, s1, v0
	global_load_ushort v5, v[3:4], off
	v_add_co_u32 v3, vcc_lo, s2, v1
	v_add_co_ci_u32_e64 v4, null, s3, v2, vcc_lo
	v_cmp_lt_u32_e32 vcc_lo, 0xff, v0
	v_add_co_u32 v1, s0, v1, s7
	v_add_co_ci_u32_e64 v2, null, 0, v2, s0
	s_or_b32 s6, vcc_lo, s6
	s_waitcnt vmcnt(0)
	global_store_short v[3:4], v5, off
	s_andn2_b32 exec_lo, exec_lo, s6
	s_cbranch_execnz .LBB143_41
.LBB143_42:
	s_endpgm
	.section	.rodata,"a",@progbits
	.p2align	6, 0x0
	.amdhsa_kernel _ZN4vllm32paged_attention_v2_reduce_kernelI14__hip_bfloat16Li256ELi128ELi512EEEvPT_PKfS5_PKS2_PKii
		.amdhsa_group_segment_fixed_size 32
		.amdhsa_private_segment_fixed_size 0
		.amdhsa_kernarg_size 304
		.amdhsa_user_sgpr_count 6
		.amdhsa_user_sgpr_private_segment_buffer 1
		.amdhsa_user_sgpr_dispatch_ptr 0
		.amdhsa_user_sgpr_queue_ptr 0
		.amdhsa_user_sgpr_kernarg_segment_ptr 1
		.amdhsa_user_sgpr_dispatch_id 0
		.amdhsa_user_sgpr_flat_scratch_init 0
		.amdhsa_user_sgpr_private_segment_size 0
		.amdhsa_wavefront_size32 1
		.amdhsa_uses_dynamic_stack 0
		.amdhsa_system_sgpr_private_segment_wavefront_offset 0
		.amdhsa_system_sgpr_workgroup_id_x 1
		.amdhsa_system_sgpr_workgroup_id_y 1
		.amdhsa_system_sgpr_workgroup_id_z 0
		.amdhsa_system_sgpr_workgroup_info 0
		.amdhsa_system_vgpr_workitem_id 0
		.amdhsa_next_free_vgpr 19
		.amdhsa_next_free_sgpr 30
		.amdhsa_reserve_vcc 1
		.amdhsa_reserve_flat_scratch 0
		.amdhsa_float_round_mode_32 0
		.amdhsa_float_round_mode_16_64 0
		.amdhsa_float_denorm_mode_32 3
		.amdhsa_float_denorm_mode_16_64 3
		.amdhsa_dx10_clamp 1
		.amdhsa_ieee_mode 1
		.amdhsa_fp16_overflow 0
		.amdhsa_workgroup_processor_mode 1
		.amdhsa_memory_ordered 1
		.amdhsa_forward_progress 1
		.amdhsa_shared_vgpr_count 0
		.amdhsa_exception_fp_ieee_invalid_op 0
		.amdhsa_exception_fp_denorm_src 0
		.amdhsa_exception_fp_ieee_div_zero 0
		.amdhsa_exception_fp_ieee_overflow 0
		.amdhsa_exception_fp_ieee_underflow 0
		.amdhsa_exception_fp_ieee_inexact 0
		.amdhsa_exception_int_div_zero 0
	.end_amdhsa_kernel
	.section	.text._ZN4vllm32paged_attention_v2_reduce_kernelI14__hip_bfloat16Li256ELi128ELi512EEEvPT_PKfS5_PKS2_PKii,"axG",@progbits,_ZN4vllm32paged_attention_v2_reduce_kernelI14__hip_bfloat16Li256ELi128ELi512EEEvPT_PKfS5_PKS2_PKii,comdat
.Lfunc_end143:
	.size	_ZN4vllm32paged_attention_v2_reduce_kernelI14__hip_bfloat16Li256ELi128ELi512EEEvPT_PKfS5_PKS2_PKii, .Lfunc_end143-_ZN4vllm32paged_attention_v2_reduce_kernelI14__hip_bfloat16Li256ELi128ELi512EEEvPT_PKfS5_PKS2_PKii
                                        ; -- End function
	.set _ZN4vllm32paged_attention_v2_reduce_kernelI14__hip_bfloat16Li256ELi128ELi512EEEvPT_PKfS5_PKS2_PKii.num_vgpr, 19
	.set _ZN4vllm32paged_attention_v2_reduce_kernelI14__hip_bfloat16Li256ELi128ELi512EEEvPT_PKfS5_PKS2_PKii.num_agpr, 0
	.set _ZN4vllm32paged_attention_v2_reduce_kernelI14__hip_bfloat16Li256ELi128ELi512EEEvPT_PKfS5_PKS2_PKii.numbered_sgpr, 30
	.set _ZN4vllm32paged_attention_v2_reduce_kernelI14__hip_bfloat16Li256ELi128ELi512EEEvPT_PKfS5_PKS2_PKii.num_named_barrier, 0
	.set _ZN4vllm32paged_attention_v2_reduce_kernelI14__hip_bfloat16Li256ELi128ELi512EEEvPT_PKfS5_PKS2_PKii.private_seg_size, 0
	.set _ZN4vllm32paged_attention_v2_reduce_kernelI14__hip_bfloat16Li256ELi128ELi512EEEvPT_PKfS5_PKS2_PKii.uses_vcc, 1
	.set _ZN4vllm32paged_attention_v2_reduce_kernelI14__hip_bfloat16Li256ELi128ELi512EEEvPT_PKfS5_PKS2_PKii.uses_flat_scratch, 0
	.set _ZN4vllm32paged_attention_v2_reduce_kernelI14__hip_bfloat16Li256ELi128ELi512EEEvPT_PKfS5_PKS2_PKii.has_dyn_sized_stack, 0
	.set _ZN4vllm32paged_attention_v2_reduce_kernelI14__hip_bfloat16Li256ELi128ELi512EEEvPT_PKfS5_PKS2_PKii.has_recursion, 0
	.set _ZN4vllm32paged_attention_v2_reduce_kernelI14__hip_bfloat16Li256ELi128ELi512EEEvPT_PKfS5_PKS2_PKii.has_indirect_call, 0
	.section	.AMDGPU.csdata,"",@progbits
; Kernel info:
; codeLenInByte = 2656
; TotalNumSgprs: 32
; NumVgprs: 19
; ScratchSize: 0
; MemoryBound: 0
; FloatMode: 240
; IeeeMode: 1
; LDSByteSize: 32 bytes/workgroup (compile time only)
; SGPRBlocks: 0
; VGPRBlocks: 2
; NumSGPRsForWavesPerEU: 32
; NumVGPRsForWavesPerEU: 19
; Occupancy: 16
; WaveLimiterHint : 0
; COMPUTE_PGM_RSRC2:SCRATCH_EN: 0
; COMPUTE_PGM_RSRC2:USER_SGPR: 6
; COMPUTE_PGM_RSRC2:TRAP_HANDLER: 0
; COMPUTE_PGM_RSRC2:TGID_X_EN: 1
; COMPUTE_PGM_RSRC2:TGID_Y_EN: 1
; COMPUTE_PGM_RSRC2:TGID_Z_EN: 0
; COMPUTE_PGM_RSRC2:TIDIG_COMP_CNT: 0
	.section	.text._ZN4vllm25paged_attention_v2_kernelI14__hip_bfloat16S1_Li32ELi8ELi128ELNS_18Fp8KVCacheDataTypeE0ELb0ELi512EEEvPfS3_PT_PKS4_PKT0_SA_ifPKiSC_iPKfiiiSE_SE_iiiii,"axG",@progbits,_ZN4vllm25paged_attention_v2_kernelI14__hip_bfloat16S1_Li32ELi8ELi128ELNS_18Fp8KVCacheDataTypeE0ELb0ELi512EEEvPfS3_PT_PKS4_PKT0_SA_ifPKiSC_iPKfiiiSE_SE_iiiii,comdat
	.protected	_ZN4vllm25paged_attention_v2_kernelI14__hip_bfloat16S1_Li32ELi8ELi128ELNS_18Fp8KVCacheDataTypeE0ELb0ELi512EEEvPfS3_PT_PKS4_PKT0_SA_ifPKiSC_iPKfiiiSE_SE_iiiii ; -- Begin function _ZN4vllm25paged_attention_v2_kernelI14__hip_bfloat16S1_Li32ELi8ELi128ELNS_18Fp8KVCacheDataTypeE0ELb0ELi512EEEvPfS3_PT_PKS4_PKT0_SA_ifPKiSC_iPKfiiiSE_SE_iiiii
	.globl	_ZN4vllm25paged_attention_v2_kernelI14__hip_bfloat16S1_Li32ELi8ELi128ELNS_18Fp8KVCacheDataTypeE0ELb0ELi512EEEvPfS3_PT_PKS4_PKT0_SA_ifPKiSC_iPKfiiiSE_SE_iiiii
	.p2align	8
	.type	_ZN4vllm25paged_attention_v2_kernelI14__hip_bfloat16S1_Li32ELi8ELi128ELNS_18Fp8KVCacheDataTypeE0ELb0ELi512EEEvPfS3_PT_PKS4_PKT0_SA_ifPKiSC_iPKfiiiSE_SE_iiiii,@function
_ZN4vllm25paged_attention_v2_kernelI14__hip_bfloat16S1_Li32ELi8ELi128ELNS_18Fp8KVCacheDataTypeE0ELb0ELi512EEEvPfS3_PT_PKS4_PKT0_SA_ifPKiSC_iPKfiiiSE_SE_iiiii: ; @_ZN4vllm25paged_attention_v2_kernelI14__hip_bfloat16S1_Li32ELi8ELi128ELNS_18Fp8KVCacheDataTypeE0ELb0ELi512EEEvPfS3_PT_PKS4_PKT0_SA_ifPKiSC_iPKfiiiSE_SE_iiiii
; %bb.0:
	s_load_dwordx2 s[0:1], s[4:5], 0x40
	s_mov_b32 s22, s7
	s_ashr_i32 s23, s7, 31
	s_lshl_b64 s[2:3], s[22:23], 2
	s_waitcnt lgkmcnt(0)
	s_add_u32 s0, s0, s2
	s_addc_u32 s1, s1, s3
	s_lshl_b32 s33, s8, 9
	s_load_dword s23, s[0:1], 0x0
	s_waitcnt lgkmcnt(0)
	s_cmp_ge_i32 s33, s23
	s_cbranch_scc1 .LBB144_46
; %bb.1:
	s_clause 0x1
	s_load_dword s9, s[4:5], 0x90
	s_load_dwordx2 s[30:31], s[4:5], 0x30
	s_mov_b32 s34, 0
	s_waitcnt lgkmcnt(0)
	s_abs_i32 s3, s9
	s_abs_i32 s0, s30
	v_cvt_f32_u32_e32 v1, s0
	s_sub_i32 s2, 0, s0
	v_rcp_iflag_f32_e32 v1, v1
	v_mul_f32_e32 v1, 0x4f7ffffe, v1
	v_cvt_u32_f32_e32 v1, v1
	v_readfirstlane_b32 s1, v1
	s_mul_i32 s2, s2, s1
	s_mul_hi_u32 s2, s1, s2
	s_add_i32 s1, s1, s2
	s_xor_b32 s2, s9, s30
	s_mul_hi_u32 s1, s3, s1
	s_ashr_i32 s2, s2, 31
	s_mul_i32 s7, s1, s0
	s_sub_i32 s3, s3, s7
	s_add_i32 s7, s1, 1
	s_sub_i32 s10, s3, s0
	s_cmp_ge_u32 s3, s0
	s_cselect_b32 s1, s7, s1
	s_cselect_b32 s3, s10, s3
	s_add_i32 s7, s1, 1
	s_cmp_ge_u32 s3, s0
	s_cselect_b32 s0, s7, s1
	s_abs_i32 s16, s6
	s_xor_b32 s0, s0, s2
	s_sub_i32 s10, s0, s2
	s_load_dwordx2 s[0:1], s[4:5], 0x50
	s_abs_i32 s2, s10
	v_cvt_f32_u32_e32 v1, s2
	s_sub_i32 s7, 0, s2
	v_rcp_iflag_f32_e32 v1, v1
	v_mul_f32_e32 v1, 0x4f7ffffe, v1
	v_cvt_u32_f32_e32 v1, v1
	v_readfirstlane_b32 s3, v1
	s_mul_i32 s7, s7, s3
	s_mul_hi_u32 s7, s3, s7
	s_add_i32 s3, s3, s7
	s_waitcnt lgkmcnt(0)
	s_cmp_eq_u64 s[0:1], 0
	s_mul_hi_u32 s3, s16, s3
	s_cbranch_scc1 .LBB144_3
; %bb.2:
	s_ashr_i32 s7, s6, 31
	s_lshl_b64 s[12:13], s[6:7], 2
	s_add_u32 s0, s0, s12
	s_addc_u32 s1, s1, s13
	s_load_dword s34, s[0:1], 0x0
.LBB144_3:
	s_load_dwordx4 s[12:15], s[4:5], 0x58
	v_and_b32_e32 v1, 3, v0
	v_lshlrev_b32_e32 v2, 2, v0
	s_ashr_i32 s0, s6, 31
	s_ashr_i32 s1, s10, 31
	s_lshl_b32 s10, s6, 5
	s_mov_b32 s7, exec_lo
	v_cmpx_gt_u32_e32 16, v0
	s_cbranch_execz .LBB144_5
; %bb.4:
	s_load_dwordx2 s[18:19], s[4:5], 0x18
	s_waitcnt lgkmcnt(0)
	s_mul_i32 s20, s12, s22
	v_and_b32_e32 v4, 0x3fc, v0
	s_ashr_i32 s21, s20, 31
	s_lshl_b64 s[20:21], s[20:21], 1
	v_lshl_add_u32 v4, v1, 4, v4
	s_add_u32 s12, s18, s20
	s_addc_u32 s15, s19, s21
	s_ashr_i32 s11, s10, 31
	s_lshl_b64 s[18:19], s[10:11], 1
	s_add_u32 s18, s12, s18
	s_addc_u32 s19, s15, s19
	global_load_dword v3, v2, s[18:19]
	s_waitcnt vmcnt(0)
	ds_write_b32 v4, v3
.LBB144_5:
	s_or_b32 exec_lo, exec_lo, s7
	s_add_i32 s7, s23, 7
	s_load_dwordx2 s[24:25], s[4:5], 0x38
	s_waitcnt lgkmcnt(0)
	s_load_dword s15, s[4:5], 0x48
	s_ashr_i32 s11, s7, 31
	s_lshl_b32 s30, s8, 6
	s_lshr_b32 s11, s11, 29
	s_xor_b32 s0, s0, s1
	s_add_i32 s7, s7, s11
	s_add_i32 s1, s30, 64
	s_ashr_i32 s12, s7, 3
	s_mul_i32 s7, s3, s2
	s_min_i32 s11, s1, s12
	s_sub_i32 s1, s16, s7
	s_add_i32 s7, s3, 1
	s_sub_i32 s16, s1, s2
	s_cmp_ge_u32 s1, s2
	v_lshrrev_b32_e32 v16, 5, v0
	s_cselect_b32 s3, s7, s3
	s_cselect_b32 s1, s16, s1
	s_add_i32 s7, s3, 1
	s_cmp_ge_u32 s1, s2
	v_or_b32_e32 v13, s30, v16
	s_cselect_b32 s1, s7, s3
	v_mbcnt_lo_u32_b32 v3, -1, 0
	s_xor_b32 s1, s1, s0
	s_waitcnt lgkmcnt(0)
	s_mul_i32 s26, s15, s22
	s_sub_i32 s1, s1, s0
	v_cmp_gt_i32_e64 s0, s11, v13
	s_ashr_i32 s27, s26, 31
	s_mov_b32 s2, exec_lo
	s_barrier
	buffer_gl0_inv
                                        ; implicit-def: $vgpr4
                                        ; implicit-def: $vgpr5
	v_cmpx_le_i32_e64 s11, v13
	s_xor_b32 s2, exec_lo, s2
; %bb.6:
	v_mov_b32_e32 v4, 0
	v_mbcnt_lo_u32_b32 v3, -1, 0
	v_mov_b32_e32 v5, 32
                                        ; implicit-def: $vgpr2
                                        ; implicit-def: $vgpr1
; %bb.7:
	s_or_saveexec_b32 s35, s2
	s_clause 0x3
	s_load_dwordx4 s[16:19], s[4:5], 0x0
	s_load_dwordx2 s[20:21], s[4:5], 0x10
	s_load_dwordx2 s[28:29], s[4:5], 0x28
	s_load_dword s7, s[4:5], 0x98
	v_mov_b32_e32 v15, 0xff7fffff
	v_ashrrev_i32_e32 v14, 31, v13
	s_mul_i32 s14, s1, s14
	s_xor_b32 exec_lo, exec_lo, s35
	s_cbranch_execz .LBB144_13
; %bb.8:
	s_load_dwordx2 s[2:3], s[4:5], 0x20
	v_lshlrev_b32_e32 v4, 4, v1
	v_bfe_u32 v15, v0, 2, 3
	s_ashr_i32 s15, s14, 31
	v_and_b32_e32 v2, 12, v2
	s_lshl_b64 s[4:5], s[14:15], 1
	ds_read_b128 v[17:20], v4
	v_lshlrev_b32_e32 v6, 4, v15
	v_xor_b32_e32 v5, 2, v3
	v_xor_b32_e32 v21, 1, v3
	v_mov_b32_e32 v4, 0
	v_mov_b32_e32 v24, v13
	s_mov_b32 s15, s13
	s_waitcnt lgkmcnt(0)
	s_add_u32 s1, s2, s4
	s_addc_u32 s2, s3, s5
	v_add_co_u32 v22, s1, s1, v6
	v_add_co_ci_u32_e64 v23, null, s2, 0, s1
	v_lshlrev_b32_e32 v6, 16, v17
	v_and_b32_e32 v7, 0xffff0000, v17
	v_add_co_u32 v17, vcc_lo, v22, v2
	v_lshlrev_b32_e32 v8, 16, v18
	v_and_b32_e32 v9, 0xffff0000, v18
	v_add_co_ci_u32_e64 v18, null, 0, v23, vcc_lo
	v_cmp_gt_i32_e32 vcc_lo, 32, v5
	v_lshlrev_b32_e32 v10, 16, v19
	v_and_b32_e32 v11, 0xffff0000, v19
	v_lshlrev_b32_e32 v12, 16, v20
	v_and_b32_e32 v19, 0xffff0000, v20
	v_cndmask_b32_e32 v2, v3, v5, vcc_lo
	v_cmp_gt_i32_e32 vcc_lo, 32, v21
	s_lshl_b64 s[2:3], s[26:27], 2
	v_lshlrev_b32_e32 v22, 3, v16
	s_sub_i32 s4, 1, s23
	v_lshlrev_b32_e32 v20, 2, v2
	v_lshlrev_b32_e32 v2, 2, v15
	v_cndmask_b32_e32 v21, v3, v21, vcc_lo
	v_cmp_eq_u32_e32 vcc_lo, 0, v1
	s_add_u32 s2, s24, s2
	s_addc_u32 s3, s25, s3
	v_lshl_or_b32 v23, v16, 5, v2
	v_lshlrev_b64 v[1:2], 2, v[13:14]
	v_mov_b32_e32 v5, 32
	v_lshlrev_b32_e32 v21, 2, v21
	v_cmp_neq_f32_e64 s1, s34, 0
	v_add3_u32 v22, s33, v22, v15
	v_add_nc_u32_e32 v23, 0x60, v23
	v_add_co_u32 v1, s2, s2, v1
	v_add_co_ci_u32_e64 v2, null, s3, v2, s2
	v_mov_b32_e32 v15, 0xff7fffff
	s_mov_b32 s5, 0
	s_branch .LBB144_10
.LBB144_9:                              ;   in Loop: Header=BB144_10 Depth=1
	s_or_b32 exec_lo, exec_lo, s3
	v_add_nc_u32_e32 v24, 4, v24
	v_add_co_u32 v1, s3, v1, 16
	v_add_nc_u32_e32 v22, 32, v22
	v_add_nc_u32_e32 v23, 0x80, v23
	v_cmp_le_i32_e64 s2, s11, v24
	v_add_co_ci_u32_e64 v2, null, 0, v2, s3
	s_or_b32 s5, s2, s5
	s_andn2_b32 exec_lo, exec_lo, s5
	s_cbranch_execz .LBB144_12
.LBB144_10:                             ; =>This Inner Loop Header: Depth=1
	global_load_dword v25, v[1:2], off
	s_waitcnt vmcnt(0) lgkmcnt(0)
	v_mad_i64_i32 v[25:26], null, v25, s15, 0
	v_lshlrev_b64 v[25:26], 1, v[25:26]
	v_add_co_u32 v25, s2, v17, v25
	v_add_co_ci_u32_e64 v26, null, v18, v26, s2
	s_clause 0x3
	global_load_dword v27, v[25:26], off offset:128
	global_load_dword v28, v[25:26], off
	global_load_dword v29, v[25:26], off offset:256
	global_load_dword v25, v[25:26], off offset:384
	s_waitcnt vmcnt(3)
	v_lshlrev_b32_e32 v26, 16, v27
	v_and_b32_e32 v27, 0xffff0000, v27
	s_waitcnt vmcnt(2)
	v_lshlrev_b32_e32 v30, 16, v28
	v_and_b32_e32 v28, 0xffff0000, v28
	s_waitcnt vmcnt(1)
	v_lshlrev_b32_e32 v31, 16, v29
	v_mul_f32_e32 v26, v8, v26
	v_mul_f32_e32 v27, v9, v27
	v_and_b32_e32 v29, 0xffff0000, v29
	v_fmac_f32_e32 v26, v6, v30
	v_fmac_f32_e32 v27, v7, v28
	s_waitcnt vmcnt(0)
	v_lshlrev_b32_e32 v28, 16, v25
	v_and_b32_e32 v25, 0xffff0000, v25
	v_fmac_f32_e32 v26, v10, v31
	v_fmac_f32_e32 v27, v11, v29
	;; [unrolled: 1-line block ×4, first 2 shown]
	v_add_f32_e32 v25, v26, v27
	ds_bpermute_b32 v26, v20, v25
	s_waitcnt lgkmcnt(0)
	v_add_f32_e32 v25, v25, v26
	ds_bpermute_b32 v26, v21, v25
	s_and_saveexec_b32 s3, vcc_lo
	s_cbranch_execz .LBB144_9
; %bb.11:                               ;   in Loop: Header=BB144_10 Depth=1
	v_add_nc_u32_e32 v27, s4, v22
	s_waitcnt lgkmcnt(0)
	v_add_f32_e32 v25, v25, v26
	v_cmp_gt_i32_e64 s2, s23, v22
	v_cvt_f32_i32_e32 v27, v27
	v_mul_f32_e32 v27, s34, v27
	v_cndmask_b32_e64 v26, 0, v27, s1
	v_max_f32_e32 v27, v15, v15
	v_fmac_f32_e32 v26, s31, v25
	v_max_f32_e32 v25, v27, v26
	v_cndmask_b32_e64 v26, 0, v26, s2
	v_cndmask_b32_e64 v15, v15, v25, s2
	ds_write_b32 v23, v26
	s_branch .LBB144_9
.LBB144_12:
	s_or_b32 exec_lo, exec_lo, s5
.LBB144_13:
	s_or_b32 exec_lo, exec_lo, s35
	v_xor_b32_e32 v1, 16, v3
	v_xor_b32_e32 v6, 8, v3
	v_max_f32_e32 v7, v15, v15
	v_xor_b32_e32 v8, 4, v3
	v_and_b32_e32 v17, 31, v0
	v_cmp_lt_i32_e32 vcc_lo, v1, v5
	v_cndmask_b32_e32 v1, v3, v1, vcc_lo
	v_cmp_lt_i32_e32 vcc_lo, v6, v5
	v_lshlrev_b32_e32 v2, 2, v1
	v_cndmask_b32_e32 v6, v3, v6, vcc_lo
	v_cmp_lt_i32_e32 vcc_lo, v8, v5
	ds_bpermute_b32 v1, v2, v15
	v_lshlrev_b32_e32 v6, 2, v6
	v_cndmask_b32_e32 v8, v3, v8, vcc_lo
	v_cmp_eq_u32_e32 vcc_lo, 0, v17
	v_lshlrev_b32_e32 v9, 2, v8
	s_waitcnt lgkmcnt(0)
	v_max_f32_e32 v1, v1, v1
	v_max_f32_e32 v1, v7, v1
	ds_bpermute_b32 v7, v6, v1
	s_waitcnt lgkmcnt(0)
	v_max_f32_e32 v7, v7, v7
	v_max_f32_e32 v1, v1, v7
	v_lshlrev_b32_e32 v7, 2, v16
	ds_bpermute_b32 v8, v9, v1
	s_and_saveexec_b32 s1, vcc_lo
	s_cbranch_execz .LBB144_15
; %bb.14:
	s_waitcnt lgkmcnt(0)
	v_max_f32_e32 v8, v8, v8
	v_max_f32_e32 v1, v1, v1
	;; [unrolled: 1-line block ×3, first 2 shown]
	ds_write_b32 v7, v1 offset:64
.LBB144_15:
	s_or_b32 exec_lo, exec_lo, s1
	v_cmp_gt_u32_e64 s1, 4, v17
	v_mov_b32_e32 v1, 0xff7fffff
	s_waitcnt lgkmcnt(0)
	v_lshlrev_b32_e32 v8, 2, v17
	s_barrier
	buffer_gl0_inv
	s_and_saveexec_b32 s2, s1
; %bb.16:
	ds_read_b32 v1, v8 offset:64
; %bb.17:
	s_or_b32 exec_lo, exec_lo, s2
	v_xor_b32_e32 v10, 2, v3
	v_xor_b32_e32 v12, 1, v3
	v_lshlrev_b32_e32 v4, 2, v4
	v_cmp_lt_i32_e64 s2, v10, v5
	v_cndmask_b32_e64 v10, v3, v10, s2
	v_cmp_lt_i32_e64 s2, v12, v5
	v_lshlrev_b32_e32 v10, 2, v10
	v_cndmask_b32_e64 v5, v3, v12, s2
	s_sub_i32 s2, s11, s30
	s_lshl_b32 s2, s2, 3
	s_waitcnt lgkmcnt(0)
	ds_bpermute_b32 v11, v10, v1
	v_max_f32_e32 v1, v1, v1
	v_lshlrev_b32_e32 v5, 2, v5
	s_add_i32 s2, s2, s33
	s_min_i32 s2, s2, s23
	s_sub_i32 s4, s2, s33
	v_cmp_gt_i32_e64 s2, s4, v0
	s_waitcnt lgkmcnt(0)
	v_max_f32_e32 v11, v11, v11
	v_max_f32_e32 v1, v1, v11
	ds_bpermute_b32 v11, v5, v1
	s_waitcnt lgkmcnt(0)
	v_max_f32_e32 v11, v11, v11
	v_max_f32_e32 v1, v1, v11
	v_mov_b32_e32 v11, 0
	ds_bpermute_b32 v1, v4, v1
	v_lshl_add_u32 v4, v0, 2, 0x60
	s_and_saveexec_b32 s5, s2
	s_cbranch_execz .LBB144_21
; %bb.18:
	v_lshl_add_u32 v12, v0, 2, 0x60
	v_mov_b32_e32 v11, 0
	v_mov_b32_e32 v15, v0
	s_mov_b32 s15, 0
	.p2align	6
.LBB144_19:                             ; =>This Inner Loop Header: Depth=1
	ds_read_b32 v18, v12
	v_add_nc_u32_e32 v15, 0x80, v15
	v_cmp_le_i32_e64 s3, s4, v15
	s_or_b32 s15, s3, s15
	s_waitcnt lgkmcnt(0)
	v_sub_f32_e32 v18, v18, v1
	v_mul_f32_e32 v18, 0x3fb8aa3b, v18
	v_exp_f32_e32 v18, v18
	ds_write_b32 v12, v18
	v_add_f32_e32 v11, v11, v18
	v_add_nc_u32_e32 v12, 0x200, v12
	s_andn2_b32 exec_lo, exec_lo, s15
	s_cbranch_execnz .LBB144_19
; %bb.20:
	s_or_b32 exec_lo, exec_lo, s15
.LBB144_21:
	s_or_b32 exec_lo, exec_lo, s5
	ds_bpermute_b32 v2, v2, v11
	s_waitcnt lgkmcnt(0)
	v_add_f32_e32 v2, v11, v2
	ds_bpermute_b32 v6, v6, v2
	s_waitcnt lgkmcnt(0)
	v_add_f32_e32 v2, v2, v6
	;; [unrolled: 3-line block ×5, first 2 shown]
	s_and_saveexec_b32 s3, vcc_lo
; %bb.22:
	ds_write_b32 v7, v2 offset:80
; %bb.23:
	s_or_b32 exec_lo, exec_lo, s3
	s_waitcnt lgkmcnt(0)
	s_barrier
	buffer_gl0_inv
	s_and_saveexec_b32 s3, s1
; %bb.24:
	ds_read_b32 v2, v8 offset:80
; %bb.25:
	s_or_b32 exec_lo, exec_lo, s3
	s_waitcnt lgkmcnt(0)
	ds_bpermute_b32 v6, v10, v2
	v_lshlrev_b32_e32 v3, 2, v3
	v_and_b32_e32 v3, 0xffffff80, v3
	s_waitcnt lgkmcnt(0)
	v_add_f32_e32 v2, v2, v6
	ds_bpermute_b32 v5, v5, v2
	s_waitcnt lgkmcnt(0)
	v_add_f32_e32 v2, v2, v5
	ds_bpermute_b32 v2, v3, v2
	s_and_saveexec_b32 s1, s2
	s_cbranch_execz .LBB144_28
; %bb.26:
	s_waitcnt lgkmcnt(0)
	v_add_f32_e32 v3, 0x358637bd, v2
	s_mov_b32 s2, 0
	v_div_scale_f32 v5, null, v3, v3, 1.0
	v_div_scale_f32 v8, vcc_lo, 1.0, v3, 1.0
	v_rcp_f32_e32 v6, v5
	v_fma_f32 v7, -v5, v6, 1.0
	v_fmac_f32_e32 v6, v7, v6
	v_mul_f32_e32 v7, v8, v6
	v_fma_f32 v9, -v5, v7, v8
	v_fmac_f32_e32 v7, v9, v6
	v_fma_f32 v5, -v5, v7, v8
	v_div_fmas_f32 v5, v5, v6, v7
	v_div_fixup_f32 v3, v5, v3, 1.0
	v_mov_b32_e32 v5, v0
.LBB144_27:                             ; =>This Inner Loop Header: Depth=1
	ds_read_b32 v6, v4
	v_add_nc_u32_e32 v5, 0x80, v5
	v_cmp_le_i32_e32 vcc_lo, s4, v5
	s_or_b32 s2, vcc_lo, s2
	s_waitcnt lgkmcnt(0)
	v_mul_f32_e32 v6, v3, v6
	ds_write_b32 v4, v6
	v_add_nc_u32_e32 v4, 0x200, v4
	s_andn2_b32 exec_lo, exec_lo, s2
	s_cbranch_execnz .LBB144_27
.LBB144_28:
	s_or_b32 exec_lo, exec_lo, s1
	s_mul_i32 s1, s7, s22
	s_waitcnt lgkmcnt(0)
	s_mul_i32 s2, s1, s9
	s_mov_b32 s1, exec_lo
	s_barrier
	buffer_gl0_inv
	v_cmpx_eq_u32_e32 0, v0
	s_cbranch_execz .LBB144_30
; %bb.29:
	s_ashr_i32 s3, s2, 31
	s_mul_i32 s30, s7, s6
	s_lshl_b64 s[4:5], s[2:3], 2
	v_mov_b32_e32 v3, 0
	s_add_u32 s3, s18, s4
	s_addc_u32 s6, s19, s5
	s_ashr_i32 s31, s30, 31
	s_lshl_b64 s[18:19], s[30:31], 2
	s_add_u32 s3, s3, s18
	s_addc_u32 s6, s6, s19
	s_ashr_i32 s9, s8, 31
	s_lshl_b64 s[30:31], s[8:9], 2
	s_add_u32 s34, s3, s30
	s_addc_u32 s35, s6, s31
	s_add_u32 s3, s16, s4
	s_addc_u32 s4, s17, s5
	s_add_u32 s3, s3, s18
	s_addc_u32 s5, s4, s19
	s_add_u32 s4, s3, s30
	s_addc_u32 s5, s5, s31
	global_store_dword v3, v1, s[34:35]
	global_store_dword v3, v2, s[4:5]
.LBB144_30:
	s_or_b32 exec_lo, exec_lo, s1
	v_mov_b32_e32 v18, 0
	s_and_saveexec_b32 s3, s0
	s_cbranch_execz .LBB144_36
; %bb.31:
	s_ashr_i32 s15, s14, 31
	v_lshlrev_b32_e32 v1, 4, v17
	s_lshl_b64 s[0:1], s[14:15], 1
	v_mov_b32_e32 v19, 0
	s_add_u32 s0, s28, s0
	s_addc_u32 s1, s29, s1
	v_add_co_u32 v20, s0, s0, v1
	v_lshlrev_b64 v[1:2], 2, v[13:14]
	v_add_co_ci_u32_e64 v21, null, s1, 0, s0
	s_lshl_b64 s[0:1], s[26:27], 2
	s_add_i32 s12, s12, -1
	s_add_u32 s0, s24, s0
	s_addc_u32 s1, s25, s1
	v_add_co_u32 v14, vcc_lo, s0, v1
	v_lshl_add_u32 v22, v16, 3, s33
	v_lshl_add_u32 v23, v16, 5, 0x60
	v_add_co_ci_u32_e64 v15, null, s1, v2, vcc_lo
	v_mov_b32_e32 v18, 0
	s_mov_b32 s4, s13
	s_mov_b32 s6, s23
	;; [unrolled: 1-line block ×3, first 2 shown]
	s_branch .LBB144_33
.LBB144_32:                             ;   in Loop: Header=BB144_33 Depth=1
	s_or_b32 exec_lo, exec_lo, s9
	s_waitcnt lgkmcnt(1)
	v_bfe_u32 v24, v9, 16, 1
	v_or_b32_e32 v25, 0x400000, v9
	v_bfe_u32 v26, v10, 16, 1
	v_cmp_u_f32_e32 vcc_lo, v9, v9
	v_bfe_u32 v27, v11, 16, 1
	v_add3_u32 v24, v24, v9, 0x7fff
	v_or_b32_e32 v28, 0x400000, v10
	v_add3_u32 v26, v26, v10, 0x7fff
	v_or_b32_e32 v29, 0x400000, v11
	v_add3_u32 v27, v27, v11, 0x7fff
	v_cndmask_b32_e32 v9, v24, v25, vcc_lo
	v_cmp_u_f32_e32 vcc_lo, v10, v10
	v_bfe_u32 v24, v12, 16, 1
	s_waitcnt lgkmcnt(0)
	v_bfe_u32 v25, v5, 16, 1
	v_add_nc_u32_e32 v13, 4, v13
	v_and_b32_e32 v9, 0xffff0000, v9
	v_cndmask_b32_e32 v10, v26, v28, vcc_lo
	v_cmp_u_f32_e32 vcc_lo, v11, v11
	v_add3_u32 v24, v24, v12, 0x7fff
	v_or_b32_e32 v26, 0x400000, v12
	v_add3_u32 v25, v25, v5, 0x7fff
	v_bfe_u32 v28, v6, 16, 1
	v_cndmask_b32_e32 v11, v27, v29, vcc_lo
	v_cmp_u_f32_e32 vcc_lo, v12, v12
	v_or_b32_e32 v27, 0x400000, v5
	v_and_b32_e32 v10, 0xffff0000, v10
	v_add_co_u32 v14, s0, v14, 16
	v_cndmask_b32_e32 v12, v24, v26, vcc_lo
	v_cmp_u_f32_e32 vcc_lo, v5, v5
	v_add3_u32 v24, v28, v6, 0x7fff
	v_bfe_u32 v26, v7, 16, 1
	v_add_nc_u32_e32 v22, 32, v22
	v_add_nc_u32_e32 v23, 0x80, v23
	v_cndmask_b32_e32 v5, v25, v27, vcc_lo
	v_or_b32_e32 v25, 0x400000, v6
	s_waitcnt vmcnt(0)
	v_lshlrev_b32_e32 v27, 16, v1
	v_cmp_u_f32_e32 vcc_lo, v6, v6
	v_and_b32_e32 v1, 0xffff0000, v1
	v_and_b32_e32 v5, 0xffff0000, v5
	v_add_co_ci_u32_e64 v15, null, 0, v15, s0
	v_cndmask_b32_e32 v6, v24, v25, vcc_lo
	v_add3_u32 v24, v26, v7, 0x7fff
	v_or_b32_e32 v25, 0x400000, v7
	v_bfe_u32 v26, v8, 16, 1
	v_mul_f32_e32 v9, v9, v27
	v_cmp_u_f32_e32 vcc_lo, v7, v7
	v_mul_f32_e32 v1, v10, v1
	v_and_b32_e32 v10, 0xffff0000, v11
	v_lshlrev_b32_e32 v11, 16, v2
	v_and_b32_e32 v2, 0xffff0000, v2
	v_cndmask_b32_e32 v7, v24, v25, vcc_lo
	v_add3_u32 v24, v26, v8, 0x7fff
	v_or_b32_e32 v25, 0x400000, v8
	v_bfe_u32 v26, v9, 16, 1
	v_cmp_u_f32_e32 vcc_lo, v8, v8
	v_mul_f32_e32 v10, v10, v11
	v_and_b32_e32 v11, 0xffff0000, v12
	v_and_b32_e32 v6, 0xffff0000, v6
	v_cndmask_b32_e32 v8, v24, v25, vcc_lo
	v_add3_u32 v24, v26, v9, 0x7fff
	v_or_b32_e32 v25, 0x400000, v9
	v_bfe_u32 v26, v1, 16, 1
	v_cmp_u_f32_e32 vcc_lo, v9, v9
	v_mul_f32_e32 v2, v11, v2
	v_lshlrev_b32_e32 v11, 16, v3
	v_and_b32_e32 v3, 0xffff0000, v3
	v_add3_u32 v12, v26, v1, 0x7fff
	v_cndmask_b32_e32 v9, v24, v25, vcc_lo
	v_or_b32_e32 v24, 0x400000, v1
	v_bfe_u32 v25, v10, 16, 1
	v_cmp_u_f32_e32 vcc_lo, v1, v1
	v_mul_f32_e32 v5, v5, v11
	v_mul_f32_e32 v3, v6, v3
	v_and_b32_e32 v6, 0xffff0000, v7
	v_lshlrev_b32_e32 v7, 16, v4
	v_cndmask_b32_e32 v1, v12, v24, vcc_lo
	v_add3_u32 v12, v25, v10, 0x7fff
	v_or_b32_e32 v24, 0x400000, v10
	v_bfe_u32 v25, v2, 16, 1
	v_cmp_u_f32_e32 vcc_lo, v10, v10
	v_and_b32_e32 v8, 0xffff0000, v8
	v_and_b32_e32 v4, 0xffff0000, v4
	v_mul_f32_e32 v6, v6, v7
	v_add3_u32 v11, v25, v2, 0x7fff
	v_cndmask_b32_e32 v10, v12, v24, vcc_lo
	v_or_b32_e32 v12, 0x400000, v2
	v_bfe_u32 v24, v5, 16, 1
	v_cmp_u_f32_e32 vcc_lo, v2, v2
	v_mul_f32_e32 v4, v8, v4
	v_or_b32_e32 v7, 0x400000, v5
	v_and_b32_e32 v1, 0xffff0000, v1
	v_and_b32_e32 v9, 0xffff0000, v9
	v_cndmask_b32_e32 v2, v11, v12, vcc_lo
	v_bfe_u32 v11, v3, 16, 1
	v_add3_u32 v12, v24, v5, 0x7fff
	v_cmp_u_f32_e32 vcc_lo, v5, v5
	v_bfe_u32 v25, v4, 16, 1
	v_bfe_u32 v24, v6, 16, 1
	v_add3_u32 v8, v11, v3, 0x7fff
	v_or_b32_e32 v11, 0x400000, v3
	v_cndmask_b32_e32 v5, v12, v7, vcc_lo
	v_cmp_u_f32_e32 vcc_lo, v3, v3
	v_add3_u32 v7, v24, v6, 0x7fff
	v_and_b32_e32 v2, 0xffff0000, v2
	v_and_b32_e32 v10, 0xffff0000, v10
	v_or_b32_e32 v12, 0x400000, v6
	v_cndmask_b32_e32 v3, v8, v11, vcc_lo
	v_add3_u32 v8, v25, v4, 0x7fff
	v_or_b32_e32 v11, 0x400000, v4
	v_cmp_u_f32_e32 vcc_lo, v4, v4
	v_add_f32_e32 v1, v9, v1
	v_add_f32_e32 v2, v10, v2
	v_and_b32_e32 v3, 0xffff0000, v3
	v_and_b32_e32 v5, 0xffff0000, v5
	v_cndmask_b32_e32 v4, v8, v11, vcc_lo
	v_cmp_u_f32_e32 vcc_lo, v6, v6
	v_add_f32_e32 v1, v2, v1
	v_add_f32_e32 v2, v5, v3
	v_and_b32_e32 v3, 0xffff0000, v4
	v_cndmask_b32_e32 v6, v7, v12, vcc_lo
	v_cmp_le_i32_e32 vcc_lo, s11, v13
	v_add_f32_e32 v1, v2, v1
	v_and_b32_e32 v4, 0xffff0000, v6
	s_or_b32 s5, vcc_lo, s5
	v_add_f32_e32 v2, v4, v3
	v_add_f32_e32 v1, v2, v1
	;; [unrolled: 1-line block ×3, first 2 shown]
	s_andn2_b32 exec_lo, exec_lo, s5
	s_cbranch_execz .LBB144_35
.LBB144_33:                             ; =>This Inner Loop Header: Depth=1
	global_load_dword v1, v[14:15], off
	s_mov_b32 s9, exec_lo
	s_waitcnt vmcnt(0)
	v_mad_i64_i32 v[1:2], null, v1, s4, 0
	v_lshlrev_b64 v[1:2], 1, v[1:2]
	v_add_co_u32 v1, vcc_lo, v20, v1
	v_add_co_ci_u32_e64 v2, null, v21, v2, vcc_lo
	global_load_dwordx4 v[1:4], v[1:2], off
	ds_read2_b64 v[9:12], v23 offset1:1
	ds_read2_b64 v[5:8], v23 offset0:2 offset1:3
	v_cmpx_eq_u32_e64 s12, v13
	s_cbranch_execz .LBB144_32
; %bb.34:                               ;   in Loop: Header=BB144_33 Depth=1
	v_add_nc_u32_e32 v24, 1, v22
	v_or_b32_e32 v25, 3, v22
	v_cmp_gt_i32_e32 vcc_lo, s23, v22
	v_or_b32_e32 v26, 2, v22
	v_or_b32_e32 v28, 7, v22
	v_cmp_gt_i32_e64 s0, s6, v25
	s_waitcnt vmcnt(0)
	v_cndmask_b32_e32 v27, 0, v1, vcc_lo
	v_cmp_gt_i32_e32 vcc_lo, s6, v24
	v_cmp_gt_i32_e64 s1, s23, v26
	v_or_b32_e32 v25, 5, v22
	v_or_b32_e32 v26, 4, v22
	v_cndmask_b32_sdwa v1, v19, v1, vcc_lo dst_sel:DWORD dst_unused:UNUSED_PAD src0_sel:DWORD src1_sel:WORD_1
	s_mov_b32 vcc_lo, s0
	v_cndmask_b32_e64 v24, 0, v2, s1
	v_cndmask_b32_sdwa v2, v19, v2, vcc_lo dst_sel:DWORD dst_unused:UNUSED_PAD src0_sel:DWORD src1_sel:WORD_1
	v_cmp_gt_i32_e32 vcc_lo, s6, v25
	v_cmp_gt_i32_e64 s0, s23, v26
	v_or_b32_e32 v26, 6, v22
	v_perm_b32 v1, v1, v27, 0x5040100
	v_perm_b32 v2, v2, v24, 0x5040100
	v_cndmask_b32_e64 v25, 0, v3, s0
	v_cmp_gt_i32_e64 s0, s6, v28
	v_cndmask_b32_sdwa v3, v19, v3, vcc_lo dst_sel:DWORD dst_unused:UNUSED_PAD src0_sel:DWORD src1_sel:WORD_1
	v_cmp_gt_i32_e32 vcc_lo, s23, v26
	v_perm_b32 v3, v3, v25, 0x5040100
	v_cndmask_b32_e32 v26, 0, v4, vcc_lo
	s_mov_b32 vcc_lo, s0
	v_cndmask_b32_sdwa v4, v19, v4, vcc_lo dst_sel:DWORD dst_unused:UNUSED_PAD src0_sel:DWORD src1_sel:WORD_1
	v_perm_b32 v4, v4, v26, 0x5040100
	s_branch .LBB144_32
.LBB144_35:
	s_or_b32 exec_lo, exec_lo, s5
.LBB144_36:
	s_or_b32 exec_lo, exec_lo, s3
	v_and_b32_e32 v2, 0x3c0, v0
	v_lshl_add_u32 v1, v17, 2, 0x60
	s_mov_b32 s0, exec_lo
	s_waitcnt_vscnt null, 0x0
	s_barrier
	buffer_gl0_inv
	v_cmpx_eq_u32_e32 64, v2
; %bb.37:
	v_lshlrev_b32_e32 v2, 7, v16
	v_add3_u32 v2, v1, v2, 0xffffff00
	ds_write_b32 v2, v18
; %bb.38:
	s_or_b32 exec_lo, exec_lo, s0
	v_and_b32_e32 v3, 0x3e0, v0
	s_mov_b32 s0, exec_lo
	s_waitcnt lgkmcnt(0)
	s_barrier
	buffer_gl0_inv
	v_lshl_add_u32 v2, v3, 2, v1
	v_cmpx_gt_u32_e32 64, v0
	s_cbranch_execz .LBB144_40
; %bb.39:
	ds_read_b32 v4, v2
	s_waitcnt lgkmcnt(0)
	v_add_f32_e32 v18, v18, v4
.LBB144_40:
	s_or_b32 exec_lo, exec_lo, s0
	s_mov_b32 s0, exec_lo
	s_barrier
	buffer_gl0_inv
	v_cmpx_eq_u32_e32 32, v3
; %bb.41:
	ds_write_b32 v1, v18
; %bb.42:
	s_or_b32 exec_lo, exec_lo, s0
	v_cmp_gt_u32_e32 vcc_lo, 32, v0
	s_waitcnt lgkmcnt(0)
	s_barrier
	buffer_gl0_inv
	s_and_saveexec_b32 s0, vcc_lo
	s_cbranch_execz .LBB144_44
; %bb.43:
	ds_read_b32 v0, v2
	s_waitcnt lgkmcnt(0)
	v_add_f32_e32 v18, v18, v0
.LBB144_44:
	s_or_b32 exec_lo, exec_lo, s0
	s_barrier
	buffer_gl0_inv
	s_and_saveexec_b32 s0, vcc_lo
	s_cbranch_execz .LBB144_46
; %bb.45:
	s_lshl_b32 s0, s2, 5
	s_mul_i32 s2, s7, s10
	s_ashr_i32 s1, s0, 31
	v_bfe_u32 v0, v18, 16, 1
	s_lshl_b64 s[0:1], s[0:1], 1
	v_or_b32_e32 v1, 0x400000, v18
	s_add_u32 s4, s20, s0
	s_addc_u32 s5, s21, s1
	s_ashr_i32 s3, s2, 31
	v_add3_u32 v0, v0, v18, 0x7fff
	s_lshl_b64 s[0:1], s[2:3], 1
	v_cmp_u_f32_e32 vcc_lo, v18, v18
	s_add_u32 s2, s4, s0
	s_addc_u32 s3, s5, s1
	s_lshl_b32 s0, s8, 5
	v_lshlrev_b32_e32 v2, 1, v17
	s_ashr_i32 s1, s0, 31
	v_cndmask_b32_e32 v0, v0, v1, vcc_lo
	s_lshl_b64 s[0:1], s[0:1], 1
	s_add_u32 s0, s2, s0
	s_addc_u32 s1, s3, s1
	global_store_short_d16_hi v2, v0, s[0:1]
.LBB144_46:
	s_endpgm
	.section	.rodata,"a",@progbits
	.p2align	6, 0x0
	.amdhsa_kernel _ZN4vllm25paged_attention_v2_kernelI14__hip_bfloat16S1_Li32ELi8ELi128ELNS_18Fp8KVCacheDataTypeE0ELb0ELi512EEEvPfS3_PT_PKS4_PKT0_SA_ifPKiSC_iPKfiiiSE_SE_iiiii
		.amdhsa_group_segment_fixed_size 96
		.amdhsa_private_segment_fixed_size 0
		.amdhsa_kernarg_size 400
		.amdhsa_user_sgpr_count 6
		.amdhsa_user_sgpr_private_segment_buffer 1
		.amdhsa_user_sgpr_dispatch_ptr 0
		.amdhsa_user_sgpr_queue_ptr 0
		.amdhsa_user_sgpr_kernarg_segment_ptr 1
		.amdhsa_user_sgpr_dispatch_id 0
		.amdhsa_user_sgpr_flat_scratch_init 0
		.amdhsa_user_sgpr_private_segment_size 0
		.amdhsa_wavefront_size32 1
		.amdhsa_uses_dynamic_stack 0
		.amdhsa_system_sgpr_private_segment_wavefront_offset 0
		.amdhsa_system_sgpr_workgroup_id_x 1
		.amdhsa_system_sgpr_workgroup_id_y 1
		.amdhsa_system_sgpr_workgroup_id_z 1
		.amdhsa_system_sgpr_workgroup_info 0
		.amdhsa_system_vgpr_workitem_id 0
		.amdhsa_next_free_vgpr 32
		.amdhsa_next_free_sgpr 36
		.amdhsa_reserve_vcc 1
		.amdhsa_reserve_flat_scratch 0
		.amdhsa_float_round_mode_32 0
		.amdhsa_float_round_mode_16_64 0
		.amdhsa_float_denorm_mode_32 3
		.amdhsa_float_denorm_mode_16_64 3
		.amdhsa_dx10_clamp 1
		.amdhsa_ieee_mode 1
		.amdhsa_fp16_overflow 0
		.amdhsa_workgroup_processor_mode 1
		.amdhsa_memory_ordered 1
		.amdhsa_forward_progress 1
		.amdhsa_shared_vgpr_count 0
		.amdhsa_exception_fp_ieee_invalid_op 0
		.amdhsa_exception_fp_denorm_src 0
		.amdhsa_exception_fp_ieee_div_zero 0
		.amdhsa_exception_fp_ieee_overflow 0
		.amdhsa_exception_fp_ieee_underflow 0
		.amdhsa_exception_fp_ieee_inexact 0
		.amdhsa_exception_int_div_zero 0
	.end_amdhsa_kernel
	.section	.text._ZN4vllm25paged_attention_v2_kernelI14__hip_bfloat16S1_Li32ELi8ELi128ELNS_18Fp8KVCacheDataTypeE0ELb0ELi512EEEvPfS3_PT_PKS4_PKT0_SA_ifPKiSC_iPKfiiiSE_SE_iiiii,"axG",@progbits,_ZN4vllm25paged_attention_v2_kernelI14__hip_bfloat16S1_Li32ELi8ELi128ELNS_18Fp8KVCacheDataTypeE0ELb0ELi512EEEvPfS3_PT_PKS4_PKT0_SA_ifPKiSC_iPKfiiiSE_SE_iiiii,comdat
.Lfunc_end144:
	.size	_ZN4vllm25paged_attention_v2_kernelI14__hip_bfloat16S1_Li32ELi8ELi128ELNS_18Fp8KVCacheDataTypeE0ELb0ELi512EEEvPfS3_PT_PKS4_PKT0_SA_ifPKiSC_iPKfiiiSE_SE_iiiii, .Lfunc_end144-_ZN4vllm25paged_attention_v2_kernelI14__hip_bfloat16S1_Li32ELi8ELi128ELNS_18Fp8KVCacheDataTypeE0ELb0ELi512EEEvPfS3_PT_PKS4_PKT0_SA_ifPKiSC_iPKfiiiSE_SE_iiiii
                                        ; -- End function
	.set _ZN4vllm25paged_attention_v2_kernelI14__hip_bfloat16S1_Li32ELi8ELi128ELNS_18Fp8KVCacheDataTypeE0ELb0ELi512EEEvPfS3_PT_PKS4_PKT0_SA_ifPKiSC_iPKfiiiSE_SE_iiiii.num_vgpr, 32
	.set _ZN4vllm25paged_attention_v2_kernelI14__hip_bfloat16S1_Li32ELi8ELi128ELNS_18Fp8KVCacheDataTypeE0ELb0ELi512EEEvPfS3_PT_PKS4_PKT0_SA_ifPKiSC_iPKfiiiSE_SE_iiiii.num_agpr, 0
	.set _ZN4vllm25paged_attention_v2_kernelI14__hip_bfloat16S1_Li32ELi8ELi128ELNS_18Fp8KVCacheDataTypeE0ELb0ELi512EEEvPfS3_PT_PKS4_PKT0_SA_ifPKiSC_iPKfiiiSE_SE_iiiii.numbered_sgpr, 36
	.set _ZN4vllm25paged_attention_v2_kernelI14__hip_bfloat16S1_Li32ELi8ELi128ELNS_18Fp8KVCacheDataTypeE0ELb0ELi512EEEvPfS3_PT_PKS4_PKT0_SA_ifPKiSC_iPKfiiiSE_SE_iiiii.num_named_barrier, 0
	.set _ZN4vllm25paged_attention_v2_kernelI14__hip_bfloat16S1_Li32ELi8ELi128ELNS_18Fp8KVCacheDataTypeE0ELb0ELi512EEEvPfS3_PT_PKS4_PKT0_SA_ifPKiSC_iPKfiiiSE_SE_iiiii.private_seg_size, 0
	.set _ZN4vllm25paged_attention_v2_kernelI14__hip_bfloat16S1_Li32ELi8ELi128ELNS_18Fp8KVCacheDataTypeE0ELb0ELi512EEEvPfS3_PT_PKS4_PKT0_SA_ifPKiSC_iPKfiiiSE_SE_iiiii.uses_vcc, 1
	.set _ZN4vllm25paged_attention_v2_kernelI14__hip_bfloat16S1_Li32ELi8ELi128ELNS_18Fp8KVCacheDataTypeE0ELb0ELi512EEEvPfS3_PT_PKS4_PKT0_SA_ifPKiSC_iPKfiiiSE_SE_iiiii.uses_flat_scratch, 0
	.set _ZN4vllm25paged_attention_v2_kernelI14__hip_bfloat16S1_Li32ELi8ELi128ELNS_18Fp8KVCacheDataTypeE0ELb0ELi512EEEvPfS3_PT_PKS4_PKT0_SA_ifPKiSC_iPKfiiiSE_SE_iiiii.has_dyn_sized_stack, 0
	.set _ZN4vllm25paged_attention_v2_kernelI14__hip_bfloat16S1_Li32ELi8ELi128ELNS_18Fp8KVCacheDataTypeE0ELb0ELi512EEEvPfS3_PT_PKS4_PKT0_SA_ifPKiSC_iPKfiiiSE_SE_iiiii.has_recursion, 0
	.set _ZN4vllm25paged_attention_v2_kernelI14__hip_bfloat16S1_Li32ELi8ELi128ELNS_18Fp8KVCacheDataTypeE0ELb0ELi512EEEvPfS3_PT_PKS4_PKT0_SA_ifPKiSC_iPKfiiiSE_SE_iiiii.has_indirect_call, 0
	.section	.AMDGPU.csdata,"",@progbits
; Kernel info:
; codeLenInByte = 3940
; TotalNumSgprs: 38
; NumVgprs: 32
; ScratchSize: 0
; MemoryBound: 0
; FloatMode: 240
; IeeeMode: 1
; LDSByteSize: 96 bytes/workgroup (compile time only)
; SGPRBlocks: 0
; VGPRBlocks: 3
; NumSGPRsForWavesPerEU: 38
; NumVGPRsForWavesPerEU: 32
; Occupancy: 16
; WaveLimiterHint : 1
; COMPUTE_PGM_RSRC2:SCRATCH_EN: 0
; COMPUTE_PGM_RSRC2:USER_SGPR: 6
; COMPUTE_PGM_RSRC2:TRAP_HANDLER: 0
; COMPUTE_PGM_RSRC2:TGID_X_EN: 1
; COMPUTE_PGM_RSRC2:TGID_Y_EN: 1
; COMPUTE_PGM_RSRC2:TGID_Z_EN: 1
; COMPUTE_PGM_RSRC2:TIDIG_COMP_CNT: 0
	.section	.text._ZN4vllm25paged_attention_v2_kernelI14__hip_bfloat16S1_Li64ELi8ELi128ELNS_18Fp8KVCacheDataTypeE0ELb0ELi512EEEvPfS3_PT_PKS4_PKT0_SA_ifPKiSC_iPKfiiiSE_SE_iiiii,"axG",@progbits,_ZN4vllm25paged_attention_v2_kernelI14__hip_bfloat16S1_Li64ELi8ELi128ELNS_18Fp8KVCacheDataTypeE0ELb0ELi512EEEvPfS3_PT_PKS4_PKT0_SA_ifPKiSC_iPKfiiiSE_SE_iiiii,comdat
	.protected	_ZN4vllm25paged_attention_v2_kernelI14__hip_bfloat16S1_Li64ELi8ELi128ELNS_18Fp8KVCacheDataTypeE0ELb0ELi512EEEvPfS3_PT_PKS4_PKT0_SA_ifPKiSC_iPKfiiiSE_SE_iiiii ; -- Begin function _ZN4vllm25paged_attention_v2_kernelI14__hip_bfloat16S1_Li64ELi8ELi128ELNS_18Fp8KVCacheDataTypeE0ELb0ELi512EEEvPfS3_PT_PKS4_PKT0_SA_ifPKiSC_iPKfiiiSE_SE_iiiii
	.globl	_ZN4vllm25paged_attention_v2_kernelI14__hip_bfloat16S1_Li64ELi8ELi128ELNS_18Fp8KVCacheDataTypeE0ELb0ELi512EEEvPfS3_PT_PKS4_PKT0_SA_ifPKiSC_iPKfiiiSE_SE_iiiii
	.p2align	8
	.type	_ZN4vllm25paged_attention_v2_kernelI14__hip_bfloat16S1_Li64ELi8ELi128ELNS_18Fp8KVCacheDataTypeE0ELb0ELi512EEEvPfS3_PT_PKS4_PKT0_SA_ifPKiSC_iPKfiiiSE_SE_iiiii,@function
_ZN4vllm25paged_attention_v2_kernelI14__hip_bfloat16S1_Li64ELi8ELi128ELNS_18Fp8KVCacheDataTypeE0ELb0ELi512EEEvPfS3_PT_PKS4_PKT0_SA_ifPKiSC_iPKfiiiSE_SE_iiiii: ; @_ZN4vllm25paged_attention_v2_kernelI14__hip_bfloat16S1_Li64ELi8ELi128ELNS_18Fp8KVCacheDataTypeE0ELb0ELi512EEEvPfS3_PT_PKS4_PKT0_SA_ifPKiSC_iPKfiiiSE_SE_iiiii
; %bb.0:
	s_load_dwordx2 s[0:1], s[4:5], 0x40
	s_mov_b32 s22, s7
	s_ashr_i32 s23, s7, 31
	s_lshl_b64 s[2:3], s[22:23], 2
	s_waitcnt lgkmcnt(0)
	s_add_u32 s0, s0, s2
	s_addc_u32 s1, s1, s3
	s_lshl_b32 s33, s8, 9
	s_load_dword s23, s[0:1], 0x0
	s_waitcnt lgkmcnt(0)
	s_cmp_ge_i32 s33, s23
	s_cbranch_scc1 .LBB145_48
; %bb.1:
	s_clause 0x1
	s_load_dword s9, s[4:5], 0x90
	s_load_dwordx2 s[30:31], s[4:5], 0x30
	s_mov_b32 s34, 0
	s_waitcnt lgkmcnt(0)
	s_abs_i32 s3, s9
	s_abs_i32 s0, s30
	v_cvt_f32_u32_e32 v1, s0
	s_sub_i32 s2, 0, s0
	v_rcp_iflag_f32_e32 v1, v1
	v_mul_f32_e32 v1, 0x4f7ffffe, v1
	v_cvt_u32_f32_e32 v1, v1
	v_readfirstlane_b32 s1, v1
	s_mul_i32 s2, s2, s1
	s_mul_hi_u32 s2, s1, s2
	s_add_i32 s1, s1, s2
	s_xor_b32 s2, s9, s30
	s_mul_hi_u32 s1, s3, s1
	s_ashr_i32 s2, s2, 31
	s_mul_i32 s7, s1, s0
	s_sub_i32 s3, s3, s7
	s_add_i32 s7, s1, 1
	s_sub_i32 s10, s3, s0
	s_cmp_ge_u32 s3, s0
	s_cselect_b32 s1, s7, s1
	s_cselect_b32 s3, s10, s3
	s_add_i32 s7, s1, 1
	s_cmp_ge_u32 s3, s0
	s_cselect_b32 s0, s7, s1
	s_abs_i32 s16, s6
	s_xor_b32 s0, s0, s2
	s_sub_i32 s10, s0, s2
	s_load_dwordx2 s[0:1], s[4:5], 0x50
	s_abs_i32 s2, s10
	v_cvt_f32_u32_e32 v1, s2
	s_sub_i32 s7, 0, s2
	v_rcp_iflag_f32_e32 v1, v1
	v_mul_f32_e32 v1, 0x4f7ffffe, v1
	v_cvt_u32_f32_e32 v1, v1
	v_readfirstlane_b32 s3, v1
	s_mul_i32 s7, s7, s3
	s_mul_hi_u32 s7, s3, s7
	s_add_i32 s3, s3, s7
	s_waitcnt lgkmcnt(0)
	s_cmp_eq_u64 s[0:1], 0
	s_mul_hi_u32 s3, s16, s3
	s_cbranch_scc1 .LBB145_3
; %bb.2:
	s_ashr_i32 s7, s6, 31
	s_lshl_b64 s[12:13], s[6:7], 2
	s_add_u32 s0, s0, s12
	s_addc_u32 s1, s1, s13
	s_load_dword s34, s[0:1], 0x0
.LBB145_3:
	s_load_dwordx4 s[12:15], s[4:5], 0x58
	v_and_b32_e32 v1, 3, v0
	v_cmp_gt_u32_e64 s0, 32, v0
	v_lshlrev_b32_e32 v2, 2, v0
	s_ashr_i32 s1, s6, 31
	s_ashr_i32 s7, s10, 31
	s_lshl_b32 s10, s6, 6
	s_waitcnt lgkmcnt(0)
	s_and_saveexec_b32 s15, s0
	s_cbranch_execz .LBB145_5
; %bb.4:
	s_load_dwordx2 s[18:19], s[4:5], 0x18
	s_mul_i32 s20, s12, s22
	v_and_b32_e32 v4, 0x3fc, v0
	s_ashr_i32 s21, s20, 31
	s_lshl_b64 s[20:21], s[20:21], 1
	v_lshl_add_u32 v4, v1, 5, v4
	s_waitcnt lgkmcnt(0)
	s_add_u32 s12, s18, s20
	s_addc_u32 s17, s19, s21
	s_ashr_i32 s11, s10, 31
	s_lshl_b64 s[18:19], s[10:11], 1
	s_add_u32 s18, s12, s18
	s_addc_u32 s19, s17, s19
	global_load_dword v3, v2, s[18:19]
	s_waitcnt vmcnt(0)
	ds_write_b32 v4, v3
.LBB145_5:
	s_or_b32 exec_lo, exec_lo, s15
	s_add_i32 s11, s23, 7
	s_lshl_b32 s12, s8, 6
	s_ashr_i32 s15, s11, 31
	s_xor_b32 s1, s1, s7
	s_lshr_b32 s15, s15, 29
	s_add_i32 s7, s12, 64
	s_add_i32 s11, s11, s15
	s_mul_i32 s15, s3, s2
	s_ashr_i32 s30, s11, 3
	s_sub_i32 s15, s16, s15
	s_min_i32 s11, s7, s30
	s_clause 0x1
	s_load_dwordx2 s[24:25], s[4:5], 0x38
	s_load_dword s7, s[4:5], 0x48
	s_add_i32 s16, s3, 1
	s_sub_i32 s17, s15, s2
	s_cmp_ge_u32 s15, s2
	v_lshrrev_b32_e32 v20, 5, v0
	s_cselect_b32 s3, s16, s3
	s_cselect_b32 s15, s17, s15
	s_add_i32 s16, s3, 1
	s_cmp_ge_u32 s15, s2
	v_or_b32_e32 v17, s12, v20
	s_cselect_b32 s2, s16, s3
	v_mbcnt_lo_u32_b32 v3, -1, 0
	s_xor_b32 s2, s2, s1
	s_mov_b32 s3, exec_lo
	s_sub_i32 s2, s2, s1
	v_cmp_gt_i32_e64 s1, s11, v17
	s_waitcnt lgkmcnt(0)
	s_barrier
	buffer_gl0_inv
                                        ; implicit-def: $vgpr4
                                        ; implicit-def: $vgpr5
	s_mul_i32 s26, s7, s22
	s_ashr_i32 s27, s26, 31
	v_cmpx_le_i32_e64 s11, v17
	s_xor_b32 s3, exec_lo, s3
; %bb.6:
	v_mov_b32_e32 v4, 0
	v_mbcnt_lo_u32_b32 v3, -1, 0
	v_mov_b32_e32 v5, 32
                                        ; implicit-def: $vgpr2
                                        ; implicit-def: $vgpr1
; %bb.7:
	s_or_saveexec_b32 s35, s3
	s_clause 0x3
	s_load_dwordx4 s[16:19], s[4:5], 0x0
	s_load_dwordx2 s[20:21], s[4:5], 0x10
	s_load_dwordx2 s[28:29], s[4:5], 0x28
	s_load_dword s7, s[4:5], 0x98
	v_mov_b32_e32 v24, 0xff7fffff
	v_ashrrev_i32_e32 v18, 31, v17
	s_mul_i32 s14, s2, s14
	s_xor_b32 exec_lo, exec_lo, s35
	s_cbranch_execz .LBB145_13
; %bb.8:
	s_load_dwordx2 s[2:3], s[4:5], 0x20
	v_bfe_u32 v30, v0, 2, 3
	s_ashr_i32 s15, s14, 31
	v_lshlrev_b32_e32 v4, 5, v1
	s_lshl_b64 s[4:5], s[14:15], 1
	v_and_b32_e32 v2, 12, v2
	v_lshlrev_b32_e32 v5, 4, v30
	v_mov_b32_e32 v32, v17
	ds_read_b128 v[10:13], v4
	ds_read_b128 v[24:27], v4 offset:16
	v_mov_b32_e32 v4, 0
	s_mov_b32 s15, 0
	s_waitcnt lgkmcnt(0)
	s_add_u32 s2, s2, s4
	s_addc_u32 s3, s3, s5
	v_add_co_u32 v5, s2, s2, v5
	v_add_co_ci_u32_e64 v16, null, s3, 0, s2
	s_lshl_b64 s[36:37], s[26:27], 2
	v_add_co_u32 v15, vcc_lo, v5, v2
	v_xor_b32_e32 v2, 2, v3
	v_add_co_ci_u32_e64 v16, null, 0, v16, vcc_lo
	v_xor_b32_e32 v5, 1, v3
	v_lshlrev_b32_e32 v14, 16, v24
	v_cmp_gt_i32_e32 vcc_lo, 32, v2
	v_and_b32_e32 v19, 0xffff0000, v24
	s_sub_i32 s5, 1, s23
	s_add_u32 s3, s24, s36
	s_addc_u32 s4, s25, s37
	v_cndmask_b32_e32 v2, v3, v2, vcc_lo
	v_cmp_gt_i32_e32 vcc_lo, 32, v5
	v_lshlrev_b32_e32 v6, 16, v10
	v_and_b32_e32 v7, 0xffff0000, v10
	v_lshlrev_b32_e32 v8, 16, v11
	v_lshlrev_b32_e32 v28, 2, v2
	;; [unrolled: 1-line block ×3, first 2 shown]
	v_cndmask_b32_e32 v24, v3, v5, vcc_lo
	v_cmp_eq_u32_e32 vcc_lo, 0, v1
	v_and_b32_e32 v9, 0xffff0000, v11
	v_lshlrev_b32_e32 v10, 16, v12
	v_lshl_or_b32 v31, v20, 5, v2
	v_lshlrev_b64 v[1:2], 2, v[17:18]
	v_lshlrev_b32_e32 v29, 2, v24
	v_lshlrev_b32_e32 v24, 3, v20
	v_and_b32_e32 v11, 0xffff0000, v12
	v_lshlrev_b32_e32 v12, 16, v13
	v_and_b32_e32 v13, 0xffff0000, v13
	v_add_co_u32 v1, s3, s3, v1
	v_lshlrev_b32_e32 v21, 16, v25
	v_and_b32_e32 v22, 0xffff0000, v25
	v_lshlrev_b32_e32 v23, 16, v26
	v_and_b32_e32 v25, 0xffff0000, v26
	;; [unrolled: 2-line block ×3, first 2 shown]
	v_mov_b32_e32 v5, 32
	v_cmp_neq_f32_e64 s2, s34, 0
	v_add3_u32 v30, s33, v24, v30
	v_add_nc_u32_e32 v31, 0xa0, v31
	v_add_co_ci_u32_e64 v2, null, s4, v2, s3
	v_mov_b32_e32 v24, 0xff7fffff
	s_mov_b32 s36, s13
	s_branch .LBB145_10
.LBB145_9:                              ;   in Loop: Header=BB145_10 Depth=1
	s_or_b32 exec_lo, exec_lo, s4
	v_add_nc_u32_e32 v32, 4, v32
	v_add_co_u32 v1, s4, v1, 16
	v_add_nc_u32_e32 v30, 32, v30
	v_add_nc_u32_e32 v31, 0x80, v31
	v_cmp_le_i32_e64 s3, s11, v32
	v_add_co_ci_u32_e64 v2, null, 0, v2, s4
	s_or_b32 s15, s3, s15
	s_andn2_b32 exec_lo, exec_lo, s15
	s_cbranch_execz .LBB145_12
.LBB145_10:                             ; =>This Inner Loop Header: Depth=1
	global_load_dword v33, v[1:2], off
	s_waitcnt vmcnt(0) lgkmcnt(0)
	v_mad_i64_i32 v[33:34], null, v33, s36, 0
	v_lshlrev_b64 v[33:34], 1, v[33:34]
	v_add_co_u32 v33, s3, v15, v33
	v_add_co_ci_u32_e64 v34, null, v16, v34, s3
	s_clause 0x7
	global_load_dword v35, v[33:34], off offset:128
	global_load_dword v36, v[33:34], off
	global_load_dword v37, v[33:34], off offset:256
	global_load_dword v38, v[33:34], off offset:384
	;; [unrolled: 1-line block ×6, first 2 shown]
	s_waitcnt vmcnt(7)
	v_lshlrev_b32_e32 v34, 16, v35
	v_and_b32_e32 v35, 0xffff0000, v35
	s_waitcnt vmcnt(6)
	v_lshlrev_b32_e32 v42, 16, v36
	v_and_b32_e32 v36, 0xffff0000, v36
	s_waitcnt vmcnt(5)
	v_lshlrev_b32_e32 v43, 16, v37
	v_mul_f32_e32 v34, v8, v34
	v_mul_f32_e32 v35, v9, v35
	v_and_b32_e32 v37, 0xffff0000, v37
	v_fmac_f32_e32 v34, v6, v42
	v_fmac_f32_e32 v35, v7, v36
	s_waitcnt vmcnt(4)
	v_lshlrev_b32_e32 v36, 16, v38
	v_and_b32_e32 v38, 0xffff0000, v38
	v_fmac_f32_e32 v34, v10, v43
	v_fmac_f32_e32 v35, v11, v37
	s_waitcnt vmcnt(3)
	v_lshlrev_b32_e32 v37, 16, v39
	;; [unrolled: 5-line block ×5, first 2 shown]
	v_and_b32_e32 v33, 0xffff0000, v33
	v_fmac_f32_e32 v34, v23, v37
	v_fmac_f32_e32 v35, v25, v39
	;; [unrolled: 1-line block ×4, first 2 shown]
	v_add_f32_e32 v33, v34, v35
	ds_bpermute_b32 v34, v28, v33
	s_waitcnt lgkmcnt(0)
	v_add_f32_e32 v33, v33, v34
	ds_bpermute_b32 v34, v29, v33
	s_and_saveexec_b32 s4, vcc_lo
	s_cbranch_execz .LBB145_9
; %bb.11:                               ;   in Loop: Header=BB145_10 Depth=1
	v_add_nc_u32_e32 v35, s5, v30
	s_waitcnt lgkmcnt(0)
	v_add_f32_e32 v33, v33, v34
	v_cmp_gt_i32_e64 s3, s23, v30
	v_cvt_f32_i32_e32 v35, v35
	v_mul_f32_e32 v35, s34, v35
	v_cndmask_b32_e64 v34, 0, v35, s2
	v_max_f32_e32 v35, v24, v24
	v_fmac_f32_e32 v34, s31, v33
	v_max_f32_e32 v33, v35, v34
	v_cndmask_b32_e64 v34, 0, v34, s3
	v_cndmask_b32_e64 v24, v24, v33, s3
	ds_write_b32 v31, v34
	s_branch .LBB145_9
.LBB145_12:
	s_or_b32 exec_lo, exec_lo, s15
.LBB145_13:
	s_or_b32 exec_lo, exec_lo, s35
	v_xor_b32_e32 v1, 16, v3
	v_xor_b32_e32 v6, 8, v3
	v_max_f32_e32 v7, v24, v24
	v_xor_b32_e32 v8, 4, v3
	v_and_b32_e32 v21, 31, v0
	v_cmp_lt_i32_e32 vcc_lo, v1, v5
	v_cndmask_b32_e32 v1, v3, v1, vcc_lo
	v_cmp_lt_i32_e32 vcc_lo, v6, v5
	v_lshlrev_b32_e32 v2, 2, v1
	v_cndmask_b32_e32 v6, v3, v6, vcc_lo
	v_cmp_lt_i32_e32 vcc_lo, v8, v5
	ds_bpermute_b32 v1, v2, v24
	v_lshlrev_b32_e32 v6, 2, v6
	v_cndmask_b32_e32 v8, v3, v8, vcc_lo
	v_cmp_eq_u32_e32 vcc_lo, 0, v21
	v_lshlrev_b32_e32 v9, 2, v8
	s_waitcnt lgkmcnt(0)
	v_max_f32_e32 v1, v1, v1
	v_max_f32_e32 v1, v7, v1
	ds_bpermute_b32 v7, v6, v1
	s_waitcnt lgkmcnt(0)
	v_max_f32_e32 v7, v7, v7
	v_max_f32_e32 v1, v1, v7
	v_lshlrev_b32_e32 v7, 2, v20
	ds_bpermute_b32 v8, v9, v1
	s_and_saveexec_b32 s2, vcc_lo
	s_cbranch_execz .LBB145_15
; %bb.14:
	s_waitcnt lgkmcnt(0)
	v_max_f32_e32 v8, v8, v8
	v_max_f32_e32 v1, v1, v1
	;; [unrolled: 1-line block ×3, first 2 shown]
	ds_write_b32 v7, v1 offset:128
.LBB145_15:
	s_or_b32 exec_lo, exec_lo, s2
	v_cmp_gt_u32_e64 s2, 4, v21
	v_mov_b32_e32 v1, 0xff7fffff
	s_waitcnt lgkmcnt(0)
	v_lshlrev_b32_e32 v8, 2, v21
	s_barrier
	buffer_gl0_inv
	s_and_saveexec_b32 s3, s2
; %bb.16:
	ds_read_b32 v1, v8 offset:128
; %bb.17:
	s_or_b32 exec_lo, exec_lo, s3
	v_xor_b32_e32 v10, 2, v3
	v_xor_b32_e32 v12, 1, v3
	v_lshlrev_b32_e32 v4, 2, v4
	v_cmp_lt_i32_e64 s3, v10, v5
	v_cndmask_b32_e64 v10, v3, v10, s3
	v_cmp_lt_i32_e64 s3, v12, v5
	v_lshlrev_b32_e32 v10, 2, v10
	v_cndmask_b32_e64 v5, v3, v12, s3
	s_sub_i32 s3, s11, s12
	s_lshl_b32 s3, s3, 3
	s_waitcnt lgkmcnt(0)
	ds_bpermute_b32 v11, v10, v1
	v_max_f32_e32 v1, v1, v1
	v_lshlrev_b32_e32 v5, 2, v5
	s_add_i32 s3, s3, s33
	s_min_i32 s3, s3, s23
	s_sub_i32 s5, s3, s33
	v_cmp_gt_i32_e64 s3, s5, v0
	s_waitcnt lgkmcnt(0)
	v_max_f32_e32 v11, v11, v11
	v_max_f32_e32 v1, v1, v11
	ds_bpermute_b32 v11, v5, v1
	s_waitcnt lgkmcnt(0)
	v_max_f32_e32 v11, v11, v11
	v_max_f32_e32 v1, v1, v11
	v_mov_b32_e32 v11, 0
	ds_bpermute_b32 v1, v4, v1
	v_lshl_add_u32 v4, v0, 2, 0xa0
	s_and_saveexec_b32 s15, s3
	s_cbranch_execz .LBB145_21
; %bb.18:
	v_lshl_add_u32 v12, v0, 2, 0xa0
	v_mov_b32_e32 v11, 0
	v_mov_b32_e32 v13, v0
	s_mov_b32 s31, 0
	.p2align	6
.LBB145_19:                             ; =>This Inner Loop Header: Depth=1
	ds_read_b32 v14, v12
	v_add_nc_u32_e32 v13, 0x80, v13
	v_cmp_le_i32_e64 s4, s5, v13
	s_or_b32 s31, s4, s31
	s_waitcnt lgkmcnt(0)
	v_sub_f32_e32 v14, v14, v1
	v_mul_f32_e32 v14, 0x3fb8aa3b, v14
	v_exp_f32_e32 v14, v14
	ds_write_b32 v12, v14
	v_add_f32_e32 v11, v11, v14
	v_add_nc_u32_e32 v12, 0x200, v12
	s_andn2_b32 exec_lo, exec_lo, s31
	s_cbranch_execnz .LBB145_19
; %bb.20:
	s_or_b32 exec_lo, exec_lo, s31
.LBB145_21:
	s_or_b32 exec_lo, exec_lo, s15
	ds_bpermute_b32 v2, v2, v11
	s_waitcnt lgkmcnt(0)
	v_add_f32_e32 v2, v11, v2
	ds_bpermute_b32 v6, v6, v2
	s_waitcnt lgkmcnt(0)
	v_add_f32_e32 v2, v2, v6
	;; [unrolled: 3-line block ×5, first 2 shown]
	s_and_saveexec_b32 s4, vcc_lo
; %bb.22:
	ds_write_b32 v7, v2 offset:144
; %bb.23:
	s_or_b32 exec_lo, exec_lo, s4
	s_waitcnt lgkmcnt(0)
	s_barrier
	buffer_gl0_inv
	s_and_saveexec_b32 s4, s2
; %bb.24:
	ds_read_b32 v2, v8 offset:144
; %bb.25:
	s_or_b32 exec_lo, exec_lo, s4
	s_waitcnt lgkmcnt(0)
	ds_bpermute_b32 v6, v10, v2
	v_lshlrev_b32_e32 v3, 2, v3
	v_and_b32_e32 v3, 0xffffff80, v3
	s_waitcnt lgkmcnt(0)
	v_add_f32_e32 v2, v2, v6
	ds_bpermute_b32 v5, v5, v2
	s_waitcnt lgkmcnt(0)
	v_add_f32_e32 v2, v2, v5
	ds_bpermute_b32 v2, v3, v2
	s_and_saveexec_b32 s2, s3
	s_cbranch_execz .LBB145_28
; %bb.26:
	s_waitcnt lgkmcnt(0)
	v_add_f32_e32 v3, 0x358637bd, v2
	s_mov_b32 s3, 0
	v_div_scale_f32 v5, null, v3, v3, 1.0
	v_div_scale_f32 v8, vcc_lo, 1.0, v3, 1.0
	v_rcp_f32_e32 v6, v5
	v_fma_f32 v7, -v5, v6, 1.0
	v_fmac_f32_e32 v6, v7, v6
	v_mul_f32_e32 v7, v8, v6
	v_fma_f32 v9, -v5, v7, v8
	v_fmac_f32_e32 v7, v9, v6
	v_fma_f32 v5, -v5, v7, v8
	v_div_fmas_f32 v5, v5, v6, v7
	v_div_fixup_f32 v3, v5, v3, 1.0
	v_mov_b32_e32 v5, v0
.LBB145_27:                             ; =>This Inner Loop Header: Depth=1
	ds_read_b32 v6, v4
	v_add_nc_u32_e32 v5, 0x80, v5
	v_cmp_le_i32_e32 vcc_lo, s5, v5
	s_or_b32 s3, vcc_lo, s3
	s_waitcnt lgkmcnt(0)
	v_mul_f32_e32 v6, v3, v6
	ds_write_b32 v4, v6
	v_add_nc_u32_e32 v4, 0x200, v4
	s_andn2_b32 exec_lo, exec_lo, s3
	s_cbranch_execnz .LBB145_27
.LBB145_28:
	s_or_b32 exec_lo, exec_lo, s2
	s_mul_i32 s2, s7, s22
	s_waitcnt lgkmcnt(0)
	s_mul_i32 s4, s2, s9
	s_mov_b32 s2, exec_lo
	s_barrier
	buffer_gl0_inv
	v_cmpx_eq_u32_e32 0, v0
	s_cbranch_execz .LBB145_30
; %bb.29:
	s_ashr_i32 s5, s4, 31
	s_mul_i32 s36, s7, s6
	s_lshl_b64 s[34:35], s[4:5], 2
	v_mov_b32_e32 v3, 0
	s_add_u32 s3, s18, s34
	s_addc_u32 s5, s19, s35
	s_ashr_i32 s37, s36, 31
	s_lshl_b64 s[18:19], s[36:37], 2
	s_add_u32 s3, s3, s18
	s_addc_u32 s5, s5, s19
	s_ashr_i32 s9, s8, 31
	s_lshl_b64 s[8:9], s[8:9], 2
	s_add_u32 s36, s3, s8
	s_addc_u32 s37, s5, s9
	s_add_u32 s3, s16, s34
	s_addc_u32 s5, s17, s35
	;; [unrolled: 2-line block ×4, first 2 shown]
	global_store_dword v3, v1, s[36:37]
	global_store_dword v3, v2, s[8:9]
.LBB145_30:
	s_or_b32 exec_lo, exec_lo, s2
	v_mov_b32_e32 v22, 0
	v_mov_b32_e32 v23, 0
	s_and_saveexec_b32 s5, s1
	s_cbranch_execz .LBB145_38
; %bb.31:
	s_ashr_i32 s15, s14, 31
	v_lshlrev_b32_e32 v1, 4, v21
	s_lshl_b64 s[2:3], s[14:15], 1
	v_mov_b32_e32 v24, 0
	s_add_u32 s1, s28, s2
	s_addc_u32 s2, s29, s3
	v_add_co_u32 v25, s1, s1, v1
	v_lshlrev_b64 v[1:2], 2, v[17:18]
	v_add_co_ci_u32_e64 v26, null, s2, 0, s1
	s_lshl_b64 s[2:3], s[26:27], 2
	s_add_i32 s30, s30, -1
	s_add_u32 s1, s24, s2
	s_addc_u32 s2, s25, s3
	v_add_co_u32 v18, vcc_lo, s1, v1
	v_lshl_add_u32 v27, v20, 3, s33
	v_lshl_add_u32 v28, v20, 5, 0xa0
	v_add_co_ci_u32_e64 v19, null, s2, v2, vcc_lo
	v_mov_b32_e32 v23, 0
	v_mov_b32_e32 v22, 0
	s_mov_b32 s6, s13
	s_mov_b32 s9, s23
	;; [unrolled: 1-line block ×3, first 2 shown]
	s_branch .LBB145_33
.LBB145_32:                             ;   in Loop: Header=BB145_33 Depth=1
	s_or_b32 exec_lo, exec_lo, s3
	s_waitcnt lgkmcnt(1)
	v_bfe_u32 v29, v13, 16, 1
	v_or_b32_e32 v30, 0x400000, v13
	v_bfe_u32 v31, v14, 16, 1
	v_cmp_u_f32_e32 vcc_lo, v13, v13
	v_bfe_u32 v32, v15, 16, 1
	v_add3_u32 v29, v29, v13, 0x7fff
	v_or_b32_e32 v33, 0x400000, v14
	v_add3_u32 v31, v31, v14, 0x7fff
	v_or_b32_e32 v34, 0x400000, v15
	v_add3_u32 v32, v32, v15, 0x7fff
	v_cndmask_b32_e32 v13, v29, v30, vcc_lo
	v_cmp_u_f32_e32 vcc_lo, v14, v14
	v_bfe_u32 v29, v16, 16, 1
	s_waitcnt lgkmcnt(0)
	v_bfe_u32 v30, v9, 16, 1
	v_add_nc_u32_e32 v17, 4, v17
	v_and_b32_e32 v13, 0xffff0000, v13
	v_cndmask_b32_e32 v14, v31, v33, vcc_lo
	v_cmp_u_f32_e32 vcc_lo, v15, v15
	v_add3_u32 v29, v29, v16, 0x7fff
	v_or_b32_e32 v31, 0x400000, v16
	v_add3_u32 v30, v30, v9, 0x7fff
	v_bfe_u32 v33, v10, 16, 1
	v_cndmask_b32_e32 v15, v32, v34, vcc_lo
	v_cmp_u_f32_e32 vcc_lo, v16, v16
	v_or_b32_e32 v32, 0x400000, v9
	v_and_b32_e32 v14, 0xffff0000, v14
	v_add_co_u32 v18, s1, v18, 16
	v_cndmask_b32_e32 v16, v29, v31, vcc_lo
	v_cmp_u_f32_e32 vcc_lo, v9, v9
	v_add3_u32 v29, v33, v10, 0x7fff
	v_bfe_u32 v31, v11, 16, 1
	v_and_b32_e32 v15, 0xffff0000, v15
	s_waitcnt vmcnt(1)
	v_lshlrev_b32_e32 v33, 16, v6
	v_cndmask_b32_e32 v9, v30, v32, vcc_lo
	v_or_b32_e32 v30, 0x400000, v10
	v_lshlrev_b32_e32 v32, 16, v5
	v_cmp_u_f32_e32 vcc_lo, v10, v10
	v_and_b32_e32 v5, 0xffff0000, v5
	v_mul_f32_e32 v33, v15, v33
	v_and_b32_e32 v16, 0xffff0000, v16
	v_mul_f32_e32 v32, v13, v32
	v_cndmask_b32_e32 v10, v29, v30, vcc_lo
	v_add3_u32 v29, v31, v11, 0x7fff
	v_or_b32_e32 v30, 0x400000, v11
	v_bfe_u32 v31, v12, 16, 1
	v_cmp_u_f32_e32 vcc_lo, v11, v11
	v_mul_f32_e32 v5, v14, v5
	v_and_b32_e32 v6, 0xffff0000, v6
	v_and_b32_e32 v9, 0xffff0000, v9
	v_or_b32_e32 v35, 0x400000, v33
	v_cndmask_b32_e32 v11, v29, v30, vcc_lo
	v_add3_u32 v29, v31, v12, 0x7fff
	v_or_b32_e32 v30, 0x400000, v12
	v_bfe_u32 v31, v32, 16, 1
	v_cmp_u_f32_e32 vcc_lo, v12, v12
	v_mul_f32_e32 v6, v16, v6
	v_or_b32_e32 v34, 0x400000, v5
	v_and_b32_e32 v10, 0xffff0000, v10
	v_and_b32_e32 v11, 0xffff0000, v11
	v_cndmask_b32_e32 v12, v29, v30, vcc_lo
	v_add3_u32 v29, v31, v32, 0x7fff
	v_or_b32_e32 v30, 0x400000, v32
	v_bfe_u32 v31, v5, 16, 1
	v_cmp_u_f32_e32 vcc_lo, v32, v32
	v_lshlrev_b32_e32 v32, 16, v7
	v_bfe_u32 v36, v6, 16, 1
	v_and_b32_e32 v7, 0xffff0000, v7
	v_and_b32_e32 v12, 0xffff0000, v12
	v_cndmask_b32_e32 v29, v29, v30, vcc_lo
	v_add3_u32 v30, v31, v5, 0x7fff
	v_bfe_u32 v31, v33, 16, 1
	v_cmp_u_f32_e32 vcc_lo, v5, v5
	v_mul_f32_e32 v32, v9, v32
	v_mul_f32_e32 v7, v10, v7
	v_and_b32_e32 v29, 0xffff0000, v29
	v_add3_u32 v31, v31, v33, 0x7fff
	v_cndmask_b32_e32 v5, v30, v34, vcc_lo
	v_cmp_u_f32_e32 vcc_lo, v33, v33
	v_bfe_u32 v33, v32, 16, 1
	v_lshlrev_b32_e32 v34, 16, v8
	v_and_b32_e32 v8, 0xffff0000, v8
	v_and_b32_e32 v5, 0xffff0000, v5
	v_cndmask_b32_e32 v30, v31, v35, vcc_lo
	v_add3_u32 v31, v36, v6, 0x7fff
	v_or_b32_e32 v35, 0x400000, v6
	v_cmp_u_f32_e32 vcc_lo, v6, v6
	v_add3_u32 v33, v33, v32, 0x7fff
	v_or_b32_e32 v36, 0x400000, v32
	v_mul_f32_e32 v34, v11, v34
	v_mul_f32_e32 v8, v12, v8
	v_cndmask_b32_e32 v6, v31, v35, vcc_lo
	v_bfe_u32 v31, v7, 16, 1
	v_cmp_u_f32_e32 vcc_lo, v32, v32
	v_or_b32_e32 v35, 0x400000, v7
	v_and_b32_e32 v30, 0xffff0000, v30
	v_and_b32_e32 v6, 0xffff0000, v6
	v_add3_u32 v31, v31, v7, 0x7fff
	v_cndmask_b32_e32 v32, v33, v36, vcc_lo
	v_bfe_u32 v33, v34, 16, 1
	v_cmp_u_f32_e32 vcc_lo, v7, v7
	v_or_b32_e32 v36, 0x400000, v34
	v_add_f32_e32 v5, v29, v5
	v_add_f32_e32 v6, v30, v6
	v_add3_u32 v33, v33, v34, 0x7fff
	v_cndmask_b32_e32 v7, v31, v35, vcc_lo
	v_cmp_u_f32_e32 vcc_lo, v34, v34
	s_waitcnt vmcnt(0)
	v_lshlrev_b32_e32 v35, 16, v1
	v_and_b32_e32 v1, 0xffff0000, v1
	v_or_b32_e32 v34, 0x400000, v8
	v_and_b32_e32 v7, 0xffff0000, v7
	v_cndmask_b32_e32 v31, v33, v36, vcc_lo
	v_bfe_u32 v33, v8, 16, 1
	v_mul_f32_e32 v13, v13, v35
	v_and_b32_e32 v29, 0xffff0000, v32
	v_cmp_u_f32_e32 vcc_lo, v8, v8
	v_add_f32_e32 v5, v6, v5
	v_add3_u32 v33, v33, v8, 0x7fff
	v_bfe_u32 v6, v13, 16, 1
	v_mul_f32_e32 v1, v14, v1
	v_lshlrev_b32_e32 v14, 16, v2
	v_add_f32_e32 v7, v29, v7
	v_cndmask_b32_e32 v8, v33, v34, vcc_lo
	v_add3_u32 v6, v6, v13, 0x7fff
	v_or_b32_e32 v29, 0x400000, v13
	v_bfe_u32 v30, v1, 16, 1
	v_mul_f32_e32 v14, v15, v14
	v_and_b32_e32 v2, 0xffff0000, v2
	v_cmp_u_f32_e32 vcc_lo, v13, v13
	v_or_b32_e32 v15, 0x400000, v1
	v_add3_u32 v13, v30, v1, 0x7fff
	v_and_b32_e32 v8, 0xffff0000, v8
	v_mul_f32_e32 v2, v16, v2
	v_cndmask_b32_e32 v6, v6, v29, vcc_lo
	v_bfe_u32 v29, v14, 16, 1
	v_lshlrev_b32_e32 v16, 16, v3
	v_cmp_u_f32_e32 vcc_lo, v1, v1
	v_and_b32_e32 v3, 0xffff0000, v3
	v_and_b32_e32 v6, 0xffff0000, v6
	v_add_f32_e32 v5, v7, v5
	v_mul_f32_e32 v9, v9, v16
	v_cndmask_b32_e32 v1, v13, v15, vcc_lo
	v_add3_u32 v13, v29, v14, 0x7fff
	v_or_b32_e32 v15, 0x400000, v14
	v_bfe_u32 v29, v2, 16, 1
	v_cmp_u_f32_e32 vcc_lo, v14, v14
	v_bfe_u32 v16, v9, 16, 1
	v_mul_f32_e32 v3, v10, v3
	v_lshlrev_b32_e32 v10, 16, v4
	v_add3_u32 v14, v29, v2, 0x7fff
	v_cndmask_b32_e32 v13, v13, v15, vcc_lo
	v_or_b32_e32 v15, 0x400000, v2
	v_and_b32_e32 v4, 0xffff0000, v4
	v_cmp_u_f32_e32 vcc_lo, v2, v2
	v_mul_f32_e32 v10, v11, v10
	v_or_b32_e32 v11, 0x400000, v9
	v_and_b32_e32 v1, 0xffff0000, v1
	v_mul_f32_e32 v4, v12, v4
	v_cndmask_b32_e32 v2, v14, v15, vcc_lo
	v_bfe_u32 v14, v3, 16, 1
	v_add3_u32 v15, v16, v9, 0x7fff
	v_cmp_u_f32_e32 vcc_lo, v9, v9
	v_bfe_u32 v29, v4, 16, 1
	v_bfe_u32 v16, v10, 16, 1
	v_add3_u32 v12, v14, v3, 0x7fff
	v_or_b32_e32 v14, 0x400000, v3
	v_cndmask_b32_e32 v9, v15, v11, vcc_lo
	v_cmp_u_f32_e32 vcc_lo, v3, v3
	v_add3_u32 v11, v16, v10, 0x7fff
	v_and_b32_e32 v2, 0xffff0000, v2
	v_and_b32_e32 v13, 0xffff0000, v13
	v_or_b32_e32 v15, 0x400000, v10
	v_cndmask_b32_e32 v3, v12, v14, vcc_lo
	v_add3_u32 v12, v29, v4, 0x7fff
	v_or_b32_e32 v14, 0x400000, v4
	v_cmp_u_f32_e32 vcc_lo, v4, v4
	v_add_f32_e32 v1, v6, v1
	v_add_f32_e32 v2, v13, v2
	v_and_b32_e32 v3, 0xffff0000, v3
	v_and_b32_e32 v6, 0xffff0000, v9
	v_cndmask_b32_e32 v4, v12, v14, vcc_lo
	v_cmp_u_f32_e32 vcc_lo, v10, v10
	v_and_b32_e32 v10, 0xffff0000, v31
	v_add_f32_e32 v1, v2, v1
	v_add_f32_e32 v2, v6, v3
	v_and_b32_e32 v3, 0xffff0000, v4
	v_cndmask_b32_e32 v9, v11, v15, vcc_lo
	v_add_f32_e32 v6, v10, v8
	v_cmp_le_i32_e32 vcc_lo, s11, v17
	v_add_f32_e32 v1, v2, v1
	v_add_nc_u32_e32 v27, 32, v27
	v_and_b32_e32 v4, 0xffff0000, v9
	v_add_nc_u32_e32 v28, 0x80, v28
	v_add_co_ci_u32_e64 v19, null, 0, v19, s1
	s_or_b32 s8, vcc_lo, s8
	v_add_f32_e32 v2, v4, v3
	v_add_f32_e32 v3, v6, v5
	;; [unrolled: 1-line block ×5, first 2 shown]
	s_andn2_b32 exec_lo, exec_lo, s8
	s_cbranch_execz .LBB145_37
.LBB145_33:                             ; =>This Inner Loop Header: Depth=1
	global_load_dword v1, v[18:19], off
	v_cmp_eq_u32_e64 s1, s30, v17
	v_add_nc_u32_e32 v35, 1, v27
	v_or_b32_e32 v33, 3, v27
	v_or_b32_e32 v34, 2, v27
	;; [unrolled: 1-line block ×6, first 2 shown]
	s_waitcnt vmcnt(0)
	v_mad_i64_i32 v[1:2], null, v1, s6, 0
	v_lshlrev_b64 v[1:2], 1, v[1:2]
	v_add_co_u32 v1, vcc_lo, v25, v1
	v_add_co_ci_u32_e64 v2, null, v26, v2, vcc_lo
	global_load_dwordx4 v[5:8], v[1:2], off
	ds_read2_b64 v[13:16], v28 offset1:1
	ds_read2_b64 v[9:12], v28 offset0:2 offset1:3
	s_and_saveexec_b32 s13, s1
	s_cbranch_execz .LBB145_35
; %bb.34:                               ;   in Loop: Header=BB145_33 Depth=1
	v_cmp_gt_i32_e64 s2, s23, v27
	v_cmp_gt_i32_e32 vcc_lo, s9, v35
	v_cmp_gt_i32_e64 s3, s23, v34
	s_waitcnt vmcnt(0)
	v_cndmask_b32_e64 v3, 0, v5, s2
	v_cmp_gt_i32_e64 s2, s9, v33
	v_cndmask_b32_sdwa v5, v24, v5, vcc_lo dst_sel:DWORD dst_unused:UNUSED_PAD src0_sel:DWORD src1_sel:WORD_1
	v_cndmask_b32_e64 v4, 0, v6, s3
	v_cmp_gt_i32_e64 s3, s9, v32
	s_mov_b32 vcc_lo, s2
	v_cmp_gt_i32_e64 s2, s9, v30
	v_cndmask_b32_sdwa v6, v24, v6, vcc_lo dst_sel:DWORD dst_unused:UNUSED_PAD src0_sel:DWORD src1_sel:WORD_1
	v_cmp_gt_i32_e32 vcc_lo, s23, v31
	v_perm_b32 v5, v5, v3, 0x5040100
	v_perm_b32 v6, v6, v4, 0x5040100
	v_cndmask_b32_e32 v36, 0, v7, vcc_lo
	s_mov_b32 vcc_lo, s3
	v_cndmask_b32_sdwa v7, v24, v7, vcc_lo dst_sel:DWORD dst_unused:UNUSED_PAD src0_sel:DWORD src1_sel:WORD_1
	v_cmp_gt_i32_e32 vcc_lo, s23, v29
	v_perm_b32 v7, v7, v36, 0x5040100
	v_cndmask_b32_e32 v37, 0, v8, vcc_lo
	s_mov_b32 vcc_lo, s2
	v_cndmask_b32_sdwa v8, v24, v8, vcc_lo dst_sel:DWORD dst_unused:UNUSED_PAD src0_sel:DWORD src1_sel:WORD_1
	v_perm_b32 v8, v8, v37, 0x5040100
.LBB145_35:                             ;   in Loop: Header=BB145_33 Depth=1
	s_or_b32 exec_lo, exec_lo, s13
	global_load_dwordx4 v[1:4], v[1:2], off offset:512
	s_and_saveexec_b32 s3, s1
	s_cbranch_execz .LBB145_32
; %bb.36:                               ;   in Loop: Header=BB145_33 Depth=1
	v_cmp_gt_i32_e64 s1, s23, v27
	v_cmp_gt_i32_e32 vcc_lo, s9, v35
	v_cmp_gt_i32_e64 s2, s23, v34
	s_waitcnt vmcnt(0)
	v_cndmask_b32_e64 v35, 0, v1, s1
	v_cmp_gt_i32_e64 s1, s9, v33
	v_cndmask_b32_sdwa v1, v24, v1, vcc_lo dst_sel:DWORD dst_unused:UNUSED_PAD src0_sel:DWORD src1_sel:WORD_1
	v_cndmask_b32_e64 v33, 0, v2, s2
	v_cmp_gt_i32_e64 s2, s9, v32
	s_mov_b32 vcc_lo, s1
	v_cmp_gt_i32_e64 s1, s9, v30
	v_cndmask_b32_sdwa v2, v24, v2, vcc_lo dst_sel:DWORD dst_unused:UNUSED_PAD src0_sel:DWORD src1_sel:WORD_1
	v_cmp_gt_i32_e32 vcc_lo, s23, v31
	v_perm_b32 v1, v1, v35, 0x5040100
	v_perm_b32 v2, v2, v33, 0x5040100
	v_cndmask_b32_e32 v31, 0, v3, vcc_lo
	s_mov_b32 vcc_lo, s2
	v_cndmask_b32_sdwa v3, v24, v3, vcc_lo dst_sel:DWORD dst_unused:UNUSED_PAD src0_sel:DWORD src1_sel:WORD_1
	v_cmp_gt_i32_e32 vcc_lo, s23, v29
	v_perm_b32 v3, v3, v31, 0x5040100
	v_cndmask_b32_e32 v29, 0, v4, vcc_lo
	s_mov_b32 vcc_lo, s1
	v_cndmask_b32_sdwa v4, v24, v4, vcc_lo dst_sel:DWORD dst_unused:UNUSED_PAD src0_sel:DWORD src1_sel:WORD_1
	v_perm_b32 v4, v4, v29, 0x5040100
	s_branch .LBB145_32
.LBB145_37:
	s_or_b32 exec_lo, exec_lo, s8
.LBB145_38:
	s_or_b32 exec_lo, exec_lo, s5
	v_lshl_add_u32 v2, v21, 2, 0xa0
	v_and_b32_e32 v3, 0x3c0, v0
	s_mov_b32 s1, exec_lo
	s_waitcnt_vscnt null, 0x0
	s_barrier
	v_lshl_add_u32 v1, v20, 8, v2
	buffer_gl0_inv
	v_cmpx_eq_u32_e32 64, v3
	s_cbranch_execz .LBB145_40
; %bb.39:
	v_add_nc_u32_e32 v3, 0xfffffe00, v1
	v_add_nc_u32_e32 v4, 0xfffffe80, v1
	ds_write_b32 v3, v23
	ds_write_b32 v4, v22
.LBB145_40:
	s_or_b32 exec_lo, exec_lo, s1
	s_mov_b32 s1, exec_lo
	s_waitcnt lgkmcnt(0)
	s_barrier
	buffer_gl0_inv
	v_cmpx_gt_u32_e32 64, v0
	s_cbranch_execz .LBB145_42
; %bb.41:
	ds_read2_b32 v[3:4], v1 offset1:32
	s_waitcnt lgkmcnt(0)
	v_add_f32_e32 v23, v23, v3
	v_add_f32_e32 v22, v22, v4
.LBB145_42:
	s_or_b32 exec_lo, exec_lo, s1
	v_and_b32_e32 v3, 0x3e0, v0
	s_mov_b32 s1, exec_lo
	s_barrier
	buffer_gl0_inv
	v_cmpx_eq_u32_e32 32, v3
; %bb.43:
	ds_write2_b32 v2, v23, v22 offset1:32
; %bb.44:
	s_or_b32 exec_lo, exec_lo, s1
	s_waitcnt lgkmcnt(0)
	s_barrier
	buffer_gl0_inv
	s_and_saveexec_b32 s1, s0
	s_cbranch_execz .LBB145_46
; %bb.45:
	ds_read2_b32 v[1:2], v1 offset1:32
	s_waitcnt lgkmcnt(0)
	v_add_f32_e32 v23, v23, v1
	v_add_f32_e32 v22, v22, v2
.LBB145_46:
	s_or_b32 exec_lo, exec_lo, s1
	s_barrier
	buffer_gl0_inv
	s_and_saveexec_b32 s1, s0
	s_cbranch_execz .LBB145_48
; %bb.47:
	s_lshl_b32 s0, s4, 6
	v_bfe_u32 v1, v23, 16, 1
	s_ashr_i32 s1, s0, 31
	s_mul_i32 s2, s7, s10
	s_lshl_b64 s[0:1], s[0:1], 1
	v_bfe_u32 v2, v22, 16, 1
	v_add3_u32 v1, v1, v23, 0x7fff
	v_or_b32_e32 v3, 0x400000, v23
	v_cmp_u_f32_e32 vcc_lo, v23, v23
	s_add_u32 s4, s20, s0
	s_addc_u32 s5, s21, s1
	s_ashr_i32 s3, s2, 31
	v_add3_u32 v2, v2, v22, 0x7fff
	s_lshl_b64 s[0:1], s[2:3], 1
	v_or_b32_e32 v4, 0x400000, v22
	v_cndmask_b32_e32 v1, v1, v3, vcc_lo
	v_cmp_u_f32_e32 vcc_lo, v22, v22
	s_add_u32 s2, s4, s0
	s_addc_u32 s3, s5, s1
	s_ashr_i32 s13, s12, 31
	v_lshlrev_b32_e32 v0, 1, v0
	s_lshl_b64 s[0:1], s[12:13], 1
	v_cndmask_b32_e32 v2, v2, v4, vcc_lo
	s_add_u32 s0, s2, s0
	s_addc_u32 s1, s3, s1
	global_store_short_d16_hi v0, v1, s[0:1]
	global_store_short_d16_hi v0, v2, s[0:1] offset:64
.LBB145_48:
	s_endpgm
	.section	.rodata,"a",@progbits
	.p2align	6, 0x0
	.amdhsa_kernel _ZN4vllm25paged_attention_v2_kernelI14__hip_bfloat16S1_Li64ELi8ELi128ELNS_18Fp8KVCacheDataTypeE0ELb0ELi512EEEvPfS3_PT_PKS4_PKT0_SA_ifPKiSC_iPKfiiiSE_SE_iiiii
		.amdhsa_group_segment_fixed_size 160
		.amdhsa_private_segment_fixed_size 0
		.amdhsa_kernarg_size 400
		.amdhsa_user_sgpr_count 6
		.amdhsa_user_sgpr_private_segment_buffer 1
		.amdhsa_user_sgpr_dispatch_ptr 0
		.amdhsa_user_sgpr_queue_ptr 0
		.amdhsa_user_sgpr_kernarg_segment_ptr 1
		.amdhsa_user_sgpr_dispatch_id 0
		.amdhsa_user_sgpr_flat_scratch_init 0
		.amdhsa_user_sgpr_private_segment_size 0
		.amdhsa_wavefront_size32 1
		.amdhsa_uses_dynamic_stack 0
		.amdhsa_system_sgpr_private_segment_wavefront_offset 0
		.amdhsa_system_sgpr_workgroup_id_x 1
		.amdhsa_system_sgpr_workgroup_id_y 1
		.amdhsa_system_sgpr_workgroup_id_z 1
		.amdhsa_system_sgpr_workgroup_info 0
		.amdhsa_system_vgpr_workitem_id 0
		.amdhsa_next_free_vgpr 44
		.amdhsa_next_free_sgpr 38
		.amdhsa_reserve_vcc 1
		.amdhsa_reserve_flat_scratch 0
		.amdhsa_float_round_mode_32 0
		.amdhsa_float_round_mode_16_64 0
		.amdhsa_float_denorm_mode_32 3
		.amdhsa_float_denorm_mode_16_64 3
		.amdhsa_dx10_clamp 1
		.amdhsa_ieee_mode 1
		.amdhsa_fp16_overflow 0
		.amdhsa_workgroup_processor_mode 1
		.amdhsa_memory_ordered 1
		.amdhsa_forward_progress 1
		.amdhsa_shared_vgpr_count 0
		.amdhsa_exception_fp_ieee_invalid_op 0
		.amdhsa_exception_fp_denorm_src 0
		.amdhsa_exception_fp_ieee_div_zero 0
		.amdhsa_exception_fp_ieee_overflow 0
		.amdhsa_exception_fp_ieee_underflow 0
		.amdhsa_exception_fp_ieee_inexact 0
		.amdhsa_exception_int_div_zero 0
	.end_amdhsa_kernel
	.section	.text._ZN4vllm25paged_attention_v2_kernelI14__hip_bfloat16S1_Li64ELi8ELi128ELNS_18Fp8KVCacheDataTypeE0ELb0ELi512EEEvPfS3_PT_PKS4_PKT0_SA_ifPKiSC_iPKfiiiSE_SE_iiiii,"axG",@progbits,_ZN4vllm25paged_attention_v2_kernelI14__hip_bfloat16S1_Li64ELi8ELi128ELNS_18Fp8KVCacheDataTypeE0ELb0ELi512EEEvPfS3_PT_PKS4_PKT0_SA_ifPKiSC_iPKfiiiSE_SE_iiiii,comdat
.Lfunc_end145:
	.size	_ZN4vllm25paged_attention_v2_kernelI14__hip_bfloat16S1_Li64ELi8ELi128ELNS_18Fp8KVCacheDataTypeE0ELb0ELi512EEEvPfS3_PT_PKS4_PKT0_SA_ifPKiSC_iPKfiiiSE_SE_iiiii, .Lfunc_end145-_ZN4vllm25paged_attention_v2_kernelI14__hip_bfloat16S1_Li64ELi8ELi128ELNS_18Fp8KVCacheDataTypeE0ELb0ELi512EEEvPfS3_PT_PKS4_PKT0_SA_ifPKiSC_iPKfiiiSE_SE_iiiii
                                        ; -- End function
	.set _ZN4vllm25paged_attention_v2_kernelI14__hip_bfloat16S1_Li64ELi8ELi128ELNS_18Fp8KVCacheDataTypeE0ELb0ELi512EEEvPfS3_PT_PKS4_PKT0_SA_ifPKiSC_iPKfiiiSE_SE_iiiii.num_vgpr, 44
	.set _ZN4vllm25paged_attention_v2_kernelI14__hip_bfloat16S1_Li64ELi8ELi128ELNS_18Fp8KVCacheDataTypeE0ELb0ELi512EEEvPfS3_PT_PKS4_PKT0_SA_ifPKiSC_iPKfiiiSE_SE_iiiii.num_agpr, 0
	.set _ZN4vllm25paged_attention_v2_kernelI14__hip_bfloat16S1_Li64ELi8ELi128ELNS_18Fp8KVCacheDataTypeE0ELb0ELi512EEEvPfS3_PT_PKS4_PKT0_SA_ifPKiSC_iPKfiiiSE_SE_iiiii.numbered_sgpr, 38
	.set _ZN4vllm25paged_attention_v2_kernelI14__hip_bfloat16S1_Li64ELi8ELi128ELNS_18Fp8KVCacheDataTypeE0ELb0ELi512EEEvPfS3_PT_PKS4_PKT0_SA_ifPKiSC_iPKfiiiSE_SE_iiiii.num_named_barrier, 0
	.set _ZN4vllm25paged_attention_v2_kernelI14__hip_bfloat16S1_Li64ELi8ELi128ELNS_18Fp8KVCacheDataTypeE0ELb0ELi512EEEvPfS3_PT_PKS4_PKT0_SA_ifPKiSC_iPKfiiiSE_SE_iiiii.private_seg_size, 0
	.set _ZN4vllm25paged_attention_v2_kernelI14__hip_bfloat16S1_Li64ELi8ELi128ELNS_18Fp8KVCacheDataTypeE0ELb0ELi512EEEvPfS3_PT_PKS4_PKT0_SA_ifPKiSC_iPKfiiiSE_SE_iiiii.uses_vcc, 1
	.set _ZN4vllm25paged_attention_v2_kernelI14__hip_bfloat16S1_Li64ELi8ELi128ELNS_18Fp8KVCacheDataTypeE0ELb0ELi512EEEvPfS3_PT_PKS4_PKT0_SA_ifPKiSC_iPKfiiiSE_SE_iiiii.uses_flat_scratch, 0
	.set _ZN4vllm25paged_attention_v2_kernelI14__hip_bfloat16S1_Li64ELi8ELi128ELNS_18Fp8KVCacheDataTypeE0ELb0ELi512EEEvPfS3_PT_PKS4_PKT0_SA_ifPKiSC_iPKfiiiSE_SE_iiiii.has_dyn_sized_stack, 0
	.set _ZN4vllm25paged_attention_v2_kernelI14__hip_bfloat16S1_Li64ELi8ELi128ELNS_18Fp8KVCacheDataTypeE0ELb0ELi512EEEvPfS3_PT_PKS4_PKT0_SA_ifPKiSC_iPKfiiiSE_SE_iiiii.has_recursion, 0
	.set _ZN4vllm25paged_attention_v2_kernelI14__hip_bfloat16S1_Li64ELi8ELi128ELNS_18Fp8KVCacheDataTypeE0ELb0ELi512EEEvPfS3_PT_PKS4_PKT0_SA_ifPKiSC_iPKfiiiSE_SE_iiiii.has_indirect_call, 0
	.section	.AMDGPU.csdata,"",@progbits
; Kernel info:
; codeLenInByte = 4864
; TotalNumSgprs: 40
; NumVgprs: 44
; ScratchSize: 0
; MemoryBound: 0
; FloatMode: 240
; IeeeMode: 1
; LDSByteSize: 160 bytes/workgroup (compile time only)
; SGPRBlocks: 0
; VGPRBlocks: 5
; NumSGPRsForWavesPerEU: 40
; NumVGPRsForWavesPerEU: 44
; Occupancy: 16
; WaveLimiterHint : 1
; COMPUTE_PGM_RSRC2:SCRATCH_EN: 0
; COMPUTE_PGM_RSRC2:USER_SGPR: 6
; COMPUTE_PGM_RSRC2:TRAP_HANDLER: 0
; COMPUTE_PGM_RSRC2:TGID_X_EN: 1
; COMPUTE_PGM_RSRC2:TGID_Y_EN: 1
; COMPUTE_PGM_RSRC2:TGID_Z_EN: 1
; COMPUTE_PGM_RSRC2:TIDIG_COMP_CNT: 0
	.section	.text._ZN4vllm25paged_attention_v2_kernelI14__hip_bfloat16S1_Li80ELi8ELi128ELNS_18Fp8KVCacheDataTypeE0ELb0ELi512EEEvPfS3_PT_PKS4_PKT0_SA_ifPKiSC_iPKfiiiSE_SE_iiiii,"axG",@progbits,_ZN4vllm25paged_attention_v2_kernelI14__hip_bfloat16S1_Li80ELi8ELi128ELNS_18Fp8KVCacheDataTypeE0ELb0ELi512EEEvPfS3_PT_PKS4_PKT0_SA_ifPKiSC_iPKfiiiSE_SE_iiiii,comdat
	.protected	_ZN4vllm25paged_attention_v2_kernelI14__hip_bfloat16S1_Li80ELi8ELi128ELNS_18Fp8KVCacheDataTypeE0ELb0ELi512EEEvPfS3_PT_PKS4_PKT0_SA_ifPKiSC_iPKfiiiSE_SE_iiiii ; -- Begin function _ZN4vllm25paged_attention_v2_kernelI14__hip_bfloat16S1_Li80ELi8ELi128ELNS_18Fp8KVCacheDataTypeE0ELb0ELi512EEEvPfS3_PT_PKS4_PKT0_SA_ifPKiSC_iPKfiiiSE_SE_iiiii
	.globl	_ZN4vllm25paged_attention_v2_kernelI14__hip_bfloat16S1_Li80ELi8ELi128ELNS_18Fp8KVCacheDataTypeE0ELb0ELi512EEEvPfS3_PT_PKS4_PKT0_SA_ifPKiSC_iPKfiiiSE_SE_iiiii
	.p2align	8
	.type	_ZN4vllm25paged_attention_v2_kernelI14__hip_bfloat16S1_Li80ELi8ELi128ELNS_18Fp8KVCacheDataTypeE0ELb0ELi512EEEvPfS3_PT_PKS4_PKT0_SA_ifPKiSC_iPKfiiiSE_SE_iiiii,@function
_ZN4vllm25paged_attention_v2_kernelI14__hip_bfloat16S1_Li80ELi8ELi128ELNS_18Fp8KVCacheDataTypeE0ELb0ELi512EEEvPfS3_PT_PKS4_PKT0_SA_ifPKiSC_iPKfiiiSE_SE_iiiii: ; @_ZN4vllm25paged_attention_v2_kernelI14__hip_bfloat16S1_Li80ELi8ELi128ELNS_18Fp8KVCacheDataTypeE0ELb0ELi512EEEvPfS3_PT_PKS4_PKT0_SA_ifPKiSC_iPKfiiiSE_SE_iiiii
; %bb.0:
	s_load_dwordx2 s[0:1], s[4:5], 0x40
	s_mov_b32 s22, s7
	s_ashr_i32 s23, s7, 31
	s_lshl_b64 s[2:3], s[22:23], 2
	s_waitcnt lgkmcnt(0)
	s_add_u32 s0, s0, s2
	s_addc_u32 s1, s1, s3
	s_lshl_b32 s33, s8, 9
	s_load_dword s23, s[0:1], 0x0
	s_waitcnt lgkmcnt(0)
	s_cmp_ge_i32 s33, s23
	s_cbranch_scc1 .LBB146_59
; %bb.1:
	s_clause 0x1
	s_load_dword s9, s[4:5], 0x90
	s_load_dwordx2 s[30:31], s[4:5], 0x30
	s_mov_b32 s34, 0
	s_waitcnt lgkmcnt(0)
	s_abs_i32 s3, s9
	s_abs_i32 s0, s30
	v_cvt_f32_u32_e32 v1, s0
	s_sub_i32 s2, 0, s0
	v_rcp_iflag_f32_e32 v1, v1
	v_mul_f32_e32 v1, 0x4f7ffffe, v1
	v_cvt_u32_f32_e32 v1, v1
	v_readfirstlane_b32 s1, v1
	s_mul_i32 s2, s2, s1
	s_mul_hi_u32 s2, s1, s2
	s_add_i32 s1, s1, s2
	s_xor_b32 s2, s9, s30
	s_mul_hi_u32 s1, s3, s1
	s_ashr_i32 s2, s2, 31
	s_mul_i32 s7, s1, s0
	s_sub_i32 s3, s3, s7
	s_add_i32 s7, s1, 1
	s_sub_i32 s10, s3, s0
	s_cmp_ge_u32 s3, s0
	s_cselect_b32 s1, s7, s1
	s_cselect_b32 s3, s10, s3
	s_add_i32 s7, s1, 1
	s_cmp_ge_u32 s3, s0
	s_cselect_b32 s0, s7, s1
	s_abs_i32 s16, s6
	s_xor_b32 s0, s0, s2
	s_sub_i32 s10, s0, s2
	s_load_dwordx2 s[0:1], s[4:5], 0x50
	s_abs_i32 s2, s10
	v_cvt_f32_u32_e32 v1, s2
	s_sub_i32 s7, 0, s2
	v_rcp_iflag_f32_e32 v1, v1
	v_mul_f32_e32 v1, 0x4f7ffffe, v1
	v_cvt_u32_f32_e32 v1, v1
	v_readfirstlane_b32 s3, v1
	s_mul_i32 s7, s7, s3
	s_mul_hi_u32 s7, s3, s7
	s_add_i32 s3, s3, s7
	s_waitcnt lgkmcnt(0)
	s_cmp_eq_u64 s[0:1], 0
	s_mul_hi_u32 s3, s16, s3
	s_cbranch_scc1 .LBB146_3
; %bb.2:
	s_ashr_i32 s7, s6, 31
	s_lshl_b64 s[12:13], s[6:7], 2
	s_add_u32 s0, s0, s12
	s_addc_u32 s1, s1, s13
	s_load_dword s34, s[0:1], 0x0
.LBB146_3:
	s_load_dwordx4 s[12:15], s[4:5], 0x58
	v_and_b32_e32 v1, 3, v0
	v_lshlrev_b32_e32 v2, 2, v0
	s_ashr_i32 s0, s6, 31
	s_ashr_i32 s1, s10, 31
	s_mul_i32 s10, s6, 0x50
	s_mov_b32 s7, exec_lo
	v_cmpx_gt_u32_e32 40, v0
	s_cbranch_execz .LBB146_5
; %bb.4:
	s_load_dwordx2 s[18:19], s[4:5], 0x18
	s_waitcnt lgkmcnt(0)
	s_mul_i32 s20, s12, s22
	v_and_b32_e32 v4, 0x3fc, v0
	s_ashr_i32 s21, s20, 31
	s_lshl_b64 s[20:21], s[20:21], 1
	v_mad_u32_u24 v4, v1, 40, v4
	s_add_u32 s12, s18, s20
	s_addc_u32 s15, s19, s21
	s_ashr_i32 s11, s10, 31
	s_lshl_b64 s[18:19], s[10:11], 1
	s_add_u32 s18, s12, s18
	s_addc_u32 s19, s15, s19
	global_load_dword v3, v2, s[18:19]
	s_waitcnt vmcnt(0)
	ds_write_b32 v4, v3
.LBB146_5:
	s_or_b32 exec_lo, exec_lo, s7
	s_add_i32 s7, s23, 7
	s_load_dwordx2 s[24:25], s[4:5], 0x38
	s_waitcnt lgkmcnt(0)
	s_load_dword s15, s[4:5], 0x48
	s_ashr_i32 s11, s7, 31
	s_lshl_b32 s30, s8, 6
	s_lshr_b32 s11, s11, 29
	s_xor_b32 s0, s0, s1
	s_add_i32 s7, s7, s11
	s_add_i32 s1, s30, 64
	s_ashr_i32 s12, s7, 3
	s_mul_i32 s7, s3, s2
	s_min_i32 s11, s1, s12
	s_sub_i32 s1, s16, s7
	s_add_i32 s7, s3, 1
	s_sub_i32 s16, s1, s2
	s_cmp_ge_u32 s1, s2
	v_lshrrev_b32_e32 v20, 5, v0
	s_cselect_b32 s3, s7, s3
	s_cselect_b32 s1, s16, s1
	s_add_i32 s7, s3, 1
	s_cmp_ge_u32 s1, s2
	v_or_b32_e32 v17, s30, v20
	s_cselect_b32 s1, s7, s3
	v_mbcnt_lo_u32_b32 v3, -1, 0
	s_xor_b32 s1, s1, s0
	s_waitcnt lgkmcnt(0)
	s_mul_i32 s26, s15, s22
	s_sub_i32 s1, s1, s0
	v_cmp_gt_i32_e64 s0, s11, v17
	s_ashr_i32 s27, s26, 31
	s_mov_b32 s2, exec_lo
	s_barrier
	buffer_gl0_inv
                                        ; implicit-def: $vgpr4
                                        ; implicit-def: $vgpr5
	v_cmpx_le_i32_e64 s11, v17
	s_xor_b32 s2, exec_lo, s2
; %bb.6:
	v_mov_b32_e32 v4, 0
	v_mbcnt_lo_u32_b32 v3, -1, 0
	v_mov_b32_e32 v5, 32
                                        ; implicit-def: $vgpr2
                                        ; implicit-def: $vgpr1
; %bb.7:
	s_or_saveexec_b32 s35, s2
	s_clause 0x3
	s_load_dwordx4 s[16:19], s[4:5], 0x0
	s_load_dwordx2 s[20:21], s[4:5], 0x10
	s_load_dwordx2 s[28:29], s[4:5], 0x28
	s_load_dword s7, s[4:5], 0x98
	v_mov_b32_e32 v28, 0xff7fffff
	v_ashrrev_i32_e32 v18, 31, v17
	s_mul_i32 s14, s1, s14
	s_xor_b32 exec_lo, exec_lo, s35
	s_cbranch_execz .LBB146_13
; %bb.8:
	s_load_dwordx2 s[2:3], s[4:5], 0x20
	v_bfe_u32 v28, v0, 2, 3
	s_ashr_i32 s15, s14, 31
	v_mul_u32_u24_e32 v5, 40, v1
	s_lshl_b64 s[4:5], s[14:15], 1
	v_and_b32_e32 v2, 12, v2
	v_lshlrev_b32_e32 v6, 4, v28
	v_lshlrev_b32_e32 v34, 3, v20
	ds_read2_b64 v[10:13], v5 offset1:1
	ds_read2_b64 v[23:26], v5 offset0:2 offset1:3
	ds_read_b64 v[30:31], v5 offset:32
	v_mov_b32_e32 v4, 0
	v_mov_b32_e32 v36, v17
	v_add3_u32 v34, s33, v34, v28
	s_mov_b32 s15, s13
	s_waitcnt lgkmcnt(0)
	s_add_u32 s1, s2, s4
	s_addc_u32 s2, s3, s5
	v_add_co_u32 v5, s1, s1, v6
	v_add_co_ci_u32_e64 v15, null, s2, 0, s1
	s_lshl_b64 s[2:3], s[26:27], 2
	v_add_co_u32 v14, vcc_lo, v5, v2
	v_xor_b32_e32 v2, 2, v3
	v_add_co_ci_u32_e64 v15, null, 0, v15, vcc_lo
	v_xor_b32_e32 v5, 1, v3
	s_sub_i32 s4, 1, s23
	v_cmp_gt_i32_e32 vcc_lo, 32, v2
	s_add_u32 s2, s24, s2
	s_addc_u32 s3, s25, s3
	v_lshlrev_b32_e32 v6, 16, v10
	v_and_b32_e32 v7, 0xffff0000, v10
	v_cndmask_b32_e32 v2, v3, v2, vcc_lo
	v_cmp_gt_i32_e32 vcc_lo, 32, v5
	v_lshlrev_b32_e32 v8, 16, v11
	v_and_b32_e32 v9, 0xffff0000, v11
	v_lshlrev_b32_e32 v10, 16, v12
	v_lshlrev_b32_e32 v32, 2, v2
	;; [unrolled: 1-line block ×3, first 2 shown]
	v_cndmask_b32_e32 v33, v3, v5, vcc_lo
	v_cmp_eq_u32_e32 vcc_lo, 0, v1
	v_and_b32_e32 v11, 0xffff0000, v12
	v_lshlrev_b32_e32 v12, 16, v13
	v_lshl_or_b32 v35, v20, 5, v2
	v_lshlrev_b64 v[1:2], 2, v[17:18]
	v_and_b32_e32 v13, 0xffff0000, v13
	v_lshlrev_b32_e32 v16, 16, v23
	v_and_b32_e32 v19, 0xffff0000, v23
	v_lshlrev_b32_e32 v21, 16, v24
	v_and_b32_e32 v22, 0xffff0000, v24
	v_add_co_u32 v1, s2, s2, v1
	v_lshlrev_b32_e32 v23, 16, v25
	v_and_b32_e32 v24, 0xffff0000, v25
	v_lshlrev_b32_e32 v25, 16, v26
	v_and_b32_e32 v26, 0xffff0000, v26
	;; [unrolled: 2-line block ×4, first 2 shown]
	v_mov_b32_e32 v5, 32
	v_lshlrev_b32_e32 v33, 2, v33
	v_cmp_neq_f32_e64 s1, s34, 0
	v_add_nc_u32_e32 v35, 0xc0, v35
	v_add_co_ci_u32_e64 v2, null, s3, v2, s2
	v_mov_b32_e32 v28, 0xff7fffff
	s_mov_b32 s5, 0
	s_branch .LBB146_10
.LBB146_9:                              ;   in Loop: Header=BB146_10 Depth=1
	s_or_b32 exec_lo, exec_lo, s3
	v_add_nc_u32_e32 v36, 4, v36
	v_add_co_u32 v1, s3, v1, 16
	v_add_nc_u32_e32 v34, 32, v34
	v_add_nc_u32_e32 v35, 0x80, v35
	v_cmp_le_i32_e64 s2, s11, v36
	v_add_co_ci_u32_e64 v2, null, 0, v2, s3
	s_or_b32 s5, s2, s5
	s_andn2_b32 exec_lo, exec_lo, s5
	s_cbranch_execz .LBB146_12
.LBB146_10:                             ; =>This Inner Loop Header: Depth=1
	global_load_dword v37, v[1:2], off
	s_waitcnt vmcnt(0) lgkmcnt(0)
	v_mad_i64_i32 v[37:38], null, v37, s15, 0
	v_lshlrev_b64 v[37:38], 1, v[37:38]
	v_add_co_u32 v37, s2, v14, v37
	v_add_co_ci_u32_e64 v38, null, v15, v38, s2
	s_clause 0x9
	global_load_dword v39, v[37:38], off offset:128
	global_load_dword v40, v[37:38], off
	global_load_dword v41, v[37:38], off offset:256
	global_load_dword v42, v[37:38], off offset:384
	;; [unrolled: 1-line block ×8, first 2 shown]
	s_waitcnt vmcnt(9)
	v_lshlrev_b32_e32 v38, 16, v39
	v_and_b32_e32 v39, 0xffff0000, v39
	s_waitcnt vmcnt(8)
	v_lshlrev_b32_e32 v48, 16, v40
	v_and_b32_e32 v40, 0xffff0000, v40
	s_waitcnt vmcnt(7)
	v_lshlrev_b32_e32 v49, 16, v41
	v_mul_f32_e32 v38, v8, v38
	v_mul_f32_e32 v39, v9, v39
	v_and_b32_e32 v41, 0xffff0000, v41
	v_fmac_f32_e32 v38, v6, v48
	v_fmac_f32_e32 v39, v7, v40
	s_waitcnt vmcnt(6)
	v_lshlrev_b32_e32 v40, 16, v42
	v_and_b32_e32 v42, 0xffff0000, v42
	v_fmac_f32_e32 v38, v10, v49
	v_fmac_f32_e32 v39, v11, v41
	s_waitcnt vmcnt(5)
	v_lshlrev_b32_e32 v41, 16, v43
	;; [unrolled: 5-line block ×7, first 2 shown]
	v_and_b32_e32 v37, 0xffff0000, v37
	v_fmac_f32_e32 v38, v27, v41
	v_fmac_f32_e32 v39, v29, v43
	;; [unrolled: 1-line block ×4, first 2 shown]
	v_add_f32_e32 v37, v38, v39
	ds_bpermute_b32 v38, v32, v37
	s_waitcnt lgkmcnt(0)
	v_add_f32_e32 v37, v37, v38
	ds_bpermute_b32 v38, v33, v37
	s_and_saveexec_b32 s3, vcc_lo
	s_cbranch_execz .LBB146_9
; %bb.11:                               ;   in Loop: Header=BB146_10 Depth=1
	v_add_nc_u32_e32 v39, s4, v34
	s_waitcnt lgkmcnt(0)
	v_add_f32_e32 v37, v37, v38
	v_cmp_gt_i32_e64 s2, s23, v34
	v_cvt_f32_i32_e32 v39, v39
	v_mul_f32_e32 v39, s34, v39
	v_cndmask_b32_e64 v38, 0, v39, s1
	v_max_f32_e32 v39, v28, v28
	v_fmac_f32_e32 v38, s31, v37
	v_max_f32_e32 v37, v39, v38
	v_cndmask_b32_e64 v38, 0, v38, s2
	v_cndmask_b32_e64 v28, v28, v37, s2
	ds_write_b32 v35, v38
	s_branch .LBB146_9
.LBB146_12:
	s_or_b32 exec_lo, exec_lo, s5
.LBB146_13:
	s_or_b32 exec_lo, exec_lo, s35
	v_xor_b32_e32 v1, 16, v3
	v_xor_b32_e32 v6, 8, v3
	v_max_f32_e32 v7, v28, v28
	v_xor_b32_e32 v8, 4, v3
	v_and_b32_e32 v21, 31, v0
	v_cmp_lt_i32_e32 vcc_lo, v1, v5
	v_cndmask_b32_e32 v1, v3, v1, vcc_lo
	v_cmp_lt_i32_e32 vcc_lo, v6, v5
	v_lshlrev_b32_e32 v2, 2, v1
	v_cndmask_b32_e32 v6, v3, v6, vcc_lo
	v_cmp_lt_i32_e32 vcc_lo, v8, v5
	ds_bpermute_b32 v1, v2, v28
	v_lshlrev_b32_e32 v6, 2, v6
	v_cndmask_b32_e32 v8, v3, v8, vcc_lo
	v_cmp_eq_u32_e32 vcc_lo, 0, v21
	v_lshlrev_b32_e32 v9, 2, v8
	s_waitcnt lgkmcnt(0)
	v_max_f32_e32 v1, v1, v1
	v_max_f32_e32 v1, v7, v1
	ds_bpermute_b32 v7, v6, v1
	s_waitcnt lgkmcnt(0)
	v_max_f32_e32 v7, v7, v7
	v_max_f32_e32 v1, v1, v7
	v_lshlrev_b32_e32 v7, 2, v20
	ds_bpermute_b32 v8, v9, v1
	s_and_saveexec_b32 s1, vcc_lo
	s_cbranch_execz .LBB146_15
; %bb.14:
	s_waitcnt lgkmcnt(0)
	v_max_f32_e32 v8, v8, v8
	v_max_f32_e32 v1, v1, v1
	;; [unrolled: 1-line block ×3, first 2 shown]
	ds_write_b32 v7, v1 offset:160
.LBB146_15:
	s_or_b32 exec_lo, exec_lo, s1
	v_cmp_gt_u32_e64 s1, 4, v21
	v_mov_b32_e32 v1, 0xff7fffff
	s_waitcnt lgkmcnt(0)
	v_lshlrev_b32_e32 v8, 2, v21
	s_barrier
	buffer_gl0_inv
	s_and_saveexec_b32 s2, s1
; %bb.16:
	ds_read_b32 v1, v8 offset:160
; %bb.17:
	s_or_b32 exec_lo, exec_lo, s2
	v_xor_b32_e32 v10, 2, v3
	v_xor_b32_e32 v12, 1, v3
	v_lshlrev_b32_e32 v4, 2, v4
	v_lshl_add_u32 v22, v0, 2, 0xc0
	v_cmp_lt_i32_e64 s2, v10, v5
	v_cndmask_b32_e64 v10, v3, v10, s2
	v_cmp_lt_i32_e64 s2, v12, v5
	v_lshlrev_b32_e32 v10, 2, v10
	v_cndmask_b32_e64 v5, v3, v12, s2
	s_sub_i32 s2, s11, s30
	s_lshl_b32 s2, s2, 3
	s_waitcnt lgkmcnt(0)
	ds_bpermute_b32 v11, v10, v1
	v_max_f32_e32 v1, v1, v1
	v_lshlrev_b32_e32 v5, 2, v5
	s_add_i32 s2, s2, s33
	s_min_i32 s2, s2, s23
	s_sub_i32 s4, s2, s33
	v_cmp_gt_i32_e64 s2, s4, v0
	s_waitcnt lgkmcnt(0)
	v_max_f32_e32 v11, v11, v11
	v_max_f32_e32 v1, v1, v11
	ds_bpermute_b32 v11, v5, v1
	s_waitcnt lgkmcnt(0)
	v_max_f32_e32 v11, v11, v11
	v_max_f32_e32 v1, v1, v11
	ds_bpermute_b32 v1, v4, v1
	v_mov_b32_e32 v4, 0
	s_and_saveexec_b32 s5, s2
	s_cbranch_execz .LBB146_21
; %bb.18:
	v_lshl_add_u32 v11, v0, 2, 0xc0
	v_mov_b32_e32 v4, 0
	v_mov_b32_e32 v12, v0
	s_mov_b32 s15, 0
	.p2align	6
.LBB146_19:                             ; =>This Inner Loop Header: Depth=1
	ds_read_b32 v13, v11
	v_add_nc_u32_e32 v12, 0x80, v12
	v_cmp_le_i32_e64 s3, s4, v12
	s_or_b32 s15, s3, s15
	s_waitcnt lgkmcnt(0)
	v_sub_f32_e32 v13, v13, v1
	v_mul_f32_e32 v13, 0x3fb8aa3b, v13
	v_exp_f32_e32 v13, v13
	ds_write_b32 v11, v13
	v_add_f32_e32 v4, v4, v13
	v_add_nc_u32_e32 v11, 0x200, v11
	s_andn2_b32 exec_lo, exec_lo, s15
	s_cbranch_execnz .LBB146_19
; %bb.20:
	s_or_b32 exec_lo, exec_lo, s15
.LBB146_21:
	s_or_b32 exec_lo, exec_lo, s5
	ds_bpermute_b32 v2, v2, v4
	s_waitcnt lgkmcnt(0)
	v_add_f32_e32 v2, v4, v2
	ds_bpermute_b32 v4, v6, v2
	s_waitcnt lgkmcnt(0)
	v_add_f32_e32 v2, v2, v4
	;; [unrolled: 3-line block ×5, first 2 shown]
	s_and_saveexec_b32 s3, vcc_lo
; %bb.22:
	ds_write_b32 v7, v2 offset:176
; %bb.23:
	s_or_b32 exec_lo, exec_lo, s3
	s_waitcnt lgkmcnt(0)
	s_barrier
	buffer_gl0_inv
	s_and_saveexec_b32 s3, s1
; %bb.24:
	ds_read_b32 v2, v8 offset:176
; %bb.25:
	s_or_b32 exec_lo, exec_lo, s3
	s_waitcnt lgkmcnt(0)
	ds_bpermute_b32 v4, v10, v2
	v_lshlrev_b32_e32 v3, 2, v3
	v_and_b32_e32 v3, 0xffffff80, v3
	s_waitcnt lgkmcnt(0)
	v_add_f32_e32 v2, v2, v4
	ds_bpermute_b32 v4, v5, v2
	s_waitcnt lgkmcnt(0)
	v_add_f32_e32 v2, v2, v4
	ds_bpermute_b32 v2, v3, v2
	s_and_saveexec_b32 s1, s2
	s_cbranch_execz .LBB146_28
; %bb.26:
	s_waitcnt lgkmcnt(0)
	v_add_f32_e32 v4, 0x358637bd, v2
	s_mov_b32 s2, 0
	v_div_scale_f32 v3, null, v4, v4, 1.0
	v_div_scale_f32 v7, vcc_lo, 1.0, v4, 1.0
	v_rcp_f32_e32 v5, v3
	v_fma_f32 v6, -v3, v5, 1.0
	v_fmac_f32_e32 v5, v6, v5
	v_mul_f32_e32 v6, v7, v5
	v_fma_f32 v8, -v3, v6, v7
	v_fmac_f32_e32 v6, v8, v5
	v_fma_f32 v3, -v3, v6, v7
	v_div_fmas_f32 v5, v3, v5, v6
	v_mov_b32_e32 v3, v22
	v_div_fixup_f32 v4, v5, v4, 1.0
	v_mov_b32_e32 v5, v0
.LBB146_27:                             ; =>This Inner Loop Header: Depth=1
	ds_read_b32 v6, v3
	v_add_nc_u32_e32 v5, 0x80, v5
	v_cmp_le_i32_e32 vcc_lo, s4, v5
	s_or_b32 s2, vcc_lo, s2
	s_waitcnt lgkmcnt(0)
	v_mul_f32_e32 v6, v4, v6
	ds_write_b32 v3, v6
	v_add_nc_u32_e32 v3, 0x200, v3
	s_andn2_b32 exec_lo, exec_lo, s2
	s_cbranch_execnz .LBB146_27
.LBB146_28:
	s_or_b32 exec_lo, exec_lo, s1
	s_mul_i32 s1, s7, s22
	s_waitcnt lgkmcnt(0)
	s_mul_i32 s4, s1, s9
	s_mov_b32 s1, exec_lo
	s_barrier
	buffer_gl0_inv
	v_cmpx_eq_u32_e32 0, v0
	s_cbranch_execz .LBB146_30
; %bb.29:
	s_ashr_i32 s5, s4, 31
	s_mul_i32 s30, s7, s6
	s_lshl_b64 s[2:3], s[4:5], 2
	v_mov_b32_e32 v3, 0
	s_add_u32 s5, s18, s2
	s_addc_u32 s6, s19, s3
	s_ashr_i32 s31, s30, 31
	s_lshl_b64 s[18:19], s[30:31], 2
	s_add_u32 s5, s5, s18
	s_addc_u32 s6, s6, s19
	s_ashr_i32 s9, s8, 31
	s_lshl_b64 s[30:31], s[8:9], 2
	s_add_u32 s34, s5, s30
	s_addc_u32 s35, s6, s31
	s_add_u32 s2, s16, s2
	s_addc_u32 s3, s17, s3
	;; [unrolled: 2-line block ×4, first 2 shown]
	global_store_dword v3, v1, s[34:35]
	global_store_dword v3, v2, s[2:3]
.LBB146_30:
	s_or_b32 exec_lo, exec_lo, s1
	v_mov_b32_e32 v25, 0
	v_or_b32_e32 v26, 64, v21
	v_mov_b32_e32 v24, 0
	v_mov_b32_e32 v23, 0
	s_and_saveexec_b32 s5, s0
	s_cbranch_execz .LBB146_42
; %bb.31:
	s_ashr_i32 s15, s14, 31
	v_lshlrev_b64 v[1:2], 2, v[17:18]
	s_lshl_b64 s[0:1], s[14:15], 1
	v_lshlrev_b32_e32 v3, 3, v21
	s_add_u32 s6, s28, s0
	s_addc_u32 s9, s29, s1
	s_lshl_b64 s[2:3], s[26:27], 2
	s_add_i32 s12, s12, -1
	v_lshlrev_b32_e32 v4, 3, v26
	s_add_u32 s1, s24, s2
	s_addc_u32 s2, s25, s3
	v_add_co_u32 v18, vcc_lo, s1, v1
	v_mov_b32_e32 v27, 0
	v_cmp_gt_u32_e64 s0, 0x50, v26
	v_lshl_add_u32 v28, v20, 3, s33
	v_lshl_add_u32 v29, v20, 5, 0xc0
	v_add_co_ci_u32_e64 v19, null, s2, v2, vcc_lo
	v_lshlrev_b32_e32 v30, 1, v3
	v_lshlrev_b32_e32 v31, 1, v4
	v_mov_b32_e32 v23, 0
	v_mov_b32_e32 v24, 0
	;; [unrolled: 1-line block ×3, first 2 shown]
	s_mov_b32 s15, s23
	s_mov_b32 s14, 0
	s_branch .LBB146_34
.LBB146_32:                             ;   in Loop: Header=BB146_34 Depth=1
	s_or_b32 exec_lo, exec_lo, s16
	s_waitcnt vmcnt(0)
	v_and_b32_e32 v32, 0xffff0000, v9
	v_and_b32_e32 v33, 0xffff0000, v16
	v_lshlrev_b32_e32 v9, 16, v9
	v_lshlrev_b32_e32 v34, 16, v16
	v_and_b32_e32 v35, 0xffff0000, v10
	v_lshlrev_b32_e32 v10, 16, v10
	v_mul_f32_e32 v32, v33, v32
	v_and_b32_e32 v33, 0xffff0000, v15
	v_lshlrev_b32_e32 v36, 16, v15
	v_mul_f32_e32 v9, v34, v9
	v_lshlrev_b32_e32 v40, 16, v13
	v_bfe_u32 v34, v32, 16, 1
	v_mul_f32_e32 v33, v33, v35
	v_mul_f32_e32 v10, v36, v10
	v_bfe_u32 v35, v9, 16, 1
	v_or_b32_e32 v36, 0x400000, v32
	v_add3_u32 v34, v34, v32, 0x7fff
	v_cmp_u_f32_e32 vcc_lo, v32, v32
	v_or_b32_e32 v37, 0x400000, v9
	v_bfe_u32 v38, v33, 16, 1
	v_add3_u32 v35, v35, v9, 0x7fff
	v_and_b32_e32 v39, 0xffff0000, v13
	v_cndmask_b32_e32 v32, v34, v36, vcc_lo
	v_and_b32_e32 v34, 0xffff0000, v11
	v_and_b32_e32 v36, 0xffff0000, v14
	v_cmp_u_f32_e32 vcc_lo, v9, v9
	v_lshlrev_b32_e32 v11, 16, v11
	v_and_b32_e32 v32, 0xffff0000, v32
	v_mul_f32_e32 v34, v36, v34
	v_cndmask_b32_e32 v9, v35, v37, vcc_lo
	v_add3_u32 v35, v38, v33, 0x7fff
	v_or_b32_e32 v37, 0x400000, v33
	v_bfe_u32 v38, v10, 16, 1
	v_lshlrev_b32_e32 v36, 16, v14
	v_cmp_u_f32_e32 vcc_lo, v33, v33
	v_and_b32_e32 v9, 0xffff0000, v9
	v_mul_f32_e32 v11, v36, v11
	v_cndmask_b32_e32 v33, v35, v37, vcc_lo
	v_add3_u32 v35, v38, v10, 0x7fff
	v_or_b32_e32 v37, 0x400000, v10
	v_bfe_u32 v38, v34, 16, 1
	v_and_b32_e32 v36, 0xffff0000, v12
	v_lshlrev_b32_e32 v12, 16, v12
	v_cmp_u_f32_e32 vcc_lo, v10, v10
	v_and_b32_e32 v33, 0xffff0000, v33
	v_add_f32_e32 v9, v9, v32
	v_mul_f32_e32 v36, v39, v36
	v_mul_f32_e32 v12, v40, v12
	v_cndmask_b32_e32 v10, v35, v37, vcc_lo
	v_bfe_u32 v35, v11, 16, 1
	v_add3_u32 v37, v38, v34, 0x7fff
	v_or_b32_e32 v38, 0x400000, v34
	v_cmp_u_f32_e32 vcc_lo, v34, v34
	v_or_b32_e32 v39, 0x400000, v11
	v_add3_u32 v35, v35, v11, 0x7fff
	v_bfe_u32 v41, v12, 16, 1
	v_bfe_u32 v40, v36, 16, 1
	v_cndmask_b32_e32 v34, v37, v38, vcc_lo
	v_cmp_u_f32_e32 vcc_lo, v11, v11
	v_or_b32_e32 v38, 0x400000, v12
	v_add3_u32 v37, v41, v12, 0x7fff
	v_and_b32_e32 v10, 0xffff0000, v10
	v_and_b32_e32 v32, 0xffff0000, v34
	v_cndmask_b32_e32 v11, v35, v39, vcc_lo
	v_cmp_u_f32_e32 vcc_lo, v12, v12
	v_add3_u32 v35, v40, v36, 0x7fff
	v_or_b32_e32 v39, 0x400000, v36
	v_add_f32_e32 v10, v10, v33
	v_and_b32_e32 v11, 0xffff0000, v11
	v_cndmask_b32_e32 v12, v37, v38, vcc_lo
	v_cmp_u_f32_e32 vcc_lo, v36, v36
	v_add_f32_e32 v9, v10, v9
	v_add_f32_e32 v10, v11, v32
	v_and_b32_e32 v11, 0xffff0000, v12
	v_cndmask_b32_e32 v33, v35, v39, vcc_lo
	v_add_f32_e32 v9, v10, v9
	v_and_b32_e32 v12, 0xffff0000, v33
	v_add_f32_e32 v10, v11, v12
	v_add_f32_e32 v9, v10, v9
	;; [unrolled: 1-line block ×3, first 2 shown]
.LBB146_33:                             ;   in Loop: Header=BB146_34 Depth=1
	s_or_b32 exec_lo, exec_lo, s3
	s_waitcnt vmcnt(0)
	v_and_b32_e32 v9, 0xffff0000, v5
	v_and_b32_e32 v10, 0xffff0000, v16
	v_lshlrev_b32_e32 v5, 16, v5
	v_lshlrev_b32_e32 v11, 16, v16
	v_and_b32_e32 v12, 0xffff0000, v6
	v_and_b32_e32 v16, 0xffff0000, v15
	v_mul_f32_e32 v9, v10, v9
	v_lshlrev_b32_e32 v6, 16, v6
	v_mul_f32_e32 v5, v11, v5
	v_lshlrev_b32_e32 v15, 16, v15
	v_mul_f32_e32 v12, v16, v12
	v_bfe_u32 v32, v9, 16, 1
	v_or_b32_e32 v35, 0x400000, v9
	v_bfe_u32 v34, v5, 16, 1
	v_cmp_u_f32_e32 vcc_lo, v9, v9
	v_and_b32_e32 v33, 0xffff0000, v7
	v_add3_u32 v32, v32, v9, 0x7fff
	v_mul_f32_e32 v6, v15, v6
	v_bfe_u32 v36, v12, 16, 1
	v_add3_u32 v34, v34, v5, 0x7fff
	v_or_b32_e32 v37, 0x400000, v12
	v_cndmask_b32_e32 v9, v32, v35, vcc_lo
	v_and_b32_e32 v32, 0xffff0000, v14
	v_or_b32_e32 v35, 0x400000, v5
	v_cmp_u_f32_e32 vcc_lo, v5, v5
	v_add3_u32 v36, v36, v12, 0x7fff
	v_bfe_u32 v38, v6, 16, 1
	v_mul_f32_e32 v33, v32, v33
	v_lshlrev_b32_e32 v7, 16, v7
	v_cndmask_b32_e32 v5, v34, v35, vcc_lo
	v_cmp_u_f32_e32 vcc_lo, v12, v12
	v_lshlrev_b32_e32 v14, 16, v14
	v_add3_u32 v34, v38, v6, 0x7fff
	v_bfe_u32 v35, v33, 16, 1
	v_or_b32_e32 v38, 0x400000, v6
	v_cndmask_b32_e32 v12, v36, v37, vcc_lo
	v_and_b32_e32 v36, 0xffff0000, v8
	v_and_b32_e32 v37, 0xffff0000, v13
	v_mul_f32_e32 v7, v14, v7
	v_cmp_u_f32_e32 vcc_lo, v6, v6
	v_add3_u32 v35, v35, v33, 0x7fff
	v_or_b32_e32 v39, 0x400000, v33
	v_mul_f32_e32 v36, v37, v36
	v_lshlrev_b32_e32 v8, 16, v8
	v_cndmask_b32_e32 v6, v34, v38, vcc_lo
	v_bfe_u32 v34, v7, 16, 1
	v_cmp_u_f32_e32 vcc_lo, v33, v33
	v_lshlrev_b32_e32 v13, 16, v13
	v_or_b32_e32 v38, 0x400000, v7
	v_and_b32_e32 v5, 0xffff0000, v5
	v_add3_u32 v34, v34, v7, 0x7fff
	v_cndmask_b32_e32 v33, v35, v39, vcc_lo
	v_bfe_u32 v35, v36, 16, 1
	v_cmp_u_f32_e32 vcc_lo, v7, v7
	v_or_b32_e32 v39, 0x400000, v36
	v_mul_f32_e32 v8, v13, v8
	v_and_b32_e32 v9, 0xffff0000, v9
	v_add3_u32 v35, v35, v36, 0x7fff
	v_cndmask_b32_e32 v7, v34, v38, vcc_lo
	v_cmp_u_f32_e32 vcc_lo, v36, v36
	v_and_b32_e32 v6, 0xffff0000, v6
	v_and_b32_e32 v12, 0xffff0000, v12
	;; [unrolled: 1-line block ×3, first 2 shown]
	v_add_f32_e32 v5, v5, v9
	v_cndmask_b32_e32 v34, v35, v39, vcc_lo
	v_bfe_u32 v35, v8, 16, 1
	v_add_f32_e32 v6, v6, v12
	v_and_b32_e32 v7, 0xffff0000, v7
	v_and_b32_e32 v9, 0xffff0000, v33
	v_mul_f32_e32 v10, v10, v38
	v_lshlrev_b32_e32 v1, 16, v1
	v_add3_u32 v35, v35, v8, 0x7fff
	v_or_b32_e32 v36, 0x400000, v8
	v_cmp_u_f32_e32 vcc_lo, v8, v8
	v_add_f32_e32 v5, v6, v5
	v_bfe_u32 v6, v10, 16, 1
	v_add_f32_e32 v7, v7, v9
	v_mul_f32_e32 v1, v11, v1
	v_and_b32_e32 v9, 0xffff0000, v2
	v_cndmask_b32_e32 v8, v35, v36, vcc_lo
	v_add3_u32 v6, v6, v10, 0x7fff
	v_or_b32_e32 v11, 0x400000, v10
	v_bfe_u32 v12, v1, 16, 1
	v_mul_f32_e32 v9, v16, v9
	v_lshlrev_b32_e32 v2, 16, v2
	v_cmp_u_f32_e32 vcc_lo, v10, v10
	v_and_b32_e32 v8, 0xffff0000, v8
	v_add3_u32 v10, v12, v1, 0x7fff
	v_bfe_u32 v12, v9, 16, 1
	v_mul_f32_e32 v2, v15, v2
	v_cndmask_b32_e32 v6, v6, v11, vcc_lo
	v_or_b32_e32 v11, 0x400000, v1
	v_and_b32_e32 v15, 0xffff0000, v3
	v_cmp_u_f32_e32 vcc_lo, v1, v1
	v_lshlrev_b32_e32 v3, 16, v3
	v_and_b32_e32 v6, 0xffff0000, v6
	v_add_f32_e32 v5, v7, v5
	v_mul_f32_e32 v15, v32, v15
	v_cndmask_b32_e32 v1, v10, v11, vcc_lo
	v_add3_u32 v10, v12, v9, 0x7fff
	v_or_b32_e32 v11, 0x400000, v9
	v_bfe_u32 v12, v2, 16, 1
	v_cmp_u_f32_e32 vcc_lo, v9, v9
	v_mul_f32_e32 v3, v14, v3
	v_and_b32_e32 v14, 0xffff0000, v4
	v_lshlrev_b32_e32 v4, 16, v4
	v_and_b32_e32 v1, 0xffff0000, v1
	v_cndmask_b32_e32 v9, v10, v11, vcc_lo
	v_add3_u32 v10, v12, v2, 0x7fff
	v_or_b32_e32 v11, 0x400000, v2
	v_bfe_u32 v12, v15, 16, 1
	v_cmp_u_f32_e32 vcc_lo, v2, v2
	v_mul_f32_e32 v4, v13, v4
	v_or_b32_e32 v13, 0x400000, v15
	v_and_b32_e32 v9, 0xffff0000, v9
	v_add_f32_e32 v1, v1, v6
	v_cndmask_b32_e32 v2, v10, v11, vcc_lo
	v_bfe_u32 v10, v3, 16, 1
	v_add3_u32 v11, v12, v15, 0x7fff
	v_cmp_u_f32_e32 vcc_lo, v15, v15
	v_mul_f32_e32 v12, v37, v14
	v_or_b32_e32 v14, 0x400000, v3
	v_add3_u32 v10, v10, v3, 0x7fff
	v_bfe_u32 v32, v4, 16, 1
	v_cndmask_b32_e32 v11, v11, v13, vcc_lo
	v_cmp_u_f32_e32 vcc_lo, v3, v3
	v_bfe_u32 v16, v12, 16, 1
	v_and_b32_e32 v2, 0xffff0000, v2
	v_add3_u32 v13, v32, v4, 0x7fff
	v_or_b32_e32 v15, 0x400000, v12
	v_cndmask_b32_e32 v3, v10, v14, vcc_lo
	v_or_b32_e32 v14, 0x400000, v4
	v_cmp_u_f32_e32 vcc_lo, v4, v4
	v_add3_u32 v10, v16, v12, 0x7fff
	v_add_f32_e32 v2, v2, v9
	v_and_b32_e32 v3, 0xffff0000, v3
	v_and_b32_e32 v6, 0xffff0000, v11
	v_cndmask_b32_e32 v4, v13, v14, vcc_lo
	v_cmp_u_f32_e32 vcc_lo, v12, v12
	v_add_f32_e32 v1, v2, v1
	v_add_nc_u32_e32 v17, 4, v17
	v_add_f32_e32 v2, v3, v6
	v_and_b32_e32 v3, 0xffff0000, v4
	v_cndmask_b32_e32 v9, v10, v15, vcc_lo
	v_and_b32_e32 v10, 0xffff0000, v34
	v_cmp_le_i32_e32 vcc_lo, s11, v17
	v_add_f32_e32 v1, v2, v1
	v_add_co_u32 v18, s1, v18, 16
	v_and_b32_e32 v4, 0xffff0000, v9
	v_add_f32_e32 v6, v8, v10
	v_add_nc_u32_e32 v28, 32, v28
	v_add_nc_u32_e32 v29, 0x80, v29
	v_add_co_ci_u32_e64 v19, null, 0, v19, s1
	v_add_f32_e32 v2, v3, v4
	v_add_f32_e32 v3, v6, v5
	s_or_b32 s14, vcc_lo, s14
	v_add_f32_e32 v1, v2, v1
	v_add_f32_e32 v24, v24, v3
	;; [unrolled: 1-line block ×3, first 2 shown]
	s_andn2_b32 exec_lo, exec_lo, s14
	s_cbranch_execz .LBB146_41
.LBB146_34:                             ; =>This Inner Loop Header: Depth=1
	global_load_dword v1, v[18:19], off
	v_cmp_eq_u32_e64 s1, s12, v17
	s_waitcnt vmcnt(0)
	v_mad_i64_i32 v[1:2], null, v1, s13, 0
	v_lshlrev_b64 v[1:2], 1, v[1:2]
	v_add_co_u32 v32, vcc_lo, s6, v1
	v_add_co_ci_u32_e64 v33, null, s9, v2, vcc_lo
	v_add_co_u32 v5, vcc_lo, v32, v30
	v_add_co_ci_u32_e64 v6, null, 0, v33, vcc_lo
	global_load_dwordx4 v[1:4], v[5:6], off
	ds_read2_b64 v[13:16], v29 offset1:1
	ds_read2_b64 v[9:12], v29 offset0:2 offset1:3
	s_and_saveexec_b32 s16, s1
	s_cbranch_execz .LBB146_36
; %bb.35:                               ;   in Loop: Header=BB146_34 Depth=1
	v_add_nc_u32_e32 v7, 1, v28
	v_or_b32_e32 v8, 3, v28
	v_cmp_gt_i32_e32 vcc_lo, s23, v28
	v_or_b32_e32 v34, 2, v28
	v_or_b32_e32 v36, 7, v28
	v_cmp_gt_i32_e64 s2, s15, v8
	s_waitcnt vmcnt(0)
	v_cndmask_b32_e32 v35, 0, v1, vcc_lo
	v_cmp_gt_i32_e32 vcc_lo, s15, v7
	v_cmp_gt_i32_e64 s3, s23, v34
	v_or_b32_e32 v8, 5, v28
	v_or_b32_e32 v34, 4, v28
	v_cndmask_b32_sdwa v1, v27, v1, vcc_lo dst_sel:DWORD dst_unused:UNUSED_PAD src0_sel:DWORD src1_sel:WORD_1
	s_mov_b32 vcc_lo, s2
	v_cndmask_b32_e64 v7, 0, v2, s3
	v_cndmask_b32_sdwa v2, v27, v2, vcc_lo dst_sel:DWORD dst_unused:UNUSED_PAD src0_sel:DWORD src1_sel:WORD_1
	v_cmp_gt_i32_e32 vcc_lo, s15, v8
	v_cmp_gt_i32_e64 s2, s23, v34
	v_or_b32_e32 v34, 6, v28
	v_perm_b32 v1, v1, v35, 0x5040100
	v_perm_b32 v2, v2, v7, 0x5040100
	v_cndmask_b32_e64 v8, 0, v3, s2
	v_cmp_gt_i32_e64 s2, s15, v36
	v_cndmask_b32_sdwa v3, v27, v3, vcc_lo dst_sel:DWORD dst_unused:UNUSED_PAD src0_sel:DWORD src1_sel:WORD_1
	v_cmp_gt_i32_e32 vcc_lo, s23, v34
	v_perm_b32 v3, v3, v8, 0x5040100
	v_cndmask_b32_e32 v34, 0, v4, vcc_lo
	s_mov_b32 vcc_lo, s2
	v_cndmask_b32_sdwa v4, v27, v4, vcc_lo dst_sel:DWORD dst_unused:UNUSED_PAD src0_sel:DWORD src1_sel:WORD_1
	v_perm_b32 v4, v4, v34, 0x5040100
.LBB146_36:                             ;   in Loop: Header=BB146_34 Depth=1
	s_or_b32 exec_lo, exec_lo, s16
	global_load_dwordx4 v[5:8], v[5:6], off offset:512
	s_and_saveexec_b32 s16, s1
	s_cbranch_execz .LBB146_38
; %bb.37:                               ;   in Loop: Header=BB146_34 Depth=1
	v_add_nc_u32_e32 v34, 1, v28
	v_or_b32_e32 v35, 3, v28
	v_cmp_gt_i32_e32 vcc_lo, s23, v28
	v_or_b32_e32 v36, 2, v28
	v_or_b32_e32 v38, 7, v28
	v_cmp_gt_i32_e64 s2, s15, v35
	s_waitcnt vmcnt(0)
	v_cndmask_b32_e32 v37, 0, v5, vcc_lo
	v_cmp_gt_i32_e32 vcc_lo, s15, v34
	v_cmp_gt_i32_e64 s3, s23, v36
	v_or_b32_e32 v35, 5, v28
	v_or_b32_e32 v36, 4, v28
	v_cndmask_b32_sdwa v5, v27, v5, vcc_lo dst_sel:DWORD dst_unused:UNUSED_PAD src0_sel:DWORD src1_sel:WORD_1
	s_mov_b32 vcc_lo, s2
	v_cndmask_b32_e64 v34, 0, v6, s3
	v_cndmask_b32_sdwa v6, v27, v6, vcc_lo dst_sel:DWORD dst_unused:UNUSED_PAD src0_sel:DWORD src1_sel:WORD_1
	v_cmp_gt_i32_e32 vcc_lo, s15, v35
	v_cmp_gt_i32_e64 s2, s23, v36
	v_or_b32_e32 v36, 6, v28
	v_perm_b32 v5, v5, v37, 0x5040100
	v_perm_b32 v6, v6, v34, 0x5040100
	v_cndmask_b32_e64 v35, 0, v7, s2
	v_cmp_gt_i32_e64 s2, s15, v38
	v_cndmask_b32_sdwa v7, v27, v7, vcc_lo dst_sel:DWORD dst_unused:UNUSED_PAD src0_sel:DWORD src1_sel:WORD_1
	v_cmp_gt_i32_e32 vcc_lo, s23, v36
	v_perm_b32 v7, v7, v35, 0x5040100
	v_cndmask_b32_e32 v36, 0, v8, vcc_lo
	s_mov_b32 vcc_lo, s2
	v_cndmask_b32_sdwa v8, v27, v8, vcc_lo dst_sel:DWORD dst_unused:UNUSED_PAD src0_sel:DWORD src1_sel:WORD_1
	v_perm_b32 v8, v8, v36, 0x5040100
.LBB146_38:                             ;   in Loop: Header=BB146_34 Depth=1
	s_or_b32 exec_lo, exec_lo, s16
	s_waitcnt lgkmcnt(1)
	v_bfe_u32 v34, v13, 16, 1
	v_bfe_u32 v35, v14, 16, 1
	v_or_b32_e32 v36, 0x400000, v13
	v_cmp_u_f32_e32 vcc_lo, v13, v13
	v_or_b32_e32 v37, 0x400000, v14
	v_add3_u32 v34, v34, v13, 0x7fff
	v_bfe_u32 v38, v15, 16, 1
	v_add3_u32 v35, v35, v14, 0x7fff
	v_bfe_u32 v39, v16, 16, 1
	v_cndmask_b32_e32 v13, v34, v36, vcc_lo
	v_cmp_u_f32_e32 vcc_lo, v14, v14
	v_add3_u32 v34, v38, v15, 0x7fff
	s_waitcnt lgkmcnt(0)
	v_bfe_u32 v36, v9, 16, 1
	v_or_b32_e32 v38, 0x400000, v16
	v_cndmask_b32_e32 v14, v35, v37, vcc_lo
	v_or_b32_e32 v35, 0x400000, v15
	v_cmp_u_f32_e32 vcc_lo, v15, v15
	v_add3_u32 v37, v39, v16, 0x7fff
	v_or_b32_e32 v39, 0x400000, v12
	v_cndmask_b32_e32 v15, v34, v35, vcc_lo
	v_cmp_u_f32_e32 vcc_lo, v16, v16
	v_add3_u32 v34, v36, v9, 0x7fff
	v_or_b32_e32 v35, 0x400000, v9
	v_bfe_u32 v16, v10, 16, 1
	v_cndmask_b32_e32 v36, v37, v38, vcc_lo
	v_cmp_u_f32_e32 vcc_lo, v9, v9
	v_bfe_u32 v37, v11, 16, 1
	v_add3_u32 v16, v16, v10, 0x7fff
	v_or_b32_e32 v38, 0x400000, v11
	v_perm_b32 v15, v36, v15, 0x7060302
	v_cndmask_b32_e32 v9, v34, v35, vcc_lo
	v_or_b32_e32 v35, 0x400000, v10
	v_cmp_u_f32_e32 vcc_lo, v10, v10
	v_bfe_u32 v34, v12, 16, 1
	v_add3_u32 v37, v37, v11, 0x7fff
	v_cndmask_b32_e32 v10, v16, v35, vcc_lo
	v_cmp_u_f32_e32 vcc_lo, v11, v11
	v_add3_u32 v34, v34, v12, 0x7fff
	v_perm_b32 v16, v14, v13, 0x7060302
	v_perm_b32 v14, v10, v9, 0x7060302
	v_cndmask_b32_e32 v11, v37, v38, vcc_lo
	v_cmp_u_f32_e32 vcc_lo, v12, v12
	v_cndmask_b32_e32 v12, v34, v39, vcc_lo
	v_perm_b32 v13, v12, v11, 0x7060302
	s_and_saveexec_b32 s3, s0
	s_cbranch_execz .LBB146_33
; %bb.39:                               ;   in Loop: Header=BB146_34 Depth=1
	v_add_co_u32 v9, vcc_lo, v32, v31
	v_add_co_ci_u32_e64 v10, null, 0, v33, vcc_lo
	global_load_dwordx4 v[9:12], v[9:10], off
	s_and_saveexec_b32 s16, s1
	s_cbranch_execz .LBB146_32
; %bb.40:                               ;   in Loop: Header=BB146_34 Depth=1
	v_add_nc_u32_e32 v32, 1, v28
	v_or_b32_e32 v33, 3, v28
	v_cmp_gt_i32_e32 vcc_lo, s23, v28
	v_or_b32_e32 v34, 2, v28
	v_or_b32_e32 v36, 7, v28
	v_cmp_gt_i32_e64 s1, s15, v33
	s_waitcnt vmcnt(0)
	v_cndmask_b32_e32 v35, 0, v9, vcc_lo
	v_cmp_gt_i32_e32 vcc_lo, s15, v32
	v_cmp_gt_i32_e64 s2, s23, v34
	v_or_b32_e32 v33, 5, v28
	v_or_b32_e32 v34, 4, v28
	v_cndmask_b32_sdwa v9, v27, v9, vcc_lo dst_sel:DWORD dst_unused:UNUSED_PAD src0_sel:DWORD src1_sel:WORD_1
	s_mov_b32 vcc_lo, s1
	v_cndmask_b32_e64 v32, 0, v10, s2
	v_cndmask_b32_sdwa v10, v27, v10, vcc_lo dst_sel:DWORD dst_unused:UNUSED_PAD src0_sel:DWORD src1_sel:WORD_1
	v_cmp_gt_i32_e32 vcc_lo, s15, v33
	v_cmp_gt_i32_e64 s1, s23, v34
	v_or_b32_e32 v34, 6, v28
	v_perm_b32 v9, v9, v35, 0x5040100
	v_perm_b32 v10, v10, v32, 0x5040100
	v_cndmask_b32_e64 v33, 0, v11, s1
	v_cmp_gt_i32_e64 s1, s15, v36
	v_cndmask_b32_sdwa v11, v27, v11, vcc_lo dst_sel:DWORD dst_unused:UNUSED_PAD src0_sel:DWORD src1_sel:WORD_1
	v_cmp_gt_i32_e32 vcc_lo, s23, v34
	v_perm_b32 v11, v11, v33, 0x5040100
	v_cndmask_b32_e32 v34, 0, v12, vcc_lo
	s_mov_b32 vcc_lo, s1
	v_cndmask_b32_sdwa v12, v27, v12, vcc_lo dst_sel:DWORD dst_unused:UNUSED_PAD src0_sel:DWORD src1_sel:WORD_1
	v_perm_b32 v12, v12, v34, 0x5040100
	s_branch .LBB146_32
.LBB146_41:
	s_or_b32 exec_lo, exec_lo, s14
.LBB146_42:
	s_or_b32 exec_lo, exec_lo, s5
	s_movk_i32 s0, 0x140
	v_and_b32_e32 v2, 0x3c0, v0
	v_mad_u32_u24 v1, v20, s0, 0xc0
	s_mov_b32 s0, exec_lo
	s_waitcnt_vscnt null, 0x0
	s_barrier
	buffer_gl0_inv
	v_cmpx_eq_u32_e32 64, v2
	s_cbranch_execz .LBB146_45
; %bb.43:
	v_add_nc_u32_e32 v2, 0xfffffd80, v1
	v_cmp_gt_u32_e32 vcc_lo, 0x50, v26
	v_lshl_add_u32 v3, v21, 2, v2
	ds_write2_b32 v3, v25, v24 offset1:32
	s_and_b32 exec_lo, exec_lo, vcc_lo
; %bb.44:
	v_lshl_add_u32 v2, v26, 2, v2
	ds_write_b32 v2, v23
.LBB146_45:
	s_or_b32 exec_lo, exec_lo, s0
	v_lshl_add_u32 v3, v21, 2, v1
	s_mov_b32 s0, exec_lo
	s_waitcnt lgkmcnt(0)
	s_barrier
	buffer_gl0_inv
	v_cmpx_gt_u32_e32 64, v0
	s_cbranch_execz .LBB146_49
; %bb.46:
	v_lshl_or_b32 v2, v0, 2, 0x80
	s_mov_b32 s1, exec_lo
	v_add_nc_u32_e32 v4, v1, v2
	ds_read_b32 v2, v3
	ds_read_b32 v4, v4
	v_cmpx_gt_u32_e32 0x50, v26
	s_cbranch_execz .LBB146_48
; %bb.47:
	ds_read_b32 v5, v3 offset:256
	s_waitcnt lgkmcnt(0)
	v_add_f32_e32 v23, v23, v5
.LBB146_48:
	s_or_b32 exec_lo, exec_lo, s1
	s_waitcnt lgkmcnt(1)
	v_add_f32_e32 v25, v25, v2
	s_waitcnt lgkmcnt(0)
	v_add_f32_e32 v24, v24, v4
.LBB146_49:
	s_or_b32 exec_lo, exec_lo, s0
	v_and_b32_e32 v2, 0x3e0, v0
	s_mov_b32 s0, exec_lo
	s_barrier
	buffer_gl0_inv
	v_cmpx_eq_u32_e32 32, v2
	s_cbranch_execz .LBB146_52
; %bb.50:
	v_lshl_add_u32 v2, v21, 2, 0xc0
	v_cmp_gt_u32_e32 vcc_lo, 0x50, v26
	ds_write_b32 v2, v25
	ds_write_b32 v22, v24
	s_and_b32 exec_lo, exec_lo, vcc_lo
; %bb.51:
	ds_write_b32 v2, v23 offset:256
.LBB146_52:
	s_or_b32 exec_lo, exec_lo, s0
	v_cmp_gt_u32_e32 vcc_lo, 32, v0
	v_or_b32_e32 v2, 64, v0
	s_waitcnt lgkmcnt(0)
	s_barrier
	buffer_gl0_inv
	s_and_saveexec_b32 s1, vcc_lo
	s_cbranch_execz .LBB146_56
; %bb.53:
	v_lshl_add_u32 v4, v0, 2, v1
	s_mov_b32 s2, exec_lo
	ds_read_b32 v1, v3
	ds_read_b32 v3, v4 offset:128
	v_cmpx_gt_u32_e32 0x50, v2
	s_cbranch_execz .LBB146_55
; %bb.54:
	ds_read_b32 v4, v4 offset:256
	s_waitcnt lgkmcnt(0)
	v_add_f32_e32 v23, v23, v4
.LBB146_55:
	s_or_b32 exec_lo, exec_lo, s2
	s_waitcnt lgkmcnt(1)
	v_add_f32_e32 v25, v25, v1
	s_waitcnt lgkmcnt(0)
	v_add_f32_e32 v24, v24, v3
.LBB146_56:
	s_or_b32 exec_lo, exec_lo, s1
	s_barrier
	buffer_gl0_inv
	s_and_saveexec_b32 s0, vcc_lo
	s_cbranch_execz .LBB146_59
; %bb.57:
	v_bfe_u32 v1, v25, 16, 1
	s_mul_i32 s0, s4, 0x50
	v_bfe_u32 v3, v24, 16, 1
	s_ashr_i32 s1, s0, 31
	v_or_b32_e32 v4, 0x400000, v25
	s_lshl_b64 s[0:1], s[0:1], 1
	v_add3_u32 v1, v1, v25, 0x7fff
	v_cmp_u_f32_e32 vcc_lo, v25, v25
	s_mul_i32 s2, s7, s10
	s_add_u32 s4, s20, s0
	s_addc_u32 s1, s21, s1
	s_ashr_i32 s3, s2, 31
	v_add3_u32 v3, v3, v24, 0x7fff
	s_lshl_b64 s[2:3], s[2:3], 1
	v_or_b32_e32 v5, 0x400000, v24
	v_cndmask_b32_e32 v1, v1, v4, vcc_lo
	v_cmp_u_f32_e32 vcc_lo, v24, v24
	s_mul_i32 s0, s8, 0x50
	s_add_u32 s2, s4, s2
	s_addc_u32 s3, s1, s3
	s_ashr_i32 s1, s0, 31
	v_lshlrev_b32_e32 v0, 1, v0
	s_lshl_b64 s[0:1], s[0:1], 1
	v_cndmask_b32_e32 v3, v3, v5, vcc_lo
	v_cmp_gt_u32_e32 vcc_lo, 0x50, v2
	s_add_u32 s0, s2, s0
	s_addc_u32 s1, s3, s1
	global_store_short_d16_hi v0, v1, s[0:1]
	global_store_short_d16_hi v0, v3, s[0:1] offset:64
	s_and_b32 exec_lo, exec_lo, vcc_lo
	s_cbranch_execz .LBB146_59
; %bb.58:
	v_bfe_u32 v1, v23, 16, 1
	v_or_b32_e32 v2, 0x400000, v23
	v_cmp_u_f32_e32 vcc_lo, v23, v23
	v_add_co_u32 v0, s0, s0, v0
	v_add3_u32 v3, v1, v23, 0x7fff
	v_add_co_ci_u32_e64 v1, null, s1, 0, s0
	v_cndmask_b32_e32 v2, v3, v2, vcc_lo
	global_store_short_d16_hi v[0:1], v2, off offset:128
.LBB146_59:
	s_endpgm
	.section	.rodata,"a",@progbits
	.p2align	6, 0x0
	.amdhsa_kernel _ZN4vllm25paged_attention_v2_kernelI14__hip_bfloat16S1_Li80ELi8ELi128ELNS_18Fp8KVCacheDataTypeE0ELb0ELi512EEEvPfS3_PT_PKS4_PKT0_SA_ifPKiSC_iPKfiiiSE_SE_iiiii
		.amdhsa_group_segment_fixed_size 192
		.amdhsa_private_segment_fixed_size 0
		.amdhsa_kernarg_size 400
		.amdhsa_user_sgpr_count 6
		.amdhsa_user_sgpr_private_segment_buffer 1
		.amdhsa_user_sgpr_dispatch_ptr 0
		.amdhsa_user_sgpr_queue_ptr 0
		.amdhsa_user_sgpr_kernarg_segment_ptr 1
		.amdhsa_user_sgpr_dispatch_id 0
		.amdhsa_user_sgpr_flat_scratch_init 0
		.amdhsa_user_sgpr_private_segment_size 0
		.amdhsa_wavefront_size32 1
		.amdhsa_uses_dynamic_stack 0
		.amdhsa_system_sgpr_private_segment_wavefront_offset 0
		.amdhsa_system_sgpr_workgroup_id_x 1
		.amdhsa_system_sgpr_workgroup_id_y 1
		.amdhsa_system_sgpr_workgroup_id_z 1
		.amdhsa_system_sgpr_workgroup_info 0
		.amdhsa_system_vgpr_workitem_id 0
		.amdhsa_next_free_vgpr 50
		.amdhsa_next_free_sgpr 36
		.amdhsa_reserve_vcc 1
		.amdhsa_reserve_flat_scratch 0
		.amdhsa_float_round_mode_32 0
		.amdhsa_float_round_mode_16_64 0
		.amdhsa_float_denorm_mode_32 3
		.amdhsa_float_denorm_mode_16_64 3
		.amdhsa_dx10_clamp 1
		.amdhsa_ieee_mode 1
		.amdhsa_fp16_overflow 0
		.amdhsa_workgroup_processor_mode 1
		.amdhsa_memory_ordered 1
		.amdhsa_forward_progress 1
		.amdhsa_shared_vgpr_count 0
		.amdhsa_exception_fp_ieee_invalid_op 0
		.amdhsa_exception_fp_denorm_src 0
		.amdhsa_exception_fp_ieee_div_zero 0
		.amdhsa_exception_fp_ieee_overflow 0
		.amdhsa_exception_fp_ieee_underflow 0
		.amdhsa_exception_fp_ieee_inexact 0
		.amdhsa_exception_int_div_zero 0
	.end_amdhsa_kernel
	.section	.text._ZN4vllm25paged_attention_v2_kernelI14__hip_bfloat16S1_Li80ELi8ELi128ELNS_18Fp8KVCacheDataTypeE0ELb0ELi512EEEvPfS3_PT_PKS4_PKT0_SA_ifPKiSC_iPKfiiiSE_SE_iiiii,"axG",@progbits,_ZN4vllm25paged_attention_v2_kernelI14__hip_bfloat16S1_Li80ELi8ELi128ELNS_18Fp8KVCacheDataTypeE0ELb0ELi512EEEvPfS3_PT_PKS4_PKT0_SA_ifPKiSC_iPKfiiiSE_SE_iiiii,comdat
.Lfunc_end146:
	.size	_ZN4vllm25paged_attention_v2_kernelI14__hip_bfloat16S1_Li80ELi8ELi128ELNS_18Fp8KVCacheDataTypeE0ELb0ELi512EEEvPfS3_PT_PKS4_PKT0_SA_ifPKiSC_iPKfiiiSE_SE_iiiii, .Lfunc_end146-_ZN4vllm25paged_attention_v2_kernelI14__hip_bfloat16S1_Li80ELi8ELi128ELNS_18Fp8KVCacheDataTypeE0ELb0ELi512EEEvPfS3_PT_PKS4_PKT0_SA_ifPKiSC_iPKfiiiSE_SE_iiiii
                                        ; -- End function
	.set _ZN4vllm25paged_attention_v2_kernelI14__hip_bfloat16S1_Li80ELi8ELi128ELNS_18Fp8KVCacheDataTypeE0ELb0ELi512EEEvPfS3_PT_PKS4_PKT0_SA_ifPKiSC_iPKfiiiSE_SE_iiiii.num_vgpr, 50
	.set _ZN4vllm25paged_attention_v2_kernelI14__hip_bfloat16S1_Li80ELi8ELi128ELNS_18Fp8KVCacheDataTypeE0ELb0ELi512EEEvPfS3_PT_PKS4_PKT0_SA_ifPKiSC_iPKfiiiSE_SE_iiiii.num_agpr, 0
	.set _ZN4vllm25paged_attention_v2_kernelI14__hip_bfloat16S1_Li80ELi8ELi128ELNS_18Fp8KVCacheDataTypeE0ELb0ELi512EEEvPfS3_PT_PKS4_PKT0_SA_ifPKiSC_iPKfiiiSE_SE_iiiii.numbered_sgpr, 36
	.set _ZN4vllm25paged_attention_v2_kernelI14__hip_bfloat16S1_Li80ELi8ELi128ELNS_18Fp8KVCacheDataTypeE0ELb0ELi512EEEvPfS3_PT_PKS4_PKT0_SA_ifPKiSC_iPKfiiiSE_SE_iiiii.num_named_barrier, 0
	.set _ZN4vllm25paged_attention_v2_kernelI14__hip_bfloat16S1_Li80ELi8ELi128ELNS_18Fp8KVCacheDataTypeE0ELb0ELi512EEEvPfS3_PT_PKS4_PKT0_SA_ifPKiSC_iPKfiiiSE_SE_iiiii.private_seg_size, 0
	.set _ZN4vllm25paged_attention_v2_kernelI14__hip_bfloat16S1_Li80ELi8ELi128ELNS_18Fp8KVCacheDataTypeE0ELb0ELi512EEEvPfS3_PT_PKS4_PKT0_SA_ifPKiSC_iPKfiiiSE_SE_iiiii.uses_vcc, 1
	.set _ZN4vllm25paged_attention_v2_kernelI14__hip_bfloat16S1_Li80ELi8ELi128ELNS_18Fp8KVCacheDataTypeE0ELb0ELi512EEEvPfS3_PT_PKS4_PKT0_SA_ifPKiSC_iPKfiiiSE_SE_iiiii.uses_flat_scratch, 0
	.set _ZN4vllm25paged_attention_v2_kernelI14__hip_bfloat16S1_Li80ELi8ELi128ELNS_18Fp8KVCacheDataTypeE0ELb0ELi512EEEvPfS3_PT_PKS4_PKT0_SA_ifPKiSC_iPKfiiiSE_SE_iiiii.has_dyn_sized_stack, 0
	.set _ZN4vllm25paged_attention_v2_kernelI14__hip_bfloat16S1_Li80ELi8ELi128ELNS_18Fp8KVCacheDataTypeE0ELb0ELi512EEEvPfS3_PT_PKS4_PKT0_SA_ifPKiSC_iPKfiiiSE_SE_iiiii.has_recursion, 0
	.set _ZN4vllm25paged_attention_v2_kernelI14__hip_bfloat16S1_Li80ELi8ELi128ELNS_18Fp8KVCacheDataTypeE0ELb0ELi512EEEvPfS3_PT_PKS4_PKT0_SA_ifPKiSC_iPKfiiiSE_SE_iiiii.has_indirect_call, 0
	.section	.AMDGPU.csdata,"",@progbits
; Kernel info:
; codeLenInByte = 6044
; TotalNumSgprs: 38
; NumVgprs: 50
; ScratchSize: 0
; MemoryBound: 0
; FloatMode: 240
; IeeeMode: 1
; LDSByteSize: 192 bytes/workgroup (compile time only)
; SGPRBlocks: 0
; VGPRBlocks: 6
; NumSGPRsForWavesPerEU: 38
; NumVGPRsForWavesPerEU: 50
; Occupancy: 16
; WaveLimiterHint : 1
; COMPUTE_PGM_RSRC2:SCRATCH_EN: 0
; COMPUTE_PGM_RSRC2:USER_SGPR: 6
; COMPUTE_PGM_RSRC2:TRAP_HANDLER: 0
; COMPUTE_PGM_RSRC2:TGID_X_EN: 1
; COMPUTE_PGM_RSRC2:TGID_Y_EN: 1
; COMPUTE_PGM_RSRC2:TGID_Z_EN: 1
; COMPUTE_PGM_RSRC2:TIDIG_COMP_CNT: 0
	.section	.text._ZN4vllm25paged_attention_v2_kernelI14__hip_bfloat16S1_Li96ELi8ELi128ELNS_18Fp8KVCacheDataTypeE0ELb0ELi512EEEvPfS3_PT_PKS4_PKT0_SA_ifPKiSC_iPKfiiiSE_SE_iiiii,"axG",@progbits,_ZN4vllm25paged_attention_v2_kernelI14__hip_bfloat16S1_Li96ELi8ELi128ELNS_18Fp8KVCacheDataTypeE0ELb0ELi512EEEvPfS3_PT_PKS4_PKT0_SA_ifPKiSC_iPKfiiiSE_SE_iiiii,comdat
	.protected	_ZN4vllm25paged_attention_v2_kernelI14__hip_bfloat16S1_Li96ELi8ELi128ELNS_18Fp8KVCacheDataTypeE0ELb0ELi512EEEvPfS3_PT_PKS4_PKT0_SA_ifPKiSC_iPKfiiiSE_SE_iiiii ; -- Begin function _ZN4vllm25paged_attention_v2_kernelI14__hip_bfloat16S1_Li96ELi8ELi128ELNS_18Fp8KVCacheDataTypeE0ELb0ELi512EEEvPfS3_PT_PKS4_PKT0_SA_ifPKiSC_iPKfiiiSE_SE_iiiii
	.globl	_ZN4vllm25paged_attention_v2_kernelI14__hip_bfloat16S1_Li96ELi8ELi128ELNS_18Fp8KVCacheDataTypeE0ELb0ELi512EEEvPfS3_PT_PKS4_PKT0_SA_ifPKiSC_iPKfiiiSE_SE_iiiii
	.p2align	8
	.type	_ZN4vllm25paged_attention_v2_kernelI14__hip_bfloat16S1_Li96ELi8ELi128ELNS_18Fp8KVCacheDataTypeE0ELb0ELi512EEEvPfS3_PT_PKS4_PKT0_SA_ifPKiSC_iPKfiiiSE_SE_iiiii,@function
_ZN4vllm25paged_attention_v2_kernelI14__hip_bfloat16S1_Li96ELi8ELi128ELNS_18Fp8KVCacheDataTypeE0ELb0ELi512EEEvPfS3_PT_PKS4_PKT0_SA_ifPKiSC_iPKfiiiSE_SE_iiiii: ; @_ZN4vllm25paged_attention_v2_kernelI14__hip_bfloat16S1_Li96ELi8ELi128ELNS_18Fp8KVCacheDataTypeE0ELb0ELi512EEEvPfS3_PT_PKS4_PKT0_SA_ifPKiSC_iPKfiiiSE_SE_iiiii
; %bb.0:
	s_load_dwordx2 s[0:1], s[4:5], 0x40
	s_mov_b32 s22, s7
	s_ashr_i32 s23, s7, 31
	s_lshl_b64 s[2:3], s[22:23], 2
	s_waitcnt lgkmcnt(0)
	s_add_u32 s0, s0, s2
	s_addc_u32 s1, s1, s3
	s_lshl_b32 s33, s8, 9
	s_load_dword s23, s[0:1], 0x0
	s_waitcnt lgkmcnt(0)
	s_cmp_ge_i32 s33, s23
	s_cbranch_scc1 .LBB147_50
; %bb.1:
	s_clause 0x1
	s_load_dword s9, s[4:5], 0x90
	s_load_dwordx2 s[30:31], s[4:5], 0x30
	s_mov_b32 s34, 0
	s_waitcnt lgkmcnt(0)
	s_abs_i32 s3, s9
	s_abs_i32 s0, s30
	v_cvt_f32_u32_e32 v1, s0
	s_sub_i32 s2, 0, s0
	v_rcp_iflag_f32_e32 v1, v1
	v_mul_f32_e32 v1, 0x4f7ffffe, v1
	v_cvt_u32_f32_e32 v1, v1
	v_readfirstlane_b32 s1, v1
	s_mul_i32 s2, s2, s1
	s_mul_hi_u32 s2, s1, s2
	s_add_i32 s1, s1, s2
	s_xor_b32 s2, s9, s30
	s_mul_hi_u32 s1, s3, s1
	s_ashr_i32 s2, s2, 31
	s_mul_i32 s7, s1, s0
	s_sub_i32 s3, s3, s7
	s_add_i32 s7, s1, 1
	s_sub_i32 s10, s3, s0
	s_cmp_ge_u32 s3, s0
	s_cselect_b32 s1, s7, s1
	s_cselect_b32 s3, s10, s3
	s_add_i32 s7, s1, 1
	s_cmp_ge_u32 s3, s0
	s_cselect_b32 s0, s7, s1
	s_abs_i32 s16, s6
	s_xor_b32 s0, s0, s2
	s_sub_i32 s10, s0, s2
	s_load_dwordx2 s[0:1], s[4:5], 0x50
	s_abs_i32 s2, s10
	v_cvt_f32_u32_e32 v1, s2
	s_sub_i32 s7, 0, s2
	v_rcp_iflag_f32_e32 v1, v1
	v_mul_f32_e32 v1, 0x4f7ffffe, v1
	v_cvt_u32_f32_e32 v1, v1
	v_readfirstlane_b32 s3, v1
	s_mul_i32 s7, s7, s3
	s_mul_hi_u32 s7, s3, s7
	s_add_i32 s3, s3, s7
	s_waitcnt lgkmcnt(0)
	s_cmp_eq_u64 s[0:1], 0
	s_mul_hi_u32 s3, s16, s3
	s_cbranch_scc1 .LBB147_3
; %bb.2:
	s_ashr_i32 s7, s6, 31
	s_lshl_b64 s[12:13], s[6:7], 2
	s_add_u32 s0, s0, s12
	s_addc_u32 s1, s1, s13
	s_load_dword s34, s[0:1], 0x0
.LBB147_3:
	s_load_dwordx4 s[12:15], s[4:5], 0x58
	v_and_b32_e32 v1, 3, v0
	v_lshlrev_b32_e32 v2, 2, v0
	s_ashr_i32 s0, s6, 31
	s_ashr_i32 s1, s10, 31
	s_mul_i32 s10, s6, 0x60
	s_mov_b32 s7, exec_lo
	v_cmpx_gt_u32_e32 48, v0
	s_cbranch_execz .LBB147_5
; %bb.4:
	s_load_dwordx2 s[18:19], s[4:5], 0x18
	s_waitcnt lgkmcnt(0)
	s_mul_i32 s20, s12, s22
	v_and_b32_e32 v4, 0x3fc, v0
	s_ashr_i32 s21, s20, 31
	s_lshl_b64 s[20:21], s[20:21], 1
	v_mad_u32_u24 v4, v1, 48, v4
	s_add_u32 s12, s18, s20
	s_addc_u32 s15, s19, s21
	s_ashr_i32 s11, s10, 31
	s_lshl_b64 s[18:19], s[10:11], 1
	s_add_u32 s18, s12, s18
	s_addc_u32 s19, s15, s19
	global_load_dword v3, v2, s[18:19]
	s_waitcnt vmcnt(0)
	ds_write_b32 v4, v3
.LBB147_5:
	s_or_b32 exec_lo, exec_lo, s7
	s_add_i32 s7, s23, 7
	s_load_dwordx2 s[24:25], s[4:5], 0x38
	s_waitcnt lgkmcnt(0)
	s_load_dword s15, s[4:5], 0x48
	s_ashr_i32 s11, s7, 31
	s_lshl_b32 s30, s8, 6
	s_lshr_b32 s11, s11, 29
	s_xor_b32 s0, s0, s1
	s_add_i32 s7, s7, s11
	s_add_i32 s1, s30, 64
	s_ashr_i32 s12, s7, 3
	s_mul_i32 s7, s3, s2
	s_min_i32 s11, s1, s12
	s_sub_i32 s1, s16, s7
	s_add_i32 s7, s3, 1
	s_sub_i32 s16, s1, s2
	s_cmp_ge_u32 s1, s2
	v_lshrrev_b32_e32 v24, 5, v0
	s_cselect_b32 s3, s7, s3
	s_cselect_b32 s1, s16, s1
	s_add_i32 s7, s3, 1
	s_cmp_ge_u32 s1, s2
	v_or_b32_e32 v21, s30, v24
	s_cselect_b32 s1, s7, s3
	v_mbcnt_lo_u32_b32 v3, -1, 0
	s_xor_b32 s1, s1, s0
	s_waitcnt lgkmcnt(0)
	s_mul_i32 s26, s15, s22
	s_sub_i32 s1, s1, s0
	v_cmp_gt_i32_e64 s0, s11, v21
	s_ashr_i32 s27, s26, 31
	s_mov_b32 s2, exec_lo
	s_barrier
	buffer_gl0_inv
                                        ; implicit-def: $vgpr4
                                        ; implicit-def: $vgpr5
	v_cmpx_le_i32_e64 s11, v21
	s_xor_b32 s2, exec_lo, s2
; %bb.6:
	v_mov_b32_e32 v4, 0
	v_mbcnt_lo_u32_b32 v3, -1, 0
	v_mov_b32_e32 v5, 32
                                        ; implicit-def: $vgpr2
                                        ; implicit-def: $vgpr1
; %bb.7:
	s_or_saveexec_b32 s35, s2
	s_clause 0x3
	s_load_dwordx4 s[16:19], s[4:5], 0x0
	s_load_dwordx2 s[20:21], s[4:5], 0x10
	s_load_dwordx2 s[28:29], s[4:5], 0x28
	s_load_dword s7, s[4:5], 0x98
	v_mov_b32_e32 v32, 0xff7fffff
	v_ashrrev_i32_e32 v22, 31, v21
	s_mul_i32 s14, s1, s14
	s_xor_b32 exec_lo, exec_lo, s35
	s_cbranch_execz .LBB147_13
; %bb.8:
	s_load_dwordx2 s[2:3], s[4:5], 0x20
	v_bfe_u32 v38, v0, 2, 3
	s_ashr_i32 s15, s14, 31
	v_mul_u32_u24_e32 v5, 48, v1
	s_lshl_b64 s[4:5], s[14:15], 1
	v_and_b32_e32 v2, 12, v2
	v_lshlrev_b32_e32 v6, 4, v38
	v_mov_b32_e32 v4, 0
	ds_read_b128 v[10:13], v5
	ds_read_b128 v[25:28], v5 offset:16
	ds_read_b128 v[32:35], v5 offset:32
	v_mov_b32_e32 v40, v21
	s_mov_b32 s15, s13
	s_waitcnt lgkmcnt(0)
	s_add_u32 s1, s2, s4
	s_addc_u32 s2, s3, s5
	v_add_co_u32 v5, s1, s1, v6
	v_add_co_ci_u32_e64 v15, null, s2, 0, s1
	s_lshl_b64 s[2:3], s[26:27], 2
	v_add_co_u32 v14, vcc_lo, v5, v2
	v_xor_b32_e32 v2, 2, v3
	v_add_co_ci_u32_e64 v15, null, 0, v15, vcc_lo
	v_xor_b32_e32 v5, 1, v3
	v_lshlrev_b32_e32 v16, 16, v25
	v_cmp_gt_i32_e32 vcc_lo, 32, v2
	v_and_b32_e32 v17, 0xffff0000, v25
	v_lshlrev_b32_e32 v18, 16, v26
	v_and_b32_e32 v19, 0xffff0000, v26
	v_lshlrev_b32_e32 v20, 16, v27
	v_cndmask_b32_e32 v2, v3, v2, vcc_lo
	v_cmp_gt_i32_e32 vcc_lo, 32, v5
	v_and_b32_e32 v23, 0xffff0000, v27
	v_lshlrev_b32_e32 v25, 16, v28
	v_and_b32_e32 v26, 0xffff0000, v28
	v_lshlrev_b32_e32 v36, 2, v2
	v_lshlrev_b32_e32 v2, 2, v38
	;; [unrolled: 1-line block ×3, first 2 shown]
	v_and_b32_e32 v28, 0xffff0000, v32
	v_cndmask_b32_e32 v32, v3, v5, vcc_lo
	v_cmp_eq_u32_e32 vcc_lo, 0, v1
	v_lshl_or_b32 v39, v24, 5, v2
	v_lshlrev_b64 v[1:2], 2, v[21:22]
	s_sub_i32 s4, 1, s23
	v_lshlrev_b32_e32 v37, 2, v32
	v_lshlrev_b32_e32 v32, 3, v24
	s_add_u32 s2, s24, s2
	s_addc_u32 s3, s25, s3
	v_add_co_u32 v1, s2, s2, v1
	v_lshlrev_b32_e32 v6, 16, v10
	v_and_b32_e32 v7, 0xffff0000, v10
	v_lshlrev_b32_e32 v8, 16, v11
	v_and_b32_e32 v9, 0xffff0000, v11
	;; [unrolled: 2-line block ×7, first 2 shown]
	v_mov_b32_e32 v5, 32
	v_cmp_neq_f32_e64 s1, s34, 0
	v_add3_u32 v38, s33, v32, v38
	v_add_nc_u32_e32 v39, 0xe0, v39
	v_add_co_ci_u32_e64 v2, null, s3, v2, s2
	v_mov_b32_e32 v32, 0xff7fffff
	s_mov_b32 s5, 0
	s_branch .LBB147_10
.LBB147_9:                              ;   in Loop: Header=BB147_10 Depth=1
	s_or_b32 exec_lo, exec_lo, s3
	v_add_nc_u32_e32 v40, 4, v40
	v_add_co_u32 v1, s3, v1, 16
	v_add_nc_u32_e32 v38, 32, v38
	v_add_nc_u32_e32 v39, 0x80, v39
	v_cmp_le_i32_e64 s2, s11, v40
	v_add_co_ci_u32_e64 v2, null, 0, v2, s3
	s_or_b32 s5, s2, s5
	s_andn2_b32 exec_lo, exec_lo, s5
	s_cbranch_execz .LBB147_12
.LBB147_10:                             ; =>This Inner Loop Header: Depth=1
	global_load_dword v41, v[1:2], off
	s_waitcnt vmcnt(0) lgkmcnt(0)
	v_mad_i64_i32 v[41:42], null, v41, s15, 0
	v_lshlrev_b64 v[41:42], 1, v[41:42]
	v_add_co_u32 v41, s2, v14, v41
	v_add_co_ci_u32_e64 v42, null, v15, v42, s2
	s_clause 0xb
	global_load_dword v43, v[41:42], off offset:128
	global_load_dword v44, v[41:42], off
	global_load_dword v45, v[41:42], off offset:256
	global_load_dword v46, v[41:42], off offset:384
	;; [unrolled: 1-line block ×10, first 2 shown]
	s_waitcnt vmcnt(11)
	v_lshlrev_b32_e32 v42, 16, v43
	v_and_b32_e32 v43, 0xffff0000, v43
	s_waitcnt vmcnt(10)
	v_lshlrev_b32_e32 v54, 16, v44
	v_and_b32_e32 v44, 0xffff0000, v44
	s_waitcnt vmcnt(9)
	v_lshlrev_b32_e32 v55, 16, v45
	v_mul_f32_e32 v42, v8, v42
	v_mul_f32_e32 v43, v9, v43
	v_and_b32_e32 v45, 0xffff0000, v45
	v_fmac_f32_e32 v42, v6, v54
	v_fmac_f32_e32 v43, v7, v44
	s_waitcnt vmcnt(8)
	v_lshlrev_b32_e32 v44, 16, v46
	v_and_b32_e32 v46, 0xffff0000, v46
	v_fmac_f32_e32 v42, v10, v55
	v_fmac_f32_e32 v43, v11, v45
	s_waitcnt vmcnt(7)
	v_lshlrev_b32_e32 v45, 16, v47
	v_and_b32_e32 v47, 0xffff0000, v47
	v_fmac_f32_e32 v42, v12, v44
	v_fmac_f32_e32 v43, v13, v46
	s_waitcnt vmcnt(6)
	v_lshlrev_b32_e32 v44, 16, v48
	v_and_b32_e32 v46, 0xffff0000, v48
	v_fmac_f32_e32 v42, v16, v45
	v_fmac_f32_e32 v43, v17, v47
	s_waitcnt vmcnt(5)
	v_lshlrev_b32_e32 v45, 16, v49
	v_and_b32_e32 v47, 0xffff0000, v49
	v_fmac_f32_e32 v42, v18, v44
	v_fmac_f32_e32 v43, v19, v46
	s_waitcnt vmcnt(4)
	v_lshlrev_b32_e32 v44, 16, v50
	v_and_b32_e32 v46, 0xffff0000, v50
	v_fmac_f32_e32 v42, v20, v45
	v_fmac_f32_e32 v43, v23, v47
	s_waitcnt vmcnt(3)
	v_lshlrev_b32_e32 v45, 16, v51
	v_and_b32_e32 v47, 0xffff0000, v51
	v_fmac_f32_e32 v42, v25, v44
	v_fmac_f32_e32 v43, v26, v46
	s_waitcnt vmcnt(2)
	v_lshlrev_b32_e32 v44, 16, v52
	v_and_b32_e32 v46, 0xffff0000, v52
	v_fmac_f32_e32 v42, v27, v45
	v_fmac_f32_e32 v43, v28, v47
	s_waitcnt vmcnt(1)
	v_lshlrev_b32_e32 v45, 16, v53
	v_and_b32_e32 v47, 0xffff0000, v53
	v_fmac_f32_e32 v42, v29, v44
	v_fmac_f32_e32 v43, v30, v46
	s_waitcnt vmcnt(0)
	v_lshlrev_b32_e32 v44, 16, v41
	v_and_b32_e32 v41, 0xffff0000, v41
	v_fmac_f32_e32 v42, v31, v45
	v_fmac_f32_e32 v43, v33, v47
	v_fmac_f32_e32 v42, v34, v44
	v_fmac_f32_e32 v43, v35, v41
	v_add_f32_e32 v41, v42, v43
	ds_bpermute_b32 v42, v36, v41
	s_waitcnt lgkmcnt(0)
	v_add_f32_e32 v41, v41, v42
	ds_bpermute_b32 v42, v37, v41
	s_and_saveexec_b32 s3, vcc_lo
	s_cbranch_execz .LBB147_9
; %bb.11:                               ;   in Loop: Header=BB147_10 Depth=1
	v_add_nc_u32_e32 v43, s4, v38
	s_waitcnt lgkmcnt(0)
	v_add_f32_e32 v41, v41, v42
	v_cmp_gt_i32_e64 s2, s23, v38
	v_cvt_f32_i32_e32 v43, v43
	v_mul_f32_e32 v43, s34, v43
	v_cndmask_b32_e64 v42, 0, v43, s1
	v_max_f32_e32 v43, v32, v32
	v_fmac_f32_e32 v42, s31, v41
	v_max_f32_e32 v41, v43, v42
	v_cndmask_b32_e64 v42, 0, v42, s2
	v_cndmask_b32_e64 v32, v32, v41, s2
	ds_write_b32 v39, v42
	s_branch .LBB147_9
.LBB147_12:
	s_or_b32 exec_lo, exec_lo, s5
.LBB147_13:
	s_or_b32 exec_lo, exec_lo, s35
	v_xor_b32_e32 v1, 16, v3
	v_xor_b32_e32 v6, 8, v3
	v_max_f32_e32 v7, v32, v32
	v_xor_b32_e32 v8, 4, v3
	v_and_b32_e32 v25, 31, v0
	v_cmp_lt_i32_e32 vcc_lo, v1, v5
	v_cndmask_b32_e32 v1, v3, v1, vcc_lo
	v_cmp_lt_i32_e32 vcc_lo, v6, v5
	v_lshlrev_b32_e32 v2, 2, v1
	v_cndmask_b32_e32 v6, v3, v6, vcc_lo
	v_cmp_lt_i32_e32 vcc_lo, v8, v5
	ds_bpermute_b32 v1, v2, v32
	v_lshlrev_b32_e32 v6, 2, v6
	v_cndmask_b32_e32 v8, v3, v8, vcc_lo
	v_cmp_eq_u32_e32 vcc_lo, 0, v25
	v_lshlrev_b32_e32 v9, 2, v8
	s_waitcnt lgkmcnt(0)
	v_max_f32_e32 v1, v1, v1
	v_max_f32_e32 v1, v7, v1
	ds_bpermute_b32 v7, v6, v1
	s_waitcnt lgkmcnt(0)
	v_max_f32_e32 v7, v7, v7
	v_max_f32_e32 v1, v1, v7
	v_lshlrev_b32_e32 v7, 2, v24
	ds_bpermute_b32 v8, v9, v1
	s_and_saveexec_b32 s1, vcc_lo
	s_cbranch_execz .LBB147_15
; %bb.14:
	s_waitcnt lgkmcnt(0)
	v_max_f32_e32 v8, v8, v8
	v_max_f32_e32 v1, v1, v1
	;; [unrolled: 1-line block ×3, first 2 shown]
	ds_write_b32 v7, v1 offset:192
.LBB147_15:
	s_or_b32 exec_lo, exec_lo, s1
	v_cmp_gt_u32_e64 s1, 4, v25
	v_mov_b32_e32 v1, 0xff7fffff
	s_waitcnt lgkmcnt(0)
	v_lshlrev_b32_e32 v8, 2, v25
	s_barrier
	buffer_gl0_inv
	s_and_saveexec_b32 s2, s1
; %bb.16:
	ds_read_b32 v1, v8 offset:192
; %bb.17:
	s_or_b32 exec_lo, exec_lo, s2
	v_xor_b32_e32 v10, 2, v3
	v_xor_b32_e32 v12, 1, v3
	v_lshlrev_b32_e32 v4, 2, v4
	v_cmp_lt_i32_e64 s2, v10, v5
	v_cndmask_b32_e64 v10, v3, v10, s2
	v_cmp_lt_i32_e64 s2, v12, v5
	v_lshlrev_b32_e32 v10, 2, v10
	v_cndmask_b32_e64 v5, v3, v12, s2
	s_sub_i32 s2, s11, s30
	s_lshl_b32 s2, s2, 3
	s_waitcnt lgkmcnt(0)
	ds_bpermute_b32 v11, v10, v1
	v_max_f32_e32 v1, v1, v1
	v_lshlrev_b32_e32 v5, 2, v5
	s_add_i32 s2, s2, s33
	s_min_i32 s2, s2, s23
	s_sub_i32 s4, s2, s33
	v_cmp_gt_i32_e64 s2, s4, v0
	s_waitcnt lgkmcnt(0)
	v_max_f32_e32 v11, v11, v11
	v_max_f32_e32 v1, v1, v11
	ds_bpermute_b32 v11, v5, v1
	s_waitcnt lgkmcnt(0)
	v_max_f32_e32 v11, v11, v11
	v_max_f32_e32 v1, v1, v11
	v_mov_b32_e32 v11, 0
	ds_bpermute_b32 v1, v4, v1
	v_lshl_add_u32 v4, v0, 2, 0xe0
	s_and_saveexec_b32 s5, s2
	s_cbranch_execz .LBB147_21
; %bb.18:
	v_lshl_add_u32 v12, v0, 2, 0xe0
	v_mov_b32_e32 v11, 0
	v_mov_b32_e32 v13, v0
	s_mov_b32 s15, 0
	.p2align	6
.LBB147_19:                             ; =>This Inner Loop Header: Depth=1
	ds_read_b32 v14, v12
	v_add_nc_u32_e32 v13, 0x80, v13
	v_cmp_le_i32_e64 s3, s4, v13
	s_or_b32 s15, s3, s15
	s_waitcnt lgkmcnt(0)
	v_sub_f32_e32 v14, v14, v1
	v_mul_f32_e32 v14, 0x3fb8aa3b, v14
	v_exp_f32_e32 v14, v14
	ds_write_b32 v12, v14
	v_add_f32_e32 v11, v11, v14
	v_add_nc_u32_e32 v12, 0x200, v12
	s_andn2_b32 exec_lo, exec_lo, s15
	s_cbranch_execnz .LBB147_19
; %bb.20:
	s_or_b32 exec_lo, exec_lo, s15
.LBB147_21:
	s_or_b32 exec_lo, exec_lo, s5
	ds_bpermute_b32 v2, v2, v11
	s_waitcnt lgkmcnt(0)
	v_add_f32_e32 v2, v11, v2
	ds_bpermute_b32 v6, v6, v2
	s_waitcnt lgkmcnt(0)
	v_add_f32_e32 v2, v2, v6
	;; [unrolled: 3-line block ×5, first 2 shown]
	s_and_saveexec_b32 s3, vcc_lo
; %bb.22:
	ds_write_b32 v7, v2 offset:208
; %bb.23:
	s_or_b32 exec_lo, exec_lo, s3
	s_waitcnt lgkmcnt(0)
	s_barrier
	buffer_gl0_inv
	s_and_saveexec_b32 s3, s1
; %bb.24:
	ds_read_b32 v2, v8 offset:208
; %bb.25:
	s_or_b32 exec_lo, exec_lo, s3
	s_waitcnt lgkmcnt(0)
	ds_bpermute_b32 v6, v10, v2
	v_lshlrev_b32_e32 v3, 2, v3
	v_and_b32_e32 v3, 0xffffff80, v3
	s_waitcnt lgkmcnt(0)
	v_add_f32_e32 v2, v2, v6
	ds_bpermute_b32 v5, v5, v2
	s_waitcnt lgkmcnt(0)
	v_add_f32_e32 v2, v2, v5
	ds_bpermute_b32 v2, v3, v2
	s_and_saveexec_b32 s1, s2
	s_cbranch_execz .LBB147_28
; %bb.26:
	s_waitcnt lgkmcnt(0)
	v_add_f32_e32 v3, 0x358637bd, v2
	s_mov_b32 s2, 0
	v_div_scale_f32 v5, null, v3, v3, 1.0
	v_div_scale_f32 v8, vcc_lo, 1.0, v3, 1.0
	v_rcp_f32_e32 v6, v5
	v_fma_f32 v7, -v5, v6, 1.0
	v_fmac_f32_e32 v6, v7, v6
	v_mul_f32_e32 v7, v8, v6
	v_fma_f32 v9, -v5, v7, v8
	v_fmac_f32_e32 v7, v9, v6
	v_fma_f32 v5, -v5, v7, v8
	v_div_fmas_f32 v5, v5, v6, v7
	v_div_fixup_f32 v3, v5, v3, 1.0
	v_mov_b32_e32 v5, v0
.LBB147_27:                             ; =>This Inner Loop Header: Depth=1
	ds_read_b32 v6, v4
	v_add_nc_u32_e32 v5, 0x80, v5
	v_cmp_le_i32_e32 vcc_lo, s4, v5
	s_or_b32 s2, vcc_lo, s2
	s_waitcnt lgkmcnt(0)
	v_mul_f32_e32 v6, v3, v6
	ds_write_b32 v4, v6
	v_add_nc_u32_e32 v4, 0x200, v4
	s_andn2_b32 exec_lo, exec_lo, s2
	s_cbranch_execnz .LBB147_27
.LBB147_28:
	s_or_b32 exec_lo, exec_lo, s1
	s_mul_i32 s1, s7, s22
	s_waitcnt lgkmcnt(0)
	s_mul_i32 s4, s1, s9
	s_mov_b32 s1, exec_lo
	s_barrier
	buffer_gl0_inv
	v_cmpx_eq_u32_e32 0, v0
	s_cbranch_execz .LBB147_30
; %bb.29:
	s_ashr_i32 s5, s4, 31
	s_mul_i32 s30, s7, s6
	s_lshl_b64 s[2:3], s[4:5], 2
	v_mov_b32_e32 v3, 0
	s_add_u32 s5, s18, s2
	s_addc_u32 s6, s19, s3
	s_ashr_i32 s31, s30, 31
	s_lshl_b64 s[18:19], s[30:31], 2
	s_add_u32 s5, s5, s18
	s_addc_u32 s6, s6, s19
	s_ashr_i32 s9, s8, 31
	s_lshl_b64 s[30:31], s[8:9], 2
	s_add_u32 s34, s5, s30
	s_addc_u32 s35, s6, s31
	s_add_u32 s2, s16, s2
	s_addc_u32 s3, s17, s3
	;; [unrolled: 2-line block ×4, first 2 shown]
	global_store_dword v3, v1, s[34:35]
	global_store_dword v3, v2, s[2:3]
.LBB147_30:
	s_or_b32 exec_lo, exec_lo, s1
	v_mov_b32_e32 v28, 0
	v_mov_b32_e32 v27, 0
	;; [unrolled: 1-line block ×3, first 2 shown]
	s_and_saveexec_b32 s3, s0
	s_cbranch_execz .LBB147_40
; %bb.31:
	s_ashr_i32 s15, s14, 31
	v_lshlrev_b32_e32 v1, 4, v25
	s_lshl_b64 s[0:1], s[14:15], 1
	v_mov_b32_e32 v29, 0
	s_add_u32 s0, s28, s0
	s_addc_u32 s1, s29, s1
	v_add_co_u32 v30, s0, s0, v1
	v_lshlrev_b64 v[1:2], 2, v[21:22]
	v_add_co_ci_u32_e64 v31, null, s1, 0, s0
	s_lshl_b64 s[0:1], s[26:27], 2
	s_add_i32 s12, s12, -1
	s_add_u32 s0, s24, s0
	s_addc_u32 s1, s25, s1
	v_add_co_u32 v22, vcc_lo, s0, v1
	v_lshl_add_u32 v32, v24, 3, s33
	v_lshl_add_u32 v33, v24, 5, 0xe0
	v_add_co_ci_u32_e64 v23, null, s1, v2, vcc_lo
	v_mov_b32_e32 v26, 0
	v_mov_b32_e32 v27, 0
	;; [unrolled: 1-line block ×3, first 2 shown]
	s_mov_b32 s5, s13
	s_mov_b32 s9, s23
	;; [unrolled: 1-line block ×3, first 2 shown]
	s_branch .LBB147_33
.LBB147_32:                             ;   in Loop: Header=BB147_33 Depth=1
	s_or_b32 exec_lo, exec_lo, s2
	s_waitcnt lgkmcnt(1)
	v_bfe_u32 v34, v17, 16, 1
	v_bfe_u32 v35, v18, 16, 1
	v_or_b32_e32 v36, 0x400000, v17
	v_cmp_u_f32_e32 vcc_lo, v17, v17
	v_or_b32_e32 v37, 0x400000, v18
	v_add3_u32 v34, v34, v17, 0x7fff
	v_bfe_u32 v38, v19, 16, 1
	v_add3_u32 v35, v35, v18, 0x7fff
	v_bfe_u32 v39, v20, 16, 1
	v_add_nc_u32_e32 v21, 4, v21
	v_cndmask_b32_e32 v17, v34, v36, vcc_lo
	v_cmp_u_f32_e32 vcc_lo, v18, v18
	v_add3_u32 v34, v38, v19, 0x7fff
	s_waitcnt lgkmcnt(0)
	v_bfe_u32 v36, v9, 16, 1
	v_or_b32_e32 v38, 0x400000, v20
	v_and_b32_e32 v17, 0xffff0000, v17
	v_cndmask_b32_e32 v18, v35, v37, vcc_lo
	v_or_b32_e32 v35, 0x400000, v19
	v_cmp_u_f32_e32 vcc_lo, v19, v19
	v_add3_u32 v37, v39, v20, 0x7fff
	v_add_co_u32 v22, s0, v22, 16
	v_add_nc_u32_e32 v32, 32, v32
	v_cndmask_b32_e32 v19, v34, v35, vcc_lo
	v_cmp_u_f32_e32 vcc_lo, v20, v20
	v_add3_u32 v34, v36, v9, 0x7fff
	v_or_b32_e32 v35, 0x400000, v9
	v_bfe_u32 v36, v10, 16, 1
	v_and_b32_e32 v19, 0xffff0000, v19
	v_cndmask_b32_e32 v20, v37, v38, vcc_lo
	v_cmp_u_f32_e32 vcc_lo, v9, v9
	v_and_b32_e32 v9, 0xffff0000, v18
	s_waitcnt vmcnt(1)
	v_and_b32_e32 v18, 0xffff0000, v13
	v_add3_u32 v36, v36, v10, 0x7fff
	v_or_b32_e32 v37, 0x400000, v10
	v_cndmask_b32_e32 v34, v34, v35, vcc_lo
	v_bfe_u32 v35, v11, 16, 1
	v_mul_f32_e32 v18, v9, v18
	v_cmp_u_f32_e32 vcc_lo, v10, v10
	v_or_b32_e32 v38, 0x400000, v11
	v_lshlrev_b32_e32 v13, 16, v13
	v_add3_u32 v35, v35, v11, 0x7fff
	v_or_b32_e32 v39, 0x400000, v18
	v_cndmask_b32_e32 v10, v36, v37, vcc_lo
	v_bfe_u32 v36, v12, 16, 1
	v_cmp_u_f32_e32 vcc_lo, v11, v11
	v_bfe_u32 v11, v18, 16, 1
	v_or_b32_e32 v37, 0x400000, v12
	v_mul_f32_e32 v13, v17, v13
	v_add3_u32 v36, v36, v12, 0x7fff
	v_cndmask_b32_e32 v35, v35, v38, vcc_lo
	v_add3_u32 v38, v11, v18, 0x7fff
	v_and_b32_e32 v11, 0xffff0000, v20
	v_and_b32_e32 v20, 0xffff0000, v14
	v_cmp_u_f32_e32 vcc_lo, v12, v12
	v_lshlrev_b32_e32 v14, 16, v14
	v_and_b32_e32 v10, 0xffff0000, v10
	v_and_b32_e32 v34, 0xffff0000, v34
	v_mul_f32_e32 v20, v11, v20
	v_cndmask_b32_e32 v12, v36, v37, vcc_lo
	v_cmp_u_f32_e32 vcc_lo, v18, v18
	v_bfe_u32 v36, v13, 16, 1
	v_and_b32_e32 v37, 0xffff0000, v15
	v_mul_f32_e32 v14, v19, v14
	v_lshlrev_b32_e32 v15, 16, v15
	v_cndmask_b32_e32 v18, v38, v39, vcc_lo
	v_add3_u32 v36, v36, v13, 0x7fff
	v_or_b32_e32 v38, 0x400000, v13
	v_bfe_u32 v39, v20, 16, 1
	v_cmp_u_f32_e32 vcc_lo, v13, v13
	v_mul_f32_e32 v37, v10, v37
	v_mul_f32_e32 v15, v34, v15
	v_and_b32_e32 v12, 0xffff0000, v12
	v_and_b32_e32 v35, 0xffff0000, v35
	v_cndmask_b32_e32 v13, v36, v38, vcc_lo
	v_add3_u32 v36, v39, v20, 0x7fff
	v_or_b32_e32 v38, 0x400000, v20
	v_bfe_u32 v39, v14, 16, 1
	v_cmp_u_f32_e32 vcc_lo, v20, v20
	v_bfe_u32 v40, v37, 16, 1
	v_or_b32_e32 v41, 0x400000, v37
	v_bfe_u32 v42, v15, 16, 1
	v_and_b32_e32 v13, 0xffff0000, v13
	v_cndmask_b32_e32 v20, v36, v38, vcc_lo
	v_add3_u32 v36, v39, v14, 0x7fff
	v_or_b32_e32 v38, 0x400000, v14
	v_cmp_u_f32_e32 vcc_lo, v14, v14
	v_add3_u32 v39, v40, v37, 0x7fff
	v_and_b32_e32 v40, 0xffff0000, v16
	v_lshlrev_b32_e32 v16, 16, v16
	v_and_b32_e32 v18, 0xffff0000, v18
	v_cndmask_b32_e32 v14, v36, v38, vcc_lo
	v_cmp_u_f32_e32 vcc_lo, v37, v37
	v_mul_f32_e32 v36, v12, v40
	v_add3_u32 v38, v42, v15, 0x7fff
	v_and_b32_e32 v20, 0xffff0000, v20
	v_and_b32_e32 v14, 0xffff0000, v14
	v_cndmask_b32_e32 v37, v39, v41, vcc_lo
	v_or_b32_e32 v39, 0x400000, v15
	v_cmp_u_f32_e32 vcc_lo, v15, v15
	v_bfe_u32 v40, v36, 16, 1
	v_mul_f32_e32 v16, v35, v16
	v_add_f32_e32 v13, v13, v18
	v_add_f32_e32 v14, v14, v20
	v_cndmask_b32_e32 v15, v38, v39, vcc_lo
	v_add3_u32 v38, v40, v36, 0x7fff
	v_or_b32_e32 v39, 0x400000, v36
	v_cmp_u_f32_e32 vcc_lo, v36, v36
	v_and_b32_e32 v18, 0xffff0000, v1
	v_and_b32_e32 v15, 0xffff0000, v15
	v_and_b32_e32 v20, 0xffff0000, v37
	v_add_f32_e32 v13, v14, v13
	v_cndmask_b32_e32 v36, v38, v39, vcc_lo
	v_bfe_u32 v38, v16, 16, 1
	v_mul_f32_e32 v14, v9, v18
	v_add_f32_e32 v15, v15, v20
	v_lshlrev_b32_e32 v1, 16, v1
	v_cmp_u_f32_e32 vcc_lo, v16, v16
	v_add3_u32 v37, v38, v16, 0x7fff
	v_or_b32_e32 v38, 0x400000, v16
	v_bfe_u32 v18, v14, 16, 1
	v_add_f32_e32 v13, v15, v13
	v_and_b32_e32 v15, 0xffff0000, v2
	v_mul_f32_e32 v1, v17, v1
	v_cndmask_b32_e32 v16, v37, v38, vcc_lo
	v_add3_u32 v18, v18, v14, 0x7fff
	v_or_b32_e32 v20, 0x400000, v14
	v_mul_f32_e32 v15, v11, v15
	v_bfe_u32 v37, v1, 16, 1
	v_cmp_u_f32_e32 vcc_lo, v14, v14
	v_lshlrev_b32_e32 v2, 16, v2
	v_or_b32_e32 v38, 0x400000, v1
	v_or_b32_e32 v39, 0x400000, v15
	v_and_b32_e32 v16, 0xffff0000, v16
	v_cndmask_b32_e32 v14, v18, v20, vcc_lo
	v_bfe_u32 v18, v15, 16, 1
	v_add3_u32 v20, v37, v1, 0x7fff
	v_and_b32_e32 v37, 0xffff0000, v3
	v_mul_f32_e32 v2, v19, v2
	v_cmp_u_f32_e32 vcc_lo, v1, v1
	v_add3_u32 v18, v18, v15, 0x7fff
	v_lshlrev_b32_e32 v3, 16, v3
	v_mul_f32_e32 v37, v10, v37
	v_and_b32_e32 v14, 0xffff0000, v14
	v_cndmask_b32_e32 v1, v20, v38, vcc_lo
	v_bfe_u32 v20, v2, 16, 1
	v_cmp_u_f32_e32 vcc_lo, v15, v15
	v_and_b32_e32 v38, 0xffff0000, v4
	v_mul_f32_e32 v3, v34, v3
	v_or_b32_e32 v40, 0x400000, v37
	v_add3_u32 v20, v20, v2, 0x7fff
	v_cndmask_b32_e32 v15, v18, v39, vcc_lo
	v_bfe_u32 v18, v37, 16, 1
	v_or_b32_e32 v39, 0x400000, v2
	v_cmp_u_f32_e32 vcc_lo, v2, v2
	v_mul_f32_e32 v38, v12, v38
	v_lshlrev_b32_e32 v4, 16, v4
	v_add3_u32 v18, v18, v37, 0x7fff
	v_and_b32_e32 v1, 0xffff0000, v1
	v_cndmask_b32_e32 v2, v20, v39, vcc_lo
	v_bfe_u32 v20, v3, 16, 1
	v_cmp_u_f32_e32 vcc_lo, v37, v37
	v_bfe_u32 v39, v38, 16, 1
	v_or_b32_e32 v37, 0x400000, v3
	v_mul_f32_e32 v4, v35, v4
	v_add3_u32 v20, v20, v3, 0x7fff
	v_cndmask_b32_e32 v18, v18, v40, vcc_lo
	v_cmp_u_f32_e32 vcc_lo, v3, v3
	v_add3_u32 v39, v39, v38, 0x7fff
	v_or_b32_e32 v40, 0x400000, v38
	v_and_b32_e32 v2, 0xffff0000, v2
	v_and_b32_e32 v15, 0xffff0000, v15
	v_cndmask_b32_e32 v3, v20, v37, vcc_lo
	v_cmp_u_f32_e32 vcc_lo, v38, v38
	v_bfe_u32 v37, v4, 16, 1
	v_add_f32_e32 v1, v1, v14
	v_add_f32_e32 v2, v2, v15
	v_or_b32_e32 v38, 0x400000, v4
	v_cndmask_b32_e32 v20, v39, v40, vcc_lo
	s_waitcnt vmcnt(0)
	v_lshlrev_b32_e32 v39, 16, v5
	v_and_b32_e32 v5, 0xffff0000, v5
	v_add3_u32 v37, v37, v4, 0x7fff
	v_and_b32_e32 v3, 0xffff0000, v3
	v_and_b32_e32 v14, 0xffff0000, v18
	v_mul_f32_e32 v15, v17, v39
	v_cmp_u_f32_e32 vcc_lo, v4, v4
	v_add_f32_e32 v1, v2, v1
	v_mul_f32_e32 v5, v9, v5
	v_lshlrev_b32_e32 v9, 16, v6
	v_bfe_u32 v2, v15, 16, 1
	v_cndmask_b32_e32 v4, v37, v38, vcc_lo
	v_add_f32_e32 v3, v3, v14
	v_or_b32_e32 v14, 0x400000, v15
	v_bfe_u32 v17, v5, 16, 1
	v_add3_u32 v2, v2, v15, 0x7fff
	v_mul_f32_e32 v9, v19, v9
	v_and_b32_e32 v6, 0xffff0000, v6
	v_cmp_u_f32_e32 vcc_lo, v15, v15
	v_or_b32_e32 v15, 0x400000, v5
	v_and_b32_e32 v36, 0xffff0000, v36
	v_and_b32_e32 v4, 0xffff0000, v4
	v_mul_f32_e32 v6, v11, v6
	v_cndmask_b32_e32 v2, v2, v14, vcc_lo
	v_add3_u32 v14, v17, v5, 0x7fff
	v_bfe_u32 v17, v9, 16, 1
	v_lshlrev_b32_e32 v11, 16, v7
	v_cmp_u_f32_e32 vcc_lo, v5, v5
	v_and_b32_e32 v7, 0xffff0000, v7
	v_and_b32_e32 v2, 0xffff0000, v2
	v_add_f32_e32 v1, v3, v1
	v_mul_f32_e32 v11, v34, v11
	v_cndmask_b32_e32 v5, v14, v15, vcc_lo
	v_add3_u32 v14, v17, v9, 0x7fff
	v_or_b32_e32 v15, 0x400000, v9
	v_bfe_u32 v17, v6, 16, 1
	v_cmp_u_f32_e32 vcc_lo, v9, v9
	v_mul_f32_e32 v7, v10, v7
	v_lshlrev_b32_e32 v10, 16, v8
	v_and_b32_e32 v8, 0xffff0000, v8
	v_and_b32_e32 v5, 0xffff0000, v5
	v_cndmask_b32_e32 v9, v14, v15, vcc_lo
	v_add3_u32 v14, v17, v6, 0x7fff
	v_or_b32_e32 v15, 0x400000, v6
	v_bfe_u32 v17, v11, 16, 1
	v_cmp_u_f32_e32 vcc_lo, v6, v6
	v_mul_f32_e32 v8, v12, v8
	v_or_b32_e32 v12, 0x400000, v11
	v_mul_f32_e32 v10, v35, v10
	v_and_b32_e32 v9, 0xffff0000, v9
	v_cndmask_b32_e32 v6, v14, v15, vcc_lo
	v_bfe_u32 v14, v7, 16, 1
	v_add3_u32 v15, v17, v11, 0x7fff
	v_cmp_u_f32_e32 vcc_lo, v11, v11
	v_or_b32_e32 v17, 0x400000, v7
	v_bfe_u32 v19, v8, 16, 1
	v_add3_u32 v14, v14, v7, 0x7fff
	v_bfe_u32 v18, v10, 16, 1
	v_cndmask_b32_e32 v11, v15, v12, vcc_lo
	v_cmp_u_f32_e32 vcc_lo, v7, v7
	v_or_b32_e32 v15, 0x400000, v8
	v_and_b32_e32 v6, 0xffff0000, v6
	v_add3_u32 v12, v18, v10, 0x7fff
	v_add_f32_e32 v2, v2, v5
	v_cndmask_b32_e32 v7, v14, v17, vcc_lo
	v_add3_u32 v14, v19, v8, 0x7fff
	v_cmp_u_f32_e32 vcc_lo, v8, v8
	v_or_b32_e32 v17, 0x400000, v10
	v_add_f32_e32 v5, v9, v6
	v_and_b32_e32 v6, 0xffff0000, v7
	v_and_b32_e32 v7, 0xffff0000, v11
	v_cndmask_b32_e32 v8, v14, v15, vcc_lo
	v_cmp_u_f32_e32 vcc_lo, v10, v10
	v_and_b32_e32 v10, 0xffff0000, v20
	v_add_f32_e32 v2, v5, v2
	v_add_f32_e32 v5, v7, v6
	v_and_b32_e32 v6, 0xffff0000, v8
	v_cndmask_b32_e32 v9, v12, v17, vcc_lo
	v_add_f32_e32 v8, v16, v36
	v_add_f32_e32 v3, v4, v10
	;; [unrolled: 1-line block ×3, first 2 shown]
	v_cmp_le_i32_e32 vcc_lo, s11, v21
	v_and_b32_e32 v7, 0xffff0000, v9
	v_add_f32_e32 v5, v8, v13
	v_add_f32_e32 v1, v3, v1
	v_add_nc_u32_e32 v33, 0x80, v33
	v_add_co_ci_u32_e64 v23, null, 0, v23, s0
	v_add_f32_e32 v4, v7, v6
	v_add_f32_e32 v27, v27, v5
	;; [unrolled: 1-line block ×3, first 2 shown]
	s_or_b32 s6, vcc_lo, s6
	v_add_f32_e32 v2, v4, v2
	v_add_f32_e32 v26, v26, v2
	s_andn2_b32 exec_lo, exec_lo, s6
	s_cbranch_execz .LBB147_39
.LBB147_33:                             ; =>This Inner Loop Header: Depth=1
	global_load_dword v1, v[22:23], off
	v_cmp_eq_u32_e64 s0, s12, v21
	v_add_nc_u32_e32 v40, 1, v32
	v_or_b32_e32 v38, 3, v32
	v_or_b32_e32 v39, 2, v32
	v_or_b32_e32 v37, 5, v32
	v_or_b32_e32 v36, 4, v32
	v_or_b32_e32 v35, 7, v32
	v_or_b32_e32 v34, 6, v32
	s_waitcnt vmcnt(0)
	v_mad_i64_i32 v[1:2], null, v1, s5, 0
	v_lshlrev_b64 v[1:2], 1, v[1:2]
	v_add_co_u32 v5, vcc_lo, v30, v1
	v_add_co_ci_u32_e64 v6, null, v31, v2, vcc_lo
	global_load_dwordx4 v[1:4], v[5:6], off
	ds_read2_b64 v[17:20], v33 offset1:1
	ds_read2_b64 v[9:12], v33 offset0:2 offset1:3
	s_and_saveexec_b32 s13, s0
	s_cbranch_execnz .LBB147_36
; %bb.34:                               ;   in Loop: Header=BB147_33 Depth=1
	s_or_b32 exec_lo, exec_lo, s13
	global_load_dwordx4 v[13:16], v[5:6], off offset:512
	s_and_saveexec_b32 s13, s0
	s_cbranch_execnz .LBB147_37
.LBB147_35:                             ;   in Loop: Header=BB147_33 Depth=1
	s_or_b32 exec_lo, exec_lo, s13
	global_load_dwordx4 v[5:8], v[5:6], off offset:1024
	s_and_saveexec_b32 s2, s0
	s_cbranch_execz .LBB147_32
	s_branch .LBB147_38
.LBB147_36:                             ;   in Loop: Header=BB147_33 Depth=1
	v_cmp_gt_i32_e64 s1, s23, v32
	v_cmp_gt_i32_e32 vcc_lo, s9, v40
	v_cmp_gt_i32_e64 s2, s23, v39
	s_waitcnt vmcnt(0)
	v_cndmask_b32_e64 v7, 0, v1, s1
	v_cmp_gt_i32_e64 s1, s9, v38
	v_cndmask_b32_sdwa v1, v29, v1, vcc_lo dst_sel:DWORD dst_unused:UNUSED_PAD src0_sel:DWORD src1_sel:WORD_1
	v_cndmask_b32_e64 v8, 0, v2, s2
	v_cmp_gt_i32_e64 s2, s9, v37
	s_mov_b32 vcc_lo, s1
	v_cmp_gt_i32_e64 s1, s9, v35
	v_cndmask_b32_sdwa v2, v29, v2, vcc_lo dst_sel:DWORD dst_unused:UNUSED_PAD src0_sel:DWORD src1_sel:WORD_1
	v_cmp_gt_i32_e32 vcc_lo, s23, v36
	v_perm_b32 v1, v1, v7, 0x5040100
	v_perm_b32 v2, v2, v8, 0x5040100
	v_cndmask_b32_e32 v13, 0, v3, vcc_lo
	s_mov_b32 vcc_lo, s2
	v_cndmask_b32_sdwa v3, v29, v3, vcc_lo dst_sel:DWORD dst_unused:UNUSED_PAD src0_sel:DWORD src1_sel:WORD_1
	v_cmp_gt_i32_e32 vcc_lo, s23, v34
	v_perm_b32 v3, v3, v13, 0x5040100
	v_cndmask_b32_e32 v14, 0, v4, vcc_lo
	s_mov_b32 vcc_lo, s1
	v_cndmask_b32_sdwa v4, v29, v4, vcc_lo dst_sel:DWORD dst_unused:UNUSED_PAD src0_sel:DWORD src1_sel:WORD_1
	v_perm_b32 v4, v4, v14, 0x5040100
	s_or_b32 exec_lo, exec_lo, s13
	global_load_dwordx4 v[13:16], v[5:6], off offset:512
	s_and_saveexec_b32 s13, s0
	s_cbranch_execz .LBB147_35
.LBB147_37:                             ;   in Loop: Header=BB147_33 Depth=1
	v_cmp_gt_i32_e64 s1, s23, v32
	v_cmp_gt_i32_e32 vcc_lo, s9, v40
	v_cmp_gt_i32_e64 s2, s23, v39
	s_waitcnt vmcnt(0)
	v_cndmask_b32_e64 v7, 0, v13, s1
	v_cmp_gt_i32_e64 s1, s9, v38
	v_cndmask_b32_sdwa v13, v29, v13, vcc_lo dst_sel:DWORD dst_unused:UNUSED_PAD src0_sel:DWORD src1_sel:WORD_1
	v_cndmask_b32_e64 v8, 0, v14, s2
	v_cmp_gt_i32_e64 s2, s9, v37
	s_mov_b32 vcc_lo, s1
	v_cmp_gt_i32_e64 s1, s9, v35
	v_cndmask_b32_sdwa v14, v29, v14, vcc_lo dst_sel:DWORD dst_unused:UNUSED_PAD src0_sel:DWORD src1_sel:WORD_1
	v_cmp_gt_i32_e32 vcc_lo, s23, v36
	v_perm_b32 v13, v13, v7, 0x5040100
	v_perm_b32 v14, v14, v8, 0x5040100
	v_cndmask_b32_e32 v41, 0, v15, vcc_lo
	s_mov_b32 vcc_lo, s2
	v_cndmask_b32_sdwa v15, v29, v15, vcc_lo dst_sel:DWORD dst_unused:UNUSED_PAD src0_sel:DWORD src1_sel:WORD_1
	v_cmp_gt_i32_e32 vcc_lo, s23, v34
	v_perm_b32 v15, v15, v41, 0x5040100
	v_cndmask_b32_e32 v42, 0, v16, vcc_lo
	s_mov_b32 vcc_lo, s1
	v_cndmask_b32_sdwa v16, v29, v16, vcc_lo dst_sel:DWORD dst_unused:UNUSED_PAD src0_sel:DWORD src1_sel:WORD_1
	v_perm_b32 v16, v16, v42, 0x5040100
	s_or_b32 exec_lo, exec_lo, s13
	global_load_dwordx4 v[5:8], v[5:6], off offset:1024
	s_and_saveexec_b32 s2, s0
	s_cbranch_execz .LBB147_32
.LBB147_38:                             ;   in Loop: Header=BB147_33 Depth=1
	v_cmp_gt_i32_e64 s0, s23, v32
	v_cmp_gt_i32_e32 vcc_lo, s9, v40
	v_cmp_gt_i32_e64 s1, s23, v39
	s_waitcnt vmcnt(0)
	v_cndmask_b32_e64 v40, 0, v5, s0
	v_cmp_gt_i32_e64 s0, s9, v38
	v_cndmask_b32_sdwa v5, v29, v5, vcc_lo dst_sel:DWORD dst_unused:UNUSED_PAD src0_sel:DWORD src1_sel:WORD_1
	v_cndmask_b32_e64 v38, 0, v6, s1
	v_cmp_gt_i32_e64 s1, s9, v37
	s_mov_b32 vcc_lo, s0
	v_cmp_gt_i32_e64 s0, s9, v35
	v_cndmask_b32_sdwa v6, v29, v6, vcc_lo dst_sel:DWORD dst_unused:UNUSED_PAD src0_sel:DWORD src1_sel:WORD_1
	v_cmp_gt_i32_e32 vcc_lo, s23, v36
	v_perm_b32 v5, v5, v40, 0x5040100
	v_perm_b32 v6, v6, v38, 0x5040100
	v_cndmask_b32_e32 v36, 0, v7, vcc_lo
	s_mov_b32 vcc_lo, s1
	v_cndmask_b32_sdwa v7, v29, v7, vcc_lo dst_sel:DWORD dst_unused:UNUSED_PAD src0_sel:DWORD src1_sel:WORD_1
	v_cmp_gt_i32_e32 vcc_lo, s23, v34
	v_perm_b32 v7, v7, v36, 0x5040100
	v_cndmask_b32_e32 v34, 0, v8, vcc_lo
	s_mov_b32 vcc_lo, s0
	v_cndmask_b32_sdwa v8, v29, v8, vcc_lo dst_sel:DWORD dst_unused:UNUSED_PAD src0_sel:DWORD src1_sel:WORD_1
	v_perm_b32 v8, v8, v34, 0x5040100
	s_branch .LBB147_32
.LBB147_39:
	s_or_b32 exec_lo, exec_lo, s6
.LBB147_40:
	s_or_b32 exec_lo, exec_lo, s3
	v_lshl_add_u32 v2, v25, 2, 0xe0
	v_and_b32_e32 v3, 0x3c0, v0
	s_mov_b32 s0, exec_lo
	s_waitcnt_vscnt null, 0x0
	s_barrier
	v_mad_u32_u24 v1, 0x180, v24, v2
	buffer_gl0_inv
	v_cmpx_eq_u32_e32 64, v3
	s_cbranch_execz .LBB147_42
; %bb.41:
	v_add_nc_u32_e32 v3, 0xfffffd00, v1
	v_add_nc_u32_e32 v4, 0xfffffd80, v1
	;; [unrolled: 1-line block ×3, first 2 shown]
	ds_write_b32 v3, v28
	ds_write_b32 v4, v27
	ds_write_b32 v5, v26
.LBB147_42:
	s_or_b32 exec_lo, exec_lo, s0
	s_mov_b32 s0, exec_lo
	s_waitcnt lgkmcnt(0)
	s_barrier
	buffer_gl0_inv
	v_cmpx_gt_u32_e32 64, v0
	s_cbranch_execz .LBB147_44
; %bb.43:
	ds_read2_b32 v[3:4], v1 offset1:32
	ds_read_b32 v5, v1 offset:256
	s_waitcnt lgkmcnt(1)
	v_add_f32_e32 v28, v28, v3
	v_add_f32_e32 v27, v27, v4
	s_waitcnt lgkmcnt(0)
	v_add_f32_e32 v26, v26, v5
.LBB147_44:
	s_or_b32 exec_lo, exec_lo, s0
	v_and_b32_e32 v3, 0x3e0, v0
	s_mov_b32 s0, exec_lo
	s_barrier
	buffer_gl0_inv
	v_cmpx_eq_u32_e32 32, v3
	s_cbranch_execz .LBB147_46
; %bb.45:
	ds_write2_b32 v2, v28, v27 offset1:32
	ds_write_b32 v2, v26 offset:256
.LBB147_46:
	s_or_b32 exec_lo, exec_lo, s0
	v_cmp_gt_u32_e32 vcc_lo, 32, v0
	s_waitcnt lgkmcnt(0)
	s_barrier
	buffer_gl0_inv
	s_and_saveexec_b32 s0, vcc_lo
	s_cbranch_execz .LBB147_48
; %bb.47:
	ds_read2_b32 v[2:3], v1 offset1:32
	ds_read_b32 v1, v1 offset:256
	s_waitcnt lgkmcnt(1)
	v_add_f32_e32 v28, v28, v2
	v_add_f32_e32 v27, v27, v3
	s_waitcnt lgkmcnt(0)
	v_add_f32_e32 v26, v26, v1
.LBB147_48:
	s_or_b32 exec_lo, exec_lo, s0
	s_barrier
	buffer_gl0_inv
	s_and_saveexec_b32 s0, vcc_lo
	s_cbranch_execz .LBB147_50
; %bb.49:
	v_bfe_u32 v1, v28, 16, 1
	s_mul_i32 s0, s4, 0x60
	v_bfe_u32 v2, v27, 16, 1
	v_or_b32_e32 v4, 0x400000, v28
	v_cmp_u_f32_e32 vcc_lo, v28, v28
	v_add3_u32 v1, v1, v28, 0x7fff
	s_ashr_i32 s1, s0, 31
	s_mul_i32 s2, s7, s10
	s_lshl_b64 s[0:1], s[0:1], 1
	v_bfe_u32 v3, v26, 16, 1
	s_add_u32 s4, s20, s0
	v_add3_u32 v2, v2, v27, 0x7fff
	v_or_b32_e32 v5, 0x400000, v27
	v_cndmask_b32_e32 v1, v1, v4, vcc_lo
	v_cmp_u_f32_e32 vcc_lo, v27, v27
	s_addc_u32 s1, s21, s1
	s_ashr_i32 s3, s2, 31
	s_mul_i32 s0, s8, 0x60
	s_lshl_b64 s[2:3], s[2:3], 1
	v_add3_u32 v3, v3, v26, 0x7fff
	s_add_u32 s2, s4, s2
	v_or_b32_e32 v6, 0x400000, v26
	v_cndmask_b32_e32 v2, v2, v5, vcc_lo
	v_cmp_u_f32_e32 vcc_lo, v26, v26
	s_addc_u32 s3, s1, s3
	s_ashr_i32 s1, s0, 31
	v_lshlrev_b32_e32 v0, 1, v0
	s_lshl_b64 s[0:1], s[0:1], 1
	v_cndmask_b32_e32 v3, v3, v6, vcc_lo
	s_add_u32 s0, s2, s0
	s_addc_u32 s1, s3, s1
	global_store_short_d16_hi v0, v1, s[0:1]
	global_store_short_d16_hi v0, v2, s[0:1] offset:64
	global_store_short_d16_hi v0, v3, s[0:1] offset:128
.LBB147_50:
	s_endpgm
	.section	.rodata,"a",@progbits
	.p2align	6, 0x0
	.amdhsa_kernel _ZN4vllm25paged_attention_v2_kernelI14__hip_bfloat16S1_Li96ELi8ELi128ELNS_18Fp8KVCacheDataTypeE0ELb0ELi512EEEvPfS3_PT_PKS4_PKT0_SA_ifPKiSC_iPKfiiiSE_SE_iiiii
		.amdhsa_group_segment_fixed_size 224
		.amdhsa_private_segment_fixed_size 0
		.amdhsa_kernarg_size 400
		.amdhsa_user_sgpr_count 6
		.amdhsa_user_sgpr_private_segment_buffer 1
		.amdhsa_user_sgpr_dispatch_ptr 0
		.amdhsa_user_sgpr_queue_ptr 0
		.amdhsa_user_sgpr_kernarg_segment_ptr 1
		.amdhsa_user_sgpr_dispatch_id 0
		.amdhsa_user_sgpr_flat_scratch_init 0
		.amdhsa_user_sgpr_private_segment_size 0
		.amdhsa_wavefront_size32 1
		.amdhsa_uses_dynamic_stack 0
		.amdhsa_system_sgpr_private_segment_wavefront_offset 0
		.amdhsa_system_sgpr_workgroup_id_x 1
		.amdhsa_system_sgpr_workgroup_id_y 1
		.amdhsa_system_sgpr_workgroup_id_z 1
		.amdhsa_system_sgpr_workgroup_info 0
		.amdhsa_system_vgpr_workitem_id 0
		.amdhsa_next_free_vgpr 56
		.amdhsa_next_free_sgpr 36
		.amdhsa_reserve_vcc 1
		.amdhsa_reserve_flat_scratch 0
		.amdhsa_float_round_mode_32 0
		.amdhsa_float_round_mode_16_64 0
		.amdhsa_float_denorm_mode_32 3
		.amdhsa_float_denorm_mode_16_64 3
		.amdhsa_dx10_clamp 1
		.amdhsa_ieee_mode 1
		.amdhsa_fp16_overflow 0
		.amdhsa_workgroup_processor_mode 1
		.amdhsa_memory_ordered 1
		.amdhsa_forward_progress 1
		.amdhsa_shared_vgpr_count 0
		.amdhsa_exception_fp_ieee_invalid_op 0
		.amdhsa_exception_fp_denorm_src 0
		.amdhsa_exception_fp_ieee_div_zero 0
		.amdhsa_exception_fp_ieee_overflow 0
		.amdhsa_exception_fp_ieee_underflow 0
		.amdhsa_exception_fp_ieee_inexact 0
		.amdhsa_exception_int_div_zero 0
	.end_amdhsa_kernel
	.section	.text._ZN4vllm25paged_attention_v2_kernelI14__hip_bfloat16S1_Li96ELi8ELi128ELNS_18Fp8KVCacheDataTypeE0ELb0ELi512EEEvPfS3_PT_PKS4_PKT0_SA_ifPKiSC_iPKfiiiSE_SE_iiiii,"axG",@progbits,_ZN4vllm25paged_attention_v2_kernelI14__hip_bfloat16S1_Li96ELi8ELi128ELNS_18Fp8KVCacheDataTypeE0ELb0ELi512EEEvPfS3_PT_PKS4_PKT0_SA_ifPKiSC_iPKfiiiSE_SE_iiiii,comdat
.Lfunc_end147:
	.size	_ZN4vllm25paged_attention_v2_kernelI14__hip_bfloat16S1_Li96ELi8ELi128ELNS_18Fp8KVCacheDataTypeE0ELb0ELi512EEEvPfS3_PT_PKS4_PKT0_SA_ifPKiSC_iPKfiiiSE_SE_iiiii, .Lfunc_end147-_ZN4vllm25paged_attention_v2_kernelI14__hip_bfloat16S1_Li96ELi8ELi128ELNS_18Fp8KVCacheDataTypeE0ELb0ELi512EEEvPfS3_PT_PKS4_PKT0_SA_ifPKiSC_iPKfiiiSE_SE_iiiii
                                        ; -- End function
	.set _ZN4vllm25paged_attention_v2_kernelI14__hip_bfloat16S1_Li96ELi8ELi128ELNS_18Fp8KVCacheDataTypeE0ELb0ELi512EEEvPfS3_PT_PKS4_PKT0_SA_ifPKiSC_iPKfiiiSE_SE_iiiii.num_vgpr, 56
	.set _ZN4vllm25paged_attention_v2_kernelI14__hip_bfloat16S1_Li96ELi8ELi128ELNS_18Fp8KVCacheDataTypeE0ELb0ELi512EEEvPfS3_PT_PKS4_PKT0_SA_ifPKiSC_iPKfiiiSE_SE_iiiii.num_agpr, 0
	.set _ZN4vllm25paged_attention_v2_kernelI14__hip_bfloat16S1_Li96ELi8ELi128ELNS_18Fp8KVCacheDataTypeE0ELb0ELi512EEEvPfS3_PT_PKS4_PKT0_SA_ifPKiSC_iPKfiiiSE_SE_iiiii.numbered_sgpr, 36
	.set _ZN4vllm25paged_attention_v2_kernelI14__hip_bfloat16S1_Li96ELi8ELi128ELNS_18Fp8KVCacheDataTypeE0ELb0ELi512EEEvPfS3_PT_PKS4_PKT0_SA_ifPKiSC_iPKfiiiSE_SE_iiiii.num_named_barrier, 0
	.set _ZN4vllm25paged_attention_v2_kernelI14__hip_bfloat16S1_Li96ELi8ELi128ELNS_18Fp8KVCacheDataTypeE0ELb0ELi512EEEvPfS3_PT_PKS4_PKT0_SA_ifPKiSC_iPKfiiiSE_SE_iiiii.private_seg_size, 0
	.set _ZN4vllm25paged_attention_v2_kernelI14__hip_bfloat16S1_Li96ELi8ELi128ELNS_18Fp8KVCacheDataTypeE0ELb0ELi512EEEvPfS3_PT_PKS4_PKT0_SA_ifPKiSC_iPKfiiiSE_SE_iiiii.uses_vcc, 1
	.set _ZN4vllm25paged_attention_v2_kernelI14__hip_bfloat16S1_Li96ELi8ELi128ELNS_18Fp8KVCacheDataTypeE0ELb0ELi512EEEvPfS3_PT_PKS4_PKT0_SA_ifPKiSC_iPKfiiiSE_SE_iiiii.uses_flat_scratch, 0
	.set _ZN4vllm25paged_attention_v2_kernelI14__hip_bfloat16S1_Li96ELi8ELi128ELNS_18Fp8KVCacheDataTypeE0ELb0ELi512EEEvPfS3_PT_PKS4_PKT0_SA_ifPKiSC_iPKfiiiSE_SE_iiiii.has_dyn_sized_stack, 0
	.set _ZN4vllm25paged_attention_v2_kernelI14__hip_bfloat16S1_Li96ELi8ELi128ELNS_18Fp8KVCacheDataTypeE0ELb0ELi512EEEvPfS3_PT_PKS4_PKT0_SA_ifPKiSC_iPKfiiiSE_SE_iiiii.has_recursion, 0
	.set _ZN4vllm25paged_attention_v2_kernelI14__hip_bfloat16S1_Li96ELi8ELi128ELNS_18Fp8KVCacheDataTypeE0ELb0ELi512EEEvPfS3_PT_PKS4_PKT0_SA_ifPKiSC_iPKfiiiSE_SE_iiiii.has_indirect_call, 0
	.section	.AMDGPU.csdata,"",@progbits
; Kernel info:
; codeLenInByte = 5888
; TotalNumSgprs: 38
; NumVgprs: 56
; ScratchSize: 0
; MemoryBound: 0
; FloatMode: 240
; IeeeMode: 1
; LDSByteSize: 224 bytes/workgroup (compile time only)
; SGPRBlocks: 0
; VGPRBlocks: 6
; NumSGPRsForWavesPerEU: 38
; NumVGPRsForWavesPerEU: 56
; Occupancy: 16
; WaveLimiterHint : 1
; COMPUTE_PGM_RSRC2:SCRATCH_EN: 0
; COMPUTE_PGM_RSRC2:USER_SGPR: 6
; COMPUTE_PGM_RSRC2:TRAP_HANDLER: 0
; COMPUTE_PGM_RSRC2:TGID_X_EN: 1
; COMPUTE_PGM_RSRC2:TGID_Y_EN: 1
; COMPUTE_PGM_RSRC2:TGID_Z_EN: 1
; COMPUTE_PGM_RSRC2:TIDIG_COMP_CNT: 0
	.section	.text._ZN4vllm25paged_attention_v2_kernelI14__hip_bfloat16S1_Li112ELi8ELi128ELNS_18Fp8KVCacheDataTypeE0ELb0ELi512EEEvPfS3_PT_PKS4_PKT0_SA_ifPKiSC_iPKfiiiSE_SE_iiiii,"axG",@progbits,_ZN4vllm25paged_attention_v2_kernelI14__hip_bfloat16S1_Li112ELi8ELi128ELNS_18Fp8KVCacheDataTypeE0ELb0ELi512EEEvPfS3_PT_PKS4_PKT0_SA_ifPKiSC_iPKfiiiSE_SE_iiiii,comdat
	.protected	_ZN4vllm25paged_attention_v2_kernelI14__hip_bfloat16S1_Li112ELi8ELi128ELNS_18Fp8KVCacheDataTypeE0ELb0ELi512EEEvPfS3_PT_PKS4_PKT0_SA_ifPKiSC_iPKfiiiSE_SE_iiiii ; -- Begin function _ZN4vllm25paged_attention_v2_kernelI14__hip_bfloat16S1_Li112ELi8ELi128ELNS_18Fp8KVCacheDataTypeE0ELb0ELi512EEEvPfS3_PT_PKS4_PKT0_SA_ifPKiSC_iPKfiiiSE_SE_iiiii
	.globl	_ZN4vllm25paged_attention_v2_kernelI14__hip_bfloat16S1_Li112ELi8ELi128ELNS_18Fp8KVCacheDataTypeE0ELb0ELi512EEEvPfS3_PT_PKS4_PKT0_SA_ifPKiSC_iPKfiiiSE_SE_iiiii
	.p2align	8
	.type	_ZN4vllm25paged_attention_v2_kernelI14__hip_bfloat16S1_Li112ELi8ELi128ELNS_18Fp8KVCacheDataTypeE0ELb0ELi512EEEvPfS3_PT_PKS4_PKT0_SA_ifPKiSC_iPKfiiiSE_SE_iiiii,@function
_ZN4vllm25paged_attention_v2_kernelI14__hip_bfloat16S1_Li112ELi8ELi128ELNS_18Fp8KVCacheDataTypeE0ELb0ELi512EEEvPfS3_PT_PKS4_PKT0_SA_ifPKiSC_iPKfiiiSE_SE_iiiii: ; @_ZN4vllm25paged_attention_v2_kernelI14__hip_bfloat16S1_Li112ELi8ELi128ELNS_18Fp8KVCacheDataTypeE0ELb0ELi512EEEvPfS3_PT_PKS4_PKT0_SA_ifPKiSC_iPKfiiiSE_SE_iiiii
; %bb.0:
	s_load_dwordx2 s[0:1], s[4:5], 0x40
	s_mov_b32 s22, s7
	s_ashr_i32 s23, s7, 31
	s_lshl_b64 s[2:3], s[22:23], 2
	s_waitcnt lgkmcnt(0)
	s_add_u32 s0, s0, s2
	s_addc_u32 s1, s1, s3
	s_lshl_b32 s33, s8, 9
	s_load_dword s23, s[0:1], 0x0
	s_waitcnt lgkmcnt(0)
	s_cmp_ge_i32 s33, s23
	s_cbranch_scc1 .LBB148_61
; %bb.1:
	s_clause 0x1
	s_load_dword s9, s[4:5], 0x90
	s_load_dwordx2 s[30:31], s[4:5], 0x30
	s_mov_b32 s34, 0
	s_waitcnt lgkmcnt(0)
	s_abs_i32 s3, s9
	s_abs_i32 s0, s30
	v_cvt_f32_u32_e32 v1, s0
	s_sub_i32 s2, 0, s0
	v_rcp_iflag_f32_e32 v1, v1
	v_mul_f32_e32 v1, 0x4f7ffffe, v1
	v_cvt_u32_f32_e32 v1, v1
	v_readfirstlane_b32 s1, v1
	s_mul_i32 s2, s2, s1
	s_mul_hi_u32 s2, s1, s2
	s_add_i32 s1, s1, s2
	s_xor_b32 s2, s9, s30
	s_mul_hi_u32 s1, s3, s1
	s_ashr_i32 s2, s2, 31
	s_mul_i32 s7, s1, s0
	s_sub_i32 s3, s3, s7
	s_add_i32 s7, s1, 1
	s_sub_i32 s10, s3, s0
	s_cmp_ge_u32 s3, s0
	s_cselect_b32 s1, s7, s1
	s_cselect_b32 s3, s10, s3
	s_add_i32 s7, s1, 1
	s_cmp_ge_u32 s3, s0
	s_cselect_b32 s0, s7, s1
	s_abs_i32 s16, s6
	s_xor_b32 s0, s0, s2
	s_sub_i32 s10, s0, s2
	s_load_dwordx2 s[0:1], s[4:5], 0x50
	s_abs_i32 s2, s10
	v_cvt_f32_u32_e32 v1, s2
	s_sub_i32 s7, 0, s2
	v_rcp_iflag_f32_e32 v1, v1
	v_mul_f32_e32 v1, 0x4f7ffffe, v1
	v_cvt_u32_f32_e32 v1, v1
	v_readfirstlane_b32 s3, v1
	s_mul_i32 s7, s7, s3
	s_mul_hi_u32 s7, s3, s7
	s_add_i32 s3, s3, s7
	s_waitcnt lgkmcnt(0)
	s_cmp_eq_u64 s[0:1], 0
	s_mul_hi_u32 s3, s16, s3
	s_cbranch_scc1 .LBB148_3
; %bb.2:
	s_ashr_i32 s7, s6, 31
	s_lshl_b64 s[12:13], s[6:7], 2
	s_add_u32 s0, s0, s12
	s_addc_u32 s1, s1, s13
	s_load_dword s34, s[0:1], 0x0
.LBB148_3:
	s_load_dwordx4 s[12:15], s[4:5], 0x58
	v_and_b32_e32 v1, 3, v0
	v_lshlrev_b32_e32 v2, 2, v0
	s_ashr_i32 s0, s6, 31
	s_ashr_i32 s1, s10, 31
	s_mul_i32 s10, s6, 0x70
	s_mov_b32 s7, exec_lo
	v_cmpx_gt_u32_e32 56, v0
	s_cbranch_execz .LBB148_5
; %bb.4:
	s_load_dwordx2 s[18:19], s[4:5], 0x18
	s_waitcnt lgkmcnt(0)
	s_mul_i32 s20, s12, s22
	v_and_b32_e32 v4, 0x3fc, v0
	s_ashr_i32 s21, s20, 31
	s_lshl_b64 s[20:21], s[20:21], 1
	v_mad_u32_u24 v4, v1, 56, v4
	s_add_u32 s12, s18, s20
	s_addc_u32 s15, s19, s21
	s_ashr_i32 s11, s10, 31
	s_lshl_b64 s[18:19], s[10:11], 1
	s_add_u32 s18, s12, s18
	s_addc_u32 s19, s15, s19
	global_load_dword v3, v2, s[18:19]
	s_waitcnt vmcnt(0)
	ds_write_b32 v4, v3
.LBB148_5:
	s_or_b32 exec_lo, exec_lo, s7
	s_add_i32 s7, s23, 7
	s_load_dwordx2 s[24:25], s[4:5], 0x38
	s_waitcnt lgkmcnt(0)
	s_load_dword s15, s[4:5], 0x48
	s_ashr_i32 s11, s7, 31
	s_lshl_b32 s30, s8, 6
	s_lshr_b32 s11, s11, 29
	s_xor_b32 s0, s0, s1
	s_add_i32 s7, s7, s11
	s_add_i32 s1, s30, 64
	s_ashr_i32 s12, s7, 3
	s_mul_i32 s7, s3, s2
	s_min_i32 s11, s1, s12
	s_sub_i32 s1, s16, s7
	s_add_i32 s7, s3, 1
	s_sub_i32 s16, s1, s2
	s_cmp_ge_u32 s1, s2
	v_lshrrev_b32_e32 v24, 5, v0
	s_cselect_b32 s3, s7, s3
	s_cselect_b32 s1, s16, s1
	s_add_i32 s7, s3, 1
	s_cmp_ge_u32 s1, s2
	v_or_b32_e32 v21, s30, v24
	s_cselect_b32 s1, s7, s3
	v_mbcnt_lo_u32_b32 v3, -1, 0
	s_xor_b32 s1, s1, s0
	s_waitcnt lgkmcnt(0)
	s_mul_i32 s26, s15, s22
	s_sub_i32 s1, s1, s0
	v_cmp_gt_i32_e64 s0, s11, v21
	s_ashr_i32 s27, s26, 31
	s_mov_b32 s2, exec_lo
	s_barrier
	buffer_gl0_inv
                                        ; implicit-def: $vgpr4
                                        ; implicit-def: $vgpr5
	v_cmpx_le_i32_e64 s11, v21
	s_xor_b32 s2, exec_lo, s2
; %bb.6:
	v_mov_b32_e32 v4, 0
	v_mbcnt_lo_u32_b32 v3, -1, 0
	v_mov_b32_e32 v5, 32
                                        ; implicit-def: $vgpr2
                                        ; implicit-def: $vgpr1
; %bb.7:
	s_or_saveexec_b32 s35, s2
	s_clause 0x3
	s_load_dwordx4 s[16:19], s[4:5], 0x0
	s_load_dwordx2 s[20:21], s[4:5], 0x10
	s_load_dwordx2 s[28:29], s[4:5], 0x28
	s_load_dword s7, s[4:5], 0x98
	v_mov_b32_e32 v36, 0xff7fffff
	v_ashrrev_i32_e32 v22, 31, v21
	s_mul_i32 s14, s1, s14
	s_xor_b32 exec_lo, exec_lo, s35
	s_cbranch_execz .LBB148_13
; %bb.8:
	s_load_dwordx2 s[2:3], s[4:5], 0x20
	v_mul_u32_u24_e32 v5, 56, v1
	v_bfe_u32 v36, v0, 2, 3
	s_ashr_i32 s15, s14, 31
	v_and_b32_e32 v2, 12, v2
	s_lshl_b64 s[4:5], s[14:15], 1
	ds_read2_b64 v[12:15], v5 offset1:1
	v_lshlrev_b32_e32 v6, 4, v36
	ds_read2_b64 v[25:28], v5 offset0:2 offset1:3
	ds_read2_b64 v[31:34], v5 offset0:4 offset1:5
	ds_read_b64 v[38:39], v5 offset:48
	v_lshlrev_b32_e32 v42, 3, v24
	v_mov_b32_e32 v4, 0
	v_mov_b32_e32 v44, v21
	s_mov_b32 s15, s13
	v_add3_u32 v42, s33, v42, v36
	s_waitcnt lgkmcnt(0)
	s_add_u32 s1, s2, s4
	s_addc_u32 s2, s3, s5
	v_add_co_u32 v5, s1, s1, v6
	v_add_co_ci_u32_e64 v16, null, s2, 0, s1
	v_lshlrev_b32_e32 v8, 16, v13
	v_and_b32_e32 v9, 0xffff0000, v13
	v_add_co_u32 v13, vcc_lo, v5, v2
	v_xor_b32_e32 v2, 2, v3
	v_lshlrev_b32_e32 v10, 16, v14
	v_and_b32_e32 v11, 0xffff0000, v14
	v_add_co_ci_u32_e64 v14, null, 0, v16, vcc_lo
	v_cmp_gt_i32_e32 vcc_lo, 32, v2
	v_xor_b32_e32 v5, 1, v3
	s_lshl_b64 s[2:3], s[26:27], 2
	s_sub_i32 s4, 1, s23
	s_add_u32 s2, s24, s2
	v_cndmask_b32_e32 v2, v3, v2, vcc_lo
	v_cmp_gt_i32_e32 vcc_lo, 32, v5
	s_addc_u32 s3, s25, s3
	v_lshlrev_b32_e32 v6, 16, v12
	v_and_b32_e32 v7, 0xffff0000, v12
	v_lshlrev_b32_e32 v40, 2, v2
	v_lshlrev_b32_e32 v2, 2, v36
	v_cndmask_b32_e32 v41, v3, v5, vcc_lo
	v_cmp_eq_u32_e32 vcc_lo, 0, v1
	v_lshlrev_b32_e32 v12, 16, v15
	v_and_b32_e32 v15, 0xffff0000, v15
	v_lshl_or_b32 v43, v24, 5, v2
	v_lshlrev_b64 v[1:2], 2, v[21:22]
	v_lshlrev_b32_e32 v16, 16, v25
	v_and_b32_e32 v17, 0xffff0000, v25
	v_lshlrev_b32_e32 v18, 16, v26
	v_and_b32_e32 v19, 0xffff0000, v26
	v_lshlrev_b32_e32 v20, 16, v27
	v_add_co_u32 v1, s2, s2, v1
	v_and_b32_e32 v23, 0xffff0000, v27
	v_lshlrev_b32_e32 v25, 16, v28
	v_and_b32_e32 v26, 0xffff0000, v28
	v_lshlrev_b32_e32 v27, 16, v31
	;; [unrolled: 2-line block ×7, first 2 shown]
	v_and_b32_e32 v39, 0xffff0000, v39
	v_mov_b32_e32 v5, 32
	v_lshlrev_b32_e32 v41, 2, v41
	v_cmp_neq_f32_e64 s1, s34, 0
	v_add_nc_u32_e32 v43, 0x100, v43
	v_add_co_ci_u32_e64 v2, null, s3, v2, s2
	v_mov_b32_e32 v36, 0xff7fffff
	s_mov_b32 s5, 0
	s_branch .LBB148_10
.LBB148_9:                              ;   in Loop: Header=BB148_10 Depth=1
	s_or_b32 exec_lo, exec_lo, s3
	v_add_nc_u32_e32 v44, 4, v44
	v_add_co_u32 v1, s3, v1, 16
	v_add_nc_u32_e32 v42, 32, v42
	v_add_nc_u32_e32 v43, 0x80, v43
	v_cmp_le_i32_e64 s2, s11, v44
	v_add_co_ci_u32_e64 v2, null, 0, v2, s3
	s_or_b32 s5, s2, s5
	s_andn2_b32 exec_lo, exec_lo, s5
	s_cbranch_execz .LBB148_12
.LBB148_10:                             ; =>This Inner Loop Header: Depth=1
	global_load_dword v45, v[1:2], off
	s_waitcnt vmcnt(0) lgkmcnt(0)
	v_mad_i64_i32 v[45:46], null, v45, s15, 0
	v_lshlrev_b64 v[45:46], 1, v[45:46]
	v_add_co_u32 v45, s2, v13, v45
	v_add_co_ci_u32_e64 v46, null, v14, v46, s2
	s_clause 0xd
	global_load_dword v47, v[45:46], off offset:128
	global_load_dword v48, v[45:46], off
	global_load_dword v49, v[45:46], off offset:256
	global_load_dword v50, v[45:46], off offset:384
	;; [unrolled: 1-line block ×12, first 2 shown]
	s_waitcnt vmcnt(13)
	v_lshlrev_b32_e32 v46, 16, v47
	v_and_b32_e32 v47, 0xffff0000, v47
	s_waitcnt vmcnt(12)
	v_lshlrev_b32_e32 v60, 16, v48
	v_and_b32_e32 v48, 0xffff0000, v48
	s_waitcnt vmcnt(11)
	v_lshlrev_b32_e32 v61, 16, v49
	v_mul_f32_e32 v46, v8, v46
	v_mul_f32_e32 v47, v9, v47
	v_and_b32_e32 v49, 0xffff0000, v49
	v_fmac_f32_e32 v46, v6, v60
	v_fmac_f32_e32 v47, v7, v48
	s_waitcnt vmcnt(10)
	v_lshlrev_b32_e32 v48, 16, v50
	v_and_b32_e32 v50, 0xffff0000, v50
	v_fmac_f32_e32 v46, v10, v61
	v_fmac_f32_e32 v47, v11, v49
	s_waitcnt vmcnt(9)
	v_lshlrev_b32_e32 v49, 16, v51
	;; [unrolled: 5-line block ×11, first 2 shown]
	v_and_b32_e32 v45, 0xffff0000, v45
	v_fmac_f32_e32 v46, v35, v49
	v_fmac_f32_e32 v47, v37, v51
	;; [unrolled: 1-line block ×4, first 2 shown]
	v_add_f32_e32 v45, v46, v47
	ds_bpermute_b32 v46, v40, v45
	s_waitcnt lgkmcnt(0)
	v_add_f32_e32 v45, v45, v46
	ds_bpermute_b32 v46, v41, v45
	s_and_saveexec_b32 s3, vcc_lo
	s_cbranch_execz .LBB148_9
; %bb.11:                               ;   in Loop: Header=BB148_10 Depth=1
	v_add_nc_u32_e32 v47, s4, v42
	s_waitcnt lgkmcnt(0)
	v_add_f32_e32 v45, v45, v46
	v_cmp_gt_i32_e64 s2, s23, v42
	v_cvt_f32_i32_e32 v47, v47
	v_mul_f32_e32 v47, s34, v47
	v_cndmask_b32_e64 v46, 0, v47, s1
	v_max_f32_e32 v47, v36, v36
	v_fmac_f32_e32 v46, s31, v45
	v_max_f32_e32 v45, v47, v46
	v_cndmask_b32_e64 v46, 0, v46, s2
	v_cndmask_b32_e64 v36, v36, v45, s2
	ds_write_b32 v43, v46
	s_branch .LBB148_9
.LBB148_12:
	s_or_b32 exec_lo, exec_lo, s5
.LBB148_13:
	s_or_b32 exec_lo, exec_lo, s35
	v_xor_b32_e32 v1, 16, v3
	v_xor_b32_e32 v6, 8, v3
	v_max_f32_e32 v7, v36, v36
	v_xor_b32_e32 v8, 4, v3
	v_and_b32_e32 v25, 31, v0
	v_cmp_lt_i32_e32 vcc_lo, v1, v5
	v_cndmask_b32_e32 v1, v3, v1, vcc_lo
	v_cmp_lt_i32_e32 vcc_lo, v6, v5
	v_lshlrev_b32_e32 v2, 2, v1
	v_cndmask_b32_e32 v6, v3, v6, vcc_lo
	v_cmp_lt_i32_e32 vcc_lo, v8, v5
	ds_bpermute_b32 v1, v2, v36
	v_lshlrev_b32_e32 v6, 2, v6
	v_cndmask_b32_e32 v8, v3, v8, vcc_lo
	v_cmp_eq_u32_e32 vcc_lo, 0, v25
	v_lshlrev_b32_e32 v9, 2, v8
	s_waitcnt lgkmcnt(0)
	v_max_f32_e32 v1, v1, v1
	v_max_f32_e32 v1, v7, v1
	ds_bpermute_b32 v7, v6, v1
	s_waitcnt lgkmcnt(0)
	v_max_f32_e32 v7, v7, v7
	v_max_f32_e32 v1, v1, v7
	v_lshlrev_b32_e32 v7, 2, v24
	ds_bpermute_b32 v8, v9, v1
	s_and_saveexec_b32 s1, vcc_lo
	s_cbranch_execz .LBB148_15
; %bb.14:
	s_waitcnt lgkmcnt(0)
	v_max_f32_e32 v8, v8, v8
	v_max_f32_e32 v1, v1, v1
	;; [unrolled: 1-line block ×3, first 2 shown]
	ds_write_b32 v7, v1 offset:224
.LBB148_15:
	s_or_b32 exec_lo, exec_lo, s1
	v_cmp_gt_u32_e64 s1, 4, v25
	v_mov_b32_e32 v1, 0xff7fffff
	s_waitcnt lgkmcnt(0)
	v_lshlrev_b32_e32 v8, 2, v25
	s_barrier
	buffer_gl0_inv
	s_and_saveexec_b32 s2, s1
; %bb.16:
	ds_read_b32 v1, v8 offset:224
; %bb.17:
	s_or_b32 exec_lo, exec_lo, s2
	v_xor_b32_e32 v10, 2, v3
	v_xor_b32_e32 v12, 1, v3
	v_lshlrev_b32_e32 v4, 2, v4
	v_lshl_add_u32 v26, v0, 2, 0x100
	v_cmp_lt_i32_e64 s2, v10, v5
	v_cndmask_b32_e64 v10, v3, v10, s2
	v_cmp_lt_i32_e64 s2, v12, v5
	v_lshlrev_b32_e32 v10, 2, v10
	v_cndmask_b32_e64 v5, v3, v12, s2
	s_sub_i32 s2, s11, s30
	s_lshl_b32 s2, s2, 3
	s_waitcnt lgkmcnt(0)
	ds_bpermute_b32 v11, v10, v1
	v_max_f32_e32 v1, v1, v1
	v_lshlrev_b32_e32 v5, 2, v5
	s_add_i32 s2, s2, s33
	s_min_i32 s2, s2, s23
	s_sub_i32 s4, s2, s33
	v_cmp_gt_i32_e64 s2, s4, v0
	s_waitcnt lgkmcnt(0)
	v_max_f32_e32 v11, v11, v11
	v_max_f32_e32 v1, v1, v11
	ds_bpermute_b32 v11, v5, v1
	s_waitcnt lgkmcnt(0)
	v_max_f32_e32 v11, v11, v11
	v_max_f32_e32 v1, v1, v11
	ds_bpermute_b32 v1, v4, v1
	v_mov_b32_e32 v4, 0
	s_and_saveexec_b32 s5, s2
	s_cbranch_execz .LBB148_21
; %bb.18:
	v_lshl_add_u32 v11, v0, 2, 0x100
	v_mov_b32_e32 v4, 0
	v_mov_b32_e32 v12, v0
	s_mov_b32 s15, 0
	.p2align	6
.LBB148_19:                             ; =>This Inner Loop Header: Depth=1
	ds_read_b32 v13, v11
	v_add_nc_u32_e32 v12, 0x80, v12
	v_cmp_le_i32_e64 s3, s4, v12
	s_or_b32 s15, s3, s15
	s_waitcnt lgkmcnt(0)
	v_sub_f32_e32 v13, v13, v1
	v_mul_f32_e32 v13, 0x3fb8aa3b, v13
	v_exp_f32_e32 v13, v13
	ds_write_b32 v11, v13
	v_add_f32_e32 v4, v4, v13
	v_add_nc_u32_e32 v11, 0x200, v11
	s_andn2_b32 exec_lo, exec_lo, s15
	s_cbranch_execnz .LBB148_19
; %bb.20:
	s_or_b32 exec_lo, exec_lo, s15
.LBB148_21:
	s_or_b32 exec_lo, exec_lo, s5
	ds_bpermute_b32 v2, v2, v4
	s_waitcnt lgkmcnt(0)
	v_add_f32_e32 v2, v4, v2
	ds_bpermute_b32 v4, v6, v2
	s_waitcnt lgkmcnt(0)
	v_add_f32_e32 v2, v2, v4
	;; [unrolled: 3-line block ×5, first 2 shown]
	s_and_saveexec_b32 s3, vcc_lo
; %bb.22:
	ds_write_b32 v7, v2 offset:240
; %bb.23:
	s_or_b32 exec_lo, exec_lo, s3
	s_waitcnt lgkmcnt(0)
	s_barrier
	buffer_gl0_inv
	s_and_saveexec_b32 s3, s1
; %bb.24:
	ds_read_b32 v2, v8 offset:240
; %bb.25:
	s_or_b32 exec_lo, exec_lo, s3
	s_waitcnt lgkmcnt(0)
	ds_bpermute_b32 v4, v10, v2
	v_lshlrev_b32_e32 v3, 2, v3
	v_and_b32_e32 v3, 0xffffff80, v3
	s_waitcnt lgkmcnt(0)
	v_add_f32_e32 v2, v2, v4
	ds_bpermute_b32 v4, v5, v2
	s_waitcnt lgkmcnt(0)
	v_add_f32_e32 v2, v2, v4
	ds_bpermute_b32 v2, v3, v2
	s_and_saveexec_b32 s1, s2
	s_cbranch_execz .LBB148_28
; %bb.26:
	s_waitcnt lgkmcnt(0)
	v_add_f32_e32 v4, 0x358637bd, v2
	s_mov_b32 s2, 0
	v_div_scale_f32 v3, null, v4, v4, 1.0
	v_div_scale_f32 v7, vcc_lo, 1.0, v4, 1.0
	v_rcp_f32_e32 v5, v3
	v_fma_f32 v6, -v3, v5, 1.0
	v_fmac_f32_e32 v5, v6, v5
	v_mul_f32_e32 v6, v7, v5
	v_fma_f32 v8, -v3, v6, v7
	v_fmac_f32_e32 v6, v8, v5
	v_fma_f32 v3, -v3, v6, v7
	v_div_fmas_f32 v5, v3, v5, v6
	v_mov_b32_e32 v3, v26
	v_div_fixup_f32 v4, v5, v4, 1.0
	v_mov_b32_e32 v5, v0
.LBB148_27:                             ; =>This Inner Loop Header: Depth=1
	ds_read_b32 v6, v3
	v_add_nc_u32_e32 v5, 0x80, v5
	v_cmp_le_i32_e32 vcc_lo, s4, v5
	s_or_b32 s2, vcc_lo, s2
	s_waitcnt lgkmcnt(0)
	v_mul_f32_e32 v6, v4, v6
	ds_write_b32 v3, v6
	v_add_nc_u32_e32 v3, 0x200, v3
	s_andn2_b32 exec_lo, exec_lo, s2
	s_cbranch_execnz .LBB148_27
.LBB148_28:
	s_or_b32 exec_lo, exec_lo, s1
	s_mul_i32 s1, s7, s22
	s_waitcnt lgkmcnt(0)
	s_mul_i32 s4, s1, s9
	s_mov_b32 s1, exec_lo
	s_barrier
	buffer_gl0_inv
	v_cmpx_eq_u32_e32 0, v0
	s_cbranch_execz .LBB148_30
; %bb.29:
	s_ashr_i32 s5, s4, 31
	s_mul_i32 s30, s7, s6
	s_lshl_b64 s[2:3], s[4:5], 2
	v_mov_b32_e32 v3, 0
	s_add_u32 s5, s18, s2
	s_addc_u32 s6, s19, s3
	s_ashr_i32 s31, s30, 31
	s_lshl_b64 s[18:19], s[30:31], 2
	s_add_u32 s5, s5, s18
	s_addc_u32 s6, s6, s19
	s_ashr_i32 s9, s8, 31
	s_lshl_b64 s[30:31], s[8:9], 2
	s_add_u32 s34, s5, s30
	s_addc_u32 s35, s6, s31
	s_add_u32 s2, s16, s2
	s_addc_u32 s3, s17, s3
	;; [unrolled: 2-line block ×4, first 2 shown]
	global_store_dword v3, v1, s[34:35]
	global_store_dword v3, v2, s[2:3]
.LBB148_30:
	s_or_b32 exec_lo, exec_lo, s1
	v_mov_b32_e32 v30, 0
	v_mov_b32_e32 v29, 0
	;; [unrolled: 1-line block ×4, first 2 shown]
	s_and_saveexec_b32 s5, s0
	s_cbranch_execz .LBB148_44
; %bb.31:
	v_or_b32_e32 v1, 0x60, v25
	s_ashr_i32 s15, s14, 31
	v_lshlrev_b32_e32 v3, 3, v25
	s_lshl_b64 s[0:1], s[14:15], 1
	v_mov_b32_e32 v31, 0
	s_add_u32 s6, s28, s0
	v_cmp_gt_u32_e64 s0, 0x70, v1
	v_lshlrev_b32_e32 v4, 3, v1
	v_lshlrev_b64 v[1:2], 2, v[21:22]
	s_addc_u32 s9, s29, s1
	s_lshl_b64 s[2:3], s[26:27], 2
	s_add_i32 s12, s12, -1
	s_add_u32 s1, s24, s2
	s_addc_u32 s2, s25, s3
	v_add_co_u32 v22, vcc_lo, s1, v1
	v_lshl_add_u32 v32, v24, 3, s33
	v_lshl_add_u32 v33, v24, 5, 0x100
	v_add_co_ci_u32_e64 v23, null, s2, v2, vcc_lo
	v_lshlrev_b32_e32 v34, 1, v3
	v_lshlrev_b32_e32 v35, 1, v4
	v_mov_b32_e32 v27, 0
	v_mov_b32_e32 v28, 0
	;; [unrolled: 1-line block ×4, first 2 shown]
	s_mov_b32 s15, s23
	s_mov_b32 s14, 0
	s_branch .LBB148_34
.LBB148_32:                             ;   in Loop: Header=BB148_34 Depth=1
	s_or_b32 exec_lo, exec_lo, s16
	s_waitcnt vmcnt(0)
	v_and_b32_e32 v36, 0xffff0000, v13
	v_and_b32_e32 v37, 0xffff0000, v20
	v_lshlrev_b32_e32 v13, 16, v13
	v_lshlrev_b32_e32 v38, 16, v20
	v_and_b32_e32 v39, 0xffff0000, v14
	v_lshlrev_b32_e32 v14, 16, v14
	v_mul_f32_e32 v36, v37, v36
	v_and_b32_e32 v37, 0xffff0000, v19
	v_lshlrev_b32_e32 v40, 16, v19
	v_mul_f32_e32 v13, v38, v13
	v_lshlrev_b32_e32 v44, 16, v17
	v_bfe_u32 v38, v36, 16, 1
	v_mul_f32_e32 v37, v37, v39
	v_mul_f32_e32 v14, v40, v14
	v_bfe_u32 v39, v13, 16, 1
	v_or_b32_e32 v40, 0x400000, v36
	v_add3_u32 v38, v38, v36, 0x7fff
	v_cmp_u_f32_e32 vcc_lo, v36, v36
	v_or_b32_e32 v41, 0x400000, v13
	v_bfe_u32 v42, v37, 16, 1
	v_add3_u32 v39, v39, v13, 0x7fff
	v_and_b32_e32 v43, 0xffff0000, v17
	v_cndmask_b32_e32 v36, v38, v40, vcc_lo
	v_and_b32_e32 v38, 0xffff0000, v15
	v_and_b32_e32 v40, 0xffff0000, v18
	v_cmp_u_f32_e32 vcc_lo, v13, v13
	v_lshlrev_b32_e32 v15, 16, v15
	v_and_b32_e32 v36, 0xffff0000, v36
	v_mul_f32_e32 v38, v40, v38
	v_cndmask_b32_e32 v13, v39, v41, vcc_lo
	v_add3_u32 v39, v42, v37, 0x7fff
	v_or_b32_e32 v41, 0x400000, v37
	v_bfe_u32 v42, v14, 16, 1
	v_lshlrev_b32_e32 v40, 16, v18
	v_cmp_u_f32_e32 vcc_lo, v37, v37
	v_and_b32_e32 v13, 0xffff0000, v13
	v_mul_f32_e32 v15, v40, v15
	v_cndmask_b32_e32 v37, v39, v41, vcc_lo
	v_add3_u32 v39, v42, v14, 0x7fff
	v_or_b32_e32 v41, 0x400000, v14
	v_bfe_u32 v42, v38, 16, 1
	v_and_b32_e32 v40, 0xffff0000, v16
	v_lshlrev_b32_e32 v16, 16, v16
	v_cmp_u_f32_e32 vcc_lo, v14, v14
	v_and_b32_e32 v37, 0xffff0000, v37
	v_add_f32_e32 v13, v13, v36
	v_mul_f32_e32 v40, v43, v40
	v_mul_f32_e32 v16, v44, v16
	v_cndmask_b32_e32 v14, v39, v41, vcc_lo
	v_bfe_u32 v39, v15, 16, 1
	v_add3_u32 v41, v42, v38, 0x7fff
	v_or_b32_e32 v42, 0x400000, v38
	v_cmp_u_f32_e32 vcc_lo, v38, v38
	v_or_b32_e32 v43, 0x400000, v15
	v_add3_u32 v39, v39, v15, 0x7fff
	v_bfe_u32 v45, v16, 16, 1
	v_bfe_u32 v44, v40, 16, 1
	v_cndmask_b32_e32 v38, v41, v42, vcc_lo
	v_cmp_u_f32_e32 vcc_lo, v15, v15
	v_or_b32_e32 v42, 0x400000, v16
	v_add3_u32 v41, v45, v16, 0x7fff
	v_and_b32_e32 v14, 0xffff0000, v14
	v_and_b32_e32 v36, 0xffff0000, v38
	v_cndmask_b32_e32 v15, v39, v43, vcc_lo
	v_cmp_u_f32_e32 vcc_lo, v16, v16
	v_add3_u32 v39, v44, v40, 0x7fff
	v_or_b32_e32 v43, 0x400000, v40
	v_add_f32_e32 v14, v14, v37
	v_and_b32_e32 v15, 0xffff0000, v15
	v_cndmask_b32_e32 v16, v41, v42, vcc_lo
	v_cmp_u_f32_e32 vcc_lo, v40, v40
	v_add_f32_e32 v13, v14, v13
	v_add_f32_e32 v14, v15, v36
	v_and_b32_e32 v15, 0xffff0000, v16
	v_cndmask_b32_e32 v37, v39, v43, vcc_lo
	v_add_f32_e32 v13, v14, v13
	v_and_b32_e32 v16, 0xffff0000, v37
	v_add_f32_e32 v14, v15, v16
	v_add_f32_e32 v13, v14, v13
	;; [unrolled: 1-line block ×3, first 2 shown]
.LBB148_33:                             ;   in Loop: Header=BB148_34 Depth=1
	s_or_b32 exec_lo, exec_lo, s3
	s_waitcnt vmcnt(0)
	v_and_b32_e32 v13, 0xffff0000, v9
	v_and_b32_e32 v14, 0xffff0000, v20
	v_lshlrev_b32_e32 v9, 16, v9
	v_lshlrev_b32_e32 v15, 16, v20
	v_and_b32_e32 v16, 0xffff0000, v10
	v_and_b32_e32 v20, 0xffff0000, v19
	v_mul_f32_e32 v13, v14, v13
	v_lshlrev_b32_e32 v10, 16, v10
	v_mul_f32_e32 v9, v15, v9
	v_lshlrev_b32_e32 v19, 16, v19
	v_mul_f32_e32 v16, v20, v16
	v_bfe_u32 v36, v13, 16, 1
	v_or_b32_e32 v40, 0x400000, v13
	v_bfe_u32 v39, v9, 16, 1
	v_cmp_u_f32_e32 vcc_lo, v13, v13
	v_and_b32_e32 v37, 0xffff0000, v11
	v_add3_u32 v36, v36, v13, 0x7fff
	v_and_b32_e32 v38, 0xffff0000, v18
	v_or_b32_e32 v41, 0x400000, v9
	v_add3_u32 v39, v39, v9, 0x7fff
	v_mul_f32_e32 v10, v19, v10
	v_cndmask_b32_e32 v13, v36, v40, vcc_lo
	v_bfe_u32 v36, v16, 16, 1
	v_cmp_u_f32_e32 vcc_lo, v9, v9
	v_mul_f32_e32 v37, v38, v37
	v_bfe_u32 v40, v10, 16, 1
	v_lshlrev_b32_e32 v11, 16, v11
	v_add3_u32 v36, v36, v16, 0x7fff
	v_cndmask_b32_e32 v9, v39, v41, vcc_lo
	v_or_b32_e32 v39, 0x400000, v16
	v_lshlrev_b32_e32 v18, 16, v18
	v_cmp_u_f32_e32 vcc_lo, v16, v16
	v_bfe_u32 v41, v37, 16, 1
	v_and_b32_e32 v42, 0xffff0000, v17
	v_or_b32_e32 v43, 0x400000, v37
	v_mul_f32_e32 v11, v18, v11
	v_cndmask_b32_e32 v16, v36, v39, vcc_lo
	v_add3_u32 v36, v40, v10, 0x7fff
	v_or_b32_e32 v39, 0x400000, v10
	v_cmp_u_f32_e32 vcc_lo, v10, v10
	v_add3_u32 v40, v41, v37, 0x7fff
	v_and_b32_e32 v41, 0xffff0000, v12
	v_bfe_u32 v44, v11, 16, 1
	v_lshlrev_b32_e32 v12, 16, v12
	v_cndmask_b32_e32 v10, v36, v39, vcc_lo
	v_cmp_u_f32_e32 vcc_lo, v37, v37
	v_mul_f32_e32 v36, v42, v41
	v_add3_u32 v39, v44, v11, 0x7fff
	v_lshlrev_b32_e32 v17, 16, v17
	v_and_b32_e32 v9, 0xffff0000, v9
	v_cndmask_b32_e32 v37, v40, v43, vcc_lo
	v_or_b32_e32 v40, 0x400000, v11
	v_cmp_u_f32_e32 vcc_lo, v11, v11
	v_bfe_u32 v41, v36, 16, 1
	v_and_b32_e32 v13, 0xffff0000, v13
	v_and_b32_e32 v10, 0xffff0000, v10
	;; [unrolled: 1-line block ×3, first 2 shown]
	v_cndmask_b32_e32 v11, v39, v40, vcc_lo
	v_add3_u32 v39, v41, v36, 0x7fff
	v_or_b32_e32 v40, 0x400000, v36
	v_mul_f32_e32 v12, v17, v12
	v_cmp_u_f32_e32 vcc_lo, v36, v36
	v_add_f32_e32 v9, v9, v13
	v_add_f32_e32 v10, v10, v16
	v_and_b32_e32 v11, 0xffff0000, v11
	v_and_b32_e32 v13, 0xffff0000, v5
	;; [unrolled: 1-line block ×3, first 2 shown]
	v_cndmask_b32_e32 v36, v39, v40, vcc_lo
	v_bfe_u32 v39, v12, 16, 1
	v_add_f32_e32 v9, v10, v9
	v_mul_f32_e32 v10, v14, v13
	v_add_f32_e32 v11, v11, v16
	v_lshlrev_b32_e32 v5, 16, v5
	v_add3_u32 v37, v39, v12, 0x7fff
	v_or_b32_e32 v39, 0x400000, v12
	v_cmp_u_f32_e32 vcc_lo, v12, v12
	v_bfe_u32 v13, v10, 16, 1
	v_add_f32_e32 v9, v11, v9
	v_and_b32_e32 v11, 0xffff0000, v6
	v_mul_f32_e32 v5, v15, v5
	v_cndmask_b32_e32 v12, v37, v39, vcc_lo
	v_add3_u32 v13, v13, v10, 0x7fff
	v_or_b32_e32 v16, 0x400000, v10
	v_mul_f32_e32 v11, v20, v11
	v_bfe_u32 v37, v5, 16, 1
	v_cmp_u_f32_e32 vcc_lo, v10, v10
	v_lshlrev_b32_e32 v6, 16, v6
	v_or_b32_e32 v39, 0x400000, v5
	v_or_b32_e32 v40, 0x400000, v11
	v_and_b32_e32 v12, 0xffff0000, v12
	v_cndmask_b32_e32 v10, v13, v16, vcc_lo
	v_bfe_u32 v13, v11, 16, 1
	v_add3_u32 v16, v37, v5, 0x7fff
	v_and_b32_e32 v37, 0xffff0000, v7
	v_mul_f32_e32 v6, v19, v6
	v_cmp_u_f32_e32 vcc_lo, v5, v5
	v_add3_u32 v13, v13, v11, 0x7fff
	v_lshlrev_b32_e32 v7, 16, v7
	v_mul_f32_e32 v37, v38, v37
	v_and_b32_e32 v10, 0xffff0000, v10
	v_cndmask_b32_e32 v5, v16, v39, vcc_lo
	v_bfe_u32 v16, v6, 16, 1
	v_cmp_u_f32_e32 vcc_lo, v11, v11
	v_and_b32_e32 v39, 0xffff0000, v8
	v_mul_f32_e32 v7, v18, v7
	v_or_b32_e32 v41, 0x400000, v37
	v_add3_u32 v16, v16, v6, 0x7fff
	v_cndmask_b32_e32 v11, v13, v40, vcc_lo
	v_bfe_u32 v13, v37, 16, 1
	v_or_b32_e32 v40, 0x400000, v6
	v_cmp_u_f32_e32 vcc_lo, v6, v6
	v_mul_f32_e32 v39, v42, v39
	v_lshlrev_b32_e32 v8, 16, v8
	v_add3_u32 v13, v13, v37, 0x7fff
	v_and_b32_e32 v5, 0xffff0000, v5
	v_cndmask_b32_e32 v6, v16, v40, vcc_lo
	v_bfe_u32 v16, v7, 16, 1
	v_cmp_u_f32_e32 vcc_lo, v37, v37
	v_bfe_u32 v40, v39, 16, 1
	v_or_b32_e32 v37, 0x400000, v7
	v_mul_f32_e32 v8, v17, v8
	v_add3_u32 v16, v16, v7, 0x7fff
	v_cndmask_b32_e32 v13, v13, v41, vcc_lo
	v_cmp_u_f32_e32 vcc_lo, v7, v7
	v_add3_u32 v40, v40, v39, 0x7fff
	v_or_b32_e32 v41, 0x400000, v39
	v_and_b32_e32 v6, 0xffff0000, v6
	v_and_b32_e32 v11, 0xffff0000, v11
	v_cndmask_b32_e32 v7, v16, v37, vcc_lo
	v_cmp_u_f32_e32 vcc_lo, v39, v39
	v_bfe_u32 v37, v8, 16, 1
	v_add_f32_e32 v5, v5, v10
	v_add_f32_e32 v6, v6, v11
	v_and_b32_e32 v7, 0xffff0000, v7
	v_cndmask_b32_e32 v16, v40, v41, vcc_lo
	v_and_b32_e32 v40, 0xffff0000, v1
	v_and_b32_e32 v10, 0xffff0000, v13
	v_lshlrev_b32_e32 v1, 16, v1
	v_add3_u32 v37, v37, v8, 0x7fff
	v_or_b32_e32 v39, 0x400000, v8
	v_mul_f32_e32 v11, v14, v40
	v_cmp_u_f32_e32 vcc_lo, v8, v8
	v_add_f32_e32 v5, v6, v5
	v_add_f32_e32 v7, v7, v10
	v_mul_f32_e32 v1, v15, v1
	v_bfe_u32 v6, v11, 16, 1
	v_and_b32_e32 v10, 0xffff0000, v2
	v_cndmask_b32_e32 v8, v37, v39, vcc_lo
	v_or_b32_e32 v13, 0x400000, v11
	v_bfe_u32 v14, v1, 16, 1
	v_add3_u32 v6, v6, v11, 0x7fff
	v_mul_f32_e32 v10, v20, v10
	v_lshlrev_b32_e32 v2, 16, v2
	v_cmp_u_f32_e32 vcc_lo, v11, v11
	v_add3_u32 v11, v14, v1, 0x7fff
	v_and_b32_e32 v15, 0xffff0000, v3
	v_bfe_u32 v14, v10, 16, 1
	v_mul_f32_e32 v2, v19, v2
	v_cndmask_b32_e32 v6, v6, v13, vcc_lo
	v_or_b32_e32 v13, 0x400000, v1
	v_cmp_u_f32_e32 vcc_lo, v1, v1
	v_mul_f32_e32 v15, v38, v15
	v_lshlrev_b32_e32 v3, 16, v3
	v_and_b32_e32 v6, 0xffff0000, v6
	v_and_b32_e32 v36, 0xffff0000, v36
	v_cndmask_b32_e32 v1, v11, v13, vcc_lo
	v_add3_u32 v11, v14, v10, 0x7fff
	v_or_b32_e32 v13, 0x400000, v10
	v_bfe_u32 v14, v2, 16, 1
	v_cmp_u_f32_e32 vcc_lo, v10, v10
	v_mul_f32_e32 v3, v18, v3
	v_and_b32_e32 v18, 0xffff0000, v4
	v_lshlrev_b32_e32 v4, 16, v4
	v_and_b32_e32 v1, 0xffff0000, v1
	v_cndmask_b32_e32 v10, v11, v13, vcc_lo
	v_add3_u32 v11, v14, v2, 0x7fff
	v_or_b32_e32 v13, 0x400000, v2
	v_bfe_u32 v14, v15, 16, 1
	v_cmp_u_f32_e32 vcc_lo, v2, v2
	v_mul_f32_e32 v4, v17, v4
	v_or_b32_e32 v17, 0x400000, v15
	v_and_b32_e32 v10, 0xffff0000, v10
	v_add_f32_e32 v1, v1, v6
	v_cndmask_b32_e32 v2, v11, v13, vcc_lo
	v_bfe_u32 v11, v3, 16, 1
	v_add3_u32 v13, v14, v15, 0x7fff
	v_cmp_u_f32_e32 vcc_lo, v15, v15
	v_mul_f32_e32 v14, v42, v18
	v_or_b32_e32 v18, 0x400000, v3
	v_add3_u32 v11, v11, v3, 0x7fff
	v_bfe_u32 v20, v4, 16, 1
	v_cndmask_b32_e32 v13, v13, v17, vcc_lo
	v_cmp_u_f32_e32 vcc_lo, v3, v3
	v_bfe_u32 v19, v14, 16, 1
	v_or_b32_e32 v17, 0x400000, v4
	v_add3_u32 v15, v20, v4, 0x7fff
	v_and_b32_e32 v2, 0xffff0000, v2
	v_cndmask_b32_e32 v3, v11, v18, vcc_lo
	v_cmp_u_f32_e32 vcc_lo, v4, v4
	v_add3_u32 v11, v19, v14, 0x7fff
	v_or_b32_e32 v18, 0x400000, v14
	v_add_f32_e32 v2, v2, v10
	v_and_b32_e32 v3, 0xffff0000, v3
	v_cndmask_b32_e32 v4, v15, v17, vcc_lo
	v_cmp_u_f32_e32 vcc_lo, v14, v14
	v_and_b32_e32 v6, 0xffff0000, v13
	v_and_b32_e32 v8, 0xffff0000, v8
	v_add_f32_e32 v1, v2, v1
	v_add_f32_e32 v5, v7, v5
	v_cndmask_b32_e32 v10, v11, v18, vcc_lo
	v_and_b32_e32 v11, 0xffff0000, v16
	v_add_f32_e32 v2, v3, v6
	v_and_b32_e32 v3, 0xffff0000, v4
	v_add_f32_e32 v6, v12, v36
	;; [unrolled: 2-line block ×3, first 2 shown]
	v_add_f32_e32 v1, v2, v1
	v_add_nc_u32_e32 v21, 4, v21
	v_add_co_u32 v22, s1, v22, 16
	v_add_f32_e32 v2, v3, v4
	v_add_f32_e32 v3, v6, v9
	;; [unrolled: 1-line block ×3, first 2 shown]
	v_cmp_le_i32_e32 vcc_lo, s11, v21
	v_add_nc_u32_e32 v32, 32, v32
	v_add_f32_e32 v1, v2, v1
	v_add_f32_e32 v28, v28, v3
	;; [unrolled: 1-line block ×3, first 2 shown]
	v_add_nc_u32_e32 v33, 0x80, v33
	v_add_co_ci_u32_e64 v23, null, 0, v23, s1
	v_add_f32_e32 v30, v30, v1
	s_or_b32 s14, vcc_lo, s14
	s_andn2_b32 exec_lo, exec_lo, s14
	s_cbranch_execz .LBB148_43
.LBB148_34:                             ; =>This Inner Loop Header: Depth=1
	global_load_dword v1, v[22:23], off
	v_cmp_eq_u32_e64 s1, s12, v21
	s_waitcnt vmcnt(0)
	v_mad_i64_i32 v[1:2], null, v1, s13, 0
	v_lshlrev_b64 v[1:2], 1, v[1:2]
	v_add_co_u32 v36, vcc_lo, s6, v1
	v_add_co_ci_u32_e64 v37, null, s9, v2, vcc_lo
	v_add_co_u32 v9, vcc_lo, v36, v34
	v_add_co_ci_u32_e64 v10, null, 0, v37, vcc_lo
	global_load_dwordx4 v[1:4], v[9:10], off
	ds_read2_b64 v[17:20], v33 offset1:1
	ds_read2_b64 v[13:16], v33 offset0:2 offset1:3
	s_and_saveexec_b32 s16, s1
	s_cbranch_execnz .LBB148_41
; %bb.35:                               ;   in Loop: Header=BB148_34 Depth=1
	s_or_b32 exec_lo, exec_lo, s16
	global_load_dwordx4 v[5:8], v[9:10], off offset:512
	s_and_saveexec_b32 s16, s1
	s_cbranch_execnz .LBB148_42
.LBB148_36:                             ;   in Loop: Header=BB148_34 Depth=1
	s_or_b32 exec_lo, exec_lo, s16
	global_load_dwordx4 v[9:12], v[9:10], off offset:1024
	s_and_saveexec_b32 s16, s1
	s_cbranch_execz .LBB148_38
.LBB148_37:                             ;   in Loop: Header=BB148_34 Depth=1
	v_add_nc_u32_e32 v38, 1, v32
	v_or_b32_e32 v39, 3, v32
	v_cmp_gt_i32_e32 vcc_lo, s23, v32
	v_or_b32_e32 v40, 2, v32
	v_or_b32_e32 v42, 7, v32
	v_cmp_gt_i32_e64 s2, s15, v39
	s_waitcnt vmcnt(0)
	v_cndmask_b32_e32 v41, 0, v9, vcc_lo
	v_cmp_gt_i32_e32 vcc_lo, s15, v38
	v_cmp_gt_i32_e64 s3, s23, v40
	v_or_b32_e32 v39, 5, v32
	v_or_b32_e32 v40, 4, v32
	v_cndmask_b32_sdwa v9, v31, v9, vcc_lo dst_sel:DWORD dst_unused:UNUSED_PAD src0_sel:DWORD src1_sel:WORD_1
	s_mov_b32 vcc_lo, s2
	v_cndmask_b32_e64 v38, 0, v10, s3
	v_cndmask_b32_sdwa v10, v31, v10, vcc_lo dst_sel:DWORD dst_unused:UNUSED_PAD src0_sel:DWORD src1_sel:WORD_1
	v_cmp_gt_i32_e32 vcc_lo, s15, v39
	v_cmp_gt_i32_e64 s2, s23, v40
	v_or_b32_e32 v40, 6, v32
	v_perm_b32 v9, v9, v41, 0x5040100
	v_perm_b32 v10, v10, v38, 0x5040100
	v_cndmask_b32_e64 v39, 0, v11, s2
	v_cmp_gt_i32_e64 s2, s15, v42
	v_cndmask_b32_sdwa v11, v31, v11, vcc_lo dst_sel:DWORD dst_unused:UNUSED_PAD src0_sel:DWORD src1_sel:WORD_1
	v_cmp_gt_i32_e32 vcc_lo, s23, v40
	v_perm_b32 v11, v11, v39, 0x5040100
	v_cndmask_b32_e32 v40, 0, v12, vcc_lo
	s_mov_b32 vcc_lo, s2
	v_cndmask_b32_sdwa v12, v31, v12, vcc_lo dst_sel:DWORD dst_unused:UNUSED_PAD src0_sel:DWORD src1_sel:WORD_1
	v_perm_b32 v12, v12, v40, 0x5040100
.LBB148_38:                             ;   in Loop: Header=BB148_34 Depth=1
	s_or_b32 exec_lo, exec_lo, s16
	s_waitcnt lgkmcnt(1)
	v_bfe_u32 v38, v17, 16, 1
	v_bfe_u32 v39, v18, 16, 1
	v_or_b32_e32 v40, 0x400000, v17
	v_cmp_u_f32_e32 vcc_lo, v17, v17
	v_or_b32_e32 v41, 0x400000, v18
	v_add3_u32 v38, v38, v17, 0x7fff
	v_bfe_u32 v42, v19, 16, 1
	v_add3_u32 v39, v39, v18, 0x7fff
	v_bfe_u32 v43, v20, 16, 1
	v_cndmask_b32_e32 v17, v38, v40, vcc_lo
	v_cmp_u_f32_e32 vcc_lo, v18, v18
	v_add3_u32 v38, v42, v19, 0x7fff
	s_waitcnt lgkmcnt(0)
	v_bfe_u32 v40, v13, 16, 1
	v_or_b32_e32 v42, 0x400000, v20
	v_cndmask_b32_e32 v18, v39, v41, vcc_lo
	v_or_b32_e32 v39, 0x400000, v19
	v_cmp_u_f32_e32 vcc_lo, v19, v19
	v_add3_u32 v41, v43, v20, 0x7fff
	v_or_b32_e32 v43, 0x400000, v16
	v_cndmask_b32_e32 v19, v38, v39, vcc_lo
	v_cmp_u_f32_e32 vcc_lo, v20, v20
	v_add3_u32 v38, v40, v13, 0x7fff
	v_or_b32_e32 v39, 0x400000, v13
	v_bfe_u32 v20, v14, 16, 1
	v_cndmask_b32_e32 v40, v41, v42, vcc_lo
	v_cmp_u_f32_e32 vcc_lo, v13, v13
	v_bfe_u32 v41, v15, 16, 1
	v_add3_u32 v20, v20, v14, 0x7fff
	v_or_b32_e32 v42, 0x400000, v15
	v_perm_b32 v19, v40, v19, 0x7060302
	v_cndmask_b32_e32 v13, v38, v39, vcc_lo
	v_or_b32_e32 v39, 0x400000, v14
	v_cmp_u_f32_e32 vcc_lo, v14, v14
	v_bfe_u32 v38, v16, 16, 1
	v_add3_u32 v41, v41, v15, 0x7fff
	v_cndmask_b32_e32 v14, v20, v39, vcc_lo
	v_cmp_u_f32_e32 vcc_lo, v15, v15
	v_add3_u32 v38, v38, v16, 0x7fff
	v_perm_b32 v20, v18, v17, 0x7060302
	v_perm_b32 v18, v14, v13, 0x7060302
	v_cndmask_b32_e32 v15, v41, v42, vcc_lo
	v_cmp_u_f32_e32 vcc_lo, v16, v16
	v_cndmask_b32_e32 v16, v38, v43, vcc_lo
	v_perm_b32 v17, v16, v15, 0x7060302
	s_and_saveexec_b32 s3, s0
	s_cbranch_execz .LBB148_33
; %bb.39:                               ;   in Loop: Header=BB148_34 Depth=1
	v_add_co_u32 v13, vcc_lo, v36, v35
	v_add_co_ci_u32_e64 v14, null, 0, v37, vcc_lo
	global_load_dwordx4 v[13:16], v[13:14], off
	s_and_saveexec_b32 s16, s1
	s_cbranch_execz .LBB148_32
; %bb.40:                               ;   in Loop: Header=BB148_34 Depth=1
	v_add_nc_u32_e32 v36, 1, v32
	v_or_b32_e32 v37, 3, v32
	v_cmp_gt_i32_e32 vcc_lo, s23, v32
	v_or_b32_e32 v38, 2, v32
	v_or_b32_e32 v40, 7, v32
	v_cmp_gt_i32_e64 s1, s15, v37
	s_waitcnt vmcnt(0)
	v_cndmask_b32_e32 v39, 0, v13, vcc_lo
	v_cmp_gt_i32_e32 vcc_lo, s15, v36
	v_cmp_gt_i32_e64 s2, s23, v38
	v_or_b32_e32 v37, 5, v32
	v_or_b32_e32 v38, 4, v32
	v_cndmask_b32_sdwa v13, v31, v13, vcc_lo dst_sel:DWORD dst_unused:UNUSED_PAD src0_sel:DWORD src1_sel:WORD_1
	s_mov_b32 vcc_lo, s1
	v_cndmask_b32_e64 v36, 0, v14, s2
	v_cndmask_b32_sdwa v14, v31, v14, vcc_lo dst_sel:DWORD dst_unused:UNUSED_PAD src0_sel:DWORD src1_sel:WORD_1
	v_cmp_gt_i32_e32 vcc_lo, s15, v37
	v_cmp_gt_i32_e64 s1, s23, v38
	v_or_b32_e32 v38, 6, v32
	v_perm_b32 v13, v13, v39, 0x5040100
	v_perm_b32 v14, v14, v36, 0x5040100
	v_cndmask_b32_e64 v37, 0, v15, s1
	v_cmp_gt_i32_e64 s1, s15, v40
	v_cndmask_b32_sdwa v15, v31, v15, vcc_lo dst_sel:DWORD dst_unused:UNUSED_PAD src0_sel:DWORD src1_sel:WORD_1
	v_cmp_gt_i32_e32 vcc_lo, s23, v38
	v_perm_b32 v15, v15, v37, 0x5040100
	v_cndmask_b32_e32 v38, 0, v16, vcc_lo
	s_mov_b32 vcc_lo, s1
	v_cndmask_b32_sdwa v16, v31, v16, vcc_lo dst_sel:DWORD dst_unused:UNUSED_PAD src0_sel:DWORD src1_sel:WORD_1
	v_perm_b32 v16, v16, v38, 0x5040100
	s_branch .LBB148_32
.LBB148_41:                             ;   in Loop: Header=BB148_34 Depth=1
	v_add_nc_u32_e32 v5, 1, v32
	v_or_b32_e32 v6, 3, v32
	v_cmp_gt_i32_e32 vcc_lo, s23, v32
	v_or_b32_e32 v7, 2, v32
	v_or_b32_e32 v11, 7, v32
	v_cmp_gt_i32_e64 s2, s15, v6
	s_waitcnt vmcnt(0)
	v_cndmask_b32_e32 v8, 0, v1, vcc_lo
	v_cmp_gt_i32_e32 vcc_lo, s15, v5
	v_cmp_gt_i32_e64 s3, s23, v7
	v_or_b32_e32 v6, 5, v32
	v_or_b32_e32 v7, 4, v32
	v_cndmask_b32_sdwa v1, v31, v1, vcc_lo dst_sel:DWORD dst_unused:UNUSED_PAD src0_sel:DWORD src1_sel:WORD_1
	s_mov_b32 vcc_lo, s2
	v_cndmask_b32_e64 v5, 0, v2, s3
	v_cndmask_b32_sdwa v2, v31, v2, vcc_lo dst_sel:DWORD dst_unused:UNUSED_PAD src0_sel:DWORD src1_sel:WORD_1
	v_cmp_gt_i32_e32 vcc_lo, s15, v6
	v_cmp_gt_i32_e64 s2, s23, v7
	v_or_b32_e32 v7, 6, v32
	v_perm_b32 v1, v1, v8, 0x5040100
	v_perm_b32 v2, v2, v5, 0x5040100
	v_cndmask_b32_e64 v6, 0, v3, s2
	v_cmp_gt_i32_e64 s2, s15, v11
	v_cndmask_b32_sdwa v3, v31, v3, vcc_lo dst_sel:DWORD dst_unused:UNUSED_PAD src0_sel:DWORD src1_sel:WORD_1
	v_cmp_gt_i32_e32 vcc_lo, s23, v7
	v_perm_b32 v3, v3, v6, 0x5040100
	v_cndmask_b32_e32 v7, 0, v4, vcc_lo
	s_mov_b32 vcc_lo, s2
	v_cndmask_b32_sdwa v4, v31, v4, vcc_lo dst_sel:DWORD dst_unused:UNUSED_PAD src0_sel:DWORD src1_sel:WORD_1
	v_perm_b32 v4, v4, v7, 0x5040100
	s_or_b32 exec_lo, exec_lo, s16
	global_load_dwordx4 v[5:8], v[9:10], off offset:512
	s_and_saveexec_b32 s16, s1
	s_cbranch_execz .LBB148_36
.LBB148_42:                             ;   in Loop: Header=BB148_34 Depth=1
	v_add_nc_u32_e32 v11, 1, v32
	v_or_b32_e32 v12, 3, v32
	v_cmp_gt_i32_e32 vcc_lo, s23, v32
	v_or_b32_e32 v38, 2, v32
	v_or_b32_e32 v40, 7, v32
	v_cmp_gt_i32_e64 s2, s15, v12
	s_waitcnt vmcnt(0)
	v_cndmask_b32_e32 v39, 0, v5, vcc_lo
	v_cmp_gt_i32_e32 vcc_lo, s15, v11
	v_cmp_gt_i32_e64 s3, s23, v38
	v_or_b32_e32 v12, 5, v32
	v_or_b32_e32 v38, 4, v32
	v_cndmask_b32_sdwa v5, v31, v5, vcc_lo dst_sel:DWORD dst_unused:UNUSED_PAD src0_sel:DWORD src1_sel:WORD_1
	s_mov_b32 vcc_lo, s2
	v_cndmask_b32_e64 v11, 0, v6, s3
	v_cndmask_b32_sdwa v6, v31, v6, vcc_lo dst_sel:DWORD dst_unused:UNUSED_PAD src0_sel:DWORD src1_sel:WORD_1
	v_cmp_gt_i32_e32 vcc_lo, s15, v12
	v_cmp_gt_i32_e64 s2, s23, v38
	v_or_b32_e32 v38, 6, v32
	v_perm_b32 v5, v5, v39, 0x5040100
	v_perm_b32 v6, v6, v11, 0x5040100
	v_cndmask_b32_e64 v12, 0, v7, s2
	v_cmp_gt_i32_e64 s2, s15, v40
	v_cndmask_b32_sdwa v7, v31, v7, vcc_lo dst_sel:DWORD dst_unused:UNUSED_PAD src0_sel:DWORD src1_sel:WORD_1
	v_cmp_gt_i32_e32 vcc_lo, s23, v38
	v_perm_b32 v7, v7, v12, 0x5040100
	v_cndmask_b32_e32 v38, 0, v8, vcc_lo
	s_mov_b32 vcc_lo, s2
	v_cndmask_b32_sdwa v8, v31, v8, vcc_lo dst_sel:DWORD dst_unused:UNUSED_PAD src0_sel:DWORD src1_sel:WORD_1
	v_perm_b32 v8, v8, v38, 0x5040100
	s_or_b32 exec_lo, exec_lo, s16
	global_load_dwordx4 v[9:12], v[9:10], off offset:1024
	s_and_saveexec_b32 s16, s1
	s_cbranch_execnz .LBB148_37
	s_branch .LBB148_38
.LBB148_43:
	s_or_b32 exec_lo, exec_lo, s14
.LBB148_44:
	s_or_b32 exec_lo, exec_lo, s5
	s_movk_i32 s0, 0x1c0
	v_and_b32_e32 v1, 0x3c0, v0
	v_mad_u32_u24 v4, v24, s0, 0x100
	v_or_b32_e32 v3, 0x60, v0
	s_mov_b32 s0, exec_lo
	s_waitcnt_vscnt null, 0x0
	s_barrier
	buffer_gl0_inv
	v_cmpx_eq_u32_e32 64, v1
	s_cbranch_execz .LBB148_47
; %bb.45:
	v_add_nc_u32_e32 v1, 0xfffffc80, v4
	v_cmp_gt_u32_e32 vcc_lo, 0x70, v3
	v_lshl_add_u32 v2, v25, 2, v1
	ds_write2_b32 v2, v30, v29 offset1:32
	ds_write_b32 v2, v28 offset:256
	s_and_b32 exec_lo, exec_lo, vcc_lo
; %bb.46:
	v_lshl_add_u32 v1, v3, 2, v1
	ds_write_b32 v1, v27
.LBB148_47:
	s_or_b32 exec_lo, exec_lo, s0
	v_lshl_add_u32 v5, v25, 2, v4
	s_mov_b32 s0, exec_lo
	s_waitcnt lgkmcnt(0)
	s_barrier
	buffer_gl0_inv
	v_cmpx_gt_u32_e32 64, v0
	s_cbranch_execz .LBB148_51
; %bb.48:
	v_lshl_or_b32 v1, v0, 2, 0x80
	s_mov_b32 s1, exec_lo
	v_add_nc_u32_e32 v6, v4, v1
	ds_read2st64_b32 v[1:2], v5 offset1:1
	ds_read_b32 v6, v6
	v_cmpx_gt_u32_e32 0x70, v3
	s_cbranch_execz .LBB148_50
; %bb.49:
	v_lshl_add_u32 v7, v3, 2, v4
	ds_read_b32 v7, v7
	s_waitcnt lgkmcnt(0)
	v_add_f32_e32 v27, v27, v7
.LBB148_50:
	s_or_b32 exec_lo, exec_lo, s1
	s_waitcnt lgkmcnt(1)
	v_add_f32_e32 v30, v30, v1
	s_waitcnt lgkmcnt(0)
	v_add_f32_e32 v29, v29, v6
	v_add_f32_e32 v28, v28, v2
.LBB148_51:
	s_or_b32 exec_lo, exec_lo, s0
	v_and_b32_e32 v1, 0x3e0, v0
	s_mov_b32 s0, exec_lo
	s_barrier
	buffer_gl0_inv
	v_cmpx_eq_u32_e32 32, v1
	s_cbranch_execz .LBB148_54
; %bb.52:
	v_lshl_add_u32 v1, v25, 2, 0x100
	v_cmp_gt_u32_e32 vcc_lo, 0x70, v3
	ds_write_b32 v1, v30
	ds_write_b32 v26, v29
	ds_write_b32 v1, v28 offset:256
	s_and_b32 exec_lo, exec_lo, vcc_lo
; %bb.53:
	v_lshl_add_u32 v1, v3, 2, 0x100
	ds_write_b32 v1, v27
.LBB148_54:
	s_or_b32 exec_lo, exec_lo, s0
	v_cmp_gt_u32_e32 vcc_lo, 32, v0
	s_waitcnt lgkmcnt(0)
	s_barrier
	buffer_gl0_inv
	s_and_saveexec_b32 s1, vcc_lo
	s_cbranch_execz .LBB148_58
; %bb.55:
	v_lshl_add_u32 v6, v0, 2, v4
	s_mov_b32 s2, exec_lo
	ds_read_b32 v4, v5
	ds_read2_b32 v[1:2], v6 offset0:32 offset1:64
	v_cmpx_gt_u32_e32 0x70, v3
	s_cbranch_execz .LBB148_57
; %bb.56:
	ds_read_b32 v5, v6 offset:384
	s_waitcnt lgkmcnt(0)
	v_add_f32_e32 v27, v27, v5
.LBB148_57:
	s_or_b32 exec_lo, exec_lo, s2
	s_waitcnt lgkmcnt(1)
	v_add_f32_e32 v30, v30, v4
	s_waitcnt lgkmcnt(0)
	v_add_f32_e32 v29, v29, v1
	v_add_f32_e32 v28, v28, v2
.LBB148_58:
	s_or_b32 exec_lo, exec_lo, s1
	s_barrier
	buffer_gl0_inv
	s_and_saveexec_b32 s0, vcc_lo
	s_cbranch_execz .LBB148_61
; %bb.59:
	v_bfe_u32 v1, v30, 16, 1
	v_bfe_u32 v2, v29, 16, 1
	v_or_b32_e32 v5, 0x400000, v30
	v_cmp_u_f32_e32 vcc_lo, v30, v30
	s_mul_i32 s0, s4, 0x70
	v_add3_u32 v1, v1, v30, 0x7fff
	s_ashr_i32 s1, s0, 31
	v_bfe_u32 v4, v28, 16, 1
	s_lshl_b64 s[0:1], s[0:1], 1
	v_add3_u32 v2, v2, v29, 0x7fff
	v_or_b32_e32 v6, 0x400000, v29
	v_cndmask_b32_e32 v1, v1, v5, vcc_lo
	v_cmp_u_f32_e32 vcc_lo, v29, v29
	s_mul_i32 s2, s7, s10
	s_add_u32 s4, s20, s0
	s_addc_u32 s1, s21, s1
	s_ashr_i32 s3, s2, 31
	v_add3_u32 v4, v4, v28, 0x7fff
	s_lshl_b64 s[2:3], s[2:3], 1
	v_or_b32_e32 v7, 0x400000, v28
	v_cndmask_b32_e32 v2, v2, v6, vcc_lo
	v_cmp_u_f32_e32 vcc_lo, v28, v28
	s_mul_i32 s0, s8, 0x70
	s_add_u32 s2, s4, s2
	s_addc_u32 s3, s1, s3
	s_ashr_i32 s1, s0, 31
	v_lshlrev_b32_e32 v0, 1, v0
	s_lshl_b64 s[0:1], s[0:1], 1
	v_cndmask_b32_e32 v4, v4, v7, vcc_lo
	v_cmp_gt_u32_e32 vcc_lo, 0x70, v3
	s_add_u32 s0, s2, s0
	s_addc_u32 s1, s3, s1
	global_store_short_d16_hi v0, v1, s[0:1]
	global_store_short_d16_hi v0, v2, s[0:1] offset:64
	global_store_short_d16_hi v0, v4, s[0:1] offset:128
	s_and_b32 exec_lo, exec_lo, vcc_lo
	s_cbranch_execz .LBB148_61
; %bb.60:
	v_bfe_u32 v1, v27, 16, 1
	v_or_b32_e32 v2, 0x400000, v27
	v_cmp_u_f32_e32 vcc_lo, v27, v27
	v_add_co_u32 v0, s0, s0, v0
	v_add3_u32 v3, v1, v27, 0x7fff
	v_add_co_ci_u32_e64 v1, null, s1, 0, s0
	v_cndmask_b32_e32 v2, v3, v2, vcc_lo
	global_store_short_d16_hi v[0:1], v2, off offset:192
.LBB148_61:
	s_endpgm
	.section	.rodata,"a",@progbits
	.p2align	6, 0x0
	.amdhsa_kernel _ZN4vllm25paged_attention_v2_kernelI14__hip_bfloat16S1_Li112ELi8ELi128ELNS_18Fp8KVCacheDataTypeE0ELb0ELi512EEEvPfS3_PT_PKS4_PKT0_SA_ifPKiSC_iPKfiiiSE_SE_iiiii
		.amdhsa_group_segment_fixed_size 256
		.amdhsa_private_segment_fixed_size 0
		.amdhsa_kernarg_size 400
		.amdhsa_user_sgpr_count 6
		.amdhsa_user_sgpr_private_segment_buffer 1
		.amdhsa_user_sgpr_dispatch_ptr 0
		.amdhsa_user_sgpr_queue_ptr 0
		.amdhsa_user_sgpr_kernarg_segment_ptr 1
		.amdhsa_user_sgpr_dispatch_id 0
		.amdhsa_user_sgpr_flat_scratch_init 0
		.amdhsa_user_sgpr_private_segment_size 0
		.amdhsa_wavefront_size32 1
		.amdhsa_uses_dynamic_stack 0
		.amdhsa_system_sgpr_private_segment_wavefront_offset 0
		.amdhsa_system_sgpr_workgroup_id_x 1
		.amdhsa_system_sgpr_workgroup_id_y 1
		.amdhsa_system_sgpr_workgroup_id_z 1
		.amdhsa_system_sgpr_workgroup_info 0
		.amdhsa_system_vgpr_workitem_id 0
		.amdhsa_next_free_vgpr 62
		.amdhsa_next_free_sgpr 36
		.amdhsa_reserve_vcc 1
		.amdhsa_reserve_flat_scratch 0
		.amdhsa_float_round_mode_32 0
		.amdhsa_float_round_mode_16_64 0
		.amdhsa_float_denorm_mode_32 3
		.amdhsa_float_denorm_mode_16_64 3
		.amdhsa_dx10_clamp 1
		.amdhsa_ieee_mode 1
		.amdhsa_fp16_overflow 0
		.amdhsa_workgroup_processor_mode 1
		.amdhsa_memory_ordered 1
		.amdhsa_forward_progress 1
		.amdhsa_shared_vgpr_count 0
		.amdhsa_exception_fp_ieee_invalid_op 0
		.amdhsa_exception_fp_denorm_src 0
		.amdhsa_exception_fp_ieee_div_zero 0
		.amdhsa_exception_fp_ieee_overflow 0
		.amdhsa_exception_fp_ieee_underflow 0
		.amdhsa_exception_fp_ieee_inexact 0
		.amdhsa_exception_int_div_zero 0
	.end_amdhsa_kernel
	.section	.text._ZN4vllm25paged_attention_v2_kernelI14__hip_bfloat16S1_Li112ELi8ELi128ELNS_18Fp8KVCacheDataTypeE0ELb0ELi512EEEvPfS3_PT_PKS4_PKT0_SA_ifPKiSC_iPKfiiiSE_SE_iiiii,"axG",@progbits,_ZN4vllm25paged_attention_v2_kernelI14__hip_bfloat16S1_Li112ELi8ELi128ELNS_18Fp8KVCacheDataTypeE0ELb0ELi512EEEvPfS3_PT_PKS4_PKT0_SA_ifPKiSC_iPKfiiiSE_SE_iiiii,comdat
.Lfunc_end148:
	.size	_ZN4vllm25paged_attention_v2_kernelI14__hip_bfloat16S1_Li112ELi8ELi128ELNS_18Fp8KVCacheDataTypeE0ELb0ELi512EEEvPfS3_PT_PKS4_PKT0_SA_ifPKiSC_iPKfiiiSE_SE_iiiii, .Lfunc_end148-_ZN4vllm25paged_attention_v2_kernelI14__hip_bfloat16S1_Li112ELi8ELi128ELNS_18Fp8KVCacheDataTypeE0ELb0ELi512EEEvPfS3_PT_PKS4_PKT0_SA_ifPKiSC_iPKfiiiSE_SE_iiiii
                                        ; -- End function
	.set _ZN4vllm25paged_attention_v2_kernelI14__hip_bfloat16S1_Li112ELi8ELi128ELNS_18Fp8KVCacheDataTypeE0ELb0ELi512EEEvPfS3_PT_PKS4_PKT0_SA_ifPKiSC_iPKfiiiSE_SE_iiiii.num_vgpr, 62
	.set _ZN4vllm25paged_attention_v2_kernelI14__hip_bfloat16S1_Li112ELi8ELi128ELNS_18Fp8KVCacheDataTypeE0ELb0ELi512EEEvPfS3_PT_PKS4_PKT0_SA_ifPKiSC_iPKfiiiSE_SE_iiiii.num_agpr, 0
	.set _ZN4vllm25paged_attention_v2_kernelI14__hip_bfloat16S1_Li112ELi8ELi128ELNS_18Fp8KVCacheDataTypeE0ELb0ELi512EEEvPfS3_PT_PKS4_PKT0_SA_ifPKiSC_iPKfiiiSE_SE_iiiii.numbered_sgpr, 36
	.set _ZN4vllm25paged_attention_v2_kernelI14__hip_bfloat16S1_Li112ELi8ELi128ELNS_18Fp8KVCacheDataTypeE0ELb0ELi512EEEvPfS3_PT_PKS4_PKT0_SA_ifPKiSC_iPKfiiiSE_SE_iiiii.num_named_barrier, 0
	.set _ZN4vllm25paged_attention_v2_kernelI14__hip_bfloat16S1_Li112ELi8ELi128ELNS_18Fp8KVCacheDataTypeE0ELb0ELi512EEEvPfS3_PT_PKS4_PKT0_SA_ifPKiSC_iPKfiiiSE_SE_iiiii.private_seg_size, 0
	.set _ZN4vllm25paged_attention_v2_kernelI14__hip_bfloat16S1_Li112ELi8ELi128ELNS_18Fp8KVCacheDataTypeE0ELb0ELi512EEEvPfS3_PT_PKS4_PKT0_SA_ifPKiSC_iPKfiiiSE_SE_iiiii.uses_vcc, 1
	.set _ZN4vllm25paged_attention_v2_kernelI14__hip_bfloat16S1_Li112ELi8ELi128ELNS_18Fp8KVCacheDataTypeE0ELb0ELi512EEEvPfS3_PT_PKS4_PKT0_SA_ifPKiSC_iPKfiiiSE_SE_iiiii.uses_flat_scratch, 0
	.set _ZN4vllm25paged_attention_v2_kernelI14__hip_bfloat16S1_Li112ELi8ELi128ELNS_18Fp8KVCacheDataTypeE0ELb0ELi512EEEvPfS3_PT_PKS4_PKT0_SA_ifPKiSC_iPKfiiiSE_SE_iiiii.has_dyn_sized_stack, 0
	.set _ZN4vllm25paged_attention_v2_kernelI14__hip_bfloat16S1_Li112ELi8ELi128ELNS_18Fp8KVCacheDataTypeE0ELb0ELi512EEEvPfS3_PT_PKS4_PKT0_SA_ifPKiSC_iPKfiiiSE_SE_iiiii.has_recursion, 0
	.set _ZN4vllm25paged_attention_v2_kernelI14__hip_bfloat16S1_Li112ELi8ELi128ELNS_18Fp8KVCacheDataTypeE0ELb0ELi512EEEvPfS3_PT_PKS4_PKT0_SA_ifPKiSC_iPKfiiiSE_SE_iiiii.has_indirect_call, 0
	.section	.AMDGPU.csdata,"",@progbits
; Kernel info:
; codeLenInByte = 7060
; TotalNumSgprs: 38
; NumVgprs: 62
; ScratchSize: 0
; MemoryBound: 0
; FloatMode: 240
; IeeeMode: 1
; LDSByteSize: 256 bytes/workgroup (compile time only)
; SGPRBlocks: 0
; VGPRBlocks: 7
; NumSGPRsForWavesPerEU: 38
; NumVGPRsForWavesPerEU: 62
; Occupancy: 16
; WaveLimiterHint : 1
; COMPUTE_PGM_RSRC2:SCRATCH_EN: 0
; COMPUTE_PGM_RSRC2:USER_SGPR: 6
; COMPUTE_PGM_RSRC2:TRAP_HANDLER: 0
; COMPUTE_PGM_RSRC2:TGID_X_EN: 1
; COMPUTE_PGM_RSRC2:TGID_Y_EN: 1
; COMPUTE_PGM_RSRC2:TGID_Z_EN: 1
; COMPUTE_PGM_RSRC2:TIDIG_COMP_CNT: 0
	.section	.text._ZN4vllm25paged_attention_v2_kernelI14__hip_bfloat16S1_Li120ELi8ELi128ELNS_18Fp8KVCacheDataTypeE0ELb0ELi512EEEvPfS3_PT_PKS4_PKT0_SA_ifPKiSC_iPKfiiiSE_SE_iiiii,"axG",@progbits,_ZN4vllm25paged_attention_v2_kernelI14__hip_bfloat16S1_Li120ELi8ELi128ELNS_18Fp8KVCacheDataTypeE0ELb0ELi512EEEvPfS3_PT_PKS4_PKT0_SA_ifPKiSC_iPKfiiiSE_SE_iiiii,comdat
	.protected	_ZN4vllm25paged_attention_v2_kernelI14__hip_bfloat16S1_Li120ELi8ELi128ELNS_18Fp8KVCacheDataTypeE0ELb0ELi512EEEvPfS3_PT_PKS4_PKT0_SA_ifPKiSC_iPKfiiiSE_SE_iiiii ; -- Begin function _ZN4vllm25paged_attention_v2_kernelI14__hip_bfloat16S1_Li120ELi8ELi128ELNS_18Fp8KVCacheDataTypeE0ELb0ELi512EEEvPfS3_PT_PKS4_PKT0_SA_ifPKiSC_iPKfiiiSE_SE_iiiii
	.globl	_ZN4vllm25paged_attention_v2_kernelI14__hip_bfloat16S1_Li120ELi8ELi128ELNS_18Fp8KVCacheDataTypeE0ELb0ELi512EEEvPfS3_PT_PKS4_PKT0_SA_ifPKiSC_iPKfiiiSE_SE_iiiii
	.p2align	8
	.type	_ZN4vllm25paged_attention_v2_kernelI14__hip_bfloat16S1_Li120ELi8ELi128ELNS_18Fp8KVCacheDataTypeE0ELb0ELi512EEEvPfS3_PT_PKS4_PKT0_SA_ifPKiSC_iPKfiiiSE_SE_iiiii,@function
_ZN4vllm25paged_attention_v2_kernelI14__hip_bfloat16S1_Li120ELi8ELi128ELNS_18Fp8KVCacheDataTypeE0ELb0ELi512EEEvPfS3_PT_PKS4_PKT0_SA_ifPKiSC_iPKfiiiSE_SE_iiiii: ; @_ZN4vllm25paged_attention_v2_kernelI14__hip_bfloat16S1_Li120ELi8ELi128ELNS_18Fp8KVCacheDataTypeE0ELb0ELi512EEEvPfS3_PT_PKS4_PKT0_SA_ifPKiSC_iPKfiiiSE_SE_iiiii
; %bb.0:
	s_load_dwordx2 s[0:1], s[4:5], 0x40
	s_mov_b32 s22, s7
	s_ashr_i32 s23, s7, 31
	s_lshl_b64 s[2:3], s[22:23], 2
	s_waitcnt lgkmcnt(0)
	s_add_u32 s0, s0, s2
	s_addc_u32 s1, s1, s3
	s_lshl_b32 s33, s8, 9
	s_load_dword s23, s[0:1], 0x0
	s_waitcnt lgkmcnt(0)
	s_cmp_ge_i32 s33, s23
	s_cbranch_scc1 .LBB149_61
; %bb.1:
	s_clause 0x1
	s_load_dword s9, s[4:5], 0x90
	s_load_dwordx2 s[30:31], s[4:5], 0x30
	s_mov_b32 s34, 0
	s_waitcnt lgkmcnt(0)
	s_abs_i32 s3, s9
	s_abs_i32 s0, s30
	v_cvt_f32_u32_e32 v1, s0
	s_sub_i32 s2, 0, s0
	v_rcp_iflag_f32_e32 v1, v1
	v_mul_f32_e32 v1, 0x4f7ffffe, v1
	v_cvt_u32_f32_e32 v1, v1
	v_readfirstlane_b32 s1, v1
	s_mul_i32 s2, s2, s1
	s_mul_hi_u32 s2, s1, s2
	s_add_i32 s1, s1, s2
	s_xor_b32 s2, s9, s30
	s_mul_hi_u32 s1, s3, s1
	s_ashr_i32 s2, s2, 31
	s_mul_i32 s7, s1, s0
	s_sub_i32 s3, s3, s7
	s_add_i32 s7, s1, 1
	s_sub_i32 s10, s3, s0
	s_cmp_ge_u32 s3, s0
	s_cselect_b32 s1, s7, s1
	s_cselect_b32 s3, s10, s3
	s_add_i32 s7, s1, 1
	s_cmp_ge_u32 s3, s0
	s_cselect_b32 s0, s7, s1
	s_abs_i32 s16, s6
	s_xor_b32 s0, s0, s2
	s_sub_i32 s10, s0, s2
	s_load_dwordx2 s[0:1], s[4:5], 0x50
	s_abs_i32 s2, s10
	v_cvt_f32_u32_e32 v1, s2
	s_sub_i32 s7, 0, s2
	v_rcp_iflag_f32_e32 v1, v1
	v_mul_f32_e32 v1, 0x4f7ffffe, v1
	v_cvt_u32_f32_e32 v1, v1
	v_readfirstlane_b32 s3, v1
	s_mul_i32 s7, s7, s3
	s_mul_hi_u32 s7, s3, s7
	s_add_i32 s3, s3, s7
	s_waitcnt lgkmcnt(0)
	s_cmp_eq_u64 s[0:1], 0
	s_mul_hi_u32 s3, s16, s3
	s_cbranch_scc1 .LBB149_3
; %bb.2:
	s_ashr_i32 s7, s6, 31
	s_lshl_b64 s[12:13], s[6:7], 2
	s_add_u32 s0, s0, s12
	s_addc_u32 s1, s1, s13
	s_load_dword s34, s[0:1], 0x0
.LBB149_3:
	s_load_dwordx4 s[12:15], s[4:5], 0x58
	v_and_b32_e32 v1, 3, v0
	v_lshlrev_b32_e32 v2, 2, v0
	s_ashr_i32 s0, s6, 31
	s_ashr_i32 s1, s10, 31
	s_mul_i32 s10, s6, 0x78
	s_mov_b32 s7, exec_lo
	v_cmpx_gt_u32_e32 60, v0
	s_cbranch_execz .LBB149_5
; %bb.4:
	s_load_dwordx2 s[18:19], s[4:5], 0x18
	s_waitcnt lgkmcnt(0)
	s_mul_i32 s20, s12, s22
	v_and_b32_e32 v4, 0x3fc, v0
	s_ashr_i32 s21, s20, 31
	s_lshl_b64 s[20:21], s[20:21], 1
	v_mad_u32_u24 v4, v1, 60, v4
	s_add_u32 s12, s18, s20
	s_addc_u32 s15, s19, s21
	s_ashr_i32 s11, s10, 31
	s_lshl_b64 s[18:19], s[10:11], 1
	s_add_u32 s18, s12, s18
	s_addc_u32 s19, s15, s19
	global_load_dword v3, v2, s[18:19]
	s_waitcnt vmcnt(0)
	ds_write_b32 v4, v3
.LBB149_5:
	s_or_b32 exec_lo, exec_lo, s7
	s_add_i32 s7, s23, 7
	s_load_dwordx2 s[24:25], s[4:5], 0x38
	s_waitcnt lgkmcnt(0)
	s_load_dword s15, s[4:5], 0x48
	s_ashr_i32 s11, s7, 31
	s_lshl_b32 s30, s8, 6
	s_lshr_b32 s11, s11, 29
	s_xor_b32 s0, s0, s1
	s_add_i32 s7, s7, s11
	s_add_i32 s1, s30, 64
	s_ashr_i32 s12, s7, 3
	s_mul_i32 s7, s3, s2
	s_min_i32 s11, s1, s12
	s_sub_i32 s1, s16, s7
	s_add_i32 s7, s3, 1
	s_sub_i32 s16, s1, s2
	s_cmp_ge_u32 s1, s2
	v_lshrrev_b32_e32 v24, 5, v0
	s_cselect_b32 s3, s7, s3
	s_cselect_b32 s1, s16, s1
	s_add_i32 s7, s3, 1
	s_cmp_ge_u32 s1, s2
	v_or_b32_e32 v21, s30, v24
	s_cselect_b32 s1, s7, s3
	v_mbcnt_lo_u32_b32 v3, -1, 0
	s_xor_b32 s1, s1, s0
	s_waitcnt lgkmcnt(0)
	s_mul_i32 s26, s15, s22
	s_sub_i32 s1, s1, s0
	v_cmp_gt_i32_e64 s0, s11, v21
	s_ashr_i32 s27, s26, 31
	s_mov_b32 s2, exec_lo
	s_barrier
	buffer_gl0_inv
                                        ; implicit-def: $vgpr4
                                        ; implicit-def: $vgpr5
	v_cmpx_le_i32_e64 s11, v21
	s_xor_b32 s2, exec_lo, s2
; %bb.6:
	v_mov_b32_e32 v4, 0
	v_mbcnt_lo_u32_b32 v3, -1, 0
	v_mov_b32_e32 v5, 32
                                        ; implicit-def: $vgpr2
                                        ; implicit-def: $vgpr1
; %bb.7:
	s_or_saveexec_b32 s35, s2
	s_clause 0x3
	s_load_dwordx4 s[16:19], s[4:5], 0x0
	s_load_dwordx2 s[20:21], s[4:5], 0x10
	s_load_dwordx2 s[28:29], s[4:5], 0x28
	s_load_dword s7, s[4:5], 0x98
	v_mov_b32_e32 v38, 0xff7fffff
	v_ashrrev_i32_e32 v22, 31, v21
	s_mul_i32 s14, s1, s14
	s_xor_b32 exec_lo, exec_lo, s35
	s_cbranch_execz .LBB149_13
; %bb.8:
	s_load_dwordx2 s[2:3], s[4:5], 0x20
	v_bfe_u32 v44, v0, 2, 3
	s_ashr_i32 s15, s14, 31
	v_mul_u32_u24_e32 v5, 60, v1
	s_lshl_b64 s[4:5], s[14:15], 1
	v_and_b32_e32 v2, 12, v2
	v_lshlrev_b32_e32 v6, 4, v44
	v_xor_b32_e32 v41, 1, v3
	ds_read2_b32 v[8:9], v5 offset1:1
	ds_read2_b32 v[14:15], v5 offset0:2 offset1:3
	ds_read2_b32 v[18:19], v5 offset0:4 offset1:5
	;; [unrolled: 1-line block ×6, first 2 shown]
	v_mov_b32_e32 v4, 0
	v_mov_b32_e32 v46, v21
	s_mov_b32 s15, s13
	s_waitcnt lgkmcnt(0)
	s_add_u32 s1, s2, s4
	s_addc_u32 s2, s3, s5
	v_add_co_u32 v11, s1, s1, v6
	v_add_co_ci_u32_e64 v12, null, s2, 0, s1
	s_lshl_b64 s[2:3], s[26:27], 2
	v_add_co_u32 v11, vcc_lo, v11, v2
	ds_read_b32 v2, v5 offset:56
	v_xor_b32_e32 v5, 2, v3
	v_add_co_ci_u32_e64 v12, null, 0, v12, vcc_lo
	v_lshlrev_b32_e32 v35, 16, v37
	v_and_b32_e32 v36, 0xffff0000, v37
	v_cmp_gt_i32_e32 vcc_lo, 32, v5
	v_lshlrev_b32_e32 v37, 16, v38
	v_and_b32_e32 v39, 0xffff0000, v38
	s_sub_i32 s4, 1, s23
	s_add_u32 s2, s24, s2
	v_cndmask_b32_e32 v38, v3, v5, vcc_lo
	v_cmp_gt_i32_e32 vcc_lo, 32, v41
	s_addc_u32 s3, s25, s3
	v_lshlrev_b32_e32 v6, 16, v8
	v_and_b32_e32 v7, 0xffff0000, v8
	v_lshlrev_b32_e32 v42, 2, v38
	v_cndmask_b32_e32 v43, v3, v41, vcc_lo
	v_cmp_eq_u32_e32 vcc_lo, 0, v1
	v_lshlrev_b32_e32 v38, 3, v24
	s_waitcnt lgkmcnt(0)
	v_lshlrev_b32_e32 v40, 16, v2
	v_and_b32_e32 v41, 0xffff0000, v2
	v_lshlrev_b32_e32 v2, 2, v44
	v_lshlrev_b32_e32 v8, 16, v9
	v_and_b32_e32 v9, 0xffff0000, v9
	v_lshlrev_b32_e32 v10, 16, v14
	v_and_b32_e32 v13, 0xffff0000, v14
	v_lshl_or_b32 v45, v24, 5, v2
	v_lshlrev_b64 v[1:2], 2, v[21:22]
	v_lshlrev_b32_e32 v14, 16, v15
	v_and_b32_e32 v15, 0xffff0000, v15
	v_lshlrev_b32_e32 v16, 16, v18
	v_and_b32_e32 v17, 0xffff0000, v18
	v_lshlrev_b32_e32 v18, 16, v19
	v_add_co_u32 v1, s2, s2, v1
	v_and_b32_e32 v19, 0xffff0000, v19
	v_lshlrev_b32_e32 v20, 16, v25
	v_and_b32_e32 v23, 0xffff0000, v25
	v_lshlrev_b32_e32 v25, 16, v26
	;; [unrolled: 2-line block ×6, first 2 shown]
	v_and_b32_e32 v34, 0xffff0000, v34
	v_mov_b32_e32 v5, 32
	v_lshlrev_b32_e32 v43, 2, v43
	v_cmp_neq_f32_e64 s1, s34, 0
	v_add3_u32 v44, s33, v38, v44
	v_add_nc_u32_e32 v45, 0x110, v45
	v_add_co_ci_u32_e64 v2, null, s3, v2, s2
	v_mov_b32_e32 v38, 0xff7fffff
	s_mov_b32 s5, 0
	s_branch .LBB149_10
.LBB149_9:                              ;   in Loop: Header=BB149_10 Depth=1
	s_or_b32 exec_lo, exec_lo, s3
	v_add_nc_u32_e32 v46, 4, v46
	v_add_co_u32 v1, s3, v1, 16
	v_add_nc_u32_e32 v44, 32, v44
	v_add_nc_u32_e32 v45, 0x80, v45
	v_cmp_le_i32_e64 s2, s11, v46
	v_add_co_ci_u32_e64 v2, null, 0, v2, s3
	s_or_b32 s5, s2, s5
	s_andn2_b32 exec_lo, exec_lo, s5
	s_cbranch_execz .LBB149_12
.LBB149_10:                             ; =>This Inner Loop Header: Depth=1
	global_load_dword v47, v[1:2], off
	s_waitcnt vmcnt(0) lgkmcnt(0)
	v_mad_i64_i32 v[47:48], null, v47, s15, 0
	v_lshlrev_b64 v[47:48], 1, v[47:48]
	v_add_co_u32 v47, s2, v11, v47
	v_add_co_ci_u32_e64 v48, null, v12, v48, s2
	s_clause 0xe
	global_load_dword v49, v[47:48], off offset:128
	global_load_dword v50, v[47:48], off
	global_load_dword v51, v[47:48], off offset:256
	global_load_dword v52, v[47:48], off offset:384
	;; [unrolled: 1-line block ×13, first 2 shown]
	s_waitcnt vmcnt(14)
	v_lshlrev_b32_e32 v48, 16, v49
	v_and_b32_e32 v49, 0xffff0000, v49
	s_waitcnt vmcnt(13)
	v_lshlrev_b32_e32 v63, 16, v50
	v_and_b32_e32 v50, 0xffff0000, v50
	s_waitcnt vmcnt(12)
	v_lshlrev_b32_e32 v64, 16, v51
	v_mul_f32_e32 v48, v8, v48
	v_mul_f32_e32 v49, v9, v49
	v_and_b32_e32 v51, 0xffff0000, v51
	v_fmac_f32_e32 v48, v6, v63
	v_fmac_f32_e32 v49, v7, v50
	s_waitcnt vmcnt(11)
	v_lshlrev_b32_e32 v50, 16, v52
	v_and_b32_e32 v52, 0xffff0000, v52
	v_fmac_f32_e32 v48, v10, v64
	v_fmac_f32_e32 v49, v13, v51
	s_waitcnt vmcnt(10)
	v_lshlrev_b32_e32 v51, 16, v53
	;; [unrolled: 5-line block ×12, first 2 shown]
	v_and_b32_e32 v47, 0xffff0000, v47
	v_fmac_f32_e32 v48, v37, v50
	v_fmac_f32_e32 v49, v39, v52
	;; [unrolled: 1-line block ×4, first 2 shown]
	v_add_f32_e32 v47, v48, v49
	ds_bpermute_b32 v48, v42, v47
	s_waitcnt lgkmcnt(0)
	v_add_f32_e32 v47, v47, v48
	ds_bpermute_b32 v48, v43, v47
	s_and_saveexec_b32 s3, vcc_lo
	s_cbranch_execz .LBB149_9
; %bb.11:                               ;   in Loop: Header=BB149_10 Depth=1
	v_add_nc_u32_e32 v49, s4, v44
	s_waitcnt lgkmcnt(0)
	v_add_f32_e32 v47, v47, v48
	v_cmp_gt_i32_e64 s2, s23, v44
	v_cvt_f32_i32_e32 v49, v49
	v_mul_f32_e32 v49, s34, v49
	v_cndmask_b32_e64 v48, 0, v49, s1
	v_max_f32_e32 v49, v38, v38
	v_fmac_f32_e32 v48, s31, v47
	v_max_f32_e32 v47, v49, v48
	v_cndmask_b32_e64 v48, 0, v48, s2
	v_cndmask_b32_e64 v38, v38, v47, s2
	ds_write_b32 v45, v48
	s_branch .LBB149_9
.LBB149_12:
	s_or_b32 exec_lo, exec_lo, s5
.LBB149_13:
	s_or_b32 exec_lo, exec_lo, s35
	v_xor_b32_e32 v1, 16, v3
	v_xor_b32_e32 v6, 8, v3
	v_max_f32_e32 v7, v38, v38
	v_xor_b32_e32 v8, 4, v3
	v_and_b32_e32 v25, 31, v0
	v_cmp_lt_i32_e32 vcc_lo, v1, v5
	v_cndmask_b32_e32 v1, v3, v1, vcc_lo
	v_cmp_lt_i32_e32 vcc_lo, v6, v5
	v_lshlrev_b32_e32 v2, 2, v1
	v_cndmask_b32_e32 v6, v3, v6, vcc_lo
	v_cmp_lt_i32_e32 vcc_lo, v8, v5
	ds_bpermute_b32 v1, v2, v38
	v_lshlrev_b32_e32 v6, 2, v6
	v_cndmask_b32_e32 v8, v3, v8, vcc_lo
	v_cmp_eq_u32_e32 vcc_lo, 0, v25
	v_lshlrev_b32_e32 v9, 2, v8
	s_waitcnt lgkmcnt(0)
	v_max_f32_e32 v1, v1, v1
	v_max_f32_e32 v1, v7, v1
	ds_bpermute_b32 v7, v6, v1
	s_waitcnt lgkmcnt(0)
	v_max_f32_e32 v7, v7, v7
	v_max_f32_e32 v1, v1, v7
	v_lshlrev_b32_e32 v7, 2, v24
	ds_bpermute_b32 v8, v9, v1
	s_and_saveexec_b32 s1, vcc_lo
	s_cbranch_execz .LBB149_15
; %bb.14:
	s_waitcnt lgkmcnt(0)
	v_max_f32_e32 v8, v8, v8
	v_max_f32_e32 v1, v1, v1
	;; [unrolled: 1-line block ×3, first 2 shown]
	ds_write_b32 v7, v1 offset:240
.LBB149_15:
	s_or_b32 exec_lo, exec_lo, s1
	v_cmp_gt_u32_e64 s1, 4, v25
	v_mov_b32_e32 v1, 0xff7fffff
	s_waitcnt lgkmcnt(0)
	v_lshlrev_b32_e32 v8, 2, v25
	s_barrier
	buffer_gl0_inv
	s_and_saveexec_b32 s2, s1
; %bb.16:
	ds_read_b32 v1, v8 offset:240
; %bb.17:
	s_or_b32 exec_lo, exec_lo, s2
	v_xor_b32_e32 v10, 2, v3
	v_xor_b32_e32 v12, 1, v3
	v_lshlrev_b32_e32 v4, 2, v4
	v_lshl_add_u32 v26, v0, 2, 0x110
	v_cmp_lt_i32_e64 s2, v10, v5
	v_cndmask_b32_e64 v10, v3, v10, s2
	v_cmp_lt_i32_e64 s2, v12, v5
	v_lshlrev_b32_e32 v10, 2, v10
	v_cndmask_b32_e64 v5, v3, v12, s2
	s_sub_i32 s2, s11, s30
	s_lshl_b32 s2, s2, 3
	s_waitcnt lgkmcnt(0)
	ds_bpermute_b32 v11, v10, v1
	v_max_f32_e32 v1, v1, v1
	v_lshlrev_b32_e32 v5, 2, v5
	s_add_i32 s2, s2, s33
	s_min_i32 s2, s2, s23
	s_sub_i32 s4, s2, s33
	v_cmp_gt_i32_e64 s2, s4, v0
	s_waitcnt lgkmcnt(0)
	v_max_f32_e32 v11, v11, v11
	v_max_f32_e32 v1, v1, v11
	ds_bpermute_b32 v11, v5, v1
	s_waitcnt lgkmcnt(0)
	v_max_f32_e32 v11, v11, v11
	v_max_f32_e32 v1, v1, v11
	ds_bpermute_b32 v1, v4, v1
	v_mov_b32_e32 v4, 0
	s_and_saveexec_b32 s5, s2
	s_cbranch_execz .LBB149_21
; %bb.18:
	v_lshl_add_u32 v11, v0, 2, 0x110
	v_mov_b32_e32 v4, 0
	v_mov_b32_e32 v12, v0
	s_mov_b32 s15, 0
	.p2align	6
.LBB149_19:                             ; =>This Inner Loop Header: Depth=1
	ds_read_b32 v13, v11
	v_add_nc_u32_e32 v12, 0x80, v12
	v_cmp_le_i32_e64 s3, s4, v12
	s_or_b32 s15, s3, s15
	s_waitcnt lgkmcnt(0)
	v_sub_f32_e32 v13, v13, v1
	v_mul_f32_e32 v13, 0x3fb8aa3b, v13
	v_exp_f32_e32 v13, v13
	ds_write_b32 v11, v13
	v_add_f32_e32 v4, v4, v13
	v_add_nc_u32_e32 v11, 0x200, v11
	s_andn2_b32 exec_lo, exec_lo, s15
	s_cbranch_execnz .LBB149_19
; %bb.20:
	s_or_b32 exec_lo, exec_lo, s15
.LBB149_21:
	s_or_b32 exec_lo, exec_lo, s5
	ds_bpermute_b32 v2, v2, v4
	s_waitcnt lgkmcnt(0)
	v_add_f32_e32 v2, v4, v2
	ds_bpermute_b32 v4, v6, v2
	s_waitcnt lgkmcnt(0)
	v_add_f32_e32 v2, v2, v4
	;; [unrolled: 3-line block ×5, first 2 shown]
	s_and_saveexec_b32 s3, vcc_lo
; %bb.22:
	ds_write_b32 v7, v2 offset:256
; %bb.23:
	s_or_b32 exec_lo, exec_lo, s3
	s_waitcnt lgkmcnt(0)
	s_barrier
	buffer_gl0_inv
	s_and_saveexec_b32 s3, s1
; %bb.24:
	ds_read_b32 v2, v8 offset:256
; %bb.25:
	s_or_b32 exec_lo, exec_lo, s3
	s_waitcnt lgkmcnt(0)
	ds_bpermute_b32 v4, v10, v2
	v_lshlrev_b32_e32 v3, 2, v3
	v_and_b32_e32 v3, 0xffffff80, v3
	s_waitcnt lgkmcnt(0)
	v_add_f32_e32 v2, v2, v4
	ds_bpermute_b32 v4, v5, v2
	s_waitcnt lgkmcnt(0)
	v_add_f32_e32 v2, v2, v4
	ds_bpermute_b32 v2, v3, v2
	s_and_saveexec_b32 s1, s2
	s_cbranch_execz .LBB149_28
; %bb.26:
	s_waitcnt lgkmcnt(0)
	v_add_f32_e32 v4, 0x358637bd, v2
	s_mov_b32 s2, 0
	v_div_scale_f32 v3, null, v4, v4, 1.0
	v_div_scale_f32 v7, vcc_lo, 1.0, v4, 1.0
	v_rcp_f32_e32 v5, v3
	v_fma_f32 v6, -v3, v5, 1.0
	v_fmac_f32_e32 v5, v6, v5
	v_mul_f32_e32 v6, v7, v5
	v_fma_f32 v8, -v3, v6, v7
	v_fmac_f32_e32 v6, v8, v5
	v_fma_f32 v3, -v3, v6, v7
	v_div_fmas_f32 v5, v3, v5, v6
	v_mov_b32_e32 v3, v26
	v_div_fixup_f32 v4, v5, v4, 1.0
	v_mov_b32_e32 v5, v0
.LBB149_27:                             ; =>This Inner Loop Header: Depth=1
	ds_read_b32 v6, v3
	v_add_nc_u32_e32 v5, 0x80, v5
	v_cmp_le_i32_e32 vcc_lo, s4, v5
	s_or_b32 s2, vcc_lo, s2
	s_waitcnt lgkmcnt(0)
	v_mul_f32_e32 v6, v4, v6
	ds_write_b32 v3, v6
	v_add_nc_u32_e32 v3, 0x200, v3
	s_andn2_b32 exec_lo, exec_lo, s2
	s_cbranch_execnz .LBB149_27
.LBB149_28:
	s_or_b32 exec_lo, exec_lo, s1
	s_mul_i32 s1, s7, s22
	s_waitcnt lgkmcnt(0)
	s_mul_i32 s4, s1, s9
	s_mov_b32 s1, exec_lo
	s_barrier
	buffer_gl0_inv
	v_cmpx_eq_u32_e32 0, v0
	s_cbranch_execz .LBB149_30
; %bb.29:
	s_ashr_i32 s5, s4, 31
	s_mul_i32 s30, s7, s6
	s_lshl_b64 s[2:3], s[4:5], 2
	v_mov_b32_e32 v3, 0
	s_add_u32 s5, s18, s2
	s_addc_u32 s6, s19, s3
	s_ashr_i32 s31, s30, 31
	s_lshl_b64 s[18:19], s[30:31], 2
	s_add_u32 s5, s5, s18
	s_addc_u32 s6, s6, s19
	s_ashr_i32 s9, s8, 31
	s_lshl_b64 s[30:31], s[8:9], 2
	s_add_u32 s34, s5, s30
	s_addc_u32 s35, s6, s31
	s_add_u32 s2, s16, s2
	s_addc_u32 s3, s17, s3
	;; [unrolled: 2-line block ×4, first 2 shown]
	global_store_dword v3, v1, s[34:35]
	global_store_dword v3, v2, s[2:3]
.LBB149_30:
	s_or_b32 exec_lo, exec_lo, s1
	v_mov_b32_e32 v30, 0
	v_mov_b32_e32 v29, 0
	;; [unrolled: 1-line block ×4, first 2 shown]
	s_and_saveexec_b32 s5, s0
	s_cbranch_execz .LBB149_44
; %bb.31:
	v_or_b32_e32 v1, 0x60, v25
	s_ashr_i32 s15, s14, 31
	v_lshlrev_b32_e32 v3, 3, v25
	s_lshl_b64 s[0:1], s[14:15], 1
	v_mov_b32_e32 v31, 0
	s_add_u32 s6, s28, s0
	v_cmp_gt_u32_e64 s0, 0x78, v1
	v_lshlrev_b32_e32 v4, 3, v1
	v_lshlrev_b64 v[1:2], 2, v[21:22]
	s_addc_u32 s9, s29, s1
	s_lshl_b64 s[2:3], s[26:27], 2
	s_add_i32 s12, s12, -1
	s_add_u32 s1, s24, s2
	s_addc_u32 s2, s25, s3
	v_add_co_u32 v22, vcc_lo, s1, v1
	v_lshl_add_u32 v32, v24, 3, s33
	v_lshl_add_u32 v33, v24, 5, 0x110
	v_add_co_ci_u32_e64 v23, null, s2, v2, vcc_lo
	v_lshlrev_b32_e32 v34, 1, v3
	v_lshlrev_b32_e32 v35, 1, v4
	v_mov_b32_e32 v27, 0
	v_mov_b32_e32 v28, 0
	;; [unrolled: 1-line block ×4, first 2 shown]
	s_mov_b32 s15, s23
	s_mov_b32 s14, 0
	s_branch .LBB149_34
.LBB149_32:                             ;   in Loop: Header=BB149_34 Depth=1
	s_or_b32 exec_lo, exec_lo, s16
	s_waitcnt vmcnt(0)
	v_and_b32_e32 v36, 0xffff0000, v13
	v_and_b32_e32 v37, 0xffff0000, v20
	v_lshlrev_b32_e32 v13, 16, v13
	v_lshlrev_b32_e32 v38, 16, v20
	v_and_b32_e32 v39, 0xffff0000, v14
	v_lshlrev_b32_e32 v14, 16, v14
	v_mul_f32_e32 v36, v37, v36
	v_and_b32_e32 v37, 0xffff0000, v19
	v_lshlrev_b32_e32 v40, 16, v19
	v_mul_f32_e32 v13, v38, v13
	v_lshlrev_b32_e32 v44, 16, v17
	v_bfe_u32 v38, v36, 16, 1
	v_mul_f32_e32 v37, v37, v39
	v_mul_f32_e32 v14, v40, v14
	v_bfe_u32 v39, v13, 16, 1
	v_or_b32_e32 v40, 0x400000, v36
	v_add3_u32 v38, v38, v36, 0x7fff
	v_cmp_u_f32_e32 vcc_lo, v36, v36
	v_or_b32_e32 v41, 0x400000, v13
	v_bfe_u32 v42, v37, 16, 1
	v_add3_u32 v39, v39, v13, 0x7fff
	v_and_b32_e32 v43, 0xffff0000, v17
	v_cndmask_b32_e32 v36, v38, v40, vcc_lo
	v_and_b32_e32 v38, 0xffff0000, v15
	v_and_b32_e32 v40, 0xffff0000, v18
	v_cmp_u_f32_e32 vcc_lo, v13, v13
	v_lshlrev_b32_e32 v15, 16, v15
	v_and_b32_e32 v36, 0xffff0000, v36
	v_mul_f32_e32 v38, v40, v38
	v_cndmask_b32_e32 v13, v39, v41, vcc_lo
	v_add3_u32 v39, v42, v37, 0x7fff
	v_or_b32_e32 v41, 0x400000, v37
	v_bfe_u32 v42, v14, 16, 1
	v_lshlrev_b32_e32 v40, 16, v18
	v_cmp_u_f32_e32 vcc_lo, v37, v37
	v_and_b32_e32 v13, 0xffff0000, v13
	v_mul_f32_e32 v15, v40, v15
	v_cndmask_b32_e32 v37, v39, v41, vcc_lo
	v_add3_u32 v39, v42, v14, 0x7fff
	v_or_b32_e32 v41, 0x400000, v14
	v_bfe_u32 v42, v38, 16, 1
	v_and_b32_e32 v40, 0xffff0000, v16
	v_lshlrev_b32_e32 v16, 16, v16
	v_cmp_u_f32_e32 vcc_lo, v14, v14
	v_and_b32_e32 v37, 0xffff0000, v37
	v_add_f32_e32 v13, v13, v36
	v_mul_f32_e32 v40, v43, v40
	v_mul_f32_e32 v16, v44, v16
	v_cndmask_b32_e32 v14, v39, v41, vcc_lo
	v_bfe_u32 v39, v15, 16, 1
	v_add3_u32 v41, v42, v38, 0x7fff
	v_or_b32_e32 v42, 0x400000, v38
	v_cmp_u_f32_e32 vcc_lo, v38, v38
	v_or_b32_e32 v43, 0x400000, v15
	v_add3_u32 v39, v39, v15, 0x7fff
	v_bfe_u32 v45, v16, 16, 1
	v_bfe_u32 v44, v40, 16, 1
	v_cndmask_b32_e32 v38, v41, v42, vcc_lo
	v_cmp_u_f32_e32 vcc_lo, v15, v15
	v_or_b32_e32 v42, 0x400000, v16
	v_add3_u32 v41, v45, v16, 0x7fff
	v_and_b32_e32 v14, 0xffff0000, v14
	v_and_b32_e32 v36, 0xffff0000, v38
	v_cndmask_b32_e32 v15, v39, v43, vcc_lo
	v_cmp_u_f32_e32 vcc_lo, v16, v16
	v_add3_u32 v39, v44, v40, 0x7fff
	v_or_b32_e32 v43, 0x400000, v40
	v_add_f32_e32 v14, v14, v37
	v_and_b32_e32 v15, 0xffff0000, v15
	v_cndmask_b32_e32 v16, v41, v42, vcc_lo
	v_cmp_u_f32_e32 vcc_lo, v40, v40
	v_add_f32_e32 v13, v14, v13
	v_add_f32_e32 v14, v15, v36
	v_and_b32_e32 v15, 0xffff0000, v16
	v_cndmask_b32_e32 v37, v39, v43, vcc_lo
	v_add_f32_e32 v13, v14, v13
	v_and_b32_e32 v16, 0xffff0000, v37
	v_add_f32_e32 v14, v15, v16
	v_add_f32_e32 v13, v14, v13
	;; [unrolled: 1-line block ×3, first 2 shown]
.LBB149_33:                             ;   in Loop: Header=BB149_34 Depth=1
	s_or_b32 exec_lo, exec_lo, s3
	s_waitcnt vmcnt(0)
	v_and_b32_e32 v13, 0xffff0000, v9
	v_and_b32_e32 v14, 0xffff0000, v20
	v_lshlrev_b32_e32 v9, 16, v9
	v_lshlrev_b32_e32 v15, 16, v20
	v_and_b32_e32 v16, 0xffff0000, v10
	v_and_b32_e32 v20, 0xffff0000, v19
	v_mul_f32_e32 v13, v14, v13
	v_lshlrev_b32_e32 v10, 16, v10
	v_mul_f32_e32 v9, v15, v9
	v_lshlrev_b32_e32 v19, 16, v19
	v_mul_f32_e32 v16, v20, v16
	v_bfe_u32 v36, v13, 16, 1
	v_or_b32_e32 v40, 0x400000, v13
	v_bfe_u32 v39, v9, 16, 1
	v_cmp_u_f32_e32 vcc_lo, v13, v13
	v_and_b32_e32 v37, 0xffff0000, v11
	v_add3_u32 v36, v36, v13, 0x7fff
	v_and_b32_e32 v38, 0xffff0000, v18
	v_or_b32_e32 v41, 0x400000, v9
	v_add3_u32 v39, v39, v9, 0x7fff
	v_mul_f32_e32 v10, v19, v10
	v_cndmask_b32_e32 v13, v36, v40, vcc_lo
	v_bfe_u32 v36, v16, 16, 1
	v_cmp_u_f32_e32 vcc_lo, v9, v9
	v_mul_f32_e32 v37, v38, v37
	v_bfe_u32 v40, v10, 16, 1
	v_lshlrev_b32_e32 v11, 16, v11
	v_add3_u32 v36, v36, v16, 0x7fff
	v_cndmask_b32_e32 v9, v39, v41, vcc_lo
	v_or_b32_e32 v39, 0x400000, v16
	v_lshlrev_b32_e32 v18, 16, v18
	v_cmp_u_f32_e32 vcc_lo, v16, v16
	v_bfe_u32 v41, v37, 16, 1
	v_and_b32_e32 v42, 0xffff0000, v17
	v_or_b32_e32 v43, 0x400000, v37
	v_mul_f32_e32 v11, v18, v11
	v_cndmask_b32_e32 v16, v36, v39, vcc_lo
	v_add3_u32 v36, v40, v10, 0x7fff
	v_or_b32_e32 v39, 0x400000, v10
	v_cmp_u_f32_e32 vcc_lo, v10, v10
	v_add3_u32 v40, v41, v37, 0x7fff
	v_and_b32_e32 v41, 0xffff0000, v12
	v_bfe_u32 v44, v11, 16, 1
	v_lshlrev_b32_e32 v12, 16, v12
	v_cndmask_b32_e32 v10, v36, v39, vcc_lo
	v_cmp_u_f32_e32 vcc_lo, v37, v37
	v_mul_f32_e32 v36, v42, v41
	v_add3_u32 v39, v44, v11, 0x7fff
	v_lshlrev_b32_e32 v17, 16, v17
	v_and_b32_e32 v9, 0xffff0000, v9
	v_cndmask_b32_e32 v37, v40, v43, vcc_lo
	v_or_b32_e32 v40, 0x400000, v11
	v_cmp_u_f32_e32 vcc_lo, v11, v11
	v_bfe_u32 v41, v36, 16, 1
	v_and_b32_e32 v13, 0xffff0000, v13
	v_and_b32_e32 v10, 0xffff0000, v10
	;; [unrolled: 1-line block ×3, first 2 shown]
	v_cndmask_b32_e32 v11, v39, v40, vcc_lo
	v_add3_u32 v39, v41, v36, 0x7fff
	v_or_b32_e32 v40, 0x400000, v36
	v_mul_f32_e32 v12, v17, v12
	v_cmp_u_f32_e32 vcc_lo, v36, v36
	v_add_f32_e32 v9, v9, v13
	v_add_f32_e32 v10, v10, v16
	v_and_b32_e32 v11, 0xffff0000, v11
	v_and_b32_e32 v13, 0xffff0000, v5
	;; [unrolled: 1-line block ×3, first 2 shown]
	v_cndmask_b32_e32 v36, v39, v40, vcc_lo
	v_bfe_u32 v39, v12, 16, 1
	v_add_f32_e32 v9, v10, v9
	v_mul_f32_e32 v10, v14, v13
	v_add_f32_e32 v11, v11, v16
	v_lshlrev_b32_e32 v5, 16, v5
	v_add3_u32 v37, v39, v12, 0x7fff
	v_or_b32_e32 v39, 0x400000, v12
	v_cmp_u_f32_e32 vcc_lo, v12, v12
	v_bfe_u32 v13, v10, 16, 1
	v_add_f32_e32 v9, v11, v9
	v_and_b32_e32 v11, 0xffff0000, v6
	v_mul_f32_e32 v5, v15, v5
	v_cndmask_b32_e32 v12, v37, v39, vcc_lo
	v_add3_u32 v13, v13, v10, 0x7fff
	v_or_b32_e32 v16, 0x400000, v10
	v_mul_f32_e32 v11, v20, v11
	v_bfe_u32 v37, v5, 16, 1
	v_cmp_u_f32_e32 vcc_lo, v10, v10
	v_lshlrev_b32_e32 v6, 16, v6
	v_or_b32_e32 v39, 0x400000, v5
	v_or_b32_e32 v40, 0x400000, v11
	v_and_b32_e32 v12, 0xffff0000, v12
	v_cndmask_b32_e32 v10, v13, v16, vcc_lo
	v_bfe_u32 v13, v11, 16, 1
	v_add3_u32 v16, v37, v5, 0x7fff
	v_and_b32_e32 v37, 0xffff0000, v7
	v_mul_f32_e32 v6, v19, v6
	v_cmp_u_f32_e32 vcc_lo, v5, v5
	v_add3_u32 v13, v13, v11, 0x7fff
	v_lshlrev_b32_e32 v7, 16, v7
	v_mul_f32_e32 v37, v38, v37
	v_and_b32_e32 v10, 0xffff0000, v10
	v_cndmask_b32_e32 v5, v16, v39, vcc_lo
	v_bfe_u32 v16, v6, 16, 1
	v_cmp_u_f32_e32 vcc_lo, v11, v11
	v_and_b32_e32 v39, 0xffff0000, v8
	v_mul_f32_e32 v7, v18, v7
	v_or_b32_e32 v41, 0x400000, v37
	v_add3_u32 v16, v16, v6, 0x7fff
	v_cndmask_b32_e32 v11, v13, v40, vcc_lo
	v_bfe_u32 v13, v37, 16, 1
	v_or_b32_e32 v40, 0x400000, v6
	v_cmp_u_f32_e32 vcc_lo, v6, v6
	v_mul_f32_e32 v39, v42, v39
	v_lshlrev_b32_e32 v8, 16, v8
	v_add3_u32 v13, v13, v37, 0x7fff
	v_and_b32_e32 v5, 0xffff0000, v5
	v_cndmask_b32_e32 v6, v16, v40, vcc_lo
	v_bfe_u32 v16, v7, 16, 1
	v_cmp_u_f32_e32 vcc_lo, v37, v37
	v_bfe_u32 v40, v39, 16, 1
	v_or_b32_e32 v37, 0x400000, v7
	v_mul_f32_e32 v8, v17, v8
	v_add3_u32 v16, v16, v7, 0x7fff
	v_cndmask_b32_e32 v13, v13, v41, vcc_lo
	v_cmp_u_f32_e32 vcc_lo, v7, v7
	v_add3_u32 v40, v40, v39, 0x7fff
	v_or_b32_e32 v41, 0x400000, v39
	v_and_b32_e32 v6, 0xffff0000, v6
	v_and_b32_e32 v11, 0xffff0000, v11
	v_cndmask_b32_e32 v7, v16, v37, vcc_lo
	v_cmp_u_f32_e32 vcc_lo, v39, v39
	v_bfe_u32 v37, v8, 16, 1
	v_add_f32_e32 v5, v5, v10
	v_add_f32_e32 v6, v6, v11
	v_and_b32_e32 v7, 0xffff0000, v7
	v_cndmask_b32_e32 v16, v40, v41, vcc_lo
	v_and_b32_e32 v40, 0xffff0000, v1
	v_and_b32_e32 v10, 0xffff0000, v13
	v_lshlrev_b32_e32 v1, 16, v1
	v_add3_u32 v37, v37, v8, 0x7fff
	v_or_b32_e32 v39, 0x400000, v8
	v_mul_f32_e32 v11, v14, v40
	v_cmp_u_f32_e32 vcc_lo, v8, v8
	v_add_f32_e32 v5, v6, v5
	v_add_f32_e32 v7, v7, v10
	v_mul_f32_e32 v1, v15, v1
	v_bfe_u32 v6, v11, 16, 1
	v_and_b32_e32 v10, 0xffff0000, v2
	v_cndmask_b32_e32 v8, v37, v39, vcc_lo
	v_or_b32_e32 v13, 0x400000, v11
	v_bfe_u32 v14, v1, 16, 1
	v_add3_u32 v6, v6, v11, 0x7fff
	v_mul_f32_e32 v10, v20, v10
	v_lshlrev_b32_e32 v2, 16, v2
	v_cmp_u_f32_e32 vcc_lo, v11, v11
	v_add3_u32 v11, v14, v1, 0x7fff
	v_and_b32_e32 v15, 0xffff0000, v3
	v_bfe_u32 v14, v10, 16, 1
	v_mul_f32_e32 v2, v19, v2
	v_cndmask_b32_e32 v6, v6, v13, vcc_lo
	v_or_b32_e32 v13, 0x400000, v1
	v_cmp_u_f32_e32 vcc_lo, v1, v1
	v_mul_f32_e32 v15, v38, v15
	v_lshlrev_b32_e32 v3, 16, v3
	v_and_b32_e32 v6, 0xffff0000, v6
	v_and_b32_e32 v36, 0xffff0000, v36
	v_cndmask_b32_e32 v1, v11, v13, vcc_lo
	v_add3_u32 v11, v14, v10, 0x7fff
	v_or_b32_e32 v13, 0x400000, v10
	v_bfe_u32 v14, v2, 16, 1
	v_cmp_u_f32_e32 vcc_lo, v10, v10
	v_mul_f32_e32 v3, v18, v3
	v_and_b32_e32 v18, 0xffff0000, v4
	v_lshlrev_b32_e32 v4, 16, v4
	v_and_b32_e32 v1, 0xffff0000, v1
	v_cndmask_b32_e32 v10, v11, v13, vcc_lo
	v_add3_u32 v11, v14, v2, 0x7fff
	v_or_b32_e32 v13, 0x400000, v2
	v_bfe_u32 v14, v15, 16, 1
	v_cmp_u_f32_e32 vcc_lo, v2, v2
	v_mul_f32_e32 v4, v17, v4
	v_or_b32_e32 v17, 0x400000, v15
	v_and_b32_e32 v10, 0xffff0000, v10
	v_add_f32_e32 v1, v1, v6
	v_cndmask_b32_e32 v2, v11, v13, vcc_lo
	v_bfe_u32 v11, v3, 16, 1
	v_add3_u32 v13, v14, v15, 0x7fff
	v_cmp_u_f32_e32 vcc_lo, v15, v15
	v_mul_f32_e32 v14, v42, v18
	v_or_b32_e32 v18, 0x400000, v3
	v_add3_u32 v11, v11, v3, 0x7fff
	v_bfe_u32 v20, v4, 16, 1
	v_cndmask_b32_e32 v13, v13, v17, vcc_lo
	v_cmp_u_f32_e32 vcc_lo, v3, v3
	v_bfe_u32 v19, v14, 16, 1
	v_or_b32_e32 v17, 0x400000, v4
	v_add3_u32 v15, v20, v4, 0x7fff
	v_and_b32_e32 v2, 0xffff0000, v2
	v_cndmask_b32_e32 v3, v11, v18, vcc_lo
	v_cmp_u_f32_e32 vcc_lo, v4, v4
	v_add3_u32 v11, v19, v14, 0x7fff
	v_or_b32_e32 v18, 0x400000, v14
	v_add_f32_e32 v2, v2, v10
	v_and_b32_e32 v3, 0xffff0000, v3
	v_cndmask_b32_e32 v4, v15, v17, vcc_lo
	v_cmp_u_f32_e32 vcc_lo, v14, v14
	v_and_b32_e32 v6, 0xffff0000, v13
	v_and_b32_e32 v8, 0xffff0000, v8
	v_add_f32_e32 v1, v2, v1
	v_add_f32_e32 v5, v7, v5
	v_cndmask_b32_e32 v10, v11, v18, vcc_lo
	v_and_b32_e32 v11, 0xffff0000, v16
	v_add_f32_e32 v2, v3, v6
	v_and_b32_e32 v3, 0xffff0000, v4
	v_add_f32_e32 v6, v12, v36
	v_and_b32_e32 v4, 0xffff0000, v10
	v_add_f32_e32 v7, v8, v11
	v_add_f32_e32 v1, v2, v1
	v_add_nc_u32_e32 v21, 4, v21
	v_add_co_u32 v22, s1, v22, 16
	v_add_f32_e32 v2, v3, v4
	v_add_f32_e32 v3, v6, v9
	;; [unrolled: 1-line block ×3, first 2 shown]
	v_cmp_le_i32_e32 vcc_lo, s11, v21
	v_add_nc_u32_e32 v32, 32, v32
	v_add_f32_e32 v1, v2, v1
	v_add_f32_e32 v28, v28, v3
	;; [unrolled: 1-line block ×3, first 2 shown]
	v_add_nc_u32_e32 v33, 0x80, v33
	v_add_co_ci_u32_e64 v23, null, 0, v23, s1
	v_add_f32_e32 v30, v30, v1
	s_or_b32 s14, vcc_lo, s14
	s_andn2_b32 exec_lo, exec_lo, s14
	s_cbranch_execz .LBB149_43
.LBB149_34:                             ; =>This Inner Loop Header: Depth=1
	global_load_dword v1, v[22:23], off
	v_cmp_eq_u32_e64 s1, s12, v21
	s_waitcnt vmcnt(0)
	v_mad_i64_i32 v[1:2], null, v1, s13, 0
	v_lshlrev_b64 v[1:2], 1, v[1:2]
	v_add_co_u32 v36, vcc_lo, s6, v1
	v_add_co_ci_u32_e64 v37, null, s9, v2, vcc_lo
	v_add_co_u32 v9, vcc_lo, v36, v34
	v_add_co_ci_u32_e64 v10, null, 0, v37, vcc_lo
	global_load_dwordx4 v[1:4], v[9:10], off
	ds_read2_b64 v[17:20], v33 offset1:1
	ds_read2_b64 v[13:16], v33 offset0:2 offset1:3
	s_and_saveexec_b32 s16, s1
	s_cbranch_execnz .LBB149_41
; %bb.35:                               ;   in Loop: Header=BB149_34 Depth=1
	s_or_b32 exec_lo, exec_lo, s16
	global_load_dwordx4 v[5:8], v[9:10], off offset:512
	s_and_saveexec_b32 s16, s1
	s_cbranch_execnz .LBB149_42
.LBB149_36:                             ;   in Loop: Header=BB149_34 Depth=1
	s_or_b32 exec_lo, exec_lo, s16
	global_load_dwordx4 v[9:12], v[9:10], off offset:1024
	s_and_saveexec_b32 s16, s1
	s_cbranch_execz .LBB149_38
.LBB149_37:                             ;   in Loop: Header=BB149_34 Depth=1
	v_add_nc_u32_e32 v38, 1, v32
	v_or_b32_e32 v39, 3, v32
	v_cmp_gt_i32_e32 vcc_lo, s23, v32
	v_or_b32_e32 v40, 2, v32
	v_or_b32_e32 v42, 7, v32
	v_cmp_gt_i32_e64 s2, s15, v39
	s_waitcnt vmcnt(0)
	v_cndmask_b32_e32 v41, 0, v9, vcc_lo
	v_cmp_gt_i32_e32 vcc_lo, s15, v38
	v_cmp_gt_i32_e64 s3, s23, v40
	v_or_b32_e32 v39, 5, v32
	v_or_b32_e32 v40, 4, v32
	v_cndmask_b32_sdwa v9, v31, v9, vcc_lo dst_sel:DWORD dst_unused:UNUSED_PAD src0_sel:DWORD src1_sel:WORD_1
	s_mov_b32 vcc_lo, s2
	v_cndmask_b32_e64 v38, 0, v10, s3
	v_cndmask_b32_sdwa v10, v31, v10, vcc_lo dst_sel:DWORD dst_unused:UNUSED_PAD src0_sel:DWORD src1_sel:WORD_1
	v_cmp_gt_i32_e32 vcc_lo, s15, v39
	v_cmp_gt_i32_e64 s2, s23, v40
	v_or_b32_e32 v40, 6, v32
	v_perm_b32 v9, v9, v41, 0x5040100
	v_perm_b32 v10, v10, v38, 0x5040100
	v_cndmask_b32_e64 v39, 0, v11, s2
	v_cmp_gt_i32_e64 s2, s15, v42
	v_cndmask_b32_sdwa v11, v31, v11, vcc_lo dst_sel:DWORD dst_unused:UNUSED_PAD src0_sel:DWORD src1_sel:WORD_1
	v_cmp_gt_i32_e32 vcc_lo, s23, v40
	v_perm_b32 v11, v11, v39, 0x5040100
	v_cndmask_b32_e32 v40, 0, v12, vcc_lo
	s_mov_b32 vcc_lo, s2
	v_cndmask_b32_sdwa v12, v31, v12, vcc_lo dst_sel:DWORD dst_unused:UNUSED_PAD src0_sel:DWORD src1_sel:WORD_1
	v_perm_b32 v12, v12, v40, 0x5040100
.LBB149_38:                             ;   in Loop: Header=BB149_34 Depth=1
	s_or_b32 exec_lo, exec_lo, s16
	s_waitcnt lgkmcnt(1)
	v_bfe_u32 v38, v17, 16, 1
	v_bfe_u32 v39, v18, 16, 1
	v_or_b32_e32 v40, 0x400000, v17
	v_cmp_u_f32_e32 vcc_lo, v17, v17
	v_or_b32_e32 v41, 0x400000, v18
	v_add3_u32 v38, v38, v17, 0x7fff
	v_bfe_u32 v42, v19, 16, 1
	v_add3_u32 v39, v39, v18, 0x7fff
	v_bfe_u32 v43, v20, 16, 1
	v_cndmask_b32_e32 v17, v38, v40, vcc_lo
	v_cmp_u_f32_e32 vcc_lo, v18, v18
	v_add3_u32 v38, v42, v19, 0x7fff
	s_waitcnt lgkmcnt(0)
	v_bfe_u32 v40, v13, 16, 1
	v_or_b32_e32 v42, 0x400000, v20
	v_cndmask_b32_e32 v18, v39, v41, vcc_lo
	v_or_b32_e32 v39, 0x400000, v19
	v_cmp_u_f32_e32 vcc_lo, v19, v19
	v_add3_u32 v41, v43, v20, 0x7fff
	v_or_b32_e32 v43, 0x400000, v16
	v_cndmask_b32_e32 v19, v38, v39, vcc_lo
	v_cmp_u_f32_e32 vcc_lo, v20, v20
	v_add3_u32 v38, v40, v13, 0x7fff
	v_or_b32_e32 v39, 0x400000, v13
	v_bfe_u32 v20, v14, 16, 1
	v_cndmask_b32_e32 v40, v41, v42, vcc_lo
	v_cmp_u_f32_e32 vcc_lo, v13, v13
	v_bfe_u32 v41, v15, 16, 1
	v_add3_u32 v20, v20, v14, 0x7fff
	v_or_b32_e32 v42, 0x400000, v15
	v_perm_b32 v19, v40, v19, 0x7060302
	v_cndmask_b32_e32 v13, v38, v39, vcc_lo
	v_or_b32_e32 v39, 0x400000, v14
	v_cmp_u_f32_e32 vcc_lo, v14, v14
	v_bfe_u32 v38, v16, 16, 1
	v_add3_u32 v41, v41, v15, 0x7fff
	v_cndmask_b32_e32 v14, v20, v39, vcc_lo
	v_cmp_u_f32_e32 vcc_lo, v15, v15
	v_add3_u32 v38, v38, v16, 0x7fff
	v_perm_b32 v20, v18, v17, 0x7060302
	v_perm_b32 v18, v14, v13, 0x7060302
	v_cndmask_b32_e32 v15, v41, v42, vcc_lo
	v_cmp_u_f32_e32 vcc_lo, v16, v16
	v_cndmask_b32_e32 v16, v38, v43, vcc_lo
	v_perm_b32 v17, v16, v15, 0x7060302
	s_and_saveexec_b32 s3, s0
	s_cbranch_execz .LBB149_33
; %bb.39:                               ;   in Loop: Header=BB149_34 Depth=1
	v_add_co_u32 v13, vcc_lo, v36, v35
	v_add_co_ci_u32_e64 v14, null, 0, v37, vcc_lo
	global_load_dwordx4 v[13:16], v[13:14], off
	s_and_saveexec_b32 s16, s1
	s_cbranch_execz .LBB149_32
; %bb.40:                               ;   in Loop: Header=BB149_34 Depth=1
	v_add_nc_u32_e32 v36, 1, v32
	v_or_b32_e32 v37, 3, v32
	v_cmp_gt_i32_e32 vcc_lo, s23, v32
	v_or_b32_e32 v38, 2, v32
	v_or_b32_e32 v40, 7, v32
	v_cmp_gt_i32_e64 s1, s15, v37
	s_waitcnt vmcnt(0)
	v_cndmask_b32_e32 v39, 0, v13, vcc_lo
	v_cmp_gt_i32_e32 vcc_lo, s15, v36
	v_cmp_gt_i32_e64 s2, s23, v38
	v_or_b32_e32 v37, 5, v32
	v_or_b32_e32 v38, 4, v32
	v_cndmask_b32_sdwa v13, v31, v13, vcc_lo dst_sel:DWORD dst_unused:UNUSED_PAD src0_sel:DWORD src1_sel:WORD_1
	s_mov_b32 vcc_lo, s1
	v_cndmask_b32_e64 v36, 0, v14, s2
	v_cndmask_b32_sdwa v14, v31, v14, vcc_lo dst_sel:DWORD dst_unused:UNUSED_PAD src0_sel:DWORD src1_sel:WORD_1
	v_cmp_gt_i32_e32 vcc_lo, s15, v37
	v_cmp_gt_i32_e64 s1, s23, v38
	v_or_b32_e32 v38, 6, v32
	v_perm_b32 v13, v13, v39, 0x5040100
	v_perm_b32 v14, v14, v36, 0x5040100
	v_cndmask_b32_e64 v37, 0, v15, s1
	v_cmp_gt_i32_e64 s1, s15, v40
	v_cndmask_b32_sdwa v15, v31, v15, vcc_lo dst_sel:DWORD dst_unused:UNUSED_PAD src0_sel:DWORD src1_sel:WORD_1
	v_cmp_gt_i32_e32 vcc_lo, s23, v38
	v_perm_b32 v15, v15, v37, 0x5040100
	v_cndmask_b32_e32 v38, 0, v16, vcc_lo
	s_mov_b32 vcc_lo, s1
	v_cndmask_b32_sdwa v16, v31, v16, vcc_lo dst_sel:DWORD dst_unused:UNUSED_PAD src0_sel:DWORD src1_sel:WORD_1
	v_perm_b32 v16, v16, v38, 0x5040100
	s_branch .LBB149_32
.LBB149_41:                             ;   in Loop: Header=BB149_34 Depth=1
	v_add_nc_u32_e32 v5, 1, v32
	v_or_b32_e32 v6, 3, v32
	v_cmp_gt_i32_e32 vcc_lo, s23, v32
	v_or_b32_e32 v7, 2, v32
	v_or_b32_e32 v11, 7, v32
	v_cmp_gt_i32_e64 s2, s15, v6
	s_waitcnt vmcnt(0)
	v_cndmask_b32_e32 v8, 0, v1, vcc_lo
	v_cmp_gt_i32_e32 vcc_lo, s15, v5
	v_cmp_gt_i32_e64 s3, s23, v7
	v_or_b32_e32 v6, 5, v32
	v_or_b32_e32 v7, 4, v32
	v_cndmask_b32_sdwa v1, v31, v1, vcc_lo dst_sel:DWORD dst_unused:UNUSED_PAD src0_sel:DWORD src1_sel:WORD_1
	s_mov_b32 vcc_lo, s2
	v_cndmask_b32_e64 v5, 0, v2, s3
	v_cndmask_b32_sdwa v2, v31, v2, vcc_lo dst_sel:DWORD dst_unused:UNUSED_PAD src0_sel:DWORD src1_sel:WORD_1
	v_cmp_gt_i32_e32 vcc_lo, s15, v6
	v_cmp_gt_i32_e64 s2, s23, v7
	v_or_b32_e32 v7, 6, v32
	v_perm_b32 v1, v1, v8, 0x5040100
	v_perm_b32 v2, v2, v5, 0x5040100
	v_cndmask_b32_e64 v6, 0, v3, s2
	v_cmp_gt_i32_e64 s2, s15, v11
	v_cndmask_b32_sdwa v3, v31, v3, vcc_lo dst_sel:DWORD dst_unused:UNUSED_PAD src0_sel:DWORD src1_sel:WORD_1
	v_cmp_gt_i32_e32 vcc_lo, s23, v7
	v_perm_b32 v3, v3, v6, 0x5040100
	v_cndmask_b32_e32 v7, 0, v4, vcc_lo
	s_mov_b32 vcc_lo, s2
	v_cndmask_b32_sdwa v4, v31, v4, vcc_lo dst_sel:DWORD dst_unused:UNUSED_PAD src0_sel:DWORD src1_sel:WORD_1
	v_perm_b32 v4, v4, v7, 0x5040100
	s_or_b32 exec_lo, exec_lo, s16
	global_load_dwordx4 v[5:8], v[9:10], off offset:512
	s_and_saveexec_b32 s16, s1
	s_cbranch_execz .LBB149_36
.LBB149_42:                             ;   in Loop: Header=BB149_34 Depth=1
	v_add_nc_u32_e32 v11, 1, v32
	v_or_b32_e32 v12, 3, v32
	v_cmp_gt_i32_e32 vcc_lo, s23, v32
	v_or_b32_e32 v38, 2, v32
	v_or_b32_e32 v40, 7, v32
	v_cmp_gt_i32_e64 s2, s15, v12
	s_waitcnt vmcnt(0)
	v_cndmask_b32_e32 v39, 0, v5, vcc_lo
	v_cmp_gt_i32_e32 vcc_lo, s15, v11
	v_cmp_gt_i32_e64 s3, s23, v38
	v_or_b32_e32 v12, 5, v32
	v_or_b32_e32 v38, 4, v32
	v_cndmask_b32_sdwa v5, v31, v5, vcc_lo dst_sel:DWORD dst_unused:UNUSED_PAD src0_sel:DWORD src1_sel:WORD_1
	s_mov_b32 vcc_lo, s2
	v_cndmask_b32_e64 v11, 0, v6, s3
	v_cndmask_b32_sdwa v6, v31, v6, vcc_lo dst_sel:DWORD dst_unused:UNUSED_PAD src0_sel:DWORD src1_sel:WORD_1
	v_cmp_gt_i32_e32 vcc_lo, s15, v12
	v_cmp_gt_i32_e64 s2, s23, v38
	v_or_b32_e32 v38, 6, v32
	v_perm_b32 v5, v5, v39, 0x5040100
	v_perm_b32 v6, v6, v11, 0x5040100
	v_cndmask_b32_e64 v12, 0, v7, s2
	v_cmp_gt_i32_e64 s2, s15, v40
	v_cndmask_b32_sdwa v7, v31, v7, vcc_lo dst_sel:DWORD dst_unused:UNUSED_PAD src0_sel:DWORD src1_sel:WORD_1
	v_cmp_gt_i32_e32 vcc_lo, s23, v38
	v_perm_b32 v7, v7, v12, 0x5040100
	v_cndmask_b32_e32 v38, 0, v8, vcc_lo
	s_mov_b32 vcc_lo, s2
	v_cndmask_b32_sdwa v8, v31, v8, vcc_lo dst_sel:DWORD dst_unused:UNUSED_PAD src0_sel:DWORD src1_sel:WORD_1
	v_perm_b32 v8, v8, v38, 0x5040100
	s_or_b32 exec_lo, exec_lo, s16
	global_load_dwordx4 v[9:12], v[9:10], off offset:1024
	s_and_saveexec_b32 s16, s1
	s_cbranch_execnz .LBB149_37
	s_branch .LBB149_38
.LBB149_43:
	s_or_b32 exec_lo, exec_lo, s14
.LBB149_44:
	s_or_b32 exec_lo, exec_lo, s5
	s_movk_i32 s0, 0x1e0
	v_and_b32_e32 v1, 0x3c0, v0
	v_mad_u32_u24 v4, v24, s0, 0x110
	v_or_b32_e32 v3, 0x60, v0
	s_mov_b32 s0, exec_lo
	s_waitcnt_vscnt null, 0x0
	s_barrier
	buffer_gl0_inv
	v_cmpx_eq_u32_e32 64, v1
	s_cbranch_execz .LBB149_47
; %bb.45:
	v_add_nc_u32_e32 v1, 0xfffffc40, v4
	v_cmp_gt_u32_e32 vcc_lo, 0x78, v3
	v_lshl_add_u32 v2, v25, 2, v1
	ds_write2_b32 v2, v30, v29 offset1:32
	ds_write_b32 v2, v28 offset:256
	s_and_b32 exec_lo, exec_lo, vcc_lo
; %bb.46:
	v_lshl_add_u32 v1, v3, 2, v1
	ds_write_b32 v1, v27
.LBB149_47:
	s_or_b32 exec_lo, exec_lo, s0
	v_lshl_add_u32 v5, v25, 2, v4
	s_mov_b32 s0, exec_lo
	s_waitcnt lgkmcnt(0)
	s_barrier
	buffer_gl0_inv
	v_cmpx_gt_u32_e32 64, v0
	s_cbranch_execz .LBB149_51
; %bb.48:
	v_lshl_or_b32 v1, v0, 2, 0x80
	s_mov_b32 s1, exec_lo
	v_add_nc_u32_e32 v6, v4, v1
	ds_read2st64_b32 v[1:2], v5 offset1:1
	ds_read_b32 v6, v6
	v_cmpx_gt_u32_e32 0x78, v3
	s_cbranch_execz .LBB149_50
; %bb.49:
	v_lshl_add_u32 v7, v3, 2, v4
	ds_read_b32 v7, v7
	s_waitcnt lgkmcnt(0)
	v_add_f32_e32 v27, v27, v7
.LBB149_50:
	s_or_b32 exec_lo, exec_lo, s1
	s_waitcnt lgkmcnt(1)
	v_add_f32_e32 v30, v30, v1
	s_waitcnt lgkmcnt(0)
	v_add_f32_e32 v29, v29, v6
	v_add_f32_e32 v28, v28, v2
.LBB149_51:
	s_or_b32 exec_lo, exec_lo, s0
	v_and_b32_e32 v1, 0x3e0, v0
	s_mov_b32 s0, exec_lo
	s_barrier
	buffer_gl0_inv
	v_cmpx_eq_u32_e32 32, v1
	s_cbranch_execz .LBB149_54
; %bb.52:
	v_lshl_add_u32 v1, v25, 2, 0x110
	v_cmp_gt_u32_e32 vcc_lo, 0x78, v3
	ds_write_b32 v1, v30
	ds_write_b32 v26, v29
	ds_write_b32 v1, v28 offset:256
	s_and_b32 exec_lo, exec_lo, vcc_lo
; %bb.53:
	v_lshl_add_u32 v1, v3, 2, 0x110
	ds_write_b32 v1, v27
.LBB149_54:
	s_or_b32 exec_lo, exec_lo, s0
	v_cmp_gt_u32_e32 vcc_lo, 32, v0
	s_waitcnt lgkmcnt(0)
	s_barrier
	buffer_gl0_inv
	s_and_saveexec_b32 s1, vcc_lo
	s_cbranch_execz .LBB149_58
; %bb.55:
	v_lshl_add_u32 v6, v0, 2, v4
	s_mov_b32 s2, exec_lo
	ds_read_b32 v4, v5
	ds_read2_b32 v[1:2], v6 offset0:32 offset1:64
	v_cmpx_gt_u32_e32 0x78, v3
	s_cbranch_execz .LBB149_57
; %bb.56:
	ds_read_b32 v5, v6 offset:384
	s_waitcnt lgkmcnt(0)
	v_add_f32_e32 v27, v27, v5
.LBB149_57:
	s_or_b32 exec_lo, exec_lo, s2
	s_waitcnt lgkmcnt(1)
	v_add_f32_e32 v30, v30, v4
	s_waitcnt lgkmcnt(0)
	v_add_f32_e32 v29, v29, v1
	v_add_f32_e32 v28, v28, v2
.LBB149_58:
	s_or_b32 exec_lo, exec_lo, s1
	s_barrier
	buffer_gl0_inv
	s_and_saveexec_b32 s0, vcc_lo
	s_cbranch_execz .LBB149_61
; %bb.59:
	v_bfe_u32 v1, v30, 16, 1
	v_bfe_u32 v2, v29, 16, 1
	v_or_b32_e32 v5, 0x400000, v30
	v_cmp_u_f32_e32 vcc_lo, v30, v30
	s_mul_i32 s0, s4, 0x78
	v_add3_u32 v1, v1, v30, 0x7fff
	s_ashr_i32 s1, s0, 31
	v_bfe_u32 v4, v28, 16, 1
	s_lshl_b64 s[0:1], s[0:1], 1
	v_add3_u32 v2, v2, v29, 0x7fff
	v_or_b32_e32 v6, 0x400000, v29
	v_cndmask_b32_e32 v1, v1, v5, vcc_lo
	v_cmp_u_f32_e32 vcc_lo, v29, v29
	s_mul_i32 s2, s7, s10
	s_add_u32 s4, s20, s0
	s_addc_u32 s1, s21, s1
	s_ashr_i32 s3, s2, 31
	v_add3_u32 v4, v4, v28, 0x7fff
	s_lshl_b64 s[2:3], s[2:3], 1
	v_or_b32_e32 v7, 0x400000, v28
	v_cndmask_b32_e32 v2, v2, v6, vcc_lo
	v_cmp_u_f32_e32 vcc_lo, v28, v28
	s_mul_i32 s0, s8, 0x78
	s_add_u32 s2, s4, s2
	s_addc_u32 s3, s1, s3
	s_ashr_i32 s1, s0, 31
	v_lshlrev_b32_e32 v0, 1, v0
	s_lshl_b64 s[0:1], s[0:1], 1
	v_cndmask_b32_e32 v4, v4, v7, vcc_lo
	v_cmp_gt_u32_e32 vcc_lo, 0x78, v3
	s_add_u32 s0, s2, s0
	s_addc_u32 s1, s3, s1
	global_store_short_d16_hi v0, v1, s[0:1]
	global_store_short_d16_hi v0, v2, s[0:1] offset:64
	global_store_short_d16_hi v0, v4, s[0:1] offset:128
	s_and_b32 exec_lo, exec_lo, vcc_lo
	s_cbranch_execz .LBB149_61
; %bb.60:
	v_bfe_u32 v1, v27, 16, 1
	v_or_b32_e32 v2, 0x400000, v27
	v_cmp_u_f32_e32 vcc_lo, v27, v27
	v_add_co_u32 v0, s0, s0, v0
	v_add3_u32 v3, v1, v27, 0x7fff
	v_add_co_ci_u32_e64 v1, null, s1, 0, s0
	v_cndmask_b32_e32 v2, v3, v2, vcc_lo
	global_store_short_d16_hi v[0:1], v2, off offset:192
.LBB149_61:
	s_endpgm
	.section	.rodata,"a",@progbits
	.p2align	6, 0x0
	.amdhsa_kernel _ZN4vllm25paged_attention_v2_kernelI14__hip_bfloat16S1_Li120ELi8ELi128ELNS_18Fp8KVCacheDataTypeE0ELb0ELi512EEEvPfS3_PT_PKS4_PKT0_SA_ifPKiSC_iPKfiiiSE_SE_iiiii
		.amdhsa_group_segment_fixed_size 272
		.amdhsa_private_segment_fixed_size 0
		.amdhsa_kernarg_size 400
		.amdhsa_user_sgpr_count 6
		.amdhsa_user_sgpr_private_segment_buffer 1
		.amdhsa_user_sgpr_dispatch_ptr 0
		.amdhsa_user_sgpr_queue_ptr 0
		.amdhsa_user_sgpr_kernarg_segment_ptr 1
		.amdhsa_user_sgpr_dispatch_id 0
		.amdhsa_user_sgpr_flat_scratch_init 0
		.amdhsa_user_sgpr_private_segment_size 0
		.amdhsa_wavefront_size32 1
		.amdhsa_uses_dynamic_stack 0
		.amdhsa_system_sgpr_private_segment_wavefront_offset 0
		.amdhsa_system_sgpr_workgroup_id_x 1
		.amdhsa_system_sgpr_workgroup_id_y 1
		.amdhsa_system_sgpr_workgroup_id_z 1
		.amdhsa_system_sgpr_workgroup_info 0
		.amdhsa_system_vgpr_workitem_id 0
		.amdhsa_next_free_vgpr 65
		.amdhsa_next_free_sgpr 36
		.amdhsa_reserve_vcc 1
		.amdhsa_reserve_flat_scratch 0
		.amdhsa_float_round_mode_32 0
		.amdhsa_float_round_mode_16_64 0
		.amdhsa_float_denorm_mode_32 3
		.amdhsa_float_denorm_mode_16_64 3
		.amdhsa_dx10_clamp 1
		.amdhsa_ieee_mode 1
		.amdhsa_fp16_overflow 0
		.amdhsa_workgroup_processor_mode 1
		.amdhsa_memory_ordered 1
		.amdhsa_forward_progress 1
		.amdhsa_shared_vgpr_count 0
		.amdhsa_exception_fp_ieee_invalid_op 0
		.amdhsa_exception_fp_denorm_src 0
		.amdhsa_exception_fp_ieee_div_zero 0
		.amdhsa_exception_fp_ieee_overflow 0
		.amdhsa_exception_fp_ieee_underflow 0
		.amdhsa_exception_fp_ieee_inexact 0
		.amdhsa_exception_int_div_zero 0
	.end_amdhsa_kernel
	.section	.text._ZN4vllm25paged_attention_v2_kernelI14__hip_bfloat16S1_Li120ELi8ELi128ELNS_18Fp8KVCacheDataTypeE0ELb0ELi512EEEvPfS3_PT_PKS4_PKT0_SA_ifPKiSC_iPKfiiiSE_SE_iiiii,"axG",@progbits,_ZN4vllm25paged_attention_v2_kernelI14__hip_bfloat16S1_Li120ELi8ELi128ELNS_18Fp8KVCacheDataTypeE0ELb0ELi512EEEvPfS3_PT_PKS4_PKT0_SA_ifPKiSC_iPKfiiiSE_SE_iiiii,comdat
.Lfunc_end149:
	.size	_ZN4vllm25paged_attention_v2_kernelI14__hip_bfloat16S1_Li120ELi8ELi128ELNS_18Fp8KVCacheDataTypeE0ELb0ELi512EEEvPfS3_PT_PKS4_PKT0_SA_ifPKiSC_iPKfiiiSE_SE_iiiii, .Lfunc_end149-_ZN4vllm25paged_attention_v2_kernelI14__hip_bfloat16S1_Li120ELi8ELi128ELNS_18Fp8KVCacheDataTypeE0ELb0ELi512EEEvPfS3_PT_PKS4_PKT0_SA_ifPKiSC_iPKfiiiSE_SE_iiiii
                                        ; -- End function
	.set _ZN4vllm25paged_attention_v2_kernelI14__hip_bfloat16S1_Li120ELi8ELi128ELNS_18Fp8KVCacheDataTypeE0ELb0ELi512EEEvPfS3_PT_PKS4_PKT0_SA_ifPKiSC_iPKfiiiSE_SE_iiiii.num_vgpr, 65
	.set _ZN4vllm25paged_attention_v2_kernelI14__hip_bfloat16S1_Li120ELi8ELi128ELNS_18Fp8KVCacheDataTypeE0ELb0ELi512EEEvPfS3_PT_PKS4_PKT0_SA_ifPKiSC_iPKfiiiSE_SE_iiiii.num_agpr, 0
	.set _ZN4vllm25paged_attention_v2_kernelI14__hip_bfloat16S1_Li120ELi8ELi128ELNS_18Fp8KVCacheDataTypeE0ELb0ELi512EEEvPfS3_PT_PKS4_PKT0_SA_ifPKiSC_iPKfiiiSE_SE_iiiii.numbered_sgpr, 36
	.set _ZN4vllm25paged_attention_v2_kernelI14__hip_bfloat16S1_Li120ELi8ELi128ELNS_18Fp8KVCacheDataTypeE0ELb0ELi512EEEvPfS3_PT_PKS4_PKT0_SA_ifPKiSC_iPKfiiiSE_SE_iiiii.num_named_barrier, 0
	.set _ZN4vllm25paged_attention_v2_kernelI14__hip_bfloat16S1_Li120ELi8ELi128ELNS_18Fp8KVCacheDataTypeE0ELb0ELi512EEEvPfS3_PT_PKS4_PKT0_SA_ifPKiSC_iPKfiiiSE_SE_iiiii.private_seg_size, 0
	.set _ZN4vllm25paged_attention_v2_kernelI14__hip_bfloat16S1_Li120ELi8ELi128ELNS_18Fp8KVCacheDataTypeE0ELb0ELi512EEEvPfS3_PT_PKS4_PKT0_SA_ifPKiSC_iPKfiiiSE_SE_iiiii.uses_vcc, 1
	.set _ZN4vllm25paged_attention_v2_kernelI14__hip_bfloat16S1_Li120ELi8ELi128ELNS_18Fp8KVCacheDataTypeE0ELb0ELi512EEEvPfS3_PT_PKS4_PKT0_SA_ifPKiSC_iPKfiiiSE_SE_iiiii.uses_flat_scratch, 0
	.set _ZN4vllm25paged_attention_v2_kernelI14__hip_bfloat16S1_Li120ELi8ELi128ELNS_18Fp8KVCacheDataTypeE0ELb0ELi512EEEvPfS3_PT_PKS4_PKT0_SA_ifPKiSC_iPKfiiiSE_SE_iiiii.has_dyn_sized_stack, 0
	.set _ZN4vllm25paged_attention_v2_kernelI14__hip_bfloat16S1_Li120ELi8ELi128ELNS_18Fp8KVCacheDataTypeE0ELb0ELi512EEEvPfS3_PT_PKS4_PKT0_SA_ifPKiSC_iPKfiiiSE_SE_iiiii.has_recursion, 0
	.set _ZN4vllm25paged_attention_v2_kernelI14__hip_bfloat16S1_Li120ELi8ELi128ELNS_18Fp8KVCacheDataTypeE0ELb0ELi512EEEvPfS3_PT_PKS4_PKT0_SA_ifPKiSC_iPKfiiiSE_SE_iiiii.has_indirect_call, 0
	.section	.AMDGPU.csdata,"",@progbits
; Kernel info:
; codeLenInByte = 7124
; TotalNumSgprs: 38
; NumVgprs: 65
; ScratchSize: 0
; MemoryBound: 0
; FloatMode: 240
; IeeeMode: 1
; LDSByteSize: 272 bytes/workgroup (compile time only)
; SGPRBlocks: 0
; VGPRBlocks: 8
; NumSGPRsForWavesPerEU: 38
; NumVGPRsForWavesPerEU: 65
; Occupancy: 12
; WaveLimiterHint : 1
; COMPUTE_PGM_RSRC2:SCRATCH_EN: 0
; COMPUTE_PGM_RSRC2:USER_SGPR: 6
; COMPUTE_PGM_RSRC2:TRAP_HANDLER: 0
; COMPUTE_PGM_RSRC2:TGID_X_EN: 1
; COMPUTE_PGM_RSRC2:TGID_Y_EN: 1
; COMPUTE_PGM_RSRC2:TGID_Z_EN: 1
; COMPUTE_PGM_RSRC2:TIDIG_COMP_CNT: 0
	.section	.text._ZN4vllm25paged_attention_v2_kernelI14__hip_bfloat16S1_Li128ELi8ELi128ELNS_18Fp8KVCacheDataTypeE0ELb0ELi512EEEvPfS3_PT_PKS4_PKT0_SA_ifPKiSC_iPKfiiiSE_SE_iiiii,"axG",@progbits,_ZN4vllm25paged_attention_v2_kernelI14__hip_bfloat16S1_Li128ELi8ELi128ELNS_18Fp8KVCacheDataTypeE0ELb0ELi512EEEvPfS3_PT_PKS4_PKT0_SA_ifPKiSC_iPKfiiiSE_SE_iiiii,comdat
	.protected	_ZN4vllm25paged_attention_v2_kernelI14__hip_bfloat16S1_Li128ELi8ELi128ELNS_18Fp8KVCacheDataTypeE0ELb0ELi512EEEvPfS3_PT_PKS4_PKT0_SA_ifPKiSC_iPKfiiiSE_SE_iiiii ; -- Begin function _ZN4vllm25paged_attention_v2_kernelI14__hip_bfloat16S1_Li128ELi8ELi128ELNS_18Fp8KVCacheDataTypeE0ELb0ELi512EEEvPfS3_PT_PKS4_PKT0_SA_ifPKiSC_iPKfiiiSE_SE_iiiii
	.globl	_ZN4vllm25paged_attention_v2_kernelI14__hip_bfloat16S1_Li128ELi8ELi128ELNS_18Fp8KVCacheDataTypeE0ELb0ELi512EEEvPfS3_PT_PKS4_PKT0_SA_ifPKiSC_iPKfiiiSE_SE_iiiii
	.p2align	8
	.type	_ZN4vllm25paged_attention_v2_kernelI14__hip_bfloat16S1_Li128ELi8ELi128ELNS_18Fp8KVCacheDataTypeE0ELb0ELi512EEEvPfS3_PT_PKS4_PKT0_SA_ifPKiSC_iPKfiiiSE_SE_iiiii,@function
_ZN4vllm25paged_attention_v2_kernelI14__hip_bfloat16S1_Li128ELi8ELi128ELNS_18Fp8KVCacheDataTypeE0ELb0ELi512EEEvPfS3_PT_PKS4_PKT0_SA_ifPKiSC_iPKfiiiSE_SE_iiiii: ; @_ZN4vllm25paged_attention_v2_kernelI14__hip_bfloat16S1_Li128ELi8ELi128ELNS_18Fp8KVCacheDataTypeE0ELb0ELi512EEEvPfS3_PT_PKS4_PKT0_SA_ifPKiSC_iPKfiiiSE_SE_iiiii
; %bb.0:
	s_load_dwordx2 s[0:1], s[4:5], 0x40
	s_mov_b32 s22, s7
	s_ashr_i32 s23, s7, 31
	s_lshl_b64 s[2:3], s[22:23], 2
	s_waitcnt lgkmcnt(0)
	s_add_u32 s0, s0, s2
	s_addc_u32 s1, s1, s3
	s_lshl_b32 s33, s8, 9
	s_load_dword s23, s[0:1], 0x0
	s_waitcnt lgkmcnt(0)
	s_cmp_ge_i32 s33, s23
	s_cbranch_scc1 .LBB150_52
; %bb.1:
	s_clause 0x1
	s_load_dword s9, s[4:5], 0x90
	s_load_dwordx2 s[30:31], s[4:5], 0x30
	s_mov_b32 s34, 0
	s_waitcnt lgkmcnt(0)
	s_abs_i32 s3, s9
	s_abs_i32 s0, s30
	v_cvt_f32_u32_e32 v1, s0
	s_sub_i32 s2, 0, s0
	v_rcp_iflag_f32_e32 v1, v1
	v_mul_f32_e32 v1, 0x4f7ffffe, v1
	v_cvt_u32_f32_e32 v1, v1
	v_readfirstlane_b32 s1, v1
	s_mul_i32 s2, s2, s1
	s_mul_hi_u32 s2, s1, s2
	s_add_i32 s1, s1, s2
	s_xor_b32 s2, s9, s30
	s_mul_hi_u32 s1, s3, s1
	s_ashr_i32 s2, s2, 31
	s_mul_i32 s7, s1, s0
	s_sub_i32 s3, s3, s7
	s_add_i32 s7, s1, 1
	s_sub_i32 s10, s3, s0
	s_cmp_ge_u32 s3, s0
	s_cselect_b32 s1, s7, s1
	s_cselect_b32 s3, s10, s3
	s_add_i32 s7, s1, 1
	s_cmp_ge_u32 s3, s0
	s_cselect_b32 s0, s7, s1
	s_abs_i32 s16, s6
	s_xor_b32 s0, s0, s2
	s_sub_i32 s10, s0, s2
	s_load_dwordx2 s[0:1], s[4:5], 0x50
	s_abs_i32 s2, s10
	v_cvt_f32_u32_e32 v1, s2
	s_sub_i32 s7, 0, s2
	v_rcp_iflag_f32_e32 v1, v1
	v_mul_f32_e32 v1, 0x4f7ffffe, v1
	v_cvt_u32_f32_e32 v1, v1
	v_readfirstlane_b32 s3, v1
	s_mul_i32 s7, s7, s3
	s_mul_hi_u32 s7, s3, s7
	s_add_i32 s3, s3, s7
	s_waitcnt lgkmcnt(0)
	s_cmp_eq_u64 s[0:1], 0
	s_mul_hi_u32 s3, s16, s3
	s_cbranch_scc1 .LBB150_3
; %bb.2:
	s_ashr_i32 s7, s6, 31
	s_lshl_b64 s[12:13], s[6:7], 2
	s_add_u32 s0, s0, s12
	s_addc_u32 s1, s1, s13
	s_load_dword s34, s[0:1], 0x0
.LBB150_3:
	s_load_dwordx4 s[12:15], s[4:5], 0x58
	v_and_b32_e32 v1, 3, v0
	v_cmp_gt_u32_e64 s0, 64, v0
	v_lshlrev_b32_e32 v2, 2, v0
	s_ashr_i32 s1, s6, 31
	s_ashr_i32 s7, s10, 31
	s_lshl_b32 s10, s6, 7
	s_waitcnt lgkmcnt(0)
	s_and_saveexec_b32 s15, s0
	s_cbranch_execz .LBB150_5
; %bb.4:
	s_load_dwordx2 s[18:19], s[4:5], 0x18
	s_mul_i32 s20, s12, s22
	v_and_b32_e32 v4, 0x3fc, v0
	s_ashr_i32 s21, s20, 31
	s_lshl_b64 s[20:21], s[20:21], 1
	v_lshl_add_u32 v4, v1, 6, v4
	s_waitcnt lgkmcnt(0)
	s_add_u32 s12, s18, s20
	s_addc_u32 s17, s19, s21
	s_ashr_i32 s11, s10, 31
	s_lshl_b64 s[18:19], s[10:11], 1
	s_add_u32 s18, s12, s18
	s_addc_u32 s19, s17, s19
	global_load_dword v3, v2, s[18:19]
	s_waitcnt vmcnt(0)
	ds_write_b32 v4, v3
.LBB150_5:
	s_or_b32 exec_lo, exec_lo, s15
	s_add_i32 s11, s23, 7
	s_lshl_b32 s30, s8, 6
	s_ashr_i32 s12, s11, 31
	s_xor_b32 s1, s1, s7
	s_lshr_b32 s12, s12, 29
	s_add_i32 s7, s30, 64
	s_add_i32 s11, s11, s12
	s_mul_i32 s15, s3, s2
	s_ashr_i32 s12, s11, 3
	s_sub_i32 s15, s16, s15
	s_min_i32 s11, s7, s12
	s_clause 0x1
	s_load_dwordx2 s[24:25], s[4:5], 0x38
	s_load_dword s7, s[4:5], 0x48
	s_add_i32 s16, s3, 1
	s_sub_i32 s17, s15, s2
	s_cmp_ge_u32 s15, s2
	v_lshrrev_b32_e32 v28, 5, v0
	s_cselect_b32 s3, s16, s3
	s_cselect_b32 s15, s17, s15
	s_add_i32 s16, s3, 1
	s_cmp_ge_u32 s15, s2
	v_or_b32_e32 v25, s30, v28
	s_cselect_b32 s2, s16, s3
	v_mbcnt_lo_u32_b32 v3, -1, 0
	s_xor_b32 s2, s2, s1
	s_mov_b32 s3, exec_lo
	s_sub_i32 s2, s2, s1
	v_cmp_gt_i32_e64 s1, s11, v25
	s_waitcnt lgkmcnt(0)
	s_barrier
	buffer_gl0_inv
                                        ; implicit-def: $vgpr4
                                        ; implicit-def: $vgpr5
	s_mul_i32 s26, s7, s22
	s_ashr_i32 s27, s26, 31
	v_cmpx_le_i32_e64 s11, v25
	s_xor_b32 s3, exec_lo, s3
; %bb.6:
	v_mov_b32_e32 v4, 0
	v_mbcnt_lo_u32_b32 v3, -1, 0
	v_mov_b32_e32 v5, 32
                                        ; implicit-def: $vgpr2
                                        ; implicit-def: $vgpr1
; %bb.7:
	s_or_saveexec_b32 s35, s3
	s_clause 0x3
	s_load_dwordx4 s[16:19], s[4:5], 0x0
	s_load_dwordx2 s[20:21], s[4:5], 0x10
	s_load_dwordx2 s[28:29], s[4:5], 0x28
	s_load_dword s7, s[4:5], 0x98
	v_mov_b32_e32 v40, 0xff7fffff
	v_ashrrev_i32_e32 v26, 31, v25
	s_mul_i32 s14, s2, s14
	s_xor_b32 exec_lo, exec_lo, s35
	s_cbranch_execz .LBB150_13
; %bb.8:
	s_load_dwordx2 s[2:3], s[4:5], 0x20
	v_lshlrev_b32_e32 v5, 6, v1
	v_bfe_u32 v46, v0, 2, 3
	s_ashr_i32 s15, s14, 31
	v_and_b32_e32 v2, 12, v2
	s_lshl_b64 s[4:5], s[14:15], 1
	ds_read_b128 v[12:15], v5
	v_lshlrev_b32_e32 v6, 4, v46
	ds_read_b128 v[20:23], v5 offset:16
	ds_read_b128 v[31:34], v5 offset:32
	;; [unrolled: 1-line block ×3, first 2 shown]
	v_mov_b32_e32 v4, 0
	v_mov_b32_e32 v48, v25
	s_mov_b32 s15, 0
	s_waitcnt lgkmcnt(0)
	s_add_u32 s2, s2, s4
	s_addc_u32 s3, s3, s5
	v_add_co_u32 v5, s2, s2, v6
	v_add_co_ci_u32_e64 v16, null, s3, 0, s2
	v_lshlrev_b32_e32 v8, 16, v13
	v_and_b32_e32 v9, 0xffff0000, v13
	v_add_co_u32 v13, vcc_lo, v5, v2
	v_xor_b32_e32 v2, 2, v3
	v_lshlrev_b32_e32 v10, 16, v14
	v_and_b32_e32 v11, 0xffff0000, v14
	v_add_co_ci_u32_e64 v14, null, 0, v16, vcc_lo
	v_cmp_gt_i32_e32 vcc_lo, 32, v2
	v_xor_b32_e32 v5, 1, v3
	v_lshlrev_b32_e32 v35, 16, v40
	v_and_b32_e32 v36, 0xffff0000, v40
	s_lshl_b64 s[36:37], s[26:27], 2
	v_cndmask_b32_e32 v2, v3, v2, vcc_lo
	v_cmp_gt_i32_e32 vcc_lo, 32, v5
	s_sub_i32 s5, 1, s23
	s_add_u32 s3, s24, s36
	s_addc_u32 s4, s25, s37
	v_lshlrev_b32_e32 v44, 2, v2
	v_lshlrev_b32_e32 v2, 2, v46
	v_cndmask_b32_e32 v40, v3, v5, vcc_lo
	v_cmp_eq_u32_e32 vcc_lo, 0, v1
	v_lshlrev_b32_e32 v6, 16, v12
	v_and_b32_e32 v7, 0xffff0000, v12
	v_lshl_or_b32 v47, v28, 5, v2
	v_lshlrev_b64 v[1:2], 2, v[25:26]
	v_lshlrev_b32_e32 v45, 2, v40
	v_lshlrev_b32_e32 v40, 3, v28
	;; [unrolled: 1-line block ×3, first 2 shown]
	v_and_b32_e32 v15, 0xffff0000, v15
	v_lshlrev_b32_e32 v16, 16, v20
	v_add_co_u32 v1, s3, s3, v1
	v_and_b32_e32 v17, 0xffff0000, v20
	v_lshlrev_b32_e32 v18, 16, v21
	v_and_b32_e32 v19, 0xffff0000, v21
	v_lshlrev_b32_e32 v20, 16, v22
	;; [unrolled: 2-line block ×10, first 2 shown]
	v_and_b32_e32 v43, 0xffff0000, v43
	v_mov_b32_e32 v5, 32
	v_cmp_neq_f32_e64 s2, s34, 0
	v_add3_u32 v46, s33, v40, v46
	v_add_nc_u32_e32 v47, 0x120, v47
	v_add_co_ci_u32_e64 v2, null, s4, v2, s3
	v_mov_b32_e32 v40, 0xff7fffff
	s_mov_b32 s36, s13
	s_branch .LBB150_10
.LBB150_9:                              ;   in Loop: Header=BB150_10 Depth=1
	s_or_b32 exec_lo, exec_lo, s4
	v_add_nc_u32_e32 v48, 4, v48
	v_add_co_u32 v1, s4, v1, 16
	v_add_nc_u32_e32 v46, 32, v46
	v_add_nc_u32_e32 v47, 0x80, v47
	v_cmp_le_i32_e64 s3, s11, v48
	v_add_co_ci_u32_e64 v2, null, 0, v2, s4
	s_or_b32 s15, s3, s15
	s_andn2_b32 exec_lo, exec_lo, s15
	s_cbranch_execz .LBB150_12
.LBB150_10:                             ; =>This Inner Loop Header: Depth=1
	global_load_dword v49, v[1:2], off
	s_waitcnt vmcnt(0) lgkmcnt(0)
	v_mad_i64_i32 v[49:50], null, v49, s36, 0
	v_lshlrev_b64 v[49:50], 1, v[49:50]
	v_add_co_u32 v49, s3, v13, v49
	v_add_co_ci_u32_e64 v50, null, v14, v50, s3
	s_clause 0xf
	global_load_dword v51, v[49:50], off offset:128
	global_load_dword v52, v[49:50], off
	global_load_dword v53, v[49:50], off offset:256
	global_load_dword v54, v[49:50], off offset:384
	;; [unrolled: 1-line block ×14, first 2 shown]
	s_waitcnt vmcnt(15)
	v_lshlrev_b32_e32 v50, 16, v51
	v_and_b32_e32 v51, 0xffff0000, v51
	s_waitcnt vmcnt(14)
	v_lshlrev_b32_e32 v66, 16, v52
	v_and_b32_e32 v52, 0xffff0000, v52
	s_waitcnt vmcnt(13)
	v_lshlrev_b32_e32 v67, 16, v53
	v_mul_f32_e32 v50, v8, v50
	v_mul_f32_e32 v51, v9, v51
	v_and_b32_e32 v53, 0xffff0000, v53
	v_fmac_f32_e32 v50, v6, v66
	v_fmac_f32_e32 v51, v7, v52
	s_waitcnt vmcnt(12)
	v_lshlrev_b32_e32 v52, 16, v54
	v_and_b32_e32 v54, 0xffff0000, v54
	v_fmac_f32_e32 v50, v10, v67
	v_fmac_f32_e32 v51, v11, v53
	s_waitcnt vmcnt(11)
	v_lshlrev_b32_e32 v53, 16, v55
	;; [unrolled: 5-line block ×13, first 2 shown]
	v_and_b32_e32 v49, 0xffff0000, v49
	v_fmac_f32_e32 v50, v39, v53
	v_fmac_f32_e32 v51, v41, v55
	;; [unrolled: 1-line block ×4, first 2 shown]
	v_add_f32_e32 v49, v50, v51
	ds_bpermute_b32 v50, v44, v49
	s_waitcnt lgkmcnt(0)
	v_add_f32_e32 v49, v49, v50
	ds_bpermute_b32 v50, v45, v49
	s_and_saveexec_b32 s4, vcc_lo
	s_cbranch_execz .LBB150_9
; %bb.11:                               ;   in Loop: Header=BB150_10 Depth=1
	v_add_nc_u32_e32 v51, s5, v46
	s_waitcnt lgkmcnt(0)
	v_add_f32_e32 v49, v49, v50
	v_cmp_gt_i32_e64 s3, s23, v46
	v_cvt_f32_i32_e32 v51, v51
	v_mul_f32_e32 v51, s34, v51
	v_cndmask_b32_e64 v50, 0, v51, s2
	v_max_f32_e32 v51, v40, v40
	v_fmac_f32_e32 v50, s31, v49
	v_max_f32_e32 v49, v51, v50
	v_cndmask_b32_e64 v50, 0, v50, s3
	v_cndmask_b32_e64 v40, v40, v49, s3
	ds_write_b32 v47, v50
	s_branch .LBB150_9
.LBB150_12:
	s_or_b32 exec_lo, exec_lo, s15
.LBB150_13:
	s_or_b32 exec_lo, exec_lo, s35
	v_xor_b32_e32 v1, 16, v3
	v_xor_b32_e32 v6, 8, v3
	v_max_f32_e32 v7, v40, v40
	v_xor_b32_e32 v8, 4, v3
	v_and_b32_e32 v29, 31, v0
	v_cmp_lt_i32_e32 vcc_lo, v1, v5
	v_cndmask_b32_e32 v1, v3, v1, vcc_lo
	v_cmp_lt_i32_e32 vcc_lo, v6, v5
	v_lshlrev_b32_e32 v2, 2, v1
	v_cndmask_b32_e32 v6, v3, v6, vcc_lo
	v_cmp_lt_i32_e32 vcc_lo, v8, v5
	ds_bpermute_b32 v1, v2, v40
	v_lshlrev_b32_e32 v6, 2, v6
	v_cndmask_b32_e32 v8, v3, v8, vcc_lo
	v_cmp_eq_u32_e32 vcc_lo, 0, v29
	v_lshlrev_b32_e32 v9, 2, v8
	s_waitcnt lgkmcnt(0)
	v_max_f32_e32 v1, v1, v1
	v_max_f32_e32 v1, v7, v1
	ds_bpermute_b32 v7, v6, v1
	s_waitcnt lgkmcnt(0)
	v_max_f32_e32 v7, v7, v7
	v_max_f32_e32 v1, v1, v7
	v_lshlrev_b32_e32 v7, 2, v28
	ds_bpermute_b32 v8, v9, v1
	s_and_saveexec_b32 s2, vcc_lo
	s_cbranch_execz .LBB150_15
; %bb.14:
	s_waitcnt lgkmcnt(0)
	v_max_f32_e32 v8, v8, v8
	v_max_f32_e32 v1, v1, v1
	;; [unrolled: 1-line block ×3, first 2 shown]
	ds_write_b32 v7, v1 offset:256
.LBB150_15:
	s_or_b32 exec_lo, exec_lo, s2
	v_cmp_gt_u32_e64 s2, 4, v29
	v_mov_b32_e32 v1, 0xff7fffff
	s_waitcnt lgkmcnt(0)
	v_lshlrev_b32_e32 v8, 2, v29
	s_barrier
	buffer_gl0_inv
	s_and_saveexec_b32 s3, s2
; %bb.16:
	ds_read_b32 v1, v8 offset:256
; %bb.17:
	s_or_b32 exec_lo, exec_lo, s3
	v_xor_b32_e32 v10, 2, v3
	v_xor_b32_e32 v12, 1, v3
	v_lshlrev_b32_e32 v4, 2, v4
	v_cmp_lt_i32_e64 s3, v10, v5
	v_cndmask_b32_e64 v10, v3, v10, s3
	v_cmp_lt_i32_e64 s3, v12, v5
	v_lshlrev_b32_e32 v10, 2, v10
	v_cndmask_b32_e64 v5, v3, v12, s3
	s_sub_i32 s3, s11, s30
	s_lshl_b32 s3, s3, 3
	s_waitcnt lgkmcnt(0)
	ds_bpermute_b32 v11, v10, v1
	v_max_f32_e32 v1, v1, v1
	v_lshlrev_b32_e32 v5, 2, v5
	s_add_i32 s3, s3, s33
	s_min_i32 s3, s3, s23
	s_sub_i32 s5, s3, s33
	v_cmp_gt_i32_e64 s3, s5, v0
	s_waitcnt lgkmcnt(0)
	v_max_f32_e32 v11, v11, v11
	v_max_f32_e32 v1, v1, v11
	ds_bpermute_b32 v11, v5, v1
	s_waitcnt lgkmcnt(0)
	v_max_f32_e32 v11, v11, v11
	v_max_f32_e32 v1, v1, v11
	v_mov_b32_e32 v11, 0
	ds_bpermute_b32 v1, v4, v1
	v_lshl_add_u32 v4, v0, 2, 0x120
	s_and_saveexec_b32 s15, s3
	s_cbranch_execz .LBB150_21
; %bb.18:
	v_lshl_add_u32 v12, v0, 2, 0x120
	v_mov_b32_e32 v11, 0
	v_mov_b32_e32 v13, v0
	s_mov_b32 s30, 0
	.p2align	6
.LBB150_19:                             ; =>This Inner Loop Header: Depth=1
	ds_read_b32 v14, v12
	v_add_nc_u32_e32 v13, 0x80, v13
	v_cmp_le_i32_e64 s4, s5, v13
	s_or_b32 s30, s4, s30
	s_waitcnt lgkmcnt(0)
	v_sub_f32_e32 v14, v14, v1
	v_mul_f32_e32 v14, 0x3fb8aa3b, v14
	v_exp_f32_e32 v14, v14
	ds_write_b32 v12, v14
	v_add_f32_e32 v11, v11, v14
	v_add_nc_u32_e32 v12, 0x200, v12
	s_andn2_b32 exec_lo, exec_lo, s30
	s_cbranch_execnz .LBB150_19
; %bb.20:
	s_or_b32 exec_lo, exec_lo, s30
.LBB150_21:
	s_or_b32 exec_lo, exec_lo, s15
	ds_bpermute_b32 v2, v2, v11
	s_waitcnt lgkmcnt(0)
	v_add_f32_e32 v2, v11, v2
	ds_bpermute_b32 v6, v6, v2
	s_waitcnt lgkmcnt(0)
	v_add_f32_e32 v2, v2, v6
	;; [unrolled: 3-line block ×5, first 2 shown]
	s_and_saveexec_b32 s4, vcc_lo
; %bb.22:
	ds_write_b32 v7, v2 offset:272
; %bb.23:
	s_or_b32 exec_lo, exec_lo, s4
	s_waitcnt lgkmcnt(0)
	s_barrier
	buffer_gl0_inv
	s_and_saveexec_b32 s4, s2
; %bb.24:
	ds_read_b32 v2, v8 offset:272
; %bb.25:
	s_or_b32 exec_lo, exec_lo, s4
	s_waitcnt lgkmcnt(0)
	ds_bpermute_b32 v6, v10, v2
	v_lshlrev_b32_e32 v3, 2, v3
	v_and_b32_e32 v3, 0xffffff80, v3
	s_waitcnt lgkmcnt(0)
	v_add_f32_e32 v2, v2, v6
	ds_bpermute_b32 v5, v5, v2
	s_waitcnt lgkmcnt(0)
	v_add_f32_e32 v2, v2, v5
	ds_bpermute_b32 v2, v3, v2
	s_and_saveexec_b32 s2, s3
	s_cbranch_execz .LBB150_28
; %bb.26:
	s_waitcnt lgkmcnt(0)
	v_add_f32_e32 v3, 0x358637bd, v2
	s_mov_b32 s3, 0
	v_div_scale_f32 v5, null, v3, v3, 1.0
	v_div_scale_f32 v8, vcc_lo, 1.0, v3, 1.0
	v_rcp_f32_e32 v6, v5
	v_fma_f32 v7, -v5, v6, 1.0
	v_fmac_f32_e32 v6, v7, v6
	v_mul_f32_e32 v7, v8, v6
	v_fma_f32 v9, -v5, v7, v8
	v_fmac_f32_e32 v7, v9, v6
	v_fma_f32 v5, -v5, v7, v8
	v_div_fmas_f32 v5, v5, v6, v7
	v_div_fixup_f32 v3, v5, v3, 1.0
	v_mov_b32_e32 v5, v0
.LBB150_27:                             ; =>This Inner Loop Header: Depth=1
	ds_read_b32 v6, v4
	v_add_nc_u32_e32 v5, 0x80, v5
	v_cmp_le_i32_e32 vcc_lo, s5, v5
	s_or_b32 s3, vcc_lo, s3
	s_waitcnt lgkmcnt(0)
	v_mul_f32_e32 v6, v3, v6
	ds_write_b32 v4, v6
	v_add_nc_u32_e32 v4, 0x200, v4
	s_andn2_b32 exec_lo, exec_lo, s3
	s_cbranch_execnz .LBB150_27
.LBB150_28:
	s_or_b32 exec_lo, exec_lo, s2
	s_mul_i32 s2, s7, s22
	s_waitcnt lgkmcnt(0)
	s_mul_i32 s4, s2, s9
	s_mov_b32 s2, exec_lo
	s_barrier
	buffer_gl0_inv
	v_cmpx_eq_u32_e32 0, v0
	s_cbranch_execz .LBB150_30
; %bb.29:
	s_ashr_i32 s5, s4, 31
	s_mul_i32 s34, s7, s6
	s_lshl_b64 s[30:31], s[4:5], 2
	v_mov_b32_e32 v3, 0
	s_add_u32 s3, s18, s30
	s_addc_u32 s5, s19, s31
	s_ashr_i32 s35, s34, 31
	s_lshl_b64 s[18:19], s[34:35], 2
	s_add_u32 s3, s3, s18
	s_addc_u32 s5, s5, s19
	s_ashr_i32 s9, s8, 31
	s_lshl_b64 s[34:35], s[8:9], 2
	s_add_u32 s36, s3, s34
	s_addc_u32 s37, s5, s35
	s_add_u32 s3, s16, s30
	s_addc_u32 s5, s17, s31
	;; [unrolled: 2-line block ×4, first 2 shown]
	global_store_dword v3, v1, s[36:37]
	global_store_dword v3, v2, s[16:17]
.LBB150_30:
	s_or_b32 exec_lo, exec_lo, s2
	v_mov_b32_e32 v33, 0
	v_mov_b32_e32 v32, 0
	;; [unrolled: 1-line block ×4, first 2 shown]
	s_and_saveexec_b32 s5, s1
	s_cbranch_execz .LBB150_42
; %bb.31:
	s_ashr_i32 s15, s14, 31
	v_lshlrev_b32_e32 v1, 4, v29
	s_lshl_b64 s[2:3], s[14:15], 1
	v_mov_b32_e32 v34, 0
	s_add_u32 s1, s28, s2
	s_addc_u32 s2, s29, s3
	v_add_co_u32 v35, s1, s1, v1
	v_lshlrev_b64 v[1:2], 2, v[25:26]
	v_add_co_ci_u32_e64 v36, null, s2, 0, s1
	s_lshl_b64 s[2:3], s[26:27], 2
	s_add_i32 s6, s12, -1
	s_add_u32 s1, s24, s2
	s_addc_u32 s2, s25, s3
	v_add_co_u32 v26, vcc_lo, s1, v1
	v_lshl_add_u32 v37, v28, 3, s33
	v_lshl_add_u32 v38, v28, 5, 0x120
	v_add_co_ci_u32_e64 v27, null, s2, v2, vcc_lo
	v_mov_b32_e32 v30, 0
	v_mov_b32_e32 v31, 0
	;; [unrolled: 1-line block ×4, first 2 shown]
	s_mov_b32 s9, s13
	s_mov_b32 s13, s23
	;; [unrolled: 1-line block ×3, first 2 shown]
	s_branch .LBB150_33
.LBB150_32:                             ;   in Loop: Header=BB150_33 Depth=1
	s_or_b32 exec_lo, exec_lo, s3
	s_waitcnt lgkmcnt(1)
	v_bfe_u32 v39, v17, 16, 1
	v_bfe_u32 v40, v18, 16, 1
	v_or_b32_e32 v41, 0x400000, v17
	v_cmp_u_f32_e32 vcc_lo, v17, v17
	v_or_b32_e32 v42, 0x400000, v18
	v_add3_u32 v39, v39, v17, 0x7fff
	v_bfe_u32 v43, v19, 16, 1
	v_add3_u32 v40, v40, v18, 0x7fff
	v_bfe_u32 v44, v20, 16, 1
	s_waitcnt vmcnt(1)
	v_and_b32_e32 v46, 0xffff0000, v24
	v_cndmask_b32_e32 v17, v39, v41, vcc_lo
	v_cmp_u_f32_e32 vcc_lo, v18, v18
	v_add3_u32 v39, v43, v19, 0x7fff
	v_add3_u32 v41, v44, v20, 0x7fff
	s_waitcnt lgkmcnt(0)
	v_bfe_u32 v43, v13, 16, 1
	v_and_b32_e32 v17, 0xffff0000, v17
	v_cndmask_b32_e32 v18, v40, v42, vcc_lo
	v_or_b32_e32 v40, 0x400000, v19
	v_cmp_u_f32_e32 vcc_lo, v19, v19
	v_or_b32_e32 v42, 0x400000, v20
	v_lshlrev_b32_e32 v24, 16, v24
	v_add_nc_u32_e32 v25, 4, v25
	v_add_co_u32 v26, s1, v26, 16
	v_cndmask_b32_e32 v19, v39, v40, vcc_lo
	v_cmp_u_f32_e32 vcc_lo, v20, v20
	v_bfe_u32 v39, v14, 16, 1
	v_add3_u32 v40, v43, v13, 0x7fff
	v_bfe_u32 v43, v15, 16, 1
	v_add_nc_u32_e32 v37, 32, v37
	v_cndmask_b32_e32 v20, v41, v42, vcc_lo
	v_or_b32_e32 v41, 0x400000, v13
	v_cmp_u_f32_e32 vcc_lo, v13, v13
	v_add3_u32 v39, v39, v14, 0x7fff
	v_or_b32_e32 v42, 0x400000, v14
	v_and_b32_e32 v13, 0xffff0000, v18
	v_and_b32_e32 v18, 0xffff0000, v21
	v_cndmask_b32_e32 v40, v40, v41, vcc_lo
	v_cmp_u_f32_e32 vcc_lo, v14, v14
	v_add3_u32 v14, v43, v15, 0x7fff
	v_bfe_u32 v41, v16, 16, 1
	v_lshlrev_b32_e32 v21, 16, v21
	v_mul_f32_e32 v18, v13, v18
	v_cndmask_b32_e32 v39, v39, v42, vcc_lo
	v_or_b32_e32 v42, 0x400000, v15
	v_cmp_u_f32_e32 vcc_lo, v15, v15
	v_add3_u32 v41, v41, v16, 0x7fff
	v_or_b32_e32 v43, 0x400000, v16
	v_mul_f32_e32 v21, v17, v21
	v_bfe_u32 v15, v18, 16, 1
	v_cndmask_b32_e32 v42, v14, v42, vcc_lo
	v_cmp_u_f32_e32 vcc_lo, v16, v16
	v_and_b32_e32 v14, 0xffff0000, v20
	v_and_b32_e32 v20, 0xffff0000, v22
	v_add3_u32 v15, v15, v18, 0x7fff
	v_or_b32_e32 v44, 0x400000, v21
	v_cndmask_b32_e32 v16, v41, v43, vcc_lo
	v_bfe_u32 v41, v21, 16, 1
	v_or_b32_e32 v43, 0x400000, v18
	v_cmp_u_f32_e32 vcc_lo, v18, v18
	v_mul_f32_e32 v45, v14, v20
	v_and_b32_e32 v20, 0xffff0000, v19
	v_add3_u32 v41, v41, v21, 0x7fff
	v_lshlrev_b32_e32 v19, 16, v22
	v_cndmask_b32_e32 v22, v15, v43, vcc_lo
	v_cmp_u_f32_e32 vcc_lo, v21, v21
	v_and_b32_e32 v15, 0xffff0000, v39
	v_and_b32_e32 v39, 0xffff0000, v23
	v_mul_f32_e32 v19, v20, v19
	v_and_b32_e32 v18, 0xffff0000, v40
	v_cndmask_b32_e32 v21, v41, v44, vcc_lo
	v_bfe_u32 v41, v45, 16, 1
	v_lshlrev_b32_e32 v23, 16, v23
	v_bfe_u32 v43, v19, 16, 1
	v_mul_f32_e32 v39, v15, v39
	v_cmp_u_f32_e32 vcc_lo, v45, v45
	v_add3_u32 v40, v41, v45, 0x7fff
	v_or_b32_e32 v41, 0x400000, v45
	v_mul_f32_e32 v23, v18, v23
	v_bfe_u32 v44, v39, 16, 1
	v_and_b32_e32 v16, 0xffff0000, v16
	v_and_b32_e32 v21, 0xffff0000, v21
	v_cndmask_b32_e32 v40, v40, v41, vcc_lo
	v_add3_u32 v41, v43, v19, 0x7fff
	v_or_b32_e32 v43, 0x400000, v19
	v_cmp_u_f32_e32 vcc_lo, v19, v19
	v_bfe_u32 v45, v23, 16, 1
	v_mul_f32_e32 v46, v16, v46
	v_and_b32_e32 v19, 0xffff0000, v42
	v_or_b32_e32 v42, 0x400000, v23
	v_cndmask_b32_e32 v41, v41, v43, vcc_lo
	v_add3_u32 v43, v44, v39, 0x7fff
	v_or_b32_e32 v44, 0x400000, v39
	v_cmp_u_f32_e32 vcc_lo, v39, v39
	v_add3_u32 v45, v45, v23, 0x7fff
	v_bfe_u32 v47, v46, 16, 1
	v_mul_f32_e32 v24, v19, v24
	v_and_b32_e32 v22, 0xffff0000, v22
	v_cndmask_b32_e32 v39, v43, v44, vcc_lo
	v_cmp_u_f32_e32 vcc_lo, v23, v23
	v_or_b32_e32 v43, 0x400000, v46
	v_bfe_u32 v44, v24, 16, 1
	v_and_b32_e32 v41, 0xffff0000, v41
	v_and_b32_e32 v40, 0xffff0000, v40
	v_cndmask_b32_e32 v23, v45, v42, vcc_lo
	v_add3_u32 v42, v47, v46, 0x7fff
	v_cmp_u_f32_e32 vcc_lo, v46, v46
	v_add_f32_e32 v21, v21, v22
	v_add_f32_e32 v22, v41, v40
	v_and_b32_e32 v23, 0xffff0000, v23
	v_and_b32_e32 v39, 0xffff0000, v39
	v_cndmask_b32_e32 v42, v42, v43, vcc_lo
	v_add3_u32 v43, v44, v24, 0x7fff
	v_or_b32_e32 v44, 0x400000, v24
	v_and_b32_e32 v40, 0xffff0000, v9
	v_cmp_u_f32_e32 vcc_lo, v24, v24
	v_lshlrev_b32_e32 v9, 16, v9
	v_add_f32_e32 v21, v22, v21
	v_add_f32_e32 v22, v23, v39
	v_mul_f32_e32 v23, v13, v40
	v_cndmask_b32_e32 v24, v43, v44, vcc_lo
	v_mul_f32_e32 v39, v17, v9
	v_and_b32_e32 v40, 0xffff0000, v42
	v_and_b32_e32 v41, 0xffff0000, v10
	v_bfe_u32 v42, v23, 16, 1
	v_and_b32_e32 v24, 0xffff0000, v24
	v_add_f32_e32 v9, v22, v21
	v_bfe_u32 v22, v39, 16, 1
	v_cmp_u_f32_e32 vcc_lo, v23, v23
	v_lshlrev_b32_e32 v10, 16, v10
	v_add_f32_e32 v21, v24, v40
	v_mul_f32_e32 v24, v14, v41
	v_add3_u32 v40, v42, v23, 0x7fff
	v_or_b32_e32 v41, 0x400000, v23
	v_add3_u32 v22, v22, v39, 0x7fff
	v_or_b32_e32 v42, 0x400000, v39
	v_bfe_u32 v43, v24, 16, 1
	v_mul_f32_e32 v10, v20, v10
	v_cndmask_b32_e32 v23, v40, v41, vcc_lo
	v_cmp_u_f32_e32 vcc_lo, v39, v39
	v_or_b32_e32 v40, 0x400000, v24
	v_add3_u32 v39, v43, v24, 0x7fff
	v_and_b32_e32 v41, 0xffff0000, v11
	v_lshlrev_b32_e32 v11, 16, v11
	v_cndmask_b32_e32 v22, v22, v42, vcc_lo
	v_cmp_u_f32_e32 vcc_lo, v24, v24
	v_bfe_u32 v42, v10, 16, 1
	v_and_b32_e32 v23, 0xffff0000, v23
	v_mul_f32_e32 v11, v18, v11
	v_and_b32_e32 v22, 0xffff0000, v22
	v_cndmask_b32_e32 v24, v39, v40, vcc_lo
	v_mul_f32_e32 v39, v15, v41
	v_add3_u32 v40, v42, v10, 0x7fff
	v_or_b32_e32 v41, 0x400000, v10
	v_and_b32_e32 v42, 0xffff0000, v12
	v_cmp_u_f32_e32 vcc_lo, v10, v10
	v_bfe_u32 v43, v39, 16, 1
	v_bfe_u32 v44, v11, 16, 1
	v_lshlrev_b32_e32 v12, 16, v12
	v_and_b32_e32 v24, 0xffff0000, v24
	v_cndmask_b32_e32 v10, v40, v41, vcc_lo
	v_mul_f32_e32 v40, v16, v42
	v_add3_u32 v41, v43, v39, 0x7fff
	v_or_b32_e32 v42, 0x400000, v39
	v_cmp_u_f32_e32 vcc_lo, v39, v39
	v_add3_u32 v43, v44, v11, 0x7fff
	v_or_b32_e32 v44, 0x400000, v11
	v_bfe_u32 v45, v40, 16, 1
	v_and_b32_e32 v10, 0xffff0000, v10
	v_cndmask_b32_e32 v39, v41, v42, vcc_lo
	v_cmp_u_f32_e32 vcc_lo, v11, v11
	v_or_b32_e32 v42, 0x400000, v40
	v_add3_u32 v41, v45, v40, 0x7fff
	v_mul_f32_e32 v12, v19, v12
	v_add_f32_e32 v22, v22, v23
	v_cndmask_b32_e32 v11, v43, v44, vcc_lo
	v_cmp_u_f32_e32 vcc_lo, v40, v40
	v_add_f32_e32 v10, v10, v24
	v_and_b32_e32 v23, 0xffff0000, v1
	v_and_b32_e32 v24, 0xffff0000, v39
	;; [unrolled: 1-line block ×3, first 2 shown]
	v_cndmask_b32_e32 v40, v41, v42, vcc_lo
	v_bfe_u32 v41, v12, 16, 1
	v_add_f32_e32 v10, v10, v22
	v_mul_f32_e32 v22, v13, v23
	v_add_f32_e32 v11, v11, v24
	v_lshlrev_b32_e32 v1, 16, v1
	v_add3_u32 v39, v41, v12, 0x7fff
	v_or_b32_e32 v41, 0x400000, v12
	v_cmp_u_f32_e32 vcc_lo, v12, v12
	v_bfe_u32 v23, v22, 16, 1
	v_add_f32_e32 v10, v11, v10
	v_and_b32_e32 v11, 0xffff0000, v2
	v_mul_f32_e32 v1, v17, v1
	v_cndmask_b32_e32 v12, v39, v41, vcc_lo
	v_add3_u32 v23, v23, v22, 0x7fff
	v_or_b32_e32 v24, 0x400000, v22
	v_mul_f32_e32 v11, v14, v11
	v_and_b32_e32 v39, 0xffff0000, v40
	v_bfe_u32 v40, v1, 16, 1
	v_cmp_u_f32_e32 vcc_lo, v22, v22
	v_lshlrev_b32_e32 v2, 16, v2
	v_or_b32_e32 v41, 0x400000, v1
	v_or_b32_e32 v42, 0x400000, v11
	v_and_b32_e32 v12, 0xffff0000, v12
	v_cndmask_b32_e32 v22, v23, v24, vcc_lo
	v_bfe_u32 v23, v11, 16, 1
	v_add3_u32 v24, v40, v1, 0x7fff
	v_and_b32_e32 v40, 0xffff0000, v3
	v_mul_f32_e32 v2, v20, v2
	v_cmp_u_f32_e32 vcc_lo, v1, v1
	v_add3_u32 v23, v23, v11, 0x7fff
	v_lshlrev_b32_e32 v3, 16, v3
	v_mul_f32_e32 v40, v15, v40
	v_and_b32_e32 v22, 0xffff0000, v22
	v_cndmask_b32_e32 v1, v24, v41, vcc_lo
	v_bfe_u32 v24, v2, 16, 1
	v_cmp_u_f32_e32 vcc_lo, v11, v11
	v_and_b32_e32 v41, 0xffff0000, v4
	v_mul_f32_e32 v3, v18, v3
	v_or_b32_e32 v43, 0x400000, v40
	v_add3_u32 v24, v24, v2, 0x7fff
	v_cndmask_b32_e32 v11, v23, v42, vcc_lo
	v_bfe_u32 v23, v40, 16, 1
	v_or_b32_e32 v42, 0x400000, v2
	v_cmp_u_f32_e32 vcc_lo, v2, v2
	v_mul_f32_e32 v41, v16, v41
	v_lshlrev_b32_e32 v4, 16, v4
	v_add3_u32 v23, v23, v40, 0x7fff
	v_and_b32_e32 v1, 0xffff0000, v1
	v_cndmask_b32_e32 v2, v24, v42, vcc_lo
	v_bfe_u32 v24, v3, 16, 1
	v_cmp_u_f32_e32 vcc_lo, v40, v40
	v_bfe_u32 v42, v41, 16, 1
	v_or_b32_e32 v40, 0x400000, v3
	v_mul_f32_e32 v4, v19, v4
	v_add3_u32 v24, v24, v3, 0x7fff
	v_cndmask_b32_e32 v23, v23, v43, vcc_lo
	v_cmp_u_f32_e32 vcc_lo, v3, v3
	v_add3_u32 v42, v42, v41, 0x7fff
	v_or_b32_e32 v43, 0x400000, v41
	v_and_b32_e32 v2, 0xffff0000, v2
	v_and_b32_e32 v11, 0xffff0000, v11
	v_cndmask_b32_e32 v3, v24, v40, vcc_lo
	v_cmp_u_f32_e32 vcc_lo, v41, v41
	v_bfe_u32 v40, v4, 16, 1
	v_add_f32_e32 v1, v1, v22
	v_add_f32_e32 v2, v2, v11
	v_and_b32_e32 v3, 0xffff0000, v3
	v_cndmask_b32_e32 v24, v42, v43, vcc_lo
	s_waitcnt vmcnt(0)
	v_lshlrev_b32_e32 v42, 16, v5
	v_and_b32_e32 v11, 0xffff0000, v23
	v_and_b32_e32 v5, 0xffff0000, v5
	v_add3_u32 v40, v40, v4, 0x7fff
	v_or_b32_e32 v41, 0x400000, v4
	v_mul_f32_e32 v17, v17, v42
	v_cmp_u_f32_e32 vcc_lo, v4, v4
	v_add_f32_e32 v1, v2, v1
	v_add_f32_e32 v3, v3, v11
	v_mul_f32_e32 v5, v13, v5
	v_bfe_u32 v2, v17, 16, 1
	v_lshlrev_b32_e32 v11, 16, v6
	v_cndmask_b32_e32 v4, v40, v41, vcc_lo
	v_or_b32_e32 v13, 0x400000, v17
	v_bfe_u32 v22, v5, 16, 1
	v_add3_u32 v2, v2, v17, 0x7fff
	v_mul_f32_e32 v11, v20, v11
	v_and_b32_e32 v6, 0xffff0000, v6
	v_cmp_u_f32_e32 vcc_lo, v17, v17
	v_or_b32_e32 v17, 0x400000, v5
	v_and_b32_e32 v4, 0xffff0000, v4
	v_bfe_u32 v20, v11, 16, 1
	v_mul_f32_e32 v6, v14, v6
	v_cndmask_b32_e32 v2, v2, v13, vcc_lo
	v_add3_u32 v13, v22, v5, 0x7fff
	v_lshlrev_b32_e32 v14, 16, v7
	v_cmp_u_f32_e32 vcc_lo, v5, v5
	v_and_b32_e32 v7, 0xffff0000, v7
	v_and_b32_e32 v2, 0xffff0000, v2
	v_add_f32_e32 v1, v3, v1
	v_mul_f32_e32 v14, v18, v14
	v_cndmask_b32_e32 v5, v13, v17, vcc_lo
	v_add3_u32 v13, v20, v11, 0x7fff
	v_or_b32_e32 v17, 0x400000, v11
	v_bfe_u32 v20, v6, 16, 1
	v_cmp_u_f32_e32 vcc_lo, v11, v11
	v_bfe_u32 v18, v14, 16, 1
	v_mul_f32_e32 v7, v15, v7
	v_lshlrev_b32_e32 v15, 16, v8
	v_and_b32_e32 v8, 0xffff0000, v8
	v_cndmask_b32_e32 v11, v13, v17, vcc_lo
	v_add3_u32 v13, v20, v6, 0x7fff
	v_or_b32_e32 v17, 0x400000, v6
	v_cmp_u_f32_e32 vcc_lo, v6, v6
	v_mul_f32_e32 v8, v16, v8
	v_or_b32_e32 v16, 0x400000, v14
	v_mul_f32_e32 v15, v19, v15
	v_and_b32_e32 v5, 0xffff0000, v5
	v_cndmask_b32_e32 v6, v13, v17, vcc_lo
	v_bfe_u32 v13, v7, 16, 1
	v_add3_u32 v17, v18, v14, 0x7fff
	v_cmp_u_f32_e32 vcc_lo, v14, v14
	v_or_b32_e32 v18, 0x400000, v7
	v_bfe_u32 v20, v8, 16, 1
	v_add3_u32 v13, v13, v7, 0x7fff
	v_bfe_u32 v19, v15, 16, 1
	v_cndmask_b32_e32 v14, v17, v16, vcc_lo
	v_cmp_u_f32_e32 vcc_lo, v7, v7
	v_add3_u32 v16, v20, v8, 0x7fff
	v_or_b32_e32 v17, 0x400000, v8
	v_and_b32_e32 v6, 0xffff0000, v6
	v_and_b32_e32 v11, 0xffff0000, v11
	v_cndmask_b32_e32 v7, v13, v18, vcc_lo
	v_cmp_u_f32_e32 vcc_lo, v8, v8
	v_add3_u32 v13, v19, v15, 0x7fff
	v_or_b32_e32 v18, 0x400000, v15
	v_add_f32_e32 v2, v2, v5
	v_add_f32_e32 v5, v11, v6
	v_cndmask_b32_e32 v8, v16, v17, vcc_lo
	v_cmp_u_f32_e32 vcc_lo, v15, v15
	v_and_b32_e32 v6, 0xffff0000, v7
	v_and_b32_e32 v7, 0xffff0000, v14
	v_add_f32_e32 v2, v5, v2
	v_add_nc_u32_e32 v38, 0x80, v38
	v_cndmask_b32_e32 v11, v13, v18, vcc_lo
	v_and_b32_e32 v13, 0xffff0000, v24
	v_add_f32_e32 v5, v7, v6
	v_and_b32_e32 v6, 0xffff0000, v8
	v_add_f32_e32 v8, v12, v39
	v_and_b32_e32 v7, 0xffff0000, v11
	v_add_f32_e32 v3, v4, v13
	v_add_f32_e32 v2, v5, v2
	v_add_f32_e32 v5, v21, v9
	v_cmp_le_i32_e32 vcc_lo, s11, v25
	v_add_f32_e32 v4, v7, v6
	v_add_f32_e32 v6, v8, v10
	;; [unrolled: 1-line block ×4, first 2 shown]
	v_add_co_ci_u32_e64 v27, null, 0, v27, s1
	v_add_f32_e32 v2, v4, v2
	v_add_f32_e32 v32, v32, v6
	;; [unrolled: 1-line block ×3, first 2 shown]
	s_or_b32 s12, vcc_lo, s12
	v_add_f32_e32 v30, v30, v2
	s_andn2_b32 exec_lo, exec_lo, s12
	s_cbranch_execz .LBB150_41
.LBB150_33:                             ; =>This Inner Loop Header: Depth=1
	global_load_dword v1, v[26:27], off
	v_cmp_eq_u32_e64 s1, s6, v25
	v_add_nc_u32_e32 v45, 1, v37
	v_or_b32_e32 v43, 3, v37
	v_or_b32_e32 v44, 2, v37
	;; [unrolled: 1-line block ×6, first 2 shown]
	s_waitcnt vmcnt(0)
	v_mad_i64_i32 v[1:2], null, v1, s9, 0
	v_lshlrev_b64 v[1:2], 1, v[1:2]
	v_add_co_u32 v5, vcc_lo, v35, v1
	v_add_co_ci_u32_e64 v6, null, v36, v2, vcc_lo
	global_load_dwordx4 v[1:4], v[5:6], off
	ds_read2_b64 v[17:20], v38 offset1:1
	ds_read2_b64 v[13:16], v38 offset0:2 offset1:3
	s_and_saveexec_b32 s14, s1
	s_cbranch_execnz .LBB150_37
; %bb.34:                               ;   in Loop: Header=BB150_33 Depth=1
	s_or_b32 exec_lo, exec_lo, s14
	global_load_dwordx4 v[9:12], v[5:6], off offset:512
	s_and_saveexec_b32 s14, s1
	s_cbranch_execnz .LBB150_38
.LBB150_35:                             ;   in Loop: Header=BB150_33 Depth=1
	s_or_b32 exec_lo, exec_lo, s14
	global_load_dwordx4 v[21:24], v[5:6], off offset:1024
	s_and_saveexec_b32 s14, s1
	s_cbranch_execnz .LBB150_39
.LBB150_36:                             ;   in Loop: Header=BB150_33 Depth=1
	s_or_b32 exec_lo, exec_lo, s14
	global_load_dwordx4 v[5:8], v[5:6], off offset:1536
	s_and_saveexec_b32 s3, s1
	s_cbranch_execz .LBB150_32
	s_branch .LBB150_40
.LBB150_37:                             ;   in Loop: Header=BB150_33 Depth=1
	v_cmp_gt_i32_e64 s2, s23, v37
	v_cmp_gt_i32_e32 vcc_lo, s13, v45
	v_cmp_gt_i32_e64 s3, s23, v44
	s_waitcnt vmcnt(0)
	v_cndmask_b32_e64 v7, 0, v1, s2
	v_cmp_gt_i32_e64 s2, s13, v43
	v_cndmask_b32_sdwa v1, v34, v1, vcc_lo dst_sel:DWORD dst_unused:UNUSED_PAD src0_sel:DWORD src1_sel:WORD_1
	v_cndmask_b32_e64 v8, 0, v2, s3
	v_cmp_gt_i32_e64 s3, s13, v42
	s_mov_b32 vcc_lo, s2
	v_cmp_gt_i32_e64 s2, s13, v40
	v_cndmask_b32_sdwa v2, v34, v2, vcc_lo dst_sel:DWORD dst_unused:UNUSED_PAD src0_sel:DWORD src1_sel:WORD_1
	v_cmp_gt_i32_e32 vcc_lo, s23, v41
	v_perm_b32 v1, v1, v7, 0x5040100
	v_perm_b32 v2, v2, v8, 0x5040100
	v_cndmask_b32_e32 v9, 0, v3, vcc_lo
	s_mov_b32 vcc_lo, s3
	v_cndmask_b32_sdwa v3, v34, v3, vcc_lo dst_sel:DWORD dst_unused:UNUSED_PAD src0_sel:DWORD src1_sel:WORD_1
	v_cmp_gt_i32_e32 vcc_lo, s23, v39
	v_perm_b32 v3, v3, v9, 0x5040100
	v_cndmask_b32_e32 v10, 0, v4, vcc_lo
	s_mov_b32 vcc_lo, s2
	v_cndmask_b32_sdwa v4, v34, v4, vcc_lo dst_sel:DWORD dst_unused:UNUSED_PAD src0_sel:DWORD src1_sel:WORD_1
	v_perm_b32 v4, v4, v10, 0x5040100
	s_or_b32 exec_lo, exec_lo, s14
	global_load_dwordx4 v[9:12], v[5:6], off offset:512
	s_and_saveexec_b32 s14, s1
	s_cbranch_execz .LBB150_35
.LBB150_38:                             ;   in Loop: Header=BB150_33 Depth=1
	v_cmp_gt_i32_e64 s2, s23, v37
	v_cmp_gt_i32_e32 vcc_lo, s13, v45
	v_cmp_gt_i32_e64 s3, s23, v44
	s_waitcnt vmcnt(0)
	v_cndmask_b32_e64 v7, 0, v9, s2
	v_cmp_gt_i32_e64 s2, s13, v43
	v_cndmask_b32_sdwa v9, v34, v9, vcc_lo dst_sel:DWORD dst_unused:UNUSED_PAD src0_sel:DWORD src1_sel:WORD_1
	v_cndmask_b32_e64 v8, 0, v10, s3
	v_cmp_gt_i32_e64 s3, s13, v42
	s_mov_b32 vcc_lo, s2
	v_cmp_gt_i32_e64 s2, s13, v40
	v_cndmask_b32_sdwa v10, v34, v10, vcc_lo dst_sel:DWORD dst_unused:UNUSED_PAD src0_sel:DWORD src1_sel:WORD_1
	v_cmp_gt_i32_e32 vcc_lo, s23, v41
	v_perm_b32 v9, v9, v7, 0x5040100
	v_perm_b32 v10, v10, v8, 0x5040100
	v_cndmask_b32_e32 v21, 0, v11, vcc_lo
	s_mov_b32 vcc_lo, s3
	v_cndmask_b32_sdwa v11, v34, v11, vcc_lo dst_sel:DWORD dst_unused:UNUSED_PAD src0_sel:DWORD src1_sel:WORD_1
	v_cmp_gt_i32_e32 vcc_lo, s23, v39
	v_perm_b32 v11, v11, v21, 0x5040100
	v_cndmask_b32_e32 v22, 0, v12, vcc_lo
	s_mov_b32 vcc_lo, s2
	v_cndmask_b32_sdwa v12, v34, v12, vcc_lo dst_sel:DWORD dst_unused:UNUSED_PAD src0_sel:DWORD src1_sel:WORD_1
	v_perm_b32 v12, v12, v22, 0x5040100
	s_or_b32 exec_lo, exec_lo, s14
	global_load_dwordx4 v[21:24], v[5:6], off offset:1024
	s_and_saveexec_b32 s14, s1
	s_cbranch_execz .LBB150_36
.LBB150_39:                             ;   in Loop: Header=BB150_33 Depth=1
	v_cmp_gt_i32_e64 s2, s23, v37
	v_cmp_gt_i32_e32 vcc_lo, s13, v45
	v_cmp_gt_i32_e64 s3, s23, v44
	s_waitcnt vmcnt(0)
	v_cndmask_b32_e64 v7, 0, v21, s2
	v_cmp_gt_i32_e64 s2, s13, v43
	v_cndmask_b32_sdwa v21, v34, v21, vcc_lo dst_sel:DWORD dst_unused:UNUSED_PAD src0_sel:DWORD src1_sel:WORD_1
	v_cndmask_b32_e64 v8, 0, v22, s3
	v_cmp_gt_i32_e64 s3, s13, v42
	s_mov_b32 vcc_lo, s2
	v_cmp_gt_i32_e64 s2, s13, v40
	v_cndmask_b32_sdwa v22, v34, v22, vcc_lo dst_sel:DWORD dst_unused:UNUSED_PAD src0_sel:DWORD src1_sel:WORD_1
	v_cmp_gt_i32_e32 vcc_lo, s23, v41
	v_perm_b32 v21, v21, v7, 0x5040100
	v_perm_b32 v22, v22, v8, 0x5040100
	v_cndmask_b32_e32 v46, 0, v23, vcc_lo
	s_mov_b32 vcc_lo, s3
	v_cndmask_b32_sdwa v23, v34, v23, vcc_lo dst_sel:DWORD dst_unused:UNUSED_PAD src0_sel:DWORD src1_sel:WORD_1
	v_cmp_gt_i32_e32 vcc_lo, s23, v39
	v_perm_b32 v23, v23, v46, 0x5040100
	v_cndmask_b32_e32 v47, 0, v24, vcc_lo
	s_mov_b32 vcc_lo, s2
	v_cndmask_b32_sdwa v24, v34, v24, vcc_lo dst_sel:DWORD dst_unused:UNUSED_PAD src0_sel:DWORD src1_sel:WORD_1
	v_perm_b32 v24, v24, v47, 0x5040100
	s_or_b32 exec_lo, exec_lo, s14
	global_load_dwordx4 v[5:8], v[5:6], off offset:1536
	s_and_saveexec_b32 s3, s1
	s_cbranch_execz .LBB150_32
.LBB150_40:                             ;   in Loop: Header=BB150_33 Depth=1
	v_cmp_gt_i32_e64 s1, s23, v37
	v_cmp_gt_i32_e32 vcc_lo, s13, v45
	v_cmp_gt_i32_e64 s2, s23, v44
	s_waitcnt vmcnt(0)
	v_cndmask_b32_e64 v45, 0, v5, s1
	v_cmp_gt_i32_e64 s1, s13, v43
	v_cndmask_b32_sdwa v5, v34, v5, vcc_lo dst_sel:DWORD dst_unused:UNUSED_PAD src0_sel:DWORD src1_sel:WORD_1
	v_cndmask_b32_e64 v43, 0, v6, s2
	v_cmp_gt_i32_e64 s2, s13, v42
	s_mov_b32 vcc_lo, s1
	v_cmp_gt_i32_e64 s1, s13, v40
	v_cndmask_b32_sdwa v6, v34, v6, vcc_lo dst_sel:DWORD dst_unused:UNUSED_PAD src0_sel:DWORD src1_sel:WORD_1
	v_cmp_gt_i32_e32 vcc_lo, s23, v41
	v_perm_b32 v5, v5, v45, 0x5040100
	v_perm_b32 v6, v6, v43, 0x5040100
	v_cndmask_b32_e32 v41, 0, v7, vcc_lo
	s_mov_b32 vcc_lo, s2
	v_cndmask_b32_sdwa v7, v34, v7, vcc_lo dst_sel:DWORD dst_unused:UNUSED_PAD src0_sel:DWORD src1_sel:WORD_1
	v_cmp_gt_i32_e32 vcc_lo, s23, v39
	v_perm_b32 v7, v7, v41, 0x5040100
	v_cndmask_b32_e32 v39, 0, v8, vcc_lo
	s_mov_b32 vcc_lo, s1
	v_cndmask_b32_sdwa v8, v34, v8, vcc_lo dst_sel:DWORD dst_unused:UNUSED_PAD src0_sel:DWORD src1_sel:WORD_1
	v_perm_b32 v8, v8, v39, 0x5040100
	s_branch .LBB150_32
.LBB150_41:
	s_or_b32 exec_lo, exec_lo, s12
.LBB150_42:
	s_or_b32 exec_lo, exec_lo, s5
	v_lshl_add_u32 v2, v29, 2, 0x120
	v_and_b32_e32 v3, 0x3c0, v0
	s_mov_b32 s1, exec_lo
	s_waitcnt_vscnt null, 0x0
	s_barrier
	v_lshl_add_u32 v1, v28, 9, v2
	buffer_gl0_inv
	v_cmpx_eq_u32_e32 64, v3
	s_cbranch_execz .LBB150_44
; %bb.43:
	v_add_nc_u32_e32 v3, 0xfffffc00, v1
	v_add_nc_u32_e32 v4, 0xfffffc80, v1
	;; [unrolled: 1-line block ×4, first 2 shown]
	ds_write_b32 v3, v33
	ds_write_b32 v4, v32
	;; [unrolled: 1-line block ×4, first 2 shown]
.LBB150_44:
	s_or_b32 exec_lo, exec_lo, s1
	s_waitcnt lgkmcnt(0)
	s_barrier
	buffer_gl0_inv
	s_and_saveexec_b32 s1, s0
	s_cbranch_execz .LBB150_46
; %bb.45:
	ds_read2_b32 v[3:4], v1 offset1:32
	ds_read2_b32 v[5:6], v1 offset0:64 offset1:96
	s_waitcnt lgkmcnt(1)
	v_add_f32_e32 v33, v33, v3
	v_add_f32_e32 v32, v32, v4
	s_waitcnt lgkmcnt(0)
	v_add_f32_e32 v31, v31, v5
	v_add_f32_e32 v30, v30, v6
.LBB150_46:
	s_or_b32 exec_lo, exec_lo, s1
	v_and_b32_e32 v3, 0x3e0, v0
	s_mov_b32 s0, exec_lo
	s_barrier
	buffer_gl0_inv
	v_cmpx_eq_u32_e32 32, v3
	s_cbranch_execz .LBB150_48
; %bb.47:
	ds_write2_b32 v2, v33, v32 offset1:32
	ds_write2_b32 v2, v31, v30 offset0:64 offset1:96
.LBB150_48:
	s_or_b32 exec_lo, exec_lo, s0
	v_cmp_gt_u32_e32 vcc_lo, 32, v0
	s_waitcnt lgkmcnt(0)
	s_barrier
	buffer_gl0_inv
	s_and_saveexec_b32 s0, vcc_lo
	s_cbranch_execz .LBB150_50
; %bb.49:
	ds_read2_b32 v[2:3], v1 offset1:32
	ds_read2_b32 v[4:5], v1 offset0:64 offset1:96
	s_waitcnt lgkmcnt(1)
	v_add_f32_e32 v33, v33, v2
	v_add_f32_e32 v32, v32, v3
	s_waitcnt lgkmcnt(0)
	v_add_f32_e32 v31, v31, v4
	v_add_f32_e32 v30, v30, v5
.LBB150_50:
	s_or_b32 exec_lo, exec_lo, s0
	s_barrier
	buffer_gl0_inv
	s_and_saveexec_b32 s0, vcc_lo
	s_cbranch_execz .LBB150_52
; %bb.51:
	v_bfe_u32 v1, v33, 16, 1
	v_or_b32_e32 v2, 0x400000, v33
	v_bfe_u32 v3, v32, 16, 1
	v_cmp_u_f32_e32 vcc_lo, v33, v33
	s_lshl_b32 s0, s4, 7
	v_add3_u32 v1, v1, v33, 0x7fff
	s_ashr_i32 s1, s0, 31
	v_bfe_u32 v4, v31, 16, 1
	s_lshl_b64 s[0:1], s[0:1], 1
	v_add3_u32 v3, v3, v32, 0x7fff
	v_cndmask_b32_e32 v1, v1, v2, vcc_lo
	v_or_b32_e32 v5, 0x400000, v32
	v_cmp_u_f32_e32 vcc_lo, v32, v32
	s_mul_i32 s2, s7, s10
	s_add_u32 s4, s20, s0
	s_addc_u32 s5, s21, s1
	s_ashr_i32 s3, s2, 31
	v_bfe_u32 v2, v30, 16, 1
	s_lshl_b64 s[0:1], s[2:3], 1
	v_add3_u32 v4, v4, v31, 0x7fff
	v_or_b32_e32 v6, 0x400000, v31
	v_cndmask_b32_e32 v3, v3, v5, vcc_lo
	v_cmp_u_f32_e32 vcc_lo, v31, v31
	s_add_u32 s2, s4, s0
	s_addc_u32 s3, s5, s1
	s_lshl_b32 s0, s8, 7
	v_add3_u32 v2, v2, v30, 0x7fff
	s_ashr_i32 s1, s0, 31
	v_or_b32_e32 v7, 0x400000, v30
	v_cndmask_b32_e32 v4, v4, v6, vcc_lo
	v_cmp_u_f32_e32 vcc_lo, v30, v30
	v_lshlrev_b32_e32 v0, 1, v0
	s_lshl_b64 s[0:1], s[0:1], 1
	s_add_u32 s0, s2, s0
	s_addc_u32 s1, s3, s1
	v_cndmask_b32_e32 v2, v2, v7, vcc_lo
	global_store_short_d16_hi v0, v1, s[0:1]
	global_store_short_d16_hi v0, v3, s[0:1] offset:64
	global_store_short_d16_hi v0, v4, s[0:1] offset:128
	;; [unrolled: 1-line block ×3, first 2 shown]
.LBB150_52:
	s_endpgm
	.section	.rodata,"a",@progbits
	.p2align	6, 0x0
	.amdhsa_kernel _ZN4vllm25paged_attention_v2_kernelI14__hip_bfloat16S1_Li128ELi8ELi128ELNS_18Fp8KVCacheDataTypeE0ELb0ELi512EEEvPfS3_PT_PKS4_PKT0_SA_ifPKiSC_iPKfiiiSE_SE_iiiii
		.amdhsa_group_segment_fixed_size 288
		.amdhsa_private_segment_fixed_size 0
		.amdhsa_kernarg_size 400
		.amdhsa_user_sgpr_count 6
		.amdhsa_user_sgpr_private_segment_buffer 1
		.amdhsa_user_sgpr_dispatch_ptr 0
		.amdhsa_user_sgpr_queue_ptr 0
		.amdhsa_user_sgpr_kernarg_segment_ptr 1
		.amdhsa_user_sgpr_dispatch_id 0
		.amdhsa_user_sgpr_flat_scratch_init 0
		.amdhsa_user_sgpr_private_segment_size 0
		.amdhsa_wavefront_size32 1
		.amdhsa_uses_dynamic_stack 0
		.amdhsa_system_sgpr_private_segment_wavefront_offset 0
		.amdhsa_system_sgpr_workgroup_id_x 1
		.amdhsa_system_sgpr_workgroup_id_y 1
		.amdhsa_system_sgpr_workgroup_id_z 1
		.amdhsa_system_sgpr_workgroup_info 0
		.amdhsa_system_vgpr_workitem_id 0
		.amdhsa_next_free_vgpr 68
		.amdhsa_next_free_sgpr 38
		.amdhsa_reserve_vcc 1
		.amdhsa_reserve_flat_scratch 0
		.amdhsa_float_round_mode_32 0
		.amdhsa_float_round_mode_16_64 0
		.amdhsa_float_denorm_mode_32 3
		.amdhsa_float_denorm_mode_16_64 3
		.amdhsa_dx10_clamp 1
		.amdhsa_ieee_mode 1
		.amdhsa_fp16_overflow 0
		.amdhsa_workgroup_processor_mode 1
		.amdhsa_memory_ordered 1
		.amdhsa_forward_progress 1
		.amdhsa_shared_vgpr_count 0
		.amdhsa_exception_fp_ieee_invalid_op 0
		.amdhsa_exception_fp_denorm_src 0
		.amdhsa_exception_fp_ieee_div_zero 0
		.amdhsa_exception_fp_ieee_overflow 0
		.amdhsa_exception_fp_ieee_underflow 0
		.amdhsa_exception_fp_ieee_inexact 0
		.amdhsa_exception_int_div_zero 0
	.end_amdhsa_kernel
	.section	.text._ZN4vllm25paged_attention_v2_kernelI14__hip_bfloat16S1_Li128ELi8ELi128ELNS_18Fp8KVCacheDataTypeE0ELb0ELi512EEEvPfS3_PT_PKS4_PKT0_SA_ifPKiSC_iPKfiiiSE_SE_iiiii,"axG",@progbits,_ZN4vllm25paged_attention_v2_kernelI14__hip_bfloat16S1_Li128ELi8ELi128ELNS_18Fp8KVCacheDataTypeE0ELb0ELi512EEEvPfS3_PT_PKS4_PKT0_SA_ifPKiSC_iPKfiiiSE_SE_iiiii,comdat
.Lfunc_end150:
	.size	_ZN4vllm25paged_attention_v2_kernelI14__hip_bfloat16S1_Li128ELi8ELi128ELNS_18Fp8KVCacheDataTypeE0ELb0ELi512EEEvPfS3_PT_PKS4_PKT0_SA_ifPKiSC_iPKfiiiSE_SE_iiiii, .Lfunc_end150-_ZN4vllm25paged_attention_v2_kernelI14__hip_bfloat16S1_Li128ELi8ELi128ELNS_18Fp8KVCacheDataTypeE0ELb0ELi512EEEvPfS3_PT_PKS4_PKT0_SA_ifPKiSC_iPKfiiiSE_SE_iiiii
                                        ; -- End function
	.set _ZN4vllm25paged_attention_v2_kernelI14__hip_bfloat16S1_Li128ELi8ELi128ELNS_18Fp8KVCacheDataTypeE0ELb0ELi512EEEvPfS3_PT_PKS4_PKT0_SA_ifPKiSC_iPKfiiiSE_SE_iiiii.num_vgpr, 68
	.set _ZN4vllm25paged_attention_v2_kernelI14__hip_bfloat16S1_Li128ELi8ELi128ELNS_18Fp8KVCacheDataTypeE0ELb0ELi512EEEvPfS3_PT_PKS4_PKT0_SA_ifPKiSC_iPKfiiiSE_SE_iiiii.num_agpr, 0
	.set _ZN4vllm25paged_attention_v2_kernelI14__hip_bfloat16S1_Li128ELi8ELi128ELNS_18Fp8KVCacheDataTypeE0ELb0ELi512EEEvPfS3_PT_PKS4_PKT0_SA_ifPKiSC_iPKfiiiSE_SE_iiiii.numbered_sgpr, 38
	.set _ZN4vllm25paged_attention_v2_kernelI14__hip_bfloat16S1_Li128ELi8ELi128ELNS_18Fp8KVCacheDataTypeE0ELb0ELi512EEEvPfS3_PT_PKS4_PKT0_SA_ifPKiSC_iPKfiiiSE_SE_iiiii.num_named_barrier, 0
	.set _ZN4vllm25paged_attention_v2_kernelI14__hip_bfloat16S1_Li128ELi8ELi128ELNS_18Fp8KVCacheDataTypeE0ELb0ELi512EEEvPfS3_PT_PKS4_PKT0_SA_ifPKiSC_iPKfiiiSE_SE_iiiii.private_seg_size, 0
	.set _ZN4vllm25paged_attention_v2_kernelI14__hip_bfloat16S1_Li128ELi8ELi128ELNS_18Fp8KVCacheDataTypeE0ELb0ELi512EEEvPfS3_PT_PKS4_PKT0_SA_ifPKiSC_iPKfiiiSE_SE_iiiii.uses_vcc, 1
	.set _ZN4vllm25paged_attention_v2_kernelI14__hip_bfloat16S1_Li128ELi8ELi128ELNS_18Fp8KVCacheDataTypeE0ELb0ELi512EEEvPfS3_PT_PKS4_PKT0_SA_ifPKiSC_iPKfiiiSE_SE_iiiii.uses_flat_scratch, 0
	.set _ZN4vllm25paged_attention_v2_kernelI14__hip_bfloat16S1_Li128ELi8ELi128ELNS_18Fp8KVCacheDataTypeE0ELb0ELi512EEEvPfS3_PT_PKS4_PKT0_SA_ifPKiSC_iPKfiiiSE_SE_iiiii.has_dyn_sized_stack, 0
	.set _ZN4vllm25paged_attention_v2_kernelI14__hip_bfloat16S1_Li128ELi8ELi128ELNS_18Fp8KVCacheDataTypeE0ELb0ELi512EEEvPfS3_PT_PKS4_PKT0_SA_ifPKiSC_iPKfiiiSE_SE_iiiii.has_recursion, 0
	.set _ZN4vllm25paged_attention_v2_kernelI14__hip_bfloat16S1_Li128ELi8ELi128ELNS_18Fp8KVCacheDataTypeE0ELb0ELi512EEEvPfS3_PT_PKS4_PKT0_SA_ifPKiSC_iPKfiiiSE_SE_iiiii.has_indirect_call, 0
	.section	.AMDGPU.csdata,"",@progbits
; Kernel info:
; codeLenInByte = 6816
; TotalNumSgprs: 40
; NumVgprs: 68
; ScratchSize: 0
; MemoryBound: 0
; FloatMode: 240
; IeeeMode: 1
; LDSByteSize: 288 bytes/workgroup (compile time only)
; SGPRBlocks: 0
; VGPRBlocks: 8
; NumSGPRsForWavesPerEU: 40
; NumVGPRsForWavesPerEU: 68
; Occupancy: 12
; WaveLimiterHint : 1
; COMPUTE_PGM_RSRC2:SCRATCH_EN: 0
; COMPUTE_PGM_RSRC2:USER_SGPR: 6
; COMPUTE_PGM_RSRC2:TRAP_HANDLER: 0
; COMPUTE_PGM_RSRC2:TGID_X_EN: 1
; COMPUTE_PGM_RSRC2:TGID_Y_EN: 1
; COMPUTE_PGM_RSRC2:TGID_Z_EN: 1
; COMPUTE_PGM_RSRC2:TIDIG_COMP_CNT: 0
	.section	.text._ZN4vllm25paged_attention_v2_kernelI14__hip_bfloat16S1_Li192ELi8ELi128ELNS_18Fp8KVCacheDataTypeE0ELb0ELi512EEEvPfS3_PT_PKS4_PKT0_SA_ifPKiSC_iPKfiiiSE_SE_iiiii,"axG",@progbits,_ZN4vllm25paged_attention_v2_kernelI14__hip_bfloat16S1_Li192ELi8ELi128ELNS_18Fp8KVCacheDataTypeE0ELb0ELi512EEEvPfS3_PT_PKS4_PKT0_SA_ifPKiSC_iPKfiiiSE_SE_iiiii,comdat
	.protected	_ZN4vllm25paged_attention_v2_kernelI14__hip_bfloat16S1_Li192ELi8ELi128ELNS_18Fp8KVCacheDataTypeE0ELb0ELi512EEEvPfS3_PT_PKS4_PKT0_SA_ifPKiSC_iPKfiiiSE_SE_iiiii ; -- Begin function _ZN4vllm25paged_attention_v2_kernelI14__hip_bfloat16S1_Li192ELi8ELi128ELNS_18Fp8KVCacheDataTypeE0ELb0ELi512EEEvPfS3_PT_PKS4_PKT0_SA_ifPKiSC_iPKfiiiSE_SE_iiiii
	.globl	_ZN4vllm25paged_attention_v2_kernelI14__hip_bfloat16S1_Li192ELi8ELi128ELNS_18Fp8KVCacheDataTypeE0ELb0ELi512EEEvPfS3_PT_PKS4_PKT0_SA_ifPKiSC_iPKfiiiSE_SE_iiiii
	.p2align	8
	.type	_ZN4vllm25paged_attention_v2_kernelI14__hip_bfloat16S1_Li192ELi8ELi128ELNS_18Fp8KVCacheDataTypeE0ELb0ELi512EEEvPfS3_PT_PKS4_PKT0_SA_ifPKiSC_iPKfiiiSE_SE_iiiii,@function
_ZN4vllm25paged_attention_v2_kernelI14__hip_bfloat16S1_Li192ELi8ELi128ELNS_18Fp8KVCacheDataTypeE0ELb0ELi512EEEvPfS3_PT_PKS4_PKT0_SA_ifPKiSC_iPKfiiiSE_SE_iiiii: ; @_ZN4vllm25paged_attention_v2_kernelI14__hip_bfloat16S1_Li192ELi8ELi128ELNS_18Fp8KVCacheDataTypeE0ELb0ELi512EEEvPfS3_PT_PKS4_PKT0_SA_ifPKiSC_iPKfiiiSE_SE_iiiii
; %bb.0:
	s_load_dwordx2 s[0:1], s[4:5], 0x40
	s_mov_b32 s22, s7
	s_ashr_i32 s23, s7, 31
	s_lshl_b64 s[2:3], s[22:23], 2
	s_waitcnt lgkmcnt(0)
	s_add_u32 s0, s0, s2
	s_addc_u32 s1, s1, s3
	s_lshl_b32 s33, s8, 9
	s_load_dword s23, s[0:1], 0x0
	s_waitcnt lgkmcnt(0)
	s_cmp_ge_i32 s33, s23
	s_cbranch_scc1 .LBB151_56
; %bb.1:
	s_clause 0x1
	s_load_dword s9, s[4:5], 0x90
	s_load_dwordx2 s[30:31], s[4:5], 0x30
	s_mov_b32 s34, 0
	s_waitcnt lgkmcnt(0)
	s_abs_i32 s3, s9
	s_abs_i32 s0, s30
	v_cvt_f32_u32_e32 v1, s0
	s_sub_i32 s2, 0, s0
	v_rcp_iflag_f32_e32 v1, v1
	v_mul_f32_e32 v1, 0x4f7ffffe, v1
	v_cvt_u32_f32_e32 v1, v1
	v_readfirstlane_b32 s1, v1
	s_mul_i32 s2, s2, s1
	s_mul_hi_u32 s2, s1, s2
	s_add_i32 s1, s1, s2
	s_xor_b32 s2, s9, s30
	s_mul_hi_u32 s1, s3, s1
	s_ashr_i32 s2, s2, 31
	s_mul_i32 s7, s1, s0
	s_sub_i32 s3, s3, s7
	s_add_i32 s7, s1, 1
	s_sub_i32 s10, s3, s0
	s_cmp_ge_u32 s3, s0
	s_cselect_b32 s1, s7, s1
	s_cselect_b32 s3, s10, s3
	s_add_i32 s7, s1, 1
	s_cmp_ge_u32 s3, s0
	s_cselect_b32 s0, s7, s1
	s_abs_i32 s16, s6
	s_xor_b32 s0, s0, s2
	s_sub_i32 s10, s0, s2
	s_load_dwordx2 s[0:1], s[4:5], 0x50
	s_abs_i32 s2, s10
	v_cvt_f32_u32_e32 v1, s2
	s_sub_i32 s7, 0, s2
	v_rcp_iflag_f32_e32 v1, v1
	v_mul_f32_e32 v1, 0x4f7ffffe, v1
	v_cvt_u32_f32_e32 v1, v1
	v_readfirstlane_b32 s3, v1
	s_mul_i32 s7, s7, s3
	s_mul_hi_u32 s7, s3, s7
	s_add_i32 s3, s3, s7
	s_waitcnt lgkmcnt(0)
	s_cmp_eq_u64 s[0:1], 0
	s_mul_hi_u32 s3, s16, s3
	s_cbranch_scc1 .LBB151_3
; %bb.2:
	s_ashr_i32 s7, s6, 31
	s_lshl_b64 s[12:13], s[6:7], 2
	s_add_u32 s0, s0, s12
	s_addc_u32 s1, s1, s13
	s_load_dword s34, s[0:1], 0x0
.LBB151_3:
	s_load_dwordx4 s[12:15], s[4:5], 0x58
	v_and_b32_e32 v58, 3, v0
	v_lshlrev_b32_e32 v59, 2, v0
	s_ashr_i32 s0, s6, 31
	s_ashr_i32 s1, s10, 31
	s_mul_i32 s10, s6, 0xc0
	s_mov_b32 s7, exec_lo
	v_cmpx_gt_u32_e32 0x60, v0
	s_cbranch_execz .LBB151_5
; %bb.4:
	s_load_dwordx2 s[18:19], s[4:5], 0x18
	s_waitcnt lgkmcnt(0)
	s_mul_i32 s20, s12, s22
	v_and_b32_e32 v2, 0x3fc, v0
	s_ashr_i32 s21, s20, 31
	s_lshl_b64 s[20:21], s[20:21], 1
	v_mad_u32_u24 v2, 0x60, v58, v2
	s_add_u32 s12, s18, s20
	s_addc_u32 s15, s19, s21
	s_ashr_i32 s11, s10, 31
	s_lshl_b64 s[18:19], s[10:11], 1
	s_add_u32 s18, s12, s18
	s_addc_u32 s19, s15, s19
	global_load_dword v1, v59, s[18:19]
	s_waitcnt vmcnt(0)
	ds_write_b32 v2, v1
.LBB151_5:
	s_or_b32 exec_lo, exec_lo, s7
	s_add_i32 s7, s23, 7
	s_load_dwordx2 s[24:25], s[4:5], 0x38
	s_waitcnt lgkmcnt(0)
	s_load_dword s15, s[4:5], 0x48
	s_ashr_i32 s11, s7, 31
	s_lshl_b32 s30, s8, 6
	s_lshr_b32 s11, s11, 29
	s_xor_b32 s0, s0, s1
	s_add_i32 s7, s7, s11
	s_add_i32 s1, s30, 64
	s_ashr_i32 s12, s7, 3
	s_mul_i32 s7, s3, s2
	s_min_i32 s11, s1, s12
	s_sub_i32 s1, s16, s7
	s_add_i32 s7, s3, 1
	s_sub_i32 s16, s1, s2
	s_cmp_ge_u32 s1, s2
	v_lshrrev_b32_e32 v36, 5, v0
	s_cselect_b32 s3, s7, s3
	s_cselect_b32 s1, s16, s1
	s_add_i32 s7, s3, 1
	s_cmp_ge_u32 s1, s2
	v_or_b32_e32 v33, s30, v36
	s_cselect_b32 s1, s7, s3
	v_mbcnt_lo_u32_b32 v3, -1, 0
	s_xor_b32 s1, s1, s0
	s_waitcnt lgkmcnt(0)
	s_mul_i32 s26, s15, s22
	s_sub_i32 s1, s1, s0
	v_cmp_gt_i32_e64 s0, s11, v33
	s_ashr_i32 s27, s26, 31
	s_mov_b32 s2, exec_lo
	s_barrier
	buffer_gl0_inv
                                        ; implicit-def: $vgpr4
                                        ; implicit-def: $vgpr5
	v_cmpx_le_i32_e64 s11, v33
	s_xor_b32 s2, exec_lo, s2
; %bb.6:
	v_mov_b32_e32 v4, 0
	v_mbcnt_lo_u32_b32 v3, -1, 0
	v_mov_b32_e32 v5, 32
                                        ; implicit-def: $vgpr59
                                        ; implicit-def: $vgpr58
; %bb.7:
	s_or_saveexec_b32 s35, s2
	s_clause 0x3
	s_load_dwordx4 s[16:19], s[4:5], 0x0
	s_load_dwordx2 s[20:21], s[4:5], 0x10
	s_load_dwordx2 s[28:29], s[4:5], 0x28
	s_load_dword s7, s[4:5], 0x98
	v_mov_b32_e32 v57, 0xff7fffff
	v_ashrrev_i32_e32 v34, 31, v33
	s_mul_i32 s14, s1, s14
	s_xor_b32 exec_lo, exec_lo, s35
	s_cbranch_execz .LBB151_13
; %bb.8:
	s_load_dwordx2 s[2:3], s[4:5], 0x20
	v_bfe_u32 v4, v0, 2, 3
	v_mul_u32_u24_e32 v1, 0x60, v58
	s_ashr_i32 s15, s14, 31
	v_and_b32_e32 v57, 12, v59
	s_lshl_b64 s[4:5], s[14:15], 1
	v_lshlrev_b32_e32 v5, 4, v4
	ds_read_b128 v[10:13], v1
	ds_read_b128 v[18:21], v1 offset:16
	ds_read_b128 v[26:29], v1 offset:32
	ds_read_b128 v[37:40], v1 offset:48
	ds_read_b128 v[45:48], v1 offset:64
	ds_read_b128 v[53:56], v1 offset:80
	v_xor_b32_e32 v59, 2, v3
	v_lshlrev_b64 v[1:2], 2, v[33:34]
	v_xor_b32_e32 v61, 1, v3
	v_lshlrev_b32_e32 v62, 2, v4
	s_mov_b32 s15, s13
	v_lshl_or_b32 v64, v36, 5, v62
	s_waitcnt lgkmcnt(0)
	s_add_u32 s1, s2, s4
	s_addc_u32 s5, s3, s5
	v_add_co_u32 v5, s1, s1, v5
	s_lshl_b64 s[2:3], s[26:27], 2
	s_sub_i32 s4, 1, s23
	v_add_co_ci_u32_e64 v60, null, s5, 0, s1
	v_cmp_gt_i32_e64 s1, 32, v59
	s_add_u32 s2, s24, s2
	s_addc_u32 s3, s25, s3
	v_add_co_u32 v1, vcc_lo, s2, v1
	v_add_co_ci_u32_e64 v2, null, s3, v2, vcc_lo
	v_cmp_eq_u32_e32 vcc_lo, 0, v58
	v_lshlrev_b32_e32 v58, 3, v36
	v_cndmask_b32_e64 v63, v3, v59, s1
	v_cmp_gt_i32_e64 s1, 32, v61
	v_lshlrev_b32_e32 v6, 16, v10
	v_and_b32_e32 v7, 0xffff0000, v10
	v_add3_u32 v58, s33, v58, v4
	v_lshlrev_b32_e32 v8, 16, v11
	v_cndmask_b32_e64 v4, v3, v61, s1
	v_add_co_u32 v59, s1, v5, v57
	v_and_b32_e32 v9, 0xffff0000, v11
	v_lshlrev_b32_e32 v10, 16, v12
	v_and_b32_e32 v11, 0xffff0000, v12
	v_lshlrev_b32_e32 v12, 16, v13
	v_and_b32_e32 v13, 0xffff0000, v13
	v_lshlrev_b32_e32 v14, 16, v18
	v_and_b32_e32 v15, 0xffff0000, v18
	v_lshlrev_b32_e32 v16, 16, v19
	v_and_b32_e32 v17, 0xffff0000, v19
	v_lshlrev_b32_e32 v18, 16, v20
	v_and_b32_e32 v19, 0xffff0000, v20
	v_lshlrev_b32_e32 v20, 16, v21
	v_and_b32_e32 v21, 0xffff0000, v21
	v_lshlrev_b32_e32 v22, 16, v26
	v_and_b32_e32 v23, 0xffff0000, v26
	v_lshlrev_b32_e32 v24, 16, v27
	v_and_b32_e32 v25, 0xffff0000, v27
	v_lshlrev_b32_e32 v26, 16, v28
	v_and_b32_e32 v27, 0xffff0000, v28
	v_lshlrev_b32_e32 v28, 16, v29
	v_and_b32_e32 v29, 0xffff0000, v29
	v_lshlrev_b32_e32 v30, 16, v37
	v_and_b32_e32 v31, 0xffff0000, v37
	v_lshlrev_b32_e32 v32, 16, v38
	v_and_b32_e32 v35, 0xffff0000, v38
	v_lshlrev_b32_e32 v37, 16, v39
	v_and_b32_e32 v38, 0xffff0000, v39
	v_lshlrev_b32_e32 v39, 16, v40
	v_and_b32_e32 v40, 0xffff0000, v40
	v_lshlrev_b32_e32 v41, 16, v45
	v_and_b32_e32 v42, 0xffff0000, v45
	v_lshlrev_b32_e32 v43, 16, v46
	v_and_b32_e32 v44, 0xffff0000, v46
	v_lshlrev_b32_e32 v45, 16, v47
	v_and_b32_e32 v46, 0xffff0000, v47
	v_lshlrev_b32_e32 v47, 16, v48
	v_and_b32_e32 v48, 0xffff0000, v48
	v_lshlrev_b32_e32 v49, 16, v53
	v_and_b32_e32 v50, 0xffff0000, v53
	v_lshlrev_b32_e32 v51, 16, v54
	v_and_b32_e32 v52, 0xffff0000, v54
	v_lshlrev_b32_e32 v53, 16, v55
	v_and_b32_e32 v54, 0xffff0000, v55
	v_lshlrev_b32_e32 v55, 16, v56
	v_and_b32_e32 v56, 0xffff0000, v56
	v_add_co_ci_u32_e64 v60, null, 0, v60, s1
	v_lshlrev_b32_e32 v61, 2, v63
	v_lshlrev_b32_e32 v62, 2, v4
	v_cmp_neq_f32_e64 s1, s34, 0
	v_add_nc_u32_e32 v63, 0x1a0, v64
	v_mov_b32_e32 v4, 0
	v_mov_b32_e32 v5, 32
	;; [unrolled: 1-line block ×4, first 2 shown]
	s_mov_b32 s5, 0
	s_branch .LBB151_10
.LBB151_9:                              ;   in Loop: Header=BB151_10 Depth=1
	s_or_b32 exec_lo, exec_lo, s3
	v_add_nc_u32_e32 v64, 4, v64
	v_add_co_u32 v1, s3, v1, 16
	v_add_nc_u32_e32 v58, 32, v58
	v_add_nc_u32_e32 v63, 0x80, v63
	v_cmp_le_i32_e64 s2, s11, v64
	v_add_co_ci_u32_e64 v2, null, 0, v2, s3
	s_or_b32 s5, s2, s5
	s_andn2_b32 exec_lo, exec_lo, s5
	s_cbranch_execz .LBB151_12
.LBB151_10:                             ; =>This Inner Loop Header: Depth=1
	global_load_dword v65, v[1:2], off
	s_waitcnt vmcnt(0) lgkmcnt(0)
	v_mad_i64_i32 v[65:66], null, v65, s15, 0
	v_lshlrev_b64 v[65:66], 1, v[65:66]
	v_add_co_u32 v65, s2, v59, v65
	v_add_co_ci_u32_e64 v66, null, v60, v66, s2
	s_clause 0xe
	global_load_dword v69, v[65:66], off offset:128
	global_load_dword v70, v[65:66], off offset:256
	;; [unrolled: 1-line block ×7, first 2 shown]
	global_load_dword v76, v[65:66], off
	global_load_dword v77, v[65:66], off offset:1024
	global_load_dword v78, v[65:66], off offset:1152
	global_load_dword v79, v[65:66], off offset:1280
	global_load_dword v80, v[65:66], off offset:1408
	global_load_dword v81, v[65:66], off offset:1536
	global_load_dword v82, v[65:66], off offset:1664
	global_load_dword v83, v[65:66], off offset:1792
	v_add_co_u32 v67, s2, 0x800, v65
	v_add_co_ci_u32_e64 v68, null, 0, v66, s2
	s_clause 0x8
	global_load_dword v65, v[65:66], off offset:1920
	global_load_dword v66, v[67:68], off
	global_load_dword v84, v[67:68], off offset:128
	global_load_dword v85, v[67:68], off offset:256
	;; [unrolled: 1-line block ×7, first 2 shown]
	s_waitcnt vmcnt(23)
	v_lshlrev_b32_e32 v68, 16, v69
	v_and_b32_e32 v69, 0xffff0000, v69
	s_waitcnt vmcnt(22)
	v_lshlrev_b32_e32 v91, 16, v70
	v_and_b32_e32 v70, 0xffff0000, v70
	v_mul_f32_e32 v68, v8, v68
	v_mul_f32_e32 v69, v9, v69
	s_waitcnt vmcnt(16)
	v_lshlrev_b32_e32 v90, 16, v76
	v_and_b32_e32 v76, 0xffff0000, v76
	v_fmac_f32_e32 v68, v6, v90
	v_fmac_f32_e32 v69, v7, v76
	v_lshlrev_b32_e32 v76, 16, v71
	v_and_b32_e32 v71, 0xffff0000, v71
	v_fmac_f32_e32 v68, v10, v91
	v_fmac_f32_e32 v69, v11, v70
	;; [unrolled: 4-line block ×6, first 2 shown]
	s_waitcnt vmcnt(15)
	v_lshlrev_b32_e32 v70, 16, v77
	v_and_b32_e32 v72, 0xffff0000, v77
	v_fmac_f32_e32 v68, v20, v71
	v_fmac_f32_e32 v69, v21, v73
	s_waitcnt vmcnt(14)
	v_lshlrev_b32_e32 v71, 16, v78
	v_and_b32_e32 v73, 0xffff0000, v78
	v_fmac_f32_e32 v68, v22, v70
	v_fmac_f32_e32 v69, v23, v72
	;; [unrolled: 5-line block ×16, first 2 shown]
	v_fmac_f32_e32 v68, v55, v65
	v_fmac_f32_e32 v69, v56, v67
	v_add_f32_e32 v65, v68, v69
	ds_bpermute_b32 v66, v61, v65
	s_waitcnt lgkmcnt(0)
	v_add_f32_e32 v65, v65, v66
	ds_bpermute_b32 v66, v62, v65
	s_and_saveexec_b32 s3, vcc_lo
	s_cbranch_execz .LBB151_9
; %bb.11:                               ;   in Loop: Header=BB151_10 Depth=1
	v_add_nc_u32_e32 v67, s4, v58
	s_waitcnt lgkmcnt(0)
	v_add_f32_e32 v65, v65, v66
	v_cmp_gt_i32_e64 s2, s23, v58
	v_cvt_f32_i32_e32 v67, v67
	v_mul_f32_e32 v67, s34, v67
	v_cndmask_b32_e64 v66, 0, v67, s1
	v_max_f32_e32 v67, v57, v57
	v_fmac_f32_e32 v66, s31, v65
	v_max_f32_e32 v65, v67, v66
	v_cndmask_b32_e64 v66, 0, v66, s2
	v_cndmask_b32_e64 v57, v57, v65, s2
	ds_write_b32 v63, v66
	s_branch .LBB151_9
.LBB151_12:
	s_or_b32 exec_lo, exec_lo, s5
.LBB151_13:
	s_or_b32 exec_lo, exec_lo, s35
	v_xor_b32_e32 v1, 16, v3
	v_xor_b32_e32 v6, 8, v3
	v_max_f32_e32 v7, v57, v57
	v_xor_b32_e32 v8, 4, v3
	v_and_b32_e32 v37, 31, v0
	v_cmp_lt_i32_e32 vcc_lo, v1, v5
	v_cndmask_b32_e32 v1, v3, v1, vcc_lo
	v_cmp_lt_i32_e32 vcc_lo, v6, v5
	v_lshlrev_b32_e32 v2, 2, v1
	v_cndmask_b32_e32 v6, v3, v6, vcc_lo
	v_cmp_lt_i32_e32 vcc_lo, v8, v5
	ds_bpermute_b32 v1, v2, v57
	v_lshlrev_b32_e32 v6, 2, v6
	v_cndmask_b32_e32 v8, v3, v8, vcc_lo
	v_cmp_eq_u32_e32 vcc_lo, 0, v37
	v_lshlrev_b32_e32 v9, 2, v8
	s_waitcnt lgkmcnt(0)
	v_max_f32_e32 v1, v1, v1
	v_max_f32_e32 v1, v7, v1
	ds_bpermute_b32 v7, v6, v1
	s_waitcnt lgkmcnt(0)
	v_max_f32_e32 v7, v7, v7
	v_max_f32_e32 v1, v1, v7
	v_lshlrev_b32_e32 v7, 2, v36
	ds_bpermute_b32 v8, v9, v1
	s_and_saveexec_b32 s1, vcc_lo
	s_cbranch_execz .LBB151_15
; %bb.14:
	s_waitcnt lgkmcnt(0)
	v_max_f32_e32 v8, v8, v8
	v_max_f32_e32 v1, v1, v1
	;; [unrolled: 1-line block ×3, first 2 shown]
	ds_write_b32 v7, v1 offset:384
.LBB151_15:
	s_or_b32 exec_lo, exec_lo, s1
	v_cmp_gt_u32_e64 s1, 4, v37
	v_mov_b32_e32 v1, 0xff7fffff
	s_waitcnt lgkmcnt(0)
	v_lshlrev_b32_e32 v8, 2, v37
	s_barrier
	buffer_gl0_inv
	s_and_saveexec_b32 s2, s1
; %bb.16:
	ds_read_b32 v1, v8 offset:384
; %bb.17:
	s_or_b32 exec_lo, exec_lo, s2
	v_xor_b32_e32 v10, 2, v3
	v_xor_b32_e32 v12, 1, v3
	v_lshlrev_b32_e32 v4, 2, v4
	v_cmp_lt_i32_e64 s2, v10, v5
	v_cndmask_b32_e64 v10, v3, v10, s2
	v_cmp_lt_i32_e64 s2, v12, v5
	v_lshlrev_b32_e32 v10, 2, v10
	v_cndmask_b32_e64 v5, v3, v12, s2
	s_sub_i32 s2, s11, s30
	s_lshl_b32 s2, s2, 3
	s_waitcnt lgkmcnt(0)
	ds_bpermute_b32 v11, v10, v1
	v_max_f32_e32 v1, v1, v1
	v_lshlrev_b32_e32 v5, 2, v5
	s_add_i32 s2, s2, s33
	s_min_i32 s2, s2, s23
	s_sub_i32 s4, s2, s33
	v_cmp_gt_i32_e64 s2, s4, v0
	s_waitcnt lgkmcnt(0)
	v_max_f32_e32 v11, v11, v11
	v_max_f32_e32 v1, v1, v11
	ds_bpermute_b32 v11, v5, v1
	s_waitcnt lgkmcnt(0)
	v_max_f32_e32 v11, v11, v11
	v_max_f32_e32 v1, v1, v11
	v_mov_b32_e32 v11, 0
	ds_bpermute_b32 v1, v4, v1
	v_lshl_add_u32 v4, v0, 2, 0x1a0
	s_and_saveexec_b32 s5, s2
	s_cbranch_execz .LBB151_21
; %bb.18:
	v_lshl_add_u32 v12, v0, 2, 0x1a0
	v_mov_b32_e32 v11, 0
	v_mov_b32_e32 v13, v0
	s_mov_b32 s15, 0
	.p2align	6
.LBB151_19:                             ; =>This Inner Loop Header: Depth=1
	ds_read_b32 v14, v12
	v_add_nc_u32_e32 v13, 0x80, v13
	v_cmp_le_i32_e64 s3, s4, v13
	s_or_b32 s15, s3, s15
	s_waitcnt lgkmcnt(0)
	v_sub_f32_e32 v14, v14, v1
	v_mul_f32_e32 v14, 0x3fb8aa3b, v14
	v_exp_f32_e32 v14, v14
	ds_write_b32 v12, v14
	v_add_f32_e32 v11, v11, v14
	v_add_nc_u32_e32 v12, 0x200, v12
	s_andn2_b32 exec_lo, exec_lo, s15
	s_cbranch_execnz .LBB151_19
; %bb.20:
	s_or_b32 exec_lo, exec_lo, s15
.LBB151_21:
	s_or_b32 exec_lo, exec_lo, s5
	ds_bpermute_b32 v2, v2, v11
	s_waitcnt lgkmcnt(0)
	v_add_f32_e32 v2, v11, v2
	ds_bpermute_b32 v6, v6, v2
	s_waitcnt lgkmcnt(0)
	v_add_f32_e32 v2, v2, v6
	;; [unrolled: 3-line block ×5, first 2 shown]
	s_and_saveexec_b32 s3, vcc_lo
; %bb.22:
	ds_write_b32 v7, v2 offset:400
; %bb.23:
	s_or_b32 exec_lo, exec_lo, s3
	s_waitcnt lgkmcnt(0)
	s_barrier
	buffer_gl0_inv
	s_and_saveexec_b32 s3, s1
; %bb.24:
	ds_read_b32 v2, v8 offset:400
; %bb.25:
	s_or_b32 exec_lo, exec_lo, s3
	s_waitcnt lgkmcnt(0)
	ds_bpermute_b32 v6, v10, v2
	v_lshlrev_b32_e32 v3, 2, v3
	v_and_b32_e32 v3, 0xffffff80, v3
	s_waitcnt lgkmcnt(0)
	v_add_f32_e32 v2, v2, v6
	ds_bpermute_b32 v5, v5, v2
	s_waitcnt lgkmcnt(0)
	v_add_f32_e32 v2, v2, v5
	ds_bpermute_b32 v2, v3, v2
	s_and_saveexec_b32 s1, s2
	s_cbranch_execz .LBB151_28
; %bb.26:
	s_waitcnt lgkmcnt(0)
	v_add_f32_e32 v3, 0x358637bd, v2
	s_mov_b32 s2, 0
	v_div_scale_f32 v5, null, v3, v3, 1.0
	v_div_scale_f32 v8, vcc_lo, 1.0, v3, 1.0
	v_rcp_f32_e32 v6, v5
	v_fma_f32 v7, -v5, v6, 1.0
	v_fmac_f32_e32 v6, v7, v6
	v_mul_f32_e32 v7, v8, v6
	v_fma_f32 v9, -v5, v7, v8
	v_fmac_f32_e32 v7, v9, v6
	v_fma_f32 v5, -v5, v7, v8
	v_div_fmas_f32 v5, v5, v6, v7
	v_div_fixup_f32 v3, v5, v3, 1.0
	v_mov_b32_e32 v5, v0
.LBB151_27:                             ; =>This Inner Loop Header: Depth=1
	ds_read_b32 v6, v4
	v_add_nc_u32_e32 v5, 0x80, v5
	v_cmp_le_i32_e32 vcc_lo, s4, v5
	s_or_b32 s2, vcc_lo, s2
	s_waitcnt lgkmcnt(0)
	v_mul_f32_e32 v6, v3, v6
	ds_write_b32 v4, v6
	v_add_nc_u32_e32 v4, 0x200, v4
	s_andn2_b32 exec_lo, exec_lo, s2
	s_cbranch_execnz .LBB151_27
.LBB151_28:
	s_or_b32 exec_lo, exec_lo, s1
	s_mul_i32 s1, s7, s22
	s_waitcnt lgkmcnt(0)
	s_mul_i32 s4, s1, s9
	s_mov_b32 s1, exec_lo
	s_barrier
	buffer_gl0_inv
	v_cmpx_eq_u32_e32 0, v0
	s_cbranch_execz .LBB151_30
; %bb.29:
	s_ashr_i32 s5, s4, 31
	s_mul_i32 s30, s7, s6
	s_lshl_b64 s[2:3], s[4:5], 2
	v_mov_b32_e32 v3, 0
	s_add_u32 s5, s18, s2
	s_addc_u32 s6, s19, s3
	s_ashr_i32 s31, s30, 31
	s_lshl_b64 s[18:19], s[30:31], 2
	s_add_u32 s5, s5, s18
	s_addc_u32 s6, s6, s19
	s_ashr_i32 s9, s8, 31
	s_lshl_b64 s[30:31], s[8:9], 2
	s_add_u32 s34, s5, s30
	s_addc_u32 s35, s6, s31
	s_add_u32 s2, s16, s2
	s_addc_u32 s3, s17, s3
	;; [unrolled: 2-line block ×4, first 2 shown]
	global_store_dword v3, v1, s[34:35]
	global_store_dword v3, v2, s[2:3]
.LBB151_30:
	s_or_b32 exec_lo, exec_lo, s1
	v_mov_b32_e32 v43, 0
	v_mov_b32_e32 v42, 0
	;; [unrolled: 1-line block ×6, first 2 shown]
	s_and_saveexec_b32 s3, s0
	s_cbranch_execz .LBB151_46
; %bb.31:
	s_ashr_i32 s15, s14, 31
	v_lshlrev_b32_e32 v1, 4, v37
	s_lshl_b64 s[0:1], s[14:15], 1
	v_mov_b32_e32 v44, 0
	s_add_u32 s0, s28, s0
	s_addc_u32 s1, s29, s1
	v_add_co_u32 v45, s0, s0, v1
	v_lshlrev_b64 v[1:2], 2, v[33:34]
	v_add_co_ci_u32_e64 v46, null, s1, 0, s0
	s_lshl_b64 s[0:1], s[26:27], 2
	s_add_i32 s5, s12, -1
	s_add_u32 s0, s24, s0
	s_addc_u32 s1, s25, s1
	v_add_co_u32 v34, vcc_lo, s0, v1
	v_lshl_add_u32 v47, v36, 3, s33
	v_lshl_add_u32 v48, v36, 5, 0x1a0
	v_add_co_ci_u32_e64 v35, null, s1, v2, vcc_lo
	v_mov_b32_e32 v38, 0
	v_mov_b32_e32 v39, 0
	;; [unrolled: 1-line block ×6, first 2 shown]
	s_mov_b32 s6, s13
	s_mov_b32 s12, s23
	;; [unrolled: 1-line block ×3, first 2 shown]
	s_branch .LBB151_33
.LBB151_32:                             ;   in Loop: Header=BB151_33 Depth=1
	s_or_b32 exec_lo, exec_lo, s2
	s_waitcnt lgkmcnt(1)
	v_bfe_u32 v49, v25, 16, 1
	v_bfe_u32 v50, v26, 16, 1
	v_or_b32_e32 v51, 0x400000, v25
	v_cmp_u_f32_e32 vcc_lo, v25, v25
	v_or_b32_e32 v52, 0x400000, v26
	v_add3_u32 v49, v49, v25, 0x7fff
	v_bfe_u32 v53, v27, 16, 1
	v_add3_u32 v50, v50, v26, 0x7fff
	v_bfe_u32 v54, v28, 16, 1
	s_waitcnt vmcnt(1)
	v_and_b32_e32 v56, 0xffff0000, v32
	v_cndmask_b32_e32 v25, v49, v51, vcc_lo
	v_cmp_u_f32_e32 vcc_lo, v26, v26
	v_add3_u32 v49, v53, v27, 0x7fff
	v_add3_u32 v51, v54, v28, 0x7fff
	s_waitcnt lgkmcnt(0)
	v_bfe_u32 v53, v21, 16, 1
	v_and_b32_e32 v25, 0xffff0000, v25
	v_cndmask_b32_e32 v26, v50, v52, vcc_lo
	v_or_b32_e32 v50, 0x400000, v27
	v_cmp_u_f32_e32 vcc_lo, v27, v27
	v_or_b32_e32 v52, 0x400000, v28
	v_lshlrev_b32_e32 v32, 16, v32
	v_add_nc_u32_e32 v33, 4, v33
	v_add_co_u32 v34, s0, v34, 16
	v_cndmask_b32_e32 v27, v49, v50, vcc_lo
	v_cmp_u_f32_e32 vcc_lo, v28, v28
	v_bfe_u32 v49, v22, 16, 1
	v_add3_u32 v50, v53, v21, 0x7fff
	v_bfe_u32 v53, v23, 16, 1
	v_add_nc_u32_e32 v47, 32, v47
	v_cndmask_b32_e32 v28, v51, v52, vcc_lo
	v_or_b32_e32 v51, 0x400000, v21
	v_cmp_u_f32_e32 vcc_lo, v21, v21
	v_add3_u32 v49, v49, v22, 0x7fff
	v_or_b32_e32 v52, 0x400000, v22
	v_and_b32_e32 v21, 0xffff0000, v26
	v_and_b32_e32 v26, 0xffff0000, v29
	v_cndmask_b32_e32 v50, v50, v51, vcc_lo
	v_cmp_u_f32_e32 vcc_lo, v22, v22
	v_add3_u32 v22, v53, v23, 0x7fff
	v_bfe_u32 v51, v24, 16, 1
	v_lshlrev_b32_e32 v29, 16, v29
	v_mul_f32_e32 v26, v21, v26
	v_cndmask_b32_e32 v49, v49, v52, vcc_lo
	v_or_b32_e32 v52, 0x400000, v23
	v_cmp_u_f32_e32 vcc_lo, v23, v23
	v_add3_u32 v51, v51, v24, 0x7fff
	v_or_b32_e32 v53, 0x400000, v24
	v_mul_f32_e32 v29, v25, v29
	v_bfe_u32 v23, v26, 16, 1
	v_cndmask_b32_e32 v52, v22, v52, vcc_lo
	v_cmp_u_f32_e32 vcc_lo, v24, v24
	v_and_b32_e32 v22, 0xffff0000, v28
	v_and_b32_e32 v28, 0xffff0000, v30
	v_add3_u32 v23, v23, v26, 0x7fff
	v_or_b32_e32 v54, 0x400000, v29
	v_cndmask_b32_e32 v24, v51, v53, vcc_lo
	v_bfe_u32 v51, v29, 16, 1
	v_or_b32_e32 v53, 0x400000, v26
	v_cmp_u_f32_e32 vcc_lo, v26, v26
	v_mul_f32_e32 v55, v22, v28
	v_and_b32_e32 v28, 0xffff0000, v27
	v_add3_u32 v51, v51, v29, 0x7fff
	v_lshlrev_b32_e32 v27, 16, v30
	v_cndmask_b32_e32 v30, v23, v53, vcc_lo
	v_cmp_u_f32_e32 vcc_lo, v29, v29
	v_and_b32_e32 v23, 0xffff0000, v49
	v_and_b32_e32 v49, 0xffff0000, v31
	v_mul_f32_e32 v27, v28, v27
	v_and_b32_e32 v26, 0xffff0000, v50
	v_cndmask_b32_e32 v29, v51, v54, vcc_lo
	v_bfe_u32 v51, v55, 16, 1
	v_lshlrev_b32_e32 v31, 16, v31
	v_bfe_u32 v53, v27, 16, 1
	v_mul_f32_e32 v49, v23, v49
	v_cmp_u_f32_e32 vcc_lo, v55, v55
	v_add3_u32 v50, v51, v55, 0x7fff
	v_or_b32_e32 v51, 0x400000, v55
	v_mul_f32_e32 v31, v26, v31
	v_bfe_u32 v54, v49, 16, 1
	v_and_b32_e32 v24, 0xffff0000, v24
	v_and_b32_e32 v29, 0xffff0000, v29
	v_cndmask_b32_e32 v50, v50, v51, vcc_lo
	v_add3_u32 v51, v53, v27, 0x7fff
	v_or_b32_e32 v53, 0x400000, v27
	v_cmp_u_f32_e32 vcc_lo, v27, v27
	v_bfe_u32 v55, v31, 16, 1
	v_mul_f32_e32 v56, v24, v56
	v_and_b32_e32 v27, 0xffff0000, v52
	v_or_b32_e32 v52, 0x400000, v31
	v_cndmask_b32_e32 v51, v51, v53, vcc_lo
	v_add3_u32 v53, v54, v49, 0x7fff
	v_or_b32_e32 v54, 0x400000, v49
	v_cmp_u_f32_e32 vcc_lo, v49, v49
	v_add3_u32 v55, v55, v31, 0x7fff
	v_bfe_u32 v57, v56, 16, 1
	v_mul_f32_e32 v32, v27, v32
	v_and_b32_e32 v30, 0xffff0000, v30
	v_cndmask_b32_e32 v49, v53, v54, vcc_lo
	v_cmp_u_f32_e32 vcc_lo, v31, v31
	v_or_b32_e32 v53, 0x400000, v56
	v_bfe_u32 v54, v32, 16, 1
	v_and_b32_e32 v51, 0xffff0000, v51
	v_and_b32_e32 v50, 0xffff0000, v50
	v_cndmask_b32_e32 v31, v55, v52, vcc_lo
	v_add3_u32 v52, v57, v56, 0x7fff
	v_cmp_u_f32_e32 vcc_lo, v56, v56
	v_add_f32_e32 v29, v29, v30
	v_add_f32_e32 v30, v51, v50
	v_and_b32_e32 v50, 0xffff0000, v17
	v_and_b32_e32 v31, 0xffff0000, v31
	v_cndmask_b32_e32 v52, v52, v53, vcc_lo
	v_add3_u32 v53, v54, v32, 0x7fff
	v_or_b32_e32 v54, 0x400000, v32
	v_cmp_u_f32_e32 vcc_lo, v32, v32
	v_and_b32_e32 v49, 0xffff0000, v49
	v_lshlrev_b32_e32 v17, 16, v17
	v_add_f32_e32 v29, v30, v29
	v_mul_f32_e32 v30, v21, v50
	v_cndmask_b32_e32 v32, v53, v54, vcc_lo
	v_add_f32_e32 v31, v31, v49
	v_mul_f32_e32 v17, v25, v17
	v_and_b32_e32 v49, 0xffff0000, v52
	v_bfe_u32 v50, v30, 16, 1
	v_and_b32_e32 v32, 0xffff0000, v32
	v_add_f32_e32 v29, v31, v29
	v_bfe_u32 v31, v17, 16, 1
	v_and_b32_e32 v51, 0xffff0000, v18
	v_cmp_u_f32_e32 vcc_lo, v30, v30
	v_add_f32_e32 v32, v32, v49
	v_add3_u32 v49, v50, v30, 0x7fff
	v_or_b32_e32 v50, 0x400000, v30
	v_add3_u32 v31, v31, v17, 0x7fff
	v_mul_f32_e32 v51, v22, v51
	v_or_b32_e32 v52, 0x400000, v17
	v_lshlrev_b32_e32 v18, 16, v18
	v_cndmask_b32_e32 v30, v49, v50, vcc_lo
	v_cmp_u_f32_e32 vcc_lo, v17, v17
	v_bfe_u32 v49, v51, 16, 1
	v_or_b32_e32 v50, 0x400000, v51
	v_mul_f32_e32 v18, v28, v18
	v_and_b32_e32 v53, 0xffff0000, v20
	v_cndmask_b32_e32 v17, v31, v52, vcc_lo
	v_and_b32_e32 v31, 0xffff0000, v19
	v_add3_u32 v49, v49, v51, 0x7fff
	v_lshlrev_b32_e32 v19, 16, v19
	v_bfe_u32 v52, v18, 16, 1
	v_cmp_u_f32_e32 vcc_lo, v51, v51
	v_mul_f32_e32 v31, v23, v31
	v_or_b32_e32 v51, 0x400000, v18
	v_mul_f32_e32 v19, v26, v19
	v_lshlrev_b32_e32 v20, 16, v20
	v_cndmask_b32_e32 v49, v49, v50, vcc_lo
	v_add3_u32 v50, v52, v18, 0x7fff
	v_bfe_u32 v52, v31, 16, 1
	v_cmp_u_f32_e32 vcc_lo, v18, v18
	v_bfe_u32 v54, v19, 16, 1
	v_mul_f32_e32 v20, v27, v20
	v_and_b32_e32 v17, 0xffff0000, v17
	v_and_b32_e32 v30, 0xffff0000, v30
	v_cndmask_b32_e32 v18, v50, v51, vcc_lo
	v_add3_u32 v50, v52, v31, 0x7fff
	v_mul_f32_e32 v51, v24, v53
	v_or_b32_e32 v52, 0x400000, v31
	v_cmp_u_f32_e32 vcc_lo, v31, v31
	v_add3_u32 v53, v54, v19, 0x7fff
	v_or_b32_e32 v54, 0x400000, v19
	v_bfe_u32 v55, v51, 16, 1
	v_and_b32_e32 v18, 0xffff0000, v18
	v_cndmask_b32_e32 v31, v50, v52, vcc_lo
	v_cmp_u_f32_e32 vcc_lo, v19, v19
	v_or_b32_e32 v52, 0x400000, v51
	v_add3_u32 v50, v55, v51, 0x7fff
	v_and_b32_e32 v49, 0xffff0000, v49
	v_add_f32_e32 v17, v17, v30
	v_cndmask_b32_e32 v19, v53, v54, vcc_lo
	v_bfe_u32 v53, v20, 16, 1
	v_cmp_u_f32_e32 vcc_lo, v51, v51
	v_add_f32_e32 v18, v18, v49
	v_and_b32_e32 v30, 0xffff0000, v31
	v_and_b32_e32 v19, 0xffff0000, v19
	v_add3_u32 v51, v53, v20, 0x7fff
	v_cndmask_b32_e32 v50, v50, v52, vcc_lo
	v_or_b32_e32 v52, 0x400000, v20
	v_cmp_u_f32_e32 vcc_lo, v20, v20
	v_add_f32_e32 v17, v18, v17
	v_and_b32_e32 v18, 0xffff0000, v13
	v_add_f32_e32 v19, v19, v30
	v_lshlrev_b32_e32 v13, 16, v13
	v_cndmask_b32_e32 v20, v51, v52, vcc_lo
	v_and_b32_e32 v30, 0xffff0000, v50
	v_mul_f32_e32 v18, v21, v18
	v_add_f32_e32 v29, v32, v29
	v_mul_f32_e32 v31, v25, v13
	v_and_b32_e32 v20, 0xffff0000, v20
	v_add_f32_e32 v13, v19, v17
	v_bfe_u32 v19, v18, 16, 1
	v_add_f32_e32 v39, v39, v29
	v_and_b32_e32 v29, 0xffff0000, v14
	v_add_f32_e32 v17, v20, v30
	v_bfe_u32 v20, v31, 16, 1
	v_cmp_u_f32_e32 vcc_lo, v18, v18
	v_or_b32_e32 v30, 0x400000, v31
	v_mul_f32_e32 v29, v22, v29
	v_add_f32_e32 v13, v17, v13
	v_add3_u32 v17, v19, v18, 0x7fff
	v_or_b32_e32 v19, 0x400000, v18
	v_add3_u32 v20, v20, v31, 0x7fff
	v_lshlrev_b32_e32 v14, 16, v14
	v_bfe_u32 v18, v29, 16, 1
	v_and_b32_e32 v32, 0xffff0000, v16
	v_cndmask_b32_e32 v17, v17, v19, vcc_lo
	v_cmp_u_f32_e32 vcc_lo, v31, v31
	v_mul_f32_e32 v14, v28, v14
	v_add3_u32 v18, v18, v29, 0x7fff
	v_lshlrev_b32_e32 v16, 16, v16
	v_and_b32_e32 v17, 0xffff0000, v17
	v_cndmask_b32_e32 v19, v20, v30, vcc_lo
	v_and_b32_e32 v20, 0xffff0000, v15
	v_or_b32_e32 v30, 0x400000, v29
	v_lshlrev_b32_e32 v15, 16, v15
	v_bfe_u32 v31, v14, 16, 1
	v_cmp_u_f32_e32 vcc_lo, v29, v29
	v_mul_f32_e32 v20, v23, v20
	v_mul_f32_e32 v16, v27, v16
	;; [unrolled: 1-line block ×3, first 2 shown]
	v_add3_u32 v29, v31, v14, 0x7fff
	v_cndmask_b32_e32 v18, v18, v30, vcc_lo
	v_or_b32_e32 v30, 0x400000, v14
	v_bfe_u32 v31, v20, 16, 1
	v_cmp_u_f32_e32 vcc_lo, v14, v14
	v_bfe_u32 v49, v15, 16, 1
	v_and_b32_e32 v19, 0xffff0000, v19
	v_and_b32_e32 v18, 0xffff0000, v18
	v_add_f32_e32 v40, v40, v13
	v_cndmask_b32_e32 v14, v29, v30, vcc_lo
	v_add3_u32 v29, v31, v20, 0x7fff
	v_mul_f32_e32 v30, v24, v32
	v_or_b32_e32 v31, 0x400000, v20
	v_cmp_u_f32_e32 vcc_lo, v20, v20
	v_add3_u32 v32, v49, v15, 0x7fff
	v_or_b32_e32 v49, 0x400000, v15
	v_bfe_u32 v50, v30, 16, 1
	v_and_b32_e32 v14, 0xffff0000, v14
	v_cndmask_b32_e32 v20, v29, v31, vcc_lo
	v_cmp_u_f32_e32 vcc_lo, v15, v15
	v_or_b32_e32 v31, 0x400000, v30
	v_add3_u32 v29, v50, v30, 0x7fff
	v_add_f32_e32 v17, v19, v17
	v_add_f32_e32 v14, v14, v18
	v_cndmask_b32_e32 v15, v32, v49, vcc_lo
	v_bfe_u32 v32, v16, 16, 1
	v_cmp_u_f32_e32 vcc_lo, v30, v30
	v_and_b32_e32 v19, 0xffff0000, v5
	v_and_b32_e32 v18, 0xffff0000, v20
	;; [unrolled: 1-line block ×3, first 2 shown]
	v_add3_u32 v30, v32, v16, 0x7fff
	v_cndmask_b32_e32 v29, v29, v31, vcc_lo
	v_or_b32_e32 v31, 0x400000, v16
	v_cmp_u_f32_e32 vcc_lo, v16, v16
	v_lshlrev_b32_e32 v5, 16, v5
	v_add_f32_e32 v14, v14, v17
	v_mul_f32_e32 v17, v21, v19
	v_add_f32_e32 v15, v15, v18
	v_cndmask_b32_e32 v16, v30, v31, vcc_lo
	v_mul_f32_e32 v18, v25, v5
	v_and_b32_e32 v19, 0xffff0000, v29
	v_and_b32_e32 v20, 0xffff0000, v6
	v_bfe_u32 v29, v17, 16, 1
	v_and_b32_e32 v16, 0xffff0000, v16
	v_add_f32_e32 v5, v15, v14
	v_bfe_u32 v15, v18, 16, 1
	v_cmp_u_f32_e32 vcc_lo, v17, v17
	v_lshlrev_b32_e32 v6, 16, v6
	v_add_f32_e32 v14, v16, v19
	v_mul_f32_e32 v16, v22, v20
	v_add3_u32 v19, v29, v17, 0x7fff
	v_or_b32_e32 v20, 0x400000, v17
	v_add3_u32 v15, v15, v18, 0x7fff
	v_or_b32_e32 v29, 0x400000, v18
	v_bfe_u32 v30, v16, 16, 1
	v_mul_f32_e32 v6, v28, v6
	v_cndmask_b32_e32 v17, v19, v20, vcc_lo
	v_cmp_u_f32_e32 vcc_lo, v18, v18
	v_or_b32_e32 v19, 0x400000, v16
	v_add3_u32 v18, v30, v16, 0x7fff
	v_and_b32_e32 v20, 0xffff0000, v7
	v_lshlrev_b32_e32 v7, 16, v7
	v_cndmask_b32_e32 v15, v15, v29, vcc_lo
	v_cmp_u_f32_e32 vcc_lo, v16, v16
	v_bfe_u32 v29, v6, 16, 1
	v_and_b32_e32 v17, 0xffff0000, v17
	v_mul_f32_e32 v7, v26, v7
	v_and_b32_e32 v15, 0xffff0000, v15
	v_cndmask_b32_e32 v16, v18, v19, vcc_lo
	v_mul_f32_e32 v18, v23, v20
	v_add3_u32 v19, v29, v6, 0x7fff
	v_or_b32_e32 v20, 0x400000, v6
	v_and_b32_e32 v29, 0xffff0000, v8
	v_cmp_u_f32_e32 vcc_lo, v6, v6
	v_bfe_u32 v30, v18, 16, 1
	v_bfe_u32 v31, v7, 16, 1
	v_lshlrev_b32_e32 v8, 16, v8
	v_and_b32_e32 v16, 0xffff0000, v16
	v_cndmask_b32_e32 v6, v19, v20, vcc_lo
	v_mul_f32_e32 v19, v24, v29
	v_add3_u32 v20, v30, v18, 0x7fff
	v_or_b32_e32 v29, 0x400000, v18
	v_cmp_u_f32_e32 vcc_lo, v18, v18
	v_add3_u32 v30, v31, v7, 0x7fff
	v_or_b32_e32 v31, 0x400000, v7
	v_bfe_u32 v32, v19, 16, 1
	v_and_b32_e32 v6, 0xffff0000, v6
	v_cndmask_b32_e32 v18, v20, v29, vcc_lo
	v_cmp_u_f32_e32 vcc_lo, v7, v7
	v_or_b32_e32 v29, 0x400000, v19
	v_add3_u32 v20, v32, v19, 0x7fff
	v_mul_f32_e32 v8, v27, v8
	v_add_f32_e32 v15, v15, v17
	v_cndmask_b32_e32 v7, v30, v31, vcc_lo
	v_cmp_u_f32_e32 vcc_lo, v19, v19
	v_add_f32_e32 v6, v6, v16
	v_and_b32_e32 v16, 0xffff0000, v1
	v_and_b32_e32 v17, 0xffff0000, v18
	;; [unrolled: 1-line block ×3, first 2 shown]
	v_cndmask_b32_e32 v19, v20, v29, vcc_lo
	v_bfe_u32 v20, v8, 16, 1
	v_add_f32_e32 v6, v6, v15
	v_mul_f32_e32 v15, v21, v16
	v_add_f32_e32 v7, v7, v17
	v_lshlrev_b32_e32 v1, 16, v1
	v_add3_u32 v18, v20, v8, 0x7fff
	v_or_b32_e32 v20, 0x400000, v8
	v_cmp_u_f32_e32 vcc_lo, v8, v8
	v_bfe_u32 v16, v15, 16, 1
	v_add_f32_e32 v6, v7, v6
	v_and_b32_e32 v7, 0xffff0000, v2
	v_mul_f32_e32 v1, v25, v1
	v_cndmask_b32_e32 v8, v18, v20, vcc_lo
	v_add3_u32 v16, v16, v15, 0x7fff
	v_or_b32_e32 v17, 0x400000, v15
	v_mul_f32_e32 v7, v22, v7
	v_and_b32_e32 v18, 0xffff0000, v19
	v_bfe_u32 v19, v1, 16, 1
	v_cmp_u_f32_e32 vcc_lo, v15, v15
	v_lshlrev_b32_e32 v2, 16, v2
	v_or_b32_e32 v20, 0x400000, v1
	v_or_b32_e32 v29, 0x400000, v7
	v_and_b32_e32 v8, 0xffff0000, v8
	v_cndmask_b32_e32 v15, v16, v17, vcc_lo
	v_bfe_u32 v16, v7, 16, 1
	v_add3_u32 v17, v19, v1, 0x7fff
	v_and_b32_e32 v19, 0xffff0000, v3
	v_mul_f32_e32 v2, v28, v2
	v_cmp_u_f32_e32 vcc_lo, v1, v1
	v_add3_u32 v16, v16, v7, 0x7fff
	v_lshlrev_b32_e32 v3, 16, v3
	v_mul_f32_e32 v19, v23, v19
	v_and_b32_e32 v15, 0xffff0000, v15
	v_cndmask_b32_e32 v1, v17, v20, vcc_lo
	v_bfe_u32 v17, v2, 16, 1
	v_cmp_u_f32_e32 vcc_lo, v7, v7
	v_and_b32_e32 v20, 0xffff0000, v4
	v_mul_f32_e32 v3, v26, v3
	v_or_b32_e32 v30, 0x400000, v19
	v_add3_u32 v17, v17, v2, 0x7fff
	v_cndmask_b32_e32 v7, v16, v29, vcc_lo
	v_bfe_u32 v16, v19, 16, 1
	v_or_b32_e32 v29, 0x400000, v2
	v_cmp_u_f32_e32 vcc_lo, v2, v2
	v_mul_f32_e32 v20, v24, v20
	v_lshlrev_b32_e32 v4, 16, v4
	v_add3_u32 v16, v16, v19, 0x7fff
	v_and_b32_e32 v1, 0xffff0000, v1
	v_cndmask_b32_e32 v2, v17, v29, vcc_lo
	v_bfe_u32 v17, v3, 16, 1
	v_cmp_u_f32_e32 vcc_lo, v19, v19
	v_bfe_u32 v29, v20, 16, 1
	v_or_b32_e32 v19, 0x400000, v3
	v_mul_f32_e32 v4, v27, v4
	v_add3_u32 v17, v17, v3, 0x7fff
	v_cndmask_b32_e32 v16, v16, v30, vcc_lo
	v_cmp_u_f32_e32 vcc_lo, v3, v3
	v_add3_u32 v29, v29, v20, 0x7fff
	v_or_b32_e32 v30, 0x400000, v20
	v_and_b32_e32 v2, 0xffff0000, v2
	v_and_b32_e32 v7, 0xffff0000, v7
	v_cndmask_b32_e32 v3, v17, v19, vcc_lo
	v_cmp_u_f32_e32 vcc_lo, v20, v20
	v_bfe_u32 v19, v4, 16, 1
	v_add_f32_e32 v1, v1, v15
	v_add_f32_e32 v2, v2, v7
	v_and_b32_e32 v3, 0xffff0000, v3
	v_cndmask_b32_e32 v17, v29, v30, vcc_lo
	s_waitcnt vmcnt(0)
	v_lshlrev_b32_e32 v29, 16, v9
	v_and_b32_e32 v7, 0xffff0000, v16
	v_and_b32_e32 v9, 0xffff0000, v9
	v_add3_u32 v19, v19, v4, 0x7fff
	v_or_b32_e32 v20, 0x400000, v4
	v_mul_f32_e32 v15, v25, v29
	v_cmp_u_f32_e32 vcc_lo, v4, v4
	v_add_f32_e32 v1, v2, v1
	v_add_f32_e32 v3, v3, v7
	v_mul_f32_e32 v7, v21, v9
	v_bfe_u32 v2, v15, 16, 1
	v_lshlrev_b32_e32 v9, 16, v10
	v_cndmask_b32_e32 v4, v19, v20, vcc_lo
	v_or_b32_e32 v16, 0x400000, v15
	v_bfe_u32 v19, v7, 16, 1
	v_add3_u32 v2, v2, v15, 0x7fff
	v_mul_f32_e32 v9, v28, v9
	v_and_b32_e32 v10, 0xffff0000, v10
	v_cmp_u_f32_e32 vcc_lo, v15, v15
	v_add3_u32 v15, v19, v7, 0x7fff
	v_lshlrev_b32_e32 v20, 16, v11
	v_bfe_u32 v19, v9, 16, 1
	v_mul_f32_e32 v10, v22, v10
	v_cndmask_b32_e32 v2, v2, v16, vcc_lo
	v_or_b32_e32 v16, 0x400000, v7
	v_cmp_u_f32_e32 vcc_lo, v7, v7
	v_mul_f32_e32 v20, v26, v20
	v_and_b32_e32 v11, 0xffff0000, v11
	v_lshlrev_b32_e32 v21, 16, v12
	v_and_b32_e32 v12, 0xffff0000, v12
	v_cndmask_b32_e32 v7, v15, v16, vcc_lo
	v_add3_u32 v15, v19, v9, 0x7fff
	v_or_b32_e32 v16, 0x400000, v9
	v_bfe_u32 v19, v10, 16, 1
	v_cmp_u_f32_e32 vcc_lo, v9, v9
	v_mul_f32_e32 v11, v23, v11
	v_mul_f32_e32 v12, v24, v12
	v_and_b32_e32 v7, 0xffff0000, v7
	v_and_b32_e32 v2, 0xffff0000, v2
	v_cndmask_b32_e32 v9, v15, v16, vcc_lo
	v_add3_u32 v15, v19, v10, 0x7fff
	v_or_b32_e32 v16, 0x400000, v10
	v_bfe_u32 v19, v20, 16, 1
	v_cmp_u_f32_e32 vcc_lo, v10, v10
	v_or_b32_e32 v22, 0x400000, v11
	v_bfe_u32 v24, v12, 16, 1
	v_and_b32_e32 v9, 0xffff0000, v9
	v_add_f32_e32 v2, v2, v7
	v_cndmask_b32_e32 v10, v15, v16, vcc_lo
	v_bfe_u32 v15, v11, 16, 1
	v_add3_u32 v16, v19, v20, 0x7fff
	v_mul_f32_e32 v19, v27, v21
	v_or_b32_e32 v21, 0x400000, v20
	v_cmp_u_f32_e32 vcc_lo, v20, v20
	v_add3_u32 v15, v15, v11, 0x7fff
	v_add3_u32 v20, v24, v12, 0x7fff
	v_bfe_u32 v23, v19, 16, 1
	v_and_b32_e32 v10, 0xffff0000, v10
	v_cndmask_b32_e32 v16, v16, v21, vcc_lo
	v_cmp_u_f32_e32 vcc_lo, v11, v11
	v_or_b32_e32 v21, 0x400000, v12
	v_and_b32_e32 v4, 0xffff0000, v4
	v_add_f32_e32 v7, v9, v10
	v_and_b32_e32 v10, 0xffff0000, v16
	v_cndmask_b32_e32 v11, v15, v22, vcc_lo
	v_cmp_u_f32_e32 vcc_lo, v12, v12
	v_add3_u32 v15, v23, v19, 0x7fff
	v_or_b32_e32 v22, 0x400000, v19
	v_add_f32_e32 v2, v7, v2
	v_and_b32_e32 v9, 0xffff0000, v11
	v_cndmask_b32_e32 v12, v20, v21, vcc_lo
	v_cmp_u_f32_e32 vcc_lo, v19, v19
	v_add_f32_e32 v8, v8, v18
	v_add_f32_e32 v1, v3, v1
	;; [unrolled: 1-line block ×3, first 2 shown]
	v_and_b32_e32 v9, 0xffff0000, v12
	v_cndmask_b32_e32 v11, v15, v22, vcc_lo
	v_and_b32_e32 v15, 0xffff0000, v17
	v_add_f32_e32 v5, v14, v5
	v_add_f32_e32 v2, v7, v2
	;; [unrolled: 1-line block ×3, first 2 shown]
	v_and_b32_e32 v10, 0xffff0000, v11
	v_add_f32_e32 v3, v4, v15
	v_cmp_le_i32_e32 vcc_lo, s11, v33
	v_add_f32_e32 v41, v41, v5
	v_add_f32_e32 v42, v42, v6
	;; [unrolled: 1-line block ×4, first 2 shown]
	v_add_nc_u32_e32 v48, 0x80, v48
	v_add_co_ci_u32_e64 v35, null, 0, v35, s0
	v_add_f32_e32 v2, v4, v2
	v_add_f32_e32 v43, v43, v1
	s_or_b32 s9, vcc_lo, s9
	v_add_f32_e32 v38, v38, v2
	s_andn2_b32 exec_lo, exec_lo, s9
	s_cbranch_execz .LBB151_45
.LBB151_33:                             ; =>This Inner Loop Header: Depth=1
	global_load_dword v1, v[34:35], off
	v_cmp_eq_u32_e64 s0, s5, v33
	v_add_nc_u32_e32 v55, 1, v47
	v_or_b32_e32 v53, 3, v47
	v_or_b32_e32 v54, 2, v47
	;; [unrolled: 1-line block ×6, first 2 shown]
	s_waitcnt vmcnt(0)
	v_mad_i64_i32 v[1:2], null, v1, s6, 0
	v_lshlrev_b64 v[1:2], 1, v[1:2]
	v_add_co_u32 v9, vcc_lo, v45, v1
	v_add_co_ci_u32_e64 v10, null, v46, v2, vcc_lo
	global_load_dwordx4 v[1:4], v[9:10], off
	ds_read2_b64 v[25:28], v48 offset1:1
	ds_read2_b64 v[21:24], v48 offset0:2 offset1:3
	s_and_saveexec_b32 s13, s0
	s_cbranch_execnz .LBB151_42
; %bb.34:                               ;   in Loop: Header=BB151_33 Depth=1
	s_or_b32 exec_lo, exec_lo, s13
	global_load_dwordx4 v[5:8], v[9:10], off offset:512
	s_and_saveexec_b32 s13, s0
	s_cbranch_execnz .LBB151_43
.LBB151_35:                             ;   in Loop: Header=BB151_33 Depth=1
	s_or_b32 exec_lo, exec_lo, s13
	global_load_dwordx4 v[13:16], v[9:10], off offset:1024
	s_and_saveexec_b32 s13, s0
	s_cbranch_execnz .LBB151_44
.LBB151_36:                             ;   in Loop: Header=BB151_33 Depth=1
	s_or_b32 exec_lo, exec_lo, s13
	global_load_dwordx4 v[17:20], v[9:10], off offset:1536
	s_and_saveexec_b32 s13, s0
	s_cbranch_execz .LBB151_38
.LBB151_37:                             ;   in Loop: Header=BB151_33 Depth=1
	v_cmp_gt_i32_e64 s1, s23, v47
	v_cmp_gt_i32_e32 vcc_lo, s12, v55
	v_cmp_gt_i32_e64 s2, s23, v54
	s_waitcnt vmcnt(0)
	v_cndmask_b32_e64 v11, 0, v17, s1
	v_cmp_gt_i32_e64 s1, s12, v53
	v_cndmask_b32_sdwa v17, v44, v17, vcc_lo dst_sel:DWORD dst_unused:UNUSED_PAD src0_sel:DWORD src1_sel:WORD_1
	v_cndmask_b32_e64 v12, 0, v18, s2
	v_cmp_gt_i32_e64 s2, s12, v52
	s_mov_b32 vcc_lo, s1
	v_cmp_gt_i32_e64 s1, s12, v50
	v_cndmask_b32_sdwa v18, v44, v18, vcc_lo dst_sel:DWORD dst_unused:UNUSED_PAD src0_sel:DWORD src1_sel:WORD_1
	v_cmp_gt_i32_e32 vcc_lo, s23, v51
	v_perm_b32 v17, v17, v11, 0x5040100
	v_perm_b32 v18, v18, v12, 0x5040100
	v_cndmask_b32_e32 v29, 0, v19, vcc_lo
	s_mov_b32 vcc_lo, s2
	v_cndmask_b32_sdwa v19, v44, v19, vcc_lo dst_sel:DWORD dst_unused:UNUSED_PAD src0_sel:DWORD src1_sel:WORD_1
	v_cmp_gt_i32_e32 vcc_lo, s23, v49
	v_perm_b32 v19, v19, v29, 0x5040100
	v_cndmask_b32_e32 v30, 0, v20, vcc_lo
	s_mov_b32 vcc_lo, s1
	v_cndmask_b32_sdwa v20, v44, v20, vcc_lo dst_sel:DWORD dst_unused:UNUSED_PAD src0_sel:DWORD src1_sel:WORD_1
	v_perm_b32 v20, v20, v30, 0x5040100
.LBB151_38:                             ;   in Loop: Header=BB151_33 Depth=1
	s_or_b32 exec_lo, exec_lo, s13
	v_add_co_u32 v9, vcc_lo, 0x800, v9
	v_add_co_ci_u32_e64 v10, null, 0, v10, vcc_lo
	global_load_dwordx4 v[29:32], v[9:10], off
	s_and_saveexec_b32 s13, s0
	s_cbranch_execz .LBB151_40
; %bb.39:                               ;   in Loop: Header=BB151_33 Depth=1
	v_cmp_gt_i32_e64 s1, s23, v47
	v_cmp_gt_i32_e32 vcc_lo, s12, v55
	v_cmp_gt_i32_e64 s2, s23, v54
	s_waitcnt vmcnt(0)
	v_cndmask_b32_e64 v11, 0, v29, s1
	v_cmp_gt_i32_e64 s1, s12, v53
	v_cndmask_b32_sdwa v29, v44, v29, vcc_lo dst_sel:DWORD dst_unused:UNUSED_PAD src0_sel:DWORD src1_sel:WORD_1
	v_cndmask_b32_e64 v12, 0, v30, s2
	v_cmp_gt_i32_e64 s2, s12, v52
	s_mov_b32 vcc_lo, s1
	v_cmp_gt_i32_e64 s1, s12, v50
	v_cndmask_b32_sdwa v30, v44, v30, vcc_lo dst_sel:DWORD dst_unused:UNUSED_PAD src0_sel:DWORD src1_sel:WORD_1
	v_cmp_gt_i32_e32 vcc_lo, s23, v51
	v_perm_b32 v29, v29, v11, 0x5040100
	v_perm_b32 v30, v30, v12, 0x5040100
	v_cndmask_b32_e32 v56, 0, v31, vcc_lo
	s_mov_b32 vcc_lo, s2
	v_cndmask_b32_sdwa v31, v44, v31, vcc_lo dst_sel:DWORD dst_unused:UNUSED_PAD src0_sel:DWORD src1_sel:WORD_1
	v_cmp_gt_i32_e32 vcc_lo, s23, v49
	v_perm_b32 v31, v31, v56, 0x5040100
	v_cndmask_b32_e32 v57, 0, v32, vcc_lo
	s_mov_b32 vcc_lo, s1
	v_cndmask_b32_sdwa v32, v44, v32, vcc_lo dst_sel:DWORD dst_unused:UNUSED_PAD src0_sel:DWORD src1_sel:WORD_1
	v_perm_b32 v32, v32, v57, 0x5040100
.LBB151_40:                             ;   in Loop: Header=BB151_33 Depth=1
	s_or_b32 exec_lo, exec_lo, s13
	global_load_dwordx4 v[9:12], v[9:10], off offset:512
	s_and_saveexec_b32 s2, s0
	s_cbranch_execz .LBB151_32
; %bb.41:                               ;   in Loop: Header=BB151_33 Depth=1
	v_cmp_gt_i32_e64 s0, s23, v47
	v_cmp_gt_i32_e32 vcc_lo, s12, v55
	v_cmp_gt_i32_e64 s1, s23, v54
	s_waitcnt vmcnt(0)
	v_cndmask_b32_e64 v55, 0, v9, s0
	v_cmp_gt_i32_e64 s0, s12, v53
	v_cndmask_b32_sdwa v9, v44, v9, vcc_lo dst_sel:DWORD dst_unused:UNUSED_PAD src0_sel:DWORD src1_sel:WORD_1
	v_cndmask_b32_e64 v53, 0, v10, s1
	v_cmp_gt_i32_e64 s1, s12, v52
	s_mov_b32 vcc_lo, s0
	v_cmp_gt_i32_e64 s0, s12, v50
	v_cndmask_b32_sdwa v10, v44, v10, vcc_lo dst_sel:DWORD dst_unused:UNUSED_PAD src0_sel:DWORD src1_sel:WORD_1
	v_cmp_gt_i32_e32 vcc_lo, s23, v51
	v_perm_b32 v9, v9, v55, 0x5040100
	v_perm_b32 v10, v10, v53, 0x5040100
	v_cndmask_b32_e32 v51, 0, v11, vcc_lo
	s_mov_b32 vcc_lo, s1
	v_cndmask_b32_sdwa v11, v44, v11, vcc_lo dst_sel:DWORD dst_unused:UNUSED_PAD src0_sel:DWORD src1_sel:WORD_1
	v_cmp_gt_i32_e32 vcc_lo, s23, v49
	v_perm_b32 v11, v11, v51, 0x5040100
	v_cndmask_b32_e32 v49, 0, v12, vcc_lo
	s_mov_b32 vcc_lo, s0
	v_cndmask_b32_sdwa v12, v44, v12, vcc_lo dst_sel:DWORD dst_unused:UNUSED_PAD src0_sel:DWORD src1_sel:WORD_1
	v_perm_b32 v12, v12, v49, 0x5040100
	s_branch .LBB151_32
.LBB151_42:                             ;   in Loop: Header=BB151_33 Depth=1
	v_cmp_gt_i32_e64 s1, s23, v47
	v_cmp_gt_i32_e32 vcc_lo, s12, v55
	v_cmp_gt_i32_e64 s2, s23, v54
	s_waitcnt vmcnt(0)
	v_cndmask_b32_e64 v5, 0, v1, s1
	v_cmp_gt_i32_e64 s1, s12, v53
	v_cndmask_b32_sdwa v1, v44, v1, vcc_lo dst_sel:DWORD dst_unused:UNUSED_PAD src0_sel:DWORD src1_sel:WORD_1
	v_cndmask_b32_e64 v6, 0, v2, s2
	v_cmp_gt_i32_e64 s2, s12, v52
	s_mov_b32 vcc_lo, s1
	v_cmp_gt_i32_e64 s1, s12, v50
	v_cndmask_b32_sdwa v2, v44, v2, vcc_lo dst_sel:DWORD dst_unused:UNUSED_PAD src0_sel:DWORD src1_sel:WORD_1
	v_cmp_gt_i32_e32 vcc_lo, s23, v51
	v_perm_b32 v1, v1, v5, 0x5040100
	v_perm_b32 v2, v2, v6, 0x5040100
	v_cndmask_b32_e32 v7, 0, v3, vcc_lo
	s_mov_b32 vcc_lo, s2
	v_cndmask_b32_sdwa v3, v44, v3, vcc_lo dst_sel:DWORD dst_unused:UNUSED_PAD src0_sel:DWORD src1_sel:WORD_1
	v_cmp_gt_i32_e32 vcc_lo, s23, v49
	v_perm_b32 v3, v3, v7, 0x5040100
	v_cndmask_b32_e32 v8, 0, v4, vcc_lo
	s_mov_b32 vcc_lo, s1
	v_cndmask_b32_sdwa v4, v44, v4, vcc_lo dst_sel:DWORD dst_unused:UNUSED_PAD src0_sel:DWORD src1_sel:WORD_1
	v_perm_b32 v4, v4, v8, 0x5040100
	s_or_b32 exec_lo, exec_lo, s13
	global_load_dwordx4 v[5:8], v[9:10], off offset:512
	s_and_saveexec_b32 s13, s0
	s_cbranch_execz .LBB151_35
.LBB151_43:                             ;   in Loop: Header=BB151_33 Depth=1
	v_cmp_gt_i32_e64 s1, s23, v47
	v_cmp_gt_i32_e32 vcc_lo, s12, v55
	v_cmp_gt_i32_e64 s2, s23, v54
	s_waitcnt vmcnt(0)
	v_cndmask_b32_e64 v11, 0, v5, s1
	v_cmp_gt_i32_e64 s1, s12, v53
	v_cndmask_b32_sdwa v5, v44, v5, vcc_lo dst_sel:DWORD dst_unused:UNUSED_PAD src0_sel:DWORD src1_sel:WORD_1
	v_cndmask_b32_e64 v12, 0, v6, s2
	v_cmp_gt_i32_e64 s2, s12, v52
	s_mov_b32 vcc_lo, s1
	v_cmp_gt_i32_e64 s1, s12, v50
	v_cndmask_b32_sdwa v6, v44, v6, vcc_lo dst_sel:DWORD dst_unused:UNUSED_PAD src0_sel:DWORD src1_sel:WORD_1
	v_cmp_gt_i32_e32 vcc_lo, s23, v51
	v_perm_b32 v5, v5, v11, 0x5040100
	v_perm_b32 v6, v6, v12, 0x5040100
	v_cndmask_b32_e32 v13, 0, v7, vcc_lo
	s_mov_b32 vcc_lo, s2
	v_cndmask_b32_sdwa v7, v44, v7, vcc_lo dst_sel:DWORD dst_unused:UNUSED_PAD src0_sel:DWORD src1_sel:WORD_1
	v_cmp_gt_i32_e32 vcc_lo, s23, v49
	v_perm_b32 v7, v7, v13, 0x5040100
	v_cndmask_b32_e32 v14, 0, v8, vcc_lo
	s_mov_b32 vcc_lo, s1
	v_cndmask_b32_sdwa v8, v44, v8, vcc_lo dst_sel:DWORD dst_unused:UNUSED_PAD src0_sel:DWORD src1_sel:WORD_1
	v_perm_b32 v8, v8, v14, 0x5040100
	s_or_b32 exec_lo, exec_lo, s13
	global_load_dwordx4 v[13:16], v[9:10], off offset:1024
	s_and_saveexec_b32 s13, s0
	s_cbranch_execz .LBB151_36
.LBB151_44:                             ;   in Loop: Header=BB151_33 Depth=1
	v_cmp_gt_i32_e64 s1, s23, v47
	v_cmp_gt_i32_e32 vcc_lo, s12, v55
	v_cmp_gt_i32_e64 s2, s23, v54
	s_waitcnt vmcnt(0)
	v_cndmask_b32_e64 v11, 0, v13, s1
	v_cmp_gt_i32_e64 s1, s12, v53
	v_cndmask_b32_sdwa v13, v44, v13, vcc_lo dst_sel:DWORD dst_unused:UNUSED_PAD src0_sel:DWORD src1_sel:WORD_1
	v_cndmask_b32_e64 v12, 0, v14, s2
	v_cmp_gt_i32_e64 s2, s12, v52
	s_mov_b32 vcc_lo, s1
	v_cmp_gt_i32_e64 s1, s12, v50
	v_cndmask_b32_sdwa v14, v44, v14, vcc_lo dst_sel:DWORD dst_unused:UNUSED_PAD src0_sel:DWORD src1_sel:WORD_1
	v_cmp_gt_i32_e32 vcc_lo, s23, v51
	v_perm_b32 v13, v13, v11, 0x5040100
	v_perm_b32 v14, v14, v12, 0x5040100
	v_cndmask_b32_e32 v17, 0, v15, vcc_lo
	s_mov_b32 vcc_lo, s2
	v_cndmask_b32_sdwa v15, v44, v15, vcc_lo dst_sel:DWORD dst_unused:UNUSED_PAD src0_sel:DWORD src1_sel:WORD_1
	v_cmp_gt_i32_e32 vcc_lo, s23, v49
	v_perm_b32 v15, v15, v17, 0x5040100
	v_cndmask_b32_e32 v18, 0, v16, vcc_lo
	s_mov_b32 vcc_lo, s1
	v_cndmask_b32_sdwa v16, v44, v16, vcc_lo dst_sel:DWORD dst_unused:UNUSED_PAD src0_sel:DWORD src1_sel:WORD_1
	v_perm_b32 v16, v16, v18, 0x5040100
	s_or_b32 exec_lo, exec_lo, s13
	global_load_dwordx4 v[17:20], v[9:10], off offset:1536
	s_and_saveexec_b32 s13, s0
	s_cbranch_execnz .LBB151_37
	s_branch .LBB151_38
.LBB151_45:
	s_or_b32 exec_lo, exec_lo, s9
.LBB151_46:
	s_or_b32 exec_lo, exec_lo, s3
	v_lshl_add_u32 v2, v37, 2, 0x1a0
	v_and_b32_e32 v3, 0x3c0, v0
	s_mov_b32 s0, exec_lo
	s_waitcnt_vscnt null, 0x0
	s_barrier
	v_mad_u32_u24 v1, 0x300, v36, v2
	buffer_gl0_inv
	v_cmpx_eq_u32_e32 64, v3
	s_cbranch_execz .LBB151_48
; %bb.47:
	v_add_nc_u32_e32 v3, 0xfffffa00, v1
	v_add_nc_u32_e32 v4, 0xfffffa80, v1
	;; [unrolled: 1-line block ×5, first 2 shown]
	ds_write_b32 v3, v43
	v_add_nc_u32_e32 v3, 0xfffffc80, v1
	ds_write_b32 v4, v42
	ds_write_b32 v5, v41
	ds_write_b32 v6, v40
	ds_write_b32 v7, v39
	ds_write_b32 v3, v38
.LBB151_48:
	s_or_b32 exec_lo, exec_lo, s0
	s_mov_b32 s0, exec_lo
	s_waitcnt lgkmcnt(0)
	s_barrier
	buffer_gl0_inv
	v_cmpx_gt_u32_e32 64, v0
	s_cbranch_execz .LBB151_50
; %bb.49:
	ds_read2_b32 v[3:4], v1 offset1:32
	ds_read2_b32 v[5:6], v1 offset0:64 offset1:96
	ds_read2_b32 v[7:8], v1 offset0:128 offset1:160
	s_waitcnt lgkmcnt(2)
	v_add_f32_e32 v43, v43, v3
	v_add_f32_e32 v42, v42, v4
	s_waitcnt lgkmcnt(1)
	v_add_f32_e32 v41, v41, v5
	v_add_f32_e32 v40, v40, v6
	;; [unrolled: 3-line block ×3, first 2 shown]
.LBB151_50:
	s_or_b32 exec_lo, exec_lo, s0
	v_and_b32_e32 v3, 0x3e0, v0
	s_mov_b32 s0, exec_lo
	s_barrier
	buffer_gl0_inv
	v_cmpx_eq_u32_e32 32, v3
	s_cbranch_execz .LBB151_52
; %bb.51:
	ds_write2_b32 v2, v43, v42 offset1:32
	ds_write2_b32 v2, v41, v40 offset0:64 offset1:96
	ds_write2_b32 v2, v39, v38 offset0:128 offset1:160
.LBB151_52:
	s_or_b32 exec_lo, exec_lo, s0
	v_cmp_gt_u32_e32 vcc_lo, 32, v0
	s_waitcnt lgkmcnt(0)
	s_barrier
	buffer_gl0_inv
	s_and_saveexec_b32 s0, vcc_lo
	s_cbranch_execz .LBB151_54
; %bb.53:
	ds_read2_b32 v[2:3], v1 offset1:32
	ds_read2_b32 v[4:5], v1 offset0:64 offset1:96
	ds_read2_b32 v[6:7], v1 offset0:128 offset1:160
	s_waitcnt lgkmcnt(2)
	v_add_f32_e32 v43, v43, v2
	v_add_f32_e32 v42, v42, v3
	s_waitcnt lgkmcnt(1)
	v_add_f32_e32 v41, v41, v4
	v_add_f32_e32 v40, v40, v5
	;; [unrolled: 3-line block ×3, first 2 shown]
.LBB151_54:
	s_or_b32 exec_lo, exec_lo, s0
	s_barrier
	buffer_gl0_inv
	s_and_saveexec_b32 s0, vcc_lo
	s_cbranch_execz .LBB151_56
; %bb.55:
	s_mul_i32 s0, s4, 0xc0
	v_bfe_u32 v1, v43, 16, 1
	s_ashr_i32 s1, s0, 31
	s_mul_i32 s2, s7, s10
	s_lshl_b64 s[0:1], s[0:1], 1
	v_or_b32_e32 v2, 0x400000, v43
	s_add_u32 s4, s20, s0
	s_addc_u32 s1, s21, s1
	s_ashr_i32 s3, s2, 31
	v_add3_u32 v1, v1, v43, 0x7fff
	s_lshl_b64 s[2:3], s[2:3], 1
	v_bfe_u32 v3, v42, 16, 1
	v_cmp_u_f32_e32 vcc_lo, v43, v43
	s_mul_i32 s0, s8, 0xc0
	s_add_u32 s2, s4, s2
	s_addc_u32 s3, s1, s3
	s_ashr_i32 s1, s0, 31
	v_lshlrev_b32_e32 v0, 1, v0
	s_lshl_b64 s[0:1], s[0:1], 1
	v_cndmask_b32_e32 v1, v1, v2, vcc_lo
	v_bfe_u32 v2, v41, 16, 1
	v_add3_u32 v3, v3, v42, 0x7fff
	v_or_b32_e32 v4, 0x400000, v42
	v_cmp_u_f32_e32 vcc_lo, v42, v42
	s_add_u32 s0, s2, s0
	s_addc_u32 s1, s3, s1
	v_bfe_u32 v5, v39, 16, 1
	global_store_short_d16_hi v0, v1, s[0:1]
	v_add3_u32 v1, v2, v41, 0x7fff
	v_or_b32_e32 v2, 0x400000, v41
	v_cndmask_b32_e32 v3, v3, v4, vcc_lo
	v_bfe_u32 v4, v40, 16, 1
	v_cmp_u_f32_e32 vcc_lo, v41, v41
	v_or_b32_e32 v6, 0x400000, v40
	v_add3_u32 v5, v5, v39, 0x7fff
	v_or_b32_e32 v7, 0x400000, v39
	v_add3_u32 v4, v4, v40, 0x7fff
	v_cndmask_b32_e32 v1, v1, v2, vcc_lo
	v_cmp_u_f32_e32 vcc_lo, v40, v40
	v_bfe_u32 v2, v38, 16, 1
	v_or_b32_e32 v8, 0x400000, v38
	v_cndmask_b32_e32 v4, v4, v6, vcc_lo
	v_cmp_u_f32_e32 vcc_lo, v39, v39
	v_add3_u32 v2, v2, v38, 0x7fff
	v_cndmask_b32_e32 v5, v5, v7, vcc_lo
	v_cmp_u_f32_e32 vcc_lo, v38, v38
	v_cndmask_b32_e32 v2, v2, v8, vcc_lo
	global_store_short_d16_hi v0, v3, s[0:1] offset:64
	global_store_short_d16_hi v0, v1, s[0:1] offset:128
	;; [unrolled: 1-line block ×5, first 2 shown]
.LBB151_56:
	s_endpgm
	.section	.rodata,"a",@progbits
	.p2align	6, 0x0
	.amdhsa_kernel _ZN4vllm25paged_attention_v2_kernelI14__hip_bfloat16S1_Li192ELi8ELi128ELNS_18Fp8KVCacheDataTypeE0ELb0ELi512EEEvPfS3_PT_PKS4_PKT0_SA_ifPKiSC_iPKfiiiSE_SE_iiiii
		.amdhsa_group_segment_fixed_size 416
		.amdhsa_private_segment_fixed_size 0
		.amdhsa_kernarg_size 400
		.amdhsa_user_sgpr_count 6
		.amdhsa_user_sgpr_private_segment_buffer 1
		.amdhsa_user_sgpr_dispatch_ptr 0
		.amdhsa_user_sgpr_queue_ptr 0
		.amdhsa_user_sgpr_kernarg_segment_ptr 1
		.amdhsa_user_sgpr_dispatch_id 0
		.amdhsa_user_sgpr_flat_scratch_init 0
		.amdhsa_user_sgpr_private_segment_size 0
		.amdhsa_wavefront_size32 1
		.amdhsa_uses_dynamic_stack 0
		.amdhsa_system_sgpr_private_segment_wavefront_offset 0
		.amdhsa_system_sgpr_workgroup_id_x 1
		.amdhsa_system_sgpr_workgroup_id_y 1
		.amdhsa_system_sgpr_workgroup_id_z 1
		.amdhsa_system_sgpr_workgroup_info 0
		.amdhsa_system_vgpr_workitem_id 0
		.amdhsa_next_free_vgpr 92
		.amdhsa_next_free_sgpr 36
		.amdhsa_reserve_vcc 1
		.amdhsa_reserve_flat_scratch 0
		.amdhsa_float_round_mode_32 0
		.amdhsa_float_round_mode_16_64 0
		.amdhsa_float_denorm_mode_32 3
		.amdhsa_float_denorm_mode_16_64 3
		.amdhsa_dx10_clamp 1
		.amdhsa_ieee_mode 1
		.amdhsa_fp16_overflow 0
		.amdhsa_workgroup_processor_mode 1
		.amdhsa_memory_ordered 1
		.amdhsa_forward_progress 1
		.amdhsa_shared_vgpr_count 0
		.amdhsa_exception_fp_ieee_invalid_op 0
		.amdhsa_exception_fp_denorm_src 0
		.amdhsa_exception_fp_ieee_div_zero 0
		.amdhsa_exception_fp_ieee_overflow 0
		.amdhsa_exception_fp_ieee_underflow 0
		.amdhsa_exception_fp_ieee_inexact 0
		.amdhsa_exception_int_div_zero 0
	.end_amdhsa_kernel
	.section	.text._ZN4vllm25paged_attention_v2_kernelI14__hip_bfloat16S1_Li192ELi8ELi128ELNS_18Fp8KVCacheDataTypeE0ELb0ELi512EEEvPfS3_PT_PKS4_PKT0_SA_ifPKiSC_iPKfiiiSE_SE_iiiii,"axG",@progbits,_ZN4vllm25paged_attention_v2_kernelI14__hip_bfloat16S1_Li192ELi8ELi128ELNS_18Fp8KVCacheDataTypeE0ELb0ELi512EEEvPfS3_PT_PKS4_PKT0_SA_ifPKiSC_iPKfiiiSE_SE_iiiii,comdat
.Lfunc_end151:
	.size	_ZN4vllm25paged_attention_v2_kernelI14__hip_bfloat16S1_Li192ELi8ELi128ELNS_18Fp8KVCacheDataTypeE0ELb0ELi512EEEvPfS3_PT_PKS4_PKT0_SA_ifPKiSC_iPKfiiiSE_SE_iiiii, .Lfunc_end151-_ZN4vllm25paged_attention_v2_kernelI14__hip_bfloat16S1_Li192ELi8ELi128ELNS_18Fp8KVCacheDataTypeE0ELb0ELi512EEEvPfS3_PT_PKS4_PKT0_SA_ifPKiSC_iPKfiiiSE_SE_iiiii
                                        ; -- End function
	.set _ZN4vllm25paged_attention_v2_kernelI14__hip_bfloat16S1_Li192ELi8ELi128ELNS_18Fp8KVCacheDataTypeE0ELb0ELi512EEEvPfS3_PT_PKS4_PKT0_SA_ifPKiSC_iPKfiiiSE_SE_iiiii.num_vgpr, 92
	.set _ZN4vllm25paged_attention_v2_kernelI14__hip_bfloat16S1_Li192ELi8ELi128ELNS_18Fp8KVCacheDataTypeE0ELb0ELi512EEEvPfS3_PT_PKS4_PKT0_SA_ifPKiSC_iPKfiiiSE_SE_iiiii.num_agpr, 0
	.set _ZN4vllm25paged_attention_v2_kernelI14__hip_bfloat16S1_Li192ELi8ELi128ELNS_18Fp8KVCacheDataTypeE0ELb0ELi512EEEvPfS3_PT_PKS4_PKT0_SA_ifPKiSC_iPKfiiiSE_SE_iiiii.numbered_sgpr, 36
	.set _ZN4vllm25paged_attention_v2_kernelI14__hip_bfloat16S1_Li192ELi8ELi128ELNS_18Fp8KVCacheDataTypeE0ELb0ELi512EEEvPfS3_PT_PKS4_PKT0_SA_ifPKiSC_iPKfiiiSE_SE_iiiii.num_named_barrier, 0
	.set _ZN4vllm25paged_attention_v2_kernelI14__hip_bfloat16S1_Li192ELi8ELi128ELNS_18Fp8KVCacheDataTypeE0ELb0ELi512EEEvPfS3_PT_PKS4_PKT0_SA_ifPKiSC_iPKfiiiSE_SE_iiiii.private_seg_size, 0
	.set _ZN4vllm25paged_attention_v2_kernelI14__hip_bfloat16S1_Li192ELi8ELi128ELNS_18Fp8KVCacheDataTypeE0ELb0ELi512EEEvPfS3_PT_PKS4_PKT0_SA_ifPKiSC_iPKfiiiSE_SE_iiiii.uses_vcc, 1
	.set _ZN4vllm25paged_attention_v2_kernelI14__hip_bfloat16S1_Li192ELi8ELi128ELNS_18Fp8KVCacheDataTypeE0ELb0ELi512EEEvPfS3_PT_PKS4_PKT0_SA_ifPKiSC_iPKfiiiSE_SE_iiiii.uses_flat_scratch, 0
	.set _ZN4vllm25paged_attention_v2_kernelI14__hip_bfloat16S1_Li192ELi8ELi128ELNS_18Fp8KVCacheDataTypeE0ELb0ELi512EEEvPfS3_PT_PKS4_PKT0_SA_ifPKiSC_iPKfiiiSE_SE_iiiii.has_dyn_sized_stack, 0
	.set _ZN4vllm25paged_attention_v2_kernelI14__hip_bfloat16S1_Li192ELi8ELi128ELNS_18Fp8KVCacheDataTypeE0ELb0ELi512EEEvPfS3_PT_PKS4_PKT0_SA_ifPKiSC_iPKfiiiSE_SE_iiiii.has_recursion, 0
	.set _ZN4vllm25paged_attention_v2_kernelI14__hip_bfloat16S1_Li192ELi8ELi128ELNS_18Fp8KVCacheDataTypeE0ELb0ELi512EEEvPfS3_PT_PKS4_PKT0_SA_ifPKiSC_iPKfiiiSE_SE_iiiii.has_indirect_call, 0
	.section	.AMDGPU.csdata,"",@progbits
; Kernel info:
; codeLenInByte = 8732
; TotalNumSgprs: 38
; NumVgprs: 92
; ScratchSize: 0
; MemoryBound: 0
; FloatMode: 240
; IeeeMode: 1
; LDSByteSize: 416 bytes/workgroup (compile time only)
; SGPRBlocks: 0
; VGPRBlocks: 11
; NumSGPRsForWavesPerEU: 38
; NumVGPRsForWavesPerEU: 92
; Occupancy: 10
; WaveLimiterHint : 1
; COMPUTE_PGM_RSRC2:SCRATCH_EN: 0
; COMPUTE_PGM_RSRC2:USER_SGPR: 6
; COMPUTE_PGM_RSRC2:TRAP_HANDLER: 0
; COMPUTE_PGM_RSRC2:TGID_X_EN: 1
; COMPUTE_PGM_RSRC2:TGID_Y_EN: 1
; COMPUTE_PGM_RSRC2:TGID_Z_EN: 1
; COMPUTE_PGM_RSRC2:TIDIG_COMP_CNT: 0
	.section	.text._ZN4vllm25paged_attention_v2_kernelI14__hip_bfloat16S1_Li256ELi8ELi128ELNS_18Fp8KVCacheDataTypeE0ELb0ELi512EEEvPfS3_PT_PKS4_PKT0_SA_ifPKiSC_iPKfiiiSE_SE_iiiii,"axG",@progbits,_ZN4vllm25paged_attention_v2_kernelI14__hip_bfloat16S1_Li256ELi8ELi128ELNS_18Fp8KVCacheDataTypeE0ELb0ELi512EEEvPfS3_PT_PKS4_PKT0_SA_ifPKiSC_iPKfiiiSE_SE_iiiii,comdat
	.protected	_ZN4vllm25paged_attention_v2_kernelI14__hip_bfloat16S1_Li256ELi8ELi128ELNS_18Fp8KVCacheDataTypeE0ELb0ELi512EEEvPfS3_PT_PKS4_PKT0_SA_ifPKiSC_iPKfiiiSE_SE_iiiii ; -- Begin function _ZN4vllm25paged_attention_v2_kernelI14__hip_bfloat16S1_Li256ELi8ELi128ELNS_18Fp8KVCacheDataTypeE0ELb0ELi512EEEvPfS3_PT_PKS4_PKT0_SA_ifPKiSC_iPKfiiiSE_SE_iiiii
	.globl	_ZN4vllm25paged_attention_v2_kernelI14__hip_bfloat16S1_Li256ELi8ELi128ELNS_18Fp8KVCacheDataTypeE0ELb0ELi512EEEvPfS3_PT_PKS4_PKT0_SA_ifPKiSC_iPKfiiiSE_SE_iiiii
	.p2align	8
	.type	_ZN4vllm25paged_attention_v2_kernelI14__hip_bfloat16S1_Li256ELi8ELi128ELNS_18Fp8KVCacheDataTypeE0ELb0ELi512EEEvPfS3_PT_PKS4_PKT0_SA_ifPKiSC_iPKfiiiSE_SE_iiiii,@function
_ZN4vllm25paged_attention_v2_kernelI14__hip_bfloat16S1_Li256ELi8ELi128ELNS_18Fp8KVCacheDataTypeE0ELb0ELi512EEEvPfS3_PT_PKS4_PKT0_SA_ifPKiSC_iPKfiiiSE_SE_iiiii: ; @_ZN4vllm25paged_attention_v2_kernelI14__hip_bfloat16S1_Li256ELi8ELi128ELNS_18Fp8KVCacheDataTypeE0ELb0ELi512EEEvPfS3_PT_PKS4_PKT0_SA_ifPKiSC_iPKfiiiSE_SE_iiiii
; %bb.0:
	s_load_dwordx2 s[0:1], s[4:5], 0x40
	s_mov_b32 s22, s7
	s_ashr_i32 s23, s7, 31
	s_lshl_b64 s[2:3], s[22:23], 2
	s_waitcnt lgkmcnt(0)
	s_add_u32 s0, s0, s2
	s_addc_u32 s1, s1, s3
	s_lshl_b32 s33, s8, 9
	s_load_dword s23, s[0:1], 0x0
	s_waitcnt lgkmcnt(0)
	s_cmp_ge_i32 s33, s23
	s_cbranch_scc1 .LBB152_60
; %bb.1:
	s_clause 0x1
	s_load_dword s9, s[4:5], 0x90
	s_load_dwordx2 s[30:31], s[4:5], 0x30
	s_mov_b32 s34, 0
	s_waitcnt lgkmcnt(0)
	s_abs_i32 s3, s9
	s_abs_i32 s0, s30
	v_cvt_f32_u32_e32 v1, s0
	s_sub_i32 s2, 0, s0
	v_rcp_iflag_f32_e32 v1, v1
	v_mul_f32_e32 v1, 0x4f7ffffe, v1
	v_cvt_u32_f32_e32 v1, v1
	v_readfirstlane_b32 s1, v1
	s_mul_i32 s2, s2, s1
	s_mul_hi_u32 s2, s1, s2
	s_add_i32 s1, s1, s2
	s_xor_b32 s2, s9, s30
	s_mul_hi_u32 s1, s3, s1
	s_ashr_i32 s2, s2, 31
	s_mul_i32 s7, s1, s0
	s_sub_i32 s3, s3, s7
	s_add_i32 s7, s1, 1
	s_sub_i32 s10, s3, s0
	s_cmp_ge_u32 s3, s0
	s_cselect_b32 s1, s7, s1
	s_cselect_b32 s3, s10, s3
	s_add_i32 s7, s1, 1
	s_cmp_ge_u32 s3, s0
	s_cselect_b32 s0, s7, s1
	s_abs_i32 s16, s6
	s_xor_b32 s0, s0, s2
	s_sub_i32 s10, s0, s2
	s_load_dwordx2 s[0:1], s[4:5], 0x50
	s_abs_i32 s2, s10
	v_cvt_f32_u32_e32 v1, s2
	s_sub_i32 s7, 0, s2
	v_rcp_iflag_f32_e32 v1, v1
	v_mul_f32_e32 v1, 0x4f7ffffe, v1
	v_cvt_u32_f32_e32 v1, v1
	v_readfirstlane_b32 s3, v1
	s_mul_i32 s7, s7, s3
	s_mul_hi_u32 s7, s3, s7
	s_add_i32 s3, s3, s7
	s_waitcnt lgkmcnt(0)
	s_cmp_eq_u64 s[0:1], 0
	s_mul_hi_u32 s3, s16, s3
	s_cbranch_scc1 .LBB152_3
; %bb.2:
	s_ashr_i32 s7, s6, 31
	s_lshl_b64 s[12:13], s[6:7], 2
	s_add_u32 s0, s0, s12
	s_addc_u32 s1, s1, s13
	s_load_dword s34, s[0:1], 0x0
.LBB152_3:
	s_load_dwordx4 s[12:15], s[4:5], 0x58
	v_and_b32_e32 v74, 3, v0
	v_lshlrev_b32_e32 v75, 2, v0
	s_ashr_i32 s0, s6, 31
	s_ashr_i32 s1, s10, 31
	s_lshl_b32 s10, s6, 8
	s_mov_b32 s7, exec_lo
	v_cmpx_gt_u32_e32 0x80, v0
	s_cbranch_execz .LBB152_5
; %bb.4:
	s_load_dwordx2 s[18:19], s[4:5], 0x18
	s_waitcnt lgkmcnt(0)
	s_mul_i32 s20, s12, s22
	v_and_b32_e32 v2, 0x3fc, v0
	s_ashr_i32 s21, s20, 31
	s_lshl_b64 s[20:21], s[20:21], 1
	v_lshl_add_u32 v2, v74, 7, v2
	s_add_u32 s12, s18, s20
	s_addc_u32 s15, s19, s21
	s_ashr_i32 s11, s10, 31
	s_lshl_b64 s[18:19], s[10:11], 1
	s_add_u32 s18, s12, s18
	s_addc_u32 s19, s15, s19
	global_load_dword v1, v75, s[18:19]
	s_waitcnt vmcnt(0)
	ds_write_b32 v2, v1
.LBB152_5:
	s_or_b32 exec_lo, exec_lo, s7
	s_add_i32 s7, s23, 7
	s_load_dwordx2 s[24:25], s[4:5], 0x38
	s_waitcnt lgkmcnt(0)
	s_load_dword s15, s[4:5], 0x48
	s_ashr_i32 s11, s7, 31
	s_lshl_b32 s30, s8, 6
	s_lshr_b32 s11, s11, 29
	s_xor_b32 s0, s0, s1
	s_add_i32 s7, s7, s11
	s_add_i32 s1, s30, 64
	s_ashr_i32 s12, s7, 3
	s_mul_i32 s7, s3, s2
	s_min_i32 s11, s1, s12
	s_sub_i32 s1, s16, s7
	s_add_i32 s7, s3, 1
	s_sub_i32 s16, s1, s2
	s_cmp_ge_u32 s1, s2
	v_lshrrev_b32_e32 v44, 5, v0
	s_cselect_b32 s3, s7, s3
	s_cselect_b32 s1, s16, s1
	s_add_i32 s7, s3, 1
	s_cmp_ge_u32 s1, s2
	v_or_b32_e32 v41, s30, v44
	s_cselect_b32 s1, s7, s3
	v_mbcnt_lo_u32_b32 v3, -1, 0
	s_xor_b32 s1, s1, s0
	s_waitcnt lgkmcnt(0)
	s_mul_i32 s26, s15, s22
	s_sub_i32 s1, s1, s0
	v_cmp_gt_i32_e64 s0, s11, v41
	s_ashr_i32 s27, s26, 31
	s_mov_b32 s2, exec_lo
	s_barrier
	buffer_gl0_inv
                                        ; implicit-def: $vgpr32
                                        ; implicit-def: $vgpr36
	v_cmpx_le_i32_e64 s11, v41
	s_xor_b32 s2, exec_lo, s2
; %bb.6:
	v_mov_b32_e32 v32, 0
	v_mbcnt_lo_u32_b32 v3, -1, 0
	v_mov_b32_e32 v36, 32
                                        ; implicit-def: $vgpr75
                                        ; implicit-def: $vgpr74
; %bb.7:
	s_or_saveexec_b32 s35, s2
	s_clause 0x3
	s_load_dwordx4 s[16:19], s[4:5], 0x0
	s_load_dwordx2 s[20:21], s[4:5], 0x10
	s_load_dwordx2 s[28:29], s[4:5], 0x28
	s_load_dword s7, s[4:5], 0x98
	v_mov_b32_e32 v73, 0xff7fffff
	v_ashrrev_i32_e32 v42, 31, v41
	s_mul_i32 s14, s1, s14
	s_xor_b32 exec_lo, exec_lo, s35
	s_cbranch_execz .LBB152_13
; %bb.8:
	v_lshlrev_b32_e32 v1, 7, v74
	s_load_dwordx2 s[2:3], s[4:5], 0x20
	v_bfe_u32 v32, v0, 2, 3
	s_ashr_i32 s15, s14, 31
	v_and_b32_e32 v73, 12, v75
	ds_read_b128 v[8:11], v1
	ds_read_b128 v[16:19], v1 offset:16
	ds_read_b128 v[24:27], v1 offset:32
	;; [unrolled: 1-line block ×4, first 2 shown]
	s_lshl_b64 s[4:5], s[14:15], 1
	ds_read_b128 v[53:56], v1 offset:80
	ds_read_b128 v[61:64], v1 offset:96
	;; [unrolled: 1-line block ×3, first 2 shown]
	v_xor_b32_e32 v75, 2, v3
	v_lshlrev_b64 v[1:2], 2, v[41:42]
	v_xor_b32_e32 v77, 1, v3
	v_lshlrev_b32_e32 v78, 2, v32
	s_mov_b32 s15, s13
	v_lshl_or_b32 v80, v44, 5, v78
	s_waitcnt lgkmcnt(0)
	s_add_u32 s1, s2, s4
	s_addc_u32 s5, s3, s5
	s_lshl_b64 s[2:3], s[26:27], 2
	v_lshlrev_b32_e32 v28, 16, v33
	v_and_b32_e32 v29, 0xffff0000, v33
	v_lshlrev_b32_e32 v30, 16, v34
	v_and_b32_e32 v31, 0xffff0000, v34
	;; [unrolled: 2-line block ×4, first 2 shown]
	v_lshlrev_b32_e32 v36, 4, v32
	s_sub_i32 s4, 1, s23
	s_add_u32 s2, s24, s2
	s_addc_u32 s3, s25, s3
	v_add_co_u32 v1, vcc_lo, s2, v1
	v_add_co_u32 v36, s1, s1, v36
	v_add_co_ci_u32_e64 v76, null, s5, 0, s1
	v_cmp_gt_i32_e64 s1, 32, v75
	v_add_co_ci_u32_e64 v2, null, s3, v2, vcc_lo
	v_cmp_eq_u32_e32 vcc_lo, 0, v74
	v_lshlrev_b32_e32 v74, 3, v44
	v_cndmask_b32_e64 v79, v3, v75, s1
	v_cmp_gt_i32_e64 s1, 32, v77
	v_lshlrev_b32_e32 v4, 16, v8
	v_and_b32_e32 v5, 0xffff0000, v8
	v_add3_u32 v74, s33, v74, v32
	v_lshlrev_b32_e32 v6, 16, v9
	v_cndmask_b32_e64 v32, v3, v77, s1
	v_add_co_u32 v75, s1, v36, v73
	v_and_b32_e32 v7, 0xffff0000, v9
	v_lshlrev_b32_e32 v8, 16, v10
	v_and_b32_e32 v9, 0xffff0000, v10
	v_lshlrev_b32_e32 v10, 16, v11
	;; [unrolled: 2-line block ×26, first 2 shown]
	v_and_b32_e32 v72, 0xffff0000, v72
	v_add_co_ci_u32_e64 v76, null, 0, v76, s1
	v_lshlrev_b32_e32 v77, 2, v79
	v_lshlrev_b32_e32 v78, 2, v32
	v_cmp_neq_f32_e64 s1, s34, 0
	v_add_nc_u32_e32 v79, 0x220, v80
	v_mov_b32_e32 v32, 0
	v_mov_b32_e32 v36, 32
	;; [unrolled: 1-line block ×4, first 2 shown]
	s_mov_b32 s5, 0
	s_branch .LBB152_10
.LBB152_9:                              ;   in Loop: Header=BB152_10 Depth=1
	s_or_b32 exec_lo, exec_lo, s3
	v_add_nc_u32_e32 v80, 4, v80
	v_add_co_u32 v1, s3, v1, 16
	v_add_nc_u32_e32 v74, 32, v74
	v_add_nc_u32_e32 v79, 0x80, v79
	v_cmp_le_i32_e64 s2, s11, v80
	v_add_co_ci_u32_e64 v2, null, 0, v2, s3
	s_or_b32 s5, s2, s5
	s_andn2_b32 exec_lo, exec_lo, s5
	s_cbranch_execz .LBB152_12
.LBB152_10:                             ; =>This Inner Loop Header: Depth=1
	global_load_dword v81, v[1:2], off
	s_waitcnt vmcnt(0) lgkmcnt(0)
	v_mad_i64_i32 v[81:82], null, v81, s15, 0
	v_lshlrev_b64 v[81:82], 1, v[81:82]
	v_add_co_u32 v81, s2, v75, v81
	v_add_co_ci_u32_e64 v82, null, v76, v82, s2
	s_clause 0xf
	global_load_dword v83, v[81:82], off offset:128
	global_load_dword v84, v[81:82], off offset:256
	;; [unrolled: 1-line block ×7, first 2 shown]
	global_load_dword v90, v[81:82], off
	global_load_dword v91, v[81:82], off offset:1024
	global_load_dword v92, v[81:82], off offset:1152
	;; [unrolled: 1-line block ×8, first 2 shown]
	v_add_co_u32 v81, s2, 0x800, v81
	v_add_co_ci_u32_e64 v82, null, 0, v82, s2
	s_clause 0xf
	global_load_dword v99, v[81:82], off
	global_load_dword v100, v[81:82], off offset:128
	global_load_dword v101, v[81:82], off offset:256
	;; [unrolled: 1-line block ×15, first 2 shown]
	s_waitcnt vmcnt(31)
	v_lshlrev_b32_e32 v82, 16, v83
	v_and_b32_e32 v83, 0xffff0000, v83
	s_waitcnt vmcnt(30)
	v_lshlrev_b32_e32 v115, 16, v84
	v_and_b32_e32 v84, 0xffff0000, v84
	v_mul_f32_e32 v82, v6, v82
	v_mul_f32_e32 v83, v7, v83
	s_waitcnt vmcnt(24)
	v_lshlrev_b32_e32 v114, 16, v90
	v_and_b32_e32 v90, 0xffff0000, v90
	v_fmac_f32_e32 v82, v4, v114
	v_fmac_f32_e32 v83, v5, v90
	v_lshlrev_b32_e32 v90, 16, v85
	v_and_b32_e32 v85, 0xffff0000, v85
	v_fmac_f32_e32 v82, v8, v115
	v_fmac_f32_e32 v83, v9, v84
	v_lshlrev_b32_e32 v84, 16, v86
	v_and_b32_e32 v86, 0xffff0000, v86
	v_fmac_f32_e32 v82, v10, v90
	v_fmac_f32_e32 v83, v11, v85
	v_lshlrev_b32_e32 v85, 16, v87
	v_and_b32_e32 v87, 0xffff0000, v87
	v_fmac_f32_e32 v82, v12, v84
	v_fmac_f32_e32 v83, v13, v86
	v_lshlrev_b32_e32 v84, 16, v88
	v_and_b32_e32 v86, 0xffff0000, v88
	v_fmac_f32_e32 v82, v14, v85
	v_fmac_f32_e32 v83, v15, v87
	v_lshlrev_b32_e32 v85, 16, v89
	v_and_b32_e32 v87, 0xffff0000, v89
	v_fmac_f32_e32 v82, v16, v84
	v_fmac_f32_e32 v83, v17, v86
	s_waitcnt vmcnt(23)
	v_lshlrev_b32_e32 v84, 16, v91
	v_and_b32_e32 v86, 0xffff0000, v91
	v_fmac_f32_e32 v82, v18, v85
	v_fmac_f32_e32 v83, v19, v87
	s_waitcnt vmcnt(22)
	v_lshlrev_b32_e32 v85, 16, v92
	v_and_b32_e32 v87, 0xffff0000, v92
	v_fmac_f32_e32 v82, v20, v84
	v_fmac_f32_e32 v83, v21, v86
	;; [unrolled: 5-line block ×24, first 2 shown]
	v_fmac_f32_e32 v82, v71, v85
	v_fmac_f32_e32 v83, v72, v81
	v_add_f32_e32 v81, v82, v83
	ds_bpermute_b32 v82, v77, v81
	s_waitcnt lgkmcnt(0)
	v_add_f32_e32 v81, v81, v82
	ds_bpermute_b32 v82, v78, v81
	s_and_saveexec_b32 s3, vcc_lo
	s_cbranch_execz .LBB152_9
; %bb.11:                               ;   in Loop: Header=BB152_10 Depth=1
	v_add_nc_u32_e32 v83, s4, v74
	s_waitcnt lgkmcnt(0)
	v_add_f32_e32 v81, v81, v82
	v_cmp_gt_i32_e64 s2, s23, v74
	v_cvt_f32_i32_e32 v83, v83
	v_mul_f32_e32 v83, s34, v83
	v_cndmask_b32_e64 v82, 0, v83, s1
	v_max_f32_e32 v83, v73, v73
	v_fmac_f32_e32 v82, s31, v81
	v_max_f32_e32 v81, v83, v82
	v_cndmask_b32_e64 v82, 0, v82, s2
	v_cndmask_b32_e64 v73, v73, v81, s2
	ds_write_b32 v79, v82
	s_branch .LBB152_9
.LBB152_12:
	s_or_b32 exec_lo, exec_lo, s5
.LBB152_13:
	s_or_b32 exec_lo, exec_lo, s35
	v_xor_b32_e32 v1, 16, v3
	v_xor_b32_e32 v4, 8, v3
	v_max_f32_e32 v6, v73, v73
	v_and_b32_e32 v45, 31, v0
	v_cmp_lt_i32_e32 vcc_lo, v1, v36
	v_cndmask_b32_e32 v1, v3, v1, vcc_lo
	v_cmp_lt_i32_e32 vcc_lo, v4, v36
	v_lshlrev_b32_e32 v2, 2, v1
	v_cndmask_b32_e32 v4, v3, v4, vcc_lo
	ds_bpermute_b32 v1, v2, v73
	v_lshlrev_b32_e32 v5, 2, v4
	s_waitcnt lgkmcnt(0)
	v_max_f32_e32 v1, v1, v1
	v_max_f32_e32 v1, v6, v1
	v_xor_b32_e32 v6, 4, v3
	ds_bpermute_b32 v4, v5, v1
	v_cmp_lt_i32_e32 vcc_lo, v6, v36
	v_cndmask_b32_e32 v6, v3, v6, vcc_lo
	v_cmp_eq_u32_e32 vcc_lo, 0, v45
	v_lshlrev_b32_e32 v8, 2, v6
	v_lshlrev_b32_e32 v6, 2, v44
	s_waitcnt lgkmcnt(0)
	v_max_f32_e32 v4, v4, v4
	v_max_f32_e32 v1, v1, v4
	ds_bpermute_b32 v4, v8, v1
	s_and_saveexec_b32 s1, vcc_lo
	s_cbranch_execz .LBB152_15
; %bb.14:
	s_waitcnt lgkmcnt(0)
	v_max_f32_e32 v4, v4, v4
	v_max_f32_e32 v1, v1, v1
	;; [unrolled: 1-line block ×3, first 2 shown]
	ds_write_b32 v6, v1 offset:512
.LBB152_15:
	s_or_b32 exec_lo, exec_lo, s1
	v_cmp_gt_u32_e64 s1, 4, v45
	v_mov_b32_e32 v1, 0xff7fffff
	v_lshlrev_b32_e32 v7, 2, v45
	s_waitcnt lgkmcnt(0)
	s_barrier
	buffer_gl0_inv
	s_and_saveexec_b32 s2, s1
; %bb.16:
	ds_read_b32 v1, v7 offset:512
; %bb.17:
	s_or_b32 exec_lo, exec_lo, s2
	v_xor_b32_e32 v4, 2, v3
	v_xor_b32_e32 v10, 1, v3
	v_mov_b32_e32 v11, 0
	v_cmp_lt_i32_e64 s2, v4, v36
	v_cndmask_b32_e64 v4, v3, v4, s2
	v_cmp_lt_i32_e64 s2, v10, v36
	v_lshlrev_b32_e32 v9, 2, v4
	v_cndmask_b32_e64 v10, v3, v10, s2
	s_sub_i32 s2, s11, s30
	s_lshl_b32 s2, s2, 3
	s_waitcnt lgkmcnt(0)
	ds_bpermute_b32 v4, v9, v1
	v_max_f32_e32 v1, v1, v1
	v_lshlrev_b32_e32 v10, 2, v10
	s_add_i32 s2, s2, s33
	s_min_i32 s2, s2, s23
	s_sub_i32 s4, s2, s33
	v_cmp_gt_i32_e64 s2, s4, v0
	s_waitcnt lgkmcnt(0)
	v_max_f32_e32 v4, v4, v4
	v_max_f32_e32 v1, v1, v4
	ds_bpermute_b32 v4, v10, v1
	s_waitcnt lgkmcnt(0)
	v_max_f32_e32 v4, v4, v4
	v_max_f32_e32 v1, v1, v4
	v_lshlrev_b32_e32 v4, 2, v32
	ds_bpermute_b32 v1, v4, v1
	v_lshl_add_u32 v4, v0, 2, 0x220
	s_and_saveexec_b32 s5, s2
	s_cbranch_execz .LBB152_21
; %bb.18:
	v_lshl_add_u32 v12, v0, 2, 0x220
	v_mov_b32_e32 v11, 0
	v_mov_b32_e32 v13, v0
	s_mov_b32 s15, 0
	.p2align	6
.LBB152_19:                             ; =>This Inner Loop Header: Depth=1
	ds_read_b32 v14, v12
	v_add_nc_u32_e32 v13, 0x80, v13
	v_cmp_le_i32_e64 s3, s4, v13
	s_or_b32 s15, s3, s15
	s_waitcnt lgkmcnt(0)
	v_sub_f32_e32 v14, v14, v1
	v_mul_f32_e32 v14, 0x3fb8aa3b, v14
	v_exp_f32_e32 v14, v14
	ds_write_b32 v12, v14
	v_add_f32_e32 v11, v11, v14
	v_add_nc_u32_e32 v12, 0x200, v12
	s_andn2_b32 exec_lo, exec_lo, s15
	s_cbranch_execnz .LBB152_19
; %bb.20:
	s_or_b32 exec_lo, exec_lo, s15
.LBB152_21:
	s_or_b32 exec_lo, exec_lo, s5
	ds_bpermute_b32 v2, v2, v11
	s_waitcnt lgkmcnt(0)
	v_add_f32_e32 v2, v11, v2
	ds_bpermute_b32 v5, v5, v2
	s_waitcnt lgkmcnt(0)
	v_add_f32_e32 v2, v2, v5
	;; [unrolled: 3-line block ×5, first 2 shown]
	s_and_saveexec_b32 s3, vcc_lo
; %bb.22:
	ds_write_b32 v6, v2 offset:528
; %bb.23:
	s_or_b32 exec_lo, exec_lo, s3
	s_waitcnt lgkmcnt(0)
	s_barrier
	buffer_gl0_inv
	s_and_saveexec_b32 s3, s1
; %bb.24:
	ds_read_b32 v2, v7 offset:528
; %bb.25:
	s_or_b32 exec_lo, exec_lo, s3
	s_waitcnt lgkmcnt(0)
	ds_bpermute_b32 v5, v9, v2
	v_lshlrev_b32_e32 v3, 2, v3
	v_and_b32_e32 v3, 0xffffff80, v3
	s_waitcnt lgkmcnt(0)
	v_add_f32_e32 v2, v2, v5
	ds_bpermute_b32 v5, v10, v2
	s_waitcnt lgkmcnt(0)
	v_add_f32_e32 v2, v2, v5
	ds_bpermute_b32 v2, v3, v2
	s_and_saveexec_b32 s1, s2
	s_cbranch_execz .LBB152_28
; %bb.26:
	s_waitcnt lgkmcnt(0)
	v_add_f32_e32 v3, 0x358637bd, v2
	s_mov_b32 s2, 0
	v_div_scale_f32 v5, null, v3, v3, 1.0
	v_div_scale_f32 v8, vcc_lo, 1.0, v3, 1.0
	v_rcp_f32_e32 v6, v5
	v_fma_f32 v7, -v5, v6, 1.0
	v_fmac_f32_e32 v6, v7, v6
	v_mul_f32_e32 v7, v8, v6
	v_fma_f32 v9, -v5, v7, v8
	v_fmac_f32_e32 v7, v9, v6
	v_fma_f32 v5, -v5, v7, v8
	v_div_fmas_f32 v5, v5, v6, v7
	v_div_fixup_f32 v3, v5, v3, 1.0
	v_mov_b32_e32 v5, v0
.LBB152_27:                             ; =>This Inner Loop Header: Depth=1
	ds_read_b32 v6, v4
	v_add_nc_u32_e32 v5, 0x80, v5
	v_cmp_le_i32_e32 vcc_lo, s4, v5
	s_or_b32 s2, vcc_lo, s2
	s_waitcnt lgkmcnt(0)
	v_mul_f32_e32 v6, v3, v6
	ds_write_b32 v4, v6
	v_add_nc_u32_e32 v4, 0x200, v4
	s_andn2_b32 exec_lo, exec_lo, s2
	s_cbranch_execnz .LBB152_27
.LBB152_28:
	s_or_b32 exec_lo, exec_lo, s1
	s_mul_i32 s1, s7, s22
	s_waitcnt lgkmcnt(0)
	s_mul_i32 s4, s1, s9
	s_mov_b32 s1, exec_lo
	s_barrier
	buffer_gl0_inv
	v_cmpx_eq_u32_e32 0, v0
	s_cbranch_execz .LBB152_30
; %bb.29:
	s_ashr_i32 s5, s4, 31
	s_mul_i32 s30, s7, s6
	s_lshl_b64 s[2:3], s[4:5], 2
	v_mov_b32_e32 v3, 0
	s_add_u32 s5, s18, s2
	s_addc_u32 s6, s19, s3
	s_ashr_i32 s31, s30, 31
	s_lshl_b64 s[18:19], s[30:31], 2
	s_add_u32 s5, s5, s18
	s_addc_u32 s6, s6, s19
	s_ashr_i32 s9, s8, 31
	s_lshl_b64 s[30:31], s[8:9], 2
	s_add_u32 s34, s5, s30
	s_addc_u32 s35, s6, s31
	s_add_u32 s2, s16, s2
	s_addc_u32 s3, s17, s3
	;; [unrolled: 2-line block ×4, first 2 shown]
	global_store_dword v3, v1, s[34:35]
	global_store_dword v3, v2, s[2:3]
.LBB152_30:
	s_or_b32 exec_lo, exec_lo, s1
	v_mov_b32_e32 v53, 0
	v_mov_b32_e32 v52, 0
	;; [unrolled: 1-line block ×8, first 2 shown]
	s_and_saveexec_b32 s3, s0
	s_cbranch_execz .LBB152_50
; %bb.31:
	s_ashr_i32 s15, s14, 31
	v_lshlrev_b32_e32 v1, 4, v45
	s_lshl_b64 s[0:1], s[14:15], 1
	v_mov_b32_e32 v54, 0
	s_add_u32 s0, s28, s0
	s_addc_u32 s1, s29, s1
	v_add_co_u32 v55, s0, s0, v1
	v_lshlrev_b64 v[1:2], 2, v[41:42]
	v_add_co_ci_u32_e64 v56, null, s1, 0, s0
	s_lshl_b64 s[0:1], s[26:27], 2
	s_add_i32 s5, s12, -1
	s_add_u32 s0, s24, s0
	s_addc_u32 s1, s25, s1
	v_add_co_u32 v42, vcc_lo, s0, v1
	v_lshl_add_u32 v57, v44, 3, s33
	v_lshl_add_u32 v58, v44, 5, 0x220
	v_add_co_ci_u32_e64 v43, null, s1, v2, vcc_lo
	v_mov_b32_e32 v46, 0
	v_mov_b32_e32 v47, 0
	;; [unrolled: 1-line block ×8, first 2 shown]
	s_mov_b32 s6, s13
	s_mov_b32 s12, s23
	;; [unrolled: 1-line block ×3, first 2 shown]
	s_branch .LBB152_33
.LBB152_32:                             ;   in Loop: Header=BB152_33 Depth=1
	s_or_b32 exec_lo, exec_lo, s2
	s_waitcnt lgkmcnt(1)
	v_bfe_u32 v59, v29, 16, 1
	v_bfe_u32 v60, v30, 16, 1
	v_or_b32_e32 v61, 0x400000, v29
	v_cmp_u_f32_e32 vcc_lo, v29, v29
	v_or_b32_e32 v62, 0x400000, v30
	v_add3_u32 v59, v59, v29, 0x7fff
	v_bfe_u32 v63, v31, 16, 1
	v_add3_u32 v60, v60, v30, 0x7fff
	v_bfe_u32 v64, v32, 16, 1
	v_add_nc_u32_e32 v41, 4, v41
	v_cndmask_b32_e32 v29, v59, v61, vcc_lo
	v_cmp_u_f32_e32 vcc_lo, v30, v30
	v_add3_u32 v59, v63, v31, 0x7fff
	s_waitcnt lgkmcnt(0)
	v_bfe_u32 v61, v25, 16, 1
	v_or_b32_e32 v63, 0x400000, v32
	v_and_b32_e32 v29, 0xffff0000, v29
	v_cndmask_b32_e32 v30, v60, v62, vcc_lo
	v_or_b32_e32 v60, 0x400000, v31
	v_cmp_u_f32_e32 vcc_lo, v31, v31
	v_add3_u32 v62, v64, v32, 0x7fff
	v_add_co_u32 v42, s0, v42, 16
	v_add_nc_u32_e32 v57, 32, v57
	v_cndmask_b32_e32 v31, v59, v60, vcc_lo
	v_cmp_u_f32_e32 vcc_lo, v32, v32
	v_add3_u32 v59, v61, v25, 0x7fff
	v_or_b32_e32 v60, 0x400000, v25
	v_bfe_u32 v61, v26, 16, 1
	v_add_nc_u32_e32 v58, 0x80, v58
	v_cndmask_b32_e32 v32, v62, v63, vcc_lo
	v_cmp_u_f32_e32 vcc_lo, v25, v25
	v_and_b32_e32 v25, 0xffff0000, v30
	s_waitcnt vmcnt(1)
	v_and_b32_e32 v30, 0xffff0000, v37
	v_add3_u32 v61, v61, v26, 0x7fff
	v_or_b32_e32 v62, 0x400000, v26
	v_cndmask_b32_e32 v59, v59, v60, vcc_lo
	v_bfe_u32 v60, v27, 16, 1
	v_cmp_u_f32_e32 vcc_lo, v26, v26
	v_or_b32_e32 v63, 0x400000, v27
	v_mul_f32_e32 v30, v25, v30
	v_lshlrev_b32_e32 v37, 16, v37
	v_add3_u32 v60, v60, v27, 0x7fff
	v_cndmask_b32_e32 v26, v61, v62, vcc_lo
	v_bfe_u32 v61, v28, 16, 1
	v_cmp_u_f32_e32 vcc_lo, v27, v27
	v_bfe_u32 v27, v30, 16, 1
	v_or_b32_e32 v62, 0x400000, v28
	v_or_b32_e32 v64, 0x400000, v30
	v_add3_u32 v61, v61, v28, 0x7fff
	v_cndmask_b32_e32 v60, v60, v63, vcc_lo
	v_cmp_u_f32_e32 vcc_lo, v28, v28
	v_add3_u32 v63, v27, v30, 0x7fff
	v_mul_f32_e32 v37, v29, v37
	v_and_b32_e32 v27, 0xffff0000, v32
	v_and_b32_e32 v32, 0xffff0000, v38
	v_cndmask_b32_e32 v28, v61, v62, vcc_lo
	v_cmp_u_f32_e32 vcc_lo, v30, v30
	v_bfe_u32 v62, v37, 16, 1
	v_and_b32_e32 v30, 0xffff0000, v31
	v_lshlrev_b32_e32 v31, 16, v38
	v_and_b32_e32 v26, 0xffff0000, v26
	v_cndmask_b32_e32 v61, v63, v64, vcc_lo
	v_mul_f32_e32 v63, v27, v32
	v_and_b32_e32 v32, 0xffff0000, v39
	v_add3_u32 v38, v62, v37, 0x7fff
	v_or_b32_e32 v62, 0x400000, v37
	v_mul_f32_e32 v31, v30, v31
	v_bfe_u32 v64, v63, 16, 1
	v_cmp_u_f32_e32 vcc_lo, v37, v37
	v_mul_f32_e32 v65, v26, v32
	v_and_b32_e32 v32, 0xffff0000, v59
	v_lshlrev_b32_e32 v39, 16, v39
	v_and_b32_e32 v28, 0xffff0000, v28
	v_cndmask_b32_e32 v37, v38, v62, vcc_lo
	v_add3_u32 v38, v64, v63, 0x7fff
	v_or_b32_e32 v62, 0x400000, v63
	v_bfe_u32 v64, v31, 16, 1
	v_cmp_u_f32_e32 vcc_lo, v63, v63
	v_bfe_u32 v66, v65, 16, 1
	v_mul_f32_e32 v39, v32, v39
	v_and_b32_e32 v37, 0xffff0000, v37
	v_add3_u32 v59, v64, v31, 0x7fff
	v_cndmask_b32_e32 v38, v38, v62, vcc_lo
	v_or_b32_e32 v62, 0x400000, v31
	v_cmp_u_f32_e32 vcc_lo, v31, v31
	v_add3_u32 v63, v66, v65, 0x7fff
	v_and_b32_e32 v64, 0xffff0000, v40
	v_or_b32_e32 v66, 0x400000, v65
	v_bfe_u32 v67, v39, 16, 1
	v_cndmask_b32_e32 v59, v59, v62, vcc_lo
	v_cmp_u_f32_e32 vcc_lo, v65, v65
	v_mul_f32_e32 v62, v28, v64
	v_or_b32_e32 v65, 0x400000, v39
	v_add3_u32 v64, v67, v39, 0x7fff
	v_and_b32_e32 v31, 0xffff0000, v60
	v_cndmask_b32_e32 v63, v63, v66, vcc_lo
	v_cmp_u_f32_e32 vcc_lo, v39, v39
	v_lshlrev_b32_e32 v40, 16, v40
	v_and_b32_e32 v61, 0xffff0000, v61
	v_and_b32_e32 v59, 0xffff0000, v59
	;; [unrolled: 1-line block ×3, first 2 shown]
	v_cndmask_b32_e32 v39, v64, v65, vcc_lo
	v_bfe_u32 v66, v62, 16, 1
	v_mul_f32_e32 v40, v31, v40
	v_add_f32_e32 v37, v37, v61
	v_add_f32_e32 v38, v59, v38
	v_and_b32_e32 v39, 0xffff0000, v39
	v_and_b32_e32 v59, 0xffff0000, v33
	;; [unrolled: 1-line block ×3, first 2 shown]
	v_add3_u32 v60, v66, v62, 0x7fff
	v_or_b32_e32 v64, 0x400000, v62
	v_cmp_u_f32_e32 vcc_lo, v62, v62
	v_bfe_u32 v62, v40, 16, 1
	v_add_f32_e32 v37, v38, v37
	v_mul_f32_e32 v38, v25, v59
	v_add_f32_e32 v39, v39, v61
	v_lshlrev_b32_e32 v33, 16, v33
	v_cndmask_b32_e32 v60, v60, v64, vcc_lo
	v_add3_u32 v62, v62, v40, 0x7fff
	v_or_b32_e32 v63, 0x400000, v40
	v_cmp_u_f32_e32 vcc_lo, v40, v40
	v_bfe_u32 v59, v38, 16, 1
	v_add_f32_e32 v37, v39, v37
	v_mul_f32_e32 v33, v29, v33
	v_and_b32_e32 v39, 0xffff0000, v34
	v_cndmask_b32_e32 v40, v62, v63, vcc_lo
	v_add3_u32 v59, v59, v38, 0x7fff
	v_or_b32_e32 v61, 0x400000, v38
	v_bfe_u32 v62, v33, 16, 1
	v_mul_f32_e32 v39, v27, v39
	v_lshlrev_b32_e32 v34, 16, v34
	v_cmp_u_f32_e32 vcc_lo, v38, v38
	v_and_b32_e32 v63, 0xffff0000, v35
	v_lshlrev_b32_e32 v35, 16, v35
	v_and_b32_e32 v64, 0xffff0000, v36
	v_mul_f32_e32 v34, v30, v34
	v_cndmask_b32_e32 v38, v59, v61, vcc_lo
	v_add3_u32 v59, v62, v33, 0x7fff
	v_or_b32_e32 v61, 0x400000, v33
	v_bfe_u32 v62, v39, 16, 1
	v_cmp_u_f32_e32 vcc_lo, v33, v33
	v_mul_f32_e32 v63, v26, v63
	v_mul_f32_e32 v35, v32, v35
	v_lshlrev_b32_e32 v36, 16, v36
	v_and_b32_e32 v38, 0xffff0000, v38
	v_cndmask_b32_e32 v33, v59, v61, vcc_lo
	v_add3_u32 v59, v62, v39, 0x7fff
	v_or_b32_e32 v61, 0x400000, v39
	v_bfe_u32 v62, v34, 16, 1
	v_cmp_u_f32_e32 vcc_lo, v39, v39
	v_mul_f32_e32 v36, v31, v36
	v_or_b32_e32 v65, 0x400000, v35
	v_and_b32_e32 v33, 0xffff0000, v33
	v_and_b32_e32 v40, 0xffff0000, v40
	v_cndmask_b32_e32 v39, v59, v61, vcc_lo
	v_add3_u32 v59, v62, v34, 0x7fff
	v_or_b32_e32 v61, 0x400000, v34
	v_bfe_u32 v62, v63, 16, 1
	v_cmp_u_f32_e32 vcc_lo, v34, v34
	v_bfe_u32 v67, v36, 16, 1
	v_and_b32_e32 v39, 0xffff0000, v39
	v_add_f32_e32 v33, v33, v38
	v_add_co_ci_u32_e64 v43, null, 0, v43, s0
	v_cndmask_b32_e32 v34, v59, v61, vcc_lo
	v_bfe_u32 v59, v35, 16, 1
	v_add3_u32 v61, v62, v63, 0x7fff
	v_mul_f32_e32 v62, v28, v64
	v_or_b32_e32 v64, 0x400000, v63
	v_cmp_u_f32_e32 vcc_lo, v63, v63
	v_add3_u32 v59, v59, v35, 0x7fff
	v_add3_u32 v63, v67, v36, 0x7fff
	v_bfe_u32 v66, v62, 16, 1
	v_and_b32_e32 v34, 0xffff0000, v34
	v_cndmask_b32_e32 v61, v61, v64, vcc_lo
	v_cmp_u_f32_e32 vcc_lo, v35, v35
	v_or_b32_e32 v64, 0x400000, v36
	v_add_f32_e32 v34, v34, v39
	v_and_b32_e32 v38, 0xffff0000, v61
	v_cndmask_b32_e32 v35, v59, v65, vcc_lo
	v_cmp_u_f32_e32 vcc_lo, v36, v36
	v_add3_u32 v59, v66, v62, 0x7fff
	v_or_b32_e32 v65, 0x400000, v62
	v_add_f32_e32 v33, v34, v33
	v_and_b32_e32 v35, 0xffff0000, v35
	v_cndmask_b32_e32 v36, v63, v64, vcc_lo
	v_cmp_u_f32_e32 vcc_lo, v62, v62
	v_add_f32_e32 v34, v35, v38
	v_and_b32_e32 v35, 0xffff0000, v36
	v_cndmask_b32_e32 v39, v59, v65, vcc_lo
	v_and_b32_e32 v59, 0xffff0000, v60
	v_and_b32_e32 v38, 0xffff0000, v21
	v_lshlrev_b32_e32 v21, 16, v21
	v_add_f32_e32 v33, v34, v33
	v_and_b32_e32 v36, 0xffff0000, v39
	v_add_f32_e32 v39, v40, v59
	v_mul_f32_e32 v21, v29, v21
	v_add_f32_e32 v34, v35, v36
	v_mul_f32_e32 v35, v25, v38
	v_add_f32_e32 v36, v39, v37
	v_and_b32_e32 v37, 0xffff0000, v22
	v_lshlrev_b32_e32 v22, 16, v22
	v_add_f32_e32 v33, v34, v33
	v_bfe_u32 v34, v35, 16, 1
	v_add_f32_e32 v47, v47, v36
	v_bfe_u32 v36, v21, 16, 1
	v_mul_f32_e32 v37, v27, v37
	v_add_f32_e32 v48, v48, v33
	v_add3_u32 v33, v34, v35, 0x7fff
	v_or_b32_e32 v34, 0x400000, v35
	v_cmp_u_f32_e32 vcc_lo, v35, v35
	v_add3_u32 v36, v36, v21, 0x7fff
	v_or_b32_e32 v38, 0x400000, v21
	v_mul_f32_e32 v22, v30, v22
	v_and_b32_e32 v35, 0xffff0000, v23
	v_cndmask_b32_e32 v33, v33, v34, vcc_lo
	v_bfe_u32 v34, v37, 16, 1
	v_cmp_u_f32_e32 vcc_lo, v21, v21
	v_lshlrev_b32_e32 v23, 16, v23
	v_mul_f32_e32 v35, v26, v35
	v_and_b32_e32 v39, 0xffff0000, v24
	v_add3_u32 v34, v34, v37, 0x7fff
	v_cndmask_b32_e32 v21, v36, v38, vcc_lo
	v_or_b32_e32 v36, 0x400000, v37
	v_bfe_u32 v38, v22, 16, 1
	v_cmp_u_f32_e32 vcc_lo, v37, v37
	v_mul_f32_e32 v23, v32, v23
	v_or_b32_e32 v37, 0x400000, v22
	v_lshlrev_b32_e32 v24, 16, v24
	v_and_b32_e32 v21, 0xffff0000, v21
	v_cndmask_b32_e32 v34, v34, v36, vcc_lo
	v_add3_u32 v36, v38, v22, 0x7fff
	v_bfe_u32 v38, v35, 16, 1
	v_cmp_u_f32_e32 vcc_lo, v22, v22
	v_bfe_u32 v40, v23, 16, 1
	v_mul_f32_e32 v24, v31, v24
	v_and_b32_e32 v33, 0xffff0000, v33
	v_and_b32_e32 v34, 0xffff0000, v34
	v_cndmask_b32_e32 v22, v36, v37, vcc_lo
	v_add3_u32 v36, v38, v35, 0x7fff
	v_mul_f32_e32 v37, v28, v39
	v_or_b32_e32 v38, 0x400000, v35
	v_cmp_u_f32_e32 vcc_lo, v35, v35
	v_add3_u32 v39, v40, v23, 0x7fff
	v_or_b32_e32 v40, 0x400000, v23
	v_bfe_u32 v59, v37, 16, 1
	v_and_b32_e32 v22, 0xffff0000, v22
	v_cndmask_b32_e32 v35, v36, v38, vcc_lo
	v_cmp_u_f32_e32 vcc_lo, v23, v23
	v_or_b32_e32 v38, 0x400000, v37
	v_add3_u32 v36, v59, v37, 0x7fff
	v_add_f32_e32 v21, v21, v33
	v_add_f32_e32 v22, v22, v34
	v_cndmask_b32_e32 v23, v39, v40, vcc_lo
	v_bfe_u32 v39, v24, 16, 1
	v_cmp_u_f32_e32 vcc_lo, v37, v37
	v_and_b32_e32 v34, 0xffff0000, v17
	v_and_b32_e32 v33, 0xffff0000, v35
	;; [unrolled: 1-line block ×3, first 2 shown]
	v_add3_u32 v37, v39, v24, 0x7fff
	v_cndmask_b32_e32 v36, v36, v38, vcc_lo
	v_or_b32_e32 v38, 0x400000, v24
	v_cmp_u_f32_e32 vcc_lo, v24, v24
	v_lshlrev_b32_e32 v17, 16, v17
	v_add_f32_e32 v21, v22, v21
	v_mul_f32_e32 v22, v25, v34
	v_add_f32_e32 v23, v23, v33
	v_cndmask_b32_e32 v24, v37, v38, vcc_lo
	v_mul_f32_e32 v17, v29, v17
	v_and_b32_e32 v33, 0xffff0000, v36
	v_bfe_u32 v34, v22, 16, 1
	v_add_f32_e32 v21, v23, v21
	v_and_b32_e32 v24, 0xffff0000, v24
	v_bfe_u32 v23, v17, 16, 1
	v_and_b32_e32 v35, 0xffff0000, v18
	v_cmp_u_f32_e32 vcc_lo, v22, v22
	v_or_b32_e32 v36, 0x400000, v17
	v_add_f32_e32 v24, v24, v33
	v_add3_u32 v33, v34, v22, 0x7fff
	v_or_b32_e32 v34, 0x400000, v22
	v_add3_u32 v23, v23, v17, 0x7fff
	v_mul_f32_e32 v35, v27, v35
	v_lshlrev_b32_e32 v18, 16, v18
	v_and_b32_e32 v37, 0xffff0000, v20
	v_cndmask_b32_e32 v22, v33, v34, vcc_lo
	v_cmp_u_f32_e32 vcc_lo, v17, v17
	v_bfe_u32 v33, v35, 16, 1
	v_mul_f32_e32 v18, v30, v18
	v_or_b32_e32 v34, 0x400000, v35
	v_lshlrev_b32_e32 v20, 16, v20
	v_cndmask_b32_e32 v17, v23, v36, vcc_lo
	v_and_b32_e32 v23, 0xffff0000, v19
	v_add3_u32 v33, v33, v35, 0x7fff
	v_lshlrev_b32_e32 v19, 16, v19
	v_bfe_u32 v36, v18, 16, 1
	v_cmp_u_f32_e32 vcc_lo, v35, v35
	v_mul_f32_e32 v23, v26, v23
	v_or_b32_e32 v35, 0x400000, v18
	v_mul_f32_e32 v19, v32, v19
	v_mul_f32_e32 v20, v31, v20
	v_cndmask_b32_e32 v33, v33, v34, vcc_lo
	v_add3_u32 v34, v36, v18, 0x7fff
	v_bfe_u32 v36, v23, 16, 1
	v_cmp_u_f32_e32 vcc_lo, v18, v18
	v_bfe_u32 v38, v19, 16, 1
	v_and_b32_e32 v17, 0xffff0000, v17
	v_and_b32_e32 v22, 0xffff0000, v22
	;; [unrolled: 1-line block ×3, first 2 shown]
	v_cndmask_b32_e32 v18, v34, v35, vcc_lo
	v_add3_u32 v34, v36, v23, 0x7fff
	v_mul_f32_e32 v35, v28, v37
	v_or_b32_e32 v36, 0x400000, v23
	v_cmp_u_f32_e32 vcc_lo, v23, v23
	v_add3_u32 v37, v38, v19, 0x7fff
	v_or_b32_e32 v38, 0x400000, v19
	v_bfe_u32 v39, v35, 16, 1
	v_and_b32_e32 v18, 0xffff0000, v18
	v_cndmask_b32_e32 v23, v34, v36, vcc_lo
	v_cmp_u_f32_e32 vcc_lo, v19, v19
	v_or_b32_e32 v36, 0x400000, v35
	v_add3_u32 v34, v39, v35, 0x7fff
	v_add_f32_e32 v17, v17, v22
	v_add_f32_e32 v18, v18, v33
	v_cndmask_b32_e32 v19, v37, v38, vcc_lo
	v_bfe_u32 v37, v20, 16, 1
	v_cmp_u_f32_e32 vcc_lo, v35, v35
	v_and_b32_e32 v22, 0xffff0000, v23
	v_add_f32_e32 v17, v18, v17
	v_and_b32_e32 v19, 0xffff0000, v19
	v_add3_u32 v35, v37, v20, 0x7fff
	v_cndmask_b32_e32 v34, v34, v36, vcc_lo
	v_or_b32_e32 v36, 0x400000, v20
	v_cmp_u_f32_e32 vcc_lo, v20, v20
	v_and_b32_e32 v18, 0xffff0000, v13
	v_add_f32_e32 v19, v19, v22
	v_lshlrev_b32_e32 v13, 16, v13
	v_and_b32_e32 v22, 0xffff0000, v34
	v_cndmask_b32_e32 v20, v35, v36, vcc_lo
	v_mul_f32_e32 v18, v25, v18
	v_add_f32_e32 v21, v24, v21
	v_mul_f32_e32 v23, v29, v13
	v_add_f32_e32 v13, v19, v17
	v_and_b32_e32 v20, 0xffff0000, v20
	v_bfe_u32 v19, v18, 16, 1
	v_add_f32_e32 v49, v49, v21
	v_and_b32_e32 v21, 0xffff0000, v14
	v_cmp_u_f32_e32 vcc_lo, v18, v18
	v_add_f32_e32 v17, v20, v22
	v_bfe_u32 v20, v23, 16, 1
	v_or_b32_e32 v22, 0x400000, v23
	v_mul_f32_e32 v21, v27, v21
	v_lshlrev_b32_e32 v14, 16, v14
	v_add_f32_e32 v13, v17, v13
	v_add3_u32 v17, v19, v18, 0x7fff
	v_or_b32_e32 v19, 0x400000, v18
	v_add3_u32 v20, v20, v23, 0x7fff
	v_bfe_u32 v18, v21, 16, 1
	v_mul_f32_e32 v14, v30, v14
	v_and_b32_e32 v24, 0xffff0000, v16
	v_cndmask_b32_e32 v17, v17, v19, vcc_lo
	v_cmp_u_f32_e32 vcc_lo, v23, v23
	v_add3_u32 v18, v18, v21, 0x7fff
	v_bfe_u32 v23, v14, 16, 1
	v_lshlrev_b32_e32 v16, 16, v16
	v_and_b32_e32 v17, 0xffff0000, v17
	v_cndmask_b32_e32 v19, v20, v22, vcc_lo
	v_and_b32_e32 v20, 0xffff0000, v15
	v_or_b32_e32 v22, 0x400000, v21
	v_lshlrev_b32_e32 v15, 16, v15
	v_cmp_u_f32_e32 vcc_lo, v21, v21
	v_add3_u32 v21, v23, v14, 0x7fff
	v_mul_f32_e32 v20, v26, v20
	v_mul_f32_e32 v16, v31, v16
	;; [unrolled: 1-line block ×3, first 2 shown]
	v_cndmask_b32_e32 v18, v18, v22, vcc_lo
	v_or_b32_e32 v22, 0x400000, v14
	v_bfe_u32 v23, v20, 16, 1
	v_cmp_u_f32_e32 vcc_lo, v14, v14
	v_bfe_u32 v33, v15, 16, 1
	v_and_b32_e32 v19, 0xffff0000, v19
	v_and_b32_e32 v18, 0xffff0000, v18
	v_add_f32_e32 v50, v50, v13
	v_cndmask_b32_e32 v14, v21, v22, vcc_lo
	v_add3_u32 v21, v23, v20, 0x7fff
	v_mul_f32_e32 v22, v28, v24
	v_or_b32_e32 v23, 0x400000, v20
	v_cmp_u_f32_e32 vcc_lo, v20, v20
	v_add3_u32 v24, v33, v15, 0x7fff
	v_or_b32_e32 v33, 0x400000, v15
	v_bfe_u32 v34, v22, 16, 1
	v_and_b32_e32 v14, 0xffff0000, v14
	v_cndmask_b32_e32 v20, v21, v23, vcc_lo
	v_cmp_u_f32_e32 vcc_lo, v15, v15
	v_or_b32_e32 v23, 0x400000, v22
	v_add3_u32 v21, v34, v22, 0x7fff
	v_add_f32_e32 v17, v19, v17
	v_add_f32_e32 v14, v14, v18
	v_cndmask_b32_e32 v15, v24, v33, vcc_lo
	v_bfe_u32 v24, v16, 16, 1
	v_cmp_u_f32_e32 vcc_lo, v22, v22
	v_and_b32_e32 v19, 0xffff0000, v5
	v_and_b32_e32 v18, 0xffff0000, v20
	;; [unrolled: 1-line block ×3, first 2 shown]
	v_add3_u32 v22, v24, v16, 0x7fff
	v_cndmask_b32_e32 v21, v21, v23, vcc_lo
	v_or_b32_e32 v23, 0x400000, v16
	v_cmp_u_f32_e32 vcc_lo, v16, v16
	v_lshlrev_b32_e32 v5, 16, v5
	v_add_f32_e32 v14, v14, v17
	v_mul_f32_e32 v17, v25, v19
	v_add_f32_e32 v15, v15, v18
	v_cndmask_b32_e32 v16, v22, v23, vcc_lo
	v_mul_f32_e32 v18, v29, v5
	v_and_b32_e32 v19, 0xffff0000, v21
	v_and_b32_e32 v20, 0xffff0000, v6
	v_bfe_u32 v21, v17, 16, 1
	v_and_b32_e32 v16, 0xffff0000, v16
	v_add_f32_e32 v5, v15, v14
	v_bfe_u32 v15, v18, 16, 1
	v_cmp_u_f32_e32 vcc_lo, v17, v17
	v_lshlrev_b32_e32 v6, 16, v6
	v_add_f32_e32 v14, v16, v19
	v_mul_f32_e32 v16, v27, v20
	v_add3_u32 v19, v21, v17, 0x7fff
	v_or_b32_e32 v20, 0x400000, v17
	v_add3_u32 v15, v15, v18, 0x7fff
	v_or_b32_e32 v21, 0x400000, v18
	v_bfe_u32 v22, v16, 16, 1
	v_mul_f32_e32 v6, v30, v6
	v_cndmask_b32_e32 v17, v19, v20, vcc_lo
	v_cmp_u_f32_e32 vcc_lo, v18, v18
	v_or_b32_e32 v19, 0x400000, v16
	v_add3_u32 v18, v22, v16, 0x7fff
	v_and_b32_e32 v20, 0xffff0000, v7
	v_lshlrev_b32_e32 v7, 16, v7
	v_cndmask_b32_e32 v15, v15, v21, vcc_lo
	v_cmp_u_f32_e32 vcc_lo, v16, v16
	v_bfe_u32 v21, v6, 16, 1
	v_and_b32_e32 v17, 0xffff0000, v17
	v_mul_f32_e32 v7, v32, v7
	v_and_b32_e32 v15, 0xffff0000, v15
	v_cndmask_b32_e32 v16, v18, v19, vcc_lo
	v_mul_f32_e32 v18, v26, v20
	v_add3_u32 v19, v21, v6, 0x7fff
	v_or_b32_e32 v20, 0x400000, v6
	v_and_b32_e32 v21, 0xffff0000, v8
	v_cmp_u_f32_e32 vcc_lo, v6, v6
	v_bfe_u32 v22, v18, 16, 1
	v_bfe_u32 v23, v7, 16, 1
	v_lshlrev_b32_e32 v8, 16, v8
	v_and_b32_e32 v16, 0xffff0000, v16
	v_cndmask_b32_e32 v6, v19, v20, vcc_lo
	v_mul_f32_e32 v19, v28, v21
	v_add3_u32 v20, v22, v18, 0x7fff
	v_or_b32_e32 v21, 0x400000, v18
	v_cmp_u_f32_e32 vcc_lo, v18, v18
	v_add3_u32 v22, v23, v7, 0x7fff
	v_or_b32_e32 v23, 0x400000, v7
	v_bfe_u32 v24, v19, 16, 1
	v_and_b32_e32 v6, 0xffff0000, v6
	v_cndmask_b32_e32 v18, v20, v21, vcc_lo
	v_cmp_u_f32_e32 vcc_lo, v7, v7
	v_or_b32_e32 v21, 0x400000, v19
	v_add3_u32 v20, v24, v19, 0x7fff
	v_mul_f32_e32 v8, v31, v8
	v_add_f32_e32 v15, v15, v17
	v_cndmask_b32_e32 v7, v22, v23, vcc_lo
	v_cmp_u_f32_e32 vcc_lo, v19, v19
	v_add_f32_e32 v6, v6, v16
	v_and_b32_e32 v16, 0xffff0000, v1
	v_and_b32_e32 v17, 0xffff0000, v18
	;; [unrolled: 1-line block ×3, first 2 shown]
	v_cndmask_b32_e32 v19, v20, v21, vcc_lo
	v_bfe_u32 v20, v8, 16, 1
	v_add_f32_e32 v6, v6, v15
	v_mul_f32_e32 v15, v25, v16
	v_add_f32_e32 v7, v7, v17
	v_lshlrev_b32_e32 v1, 16, v1
	v_add3_u32 v18, v20, v8, 0x7fff
	v_or_b32_e32 v20, 0x400000, v8
	v_cmp_u_f32_e32 vcc_lo, v8, v8
	v_bfe_u32 v16, v15, 16, 1
	v_add_f32_e32 v6, v7, v6
	v_and_b32_e32 v7, 0xffff0000, v2
	v_mul_f32_e32 v1, v29, v1
	v_cndmask_b32_e32 v8, v18, v20, vcc_lo
	v_add3_u32 v16, v16, v15, 0x7fff
	v_or_b32_e32 v17, 0x400000, v15
	v_mul_f32_e32 v7, v27, v7
	v_and_b32_e32 v18, 0xffff0000, v19
	v_bfe_u32 v19, v1, 16, 1
	v_cmp_u_f32_e32 vcc_lo, v15, v15
	v_lshlrev_b32_e32 v2, 16, v2
	v_or_b32_e32 v20, 0x400000, v1
	v_or_b32_e32 v21, 0x400000, v7
	v_and_b32_e32 v8, 0xffff0000, v8
	v_cndmask_b32_e32 v15, v16, v17, vcc_lo
	v_bfe_u32 v16, v7, 16, 1
	v_add3_u32 v17, v19, v1, 0x7fff
	v_and_b32_e32 v19, 0xffff0000, v3
	v_mul_f32_e32 v2, v30, v2
	v_cmp_u_f32_e32 vcc_lo, v1, v1
	v_add3_u32 v16, v16, v7, 0x7fff
	v_lshlrev_b32_e32 v3, 16, v3
	v_mul_f32_e32 v19, v26, v19
	v_and_b32_e32 v15, 0xffff0000, v15
	v_cndmask_b32_e32 v1, v17, v20, vcc_lo
	v_bfe_u32 v17, v2, 16, 1
	v_cmp_u_f32_e32 vcc_lo, v7, v7
	v_and_b32_e32 v20, 0xffff0000, v4
	v_mul_f32_e32 v3, v32, v3
	v_or_b32_e32 v22, 0x400000, v19
	v_add3_u32 v17, v17, v2, 0x7fff
	v_cndmask_b32_e32 v7, v16, v21, vcc_lo
	v_bfe_u32 v16, v19, 16, 1
	v_or_b32_e32 v21, 0x400000, v2
	v_cmp_u_f32_e32 vcc_lo, v2, v2
	v_mul_f32_e32 v20, v28, v20
	v_lshlrev_b32_e32 v4, 16, v4
	v_add3_u32 v16, v16, v19, 0x7fff
	v_and_b32_e32 v1, 0xffff0000, v1
	v_cndmask_b32_e32 v2, v17, v21, vcc_lo
	v_bfe_u32 v17, v3, 16, 1
	v_cmp_u_f32_e32 vcc_lo, v19, v19
	v_bfe_u32 v21, v20, 16, 1
	v_or_b32_e32 v19, 0x400000, v3
	v_mul_f32_e32 v4, v31, v4
	v_add3_u32 v17, v17, v3, 0x7fff
	v_cndmask_b32_e32 v16, v16, v22, vcc_lo
	v_cmp_u_f32_e32 vcc_lo, v3, v3
	v_add3_u32 v21, v21, v20, 0x7fff
	v_or_b32_e32 v22, 0x400000, v20
	v_and_b32_e32 v2, 0xffff0000, v2
	v_and_b32_e32 v7, 0xffff0000, v7
	v_cndmask_b32_e32 v3, v17, v19, vcc_lo
	v_cmp_u_f32_e32 vcc_lo, v20, v20
	v_bfe_u32 v19, v4, 16, 1
	v_add_f32_e32 v1, v1, v15
	v_add_f32_e32 v2, v2, v7
	v_and_b32_e32 v3, 0xffff0000, v3
	v_cndmask_b32_e32 v17, v21, v22, vcc_lo
	s_waitcnt vmcnt(0)
	v_lshlrev_b32_e32 v21, 16, v9
	v_and_b32_e32 v7, 0xffff0000, v16
	v_and_b32_e32 v9, 0xffff0000, v9
	v_add3_u32 v19, v19, v4, 0x7fff
	v_or_b32_e32 v20, 0x400000, v4
	v_mul_f32_e32 v15, v29, v21
	v_cmp_u_f32_e32 vcc_lo, v4, v4
	v_add_f32_e32 v1, v2, v1
	v_add_f32_e32 v3, v3, v7
	v_mul_f32_e32 v7, v25, v9
	v_bfe_u32 v2, v15, 16, 1
	v_lshlrev_b32_e32 v9, 16, v10
	v_cndmask_b32_e32 v4, v19, v20, vcc_lo
	v_or_b32_e32 v16, 0x400000, v15
	v_bfe_u32 v19, v7, 16, 1
	v_add3_u32 v2, v2, v15, 0x7fff
	v_mul_f32_e32 v9, v30, v9
	v_and_b32_e32 v10, 0xffff0000, v10
	v_cmp_u_f32_e32 vcc_lo, v15, v15
	v_add3_u32 v15, v19, v7, 0x7fff
	v_lshlrev_b32_e32 v20, 16, v11
	v_bfe_u32 v19, v9, 16, 1
	v_mul_f32_e32 v10, v27, v10
	v_cndmask_b32_e32 v2, v2, v16, vcc_lo
	v_or_b32_e32 v16, 0x400000, v7
	v_cmp_u_f32_e32 vcc_lo, v7, v7
	v_mul_f32_e32 v20, v32, v20
	v_and_b32_e32 v11, 0xffff0000, v11
	v_lshlrev_b32_e32 v21, 16, v12
	v_and_b32_e32 v12, 0xffff0000, v12
	v_cndmask_b32_e32 v7, v15, v16, vcc_lo
	v_add3_u32 v15, v19, v9, 0x7fff
	v_or_b32_e32 v16, 0x400000, v9
	v_bfe_u32 v19, v10, 16, 1
	v_cmp_u_f32_e32 vcc_lo, v9, v9
	v_mul_f32_e32 v11, v26, v11
	v_mul_f32_e32 v12, v28, v12
	v_and_b32_e32 v7, 0xffff0000, v7
	v_and_b32_e32 v2, 0xffff0000, v2
	v_cndmask_b32_e32 v9, v15, v16, vcc_lo
	v_add3_u32 v15, v19, v10, 0x7fff
	v_or_b32_e32 v16, 0x400000, v10
	v_bfe_u32 v19, v20, 16, 1
	v_cmp_u_f32_e32 vcc_lo, v10, v10
	v_or_b32_e32 v22, 0x400000, v11
	v_bfe_u32 v24, v12, 16, 1
	v_and_b32_e32 v9, 0xffff0000, v9
	v_add_f32_e32 v2, v2, v7
	v_cndmask_b32_e32 v10, v15, v16, vcc_lo
	v_bfe_u32 v15, v11, 16, 1
	v_add3_u32 v16, v19, v20, 0x7fff
	v_mul_f32_e32 v19, v31, v21
	v_or_b32_e32 v21, 0x400000, v20
	v_cmp_u_f32_e32 vcc_lo, v20, v20
	v_add3_u32 v15, v15, v11, 0x7fff
	v_add3_u32 v20, v24, v12, 0x7fff
	v_bfe_u32 v23, v19, 16, 1
	v_and_b32_e32 v10, 0xffff0000, v10
	v_cndmask_b32_e32 v16, v16, v21, vcc_lo
	v_cmp_u_f32_e32 vcc_lo, v11, v11
	v_or_b32_e32 v21, 0x400000, v12
	v_and_b32_e32 v4, 0xffff0000, v4
	v_add_f32_e32 v7, v9, v10
	v_and_b32_e32 v10, 0xffff0000, v16
	v_cndmask_b32_e32 v11, v15, v22, vcc_lo
	v_cmp_u_f32_e32 vcc_lo, v12, v12
	v_add3_u32 v15, v23, v19, 0x7fff
	v_or_b32_e32 v22, 0x400000, v19
	v_add_f32_e32 v2, v7, v2
	v_and_b32_e32 v9, 0xffff0000, v11
	v_cndmask_b32_e32 v12, v20, v21, vcc_lo
	v_cmp_u_f32_e32 vcc_lo, v19, v19
	v_add_f32_e32 v8, v8, v18
	v_add_f32_e32 v1, v3, v1
	;; [unrolled: 1-line block ×3, first 2 shown]
	v_and_b32_e32 v9, 0xffff0000, v12
	v_cndmask_b32_e32 v11, v15, v22, vcc_lo
	v_and_b32_e32 v15, 0xffff0000, v17
	v_add_f32_e32 v5, v14, v5
	v_add_f32_e32 v2, v7, v2
	v_add_f32_e32 v6, v8, v6
	v_and_b32_e32 v10, 0xffff0000, v11
	v_add_f32_e32 v3, v4, v15
	v_cmp_le_i32_e32 vcc_lo, s11, v41
	v_add_f32_e32 v51, v51, v5
	v_add_f32_e32 v52, v52, v6
	;; [unrolled: 1-line block ×4, first 2 shown]
	s_or_b32 s9, vcc_lo, s9
	v_add_f32_e32 v2, v4, v2
	v_add_f32_e32 v53, v53, v1
	;; [unrolled: 1-line block ×3, first 2 shown]
	s_andn2_b32 exec_lo, exec_lo, s9
	s_cbranch_execz .LBB152_49
.LBB152_33:                             ; =>This Inner Loop Header: Depth=1
	global_load_dword v1, v[42:43], off
	v_cmp_eq_u32_e64 s0, s5, v41
	v_add_nc_u32_e32 v65, 1, v57
	v_or_b32_e32 v63, 3, v57
	v_or_b32_e32 v64, 2, v57
	;; [unrolled: 1-line block ×6, first 2 shown]
	s_waitcnt vmcnt(0)
	v_mad_i64_i32 v[1:2], null, v1, s6, 0
	v_lshlrev_b64 v[1:2], 1, v[1:2]
	v_add_co_u32 v9, vcc_lo, v55, v1
	v_add_co_ci_u32_e64 v10, null, v56, v2, vcc_lo
	global_load_dwordx4 v[1:4], v[9:10], off
	ds_read2_b64 v[29:32], v58 offset1:1
	ds_read2_b64 v[25:28], v58 offset0:2 offset1:3
	s_and_saveexec_b32 s13, s0
	s_cbranch_execnz .LBB152_42
; %bb.34:                               ;   in Loop: Header=BB152_33 Depth=1
	s_or_b32 exec_lo, exec_lo, s13
	global_load_dwordx4 v[5:8], v[9:10], off offset:512
	s_and_saveexec_b32 s13, s0
	s_cbranch_execnz .LBB152_43
.LBB152_35:                             ;   in Loop: Header=BB152_33 Depth=1
	s_or_b32 exec_lo, exec_lo, s13
	global_load_dwordx4 v[13:16], v[9:10], off offset:1024
	s_and_saveexec_b32 s13, s0
	s_cbranch_execnz .LBB152_44
.LBB152_36:                             ;   in Loop: Header=BB152_33 Depth=1
	s_or_b32 exec_lo, exec_lo, s13
	global_load_dwordx4 v[17:20], v[9:10], off offset:1536
	s_and_saveexec_b32 s13, s0
	s_cbranch_execz .LBB152_38
.LBB152_37:                             ;   in Loop: Header=BB152_33 Depth=1
	v_cmp_gt_i32_e64 s1, s23, v57
	v_cmp_gt_i32_e32 vcc_lo, s12, v65
	v_cmp_gt_i32_e64 s2, s23, v64
	s_waitcnt vmcnt(0)
	v_cndmask_b32_e64 v11, 0, v17, s1
	v_cmp_gt_i32_e64 s1, s12, v63
	v_cndmask_b32_sdwa v17, v54, v17, vcc_lo dst_sel:DWORD dst_unused:UNUSED_PAD src0_sel:DWORD src1_sel:WORD_1
	v_cndmask_b32_e64 v12, 0, v18, s2
	v_cmp_gt_i32_e64 s2, s12, v62
	s_mov_b32 vcc_lo, s1
	v_cmp_gt_i32_e64 s1, s12, v60
	v_cndmask_b32_sdwa v18, v54, v18, vcc_lo dst_sel:DWORD dst_unused:UNUSED_PAD src0_sel:DWORD src1_sel:WORD_1
	v_cmp_gt_i32_e32 vcc_lo, s23, v61
	v_perm_b32 v17, v17, v11, 0x5040100
	v_perm_b32 v18, v18, v12, 0x5040100
	v_cndmask_b32_e32 v21, 0, v19, vcc_lo
	s_mov_b32 vcc_lo, s2
	v_cndmask_b32_sdwa v19, v54, v19, vcc_lo dst_sel:DWORD dst_unused:UNUSED_PAD src0_sel:DWORD src1_sel:WORD_1
	v_cmp_gt_i32_e32 vcc_lo, s23, v59
	v_perm_b32 v19, v19, v21, 0x5040100
	v_cndmask_b32_e32 v22, 0, v20, vcc_lo
	s_mov_b32 vcc_lo, s1
	v_cndmask_b32_sdwa v20, v54, v20, vcc_lo dst_sel:DWORD dst_unused:UNUSED_PAD src0_sel:DWORD src1_sel:WORD_1
	v_perm_b32 v20, v20, v22, 0x5040100
.LBB152_38:                             ;   in Loop: Header=BB152_33 Depth=1
	s_or_b32 exec_lo, exec_lo, s13
	v_add_co_u32 v9, vcc_lo, 0x800, v9
	v_add_co_ci_u32_e64 v10, null, 0, v10, vcc_lo
	global_load_dwordx4 v[21:24], v[9:10], off
	s_and_saveexec_b32 s13, s0
	s_cbranch_execnz .LBB152_45
; %bb.39:                               ;   in Loop: Header=BB152_33 Depth=1
	s_or_b32 exec_lo, exec_lo, s13
	global_load_dwordx4 v[33:36], v[9:10], off offset:512
	s_and_saveexec_b32 s13, s0
	s_cbranch_execnz .LBB152_46
.LBB152_40:                             ;   in Loop: Header=BB152_33 Depth=1
	s_or_b32 exec_lo, exec_lo, s13
	global_load_dwordx4 v[37:40], v[9:10], off offset:1024
	s_and_saveexec_b32 s13, s0
	s_cbranch_execnz .LBB152_47
.LBB152_41:                             ;   in Loop: Header=BB152_33 Depth=1
	s_or_b32 exec_lo, exec_lo, s13
	global_load_dwordx4 v[9:12], v[9:10], off offset:1536
	s_and_saveexec_b32 s2, s0
	s_cbranch_execz .LBB152_32
	s_branch .LBB152_48
.LBB152_42:                             ;   in Loop: Header=BB152_33 Depth=1
	v_cmp_gt_i32_e64 s1, s23, v57
	v_cmp_gt_i32_e32 vcc_lo, s12, v65
	v_cmp_gt_i32_e64 s2, s23, v64
	s_waitcnt vmcnt(0)
	v_cndmask_b32_e64 v5, 0, v1, s1
	v_cmp_gt_i32_e64 s1, s12, v63
	v_cndmask_b32_sdwa v1, v54, v1, vcc_lo dst_sel:DWORD dst_unused:UNUSED_PAD src0_sel:DWORD src1_sel:WORD_1
	v_cndmask_b32_e64 v6, 0, v2, s2
	v_cmp_gt_i32_e64 s2, s12, v62
	s_mov_b32 vcc_lo, s1
	v_cmp_gt_i32_e64 s1, s12, v60
	v_cndmask_b32_sdwa v2, v54, v2, vcc_lo dst_sel:DWORD dst_unused:UNUSED_PAD src0_sel:DWORD src1_sel:WORD_1
	v_cmp_gt_i32_e32 vcc_lo, s23, v61
	v_perm_b32 v1, v1, v5, 0x5040100
	v_perm_b32 v2, v2, v6, 0x5040100
	v_cndmask_b32_e32 v7, 0, v3, vcc_lo
	s_mov_b32 vcc_lo, s2
	v_cndmask_b32_sdwa v3, v54, v3, vcc_lo dst_sel:DWORD dst_unused:UNUSED_PAD src0_sel:DWORD src1_sel:WORD_1
	v_cmp_gt_i32_e32 vcc_lo, s23, v59
	v_perm_b32 v3, v3, v7, 0x5040100
	v_cndmask_b32_e32 v8, 0, v4, vcc_lo
	s_mov_b32 vcc_lo, s1
	v_cndmask_b32_sdwa v4, v54, v4, vcc_lo dst_sel:DWORD dst_unused:UNUSED_PAD src0_sel:DWORD src1_sel:WORD_1
	v_perm_b32 v4, v4, v8, 0x5040100
	s_or_b32 exec_lo, exec_lo, s13
	global_load_dwordx4 v[5:8], v[9:10], off offset:512
	s_and_saveexec_b32 s13, s0
	s_cbranch_execz .LBB152_35
.LBB152_43:                             ;   in Loop: Header=BB152_33 Depth=1
	v_cmp_gt_i32_e64 s1, s23, v57
	v_cmp_gt_i32_e32 vcc_lo, s12, v65
	v_cmp_gt_i32_e64 s2, s23, v64
	s_waitcnt vmcnt(0)
	v_cndmask_b32_e64 v11, 0, v5, s1
	v_cmp_gt_i32_e64 s1, s12, v63
	v_cndmask_b32_sdwa v5, v54, v5, vcc_lo dst_sel:DWORD dst_unused:UNUSED_PAD src0_sel:DWORD src1_sel:WORD_1
	v_cndmask_b32_e64 v12, 0, v6, s2
	v_cmp_gt_i32_e64 s2, s12, v62
	s_mov_b32 vcc_lo, s1
	v_cmp_gt_i32_e64 s1, s12, v60
	v_cndmask_b32_sdwa v6, v54, v6, vcc_lo dst_sel:DWORD dst_unused:UNUSED_PAD src0_sel:DWORD src1_sel:WORD_1
	v_cmp_gt_i32_e32 vcc_lo, s23, v61
	v_perm_b32 v5, v5, v11, 0x5040100
	v_perm_b32 v6, v6, v12, 0x5040100
	v_cndmask_b32_e32 v13, 0, v7, vcc_lo
	s_mov_b32 vcc_lo, s2
	v_cndmask_b32_sdwa v7, v54, v7, vcc_lo dst_sel:DWORD dst_unused:UNUSED_PAD src0_sel:DWORD src1_sel:WORD_1
	v_cmp_gt_i32_e32 vcc_lo, s23, v59
	v_perm_b32 v7, v7, v13, 0x5040100
	v_cndmask_b32_e32 v14, 0, v8, vcc_lo
	s_mov_b32 vcc_lo, s1
	v_cndmask_b32_sdwa v8, v54, v8, vcc_lo dst_sel:DWORD dst_unused:UNUSED_PAD src0_sel:DWORD src1_sel:WORD_1
	v_perm_b32 v8, v8, v14, 0x5040100
	s_or_b32 exec_lo, exec_lo, s13
	global_load_dwordx4 v[13:16], v[9:10], off offset:1024
	s_and_saveexec_b32 s13, s0
	s_cbranch_execz .LBB152_36
.LBB152_44:                             ;   in Loop: Header=BB152_33 Depth=1
	v_cmp_gt_i32_e64 s1, s23, v57
	v_cmp_gt_i32_e32 vcc_lo, s12, v65
	v_cmp_gt_i32_e64 s2, s23, v64
	s_waitcnt vmcnt(0)
	v_cndmask_b32_e64 v11, 0, v13, s1
	v_cmp_gt_i32_e64 s1, s12, v63
	v_cndmask_b32_sdwa v13, v54, v13, vcc_lo dst_sel:DWORD dst_unused:UNUSED_PAD src0_sel:DWORD src1_sel:WORD_1
	v_cndmask_b32_e64 v12, 0, v14, s2
	v_cmp_gt_i32_e64 s2, s12, v62
	s_mov_b32 vcc_lo, s1
	v_cmp_gt_i32_e64 s1, s12, v60
	v_cndmask_b32_sdwa v14, v54, v14, vcc_lo dst_sel:DWORD dst_unused:UNUSED_PAD src0_sel:DWORD src1_sel:WORD_1
	v_cmp_gt_i32_e32 vcc_lo, s23, v61
	v_perm_b32 v13, v13, v11, 0x5040100
	v_perm_b32 v14, v14, v12, 0x5040100
	v_cndmask_b32_e32 v17, 0, v15, vcc_lo
	s_mov_b32 vcc_lo, s2
	v_cndmask_b32_sdwa v15, v54, v15, vcc_lo dst_sel:DWORD dst_unused:UNUSED_PAD src0_sel:DWORD src1_sel:WORD_1
	v_cmp_gt_i32_e32 vcc_lo, s23, v59
	v_perm_b32 v15, v15, v17, 0x5040100
	v_cndmask_b32_e32 v18, 0, v16, vcc_lo
	s_mov_b32 vcc_lo, s1
	v_cndmask_b32_sdwa v16, v54, v16, vcc_lo dst_sel:DWORD dst_unused:UNUSED_PAD src0_sel:DWORD src1_sel:WORD_1
	v_perm_b32 v16, v16, v18, 0x5040100
	s_or_b32 exec_lo, exec_lo, s13
	global_load_dwordx4 v[17:20], v[9:10], off offset:1536
	s_and_saveexec_b32 s13, s0
	s_cbranch_execnz .LBB152_37
	s_branch .LBB152_38
.LBB152_45:                             ;   in Loop: Header=BB152_33 Depth=1
	v_cmp_gt_i32_e64 s1, s23, v57
	v_cmp_gt_i32_e32 vcc_lo, s12, v65
	v_cmp_gt_i32_e64 s2, s23, v64
	s_waitcnt vmcnt(0)
	v_cndmask_b32_e64 v11, 0, v21, s1
	v_cmp_gt_i32_e64 s1, s12, v63
	v_cndmask_b32_sdwa v21, v54, v21, vcc_lo dst_sel:DWORD dst_unused:UNUSED_PAD src0_sel:DWORD src1_sel:WORD_1
	v_cndmask_b32_e64 v12, 0, v22, s2
	v_cmp_gt_i32_e64 s2, s12, v62
	s_mov_b32 vcc_lo, s1
	v_cmp_gt_i32_e64 s1, s12, v60
	v_cndmask_b32_sdwa v22, v54, v22, vcc_lo dst_sel:DWORD dst_unused:UNUSED_PAD src0_sel:DWORD src1_sel:WORD_1
	v_cmp_gt_i32_e32 vcc_lo, s23, v61
	v_perm_b32 v21, v21, v11, 0x5040100
	v_perm_b32 v22, v22, v12, 0x5040100
	v_cndmask_b32_e32 v33, 0, v23, vcc_lo
	s_mov_b32 vcc_lo, s2
	v_cndmask_b32_sdwa v23, v54, v23, vcc_lo dst_sel:DWORD dst_unused:UNUSED_PAD src0_sel:DWORD src1_sel:WORD_1
	v_cmp_gt_i32_e32 vcc_lo, s23, v59
	v_perm_b32 v23, v23, v33, 0x5040100
	v_cndmask_b32_e32 v34, 0, v24, vcc_lo
	s_mov_b32 vcc_lo, s1
	v_cndmask_b32_sdwa v24, v54, v24, vcc_lo dst_sel:DWORD dst_unused:UNUSED_PAD src0_sel:DWORD src1_sel:WORD_1
	v_perm_b32 v24, v24, v34, 0x5040100
	s_or_b32 exec_lo, exec_lo, s13
	global_load_dwordx4 v[33:36], v[9:10], off offset:512
	s_and_saveexec_b32 s13, s0
	s_cbranch_execz .LBB152_40
.LBB152_46:                             ;   in Loop: Header=BB152_33 Depth=1
	v_cmp_gt_i32_e64 s1, s23, v57
	v_cmp_gt_i32_e32 vcc_lo, s12, v65
	v_cmp_gt_i32_e64 s2, s23, v64
	s_waitcnt vmcnt(0)
	v_cndmask_b32_e64 v11, 0, v33, s1
	v_cmp_gt_i32_e64 s1, s12, v63
	v_cndmask_b32_sdwa v33, v54, v33, vcc_lo dst_sel:DWORD dst_unused:UNUSED_PAD src0_sel:DWORD src1_sel:WORD_1
	v_cndmask_b32_e64 v12, 0, v34, s2
	v_cmp_gt_i32_e64 s2, s12, v62
	s_mov_b32 vcc_lo, s1
	v_cmp_gt_i32_e64 s1, s12, v60
	v_cndmask_b32_sdwa v34, v54, v34, vcc_lo dst_sel:DWORD dst_unused:UNUSED_PAD src0_sel:DWORD src1_sel:WORD_1
	v_cmp_gt_i32_e32 vcc_lo, s23, v61
	v_perm_b32 v33, v33, v11, 0x5040100
	v_perm_b32 v34, v34, v12, 0x5040100
	v_cndmask_b32_e32 v37, 0, v35, vcc_lo
	s_mov_b32 vcc_lo, s2
	v_cndmask_b32_sdwa v35, v54, v35, vcc_lo dst_sel:DWORD dst_unused:UNUSED_PAD src0_sel:DWORD src1_sel:WORD_1
	v_cmp_gt_i32_e32 vcc_lo, s23, v59
	v_perm_b32 v35, v35, v37, 0x5040100
	v_cndmask_b32_e32 v38, 0, v36, vcc_lo
	s_mov_b32 vcc_lo, s1
	v_cndmask_b32_sdwa v36, v54, v36, vcc_lo dst_sel:DWORD dst_unused:UNUSED_PAD src0_sel:DWORD src1_sel:WORD_1
	v_perm_b32 v36, v36, v38, 0x5040100
	s_or_b32 exec_lo, exec_lo, s13
	global_load_dwordx4 v[37:40], v[9:10], off offset:1024
	s_and_saveexec_b32 s13, s0
	s_cbranch_execz .LBB152_41
.LBB152_47:                             ;   in Loop: Header=BB152_33 Depth=1
	v_cmp_gt_i32_e64 s1, s23, v57
	v_cmp_gt_i32_e32 vcc_lo, s12, v65
	v_cmp_gt_i32_e64 s2, s23, v64
	s_waitcnt vmcnt(0)
	v_cndmask_b32_e64 v11, 0, v37, s1
	v_cmp_gt_i32_e64 s1, s12, v63
	v_cndmask_b32_sdwa v37, v54, v37, vcc_lo dst_sel:DWORD dst_unused:UNUSED_PAD src0_sel:DWORD src1_sel:WORD_1
	v_cndmask_b32_e64 v12, 0, v38, s2
	v_cmp_gt_i32_e64 s2, s12, v62
	s_mov_b32 vcc_lo, s1
	v_cmp_gt_i32_e64 s1, s12, v60
	v_cndmask_b32_sdwa v38, v54, v38, vcc_lo dst_sel:DWORD dst_unused:UNUSED_PAD src0_sel:DWORD src1_sel:WORD_1
	v_cmp_gt_i32_e32 vcc_lo, s23, v61
	v_perm_b32 v37, v37, v11, 0x5040100
	v_perm_b32 v38, v38, v12, 0x5040100
	v_cndmask_b32_e32 v66, 0, v39, vcc_lo
	s_mov_b32 vcc_lo, s2
	v_cndmask_b32_sdwa v39, v54, v39, vcc_lo dst_sel:DWORD dst_unused:UNUSED_PAD src0_sel:DWORD src1_sel:WORD_1
	v_cmp_gt_i32_e32 vcc_lo, s23, v59
	v_perm_b32 v39, v39, v66, 0x5040100
	v_cndmask_b32_e32 v67, 0, v40, vcc_lo
	s_mov_b32 vcc_lo, s1
	v_cndmask_b32_sdwa v40, v54, v40, vcc_lo dst_sel:DWORD dst_unused:UNUSED_PAD src0_sel:DWORD src1_sel:WORD_1
	v_perm_b32 v40, v40, v67, 0x5040100
	s_or_b32 exec_lo, exec_lo, s13
	global_load_dwordx4 v[9:12], v[9:10], off offset:1536
	s_and_saveexec_b32 s2, s0
	s_cbranch_execz .LBB152_32
.LBB152_48:                             ;   in Loop: Header=BB152_33 Depth=1
	v_cmp_gt_i32_e64 s0, s23, v57
	v_cmp_gt_i32_e32 vcc_lo, s12, v65
	v_cmp_gt_i32_e64 s1, s23, v64
	s_waitcnt vmcnt(0)
	v_cndmask_b32_e64 v65, 0, v9, s0
	v_cmp_gt_i32_e64 s0, s12, v63
	v_cndmask_b32_sdwa v9, v54, v9, vcc_lo dst_sel:DWORD dst_unused:UNUSED_PAD src0_sel:DWORD src1_sel:WORD_1
	v_cndmask_b32_e64 v63, 0, v10, s1
	v_cmp_gt_i32_e64 s1, s12, v62
	s_mov_b32 vcc_lo, s0
	v_cmp_gt_i32_e64 s0, s12, v60
	v_cndmask_b32_sdwa v10, v54, v10, vcc_lo dst_sel:DWORD dst_unused:UNUSED_PAD src0_sel:DWORD src1_sel:WORD_1
	v_cmp_gt_i32_e32 vcc_lo, s23, v61
	v_perm_b32 v9, v9, v65, 0x5040100
	v_perm_b32 v10, v10, v63, 0x5040100
	v_cndmask_b32_e32 v61, 0, v11, vcc_lo
	s_mov_b32 vcc_lo, s1
	v_cndmask_b32_sdwa v11, v54, v11, vcc_lo dst_sel:DWORD dst_unused:UNUSED_PAD src0_sel:DWORD src1_sel:WORD_1
	v_cmp_gt_i32_e32 vcc_lo, s23, v59
	v_perm_b32 v11, v11, v61, 0x5040100
	v_cndmask_b32_e32 v59, 0, v12, vcc_lo
	s_mov_b32 vcc_lo, s0
	v_cndmask_b32_sdwa v12, v54, v12, vcc_lo dst_sel:DWORD dst_unused:UNUSED_PAD src0_sel:DWORD src1_sel:WORD_1
	v_perm_b32 v12, v12, v59, 0x5040100
	s_branch .LBB152_32
.LBB152_49:
	s_or_b32 exec_lo, exec_lo, s9
.LBB152_50:
	s_or_b32 exec_lo, exec_lo, s3
	v_lshl_add_u32 v2, v45, 2, 0x220
	v_and_b32_e32 v3, 0x3c0, v0
	s_mov_b32 s0, exec_lo
	s_waitcnt_vscnt null, 0x0
	s_barrier
	v_lshl_add_u32 v1, v44, 10, v2
	buffer_gl0_inv
	v_cmpx_eq_u32_e32 64, v3
	s_cbranch_execz .LBB152_52
; %bb.51:
	v_add_nc_u32_e32 v3, 0xfffff800, v1
	v_add_nc_u32_e32 v4, 0xfffff880, v1
	;; [unrolled: 1-line block ×5, first 2 shown]
	ds_write_b32 v3, v53
	ds_write_b32 v4, v52
	;; [unrolled: 1-line block ×3, first 2 shown]
	v_add_nc_u32_e32 v3, 0xfffff980, v1
	v_add_nc_u32_e32 v4, 0xfffffa00, v1
	;; [unrolled: 1-line block ×3, first 2 shown]
	ds_write_b32 v3, v50
	ds_write_b32 v4, v49
	;; [unrolled: 1-line block ×5, first 2 shown]
.LBB152_52:
	s_or_b32 exec_lo, exec_lo, s0
	s_mov_b32 s0, exec_lo
	s_waitcnt lgkmcnt(0)
	s_barrier
	buffer_gl0_inv
	v_cmpx_gt_u32_e32 64, v0
	s_cbranch_execz .LBB152_54
; %bb.53:
	ds_read2_b32 v[3:4], v1 offset1:32
	ds_read2_b32 v[5:6], v1 offset0:64 offset1:96
	ds_read2_b32 v[7:8], v1 offset0:128 offset1:160
	;; [unrolled: 1-line block ×3, first 2 shown]
	s_waitcnt lgkmcnt(3)
	v_add_f32_e32 v53, v53, v3
	v_add_f32_e32 v52, v52, v4
	s_waitcnt lgkmcnt(2)
	v_add_f32_e32 v51, v51, v5
	v_add_f32_e32 v50, v50, v6
	;; [unrolled: 3-line block ×4, first 2 shown]
.LBB152_54:
	s_or_b32 exec_lo, exec_lo, s0
	v_and_b32_e32 v3, 0x3e0, v0
	s_mov_b32 s0, exec_lo
	s_barrier
	buffer_gl0_inv
	v_cmpx_eq_u32_e32 32, v3
	s_cbranch_execz .LBB152_56
; %bb.55:
	ds_write2_b32 v2, v53, v52 offset1:32
	ds_write2_b32 v2, v51, v50 offset0:64 offset1:96
	ds_write2_b32 v2, v49, v48 offset0:128 offset1:160
	ds_write2_b32 v2, v47, v46 offset0:192 offset1:224
.LBB152_56:
	s_or_b32 exec_lo, exec_lo, s0
	v_cmp_gt_u32_e32 vcc_lo, 32, v0
	s_waitcnt lgkmcnt(0)
	s_barrier
	buffer_gl0_inv
	s_and_saveexec_b32 s0, vcc_lo
	s_cbranch_execz .LBB152_58
; %bb.57:
	ds_read2_b32 v[2:3], v1 offset1:32
	ds_read2_b32 v[4:5], v1 offset0:64 offset1:96
	ds_read2_b32 v[6:7], v1 offset0:128 offset1:160
	;; [unrolled: 1-line block ×3, first 2 shown]
	s_waitcnt lgkmcnt(3)
	v_add_f32_e32 v53, v53, v2
	v_add_f32_e32 v52, v52, v3
	s_waitcnt lgkmcnt(2)
	v_add_f32_e32 v51, v51, v4
	v_add_f32_e32 v50, v50, v5
	;; [unrolled: 3-line block ×4, first 2 shown]
.LBB152_58:
	s_or_b32 exec_lo, exec_lo, s0
	s_barrier
	buffer_gl0_inv
	s_and_saveexec_b32 s0, vcc_lo
	s_cbranch_execz .LBB152_60
; %bb.59:
	s_lshl_b32 s0, s4, 8
	s_mul_i32 s2, s7, s10
	s_ashr_i32 s1, s0, 31
	v_bfe_u32 v1, v53, 16, 1
	s_lshl_b64 s[0:1], s[0:1], 1
	v_or_b32_e32 v2, 0x400000, v53
	s_add_u32 s4, s20, s0
	s_addc_u32 s5, s21, s1
	s_ashr_i32 s3, s2, 31
	v_add3_u32 v1, v1, v53, 0x7fff
	s_lshl_b64 s[0:1], s[2:3], 1
	v_bfe_u32 v3, v52, 16, 1
	s_add_u32 s2, s4, s0
	v_cmp_u_f32_e32 vcc_lo, v53, v53
	s_addc_u32 s3, s5, s1
	s_lshl_b32 s0, s8, 8
	v_lshlrev_b32_e32 v0, 1, v0
	s_ashr_i32 s1, s0, 31
	v_cndmask_b32_e32 v1, v1, v2, vcc_lo
	s_lshl_b64 s[0:1], s[0:1], 1
	v_bfe_u32 v2, v51, 16, 1
	v_add3_u32 v3, v3, v52, 0x7fff
	v_or_b32_e32 v4, 0x400000, v52
	v_cmp_u_f32_e32 vcc_lo, v52, v52
	s_add_u32 s0, s2, s0
	s_addc_u32 s1, s3, s1
	v_bfe_u32 v5, v47, 16, 1
	global_store_short_d16_hi v0, v1, s[0:1]
	v_add3_u32 v1, v2, v51, 0x7fff
	v_or_b32_e32 v2, 0x400000, v51
	v_cndmask_b32_e32 v3, v3, v4, vcc_lo
	v_bfe_u32 v4, v50, 16, 1
	v_cmp_u_f32_e32 vcc_lo, v51, v51
	v_or_b32_e32 v6, 0x400000, v48
	v_add3_u32 v5, v5, v47, 0x7fff
	global_store_short_d16_hi v0, v3, s[0:1] offset:64
	v_add3_u32 v3, v4, v50, 0x7fff
	v_cndmask_b32_e32 v1, v1, v2, vcc_lo
	v_bfe_u32 v2, v49, 16, 1
	v_or_b32_e32 v4, 0x400000, v50
	v_cmp_u_f32_e32 vcc_lo, v50, v50
	v_or_b32_e32 v7, 0x400000, v47
	global_store_short_d16_hi v0, v1, s[0:1] offset:128
	v_add3_u32 v1, v2, v49, 0x7fff
	v_or_b32_e32 v2, 0x400000, v49
	v_cndmask_b32_e32 v3, v3, v4, vcc_lo
	v_bfe_u32 v4, v48, 16, 1
	v_cmp_u_f32_e32 vcc_lo, v49, v49
	v_or_b32_e32 v8, 0x400000, v46
	v_add3_u32 v4, v4, v48, 0x7fff
	v_cndmask_b32_e32 v1, v1, v2, vcc_lo
	v_cmp_u_f32_e32 vcc_lo, v48, v48
	v_bfe_u32 v2, v46, 16, 1
	v_cndmask_b32_e32 v4, v4, v6, vcc_lo
	v_cmp_u_f32_e32 vcc_lo, v47, v47
	v_add3_u32 v2, v2, v46, 0x7fff
	v_cndmask_b32_e32 v5, v5, v7, vcc_lo
	v_cmp_u_f32_e32 vcc_lo, v46, v46
	v_cndmask_b32_e32 v2, v2, v8, vcc_lo
	global_store_short_d16_hi v0, v3, s[0:1] offset:192
	global_store_short_d16_hi v0, v1, s[0:1] offset:256
	;; [unrolled: 1-line block ×5, first 2 shown]
.LBB152_60:
	s_endpgm
	.section	.rodata,"a",@progbits
	.p2align	6, 0x0
	.amdhsa_kernel _ZN4vllm25paged_attention_v2_kernelI14__hip_bfloat16S1_Li256ELi8ELi128ELNS_18Fp8KVCacheDataTypeE0ELb0ELi512EEEvPfS3_PT_PKS4_PKT0_SA_ifPKiSC_iPKfiiiSE_SE_iiiii
		.amdhsa_group_segment_fixed_size 544
		.amdhsa_private_segment_fixed_size 0
		.amdhsa_kernarg_size 400
		.amdhsa_user_sgpr_count 6
		.amdhsa_user_sgpr_private_segment_buffer 1
		.amdhsa_user_sgpr_dispatch_ptr 0
		.amdhsa_user_sgpr_queue_ptr 0
		.amdhsa_user_sgpr_kernarg_segment_ptr 1
		.amdhsa_user_sgpr_dispatch_id 0
		.amdhsa_user_sgpr_flat_scratch_init 0
		.amdhsa_user_sgpr_private_segment_size 0
		.amdhsa_wavefront_size32 1
		.amdhsa_uses_dynamic_stack 0
		.amdhsa_system_sgpr_private_segment_wavefront_offset 0
		.amdhsa_system_sgpr_workgroup_id_x 1
		.amdhsa_system_sgpr_workgroup_id_y 1
		.amdhsa_system_sgpr_workgroup_id_z 1
		.amdhsa_system_sgpr_workgroup_info 0
		.amdhsa_system_vgpr_workitem_id 0
		.amdhsa_next_free_vgpr 116
		.amdhsa_next_free_sgpr 36
		.amdhsa_reserve_vcc 1
		.amdhsa_reserve_flat_scratch 0
		.amdhsa_float_round_mode_32 0
		.amdhsa_float_round_mode_16_64 0
		.amdhsa_float_denorm_mode_32 3
		.amdhsa_float_denorm_mode_16_64 3
		.amdhsa_dx10_clamp 1
		.amdhsa_ieee_mode 1
		.amdhsa_fp16_overflow 0
		.amdhsa_workgroup_processor_mode 1
		.amdhsa_memory_ordered 1
		.amdhsa_forward_progress 1
		.amdhsa_shared_vgpr_count 0
		.amdhsa_exception_fp_ieee_invalid_op 0
		.amdhsa_exception_fp_denorm_src 0
		.amdhsa_exception_fp_ieee_div_zero 0
		.amdhsa_exception_fp_ieee_overflow 0
		.amdhsa_exception_fp_ieee_underflow 0
		.amdhsa_exception_fp_ieee_inexact 0
		.amdhsa_exception_int_div_zero 0
	.end_amdhsa_kernel
	.section	.text._ZN4vllm25paged_attention_v2_kernelI14__hip_bfloat16S1_Li256ELi8ELi128ELNS_18Fp8KVCacheDataTypeE0ELb0ELi512EEEvPfS3_PT_PKS4_PKT0_SA_ifPKiSC_iPKfiiiSE_SE_iiiii,"axG",@progbits,_ZN4vllm25paged_attention_v2_kernelI14__hip_bfloat16S1_Li256ELi8ELi128ELNS_18Fp8KVCacheDataTypeE0ELb0ELi512EEEvPfS3_PT_PKS4_PKT0_SA_ifPKiSC_iPKfiiiSE_SE_iiiii,comdat
.Lfunc_end152:
	.size	_ZN4vllm25paged_attention_v2_kernelI14__hip_bfloat16S1_Li256ELi8ELi128ELNS_18Fp8KVCacheDataTypeE0ELb0ELi512EEEvPfS3_PT_PKS4_PKT0_SA_ifPKiSC_iPKfiiiSE_SE_iiiii, .Lfunc_end152-_ZN4vllm25paged_attention_v2_kernelI14__hip_bfloat16S1_Li256ELi8ELi128ELNS_18Fp8KVCacheDataTypeE0ELb0ELi512EEEvPfS3_PT_PKS4_PKT0_SA_ifPKiSC_iPKfiiiSE_SE_iiiii
                                        ; -- End function
	.set _ZN4vllm25paged_attention_v2_kernelI14__hip_bfloat16S1_Li256ELi8ELi128ELNS_18Fp8KVCacheDataTypeE0ELb0ELi512EEEvPfS3_PT_PKS4_PKT0_SA_ifPKiSC_iPKfiiiSE_SE_iiiii.num_vgpr, 116
	.set _ZN4vllm25paged_attention_v2_kernelI14__hip_bfloat16S1_Li256ELi8ELi128ELNS_18Fp8KVCacheDataTypeE0ELb0ELi512EEEvPfS3_PT_PKS4_PKT0_SA_ifPKiSC_iPKfiiiSE_SE_iiiii.num_agpr, 0
	.set _ZN4vllm25paged_attention_v2_kernelI14__hip_bfloat16S1_Li256ELi8ELi128ELNS_18Fp8KVCacheDataTypeE0ELb0ELi512EEEvPfS3_PT_PKS4_PKT0_SA_ifPKiSC_iPKfiiiSE_SE_iiiii.numbered_sgpr, 36
	.set _ZN4vllm25paged_attention_v2_kernelI14__hip_bfloat16S1_Li256ELi8ELi128ELNS_18Fp8KVCacheDataTypeE0ELb0ELi512EEEvPfS3_PT_PKS4_PKT0_SA_ifPKiSC_iPKfiiiSE_SE_iiiii.num_named_barrier, 0
	.set _ZN4vllm25paged_attention_v2_kernelI14__hip_bfloat16S1_Li256ELi8ELi128ELNS_18Fp8KVCacheDataTypeE0ELb0ELi512EEEvPfS3_PT_PKS4_PKT0_SA_ifPKiSC_iPKfiiiSE_SE_iiiii.private_seg_size, 0
	.set _ZN4vllm25paged_attention_v2_kernelI14__hip_bfloat16S1_Li256ELi8ELi128ELNS_18Fp8KVCacheDataTypeE0ELb0ELi512EEEvPfS3_PT_PKS4_PKT0_SA_ifPKiSC_iPKfiiiSE_SE_iiiii.uses_vcc, 1
	.set _ZN4vllm25paged_attention_v2_kernelI14__hip_bfloat16S1_Li256ELi8ELi128ELNS_18Fp8KVCacheDataTypeE0ELb0ELi512EEEvPfS3_PT_PKS4_PKT0_SA_ifPKiSC_iPKfiiiSE_SE_iiiii.uses_flat_scratch, 0
	.set _ZN4vllm25paged_attention_v2_kernelI14__hip_bfloat16S1_Li256ELi8ELi128ELNS_18Fp8KVCacheDataTypeE0ELb0ELi512EEEvPfS3_PT_PKS4_PKT0_SA_ifPKiSC_iPKfiiiSE_SE_iiiii.has_dyn_sized_stack, 0
	.set _ZN4vllm25paged_attention_v2_kernelI14__hip_bfloat16S1_Li256ELi8ELi128ELNS_18Fp8KVCacheDataTypeE0ELb0ELi512EEEvPfS3_PT_PKS4_PKT0_SA_ifPKiSC_iPKfiiiSE_SE_iiiii.has_recursion, 0
	.set _ZN4vllm25paged_attention_v2_kernelI14__hip_bfloat16S1_Li256ELi8ELi128ELNS_18Fp8KVCacheDataTypeE0ELb0ELi512EEEvPfS3_PT_PKS4_PKT0_SA_ifPKiSC_iPKfiiiSE_SE_iiiii.has_indirect_call, 0
	.section	.AMDGPU.csdata,"",@progbits
; Kernel info:
; codeLenInByte = 10600
; TotalNumSgprs: 38
; NumVgprs: 116
; ScratchSize: 0
; MemoryBound: 0
; FloatMode: 240
; IeeeMode: 1
; LDSByteSize: 544 bytes/workgroup (compile time only)
; SGPRBlocks: 0
; VGPRBlocks: 14
; NumSGPRsForWavesPerEU: 38
; NumVGPRsForWavesPerEU: 116
; Occupancy: 8
; WaveLimiterHint : 1
; COMPUTE_PGM_RSRC2:SCRATCH_EN: 0
; COMPUTE_PGM_RSRC2:USER_SGPR: 6
; COMPUTE_PGM_RSRC2:TRAP_HANDLER: 0
; COMPUTE_PGM_RSRC2:TGID_X_EN: 1
; COMPUTE_PGM_RSRC2:TGID_Y_EN: 1
; COMPUTE_PGM_RSRC2:TGID_Z_EN: 1
; COMPUTE_PGM_RSRC2:TIDIG_COMP_CNT: 0
	.section	.text._ZN4vllm25paged_attention_v2_kernelI14__hip_bfloat16S1_Li32ELi16ELi128ELNS_18Fp8KVCacheDataTypeE0ELb1ELi512EEEvPfS3_PT_PKS4_PKT0_SA_ifPKiSC_iPKfiiiSE_SE_iiiii,"axG",@progbits,_ZN4vllm25paged_attention_v2_kernelI14__hip_bfloat16S1_Li32ELi16ELi128ELNS_18Fp8KVCacheDataTypeE0ELb1ELi512EEEvPfS3_PT_PKS4_PKT0_SA_ifPKiSC_iPKfiiiSE_SE_iiiii,comdat
	.protected	_ZN4vllm25paged_attention_v2_kernelI14__hip_bfloat16S1_Li32ELi16ELi128ELNS_18Fp8KVCacheDataTypeE0ELb1ELi512EEEvPfS3_PT_PKS4_PKT0_SA_ifPKiSC_iPKfiiiSE_SE_iiiii ; -- Begin function _ZN4vllm25paged_attention_v2_kernelI14__hip_bfloat16S1_Li32ELi16ELi128ELNS_18Fp8KVCacheDataTypeE0ELb1ELi512EEEvPfS3_PT_PKS4_PKT0_SA_ifPKiSC_iPKfiiiSE_SE_iiiii
	.globl	_ZN4vllm25paged_attention_v2_kernelI14__hip_bfloat16S1_Li32ELi16ELi128ELNS_18Fp8KVCacheDataTypeE0ELb1ELi512EEEvPfS3_PT_PKS4_PKT0_SA_ifPKiSC_iPKfiiiSE_SE_iiiii
	.p2align	8
	.type	_ZN4vllm25paged_attention_v2_kernelI14__hip_bfloat16S1_Li32ELi16ELi128ELNS_18Fp8KVCacheDataTypeE0ELb1ELi512EEEvPfS3_PT_PKS4_PKT0_SA_ifPKiSC_iPKfiiiSE_SE_iiiii,@function
_ZN4vllm25paged_attention_v2_kernelI14__hip_bfloat16S1_Li32ELi16ELi128ELNS_18Fp8KVCacheDataTypeE0ELb1ELi512EEEvPfS3_PT_PKS4_PKT0_SA_ifPKiSC_iPKfiiiSE_SE_iiiii: ; @_ZN4vllm25paged_attention_v2_kernelI14__hip_bfloat16S1_Li32ELi16ELi128ELNS_18Fp8KVCacheDataTypeE0ELb1ELi512EEEvPfS3_PT_PKS4_PKT0_SA_ifPKiSC_iPKfiiiSE_SE_iiiii
; %bb.0:
	s_load_dwordx2 s[0:1], s[4:5], 0x40
	s_mov_b32 s26, s7
	s_ashr_i32 s27, s7, 31
	s_lshl_b64 s[2:3], s[26:27], 2
	s_waitcnt lgkmcnt(0)
	s_add_u32 s0, s0, s2
	s_addc_u32 s1, s1, s3
	s_lshl_b32 s39, s8, 9
	s_load_dword s27, s[0:1], 0x0
	s_waitcnt lgkmcnt(0)
	s_cmp_ge_i32 s39, s27
	s_cbranch_scc1 .LBB153_66
; %bb.1:
	s_clause 0x1
	s_load_dword s9, s[4:5], 0x90
	s_load_dwordx2 s[36:37], s[4:5], 0x30
	s_mov_b32 s41, 0
	s_waitcnt lgkmcnt(0)
	s_abs_i32 s3, s9
	s_abs_i32 s0, s36
	v_cvt_f32_u32_e32 v1, s0
	s_sub_i32 s2, 0, s0
	v_rcp_iflag_f32_e32 v1, v1
	v_mul_f32_e32 v1, 0x4f7ffffe, v1
	v_cvt_u32_f32_e32 v1, v1
	v_readfirstlane_b32 s1, v1
	s_mul_i32 s2, s2, s1
	s_mul_hi_u32 s2, s1, s2
	s_add_i32 s1, s1, s2
	s_xor_b32 s2, s9, s36
	s_mul_hi_u32 s1, s3, s1
	s_ashr_i32 s2, s2, 31
	s_mul_i32 s7, s1, s0
	s_sub_i32 s3, s3, s7
	s_add_i32 s7, s1, 1
	s_sub_i32 s10, s3, s0
	s_cmp_ge_u32 s3, s0
	s_cselect_b32 s1, s7, s1
	s_cselect_b32 s3, s10, s3
	s_add_i32 s7, s1, 1
	s_cmp_ge_u32 s3, s0
	s_cselect_b32 s0, s7, s1
	s_xor_b32 s0, s0, s2
	s_sub_i32 s10, s0, s2
	s_load_dwordx2 s[0:1], s[4:5], 0x50
	s_abs_i32 s2, s10
	v_cvt_f32_u32_e32 v1, s2
	s_sub_i32 s3, 0, s2
	v_rcp_iflag_f32_e32 v1, v1
	v_mul_f32_e32 v1, 0x4f7ffffe, v1
	v_cvt_u32_f32_e32 v1, v1
	v_readfirstlane_b32 s7, v1
	s_mul_i32 s3, s3, s7
	s_mul_hi_u32 s11, s7, s3
	s_abs_i32 s3, s6
	s_add_i32 s7, s7, s11
	s_waitcnt lgkmcnt(0)
	s_cmp_eq_u64 s[0:1], 0
	s_mul_hi_u32 s20, s3, s7
	s_cbranch_scc1 .LBB153_3
; %bb.2:
	s_ashr_i32 s7, s6, 31
	s_lshl_b64 s[12:13], s[6:7], 2
	s_add_u32 s0, s0, s12
	s_addc_u32 s1, s1, s13
	s_load_dword s41, s[0:1], 0x0
.LBB153_3:
	s_load_dwordx4 s[12:15], s[4:5], 0x58
	v_lshrrev_b32_e32 v20, 1, v0
	v_and_b32_e32 v21, 1, v0
	v_lshlrev_b32_e32 v3, 3, v0
	s_ashr_i32 s0, s6, 31
	s_ashr_i32 s1, s10, 31
	s_lshl_b32 s10, s6, 5
	s_mov_b32 s7, exec_lo
	v_cmpx_gt_u32_e32 8, v0
	s_cbranch_execz .LBB153_5
; %bb.4:
	s_load_dwordx2 s[16:17], s[4:5], 0x18
	s_waitcnt lgkmcnt(0)
	s_mul_i32 s18, s12, s26
	v_lshlrev_b32_e32 v4, 3, v20
	s_ashr_i32 s19, s18, 31
	s_lshl_b64 s[18:19], s[18:19], 1
	v_lshl_add_u32 v4, v21, 5, v4
	s_add_u32 s12, s16, s18
	s_addc_u32 s15, s17, s19
	s_ashr_i32 s11, s10, 31
	s_lshl_b64 s[16:17], s[10:11], 1
	s_add_u32 s16, s12, s16
	s_addc_u32 s17, s15, s17
	global_load_dwordx2 v[1:2], v3, s[16:17]
	s_waitcnt vmcnt(0)
	ds_write_b64 v4, v[1:2]
.LBB153_5:
	s_or_b32 exec_lo, exec_lo, s7
	s_load_dwordx4 s[16:19], s[4:5], 0x78
	s_mul_i32 s7, s20, s2
	s_xor_b32 s0, s0, s1
	s_sub_i32 s1, s3, s7
	s_add_i32 s3, s20, 1
	s_sub_i32 s7, s1, s2
	s_cmp_ge_u32 s1, s2
	s_waitcnt lgkmcnt(0)
	s_mov_b32 s15, -1
	s_cselect_b32 s3, s3, s20
	s_cselect_b32 s1, s7, s1
	s_add_i32 s7, s3, 1
	s_cmp_ge_u32 s1, s2
                                        ; implicit-def: $sgpr38
	s_cselect_b32 s1, s7, s3
	s_load_dword s3, s[4:5], 0x88
	s_xor_b32 s1, s1, s0
	s_add_i32 s7, s27, -1
	s_sub_i32 s1, s1, s0
	s_abs_i32 s2, s7
	s_waitcnt lgkmcnt(0)
	s_abs_i32 s11, s19
	s_barrier
	v_cvt_f32_u32_e32 v1, s11
	s_sub_i32 s0, 0, s11
	buffer_gl0_inv
	v_rcp_iflag_f32_e32 v1, v1
	v_mul_f32_e32 v1, 0x4f7ffffe, v1
	v_cvt_u32_f32_e32 v1, v1
	v_readfirstlane_b32 s33, v1
	s_mul_i32 s0, s0, s33
	s_mul_hi_u32 s0, s33, s0
	s_add_i32 s33, s33, s0
	s_cmp_lt_i32 s3, 0
	s_mul_hi_u32 s0, s2, s33
	s_cbranch_scc0 .LBB153_7
; %bb.6:
	s_mul_i32 s12, s16, s36
	s_mov_b32 s15, 0
	s_add_i32 s12, s1, s12
	s_mul_i32 s12, s12, s3
	s_sub_i32 s38, 1, s12
.LBB153_7:
	s_load_dwordx2 s[28:29], s[4:5], 0x38
	s_ashr_i32 s12, s7, 31
	s_andn2_b32 vcc_lo, exec_lo, s15
	s_ashr_i32 s19, s19, 31
	s_cbranch_vccnz .LBB153_9
; %bb.8:
	s_mul_i32 s7, s9, s16
	s_add_i32 s7, s7, s6
	s_mul_i32 s3, s7, s3
	s_add_i32 s38, s3, 1
.LBB153_9:
	s_clause 0x4
	s_load_dword s3, s[4:5], 0x48
	s_load_dwordx2 s[34:35], s[4:5], 0x28
	s_load_dword s7, s[4:5], 0x98
	s_load_dwordx4 s[20:23], s[4:5], 0x0
	s_load_dwordx2 s[24:25], s[4:5], 0x10
	s_xor_b32 s15, s12, s19
	s_mul_i32 s12, s0, s11
	s_add_i32 s16, s0, 1
	s_sub_i32 s2, s2, s12
	v_lshrrev_b32_e32 v22, 5, v0
	v_mov_b32_e32 v5, 0xff7fffff
	v_mbcnt_lo_u32_b32 v4, -1, 0
	s_mul_i32 s14, s1, s14
	v_lshl_add_u32 v23, v22, 4, s39
	s_waitcnt lgkmcnt(0)
	s_mul_i32 s30, s3, s26
	s_sub_i32 s3, s2, s11
	s_ashr_i32 s31, s30, 31
	s_cmp_ge_u32 s2, s11
	s_cselect_b32 s0, s16, s0
	s_cselect_b32 s2, s3, s2
	s_add_i32 s3, s0, 1
	s_cmp_ge_u32 s2, s11
	s_cselect_b32 s0, s3, s0
	s_add_i32 s2, s27, 15
	s_lshl_b32 s12, s8, 5
	s_ashr_i32 s3, s2, 31
	v_or_b32_e32 v17, s12, v22
	s_lshr_b32 s3, s3, 28
	s_add_i32 s2, s2, s3
	s_add_i32 s3, s12, 32
	s_ashr_i32 s36, s2, 4
	s_xor_b32 s2, s0, s15
	s_min_i32 s16, s3, s36
	v_ashrrev_i32_e32 v18, 31, v17
	v_cmp_gt_i32_e64 s0, s16, v17
	s_sub_i32 s40, s2, s15
	s_and_saveexec_b32 s42, s0
	s_cbranch_execz .LBB153_21
; %bb.10:
	s_load_dwordx2 s[2:3], s[4:5], 0x20
	s_ashr_i32 s15, s14, 31
	s_sub_i32 s4, s40, s17
	s_lshl_b64 s[44:45], s[14:15], 1
	v_bfe_u32 v6, v0, 1, 4
	v_and_b32_e32 v13, 8, v3
	v_lshlrev_b32_e32 v7, 5, v21
	v_cmp_neq_f32_e64 s1, s41, 0
	v_lshl_add_u32 v8, v22, 4, s39
	v_lshlrev_b32_e32 v11, 2, v6
	v_subrev_nc_u32_e32 v14, s27, v6
	v_lshlrev_b32_e32 v19, 4, v6
	v_mov_b32_e32 v9, 0xff7fffff
	v_xor_b32_e32 v10, 1, v4
	v_lshl_or_b32 v15, v22, 6, v11
	v_add_nc_u32_e32 v11, 1, v14
	v_cmp_eq_u32_e32 vcc_lo, 0, v21
	s_waitcnt lgkmcnt(0)
	s_add_u32 s15, s2, s44
	s_addc_u32 s43, s3, s45
	s_abs_i32 s5, s18
	v_cvt_f32_u32_e32 v1, s5
	s_sub_i32 s2, 0, s5
	v_rcp_iflag_f32_e32 v5, v1
	v_lshlrev_b64 v[1:2], 2, v[17:18]
	v_mul_f32_e32 v12, 0x4f7ffffe, v5
	v_mov_b32_e32 v5, 0xff7fffff
	v_cvt_u32_f32_e32 v16, v12
	v_add_nc_u32_e32 v12, 0x60, v15
	v_add_co_u32 v15, s15, s15, v19
	v_add_co_ci_u32_e64 v19, null, s43, 0, s15
	v_mul_lo_u32 v14, s2, v16
	s_lshl_b64 s[2:3], s[30:31], 2
	s_mov_b32 s15, 0
	s_add_u32 s2, s28, s2
	s_addc_u32 s3, s29, s3
	v_add_co_u32 v1, s2, s2, v1
	v_add_co_ci_u32_e64 v2, null, s3, v2, s2
	v_mul_hi_u32 v24, v16, v14
	v_add_co_u32 v13, s2, v15, v13
	v_add_co_ci_u32_e64 v14, null, 0, v19, s2
	s_mov_b32 s43, s13
	v_add_nc_u32_e32 v15, v16, v24
	v_mov_b32_e32 v16, v17
	s_branch .LBB153_13
.LBB153_11:                             ;   in Loop: Header=BB153_13 Depth=1
	s_or_b32 exec_lo, exec_lo, s44
.LBB153_12:                             ;   in Loop: Header=BB153_13 Depth=1
	s_or_b32 exec_lo, exec_lo, s3
	v_add_nc_u32_e32 v16, 4, v16
	v_add_co_u32 v1, s3, v1, 16
	v_add_co_ci_u32_e64 v2, null, 0, v2, s3
	v_cmp_le_i32_e64 s2, s16, v16
	v_add_nc_u32_e32 v8, 64, v8
	v_add_nc_u32_e32 v12, 0x100, v12
	s_or_b32 s15, s2, s15
	s_andn2_b32 exec_lo, exec_lo, s15
	s_cbranch_execz .LBB153_20
.LBB153_13:                             ; =>This Inner Loop Header: Depth=1
	v_sub_nc_u32_e32 v19, 0, v8
	v_max_i32_e32 v19, v8, v19
	s_waitcnt lgkmcnt(0)
	v_mul_hi_u32 v24, v19, s33
	v_mul_lo_u32 v25, v24, s11
	v_sub_nc_u32_e32 v19, v19, v25
	v_add_nc_u32_e32 v25, 1, v24
	v_subrev_nc_u32_e32 v26, s11, v19
	v_cmp_le_u32_e64 s2, s11, v19
	v_cndmask_b32_e64 v24, v24, v25, s2
	v_cndmask_b32_e64 v19, v19, v26, s2
	v_ashrrev_i32_e32 v25, 31, v8
	v_add_nc_u32_e32 v26, 1, v24
	v_cmp_le_u32_e64 s2, s11, v19
	v_xor_b32_e32 v25, s19, v25
	v_cndmask_b32_e64 v19, v24, v26, s2
	v_xor_b32_e32 v19, v19, v25
	v_sub_nc_u32_e32 v19, v19, v25
	v_add_nc_u32_e32 v24, s38, v19
	v_cmp_ge_i32_e64 s3, s4, v19
	v_sub_nc_u32_e32 v25, 0, v24
	v_max_i32_e32 v25, v24, v25
	v_ashrrev_i32_e32 v24, 31, v24
	v_mul_hi_u32 v26, v25, v15
	v_mul_lo_u32 v26, v26, s5
	v_sub_nc_u32_e32 v25, v25, v26
	v_subrev_nc_u32_e32 v26, s5, v25
	v_cmp_le_u32_e64 s2, s5, v25
	v_cndmask_b32_e64 v25, v25, v26, s2
	v_subrev_nc_u32_e32 v26, s5, v25
	v_cmp_le_u32_e64 s2, s5, v25
	v_cndmask_b32_e64 v25, v25, v26, s2
	v_xor_b32_e32 v25, v25, v24
	v_sub_nc_u32_e32 v24, v25, v24
	v_cmp_ne_u32_e64 s2, 0, v24
	s_and_b32 s2, s2, s3
	s_and_saveexec_b32 s3, s2
	s_xor_b32 s2, exec_lo, s3
	s_cbranch_execz .LBB153_17
; %bb.14:                               ;   in Loop: Header=BB153_13 Depth=1
	s_and_saveexec_b32 s3, vcc_lo
; %bb.15:                               ;   in Loop: Header=BB153_13 Depth=1
	ds_write_b32 v12, v9
; %bb.16:                               ;   in Loop: Header=BB153_13 Depth=1
	s_or_b32 exec_lo, exec_lo, s3
.LBB153_17:                             ;   in Loop: Header=BB153_13 Depth=1
	s_andn2_saveexec_b32 s3, s2
	s_cbranch_execz .LBB153_12
; %bb.18:                               ;   in Loop: Header=BB153_13 Depth=1
	global_load_dword v19, v[1:2], off
	s_waitcnt vmcnt(0)
	v_mad_i64_i32 v[24:25], null, v19, s43, 0
	v_lshlrev_b64 v[24:25], 1, v[24:25]
	v_add_co_u32 v24, s2, v13, v24
	v_add_co_ci_u32_e64 v25, null, v14, v25, s2
	v_cmp_gt_i32_e64 s2, 32, v10
	s_clause 0x3
	global_load_dwordx2 v[32:33], v[24:25], off
	global_load_dwordx2 v[34:35], v[24:25], off offset:256
	global_load_dwordx2 v[36:37], v[24:25], off offset:512
	;; [unrolled: 1-line block ×3, first 2 shown]
	ds_read_b128 v[24:27], v7
	ds_read_b128 v[28:31], v7 offset:16
	s_waitcnt lgkmcnt(1)
	v_lshlrev_b32_e32 v41, 16, v26
	v_and_b32_e32 v26, 0xffff0000, v26
	v_lshlrev_b32_e32 v19, 16, v24
	v_lshlrev_b32_e32 v42, 16, v27
	v_and_b32_e32 v24, 0xffff0000, v24
	v_lshlrev_b32_e32 v40, 16, v25
	s_waitcnt lgkmcnt(0)
	v_lshlrev_b32_e32 v43, 16, v28
	v_and_b32_e32 v27, 0xffff0000, v27
	v_and_b32_e32 v28, 0xffff0000, v28
	v_lshlrev_b32_e32 v44, 16, v29
	v_lshlrev_b32_e32 v45, 16, v30
	v_and_b32_e32 v25, 0xffff0000, v25
	v_and_b32_e32 v30, 0xffff0000, v30
	v_lshlrev_b32_e32 v46, 16, v31
	v_and_b32_e32 v29, 0xffff0000, v29
	s_waitcnt vmcnt(3)
	v_lshlrev_b32_e32 v47, 16, v32
	s_waitcnt vmcnt(2)
	v_lshlrev_b32_e32 v49, 16, v34
	v_and_b32_e32 v34, 0xffff0000, v34
	v_and_b32_e32 v32, 0xffff0000, v32
	v_lshlrev_b32_e32 v50, 16, v35
	v_lshlrev_b32_e32 v48, 16, v33
	v_mul_f32_e32 v41, v41, v49
	v_mul_f32_e32 v26, v26, v34
	v_and_b32_e32 v35, 0xffff0000, v35
	s_waitcnt vmcnt(1)
	v_lshlrev_b32_e32 v51, 16, v36
	v_and_b32_e32 v36, 0xffff0000, v36
	v_mul_f32_e32 v42, v42, v50
	v_fmac_f32_e32 v41, v19, v47
	v_fmac_f32_e32 v26, v24, v32
	v_and_b32_e32 v33, 0xffff0000, v33
	v_lshlrev_b32_e32 v52, 16, v37
	v_and_b32_e32 v34, 0xffff0000, v37
	s_waitcnt vmcnt(0)
	v_lshlrev_b32_e32 v37, 16, v38
	v_and_b32_e32 v19, 0xffff0000, v38
	v_mul_f32_e32 v24, v27, v35
	v_fmac_f32_e32 v42, v40, v48
	v_fmac_f32_e32 v41, v43, v51
	;; [unrolled: 1-line block ×3, first 2 shown]
	v_lshlrev_b32_e32 v27, 16, v39
	v_fmac_f32_e32 v24, v25, v33
	v_fmac_f32_e32 v42, v44, v52
	;; [unrolled: 1-line block ×4, first 2 shown]
	v_and_b32_e32 v19, 0xffff0000, v31
	v_fmac_f32_e32 v24, v29, v34
	v_and_b32_e32 v25, 0xffff0000, v39
	v_fmac_f32_e32 v42, v46, v27
	v_add_f32_e32 v26, v41, v26
	v_cndmask_b32_e64 v27, v4, v10, s2
	v_fmac_f32_e32 v24, v19, v25
	v_add_f32_e32 v19, v26, v42
	v_lshlrev_b32_e32 v25, 2, v27
	v_add_f32_e32 v19, v24, v19
	ds_bpermute_b32 v24, v25, v19
	s_and_saveexec_b32 s44, vcc_lo
	s_cbranch_execz .LBB153_11
; %bb.19:                               ;   in Loop: Header=BB153_13 Depth=1
	v_add_nc_u32_e32 v25, v11, v8
	s_waitcnt lgkmcnt(0)
	v_add_f32_e32 v19, v19, v24
	v_cvt_f32_i32_e32 v25, v25
	v_mul_f32_e32 v25, s41, v25
	v_cndmask_b32_e64 v24, 0, v25, s1
	v_max_f32_e32 v25, v5, v5
	v_fmac_f32_e32 v24, s37, v19
	v_add_nc_u32_e32 v19, v6, v8
	v_max_f32_e32 v25, v25, v24
	v_cmp_gt_i32_e64 s2, s27, v19
	v_cndmask_b32_e64 v19, 0, v24, s2
	v_cndmask_b32_e64 v5, v5, v25, s2
	ds_write_b32 v12, v19
	s_branch .LBB153_11
.LBB153_20:
	s_or_b32 exec_lo, exec_lo, s15
.LBB153_21:
	s_or_b32 exec_lo, exec_lo, s42
	v_xor_b32_e32 v1, 16, v4
	v_xor_b32_e32 v2, 8, v4
	v_max_f32_e32 v7, v5, v5
	v_xor_b32_e32 v8, 2, v4
	s_waitcnt lgkmcnt(0)
	v_and_b32_e32 v24, 31, v0
	v_cmp_gt_i32_e32 vcc_lo, 32, v1
	v_cndmask_b32_e32 v1, v4, v1, vcc_lo
	v_cmp_gt_i32_e32 vcc_lo, 32, v2
	v_lshlrev_b32_e32 v6, 2, v1
	v_cndmask_b32_e32 v2, v4, v2, vcc_lo
	ds_bpermute_b32 v1, v6, v5
	v_lshlrev_b32_e32 v5, 2, v2
	s_waitcnt lgkmcnt(0)
	v_max_f32_e32 v1, v1, v1
	v_max_f32_e32 v1, v7, v1
	v_xor_b32_e32 v7, 4, v4
	ds_bpermute_b32 v2, v5, v1
	v_cmp_gt_i32_e32 vcc_lo, 32, v7
	v_cndmask_b32_e32 v7, v4, v7, vcc_lo
	v_cmp_gt_i32_e32 vcc_lo, 32, v8
	v_lshlrev_b32_e32 v7, 2, v7
	v_cndmask_b32_e32 v8, v4, v8, vcc_lo
	v_cmp_eq_u32_e32 vcc_lo, 0, v24
	s_waitcnt lgkmcnt(0)
	v_max_f32_e32 v2, v2, v2
	v_max_f32_e32 v1, v1, v2
	ds_bpermute_b32 v2, v7, v1
	s_waitcnt lgkmcnt(0)
	v_max_f32_e32 v2, v2, v2
	v_max_f32_e32 v1, v1, v2
	v_lshlrev_b32_e32 v2, 2, v8
	v_lshlrev_b32_e32 v8, 2, v22
	ds_bpermute_b32 v9, v2, v1
	s_and_saveexec_b32 s1, vcc_lo
	s_cbranch_execz .LBB153_23
; %bb.22:
	s_waitcnt lgkmcnt(0)
	v_max_f32_e32 v9, v9, v9
	v_max_f32_e32 v1, v1, v1
	;; [unrolled: 1-line block ×3, first 2 shown]
	ds_write_b32 v8, v1 offset:64
.LBB153_23:
	s_or_b32 exec_lo, exec_lo, s1
	v_cmp_gt_u32_e64 s1, 4, v24
	v_mov_b32_e32 v1, 0xff7fffff
	s_waitcnt lgkmcnt(0)
	v_lshlrev_b32_e32 v9, 2, v24
	s_barrier
	buffer_gl0_inv
	s_and_saveexec_b32 s2, s1
; %bb.24:
	ds_read_b32 v1, v9 offset:64
; %bb.25:
	s_or_b32 exec_lo, exec_lo, s2
	s_waitcnt lgkmcnt(0)
	ds_bpermute_b32 v10, v2, v1
	v_xor_b32_e32 v11, 1, v4
	v_max_f32_e32 v1, v1, v1
	v_cmp_gt_i32_e64 s2, 32, v11
	v_cndmask_b32_e64 v4, v4, v11, s2
	s_sub_i32 s2, s16, s12
	s_lshl_b32 s2, s2, 4
	v_lshlrev_b32_e32 v25, 2, v4
	s_add_i32 s2, s2, s39
	s_min_i32 s2, s2, s27
	s_waitcnt lgkmcnt(0)
	v_max_f32_e32 v10, v10, v10
	s_sub_i32 s4, s2, s39
	v_cmp_gt_i32_e64 s2, s4, v0
	v_max_f32_e32 v1, v1, v10
	v_mov_b32_e32 v10, 0
	ds_bpermute_b32 v4, v25, v1
	s_waitcnt lgkmcnt(0)
	v_max_f32_e32 v4, v4, v4
	v_max_f32_e32 v1, v1, v4
	v_lshl_add_u32 v4, v0, 2, 0x60
	ds_bpermute_b32 v1, v10, v1
	s_and_saveexec_b32 s5, s2
	s_cbranch_execz .LBB153_29
; %bb.26:
	v_lshl_add_u32 v11, v0, 2, 0x60
	v_mov_b32_e32 v10, 0
	v_mov_b32_e32 v12, v0
	s_mov_b32 s15, 0
	.p2align	6
.LBB153_27:                             ; =>This Inner Loop Header: Depth=1
	ds_read_b32 v13, v11
	v_add_nc_u32_e32 v12, 0x80, v12
	v_cmp_le_i32_e64 s3, s4, v12
	s_or_b32 s15, s3, s15
	s_waitcnt lgkmcnt(0)
	v_sub_f32_e32 v13, v13, v1
	v_mul_f32_e32 v13, 0x3fb8aa3b, v13
	v_exp_f32_e32 v13, v13
	ds_write_b32 v11, v13
	v_add_f32_e32 v10, v10, v13
	v_add_nc_u32_e32 v11, 0x200, v11
	s_andn2_b32 exec_lo, exec_lo, s15
	s_cbranch_execnz .LBB153_27
; %bb.28:
	s_or_b32 exec_lo, exec_lo, s15
.LBB153_29:
	s_or_b32 exec_lo, exec_lo, s5
	ds_bpermute_b32 v6, v6, v10
	s_waitcnt lgkmcnt(0)
	v_add_f32_e32 v6, v10, v6
	ds_bpermute_b32 v5, v5, v6
	s_waitcnt lgkmcnt(0)
	v_add_f32_e32 v5, v6, v5
	;; [unrolled: 3-line block ×5, first 2 shown]
	s_and_saveexec_b32 s3, vcc_lo
; %bb.30:
	ds_write_b32 v8, v5 offset:80
; %bb.31:
	s_or_b32 exec_lo, exec_lo, s3
	s_waitcnt lgkmcnt(0)
	s_barrier
	buffer_gl0_inv
	s_and_saveexec_b32 s3, s1
; %bb.32:
	ds_read_b32 v5, v9 offset:80
; %bb.33:
	s_or_b32 exec_lo, exec_lo, s3
	s_waitcnt lgkmcnt(0)
	ds_bpermute_b32 v2, v2, v5
	s_waitcnt lgkmcnt(0)
	v_add_f32_e32 v2, v5, v2
	ds_bpermute_b32 v5, v25, v2
	s_waitcnt lgkmcnt(0)
	v_add_f32_e32 v2, v2, v5
	v_mov_b32_e32 v5, 0
	ds_bpermute_b32 v2, v5, v2
	s_and_saveexec_b32 s1, s2
	s_cbranch_execz .LBB153_36
; %bb.34:
	s_waitcnt lgkmcnt(0)
	v_add_f32_e32 v5, 0x358637bd, v2
	s_mov_b32 s2, 0
	v_div_scale_f32 v6, null, v5, v5, 1.0
	v_div_scale_f32 v9, vcc_lo, 1.0, v5, 1.0
	v_rcp_f32_e32 v7, v6
	v_fma_f32 v8, -v6, v7, 1.0
	v_fmac_f32_e32 v7, v8, v7
	v_mul_f32_e32 v8, v9, v7
	v_fma_f32 v10, -v6, v8, v9
	v_fmac_f32_e32 v8, v10, v7
	v_fma_f32 v6, -v6, v8, v9
	v_div_fmas_f32 v6, v6, v7, v8
	v_div_fixup_f32 v5, v6, v5, 1.0
	v_mov_b32_e32 v6, v0
.LBB153_35:                             ; =>This Inner Loop Header: Depth=1
	ds_read_b32 v7, v4
	v_add_nc_u32_e32 v6, 0x80, v6
	v_cmp_le_i32_e32 vcc_lo, s4, v6
	s_or_b32 s2, vcc_lo, s2
	s_waitcnt lgkmcnt(0)
	v_mul_f32_e32 v7, v5, v7
	ds_write_b32 v4, v7
	v_add_nc_u32_e32 v4, 0x200, v4
	s_andn2_b32 exec_lo, exec_lo, s2
	s_cbranch_execnz .LBB153_35
.LBB153_36:
	s_or_b32 exec_lo, exec_lo, s1
	s_mul_i32 s1, s7, s26
	s_waitcnt lgkmcnt(0)
	s_mul_i32 s4, s1, s9
	s_mov_b32 s1, exec_lo
	s_barrier
	buffer_gl0_inv
	v_cmpx_eq_u32_e32 0, v0
	s_cbranch_execz .LBB153_38
; %bb.37:
	s_ashr_i32 s5, s4, 31
	s_mul_i32 s42, s7, s6
	s_lshl_b64 s[2:3], s[4:5], 2
	v_mov_b32_e32 v4, 0
	s_add_u32 s5, s22, s2
	s_addc_u32 s6, s23, s3
	s_ashr_i32 s43, s42, 31
	s_lshl_b64 s[22:23], s[42:43], 2
	s_add_u32 s5, s5, s22
	s_addc_u32 s6, s6, s23
	s_ashr_i32 s9, s8, 31
	s_lshl_b64 s[8:9], s[8:9], 2
	s_add_u32 s42, s5, s8
	s_addc_u32 s43, s6, s9
	s_add_u32 s2, s20, s2
	s_addc_u32 s3, s21, s3
	;; [unrolled: 2-line block ×4, first 2 shown]
	global_store_dword v4, v1, s[42:43]
	global_store_dword v4, v2, s[2:3]
.LBB153_38:
	s_or_b32 exec_lo, exec_lo, s1
	v_mov_b32_e32 v29, 0
	v_mov_b32_e32 v27, 0
	s_and_saveexec_b32 s3, s0
	s_cbranch_execz .LBB153_48
; %bb.39:
	s_ashr_i32 s15, s14, 31
	s_sub_i32 s5, s40, s17
	s_lshl_b64 s[0:1], s[14:15], 1
	v_and_b32_e32 v26, 8, v3
	s_add_u32 s2, s34, s0
	s_addc_u32 s8, s35, s1
	s_abs_i32 s6, s18
	v_lshlrev_b32_e32 v3, 4, v0
	v_cvt_f32_u32_e32 v1, s6
	s_sub_i32 s0, 0, s6
	v_lshlrev_b32_e32 v5, 5, v21
	s_add_i32 s36, s36, -1
	v_and_b32_e32 v3, 0x1f0, v3
	v_rcp_iflag_f32_e32 v1, v1
	v_mov_b32_e32 v28, 0
	v_lshl_or_b32 v5, v22, 6, v5
	v_mov_b32_e32 v27, 0
	v_add_co_u32 v30, s2, s2, v3
	v_add_co_ci_u32_e64 v31, null, s8, 0, s2
	v_add_nc_u32_e32 v32, 0x60, v5
	v_mov_b32_e32 v29, 0
	v_mul_f32_e32 v1, 0x4f7ffffe, v1
	s_mov_b32 s8, s13
	s_mov_b32 s13, s27
	;; [unrolled: 1-line block ×3, first 2 shown]
	v_cvt_u32_f32_e32 v4, v1
	v_lshlrev_b64 v[1:2], 2, v[17:18]
	v_mul_lo_u32 v6, s0, v4
	s_lshl_b64 s[0:1], s[30:31], 2
	s_add_u32 s0, s28, s0
	s_addc_u32 s1, s29, s1
	v_add_co_u32 v18, vcc_lo, s0, v1
	v_add_co_ci_u32_e64 v19, null, s1, v2, vcc_lo
	v_mul_hi_u32 v6, v4, v6
	v_add_nc_u32_e32 v33, v4, v6
	s_branch .LBB153_42
.LBB153_40:                             ;   in Loop: Header=BB153_42 Depth=1
	s_or_b32 exec_lo, exec_lo, s2
	s_waitcnt lgkmcnt(1)
	v_bfe_u32 v34, v13, 16, 1
	v_or_b32_e32 v35, 0x400000, v13
	v_bfe_u32 v36, v14, 16, 1
	v_cmp_u_f32_e32 vcc_lo, v13, v13
	v_bfe_u32 v37, v15, 16, 1
	v_add3_u32 v34, v34, v13, 0x7fff
	v_or_b32_e32 v38, 0x400000, v14
	v_add3_u32 v36, v36, v14, 0x7fff
	v_or_b32_e32 v39, 0x400000, v15
	v_add3_u32 v37, v37, v15, 0x7fff
	v_cndmask_b32_e32 v13, v34, v35, vcc_lo
	v_cmp_u_f32_e32 vcc_lo, v14, v14
	v_bfe_u32 v34, v16, 16, 1
	s_waitcnt lgkmcnt(0)
	v_bfe_u32 v35, v9, 16, 1
	v_and_b32_e32 v13, 0xffff0000, v13
	v_cndmask_b32_e32 v14, v36, v38, vcc_lo
	v_cmp_u_f32_e32 vcc_lo, v15, v15
	v_add3_u32 v34, v34, v16, 0x7fff
	v_or_b32_e32 v36, 0x400000, v16
	v_add3_u32 v35, v35, v9, 0x7fff
	v_bfe_u32 v38, v10, 16, 1
	v_cndmask_b32_e32 v15, v37, v39, vcc_lo
	v_cmp_u_f32_e32 vcc_lo, v16, v16
	v_or_b32_e32 v37, 0x400000, v9
	v_and_b32_e32 v14, 0xffff0000, v14
	v_and_b32_e32 v15, 0xffff0000, v15
	v_cndmask_b32_e32 v16, v34, v36, vcc_lo
	v_cmp_u_f32_e32 vcc_lo, v9, v9
	v_add3_u32 v34, v38, v10, 0x7fff
	v_bfe_u32 v36, v11, 16, 1
	s_waitcnt vmcnt(1)
	v_lshlrev_b32_e32 v38, 16, v6
	v_and_b32_e32 v16, 0xffff0000, v16
	v_cndmask_b32_e32 v9, v35, v37, vcc_lo
	v_or_b32_e32 v35, 0x400000, v10
	v_lshlrev_b32_e32 v37, 16, v5
	v_cmp_u_f32_e32 vcc_lo, v10, v10
	v_and_b32_e32 v5, 0xffff0000, v5
	v_mul_f32_e32 v38, v15, v38
	v_and_b32_e32 v6, 0xffff0000, v6
	v_mul_f32_e32 v37, v13, v37
	v_cndmask_b32_e32 v10, v34, v35, vcc_lo
	v_add3_u32 v34, v36, v11, 0x7fff
	v_or_b32_e32 v35, 0x400000, v11
	v_bfe_u32 v36, v12, 16, 1
	v_cmp_u_f32_e32 vcc_lo, v11, v11
	v_mul_f32_e32 v5, v14, v5
	v_mul_f32_e32 v6, v16, v6
	v_and_b32_e32 v9, 0xffff0000, v9
	v_or_b32_e32 v40, 0x400000, v38
	v_cndmask_b32_e32 v11, v34, v35, vcc_lo
	v_add3_u32 v34, v36, v12, 0x7fff
	v_or_b32_e32 v35, 0x400000, v12
	v_bfe_u32 v36, v37, 16, 1
	v_cmp_u_f32_e32 vcc_lo, v12, v12
	v_or_b32_e32 v39, 0x400000, v5
	v_bfe_u32 v41, v6, 16, 1
	v_and_b32_e32 v10, 0xffff0000, v10
	v_and_b32_e32 v11, 0xffff0000, v11
	v_cndmask_b32_e32 v12, v34, v35, vcc_lo
	v_add3_u32 v34, v36, v37, 0x7fff
	v_or_b32_e32 v35, 0x400000, v37
	v_bfe_u32 v36, v5, 16, 1
	v_cmp_u_f32_e32 vcc_lo, v37, v37
	v_lshlrev_b32_e32 v37, 16, v7
	v_and_b32_e32 v7, 0xffff0000, v7
	v_and_b32_e32 v12, 0xffff0000, v12
	v_cndmask_b32_e32 v34, v34, v35, vcc_lo
	v_add3_u32 v35, v36, v5, 0x7fff
	v_bfe_u32 v36, v38, 16, 1
	v_cmp_u_f32_e32 vcc_lo, v5, v5
	v_mul_f32_e32 v37, v9, v37
	v_mul_f32_e32 v7, v10, v7
	v_and_b32_e32 v34, 0xffff0000, v34
	v_add3_u32 v36, v36, v38, 0x7fff
	v_cndmask_b32_e32 v5, v35, v39, vcc_lo
	v_cmp_u_f32_e32 vcc_lo, v38, v38
	v_bfe_u32 v38, v37, 16, 1
	v_lshlrev_b32_e32 v39, 16, v8
	v_and_b32_e32 v8, 0xffff0000, v8
	v_and_b32_e32 v5, 0xffff0000, v5
	v_cndmask_b32_e32 v35, v36, v40, vcc_lo
	v_add3_u32 v36, v41, v6, 0x7fff
	v_or_b32_e32 v40, 0x400000, v6
	v_cmp_u_f32_e32 vcc_lo, v6, v6
	v_add3_u32 v38, v38, v37, 0x7fff
	v_or_b32_e32 v41, 0x400000, v37
	v_mul_f32_e32 v39, v11, v39
	v_mul_f32_e32 v8, v12, v8
	v_cndmask_b32_e32 v6, v36, v40, vcc_lo
	v_bfe_u32 v36, v7, 16, 1
	v_cmp_u_f32_e32 vcc_lo, v37, v37
	v_or_b32_e32 v40, 0x400000, v7
	v_and_b32_e32 v35, 0xffff0000, v35
	v_and_b32_e32 v6, 0xffff0000, v6
	v_add3_u32 v36, v36, v7, 0x7fff
	v_cndmask_b32_e32 v37, v38, v41, vcc_lo
	v_bfe_u32 v38, v39, 16, 1
	v_cmp_u_f32_e32 vcc_lo, v7, v7
	v_or_b32_e32 v41, 0x400000, v39
	v_add_f32_e32 v5, v34, v5
	v_add_f32_e32 v6, v35, v6
	v_add3_u32 v38, v38, v39, 0x7fff
	v_cndmask_b32_e32 v7, v36, v40, vcc_lo
	v_cmp_u_f32_e32 vcc_lo, v39, v39
	s_waitcnt vmcnt(0)
	v_lshlrev_b32_e32 v40, 16, v1
	v_and_b32_e32 v1, 0xffff0000, v1
	v_or_b32_e32 v39, 0x400000, v8
	v_and_b32_e32 v7, 0xffff0000, v7
	v_cndmask_b32_e32 v36, v38, v41, vcc_lo
	v_bfe_u32 v38, v8, 16, 1
	v_mul_f32_e32 v13, v13, v40
	v_and_b32_e32 v34, 0xffff0000, v37
	v_cmp_u_f32_e32 vcc_lo, v8, v8
	v_add_f32_e32 v5, v6, v5
	v_add3_u32 v38, v38, v8, 0x7fff
	v_bfe_u32 v6, v13, 16, 1
	v_mul_f32_e32 v1, v14, v1
	v_lshlrev_b32_e32 v14, 16, v2
	v_add_f32_e32 v7, v34, v7
	v_cndmask_b32_e32 v8, v38, v39, vcc_lo
	v_add3_u32 v6, v6, v13, 0x7fff
	v_or_b32_e32 v34, 0x400000, v13
	v_bfe_u32 v35, v1, 16, 1
	v_mul_f32_e32 v14, v15, v14
	v_and_b32_e32 v2, 0xffff0000, v2
	v_cmp_u_f32_e32 vcc_lo, v13, v13
	v_or_b32_e32 v15, 0x400000, v1
	v_add3_u32 v13, v35, v1, 0x7fff
	v_and_b32_e32 v8, 0xffff0000, v8
	v_mul_f32_e32 v2, v16, v2
	v_cndmask_b32_e32 v6, v6, v34, vcc_lo
	v_bfe_u32 v34, v14, 16, 1
	v_lshlrev_b32_e32 v16, 16, v3
	v_cmp_u_f32_e32 vcc_lo, v1, v1
	v_and_b32_e32 v3, 0xffff0000, v3
	v_and_b32_e32 v6, 0xffff0000, v6
	v_add_f32_e32 v5, v7, v5
	v_mul_f32_e32 v9, v9, v16
	v_cndmask_b32_e32 v1, v13, v15, vcc_lo
	v_add3_u32 v13, v34, v14, 0x7fff
	v_or_b32_e32 v15, 0x400000, v14
	v_bfe_u32 v34, v2, 16, 1
	v_cmp_u_f32_e32 vcc_lo, v14, v14
	v_bfe_u32 v16, v9, 16, 1
	v_mul_f32_e32 v3, v10, v3
	v_lshlrev_b32_e32 v10, 16, v4
	v_add3_u32 v14, v34, v2, 0x7fff
	v_cndmask_b32_e32 v13, v13, v15, vcc_lo
	v_or_b32_e32 v15, 0x400000, v2
	v_and_b32_e32 v4, 0xffff0000, v4
	v_cmp_u_f32_e32 vcc_lo, v2, v2
	v_mul_f32_e32 v10, v11, v10
	v_or_b32_e32 v11, 0x400000, v9
	v_and_b32_e32 v1, 0xffff0000, v1
	v_mul_f32_e32 v4, v12, v4
	v_cndmask_b32_e32 v2, v14, v15, vcc_lo
	v_bfe_u32 v14, v3, 16, 1
	v_add3_u32 v15, v16, v9, 0x7fff
	v_cmp_u_f32_e32 vcc_lo, v9, v9
	v_bfe_u32 v34, v4, 16, 1
	v_bfe_u32 v16, v10, 16, 1
	v_add3_u32 v12, v14, v3, 0x7fff
	v_or_b32_e32 v14, 0x400000, v3
	v_cndmask_b32_e32 v9, v15, v11, vcc_lo
	v_cmp_u_f32_e32 vcc_lo, v3, v3
	v_add3_u32 v11, v16, v10, 0x7fff
	v_and_b32_e32 v2, 0xffff0000, v2
	v_and_b32_e32 v13, 0xffff0000, v13
	v_or_b32_e32 v15, 0x400000, v10
	v_cndmask_b32_e32 v3, v12, v14, vcc_lo
	v_add3_u32 v12, v34, v4, 0x7fff
	v_or_b32_e32 v14, 0x400000, v4
	v_cmp_u_f32_e32 vcc_lo, v4, v4
	v_add_f32_e32 v1, v6, v1
	v_add_f32_e32 v2, v13, v2
	v_and_b32_e32 v3, 0xffff0000, v3
	v_and_b32_e32 v6, 0xffff0000, v9
	v_cndmask_b32_e32 v4, v12, v14, vcc_lo
	v_cmp_u_f32_e32 vcc_lo, v10, v10
	v_and_b32_e32 v10, 0xffff0000, v36
	v_add_f32_e32 v1, v2, v1
	v_add_f32_e32 v2, v6, v3
	v_and_b32_e32 v3, 0xffff0000, v4
	v_cndmask_b32_e32 v9, v11, v15, vcc_lo
	v_add_f32_e32 v6, v10, v8
	v_add_f32_e32 v1, v2, v1
	v_and_b32_e32 v4, 0xffff0000, v9
	v_add_f32_e32 v2, v4, v3
	v_add_f32_e32 v3, v6, v5
	;; [unrolled: 1-line block ×5, first 2 shown]
.LBB153_41:                             ;   in Loop: Header=BB153_42 Depth=1
	s_or_b32 exec_lo, exec_lo, s14
	v_add_nc_u32_e32 v17, 4, v17
	v_add_co_u32 v18, s0, v18, 16
	v_add_co_ci_u32_e64 v19, null, 0, v19, s0
	v_cmp_le_i32_e32 vcc_lo, s16, v17
	v_add_nc_u32_e32 v23, 64, v23
	v_add_nc_u32_e32 v32, 0x100, v32
	s_or_b32 s9, vcc_lo, s9
	s_andn2_b32 exec_lo, exec_lo, s9
	s_cbranch_execz .LBB153_47
.LBB153_42:                             ; =>This Inner Loop Header: Depth=1
	v_sub_nc_u32_e32 v1, 0, v23
	v_max_i32_e32 v1, v23, v1
	v_mul_hi_u32 v2, v1, s33
	v_mul_lo_u32 v3, v2, s11
	v_sub_nc_u32_e32 v1, v1, v3
	v_add_nc_u32_e32 v3, 1, v2
	v_subrev_nc_u32_e32 v4, s11, v1
	v_cmp_le_u32_e32 vcc_lo, s11, v1
	v_cndmask_b32_e32 v2, v2, v3, vcc_lo
	v_cndmask_b32_e32 v1, v1, v4, vcc_lo
	v_ashrrev_i32_e32 v3, 31, v23
	v_add_nc_u32_e32 v4, 1, v2
	v_cmp_le_u32_e32 vcc_lo, s11, v1
	v_xor_b32_e32 v3, s19, v3
	v_cndmask_b32_e32 v1, v2, v4, vcc_lo
	v_xor_b32_e32 v1, v1, v3
	v_sub_nc_u32_e32 v1, v1, v3
	v_add_nc_u32_e32 v2, s38, v1
	v_cmp_lt_i32_e64 s0, s5, v1
	v_sub_nc_u32_e32 v3, 0, v2
	v_max_i32_e32 v3, v2, v3
	v_ashrrev_i32_e32 v2, 31, v2
	v_mul_hi_u32 v4, v3, v33
	v_mul_lo_u32 v4, v4, s6
	v_sub_nc_u32_e32 v3, v3, v4
	v_subrev_nc_u32_e32 v4, s6, v3
	v_cmp_le_u32_e32 vcc_lo, s6, v3
	v_cndmask_b32_e32 v3, v3, v4, vcc_lo
	v_subrev_nc_u32_e32 v4, s6, v3
	v_cmp_le_u32_e32 vcc_lo, s6, v3
	v_cndmask_b32_e32 v3, v3, v4, vcc_lo
	v_xor_b32_e32 v3, v3, v2
	v_sub_nc_u32_e32 v2, v3, v2
	v_cmp_eq_u32_e32 vcc_lo, 0, v2
	s_or_b32 s0, vcc_lo, s0
	s_and_saveexec_b32 s14, s0
	s_cbranch_execz .LBB153_41
; %bb.43:                               ;   in Loop: Header=BB153_42 Depth=1
	global_load_dword v1, v[18:19], off
	v_add_nc_u32_e32 v38, v26, v23
	v_cmp_eq_u32_e64 s0, s36, v17
	v_add_nc_u32_e32 v41, 1, v38
	v_or_b32_e32 v39, 3, v38
	v_or_b32_e32 v40, 2, v38
	;; [unrolled: 1-line block ×6, first 2 shown]
	s_waitcnt vmcnt(0)
	v_mad_i64_i32 v[1:2], null, v1, s8, 0
	v_lshlrev_b64 v[1:2], 1, v[1:2]
	v_add_co_u32 v1, vcc_lo, v30, v1
	v_add_co_ci_u32_e64 v2, null, v31, v2, vcc_lo
	global_load_dwordx4 v[5:8], v[1:2], off
	ds_read2_b64 v[13:16], v32 offset1:1
	ds_read2_b64 v[9:12], v32 offset0:2 offset1:3
	s_and_saveexec_b32 s15, s0
	s_cbranch_execz .LBB153_45
; %bb.44:                               ;   in Loop: Header=BB153_42 Depth=1
	v_cmp_gt_i32_e64 s1, s27, v38
	v_cmp_gt_i32_e32 vcc_lo, s13, v41
	v_cmp_gt_i32_e64 s2, s27, v40
	s_waitcnt vmcnt(0)
	v_cndmask_b32_e64 v3, 0, v5, s1
	v_cmp_gt_i32_e64 s1, s13, v39
	v_cndmask_b32_sdwa v5, v28, v5, vcc_lo dst_sel:DWORD dst_unused:UNUSED_PAD src0_sel:DWORD src1_sel:WORD_1
	v_cndmask_b32_e64 v4, 0, v6, s2
	v_cmp_gt_i32_e64 s2, s13, v37
	s_mov_b32 vcc_lo, s1
	v_cmp_gt_i32_e64 s1, s13, v35
	v_cndmask_b32_sdwa v6, v28, v6, vcc_lo dst_sel:DWORD dst_unused:UNUSED_PAD src0_sel:DWORD src1_sel:WORD_1
	v_cmp_gt_i32_e32 vcc_lo, s27, v36
	v_perm_b32 v5, v5, v3, 0x5040100
	v_perm_b32 v6, v6, v4, 0x5040100
	v_cndmask_b32_e32 v42, 0, v7, vcc_lo
	s_mov_b32 vcc_lo, s2
	v_cndmask_b32_sdwa v7, v28, v7, vcc_lo dst_sel:DWORD dst_unused:UNUSED_PAD src0_sel:DWORD src1_sel:WORD_1
	v_cmp_gt_i32_e32 vcc_lo, s27, v34
	v_perm_b32 v7, v7, v42, 0x5040100
	v_cndmask_b32_e32 v43, 0, v8, vcc_lo
	s_mov_b32 vcc_lo, s1
	v_cndmask_b32_sdwa v8, v28, v8, vcc_lo dst_sel:DWORD dst_unused:UNUSED_PAD src0_sel:DWORD src1_sel:WORD_1
	v_perm_b32 v8, v8, v43, 0x5040100
.LBB153_45:                             ;   in Loop: Header=BB153_42 Depth=1
	s_or_b32 exec_lo, exec_lo, s15
	global_load_dwordx4 v[1:4], v[1:2], off offset:512
	s_and_saveexec_b32 s2, s0
	s_cbranch_execz .LBB153_40
; %bb.46:                               ;   in Loop: Header=BB153_42 Depth=1
	v_cmp_gt_i32_e64 s0, s27, v38
	v_cmp_gt_i32_e32 vcc_lo, s13, v41
	v_cmp_gt_i32_e64 s1, s27, v40
	s_waitcnt vmcnt(0)
	v_cndmask_b32_e64 v38, 0, v1, s0
	v_cmp_gt_i32_e64 s0, s13, v39
	v_cndmask_b32_sdwa v1, v28, v1, vcc_lo dst_sel:DWORD dst_unused:UNUSED_PAD src0_sel:DWORD src1_sel:WORD_1
	v_cndmask_b32_e64 v39, 0, v2, s1
	v_cmp_gt_i32_e64 s1, s13, v37
	s_mov_b32 vcc_lo, s0
	v_cmp_gt_i32_e64 s0, s13, v35
	v_cndmask_b32_sdwa v2, v28, v2, vcc_lo dst_sel:DWORD dst_unused:UNUSED_PAD src0_sel:DWORD src1_sel:WORD_1
	v_cmp_gt_i32_e32 vcc_lo, s27, v36
	v_perm_b32 v1, v1, v38, 0x5040100
	v_perm_b32 v2, v2, v39, 0x5040100
	v_cndmask_b32_e32 v36, 0, v3, vcc_lo
	s_mov_b32 vcc_lo, s1
	v_cndmask_b32_sdwa v3, v28, v3, vcc_lo dst_sel:DWORD dst_unused:UNUSED_PAD src0_sel:DWORD src1_sel:WORD_1
	v_cmp_gt_i32_e32 vcc_lo, s27, v34
	v_perm_b32 v3, v3, v36, 0x5040100
	v_cndmask_b32_e32 v34, 0, v4, vcc_lo
	s_mov_b32 vcc_lo, s0
	v_cndmask_b32_sdwa v4, v28, v4, vcc_lo dst_sel:DWORD dst_unused:UNUSED_PAD src0_sel:DWORD src1_sel:WORD_1
	v_perm_b32 v4, v4, v34, 0x5040100
	s_branch .LBB153_40
.LBB153_47:
	s_or_b32 exec_lo, exec_lo, s9
.LBB153_48:
	s_or_b32 exec_lo, exec_lo, s3
	ds_bpermute_b32 v1, v25, v27
	ds_bpermute_b32 v5, v25, v29
	v_lshrrev_b32_e32 v3, 1, v24
	v_and_b32_e32 v6, 0x3c1, v0
	s_mov_b32 s0, exec_lo
	s_waitcnt lgkmcnt(0)
	s_waitcnt_vscnt null, 0x0
	s_barrier
	v_lshl_add_u32 v4, v3, 2, 0x60
	buffer_gl0_inv
	v_add_f32_e32 v2, v27, v1
	v_add_f32_e32 v1, v29, v5
	v_cmpx_eq_u32_e32 64, v6
	s_cbranch_execz .LBB153_50
; %bb.49:
	v_lshl_add_u32 v5, v22, 7, v4
	v_add_nc_u32_e32 v6, 0xffffff00, v5
	v_add_nc_u32_e32 v5, 0xffffff40, v5
	ds_write_b32 v6, v2
	ds_write_b32 v5, v1
.LBB153_50:
	s_or_b32 exec_lo, exec_lo, s0
	v_and_b32_e32 v5, 0x3e0, v0
	v_lshlrev_b32_e32 v3, 2, v3
	s_mov_b32 s1, exec_lo
	v_cmp_eq_u32_e32 vcc_lo, 0, v21
	s_waitcnt lgkmcnt(0)
	v_lshlrev_b32_e32 v5, 2, v5
	s_barrier
	buffer_gl0_inv
	v_add3_u32 v3, 0x60, v5, v3
	v_cmpx_gt_u32_e32 64, v0
	s_cbranch_execz .LBB153_56
; %bb.51:
	s_and_saveexec_b32 s0, vcc_lo
	s_cbranch_execz .LBB153_53
; %bb.52:
	ds_read_b32 v5, v3
	s_waitcnt lgkmcnt(0)
	v_add_f32_e32 v2, v2, v5
.LBB153_53:
	s_or_b32 exec_lo, exec_lo, s0
	s_and_saveexec_b32 s0, vcc_lo
	s_cbranch_execz .LBB153_55
; %bb.54:
	ds_read_b32 v5, v3 offset:64
	s_waitcnt lgkmcnt(0)
	v_add_f32_e32 v1, v1, v5
.LBB153_55:
	s_or_b32 exec_lo, exec_lo, s0
.LBB153_56:
	s_or_b32 exec_lo, exec_lo, s1
	v_and_b32_e32 v5, 0x3e1, v0
	s_mov_b32 s1, exec_lo
	s_barrier
	buffer_gl0_inv
	v_cmpx_eq_u32_e32 32, v5
; %bb.57:
	ds_write2_b32 v4, v2, v1 offset1:16
; %bb.58:
	s_or_b32 exec_lo, exec_lo, s1
	s_mov_b32 s1, exec_lo
	s_waitcnt lgkmcnt(0)
	s_barrier
	buffer_gl0_inv
	v_cmpx_gt_u32_e32 32, v0
	s_cbranch_execz .LBB153_64
; %bb.59:
	s_and_saveexec_b32 s0, vcc_lo
	s_cbranch_execz .LBB153_61
; %bb.60:
	ds_read_b32 v0, v3
	s_waitcnt lgkmcnt(0)
	v_add_f32_e32 v2, v2, v0
.LBB153_61:
	s_or_b32 exec_lo, exec_lo, s0
	s_and_saveexec_b32 s0, vcc_lo
	s_cbranch_execz .LBB153_63
; %bb.62:
	ds_read_b32 v0, v3 offset:64
	s_waitcnt lgkmcnt(0)
	v_add_f32_e32 v1, v1, v0
.LBB153_63:
	s_or_b32 exec_lo, exec_lo, s0
.LBB153_64:
	s_or_b32 exec_lo, exec_lo, s1
	s_barrier
	buffer_gl0_inv
	s_mov_b32 s0, exec_lo
	v_cmpx_eq_u32_e32 0, v5
	s_cbranch_execz .LBB153_66
; %bb.65:
	s_lshl_b32 s0, s4, 5
	v_bfe_u32 v0, v2, 16, 1
	s_ashr_i32 s1, s0, 31
	s_mul_i32 s2, s7, s10
	s_lshl_b64 s[0:1], s[0:1], 1
	v_bfe_u32 v3, v1, 16, 1
	v_add3_u32 v0, v0, v2, 0x7fff
	v_or_b32_e32 v4, 0x400000, v2
	v_cmp_u_f32_e32 vcc_lo, v2, v2
	s_add_u32 s4, s24, s0
	s_addc_u32 s5, s25, s1
	s_ashr_i32 s3, s2, 31
	v_add3_u32 v3, v3, v1, 0x7fff
	s_lshl_b64 s[0:1], s[2:3], 1
	v_or_b32_e32 v5, 0x400000, v1
	v_cndmask_b32_e32 v0, v0, v4, vcc_lo
	v_cmp_u_f32_e32 vcc_lo, v1, v1
	s_add_u32 s2, s4, s0
	s_addc_u32 s3, s5, s1
	s_ashr_i32 s13, s12, 31
	v_lshlrev_b32_e32 v2, 1, v20
	s_lshl_b64 s[0:1], s[12:13], 1
	v_cndmask_b32_e32 v1, v3, v5, vcc_lo
	s_add_u32 s0, s2, s0
	s_addc_u32 s1, s3, s1
	global_store_short_d16_hi v2, v0, s[0:1]
	global_store_short_d16_hi v2, v1, s[0:1] offset:32
.LBB153_66:
	s_endpgm
	.section	.rodata,"a",@progbits
	.p2align	6, 0x0
	.amdhsa_kernel _ZN4vllm25paged_attention_v2_kernelI14__hip_bfloat16S1_Li32ELi16ELi128ELNS_18Fp8KVCacheDataTypeE0ELb1ELi512EEEvPfS3_PT_PKS4_PKT0_SA_ifPKiSC_iPKfiiiSE_SE_iiiii
		.amdhsa_group_segment_fixed_size 96
		.amdhsa_private_segment_fixed_size 0
		.amdhsa_kernarg_size 400
		.amdhsa_user_sgpr_count 6
		.amdhsa_user_sgpr_private_segment_buffer 1
		.amdhsa_user_sgpr_dispatch_ptr 0
		.amdhsa_user_sgpr_queue_ptr 0
		.amdhsa_user_sgpr_kernarg_segment_ptr 1
		.amdhsa_user_sgpr_dispatch_id 0
		.amdhsa_user_sgpr_flat_scratch_init 0
		.amdhsa_user_sgpr_private_segment_size 0
		.amdhsa_wavefront_size32 1
		.amdhsa_uses_dynamic_stack 0
		.amdhsa_system_sgpr_private_segment_wavefront_offset 0
		.amdhsa_system_sgpr_workgroup_id_x 1
		.amdhsa_system_sgpr_workgroup_id_y 1
		.amdhsa_system_sgpr_workgroup_id_z 1
		.amdhsa_system_sgpr_workgroup_info 0
		.amdhsa_system_vgpr_workitem_id 0
		.amdhsa_next_free_vgpr 53
		.amdhsa_next_free_sgpr 46
		.amdhsa_reserve_vcc 1
		.amdhsa_reserve_flat_scratch 0
		.amdhsa_float_round_mode_32 0
		.amdhsa_float_round_mode_16_64 0
		.amdhsa_float_denorm_mode_32 3
		.amdhsa_float_denorm_mode_16_64 3
		.amdhsa_dx10_clamp 1
		.amdhsa_ieee_mode 1
		.amdhsa_fp16_overflow 0
		.amdhsa_workgroup_processor_mode 1
		.amdhsa_memory_ordered 1
		.amdhsa_forward_progress 1
		.amdhsa_shared_vgpr_count 0
		.amdhsa_exception_fp_ieee_invalid_op 0
		.amdhsa_exception_fp_denorm_src 0
		.amdhsa_exception_fp_ieee_div_zero 0
		.amdhsa_exception_fp_ieee_overflow 0
		.amdhsa_exception_fp_ieee_underflow 0
		.amdhsa_exception_fp_ieee_inexact 0
		.amdhsa_exception_int_div_zero 0
	.end_amdhsa_kernel
	.section	.text._ZN4vllm25paged_attention_v2_kernelI14__hip_bfloat16S1_Li32ELi16ELi128ELNS_18Fp8KVCacheDataTypeE0ELb1ELi512EEEvPfS3_PT_PKS4_PKT0_SA_ifPKiSC_iPKfiiiSE_SE_iiiii,"axG",@progbits,_ZN4vllm25paged_attention_v2_kernelI14__hip_bfloat16S1_Li32ELi16ELi128ELNS_18Fp8KVCacheDataTypeE0ELb1ELi512EEEvPfS3_PT_PKS4_PKT0_SA_ifPKiSC_iPKfiiiSE_SE_iiiii,comdat
.Lfunc_end153:
	.size	_ZN4vllm25paged_attention_v2_kernelI14__hip_bfloat16S1_Li32ELi16ELi128ELNS_18Fp8KVCacheDataTypeE0ELb1ELi512EEEvPfS3_PT_PKS4_PKT0_SA_ifPKiSC_iPKfiiiSE_SE_iiiii, .Lfunc_end153-_ZN4vllm25paged_attention_v2_kernelI14__hip_bfloat16S1_Li32ELi16ELi128ELNS_18Fp8KVCacheDataTypeE0ELb1ELi512EEEvPfS3_PT_PKS4_PKT0_SA_ifPKiSC_iPKfiiiSE_SE_iiiii
                                        ; -- End function
	.set _ZN4vllm25paged_attention_v2_kernelI14__hip_bfloat16S1_Li32ELi16ELi128ELNS_18Fp8KVCacheDataTypeE0ELb1ELi512EEEvPfS3_PT_PKS4_PKT0_SA_ifPKiSC_iPKfiiiSE_SE_iiiii.num_vgpr, 53
	.set _ZN4vllm25paged_attention_v2_kernelI14__hip_bfloat16S1_Li32ELi16ELi128ELNS_18Fp8KVCacheDataTypeE0ELb1ELi512EEEvPfS3_PT_PKS4_PKT0_SA_ifPKiSC_iPKfiiiSE_SE_iiiii.num_agpr, 0
	.set _ZN4vllm25paged_attention_v2_kernelI14__hip_bfloat16S1_Li32ELi16ELi128ELNS_18Fp8KVCacheDataTypeE0ELb1ELi512EEEvPfS3_PT_PKS4_PKT0_SA_ifPKiSC_iPKfiiiSE_SE_iiiii.numbered_sgpr, 46
	.set _ZN4vllm25paged_attention_v2_kernelI14__hip_bfloat16S1_Li32ELi16ELi128ELNS_18Fp8KVCacheDataTypeE0ELb1ELi512EEEvPfS3_PT_PKS4_PKT0_SA_ifPKiSC_iPKfiiiSE_SE_iiiii.num_named_barrier, 0
	.set _ZN4vllm25paged_attention_v2_kernelI14__hip_bfloat16S1_Li32ELi16ELi128ELNS_18Fp8KVCacheDataTypeE0ELb1ELi512EEEvPfS3_PT_PKS4_PKT0_SA_ifPKiSC_iPKfiiiSE_SE_iiiii.private_seg_size, 0
	.set _ZN4vllm25paged_attention_v2_kernelI14__hip_bfloat16S1_Li32ELi16ELi128ELNS_18Fp8KVCacheDataTypeE0ELb1ELi512EEEvPfS3_PT_PKS4_PKT0_SA_ifPKiSC_iPKfiiiSE_SE_iiiii.uses_vcc, 1
	.set _ZN4vllm25paged_attention_v2_kernelI14__hip_bfloat16S1_Li32ELi16ELi128ELNS_18Fp8KVCacheDataTypeE0ELb1ELi512EEEvPfS3_PT_PKS4_PKT0_SA_ifPKiSC_iPKfiiiSE_SE_iiiii.uses_flat_scratch, 0
	.set _ZN4vllm25paged_attention_v2_kernelI14__hip_bfloat16S1_Li32ELi16ELi128ELNS_18Fp8KVCacheDataTypeE0ELb1ELi512EEEvPfS3_PT_PKS4_PKT0_SA_ifPKiSC_iPKfiiiSE_SE_iiiii.has_dyn_sized_stack, 0
	.set _ZN4vllm25paged_attention_v2_kernelI14__hip_bfloat16S1_Li32ELi16ELi128ELNS_18Fp8KVCacheDataTypeE0ELb1ELi512EEEvPfS3_PT_PKS4_PKT0_SA_ifPKiSC_iPKfiiiSE_SE_iiiii.has_recursion, 0
	.set _ZN4vllm25paged_attention_v2_kernelI14__hip_bfloat16S1_Li32ELi16ELi128ELNS_18Fp8KVCacheDataTypeE0ELb1ELi512EEEvPfS3_PT_PKS4_PKT0_SA_ifPKiSC_iPKfiiiSE_SE_iiiii.has_indirect_call, 0
	.section	.AMDGPU.csdata,"",@progbits
; Kernel info:
; codeLenInByte = 5624
; TotalNumSgprs: 48
; NumVgprs: 53
; ScratchSize: 0
; MemoryBound: 0
; FloatMode: 240
; IeeeMode: 1
; LDSByteSize: 96 bytes/workgroup (compile time only)
; SGPRBlocks: 0
; VGPRBlocks: 6
; NumSGPRsForWavesPerEU: 48
; NumVGPRsForWavesPerEU: 53
; Occupancy: 16
; WaveLimiterHint : 1
; COMPUTE_PGM_RSRC2:SCRATCH_EN: 0
; COMPUTE_PGM_RSRC2:USER_SGPR: 6
; COMPUTE_PGM_RSRC2:TRAP_HANDLER: 0
; COMPUTE_PGM_RSRC2:TGID_X_EN: 1
; COMPUTE_PGM_RSRC2:TGID_Y_EN: 1
; COMPUTE_PGM_RSRC2:TGID_Z_EN: 1
; COMPUTE_PGM_RSRC2:TIDIG_COMP_CNT: 0
	.section	.text._ZN4vllm25paged_attention_v2_kernelI14__hip_bfloat16S1_Li64ELi16ELi128ELNS_18Fp8KVCacheDataTypeE0ELb1ELi512EEEvPfS3_PT_PKS4_PKT0_SA_ifPKiSC_iPKfiiiSE_SE_iiiii,"axG",@progbits,_ZN4vllm25paged_attention_v2_kernelI14__hip_bfloat16S1_Li64ELi16ELi128ELNS_18Fp8KVCacheDataTypeE0ELb1ELi512EEEvPfS3_PT_PKS4_PKT0_SA_ifPKiSC_iPKfiiiSE_SE_iiiii,comdat
	.protected	_ZN4vllm25paged_attention_v2_kernelI14__hip_bfloat16S1_Li64ELi16ELi128ELNS_18Fp8KVCacheDataTypeE0ELb1ELi512EEEvPfS3_PT_PKS4_PKT0_SA_ifPKiSC_iPKfiiiSE_SE_iiiii ; -- Begin function _ZN4vllm25paged_attention_v2_kernelI14__hip_bfloat16S1_Li64ELi16ELi128ELNS_18Fp8KVCacheDataTypeE0ELb1ELi512EEEvPfS3_PT_PKS4_PKT0_SA_ifPKiSC_iPKfiiiSE_SE_iiiii
	.globl	_ZN4vllm25paged_attention_v2_kernelI14__hip_bfloat16S1_Li64ELi16ELi128ELNS_18Fp8KVCacheDataTypeE0ELb1ELi512EEEvPfS3_PT_PKS4_PKT0_SA_ifPKiSC_iPKfiiiSE_SE_iiiii
	.p2align	8
	.type	_ZN4vllm25paged_attention_v2_kernelI14__hip_bfloat16S1_Li64ELi16ELi128ELNS_18Fp8KVCacheDataTypeE0ELb1ELi512EEEvPfS3_PT_PKS4_PKT0_SA_ifPKiSC_iPKfiiiSE_SE_iiiii,@function
_ZN4vllm25paged_attention_v2_kernelI14__hip_bfloat16S1_Li64ELi16ELi128ELNS_18Fp8KVCacheDataTypeE0ELb1ELi512EEEvPfS3_PT_PKS4_PKT0_SA_ifPKiSC_iPKfiiiSE_SE_iiiii: ; @_ZN4vllm25paged_attention_v2_kernelI14__hip_bfloat16S1_Li64ELi16ELi128ELNS_18Fp8KVCacheDataTypeE0ELb1ELi512EEEvPfS3_PT_PKS4_PKT0_SA_ifPKiSC_iPKfiiiSE_SE_iiiii
; %bb.0:
	s_load_dwordx2 s[0:1], s[4:5], 0x40
	s_mov_b32 s26, s7
	s_ashr_i32 s27, s7, 31
	s_lshl_b64 s[2:3], s[26:27], 2
	s_waitcnt lgkmcnt(0)
	s_add_u32 s0, s0, s2
	s_addc_u32 s1, s1, s3
	s_lshl_b32 s38, s8, 9
	s_load_dword s27, s[0:1], 0x0
	s_waitcnt lgkmcnt(0)
	s_cmp_ge_i32 s38, s27
	s_cbranch_scc1 .LBB154_72
; %bb.1:
	s_clause 0x1
	s_load_dword s9, s[4:5], 0x90
	s_load_dwordx2 s[36:37], s[4:5], 0x30
	s_mov_b32 s40, 0
	s_waitcnt lgkmcnt(0)
	s_abs_i32 s3, s9
	s_abs_i32 s0, s36
	v_cvt_f32_u32_e32 v1, s0
	s_sub_i32 s2, 0, s0
	v_rcp_iflag_f32_e32 v1, v1
	v_mul_f32_e32 v1, 0x4f7ffffe, v1
	v_cvt_u32_f32_e32 v1, v1
	v_readfirstlane_b32 s1, v1
	s_mul_i32 s2, s2, s1
	s_mul_hi_u32 s2, s1, s2
	s_add_i32 s1, s1, s2
	s_xor_b32 s2, s9, s36
	s_mul_hi_u32 s1, s3, s1
	s_ashr_i32 s2, s2, 31
	s_mul_i32 s7, s1, s0
	s_sub_i32 s3, s3, s7
	s_add_i32 s7, s1, 1
	s_sub_i32 s10, s3, s0
	s_cmp_ge_u32 s3, s0
	s_cselect_b32 s1, s7, s1
	s_cselect_b32 s3, s10, s3
	s_add_i32 s7, s1, 1
	s_cmp_ge_u32 s3, s0
	s_cselect_b32 s0, s7, s1
	s_xor_b32 s0, s0, s2
	s_sub_i32 s10, s0, s2
	s_load_dwordx2 s[0:1], s[4:5], 0x50
	s_abs_i32 s2, s10
	v_cvt_f32_u32_e32 v1, s2
	s_sub_i32 s3, 0, s2
	v_rcp_iflag_f32_e32 v1, v1
	v_mul_f32_e32 v1, 0x4f7ffffe, v1
	v_cvt_u32_f32_e32 v1, v1
	v_readfirstlane_b32 s7, v1
	s_mul_i32 s3, s3, s7
	s_mul_hi_u32 s11, s7, s3
	s_abs_i32 s3, s6
	s_add_i32 s7, s7, s11
	s_waitcnt lgkmcnt(0)
	s_cmp_eq_u64 s[0:1], 0
	s_mul_hi_u32 s20, s3, s7
	s_cbranch_scc1 .LBB154_3
; %bb.2:
	s_ashr_i32 s7, s6, 31
	s_lshl_b64 s[12:13], s[6:7], 2
	s_add_u32 s0, s0, s12
	s_addc_u32 s1, s1, s13
	s_load_dword s40, s[0:1], 0x0
.LBB154_3:
	s_load_dwordx4 s[12:15], s[4:5], 0x58
	v_lshrrev_b32_e32 v28, 1, v0
	v_and_b32_e32 v29, 1, v0
	v_lshlrev_b32_e32 v3, 3, v0
	s_ashr_i32 s0, s6, 31
	s_ashr_i32 s1, s10, 31
	s_lshl_b32 s10, s6, 6
	s_mov_b32 s7, exec_lo
	v_cmpx_gt_u32_e32 16, v0
	s_cbranch_execz .LBB154_5
; %bb.4:
	s_load_dwordx2 s[16:17], s[4:5], 0x18
	s_waitcnt lgkmcnt(0)
	s_mul_i32 s18, s12, s26
	v_lshlrev_b32_e32 v4, 3, v28
	s_ashr_i32 s19, s18, 31
	s_lshl_b64 s[18:19], s[18:19], 1
	v_lshl_add_u32 v4, v29, 6, v4
	s_add_u32 s12, s16, s18
	s_addc_u32 s15, s17, s19
	s_ashr_i32 s11, s10, 31
	s_lshl_b64 s[16:17], s[10:11], 1
	s_add_u32 s16, s12, s16
	s_addc_u32 s17, s15, s17
	global_load_dwordx2 v[1:2], v3, s[16:17]
	s_waitcnt vmcnt(0)
	ds_write_b64 v4, v[1:2]
.LBB154_5:
	s_or_b32 exec_lo, exec_lo, s7
	s_load_dwordx4 s[16:19], s[4:5], 0x78
	s_mul_i32 s7, s20, s2
	s_xor_b32 s0, s0, s1
	s_sub_i32 s1, s3, s7
	s_add_i32 s3, s20, 1
	s_sub_i32 s7, s1, s2
	s_cmp_ge_u32 s1, s2
                                        ; implicit-def: $sgpr33
	s_cselect_b32 s3, s3, s20
	s_cselect_b32 s1, s7, s1
	s_add_i32 s7, s3, 1
	s_cmp_ge_u32 s1, s2
	s_mov_b32 s20, -1
	s_cselect_b32 s1, s7, s3
	s_load_dword s3, s[4:5], 0x88
	s_xor_b32 s1, s1, s0
	s_add_i32 s7, s27, -1
	s_sub_i32 s1, s1, s0
	s_abs_i32 s2, s7
	s_waitcnt lgkmcnt(0)
	s_abs_i32 s11, s19
	s_barrier
	v_cvt_f32_u32_e32 v1, s11
	s_sub_i32 s0, 0, s11
	buffer_gl0_inv
	v_rcp_iflag_f32_e32 v1, v1
	v_mul_f32_e32 v1, 0x4f7ffffe, v1
	v_cvt_u32_f32_e32 v1, v1
	v_readfirstlane_b32 s12, v1
	s_mul_i32 s0, s0, s12
	s_mul_hi_u32 s0, s12, s0
	s_add_i32 s12, s12, s0
	s_cmp_lt_i32 s3, 0
	s_mul_hi_u32 s0, s2, s12
	s_cbranch_scc0 .LBB154_7
; %bb.6:
	s_mul_i32 s15, s16, s36
	s_mov_b32 s20, 0
	s_add_i32 s15, s1, s15
	s_mul_i32 s15, s15, s3
	s_sub_i32 s33, 1, s15
.LBB154_7:
	s_load_dwordx2 s[28:29], s[4:5], 0x38
	s_ashr_i32 s15, s7, 31
	s_andn2_b32 vcc_lo, exec_lo, s20
	s_ashr_i32 s19, s19, 31
	s_cbranch_vccnz .LBB154_9
; %bb.8:
	s_mul_i32 s7, s9, s16
	s_add_i32 s7, s7, s6
	s_mul_i32 s3, s7, s3
	s_add_i32 s33, s3, 1
.LBB154_9:
	s_clause 0x4
	s_load_dword s3, s[4:5], 0x48
	s_load_dwordx2 s[34:35], s[4:5], 0x28
	s_load_dword s7, s[4:5], 0x98
	s_load_dwordx4 s[20:23], s[4:5], 0x0
	s_load_dwordx2 s[24:25], s[4:5], 0x10
	s_mul_i32 s16, s0, s11
	s_xor_b32 s15, s15, s19
	s_sub_i32 s2, s2, s16
	s_add_i32 s36, s0, 1
	v_lshrrev_b32_e32 v30, 5, v0
	v_mov_b32_e32 v5, 0xff7fffff
	v_mbcnt_lo_u32_b32 v4, -1, 0
	s_mul_i32 s14, s1, s14
	v_lshl_add_u32 v31, v30, 4, s38
	s_waitcnt lgkmcnt(0)
	s_mul_i32 s30, s3, s26
	s_sub_i32 s3, s2, s11
	s_ashr_i32 s31, s30, 31
	s_cmp_ge_u32 s2, s11
	s_cselect_b32 s0, s36, s0
	s_cselect_b32 s2, s3, s2
	s_add_i32 s3, s0, 1
	s_cmp_ge_u32 s2, s11
	s_cselect_b32 s0, s3, s0
	s_add_i32 s2, s27, 15
	s_lshl_b32 s41, s8, 5
	s_ashr_i32 s3, s2, 31
	v_or_b32_e32 v25, s41, v30
	s_lshr_b32 s3, s3, 28
	s_add_i32 s2, s2, s3
	s_add_i32 s3, s41, 32
	s_ashr_i32 s36, s2, 4
	s_xor_b32 s2, s0, s15
	s_min_i32 s16, s3, s36
	v_ashrrev_i32_e32 v26, 31, v25
	v_cmp_gt_i32_e64 s0, s16, v25
	s_sub_i32 s39, s2, s15
	s_and_saveexec_b32 s42, s0
	s_cbranch_execz .LBB154_21
; %bb.10:
	s_load_dwordx2 s[2:3], s[4:5], 0x20
	s_ashr_i32 s15, s14, 31
	s_sub_i32 s4, s39, s17
	s_lshl_b64 s[44:45], s[14:15], 1
	v_bfe_u32 v6, v0, 1, 4
	v_and_b32_e32 v13, 8, v3
	v_lshlrev_b32_e32 v7, 6, v29
	v_cmp_neq_f32_e64 s1, s40, 0
	v_lshl_add_u32 v8, v30, 4, s38
	v_lshlrev_b32_e32 v11, 2, v6
	v_subrev_nc_u32_e32 v14, s27, v6
	v_lshlrev_b32_e32 v17, 4, v6
	v_mov_b32_e32 v9, 0xff7fffff
	v_xor_b32_e32 v10, 1, v4
	v_lshl_or_b32 v15, v30, 6, v11
	v_add_nc_u32_e32 v11, 1, v14
	v_cmp_eq_u32_e32 vcc_lo, 0, v29
	s_waitcnt lgkmcnt(0)
	s_add_u32 s15, s2, s44
	s_addc_u32 s43, s3, s45
	s_abs_i32 s5, s18
	v_cvt_f32_u32_e32 v1, s5
	s_sub_i32 s2, 0, s5
	v_rcp_iflag_f32_e32 v5, v1
	v_lshlrev_b64 v[1:2], 2, v[25:26]
	v_mul_f32_e32 v12, 0x4f7ffffe, v5
	v_mov_b32_e32 v5, 0xff7fffff
	v_cvt_u32_f32_e32 v16, v12
	v_add_nc_u32_e32 v12, 0xa0, v15
	v_add_co_u32 v15, s15, s15, v17
	v_add_co_ci_u32_e64 v17, null, s43, 0, s15
	v_mul_lo_u32 v14, s2, v16
	s_lshl_b64 s[2:3], s[30:31], 2
	s_mov_b32 s15, 0
	s_add_u32 s2, s28, s2
	s_addc_u32 s3, s29, s3
	v_add_co_u32 v1, s2, s2, v1
	v_add_co_ci_u32_e64 v2, null, s3, v2, s2
	v_mul_hi_u32 v18, v16, v14
	v_add_co_u32 v13, s2, v15, v13
	v_add_co_ci_u32_e64 v14, null, 0, v17, s2
	s_mov_b32 s43, s13
	v_add_nc_u32_e32 v15, v16, v18
	v_mov_b32_e32 v16, v25
	s_branch .LBB154_13
.LBB154_11:                             ;   in Loop: Header=BB154_13 Depth=1
	s_or_b32 exec_lo, exec_lo, s44
.LBB154_12:                             ;   in Loop: Header=BB154_13 Depth=1
	s_or_b32 exec_lo, exec_lo, s3
	v_add_nc_u32_e32 v16, 4, v16
	v_add_co_u32 v1, s3, v1, 16
	v_add_co_ci_u32_e64 v2, null, 0, v2, s3
	v_cmp_le_i32_e64 s2, s16, v16
	v_add_nc_u32_e32 v8, 64, v8
	v_add_nc_u32_e32 v12, 0x100, v12
	s_or_b32 s15, s2, s15
	s_andn2_b32 exec_lo, exec_lo, s15
	s_cbranch_execz .LBB154_20
.LBB154_13:                             ; =>This Inner Loop Header: Depth=1
	v_sub_nc_u32_e32 v17, 0, v8
	v_max_i32_e32 v17, v8, v17
	s_waitcnt lgkmcnt(0)
	v_mul_hi_u32 v18, v17, s12
	v_mul_lo_u32 v19, v18, s11
	v_sub_nc_u32_e32 v17, v17, v19
	v_add_nc_u32_e32 v19, 1, v18
	v_subrev_nc_u32_e32 v20, s11, v17
	v_cmp_le_u32_e64 s2, s11, v17
	v_cndmask_b32_e64 v18, v18, v19, s2
	v_cndmask_b32_e64 v17, v17, v20, s2
	v_ashrrev_i32_e32 v19, 31, v8
	v_add_nc_u32_e32 v20, 1, v18
	v_cmp_le_u32_e64 s2, s11, v17
	v_xor_b32_e32 v19, s19, v19
	v_cndmask_b32_e64 v17, v18, v20, s2
	v_xor_b32_e32 v17, v17, v19
	v_sub_nc_u32_e32 v17, v17, v19
	v_add_nc_u32_e32 v18, s33, v17
	v_cmp_ge_i32_e64 s3, s4, v17
	v_sub_nc_u32_e32 v19, 0, v18
	v_max_i32_e32 v19, v18, v19
	v_ashrrev_i32_e32 v18, 31, v18
	v_mul_hi_u32 v20, v19, v15
	v_mul_lo_u32 v20, v20, s5
	v_sub_nc_u32_e32 v19, v19, v20
	v_subrev_nc_u32_e32 v20, s5, v19
	v_cmp_le_u32_e64 s2, s5, v19
	v_cndmask_b32_e64 v19, v19, v20, s2
	v_subrev_nc_u32_e32 v20, s5, v19
	v_cmp_le_u32_e64 s2, s5, v19
	v_cndmask_b32_e64 v19, v19, v20, s2
	v_xor_b32_e32 v19, v19, v18
	v_sub_nc_u32_e32 v18, v19, v18
	v_cmp_ne_u32_e64 s2, 0, v18
	s_and_b32 s2, s2, s3
	s_and_saveexec_b32 s3, s2
	s_xor_b32 s2, exec_lo, s3
	s_cbranch_execz .LBB154_17
; %bb.14:                               ;   in Loop: Header=BB154_13 Depth=1
	s_and_saveexec_b32 s3, vcc_lo
; %bb.15:                               ;   in Loop: Header=BB154_13 Depth=1
	ds_write_b32 v12, v9
; %bb.16:                               ;   in Loop: Header=BB154_13 Depth=1
	s_or_b32 exec_lo, exec_lo, s3
.LBB154_17:                             ;   in Loop: Header=BB154_13 Depth=1
	s_andn2_saveexec_b32 s3, s2
	s_cbranch_execz .LBB154_12
; %bb.18:                               ;   in Loop: Header=BB154_13 Depth=1
	global_load_dword v17, v[1:2], off
	s_waitcnt vmcnt(0)
	v_mad_i64_i32 v[17:18], null, v17, s43, 0
	v_lshlrev_b64 v[17:18], 1, v[17:18]
	v_add_co_u32 v17, s2, v13, v17
	v_add_co_ci_u32_e64 v18, null, v14, v18, s2
	v_cmp_gt_i32_e64 s2, 32, v10
	s_clause 0x7
	global_load_dwordx2 v[40:41], v[17:18], off offset:256
	global_load_dwordx2 v[42:43], v[17:18], off offset:512
	;; [unrolled: 1-line block ×3, first 2 shown]
	global_load_dwordx2 v[46:47], v[17:18], off
	global_load_dwordx2 v[48:49], v[17:18], off offset:1024
	global_load_dwordx2 v[50:51], v[17:18], off offset:1280
	global_load_dwordx2 v[52:53], v[17:18], off offset:1536
	global_load_dwordx2 v[54:55], v[17:18], off offset:1792
	ds_read_b128 v[17:20], v7
	ds_read_b128 v[21:24], v7 offset:16
	ds_read_b128 v[32:35], v7 offset:32
	;; [unrolled: 1-line block ×3, first 2 shown]
	s_waitcnt lgkmcnt(3)
	v_lshlrev_b32_e32 v57, 16, v19
	v_and_b32_e32 v19, 0xffff0000, v19
	v_lshlrev_b32_e32 v27, 16, v17
	v_lshlrev_b32_e32 v58, 16, v20
	v_and_b32_e32 v17, 0xffff0000, v17
	v_lshlrev_b32_e32 v56, 16, v18
	s_waitcnt lgkmcnt(2)
	v_lshlrev_b32_e32 v59, 16, v21
	v_and_b32_e32 v20, 0xffff0000, v20
	v_and_b32_e32 v21, 0xffff0000, v21
	v_lshlrev_b32_e32 v60, 16, v22
	v_lshlrev_b32_e32 v61, 16, v23
	v_and_b32_e32 v18, 0xffff0000, v18
	v_and_b32_e32 v23, 0xffff0000, v23
	v_lshlrev_b32_e32 v62, 16, v24
	s_waitcnt lgkmcnt(1)
	v_lshlrev_b32_e32 v63, 16, v32
	v_and_b32_e32 v22, 0xffff0000, v22
	v_and_b32_e32 v32, 0xffff0000, v32
	v_lshlrev_b32_e32 v64, 16, v33
	v_lshlrev_b32_e32 v65, 16, v34
	v_and_b32_e32 v24, 0xffff0000, v24
	v_and_b32_e32 v34, 0xffff0000, v34
	v_lshlrev_b32_e32 v66, 16, v35
	v_and_b32_e32 v33, 0xffff0000, v33
	s_waitcnt lgkmcnt(0)
	v_lshlrev_b32_e32 v67, 16, v36
	v_and_b32_e32 v36, 0xffff0000, v36
	v_and_b32_e32 v35, 0xffff0000, v35
	v_lshlrev_b32_e32 v68, 16, v37
	v_lshlrev_b32_e32 v69, 16, v38
	v_and_b32_e32 v38, 0xffff0000, v38
	v_lshlrev_b32_e32 v70, 16, v39
	v_and_b32_e32 v37, 0xffff0000, v37
	s_waitcnt vmcnt(7)
	v_lshlrev_b32_e32 v71, 16, v40
	v_and_b32_e32 v40, 0xffff0000, v40
	v_lshlrev_b32_e32 v73, 16, v41
	s_waitcnt vmcnt(4)
	v_lshlrev_b32_e32 v72, 16, v46
	v_and_b32_e32 v46, 0xffff0000, v46
	v_mul_f32_e32 v57, v57, v71
	v_mul_f32_e32 v19, v19, v40
	v_and_b32_e32 v41, 0xffff0000, v41
	v_lshlrev_b32_e32 v74, 16, v47
	v_lshlrev_b32_e32 v75, 16, v42
	v_and_b32_e32 v42, 0xffff0000, v42
	v_mul_f32_e32 v58, v58, v73
	v_fmac_f32_e32 v57, v27, v72
	v_fmac_f32_e32 v19, v17, v46
	v_and_b32_e32 v47, 0xffff0000, v47
	v_lshlrev_b32_e32 v76, 16, v43
	v_lshlrev_b32_e32 v77, 16, v44
	v_and_b32_e32 v44, 0xffff0000, v44
	v_mul_f32_e32 v20, v20, v41
	v_fmac_f32_e32 v58, v56, v74
	v_fmac_f32_e32 v57, v59, v75
	;; [unrolled: 1-line block ×3, first 2 shown]
	v_and_b32_e32 v43, 0xffff0000, v43
	v_lshlrev_b32_e32 v78, 16, v45
	s_waitcnt vmcnt(3)
	v_lshlrev_b32_e32 v79, 16, v48
	v_and_b32_e32 v48, 0xffff0000, v48
	v_fmac_f32_e32 v20, v18, v47
	v_fmac_f32_e32 v58, v60, v76
	;; [unrolled: 1-line block ×4, first 2 shown]
	v_and_b32_e32 v45, 0xffff0000, v45
	v_lshlrev_b32_e32 v80, 16, v49
	s_waitcnt vmcnt(2)
	v_lshlrev_b32_e32 v81, 16, v50
	v_and_b32_e32 v50, 0xffff0000, v50
	v_fmac_f32_e32 v20, v22, v43
	v_fmac_f32_e32 v58, v62, v78
	v_fmac_f32_e32 v57, v63, v79
	v_fmac_f32_e32 v19, v32, v48
	v_and_b32_e32 v49, 0xffff0000, v49
	v_lshlrev_b32_e32 v82, 16, v51
	v_and_b32_e32 v40, 0xffff0000, v51
	s_waitcnt vmcnt(1)
	v_lshlrev_b32_e32 v51, 16, v52
	v_and_b32_e32 v17, 0xffff0000, v52
	v_fmac_f32_e32 v20, v24, v45
	v_fmac_f32_e32 v58, v64, v80
	;; [unrolled: 1-line block ×4, first 2 shown]
	v_lshlrev_b32_e32 v21, 16, v53
	s_waitcnt vmcnt(0)
	v_lshlrev_b32_e32 v22, 16, v54
	v_and_b32_e32 v23, 0xffff0000, v54
	v_fmac_f32_e32 v20, v33, v49
	v_fmac_f32_e32 v58, v66, v82
	;; [unrolled: 1-line block ×4, first 2 shown]
	v_and_b32_e32 v18, 0xffff0000, v53
	v_lshlrev_b32_e32 v17, 16, v55
	v_fmac_f32_e32 v20, v35, v40
	v_fmac_f32_e32 v58, v68, v21
	v_fmac_f32_e32 v57, v69, v22
	v_fmac_f32_e32 v19, v38, v23
	v_and_b32_e32 v21, 0xffff0000, v39
	v_fmac_f32_e32 v20, v37, v18
	v_and_b32_e32 v18, 0xffff0000, v55
	v_fmac_f32_e32 v58, v70, v17
	v_add_f32_e32 v17, v57, v19
	v_cndmask_b32_e64 v19, v4, v10, s2
	v_fmac_f32_e32 v20, v21, v18
	v_add_f32_e32 v17, v17, v58
	v_lshlrev_b32_e32 v18, 2, v19
	v_add_f32_e32 v17, v20, v17
	ds_bpermute_b32 v18, v18, v17
	s_and_saveexec_b32 s44, vcc_lo
	s_cbranch_execz .LBB154_11
; %bb.19:                               ;   in Loop: Header=BB154_13 Depth=1
	v_add_nc_u32_e32 v19, v11, v8
	s_waitcnt lgkmcnt(0)
	v_add_f32_e32 v17, v17, v18
	v_cvt_f32_i32_e32 v19, v19
	v_mul_f32_e32 v19, s40, v19
	v_cndmask_b32_e64 v18, 0, v19, s1
	v_max_f32_e32 v19, v5, v5
	v_fmac_f32_e32 v18, s37, v17
	v_add_nc_u32_e32 v17, v6, v8
	v_max_f32_e32 v19, v19, v18
	v_cmp_gt_i32_e64 s2, s27, v17
	v_cndmask_b32_e64 v17, 0, v18, s2
	v_cndmask_b32_e64 v5, v5, v19, s2
	ds_write_b32 v12, v17
	s_branch .LBB154_11
.LBB154_20:
	s_or_b32 exec_lo, exec_lo, s15
.LBB154_21:
	s_or_b32 exec_lo, exec_lo, s42
	v_xor_b32_e32 v1, 16, v4
	v_xor_b32_e32 v2, 8, v4
	v_max_f32_e32 v7, v5, v5
	v_xor_b32_e32 v8, 2, v4
	v_and_b32_e32 v32, 31, v0
	v_cmp_gt_i32_e32 vcc_lo, 32, v1
	v_cndmask_b32_e32 v1, v4, v1, vcc_lo
	v_cmp_gt_i32_e32 vcc_lo, 32, v2
	v_lshlrev_b32_e32 v6, 2, v1
	v_cndmask_b32_e32 v2, v4, v2, vcc_lo
	ds_bpermute_b32 v1, v6, v5
	v_lshlrev_b32_e32 v5, 2, v2
	s_waitcnt lgkmcnt(0)
	v_max_f32_e32 v1, v1, v1
	v_max_f32_e32 v1, v7, v1
	v_xor_b32_e32 v7, 4, v4
	ds_bpermute_b32 v2, v5, v1
	v_cmp_gt_i32_e32 vcc_lo, 32, v7
	v_cndmask_b32_e32 v7, v4, v7, vcc_lo
	v_cmp_gt_i32_e32 vcc_lo, 32, v8
	v_lshlrev_b32_e32 v7, 2, v7
	v_cndmask_b32_e32 v8, v4, v8, vcc_lo
	v_cmp_eq_u32_e32 vcc_lo, 0, v32
	s_waitcnt lgkmcnt(0)
	v_max_f32_e32 v2, v2, v2
	v_max_f32_e32 v1, v1, v2
	ds_bpermute_b32 v2, v7, v1
	s_waitcnt lgkmcnt(0)
	v_max_f32_e32 v2, v2, v2
	v_max_f32_e32 v1, v1, v2
	v_lshlrev_b32_e32 v2, 2, v8
	v_lshlrev_b32_e32 v8, 2, v30
	ds_bpermute_b32 v9, v2, v1
	s_and_saveexec_b32 s1, vcc_lo
	s_cbranch_execz .LBB154_23
; %bb.22:
	s_waitcnt lgkmcnt(0)
	v_max_f32_e32 v9, v9, v9
	v_max_f32_e32 v1, v1, v1
	;; [unrolled: 1-line block ×3, first 2 shown]
	ds_write_b32 v8, v1 offset:128
.LBB154_23:
	s_or_b32 exec_lo, exec_lo, s1
	v_cmp_gt_u32_e64 s1, 4, v32
	v_mov_b32_e32 v1, 0xff7fffff
	s_waitcnt lgkmcnt(0)
	v_lshlrev_b32_e32 v9, 2, v32
	s_barrier
	buffer_gl0_inv
	s_and_saveexec_b32 s2, s1
; %bb.24:
	ds_read_b32 v1, v9 offset:128
; %bb.25:
	s_or_b32 exec_lo, exec_lo, s2
	s_waitcnt lgkmcnt(0)
	ds_bpermute_b32 v10, v2, v1
	v_xor_b32_e32 v11, 1, v4
	v_max_f32_e32 v1, v1, v1
	v_cmp_gt_i32_e64 s2, 32, v11
	v_cndmask_b32_e64 v4, v4, v11, s2
	s_sub_i32 s2, s16, s41
	s_lshl_b32 s2, s2, 4
	v_lshlrev_b32_e32 v33, 2, v4
	s_add_i32 s2, s2, s38
	s_min_i32 s2, s2, s27
	s_waitcnt lgkmcnt(0)
	v_max_f32_e32 v10, v10, v10
	s_sub_i32 s4, s2, s38
	v_cmp_gt_i32_e64 s2, s4, v0
	v_max_f32_e32 v1, v1, v10
	v_mov_b32_e32 v10, 0
	ds_bpermute_b32 v4, v33, v1
	s_waitcnt lgkmcnt(0)
	v_max_f32_e32 v4, v4, v4
	v_max_f32_e32 v1, v1, v4
	v_lshl_add_u32 v4, v0, 2, 0xa0
	ds_bpermute_b32 v1, v10, v1
	s_and_saveexec_b32 s5, s2
	s_cbranch_execz .LBB154_29
; %bb.26:
	v_lshl_add_u32 v11, v0, 2, 0xa0
	v_mov_b32_e32 v10, 0
	v_mov_b32_e32 v12, v0
	s_mov_b32 s15, 0
	.p2align	6
.LBB154_27:                             ; =>This Inner Loop Header: Depth=1
	ds_read_b32 v13, v11
	v_add_nc_u32_e32 v12, 0x80, v12
	v_cmp_le_i32_e64 s3, s4, v12
	s_or_b32 s15, s3, s15
	s_waitcnt lgkmcnt(0)
	v_sub_f32_e32 v13, v13, v1
	v_mul_f32_e32 v13, 0x3fb8aa3b, v13
	v_exp_f32_e32 v13, v13
	ds_write_b32 v11, v13
	v_add_f32_e32 v10, v10, v13
	v_add_nc_u32_e32 v11, 0x200, v11
	s_andn2_b32 exec_lo, exec_lo, s15
	s_cbranch_execnz .LBB154_27
; %bb.28:
	s_or_b32 exec_lo, exec_lo, s15
.LBB154_29:
	s_or_b32 exec_lo, exec_lo, s5
	ds_bpermute_b32 v6, v6, v10
	s_waitcnt lgkmcnt(0)
	v_add_f32_e32 v6, v10, v6
	ds_bpermute_b32 v5, v5, v6
	s_waitcnt lgkmcnt(0)
	v_add_f32_e32 v5, v6, v5
	;; [unrolled: 3-line block ×5, first 2 shown]
	s_and_saveexec_b32 s3, vcc_lo
; %bb.30:
	ds_write_b32 v8, v5 offset:144
; %bb.31:
	s_or_b32 exec_lo, exec_lo, s3
	s_waitcnt lgkmcnt(0)
	s_barrier
	buffer_gl0_inv
	s_and_saveexec_b32 s3, s1
; %bb.32:
	ds_read_b32 v5, v9 offset:144
; %bb.33:
	s_or_b32 exec_lo, exec_lo, s3
	s_waitcnt lgkmcnt(0)
	ds_bpermute_b32 v2, v2, v5
	s_waitcnt lgkmcnt(0)
	v_add_f32_e32 v2, v5, v2
	ds_bpermute_b32 v5, v33, v2
	s_waitcnt lgkmcnt(0)
	v_add_f32_e32 v2, v2, v5
	v_mov_b32_e32 v5, 0
	ds_bpermute_b32 v2, v5, v2
	s_and_saveexec_b32 s1, s2
	s_cbranch_execz .LBB154_36
; %bb.34:
	s_waitcnt lgkmcnt(0)
	v_add_f32_e32 v5, 0x358637bd, v2
	s_mov_b32 s2, 0
	v_div_scale_f32 v6, null, v5, v5, 1.0
	v_div_scale_f32 v9, vcc_lo, 1.0, v5, 1.0
	v_rcp_f32_e32 v7, v6
	v_fma_f32 v8, -v6, v7, 1.0
	v_fmac_f32_e32 v7, v8, v7
	v_mul_f32_e32 v8, v9, v7
	v_fma_f32 v10, -v6, v8, v9
	v_fmac_f32_e32 v8, v10, v7
	v_fma_f32 v6, -v6, v8, v9
	v_div_fmas_f32 v6, v6, v7, v8
	v_div_fixup_f32 v5, v6, v5, 1.0
	v_mov_b32_e32 v6, v0
.LBB154_35:                             ; =>This Inner Loop Header: Depth=1
	ds_read_b32 v7, v4
	v_add_nc_u32_e32 v6, 0x80, v6
	v_cmp_le_i32_e32 vcc_lo, s4, v6
	s_or_b32 s2, vcc_lo, s2
	s_waitcnt lgkmcnt(0)
	v_mul_f32_e32 v7, v5, v7
	ds_write_b32 v4, v7
	v_add_nc_u32_e32 v4, 0x200, v4
	s_andn2_b32 exec_lo, exec_lo, s2
	s_cbranch_execnz .LBB154_35
.LBB154_36:
	s_or_b32 exec_lo, exec_lo, s1
	s_mul_i32 s1, s7, s26
	s_waitcnt lgkmcnt(0)
	s_mul_i32 s4, s1, s9
	s_mov_b32 s1, exec_lo
	s_barrier
	buffer_gl0_inv
	v_cmpx_eq_u32_e32 0, v0
	s_cbranch_execz .LBB154_38
; %bb.37:
	s_ashr_i32 s5, s4, 31
	s_mul_i32 s40, s7, s6
	s_lshl_b64 s[2:3], s[4:5], 2
	v_mov_b32_e32 v4, 0
	s_add_u32 s5, s22, s2
	s_addc_u32 s6, s23, s3
	s_ashr_i32 s41, s40, 31
	s_lshl_b64 s[22:23], s[40:41], 2
	s_add_u32 s5, s5, s22
	s_addc_u32 s6, s6, s23
	s_ashr_i32 s9, s8, 31
	s_lshl_b64 s[40:41], s[8:9], 2
	s_add_u32 s42, s5, s40
	s_addc_u32 s43, s6, s41
	s_add_u32 s2, s20, s2
	s_addc_u32 s3, s21, s3
	;; [unrolled: 2-line block ×4, first 2 shown]
	global_store_dword v4, v1, s[42:43]
	global_store_dword v4, v2, s[2:3]
.LBB154_38:
	s_or_b32 exec_lo, exec_lo, s1
	v_mov_b32_e32 v39, 0
	v_mov_b32_e32 v36, 0
	;; [unrolled: 1-line block ×4, first 2 shown]
	s_and_saveexec_b32 s3, s0
	s_cbranch_execz .LBB154_52
; %bb.39:
	s_ashr_i32 s15, s14, 31
	s_sub_i32 s5, s39, s17
	s_lshl_b64 s[0:1], s[14:15], 1
	v_and_b32_e32 v37, 8, v3
	s_add_u32 s2, s34, s0
	s_addc_u32 s14, s35, s1
	s_abs_i32 s6, s18
	v_lshlrev_b32_e32 v3, 4, v0
	v_cvt_f32_u32_e32 v1, s6
	s_sub_i32 s0, 0, s6
	v_lshlrev_b32_e32 v5, 5, v29
	s_add_i32 s9, s36, -1
	v_and_b32_e32 v3, 0x1f0, v3
	v_rcp_iflag_f32_e32 v1, v1
	v_mov_b32_e32 v38, 0
	v_lshl_or_b32 v5, v30, 6, v5
	v_mov_b32_e32 v34, 0
	v_add_co_u32 v40, s2, s2, v3
	v_mov_b32_e32 v35, 0
	v_mov_b32_e32 v36, 0
	v_add_co_ci_u32_e64 v41, null, s14, 0, s2
	v_mul_f32_e32 v4, 0x4f7ffffe, v1
	v_lshlrev_b64 v[1:2], 2, v[25:26]
	v_add_nc_u32_e32 v42, 0xa0, v5
	v_mov_b32_e32 v39, 0
	s_mov_b32 s15, s27
	v_cvt_u32_f32_e32 v4, v4
	s_mov_b32 s14, 0
	v_mul_lo_u32 v6, s0, v4
	s_lshl_b64 s[0:1], s[30:31], 2
	s_add_u32 s0, s28, s0
	s_addc_u32 s1, s29, s1
	v_add_co_u32 v26, vcc_lo, s0, v1
	v_add_co_ci_u32_e64 v27, null, s1, v2, vcc_lo
	v_mul_hi_u32 v6, v4, v6
	v_add_nc_u32_e32 v43, v4, v6
	s_branch .LBB154_42
.LBB154_40:                             ;   in Loop: Header=BB154_42 Depth=1
	s_or_b32 exec_lo, exec_lo, s2
	s_waitcnt lgkmcnt(1)
	v_bfe_u32 v44, v17, 16, 1
	v_bfe_u32 v45, v18, 16, 1
	v_or_b32_e32 v46, 0x400000, v17
	v_cmp_u_f32_e32 vcc_lo, v17, v17
	v_or_b32_e32 v47, 0x400000, v18
	v_add3_u32 v44, v44, v17, 0x7fff
	v_bfe_u32 v48, v19, 16, 1
	v_add3_u32 v45, v45, v18, 0x7fff
	v_bfe_u32 v49, v20, 16, 1
	s_waitcnt vmcnt(1)
	v_and_b32_e32 v51, 0xffff0000, v24
	v_cndmask_b32_e32 v17, v44, v46, vcc_lo
	v_cmp_u_f32_e32 vcc_lo, v18, v18
	v_add3_u32 v44, v48, v19, 0x7fff
	v_add3_u32 v46, v49, v20, 0x7fff
	s_waitcnt lgkmcnt(0)
	v_bfe_u32 v48, v13, 16, 1
	v_and_b32_e32 v17, 0xffff0000, v17
	v_cndmask_b32_e32 v18, v45, v47, vcc_lo
	v_or_b32_e32 v45, 0x400000, v19
	v_cmp_u_f32_e32 vcc_lo, v19, v19
	v_or_b32_e32 v47, 0x400000, v20
	v_lshlrev_b32_e32 v24, 16, v24
	v_cndmask_b32_e32 v19, v44, v45, vcc_lo
	v_cmp_u_f32_e32 vcc_lo, v20, v20
	v_bfe_u32 v44, v14, 16, 1
	v_add3_u32 v45, v48, v13, 0x7fff
	v_bfe_u32 v48, v15, 16, 1
	v_cndmask_b32_e32 v20, v46, v47, vcc_lo
	v_or_b32_e32 v46, 0x400000, v13
	v_cmp_u_f32_e32 vcc_lo, v13, v13
	v_add3_u32 v44, v44, v14, 0x7fff
	v_or_b32_e32 v47, 0x400000, v14
	v_and_b32_e32 v13, 0xffff0000, v18
	v_and_b32_e32 v18, 0xffff0000, v21
	v_cndmask_b32_e32 v45, v45, v46, vcc_lo
	v_cmp_u_f32_e32 vcc_lo, v14, v14
	v_add3_u32 v14, v48, v15, 0x7fff
	v_bfe_u32 v46, v16, 16, 1
	v_lshlrev_b32_e32 v21, 16, v21
	v_mul_f32_e32 v18, v13, v18
	v_cndmask_b32_e32 v44, v44, v47, vcc_lo
	v_or_b32_e32 v47, 0x400000, v15
	v_cmp_u_f32_e32 vcc_lo, v15, v15
	v_add3_u32 v46, v46, v16, 0x7fff
	v_or_b32_e32 v48, 0x400000, v16
	v_mul_f32_e32 v21, v17, v21
	v_bfe_u32 v15, v18, 16, 1
	v_cndmask_b32_e32 v47, v14, v47, vcc_lo
	v_cmp_u_f32_e32 vcc_lo, v16, v16
	v_and_b32_e32 v14, 0xffff0000, v20
	v_and_b32_e32 v20, 0xffff0000, v22
	v_add3_u32 v15, v15, v18, 0x7fff
	v_or_b32_e32 v49, 0x400000, v21
	v_cndmask_b32_e32 v16, v46, v48, vcc_lo
	v_bfe_u32 v46, v21, 16, 1
	v_or_b32_e32 v48, 0x400000, v18
	v_cmp_u_f32_e32 vcc_lo, v18, v18
	v_mul_f32_e32 v50, v14, v20
	v_and_b32_e32 v20, 0xffff0000, v19
	v_add3_u32 v46, v46, v21, 0x7fff
	v_lshlrev_b32_e32 v19, 16, v22
	v_cndmask_b32_e32 v22, v15, v48, vcc_lo
	v_cmp_u_f32_e32 vcc_lo, v21, v21
	v_and_b32_e32 v15, 0xffff0000, v44
	v_and_b32_e32 v44, 0xffff0000, v23
	v_mul_f32_e32 v19, v20, v19
	v_and_b32_e32 v18, 0xffff0000, v45
	v_cndmask_b32_e32 v21, v46, v49, vcc_lo
	v_bfe_u32 v46, v50, 16, 1
	v_lshlrev_b32_e32 v23, 16, v23
	v_bfe_u32 v48, v19, 16, 1
	v_mul_f32_e32 v44, v15, v44
	v_cmp_u_f32_e32 vcc_lo, v50, v50
	v_add3_u32 v45, v46, v50, 0x7fff
	v_or_b32_e32 v46, 0x400000, v50
	v_mul_f32_e32 v23, v18, v23
	v_bfe_u32 v49, v44, 16, 1
	v_and_b32_e32 v16, 0xffff0000, v16
	v_and_b32_e32 v21, 0xffff0000, v21
	v_cndmask_b32_e32 v45, v45, v46, vcc_lo
	v_add3_u32 v46, v48, v19, 0x7fff
	v_or_b32_e32 v48, 0x400000, v19
	v_cmp_u_f32_e32 vcc_lo, v19, v19
	v_bfe_u32 v50, v23, 16, 1
	v_mul_f32_e32 v51, v16, v51
	v_and_b32_e32 v19, 0xffff0000, v47
	v_or_b32_e32 v47, 0x400000, v23
	v_cndmask_b32_e32 v46, v46, v48, vcc_lo
	v_add3_u32 v48, v49, v44, 0x7fff
	v_or_b32_e32 v49, 0x400000, v44
	v_cmp_u_f32_e32 vcc_lo, v44, v44
	v_add3_u32 v50, v50, v23, 0x7fff
	v_bfe_u32 v52, v51, 16, 1
	v_mul_f32_e32 v24, v19, v24
	v_and_b32_e32 v22, 0xffff0000, v22
	v_cndmask_b32_e32 v44, v48, v49, vcc_lo
	v_cmp_u_f32_e32 vcc_lo, v23, v23
	v_or_b32_e32 v48, 0x400000, v51
	v_bfe_u32 v49, v24, 16, 1
	v_and_b32_e32 v46, 0xffff0000, v46
	v_and_b32_e32 v45, 0xffff0000, v45
	v_cndmask_b32_e32 v23, v50, v47, vcc_lo
	v_add3_u32 v47, v52, v51, 0x7fff
	v_cmp_u_f32_e32 vcc_lo, v51, v51
	v_add_f32_e32 v21, v21, v22
	v_add_f32_e32 v22, v46, v45
	v_and_b32_e32 v23, 0xffff0000, v23
	v_and_b32_e32 v44, 0xffff0000, v44
	v_cndmask_b32_e32 v47, v47, v48, vcc_lo
	v_add3_u32 v48, v49, v24, 0x7fff
	v_or_b32_e32 v49, 0x400000, v24
	v_and_b32_e32 v45, 0xffff0000, v9
	v_cmp_u_f32_e32 vcc_lo, v24, v24
	v_lshlrev_b32_e32 v9, 16, v9
	v_add_f32_e32 v21, v22, v21
	v_add_f32_e32 v22, v23, v44
	v_mul_f32_e32 v23, v13, v45
	v_cndmask_b32_e32 v24, v48, v49, vcc_lo
	v_mul_f32_e32 v44, v17, v9
	v_and_b32_e32 v45, 0xffff0000, v47
	v_and_b32_e32 v46, 0xffff0000, v10
	v_bfe_u32 v47, v23, 16, 1
	v_and_b32_e32 v24, 0xffff0000, v24
	v_add_f32_e32 v9, v22, v21
	v_bfe_u32 v22, v44, 16, 1
	v_cmp_u_f32_e32 vcc_lo, v23, v23
	v_lshlrev_b32_e32 v10, 16, v10
	v_add_f32_e32 v21, v24, v45
	v_mul_f32_e32 v24, v14, v46
	v_add3_u32 v45, v47, v23, 0x7fff
	v_or_b32_e32 v46, 0x400000, v23
	v_add3_u32 v22, v22, v44, 0x7fff
	v_or_b32_e32 v47, 0x400000, v44
	v_bfe_u32 v48, v24, 16, 1
	v_mul_f32_e32 v10, v20, v10
	v_cndmask_b32_e32 v23, v45, v46, vcc_lo
	v_cmp_u_f32_e32 vcc_lo, v44, v44
	v_or_b32_e32 v45, 0x400000, v24
	v_add3_u32 v44, v48, v24, 0x7fff
	v_and_b32_e32 v46, 0xffff0000, v11
	v_lshlrev_b32_e32 v11, 16, v11
	v_cndmask_b32_e32 v22, v22, v47, vcc_lo
	v_cmp_u_f32_e32 vcc_lo, v24, v24
	v_bfe_u32 v47, v10, 16, 1
	v_and_b32_e32 v23, 0xffff0000, v23
	v_mul_f32_e32 v11, v18, v11
	v_and_b32_e32 v22, 0xffff0000, v22
	v_cndmask_b32_e32 v24, v44, v45, vcc_lo
	v_mul_f32_e32 v44, v15, v46
	v_add3_u32 v45, v47, v10, 0x7fff
	v_or_b32_e32 v46, 0x400000, v10
	v_and_b32_e32 v47, 0xffff0000, v12
	v_cmp_u_f32_e32 vcc_lo, v10, v10
	v_bfe_u32 v48, v44, 16, 1
	v_bfe_u32 v49, v11, 16, 1
	v_lshlrev_b32_e32 v12, 16, v12
	v_and_b32_e32 v24, 0xffff0000, v24
	v_cndmask_b32_e32 v10, v45, v46, vcc_lo
	v_mul_f32_e32 v45, v16, v47
	v_add3_u32 v46, v48, v44, 0x7fff
	v_or_b32_e32 v47, 0x400000, v44
	v_cmp_u_f32_e32 vcc_lo, v44, v44
	v_add3_u32 v48, v49, v11, 0x7fff
	v_or_b32_e32 v49, 0x400000, v11
	v_bfe_u32 v50, v45, 16, 1
	v_and_b32_e32 v10, 0xffff0000, v10
	v_cndmask_b32_e32 v44, v46, v47, vcc_lo
	v_cmp_u_f32_e32 vcc_lo, v11, v11
	v_or_b32_e32 v47, 0x400000, v45
	v_add3_u32 v46, v50, v45, 0x7fff
	v_mul_f32_e32 v12, v19, v12
	v_add_f32_e32 v22, v22, v23
	v_cndmask_b32_e32 v11, v48, v49, vcc_lo
	v_cmp_u_f32_e32 vcc_lo, v45, v45
	v_add_f32_e32 v10, v10, v24
	v_and_b32_e32 v23, 0xffff0000, v1
	v_and_b32_e32 v24, 0xffff0000, v44
	;; [unrolled: 1-line block ×3, first 2 shown]
	v_cndmask_b32_e32 v45, v46, v47, vcc_lo
	v_bfe_u32 v46, v12, 16, 1
	v_add_f32_e32 v10, v10, v22
	v_mul_f32_e32 v22, v13, v23
	v_add_f32_e32 v11, v11, v24
	v_lshlrev_b32_e32 v1, 16, v1
	v_add3_u32 v44, v46, v12, 0x7fff
	v_or_b32_e32 v46, 0x400000, v12
	v_cmp_u_f32_e32 vcc_lo, v12, v12
	v_bfe_u32 v23, v22, 16, 1
	v_add_f32_e32 v10, v11, v10
	v_and_b32_e32 v11, 0xffff0000, v2
	v_mul_f32_e32 v1, v17, v1
	v_cndmask_b32_e32 v12, v44, v46, vcc_lo
	v_add3_u32 v23, v23, v22, 0x7fff
	v_or_b32_e32 v24, 0x400000, v22
	v_mul_f32_e32 v11, v14, v11
	v_and_b32_e32 v44, 0xffff0000, v45
	v_bfe_u32 v45, v1, 16, 1
	v_cmp_u_f32_e32 vcc_lo, v22, v22
	v_lshlrev_b32_e32 v2, 16, v2
	v_or_b32_e32 v46, 0x400000, v1
	v_or_b32_e32 v47, 0x400000, v11
	v_and_b32_e32 v12, 0xffff0000, v12
	v_cndmask_b32_e32 v22, v23, v24, vcc_lo
	v_bfe_u32 v23, v11, 16, 1
	v_add3_u32 v24, v45, v1, 0x7fff
	v_and_b32_e32 v45, 0xffff0000, v3
	v_mul_f32_e32 v2, v20, v2
	v_cmp_u_f32_e32 vcc_lo, v1, v1
	v_add3_u32 v23, v23, v11, 0x7fff
	v_lshlrev_b32_e32 v3, 16, v3
	v_mul_f32_e32 v45, v15, v45
	v_and_b32_e32 v22, 0xffff0000, v22
	v_cndmask_b32_e32 v1, v24, v46, vcc_lo
	v_bfe_u32 v24, v2, 16, 1
	v_cmp_u_f32_e32 vcc_lo, v11, v11
	v_and_b32_e32 v46, 0xffff0000, v4
	v_mul_f32_e32 v3, v18, v3
	v_or_b32_e32 v48, 0x400000, v45
	v_add3_u32 v24, v24, v2, 0x7fff
	v_cndmask_b32_e32 v11, v23, v47, vcc_lo
	v_bfe_u32 v23, v45, 16, 1
	v_or_b32_e32 v47, 0x400000, v2
	v_cmp_u_f32_e32 vcc_lo, v2, v2
	v_mul_f32_e32 v46, v16, v46
	v_lshlrev_b32_e32 v4, 16, v4
	v_add3_u32 v23, v23, v45, 0x7fff
	v_and_b32_e32 v1, 0xffff0000, v1
	v_cndmask_b32_e32 v2, v24, v47, vcc_lo
	v_bfe_u32 v24, v3, 16, 1
	v_cmp_u_f32_e32 vcc_lo, v45, v45
	v_bfe_u32 v47, v46, 16, 1
	v_or_b32_e32 v45, 0x400000, v3
	v_mul_f32_e32 v4, v19, v4
	v_add3_u32 v24, v24, v3, 0x7fff
	v_cndmask_b32_e32 v23, v23, v48, vcc_lo
	v_cmp_u_f32_e32 vcc_lo, v3, v3
	v_add3_u32 v47, v47, v46, 0x7fff
	v_or_b32_e32 v48, 0x400000, v46
	v_and_b32_e32 v2, 0xffff0000, v2
	v_and_b32_e32 v11, 0xffff0000, v11
	v_cndmask_b32_e32 v3, v24, v45, vcc_lo
	v_cmp_u_f32_e32 vcc_lo, v46, v46
	v_bfe_u32 v45, v4, 16, 1
	v_add_f32_e32 v1, v1, v22
	v_add_f32_e32 v2, v2, v11
	v_and_b32_e32 v3, 0xffff0000, v3
	v_cndmask_b32_e32 v24, v47, v48, vcc_lo
	s_waitcnt vmcnt(0)
	v_lshlrev_b32_e32 v47, 16, v5
	v_and_b32_e32 v11, 0xffff0000, v23
	v_and_b32_e32 v5, 0xffff0000, v5
	v_add3_u32 v45, v45, v4, 0x7fff
	v_or_b32_e32 v46, 0x400000, v4
	v_mul_f32_e32 v17, v17, v47
	v_cmp_u_f32_e32 vcc_lo, v4, v4
	v_add_f32_e32 v1, v2, v1
	v_add_f32_e32 v3, v3, v11
	v_mul_f32_e32 v5, v13, v5
	v_bfe_u32 v2, v17, 16, 1
	v_lshlrev_b32_e32 v11, 16, v6
	v_cndmask_b32_e32 v4, v45, v46, vcc_lo
	v_or_b32_e32 v13, 0x400000, v17
	v_bfe_u32 v22, v5, 16, 1
	v_add3_u32 v2, v2, v17, 0x7fff
	v_mul_f32_e32 v11, v20, v11
	v_and_b32_e32 v6, 0xffff0000, v6
	v_cmp_u_f32_e32 vcc_lo, v17, v17
	v_or_b32_e32 v17, 0x400000, v5
	v_and_b32_e32 v4, 0xffff0000, v4
	v_bfe_u32 v20, v11, 16, 1
	v_mul_f32_e32 v6, v14, v6
	v_cndmask_b32_e32 v2, v2, v13, vcc_lo
	v_add3_u32 v13, v22, v5, 0x7fff
	v_lshlrev_b32_e32 v14, 16, v7
	v_cmp_u_f32_e32 vcc_lo, v5, v5
	v_and_b32_e32 v7, 0xffff0000, v7
	v_and_b32_e32 v2, 0xffff0000, v2
	v_add_f32_e32 v1, v3, v1
	v_mul_f32_e32 v14, v18, v14
	v_cndmask_b32_e32 v5, v13, v17, vcc_lo
	v_add3_u32 v13, v20, v11, 0x7fff
	v_or_b32_e32 v17, 0x400000, v11
	v_bfe_u32 v20, v6, 16, 1
	v_cmp_u_f32_e32 vcc_lo, v11, v11
	v_bfe_u32 v18, v14, 16, 1
	v_mul_f32_e32 v7, v15, v7
	v_lshlrev_b32_e32 v15, 16, v8
	v_and_b32_e32 v8, 0xffff0000, v8
	v_cndmask_b32_e32 v11, v13, v17, vcc_lo
	v_add3_u32 v13, v20, v6, 0x7fff
	v_or_b32_e32 v17, 0x400000, v6
	v_cmp_u_f32_e32 vcc_lo, v6, v6
	v_mul_f32_e32 v8, v16, v8
	v_or_b32_e32 v16, 0x400000, v14
	v_mul_f32_e32 v15, v19, v15
	v_and_b32_e32 v5, 0xffff0000, v5
	v_cndmask_b32_e32 v6, v13, v17, vcc_lo
	v_bfe_u32 v13, v7, 16, 1
	v_add3_u32 v17, v18, v14, 0x7fff
	v_cmp_u_f32_e32 vcc_lo, v14, v14
	v_or_b32_e32 v18, 0x400000, v7
	v_bfe_u32 v20, v8, 16, 1
	v_add3_u32 v13, v13, v7, 0x7fff
	v_bfe_u32 v19, v15, 16, 1
	v_cndmask_b32_e32 v14, v17, v16, vcc_lo
	v_cmp_u_f32_e32 vcc_lo, v7, v7
	v_add3_u32 v16, v20, v8, 0x7fff
	v_or_b32_e32 v17, 0x400000, v8
	v_and_b32_e32 v6, 0xffff0000, v6
	v_and_b32_e32 v11, 0xffff0000, v11
	v_cndmask_b32_e32 v7, v13, v18, vcc_lo
	v_cmp_u_f32_e32 vcc_lo, v8, v8
	v_add3_u32 v13, v19, v15, 0x7fff
	v_or_b32_e32 v18, 0x400000, v15
	v_add_f32_e32 v2, v2, v5
	v_add_f32_e32 v5, v11, v6
	v_cndmask_b32_e32 v8, v16, v17, vcc_lo
	v_cmp_u_f32_e32 vcc_lo, v15, v15
	v_and_b32_e32 v6, 0xffff0000, v7
	v_and_b32_e32 v7, 0xffff0000, v14
	v_add_f32_e32 v2, v5, v2
	v_cndmask_b32_e32 v11, v13, v18, vcc_lo
	v_and_b32_e32 v13, 0xffff0000, v24
	v_add_f32_e32 v5, v7, v6
	v_and_b32_e32 v6, 0xffff0000, v8
	v_add_f32_e32 v8, v12, v44
	;; [unrolled: 2-line block ×3, first 2 shown]
	v_add_f32_e32 v2, v5, v2
	v_add_f32_e32 v5, v21, v9
	;; [unrolled: 1-line block ×10, first 2 shown]
.LBB154_41:                             ;   in Loop: Header=BB154_42 Depth=1
	s_or_b32 exec_lo, exec_lo, s17
	v_add_nc_u32_e32 v25, 4, v25
	v_add_co_u32 v26, s0, v26, 16
	v_add_co_ci_u32_e64 v27, null, 0, v27, s0
	v_cmp_le_i32_e32 vcc_lo, s16, v25
	v_add_nc_u32_e32 v31, 64, v31
	v_add_nc_u32_e32 v42, 0x100, v42
	s_or_b32 s14, vcc_lo, s14
	s_andn2_b32 exec_lo, exec_lo, s14
	s_cbranch_execz .LBB154_51
.LBB154_42:                             ; =>This Inner Loop Header: Depth=1
	v_sub_nc_u32_e32 v1, 0, v31
	v_max_i32_e32 v1, v31, v1
	v_mul_hi_u32 v2, v1, s12
	v_mul_lo_u32 v3, v2, s11
	v_sub_nc_u32_e32 v1, v1, v3
	v_add_nc_u32_e32 v3, 1, v2
	v_subrev_nc_u32_e32 v4, s11, v1
	v_cmp_le_u32_e32 vcc_lo, s11, v1
	v_cndmask_b32_e32 v2, v2, v3, vcc_lo
	v_cndmask_b32_e32 v1, v1, v4, vcc_lo
	v_ashrrev_i32_e32 v3, 31, v31
	v_add_nc_u32_e32 v4, 1, v2
	v_cmp_le_u32_e32 vcc_lo, s11, v1
	v_xor_b32_e32 v3, s19, v3
	v_cndmask_b32_e32 v1, v2, v4, vcc_lo
	v_xor_b32_e32 v1, v1, v3
	v_sub_nc_u32_e32 v1, v1, v3
	v_add_nc_u32_e32 v2, s33, v1
	v_cmp_lt_i32_e64 s0, s5, v1
	v_sub_nc_u32_e32 v3, 0, v2
	v_max_i32_e32 v3, v2, v3
	v_ashrrev_i32_e32 v2, 31, v2
	v_mul_hi_u32 v4, v3, v43
	v_mul_lo_u32 v4, v4, s6
	v_sub_nc_u32_e32 v3, v3, v4
	v_subrev_nc_u32_e32 v4, s6, v3
	v_cmp_le_u32_e32 vcc_lo, s6, v3
	v_cndmask_b32_e32 v3, v3, v4, vcc_lo
	v_subrev_nc_u32_e32 v4, s6, v3
	v_cmp_le_u32_e32 vcc_lo, s6, v3
	v_cndmask_b32_e32 v3, v3, v4, vcc_lo
	v_xor_b32_e32 v3, v3, v2
	v_sub_nc_u32_e32 v2, v3, v2
	v_cmp_eq_u32_e32 vcc_lo, 0, v2
	s_or_b32 s0, vcc_lo, s0
	s_and_saveexec_b32 s17, s0
	s_cbranch_execz .LBB154_41
; %bb.43:                               ;   in Loop: Header=BB154_42 Depth=1
	global_load_dword v1, v[26:27], off
	v_add_nc_u32_e32 v48, v37, v31
	v_cmp_eq_u32_e64 s0, s9, v25
	v_add_nc_u32_e32 v51, 1, v48
	v_or_b32_e32 v49, 3, v48
	v_or_b32_e32 v50, 2, v48
	;; [unrolled: 1-line block ×6, first 2 shown]
	s_waitcnt vmcnt(0)
	v_mad_i64_i32 v[1:2], null, v1, s13, 0
	v_lshlrev_b64 v[1:2], 1, v[1:2]
	v_add_co_u32 v5, vcc_lo, v40, v1
	v_add_co_ci_u32_e64 v6, null, v41, v2, vcc_lo
	global_load_dwordx4 v[1:4], v[5:6], off
	ds_read2_b64 v[17:20], v42 offset1:1
	ds_read2_b64 v[13:16], v42 offset0:2 offset1:3
	s_and_saveexec_b32 s18, s0
	s_cbranch_execnz .LBB154_47
; %bb.44:                               ;   in Loop: Header=BB154_42 Depth=1
	s_or_b32 exec_lo, exec_lo, s18
	global_load_dwordx4 v[9:12], v[5:6], off offset:512
	s_and_saveexec_b32 s18, s0
	s_cbranch_execnz .LBB154_48
.LBB154_45:                             ;   in Loop: Header=BB154_42 Depth=1
	s_or_b32 exec_lo, exec_lo, s18
	global_load_dwordx4 v[21:24], v[5:6], off offset:1024
	s_and_saveexec_b32 s18, s0
	s_cbranch_execnz .LBB154_49
.LBB154_46:                             ;   in Loop: Header=BB154_42 Depth=1
	s_or_b32 exec_lo, exec_lo, s18
	global_load_dwordx4 v[5:8], v[5:6], off offset:1536
	s_and_saveexec_b32 s2, s0
	s_cbranch_execz .LBB154_40
	s_branch .LBB154_50
.LBB154_47:                             ;   in Loop: Header=BB154_42 Depth=1
	v_cmp_gt_i32_e64 s1, s27, v48
	v_cmp_gt_i32_e32 vcc_lo, s15, v51
	v_cmp_gt_i32_e64 s2, s27, v50
	s_waitcnt vmcnt(0)
	v_cndmask_b32_e64 v7, 0, v1, s1
	v_cmp_gt_i32_e64 s1, s15, v49
	v_cndmask_b32_sdwa v1, v38, v1, vcc_lo dst_sel:DWORD dst_unused:UNUSED_PAD src0_sel:DWORD src1_sel:WORD_1
	v_cndmask_b32_e64 v8, 0, v2, s2
	v_cmp_gt_i32_e64 s2, s15, v47
	s_mov_b32 vcc_lo, s1
	v_cmp_gt_i32_e64 s1, s15, v45
	v_cndmask_b32_sdwa v2, v38, v2, vcc_lo dst_sel:DWORD dst_unused:UNUSED_PAD src0_sel:DWORD src1_sel:WORD_1
	v_cmp_gt_i32_e32 vcc_lo, s27, v46
	v_perm_b32 v1, v1, v7, 0x5040100
	v_perm_b32 v2, v2, v8, 0x5040100
	v_cndmask_b32_e32 v9, 0, v3, vcc_lo
	s_mov_b32 vcc_lo, s2
	v_cndmask_b32_sdwa v3, v38, v3, vcc_lo dst_sel:DWORD dst_unused:UNUSED_PAD src0_sel:DWORD src1_sel:WORD_1
	v_cmp_gt_i32_e32 vcc_lo, s27, v44
	v_perm_b32 v3, v3, v9, 0x5040100
	v_cndmask_b32_e32 v10, 0, v4, vcc_lo
	s_mov_b32 vcc_lo, s1
	v_cndmask_b32_sdwa v4, v38, v4, vcc_lo dst_sel:DWORD dst_unused:UNUSED_PAD src0_sel:DWORD src1_sel:WORD_1
	v_perm_b32 v4, v4, v10, 0x5040100
	s_or_b32 exec_lo, exec_lo, s18
	global_load_dwordx4 v[9:12], v[5:6], off offset:512
	s_and_saveexec_b32 s18, s0
	s_cbranch_execz .LBB154_45
.LBB154_48:                             ;   in Loop: Header=BB154_42 Depth=1
	v_cmp_gt_i32_e64 s1, s27, v48
	v_cmp_gt_i32_e32 vcc_lo, s15, v51
	v_cmp_gt_i32_e64 s2, s27, v50
	s_waitcnt vmcnt(0)
	v_cndmask_b32_e64 v7, 0, v9, s1
	v_cmp_gt_i32_e64 s1, s15, v49
	v_cndmask_b32_sdwa v9, v38, v9, vcc_lo dst_sel:DWORD dst_unused:UNUSED_PAD src0_sel:DWORD src1_sel:WORD_1
	v_cndmask_b32_e64 v8, 0, v10, s2
	v_cmp_gt_i32_e64 s2, s15, v47
	s_mov_b32 vcc_lo, s1
	v_cmp_gt_i32_e64 s1, s15, v45
	v_cndmask_b32_sdwa v10, v38, v10, vcc_lo dst_sel:DWORD dst_unused:UNUSED_PAD src0_sel:DWORD src1_sel:WORD_1
	v_cmp_gt_i32_e32 vcc_lo, s27, v46
	v_perm_b32 v9, v9, v7, 0x5040100
	v_perm_b32 v10, v10, v8, 0x5040100
	v_cndmask_b32_e32 v21, 0, v11, vcc_lo
	s_mov_b32 vcc_lo, s2
	v_cndmask_b32_sdwa v11, v38, v11, vcc_lo dst_sel:DWORD dst_unused:UNUSED_PAD src0_sel:DWORD src1_sel:WORD_1
	v_cmp_gt_i32_e32 vcc_lo, s27, v44
	v_perm_b32 v11, v11, v21, 0x5040100
	v_cndmask_b32_e32 v22, 0, v12, vcc_lo
	s_mov_b32 vcc_lo, s1
	v_cndmask_b32_sdwa v12, v38, v12, vcc_lo dst_sel:DWORD dst_unused:UNUSED_PAD src0_sel:DWORD src1_sel:WORD_1
	v_perm_b32 v12, v12, v22, 0x5040100
	s_or_b32 exec_lo, exec_lo, s18
	global_load_dwordx4 v[21:24], v[5:6], off offset:1024
	s_and_saveexec_b32 s18, s0
	s_cbranch_execz .LBB154_46
.LBB154_49:                             ;   in Loop: Header=BB154_42 Depth=1
	v_cmp_gt_i32_e64 s1, s27, v48
	v_cmp_gt_i32_e32 vcc_lo, s15, v51
	v_cmp_gt_i32_e64 s2, s27, v50
	s_waitcnt vmcnt(0)
	v_cndmask_b32_e64 v7, 0, v21, s1
	v_cmp_gt_i32_e64 s1, s15, v49
	v_cndmask_b32_sdwa v21, v38, v21, vcc_lo dst_sel:DWORD dst_unused:UNUSED_PAD src0_sel:DWORD src1_sel:WORD_1
	v_cndmask_b32_e64 v8, 0, v22, s2
	v_cmp_gt_i32_e64 s2, s15, v47
	s_mov_b32 vcc_lo, s1
	v_cmp_gt_i32_e64 s1, s15, v45
	v_cndmask_b32_sdwa v22, v38, v22, vcc_lo dst_sel:DWORD dst_unused:UNUSED_PAD src0_sel:DWORD src1_sel:WORD_1
	v_cmp_gt_i32_e32 vcc_lo, s27, v46
	v_perm_b32 v21, v21, v7, 0x5040100
	v_perm_b32 v22, v22, v8, 0x5040100
	v_cndmask_b32_e32 v52, 0, v23, vcc_lo
	s_mov_b32 vcc_lo, s2
	v_cndmask_b32_sdwa v23, v38, v23, vcc_lo dst_sel:DWORD dst_unused:UNUSED_PAD src0_sel:DWORD src1_sel:WORD_1
	v_cmp_gt_i32_e32 vcc_lo, s27, v44
	v_perm_b32 v23, v23, v52, 0x5040100
	v_cndmask_b32_e32 v53, 0, v24, vcc_lo
	s_mov_b32 vcc_lo, s1
	v_cndmask_b32_sdwa v24, v38, v24, vcc_lo dst_sel:DWORD dst_unused:UNUSED_PAD src0_sel:DWORD src1_sel:WORD_1
	v_perm_b32 v24, v24, v53, 0x5040100
	s_or_b32 exec_lo, exec_lo, s18
	global_load_dwordx4 v[5:8], v[5:6], off offset:1536
	s_and_saveexec_b32 s2, s0
	s_cbranch_execz .LBB154_40
.LBB154_50:                             ;   in Loop: Header=BB154_42 Depth=1
	v_cmp_gt_i32_e64 s0, s27, v48
	v_cmp_gt_i32_e32 vcc_lo, s15, v51
	v_cmp_gt_i32_e64 s1, s27, v50
	s_waitcnt vmcnt(0)
	v_cndmask_b32_e64 v48, 0, v5, s0
	v_cmp_gt_i32_e64 s0, s15, v49
	v_cndmask_b32_sdwa v5, v38, v5, vcc_lo dst_sel:DWORD dst_unused:UNUSED_PAD src0_sel:DWORD src1_sel:WORD_1
	v_cndmask_b32_e64 v49, 0, v6, s1
	v_cmp_gt_i32_e64 s1, s15, v47
	s_mov_b32 vcc_lo, s0
	v_cmp_gt_i32_e64 s0, s15, v45
	v_cndmask_b32_sdwa v6, v38, v6, vcc_lo dst_sel:DWORD dst_unused:UNUSED_PAD src0_sel:DWORD src1_sel:WORD_1
	v_cmp_gt_i32_e32 vcc_lo, s27, v46
	v_perm_b32 v5, v5, v48, 0x5040100
	v_perm_b32 v6, v6, v49, 0x5040100
	v_cndmask_b32_e32 v46, 0, v7, vcc_lo
	s_mov_b32 vcc_lo, s1
	v_cndmask_b32_sdwa v7, v38, v7, vcc_lo dst_sel:DWORD dst_unused:UNUSED_PAD src0_sel:DWORD src1_sel:WORD_1
	v_cmp_gt_i32_e32 vcc_lo, s27, v44
	v_perm_b32 v7, v7, v46, 0x5040100
	v_cndmask_b32_e32 v44, 0, v8, vcc_lo
	s_mov_b32 vcc_lo, s0
	v_cndmask_b32_sdwa v8, v38, v8, vcc_lo dst_sel:DWORD dst_unused:UNUSED_PAD src0_sel:DWORD src1_sel:WORD_1
	v_perm_b32 v8, v8, v44, 0x5040100
	s_branch .LBB154_40
.LBB154_51:
	s_or_b32 exec_lo, exec_lo, s14
.LBB154_52:
	s_or_b32 exec_lo, exec_lo, s3
	ds_bpermute_b32 v1, v33, v39
	ds_bpermute_b32 v2, v33, v36
	;; [unrolled: 1-line block ×4, first 2 shown]
	v_lshrrev_b32_e32 v5, 1, v32
	v_lshlrev_b32_e32 v7, 8, v30
	v_and_b32_e32 v10, 0x3c1, v0
	s_mov_b32 s0, exec_lo
	s_waitcnt lgkmcnt(0)
	s_waitcnt_vscnt null, 0x0
	v_lshl_add_u32 v6, v5, 2, 0xa0
	s_barrier
	buffer_gl0_inv
	v_add_f32_e32 v4, v39, v1
	v_add_f32_e32 v3, v36, v2
	;; [unrolled: 1-line block ×4, first 2 shown]
	v_cmpx_eq_u32_e32 64, v10
	s_cbranch_execz .LBB154_54
; %bb.53:
	v_add_nc_u32_e32 v8, v6, v7
	v_add_nc_u32_e32 v9, 0xfffffe00, v8
	;; [unrolled: 1-line block ×5, first 2 shown]
	ds_write_b32 v9, v4
	ds_write_b32 v10, v3
	;; [unrolled: 1-line block ×4, first 2 shown]
.LBB154_54:
	s_or_b32 exec_lo, exec_lo, s0
	v_lshlrev_b32_e32 v5, 2, v5
	s_mov_b32 s1, exec_lo
	v_cmp_eq_u32_e32 vcc_lo, 0, v29
	s_waitcnt lgkmcnt(0)
	s_barrier
	v_add3_u32 v5, 0xa0, v7, v5
	buffer_gl0_inv
	v_cmpx_gt_u32_e32 64, v0
	s_cbranch_execz .LBB154_61
; %bb.55:
	s_and_saveexec_b32 s0, vcc_lo
	s_cbranch_execnz .LBB154_73
; %bb.56:
	s_or_b32 exec_lo, exec_lo, s0
	s_and_saveexec_b32 s0, vcc_lo
	s_cbranch_execnz .LBB154_74
.LBB154_57:
	s_or_b32 exec_lo, exec_lo, s0
	s_and_saveexec_b32 s0, vcc_lo
	s_cbranch_execnz .LBB154_75
.LBB154_58:
	s_or_b32 exec_lo, exec_lo, s0
	s_and_saveexec_b32 s0, vcc_lo
	s_cbranch_execz .LBB154_60
.LBB154_59:
	ds_read_b32 v7, v5 offset:192
	s_waitcnt lgkmcnt(0)
	v_add_f32_e32 v1, v1, v7
.LBB154_60:
	s_or_b32 exec_lo, exec_lo, s0
.LBB154_61:
	s_or_b32 exec_lo, exec_lo, s1
	v_and_b32_e32 v7, 0x3e1, v0
	s_mov_b32 s1, exec_lo
	s_barrier
	buffer_gl0_inv
	v_cmpx_eq_u32_e32 32, v7
	s_cbranch_execz .LBB154_63
; %bb.62:
	ds_write2_b32 v6, v4, v3 offset1:16
	ds_write2_b32 v6, v2, v1 offset0:32 offset1:48
.LBB154_63:
	s_or_b32 exec_lo, exec_lo, s1
	s_mov_b32 s1, exec_lo
	s_waitcnt lgkmcnt(0)
	s_barrier
	buffer_gl0_inv
	v_cmpx_gt_u32_e32 32, v0
	s_cbranch_execz .LBB154_70
; %bb.64:
	s_and_saveexec_b32 s0, vcc_lo
	s_cbranch_execnz .LBB154_76
; %bb.65:
	s_or_b32 exec_lo, exec_lo, s0
	s_and_saveexec_b32 s0, vcc_lo
	s_cbranch_execnz .LBB154_77
.LBB154_66:
	s_or_b32 exec_lo, exec_lo, s0
	s_and_saveexec_b32 s0, vcc_lo
	s_cbranch_execnz .LBB154_78
.LBB154_67:
	s_or_b32 exec_lo, exec_lo, s0
	s_and_saveexec_b32 s0, vcc_lo
	s_cbranch_execz .LBB154_69
.LBB154_68:
	ds_read_b32 v0, v5 offset:192
	s_waitcnt lgkmcnt(0)
	v_add_f32_e32 v1, v1, v0
.LBB154_69:
	s_or_b32 exec_lo, exec_lo, s0
.LBB154_70:
	s_or_b32 exec_lo, exec_lo, s1
	s_barrier
	buffer_gl0_inv
	s_mov_b32 s0, exec_lo
	v_cmpx_eq_u32_e32 0, v7
	s_cbranch_execz .LBB154_72
; %bb.71:
	v_bfe_u32 v5, v4, 16, 1
	v_or_b32_e32 v6, 0x400000, v4
	v_bfe_u32 v7, v3, 16, 1
	v_cmp_u_f32_e32 vcc_lo, v4, v4
	s_lshl_b32 s0, s4, 6
	v_add3_u32 v5, v5, v4, 0x7fff
	s_ashr_i32 s1, s0, 31
	v_bfe_u32 v8, v2, 16, 1
	s_lshl_b64 s[0:1], s[0:1], 1
	s_mul_i32 s2, s7, s10
	v_cndmask_b32_e32 v4, v5, v6, vcc_lo
	v_add3_u32 v6, v7, v3, 0x7fff
	v_or_b32_e32 v7, 0x400000, v3
	v_cmp_u_f32_e32 vcc_lo, v3, v3
	s_add_u32 s4, s24, s0
	s_addc_u32 s5, s25, s1
	s_ashr_i32 s3, s2, 31
	v_bfe_u32 v5, v1, 16, 1
	s_lshl_b64 s[0:1], s[2:3], 1
	v_add3_u32 v8, v8, v2, 0x7fff
	v_or_b32_e32 v9, 0x400000, v2
	v_cndmask_b32_e32 v3, v6, v7, vcc_lo
	v_cmp_u_f32_e32 vcc_lo, v2, v2
	s_add_u32 s2, s4, s0
	s_addc_u32 s3, s5, s1
	s_lshl_b32 s0, s8, 6
	v_add3_u32 v5, v5, v1, 0x7fff
	s_ashr_i32 s1, s0, 31
	v_or_b32_e32 v10, 0x400000, v1
	v_cndmask_b32_e32 v2, v8, v9, vcc_lo
	v_cmp_u_f32_e32 vcc_lo, v1, v1
	v_lshlrev_b32_e32 v0, 1, v28
	s_lshl_b64 s[0:1], s[0:1], 1
	s_add_u32 s0, s2, s0
	s_addc_u32 s1, s3, s1
	v_cndmask_b32_e32 v1, v5, v10, vcc_lo
	global_store_short_d16_hi v0, v4, s[0:1]
	global_store_short_d16_hi v0, v3, s[0:1] offset:32
	global_store_short_d16_hi v0, v2, s[0:1] offset:64
	;; [unrolled: 1-line block ×3, first 2 shown]
.LBB154_72:
	s_endpgm
.LBB154_73:
	ds_read_b32 v7, v5
	s_waitcnt lgkmcnt(0)
	v_add_f32_e32 v4, v4, v7
	s_or_b32 exec_lo, exec_lo, s0
	s_and_saveexec_b32 s0, vcc_lo
	s_cbranch_execz .LBB154_57
.LBB154_74:
	ds_read_b32 v7, v5 offset:64
	s_waitcnt lgkmcnt(0)
	v_add_f32_e32 v3, v3, v7
	s_or_b32 exec_lo, exec_lo, s0
	s_and_saveexec_b32 s0, vcc_lo
	s_cbranch_execz .LBB154_58
.LBB154_75:
	ds_read_b32 v7, v5 offset:128
	s_waitcnt lgkmcnt(0)
	v_add_f32_e32 v2, v2, v7
	s_or_b32 exec_lo, exec_lo, s0
	s_and_saveexec_b32 s0, vcc_lo
	s_cbranch_execnz .LBB154_59
	s_branch .LBB154_60
.LBB154_76:
	ds_read_b32 v0, v5
	s_waitcnt lgkmcnt(0)
	v_add_f32_e32 v4, v4, v0
	s_or_b32 exec_lo, exec_lo, s0
	s_and_saveexec_b32 s0, vcc_lo
	s_cbranch_execz .LBB154_66
.LBB154_77:
	ds_read_b32 v0, v5 offset:64
	s_waitcnt lgkmcnt(0)
	v_add_f32_e32 v3, v3, v0
	s_or_b32 exec_lo, exec_lo, s0
	s_and_saveexec_b32 s0, vcc_lo
	s_cbranch_execz .LBB154_67
.LBB154_78:
	ds_read_b32 v0, v5 offset:128
	s_waitcnt lgkmcnt(0)
	v_add_f32_e32 v2, v2, v0
	s_or_b32 exec_lo, exec_lo, s0
	s_and_saveexec_b32 s0, vcc_lo
	s_cbranch_execnz .LBB154_68
	s_branch .LBB154_69
	.section	.rodata,"a",@progbits
	.p2align	6, 0x0
	.amdhsa_kernel _ZN4vllm25paged_attention_v2_kernelI14__hip_bfloat16S1_Li64ELi16ELi128ELNS_18Fp8KVCacheDataTypeE0ELb1ELi512EEEvPfS3_PT_PKS4_PKT0_SA_ifPKiSC_iPKfiiiSE_SE_iiiii
		.amdhsa_group_segment_fixed_size 160
		.amdhsa_private_segment_fixed_size 0
		.amdhsa_kernarg_size 400
		.amdhsa_user_sgpr_count 6
		.amdhsa_user_sgpr_private_segment_buffer 1
		.amdhsa_user_sgpr_dispatch_ptr 0
		.amdhsa_user_sgpr_queue_ptr 0
		.amdhsa_user_sgpr_kernarg_segment_ptr 1
		.amdhsa_user_sgpr_dispatch_id 0
		.amdhsa_user_sgpr_flat_scratch_init 0
		.amdhsa_user_sgpr_private_segment_size 0
		.amdhsa_wavefront_size32 1
		.amdhsa_uses_dynamic_stack 0
		.amdhsa_system_sgpr_private_segment_wavefront_offset 0
		.amdhsa_system_sgpr_workgroup_id_x 1
		.amdhsa_system_sgpr_workgroup_id_y 1
		.amdhsa_system_sgpr_workgroup_id_z 1
		.amdhsa_system_sgpr_workgroup_info 0
		.amdhsa_system_vgpr_workitem_id 0
		.amdhsa_next_free_vgpr 83
		.amdhsa_next_free_sgpr 46
		.amdhsa_reserve_vcc 1
		.amdhsa_reserve_flat_scratch 0
		.amdhsa_float_round_mode_32 0
		.amdhsa_float_round_mode_16_64 0
		.amdhsa_float_denorm_mode_32 3
		.amdhsa_float_denorm_mode_16_64 3
		.amdhsa_dx10_clamp 1
		.amdhsa_ieee_mode 1
		.amdhsa_fp16_overflow 0
		.amdhsa_workgroup_processor_mode 1
		.amdhsa_memory_ordered 1
		.amdhsa_forward_progress 1
		.amdhsa_shared_vgpr_count 0
		.amdhsa_exception_fp_ieee_invalid_op 0
		.amdhsa_exception_fp_denorm_src 0
		.amdhsa_exception_fp_ieee_div_zero 0
		.amdhsa_exception_fp_ieee_overflow 0
		.amdhsa_exception_fp_ieee_underflow 0
		.amdhsa_exception_fp_ieee_inexact 0
		.amdhsa_exception_int_div_zero 0
	.end_amdhsa_kernel
	.section	.text._ZN4vllm25paged_attention_v2_kernelI14__hip_bfloat16S1_Li64ELi16ELi128ELNS_18Fp8KVCacheDataTypeE0ELb1ELi512EEEvPfS3_PT_PKS4_PKT0_SA_ifPKiSC_iPKfiiiSE_SE_iiiii,"axG",@progbits,_ZN4vllm25paged_attention_v2_kernelI14__hip_bfloat16S1_Li64ELi16ELi128ELNS_18Fp8KVCacheDataTypeE0ELb1ELi512EEEvPfS3_PT_PKS4_PKT0_SA_ifPKiSC_iPKfiiiSE_SE_iiiii,comdat
.Lfunc_end154:
	.size	_ZN4vllm25paged_attention_v2_kernelI14__hip_bfloat16S1_Li64ELi16ELi128ELNS_18Fp8KVCacheDataTypeE0ELb1ELi512EEEvPfS3_PT_PKS4_PKT0_SA_ifPKiSC_iPKfiiiSE_SE_iiiii, .Lfunc_end154-_ZN4vllm25paged_attention_v2_kernelI14__hip_bfloat16S1_Li64ELi16ELi128ELNS_18Fp8KVCacheDataTypeE0ELb1ELi512EEEvPfS3_PT_PKS4_PKT0_SA_ifPKiSC_iPKfiiiSE_SE_iiiii
                                        ; -- End function
	.set _ZN4vllm25paged_attention_v2_kernelI14__hip_bfloat16S1_Li64ELi16ELi128ELNS_18Fp8KVCacheDataTypeE0ELb1ELi512EEEvPfS3_PT_PKS4_PKT0_SA_ifPKiSC_iPKfiiiSE_SE_iiiii.num_vgpr, 83
	.set _ZN4vllm25paged_attention_v2_kernelI14__hip_bfloat16S1_Li64ELi16ELi128ELNS_18Fp8KVCacheDataTypeE0ELb1ELi512EEEvPfS3_PT_PKS4_PKT0_SA_ifPKiSC_iPKfiiiSE_SE_iiiii.num_agpr, 0
	.set _ZN4vllm25paged_attention_v2_kernelI14__hip_bfloat16S1_Li64ELi16ELi128ELNS_18Fp8KVCacheDataTypeE0ELb1ELi512EEEvPfS3_PT_PKS4_PKT0_SA_ifPKiSC_iPKfiiiSE_SE_iiiii.numbered_sgpr, 46
	.set _ZN4vllm25paged_attention_v2_kernelI14__hip_bfloat16S1_Li64ELi16ELi128ELNS_18Fp8KVCacheDataTypeE0ELb1ELi512EEEvPfS3_PT_PKS4_PKT0_SA_ifPKiSC_iPKfiiiSE_SE_iiiii.num_named_barrier, 0
	.set _ZN4vllm25paged_attention_v2_kernelI14__hip_bfloat16S1_Li64ELi16ELi128ELNS_18Fp8KVCacheDataTypeE0ELb1ELi512EEEvPfS3_PT_PKS4_PKT0_SA_ifPKiSC_iPKfiiiSE_SE_iiiii.private_seg_size, 0
	.set _ZN4vllm25paged_attention_v2_kernelI14__hip_bfloat16S1_Li64ELi16ELi128ELNS_18Fp8KVCacheDataTypeE0ELb1ELi512EEEvPfS3_PT_PKS4_PKT0_SA_ifPKiSC_iPKfiiiSE_SE_iiiii.uses_vcc, 1
	.set _ZN4vllm25paged_attention_v2_kernelI14__hip_bfloat16S1_Li64ELi16ELi128ELNS_18Fp8KVCacheDataTypeE0ELb1ELi512EEEvPfS3_PT_PKS4_PKT0_SA_ifPKiSC_iPKfiiiSE_SE_iiiii.uses_flat_scratch, 0
	.set _ZN4vllm25paged_attention_v2_kernelI14__hip_bfloat16S1_Li64ELi16ELi128ELNS_18Fp8KVCacheDataTypeE0ELb1ELi512EEEvPfS3_PT_PKS4_PKT0_SA_ifPKiSC_iPKfiiiSE_SE_iiiii.has_dyn_sized_stack, 0
	.set _ZN4vllm25paged_attention_v2_kernelI14__hip_bfloat16S1_Li64ELi16ELi128ELNS_18Fp8KVCacheDataTypeE0ELb1ELi512EEEvPfS3_PT_PKS4_PKT0_SA_ifPKiSC_iPKfiiiSE_SE_iiiii.has_recursion, 0
	.set _ZN4vllm25paged_attention_v2_kernelI14__hip_bfloat16S1_Li64ELi16ELi128ELNS_18Fp8KVCacheDataTypeE0ELb1ELi512EEEvPfS3_PT_PKS4_PKT0_SA_ifPKiSC_iPKfiiiSE_SE_iiiii.has_indirect_call, 0
	.section	.AMDGPU.csdata,"",@progbits
; Kernel info:
; codeLenInByte = 7672
; TotalNumSgprs: 48
; NumVgprs: 83
; ScratchSize: 0
; MemoryBound: 0
; FloatMode: 240
; IeeeMode: 1
; LDSByteSize: 160 bytes/workgroup (compile time only)
; SGPRBlocks: 0
; VGPRBlocks: 10
; NumSGPRsForWavesPerEU: 48
; NumVGPRsForWavesPerEU: 83
; Occupancy: 10
; WaveLimiterHint : 1
; COMPUTE_PGM_RSRC2:SCRATCH_EN: 0
; COMPUTE_PGM_RSRC2:USER_SGPR: 6
; COMPUTE_PGM_RSRC2:TRAP_HANDLER: 0
; COMPUTE_PGM_RSRC2:TGID_X_EN: 1
; COMPUTE_PGM_RSRC2:TGID_Y_EN: 1
; COMPUTE_PGM_RSRC2:TGID_Z_EN: 1
; COMPUTE_PGM_RSRC2:TIDIG_COMP_CNT: 0
	.section	.text._ZN4vllm25paged_attention_v2_kernelI14__hip_bfloat16S1_Li80ELi16ELi128ELNS_18Fp8KVCacheDataTypeE0ELb1ELi512EEEvPfS3_PT_PKS4_PKT0_SA_ifPKiSC_iPKfiiiSE_SE_iiiii,"axG",@progbits,_ZN4vllm25paged_attention_v2_kernelI14__hip_bfloat16S1_Li80ELi16ELi128ELNS_18Fp8KVCacheDataTypeE0ELb1ELi512EEEvPfS3_PT_PKS4_PKT0_SA_ifPKiSC_iPKfiiiSE_SE_iiiii,comdat
	.protected	_ZN4vllm25paged_attention_v2_kernelI14__hip_bfloat16S1_Li80ELi16ELi128ELNS_18Fp8KVCacheDataTypeE0ELb1ELi512EEEvPfS3_PT_PKS4_PKT0_SA_ifPKiSC_iPKfiiiSE_SE_iiiii ; -- Begin function _ZN4vllm25paged_attention_v2_kernelI14__hip_bfloat16S1_Li80ELi16ELi128ELNS_18Fp8KVCacheDataTypeE0ELb1ELi512EEEvPfS3_PT_PKS4_PKT0_SA_ifPKiSC_iPKfiiiSE_SE_iiiii
	.globl	_ZN4vllm25paged_attention_v2_kernelI14__hip_bfloat16S1_Li80ELi16ELi128ELNS_18Fp8KVCacheDataTypeE0ELb1ELi512EEEvPfS3_PT_PKS4_PKT0_SA_ifPKiSC_iPKfiiiSE_SE_iiiii
	.p2align	8
	.type	_ZN4vllm25paged_attention_v2_kernelI14__hip_bfloat16S1_Li80ELi16ELi128ELNS_18Fp8KVCacheDataTypeE0ELb1ELi512EEEvPfS3_PT_PKS4_PKT0_SA_ifPKiSC_iPKfiiiSE_SE_iiiii,@function
_ZN4vllm25paged_attention_v2_kernelI14__hip_bfloat16S1_Li80ELi16ELi128ELNS_18Fp8KVCacheDataTypeE0ELb1ELi512EEEvPfS3_PT_PKS4_PKT0_SA_ifPKiSC_iPKfiiiSE_SE_iiiii: ; @_ZN4vllm25paged_attention_v2_kernelI14__hip_bfloat16S1_Li80ELi16ELi128ELNS_18Fp8KVCacheDataTypeE0ELb1ELi512EEEvPfS3_PT_PKS4_PKT0_SA_ifPKiSC_iPKfiiiSE_SE_iiiii
; %bb.0:
	s_load_dwordx2 s[0:1], s[4:5], 0x40
	s_mov_b32 s26, s7
	s_ashr_i32 s27, s7, 31
	s_lshl_b64 s[2:3], s[26:27], 2
	s_waitcnt lgkmcnt(0)
	s_add_u32 s0, s0, s2
	s_addc_u32 s1, s1, s3
	s_lshl_b32 s38, s8, 9
	s_load_dword s27, s[0:1], 0x0
	s_waitcnt lgkmcnt(0)
	s_cmp_ge_i32 s38, s27
	s_cbranch_scc1 .LBB155_76
; %bb.1:
	s_clause 0x1
	s_load_dword s9, s[4:5], 0x90
	s_load_dwordx2 s[36:37], s[4:5], 0x30
	s_mov_b32 s40, 0
	s_waitcnt lgkmcnt(0)
	s_abs_i32 s3, s9
	s_abs_i32 s0, s36
	v_cvt_f32_u32_e32 v1, s0
	s_sub_i32 s2, 0, s0
	v_rcp_iflag_f32_e32 v1, v1
	v_mul_f32_e32 v1, 0x4f7ffffe, v1
	v_cvt_u32_f32_e32 v1, v1
	v_readfirstlane_b32 s1, v1
	s_mul_i32 s2, s2, s1
	s_mul_hi_u32 s2, s1, s2
	s_add_i32 s1, s1, s2
	s_xor_b32 s2, s9, s36
	s_mul_hi_u32 s1, s3, s1
	s_ashr_i32 s2, s2, 31
	s_mul_i32 s7, s1, s0
	s_sub_i32 s3, s3, s7
	s_add_i32 s7, s1, 1
	s_sub_i32 s10, s3, s0
	s_cmp_ge_u32 s3, s0
	s_cselect_b32 s1, s7, s1
	s_cselect_b32 s3, s10, s3
	s_add_i32 s7, s1, 1
	s_cmp_ge_u32 s3, s0
	s_cselect_b32 s0, s7, s1
	s_xor_b32 s0, s0, s2
	s_sub_i32 s10, s0, s2
	s_load_dwordx2 s[0:1], s[4:5], 0x50
	s_abs_i32 s2, s10
	v_cvt_f32_u32_e32 v1, s2
	s_sub_i32 s3, 0, s2
	v_rcp_iflag_f32_e32 v1, v1
	v_mul_f32_e32 v1, 0x4f7ffffe, v1
	v_cvt_u32_f32_e32 v1, v1
	v_readfirstlane_b32 s7, v1
	s_mul_i32 s3, s3, s7
	s_mul_hi_u32 s11, s7, s3
	s_abs_i32 s3, s6
	s_add_i32 s7, s7, s11
	s_waitcnt lgkmcnt(0)
	s_cmp_eq_u64 s[0:1], 0
	s_mul_hi_u32 s20, s3, s7
	s_cbranch_scc1 .LBB155_3
; %bb.2:
	s_ashr_i32 s7, s6, 31
	s_lshl_b64 s[12:13], s[6:7], 2
	s_add_u32 s0, s0, s12
	s_addc_u32 s1, s1, s13
	s_load_dword s40, s[0:1], 0x0
.LBB155_3:
	s_load_dwordx4 s[12:15], s[4:5], 0x58
	v_lshrrev_b32_e32 v32, 1, v0
	v_and_b32_e32 v33, 1, v0
	v_lshlrev_b32_e32 v3, 3, v0
	s_ashr_i32 s0, s6, 31
	s_ashr_i32 s1, s10, 31
	s_mul_i32 s10, s6, 0x50
	s_mov_b32 s7, exec_lo
	v_cmpx_gt_u32_e32 20, v0
	s_cbranch_execz .LBB155_5
; %bb.4:
	s_load_dwordx2 s[16:17], s[4:5], 0x18
	s_waitcnt lgkmcnt(0)
	s_mul_i32 s18, s12, s26
	v_lshlrev_b32_e32 v4, 3, v32
	s_ashr_i32 s19, s18, 31
	s_lshl_b64 s[18:19], s[18:19], 1
	v_mad_u32_u24 v4, 0x50, v33, v4
	s_add_u32 s12, s16, s18
	s_addc_u32 s15, s17, s19
	s_ashr_i32 s11, s10, 31
	s_lshl_b64 s[16:17], s[10:11], 1
	s_add_u32 s16, s12, s16
	s_addc_u32 s17, s15, s17
	global_load_dwordx2 v[1:2], v3, s[16:17]
	s_waitcnt vmcnt(0)
	ds_write_b64 v4, v[1:2]
.LBB155_5:
	s_or_b32 exec_lo, exec_lo, s7
	s_load_dwordx4 s[16:19], s[4:5], 0x78
	s_mul_i32 s7, s20, s2
	s_xor_b32 s0, s0, s1
	s_sub_i32 s1, s3, s7
	s_add_i32 s3, s20, 1
	s_sub_i32 s7, s1, s2
	s_cmp_ge_u32 s1, s2
                                        ; implicit-def: $sgpr33
	s_cselect_b32 s3, s3, s20
	s_cselect_b32 s1, s7, s1
	s_add_i32 s7, s3, 1
	s_cmp_ge_u32 s1, s2
	s_mov_b32 s20, -1
	s_cselect_b32 s1, s7, s3
	s_load_dword s3, s[4:5], 0x88
	s_xor_b32 s1, s1, s0
	s_add_i32 s7, s27, -1
	s_sub_i32 s1, s1, s0
	s_abs_i32 s2, s7
	s_waitcnt lgkmcnt(0)
	s_abs_i32 s11, s19
	s_barrier
	v_cvt_f32_u32_e32 v1, s11
	s_sub_i32 s0, 0, s11
	buffer_gl0_inv
	v_rcp_iflag_f32_e32 v1, v1
	v_mul_f32_e32 v1, 0x4f7ffffe, v1
	v_cvt_u32_f32_e32 v1, v1
	v_readfirstlane_b32 s12, v1
	s_mul_i32 s0, s0, s12
	s_mul_hi_u32 s0, s12, s0
	s_add_i32 s12, s12, s0
	s_cmp_lt_i32 s3, 0
	s_mul_hi_u32 s0, s2, s12
	s_cbranch_scc0 .LBB155_7
; %bb.6:
	s_mul_i32 s15, s16, s36
	s_mov_b32 s20, 0
	s_add_i32 s15, s1, s15
	s_mul_i32 s15, s15, s3
	s_sub_i32 s33, 1, s15
.LBB155_7:
	s_load_dwordx2 s[28:29], s[4:5], 0x38
	s_ashr_i32 s15, s7, 31
	s_andn2_b32 vcc_lo, exec_lo, s20
	s_ashr_i32 s19, s19, 31
	s_cbranch_vccnz .LBB155_9
; %bb.8:
	s_mul_i32 s7, s9, s16
	s_add_i32 s7, s7, s6
	s_mul_i32 s3, s7, s3
	s_add_i32 s33, s3, 1
.LBB155_9:
	s_clause 0x4
	s_load_dword s3, s[4:5], 0x48
	s_load_dwordx2 s[34:35], s[4:5], 0x28
	s_load_dword s7, s[4:5], 0x98
	s_load_dwordx4 s[20:23], s[4:5], 0x0
	s_load_dwordx2 s[24:25], s[4:5], 0x10
	s_mul_i32 s16, s0, s11
	s_xor_b32 s15, s15, s19
	s_sub_i32 s2, s2, s16
	s_add_i32 s36, s0, 1
	v_lshrrev_b32_e32 v34, 5, v0
	v_mov_b32_e32 v5, 0xff7fffff
	v_mbcnt_lo_u32_b32 v4, -1, 0
	s_mul_i32 s14, s1, s14
	v_lshl_add_u32 v35, v34, 4, s38
	s_waitcnt lgkmcnt(0)
	s_mul_i32 s30, s3, s26
	s_sub_i32 s3, s2, s11
	s_ashr_i32 s31, s30, 31
	s_cmp_ge_u32 s2, s11
	s_cselect_b32 s0, s36, s0
	s_cselect_b32 s2, s3, s2
	s_add_i32 s3, s0, 1
	s_cmp_ge_u32 s2, s11
	s_cselect_b32 s0, s3, s0
	s_add_i32 s2, s27, 15
	s_lshl_b32 s41, s8, 5
	s_ashr_i32 s3, s2, 31
	v_or_b32_e32 v29, s41, v34
	s_lshr_b32 s3, s3, 28
	s_add_i32 s2, s2, s3
	s_add_i32 s3, s41, 32
	s_ashr_i32 s36, s2, 4
	s_xor_b32 s2, s0, s15
	s_min_i32 s16, s3, s36
	v_ashrrev_i32_e32 v30, 31, v29
	v_cmp_gt_i32_e64 s0, s16, v29
	s_sub_i32 s39, s2, s15
	s_and_saveexec_b32 s42, s0
	s_cbranch_execz .LBB155_21
; %bb.10:
	s_load_dwordx2 s[2:3], s[4:5], 0x20
	s_ashr_i32 s15, s14, 31
	s_sub_i32 s4, s39, s17
	s_lshl_b64 s[44:45], s[14:15], 1
	v_bfe_u32 v6, v0, 1, 4
	v_and_b32_e32 v13, 8, v3
	v_mul_u32_u24_e32 v7, 0x50, v33
	v_cmp_neq_f32_e64 s1, s40, 0
	v_lshl_add_u32 v8, v34, 4, s38
	v_lshlrev_b32_e32 v11, 2, v6
	v_subrev_nc_u32_e32 v14, s27, v6
	v_lshlrev_b32_e32 v17, 4, v6
	v_mov_b32_e32 v9, 0xff7fffff
	v_xor_b32_e32 v10, 1, v4
	v_lshl_or_b32 v15, v34, 6, v11
	v_add_nc_u32_e32 v11, 1, v14
	v_cmp_eq_u32_e32 vcc_lo, 0, v33
	s_waitcnt lgkmcnt(0)
	s_add_u32 s15, s2, s44
	s_addc_u32 s43, s3, s45
	s_abs_i32 s5, s18
	v_cvt_f32_u32_e32 v1, s5
	s_sub_i32 s2, 0, s5
	v_rcp_iflag_f32_e32 v5, v1
	v_lshlrev_b64 v[1:2], 2, v[29:30]
	v_mul_f32_e32 v12, 0x4f7ffffe, v5
	v_mov_b32_e32 v5, 0xff7fffff
	v_cvt_u32_f32_e32 v16, v12
	v_add_nc_u32_e32 v12, 0xc0, v15
	v_add_co_u32 v15, s15, s15, v17
	v_add_co_ci_u32_e64 v17, null, s43, 0, s15
	v_mul_lo_u32 v14, s2, v16
	s_lshl_b64 s[2:3], s[30:31], 2
	s_mov_b32 s15, 0
	s_add_u32 s2, s28, s2
	s_addc_u32 s3, s29, s3
	v_add_co_u32 v1, s2, s2, v1
	v_add_co_ci_u32_e64 v2, null, s3, v2, s2
	v_mul_hi_u32 v18, v16, v14
	v_add_co_u32 v13, s2, v15, v13
	v_add_co_ci_u32_e64 v14, null, 0, v17, s2
	s_mov_b32 s43, s13
	v_add_nc_u32_e32 v15, v16, v18
	v_mov_b32_e32 v16, v29
	s_branch .LBB155_13
.LBB155_11:                             ;   in Loop: Header=BB155_13 Depth=1
	s_or_b32 exec_lo, exec_lo, s44
.LBB155_12:                             ;   in Loop: Header=BB155_13 Depth=1
	s_or_b32 exec_lo, exec_lo, s3
	v_add_nc_u32_e32 v16, 4, v16
	v_add_co_u32 v1, s3, v1, 16
	v_add_co_ci_u32_e64 v2, null, 0, v2, s3
	v_cmp_le_i32_e64 s2, s16, v16
	v_add_nc_u32_e32 v8, 64, v8
	v_add_nc_u32_e32 v12, 0x100, v12
	s_or_b32 s15, s2, s15
	s_andn2_b32 exec_lo, exec_lo, s15
	s_cbranch_execz .LBB155_20
.LBB155_13:                             ; =>This Inner Loop Header: Depth=1
	v_sub_nc_u32_e32 v17, 0, v8
	v_max_i32_e32 v17, v8, v17
	s_waitcnt lgkmcnt(0)
	v_mul_hi_u32 v18, v17, s12
	v_mul_lo_u32 v19, v18, s11
	v_sub_nc_u32_e32 v17, v17, v19
	v_add_nc_u32_e32 v19, 1, v18
	v_subrev_nc_u32_e32 v20, s11, v17
	v_cmp_le_u32_e64 s2, s11, v17
	v_cndmask_b32_e64 v18, v18, v19, s2
	v_cndmask_b32_e64 v17, v17, v20, s2
	v_ashrrev_i32_e32 v19, 31, v8
	v_add_nc_u32_e32 v20, 1, v18
	v_cmp_le_u32_e64 s2, s11, v17
	v_xor_b32_e32 v19, s19, v19
	v_cndmask_b32_e64 v17, v18, v20, s2
	v_xor_b32_e32 v17, v17, v19
	v_sub_nc_u32_e32 v17, v17, v19
	v_add_nc_u32_e32 v18, s33, v17
	v_cmp_ge_i32_e64 s3, s4, v17
	v_sub_nc_u32_e32 v19, 0, v18
	v_max_i32_e32 v19, v18, v19
	v_ashrrev_i32_e32 v18, 31, v18
	v_mul_hi_u32 v20, v19, v15
	v_mul_lo_u32 v20, v20, s5
	v_sub_nc_u32_e32 v19, v19, v20
	v_subrev_nc_u32_e32 v20, s5, v19
	v_cmp_le_u32_e64 s2, s5, v19
	v_cndmask_b32_e64 v19, v19, v20, s2
	v_subrev_nc_u32_e32 v20, s5, v19
	v_cmp_le_u32_e64 s2, s5, v19
	v_cndmask_b32_e64 v19, v19, v20, s2
	v_xor_b32_e32 v19, v19, v18
	v_sub_nc_u32_e32 v18, v19, v18
	v_cmp_ne_u32_e64 s2, 0, v18
	s_and_b32 s2, s2, s3
	s_and_saveexec_b32 s3, s2
	s_xor_b32 s2, exec_lo, s3
	s_cbranch_execz .LBB155_17
; %bb.14:                               ;   in Loop: Header=BB155_13 Depth=1
	s_and_saveexec_b32 s3, vcc_lo
; %bb.15:                               ;   in Loop: Header=BB155_13 Depth=1
	ds_write_b32 v12, v9
; %bb.16:                               ;   in Loop: Header=BB155_13 Depth=1
	s_or_b32 exec_lo, exec_lo, s3
.LBB155_17:                             ;   in Loop: Header=BB155_13 Depth=1
	s_andn2_saveexec_b32 s3, s2
	s_cbranch_execz .LBB155_12
; %bb.18:                               ;   in Loop: Header=BB155_13 Depth=1
	global_load_dword v17, v[1:2], off
	s_waitcnt vmcnt(0)
	v_mad_i64_i32 v[17:18], null, v17, s43, 0
	v_lshlrev_b64 v[17:18], 1, v[17:18]
	v_add_co_u32 v17, s2, v13, v17
	v_add_co_ci_u32_e64 v18, null, v14, v18, s2
	s_clause 0x7
	global_load_dwordx2 v[44:45], v[17:18], off
	global_load_dwordx2 v[46:47], v[17:18], off offset:256
	global_load_dwordx2 v[48:49], v[17:18], off offset:512
	;; [unrolled: 1-line block ×7, first 2 shown]
	v_add_co_u32 v17, s2, 0x800, v17
	v_add_co_ci_u32_e64 v18, null, 0, v18, s2
	v_cmp_gt_i32_e64 s2, 32, v10
	s_clause 0x1
	global_load_dwordx2 v[60:61], v[17:18], off
	global_load_dwordx2 v[62:63], v[17:18], off offset:256
	ds_read_b128 v[17:20], v7
	ds_read_b128 v[21:24], v7 offset:16
	ds_read_b128 v[25:28], v7 offset:32
	;; [unrolled: 1-line block ×4, first 2 shown]
	s_waitcnt lgkmcnt(4)
	v_lshlrev_b32_e32 v65, 16, v19
	v_and_b32_e32 v19, 0xffff0000, v19
	v_lshlrev_b32_e32 v31, 16, v17
	v_lshlrev_b32_e32 v66, 16, v20
	v_and_b32_e32 v17, 0xffff0000, v17
	v_lshlrev_b32_e32 v64, 16, v18
	s_waitcnt lgkmcnt(3)
	v_lshlrev_b32_e32 v67, 16, v21
	v_and_b32_e32 v20, 0xffff0000, v20
	v_and_b32_e32 v21, 0xffff0000, v21
	v_lshlrev_b32_e32 v68, 16, v22
	v_lshlrev_b32_e32 v69, 16, v23
	v_and_b32_e32 v18, 0xffff0000, v18
	v_and_b32_e32 v23, 0xffff0000, v23
	v_lshlrev_b32_e32 v70, 16, v24
	s_waitcnt lgkmcnt(2)
	v_lshlrev_b32_e32 v71, 16, v25
	v_and_b32_e32 v22, 0xffff0000, v22
	v_and_b32_e32 v25, 0xffff0000, v25
	v_lshlrev_b32_e32 v72, 16, v26
	v_lshlrev_b32_e32 v73, 16, v27
	v_and_b32_e32 v24, 0xffff0000, v24
	;; [unrolled: 9-line block ×3, first 2 shown]
	v_and_b32_e32 v38, 0xffff0000, v38
	v_lshlrev_b32_e32 v78, 16, v39
	v_and_b32_e32 v37, 0xffff0000, v37
	s_waitcnt lgkmcnt(0)
	v_lshlrev_b32_e32 v79, 16, v40
	v_and_b32_e32 v40, 0xffff0000, v40
	v_and_b32_e32 v39, 0xffff0000, v39
	v_lshlrev_b32_e32 v80, 16, v41
	v_lshlrev_b32_e32 v81, 16, v42
	v_and_b32_e32 v42, 0xffff0000, v42
	v_lshlrev_b32_e32 v91, 16, v43
	v_and_b32_e32 v41, 0xffff0000, v41
	s_waitcnt vmcnt(9)
	v_lshlrev_b32_e32 v82, 16, v44
	s_waitcnt vmcnt(8)
	v_lshlrev_b32_e32 v84, 16, v46
	v_and_b32_e32 v46, 0xffff0000, v46
	v_and_b32_e32 v44, 0xffff0000, v44
	v_lshlrev_b32_e32 v85, 16, v47
	v_lshlrev_b32_e32 v83, 16, v45
	v_mul_f32_e32 v65, v65, v84
	v_mul_f32_e32 v19, v19, v46
	v_and_b32_e32 v47, 0xffff0000, v47
	s_waitcnt vmcnt(7)
	v_lshlrev_b32_e32 v86, 16, v48
	v_and_b32_e32 v48, 0xffff0000, v48
	v_fmac_f32_e32 v65, v31, v82
	v_mul_f32_e32 v66, v66, v85
	v_fmac_f32_e32 v19, v17, v44
	v_and_b32_e32 v45, 0xffff0000, v45
	v_lshlrev_b32_e32 v87, 16, v49
	s_waitcnt vmcnt(6)
	v_lshlrev_b32_e32 v88, 16, v50
	v_and_b32_e32 v50, 0xffff0000, v50
	v_fmac_f32_e32 v66, v64, v83
	v_mul_f32_e32 v20, v20, v47
	v_fmac_f32_e32 v65, v67, v86
	v_fmac_f32_e32 v19, v21, v48
	v_and_b32_e32 v49, 0xffff0000, v49
	v_lshlrev_b32_e32 v89, 16, v51
	s_waitcnt vmcnt(5)
	v_lshlrev_b32_e32 v90, 16, v52
	v_and_b32_e32 v52, 0xffff0000, v52
	v_fmac_f32_e32 v20, v18, v45
	v_fmac_f32_e32 v66, v68, v87
	v_fmac_f32_e32 v65, v69, v88
	v_fmac_f32_e32 v19, v23, v50
	v_and_b32_e32 v51, 0xffff0000, v51
	v_lshlrev_b32_e32 v84, 16, v53
	s_waitcnt vmcnt(4)
	v_lshlrev_b32_e32 v31, 16, v54
	v_and_b32_e32 v54, 0xffff0000, v54
	v_fmac_f32_e32 v20, v22, v49
	v_fmac_f32_e32 v66, v70, v89
	;; [unrolled: 9-line block ×3, first 2 shown]
	v_fmac_f32_e32 v65, v73, v31
	v_fmac_f32_e32 v19, v27, v54
	v_and_b32_e32 v55, 0xffff0000, v55
	v_lshlrev_b32_e32 v44, 16, v57
	v_and_b32_e32 v56, 0xffff0000, v57
	s_waitcnt vmcnt(2)
	v_lshlrev_b32_e32 v57, 16, v58
	v_and_b32_e32 v58, 0xffff0000, v58
	v_fmac_f32_e32 v20, v26, v53
	v_fmac_f32_e32 v66, v74, v46
	;; [unrolled: 1-line block ×4, first 2 shown]
	v_lshlrev_b32_e32 v64, 16, v59
	s_waitcnt vmcnt(1)
	v_lshlrev_b32_e32 v21, 16, v60
	v_and_b32_e32 v18, 0xffff0000, v60
	v_fmac_f32_e32 v20, v28, v55
	v_fmac_f32_e32 v66, v76, v44
	;; [unrolled: 1-line block ×4, first 2 shown]
	v_and_b32_e32 v59, 0xffff0000, v59
	v_lshlrev_b32_e32 v22, 16, v61
	s_waitcnt vmcnt(0)
	v_lshlrev_b32_e32 v17, 16, v62
	v_and_b32_e32 v24, 0xffff0000, v62
	v_fmac_f32_e32 v20, v37, v56
	v_fmac_f32_e32 v66, v78, v64
	;; [unrolled: 1-line block ×4, first 2 shown]
	v_and_b32_e32 v23, 0xffff0000, v61
	v_lshlrev_b32_e32 v18, 16, v63
	v_fmac_f32_e32 v20, v39, v59
	v_fmac_f32_e32 v66, v80, v22
	;; [unrolled: 1-line block ×4, first 2 shown]
	v_and_b32_e32 v17, 0xffff0000, v43
	v_fmac_f32_e32 v20, v41, v23
	v_and_b32_e32 v21, 0xffff0000, v63
	v_fmac_f32_e32 v66, v91, v18
	v_add_f32_e32 v18, v65, v19
	v_cndmask_b32_e64 v19, v4, v10, s2
	v_fmac_f32_e32 v20, v17, v21
	v_add_f32_e32 v17, v18, v66
	v_lshlrev_b32_e32 v18, 2, v19
	v_add_f32_e32 v17, v20, v17
	ds_bpermute_b32 v18, v18, v17
	s_and_saveexec_b32 s44, vcc_lo
	s_cbranch_execz .LBB155_11
; %bb.19:                               ;   in Loop: Header=BB155_13 Depth=1
	v_add_nc_u32_e32 v19, v11, v8
	s_waitcnt lgkmcnt(0)
	v_add_f32_e32 v17, v17, v18
	v_cvt_f32_i32_e32 v19, v19
	v_mul_f32_e32 v19, s40, v19
	v_cndmask_b32_e64 v18, 0, v19, s1
	v_max_f32_e32 v19, v5, v5
	v_fmac_f32_e32 v18, s37, v17
	v_add_nc_u32_e32 v17, v6, v8
	v_max_f32_e32 v19, v19, v18
	v_cmp_gt_i32_e64 s2, s27, v17
	v_cndmask_b32_e64 v17, 0, v18, s2
	v_cndmask_b32_e64 v5, v5, v19, s2
	ds_write_b32 v12, v17
	s_branch .LBB155_11
.LBB155_20:
	s_or_b32 exec_lo, exec_lo, s15
.LBB155_21:
	s_or_b32 exec_lo, exec_lo, s42
	v_xor_b32_e32 v1, 16, v4
	v_xor_b32_e32 v2, 8, v4
	v_max_f32_e32 v7, v5, v5
	v_xor_b32_e32 v8, 2, v4
	v_and_b32_e32 v36, 31, v0
	v_cmp_gt_i32_e32 vcc_lo, 32, v1
	v_cndmask_b32_e32 v1, v4, v1, vcc_lo
	v_cmp_gt_i32_e32 vcc_lo, 32, v2
	v_lshlrev_b32_e32 v6, 2, v1
	v_cndmask_b32_e32 v2, v4, v2, vcc_lo
	ds_bpermute_b32 v1, v6, v5
	v_lshlrev_b32_e32 v5, 2, v2
	s_waitcnt lgkmcnt(0)
	v_max_f32_e32 v1, v1, v1
	v_max_f32_e32 v1, v7, v1
	v_xor_b32_e32 v7, 4, v4
	ds_bpermute_b32 v2, v5, v1
	v_cmp_gt_i32_e32 vcc_lo, 32, v7
	v_cndmask_b32_e32 v7, v4, v7, vcc_lo
	v_cmp_gt_i32_e32 vcc_lo, 32, v8
	v_lshlrev_b32_e32 v7, 2, v7
	v_cndmask_b32_e32 v8, v4, v8, vcc_lo
	v_cmp_eq_u32_e32 vcc_lo, 0, v36
	s_waitcnt lgkmcnt(0)
	v_max_f32_e32 v2, v2, v2
	v_max_f32_e32 v1, v1, v2
	ds_bpermute_b32 v2, v7, v1
	s_waitcnt lgkmcnt(0)
	v_max_f32_e32 v2, v2, v2
	v_max_f32_e32 v1, v1, v2
	v_lshlrev_b32_e32 v2, 2, v8
	v_lshlrev_b32_e32 v8, 2, v34
	ds_bpermute_b32 v9, v2, v1
	s_and_saveexec_b32 s1, vcc_lo
	s_cbranch_execz .LBB155_23
; %bb.22:
	s_waitcnt lgkmcnt(0)
	v_max_f32_e32 v9, v9, v9
	v_max_f32_e32 v1, v1, v1
	;; [unrolled: 1-line block ×3, first 2 shown]
	ds_write_b32 v8, v1 offset:160
.LBB155_23:
	s_or_b32 exec_lo, exec_lo, s1
	v_cmp_gt_u32_e64 s1, 4, v36
	v_mov_b32_e32 v1, 0xff7fffff
	s_waitcnt lgkmcnt(0)
	v_lshlrev_b32_e32 v9, 2, v36
	s_barrier
	buffer_gl0_inv
	s_and_saveexec_b32 s2, s1
; %bb.24:
	ds_read_b32 v1, v9 offset:160
; %bb.25:
	s_or_b32 exec_lo, exec_lo, s2
	s_waitcnt lgkmcnt(0)
	ds_bpermute_b32 v10, v2, v1
	v_xor_b32_e32 v11, 1, v4
	v_max_f32_e32 v1, v1, v1
	v_cmp_gt_i32_e64 s2, 32, v11
	v_cndmask_b32_e64 v4, v4, v11, s2
	s_sub_i32 s2, s16, s41
	s_lshl_b32 s2, s2, 4
	v_lshlrev_b32_e32 v37, 2, v4
	s_add_i32 s2, s2, s38
	s_min_i32 s2, s2, s27
	s_waitcnt lgkmcnt(0)
	v_max_f32_e32 v10, v10, v10
	s_sub_i32 s4, s2, s38
	v_cmp_gt_i32_e64 s2, s4, v0
	v_max_f32_e32 v1, v1, v10
	v_mov_b32_e32 v10, 0
	ds_bpermute_b32 v4, v37, v1
	s_waitcnt lgkmcnt(0)
	v_max_f32_e32 v4, v4, v4
	v_max_f32_e32 v1, v1, v4
	v_lshl_add_u32 v4, v0, 2, 0xc0
	ds_bpermute_b32 v1, v10, v1
	s_and_saveexec_b32 s5, s2
	s_cbranch_execz .LBB155_29
; %bb.26:
	v_lshl_add_u32 v11, v0, 2, 0xc0
	v_mov_b32_e32 v10, 0
	v_mov_b32_e32 v12, v0
	s_mov_b32 s15, 0
	.p2align	6
.LBB155_27:                             ; =>This Inner Loop Header: Depth=1
	ds_read_b32 v13, v11
	v_add_nc_u32_e32 v12, 0x80, v12
	v_cmp_le_i32_e64 s3, s4, v12
	s_or_b32 s15, s3, s15
	s_waitcnt lgkmcnt(0)
	v_sub_f32_e32 v13, v13, v1
	v_mul_f32_e32 v13, 0x3fb8aa3b, v13
	v_exp_f32_e32 v13, v13
	ds_write_b32 v11, v13
	v_add_f32_e32 v10, v10, v13
	v_add_nc_u32_e32 v11, 0x200, v11
	s_andn2_b32 exec_lo, exec_lo, s15
	s_cbranch_execnz .LBB155_27
; %bb.28:
	s_or_b32 exec_lo, exec_lo, s15
.LBB155_29:
	s_or_b32 exec_lo, exec_lo, s5
	ds_bpermute_b32 v6, v6, v10
	s_waitcnt lgkmcnt(0)
	v_add_f32_e32 v6, v10, v6
	ds_bpermute_b32 v5, v5, v6
	s_waitcnt lgkmcnt(0)
	v_add_f32_e32 v5, v6, v5
	;; [unrolled: 3-line block ×5, first 2 shown]
	s_and_saveexec_b32 s3, vcc_lo
; %bb.30:
	ds_write_b32 v8, v5 offset:176
; %bb.31:
	s_or_b32 exec_lo, exec_lo, s3
	s_waitcnt lgkmcnt(0)
	s_barrier
	buffer_gl0_inv
	s_and_saveexec_b32 s3, s1
; %bb.32:
	ds_read_b32 v5, v9 offset:176
; %bb.33:
	s_or_b32 exec_lo, exec_lo, s3
	s_waitcnt lgkmcnt(0)
	ds_bpermute_b32 v2, v2, v5
	s_waitcnt lgkmcnt(0)
	v_add_f32_e32 v2, v5, v2
	ds_bpermute_b32 v5, v37, v2
	s_waitcnt lgkmcnt(0)
	v_add_f32_e32 v2, v2, v5
	v_mov_b32_e32 v5, 0
	ds_bpermute_b32 v2, v5, v2
	s_and_saveexec_b32 s1, s2
	s_cbranch_execz .LBB155_36
; %bb.34:
	s_waitcnt lgkmcnt(0)
	v_add_f32_e32 v5, 0x358637bd, v2
	s_mov_b32 s2, 0
	v_div_scale_f32 v6, null, v5, v5, 1.0
	v_div_scale_f32 v9, vcc_lo, 1.0, v5, 1.0
	v_rcp_f32_e32 v7, v6
	v_fma_f32 v8, -v6, v7, 1.0
	v_fmac_f32_e32 v7, v8, v7
	v_mul_f32_e32 v8, v9, v7
	v_fma_f32 v10, -v6, v8, v9
	v_fmac_f32_e32 v8, v10, v7
	v_fma_f32 v6, -v6, v8, v9
	v_div_fmas_f32 v6, v6, v7, v8
	v_div_fixup_f32 v5, v6, v5, 1.0
	v_mov_b32_e32 v6, v0
.LBB155_35:                             ; =>This Inner Loop Header: Depth=1
	ds_read_b32 v7, v4
	v_add_nc_u32_e32 v6, 0x80, v6
	v_cmp_le_i32_e32 vcc_lo, s4, v6
	s_or_b32 s2, vcc_lo, s2
	s_waitcnt lgkmcnt(0)
	v_mul_f32_e32 v7, v5, v7
	ds_write_b32 v4, v7
	v_add_nc_u32_e32 v4, 0x200, v4
	s_andn2_b32 exec_lo, exec_lo, s2
	s_cbranch_execnz .LBB155_35
.LBB155_36:
	s_or_b32 exec_lo, exec_lo, s1
	s_mul_i32 s1, s7, s26
	s_waitcnt lgkmcnt(0)
	s_mul_i32 s4, s1, s9
	s_mov_b32 s1, exec_lo
	s_barrier
	buffer_gl0_inv
	v_cmpx_eq_u32_e32 0, v0
	s_cbranch_execz .LBB155_38
; %bb.37:
	s_ashr_i32 s5, s4, 31
	s_mul_i32 s40, s7, s6
	s_lshl_b64 s[2:3], s[4:5], 2
	v_mov_b32_e32 v4, 0
	s_add_u32 s5, s22, s2
	s_addc_u32 s6, s23, s3
	s_ashr_i32 s41, s40, 31
	s_lshl_b64 s[22:23], s[40:41], 2
	s_add_u32 s5, s5, s22
	s_addc_u32 s6, s6, s23
	s_ashr_i32 s9, s8, 31
	s_lshl_b64 s[40:41], s[8:9], 2
	s_add_u32 s42, s5, s40
	s_addc_u32 s43, s6, s41
	s_add_u32 s2, s20, s2
	s_addc_u32 s3, s21, s3
	;; [unrolled: 2-line block ×4, first 2 shown]
	global_store_dword v4, v1, s[42:43]
	global_store_dword v4, v2, s[2:3]
.LBB155_38:
	s_or_b32 exec_lo, exec_lo, s1
	v_mov_b32_e32 v43, 0
	v_mov_b32_e32 v41, 0
	v_mov_b32_e32 v40, 0
	v_mov_b32_e32 v39, 0
	v_mov_b32_e32 v38, 0
	s_and_saveexec_b32 s3, s0
	s_cbranch_execz .LBB155_54
; %bb.39:
	s_ashr_i32 s15, s14, 31
	s_sub_i32 s5, s39, s17
	s_lshl_b64 s[0:1], s[14:15], 1
	v_and_b32_e32 v42, 8, v3
	s_add_u32 s2, s34, s0
	s_addc_u32 s14, s35, s1
	s_abs_i32 s6, s18
	v_lshlrev_b32_e32 v4, 4, v0
	v_cvt_f32_u32_e32 v1, s6
	s_sub_i32 s0, 0, s6
	v_lshlrev_b32_e32 v5, 5, v33
	s_add_i32 s9, s36, -1
	v_and_b32_e32 v4, 0x1f0, v4
	v_rcp_iflag_f32_e32 v1, v1
	v_mov_b32_e32 v44, 0
	v_lshl_or_b32 v5, v34, 6, v5
	v_mov_b32_e32 v38, 0
	v_add_co_u32 v45, s2, s2, v4
	v_mov_b32_e32 v39, 0
	v_mov_b32_e32 v40, 0
	;; [unrolled: 1-line block ×3, first 2 shown]
	v_add_co_ci_u32_e64 v46, null, s14, 0, s2
	v_mul_f32_e32 v3, 0x4f7ffffe, v1
	v_lshlrev_b64 v[1:2], 2, v[29:30]
	v_add_nc_u32_e32 v47, 0xc0, v5
	v_mov_b32_e32 v43, 0
	s_mov_b32 s15, s27
	v_cvt_u32_f32_e32 v3, v3
	s_mov_b32 s14, 0
	v_mul_lo_u32 v6, s0, v3
	s_lshl_b64 s[0:1], s[30:31], 2
	s_add_u32 s0, s28, s0
	s_addc_u32 s1, s29, s1
	v_add_co_u32 v30, vcc_lo, s0, v1
	v_add_co_ci_u32_e64 v31, null, s1, v2, vcc_lo
	v_mul_hi_u32 v6, v3, v6
	v_add_nc_u32_e32 v48, v3, v6
	s_branch .LBB155_42
.LBB155_40:                             ;   in Loop: Header=BB155_42 Depth=1
	s_or_b32 exec_lo, exec_lo, s2
	s_waitcnt lgkmcnt(1)
	v_bfe_u32 v49, v21, 16, 1
	v_bfe_u32 v50, v22, 16, 1
	v_or_b32_e32 v51, 0x400000, v21
	v_cmp_u_f32_e32 vcc_lo, v21, v21
	v_or_b32_e32 v52, 0x400000, v22
	v_add3_u32 v49, v49, v21, 0x7fff
	v_bfe_u32 v53, v23, 16, 1
	v_add3_u32 v50, v50, v22, 0x7fff
	v_bfe_u32 v54, v24, 16, 1
	s_waitcnt vmcnt(1)
	v_and_b32_e32 v56, 0xffff0000, v28
	v_cndmask_b32_e32 v21, v49, v51, vcc_lo
	v_cmp_u_f32_e32 vcc_lo, v22, v22
	v_add3_u32 v49, v53, v23, 0x7fff
	v_add3_u32 v51, v54, v24, 0x7fff
	s_waitcnt lgkmcnt(0)
	v_bfe_u32 v53, v17, 16, 1
	v_and_b32_e32 v21, 0xffff0000, v21
	v_cndmask_b32_e32 v22, v50, v52, vcc_lo
	v_or_b32_e32 v50, 0x400000, v23
	v_cmp_u_f32_e32 vcc_lo, v23, v23
	v_or_b32_e32 v52, 0x400000, v24
	v_lshlrev_b32_e32 v28, 16, v28
	v_cndmask_b32_e32 v23, v49, v50, vcc_lo
	v_cmp_u_f32_e32 vcc_lo, v24, v24
	v_bfe_u32 v49, v18, 16, 1
	v_add3_u32 v50, v53, v17, 0x7fff
	v_bfe_u32 v53, v19, 16, 1
	v_cndmask_b32_e32 v24, v51, v52, vcc_lo
	v_or_b32_e32 v51, 0x400000, v17
	v_cmp_u_f32_e32 vcc_lo, v17, v17
	v_add3_u32 v49, v49, v18, 0x7fff
	v_or_b32_e32 v52, 0x400000, v18
	v_and_b32_e32 v17, 0xffff0000, v22
	v_and_b32_e32 v22, 0xffff0000, v25
	v_cndmask_b32_e32 v50, v50, v51, vcc_lo
	v_cmp_u_f32_e32 vcc_lo, v18, v18
	v_add3_u32 v18, v53, v19, 0x7fff
	v_bfe_u32 v51, v20, 16, 1
	v_lshlrev_b32_e32 v25, 16, v25
	v_mul_f32_e32 v22, v17, v22
	v_cndmask_b32_e32 v49, v49, v52, vcc_lo
	v_or_b32_e32 v52, 0x400000, v19
	v_cmp_u_f32_e32 vcc_lo, v19, v19
	v_add3_u32 v51, v51, v20, 0x7fff
	v_or_b32_e32 v53, 0x400000, v20
	v_mul_f32_e32 v25, v21, v25
	v_bfe_u32 v19, v22, 16, 1
	v_cndmask_b32_e32 v52, v18, v52, vcc_lo
	v_cmp_u_f32_e32 vcc_lo, v20, v20
	v_and_b32_e32 v18, 0xffff0000, v24
	v_and_b32_e32 v24, 0xffff0000, v26
	v_add3_u32 v19, v19, v22, 0x7fff
	v_or_b32_e32 v54, 0x400000, v25
	v_cndmask_b32_e32 v20, v51, v53, vcc_lo
	v_bfe_u32 v51, v25, 16, 1
	v_or_b32_e32 v53, 0x400000, v22
	v_cmp_u_f32_e32 vcc_lo, v22, v22
	v_mul_f32_e32 v55, v18, v24
	v_and_b32_e32 v24, 0xffff0000, v23
	v_add3_u32 v51, v51, v25, 0x7fff
	v_lshlrev_b32_e32 v23, 16, v26
	v_cndmask_b32_e32 v26, v19, v53, vcc_lo
	v_cmp_u_f32_e32 vcc_lo, v25, v25
	v_and_b32_e32 v19, 0xffff0000, v49
	v_and_b32_e32 v49, 0xffff0000, v27
	v_mul_f32_e32 v23, v24, v23
	v_and_b32_e32 v22, 0xffff0000, v50
	v_cndmask_b32_e32 v25, v51, v54, vcc_lo
	v_bfe_u32 v51, v55, 16, 1
	v_lshlrev_b32_e32 v27, 16, v27
	v_bfe_u32 v53, v23, 16, 1
	v_mul_f32_e32 v49, v19, v49
	v_cmp_u_f32_e32 vcc_lo, v55, v55
	v_add3_u32 v50, v51, v55, 0x7fff
	v_or_b32_e32 v51, 0x400000, v55
	v_mul_f32_e32 v27, v22, v27
	v_bfe_u32 v54, v49, 16, 1
	v_and_b32_e32 v20, 0xffff0000, v20
	v_and_b32_e32 v25, 0xffff0000, v25
	v_cndmask_b32_e32 v50, v50, v51, vcc_lo
	v_add3_u32 v51, v53, v23, 0x7fff
	v_or_b32_e32 v53, 0x400000, v23
	v_cmp_u_f32_e32 vcc_lo, v23, v23
	v_bfe_u32 v55, v27, 16, 1
	v_mul_f32_e32 v56, v20, v56
	v_and_b32_e32 v23, 0xffff0000, v52
	v_or_b32_e32 v52, 0x400000, v27
	v_cndmask_b32_e32 v51, v51, v53, vcc_lo
	v_add3_u32 v53, v54, v49, 0x7fff
	v_or_b32_e32 v54, 0x400000, v49
	v_cmp_u_f32_e32 vcc_lo, v49, v49
	v_add3_u32 v55, v55, v27, 0x7fff
	v_bfe_u32 v57, v56, 16, 1
	v_mul_f32_e32 v28, v23, v28
	v_and_b32_e32 v26, 0xffff0000, v26
	v_cndmask_b32_e32 v49, v53, v54, vcc_lo
	v_cmp_u_f32_e32 vcc_lo, v27, v27
	v_or_b32_e32 v53, 0x400000, v56
	v_bfe_u32 v54, v28, 16, 1
	v_and_b32_e32 v51, 0xffff0000, v51
	v_and_b32_e32 v50, 0xffff0000, v50
	v_cndmask_b32_e32 v27, v55, v52, vcc_lo
	v_add3_u32 v52, v57, v56, 0x7fff
	v_cmp_u_f32_e32 vcc_lo, v56, v56
	v_add_f32_e32 v25, v25, v26
	v_add_f32_e32 v26, v51, v50
	v_and_b32_e32 v50, 0xffff0000, v13
	v_and_b32_e32 v27, 0xffff0000, v27
	v_cndmask_b32_e32 v52, v52, v53, vcc_lo
	v_add3_u32 v53, v54, v28, 0x7fff
	v_or_b32_e32 v54, 0x400000, v28
	v_cmp_u_f32_e32 vcc_lo, v28, v28
	v_and_b32_e32 v49, 0xffff0000, v49
	v_lshlrev_b32_e32 v13, 16, v13
	v_add_f32_e32 v25, v26, v25
	v_mul_f32_e32 v26, v17, v50
	v_cndmask_b32_e32 v28, v53, v54, vcc_lo
	v_add_f32_e32 v27, v27, v49
	v_mul_f32_e32 v49, v21, v13
	v_and_b32_e32 v50, 0xffff0000, v52
	v_bfe_u32 v51, v26, 16, 1
	v_and_b32_e32 v28, 0xffff0000, v28
	v_and_b32_e32 v52, 0xffff0000, v14
	v_add_f32_e32 v13, v27, v25
	v_bfe_u32 v27, v49, 16, 1
	v_lshlrev_b32_e32 v14, 16, v14
	v_add_f32_e32 v25, v28, v50
	v_add3_u32 v28, v51, v26, 0x7fff
	v_or_b32_e32 v50, 0x400000, v26
	v_mul_f32_e32 v51, v18, v52
	v_cmp_u_f32_e32 vcc_lo, v26, v26
	v_add3_u32 v27, v27, v49, 0x7fff
	v_or_b32_e32 v52, 0x400000, v49
	v_mul_f32_e32 v14, v24, v14
	v_and_b32_e32 v53, 0xffff0000, v16
	v_cndmask_b32_e32 v26, v28, v50, vcc_lo
	v_bfe_u32 v28, v51, 16, 1
	v_cmp_u_f32_e32 vcc_lo, v49, v49
	v_and_b32_e32 v49, 0xffff0000, v15
	v_or_b32_e32 v50, 0x400000, v51
	v_lshlrev_b32_e32 v15, 16, v15
	v_add3_u32 v28, v28, v51, 0x7fff
	v_cndmask_b32_e32 v27, v27, v52, vcc_lo
	v_bfe_u32 v52, v14, 16, 1
	v_mul_f32_e32 v49, v19, v49
	v_cmp_u_f32_e32 vcc_lo, v51, v51
	v_mul_f32_e32 v15, v22, v15
	v_or_b32_e32 v51, 0x400000, v14
	v_lshlrev_b32_e32 v16, 16, v16
	v_and_b32_e32 v27, 0xffff0000, v27
	v_cndmask_b32_e32 v28, v28, v50, vcc_lo
	v_add3_u32 v50, v52, v14, 0x7fff
	v_bfe_u32 v52, v49, 16, 1
	v_cmp_u_f32_e32 vcc_lo, v14, v14
	v_bfe_u32 v54, v15, 16, 1
	v_mul_f32_e32 v16, v23, v16
	v_and_b32_e32 v26, 0xffff0000, v26
	v_and_b32_e32 v28, 0xffff0000, v28
	v_cndmask_b32_e32 v14, v50, v51, vcc_lo
	v_add3_u32 v50, v52, v49, 0x7fff
	v_mul_f32_e32 v51, v20, v53
	v_or_b32_e32 v52, 0x400000, v49
	v_cmp_u_f32_e32 vcc_lo, v49, v49
	v_add3_u32 v53, v54, v15, 0x7fff
	v_or_b32_e32 v54, 0x400000, v15
	v_bfe_u32 v55, v51, 16, 1
	v_and_b32_e32 v14, 0xffff0000, v14
	v_cndmask_b32_e32 v49, v50, v52, vcc_lo
	v_cmp_u_f32_e32 vcc_lo, v15, v15
	v_or_b32_e32 v52, 0x400000, v51
	v_add3_u32 v50, v55, v51, 0x7fff
	v_add_f32_e32 v26, v27, v26
	v_add_f32_e32 v14, v14, v28
	v_cndmask_b32_e32 v15, v53, v54, vcc_lo
	v_bfe_u32 v53, v16, 16, 1
	v_cmp_u_f32_e32 vcc_lo, v51, v51
	v_and_b32_e32 v28, 0xffff0000, v9
	v_and_b32_e32 v27, 0xffff0000, v49
	;; [unrolled: 1-line block ×3, first 2 shown]
	v_add3_u32 v51, v53, v16, 0x7fff
	v_cndmask_b32_e32 v50, v50, v52, vcc_lo
	v_or_b32_e32 v52, 0x400000, v16
	v_cmp_u_f32_e32 vcc_lo, v16, v16
	v_lshlrev_b32_e32 v9, 16, v9
	v_add_f32_e32 v14, v14, v26
	v_mul_f32_e32 v26, v17, v28
	v_add_f32_e32 v15, v15, v27
	v_cndmask_b32_e32 v16, v51, v52, vcc_lo
	v_mul_f32_e32 v27, v21, v9
	v_and_b32_e32 v28, 0xffff0000, v50
	v_and_b32_e32 v49, 0xffff0000, v10
	v_bfe_u32 v50, v26, 16, 1
	v_and_b32_e32 v16, 0xffff0000, v16
	v_add_f32_e32 v9, v15, v14
	v_bfe_u32 v15, v27, 16, 1
	v_cmp_u_f32_e32 vcc_lo, v26, v26
	v_lshlrev_b32_e32 v10, 16, v10
	v_add_f32_e32 v14, v16, v28
	v_mul_f32_e32 v16, v18, v49
	v_add3_u32 v28, v50, v26, 0x7fff
	v_or_b32_e32 v49, 0x400000, v26
	v_add3_u32 v15, v15, v27, 0x7fff
	v_or_b32_e32 v50, 0x400000, v27
	v_bfe_u32 v51, v16, 16, 1
	v_mul_f32_e32 v10, v24, v10
	v_cndmask_b32_e32 v26, v28, v49, vcc_lo
	v_cmp_u_f32_e32 vcc_lo, v27, v27
	v_or_b32_e32 v28, 0x400000, v16
	v_add3_u32 v27, v51, v16, 0x7fff
	v_and_b32_e32 v49, 0xffff0000, v11
	v_lshlrev_b32_e32 v11, 16, v11
	v_cndmask_b32_e32 v15, v15, v50, vcc_lo
	v_cmp_u_f32_e32 vcc_lo, v16, v16
	v_bfe_u32 v50, v10, 16, 1
	v_and_b32_e32 v26, 0xffff0000, v26
	v_mul_f32_e32 v11, v22, v11
	v_and_b32_e32 v15, 0xffff0000, v15
	v_cndmask_b32_e32 v16, v27, v28, vcc_lo
	v_mul_f32_e32 v27, v19, v49
	v_add3_u32 v28, v50, v10, 0x7fff
	v_or_b32_e32 v49, 0x400000, v10
	v_and_b32_e32 v50, 0xffff0000, v12
	v_cmp_u_f32_e32 vcc_lo, v10, v10
	v_bfe_u32 v51, v27, 16, 1
	v_bfe_u32 v52, v11, 16, 1
	v_lshlrev_b32_e32 v12, 16, v12
	v_and_b32_e32 v16, 0xffff0000, v16
	v_cndmask_b32_e32 v10, v28, v49, vcc_lo
	v_mul_f32_e32 v28, v20, v50
	v_add3_u32 v49, v51, v27, 0x7fff
	v_or_b32_e32 v50, 0x400000, v27
	v_cmp_u_f32_e32 vcc_lo, v27, v27
	v_add3_u32 v51, v52, v11, 0x7fff
	v_or_b32_e32 v52, 0x400000, v11
	v_bfe_u32 v53, v28, 16, 1
	v_and_b32_e32 v10, 0xffff0000, v10
	v_cndmask_b32_e32 v27, v49, v50, vcc_lo
	v_cmp_u_f32_e32 vcc_lo, v11, v11
	v_or_b32_e32 v50, 0x400000, v28
	v_add3_u32 v49, v53, v28, 0x7fff
	v_mul_f32_e32 v12, v23, v12
	v_add_f32_e32 v15, v15, v26
	v_cndmask_b32_e32 v11, v51, v52, vcc_lo
	v_cmp_u_f32_e32 vcc_lo, v28, v28
	v_add_f32_e32 v10, v10, v16
	v_and_b32_e32 v16, 0xffff0000, v1
	v_and_b32_e32 v26, 0xffff0000, v27
	;; [unrolled: 1-line block ×3, first 2 shown]
	v_cndmask_b32_e32 v28, v49, v50, vcc_lo
	v_bfe_u32 v49, v12, 16, 1
	v_add_f32_e32 v10, v10, v15
	v_mul_f32_e32 v15, v17, v16
	v_add_f32_e32 v11, v11, v26
	v_lshlrev_b32_e32 v1, 16, v1
	v_add3_u32 v27, v49, v12, 0x7fff
	v_or_b32_e32 v49, 0x400000, v12
	v_cmp_u_f32_e32 vcc_lo, v12, v12
	v_bfe_u32 v16, v15, 16, 1
	v_add_f32_e32 v10, v11, v10
	v_and_b32_e32 v11, 0xffff0000, v2
	v_mul_f32_e32 v1, v21, v1
	v_cndmask_b32_e32 v12, v27, v49, vcc_lo
	v_add3_u32 v16, v16, v15, 0x7fff
	v_or_b32_e32 v26, 0x400000, v15
	v_mul_f32_e32 v11, v18, v11
	v_and_b32_e32 v27, 0xffff0000, v28
	v_bfe_u32 v28, v1, 16, 1
	v_cmp_u_f32_e32 vcc_lo, v15, v15
	v_lshlrev_b32_e32 v2, 16, v2
	v_or_b32_e32 v49, 0x400000, v1
	v_or_b32_e32 v50, 0x400000, v11
	v_and_b32_e32 v12, 0xffff0000, v12
	v_cndmask_b32_e32 v15, v16, v26, vcc_lo
	v_bfe_u32 v16, v11, 16, 1
	v_add3_u32 v26, v28, v1, 0x7fff
	v_and_b32_e32 v28, 0xffff0000, v3
	v_mul_f32_e32 v2, v24, v2
	v_cmp_u_f32_e32 vcc_lo, v1, v1
	v_add3_u32 v16, v16, v11, 0x7fff
	v_lshlrev_b32_e32 v3, 16, v3
	v_mul_f32_e32 v28, v19, v28
	v_and_b32_e32 v15, 0xffff0000, v15
	v_cndmask_b32_e32 v1, v26, v49, vcc_lo
	v_bfe_u32 v26, v2, 16, 1
	v_cmp_u_f32_e32 vcc_lo, v11, v11
	v_and_b32_e32 v49, 0xffff0000, v4
	v_mul_f32_e32 v3, v22, v3
	v_or_b32_e32 v51, 0x400000, v28
	v_add3_u32 v26, v26, v2, 0x7fff
	v_cndmask_b32_e32 v11, v16, v50, vcc_lo
	v_bfe_u32 v16, v28, 16, 1
	v_or_b32_e32 v50, 0x400000, v2
	v_cmp_u_f32_e32 vcc_lo, v2, v2
	v_mul_f32_e32 v49, v20, v49
	v_lshlrev_b32_e32 v4, 16, v4
	v_add3_u32 v16, v16, v28, 0x7fff
	v_and_b32_e32 v1, 0xffff0000, v1
	v_cndmask_b32_e32 v2, v26, v50, vcc_lo
	v_bfe_u32 v26, v3, 16, 1
	v_cmp_u_f32_e32 vcc_lo, v28, v28
	v_bfe_u32 v50, v49, 16, 1
	v_or_b32_e32 v28, 0x400000, v3
	v_mul_f32_e32 v4, v23, v4
	v_add3_u32 v26, v26, v3, 0x7fff
	v_cndmask_b32_e32 v16, v16, v51, vcc_lo
	v_cmp_u_f32_e32 vcc_lo, v3, v3
	v_add3_u32 v50, v50, v49, 0x7fff
	v_or_b32_e32 v51, 0x400000, v49
	v_and_b32_e32 v2, 0xffff0000, v2
	v_and_b32_e32 v11, 0xffff0000, v11
	v_cndmask_b32_e32 v3, v26, v28, vcc_lo
	v_cmp_u_f32_e32 vcc_lo, v49, v49
	v_bfe_u32 v28, v4, 16, 1
	v_add_f32_e32 v1, v1, v15
	v_add_f32_e32 v2, v2, v11
	v_and_b32_e32 v3, 0xffff0000, v3
	v_cndmask_b32_e32 v26, v50, v51, vcc_lo
	s_waitcnt vmcnt(0)
	v_lshlrev_b32_e32 v50, 16, v5
	v_and_b32_e32 v11, 0xffff0000, v16
	v_and_b32_e32 v5, 0xffff0000, v5
	v_add3_u32 v28, v28, v4, 0x7fff
	v_or_b32_e32 v49, 0x400000, v4
	v_mul_f32_e32 v15, v21, v50
	v_cmp_u_f32_e32 vcc_lo, v4, v4
	v_add_f32_e32 v1, v2, v1
	v_add_f32_e32 v3, v3, v11
	v_mul_f32_e32 v5, v17, v5
	v_bfe_u32 v2, v15, 16, 1
	v_lshlrev_b32_e32 v11, 16, v6
	v_cndmask_b32_e32 v4, v28, v49, vcc_lo
	v_or_b32_e32 v16, 0x400000, v15
	v_bfe_u32 v17, v5, 16, 1
	v_add3_u32 v2, v2, v15, 0x7fff
	v_mul_f32_e32 v11, v24, v11
	v_and_b32_e32 v6, 0xffff0000, v6
	v_cmp_u_f32_e32 vcc_lo, v15, v15
	v_add3_u32 v15, v17, v5, 0x7fff
	v_and_b32_e32 v4, 0xffff0000, v4
	v_bfe_u32 v17, v11, 16, 1
	v_mul_f32_e32 v6, v18, v6
	v_cndmask_b32_e32 v2, v2, v16, vcc_lo
	v_or_b32_e32 v16, 0x400000, v5
	v_lshlrev_b32_e32 v18, 16, v7
	v_cmp_u_f32_e32 vcc_lo, v5, v5
	v_and_b32_e32 v7, 0xffff0000, v7
	v_and_b32_e32 v2, 0xffff0000, v2
	v_add_f32_e32 v1, v3, v1
	v_mul_f32_e32 v18, v22, v18
	v_cndmask_b32_e32 v5, v15, v16, vcc_lo
	v_add3_u32 v15, v17, v11, 0x7fff
	v_or_b32_e32 v16, 0x400000, v11
	v_bfe_u32 v17, v6, 16, 1
	v_cmp_u_f32_e32 vcc_lo, v11, v11
	v_mul_f32_e32 v7, v19, v7
	v_lshlrev_b32_e32 v19, 16, v8
	v_and_b32_e32 v8, 0xffff0000, v8
	v_and_b32_e32 v5, 0xffff0000, v5
	v_cndmask_b32_e32 v11, v15, v16, vcc_lo
	v_add3_u32 v15, v17, v6, 0x7fff
	v_or_b32_e32 v16, 0x400000, v6
	v_bfe_u32 v17, v18, 16, 1
	v_cmp_u_f32_e32 vcc_lo, v6, v6
	v_mul_f32_e32 v8, v20, v8
	v_or_b32_e32 v20, 0x400000, v7
	v_and_b32_e32 v11, 0xffff0000, v11
	v_add_f32_e32 v2, v2, v5
	v_cndmask_b32_e32 v6, v15, v16, vcc_lo
	v_bfe_u32 v15, v7, 16, 1
	v_add3_u32 v16, v17, v18, 0x7fff
	v_mul_f32_e32 v17, v23, v19
	v_or_b32_e32 v19, 0x400000, v18
	v_cmp_u_f32_e32 vcc_lo, v18, v18
	v_add3_u32 v15, v15, v7, 0x7fff
	v_bfe_u32 v22, v8, 16, 1
	v_bfe_u32 v21, v17, 16, 1
	v_and_b32_e32 v6, 0xffff0000, v6
	v_cndmask_b32_e32 v16, v16, v19, vcc_lo
	v_cmp_u_f32_e32 vcc_lo, v7, v7
	v_add3_u32 v18, v22, v8, 0x7fff
	v_or_b32_e32 v19, 0x400000, v8
	v_add_f32_e32 v5, v11, v6
	v_cndmask_b32_e32 v7, v15, v20, vcc_lo
	v_cmp_u_f32_e32 vcc_lo, v8, v8
	v_add3_u32 v15, v21, v17, 0x7fff
	v_or_b32_e32 v20, 0x400000, v17
	v_add_f32_e32 v2, v5, v2
	v_and_b32_e32 v6, 0xffff0000, v7
	v_cndmask_b32_e32 v8, v18, v19, vcc_lo
	v_cmp_u_f32_e32 vcc_lo, v17, v17
	v_and_b32_e32 v7, 0xffff0000, v16
	v_cndmask_b32_e32 v11, v15, v20, vcc_lo
	v_and_b32_e32 v15, 0xffff0000, v26
	v_add_f32_e32 v5, v7, v6
	v_and_b32_e32 v6, 0xffff0000, v8
	v_add_f32_e32 v8, v12, v27
	;; [unrolled: 2-line block ×3, first 2 shown]
	v_add_f32_e32 v2, v5, v2
	v_add_f32_e32 v5, v25, v13
	;; [unrolled: 1-line block ×12, first 2 shown]
.LBB155_41:                             ;   in Loop: Header=BB155_42 Depth=1
	s_or_b32 exec_lo, exec_lo, s17
	v_add_nc_u32_e32 v29, 4, v29
	v_add_co_u32 v30, s0, v30, 16
	v_add_co_ci_u32_e64 v31, null, 0, v31, s0
	v_cmp_le_i32_e32 vcc_lo, s16, v29
	v_add_nc_u32_e32 v35, 64, v35
	v_add_nc_u32_e32 v47, 0x100, v47
	s_or_b32 s14, vcc_lo, s14
	s_andn2_b32 exec_lo, exec_lo, s14
	s_cbranch_execz .LBB155_53
.LBB155_42:                             ; =>This Inner Loop Header: Depth=1
	v_sub_nc_u32_e32 v1, 0, v35
	v_max_i32_e32 v1, v35, v1
	v_mul_hi_u32 v2, v1, s12
	v_mul_lo_u32 v3, v2, s11
	v_sub_nc_u32_e32 v1, v1, v3
	v_add_nc_u32_e32 v3, 1, v2
	v_subrev_nc_u32_e32 v4, s11, v1
	v_cmp_le_u32_e32 vcc_lo, s11, v1
	v_cndmask_b32_e32 v2, v2, v3, vcc_lo
	v_cndmask_b32_e32 v1, v1, v4, vcc_lo
	v_ashrrev_i32_e32 v3, 31, v35
	v_add_nc_u32_e32 v4, 1, v2
	v_cmp_le_u32_e32 vcc_lo, s11, v1
	v_xor_b32_e32 v3, s19, v3
	v_cndmask_b32_e32 v1, v2, v4, vcc_lo
	v_xor_b32_e32 v1, v1, v3
	v_sub_nc_u32_e32 v1, v1, v3
	v_add_nc_u32_e32 v2, s33, v1
	v_cmp_lt_i32_e64 s0, s5, v1
	v_sub_nc_u32_e32 v3, 0, v2
	v_max_i32_e32 v3, v2, v3
	v_ashrrev_i32_e32 v2, 31, v2
	v_mul_hi_u32 v4, v3, v48
	v_mul_lo_u32 v4, v4, s6
	v_sub_nc_u32_e32 v3, v3, v4
	v_subrev_nc_u32_e32 v4, s6, v3
	v_cmp_le_u32_e32 vcc_lo, s6, v3
	v_cndmask_b32_e32 v3, v3, v4, vcc_lo
	v_subrev_nc_u32_e32 v4, s6, v3
	v_cmp_le_u32_e32 vcc_lo, s6, v3
	v_cndmask_b32_e32 v3, v3, v4, vcc_lo
	v_xor_b32_e32 v3, v3, v2
	v_sub_nc_u32_e32 v2, v3, v2
	v_cmp_eq_u32_e32 vcc_lo, 0, v2
	s_or_b32 s0, vcc_lo, s0
	s_and_saveexec_b32 s17, s0
	s_cbranch_execz .LBB155_41
; %bb.43:                               ;   in Loop: Header=BB155_42 Depth=1
	global_load_dword v1, v[30:31], off
	v_add_nc_u32_e32 v53, v42, v35
	v_cmp_eq_u32_e64 s0, s9, v29
	v_add_nc_u32_e32 v56, 1, v53
	v_or_b32_e32 v54, 3, v53
	v_or_b32_e32 v55, 2, v53
	;; [unrolled: 1-line block ×6, first 2 shown]
	s_waitcnt vmcnt(0)
	v_mad_i64_i32 v[1:2], null, v1, s13, 0
	v_lshlrev_b64 v[1:2], 1, v[1:2]
	v_add_co_u32 v5, vcc_lo, v45, v1
	v_add_co_ci_u32_e64 v6, null, v46, v2, vcc_lo
	global_load_dwordx4 v[1:4], v[5:6], off
	ds_read2_b64 v[21:24], v47 offset1:1
	ds_read2_b64 v[17:20], v47 offset0:2 offset1:3
	s_and_saveexec_b32 s18, s0
	s_cbranch_execnz .LBB155_50
; %bb.44:                               ;   in Loop: Header=BB155_42 Depth=1
	s_or_b32 exec_lo, exec_lo, s18
	global_load_dwordx4 v[9:12], v[5:6], off offset:512
	s_and_saveexec_b32 s18, s0
	s_cbranch_execnz .LBB155_51
.LBB155_45:                             ;   in Loop: Header=BB155_42 Depth=1
	s_or_b32 exec_lo, exec_lo, s18
	global_load_dwordx4 v[13:16], v[5:6], off offset:1024
	s_and_saveexec_b32 s18, s0
	s_cbranch_execnz .LBB155_52
.LBB155_46:                             ;   in Loop: Header=BB155_42 Depth=1
	s_or_b32 exec_lo, exec_lo, s18
	global_load_dwordx4 v[25:28], v[5:6], off offset:1536
	s_and_saveexec_b32 s18, s0
	s_cbranch_execz .LBB155_48
.LBB155_47:                             ;   in Loop: Header=BB155_42 Depth=1
	v_cmp_gt_i32_e64 s1, s27, v53
	v_cmp_gt_i32_e32 vcc_lo, s15, v56
	v_cmp_gt_i32_e64 s2, s27, v55
	s_waitcnt vmcnt(0)
	v_cndmask_b32_e64 v7, 0, v25, s1
	v_cmp_gt_i32_e64 s1, s15, v54
	v_cndmask_b32_sdwa v25, v44, v25, vcc_lo dst_sel:DWORD dst_unused:UNUSED_PAD src0_sel:DWORD src1_sel:WORD_1
	v_cndmask_b32_e64 v8, 0, v26, s2
	v_cmp_gt_i32_e64 s2, s15, v52
	s_mov_b32 vcc_lo, s1
	v_cmp_gt_i32_e64 s1, s15, v50
	v_cndmask_b32_sdwa v26, v44, v26, vcc_lo dst_sel:DWORD dst_unused:UNUSED_PAD src0_sel:DWORD src1_sel:WORD_1
	v_cmp_gt_i32_e32 vcc_lo, s27, v51
	v_perm_b32 v25, v25, v7, 0x5040100
	v_perm_b32 v26, v26, v8, 0x5040100
	v_cndmask_b32_e32 v57, 0, v27, vcc_lo
	s_mov_b32 vcc_lo, s2
	v_cndmask_b32_sdwa v27, v44, v27, vcc_lo dst_sel:DWORD dst_unused:UNUSED_PAD src0_sel:DWORD src1_sel:WORD_1
	v_cmp_gt_i32_e32 vcc_lo, s27, v49
	v_perm_b32 v27, v27, v57, 0x5040100
	v_cndmask_b32_e32 v58, 0, v28, vcc_lo
	s_mov_b32 vcc_lo, s1
	v_cndmask_b32_sdwa v28, v44, v28, vcc_lo dst_sel:DWORD dst_unused:UNUSED_PAD src0_sel:DWORD src1_sel:WORD_1
	v_perm_b32 v28, v28, v58, 0x5040100
.LBB155_48:                             ;   in Loop: Header=BB155_42 Depth=1
	s_or_b32 exec_lo, exec_lo, s18
	v_add_co_u32 v5, vcc_lo, 0x800, v5
	v_add_co_ci_u32_e64 v6, null, 0, v6, vcc_lo
	global_load_dwordx4 v[5:8], v[5:6], off
	s_and_saveexec_b32 s2, s0
	s_cbranch_execz .LBB155_40
; %bb.49:                               ;   in Loop: Header=BB155_42 Depth=1
	v_cmp_gt_i32_e64 s0, s27, v53
	v_cmp_gt_i32_e32 vcc_lo, s15, v56
	v_cmp_gt_i32_e64 s1, s27, v55
	s_waitcnt vmcnt(0)
	v_cndmask_b32_e64 v53, 0, v5, s0
	v_cmp_gt_i32_e64 s0, s15, v54
	v_cndmask_b32_sdwa v5, v44, v5, vcc_lo dst_sel:DWORD dst_unused:UNUSED_PAD src0_sel:DWORD src1_sel:WORD_1
	v_cndmask_b32_e64 v54, 0, v6, s1
	v_cmp_gt_i32_e64 s1, s15, v52
	s_mov_b32 vcc_lo, s0
	v_cmp_gt_i32_e64 s0, s15, v50
	v_cndmask_b32_sdwa v6, v44, v6, vcc_lo dst_sel:DWORD dst_unused:UNUSED_PAD src0_sel:DWORD src1_sel:WORD_1
	v_cmp_gt_i32_e32 vcc_lo, s27, v51
	v_perm_b32 v5, v5, v53, 0x5040100
	v_perm_b32 v6, v6, v54, 0x5040100
	v_cndmask_b32_e32 v51, 0, v7, vcc_lo
	s_mov_b32 vcc_lo, s1
	v_cndmask_b32_sdwa v7, v44, v7, vcc_lo dst_sel:DWORD dst_unused:UNUSED_PAD src0_sel:DWORD src1_sel:WORD_1
	v_cmp_gt_i32_e32 vcc_lo, s27, v49
	v_perm_b32 v7, v7, v51, 0x5040100
	v_cndmask_b32_e32 v49, 0, v8, vcc_lo
	s_mov_b32 vcc_lo, s0
	v_cndmask_b32_sdwa v8, v44, v8, vcc_lo dst_sel:DWORD dst_unused:UNUSED_PAD src0_sel:DWORD src1_sel:WORD_1
	v_perm_b32 v8, v8, v49, 0x5040100
	s_branch .LBB155_40
.LBB155_50:                             ;   in Loop: Header=BB155_42 Depth=1
	v_cmp_gt_i32_e64 s1, s27, v53
	v_cmp_gt_i32_e32 vcc_lo, s15, v56
	v_cmp_gt_i32_e64 s2, s27, v55
	s_waitcnt vmcnt(0)
	v_cndmask_b32_e64 v7, 0, v1, s1
	v_cmp_gt_i32_e64 s1, s15, v54
	v_cndmask_b32_sdwa v1, v44, v1, vcc_lo dst_sel:DWORD dst_unused:UNUSED_PAD src0_sel:DWORD src1_sel:WORD_1
	v_cndmask_b32_e64 v8, 0, v2, s2
	v_cmp_gt_i32_e64 s2, s15, v52
	s_mov_b32 vcc_lo, s1
	v_cmp_gt_i32_e64 s1, s15, v50
	v_cndmask_b32_sdwa v2, v44, v2, vcc_lo dst_sel:DWORD dst_unused:UNUSED_PAD src0_sel:DWORD src1_sel:WORD_1
	v_cmp_gt_i32_e32 vcc_lo, s27, v51
	v_perm_b32 v1, v1, v7, 0x5040100
	v_perm_b32 v2, v2, v8, 0x5040100
	v_cndmask_b32_e32 v9, 0, v3, vcc_lo
	s_mov_b32 vcc_lo, s2
	v_cndmask_b32_sdwa v3, v44, v3, vcc_lo dst_sel:DWORD dst_unused:UNUSED_PAD src0_sel:DWORD src1_sel:WORD_1
	v_cmp_gt_i32_e32 vcc_lo, s27, v49
	v_perm_b32 v3, v3, v9, 0x5040100
	v_cndmask_b32_e32 v10, 0, v4, vcc_lo
	s_mov_b32 vcc_lo, s1
	v_cndmask_b32_sdwa v4, v44, v4, vcc_lo dst_sel:DWORD dst_unused:UNUSED_PAD src0_sel:DWORD src1_sel:WORD_1
	v_perm_b32 v4, v4, v10, 0x5040100
	s_or_b32 exec_lo, exec_lo, s18
	global_load_dwordx4 v[9:12], v[5:6], off offset:512
	s_and_saveexec_b32 s18, s0
	s_cbranch_execz .LBB155_45
.LBB155_51:                             ;   in Loop: Header=BB155_42 Depth=1
	v_cmp_gt_i32_e64 s1, s27, v53
	v_cmp_gt_i32_e32 vcc_lo, s15, v56
	v_cmp_gt_i32_e64 s2, s27, v55
	s_waitcnt vmcnt(0)
	v_cndmask_b32_e64 v7, 0, v9, s1
	v_cmp_gt_i32_e64 s1, s15, v54
	v_cndmask_b32_sdwa v9, v44, v9, vcc_lo dst_sel:DWORD dst_unused:UNUSED_PAD src0_sel:DWORD src1_sel:WORD_1
	v_cndmask_b32_e64 v8, 0, v10, s2
	v_cmp_gt_i32_e64 s2, s15, v52
	s_mov_b32 vcc_lo, s1
	v_cmp_gt_i32_e64 s1, s15, v50
	v_cndmask_b32_sdwa v10, v44, v10, vcc_lo dst_sel:DWORD dst_unused:UNUSED_PAD src0_sel:DWORD src1_sel:WORD_1
	v_cmp_gt_i32_e32 vcc_lo, s27, v51
	v_perm_b32 v9, v9, v7, 0x5040100
	v_perm_b32 v10, v10, v8, 0x5040100
	v_cndmask_b32_e32 v13, 0, v11, vcc_lo
	s_mov_b32 vcc_lo, s2
	v_cndmask_b32_sdwa v11, v44, v11, vcc_lo dst_sel:DWORD dst_unused:UNUSED_PAD src0_sel:DWORD src1_sel:WORD_1
	v_cmp_gt_i32_e32 vcc_lo, s27, v49
	v_perm_b32 v11, v11, v13, 0x5040100
	v_cndmask_b32_e32 v14, 0, v12, vcc_lo
	s_mov_b32 vcc_lo, s1
	v_cndmask_b32_sdwa v12, v44, v12, vcc_lo dst_sel:DWORD dst_unused:UNUSED_PAD src0_sel:DWORD src1_sel:WORD_1
	v_perm_b32 v12, v12, v14, 0x5040100
	s_or_b32 exec_lo, exec_lo, s18
	global_load_dwordx4 v[13:16], v[5:6], off offset:1024
	s_and_saveexec_b32 s18, s0
	s_cbranch_execz .LBB155_46
.LBB155_52:                             ;   in Loop: Header=BB155_42 Depth=1
	v_cmp_gt_i32_e64 s1, s27, v53
	v_cmp_gt_i32_e32 vcc_lo, s15, v56
	v_cmp_gt_i32_e64 s2, s27, v55
	s_waitcnt vmcnt(0)
	v_cndmask_b32_e64 v7, 0, v13, s1
	v_cmp_gt_i32_e64 s1, s15, v54
	v_cndmask_b32_sdwa v13, v44, v13, vcc_lo dst_sel:DWORD dst_unused:UNUSED_PAD src0_sel:DWORD src1_sel:WORD_1
	v_cndmask_b32_e64 v8, 0, v14, s2
	v_cmp_gt_i32_e64 s2, s15, v52
	s_mov_b32 vcc_lo, s1
	v_cmp_gt_i32_e64 s1, s15, v50
	v_cndmask_b32_sdwa v14, v44, v14, vcc_lo dst_sel:DWORD dst_unused:UNUSED_PAD src0_sel:DWORD src1_sel:WORD_1
	v_cmp_gt_i32_e32 vcc_lo, s27, v51
	v_perm_b32 v13, v13, v7, 0x5040100
	v_perm_b32 v14, v14, v8, 0x5040100
	v_cndmask_b32_e32 v25, 0, v15, vcc_lo
	s_mov_b32 vcc_lo, s2
	v_cndmask_b32_sdwa v15, v44, v15, vcc_lo dst_sel:DWORD dst_unused:UNUSED_PAD src0_sel:DWORD src1_sel:WORD_1
	v_cmp_gt_i32_e32 vcc_lo, s27, v49
	v_perm_b32 v15, v15, v25, 0x5040100
	v_cndmask_b32_e32 v26, 0, v16, vcc_lo
	s_mov_b32 vcc_lo, s1
	v_cndmask_b32_sdwa v16, v44, v16, vcc_lo dst_sel:DWORD dst_unused:UNUSED_PAD src0_sel:DWORD src1_sel:WORD_1
	v_perm_b32 v16, v16, v26, 0x5040100
	s_or_b32 exec_lo, exec_lo, s18
	global_load_dwordx4 v[25:28], v[5:6], off offset:1536
	s_and_saveexec_b32 s18, s0
	s_cbranch_execnz .LBB155_47
	s_branch .LBB155_48
.LBB155_53:
	s_or_b32 exec_lo, exec_lo, s14
.LBB155_54:
	s_or_b32 exec_lo, exec_lo, s3
	ds_bpermute_b32 v1, v37, v43
	ds_bpermute_b32 v2, v37, v41
	;; [unrolled: 1-line block ×5, first 2 shown]
	v_lshrrev_b32_e32 v6, 1, v36
	v_mul_u32_u24_e32 v8, 0x140, v34
	v_and_b32_e32 v11, 0x3c1, v0
	s_mov_b32 s0, exec_lo
	s_waitcnt lgkmcnt(0)
	s_waitcnt_vscnt null, 0x0
	v_lshl_add_u32 v7, v6, 2, 0xc0
	s_barrier
	buffer_gl0_inv
	v_add_f32_e32 v5, v43, v1
	v_add_f32_e32 v4, v41, v2
	;; [unrolled: 1-line block ×5, first 2 shown]
	v_cmpx_eq_u32_e32 64, v11
	s_cbranch_execz .LBB155_56
; %bb.55:
	v_add_nc_u32_e32 v9, v7, v8
	v_add_nc_u32_e32 v10, 0xfffffd80, v9
	;; [unrolled: 1-line block ×6, first 2 shown]
	ds_write_b32 v10, v5
	ds_write_b32 v11, v4
	;; [unrolled: 1-line block ×5, first 2 shown]
.LBB155_56:
	s_or_b32 exec_lo, exec_lo, s0
	v_lshlrev_b32_e32 v6, 2, v6
	s_mov_b32 s1, exec_lo
	v_cmp_eq_u32_e32 vcc_lo, 0, v33
	s_waitcnt lgkmcnt(0)
	s_barrier
	v_add3_u32 v6, 0xc0, v8, v6
	buffer_gl0_inv
	v_cmpx_gt_u32_e32 64, v0
	s_cbranch_execz .LBB155_64
; %bb.57:
	s_and_saveexec_b32 s0, vcc_lo
	s_cbranch_execnz .LBB155_77
; %bb.58:
	s_or_b32 exec_lo, exec_lo, s0
	s_and_saveexec_b32 s0, vcc_lo
	s_cbranch_execnz .LBB155_78
.LBB155_59:
	s_or_b32 exec_lo, exec_lo, s0
	s_and_saveexec_b32 s0, vcc_lo
	s_cbranch_execnz .LBB155_79
.LBB155_60:
	s_or_b32 exec_lo, exec_lo, s0
	s_and_saveexec_b32 s0, vcc_lo
	s_cbranch_execnz .LBB155_80
.LBB155_61:
	s_or_b32 exec_lo, exec_lo, s0
	s_and_saveexec_b32 s0, vcc_lo
	s_cbranch_execz .LBB155_63
.LBB155_62:
	ds_read_b32 v8, v6 offset:256
	s_waitcnt lgkmcnt(0)
	v_add_f32_e32 v1, v1, v8
.LBB155_63:
	s_or_b32 exec_lo, exec_lo, s0
.LBB155_64:
	s_or_b32 exec_lo, exec_lo, s1
	v_and_b32_e32 v8, 0x3e1, v0
	s_mov_b32 s1, exec_lo
	s_barrier
	buffer_gl0_inv
	v_cmpx_eq_u32_e32 32, v8
	s_cbranch_execz .LBB155_66
; %bb.65:
	ds_write2_b32 v7, v5, v4 offset1:16
	ds_write2_b32 v7, v3, v2 offset0:32 offset1:48
	ds_write_b32 v7, v1 offset:256
.LBB155_66:
	s_or_b32 exec_lo, exec_lo, s1
	s_mov_b32 s1, exec_lo
	s_waitcnt lgkmcnt(0)
	s_barrier
	buffer_gl0_inv
	v_cmpx_gt_u32_e32 32, v0
	s_cbranch_execz .LBB155_74
; %bb.67:
	s_and_saveexec_b32 s0, vcc_lo
	s_cbranch_execnz .LBB155_81
; %bb.68:
	s_or_b32 exec_lo, exec_lo, s0
	s_and_saveexec_b32 s0, vcc_lo
	s_cbranch_execnz .LBB155_82
.LBB155_69:
	s_or_b32 exec_lo, exec_lo, s0
	s_and_saveexec_b32 s0, vcc_lo
	s_cbranch_execnz .LBB155_83
.LBB155_70:
	s_or_b32 exec_lo, exec_lo, s0
	s_and_saveexec_b32 s0, vcc_lo
	s_cbranch_execnz .LBB155_84
.LBB155_71:
	s_or_b32 exec_lo, exec_lo, s0
	s_and_saveexec_b32 s0, vcc_lo
	s_cbranch_execz .LBB155_73
.LBB155_72:
	ds_read_b32 v0, v6 offset:256
	s_waitcnt lgkmcnt(0)
	v_add_f32_e32 v1, v1, v0
.LBB155_73:
	s_or_b32 exec_lo, exec_lo, s0
.LBB155_74:
	s_or_b32 exec_lo, exec_lo, s1
	s_barrier
	buffer_gl0_inv
	s_mov_b32 s0, exec_lo
	v_cmpx_eq_u32_e32 0, v8
	s_cbranch_execz .LBB155_76
; %bb.75:
	v_bfe_u32 v0, v5, 16, 1
	v_bfe_u32 v6, v4, 16, 1
	v_or_b32_e32 v7, 0x400000, v5
	v_cmp_u_f32_e32 vcc_lo, v5, v5
	v_or_b32_e32 v9, 0x400000, v4
	v_add3_u32 v0, v0, v5, 0x7fff
	v_add3_u32 v6, v6, v4, 0x7fff
	v_bfe_u32 v5, v3, 16, 1
	s_mul_i32 s0, s4, 0x50
	s_mul_i32 s2, s7, s10
	v_cndmask_b32_e32 v0, v0, v7, vcc_lo
	v_cmp_u_f32_e32 vcc_lo, v4, v4
	s_ashr_i32 s1, s0, 31
	v_bfe_u32 v7, v2, 16, 1
	v_add3_u32 v5, v5, v3, 0x7fff
	s_lshl_b64 s[0:1], s[0:1], 1
	v_cndmask_b32_e32 v4, v6, v9, vcc_lo
	v_or_b32_e32 v9, 0x400000, v3
	v_cmp_u_f32_e32 vcc_lo, v3, v3
	s_add_u32 s4, s24, s0
	s_addc_u32 s1, s25, s1
	s_ashr_i32 s3, s2, 31
	v_bfe_u32 v6, v1, 16, 1
	v_add3_u32 v7, v7, v2, 0x7fff
	v_or_b32_e32 v10, 0x400000, v2
	v_cndmask_b32_e32 v3, v5, v9, vcc_lo
	v_cmp_u_f32_e32 vcc_lo, v2, v2
	s_lshl_b64 s[2:3], s[2:3], 1
	s_mul_i32 s0, s8, 0x50
	s_add_u32 s2, s4, s2
	s_addc_u32 s3, s1, s3
	s_ashr_i32 s1, s0, 31
	v_add3_u32 v6, v6, v1, 0x7fff
	v_or_b32_e32 v11, 0x400000, v1
	v_cndmask_b32_e32 v2, v7, v10, vcc_lo
	v_cmp_u_f32_e32 vcc_lo, v1, v1
	s_lshl_b64 s[0:1], s[0:1], 1
	v_lshlrev_b32_e32 v8, 1, v32
	s_add_u32 s0, s2, s0
	s_addc_u32 s1, s3, s1
	v_cndmask_b32_e32 v1, v6, v11, vcc_lo
	global_store_short_d16_hi v8, v0, s[0:1]
	global_store_short_d16_hi v8, v4, s[0:1] offset:32
	global_store_short_d16_hi v8, v3, s[0:1] offset:64
	;; [unrolled: 1-line block ×4, first 2 shown]
.LBB155_76:
	s_endpgm
.LBB155_77:
	ds_read_b32 v8, v6
	s_waitcnt lgkmcnt(0)
	v_add_f32_e32 v5, v5, v8
	s_or_b32 exec_lo, exec_lo, s0
	s_and_saveexec_b32 s0, vcc_lo
	s_cbranch_execz .LBB155_59
.LBB155_78:
	ds_read_b32 v8, v6 offset:64
	s_waitcnt lgkmcnt(0)
	v_add_f32_e32 v4, v4, v8
	s_or_b32 exec_lo, exec_lo, s0
	s_and_saveexec_b32 s0, vcc_lo
	s_cbranch_execz .LBB155_60
.LBB155_79:
	ds_read_b32 v8, v6 offset:128
	s_waitcnt lgkmcnt(0)
	v_add_f32_e32 v3, v3, v8
	s_or_b32 exec_lo, exec_lo, s0
	s_and_saveexec_b32 s0, vcc_lo
	s_cbranch_execz .LBB155_61
.LBB155_80:
	ds_read_b32 v8, v6 offset:192
	s_waitcnt lgkmcnt(0)
	v_add_f32_e32 v2, v2, v8
	s_or_b32 exec_lo, exec_lo, s0
	s_and_saveexec_b32 s0, vcc_lo
	s_cbranch_execnz .LBB155_62
	s_branch .LBB155_63
.LBB155_81:
	ds_read_b32 v0, v6
	s_waitcnt lgkmcnt(0)
	v_add_f32_e32 v5, v5, v0
	s_or_b32 exec_lo, exec_lo, s0
	s_and_saveexec_b32 s0, vcc_lo
	s_cbranch_execz .LBB155_69
.LBB155_82:
	ds_read_b32 v0, v6 offset:64
	s_waitcnt lgkmcnt(0)
	v_add_f32_e32 v4, v4, v0
	s_or_b32 exec_lo, exec_lo, s0
	s_and_saveexec_b32 s0, vcc_lo
	s_cbranch_execz .LBB155_70
.LBB155_83:
	ds_read_b32 v0, v6 offset:128
	s_waitcnt lgkmcnt(0)
	v_add_f32_e32 v3, v3, v0
	s_or_b32 exec_lo, exec_lo, s0
	s_and_saveexec_b32 s0, vcc_lo
	s_cbranch_execz .LBB155_71
.LBB155_84:
	ds_read_b32 v0, v6 offset:192
	s_waitcnt lgkmcnt(0)
	v_add_f32_e32 v2, v2, v0
	s_or_b32 exec_lo, exec_lo, s0
	s_and_saveexec_b32 s0, vcc_lo
	s_cbranch_execnz .LBB155_72
	s_branch .LBB155_73
	.section	.rodata,"a",@progbits
	.p2align	6, 0x0
	.amdhsa_kernel _ZN4vllm25paged_attention_v2_kernelI14__hip_bfloat16S1_Li80ELi16ELi128ELNS_18Fp8KVCacheDataTypeE0ELb1ELi512EEEvPfS3_PT_PKS4_PKT0_SA_ifPKiSC_iPKfiiiSE_SE_iiiii
		.amdhsa_group_segment_fixed_size 192
		.amdhsa_private_segment_fixed_size 0
		.amdhsa_kernarg_size 400
		.amdhsa_user_sgpr_count 6
		.amdhsa_user_sgpr_private_segment_buffer 1
		.amdhsa_user_sgpr_dispatch_ptr 0
		.amdhsa_user_sgpr_queue_ptr 0
		.amdhsa_user_sgpr_kernarg_segment_ptr 1
		.amdhsa_user_sgpr_dispatch_id 0
		.amdhsa_user_sgpr_flat_scratch_init 0
		.amdhsa_user_sgpr_private_segment_size 0
		.amdhsa_wavefront_size32 1
		.amdhsa_uses_dynamic_stack 0
		.amdhsa_system_sgpr_private_segment_wavefront_offset 0
		.amdhsa_system_sgpr_workgroup_id_x 1
		.amdhsa_system_sgpr_workgroup_id_y 1
		.amdhsa_system_sgpr_workgroup_id_z 1
		.amdhsa_system_sgpr_workgroup_info 0
		.amdhsa_system_vgpr_workitem_id 0
		.amdhsa_next_free_vgpr 92
		.amdhsa_next_free_sgpr 46
		.amdhsa_reserve_vcc 1
		.amdhsa_reserve_flat_scratch 0
		.amdhsa_float_round_mode_32 0
		.amdhsa_float_round_mode_16_64 0
		.amdhsa_float_denorm_mode_32 3
		.amdhsa_float_denorm_mode_16_64 3
		.amdhsa_dx10_clamp 1
		.amdhsa_ieee_mode 1
		.amdhsa_fp16_overflow 0
		.amdhsa_workgroup_processor_mode 1
		.amdhsa_memory_ordered 1
		.amdhsa_forward_progress 1
		.amdhsa_shared_vgpr_count 0
		.amdhsa_exception_fp_ieee_invalid_op 0
		.amdhsa_exception_fp_denorm_src 0
		.amdhsa_exception_fp_ieee_div_zero 0
		.amdhsa_exception_fp_ieee_overflow 0
		.amdhsa_exception_fp_ieee_underflow 0
		.amdhsa_exception_fp_ieee_inexact 0
		.amdhsa_exception_int_div_zero 0
	.end_amdhsa_kernel
	.section	.text._ZN4vllm25paged_attention_v2_kernelI14__hip_bfloat16S1_Li80ELi16ELi128ELNS_18Fp8KVCacheDataTypeE0ELb1ELi512EEEvPfS3_PT_PKS4_PKT0_SA_ifPKiSC_iPKfiiiSE_SE_iiiii,"axG",@progbits,_ZN4vllm25paged_attention_v2_kernelI14__hip_bfloat16S1_Li80ELi16ELi128ELNS_18Fp8KVCacheDataTypeE0ELb1ELi512EEEvPfS3_PT_PKS4_PKT0_SA_ifPKiSC_iPKfiiiSE_SE_iiiii,comdat
.Lfunc_end155:
	.size	_ZN4vllm25paged_attention_v2_kernelI14__hip_bfloat16S1_Li80ELi16ELi128ELNS_18Fp8KVCacheDataTypeE0ELb1ELi512EEEvPfS3_PT_PKS4_PKT0_SA_ifPKiSC_iPKfiiiSE_SE_iiiii, .Lfunc_end155-_ZN4vllm25paged_attention_v2_kernelI14__hip_bfloat16S1_Li80ELi16ELi128ELNS_18Fp8KVCacheDataTypeE0ELb1ELi512EEEvPfS3_PT_PKS4_PKT0_SA_ifPKiSC_iPKfiiiSE_SE_iiiii
                                        ; -- End function
	.set _ZN4vllm25paged_attention_v2_kernelI14__hip_bfloat16S1_Li80ELi16ELi128ELNS_18Fp8KVCacheDataTypeE0ELb1ELi512EEEvPfS3_PT_PKS4_PKT0_SA_ifPKiSC_iPKfiiiSE_SE_iiiii.num_vgpr, 92
	.set _ZN4vllm25paged_attention_v2_kernelI14__hip_bfloat16S1_Li80ELi16ELi128ELNS_18Fp8KVCacheDataTypeE0ELb1ELi512EEEvPfS3_PT_PKS4_PKT0_SA_ifPKiSC_iPKfiiiSE_SE_iiiii.num_agpr, 0
	.set _ZN4vllm25paged_attention_v2_kernelI14__hip_bfloat16S1_Li80ELi16ELi128ELNS_18Fp8KVCacheDataTypeE0ELb1ELi512EEEvPfS3_PT_PKS4_PKT0_SA_ifPKiSC_iPKfiiiSE_SE_iiiii.numbered_sgpr, 46
	.set _ZN4vllm25paged_attention_v2_kernelI14__hip_bfloat16S1_Li80ELi16ELi128ELNS_18Fp8KVCacheDataTypeE0ELb1ELi512EEEvPfS3_PT_PKS4_PKT0_SA_ifPKiSC_iPKfiiiSE_SE_iiiii.num_named_barrier, 0
	.set _ZN4vllm25paged_attention_v2_kernelI14__hip_bfloat16S1_Li80ELi16ELi128ELNS_18Fp8KVCacheDataTypeE0ELb1ELi512EEEvPfS3_PT_PKS4_PKT0_SA_ifPKiSC_iPKfiiiSE_SE_iiiii.private_seg_size, 0
	.set _ZN4vllm25paged_attention_v2_kernelI14__hip_bfloat16S1_Li80ELi16ELi128ELNS_18Fp8KVCacheDataTypeE0ELb1ELi512EEEvPfS3_PT_PKS4_PKT0_SA_ifPKiSC_iPKfiiiSE_SE_iiiii.uses_vcc, 1
	.set _ZN4vllm25paged_attention_v2_kernelI14__hip_bfloat16S1_Li80ELi16ELi128ELNS_18Fp8KVCacheDataTypeE0ELb1ELi512EEEvPfS3_PT_PKS4_PKT0_SA_ifPKiSC_iPKfiiiSE_SE_iiiii.uses_flat_scratch, 0
	.set _ZN4vllm25paged_attention_v2_kernelI14__hip_bfloat16S1_Li80ELi16ELi128ELNS_18Fp8KVCacheDataTypeE0ELb1ELi512EEEvPfS3_PT_PKS4_PKT0_SA_ifPKiSC_iPKfiiiSE_SE_iiiii.has_dyn_sized_stack, 0
	.set _ZN4vllm25paged_attention_v2_kernelI14__hip_bfloat16S1_Li80ELi16ELi128ELNS_18Fp8KVCacheDataTypeE0ELb1ELi512EEEvPfS3_PT_PKS4_PKT0_SA_ifPKiSC_iPKfiiiSE_SE_iiiii.has_recursion, 0
	.set _ZN4vllm25paged_attention_v2_kernelI14__hip_bfloat16S1_Li80ELi16ELi128ELNS_18Fp8KVCacheDataTypeE0ELb1ELi512EEEvPfS3_PT_PKS4_PKT0_SA_ifPKiSC_iPKfiiiSE_SE_iiiii.has_indirect_call, 0
	.section	.AMDGPU.csdata,"",@progbits
; Kernel info:
; codeLenInByte = 8720
; TotalNumSgprs: 48
; NumVgprs: 92
; ScratchSize: 0
; MemoryBound: 0
; FloatMode: 240
; IeeeMode: 1
; LDSByteSize: 192 bytes/workgroup (compile time only)
; SGPRBlocks: 0
; VGPRBlocks: 11
; NumSGPRsForWavesPerEU: 48
; NumVGPRsForWavesPerEU: 92
; Occupancy: 10
; WaveLimiterHint : 1
; COMPUTE_PGM_RSRC2:SCRATCH_EN: 0
; COMPUTE_PGM_RSRC2:USER_SGPR: 6
; COMPUTE_PGM_RSRC2:TRAP_HANDLER: 0
; COMPUTE_PGM_RSRC2:TGID_X_EN: 1
; COMPUTE_PGM_RSRC2:TGID_Y_EN: 1
; COMPUTE_PGM_RSRC2:TGID_Z_EN: 1
; COMPUTE_PGM_RSRC2:TIDIG_COMP_CNT: 0
	.section	.text._ZN4vllm25paged_attention_v2_kernelI14__hip_bfloat16S1_Li96ELi16ELi128ELNS_18Fp8KVCacheDataTypeE0ELb1ELi512EEEvPfS3_PT_PKS4_PKT0_SA_ifPKiSC_iPKfiiiSE_SE_iiiii,"axG",@progbits,_ZN4vllm25paged_attention_v2_kernelI14__hip_bfloat16S1_Li96ELi16ELi128ELNS_18Fp8KVCacheDataTypeE0ELb1ELi512EEEvPfS3_PT_PKS4_PKT0_SA_ifPKiSC_iPKfiiiSE_SE_iiiii,comdat
	.protected	_ZN4vllm25paged_attention_v2_kernelI14__hip_bfloat16S1_Li96ELi16ELi128ELNS_18Fp8KVCacheDataTypeE0ELb1ELi512EEEvPfS3_PT_PKS4_PKT0_SA_ifPKiSC_iPKfiiiSE_SE_iiiii ; -- Begin function _ZN4vllm25paged_attention_v2_kernelI14__hip_bfloat16S1_Li96ELi16ELi128ELNS_18Fp8KVCacheDataTypeE0ELb1ELi512EEEvPfS3_PT_PKS4_PKT0_SA_ifPKiSC_iPKfiiiSE_SE_iiiii
	.globl	_ZN4vllm25paged_attention_v2_kernelI14__hip_bfloat16S1_Li96ELi16ELi128ELNS_18Fp8KVCacheDataTypeE0ELb1ELi512EEEvPfS3_PT_PKS4_PKT0_SA_ifPKiSC_iPKfiiiSE_SE_iiiii
	.p2align	8
	.type	_ZN4vllm25paged_attention_v2_kernelI14__hip_bfloat16S1_Li96ELi16ELi128ELNS_18Fp8KVCacheDataTypeE0ELb1ELi512EEEvPfS3_PT_PKS4_PKT0_SA_ifPKiSC_iPKfiiiSE_SE_iiiii,@function
_ZN4vllm25paged_attention_v2_kernelI14__hip_bfloat16S1_Li96ELi16ELi128ELNS_18Fp8KVCacheDataTypeE0ELb1ELi512EEEvPfS3_PT_PKS4_PKT0_SA_ifPKiSC_iPKfiiiSE_SE_iiiii: ; @_ZN4vllm25paged_attention_v2_kernelI14__hip_bfloat16S1_Li96ELi16ELi128ELNS_18Fp8KVCacheDataTypeE0ELb1ELi512EEEvPfS3_PT_PKS4_PKT0_SA_ifPKiSC_iPKfiiiSE_SE_iiiii
; %bb.0:
	s_load_dwordx2 s[0:1], s[4:5], 0x40
	s_mov_b32 s26, s7
	s_ashr_i32 s27, s7, 31
	s_lshl_b64 s[2:3], s[26:27], 2
	s_waitcnt lgkmcnt(0)
	s_add_u32 s0, s0, s2
	s_addc_u32 s1, s1, s3
	s_lshl_b32 s38, s8, 9
	s_load_dword s27, s[0:1], 0x0
	s_waitcnt lgkmcnt(0)
	s_cmp_ge_i32 s38, s27
	s_cbranch_scc1 .LBB156_80
; %bb.1:
	s_clause 0x1
	s_load_dword s9, s[4:5], 0x90
	s_load_dwordx2 s[36:37], s[4:5], 0x30
	s_mov_b32 s40, 0
	s_waitcnt lgkmcnt(0)
	s_abs_i32 s3, s9
	s_abs_i32 s0, s36
	v_cvt_f32_u32_e32 v1, s0
	s_sub_i32 s2, 0, s0
	v_rcp_iflag_f32_e32 v1, v1
	v_mul_f32_e32 v1, 0x4f7ffffe, v1
	v_cvt_u32_f32_e32 v1, v1
	v_readfirstlane_b32 s1, v1
	s_mul_i32 s2, s2, s1
	s_mul_hi_u32 s2, s1, s2
	s_add_i32 s1, s1, s2
	s_xor_b32 s2, s9, s36
	s_mul_hi_u32 s1, s3, s1
	s_ashr_i32 s2, s2, 31
	s_mul_i32 s7, s1, s0
	s_sub_i32 s3, s3, s7
	s_add_i32 s7, s1, 1
	s_sub_i32 s10, s3, s0
	s_cmp_ge_u32 s3, s0
	s_cselect_b32 s1, s7, s1
	s_cselect_b32 s3, s10, s3
	s_add_i32 s7, s1, 1
	s_cmp_ge_u32 s3, s0
	s_cselect_b32 s0, s7, s1
	s_xor_b32 s0, s0, s2
	s_sub_i32 s10, s0, s2
	s_load_dwordx2 s[0:1], s[4:5], 0x50
	s_abs_i32 s2, s10
	v_cvt_f32_u32_e32 v1, s2
	s_sub_i32 s3, 0, s2
	v_rcp_iflag_f32_e32 v1, v1
	v_mul_f32_e32 v1, 0x4f7ffffe, v1
	v_cvt_u32_f32_e32 v1, v1
	v_readfirstlane_b32 s7, v1
	s_mul_i32 s3, s3, s7
	s_mul_hi_u32 s11, s7, s3
	s_abs_i32 s3, s6
	s_add_i32 s7, s7, s11
	s_waitcnt lgkmcnt(0)
	s_cmp_eq_u64 s[0:1], 0
	s_mul_hi_u32 s20, s3, s7
	s_cbranch_scc1 .LBB156_3
; %bb.2:
	s_ashr_i32 s7, s6, 31
	s_lshl_b64 s[12:13], s[6:7], 2
	s_add_u32 s0, s0, s12
	s_addc_u32 s1, s1, s13
	s_load_dword s40, s[0:1], 0x0
.LBB156_3:
	s_load_dwordx4 s[12:15], s[4:5], 0x58
	v_lshrrev_b32_e32 v36, 1, v0
	v_and_b32_e32 v37, 1, v0
	v_lshlrev_b32_e32 v3, 3, v0
	s_ashr_i32 s0, s6, 31
	s_ashr_i32 s1, s10, 31
	s_mul_i32 s10, s6, 0x60
	s_mov_b32 s7, exec_lo
	v_cmpx_gt_u32_e32 24, v0
	s_cbranch_execz .LBB156_5
; %bb.4:
	s_load_dwordx2 s[16:17], s[4:5], 0x18
	s_waitcnt lgkmcnt(0)
	s_mul_i32 s18, s12, s26
	v_lshlrev_b32_e32 v4, 3, v36
	s_ashr_i32 s19, s18, 31
	s_lshl_b64 s[18:19], s[18:19], 1
	v_mad_u32_u24 v4, 0x60, v37, v4
	s_add_u32 s12, s16, s18
	s_addc_u32 s15, s17, s19
	s_ashr_i32 s11, s10, 31
	s_lshl_b64 s[16:17], s[10:11], 1
	s_add_u32 s16, s12, s16
	s_addc_u32 s17, s15, s17
	global_load_dwordx2 v[1:2], v3, s[16:17]
	s_waitcnt vmcnt(0)
	ds_write_b64 v4, v[1:2]
.LBB156_5:
	s_or_b32 exec_lo, exec_lo, s7
	s_load_dwordx4 s[16:19], s[4:5], 0x78
	s_mul_i32 s7, s20, s2
	s_xor_b32 s0, s0, s1
	s_sub_i32 s1, s3, s7
	s_add_i32 s3, s20, 1
	s_sub_i32 s7, s1, s2
	s_cmp_ge_u32 s1, s2
                                        ; implicit-def: $sgpr33
	s_cselect_b32 s3, s3, s20
	s_cselect_b32 s1, s7, s1
	s_add_i32 s7, s3, 1
	s_cmp_ge_u32 s1, s2
	s_mov_b32 s20, -1
	s_cselect_b32 s1, s7, s3
	s_load_dword s3, s[4:5], 0x88
	s_xor_b32 s1, s1, s0
	s_add_i32 s7, s27, -1
	s_sub_i32 s1, s1, s0
	s_abs_i32 s2, s7
	s_waitcnt lgkmcnt(0)
	s_abs_i32 s11, s19
	s_barrier
	v_cvt_f32_u32_e32 v1, s11
	s_sub_i32 s0, 0, s11
	buffer_gl0_inv
	v_rcp_iflag_f32_e32 v1, v1
	v_mul_f32_e32 v1, 0x4f7ffffe, v1
	v_cvt_u32_f32_e32 v1, v1
	v_readfirstlane_b32 s12, v1
	s_mul_i32 s0, s0, s12
	s_mul_hi_u32 s0, s12, s0
	s_add_i32 s12, s12, s0
	s_cmp_lt_i32 s3, 0
	s_mul_hi_u32 s0, s2, s12
	s_cbranch_scc0 .LBB156_7
; %bb.6:
	s_mul_i32 s15, s16, s36
	s_mov_b32 s20, 0
	s_add_i32 s15, s1, s15
	s_mul_i32 s15, s15, s3
	s_sub_i32 s33, 1, s15
.LBB156_7:
	s_load_dwordx2 s[28:29], s[4:5], 0x38
	s_ashr_i32 s15, s7, 31
	s_andn2_b32 vcc_lo, exec_lo, s20
	s_ashr_i32 s19, s19, 31
	s_cbranch_vccnz .LBB156_9
; %bb.8:
	s_mul_i32 s7, s9, s16
	s_add_i32 s7, s7, s6
	s_mul_i32 s3, s7, s3
	s_add_i32 s33, s3, 1
.LBB156_9:
	s_clause 0x4
	s_load_dword s3, s[4:5], 0x48
	s_load_dwordx2 s[34:35], s[4:5], 0x28
	s_load_dword s7, s[4:5], 0x98
	s_load_dwordx4 s[20:23], s[4:5], 0x0
	s_load_dwordx2 s[24:25], s[4:5], 0x10
	s_mul_i32 s16, s0, s11
	s_xor_b32 s15, s15, s19
	s_sub_i32 s2, s2, s16
	s_add_i32 s36, s0, 1
	v_lshrrev_b32_e32 v38, 5, v0
	v_mov_b32_e32 v5, 0xff7fffff
	v_mbcnt_lo_u32_b32 v4, -1, 0
	s_mul_i32 s14, s1, s14
	v_lshl_add_u32 v39, v38, 4, s38
	s_waitcnt lgkmcnt(0)
	s_mul_i32 s30, s3, s26
	s_sub_i32 s3, s2, s11
	s_ashr_i32 s31, s30, 31
	s_cmp_ge_u32 s2, s11
	s_cselect_b32 s0, s36, s0
	s_cselect_b32 s2, s3, s2
	s_add_i32 s3, s0, 1
	s_cmp_ge_u32 s2, s11
	s_cselect_b32 s0, s3, s0
	s_add_i32 s2, s27, 15
	s_lshl_b32 s41, s8, 5
	s_ashr_i32 s3, s2, 31
	v_or_b32_e32 v33, s41, v38
	s_lshr_b32 s3, s3, 28
	s_add_i32 s2, s2, s3
	s_add_i32 s3, s41, 32
	s_ashr_i32 s36, s2, 4
	s_xor_b32 s2, s0, s15
	s_min_i32 s16, s3, s36
	v_ashrrev_i32_e32 v34, 31, v33
	v_cmp_gt_i32_e64 s0, s16, v33
	s_sub_i32 s39, s2, s15
	s_and_saveexec_b32 s42, s0
	s_cbranch_execz .LBB156_21
; %bb.10:
	s_load_dwordx2 s[2:3], s[4:5], 0x20
	s_ashr_i32 s15, s14, 31
	s_sub_i32 s4, s39, s17
	s_lshl_b64 s[44:45], s[14:15], 1
	v_bfe_u32 v6, v0, 1, 4
	v_and_b32_e32 v13, 8, v3
	v_mul_u32_u24_e32 v7, 0x60, v37
	v_cmp_neq_f32_e64 s1, s40, 0
	v_lshl_add_u32 v8, v38, 4, s38
	v_lshlrev_b32_e32 v11, 2, v6
	v_subrev_nc_u32_e32 v14, s27, v6
	v_lshlrev_b32_e32 v17, 4, v6
	v_mov_b32_e32 v9, 0xff7fffff
	v_xor_b32_e32 v10, 1, v4
	v_lshl_or_b32 v15, v38, 6, v11
	v_add_nc_u32_e32 v11, 1, v14
	v_cmp_eq_u32_e32 vcc_lo, 0, v37
	s_waitcnt lgkmcnt(0)
	s_add_u32 s15, s2, s44
	s_addc_u32 s43, s3, s45
	s_abs_i32 s5, s18
	v_cvt_f32_u32_e32 v1, s5
	s_sub_i32 s2, 0, s5
	v_rcp_iflag_f32_e32 v5, v1
	v_lshlrev_b64 v[1:2], 2, v[33:34]
	v_mul_f32_e32 v12, 0x4f7ffffe, v5
	v_mov_b32_e32 v5, 0xff7fffff
	v_cvt_u32_f32_e32 v16, v12
	v_add_nc_u32_e32 v12, 0xe0, v15
	v_add_co_u32 v15, s15, s15, v17
	v_add_co_ci_u32_e64 v17, null, s43, 0, s15
	v_mul_lo_u32 v14, s2, v16
	s_lshl_b64 s[2:3], s[30:31], 2
	s_mov_b32 s15, 0
	s_add_u32 s2, s28, s2
	s_addc_u32 s3, s29, s3
	v_add_co_u32 v1, s2, s2, v1
	v_add_co_ci_u32_e64 v2, null, s3, v2, s2
	v_mul_hi_u32 v18, v16, v14
	v_add_co_u32 v13, s2, v15, v13
	v_add_co_ci_u32_e64 v14, null, 0, v17, s2
	s_mov_b32 s43, s13
	v_add_nc_u32_e32 v15, v16, v18
	v_mov_b32_e32 v16, v33
	s_branch .LBB156_13
.LBB156_11:                             ;   in Loop: Header=BB156_13 Depth=1
	s_or_b32 exec_lo, exec_lo, s44
.LBB156_12:                             ;   in Loop: Header=BB156_13 Depth=1
	s_or_b32 exec_lo, exec_lo, s3
	v_add_nc_u32_e32 v16, 4, v16
	v_add_co_u32 v1, s3, v1, 16
	v_add_co_ci_u32_e64 v2, null, 0, v2, s3
	v_cmp_le_i32_e64 s2, s16, v16
	v_add_nc_u32_e32 v8, 64, v8
	v_add_nc_u32_e32 v12, 0x100, v12
	s_or_b32 s15, s2, s15
	s_andn2_b32 exec_lo, exec_lo, s15
	s_cbranch_execz .LBB156_20
.LBB156_13:                             ; =>This Inner Loop Header: Depth=1
	v_sub_nc_u32_e32 v17, 0, v8
	v_max_i32_e32 v17, v8, v17
	s_waitcnt lgkmcnt(0)
	v_mul_hi_u32 v18, v17, s12
	v_mul_lo_u32 v19, v18, s11
	v_sub_nc_u32_e32 v17, v17, v19
	v_add_nc_u32_e32 v19, 1, v18
	v_subrev_nc_u32_e32 v20, s11, v17
	v_cmp_le_u32_e64 s2, s11, v17
	v_cndmask_b32_e64 v18, v18, v19, s2
	v_cndmask_b32_e64 v17, v17, v20, s2
	v_ashrrev_i32_e32 v19, 31, v8
	v_add_nc_u32_e32 v20, 1, v18
	v_cmp_le_u32_e64 s2, s11, v17
	v_xor_b32_e32 v19, s19, v19
	v_cndmask_b32_e64 v17, v18, v20, s2
	v_xor_b32_e32 v17, v17, v19
	v_sub_nc_u32_e32 v17, v17, v19
	v_add_nc_u32_e32 v18, s33, v17
	v_cmp_ge_i32_e64 s3, s4, v17
	v_sub_nc_u32_e32 v19, 0, v18
	v_max_i32_e32 v19, v18, v19
	v_ashrrev_i32_e32 v18, 31, v18
	v_mul_hi_u32 v20, v19, v15
	v_mul_lo_u32 v20, v20, s5
	v_sub_nc_u32_e32 v19, v19, v20
	v_subrev_nc_u32_e32 v20, s5, v19
	v_cmp_le_u32_e64 s2, s5, v19
	v_cndmask_b32_e64 v19, v19, v20, s2
	v_subrev_nc_u32_e32 v20, s5, v19
	v_cmp_le_u32_e64 s2, s5, v19
	v_cndmask_b32_e64 v19, v19, v20, s2
	v_xor_b32_e32 v19, v19, v18
	v_sub_nc_u32_e32 v18, v19, v18
	v_cmp_ne_u32_e64 s2, 0, v18
	s_and_b32 s2, s2, s3
	s_and_saveexec_b32 s3, s2
	s_xor_b32 s2, exec_lo, s3
	s_cbranch_execz .LBB156_17
; %bb.14:                               ;   in Loop: Header=BB156_13 Depth=1
	s_and_saveexec_b32 s3, vcc_lo
; %bb.15:                               ;   in Loop: Header=BB156_13 Depth=1
	ds_write_b32 v12, v9
; %bb.16:                               ;   in Loop: Header=BB156_13 Depth=1
	s_or_b32 exec_lo, exec_lo, s3
.LBB156_17:                             ;   in Loop: Header=BB156_13 Depth=1
	s_andn2_saveexec_b32 s3, s2
	s_cbranch_execz .LBB156_12
; %bb.18:                               ;   in Loop: Header=BB156_13 Depth=1
	global_load_dword v17, v[1:2], off
	s_waitcnt vmcnt(0)
	v_mad_i64_i32 v[17:18], null, v17, s43, 0
	v_lshlrev_b64 v[17:18], 1, v[17:18]
	v_add_co_u32 v48, s2, v13, v17
	v_add_co_ci_u32_e64 v49, null, v14, v18, s2
	s_clause 0x3
	global_load_dwordx2 v[50:51], v[48:49], off offset:256
	global_load_dwordx2 v[52:53], v[48:49], off offset:512
	;; [unrolled: 1-line block ×3, first 2 shown]
	global_load_dwordx2 v[56:57], v[48:49], off
	ds_read_b128 v[17:20], v7
	ds_read_b128 v[21:24], v7 offset:16
	ds_read_b128 v[25:28], v7 offset:32
	;; [unrolled: 1-line block ×5, first 2 shown]
	s_clause 0x1
	global_load_dwordx2 v[58:59], v[48:49], off offset:1024
	global_load_dwordx2 v[60:61], v[48:49], off offset:1280
	s_waitcnt lgkmcnt(5)
	v_lshlrev_b32_e32 v63, 16, v19
	v_and_b32_e32 v83, 0xffff0000, v19
	v_add_co_u32 v19, s2, 0x800, v48
	v_lshlrev_b32_e32 v35, 16, v17
	v_lshlrev_b32_e32 v62, 16, v18
	;; [unrolled: 1-line block ×3, first 2 shown]
	v_and_b32_e32 v81, 0xffff0000, v17
	v_and_b32_e32 v82, 0xffff0000, v18
	;; [unrolled: 1-line block ×3, first 2 shown]
	global_load_dwordx2 v[17:18], v[48:49], off offset:1536
	v_add_co_ci_u32_e64 v20, null, 0, v49, s2
	s_waitcnt lgkmcnt(4)
	v_lshlrev_b32_e32 v65, 16, v21
	v_lshlrev_b32_e32 v66, 16, v22
	;; [unrolled: 1-line block ×4, first 2 shown]
	v_and_b32_e32 v85, 0xffff0000, v21
	v_and_b32_e32 v86, 0xffff0000, v22
	;; [unrolled: 1-line block ×4, first 2 shown]
	s_clause 0x2
	global_load_dwordx2 v[21:22], v[19:20], off
	global_load_dwordx2 v[23:24], v[19:20], off offset:256
	global_load_dwordx2 v[48:49], v[48:49], off offset:1792
	s_waitcnt lgkmcnt(3)
	v_lshlrev_b32_e32 v69, 16, v25
	v_lshlrev_b32_e32 v70, 16, v26
	v_and_b32_e32 v89, 0xffff0000, v25
	v_and_b32_e32 v90, 0xffff0000, v26
	s_clause 0x1
	global_load_dwordx2 v[25:26], v[19:20], off offset:512
	global_load_dwordx2 v[19:20], v[19:20], off offset:768
	v_lshlrev_b32_e32 v71, 16, v27
	v_and_b32_e32 v27, 0xffff0000, v27
	v_lshlrev_b32_e32 v72, 16, v28
	s_waitcnt lgkmcnt(2)
	v_lshlrev_b32_e32 v73, 16, v29
	v_and_b32_e32 v29, 0xffff0000, v29
	v_lshlrev_b32_e32 v74, 16, v30
	v_lshlrev_b32_e32 v75, 16, v31
	v_and_b32_e32 v28, 0xffff0000, v28
	v_and_b32_e32 v31, 0xffff0000, v31
	v_lshlrev_b32_e32 v76, 16, v32
	s_waitcnt lgkmcnt(1)
	v_lshlrev_b32_e32 v77, 16, v40
	v_and_b32_e32 v30, 0xffff0000, v30
	v_and_b32_e32 v40, 0xffff0000, v40
	v_lshlrev_b32_e32 v78, 16, v41
	v_lshlrev_b32_e32 v79, 16, v42
	v_and_b32_e32 v32, 0xffff0000, v32
	v_and_b32_e32 v42, 0xffff0000, v42
	v_lshlrev_b32_e32 v80, 16, v43
	v_and_b32_e32 v41, 0xffff0000, v41
	v_and_b32_e32 v43, 0xffff0000, v43
	v_cmp_gt_i32_e64 s2, 32, v10
	s_waitcnt vmcnt(11)
	v_lshlrev_b32_e32 v91, 16, v50
	v_mul_f32_e32 v63, v63, v91
	s_waitcnt vmcnt(8)
	v_lshlrev_b32_e32 v91, 16, v56
	v_fmac_f32_e32 v63, v35, v91
	v_and_b32_e32 v35, 0xffff0000, v50
	v_and_b32_e32 v50, 0xffff0000, v56
	v_lshlrev_b32_e32 v56, 16, v51
	v_and_b32_e32 v51, 0xffff0000, v51
	s_waitcnt lgkmcnt(0)
	v_lshlrev_b32_e32 v91, 16, v47
	v_mul_f32_e32 v35, v83, v35
	v_lshlrev_b32_e32 v83, 16, v46
	v_mul_f32_e32 v56, v64, v56
	v_lshlrev_b32_e32 v64, 16, v57
	v_and_b32_e32 v57, 0xffff0000, v57
	v_fmac_f32_e32 v35, v81, v50
	v_mul_f32_e32 v51, v84, v51
	v_lshlrev_b32_e32 v50, 16, v44
	v_fmac_f32_e32 v56, v62, v64
	v_lshlrev_b32_e32 v62, 16, v52
	v_and_b32_e32 v52, 0xffff0000, v52
	v_fmac_f32_e32 v51, v82, v57
	v_lshlrev_b32_e32 v57, 16, v53
	v_lshlrev_b32_e32 v64, 16, v54
	v_fmac_f32_e32 v63, v65, v62
	v_and_b32_e32 v54, 0xffff0000, v54
	v_fmac_f32_e32 v35, v85, v52
	v_and_b32_e32 v53, 0xffff0000, v53
	v_lshlrev_b32_e32 v62, 16, v55
	s_waitcnt vmcnt(7)
	v_lshlrev_b32_e32 v65, 16, v58
	v_and_b32_e32 v52, 0xffff0000, v58
	v_fmac_f32_e32 v56, v66, v57
	v_fmac_f32_e32 v63, v67, v64
	v_fmac_f32_e32 v35, v87, v54
	v_and_b32_e32 v55, 0xffff0000, v55
	v_lshlrev_b32_e32 v58, 16, v59
	s_waitcnt vmcnt(6)
	v_lshlrev_b32_e32 v82, 16, v60
	v_and_b32_e32 v57, 0xffff0000, v60
	v_fmac_f32_e32 v51, v86, v53
	v_fmac_f32_e32 v56, v68, v62
	v_fmac_f32_e32 v63, v69, v65
	v_fmac_f32_e32 v35, v89, v52
	v_and_b32_e32 v59, 0xffff0000, v59
	v_lshlrev_b32_e32 v60, 16, v61
	s_waitcnt vmcnt(5)
	v_lshlrev_b32_e32 v66, 16, v17
	v_and_b32_e32 v17, 0xffff0000, v17
	v_fmac_f32_e32 v51, v88, v55
	;; [unrolled: 9-line block ×3, first 2 shown]
	v_fmac_f32_e32 v56, v72, v60
	v_fmac_f32_e32 v63, v73, v66
	v_fmac_f32_e32 v35, v29, v17
	v_and_b32_e32 v18, 0xffff0000, v18
	v_lshlrev_b32_e32 v64, 16, v49
	v_lshlrev_b32_e32 v67, 16, v21
	v_and_b32_e32 v21, 0xffff0000, v21
	v_fmac_f32_e32 v51, v28, v61
	v_fmac_f32_e32 v56, v74, v53
	;; [unrolled: 1-line block ×4, first 2 shown]
	v_and_b32_e32 v49, 0xffff0000, v49
	v_lshlrev_b32_e32 v54, 16, v22
	v_lshlrev_b32_e32 v85, 16, v23
	v_and_b32_e32 v23, 0xffff0000, v23
	v_fmac_f32_e32 v51, v30, v18
	v_fmac_f32_e32 v56, v76, v64
	;; [unrolled: 1-line block ×4, first 2 shown]
	v_and_b32_e32 v44, 0xffff0000, v44
	v_and_b32_e32 v22, 0xffff0000, v22
	v_lshlrev_b32_e32 v62, 16, v24
	s_waitcnt vmcnt(1)
	v_lshlrev_b32_e32 v52, 16, v25
	v_and_b32_e32 v25, 0xffff0000, v25
	v_fmac_f32_e32 v51, v32, v49
	v_fmac_f32_e32 v56, v78, v54
	;; [unrolled: 1-line block ×4, first 2 shown]
	v_lshlrev_b32_e32 v81, 16, v45
	v_and_b32_e32 v24, 0xffff0000, v24
	v_and_b32_e32 v46, 0xffff0000, v46
	v_lshlrev_b32_e32 v17, 16, v26
	s_waitcnt vmcnt(0)
	v_lshlrev_b32_e32 v18, 16, v19
	v_and_b32_e32 v19, 0xffff0000, v19
	v_fmac_f32_e32 v51, v41, v22
	v_fmac_f32_e32 v56, v80, v62
	;; [unrolled: 1-line block ×4, first 2 shown]
	v_and_b32_e32 v45, 0xffff0000, v45
	v_and_b32_e32 v26, 0xffff0000, v26
	v_lshlrev_b32_e32 v21, 16, v20
	v_fmac_f32_e32 v51, v43, v24
	v_fmac_f32_e32 v56, v81, v17
	;; [unrolled: 1-line block ×4, first 2 shown]
	v_and_b32_e32 v17, 0xffff0000, v47
	v_fmac_f32_e32 v51, v45, v26
	v_and_b32_e32 v18, 0xffff0000, v20
	v_fmac_f32_e32 v56, v91, v21
	v_add_f32_e32 v19, v63, v35
	v_cndmask_b32_e64 v20, v4, v10, s2
	v_fmac_f32_e32 v51, v17, v18
	v_add_f32_e32 v17, v19, v56
	v_lshlrev_b32_e32 v18, 2, v20
	v_add_f32_e32 v17, v51, v17
	ds_bpermute_b32 v18, v18, v17
	s_and_saveexec_b32 s44, vcc_lo
	s_cbranch_execz .LBB156_11
; %bb.19:                               ;   in Loop: Header=BB156_13 Depth=1
	v_add_nc_u32_e32 v19, v11, v8
	s_waitcnt lgkmcnt(0)
	v_add_f32_e32 v17, v17, v18
	v_cvt_f32_i32_e32 v19, v19
	v_mul_f32_e32 v19, s40, v19
	v_cndmask_b32_e64 v18, 0, v19, s1
	v_max_f32_e32 v19, v5, v5
	v_fmac_f32_e32 v18, s37, v17
	v_add_nc_u32_e32 v17, v6, v8
	v_max_f32_e32 v19, v19, v18
	v_cmp_gt_i32_e64 s2, s27, v17
	v_cndmask_b32_e64 v17, 0, v18, s2
	v_cndmask_b32_e64 v5, v5, v19, s2
	ds_write_b32 v12, v17
	s_branch .LBB156_11
.LBB156_20:
	s_or_b32 exec_lo, exec_lo, s15
.LBB156_21:
	s_or_b32 exec_lo, exec_lo, s42
	v_xor_b32_e32 v1, 16, v4
	v_xor_b32_e32 v2, 8, v4
	v_max_f32_e32 v7, v5, v5
	v_xor_b32_e32 v8, 2, v4
	v_and_b32_e32 v40, 31, v0
	v_cmp_gt_i32_e32 vcc_lo, 32, v1
	v_cndmask_b32_e32 v1, v4, v1, vcc_lo
	v_cmp_gt_i32_e32 vcc_lo, 32, v2
	v_lshlrev_b32_e32 v6, 2, v1
	v_cndmask_b32_e32 v2, v4, v2, vcc_lo
	ds_bpermute_b32 v1, v6, v5
	v_lshlrev_b32_e32 v5, 2, v2
	s_waitcnt lgkmcnt(0)
	v_max_f32_e32 v1, v1, v1
	v_max_f32_e32 v1, v7, v1
	v_xor_b32_e32 v7, 4, v4
	ds_bpermute_b32 v2, v5, v1
	v_cmp_gt_i32_e32 vcc_lo, 32, v7
	v_cndmask_b32_e32 v7, v4, v7, vcc_lo
	v_cmp_gt_i32_e32 vcc_lo, 32, v8
	v_lshlrev_b32_e32 v7, 2, v7
	v_cndmask_b32_e32 v8, v4, v8, vcc_lo
	v_cmp_eq_u32_e32 vcc_lo, 0, v40
	s_waitcnt lgkmcnt(0)
	v_max_f32_e32 v2, v2, v2
	v_max_f32_e32 v1, v1, v2
	ds_bpermute_b32 v2, v7, v1
	s_waitcnt lgkmcnt(0)
	v_max_f32_e32 v2, v2, v2
	v_max_f32_e32 v1, v1, v2
	v_lshlrev_b32_e32 v2, 2, v8
	v_lshlrev_b32_e32 v8, 2, v38
	ds_bpermute_b32 v9, v2, v1
	s_and_saveexec_b32 s1, vcc_lo
	s_cbranch_execz .LBB156_23
; %bb.22:
	s_waitcnt lgkmcnt(0)
	v_max_f32_e32 v9, v9, v9
	v_max_f32_e32 v1, v1, v1
	;; [unrolled: 1-line block ×3, first 2 shown]
	ds_write_b32 v8, v1 offset:192
.LBB156_23:
	s_or_b32 exec_lo, exec_lo, s1
	v_cmp_gt_u32_e64 s1, 4, v40
	v_mov_b32_e32 v1, 0xff7fffff
	s_waitcnt lgkmcnt(0)
	v_lshlrev_b32_e32 v9, 2, v40
	s_barrier
	buffer_gl0_inv
	s_and_saveexec_b32 s2, s1
; %bb.24:
	ds_read_b32 v1, v9 offset:192
; %bb.25:
	s_or_b32 exec_lo, exec_lo, s2
	s_waitcnt lgkmcnt(0)
	ds_bpermute_b32 v10, v2, v1
	v_xor_b32_e32 v11, 1, v4
	v_max_f32_e32 v1, v1, v1
	v_cmp_gt_i32_e64 s2, 32, v11
	v_cndmask_b32_e64 v4, v4, v11, s2
	s_sub_i32 s2, s16, s41
	s_lshl_b32 s2, s2, 4
	v_lshlrev_b32_e32 v41, 2, v4
	s_add_i32 s2, s2, s38
	s_min_i32 s2, s2, s27
	s_waitcnt lgkmcnt(0)
	v_max_f32_e32 v10, v10, v10
	s_sub_i32 s4, s2, s38
	v_cmp_gt_i32_e64 s2, s4, v0
	v_max_f32_e32 v1, v1, v10
	v_mov_b32_e32 v10, 0
	ds_bpermute_b32 v4, v41, v1
	s_waitcnt lgkmcnt(0)
	v_max_f32_e32 v4, v4, v4
	v_max_f32_e32 v1, v1, v4
	v_lshl_add_u32 v4, v0, 2, 0xe0
	ds_bpermute_b32 v1, v10, v1
	s_and_saveexec_b32 s5, s2
	s_cbranch_execz .LBB156_29
; %bb.26:
	v_lshl_add_u32 v11, v0, 2, 0xe0
	v_mov_b32_e32 v10, 0
	v_mov_b32_e32 v12, v0
	s_mov_b32 s15, 0
	.p2align	6
.LBB156_27:                             ; =>This Inner Loop Header: Depth=1
	ds_read_b32 v13, v11
	v_add_nc_u32_e32 v12, 0x80, v12
	v_cmp_le_i32_e64 s3, s4, v12
	s_or_b32 s15, s3, s15
	s_waitcnt lgkmcnt(0)
	v_sub_f32_e32 v13, v13, v1
	v_mul_f32_e32 v13, 0x3fb8aa3b, v13
	v_exp_f32_e32 v13, v13
	ds_write_b32 v11, v13
	v_add_f32_e32 v10, v10, v13
	v_add_nc_u32_e32 v11, 0x200, v11
	s_andn2_b32 exec_lo, exec_lo, s15
	s_cbranch_execnz .LBB156_27
; %bb.28:
	s_or_b32 exec_lo, exec_lo, s15
.LBB156_29:
	s_or_b32 exec_lo, exec_lo, s5
	ds_bpermute_b32 v6, v6, v10
	s_waitcnt lgkmcnt(0)
	v_add_f32_e32 v6, v10, v6
	ds_bpermute_b32 v5, v5, v6
	s_waitcnt lgkmcnt(0)
	v_add_f32_e32 v5, v6, v5
	;; [unrolled: 3-line block ×5, first 2 shown]
	s_and_saveexec_b32 s3, vcc_lo
; %bb.30:
	ds_write_b32 v8, v5 offset:208
; %bb.31:
	s_or_b32 exec_lo, exec_lo, s3
	s_waitcnt lgkmcnt(0)
	s_barrier
	buffer_gl0_inv
	s_and_saveexec_b32 s3, s1
; %bb.32:
	ds_read_b32 v5, v9 offset:208
; %bb.33:
	s_or_b32 exec_lo, exec_lo, s3
	s_waitcnt lgkmcnt(0)
	ds_bpermute_b32 v2, v2, v5
	s_waitcnt lgkmcnt(0)
	v_add_f32_e32 v2, v5, v2
	ds_bpermute_b32 v5, v41, v2
	s_waitcnt lgkmcnt(0)
	v_add_f32_e32 v2, v2, v5
	v_mov_b32_e32 v5, 0
	ds_bpermute_b32 v2, v5, v2
	s_and_saveexec_b32 s1, s2
	s_cbranch_execz .LBB156_36
; %bb.34:
	s_waitcnt lgkmcnt(0)
	v_add_f32_e32 v5, 0x358637bd, v2
	s_mov_b32 s2, 0
	v_div_scale_f32 v6, null, v5, v5, 1.0
	v_div_scale_f32 v9, vcc_lo, 1.0, v5, 1.0
	v_rcp_f32_e32 v7, v6
	v_fma_f32 v8, -v6, v7, 1.0
	v_fmac_f32_e32 v7, v8, v7
	v_mul_f32_e32 v8, v9, v7
	v_fma_f32 v10, -v6, v8, v9
	v_fmac_f32_e32 v8, v10, v7
	v_fma_f32 v6, -v6, v8, v9
	v_div_fmas_f32 v6, v6, v7, v8
	v_div_fixup_f32 v5, v6, v5, 1.0
	v_mov_b32_e32 v6, v0
.LBB156_35:                             ; =>This Inner Loop Header: Depth=1
	ds_read_b32 v7, v4
	v_add_nc_u32_e32 v6, 0x80, v6
	v_cmp_le_i32_e32 vcc_lo, s4, v6
	s_or_b32 s2, vcc_lo, s2
	s_waitcnt lgkmcnt(0)
	v_mul_f32_e32 v7, v5, v7
	ds_write_b32 v4, v7
	v_add_nc_u32_e32 v4, 0x200, v4
	s_andn2_b32 exec_lo, exec_lo, s2
	s_cbranch_execnz .LBB156_35
.LBB156_36:
	s_or_b32 exec_lo, exec_lo, s1
	s_mul_i32 s1, s7, s26
	s_waitcnt lgkmcnt(0)
	s_mul_i32 s4, s1, s9
	s_mov_b32 s1, exec_lo
	s_barrier
	buffer_gl0_inv
	v_cmpx_eq_u32_e32 0, v0
	s_cbranch_execz .LBB156_38
; %bb.37:
	s_ashr_i32 s5, s4, 31
	s_mul_i32 s40, s7, s6
	s_lshl_b64 s[2:3], s[4:5], 2
	v_mov_b32_e32 v4, 0
	s_add_u32 s5, s22, s2
	s_addc_u32 s6, s23, s3
	s_ashr_i32 s41, s40, 31
	s_lshl_b64 s[22:23], s[40:41], 2
	s_add_u32 s5, s5, s22
	s_addc_u32 s6, s6, s23
	s_ashr_i32 s9, s8, 31
	s_lshl_b64 s[40:41], s[8:9], 2
	s_add_u32 s42, s5, s40
	s_addc_u32 s43, s6, s41
	s_add_u32 s2, s20, s2
	s_addc_u32 s3, s21, s3
	;; [unrolled: 2-line block ×4, first 2 shown]
	global_store_dword v4, v1, s[42:43]
	global_store_dword v4, v2, s[2:3]
.LBB156_38:
	s_or_b32 exec_lo, exec_lo, s1
	v_mov_b32_e32 v47, 0
	v_mov_b32_e32 v46, 0
	;; [unrolled: 1-line block ×6, first 2 shown]
	s_and_saveexec_b32 s3, s0
	s_cbranch_execz .LBB156_56
; %bb.39:
	s_ashr_i32 s15, s14, 31
	s_sub_i32 s5, s39, s17
	s_lshl_b64 s[0:1], s[14:15], 1
	v_and_b32_e32 v48, 8, v3
	s_add_u32 s2, s34, s0
	s_addc_u32 s14, s35, s1
	s_abs_i32 s6, s18
	v_lshlrev_b32_e32 v3, 4, v0
	v_cvt_f32_u32_e32 v1, s6
	s_sub_i32 s0, 0, s6
	v_lshlrev_b32_e32 v5, 5, v37
	s_add_i32 s9, s36, -1
	v_and_b32_e32 v3, 0x1f0, v3
	v_rcp_iflag_f32_e32 v1, v1
	v_mov_b32_e32 v49, 0
	v_lshl_or_b32 v5, v38, 6, v5
	v_mov_b32_e32 v42, 0
	v_add_co_u32 v50, s2, s2, v3
	v_mov_b32_e32 v43, 0
	v_mov_b32_e32 v44, 0
	;; [unrolled: 1-line block ×4, first 2 shown]
	v_mul_f32_e32 v4, 0x4f7ffffe, v1
	v_lshlrev_b64 v[1:2], 2, v[33:34]
	v_add_co_ci_u32_e64 v51, null, s14, 0, s2
	v_add_nc_u32_e32 v52, 0xe0, v5
	v_cvt_u32_f32_e32 v4, v4
	v_mov_b32_e32 v47, 0
	s_mov_b32 s15, s27
	s_mov_b32 s14, 0
	v_mul_lo_u32 v6, s0, v4
	s_lshl_b64 s[0:1], s[30:31], 2
	s_add_u32 s0, s28, s0
	s_addc_u32 s1, s29, s1
	v_add_co_u32 v34, vcc_lo, s0, v1
	v_add_co_ci_u32_e64 v35, null, s1, v2, vcc_lo
	v_mul_hi_u32 v6, v4, v6
	v_add_nc_u32_e32 v53, v4, v6
	s_branch .LBB156_42
.LBB156_40:                             ;   in Loop: Header=BB156_42 Depth=1
	s_or_b32 exec_lo, exec_lo, s2
	s_waitcnt lgkmcnt(1)
	v_bfe_u32 v54, v25, 16, 1
	v_or_b32_e32 v55, 0x400000, v25
	v_bfe_u32 v56, v26, 16, 1
	v_cmp_u_f32_e32 vcc_lo, v25, v25
	v_bfe_u32 v57, v27, 16, 1
	v_add3_u32 v54, v54, v25, 0x7fff
	v_or_b32_e32 v58, 0x400000, v26
	v_add3_u32 v56, v56, v26, 0x7fff
	v_or_b32_e32 v59, 0x400000, v27
	v_add3_u32 v57, v57, v27, 0x7fff
	v_cndmask_b32_e32 v25, v54, v55, vcc_lo
	v_cmp_u_f32_e32 vcc_lo, v26, v26
	v_bfe_u32 v54, v28, 16, 1
	s_waitcnt lgkmcnt(0)
	v_bfe_u32 v55, v17, 16, 1
	s_waitcnt vmcnt(1)
	v_and_b32_e32 v61, 0xffff0000, v32
	v_cndmask_b32_e32 v26, v56, v58, vcc_lo
	v_cmp_u_f32_e32 vcc_lo, v27, v27
	v_add3_u32 v54, v54, v28, 0x7fff
	v_or_b32_e32 v56, 0x400000, v28
	v_add3_u32 v55, v55, v17, 0x7fff
	v_bfe_u32 v58, v18, 16, 1
	v_cndmask_b32_e32 v27, v57, v59, vcc_lo
	v_cmp_u_f32_e32 vcc_lo, v28, v28
	v_or_b32_e32 v57, 0x400000, v17
	v_and_b32_e32 v27, 0xffff0000, v27
	v_cndmask_b32_e32 v28, v54, v56, vcc_lo
	v_cmp_u_f32_e32 vcc_lo, v17, v17
	v_or_b32_e32 v56, 0x400000, v18
	v_and_b32_e32 v17, 0xffff0000, v26
	v_and_b32_e32 v26, 0xffff0000, v29
	v_cndmask_b32_e32 v54, v55, v57, vcc_lo
	v_add3_u32 v55, v58, v18, 0x7fff
	v_bfe_u32 v57, v19, 16, 1
	v_cmp_u_f32_e32 vcc_lo, v18, v18
	v_mul_f32_e32 v58, v17, v26
	v_and_b32_e32 v26, 0xffff0000, v25
	v_lshlrev_b32_e32 v25, 16, v29
	v_add3_u32 v18, v57, v19, 0x7fff
	v_cndmask_b32_e32 v55, v55, v56, vcc_lo
	v_or_b32_e32 v56, 0x400000, v19
	v_bfe_u32 v57, v20, 16, 1
	v_cmp_u_f32_e32 vcc_lo, v19, v19
	v_mul_f32_e32 v25, v26, v25
	v_add3_u32 v19, v57, v20, 0x7fff
	v_cndmask_b32_e32 v29, v18, v56, vcc_lo
	v_or_b32_e32 v56, 0x400000, v20
	v_bfe_u32 v57, v58, 16, 1
	v_and_b32_e32 v18, 0xffff0000, v28
	v_and_b32_e32 v28, 0xffff0000, v30
	v_cmp_u_f32_e32 vcc_lo, v20, v20
	v_mul_f32_e32 v59, v18, v28
	v_cndmask_b32_e32 v20, v19, v56, vcc_lo
	v_add3_u32 v19, v57, v58, 0x7fff
	v_or_b32_e32 v56, 0x400000, v58
	v_bfe_u32 v57, v25, 16, 1
	v_lshlrev_b32_e32 v28, 16, v30
	v_cmp_u_f32_e32 vcc_lo, v58, v58
	v_bfe_u32 v58, v59, 16, 1
	v_and_b32_e32 v20, 0xffff0000, v20
	v_mul_f32_e32 v60, v27, v28
	v_cndmask_b32_e32 v30, v19, v56, vcc_lo
	v_add3_u32 v56, v57, v25, 0x7fff
	v_or_b32_e32 v57, 0x400000, v25
	v_and_b32_e32 v19, 0xffff0000, v55
	v_and_b32_e32 v28, 0xffff0000, v31
	v_cmp_u_f32_e32 vcc_lo, v25, v25
	v_add3_u32 v25, v58, v59, 0x7fff
	v_lshlrev_b32_e32 v31, 16, v31
	v_and_b32_e32 v30, 0xffff0000, v30
	v_mul_f32_e32 v58, v19, v28
	v_cndmask_b32_e32 v55, v56, v57, vcc_lo
	v_or_b32_e32 v56, 0x400000, v59
	v_bfe_u32 v57, v60, 16, 1
	v_and_b32_e32 v28, 0xffff0000, v54
	v_cmp_u_f32_e32 vcc_lo, v59, v59
	v_bfe_u32 v59, v58, 16, 1
	v_and_b32_e32 v55, 0xffff0000, v55
	v_mul_f32_e32 v31, v28, v31
	v_cndmask_b32_e32 v54, v25, v56, vcc_lo
	v_add3_u32 v56, v57, v60, 0x7fff
	v_or_b32_e32 v57, 0x400000, v60
	v_and_b32_e32 v25, 0xffff0000, v29
	v_lshlrev_b32_e32 v29, 16, v32
	v_cmp_u_f32_e32 vcc_lo, v60, v60
	v_or_b32_e32 v60, 0x400000, v58
	v_and_b32_e32 v54, 0xffff0000, v54
	v_add_f32_e32 v30, v55, v30
	v_mul_f32_e32 v29, v25, v29
	v_cndmask_b32_e32 v32, v56, v57, vcc_lo
	v_bfe_u32 v56, v31, 16, 1
	v_add3_u32 v57, v59, v58, 0x7fff
	v_cmp_u_f32_e32 vcc_lo, v58, v58
	v_mul_f32_e32 v59, v20, v61
	v_or_b32_e32 v61, 0x400000, v31
	v_add3_u32 v56, v56, v31, 0x7fff
	v_bfe_u32 v63, v29, 16, 1
	v_cndmask_b32_e32 v57, v57, v60, vcc_lo
	v_cmp_u_f32_e32 vcc_lo, v31, v31
	v_bfe_u32 v62, v59, 16, 1
	v_or_b32_e32 v60, 0x400000, v29
	v_add3_u32 v58, v63, v29, 0x7fff
	v_and_b32_e32 v32, 0xffff0000, v32
	v_cndmask_b32_e32 v31, v56, v61, vcc_lo
	v_cmp_u_f32_e32 vcc_lo, v29, v29
	v_add3_u32 v56, v62, v59, 0x7fff
	v_or_b32_e32 v61, 0x400000, v59
	v_add_f32_e32 v32, v32, v54
	v_and_b32_e32 v31, 0xffff0000, v31
	v_cndmask_b32_e32 v29, v58, v60, vcc_lo
	v_cmp_u_f32_e32 vcc_lo, v59, v59
	v_and_b32_e32 v54, 0xffff0000, v57
	v_add_f32_e32 v30, v32, v30
	v_and_b32_e32 v29, 0xffff0000, v29
	v_cndmask_b32_e32 v55, v56, v61, vcc_lo
	v_add_f32_e32 v31, v31, v54
	v_and_b32_e32 v54, 0xffff0000, v21
	v_lshlrev_b32_e32 v21, 16, v21
	v_and_b32_e32 v56, 0xffff0000, v24
	v_and_b32_e32 v32, 0xffff0000, v55
	v_add_f32_e32 v30, v31, v30
	v_mul_f32_e32 v31, v17, v54
	v_mul_f32_e32 v21, v26, v21
	v_and_b32_e32 v54, 0xffff0000, v22
	v_add_f32_e32 v29, v29, v32
	v_lshlrev_b32_e32 v22, 16, v22
	v_cmp_u_f32_e32 vcc_lo, v31, v31
	v_bfe_u32 v32, v21, 16, 1
	v_mul_f32_e32 v54, v18, v54
	v_add_f32_e32 v29, v29, v30
	v_bfe_u32 v30, v31, 16, 1
	v_or_b32_e32 v55, 0x400000, v21
	v_add3_u32 v32, v32, v21, 0x7fff
	v_mul_f32_e32 v22, v27, v22
	v_add_f32_e32 v43, v43, v29
	v_add3_u32 v29, v30, v31, 0x7fff
	v_or_b32_e32 v30, 0x400000, v31
	v_and_b32_e32 v31, 0xffff0000, v23
	v_lshlrev_b32_e32 v23, 16, v23
	v_lshlrev_b32_e32 v24, 16, v24
	v_cndmask_b32_e32 v29, v29, v30, vcc_lo
	v_bfe_u32 v30, v54, 16, 1
	v_cmp_u_f32_e32 vcc_lo, v21, v21
	v_mul_f32_e32 v31, v19, v31
	v_mul_f32_e32 v23, v28, v23
	;; [unrolled: 1-line block ×3, first 2 shown]
	v_add3_u32 v30, v30, v54, 0x7fff
	v_cndmask_b32_e32 v21, v32, v55, vcc_lo
	v_or_b32_e32 v32, 0x400000, v54
	v_bfe_u32 v55, v22, 16, 1
	v_cmp_u_f32_e32 vcc_lo, v54, v54
	v_or_b32_e32 v54, 0x400000, v22
	v_bfe_u32 v57, v23, 16, 1
	v_and_b32_e32 v21, 0xffff0000, v21
	v_and_b32_e32 v29, 0xffff0000, v29
	v_cndmask_b32_e32 v30, v30, v32, vcc_lo
	v_add3_u32 v32, v55, v22, 0x7fff
	v_bfe_u32 v55, v31, 16, 1
	v_cmp_u_f32_e32 vcc_lo, v22, v22
	v_add_f32_e32 v21, v21, v29
	v_and_b32_e32 v30, 0xffff0000, v30
	v_cndmask_b32_e32 v22, v32, v54, vcc_lo
	v_add3_u32 v32, v55, v31, 0x7fff
	v_mul_f32_e32 v54, v20, v56
	v_or_b32_e32 v55, 0x400000, v31
	v_cmp_u_f32_e32 vcc_lo, v31, v31
	v_add3_u32 v56, v57, v23, 0x7fff
	v_or_b32_e32 v57, 0x400000, v23
	v_bfe_u32 v58, v54, 16, 1
	v_and_b32_e32 v22, 0xffff0000, v22
	v_cndmask_b32_e32 v31, v32, v55, vcc_lo
	v_cmp_u_f32_e32 vcc_lo, v23, v23
	v_or_b32_e32 v55, 0x400000, v54
	v_add3_u32 v32, v58, v54, 0x7fff
	v_add_f32_e32 v22, v22, v30
	v_and_b32_e32 v30, 0xffff0000, v13
	v_cndmask_b32_e32 v23, v56, v57, vcc_lo
	v_bfe_u32 v56, v24, 16, 1
	v_cmp_u_f32_e32 vcc_lo, v54, v54
	v_and_b32_e32 v29, 0xffff0000, v31
	v_lshlrev_b32_e32 v13, 16, v13
	v_and_b32_e32 v23, 0xffff0000, v23
	v_add3_u32 v54, v56, v24, 0x7fff
	v_cndmask_b32_e32 v32, v32, v55, vcc_lo
	v_or_b32_e32 v55, 0x400000, v24
	v_cmp_u_f32_e32 vcc_lo, v24, v24
	v_add_f32_e32 v21, v22, v21
	v_mul_f32_e32 v22, v17, v30
	v_add_f32_e32 v23, v23, v29
	v_mul_f32_e32 v29, v26, v13
	v_cndmask_b32_e32 v24, v54, v55, vcc_lo
	v_and_b32_e32 v30, 0xffff0000, v32
	v_bfe_u32 v31, v22, 16, 1
	v_and_b32_e32 v32, 0xffff0000, v14
	v_add_f32_e32 v13, v23, v21
	v_and_b32_e32 v24, 0xffff0000, v24
	v_bfe_u32 v23, v29, 16, 1
	v_lshlrev_b32_e32 v14, 16, v14
	v_cmp_u_f32_e32 vcc_lo, v22, v22
	v_and_b32_e32 v54, 0xffff0000, v16
	v_add_f32_e32 v21, v24, v30
	v_add3_u32 v24, v31, v22, 0x7fff
	v_or_b32_e32 v30, 0x400000, v22
	v_mul_f32_e32 v31, v18, v32
	v_add3_u32 v23, v23, v29, 0x7fff
	v_or_b32_e32 v32, 0x400000, v29
	v_mul_f32_e32 v14, v27, v14
	v_cndmask_b32_e32 v22, v24, v30, vcc_lo
	v_bfe_u32 v24, v31, 16, 1
	v_cmp_u_f32_e32 vcc_lo, v29, v29
	v_and_b32_e32 v29, 0xffff0000, v15
	v_or_b32_e32 v30, 0x400000, v31
	v_lshlrev_b32_e32 v15, 16, v15
	v_add3_u32 v24, v24, v31, 0x7fff
	v_cndmask_b32_e32 v23, v23, v32, vcc_lo
	v_bfe_u32 v32, v14, 16, 1
	v_mul_f32_e32 v29, v19, v29
	v_cmp_u_f32_e32 vcc_lo, v31, v31
	v_mul_f32_e32 v15, v28, v15
	v_or_b32_e32 v31, 0x400000, v14
	v_lshlrev_b32_e32 v16, 16, v16
	v_and_b32_e32 v23, 0xffff0000, v23
	v_cndmask_b32_e32 v24, v24, v30, vcc_lo
	v_add3_u32 v30, v32, v14, 0x7fff
	v_bfe_u32 v32, v29, 16, 1
	v_cmp_u_f32_e32 vcc_lo, v14, v14
	v_bfe_u32 v55, v15, 16, 1
	v_mul_f32_e32 v16, v25, v16
	v_and_b32_e32 v22, 0xffff0000, v22
	v_and_b32_e32 v24, 0xffff0000, v24
	v_cndmask_b32_e32 v14, v30, v31, vcc_lo
	v_add3_u32 v30, v32, v29, 0x7fff
	v_mul_f32_e32 v31, v20, v54
	v_or_b32_e32 v32, 0x400000, v29
	v_cmp_u_f32_e32 vcc_lo, v29, v29
	v_add3_u32 v54, v55, v15, 0x7fff
	v_or_b32_e32 v55, 0x400000, v15
	v_bfe_u32 v56, v31, 16, 1
	v_and_b32_e32 v14, 0xffff0000, v14
	v_cndmask_b32_e32 v29, v30, v32, vcc_lo
	v_cmp_u_f32_e32 vcc_lo, v15, v15
	v_or_b32_e32 v32, 0x400000, v31
	v_add3_u32 v30, v56, v31, 0x7fff
	v_add_f32_e32 v22, v23, v22
	v_add_f32_e32 v14, v14, v24
	v_cndmask_b32_e32 v15, v54, v55, vcc_lo
	v_bfe_u32 v54, v16, 16, 1
	v_cmp_u_f32_e32 vcc_lo, v31, v31
	v_and_b32_e32 v24, 0xffff0000, v5
	v_and_b32_e32 v23, 0xffff0000, v29
	;; [unrolled: 1-line block ×3, first 2 shown]
	v_add3_u32 v31, v54, v16, 0x7fff
	v_cndmask_b32_e32 v30, v30, v32, vcc_lo
	v_or_b32_e32 v32, 0x400000, v16
	v_cmp_u_f32_e32 vcc_lo, v16, v16
	v_lshlrev_b32_e32 v5, 16, v5
	v_add_f32_e32 v14, v14, v22
	v_mul_f32_e32 v22, v17, v24
	v_add_f32_e32 v15, v15, v23
	v_cndmask_b32_e32 v16, v31, v32, vcc_lo
	v_mul_f32_e32 v23, v26, v5
	v_and_b32_e32 v24, 0xffff0000, v30
	v_and_b32_e32 v29, 0xffff0000, v6
	v_bfe_u32 v30, v22, 16, 1
	v_and_b32_e32 v16, 0xffff0000, v16
	v_add_f32_e32 v5, v15, v14
	v_bfe_u32 v15, v23, 16, 1
	v_cmp_u_f32_e32 vcc_lo, v22, v22
	v_lshlrev_b32_e32 v6, 16, v6
	v_add_f32_e32 v14, v16, v24
	v_mul_f32_e32 v16, v18, v29
	v_add3_u32 v24, v30, v22, 0x7fff
	v_or_b32_e32 v29, 0x400000, v22
	v_add3_u32 v15, v15, v23, 0x7fff
	v_or_b32_e32 v30, 0x400000, v23
	v_bfe_u32 v31, v16, 16, 1
	v_mul_f32_e32 v6, v27, v6
	v_cndmask_b32_e32 v22, v24, v29, vcc_lo
	v_cmp_u_f32_e32 vcc_lo, v23, v23
	v_or_b32_e32 v24, 0x400000, v16
	v_add3_u32 v23, v31, v16, 0x7fff
	v_and_b32_e32 v29, 0xffff0000, v7
	v_lshlrev_b32_e32 v7, 16, v7
	v_cndmask_b32_e32 v15, v15, v30, vcc_lo
	v_cmp_u_f32_e32 vcc_lo, v16, v16
	v_bfe_u32 v30, v6, 16, 1
	v_and_b32_e32 v22, 0xffff0000, v22
	v_mul_f32_e32 v7, v28, v7
	v_and_b32_e32 v15, 0xffff0000, v15
	v_cndmask_b32_e32 v16, v23, v24, vcc_lo
	v_mul_f32_e32 v23, v19, v29
	v_add3_u32 v24, v30, v6, 0x7fff
	v_or_b32_e32 v29, 0x400000, v6
	v_and_b32_e32 v30, 0xffff0000, v8
	v_cmp_u_f32_e32 vcc_lo, v6, v6
	v_bfe_u32 v31, v23, 16, 1
	v_bfe_u32 v32, v7, 16, 1
	v_lshlrev_b32_e32 v8, 16, v8
	v_and_b32_e32 v16, 0xffff0000, v16
	v_cndmask_b32_e32 v6, v24, v29, vcc_lo
	v_mul_f32_e32 v24, v20, v30
	v_add3_u32 v29, v31, v23, 0x7fff
	v_or_b32_e32 v30, 0x400000, v23
	v_cmp_u_f32_e32 vcc_lo, v23, v23
	v_add3_u32 v31, v32, v7, 0x7fff
	v_or_b32_e32 v32, 0x400000, v7
	v_bfe_u32 v54, v24, 16, 1
	v_and_b32_e32 v6, 0xffff0000, v6
	v_cndmask_b32_e32 v23, v29, v30, vcc_lo
	v_cmp_u_f32_e32 vcc_lo, v7, v7
	v_or_b32_e32 v30, 0x400000, v24
	v_add3_u32 v29, v54, v24, 0x7fff
	v_mul_f32_e32 v8, v25, v8
	v_add_f32_e32 v15, v15, v22
	v_cndmask_b32_e32 v7, v31, v32, vcc_lo
	v_cmp_u_f32_e32 vcc_lo, v24, v24
	v_add_f32_e32 v6, v6, v16
	v_and_b32_e32 v16, 0xffff0000, v1
	v_and_b32_e32 v22, 0xffff0000, v23
	;; [unrolled: 1-line block ×3, first 2 shown]
	v_cndmask_b32_e32 v24, v29, v30, vcc_lo
	v_bfe_u32 v29, v8, 16, 1
	v_add_f32_e32 v6, v6, v15
	v_mul_f32_e32 v15, v17, v16
	v_add_f32_e32 v7, v7, v22
	v_lshlrev_b32_e32 v1, 16, v1
	v_add3_u32 v23, v29, v8, 0x7fff
	v_or_b32_e32 v29, 0x400000, v8
	v_cmp_u_f32_e32 vcc_lo, v8, v8
	v_bfe_u32 v16, v15, 16, 1
	v_add_f32_e32 v6, v7, v6
	v_and_b32_e32 v7, 0xffff0000, v2
	v_mul_f32_e32 v1, v26, v1
	v_cndmask_b32_e32 v8, v23, v29, vcc_lo
	v_add3_u32 v16, v16, v15, 0x7fff
	v_or_b32_e32 v22, 0x400000, v15
	v_mul_f32_e32 v7, v18, v7
	v_and_b32_e32 v23, 0xffff0000, v24
	v_bfe_u32 v24, v1, 16, 1
	v_cmp_u_f32_e32 vcc_lo, v15, v15
	v_lshlrev_b32_e32 v2, 16, v2
	v_or_b32_e32 v29, 0x400000, v1
	v_or_b32_e32 v30, 0x400000, v7
	v_and_b32_e32 v8, 0xffff0000, v8
	v_cndmask_b32_e32 v15, v16, v22, vcc_lo
	v_bfe_u32 v16, v7, 16, 1
	v_add3_u32 v22, v24, v1, 0x7fff
	v_and_b32_e32 v24, 0xffff0000, v3
	v_mul_f32_e32 v2, v27, v2
	v_cmp_u_f32_e32 vcc_lo, v1, v1
	v_add3_u32 v16, v16, v7, 0x7fff
	v_lshlrev_b32_e32 v3, 16, v3
	v_mul_f32_e32 v24, v19, v24
	v_and_b32_e32 v15, 0xffff0000, v15
	v_cndmask_b32_e32 v1, v22, v29, vcc_lo
	v_bfe_u32 v22, v2, 16, 1
	v_cmp_u_f32_e32 vcc_lo, v7, v7
	v_and_b32_e32 v29, 0xffff0000, v4
	v_mul_f32_e32 v3, v28, v3
	v_or_b32_e32 v31, 0x400000, v24
	v_add3_u32 v22, v22, v2, 0x7fff
	v_cndmask_b32_e32 v7, v16, v30, vcc_lo
	v_bfe_u32 v16, v24, 16, 1
	v_or_b32_e32 v30, 0x400000, v2
	v_cmp_u_f32_e32 vcc_lo, v2, v2
	v_mul_f32_e32 v29, v20, v29
	v_lshlrev_b32_e32 v4, 16, v4
	v_add3_u32 v16, v16, v24, 0x7fff
	v_and_b32_e32 v1, 0xffff0000, v1
	v_cndmask_b32_e32 v2, v22, v30, vcc_lo
	v_bfe_u32 v22, v3, 16, 1
	v_cmp_u_f32_e32 vcc_lo, v24, v24
	v_bfe_u32 v30, v29, 16, 1
	v_or_b32_e32 v24, 0x400000, v3
	v_mul_f32_e32 v4, v25, v4
	v_add3_u32 v22, v22, v3, 0x7fff
	v_cndmask_b32_e32 v16, v16, v31, vcc_lo
	v_cmp_u_f32_e32 vcc_lo, v3, v3
	v_add3_u32 v30, v30, v29, 0x7fff
	v_or_b32_e32 v31, 0x400000, v29
	v_and_b32_e32 v2, 0xffff0000, v2
	v_and_b32_e32 v7, 0xffff0000, v7
	v_cndmask_b32_e32 v3, v22, v24, vcc_lo
	v_cmp_u_f32_e32 vcc_lo, v29, v29
	v_bfe_u32 v24, v4, 16, 1
	v_add_f32_e32 v1, v1, v15
	v_add_f32_e32 v2, v2, v7
	v_and_b32_e32 v3, 0xffff0000, v3
	v_cndmask_b32_e32 v22, v30, v31, vcc_lo
	s_waitcnt vmcnt(0)
	v_lshlrev_b32_e32 v30, 16, v9
	v_and_b32_e32 v7, 0xffff0000, v16
	v_and_b32_e32 v9, 0xffff0000, v9
	v_add3_u32 v24, v24, v4, 0x7fff
	v_or_b32_e32 v29, 0x400000, v4
	v_mul_f32_e32 v15, v26, v30
	v_cmp_u_f32_e32 vcc_lo, v4, v4
	v_add_f32_e32 v1, v2, v1
	v_add_f32_e32 v3, v3, v7
	v_mul_f32_e32 v7, v17, v9
	v_bfe_u32 v2, v15, 16, 1
	v_lshlrev_b32_e32 v9, 16, v10
	v_cndmask_b32_e32 v4, v24, v29, vcc_lo
	v_or_b32_e32 v16, 0x400000, v15
	v_bfe_u32 v17, v7, 16, 1
	v_add3_u32 v2, v2, v15, 0x7fff
	v_mul_f32_e32 v9, v27, v9
	v_and_b32_e32 v10, 0xffff0000, v10
	v_cmp_u_f32_e32 vcc_lo, v15, v15
	v_add3_u32 v15, v17, v7, 0x7fff
	v_and_b32_e32 v4, 0xffff0000, v4
	v_bfe_u32 v17, v9, 16, 1
	v_mul_f32_e32 v10, v18, v10
	v_cndmask_b32_e32 v2, v2, v16, vcc_lo
	v_or_b32_e32 v16, 0x400000, v7
	v_lshlrev_b32_e32 v18, 16, v11
	v_cmp_u_f32_e32 vcc_lo, v7, v7
	v_and_b32_e32 v11, 0xffff0000, v11
	v_and_b32_e32 v2, 0xffff0000, v2
	v_add_f32_e32 v8, v8, v23
	v_mul_f32_e32 v18, v28, v18
	v_cndmask_b32_e32 v7, v15, v16, vcc_lo
	v_add3_u32 v15, v17, v9, 0x7fff
	v_or_b32_e32 v16, 0x400000, v9
	v_bfe_u32 v17, v10, 16, 1
	v_cmp_u_f32_e32 vcc_lo, v9, v9
	v_mul_f32_e32 v11, v19, v11
	v_lshlrev_b32_e32 v19, 16, v12
	v_and_b32_e32 v12, 0xffff0000, v12
	v_and_b32_e32 v7, 0xffff0000, v7
	v_cndmask_b32_e32 v9, v15, v16, vcc_lo
	v_add3_u32 v15, v17, v10, 0x7fff
	v_or_b32_e32 v16, 0x400000, v10
	v_bfe_u32 v17, v18, 16, 1
	v_cmp_u_f32_e32 vcc_lo, v10, v10
	v_mul_f32_e32 v12, v20, v12
	v_or_b32_e32 v20, 0x400000, v11
	v_and_b32_e32 v9, 0xffff0000, v9
	v_add_f32_e32 v2, v2, v7
	v_cndmask_b32_e32 v10, v15, v16, vcc_lo
	v_bfe_u32 v15, v11, 16, 1
	v_add3_u32 v16, v17, v18, 0x7fff
	v_mul_f32_e32 v17, v25, v19
	v_or_b32_e32 v19, 0x400000, v18
	v_cmp_u_f32_e32 vcc_lo, v18, v18
	v_add3_u32 v15, v15, v11, 0x7fff
	v_bfe_u32 v25, v12, 16, 1
	v_bfe_u32 v24, v17, 16, 1
	v_and_b32_e32 v10, 0xffff0000, v10
	v_cndmask_b32_e32 v16, v16, v19, vcc_lo
	v_cmp_u_f32_e32 vcc_lo, v11, v11
	v_add3_u32 v18, v25, v12, 0x7fff
	v_or_b32_e32 v19, 0x400000, v12
	v_add_f32_e32 v7, v9, v10
	v_and_b32_e32 v10, 0xffff0000, v16
	v_cndmask_b32_e32 v11, v15, v20, vcc_lo
	v_cmp_u_f32_e32 vcc_lo, v12, v12
	v_add3_u32 v15, v24, v17, 0x7fff
	v_or_b32_e32 v20, 0x400000, v17
	v_add_f32_e32 v2, v7, v2
	v_and_b32_e32 v9, 0xffff0000, v11
	v_cndmask_b32_e32 v12, v18, v19, vcc_lo
	v_cmp_u_f32_e32 vcc_lo, v17, v17
	v_add_f32_e32 v1, v3, v1
	v_add_f32_e32 v5, v14, v5
	;; [unrolled: 1-line block ×3, first 2 shown]
	v_and_b32_e32 v9, 0xffff0000, v12
	v_cndmask_b32_e32 v11, v15, v20, vcc_lo
	v_and_b32_e32 v15, 0xffff0000, v22
	v_add_f32_e32 v6, v8, v6
	v_add_f32_e32 v2, v7, v2
	;; [unrolled: 1-line block ×3, first 2 shown]
	v_and_b32_e32 v10, 0xffff0000, v11
	v_add_f32_e32 v3, v4, v15
	v_add_f32_e32 v45, v45, v5
	;; [unrolled: 1-line block ×9, first 2 shown]
.LBB156_41:                             ;   in Loop: Header=BB156_42 Depth=1
	s_or_b32 exec_lo, exec_lo, s17
	v_add_nc_u32_e32 v33, 4, v33
	v_add_co_u32 v34, s0, v34, 16
	v_add_co_ci_u32_e64 v35, null, 0, v35, s0
	v_cmp_le_i32_e32 vcc_lo, s16, v33
	v_add_nc_u32_e32 v39, 64, v39
	v_add_nc_u32_e32 v52, 0x100, v52
	s_or_b32 s14, vcc_lo, s14
	s_andn2_b32 exec_lo, exec_lo, s14
	s_cbranch_execz .LBB156_55
.LBB156_42:                             ; =>This Inner Loop Header: Depth=1
	v_sub_nc_u32_e32 v1, 0, v39
	v_max_i32_e32 v1, v39, v1
	v_mul_hi_u32 v2, v1, s12
	v_mul_lo_u32 v3, v2, s11
	v_sub_nc_u32_e32 v1, v1, v3
	v_add_nc_u32_e32 v3, 1, v2
	v_subrev_nc_u32_e32 v4, s11, v1
	v_cmp_le_u32_e32 vcc_lo, s11, v1
	v_cndmask_b32_e32 v2, v2, v3, vcc_lo
	v_cndmask_b32_e32 v1, v1, v4, vcc_lo
	v_ashrrev_i32_e32 v3, 31, v39
	v_add_nc_u32_e32 v4, 1, v2
	v_cmp_le_u32_e32 vcc_lo, s11, v1
	v_xor_b32_e32 v3, s19, v3
	v_cndmask_b32_e32 v1, v2, v4, vcc_lo
	v_xor_b32_e32 v1, v1, v3
	v_sub_nc_u32_e32 v1, v1, v3
	v_add_nc_u32_e32 v2, s33, v1
	v_cmp_lt_i32_e64 s0, s5, v1
	v_sub_nc_u32_e32 v3, 0, v2
	v_max_i32_e32 v3, v2, v3
	v_ashrrev_i32_e32 v2, 31, v2
	v_mul_hi_u32 v4, v3, v53
	v_mul_lo_u32 v4, v4, s6
	v_sub_nc_u32_e32 v3, v3, v4
	v_subrev_nc_u32_e32 v4, s6, v3
	v_cmp_le_u32_e32 vcc_lo, s6, v3
	v_cndmask_b32_e32 v3, v3, v4, vcc_lo
	v_subrev_nc_u32_e32 v4, s6, v3
	v_cmp_le_u32_e32 vcc_lo, s6, v3
	v_cndmask_b32_e32 v3, v3, v4, vcc_lo
	v_xor_b32_e32 v3, v3, v2
	v_sub_nc_u32_e32 v2, v3, v2
	v_cmp_eq_u32_e32 vcc_lo, 0, v2
	s_or_b32 s0, vcc_lo, s0
	s_and_saveexec_b32 s17, s0
	s_cbranch_execz .LBB156_41
; %bb.43:                               ;   in Loop: Header=BB156_42 Depth=1
	global_load_dword v1, v[34:35], off
	v_add_nc_u32_e32 v58, v48, v39
	v_cmp_eq_u32_e64 s0, s9, v33
	v_add_nc_u32_e32 v61, 1, v58
	v_or_b32_e32 v59, 3, v58
	v_or_b32_e32 v60, 2, v58
	;; [unrolled: 1-line block ×6, first 2 shown]
	s_waitcnt vmcnt(0)
	v_mad_i64_i32 v[1:2], null, v1, s13, 0
	v_lshlrev_b64 v[1:2], 1, v[1:2]
	v_add_co_u32 v9, vcc_lo, v50, v1
	v_add_co_ci_u32_e64 v10, null, v51, v2, vcc_lo
	global_load_dwordx4 v[1:4], v[9:10], off
	ds_read2_b64 v[25:28], v52 offset1:1
	ds_read2_b64 v[17:20], v52 offset0:2 offset1:3
	s_and_saveexec_b32 s18, s0
	s_cbranch_execnz .LBB156_52
; %bb.44:                               ;   in Loop: Header=BB156_42 Depth=1
	s_or_b32 exec_lo, exec_lo, s18
	global_load_dwordx4 v[5:8], v[9:10], off offset:512
	s_and_saveexec_b32 s18, s0
	s_cbranch_execnz .LBB156_53
.LBB156_45:                             ;   in Loop: Header=BB156_42 Depth=1
	s_or_b32 exec_lo, exec_lo, s18
	global_load_dwordx4 v[13:16], v[9:10], off offset:1024
	s_and_saveexec_b32 s18, s0
	s_cbranch_execnz .LBB156_54
.LBB156_46:                             ;   in Loop: Header=BB156_42 Depth=1
	s_or_b32 exec_lo, exec_lo, s18
	global_load_dwordx4 v[21:24], v[9:10], off offset:1536
	s_and_saveexec_b32 s18, s0
	s_cbranch_execz .LBB156_48
.LBB156_47:                             ;   in Loop: Header=BB156_42 Depth=1
	v_cmp_gt_i32_e64 s1, s27, v58
	v_cmp_gt_i32_e32 vcc_lo, s15, v61
	v_cmp_gt_i32_e64 s2, s27, v60
	s_waitcnt vmcnt(0)
	v_cndmask_b32_e64 v11, 0, v21, s1
	v_cmp_gt_i32_e64 s1, s15, v59
	v_cndmask_b32_sdwa v21, v49, v21, vcc_lo dst_sel:DWORD dst_unused:UNUSED_PAD src0_sel:DWORD src1_sel:WORD_1
	v_cndmask_b32_e64 v12, 0, v22, s2
	v_cmp_gt_i32_e64 s2, s15, v57
	s_mov_b32 vcc_lo, s1
	v_cmp_gt_i32_e64 s1, s15, v55
	v_cndmask_b32_sdwa v22, v49, v22, vcc_lo dst_sel:DWORD dst_unused:UNUSED_PAD src0_sel:DWORD src1_sel:WORD_1
	v_cmp_gt_i32_e32 vcc_lo, s27, v56
	v_perm_b32 v21, v21, v11, 0x5040100
	v_perm_b32 v22, v22, v12, 0x5040100
	v_cndmask_b32_e32 v29, 0, v23, vcc_lo
	s_mov_b32 vcc_lo, s2
	v_cndmask_b32_sdwa v23, v49, v23, vcc_lo dst_sel:DWORD dst_unused:UNUSED_PAD src0_sel:DWORD src1_sel:WORD_1
	v_cmp_gt_i32_e32 vcc_lo, s27, v54
	v_perm_b32 v23, v23, v29, 0x5040100
	v_cndmask_b32_e32 v30, 0, v24, vcc_lo
	s_mov_b32 vcc_lo, s1
	v_cndmask_b32_sdwa v24, v49, v24, vcc_lo dst_sel:DWORD dst_unused:UNUSED_PAD src0_sel:DWORD src1_sel:WORD_1
	v_perm_b32 v24, v24, v30, 0x5040100
.LBB156_48:                             ;   in Loop: Header=BB156_42 Depth=1
	s_or_b32 exec_lo, exec_lo, s18
	v_add_co_u32 v9, vcc_lo, 0x800, v9
	v_add_co_ci_u32_e64 v10, null, 0, v10, vcc_lo
	global_load_dwordx4 v[29:32], v[9:10], off
	s_and_saveexec_b32 s18, s0
	s_cbranch_execz .LBB156_50
; %bb.49:                               ;   in Loop: Header=BB156_42 Depth=1
	v_cmp_gt_i32_e64 s1, s27, v58
	v_cmp_gt_i32_e32 vcc_lo, s15, v61
	v_cmp_gt_i32_e64 s2, s27, v60
	s_waitcnt vmcnt(0)
	v_cndmask_b32_e64 v11, 0, v29, s1
	v_cmp_gt_i32_e64 s1, s15, v59
	v_cndmask_b32_sdwa v29, v49, v29, vcc_lo dst_sel:DWORD dst_unused:UNUSED_PAD src0_sel:DWORD src1_sel:WORD_1
	v_cndmask_b32_e64 v12, 0, v30, s2
	v_cmp_gt_i32_e64 s2, s15, v57
	s_mov_b32 vcc_lo, s1
	v_cmp_gt_i32_e64 s1, s15, v55
	v_cndmask_b32_sdwa v30, v49, v30, vcc_lo dst_sel:DWORD dst_unused:UNUSED_PAD src0_sel:DWORD src1_sel:WORD_1
	v_cmp_gt_i32_e32 vcc_lo, s27, v56
	v_perm_b32 v29, v29, v11, 0x5040100
	v_perm_b32 v30, v30, v12, 0x5040100
	v_cndmask_b32_e32 v62, 0, v31, vcc_lo
	s_mov_b32 vcc_lo, s2
	v_cndmask_b32_sdwa v31, v49, v31, vcc_lo dst_sel:DWORD dst_unused:UNUSED_PAD src0_sel:DWORD src1_sel:WORD_1
	v_cmp_gt_i32_e32 vcc_lo, s27, v54
	v_perm_b32 v31, v31, v62, 0x5040100
	v_cndmask_b32_e32 v63, 0, v32, vcc_lo
	s_mov_b32 vcc_lo, s1
	v_cndmask_b32_sdwa v32, v49, v32, vcc_lo dst_sel:DWORD dst_unused:UNUSED_PAD src0_sel:DWORD src1_sel:WORD_1
	v_perm_b32 v32, v32, v63, 0x5040100
.LBB156_50:                             ;   in Loop: Header=BB156_42 Depth=1
	s_or_b32 exec_lo, exec_lo, s18
	global_load_dwordx4 v[9:12], v[9:10], off offset:512
	s_and_saveexec_b32 s2, s0
	s_cbranch_execz .LBB156_40
; %bb.51:                               ;   in Loop: Header=BB156_42 Depth=1
	v_cmp_gt_i32_e64 s0, s27, v58
	v_cmp_gt_i32_e32 vcc_lo, s15, v61
	v_cmp_gt_i32_e64 s1, s27, v60
	s_waitcnt vmcnt(0)
	v_cndmask_b32_e64 v58, 0, v9, s0
	v_cmp_gt_i32_e64 s0, s15, v59
	v_cndmask_b32_sdwa v9, v49, v9, vcc_lo dst_sel:DWORD dst_unused:UNUSED_PAD src0_sel:DWORD src1_sel:WORD_1
	v_cndmask_b32_e64 v59, 0, v10, s1
	v_cmp_gt_i32_e64 s1, s15, v57
	s_mov_b32 vcc_lo, s0
	v_cmp_gt_i32_e64 s0, s15, v55
	v_cndmask_b32_sdwa v10, v49, v10, vcc_lo dst_sel:DWORD dst_unused:UNUSED_PAD src0_sel:DWORD src1_sel:WORD_1
	v_cmp_gt_i32_e32 vcc_lo, s27, v56
	v_perm_b32 v9, v9, v58, 0x5040100
	v_perm_b32 v10, v10, v59, 0x5040100
	v_cndmask_b32_e32 v56, 0, v11, vcc_lo
	s_mov_b32 vcc_lo, s1
	v_cndmask_b32_sdwa v11, v49, v11, vcc_lo dst_sel:DWORD dst_unused:UNUSED_PAD src0_sel:DWORD src1_sel:WORD_1
	v_cmp_gt_i32_e32 vcc_lo, s27, v54
	v_perm_b32 v11, v11, v56, 0x5040100
	v_cndmask_b32_e32 v54, 0, v12, vcc_lo
	s_mov_b32 vcc_lo, s0
	v_cndmask_b32_sdwa v12, v49, v12, vcc_lo dst_sel:DWORD dst_unused:UNUSED_PAD src0_sel:DWORD src1_sel:WORD_1
	v_perm_b32 v12, v12, v54, 0x5040100
	s_branch .LBB156_40
.LBB156_52:                             ;   in Loop: Header=BB156_42 Depth=1
	v_cmp_gt_i32_e64 s1, s27, v58
	v_cmp_gt_i32_e32 vcc_lo, s15, v61
	v_cmp_gt_i32_e64 s2, s27, v60
	s_waitcnt vmcnt(0)
	v_cndmask_b32_e64 v5, 0, v1, s1
	v_cmp_gt_i32_e64 s1, s15, v59
	v_cndmask_b32_sdwa v1, v49, v1, vcc_lo dst_sel:DWORD dst_unused:UNUSED_PAD src0_sel:DWORD src1_sel:WORD_1
	v_cndmask_b32_e64 v6, 0, v2, s2
	v_cmp_gt_i32_e64 s2, s15, v57
	s_mov_b32 vcc_lo, s1
	v_cmp_gt_i32_e64 s1, s15, v55
	v_cndmask_b32_sdwa v2, v49, v2, vcc_lo dst_sel:DWORD dst_unused:UNUSED_PAD src0_sel:DWORD src1_sel:WORD_1
	v_cmp_gt_i32_e32 vcc_lo, s27, v56
	v_perm_b32 v1, v1, v5, 0x5040100
	v_perm_b32 v2, v2, v6, 0x5040100
	v_cndmask_b32_e32 v7, 0, v3, vcc_lo
	s_mov_b32 vcc_lo, s2
	v_cndmask_b32_sdwa v3, v49, v3, vcc_lo dst_sel:DWORD dst_unused:UNUSED_PAD src0_sel:DWORD src1_sel:WORD_1
	v_cmp_gt_i32_e32 vcc_lo, s27, v54
	v_perm_b32 v3, v3, v7, 0x5040100
	v_cndmask_b32_e32 v8, 0, v4, vcc_lo
	s_mov_b32 vcc_lo, s1
	v_cndmask_b32_sdwa v4, v49, v4, vcc_lo dst_sel:DWORD dst_unused:UNUSED_PAD src0_sel:DWORD src1_sel:WORD_1
	v_perm_b32 v4, v4, v8, 0x5040100
	s_or_b32 exec_lo, exec_lo, s18
	global_load_dwordx4 v[5:8], v[9:10], off offset:512
	s_and_saveexec_b32 s18, s0
	s_cbranch_execz .LBB156_45
.LBB156_53:                             ;   in Loop: Header=BB156_42 Depth=1
	v_cmp_gt_i32_e64 s1, s27, v58
	v_cmp_gt_i32_e32 vcc_lo, s15, v61
	v_cmp_gt_i32_e64 s2, s27, v60
	s_waitcnt vmcnt(0)
	v_cndmask_b32_e64 v11, 0, v5, s1
	v_cmp_gt_i32_e64 s1, s15, v59
	v_cndmask_b32_sdwa v5, v49, v5, vcc_lo dst_sel:DWORD dst_unused:UNUSED_PAD src0_sel:DWORD src1_sel:WORD_1
	v_cndmask_b32_e64 v12, 0, v6, s2
	v_cmp_gt_i32_e64 s2, s15, v57
	s_mov_b32 vcc_lo, s1
	v_cmp_gt_i32_e64 s1, s15, v55
	v_cndmask_b32_sdwa v6, v49, v6, vcc_lo dst_sel:DWORD dst_unused:UNUSED_PAD src0_sel:DWORD src1_sel:WORD_1
	v_cmp_gt_i32_e32 vcc_lo, s27, v56
	v_perm_b32 v5, v5, v11, 0x5040100
	v_perm_b32 v6, v6, v12, 0x5040100
	v_cndmask_b32_e32 v13, 0, v7, vcc_lo
	s_mov_b32 vcc_lo, s2
	v_cndmask_b32_sdwa v7, v49, v7, vcc_lo dst_sel:DWORD dst_unused:UNUSED_PAD src0_sel:DWORD src1_sel:WORD_1
	v_cmp_gt_i32_e32 vcc_lo, s27, v54
	v_perm_b32 v7, v7, v13, 0x5040100
	v_cndmask_b32_e32 v14, 0, v8, vcc_lo
	s_mov_b32 vcc_lo, s1
	v_cndmask_b32_sdwa v8, v49, v8, vcc_lo dst_sel:DWORD dst_unused:UNUSED_PAD src0_sel:DWORD src1_sel:WORD_1
	v_perm_b32 v8, v8, v14, 0x5040100
	s_or_b32 exec_lo, exec_lo, s18
	global_load_dwordx4 v[13:16], v[9:10], off offset:1024
	s_and_saveexec_b32 s18, s0
	s_cbranch_execz .LBB156_46
.LBB156_54:                             ;   in Loop: Header=BB156_42 Depth=1
	v_cmp_gt_i32_e64 s1, s27, v58
	v_cmp_gt_i32_e32 vcc_lo, s15, v61
	v_cmp_gt_i32_e64 s2, s27, v60
	s_waitcnt vmcnt(0)
	v_cndmask_b32_e64 v11, 0, v13, s1
	v_cmp_gt_i32_e64 s1, s15, v59
	v_cndmask_b32_sdwa v13, v49, v13, vcc_lo dst_sel:DWORD dst_unused:UNUSED_PAD src0_sel:DWORD src1_sel:WORD_1
	v_cndmask_b32_e64 v12, 0, v14, s2
	v_cmp_gt_i32_e64 s2, s15, v57
	s_mov_b32 vcc_lo, s1
	v_cmp_gt_i32_e64 s1, s15, v55
	v_cndmask_b32_sdwa v14, v49, v14, vcc_lo dst_sel:DWORD dst_unused:UNUSED_PAD src0_sel:DWORD src1_sel:WORD_1
	v_cmp_gt_i32_e32 vcc_lo, s27, v56
	v_perm_b32 v13, v13, v11, 0x5040100
	v_perm_b32 v14, v14, v12, 0x5040100
	v_cndmask_b32_e32 v21, 0, v15, vcc_lo
	s_mov_b32 vcc_lo, s2
	v_cndmask_b32_sdwa v15, v49, v15, vcc_lo dst_sel:DWORD dst_unused:UNUSED_PAD src0_sel:DWORD src1_sel:WORD_1
	v_cmp_gt_i32_e32 vcc_lo, s27, v54
	v_perm_b32 v15, v15, v21, 0x5040100
	v_cndmask_b32_e32 v22, 0, v16, vcc_lo
	s_mov_b32 vcc_lo, s1
	v_cndmask_b32_sdwa v16, v49, v16, vcc_lo dst_sel:DWORD dst_unused:UNUSED_PAD src0_sel:DWORD src1_sel:WORD_1
	v_perm_b32 v16, v16, v22, 0x5040100
	s_or_b32 exec_lo, exec_lo, s18
	global_load_dwordx4 v[21:24], v[9:10], off offset:1536
	s_and_saveexec_b32 s18, s0
	s_cbranch_execnz .LBB156_47
	s_branch .LBB156_48
.LBB156_55:
	s_or_b32 exec_lo, exec_lo, s14
.LBB156_56:
	s_or_b32 exec_lo, exec_lo, s3
	ds_bpermute_b32 v1, v41, v47
	ds_bpermute_b32 v2, v41, v46
	;; [unrolled: 1-line block ×6, first 2 shown]
	v_lshrrev_b32_e32 v7, 1, v40
	v_mul_u32_u24_e32 v9, 0x180, v38
	v_and_b32_e32 v13, 0x3c1, v0
	s_mov_b32 s0, exec_lo
	s_waitcnt lgkmcnt(0)
	s_waitcnt_vscnt null, 0x0
	v_lshl_add_u32 v8, v7, 2, 0xe0
	s_barrier
	buffer_gl0_inv
	v_add_f32_e32 v6, v47, v1
	v_add_f32_e32 v5, v46, v2
	;; [unrolled: 1-line block ×6, first 2 shown]
	v_cmpx_eq_u32_e32 64, v13
	s_cbranch_execz .LBB156_58
; %bb.57:
	v_add_nc_u32_e32 v10, v8, v9
	v_add_nc_u32_e32 v11, 0xfffffd00, v10
	v_add_nc_u32_e32 v12, 0xfffffd40, v10
	v_add_nc_u32_e32 v13, 0xfffffd80, v10
	v_add_nc_u32_e32 v14, 0xfffffdc0, v10
	v_add_nc_u32_e32 v15, 0xfffffe00, v10
	v_add_nc_u32_e32 v10, 0xfffffe40, v10
	ds_write_b32 v11, v6
	ds_write_b32 v12, v5
	;; [unrolled: 1-line block ×6, first 2 shown]
.LBB156_58:
	s_or_b32 exec_lo, exec_lo, s0
	v_lshlrev_b32_e32 v7, 2, v7
	s_mov_b32 s1, exec_lo
	v_cmp_eq_u32_e32 vcc_lo, 0, v37
	s_waitcnt lgkmcnt(0)
	s_barrier
	v_add3_u32 v7, 0xe0, v9, v7
	buffer_gl0_inv
	v_cmpx_gt_u32_e32 64, v0
	s_cbranch_execz .LBB156_67
; %bb.59:
	s_and_saveexec_b32 s0, vcc_lo
	s_cbranch_execnz .LBB156_81
; %bb.60:
	s_or_b32 exec_lo, exec_lo, s0
	s_and_saveexec_b32 s0, vcc_lo
	s_cbranch_execnz .LBB156_82
.LBB156_61:
	s_or_b32 exec_lo, exec_lo, s0
	s_and_saveexec_b32 s0, vcc_lo
	s_cbranch_execnz .LBB156_83
.LBB156_62:
	s_or_b32 exec_lo, exec_lo, s0
	s_and_saveexec_b32 s0, vcc_lo
	s_cbranch_execnz .LBB156_84
.LBB156_63:
	s_or_b32 exec_lo, exec_lo, s0
	s_and_saveexec_b32 s0, vcc_lo
	s_cbranch_execnz .LBB156_85
.LBB156_64:
	s_or_b32 exec_lo, exec_lo, s0
	s_and_saveexec_b32 s0, vcc_lo
	s_cbranch_execz .LBB156_66
.LBB156_65:
	ds_read_b32 v9, v7 offset:320
	s_waitcnt lgkmcnt(0)
	v_add_f32_e32 v1, v1, v9
.LBB156_66:
	s_or_b32 exec_lo, exec_lo, s0
.LBB156_67:
	s_or_b32 exec_lo, exec_lo, s1
	v_and_b32_e32 v9, 0x3e1, v0
	s_mov_b32 s1, exec_lo
	s_barrier
	buffer_gl0_inv
	v_cmpx_eq_u32_e32 32, v9
	s_cbranch_execz .LBB156_69
; %bb.68:
	ds_write2_b32 v8, v6, v5 offset1:16
	ds_write2_b32 v8, v4, v3 offset0:32 offset1:48
	ds_write2_b32 v8, v2, v1 offset0:64 offset1:80
.LBB156_69:
	s_or_b32 exec_lo, exec_lo, s1
	s_mov_b32 s1, exec_lo
	s_waitcnt lgkmcnt(0)
	s_barrier
	buffer_gl0_inv
	v_cmpx_gt_u32_e32 32, v0
	s_cbranch_execz .LBB156_78
; %bb.70:
	s_and_saveexec_b32 s0, vcc_lo
	s_cbranch_execnz .LBB156_86
; %bb.71:
	s_or_b32 exec_lo, exec_lo, s0
	s_and_saveexec_b32 s0, vcc_lo
	s_cbranch_execnz .LBB156_87
.LBB156_72:
	s_or_b32 exec_lo, exec_lo, s0
	s_and_saveexec_b32 s0, vcc_lo
	s_cbranch_execnz .LBB156_88
.LBB156_73:
	s_or_b32 exec_lo, exec_lo, s0
	s_and_saveexec_b32 s0, vcc_lo
	s_cbranch_execnz .LBB156_89
.LBB156_74:
	s_or_b32 exec_lo, exec_lo, s0
	s_and_saveexec_b32 s0, vcc_lo
	s_cbranch_execnz .LBB156_90
.LBB156_75:
	s_or_b32 exec_lo, exec_lo, s0
	s_and_saveexec_b32 s0, vcc_lo
	s_cbranch_execz .LBB156_77
.LBB156_76:
	ds_read_b32 v0, v7 offset:320
	s_waitcnt lgkmcnt(0)
	v_add_f32_e32 v1, v1, v0
.LBB156_77:
	s_or_b32 exec_lo, exec_lo, s0
.LBB156_78:
	s_or_b32 exec_lo, exec_lo, s1
	s_barrier
	buffer_gl0_inv
	s_mov_b32 s0, exec_lo
	v_cmpx_eq_u32_e32 0, v9
	s_cbranch_execz .LBB156_80
; %bb.79:
	s_mul_i32 s0, s4, 0x60
	v_bfe_u32 v0, v6, 16, 1
	s_ashr_i32 s1, s0, 31
	s_mul_i32 s2, s7, s10
	s_lshl_b64 s[0:1], s[0:1], 1
	v_or_b32_e32 v7, 0x400000, v6
	s_add_u32 s4, s24, s0
	s_addc_u32 s1, s25, s1
	s_ashr_i32 s3, s2, 31
	v_add3_u32 v0, v0, v6, 0x7fff
	s_lshl_b64 s[2:3], s[2:3], 1
	v_bfe_u32 v9, v5, 16, 1
	v_cmp_u_f32_e32 vcc_lo, v6, v6
	s_mul_i32 s0, s8, 0x60
	s_add_u32 s2, s4, s2
	s_addc_u32 s3, s1, s3
	s_ashr_i32 s1, s0, 31
	v_lshlrev_b32_e32 v8, 1, v36
	s_lshl_b64 s[0:1], s[0:1], 1
	v_cndmask_b32_e32 v0, v0, v7, vcc_lo
	v_bfe_u32 v6, v4, 16, 1
	v_add3_u32 v7, v9, v5, 0x7fff
	v_or_b32_e32 v9, 0x400000, v5
	v_cmp_u_f32_e32 vcc_lo, v5, v5
	s_add_u32 s0, s2, s0
	s_addc_u32 s1, s3, s1
	v_or_b32_e32 v10, 0x400000, v2
	global_store_short_d16_hi v8, v0, s[0:1]
	v_add3_u32 v0, v6, v4, 0x7fff
	v_or_b32_e32 v6, 0x400000, v4
	v_cndmask_b32_e32 v5, v7, v9, vcc_lo
	v_bfe_u32 v7, v3, 16, 1
	v_cmp_u_f32_e32 vcc_lo, v4, v4
	v_bfe_u32 v9, v2, 16, 1
	v_bfe_u32 v4, v1, 16, 1
	v_or_b32_e32 v11, 0x400000, v1
	v_cndmask_b32_e32 v0, v0, v6, vcc_lo
	v_add3_u32 v6, v7, v3, 0x7fff
	v_or_b32_e32 v7, 0x400000, v3
	v_cmp_u_f32_e32 vcc_lo, v3, v3
	v_add3_u32 v9, v9, v2, 0x7fff
	v_add3_u32 v4, v4, v1, 0x7fff
	v_cndmask_b32_e32 v3, v6, v7, vcc_lo
	v_cmp_u_f32_e32 vcc_lo, v2, v2
	v_cndmask_b32_e32 v2, v9, v10, vcc_lo
	v_cmp_u_f32_e32 vcc_lo, v1, v1
	v_cndmask_b32_e32 v1, v4, v11, vcc_lo
	global_store_short_d16_hi v8, v5, s[0:1] offset:32
	global_store_short_d16_hi v8, v0, s[0:1] offset:64
	;; [unrolled: 1-line block ×5, first 2 shown]
.LBB156_80:
	s_endpgm
.LBB156_81:
	ds_read_b32 v9, v7
	s_waitcnt lgkmcnt(0)
	v_add_f32_e32 v6, v6, v9
	s_or_b32 exec_lo, exec_lo, s0
	s_and_saveexec_b32 s0, vcc_lo
	s_cbranch_execz .LBB156_61
.LBB156_82:
	ds_read_b32 v9, v7 offset:64
	s_waitcnt lgkmcnt(0)
	v_add_f32_e32 v5, v5, v9
	s_or_b32 exec_lo, exec_lo, s0
	s_and_saveexec_b32 s0, vcc_lo
	s_cbranch_execz .LBB156_62
.LBB156_83:
	ds_read_b32 v9, v7 offset:128
	s_waitcnt lgkmcnt(0)
	v_add_f32_e32 v4, v4, v9
	s_or_b32 exec_lo, exec_lo, s0
	s_and_saveexec_b32 s0, vcc_lo
	s_cbranch_execz .LBB156_63
.LBB156_84:
	ds_read_b32 v9, v7 offset:192
	s_waitcnt lgkmcnt(0)
	v_add_f32_e32 v3, v3, v9
	s_or_b32 exec_lo, exec_lo, s0
	s_and_saveexec_b32 s0, vcc_lo
	s_cbranch_execz .LBB156_64
.LBB156_85:
	ds_read_b32 v9, v7 offset:256
	s_waitcnt lgkmcnt(0)
	v_add_f32_e32 v2, v2, v9
	s_or_b32 exec_lo, exec_lo, s0
	s_and_saveexec_b32 s0, vcc_lo
	s_cbranch_execnz .LBB156_65
	s_branch .LBB156_66
.LBB156_86:
	ds_read_b32 v0, v7
	s_waitcnt lgkmcnt(0)
	v_add_f32_e32 v6, v6, v0
	s_or_b32 exec_lo, exec_lo, s0
	s_and_saveexec_b32 s0, vcc_lo
	s_cbranch_execz .LBB156_72
.LBB156_87:
	ds_read_b32 v0, v7 offset:64
	s_waitcnt lgkmcnt(0)
	v_add_f32_e32 v5, v5, v0
	s_or_b32 exec_lo, exec_lo, s0
	s_and_saveexec_b32 s0, vcc_lo
	s_cbranch_execz .LBB156_73
.LBB156_88:
	ds_read_b32 v0, v7 offset:128
	s_waitcnt lgkmcnt(0)
	v_add_f32_e32 v4, v4, v0
	s_or_b32 exec_lo, exec_lo, s0
	s_and_saveexec_b32 s0, vcc_lo
	s_cbranch_execz .LBB156_74
.LBB156_89:
	ds_read_b32 v0, v7 offset:192
	s_waitcnt lgkmcnt(0)
	v_add_f32_e32 v3, v3, v0
	s_or_b32 exec_lo, exec_lo, s0
	s_and_saveexec_b32 s0, vcc_lo
	s_cbranch_execz .LBB156_75
.LBB156_90:
	ds_read_b32 v0, v7 offset:256
	s_waitcnt lgkmcnt(0)
	v_add_f32_e32 v2, v2, v0
	s_or_b32 exec_lo, exec_lo, s0
	s_and_saveexec_b32 s0, vcc_lo
	s_cbranch_execnz .LBB156_76
	s_branch .LBB156_77
	.section	.rodata,"a",@progbits
	.p2align	6, 0x0
	.amdhsa_kernel _ZN4vllm25paged_attention_v2_kernelI14__hip_bfloat16S1_Li96ELi16ELi128ELNS_18Fp8KVCacheDataTypeE0ELb1ELi512EEEvPfS3_PT_PKS4_PKT0_SA_ifPKiSC_iPKfiiiSE_SE_iiiii
		.amdhsa_group_segment_fixed_size 224
		.amdhsa_private_segment_fixed_size 0
		.amdhsa_kernarg_size 400
		.amdhsa_user_sgpr_count 6
		.amdhsa_user_sgpr_private_segment_buffer 1
		.amdhsa_user_sgpr_dispatch_ptr 0
		.amdhsa_user_sgpr_queue_ptr 0
		.amdhsa_user_sgpr_kernarg_segment_ptr 1
		.amdhsa_user_sgpr_dispatch_id 0
		.amdhsa_user_sgpr_flat_scratch_init 0
		.amdhsa_user_sgpr_private_segment_size 0
		.amdhsa_wavefront_size32 1
		.amdhsa_uses_dynamic_stack 0
		.amdhsa_system_sgpr_private_segment_wavefront_offset 0
		.amdhsa_system_sgpr_workgroup_id_x 1
		.amdhsa_system_sgpr_workgroup_id_y 1
		.amdhsa_system_sgpr_workgroup_id_z 1
		.amdhsa_system_sgpr_workgroup_info 0
		.amdhsa_system_vgpr_workitem_id 0
		.amdhsa_next_free_vgpr 92
		.amdhsa_next_free_sgpr 46
		.amdhsa_reserve_vcc 1
		.amdhsa_reserve_flat_scratch 0
		.amdhsa_float_round_mode_32 0
		.amdhsa_float_round_mode_16_64 0
		.amdhsa_float_denorm_mode_32 3
		.amdhsa_float_denorm_mode_16_64 3
		.amdhsa_dx10_clamp 1
		.amdhsa_ieee_mode 1
		.amdhsa_fp16_overflow 0
		.amdhsa_workgroup_processor_mode 1
		.amdhsa_memory_ordered 1
		.amdhsa_forward_progress 1
		.amdhsa_shared_vgpr_count 0
		.amdhsa_exception_fp_ieee_invalid_op 0
		.amdhsa_exception_fp_denorm_src 0
		.amdhsa_exception_fp_ieee_div_zero 0
		.amdhsa_exception_fp_ieee_overflow 0
		.amdhsa_exception_fp_ieee_underflow 0
		.amdhsa_exception_fp_ieee_inexact 0
		.amdhsa_exception_int_div_zero 0
	.end_amdhsa_kernel
	.section	.text._ZN4vllm25paged_attention_v2_kernelI14__hip_bfloat16S1_Li96ELi16ELi128ELNS_18Fp8KVCacheDataTypeE0ELb1ELi512EEEvPfS3_PT_PKS4_PKT0_SA_ifPKiSC_iPKfiiiSE_SE_iiiii,"axG",@progbits,_ZN4vllm25paged_attention_v2_kernelI14__hip_bfloat16S1_Li96ELi16ELi128ELNS_18Fp8KVCacheDataTypeE0ELb1ELi512EEEvPfS3_PT_PKS4_PKT0_SA_ifPKiSC_iPKfiiiSE_SE_iiiii,comdat
.Lfunc_end156:
	.size	_ZN4vllm25paged_attention_v2_kernelI14__hip_bfloat16S1_Li96ELi16ELi128ELNS_18Fp8KVCacheDataTypeE0ELb1ELi512EEEvPfS3_PT_PKS4_PKT0_SA_ifPKiSC_iPKfiiiSE_SE_iiiii, .Lfunc_end156-_ZN4vllm25paged_attention_v2_kernelI14__hip_bfloat16S1_Li96ELi16ELi128ELNS_18Fp8KVCacheDataTypeE0ELb1ELi512EEEvPfS3_PT_PKS4_PKT0_SA_ifPKiSC_iPKfiiiSE_SE_iiiii
                                        ; -- End function
	.set _ZN4vllm25paged_attention_v2_kernelI14__hip_bfloat16S1_Li96ELi16ELi128ELNS_18Fp8KVCacheDataTypeE0ELb1ELi512EEEvPfS3_PT_PKS4_PKT0_SA_ifPKiSC_iPKfiiiSE_SE_iiiii.num_vgpr, 92
	.set _ZN4vllm25paged_attention_v2_kernelI14__hip_bfloat16S1_Li96ELi16ELi128ELNS_18Fp8KVCacheDataTypeE0ELb1ELi512EEEvPfS3_PT_PKS4_PKT0_SA_ifPKiSC_iPKfiiiSE_SE_iiiii.num_agpr, 0
	.set _ZN4vllm25paged_attention_v2_kernelI14__hip_bfloat16S1_Li96ELi16ELi128ELNS_18Fp8KVCacheDataTypeE0ELb1ELi512EEEvPfS3_PT_PKS4_PKT0_SA_ifPKiSC_iPKfiiiSE_SE_iiiii.numbered_sgpr, 46
	.set _ZN4vllm25paged_attention_v2_kernelI14__hip_bfloat16S1_Li96ELi16ELi128ELNS_18Fp8KVCacheDataTypeE0ELb1ELi512EEEvPfS3_PT_PKS4_PKT0_SA_ifPKiSC_iPKfiiiSE_SE_iiiii.num_named_barrier, 0
	.set _ZN4vllm25paged_attention_v2_kernelI14__hip_bfloat16S1_Li96ELi16ELi128ELNS_18Fp8KVCacheDataTypeE0ELb1ELi512EEEvPfS3_PT_PKS4_PKT0_SA_ifPKiSC_iPKfiiiSE_SE_iiiii.private_seg_size, 0
	.set _ZN4vllm25paged_attention_v2_kernelI14__hip_bfloat16S1_Li96ELi16ELi128ELNS_18Fp8KVCacheDataTypeE0ELb1ELi512EEEvPfS3_PT_PKS4_PKT0_SA_ifPKiSC_iPKfiiiSE_SE_iiiii.uses_vcc, 1
	.set _ZN4vllm25paged_attention_v2_kernelI14__hip_bfloat16S1_Li96ELi16ELi128ELNS_18Fp8KVCacheDataTypeE0ELb1ELi512EEEvPfS3_PT_PKS4_PKT0_SA_ifPKiSC_iPKfiiiSE_SE_iiiii.uses_flat_scratch, 0
	.set _ZN4vllm25paged_attention_v2_kernelI14__hip_bfloat16S1_Li96ELi16ELi128ELNS_18Fp8KVCacheDataTypeE0ELb1ELi512EEEvPfS3_PT_PKS4_PKT0_SA_ifPKiSC_iPKfiiiSE_SE_iiiii.has_dyn_sized_stack, 0
	.set _ZN4vllm25paged_attention_v2_kernelI14__hip_bfloat16S1_Li96ELi16ELi128ELNS_18Fp8KVCacheDataTypeE0ELb1ELi512EEEvPfS3_PT_PKS4_PKT0_SA_ifPKiSC_iPKfiiiSE_SE_iiiii.has_recursion, 0
	.set _ZN4vllm25paged_attention_v2_kernelI14__hip_bfloat16S1_Li96ELi16ELi128ELNS_18Fp8KVCacheDataTypeE0ELb1ELi512EEEvPfS3_PT_PKS4_PKT0_SA_ifPKiSC_iPKfiiiSE_SE_iiiii.has_indirect_call, 0
	.section	.AMDGPU.csdata,"",@progbits
; Kernel info:
; codeLenInByte = 9728
; TotalNumSgprs: 48
; NumVgprs: 92
; ScratchSize: 0
; MemoryBound: 0
; FloatMode: 240
; IeeeMode: 1
; LDSByteSize: 224 bytes/workgroup (compile time only)
; SGPRBlocks: 0
; VGPRBlocks: 11
; NumSGPRsForWavesPerEU: 48
; NumVGPRsForWavesPerEU: 92
; Occupancy: 10
; WaveLimiterHint : 1
; COMPUTE_PGM_RSRC2:SCRATCH_EN: 0
; COMPUTE_PGM_RSRC2:USER_SGPR: 6
; COMPUTE_PGM_RSRC2:TRAP_HANDLER: 0
; COMPUTE_PGM_RSRC2:TGID_X_EN: 1
; COMPUTE_PGM_RSRC2:TGID_Y_EN: 1
; COMPUTE_PGM_RSRC2:TGID_Z_EN: 1
; COMPUTE_PGM_RSRC2:TIDIG_COMP_CNT: 0
	.section	.text._ZN4vllm25paged_attention_v2_kernelI14__hip_bfloat16S1_Li112ELi16ELi128ELNS_18Fp8KVCacheDataTypeE0ELb1ELi512EEEvPfS3_PT_PKS4_PKT0_SA_ifPKiSC_iPKfiiiSE_SE_iiiii,"axG",@progbits,_ZN4vllm25paged_attention_v2_kernelI14__hip_bfloat16S1_Li112ELi16ELi128ELNS_18Fp8KVCacheDataTypeE0ELb1ELi512EEEvPfS3_PT_PKS4_PKT0_SA_ifPKiSC_iPKfiiiSE_SE_iiiii,comdat
	.protected	_ZN4vllm25paged_attention_v2_kernelI14__hip_bfloat16S1_Li112ELi16ELi128ELNS_18Fp8KVCacheDataTypeE0ELb1ELi512EEEvPfS3_PT_PKS4_PKT0_SA_ifPKiSC_iPKfiiiSE_SE_iiiii ; -- Begin function _ZN4vllm25paged_attention_v2_kernelI14__hip_bfloat16S1_Li112ELi16ELi128ELNS_18Fp8KVCacheDataTypeE0ELb1ELi512EEEvPfS3_PT_PKS4_PKT0_SA_ifPKiSC_iPKfiiiSE_SE_iiiii
	.globl	_ZN4vllm25paged_attention_v2_kernelI14__hip_bfloat16S1_Li112ELi16ELi128ELNS_18Fp8KVCacheDataTypeE0ELb1ELi512EEEvPfS3_PT_PKS4_PKT0_SA_ifPKiSC_iPKfiiiSE_SE_iiiii
	.p2align	8
	.type	_ZN4vllm25paged_attention_v2_kernelI14__hip_bfloat16S1_Li112ELi16ELi128ELNS_18Fp8KVCacheDataTypeE0ELb1ELi512EEEvPfS3_PT_PKS4_PKT0_SA_ifPKiSC_iPKfiiiSE_SE_iiiii,@function
_ZN4vllm25paged_attention_v2_kernelI14__hip_bfloat16S1_Li112ELi16ELi128ELNS_18Fp8KVCacheDataTypeE0ELb1ELi512EEEvPfS3_PT_PKS4_PKT0_SA_ifPKiSC_iPKfiiiSE_SE_iiiii: ; @_ZN4vllm25paged_attention_v2_kernelI14__hip_bfloat16S1_Li112ELi16ELi128ELNS_18Fp8KVCacheDataTypeE0ELb1ELi512EEEvPfS3_PT_PKS4_PKT0_SA_ifPKiSC_iPKfiiiSE_SE_iiiii
; %bb.0:
	s_load_dwordx2 s[0:1], s[4:5], 0x40
	s_mov_b32 s26, s7
	s_ashr_i32 s27, s7, 31
	s_lshl_b64 s[2:3], s[26:27], 2
	s_waitcnt lgkmcnt(0)
	s_add_u32 s0, s0, s2
	s_addc_u32 s1, s1, s3
	s_lshl_b32 s38, s8, 9
	s_load_dword s27, s[0:1], 0x0
	s_waitcnt lgkmcnt(0)
	s_cmp_ge_i32 s38, s27
	s_cbranch_scc1 .LBB157_84
; %bb.1:
	s_clause 0x1
	s_load_dword s9, s[4:5], 0x90
	s_load_dwordx2 s[36:37], s[4:5], 0x30
	s_mov_b32 s40, 0
	s_waitcnt lgkmcnt(0)
	s_abs_i32 s3, s9
	s_abs_i32 s0, s36
	v_cvt_f32_u32_e32 v1, s0
	s_sub_i32 s2, 0, s0
	v_rcp_iflag_f32_e32 v1, v1
	v_mul_f32_e32 v1, 0x4f7ffffe, v1
	v_cvt_u32_f32_e32 v1, v1
	v_readfirstlane_b32 s1, v1
	s_mul_i32 s2, s2, s1
	s_mul_hi_u32 s2, s1, s2
	s_add_i32 s1, s1, s2
	s_xor_b32 s2, s9, s36
	s_mul_hi_u32 s1, s3, s1
	s_ashr_i32 s2, s2, 31
	s_mul_i32 s7, s1, s0
	s_sub_i32 s3, s3, s7
	s_add_i32 s7, s1, 1
	s_sub_i32 s10, s3, s0
	s_cmp_ge_u32 s3, s0
	s_cselect_b32 s1, s7, s1
	s_cselect_b32 s3, s10, s3
	s_add_i32 s7, s1, 1
	s_cmp_ge_u32 s3, s0
	s_cselect_b32 s0, s7, s1
	s_xor_b32 s0, s0, s2
	s_sub_i32 s10, s0, s2
	s_load_dwordx2 s[0:1], s[4:5], 0x50
	s_abs_i32 s2, s10
	v_cvt_f32_u32_e32 v1, s2
	s_sub_i32 s3, 0, s2
	v_rcp_iflag_f32_e32 v1, v1
	v_mul_f32_e32 v1, 0x4f7ffffe, v1
	v_cvt_u32_f32_e32 v1, v1
	v_readfirstlane_b32 s7, v1
	s_mul_i32 s3, s3, s7
	s_mul_hi_u32 s11, s7, s3
	s_abs_i32 s3, s6
	s_add_i32 s7, s7, s11
	s_waitcnt lgkmcnt(0)
	s_cmp_eq_u64 s[0:1], 0
	s_mul_hi_u32 s20, s3, s7
	s_cbranch_scc1 .LBB157_3
; %bb.2:
	s_ashr_i32 s7, s6, 31
	s_lshl_b64 s[12:13], s[6:7], 2
	s_add_u32 s0, s0, s12
	s_addc_u32 s1, s1, s13
	s_load_dword s40, s[0:1], 0x0
.LBB157_3:
	s_load_dwordx4 s[12:15], s[4:5], 0x58
	v_lshrrev_b32_e32 v40, 1, v0
	v_and_b32_e32 v41, 1, v0
	v_lshlrev_b32_e32 v31, 3, v0
	s_ashr_i32 s0, s6, 31
	s_ashr_i32 s1, s10, 31
	s_mul_i32 s10, s6, 0x70
	s_mov_b32 s7, exec_lo
	v_cmpx_gt_u32_e32 28, v0
	s_cbranch_execz .LBB157_5
; %bb.4:
	s_load_dwordx2 s[16:17], s[4:5], 0x18
	s_waitcnt lgkmcnt(0)
	s_mul_i32 s18, s12, s26
	v_lshlrev_b32_e32 v3, 3, v40
	s_ashr_i32 s19, s18, 31
	s_lshl_b64 s[18:19], s[18:19], 1
	v_mad_u32_u24 v3, 0x70, v41, v3
	s_add_u32 s12, s16, s18
	s_addc_u32 s15, s17, s19
	s_ashr_i32 s11, s10, 31
	s_lshl_b64 s[16:17], s[10:11], 1
	s_add_u32 s16, s12, s16
	s_addc_u32 s17, s15, s17
	global_load_dwordx2 v[1:2], v31, s[16:17]
	s_waitcnt vmcnt(0)
	ds_write_b64 v3, v[1:2]
.LBB157_5:
	s_or_b32 exec_lo, exec_lo, s7
	s_load_dwordx4 s[16:19], s[4:5], 0x78
	s_mul_i32 s7, s20, s2
	s_xor_b32 s0, s0, s1
	s_sub_i32 s1, s3, s7
	s_add_i32 s3, s20, 1
	s_sub_i32 s7, s1, s2
	s_cmp_ge_u32 s1, s2
                                        ; implicit-def: $sgpr33
	s_cselect_b32 s3, s3, s20
	s_cselect_b32 s1, s7, s1
	s_add_i32 s7, s3, 1
	s_cmp_ge_u32 s1, s2
	s_mov_b32 s20, -1
	s_cselect_b32 s1, s7, s3
	s_load_dword s3, s[4:5], 0x88
	s_xor_b32 s1, s1, s0
	s_add_i32 s7, s27, -1
	s_sub_i32 s1, s1, s0
	s_abs_i32 s2, s7
	s_waitcnt lgkmcnt(0)
	s_abs_i32 s11, s19
	s_barrier
	v_cvt_f32_u32_e32 v1, s11
	s_sub_i32 s0, 0, s11
	buffer_gl0_inv
	v_rcp_iflag_f32_e32 v1, v1
	v_mul_f32_e32 v1, 0x4f7ffffe, v1
	v_cvt_u32_f32_e32 v1, v1
	v_readfirstlane_b32 s12, v1
	s_mul_i32 s0, s0, s12
	s_mul_hi_u32 s0, s12, s0
	s_add_i32 s12, s12, s0
	s_cmp_lt_i32 s3, 0
	s_mul_hi_u32 s0, s2, s12
	s_cbranch_scc0 .LBB157_7
; %bb.6:
	s_mul_i32 s15, s16, s36
	s_mov_b32 s20, 0
	s_add_i32 s15, s1, s15
	s_mul_i32 s15, s15, s3
	s_sub_i32 s33, 1, s15
.LBB157_7:
	s_load_dwordx2 s[28:29], s[4:5], 0x38
	s_ashr_i32 s15, s7, 31
	s_andn2_b32 vcc_lo, exec_lo, s20
	s_ashr_i32 s19, s19, 31
	s_cbranch_vccnz .LBB157_9
; %bb.8:
	s_mul_i32 s7, s9, s16
	s_add_i32 s7, s7, s6
	s_mul_i32 s3, s7, s3
	s_add_i32 s33, s3, 1
.LBB157_9:
	s_clause 0x4
	s_load_dword s3, s[4:5], 0x48
	s_load_dwordx2 s[34:35], s[4:5], 0x28
	s_load_dword s7, s[4:5], 0x98
	s_load_dwordx4 s[20:23], s[4:5], 0x0
	s_load_dwordx2 s[24:25], s[4:5], 0x10
	s_mul_i32 s16, s0, s11
	s_xor_b32 s15, s15, s19
	s_sub_i32 s2, s2, s16
	s_add_i32 s36, s0, 1
	v_lshrrev_b32_e32 v42, 5, v0
	v_mov_b32_e32 v33, 0xff7fffff
	v_mbcnt_lo_u32_b32 v32, -1, 0
	s_mul_i32 s14, s1, s14
	v_lshl_add_u32 v43, v42, 4, s38
	s_waitcnt lgkmcnt(0)
	s_mul_i32 s30, s3, s26
	s_sub_i32 s3, s2, s11
	s_ashr_i32 s31, s30, 31
	s_cmp_ge_u32 s2, s11
	s_cselect_b32 s0, s36, s0
	s_cselect_b32 s2, s3, s2
	s_add_i32 s3, s0, 1
	s_cmp_ge_u32 s2, s11
	s_cselect_b32 s0, s3, s0
	s_add_i32 s2, s27, 15
	s_lshl_b32 s41, s8, 5
	s_ashr_i32 s3, s2, 31
	v_or_b32_e32 v37, s41, v42
	s_lshr_b32 s3, s3, 28
	s_add_i32 s2, s2, s3
	s_add_i32 s3, s41, 32
	s_ashr_i32 s36, s2, 4
	s_xor_b32 s2, s0, s15
	s_min_i32 s16, s3, s36
	v_ashrrev_i32_e32 v38, 31, v37
	v_cmp_gt_i32_e64 s0, s16, v37
	s_sub_i32 s39, s2, s15
	s_and_saveexec_b32 s42, s0
	s_cbranch_execz .LBB157_21
; %bb.10:
	s_load_dwordx2 s[2:3], s[4:5], 0x20
	s_ashr_i32 s15, s14, 31
	s_sub_i32 s4, s39, s17
	s_lshl_b64 s[44:45], s[14:15], 1
	v_bfe_u32 v34, v0, 1, 4
	v_and_b32_e32 v4, 8, v31
	v_mul_u32_u24_e32 v35, 0x70, v41
	v_cmp_neq_f32_e64 s1, s40, 0
	v_lshl_add_u32 v36, v42, 4, s38
	v_lshlrev_b32_e32 v5, 2, v34
	v_lshlrev_b32_e32 v7, 4, v34
	v_subrev_nc_u32_e32 v6, s27, v34
	v_mov_b32_e32 v39, 0xff7fffff
	v_xor_b32_e32 v44, 1, v32
	v_lshl_or_b32 v5, v42, 6, v5
	v_mov_b32_e32 v33, 0xff7fffff
	v_add_nc_u32_e32 v45, 1, v6
	v_mov_b32_e32 v50, v37
	v_cmp_eq_u32_e32 vcc_lo, 0, v41
	v_add_nc_u32_e32 v46, 0x100, v5
	s_waitcnt lgkmcnt(0)
	s_add_u32 s15, s2, s44
	s_addc_u32 s43, s3, s45
	s_abs_i32 s5, s18
	v_add_co_u32 v7, s15, s15, v7
	v_cvt_f32_u32_e32 v1, s5
	s_sub_i32 s2, 0, s5
	v_add_co_ci_u32_e64 v8, null, s43, 0, s15
	s_mov_b32 s15, 0
	v_rcp_iflag_f32_e32 v3, v1
	v_lshlrev_b64 v[1:2], 2, v[37:38]
	s_mov_b32 s43, s13
	v_mul_f32_e32 v3, 0x4f7ffffe, v3
	v_cvt_u32_f32_e32 v3, v3
	v_mul_lo_u32 v5, s2, v3
	s_lshl_b64 s[2:3], s[30:31], 2
	s_add_u32 s2, s28, s2
	s_addc_u32 s3, s29, s3
	v_mul_hi_u32 v9, v3, v5
	v_add_co_u32 v5, s2, s2, v1
	v_add_co_ci_u32_e64 v6, null, s3, v2, s2
	v_add_co_u32 v47, s2, v7, v4
	v_add_co_ci_u32_e64 v48, null, 0, v8, s2
	v_add_nc_u32_e32 v49, v3, v9
	s_branch .LBB157_13
.LBB157_11:                             ;   in Loop: Header=BB157_13 Depth=1
	s_or_b32 exec_lo, exec_lo, s44
.LBB157_12:                             ;   in Loop: Header=BB157_13 Depth=1
	s_or_b32 exec_lo, exec_lo, s3
	v_add_nc_u32_e32 v50, 4, v50
	v_add_co_u32 v5, s3, v5, 16
	v_add_co_ci_u32_e64 v6, null, 0, v6, s3
	v_cmp_le_i32_e64 s2, s16, v50
	v_add_nc_u32_e32 v36, 64, v36
	v_add_nc_u32_e32 v46, 0x100, v46
	s_or_b32 s15, s2, s15
	s_andn2_b32 exec_lo, exec_lo, s15
	s_cbranch_execz .LBB157_20
.LBB157_13:                             ; =>This Inner Loop Header: Depth=1
	v_sub_nc_u32_e32 v1, 0, v36
	v_max_i32_e32 v1, v36, v1
	s_waitcnt lgkmcnt(0)
	v_mul_hi_u32 v2, v1, s12
	v_mul_lo_u32 v3, v2, s11
	v_sub_nc_u32_e32 v1, v1, v3
	v_add_nc_u32_e32 v3, 1, v2
	v_subrev_nc_u32_e32 v4, s11, v1
	v_cmp_le_u32_e64 s2, s11, v1
	v_cndmask_b32_e64 v2, v2, v3, s2
	v_cndmask_b32_e64 v1, v1, v4, s2
	v_ashrrev_i32_e32 v3, 31, v36
	v_add_nc_u32_e32 v4, 1, v2
	v_cmp_le_u32_e64 s2, s11, v1
	v_xor_b32_e32 v3, s19, v3
	v_cndmask_b32_e64 v1, v2, v4, s2
	v_xor_b32_e32 v1, v1, v3
	v_sub_nc_u32_e32 v1, v1, v3
	v_add_nc_u32_e32 v2, s33, v1
	v_cmp_ge_i32_e64 s3, s4, v1
	v_sub_nc_u32_e32 v3, 0, v2
	v_max_i32_e32 v3, v2, v3
	v_ashrrev_i32_e32 v2, 31, v2
	v_mul_hi_u32 v4, v3, v49
	v_mul_lo_u32 v4, v4, s5
	v_sub_nc_u32_e32 v3, v3, v4
	v_subrev_nc_u32_e32 v4, s5, v3
	v_cmp_le_u32_e64 s2, s5, v3
	v_cndmask_b32_e64 v3, v3, v4, s2
	v_subrev_nc_u32_e32 v4, s5, v3
	v_cmp_le_u32_e64 s2, s5, v3
	v_cndmask_b32_e64 v3, v3, v4, s2
	v_xor_b32_e32 v3, v3, v2
	v_sub_nc_u32_e32 v2, v3, v2
	v_cmp_ne_u32_e64 s2, 0, v2
	s_and_b32 s2, s2, s3
	s_and_saveexec_b32 s3, s2
	s_xor_b32 s2, exec_lo, s3
	s_cbranch_execz .LBB157_17
; %bb.14:                               ;   in Loop: Header=BB157_13 Depth=1
	s_and_saveexec_b32 s3, vcc_lo
; %bb.15:                               ;   in Loop: Header=BB157_13 Depth=1
	ds_write_b32 v46, v39
; %bb.16:                               ;   in Loop: Header=BB157_13 Depth=1
	s_or_b32 exec_lo, exec_lo, s3
.LBB157_17:                             ;   in Loop: Header=BB157_13 Depth=1
	s_andn2_saveexec_b32 s3, s2
	s_cbranch_execz .LBB157_12
; %bb.18:                               ;   in Loop: Header=BB157_13 Depth=1
	global_load_dword v1, v[5:6], off
	s_waitcnt vmcnt(0)
	v_mad_i64_i32 v[1:2], null, v1, s43, 0
	v_lshlrev_b64 v[1:2], 1, v[1:2]
	v_add_co_u32 v1, s2, v47, v1
	v_add_co_ci_u32_e64 v2, null, v48, v2, s2
	s_clause 0x6
	global_load_dwordx2 v[27:28], v[1:2], off offset:256
	global_load_dwordx2 v[7:8], v[1:2], off offset:512
	;; [unrolled: 1-line block ×3, first 2 shown]
	global_load_dwordx2 v[87:88], v[1:2], off
	global_load_dwordx2 v[89:90], v[1:2], off offset:1024
	global_load_dwordx2 v[25:26], v[1:2], off offset:1280
	;; [unrolled: 1-line block ×3, first 2 shown]
	v_add_co_u32 v3, s2, 0x800, v1
	v_add_co_ci_u32_e64 v4, null, 0, v2, s2
	s_clause 0x6
	global_load_dwordx2 v[21:22], v[1:2], off offset:1792
	global_load_dwordx2 v[15:16], v[3:4], off
	global_load_dwordx2 v[17:18], v[3:4], off offset:256
	global_load_dwordx2 v[19:20], v[3:4], off offset:512
	;; [unrolled: 1-line block ×5, first 2 shown]
	ds_read_b128 v[63:66], v35
	ds_read_b128 v[67:70], v35 offset:16
	ds_read_b128 v[71:74], v35 offset:32
	;; [unrolled: 1-line block ×6, first 2 shown]
	v_cmp_gt_i32_e64 s2, 32, v44
	s_waitcnt lgkmcnt(6)
	v_lshlrev_b32_e32 v56, 16, v65
	v_and_b32_e32 v65, 0xffff0000, v65
	v_lshlrev_b32_e32 v91, 16, v63
	v_lshlrev_b32_e32 v93, 16, v66
	v_and_b32_e32 v63, 0xffff0000, v63
	v_lshlrev_b32_e32 v92, 16, v64
	s_waitcnt lgkmcnt(5)
	v_lshlrev_b32_e32 v94, 16, v67
	v_and_b32_e32 v66, 0xffff0000, v66
	v_and_b32_e32 v67, 0xffff0000, v67
	v_lshlrev_b32_e32 v95, 16, v68
	v_lshlrev_b32_e32 v96, 16, v69
	v_and_b32_e32 v64, 0xffff0000, v64
	v_and_b32_e32 v69, 0xffff0000, v69
	v_lshlrev_b32_e32 v97, 16, v70
	s_waitcnt lgkmcnt(4)
	v_lshlrev_b32_e32 v98, 16, v71
	v_and_b32_e32 v68, 0xffff0000, v68
	v_and_b32_e32 v71, 0xffff0000, v71
	v_lshlrev_b32_e32 v99, 16, v72
	v_lshlrev_b32_e32 v100, 16, v73
	v_and_b32_e32 v70, 0xffff0000, v70
	;; [unrolled: 9-line block ×5, first 2 shown]
	v_and_b32_e32 v85, 0xffff0000, v85
	v_lshlrev_b32_e32 v51, 16, v86
	v_and_b32_e32 v84, 0xffff0000, v84
	v_and_b32_e32 v86, 0xffff0000, v86
	s_waitcnt lgkmcnt(0)
	v_lshlrev_b32_e32 v105, 16, v2
	v_and_b32_e32 v2, 0xffff0000, v2
	s_waitcnt vmcnt(13)
	v_lshlrev_b32_e32 v103, 16, v27
	v_and_b32_e32 v27, 0xffff0000, v27
	s_waitcnt vmcnt(10)
	v_lshlrev_b32_e32 v104, 16, v87
	v_and_b32_e32 v87, 0xffff0000, v87
	v_mul_f32_e32 v56, v56, v103
	v_mul_f32_e32 v27, v65, v27
	v_lshlrev_b32_e32 v65, 16, v28
	v_and_b32_e32 v28, 0xffff0000, v28
	v_lshlrev_b32_e32 v103, 16, v1
	v_fmac_f32_e32 v56, v91, v104
	v_lshlrev_b32_e32 v91, 16, v88
	v_fmac_f32_e32 v27, v63, v87
	v_lshlrev_b32_e32 v63, 16, v7
	v_and_b32_e32 v7, 0xffff0000, v7
	v_mul_f32_e32 v65, v93, v65
	v_and_b32_e32 v88, 0xffff0000, v88
	v_lshlrev_b32_e32 v87, 16, v8
	v_mul_f32_e32 v28, v66, v28
	v_lshlrev_b32_e32 v66, 16, v29
	v_fmac_f32_e32 v65, v92, v91
	v_and_b32_e32 v29, 0xffff0000, v29
	v_fmac_f32_e32 v56, v94, v63
	v_fmac_f32_e32 v27, v67, v7
	v_and_b32_e32 v8, 0xffff0000, v8
	v_lshlrev_b32_e32 v91, 16, v30
	s_waitcnt vmcnt(9)
	v_lshlrev_b32_e32 v92, 16, v89
	v_fmac_f32_e32 v28, v64, v88
	v_and_b32_e32 v64, 0xffff0000, v89
	v_fmac_f32_e32 v65, v95, v87
	v_fmac_f32_e32 v56, v96, v66
	;; [unrolled: 1-line block ×3, first 2 shown]
	v_and_b32_e32 v30, 0xffff0000, v30
	v_lshlrev_b32_e32 v88, 16, v90
	v_and_b32_e32 v89, 0xffff0000, v90
	s_waitcnt vmcnt(8)
	v_lshlrev_b32_e32 v90, 16, v25
	v_and_b32_e32 v25, 0xffff0000, v25
	v_fmac_f32_e32 v28, v68, v8
	v_fmac_f32_e32 v65, v97, v91
	;; [unrolled: 1-line block ×4, first 2 shown]
	v_lshlrev_b32_e32 v63, 16, v26
	s_waitcnt vmcnt(7)
	v_lshlrev_b32_e32 v93, 16, v23
	v_and_b32_e32 v7, 0xffff0000, v23
	v_fmac_f32_e32 v28, v70, v30
	v_fmac_f32_e32 v65, v99, v88
	v_fmac_f32_e32 v56, v100, v90
	v_fmac_f32_e32 v27, v73, v25
	v_and_b32_e32 v26, 0xffff0000, v26
	v_lshlrev_b32_e32 v23, 16, v24
	s_waitcnt vmcnt(6)
	v_lshlrev_b32_e32 v67, 16, v21
	v_and_b32_e32 v21, 0xffff0000, v21
	v_fmac_f32_e32 v28, v72, v89
	v_fmac_f32_e32 v65, v101, v63
	v_fmac_f32_e32 v56, v102, v93
	v_fmac_f32_e32 v27, v75, v7
	v_and_b32_e32 v24, 0xffff0000, v24
	;; [unrolled: 9-line block ×6, first 2 shown]
	v_and_b32_e32 v20, 0xffff0000, v20
	v_lshlrev_b32_e32 v30, 16, v14
	s_waitcnt vmcnt(1)
	v_lshlrev_b32_e32 v7, 16, v11
	v_and_b32_e32 v11, 0xffff0000, v11
	v_fmac_f32_e32 v28, v82, v18
	v_fmac_f32_e32 v65, v52, v29
	;; [unrolled: 1-line block ×4, first 2 shown]
	v_lshlrev_b32_e32 v104, 16, v3
	v_and_b32_e32 v3, 0xffff0000, v3
	v_and_b32_e32 v14, 0xffff0000, v14
	v_lshlrev_b32_e32 v8, 16, v12
	s_waitcnt vmcnt(0)
	v_lshlrev_b32_e32 v15, 16, v9
	v_fmac_f32_e32 v28, v84, v20
	v_and_b32_e32 v9, 0xffff0000, v9
	v_fmac_f32_e32 v65, v51, v30
	v_fmac_f32_e32 v56, v103, v7
	;; [unrolled: 1-line block ×3, first 2 shown]
	v_lshlrev_b32_e32 v69, 16, v4
	v_and_b32_e32 v12, 0xffff0000, v12
	v_fmac_f32_e32 v28, v86, v14
	v_lshlrev_b32_e32 v1, 16, v10
	v_fmac_f32_e32 v65, v105, v8
	v_fmac_f32_e32 v56, v15, v104
	;; [unrolled: 1-line block ×4, first 2 shown]
	v_and_b32_e32 v2, 0xffff0000, v4
	v_and_b32_e32 v3, 0xffff0000, v10
	v_fmac_f32_e32 v65, v1, v69
	v_add_f32_e32 v1, v56, v27
	v_cndmask_b32_e64 v4, v32, v44, s2
	v_fmac_f32_e32 v28, v3, v2
	v_add_f32_e32 v1, v1, v65
	v_lshlrev_b32_e32 v2, 2, v4
	v_add_f32_e32 v1, v28, v1
	ds_bpermute_b32 v2, v2, v1
	s_and_saveexec_b32 s44, vcc_lo
	s_cbranch_execz .LBB157_11
; %bb.19:                               ;   in Loop: Header=BB157_13 Depth=1
	v_add_nc_u32_e32 v3, v45, v36
	s_waitcnt lgkmcnt(0)
	v_add_f32_e32 v1, v1, v2
	v_cvt_f32_i32_e32 v3, v3
	v_mul_f32_e32 v3, s40, v3
	v_cndmask_b32_e64 v2, 0, v3, s1
	v_max_f32_e32 v3, v33, v33
	v_fmac_f32_e32 v2, s37, v1
	v_add_nc_u32_e32 v1, v34, v36
	v_max_f32_e32 v3, v3, v2
	v_cmp_gt_i32_e64 s2, s27, v1
	v_cndmask_b32_e64 v1, 0, v2, s2
	v_cndmask_b32_e64 v33, v33, v3, s2
	ds_write_b32 v46, v1
	s_branch .LBB157_11
.LBB157_20:
	s_or_b32 exec_lo, exec_lo, s15
.LBB157_21:
	s_or_b32 exec_lo, exec_lo, s42
	v_xor_b32_e32 v1, 16, v32
	s_waitcnt lgkmcnt(0)
	v_xor_b32_e32 v2, 8, v32
	v_max_f32_e32 v4, v33, v33
	v_and_b32_e32 v44, 31, v0
	v_lshlrev_b32_e32 v7, 2, v42
	v_cmp_gt_i32_e32 vcc_lo, 32, v1
	v_cndmask_b32_e32 v1, v32, v1, vcc_lo
	v_cmp_gt_i32_e32 vcc_lo, 32, v2
	v_lshlrev_b32_e32 v3, 2, v1
	v_cndmask_b32_e32 v2, v32, v2, vcc_lo
	ds_bpermute_b32 v1, v3, v33
	v_lshlrev_b32_e32 v5, 2, v2
	s_waitcnt lgkmcnt(0)
	v_max_f32_e32 v1, v1, v1
	v_max_f32_e32 v1, v4, v1
	v_xor_b32_e32 v4, 4, v32
	ds_bpermute_b32 v2, v5, v1
	v_cmp_gt_i32_e32 vcc_lo, 32, v4
	v_cndmask_b32_e32 v4, v32, v4, vcc_lo
	v_lshlrev_b32_e32 v6, 2, v4
	v_xor_b32_e32 v4, 2, v32
	v_cmp_gt_i32_e32 vcc_lo, 32, v4
	s_waitcnt lgkmcnt(0)
	v_max_f32_e32 v2, v2, v2
	v_cndmask_b32_e32 v4, v32, v4, vcc_lo
	v_cmp_eq_u32_e32 vcc_lo, 0, v44
	v_max_f32_e32 v1, v1, v2
	ds_bpermute_b32 v2, v6, v1
	s_waitcnt lgkmcnt(0)
	v_max_f32_e32 v2, v2, v2
	v_max_f32_e32 v1, v1, v2
	v_lshlrev_b32_e32 v2, 2, v4
	ds_bpermute_b32 v4, v2, v1
	s_and_saveexec_b32 s1, vcc_lo
	s_cbranch_execz .LBB157_23
; %bb.22:
	s_waitcnt lgkmcnt(0)
	v_max_f32_e32 v4, v4, v4
	v_max_f32_e32 v1, v1, v1
	;; [unrolled: 1-line block ×3, first 2 shown]
	ds_write_b32 v7, v1 offset:224
.LBB157_23:
	s_or_b32 exec_lo, exec_lo, s1
	v_cmp_gt_u32_e64 s1, 4, v44
	v_mov_b32_e32 v1, 0xff7fffff
	v_lshlrev_b32_e32 v8, 2, v44
	s_waitcnt lgkmcnt(0)
	s_barrier
	buffer_gl0_inv
	s_and_saveexec_b32 s2, s1
; %bb.24:
	ds_read_b32 v1, v8 offset:224
; %bb.25:
	s_or_b32 exec_lo, exec_lo, s2
	s_waitcnt lgkmcnt(0)
	ds_bpermute_b32 v4, v2, v1
	v_xor_b32_e32 v9, 1, v32
	v_max_f32_e32 v1, v1, v1
	v_cmp_gt_i32_e64 s2, 32, v9
	v_cndmask_b32_e64 v9, v32, v9, s2
	s_sub_i32 s2, s16, s41
	s_lshl_b32 s2, s2, 4
	v_lshlrev_b32_e32 v45, 2, v9
	v_mov_b32_e32 v9, 0
	s_add_i32 s2, s2, s38
	s_min_i32 s2, s2, s27
	s_waitcnt lgkmcnt(0)
	v_max_f32_e32 v4, v4, v4
	s_sub_i32 s4, s2, s38
	v_cmp_gt_i32_e64 s2, s4, v0
	v_max_f32_e32 v1, v1, v4
	ds_bpermute_b32 v4, v45, v1
	s_waitcnt lgkmcnt(0)
	v_max_f32_e32 v4, v4, v4
	v_max_f32_e32 v1, v1, v4
	v_lshl_add_u32 v4, v0, 2, 0x100
	ds_bpermute_b32 v1, v9, v1
	s_and_saveexec_b32 s5, s2
	s_cbranch_execz .LBB157_29
; %bb.26:
	v_lshl_add_u32 v10, v0, 2, 0x100
	v_mov_b32_e32 v9, 0
	v_mov_b32_e32 v11, v0
	s_mov_b32 s15, 0
	.p2align	6
.LBB157_27:                             ; =>This Inner Loop Header: Depth=1
	ds_read_b32 v12, v10
	v_add_nc_u32_e32 v11, 0x80, v11
	v_cmp_le_i32_e64 s3, s4, v11
	s_or_b32 s15, s3, s15
	s_waitcnt lgkmcnt(0)
	v_sub_f32_e32 v12, v12, v1
	v_mul_f32_e32 v12, 0x3fb8aa3b, v12
	v_exp_f32_e32 v12, v12
	ds_write_b32 v10, v12
	v_add_f32_e32 v9, v9, v12
	v_add_nc_u32_e32 v10, 0x200, v10
	s_andn2_b32 exec_lo, exec_lo, s15
	s_cbranch_execnz .LBB157_27
; %bb.28:
	s_or_b32 exec_lo, exec_lo, s15
.LBB157_29:
	s_or_b32 exec_lo, exec_lo, s5
	ds_bpermute_b32 v3, v3, v9
	s_waitcnt lgkmcnt(0)
	v_add_f32_e32 v3, v9, v3
	ds_bpermute_b32 v5, v5, v3
	s_waitcnt lgkmcnt(0)
	v_add_f32_e32 v3, v3, v5
	;; [unrolled: 3-line block ×5, first 2 shown]
	s_and_saveexec_b32 s3, vcc_lo
; %bb.30:
	ds_write_b32 v7, v3 offset:240
; %bb.31:
	s_or_b32 exec_lo, exec_lo, s3
	s_waitcnt lgkmcnt(0)
	s_barrier
	buffer_gl0_inv
	s_and_saveexec_b32 s3, s1
; %bb.32:
	ds_read_b32 v3, v8 offset:240
; %bb.33:
	s_or_b32 exec_lo, exec_lo, s3
	s_waitcnt lgkmcnt(0)
	ds_bpermute_b32 v2, v2, v3
	s_waitcnt lgkmcnt(0)
	v_add_f32_e32 v2, v3, v2
	ds_bpermute_b32 v3, v45, v2
	s_waitcnt lgkmcnt(0)
	v_add_f32_e32 v2, v2, v3
	v_mov_b32_e32 v3, 0
	ds_bpermute_b32 v2, v3, v2
	s_and_saveexec_b32 s1, s2
	s_cbranch_execz .LBB157_36
; %bb.34:
	s_waitcnt lgkmcnt(0)
	v_add_f32_e32 v3, 0x358637bd, v2
	s_mov_b32 s2, 0
	v_div_scale_f32 v5, null, v3, v3, 1.0
	v_div_scale_f32 v8, vcc_lo, 1.0, v3, 1.0
	v_rcp_f32_e32 v6, v5
	v_fma_f32 v7, -v5, v6, 1.0
	v_fmac_f32_e32 v6, v7, v6
	v_mul_f32_e32 v7, v8, v6
	v_fma_f32 v9, -v5, v7, v8
	v_fmac_f32_e32 v7, v9, v6
	v_fma_f32 v5, -v5, v7, v8
	v_div_fmas_f32 v5, v5, v6, v7
	v_div_fixup_f32 v3, v5, v3, 1.0
	v_mov_b32_e32 v5, v0
.LBB157_35:                             ; =>This Inner Loop Header: Depth=1
	ds_read_b32 v6, v4
	v_add_nc_u32_e32 v5, 0x80, v5
	v_cmp_le_i32_e32 vcc_lo, s4, v5
	s_or_b32 s2, vcc_lo, s2
	s_waitcnt lgkmcnt(0)
	v_mul_f32_e32 v6, v3, v6
	ds_write_b32 v4, v6
	v_add_nc_u32_e32 v4, 0x200, v4
	s_andn2_b32 exec_lo, exec_lo, s2
	s_cbranch_execnz .LBB157_35
.LBB157_36:
	s_or_b32 exec_lo, exec_lo, s1
	s_mul_i32 s1, s7, s26
	s_waitcnt lgkmcnt(0)
	s_mul_i32 s4, s1, s9
	s_mov_b32 s1, exec_lo
	s_barrier
	buffer_gl0_inv
	v_cmpx_eq_u32_e32 0, v0
	s_cbranch_execz .LBB157_38
; %bb.37:
	s_ashr_i32 s5, s4, 31
	s_mul_i32 s40, s7, s6
	s_lshl_b64 s[2:3], s[4:5], 2
	v_mov_b32_e32 v3, 0
	s_add_u32 s5, s22, s2
	s_addc_u32 s6, s23, s3
	s_ashr_i32 s41, s40, 31
	s_lshl_b64 s[22:23], s[40:41], 2
	s_add_u32 s5, s5, s22
	s_addc_u32 s6, s6, s23
	s_ashr_i32 s9, s8, 31
	s_lshl_b64 s[40:41], s[8:9], 2
	s_add_u32 s42, s5, s40
	s_addc_u32 s43, s6, s41
	s_add_u32 s2, s20, s2
	s_addc_u32 s3, s21, s3
	;; [unrolled: 2-line block ×4, first 2 shown]
	global_store_dword v3, v1, s[42:43]
	global_store_dword v3, v2, s[2:3]
.LBB157_38:
	s_or_b32 exec_lo, exec_lo, s1
	v_mov_b32_e32 v52, 0
	v_mov_b32_e32 v51, 0
	;; [unrolled: 1-line block ×7, first 2 shown]
	s_and_saveexec_b32 s3, s0
	s_cbranch_execz .LBB157_58
; %bb.39:
	s_ashr_i32 s15, s14, 31
	s_sub_i32 s5, s39, s17
	s_lshl_b64 s[0:1], s[14:15], 1
	v_lshlrev_b32_e32 v3, 4, v0
	s_add_u32 s2, s34, s0
	s_addc_u32 s14, s35, s1
	s_abs_i32 s6, s18
	v_lshlrev_b32_e32 v5, 5, v41
	v_cvt_f32_u32_e32 v1, s6
	s_sub_i32 s0, 0, s6
	v_and_b32_e32 v3, 0x1f0, v3
	s_add_i32 s9, s36, -1
	v_lshl_or_b32 v5, v42, 6, v5
	v_rcp_iflag_f32_e32 v1, v1
	v_and_b32_e32 v53, 8, v31
	v_add_co_u32 v55, s2, s2, v3
	v_mov_b32_e32 v54, 0
	v_mov_b32_e32 v46, 0
	;; [unrolled: 1-line block ×6, first 2 shown]
	v_mul_f32_e32 v4, 0x4f7ffffe, v1
	v_lshlrev_b64 v[1:2], 2, v[37:38]
	v_mov_b32_e32 v51, 0
	v_add_co_ci_u32_e64 v56, null, s14, 0, s2
	v_cvt_u32_f32_e32 v4, v4
	v_add_nc_u32_e32 v57, 0x100, v5
	v_mov_b32_e32 v52, 0
	s_mov_b32 s15, s27
	s_mov_b32 s14, 0
	v_mul_lo_u32 v6, s0, v4
	s_lshl_b64 s[0:1], s[30:31], 2
	s_add_u32 s0, s28, s0
	s_addc_u32 s1, s29, s1
	v_add_co_u32 v38, vcc_lo, s0, v1
	v_add_co_ci_u32_e64 v39, null, s1, v2, vcc_lo
	v_mul_hi_u32 v6, v4, v6
	v_add_nc_u32_e32 v58, v4, v6
	s_branch .LBB157_42
.LBB157_40:                             ;   in Loop: Header=BB157_42 Depth=1
	s_or_b32 exec_lo, exec_lo, s2
	s_waitcnt lgkmcnt(1)
	v_bfe_u32 v59, v25, 16, 1
	v_bfe_u32 v60, v26, 16, 1
	v_or_b32_e32 v61, 0x400000, v25
	v_cmp_u_f32_e32 vcc_lo, v25, v25
	v_or_b32_e32 v62, 0x400000, v26
	v_add3_u32 v59, v59, v25, 0x7fff
	v_bfe_u32 v63, v27, 16, 1
	v_add3_u32 v60, v60, v26, 0x7fff
	v_bfe_u32 v64, v28, 16, 1
	v_cndmask_b32_e32 v25, v59, v61, vcc_lo
	v_cmp_u_f32_e32 vcc_lo, v26, v26
	v_add3_u32 v59, v63, v27, 0x7fff
	s_waitcnt lgkmcnt(0)
	v_bfe_u32 v61, v21, 16, 1
	v_or_b32_e32 v63, 0x400000, v28
	v_and_b32_e32 v25, 0xffff0000, v25
	v_cndmask_b32_e32 v26, v60, v62, vcc_lo
	v_or_b32_e32 v60, 0x400000, v27
	v_cmp_u_f32_e32 vcc_lo, v27, v27
	v_add3_u32 v62, v64, v28, 0x7fff
	v_cndmask_b32_e32 v27, v59, v60, vcc_lo
	v_cmp_u_f32_e32 vcc_lo, v28, v28
	v_add3_u32 v59, v61, v21, 0x7fff
	v_or_b32_e32 v60, 0x400000, v21
	v_bfe_u32 v61, v22, 16, 1
	v_cndmask_b32_e32 v28, v62, v63, vcc_lo
	v_cmp_u_f32_e32 vcc_lo, v21, v21
	v_and_b32_e32 v21, 0xffff0000, v26
	s_waitcnt vmcnt(1)
	v_and_b32_e32 v26, 0xffff0000, v33
	v_add3_u32 v61, v61, v22, 0x7fff
	v_or_b32_e32 v62, 0x400000, v22
	v_cndmask_b32_e32 v59, v59, v60, vcc_lo
	v_bfe_u32 v60, v23, 16, 1
	v_cmp_u_f32_e32 vcc_lo, v22, v22
	v_or_b32_e32 v63, 0x400000, v23
	v_mul_f32_e32 v26, v21, v26
	v_lshlrev_b32_e32 v33, 16, v33
	v_add3_u32 v60, v60, v23, 0x7fff
	v_cndmask_b32_e32 v22, v61, v62, vcc_lo
	v_bfe_u32 v61, v24, 16, 1
	v_cmp_u_f32_e32 vcc_lo, v23, v23
	v_bfe_u32 v23, v26, 16, 1
	v_or_b32_e32 v62, 0x400000, v24
	v_or_b32_e32 v64, 0x400000, v26
	v_add3_u32 v61, v61, v24, 0x7fff
	v_cndmask_b32_e32 v60, v60, v63, vcc_lo
	v_cmp_u_f32_e32 vcc_lo, v24, v24
	v_add3_u32 v63, v23, v26, 0x7fff
	v_mul_f32_e32 v33, v25, v33
	v_and_b32_e32 v23, 0xffff0000, v28
	v_and_b32_e32 v28, 0xffff0000, v34
	v_cndmask_b32_e32 v24, v61, v62, vcc_lo
	v_cmp_u_f32_e32 vcc_lo, v26, v26
	v_bfe_u32 v62, v33, 16, 1
	v_and_b32_e32 v26, 0xffff0000, v27
	v_lshlrev_b32_e32 v27, 16, v34
	v_and_b32_e32 v22, 0xffff0000, v22
	v_cndmask_b32_e32 v61, v63, v64, vcc_lo
	v_mul_f32_e32 v63, v23, v28
	v_and_b32_e32 v28, 0xffff0000, v35
	v_add3_u32 v34, v62, v33, 0x7fff
	v_or_b32_e32 v62, 0x400000, v33
	v_mul_f32_e32 v27, v26, v27
	v_bfe_u32 v64, v63, 16, 1
	v_cmp_u_f32_e32 vcc_lo, v33, v33
	v_mul_f32_e32 v65, v22, v28
	v_and_b32_e32 v28, 0xffff0000, v59
	v_lshlrev_b32_e32 v35, 16, v35
	v_and_b32_e32 v24, 0xffff0000, v24
	v_cndmask_b32_e32 v33, v34, v62, vcc_lo
	v_add3_u32 v34, v64, v63, 0x7fff
	v_or_b32_e32 v62, 0x400000, v63
	v_bfe_u32 v64, v27, 16, 1
	v_cmp_u_f32_e32 vcc_lo, v63, v63
	v_bfe_u32 v66, v65, 16, 1
	v_mul_f32_e32 v35, v28, v35
	v_and_b32_e32 v33, 0xffff0000, v33
	v_add3_u32 v59, v64, v27, 0x7fff
	v_cndmask_b32_e32 v34, v34, v62, vcc_lo
	v_or_b32_e32 v62, 0x400000, v27
	v_cmp_u_f32_e32 vcc_lo, v27, v27
	v_add3_u32 v63, v66, v65, 0x7fff
	v_and_b32_e32 v64, 0xffff0000, v36
	v_or_b32_e32 v66, 0x400000, v65
	v_bfe_u32 v67, v35, 16, 1
	v_cndmask_b32_e32 v59, v59, v62, vcc_lo
	v_cmp_u_f32_e32 vcc_lo, v65, v65
	v_mul_f32_e32 v62, v24, v64
	v_or_b32_e32 v65, 0x400000, v35
	v_add3_u32 v64, v67, v35, 0x7fff
	v_and_b32_e32 v27, 0xffff0000, v60
	v_cndmask_b32_e32 v63, v63, v66, vcc_lo
	v_cmp_u_f32_e32 vcc_lo, v35, v35
	v_lshlrev_b32_e32 v36, 16, v36
	v_and_b32_e32 v61, 0xffff0000, v61
	v_and_b32_e32 v59, 0xffff0000, v59
	;; [unrolled: 1-line block ×3, first 2 shown]
	v_cndmask_b32_e32 v35, v64, v65, vcc_lo
	v_bfe_u32 v66, v62, 16, 1
	v_mul_f32_e32 v36, v27, v36
	v_add_f32_e32 v33, v33, v61
	v_add_f32_e32 v34, v59, v34
	v_and_b32_e32 v35, 0xffff0000, v35
	v_and_b32_e32 v59, 0xffff0000, v29
	;; [unrolled: 1-line block ×3, first 2 shown]
	v_add3_u32 v60, v66, v62, 0x7fff
	v_or_b32_e32 v64, 0x400000, v62
	v_cmp_u_f32_e32 vcc_lo, v62, v62
	v_bfe_u32 v62, v36, 16, 1
	v_add_f32_e32 v33, v34, v33
	v_mul_f32_e32 v34, v21, v59
	v_add_f32_e32 v35, v35, v61
	v_lshlrev_b32_e32 v29, 16, v29
	v_cndmask_b32_e32 v60, v60, v64, vcc_lo
	v_add3_u32 v62, v62, v36, 0x7fff
	v_or_b32_e32 v63, 0x400000, v36
	v_cmp_u_f32_e32 vcc_lo, v36, v36
	v_bfe_u32 v59, v34, 16, 1
	v_add_f32_e32 v33, v35, v33
	v_mul_f32_e32 v29, v25, v29
	v_and_b32_e32 v35, 0xffff0000, v30
	v_cndmask_b32_e32 v36, v62, v63, vcc_lo
	v_add3_u32 v59, v59, v34, 0x7fff
	v_or_b32_e32 v61, 0x400000, v34
	v_bfe_u32 v62, v29, 16, 1
	v_mul_f32_e32 v35, v23, v35
	v_lshlrev_b32_e32 v30, 16, v30
	v_cmp_u_f32_e32 vcc_lo, v34, v34
	v_and_b32_e32 v63, 0xffff0000, v31
	v_lshlrev_b32_e32 v31, 16, v31
	v_and_b32_e32 v64, 0xffff0000, v32
	v_mul_f32_e32 v30, v26, v30
	v_cndmask_b32_e32 v34, v59, v61, vcc_lo
	v_add3_u32 v59, v62, v29, 0x7fff
	v_or_b32_e32 v61, 0x400000, v29
	v_bfe_u32 v62, v35, 16, 1
	v_cmp_u_f32_e32 vcc_lo, v29, v29
	v_mul_f32_e32 v63, v22, v63
	v_mul_f32_e32 v31, v28, v31
	v_lshlrev_b32_e32 v32, 16, v32
	v_and_b32_e32 v34, 0xffff0000, v34
	v_cndmask_b32_e32 v29, v59, v61, vcc_lo
	v_add3_u32 v59, v62, v35, 0x7fff
	v_or_b32_e32 v61, 0x400000, v35
	v_bfe_u32 v62, v30, 16, 1
	v_cmp_u_f32_e32 vcc_lo, v35, v35
	v_mul_f32_e32 v32, v27, v32
	v_or_b32_e32 v65, 0x400000, v31
	v_and_b32_e32 v29, 0xffff0000, v29
	v_and_b32_e32 v36, 0xffff0000, v36
	v_cndmask_b32_e32 v35, v59, v61, vcc_lo
	v_add3_u32 v59, v62, v30, 0x7fff
	v_or_b32_e32 v61, 0x400000, v30
	v_bfe_u32 v62, v63, 16, 1
	v_cmp_u_f32_e32 vcc_lo, v30, v30
	v_bfe_u32 v67, v32, 16, 1
	v_and_b32_e32 v35, 0xffff0000, v35
	v_add_f32_e32 v29, v29, v34
	v_cndmask_b32_e32 v30, v59, v61, vcc_lo
	v_bfe_u32 v59, v31, 16, 1
	v_add3_u32 v61, v62, v63, 0x7fff
	v_mul_f32_e32 v62, v24, v64
	v_or_b32_e32 v64, 0x400000, v63
	v_cmp_u_f32_e32 vcc_lo, v63, v63
	v_add3_u32 v59, v59, v31, 0x7fff
	v_add3_u32 v63, v67, v32, 0x7fff
	v_bfe_u32 v66, v62, 16, 1
	v_and_b32_e32 v30, 0xffff0000, v30
	v_cndmask_b32_e32 v61, v61, v64, vcc_lo
	v_cmp_u_f32_e32 vcc_lo, v31, v31
	v_or_b32_e32 v64, 0x400000, v32
	v_add_f32_e32 v30, v30, v35
	v_and_b32_e32 v34, 0xffff0000, v61
	v_cndmask_b32_e32 v31, v59, v65, vcc_lo
	v_cmp_u_f32_e32 vcc_lo, v32, v32
	v_add3_u32 v59, v66, v62, 0x7fff
	v_or_b32_e32 v65, 0x400000, v62
	v_add_f32_e32 v29, v30, v29
	v_and_b32_e32 v31, 0xffff0000, v31
	v_cndmask_b32_e32 v32, v63, v64, vcc_lo
	v_cmp_u_f32_e32 vcc_lo, v62, v62
	v_add_f32_e32 v30, v31, v34
	v_and_b32_e32 v31, 0xffff0000, v32
	v_cndmask_b32_e32 v35, v59, v65, vcc_lo
	v_and_b32_e32 v59, 0xffff0000, v60
	v_and_b32_e32 v34, 0xffff0000, v17
	v_lshlrev_b32_e32 v17, 16, v17
	v_add_f32_e32 v29, v30, v29
	v_and_b32_e32 v32, 0xffff0000, v35
	v_add_f32_e32 v35, v36, v59
	v_mul_f32_e32 v17, v25, v17
	v_add_f32_e32 v30, v31, v32
	v_mul_f32_e32 v31, v21, v34
	v_add_f32_e32 v32, v35, v33
	v_and_b32_e32 v33, 0xffff0000, v18
	v_lshlrev_b32_e32 v18, 16, v18
	v_add_f32_e32 v29, v30, v29
	v_bfe_u32 v30, v31, 16, 1
	v_add_f32_e32 v47, v47, v32
	v_bfe_u32 v32, v17, 16, 1
	v_mul_f32_e32 v33, v23, v33
	v_add_f32_e32 v48, v48, v29
	v_add3_u32 v29, v30, v31, 0x7fff
	v_or_b32_e32 v30, 0x400000, v31
	v_cmp_u_f32_e32 vcc_lo, v31, v31
	v_add3_u32 v32, v32, v17, 0x7fff
	v_or_b32_e32 v34, 0x400000, v17
	v_mul_f32_e32 v18, v26, v18
	v_and_b32_e32 v31, 0xffff0000, v19
	v_cndmask_b32_e32 v29, v29, v30, vcc_lo
	v_bfe_u32 v30, v33, 16, 1
	v_cmp_u_f32_e32 vcc_lo, v17, v17
	v_lshlrev_b32_e32 v19, 16, v19
	v_mul_f32_e32 v31, v22, v31
	v_and_b32_e32 v35, 0xffff0000, v20
	v_add3_u32 v30, v30, v33, 0x7fff
	v_cndmask_b32_e32 v17, v32, v34, vcc_lo
	v_or_b32_e32 v32, 0x400000, v33
	v_bfe_u32 v34, v18, 16, 1
	v_cmp_u_f32_e32 vcc_lo, v33, v33
	v_mul_f32_e32 v19, v28, v19
	v_or_b32_e32 v33, 0x400000, v18
	v_lshlrev_b32_e32 v20, 16, v20
	v_and_b32_e32 v17, 0xffff0000, v17
	v_cndmask_b32_e32 v30, v30, v32, vcc_lo
	v_add3_u32 v32, v34, v18, 0x7fff
	v_bfe_u32 v34, v31, 16, 1
	v_cmp_u_f32_e32 vcc_lo, v18, v18
	v_bfe_u32 v36, v19, 16, 1
	v_mul_f32_e32 v20, v27, v20
	v_and_b32_e32 v29, 0xffff0000, v29
	v_and_b32_e32 v30, 0xffff0000, v30
	v_cndmask_b32_e32 v18, v32, v33, vcc_lo
	v_add3_u32 v32, v34, v31, 0x7fff
	v_mul_f32_e32 v33, v24, v35
	v_or_b32_e32 v34, 0x400000, v31
	v_cmp_u_f32_e32 vcc_lo, v31, v31
	v_add3_u32 v35, v36, v19, 0x7fff
	v_or_b32_e32 v36, 0x400000, v19
	v_bfe_u32 v59, v33, 16, 1
	v_and_b32_e32 v18, 0xffff0000, v18
	v_cndmask_b32_e32 v31, v32, v34, vcc_lo
	v_cmp_u_f32_e32 vcc_lo, v19, v19
	v_or_b32_e32 v34, 0x400000, v33
	v_add3_u32 v32, v59, v33, 0x7fff
	v_add_f32_e32 v17, v17, v29
	v_add_f32_e32 v18, v18, v30
	v_cndmask_b32_e32 v19, v35, v36, vcc_lo
	v_bfe_u32 v35, v20, 16, 1
	v_cmp_u_f32_e32 vcc_lo, v33, v33
	v_and_b32_e32 v30, 0xffff0000, v13
	v_and_b32_e32 v29, 0xffff0000, v31
	;; [unrolled: 1-line block ×3, first 2 shown]
	v_add3_u32 v33, v35, v20, 0x7fff
	v_cndmask_b32_e32 v32, v32, v34, vcc_lo
	v_or_b32_e32 v34, 0x400000, v20
	v_cmp_u_f32_e32 vcc_lo, v20, v20
	v_lshlrev_b32_e32 v13, 16, v13
	v_add_f32_e32 v17, v18, v17
	v_mul_f32_e32 v18, v21, v30
	v_add_f32_e32 v19, v19, v29
	v_cndmask_b32_e32 v20, v33, v34, vcc_lo
	v_mul_f32_e32 v29, v25, v13
	v_and_b32_e32 v30, 0xffff0000, v32
	v_bfe_u32 v31, v18, 16, 1
	v_and_b32_e32 v32, 0xffff0000, v14
	v_and_b32_e32 v20, 0xffff0000, v20
	v_add_f32_e32 v13, v19, v17
	v_bfe_u32 v19, v29, 16, 1
	v_lshlrev_b32_e32 v14, 16, v14
	v_cmp_u_f32_e32 vcc_lo, v18, v18
	v_add_f32_e32 v17, v20, v30
	v_add3_u32 v20, v31, v18, 0x7fff
	v_or_b32_e32 v30, 0x400000, v18
	v_mul_f32_e32 v31, v23, v32
	v_add3_u32 v19, v19, v29, 0x7fff
	v_or_b32_e32 v32, 0x400000, v29
	v_mul_f32_e32 v14, v26, v14
	v_cndmask_b32_e32 v18, v20, v30, vcc_lo
	v_bfe_u32 v20, v31, 16, 1
	v_cmp_u_f32_e32 vcc_lo, v29, v29
	v_and_b32_e32 v29, 0xffff0000, v15
	v_or_b32_e32 v30, 0x400000, v31
	v_lshlrev_b32_e32 v15, 16, v15
	v_add3_u32 v20, v20, v31, 0x7fff
	v_cndmask_b32_e32 v19, v19, v32, vcc_lo
	v_bfe_u32 v32, v14, 16, 1
	v_mul_f32_e32 v29, v22, v29
	v_cmp_u_f32_e32 vcc_lo, v31, v31
	v_mul_f32_e32 v15, v28, v15
	v_or_b32_e32 v31, 0x400000, v14
	v_and_b32_e32 v33, 0xffff0000, v16
	v_lshlrev_b32_e32 v16, 16, v16
	v_cndmask_b32_e32 v20, v20, v30, vcc_lo
	v_add3_u32 v30, v32, v14, 0x7fff
	v_bfe_u32 v32, v29, 16, 1
	v_cmp_u_f32_e32 vcc_lo, v14, v14
	v_bfe_u32 v34, v15, 16, 1
	v_mul_f32_e32 v16, v27, v16
	v_and_b32_e32 v19, 0xffff0000, v19
	v_and_b32_e32 v18, 0xffff0000, v18
	v_cndmask_b32_e32 v14, v30, v31, vcc_lo
	v_add3_u32 v30, v32, v29, 0x7fff
	v_mul_f32_e32 v31, v24, v33
	v_or_b32_e32 v32, 0x400000, v29
	v_cmp_u_f32_e32 vcc_lo, v29, v29
	v_add3_u32 v33, v34, v15, 0x7fff
	v_or_b32_e32 v34, 0x400000, v15
	v_bfe_u32 v35, v31, 16, 1
	v_and_b32_e32 v14, 0xffff0000, v14
	v_cndmask_b32_e32 v29, v30, v32, vcc_lo
	v_cmp_u_f32_e32 vcc_lo, v15, v15
	v_or_b32_e32 v32, 0x400000, v31
	v_add3_u32 v30, v35, v31, 0x7fff
	v_and_b32_e32 v20, 0xffff0000, v20
	v_add_f32_e32 v18, v19, v18
	v_cndmask_b32_e32 v15, v33, v34, vcc_lo
	v_bfe_u32 v33, v16, 16, 1
	v_cmp_u_f32_e32 vcc_lo, v31, v31
	v_add_f32_e32 v14, v14, v20
	v_and_b32_e32 v20, 0xffff0000, v5
	v_and_b32_e32 v15, 0xffff0000, v15
	v_add3_u32 v31, v33, v16, 0x7fff
	v_cndmask_b32_e32 v30, v30, v32, vcc_lo
	v_or_b32_e32 v32, 0x400000, v16
	v_cmp_u_f32_e32 vcc_lo, v16, v16
	v_and_b32_e32 v19, 0xffff0000, v29
	v_lshlrev_b32_e32 v5, 16, v5
	v_add_f32_e32 v14, v14, v18
	v_mul_f32_e32 v18, v21, v20
	v_cndmask_b32_e32 v16, v31, v32, vcc_lo
	v_add_f32_e32 v15, v15, v19
	v_mul_f32_e32 v19, v25, v5
	v_and_b32_e32 v20, 0xffff0000, v30
	v_and_b32_e32 v29, 0xffff0000, v6
	;; [unrolled: 1-line block ×3, first 2 shown]
	v_bfe_u32 v30, v18, 16, 1
	v_add_f32_e32 v5, v15, v14
	v_bfe_u32 v15, v19, 16, 1
	v_cmp_u_f32_e32 vcc_lo, v18, v18
	v_add_f32_e32 v14, v16, v20
	v_mul_f32_e32 v16, v23, v29
	v_add3_u32 v20, v30, v18, 0x7fff
	v_or_b32_e32 v29, 0x400000, v18
	v_add3_u32 v15, v15, v19, 0x7fff
	v_or_b32_e32 v30, 0x400000, v19
	v_bfe_u32 v31, v16, 16, 1
	v_lshlrev_b32_e32 v6, 16, v6
	v_cndmask_b32_e32 v18, v20, v29, vcc_lo
	v_cmp_u_f32_e32 vcc_lo, v19, v19
	v_or_b32_e32 v20, 0x400000, v16
	v_add3_u32 v19, v31, v16, 0x7fff
	v_mul_f32_e32 v6, v26, v6
	v_and_b32_e32 v29, 0xffff0000, v7
	v_cndmask_b32_e32 v15, v15, v30, vcc_lo
	v_cmp_u_f32_e32 vcc_lo, v16, v16
	v_lshlrev_b32_e32 v7, 16, v7
	v_bfe_u32 v30, v6, 16, 1
	v_and_b32_e32 v18, 0xffff0000, v18
	v_and_b32_e32 v15, 0xffff0000, v15
	v_cndmask_b32_e32 v16, v19, v20, vcc_lo
	v_mul_f32_e32 v19, v22, v29
	v_mul_f32_e32 v7, v28, v7
	v_add3_u32 v20, v30, v6, 0x7fff
	v_or_b32_e32 v29, 0x400000, v6
	v_and_b32_e32 v30, 0xffff0000, v8
	v_bfe_u32 v31, v19, 16, 1
	v_cmp_u_f32_e32 vcc_lo, v6, v6
	v_bfe_u32 v32, v7, 16, 1
	v_lshlrev_b32_e32 v8, 16, v8
	v_and_b32_e32 v16, 0xffff0000, v16
	v_add_f32_e32 v15, v15, v18
	v_cndmask_b32_e32 v6, v20, v29, vcc_lo
	v_mul_f32_e32 v20, v24, v30
	v_add3_u32 v29, v31, v19, 0x7fff
	v_or_b32_e32 v30, 0x400000, v19
	v_cmp_u_f32_e32 vcc_lo, v19, v19
	v_add3_u32 v31, v32, v7, 0x7fff
	v_or_b32_e32 v32, 0x400000, v7
	v_bfe_u32 v33, v20, 16, 1
	v_and_b32_e32 v6, 0xffff0000, v6
	v_cndmask_b32_e32 v19, v29, v30, vcc_lo
	v_cmp_u_f32_e32 vcc_lo, v7, v7
	v_or_b32_e32 v30, 0x400000, v20
	v_add3_u32 v29, v33, v20, 0x7fff
	v_mul_f32_e32 v8, v27, v8
	v_add_f32_e32 v6, v6, v16
	v_cndmask_b32_e32 v7, v31, v32, vcc_lo
	v_cmp_u_f32_e32 vcc_lo, v20, v20
	v_and_b32_e32 v16, 0xffff0000, v1
	v_and_b32_e32 v18, 0xffff0000, v19
	v_add_f32_e32 v6, v6, v15
	v_and_b32_e32 v7, 0xffff0000, v7
	v_cndmask_b32_e32 v20, v29, v30, vcc_lo
	v_bfe_u32 v29, v8, 16, 1
	v_mul_f32_e32 v15, v21, v16
	v_lshlrev_b32_e32 v1, 16, v1
	v_add_f32_e32 v7, v7, v18
	v_cmp_u_f32_e32 vcc_lo, v8, v8
	v_add3_u32 v19, v29, v8, 0x7fff
	v_or_b32_e32 v29, 0x400000, v8
	v_bfe_u32 v16, v15, 16, 1
	v_add_f32_e32 v6, v7, v6
	v_and_b32_e32 v7, 0xffff0000, v2
	v_mul_f32_e32 v1, v25, v1
	v_cndmask_b32_e32 v8, v19, v29, vcc_lo
	v_add3_u32 v16, v16, v15, 0x7fff
	v_or_b32_e32 v18, 0x400000, v15
	v_mul_f32_e32 v7, v23, v7
	v_and_b32_e32 v19, 0xffff0000, v20
	v_bfe_u32 v20, v1, 16, 1
	v_cmp_u_f32_e32 vcc_lo, v15, v15
	v_lshlrev_b32_e32 v2, 16, v2
	v_or_b32_e32 v29, 0x400000, v1
	v_or_b32_e32 v30, 0x400000, v7
	v_and_b32_e32 v8, 0xffff0000, v8
	v_cndmask_b32_e32 v15, v16, v18, vcc_lo
	v_bfe_u32 v16, v7, 16, 1
	v_add3_u32 v18, v20, v1, 0x7fff
	v_and_b32_e32 v20, 0xffff0000, v3
	v_mul_f32_e32 v2, v26, v2
	v_cmp_u_f32_e32 vcc_lo, v1, v1
	v_add3_u32 v16, v16, v7, 0x7fff
	v_lshlrev_b32_e32 v3, 16, v3
	v_mul_f32_e32 v20, v22, v20
	v_and_b32_e32 v15, 0xffff0000, v15
	v_cndmask_b32_e32 v1, v18, v29, vcc_lo
	v_bfe_u32 v18, v2, 16, 1
	v_cmp_u_f32_e32 vcc_lo, v7, v7
	v_and_b32_e32 v29, 0xffff0000, v4
	v_mul_f32_e32 v3, v28, v3
	v_or_b32_e32 v31, 0x400000, v20
	v_add3_u32 v18, v18, v2, 0x7fff
	v_cndmask_b32_e32 v7, v16, v30, vcc_lo
	v_bfe_u32 v16, v20, 16, 1
	v_or_b32_e32 v30, 0x400000, v2
	v_cmp_u_f32_e32 vcc_lo, v2, v2
	v_mul_f32_e32 v29, v24, v29
	v_lshlrev_b32_e32 v4, 16, v4
	v_add3_u32 v16, v16, v20, 0x7fff
	v_and_b32_e32 v1, 0xffff0000, v1
	v_cndmask_b32_e32 v2, v18, v30, vcc_lo
	v_bfe_u32 v18, v3, 16, 1
	v_cmp_u_f32_e32 vcc_lo, v20, v20
	v_bfe_u32 v30, v29, 16, 1
	v_or_b32_e32 v20, 0x400000, v3
	v_mul_f32_e32 v4, v27, v4
	v_add3_u32 v18, v18, v3, 0x7fff
	v_cndmask_b32_e32 v16, v16, v31, vcc_lo
	v_cmp_u_f32_e32 vcc_lo, v3, v3
	v_add3_u32 v30, v30, v29, 0x7fff
	v_or_b32_e32 v31, 0x400000, v29
	v_and_b32_e32 v2, 0xffff0000, v2
	v_and_b32_e32 v7, 0xffff0000, v7
	v_cndmask_b32_e32 v3, v18, v20, vcc_lo
	v_cmp_u_f32_e32 vcc_lo, v29, v29
	v_bfe_u32 v20, v4, 16, 1
	v_add_f32_e32 v1, v1, v15
	v_add_f32_e32 v2, v2, v7
	v_and_b32_e32 v3, 0xffff0000, v3
	v_cndmask_b32_e32 v18, v30, v31, vcc_lo
	s_waitcnt vmcnt(0)
	v_lshlrev_b32_e32 v30, 16, v9
	v_and_b32_e32 v7, 0xffff0000, v16
	v_and_b32_e32 v9, 0xffff0000, v9
	v_add3_u32 v20, v20, v4, 0x7fff
	v_or_b32_e32 v29, 0x400000, v4
	v_mul_f32_e32 v15, v25, v30
	v_cmp_u_f32_e32 vcc_lo, v4, v4
	v_add_f32_e32 v1, v2, v1
	v_add_f32_e32 v3, v3, v7
	v_mul_f32_e32 v7, v21, v9
	v_bfe_u32 v2, v15, 16, 1
	v_lshlrev_b32_e32 v9, 16, v10
	v_cndmask_b32_e32 v4, v20, v29, vcc_lo
	v_or_b32_e32 v16, 0x400000, v15
	v_bfe_u32 v20, v7, 16, 1
	v_add3_u32 v2, v2, v15, 0x7fff
	v_mul_f32_e32 v9, v26, v9
	v_and_b32_e32 v10, 0xffff0000, v10
	v_cmp_u_f32_e32 vcc_lo, v15, v15
	v_add3_u32 v15, v20, v7, 0x7fff
	v_lshlrev_b32_e32 v21, 16, v11
	v_bfe_u32 v20, v9, 16, 1
	v_mul_f32_e32 v10, v23, v10
	v_cndmask_b32_e32 v2, v2, v16, vcc_lo
	v_or_b32_e32 v16, 0x400000, v7
	v_cmp_u_f32_e32 vcc_lo, v7, v7
	v_mul_f32_e32 v21, v28, v21
	v_and_b32_e32 v11, 0xffff0000, v11
	v_and_b32_e32 v2, 0xffff0000, v2
	;; [unrolled: 1-line block ×3, first 2 shown]
	v_cndmask_b32_e32 v7, v15, v16, vcc_lo
	v_add3_u32 v15, v20, v9, 0x7fff
	v_or_b32_e32 v16, 0x400000, v9
	v_bfe_u32 v20, v10, 16, 1
	v_cmp_u_f32_e32 vcc_lo, v9, v9
	v_mul_f32_e32 v11, v22, v11
	v_lshlrev_b32_e32 v22, 16, v12
	v_and_b32_e32 v12, 0xffff0000, v12
	v_and_b32_e32 v7, 0xffff0000, v7
	v_cndmask_b32_e32 v9, v15, v16, vcc_lo
	v_add3_u32 v15, v20, v10, 0x7fff
	v_or_b32_e32 v16, 0x400000, v10
	v_bfe_u32 v20, v21, 16, 1
	v_cmp_u_f32_e32 vcc_lo, v10, v10
	v_mul_f32_e32 v12, v24, v12
	v_or_b32_e32 v23, 0x400000, v11
	v_and_b32_e32 v9, 0xffff0000, v9
	v_add_f32_e32 v2, v2, v7
	v_cndmask_b32_e32 v10, v15, v16, vcc_lo
	v_bfe_u32 v15, v11, 16, 1
	v_add3_u32 v16, v20, v21, 0x7fff
	v_mul_f32_e32 v20, v27, v22
	v_or_b32_e32 v22, 0x400000, v21
	v_cmp_u_f32_e32 vcc_lo, v21, v21
	v_add3_u32 v15, v15, v11, 0x7fff
	v_bfe_u32 v25, v12, 16, 1
	v_bfe_u32 v24, v20, 16, 1
	v_and_b32_e32 v10, 0xffff0000, v10
	v_cndmask_b32_e32 v16, v16, v22, vcc_lo
	v_cmp_u_f32_e32 vcc_lo, v11, v11
	v_add3_u32 v21, v25, v12, 0x7fff
	v_or_b32_e32 v22, 0x400000, v12
	v_add_f32_e32 v7, v9, v10
	v_and_b32_e32 v10, 0xffff0000, v16
	v_cndmask_b32_e32 v11, v15, v23, vcc_lo
	v_cmp_u_f32_e32 vcc_lo, v12, v12
	v_add3_u32 v15, v24, v20, 0x7fff
	v_or_b32_e32 v23, 0x400000, v20
	v_add_f32_e32 v2, v7, v2
	v_and_b32_e32 v9, 0xffff0000, v11
	v_cndmask_b32_e32 v12, v21, v22, vcc_lo
	v_cmp_u_f32_e32 vcc_lo, v20, v20
	v_add_f32_e32 v8, v8, v19
	v_add_f32_e32 v1, v3, v1
	;; [unrolled: 1-line block ×3, first 2 shown]
	v_and_b32_e32 v9, 0xffff0000, v12
	v_cndmask_b32_e32 v11, v15, v23, vcc_lo
	v_and_b32_e32 v15, 0xffff0000, v18
	v_add_f32_e32 v5, v14, v5
	v_add_f32_e32 v2, v7, v2
	;; [unrolled: 1-line block ×3, first 2 shown]
	v_and_b32_e32 v10, 0xffff0000, v11
	v_add_f32_e32 v3, v4, v15
	v_add_f32_e32 v6, v8, v6
	v_add_f32_e32 v50, v50, v5
	v_add_f32_e32 v49, v49, v7
	v_add_f32_e32 v4, v10, v9
	v_add_f32_e32 v1, v3, v1
	v_add_f32_e32 v51, v51, v6
	v_add_f32_e32 v2, v4, v2
	v_add_f32_e32 v52, v52, v1
	v_add_f32_e32 v46, v46, v2
.LBB157_41:                             ;   in Loop: Header=BB157_42 Depth=1
	s_or_b32 exec_lo, exec_lo, s17
	v_add_nc_u32_e32 v37, 4, v37
	v_add_co_u32 v38, s0, v38, 16
	v_add_co_ci_u32_e64 v39, null, 0, v39, s0
	v_cmp_le_i32_e32 vcc_lo, s16, v37
	v_add_nc_u32_e32 v43, 64, v43
	v_add_nc_u32_e32 v57, 0x100, v57
	s_or_b32 s14, vcc_lo, s14
	s_andn2_b32 exec_lo, exec_lo, s14
	s_cbranch_execz .LBB157_57
.LBB157_42:                             ; =>This Inner Loop Header: Depth=1
	v_sub_nc_u32_e32 v1, 0, v43
	v_max_i32_e32 v1, v43, v1
	v_mul_hi_u32 v2, v1, s12
	v_mul_lo_u32 v3, v2, s11
	v_sub_nc_u32_e32 v1, v1, v3
	v_add_nc_u32_e32 v3, 1, v2
	v_subrev_nc_u32_e32 v4, s11, v1
	v_cmp_le_u32_e32 vcc_lo, s11, v1
	v_cndmask_b32_e32 v2, v2, v3, vcc_lo
	v_cndmask_b32_e32 v1, v1, v4, vcc_lo
	v_ashrrev_i32_e32 v3, 31, v43
	v_add_nc_u32_e32 v4, 1, v2
	v_cmp_le_u32_e32 vcc_lo, s11, v1
	v_xor_b32_e32 v3, s19, v3
	v_cndmask_b32_e32 v1, v2, v4, vcc_lo
	v_xor_b32_e32 v1, v1, v3
	v_sub_nc_u32_e32 v1, v1, v3
	v_add_nc_u32_e32 v2, s33, v1
	v_cmp_lt_i32_e64 s0, s5, v1
	v_sub_nc_u32_e32 v3, 0, v2
	v_max_i32_e32 v3, v2, v3
	v_ashrrev_i32_e32 v2, 31, v2
	v_mul_hi_u32 v4, v3, v58
	v_mul_lo_u32 v4, v4, s6
	v_sub_nc_u32_e32 v3, v3, v4
	v_subrev_nc_u32_e32 v4, s6, v3
	v_cmp_le_u32_e32 vcc_lo, s6, v3
	v_cndmask_b32_e32 v3, v3, v4, vcc_lo
	v_subrev_nc_u32_e32 v4, s6, v3
	v_cmp_le_u32_e32 vcc_lo, s6, v3
	v_cndmask_b32_e32 v3, v3, v4, vcc_lo
	v_xor_b32_e32 v3, v3, v2
	v_sub_nc_u32_e32 v2, v3, v2
	v_cmp_eq_u32_e32 vcc_lo, 0, v2
	s_or_b32 s0, vcc_lo, s0
	s_and_saveexec_b32 s17, s0
	s_cbranch_execz .LBB157_41
; %bb.43:                               ;   in Loop: Header=BB157_42 Depth=1
	global_load_dword v1, v[38:39], off
	v_add_nc_u32_e32 v63, v53, v43
	v_cmp_eq_u32_e64 s0, s9, v37
	v_add_nc_u32_e32 v66, 1, v63
	v_or_b32_e32 v64, 3, v63
	v_or_b32_e32 v65, 2, v63
	;; [unrolled: 1-line block ×6, first 2 shown]
	s_waitcnt vmcnt(0)
	v_mad_i64_i32 v[1:2], null, v1, s13, 0
	v_lshlrev_b64 v[1:2], 1, v[1:2]
	v_add_co_u32 v9, vcc_lo, v55, v1
	v_add_co_ci_u32_e64 v10, null, v56, v2, vcc_lo
	global_load_dwordx4 v[1:4], v[9:10], off
	ds_read2_b64 v[25:28], v57 offset1:1
	ds_read2_b64 v[21:24], v57 offset0:2 offset1:3
	s_and_saveexec_b32 s18, s0
	s_cbranch_execnz .LBB157_51
; %bb.44:                               ;   in Loop: Header=BB157_42 Depth=1
	s_or_b32 exec_lo, exec_lo, s18
	global_load_dwordx4 v[5:8], v[9:10], off offset:512
	s_and_saveexec_b32 s18, s0
	s_cbranch_execnz .LBB157_52
.LBB157_45:                             ;   in Loop: Header=BB157_42 Depth=1
	s_or_b32 exec_lo, exec_lo, s18
	global_load_dwordx4 v[13:16], v[9:10], off offset:1024
	s_and_saveexec_b32 s18, s0
	s_cbranch_execnz .LBB157_53
.LBB157_46:                             ;   in Loop: Header=BB157_42 Depth=1
	s_or_b32 exec_lo, exec_lo, s18
	global_load_dwordx4 v[17:20], v[9:10], off offset:1536
	s_and_saveexec_b32 s18, s0
	s_cbranch_execz .LBB157_48
.LBB157_47:                             ;   in Loop: Header=BB157_42 Depth=1
	v_cmp_gt_i32_e64 s1, s27, v63
	v_cmp_gt_i32_e32 vcc_lo, s15, v66
	v_cmp_gt_i32_e64 s2, s27, v65
	s_waitcnt vmcnt(0)
	v_cndmask_b32_e64 v11, 0, v17, s1
	v_cmp_gt_i32_e64 s1, s15, v64
	v_cndmask_b32_sdwa v17, v54, v17, vcc_lo dst_sel:DWORD dst_unused:UNUSED_PAD src0_sel:DWORD src1_sel:WORD_1
	v_cndmask_b32_e64 v12, 0, v18, s2
	v_cmp_gt_i32_e64 s2, s15, v62
	s_mov_b32 vcc_lo, s1
	v_cmp_gt_i32_e64 s1, s15, v60
	v_cndmask_b32_sdwa v18, v54, v18, vcc_lo dst_sel:DWORD dst_unused:UNUSED_PAD src0_sel:DWORD src1_sel:WORD_1
	v_cmp_gt_i32_e32 vcc_lo, s27, v61
	v_perm_b32 v17, v17, v11, 0x5040100
	v_perm_b32 v18, v18, v12, 0x5040100
	v_cndmask_b32_e32 v29, 0, v19, vcc_lo
	s_mov_b32 vcc_lo, s2
	v_cndmask_b32_sdwa v19, v54, v19, vcc_lo dst_sel:DWORD dst_unused:UNUSED_PAD src0_sel:DWORD src1_sel:WORD_1
	v_cmp_gt_i32_e32 vcc_lo, s27, v59
	v_perm_b32 v19, v19, v29, 0x5040100
	v_cndmask_b32_e32 v30, 0, v20, vcc_lo
	s_mov_b32 vcc_lo, s1
	v_cndmask_b32_sdwa v20, v54, v20, vcc_lo dst_sel:DWORD dst_unused:UNUSED_PAD src0_sel:DWORD src1_sel:WORD_1
	v_perm_b32 v20, v20, v30, 0x5040100
.LBB157_48:                             ;   in Loop: Header=BB157_42 Depth=1
	s_or_b32 exec_lo, exec_lo, s18
	v_add_co_u32 v9, vcc_lo, 0x800, v9
	v_add_co_ci_u32_e64 v10, null, 0, v10, vcc_lo
	global_load_dwordx4 v[29:32], v[9:10], off
	s_and_saveexec_b32 s18, s0
	s_cbranch_execnz .LBB157_54
; %bb.49:                               ;   in Loop: Header=BB157_42 Depth=1
	s_or_b32 exec_lo, exec_lo, s18
	global_load_dwordx4 v[33:36], v[9:10], off offset:512
	s_and_saveexec_b32 s18, s0
	s_cbranch_execnz .LBB157_55
.LBB157_50:                             ;   in Loop: Header=BB157_42 Depth=1
	s_or_b32 exec_lo, exec_lo, s18
	global_load_dwordx4 v[9:12], v[9:10], off offset:1024
	s_and_saveexec_b32 s2, s0
	s_cbranch_execz .LBB157_40
	s_branch .LBB157_56
.LBB157_51:                             ;   in Loop: Header=BB157_42 Depth=1
	v_cmp_gt_i32_e64 s1, s27, v63
	v_cmp_gt_i32_e32 vcc_lo, s15, v66
	v_cmp_gt_i32_e64 s2, s27, v65
	s_waitcnt vmcnt(0)
	v_cndmask_b32_e64 v5, 0, v1, s1
	v_cmp_gt_i32_e64 s1, s15, v64
	v_cndmask_b32_sdwa v1, v54, v1, vcc_lo dst_sel:DWORD dst_unused:UNUSED_PAD src0_sel:DWORD src1_sel:WORD_1
	v_cndmask_b32_e64 v6, 0, v2, s2
	v_cmp_gt_i32_e64 s2, s15, v62
	s_mov_b32 vcc_lo, s1
	v_cmp_gt_i32_e64 s1, s15, v60
	v_cndmask_b32_sdwa v2, v54, v2, vcc_lo dst_sel:DWORD dst_unused:UNUSED_PAD src0_sel:DWORD src1_sel:WORD_1
	v_cmp_gt_i32_e32 vcc_lo, s27, v61
	v_perm_b32 v1, v1, v5, 0x5040100
	v_perm_b32 v2, v2, v6, 0x5040100
	v_cndmask_b32_e32 v7, 0, v3, vcc_lo
	s_mov_b32 vcc_lo, s2
	v_cndmask_b32_sdwa v3, v54, v3, vcc_lo dst_sel:DWORD dst_unused:UNUSED_PAD src0_sel:DWORD src1_sel:WORD_1
	v_cmp_gt_i32_e32 vcc_lo, s27, v59
	v_perm_b32 v3, v3, v7, 0x5040100
	v_cndmask_b32_e32 v8, 0, v4, vcc_lo
	s_mov_b32 vcc_lo, s1
	v_cndmask_b32_sdwa v4, v54, v4, vcc_lo dst_sel:DWORD dst_unused:UNUSED_PAD src0_sel:DWORD src1_sel:WORD_1
	v_perm_b32 v4, v4, v8, 0x5040100
	s_or_b32 exec_lo, exec_lo, s18
	global_load_dwordx4 v[5:8], v[9:10], off offset:512
	s_and_saveexec_b32 s18, s0
	s_cbranch_execz .LBB157_45
.LBB157_52:                             ;   in Loop: Header=BB157_42 Depth=1
	v_cmp_gt_i32_e64 s1, s27, v63
	v_cmp_gt_i32_e32 vcc_lo, s15, v66
	v_cmp_gt_i32_e64 s2, s27, v65
	s_waitcnt vmcnt(0)
	v_cndmask_b32_e64 v11, 0, v5, s1
	v_cmp_gt_i32_e64 s1, s15, v64
	v_cndmask_b32_sdwa v5, v54, v5, vcc_lo dst_sel:DWORD dst_unused:UNUSED_PAD src0_sel:DWORD src1_sel:WORD_1
	v_cndmask_b32_e64 v12, 0, v6, s2
	v_cmp_gt_i32_e64 s2, s15, v62
	s_mov_b32 vcc_lo, s1
	v_cmp_gt_i32_e64 s1, s15, v60
	v_cndmask_b32_sdwa v6, v54, v6, vcc_lo dst_sel:DWORD dst_unused:UNUSED_PAD src0_sel:DWORD src1_sel:WORD_1
	v_cmp_gt_i32_e32 vcc_lo, s27, v61
	v_perm_b32 v5, v5, v11, 0x5040100
	v_perm_b32 v6, v6, v12, 0x5040100
	v_cndmask_b32_e32 v13, 0, v7, vcc_lo
	s_mov_b32 vcc_lo, s2
	v_cndmask_b32_sdwa v7, v54, v7, vcc_lo dst_sel:DWORD dst_unused:UNUSED_PAD src0_sel:DWORD src1_sel:WORD_1
	v_cmp_gt_i32_e32 vcc_lo, s27, v59
	v_perm_b32 v7, v7, v13, 0x5040100
	v_cndmask_b32_e32 v14, 0, v8, vcc_lo
	s_mov_b32 vcc_lo, s1
	v_cndmask_b32_sdwa v8, v54, v8, vcc_lo dst_sel:DWORD dst_unused:UNUSED_PAD src0_sel:DWORD src1_sel:WORD_1
	v_perm_b32 v8, v8, v14, 0x5040100
	s_or_b32 exec_lo, exec_lo, s18
	global_load_dwordx4 v[13:16], v[9:10], off offset:1024
	s_and_saveexec_b32 s18, s0
	s_cbranch_execz .LBB157_46
.LBB157_53:                             ;   in Loop: Header=BB157_42 Depth=1
	v_cmp_gt_i32_e64 s1, s27, v63
	v_cmp_gt_i32_e32 vcc_lo, s15, v66
	v_cmp_gt_i32_e64 s2, s27, v65
	s_waitcnt vmcnt(0)
	v_cndmask_b32_e64 v11, 0, v13, s1
	v_cmp_gt_i32_e64 s1, s15, v64
	v_cndmask_b32_sdwa v13, v54, v13, vcc_lo dst_sel:DWORD dst_unused:UNUSED_PAD src0_sel:DWORD src1_sel:WORD_1
	v_cndmask_b32_e64 v12, 0, v14, s2
	v_cmp_gt_i32_e64 s2, s15, v62
	s_mov_b32 vcc_lo, s1
	v_cmp_gt_i32_e64 s1, s15, v60
	v_cndmask_b32_sdwa v14, v54, v14, vcc_lo dst_sel:DWORD dst_unused:UNUSED_PAD src0_sel:DWORD src1_sel:WORD_1
	v_cmp_gt_i32_e32 vcc_lo, s27, v61
	v_perm_b32 v13, v13, v11, 0x5040100
	v_perm_b32 v14, v14, v12, 0x5040100
	v_cndmask_b32_e32 v17, 0, v15, vcc_lo
	s_mov_b32 vcc_lo, s2
	v_cndmask_b32_sdwa v15, v54, v15, vcc_lo dst_sel:DWORD dst_unused:UNUSED_PAD src0_sel:DWORD src1_sel:WORD_1
	v_cmp_gt_i32_e32 vcc_lo, s27, v59
	v_perm_b32 v15, v15, v17, 0x5040100
	v_cndmask_b32_e32 v18, 0, v16, vcc_lo
	s_mov_b32 vcc_lo, s1
	v_cndmask_b32_sdwa v16, v54, v16, vcc_lo dst_sel:DWORD dst_unused:UNUSED_PAD src0_sel:DWORD src1_sel:WORD_1
	v_perm_b32 v16, v16, v18, 0x5040100
	s_or_b32 exec_lo, exec_lo, s18
	global_load_dwordx4 v[17:20], v[9:10], off offset:1536
	s_and_saveexec_b32 s18, s0
	s_cbranch_execnz .LBB157_47
	s_branch .LBB157_48
.LBB157_54:                             ;   in Loop: Header=BB157_42 Depth=1
	v_cmp_gt_i32_e64 s1, s27, v63
	v_cmp_gt_i32_e32 vcc_lo, s15, v66
	v_cmp_gt_i32_e64 s2, s27, v65
	s_waitcnt vmcnt(0)
	v_cndmask_b32_e64 v11, 0, v29, s1
	v_cmp_gt_i32_e64 s1, s15, v64
	v_cndmask_b32_sdwa v29, v54, v29, vcc_lo dst_sel:DWORD dst_unused:UNUSED_PAD src0_sel:DWORD src1_sel:WORD_1
	v_cndmask_b32_e64 v12, 0, v30, s2
	v_cmp_gt_i32_e64 s2, s15, v62
	s_mov_b32 vcc_lo, s1
	v_cmp_gt_i32_e64 s1, s15, v60
	v_cndmask_b32_sdwa v30, v54, v30, vcc_lo dst_sel:DWORD dst_unused:UNUSED_PAD src0_sel:DWORD src1_sel:WORD_1
	v_cmp_gt_i32_e32 vcc_lo, s27, v61
	v_perm_b32 v29, v29, v11, 0x5040100
	v_perm_b32 v30, v30, v12, 0x5040100
	v_cndmask_b32_e32 v33, 0, v31, vcc_lo
	s_mov_b32 vcc_lo, s2
	v_cndmask_b32_sdwa v31, v54, v31, vcc_lo dst_sel:DWORD dst_unused:UNUSED_PAD src0_sel:DWORD src1_sel:WORD_1
	v_cmp_gt_i32_e32 vcc_lo, s27, v59
	v_perm_b32 v31, v31, v33, 0x5040100
	v_cndmask_b32_e32 v34, 0, v32, vcc_lo
	s_mov_b32 vcc_lo, s1
	v_cndmask_b32_sdwa v32, v54, v32, vcc_lo dst_sel:DWORD dst_unused:UNUSED_PAD src0_sel:DWORD src1_sel:WORD_1
	v_perm_b32 v32, v32, v34, 0x5040100
	s_or_b32 exec_lo, exec_lo, s18
	global_load_dwordx4 v[33:36], v[9:10], off offset:512
	s_and_saveexec_b32 s18, s0
	s_cbranch_execz .LBB157_50
.LBB157_55:                             ;   in Loop: Header=BB157_42 Depth=1
	v_cmp_gt_i32_e64 s1, s27, v63
	v_cmp_gt_i32_e32 vcc_lo, s15, v66
	v_cmp_gt_i32_e64 s2, s27, v65
	s_waitcnt vmcnt(0)
	v_cndmask_b32_e64 v11, 0, v33, s1
	v_cmp_gt_i32_e64 s1, s15, v64
	v_cndmask_b32_sdwa v33, v54, v33, vcc_lo dst_sel:DWORD dst_unused:UNUSED_PAD src0_sel:DWORD src1_sel:WORD_1
	v_cndmask_b32_e64 v12, 0, v34, s2
	v_cmp_gt_i32_e64 s2, s15, v62
	s_mov_b32 vcc_lo, s1
	v_cmp_gt_i32_e64 s1, s15, v60
	v_cndmask_b32_sdwa v34, v54, v34, vcc_lo dst_sel:DWORD dst_unused:UNUSED_PAD src0_sel:DWORD src1_sel:WORD_1
	v_cmp_gt_i32_e32 vcc_lo, s27, v61
	v_perm_b32 v33, v33, v11, 0x5040100
	v_perm_b32 v34, v34, v12, 0x5040100
	v_cndmask_b32_e32 v67, 0, v35, vcc_lo
	s_mov_b32 vcc_lo, s2
	v_cndmask_b32_sdwa v35, v54, v35, vcc_lo dst_sel:DWORD dst_unused:UNUSED_PAD src0_sel:DWORD src1_sel:WORD_1
	v_cmp_gt_i32_e32 vcc_lo, s27, v59
	v_perm_b32 v35, v35, v67, 0x5040100
	v_cndmask_b32_e32 v68, 0, v36, vcc_lo
	s_mov_b32 vcc_lo, s1
	v_cndmask_b32_sdwa v36, v54, v36, vcc_lo dst_sel:DWORD dst_unused:UNUSED_PAD src0_sel:DWORD src1_sel:WORD_1
	v_perm_b32 v36, v36, v68, 0x5040100
	s_or_b32 exec_lo, exec_lo, s18
	global_load_dwordx4 v[9:12], v[9:10], off offset:1024
	s_and_saveexec_b32 s2, s0
	s_cbranch_execz .LBB157_40
.LBB157_56:                             ;   in Loop: Header=BB157_42 Depth=1
	v_cmp_gt_i32_e64 s0, s27, v63
	v_cmp_gt_i32_e32 vcc_lo, s15, v66
	v_cmp_gt_i32_e64 s1, s27, v65
	s_waitcnt vmcnt(0)
	v_cndmask_b32_e64 v63, 0, v9, s0
	v_cmp_gt_i32_e64 s0, s15, v64
	v_cndmask_b32_sdwa v9, v54, v9, vcc_lo dst_sel:DWORD dst_unused:UNUSED_PAD src0_sel:DWORD src1_sel:WORD_1
	v_cndmask_b32_e64 v64, 0, v10, s1
	v_cmp_gt_i32_e64 s1, s15, v62
	s_mov_b32 vcc_lo, s0
	v_cmp_gt_i32_e64 s0, s15, v60
	v_cndmask_b32_sdwa v10, v54, v10, vcc_lo dst_sel:DWORD dst_unused:UNUSED_PAD src0_sel:DWORD src1_sel:WORD_1
	v_cmp_gt_i32_e32 vcc_lo, s27, v61
	v_perm_b32 v9, v9, v63, 0x5040100
	v_perm_b32 v10, v10, v64, 0x5040100
	v_cndmask_b32_e32 v61, 0, v11, vcc_lo
	s_mov_b32 vcc_lo, s1
	v_cndmask_b32_sdwa v11, v54, v11, vcc_lo dst_sel:DWORD dst_unused:UNUSED_PAD src0_sel:DWORD src1_sel:WORD_1
	v_cmp_gt_i32_e32 vcc_lo, s27, v59
	v_perm_b32 v11, v11, v61, 0x5040100
	v_cndmask_b32_e32 v59, 0, v12, vcc_lo
	s_mov_b32 vcc_lo, s0
	v_cndmask_b32_sdwa v12, v54, v12, vcc_lo dst_sel:DWORD dst_unused:UNUSED_PAD src0_sel:DWORD src1_sel:WORD_1
	v_perm_b32 v12, v12, v59, 0x5040100
	s_branch .LBB157_40
.LBB157_57:
	s_or_b32 exec_lo, exec_lo, s14
.LBB157_58:
	s_or_b32 exec_lo, exec_lo, s3
	ds_bpermute_b32 v1, v45, v52
	ds_bpermute_b32 v2, v45, v51
	ds_bpermute_b32 v3, v45, v50
	ds_bpermute_b32 v4, v45, v49
	ds_bpermute_b32 v11, v45, v48
	ds_bpermute_b32 v12, v45, v47
	ds_bpermute_b32 v13, v45, v46
	v_lshrrev_b32_e32 v8, 1, v44
	v_mul_u32_u24_e32 v10, 0x1c0, v42
	v_and_b32_e32 v14, 0x3c1, v0
	s_mov_b32 s0, exec_lo
	s_waitcnt lgkmcnt(0)
	s_waitcnt_vscnt null, 0x0
	v_lshl_add_u32 v9, v8, 2, 0x100
	s_barrier
	buffer_gl0_inv
	v_add_f32_e32 v7, v52, v1
	v_add_f32_e32 v6, v51, v2
	;; [unrolled: 1-line block ×7, first 2 shown]
	v_cmpx_eq_u32_e32 64, v14
	s_cbranch_execz .LBB157_60
; %bb.59:
	v_add_nc_u32_e32 v11, v9, v10
	v_add_nc_u32_e32 v12, 0xfffffc80, v11
	;; [unrolled: 1-line block ×8, first 2 shown]
	ds_write_b32 v12, v7
	ds_write_b32 v13, v6
	;; [unrolled: 1-line block ×7, first 2 shown]
.LBB157_60:
	s_or_b32 exec_lo, exec_lo, s0
	v_lshlrev_b32_e32 v8, 2, v8
	s_mov_b32 s1, exec_lo
	v_cmp_eq_u32_e32 vcc_lo, 0, v41
	s_waitcnt lgkmcnt(0)
	s_barrier
	v_add3_u32 v8, 0x100, v10, v8
	buffer_gl0_inv
	v_cmpx_gt_u32_e32 64, v0
	s_cbranch_execz .LBB157_70
; %bb.61:
	s_and_saveexec_b32 s0, vcc_lo
	s_cbranch_execnz .LBB157_85
; %bb.62:
	s_or_b32 exec_lo, exec_lo, s0
	s_and_saveexec_b32 s0, vcc_lo
	s_cbranch_execnz .LBB157_86
.LBB157_63:
	s_or_b32 exec_lo, exec_lo, s0
	s_and_saveexec_b32 s0, vcc_lo
	s_cbranch_execnz .LBB157_87
.LBB157_64:
	s_or_b32 exec_lo, exec_lo, s0
	s_and_saveexec_b32 s0, vcc_lo
	s_cbranch_execnz .LBB157_88
.LBB157_65:
	s_or_b32 exec_lo, exec_lo, s0
	s_and_saveexec_b32 s0, vcc_lo
	s_cbranch_execnz .LBB157_89
.LBB157_66:
	s_or_b32 exec_lo, exec_lo, s0
	s_and_saveexec_b32 s0, vcc_lo
	s_cbranch_execnz .LBB157_90
.LBB157_67:
	s_or_b32 exec_lo, exec_lo, s0
	s_and_saveexec_b32 s0, vcc_lo
	s_cbranch_execz .LBB157_69
.LBB157_68:
	ds_read_b32 v10, v8 offset:384
	s_waitcnt lgkmcnt(0)
	v_add_f32_e32 v1, v1, v10
.LBB157_69:
	s_or_b32 exec_lo, exec_lo, s0
.LBB157_70:
	s_or_b32 exec_lo, exec_lo, s1
	v_and_b32_e32 v10, 0x3e1, v0
	s_mov_b32 s1, exec_lo
	s_barrier
	buffer_gl0_inv
	v_cmpx_eq_u32_e32 32, v10
	s_cbranch_execz .LBB157_72
; %bb.71:
	ds_write2_b32 v9, v7, v6 offset1:16
	ds_write2_b32 v9, v5, v4 offset0:32 offset1:48
	ds_write2_b32 v9, v3, v2 offset0:64 offset1:80
	ds_write_b32 v9, v1 offset:384
.LBB157_72:
	s_or_b32 exec_lo, exec_lo, s1
	s_mov_b32 s1, exec_lo
	s_waitcnt lgkmcnt(0)
	s_barrier
	buffer_gl0_inv
	v_cmpx_gt_u32_e32 32, v0
	s_cbranch_execz .LBB157_82
; %bb.73:
	s_and_saveexec_b32 s0, vcc_lo
	s_cbranch_execnz .LBB157_91
; %bb.74:
	s_or_b32 exec_lo, exec_lo, s0
	s_and_saveexec_b32 s0, vcc_lo
	s_cbranch_execnz .LBB157_92
.LBB157_75:
	s_or_b32 exec_lo, exec_lo, s0
	s_and_saveexec_b32 s0, vcc_lo
	s_cbranch_execnz .LBB157_93
.LBB157_76:
	s_or_b32 exec_lo, exec_lo, s0
	s_and_saveexec_b32 s0, vcc_lo
	s_cbranch_execnz .LBB157_94
.LBB157_77:
	s_or_b32 exec_lo, exec_lo, s0
	s_and_saveexec_b32 s0, vcc_lo
	s_cbranch_execnz .LBB157_95
.LBB157_78:
	s_or_b32 exec_lo, exec_lo, s0
	s_and_saveexec_b32 s0, vcc_lo
	s_cbranch_execnz .LBB157_96
.LBB157_79:
	s_or_b32 exec_lo, exec_lo, s0
	s_and_saveexec_b32 s0, vcc_lo
	s_cbranch_execz .LBB157_81
.LBB157_80:
	ds_read_b32 v0, v8 offset:384
	s_waitcnt lgkmcnt(0)
	v_add_f32_e32 v1, v1, v0
.LBB157_81:
	s_or_b32 exec_lo, exec_lo, s0
.LBB157_82:
	s_or_b32 exec_lo, exec_lo, s1
	s_barrier
	buffer_gl0_inv
	s_mov_b32 s0, exec_lo
	v_cmpx_eq_u32_e32 0, v10
	s_cbranch_execz .LBB157_84
; %bb.83:
	s_mul_i32 s0, s4, 0x70
	v_bfe_u32 v0, v7, 16, 1
	s_ashr_i32 s1, s0, 31
	s_mul_i32 s2, s7, s10
	s_lshl_b64 s[0:1], s[0:1], 1
	v_bfe_u32 v8, v6, 16, 1
	s_add_u32 s4, s24, s0
	s_addc_u32 s1, s25, s1
	s_ashr_i32 s3, s2, 31
	v_add3_u32 v0, v0, v7, 0x7fff
	s_lshl_b64 s[2:3], s[2:3], 1
	v_or_b32_e32 v9, 0x400000, v7
	v_cmp_u_f32_e32 vcc_lo, v7, v7
	s_mul_i32 s0, s8, 0x70
	s_add_u32 s2, s4, s2
	s_addc_u32 s3, s1, s3
	s_ashr_i32 s1, s0, 31
	v_lshlrev_b32_e32 v10, 1, v40
	s_lshl_b64 s[0:1], s[0:1], 1
	v_add3_u32 v8, v8, v6, 0x7fff
	v_or_b32_e32 v11, 0x400000, v6
	v_cndmask_b32_e32 v0, v0, v9, vcc_lo
	v_bfe_u32 v7, v5, 16, 1
	v_cmp_u_f32_e32 vcc_lo, v6, v6
	s_add_u32 s0, s2, s0
	s_addc_u32 s1, s3, s1
	v_or_b32_e32 v9, 0x400000, v2
	global_store_short_d16_hi v10, v0, s[0:1]
	v_cndmask_b32_e32 v6, v8, v11, vcc_lo
	v_bfe_u32 v8, v4, 16, 1
	v_add3_u32 v0, v7, v5, 0x7fff
	v_or_b32_e32 v7, 0x400000, v5
	v_cmp_u_f32_e32 vcc_lo, v5, v5
	global_store_short_d16_hi v10, v6, s[0:1] offset:32
	v_add3_u32 v6, v8, v4, 0x7fff
	v_or_b32_e32 v8, 0x400000, v4
	v_bfe_u32 v5, v3, 16, 1
	v_cndmask_b32_e32 v0, v0, v7, vcc_lo
	v_cmp_u_f32_e32 vcc_lo, v4, v4
	v_bfe_u32 v7, v2, 16, 1
	v_or_b32_e32 v11, 0x400000, v1
	v_add3_u32 v5, v5, v3, 0x7fff
	v_cndmask_b32_e32 v4, v6, v8, vcc_lo
	v_or_b32_e32 v8, 0x400000, v3
	v_cmp_u_f32_e32 vcc_lo, v3, v3
	v_bfe_u32 v6, v1, 16, 1
	v_add3_u32 v7, v7, v2, 0x7fff
	v_cndmask_b32_e32 v3, v5, v8, vcc_lo
	v_cmp_u_f32_e32 vcc_lo, v2, v2
	v_add3_u32 v6, v6, v1, 0x7fff
	v_cndmask_b32_e32 v2, v7, v9, vcc_lo
	v_cmp_u_f32_e32 vcc_lo, v1, v1
	v_cndmask_b32_e32 v1, v6, v11, vcc_lo
	global_store_short_d16_hi v10, v0, s[0:1] offset:64
	global_store_short_d16_hi v10, v4, s[0:1] offset:96
	;; [unrolled: 1-line block ×5, first 2 shown]
.LBB157_84:
	s_endpgm
.LBB157_85:
	ds_read_b32 v10, v8
	s_waitcnt lgkmcnt(0)
	v_add_f32_e32 v7, v7, v10
	s_or_b32 exec_lo, exec_lo, s0
	s_and_saveexec_b32 s0, vcc_lo
	s_cbranch_execz .LBB157_63
.LBB157_86:
	ds_read_b32 v10, v8 offset:64
	s_waitcnt lgkmcnt(0)
	v_add_f32_e32 v6, v6, v10
	s_or_b32 exec_lo, exec_lo, s0
	s_and_saveexec_b32 s0, vcc_lo
	s_cbranch_execz .LBB157_64
.LBB157_87:
	ds_read_b32 v10, v8 offset:128
	s_waitcnt lgkmcnt(0)
	v_add_f32_e32 v5, v5, v10
	s_or_b32 exec_lo, exec_lo, s0
	s_and_saveexec_b32 s0, vcc_lo
	s_cbranch_execz .LBB157_65
.LBB157_88:
	ds_read_b32 v10, v8 offset:192
	s_waitcnt lgkmcnt(0)
	v_add_f32_e32 v4, v4, v10
	s_or_b32 exec_lo, exec_lo, s0
	s_and_saveexec_b32 s0, vcc_lo
	s_cbranch_execz .LBB157_66
.LBB157_89:
	ds_read_b32 v10, v8 offset:256
	s_waitcnt lgkmcnt(0)
	v_add_f32_e32 v3, v3, v10
	s_or_b32 exec_lo, exec_lo, s0
	s_and_saveexec_b32 s0, vcc_lo
	s_cbranch_execz .LBB157_67
.LBB157_90:
	ds_read_b32 v10, v8 offset:320
	s_waitcnt lgkmcnt(0)
	v_add_f32_e32 v2, v2, v10
	s_or_b32 exec_lo, exec_lo, s0
	s_and_saveexec_b32 s0, vcc_lo
	s_cbranch_execnz .LBB157_68
	s_branch .LBB157_69
.LBB157_91:
	ds_read_b32 v0, v8
	s_waitcnt lgkmcnt(0)
	v_add_f32_e32 v7, v7, v0
	s_or_b32 exec_lo, exec_lo, s0
	s_and_saveexec_b32 s0, vcc_lo
	s_cbranch_execz .LBB157_75
.LBB157_92:
	ds_read_b32 v0, v8 offset:64
	s_waitcnt lgkmcnt(0)
	v_add_f32_e32 v6, v6, v0
	s_or_b32 exec_lo, exec_lo, s0
	s_and_saveexec_b32 s0, vcc_lo
	s_cbranch_execz .LBB157_76
.LBB157_93:
	ds_read_b32 v0, v8 offset:128
	s_waitcnt lgkmcnt(0)
	v_add_f32_e32 v5, v5, v0
	s_or_b32 exec_lo, exec_lo, s0
	s_and_saveexec_b32 s0, vcc_lo
	s_cbranch_execz .LBB157_77
.LBB157_94:
	ds_read_b32 v0, v8 offset:192
	s_waitcnt lgkmcnt(0)
	v_add_f32_e32 v4, v4, v0
	s_or_b32 exec_lo, exec_lo, s0
	s_and_saveexec_b32 s0, vcc_lo
	s_cbranch_execz .LBB157_78
.LBB157_95:
	ds_read_b32 v0, v8 offset:256
	s_waitcnt lgkmcnt(0)
	v_add_f32_e32 v3, v3, v0
	s_or_b32 exec_lo, exec_lo, s0
	s_and_saveexec_b32 s0, vcc_lo
	s_cbranch_execz .LBB157_79
.LBB157_96:
	ds_read_b32 v0, v8 offset:320
	s_waitcnt lgkmcnt(0)
	v_add_f32_e32 v2, v2, v0
	s_or_b32 exec_lo, exec_lo, s0
	s_and_saveexec_b32 s0, vcc_lo
	s_cbranch_execnz .LBB157_80
	s_branch .LBB157_81
	.section	.rodata,"a",@progbits
	.p2align	6, 0x0
	.amdhsa_kernel _ZN4vllm25paged_attention_v2_kernelI14__hip_bfloat16S1_Li112ELi16ELi128ELNS_18Fp8KVCacheDataTypeE0ELb1ELi512EEEvPfS3_PT_PKS4_PKT0_SA_ifPKiSC_iPKfiiiSE_SE_iiiii
		.amdhsa_group_segment_fixed_size 256
		.amdhsa_private_segment_fixed_size 0
		.amdhsa_kernarg_size 400
		.amdhsa_user_sgpr_count 6
		.amdhsa_user_sgpr_private_segment_buffer 1
		.amdhsa_user_sgpr_dispatch_ptr 0
		.amdhsa_user_sgpr_queue_ptr 0
		.amdhsa_user_sgpr_kernarg_segment_ptr 1
		.amdhsa_user_sgpr_dispatch_id 0
		.amdhsa_user_sgpr_flat_scratch_init 0
		.amdhsa_user_sgpr_private_segment_size 0
		.amdhsa_wavefront_size32 1
		.amdhsa_uses_dynamic_stack 0
		.amdhsa_system_sgpr_private_segment_wavefront_offset 0
		.amdhsa_system_sgpr_workgroup_id_x 1
		.amdhsa_system_sgpr_workgroup_id_y 1
		.amdhsa_system_sgpr_workgroup_id_z 1
		.amdhsa_system_sgpr_workgroup_info 0
		.amdhsa_system_vgpr_workitem_id 0
		.amdhsa_next_free_vgpr 106
		.amdhsa_next_free_sgpr 46
		.amdhsa_reserve_vcc 1
		.amdhsa_reserve_flat_scratch 0
		.amdhsa_float_round_mode_32 0
		.amdhsa_float_round_mode_16_64 0
		.amdhsa_float_denorm_mode_32 3
		.amdhsa_float_denorm_mode_16_64 3
		.amdhsa_dx10_clamp 1
		.amdhsa_ieee_mode 1
		.amdhsa_fp16_overflow 0
		.amdhsa_workgroup_processor_mode 1
		.amdhsa_memory_ordered 1
		.amdhsa_forward_progress 1
		.amdhsa_shared_vgpr_count 0
		.amdhsa_exception_fp_ieee_invalid_op 0
		.amdhsa_exception_fp_denorm_src 0
		.amdhsa_exception_fp_ieee_div_zero 0
		.amdhsa_exception_fp_ieee_overflow 0
		.amdhsa_exception_fp_ieee_underflow 0
		.amdhsa_exception_fp_ieee_inexact 0
		.amdhsa_exception_int_div_zero 0
	.end_amdhsa_kernel
	.section	.text._ZN4vllm25paged_attention_v2_kernelI14__hip_bfloat16S1_Li112ELi16ELi128ELNS_18Fp8KVCacheDataTypeE0ELb1ELi512EEEvPfS3_PT_PKS4_PKT0_SA_ifPKiSC_iPKfiiiSE_SE_iiiii,"axG",@progbits,_ZN4vllm25paged_attention_v2_kernelI14__hip_bfloat16S1_Li112ELi16ELi128ELNS_18Fp8KVCacheDataTypeE0ELb1ELi512EEEvPfS3_PT_PKS4_PKT0_SA_ifPKiSC_iPKfiiiSE_SE_iiiii,comdat
.Lfunc_end157:
	.size	_ZN4vllm25paged_attention_v2_kernelI14__hip_bfloat16S1_Li112ELi16ELi128ELNS_18Fp8KVCacheDataTypeE0ELb1ELi512EEEvPfS3_PT_PKS4_PKT0_SA_ifPKiSC_iPKfiiiSE_SE_iiiii, .Lfunc_end157-_ZN4vllm25paged_attention_v2_kernelI14__hip_bfloat16S1_Li112ELi16ELi128ELNS_18Fp8KVCacheDataTypeE0ELb1ELi512EEEvPfS3_PT_PKS4_PKT0_SA_ifPKiSC_iPKfiiiSE_SE_iiiii
                                        ; -- End function
	.set _ZN4vllm25paged_attention_v2_kernelI14__hip_bfloat16S1_Li112ELi16ELi128ELNS_18Fp8KVCacheDataTypeE0ELb1ELi512EEEvPfS3_PT_PKS4_PKT0_SA_ifPKiSC_iPKfiiiSE_SE_iiiii.num_vgpr, 106
	.set _ZN4vllm25paged_attention_v2_kernelI14__hip_bfloat16S1_Li112ELi16ELi128ELNS_18Fp8KVCacheDataTypeE0ELb1ELi512EEEvPfS3_PT_PKS4_PKT0_SA_ifPKiSC_iPKfiiiSE_SE_iiiii.num_agpr, 0
	.set _ZN4vllm25paged_attention_v2_kernelI14__hip_bfloat16S1_Li112ELi16ELi128ELNS_18Fp8KVCacheDataTypeE0ELb1ELi512EEEvPfS3_PT_PKS4_PKT0_SA_ifPKiSC_iPKfiiiSE_SE_iiiii.numbered_sgpr, 46
	.set _ZN4vllm25paged_attention_v2_kernelI14__hip_bfloat16S1_Li112ELi16ELi128ELNS_18Fp8KVCacheDataTypeE0ELb1ELi512EEEvPfS3_PT_PKS4_PKT0_SA_ifPKiSC_iPKfiiiSE_SE_iiiii.num_named_barrier, 0
	.set _ZN4vllm25paged_attention_v2_kernelI14__hip_bfloat16S1_Li112ELi16ELi128ELNS_18Fp8KVCacheDataTypeE0ELb1ELi512EEEvPfS3_PT_PKS4_PKT0_SA_ifPKiSC_iPKfiiiSE_SE_iiiii.private_seg_size, 0
	.set _ZN4vllm25paged_attention_v2_kernelI14__hip_bfloat16S1_Li112ELi16ELi128ELNS_18Fp8KVCacheDataTypeE0ELb1ELi512EEEvPfS3_PT_PKS4_PKT0_SA_ifPKiSC_iPKfiiiSE_SE_iiiii.uses_vcc, 1
	.set _ZN4vllm25paged_attention_v2_kernelI14__hip_bfloat16S1_Li112ELi16ELi128ELNS_18Fp8KVCacheDataTypeE0ELb1ELi512EEEvPfS3_PT_PKS4_PKT0_SA_ifPKiSC_iPKfiiiSE_SE_iiiii.uses_flat_scratch, 0
	.set _ZN4vllm25paged_attention_v2_kernelI14__hip_bfloat16S1_Li112ELi16ELi128ELNS_18Fp8KVCacheDataTypeE0ELb1ELi512EEEvPfS3_PT_PKS4_PKT0_SA_ifPKiSC_iPKfiiiSE_SE_iiiii.has_dyn_sized_stack, 0
	.set _ZN4vllm25paged_attention_v2_kernelI14__hip_bfloat16S1_Li112ELi16ELi128ELNS_18Fp8KVCacheDataTypeE0ELb1ELi512EEEvPfS3_PT_PKS4_PKT0_SA_ifPKiSC_iPKfiiiSE_SE_iiiii.has_recursion, 0
	.set _ZN4vllm25paged_attention_v2_kernelI14__hip_bfloat16S1_Li112ELi16ELi128ELNS_18Fp8KVCacheDataTypeE0ELb1ELi512EEEvPfS3_PT_PKS4_PKT0_SA_ifPKiSC_iPKfiiiSE_SE_iiiii.has_indirect_call, 0
	.section	.AMDGPU.csdata,"",@progbits
; Kernel info:
; codeLenInByte = 10724
; TotalNumSgprs: 48
; NumVgprs: 106
; ScratchSize: 0
; MemoryBound: 0
; FloatMode: 240
; IeeeMode: 1
; LDSByteSize: 256 bytes/workgroup (compile time only)
; SGPRBlocks: 0
; VGPRBlocks: 13
; NumSGPRsForWavesPerEU: 48
; NumVGPRsForWavesPerEU: 106
; Occupancy: 9
; WaveLimiterHint : 1
; COMPUTE_PGM_RSRC2:SCRATCH_EN: 0
; COMPUTE_PGM_RSRC2:USER_SGPR: 6
; COMPUTE_PGM_RSRC2:TRAP_HANDLER: 0
; COMPUTE_PGM_RSRC2:TGID_X_EN: 1
; COMPUTE_PGM_RSRC2:TGID_Y_EN: 1
; COMPUTE_PGM_RSRC2:TGID_Z_EN: 1
; COMPUTE_PGM_RSRC2:TIDIG_COMP_CNT: 0
	.section	.text._ZN4vllm25paged_attention_v2_kernelI14__hip_bfloat16S1_Li120ELi16ELi128ELNS_18Fp8KVCacheDataTypeE0ELb1ELi512EEEvPfS3_PT_PKS4_PKT0_SA_ifPKiSC_iPKfiiiSE_SE_iiiii,"axG",@progbits,_ZN4vllm25paged_attention_v2_kernelI14__hip_bfloat16S1_Li120ELi16ELi128ELNS_18Fp8KVCacheDataTypeE0ELb1ELi512EEEvPfS3_PT_PKS4_PKT0_SA_ifPKiSC_iPKfiiiSE_SE_iiiii,comdat
	.protected	_ZN4vllm25paged_attention_v2_kernelI14__hip_bfloat16S1_Li120ELi16ELi128ELNS_18Fp8KVCacheDataTypeE0ELb1ELi512EEEvPfS3_PT_PKS4_PKT0_SA_ifPKiSC_iPKfiiiSE_SE_iiiii ; -- Begin function _ZN4vllm25paged_attention_v2_kernelI14__hip_bfloat16S1_Li120ELi16ELi128ELNS_18Fp8KVCacheDataTypeE0ELb1ELi512EEEvPfS3_PT_PKS4_PKT0_SA_ifPKiSC_iPKfiiiSE_SE_iiiii
	.globl	_ZN4vllm25paged_attention_v2_kernelI14__hip_bfloat16S1_Li120ELi16ELi128ELNS_18Fp8KVCacheDataTypeE0ELb1ELi512EEEvPfS3_PT_PKS4_PKT0_SA_ifPKiSC_iPKfiiiSE_SE_iiiii
	.p2align	8
	.type	_ZN4vllm25paged_attention_v2_kernelI14__hip_bfloat16S1_Li120ELi16ELi128ELNS_18Fp8KVCacheDataTypeE0ELb1ELi512EEEvPfS3_PT_PKS4_PKT0_SA_ifPKiSC_iPKfiiiSE_SE_iiiii,@function
_ZN4vllm25paged_attention_v2_kernelI14__hip_bfloat16S1_Li120ELi16ELi128ELNS_18Fp8KVCacheDataTypeE0ELb1ELi512EEEvPfS3_PT_PKS4_PKT0_SA_ifPKiSC_iPKfiiiSE_SE_iiiii: ; @_ZN4vllm25paged_attention_v2_kernelI14__hip_bfloat16S1_Li120ELi16ELi128ELNS_18Fp8KVCacheDataTypeE0ELb1ELi512EEEvPfS3_PT_PKS4_PKT0_SA_ifPKiSC_iPKfiiiSE_SE_iiiii
; %bb.0:
	s_load_dwordx2 s[0:1], s[4:5], 0x40
	s_mov_b32 s26, s7
	s_ashr_i32 s27, s7, 31
	s_lshl_b64 s[2:3], s[26:27], 2
	s_waitcnt lgkmcnt(0)
	s_add_u32 s0, s0, s2
	s_addc_u32 s1, s1, s3
	s_lshl_b32 s38, s8, 9
	s_load_dword s27, s[0:1], 0x0
	s_waitcnt lgkmcnt(0)
	s_cmp_ge_i32 s38, s27
	s_cbranch_scc1 .LBB158_115
; %bb.1:
	s_clause 0x1
	s_load_dword s9, s[4:5], 0x90
	s_load_dwordx2 s[36:37], s[4:5], 0x30
	s_mov_b32 s40, 0
	s_waitcnt lgkmcnt(0)
	s_abs_i32 s3, s9
	s_abs_i32 s0, s36
	v_cvt_f32_u32_e32 v1, s0
	s_sub_i32 s2, 0, s0
	v_rcp_iflag_f32_e32 v1, v1
	v_mul_f32_e32 v1, 0x4f7ffffe, v1
	v_cvt_u32_f32_e32 v1, v1
	v_readfirstlane_b32 s1, v1
	s_mul_i32 s2, s2, s1
	s_mul_hi_u32 s2, s1, s2
	s_add_i32 s1, s1, s2
	s_xor_b32 s2, s9, s36
	s_mul_hi_u32 s1, s3, s1
	s_ashr_i32 s2, s2, 31
	s_mul_i32 s7, s1, s0
	s_sub_i32 s3, s3, s7
	s_add_i32 s7, s1, 1
	s_sub_i32 s10, s3, s0
	s_cmp_ge_u32 s3, s0
	s_cselect_b32 s1, s7, s1
	s_cselect_b32 s3, s10, s3
	s_add_i32 s7, s1, 1
	s_cmp_ge_u32 s3, s0
	s_cselect_b32 s0, s7, s1
	s_xor_b32 s0, s0, s2
	s_sub_i32 s10, s0, s2
	s_load_dwordx2 s[0:1], s[4:5], 0x50
	s_abs_i32 s2, s10
	v_cvt_f32_u32_e32 v1, s2
	s_sub_i32 s3, 0, s2
	v_rcp_iflag_f32_e32 v1, v1
	v_mul_f32_e32 v1, 0x4f7ffffe, v1
	v_cvt_u32_f32_e32 v1, v1
	v_readfirstlane_b32 s7, v1
	s_mul_i32 s3, s3, s7
	s_mul_hi_u32 s11, s7, s3
	s_abs_i32 s3, s6
	s_add_i32 s7, s7, s11
	s_waitcnt lgkmcnt(0)
	s_cmp_eq_u64 s[0:1], 0
	s_mul_hi_u32 s20, s3, s7
	s_cbranch_scc1 .LBB158_3
; %bb.2:
	s_ashr_i32 s7, s6, 31
	s_lshl_b64 s[12:13], s[6:7], 2
	s_add_u32 s0, s0, s12
	s_addc_u32 s1, s1, s13
	s_load_dword s40, s[0:1], 0x0
.LBB158_3:
	s_load_dwordx4 s[12:15], s[4:5], 0x58
	v_lshrrev_b32_e32 v40, 1, v0
	v_and_b32_e32 v41, 1, v0
	v_lshlrev_b32_e32 v3, 3, v0
	s_ashr_i32 s0, s6, 31
	s_ashr_i32 s1, s10, 31
	s_mul_i32 s10, s6, 0x78
	s_mov_b32 s7, exec_lo
	v_cmpx_gt_u32_e32 30, v0
	s_cbranch_execz .LBB158_5
; %bb.4:
	s_load_dwordx2 s[16:17], s[4:5], 0x18
	s_waitcnt lgkmcnt(0)
	s_mul_i32 s18, s12, s26
	v_lshlrev_b32_e32 v4, 3, v40
	s_ashr_i32 s19, s18, 31
	s_lshl_b64 s[18:19], s[18:19], 1
	v_mad_u32_u24 v4, 0x78, v41, v4
	s_add_u32 s12, s16, s18
	s_addc_u32 s15, s17, s19
	s_ashr_i32 s11, s10, 31
	s_lshl_b64 s[16:17], s[10:11], 1
	s_add_u32 s16, s12, s16
	s_addc_u32 s17, s15, s17
	global_load_dwordx2 v[1:2], v3, s[16:17]
	s_waitcnt vmcnt(0)
	ds_write_b64 v4, v[1:2]
.LBB158_5:
	s_or_b32 exec_lo, exec_lo, s7
	s_load_dwordx4 s[16:19], s[4:5], 0x78
	s_mul_i32 s7, s20, s2
	s_xor_b32 s0, s0, s1
	s_sub_i32 s1, s3, s7
	s_add_i32 s3, s20, 1
	s_sub_i32 s7, s1, s2
	s_cmp_ge_u32 s1, s2
                                        ; implicit-def: $sgpr33
	s_cselect_b32 s3, s3, s20
	s_cselect_b32 s1, s7, s1
	s_add_i32 s7, s3, 1
	s_cmp_ge_u32 s1, s2
	s_mov_b32 s20, -1
	s_cselect_b32 s1, s7, s3
	s_load_dword s3, s[4:5], 0x88
	s_xor_b32 s1, s1, s0
	s_add_i32 s7, s27, -1
	s_sub_i32 s1, s1, s0
	s_abs_i32 s2, s7
	s_waitcnt lgkmcnt(0)
	s_abs_i32 s11, s19
	s_barrier
	v_cvt_f32_u32_e32 v1, s11
	s_sub_i32 s0, 0, s11
	buffer_gl0_inv
	v_rcp_iflag_f32_e32 v1, v1
	v_mul_f32_e32 v1, 0x4f7ffffe, v1
	v_cvt_u32_f32_e32 v1, v1
	v_readfirstlane_b32 s12, v1
	s_mul_i32 s0, s0, s12
	s_mul_hi_u32 s0, s12, s0
	s_add_i32 s12, s12, s0
	s_cmp_lt_i32 s3, 0
	s_mul_hi_u32 s0, s2, s12
	s_cbranch_scc0 .LBB158_7
; %bb.6:
	s_mul_i32 s15, s16, s36
	s_mov_b32 s20, 0
	s_add_i32 s15, s1, s15
	s_mul_i32 s15, s15, s3
	s_sub_i32 s33, 1, s15
.LBB158_7:
	s_load_dwordx2 s[28:29], s[4:5], 0x38
	s_ashr_i32 s15, s7, 31
	s_andn2_b32 vcc_lo, exec_lo, s20
	s_ashr_i32 s19, s19, 31
	s_cbranch_vccnz .LBB158_9
; %bb.8:
	s_mul_i32 s7, s9, s16
	s_add_i32 s7, s7, s6
	s_mul_i32 s3, s7, s3
	s_add_i32 s33, s3, 1
.LBB158_9:
	s_clause 0x4
	s_load_dword s3, s[4:5], 0x48
	s_load_dwordx2 s[34:35], s[4:5], 0x28
	s_load_dword s7, s[4:5], 0x98
	s_load_dwordx4 s[20:23], s[4:5], 0x0
	s_load_dwordx2 s[24:25], s[4:5], 0x10
	s_mul_i32 s16, s0, s11
	s_xor_b32 s15, s15, s19
	s_sub_i32 s2, s2, s16
	s_add_i32 s36, s0, 1
	v_lshrrev_b32_e32 v42, 5, v0
	v_mov_b32_e32 v5, 0xff7fffff
	v_mbcnt_lo_u32_b32 v4, -1, 0
	s_mul_i32 s14, s1, s14
	s_mov_b32 s42, exec_lo
	v_lshl_add_u32 v43, v42, 4, s38
	s_waitcnt lgkmcnt(0)
	s_mul_i32 s30, s3, s26
	s_sub_i32 s3, s2, s11
	s_ashr_i32 s31, s30, 31
	s_cmp_ge_u32 s2, s11
	s_cselect_b32 s0, s36, s0
	s_cselect_b32 s2, s3, s2
	s_add_i32 s3, s0, 1
	s_cmp_ge_u32 s2, s11
	s_cselect_b32 s0, s3, s0
	s_add_i32 s2, s27, 15
	s_lshl_b32 s41, s8, 5
	s_ashr_i32 s3, s2, 31
	v_or_b32_e32 v37, s41, v42
	s_lshr_b32 s3, s3, 28
	s_add_i32 s2, s2, s3
	s_add_i32 s3, s41, 32
	s_ashr_i32 s36, s2, 4
	s_xor_b32 s2, s0, s15
	s_min_i32 s16, s3, s36
	v_ashrrev_i32_e32 v38, 31, v37
	v_cmp_le_i32_e64 s0, s16, v37
	s_sub_i32 s39, s2, s15
	v_cmpx_gt_i32_e64 s16, v37
	s_cbranch_execz .LBB158_21
; %bb.10:
	s_load_dwordx2 s[2:3], s[4:5], 0x20
	s_ashr_i32 s15, s14, 31
	s_sub_i32 s4, s39, s17
	s_lshl_b64 s[44:45], s[14:15], 1
	v_bfe_u32 v6, v0, 1, 4
	v_and_b32_e32 v13, 8, v3
	v_mul_u32_u24_e32 v7, 0x78, v41
	v_cmp_neq_f32_e64 s1, s40, 0
	v_lshl_add_u32 v8, v42, 4, s38
	v_lshlrev_b32_e32 v11, 2, v6
	v_subrev_nc_u32_e32 v14, s27, v6
	v_lshlrev_b32_e32 v17, 4, v6
	v_mov_b32_e32 v9, 0xff7fffff
	v_xor_b32_e32 v10, 1, v4
	v_lshl_or_b32 v15, v42, 6, v11
	v_add_nc_u32_e32 v11, 1, v14
	v_cmp_eq_u32_e32 vcc_lo, 0, v41
	s_waitcnt lgkmcnt(0)
	s_add_u32 s15, s2, s44
	s_addc_u32 s43, s3, s45
	s_abs_i32 s5, s18
	v_cvt_f32_u32_e32 v1, s5
	s_sub_i32 s2, 0, s5
	v_rcp_iflag_f32_e32 v5, v1
	v_lshlrev_b64 v[1:2], 2, v[37:38]
	v_mul_f32_e32 v12, 0x4f7ffffe, v5
	v_mov_b32_e32 v5, 0xff7fffff
	v_cvt_u32_f32_e32 v16, v12
	v_add_nc_u32_e32 v12, 0x110, v15
	v_add_co_u32 v15, s15, s15, v17
	v_add_co_ci_u32_e64 v17, null, s43, 0, s15
	v_mul_lo_u32 v14, s2, v16
	s_lshl_b64 s[2:3], s[30:31], 2
	s_mov_b32 s15, 0
	s_add_u32 s2, s28, s2
	s_addc_u32 s3, s29, s3
	v_add_co_u32 v1, s2, s2, v1
	v_add_co_ci_u32_e64 v2, null, s3, v2, s2
	v_mul_hi_u32 v18, v16, v14
	v_add_co_u32 v13, s2, v15, v13
	v_add_co_ci_u32_e64 v14, null, 0, v17, s2
	s_mov_b32 s43, s13
	v_add_nc_u32_e32 v15, v16, v18
	v_mov_b32_e32 v16, v37
	s_branch .LBB158_13
.LBB158_11:                             ;   in Loop: Header=BB158_13 Depth=1
	s_or_b32 exec_lo, exec_lo, s44
.LBB158_12:                             ;   in Loop: Header=BB158_13 Depth=1
	s_or_b32 exec_lo, exec_lo, s3
	v_add_nc_u32_e32 v16, 4, v16
	v_add_co_u32 v1, s3, v1, 16
	v_add_co_ci_u32_e64 v2, null, 0, v2, s3
	v_cmp_le_i32_e64 s2, s16, v16
	v_add_nc_u32_e32 v8, 64, v8
	v_add_nc_u32_e32 v12, 0x100, v12
	s_or_b32 s15, s2, s15
	s_andn2_b32 exec_lo, exec_lo, s15
	s_cbranch_execz .LBB158_20
.LBB158_13:                             ; =>This Inner Loop Header: Depth=1
	v_sub_nc_u32_e32 v17, 0, v8
	v_max_i32_e32 v17, v8, v17
	s_waitcnt lgkmcnt(0)
	v_mul_hi_u32 v18, v17, s12
	v_mul_lo_u32 v19, v18, s11
	v_sub_nc_u32_e32 v17, v17, v19
	v_add_nc_u32_e32 v19, 1, v18
	v_subrev_nc_u32_e32 v20, s11, v17
	v_cmp_le_u32_e64 s2, s11, v17
	v_cndmask_b32_e64 v18, v18, v19, s2
	v_cndmask_b32_e64 v17, v17, v20, s2
	v_ashrrev_i32_e32 v19, 31, v8
	v_add_nc_u32_e32 v20, 1, v18
	v_cmp_le_u32_e64 s2, s11, v17
	v_xor_b32_e32 v19, s19, v19
	v_cndmask_b32_e64 v17, v18, v20, s2
	v_xor_b32_e32 v17, v17, v19
	v_sub_nc_u32_e32 v17, v17, v19
	v_add_nc_u32_e32 v18, s33, v17
	v_cmp_ge_i32_e64 s3, s4, v17
	v_sub_nc_u32_e32 v19, 0, v18
	v_max_i32_e32 v19, v18, v19
	v_ashrrev_i32_e32 v18, 31, v18
	v_mul_hi_u32 v20, v19, v15
	v_mul_lo_u32 v20, v20, s5
	v_sub_nc_u32_e32 v19, v19, v20
	v_subrev_nc_u32_e32 v20, s5, v19
	v_cmp_le_u32_e64 s2, s5, v19
	v_cndmask_b32_e64 v19, v19, v20, s2
	v_subrev_nc_u32_e32 v20, s5, v19
	v_cmp_le_u32_e64 s2, s5, v19
	v_cndmask_b32_e64 v19, v19, v20, s2
	v_xor_b32_e32 v19, v19, v18
	v_sub_nc_u32_e32 v18, v19, v18
	v_cmp_ne_u32_e64 s2, 0, v18
	s_and_b32 s2, s2, s3
	s_and_saveexec_b32 s3, s2
	s_xor_b32 s2, exec_lo, s3
	s_cbranch_execz .LBB158_17
; %bb.14:                               ;   in Loop: Header=BB158_13 Depth=1
	s_and_saveexec_b32 s3, vcc_lo
; %bb.15:                               ;   in Loop: Header=BB158_13 Depth=1
	ds_write_b32 v12, v9
; %bb.16:                               ;   in Loop: Header=BB158_13 Depth=1
	s_or_b32 exec_lo, exec_lo, s3
.LBB158_17:                             ;   in Loop: Header=BB158_13 Depth=1
	s_andn2_saveexec_b32 s3, s2
	s_cbranch_execz .LBB158_12
; %bb.18:                               ;   in Loop: Header=BB158_13 Depth=1
	global_load_dword v17, v[1:2], off
	s_waitcnt vmcnt(0)
	v_mad_i64_i32 v[17:18], null, v17, s43, 0
	v_lshlrev_b64 v[17:18], 1, v[17:18]
	v_add_co_u32 v52, s2, v13, v17
	v_add_co_ci_u32_e64 v53, null, v14, v18, s2
	s_clause 0x3
	global_load_dwordx2 v[54:55], v[52:53], off offset:256
	global_load_dwordx2 v[56:57], v[52:53], off offset:512
	;; [unrolled: 1-line block ×3, first 2 shown]
	global_load_dwordx2 v[60:61], v[52:53], off
	ds_read2_b64 v[17:20], v7 offset1:1
	ds_read2_b64 v[21:24], v7 offset0:2 offset1:3
	ds_read2_b64 v[25:28], v7 offset0:4 offset1:5
	;; [unrolled: 1-line block ×6, first 2 shown]
	ds_read_b64 v[62:63], v7 offset:112
	s_waitcnt lgkmcnt(7)
	v_lshlrev_b32_e32 v39, 16, v17
	v_lshlrev_b32_e32 v64, 16, v18
	v_and_b32_e32 v87, 0xffff0000, v17
	v_and_b32_e32 v88, 0xffff0000, v18
	global_load_dwordx2 v[17:18], v[52:53], off offset:1024
	v_lshlrev_b32_e32 v65, 16, v19
	v_lshlrev_b32_e32 v66, 16, v20
	v_and_b32_e32 v89, 0xffff0000, v19
	v_and_b32_e32 v90, 0xffff0000, v20
	global_load_dwordx2 v[19:20], v[52:53], off offset:1280
	s_waitcnt lgkmcnt(6)
	v_lshlrev_b32_e32 v67, 16, v21
	v_lshlrev_b32_e32 v68, 16, v22
	v_and_b32_e32 v91, 0xffff0000, v21
	v_and_b32_e32 v92, 0xffff0000, v22
	global_load_dwordx2 v[21:22], v[52:53], off offset:1536
	v_lshlrev_b32_e32 v69, 16, v23
	v_and_b32_e32 v93, 0xffff0000, v23
	v_add_co_u32 v23, s2, 0x800, v52
	s_waitcnt lgkmcnt(5)
	v_lshlrev_b32_e32 v71, 16, v25
	v_lshlrev_b32_e32 v72, 16, v26
	v_and_b32_e32 v95, 0xffff0000, v25
	v_and_b32_e32 v96, 0xffff0000, v26
	global_load_dwordx2 v[25:26], v[52:53], off offset:1792
	v_lshlrev_b32_e32 v70, 16, v24
	v_and_b32_e32 v94, 0xffff0000, v24
	v_add_co_ci_u32_e64 v24, null, 0, v53, s2
	v_lshlrev_b32_e32 v73, 16, v27
	v_lshlrev_b32_e32 v74, 16, v28
	s_waitcnt lgkmcnt(4)
	v_lshlrev_b32_e32 v75, 16, v29
	v_lshlrev_b32_e32 v76, 16, v30
	v_and_b32_e32 v97, 0xffff0000, v27
	v_and_b32_e32 v98, 0xffff0000, v28
	;; [unrolled: 1-line block ×4, first 2 shown]
	s_clause 0x1
	global_load_dwordx2 v[27:28], v[23:24], off
	global_load_dwordx2 v[29:30], v[23:24], off offset:256
	v_lshlrev_b32_e32 v77, 16, v31
	v_and_b32_e32 v101, 0xffff0000, v31
	v_lshlrev_b32_e32 v78, 16, v32
	s_waitcnt lgkmcnt(3)
	v_lshlrev_b32_e32 v79, 16, v33
	v_lshlrev_b32_e32 v80, 16, v34
	;; [unrolled: 1-line block ×3, first 2 shown]
	s_waitcnt lgkmcnt(2)
	v_lshlrev_b32_e32 v83, 16, v44
	v_and_b32_e32 v102, 0xffff0000, v32
	v_and_b32_e32 v103, 0xffff0000, v33
	;; [unrolled: 1-line block ×5, first 2 shown]
	v_lshlrev_b32_e32 v82, 16, v36
	v_and_b32_e32 v106, 0xffff0000, v36
	v_lshlrev_b32_e32 v84, 16, v45
	v_and_b32_e32 v108, 0xffff0000, v45
	;; [unrolled: 2-line block ×3, first 2 shown]
	v_lshlrev_b32_e32 v86, 16, v47
	s_waitcnt lgkmcnt(1)
	v_lshlrev_b32_e32 v109, 16, v48
	v_and_b32_e32 v48, 0xffff0000, v48
	v_and_b32_e32 v47, 0xffff0000, v47
	v_lshlrev_b32_e32 v110, 16, v49
	v_lshlrev_b32_e32 v111, 16, v50
	v_and_b32_e32 v50, 0xffff0000, v50
	v_and_b32_e32 v49, 0xffff0000, v49
	v_lshlrev_b32_e32 v52, 16, v51
	v_and_b32_e32 v51, 0xffff0000, v51
	v_cmp_gt_i32_e64 s2, 32, v10
	s_waitcnt vmcnt(9)
	v_lshlrev_b32_e32 v31, 16, v54
	v_and_b32_e32 v33, 0xffff0000, v54
	v_lshlrev_b32_e32 v34, 16, v55
	s_waitcnt vmcnt(6)
	v_lshlrev_b32_e32 v35, 16, v60
	v_and_b32_e32 v44, 0xffff0000, v60
	v_mul_f32_e32 v60, v65, v31
	global_load_dwordx2 v[31:32], v[23:24], off offset:512
	v_and_b32_e32 v53, 0xffff0000, v55
	v_lshlrev_b32_e32 v54, 16, v61
	v_and_b32_e32 v55, 0xffff0000, v61
	v_mul_f32_e32 v61, v89, v33
	v_mul_f32_e32 v65, v66, v34
	global_load_dwordx2 v[33:34], v[23:24], off offset:768
	v_fmac_f32_e32 v60, v39, v35
	global_load_dwordx2 v[35:36], v[23:24], off offset:1024
	v_fmac_f32_e32 v61, v87, v44
	s_clause 0x1
	global_load_dwordx2 v[44:45], v[23:24], off offset:1280
	global_load_dwordx2 v[23:24], v[23:24], off offset:1536
	v_mul_f32_e32 v39, v90, v53
	s_waitcnt lgkmcnt(0)
	v_lshlrev_b32_e32 v53, 16, v62
	v_fmac_f32_e32 v65, v64, v54
	v_and_b32_e32 v54, 0xffff0000, v62
	v_lshlrev_b32_e32 v62, 16, v56
	v_fmac_f32_e32 v39, v88, v55
	v_and_b32_e32 v55, 0xffff0000, v56
	v_lshlrev_b32_e32 v56, 16, v57
	v_lshlrev_b32_e32 v64, 16, v58
	v_fmac_f32_e32 v60, v67, v62
	v_and_b32_e32 v58, 0xffff0000, v58
	v_fmac_f32_e32 v61, v91, v55
	v_and_b32_e32 v57, 0xffff0000, v57
	v_lshlrev_b32_e32 v62, 16, v59
	s_waitcnt vmcnt(10)
	v_lshlrev_b32_e32 v66, 16, v17
	v_and_b32_e32 v17, 0xffff0000, v17
	v_fmac_f32_e32 v65, v68, v56
	v_fmac_f32_e32 v60, v69, v64
	v_fmac_f32_e32 v61, v93, v58
	v_and_b32_e32 v59, 0xffff0000, v59
	v_lshlrev_b32_e32 v55, 16, v18
	s_waitcnt vmcnt(9)
	v_lshlrev_b32_e32 v67, 16, v19
	v_and_b32_e32 v19, 0xffff0000, v19
	v_fmac_f32_e32 v39, v92, v57
	v_fmac_f32_e32 v65, v70, v62
	v_fmac_f32_e32 v60, v71, v66
	v_fmac_f32_e32 v61, v95, v17
	v_and_b32_e32 v18, 0xffff0000, v18
	v_lshlrev_b32_e32 v56, 16, v20
	s_waitcnt vmcnt(8)
	v_lshlrev_b32_e32 v68, 16, v21
	v_and_b32_e32 v21, 0xffff0000, v21
	v_fmac_f32_e32 v39, v94, v59
	v_fmac_f32_e32 v65, v72, v55
	v_fmac_f32_e32 v60, v73, v67
	v_fmac_f32_e32 v61, v97, v19
	v_and_b32_e32 v20, 0xffff0000, v20
	v_lshlrev_b32_e32 v57, 16, v22
	s_waitcnt vmcnt(7)
	v_lshlrev_b32_e32 v87, 16, v25
	v_and_b32_e32 v25, 0xffff0000, v25
	v_fmac_f32_e32 v39, v96, v18
	v_fmac_f32_e32 v65, v74, v56
	v_fmac_f32_e32 v60, v75, v68
	v_fmac_f32_e32 v61, v99, v21
	v_and_b32_e32 v22, 0xffff0000, v22
	v_lshlrev_b32_e32 v64, 16, v26
	s_waitcnt vmcnt(6)
	v_lshlrev_b32_e32 v69, 16, v27
	v_and_b32_e32 v27, 0xffff0000, v27
	v_fmac_f32_e32 v39, v98, v20
	v_fmac_f32_e32 v65, v76, v57
	v_fmac_f32_e32 v60, v77, v87
	v_fmac_f32_e32 v61, v101, v25
	v_and_b32_e32 v26, 0xffff0000, v26
	v_lshlrev_b32_e32 v58, 16, v28
	s_waitcnt vmcnt(5)
	v_lshlrev_b32_e32 v88, 16, v29
	v_and_b32_e32 v29, 0xffff0000, v29
	v_fmac_f32_e32 v39, v100, v22
	v_fmac_f32_e32 v65, v78, v64
	v_fmac_f32_e32 v60, v79, v69
	;; [unrolled: 1-line block ×3, first 2 shown]
	v_and_b32_e32 v28, 0xffff0000, v28
	v_lshlrev_b32_e32 v62, 16, v30
	v_fmac_f32_e32 v39, v102, v26
	v_fmac_f32_e32 v65, v80, v58
	;; [unrolled: 1-line block ×4, first 2 shown]
	v_and_b32_e32 v30, 0xffff0000, v30
	v_fmac_f32_e32 v39, v104, v28
	v_fmac_f32_e32 v65, v82, v62
	v_lshlrev_b32_e32 v71, 16, v63
	v_fmac_f32_e32 v39, v106, v30
	s_waitcnt vmcnt(4)
	v_lshlrev_b32_e32 v70, 16, v31
	v_and_b32_e32 v31, 0xffff0000, v31
	v_lshlrev_b32_e32 v59, 16, v32
	v_and_b32_e32 v32, 0xffff0000, v32
	v_fmac_f32_e32 v60, v83, v70
	s_waitcnt vmcnt(3)
	v_lshlrev_b32_e32 v89, 16, v33
	v_and_b32_e32 v33, 0xffff0000, v33
	v_fmac_f32_e32 v61, v107, v31
	v_lshlrev_b32_e32 v66, 16, v34
	s_waitcnt vmcnt(2)
	v_lshlrev_b32_e32 v17, 16, v35
	v_and_b32_e32 v35, 0xffff0000, v35
	v_fmac_f32_e32 v65, v84, v59
	v_fmac_f32_e32 v60, v85, v89
	;; [unrolled: 1-line block ×3, first 2 shown]
	v_and_b32_e32 v34, 0xffff0000, v34
	v_lshlrev_b32_e32 v18, 16, v36
	s_waitcnt vmcnt(1)
	v_lshlrev_b32_e32 v20, 16, v44
	v_and_b32_e32 v21, 0xffff0000, v44
	v_fmac_f32_e32 v39, v108, v32
	v_fmac_f32_e32 v65, v86, v66
	;; [unrolled: 1-line block ×4, first 2 shown]
	v_and_b32_e32 v19, 0xffff0000, v36
	v_lshlrev_b32_e32 v22, 16, v45
	s_waitcnt vmcnt(0)
	v_lshlrev_b32_e32 v26, 16, v23
	v_fmac_f32_e32 v39, v47, v34
	v_and_b32_e32 v17, 0xffff0000, v23
	v_fmac_f32_e32 v65, v110, v18
	v_fmac_f32_e32 v60, v20, v111
	;; [unrolled: 1-line block ×3, first 2 shown]
	v_and_b32_e32 v25, 0xffff0000, v45
	v_fmac_f32_e32 v39, v49, v19
	v_lshlrev_b32_e32 v18, 16, v24
	v_fmac_f32_e32 v65, v22, v52
	v_fmac_f32_e32 v60, v26, v53
	;; [unrolled: 1-line block ×4, first 2 shown]
	v_and_b32_e32 v17, 0xffff0000, v63
	v_and_b32_e32 v19, 0xffff0000, v24
	v_fmac_f32_e32 v65, v18, v71
	v_add_f32_e32 v18, v60, v61
	v_cndmask_b32_e64 v20, v4, v10, s2
	v_fmac_f32_e32 v39, v19, v17
	v_add_f32_e32 v17, v18, v65
	v_lshlrev_b32_e32 v18, 2, v20
	v_add_f32_e32 v17, v39, v17
	ds_bpermute_b32 v18, v18, v17
	s_and_saveexec_b32 s44, vcc_lo
	s_cbranch_execz .LBB158_11
; %bb.19:                               ;   in Loop: Header=BB158_13 Depth=1
	v_add_nc_u32_e32 v19, v11, v8
	s_waitcnt lgkmcnt(0)
	v_add_f32_e32 v17, v17, v18
	v_cvt_f32_i32_e32 v19, v19
	v_mul_f32_e32 v19, s40, v19
	v_cndmask_b32_e64 v18, 0, v19, s1
	v_max_f32_e32 v19, v5, v5
	v_fmac_f32_e32 v18, s37, v17
	v_add_nc_u32_e32 v17, v6, v8
	v_max_f32_e32 v19, v19, v18
	v_cmp_gt_i32_e64 s2, s27, v17
	v_cndmask_b32_e64 v17, 0, v18, s2
	v_cndmask_b32_e64 v5, v5, v19, s2
	ds_write_b32 v12, v17
	s_branch .LBB158_11
.LBB158_20:
	s_or_b32 exec_lo, exec_lo, s15
.LBB158_21:
	s_or_b32 exec_lo, exec_lo, s42
	v_xor_b32_e32 v1, 16, v4
	v_xor_b32_e32 v2, 8, v4
	v_lshlrev_b32_e32 v9, 2, v42
	v_cmp_gt_i32_e32 vcc_lo, 32, v1
	v_cndmask_b32_e32 v1, v4, v1, vcc_lo
	v_cmp_gt_i32_e32 vcc_lo, 32, v2
	v_lshlrev_b32_e32 v6, 2, v1
	v_cndmask_b32_e32 v2, v4, v2, vcc_lo
	ds_bpermute_b32 v1, v6, v5
	v_max_f32_e32 v5, v5, v5
	v_lshlrev_b32_e32 v7, 2, v2
	s_waitcnt lgkmcnt(0)
	v_max_f32_e32 v1, v1, v1
	v_max_f32_e32 v1, v5, v1
	v_xor_b32_e32 v5, 4, v4
	ds_bpermute_b32 v2, v7, v1
	v_cmp_gt_i32_e32 vcc_lo, 32, v5
	v_cndmask_b32_e32 v5, v4, v5, vcc_lo
	v_lshlrev_b32_e32 v8, 2, v5
	v_xor_b32_e32 v5, 2, v4
	v_cmp_gt_i32_e32 vcc_lo, 32, v5
	s_waitcnt lgkmcnt(0)
	v_max_f32_e32 v2, v2, v2
	v_cndmask_b32_e32 v5, v4, v5, vcc_lo
	v_max_f32_e32 v1, v1, v2
	v_lshlrev_b32_e32 v5, 2, v5
	ds_bpermute_b32 v2, v8, v1
	s_waitcnt lgkmcnt(0)
	v_max_f32_e32 v2, v2, v2
	v_max_f32_e32 v2, v1, v2
	v_and_b32_e32 v1, 31, v0
	ds_bpermute_b32 v10, v5, v2
	v_cmp_eq_u32_e32 vcc_lo, 0, v1
	s_and_saveexec_b32 s1, vcc_lo
	s_cbranch_execz .LBB158_23
; %bb.22:
	s_waitcnt lgkmcnt(0)
	v_max_f32_e32 v10, v10, v10
	v_max_f32_e32 v2, v2, v2
	;; [unrolled: 1-line block ×3, first 2 shown]
	ds_write_b32 v9, v2 offset:240
.LBB158_23:
	s_or_b32 exec_lo, exec_lo, s1
	v_cmp_gt_u32_e64 s1, 4, v1
	v_mov_b32_e32 v2, 0xff7fffff
	s_waitcnt lgkmcnt(0)
	v_lshlrev_b32_e32 v10, 2, v1
	s_barrier
	buffer_gl0_inv
	s_and_saveexec_b32 s2, s1
; %bb.24:
	ds_read_b32 v2, v10 offset:240
; %bb.25:
	s_or_b32 exec_lo, exec_lo, s2
	s_waitcnt lgkmcnt(0)
	ds_bpermute_b32 v11, v5, v2
	v_xor_b32_e32 v12, 1, v4
	v_max_f32_e32 v2, v2, v2
	v_cmp_gt_i32_e64 s2, 32, v12
	v_cndmask_b32_e64 v4, v4, v12, s2
	s_sub_i32 s2, s16, s41
	s_lshl_b32 s2, s2, 4
	v_lshlrev_b32_e32 v45, 2, v4
	s_add_i32 s2, s2, s38
	s_min_i32 s2, s2, s27
	s_waitcnt lgkmcnt(0)
	v_max_f32_e32 v11, v11, v11
	s_sub_i32 s4, s2, s38
	v_cmp_gt_i32_e64 s2, s4, v0
	v_max_f32_e32 v2, v2, v11
	v_mov_b32_e32 v11, 0
	ds_bpermute_b32 v4, v45, v2
	s_waitcnt lgkmcnt(0)
	v_max_f32_e32 v4, v4, v4
	v_max_f32_e32 v2, v2, v4
	v_lshl_add_u32 v4, v0, 2, 0x110
	ds_bpermute_b32 v2, v11, v2
	s_and_saveexec_b32 s5, s2
	s_cbranch_execz .LBB158_29
; %bb.26:
	v_lshl_add_u32 v12, v0, 2, 0x110
	v_mov_b32_e32 v11, 0
	v_mov_b32_e32 v13, v0
	s_mov_b32 s15, 0
	.p2align	6
.LBB158_27:                             ; =>This Inner Loop Header: Depth=1
	ds_read_b32 v14, v12
	v_add_nc_u32_e32 v13, 0x80, v13
	v_cmp_le_i32_e64 s3, s4, v13
	s_or_b32 s15, s3, s15
	s_waitcnt lgkmcnt(0)
	v_sub_f32_e32 v14, v14, v2
	v_mul_f32_e32 v14, 0x3fb8aa3b, v14
	v_exp_f32_e32 v14, v14
	ds_write_b32 v12, v14
	v_add_f32_e32 v11, v11, v14
	v_add_nc_u32_e32 v12, 0x200, v12
	s_andn2_b32 exec_lo, exec_lo, s15
	s_cbranch_execnz .LBB158_27
; %bb.28:
	s_or_b32 exec_lo, exec_lo, s15
.LBB158_29:
	s_or_b32 exec_lo, exec_lo, s5
	ds_bpermute_b32 v6, v6, v11
	s_waitcnt lgkmcnt(0)
	v_add_f32_e32 v6, v11, v6
	ds_bpermute_b32 v7, v7, v6
	s_waitcnt lgkmcnt(0)
	v_add_f32_e32 v6, v6, v7
	ds_bpermute_b32 v7, v8, v6
	s_waitcnt lgkmcnt(0)
	v_add_f32_e32 v6, v6, v7
	ds_bpermute_b32 v7, v5, v6
	s_waitcnt lgkmcnt(0)
	v_add_f32_e32 v6, v6, v7
	ds_bpermute_b32 v7, v45, v6
	s_waitcnt lgkmcnt(0)
	v_add_f32_e32 v6, v6, v7
	s_and_saveexec_b32 s3, vcc_lo
; %bb.30:
	ds_write_b32 v9, v6 offset:256
; %bb.31:
	s_or_b32 exec_lo, exec_lo, s3
	s_waitcnt lgkmcnt(0)
	s_barrier
	buffer_gl0_inv
	s_and_saveexec_b32 s3, s1
; %bb.32:
	ds_read_b32 v6, v10 offset:256
; %bb.33:
	s_or_b32 exec_lo, exec_lo, s3
	s_waitcnt lgkmcnt(0)
	ds_bpermute_b32 v5, v5, v6
	s_waitcnt lgkmcnt(0)
	v_add_f32_e32 v5, v6, v5
	ds_bpermute_b32 v6, v45, v5
	s_waitcnt lgkmcnt(0)
	v_add_f32_e32 v5, v5, v6
	v_mov_b32_e32 v6, 0
	ds_bpermute_b32 v5, v6, v5
	s_and_saveexec_b32 s1, s2
	s_cbranch_execz .LBB158_36
; %bb.34:
	s_waitcnt lgkmcnt(0)
	v_add_f32_e32 v6, 0x358637bd, v5
	s_mov_b32 s2, 0
	v_div_scale_f32 v7, null, v6, v6, 1.0
	v_div_scale_f32 v10, vcc_lo, 1.0, v6, 1.0
	v_rcp_f32_e32 v8, v7
	v_fma_f32 v9, -v7, v8, 1.0
	v_fmac_f32_e32 v8, v9, v8
	v_mul_f32_e32 v9, v10, v8
	v_fma_f32 v11, -v7, v9, v10
	v_fmac_f32_e32 v9, v11, v8
	v_fma_f32 v7, -v7, v9, v10
	v_div_fmas_f32 v7, v7, v8, v9
	v_div_fixup_f32 v6, v7, v6, 1.0
	v_mov_b32_e32 v7, v0
.LBB158_35:                             ; =>This Inner Loop Header: Depth=1
	ds_read_b32 v8, v4
	v_add_nc_u32_e32 v7, 0x80, v7
	v_cmp_le_i32_e32 vcc_lo, s4, v7
	s_or_b32 s2, vcc_lo, s2
	s_waitcnt lgkmcnt(0)
	v_mul_f32_e32 v8, v6, v8
	ds_write_b32 v4, v8
	v_add_nc_u32_e32 v4, 0x200, v4
	s_andn2_b32 exec_lo, exec_lo, s2
	s_cbranch_execnz .LBB158_35
.LBB158_36:
	s_or_b32 exec_lo, exec_lo, s1
	s_mul_i32 s1, s7, s26
	s_waitcnt lgkmcnt(0)
	s_mul_i32 s4, s1, s9
	s_mov_b32 s1, exec_lo
	s_barrier
	buffer_gl0_inv
	v_cmpx_eq_u32_e32 0, v0
	s_cbranch_execz .LBB158_38
; %bb.37:
	s_ashr_i32 s5, s4, 31
	s_mul_i32 s40, s7, s6
	s_lshl_b64 s[2:3], s[4:5], 2
	v_mov_b32_e32 v4, 0
	s_add_u32 s5, s22, s2
	s_addc_u32 s6, s23, s3
	s_ashr_i32 s41, s40, 31
	s_lshl_b64 s[22:23], s[40:41], 2
	s_add_u32 s5, s5, s22
	s_addc_u32 s6, s6, s23
	s_ashr_i32 s9, s8, 31
	s_lshl_b64 s[40:41], s[8:9], 2
	s_add_u32 s42, s5, s40
	s_addc_u32 s43, s6, s41
	s_add_u32 s2, s20, s2
	s_addc_u32 s3, s21, s3
	;; [unrolled: 2-line block ×4, first 2 shown]
	global_store_dword v4, v2, s[42:43]
	global_store_dword v4, v5, s[2:3]
.LBB158_38:
	s_or_b32 exec_lo, exec_lo, s1
	v_lshrrev_b32_e32 v44, 1, v1
	s_and_saveexec_b32 s1, s0
	s_xor_b32 s0, exec_lo, s1
; %bb.39:
	v_lshrrev_b32_e32 v44, 1, v1
                                        ; implicit-def: $vgpr43
                                        ; implicit-def: $vgpr37
                                        ; implicit-def: $vgpr3
; %bb.40:
	s_or_saveexec_b32 s5, s0
	v_mov_b32_e32 v53, 0
	v_mov_b32_e32 v52, 0
	;; [unrolled: 1-line block ×8, first 2 shown]
	s_xor_b32 exec_lo, exec_lo, s5
	s_cbranch_execz .LBB158_64
; %bb.41:
	s_ashr_i32 s15, s14, 31
	s_sub_i32 s6, s39, s17
	s_lshl_b64 s[0:1], s[14:15], 1
	v_and_b32_e32 v54, 8, v3
	s_add_u32 s9, s34, s0
	s_addc_u32 s14, s35, s1
	s_abs_i32 s15, s18
	v_or_b32_e32 v3, 0x70, v44
	v_cvt_f32_u32_e32 v1, s15
	s_sub_i32 s0, 0, s15
	v_lshlrev_b32_e32 v5, 5, v41
	s_lshl_b64 s[2:3], s[30:31], 2
	s_add_i32 s17, s36, -1
	v_rcp_iflag_f32_e32 v4, v1
	v_lshlrev_b64 v[1:2], 2, v[37:38]
	v_lshl_or_b32 v7, v44, 4, v54
	v_lshl_or_b32 v5, v42, 6, v5
	s_add_u32 s1, s28, s2
	s_addc_u32 s2, s29, s3
	v_mov_b32_e32 v55, 0
	v_add_co_u32 v38, vcc_lo, s1, v1
	v_mov_b32_e32 v46, 0
	v_mul_f32_e32 v4, 0x4f7ffffe, v4
	v_mov_b32_e32 v47, 0
	v_mov_b32_e32 v48, 0
	;; [unrolled: 1-line block ×4, first 2 shown]
	v_cvt_u32_f32_e32 v4, v4
	v_mov_b32_e32 v51, 0
	v_mov_b32_e32 v52, 0
	v_add_nc_u32_e32 v56, 0x110, v5
	v_lshlrev_b32_e32 v57, 1, v7
	v_mul_lo_u32 v6, s0, v4
	v_cmp_gt_u32_e64 s0, 0x78, v3
	v_lshl_or_b32 v3, v3, 4, v54
	v_add_co_ci_u32_e64 v39, null, s2, v2, vcc_lo
	v_mov_b32_e32 v53, 0
	s_mov_b32 s20, s27
	v_lshlrev_b32_e32 v58, 1, v3
	v_mul_hi_u32 v6, v4, v6
	s_mov_b32 s18, 0
	v_add_nc_u32_e32 v59, v4, v6
	s_branch .LBB158_45
.LBB158_42:                             ;   in Loop: Header=BB158_45 Depth=1
	s_or_b32 exec_lo, exec_lo, s22
	s_waitcnt vmcnt(0)
	v_lshlrev_b32_e32 v31, 16, v25
	v_lshlrev_b32_e32 v60, 16, v29
	v_and_b32_e32 v25, 0xffff0000, v25
	v_and_b32_e32 v61, 0xffff0000, v29
	v_lshlrev_b32_e32 v62, 16, v26
	v_and_b32_e32 v26, 0xffff0000, v26
	v_mul_f32_e32 v31, v60, v31
	v_lshlrev_b32_e32 v60, 16, v63
	v_and_b32_e32 v64, 0xffff0000, v63
	v_mul_f32_e32 v25, v61, v25
	v_and_b32_e32 v68, 0xffff0000, v32
	v_bfe_u32 v61, v31, 16, 1
	v_mul_f32_e32 v60, v60, v62
	v_mul_f32_e32 v26, v64, v26
	v_bfe_u32 v62, v25, 16, 1
	v_or_b32_e32 v64, 0x400000, v31
	v_add3_u32 v61, v61, v31, 0x7fff
	v_cmp_u_f32_e32 vcc_lo, v31, v31
	v_or_b32_e32 v65, 0x400000, v25
	v_bfe_u32 v66, v60, 16, 1
	v_add3_u32 v62, v62, v25, 0x7fff
	v_lshlrev_b32_e32 v67, 16, v32
	v_cndmask_b32_e32 v31, v61, v64, vcc_lo
	v_lshlrev_b32_e32 v61, 16, v27
	v_lshlrev_b32_e32 v64, 16, v30
	v_cmp_u_f32_e32 vcc_lo, v25, v25
	v_and_b32_e32 v27, 0xffff0000, v27
	v_and_b32_e32 v31, 0xffff0000, v31
	v_mul_f32_e32 v61, v64, v61
	v_cndmask_b32_e32 v25, v62, v65, vcc_lo
	v_add3_u32 v62, v66, v60, 0x7fff
	v_or_b32_e32 v65, 0x400000, v60
	v_bfe_u32 v66, v26, 16, 1
	v_and_b32_e32 v64, 0xffff0000, v30
	v_cmp_u_f32_e32 vcc_lo, v60, v60
	v_and_b32_e32 v25, 0xffff0000, v25
	v_mul_f32_e32 v27, v64, v27
	v_cndmask_b32_e32 v60, v62, v65, vcc_lo
	v_add3_u32 v62, v66, v26, 0x7fff
	v_or_b32_e32 v65, 0x400000, v26
	v_bfe_u32 v66, v61, 16, 1
	v_lshlrev_b32_e32 v64, 16, v28
	v_and_b32_e32 v28, 0xffff0000, v28
	v_cmp_u_f32_e32 vcc_lo, v26, v26
	v_and_b32_e32 v60, 0xffff0000, v60
	v_add_f32_e32 v25, v31, v25
	v_mul_f32_e32 v64, v67, v64
	v_mul_f32_e32 v28, v68, v28
	v_cndmask_b32_e32 v26, v62, v65, vcc_lo
	v_bfe_u32 v62, v27, 16, 1
	v_add3_u32 v65, v66, v61, 0x7fff
	v_or_b32_e32 v66, 0x400000, v61
	v_cmp_u_f32_e32 vcc_lo, v61, v61
	v_or_b32_e32 v67, 0x400000, v27
	v_add3_u32 v62, v62, v27, 0x7fff
	v_bfe_u32 v69, v28, 16, 1
	v_bfe_u32 v68, v64, 16, 1
	v_cndmask_b32_e32 v61, v65, v66, vcc_lo
	v_cmp_u_f32_e32 vcc_lo, v27, v27
	v_or_b32_e32 v66, 0x400000, v28
	v_add3_u32 v65, v69, v28, 0x7fff
	v_and_b32_e32 v26, 0xffff0000, v26
	v_and_b32_e32 v31, 0xffff0000, v61
	v_cndmask_b32_e32 v27, v62, v67, vcc_lo
	v_cmp_u_f32_e32 vcc_lo, v28, v28
	v_add3_u32 v62, v68, v64, 0x7fff
	v_or_b32_e32 v67, 0x400000, v64
	v_add_f32_e32 v26, v60, v26
	v_and_b32_e32 v27, 0xffff0000, v27
	v_cndmask_b32_e32 v28, v65, v66, vcc_lo
	v_cmp_u_f32_e32 vcc_lo, v64, v64
	v_add_f32_e32 v25, v26, v25
	v_add_f32_e32 v26, v31, v27
	v_and_b32_e32 v27, 0xffff0000, v28
	v_cndmask_b32_e32 v60, v62, v67, vcc_lo
	v_add_f32_e32 v25, v26, v25
	v_and_b32_e32 v28, 0xffff0000, v60
	v_add_f32_e32 v26, v28, v27
	v_add_f32_e32 v25, v26, v25
	;; [unrolled: 1-line block ×3, first 2 shown]
.LBB158_43:                             ;   in Loop: Header=BB158_45 Depth=1
	s_or_b32 exec_lo, exec_lo, s3
	s_waitcnt vmcnt(0)
	v_and_b32_e32 v25, 0xffff0000, v33
	v_and_b32_e32 v31, 0xffff0000, v29
	v_lshlrev_b32_e32 v26, 16, v33
	v_lshlrev_b32_e32 v29, 16, v29
	v_and_b32_e32 v28, 0xffff0000, v34
	v_and_b32_e32 v27, 0xffff0000, v63
	v_mul_f32_e32 v33, v31, v25
	v_lshlrev_b32_e32 v34, 16, v34
	v_mul_f32_e32 v60, v29, v26
	v_lshlrev_b32_e32 v26, 16, v63
	v_mul_f32_e32 v28, v27, v28
	v_bfe_u32 v61, v33, 16, 1
	v_or_b32_e32 v64, 0x400000, v33
	v_bfe_u32 v63, v60, 16, 1
	v_cmp_u_f32_e32 vcc_lo, v33, v33
	v_and_b32_e32 v62, 0xffff0000, v35
	v_add3_u32 v61, v61, v33, 0x7fff
	v_and_b32_e32 v25, 0xffff0000, v30
	v_or_b32_e32 v65, 0x400000, v60
	v_add3_u32 v63, v63, v60, 0x7fff
	v_mul_f32_e32 v34, v26, v34
	v_cndmask_b32_e32 v33, v61, v64, vcc_lo
	v_bfe_u32 v61, v28, 16, 1
	v_cmp_u_f32_e32 vcc_lo, v60, v60
	v_mul_f32_e32 v62, v25, v62
	v_bfe_u32 v64, v34, 16, 1
	v_lshlrev_b32_e32 v35, 16, v35
	v_add3_u32 v61, v61, v28, 0x7fff
	v_cndmask_b32_e32 v60, v63, v65, vcc_lo
	v_or_b32_e32 v63, 0x400000, v28
	v_lshlrev_b32_e32 v30, 16, v30
	v_cmp_u_f32_e32 vcc_lo, v28, v28
	v_bfe_u32 v65, v62, 16, 1
	v_and_b32_e32 v66, 0xffff0000, v36
	v_and_b32_e32 v28, 0xffff0000, v32
	v_mul_f32_e32 v35, v30, v35
	v_cndmask_b32_e32 v61, v61, v63, vcc_lo
	v_add3_u32 v63, v64, v34, 0x7fff
	v_or_b32_e32 v64, 0x400000, v34
	v_cmp_u_f32_e32 vcc_lo, v34, v34
	v_add3_u32 v65, v65, v62, 0x7fff
	v_or_b32_e32 v67, 0x400000, v62
	v_bfe_u32 v68, v35, 16, 1
	v_lshlrev_b32_e32 v36, 16, v36
	v_cndmask_b32_e32 v34, v63, v64, vcc_lo
	v_cmp_u_f32_e32 vcc_lo, v62, v62
	v_mul_f32_e32 v63, v28, v66
	v_add3_u32 v64, v68, v35, 0x7fff
	v_lshlrev_b32_e32 v32, 16, v32
	v_and_b32_e32 v60, 0xffff0000, v60
	v_cndmask_b32_e32 v62, v65, v67, vcc_lo
	v_or_b32_e32 v65, 0x400000, v35
	v_cmp_u_f32_e32 vcc_lo, v35, v35
	v_bfe_u32 v66, v63, 16, 1
	v_and_b32_e32 v33, 0xffff0000, v33
	v_and_b32_e32 v34, 0xffff0000, v34
	;; [unrolled: 1-line block ×3, first 2 shown]
	v_cndmask_b32_e32 v35, v64, v65, vcc_lo
	v_add3_u32 v64, v66, v63, 0x7fff
	v_or_b32_e32 v65, 0x400000, v63
	v_mul_f32_e32 v36, v32, v36
	v_cmp_u_f32_e32 vcc_lo, v63, v63
	v_add_f32_e32 v33, v60, v33
	v_add_f32_e32 v34, v34, v61
	v_and_b32_e32 v35, 0xffff0000, v35
	v_and_b32_e32 v60, 0xffff0000, v21
	;; [unrolled: 1-line block ×3, first 2 shown]
	v_cndmask_b32_e32 v63, v64, v65, vcc_lo
	v_bfe_u32 v64, v36, 16, 1
	v_add_f32_e32 v33, v34, v33
	v_mul_f32_e32 v34, v31, v60
	v_add_f32_e32 v35, v35, v61
	v_lshlrev_b32_e32 v21, 16, v21
	v_add3_u32 v62, v64, v36, 0x7fff
	v_or_b32_e32 v64, 0x400000, v36
	v_cmp_u_f32_e32 vcc_lo, v36, v36
	v_bfe_u32 v60, v34, 16, 1
	v_add_f32_e32 v33, v35, v33
	v_mul_f32_e32 v21, v29, v21
	v_and_b32_e32 v35, 0xffff0000, v22
	v_cndmask_b32_e32 v36, v62, v64, vcc_lo
	v_add3_u32 v60, v60, v34, 0x7fff
	v_or_b32_e32 v61, 0x400000, v34
	v_bfe_u32 v62, v21, 16, 1
	v_mul_f32_e32 v35, v27, v35
	v_lshlrev_b32_e32 v22, 16, v22
	v_cmp_u_f32_e32 vcc_lo, v34, v34
	v_and_b32_e32 v64, 0xffff0000, v23
	v_lshlrev_b32_e32 v23, 16, v23
	v_and_b32_e32 v65, 0xffff0000, v24
	v_mul_f32_e32 v22, v26, v22
	v_cndmask_b32_e32 v34, v60, v61, vcc_lo
	v_add3_u32 v60, v62, v21, 0x7fff
	v_or_b32_e32 v61, 0x400000, v21
	v_bfe_u32 v62, v35, 16, 1
	v_cmp_u_f32_e32 vcc_lo, v21, v21
	v_mul_f32_e32 v64, v25, v64
	v_mul_f32_e32 v23, v30, v23
	v_lshlrev_b32_e32 v24, 16, v24
	v_and_b32_e32 v34, 0xffff0000, v34
	v_cndmask_b32_e32 v21, v60, v61, vcc_lo
	v_add3_u32 v60, v62, v35, 0x7fff
	v_or_b32_e32 v61, 0x400000, v35
	v_bfe_u32 v62, v22, 16, 1
	v_cmp_u_f32_e32 vcc_lo, v35, v35
	v_mul_f32_e32 v24, v32, v24
	v_or_b32_e32 v66, 0x400000, v23
	v_and_b32_e32 v21, 0xffff0000, v21
	v_and_b32_e32 v36, 0xffff0000, v36
	v_cndmask_b32_e32 v35, v60, v61, vcc_lo
	v_add3_u32 v60, v62, v22, 0x7fff
	v_or_b32_e32 v61, 0x400000, v22
	v_bfe_u32 v62, v64, 16, 1
	v_cmp_u_f32_e32 vcc_lo, v22, v22
	v_bfe_u32 v68, v24, 16, 1
	v_and_b32_e32 v35, 0xffff0000, v35
	v_add_f32_e32 v21, v21, v34
	v_cndmask_b32_e32 v22, v60, v61, vcc_lo
	v_bfe_u32 v60, v23, 16, 1
	v_add3_u32 v61, v62, v64, 0x7fff
	v_mul_f32_e32 v62, v28, v65
	v_or_b32_e32 v65, 0x400000, v64
	v_cmp_u_f32_e32 vcc_lo, v64, v64
	v_add3_u32 v60, v60, v23, 0x7fff
	v_add3_u32 v64, v68, v24, 0x7fff
	v_bfe_u32 v67, v62, 16, 1
	v_and_b32_e32 v22, 0xffff0000, v22
	v_cndmask_b32_e32 v61, v61, v65, vcc_lo
	v_cmp_u_f32_e32 vcc_lo, v23, v23
	v_or_b32_e32 v65, 0x400000, v24
	v_add_f32_e32 v22, v22, v35
	v_and_b32_e32 v34, 0xffff0000, v61
	v_cndmask_b32_e32 v23, v60, v66, vcc_lo
	v_cmp_u_f32_e32 vcc_lo, v24, v24
	v_add3_u32 v60, v67, v62, 0x7fff
	v_or_b32_e32 v66, 0x400000, v62
	v_add_f32_e32 v21, v22, v21
	v_and_b32_e32 v23, 0xffff0000, v23
	v_cndmask_b32_e32 v24, v64, v65, vcc_lo
	v_cmp_u_f32_e32 vcc_lo, v62, v62
	v_add_f32_e32 v22, v23, v34
	v_and_b32_e32 v23, 0xffff0000, v24
	v_cndmask_b32_e32 v35, v60, v66, vcc_lo
	v_and_b32_e32 v60, 0xffff0000, v63
	v_and_b32_e32 v34, 0xffff0000, v17
	v_lshlrev_b32_e32 v17, 16, v17
	v_add_f32_e32 v21, v22, v21
	v_and_b32_e32 v24, 0xffff0000, v35
	v_add_f32_e32 v35, v36, v60
	v_mul_f32_e32 v17, v29, v17
	v_add_f32_e32 v22, v23, v24
	v_mul_f32_e32 v23, v31, v34
	v_add_f32_e32 v24, v35, v33
	v_and_b32_e32 v33, 0xffff0000, v18
	v_lshlrev_b32_e32 v18, 16, v18
	v_add_f32_e32 v21, v22, v21
	v_bfe_u32 v22, v23, 16, 1
	v_add_f32_e32 v47, v47, v24
	v_bfe_u32 v24, v17, 16, 1
	v_mul_f32_e32 v33, v27, v33
	v_add_f32_e32 v48, v48, v21
	v_add3_u32 v21, v22, v23, 0x7fff
	v_or_b32_e32 v22, 0x400000, v23
	v_cmp_u_f32_e32 vcc_lo, v23, v23
	v_add3_u32 v24, v24, v17, 0x7fff
	v_or_b32_e32 v34, 0x400000, v17
	v_mul_f32_e32 v18, v26, v18
	v_and_b32_e32 v23, 0xffff0000, v19
	v_cndmask_b32_e32 v21, v21, v22, vcc_lo
	v_bfe_u32 v22, v33, 16, 1
	v_cmp_u_f32_e32 vcc_lo, v17, v17
	v_lshlrev_b32_e32 v19, 16, v19
	v_mul_f32_e32 v23, v25, v23
	v_and_b32_e32 v35, 0xffff0000, v20
	v_add3_u32 v22, v22, v33, 0x7fff
	v_cndmask_b32_e32 v17, v24, v34, vcc_lo
	v_or_b32_e32 v24, 0x400000, v33
	v_bfe_u32 v34, v18, 16, 1
	v_cmp_u_f32_e32 vcc_lo, v33, v33
	v_mul_f32_e32 v19, v30, v19
	v_or_b32_e32 v33, 0x400000, v18
	v_lshlrev_b32_e32 v20, 16, v20
	v_and_b32_e32 v17, 0xffff0000, v17
	v_cndmask_b32_e32 v22, v22, v24, vcc_lo
	v_add3_u32 v24, v34, v18, 0x7fff
	v_bfe_u32 v34, v23, 16, 1
	v_cmp_u_f32_e32 vcc_lo, v18, v18
	v_bfe_u32 v36, v19, 16, 1
	v_mul_f32_e32 v20, v32, v20
	v_and_b32_e32 v21, 0xffff0000, v21
	v_and_b32_e32 v22, 0xffff0000, v22
	v_cndmask_b32_e32 v18, v24, v33, vcc_lo
	v_add3_u32 v24, v34, v23, 0x7fff
	v_mul_f32_e32 v33, v28, v35
	v_or_b32_e32 v34, 0x400000, v23
	v_cmp_u_f32_e32 vcc_lo, v23, v23
	v_add3_u32 v35, v36, v19, 0x7fff
	v_or_b32_e32 v36, 0x400000, v19
	v_bfe_u32 v60, v33, 16, 1
	v_and_b32_e32 v18, 0xffff0000, v18
	v_cndmask_b32_e32 v23, v24, v34, vcc_lo
	v_cmp_u_f32_e32 vcc_lo, v19, v19
	v_or_b32_e32 v34, 0x400000, v33
	v_add3_u32 v24, v60, v33, 0x7fff
	v_add_f32_e32 v17, v17, v21
	v_add_f32_e32 v18, v18, v22
	v_cndmask_b32_e32 v19, v35, v36, vcc_lo
	v_bfe_u32 v35, v20, 16, 1
	v_cmp_u_f32_e32 vcc_lo, v33, v33
	v_and_b32_e32 v22, 0xffff0000, v13
	v_and_b32_e32 v21, 0xffff0000, v23
	;; [unrolled: 1-line block ×3, first 2 shown]
	v_add3_u32 v33, v35, v20, 0x7fff
	v_cndmask_b32_e32 v24, v24, v34, vcc_lo
	v_or_b32_e32 v34, 0x400000, v20
	v_cmp_u_f32_e32 vcc_lo, v20, v20
	v_lshlrev_b32_e32 v13, 16, v13
	v_add_f32_e32 v17, v18, v17
	v_mul_f32_e32 v18, v31, v22
	v_add_f32_e32 v19, v19, v21
	v_cndmask_b32_e32 v20, v33, v34, vcc_lo
	v_mul_f32_e32 v21, v29, v13
	v_and_b32_e32 v22, 0xffff0000, v24
	v_bfe_u32 v23, v18, 16, 1
	v_and_b32_e32 v24, 0xffff0000, v14
	v_and_b32_e32 v20, 0xffff0000, v20
	v_add_f32_e32 v13, v19, v17
	v_bfe_u32 v19, v21, 16, 1
	v_lshlrev_b32_e32 v14, 16, v14
	v_cmp_u_f32_e32 vcc_lo, v18, v18
	v_add_f32_e32 v17, v20, v22
	v_add3_u32 v20, v23, v18, 0x7fff
	v_or_b32_e32 v22, 0x400000, v18
	v_mul_f32_e32 v23, v27, v24
	v_add3_u32 v19, v19, v21, 0x7fff
	v_or_b32_e32 v24, 0x400000, v21
	v_mul_f32_e32 v14, v26, v14
	v_cndmask_b32_e32 v18, v20, v22, vcc_lo
	v_bfe_u32 v20, v23, 16, 1
	v_cmp_u_f32_e32 vcc_lo, v21, v21
	v_and_b32_e32 v21, 0xffff0000, v15
	v_or_b32_e32 v22, 0x400000, v23
	v_lshlrev_b32_e32 v15, 16, v15
	v_add3_u32 v20, v20, v23, 0x7fff
	v_cndmask_b32_e32 v19, v19, v24, vcc_lo
	v_bfe_u32 v24, v14, 16, 1
	v_mul_f32_e32 v21, v25, v21
	v_cmp_u_f32_e32 vcc_lo, v23, v23
	v_mul_f32_e32 v15, v30, v15
	v_or_b32_e32 v23, 0x400000, v14
	v_and_b32_e32 v33, 0xffff0000, v16
	v_lshlrev_b32_e32 v16, 16, v16
	v_cndmask_b32_e32 v20, v20, v22, vcc_lo
	v_add3_u32 v22, v24, v14, 0x7fff
	v_bfe_u32 v24, v21, 16, 1
	v_cmp_u_f32_e32 vcc_lo, v14, v14
	v_bfe_u32 v34, v15, 16, 1
	v_mul_f32_e32 v16, v32, v16
	v_and_b32_e32 v19, 0xffff0000, v19
	v_and_b32_e32 v18, 0xffff0000, v18
	v_cndmask_b32_e32 v14, v22, v23, vcc_lo
	v_add3_u32 v22, v24, v21, 0x7fff
	v_mul_f32_e32 v23, v28, v33
	v_or_b32_e32 v24, 0x400000, v21
	v_cmp_u_f32_e32 vcc_lo, v21, v21
	v_add3_u32 v33, v34, v15, 0x7fff
	v_or_b32_e32 v34, 0x400000, v15
	v_bfe_u32 v35, v23, 16, 1
	v_and_b32_e32 v14, 0xffff0000, v14
	v_cndmask_b32_e32 v21, v22, v24, vcc_lo
	v_cmp_u_f32_e32 vcc_lo, v15, v15
	v_or_b32_e32 v24, 0x400000, v23
	v_add3_u32 v22, v35, v23, 0x7fff
	v_and_b32_e32 v20, 0xffff0000, v20
	v_add_f32_e32 v18, v19, v18
	v_cndmask_b32_e32 v15, v33, v34, vcc_lo
	v_bfe_u32 v33, v16, 16, 1
	v_cmp_u_f32_e32 vcc_lo, v23, v23
	v_add_f32_e32 v14, v14, v20
	v_and_b32_e32 v20, 0xffff0000, v9
	v_and_b32_e32 v15, 0xffff0000, v15
	v_add3_u32 v23, v33, v16, 0x7fff
	v_cndmask_b32_e32 v22, v22, v24, vcc_lo
	v_or_b32_e32 v24, 0x400000, v16
	v_cmp_u_f32_e32 vcc_lo, v16, v16
	v_and_b32_e32 v19, 0xffff0000, v21
	v_lshlrev_b32_e32 v9, 16, v9
	v_add_f32_e32 v14, v14, v18
	v_mul_f32_e32 v18, v31, v20
	v_cndmask_b32_e32 v16, v23, v24, vcc_lo
	v_add_f32_e32 v15, v15, v19
	v_mul_f32_e32 v19, v29, v9
	v_and_b32_e32 v20, 0xffff0000, v22
	v_and_b32_e32 v21, 0xffff0000, v10
	;; [unrolled: 1-line block ×3, first 2 shown]
	v_bfe_u32 v22, v18, 16, 1
	v_add_f32_e32 v9, v15, v14
	v_bfe_u32 v15, v19, 16, 1
	v_cmp_u_f32_e32 vcc_lo, v18, v18
	v_add_f32_e32 v14, v16, v20
	v_mul_f32_e32 v16, v27, v21
	v_add3_u32 v20, v22, v18, 0x7fff
	v_or_b32_e32 v21, 0x400000, v18
	v_add3_u32 v15, v15, v19, 0x7fff
	v_or_b32_e32 v22, 0x400000, v19
	v_bfe_u32 v23, v16, 16, 1
	v_lshlrev_b32_e32 v10, 16, v10
	v_cndmask_b32_e32 v18, v20, v21, vcc_lo
	v_cmp_u_f32_e32 vcc_lo, v19, v19
	v_or_b32_e32 v20, 0x400000, v16
	v_add3_u32 v19, v23, v16, 0x7fff
	v_mul_f32_e32 v10, v26, v10
	v_and_b32_e32 v21, 0xffff0000, v11
	v_cndmask_b32_e32 v15, v15, v22, vcc_lo
	v_cmp_u_f32_e32 vcc_lo, v16, v16
	v_lshlrev_b32_e32 v11, 16, v11
	v_bfe_u32 v22, v10, 16, 1
	v_and_b32_e32 v18, 0xffff0000, v18
	v_and_b32_e32 v15, 0xffff0000, v15
	v_cndmask_b32_e32 v16, v19, v20, vcc_lo
	v_mul_f32_e32 v19, v25, v21
	v_mul_f32_e32 v11, v30, v11
	v_add3_u32 v20, v22, v10, 0x7fff
	v_or_b32_e32 v21, 0x400000, v10
	v_and_b32_e32 v22, 0xffff0000, v12
	v_bfe_u32 v23, v19, 16, 1
	v_cmp_u_f32_e32 vcc_lo, v10, v10
	v_bfe_u32 v24, v11, 16, 1
	v_lshlrev_b32_e32 v12, 16, v12
	v_and_b32_e32 v16, 0xffff0000, v16
	v_add_f32_e32 v15, v15, v18
	v_cndmask_b32_e32 v10, v20, v21, vcc_lo
	v_mul_f32_e32 v20, v28, v22
	v_add3_u32 v21, v23, v19, 0x7fff
	v_or_b32_e32 v22, 0x400000, v19
	v_cmp_u_f32_e32 vcc_lo, v19, v19
	v_add3_u32 v23, v24, v11, 0x7fff
	v_or_b32_e32 v24, 0x400000, v11
	v_bfe_u32 v33, v20, 16, 1
	v_and_b32_e32 v10, 0xffff0000, v10
	v_cndmask_b32_e32 v19, v21, v22, vcc_lo
	v_cmp_u_f32_e32 vcc_lo, v11, v11
	v_or_b32_e32 v22, 0x400000, v20
	v_add3_u32 v21, v33, v20, 0x7fff
	v_mul_f32_e32 v12, v32, v12
	v_add_f32_e32 v10, v10, v16
	v_cndmask_b32_e32 v11, v23, v24, vcc_lo
	v_cmp_u_f32_e32 vcc_lo, v20, v20
	v_and_b32_e32 v16, 0xffff0000, v5
	v_and_b32_e32 v18, 0xffff0000, v19
	v_add_f32_e32 v10, v10, v15
	v_and_b32_e32 v11, 0xffff0000, v11
	v_cndmask_b32_e32 v20, v21, v22, vcc_lo
	v_bfe_u32 v21, v12, 16, 1
	v_mul_f32_e32 v15, v31, v16
	v_lshlrev_b32_e32 v5, 16, v5
	v_add_f32_e32 v11, v11, v18
	v_cmp_u_f32_e32 vcc_lo, v12, v12
	v_add3_u32 v19, v21, v12, 0x7fff
	v_or_b32_e32 v21, 0x400000, v12
	v_bfe_u32 v16, v15, 16, 1
	v_add_f32_e32 v10, v11, v10
	v_and_b32_e32 v11, 0xffff0000, v6
	v_mul_f32_e32 v5, v29, v5
	v_cndmask_b32_e32 v12, v19, v21, vcc_lo
	v_add3_u32 v16, v16, v15, 0x7fff
	v_or_b32_e32 v18, 0x400000, v15
	v_mul_f32_e32 v11, v27, v11
	v_and_b32_e32 v19, 0xffff0000, v20
	v_bfe_u32 v20, v5, 16, 1
	v_cmp_u_f32_e32 vcc_lo, v15, v15
	v_lshlrev_b32_e32 v6, 16, v6
	v_or_b32_e32 v21, 0x400000, v5
	v_or_b32_e32 v22, 0x400000, v11
	v_and_b32_e32 v12, 0xffff0000, v12
	v_cndmask_b32_e32 v15, v16, v18, vcc_lo
	v_bfe_u32 v16, v11, 16, 1
	v_add3_u32 v18, v20, v5, 0x7fff
	v_and_b32_e32 v20, 0xffff0000, v7
	v_mul_f32_e32 v6, v26, v6
	v_cmp_u_f32_e32 vcc_lo, v5, v5
	v_add3_u32 v16, v16, v11, 0x7fff
	v_lshlrev_b32_e32 v7, 16, v7
	v_mul_f32_e32 v20, v25, v20
	v_and_b32_e32 v15, 0xffff0000, v15
	v_cndmask_b32_e32 v5, v18, v21, vcc_lo
	v_bfe_u32 v18, v6, 16, 1
	v_cmp_u_f32_e32 vcc_lo, v11, v11
	v_and_b32_e32 v21, 0xffff0000, v8
	v_mul_f32_e32 v7, v30, v7
	v_or_b32_e32 v23, 0x400000, v20
	v_add3_u32 v18, v18, v6, 0x7fff
	v_cndmask_b32_e32 v11, v16, v22, vcc_lo
	v_bfe_u32 v16, v20, 16, 1
	v_or_b32_e32 v22, 0x400000, v6
	v_cmp_u_f32_e32 vcc_lo, v6, v6
	v_mul_f32_e32 v21, v28, v21
	v_lshlrev_b32_e32 v8, 16, v8
	v_add3_u32 v16, v16, v20, 0x7fff
	v_and_b32_e32 v5, 0xffff0000, v5
	v_cndmask_b32_e32 v6, v18, v22, vcc_lo
	v_bfe_u32 v18, v7, 16, 1
	v_cmp_u_f32_e32 vcc_lo, v20, v20
	v_bfe_u32 v22, v21, 16, 1
	v_or_b32_e32 v20, 0x400000, v7
	v_mul_f32_e32 v8, v32, v8
	v_add3_u32 v18, v18, v7, 0x7fff
	v_cndmask_b32_e32 v16, v16, v23, vcc_lo
	v_cmp_u_f32_e32 vcc_lo, v7, v7
	v_add3_u32 v22, v22, v21, 0x7fff
	v_or_b32_e32 v23, 0x400000, v21
	v_and_b32_e32 v6, 0xffff0000, v6
	v_and_b32_e32 v11, 0xffff0000, v11
	v_cndmask_b32_e32 v7, v18, v20, vcc_lo
	v_cmp_u_f32_e32 vcc_lo, v21, v21
	v_bfe_u32 v20, v8, 16, 1
	v_add_f32_e32 v5, v5, v15
	v_add_f32_e32 v6, v6, v11
	v_and_b32_e32 v7, 0xffff0000, v7
	v_cndmask_b32_e32 v18, v22, v23, vcc_lo
	v_and_b32_e32 v22, 0xffff0000, v1
	v_and_b32_e32 v11, 0xffff0000, v16
	v_lshlrev_b32_e32 v1, 16, v1
	v_add3_u32 v20, v20, v8, 0x7fff
	v_or_b32_e32 v21, 0x400000, v8
	v_mul_f32_e32 v15, v31, v22
	v_cmp_u_f32_e32 vcc_lo, v8, v8
	v_add_f32_e32 v5, v6, v5
	v_add_f32_e32 v7, v7, v11
	v_mul_f32_e32 v1, v29, v1
	v_bfe_u32 v6, v15, 16, 1
	v_and_b32_e32 v11, 0xffff0000, v2
	v_cndmask_b32_e32 v8, v20, v21, vcc_lo
	v_or_b32_e32 v16, 0x400000, v15
	v_bfe_u32 v20, v1, 16, 1
	v_add3_u32 v6, v6, v15, 0x7fff
	v_mul_f32_e32 v11, v27, v11
	v_lshlrev_b32_e32 v2, 16, v2
	v_cmp_u_f32_e32 vcc_lo, v15, v15
	v_add3_u32 v15, v20, v1, 0x7fff
	v_and_b32_e32 v21, 0xffff0000, v3
	v_bfe_u32 v20, v11, 16, 1
	v_mul_f32_e32 v2, v26, v2
	v_cndmask_b32_e32 v6, v6, v16, vcc_lo
	v_or_b32_e32 v16, 0x400000, v1
	v_cmp_u_f32_e32 vcc_lo, v1, v1
	v_mul_f32_e32 v21, v25, v21
	v_lshlrev_b32_e32 v3, 16, v3
	v_and_b32_e32 v22, 0xffff0000, v4
	v_lshlrev_b32_e32 v4, 16, v4
	v_cndmask_b32_e32 v1, v15, v16, vcc_lo
	v_add3_u32 v15, v20, v11, 0x7fff
	v_or_b32_e32 v16, 0x400000, v11
	v_bfe_u32 v20, v2, 16, 1
	v_cmp_u_f32_e32 vcc_lo, v11, v11
	v_mul_f32_e32 v3, v30, v3
	v_mul_f32_e32 v4, v32, v4
	v_and_b32_e32 v1, 0xffff0000, v1
	v_and_b32_e32 v6, 0xffff0000, v6
	v_cndmask_b32_e32 v11, v15, v16, vcc_lo
	v_add3_u32 v15, v20, v2, 0x7fff
	v_or_b32_e32 v16, 0x400000, v2
	v_bfe_u32 v20, v21, 16, 1
	v_cmp_u_f32_e32 vcc_lo, v2, v2
	v_or_b32_e32 v23, 0x400000, v3
	v_bfe_u32 v25, v4, 16, 1
	v_and_b32_e32 v11, 0xffff0000, v11
	v_add_f32_e32 v1, v1, v6
	v_cndmask_b32_e32 v2, v15, v16, vcc_lo
	v_bfe_u32 v15, v3, 16, 1
	v_add3_u32 v16, v20, v21, 0x7fff
	v_mul_f32_e32 v20, v28, v22
	v_or_b32_e32 v22, 0x400000, v21
	v_cmp_u_f32_e32 vcc_lo, v21, v21
	v_add3_u32 v15, v15, v3, 0x7fff
	v_add3_u32 v21, v25, v4, 0x7fff
	v_bfe_u32 v24, v20, 16, 1
	v_and_b32_e32 v2, 0xffff0000, v2
	v_cndmask_b32_e32 v16, v16, v22, vcc_lo
	v_cmp_u_f32_e32 vcc_lo, v3, v3
	v_or_b32_e32 v22, 0x400000, v4
	v_and_b32_e32 v8, 0xffff0000, v8
	v_add_f32_e32 v2, v2, v11
	v_and_b32_e32 v6, 0xffff0000, v16
	v_cndmask_b32_e32 v3, v15, v23, vcc_lo
	v_cmp_u_f32_e32 vcc_lo, v4, v4
	v_add3_u32 v15, v24, v20, 0x7fff
	v_or_b32_e32 v23, 0x400000, v20
	v_add_f32_e32 v1, v2, v1
	v_and_b32_e32 v3, 0xffff0000, v3
	v_cndmask_b32_e32 v4, v21, v22, vcc_lo
	v_cmp_u_f32_e32 vcc_lo, v20, v20
	v_add_f32_e32 v5, v7, v5
	v_add_f32_e32 v2, v3, v6
	v_and_b32_e32 v3, 0xffff0000, v4
	v_cndmask_b32_e32 v11, v15, v23, vcc_lo
	v_and_b32_e32 v15, 0xffff0000, v18
	v_add_f32_e32 v6, v12, v19
	v_add_f32_e32 v1, v2, v1
	v_and_b32_e32 v4, 0xffff0000, v11
	v_add_f32_e32 v7, v8, v15
	v_add_f32_e32 v6, v6, v10
	;; [unrolled: 1-line block ×12, first 2 shown]
.LBB158_44:                             ;   in Loop: Header=BB158_45 Depth=1
	s_or_b32 exec_lo, exec_lo, s21
	v_add_nc_u32_e32 v37, 4, v37
	v_add_co_u32 v38, s1, v38, 16
	v_add_co_ci_u32_e64 v39, null, 0, v39, s1
	v_cmp_le_i32_e32 vcc_lo, s16, v37
	v_add_nc_u32_e32 v43, 64, v43
	v_add_nc_u32_e32 v56, 0x100, v56
	s_or_b32 s18, vcc_lo, s18
	s_andn2_b32 exec_lo, exec_lo, s18
	s_cbranch_execz .LBB158_63
.LBB158_45:                             ; =>This Inner Loop Header: Depth=1
	v_sub_nc_u32_e32 v1, 0, v43
	v_max_i32_e32 v1, v43, v1
	v_mul_hi_u32 v2, v1, s12
	v_mul_lo_u32 v3, v2, s11
	v_sub_nc_u32_e32 v1, v1, v3
	v_add_nc_u32_e32 v3, 1, v2
	v_subrev_nc_u32_e32 v4, s11, v1
	v_cmp_le_u32_e32 vcc_lo, s11, v1
	v_cndmask_b32_e32 v2, v2, v3, vcc_lo
	v_cndmask_b32_e32 v1, v1, v4, vcc_lo
	v_ashrrev_i32_e32 v3, 31, v43
	v_add_nc_u32_e32 v4, 1, v2
	v_cmp_le_u32_e32 vcc_lo, s11, v1
	v_xor_b32_e32 v3, s19, v3
	v_cndmask_b32_e32 v1, v2, v4, vcc_lo
	v_xor_b32_e32 v1, v1, v3
	v_sub_nc_u32_e32 v1, v1, v3
	v_add_nc_u32_e32 v2, s33, v1
	v_cmp_lt_i32_e64 s1, s6, v1
	v_sub_nc_u32_e32 v3, 0, v2
	v_max_i32_e32 v3, v2, v3
	v_ashrrev_i32_e32 v2, 31, v2
	v_mul_hi_u32 v4, v3, v59
	v_mul_lo_u32 v4, v4, s15
	v_sub_nc_u32_e32 v3, v3, v4
	v_subrev_nc_u32_e32 v4, s15, v3
	v_cmp_le_u32_e32 vcc_lo, s15, v3
	v_cndmask_b32_e32 v3, v3, v4, vcc_lo
	v_subrev_nc_u32_e32 v4, s15, v3
	v_cmp_le_u32_e32 vcc_lo, s15, v3
	v_cndmask_b32_e32 v3, v3, v4, vcc_lo
	v_xor_b32_e32 v3, v3, v2
	v_sub_nc_u32_e32 v2, v3, v2
	v_cmp_eq_u32_e32 vcc_lo, 0, v2
	s_or_b32 s1, vcc_lo, s1
	s_and_saveexec_b32 s21, s1
	s_cbranch_execz .LBB158_44
; %bb.46:                               ;   in Loop: Header=BB158_45 Depth=1
	global_load_dword v1, v[38:39], off
	v_add_nc_u32_e32 v60, v54, v43
	v_cmp_eq_u32_e64 s1, s17, v37
	s_waitcnt vmcnt(0)
	v_mad_i64_i32 v[1:2], null, v1, s13, 0
	v_lshlrev_b64 v[1:2], 1, v[1:2]
	v_add_co_u32 v61, vcc_lo, s9, v1
	v_add_co_ci_u32_e64 v62, null, s14, v2, vcc_lo
	v_add_co_u32 v17, vcc_lo, v61, v57
	v_add_co_ci_u32_e64 v18, null, 0, v62, vcc_lo
	global_load_dwordx4 v[1:4], v[17:18], off
	ds_read2_b64 v[29:32], v56 offset1:1
	ds_read2_b64 v[25:28], v56 offset0:2 offset1:3
	s_and_saveexec_b32 s22, s1
	s_cbranch_execnz .LBB158_58
; %bb.47:                               ;   in Loop: Header=BB158_45 Depth=1
	s_or_b32 exec_lo, exec_lo, s22
	global_load_dwordx4 v[5:8], v[17:18], off offset:512
	s_and_saveexec_b32 s22, s1
	s_cbranch_execnz .LBB158_59
.LBB158_48:                             ;   in Loop: Header=BB158_45 Depth=1
	s_or_b32 exec_lo, exec_lo, s22
	global_load_dwordx4 v[9:12], v[17:18], off offset:1024
	s_and_saveexec_b32 s22, s1
	s_cbranch_execnz .LBB158_60
.LBB158_49:                             ;   in Loop: Header=BB158_45 Depth=1
	s_or_b32 exec_lo, exec_lo, s22
	global_load_dwordx4 v[13:16], v[17:18], off offset:1536
	s_and_saveexec_b32 s22, s1
	s_cbranch_execz .LBB158_51
.LBB158_50:                             ;   in Loop: Header=BB158_45 Depth=1
	v_add_nc_u32_e32 v19, 1, v60
	v_or_b32_e32 v20, 3, v60
	v_cmp_gt_i32_e32 vcc_lo, s27, v60
	v_or_b32_e32 v21, 2, v60
	v_or_b32_e32 v23, 7, v60
	v_cmp_gt_i32_e64 s2, s20, v20
	s_waitcnt vmcnt(0)
	v_cndmask_b32_e32 v22, 0, v13, vcc_lo
	v_cmp_gt_i32_e32 vcc_lo, s20, v19
	v_cmp_gt_i32_e64 s3, s27, v21
	v_or_b32_e32 v20, 5, v60
	v_or_b32_e32 v21, 4, v60
	v_cndmask_b32_sdwa v13, v55, v13, vcc_lo dst_sel:DWORD dst_unused:UNUSED_PAD src0_sel:DWORD src1_sel:WORD_1
	s_mov_b32 vcc_lo, s2
	v_cndmask_b32_e64 v19, 0, v14, s3
	v_cndmask_b32_sdwa v14, v55, v14, vcc_lo dst_sel:DWORD dst_unused:UNUSED_PAD src0_sel:DWORD src1_sel:WORD_1
	v_cmp_gt_i32_e32 vcc_lo, s20, v20
	v_cmp_gt_i32_e64 s2, s27, v21
	v_or_b32_e32 v21, 6, v60
	v_perm_b32 v13, v13, v22, 0x5040100
	v_perm_b32 v14, v14, v19, 0x5040100
	v_cndmask_b32_e64 v20, 0, v15, s2
	v_cmp_gt_i32_e64 s2, s20, v23
	v_cndmask_b32_sdwa v15, v55, v15, vcc_lo dst_sel:DWORD dst_unused:UNUSED_PAD src0_sel:DWORD src1_sel:WORD_1
	v_cmp_gt_i32_e32 vcc_lo, s27, v21
	v_perm_b32 v15, v15, v20, 0x5040100
	v_cndmask_b32_e32 v21, 0, v16, vcc_lo
	s_mov_b32 vcc_lo, s2
	v_cndmask_b32_sdwa v16, v55, v16, vcc_lo dst_sel:DWORD dst_unused:UNUSED_PAD src0_sel:DWORD src1_sel:WORD_1
	v_perm_b32 v16, v16, v21, 0x5040100
.LBB158_51:                             ;   in Loop: Header=BB158_45 Depth=1
	s_or_b32 exec_lo, exec_lo, s22
	v_add_co_u32 v33, vcc_lo, 0x800, v17
	v_add_co_ci_u32_e64 v34, null, 0, v18, vcc_lo
	global_load_dwordx4 v[17:20], v[33:34], off
	s_and_saveexec_b32 s22, s1
	s_cbranch_execnz .LBB158_61
; %bb.52:                               ;   in Loop: Header=BB158_45 Depth=1
	s_or_b32 exec_lo, exec_lo, s22
	global_load_dwordx4 v[21:24], v[33:34], off offset:512
	s_and_saveexec_b32 s22, s1
	s_cbranch_execnz .LBB158_62
.LBB158_53:                             ;   in Loop: Header=BB158_45 Depth=1
	s_or_b32 exec_lo, exec_lo, s22
	global_load_dwordx4 v[33:36], v[33:34], off offset:1024
	s_and_saveexec_b32 s22, s1
	s_cbranch_execz .LBB158_55
.LBB158_54:                             ;   in Loop: Header=BB158_45 Depth=1
	v_add_nc_u32_e32 v63, 1, v60
	v_or_b32_e32 v64, 3, v60
	v_cmp_gt_i32_e32 vcc_lo, s27, v60
	v_or_b32_e32 v65, 2, v60
	v_or_b32_e32 v67, 7, v60
	v_cmp_gt_i32_e64 s2, s20, v64
	s_waitcnt vmcnt(0)
	v_cndmask_b32_e32 v66, 0, v33, vcc_lo
	v_cmp_gt_i32_e32 vcc_lo, s20, v63
	v_cmp_gt_i32_e64 s3, s27, v65
	v_or_b32_e32 v64, 5, v60
	v_or_b32_e32 v65, 4, v60
	v_cndmask_b32_sdwa v33, v55, v33, vcc_lo dst_sel:DWORD dst_unused:UNUSED_PAD src0_sel:DWORD src1_sel:WORD_1
	s_mov_b32 vcc_lo, s2
	v_cndmask_b32_e64 v63, 0, v34, s3
	v_cndmask_b32_sdwa v34, v55, v34, vcc_lo dst_sel:DWORD dst_unused:UNUSED_PAD src0_sel:DWORD src1_sel:WORD_1
	v_cmp_gt_i32_e32 vcc_lo, s20, v64
	v_cmp_gt_i32_e64 s2, s27, v65
	v_or_b32_e32 v65, 6, v60
	v_perm_b32 v33, v33, v66, 0x5040100
	v_perm_b32 v34, v34, v63, 0x5040100
	v_cndmask_b32_e64 v64, 0, v35, s2
	v_cmp_gt_i32_e64 s2, s20, v67
	v_cndmask_b32_sdwa v35, v55, v35, vcc_lo dst_sel:DWORD dst_unused:UNUSED_PAD src0_sel:DWORD src1_sel:WORD_1
	v_cmp_gt_i32_e32 vcc_lo, s27, v65
	v_perm_b32 v35, v35, v64, 0x5040100
	v_cndmask_b32_e32 v65, 0, v36, vcc_lo
	s_mov_b32 vcc_lo, s2
	v_cndmask_b32_sdwa v36, v55, v36, vcc_lo dst_sel:DWORD dst_unused:UNUSED_PAD src0_sel:DWORD src1_sel:WORD_1
	v_perm_b32 v36, v36, v65, 0x5040100
.LBB158_55:                             ;   in Loop: Header=BB158_45 Depth=1
	s_or_b32 exec_lo, exec_lo, s22
	s_waitcnt lgkmcnt(1)
	v_bfe_u32 v63, v29, 16, 1
	v_bfe_u32 v64, v30, 16, 1
	v_or_b32_e32 v65, 0x400000, v29
	v_cmp_u_f32_e32 vcc_lo, v29, v29
	v_or_b32_e32 v66, 0x400000, v30
	v_add3_u32 v63, v63, v29, 0x7fff
	v_bfe_u32 v67, v31, 16, 1
	v_add3_u32 v64, v64, v30, 0x7fff
	v_bfe_u32 v68, v32, 16, 1
	v_cndmask_b32_e32 v29, v63, v65, vcc_lo
	v_cmp_u_f32_e32 vcc_lo, v30, v30
	v_add3_u32 v63, v67, v31, 0x7fff
	s_waitcnt lgkmcnt(0)
	v_bfe_u32 v65, v25, 16, 1
	v_or_b32_e32 v67, 0x400000, v32
	v_cndmask_b32_e32 v30, v64, v66, vcc_lo
	v_or_b32_e32 v64, 0x400000, v31
	v_cmp_u_f32_e32 vcc_lo, v31, v31
	v_add3_u32 v66, v68, v32, 0x7fff
	v_or_b32_e32 v68, 0x400000, v28
	v_perm_b32 v29, v30, v29, 0x7060302
	v_cndmask_b32_e32 v31, v63, v64, vcc_lo
	v_cmp_u_f32_e32 vcc_lo, v32, v32
	v_add3_u32 v63, v65, v25, 0x7fff
	v_or_b32_e32 v64, 0x400000, v25
	v_bfe_u32 v65, v26, 16, 1
	v_cndmask_b32_e32 v32, v66, v67, vcc_lo
	v_cmp_u_f32_e32 vcc_lo, v25, v25
	v_bfe_u32 v66, v27, 16, 1
	v_or_b32_e32 v67, 0x400000, v27
	v_cndmask_b32_e32 v25, v63, v64, vcc_lo
	v_add3_u32 v64, v65, v26, 0x7fff
	v_or_b32_e32 v65, 0x400000, v26
	v_cmp_u_f32_e32 vcc_lo, v26, v26
	v_bfe_u32 v63, v28, 16, 1
	v_add3_u32 v66, v66, v27, 0x7fff
	v_cndmask_b32_e32 v26, v64, v65, vcc_lo
	v_cmp_u_f32_e32 vcc_lo, v27, v27
	v_add3_u32 v63, v63, v28, 0x7fff
	v_perm_b32 v30, v26, v25, 0x7060302
	v_cndmask_b32_e32 v27, v66, v67, vcc_lo
	v_cmp_u_f32_e32 vcc_lo, v28, v28
	v_cndmask_b32_e32 v28, v63, v68, vcc_lo
	v_perm_b32 v63, v32, v31, 0x7060302
	v_perm_b32 v32, v28, v27, 0x7060302
	s_and_saveexec_b32 s3, s0
	s_cbranch_execz .LBB158_43
; %bb.56:                               ;   in Loop: Header=BB158_45 Depth=1
	v_add_co_u32 v25, vcc_lo, v61, v58
	v_add_co_ci_u32_e64 v26, null, 0, v62, vcc_lo
	global_load_dwordx4 v[25:28], v[25:26], off
	s_and_saveexec_b32 s22, s1
	s_cbranch_execz .LBB158_42
; %bb.57:                               ;   in Loop: Header=BB158_45 Depth=1
	v_add_nc_u32_e32 v31, 1, v60
	v_or_b32_e32 v61, 3, v60
	v_cmp_gt_i32_e32 vcc_lo, s27, v60
	v_or_b32_e32 v62, 2, v60
	v_or_b32_e32 v65, 7, v60
	v_cmp_gt_i32_e64 s1, s20, v61
	s_waitcnt vmcnt(0)
	v_cndmask_b32_e32 v64, 0, v25, vcc_lo
	v_cmp_gt_i32_e32 vcc_lo, s20, v31
	v_cmp_gt_i32_e64 s2, s27, v62
	v_or_b32_e32 v61, 5, v60
	v_or_b32_e32 v62, 4, v60
	;; [unrolled: 1-line block ×3, first 2 shown]
	v_cndmask_b32_sdwa v25, v55, v25, vcc_lo dst_sel:DWORD dst_unused:UNUSED_PAD src0_sel:DWORD src1_sel:WORD_1
	s_mov_b32 vcc_lo, s1
	v_cndmask_b32_e64 v31, 0, v26, s2
	v_cndmask_b32_sdwa v26, v55, v26, vcc_lo dst_sel:DWORD dst_unused:UNUSED_PAD src0_sel:DWORD src1_sel:WORD_1
	v_cmp_gt_i32_e32 vcc_lo, s20, v61
	v_cmp_gt_i32_e64 s1, s27, v62
	v_perm_b32 v25, v25, v64, 0x5040100
	v_perm_b32 v26, v26, v31, 0x5040100
	v_cndmask_b32_e64 v61, 0, v27, s1
	v_cmp_gt_i32_e64 s1, s20, v65
	v_cndmask_b32_sdwa v27, v55, v27, vcc_lo dst_sel:DWORD dst_unused:UNUSED_PAD src0_sel:DWORD src1_sel:WORD_1
	v_cmp_gt_i32_e32 vcc_lo, s27, v60
	v_perm_b32 v27, v27, v61, 0x5040100
	v_cndmask_b32_e32 v60, 0, v28, vcc_lo
	s_mov_b32 vcc_lo, s1
	v_cndmask_b32_sdwa v28, v55, v28, vcc_lo dst_sel:DWORD dst_unused:UNUSED_PAD src0_sel:DWORD src1_sel:WORD_1
	v_perm_b32 v28, v28, v60, 0x5040100
	s_branch .LBB158_42
.LBB158_58:                             ;   in Loop: Header=BB158_45 Depth=1
	v_add_nc_u32_e32 v5, 1, v60
	v_or_b32_e32 v6, 3, v60
	v_cmp_gt_i32_e32 vcc_lo, s27, v60
	v_or_b32_e32 v7, 2, v60
	v_or_b32_e32 v9, 7, v60
	v_cmp_gt_i32_e64 s2, s20, v6
	s_waitcnt vmcnt(0)
	v_cndmask_b32_e32 v8, 0, v1, vcc_lo
	v_cmp_gt_i32_e32 vcc_lo, s20, v5
	v_cmp_gt_i32_e64 s3, s27, v7
	v_or_b32_e32 v6, 5, v60
	v_or_b32_e32 v7, 4, v60
	v_cndmask_b32_sdwa v1, v55, v1, vcc_lo dst_sel:DWORD dst_unused:UNUSED_PAD src0_sel:DWORD src1_sel:WORD_1
	s_mov_b32 vcc_lo, s2
	v_cndmask_b32_e64 v5, 0, v2, s3
	v_cndmask_b32_sdwa v2, v55, v2, vcc_lo dst_sel:DWORD dst_unused:UNUSED_PAD src0_sel:DWORD src1_sel:WORD_1
	v_cmp_gt_i32_e32 vcc_lo, s20, v6
	v_cmp_gt_i32_e64 s2, s27, v7
	v_or_b32_e32 v7, 6, v60
	v_perm_b32 v1, v1, v8, 0x5040100
	v_perm_b32 v2, v2, v5, 0x5040100
	v_cndmask_b32_e64 v6, 0, v3, s2
	v_cmp_gt_i32_e64 s2, s20, v9
	v_cndmask_b32_sdwa v3, v55, v3, vcc_lo dst_sel:DWORD dst_unused:UNUSED_PAD src0_sel:DWORD src1_sel:WORD_1
	v_cmp_gt_i32_e32 vcc_lo, s27, v7
	v_perm_b32 v3, v3, v6, 0x5040100
	v_cndmask_b32_e32 v7, 0, v4, vcc_lo
	s_mov_b32 vcc_lo, s2
	v_cndmask_b32_sdwa v4, v55, v4, vcc_lo dst_sel:DWORD dst_unused:UNUSED_PAD src0_sel:DWORD src1_sel:WORD_1
	v_perm_b32 v4, v4, v7, 0x5040100
	s_or_b32 exec_lo, exec_lo, s22
	global_load_dwordx4 v[5:8], v[17:18], off offset:512
	s_and_saveexec_b32 s22, s1
	s_cbranch_execz .LBB158_48
.LBB158_59:                             ;   in Loop: Header=BB158_45 Depth=1
	v_add_nc_u32_e32 v9, 1, v60
	v_or_b32_e32 v10, 3, v60
	v_cmp_gt_i32_e32 vcc_lo, s27, v60
	v_or_b32_e32 v11, 2, v60
	v_or_b32_e32 v13, 7, v60
	v_cmp_gt_i32_e64 s2, s20, v10
	s_waitcnt vmcnt(0)
	v_cndmask_b32_e32 v12, 0, v5, vcc_lo
	v_cmp_gt_i32_e32 vcc_lo, s20, v9
	v_cmp_gt_i32_e64 s3, s27, v11
	v_or_b32_e32 v10, 5, v60
	v_or_b32_e32 v11, 4, v60
	v_cndmask_b32_sdwa v5, v55, v5, vcc_lo dst_sel:DWORD dst_unused:UNUSED_PAD src0_sel:DWORD src1_sel:WORD_1
	s_mov_b32 vcc_lo, s2
	v_cndmask_b32_e64 v9, 0, v6, s3
	v_cndmask_b32_sdwa v6, v55, v6, vcc_lo dst_sel:DWORD dst_unused:UNUSED_PAD src0_sel:DWORD src1_sel:WORD_1
	v_cmp_gt_i32_e32 vcc_lo, s20, v10
	v_cmp_gt_i32_e64 s2, s27, v11
	v_or_b32_e32 v11, 6, v60
	v_perm_b32 v5, v5, v12, 0x5040100
	v_perm_b32 v6, v6, v9, 0x5040100
	v_cndmask_b32_e64 v10, 0, v7, s2
	v_cmp_gt_i32_e64 s2, s20, v13
	v_cndmask_b32_sdwa v7, v55, v7, vcc_lo dst_sel:DWORD dst_unused:UNUSED_PAD src0_sel:DWORD src1_sel:WORD_1
	v_cmp_gt_i32_e32 vcc_lo, s27, v11
	v_perm_b32 v7, v7, v10, 0x5040100
	v_cndmask_b32_e32 v11, 0, v8, vcc_lo
	s_mov_b32 vcc_lo, s2
	v_cndmask_b32_sdwa v8, v55, v8, vcc_lo dst_sel:DWORD dst_unused:UNUSED_PAD src0_sel:DWORD src1_sel:WORD_1
	v_perm_b32 v8, v8, v11, 0x5040100
	s_or_b32 exec_lo, exec_lo, s22
	global_load_dwordx4 v[9:12], v[17:18], off offset:1024
	s_and_saveexec_b32 s22, s1
	s_cbranch_execz .LBB158_49
.LBB158_60:                             ;   in Loop: Header=BB158_45 Depth=1
	v_add_nc_u32_e32 v13, 1, v60
	v_or_b32_e32 v14, 3, v60
	v_cmp_gt_i32_e32 vcc_lo, s27, v60
	v_or_b32_e32 v15, 2, v60
	v_or_b32_e32 v19, 7, v60
	v_cmp_gt_i32_e64 s2, s20, v14
	s_waitcnt vmcnt(0)
	v_cndmask_b32_e32 v16, 0, v9, vcc_lo
	v_cmp_gt_i32_e32 vcc_lo, s20, v13
	v_cmp_gt_i32_e64 s3, s27, v15
	v_or_b32_e32 v14, 5, v60
	v_or_b32_e32 v15, 4, v60
	v_cndmask_b32_sdwa v9, v55, v9, vcc_lo dst_sel:DWORD dst_unused:UNUSED_PAD src0_sel:DWORD src1_sel:WORD_1
	s_mov_b32 vcc_lo, s2
	v_cndmask_b32_e64 v13, 0, v10, s3
	v_cndmask_b32_sdwa v10, v55, v10, vcc_lo dst_sel:DWORD dst_unused:UNUSED_PAD src0_sel:DWORD src1_sel:WORD_1
	v_cmp_gt_i32_e32 vcc_lo, s20, v14
	v_cmp_gt_i32_e64 s2, s27, v15
	v_or_b32_e32 v15, 6, v60
	v_perm_b32 v9, v9, v16, 0x5040100
	v_perm_b32 v10, v10, v13, 0x5040100
	v_cndmask_b32_e64 v14, 0, v11, s2
	v_cmp_gt_i32_e64 s2, s20, v19
	v_cndmask_b32_sdwa v11, v55, v11, vcc_lo dst_sel:DWORD dst_unused:UNUSED_PAD src0_sel:DWORD src1_sel:WORD_1
	v_cmp_gt_i32_e32 vcc_lo, s27, v15
	v_perm_b32 v11, v11, v14, 0x5040100
	v_cndmask_b32_e32 v15, 0, v12, vcc_lo
	s_mov_b32 vcc_lo, s2
	v_cndmask_b32_sdwa v12, v55, v12, vcc_lo dst_sel:DWORD dst_unused:UNUSED_PAD src0_sel:DWORD src1_sel:WORD_1
	v_perm_b32 v12, v12, v15, 0x5040100
	s_or_b32 exec_lo, exec_lo, s22
	global_load_dwordx4 v[13:16], v[17:18], off offset:1536
	s_and_saveexec_b32 s22, s1
	s_cbranch_execnz .LBB158_50
	s_branch .LBB158_51
.LBB158_61:                             ;   in Loop: Header=BB158_45 Depth=1
	v_add_nc_u32_e32 v21, 1, v60
	v_or_b32_e32 v22, 3, v60
	v_cmp_gt_i32_e32 vcc_lo, s27, v60
	v_or_b32_e32 v23, 2, v60
	v_or_b32_e32 v35, 7, v60
	v_cmp_gt_i32_e64 s2, s20, v22
	s_waitcnt vmcnt(0)
	v_cndmask_b32_e32 v24, 0, v17, vcc_lo
	v_cmp_gt_i32_e32 vcc_lo, s20, v21
	v_cmp_gt_i32_e64 s3, s27, v23
	v_or_b32_e32 v22, 5, v60
	v_or_b32_e32 v23, 4, v60
	v_cndmask_b32_sdwa v17, v55, v17, vcc_lo dst_sel:DWORD dst_unused:UNUSED_PAD src0_sel:DWORD src1_sel:WORD_1
	s_mov_b32 vcc_lo, s2
	v_cndmask_b32_e64 v21, 0, v18, s3
	v_cndmask_b32_sdwa v18, v55, v18, vcc_lo dst_sel:DWORD dst_unused:UNUSED_PAD src0_sel:DWORD src1_sel:WORD_1
	v_cmp_gt_i32_e32 vcc_lo, s20, v22
	v_cmp_gt_i32_e64 s2, s27, v23
	v_or_b32_e32 v23, 6, v60
	v_perm_b32 v17, v17, v24, 0x5040100
	v_perm_b32 v18, v18, v21, 0x5040100
	v_cndmask_b32_e64 v22, 0, v19, s2
	v_cmp_gt_i32_e64 s2, s20, v35
	v_cndmask_b32_sdwa v19, v55, v19, vcc_lo dst_sel:DWORD dst_unused:UNUSED_PAD src0_sel:DWORD src1_sel:WORD_1
	v_cmp_gt_i32_e32 vcc_lo, s27, v23
	v_perm_b32 v19, v19, v22, 0x5040100
	v_cndmask_b32_e32 v23, 0, v20, vcc_lo
	s_mov_b32 vcc_lo, s2
	v_cndmask_b32_sdwa v20, v55, v20, vcc_lo dst_sel:DWORD dst_unused:UNUSED_PAD src0_sel:DWORD src1_sel:WORD_1
	v_perm_b32 v20, v20, v23, 0x5040100
	s_or_b32 exec_lo, exec_lo, s22
	global_load_dwordx4 v[21:24], v[33:34], off offset:512
	s_and_saveexec_b32 s22, s1
	s_cbranch_execz .LBB158_53
.LBB158_62:                             ;   in Loop: Header=BB158_45 Depth=1
	v_add_nc_u32_e32 v35, 1, v60
	v_or_b32_e32 v36, 3, v60
	v_cmp_gt_i32_e32 vcc_lo, s27, v60
	v_or_b32_e32 v63, 2, v60
	v_or_b32_e32 v65, 7, v60
	v_cmp_gt_i32_e64 s2, s20, v36
	s_waitcnt vmcnt(0)
	v_cndmask_b32_e32 v64, 0, v21, vcc_lo
	v_cmp_gt_i32_e32 vcc_lo, s20, v35
	v_cmp_gt_i32_e64 s3, s27, v63
	v_or_b32_e32 v36, 5, v60
	v_or_b32_e32 v63, 4, v60
	v_cndmask_b32_sdwa v21, v55, v21, vcc_lo dst_sel:DWORD dst_unused:UNUSED_PAD src0_sel:DWORD src1_sel:WORD_1
	s_mov_b32 vcc_lo, s2
	v_cndmask_b32_e64 v35, 0, v22, s3
	v_cndmask_b32_sdwa v22, v55, v22, vcc_lo dst_sel:DWORD dst_unused:UNUSED_PAD src0_sel:DWORD src1_sel:WORD_1
	v_cmp_gt_i32_e32 vcc_lo, s20, v36
	v_cmp_gt_i32_e64 s2, s27, v63
	v_or_b32_e32 v63, 6, v60
	v_perm_b32 v21, v21, v64, 0x5040100
	v_perm_b32 v22, v22, v35, 0x5040100
	v_cndmask_b32_e64 v36, 0, v23, s2
	v_cmp_gt_i32_e64 s2, s20, v65
	v_cndmask_b32_sdwa v23, v55, v23, vcc_lo dst_sel:DWORD dst_unused:UNUSED_PAD src0_sel:DWORD src1_sel:WORD_1
	v_cmp_gt_i32_e32 vcc_lo, s27, v63
	v_perm_b32 v23, v23, v36, 0x5040100
	v_cndmask_b32_e32 v63, 0, v24, vcc_lo
	s_mov_b32 vcc_lo, s2
	v_cndmask_b32_sdwa v24, v55, v24, vcc_lo dst_sel:DWORD dst_unused:UNUSED_PAD src0_sel:DWORD src1_sel:WORD_1
	v_perm_b32 v24, v24, v63, 0x5040100
	s_or_b32 exec_lo, exec_lo, s22
	global_load_dwordx4 v[33:36], v[33:34], off offset:1024
	s_and_saveexec_b32 s22, s1
	s_cbranch_execnz .LBB158_54
	s_branch .LBB158_55
.LBB158_63:
	s_or_b32 exec_lo, exec_lo, s18
.LBB158_64:
	s_or_b32 exec_lo, exec_lo, s5
	ds_bpermute_b32 v1, v45, v53
	ds_bpermute_b32 v2, v45, v52
	;; [unrolled: 1-line block ×8, first 2 shown]
	s_movk_i32 s0, 0x1e0
	v_and_b32_e32 v14, 0x3c0, v0
	v_mad_u32_u24 v9, v42, s0, 0x110
	s_mov_b32 s1, exec_lo
	v_cmp_eq_u32_e32 vcc_lo, 0, v41
	s_waitcnt lgkmcnt(0)
	s_waitcnt_vscnt null, 0x0
	s_barrier
	buffer_gl0_inv
	v_add_f32_e32 v8, v53, v1
	v_add_f32_e32 v7, v52, v2
	;; [unrolled: 1-line block ×8, first 2 shown]
	v_cmpx_eq_u32_e32 64, v14
	s_cbranch_execz .LBB158_69
; %bb.65:
	v_add_nc_u32_e32 v10, 0xfffffc40, v9
	s_and_saveexec_b32 s0, vcc_lo
	s_cbranch_execz .LBB158_67
; %bb.66:
	v_lshl_add_u32 v11, v44, 2, v10
	ds_write2_b32 v11, v8, v7 offset1:16
	ds_write2_b32 v11, v6, v5 offset0:32 offset1:48
	ds_write2_b32 v11, v4, v3 offset0:64 offset1:80
	ds_write_b32 v11, v2 offset:384
.LBB158_67:
	s_or_b32 exec_lo, exec_lo, s0
	v_or_b32_e32 v11, 0x70, v44
	v_cmp_gt_u32_e64 s0, 0x78, v11
	s_and_b32 s0, vcc_lo, s0
	s_and_b32 exec_lo, exec_lo, s0
; %bb.68:
	v_lshl_add_u32 v10, v11, 2, v10
	ds_write_b32 v10, v1
.LBB158_69:
	s_or_b32 exec_lo, exec_lo, s1
	s_mov_b32 s1, exec_lo
	s_waitcnt lgkmcnt(0)
	s_barrier
	buffer_gl0_inv
	v_cmpx_gt_u32_e32 64, v0
	s_cbranch_execz .LBB158_81
; %bb.70:
	s_and_saveexec_b32 s0, vcc_lo
	s_cbranch_execnz .LBB158_116
; %bb.71:
	s_or_b32 exec_lo, exec_lo, s0
	s_and_saveexec_b32 s0, vcc_lo
	s_cbranch_execnz .LBB158_117
.LBB158_72:
	s_or_b32 exec_lo, exec_lo, s0
	s_and_saveexec_b32 s0, vcc_lo
	s_cbranch_execnz .LBB158_118
.LBB158_73:
	s_or_b32 exec_lo, exec_lo, s0
	s_and_saveexec_b32 s0, vcc_lo
	s_cbranch_execnz .LBB158_119
.LBB158_74:
	s_or_b32 exec_lo, exec_lo, s0
	s_and_saveexec_b32 s0, vcc_lo
	s_cbranch_execnz .LBB158_120
.LBB158_75:
	s_or_b32 exec_lo, exec_lo, s0
	s_and_saveexec_b32 s0, vcc_lo
	s_cbranch_execnz .LBB158_121
.LBB158_76:
	s_or_b32 exec_lo, exec_lo, s0
	s_and_saveexec_b32 s0, vcc_lo
	s_cbranch_execz .LBB158_78
.LBB158_77:
	v_lshl_add_u32 v10, v44, 2, v9
	ds_read_b32 v10, v10 offset:384
	s_waitcnt lgkmcnt(0)
	v_add_f32_e32 v2, v2, v10
.LBB158_78:
	s_or_b32 exec_lo, exec_lo, s0
	v_or_b32_e32 v10, 0x70, v44
	v_cmp_gt_u32_e64 s0, 0x78, v10
	s_and_b32 s2, vcc_lo, s0
	s_and_saveexec_b32 s0, s2
	s_cbranch_execz .LBB158_80
; %bb.79:
	v_lshl_add_u32 v10, v44, 2, v9
	ds_read_b32 v10, v10 offset:448
	s_waitcnt lgkmcnt(0)
	v_add_f32_e32 v1, v1, v10
.LBB158_80:
	s_or_b32 exec_lo, exec_lo, s0
.LBB158_81:
	s_or_b32 exec_lo, exec_lo, s1
	v_and_b32_e32 v10, 0x3e0, v0
	s_mov_b32 s1, exec_lo
	s_barrier
	buffer_gl0_inv
	v_cmpx_eq_u32_e32 32, v10
	s_cbranch_execz .LBB158_86
; %bb.82:
	v_lshl_add_u32 v10, v44, 2, 0x110
	s_and_saveexec_b32 s0, vcc_lo
	s_cbranch_execz .LBB158_84
; %bb.83:
	ds_write2_b32 v10, v8, v7 offset1:16
	ds_write2_b32 v10, v6, v5 offset0:32 offset1:48
	ds_write2_b32 v10, v4, v3 offset0:64 offset1:80
	ds_write_b32 v10, v2 offset:384
.LBB158_84:
	s_or_b32 exec_lo, exec_lo, s0
	v_or_b32_e32 v11, 0x70, v44
	v_cmp_gt_u32_e64 s0, 0x78, v11
	s_and_b32 s0, vcc_lo, s0
	s_and_b32 exec_lo, exec_lo, s0
; %bb.85:
	ds_write_b32 v10, v1 offset:448
.LBB158_86:
	s_or_b32 exec_lo, exec_lo, s1
	v_cmp_gt_u32_e64 s0, 32, v0
	s_waitcnt lgkmcnt(0)
	s_barrier
	buffer_gl0_inv
	s_and_saveexec_b32 s2, s0
	s_cbranch_execz .LBB158_98
; %bb.87:
	v_lshl_add_u32 v0, v44, 2, v9
	s_and_saveexec_b32 s1, vcc_lo
	s_cbranch_execnz .LBB158_122
; %bb.88:
	s_or_b32 exec_lo, exec_lo, s1
	s_and_saveexec_b32 s1, vcc_lo
	s_cbranch_execnz .LBB158_123
.LBB158_89:
	s_or_b32 exec_lo, exec_lo, s1
	s_and_saveexec_b32 s1, vcc_lo
	s_cbranch_execnz .LBB158_124
.LBB158_90:
	s_or_b32 exec_lo, exec_lo, s1
	s_and_saveexec_b32 s1, vcc_lo
	s_cbranch_execnz .LBB158_125
.LBB158_91:
	s_or_b32 exec_lo, exec_lo, s1
	s_and_saveexec_b32 s1, vcc_lo
	s_cbranch_execnz .LBB158_126
.LBB158_92:
	s_or_b32 exec_lo, exec_lo, s1
	s_and_saveexec_b32 s1, vcc_lo
	s_cbranch_execnz .LBB158_127
.LBB158_93:
	s_or_b32 exec_lo, exec_lo, s1
	s_and_saveexec_b32 s1, vcc_lo
	s_cbranch_execz .LBB158_95
.LBB158_94:
	ds_read_b32 v9, v0 offset:384
	s_waitcnt lgkmcnt(0)
	v_add_f32_e32 v2, v2, v9
.LBB158_95:
	s_or_b32 exec_lo, exec_lo, s1
	v_or_b32_e32 v9, 0x70, v44
	v_cmp_gt_u32_e64 s1, 0x78, v9
	s_and_b32 s3, vcc_lo, s1
	s_and_saveexec_b32 s1, s3
	s_cbranch_execz .LBB158_97
; %bb.96:
	ds_read_b32 v0, v0 offset:448
	s_waitcnt lgkmcnt(0)
	v_add_f32_e32 v1, v1, v0
.LBB158_97:
	s_or_b32 exec_lo, exec_lo, s1
.LBB158_98:
	s_or_b32 exec_lo, exec_lo, s2
	s_barrier
	buffer_gl0_inv
	s_and_saveexec_b32 s1, s0
	s_cbranch_execz .LBB158_115
; %bb.99:
	s_mul_i32 s0, s4, 0x78
	s_mul_i32 s2, s7, s10
	s_ashr_i32 s1, s0, 31
	v_lshlrev_b32_e32 v0, 1, v40
	s_lshl_b64 s[0:1], s[0:1], 1
	s_add_u32 s4, s24, s0
	s_addc_u32 s5, s25, s1
	s_ashr_i32 s3, s2, 31
	s_lshl_b64 s[0:1], s[2:3], 1
	s_mul_i32 s2, s8, 0x78
	s_add_u32 s4, s4, s0
	s_addc_u32 s5, s5, s1
	s_ashr_i32 s3, s2, 31
	s_lshl_b64 s[0:1], s[2:3], 1
	s_add_u32 s2, s4, s0
	s_addc_u32 s3, s5, s1
	s_and_saveexec_b32 s1, vcc_lo
	s_cbranch_execz .LBB158_101
; %bb.100:
	v_bfe_u32 v9, v8, 16, 1
	v_or_b32_e32 v10, 0x400000, v8
	v_cmp_u_f32_e64 s0, v8, v8
	v_add3_u32 v9, v9, v8, 0x7fff
	v_cndmask_b32_e64 v8, v9, v10, s0
	global_store_short_d16_hi v0, v8, s[2:3]
.LBB158_101:
	s_or_b32 exec_lo, exec_lo, s1
	v_or_b32_e32 v8, 16, v40
	v_cmp_gt_u32_e64 s0, 0x78, v8
	s_and_b32 s0, vcc_lo, s0
	s_and_saveexec_b32 s1, s0
	s_cbranch_execz .LBB158_103
; %bb.102:
	v_bfe_u32 v8, v7, 16, 1
	v_or_b32_e32 v9, 0x400000, v7
	v_cmp_u_f32_e64 s0, v7, v7
	v_add3_u32 v8, v8, v7, 0x7fff
	v_cndmask_b32_e64 v7, v8, v9, s0
	global_store_short_d16_hi v0, v7, s[2:3] offset:32
.LBB158_103:
	s_or_b32 exec_lo, exec_lo, s1
	v_or_b32_e32 v7, 32, v40
	v_cmp_gt_u32_e64 s0, 0x78, v7
	s_and_b32 s0, vcc_lo, s0
	s_and_saveexec_b32 s1, s0
	s_cbranch_execz .LBB158_105
; %bb.104:
	v_bfe_u32 v7, v6, 16, 1
	v_or_b32_e32 v8, 0x400000, v6
	v_cmp_u_f32_e64 s0, v6, v6
	v_add3_u32 v7, v7, v6, 0x7fff
	v_cndmask_b32_e64 v6, v7, v8, s0
	global_store_short_d16_hi v0, v6, s[2:3] offset:64
.LBB158_105:
	;; [unrolled: 14-line block ×6, first 2 shown]
	s_or_b32 exec_lo, exec_lo, s1
	v_or_b32_e32 v2, 0x70, v40
	v_cmp_gt_u32_e64 s0, 0x78, v2
	s_and_b32 s0, vcc_lo, s0
	s_and_b32 exec_lo, exec_lo, s0
	s_cbranch_execz .LBB158_115
; %bb.114:
	v_bfe_u32 v2, v1, 16, 1
	v_or_b32_e32 v3, 0x400000, v1
	v_cmp_u_f32_e32 vcc_lo, v1, v1
	v_add3_u32 v2, v2, v1, 0x7fff
	v_cndmask_b32_e32 v1, v2, v3, vcc_lo
	global_store_short_d16_hi v0, v1, s[2:3] offset:224
.LBB158_115:
	s_endpgm
.LBB158_116:
	v_lshl_add_u32 v10, v44, 2, v9
	ds_read_b32 v10, v10
	s_waitcnt lgkmcnt(0)
	v_add_f32_e32 v8, v8, v10
	s_or_b32 exec_lo, exec_lo, s0
	s_and_saveexec_b32 s0, vcc_lo
	s_cbranch_execz .LBB158_72
.LBB158_117:
	v_lshl_add_u32 v10, v44, 2, v9
	ds_read_b32 v10, v10 offset:64
	s_waitcnt lgkmcnt(0)
	v_add_f32_e32 v7, v7, v10
	s_or_b32 exec_lo, exec_lo, s0
	s_and_saveexec_b32 s0, vcc_lo
	s_cbranch_execz .LBB158_73
.LBB158_118:
	v_lshl_add_u32 v10, v44, 2, v9
	ds_read_b32 v10, v10 offset:128
	s_waitcnt lgkmcnt(0)
	v_add_f32_e32 v6, v6, v10
	s_or_b32 exec_lo, exec_lo, s0
	s_and_saveexec_b32 s0, vcc_lo
	s_cbranch_execz .LBB158_74
.LBB158_119:
	v_lshl_add_u32 v10, v44, 2, v9
	ds_read_b32 v10, v10 offset:192
	s_waitcnt lgkmcnt(0)
	v_add_f32_e32 v5, v5, v10
	s_or_b32 exec_lo, exec_lo, s0
	s_and_saveexec_b32 s0, vcc_lo
	s_cbranch_execz .LBB158_75
.LBB158_120:
	v_lshl_add_u32 v10, v44, 2, v9
	ds_read_b32 v10, v10 offset:256
	s_waitcnt lgkmcnt(0)
	v_add_f32_e32 v4, v4, v10
	s_or_b32 exec_lo, exec_lo, s0
	s_and_saveexec_b32 s0, vcc_lo
	s_cbranch_execz .LBB158_76
.LBB158_121:
	v_lshl_add_u32 v10, v44, 2, v9
	ds_read_b32 v10, v10 offset:320
	s_waitcnt lgkmcnt(0)
	v_add_f32_e32 v3, v3, v10
	s_or_b32 exec_lo, exec_lo, s0
	s_and_saveexec_b32 s0, vcc_lo
	s_cbranch_execnz .LBB158_77
	s_branch .LBB158_78
.LBB158_122:
	ds_read_b32 v9, v0
	s_waitcnt lgkmcnt(0)
	v_add_f32_e32 v8, v8, v9
	s_or_b32 exec_lo, exec_lo, s1
	s_and_saveexec_b32 s1, vcc_lo
	s_cbranch_execz .LBB158_89
.LBB158_123:
	ds_read_b32 v9, v0 offset:64
	s_waitcnt lgkmcnt(0)
	v_add_f32_e32 v7, v7, v9
	s_or_b32 exec_lo, exec_lo, s1
	s_and_saveexec_b32 s1, vcc_lo
	s_cbranch_execz .LBB158_90
.LBB158_124:
	ds_read_b32 v9, v0 offset:128
	s_waitcnt lgkmcnt(0)
	v_add_f32_e32 v6, v6, v9
	s_or_b32 exec_lo, exec_lo, s1
	s_and_saveexec_b32 s1, vcc_lo
	s_cbranch_execz .LBB158_91
.LBB158_125:
	ds_read_b32 v9, v0 offset:192
	s_waitcnt lgkmcnt(0)
	v_add_f32_e32 v5, v5, v9
	s_or_b32 exec_lo, exec_lo, s1
	s_and_saveexec_b32 s1, vcc_lo
	s_cbranch_execz .LBB158_92
.LBB158_126:
	ds_read_b32 v9, v0 offset:256
	s_waitcnt lgkmcnt(0)
	v_add_f32_e32 v4, v4, v9
	s_or_b32 exec_lo, exec_lo, s1
	s_and_saveexec_b32 s1, vcc_lo
	s_cbranch_execz .LBB158_93
.LBB158_127:
	ds_read_b32 v9, v0 offset:320
	s_waitcnt lgkmcnt(0)
	v_add_f32_e32 v3, v3, v9
	s_or_b32 exec_lo, exec_lo, s1
	s_and_saveexec_b32 s1, vcc_lo
	s_cbranch_execnz .LBB158_94
	s_branch .LBB158_95
	.section	.rodata,"a",@progbits
	.p2align	6, 0x0
	.amdhsa_kernel _ZN4vllm25paged_attention_v2_kernelI14__hip_bfloat16S1_Li120ELi16ELi128ELNS_18Fp8KVCacheDataTypeE0ELb1ELi512EEEvPfS3_PT_PKS4_PKT0_SA_ifPKiSC_iPKfiiiSE_SE_iiiii
		.amdhsa_group_segment_fixed_size 272
		.amdhsa_private_segment_fixed_size 0
		.amdhsa_kernarg_size 400
		.amdhsa_user_sgpr_count 6
		.amdhsa_user_sgpr_private_segment_buffer 1
		.amdhsa_user_sgpr_dispatch_ptr 0
		.amdhsa_user_sgpr_queue_ptr 0
		.amdhsa_user_sgpr_kernarg_segment_ptr 1
		.amdhsa_user_sgpr_dispatch_id 0
		.amdhsa_user_sgpr_flat_scratch_init 0
		.amdhsa_user_sgpr_private_segment_size 0
		.amdhsa_wavefront_size32 1
		.amdhsa_uses_dynamic_stack 0
		.amdhsa_system_sgpr_private_segment_wavefront_offset 0
		.amdhsa_system_sgpr_workgroup_id_x 1
		.amdhsa_system_sgpr_workgroup_id_y 1
		.amdhsa_system_sgpr_workgroup_id_z 1
		.amdhsa_system_sgpr_workgroup_info 0
		.amdhsa_system_vgpr_workitem_id 0
		.amdhsa_next_free_vgpr 112
		.amdhsa_next_free_sgpr 46
		.amdhsa_reserve_vcc 1
		.amdhsa_reserve_flat_scratch 0
		.amdhsa_float_round_mode_32 0
		.amdhsa_float_round_mode_16_64 0
		.amdhsa_float_denorm_mode_32 3
		.amdhsa_float_denorm_mode_16_64 3
		.amdhsa_dx10_clamp 1
		.amdhsa_ieee_mode 1
		.amdhsa_fp16_overflow 0
		.amdhsa_workgroup_processor_mode 1
		.amdhsa_memory_ordered 1
		.amdhsa_forward_progress 1
		.amdhsa_shared_vgpr_count 0
		.amdhsa_exception_fp_ieee_invalid_op 0
		.amdhsa_exception_fp_denorm_src 0
		.amdhsa_exception_fp_ieee_div_zero 0
		.amdhsa_exception_fp_ieee_overflow 0
		.amdhsa_exception_fp_ieee_underflow 0
		.amdhsa_exception_fp_ieee_inexact 0
		.amdhsa_exception_int_div_zero 0
	.end_amdhsa_kernel
	.section	.text._ZN4vllm25paged_attention_v2_kernelI14__hip_bfloat16S1_Li120ELi16ELi128ELNS_18Fp8KVCacheDataTypeE0ELb1ELi512EEEvPfS3_PT_PKS4_PKT0_SA_ifPKiSC_iPKfiiiSE_SE_iiiii,"axG",@progbits,_ZN4vllm25paged_attention_v2_kernelI14__hip_bfloat16S1_Li120ELi16ELi128ELNS_18Fp8KVCacheDataTypeE0ELb1ELi512EEEvPfS3_PT_PKS4_PKT0_SA_ifPKiSC_iPKfiiiSE_SE_iiiii,comdat
.Lfunc_end158:
	.size	_ZN4vllm25paged_attention_v2_kernelI14__hip_bfloat16S1_Li120ELi16ELi128ELNS_18Fp8KVCacheDataTypeE0ELb1ELi512EEEvPfS3_PT_PKS4_PKT0_SA_ifPKiSC_iPKfiiiSE_SE_iiiii, .Lfunc_end158-_ZN4vllm25paged_attention_v2_kernelI14__hip_bfloat16S1_Li120ELi16ELi128ELNS_18Fp8KVCacheDataTypeE0ELb1ELi512EEEvPfS3_PT_PKS4_PKT0_SA_ifPKiSC_iPKfiiiSE_SE_iiiii
                                        ; -- End function
	.set _ZN4vllm25paged_attention_v2_kernelI14__hip_bfloat16S1_Li120ELi16ELi128ELNS_18Fp8KVCacheDataTypeE0ELb1ELi512EEEvPfS3_PT_PKS4_PKT0_SA_ifPKiSC_iPKfiiiSE_SE_iiiii.num_vgpr, 112
	.set _ZN4vllm25paged_attention_v2_kernelI14__hip_bfloat16S1_Li120ELi16ELi128ELNS_18Fp8KVCacheDataTypeE0ELb1ELi512EEEvPfS3_PT_PKS4_PKT0_SA_ifPKiSC_iPKfiiiSE_SE_iiiii.num_agpr, 0
	.set _ZN4vllm25paged_attention_v2_kernelI14__hip_bfloat16S1_Li120ELi16ELi128ELNS_18Fp8KVCacheDataTypeE0ELb1ELi512EEEvPfS3_PT_PKS4_PKT0_SA_ifPKiSC_iPKfiiiSE_SE_iiiii.numbered_sgpr, 46
	.set _ZN4vllm25paged_attention_v2_kernelI14__hip_bfloat16S1_Li120ELi16ELi128ELNS_18Fp8KVCacheDataTypeE0ELb1ELi512EEEvPfS3_PT_PKS4_PKT0_SA_ifPKiSC_iPKfiiiSE_SE_iiiii.num_named_barrier, 0
	.set _ZN4vllm25paged_attention_v2_kernelI14__hip_bfloat16S1_Li120ELi16ELi128ELNS_18Fp8KVCacheDataTypeE0ELb1ELi512EEEvPfS3_PT_PKS4_PKT0_SA_ifPKiSC_iPKfiiiSE_SE_iiiii.private_seg_size, 0
	.set _ZN4vllm25paged_attention_v2_kernelI14__hip_bfloat16S1_Li120ELi16ELi128ELNS_18Fp8KVCacheDataTypeE0ELb1ELi512EEEvPfS3_PT_PKS4_PKT0_SA_ifPKiSC_iPKfiiiSE_SE_iiiii.uses_vcc, 1
	.set _ZN4vllm25paged_attention_v2_kernelI14__hip_bfloat16S1_Li120ELi16ELi128ELNS_18Fp8KVCacheDataTypeE0ELb1ELi512EEEvPfS3_PT_PKS4_PKT0_SA_ifPKiSC_iPKfiiiSE_SE_iiiii.uses_flat_scratch, 0
	.set _ZN4vllm25paged_attention_v2_kernelI14__hip_bfloat16S1_Li120ELi16ELi128ELNS_18Fp8KVCacheDataTypeE0ELb1ELi512EEEvPfS3_PT_PKS4_PKT0_SA_ifPKiSC_iPKfiiiSE_SE_iiiii.has_dyn_sized_stack, 0
	.set _ZN4vllm25paged_attention_v2_kernelI14__hip_bfloat16S1_Li120ELi16ELi128ELNS_18Fp8KVCacheDataTypeE0ELb1ELi512EEEvPfS3_PT_PKS4_PKT0_SA_ifPKiSC_iPKfiiiSE_SE_iiiii.has_recursion, 0
	.set _ZN4vllm25paged_attention_v2_kernelI14__hip_bfloat16S1_Li120ELi16ELi128ELNS_18Fp8KVCacheDataTypeE0ELb1ELi512EEEvPfS3_PT_PKS4_PKT0_SA_ifPKiSC_iPKfiiiSE_SE_iiiii.has_indirect_call, 0
	.section	.AMDGPU.csdata,"",@progbits
; Kernel info:
; codeLenInByte = 12364
; TotalNumSgprs: 48
; NumVgprs: 112
; ScratchSize: 0
; MemoryBound: 0
; FloatMode: 240
; IeeeMode: 1
; LDSByteSize: 272 bytes/workgroup (compile time only)
; SGPRBlocks: 0
; VGPRBlocks: 13
; NumSGPRsForWavesPerEU: 48
; NumVGPRsForWavesPerEU: 112
; Occupancy: 9
; WaveLimiterHint : 1
; COMPUTE_PGM_RSRC2:SCRATCH_EN: 0
; COMPUTE_PGM_RSRC2:USER_SGPR: 6
; COMPUTE_PGM_RSRC2:TRAP_HANDLER: 0
; COMPUTE_PGM_RSRC2:TGID_X_EN: 1
; COMPUTE_PGM_RSRC2:TGID_Y_EN: 1
; COMPUTE_PGM_RSRC2:TGID_Z_EN: 1
; COMPUTE_PGM_RSRC2:TIDIG_COMP_CNT: 0
	.section	.text._ZN4vllm25paged_attention_v2_kernelI14__hip_bfloat16S1_Li128ELi16ELi128ELNS_18Fp8KVCacheDataTypeE0ELb1ELi512EEEvPfS3_PT_PKS4_PKT0_SA_ifPKiSC_iPKfiiiSE_SE_iiiii,"axG",@progbits,_ZN4vllm25paged_attention_v2_kernelI14__hip_bfloat16S1_Li128ELi16ELi128ELNS_18Fp8KVCacheDataTypeE0ELb1ELi512EEEvPfS3_PT_PKS4_PKT0_SA_ifPKiSC_iPKfiiiSE_SE_iiiii,comdat
	.protected	_ZN4vllm25paged_attention_v2_kernelI14__hip_bfloat16S1_Li128ELi16ELi128ELNS_18Fp8KVCacheDataTypeE0ELb1ELi512EEEvPfS3_PT_PKS4_PKT0_SA_ifPKiSC_iPKfiiiSE_SE_iiiii ; -- Begin function _ZN4vllm25paged_attention_v2_kernelI14__hip_bfloat16S1_Li128ELi16ELi128ELNS_18Fp8KVCacheDataTypeE0ELb1ELi512EEEvPfS3_PT_PKS4_PKT0_SA_ifPKiSC_iPKfiiiSE_SE_iiiii
	.globl	_ZN4vllm25paged_attention_v2_kernelI14__hip_bfloat16S1_Li128ELi16ELi128ELNS_18Fp8KVCacheDataTypeE0ELb1ELi512EEEvPfS3_PT_PKS4_PKT0_SA_ifPKiSC_iPKfiiiSE_SE_iiiii
	.p2align	8
	.type	_ZN4vllm25paged_attention_v2_kernelI14__hip_bfloat16S1_Li128ELi16ELi128ELNS_18Fp8KVCacheDataTypeE0ELb1ELi512EEEvPfS3_PT_PKS4_PKT0_SA_ifPKiSC_iPKfiiiSE_SE_iiiii,@function
_ZN4vllm25paged_attention_v2_kernelI14__hip_bfloat16S1_Li128ELi16ELi128ELNS_18Fp8KVCacheDataTypeE0ELb1ELi512EEEvPfS3_PT_PKS4_PKT0_SA_ifPKiSC_iPKfiiiSE_SE_iiiii: ; @_ZN4vllm25paged_attention_v2_kernelI14__hip_bfloat16S1_Li128ELi16ELi128ELNS_18Fp8KVCacheDataTypeE0ELb1ELi512EEEvPfS3_PT_PKS4_PKT0_SA_ifPKiSC_iPKfiiiSE_SE_iiiii
; %bb.0:
	s_load_dwordx2 s[0:1], s[4:5], 0x40
	s_mov_b32 s26, s7
	s_ashr_i32 s27, s7, 31
	s_lshl_b64 s[2:3], s[26:27], 2
	s_waitcnt lgkmcnt(0)
	s_add_u32 s0, s0, s2
	s_addc_u32 s1, s1, s3
	s_lshl_b32 s38, s8, 9
	s_load_dword s27, s[0:1], 0x0
	s_waitcnt lgkmcnt(0)
	s_cmp_ge_i32 s38, s27
	s_cbranch_scc1 .LBB159_88
; %bb.1:
	s_clause 0x1
	s_load_dword s9, s[4:5], 0x90
	s_load_dwordx2 s[36:37], s[4:5], 0x30
	s_mov_b32 s40, 0
	s_waitcnt lgkmcnt(0)
	s_abs_i32 s3, s9
	s_abs_i32 s0, s36
	v_cvt_f32_u32_e32 v1, s0
	s_sub_i32 s2, 0, s0
	v_rcp_iflag_f32_e32 v1, v1
	v_mul_f32_e32 v1, 0x4f7ffffe, v1
	v_cvt_u32_f32_e32 v1, v1
	v_readfirstlane_b32 s1, v1
	s_mul_i32 s2, s2, s1
	s_mul_hi_u32 s2, s1, s2
	s_add_i32 s1, s1, s2
	s_xor_b32 s2, s9, s36
	s_mul_hi_u32 s1, s3, s1
	s_ashr_i32 s2, s2, 31
	s_mul_i32 s7, s1, s0
	s_sub_i32 s3, s3, s7
	s_add_i32 s7, s1, 1
	s_sub_i32 s10, s3, s0
	s_cmp_ge_u32 s3, s0
	s_cselect_b32 s1, s7, s1
	s_cselect_b32 s3, s10, s3
	s_add_i32 s7, s1, 1
	s_cmp_ge_u32 s3, s0
	s_cselect_b32 s0, s7, s1
	s_xor_b32 s0, s0, s2
	s_sub_i32 s10, s0, s2
	s_load_dwordx2 s[0:1], s[4:5], 0x50
	s_abs_i32 s2, s10
	v_cvt_f32_u32_e32 v1, s2
	s_sub_i32 s3, 0, s2
	v_rcp_iflag_f32_e32 v1, v1
	v_mul_f32_e32 v1, 0x4f7ffffe, v1
	v_cvt_u32_f32_e32 v1, v1
	v_readfirstlane_b32 s7, v1
	s_mul_i32 s3, s3, s7
	s_mul_hi_u32 s11, s7, s3
	s_abs_i32 s3, s6
	s_add_i32 s7, s7, s11
	s_waitcnt lgkmcnt(0)
	s_cmp_eq_u64 s[0:1], 0
	s_mul_hi_u32 s20, s3, s7
	s_cbranch_scc1 .LBB159_3
; %bb.2:
	s_ashr_i32 s7, s6, 31
	s_lshl_b64 s[12:13], s[6:7], 2
	s_add_u32 s0, s0, s12
	s_addc_u32 s1, s1, s13
	s_load_dword s40, s[0:1], 0x0
.LBB159_3:
	s_load_dwordx4 s[12:15], s[4:5], 0x58
	v_lshrrev_b32_e32 v44, 1, v0
	v_and_b32_e32 v45, 1, v0
	v_cmp_gt_u32_e64 s0, 32, v0
	v_lshlrev_b32_e32 v7, 3, v0
	s_ashr_i32 s1, s6, 31
	s_ashr_i32 s7, s10, 31
	s_lshl_b32 s10, s6, 7
	s_waitcnt lgkmcnt(0)
	s_and_saveexec_b32 s15, s0
	s_cbranch_execz .LBB159_5
; %bb.4:
	s_load_dwordx2 s[16:17], s[4:5], 0x18
	s_mul_i32 s18, s12, s26
	v_lshlrev_b32_e32 v3, 3, v44
	s_ashr_i32 s19, s18, 31
	s_lshl_b64 s[18:19], s[18:19], 1
	v_lshl_add_u32 v3, v45, 7, v3
	s_waitcnt lgkmcnt(0)
	s_add_u32 s12, s16, s18
	s_addc_u32 s18, s17, s19
	s_ashr_i32 s11, s10, 31
	s_lshl_b64 s[16:17], s[10:11], 1
	s_add_u32 s16, s12, s16
	s_addc_u32 s17, s18, s17
	global_load_dwordx2 v[1:2], v7, s[16:17]
	s_waitcnt vmcnt(0)
	ds_write_b64 v3, v[1:2]
.LBB159_5:
	s_or_b32 exec_lo, exec_lo, s15
	s_load_dwordx4 s[16:19], s[4:5], 0x78
	s_mul_i32 s11, s20, s2
	s_xor_b32 s1, s1, s7
	s_sub_i32 s3, s3, s11
	s_add_i32 s7, s20, 1
	s_sub_i32 s11, s3, s2
	s_cmp_ge_u32 s3, s2
                                        ; implicit-def: $sgpr33
	s_cselect_b32 s7, s7, s20
	s_cselect_b32 s3, s11, s3
	s_add_i32 s11, s7, 1
	s_cmp_ge_u32 s3, s2
	s_mov_b32 s20, -1
	s_cselect_b32 s2, s11, s7
	s_load_dword s7, s[4:5], 0x88
	s_xor_b32 s2, s2, s1
	s_add_i32 s15, s27, -1
	s_sub_i32 s2, s2, s1
	s_abs_i32 s3, s15
	s_waitcnt lgkmcnt(0)
	s_abs_i32 s11, s19
	s_barrier
	v_cvt_f32_u32_e32 v1, s11
	s_sub_i32 s1, 0, s11
	buffer_gl0_inv
	v_rcp_iflag_f32_e32 v1, v1
	v_mul_f32_e32 v1, 0x4f7ffffe, v1
	v_cvt_u32_f32_e32 v1, v1
	v_readfirstlane_b32 s12, v1
	s_mul_i32 s1, s1, s12
	s_mul_hi_u32 s1, s12, s1
	s_add_i32 s12, s12, s1
	s_cmp_lt_i32 s7, 0
	s_mul_hi_u32 s1, s3, s12
	s_cbranch_scc0 .LBB159_7
; %bb.6:
	s_mul_i32 s20, s16, s36
	s_add_i32 s20, s2, s20
	s_mul_i32 s20, s20, s7
	s_sub_i32 s33, 1, s20
	s_mov_b32 s20, 0
.LBB159_7:
	s_load_dwordx2 s[28:29], s[4:5], 0x38
	s_ashr_i32 s15, s15, 31
	s_andn2_b32 vcc_lo, exec_lo, s20
	s_ashr_i32 s19, s19, 31
	s_cbranch_vccnz .LBB159_9
; %bb.8:
	s_mul_i32 s16, s9, s16
	s_add_i32 s16, s16, s6
	s_mul_i32 s7, s16, s7
	s_add_i32 s33, s7, 1
.LBB159_9:
	s_clause 0x4
	s_load_dword s16, s[4:5], 0x48
	s_load_dwordx2 s[34:35], s[4:5], 0x28
	s_load_dword s7, s[4:5], 0x98
	s_load_dwordx4 s[20:23], s[4:5], 0x0
	s_load_dwordx2 s[24:25], s[4:5], 0x10
	s_mul_i32 s30, s1, s11
	s_xor_b32 s15, s15, s19
	s_sub_i32 s3, s3, s30
	s_add_i32 s36, s1, 1
	v_lshrrev_b32_e32 v46, 5, v0
	v_mov_b32_e32 v9, 0xff7fffff
	v_mbcnt_lo_u32_b32 v8, -1, 0
	s_mul_i32 s14, s2, s14
	v_lshl_add_u32 v47, v46, 4, s38
	s_waitcnt lgkmcnt(0)
	s_mul_i32 s30, s16, s26
	s_sub_i32 s16, s3, s11
	s_ashr_i32 s31, s30, 31
	s_cmp_ge_u32 s3, s11
	s_cselect_b32 s1, s36, s1
	s_cselect_b32 s3, s16, s3
	s_add_i32 s16, s1, 1
	s_cmp_ge_u32 s3, s11
	s_cselect_b32 s1, s16, s1
	s_add_i32 s3, s27, 15
	s_lshl_b32 s41, s8, 5
	s_ashr_i32 s16, s3, 31
	v_or_b32_e32 v41, s41, v46
	s_lshr_b32 s16, s16, 28
	s_add_i32 s3, s3, s16
	s_add_i32 s16, s41, 32
	s_ashr_i32 s36, s3, 4
	s_xor_b32 s3, s1, s15
	s_min_i32 s16, s16, s36
	v_ashrrev_i32_e32 v42, 31, v41
	v_cmp_gt_i32_e64 s1, s16, v41
	s_sub_i32 s39, s3, s15
	s_and_saveexec_b32 s42, s1
	s_cbranch_execz .LBB159_21
; %bb.10:
	s_load_dwordx2 s[2:3], s[4:5], 0x20
	s_ashr_i32 s15, s14, 31
	s_sub_i32 s5, s39, s17
	s_lshl_b64 s[44:45], s[14:15], 1
	v_bfe_u32 v10, v0, 1, 4
	v_and_b32_e32 v4, 8, v7
	v_lshlrev_b32_e32 v11, 7, v45
	v_lshl_add_u32 v12, v46, 4, s38
	v_mov_b32_e32 v13, 0xff7fffff
	v_lshlrev_b32_e32 v5, 2, v10
	v_lshlrev_b32_e32 v17, 4, v10
	v_subrev_nc_u32_e32 v6, s27, v10
	v_xor_b32_e32 v14, 1, v8
	v_mov_b32_e32 v9, 0xff7fffff
	v_lshl_or_b32 v5, v46, 6, v5
	v_mov_b32_e32 v20, v41
	v_add_nc_u32_e32 v15, 1, v6
	v_cmp_eq_u32_e32 vcc_lo, 0, v45
	v_add_nc_u32_e32 v16, 0x120, v5
	s_waitcnt lgkmcnt(0)
	s_add_u32 s4, s2, s44
	s_addc_u32 s3, s3, s45
	s_abs_i32 s15, s18
	s_lshl_b64 s[44:45], s[30:31], 2
	v_cvt_f32_u32_e32 v1, s15
	s_sub_i32 s43, 0, s15
	v_add_co_u32 v17, s4, s4, v17
	v_add_co_ci_u32_e64 v18, null, s3, 0, s4
	v_rcp_iflag_f32_e32 v3, v1
	v_lshlrev_b64 v[1:2], 2, v[41:42]
	s_add_u32 s3, s28, s44
	s_addc_u32 s4, s29, s45
	v_cmp_neq_f32_e64 s2, s40, 0
	s_mov_b32 s44, s13
	v_mul_f32_e32 v3, 0x4f7ffffe, v3
	v_cvt_u32_f32_e32 v3, v3
	v_mul_lo_u32 v5, s43, v3
	s_mov_b32 s43, 0
	v_mul_hi_u32 v19, v3, v5
	v_add_co_u32 v5, s3, s3, v1
	v_add_co_ci_u32_e64 v6, null, s4, v2, s3
	v_add_co_u32 v17, s3, v17, v4
	v_add_co_ci_u32_e64 v18, null, 0, v18, s3
	v_add_nc_u32_e32 v19, v3, v19
	s_branch .LBB159_13
.LBB159_11:                             ;   in Loop: Header=BB159_13 Depth=1
	s_or_b32 exec_lo, exec_lo, s45
.LBB159_12:                             ;   in Loop: Header=BB159_13 Depth=1
	s_or_b32 exec_lo, exec_lo, s4
	v_add_nc_u32_e32 v20, 4, v20
	v_add_co_u32 v5, s4, v5, 16
	v_add_co_ci_u32_e64 v6, null, 0, v6, s4
	v_cmp_le_i32_e64 s3, s16, v20
	v_add_nc_u32_e32 v12, 64, v12
	v_add_nc_u32_e32 v16, 0x100, v16
	s_or_b32 s43, s3, s43
	s_andn2_b32 exec_lo, exec_lo, s43
	s_cbranch_execz .LBB159_20
.LBB159_13:                             ; =>This Inner Loop Header: Depth=1
	v_sub_nc_u32_e32 v1, 0, v12
	v_max_i32_e32 v1, v12, v1
	s_waitcnt lgkmcnt(0)
	v_mul_hi_u32 v2, v1, s12
	v_mul_lo_u32 v3, v2, s11
	v_sub_nc_u32_e32 v1, v1, v3
	v_add_nc_u32_e32 v3, 1, v2
	v_subrev_nc_u32_e32 v4, s11, v1
	v_cmp_le_u32_e64 s3, s11, v1
	v_cndmask_b32_e64 v2, v2, v3, s3
	v_cndmask_b32_e64 v1, v1, v4, s3
	v_ashrrev_i32_e32 v3, 31, v12
	v_add_nc_u32_e32 v4, 1, v2
	v_cmp_le_u32_e64 s3, s11, v1
	v_xor_b32_e32 v3, s19, v3
	v_cndmask_b32_e64 v1, v2, v4, s3
	v_xor_b32_e32 v1, v1, v3
	v_sub_nc_u32_e32 v1, v1, v3
	v_add_nc_u32_e32 v2, s33, v1
	v_cmp_ge_i32_e64 s4, s5, v1
	v_sub_nc_u32_e32 v3, 0, v2
	v_max_i32_e32 v3, v2, v3
	v_ashrrev_i32_e32 v2, 31, v2
	v_mul_hi_u32 v4, v3, v19
	v_mul_lo_u32 v4, v4, s15
	v_sub_nc_u32_e32 v3, v3, v4
	v_subrev_nc_u32_e32 v4, s15, v3
	v_cmp_le_u32_e64 s3, s15, v3
	v_cndmask_b32_e64 v3, v3, v4, s3
	v_subrev_nc_u32_e32 v4, s15, v3
	v_cmp_le_u32_e64 s3, s15, v3
	v_cndmask_b32_e64 v3, v3, v4, s3
	v_xor_b32_e32 v3, v3, v2
	v_sub_nc_u32_e32 v2, v3, v2
	v_cmp_ne_u32_e64 s3, 0, v2
	s_and_b32 s3, s3, s4
	s_and_saveexec_b32 s4, s3
	s_xor_b32 s3, exec_lo, s4
	s_cbranch_execz .LBB159_17
; %bb.14:                               ;   in Loop: Header=BB159_13 Depth=1
	s_and_saveexec_b32 s4, vcc_lo
; %bb.15:                               ;   in Loop: Header=BB159_13 Depth=1
	ds_write_b32 v16, v13
; %bb.16:                               ;   in Loop: Header=BB159_13 Depth=1
	s_or_b32 exec_lo, exec_lo, s4
.LBB159_17:                             ;   in Loop: Header=BB159_13 Depth=1
	s_andn2_saveexec_b32 s4, s3
	s_cbranch_execz .LBB159_12
; %bb.18:                               ;   in Loop: Header=BB159_13 Depth=1
	global_load_dword v1, v[5:6], off
	s_waitcnt vmcnt(0)
	v_mad_i64_i32 v[1:2], null, v1, s44, 0
	v_lshlrev_b64 v[1:2], 1, v[1:2]
	v_add_co_u32 v56, s3, v17, v1
	v_add_co_ci_u32_e64 v57, null, v18, v2, s3
	s_clause 0x3
	global_load_dwordx2 v[58:59], v[56:57], off offset:256
	global_load_dwordx2 v[60:61], v[56:57], off offset:512
	;; [unrolled: 1-line block ×3, first 2 shown]
	global_load_dwordx2 v[64:65], v[56:57], off
	ds_read_b128 v[21:24], v11
	ds_read_b128 v[25:28], v11 offset:16
	ds_read_b128 v[29:32], v11 offset:32
	;; [unrolled: 1-line block ×7, first 2 shown]
	s_waitcnt lgkmcnt(7)
	v_lshlrev_b32_e32 v43, 16, v21
	v_lshlrev_b32_e32 v66, 16, v22
	v_and_b32_e32 v89, 0xffff0000, v21
	v_and_b32_e32 v90, 0xffff0000, v22
	global_load_dwordx2 v[21:22], v[56:57], off offset:1024
	v_lshlrev_b32_e32 v67, 16, v23
	v_lshlrev_b32_e32 v68, 16, v24
	s_waitcnt lgkmcnt(6)
	v_lshlrev_b32_e32 v69, 16, v25
	v_lshlrev_b32_e32 v70, 16, v26
	v_and_b32_e32 v91, 0xffff0000, v23
	v_and_b32_e32 v92, 0xffff0000, v24
	;; [unrolled: 1-line block ×4, first 2 shown]
	s_clause 0x1
	global_load_dwordx2 v[23:24], v[56:57], off offset:1280
	global_load_dwordx2 v[25:26], v[56:57], off offset:1536
	v_lshlrev_b32_e32 v71, 16, v27
	v_and_b32_e32 v95, 0xffff0000, v27
	v_add_co_u32 v27, s3, 0x800, v56
	v_lshlrev_b32_e32 v72, 16, v28
	v_and_b32_e32 v96, 0xffff0000, v28
	v_add_co_ci_u32_e64 v28, null, 0, v57, s3
	s_waitcnt lgkmcnt(5)
	v_lshlrev_b32_e32 v73, 16, v29
	v_lshlrev_b32_e32 v74, 16, v30
	;; [unrolled: 1-line block ×4, first 2 shown]
	v_and_b32_e32 v97, 0xffff0000, v29
	v_and_b32_e32 v98, 0xffff0000, v30
	;; [unrolled: 1-line block ×4, first 2 shown]
	s_clause 0x1
	global_load_dwordx2 v[29:30], v[56:57], off offset:1792
	global_load_dwordx2 v[31:32], v[27:28], off
	s_waitcnt lgkmcnt(4)
	v_lshlrev_b32_e32 v77, 16, v33
	v_and_b32_e32 v101, 0xffff0000, v33
	v_lshlrev_b32_e32 v78, 16, v34
	v_lshlrev_b32_e32 v79, 16, v35
	;; [unrolled: 1-line block ×3, first 2 shown]
	v_and_b32_e32 v102, 0xffff0000, v34
	v_and_b32_e32 v103, 0xffff0000, v35
	;; [unrolled: 1-line block ×3, first 2 shown]
	s_waitcnt lgkmcnt(3)
	v_lshlrev_b32_e32 v81, 16, v37
	v_and_b32_e32 v105, 0xffff0000, v37
	v_lshlrev_b32_e32 v82, 16, v38
	v_lshlrev_b32_e32 v83, 16, v39
	v_and_b32_e32 v106, 0xffff0000, v38
	v_and_b32_e32 v107, 0xffff0000, v39
	v_lshlrev_b32_e32 v84, 16, v40
	s_waitcnt lgkmcnt(2)
	v_lshlrev_b32_e32 v85, 16, v48
	v_and_b32_e32 v108, 0xffff0000, v40
	v_and_b32_e32 v109, 0xffff0000, v48
	v_lshlrev_b32_e32 v87, 16, v50
	v_and_b32_e32 v111, 0xffff0000, v50
	v_lshlrev_b32_e32 v86, 16, v49
	;; [unrolled: 2-line block ×3, first 2 shown]
	v_and_b32_e32 v112, 0xffff0000, v51
	s_waitcnt lgkmcnt(1)
	v_lshlrev_b32_e32 v113, 16, v52
	v_and_b32_e32 v52, 0xffff0000, v52
	v_lshlrev_b32_e32 v114, 16, v53
	v_lshlrev_b32_e32 v115, 16, v54
	v_and_b32_e32 v54, 0xffff0000, v54
	v_and_b32_e32 v53, 0xffff0000, v53
	v_lshlrev_b32_e32 v116, 16, v55
	v_and_b32_e32 v55, 0xffff0000, v55
	v_cmp_gt_i32_e64 s3, 32, v14
	s_waitcnt vmcnt(8)
	v_lshlrev_b32_e32 v33, 16, v58
	v_and_b32_e32 v35, 0xffff0000, v58
	v_lshlrev_b32_e32 v36, 16, v59
	s_waitcnt vmcnt(5)
	v_lshlrev_b32_e32 v37, 16, v64
	v_and_b32_e32 v39, 0xffff0000, v64
	v_mul_f32_e32 v56, v67, v33
	global_load_dwordx2 v[33:34], v[27:28], off offset:256
	v_mul_f32_e32 v57, v91, v35
	v_mul_f32_e32 v58, v68, v36
	global_load_dwordx2 v[35:36], v[27:28], off offset:512
	v_fmac_f32_e32 v56, v43, v37
	global_load_dwordx2 v[37:38], v[27:28], off offset:768
	v_lshlrev_b32_e32 v48, 16, v65
	v_fmac_f32_e32 v57, v89, v39
	global_load_dwordx2 v[39:40], v[27:28], off offset:1024
	v_and_b32_e32 v50, 0xffff0000, v59
	v_and_b32_e32 v51, 0xffff0000, v65
	v_fmac_f32_e32 v58, v66, v48
	global_load_dwordx2 v[48:49], v[27:28], off offset:1280
	v_lshlrev_b32_e32 v59, 16, v60
	v_mul_f32_e32 v43, v92, v50
	s_waitcnt vmcnt(9)
	v_lshlrev_b32_e32 v65, 16, v21
	v_and_b32_e32 v21, 0xffff0000, v21
	s_waitcnt lgkmcnt(0)
	v_lshlrev_b32_e32 v64, 16, v2
	v_fmac_f32_e32 v56, v69, v59
	v_fmac_f32_e32 v43, v90, v51
	s_clause 0x1
	global_load_dwordx2 v[50:51], v[27:28], off offset:1536
	global_load_dwordx2 v[27:28], v[27:28], off offset:1792
	v_and_b32_e32 v59, 0xffff0000, v60
	v_lshlrev_b32_e32 v60, 16, v61
	v_and_b32_e32 v61, 0xffff0000, v61
	s_waitcnt vmcnt(10)
	v_lshlrev_b32_e32 v66, 16, v23
	v_and_b32_e32 v23, 0xffff0000, v23
	v_fmac_f32_e32 v57, v93, v59
	v_fmac_f32_e32 v58, v70, v60
	v_lshlrev_b32_e32 v60, 16, v62
	v_and_b32_e32 v62, 0xffff0000, v62
	v_fmac_f32_e32 v43, v94, v61
	s_waitcnt vmcnt(9)
	v_lshlrev_b32_e32 v67, 16, v25
	v_and_b32_e32 v25, 0xffff0000, v25
	v_fmac_f32_e32 v56, v71, v60
	v_lshlrev_b32_e32 v60, 16, v63
	v_fmac_f32_e32 v57, v95, v62
	v_and_b32_e32 v63, 0xffff0000, v63
	v_lshlrev_b32_e32 v62, 16, v22
	v_fmac_f32_e32 v56, v73, v65
	v_fmac_f32_e32 v58, v72, v60
	;; [unrolled: 1-line block ×3, first 2 shown]
	v_and_b32_e32 v22, 0xffff0000, v22
	v_lshlrev_b32_e32 v60, 16, v24
	v_fmac_f32_e32 v43, v96, v63
	v_fmac_f32_e32 v58, v74, v62
	;; [unrolled: 1-line block ×4, first 2 shown]
	v_and_b32_e32 v24, 0xffff0000, v24
	v_lshlrev_b32_e32 v63, 16, v26
	s_waitcnt vmcnt(8)
	v_lshlrev_b32_e32 v68, 16, v29
	v_and_b32_e32 v29, 0xffff0000, v29
	v_fmac_f32_e32 v43, v98, v22
	v_fmac_f32_e32 v58, v76, v60
	;; [unrolled: 1-line block ×4, first 2 shown]
	v_and_b32_e32 v26, 0xffff0000, v26
	v_lshlrev_b32_e32 v65, 16, v30
	s_waitcnt vmcnt(7)
	v_lshlrev_b32_e32 v69, 16, v31
	v_and_b32_e32 v21, 0xffff0000, v31
	v_fmac_f32_e32 v43, v100, v24
	v_fmac_f32_e32 v58, v78, v63
	;; [unrolled: 1-line block ×4, first 2 shown]
	v_and_b32_e32 v30, 0xffff0000, v30
	v_lshlrev_b32_e32 v31, 16, v32
	v_fmac_f32_e32 v43, v102, v26
	v_fmac_f32_e32 v58, v80, v65
	;; [unrolled: 1-line block ×4, first 2 shown]
	v_and_b32_e32 v32, 0xffff0000, v32
	v_fmac_f32_e32 v43, v104, v30
	v_fmac_f32_e32 v58, v82, v31
	v_lshlrev_b32_e32 v59, 16, v1
	v_and_b32_e32 v1, 0xffff0000, v1
	v_lshlrev_b32_e32 v61, 16, v3
	v_fmac_f32_e32 v43, v106, v32
	v_and_b32_e32 v3, 0xffff0000, v3
	v_and_b32_e32 v2, 0xffff0000, v2
	v_lshlrev_b32_e32 v74, 16, v4
	s_waitcnt vmcnt(6)
	v_lshlrev_b32_e32 v70, 16, v33
	v_and_b32_e32 v33, 0xffff0000, v33
	v_lshlrev_b32_e32 v62, 16, v34
	s_waitcnt vmcnt(5)
	v_lshlrev_b32_e32 v71, 16, v35
	v_and_b32_e32 v22, 0xffff0000, v35
	v_fmac_f32_e32 v56, v83, v70
	v_fmac_f32_e32 v57, v107, v33
	v_and_b32_e32 v34, 0xffff0000, v34
	v_lshlrev_b32_e32 v35, 16, v36
	s_waitcnt vmcnt(4)
	v_lshlrev_b32_e32 v72, 16, v37
	v_and_b32_e32 v37, 0xffff0000, v37
	v_fmac_f32_e32 v58, v84, v62
	v_fmac_f32_e32 v56, v85, v71
	v_fmac_f32_e32 v57, v109, v22
	v_and_b32_e32 v36, 0xffff0000, v36
	v_lshlrev_b32_e32 v66, 16, v38
	s_waitcnt vmcnt(3)
	v_lshlrev_b32_e32 v73, 16, v39
	v_and_b32_e32 v23, 0xffff0000, v39
	v_fmac_f32_e32 v43, v108, v34
	v_fmac_f32_e32 v58, v86, v35
	v_fmac_f32_e32 v56, v87, v72
	v_fmac_f32_e32 v57, v111, v37
	v_and_b32_e32 v38, 0xffff0000, v38
	v_lshlrev_b32_e32 v39, 16, v40
	s_waitcnt vmcnt(2)
	v_lshlrev_b32_e32 v60, 16, v48
	v_and_b32_e32 v48, 0xffff0000, v48
	v_fmac_f32_e32 v43, v110, v36
	v_fmac_f32_e32 v58, v88, v66
	v_fmac_f32_e32 v56, v113, v73
	v_fmac_f32_e32 v57, v52, v23
	v_and_b32_e32 v40, 0xffff0000, v40
	v_lshlrev_b32_e32 v24, 16, v49
	s_waitcnt vmcnt(1)
	v_lshlrev_b32_e32 v21, 16, v50
	v_and_b32_e32 v26, 0xffff0000, v50
	v_fmac_f32_e32 v43, v112, v38
	v_fmac_f32_e32 v58, v114, v39
	v_fmac_f32_e32 v56, v60, v115
	;; [unrolled: 1-line block ×3, first 2 shown]
	v_and_b32_e32 v25, 0xffff0000, v49
	v_lshlrev_b32_e32 v22, 16, v51
	s_waitcnt vmcnt(0)
	v_lshlrev_b32_e32 v23, 16, v27
	v_fmac_f32_e32 v43, v53, v40
	v_and_b32_e32 v27, 0xffff0000, v27
	v_fmac_f32_e32 v58, v24, v116
	v_fmac_f32_e32 v56, v21, v59
	;; [unrolled: 1-line block ×3, first 2 shown]
	v_and_b32_e32 v29, 0xffff0000, v51
	v_fmac_f32_e32 v43, v25, v55
	v_lshlrev_b32_e32 v1, 16, v28
	v_fmac_f32_e32 v58, v22, v64
	v_fmac_f32_e32 v56, v23, v61
	;; [unrolled: 1-line block ×4, first 2 shown]
	v_and_b32_e32 v2, 0xffff0000, v4
	v_and_b32_e32 v3, 0xffff0000, v28
	v_fmac_f32_e32 v58, v1, v74
	v_add_f32_e32 v1, v56, v57
	v_cndmask_b32_e64 v4, v8, v14, s3
	v_fmac_f32_e32 v43, v3, v2
	v_add_f32_e32 v1, v1, v58
	v_lshlrev_b32_e32 v2, 2, v4
	v_add_f32_e32 v1, v43, v1
	ds_bpermute_b32 v2, v2, v1
	s_and_saveexec_b32 s45, vcc_lo
	s_cbranch_execz .LBB159_11
; %bb.19:                               ;   in Loop: Header=BB159_13 Depth=1
	v_add_nc_u32_e32 v3, v15, v12
	s_waitcnt lgkmcnt(0)
	v_add_f32_e32 v1, v1, v2
	v_cvt_f32_i32_e32 v3, v3
	v_mul_f32_e32 v3, s40, v3
	v_cndmask_b32_e64 v2, 0, v3, s2
	v_max_f32_e32 v3, v9, v9
	v_fmac_f32_e32 v2, s37, v1
	v_add_nc_u32_e32 v1, v10, v12
	v_max_f32_e32 v3, v3, v2
	v_cmp_gt_i32_e64 s3, s27, v1
	v_cndmask_b32_e64 v1, 0, v2, s3
	v_cndmask_b32_e64 v9, v9, v3, s3
	ds_write_b32 v16, v1
	s_branch .LBB159_11
.LBB159_20:
	s_or_b32 exec_lo, exec_lo, s43
.LBB159_21:
	s_or_b32 exec_lo, exec_lo, s42
	v_xor_b32_e32 v1, 16, v8
	s_waitcnt lgkmcnt(0)
	v_xor_b32_e32 v2, 8, v8
	v_max_f32_e32 v4, v9, v9
	v_and_b32_e32 v48, 31, v0
	v_cmp_gt_i32_e32 vcc_lo, 32, v1
	v_cndmask_b32_e32 v1, v8, v1, vcc_lo
	v_cmp_gt_i32_e32 vcc_lo, 32, v2
	v_lshlrev_b32_e32 v3, 2, v1
	v_cndmask_b32_e32 v2, v8, v2, vcc_lo
	ds_bpermute_b32 v1, v3, v9
	v_lshlrev_b32_e32 v5, 2, v2
	v_lshlrev_b32_e32 v9, 2, v46
	s_waitcnt lgkmcnt(0)
	v_max_f32_e32 v1, v1, v1
	v_max_f32_e32 v1, v4, v1
	v_xor_b32_e32 v4, 4, v8
	ds_bpermute_b32 v2, v5, v1
	v_cmp_gt_i32_e32 vcc_lo, 32, v4
	v_cndmask_b32_e32 v4, v8, v4, vcc_lo
	v_lshlrev_b32_e32 v6, 2, v4
	v_xor_b32_e32 v4, 2, v8
	v_cmp_gt_i32_e32 vcc_lo, 32, v4
	s_waitcnt lgkmcnt(0)
	v_max_f32_e32 v2, v2, v2
	v_cndmask_b32_e32 v4, v8, v4, vcc_lo
	v_cmp_eq_u32_e32 vcc_lo, 0, v48
	v_max_f32_e32 v1, v1, v2
	ds_bpermute_b32 v2, v6, v1
	s_waitcnt lgkmcnt(0)
	v_max_f32_e32 v2, v2, v2
	v_max_f32_e32 v1, v1, v2
	v_lshlrev_b32_e32 v2, 2, v4
	ds_bpermute_b32 v4, v2, v1
	s_and_saveexec_b32 s2, vcc_lo
	s_cbranch_execz .LBB159_23
; %bb.22:
	s_waitcnt lgkmcnt(0)
	v_max_f32_e32 v4, v4, v4
	v_max_f32_e32 v1, v1, v1
	;; [unrolled: 1-line block ×3, first 2 shown]
	ds_write_b32 v9, v1 offset:256
.LBB159_23:
	s_or_b32 exec_lo, exec_lo, s2
	v_cmp_gt_u32_e64 s2, 4, v48
	v_mov_b32_e32 v1, 0xff7fffff
	v_lshlrev_b32_e32 v10, 2, v48
	s_waitcnt lgkmcnt(0)
	s_barrier
	buffer_gl0_inv
	s_and_saveexec_b32 s3, s2
; %bb.24:
	ds_read_b32 v1, v10 offset:256
; %bb.25:
	s_or_b32 exec_lo, exec_lo, s3
	s_waitcnt lgkmcnt(0)
	ds_bpermute_b32 v4, v2, v1
	v_xor_b32_e32 v11, 1, v8
	v_max_f32_e32 v1, v1, v1
	v_cmp_gt_i32_e64 s3, 32, v11
	v_cndmask_b32_e64 v8, v8, v11, s3
	s_sub_i32 s3, s16, s41
	s_lshl_b32 s3, s3, 4
	v_lshlrev_b32_e32 v49, 2, v8
	v_mov_b32_e32 v8, 0
	s_add_i32 s3, s3, s38
	s_min_i32 s3, s3, s27
	s_waitcnt lgkmcnt(0)
	v_max_f32_e32 v4, v4, v4
	s_sub_i32 s5, s3, s38
	v_cmp_gt_i32_e64 s3, s5, v0
	v_max_f32_e32 v1, v1, v4
	ds_bpermute_b32 v4, v49, v1
	s_waitcnt lgkmcnt(0)
	v_max_f32_e32 v4, v4, v4
	v_max_f32_e32 v1, v1, v4
	v_lshl_add_u32 v4, v0, 2, 0x120
	ds_bpermute_b32 v1, v8, v1
	s_and_saveexec_b32 s15, s3
	s_cbranch_execz .LBB159_29
; %bb.26:
	v_lshl_add_u32 v11, v0, 2, 0x120
	v_mov_b32_e32 v8, 0
	v_mov_b32_e32 v12, v0
	s_mov_b32 s37, 0
	.p2align	6
.LBB159_27:                             ; =>This Inner Loop Header: Depth=1
	ds_read_b32 v13, v11
	v_add_nc_u32_e32 v12, 0x80, v12
	v_cmp_le_i32_e64 s4, s5, v12
	s_or_b32 s37, s4, s37
	s_waitcnt lgkmcnt(0)
	v_sub_f32_e32 v13, v13, v1
	v_mul_f32_e32 v13, 0x3fb8aa3b, v13
	v_exp_f32_e32 v13, v13
	ds_write_b32 v11, v13
	v_add_f32_e32 v8, v8, v13
	v_add_nc_u32_e32 v11, 0x200, v11
	s_andn2_b32 exec_lo, exec_lo, s37
	s_cbranch_execnz .LBB159_27
; %bb.28:
	s_or_b32 exec_lo, exec_lo, s37
.LBB159_29:
	s_or_b32 exec_lo, exec_lo, s15
	ds_bpermute_b32 v3, v3, v8
	s_waitcnt lgkmcnt(0)
	v_add_f32_e32 v3, v8, v3
	ds_bpermute_b32 v5, v5, v3
	s_waitcnt lgkmcnt(0)
	v_add_f32_e32 v3, v3, v5
	;; [unrolled: 3-line block ×5, first 2 shown]
	s_and_saveexec_b32 s4, vcc_lo
; %bb.30:
	ds_write_b32 v9, v3 offset:272
; %bb.31:
	s_or_b32 exec_lo, exec_lo, s4
	s_waitcnt lgkmcnt(0)
	s_barrier
	buffer_gl0_inv
	s_and_saveexec_b32 s4, s2
; %bb.32:
	ds_read_b32 v3, v10 offset:272
; %bb.33:
	s_or_b32 exec_lo, exec_lo, s4
	s_waitcnt lgkmcnt(0)
	ds_bpermute_b32 v2, v2, v3
	s_waitcnt lgkmcnt(0)
	v_add_f32_e32 v2, v3, v2
	ds_bpermute_b32 v3, v49, v2
	s_waitcnt lgkmcnt(0)
	v_add_f32_e32 v2, v2, v3
	v_mov_b32_e32 v3, 0
	ds_bpermute_b32 v2, v3, v2
	s_and_saveexec_b32 s2, s3
	s_cbranch_execz .LBB159_36
; %bb.34:
	s_waitcnt lgkmcnt(0)
	v_add_f32_e32 v3, 0x358637bd, v2
	s_mov_b32 s3, 0
	v_div_scale_f32 v5, null, v3, v3, 1.0
	v_div_scale_f32 v9, vcc_lo, 1.0, v3, 1.0
	v_rcp_f32_e32 v6, v5
	v_fma_f32 v8, -v5, v6, 1.0
	v_fmac_f32_e32 v6, v8, v6
	v_mul_f32_e32 v8, v9, v6
	v_fma_f32 v10, -v5, v8, v9
	v_fmac_f32_e32 v8, v10, v6
	v_fma_f32 v5, -v5, v8, v9
	v_div_fmas_f32 v5, v5, v6, v8
	v_div_fixup_f32 v3, v5, v3, 1.0
	v_mov_b32_e32 v5, v0
.LBB159_35:                             ; =>This Inner Loop Header: Depth=1
	ds_read_b32 v6, v4
	v_add_nc_u32_e32 v5, 0x80, v5
	v_cmp_le_i32_e32 vcc_lo, s5, v5
	s_or_b32 s3, vcc_lo, s3
	s_waitcnt lgkmcnt(0)
	v_mul_f32_e32 v6, v3, v6
	ds_write_b32 v4, v6
	v_add_nc_u32_e32 v4, 0x200, v4
	s_andn2_b32 exec_lo, exec_lo, s3
	s_cbranch_execnz .LBB159_35
.LBB159_36:
	s_or_b32 exec_lo, exec_lo, s2
	s_mul_i32 s2, s7, s26
	s_waitcnt lgkmcnt(0)
	s_mul_i32 s4, s2, s9
	s_mov_b32 s2, exec_lo
	s_barrier
	buffer_gl0_inv
	v_cmpx_eq_u32_e32 0, v0
	s_cbranch_execz .LBB159_38
; %bb.37:
	s_ashr_i32 s5, s4, 31
	s_mul_i32 s42, s7, s6
	s_lshl_b64 s[40:41], s[4:5], 2
	v_mov_b32_e32 v3, 0
	s_add_u32 s3, s22, s40
	s_addc_u32 s5, s23, s41
	s_ashr_i32 s43, s42, 31
	s_lshl_b64 s[22:23], s[42:43], 2
	s_add_u32 s3, s3, s22
	s_addc_u32 s5, s5, s23
	s_ashr_i32 s9, s8, 31
	s_lshl_b64 s[42:43], s[8:9], 2
	s_add_u32 s44, s3, s42
	s_addc_u32 s45, s5, s43
	s_add_u32 s3, s20, s40
	s_addc_u32 s5, s21, s41
	;; [unrolled: 2-line block ×4, first 2 shown]
	global_store_dword v3, v1, s[44:45]
	global_store_dword v3, v2, s[20:21]
.LBB159_38:
	s_or_b32 exec_lo, exec_lo, s2
	v_mov_b32_e32 v57, 0
	v_mov_b32_e32 v56, 0
	;; [unrolled: 1-line block ×8, first 2 shown]
	s_and_saveexec_b32 s5, s1
	s_cbranch_execz .LBB159_60
; %bb.39:
	s_ashr_i32 s15, s14, 31
	s_sub_i32 s6, s39, s17
	s_lshl_b64 s[2:3], s[14:15], 1
	v_lshlrev_b32_e32 v4, 4, v0
	s_add_u32 s1, s34, s2
	s_addc_u32 s15, s35, s3
	s_abs_i32 s9, s18
	v_lshlrev_b32_e32 v5, 5, v45
	v_cvt_f32_u32_e32 v1, s9
	s_sub_i32 s2, 0, s9
	v_and_b32_e32 v4, 0x1f0, v4
	s_add_i32 s14, s36, -1
	v_lshl_or_b32 v5, v46, 6, v5
	v_rcp_iflag_f32_e32 v3, v1
	v_lshlrev_b64 v[1:2], 2, v[41:42]
	v_add_co_u32 v60, s1, s1, v4
	v_and_b32_e32 v58, 8, v7
	v_mov_b32_e32 v59, 0
	v_mov_b32_e32 v50, 0
	;; [unrolled: 1-line block ×5, first 2 shown]
	v_mul_f32_e32 v3, 0x4f7ffffe, v3
	v_mov_b32_e32 v54, 0
	v_mov_b32_e32 v55, 0
	;; [unrolled: 1-line block ×3, first 2 shown]
	v_add_co_ci_u32_e64 v61, null, s15, 0, s1
	v_cvt_u32_f32_e32 v3, v3
	v_add_nc_u32_e32 v62, 0x120, v5
	v_mov_b32_e32 v57, 0
	s_mov_b32 s17, s27
	s_mov_b32 s15, 0
	v_mul_lo_u32 v6, s2, v3
	s_lshl_b64 s[2:3], s[30:31], 2
	s_add_u32 s2, s28, s2
	s_addc_u32 s3, s29, s3
	v_add_co_u32 v42, vcc_lo, s2, v1
	v_add_co_ci_u32_e64 v43, null, s3, v2, vcc_lo
	v_mul_hi_u32 v6, v3, v6
	v_add_nc_u32_e32 v63, v3, v6
	s_branch .LBB159_42
.LBB159_40:                             ;   in Loop: Header=BB159_42 Depth=1
	s_or_b32 exec_lo, exec_lo, s3
	s_waitcnt lgkmcnt(1)
	v_bfe_u32 v64, v29, 16, 1
	v_or_b32_e32 v65, 0x400000, v29
	v_bfe_u32 v66, v30, 16, 1
	v_cmp_u_f32_e32 vcc_lo, v29, v29
	v_bfe_u32 v67, v31, 16, 1
	v_add3_u32 v64, v64, v29, 0x7fff
	v_or_b32_e32 v68, 0x400000, v30
	v_add3_u32 v66, v66, v30, 0x7fff
	v_or_b32_e32 v69, 0x400000, v31
	v_add3_u32 v67, v67, v31, 0x7fff
	v_cndmask_b32_e32 v29, v64, v65, vcc_lo
	v_cmp_u_f32_e32 vcc_lo, v30, v30
	v_bfe_u32 v64, v32, 16, 1
	s_waitcnt lgkmcnt(0)
	v_bfe_u32 v65, v25, 16, 1
	v_and_b32_e32 v29, 0xffff0000, v29
	v_cndmask_b32_e32 v30, v66, v68, vcc_lo
	v_cmp_u_f32_e32 vcc_lo, v31, v31
	v_add3_u32 v64, v64, v32, 0x7fff
	v_or_b32_e32 v66, 0x400000, v32
	v_add3_u32 v65, v65, v25, 0x7fff
	v_bfe_u32 v68, v26, 16, 1
	v_cndmask_b32_e32 v31, v67, v69, vcc_lo
	v_cmp_u_f32_e32 vcc_lo, v32, v32
	v_or_b32_e32 v67, 0x400000, v25
	v_and_b32_e32 v31, 0xffff0000, v31
	v_cndmask_b32_e32 v32, v64, v66, vcc_lo
	v_cmp_u_f32_e32 vcc_lo, v25, v25
	v_or_b32_e32 v66, 0x400000, v26
	v_and_b32_e32 v25, 0xffff0000, v30
	s_waitcnt vmcnt(1)
	v_and_b32_e32 v30, 0xffff0000, v37
	v_lshlrev_b32_e32 v37, 16, v37
	v_cndmask_b32_e32 v64, v65, v67, vcc_lo
	v_add3_u32 v65, v68, v26, 0x7fff
	v_bfe_u32 v67, v27, 16, 1
	v_cmp_u_f32_e32 vcc_lo, v26, v26
	v_mul_f32_e32 v30, v25, v30
	v_mul_f32_e32 v37, v29, v37
	v_add3_u32 v26, v67, v27, 0x7fff
	v_cndmask_b32_e32 v65, v65, v66, vcc_lo
	v_or_b32_e32 v66, 0x400000, v27
	v_bfe_u32 v67, v28, 16, 1
	v_cmp_u_f32_e32 vcc_lo, v27, v27
	v_bfe_u32 v68, v30, 16, 1
	v_add3_u32 v27, v67, v28, 0x7fff
	v_cndmask_b32_e32 v66, v26, v66, vcc_lo
	v_or_b32_e32 v67, 0x400000, v28
	v_and_b32_e32 v26, 0xffff0000, v32
	v_and_b32_e32 v32, 0xffff0000, v38
	v_cmp_u_f32_e32 vcc_lo, v28, v28
	v_mul_f32_e32 v69, v26, v32
	v_cndmask_b32_e32 v28, v27, v67, vcc_lo
	v_add3_u32 v27, v68, v30, 0x7fff
	v_or_b32_e32 v67, 0x400000, v30
	v_bfe_u32 v68, v37, 16, 1
	v_lshlrev_b32_e32 v32, 16, v38
	v_cmp_u_f32_e32 vcc_lo, v30, v30
	v_and_b32_e32 v28, 0xffff0000, v28
	v_add3_u32 v30, v68, v37, 0x7fff
	v_bfe_u32 v68, v69, 16, 1
	v_cndmask_b32_e32 v38, v27, v67, vcc_lo
	v_or_b32_e32 v67, 0x400000, v37
	v_mul_f32_e32 v70, v31, v32
	v_cmp_u_f32_e32 vcc_lo, v37, v37
	v_and_b32_e32 v27, 0xffff0000, v65
	v_and_b32_e32 v32, 0xffff0000, v39
	v_or_b32_e32 v65, 0x400000, v69
	v_lshlrev_b32_e32 v39, 16, v39
	v_cndmask_b32_e32 v37, v30, v67, vcc_lo
	v_add3_u32 v30, v68, v69, 0x7fff
	v_bfe_u32 v67, v70, 16, 1
	v_cmp_u_f32_e32 vcc_lo, v69, v69
	v_mul_f32_e32 v68, v27, v32
	v_and_b32_e32 v32, 0xffff0000, v64
	v_and_b32_e32 v69, 0xffff0000, v40
	v_lshlrev_b32_e32 v40, 16, v40
	v_cndmask_b32_e32 v64, v30, v65, vcc_lo
	v_add3_u32 v30, v67, v70, 0x7fff
	v_or_b32_e32 v65, 0x400000, v70
	v_cmp_u_f32_e32 vcc_lo, v70, v70
	v_bfe_u32 v67, v68, 16, 1
	v_mul_f32_e32 v39, v32, v39
	v_mul_f32_e32 v69, v28, v69
	v_and_b32_e32 v37, 0xffff0000, v37
	v_cndmask_b32_e32 v65, v30, v65, vcc_lo
	v_and_b32_e32 v30, 0xffff0000, v66
	v_add3_u32 v67, v67, v68, 0x7fff
	v_bfe_u32 v70, v39, 16, 1
	v_or_b32_e32 v66, 0x400000, v68
	v_cmp_u_f32_e32 vcc_lo, v68, v68
	v_mul_f32_e32 v40, v30, v40
	v_or_b32_e32 v71, 0x400000, v39
	v_add3_u32 v70, v70, v39, 0x7fff
	v_bfe_u32 v72, v69, 16, 1
	v_cndmask_b32_e32 v66, v67, v66, vcc_lo
	v_cmp_u_f32_e32 vcc_lo, v39, v39
	v_bfe_u32 v68, v40, 16, 1
	v_and_b32_e32 v38, 0xffff0000, v38
	v_and_b32_e32 v65, 0xffff0000, v65
	;; [unrolled: 1-line block ×3, first 2 shown]
	v_cndmask_b32_e32 v39, v70, v71, vcc_lo
	v_add3_u32 v68, v68, v40, 0x7fff
	v_or_b32_e32 v71, 0x400000, v40
	v_cmp_u_f32_e32 vcc_lo, v40, v40
	v_add3_u32 v67, v72, v69, 0x7fff
	v_or_b32_e32 v70, 0x400000, v69
	v_add_f32_e32 v37, v37, v38
	v_add_f32_e32 v38, v65, v64
	v_and_b32_e32 v39, 0xffff0000, v39
	v_and_b32_e32 v64, 0xffff0000, v66
	v_cndmask_b32_e32 v40, v68, v71, vcc_lo
	v_cmp_u_f32_e32 vcc_lo, v69, v69
	v_add_f32_e32 v37, v38, v37
	v_add_f32_e32 v38, v39, v64
	v_and_b32_e32 v39, 0xffff0000, v33
	v_cndmask_b32_e32 v65, v67, v70, vcc_lo
	v_and_b32_e32 v40, 0xffff0000, v40
	v_lshlrev_b32_e32 v33, 16, v33
	v_add_f32_e32 v37, v38, v37
	v_mul_f32_e32 v39, v25, v39
	v_and_b32_e32 v64, 0xffff0000, v65
	v_mul_f32_e32 v33, v29, v33
	v_cmp_u_f32_e32 vcc_lo, v39, v39
	v_add_f32_e32 v38, v40, v64
	v_and_b32_e32 v40, 0xffff0000, v34
	v_bfe_u32 v64, v39, 16, 1
	v_bfe_u32 v65, v33, 16, 1
	v_or_b32_e32 v66, 0x400000, v33
	v_add_f32_e32 v37, v38, v37
	v_mul_f32_e32 v38, v26, v40
	v_add3_u32 v40, v64, v39, 0x7fff
	v_or_b32_e32 v64, 0x400000, v39
	v_add3_u32 v65, v65, v33, 0x7fff
	v_lshlrev_b32_e32 v34, 16, v34
	v_bfe_u32 v67, v38, 16, 1
	v_add_f32_e32 v51, v51, v37
	v_cndmask_b32_e32 v39, v40, v64, vcc_lo
	v_cmp_u_f32_e32 vcc_lo, v33, v33
	v_mul_f32_e32 v34, v31, v34
	v_add3_u32 v40, v67, v38, 0x7fff
	v_or_b32_e32 v64, 0x400000, v38
	v_and_b32_e32 v39, 0xffff0000, v39
	v_cndmask_b32_e32 v33, v65, v66, vcc_lo
	v_and_b32_e32 v65, 0xffff0000, v35
	v_cmp_u_f32_e32 vcc_lo, v38, v38
	v_lshlrev_b32_e32 v35, 16, v35
	v_bfe_u32 v66, v34, 16, 1
	v_and_b32_e32 v33, 0xffff0000, v33
	v_cndmask_b32_e32 v38, v40, v64, vcc_lo
	v_mul_f32_e32 v40, v27, v65
	v_mul_f32_e32 v35, v32, v35
	v_add3_u32 v64, v66, v34, 0x7fff
	v_or_b32_e32 v65, 0x400000, v34
	v_and_b32_e32 v66, 0xffff0000, v36
	v_bfe_u32 v67, v40, 16, 1
	v_cmp_u_f32_e32 vcc_lo, v34, v34
	v_bfe_u32 v68, v35, 16, 1
	v_lshlrev_b32_e32 v36, 16, v36
	v_and_b32_e32 v38, 0xffff0000, v38
	v_add_f32_e32 v33, v33, v39
	v_cndmask_b32_e32 v34, v64, v65, vcc_lo
	v_mul_f32_e32 v64, v28, v66
	v_add3_u32 v65, v67, v40, 0x7fff
	v_or_b32_e32 v66, 0x400000, v40
	v_cmp_u_f32_e32 vcc_lo, v40, v40
	v_add3_u32 v67, v68, v35, 0x7fff
	v_or_b32_e32 v68, 0x400000, v35
	v_bfe_u32 v69, v64, 16, 1
	v_and_b32_e32 v34, 0xffff0000, v34
	v_cndmask_b32_e32 v40, v65, v66, vcc_lo
	v_cmp_u_f32_e32 vcc_lo, v35, v35
	v_or_b32_e32 v66, 0x400000, v64
	v_add3_u32 v65, v69, v64, 0x7fff
	v_mul_f32_e32 v36, v30, v36
	v_add_f32_e32 v34, v34, v38
	v_cndmask_b32_e32 v35, v67, v68, vcc_lo
	v_cmp_u_f32_e32 vcc_lo, v64, v64
	v_and_b32_e32 v38, 0xffff0000, v21
	v_and_b32_e32 v39, 0xffff0000, v40
	v_add_f32_e32 v33, v34, v33
	v_and_b32_e32 v35, 0xffff0000, v35
	v_cndmask_b32_e32 v64, v65, v66, vcc_lo
	v_bfe_u32 v65, v36, 16, 1
	v_mul_f32_e32 v34, v25, v38
	v_lshlrev_b32_e32 v21, 16, v21
	v_add_f32_e32 v35, v35, v39
	v_cmp_u_f32_e32 vcc_lo, v36, v36
	v_add3_u32 v40, v65, v36, 0x7fff
	v_or_b32_e32 v65, 0x400000, v36
	v_bfe_u32 v38, v34, 16, 1
	v_add_f32_e32 v33, v35, v33
	v_mul_f32_e32 v21, v29, v21
	v_and_b32_e32 v35, 0xffff0000, v22
	v_cndmask_b32_e32 v36, v40, v65, vcc_lo
	v_add3_u32 v38, v38, v34, 0x7fff
	v_or_b32_e32 v39, 0x400000, v34
	v_bfe_u32 v40, v21, 16, 1
	v_mul_f32_e32 v35, v26, v35
	v_lshlrev_b32_e32 v22, 16, v22
	v_cmp_u_f32_e32 vcc_lo, v34, v34
	v_and_b32_e32 v65, 0xffff0000, v23
	v_lshlrev_b32_e32 v23, 16, v23
	v_and_b32_e32 v66, 0xffff0000, v24
	v_mul_f32_e32 v22, v31, v22
	v_cndmask_b32_e32 v34, v38, v39, vcc_lo
	v_add3_u32 v38, v40, v21, 0x7fff
	v_or_b32_e32 v39, 0x400000, v21
	v_bfe_u32 v40, v35, 16, 1
	v_cmp_u_f32_e32 vcc_lo, v21, v21
	v_mul_f32_e32 v65, v27, v65
	v_mul_f32_e32 v23, v32, v23
	v_lshlrev_b32_e32 v24, 16, v24
	v_and_b32_e32 v34, 0xffff0000, v34
	v_cndmask_b32_e32 v21, v38, v39, vcc_lo
	v_add3_u32 v38, v40, v35, 0x7fff
	v_or_b32_e32 v39, 0x400000, v35
	v_bfe_u32 v40, v22, 16, 1
	v_cmp_u_f32_e32 vcc_lo, v35, v35
	v_mul_f32_e32 v24, v30, v24
	v_or_b32_e32 v67, 0x400000, v23
	v_and_b32_e32 v21, 0xffff0000, v21
	v_and_b32_e32 v36, 0xffff0000, v36
	v_cndmask_b32_e32 v35, v38, v39, vcc_lo
	v_add3_u32 v38, v40, v22, 0x7fff
	v_or_b32_e32 v39, 0x400000, v22
	v_bfe_u32 v40, v65, 16, 1
	v_cmp_u_f32_e32 vcc_lo, v22, v22
	v_bfe_u32 v69, v24, 16, 1
	v_and_b32_e32 v35, 0xffff0000, v35
	v_add_f32_e32 v21, v21, v34
	v_cndmask_b32_e32 v22, v38, v39, vcc_lo
	v_bfe_u32 v38, v23, 16, 1
	v_add3_u32 v39, v40, v65, 0x7fff
	v_mul_f32_e32 v40, v28, v66
	v_or_b32_e32 v66, 0x400000, v65
	v_cmp_u_f32_e32 vcc_lo, v65, v65
	v_add3_u32 v38, v38, v23, 0x7fff
	v_add3_u32 v65, v69, v24, 0x7fff
	v_bfe_u32 v68, v40, 16, 1
	v_and_b32_e32 v22, 0xffff0000, v22
	v_cndmask_b32_e32 v39, v39, v66, vcc_lo
	v_cmp_u_f32_e32 vcc_lo, v23, v23
	v_or_b32_e32 v66, 0x400000, v24
	v_add_f32_e32 v22, v22, v35
	v_and_b32_e32 v34, 0xffff0000, v39
	v_cndmask_b32_e32 v23, v38, v67, vcc_lo
	v_cmp_u_f32_e32 vcc_lo, v24, v24
	v_add3_u32 v38, v68, v40, 0x7fff
	v_or_b32_e32 v67, 0x400000, v40
	v_add_f32_e32 v21, v22, v21
	v_and_b32_e32 v23, 0xffff0000, v23
	v_cndmask_b32_e32 v24, v65, v66, vcc_lo
	v_cmp_u_f32_e32 vcc_lo, v40, v40
	v_add_f32_e32 v22, v23, v34
	v_and_b32_e32 v23, 0xffff0000, v24
	v_cndmask_b32_e32 v35, v38, v67, vcc_lo
	v_and_b32_e32 v38, 0xffff0000, v64
	v_and_b32_e32 v34, 0xffff0000, v17
	v_lshlrev_b32_e32 v17, 16, v17
	v_add_f32_e32 v21, v22, v21
	v_and_b32_e32 v24, 0xffff0000, v35
	v_add_f32_e32 v35, v36, v38
	v_mul_f32_e32 v17, v29, v17
	v_add_f32_e32 v22, v23, v24
	v_mul_f32_e32 v23, v25, v34
	v_add_f32_e32 v24, v35, v33
	v_and_b32_e32 v33, 0xffff0000, v18
	v_lshlrev_b32_e32 v18, 16, v18
	v_add_f32_e32 v21, v22, v21
	v_bfe_u32 v22, v23, 16, 1
	v_add_f32_e32 v52, v52, v24
	v_bfe_u32 v24, v17, 16, 1
	v_mul_f32_e32 v33, v26, v33
	v_add_f32_e32 v53, v53, v21
	v_add3_u32 v21, v22, v23, 0x7fff
	v_or_b32_e32 v22, 0x400000, v23
	v_cmp_u_f32_e32 vcc_lo, v23, v23
	v_add3_u32 v24, v24, v17, 0x7fff
	v_or_b32_e32 v34, 0x400000, v17
	v_mul_f32_e32 v18, v31, v18
	v_and_b32_e32 v23, 0xffff0000, v19
	v_cndmask_b32_e32 v21, v21, v22, vcc_lo
	v_bfe_u32 v22, v33, 16, 1
	v_cmp_u_f32_e32 vcc_lo, v17, v17
	v_lshlrev_b32_e32 v19, 16, v19
	v_mul_f32_e32 v23, v27, v23
	v_and_b32_e32 v35, 0xffff0000, v20
	v_add3_u32 v22, v22, v33, 0x7fff
	v_cndmask_b32_e32 v17, v24, v34, vcc_lo
	v_or_b32_e32 v24, 0x400000, v33
	v_bfe_u32 v34, v18, 16, 1
	v_cmp_u_f32_e32 vcc_lo, v33, v33
	v_mul_f32_e32 v19, v32, v19
	v_or_b32_e32 v33, 0x400000, v18
	v_lshlrev_b32_e32 v20, 16, v20
	v_and_b32_e32 v17, 0xffff0000, v17
	v_cndmask_b32_e32 v22, v22, v24, vcc_lo
	v_add3_u32 v24, v34, v18, 0x7fff
	v_bfe_u32 v34, v23, 16, 1
	v_cmp_u_f32_e32 vcc_lo, v18, v18
	v_bfe_u32 v36, v19, 16, 1
	v_mul_f32_e32 v20, v30, v20
	v_and_b32_e32 v21, 0xffff0000, v21
	v_and_b32_e32 v22, 0xffff0000, v22
	v_cndmask_b32_e32 v18, v24, v33, vcc_lo
	v_add3_u32 v24, v34, v23, 0x7fff
	v_mul_f32_e32 v33, v28, v35
	v_or_b32_e32 v34, 0x400000, v23
	v_cmp_u_f32_e32 vcc_lo, v23, v23
	v_add3_u32 v35, v36, v19, 0x7fff
	v_or_b32_e32 v36, 0x400000, v19
	v_bfe_u32 v37, v33, 16, 1
	v_and_b32_e32 v18, 0xffff0000, v18
	v_cndmask_b32_e32 v23, v24, v34, vcc_lo
	v_cmp_u_f32_e32 vcc_lo, v19, v19
	v_or_b32_e32 v34, 0x400000, v33
	v_add3_u32 v24, v37, v33, 0x7fff
	v_add_f32_e32 v17, v17, v21
	v_add_f32_e32 v18, v18, v22
	v_cndmask_b32_e32 v19, v35, v36, vcc_lo
	v_bfe_u32 v35, v20, 16, 1
	v_cmp_u_f32_e32 vcc_lo, v33, v33
	v_and_b32_e32 v22, 0xffff0000, v13
	v_and_b32_e32 v21, 0xffff0000, v23
	;; [unrolled: 1-line block ×3, first 2 shown]
	v_add3_u32 v33, v35, v20, 0x7fff
	v_cndmask_b32_e32 v24, v24, v34, vcc_lo
	v_or_b32_e32 v34, 0x400000, v20
	v_cmp_u_f32_e32 vcc_lo, v20, v20
	v_lshlrev_b32_e32 v13, 16, v13
	v_add_f32_e32 v17, v18, v17
	v_mul_f32_e32 v18, v25, v22
	v_add_f32_e32 v19, v19, v21
	v_cndmask_b32_e32 v20, v33, v34, vcc_lo
	v_mul_f32_e32 v21, v29, v13
	v_and_b32_e32 v22, 0xffff0000, v24
	v_bfe_u32 v23, v18, 16, 1
	v_and_b32_e32 v24, 0xffff0000, v14
	v_and_b32_e32 v20, 0xffff0000, v20
	v_add_f32_e32 v13, v19, v17
	v_bfe_u32 v19, v21, 16, 1
	v_lshlrev_b32_e32 v14, 16, v14
	v_cmp_u_f32_e32 vcc_lo, v18, v18
	v_add_f32_e32 v17, v20, v22
	v_add3_u32 v20, v23, v18, 0x7fff
	v_or_b32_e32 v22, 0x400000, v18
	v_mul_f32_e32 v23, v26, v24
	v_add3_u32 v19, v19, v21, 0x7fff
	v_or_b32_e32 v24, 0x400000, v21
	v_mul_f32_e32 v14, v31, v14
	v_cndmask_b32_e32 v18, v20, v22, vcc_lo
	v_bfe_u32 v20, v23, 16, 1
	v_cmp_u_f32_e32 vcc_lo, v21, v21
	v_and_b32_e32 v21, 0xffff0000, v15
	v_or_b32_e32 v22, 0x400000, v23
	v_lshlrev_b32_e32 v15, 16, v15
	v_add3_u32 v20, v20, v23, 0x7fff
	v_cndmask_b32_e32 v19, v19, v24, vcc_lo
	v_bfe_u32 v24, v14, 16, 1
	v_mul_f32_e32 v21, v27, v21
	v_cmp_u_f32_e32 vcc_lo, v23, v23
	v_mul_f32_e32 v15, v32, v15
	v_or_b32_e32 v23, 0x400000, v14
	v_and_b32_e32 v33, 0xffff0000, v16
	v_lshlrev_b32_e32 v16, 16, v16
	v_cndmask_b32_e32 v20, v20, v22, vcc_lo
	v_add3_u32 v22, v24, v14, 0x7fff
	v_bfe_u32 v24, v21, 16, 1
	v_cmp_u_f32_e32 vcc_lo, v14, v14
	v_bfe_u32 v34, v15, 16, 1
	v_mul_f32_e32 v16, v30, v16
	v_and_b32_e32 v19, 0xffff0000, v19
	v_and_b32_e32 v18, 0xffff0000, v18
	v_cndmask_b32_e32 v14, v22, v23, vcc_lo
	v_add3_u32 v22, v24, v21, 0x7fff
	v_mul_f32_e32 v23, v28, v33
	v_or_b32_e32 v24, 0x400000, v21
	v_cmp_u_f32_e32 vcc_lo, v21, v21
	v_add3_u32 v33, v34, v15, 0x7fff
	v_or_b32_e32 v34, 0x400000, v15
	v_bfe_u32 v35, v23, 16, 1
	v_and_b32_e32 v14, 0xffff0000, v14
	v_cndmask_b32_e32 v21, v22, v24, vcc_lo
	v_cmp_u_f32_e32 vcc_lo, v15, v15
	v_or_b32_e32 v24, 0x400000, v23
	v_add3_u32 v22, v35, v23, 0x7fff
	v_and_b32_e32 v20, 0xffff0000, v20
	v_add_f32_e32 v18, v19, v18
	v_cndmask_b32_e32 v15, v33, v34, vcc_lo
	v_bfe_u32 v33, v16, 16, 1
	v_cmp_u_f32_e32 vcc_lo, v23, v23
	v_add_f32_e32 v14, v14, v20
	v_and_b32_e32 v20, 0xffff0000, v5
	v_and_b32_e32 v15, 0xffff0000, v15
	v_add3_u32 v23, v33, v16, 0x7fff
	v_cndmask_b32_e32 v22, v22, v24, vcc_lo
	v_or_b32_e32 v24, 0x400000, v16
	v_cmp_u_f32_e32 vcc_lo, v16, v16
	v_and_b32_e32 v19, 0xffff0000, v21
	v_lshlrev_b32_e32 v5, 16, v5
	v_add_f32_e32 v14, v14, v18
	v_mul_f32_e32 v18, v25, v20
	v_cndmask_b32_e32 v16, v23, v24, vcc_lo
	v_add_f32_e32 v15, v15, v19
	v_mul_f32_e32 v19, v29, v5
	v_and_b32_e32 v20, 0xffff0000, v22
	v_and_b32_e32 v21, 0xffff0000, v6
	;; [unrolled: 1-line block ×3, first 2 shown]
	v_bfe_u32 v22, v18, 16, 1
	v_add_f32_e32 v5, v15, v14
	v_bfe_u32 v15, v19, 16, 1
	v_cmp_u_f32_e32 vcc_lo, v18, v18
	v_add_f32_e32 v14, v16, v20
	v_mul_f32_e32 v16, v26, v21
	v_add3_u32 v20, v22, v18, 0x7fff
	v_or_b32_e32 v21, 0x400000, v18
	v_add3_u32 v15, v15, v19, 0x7fff
	v_or_b32_e32 v22, 0x400000, v19
	v_bfe_u32 v23, v16, 16, 1
	v_lshlrev_b32_e32 v6, 16, v6
	v_cndmask_b32_e32 v18, v20, v21, vcc_lo
	v_cmp_u_f32_e32 vcc_lo, v19, v19
	v_or_b32_e32 v20, 0x400000, v16
	v_add3_u32 v19, v23, v16, 0x7fff
	v_mul_f32_e32 v6, v31, v6
	v_and_b32_e32 v21, 0xffff0000, v7
	v_cndmask_b32_e32 v15, v15, v22, vcc_lo
	v_cmp_u_f32_e32 vcc_lo, v16, v16
	v_lshlrev_b32_e32 v7, 16, v7
	v_bfe_u32 v22, v6, 16, 1
	v_and_b32_e32 v18, 0xffff0000, v18
	v_and_b32_e32 v15, 0xffff0000, v15
	v_cndmask_b32_e32 v16, v19, v20, vcc_lo
	v_mul_f32_e32 v19, v27, v21
	v_mul_f32_e32 v7, v32, v7
	v_add3_u32 v20, v22, v6, 0x7fff
	v_or_b32_e32 v21, 0x400000, v6
	v_and_b32_e32 v22, 0xffff0000, v8
	v_bfe_u32 v23, v19, 16, 1
	v_cmp_u_f32_e32 vcc_lo, v6, v6
	v_bfe_u32 v24, v7, 16, 1
	v_lshlrev_b32_e32 v8, 16, v8
	v_and_b32_e32 v16, 0xffff0000, v16
	v_add_f32_e32 v15, v15, v18
	v_cndmask_b32_e32 v6, v20, v21, vcc_lo
	v_mul_f32_e32 v20, v28, v22
	v_add3_u32 v21, v23, v19, 0x7fff
	v_or_b32_e32 v22, 0x400000, v19
	v_cmp_u_f32_e32 vcc_lo, v19, v19
	v_add3_u32 v23, v24, v7, 0x7fff
	v_or_b32_e32 v24, 0x400000, v7
	v_bfe_u32 v33, v20, 16, 1
	v_and_b32_e32 v6, 0xffff0000, v6
	v_cndmask_b32_e32 v19, v21, v22, vcc_lo
	v_cmp_u_f32_e32 vcc_lo, v7, v7
	v_or_b32_e32 v22, 0x400000, v20
	v_add3_u32 v21, v33, v20, 0x7fff
	v_mul_f32_e32 v8, v30, v8
	v_add_f32_e32 v6, v6, v16
	v_cndmask_b32_e32 v7, v23, v24, vcc_lo
	v_cmp_u_f32_e32 vcc_lo, v20, v20
	v_and_b32_e32 v16, 0xffff0000, v1
	v_and_b32_e32 v18, 0xffff0000, v19
	v_add_f32_e32 v6, v6, v15
	v_and_b32_e32 v7, 0xffff0000, v7
	v_cndmask_b32_e32 v20, v21, v22, vcc_lo
	v_bfe_u32 v21, v8, 16, 1
	v_mul_f32_e32 v15, v25, v16
	v_lshlrev_b32_e32 v1, 16, v1
	v_add_f32_e32 v7, v7, v18
	v_cmp_u_f32_e32 vcc_lo, v8, v8
	v_add3_u32 v19, v21, v8, 0x7fff
	v_or_b32_e32 v21, 0x400000, v8
	v_bfe_u32 v16, v15, 16, 1
	v_add_f32_e32 v6, v7, v6
	v_and_b32_e32 v7, 0xffff0000, v2
	v_mul_f32_e32 v1, v29, v1
	v_cndmask_b32_e32 v8, v19, v21, vcc_lo
	v_add3_u32 v16, v16, v15, 0x7fff
	v_or_b32_e32 v18, 0x400000, v15
	v_mul_f32_e32 v7, v26, v7
	v_and_b32_e32 v19, 0xffff0000, v20
	v_bfe_u32 v20, v1, 16, 1
	v_cmp_u_f32_e32 vcc_lo, v15, v15
	v_lshlrev_b32_e32 v2, 16, v2
	v_or_b32_e32 v21, 0x400000, v1
	v_or_b32_e32 v22, 0x400000, v7
	v_and_b32_e32 v8, 0xffff0000, v8
	v_cndmask_b32_e32 v15, v16, v18, vcc_lo
	v_bfe_u32 v16, v7, 16, 1
	v_add3_u32 v18, v20, v1, 0x7fff
	v_and_b32_e32 v20, 0xffff0000, v3
	v_mul_f32_e32 v2, v31, v2
	v_cmp_u_f32_e32 vcc_lo, v1, v1
	v_add3_u32 v16, v16, v7, 0x7fff
	v_lshlrev_b32_e32 v3, 16, v3
	v_mul_f32_e32 v20, v27, v20
	v_and_b32_e32 v15, 0xffff0000, v15
	v_cndmask_b32_e32 v1, v18, v21, vcc_lo
	v_bfe_u32 v18, v2, 16, 1
	v_cmp_u_f32_e32 vcc_lo, v7, v7
	v_and_b32_e32 v21, 0xffff0000, v4
	v_mul_f32_e32 v3, v32, v3
	v_or_b32_e32 v23, 0x400000, v20
	v_add3_u32 v18, v18, v2, 0x7fff
	v_cndmask_b32_e32 v7, v16, v22, vcc_lo
	v_bfe_u32 v16, v20, 16, 1
	v_or_b32_e32 v22, 0x400000, v2
	v_cmp_u_f32_e32 vcc_lo, v2, v2
	v_mul_f32_e32 v21, v28, v21
	v_lshlrev_b32_e32 v4, 16, v4
	v_add3_u32 v16, v16, v20, 0x7fff
	v_and_b32_e32 v1, 0xffff0000, v1
	v_cndmask_b32_e32 v2, v18, v22, vcc_lo
	v_bfe_u32 v18, v3, 16, 1
	v_cmp_u_f32_e32 vcc_lo, v20, v20
	v_bfe_u32 v22, v21, 16, 1
	v_or_b32_e32 v20, 0x400000, v3
	v_mul_f32_e32 v4, v30, v4
	v_add3_u32 v18, v18, v3, 0x7fff
	v_cndmask_b32_e32 v16, v16, v23, vcc_lo
	v_cmp_u_f32_e32 vcc_lo, v3, v3
	v_add3_u32 v22, v22, v21, 0x7fff
	v_or_b32_e32 v23, 0x400000, v21
	v_and_b32_e32 v2, 0xffff0000, v2
	v_and_b32_e32 v7, 0xffff0000, v7
	v_cndmask_b32_e32 v3, v18, v20, vcc_lo
	v_cmp_u_f32_e32 vcc_lo, v21, v21
	v_bfe_u32 v20, v4, 16, 1
	v_add_f32_e32 v1, v1, v15
	v_add_f32_e32 v2, v2, v7
	v_and_b32_e32 v3, 0xffff0000, v3
	v_cndmask_b32_e32 v18, v22, v23, vcc_lo
	s_waitcnt vmcnt(0)
	v_lshlrev_b32_e32 v22, 16, v9
	v_and_b32_e32 v7, 0xffff0000, v16
	v_and_b32_e32 v9, 0xffff0000, v9
	v_add3_u32 v20, v20, v4, 0x7fff
	v_or_b32_e32 v21, 0x400000, v4
	v_mul_f32_e32 v15, v29, v22
	v_cmp_u_f32_e32 vcc_lo, v4, v4
	v_add_f32_e32 v1, v2, v1
	v_add_f32_e32 v3, v3, v7
	v_mul_f32_e32 v7, v25, v9
	v_bfe_u32 v2, v15, 16, 1
	v_lshlrev_b32_e32 v9, 16, v10
	v_cndmask_b32_e32 v4, v20, v21, vcc_lo
	v_or_b32_e32 v16, 0x400000, v15
	v_bfe_u32 v20, v7, 16, 1
	v_add3_u32 v2, v2, v15, 0x7fff
	v_mul_f32_e32 v9, v31, v9
	v_and_b32_e32 v10, 0xffff0000, v10
	v_cmp_u_f32_e32 vcc_lo, v15, v15
	v_add3_u32 v15, v20, v7, 0x7fff
	v_lshlrev_b32_e32 v21, 16, v11
	v_bfe_u32 v20, v9, 16, 1
	v_mul_f32_e32 v10, v26, v10
	v_cndmask_b32_e32 v2, v2, v16, vcc_lo
	v_or_b32_e32 v16, 0x400000, v7
	v_cmp_u_f32_e32 vcc_lo, v7, v7
	v_mul_f32_e32 v21, v32, v21
	v_and_b32_e32 v11, 0xffff0000, v11
	v_lshlrev_b32_e32 v22, 16, v12
	v_and_b32_e32 v12, 0xffff0000, v12
	v_cndmask_b32_e32 v7, v15, v16, vcc_lo
	v_add3_u32 v15, v20, v9, 0x7fff
	v_or_b32_e32 v16, 0x400000, v9
	v_bfe_u32 v20, v10, 16, 1
	v_cmp_u_f32_e32 vcc_lo, v9, v9
	v_mul_f32_e32 v11, v27, v11
	v_mul_f32_e32 v12, v28, v12
	v_and_b32_e32 v7, 0xffff0000, v7
	v_and_b32_e32 v2, 0xffff0000, v2
	v_cndmask_b32_e32 v9, v15, v16, vcc_lo
	v_add3_u32 v15, v20, v10, 0x7fff
	v_or_b32_e32 v16, 0x400000, v10
	v_bfe_u32 v20, v21, 16, 1
	v_cmp_u_f32_e32 vcc_lo, v10, v10
	v_or_b32_e32 v23, 0x400000, v11
	v_bfe_u32 v25, v12, 16, 1
	v_and_b32_e32 v9, 0xffff0000, v9
	v_add_f32_e32 v2, v2, v7
	v_cndmask_b32_e32 v10, v15, v16, vcc_lo
	v_bfe_u32 v15, v11, 16, 1
	v_add3_u32 v16, v20, v21, 0x7fff
	v_mul_f32_e32 v20, v30, v22
	v_or_b32_e32 v22, 0x400000, v21
	v_cmp_u_f32_e32 vcc_lo, v21, v21
	v_add3_u32 v15, v15, v11, 0x7fff
	v_add3_u32 v21, v25, v12, 0x7fff
	v_bfe_u32 v24, v20, 16, 1
	v_and_b32_e32 v10, 0xffff0000, v10
	v_cndmask_b32_e32 v16, v16, v22, vcc_lo
	v_cmp_u_f32_e32 vcc_lo, v11, v11
	v_or_b32_e32 v22, 0x400000, v12
	v_and_b32_e32 v4, 0xffff0000, v4
	v_add_f32_e32 v7, v9, v10
	v_and_b32_e32 v10, 0xffff0000, v16
	v_cndmask_b32_e32 v11, v15, v23, vcc_lo
	v_cmp_u_f32_e32 vcc_lo, v12, v12
	v_add3_u32 v15, v24, v20, 0x7fff
	v_or_b32_e32 v23, 0x400000, v20
	v_add_f32_e32 v2, v7, v2
	v_and_b32_e32 v9, 0xffff0000, v11
	v_cndmask_b32_e32 v12, v21, v22, vcc_lo
	v_cmp_u_f32_e32 vcc_lo, v20, v20
	v_add_f32_e32 v8, v8, v19
	v_add_f32_e32 v1, v3, v1
	;; [unrolled: 1-line block ×3, first 2 shown]
	v_and_b32_e32 v9, 0xffff0000, v12
	v_cndmask_b32_e32 v11, v15, v23, vcc_lo
	v_and_b32_e32 v15, 0xffff0000, v18
	v_add_f32_e32 v5, v14, v5
	v_add_f32_e32 v2, v7, v2
	;; [unrolled: 1-line block ×3, first 2 shown]
	v_and_b32_e32 v10, 0xffff0000, v11
	v_add_f32_e32 v3, v4, v15
	v_add_f32_e32 v6, v8, v6
	;; [unrolled: 1-line block ×10, first 2 shown]
.LBB159_41:                             ;   in Loop: Header=BB159_42 Depth=1
	s_or_b32 exec_lo, exec_lo, s18
	v_add_nc_u32_e32 v41, 4, v41
	v_add_co_u32 v42, s1, v42, 16
	v_add_co_ci_u32_e64 v43, null, 0, v43, s1
	v_cmp_le_i32_e32 vcc_lo, s16, v41
	v_add_nc_u32_e32 v47, 64, v47
	v_add_nc_u32_e32 v62, 0x100, v62
	s_or_b32 s15, vcc_lo, s15
	s_andn2_b32 exec_lo, exec_lo, s15
	s_cbranch_execz .LBB159_59
.LBB159_42:                             ; =>This Inner Loop Header: Depth=1
	v_sub_nc_u32_e32 v1, 0, v47
	v_max_i32_e32 v1, v47, v1
	v_mul_hi_u32 v2, v1, s12
	v_mul_lo_u32 v3, v2, s11
	v_sub_nc_u32_e32 v1, v1, v3
	v_add_nc_u32_e32 v3, 1, v2
	v_subrev_nc_u32_e32 v4, s11, v1
	v_cmp_le_u32_e32 vcc_lo, s11, v1
	v_cndmask_b32_e32 v2, v2, v3, vcc_lo
	v_cndmask_b32_e32 v1, v1, v4, vcc_lo
	v_ashrrev_i32_e32 v3, 31, v47
	v_add_nc_u32_e32 v4, 1, v2
	v_cmp_le_u32_e32 vcc_lo, s11, v1
	v_xor_b32_e32 v3, s19, v3
	v_cndmask_b32_e32 v1, v2, v4, vcc_lo
	v_xor_b32_e32 v1, v1, v3
	v_sub_nc_u32_e32 v1, v1, v3
	v_add_nc_u32_e32 v2, s33, v1
	v_cmp_lt_i32_e64 s1, s6, v1
	v_sub_nc_u32_e32 v3, 0, v2
	v_max_i32_e32 v3, v2, v3
	v_ashrrev_i32_e32 v2, 31, v2
	v_mul_hi_u32 v4, v3, v63
	v_mul_lo_u32 v4, v4, s9
	v_sub_nc_u32_e32 v3, v3, v4
	v_subrev_nc_u32_e32 v4, s9, v3
	v_cmp_le_u32_e32 vcc_lo, s9, v3
	v_cndmask_b32_e32 v3, v3, v4, vcc_lo
	v_subrev_nc_u32_e32 v4, s9, v3
	v_cmp_le_u32_e32 vcc_lo, s9, v3
	v_cndmask_b32_e32 v3, v3, v4, vcc_lo
	v_xor_b32_e32 v3, v3, v2
	v_sub_nc_u32_e32 v2, v3, v2
	v_cmp_eq_u32_e32 vcc_lo, 0, v2
	s_or_b32 s1, vcc_lo, s1
	s_and_saveexec_b32 s18, s1
	s_cbranch_execz .LBB159_41
; %bb.43:                               ;   in Loop: Header=BB159_42 Depth=1
	global_load_dword v1, v[42:43], off
	v_add_nc_u32_e32 v68, v58, v47
	v_cmp_eq_u32_e64 s1, s14, v41
	v_add_nc_u32_e32 v71, 1, v68
	v_or_b32_e32 v69, 3, v68
	v_or_b32_e32 v70, 2, v68
	;; [unrolled: 1-line block ×6, first 2 shown]
	s_waitcnt vmcnt(0)
	v_mad_i64_i32 v[1:2], null, v1, s13, 0
	v_lshlrev_b64 v[1:2], 1, v[1:2]
	v_add_co_u32 v9, vcc_lo, v60, v1
	v_add_co_ci_u32_e64 v10, null, v61, v2, vcc_lo
	global_load_dwordx4 v[1:4], v[9:10], off
	ds_read2_b64 v[29:32], v62 offset1:1
	ds_read2_b64 v[25:28], v62 offset0:2 offset1:3
	s_and_saveexec_b32 s20, s1
	s_cbranch_execnz .LBB159_52
; %bb.44:                               ;   in Loop: Header=BB159_42 Depth=1
	s_or_b32 exec_lo, exec_lo, s20
	global_load_dwordx4 v[5:8], v[9:10], off offset:512
	s_and_saveexec_b32 s20, s1
	s_cbranch_execnz .LBB159_53
.LBB159_45:                             ;   in Loop: Header=BB159_42 Depth=1
	s_or_b32 exec_lo, exec_lo, s20
	global_load_dwordx4 v[13:16], v[9:10], off offset:1024
	s_and_saveexec_b32 s20, s1
	s_cbranch_execnz .LBB159_54
.LBB159_46:                             ;   in Loop: Header=BB159_42 Depth=1
	s_or_b32 exec_lo, exec_lo, s20
	global_load_dwordx4 v[17:20], v[9:10], off offset:1536
	s_and_saveexec_b32 s20, s1
	s_cbranch_execz .LBB159_48
.LBB159_47:                             ;   in Loop: Header=BB159_42 Depth=1
	v_cmp_gt_i32_e64 s2, s27, v68
	v_cmp_gt_i32_e32 vcc_lo, s17, v71
	v_cmp_gt_i32_e64 s3, s27, v70
	s_waitcnt vmcnt(0)
	v_cndmask_b32_e64 v11, 0, v17, s2
	v_cmp_gt_i32_e64 s2, s17, v69
	v_cndmask_b32_sdwa v17, v59, v17, vcc_lo dst_sel:DWORD dst_unused:UNUSED_PAD src0_sel:DWORD src1_sel:WORD_1
	v_cndmask_b32_e64 v12, 0, v18, s3
	v_cmp_gt_i32_e64 s3, s17, v67
	s_mov_b32 vcc_lo, s2
	v_cmp_gt_i32_e64 s2, s17, v65
	v_cndmask_b32_sdwa v18, v59, v18, vcc_lo dst_sel:DWORD dst_unused:UNUSED_PAD src0_sel:DWORD src1_sel:WORD_1
	v_cmp_gt_i32_e32 vcc_lo, s27, v66
	v_perm_b32 v17, v17, v11, 0x5040100
	v_perm_b32 v18, v18, v12, 0x5040100
	v_cndmask_b32_e32 v21, 0, v19, vcc_lo
	s_mov_b32 vcc_lo, s3
	v_cndmask_b32_sdwa v19, v59, v19, vcc_lo dst_sel:DWORD dst_unused:UNUSED_PAD src0_sel:DWORD src1_sel:WORD_1
	v_cmp_gt_i32_e32 vcc_lo, s27, v64
	v_perm_b32 v19, v19, v21, 0x5040100
	v_cndmask_b32_e32 v22, 0, v20, vcc_lo
	s_mov_b32 vcc_lo, s2
	v_cndmask_b32_sdwa v20, v59, v20, vcc_lo dst_sel:DWORD dst_unused:UNUSED_PAD src0_sel:DWORD src1_sel:WORD_1
	v_perm_b32 v20, v20, v22, 0x5040100
.LBB159_48:                             ;   in Loop: Header=BB159_42 Depth=1
	s_or_b32 exec_lo, exec_lo, s20
	v_add_co_u32 v9, vcc_lo, 0x800, v9
	v_add_co_ci_u32_e64 v10, null, 0, v10, vcc_lo
	global_load_dwordx4 v[21:24], v[9:10], off
	s_and_saveexec_b32 s20, s1
	s_cbranch_execnz .LBB159_55
; %bb.49:                               ;   in Loop: Header=BB159_42 Depth=1
	s_or_b32 exec_lo, exec_lo, s20
	global_load_dwordx4 v[33:36], v[9:10], off offset:512
	s_and_saveexec_b32 s20, s1
	s_cbranch_execnz .LBB159_56
.LBB159_50:                             ;   in Loop: Header=BB159_42 Depth=1
	s_or_b32 exec_lo, exec_lo, s20
	global_load_dwordx4 v[37:40], v[9:10], off offset:1024
	s_and_saveexec_b32 s20, s1
	s_cbranch_execnz .LBB159_57
.LBB159_51:                             ;   in Loop: Header=BB159_42 Depth=1
	s_or_b32 exec_lo, exec_lo, s20
	global_load_dwordx4 v[9:12], v[9:10], off offset:1536
	s_and_saveexec_b32 s3, s1
	s_cbranch_execz .LBB159_40
	s_branch .LBB159_58
.LBB159_52:                             ;   in Loop: Header=BB159_42 Depth=1
	v_cmp_gt_i32_e64 s2, s27, v68
	v_cmp_gt_i32_e32 vcc_lo, s17, v71
	v_cmp_gt_i32_e64 s3, s27, v70
	s_waitcnt vmcnt(0)
	v_cndmask_b32_e64 v5, 0, v1, s2
	v_cmp_gt_i32_e64 s2, s17, v69
	v_cndmask_b32_sdwa v1, v59, v1, vcc_lo dst_sel:DWORD dst_unused:UNUSED_PAD src0_sel:DWORD src1_sel:WORD_1
	v_cndmask_b32_e64 v6, 0, v2, s3
	v_cmp_gt_i32_e64 s3, s17, v67
	s_mov_b32 vcc_lo, s2
	v_cmp_gt_i32_e64 s2, s17, v65
	v_cndmask_b32_sdwa v2, v59, v2, vcc_lo dst_sel:DWORD dst_unused:UNUSED_PAD src0_sel:DWORD src1_sel:WORD_1
	v_cmp_gt_i32_e32 vcc_lo, s27, v66
	v_perm_b32 v1, v1, v5, 0x5040100
	v_perm_b32 v2, v2, v6, 0x5040100
	v_cndmask_b32_e32 v7, 0, v3, vcc_lo
	s_mov_b32 vcc_lo, s3
	v_cndmask_b32_sdwa v3, v59, v3, vcc_lo dst_sel:DWORD dst_unused:UNUSED_PAD src0_sel:DWORD src1_sel:WORD_1
	v_cmp_gt_i32_e32 vcc_lo, s27, v64
	v_perm_b32 v3, v3, v7, 0x5040100
	v_cndmask_b32_e32 v8, 0, v4, vcc_lo
	s_mov_b32 vcc_lo, s2
	v_cndmask_b32_sdwa v4, v59, v4, vcc_lo dst_sel:DWORD dst_unused:UNUSED_PAD src0_sel:DWORD src1_sel:WORD_1
	v_perm_b32 v4, v4, v8, 0x5040100
	s_or_b32 exec_lo, exec_lo, s20
	global_load_dwordx4 v[5:8], v[9:10], off offset:512
	s_and_saveexec_b32 s20, s1
	s_cbranch_execz .LBB159_45
.LBB159_53:                             ;   in Loop: Header=BB159_42 Depth=1
	v_cmp_gt_i32_e64 s2, s27, v68
	v_cmp_gt_i32_e32 vcc_lo, s17, v71
	v_cmp_gt_i32_e64 s3, s27, v70
	s_waitcnt vmcnt(0)
	v_cndmask_b32_e64 v11, 0, v5, s2
	v_cmp_gt_i32_e64 s2, s17, v69
	v_cndmask_b32_sdwa v5, v59, v5, vcc_lo dst_sel:DWORD dst_unused:UNUSED_PAD src0_sel:DWORD src1_sel:WORD_1
	v_cndmask_b32_e64 v12, 0, v6, s3
	v_cmp_gt_i32_e64 s3, s17, v67
	s_mov_b32 vcc_lo, s2
	v_cmp_gt_i32_e64 s2, s17, v65
	v_cndmask_b32_sdwa v6, v59, v6, vcc_lo dst_sel:DWORD dst_unused:UNUSED_PAD src0_sel:DWORD src1_sel:WORD_1
	v_cmp_gt_i32_e32 vcc_lo, s27, v66
	v_perm_b32 v5, v5, v11, 0x5040100
	v_perm_b32 v6, v6, v12, 0x5040100
	v_cndmask_b32_e32 v13, 0, v7, vcc_lo
	s_mov_b32 vcc_lo, s3
	v_cndmask_b32_sdwa v7, v59, v7, vcc_lo dst_sel:DWORD dst_unused:UNUSED_PAD src0_sel:DWORD src1_sel:WORD_1
	v_cmp_gt_i32_e32 vcc_lo, s27, v64
	v_perm_b32 v7, v7, v13, 0x5040100
	v_cndmask_b32_e32 v14, 0, v8, vcc_lo
	s_mov_b32 vcc_lo, s2
	v_cndmask_b32_sdwa v8, v59, v8, vcc_lo dst_sel:DWORD dst_unused:UNUSED_PAD src0_sel:DWORD src1_sel:WORD_1
	v_perm_b32 v8, v8, v14, 0x5040100
	s_or_b32 exec_lo, exec_lo, s20
	global_load_dwordx4 v[13:16], v[9:10], off offset:1024
	s_and_saveexec_b32 s20, s1
	s_cbranch_execz .LBB159_46
.LBB159_54:                             ;   in Loop: Header=BB159_42 Depth=1
	v_cmp_gt_i32_e64 s2, s27, v68
	v_cmp_gt_i32_e32 vcc_lo, s17, v71
	v_cmp_gt_i32_e64 s3, s27, v70
	s_waitcnt vmcnt(0)
	v_cndmask_b32_e64 v11, 0, v13, s2
	v_cmp_gt_i32_e64 s2, s17, v69
	v_cndmask_b32_sdwa v13, v59, v13, vcc_lo dst_sel:DWORD dst_unused:UNUSED_PAD src0_sel:DWORD src1_sel:WORD_1
	v_cndmask_b32_e64 v12, 0, v14, s3
	v_cmp_gt_i32_e64 s3, s17, v67
	s_mov_b32 vcc_lo, s2
	v_cmp_gt_i32_e64 s2, s17, v65
	v_cndmask_b32_sdwa v14, v59, v14, vcc_lo dst_sel:DWORD dst_unused:UNUSED_PAD src0_sel:DWORD src1_sel:WORD_1
	v_cmp_gt_i32_e32 vcc_lo, s27, v66
	v_perm_b32 v13, v13, v11, 0x5040100
	v_perm_b32 v14, v14, v12, 0x5040100
	v_cndmask_b32_e32 v17, 0, v15, vcc_lo
	s_mov_b32 vcc_lo, s3
	v_cndmask_b32_sdwa v15, v59, v15, vcc_lo dst_sel:DWORD dst_unused:UNUSED_PAD src0_sel:DWORD src1_sel:WORD_1
	v_cmp_gt_i32_e32 vcc_lo, s27, v64
	v_perm_b32 v15, v15, v17, 0x5040100
	v_cndmask_b32_e32 v18, 0, v16, vcc_lo
	s_mov_b32 vcc_lo, s2
	v_cndmask_b32_sdwa v16, v59, v16, vcc_lo dst_sel:DWORD dst_unused:UNUSED_PAD src0_sel:DWORD src1_sel:WORD_1
	v_perm_b32 v16, v16, v18, 0x5040100
	s_or_b32 exec_lo, exec_lo, s20
	global_load_dwordx4 v[17:20], v[9:10], off offset:1536
	s_and_saveexec_b32 s20, s1
	s_cbranch_execnz .LBB159_47
	s_branch .LBB159_48
.LBB159_55:                             ;   in Loop: Header=BB159_42 Depth=1
	v_cmp_gt_i32_e64 s2, s27, v68
	v_cmp_gt_i32_e32 vcc_lo, s17, v71
	v_cmp_gt_i32_e64 s3, s27, v70
	s_waitcnt vmcnt(0)
	v_cndmask_b32_e64 v11, 0, v21, s2
	v_cmp_gt_i32_e64 s2, s17, v69
	v_cndmask_b32_sdwa v21, v59, v21, vcc_lo dst_sel:DWORD dst_unused:UNUSED_PAD src0_sel:DWORD src1_sel:WORD_1
	v_cndmask_b32_e64 v12, 0, v22, s3
	v_cmp_gt_i32_e64 s3, s17, v67
	s_mov_b32 vcc_lo, s2
	v_cmp_gt_i32_e64 s2, s17, v65
	v_cndmask_b32_sdwa v22, v59, v22, vcc_lo dst_sel:DWORD dst_unused:UNUSED_PAD src0_sel:DWORD src1_sel:WORD_1
	v_cmp_gt_i32_e32 vcc_lo, s27, v66
	v_perm_b32 v21, v21, v11, 0x5040100
	v_perm_b32 v22, v22, v12, 0x5040100
	v_cndmask_b32_e32 v33, 0, v23, vcc_lo
	s_mov_b32 vcc_lo, s3
	v_cndmask_b32_sdwa v23, v59, v23, vcc_lo dst_sel:DWORD dst_unused:UNUSED_PAD src0_sel:DWORD src1_sel:WORD_1
	v_cmp_gt_i32_e32 vcc_lo, s27, v64
	v_perm_b32 v23, v23, v33, 0x5040100
	v_cndmask_b32_e32 v34, 0, v24, vcc_lo
	s_mov_b32 vcc_lo, s2
	v_cndmask_b32_sdwa v24, v59, v24, vcc_lo dst_sel:DWORD dst_unused:UNUSED_PAD src0_sel:DWORD src1_sel:WORD_1
	v_perm_b32 v24, v24, v34, 0x5040100
	s_or_b32 exec_lo, exec_lo, s20
	global_load_dwordx4 v[33:36], v[9:10], off offset:512
	s_and_saveexec_b32 s20, s1
	s_cbranch_execz .LBB159_50
.LBB159_56:                             ;   in Loop: Header=BB159_42 Depth=1
	v_cmp_gt_i32_e64 s2, s27, v68
	v_cmp_gt_i32_e32 vcc_lo, s17, v71
	v_cmp_gt_i32_e64 s3, s27, v70
	s_waitcnt vmcnt(0)
	v_cndmask_b32_e64 v11, 0, v33, s2
	v_cmp_gt_i32_e64 s2, s17, v69
	v_cndmask_b32_sdwa v33, v59, v33, vcc_lo dst_sel:DWORD dst_unused:UNUSED_PAD src0_sel:DWORD src1_sel:WORD_1
	v_cndmask_b32_e64 v12, 0, v34, s3
	v_cmp_gt_i32_e64 s3, s17, v67
	s_mov_b32 vcc_lo, s2
	v_cmp_gt_i32_e64 s2, s17, v65
	v_cndmask_b32_sdwa v34, v59, v34, vcc_lo dst_sel:DWORD dst_unused:UNUSED_PAD src0_sel:DWORD src1_sel:WORD_1
	v_cmp_gt_i32_e32 vcc_lo, s27, v66
	v_perm_b32 v33, v33, v11, 0x5040100
	v_perm_b32 v34, v34, v12, 0x5040100
	v_cndmask_b32_e32 v37, 0, v35, vcc_lo
	s_mov_b32 vcc_lo, s3
	v_cndmask_b32_sdwa v35, v59, v35, vcc_lo dst_sel:DWORD dst_unused:UNUSED_PAD src0_sel:DWORD src1_sel:WORD_1
	v_cmp_gt_i32_e32 vcc_lo, s27, v64
	v_perm_b32 v35, v35, v37, 0x5040100
	v_cndmask_b32_e32 v38, 0, v36, vcc_lo
	s_mov_b32 vcc_lo, s2
	v_cndmask_b32_sdwa v36, v59, v36, vcc_lo dst_sel:DWORD dst_unused:UNUSED_PAD src0_sel:DWORD src1_sel:WORD_1
	v_perm_b32 v36, v36, v38, 0x5040100
	s_or_b32 exec_lo, exec_lo, s20
	global_load_dwordx4 v[37:40], v[9:10], off offset:1024
	s_and_saveexec_b32 s20, s1
	s_cbranch_execz .LBB159_51
.LBB159_57:                             ;   in Loop: Header=BB159_42 Depth=1
	v_cmp_gt_i32_e64 s2, s27, v68
	v_cmp_gt_i32_e32 vcc_lo, s17, v71
	v_cmp_gt_i32_e64 s3, s27, v70
	s_waitcnt vmcnt(0)
	v_cndmask_b32_e64 v11, 0, v37, s2
	v_cmp_gt_i32_e64 s2, s17, v69
	v_cndmask_b32_sdwa v37, v59, v37, vcc_lo dst_sel:DWORD dst_unused:UNUSED_PAD src0_sel:DWORD src1_sel:WORD_1
	v_cndmask_b32_e64 v12, 0, v38, s3
	v_cmp_gt_i32_e64 s3, s17, v67
	s_mov_b32 vcc_lo, s2
	v_cmp_gt_i32_e64 s2, s17, v65
	v_cndmask_b32_sdwa v38, v59, v38, vcc_lo dst_sel:DWORD dst_unused:UNUSED_PAD src0_sel:DWORD src1_sel:WORD_1
	v_cmp_gt_i32_e32 vcc_lo, s27, v66
	v_perm_b32 v37, v37, v11, 0x5040100
	v_perm_b32 v38, v38, v12, 0x5040100
	v_cndmask_b32_e32 v72, 0, v39, vcc_lo
	s_mov_b32 vcc_lo, s3
	v_cndmask_b32_sdwa v39, v59, v39, vcc_lo dst_sel:DWORD dst_unused:UNUSED_PAD src0_sel:DWORD src1_sel:WORD_1
	v_cmp_gt_i32_e32 vcc_lo, s27, v64
	v_perm_b32 v39, v39, v72, 0x5040100
	v_cndmask_b32_e32 v73, 0, v40, vcc_lo
	s_mov_b32 vcc_lo, s2
	v_cndmask_b32_sdwa v40, v59, v40, vcc_lo dst_sel:DWORD dst_unused:UNUSED_PAD src0_sel:DWORD src1_sel:WORD_1
	v_perm_b32 v40, v40, v73, 0x5040100
	s_or_b32 exec_lo, exec_lo, s20
	global_load_dwordx4 v[9:12], v[9:10], off offset:1536
	s_and_saveexec_b32 s3, s1
	s_cbranch_execz .LBB159_40
.LBB159_58:                             ;   in Loop: Header=BB159_42 Depth=1
	v_cmp_gt_i32_e64 s1, s27, v68
	v_cmp_gt_i32_e32 vcc_lo, s17, v71
	v_cmp_gt_i32_e64 s2, s27, v70
	s_waitcnt vmcnt(0)
	v_cndmask_b32_e64 v68, 0, v9, s1
	v_cmp_gt_i32_e64 s1, s17, v69
	v_cndmask_b32_sdwa v9, v59, v9, vcc_lo dst_sel:DWORD dst_unused:UNUSED_PAD src0_sel:DWORD src1_sel:WORD_1
	v_cndmask_b32_e64 v69, 0, v10, s2
	v_cmp_gt_i32_e64 s2, s17, v67
	s_mov_b32 vcc_lo, s1
	v_cmp_gt_i32_e64 s1, s17, v65
	v_cndmask_b32_sdwa v10, v59, v10, vcc_lo dst_sel:DWORD dst_unused:UNUSED_PAD src0_sel:DWORD src1_sel:WORD_1
	v_cmp_gt_i32_e32 vcc_lo, s27, v66
	v_perm_b32 v9, v9, v68, 0x5040100
	v_perm_b32 v10, v10, v69, 0x5040100
	v_cndmask_b32_e32 v66, 0, v11, vcc_lo
	s_mov_b32 vcc_lo, s2
	v_cndmask_b32_sdwa v11, v59, v11, vcc_lo dst_sel:DWORD dst_unused:UNUSED_PAD src0_sel:DWORD src1_sel:WORD_1
	v_cmp_gt_i32_e32 vcc_lo, s27, v64
	v_perm_b32 v11, v11, v66, 0x5040100
	v_cndmask_b32_e32 v64, 0, v12, vcc_lo
	s_mov_b32 vcc_lo, s1
	v_cndmask_b32_sdwa v12, v59, v12, vcc_lo dst_sel:DWORD dst_unused:UNUSED_PAD src0_sel:DWORD src1_sel:WORD_1
	v_perm_b32 v12, v12, v64, 0x5040100
	s_branch .LBB159_40
.LBB159_59:
	s_or_b32 exec_lo, exec_lo, s15
.LBB159_60:
	s_or_b32 exec_lo, exec_lo, s5
	ds_bpermute_b32 v1, v49, v57
	ds_bpermute_b32 v2, v49, v56
	;; [unrolled: 1-line block ×8, first 2 shown]
	v_lshrrev_b32_e32 v9, 1, v48
	v_lshlrev_b32_e32 v11, 9, v46
	v_and_b32_e32 v16, 0x3c1, v0
	s_mov_b32 s1, exec_lo
	s_waitcnt lgkmcnt(0)
	s_waitcnt_vscnt null, 0x0
	v_lshl_add_u32 v10, v9, 2, 0x120
	s_barrier
	buffer_gl0_inv
	v_add_f32_e32 v8, v57, v1
	v_add_f32_e32 v7, v56, v2
	;; [unrolled: 1-line block ×8, first 2 shown]
	v_cmpx_eq_u32_e32 64, v16
	s_cbranch_execz .LBB159_62
; %bb.61:
	v_add_nc_u32_e32 v12, v10, v11
	v_add_nc_u32_e32 v13, 0xfffffc00, v12
	;; [unrolled: 1-line block ×9, first 2 shown]
	ds_write_b32 v13, v8
	ds_write_b32 v14, v7
	ds_write_b32 v15, v6
	ds_write_b32 v16, v5
	ds_write_b32 v17, v4
	ds_write_b32 v18, v3
	ds_write_b32 v19, v2
	ds_write_b32 v12, v1
.LBB159_62:
	s_or_b32 exec_lo, exec_lo, s1
	v_lshlrev_b32_e32 v9, 2, v9
	s_mov_b32 s2, exec_lo
	v_cmp_eq_u32_e32 vcc_lo, 0, v45
	s_waitcnt lgkmcnt(0)
	s_barrier
	v_add3_u32 v9, 0x120, v11, v9
	buffer_gl0_inv
	v_cmpx_gt_u32_e32 64, v0
	s_cbranch_execz .LBB159_73
; %bb.63:
	s_and_saveexec_b32 s1, vcc_lo
	s_cbranch_execnz .LBB159_89
; %bb.64:
	s_or_b32 exec_lo, exec_lo, s1
	s_and_saveexec_b32 s1, vcc_lo
	s_cbranch_execnz .LBB159_90
.LBB159_65:
	s_or_b32 exec_lo, exec_lo, s1
	s_and_saveexec_b32 s1, vcc_lo
	s_cbranch_execnz .LBB159_91
.LBB159_66:
	s_or_b32 exec_lo, exec_lo, s1
	s_and_saveexec_b32 s1, vcc_lo
	s_cbranch_execnz .LBB159_92
.LBB159_67:
	s_or_b32 exec_lo, exec_lo, s1
	s_and_saveexec_b32 s1, vcc_lo
	s_cbranch_execnz .LBB159_93
.LBB159_68:
	s_or_b32 exec_lo, exec_lo, s1
	s_and_saveexec_b32 s1, vcc_lo
	s_cbranch_execnz .LBB159_94
.LBB159_69:
	s_or_b32 exec_lo, exec_lo, s1
	s_and_saveexec_b32 s1, vcc_lo
	s_cbranch_execnz .LBB159_95
.LBB159_70:
	s_or_b32 exec_lo, exec_lo, s1
	s_and_saveexec_b32 s1, vcc_lo
	s_cbranch_execz .LBB159_72
.LBB159_71:
	ds_read_b32 v11, v9 offset:448
	s_waitcnt lgkmcnt(0)
	v_add_f32_e32 v1, v1, v11
.LBB159_72:
	s_or_b32 exec_lo, exec_lo, s1
.LBB159_73:
	s_or_b32 exec_lo, exec_lo, s2
	v_and_b32_e32 v0, 0x3e1, v0
	s_mov_b32 s2, exec_lo
	s_barrier
	buffer_gl0_inv
	v_cmpx_eq_u32_e32 32, v0
	s_cbranch_execz .LBB159_75
; %bb.74:
	ds_write2_b32 v10, v8, v7 offset1:16
	ds_write2_b32 v10, v6, v5 offset0:32 offset1:48
	ds_write2_b32 v10, v4, v3 offset0:64 offset1:80
	;; [unrolled: 1-line block ×3, first 2 shown]
.LBB159_75:
	s_or_b32 exec_lo, exec_lo, s2
	s_waitcnt lgkmcnt(0)
	s_barrier
	buffer_gl0_inv
	s_and_saveexec_b32 s1, s0
	s_cbranch_execz .LBB159_86
; %bb.76:
	s_and_saveexec_b32 s0, vcc_lo
	s_cbranch_execnz .LBB159_96
; %bb.77:
	s_or_b32 exec_lo, exec_lo, s0
	s_and_saveexec_b32 s0, vcc_lo
	s_cbranch_execnz .LBB159_97
.LBB159_78:
	s_or_b32 exec_lo, exec_lo, s0
	s_and_saveexec_b32 s0, vcc_lo
	s_cbranch_execnz .LBB159_98
.LBB159_79:
	s_or_b32 exec_lo, exec_lo, s0
	s_and_saveexec_b32 s0, vcc_lo
	s_cbranch_execnz .LBB159_99
.LBB159_80:
	s_or_b32 exec_lo, exec_lo, s0
	s_and_saveexec_b32 s0, vcc_lo
	s_cbranch_execnz .LBB159_100
.LBB159_81:
	s_or_b32 exec_lo, exec_lo, s0
	s_and_saveexec_b32 s0, vcc_lo
	s_cbranch_execnz .LBB159_101
.LBB159_82:
	s_or_b32 exec_lo, exec_lo, s0
	s_and_saveexec_b32 s0, vcc_lo
	s_cbranch_execnz .LBB159_102
.LBB159_83:
	s_or_b32 exec_lo, exec_lo, s0
	s_and_saveexec_b32 s0, vcc_lo
	s_cbranch_execz .LBB159_85
.LBB159_84:
	ds_read_b32 v9, v9 offset:448
	s_waitcnt lgkmcnt(0)
	v_add_f32_e32 v1, v1, v9
.LBB159_85:
	s_or_b32 exec_lo, exec_lo, s0
.LBB159_86:
	s_or_b32 exec_lo, exec_lo, s1
	s_barrier
	buffer_gl0_inv
	s_mov_b32 s0, exec_lo
	v_cmpx_eq_u32_e32 0, v0
	s_cbranch_execz .LBB159_88
; %bb.87:
	s_lshl_b32 s0, s4, 7
	s_mul_i32 s2, s7, s10
	s_ashr_i32 s1, s0, 31
	v_bfe_u32 v9, v8, 16, 1
	s_lshl_b64 s[0:1], s[0:1], 1
	v_or_b32_e32 v10, 0x400000, v8
	s_add_u32 s4, s24, s0
	s_addc_u32 s5, s25, s1
	s_ashr_i32 s3, s2, 31
	v_add3_u32 v9, v9, v8, 0x7fff
	s_lshl_b64 s[0:1], s[2:3], 1
	v_bfe_u32 v11, v7, 16, 1
	s_add_u32 s2, s4, s0
	v_cmp_u_f32_e32 vcc_lo, v8, v8
	s_addc_u32 s3, s5, s1
	s_lshl_b32 s0, s8, 7
	v_lshlrev_b32_e32 v0, 1, v44
	s_ashr_i32 s1, s0, 31
	v_cndmask_b32_e32 v8, v9, v10, vcc_lo
	s_lshl_b64 s[0:1], s[0:1], 1
	v_bfe_u32 v9, v6, 16, 1
	v_add3_u32 v10, v11, v7, 0x7fff
	v_or_b32_e32 v11, 0x400000, v7
	v_cmp_u_f32_e32 vcc_lo, v7, v7
	s_add_u32 s0, s2, s0
	s_addc_u32 s1, s3, s1
	global_store_short_d16_hi v0, v8, s[0:1]
	v_add3_u32 v8, v9, v6, 0x7fff
	v_or_b32_e32 v9, 0x400000, v6
	v_cndmask_b32_e32 v7, v10, v11, vcc_lo
	v_bfe_u32 v10, v5, 16, 1
	v_cmp_u_f32_e32 vcc_lo, v6, v6
	v_or_b32_e32 v11, 0x400000, v1
	global_store_short_d16_hi v0, v7, s[0:1] offset:32
	v_add3_u32 v7, v10, v5, 0x7fff
	v_cndmask_b32_e32 v6, v8, v9, vcc_lo
	v_bfe_u32 v8, v4, 16, 1
	v_or_b32_e32 v9, 0x400000, v5
	v_cmp_u_f32_e32 vcc_lo, v5, v5
	v_or_b32_e32 v10, 0x400000, v2
	global_store_short_d16_hi v0, v6, s[0:1] offset:64
	v_add3_u32 v6, v8, v4, 0x7fff
	v_or_b32_e32 v8, 0x400000, v4
	v_cndmask_b32_e32 v5, v7, v9, vcc_lo
	v_bfe_u32 v7, v3, 16, 1
	v_cmp_u_f32_e32 vcc_lo, v4, v4
	v_bfe_u32 v9, v2, 16, 1
	v_add3_u32 v7, v7, v3, 0x7fff
	v_cndmask_b32_e32 v4, v6, v8, vcc_lo
	v_or_b32_e32 v8, 0x400000, v3
	v_cmp_u_f32_e32 vcc_lo, v3, v3
	v_bfe_u32 v6, v1, 16, 1
	v_add3_u32 v9, v9, v2, 0x7fff
	v_cndmask_b32_e32 v3, v7, v8, vcc_lo
	v_cmp_u_f32_e32 vcc_lo, v2, v2
	v_add3_u32 v6, v6, v1, 0x7fff
	v_cndmask_b32_e32 v2, v9, v10, vcc_lo
	v_cmp_u_f32_e32 vcc_lo, v1, v1
	v_cndmask_b32_e32 v1, v6, v11, vcc_lo
	global_store_short_d16_hi v0, v5, s[0:1] offset:96
	global_store_short_d16_hi v0, v4, s[0:1] offset:128
	global_store_short_d16_hi v0, v3, s[0:1] offset:160
	global_store_short_d16_hi v0, v2, s[0:1] offset:192
	global_store_short_d16_hi v0, v1, s[0:1] offset:224
.LBB159_88:
	s_endpgm
.LBB159_89:
	ds_read_b32 v11, v9
	s_waitcnt lgkmcnt(0)
	v_add_f32_e32 v8, v8, v11
	s_or_b32 exec_lo, exec_lo, s1
	s_and_saveexec_b32 s1, vcc_lo
	s_cbranch_execz .LBB159_65
.LBB159_90:
	ds_read_b32 v11, v9 offset:64
	s_waitcnt lgkmcnt(0)
	v_add_f32_e32 v7, v7, v11
	s_or_b32 exec_lo, exec_lo, s1
	s_and_saveexec_b32 s1, vcc_lo
	s_cbranch_execz .LBB159_66
.LBB159_91:
	ds_read_b32 v11, v9 offset:128
	s_waitcnt lgkmcnt(0)
	v_add_f32_e32 v6, v6, v11
	s_or_b32 exec_lo, exec_lo, s1
	s_and_saveexec_b32 s1, vcc_lo
	s_cbranch_execz .LBB159_67
.LBB159_92:
	ds_read_b32 v11, v9 offset:192
	s_waitcnt lgkmcnt(0)
	v_add_f32_e32 v5, v5, v11
	s_or_b32 exec_lo, exec_lo, s1
	s_and_saveexec_b32 s1, vcc_lo
	s_cbranch_execz .LBB159_68
.LBB159_93:
	ds_read_b32 v11, v9 offset:256
	s_waitcnt lgkmcnt(0)
	v_add_f32_e32 v4, v4, v11
	s_or_b32 exec_lo, exec_lo, s1
	s_and_saveexec_b32 s1, vcc_lo
	s_cbranch_execz .LBB159_69
.LBB159_94:
	ds_read_b32 v11, v9 offset:320
	s_waitcnt lgkmcnt(0)
	v_add_f32_e32 v3, v3, v11
	s_or_b32 exec_lo, exec_lo, s1
	s_and_saveexec_b32 s1, vcc_lo
	s_cbranch_execz .LBB159_70
.LBB159_95:
	ds_read_b32 v11, v9 offset:384
	s_waitcnt lgkmcnt(0)
	v_add_f32_e32 v2, v2, v11
	s_or_b32 exec_lo, exec_lo, s1
	s_and_saveexec_b32 s1, vcc_lo
	s_cbranch_execnz .LBB159_71
	s_branch .LBB159_72
.LBB159_96:
	ds_read_b32 v10, v9
	s_waitcnt lgkmcnt(0)
	v_add_f32_e32 v8, v8, v10
	s_or_b32 exec_lo, exec_lo, s0
	s_and_saveexec_b32 s0, vcc_lo
	s_cbranch_execz .LBB159_78
.LBB159_97:
	ds_read_b32 v10, v9 offset:64
	s_waitcnt lgkmcnt(0)
	v_add_f32_e32 v7, v7, v10
	s_or_b32 exec_lo, exec_lo, s0
	s_and_saveexec_b32 s0, vcc_lo
	s_cbranch_execz .LBB159_79
.LBB159_98:
	ds_read_b32 v10, v9 offset:128
	s_waitcnt lgkmcnt(0)
	v_add_f32_e32 v6, v6, v10
	s_or_b32 exec_lo, exec_lo, s0
	s_and_saveexec_b32 s0, vcc_lo
	s_cbranch_execz .LBB159_80
.LBB159_99:
	ds_read_b32 v10, v9 offset:192
	s_waitcnt lgkmcnt(0)
	v_add_f32_e32 v5, v5, v10
	s_or_b32 exec_lo, exec_lo, s0
	s_and_saveexec_b32 s0, vcc_lo
	s_cbranch_execz .LBB159_81
.LBB159_100:
	ds_read_b32 v10, v9 offset:256
	s_waitcnt lgkmcnt(0)
	v_add_f32_e32 v4, v4, v10
	s_or_b32 exec_lo, exec_lo, s0
	s_and_saveexec_b32 s0, vcc_lo
	s_cbranch_execz .LBB159_82
.LBB159_101:
	ds_read_b32 v10, v9 offset:320
	s_waitcnt lgkmcnt(0)
	v_add_f32_e32 v3, v3, v10
	s_or_b32 exec_lo, exec_lo, s0
	s_and_saveexec_b32 s0, vcc_lo
	s_cbranch_execz .LBB159_83
.LBB159_102:
	ds_read_b32 v10, v9 offset:384
	s_waitcnt lgkmcnt(0)
	v_add_f32_e32 v2, v2, v10
	s_or_b32 exec_lo, exec_lo, s0
	s_and_saveexec_b32 s0, vcc_lo
	s_cbranch_execnz .LBB159_84
	s_branch .LBB159_85
	.section	.rodata,"a",@progbits
	.p2align	6, 0x0
	.amdhsa_kernel _ZN4vllm25paged_attention_v2_kernelI14__hip_bfloat16S1_Li128ELi16ELi128ELNS_18Fp8KVCacheDataTypeE0ELb1ELi512EEEvPfS3_PT_PKS4_PKT0_SA_ifPKiSC_iPKfiiiSE_SE_iiiii
		.amdhsa_group_segment_fixed_size 288
		.amdhsa_private_segment_fixed_size 0
		.amdhsa_kernarg_size 400
		.amdhsa_user_sgpr_count 6
		.amdhsa_user_sgpr_private_segment_buffer 1
		.amdhsa_user_sgpr_dispatch_ptr 0
		.amdhsa_user_sgpr_queue_ptr 0
		.amdhsa_user_sgpr_kernarg_segment_ptr 1
		.amdhsa_user_sgpr_dispatch_id 0
		.amdhsa_user_sgpr_flat_scratch_init 0
		.amdhsa_user_sgpr_private_segment_size 0
		.amdhsa_wavefront_size32 1
		.amdhsa_uses_dynamic_stack 0
		.amdhsa_system_sgpr_private_segment_wavefront_offset 0
		.amdhsa_system_sgpr_workgroup_id_x 1
		.amdhsa_system_sgpr_workgroup_id_y 1
		.amdhsa_system_sgpr_workgroup_id_z 1
		.amdhsa_system_sgpr_workgroup_info 0
		.amdhsa_system_vgpr_workitem_id 0
		.amdhsa_next_free_vgpr 117
		.amdhsa_next_free_sgpr 46
		.amdhsa_reserve_vcc 1
		.amdhsa_reserve_flat_scratch 0
		.amdhsa_float_round_mode_32 0
		.amdhsa_float_round_mode_16_64 0
		.amdhsa_float_denorm_mode_32 3
		.amdhsa_float_denorm_mode_16_64 3
		.amdhsa_dx10_clamp 1
		.amdhsa_ieee_mode 1
		.amdhsa_fp16_overflow 0
		.amdhsa_workgroup_processor_mode 1
		.amdhsa_memory_ordered 1
		.amdhsa_forward_progress 1
		.amdhsa_shared_vgpr_count 0
		.amdhsa_exception_fp_ieee_invalid_op 0
		.amdhsa_exception_fp_denorm_src 0
		.amdhsa_exception_fp_ieee_div_zero 0
		.amdhsa_exception_fp_ieee_overflow 0
		.amdhsa_exception_fp_ieee_underflow 0
		.amdhsa_exception_fp_ieee_inexact 0
		.amdhsa_exception_int_div_zero 0
	.end_amdhsa_kernel
	.section	.text._ZN4vllm25paged_attention_v2_kernelI14__hip_bfloat16S1_Li128ELi16ELi128ELNS_18Fp8KVCacheDataTypeE0ELb1ELi512EEEvPfS3_PT_PKS4_PKT0_SA_ifPKiSC_iPKfiiiSE_SE_iiiii,"axG",@progbits,_ZN4vllm25paged_attention_v2_kernelI14__hip_bfloat16S1_Li128ELi16ELi128ELNS_18Fp8KVCacheDataTypeE0ELb1ELi512EEEvPfS3_PT_PKS4_PKT0_SA_ifPKiSC_iPKfiiiSE_SE_iiiii,comdat
.Lfunc_end159:
	.size	_ZN4vllm25paged_attention_v2_kernelI14__hip_bfloat16S1_Li128ELi16ELi128ELNS_18Fp8KVCacheDataTypeE0ELb1ELi512EEEvPfS3_PT_PKS4_PKT0_SA_ifPKiSC_iPKfiiiSE_SE_iiiii, .Lfunc_end159-_ZN4vllm25paged_attention_v2_kernelI14__hip_bfloat16S1_Li128ELi16ELi128ELNS_18Fp8KVCacheDataTypeE0ELb1ELi512EEEvPfS3_PT_PKS4_PKT0_SA_ifPKiSC_iPKfiiiSE_SE_iiiii
                                        ; -- End function
	.set _ZN4vllm25paged_attention_v2_kernelI14__hip_bfloat16S1_Li128ELi16ELi128ELNS_18Fp8KVCacheDataTypeE0ELb1ELi512EEEvPfS3_PT_PKS4_PKT0_SA_ifPKiSC_iPKfiiiSE_SE_iiiii.num_vgpr, 117
	.set _ZN4vllm25paged_attention_v2_kernelI14__hip_bfloat16S1_Li128ELi16ELi128ELNS_18Fp8KVCacheDataTypeE0ELb1ELi512EEEvPfS3_PT_PKS4_PKT0_SA_ifPKiSC_iPKfiiiSE_SE_iiiii.num_agpr, 0
	.set _ZN4vllm25paged_attention_v2_kernelI14__hip_bfloat16S1_Li128ELi16ELi128ELNS_18Fp8KVCacheDataTypeE0ELb1ELi512EEEvPfS3_PT_PKS4_PKT0_SA_ifPKiSC_iPKfiiiSE_SE_iiiii.numbered_sgpr, 46
	.set _ZN4vllm25paged_attention_v2_kernelI14__hip_bfloat16S1_Li128ELi16ELi128ELNS_18Fp8KVCacheDataTypeE0ELb1ELi512EEEvPfS3_PT_PKS4_PKT0_SA_ifPKiSC_iPKfiiiSE_SE_iiiii.num_named_barrier, 0
	.set _ZN4vllm25paged_attention_v2_kernelI14__hip_bfloat16S1_Li128ELi16ELi128ELNS_18Fp8KVCacheDataTypeE0ELb1ELi512EEEvPfS3_PT_PKS4_PKT0_SA_ifPKiSC_iPKfiiiSE_SE_iiiii.private_seg_size, 0
	.set _ZN4vllm25paged_attention_v2_kernelI14__hip_bfloat16S1_Li128ELi16ELi128ELNS_18Fp8KVCacheDataTypeE0ELb1ELi512EEEvPfS3_PT_PKS4_PKT0_SA_ifPKiSC_iPKfiiiSE_SE_iiiii.uses_vcc, 1
	.set _ZN4vllm25paged_attention_v2_kernelI14__hip_bfloat16S1_Li128ELi16ELi128ELNS_18Fp8KVCacheDataTypeE0ELb1ELi512EEEvPfS3_PT_PKS4_PKT0_SA_ifPKiSC_iPKfiiiSE_SE_iiiii.uses_flat_scratch, 0
	.set _ZN4vllm25paged_attention_v2_kernelI14__hip_bfloat16S1_Li128ELi16ELi128ELNS_18Fp8KVCacheDataTypeE0ELb1ELi512EEEvPfS3_PT_PKS4_PKT0_SA_ifPKiSC_iPKfiiiSE_SE_iiiii.has_dyn_sized_stack, 0
	.set _ZN4vllm25paged_attention_v2_kernelI14__hip_bfloat16S1_Li128ELi16ELi128ELNS_18Fp8KVCacheDataTypeE0ELb1ELi512EEEvPfS3_PT_PKS4_PKT0_SA_ifPKiSC_iPKfiiiSE_SE_iiiii.has_recursion, 0
	.set _ZN4vllm25paged_attention_v2_kernelI14__hip_bfloat16S1_Li128ELi16ELi128ELNS_18Fp8KVCacheDataTypeE0ELb1ELi512EEEvPfS3_PT_PKS4_PKT0_SA_ifPKiSC_iPKfiiiSE_SE_iiiii.has_indirect_call, 0
	.section	.AMDGPU.csdata,"",@progbits
; Kernel info:
; codeLenInByte = 11736
; TotalNumSgprs: 48
; NumVgprs: 117
; ScratchSize: 0
; MemoryBound: 0
; FloatMode: 240
; IeeeMode: 1
; LDSByteSize: 288 bytes/workgroup (compile time only)
; SGPRBlocks: 0
; VGPRBlocks: 14
; NumSGPRsForWavesPerEU: 48
; NumVGPRsForWavesPerEU: 117
; Occupancy: 8
; WaveLimiterHint : 1
; COMPUTE_PGM_RSRC2:SCRATCH_EN: 0
; COMPUTE_PGM_RSRC2:USER_SGPR: 6
; COMPUTE_PGM_RSRC2:TRAP_HANDLER: 0
; COMPUTE_PGM_RSRC2:TGID_X_EN: 1
; COMPUTE_PGM_RSRC2:TGID_Y_EN: 1
; COMPUTE_PGM_RSRC2:TGID_Z_EN: 1
; COMPUTE_PGM_RSRC2:TIDIG_COMP_CNT: 0
	.section	.text._ZN4vllm25paged_attention_v2_kernelI14__hip_bfloat16S1_Li192ELi16ELi128ELNS_18Fp8KVCacheDataTypeE0ELb1ELi512EEEvPfS3_PT_PKS4_PKT0_SA_ifPKiSC_iPKfiiiSE_SE_iiiii,"axG",@progbits,_ZN4vllm25paged_attention_v2_kernelI14__hip_bfloat16S1_Li192ELi16ELi128ELNS_18Fp8KVCacheDataTypeE0ELb1ELi512EEEvPfS3_PT_PKS4_PKT0_SA_ifPKiSC_iPKfiiiSE_SE_iiiii,comdat
	.protected	_ZN4vllm25paged_attention_v2_kernelI14__hip_bfloat16S1_Li192ELi16ELi128ELNS_18Fp8KVCacheDataTypeE0ELb1ELi512EEEvPfS3_PT_PKS4_PKT0_SA_ifPKiSC_iPKfiiiSE_SE_iiiii ; -- Begin function _ZN4vllm25paged_attention_v2_kernelI14__hip_bfloat16S1_Li192ELi16ELi128ELNS_18Fp8KVCacheDataTypeE0ELb1ELi512EEEvPfS3_PT_PKS4_PKT0_SA_ifPKiSC_iPKfiiiSE_SE_iiiii
	.globl	_ZN4vllm25paged_attention_v2_kernelI14__hip_bfloat16S1_Li192ELi16ELi128ELNS_18Fp8KVCacheDataTypeE0ELb1ELi512EEEvPfS3_PT_PKS4_PKT0_SA_ifPKiSC_iPKfiiiSE_SE_iiiii
	.p2align	8
	.type	_ZN4vllm25paged_attention_v2_kernelI14__hip_bfloat16S1_Li192ELi16ELi128ELNS_18Fp8KVCacheDataTypeE0ELb1ELi512EEEvPfS3_PT_PKS4_PKT0_SA_ifPKiSC_iPKfiiiSE_SE_iiiii,@function
_ZN4vllm25paged_attention_v2_kernelI14__hip_bfloat16S1_Li192ELi16ELi128ELNS_18Fp8KVCacheDataTypeE0ELb1ELi512EEEvPfS3_PT_PKS4_PKT0_SA_ifPKiSC_iPKfiiiSE_SE_iiiii: ; @_ZN4vllm25paged_attention_v2_kernelI14__hip_bfloat16S1_Li192ELi16ELi128ELNS_18Fp8KVCacheDataTypeE0ELb1ELi512EEEvPfS3_PT_PKS4_PKT0_SA_ifPKiSC_iPKfiiiSE_SE_iiiii
; %bb.0:
	s_mov_b64 s[50:51], s[2:3]
	s_mov_b64 s[48:49], s[0:1]
	s_load_dwordx2 s[0:1], s[4:5], 0x40
	s_add_u32 s48, s48, s9
	s_addc_u32 s49, s49, 0
	s_mov_b32 s26, s7
	s_ashr_i32 s27, s7, 31
	s_lshl_b64 s[2:3], s[26:27], 2
	s_waitcnt lgkmcnt(0)
	s_add_u32 s0, s0, s2
	s_addc_u32 s1, s1, s3
	s_lshl_b32 s38, s8, 9
	s_load_dword s27, s[0:1], 0x0
	s_waitcnt lgkmcnt(0)
	s_cmp_ge_i32 s38, s27
	s_cbranch_scc1 .LBB160_104
; %bb.1:
	s_clause 0x1
	s_load_dword s9, s[4:5], 0x90
	s_load_dwordx2 s[36:37], s[4:5], 0x30
	s_mov_b32 s40, 0
	s_waitcnt lgkmcnt(0)
	s_abs_i32 s3, s9
	s_abs_i32 s0, s36
	v_cvt_f32_u32_e32 v1, s0
	s_sub_i32 s2, 0, s0
	v_rcp_iflag_f32_e32 v1, v1
	v_mul_f32_e32 v1, 0x4f7ffffe, v1
	v_cvt_u32_f32_e32 v1, v1
	v_readfirstlane_b32 s1, v1
	s_mul_i32 s2, s2, s1
	s_mul_hi_u32 s2, s1, s2
	s_add_i32 s1, s1, s2
	s_xor_b32 s2, s9, s36
	s_mul_hi_u32 s1, s3, s1
	s_ashr_i32 s2, s2, 31
	s_mul_i32 s7, s1, s0
	s_sub_i32 s3, s3, s7
	s_add_i32 s7, s1, 1
	s_sub_i32 s10, s3, s0
	s_cmp_ge_u32 s3, s0
	s_cselect_b32 s1, s7, s1
	s_cselect_b32 s3, s10, s3
	s_add_i32 s7, s1, 1
	s_cmp_ge_u32 s3, s0
	s_cselect_b32 s0, s7, s1
	s_xor_b32 s0, s0, s2
	s_sub_i32 s10, s0, s2
	s_load_dwordx2 s[0:1], s[4:5], 0x50
	s_abs_i32 s2, s10
	v_cvt_f32_u32_e32 v1, s2
	s_sub_i32 s3, 0, s2
	v_rcp_iflag_f32_e32 v1, v1
	v_mul_f32_e32 v1, 0x4f7ffffe, v1
	v_cvt_u32_f32_e32 v1, v1
	v_readfirstlane_b32 s7, v1
	s_mul_i32 s3, s3, s7
	s_mul_hi_u32 s11, s7, s3
	s_abs_i32 s3, s6
	s_add_i32 s7, s7, s11
	s_waitcnt lgkmcnt(0)
	s_cmp_eq_u64 s[0:1], 0
	s_mul_hi_u32 s20, s3, s7
	s_cbranch_scc1 .LBB160_3
; %bb.2:
	s_ashr_i32 s7, s6, 31
	s_lshl_b64 s[12:13], s[6:7], 2
	s_add_u32 s0, s0, s12
	s_addc_u32 s1, s1, s13
	s_load_dword s40, s[0:1], 0x0
.LBB160_3:
	s_load_dwordx4 s[12:15], s[4:5], 0x58
	v_lshrrev_b32_e32 v4, 1, v0
	v_lshlrev_b32_e32 v13, 3, v0
	s_ashr_i32 s0, s6, 31
	s_ashr_i32 s1, s10, 31
	s_mul_i32 s10, s6, 0xc0
	s_mov_b32 s7, exec_lo
	v_cmpx_gt_u32_e32 48, v0
	s_cbranch_execz .LBB160_5
; %bb.4:
	s_load_dwordx2 s[16:17], s[4:5], 0x18
	s_waitcnt lgkmcnt(0)
	s_mul_i32 s18, s12, s26
	v_lshlrev_b32_e32 v3, 3, v4
	s_ashr_i32 s19, s18, 31
	v_and_b32_e32 v5, 1, v0
	s_lshl_b64 s[18:19], s[18:19], 1
	v_mad_u32_u24 v3, 0xc0, v5, v3
	s_add_u32 s12, s16, s18
	s_addc_u32 s15, s17, s19
	s_ashr_i32 s11, s10, 31
	s_lshl_b64 s[16:17], s[10:11], 1
	s_add_u32 s16, s12, s16
	s_addc_u32 s17, s15, s17
	global_load_dwordx2 v[1:2], v13, s[16:17]
	s_waitcnt vmcnt(0)
	ds_write_b64 v3, v[1:2]
.LBB160_5:
	s_or_b32 exec_lo, exec_lo, s7
	s_load_dwordx4 s[16:19], s[4:5], 0x78
	s_mul_i32 s7, s20, s2
	s_xor_b32 s0, s0, s1
	s_sub_i32 s1, s3, s7
	s_add_i32 s3, s20, 1
	s_sub_i32 s7, s1, s2
	s_cmp_ge_u32 s1, s2
                                        ; implicit-def: $sgpr33
	s_cselect_b32 s3, s3, s20
	s_cselect_b32 s1, s7, s1
	s_add_i32 s7, s3, 1
	s_cmp_ge_u32 s1, s2
	s_mov_b32 s20, -1
	s_cselect_b32 s1, s7, s3
	s_load_dword s3, s[4:5], 0x88
	s_xor_b32 s1, s1, s0
	s_add_i32 s7, s27, -1
	s_sub_i32 s1, s1, s0
	s_abs_i32 s2, s7
	s_waitcnt lgkmcnt(0)
	s_abs_i32 s11, s19
	s_barrier
	v_cvt_f32_u32_e32 v1, s11
	s_sub_i32 s0, 0, s11
	buffer_gl0_inv
	v_rcp_iflag_f32_e32 v1, v1
	v_mul_f32_e32 v1, 0x4f7ffffe, v1
	v_cvt_u32_f32_e32 v1, v1
	v_readfirstlane_b32 s12, v1
	s_mul_i32 s0, s0, s12
	s_mul_hi_u32 s0, s12, s0
	s_add_i32 s12, s12, s0
	s_cmp_lt_i32 s3, 0
	s_mul_hi_u32 s0, s2, s12
	s_cbranch_scc0 .LBB160_7
; %bb.6:
	s_mul_i32 s15, s16, s36
	s_mov_b32 s20, 0
	s_add_i32 s15, s1, s15
	s_mul_i32 s15, s15, s3
	s_sub_i32 s33, 1, s15
.LBB160_7:
	s_load_dwordx2 s[28:29], s[4:5], 0x38
	s_ashr_i32 s15, s7, 31
	s_andn2_b32 vcc_lo, exec_lo, s20
	s_ashr_i32 s19, s19, 31
	s_cbranch_vccnz .LBB160_9
; %bb.8:
	s_mul_i32 s7, s9, s16
	s_add_i32 s7, s7, s6
	s_mul_i32 s3, s7, s3
	s_add_i32 s33, s3, 1
.LBB160_9:
	buffer_store_dword v4, off, s[48:51], 0 ; 4-byte Folded Spill
	s_clause 0x4
	s_load_dword s3, s[4:5], 0x48
	s_load_dwordx2 s[34:35], s[4:5], 0x28
	s_load_dword s7, s[4:5], 0x98
	s_load_dwordx4 s[20:23], s[4:5], 0x0
	s_load_dwordx2 s[24:25], s[4:5], 0x10
	s_mul_i32 s16, s0, s11
	s_xor_b32 s15, s15, s19
	s_sub_i32 s2, s2, s16
	s_add_i32 s36, s0, 1
	v_lshrrev_b32_e32 v1, 5, v0
	v_mov_b32_e32 v39, 0xff7fffff
	v_mbcnt_lo_u32_b32 v38, -1, 0
	s_mul_i32 s14, s1, s14
	v_lshl_add_u32 v63, v1, 4, s38
	s_waitcnt lgkmcnt(0)
	s_mul_i32 s30, s3, s26
	s_sub_i32 s3, s2, s11
	s_ashr_i32 s31, s30, 31
	s_cmp_ge_u32 s2, s11
	s_cselect_b32 s0, s36, s0
	s_cselect_b32 s2, s3, s2
	s_add_i32 s3, s0, 1
	s_cmp_ge_u32 s2, s11
	s_cselect_b32 s0, s3, s0
	s_add_i32 s2, s27, 15
	s_lshl_b32 s41, s8, 5
	s_ashr_i32 s3, s2, 31
	v_or_b32_e32 v57, s41, v1
	s_lshr_b32 s3, s3, 28
	s_add_i32 s2, s2, s3
	s_add_i32 s3, s41, 32
	s_ashr_i32 s36, s2, 4
	s_xor_b32 s2, s0, s15
	s_min_i32 s16, s3, s36
	v_ashrrev_i32_e32 v58, 31, v57
	v_cmp_gt_i32_e64 s0, s16, v57
	s_sub_i32 s39, s2, s15
	s_and_saveexec_b32 s42, s0
	s_cbranch_execz .LBB160_21
; %bb.10:
	s_load_dwordx2 s[2:3], s[4:5], 0x20
	s_ashr_i32 s15, s14, 31
	s_sub_i32 s5, s39, s17
	s_lshl_b64 s[44:45], s[14:15], 1
	v_bfe_u32 v40, v0, 1, 4
	v_lshrrev_b32_e32 v7, 5, v0
	v_and_b32_e32 v4, 8, v13
	v_cmp_neq_f32_e64 s1, s40, 0
	v_xor_b32_e32 v44, 1, v38
	v_lshlrev_b32_e32 v5, 2, v40
	v_lshl_add_u32 v42, v7, 4, s38
	v_subrev_nc_u32_e32 v6, s27, v40
	v_mov_b32_e32 v39, 0xff7fffff
	v_mov_b32_e32 v50, v57
	v_lshl_or_b32 v5, v7, 6, v5
	v_lshlrev_b32_e32 v7, 4, v40
	v_add_nc_u32_e32 v45, 1, v6
	v_add_nc_u32_e32 v46, 0x1a0, v5
	s_waitcnt lgkmcnt(0)
	s_add_u32 s4, s2, s44
	s_addc_u32 s43, s3, s45
	s_abs_i32 s15, s18
	v_add_co_u32 v7, s4, s4, v7
	v_cvt_f32_u32_e32 v1, s15
	s_sub_i32 s2, 0, s15
	v_add_co_ci_u32_e64 v8, null, s43, 0, s4
	s_mov_b32 s43, 0
	v_rcp_iflag_f32_e32 v3, v1
	v_and_b32_e32 v1, 1, v0
	s_mov_b32 s44, s13
	v_cmp_eq_u32_e32 vcc_lo, 0, v1
	v_mul_u32_u24_e32 v41, 0xc0, v1
	v_lshlrev_b64 v[1:2], 2, v[57:58]
	v_mul_f32_e32 v3, 0x4f7ffffe, v3
	v_cvt_u32_f32_e32 v3, v3
	v_mul_lo_u32 v5, s2, v3
	s_lshl_b64 s[2:3], s[30:31], 2
	s_add_u32 s2, s28, s2
	s_addc_u32 s3, s29, s3
	v_mul_hi_u32 v9, v3, v5
	v_add_co_u32 v5, s2, s2, v1
	v_add_co_ci_u32_e64 v6, null, s3, v2, s2
	v_add_co_u32 v47, s2, v7, v4
	v_add_co_ci_u32_e64 v48, null, 0, v8, s2
	v_add_nc_u32_e32 v49, v3, v9
	s_branch .LBB160_13
.LBB160_11:                             ;   in Loop: Header=BB160_13 Depth=1
	s_or_b32 exec_lo, exec_lo, s3
.LBB160_12:                             ;   in Loop: Header=BB160_13 Depth=1
	s_or_b32 exec_lo, exec_lo, s45
	v_add_nc_u32_e32 v50, 4, v50
	v_add_co_u32 v5, s3, v5, 16
	v_add_co_ci_u32_e64 v6, null, 0, v6, s3
	v_cmp_le_i32_e64 s2, s16, v50
	v_add_nc_u32_e32 v42, 64, v42
	v_add_nc_u32_e32 v46, 0x100, v46
	s_or_b32 s43, s2, s43
	s_andn2_b32 exec_lo, exec_lo, s43
	s_cbranch_execz .LBB160_20
.LBB160_13:                             ; =>This Inner Loop Header: Depth=1
	v_sub_nc_u32_e32 v1, 0, v42
	v_max_i32_e32 v1, v42, v1
	s_waitcnt lgkmcnt(0)
	v_mul_hi_u32 v2, v1, s12
	v_mul_lo_u32 v3, v2, s11
	v_sub_nc_u32_e32 v1, v1, v3
	v_add_nc_u32_e32 v3, 1, v2
	v_subrev_nc_u32_e32 v4, s11, v1
	v_cmp_le_u32_e64 s2, s11, v1
	v_cndmask_b32_e64 v2, v2, v3, s2
	v_cndmask_b32_e64 v1, v1, v4, s2
	v_ashrrev_i32_e32 v3, 31, v42
	v_add_nc_u32_e32 v4, 1, v2
	v_cmp_le_u32_e64 s2, s11, v1
	v_xor_b32_e32 v3, s19, v3
	v_cndmask_b32_e64 v1, v2, v4, s2
	v_xor_b32_e32 v1, v1, v3
	v_sub_nc_u32_e32 v1, v1, v3
	v_add_nc_u32_e32 v2, s33, v1
	v_cmp_ge_i32_e64 s3, s5, v1
	v_sub_nc_u32_e32 v3, 0, v2
	v_max_i32_e32 v3, v2, v3
	v_ashrrev_i32_e32 v2, 31, v2
	v_mul_hi_u32 v4, v3, v49
	v_mul_lo_u32 v4, v4, s15
	v_sub_nc_u32_e32 v3, v3, v4
	v_subrev_nc_u32_e32 v4, s15, v3
	v_cmp_le_u32_e64 s2, s15, v3
	v_cndmask_b32_e64 v3, v3, v4, s2
	v_subrev_nc_u32_e32 v4, s15, v3
	v_cmp_le_u32_e64 s2, s15, v3
	v_cndmask_b32_e64 v3, v3, v4, s2
	v_xor_b32_e32 v3, v3, v2
	v_sub_nc_u32_e32 v2, v3, v2
	v_cmp_ne_u32_e64 s2, 0, v2
	s_and_b32 s2, s2, s3
	s_and_saveexec_b32 s3, s2
	s_xor_b32 s2, exec_lo, s3
	s_cbranch_execz .LBB160_17
; %bb.14:                               ;   in Loop: Header=BB160_13 Depth=1
	s_and_saveexec_b32 s3, vcc_lo
; %bb.15:                               ;   in Loop: Header=BB160_13 Depth=1
	v_mov_b32_e32 v1, 0xff7fffff
	ds_write_b32 v46, v1
; %bb.16:                               ;   in Loop: Header=BB160_13 Depth=1
	s_or_b32 exec_lo, exec_lo, s3
.LBB160_17:                             ;   in Loop: Header=BB160_13 Depth=1
	s_andn2_saveexec_b32 s45, s2
	s_cbranch_execz .LBB160_12
; %bb.18:                               ;   in Loop: Header=BB160_13 Depth=1
	global_load_dword v34, v[5:6], off
	ds_read_b128 v[22:25], v41
	ds_read_b128 v[26:29], v41 offset:16
	ds_read_b128 v[30:33], v41 offset:32
	;; [unrolled: 1-line block ×10, first 2 shown]
	s_waitcnt lgkmcnt(10)
	v_lshlrev_b32_e32 v109, 16, v24
	v_lshlrev_b32_e32 v115, 16, v25
	v_and_b32_e32 v120, 0xffff0000, v24
	v_and_b32_e32 v121, 0xffff0000, v25
	s_waitcnt lgkmcnt(9)
	v_lshlrev_b32_e32 v117, 16, v26
	v_lshlrev_b32_e32 v21, 16, v27
	v_and_b32_e32 v122, 0xffff0000, v26
	v_and_b32_e32 v123, 0xffff0000, v27
	v_lshlrev_b32_e32 v19, 16, v28
	v_and_b32_e32 v124, 0xffff0000, v28
	v_lshlrev_b32_e32 v36, 16, v23
	v_lshlrev_b32_e32 v16, 16, v29
	s_waitcnt lgkmcnt(5)
	v_lshlrev_b32_e32 v87, 16, v68
	v_and_b32_e32 v119, 0xffff0000, v23
	v_and_b32_e32 v23, 0xffff0000, v29
	;; [unrolled: 1-line block ×3, first 2 shown]
	s_waitcnt lgkmcnt(4)
	v_lshlrev_b32_e32 v72, 16, v74
	v_and_b32_e32 v68, 0xffff0000, v74
	v_lshlrev_b32_e32 v78, 16, v75
	v_and_b32_e32 v79, 0xffff0000, v75
	s_waitcnt lgkmcnt(3)
	v_lshlrev_b32_e32 v74, 16, v92
	v_and_b32_e32 v75, 0xffff0000, v92
	v_lshlrev_b32_e32 v35, 16, v22
	v_lshlrev_b32_e32 v14, 16, v30
	v_lshlrev_b32_e32 v7, 16, v51
	v_lshlrev_b32_e32 v3, 16, v53
	v_and_b32_e32 v118, 0xffff0000, v22
	v_and_b32_e32 v22, 0xffff0000, v30
	;; [unrolled: 1-line block ×4, first 2 shown]
	s_waitcnt lgkmcnt(2)
	v_lshlrev_b32_e32 v53, 16, v97
	v_and_b32_e32 v51, 0xffff0000, v97
	s_waitcnt lgkmcnt(1)
	v_lshlrev_b32_e32 v56, 16, v100
	v_and_b32_e32 v97, 0xffff0000, v100
	v_lshlrev_b32_e32 v11, 16, v31
	v_and_b32_e32 v20, 0xffff0000, v31
	v_lshlrev_b32_e32 v9, 16, v32
	v_lshlrev_b32_e32 v8, 16, v33
	v_lshlrev_b32_e32 v4, 16, v52
	v_lshlrev_b32_e32 v2, 16, v54
	v_lshlrev_b32_e32 v1, 16, v64
	v_lshlrev_b32_e32 v114, 16, v65
	v_lshlrev_b32_e32 v111, 16, v66
	v_lshlrev_b32_e32 v110, 16, v67
	v_and_b32_e32 v18, 0xffff0000, v32
	v_and_b32_e32 v17, 0xffff0000, v33
	;; [unrolled: 1-line block ×8, first 2 shown]
	v_lshlrev_b32_e32 v82, 16, v73
	v_and_b32_e32 v81, 0xffff0000, v73
	v_lshlrev_b32_e32 v73, 16, v76
	v_and_b32_e32 v66, 0xffff0000, v76
	;; [unrolled: 2-line block ×8, first 2 shown]
	s_waitcnt lgkmcnt(0)
	v_lshlrev_b32_e32 v102, 16, v105
	v_and_b32_e32 v103, 0xffff0000, v105
	v_lshlrev_b32_e32 v105, 16, v108
	v_and_b32_e32 v104, 0xffff0000, v108
	v_lshlrev_b32_e32 v85, 16, v69
	v_lshlrev_b32_e32 v83, 16, v70
	v_and_b32_e32 v86, 0xffff0000, v70
	v_lshlrev_b32_e32 v80, 16, v71
	v_and_b32_e32 v88, 0xffff0000, v69
	v_and_b32_e32 v84, 0xffff0000, v71
	v_lshlrev_b32_e32 v69, 16, v91
	v_and_b32_e32 v59, 0xffff0000, v91
	v_lshlrev_b32_e32 v70, 16, v94
	;; [unrolled: 2-line block ×5, first 2 shown]
	v_and_b32_e32 v107, 0xffff0000, v107
	s_waitcnt vmcnt(0)
	v_mad_i64_i32 v[24:25], null, v34, s44, 0
	v_lshlrev_b64 v[24:25], 1, v[24:25]
	v_add_co_u32 v24, s2, v47, v24
	v_add_co_ci_u32_e64 v25, null, v48, v25, s2
	global_load_dwordx2 v[26:27], v[24:25], off offset:256
	s_waitcnt vmcnt(0)
	v_lshlrev_b32_e32 v28, 16, v26
	v_and_b32_e32 v26, 0xffff0000, v26
	v_and_b32_e32 v31, 0xffff0000, v27
	v_mul_f32_e32 v92, v109, v28
	global_load_dwordx2 v[28:29], v[24:25], off
	v_mul_f32_e32 v100, v120, v26
	v_mul_f32_e32 v109, v121, v31
	v_add_co_u32 v121, s4, 0x1000, v24
	s_waitcnt vmcnt(0)
	v_lshlrev_b32_e32 v30, 16, v28
	v_and_b32_e32 v26, 0xffff0000, v28
	v_lshlrev_b32_e32 v28, 16, v29
	v_and_b32_e32 v29, 0xffff0000, v29
	v_fmac_f32_e32 v92, v35, v30
	v_lshlrev_b32_e32 v30, 16, v27
	v_fmac_f32_e32 v100, v118, v26
	global_load_dwordx2 v[26:27], v[24:25], off offset:512
	v_fmac_f32_e32 v109, v119, v29
	v_add_co_u32 v119, s3, v24, 0x1000
	v_mul_f32_e32 v108, v115, v30
	v_add_co_ci_u32_e64 v120, null, 0, v25, s3
	v_fmac_f32_e32 v108, v36, v28
	s_waitcnt vmcnt(0)
	v_lshlrev_b32_e32 v30, 16, v26
	v_and_b32_e32 v32, 0xffff0000, v26
	v_lshlrev_b32_e32 v33, 16, v27
	v_and_b32_e32 v34, 0xffff0000, v27
	global_load_dwordx2 v[26:27], v[24:25], off offset:768
	v_fmac_f32_e32 v92, v117, v30
	v_fmac_f32_e32 v100, v122, v32
	;; [unrolled: 1-line block ×3, first 2 shown]
	v_add_co_u32 v117, s2, 0x800, v24
	v_fmac_f32_e32 v109, v123, v34
	v_add_co_ci_u32_e64 v118, null, 0, v25, s2
	v_add_co_ci_u32_e64 v122, null, 0, v25, s4
	v_cmp_gt_i32_e64 s2, 32, v44
	s_waitcnt vmcnt(0)
	v_lshlrev_b32_e32 v28, 16, v26
	v_and_b32_e32 v29, 0xffff0000, v26
	v_lshlrev_b32_e32 v31, 16, v27
	v_and_b32_e32 v35, 0xffff0000, v27
	global_load_dwordx2 v[26:27], v[24:25], off offset:1024
	v_fmac_f32_e32 v92, v19, v28
	v_fmac_f32_e32 v100, v124, v29
	;; [unrolled: 1-line block ×4, first 2 shown]
	s_waitcnt vmcnt(0)
	v_lshlrev_b32_e32 v30, 16, v26
	v_and_b32_e32 v32, 0xffff0000, v26
	v_lshlrev_b32_e32 v36, 16, v27
	v_and_b32_e32 v115, 0xffff0000, v27
	global_load_dwordx2 v[26:27], v[24:25], off offset:1280
	v_fmac_f32_e32 v92, v14, v30
	global_load_dwordx2 v[29:30], v[117:118], off offset:1024
	v_fmac_f32_e32 v108, v11, v36
	;; [unrolled: 2-line block ×3, first 2 shown]
	global_load_dwordx2 v[21:22], v[119:120], off offset:-2048
	v_fmac_f32_e32 v109, v20, v115
	global_load_dwordx2 v[31:32], v[117:118], off offset:768
	s_waitcnt vmcnt(4)
	v_lshlrev_b32_e32 v33, 16, v26
	v_and_b32_e32 v34, 0xffff0000, v26
	v_lshlrev_b32_e32 v123, 16, v27
	v_and_b32_e32 v125, 0xffff0000, v27
	global_load_dwordx2 v[26:27], v[24:25], off offset:1536
	v_fmac_f32_e32 v92, v9, v33
	v_fmac_f32_e32 v100, v18, v34
	s_clause 0x1
	global_load_dwordx2 v[33:34], v[117:118], off offset:512
	global_load_dwordx2 v[23:24], v[24:25], off offset:1792
	s_waitcnt vmcnt(4)
	v_lshlrev_b32_e32 v37, 16, v21
	v_and_b32_e32 v62, 0xffff0000, v21
	v_lshlrev_b32_e32 v43, 16, v22
	v_and_b32_e32 v115, 0xffff0000, v22
	v_fmac_f32_e32 v109, v17, v125
	v_fmac_f32_e32 v108, v8, v123
	s_waitcnt vmcnt(2)
	v_lshlrev_b32_e32 v124, 16, v27
	v_and_b32_e32 v126, 0xffff0000, v27
	global_load_dwordx2 v[27:28], v[117:118], off offset:1280
	v_lshlrev_b32_e32 v19, 16, v26
	v_and_b32_e32 v26, 0xffff0000, v26
	s_waitcnt vmcnt(1)
	v_lshlrev_b32_e32 v14, 16, v23
	v_and_b32_e32 v127, 0xffff0000, v23
	v_lshlrev_b32_e32 v60, 16, v24
	v_and_b32_e32 v61, 0xffff0000, v24
	v_fmac_f32_e32 v100, v15, v26
	s_clause 0x2
	global_load_dwordx2 v[25:26], v[117:118], off offset:1536
	global_load_dwordx2 v[23:24], v[117:118], off offset:1792
	global_load_dwordx2 v[21:22], v[119:120], off
	v_fmac_f32_e32 v92, v7, v19
	s_clause 0x2
	global_load_dwordx2 v[19:20], v[121:122], off offset:256
	global_load_dwordx2 v[17:18], v[121:122], off offset:512
	global_load_dwordx2 v[15:16], v[121:122], off offset:768
	v_fmac_f32_e32 v109, v13, v126
	v_fmac_f32_e32 v92, v3, v14
	global_load_dwordx2 v[13:14], v[121:122], off offset:1024
	v_fmac_f32_e32 v100, v12, v127
	global_load_dwordx2 v[11:12], v[121:122], off offset:1280
	v_fmac_f32_e32 v109, v10, v61
	s_clause 0x1
	global_load_dwordx2 v[9:10], v[121:122], off offset:1536
	global_load_dwordx2 v[7:8], v[121:122], off offset:1792
	v_fmac_f32_e32 v108, v4, v124
	v_fmac_f32_e32 v92, v1, v37
	;; [unrolled: 1-line block ×3, first 2 shown]
	v_lshlrev_b32_e32 v37, 16, v35
	v_and_b32_e32 v35, 0xffff0000, v35
	v_fmac_f32_e32 v108, v2, v60
	v_fmac_f32_e32 v109, v113, v115
	v_lshlrev_b32_e32 v60, 16, v36
	v_fmac_f32_e32 v92, v111, v37
	v_fmac_f32_e32 v100, v112, v35
	;; [unrolled: 1-line block ×3, first 2 shown]
	v_and_b32_e32 v36, 0xffff0000, v36
	v_lshlrev_b32_e32 v61, 16, v33
	v_and_b32_e32 v33, 0xffff0000, v33
	v_lshlrev_b32_e32 v62, 16, v31
	v_fmac_f32_e32 v108, v110, v60
	v_fmac_f32_e32 v109, v99, v36
	v_lshlrev_b32_e32 v36, 16, v34
	v_fmac_f32_e32 v92, v87, v61
	v_and_b32_e32 v31, 0xffff0000, v31
	v_fmac_f32_e32 v100, v89, v33
	v_and_b32_e32 v34, 0xffff0000, v34
	v_lshlrev_b32_e32 v61, 16, v32
	v_lshlrev_b32_e32 v87, 16, v29
	v_and_b32_e32 v29, 0xffff0000, v29
	v_fmac_f32_e32 v108, v85, v36
	v_fmac_f32_e32 v92, v83, v62
	;; [unrolled: 1-line block ×3, first 2 shown]
	v_and_b32_e32 v32, 0xffff0000, v32
	v_lshlrev_b32_e32 v33, 16, v30
	v_fmac_f32_e32 v109, v88, v34
	v_fmac_f32_e32 v108, v80, v61
	;; [unrolled: 1-line block ×4, first 2 shown]
	v_and_b32_e32 v30, 0xffff0000, v30
	v_fmac_f32_e32 v109, v84, v32
	v_fmac_f32_e32 v108, v72, v33
	ds_read_b128 v[1:4], v41 offset:176
	v_fmac_f32_e32 v109, v68, v30
	s_waitcnt lgkmcnt(0)
	v_lshlrev_b32_e32 v43, 16, v1
	v_and_b32_e32 v1, 0xffff0000, v1
	v_lshlrev_b32_e32 v37, 16, v2
	v_lshlrev_b32_e32 v35, 16, v3
	v_and_b32_e32 v3, 0xffff0000, v3
	v_and_b32_e32 v2, 0xffff0000, v2
	v_lshlrev_b32_e32 v60, 16, v4
	s_waitcnt vmcnt(10)
	v_lshlrev_b32_e32 v89, 16, v27
	v_and_b32_e32 v27, 0xffff0000, v27
	v_lshlrev_b32_e32 v36, 16, v28
	v_and_b32_e32 v28, 0xffff0000, v28
	v_fmac_f32_e32 v92, v89, v78
	s_waitcnt vmcnt(9)
	v_lshlrev_b32_e32 v85, 16, v25
	v_and_b32_e32 v25, 0xffff0000, v25
	v_fmac_f32_e32 v100, v27, v79
	v_lshlrev_b32_e32 v34, 16, v26
	s_waitcnt vmcnt(8)
	v_lshlrev_b32_e32 v88, 16, v23
	v_and_b32_e32 v23, 0xffff0000, v23
	v_fmac_f32_e32 v108, v36, v73
	v_fmac_f32_e32 v92, v85, v76
	v_fmac_f32_e32 v100, v25, v77
	v_and_b32_e32 v26, 0xffff0000, v26
	v_lshlrev_b32_e32 v62, 16, v24
	s_waitcnt vmcnt(7)
	v_lshlrev_b32_e32 v83, 16, v21
	v_and_b32_e32 v21, 0xffff0000, v21
	v_fmac_f32_e32 v109, v28, v66
	v_fmac_f32_e32 v108, v34, v69
	v_fmac_f32_e32 v92, v88, v74
	v_fmac_f32_e32 v100, v23, v75
	v_and_b32_e32 v24, 0xffff0000, v24
	v_lshlrev_b32_e32 v31, 16, v22
	s_waitcnt vmcnt(6)
	v_lshlrev_b32_e32 v86, 16, v19
	v_and_b32_e32 v19, 0xffff0000, v19
	v_fmac_f32_e32 v109, v26, v59
	;; [unrolled: 9-line block ×7, first 2 shown]
	v_fmac_f32_e32 v108, v29, v101
	v_fmac_f32_e32 v92, v81, v106
	;; [unrolled: 1-line block ×3, first 2 shown]
	v_and_b32_e32 v12, 0xffff0000, v12
	v_lshlrev_b32_e32 v17, 16, v10
	s_waitcnt vmcnt(0)
	v_lshlrev_b32_e32 v13, 16, v7
	v_fmac_f32_e32 v109, v14, v98
	v_and_b32_e32 v7, 0xffff0000, v7
	v_fmac_f32_e32 v108, v25, v105
	v_fmac_f32_e32 v92, v21, v43
	;; [unrolled: 1-line block ×3, first 2 shown]
	v_and_b32_e32 v10, 0xffff0000, v10
	v_fmac_f32_e32 v109, v12, v104
	v_lshlrev_b32_e32 v1, 16, v8
	v_fmac_f32_e32 v108, v17, v37
	v_fmac_f32_e32 v92, v13, v35
	;; [unrolled: 1-line block ×4, first 2 shown]
	v_and_b32_e32 v2, 0xffff0000, v4
	v_and_b32_e32 v3, 0xffff0000, v8
	v_fmac_f32_e32 v108, v1, v60
	v_add_f32_e32 v1, v92, v100
	v_cndmask_b32_e64 v4, v38, v44, s2
	v_fmac_f32_e32 v109, v3, v2
	v_add_f32_e32 v1, v1, v108
	v_lshlrev_b32_e32 v2, 2, v4
	v_add_f32_e32 v1, v109, v1
	ds_bpermute_b32 v2, v2, v1
	s_and_saveexec_b32 s3, vcc_lo
	s_cbranch_execz .LBB160_11
; %bb.19:                               ;   in Loop: Header=BB160_13 Depth=1
	v_add_nc_u32_e32 v3, v45, v42
	s_waitcnt lgkmcnt(0)
	v_add_f32_e32 v1, v1, v2
	v_cvt_f32_i32_e32 v3, v3
	v_mul_f32_e32 v3, s40, v3
	v_cndmask_b32_e64 v2, 0, v3, s1
	v_max_f32_e32 v3, v39, v39
	v_fmac_f32_e32 v2, s37, v1
	v_add_nc_u32_e32 v1, v40, v42
	v_max_f32_e32 v3, v3, v2
	v_cmp_gt_i32_e64 s2, s27, v1
	v_cndmask_b32_e64 v1, 0, v2, s2
	v_cndmask_b32_e64 v39, v39, v3, s2
	ds_write_b32 v46, v1
	s_branch .LBB160_11
.LBB160_20:
	s_or_b32 exec_lo, exec_lo, s43
	v_lshlrev_b32_e32 v13, 3, v0
.LBB160_21:
	s_or_b32 exec_lo, exec_lo, s42
	v_xor_b32_e32 v1, 16, v38
	s_waitcnt lgkmcnt(0)
	v_xor_b32_e32 v2, 8, v38
	v_max_f32_e32 v4, v39, v39
	v_and_b32_e32 v64, 31, v0
	v_lshrrev_b32_e32 v7, 5, v0
	v_cmp_gt_i32_e32 vcc_lo, 32, v1
	v_lshlrev_b32_e32 v7, 2, v7
	v_cndmask_b32_e32 v1, v38, v1, vcc_lo
	v_cmp_gt_i32_e32 vcc_lo, 32, v2
	v_lshlrev_b32_e32 v3, 2, v1
	v_cndmask_b32_e32 v2, v38, v2, vcc_lo
	ds_bpermute_b32 v1, v3, v39
	v_lshlrev_b32_e32 v5, 2, v2
	s_waitcnt lgkmcnt(0)
	v_max_f32_e32 v1, v1, v1
	v_max_f32_e32 v1, v4, v1
	v_xor_b32_e32 v4, 4, v38
	ds_bpermute_b32 v2, v5, v1
	v_cmp_gt_i32_e32 vcc_lo, 32, v4
	v_cndmask_b32_e32 v4, v38, v4, vcc_lo
	v_lshlrev_b32_e32 v6, 2, v4
	v_xor_b32_e32 v4, 2, v38
	v_cmp_gt_i32_e32 vcc_lo, 32, v4
	s_waitcnt lgkmcnt(0)
	v_max_f32_e32 v2, v2, v2
	v_cndmask_b32_e32 v4, v38, v4, vcc_lo
	v_cmp_eq_u32_e32 vcc_lo, 0, v64
	v_max_f32_e32 v1, v1, v2
	ds_bpermute_b32 v2, v6, v1
	s_waitcnt lgkmcnt(0)
	v_max_f32_e32 v2, v2, v2
	v_max_f32_e32 v1, v1, v2
	v_lshlrev_b32_e32 v2, 2, v4
	ds_bpermute_b32 v4, v2, v1
	s_and_saveexec_b32 s1, vcc_lo
	s_cbranch_execz .LBB160_23
; %bb.22:
	s_waitcnt lgkmcnt(0)
	v_max_f32_e32 v4, v4, v4
	v_max_f32_e32 v1, v1, v1
	;; [unrolled: 1-line block ×3, first 2 shown]
	ds_write_b32 v7, v1 offset:384
.LBB160_23:
	s_or_b32 exec_lo, exec_lo, s1
	v_cmp_gt_u32_e64 s1, 4, v64
	v_mov_b32_e32 v1, 0xff7fffff
	v_lshlrev_b32_e32 v8, 2, v64
	s_waitcnt lgkmcnt(0)
	s_waitcnt_vscnt null, 0x0
	s_barrier
	buffer_gl0_inv
	s_and_saveexec_b32 s2, s1
; %bb.24:
	ds_read_b32 v1, v8 offset:384
; %bb.25:
	s_or_b32 exec_lo, exec_lo, s2
	s_waitcnt lgkmcnt(0)
	ds_bpermute_b32 v4, v2, v1
	v_xor_b32_e32 v9, 1, v38
	v_max_f32_e32 v1, v1, v1
	v_cmp_gt_i32_e64 s2, 32, v9
	v_cndmask_b32_e64 v9, v38, v9, s2
	s_sub_i32 s2, s16, s41
	s_lshl_b32 s2, s2, 4
	v_lshlrev_b32_e32 v65, 2, v9
	v_mov_b32_e32 v9, 0
	s_add_i32 s2, s2, s38
	s_min_i32 s2, s2, s27
	s_waitcnt lgkmcnt(0)
	v_max_f32_e32 v4, v4, v4
	s_sub_i32 s4, s2, s38
	v_cmp_gt_i32_e64 s2, s4, v0
	v_max_f32_e32 v1, v1, v4
	ds_bpermute_b32 v4, v65, v1
	s_waitcnt lgkmcnt(0)
	v_max_f32_e32 v4, v4, v4
	v_max_f32_e32 v1, v1, v4
	v_lshl_add_u32 v4, v0, 2, 0x1a0
	ds_bpermute_b32 v1, v9, v1
	s_and_saveexec_b32 s5, s2
	s_cbranch_execz .LBB160_29
; %bb.26:
	v_lshl_add_u32 v10, v0, 2, 0x1a0
	v_mov_b32_e32 v9, 0
	v_mov_b32_e32 v11, v0
	s_mov_b32 s15, 0
	.p2align	6
.LBB160_27:                             ; =>This Inner Loop Header: Depth=1
	ds_read_b32 v12, v10
	v_add_nc_u32_e32 v11, 0x80, v11
	v_cmp_le_i32_e64 s3, s4, v11
	s_or_b32 s15, s3, s15
	s_waitcnt lgkmcnt(0)
	v_sub_f32_e32 v12, v12, v1
	v_mul_f32_e32 v12, 0x3fb8aa3b, v12
	v_exp_f32_e32 v12, v12
	ds_write_b32 v10, v12
	v_add_f32_e32 v9, v9, v12
	v_add_nc_u32_e32 v10, 0x200, v10
	s_andn2_b32 exec_lo, exec_lo, s15
	s_cbranch_execnz .LBB160_27
; %bb.28:
	s_or_b32 exec_lo, exec_lo, s15
.LBB160_29:
	s_or_b32 exec_lo, exec_lo, s5
	ds_bpermute_b32 v3, v3, v9
	s_waitcnt lgkmcnt(0)
	v_add_f32_e32 v3, v9, v3
	ds_bpermute_b32 v5, v5, v3
	s_waitcnt lgkmcnt(0)
	v_add_f32_e32 v3, v3, v5
	ds_bpermute_b32 v5, v6, v3
	s_waitcnt lgkmcnt(0)
	v_add_f32_e32 v3, v3, v5
	ds_bpermute_b32 v5, v2, v3
	s_waitcnt lgkmcnt(0)
	v_add_f32_e32 v3, v3, v5
	ds_bpermute_b32 v5, v65, v3
	s_waitcnt lgkmcnt(0)
	v_add_f32_e32 v3, v3, v5
	s_and_saveexec_b32 s3, vcc_lo
; %bb.30:
	ds_write_b32 v7, v3 offset:400
; %bb.31:
	s_or_b32 exec_lo, exec_lo, s3
	s_waitcnt lgkmcnt(0)
	s_barrier
	buffer_gl0_inv
	s_and_saveexec_b32 s3, s1
; %bb.32:
	ds_read_b32 v3, v8 offset:400
; %bb.33:
	s_or_b32 exec_lo, exec_lo, s3
	s_waitcnt lgkmcnt(0)
	ds_bpermute_b32 v2, v2, v3
	s_waitcnt lgkmcnt(0)
	v_add_f32_e32 v2, v3, v2
	ds_bpermute_b32 v3, v65, v2
	s_waitcnt lgkmcnt(0)
	v_add_f32_e32 v2, v2, v3
	v_mov_b32_e32 v3, 0
	ds_bpermute_b32 v2, v3, v2
	s_and_saveexec_b32 s1, s2
	s_cbranch_execz .LBB160_36
; %bb.34:
	s_waitcnt lgkmcnt(0)
	v_add_f32_e32 v3, 0x358637bd, v2
	s_mov_b32 s2, 0
	v_div_scale_f32 v5, null, v3, v3, 1.0
	v_div_scale_f32 v8, vcc_lo, 1.0, v3, 1.0
	v_rcp_f32_e32 v6, v5
	v_fma_f32 v7, -v5, v6, 1.0
	v_fmac_f32_e32 v6, v7, v6
	v_mul_f32_e32 v7, v8, v6
	v_fma_f32 v9, -v5, v7, v8
	v_fmac_f32_e32 v7, v9, v6
	v_fma_f32 v5, -v5, v7, v8
	v_div_fmas_f32 v5, v5, v6, v7
	v_div_fixup_f32 v3, v5, v3, 1.0
	v_mov_b32_e32 v5, v0
.LBB160_35:                             ; =>This Inner Loop Header: Depth=1
	ds_read_b32 v6, v4
	v_add_nc_u32_e32 v5, 0x80, v5
	v_cmp_le_i32_e32 vcc_lo, s4, v5
	s_or_b32 s2, vcc_lo, s2
	s_waitcnt lgkmcnt(0)
	v_mul_f32_e32 v6, v3, v6
	ds_write_b32 v4, v6
	v_add_nc_u32_e32 v4, 0x200, v4
	s_andn2_b32 exec_lo, exec_lo, s2
	s_cbranch_execnz .LBB160_35
.LBB160_36:
	s_or_b32 exec_lo, exec_lo, s1
	s_mul_i32 s1, s7, s26
	s_waitcnt lgkmcnt(0)
	s_mul_i32 s4, s1, s9
	s_mov_b32 s1, exec_lo
	s_barrier
	buffer_gl0_inv
	v_cmpx_eq_u32_e32 0, v0
	s_cbranch_execz .LBB160_38
; %bb.37:
	s_ashr_i32 s5, s4, 31
	s_mul_i32 s40, s7, s6
	s_lshl_b64 s[2:3], s[4:5], 2
	v_mov_b32_e32 v3, 0
	s_add_u32 s5, s22, s2
	s_addc_u32 s6, s23, s3
	s_ashr_i32 s41, s40, 31
	s_lshl_b64 s[22:23], s[40:41], 2
	s_add_u32 s5, s5, s22
	s_addc_u32 s6, s6, s23
	s_ashr_i32 s9, s8, 31
	s_lshl_b64 s[40:41], s[8:9], 2
	s_add_u32 s42, s5, s40
	s_addc_u32 s43, s6, s41
	s_add_u32 s2, s20, s2
	s_addc_u32 s3, s21, s3
	;; [unrolled: 2-line block ×4, first 2 shown]
	global_store_dword v3, v1, s[42:43]
	global_store_dword v3, v2, s[2:3]
.LBB160_38:
	s_or_b32 exec_lo, exec_lo, s1
	v_mov_b32_e32 v77, 0
	v_mov_b32_e32 v76, 0
	;; [unrolled: 1-line block ×12, first 2 shown]
	s_and_saveexec_b32 s3, s0
	s_cbranch_execz .LBB160_68
; %bb.39:
	s_ashr_i32 s15, s14, 31
	s_sub_i32 s5, s39, s17
	s_lshl_b64 s[0:1], s[14:15], 1
	v_and_b32_e32 v5, 1, v0
	s_add_u32 s2, s34, s0
	s_addc_u32 s14, s35, s1
	s_abs_i32 s6, s18
	v_lshlrev_b32_e32 v4, 4, v0
	v_cvt_f32_u32_e32 v1, s6
	s_sub_i32 s0, 0, s6
	v_lshlrev_b32_e32 v5, 5, v5
	v_lshrrev_b32_e32 v7, 5, v0
	v_and_b32_e32 v4, 0x1f0, v4
	v_rcp_iflag_f32_e32 v3, v1
	v_lshlrev_b64 v[1:2], 2, v[57:58]
	s_add_i32 s9, s36, -1
	v_lshl_or_b32 v5, v7, 6, v5
	v_add_co_u32 v80, s2, s2, v4
	v_and_b32_e32 v78, 8, v13
	v_mov_b32_e32 v79, 0
	v_mov_b32_e32 v66, 0
	;; [unrolled: 1-line block ×3, first 2 shown]
	v_mul_f32_e32 v3, 0x4f7ffffe, v3
	v_mov_b32_e32 v68, 0
	v_mov_b32_e32 v69, 0
	;; [unrolled: 1-line block ×4, first 2 shown]
	v_cvt_u32_f32_e32 v3, v3
	v_mov_b32_e32 v72, 0
	v_mov_b32_e32 v73, 0
	;; [unrolled: 1-line block ×4, first 2 shown]
	v_mul_lo_u32 v6, s0, v3
	s_lshl_b64 s[0:1], s[30:31], 2
	v_mov_b32_e32 v76, 0
	s_add_u32 s0, s28, s0
	s_addc_u32 s1, s29, s1
	v_add_co_u32 v58, vcc_lo, s0, v1
	v_add_co_ci_u32_e64 v81, null, s14, 0, s2
	v_mul_hi_u32 v6, v3, v6
	v_add_nc_u32_e32 v82, 0x1a0, v5
	v_add_co_ci_u32_e64 v59, null, s1, v2, vcc_lo
	v_mov_b32_e32 v77, 0
	s_mov_b32 s15, s27
	s_mov_b32 s14, 0
	v_add_nc_u32_e32 v83, v3, v6
	s_branch .LBB160_42
.LBB160_40:                             ;   in Loop: Header=BB160_42 Depth=1
	s_or_b32 exec_lo, exec_lo, s2
	s_waitcnt lgkmcnt(1)
	v_bfe_u32 v60, v41, 16, 1
	v_or_b32_e32 v61, 0x400000, v41
	v_bfe_u32 v62, v42, 16, 1
	v_cmp_u_f32_e32 vcc_lo, v41, v41
	v_bfe_u32 v84, v43, 16, 1
	v_add3_u32 v60, v60, v41, 0x7fff
	v_or_b32_e32 v85, 0x400000, v42
	v_add3_u32 v62, v62, v42, 0x7fff
	v_or_b32_e32 v86, 0x400000, v43
	v_add3_u32 v84, v84, v43, 0x7fff
	v_cndmask_b32_e32 v41, v60, v61, vcc_lo
	v_cmp_u_f32_e32 vcc_lo, v42, v42
	v_bfe_u32 v60, v44, 16, 1
	s_waitcnt lgkmcnt(0)
	v_bfe_u32 v61, v33, 16, 1
	v_and_b32_e32 v41, 0xffff0000, v41
	v_cndmask_b32_e32 v42, v62, v85, vcc_lo
	v_cmp_u_f32_e32 vcc_lo, v43, v43
	v_add3_u32 v60, v60, v44, 0x7fff
	v_or_b32_e32 v62, 0x400000, v44
	v_add3_u32 v61, v61, v33, 0x7fff
	v_bfe_u32 v85, v34, 16, 1
	v_cndmask_b32_e32 v43, v84, v86, vcc_lo
	v_cmp_u_f32_e32 vcc_lo, v44, v44
	v_or_b32_e32 v84, 0x400000, v33
	v_and_b32_e32 v43, 0xffff0000, v43
	v_cndmask_b32_e32 v44, v60, v62, vcc_lo
	v_cmp_u_f32_e32 vcc_lo, v33, v33
	v_or_b32_e32 v62, 0x400000, v34
	v_and_b32_e32 v33, 0xffff0000, v42
	s_waitcnt vmcnt(1)
	v_and_b32_e32 v42, 0xffff0000, v53
	v_lshlrev_b32_e32 v53, 16, v53
	v_cndmask_b32_e32 v60, v61, v84, vcc_lo
	v_add3_u32 v61, v85, v34, 0x7fff
	v_bfe_u32 v84, v35, 16, 1
	v_cmp_u_f32_e32 vcc_lo, v34, v34
	v_mul_f32_e32 v42, v33, v42
	v_mul_f32_e32 v53, v41, v53
	v_add3_u32 v34, v84, v35, 0x7fff
	v_cndmask_b32_e32 v61, v61, v62, vcc_lo
	v_or_b32_e32 v62, 0x400000, v35
	v_bfe_u32 v84, v36, 16, 1
	v_cmp_u_f32_e32 vcc_lo, v35, v35
	v_bfe_u32 v85, v42, 16, 1
	v_add3_u32 v35, v84, v36, 0x7fff
	v_cndmask_b32_e32 v62, v34, v62, vcc_lo
	v_or_b32_e32 v84, 0x400000, v36
	v_and_b32_e32 v34, 0xffff0000, v44
	v_and_b32_e32 v44, 0xffff0000, v54
	v_cmp_u_f32_e32 vcc_lo, v36, v36
	v_mul_f32_e32 v86, v34, v44
	v_cndmask_b32_e32 v36, v35, v84, vcc_lo
	v_add3_u32 v35, v85, v42, 0x7fff
	v_or_b32_e32 v84, 0x400000, v42
	v_bfe_u32 v85, v53, 16, 1
	v_lshlrev_b32_e32 v44, 16, v54
	v_cmp_u_f32_e32 vcc_lo, v42, v42
	v_and_b32_e32 v36, 0xffff0000, v36
	v_add3_u32 v42, v85, v53, 0x7fff
	v_bfe_u32 v85, v86, 16, 1
	v_cndmask_b32_e32 v54, v35, v84, vcc_lo
	v_or_b32_e32 v84, 0x400000, v53
	v_mul_f32_e32 v87, v43, v44
	v_cmp_u_f32_e32 vcc_lo, v53, v53
	v_and_b32_e32 v35, 0xffff0000, v61
	v_and_b32_e32 v44, 0xffff0000, v55
	v_or_b32_e32 v61, 0x400000, v86
	v_lshlrev_b32_e32 v55, 16, v55
	v_cndmask_b32_e32 v53, v42, v84, vcc_lo
	v_add3_u32 v42, v85, v86, 0x7fff
	v_bfe_u32 v84, v87, 16, 1
	v_cmp_u_f32_e32 vcc_lo, v86, v86
	v_mul_f32_e32 v85, v35, v44
	v_and_b32_e32 v44, 0xffff0000, v60
	v_and_b32_e32 v86, 0xffff0000, v56
	v_lshlrev_b32_e32 v56, 16, v56
	v_cndmask_b32_e32 v60, v42, v61, vcc_lo
	v_add3_u32 v42, v84, v87, 0x7fff
	v_or_b32_e32 v61, 0x400000, v87
	v_cmp_u_f32_e32 vcc_lo, v87, v87
	v_bfe_u32 v84, v85, 16, 1
	v_mul_f32_e32 v55, v44, v55
	v_mul_f32_e32 v86, v36, v86
	v_and_b32_e32 v53, 0xffff0000, v53
	v_cndmask_b32_e32 v61, v42, v61, vcc_lo
	v_and_b32_e32 v42, 0xffff0000, v62
	v_add3_u32 v84, v84, v85, 0x7fff
	v_bfe_u32 v87, v55, 16, 1
	v_or_b32_e32 v62, 0x400000, v85
	v_cmp_u_f32_e32 vcc_lo, v85, v85
	v_mul_f32_e32 v56, v42, v56
	v_or_b32_e32 v88, 0x400000, v55
	v_add3_u32 v87, v87, v55, 0x7fff
	v_bfe_u32 v89, v86, 16, 1
	v_cndmask_b32_e32 v62, v84, v62, vcc_lo
	v_cmp_u_f32_e32 vcc_lo, v55, v55
	v_bfe_u32 v85, v56, 16, 1
	v_and_b32_e32 v54, 0xffff0000, v54
	v_and_b32_e32 v61, 0xffff0000, v61
	;; [unrolled: 1-line block ×3, first 2 shown]
	v_cndmask_b32_e32 v55, v87, v88, vcc_lo
	v_add3_u32 v85, v85, v56, 0x7fff
	v_or_b32_e32 v88, 0x400000, v56
	v_cmp_u_f32_e32 vcc_lo, v56, v56
	v_add3_u32 v84, v89, v86, 0x7fff
	v_or_b32_e32 v87, 0x400000, v86
	v_add_f32_e32 v53, v53, v54
	v_add_f32_e32 v54, v61, v60
	v_and_b32_e32 v55, 0xffff0000, v55
	v_and_b32_e32 v60, 0xffff0000, v62
	v_cndmask_b32_e32 v56, v85, v88, vcc_lo
	v_cmp_u_f32_e32 vcc_lo, v86, v86
	v_add_f32_e32 v53, v54, v53
	v_add_f32_e32 v54, v55, v60
	v_and_b32_e32 v55, 0xffff0000, v49
	v_cndmask_b32_e32 v61, v84, v87, vcc_lo
	v_and_b32_e32 v56, 0xffff0000, v56
	v_lshlrev_b32_e32 v49, 16, v49
	v_add_f32_e32 v53, v54, v53
	v_mul_f32_e32 v55, v33, v55
	v_and_b32_e32 v60, 0xffff0000, v61
	v_mul_f32_e32 v49, v41, v49
	v_cmp_u_f32_e32 vcc_lo, v55, v55
	v_add_f32_e32 v54, v56, v60
	v_and_b32_e32 v56, 0xffff0000, v50
	v_bfe_u32 v60, v55, 16, 1
	v_bfe_u32 v61, v49, 16, 1
	v_or_b32_e32 v62, 0x400000, v49
	v_add_f32_e32 v53, v54, v53
	v_mul_f32_e32 v54, v34, v56
	v_add3_u32 v56, v60, v55, 0x7fff
	v_or_b32_e32 v60, 0x400000, v55
	v_add3_u32 v61, v61, v49, 0x7fff
	v_lshlrev_b32_e32 v50, 16, v50
	v_bfe_u32 v84, v54, 16, 1
	v_add_f32_e32 v67, v67, v53
	v_cndmask_b32_e32 v55, v56, v60, vcc_lo
	v_cmp_u_f32_e32 vcc_lo, v49, v49
	v_mul_f32_e32 v50, v43, v50
	v_add3_u32 v56, v84, v54, 0x7fff
	v_or_b32_e32 v60, 0x400000, v54
	v_and_b32_e32 v55, 0xffff0000, v55
	v_cndmask_b32_e32 v49, v61, v62, vcc_lo
	v_and_b32_e32 v61, 0xffff0000, v51
	v_cmp_u_f32_e32 vcc_lo, v54, v54
	v_lshlrev_b32_e32 v51, 16, v51
	v_bfe_u32 v62, v50, 16, 1
	v_and_b32_e32 v49, 0xffff0000, v49
	v_cndmask_b32_e32 v54, v56, v60, vcc_lo
	v_mul_f32_e32 v56, v35, v61
	v_mul_f32_e32 v51, v44, v51
	v_add3_u32 v60, v62, v50, 0x7fff
	v_or_b32_e32 v61, 0x400000, v50
	v_and_b32_e32 v62, 0xffff0000, v52
	v_bfe_u32 v84, v56, 16, 1
	v_cmp_u_f32_e32 vcc_lo, v50, v50
	v_bfe_u32 v85, v51, 16, 1
	v_lshlrev_b32_e32 v52, 16, v52
	v_and_b32_e32 v54, 0xffff0000, v54
	v_add_f32_e32 v49, v49, v55
	v_cndmask_b32_e32 v50, v60, v61, vcc_lo
	v_mul_f32_e32 v60, v36, v62
	v_add3_u32 v61, v84, v56, 0x7fff
	v_or_b32_e32 v62, 0x400000, v56
	v_cmp_u_f32_e32 vcc_lo, v56, v56
	v_add3_u32 v84, v85, v51, 0x7fff
	v_or_b32_e32 v85, 0x400000, v51
	v_bfe_u32 v86, v60, 16, 1
	v_and_b32_e32 v50, 0xffff0000, v50
	v_cndmask_b32_e32 v56, v61, v62, vcc_lo
	v_cmp_u_f32_e32 vcc_lo, v51, v51
	v_or_b32_e32 v62, 0x400000, v60
	v_add3_u32 v61, v86, v60, 0x7fff
	v_mul_f32_e32 v52, v42, v52
	v_add_f32_e32 v50, v50, v54
	v_cndmask_b32_e32 v51, v84, v85, vcc_lo
	v_cmp_u_f32_e32 vcc_lo, v60, v60
	v_and_b32_e32 v54, 0xffff0000, v45
	v_and_b32_e32 v55, 0xffff0000, v56
	v_add_f32_e32 v49, v50, v49
	v_and_b32_e32 v51, 0xffff0000, v51
	v_cndmask_b32_e32 v60, v61, v62, vcc_lo
	v_bfe_u32 v61, v52, 16, 1
	v_mul_f32_e32 v50, v33, v54
	v_lshlrev_b32_e32 v45, 16, v45
	v_add_f32_e32 v51, v51, v55
	v_cmp_u_f32_e32 vcc_lo, v52, v52
	v_add3_u32 v56, v61, v52, 0x7fff
	v_or_b32_e32 v61, 0x400000, v52
	v_bfe_u32 v54, v50, 16, 1
	v_add_f32_e32 v49, v51, v49
	v_mul_f32_e32 v45, v41, v45
	v_and_b32_e32 v51, 0xffff0000, v46
	v_cndmask_b32_e32 v52, v56, v61, vcc_lo
	v_add3_u32 v54, v54, v50, 0x7fff
	v_or_b32_e32 v55, 0x400000, v50
	v_bfe_u32 v56, v45, 16, 1
	v_mul_f32_e32 v51, v34, v51
	v_lshlrev_b32_e32 v46, 16, v46
	v_cmp_u_f32_e32 vcc_lo, v50, v50
	v_and_b32_e32 v61, 0xffff0000, v47
	v_lshlrev_b32_e32 v47, 16, v47
	v_and_b32_e32 v62, 0xffff0000, v48
	v_mul_f32_e32 v46, v43, v46
	v_cndmask_b32_e32 v50, v54, v55, vcc_lo
	v_add3_u32 v54, v56, v45, 0x7fff
	v_or_b32_e32 v55, 0x400000, v45
	v_bfe_u32 v56, v51, 16, 1
	v_cmp_u_f32_e32 vcc_lo, v45, v45
	v_mul_f32_e32 v61, v35, v61
	v_mul_f32_e32 v47, v44, v47
	v_lshlrev_b32_e32 v48, 16, v48
	v_and_b32_e32 v50, 0xffff0000, v50
	v_cndmask_b32_e32 v45, v54, v55, vcc_lo
	v_add3_u32 v54, v56, v51, 0x7fff
	v_or_b32_e32 v55, 0x400000, v51
	v_bfe_u32 v56, v46, 16, 1
	v_cmp_u_f32_e32 vcc_lo, v51, v51
	v_mul_f32_e32 v48, v42, v48
	v_or_b32_e32 v84, 0x400000, v47
	v_and_b32_e32 v45, 0xffff0000, v45
	v_and_b32_e32 v52, 0xffff0000, v52
	v_cndmask_b32_e32 v51, v54, v55, vcc_lo
	v_add3_u32 v54, v56, v46, 0x7fff
	v_or_b32_e32 v55, 0x400000, v46
	v_bfe_u32 v56, v61, 16, 1
	v_cmp_u_f32_e32 vcc_lo, v46, v46
	v_bfe_u32 v86, v48, 16, 1
	v_and_b32_e32 v51, 0xffff0000, v51
	v_add_f32_e32 v45, v45, v50
	v_cndmask_b32_e32 v46, v54, v55, vcc_lo
	v_bfe_u32 v54, v47, 16, 1
	v_add3_u32 v55, v56, v61, 0x7fff
	v_mul_f32_e32 v56, v36, v62
	v_or_b32_e32 v62, 0x400000, v61
	v_cmp_u_f32_e32 vcc_lo, v61, v61
	v_add3_u32 v54, v54, v47, 0x7fff
	v_add3_u32 v61, v86, v48, 0x7fff
	v_bfe_u32 v85, v56, 16, 1
	v_and_b32_e32 v46, 0xffff0000, v46
	v_cndmask_b32_e32 v55, v55, v62, vcc_lo
	v_cmp_u_f32_e32 vcc_lo, v47, v47
	v_or_b32_e32 v62, 0x400000, v48
	v_add_f32_e32 v46, v46, v51
	v_and_b32_e32 v50, 0xffff0000, v55
	v_cndmask_b32_e32 v47, v54, v84, vcc_lo
	v_cmp_u_f32_e32 vcc_lo, v48, v48
	v_add3_u32 v54, v85, v56, 0x7fff
	v_or_b32_e32 v84, 0x400000, v56
	v_add_f32_e32 v45, v46, v45
	v_and_b32_e32 v47, 0xffff0000, v47
	v_cndmask_b32_e32 v48, v61, v62, vcc_lo
	v_cmp_u_f32_e32 vcc_lo, v56, v56
	v_add_f32_e32 v46, v47, v50
	v_and_b32_e32 v47, 0xffff0000, v48
	v_cndmask_b32_e32 v51, v54, v84, vcc_lo
	v_and_b32_e32 v54, 0xffff0000, v60
	v_and_b32_e32 v50, 0xffff0000, v37
	v_lshlrev_b32_e32 v37, 16, v37
	v_add_f32_e32 v45, v46, v45
	v_and_b32_e32 v48, 0xffff0000, v51
	v_add_f32_e32 v51, v52, v54
	v_mul_f32_e32 v37, v41, v37
	v_add_f32_e32 v46, v47, v48
	v_mul_f32_e32 v47, v33, v50
	v_add_f32_e32 v48, v51, v49
	v_and_b32_e32 v49, 0xffff0000, v38
	v_lshlrev_b32_e32 v38, 16, v38
	v_add_f32_e32 v45, v46, v45
	v_bfe_u32 v46, v47, 16, 1
	v_add_f32_e32 v68, v68, v48
	v_bfe_u32 v48, v37, 16, 1
	v_mul_f32_e32 v49, v34, v49
	v_add_f32_e32 v69, v69, v45
	v_add3_u32 v45, v46, v47, 0x7fff
	v_or_b32_e32 v46, 0x400000, v47
	v_cmp_u_f32_e32 vcc_lo, v47, v47
	v_add3_u32 v48, v48, v37, 0x7fff
	v_or_b32_e32 v50, 0x400000, v37
	v_mul_f32_e32 v38, v43, v38
	v_and_b32_e32 v47, 0xffff0000, v39
	v_cndmask_b32_e32 v45, v45, v46, vcc_lo
	v_bfe_u32 v46, v49, 16, 1
	v_cmp_u_f32_e32 vcc_lo, v37, v37
	v_lshlrev_b32_e32 v39, 16, v39
	v_mul_f32_e32 v47, v35, v47
	v_and_b32_e32 v51, 0xffff0000, v40
	v_add3_u32 v46, v46, v49, 0x7fff
	v_cndmask_b32_e32 v37, v48, v50, vcc_lo
	v_or_b32_e32 v48, 0x400000, v49
	v_bfe_u32 v50, v38, 16, 1
	v_cmp_u_f32_e32 vcc_lo, v49, v49
	v_mul_f32_e32 v39, v44, v39
	v_or_b32_e32 v49, 0x400000, v38
	v_lshlrev_b32_e32 v40, 16, v40
	v_and_b32_e32 v37, 0xffff0000, v37
	v_cndmask_b32_e32 v46, v46, v48, vcc_lo
	v_add3_u32 v48, v50, v38, 0x7fff
	v_bfe_u32 v50, v47, 16, 1
	v_cmp_u_f32_e32 vcc_lo, v38, v38
	v_bfe_u32 v52, v39, 16, 1
	v_mul_f32_e32 v40, v42, v40
	v_and_b32_e32 v45, 0xffff0000, v45
	v_and_b32_e32 v46, 0xffff0000, v46
	v_cndmask_b32_e32 v38, v48, v49, vcc_lo
	v_add3_u32 v48, v50, v47, 0x7fff
	v_mul_f32_e32 v49, v36, v51
	v_or_b32_e32 v50, 0x400000, v47
	v_cmp_u_f32_e32 vcc_lo, v47, v47
	v_add3_u32 v51, v52, v39, 0x7fff
	v_or_b32_e32 v52, 0x400000, v39
	v_bfe_u32 v53, v49, 16, 1
	v_and_b32_e32 v38, 0xffff0000, v38
	v_cndmask_b32_e32 v47, v48, v50, vcc_lo
	v_cmp_u_f32_e32 vcc_lo, v39, v39
	v_or_b32_e32 v50, 0x400000, v49
	v_add3_u32 v48, v53, v49, 0x7fff
	v_add_f32_e32 v37, v37, v45
	v_add_f32_e32 v38, v38, v46
	v_cndmask_b32_e32 v39, v51, v52, vcc_lo
	v_bfe_u32 v51, v40, 16, 1
	v_cmp_u_f32_e32 vcc_lo, v49, v49
	v_and_b32_e32 v45, 0xffff0000, v29
	v_and_b32_e32 v46, 0xffff0000, v47
	;; [unrolled: 1-line block ×3, first 2 shown]
	v_add3_u32 v49, v51, v40, 0x7fff
	v_cndmask_b32_e32 v48, v48, v50, vcc_lo
	v_or_b32_e32 v50, 0x400000, v40
	v_cmp_u_f32_e32 vcc_lo, v40, v40
	v_add_f32_e32 v37, v38, v37
	v_mul_f32_e32 v38, v33, v45
	v_add_f32_e32 v39, v39, v46
	v_lshlrev_b32_e32 v29, 16, v29
	v_cndmask_b32_e32 v40, v49, v50, vcc_lo
	v_and_b32_e32 v45, 0xffff0000, v48
	v_bfe_u32 v46, v38, 16, 1
	v_add_f32_e32 v37, v39, v37
	v_mul_f32_e32 v29, v41, v29
	v_and_b32_e32 v40, 0xffff0000, v40
	v_and_b32_e32 v39, 0xffff0000, v30
	v_lshlrev_b32_e32 v30, 16, v30
	v_cmp_u_f32_e32 vcc_lo, v38, v38
	v_bfe_u32 v47, v29, 16, 1
	v_add_f32_e32 v40, v40, v45
	v_add3_u32 v45, v46, v38, 0x7fff
	v_or_b32_e32 v46, 0x400000, v38
	v_mul_f32_e32 v39, v34, v39
	v_mul_f32_e32 v30, v43, v30
	v_and_b32_e32 v48, 0xffff0000, v31
	v_lshlrev_b32_e32 v31, 16, v31
	v_cndmask_b32_e32 v38, v45, v46, vcc_lo
	v_add3_u32 v45, v47, v29, 0x7fff
	v_or_b32_e32 v46, 0x400000, v29
	v_bfe_u32 v47, v39, 16, 1
	v_cmp_u_f32_e32 vcc_lo, v29, v29
	v_mul_f32_e32 v48, v35, v48
	v_mul_f32_e32 v31, v44, v31
	v_and_b32_e32 v49, 0xffff0000, v32
	v_lshlrev_b32_e32 v32, 16, v32
	v_cndmask_b32_e32 v29, v45, v46, vcc_lo
	v_add3_u32 v45, v47, v39, 0x7fff
	v_or_b32_e32 v46, 0x400000, v39
	v_bfe_u32 v47, v30, 16, 1
	v_cmp_u_f32_e32 vcc_lo, v39, v39
	v_mul_f32_e32 v32, v42, v32
	v_or_b32_e32 v50, 0x400000, v31
	v_and_b32_e32 v29, 0xffff0000, v29
	v_and_b32_e32 v38, 0xffff0000, v38
	v_cndmask_b32_e32 v39, v45, v46, vcc_lo
	v_add3_u32 v45, v47, v30, 0x7fff
	v_or_b32_e32 v46, 0x400000, v30
	v_bfe_u32 v47, v48, 16, 1
	v_cmp_u_f32_e32 vcc_lo, v30, v30
	v_and_b32_e32 v39, 0xffff0000, v39
	v_add_f32_e32 v29, v29, v38
	v_add_f32_e32 v37, v40, v37
	v_cndmask_b32_e32 v30, v45, v46, vcc_lo
	v_bfe_u32 v45, v31, 16, 1
	v_add3_u32 v46, v47, v48, 0x7fff
	v_mul_f32_e32 v47, v36, v49
	v_or_b32_e32 v49, 0x400000, v48
	v_cmp_u_f32_e32 vcc_lo, v48, v48
	v_add3_u32 v45, v45, v31, 0x7fff
	v_bfe_u32 v48, v32, 16, 1
	v_bfe_u32 v51, v47, 16, 1
	v_and_b32_e32 v30, 0xffff0000, v30
	v_cndmask_b32_e32 v46, v46, v49, vcc_lo
	v_cmp_u_f32_e32 vcc_lo, v31, v31
	v_add3_u32 v48, v48, v32, 0x7fff
	v_or_b32_e32 v49, 0x400000, v47
	v_add_f32_e32 v30, v30, v39
	v_and_b32_e32 v38, 0xffff0000, v46
	v_cndmask_b32_e32 v31, v45, v50, vcc_lo
	v_or_b32_e32 v50, 0x400000, v32
	v_cmp_u_f32_e32 vcc_lo, v32, v32
	v_add3_u32 v45, v51, v47, 0x7fff
	v_add_f32_e32 v29, v30, v29
	v_and_b32_e32 v31, 0xffff0000, v31
	v_add_f32_e32 v70, v70, v37
	v_cndmask_b32_e32 v32, v48, v50, vcc_lo
	v_cmp_u_f32_e32 vcc_lo, v47, v47
	v_add_f32_e32 v30, v31, v38
	v_and_b32_e32 v31, 0xffff0000, v25
	v_and_b32_e32 v32, 0xffff0000, v32
	v_cndmask_b32_e32 v39, v45, v49, vcc_lo
	v_lshlrev_b32_e32 v25, 16, v25
	v_add_f32_e32 v29, v30, v29
	v_mul_f32_e32 v31, v33, v31
	v_and_b32_e32 v38, 0xffff0000, v39
	v_mul_f32_e32 v25, v41, v25
	v_cmp_u_f32_e32 vcc_lo, v31, v31
	v_add_f32_e32 v30, v32, v38
	v_and_b32_e32 v32, 0xffff0000, v26
	v_bfe_u32 v38, v31, 16, 1
	v_bfe_u32 v37, v25, 16, 1
	v_or_b32_e32 v39, 0x400000, v25
	v_add_f32_e32 v29, v30, v29
	v_mul_f32_e32 v30, v34, v32
	v_add3_u32 v32, v38, v31, 0x7fff
	v_or_b32_e32 v38, 0x400000, v31
	v_add3_u32 v37, v37, v25, 0x7fff
	v_lshlrev_b32_e32 v26, 16, v26
	v_bfe_u32 v40, v30, 16, 1
	v_add_f32_e32 v71, v71, v29
	v_cndmask_b32_e32 v31, v32, v38, vcc_lo
	v_cmp_u_f32_e32 vcc_lo, v25, v25
	v_mul_f32_e32 v26, v43, v26
	v_add3_u32 v32, v40, v30, 0x7fff
	v_and_b32_e32 v38, 0xffff0000, v27
	v_lshlrev_b32_e32 v27, 16, v27
	v_cndmask_b32_e32 v25, v37, v39, vcc_lo
	v_or_b32_e32 v37, 0x400000, v30
	v_cmp_u_f32_e32 vcc_lo, v30, v30
	v_bfe_u32 v39, v26, 16, 1
	v_mul_f32_e32 v27, v44, v27
	v_and_b32_e32 v25, 0xffff0000, v25
	v_and_b32_e32 v31, 0xffff0000, v31
	v_cndmask_b32_e32 v30, v32, v37, vcc_lo
	v_mul_f32_e32 v32, v35, v38
	v_add3_u32 v37, v39, v26, 0x7fff
	v_or_b32_e32 v38, 0x400000, v26
	v_and_b32_e32 v39, 0xffff0000, v28
	v_cmp_u_f32_e32 vcc_lo, v26, v26
	v_bfe_u32 v40, v32, 16, 1
	v_bfe_u32 v45, v27, 16, 1
	v_lshlrev_b32_e32 v28, 16, v28
	v_and_b32_e32 v30, 0xffff0000, v30
	v_cndmask_b32_e32 v26, v37, v38, vcc_lo
	v_mul_f32_e32 v37, v36, v39
	v_add3_u32 v38, v40, v32, 0x7fff
	v_or_b32_e32 v39, 0x400000, v32
	v_cmp_u_f32_e32 vcc_lo, v32, v32
	v_add3_u32 v40, v45, v27, 0x7fff
	v_or_b32_e32 v45, 0x400000, v27
	v_bfe_u32 v46, v37, 16, 1
	v_and_b32_e32 v26, 0xffff0000, v26
	v_cndmask_b32_e32 v32, v38, v39, vcc_lo
	v_cmp_u_f32_e32 vcc_lo, v27, v27
	v_or_b32_e32 v39, 0x400000, v37
	v_add3_u32 v38, v46, v37, 0x7fff
	v_mul_f32_e32 v28, v42, v28
	v_add_f32_e32 v25, v25, v31
	v_cndmask_b32_e32 v27, v40, v45, vcc_lo
	v_cmp_u_f32_e32 vcc_lo, v37, v37
	v_add_f32_e32 v26, v26, v30
	v_and_b32_e32 v30, 0xffff0000, v21
	v_and_b32_e32 v31, 0xffff0000, v32
	;; [unrolled: 1-line block ×3, first 2 shown]
	v_cndmask_b32_e32 v37, v38, v39, vcc_lo
	v_bfe_u32 v38, v28, 16, 1
	v_add_f32_e32 v25, v26, v25
	v_mul_f32_e32 v26, v33, v30
	v_add_f32_e32 v27, v27, v31
	v_lshlrev_b32_e32 v21, 16, v21
	v_add3_u32 v32, v38, v28, 0x7fff
	v_or_b32_e32 v38, 0x400000, v28
	v_cmp_u_f32_e32 vcc_lo, v28, v28
	v_bfe_u32 v30, v26, 16, 1
	v_add_f32_e32 v25, v27, v25
	v_mul_f32_e32 v21, v41, v21
	v_and_b32_e32 v27, 0xffff0000, v22
	v_cndmask_b32_e32 v28, v32, v38, vcc_lo
	v_add3_u32 v30, v30, v26, 0x7fff
	v_or_b32_e32 v31, 0x400000, v26
	v_bfe_u32 v32, v21, 16, 1
	v_mul_f32_e32 v27, v34, v27
	v_lshlrev_b32_e32 v22, 16, v22
	v_cmp_u_f32_e32 vcc_lo, v26, v26
	v_and_b32_e32 v38, 0xffff0000, v23
	v_lshlrev_b32_e32 v23, 16, v23
	v_and_b32_e32 v39, 0xffff0000, v24
	v_mul_f32_e32 v22, v43, v22
	v_cndmask_b32_e32 v26, v30, v31, vcc_lo
	v_add3_u32 v30, v32, v21, 0x7fff
	v_or_b32_e32 v31, 0x400000, v21
	v_bfe_u32 v32, v27, 16, 1
	v_cmp_u_f32_e32 vcc_lo, v21, v21
	v_mul_f32_e32 v38, v35, v38
	v_mul_f32_e32 v23, v44, v23
	v_lshlrev_b32_e32 v24, 16, v24
	v_and_b32_e32 v26, 0xffff0000, v26
	v_cndmask_b32_e32 v21, v30, v31, vcc_lo
	v_add3_u32 v30, v32, v27, 0x7fff
	v_or_b32_e32 v31, 0x400000, v27
	v_bfe_u32 v32, v22, 16, 1
	v_cmp_u_f32_e32 vcc_lo, v27, v27
	v_mul_f32_e32 v24, v42, v24
	v_or_b32_e32 v40, 0x400000, v23
	v_and_b32_e32 v21, 0xffff0000, v21
	v_and_b32_e32 v28, 0xffff0000, v28
	v_cndmask_b32_e32 v27, v30, v31, vcc_lo
	v_add3_u32 v30, v32, v22, 0x7fff
	v_or_b32_e32 v31, 0x400000, v22
	v_bfe_u32 v32, v38, 16, 1
	v_cmp_u_f32_e32 vcc_lo, v22, v22
	v_bfe_u32 v46, v24, 16, 1
	v_and_b32_e32 v27, 0xffff0000, v27
	v_add_f32_e32 v21, v21, v26
	v_cndmask_b32_e32 v22, v30, v31, vcc_lo
	v_bfe_u32 v30, v23, 16, 1
	v_add3_u32 v31, v32, v38, 0x7fff
	v_mul_f32_e32 v32, v36, v39
	v_or_b32_e32 v39, 0x400000, v38
	v_cmp_u_f32_e32 vcc_lo, v38, v38
	v_add3_u32 v30, v30, v23, 0x7fff
	v_add3_u32 v38, v46, v24, 0x7fff
	v_bfe_u32 v45, v32, 16, 1
	v_and_b32_e32 v22, 0xffff0000, v22
	v_cndmask_b32_e32 v31, v31, v39, vcc_lo
	v_cmp_u_f32_e32 vcc_lo, v23, v23
	v_or_b32_e32 v39, 0x400000, v24
	v_add_f32_e32 v22, v22, v27
	v_and_b32_e32 v26, 0xffff0000, v31
	v_cndmask_b32_e32 v23, v30, v40, vcc_lo
	v_cmp_u_f32_e32 vcc_lo, v24, v24
	v_add3_u32 v30, v45, v32, 0x7fff
	v_or_b32_e32 v40, 0x400000, v32
	v_add_f32_e32 v21, v22, v21
	v_and_b32_e32 v23, 0xffff0000, v23
	v_cndmask_b32_e32 v24, v38, v39, vcc_lo
	v_cmp_u_f32_e32 vcc_lo, v32, v32
	v_add_f32_e32 v22, v23, v26
	v_and_b32_e32 v23, 0xffff0000, v24
	v_cndmask_b32_e32 v27, v30, v40, vcc_lo
	v_and_b32_e32 v30, 0xffff0000, v37
	v_and_b32_e32 v26, 0xffff0000, v13
	v_lshlrev_b32_e32 v13, 16, v13
	v_add_f32_e32 v21, v22, v21
	v_and_b32_e32 v24, 0xffff0000, v27
	v_add_f32_e32 v27, v28, v30
	v_mul_f32_e32 v13, v41, v13
	v_add_f32_e32 v22, v23, v24
	v_mul_f32_e32 v23, v33, v26
	v_add_f32_e32 v24, v27, v25
	v_and_b32_e32 v25, 0xffff0000, v14
	v_lshlrev_b32_e32 v14, 16, v14
	v_add_f32_e32 v21, v22, v21
	v_bfe_u32 v22, v23, 16, 1
	v_add_f32_e32 v72, v72, v24
	v_bfe_u32 v24, v13, 16, 1
	v_mul_f32_e32 v25, v34, v25
	v_add_f32_e32 v73, v73, v21
	v_add3_u32 v21, v22, v23, 0x7fff
	v_or_b32_e32 v22, 0x400000, v23
	v_cmp_u_f32_e32 vcc_lo, v23, v23
	v_add3_u32 v24, v24, v13, 0x7fff
	v_or_b32_e32 v26, 0x400000, v13
	v_mul_f32_e32 v14, v43, v14
	v_and_b32_e32 v23, 0xffff0000, v15
	v_cndmask_b32_e32 v21, v21, v22, vcc_lo
	v_bfe_u32 v22, v25, 16, 1
	v_cmp_u_f32_e32 vcc_lo, v13, v13
	v_lshlrev_b32_e32 v15, 16, v15
	v_mul_f32_e32 v23, v35, v23
	v_and_b32_e32 v27, 0xffff0000, v16
	v_add3_u32 v22, v22, v25, 0x7fff
	v_cndmask_b32_e32 v13, v24, v26, vcc_lo
	v_or_b32_e32 v24, 0x400000, v25
	v_bfe_u32 v26, v14, 16, 1
	v_cmp_u_f32_e32 vcc_lo, v25, v25
	v_mul_f32_e32 v15, v44, v15
	v_or_b32_e32 v25, 0x400000, v14
	v_lshlrev_b32_e32 v16, 16, v16
	v_and_b32_e32 v13, 0xffff0000, v13
	v_cndmask_b32_e32 v22, v22, v24, vcc_lo
	v_add3_u32 v24, v26, v14, 0x7fff
	v_bfe_u32 v26, v23, 16, 1
	v_cmp_u_f32_e32 vcc_lo, v14, v14
	v_bfe_u32 v28, v15, 16, 1
	v_mul_f32_e32 v16, v42, v16
	v_and_b32_e32 v21, 0xffff0000, v21
	v_and_b32_e32 v22, 0xffff0000, v22
	v_cndmask_b32_e32 v14, v24, v25, vcc_lo
	v_add3_u32 v24, v26, v23, 0x7fff
	v_mul_f32_e32 v25, v36, v27
	v_or_b32_e32 v26, 0x400000, v23
	v_cmp_u_f32_e32 vcc_lo, v23, v23
	v_add3_u32 v27, v28, v15, 0x7fff
	v_or_b32_e32 v28, 0x400000, v15
	v_bfe_u32 v29, v25, 16, 1
	v_and_b32_e32 v14, 0xffff0000, v14
	v_cndmask_b32_e32 v23, v24, v26, vcc_lo
	v_cmp_u_f32_e32 vcc_lo, v15, v15
	v_or_b32_e32 v26, 0x400000, v25
	v_add3_u32 v24, v29, v25, 0x7fff
	v_add_f32_e32 v13, v13, v21
	v_add_f32_e32 v14, v14, v22
	v_cndmask_b32_e32 v15, v27, v28, vcc_lo
	v_bfe_u32 v27, v16, 16, 1
	v_cmp_u_f32_e32 vcc_lo, v25, v25
	v_and_b32_e32 v22, 0xffff0000, v9
	v_and_b32_e32 v21, 0xffff0000, v23
	v_and_b32_e32 v15, 0xffff0000, v15
	v_add3_u32 v25, v27, v16, 0x7fff
	v_cndmask_b32_e32 v24, v24, v26, vcc_lo
	v_or_b32_e32 v26, 0x400000, v16
	v_cmp_u_f32_e32 vcc_lo, v16, v16
	v_lshlrev_b32_e32 v9, 16, v9
	v_add_f32_e32 v13, v14, v13
	v_mul_f32_e32 v14, v33, v22
	v_add_f32_e32 v15, v15, v21
	v_cndmask_b32_e32 v16, v25, v26, vcc_lo
	v_mul_f32_e32 v21, v41, v9
	v_and_b32_e32 v22, 0xffff0000, v24
	v_bfe_u32 v23, v14, 16, 1
	v_and_b32_e32 v24, 0xffff0000, v10
	v_and_b32_e32 v16, 0xffff0000, v16
	v_add_f32_e32 v9, v15, v13
	v_bfe_u32 v15, v21, 16, 1
	v_lshlrev_b32_e32 v10, 16, v10
	v_cmp_u_f32_e32 vcc_lo, v14, v14
	v_add_f32_e32 v13, v16, v22
	v_add3_u32 v16, v23, v14, 0x7fff
	v_or_b32_e32 v22, 0x400000, v14
	v_mul_f32_e32 v23, v34, v24
	v_add3_u32 v15, v15, v21, 0x7fff
	v_or_b32_e32 v24, 0x400000, v21
	v_mul_f32_e32 v10, v43, v10
	v_cndmask_b32_e32 v14, v16, v22, vcc_lo
	v_bfe_u32 v16, v23, 16, 1
	v_cmp_u_f32_e32 vcc_lo, v21, v21
	v_and_b32_e32 v21, 0xffff0000, v11
	v_or_b32_e32 v22, 0x400000, v23
	v_lshlrev_b32_e32 v11, 16, v11
	v_add3_u32 v16, v16, v23, 0x7fff
	v_cndmask_b32_e32 v15, v15, v24, vcc_lo
	v_bfe_u32 v24, v10, 16, 1
	v_mul_f32_e32 v21, v35, v21
	v_cmp_u_f32_e32 vcc_lo, v23, v23
	v_mul_f32_e32 v11, v44, v11
	v_or_b32_e32 v23, 0x400000, v10
	v_and_b32_e32 v25, 0xffff0000, v12
	v_lshlrev_b32_e32 v12, 16, v12
	v_cndmask_b32_e32 v16, v16, v22, vcc_lo
	v_add3_u32 v22, v24, v10, 0x7fff
	v_bfe_u32 v24, v21, 16, 1
	v_cmp_u_f32_e32 vcc_lo, v10, v10
	v_bfe_u32 v26, v11, 16, 1
	v_mul_f32_e32 v12, v42, v12
	v_and_b32_e32 v15, 0xffff0000, v15
	v_and_b32_e32 v14, 0xffff0000, v14
	v_cndmask_b32_e32 v10, v22, v23, vcc_lo
	v_add3_u32 v22, v24, v21, 0x7fff
	v_mul_f32_e32 v23, v36, v25
	v_or_b32_e32 v24, 0x400000, v21
	v_cmp_u_f32_e32 vcc_lo, v21, v21
	v_add3_u32 v25, v26, v11, 0x7fff
	v_or_b32_e32 v26, 0x400000, v11
	v_bfe_u32 v27, v23, 16, 1
	v_and_b32_e32 v10, 0xffff0000, v10
	v_cndmask_b32_e32 v21, v22, v24, vcc_lo
	v_cmp_u_f32_e32 vcc_lo, v11, v11
	v_or_b32_e32 v24, 0x400000, v23
	v_add3_u32 v22, v27, v23, 0x7fff
	v_and_b32_e32 v16, 0xffff0000, v16
	v_add_f32_e32 v14, v15, v14
	v_cndmask_b32_e32 v11, v25, v26, vcc_lo
	v_bfe_u32 v25, v12, 16, 1
	v_cmp_u_f32_e32 vcc_lo, v23, v23
	v_add_f32_e32 v10, v10, v16
	v_and_b32_e32 v16, 0xffff0000, v5
	v_and_b32_e32 v11, 0xffff0000, v11
	v_add3_u32 v23, v25, v12, 0x7fff
	v_cndmask_b32_e32 v22, v22, v24, vcc_lo
	v_or_b32_e32 v24, 0x400000, v12
	v_cmp_u_f32_e32 vcc_lo, v12, v12
	v_and_b32_e32 v15, 0xffff0000, v21
	v_lshlrev_b32_e32 v5, 16, v5
	v_add_f32_e32 v10, v10, v14
	v_mul_f32_e32 v14, v33, v16
	v_cndmask_b32_e32 v12, v23, v24, vcc_lo
	v_add_f32_e32 v11, v11, v15
	v_mul_f32_e32 v15, v41, v5
	v_and_b32_e32 v16, 0xffff0000, v22
	v_and_b32_e32 v21, 0xffff0000, v6
	;; [unrolled: 1-line block ×3, first 2 shown]
	v_bfe_u32 v22, v14, 16, 1
	v_add_f32_e32 v5, v11, v10
	v_bfe_u32 v11, v15, 16, 1
	v_cmp_u_f32_e32 vcc_lo, v14, v14
	v_add_f32_e32 v10, v12, v16
	v_mul_f32_e32 v12, v34, v21
	v_add3_u32 v16, v22, v14, 0x7fff
	v_or_b32_e32 v21, 0x400000, v14
	v_add3_u32 v11, v11, v15, 0x7fff
	v_or_b32_e32 v22, 0x400000, v15
	v_bfe_u32 v23, v12, 16, 1
	v_lshlrev_b32_e32 v6, 16, v6
	v_cndmask_b32_e32 v14, v16, v21, vcc_lo
	v_cmp_u_f32_e32 vcc_lo, v15, v15
	v_or_b32_e32 v16, 0x400000, v12
	v_add3_u32 v15, v23, v12, 0x7fff
	v_mul_f32_e32 v6, v43, v6
	v_and_b32_e32 v21, 0xffff0000, v7
	v_cndmask_b32_e32 v11, v11, v22, vcc_lo
	v_cmp_u_f32_e32 vcc_lo, v12, v12
	v_lshlrev_b32_e32 v7, 16, v7
	v_bfe_u32 v22, v6, 16, 1
	v_and_b32_e32 v14, 0xffff0000, v14
	v_and_b32_e32 v11, 0xffff0000, v11
	v_cndmask_b32_e32 v12, v15, v16, vcc_lo
	v_mul_f32_e32 v15, v35, v21
	v_mul_f32_e32 v7, v44, v7
	v_add3_u32 v16, v22, v6, 0x7fff
	v_or_b32_e32 v21, 0x400000, v6
	v_and_b32_e32 v22, 0xffff0000, v8
	v_bfe_u32 v23, v15, 16, 1
	v_cmp_u_f32_e32 vcc_lo, v6, v6
	v_bfe_u32 v24, v7, 16, 1
	v_lshlrev_b32_e32 v8, 16, v8
	v_and_b32_e32 v12, 0xffff0000, v12
	v_add_f32_e32 v11, v11, v14
	v_cndmask_b32_e32 v6, v16, v21, vcc_lo
	v_mul_f32_e32 v16, v36, v22
	v_add3_u32 v21, v23, v15, 0x7fff
	v_or_b32_e32 v22, 0x400000, v15
	v_cmp_u_f32_e32 vcc_lo, v15, v15
	v_add3_u32 v23, v24, v7, 0x7fff
	v_or_b32_e32 v24, 0x400000, v7
	v_bfe_u32 v25, v16, 16, 1
	v_and_b32_e32 v6, 0xffff0000, v6
	v_cndmask_b32_e32 v15, v21, v22, vcc_lo
	v_cmp_u_f32_e32 vcc_lo, v7, v7
	v_or_b32_e32 v22, 0x400000, v16
	v_add3_u32 v21, v25, v16, 0x7fff
	v_mul_f32_e32 v8, v42, v8
	v_add_f32_e32 v6, v6, v12
	v_cndmask_b32_e32 v7, v23, v24, vcc_lo
	v_cmp_u_f32_e32 vcc_lo, v16, v16
	v_and_b32_e32 v12, 0xffff0000, v1
	v_and_b32_e32 v14, 0xffff0000, v15
	v_add_f32_e32 v6, v6, v11
	v_and_b32_e32 v7, 0xffff0000, v7
	v_cndmask_b32_e32 v16, v21, v22, vcc_lo
	v_bfe_u32 v21, v8, 16, 1
	v_mul_f32_e32 v11, v33, v12
	v_lshlrev_b32_e32 v1, 16, v1
	v_add_f32_e32 v7, v7, v14
	v_cmp_u_f32_e32 vcc_lo, v8, v8
	v_add3_u32 v15, v21, v8, 0x7fff
	v_or_b32_e32 v21, 0x400000, v8
	v_bfe_u32 v12, v11, 16, 1
	v_add_f32_e32 v6, v7, v6
	v_and_b32_e32 v7, 0xffff0000, v2
	v_mul_f32_e32 v1, v41, v1
	v_cndmask_b32_e32 v8, v15, v21, vcc_lo
	v_add3_u32 v12, v12, v11, 0x7fff
	v_or_b32_e32 v14, 0x400000, v11
	v_mul_f32_e32 v7, v34, v7
	v_and_b32_e32 v15, 0xffff0000, v16
	v_bfe_u32 v16, v1, 16, 1
	v_cmp_u_f32_e32 vcc_lo, v11, v11
	v_lshlrev_b32_e32 v2, 16, v2
	v_or_b32_e32 v21, 0x400000, v1
	v_or_b32_e32 v22, 0x400000, v7
	v_and_b32_e32 v8, 0xffff0000, v8
	v_cndmask_b32_e32 v11, v12, v14, vcc_lo
	v_bfe_u32 v12, v7, 16, 1
	v_add3_u32 v14, v16, v1, 0x7fff
	v_and_b32_e32 v16, 0xffff0000, v3
	v_mul_f32_e32 v2, v43, v2
	v_cmp_u_f32_e32 vcc_lo, v1, v1
	v_add3_u32 v12, v12, v7, 0x7fff
	v_lshlrev_b32_e32 v3, 16, v3
	v_mul_f32_e32 v16, v35, v16
	v_and_b32_e32 v11, 0xffff0000, v11
	v_cndmask_b32_e32 v1, v14, v21, vcc_lo
	v_bfe_u32 v14, v2, 16, 1
	v_cmp_u_f32_e32 vcc_lo, v7, v7
	v_and_b32_e32 v21, 0xffff0000, v4
	v_mul_f32_e32 v3, v44, v3
	v_or_b32_e32 v23, 0x400000, v16
	v_add3_u32 v14, v14, v2, 0x7fff
	v_cndmask_b32_e32 v7, v12, v22, vcc_lo
	v_bfe_u32 v12, v16, 16, 1
	v_or_b32_e32 v22, 0x400000, v2
	v_cmp_u_f32_e32 vcc_lo, v2, v2
	v_mul_f32_e32 v21, v36, v21
	v_lshlrev_b32_e32 v4, 16, v4
	v_add3_u32 v12, v12, v16, 0x7fff
	v_and_b32_e32 v1, 0xffff0000, v1
	v_cndmask_b32_e32 v2, v14, v22, vcc_lo
	v_bfe_u32 v14, v3, 16, 1
	v_cmp_u_f32_e32 vcc_lo, v16, v16
	v_bfe_u32 v22, v21, 16, 1
	v_or_b32_e32 v16, 0x400000, v3
	v_mul_f32_e32 v4, v42, v4
	v_add3_u32 v14, v14, v3, 0x7fff
	v_cndmask_b32_e32 v12, v12, v23, vcc_lo
	v_cmp_u_f32_e32 vcc_lo, v3, v3
	v_add3_u32 v22, v22, v21, 0x7fff
	v_or_b32_e32 v23, 0x400000, v21
	v_and_b32_e32 v2, 0xffff0000, v2
	v_and_b32_e32 v7, 0xffff0000, v7
	v_cndmask_b32_e32 v3, v14, v16, vcc_lo
	v_cmp_u_f32_e32 vcc_lo, v21, v21
	v_bfe_u32 v16, v4, 16, 1
	v_add_f32_e32 v1, v1, v11
	v_add_f32_e32 v2, v2, v7
	v_and_b32_e32 v3, 0xffff0000, v3
	v_cndmask_b32_e32 v14, v22, v23, vcc_lo
	s_waitcnt vmcnt(0)
	v_lshlrev_b32_e32 v22, 16, v17
	v_and_b32_e32 v7, 0xffff0000, v12
	v_and_b32_e32 v12, 0xffff0000, v17
	v_add3_u32 v16, v16, v4, 0x7fff
	v_or_b32_e32 v21, 0x400000, v4
	v_mul_f32_e32 v11, v41, v22
	v_cmp_u_f32_e32 vcc_lo, v4, v4
	v_add_f32_e32 v1, v2, v1
	v_add_f32_e32 v3, v3, v7
	v_mul_f32_e32 v7, v33, v12
	v_bfe_u32 v2, v11, 16, 1
	v_lshlrev_b32_e32 v12, 16, v18
	v_cndmask_b32_e32 v4, v16, v21, vcc_lo
	v_or_b32_e32 v16, 0x400000, v11
	v_bfe_u32 v17, v7, 16, 1
	v_add3_u32 v2, v2, v11, 0x7fff
	v_mul_f32_e32 v12, v43, v12
	v_and_b32_e32 v18, 0xffff0000, v18
	v_cmp_u_f32_e32 vcc_lo, v11, v11
	v_add3_u32 v11, v17, v7, 0x7fff
	v_lshlrev_b32_e32 v21, 16, v19
	v_bfe_u32 v17, v12, 16, 1
	v_mul_f32_e32 v18, v34, v18
	v_cndmask_b32_e32 v2, v2, v16, vcc_lo
	v_or_b32_e32 v16, 0x400000, v7
	v_cmp_u_f32_e32 vcc_lo, v7, v7
	v_mul_f32_e32 v21, v44, v21
	v_and_b32_e32 v19, 0xffff0000, v19
	v_lshlrev_b32_e32 v22, 16, v20
	v_and_b32_e32 v20, 0xffff0000, v20
	v_cndmask_b32_e32 v7, v11, v16, vcc_lo
	v_add3_u32 v11, v17, v12, 0x7fff
	v_or_b32_e32 v16, 0x400000, v12
	v_bfe_u32 v17, v18, 16, 1
	v_cmp_u_f32_e32 vcc_lo, v12, v12
	v_mul_f32_e32 v19, v35, v19
	v_mul_f32_e32 v20, v36, v20
	v_and_b32_e32 v7, 0xffff0000, v7
	v_add3_u32 v12, v17, v18, 0x7fff
	v_cndmask_b32_e32 v11, v11, v16, vcc_lo
	v_or_b32_e32 v16, 0x400000, v18
	v_bfe_u32 v17, v21, 16, 1
	v_cmp_u_f32_e32 vcc_lo, v18, v18
	v_mul_f32_e32 v18, v42, v22
	v_or_b32_e32 v22, 0x400000, v21
	v_or_b32_e32 v23, 0x400000, v19
	v_add3_u32 v17, v17, v21, 0x7fff
	v_cndmask_b32_e32 v12, v12, v16, vcc_lo
	v_bfe_u32 v16, v19, 16, 1
	v_cmp_u_f32_e32 vcc_lo, v21, v21
	v_bfe_u32 v25, v20, 16, 1
	v_bfe_u32 v24, v18, 16, 1
	v_and_b32_e32 v2, 0xffff0000, v2
	v_add3_u32 v16, v16, v19, 0x7fff
	v_cndmask_b32_e32 v17, v17, v22, vcc_lo
	v_cmp_u_f32_e32 vcc_lo, v19, v19
	v_add3_u32 v21, v25, v20, 0x7fff
	v_or_b32_e32 v22, 0x400000, v20
	v_add3_u32 v19, v24, v18, 0x7fff
	v_and_b32_e32 v12, 0xffff0000, v12
	v_cndmask_b32_e32 v16, v16, v23, vcc_lo
	v_cmp_u_f32_e32 vcc_lo, v20, v20
	v_and_b32_e32 v11, 0xffff0000, v11
	v_or_b32_e32 v23, 0x400000, v18
	v_add_f32_e32 v2, v2, v7
	v_and_b32_e32 v4, 0xffff0000, v4
	v_cndmask_b32_e32 v20, v21, v22, vcc_lo
	v_cmp_u_f32_e32 vcc_lo, v18, v18
	v_add_f32_e32 v7, v11, v12
	v_and_b32_e32 v11, 0xffff0000, v16
	v_and_b32_e32 v12, 0xffff0000, v17
	;; [unrolled: 1-line block ×3, first 2 shown]
	v_cndmask_b32_e32 v16, v19, v23, vcc_lo
	v_add_f32_e32 v2, v7, v2
	v_add_f32_e32 v8, v8, v15
	;; [unrolled: 1-line block ×3, first 2 shown]
	v_and_b32_e32 v11, 0xffff0000, v20
	v_and_b32_e32 v12, 0xffff0000, v16
	v_add_f32_e32 v1, v3, v1
	v_add_f32_e32 v3, v4, v14
	v_add_f32_e32 v2, v7, v2
	v_add_f32_e32 v7, v13, v9
	v_add_f32_e32 v4, v12, v11
	v_add_f32_e32 v5, v10, v5
	v_add_f32_e32 v6, v8, v6
	v_add_f32_e32 v1, v3, v1
	v_add_f32_e32 v74, v74, v7
	v_add_f32_e32 v2, v4, v2
	v_add_f32_e32 v75, v75, v5
	v_add_f32_e32 v76, v76, v6
	v_add_f32_e32 v77, v77, v1
	v_add_f32_e32 v66, v66, v2
.LBB160_41:                             ;   in Loop: Header=BB160_42 Depth=1
	s_or_b32 exec_lo, exec_lo, s17
	v_add_nc_u32_e32 v57, 4, v57
	v_add_co_u32 v58, s0, v58, 16
	v_add_co_ci_u32_e64 v59, null, 0, v59, s0
	v_cmp_le_i32_e32 vcc_lo, s16, v57
	v_add_nc_u32_e32 v63, 64, v63
	v_add_nc_u32_e32 v82, 0x100, v82
	s_or_b32 s14, vcc_lo, s14
	s_andn2_b32 exec_lo, exec_lo, s14
	s_cbranch_execz .LBB160_67
.LBB160_42:                             ; =>This Inner Loop Header: Depth=1
	v_sub_nc_u32_e32 v1, 0, v63
	v_max_i32_e32 v1, v63, v1
	v_mul_hi_u32 v2, v1, s12
	v_mul_lo_u32 v3, v2, s11
	v_sub_nc_u32_e32 v1, v1, v3
	v_add_nc_u32_e32 v3, 1, v2
	v_subrev_nc_u32_e32 v4, s11, v1
	v_cmp_le_u32_e32 vcc_lo, s11, v1
	v_cndmask_b32_e32 v2, v2, v3, vcc_lo
	v_cndmask_b32_e32 v1, v1, v4, vcc_lo
	v_ashrrev_i32_e32 v3, 31, v63
	v_add_nc_u32_e32 v4, 1, v2
	v_cmp_le_u32_e32 vcc_lo, s11, v1
	v_xor_b32_e32 v3, s19, v3
	v_cndmask_b32_e32 v1, v2, v4, vcc_lo
	v_xor_b32_e32 v1, v1, v3
	v_sub_nc_u32_e32 v1, v1, v3
	v_add_nc_u32_e32 v2, s33, v1
	v_cmp_lt_i32_e64 s0, s5, v1
	v_sub_nc_u32_e32 v3, 0, v2
	v_max_i32_e32 v3, v2, v3
	v_ashrrev_i32_e32 v2, 31, v2
	v_mul_hi_u32 v4, v3, v83
	v_mul_lo_u32 v4, v4, s6
	v_sub_nc_u32_e32 v3, v3, v4
	v_subrev_nc_u32_e32 v4, s6, v3
	v_cmp_le_u32_e32 vcc_lo, s6, v3
	v_cndmask_b32_e32 v3, v3, v4, vcc_lo
	v_subrev_nc_u32_e32 v4, s6, v3
	v_cmp_le_u32_e32 vcc_lo, s6, v3
	v_cndmask_b32_e32 v3, v3, v4, vcc_lo
	v_xor_b32_e32 v3, v3, v2
	v_sub_nc_u32_e32 v2, v3, v2
	v_cmp_eq_u32_e32 vcc_lo, 0, v2
	s_or_b32 s0, vcc_lo, s0
	s_and_saveexec_b32 s17, s0
	s_cbranch_execz .LBB160_41
; %bb.43:                               ;   in Loop: Header=BB160_42 Depth=1
	global_load_dword v1, v[58:59], off
	v_add_nc_u32_e32 v88, v78, v63
	v_cmp_eq_u32_e64 s0, s9, v57
	v_add_nc_u32_e32 v91, 1, v88
	v_or_b32_e32 v89, 3, v88
	v_or_b32_e32 v90, 2, v88
	;; [unrolled: 1-line block ×6, first 2 shown]
	s_waitcnt vmcnt(0)
	v_mad_i64_i32 v[1:2], null, v1, s13, 0
	v_lshlrev_b64 v[1:2], 1, v[1:2]
	v_add_co_u32 v17, vcc_lo, v80, v1
	v_add_co_ci_u32_e64 v18, null, v81, v2, vcc_lo
	global_load_dwordx4 v[1:4], v[17:18], off
	ds_read2_b64 v[41:44], v82 offset1:1
	ds_read2_b64 v[33:36], v82 offset0:2 offset1:3
	s_and_saveexec_b32 s18, s0
	s_cbranch_execnz .LBB160_57
; %bb.44:                               ;   in Loop: Header=BB160_42 Depth=1
	s_or_b32 exec_lo, exec_lo, s18
	global_load_dwordx4 v[5:8], v[17:18], off offset:512
	s_and_saveexec_b32 s18, s0
	s_cbranch_execnz .LBB160_58
.LBB160_45:                             ;   in Loop: Header=BB160_42 Depth=1
	s_or_b32 exec_lo, exec_lo, s18
	global_load_dwordx4 v[9:12], v[17:18], off offset:1024
	s_and_saveexec_b32 s18, s0
	s_cbranch_execnz .LBB160_59
.LBB160_46:                             ;   in Loop: Header=BB160_42 Depth=1
	s_or_b32 exec_lo, exec_lo, s18
	global_load_dwordx4 v[13:16], v[17:18], off offset:1536
	s_and_saveexec_b32 s18, s0
	s_cbranch_execz .LBB160_48
.LBB160_47:                             ;   in Loop: Header=BB160_42 Depth=1
	v_cmp_gt_i32_e64 s1, s27, v88
	v_cmp_gt_i32_e32 vcc_lo, s15, v91
	v_cmp_gt_i32_e64 s2, s27, v90
	s_waitcnt vmcnt(0)
	v_cndmask_b32_e64 v19, 0, v13, s1
	v_cmp_gt_i32_e64 s1, s15, v89
	v_cndmask_b32_sdwa v13, v79, v13, vcc_lo dst_sel:DWORD dst_unused:UNUSED_PAD src0_sel:DWORD src1_sel:WORD_1
	v_cndmask_b32_e64 v20, 0, v14, s2
	v_cmp_gt_i32_e64 s2, s15, v87
	s_mov_b32 vcc_lo, s1
	v_cmp_gt_i32_e64 s1, s15, v85
	v_cndmask_b32_sdwa v14, v79, v14, vcc_lo dst_sel:DWORD dst_unused:UNUSED_PAD src0_sel:DWORD src1_sel:WORD_1
	v_cmp_gt_i32_e32 vcc_lo, s27, v86
	v_perm_b32 v13, v13, v19, 0x5040100
	v_perm_b32 v14, v14, v20, 0x5040100
	v_cndmask_b32_e32 v21, 0, v15, vcc_lo
	s_mov_b32 vcc_lo, s2
	v_cndmask_b32_sdwa v15, v79, v15, vcc_lo dst_sel:DWORD dst_unused:UNUSED_PAD src0_sel:DWORD src1_sel:WORD_1
	v_cmp_gt_i32_e32 vcc_lo, s27, v84
	v_perm_b32 v15, v15, v21, 0x5040100
	v_cndmask_b32_e32 v22, 0, v16, vcc_lo
	s_mov_b32 vcc_lo, s1
	v_cndmask_b32_sdwa v16, v79, v16, vcc_lo dst_sel:DWORD dst_unused:UNUSED_PAD src0_sel:DWORD src1_sel:WORD_1
	v_perm_b32 v16, v16, v22, 0x5040100
.LBB160_48:                             ;   in Loop: Header=BB160_42 Depth=1
	s_or_b32 exec_lo, exec_lo, s18
	v_add_co_u32 v19, vcc_lo, 0x800, v17
	v_add_co_ci_u32_e64 v20, null, 0, v18, vcc_lo
	global_load_dwordx4 v[21:24], v[19:20], off
	s_and_saveexec_b32 s18, s0
	s_cbranch_execnz .LBB160_60
; %bb.49:                               ;   in Loop: Header=BB160_42 Depth=1
	s_or_b32 exec_lo, exec_lo, s18
	global_load_dwordx4 v[25:28], v[19:20], off offset:512
	s_and_saveexec_b32 s18, s0
	s_cbranch_execnz .LBB160_61
.LBB160_50:                             ;   in Loop: Header=BB160_42 Depth=1
	s_or_b32 exec_lo, exec_lo, s18
	global_load_dwordx4 v[29:32], v[19:20], off offset:1024
	s_and_saveexec_b32 s18, s0
	s_cbranch_execnz .LBB160_62
.LBB160_51:                             ;   in Loop: Header=BB160_42 Depth=1
	s_or_b32 exec_lo, exec_lo, s18
	global_load_dwordx4 v[37:40], v[19:20], off offset:1536
	s_and_saveexec_b32 s18, s0
	s_cbranch_execz .LBB160_53
.LBB160_52:                             ;   in Loop: Header=BB160_42 Depth=1
	v_cmp_gt_i32_e64 s1, s27, v88
	v_cmp_gt_i32_e32 vcc_lo, s15, v91
	v_cmp_gt_i32_e64 s2, s27, v90
	s_waitcnt vmcnt(0)
	v_cndmask_b32_e64 v19, 0, v37, s1
	v_cmp_gt_i32_e64 s1, s15, v89
	v_cndmask_b32_sdwa v37, v79, v37, vcc_lo dst_sel:DWORD dst_unused:UNUSED_PAD src0_sel:DWORD src1_sel:WORD_1
	v_cndmask_b32_e64 v20, 0, v38, s2
	v_cmp_gt_i32_e64 s2, s15, v87
	s_mov_b32 vcc_lo, s1
	v_cmp_gt_i32_e64 s1, s15, v85
	v_cndmask_b32_sdwa v38, v79, v38, vcc_lo dst_sel:DWORD dst_unused:UNUSED_PAD src0_sel:DWORD src1_sel:WORD_1
	v_cmp_gt_i32_e32 vcc_lo, s27, v86
	v_perm_b32 v37, v37, v19, 0x5040100
	v_perm_b32 v38, v38, v20, 0x5040100
	v_cndmask_b32_e32 v45, 0, v39, vcc_lo
	s_mov_b32 vcc_lo, s2
	v_cndmask_b32_sdwa v39, v79, v39, vcc_lo dst_sel:DWORD dst_unused:UNUSED_PAD src0_sel:DWORD src1_sel:WORD_1
	v_cmp_gt_i32_e32 vcc_lo, s27, v84
	v_perm_b32 v39, v39, v45, 0x5040100
	v_cndmask_b32_e32 v46, 0, v40, vcc_lo
	s_mov_b32 vcc_lo, s1
	v_cndmask_b32_sdwa v40, v79, v40, vcc_lo dst_sel:DWORD dst_unused:UNUSED_PAD src0_sel:DWORD src1_sel:WORD_1
	v_perm_b32 v40, v40, v46, 0x5040100
.LBB160_53:                             ;   in Loop: Header=BB160_42 Depth=1
	s_or_b32 exec_lo, exec_lo, s18
	v_add_co_u32 v17, vcc_lo, 0x1000, v17
	v_add_co_ci_u32_e64 v18, null, 0, v18, vcc_lo
	global_load_dwordx4 v[45:48], v[17:18], off
	s_and_saveexec_b32 s18, s0
	s_cbranch_execnz .LBB160_63
; %bb.54:                               ;   in Loop: Header=BB160_42 Depth=1
	s_or_b32 exec_lo, exec_lo, s18
	global_load_dwordx4 v[49:52], v[17:18], off offset:512
	s_and_saveexec_b32 s18, s0
	s_cbranch_execnz .LBB160_64
.LBB160_55:                             ;   in Loop: Header=BB160_42 Depth=1
	s_or_b32 exec_lo, exec_lo, s18
	global_load_dwordx4 v[53:56], v[17:18], off offset:1024
	s_and_saveexec_b32 s18, s0
	s_cbranch_execnz .LBB160_65
.LBB160_56:                             ;   in Loop: Header=BB160_42 Depth=1
	s_or_b32 exec_lo, exec_lo, s18
	global_load_dwordx4 v[17:20], v[17:18], off offset:1536
	s_and_saveexec_b32 s2, s0
	s_cbranch_execz .LBB160_40
	s_branch .LBB160_66
.LBB160_57:                             ;   in Loop: Header=BB160_42 Depth=1
	v_cmp_gt_i32_e64 s1, s27, v88
	v_cmp_gt_i32_e32 vcc_lo, s15, v91
	v_cmp_gt_i32_e64 s2, s27, v90
	s_waitcnt vmcnt(0)
	v_cndmask_b32_e64 v5, 0, v1, s1
	v_cmp_gt_i32_e64 s1, s15, v89
	v_cndmask_b32_sdwa v1, v79, v1, vcc_lo dst_sel:DWORD dst_unused:UNUSED_PAD src0_sel:DWORD src1_sel:WORD_1
	v_cndmask_b32_e64 v6, 0, v2, s2
	v_cmp_gt_i32_e64 s2, s15, v87
	s_mov_b32 vcc_lo, s1
	v_cmp_gt_i32_e64 s1, s15, v85
	v_cndmask_b32_sdwa v2, v79, v2, vcc_lo dst_sel:DWORD dst_unused:UNUSED_PAD src0_sel:DWORD src1_sel:WORD_1
	v_cmp_gt_i32_e32 vcc_lo, s27, v86
	v_perm_b32 v1, v1, v5, 0x5040100
	v_perm_b32 v2, v2, v6, 0x5040100
	v_cndmask_b32_e32 v7, 0, v3, vcc_lo
	s_mov_b32 vcc_lo, s2
	v_cndmask_b32_sdwa v3, v79, v3, vcc_lo dst_sel:DWORD dst_unused:UNUSED_PAD src0_sel:DWORD src1_sel:WORD_1
	v_cmp_gt_i32_e32 vcc_lo, s27, v84
	v_perm_b32 v3, v3, v7, 0x5040100
	v_cndmask_b32_e32 v8, 0, v4, vcc_lo
	s_mov_b32 vcc_lo, s1
	v_cndmask_b32_sdwa v4, v79, v4, vcc_lo dst_sel:DWORD dst_unused:UNUSED_PAD src0_sel:DWORD src1_sel:WORD_1
	v_perm_b32 v4, v4, v8, 0x5040100
	s_or_b32 exec_lo, exec_lo, s18
	global_load_dwordx4 v[5:8], v[17:18], off offset:512
	s_and_saveexec_b32 s18, s0
	s_cbranch_execz .LBB160_45
.LBB160_58:                             ;   in Loop: Header=BB160_42 Depth=1
	v_cmp_gt_i32_e64 s1, s27, v88
	v_cmp_gt_i32_e32 vcc_lo, s15, v91
	v_cmp_gt_i32_e64 s2, s27, v90
	s_waitcnt vmcnt(0)
	v_cndmask_b32_e64 v9, 0, v5, s1
	v_cmp_gt_i32_e64 s1, s15, v89
	v_cndmask_b32_sdwa v5, v79, v5, vcc_lo dst_sel:DWORD dst_unused:UNUSED_PAD src0_sel:DWORD src1_sel:WORD_1
	v_cndmask_b32_e64 v10, 0, v6, s2
	v_cmp_gt_i32_e64 s2, s15, v87
	s_mov_b32 vcc_lo, s1
	v_cmp_gt_i32_e64 s1, s15, v85
	v_cndmask_b32_sdwa v6, v79, v6, vcc_lo dst_sel:DWORD dst_unused:UNUSED_PAD src0_sel:DWORD src1_sel:WORD_1
	v_cmp_gt_i32_e32 vcc_lo, s27, v86
	v_perm_b32 v5, v5, v9, 0x5040100
	v_perm_b32 v6, v6, v10, 0x5040100
	v_cndmask_b32_e32 v11, 0, v7, vcc_lo
	s_mov_b32 vcc_lo, s2
	v_cndmask_b32_sdwa v7, v79, v7, vcc_lo dst_sel:DWORD dst_unused:UNUSED_PAD src0_sel:DWORD src1_sel:WORD_1
	v_cmp_gt_i32_e32 vcc_lo, s27, v84
	v_perm_b32 v7, v7, v11, 0x5040100
	v_cndmask_b32_e32 v12, 0, v8, vcc_lo
	s_mov_b32 vcc_lo, s1
	v_cndmask_b32_sdwa v8, v79, v8, vcc_lo dst_sel:DWORD dst_unused:UNUSED_PAD src0_sel:DWORD src1_sel:WORD_1
	v_perm_b32 v8, v8, v12, 0x5040100
	s_or_b32 exec_lo, exec_lo, s18
	global_load_dwordx4 v[9:12], v[17:18], off offset:1024
	s_and_saveexec_b32 s18, s0
	s_cbranch_execz .LBB160_46
.LBB160_59:                             ;   in Loop: Header=BB160_42 Depth=1
	v_cmp_gt_i32_e64 s1, s27, v88
	v_cmp_gt_i32_e32 vcc_lo, s15, v91
	v_cmp_gt_i32_e64 s2, s27, v90
	s_waitcnt vmcnt(0)
	v_cndmask_b32_e64 v13, 0, v9, s1
	v_cmp_gt_i32_e64 s1, s15, v89
	v_cndmask_b32_sdwa v9, v79, v9, vcc_lo dst_sel:DWORD dst_unused:UNUSED_PAD src0_sel:DWORD src1_sel:WORD_1
	v_cndmask_b32_e64 v14, 0, v10, s2
	v_cmp_gt_i32_e64 s2, s15, v87
	s_mov_b32 vcc_lo, s1
	v_cmp_gt_i32_e64 s1, s15, v85
	v_cndmask_b32_sdwa v10, v79, v10, vcc_lo dst_sel:DWORD dst_unused:UNUSED_PAD src0_sel:DWORD src1_sel:WORD_1
	v_cmp_gt_i32_e32 vcc_lo, s27, v86
	v_perm_b32 v9, v9, v13, 0x5040100
	v_perm_b32 v10, v10, v14, 0x5040100
	v_cndmask_b32_e32 v15, 0, v11, vcc_lo
	s_mov_b32 vcc_lo, s2
	v_cndmask_b32_sdwa v11, v79, v11, vcc_lo dst_sel:DWORD dst_unused:UNUSED_PAD src0_sel:DWORD src1_sel:WORD_1
	v_cmp_gt_i32_e32 vcc_lo, s27, v84
	v_perm_b32 v11, v11, v15, 0x5040100
	v_cndmask_b32_e32 v16, 0, v12, vcc_lo
	s_mov_b32 vcc_lo, s1
	v_cndmask_b32_sdwa v12, v79, v12, vcc_lo dst_sel:DWORD dst_unused:UNUSED_PAD src0_sel:DWORD src1_sel:WORD_1
	v_perm_b32 v12, v12, v16, 0x5040100
	s_or_b32 exec_lo, exec_lo, s18
	global_load_dwordx4 v[13:16], v[17:18], off offset:1536
	s_and_saveexec_b32 s18, s0
	s_cbranch_execnz .LBB160_47
	s_branch .LBB160_48
.LBB160_60:                             ;   in Loop: Header=BB160_42 Depth=1
	v_cmp_gt_i32_e64 s1, s27, v88
	v_cmp_gt_i32_e32 vcc_lo, s15, v91
	v_cmp_gt_i32_e64 s2, s27, v90
	s_waitcnt vmcnt(0)
	v_cndmask_b32_e64 v25, 0, v21, s1
	v_cmp_gt_i32_e64 s1, s15, v89
	v_cndmask_b32_sdwa v21, v79, v21, vcc_lo dst_sel:DWORD dst_unused:UNUSED_PAD src0_sel:DWORD src1_sel:WORD_1
	v_cndmask_b32_e64 v26, 0, v22, s2
	v_cmp_gt_i32_e64 s2, s15, v87
	s_mov_b32 vcc_lo, s1
	v_cmp_gt_i32_e64 s1, s15, v85
	v_cndmask_b32_sdwa v22, v79, v22, vcc_lo dst_sel:DWORD dst_unused:UNUSED_PAD src0_sel:DWORD src1_sel:WORD_1
	v_cmp_gt_i32_e32 vcc_lo, s27, v86
	v_perm_b32 v21, v21, v25, 0x5040100
	v_perm_b32 v22, v22, v26, 0x5040100
	v_cndmask_b32_e32 v27, 0, v23, vcc_lo
	s_mov_b32 vcc_lo, s2
	v_cndmask_b32_sdwa v23, v79, v23, vcc_lo dst_sel:DWORD dst_unused:UNUSED_PAD src0_sel:DWORD src1_sel:WORD_1
	v_cmp_gt_i32_e32 vcc_lo, s27, v84
	v_perm_b32 v23, v23, v27, 0x5040100
	v_cndmask_b32_e32 v28, 0, v24, vcc_lo
	s_mov_b32 vcc_lo, s1
	v_cndmask_b32_sdwa v24, v79, v24, vcc_lo dst_sel:DWORD dst_unused:UNUSED_PAD src0_sel:DWORD src1_sel:WORD_1
	v_perm_b32 v24, v24, v28, 0x5040100
	s_or_b32 exec_lo, exec_lo, s18
	global_load_dwordx4 v[25:28], v[19:20], off offset:512
	s_and_saveexec_b32 s18, s0
	s_cbranch_execz .LBB160_50
.LBB160_61:                             ;   in Loop: Header=BB160_42 Depth=1
	v_cmp_gt_i32_e64 s1, s27, v88
	v_cmp_gt_i32_e32 vcc_lo, s15, v91
	v_cmp_gt_i32_e64 s2, s27, v90
	s_waitcnt vmcnt(0)
	v_cndmask_b32_e64 v29, 0, v25, s1
	v_cmp_gt_i32_e64 s1, s15, v89
	v_cndmask_b32_sdwa v25, v79, v25, vcc_lo dst_sel:DWORD dst_unused:UNUSED_PAD src0_sel:DWORD src1_sel:WORD_1
	v_cndmask_b32_e64 v30, 0, v26, s2
	v_cmp_gt_i32_e64 s2, s15, v87
	s_mov_b32 vcc_lo, s1
	v_cmp_gt_i32_e64 s1, s15, v85
	v_cndmask_b32_sdwa v26, v79, v26, vcc_lo dst_sel:DWORD dst_unused:UNUSED_PAD src0_sel:DWORD src1_sel:WORD_1
	v_cmp_gt_i32_e32 vcc_lo, s27, v86
	v_perm_b32 v25, v25, v29, 0x5040100
	v_perm_b32 v26, v26, v30, 0x5040100
	v_cndmask_b32_e32 v31, 0, v27, vcc_lo
	s_mov_b32 vcc_lo, s2
	v_cndmask_b32_sdwa v27, v79, v27, vcc_lo dst_sel:DWORD dst_unused:UNUSED_PAD src0_sel:DWORD src1_sel:WORD_1
	v_cmp_gt_i32_e32 vcc_lo, s27, v84
	v_perm_b32 v27, v27, v31, 0x5040100
	v_cndmask_b32_e32 v32, 0, v28, vcc_lo
	s_mov_b32 vcc_lo, s1
	v_cndmask_b32_sdwa v28, v79, v28, vcc_lo dst_sel:DWORD dst_unused:UNUSED_PAD src0_sel:DWORD src1_sel:WORD_1
	v_perm_b32 v28, v28, v32, 0x5040100
	s_or_b32 exec_lo, exec_lo, s18
	global_load_dwordx4 v[29:32], v[19:20], off offset:1024
	s_and_saveexec_b32 s18, s0
	s_cbranch_execz .LBB160_51
.LBB160_62:                             ;   in Loop: Header=BB160_42 Depth=1
	v_cmp_gt_i32_e64 s1, s27, v88
	v_cmp_gt_i32_e32 vcc_lo, s15, v91
	v_cmp_gt_i32_e64 s2, s27, v90
	s_waitcnt vmcnt(0)
	v_cndmask_b32_e64 v37, 0, v29, s1
	v_cmp_gt_i32_e64 s1, s15, v89
	v_cndmask_b32_sdwa v29, v79, v29, vcc_lo dst_sel:DWORD dst_unused:UNUSED_PAD src0_sel:DWORD src1_sel:WORD_1
	v_cndmask_b32_e64 v38, 0, v30, s2
	v_cmp_gt_i32_e64 s2, s15, v87
	s_mov_b32 vcc_lo, s1
	v_cmp_gt_i32_e64 s1, s15, v85
	v_cndmask_b32_sdwa v30, v79, v30, vcc_lo dst_sel:DWORD dst_unused:UNUSED_PAD src0_sel:DWORD src1_sel:WORD_1
	v_cmp_gt_i32_e32 vcc_lo, s27, v86
	v_perm_b32 v29, v29, v37, 0x5040100
	v_perm_b32 v30, v30, v38, 0x5040100
	v_cndmask_b32_e32 v39, 0, v31, vcc_lo
	s_mov_b32 vcc_lo, s2
	v_cndmask_b32_sdwa v31, v79, v31, vcc_lo dst_sel:DWORD dst_unused:UNUSED_PAD src0_sel:DWORD src1_sel:WORD_1
	v_cmp_gt_i32_e32 vcc_lo, s27, v84
	v_perm_b32 v31, v31, v39, 0x5040100
	v_cndmask_b32_e32 v40, 0, v32, vcc_lo
	s_mov_b32 vcc_lo, s1
	v_cndmask_b32_sdwa v32, v79, v32, vcc_lo dst_sel:DWORD dst_unused:UNUSED_PAD src0_sel:DWORD src1_sel:WORD_1
	v_perm_b32 v32, v32, v40, 0x5040100
	s_or_b32 exec_lo, exec_lo, s18
	global_load_dwordx4 v[37:40], v[19:20], off offset:1536
	s_and_saveexec_b32 s18, s0
	s_cbranch_execnz .LBB160_52
	s_branch .LBB160_53
.LBB160_63:                             ;   in Loop: Header=BB160_42 Depth=1
	v_cmp_gt_i32_e64 s1, s27, v88
	v_cmp_gt_i32_e32 vcc_lo, s15, v91
	v_cmp_gt_i32_e64 s2, s27, v90
	s_waitcnt vmcnt(0)
	v_cndmask_b32_e64 v19, 0, v45, s1
	v_cmp_gt_i32_e64 s1, s15, v89
	v_cndmask_b32_sdwa v45, v79, v45, vcc_lo dst_sel:DWORD dst_unused:UNUSED_PAD src0_sel:DWORD src1_sel:WORD_1
	v_cndmask_b32_e64 v20, 0, v46, s2
	v_cmp_gt_i32_e64 s2, s15, v87
	s_mov_b32 vcc_lo, s1
	v_cmp_gt_i32_e64 s1, s15, v85
	v_cndmask_b32_sdwa v46, v79, v46, vcc_lo dst_sel:DWORD dst_unused:UNUSED_PAD src0_sel:DWORD src1_sel:WORD_1
	v_cmp_gt_i32_e32 vcc_lo, s27, v86
	v_perm_b32 v45, v45, v19, 0x5040100
	v_perm_b32 v46, v46, v20, 0x5040100
	v_cndmask_b32_e32 v49, 0, v47, vcc_lo
	s_mov_b32 vcc_lo, s2
	v_cndmask_b32_sdwa v47, v79, v47, vcc_lo dst_sel:DWORD dst_unused:UNUSED_PAD src0_sel:DWORD src1_sel:WORD_1
	v_cmp_gt_i32_e32 vcc_lo, s27, v84
	v_perm_b32 v47, v47, v49, 0x5040100
	v_cndmask_b32_e32 v50, 0, v48, vcc_lo
	s_mov_b32 vcc_lo, s1
	v_cndmask_b32_sdwa v48, v79, v48, vcc_lo dst_sel:DWORD dst_unused:UNUSED_PAD src0_sel:DWORD src1_sel:WORD_1
	v_perm_b32 v48, v48, v50, 0x5040100
	s_or_b32 exec_lo, exec_lo, s18
	global_load_dwordx4 v[49:52], v[17:18], off offset:512
	s_and_saveexec_b32 s18, s0
	s_cbranch_execz .LBB160_55
.LBB160_64:                             ;   in Loop: Header=BB160_42 Depth=1
	v_cmp_gt_i32_e64 s1, s27, v88
	v_cmp_gt_i32_e32 vcc_lo, s15, v91
	v_cmp_gt_i32_e64 s2, s27, v90
	s_waitcnt vmcnt(0)
	v_cndmask_b32_e64 v19, 0, v49, s1
	v_cmp_gt_i32_e64 s1, s15, v89
	v_cndmask_b32_sdwa v49, v79, v49, vcc_lo dst_sel:DWORD dst_unused:UNUSED_PAD src0_sel:DWORD src1_sel:WORD_1
	v_cndmask_b32_e64 v20, 0, v50, s2
	v_cmp_gt_i32_e64 s2, s15, v87
	s_mov_b32 vcc_lo, s1
	v_cmp_gt_i32_e64 s1, s15, v85
	v_cndmask_b32_sdwa v50, v79, v50, vcc_lo dst_sel:DWORD dst_unused:UNUSED_PAD src0_sel:DWORD src1_sel:WORD_1
	v_cmp_gt_i32_e32 vcc_lo, s27, v86
	v_perm_b32 v49, v49, v19, 0x5040100
	v_perm_b32 v50, v50, v20, 0x5040100
	v_cndmask_b32_e32 v53, 0, v51, vcc_lo
	s_mov_b32 vcc_lo, s2
	v_cndmask_b32_sdwa v51, v79, v51, vcc_lo dst_sel:DWORD dst_unused:UNUSED_PAD src0_sel:DWORD src1_sel:WORD_1
	v_cmp_gt_i32_e32 vcc_lo, s27, v84
	v_perm_b32 v51, v51, v53, 0x5040100
	v_cndmask_b32_e32 v54, 0, v52, vcc_lo
	s_mov_b32 vcc_lo, s1
	v_cndmask_b32_sdwa v52, v79, v52, vcc_lo dst_sel:DWORD dst_unused:UNUSED_PAD src0_sel:DWORD src1_sel:WORD_1
	v_perm_b32 v52, v52, v54, 0x5040100
	s_or_b32 exec_lo, exec_lo, s18
	global_load_dwordx4 v[53:56], v[17:18], off offset:1024
	s_and_saveexec_b32 s18, s0
	s_cbranch_execz .LBB160_56
.LBB160_65:                             ;   in Loop: Header=BB160_42 Depth=1
	v_cmp_gt_i32_e64 s1, s27, v88
	v_cmp_gt_i32_e32 vcc_lo, s15, v91
	v_cmp_gt_i32_e64 s2, s27, v90
	s_waitcnt vmcnt(0)
	v_cndmask_b32_e64 v19, 0, v53, s1
	v_cmp_gt_i32_e64 s1, s15, v89
	v_cndmask_b32_sdwa v53, v79, v53, vcc_lo dst_sel:DWORD dst_unused:UNUSED_PAD src0_sel:DWORD src1_sel:WORD_1
	v_cndmask_b32_e64 v20, 0, v54, s2
	v_cmp_gt_i32_e64 s2, s15, v87
	s_mov_b32 vcc_lo, s1
	v_cmp_gt_i32_e64 s1, s15, v85
	v_cndmask_b32_sdwa v54, v79, v54, vcc_lo dst_sel:DWORD dst_unused:UNUSED_PAD src0_sel:DWORD src1_sel:WORD_1
	v_cmp_gt_i32_e32 vcc_lo, s27, v86
	v_perm_b32 v53, v53, v19, 0x5040100
	v_perm_b32 v54, v54, v20, 0x5040100
	v_cndmask_b32_e32 v60, 0, v55, vcc_lo
	s_mov_b32 vcc_lo, s2
	v_cndmask_b32_sdwa v55, v79, v55, vcc_lo dst_sel:DWORD dst_unused:UNUSED_PAD src0_sel:DWORD src1_sel:WORD_1
	v_cmp_gt_i32_e32 vcc_lo, s27, v84
	v_perm_b32 v55, v55, v60, 0x5040100
	v_cndmask_b32_e32 v61, 0, v56, vcc_lo
	s_mov_b32 vcc_lo, s1
	v_cndmask_b32_sdwa v56, v79, v56, vcc_lo dst_sel:DWORD dst_unused:UNUSED_PAD src0_sel:DWORD src1_sel:WORD_1
	v_perm_b32 v56, v56, v61, 0x5040100
	s_or_b32 exec_lo, exec_lo, s18
	global_load_dwordx4 v[17:20], v[17:18], off offset:1536
	s_and_saveexec_b32 s2, s0
	s_cbranch_execz .LBB160_40
.LBB160_66:                             ;   in Loop: Header=BB160_42 Depth=1
	v_cmp_gt_i32_e64 s0, s27, v88
	v_cmp_gt_i32_e32 vcc_lo, s15, v91
	v_cmp_gt_i32_e64 s1, s27, v90
	s_waitcnt vmcnt(0)
	v_cndmask_b32_e64 v60, 0, v17, s0
	v_cmp_gt_i32_e64 s0, s15, v89
	v_cndmask_b32_sdwa v17, v79, v17, vcc_lo dst_sel:DWORD dst_unused:UNUSED_PAD src0_sel:DWORD src1_sel:WORD_1
	v_cndmask_b32_e64 v61, 0, v18, s1
	v_cmp_gt_i32_e64 s1, s15, v87
	s_mov_b32 vcc_lo, s0
	v_cmp_gt_i32_e64 s0, s15, v85
	v_cndmask_b32_sdwa v18, v79, v18, vcc_lo dst_sel:DWORD dst_unused:UNUSED_PAD src0_sel:DWORD src1_sel:WORD_1
	v_cmp_gt_i32_e32 vcc_lo, s27, v86
	v_perm_b32 v17, v17, v60, 0x5040100
	v_perm_b32 v18, v18, v61, 0x5040100
	v_cndmask_b32_e32 v62, 0, v19, vcc_lo
	s_mov_b32 vcc_lo, s1
	v_cndmask_b32_sdwa v19, v79, v19, vcc_lo dst_sel:DWORD dst_unused:UNUSED_PAD src0_sel:DWORD src1_sel:WORD_1
	v_cmp_gt_i32_e32 vcc_lo, s27, v84
	v_perm_b32 v19, v19, v62, 0x5040100
	v_cndmask_b32_e32 v84, 0, v20, vcc_lo
	s_mov_b32 vcc_lo, s0
	v_cndmask_b32_sdwa v20, v79, v20, vcc_lo dst_sel:DWORD dst_unused:UNUSED_PAD src0_sel:DWORD src1_sel:WORD_1
	v_perm_b32 v20, v20, v84, 0x5040100
	s_branch .LBB160_40
.LBB160_67:
	s_or_b32 exec_lo, exec_lo, s14
.LBB160_68:
	s_or_b32 exec_lo, exec_lo, s3
	ds_bpermute_b32 v4, v65, v74
	ds_bpermute_b32 v6, v65, v72
	;; [unrolled: 1-line block ×12, first 2 shown]
	s_mov_b32 s0, exec_lo
	s_waitcnt lgkmcnt(0)
	s_waitcnt_vscnt null, 0x0
	s_barrier
	buffer_gl0_inv
	v_add_f32_e32 v9, v74, v4
	v_add_f32_e32 v7, v72, v6
	;; [unrolled: 1-line block ×4, first 2 shown]
	v_lshrrev_b32_e32 v13, 1, v64
	v_lshrrev_b32_e32 v15, 5, v0
	v_add_f32_e32 v12, v77, v1
	v_add_f32_e32 v11, v76, v2
	;; [unrolled: 1-line block ×6, first 2 shown]
	v_and_b32_e32 v16, 0x3c1, v0
	v_add_f32_e32 v3, v67, v17
	v_add_f32_e32 v2, v66, v18
	v_lshl_add_u32 v14, v13, 2, 0x1a0
	v_mul_u32_u24_e32 v15, 0x300, v15
	v_cmpx_eq_u32_e32 64, v16
	s_cbranch_execz .LBB160_70
; %bb.69:
	v_add_nc_u32_e32 v16, v14, v15
	v_add_nc_u32_e32 v17, 0xfffffa00, v16
	;; [unrolled: 1-line block ×8, first 2 shown]
	ds_write_b32 v17, v12
	ds_write_b32 v18, v11
	;; [unrolled: 1-line block ×7, first 2 shown]
	v_add_nc_u32_e32 v17, 0xfffffbc0, v16
	v_add_nc_u32_e32 v18, 0xfffffc00, v16
	;; [unrolled: 1-line block ×5, first 2 shown]
	ds_write_b32 v17, v5
	ds_write_b32 v18, v4
	;; [unrolled: 1-line block ×5, first 2 shown]
.LBB160_70:
	s_or_b32 exec_lo, exec_lo, s0
	v_lshlrev_b32_e32 v13, 2, v13
	v_and_b32_e32 v16, 1, v0
	s_mov_b32 s1, exec_lo
	s_waitcnt lgkmcnt(0)
	s_barrier
	v_add3_u32 v13, 0x1a0, v15, v13
	v_cmp_eq_u32_e32 vcc_lo, 0, v16
	buffer_gl0_inv
	v_cmpx_gt_u32_e32 64, v0
	s_cbranch_execz .LBB160_85
; %bb.71:
	s_and_saveexec_b32 s0, vcc_lo
	s_cbranch_execnz .LBB160_105
; %bb.72:
	s_or_b32 exec_lo, exec_lo, s0
	s_and_saveexec_b32 s0, vcc_lo
	s_cbranch_execnz .LBB160_106
.LBB160_73:
	s_or_b32 exec_lo, exec_lo, s0
	s_and_saveexec_b32 s0, vcc_lo
	s_cbranch_execnz .LBB160_107
.LBB160_74:
	s_or_b32 exec_lo, exec_lo, s0
	s_and_saveexec_b32 s0, vcc_lo
	s_cbranch_execnz .LBB160_108
.LBB160_75:
	s_or_b32 exec_lo, exec_lo, s0
	s_and_saveexec_b32 s0, vcc_lo
	s_cbranch_execnz .LBB160_109
.LBB160_76:
	s_or_b32 exec_lo, exec_lo, s0
	s_and_saveexec_b32 s0, vcc_lo
	s_cbranch_execnz .LBB160_110
.LBB160_77:
	s_or_b32 exec_lo, exec_lo, s0
	s_and_saveexec_b32 s0, vcc_lo
	s_cbranch_execnz .LBB160_111
.LBB160_78:
	s_or_b32 exec_lo, exec_lo, s0
	s_and_saveexec_b32 s0, vcc_lo
	s_cbranch_execnz .LBB160_112
.LBB160_79:
	s_or_b32 exec_lo, exec_lo, s0
	s_and_saveexec_b32 s0, vcc_lo
	s_cbranch_execnz .LBB160_113
.LBB160_80:
	s_or_b32 exec_lo, exec_lo, s0
	s_and_saveexec_b32 s0, vcc_lo
	s_cbranch_execnz .LBB160_114
.LBB160_81:
	s_or_b32 exec_lo, exec_lo, s0
	s_and_saveexec_b32 s0, vcc_lo
	s_cbranch_execnz .LBB160_115
.LBB160_82:
	s_or_b32 exec_lo, exec_lo, s0
	s_and_saveexec_b32 s0, vcc_lo
	s_cbranch_execz .LBB160_84
.LBB160_83:
	ds_read_b32 v15, v13 offset:704
	s_waitcnt lgkmcnt(0)
	v_add_f32_e32 v2, v2, v15
.LBB160_84:
	s_or_b32 exec_lo, exec_lo, s0
.LBB160_85:
	s_or_b32 exec_lo, exec_lo, s1
	v_and_b32_e32 v15, 0x3e1, v0
	s_mov_b32 s1, exec_lo
	s_barrier
	buffer_gl0_inv
	v_cmpx_eq_u32_e32 32, v15
	s_cbranch_execz .LBB160_87
; %bb.86:
	ds_write2_b32 v14, v12, v11 offset1:16
	ds_write2_b32 v14, v10, v9 offset0:32 offset1:48
	ds_write2_b32 v14, v8, v7 offset0:64 offset1:80
	;; [unrolled: 1-line block ×5, first 2 shown]
.LBB160_87:
	s_or_b32 exec_lo, exec_lo, s1
	s_mov_b32 s1, exec_lo
	s_waitcnt lgkmcnt(0)
	s_barrier
	buffer_gl0_inv
	v_cmpx_gt_u32_e32 32, v0
	s_cbranch_execz .LBB160_102
; %bb.88:
	s_and_saveexec_b32 s0, vcc_lo
	s_cbranch_execnz .LBB160_116
; %bb.89:
	s_or_b32 exec_lo, exec_lo, s0
	s_and_saveexec_b32 s0, vcc_lo
	s_cbranch_execnz .LBB160_117
.LBB160_90:
	s_or_b32 exec_lo, exec_lo, s0
	s_and_saveexec_b32 s0, vcc_lo
	s_cbranch_execnz .LBB160_118
.LBB160_91:
	s_or_b32 exec_lo, exec_lo, s0
	s_and_saveexec_b32 s0, vcc_lo
	s_cbranch_execnz .LBB160_119
.LBB160_92:
	s_or_b32 exec_lo, exec_lo, s0
	s_and_saveexec_b32 s0, vcc_lo
	s_cbranch_execnz .LBB160_120
.LBB160_93:
	s_or_b32 exec_lo, exec_lo, s0
	s_and_saveexec_b32 s0, vcc_lo
	s_cbranch_execnz .LBB160_121
.LBB160_94:
	s_or_b32 exec_lo, exec_lo, s0
	s_and_saveexec_b32 s0, vcc_lo
	s_cbranch_execnz .LBB160_122
.LBB160_95:
	s_or_b32 exec_lo, exec_lo, s0
	s_and_saveexec_b32 s0, vcc_lo
	s_cbranch_execnz .LBB160_123
.LBB160_96:
	s_or_b32 exec_lo, exec_lo, s0
	s_and_saveexec_b32 s0, vcc_lo
	s_cbranch_execnz .LBB160_124
.LBB160_97:
	s_or_b32 exec_lo, exec_lo, s0
	s_and_saveexec_b32 s0, vcc_lo
	s_cbranch_execnz .LBB160_125
.LBB160_98:
	s_or_b32 exec_lo, exec_lo, s0
	s_and_saveexec_b32 s0, vcc_lo
	s_cbranch_execnz .LBB160_126
.LBB160_99:
	s_or_b32 exec_lo, exec_lo, s0
	s_and_saveexec_b32 s0, vcc_lo
	s_cbranch_execz .LBB160_101
.LBB160_100:
	ds_read_b32 v0, v13 offset:704
	s_waitcnt lgkmcnt(0)
	v_add_f32_e32 v2, v2, v0
.LBB160_101:
	s_or_b32 exec_lo, exec_lo, s0
.LBB160_102:
	s_or_b32 exec_lo, exec_lo, s1
	s_barrier
	buffer_gl0_inv
	s_mov_b32 s0, exec_lo
	v_cmpx_eq_u32_e32 0, v15
	s_cbranch_execz .LBB160_104
; %bb.103:
	buffer_load_dword v14, off, s[48:51], 0 ; 4-byte Folded Reload
	s_mul_i32 s0, s4, 0xc0
	v_bfe_u32 v0, v12, 16, 1
	s_ashr_i32 s1, s0, 31
	s_mul_i32 s2, s7, s10
	s_lshl_b64 s[0:1], s[0:1], 1
	v_or_b32_e32 v13, 0x400000, v12
	s_add_u32 s4, s24, s0
	s_addc_u32 s1, s25, s1
	s_ashr_i32 s3, s2, 31
	v_add3_u32 v0, v0, v12, 0x7fff
	s_lshl_b64 s[2:3], s[2:3], 1
	v_bfe_u32 v15, v11, 16, 1
	v_cmp_u_f32_e32 vcc_lo, v12, v12
	s_mul_i32 s0, s8, 0xc0
	s_add_u32 s2, s4, s2
	s_addc_u32 s3, s1, s3
	s_ashr_i32 s1, s0, 31
	v_cndmask_b32_e32 v0, v0, v13, vcc_lo
	s_lshl_b64 s[0:1], s[0:1], 1
	v_bfe_u32 v12, v10, 16, 1
	v_add3_u32 v13, v15, v11, 0x7fff
	v_or_b32_e32 v15, 0x400000, v11
	v_cmp_u_f32_e32 vcc_lo, v11, v11
	s_add_u32 s0, s2, s0
	s_addc_u32 s1, s3, s1
	v_cndmask_b32_e32 v11, v13, v15, vcc_lo
	v_bfe_u32 v13, v9, 16, 1
	v_cmp_u_f32_e32 vcc_lo, v10, v10
	s_waitcnt vmcnt(0)
	v_lshlrev_b32_e32 v14, 1, v14
	global_store_short_d16_hi v14, v0, s[0:1]
	v_add3_u32 v0, v12, v10, 0x7fff
	v_or_b32_e32 v12, 0x400000, v10
	v_bfe_u32 v10, v8, 16, 1
	global_store_short_d16_hi v14, v11, s[0:1] offset:32
	v_add3_u32 v11, v13, v9, 0x7fff
	v_cndmask_b32_e32 v0, v0, v12, vcc_lo
	v_or_b32_e32 v12, 0x400000, v9
	v_cmp_u_f32_e32 vcc_lo, v9, v9
	global_store_short_d16_hi v14, v0, s[0:1] offset:64
	v_add3_u32 v0, v10, v8, 0x7fff
	v_or_b32_e32 v10, 0x400000, v8
	v_cndmask_b32_e32 v9, v11, v12, vcc_lo
	v_bfe_u32 v11, v7, 16, 1
	v_cmp_u_f32_e32 vcc_lo, v8, v8
	v_bfe_u32 v8, v6, 16, 1
	global_store_short_d16_hi v14, v9, s[0:1] offset:96
	v_add3_u32 v9, v11, v7, 0x7fff
	v_cndmask_b32_e32 v0, v0, v10, vcc_lo
	v_or_b32_e32 v10, 0x400000, v7
	v_cmp_u_f32_e32 vcc_lo, v7, v7
	global_store_short_d16_hi v14, v0, s[0:1] offset:128
	v_add3_u32 v0, v8, v6, 0x7fff
	v_or_b32_e32 v8, 0x400000, v6
	v_cndmask_b32_e32 v7, v9, v10, vcc_lo
	v_bfe_u32 v9, v5, 16, 1
	v_cmp_u_f32_e32 vcc_lo, v6, v6
	v_bfe_u32 v6, v4, 16, 1
	v_or_b32_e32 v10, 0x400000, v2
	global_store_short_d16_hi v14, v7, s[0:1] offset:160
	v_add3_u32 v7, v9, v5, 0x7fff
	v_cndmask_b32_e32 v0, v0, v8, vcc_lo
	v_or_b32_e32 v8, 0x400000, v5
	v_cmp_u_f32_e32 vcc_lo, v5, v5
	v_or_b32_e32 v9, 0x400000, v3
	global_store_short_d16_hi v14, v0, s[0:1] offset:192
	v_add3_u32 v0, v6, v4, 0x7fff
	v_or_b32_e32 v6, 0x400000, v4
	v_cndmask_b32_e32 v5, v7, v8, vcc_lo
	v_bfe_u32 v7, v1, 16, 1
	v_cmp_u_f32_e32 vcc_lo, v4, v4
	v_bfe_u32 v8, v3, 16, 1
	v_bfe_u32 v4, v2, 16, 1
	v_cndmask_b32_e32 v0, v0, v6, vcc_lo
	v_add3_u32 v6, v7, v1, 0x7fff
	v_or_b32_e32 v7, 0x400000, v1
	v_cmp_u_f32_e32 vcc_lo, v1, v1
	v_add3_u32 v8, v8, v3, 0x7fff
	v_add3_u32 v4, v4, v2, 0x7fff
	v_cndmask_b32_e32 v1, v6, v7, vcc_lo
	v_cmp_u_f32_e32 vcc_lo, v3, v3
	v_cndmask_b32_e32 v3, v8, v9, vcc_lo
	v_cmp_u_f32_e32 vcc_lo, v2, v2
	v_cndmask_b32_e32 v2, v4, v10, vcc_lo
	global_store_short_d16_hi v14, v5, s[0:1] offset:224
	global_store_short_d16_hi v14, v0, s[0:1] offset:256
	;; [unrolled: 1-line block ×5, first 2 shown]
.LBB160_104:
	s_endpgm
.LBB160_105:
	ds_read_b32 v15, v13
	s_waitcnt lgkmcnt(0)
	v_add_f32_e32 v12, v12, v15
	s_or_b32 exec_lo, exec_lo, s0
	s_and_saveexec_b32 s0, vcc_lo
	s_cbranch_execz .LBB160_73
.LBB160_106:
	ds_read_b32 v15, v13 offset:64
	s_waitcnt lgkmcnt(0)
	v_add_f32_e32 v11, v11, v15
	s_or_b32 exec_lo, exec_lo, s0
	s_and_saveexec_b32 s0, vcc_lo
	s_cbranch_execz .LBB160_74
.LBB160_107:
	ds_read_b32 v15, v13 offset:128
	s_waitcnt lgkmcnt(0)
	v_add_f32_e32 v10, v10, v15
	s_or_b32 exec_lo, exec_lo, s0
	s_and_saveexec_b32 s0, vcc_lo
	s_cbranch_execz .LBB160_75
.LBB160_108:
	ds_read_b32 v15, v13 offset:192
	s_waitcnt lgkmcnt(0)
	v_add_f32_e32 v9, v9, v15
	s_or_b32 exec_lo, exec_lo, s0
	s_and_saveexec_b32 s0, vcc_lo
	s_cbranch_execz .LBB160_76
.LBB160_109:
	ds_read_b32 v15, v13 offset:256
	s_waitcnt lgkmcnt(0)
	v_add_f32_e32 v8, v8, v15
	s_or_b32 exec_lo, exec_lo, s0
	s_and_saveexec_b32 s0, vcc_lo
	s_cbranch_execz .LBB160_77
.LBB160_110:
	ds_read_b32 v15, v13 offset:320
	s_waitcnt lgkmcnt(0)
	v_add_f32_e32 v7, v7, v15
	s_or_b32 exec_lo, exec_lo, s0
	s_and_saveexec_b32 s0, vcc_lo
	s_cbranch_execz .LBB160_78
.LBB160_111:
	ds_read_b32 v15, v13 offset:384
	s_waitcnt lgkmcnt(0)
	v_add_f32_e32 v6, v6, v15
	s_or_b32 exec_lo, exec_lo, s0
	s_and_saveexec_b32 s0, vcc_lo
	s_cbranch_execz .LBB160_79
.LBB160_112:
	ds_read_b32 v15, v13 offset:448
	s_waitcnt lgkmcnt(0)
	v_add_f32_e32 v5, v5, v15
	s_or_b32 exec_lo, exec_lo, s0
	s_and_saveexec_b32 s0, vcc_lo
	s_cbranch_execz .LBB160_80
.LBB160_113:
	ds_read_b32 v15, v13 offset:512
	s_waitcnt lgkmcnt(0)
	v_add_f32_e32 v4, v4, v15
	s_or_b32 exec_lo, exec_lo, s0
	s_and_saveexec_b32 s0, vcc_lo
	s_cbranch_execz .LBB160_81
.LBB160_114:
	ds_read_b32 v15, v13 offset:576
	s_waitcnt lgkmcnt(0)
	v_add_f32_e32 v1, v1, v15
	s_or_b32 exec_lo, exec_lo, s0
	s_and_saveexec_b32 s0, vcc_lo
	s_cbranch_execz .LBB160_82
.LBB160_115:
	ds_read_b32 v15, v13 offset:640
	s_waitcnt lgkmcnt(0)
	v_add_f32_e32 v3, v3, v15
	s_or_b32 exec_lo, exec_lo, s0
	s_and_saveexec_b32 s0, vcc_lo
	s_cbranch_execnz .LBB160_83
	s_branch .LBB160_84
.LBB160_116:
	ds_read_b32 v0, v13
	s_waitcnt lgkmcnt(0)
	v_add_f32_e32 v12, v12, v0
	s_or_b32 exec_lo, exec_lo, s0
	s_and_saveexec_b32 s0, vcc_lo
	s_cbranch_execz .LBB160_90
.LBB160_117:
	ds_read_b32 v0, v13 offset:64
	s_waitcnt lgkmcnt(0)
	v_add_f32_e32 v11, v11, v0
	s_or_b32 exec_lo, exec_lo, s0
	s_and_saveexec_b32 s0, vcc_lo
	s_cbranch_execz .LBB160_91
.LBB160_118:
	ds_read_b32 v0, v13 offset:128
	s_waitcnt lgkmcnt(0)
	v_add_f32_e32 v10, v10, v0
	s_or_b32 exec_lo, exec_lo, s0
	s_and_saveexec_b32 s0, vcc_lo
	s_cbranch_execz .LBB160_92
.LBB160_119:
	ds_read_b32 v0, v13 offset:192
	s_waitcnt lgkmcnt(0)
	v_add_f32_e32 v9, v9, v0
	s_or_b32 exec_lo, exec_lo, s0
	s_and_saveexec_b32 s0, vcc_lo
	s_cbranch_execz .LBB160_93
.LBB160_120:
	ds_read_b32 v0, v13 offset:256
	s_waitcnt lgkmcnt(0)
	v_add_f32_e32 v8, v8, v0
	s_or_b32 exec_lo, exec_lo, s0
	s_and_saveexec_b32 s0, vcc_lo
	s_cbranch_execz .LBB160_94
.LBB160_121:
	ds_read_b32 v0, v13 offset:320
	s_waitcnt lgkmcnt(0)
	v_add_f32_e32 v7, v7, v0
	s_or_b32 exec_lo, exec_lo, s0
	s_and_saveexec_b32 s0, vcc_lo
	s_cbranch_execz .LBB160_95
.LBB160_122:
	ds_read_b32 v0, v13 offset:384
	s_waitcnt lgkmcnt(0)
	v_add_f32_e32 v6, v6, v0
	s_or_b32 exec_lo, exec_lo, s0
	s_and_saveexec_b32 s0, vcc_lo
	s_cbranch_execz .LBB160_96
.LBB160_123:
	ds_read_b32 v0, v13 offset:448
	s_waitcnt lgkmcnt(0)
	v_add_f32_e32 v5, v5, v0
	s_or_b32 exec_lo, exec_lo, s0
	s_and_saveexec_b32 s0, vcc_lo
	s_cbranch_execz .LBB160_97
.LBB160_124:
	ds_read_b32 v0, v13 offset:512
	s_waitcnt lgkmcnt(0)
	v_add_f32_e32 v4, v4, v0
	s_or_b32 exec_lo, exec_lo, s0
	s_and_saveexec_b32 s0, vcc_lo
	s_cbranch_execz .LBB160_98
.LBB160_125:
	ds_read_b32 v0, v13 offset:576
	s_waitcnt lgkmcnt(0)
	v_add_f32_e32 v1, v1, v0
	s_or_b32 exec_lo, exec_lo, s0
	s_and_saveexec_b32 s0, vcc_lo
	s_cbranch_execz .LBB160_99
.LBB160_126:
	ds_read_b32 v0, v13 offset:640
	s_waitcnt lgkmcnt(0)
	v_add_f32_e32 v3, v3, v0
	s_or_b32 exec_lo, exec_lo, s0
	s_and_saveexec_b32 s0, vcc_lo
	s_cbranch_execnz .LBB160_100
	s_branch .LBB160_101
	.section	.rodata,"a",@progbits
	.p2align	6, 0x0
	.amdhsa_kernel _ZN4vllm25paged_attention_v2_kernelI14__hip_bfloat16S1_Li192ELi16ELi128ELNS_18Fp8KVCacheDataTypeE0ELb1ELi512EEEvPfS3_PT_PKS4_PKT0_SA_ifPKiSC_iPKfiiiSE_SE_iiiii
		.amdhsa_group_segment_fixed_size 416
		.amdhsa_private_segment_fixed_size 8
		.amdhsa_kernarg_size 400
		.amdhsa_user_sgpr_count 6
		.amdhsa_user_sgpr_private_segment_buffer 1
		.amdhsa_user_sgpr_dispatch_ptr 0
		.amdhsa_user_sgpr_queue_ptr 0
		.amdhsa_user_sgpr_kernarg_segment_ptr 1
		.amdhsa_user_sgpr_dispatch_id 0
		.amdhsa_user_sgpr_flat_scratch_init 0
		.amdhsa_user_sgpr_private_segment_size 0
		.amdhsa_wavefront_size32 1
		.amdhsa_uses_dynamic_stack 0
		.amdhsa_system_sgpr_private_segment_wavefront_offset 1
		.amdhsa_system_sgpr_workgroup_id_x 1
		.amdhsa_system_sgpr_workgroup_id_y 1
		.amdhsa_system_sgpr_workgroup_id_z 1
		.amdhsa_system_sgpr_workgroup_info 0
		.amdhsa_system_vgpr_workitem_id 0
		.amdhsa_next_free_vgpr 128
		.amdhsa_next_free_sgpr 52
		.amdhsa_reserve_vcc 1
		.amdhsa_reserve_flat_scratch 0
		.amdhsa_float_round_mode_32 0
		.amdhsa_float_round_mode_16_64 0
		.amdhsa_float_denorm_mode_32 3
		.amdhsa_float_denorm_mode_16_64 3
		.amdhsa_dx10_clamp 1
		.amdhsa_ieee_mode 1
		.amdhsa_fp16_overflow 0
		.amdhsa_workgroup_processor_mode 1
		.amdhsa_memory_ordered 1
		.amdhsa_forward_progress 1
		.amdhsa_shared_vgpr_count 0
		.amdhsa_exception_fp_ieee_invalid_op 0
		.amdhsa_exception_fp_denorm_src 0
		.amdhsa_exception_fp_ieee_div_zero 0
		.amdhsa_exception_fp_ieee_overflow 0
		.amdhsa_exception_fp_ieee_underflow 0
		.amdhsa_exception_fp_ieee_inexact 0
		.amdhsa_exception_int_div_zero 0
	.end_amdhsa_kernel
	.section	.text._ZN4vllm25paged_attention_v2_kernelI14__hip_bfloat16S1_Li192ELi16ELi128ELNS_18Fp8KVCacheDataTypeE0ELb1ELi512EEEvPfS3_PT_PKS4_PKT0_SA_ifPKiSC_iPKfiiiSE_SE_iiiii,"axG",@progbits,_ZN4vllm25paged_attention_v2_kernelI14__hip_bfloat16S1_Li192ELi16ELi128ELNS_18Fp8KVCacheDataTypeE0ELb1ELi512EEEvPfS3_PT_PKS4_PKT0_SA_ifPKiSC_iPKfiiiSE_SE_iiiii,comdat
.Lfunc_end160:
	.size	_ZN4vllm25paged_attention_v2_kernelI14__hip_bfloat16S1_Li192ELi16ELi128ELNS_18Fp8KVCacheDataTypeE0ELb1ELi512EEEvPfS3_PT_PKS4_PKT0_SA_ifPKiSC_iPKfiiiSE_SE_iiiii, .Lfunc_end160-_ZN4vllm25paged_attention_v2_kernelI14__hip_bfloat16S1_Li192ELi16ELi128ELNS_18Fp8KVCacheDataTypeE0ELb1ELi512EEEvPfS3_PT_PKS4_PKT0_SA_ifPKiSC_iPKfiiiSE_SE_iiiii
                                        ; -- End function
	.set _ZN4vllm25paged_attention_v2_kernelI14__hip_bfloat16S1_Li192ELi16ELi128ELNS_18Fp8KVCacheDataTypeE0ELb1ELi512EEEvPfS3_PT_PKS4_PKT0_SA_ifPKiSC_iPKfiiiSE_SE_iiiii.num_vgpr, 128
	.set _ZN4vllm25paged_attention_v2_kernelI14__hip_bfloat16S1_Li192ELi16ELi128ELNS_18Fp8KVCacheDataTypeE0ELb1ELi512EEEvPfS3_PT_PKS4_PKT0_SA_ifPKiSC_iPKfiiiSE_SE_iiiii.num_agpr, 0
	.set _ZN4vllm25paged_attention_v2_kernelI14__hip_bfloat16S1_Li192ELi16ELi128ELNS_18Fp8KVCacheDataTypeE0ELb1ELi512EEEvPfS3_PT_PKS4_PKT0_SA_ifPKiSC_iPKfiiiSE_SE_iiiii.numbered_sgpr, 52
	.set _ZN4vllm25paged_attention_v2_kernelI14__hip_bfloat16S1_Li192ELi16ELi128ELNS_18Fp8KVCacheDataTypeE0ELb1ELi512EEEvPfS3_PT_PKS4_PKT0_SA_ifPKiSC_iPKfiiiSE_SE_iiiii.num_named_barrier, 0
	.set _ZN4vllm25paged_attention_v2_kernelI14__hip_bfloat16S1_Li192ELi16ELi128ELNS_18Fp8KVCacheDataTypeE0ELb1ELi512EEEvPfS3_PT_PKS4_PKT0_SA_ifPKiSC_iPKfiiiSE_SE_iiiii.private_seg_size, 8
	.set _ZN4vllm25paged_attention_v2_kernelI14__hip_bfloat16S1_Li192ELi16ELi128ELNS_18Fp8KVCacheDataTypeE0ELb1ELi512EEEvPfS3_PT_PKS4_PKT0_SA_ifPKiSC_iPKfiiiSE_SE_iiiii.uses_vcc, 1
	.set _ZN4vllm25paged_attention_v2_kernelI14__hip_bfloat16S1_Li192ELi16ELi128ELNS_18Fp8KVCacheDataTypeE0ELb1ELi512EEEvPfS3_PT_PKS4_PKT0_SA_ifPKiSC_iPKfiiiSE_SE_iiiii.uses_flat_scratch, 0
	.set _ZN4vllm25paged_attention_v2_kernelI14__hip_bfloat16S1_Li192ELi16ELi128ELNS_18Fp8KVCacheDataTypeE0ELb1ELi512EEEvPfS3_PT_PKS4_PKT0_SA_ifPKiSC_iPKfiiiSE_SE_iiiii.has_dyn_sized_stack, 0
	.set _ZN4vllm25paged_attention_v2_kernelI14__hip_bfloat16S1_Li192ELi16ELi128ELNS_18Fp8KVCacheDataTypeE0ELb1ELi512EEEvPfS3_PT_PKS4_PKT0_SA_ifPKiSC_iPKfiiiSE_SE_iiiii.has_recursion, 0
	.set _ZN4vllm25paged_attention_v2_kernelI14__hip_bfloat16S1_Li192ELi16ELi128ELNS_18Fp8KVCacheDataTypeE0ELb1ELi512EEEvPfS3_PT_PKS4_PKT0_SA_ifPKiSC_iPKfiiiSE_SE_iiiii.has_indirect_call, 0
	.section	.AMDGPU.csdata,"",@progbits
; Kernel info:
; codeLenInByte = 15848
; TotalNumSgprs: 54
; NumVgprs: 128
; ScratchSize: 8
; MemoryBound: 0
; FloatMode: 240
; IeeeMode: 1
; LDSByteSize: 416 bytes/workgroup (compile time only)
; SGPRBlocks: 0
; VGPRBlocks: 15
; NumSGPRsForWavesPerEU: 54
; NumVGPRsForWavesPerEU: 128
; Occupancy: 8
; WaveLimiterHint : 1
; COMPUTE_PGM_RSRC2:SCRATCH_EN: 1
; COMPUTE_PGM_RSRC2:USER_SGPR: 6
; COMPUTE_PGM_RSRC2:TRAP_HANDLER: 0
; COMPUTE_PGM_RSRC2:TGID_X_EN: 1
; COMPUTE_PGM_RSRC2:TGID_Y_EN: 1
; COMPUTE_PGM_RSRC2:TGID_Z_EN: 1
; COMPUTE_PGM_RSRC2:TIDIG_COMP_CNT: 0
	.section	.text._ZN4vllm25paged_attention_v2_kernelI14__hip_bfloat16S1_Li256ELi16ELi128ELNS_18Fp8KVCacheDataTypeE0ELb1ELi512EEEvPfS3_PT_PKS4_PKT0_SA_ifPKiSC_iPKfiiiSE_SE_iiiii,"axG",@progbits,_ZN4vllm25paged_attention_v2_kernelI14__hip_bfloat16S1_Li256ELi16ELi128ELNS_18Fp8KVCacheDataTypeE0ELb1ELi512EEEvPfS3_PT_PKS4_PKT0_SA_ifPKiSC_iPKfiiiSE_SE_iiiii,comdat
	.protected	_ZN4vllm25paged_attention_v2_kernelI14__hip_bfloat16S1_Li256ELi16ELi128ELNS_18Fp8KVCacheDataTypeE0ELb1ELi512EEEvPfS3_PT_PKS4_PKT0_SA_ifPKiSC_iPKfiiiSE_SE_iiiii ; -- Begin function _ZN4vllm25paged_attention_v2_kernelI14__hip_bfloat16S1_Li256ELi16ELi128ELNS_18Fp8KVCacheDataTypeE0ELb1ELi512EEEvPfS3_PT_PKS4_PKT0_SA_ifPKiSC_iPKfiiiSE_SE_iiiii
	.globl	_ZN4vllm25paged_attention_v2_kernelI14__hip_bfloat16S1_Li256ELi16ELi128ELNS_18Fp8KVCacheDataTypeE0ELb1ELi512EEEvPfS3_PT_PKS4_PKT0_SA_ifPKiSC_iPKfiiiSE_SE_iiiii
	.p2align	8
	.type	_ZN4vllm25paged_attention_v2_kernelI14__hip_bfloat16S1_Li256ELi16ELi128ELNS_18Fp8KVCacheDataTypeE0ELb1ELi512EEEvPfS3_PT_PKS4_PKT0_SA_ifPKiSC_iPKfiiiSE_SE_iiiii,@function
_ZN4vllm25paged_attention_v2_kernelI14__hip_bfloat16S1_Li256ELi16ELi128ELNS_18Fp8KVCacheDataTypeE0ELb1ELi512EEEvPfS3_PT_PKS4_PKT0_SA_ifPKiSC_iPKfiiiSE_SE_iiiii: ; @_ZN4vllm25paged_attention_v2_kernelI14__hip_bfloat16S1_Li256ELi16ELi128ELNS_18Fp8KVCacheDataTypeE0ELb1ELi512EEEvPfS3_PT_PKS4_PKT0_SA_ifPKiSC_iPKfiiiSE_SE_iiiii
; %bb.0:
	s_mov_b64 s[50:51], s[2:3]
	s_mov_b64 s[48:49], s[0:1]
	s_load_dwordx2 s[0:1], s[4:5], 0x40
	s_add_u32 s48, s48, s9
	s_addc_u32 s49, s49, 0
	s_mov_b32 s26, s7
	s_ashr_i32 s27, s7, 31
	s_lshl_b64 s[2:3], s[26:27], 2
	s_waitcnt lgkmcnt(0)
	s_add_u32 s0, s0, s2
	s_addc_u32 s1, s1, s3
	s_lshl_b32 s38, s8, 9
	s_load_dword s27, s[0:1], 0x0
	s_waitcnt lgkmcnt(0)
	s_cmp_ge_i32 s38, s27
	s_cbranch_scc1 .LBB161_120
; %bb.1:
	s_clause 0x1
	s_load_dword s9, s[4:5], 0x90
	s_load_dwordx2 s[36:37], s[4:5], 0x30
	v_mov_b32_e32 v113, v0
	s_mov_b32 s40, 0
	s_waitcnt lgkmcnt(0)
	s_abs_i32 s3, s9
	s_abs_i32 s0, s36
	v_cvt_f32_u32_e32 v0, s0
	s_sub_i32 s2, 0, s0
	v_rcp_iflag_f32_e32 v0, v0
	v_mul_f32_e32 v0, 0x4f7ffffe, v0
	v_cvt_u32_f32_e32 v0, v0
	v_readfirstlane_b32 s1, v0
	s_mul_i32 s2, s2, s1
	s_mul_hi_u32 s2, s1, s2
	s_add_i32 s1, s1, s2
	s_xor_b32 s2, s9, s36
	s_mul_hi_u32 s1, s3, s1
	s_ashr_i32 s2, s2, 31
	s_mul_i32 s7, s1, s0
	s_sub_i32 s3, s3, s7
	s_add_i32 s7, s1, 1
	s_sub_i32 s10, s3, s0
	s_cmp_ge_u32 s3, s0
	s_cselect_b32 s1, s7, s1
	s_cselect_b32 s3, s10, s3
	s_add_i32 s7, s1, 1
	s_cmp_ge_u32 s3, s0
	s_cselect_b32 s0, s7, s1
	s_xor_b32 s0, s0, s2
	s_sub_i32 s10, s0, s2
	s_load_dwordx2 s[0:1], s[4:5], 0x50
	s_abs_i32 s2, s10
	v_cvt_f32_u32_e32 v0, s2
	s_sub_i32 s3, 0, s2
	v_rcp_iflag_f32_e32 v0, v0
	v_mul_f32_e32 v0, 0x4f7ffffe, v0
	v_cvt_u32_f32_e32 v0, v0
	v_readfirstlane_b32 s7, v0
	s_mul_i32 s3, s3, s7
	s_mul_hi_u32 s11, s7, s3
	s_abs_i32 s3, s6
	s_add_i32 s7, s7, s11
	s_waitcnt lgkmcnt(0)
	s_cmp_eq_u64 s[0:1], 0
	s_mul_hi_u32 s20, s3, s7
	s_cbranch_scc1 .LBB161_3
; %bb.2:
	s_ashr_i32 s7, s6, 31
	s_lshl_b64 s[12:13], s[6:7], 2
	s_add_u32 s0, s0, s12
	s_addc_u32 s1, s1, s13
	s_load_dword s40, s[0:1], 0x0
.LBB161_3:
	s_load_dwordx4 s[12:15], s[4:5], 0x58
	v_lshrrev_b32_e32 v112, 1, v113
	v_and_b32_e32 v0, 1, v113
	v_cmp_gt_u32_e64 s0, 64, v113
	v_lshlrev_b32_e32 v12, 3, v113
	s_ashr_i32 s1, s6, 31
	s_ashr_i32 s7, s10, 31
	s_lshl_b32 s10, s6, 8
	buffer_store_dword v0, off, s[48:51], 0 offset:52 ; 4-byte Folded Spill
	s_waitcnt lgkmcnt(0)
	s_and_saveexec_b32 s15, s0
	s_cbranch_execz .LBB161_5
; %bb.4:
	s_load_dwordx2 s[16:17], s[4:5], 0x18
	s_mul_i32 s18, s12, s26
	v_lshlrev_b32_e32 v2, 3, v112
	s_ashr_i32 s19, s18, 31
	v_and_b32_e32 v3, 1, v113
	s_lshl_b64 s[18:19], s[18:19], 1
	v_lshl_add_u32 v2, v3, 8, v2
	s_waitcnt lgkmcnt(0)
	s_add_u32 s12, s16, s18
	s_addc_u32 s18, s17, s19
	s_ashr_i32 s11, s10, 31
	s_lshl_b64 s[16:17], s[10:11], 1
	s_add_u32 s16, s12, s16
	s_addc_u32 s17, s18, s17
	global_load_dwordx2 v[0:1], v12, s[16:17]
	s_waitcnt vmcnt(0)
	ds_write_b64 v2, v[0:1]
.LBB161_5:
	s_or_b32 exec_lo, exec_lo, s15
	s_load_dwordx4 s[16:19], s[4:5], 0x78
	s_mul_i32 s11, s20, s2
	s_xor_b32 s1, s1, s7
	s_sub_i32 s3, s3, s11
	s_add_i32 s7, s20, 1
	s_sub_i32 s11, s3, s2
	s_cmp_ge_u32 s3, s2
                                        ; implicit-def: $sgpr33
	s_cselect_b32 s7, s7, s20
	s_cselect_b32 s3, s11, s3
	s_add_i32 s11, s7, 1
	s_cmp_ge_u32 s3, s2
	s_mov_b32 s20, -1
	s_cselect_b32 s2, s11, s7
	s_load_dword s7, s[4:5], 0x88
	s_xor_b32 s2, s2, s1
	s_add_i32 s15, s27, -1
	s_sub_i32 s2, s2, s1
	s_abs_i32 s3, s15
	s_waitcnt lgkmcnt(0)
	s_waitcnt_vscnt null, 0x0
	s_abs_i32 s11, s19
	s_barrier
	v_cvt_f32_u32_e32 v0, s11
	s_sub_i32 s1, 0, s11
	buffer_gl0_inv
	v_rcp_iflag_f32_e32 v0, v0
	v_mul_f32_e32 v0, 0x4f7ffffe, v0
	v_cvt_u32_f32_e32 v0, v0
	v_readfirstlane_b32 s12, v0
	s_mul_i32 s1, s1, s12
	s_mul_hi_u32 s1, s12, s1
	s_add_i32 s12, s12, s1
	s_cmp_lt_i32 s7, 0
	s_mul_hi_u32 s1, s3, s12
	s_cbranch_scc0 .LBB161_7
; %bb.6:
	s_mul_i32 s20, s16, s36
	s_add_i32 s20, s2, s20
	s_mul_i32 s20, s20, s7
	s_sub_i32 s33, 1, s20
	s_mov_b32 s20, 0
.LBB161_7:
	s_load_dwordx2 s[28:29], s[4:5], 0x38
	s_ashr_i32 s15, s15, 31
	s_andn2_b32 vcc_lo, exec_lo, s20
	s_ashr_i32 s19, s19, 31
	s_cbranch_vccnz .LBB161_9
; %bb.8:
	s_mul_i32 s16, s9, s16
	s_add_i32 s16, s16, s6
	s_mul_i32 s7, s16, s7
	s_add_i32 s33, s7, 1
.LBB161_9:
	s_clause 0x4
	s_load_dword s16, s[4:5], 0x48
	s_load_dwordx2 s[34:35], s[4:5], 0x28
	s_load_dword s7, s[4:5], 0x98
	s_load_dwordx4 s[20:23], s[4:5], 0x0
	s_load_dwordx2 s[24:25], s[4:5], 0x10
	s_mul_i32 s30, s1, s11
	s_xor_b32 s15, s15, s19
	s_sub_i32 s3, s3, s30
	s_add_i32 s36, s1, 1
	v_lshrrev_b32_e32 v0, 5, v113
	v_mov_b32_e32 v3, 0xff7fffff
	s_mul_i32 s14, s2, s14
	v_lshl_add_u32 v114, v0, 4, s38
	buffer_store_dword v0, off, s[48:51], 0 offset:48 ; 4-byte Folded Spill
	s_waitcnt lgkmcnt(0)
	s_mul_i32 s30, s16, s26
	s_sub_i32 s16, s3, s11
	s_ashr_i32 s31, s30, 31
	s_cmp_ge_u32 s3, s11
	s_cselect_b32 s1, s36, s1
	s_cselect_b32 s3, s16, s3
	s_add_i32 s16, s1, 1
	s_cmp_ge_u32 s3, s11
	s_cselect_b32 s1, s16, s1
	s_add_i32 s3, s27, 15
	s_lshl_b32 s41, s8, 5
	s_ashr_i32 s16, s3, 31
	v_or_b32_e32 v115, s41, v0
	s_lshr_b32 s16, s16, 28
	s_add_i32 s3, s3, s16
	s_add_i32 s16, s41, 32
	s_ashr_i32 s36, s3, 4
	s_xor_b32 s3, s1, s15
	s_min_i32 s16, s16, s36
	v_ashrrev_i32_e32 v116, 31, v115
	v_cmp_gt_i32_e64 s1, s16, v115
	s_sub_i32 s39, s3, s15
	s_and_saveexec_b32 s42, s1
	s_cbranch_execz .LBB161_21
; %bb.10:
	buffer_load_dword v6, off, s[48:51], 0 offset:48 ; 4-byte Folded Reload
	s_load_dwordx2 s[2:3], s[4:5], 0x20
	s_ashr_i32 s15, s14, 31
	s_sub_i32 s5, s39, s17
	s_lshl_b64 s[44:45], s[14:15], 1
	v_bfe_u32 v8, v113, 1, 4
	v_mbcnt_lo_u32_b32 v5, -1, 0
	v_and_b32_e32 v3, 8, v12
	buffer_store_dword v113, off, s[48:51], 0 offset:56 ; 4-byte Folded Spill
	v_mov_b32_e32 v7, 0xff7fffff
	v_lshlrev_b32_e32 v4, 2, v8
	v_xor_b32_e32 v5, 1, v5
	buffer_store_dword v12, off, s[48:51], 0 offset:60 ; 4-byte Folded Spill
	buffer_store_dword v8, off, s[48:51], 0 offset:40 ; 4-byte Folded Spill
	;; [unrolled: 1-line block ×4, first 2 shown]
	v_subrev_nc_u32_e32 v5, s27, v8
	s_waitcnt lgkmcnt(0)
	s_add_u32 s4, s2, s44
	s_addc_u32 s3, s3, s45
	s_abs_i32 s15, s18
	v_add_nc_u32_e32 v5, 1, v5
	v_cvt_f32_u32_e32 v0, s15
	s_sub_i32 s43, 0, s15
	s_lshl_b64 s[44:45], s[30:31], 2
	v_cmp_neq_f32_e64 s2, s40, 0
	buffer_store_dword v5, off, s[48:51], 0 offset:44 ; 4-byte Folded Spill
	v_rcp_iflag_f32_e32 v2, v0
	v_and_b32_e32 v0, 1, v113
	v_mov_b32_e32 v113, v115
	v_cmp_eq_u32_e32 vcc_lo, 0, v0
	v_lshlrev_b32_e32 v0, 8, v0
	v_mul_f32_e32 v2, 0x4f7ffffe, v2
	buffer_store_dword v0, off, s[48:51], 0 offset:24 ; 4-byte Folded Spill
	v_lshlrev_b64 v[0:1], 2, v[115:116]
	v_cvt_u32_f32_e32 v2, v2
	s_waitcnt vmcnt(0)
	v_lshl_or_b32 v4, v6, 6, v4
	v_lshl_add_u32 v106, v6, 4, s38
	v_lshlrev_b32_e32 v6, 4, v8
	v_add_nc_u32_e32 v37, 0x220, v4
	v_mul_lo_u32 v4, s43, v2
	v_add_co_u32 v5, s4, s4, v6
	v_add_co_ci_u32_e64 v6, null, s3, 0, s4
	s_add_u32 s3, s28, s44
	s_addc_u32 s4, s29, s45
	v_add_co_u32 v29, s3, s3, v0
	v_mul_hi_u32 v4, v2, v4
	v_add_co_ci_u32_e64 v30, null, s4, v1, s3
	v_add_co_u32 v0, s3, v5, v3
	s_mov_b32 s43, 0
	s_mov_b32 s44, s13
	buffer_store_dword v0, off, s[48:51], 0 offset:28 ; 4-byte Folded Spill
	v_add_co_ci_u32_e64 v0, null, 0, v6, s3
	v_add_nc_u32_e32 v38, v2, v4
	buffer_store_dword v0, off, s[48:51], 0 offset:32 ; 4-byte Folded Spill
	buffer_store_dword v114, off, s[48:51], 0 offset:12 ; 4-byte Folded Spill
	;; [unrolled: 1-line block ×4, first 2 shown]
	s_branch .LBB161_13
.LBB161_11:                             ;   in Loop: Header=BB161_13 Depth=1
	s_or_b32 exec_lo, exec_lo, s45
	s_clause 0x2
	buffer_load_dword v114, off, s[48:51], 0 offset:12
	buffer_load_dword v115, off, s[48:51], 0 offset:16
	;; [unrolled: 1-line block ×3, first 2 shown]
.LBB161_12:                             ;   in Loop: Header=BB161_13 Depth=1
	s_or_b32 exec_lo, exec_lo, s4
	v_add_nc_u32_e32 v113, 4, v113
	v_add_co_u32 v29, s4, v29, 16
	v_add_co_ci_u32_e64 v30, null, 0, v30, s4
	v_cmp_le_i32_e64 s3, s16, v113
	v_add_nc_u32_e32 v106, 64, v106
	v_add_nc_u32_e32 v37, 0x100, v37
	s_or_b32 s43, s3, s43
	s_andn2_b32 exec_lo, exec_lo, s43
	s_cbranch_execz .LBB161_20
.LBB161_13:                             ; =>This Inner Loop Header: Depth=1
	v_sub_nc_u32_e32 v0, 0, v106
	v_max_i32_e32 v0, v106, v0
	s_waitcnt lgkmcnt(0)
	v_mul_hi_u32 v1, v0, s12
	v_mul_lo_u32 v2, v1, s11
	v_sub_nc_u32_e32 v0, v0, v2
	v_add_nc_u32_e32 v2, 1, v1
	v_subrev_nc_u32_e32 v3, s11, v0
	v_cmp_le_u32_e64 s3, s11, v0
	v_cndmask_b32_e64 v1, v1, v2, s3
	v_cndmask_b32_e64 v0, v0, v3, s3
	v_ashrrev_i32_e32 v2, 31, v106
	v_add_nc_u32_e32 v3, 1, v1
	v_cmp_le_u32_e64 s3, s11, v0
	v_xor_b32_e32 v2, s19, v2
	v_cndmask_b32_e64 v0, v1, v3, s3
	v_xor_b32_e32 v0, v0, v2
	v_sub_nc_u32_e32 v0, v0, v2
	v_add_nc_u32_e32 v1, s33, v0
	v_cmp_ge_i32_e64 s4, s5, v0
	v_sub_nc_u32_e32 v2, 0, v1
	v_max_i32_e32 v2, v1, v2
	v_ashrrev_i32_e32 v1, 31, v1
	v_mul_hi_u32 v3, v2, v38
	v_mul_lo_u32 v3, v3, s15
	v_sub_nc_u32_e32 v2, v2, v3
	v_subrev_nc_u32_e32 v3, s15, v2
	v_cmp_le_u32_e64 s3, s15, v2
	v_cndmask_b32_e64 v2, v2, v3, s3
	v_subrev_nc_u32_e32 v3, s15, v2
	v_cmp_le_u32_e64 s3, s15, v2
	v_cndmask_b32_e64 v2, v2, v3, s3
	v_xor_b32_e32 v2, v2, v1
	v_sub_nc_u32_e32 v1, v2, v1
	v_cmp_ne_u32_e64 s3, 0, v1
	s_and_b32 s3, s3, s4
	s_and_saveexec_b32 s4, s3
	s_xor_b32 s3, exec_lo, s4
	s_cbranch_execz .LBB161_17
; %bb.14:                               ;   in Loop: Header=BB161_13 Depth=1
	s_and_saveexec_b32 s4, vcc_lo
; %bb.15:                               ;   in Loop: Header=BB161_13 Depth=1
	v_mov_b32_e32 v0, 0xff7fffff
	ds_write_b32 v37, v0
; %bb.16:                               ;   in Loop: Header=BB161_13 Depth=1
	s_or_b32 exec_lo, exec_lo, s4
.LBB161_17:                             ;   in Loop: Header=BB161_13 Depth=1
	s_andn2_saveexec_b32 s4, s3
	s_cbranch_execz .LBB161_12
; %bb.18:                               ;   in Loop: Header=BB161_13 Depth=1
	global_load_dword v0, v[29:30], off
	s_clause 0x1
	buffer_load_dword v2, off, s[48:51], 0 offset:28
	buffer_load_dword v109, off, s[48:51], 0 offset:24
	v_mbcnt_lo_u32_b32 v33, -1, 0
	s_waitcnt vmcnt(2)
	v_mad_i64_i32 v[0:1], null, v0, s44, 0
	v_lshlrev_b64 v[0:1], 1, v[0:1]
	s_waitcnt vmcnt(1)
	v_add_co_u32 v31, s3, v2, v0
	buffer_load_dword v0, off, s[48:51], 0 offset:32 ; 4-byte Folded Reload
	s_waitcnt vmcnt(1)
	ds_read_b128 v[25:28], v109
	ds_read_b128 v[21:24], v109 offset:16
	ds_read_b128 v[17:20], v109 offset:32
	;; [unrolled: 1-line block ×3, first 2 shown]
	buffer_load_dword v34, off, s[48:51], 0 offset:36 ; 4-byte Folded Reload
	ds_read_b128 v[13:16], v109 offset:64
	ds_read_b128 v[5:8], v109 offset:80
	s_waitcnt lgkmcnt(5)
	v_lshlrev_b32_e32 v103, 16, v27
	v_and_b32_e32 v27, 0xffff0000, v27
	v_lshlrev_b32_e32 v102, 16, v25
	s_waitcnt lgkmcnt(2)
	v_lshlrev_b32_e32 v127, 16, v9
	v_and_b32_e32 v25, 0xffff0000, v25
	v_lshlrev_b32_e32 v111, 16, v28
	;; [unrolled: 4-line block ×3, first 2 shown]
	v_lshlrev_b32_e32 v118, 16, v6
	v_lshlrev_b32_e32 v117, 16, v7
	v_and_b32_e32 v105, 0xffff0000, v7
	v_and_b32_e32 v28, 0xffff0000, v28
	v_lshlrev_b32_e32 v110, 16, v26
	v_and_b32_e32 v26, 0xffff0000, v26
	v_lshlrev_b32_e32 v107, 16, v22
	;; [unrolled: 2-line block ×15, first 2 shown]
	v_and_b32_e32 v16, 0xffff0000, v16
	s_waitcnt vmcnt(1)
	v_add_co_ci_u32_e64 v32, null, v0, v1, s3
	s_waitcnt vmcnt(0)
	v_cmp_gt_i32_e64 s3, 32, v34
	ds_read_b128 v[1:4], v109 offset:96
	s_clause 0x7
	global_load_dwordx2 v[95:96], v[31:32], off
	global_load_dwordx2 v[93:94], v[31:32], off offset:256
	global_load_dwordx2 v[91:92], v[31:32], off offset:512
	;; [unrolled: 1-line block ×7, first 2 shown]
	v_lshlrev_b32_e32 v0, 16, v21
	v_cndmask_b32_e64 v112, v33, v34, s3
	v_add_co_u32 v33, s3, 0x800, v31
	v_add_co_ci_u32_e64 v34, null, 0, v32, s3
	v_add_co_u32 v35, s3, v31, 0x1000
	v_add_co_ci_u32_e64 v36, null, 0, v32, s3
	s_clause 0x7
	global_load_dwordx2 v[79:80], v[35:36], off offset:-2048
	global_load_dwordx2 v[77:78], v[33:34], off offset:256
	global_load_dwordx2 v[75:76], v[33:34], off offset:512
	;; [unrolled: 1-line block ×7, first 2 shown]
	v_add_co_u32 v33, s3, 0x1000, v31
	v_add_co_ci_u32_e64 v34, null, 0, v32, s3
	v_add_co_u32 v31, s3, 0x1800, v31
	v_add_co_ci_u32_e64 v32, null, 0, v32, s3
	s_clause 0xe
	global_load_dwordx2 v[61:62], v[35:36], off
	global_load_dwordx2 v[59:60], v[33:34], off offset:256
	global_load_dwordx2 v[57:58], v[33:34], off offset:512
	;; [unrolled: 1-line block ×7, first 2 shown]
	global_load_dwordx2 v[45:46], v[31:32], off
	global_load_dwordx2 v[43:44], v[31:32], off offset:256
	global_load_dwordx2 v[41:42], v[31:32], off offset:512
	;; [unrolled: 1-line block ×6, first 2 shown]
	v_and_b32_e32 v21, 0xffff0000, v21
	s_waitcnt lgkmcnt(0)
	v_lshlrev_b32_e32 v115, 16, v1
	v_and_b32_e32 v1, 0xffff0000, v1
	v_lshlrev_b32_e32 v114, 16, v2
	v_and_b32_e32 v2, 0xffff0000, v2
	v_lshlrev_b32_e32 v112, 2, v112
	s_waitcnt vmcnt(0)
	buffer_store_dword v73, off, s[48:51], 0 ; 4-byte Folded Spill
	buffer_store_dword v74, off, s[48:51], 0 offset:4 ; 4-byte Folded Spill
	v_and_b32_e32 v73, 0xffff0000, v9
	v_lshlrev_b32_e32 v8, 16, v93
	v_and_b32_e32 v9, 0xffff0000, v93
	v_and_b32_e32 v74, 0xffff0000, v5
	;; [unrolled: 1-line block ×3, first 2 shown]
	v_lshlrev_b32_e32 v6, 16, v95
	v_and_b32_e32 v7, 0xffff0000, v95
	v_mul_f32_e32 v8, v103, v8
	v_mul_f32_e32 v9, v27, v9
	v_lshlrev_b32_e32 v95, 16, v96
	v_and_b32_e32 v96, 0xffff0000, v96
	global_load_dwordx2 v[31:32], v[31:32], off offset:1792
	v_fmac_f32_e32 v8, v102, v6
	v_fmac_f32_e32 v9, v25, v7
	v_lshlrev_b32_e32 v6, 16, v94
	v_and_b32_e32 v25, 0xffff0000, v94
	v_mul_f32_e32 v7, v111, v6
	v_mul_f32_e32 v6, v28, v25
	v_lshlrev_b32_e32 v25, 16, v91
	v_fmac_f32_e32 v7, v110, v95
	v_fmac_f32_e32 v6, v26, v96
	v_and_b32_e32 v26, 0xffff0000, v91
	v_fmac_f32_e32 v8, v0, v25
	v_lshlrev_b32_e32 v0, 16, v92
	v_fmac_f32_e32 v9, v21, v26
	v_and_b32_e32 v21, 0xffff0000, v92
	v_fmac_f32_e32 v7, v107, v0
	v_lshlrev_b32_e32 v0, 16, v89
	;; [unrolled: 4-line block ×19, first 2 shown]
	v_and_b32_e32 v10, 0xffff0000, v65
	v_fmac_f32_e32 v9, v105, v5
	v_and_b32_e32 v5, 0xffff0000, v72
	v_fmac_f32_e32 v7, v116, v0
	v_lshlrev_b32_e32 v0, 16, v69
	v_fmac_f32_e32 v6, v100, v5
	v_and_b32_e32 v5, 0xffff0000, v69
	v_fmac_f32_e32 v8, v115, v0
	v_lshlrev_b32_e32 v0, 16, v70
	;; [unrolled: 4-line block ×3, first 2 shown]
	v_lshlrev_b32_e32 v5, 16, v65
	v_fmac_f32_e32 v6, v2, v1
	v_and_b32_e32 v1, 0xffff0000, v3
	v_lshlrev_b32_e32 v2, 16, v67
	v_and_b32_e32 v3, 0xffff0000, v67
	v_fmac_f32_e32 v8, v2, v0
	v_fmac_f32_e32 v9, v3, v1
	v_lshlrev_b32_e32 v0, 16, v4
	v_and_b32_e32 v1, 0xffff0000, v4
	v_lshlrev_b32_e32 v2, 16, v68
	v_and_b32_e32 v3, 0xffff0000, v68
	v_fmac_f32_e32 v7, v2, v0
	v_fmac_f32_e32 v6, v3, v1
	ds_read_b128 v[0:3], v109 offset:112
	s_waitcnt lgkmcnt(0)
	v_lshlrev_b32_e32 v4, 16, v0
	v_and_b32_e32 v0, 0xffff0000, v0
	v_fmac_f32_e32 v8, v5, v4
	v_fmac_f32_e32 v9, v10, v0
	v_lshlrev_b32_e32 v0, 16, v1
	v_and_b32_e32 v1, 0xffff0000, v1
	v_lshlrev_b32_e32 v4, 16, v66
	v_and_b32_e32 v5, 0xffff0000, v66
	v_and_b32_e32 v10, 0xffff0000, v61
	v_fmac_f32_e32 v7, v4, v0
	v_fmac_f32_e32 v6, v5, v1
	v_lshlrev_b32_e32 v0, 16, v2
	v_and_b32_e32 v1, 0xffff0000, v2
	v_lshlrev_b32_e32 v2, 16, v63
	v_and_b32_e32 v4, 0xffff0000, v63
	v_lshlrev_b32_e32 v5, 16, v61
	v_fmac_f32_e32 v8, v2, v0
	v_fmac_f32_e32 v9, v4, v1
	v_lshlrev_b32_e32 v0, 16, v3
	v_and_b32_e32 v1, 0xffff0000, v3
	v_lshlrev_b32_e32 v2, 16, v64
	v_and_b32_e32 v3, 0xffff0000, v64
	v_fmac_f32_e32 v7, v2, v0
	v_fmac_f32_e32 v6, v3, v1
	ds_read_b128 v[0:3], v109 offset:128
	s_waitcnt lgkmcnt(0)
	v_lshlrev_b32_e32 v4, 16, v0
	v_and_b32_e32 v0, 0xffff0000, v0
	v_fmac_f32_e32 v8, v5, v4
	v_fmac_f32_e32 v9, v10, v0
	v_lshlrev_b32_e32 v0, 16, v1
	v_and_b32_e32 v1, 0xffff0000, v1
	v_lshlrev_b32_e32 v4, 16, v62
	v_and_b32_e32 v5, 0xffff0000, v62
	v_and_b32_e32 v10, 0xffff0000, v57
	v_fmac_f32_e32 v7, v4, v0
	v_fmac_f32_e32 v6, v5, v1
	v_lshlrev_b32_e32 v0, 16, v2
	v_and_b32_e32 v1, 0xffff0000, v2
	v_lshlrev_b32_e32 v2, 16, v59
	v_and_b32_e32 v4, 0xffff0000, v59
	v_lshlrev_b32_e32 v5, 16, v57
	;; [unrolled: 26-line block ×7, first 2 shown]
	v_fmac_f32_e32 v8, v2, v0
	v_fmac_f32_e32 v9, v4, v1
	v_lshlrev_b32_e32 v0, 16, v3
	v_and_b32_e32 v1, 0xffff0000, v3
	v_lshlrev_b32_e32 v2, 16, v40
	v_and_b32_e32 v3, 0xffff0000, v40
	v_fmac_f32_e32 v7, v2, v0
	v_fmac_f32_e32 v6, v3, v1
	ds_read_b128 v[0:3], v109 offset:224
	s_waitcnt lgkmcnt(0)
	v_lshlrev_b32_e32 v4, 16, v0
	v_and_b32_e32 v0, 0xffff0000, v0
	v_fmac_f32_e32 v8, v5, v4
	v_fmac_f32_e32 v9, v10, v0
	v_lshlrev_b32_e32 v0, 16, v1
	v_and_b32_e32 v1, 0xffff0000, v1
	v_lshlrev_b32_e32 v4, 16, v34
	v_and_b32_e32 v5, 0xffff0000, v34
	v_fmac_f32_e32 v7, v4, v0
	v_fmac_f32_e32 v6, v5, v1
	v_lshlrev_b32_e32 v0, 16, v2
	v_and_b32_e32 v1, 0xffff0000, v2
	;; [unrolled: 6-line block ×3, first 2 shown]
	v_lshlrev_b32_e32 v2, 16, v36
	v_and_b32_e32 v3, 0xffff0000, v36
	v_fmac_f32_e32 v7, v2, v0
	v_fmac_f32_e32 v6, v3, v1
	ds_read_b128 v[1:4], v109 offset:240
	s_clause 0x1
	buffer_load_dword v10, off, s[48:51], 0
	buffer_load_dword v11, off, s[48:51], 0 offset:4
	s_waitcnt lgkmcnt(0)
	v_lshlrev_b32_e32 v0, 16, v1
	v_and_b32_e32 v1, 0xffff0000, v1
	s_waitcnt vmcnt(1)
	v_lshlrev_b32_e32 v5, 16, v10
	v_and_b32_e32 v10, 0xffff0000, v10
	v_fmac_f32_e32 v8, v5, v0
	v_fmac_f32_e32 v9, v10, v1
	v_lshlrev_b32_e32 v0, 16, v2
	v_and_b32_e32 v1, 0xffff0000, v2
	s_waitcnt vmcnt(0)
	v_lshlrev_b32_e32 v2, 16, v11
	v_and_b32_e32 v5, 0xffff0000, v11
	v_fmac_f32_e32 v7, v2, v0
	v_fmac_f32_e32 v6, v5, v1
	v_lshlrev_b32_e32 v0, 16, v3
	v_and_b32_e32 v1, 0xffff0000, v3
	v_lshlrev_b32_e32 v2, 16, v31
	v_and_b32_e32 v3, 0xffff0000, v31
	v_fmac_f32_e32 v8, v2, v0
	v_fmac_f32_e32 v9, v3, v1
	v_lshlrev_b32_e32 v0, 16, v4
	v_lshlrev_b32_e32 v2, 16, v32
	v_and_b32_e32 v1, 0xffff0000, v4
	v_and_b32_e32 v3, 0xffff0000, v32
	v_fmac_f32_e32 v7, v2, v0
	v_add_f32_e32 v0, v8, v9
	v_fmac_f32_e32 v6, v3, v1
	v_add_f32_e32 v0, v0, v7
	v_add_f32_e32 v0, v6, v0
	ds_bpermute_b32 v1, v112, v0
	s_and_saveexec_b32 s45, vcc_lo
	s_cbranch_execz .LBB161_11
; %bb.19:                               ;   in Loop: Header=BB161_13 Depth=1
	buffer_load_dword v2, off, s[48:51], 0 offset:44 ; 4-byte Folded Reload
	s_waitcnt lgkmcnt(0)
	v_add_f32_e32 v0, v0, v1
	buffer_load_dword v3, off, s[48:51], 0 offset:8 ; 4-byte Folded Reload
	s_waitcnt vmcnt(1)
	v_add_nc_u32_e32 v2, v2, v106
	v_cvt_f32_i32_e32 v2, v2
	v_mul_f32_e32 v2, s40, v2
	v_cndmask_b32_e64 v1, 0, v2, s2
	v_fmac_f32_e32 v1, s37, v0
	buffer_load_dword v0, off, s[48:51], 0 offset:40 ; 4-byte Folded Reload
	s_waitcnt vmcnt(1)
	v_max_f32_e32 v2, v3, v3
	v_max_f32_e32 v2, v2, v1
	s_waitcnt vmcnt(0)
	v_add_nc_u32_e32 v0, v0, v106
	v_cmp_gt_i32_e64 s3, s27, v0
	v_cndmask_b32_e64 v0, 0, v1, s3
	v_cndmask_b32_e64 v3, v3, v2, s3
	ds_write_b32 v37, v0
	buffer_store_dword v3, off, s[48:51], 0 offset:8 ; 4-byte Folded Spill
	s_branch .LBB161_11
.LBB161_20:
	s_or_b32 exec_lo, exec_lo, s43
	s_clause 0x2
	buffer_load_dword v113, off, s[48:51], 0 offset:56
	buffer_load_dword v12, off, s[48:51], 0 offset:60
	buffer_load_dword v3, off, s[48:51], 0 offset:8
	s_waitcnt vmcnt(2)
	v_lshrrev_b32_e32 v112, 1, v113
.LBB161_21:
	s_or_b32 exec_lo, exec_lo, s42
	v_mbcnt_lo_u32_b32 v6, -1, 0
	v_and_b32_e32 v76, 31, v113
	v_xor_b32_e32 v0, 16, v6
	s_waitcnt lgkmcnt(0)
	v_xor_b32_e32 v1, 8, v6
	v_cmp_gt_i32_e32 vcc_lo, 32, v0
	v_cndmask_b32_e32 v0, v6, v0, vcc_lo
	v_cmp_gt_i32_e32 vcc_lo, 32, v1
	v_lshlrev_b32_e32 v2, 2, v0
	v_cndmask_b32_e32 v1, v6, v1, vcc_lo
	s_waitcnt vmcnt(0)
	ds_bpermute_b32 v0, v2, v3
	v_max_f32_e32 v3, v3, v3
	v_lshlrev_b32_e32 v4, 2, v1
	s_waitcnt lgkmcnt(0)
	v_max_f32_e32 v0, v0, v0
	v_max_f32_e32 v0, v3, v0
	v_xor_b32_e32 v3, 4, v6
	ds_bpermute_b32 v1, v4, v0
	v_cmp_gt_i32_e32 vcc_lo, 32, v3
	v_cndmask_b32_e32 v3, v6, v3, vcc_lo
	v_lshlrev_b32_e32 v5, 2, v3
	v_xor_b32_e32 v3, 2, v6
	v_cmp_gt_i32_e32 vcc_lo, 32, v3
	s_waitcnt lgkmcnt(0)
	v_max_f32_e32 v1, v1, v1
	v_cndmask_b32_e32 v3, v6, v3, vcc_lo
	buffer_load_dword v6, off, s[48:51], 0 offset:48 ; 4-byte Folded Reload
	v_cmp_eq_u32_e32 vcc_lo, 0, v76
	v_max_f32_e32 v0, v0, v1
	ds_bpermute_b32 v1, v5, v0
	s_waitcnt lgkmcnt(0)
	v_max_f32_e32 v1, v1, v1
	v_max_f32_e32 v0, v0, v1
	v_lshlrev_b32_e32 v1, 2, v3
	ds_bpermute_b32 v3, v1, v0
	s_waitcnt vmcnt(0)
	v_lshlrev_b32_e32 v6, 2, v6
	s_and_saveexec_b32 s2, vcc_lo
	s_cbranch_execz .LBB161_23
; %bb.22:
	s_waitcnt lgkmcnt(0)
	v_max_f32_e32 v3, v3, v3
	v_max_f32_e32 v0, v0, v0
	;; [unrolled: 1-line block ×3, first 2 shown]
	ds_write_b32 v6, v0 offset:512
.LBB161_23:
	s_or_b32 exec_lo, exec_lo, s2
	v_cmp_gt_u32_e64 s2, 4, v76
	v_mov_b32_e32 v0, 0xff7fffff
	v_lshlrev_b32_e32 v7, 2, v76
	s_waitcnt lgkmcnt(0)
	s_waitcnt_vscnt null, 0x0
	s_barrier
	buffer_gl0_inv
	s_and_saveexec_b32 s3, s2
; %bb.24:
	ds_read_b32 v0, v7 offset:512
; %bb.25:
	s_or_b32 exec_lo, exec_lo, s3
	s_waitcnt lgkmcnt(0)
	ds_bpermute_b32 v3, v1, v0
	v_mbcnt_lo_u32_b32 v9, -1, 0
	v_max_f32_e32 v0, v0, v0
	v_xor_b32_e32 v8, 1, v9
	v_cmp_gt_i32_e64 s3, 32, v8
	v_cndmask_b32_e64 v8, v9, v8, s3
	s_sub_i32 s3, s16, s41
	s_lshl_b32 s3, s3, 4
	s_waitcnt lgkmcnt(0)
	v_max_f32_e32 v3, v3, v3
	v_lshlrev_b32_e32 v77, 2, v8
	v_mov_b32_e32 v8, 0
	s_add_i32 s3, s3, s38
	s_min_i32 s3, s3, s27
	v_max_f32_e32 v0, v0, v3
	s_sub_i32 s5, s3, s38
	v_cmp_gt_i32_e64 s3, s5, v113
	ds_bpermute_b32 v3, v77, v0
	s_waitcnt lgkmcnt(0)
	v_max_f32_e32 v3, v3, v3
	v_max_f32_e32 v0, v0, v3
	v_lshl_add_u32 v3, v113, 2, 0x220
	ds_bpermute_b32 v0, v8, v0
	s_and_saveexec_b32 s15, s3
	s_cbranch_execz .LBB161_29
; %bb.26:
	v_lshl_add_u32 v9, v113, 2, 0x220
	v_mov_b32_e32 v8, 0
	v_mov_b32_e32 v10, v113
	s_mov_b32 s37, 0
	.p2align	6
.LBB161_27:                             ; =>This Inner Loop Header: Depth=1
	ds_read_b32 v11, v9
	v_add_nc_u32_e32 v10, 0x80, v10
	v_cmp_le_i32_e64 s4, s5, v10
	s_or_b32 s37, s4, s37
	s_waitcnt lgkmcnt(0)
	v_sub_f32_e32 v11, v11, v0
	v_mul_f32_e32 v11, 0x3fb8aa3b, v11
	v_exp_f32_e32 v11, v11
	ds_write_b32 v9, v11
	v_add_f32_e32 v8, v8, v11
	v_add_nc_u32_e32 v9, 0x200, v9
	s_andn2_b32 exec_lo, exec_lo, s37
	s_cbranch_execnz .LBB161_27
; %bb.28:
	s_or_b32 exec_lo, exec_lo, s37
.LBB161_29:
	s_or_b32 exec_lo, exec_lo, s15
	ds_bpermute_b32 v2, v2, v8
	s_waitcnt lgkmcnt(0)
	v_add_f32_e32 v2, v8, v2
	ds_bpermute_b32 v4, v4, v2
	s_waitcnt lgkmcnt(0)
	v_add_f32_e32 v2, v2, v4
	;; [unrolled: 3-line block ×5, first 2 shown]
	s_and_saveexec_b32 s4, vcc_lo
; %bb.30:
	ds_write_b32 v6, v2 offset:528
; %bb.31:
	s_or_b32 exec_lo, exec_lo, s4
	s_waitcnt lgkmcnt(0)
	s_barrier
	buffer_gl0_inv
	s_and_saveexec_b32 s4, s2
; %bb.32:
	ds_read_b32 v2, v7 offset:528
; %bb.33:
	s_or_b32 exec_lo, exec_lo, s4
	s_waitcnt lgkmcnt(0)
	ds_bpermute_b32 v1, v1, v2
	s_waitcnt lgkmcnt(0)
	v_add_f32_e32 v1, v2, v1
	ds_bpermute_b32 v2, v77, v1
	s_waitcnt lgkmcnt(0)
	v_add_f32_e32 v1, v1, v2
	v_mov_b32_e32 v2, 0
	ds_bpermute_b32 v1, v2, v1
	s_and_saveexec_b32 s2, s3
	s_cbranch_execz .LBB161_36
; %bb.34:
	s_waitcnt lgkmcnt(0)
	v_add_f32_e32 v2, 0x358637bd, v1
	s_mov_b32 s3, 0
	v_div_scale_f32 v4, null, v2, v2, 1.0
	v_div_scale_f32 v7, vcc_lo, 1.0, v2, 1.0
	v_rcp_f32_e32 v5, v4
	v_fma_f32 v6, -v4, v5, 1.0
	v_fmac_f32_e32 v5, v6, v5
	v_mul_f32_e32 v6, v7, v5
	v_fma_f32 v8, -v4, v6, v7
	v_fmac_f32_e32 v6, v8, v5
	v_fma_f32 v4, -v4, v6, v7
	v_div_fmas_f32 v4, v4, v5, v6
	v_div_fixup_f32 v2, v4, v2, 1.0
	v_mov_b32_e32 v4, v113
.LBB161_35:                             ; =>This Inner Loop Header: Depth=1
	ds_read_b32 v5, v3
	v_add_nc_u32_e32 v4, 0x80, v4
	v_cmp_le_i32_e32 vcc_lo, s5, v4
	s_or_b32 s3, vcc_lo, s3
	s_waitcnt lgkmcnt(0)
	v_mul_f32_e32 v5, v2, v5
	ds_write_b32 v3, v5
	v_add_nc_u32_e32 v3, 0x200, v3
	s_andn2_b32 exec_lo, exec_lo, s3
	s_cbranch_execnz .LBB161_35
.LBB161_36:
	s_or_b32 exec_lo, exec_lo, s2
	s_mul_i32 s2, s7, s26
	s_waitcnt lgkmcnt(0)
	s_mul_i32 s4, s2, s9
	s_mov_b32 s2, exec_lo
	s_barrier
	buffer_gl0_inv
	v_cmpx_eq_u32_e32 0, v113
	s_cbranch_execz .LBB161_38
; %bb.37:
	s_ashr_i32 s5, s4, 31
	s_mul_i32 s42, s7, s6
	s_lshl_b64 s[40:41], s[4:5], 2
	v_mov_b32_e32 v2, 0
	s_add_u32 s3, s22, s40
	s_addc_u32 s5, s23, s41
	s_ashr_i32 s43, s42, 31
	s_lshl_b64 s[22:23], s[42:43], 2
	s_add_u32 s3, s3, s22
	s_addc_u32 s5, s5, s23
	s_ashr_i32 s9, s8, 31
	s_lshl_b64 s[42:43], s[8:9], 2
	s_add_u32 s44, s3, s42
	s_addc_u32 s45, s5, s43
	s_add_u32 s3, s20, s40
	s_addc_u32 s5, s21, s41
	;; [unrolled: 2-line block ×4, first 2 shown]
	global_store_dword v2, v0, s[44:45]
	global_store_dword v2, v1, s[20:21]
.LBB161_38:
	s_or_b32 exec_lo, exec_lo, s2
	v_mov_b32_e32 v93, 0
	v_mov_b32_e32 v92, 0
	v_mov_b32_e32 v91, 0
	v_mov_b32_e32 v90, 0
	v_mov_b32_e32 v89, 0
	v_mov_b32_e32 v88, 0
	v_mov_b32_e32 v87, 0
	v_mov_b32_e32 v86, 0
	v_mov_b32_e32 v85, 0
	v_mov_b32_e32 v84, 0
	v_mov_b32_e32 v83, 0
	v_mov_b32_e32 v82, 0
	v_mov_b32_e32 v81, 0
	v_mov_b32_e32 v80, 0
	v_mov_b32_e32 v79, 0
	v_mov_b32_e32 v78, 0
	s_and_saveexec_b32 s5, s1
	s_cbranch_execz .LBB161_76
; %bb.39:
	s_clause 0x1
	buffer_load_dword v4, off, s[48:51], 0 offset:52
	buffer_load_dword v6, off, s[48:51], 0 offset:48
	s_ashr_i32 s15, s14, 31
	s_sub_i32 s6, s39, s17
	s_lshl_b64 s[2:3], s[14:15], 1
	v_lshlrev_b32_e32 v2, 4, v113
	s_add_u32 s1, s34, s2
	s_addc_u32 s14, s35, s3
	s_abs_i32 s9, s18
	s_add_i32 s36, s36, -1
	v_cvt_f32_u32_e32 v0, s9
	s_sub_i32 s2, 0, s9
	v_and_b32_e32 v2, 0x1f0, v2
	v_and_b32_e32 v94, 8, v12
	v_mov_b32_e32 v95, 0
	v_rcp_iflag_f32_e32 v3, v0
	v_lshlrev_b64 v[0:1], 2, v[115:116]
	v_add_co_u32 v96, s1, s1, v2
	v_mov_b32_e32 v78, 0
	v_mov_b32_e32 v79, 0
	v_mov_b32_e32 v80, 0
	v_mov_b32_e32 v81, 0
	v_mov_b32_e32 v82, 0
	v_mov_b32_e32 v83, 0
	v_mul_f32_e32 v3, 0x4f7ffffe, v3
	v_mov_b32_e32 v84, 0
	v_mov_b32_e32 v85, 0
	;; [unrolled: 1-line block ×4, first 2 shown]
	v_cvt_u32_f32_e32 v3, v3
	v_mov_b32_e32 v88, 0
	v_mov_b32_e32 v89, 0
	;; [unrolled: 1-line block ×4, first 2 shown]
	v_mul_lo_u32 v5, s2, v3
	s_lshl_b64 s[2:3], s[30:31], 2
	v_mov_b32_e32 v92, 0
	s_add_u32 s2, s28, s2
	s_addc_u32 s3, s29, s3
	v_add_co_u32 v74, vcc_lo, s2, v0
	v_add_co_ci_u32_e64 v101, null, s14, 0, s1
	v_mul_hi_u32 v5, v3, v5
	v_add_co_ci_u32_e64 v75, null, s3, v1, vcc_lo
	v_mov_b32_e32 v93, 0
	s_mov_b32 s15, s27
	s_mov_b32 s14, 0
	v_add_nc_u32_e32 v103, v3, v5
	s_waitcnt vmcnt(1)
	v_lshlrev_b32_e32 v4, 5, v4
	s_waitcnt vmcnt(0)
	v_lshl_or_b32 v4, v6, 6, v4
	v_add_nc_u32_e32 v102, 0x220, v4
	s_branch .LBB161_42
.LBB161_40:                             ;   in Loop: Header=BB161_42 Depth=1
	s_or_b32 exec_lo, exec_lo, s3
	s_waitcnt lgkmcnt(1)
	v_bfe_u32 v0, v49, 16, 1
	v_or_b32_e32 v73, 0x400000, v49
	v_bfe_u32 v97, v50, 16, 1
	v_cmp_u_f32_e32 vcc_lo, v49, v49
	v_bfe_u32 v98, v51, 16, 1
	v_add3_u32 v0, v0, v49, 0x7fff
	v_or_b32_e32 v99, 0x400000, v50
	v_add3_u32 v97, v97, v50, 0x7fff
	v_or_b32_e32 v100, 0x400000, v51
	v_add3_u32 v98, v98, v51, 0x7fff
	v_cndmask_b32_e32 v0, v0, v73, vcc_lo
	v_cmp_u_f32_e32 vcc_lo, v50, v50
	v_bfe_u32 v49, v52, 16, 1
	s_waitcnt lgkmcnt(0)
	v_bfe_u32 v73, v45, 16, 1
	v_cndmask_b32_e32 v50, v97, v99, vcc_lo
	v_cmp_u_f32_e32 vcc_lo, v51, v51
	v_add3_u32 v49, v49, v52, 0x7fff
	v_or_b32_e32 v97, 0x400000, v52
	v_add3_u32 v73, v73, v45, 0x7fff
	v_bfe_u32 v99, v46, 16, 1
	v_cndmask_b32_e32 v51, v98, v100, vcc_lo
	v_cmp_u_f32_e32 vcc_lo, v52, v52
	v_or_b32_e32 v98, 0x400000, v45
	v_and_b32_e32 v51, 0xffff0000, v51
	v_cndmask_b32_e32 v52, v49, v97, vcc_lo
	v_cmp_u_f32_e32 vcc_lo, v45, v45
	v_add3_u32 v49, v99, v46, 0x7fff
	v_or_b32_e32 v97, 0x400000, v46
	v_and_b32_e32 v45, 0xffff0000, v50
	s_waitcnt vmcnt(1)
	v_and_b32_e32 v50, 0xffff0000, v69
	v_cndmask_b32_e32 v73, v73, v98, vcc_lo
	v_bfe_u32 v98, v47, 16, 1
	v_cmp_u_f32_e32 vcc_lo, v46, v46
	v_bfe_u32 v99, v48, 16, 1
	v_mul_f32_e32 v50, v45, v50
	v_add3_u32 v46, v98, v47, 0x7fff
	v_cndmask_b32_e32 v97, v49, v97, vcc_lo
	v_or_b32_e32 v98, 0x400000, v47
	v_and_b32_e32 v49, 0xffff0000, v0
	v_lshlrev_b32_e32 v0, 16, v69
	v_cmp_u_f32_e32 vcc_lo, v47, v47
	v_add3_u32 v47, v99, v48, 0x7fff
	v_bfe_u32 v99, v50, 16, 1
	v_mul_f32_e32 v0, v49, v0
	v_cndmask_b32_e32 v69, v46, v98, vcc_lo
	v_or_b32_e32 v98, 0x400000, v48
	v_and_b32_e32 v46, 0xffff0000, v52
	v_and_b32_e32 v52, 0xffff0000, v70
	v_cmp_u_f32_e32 vcc_lo, v48, v48
	v_mul_f32_e32 v100, v46, v52
	v_cndmask_b32_e32 v48, v47, v98, vcc_lo
	v_add3_u32 v47, v99, v50, 0x7fff
	v_or_b32_e32 v98, 0x400000, v50
	v_bfe_u32 v99, v0, 16, 1
	v_lshlrev_b32_e32 v52, 16, v70
	v_cmp_u_f32_e32 vcc_lo, v50, v50
	v_and_b32_e32 v48, 0xffff0000, v48
	v_add3_u32 v50, v99, v0, 0x7fff
	v_bfe_u32 v99, v100, 16, 1
	v_cndmask_b32_e32 v70, v47, v98, vcc_lo
	v_or_b32_e32 v98, 0x400000, v0
	v_mul_f32_e32 v104, v51, v52
	v_cmp_u_f32_e32 vcc_lo, v0, v0
	v_and_b32_e32 v47, 0xffff0000, v97
	v_and_b32_e32 v52, 0xffff0000, v71
	v_or_b32_e32 v97, 0x400000, v100
	v_lshlrev_b32_e32 v71, 16, v71
	v_cndmask_b32_e32 v0, v50, v98, vcc_lo
	v_add3_u32 v50, v99, v100, 0x7fff
	v_bfe_u32 v98, v104, 16, 1
	v_cmp_u_f32_e32 vcc_lo, v100, v100
	v_mul_f32_e32 v99, v47, v52
	v_and_b32_e32 v52, 0xffff0000, v73
	v_and_b32_e32 v100, 0xffff0000, v72
	;; [unrolled: 1-line block ×3, first 2 shown]
	v_cndmask_b32_e32 v73, v50, v97, vcc_lo
	v_add3_u32 v50, v98, v104, 0x7fff
	v_or_b32_e32 v97, 0x400000, v104
	v_cmp_u_f32_e32 vcc_lo, v104, v104
	v_bfe_u32 v98, v99, 16, 1
	v_mul_f32_e32 v71, v52, v71
	v_mul_f32_e32 v100, v48, v100
	v_and_b32_e32 v70, 0xffff0000, v70
	v_cndmask_b32_e32 v97, v50, v97, vcc_lo
	v_and_b32_e32 v50, 0xffff0000, v69
	v_lshlrev_b32_e32 v69, 16, v72
	v_add3_u32 v98, v98, v99, 0x7fff
	v_bfe_u32 v104, v71, 16, 1
	v_or_b32_e32 v72, 0x400000, v99
	v_cmp_u_f32_e32 vcc_lo, v99, v99
	v_mul_f32_e32 v69, v50, v69
	v_or_b32_e32 v105, 0x400000, v71
	v_add3_u32 v104, v104, v71, 0x7fff
	v_bfe_u32 v106, v100, 16, 1
	v_cndmask_b32_e32 v72, v98, v72, vcc_lo
	v_cmp_u_f32_e32 vcc_lo, v71, v71
	v_bfe_u32 v99, v69, 16, 1
	v_and_b32_e32 v97, 0xffff0000, v97
	v_and_b32_e32 v73, 0xffff0000, v73
	v_add3_u32 v98, v106, v100, 0x7fff
	v_cndmask_b32_e32 v71, v104, v105, vcc_lo
	v_add3_u32 v99, v99, v69, 0x7fff
	v_or_b32_e32 v105, 0x400000, v69
	v_cmp_u_f32_e32 vcc_lo, v69, v69
	v_or_b32_e32 v104, 0x400000, v100
	v_add_f32_e32 v0, v0, v70
	v_add_f32_e32 v70, v97, v73
	v_and_b32_e32 v71, 0xffff0000, v71
	v_and_b32_e32 v72, 0xffff0000, v72
	v_cndmask_b32_e32 v69, v99, v105, vcc_lo
	v_cmp_u_f32_e32 vcc_lo, v100, v100
	v_add_f32_e32 v0, v70, v0
	v_add_f32_e32 v70, v71, v72
	v_and_b32_e32 v71, 0xffff0000, v65
	v_cndmask_b32_e32 v73, v98, v104, vcc_lo
	v_and_b32_e32 v69, 0xffff0000, v69
	v_lshlrev_b32_e32 v65, 16, v65
	v_add_f32_e32 v0, v70, v0
	v_mul_f32_e32 v71, v45, v71
	v_and_b32_e32 v72, 0xffff0000, v73
	v_and_b32_e32 v70, 0xffff0000, v66
	v_mul_f32_e32 v65, v49, v65
	v_lshlrev_b32_e32 v66, 16, v66
	v_cmp_u_f32_e32 vcc_lo, v71, v71
	v_add_f32_e32 v69, v69, v72
	v_bfe_u32 v72, v71, 16, 1
	v_bfe_u32 v73, v65, 16, 1
	v_or_b32_e32 v97, 0x400000, v65
	v_mul_f32_e32 v66, v51, v66
	v_add_f32_e32 v0, v69, v0
	v_mul_f32_e32 v69, v46, v70
	v_add3_u32 v70, v72, v71, 0x7fff
	v_or_b32_e32 v72, 0x400000, v71
	v_add3_u32 v73, v73, v65, 0x7fff
	v_add_f32_e32 v79, v79, v0
	v_bfe_u32 v98, v69, 16, 1
	v_cndmask_b32_e32 v70, v70, v72, vcc_lo
	v_cmp_u_f32_e32 vcc_lo, v65, v65
	v_or_b32_e32 v72, 0x400000, v69
	v_add3_u32 v71, v98, v69, 0x7fff
	v_and_b32_e32 v70, 0xffff0000, v70
	v_cndmask_b32_e32 v65, v73, v97, vcc_lo
	v_and_b32_e32 v73, 0xffff0000, v67
	v_cmp_u_f32_e32 vcc_lo, v69, v69
	v_lshlrev_b32_e32 v67, 16, v67
	v_bfe_u32 v97, v66, 16, 1
	v_and_b32_e32 v65, 0xffff0000, v65
	v_cndmask_b32_e32 v69, v71, v72, vcc_lo
	v_mul_f32_e32 v71, v47, v73
	v_mul_f32_e32 v67, v52, v67
	v_add3_u32 v72, v97, v66, 0x7fff
	v_or_b32_e32 v73, 0x400000, v66
	v_and_b32_e32 v97, 0xffff0000, v68
	v_bfe_u32 v98, v71, 16, 1
	v_cmp_u_f32_e32 vcc_lo, v66, v66
	v_bfe_u32 v99, v67, 16, 1
	v_lshlrev_b32_e32 v68, 16, v68
	v_and_b32_e32 v69, 0xffff0000, v69
	v_add_f32_e32 v65, v65, v70
	v_cndmask_b32_e32 v66, v72, v73, vcc_lo
	v_mul_f32_e32 v72, v48, v97
	v_add3_u32 v73, v98, v71, 0x7fff
	v_or_b32_e32 v97, 0x400000, v71
	v_cmp_u_f32_e32 vcc_lo, v71, v71
	v_add3_u32 v98, v99, v67, 0x7fff
	v_or_b32_e32 v99, 0x400000, v67
	v_bfe_u32 v100, v72, 16, 1
	v_and_b32_e32 v66, 0xffff0000, v66
	v_cndmask_b32_e32 v71, v73, v97, vcc_lo
	v_cmp_u_f32_e32 vcc_lo, v67, v67
	v_or_b32_e32 v97, 0x400000, v72
	v_add3_u32 v73, v100, v72, 0x7fff
	v_mul_f32_e32 v68, v50, v68
	v_add_f32_e32 v66, v66, v69
	v_cndmask_b32_e32 v67, v98, v99, vcc_lo
	v_cmp_u_f32_e32 vcc_lo, v72, v72
	v_and_b32_e32 v69, 0xffff0000, v61
	v_and_b32_e32 v70, 0xffff0000, v71
	v_add_f32_e32 v65, v66, v65
	v_and_b32_e32 v67, 0xffff0000, v67
	v_cndmask_b32_e32 v72, v73, v97, vcc_lo
	v_bfe_u32 v73, v68, 16, 1
	v_mul_f32_e32 v66, v45, v69
	v_lshlrev_b32_e32 v61, 16, v61
	v_add_f32_e32 v67, v67, v70
	v_cmp_u_f32_e32 vcc_lo, v68, v68
	v_add3_u32 v71, v73, v68, 0x7fff
	v_or_b32_e32 v73, 0x400000, v68
	v_bfe_u32 v69, v66, 16, 1
	v_add_f32_e32 v65, v67, v65
	v_mul_f32_e32 v61, v49, v61
	v_and_b32_e32 v67, 0xffff0000, v62
	v_cndmask_b32_e32 v68, v71, v73, vcc_lo
	v_add3_u32 v69, v69, v66, 0x7fff
	v_or_b32_e32 v70, 0x400000, v66
	v_bfe_u32 v71, v61, 16, 1
	v_mul_f32_e32 v67, v46, v67
	v_lshlrev_b32_e32 v62, 16, v62
	v_cmp_u_f32_e32 vcc_lo, v66, v66
	v_and_b32_e32 v73, 0xffff0000, v63
	v_lshlrev_b32_e32 v63, 16, v63
	v_and_b32_e32 v97, 0xffff0000, v64
	v_mul_f32_e32 v62, v51, v62
	v_cndmask_b32_e32 v66, v69, v70, vcc_lo
	v_add3_u32 v69, v71, v61, 0x7fff
	v_or_b32_e32 v70, 0x400000, v61
	v_bfe_u32 v71, v67, 16, 1
	v_cmp_u_f32_e32 vcc_lo, v61, v61
	v_mul_f32_e32 v73, v47, v73
	v_mul_f32_e32 v63, v52, v63
	v_lshlrev_b32_e32 v64, 16, v64
	v_and_b32_e32 v66, 0xffff0000, v66
	v_cndmask_b32_e32 v61, v69, v70, vcc_lo
	v_add3_u32 v69, v71, v67, 0x7fff
	v_or_b32_e32 v70, 0x400000, v67
	v_bfe_u32 v71, v62, 16, 1
	v_cmp_u_f32_e32 vcc_lo, v67, v67
	v_mul_f32_e32 v64, v50, v64
	v_or_b32_e32 v98, 0x400000, v63
	v_and_b32_e32 v61, 0xffff0000, v61
	v_and_b32_e32 v68, 0xffff0000, v68
	v_cndmask_b32_e32 v67, v69, v70, vcc_lo
	v_add3_u32 v69, v71, v62, 0x7fff
	v_or_b32_e32 v70, 0x400000, v62
	v_bfe_u32 v71, v73, 16, 1
	v_cmp_u_f32_e32 vcc_lo, v62, v62
	v_bfe_u32 v100, v64, 16, 1
	v_and_b32_e32 v67, 0xffff0000, v67
	v_add_f32_e32 v61, v61, v66
	v_cndmask_b32_e32 v62, v69, v70, vcc_lo
	v_bfe_u32 v69, v63, 16, 1
	v_add3_u32 v70, v71, v73, 0x7fff
	v_mul_f32_e32 v71, v48, v97
	v_or_b32_e32 v97, 0x400000, v73
	v_cmp_u_f32_e32 vcc_lo, v73, v73
	v_add3_u32 v69, v69, v63, 0x7fff
	v_add3_u32 v73, v100, v64, 0x7fff
	v_bfe_u32 v99, v71, 16, 1
	v_and_b32_e32 v62, 0xffff0000, v62
	v_cndmask_b32_e32 v70, v70, v97, vcc_lo
	v_cmp_u_f32_e32 vcc_lo, v63, v63
	v_or_b32_e32 v97, 0x400000, v64
	v_add_f32_e32 v62, v62, v67
	v_and_b32_e32 v66, 0xffff0000, v70
	v_cndmask_b32_e32 v63, v69, v98, vcc_lo
	v_cmp_u_f32_e32 vcc_lo, v64, v64
	v_add3_u32 v69, v99, v71, 0x7fff
	v_or_b32_e32 v98, 0x400000, v71
	v_add_f32_e32 v61, v62, v61
	v_and_b32_e32 v63, 0xffff0000, v63
	v_cndmask_b32_e32 v64, v73, v97, vcc_lo
	v_cmp_u_f32_e32 vcc_lo, v71, v71
	v_add_f32_e32 v62, v63, v66
	v_and_b32_e32 v63, 0xffff0000, v64
	v_cndmask_b32_e32 v67, v69, v98, vcc_lo
	v_and_b32_e32 v69, 0xffff0000, v72
	v_and_b32_e32 v66, 0xffff0000, v57
	v_lshlrev_b32_e32 v57, 16, v57
	v_add_f32_e32 v61, v62, v61
	v_and_b32_e32 v64, 0xffff0000, v67
	v_add_f32_e32 v67, v68, v69
	v_mul_f32_e32 v57, v49, v57
	v_add_f32_e32 v62, v63, v64
	v_mul_f32_e32 v63, v45, v66
	v_add_f32_e32 v64, v67, v65
	v_or_b32_e32 v65, 0x400000, v57
	v_and_b32_e32 v66, 0xffff0000, v60
	v_add_f32_e32 v0, v62, v61
	v_bfe_u32 v61, v63, 16, 1
	v_add_f32_e32 v80, v80, v64
	v_bfe_u32 v62, v57, 16, 1
	v_and_b32_e32 v64, 0xffff0000, v58
	v_add_f32_e32 v81, v81, v0
	v_add3_u32 v0, v61, v63, 0x7fff
	v_or_b32_e32 v61, 0x400000, v63
	v_cmp_u_f32_e32 vcc_lo, v63, v63
	v_add3_u32 v62, v62, v57, 0x7fff
	v_mul_f32_e32 v64, v46, v64
	v_lshlrev_b32_e32 v58, 16, v58
	v_lshlrev_b32_e32 v60, 16, v60
	v_cndmask_b32_e32 v0, v0, v61, vcc_lo
	v_cmp_u_f32_e32 vcc_lo, v57, v57
	v_bfe_u32 v61, v64, 16, 1
	v_mul_f32_e32 v58, v51, v58
	v_or_b32_e32 v63, 0x400000, v64
	v_mul_f32_e32 v60, v50, v60
	v_cndmask_b32_e32 v57, v62, v65, vcc_lo
	v_and_b32_e32 v62, 0xffff0000, v59
	v_add3_u32 v61, v61, v64, 0x7fff
	v_lshlrev_b32_e32 v59, 16, v59
	v_bfe_u32 v65, v58, 16, 1
	v_cmp_u_f32_e32 vcc_lo, v64, v64
	v_mul_f32_e32 v62, v47, v62
	v_or_b32_e32 v64, 0x400000, v58
	v_mul_f32_e32 v59, v52, v59
	v_and_b32_e32 v57, 0xffff0000, v57
	v_cndmask_b32_e32 v61, v61, v63, vcc_lo
	v_add3_u32 v63, v65, v58, 0x7fff
	v_bfe_u32 v65, v62, 16, 1
	v_cmp_u_f32_e32 vcc_lo, v58, v58
	v_bfe_u32 v67, v59, 16, 1
	v_and_b32_e32 v0, 0xffff0000, v0
	v_and_b32_e32 v61, 0xffff0000, v61
	v_cndmask_b32_e32 v58, v63, v64, vcc_lo
	v_add3_u32 v63, v65, v62, 0x7fff
	v_mul_f32_e32 v64, v48, v66
	v_or_b32_e32 v65, 0x400000, v62
	v_cmp_u_f32_e32 vcc_lo, v62, v62
	v_add3_u32 v66, v67, v59, 0x7fff
	v_or_b32_e32 v67, 0x400000, v59
	v_bfe_u32 v68, v64, 16, 1
	v_and_b32_e32 v58, 0xffff0000, v58
	v_cndmask_b32_e32 v62, v63, v65, vcc_lo
	v_cmp_u_f32_e32 vcc_lo, v59, v59
	v_or_b32_e32 v65, 0x400000, v64
	v_add3_u32 v63, v68, v64, 0x7fff
	v_add_f32_e32 v0, v57, v0
	v_add_f32_e32 v57, v58, v61
	v_cndmask_b32_e32 v59, v66, v67, vcc_lo
	v_bfe_u32 v66, v60, 16, 1
	v_cmp_u_f32_e32 vcc_lo, v64, v64
	v_and_b32_e32 v61, 0xffff0000, v62
	v_add_f32_e32 v0, v57, v0
	v_and_b32_e32 v58, 0xffff0000, v59
	v_add3_u32 v64, v66, v60, 0x7fff
	v_cndmask_b32_e32 v63, v63, v65, vcc_lo
	v_or_b32_e32 v65, 0x400000, v60
	v_and_b32_e32 v59, 0xffff0000, v53
	v_cmp_u_f32_e32 vcc_lo, v60, v60
	v_add_f32_e32 v58, v58, v61
	v_lshlrev_b32_e32 v53, 16, v53
	v_mul_f32_e32 v57, v45, v59
	v_cndmask_b32_e32 v60, v64, v65, vcc_lo
	v_add_f32_e32 v0, v58, v0
	v_mul_f32_e32 v53, v49, v53
	v_and_b32_e32 v58, 0xffff0000, v54
	v_bfe_u32 v61, v57, 16, 1
	v_and_b32_e32 v59, 0xffff0000, v60
	v_and_b32_e32 v60, 0xffff0000, v63
	v_bfe_u32 v62, v53, 16, 1
	v_mul_f32_e32 v58, v46, v58
	v_lshlrev_b32_e32 v54, 16, v54
	v_cmp_u_f32_e32 vcc_lo, v57, v57
	v_add_f32_e32 v59, v59, v60
	v_add3_u32 v60, v61, v57, 0x7fff
	v_or_b32_e32 v61, 0x400000, v57
	v_mul_f32_e32 v54, v51, v54
	v_and_b32_e32 v63, 0xffff0000, v55
	v_lshlrev_b32_e32 v55, 16, v55
	v_and_b32_e32 v64, 0xffff0000, v56
	v_cndmask_b32_e32 v57, v60, v61, vcc_lo
	v_add3_u32 v60, v62, v53, 0x7fff
	v_or_b32_e32 v61, 0x400000, v53
	v_bfe_u32 v62, v58, 16, 1
	v_cmp_u_f32_e32 vcc_lo, v53, v53
	v_mul_f32_e32 v63, v47, v63
	v_mul_f32_e32 v55, v52, v55
	v_lshlrev_b32_e32 v56, 16, v56
	v_and_b32_e32 v57, 0xffff0000, v57
	v_cndmask_b32_e32 v53, v60, v61, vcc_lo
	v_add3_u32 v60, v62, v58, 0x7fff
	v_or_b32_e32 v61, 0x400000, v58
	v_bfe_u32 v62, v54, 16, 1
	v_cmp_u_f32_e32 vcc_lo, v58, v58
	v_mul_f32_e32 v56, v50, v56
	v_or_b32_e32 v65, 0x400000, v55
	v_and_b32_e32 v53, 0xffff0000, v53
	v_add_f32_e32 v0, v59, v0
	v_cndmask_b32_e32 v58, v60, v61, vcc_lo
	v_add3_u32 v60, v62, v54, 0x7fff
	v_or_b32_e32 v61, 0x400000, v54
	v_bfe_u32 v62, v63, 16, 1
	v_cmp_u_f32_e32 vcc_lo, v54, v54
	v_and_b32_e32 v58, 0xffff0000, v58
	v_add_f32_e32 v53, v53, v57
	v_add_f32_e32 v82, v82, v0
	v_cndmask_b32_e32 v54, v60, v61, vcc_lo
	v_bfe_u32 v60, v55, 16, 1
	v_add3_u32 v61, v62, v63, 0x7fff
	v_mul_f32_e32 v62, v48, v64
	v_or_b32_e32 v64, 0x400000, v63
	v_cmp_u_f32_e32 vcc_lo, v63, v63
	v_add3_u32 v60, v60, v55, 0x7fff
	v_bfe_u32 v63, v56, 16, 1
	v_bfe_u32 v66, v62, 16, 1
	v_and_b32_e32 v54, 0xffff0000, v54
	v_cndmask_b32_e32 v61, v61, v64, vcc_lo
	v_cmp_u_f32_e32 vcc_lo, v55, v55
	v_add3_u32 v63, v63, v56, 0x7fff
	v_or_b32_e32 v64, 0x400000, v62
	v_add_f32_e32 v54, v54, v58
	v_and_b32_e32 v57, 0xffff0000, v61
	v_cndmask_b32_e32 v55, v60, v65, vcc_lo
	v_or_b32_e32 v65, 0x400000, v56
	v_cmp_u_f32_e32 vcc_lo, v56, v56
	v_add3_u32 v60, v66, v62, 0x7fff
	v_add_f32_e32 v53, v54, v53
	v_and_b32_e32 v55, 0xffff0000, v55
	v_cndmask_b32_e32 v56, v63, v65, vcc_lo
	v_cmp_u_f32_e32 vcc_lo, v62, v62
	v_add_f32_e32 v54, v55, v57
	v_and_b32_e32 v55, 0xffff0000, v41
	v_and_b32_e32 v56, 0xffff0000, v56
	v_cndmask_b32_e32 v58, v60, v64, vcc_lo
	v_lshlrev_b32_e32 v41, 16, v41
	v_add_f32_e32 v53, v54, v53
	v_mul_f32_e32 v55, v45, v55
	v_and_b32_e32 v57, 0xffff0000, v58
	v_mul_f32_e32 v41, v49, v41
	v_cmp_u_f32_e32 vcc_lo, v55, v55
	v_add_f32_e32 v54, v56, v57
	v_and_b32_e32 v56, 0xffff0000, v42
	v_bfe_u32 v57, v55, 16, 1
	v_bfe_u32 v0, v41, 16, 1
	v_lshlrev_b32_e32 v42, 16, v42
	v_add_f32_e32 v53, v54, v53
	v_mul_f32_e32 v54, v46, v56
	v_add3_u32 v56, v57, v55, 0x7fff
	v_or_b32_e32 v57, 0x400000, v55
	v_add3_u32 v0, v0, v41, 0x7fff
	v_or_b32_e32 v58, 0x400000, v41
	v_bfe_u32 v59, v54, 16, 1
	v_add_f32_e32 v83, v83, v53
	v_cndmask_b32_e32 v55, v56, v57, vcc_lo
	v_cmp_u_f32_e32 vcc_lo, v41, v41
	v_mul_f32_e32 v41, v51, v42
	v_and_b32_e32 v57, 0xffff0000, v43
	v_add3_u32 v42, v59, v54, 0x7fff
	v_or_b32_e32 v56, 0x400000, v54
	v_cndmask_b32_e32 v0, v0, v58, vcc_lo
	v_lshlrev_b32_e32 v43, 16, v43
	v_bfe_u32 v58, v41, 16, 1
	v_cmp_u_f32_e32 vcc_lo, v54, v54
	v_mul_f32_e32 v54, v47, v57
	v_or_b32_e32 v57, 0x400000, v41
	v_mul_f32_e32 v43, v52, v43
	v_and_b32_e32 v0, 0xffff0000, v0
	v_cndmask_b32_e32 v42, v42, v56, vcc_lo
	v_add3_u32 v56, v58, v41, 0x7fff
	v_and_b32_e32 v58, 0xffff0000, v44
	v_bfe_u32 v59, v54, 16, 1
	v_cmp_u_f32_e32 vcc_lo, v41, v41
	v_bfe_u32 v60, v43, 16, 1
	v_lshlrev_b32_e32 v44, 16, v44
	v_and_b32_e32 v55, 0xffff0000, v55
	v_and_b32_e32 v42, 0xffff0000, v42
	v_cndmask_b32_e32 v41, v56, v57, vcc_lo
	v_mul_f32_e32 v56, v48, v58
	v_add3_u32 v57, v59, v54, 0x7fff
	v_or_b32_e32 v58, 0x400000, v54
	v_cmp_u_f32_e32 vcc_lo, v54, v54
	v_add3_u32 v59, v60, v43, 0x7fff
	v_or_b32_e32 v60, 0x400000, v43
	v_bfe_u32 v61, v56, 16, 1
	v_and_b32_e32 v41, 0xffff0000, v41
	v_cndmask_b32_e32 v54, v57, v58, vcc_lo
	v_cmp_u_f32_e32 vcc_lo, v43, v43
	v_or_b32_e32 v58, 0x400000, v56
	v_add3_u32 v57, v61, v56, 0x7fff
	v_mul_f32_e32 v44, v50, v44
	v_add_f32_e32 v0, v0, v55
	v_cndmask_b32_e32 v43, v59, v60, vcc_lo
	v_cmp_u_f32_e32 vcc_lo, v56, v56
	v_add_f32_e32 v41, v41, v42
	v_and_b32_e32 v54, 0xffff0000, v54
	v_and_b32_e32 v42, 0xffff0000, v43
	;; [unrolled: 1-line block ×3, first 2 shown]
	v_cndmask_b32_e32 v56, v57, v58, vcc_lo
	v_bfe_u32 v57, v44, 16, 1
	v_add_f32_e32 v0, v41, v0
	v_add_f32_e32 v42, v42, v54
	v_mul_f32_e32 v41, v45, v43
	v_lshlrev_b32_e32 v37, 16, v37
	v_add3_u32 v55, v57, v44, 0x7fff
	v_or_b32_e32 v57, 0x400000, v44
	v_cmp_u_f32_e32 vcc_lo, v44, v44
	v_bfe_u32 v44, v41, 16, 1
	v_add_f32_e32 v0, v42, v0
	v_mul_f32_e32 v37, v49, v37
	v_and_b32_e32 v42, 0xffff0000, v38
	v_cndmask_b32_e32 v43, v55, v57, vcc_lo
	v_add3_u32 v44, v44, v41, 0x7fff
	v_or_b32_e32 v54, 0x400000, v41
	v_bfe_u32 v55, v37, 16, 1
	v_mul_f32_e32 v42, v46, v42
	v_lshlrev_b32_e32 v38, 16, v38
	v_cmp_u_f32_e32 vcc_lo, v41, v41
	v_and_b32_e32 v57, 0xffff0000, v39
	v_lshlrev_b32_e32 v39, 16, v39
	v_and_b32_e32 v58, 0xffff0000, v40
	v_mul_f32_e32 v38, v51, v38
	v_cndmask_b32_e32 v41, v44, v54, vcc_lo
	v_add3_u32 v44, v55, v37, 0x7fff
	v_or_b32_e32 v54, 0x400000, v37
	v_bfe_u32 v55, v42, 16, 1
	v_cmp_u_f32_e32 vcc_lo, v37, v37
	v_mul_f32_e32 v57, v47, v57
	v_mul_f32_e32 v39, v52, v39
	v_lshlrev_b32_e32 v40, 16, v40
	v_and_b32_e32 v41, 0xffff0000, v41
	v_cndmask_b32_e32 v37, v44, v54, vcc_lo
	v_add3_u32 v44, v55, v42, 0x7fff
	v_or_b32_e32 v54, 0x400000, v42
	v_bfe_u32 v55, v38, 16, 1
	v_cmp_u_f32_e32 vcc_lo, v42, v42
	v_mul_f32_e32 v40, v50, v40
	v_or_b32_e32 v59, 0x400000, v39
	v_and_b32_e32 v37, 0xffff0000, v37
	v_and_b32_e32 v43, 0xffff0000, v43
	v_cndmask_b32_e32 v42, v44, v54, vcc_lo
	v_add3_u32 v44, v55, v38, 0x7fff
	v_or_b32_e32 v54, 0x400000, v38
	v_bfe_u32 v55, v57, 16, 1
	v_cmp_u_f32_e32 vcc_lo, v38, v38
	v_bfe_u32 v61, v40, 16, 1
	v_and_b32_e32 v42, 0xffff0000, v42
	v_add_f32_e32 v37, v37, v41
	v_cndmask_b32_e32 v38, v44, v54, vcc_lo
	v_bfe_u32 v44, v39, 16, 1
	v_add3_u32 v54, v55, v57, 0x7fff
	v_mul_f32_e32 v55, v48, v58
	v_or_b32_e32 v58, 0x400000, v57
	v_cmp_u_f32_e32 vcc_lo, v57, v57
	v_add3_u32 v44, v44, v39, 0x7fff
	v_add3_u32 v57, v61, v40, 0x7fff
	v_bfe_u32 v60, v55, 16, 1
	v_and_b32_e32 v38, 0xffff0000, v38
	v_cndmask_b32_e32 v54, v54, v58, vcc_lo
	v_cmp_u_f32_e32 vcc_lo, v39, v39
	v_or_b32_e32 v58, 0x400000, v40
	v_add_f32_e32 v38, v38, v42
	v_and_b32_e32 v41, 0xffff0000, v54
	v_cndmask_b32_e32 v39, v44, v59, vcc_lo
	v_cmp_u_f32_e32 vcc_lo, v40, v40
	v_add3_u32 v44, v60, v55, 0x7fff
	v_or_b32_e32 v59, 0x400000, v55
	v_add_f32_e32 v37, v38, v37
	v_and_b32_e32 v39, 0xffff0000, v39
	v_cndmask_b32_e32 v40, v57, v58, vcc_lo
	v_cmp_u_f32_e32 vcc_lo, v55, v55
	v_add_f32_e32 v38, v39, v41
	v_and_b32_e32 v39, 0xffff0000, v40
	v_cndmask_b32_e32 v42, v44, v59, vcc_lo
	v_and_b32_e32 v44, 0xffff0000, v56
	v_and_b32_e32 v41, 0xffff0000, v33
	v_lshlrev_b32_e32 v33, 16, v33
	v_add_f32_e32 v37, v38, v37
	v_and_b32_e32 v40, 0xffff0000, v42
	v_add_f32_e32 v42, v43, v44
	v_mul_f32_e32 v33, v49, v33
	v_add_f32_e32 v38, v39, v40
	v_mul_f32_e32 v39, v45, v41
	v_add_f32_e32 v0, v42, v0
	v_and_b32_e32 v40, 0xffff0000, v34
	v_lshlrev_b32_e32 v34, 16, v34
	v_add_f32_e32 v37, v38, v37
	v_bfe_u32 v38, v39, 16, 1
	v_add_f32_e32 v84, v84, v0
	v_bfe_u32 v0, v33, 16, 1
	v_mul_f32_e32 v40, v46, v40
	v_add_f32_e32 v85, v85, v37
	v_add3_u32 v37, v38, v39, 0x7fff
	v_or_b32_e32 v38, 0x400000, v39
	v_cmp_u_f32_e32 vcc_lo, v39, v39
	v_add3_u32 v0, v0, v33, 0x7fff
	v_or_b32_e32 v41, 0x400000, v33
	v_or_b32_e32 v39, 0x400000, v40
	v_and_b32_e32 v42, 0xffff0000, v36
	v_cndmask_b32_e32 v37, v37, v38, vcc_lo
	v_bfe_u32 v38, v40, 16, 1
	v_cmp_u_f32_e32 vcc_lo, v33, v33
	v_mul_f32_e32 v33, v51, v34
	v_and_b32_e32 v34, 0xffff0000, v35
	v_lshlrev_b32_e32 v35, 16, v35
	v_add3_u32 v38, v38, v40, 0x7fff
	v_cndmask_b32_e32 v0, v0, v41, vcc_lo
	v_bfe_u32 v41, v33, 16, 1
	v_mul_f32_e32 v34, v47, v34
	v_cmp_u_f32_e32 vcc_lo, v40, v40
	v_mul_f32_e32 v35, v52, v35
	v_or_b32_e32 v40, 0x400000, v33
	v_lshlrev_b32_e32 v36, 16, v36
	v_and_b32_e32 v0, 0xffff0000, v0
	v_cndmask_b32_e32 v38, v38, v39, vcc_lo
	v_add3_u32 v39, v41, v33, 0x7fff
	v_bfe_u32 v41, v34, 16, 1
	v_cmp_u_f32_e32 vcc_lo, v33, v33
	v_bfe_u32 v43, v35, 16, 1
	v_mul_f32_e32 v36, v50, v36
	v_and_b32_e32 v37, 0xffff0000, v37
	v_and_b32_e32 v38, 0xffff0000, v38
	v_cndmask_b32_e32 v33, v39, v40, vcc_lo
	v_add3_u32 v39, v41, v34, 0x7fff
	v_mul_f32_e32 v40, v48, v42
	v_or_b32_e32 v41, 0x400000, v34
	v_cmp_u_f32_e32 vcc_lo, v34, v34
	v_add3_u32 v42, v43, v35, 0x7fff
	v_or_b32_e32 v43, 0x400000, v35
	v_bfe_u32 v44, v40, 16, 1
	v_and_b32_e32 v33, 0xffff0000, v33
	v_cndmask_b32_e32 v34, v39, v41, vcc_lo
	v_cmp_u_f32_e32 vcc_lo, v35, v35
	v_or_b32_e32 v41, 0x400000, v40
	v_add3_u32 v39, v44, v40, 0x7fff
	v_add_f32_e32 v0, v0, v37
	v_add_f32_e32 v33, v33, v38
	v_cndmask_b32_e32 v35, v42, v43, vcc_lo
	v_bfe_u32 v42, v36, 16, 1
	v_cmp_u_f32_e32 vcc_lo, v40, v40
	v_and_b32_e32 v37, 0xffff0000, v29
	v_and_b32_e32 v34, 0xffff0000, v34
	;; [unrolled: 1-line block ×3, first 2 shown]
	v_add3_u32 v40, v42, v36, 0x7fff
	v_cndmask_b32_e32 v39, v39, v41, vcc_lo
	v_or_b32_e32 v41, 0x400000, v36
	v_cmp_u_f32_e32 vcc_lo, v36, v36
	v_add_f32_e32 v0, v33, v0
	v_mul_f32_e32 v33, v45, v37
	v_add_f32_e32 v34, v35, v34
	v_lshlrev_b32_e32 v29, 16, v29
	v_cndmask_b32_e32 v36, v40, v41, vcc_lo
	v_and_b32_e32 v40, 0xffff0000, v32
	v_bfe_u32 v37, v33, 16, 1
	v_add_f32_e32 v0, v34, v0
	v_mul_f32_e32 v29, v49, v29
	v_and_b32_e32 v35, 0xffff0000, v36
	v_and_b32_e32 v36, 0xffff0000, v39
	;; [unrolled: 1-line block ×3, first 2 shown]
	v_lshlrev_b32_e32 v30, 16, v30
	v_bfe_u32 v38, v29, 16, 1
	v_cmp_u_f32_e32 vcc_lo, v33, v33
	v_add_f32_e32 v35, v35, v36
	v_add3_u32 v36, v37, v33, 0x7fff
	v_or_b32_e32 v37, 0x400000, v33
	v_mul_f32_e32 v34, v46, v34
	v_mul_f32_e32 v30, v51, v30
	v_and_b32_e32 v39, 0xffff0000, v31
	v_lshlrev_b32_e32 v31, 16, v31
	v_cndmask_b32_e32 v33, v36, v37, vcc_lo
	v_add3_u32 v36, v38, v29, 0x7fff
	v_or_b32_e32 v37, 0x400000, v29
	v_bfe_u32 v38, v34, 16, 1
	v_cmp_u_f32_e32 vcc_lo, v29, v29
	v_mul_f32_e32 v39, v47, v39
	v_mul_f32_e32 v31, v52, v31
	v_lshlrev_b32_e32 v32, 16, v32
	v_and_b32_e32 v33, 0xffff0000, v33
	v_cndmask_b32_e32 v29, v36, v37, vcc_lo
	v_add3_u32 v36, v38, v34, 0x7fff
	v_or_b32_e32 v37, 0x400000, v34
	v_bfe_u32 v38, v30, 16, 1
	v_cmp_u_f32_e32 vcc_lo, v34, v34
	v_mul_f32_e32 v32, v50, v32
	v_or_b32_e32 v41, 0x400000, v31
	v_and_b32_e32 v29, 0xffff0000, v29
	v_add_f32_e32 v0, v35, v0
	v_cndmask_b32_e32 v34, v36, v37, vcc_lo
	v_add3_u32 v36, v38, v30, 0x7fff
	v_or_b32_e32 v37, 0x400000, v30
	v_bfe_u32 v38, v39, 16, 1
	v_cmp_u_f32_e32 vcc_lo, v30, v30
	v_and_b32_e32 v34, 0xffff0000, v34
	v_add_f32_e32 v29, v29, v33
	v_add_f32_e32 v86, v86, v0
	v_cndmask_b32_e32 v30, v36, v37, vcc_lo
	v_bfe_u32 v36, v31, 16, 1
	v_add3_u32 v37, v38, v39, 0x7fff
	v_mul_f32_e32 v38, v48, v40
	v_or_b32_e32 v40, 0x400000, v39
	v_cmp_u_f32_e32 vcc_lo, v39, v39
	v_add3_u32 v36, v36, v31, 0x7fff
	v_bfe_u32 v39, v32, 16, 1
	v_bfe_u32 v42, v38, 16, 1
	v_and_b32_e32 v30, 0xffff0000, v30
	v_cndmask_b32_e32 v37, v37, v40, vcc_lo
	v_cmp_u_f32_e32 vcc_lo, v31, v31
	v_add3_u32 v39, v39, v32, 0x7fff
	v_or_b32_e32 v40, 0x400000, v38
	v_add_f32_e32 v30, v30, v34
	v_and_b32_e32 v33, 0xffff0000, v37
	v_cndmask_b32_e32 v31, v36, v41, vcc_lo
	v_or_b32_e32 v41, 0x400000, v32
	v_cmp_u_f32_e32 vcc_lo, v32, v32
	v_add3_u32 v36, v42, v38, 0x7fff
	v_add_f32_e32 v29, v30, v29
	v_and_b32_e32 v31, 0xffff0000, v31
	v_cndmask_b32_e32 v32, v39, v41, vcc_lo
	v_cmp_u_f32_e32 vcc_lo, v38, v38
	v_add_f32_e32 v30, v31, v33
	v_and_b32_e32 v31, 0xffff0000, v25
	v_and_b32_e32 v32, 0xffff0000, v32
	v_cndmask_b32_e32 v34, v36, v40, vcc_lo
	v_lshlrev_b32_e32 v25, 16, v25
	v_add_f32_e32 v29, v30, v29
	v_mul_f32_e32 v31, v45, v31
	v_and_b32_e32 v33, 0xffff0000, v34
	v_mul_f32_e32 v25, v49, v25
	v_cmp_u_f32_e32 vcc_lo, v31, v31
	v_add_f32_e32 v30, v32, v33
	v_and_b32_e32 v32, 0xffff0000, v26
	v_bfe_u32 v33, v31, 16, 1
	v_bfe_u32 v0, v25, 16, 1
	v_lshlrev_b32_e32 v26, 16, v26
	v_add_f32_e32 v29, v30, v29
	v_mul_f32_e32 v30, v46, v32
	v_add3_u32 v32, v33, v31, 0x7fff
	v_or_b32_e32 v33, 0x400000, v31
	v_add3_u32 v0, v0, v25, 0x7fff
	v_or_b32_e32 v34, 0x400000, v25
	v_bfe_u32 v35, v30, 16, 1
	v_add_f32_e32 v87, v87, v29
	v_cndmask_b32_e32 v31, v32, v33, vcc_lo
	v_cmp_u_f32_e32 vcc_lo, v25, v25
	v_mul_f32_e32 v25, v51, v26
	v_and_b32_e32 v33, 0xffff0000, v27
	v_add3_u32 v26, v35, v30, 0x7fff
	v_or_b32_e32 v32, 0x400000, v30
	v_cndmask_b32_e32 v0, v0, v34, vcc_lo
	v_lshlrev_b32_e32 v27, 16, v27
	v_bfe_u32 v34, v25, 16, 1
	v_cmp_u_f32_e32 vcc_lo, v30, v30
	v_mul_f32_e32 v30, v47, v33
	v_or_b32_e32 v33, 0x400000, v25
	v_mul_f32_e32 v27, v52, v27
	v_and_b32_e32 v0, 0xffff0000, v0
	v_cndmask_b32_e32 v26, v26, v32, vcc_lo
	v_add3_u32 v32, v34, v25, 0x7fff
	v_and_b32_e32 v34, 0xffff0000, v28
	v_bfe_u32 v35, v30, 16, 1
	v_cmp_u_f32_e32 vcc_lo, v25, v25
	v_bfe_u32 v36, v27, 16, 1
	v_lshlrev_b32_e32 v28, 16, v28
	v_and_b32_e32 v31, 0xffff0000, v31
	v_and_b32_e32 v26, 0xffff0000, v26
	v_cndmask_b32_e32 v25, v32, v33, vcc_lo
	v_mul_f32_e32 v32, v48, v34
	v_add3_u32 v33, v35, v30, 0x7fff
	v_or_b32_e32 v34, 0x400000, v30
	v_cmp_u_f32_e32 vcc_lo, v30, v30
	v_add3_u32 v35, v36, v27, 0x7fff
	v_or_b32_e32 v36, 0x400000, v27
	v_bfe_u32 v37, v32, 16, 1
	v_and_b32_e32 v25, 0xffff0000, v25
	v_cndmask_b32_e32 v30, v33, v34, vcc_lo
	v_cmp_u_f32_e32 vcc_lo, v27, v27
	v_or_b32_e32 v34, 0x400000, v32
	v_add3_u32 v33, v37, v32, 0x7fff
	v_mul_f32_e32 v28, v50, v28
	v_add_f32_e32 v0, v0, v31
	v_cndmask_b32_e32 v27, v35, v36, vcc_lo
	v_cmp_u_f32_e32 vcc_lo, v32, v32
	v_add_f32_e32 v25, v25, v26
	v_and_b32_e32 v30, 0xffff0000, v30
	v_and_b32_e32 v26, 0xffff0000, v27
	;; [unrolled: 1-line block ×3, first 2 shown]
	v_cndmask_b32_e32 v32, v33, v34, vcc_lo
	v_bfe_u32 v33, v28, 16, 1
	v_add_f32_e32 v0, v25, v0
	v_add_f32_e32 v26, v26, v30
	v_mul_f32_e32 v25, v45, v27
	v_lshlrev_b32_e32 v17, 16, v17
	v_add3_u32 v31, v33, v28, 0x7fff
	v_or_b32_e32 v33, 0x400000, v28
	v_cmp_u_f32_e32 vcc_lo, v28, v28
	v_bfe_u32 v28, v25, 16, 1
	v_add_f32_e32 v0, v26, v0
	v_mul_f32_e32 v17, v49, v17
	v_and_b32_e32 v26, 0xffff0000, v18
	v_cndmask_b32_e32 v27, v31, v33, vcc_lo
	v_add3_u32 v28, v28, v25, 0x7fff
	v_or_b32_e32 v30, 0x400000, v25
	v_bfe_u32 v31, v17, 16, 1
	v_mul_f32_e32 v26, v46, v26
	v_lshlrev_b32_e32 v18, 16, v18
	v_cmp_u_f32_e32 vcc_lo, v25, v25
	v_and_b32_e32 v33, 0xffff0000, v19
	v_lshlrev_b32_e32 v19, 16, v19
	v_and_b32_e32 v34, 0xffff0000, v20
	v_mul_f32_e32 v18, v51, v18
	v_cndmask_b32_e32 v25, v28, v30, vcc_lo
	v_add3_u32 v28, v31, v17, 0x7fff
	v_or_b32_e32 v30, 0x400000, v17
	v_bfe_u32 v31, v26, 16, 1
	v_cmp_u_f32_e32 vcc_lo, v17, v17
	v_mul_f32_e32 v33, v47, v33
	v_mul_f32_e32 v19, v52, v19
	v_lshlrev_b32_e32 v20, 16, v20
	v_and_b32_e32 v25, 0xffff0000, v25
	v_cndmask_b32_e32 v17, v28, v30, vcc_lo
	v_add3_u32 v28, v31, v26, 0x7fff
	v_or_b32_e32 v30, 0x400000, v26
	v_bfe_u32 v31, v18, 16, 1
	v_cmp_u_f32_e32 vcc_lo, v26, v26
	v_mul_f32_e32 v20, v50, v20
	v_or_b32_e32 v35, 0x400000, v19
	v_and_b32_e32 v17, 0xffff0000, v17
	v_and_b32_e32 v27, 0xffff0000, v27
	v_cndmask_b32_e32 v26, v28, v30, vcc_lo
	v_add3_u32 v28, v31, v18, 0x7fff
	v_or_b32_e32 v30, 0x400000, v18
	v_bfe_u32 v31, v33, 16, 1
	v_cmp_u_f32_e32 vcc_lo, v18, v18
	v_bfe_u32 v37, v20, 16, 1
	v_and_b32_e32 v26, 0xffff0000, v26
	v_add_f32_e32 v17, v17, v25
	v_cndmask_b32_e32 v18, v28, v30, vcc_lo
	v_bfe_u32 v28, v19, 16, 1
	v_add3_u32 v30, v31, v33, 0x7fff
	v_mul_f32_e32 v31, v48, v34
	v_or_b32_e32 v34, 0x400000, v33
	v_cmp_u_f32_e32 vcc_lo, v33, v33
	v_add3_u32 v28, v28, v19, 0x7fff
	v_add3_u32 v33, v37, v20, 0x7fff
	v_bfe_u32 v36, v31, 16, 1
	v_and_b32_e32 v18, 0xffff0000, v18
	v_cndmask_b32_e32 v30, v30, v34, vcc_lo
	v_cmp_u_f32_e32 vcc_lo, v19, v19
	v_or_b32_e32 v34, 0x400000, v20
	v_add_f32_e32 v18, v18, v26
	v_and_b32_e32 v25, 0xffff0000, v30
	v_cndmask_b32_e32 v19, v28, v35, vcc_lo
	v_cmp_u_f32_e32 vcc_lo, v20, v20
	v_add3_u32 v28, v36, v31, 0x7fff
	v_or_b32_e32 v35, 0x400000, v31
	v_add_f32_e32 v17, v18, v17
	v_and_b32_e32 v19, 0xffff0000, v19
	v_cndmask_b32_e32 v20, v33, v34, vcc_lo
	v_cmp_u_f32_e32 vcc_lo, v31, v31
	v_add_f32_e32 v18, v19, v25
	v_and_b32_e32 v19, 0xffff0000, v20
	v_cndmask_b32_e32 v26, v28, v35, vcc_lo
	v_and_b32_e32 v28, 0xffff0000, v32
	v_and_b32_e32 v25, 0xffff0000, v13
	v_lshlrev_b32_e32 v13, 16, v13
	v_add_f32_e32 v17, v18, v17
	v_and_b32_e32 v20, 0xffff0000, v26
	v_add_f32_e32 v26, v27, v28
	v_mul_f32_e32 v13, v49, v13
	v_add_f32_e32 v18, v19, v20
	v_mul_f32_e32 v19, v45, v25
	v_add_f32_e32 v0, v26, v0
	v_and_b32_e32 v20, 0xffff0000, v14
	v_lshlrev_b32_e32 v14, 16, v14
	v_add_f32_e32 v17, v18, v17
	v_bfe_u32 v18, v19, 16, 1
	v_add_f32_e32 v88, v88, v0
	v_bfe_u32 v0, v13, 16, 1
	v_mul_f32_e32 v20, v46, v20
	v_add_f32_e32 v89, v89, v17
	v_add3_u32 v17, v18, v19, 0x7fff
	v_or_b32_e32 v18, 0x400000, v19
	v_cmp_u_f32_e32 vcc_lo, v19, v19
	v_add3_u32 v0, v0, v13, 0x7fff
	v_or_b32_e32 v25, 0x400000, v13
	v_or_b32_e32 v19, 0x400000, v20
	v_and_b32_e32 v26, 0xffff0000, v16
	v_cndmask_b32_e32 v17, v17, v18, vcc_lo
	v_bfe_u32 v18, v20, 16, 1
	v_cmp_u_f32_e32 vcc_lo, v13, v13
	v_mul_f32_e32 v13, v51, v14
	v_and_b32_e32 v14, 0xffff0000, v15
	v_lshlrev_b32_e32 v15, 16, v15
	v_add3_u32 v18, v18, v20, 0x7fff
	v_cndmask_b32_e32 v0, v0, v25, vcc_lo
	v_bfe_u32 v25, v13, 16, 1
	v_mul_f32_e32 v14, v47, v14
	v_cmp_u_f32_e32 vcc_lo, v20, v20
	v_mul_f32_e32 v15, v52, v15
	v_or_b32_e32 v20, 0x400000, v13
	v_lshlrev_b32_e32 v16, 16, v16
	v_and_b32_e32 v0, 0xffff0000, v0
	v_cndmask_b32_e32 v18, v18, v19, vcc_lo
	v_add3_u32 v19, v25, v13, 0x7fff
	v_bfe_u32 v25, v14, 16, 1
	v_cmp_u_f32_e32 vcc_lo, v13, v13
	v_bfe_u32 v27, v15, 16, 1
	v_mul_f32_e32 v16, v50, v16
	v_and_b32_e32 v17, 0xffff0000, v17
	v_and_b32_e32 v18, 0xffff0000, v18
	v_cndmask_b32_e32 v13, v19, v20, vcc_lo
	v_add3_u32 v19, v25, v14, 0x7fff
	v_mul_f32_e32 v20, v48, v26
	v_or_b32_e32 v25, 0x400000, v14
	v_cmp_u_f32_e32 vcc_lo, v14, v14
	v_add3_u32 v26, v27, v15, 0x7fff
	v_or_b32_e32 v27, 0x400000, v15
	v_bfe_u32 v28, v20, 16, 1
	v_and_b32_e32 v13, 0xffff0000, v13
	v_cndmask_b32_e32 v14, v19, v25, vcc_lo
	v_cmp_u_f32_e32 vcc_lo, v15, v15
	v_or_b32_e32 v25, 0x400000, v20
	v_add3_u32 v19, v28, v20, 0x7fff
	v_add_f32_e32 v0, v0, v17
	v_add_f32_e32 v13, v13, v18
	v_cndmask_b32_e32 v15, v26, v27, vcc_lo
	v_bfe_u32 v26, v16, 16, 1
	v_cmp_u_f32_e32 vcc_lo, v20, v20
	v_and_b32_e32 v17, 0xffff0000, v9
	v_and_b32_e32 v14, 0xffff0000, v14
	;; [unrolled: 1-line block ×3, first 2 shown]
	v_add3_u32 v20, v26, v16, 0x7fff
	v_cndmask_b32_e32 v19, v19, v25, vcc_lo
	v_or_b32_e32 v25, 0x400000, v16
	v_cmp_u_f32_e32 vcc_lo, v16, v16
	v_lshlrev_b32_e32 v9, 16, v9
	v_add_f32_e32 v0, v13, v0
	v_mul_f32_e32 v13, v45, v17
	v_add_f32_e32 v14, v15, v14
	v_cndmask_b32_e32 v16, v20, v25, vcc_lo
	v_mul_f32_e32 v15, v49, v9
	v_and_b32_e32 v18, 0xffff0000, v10
	v_bfe_u32 v17, v13, 16, 1
	v_add_f32_e32 v0, v14, v0
	v_and_b32_e32 v9, 0xffff0000, v16
	v_and_b32_e32 v16, 0xffff0000, v19
	v_bfe_u32 v14, v15, 16, 1
	v_mul_f32_e32 v18, v46, v18
	v_lshlrev_b32_e32 v10, 16, v10
	v_cmp_u_f32_e32 vcc_lo, v13, v13
	v_add_f32_e32 v9, v9, v16
	v_add3_u32 v16, v17, v13, 0x7fff
	v_or_b32_e32 v17, 0x400000, v13
	v_add3_u32 v14, v14, v15, 0x7fff
	v_or_b32_e32 v19, 0x400000, v15
	v_mul_f32_e32 v10, v51, v10
	v_and_b32_e32 v20, 0xffff0000, v12
	v_cndmask_b32_e32 v13, v16, v17, vcc_lo
	v_bfe_u32 v16, v18, 16, 1
	v_cmp_u_f32_e32 vcc_lo, v15, v15
	v_and_b32_e32 v15, 0xffff0000, v11
	v_or_b32_e32 v17, 0x400000, v18
	v_lshlrev_b32_e32 v11, 16, v11
	v_add3_u32 v16, v16, v18, 0x7fff
	v_cndmask_b32_e32 v14, v14, v19, vcc_lo
	v_bfe_u32 v19, v10, 16, 1
	v_mul_f32_e32 v15, v47, v15
	v_cmp_u_f32_e32 vcc_lo, v18, v18
	v_mul_f32_e32 v11, v52, v11
	v_or_b32_e32 v18, 0x400000, v10
	v_lshlrev_b32_e32 v12, 16, v12
	v_and_b32_e32 v14, 0xffff0000, v14
	v_cndmask_b32_e32 v16, v16, v17, vcc_lo
	v_add3_u32 v17, v19, v10, 0x7fff
	v_bfe_u32 v19, v15, 16, 1
	v_cmp_u_f32_e32 vcc_lo, v10, v10
	v_bfe_u32 v25, v11, 16, 1
	v_mul_f32_e32 v12, v50, v12
	v_and_b32_e32 v13, 0xffff0000, v13
	v_and_b32_e32 v16, 0xffff0000, v16
	v_cndmask_b32_e32 v10, v17, v18, vcc_lo
	v_add3_u32 v17, v19, v15, 0x7fff
	v_mul_f32_e32 v18, v48, v20
	v_or_b32_e32 v19, 0x400000, v15
	v_cmp_u_f32_e32 vcc_lo, v15, v15
	v_add3_u32 v20, v25, v11, 0x7fff
	v_or_b32_e32 v25, 0x400000, v11
	v_bfe_u32 v26, v18, 16, 1
	v_and_b32_e32 v10, 0xffff0000, v10
	v_cndmask_b32_e32 v15, v17, v19, vcc_lo
	v_cmp_u_f32_e32 vcc_lo, v11, v11
	v_or_b32_e32 v19, 0x400000, v18
	v_add3_u32 v17, v26, v18, 0x7fff
	v_add_f32_e32 v13, v14, v13
	v_add_f32_e32 v10, v10, v16
	v_cndmask_b32_e32 v11, v20, v25, vcc_lo
	v_bfe_u32 v20, v12, 16, 1
	v_cmp_u_f32_e32 vcc_lo, v18, v18
	v_and_b32_e32 v14, 0xffff0000, v15
	v_and_b32_e32 v15, 0xffff0000, v5
	;; [unrolled: 1-line block ×3, first 2 shown]
	v_add3_u32 v18, v20, v12, 0x7fff
	v_cndmask_b32_e32 v17, v17, v19, vcc_lo
	v_or_b32_e32 v19, 0x400000, v12
	v_cmp_u_f32_e32 vcc_lo, v12, v12
	v_lshlrev_b32_e32 v5, 16, v5
	v_add_f32_e32 v10, v10, v13
	v_mul_f32_e32 v13, v45, v15
	v_add_f32_e32 v11, v11, v14
	v_cndmask_b32_e32 v12, v18, v19, vcc_lo
	v_mul_f32_e32 v14, v49, v5
	v_and_b32_e32 v15, 0xffff0000, v17
	v_and_b32_e32 v16, 0xffff0000, v6
	v_bfe_u32 v17, v13, 16, 1
	v_and_b32_e32 v12, 0xffff0000, v12
	v_add_f32_e32 v5, v11, v10
	v_bfe_u32 v11, v14, 16, 1
	v_cmp_u_f32_e32 vcc_lo, v13, v13
	v_lshlrev_b32_e32 v6, 16, v6
	v_add_f32_e32 v10, v12, v15
	v_mul_f32_e32 v12, v46, v16
	v_add3_u32 v15, v17, v13, 0x7fff
	v_or_b32_e32 v16, 0x400000, v13
	v_add3_u32 v11, v11, v14, 0x7fff
	v_or_b32_e32 v17, 0x400000, v14
	v_bfe_u32 v18, v12, 16, 1
	v_mul_f32_e32 v6, v51, v6
	v_cndmask_b32_e32 v13, v15, v16, vcc_lo
	v_cmp_u_f32_e32 vcc_lo, v14, v14
	v_or_b32_e32 v15, 0x400000, v12
	v_add3_u32 v14, v18, v12, 0x7fff
	v_and_b32_e32 v16, 0xffff0000, v7
	v_lshlrev_b32_e32 v7, 16, v7
	v_cndmask_b32_e32 v11, v11, v17, vcc_lo
	v_cmp_u_f32_e32 vcc_lo, v12, v12
	v_bfe_u32 v17, v6, 16, 1
	v_and_b32_e32 v13, 0xffff0000, v13
	v_mul_f32_e32 v7, v52, v7
	v_and_b32_e32 v11, 0xffff0000, v11
	v_cndmask_b32_e32 v12, v14, v15, vcc_lo
	v_mul_f32_e32 v14, v47, v16
	v_add3_u32 v15, v17, v6, 0x7fff
	v_or_b32_e32 v16, 0x400000, v6
	v_and_b32_e32 v17, 0xffff0000, v8
	v_cmp_u_f32_e32 vcc_lo, v6, v6
	v_bfe_u32 v18, v14, 16, 1
	v_bfe_u32 v19, v7, 16, 1
	v_lshlrev_b32_e32 v8, 16, v8
	v_and_b32_e32 v12, 0xffff0000, v12
	v_cndmask_b32_e32 v6, v15, v16, vcc_lo
	v_mul_f32_e32 v15, v48, v17
	v_add3_u32 v16, v18, v14, 0x7fff
	v_or_b32_e32 v17, 0x400000, v14
	v_cmp_u_f32_e32 vcc_lo, v14, v14
	v_add3_u32 v18, v19, v7, 0x7fff
	v_or_b32_e32 v19, 0x400000, v7
	v_bfe_u32 v20, v15, 16, 1
	v_and_b32_e32 v6, 0xffff0000, v6
	v_cndmask_b32_e32 v14, v16, v17, vcc_lo
	v_cmp_u_f32_e32 vcc_lo, v7, v7
	v_or_b32_e32 v17, 0x400000, v15
	v_add3_u32 v16, v20, v15, 0x7fff
	v_mul_f32_e32 v8, v50, v8
	v_add_f32_e32 v11, v11, v13
	v_cndmask_b32_e32 v7, v18, v19, vcc_lo
	v_cmp_u_f32_e32 vcc_lo, v15, v15
	v_add_f32_e32 v6, v6, v12
	v_and_b32_e32 v12, 0xffff0000, v1
	v_and_b32_e32 v13, 0xffff0000, v14
	;; [unrolled: 1-line block ×3, first 2 shown]
	v_cndmask_b32_e32 v15, v16, v17, vcc_lo
	v_bfe_u32 v16, v8, 16, 1
	v_add_f32_e32 v6, v6, v11
	v_mul_f32_e32 v11, v45, v12
	v_add_f32_e32 v7, v7, v13
	v_lshlrev_b32_e32 v1, 16, v1
	v_add3_u32 v14, v16, v8, 0x7fff
	v_or_b32_e32 v16, 0x400000, v8
	v_cmp_u_f32_e32 vcc_lo, v8, v8
	v_bfe_u32 v12, v11, 16, 1
	v_add_f32_e32 v6, v7, v6
	v_and_b32_e32 v7, 0xffff0000, v2
	v_mul_f32_e32 v1, v49, v1
	v_cndmask_b32_e32 v8, v14, v16, vcc_lo
	v_add3_u32 v12, v12, v11, 0x7fff
	v_or_b32_e32 v13, 0x400000, v11
	v_mul_f32_e32 v7, v46, v7
	v_and_b32_e32 v14, 0xffff0000, v15
	v_bfe_u32 v15, v1, 16, 1
	v_cmp_u_f32_e32 vcc_lo, v11, v11
	v_lshlrev_b32_e32 v2, 16, v2
	v_or_b32_e32 v16, 0x400000, v1
	v_or_b32_e32 v17, 0x400000, v7
	s_waitcnt vmcnt(0)
	v_and_b32_e32 v19, 0xffff0000, v23
	v_cndmask_b32_e32 v11, v12, v13, vcc_lo
	v_bfe_u32 v12, v7, 16, 1
	v_add3_u32 v13, v15, v1, 0x7fff
	v_and_b32_e32 v15, 0xffff0000, v3
	v_mul_f32_e32 v2, v51, v2
	v_cmp_u_f32_e32 vcc_lo, v1, v1
	v_add3_u32 v12, v12, v7, 0x7fff
	v_lshlrev_b32_e32 v3, 16, v3
	v_mul_f32_e32 v15, v47, v15
	v_and_b32_e32 v11, 0xffff0000, v11
	v_cndmask_b32_e32 v1, v13, v16, vcc_lo
	v_bfe_u32 v13, v2, 16, 1
	v_cmp_u_f32_e32 vcc_lo, v7, v7
	v_and_b32_e32 v16, 0xffff0000, v4
	v_mul_f32_e32 v3, v52, v3
	v_or_b32_e32 v18, 0x400000, v15
	v_add3_u32 v13, v13, v2, 0x7fff
	v_cndmask_b32_e32 v7, v12, v17, vcc_lo
	v_bfe_u32 v12, v15, 16, 1
	v_or_b32_e32 v17, 0x400000, v2
	v_cmp_u_f32_e32 vcc_lo, v2, v2
	v_mul_f32_e32 v16, v48, v16
	v_lshlrev_b32_e32 v4, 16, v4
	v_add3_u32 v12, v12, v15, 0x7fff
	v_and_b32_e32 v1, 0xffff0000, v1
	v_cndmask_b32_e32 v2, v13, v17, vcc_lo
	v_bfe_u32 v13, v3, 16, 1
	v_cmp_u_f32_e32 vcc_lo, v15, v15
	v_bfe_u32 v17, v16, 16, 1
	v_or_b32_e32 v15, 0x400000, v3
	v_mul_f32_e32 v4, v50, v4
	v_add3_u32 v13, v13, v3, 0x7fff
	v_cndmask_b32_e32 v12, v12, v18, vcc_lo
	v_cmp_u_f32_e32 vcc_lo, v3, v3
	v_add3_u32 v17, v17, v16, 0x7fff
	v_or_b32_e32 v18, 0x400000, v16
	v_and_b32_e32 v2, 0xffff0000, v2
	v_and_b32_e32 v7, 0xffff0000, v7
	v_cndmask_b32_e32 v3, v13, v15, vcc_lo
	v_cmp_u_f32_e32 vcc_lo, v16, v16
	v_bfe_u32 v15, v4, 16, 1
	v_add_f32_e32 v1, v1, v11
	v_add_f32_e32 v2, v2, v7
	v_and_b32_e32 v3, 0xffff0000, v3
	v_cndmask_b32_e32 v13, v17, v18, vcc_lo
	v_lshlrev_b32_e32 v17, 16, v21
	v_and_b32_e32 v7, 0xffff0000, v12
	v_and_b32_e32 v12, 0xffff0000, v21
	v_add3_u32 v15, v15, v4, 0x7fff
	v_or_b32_e32 v16, 0x400000, v4
	v_mul_f32_e32 v11, v49, v17
	v_cmp_u_f32_e32 vcc_lo, v4, v4
	v_add_f32_e32 v1, v2, v1
	v_add_f32_e32 v3, v3, v7
	v_mul_f32_e32 v7, v45, v12
	v_bfe_u32 v2, v11, 16, 1
	v_lshlrev_b32_e32 v12, 16, v22
	v_cndmask_b32_e32 v4, v15, v16, vcc_lo
	v_or_b32_e32 v15, 0x400000, v11
	v_bfe_u32 v16, v7, 16, 1
	v_add3_u32 v2, v2, v11, 0x7fff
	v_mul_f32_e32 v12, v51, v12
	v_and_b32_e32 v17, 0xffff0000, v22
	v_cmp_u_f32_e32 vcc_lo, v11, v11
	v_add3_u32 v11, v16, v7, 0x7fff
	v_lshlrev_b32_e32 v18, 16, v23
	v_bfe_u32 v16, v12, 16, 1
	v_mul_f32_e32 v17, v46, v17
	v_cndmask_b32_e32 v2, v2, v15, vcc_lo
	v_or_b32_e32 v15, 0x400000, v7
	v_cmp_u_f32_e32 vcc_lo, v7, v7
	v_mul_f32_e32 v18, v52, v18
	v_mul_f32_e32 v19, v47, v19
	v_lshlrev_b32_e32 v20, 16, v24
	v_and_b32_e32 v21, 0xffff0000, v24
	v_cndmask_b32_e32 v7, v11, v15, vcc_lo
	v_add3_u32 v11, v16, v12, 0x7fff
	v_or_b32_e32 v15, 0x400000, v12
	v_bfe_u32 v16, v17, 16, 1
	v_cmp_u_f32_e32 vcc_lo, v12, v12
	v_or_b32_e32 v22, 0x400000, v19
	v_and_b32_e32 v7, 0xffff0000, v7
	v_and_b32_e32 v2, 0xffff0000, v2
	v_add3_u32 v12, v16, v17, 0x7fff
	v_cndmask_b32_e32 v11, v11, v15, vcc_lo
	v_or_b32_e32 v15, 0x400000, v17
	v_bfe_u32 v16, v18, 16, 1
	v_cmp_u_f32_e32 vcc_lo, v17, v17
	v_mul_f32_e32 v17, v50, v20
	v_mul_f32_e32 v20, v48, v21
	v_or_b32_e32 v21, 0x400000, v18
	v_add3_u32 v16, v16, v18, 0x7fff
	v_cndmask_b32_e32 v12, v12, v15, vcc_lo
	v_bfe_u32 v15, v19, 16, 1
	v_cmp_u_f32_e32 vcc_lo, v18, v18
	v_bfe_u32 v24, v20, 16, 1
	v_bfe_u32 v23, v17, 16, 1
	v_and_b32_e32 v12, 0xffff0000, v12
	v_add3_u32 v15, v15, v19, 0x7fff
	v_cndmask_b32_e32 v16, v16, v21, vcc_lo
	v_cmp_u_f32_e32 vcc_lo, v19, v19
	v_add3_u32 v19, v24, v20, 0x7fff
	v_or_b32_e32 v21, 0x400000, v20
	v_add3_u32 v18, v23, v17, 0x7fff
	v_and_b32_e32 v11, 0xffff0000, v11
	v_cndmask_b32_e32 v15, v15, v22, vcc_lo
	v_cmp_u_f32_e32 vcc_lo, v20, v20
	v_or_b32_e32 v22, 0x400000, v17
	v_add_f32_e32 v2, v2, v7
	v_add_f32_e32 v7, v11, v12
	v_and_b32_e32 v11, 0xffff0000, v15
	v_cndmask_b32_e32 v19, v19, v21, vcc_lo
	v_cmp_u_f32_e32 vcc_lo, v17, v17
	v_and_b32_e32 v12, 0xffff0000, v16
	v_and_b32_e32 v8, 0xffff0000, v8
	;; [unrolled: 1-line block ×4, first 2 shown]
	v_cndmask_b32_e32 v15, v18, v22, vcc_lo
	v_add_f32_e32 v2, v7, v2
	v_add_f32_e32 v7, v12, v11
	v_and_b32_e32 v11, 0xffff0000, v19
	v_add_f32_e32 v8, v8, v14
	v_and_b32_e32 v12, 0xffff0000, v15
	v_add_f32_e32 v1, v3, v1
	v_add_f32_e32 v3, v4, v13
	;; [unrolled: 1-line block ×14, first 2 shown]
.LBB161_41:                             ;   in Loop: Header=BB161_42 Depth=1
	s_or_b32 exec_lo, exec_lo, s17
	v_add_nc_u32_e32 v115, 4, v115
	v_add_co_u32 v74, s1, v74, 16
	v_add_co_ci_u32_e64 v75, null, 0, v75, s1
	v_cmp_le_i32_e32 vcc_lo, s16, v115
	v_add_nc_u32_e32 v114, 64, v114
	v_add_nc_u32_e32 v102, 0x100, v102
	s_or_b32 s14, vcc_lo, s14
	s_andn2_b32 exec_lo, exec_lo, s14
	s_cbranch_execz .LBB161_75
.LBB161_42:                             ; =>This Inner Loop Header: Depth=1
	v_sub_nc_u32_e32 v0, 0, v114
	v_max_i32_e32 v0, v114, v0
	v_mul_hi_u32 v1, v0, s12
	v_mul_lo_u32 v2, v1, s11
	v_sub_nc_u32_e32 v0, v0, v2
	v_add_nc_u32_e32 v2, 1, v1
	v_subrev_nc_u32_e32 v3, s11, v0
	v_cmp_le_u32_e32 vcc_lo, s11, v0
	v_cndmask_b32_e32 v1, v1, v2, vcc_lo
	v_cndmask_b32_e32 v0, v0, v3, vcc_lo
	v_ashrrev_i32_e32 v2, 31, v114
	v_add_nc_u32_e32 v3, 1, v1
	v_cmp_le_u32_e32 vcc_lo, s11, v0
	v_xor_b32_e32 v2, s19, v2
	v_cndmask_b32_e32 v0, v1, v3, vcc_lo
	v_xor_b32_e32 v0, v0, v2
	v_sub_nc_u32_e32 v0, v0, v2
	v_add_nc_u32_e32 v1, s33, v0
	v_cmp_lt_i32_e64 s1, s6, v0
	v_sub_nc_u32_e32 v2, 0, v1
	v_max_i32_e32 v2, v1, v2
	v_ashrrev_i32_e32 v1, 31, v1
	v_mul_hi_u32 v3, v2, v103
	v_mul_lo_u32 v3, v3, s9
	v_sub_nc_u32_e32 v2, v2, v3
	v_subrev_nc_u32_e32 v3, s9, v2
	v_cmp_le_u32_e32 vcc_lo, s9, v2
	v_cndmask_b32_e32 v2, v2, v3, vcc_lo
	v_subrev_nc_u32_e32 v3, s9, v2
	v_cmp_le_u32_e32 vcc_lo, s9, v2
	v_cndmask_b32_e32 v2, v2, v3, vcc_lo
	v_xor_b32_e32 v2, v2, v1
	v_sub_nc_u32_e32 v1, v2, v1
	v_cmp_eq_u32_e32 vcc_lo, 0, v1
	s_or_b32 s1, vcc_lo, s1
	s_and_saveexec_b32 s17, s1
	s_cbranch_execz .LBB161_41
; %bb.43:                               ;   in Loop: Header=BB161_42 Depth=1
	global_load_dword v0, v[74:75], off
	v_add_nc_u32_e32 v108, v94, v114
	v_cmp_eq_u32_e64 s1, s36, v115
	v_add_nc_u32_e32 v111, 1, v108
	v_or_b32_e32 v109, 3, v108
	v_or_b32_e32 v110, 2, v108
	;; [unrolled: 1-line block ×6, first 2 shown]
	s_waitcnt vmcnt(0)
	v_mad_i64_i32 v[0:1], null, v0, s13, 0
	v_lshlrev_b64 v[0:1], 1, v[0:1]
	v_add_co_u32 v21, vcc_lo, v96, v0
	v_add_co_ci_u32_e64 v22, null, v101, v1, vcc_lo
	global_load_dwordx4 v[1:4], v[21:22], off
	ds_read2_b64 v[49:52], v102 offset1:1
	ds_read2_b64 v[45:48], v102 offset0:2 offset1:3
	s_and_saveexec_b32 s18, s1
	s_cbranch_execnz .LBB161_62
; %bb.44:                               ;   in Loop: Header=BB161_42 Depth=1
	s_or_b32 exec_lo, exec_lo, s18
	global_load_dwordx4 v[5:8], v[21:22], off offset:512
	s_and_saveexec_b32 s18, s1
	s_cbranch_execnz .LBB161_63
.LBB161_45:                             ;   in Loop: Header=BB161_42 Depth=1
	s_or_b32 exec_lo, exec_lo, s18
	global_load_dwordx4 v[9:12], v[21:22], off offset:1024
	s_and_saveexec_b32 s18, s1
	s_cbranch_execnz .LBB161_64
.LBB161_46:                             ;   in Loop: Header=BB161_42 Depth=1
	s_or_b32 exec_lo, exec_lo, s18
	global_load_dwordx4 v[13:16], v[21:22], off offset:1536
	s_and_saveexec_b32 s18, s1
	s_cbranch_execz .LBB161_48
.LBB161_47:                             ;   in Loop: Header=BB161_42 Depth=1
	v_cmp_gt_i32_e64 s2, s27, v108
	v_cmp_gt_i32_e32 vcc_lo, s15, v111
	v_cmp_gt_i32_e64 s3, s27, v110
	s_waitcnt vmcnt(0)
	v_cndmask_b32_e64 v0, 0, v13, s2
	v_cmp_gt_i32_e64 s2, s15, v109
	v_cndmask_b32_sdwa v13, v95, v13, vcc_lo dst_sel:DWORD dst_unused:UNUSED_PAD src0_sel:DWORD src1_sel:WORD_1
	v_cndmask_b32_e64 v17, 0, v14, s3
	v_cmp_gt_i32_e64 s3, s15, v107
	s_mov_b32 vcc_lo, s2
	v_cmp_gt_i32_e64 s2, s15, v105
	v_cndmask_b32_sdwa v14, v95, v14, vcc_lo dst_sel:DWORD dst_unused:UNUSED_PAD src0_sel:DWORD src1_sel:WORD_1
	v_cmp_gt_i32_e32 vcc_lo, s27, v106
	v_perm_b32 v13, v13, v0, 0x5040100
	v_perm_b32 v14, v14, v17, 0x5040100
	v_cndmask_b32_e32 v18, 0, v15, vcc_lo
	s_mov_b32 vcc_lo, s3
	v_cndmask_b32_sdwa v15, v95, v15, vcc_lo dst_sel:DWORD dst_unused:UNUSED_PAD src0_sel:DWORD src1_sel:WORD_1
	v_cmp_gt_i32_e32 vcc_lo, s27, v104
	v_perm_b32 v15, v15, v18, 0x5040100
	v_cndmask_b32_e32 v19, 0, v16, vcc_lo
	s_mov_b32 vcc_lo, s2
	v_cndmask_b32_sdwa v16, v95, v16, vcc_lo dst_sel:DWORD dst_unused:UNUSED_PAD src0_sel:DWORD src1_sel:WORD_1
	v_perm_b32 v16, v16, v19, 0x5040100
.LBB161_48:                             ;   in Loop: Header=BB161_42 Depth=1
	s_or_b32 exec_lo, exec_lo, s18
	v_add_co_u32 v23, vcc_lo, 0x800, v21
	v_add_co_ci_u32_e64 v24, null, 0, v22, vcc_lo
	global_load_dwordx4 v[17:20], v[23:24], off
	s_and_saveexec_b32 s18, s1
	s_cbranch_execnz .LBB161_65
; %bb.49:                               ;   in Loop: Header=BB161_42 Depth=1
	s_or_b32 exec_lo, exec_lo, s18
	global_load_dwordx4 v[25:28], v[23:24], off offset:512
	s_and_saveexec_b32 s18, s1
	s_cbranch_execnz .LBB161_66
.LBB161_50:                             ;   in Loop: Header=BB161_42 Depth=1
	s_or_b32 exec_lo, exec_lo, s18
	global_load_dwordx4 v[29:32], v[23:24], off offset:1024
	s_and_saveexec_b32 s18, s1
	s_cbranch_execnz .LBB161_67
.LBB161_51:                             ;   in Loop: Header=BB161_42 Depth=1
	s_or_b32 exec_lo, exec_lo, s18
	global_load_dwordx4 v[33:36], v[23:24], off offset:1536
	s_and_saveexec_b32 s18, s1
	s_cbranch_execz .LBB161_53
.LBB161_52:                             ;   in Loop: Header=BB161_42 Depth=1
	v_cmp_gt_i32_e64 s2, s27, v108
	v_cmp_gt_i32_e32 vcc_lo, s15, v111
	v_cmp_gt_i32_e64 s3, s27, v110
	s_waitcnt vmcnt(0)
	v_cndmask_b32_e64 v0, 0, v33, s2
	v_cmp_gt_i32_e64 s2, s15, v109
	v_cndmask_b32_sdwa v24, v95, v33, vcc_lo dst_sel:DWORD dst_unused:UNUSED_PAD src0_sel:DWORD src1_sel:WORD_1
	v_cndmask_b32_e64 v23, 0, v34, s3
	v_cmp_gt_i32_e64 s3, s15, v107
	s_mov_b32 vcc_lo, s2
	v_cmp_gt_i32_e64 s2, s15, v105
	v_cndmask_b32_sdwa v34, v95, v34, vcc_lo dst_sel:DWORD dst_unused:UNUSED_PAD src0_sel:DWORD src1_sel:WORD_1
	v_cmp_gt_i32_e32 vcc_lo, s27, v106
	v_perm_b32 v33, v24, v0, 0x5040100
	v_perm_b32 v34, v34, v23, 0x5040100
	v_cndmask_b32_e32 v37, 0, v35, vcc_lo
	s_mov_b32 vcc_lo, s3
	v_cndmask_b32_sdwa v35, v95, v35, vcc_lo dst_sel:DWORD dst_unused:UNUSED_PAD src0_sel:DWORD src1_sel:WORD_1
	v_cmp_gt_i32_e32 vcc_lo, s27, v104
	v_perm_b32 v35, v35, v37, 0x5040100
	v_cndmask_b32_e32 v38, 0, v36, vcc_lo
	s_mov_b32 vcc_lo, s2
	v_cndmask_b32_sdwa v36, v95, v36, vcc_lo dst_sel:DWORD dst_unused:UNUSED_PAD src0_sel:DWORD src1_sel:WORD_1
	v_perm_b32 v36, v36, v38, 0x5040100
.LBB161_53:                             ;   in Loop: Header=BB161_42 Depth=1
	s_or_b32 exec_lo, exec_lo, s18
	v_add_co_u32 v23, vcc_lo, 0x1000, v21
	v_add_co_ci_u32_e64 v24, null, 0, v22, vcc_lo
	global_load_dwordx4 v[37:40], v[23:24], off
	s_and_saveexec_b32 s18, s1
	s_cbranch_execnz .LBB161_68
; %bb.54:                               ;   in Loop: Header=BB161_42 Depth=1
	s_or_b32 exec_lo, exec_lo, s18
	global_load_dwordx4 v[41:44], v[23:24], off offset:512
	s_and_saveexec_b32 s18, s1
	s_cbranch_execnz .LBB161_69
.LBB161_55:                             ;   in Loop: Header=BB161_42 Depth=1
	s_or_b32 exec_lo, exec_lo, s18
	global_load_dwordx4 v[53:56], v[23:24], off offset:1024
	s_and_saveexec_b32 s18, s1
	s_cbranch_execnz .LBB161_70
.LBB161_56:                             ;   in Loop: Header=BB161_42 Depth=1
	s_or_b32 exec_lo, exec_lo, s18
	global_load_dwordx4 v[57:60], v[23:24], off offset:1536
	s_and_saveexec_b32 s18, s1
	s_cbranch_execz .LBB161_58
.LBB161_57:                             ;   in Loop: Header=BB161_42 Depth=1
	v_cmp_gt_i32_e64 s2, s27, v108
	v_cmp_gt_i32_e32 vcc_lo, s15, v111
	v_cmp_gt_i32_e64 s3, s27, v110
	s_waitcnt vmcnt(0)
	v_cndmask_b32_e64 v0, 0, v57, s2
	v_cmp_gt_i32_e64 s2, s15, v109
	v_cndmask_b32_sdwa v24, v95, v57, vcc_lo dst_sel:DWORD dst_unused:UNUSED_PAD src0_sel:DWORD src1_sel:WORD_1
	v_cndmask_b32_e64 v23, 0, v58, s3
	v_cmp_gt_i32_e64 s3, s15, v107
	s_mov_b32 vcc_lo, s2
	v_cmp_gt_i32_e64 s2, s15, v105
	v_cndmask_b32_sdwa v58, v95, v58, vcc_lo dst_sel:DWORD dst_unused:UNUSED_PAD src0_sel:DWORD src1_sel:WORD_1
	v_cmp_gt_i32_e32 vcc_lo, s27, v106
	v_perm_b32 v57, v24, v0, 0x5040100
	v_perm_b32 v58, v58, v23, 0x5040100
	v_cndmask_b32_e32 v61, 0, v59, vcc_lo
	s_mov_b32 vcc_lo, s3
	v_cndmask_b32_sdwa v59, v95, v59, vcc_lo dst_sel:DWORD dst_unused:UNUSED_PAD src0_sel:DWORD src1_sel:WORD_1
	v_cmp_gt_i32_e32 vcc_lo, s27, v104
	v_perm_b32 v59, v59, v61, 0x5040100
	v_cndmask_b32_e32 v62, 0, v60, vcc_lo
	s_mov_b32 vcc_lo, s2
	v_cndmask_b32_sdwa v60, v95, v60, vcc_lo dst_sel:DWORD dst_unused:UNUSED_PAD src0_sel:DWORD src1_sel:WORD_1
	v_perm_b32 v60, v60, v62, 0x5040100
.LBB161_58:                             ;   in Loop: Header=BB161_42 Depth=1
	s_or_b32 exec_lo, exec_lo, s18
	v_add_co_u32 v21, vcc_lo, 0x1800, v21
	v_add_co_ci_u32_e64 v22, null, 0, v22, vcc_lo
	global_load_dwordx4 v[61:64], v[21:22], off
	s_and_saveexec_b32 s18, s1
	s_cbranch_execnz .LBB161_71
; %bb.59:                               ;   in Loop: Header=BB161_42 Depth=1
	s_or_b32 exec_lo, exec_lo, s18
	global_load_dwordx4 v[65:68], v[21:22], off offset:512
	s_and_saveexec_b32 s18, s1
	s_cbranch_execnz .LBB161_72
.LBB161_60:                             ;   in Loop: Header=BB161_42 Depth=1
	s_or_b32 exec_lo, exec_lo, s18
	global_load_dwordx4 v[69:72], v[21:22], off offset:1024
	s_and_saveexec_b32 s18, s1
	s_cbranch_execnz .LBB161_73
.LBB161_61:                             ;   in Loop: Header=BB161_42 Depth=1
	s_or_b32 exec_lo, exec_lo, s18
	global_load_dwordx4 v[21:24], v[21:22], off offset:1536
	s_and_saveexec_b32 s3, s1
	s_cbranch_execz .LBB161_40
	s_branch .LBB161_74
.LBB161_62:                             ;   in Loop: Header=BB161_42 Depth=1
	v_cmp_gt_i32_e64 s2, s27, v108
	v_cmp_gt_i32_e32 vcc_lo, s15, v111
	v_cmp_gt_i32_e64 s3, s27, v110
	s_waitcnt vmcnt(0)
	v_cndmask_b32_e64 v0, 0, v1, s2
	v_cmp_gt_i32_e64 s2, s15, v109
	v_cndmask_b32_sdwa v1, v95, v1, vcc_lo dst_sel:DWORD dst_unused:UNUSED_PAD src0_sel:DWORD src1_sel:WORD_1
	v_cndmask_b32_e64 v5, 0, v2, s3
	v_cmp_gt_i32_e64 s3, s15, v107
	s_mov_b32 vcc_lo, s2
	v_cmp_gt_i32_e64 s2, s15, v105
	v_cndmask_b32_sdwa v2, v95, v2, vcc_lo dst_sel:DWORD dst_unused:UNUSED_PAD src0_sel:DWORD src1_sel:WORD_1
	v_cmp_gt_i32_e32 vcc_lo, s27, v106
	v_perm_b32 v1, v1, v0, 0x5040100
	v_perm_b32 v2, v2, v5, 0x5040100
	v_cndmask_b32_e32 v6, 0, v3, vcc_lo
	s_mov_b32 vcc_lo, s3
	v_cndmask_b32_sdwa v3, v95, v3, vcc_lo dst_sel:DWORD dst_unused:UNUSED_PAD src0_sel:DWORD src1_sel:WORD_1
	v_cmp_gt_i32_e32 vcc_lo, s27, v104
	v_perm_b32 v3, v3, v6, 0x5040100
	v_cndmask_b32_e32 v7, 0, v4, vcc_lo
	s_mov_b32 vcc_lo, s2
	v_cndmask_b32_sdwa v4, v95, v4, vcc_lo dst_sel:DWORD dst_unused:UNUSED_PAD src0_sel:DWORD src1_sel:WORD_1
	v_perm_b32 v4, v4, v7, 0x5040100
	s_or_b32 exec_lo, exec_lo, s18
	global_load_dwordx4 v[5:8], v[21:22], off offset:512
	s_and_saveexec_b32 s18, s1
	s_cbranch_execz .LBB161_45
.LBB161_63:                             ;   in Loop: Header=BB161_42 Depth=1
	v_cmp_gt_i32_e64 s2, s27, v108
	v_cmp_gt_i32_e32 vcc_lo, s15, v111
	v_cmp_gt_i32_e64 s3, s27, v110
	s_waitcnt vmcnt(0)
	v_cndmask_b32_e64 v0, 0, v5, s2
	v_cmp_gt_i32_e64 s2, s15, v109
	v_cndmask_b32_sdwa v5, v95, v5, vcc_lo dst_sel:DWORD dst_unused:UNUSED_PAD src0_sel:DWORD src1_sel:WORD_1
	v_cndmask_b32_e64 v9, 0, v6, s3
	v_cmp_gt_i32_e64 s3, s15, v107
	s_mov_b32 vcc_lo, s2
	v_cmp_gt_i32_e64 s2, s15, v105
	v_cndmask_b32_sdwa v6, v95, v6, vcc_lo dst_sel:DWORD dst_unused:UNUSED_PAD src0_sel:DWORD src1_sel:WORD_1
	v_cmp_gt_i32_e32 vcc_lo, s27, v106
	v_perm_b32 v5, v5, v0, 0x5040100
	v_perm_b32 v6, v6, v9, 0x5040100
	v_cndmask_b32_e32 v10, 0, v7, vcc_lo
	s_mov_b32 vcc_lo, s3
	v_cndmask_b32_sdwa v7, v95, v7, vcc_lo dst_sel:DWORD dst_unused:UNUSED_PAD src0_sel:DWORD src1_sel:WORD_1
	v_cmp_gt_i32_e32 vcc_lo, s27, v104
	v_perm_b32 v7, v7, v10, 0x5040100
	v_cndmask_b32_e32 v11, 0, v8, vcc_lo
	s_mov_b32 vcc_lo, s2
	v_cndmask_b32_sdwa v8, v95, v8, vcc_lo dst_sel:DWORD dst_unused:UNUSED_PAD src0_sel:DWORD src1_sel:WORD_1
	v_perm_b32 v8, v8, v11, 0x5040100
	s_or_b32 exec_lo, exec_lo, s18
	global_load_dwordx4 v[9:12], v[21:22], off offset:1024
	s_and_saveexec_b32 s18, s1
	s_cbranch_execz .LBB161_46
.LBB161_64:                             ;   in Loop: Header=BB161_42 Depth=1
	v_cmp_gt_i32_e64 s2, s27, v108
	v_cmp_gt_i32_e32 vcc_lo, s15, v111
	v_cmp_gt_i32_e64 s3, s27, v110
	s_waitcnt vmcnt(0)
	v_cndmask_b32_e64 v0, 0, v9, s2
	v_cmp_gt_i32_e64 s2, s15, v109
	v_cndmask_b32_sdwa v9, v95, v9, vcc_lo dst_sel:DWORD dst_unused:UNUSED_PAD src0_sel:DWORD src1_sel:WORD_1
	v_cndmask_b32_e64 v13, 0, v10, s3
	v_cmp_gt_i32_e64 s3, s15, v107
	s_mov_b32 vcc_lo, s2
	v_cmp_gt_i32_e64 s2, s15, v105
	v_cndmask_b32_sdwa v10, v95, v10, vcc_lo dst_sel:DWORD dst_unused:UNUSED_PAD src0_sel:DWORD src1_sel:WORD_1
	v_cmp_gt_i32_e32 vcc_lo, s27, v106
	v_perm_b32 v9, v9, v0, 0x5040100
	v_perm_b32 v10, v10, v13, 0x5040100
	v_cndmask_b32_e32 v14, 0, v11, vcc_lo
	s_mov_b32 vcc_lo, s3
	v_cndmask_b32_sdwa v11, v95, v11, vcc_lo dst_sel:DWORD dst_unused:UNUSED_PAD src0_sel:DWORD src1_sel:WORD_1
	v_cmp_gt_i32_e32 vcc_lo, s27, v104
	v_perm_b32 v11, v11, v14, 0x5040100
	v_cndmask_b32_e32 v15, 0, v12, vcc_lo
	s_mov_b32 vcc_lo, s2
	v_cndmask_b32_sdwa v12, v95, v12, vcc_lo dst_sel:DWORD dst_unused:UNUSED_PAD src0_sel:DWORD src1_sel:WORD_1
	v_perm_b32 v12, v12, v15, 0x5040100
	s_or_b32 exec_lo, exec_lo, s18
	global_load_dwordx4 v[13:16], v[21:22], off offset:1536
	s_and_saveexec_b32 s18, s1
	s_cbranch_execnz .LBB161_47
	s_branch .LBB161_48
.LBB161_65:                             ;   in Loop: Header=BB161_42 Depth=1
	v_cmp_gt_i32_e64 s2, s27, v108
	v_cmp_gt_i32_e32 vcc_lo, s15, v111
	v_cmp_gt_i32_e64 s3, s27, v110
	s_waitcnt vmcnt(0)
	v_cndmask_b32_e64 v0, 0, v17, s2
	v_cmp_gt_i32_e64 s2, s15, v109
	v_cndmask_b32_sdwa v17, v95, v17, vcc_lo dst_sel:DWORD dst_unused:UNUSED_PAD src0_sel:DWORD src1_sel:WORD_1
	v_cndmask_b32_e64 v25, 0, v18, s3
	v_cmp_gt_i32_e64 s3, s15, v107
	s_mov_b32 vcc_lo, s2
	v_cmp_gt_i32_e64 s2, s15, v105
	v_cndmask_b32_sdwa v18, v95, v18, vcc_lo dst_sel:DWORD dst_unused:UNUSED_PAD src0_sel:DWORD src1_sel:WORD_1
	v_cmp_gt_i32_e32 vcc_lo, s27, v106
	v_perm_b32 v17, v17, v0, 0x5040100
	v_perm_b32 v18, v18, v25, 0x5040100
	v_cndmask_b32_e32 v26, 0, v19, vcc_lo
	s_mov_b32 vcc_lo, s3
	v_cndmask_b32_sdwa v19, v95, v19, vcc_lo dst_sel:DWORD dst_unused:UNUSED_PAD src0_sel:DWORD src1_sel:WORD_1
	v_cmp_gt_i32_e32 vcc_lo, s27, v104
	v_perm_b32 v19, v19, v26, 0x5040100
	v_cndmask_b32_e32 v27, 0, v20, vcc_lo
	s_mov_b32 vcc_lo, s2
	v_cndmask_b32_sdwa v20, v95, v20, vcc_lo dst_sel:DWORD dst_unused:UNUSED_PAD src0_sel:DWORD src1_sel:WORD_1
	v_perm_b32 v20, v20, v27, 0x5040100
	s_or_b32 exec_lo, exec_lo, s18
	global_load_dwordx4 v[25:28], v[23:24], off offset:512
	s_and_saveexec_b32 s18, s1
	s_cbranch_execz .LBB161_50
.LBB161_66:                             ;   in Loop: Header=BB161_42 Depth=1
	v_cmp_gt_i32_e64 s2, s27, v108
	v_cmp_gt_i32_e32 vcc_lo, s15, v111
	v_cmp_gt_i32_e64 s3, s27, v110
	s_waitcnt vmcnt(0)
	v_cndmask_b32_e64 v0, 0, v25, s2
	v_cmp_gt_i32_e64 s2, s15, v109
	v_cndmask_b32_sdwa v25, v95, v25, vcc_lo dst_sel:DWORD dst_unused:UNUSED_PAD src0_sel:DWORD src1_sel:WORD_1
	v_cndmask_b32_e64 v29, 0, v26, s3
	v_cmp_gt_i32_e64 s3, s15, v107
	s_mov_b32 vcc_lo, s2
	v_cmp_gt_i32_e64 s2, s15, v105
	v_cndmask_b32_sdwa v26, v95, v26, vcc_lo dst_sel:DWORD dst_unused:UNUSED_PAD src0_sel:DWORD src1_sel:WORD_1
	v_cmp_gt_i32_e32 vcc_lo, s27, v106
	v_perm_b32 v25, v25, v0, 0x5040100
	v_perm_b32 v26, v26, v29, 0x5040100
	v_cndmask_b32_e32 v30, 0, v27, vcc_lo
	s_mov_b32 vcc_lo, s3
	v_cndmask_b32_sdwa v27, v95, v27, vcc_lo dst_sel:DWORD dst_unused:UNUSED_PAD src0_sel:DWORD src1_sel:WORD_1
	v_cmp_gt_i32_e32 vcc_lo, s27, v104
	v_perm_b32 v27, v27, v30, 0x5040100
	v_cndmask_b32_e32 v31, 0, v28, vcc_lo
	s_mov_b32 vcc_lo, s2
	v_cndmask_b32_sdwa v28, v95, v28, vcc_lo dst_sel:DWORD dst_unused:UNUSED_PAD src0_sel:DWORD src1_sel:WORD_1
	v_perm_b32 v28, v28, v31, 0x5040100
	s_or_b32 exec_lo, exec_lo, s18
	global_load_dwordx4 v[29:32], v[23:24], off offset:1024
	s_and_saveexec_b32 s18, s1
	s_cbranch_execz .LBB161_51
.LBB161_67:                             ;   in Loop: Header=BB161_42 Depth=1
	v_cmp_gt_i32_e64 s2, s27, v108
	v_cmp_gt_i32_e32 vcc_lo, s15, v111
	v_cmp_gt_i32_e64 s3, s27, v110
	s_waitcnt vmcnt(0)
	v_cndmask_b32_e64 v0, 0, v29, s2
	v_cmp_gt_i32_e64 s2, s15, v109
	v_cndmask_b32_sdwa v29, v95, v29, vcc_lo dst_sel:DWORD dst_unused:UNUSED_PAD src0_sel:DWORD src1_sel:WORD_1
	v_cndmask_b32_e64 v33, 0, v30, s3
	v_cmp_gt_i32_e64 s3, s15, v107
	s_mov_b32 vcc_lo, s2
	v_cmp_gt_i32_e64 s2, s15, v105
	v_cndmask_b32_sdwa v30, v95, v30, vcc_lo dst_sel:DWORD dst_unused:UNUSED_PAD src0_sel:DWORD src1_sel:WORD_1
	v_cmp_gt_i32_e32 vcc_lo, s27, v106
	v_perm_b32 v29, v29, v0, 0x5040100
	v_perm_b32 v30, v30, v33, 0x5040100
	v_cndmask_b32_e32 v34, 0, v31, vcc_lo
	s_mov_b32 vcc_lo, s3
	v_cndmask_b32_sdwa v31, v95, v31, vcc_lo dst_sel:DWORD dst_unused:UNUSED_PAD src0_sel:DWORD src1_sel:WORD_1
	v_cmp_gt_i32_e32 vcc_lo, s27, v104
	v_perm_b32 v31, v31, v34, 0x5040100
	v_cndmask_b32_e32 v35, 0, v32, vcc_lo
	s_mov_b32 vcc_lo, s2
	v_cndmask_b32_sdwa v32, v95, v32, vcc_lo dst_sel:DWORD dst_unused:UNUSED_PAD src0_sel:DWORD src1_sel:WORD_1
	v_perm_b32 v32, v32, v35, 0x5040100
	s_or_b32 exec_lo, exec_lo, s18
	global_load_dwordx4 v[33:36], v[23:24], off offset:1536
	s_and_saveexec_b32 s18, s1
	s_cbranch_execnz .LBB161_52
	s_branch .LBB161_53
.LBB161_68:                             ;   in Loop: Header=BB161_42 Depth=1
	v_cmp_gt_i32_e64 s2, s27, v108
	v_cmp_gt_i32_e32 vcc_lo, s15, v111
	v_cmp_gt_i32_e64 s3, s27, v110
	s_waitcnt vmcnt(0)
	v_cndmask_b32_e64 v0, 0, v37, s2
	v_cmp_gt_i32_e64 s2, s15, v109
	v_cndmask_b32_sdwa v37, v95, v37, vcc_lo dst_sel:DWORD dst_unused:UNUSED_PAD src0_sel:DWORD src1_sel:WORD_1
	v_cndmask_b32_e64 v41, 0, v38, s3
	v_cmp_gt_i32_e64 s3, s15, v107
	s_mov_b32 vcc_lo, s2
	v_cmp_gt_i32_e64 s2, s15, v105
	v_cndmask_b32_sdwa v38, v95, v38, vcc_lo dst_sel:DWORD dst_unused:UNUSED_PAD src0_sel:DWORD src1_sel:WORD_1
	v_cmp_gt_i32_e32 vcc_lo, s27, v106
	v_perm_b32 v37, v37, v0, 0x5040100
	v_perm_b32 v38, v38, v41, 0x5040100
	v_cndmask_b32_e32 v42, 0, v39, vcc_lo
	s_mov_b32 vcc_lo, s3
	v_cndmask_b32_sdwa v39, v95, v39, vcc_lo dst_sel:DWORD dst_unused:UNUSED_PAD src0_sel:DWORD src1_sel:WORD_1
	v_cmp_gt_i32_e32 vcc_lo, s27, v104
	v_perm_b32 v39, v39, v42, 0x5040100
	v_cndmask_b32_e32 v43, 0, v40, vcc_lo
	s_mov_b32 vcc_lo, s2
	v_cndmask_b32_sdwa v40, v95, v40, vcc_lo dst_sel:DWORD dst_unused:UNUSED_PAD src0_sel:DWORD src1_sel:WORD_1
	v_perm_b32 v40, v40, v43, 0x5040100
	s_or_b32 exec_lo, exec_lo, s18
	global_load_dwordx4 v[41:44], v[23:24], off offset:512
	s_and_saveexec_b32 s18, s1
	s_cbranch_execz .LBB161_55
.LBB161_69:                             ;   in Loop: Header=BB161_42 Depth=1
	v_cmp_gt_i32_e64 s2, s27, v108
	v_cmp_gt_i32_e32 vcc_lo, s15, v111
	v_cmp_gt_i32_e64 s3, s27, v110
	s_waitcnt vmcnt(0)
	v_cndmask_b32_e64 v0, 0, v41, s2
	v_cmp_gt_i32_e64 s2, s15, v109
	v_cndmask_b32_sdwa v41, v95, v41, vcc_lo dst_sel:DWORD dst_unused:UNUSED_PAD src0_sel:DWORD src1_sel:WORD_1
	v_cndmask_b32_e64 v53, 0, v42, s3
	v_cmp_gt_i32_e64 s3, s15, v107
	s_mov_b32 vcc_lo, s2
	v_cmp_gt_i32_e64 s2, s15, v105
	v_cndmask_b32_sdwa v42, v95, v42, vcc_lo dst_sel:DWORD dst_unused:UNUSED_PAD src0_sel:DWORD src1_sel:WORD_1
	v_cmp_gt_i32_e32 vcc_lo, s27, v106
	v_perm_b32 v41, v41, v0, 0x5040100
	v_perm_b32 v42, v42, v53, 0x5040100
	v_cndmask_b32_e32 v54, 0, v43, vcc_lo
	s_mov_b32 vcc_lo, s3
	v_cndmask_b32_sdwa v43, v95, v43, vcc_lo dst_sel:DWORD dst_unused:UNUSED_PAD src0_sel:DWORD src1_sel:WORD_1
	v_cmp_gt_i32_e32 vcc_lo, s27, v104
	v_perm_b32 v43, v43, v54, 0x5040100
	v_cndmask_b32_e32 v55, 0, v44, vcc_lo
	s_mov_b32 vcc_lo, s2
	v_cndmask_b32_sdwa v44, v95, v44, vcc_lo dst_sel:DWORD dst_unused:UNUSED_PAD src0_sel:DWORD src1_sel:WORD_1
	v_perm_b32 v44, v44, v55, 0x5040100
	s_or_b32 exec_lo, exec_lo, s18
	global_load_dwordx4 v[53:56], v[23:24], off offset:1024
	s_and_saveexec_b32 s18, s1
	s_cbranch_execz .LBB161_56
.LBB161_70:                             ;   in Loop: Header=BB161_42 Depth=1
	v_cmp_gt_i32_e64 s2, s27, v108
	v_cmp_gt_i32_e32 vcc_lo, s15, v111
	v_cmp_gt_i32_e64 s3, s27, v110
	s_waitcnt vmcnt(0)
	v_cndmask_b32_e64 v0, 0, v53, s2
	v_cmp_gt_i32_e64 s2, s15, v109
	v_cndmask_b32_sdwa v53, v95, v53, vcc_lo dst_sel:DWORD dst_unused:UNUSED_PAD src0_sel:DWORD src1_sel:WORD_1
	v_cndmask_b32_e64 v57, 0, v54, s3
	v_cmp_gt_i32_e64 s3, s15, v107
	s_mov_b32 vcc_lo, s2
	v_cmp_gt_i32_e64 s2, s15, v105
	v_cndmask_b32_sdwa v54, v95, v54, vcc_lo dst_sel:DWORD dst_unused:UNUSED_PAD src0_sel:DWORD src1_sel:WORD_1
	v_cmp_gt_i32_e32 vcc_lo, s27, v106
	v_perm_b32 v53, v53, v0, 0x5040100
	v_perm_b32 v54, v54, v57, 0x5040100
	v_cndmask_b32_e32 v58, 0, v55, vcc_lo
	s_mov_b32 vcc_lo, s3
	v_cndmask_b32_sdwa v55, v95, v55, vcc_lo dst_sel:DWORD dst_unused:UNUSED_PAD src0_sel:DWORD src1_sel:WORD_1
	v_cmp_gt_i32_e32 vcc_lo, s27, v104
	v_perm_b32 v55, v55, v58, 0x5040100
	v_cndmask_b32_e32 v59, 0, v56, vcc_lo
	s_mov_b32 vcc_lo, s2
	v_cndmask_b32_sdwa v56, v95, v56, vcc_lo dst_sel:DWORD dst_unused:UNUSED_PAD src0_sel:DWORD src1_sel:WORD_1
	v_perm_b32 v56, v56, v59, 0x5040100
	s_or_b32 exec_lo, exec_lo, s18
	global_load_dwordx4 v[57:60], v[23:24], off offset:1536
	s_and_saveexec_b32 s18, s1
	s_cbranch_execnz .LBB161_57
	s_branch .LBB161_58
.LBB161_71:                             ;   in Loop: Header=BB161_42 Depth=1
	v_cmp_gt_i32_e64 s2, s27, v108
	v_cmp_gt_i32_e32 vcc_lo, s15, v111
	v_cmp_gt_i32_e64 s3, s27, v110
	s_waitcnt vmcnt(0)
	v_cndmask_b32_e64 v0, 0, v61, s2
	v_cmp_gt_i32_e64 s2, s15, v109
	v_cndmask_b32_sdwa v24, v95, v61, vcc_lo dst_sel:DWORD dst_unused:UNUSED_PAD src0_sel:DWORD src1_sel:WORD_1
	v_cndmask_b32_e64 v23, 0, v62, s3
	v_cmp_gt_i32_e64 s3, s15, v107
	s_mov_b32 vcc_lo, s2
	v_cmp_gt_i32_e64 s2, s15, v105
	v_cndmask_b32_sdwa v62, v95, v62, vcc_lo dst_sel:DWORD dst_unused:UNUSED_PAD src0_sel:DWORD src1_sel:WORD_1
	v_cmp_gt_i32_e32 vcc_lo, s27, v106
	v_perm_b32 v61, v24, v0, 0x5040100
	v_perm_b32 v62, v62, v23, 0x5040100
	v_cndmask_b32_e32 v65, 0, v63, vcc_lo
	s_mov_b32 vcc_lo, s3
	v_cndmask_b32_sdwa v63, v95, v63, vcc_lo dst_sel:DWORD dst_unused:UNUSED_PAD src0_sel:DWORD src1_sel:WORD_1
	v_cmp_gt_i32_e32 vcc_lo, s27, v104
	v_perm_b32 v63, v63, v65, 0x5040100
	v_cndmask_b32_e32 v66, 0, v64, vcc_lo
	s_mov_b32 vcc_lo, s2
	v_cndmask_b32_sdwa v64, v95, v64, vcc_lo dst_sel:DWORD dst_unused:UNUSED_PAD src0_sel:DWORD src1_sel:WORD_1
	v_perm_b32 v64, v64, v66, 0x5040100
	s_or_b32 exec_lo, exec_lo, s18
	global_load_dwordx4 v[65:68], v[21:22], off offset:512
	s_and_saveexec_b32 s18, s1
	s_cbranch_execz .LBB161_60
.LBB161_72:                             ;   in Loop: Header=BB161_42 Depth=1
	v_cmp_gt_i32_e64 s2, s27, v108
	v_cmp_gt_i32_e32 vcc_lo, s15, v111
	v_cmp_gt_i32_e64 s3, s27, v110
	s_waitcnt vmcnt(0)
	v_cndmask_b32_e64 v0, 0, v65, s2
	v_cmp_gt_i32_e64 s2, s15, v109
	v_cndmask_b32_sdwa v24, v95, v65, vcc_lo dst_sel:DWORD dst_unused:UNUSED_PAD src0_sel:DWORD src1_sel:WORD_1
	v_cndmask_b32_e64 v23, 0, v66, s3
	v_cmp_gt_i32_e64 s3, s15, v107
	s_mov_b32 vcc_lo, s2
	v_cmp_gt_i32_e64 s2, s15, v105
	v_cndmask_b32_sdwa v66, v95, v66, vcc_lo dst_sel:DWORD dst_unused:UNUSED_PAD src0_sel:DWORD src1_sel:WORD_1
	v_cmp_gt_i32_e32 vcc_lo, s27, v106
	v_perm_b32 v65, v24, v0, 0x5040100
	v_perm_b32 v66, v66, v23, 0x5040100
	v_cndmask_b32_e32 v69, 0, v67, vcc_lo
	s_mov_b32 vcc_lo, s3
	v_cndmask_b32_sdwa v67, v95, v67, vcc_lo dst_sel:DWORD dst_unused:UNUSED_PAD src0_sel:DWORD src1_sel:WORD_1
	v_cmp_gt_i32_e32 vcc_lo, s27, v104
	v_perm_b32 v67, v67, v69, 0x5040100
	v_cndmask_b32_e32 v70, 0, v68, vcc_lo
	s_mov_b32 vcc_lo, s2
	v_cndmask_b32_sdwa v68, v95, v68, vcc_lo dst_sel:DWORD dst_unused:UNUSED_PAD src0_sel:DWORD src1_sel:WORD_1
	v_perm_b32 v68, v68, v70, 0x5040100
	s_or_b32 exec_lo, exec_lo, s18
	global_load_dwordx4 v[69:72], v[21:22], off offset:1024
	s_and_saveexec_b32 s18, s1
	s_cbranch_execz .LBB161_61
.LBB161_73:                             ;   in Loop: Header=BB161_42 Depth=1
	v_cmp_gt_i32_e64 s2, s27, v108
	v_cmp_gt_i32_e32 vcc_lo, s15, v111
	v_cmp_gt_i32_e64 s3, s27, v110
	s_waitcnt vmcnt(0)
	v_cndmask_b32_e64 v0, 0, v69, s2
	v_cmp_gt_i32_e64 s2, s15, v109
	v_cndmask_b32_sdwa v24, v95, v69, vcc_lo dst_sel:DWORD dst_unused:UNUSED_PAD src0_sel:DWORD src1_sel:WORD_1
	v_cndmask_b32_e64 v23, 0, v70, s3
	v_cmp_gt_i32_e64 s3, s15, v107
	s_mov_b32 vcc_lo, s2
	v_cmp_gt_i32_e64 s2, s15, v105
	v_cndmask_b32_sdwa v70, v95, v70, vcc_lo dst_sel:DWORD dst_unused:UNUSED_PAD src0_sel:DWORD src1_sel:WORD_1
	v_cmp_gt_i32_e32 vcc_lo, s27, v106
	v_perm_b32 v69, v24, v0, 0x5040100
	v_perm_b32 v70, v70, v23, 0x5040100
	v_cndmask_b32_e32 v73, 0, v71, vcc_lo
	s_mov_b32 vcc_lo, s3
	v_cndmask_b32_sdwa v71, v95, v71, vcc_lo dst_sel:DWORD dst_unused:UNUSED_PAD src0_sel:DWORD src1_sel:WORD_1
	v_cmp_gt_i32_e32 vcc_lo, s27, v104
	v_perm_b32 v71, v71, v73, 0x5040100
	v_cndmask_b32_e32 v97, 0, v72, vcc_lo
	s_mov_b32 vcc_lo, s2
	v_cndmask_b32_sdwa v72, v95, v72, vcc_lo dst_sel:DWORD dst_unused:UNUSED_PAD src0_sel:DWORD src1_sel:WORD_1
	v_perm_b32 v72, v72, v97, 0x5040100
	s_or_b32 exec_lo, exec_lo, s18
	global_load_dwordx4 v[21:24], v[21:22], off offset:1536
	s_and_saveexec_b32 s3, s1
	s_cbranch_execz .LBB161_40
.LBB161_74:                             ;   in Loop: Header=BB161_42 Depth=1
	v_cmp_gt_i32_e64 s1, s27, v108
	v_cmp_gt_i32_e32 vcc_lo, s15, v111
	v_cmp_gt_i32_e64 s2, s27, v110
	s_waitcnt vmcnt(0)
	v_cndmask_b32_e64 v0, 0, v21, s1
	v_cmp_gt_i32_e64 s1, s15, v109
	v_cndmask_b32_sdwa v21, v95, v21, vcc_lo dst_sel:DWORD dst_unused:UNUSED_PAD src0_sel:DWORD src1_sel:WORD_1
	v_cndmask_b32_e64 v73, 0, v22, s2
	v_cmp_gt_i32_e64 s2, s15, v107
	s_mov_b32 vcc_lo, s1
	v_cmp_gt_i32_e64 s1, s15, v105
	v_cndmask_b32_sdwa v22, v95, v22, vcc_lo dst_sel:DWORD dst_unused:UNUSED_PAD src0_sel:DWORD src1_sel:WORD_1
	v_cmp_gt_i32_e32 vcc_lo, s27, v106
	v_perm_b32 v21, v21, v0, 0x5040100
	v_perm_b32 v22, v22, v73, 0x5040100
	v_cndmask_b32_e32 v97, 0, v23, vcc_lo
	s_mov_b32 vcc_lo, s2
	v_cndmask_b32_sdwa v23, v95, v23, vcc_lo dst_sel:DWORD dst_unused:UNUSED_PAD src0_sel:DWORD src1_sel:WORD_1
	v_cmp_gt_i32_e32 vcc_lo, s27, v104
	v_perm_b32 v23, v23, v97, 0x5040100
	v_cndmask_b32_e32 v98, 0, v24, vcc_lo
	s_mov_b32 vcc_lo, s1
	v_cndmask_b32_sdwa v24, v95, v24, vcc_lo dst_sel:DWORD dst_unused:UNUSED_PAD src0_sel:DWORD src1_sel:WORD_1
	v_perm_b32 v24, v24, v98, 0x5040100
	s_branch .LBB161_40
.LBB161_75:
	s_or_b32 exec_lo, exec_lo, s14
.LBB161_76:
	s_or_b32 exec_lo, exec_lo, s5
	ds_bpermute_b32 v6, v77, v87
	ds_bpermute_b32 v18, v77, v83
	;; [unrolled: 1-line block ×16, first 2 shown]
	s_mov_b32 s1, exec_lo
	s_waitcnt lgkmcnt(15)
	v_add_f32_e32 v10, v87, v6
	s_waitcnt lgkmcnt(14)
	v_add_f32_e32 v6, v83, v18
	buffer_load_dword v18, off, s[48:51], 0 offset:48 ; 4-byte Folded Reload
	s_waitcnt lgkmcnt(13)
	v_add_f32_e32 v9, v86, v7
	s_waitcnt lgkmcnt(12)
	v_add_f32_e32 v7, v84, v17
	v_lshrrev_b32_e32 v17, 1, v76
	s_waitcnt lgkmcnt(11)
	v_add_f32_e32 v16, v93, v0
	s_waitcnt lgkmcnt(10)
	v_add_f32_e32 v15, v92, v1
	;; [unrolled: 2-line block ×10, first 2 shown]
	v_and_b32_e32 v19, 0x3c1, v113
	s_waitcnt lgkmcnt(1)
	v_add_f32_e32 v3, v79, v22
	s_waitcnt lgkmcnt(0)
	v_add_f32_e32 v2, v78, v23
	v_lshl_add_u32 v0, v17, 2, 0x220
	s_waitcnt vmcnt(0)
	s_waitcnt_vscnt null, 0x0
	s_barrier
	buffer_gl0_inv
	v_lshlrev_b32_e32 v18, 10, v18
	v_cmpx_eq_u32_e32 64, v19
	s_cbranch_execz .LBB161_78
; %bb.77:
	v_add_nc_u32_e32 v19, v0, v18
	v_add_nc_u32_e32 v20, 0xfffff800, v19
	;; [unrolled: 1-line block ×7, first 2 shown]
	ds_write_b32 v20, v16
	ds_write_b32 v21, v15
	;; [unrolled: 1-line block ×6, first 2 shown]
	v_add_nc_u32_e32 v20, 0xfffff980, v19
	v_add_nc_u32_e32 v21, 0xfffff9c0, v19
	;; [unrolled: 1-line block ×5, first 2 shown]
	ds_write_b32 v20, v10
	ds_write_b32 v21, v9
	;; [unrolled: 1-line block ×5, first 2 shown]
	v_add_nc_u32_e32 v20, 0xfffffac0, v19
	v_add_nc_u32_e32 v21, 0xfffffb00, v19
	;; [unrolled: 1-line block ×5, first 2 shown]
	ds_write_b32 v20, v5
	ds_write_b32 v21, v4
	;; [unrolled: 1-line block ×5, first 2 shown]
.LBB161_78:
	s_or_b32 exec_lo, exec_lo, s1
	buffer_load_dword v19, off, s[48:51], 0 offset:52 ; 4-byte Folded Reload
	v_lshlrev_b32_e32 v17, 2, v17
	s_waitcnt vmcnt(0) lgkmcnt(0)
	s_barrier
	buffer_gl0_inv
	v_add3_u32 v17, 0x220, v18, v17
	v_cmp_eq_u32_e32 vcc_lo, 0, v19
	s_and_saveexec_b32 s1, s0
	s_cbranch_execz .LBB161_97
; %bb.79:
	s_and_saveexec_b32 s0, vcc_lo
	s_cbranch_execnz .LBB161_121
; %bb.80:
	s_or_b32 exec_lo, exec_lo, s0
	s_and_saveexec_b32 s0, vcc_lo
	s_cbranch_execnz .LBB161_122
.LBB161_81:
	s_or_b32 exec_lo, exec_lo, s0
	s_and_saveexec_b32 s0, vcc_lo
	s_cbranch_execnz .LBB161_123
.LBB161_82:
	s_or_b32 exec_lo, exec_lo, s0
	s_and_saveexec_b32 s0, vcc_lo
	s_cbranch_execnz .LBB161_124
.LBB161_83:
	s_or_b32 exec_lo, exec_lo, s0
	s_and_saveexec_b32 s0, vcc_lo
	s_cbranch_execnz .LBB161_125
.LBB161_84:
	s_or_b32 exec_lo, exec_lo, s0
	s_and_saveexec_b32 s0, vcc_lo
	s_cbranch_execnz .LBB161_126
.LBB161_85:
	s_or_b32 exec_lo, exec_lo, s0
	s_and_saveexec_b32 s0, vcc_lo
	s_cbranch_execnz .LBB161_127
.LBB161_86:
	s_or_b32 exec_lo, exec_lo, s0
	s_and_saveexec_b32 s0, vcc_lo
	s_cbranch_execnz .LBB161_128
.LBB161_87:
	s_or_b32 exec_lo, exec_lo, s0
	s_and_saveexec_b32 s0, vcc_lo
	s_cbranch_execnz .LBB161_129
.LBB161_88:
	s_or_b32 exec_lo, exec_lo, s0
	s_and_saveexec_b32 s0, vcc_lo
	s_cbranch_execnz .LBB161_130
.LBB161_89:
	s_or_b32 exec_lo, exec_lo, s0
	s_and_saveexec_b32 s0, vcc_lo
	s_cbranch_execnz .LBB161_131
.LBB161_90:
	s_or_b32 exec_lo, exec_lo, s0
	s_and_saveexec_b32 s0, vcc_lo
	s_cbranch_execnz .LBB161_132
.LBB161_91:
	s_or_b32 exec_lo, exec_lo, s0
	s_and_saveexec_b32 s0, vcc_lo
	s_cbranch_execnz .LBB161_133
.LBB161_92:
	s_or_b32 exec_lo, exec_lo, s0
	s_and_saveexec_b32 s0, vcc_lo
	s_cbranch_execnz .LBB161_134
.LBB161_93:
	s_or_b32 exec_lo, exec_lo, s0
	s_and_saveexec_b32 s0, vcc_lo
	s_cbranch_execnz .LBB161_135
.LBB161_94:
	s_or_b32 exec_lo, exec_lo, s0
	s_and_saveexec_b32 s0, vcc_lo
	s_cbranch_execz .LBB161_96
.LBB161_95:
	ds_read_b32 v18, v17 offset:960
	s_waitcnt lgkmcnt(0)
	v_add_f32_e32 v2, v2, v18
.LBB161_96:
	s_or_b32 exec_lo, exec_lo, s0
.LBB161_97:
	s_or_b32 exec_lo, exec_lo, s1
	v_and_b32_e32 v18, 0x3e1, v113
	s_mov_b32 s1, exec_lo
	s_barrier
	buffer_gl0_inv
	v_cmpx_eq_u32_e32 32, v18
	s_cbranch_execz .LBB161_99
; %bb.98:
	ds_write2_b32 v0, v16, v15 offset1:16
	ds_write2_b32 v0, v14, v13 offset0:32 offset1:48
	ds_write2_b32 v0, v12, v11 offset0:64 offset1:80
	;; [unrolled: 1-line block ×7, first 2 shown]
.LBB161_99:
	s_or_b32 exec_lo, exec_lo, s1
	s_mov_b32 s1, exec_lo
	s_waitcnt lgkmcnt(0)
	s_barrier
	buffer_gl0_inv
	v_cmpx_gt_u32_e32 32, v113
	s_cbranch_execz .LBB161_118
; %bb.100:
	s_and_saveexec_b32 s0, vcc_lo
	s_cbranch_execnz .LBB161_136
; %bb.101:
	s_or_b32 exec_lo, exec_lo, s0
	s_and_saveexec_b32 s0, vcc_lo
	s_cbranch_execnz .LBB161_137
.LBB161_102:
	s_or_b32 exec_lo, exec_lo, s0
	s_and_saveexec_b32 s0, vcc_lo
	s_cbranch_execnz .LBB161_138
.LBB161_103:
	s_or_b32 exec_lo, exec_lo, s0
	s_and_saveexec_b32 s0, vcc_lo
	s_cbranch_execnz .LBB161_139
.LBB161_104:
	s_or_b32 exec_lo, exec_lo, s0
	s_and_saveexec_b32 s0, vcc_lo
	s_cbranch_execnz .LBB161_140
.LBB161_105:
	s_or_b32 exec_lo, exec_lo, s0
	s_and_saveexec_b32 s0, vcc_lo
	s_cbranch_execnz .LBB161_141
.LBB161_106:
	s_or_b32 exec_lo, exec_lo, s0
	s_and_saveexec_b32 s0, vcc_lo
	s_cbranch_execnz .LBB161_142
.LBB161_107:
	s_or_b32 exec_lo, exec_lo, s0
	s_and_saveexec_b32 s0, vcc_lo
	s_cbranch_execnz .LBB161_143
.LBB161_108:
	s_or_b32 exec_lo, exec_lo, s0
	s_and_saveexec_b32 s0, vcc_lo
	s_cbranch_execnz .LBB161_144
.LBB161_109:
	s_or_b32 exec_lo, exec_lo, s0
	s_and_saveexec_b32 s0, vcc_lo
	s_cbranch_execnz .LBB161_145
.LBB161_110:
	s_or_b32 exec_lo, exec_lo, s0
	s_and_saveexec_b32 s0, vcc_lo
	s_cbranch_execnz .LBB161_146
.LBB161_111:
	s_or_b32 exec_lo, exec_lo, s0
	s_and_saveexec_b32 s0, vcc_lo
	s_cbranch_execnz .LBB161_147
.LBB161_112:
	s_or_b32 exec_lo, exec_lo, s0
	s_and_saveexec_b32 s0, vcc_lo
	s_cbranch_execnz .LBB161_148
.LBB161_113:
	s_or_b32 exec_lo, exec_lo, s0
	s_and_saveexec_b32 s0, vcc_lo
	s_cbranch_execnz .LBB161_149
.LBB161_114:
	s_or_b32 exec_lo, exec_lo, s0
	s_and_saveexec_b32 s0, vcc_lo
	s_cbranch_execnz .LBB161_150
.LBB161_115:
	s_or_b32 exec_lo, exec_lo, s0
	s_and_saveexec_b32 s0, vcc_lo
	s_cbranch_execz .LBB161_117
.LBB161_116:
	ds_read_b32 v0, v17 offset:960
	s_waitcnt lgkmcnt(0)
	v_add_f32_e32 v2, v2, v0
.LBB161_117:
	s_or_b32 exec_lo, exec_lo, s0
.LBB161_118:
	s_or_b32 exec_lo, exec_lo, s1
	s_barrier
	buffer_gl0_inv
	s_mov_b32 s0, exec_lo
	v_cmpx_eq_u32_e32 0, v18
	s_cbranch_execz .LBB161_120
; %bb.119:
	s_lshl_b32 s0, s4, 8
	s_mul_i32 s2, s7, s10
	s_ashr_i32 s1, s0, 31
	v_bfe_u32 v17, v16, 16, 1
	s_lshl_b64 s[0:1], s[0:1], 1
	v_or_b32_e32 v18, 0x400000, v16
	s_add_u32 s4, s24, s0
	s_addc_u32 s5, s25, s1
	s_ashr_i32 s3, s2, 31
	v_add3_u32 v17, v17, v16, 0x7fff
	s_lshl_b64 s[0:1], s[2:3], 1
	v_bfe_u32 v19, v15, 16, 1
	s_add_u32 s2, s4, s0
	v_cmp_u_f32_e32 vcc_lo, v16, v16
	s_addc_u32 s3, s5, s1
	s_lshl_b32 s0, s8, 8
	v_lshlrev_b32_e32 v0, 1, v112
	s_ashr_i32 s1, s0, 31
	v_cndmask_b32_e32 v16, v17, v18, vcc_lo
	s_lshl_b64 s[0:1], s[0:1], 1
	v_bfe_u32 v17, v14, 16, 1
	v_add3_u32 v18, v19, v15, 0x7fff
	v_or_b32_e32 v19, 0x400000, v15
	v_cmp_u_f32_e32 vcc_lo, v15, v15
	s_add_u32 s0, s2, s0
	s_addc_u32 s1, s3, s1
	global_store_short_d16_hi v0, v16, s[0:1]
	v_add3_u32 v16, v17, v14, 0x7fff
	v_or_b32_e32 v17, 0x400000, v14
	v_cndmask_b32_e32 v15, v18, v19, vcc_lo
	v_bfe_u32 v18, v13, 16, 1
	v_cmp_u_f32_e32 vcc_lo, v14, v14
	global_store_short_d16_hi v0, v15, s[0:1] offset:32
	v_add3_u32 v15, v18, v13, 0x7fff
	v_cndmask_b32_e32 v14, v16, v17, vcc_lo
	v_bfe_u32 v16, v12, 16, 1
	v_or_b32_e32 v17, 0x400000, v13
	v_cmp_u_f32_e32 vcc_lo, v13, v13
	global_store_short_d16_hi v0, v14, s[0:1] offset:64
	v_add3_u32 v14, v16, v12, 0x7fff
	v_or_b32_e32 v16, 0x400000, v12
	v_cndmask_b32_e32 v13, v15, v17, vcc_lo
	v_bfe_u32 v15, v11, 16, 1
	v_cmp_u_f32_e32 vcc_lo, v12, v12
	global_store_short_d16_hi v0, v13, s[0:1] offset:96
	v_add3_u32 v13, v15, v11, 0x7fff
	v_cndmask_b32_e32 v12, v14, v16, vcc_lo
	v_bfe_u32 v14, v10, 16, 1
	v_or_b32_e32 v15, 0x400000, v11
	v_cmp_u_f32_e32 vcc_lo, v11, v11
	global_store_short_d16_hi v0, v12, s[0:1] offset:128
	;; [unrolled: 12-line block ×4, first 2 shown]
	v_add3_u32 v8, v10, v6, 0x7fff
	v_or_b32_e32 v10, 0x400000, v6
	v_cndmask_b32_e32 v7, v9, v11, vcc_lo
	v_bfe_u32 v9, v5, 16, 1
	v_cmp_u_f32_e32 vcc_lo, v6, v6
	v_or_b32_e32 v11, 0x400000, v2
	global_store_short_d16_hi v0, v7, s[0:1] offset:288
	v_add3_u32 v7, v9, v5, 0x7fff
	v_cndmask_b32_e32 v6, v8, v10, vcc_lo
	v_bfe_u32 v8, v4, 16, 1
	v_or_b32_e32 v9, 0x400000, v5
	v_cmp_u_f32_e32 vcc_lo, v5, v5
	v_or_b32_e32 v10, 0x400000, v3
	global_store_short_d16_hi v0, v6, s[0:1] offset:320
	v_add3_u32 v6, v8, v4, 0x7fff
	v_or_b32_e32 v8, 0x400000, v4
	v_cndmask_b32_e32 v5, v7, v9, vcc_lo
	v_bfe_u32 v7, v1, 16, 1
	v_cmp_u_f32_e32 vcc_lo, v4, v4
	v_bfe_u32 v9, v3, 16, 1
	v_add3_u32 v7, v7, v1, 0x7fff
	v_cndmask_b32_e32 v4, v6, v8, vcc_lo
	v_or_b32_e32 v8, 0x400000, v1
	v_cmp_u_f32_e32 vcc_lo, v1, v1
	v_bfe_u32 v6, v2, 16, 1
	v_add3_u32 v9, v9, v3, 0x7fff
	v_cndmask_b32_e32 v1, v7, v8, vcc_lo
	v_cmp_u_f32_e32 vcc_lo, v3, v3
	v_add3_u32 v6, v6, v2, 0x7fff
	v_cndmask_b32_e32 v3, v9, v10, vcc_lo
	v_cmp_u_f32_e32 vcc_lo, v2, v2
	v_cndmask_b32_e32 v2, v6, v11, vcc_lo
	global_store_short_d16_hi v0, v5, s[0:1] offset:352
	global_store_short_d16_hi v0, v4, s[0:1] offset:384
	;; [unrolled: 1-line block ×5, first 2 shown]
.LBB161_120:
	s_endpgm
.LBB161_121:
	ds_read_b32 v18, v17
	s_waitcnt lgkmcnt(0)
	v_add_f32_e32 v16, v16, v18
	s_or_b32 exec_lo, exec_lo, s0
	s_and_saveexec_b32 s0, vcc_lo
	s_cbranch_execz .LBB161_81
.LBB161_122:
	ds_read_b32 v18, v17 offset:64
	s_waitcnt lgkmcnt(0)
	v_add_f32_e32 v15, v15, v18
	s_or_b32 exec_lo, exec_lo, s0
	s_and_saveexec_b32 s0, vcc_lo
	s_cbranch_execz .LBB161_82
.LBB161_123:
	ds_read_b32 v18, v17 offset:128
	s_waitcnt lgkmcnt(0)
	v_add_f32_e32 v14, v14, v18
	s_or_b32 exec_lo, exec_lo, s0
	s_and_saveexec_b32 s0, vcc_lo
	s_cbranch_execz .LBB161_83
.LBB161_124:
	ds_read_b32 v18, v17 offset:192
	s_waitcnt lgkmcnt(0)
	v_add_f32_e32 v13, v13, v18
	s_or_b32 exec_lo, exec_lo, s0
	s_and_saveexec_b32 s0, vcc_lo
	s_cbranch_execz .LBB161_84
.LBB161_125:
	ds_read_b32 v18, v17 offset:256
	s_waitcnt lgkmcnt(0)
	v_add_f32_e32 v12, v12, v18
	s_or_b32 exec_lo, exec_lo, s0
	s_and_saveexec_b32 s0, vcc_lo
	s_cbranch_execz .LBB161_85
.LBB161_126:
	ds_read_b32 v18, v17 offset:320
	s_waitcnt lgkmcnt(0)
	v_add_f32_e32 v11, v11, v18
	s_or_b32 exec_lo, exec_lo, s0
	s_and_saveexec_b32 s0, vcc_lo
	s_cbranch_execz .LBB161_86
.LBB161_127:
	ds_read_b32 v18, v17 offset:384
	s_waitcnt lgkmcnt(0)
	v_add_f32_e32 v10, v10, v18
	s_or_b32 exec_lo, exec_lo, s0
	s_and_saveexec_b32 s0, vcc_lo
	s_cbranch_execz .LBB161_87
.LBB161_128:
	ds_read_b32 v18, v17 offset:448
	s_waitcnt lgkmcnt(0)
	v_add_f32_e32 v9, v9, v18
	s_or_b32 exec_lo, exec_lo, s0
	s_and_saveexec_b32 s0, vcc_lo
	s_cbranch_execz .LBB161_88
.LBB161_129:
	ds_read_b32 v18, v17 offset:512
	s_waitcnt lgkmcnt(0)
	v_add_f32_e32 v8, v8, v18
	s_or_b32 exec_lo, exec_lo, s0
	s_and_saveexec_b32 s0, vcc_lo
	s_cbranch_execz .LBB161_89
.LBB161_130:
	ds_read_b32 v18, v17 offset:576
	s_waitcnt lgkmcnt(0)
	v_add_f32_e32 v7, v7, v18
	s_or_b32 exec_lo, exec_lo, s0
	s_and_saveexec_b32 s0, vcc_lo
	s_cbranch_execz .LBB161_90
.LBB161_131:
	ds_read_b32 v18, v17 offset:640
	s_waitcnt lgkmcnt(0)
	v_add_f32_e32 v6, v6, v18
	s_or_b32 exec_lo, exec_lo, s0
	s_and_saveexec_b32 s0, vcc_lo
	s_cbranch_execz .LBB161_91
.LBB161_132:
	ds_read_b32 v18, v17 offset:704
	s_waitcnt lgkmcnt(0)
	v_add_f32_e32 v5, v5, v18
	s_or_b32 exec_lo, exec_lo, s0
	s_and_saveexec_b32 s0, vcc_lo
	s_cbranch_execz .LBB161_92
.LBB161_133:
	ds_read_b32 v18, v17 offset:768
	s_waitcnt lgkmcnt(0)
	v_add_f32_e32 v4, v4, v18
	s_or_b32 exec_lo, exec_lo, s0
	s_and_saveexec_b32 s0, vcc_lo
	s_cbranch_execz .LBB161_93
.LBB161_134:
	ds_read_b32 v18, v17 offset:832
	s_waitcnt lgkmcnt(0)
	v_add_f32_e32 v1, v1, v18
	s_or_b32 exec_lo, exec_lo, s0
	s_and_saveexec_b32 s0, vcc_lo
	s_cbranch_execz .LBB161_94
.LBB161_135:
	ds_read_b32 v18, v17 offset:896
	s_waitcnt lgkmcnt(0)
	v_add_f32_e32 v3, v3, v18
	s_or_b32 exec_lo, exec_lo, s0
	s_and_saveexec_b32 s0, vcc_lo
	s_cbranch_execnz .LBB161_95
	s_branch .LBB161_96
.LBB161_136:
	ds_read_b32 v0, v17
	s_waitcnt lgkmcnt(0)
	v_add_f32_e32 v16, v16, v0
	s_or_b32 exec_lo, exec_lo, s0
	s_and_saveexec_b32 s0, vcc_lo
	s_cbranch_execz .LBB161_102
.LBB161_137:
	ds_read_b32 v0, v17 offset:64
	s_waitcnt lgkmcnt(0)
	v_add_f32_e32 v15, v15, v0
	s_or_b32 exec_lo, exec_lo, s0
	s_and_saveexec_b32 s0, vcc_lo
	s_cbranch_execz .LBB161_103
.LBB161_138:
	ds_read_b32 v0, v17 offset:128
	s_waitcnt lgkmcnt(0)
	v_add_f32_e32 v14, v14, v0
	s_or_b32 exec_lo, exec_lo, s0
	s_and_saveexec_b32 s0, vcc_lo
	s_cbranch_execz .LBB161_104
.LBB161_139:
	ds_read_b32 v0, v17 offset:192
	s_waitcnt lgkmcnt(0)
	v_add_f32_e32 v13, v13, v0
	s_or_b32 exec_lo, exec_lo, s0
	s_and_saveexec_b32 s0, vcc_lo
	s_cbranch_execz .LBB161_105
.LBB161_140:
	ds_read_b32 v0, v17 offset:256
	s_waitcnt lgkmcnt(0)
	v_add_f32_e32 v12, v12, v0
	s_or_b32 exec_lo, exec_lo, s0
	s_and_saveexec_b32 s0, vcc_lo
	s_cbranch_execz .LBB161_106
.LBB161_141:
	ds_read_b32 v0, v17 offset:320
	s_waitcnt lgkmcnt(0)
	v_add_f32_e32 v11, v11, v0
	s_or_b32 exec_lo, exec_lo, s0
	s_and_saveexec_b32 s0, vcc_lo
	s_cbranch_execz .LBB161_107
.LBB161_142:
	ds_read_b32 v0, v17 offset:384
	s_waitcnt lgkmcnt(0)
	v_add_f32_e32 v10, v10, v0
	s_or_b32 exec_lo, exec_lo, s0
	s_and_saveexec_b32 s0, vcc_lo
	s_cbranch_execz .LBB161_108
.LBB161_143:
	ds_read_b32 v0, v17 offset:448
	s_waitcnt lgkmcnt(0)
	v_add_f32_e32 v9, v9, v0
	s_or_b32 exec_lo, exec_lo, s0
	s_and_saveexec_b32 s0, vcc_lo
	s_cbranch_execz .LBB161_109
.LBB161_144:
	ds_read_b32 v0, v17 offset:512
	s_waitcnt lgkmcnt(0)
	v_add_f32_e32 v8, v8, v0
	s_or_b32 exec_lo, exec_lo, s0
	s_and_saveexec_b32 s0, vcc_lo
	s_cbranch_execz .LBB161_110
.LBB161_145:
	ds_read_b32 v0, v17 offset:576
	s_waitcnt lgkmcnt(0)
	v_add_f32_e32 v7, v7, v0
	s_or_b32 exec_lo, exec_lo, s0
	s_and_saveexec_b32 s0, vcc_lo
	s_cbranch_execz .LBB161_111
.LBB161_146:
	ds_read_b32 v0, v17 offset:640
	s_waitcnt lgkmcnt(0)
	v_add_f32_e32 v6, v6, v0
	s_or_b32 exec_lo, exec_lo, s0
	s_and_saveexec_b32 s0, vcc_lo
	s_cbranch_execz .LBB161_112
.LBB161_147:
	ds_read_b32 v0, v17 offset:704
	s_waitcnt lgkmcnt(0)
	v_add_f32_e32 v5, v5, v0
	s_or_b32 exec_lo, exec_lo, s0
	s_and_saveexec_b32 s0, vcc_lo
	s_cbranch_execz .LBB161_113
.LBB161_148:
	ds_read_b32 v0, v17 offset:768
	s_waitcnt lgkmcnt(0)
	v_add_f32_e32 v4, v4, v0
	s_or_b32 exec_lo, exec_lo, s0
	s_and_saveexec_b32 s0, vcc_lo
	s_cbranch_execz .LBB161_114
.LBB161_149:
	ds_read_b32 v0, v17 offset:832
	s_waitcnt lgkmcnt(0)
	v_add_f32_e32 v1, v1, v0
	s_or_b32 exec_lo, exec_lo, s0
	s_and_saveexec_b32 s0, vcc_lo
	s_cbranch_execz .LBB161_115
.LBB161_150:
	ds_read_b32 v0, v17 offset:896
	s_waitcnt lgkmcnt(0)
	v_add_f32_e32 v3, v3, v0
	s_or_b32 exec_lo, exec_lo, s0
	s_and_saveexec_b32 s0, vcc_lo
	s_cbranch_execnz .LBB161_116
	s_branch .LBB161_117
	.section	.rodata,"a",@progbits
	.p2align	6, 0x0
	.amdhsa_kernel _ZN4vllm25paged_attention_v2_kernelI14__hip_bfloat16S1_Li256ELi16ELi128ELNS_18Fp8KVCacheDataTypeE0ELb1ELi512EEEvPfS3_PT_PKS4_PKT0_SA_ifPKiSC_iPKfiiiSE_SE_iiiii
		.amdhsa_group_segment_fixed_size 544
		.amdhsa_private_segment_fixed_size 68
		.amdhsa_kernarg_size 400
		.amdhsa_user_sgpr_count 6
		.amdhsa_user_sgpr_private_segment_buffer 1
		.amdhsa_user_sgpr_dispatch_ptr 0
		.amdhsa_user_sgpr_queue_ptr 0
		.amdhsa_user_sgpr_kernarg_segment_ptr 1
		.amdhsa_user_sgpr_dispatch_id 0
		.amdhsa_user_sgpr_flat_scratch_init 0
		.amdhsa_user_sgpr_private_segment_size 0
		.amdhsa_wavefront_size32 1
		.amdhsa_uses_dynamic_stack 0
		.amdhsa_system_sgpr_private_segment_wavefront_offset 1
		.amdhsa_system_sgpr_workgroup_id_x 1
		.amdhsa_system_sgpr_workgroup_id_y 1
		.amdhsa_system_sgpr_workgroup_id_z 1
		.amdhsa_system_sgpr_workgroup_info 0
		.amdhsa_system_vgpr_workitem_id 0
		.amdhsa_next_free_vgpr 128
		.amdhsa_next_free_sgpr 52
		.amdhsa_reserve_vcc 1
		.amdhsa_reserve_flat_scratch 0
		.amdhsa_float_round_mode_32 0
		.amdhsa_float_round_mode_16_64 0
		.amdhsa_float_denorm_mode_32 3
		.amdhsa_float_denorm_mode_16_64 3
		.amdhsa_dx10_clamp 1
		.amdhsa_ieee_mode 1
		.amdhsa_fp16_overflow 0
		.amdhsa_workgroup_processor_mode 1
		.amdhsa_memory_ordered 1
		.amdhsa_forward_progress 1
		.amdhsa_shared_vgpr_count 0
		.amdhsa_exception_fp_ieee_invalid_op 0
		.amdhsa_exception_fp_denorm_src 0
		.amdhsa_exception_fp_ieee_div_zero 0
		.amdhsa_exception_fp_ieee_overflow 0
		.amdhsa_exception_fp_ieee_underflow 0
		.amdhsa_exception_fp_ieee_inexact 0
		.amdhsa_exception_int_div_zero 0
	.end_amdhsa_kernel
	.section	.text._ZN4vllm25paged_attention_v2_kernelI14__hip_bfloat16S1_Li256ELi16ELi128ELNS_18Fp8KVCacheDataTypeE0ELb1ELi512EEEvPfS3_PT_PKS4_PKT0_SA_ifPKiSC_iPKfiiiSE_SE_iiiii,"axG",@progbits,_ZN4vllm25paged_attention_v2_kernelI14__hip_bfloat16S1_Li256ELi16ELi128ELNS_18Fp8KVCacheDataTypeE0ELb1ELi512EEEvPfS3_PT_PKS4_PKT0_SA_ifPKiSC_iPKfiiiSE_SE_iiiii,comdat
.Lfunc_end161:
	.size	_ZN4vllm25paged_attention_v2_kernelI14__hip_bfloat16S1_Li256ELi16ELi128ELNS_18Fp8KVCacheDataTypeE0ELb1ELi512EEEvPfS3_PT_PKS4_PKT0_SA_ifPKiSC_iPKfiiiSE_SE_iiiii, .Lfunc_end161-_ZN4vllm25paged_attention_v2_kernelI14__hip_bfloat16S1_Li256ELi16ELi128ELNS_18Fp8KVCacheDataTypeE0ELb1ELi512EEEvPfS3_PT_PKS4_PKT0_SA_ifPKiSC_iPKfiiiSE_SE_iiiii
                                        ; -- End function
	.set _ZN4vllm25paged_attention_v2_kernelI14__hip_bfloat16S1_Li256ELi16ELi128ELNS_18Fp8KVCacheDataTypeE0ELb1ELi512EEEvPfS3_PT_PKS4_PKT0_SA_ifPKiSC_iPKfiiiSE_SE_iiiii.num_vgpr, 128
	.set _ZN4vllm25paged_attention_v2_kernelI14__hip_bfloat16S1_Li256ELi16ELi128ELNS_18Fp8KVCacheDataTypeE0ELb1ELi512EEEvPfS3_PT_PKS4_PKT0_SA_ifPKiSC_iPKfiiiSE_SE_iiiii.num_agpr, 0
	.set _ZN4vllm25paged_attention_v2_kernelI14__hip_bfloat16S1_Li256ELi16ELi128ELNS_18Fp8KVCacheDataTypeE0ELb1ELi512EEEvPfS3_PT_PKS4_PKT0_SA_ifPKiSC_iPKfiiiSE_SE_iiiii.numbered_sgpr, 52
	.set _ZN4vllm25paged_attention_v2_kernelI14__hip_bfloat16S1_Li256ELi16ELi128ELNS_18Fp8KVCacheDataTypeE0ELb1ELi512EEEvPfS3_PT_PKS4_PKT0_SA_ifPKiSC_iPKfiiiSE_SE_iiiii.num_named_barrier, 0
	.set _ZN4vllm25paged_attention_v2_kernelI14__hip_bfloat16S1_Li256ELi16ELi128ELNS_18Fp8KVCacheDataTypeE0ELb1ELi512EEEvPfS3_PT_PKS4_PKT0_SA_ifPKiSC_iPKfiiiSE_SE_iiiii.private_seg_size, 68
	.set _ZN4vllm25paged_attention_v2_kernelI14__hip_bfloat16S1_Li256ELi16ELi128ELNS_18Fp8KVCacheDataTypeE0ELb1ELi512EEEvPfS3_PT_PKS4_PKT0_SA_ifPKiSC_iPKfiiiSE_SE_iiiii.uses_vcc, 1
	.set _ZN4vllm25paged_attention_v2_kernelI14__hip_bfloat16S1_Li256ELi16ELi128ELNS_18Fp8KVCacheDataTypeE0ELb1ELi512EEEvPfS3_PT_PKS4_PKT0_SA_ifPKiSC_iPKfiiiSE_SE_iiiii.uses_flat_scratch, 0
	.set _ZN4vllm25paged_attention_v2_kernelI14__hip_bfloat16S1_Li256ELi16ELi128ELNS_18Fp8KVCacheDataTypeE0ELb1ELi512EEEvPfS3_PT_PKS4_PKT0_SA_ifPKiSC_iPKfiiiSE_SE_iiiii.has_dyn_sized_stack, 0
	.set _ZN4vllm25paged_attention_v2_kernelI14__hip_bfloat16S1_Li256ELi16ELi128ELNS_18Fp8KVCacheDataTypeE0ELb1ELi512EEEvPfS3_PT_PKS4_PKT0_SA_ifPKiSC_iPKfiiiSE_SE_iiiii.has_recursion, 0
	.set _ZN4vllm25paged_attention_v2_kernelI14__hip_bfloat16S1_Li256ELi16ELi128ELNS_18Fp8KVCacheDataTypeE0ELb1ELi512EEEvPfS3_PT_PKS4_PKT0_SA_ifPKiSC_iPKfiiiSE_SE_iiiii.has_indirect_call, 0
	.section	.AMDGPU.csdata,"",@progbits
; Kernel info:
; codeLenInByte = 20236
; TotalNumSgprs: 54
; NumVgprs: 128
; ScratchSize: 68
; MemoryBound: 0
; FloatMode: 240
; IeeeMode: 1
; LDSByteSize: 544 bytes/workgroup (compile time only)
; SGPRBlocks: 0
; VGPRBlocks: 15
; NumSGPRsForWavesPerEU: 54
; NumVGPRsForWavesPerEU: 128
; Occupancy: 8
; WaveLimiterHint : 1
; COMPUTE_PGM_RSRC2:SCRATCH_EN: 1
; COMPUTE_PGM_RSRC2:USER_SGPR: 6
; COMPUTE_PGM_RSRC2:TRAP_HANDLER: 0
; COMPUTE_PGM_RSRC2:TGID_X_EN: 1
; COMPUTE_PGM_RSRC2:TGID_Y_EN: 1
; COMPUTE_PGM_RSRC2:TGID_Z_EN: 1
; COMPUTE_PGM_RSRC2:TIDIG_COMP_CNT: 0
	.section	.text._ZN4vllm25paged_attention_v2_kernelI14__hip_bfloat16S1_Li32ELi16ELi128ELNS_18Fp8KVCacheDataTypeE0ELb0ELi512EEEvPfS3_PT_PKS4_PKT0_SA_ifPKiSC_iPKfiiiSE_SE_iiiii,"axG",@progbits,_ZN4vllm25paged_attention_v2_kernelI14__hip_bfloat16S1_Li32ELi16ELi128ELNS_18Fp8KVCacheDataTypeE0ELb0ELi512EEEvPfS3_PT_PKS4_PKT0_SA_ifPKiSC_iPKfiiiSE_SE_iiiii,comdat
	.protected	_ZN4vllm25paged_attention_v2_kernelI14__hip_bfloat16S1_Li32ELi16ELi128ELNS_18Fp8KVCacheDataTypeE0ELb0ELi512EEEvPfS3_PT_PKS4_PKT0_SA_ifPKiSC_iPKfiiiSE_SE_iiiii ; -- Begin function _ZN4vllm25paged_attention_v2_kernelI14__hip_bfloat16S1_Li32ELi16ELi128ELNS_18Fp8KVCacheDataTypeE0ELb0ELi512EEEvPfS3_PT_PKS4_PKT0_SA_ifPKiSC_iPKfiiiSE_SE_iiiii
	.globl	_ZN4vllm25paged_attention_v2_kernelI14__hip_bfloat16S1_Li32ELi16ELi128ELNS_18Fp8KVCacheDataTypeE0ELb0ELi512EEEvPfS3_PT_PKS4_PKT0_SA_ifPKiSC_iPKfiiiSE_SE_iiiii
	.p2align	8
	.type	_ZN4vllm25paged_attention_v2_kernelI14__hip_bfloat16S1_Li32ELi16ELi128ELNS_18Fp8KVCacheDataTypeE0ELb0ELi512EEEvPfS3_PT_PKS4_PKT0_SA_ifPKiSC_iPKfiiiSE_SE_iiiii,@function
_ZN4vllm25paged_attention_v2_kernelI14__hip_bfloat16S1_Li32ELi16ELi128ELNS_18Fp8KVCacheDataTypeE0ELb0ELi512EEEvPfS3_PT_PKS4_PKT0_SA_ifPKiSC_iPKfiiiSE_SE_iiiii: ; @_ZN4vllm25paged_attention_v2_kernelI14__hip_bfloat16S1_Li32ELi16ELi128ELNS_18Fp8KVCacheDataTypeE0ELb0ELi512EEEvPfS3_PT_PKS4_PKT0_SA_ifPKiSC_iPKfiiiSE_SE_iiiii
; %bb.0:
	s_load_dwordx2 s[0:1], s[4:5], 0x40
	s_mov_b32 s22, s7
	s_ashr_i32 s23, s7, 31
	s_lshl_b64 s[2:3], s[22:23], 2
	s_waitcnt lgkmcnt(0)
	s_add_u32 s0, s0, s2
	s_addc_u32 s1, s1, s3
	s_lshl_b32 s33, s8, 9
	s_load_dword s23, s[0:1], 0x0
	s_waitcnt lgkmcnt(0)
	s_cmp_ge_i32 s33, s23
	s_cbranch_scc1 .LBB162_56
; %bb.1:
	s_clause 0x1
	s_load_dword s9, s[4:5], 0x90
	s_load_dwordx2 s[30:31], s[4:5], 0x30
	s_mov_b32 s34, 0
	s_waitcnt lgkmcnt(0)
	s_abs_i32 s3, s9
	s_abs_i32 s0, s30
	v_cvt_f32_u32_e32 v1, s0
	s_sub_i32 s2, 0, s0
	v_rcp_iflag_f32_e32 v1, v1
	v_mul_f32_e32 v1, 0x4f7ffffe, v1
	v_cvt_u32_f32_e32 v1, v1
	v_readfirstlane_b32 s1, v1
	s_mul_i32 s2, s2, s1
	s_mul_hi_u32 s2, s1, s2
	s_add_i32 s1, s1, s2
	s_xor_b32 s2, s9, s30
	s_mul_hi_u32 s1, s3, s1
	s_ashr_i32 s2, s2, 31
	s_mul_i32 s7, s1, s0
	s_sub_i32 s3, s3, s7
	s_add_i32 s7, s1, 1
	s_sub_i32 s10, s3, s0
	s_cmp_ge_u32 s3, s0
	s_cselect_b32 s1, s7, s1
	s_cselect_b32 s3, s10, s3
	s_add_i32 s7, s1, 1
	s_cmp_ge_u32 s3, s0
	s_cselect_b32 s0, s7, s1
	s_abs_i32 s16, s6
	s_xor_b32 s0, s0, s2
	s_sub_i32 s10, s0, s2
	s_load_dwordx2 s[0:1], s[4:5], 0x50
	s_abs_i32 s2, s10
	v_cvt_f32_u32_e32 v1, s2
	s_sub_i32 s7, 0, s2
	v_rcp_iflag_f32_e32 v1, v1
	v_mul_f32_e32 v1, 0x4f7ffffe, v1
	v_cvt_u32_f32_e32 v1, v1
	v_readfirstlane_b32 s3, v1
	s_mul_i32 s7, s7, s3
	s_mul_hi_u32 s7, s3, s7
	s_add_i32 s3, s3, s7
	s_waitcnt lgkmcnt(0)
	s_cmp_eq_u64 s[0:1], 0
	s_mul_hi_u32 s3, s16, s3
	s_cbranch_scc1 .LBB162_3
; %bb.2:
	s_ashr_i32 s7, s6, 31
	s_lshl_b64 s[12:13], s[6:7], 2
	s_add_u32 s0, s0, s12
	s_addc_u32 s1, s1, s13
	s_load_dword s34, s[0:1], 0x0
.LBB162_3:
	s_load_dwordx4 s[12:15], s[4:5], 0x58
	v_lshrrev_b32_e32 v20, 1, v0
	v_and_b32_e32 v21, 1, v0
	v_lshlrev_b32_e32 v3, 3, v0
	s_ashr_i32 s0, s6, 31
	s_ashr_i32 s1, s10, 31
	s_lshl_b32 s10, s6, 5
	s_mov_b32 s7, exec_lo
	v_cmpx_gt_u32_e32 8, v0
	s_cbranch_execz .LBB162_5
; %bb.4:
	s_load_dwordx2 s[18:19], s[4:5], 0x18
	s_waitcnt lgkmcnt(0)
	s_mul_i32 s20, s12, s22
	v_lshlrev_b32_e32 v4, 3, v20
	s_ashr_i32 s21, s20, 31
	s_lshl_b64 s[20:21], s[20:21], 1
	v_lshl_add_u32 v4, v21, 5, v4
	s_add_u32 s12, s18, s20
	s_addc_u32 s15, s19, s21
	s_ashr_i32 s11, s10, 31
	s_lshl_b64 s[18:19], s[10:11], 1
	s_add_u32 s18, s12, s18
	s_addc_u32 s19, s15, s19
	global_load_dwordx2 v[1:2], v3, s[18:19]
	s_waitcnt vmcnt(0)
	ds_write_b64 v4, v[1:2]
.LBB162_5:
	s_or_b32 exec_lo, exec_lo, s7
	s_add_i32 s7, s23, 15
	s_load_dwordx2 s[24:25], s[4:5], 0x38
	s_waitcnt lgkmcnt(0)
	s_load_dword s15, s[4:5], 0x48
	s_ashr_i32 s11, s7, 31
	s_lshl_b32 s12, s8, 5
	s_lshr_b32 s11, s11, 28
	s_xor_b32 s0, s0, s1
	s_add_i32 s7, s7, s11
	s_add_i32 s1, s12, 32
	s_ashr_i32 s30, s7, 4
	s_mul_i32 s7, s3, s2
	s_min_i32 s11, s1, s30
	s_sub_i32 s1, s16, s7
	s_add_i32 s7, s3, 1
	s_sub_i32 s16, s1, s2
	s_cmp_ge_u32 s1, s2
	v_lshrrev_b32_e32 v22, 5, v0
	s_cselect_b32 s3, s7, s3
	s_cselect_b32 s1, s16, s1
	s_add_i32 s7, s3, 1
	s_cmp_ge_u32 s1, s2
	v_or_b32_e32 v17, s12, v22
	s_cselect_b32 s1, s7, s3
	v_mbcnt_lo_u32_b32 v5, -1, 0
	s_xor_b32 s1, s1, s0
	s_waitcnt lgkmcnt(0)
	s_mul_i32 s26, s15, s22
	s_sub_i32 s1, s1, s0
	v_cmp_gt_i32_e64 s0, s11, v17
	s_ashr_i32 s27, s26, 31
	s_mov_b32 s2, exec_lo
	s_barrier
	buffer_gl0_inv
                                        ; implicit-def: $vgpr6
                                        ; implicit-def: $vgpr7
	v_cmpx_le_i32_e64 s11, v17
	s_xor_b32 s2, exec_lo, s2
; %bb.6:
	v_mov_b32_e32 v6, 0
	v_mbcnt_lo_u32_b32 v5, -1, 0
	v_mov_b32_e32 v7, 32
; %bb.7:
	s_or_saveexec_b32 s35, s2
	s_clause 0x3
	s_load_dwordx4 s[16:19], s[4:5], 0x0
	s_load_dwordx2 s[20:21], s[4:5], 0x10
	s_load_dwordx2 s[28:29], s[4:5], 0x28
	s_load_dword s7, s[4:5], 0x98
	v_mov_b32_e32 v25, 0xff7fffff
	v_ashrrev_i32_e32 v18, 31, v17
	v_lshlrev_b32_e32 v4, 4, v22
	s_mul_i32 s14, s1, s14
	s_xor_b32 exec_lo, exec_lo, s35
	s_cbranch_execz .LBB162_13
; %bb.8:
	s_load_dwordx2 s[2:3], s[4:5], 0x20
	v_lshlrev_b32_e32 v1, 5, v21
	v_bfe_u32 v2, v0, 1, 4
	s_ashr_i32 s15, s14, 31
	v_and_b32_e32 v7, 8, v3
	s_lshl_b64 s[4:5], s[14:15], 1
	ds_read_b128 v[12:15], v1
	ds_read_b128 v[28:31], v1 offset:16
	v_lshlrev_b32_e32 v1, 4, v2
	v_lshlrev_b32_e32 v25, 2, v2
	v_add3_u32 v33, s33, v4, v2
	v_mov_b32_e32 v6, 0
	v_mov_b32_e32 v35, v17
	s_mov_b32 s15, s13
	v_lshl_or_b32 v25, v22, 6, v25
	v_add_nc_u32_e32 v34, 0x60, v25
	s_waitcnt lgkmcnt(0)
	s_add_u32 s1, s2, s4
	s_addc_u32 s2, s3, s5
	v_add_co_u32 v1, s1, s1, v1
	v_add_co_ci_u32_e64 v23, null, s2, 0, s1
	s_lshl_b64 s[2:3], s[26:27], 2
	v_add_co_u32 v19, vcc_lo, v1, v7
	v_xor_b32_e32 v1, 1, v5
	v_add_co_ci_u32_e64 v23, null, 0, v23, vcc_lo
	s_sub_i32 s4, 1, s23
	s_add_u32 s2, s24, s2
	v_cmp_gt_i32_e32 vcc_lo, 32, v1
	s_addc_u32 s3, s25, s3
	v_lshlrev_b32_e32 v8, 16, v12
	v_and_b32_e32 v9, 0xffff0000, v12
	v_lshlrev_b32_e32 v10, 16, v13
	v_cndmask_b32_e32 v1, v5, v1, vcc_lo
	v_and_b32_e32 v11, 0xffff0000, v13
	v_lshlrev_b32_e32 v12, 16, v14
	v_and_b32_e32 v13, 0xffff0000, v14
	v_lshlrev_b32_e32 v14, 16, v15
	v_lshlrev_b32_e32 v32, 2, v1
	v_lshlrev_b64 v[1:2], 2, v[17:18]
	v_and_b32_e32 v15, 0xffff0000, v15
	v_lshlrev_b32_e32 v16, 16, v28
	v_and_b32_e32 v24, 0xffff0000, v28
	v_lshlrev_b32_e32 v26, 16, v29
	v_and_b32_e32 v27, 0xffff0000, v29
	v_add_co_u32 v1, s2, s2, v1
	v_lshlrev_b32_e32 v28, 16, v30
	v_and_b32_e32 v29, 0xffff0000, v30
	v_lshlrev_b32_e32 v30, 16, v31
	v_and_b32_e32 v31, 0xffff0000, v31
	v_mov_b32_e32 v7, 32
	v_cmp_neq_f32_e64 s1, s34, 0
	v_add_co_ci_u32_e64 v2, null, s3, v2, s2
	v_mov_b32_e32 v25, 0xff7fffff
	s_mov_b32 s5, 0
	v_cmp_eq_u32_e32 vcc_lo, 0, v21
	s_branch .LBB162_10
.LBB162_9:                              ;   in Loop: Header=BB162_10 Depth=1
	s_or_b32 exec_lo, exec_lo, s3
	v_add_nc_u32_e32 v35, 4, v35
	v_add_co_u32 v1, s3, v1, 16
	v_add_nc_u32_e32 v33, 64, v33
	v_add_nc_u32_e32 v34, 0x100, v34
	v_cmp_le_i32_e64 s2, s11, v35
	v_add_co_ci_u32_e64 v2, null, 0, v2, s3
	s_or_b32 s5, s2, s5
	s_andn2_b32 exec_lo, exec_lo, s5
	s_cbranch_execz .LBB162_12
.LBB162_10:                             ; =>This Inner Loop Header: Depth=1
	global_load_dword v36, v[1:2], off
	s_waitcnt vmcnt(0) lgkmcnt(0)
	v_mad_i64_i32 v[36:37], null, v36, s15, 0
	v_lshlrev_b64 v[36:37], 1, v[36:37]
	v_add_co_u32 v36, s2, v19, v36
	v_add_co_ci_u32_e64 v37, null, v23, v37, s2
	s_clause 0x3
	global_load_dwordx2 v[38:39], v[36:37], off
	global_load_dwordx2 v[40:41], v[36:37], off offset:256
	global_load_dwordx2 v[42:43], v[36:37], off offset:512
	;; [unrolled: 1-line block ×3, first 2 shown]
	s_waitcnt vmcnt(3)
	v_lshlrev_b32_e32 v44, 16, v38
	s_waitcnt vmcnt(2)
	v_lshlrev_b32_e32 v46, 16, v40
	v_and_b32_e32 v40, 0xffff0000, v40
	v_and_b32_e32 v38, 0xffff0000, v38
	v_lshlrev_b32_e32 v47, 16, v41
	v_lshlrev_b32_e32 v45, 16, v39
	v_mul_f32_e32 v46, v12, v46
	v_mul_f32_e32 v40, v13, v40
	v_and_b32_e32 v41, 0xffff0000, v41
	s_waitcnt vmcnt(1)
	v_lshlrev_b32_e32 v48, 16, v42
	v_and_b32_e32 v42, 0xffff0000, v42
	v_mul_f32_e32 v47, v14, v47
	v_fmac_f32_e32 v46, v8, v44
	v_fmac_f32_e32 v40, v9, v38
	v_and_b32_e32 v39, 0xffff0000, v39
	v_lshlrev_b32_e32 v49, 16, v43
	s_waitcnt vmcnt(0)
	v_lshlrev_b32_e32 v50, 16, v36
	v_and_b32_e32 v36, 0xffff0000, v36
	v_mul_f32_e32 v38, v15, v41
	v_fmac_f32_e32 v47, v10, v45
	v_fmac_f32_e32 v46, v16, v48
	;; [unrolled: 1-line block ×3, first 2 shown]
	v_and_b32_e32 v43, 0xffff0000, v43
	v_lshlrev_b32_e32 v41, 16, v37
	v_fmac_f32_e32 v38, v11, v39
	v_fmac_f32_e32 v47, v26, v49
	;; [unrolled: 1-line block ×4, first 2 shown]
	v_and_b32_e32 v36, 0xffff0000, v37
	v_fmac_f32_e32 v38, v27, v43
	v_fmac_f32_e32 v47, v30, v41
	v_add_f32_e32 v37, v46, v40
	v_fmac_f32_e32 v38, v31, v36
	v_add_f32_e32 v36, v37, v47
	v_add_f32_e32 v36, v38, v36
	ds_bpermute_b32 v37, v32, v36
	s_and_saveexec_b32 s3, vcc_lo
	s_cbranch_execz .LBB162_9
; %bb.11:                               ;   in Loop: Header=BB162_10 Depth=1
	v_add_nc_u32_e32 v38, s4, v33
	s_waitcnt lgkmcnt(0)
	v_add_f32_e32 v36, v36, v37
	v_cmp_gt_i32_e64 s2, s23, v33
	v_cvt_f32_i32_e32 v38, v38
	v_mul_f32_e32 v38, s34, v38
	v_cndmask_b32_e64 v37, 0, v38, s1
	v_max_f32_e32 v38, v25, v25
	v_fmac_f32_e32 v37, s31, v36
	v_max_f32_e32 v36, v38, v37
	v_cndmask_b32_e64 v37, 0, v37, s2
	v_cndmask_b32_e64 v25, v25, v36, s2
	ds_write_b32 v34, v37
	s_branch .LBB162_9
.LBB162_12:
	s_or_b32 exec_lo, exec_lo, s5
.LBB162_13:
	s_or_b32 exec_lo, exec_lo, s35
	v_xor_b32_e32 v1, 16, v5
	v_xor_b32_e32 v2, 8, v5
	v_max_f32_e32 v10, v25, v25
	v_xor_b32_e32 v11, 2, v5
	v_and_b32_e32 v23, 31, v0
	v_cmp_lt_i32_e32 vcc_lo, v1, v7
	v_cndmask_b32_e32 v1, v5, v1, vcc_lo
	v_cmp_lt_i32_e32 vcc_lo, v2, v7
	v_lshlrev_b32_e32 v8, 2, v1
	v_cndmask_b32_e32 v2, v5, v2, vcc_lo
	ds_bpermute_b32 v1, v8, v25
	v_lshlrev_b32_e32 v9, 2, v2
	s_waitcnt lgkmcnt(0)
	v_max_f32_e32 v1, v1, v1
	v_max_f32_e32 v1, v10, v1
	v_xor_b32_e32 v10, 4, v5
	ds_bpermute_b32 v2, v9, v1
	v_cmp_lt_i32_e32 vcc_lo, v10, v7
	v_cndmask_b32_e32 v10, v5, v10, vcc_lo
	v_cmp_lt_i32_e32 vcc_lo, v11, v7
	v_lshlrev_b32_e32 v10, 2, v10
	v_cndmask_b32_e32 v11, v5, v11, vcc_lo
	v_cmp_eq_u32_e32 vcc_lo, 0, v23
	s_waitcnt lgkmcnt(0)
	v_max_f32_e32 v2, v2, v2
	v_max_f32_e32 v1, v1, v2
	ds_bpermute_b32 v2, v10, v1
	s_waitcnt lgkmcnt(0)
	v_max_f32_e32 v2, v2, v2
	v_max_f32_e32 v1, v1, v2
	v_lshlrev_b32_e32 v2, 2, v11
	v_lshlrev_b32_e32 v11, 2, v22
	ds_bpermute_b32 v12, v2, v1
	s_and_saveexec_b32 s1, vcc_lo
	s_cbranch_execz .LBB162_15
; %bb.14:
	s_waitcnt lgkmcnt(0)
	v_max_f32_e32 v12, v12, v12
	v_max_f32_e32 v1, v1, v1
	;; [unrolled: 1-line block ×3, first 2 shown]
	ds_write_b32 v11, v1 offset:64
.LBB162_15:
	s_or_b32 exec_lo, exec_lo, s1
	v_cmp_gt_u32_e64 s1, 4, v23
	v_mov_b32_e32 v1, 0xff7fffff
	s_waitcnt lgkmcnt(0)
	v_lshlrev_b32_e32 v12, 2, v23
	s_barrier
	buffer_gl0_inv
	s_and_saveexec_b32 s2, s1
; %bb.16:
	ds_read_b32 v1, v12 offset:64
; %bb.17:
	s_or_b32 exec_lo, exec_lo, s2
	s_waitcnt lgkmcnt(0)
	ds_bpermute_b32 v13, v2, v1
	v_xor_b32_e32 v14, 1, v5
	v_max_f32_e32 v1, v1, v1
	v_lshlrev_b32_e32 v6, 2, v6
	v_cmp_lt_i32_e64 s2, v14, v7
	v_cndmask_b32_e64 v7, v5, v14, s2
	s_sub_i32 s2, s11, s12
	s_lshl_b32 s2, s2, 4
	v_lshlrev_b32_e32 v24, 2, v7
	s_add_i32 s2, s2, s33
	s_min_i32 s2, s2, s23
	s_waitcnt lgkmcnt(0)
	v_max_f32_e32 v13, v13, v13
	s_sub_i32 s4, s2, s33
	v_cmp_gt_i32_e64 s2, s4, v0
	v_max_f32_e32 v1, v1, v13
	ds_bpermute_b32 v7, v24, v1
	s_waitcnt lgkmcnt(0)
	v_max_f32_e32 v7, v7, v7
	v_max_f32_e32 v1, v1, v7
	v_mov_b32_e32 v7, 0
	ds_bpermute_b32 v1, v6, v1
	v_lshl_add_u32 v6, v0, 2, 0x60
	s_and_saveexec_b32 s5, s2
	s_cbranch_execz .LBB162_21
; %bb.18:
	v_lshl_add_u32 v13, v0, 2, 0x60
	v_mov_b32_e32 v7, 0
	v_mov_b32_e32 v14, v0
	s_mov_b32 s15, 0
	.p2align	6
.LBB162_19:                             ; =>This Inner Loop Header: Depth=1
	ds_read_b32 v15, v13
	v_add_nc_u32_e32 v14, 0x80, v14
	v_cmp_le_i32_e64 s3, s4, v14
	s_or_b32 s15, s3, s15
	s_waitcnt lgkmcnt(0)
	v_sub_f32_e32 v15, v15, v1
	v_mul_f32_e32 v15, 0x3fb8aa3b, v15
	v_exp_f32_e32 v15, v15
	ds_write_b32 v13, v15
	v_add_f32_e32 v7, v7, v15
	v_add_nc_u32_e32 v13, 0x200, v13
	s_andn2_b32 exec_lo, exec_lo, s15
	s_cbranch_execnz .LBB162_19
; %bb.20:
	s_or_b32 exec_lo, exec_lo, s15
.LBB162_21:
	s_or_b32 exec_lo, exec_lo, s5
	ds_bpermute_b32 v8, v8, v7
	s_waitcnt lgkmcnt(0)
	v_add_f32_e32 v7, v7, v8
	ds_bpermute_b32 v8, v9, v7
	s_waitcnt lgkmcnt(0)
	v_add_f32_e32 v7, v7, v8
	ds_bpermute_b32 v8, v10, v7
	s_waitcnt lgkmcnt(0)
	v_add_f32_e32 v7, v7, v8
	ds_bpermute_b32 v8, v2, v7
	s_waitcnt lgkmcnt(0)
	v_add_f32_e32 v7, v7, v8
	ds_bpermute_b32 v8, v24, v7
	s_waitcnt lgkmcnt(0)
	v_add_f32_e32 v7, v7, v8
	s_and_saveexec_b32 s3, vcc_lo
; %bb.22:
	ds_write_b32 v11, v7 offset:80
; %bb.23:
	s_or_b32 exec_lo, exec_lo, s3
	s_waitcnt lgkmcnt(0)
	s_barrier
	buffer_gl0_inv
	s_and_saveexec_b32 s3, s1
; %bb.24:
	ds_read_b32 v7, v12 offset:80
; %bb.25:
	s_or_b32 exec_lo, exec_lo, s3
	s_waitcnt lgkmcnt(0)
	ds_bpermute_b32 v2, v2, v7
	v_lshlrev_b32_e32 v5, 2, v5
	v_and_b32_e32 v5, 0xffffff80, v5
	s_waitcnt lgkmcnt(0)
	v_add_f32_e32 v2, v7, v2
	ds_bpermute_b32 v7, v24, v2
	s_waitcnt lgkmcnt(0)
	v_add_f32_e32 v2, v2, v7
	ds_bpermute_b32 v2, v5, v2
	s_and_saveexec_b32 s1, s2
	s_cbranch_execz .LBB162_28
; %bb.26:
	s_waitcnt lgkmcnt(0)
	v_add_f32_e32 v5, 0x358637bd, v2
	s_mov_b32 s2, 0
	v_div_scale_f32 v7, null, v5, v5, 1.0
	v_div_scale_f32 v10, vcc_lo, 1.0, v5, 1.0
	v_rcp_f32_e32 v8, v7
	v_fma_f32 v9, -v7, v8, 1.0
	v_fmac_f32_e32 v8, v9, v8
	v_mul_f32_e32 v9, v10, v8
	v_fma_f32 v11, -v7, v9, v10
	v_fmac_f32_e32 v9, v11, v8
	v_fma_f32 v7, -v7, v9, v10
	v_div_fmas_f32 v7, v7, v8, v9
	v_div_fixup_f32 v5, v7, v5, 1.0
	v_mov_b32_e32 v7, v0
.LBB162_27:                             ; =>This Inner Loop Header: Depth=1
	ds_read_b32 v8, v6
	v_add_nc_u32_e32 v7, 0x80, v7
	v_cmp_le_i32_e32 vcc_lo, s4, v7
	s_or_b32 s2, vcc_lo, s2
	s_waitcnt lgkmcnt(0)
	v_mul_f32_e32 v8, v5, v8
	ds_write_b32 v6, v8
	v_add_nc_u32_e32 v6, 0x200, v6
	s_andn2_b32 exec_lo, exec_lo, s2
	s_cbranch_execnz .LBB162_27
.LBB162_28:
	s_or_b32 exec_lo, exec_lo, s1
	s_mul_i32 s1, s7, s22
	s_waitcnt lgkmcnt(0)
	s_mul_i32 s4, s1, s9
	s_mov_b32 s1, exec_lo
	s_barrier
	buffer_gl0_inv
	v_cmpx_eq_u32_e32 0, v0
	s_cbranch_execz .LBB162_30
; %bb.29:
	s_ashr_i32 s5, s4, 31
	s_mul_i32 s34, s7, s6
	s_lshl_b64 s[2:3], s[4:5], 2
	v_mov_b32_e32 v5, 0
	s_add_u32 s5, s18, s2
	s_addc_u32 s6, s19, s3
	s_ashr_i32 s35, s34, 31
	s_lshl_b64 s[18:19], s[34:35], 2
	s_add_u32 s5, s5, s18
	s_addc_u32 s6, s6, s19
	s_ashr_i32 s9, s8, 31
	s_lshl_b64 s[8:9], s[8:9], 2
	s_add_u32 s34, s5, s8
	s_addc_u32 s35, s6, s9
	s_add_u32 s2, s16, s2
	s_addc_u32 s3, s17, s3
	;; [unrolled: 2-line block ×4, first 2 shown]
	global_store_dword v5, v1, s[34:35]
	global_store_dword v5, v2, s[2:3]
.LBB162_30:
	s_or_b32 exec_lo, exec_lo, s1
	v_mov_b32_e32 v25, 0
	v_mov_b32_e32 v26, 0
	s_and_saveexec_b32 s3, s0
	s_cbranch_execz .LBB162_38
; %bb.31:
	v_lshlrev_b32_e32 v1, 4, v0
	s_ashr_i32 s15, s14, 31
	v_and_b32_e32 v2, 8, v3
	s_lshl_b64 s[0:1], s[14:15], 1
	v_lshlrev_b32_e32 v3, 5, v21
	v_and_b32_e32 v1, 0x1f0, v1
	s_add_u32 s0, s28, s0
	s_addc_u32 s1, s29, s1
	v_add3_u32 v30, s33, v4, v2
	s_add_i32 s30, s30, -1
	v_add_co_u32 v28, s0, s0, v1
	v_lshlrev_b64 v[1:2], 2, v[17:18]
	v_add_co_ci_u32_e64 v29, null, s1, 0, s0
	s_lshl_b64 s[0:1], s[26:27], 2
	v_lshl_or_b32 v3, v22, 6, v3
	s_add_u32 s0, s24, s0
	s_addc_u32 s1, s25, s1
	v_add_co_u32 v18, vcc_lo, s0, v1
	v_mov_b32_e32 v27, 0
	v_add_nc_u32_e32 v31, 0x60, v3
	v_add_co_ci_u32_e64 v19, null, s1, v2, vcc_lo
	v_mov_b32_e32 v26, 0
	v_mov_b32_e32 v25, 0
	s_mov_b32 s5, s13
	s_mov_b32 s8, s23
	;; [unrolled: 1-line block ×3, first 2 shown]
	s_branch .LBB162_33
.LBB162_32:                             ;   in Loop: Header=BB162_33 Depth=1
	s_or_b32 exec_lo, exec_lo, s2
	s_waitcnt lgkmcnt(1)
	v_bfe_u32 v32, v13, 16, 1
	v_or_b32_e32 v33, 0x400000, v13
	v_bfe_u32 v34, v14, 16, 1
	v_cmp_u_f32_e32 vcc_lo, v13, v13
	v_bfe_u32 v35, v15, 16, 1
	v_add3_u32 v32, v32, v13, 0x7fff
	v_or_b32_e32 v36, 0x400000, v14
	v_add3_u32 v34, v34, v14, 0x7fff
	v_or_b32_e32 v37, 0x400000, v15
	v_add3_u32 v35, v35, v15, 0x7fff
	v_cndmask_b32_e32 v13, v32, v33, vcc_lo
	v_cmp_u_f32_e32 vcc_lo, v14, v14
	v_bfe_u32 v32, v16, 16, 1
	s_waitcnt lgkmcnt(0)
	v_bfe_u32 v33, v9, 16, 1
	v_add_nc_u32_e32 v17, 4, v17
	v_and_b32_e32 v13, 0xffff0000, v13
	v_cndmask_b32_e32 v14, v34, v36, vcc_lo
	v_cmp_u_f32_e32 vcc_lo, v15, v15
	v_add3_u32 v32, v32, v16, 0x7fff
	v_or_b32_e32 v34, 0x400000, v16
	v_add3_u32 v33, v33, v9, 0x7fff
	v_bfe_u32 v36, v10, 16, 1
	v_cndmask_b32_e32 v15, v35, v37, vcc_lo
	v_cmp_u_f32_e32 vcc_lo, v16, v16
	v_or_b32_e32 v35, 0x400000, v9
	v_and_b32_e32 v14, 0xffff0000, v14
	v_add_co_u32 v18, s0, v18, 16
	v_cndmask_b32_e32 v16, v32, v34, vcc_lo
	v_cmp_u_f32_e32 vcc_lo, v9, v9
	v_add3_u32 v32, v36, v10, 0x7fff
	v_bfe_u32 v34, v11, 16, 1
	v_and_b32_e32 v15, 0xffff0000, v15
	s_waitcnt vmcnt(1)
	v_lshlrev_b32_e32 v36, 16, v6
	v_cndmask_b32_e32 v9, v33, v35, vcc_lo
	v_or_b32_e32 v33, 0x400000, v10
	v_lshlrev_b32_e32 v35, 16, v5
	v_cmp_u_f32_e32 vcc_lo, v10, v10
	v_and_b32_e32 v5, 0xffff0000, v5
	v_mul_f32_e32 v36, v15, v36
	v_and_b32_e32 v16, 0xffff0000, v16
	v_mul_f32_e32 v35, v13, v35
	v_cndmask_b32_e32 v10, v32, v33, vcc_lo
	v_add3_u32 v32, v34, v11, 0x7fff
	v_or_b32_e32 v33, 0x400000, v11
	v_bfe_u32 v34, v12, 16, 1
	v_cmp_u_f32_e32 vcc_lo, v11, v11
	v_mul_f32_e32 v5, v14, v5
	v_and_b32_e32 v6, 0xffff0000, v6
	v_and_b32_e32 v9, 0xffff0000, v9
	v_or_b32_e32 v38, 0x400000, v36
	v_cndmask_b32_e32 v11, v32, v33, vcc_lo
	v_add3_u32 v32, v34, v12, 0x7fff
	v_or_b32_e32 v33, 0x400000, v12
	v_bfe_u32 v34, v35, 16, 1
	v_cmp_u_f32_e32 vcc_lo, v12, v12
	v_mul_f32_e32 v6, v16, v6
	v_or_b32_e32 v37, 0x400000, v5
	v_and_b32_e32 v10, 0xffff0000, v10
	v_and_b32_e32 v11, 0xffff0000, v11
	v_cndmask_b32_e32 v12, v32, v33, vcc_lo
	v_add3_u32 v32, v34, v35, 0x7fff
	v_or_b32_e32 v33, 0x400000, v35
	v_bfe_u32 v34, v5, 16, 1
	v_cmp_u_f32_e32 vcc_lo, v35, v35
	v_lshlrev_b32_e32 v35, 16, v7
	v_bfe_u32 v39, v6, 16, 1
	v_and_b32_e32 v7, 0xffff0000, v7
	v_and_b32_e32 v12, 0xffff0000, v12
	v_cndmask_b32_e32 v32, v32, v33, vcc_lo
	v_add3_u32 v33, v34, v5, 0x7fff
	v_bfe_u32 v34, v36, 16, 1
	v_cmp_u_f32_e32 vcc_lo, v5, v5
	v_mul_f32_e32 v35, v9, v35
	v_mul_f32_e32 v7, v10, v7
	v_and_b32_e32 v32, 0xffff0000, v32
	v_add3_u32 v34, v34, v36, 0x7fff
	v_cndmask_b32_e32 v5, v33, v37, vcc_lo
	v_cmp_u_f32_e32 vcc_lo, v36, v36
	v_bfe_u32 v36, v35, 16, 1
	v_lshlrev_b32_e32 v37, 16, v8
	v_and_b32_e32 v8, 0xffff0000, v8
	v_and_b32_e32 v5, 0xffff0000, v5
	v_cndmask_b32_e32 v33, v34, v38, vcc_lo
	v_add3_u32 v34, v39, v6, 0x7fff
	v_or_b32_e32 v38, 0x400000, v6
	v_cmp_u_f32_e32 vcc_lo, v6, v6
	v_add3_u32 v36, v36, v35, 0x7fff
	v_or_b32_e32 v39, 0x400000, v35
	v_mul_f32_e32 v37, v11, v37
	v_mul_f32_e32 v8, v12, v8
	v_cndmask_b32_e32 v6, v34, v38, vcc_lo
	v_bfe_u32 v34, v7, 16, 1
	v_cmp_u_f32_e32 vcc_lo, v35, v35
	v_or_b32_e32 v38, 0x400000, v7
	v_and_b32_e32 v33, 0xffff0000, v33
	v_and_b32_e32 v6, 0xffff0000, v6
	v_add3_u32 v34, v34, v7, 0x7fff
	v_cndmask_b32_e32 v35, v36, v39, vcc_lo
	v_bfe_u32 v36, v37, 16, 1
	v_cmp_u_f32_e32 vcc_lo, v7, v7
	v_or_b32_e32 v39, 0x400000, v37
	v_add_f32_e32 v5, v32, v5
	v_add_f32_e32 v6, v33, v6
	v_add3_u32 v36, v36, v37, 0x7fff
	v_cndmask_b32_e32 v7, v34, v38, vcc_lo
	v_cmp_u_f32_e32 vcc_lo, v37, v37
	s_waitcnt vmcnt(0)
	v_lshlrev_b32_e32 v38, 16, v1
	v_and_b32_e32 v1, 0xffff0000, v1
	v_or_b32_e32 v37, 0x400000, v8
	v_and_b32_e32 v7, 0xffff0000, v7
	v_cndmask_b32_e32 v34, v36, v39, vcc_lo
	v_bfe_u32 v36, v8, 16, 1
	v_mul_f32_e32 v13, v13, v38
	v_and_b32_e32 v32, 0xffff0000, v35
	v_cmp_u_f32_e32 vcc_lo, v8, v8
	v_add_f32_e32 v5, v6, v5
	v_add3_u32 v36, v36, v8, 0x7fff
	v_bfe_u32 v6, v13, 16, 1
	v_mul_f32_e32 v1, v14, v1
	v_lshlrev_b32_e32 v14, 16, v2
	v_add_f32_e32 v7, v32, v7
	v_cndmask_b32_e32 v8, v36, v37, vcc_lo
	v_add3_u32 v6, v6, v13, 0x7fff
	v_or_b32_e32 v32, 0x400000, v13
	v_bfe_u32 v33, v1, 16, 1
	v_mul_f32_e32 v14, v15, v14
	v_and_b32_e32 v2, 0xffff0000, v2
	v_cmp_u_f32_e32 vcc_lo, v13, v13
	v_or_b32_e32 v15, 0x400000, v1
	v_add3_u32 v13, v33, v1, 0x7fff
	v_and_b32_e32 v8, 0xffff0000, v8
	v_mul_f32_e32 v2, v16, v2
	v_cndmask_b32_e32 v6, v6, v32, vcc_lo
	v_bfe_u32 v32, v14, 16, 1
	v_lshlrev_b32_e32 v16, 16, v3
	v_cmp_u_f32_e32 vcc_lo, v1, v1
	v_and_b32_e32 v3, 0xffff0000, v3
	v_and_b32_e32 v6, 0xffff0000, v6
	v_add_f32_e32 v5, v7, v5
	v_mul_f32_e32 v9, v9, v16
	v_cndmask_b32_e32 v1, v13, v15, vcc_lo
	v_add3_u32 v13, v32, v14, 0x7fff
	v_or_b32_e32 v15, 0x400000, v14
	v_bfe_u32 v32, v2, 16, 1
	v_cmp_u_f32_e32 vcc_lo, v14, v14
	v_bfe_u32 v16, v9, 16, 1
	v_mul_f32_e32 v3, v10, v3
	v_lshlrev_b32_e32 v10, 16, v4
	v_add3_u32 v14, v32, v2, 0x7fff
	v_cndmask_b32_e32 v13, v13, v15, vcc_lo
	v_or_b32_e32 v15, 0x400000, v2
	v_and_b32_e32 v4, 0xffff0000, v4
	v_cmp_u_f32_e32 vcc_lo, v2, v2
	v_mul_f32_e32 v10, v11, v10
	v_or_b32_e32 v11, 0x400000, v9
	v_and_b32_e32 v1, 0xffff0000, v1
	v_mul_f32_e32 v4, v12, v4
	v_cndmask_b32_e32 v2, v14, v15, vcc_lo
	v_bfe_u32 v14, v3, 16, 1
	v_add3_u32 v15, v16, v9, 0x7fff
	v_cmp_u_f32_e32 vcc_lo, v9, v9
	v_bfe_u32 v32, v4, 16, 1
	v_bfe_u32 v16, v10, 16, 1
	v_add3_u32 v12, v14, v3, 0x7fff
	v_or_b32_e32 v14, 0x400000, v3
	v_cndmask_b32_e32 v9, v15, v11, vcc_lo
	v_cmp_u_f32_e32 vcc_lo, v3, v3
	v_add3_u32 v11, v16, v10, 0x7fff
	v_and_b32_e32 v2, 0xffff0000, v2
	v_and_b32_e32 v13, 0xffff0000, v13
	v_or_b32_e32 v15, 0x400000, v10
	v_cndmask_b32_e32 v3, v12, v14, vcc_lo
	v_add3_u32 v12, v32, v4, 0x7fff
	v_or_b32_e32 v14, 0x400000, v4
	v_cmp_u_f32_e32 vcc_lo, v4, v4
	v_add_f32_e32 v1, v6, v1
	v_add_f32_e32 v2, v13, v2
	v_and_b32_e32 v3, 0xffff0000, v3
	v_and_b32_e32 v6, 0xffff0000, v9
	v_cndmask_b32_e32 v4, v12, v14, vcc_lo
	v_cmp_u_f32_e32 vcc_lo, v10, v10
	v_and_b32_e32 v10, 0xffff0000, v34
	v_add_f32_e32 v1, v2, v1
	v_add_f32_e32 v2, v6, v3
	v_and_b32_e32 v3, 0xffff0000, v4
	v_cndmask_b32_e32 v9, v11, v15, vcc_lo
	v_add_f32_e32 v6, v10, v8
	v_cmp_le_i32_e32 vcc_lo, s11, v17
	v_add_f32_e32 v1, v2, v1
	v_add_nc_u32_e32 v30, 64, v30
	v_and_b32_e32 v4, 0xffff0000, v9
	v_add_nc_u32_e32 v31, 0x100, v31
	v_add_co_ci_u32_e64 v19, null, 0, v19, s0
	s_or_b32 s6, vcc_lo, s6
	v_add_f32_e32 v2, v4, v3
	v_add_f32_e32 v3, v6, v5
	;; [unrolled: 1-line block ×5, first 2 shown]
	s_andn2_b32 exec_lo, exec_lo, s6
	s_cbranch_execz .LBB162_37
.LBB162_33:                             ; =>This Inner Loop Header: Depth=1
	global_load_dword v1, v[18:19], off
	v_cmp_eq_u32_e64 s0, s30, v17
	v_add_nc_u32_e32 v38, 1, v30
	v_or_b32_e32 v36, 3, v30
	v_or_b32_e32 v37, 2, v30
	v_or_b32_e32 v35, 5, v30
	v_or_b32_e32 v34, 4, v30
	v_or_b32_e32 v33, 7, v30
	v_or_b32_e32 v32, 6, v30
	s_waitcnt vmcnt(0)
	v_mad_i64_i32 v[1:2], null, v1, s5, 0
	v_lshlrev_b64 v[1:2], 1, v[1:2]
	v_add_co_u32 v1, vcc_lo, v28, v1
	v_add_co_ci_u32_e64 v2, null, v29, v2, vcc_lo
	global_load_dwordx4 v[5:8], v[1:2], off
	ds_read2_b64 v[13:16], v31 offset1:1
	ds_read2_b64 v[9:12], v31 offset0:2 offset1:3
	s_and_saveexec_b32 s9, s0
	s_cbranch_execz .LBB162_35
; %bb.34:                               ;   in Loop: Header=BB162_33 Depth=1
	v_cmp_gt_i32_e64 s1, s23, v30
	v_cmp_gt_i32_e32 vcc_lo, s8, v38
	v_cmp_gt_i32_e64 s2, s23, v37
	s_waitcnt vmcnt(0)
	v_cndmask_b32_e64 v3, 0, v5, s1
	v_cmp_gt_i32_e64 s1, s8, v36
	v_cndmask_b32_sdwa v5, v27, v5, vcc_lo dst_sel:DWORD dst_unused:UNUSED_PAD src0_sel:DWORD src1_sel:WORD_1
	v_cndmask_b32_e64 v4, 0, v6, s2
	v_cmp_gt_i32_e64 s2, s8, v35
	s_mov_b32 vcc_lo, s1
	v_cmp_gt_i32_e64 s1, s8, v33
	v_cndmask_b32_sdwa v6, v27, v6, vcc_lo dst_sel:DWORD dst_unused:UNUSED_PAD src0_sel:DWORD src1_sel:WORD_1
	v_cmp_gt_i32_e32 vcc_lo, s23, v34
	v_perm_b32 v5, v5, v3, 0x5040100
	v_perm_b32 v6, v6, v4, 0x5040100
	v_cndmask_b32_e32 v39, 0, v7, vcc_lo
	s_mov_b32 vcc_lo, s2
	v_cndmask_b32_sdwa v7, v27, v7, vcc_lo dst_sel:DWORD dst_unused:UNUSED_PAD src0_sel:DWORD src1_sel:WORD_1
	v_cmp_gt_i32_e32 vcc_lo, s23, v32
	v_perm_b32 v7, v7, v39, 0x5040100
	v_cndmask_b32_e32 v40, 0, v8, vcc_lo
	s_mov_b32 vcc_lo, s1
	v_cndmask_b32_sdwa v8, v27, v8, vcc_lo dst_sel:DWORD dst_unused:UNUSED_PAD src0_sel:DWORD src1_sel:WORD_1
	v_perm_b32 v8, v8, v40, 0x5040100
.LBB162_35:                             ;   in Loop: Header=BB162_33 Depth=1
	s_or_b32 exec_lo, exec_lo, s9
	global_load_dwordx4 v[1:4], v[1:2], off offset:512
	s_and_saveexec_b32 s2, s0
	s_cbranch_execz .LBB162_32
; %bb.36:                               ;   in Loop: Header=BB162_33 Depth=1
	v_cmp_gt_i32_e64 s0, s23, v30
	v_cmp_gt_i32_e32 vcc_lo, s8, v38
	v_cmp_gt_i32_e64 s1, s23, v37
	s_waitcnt vmcnt(0)
	v_cndmask_b32_e64 v38, 0, v1, s0
	v_cmp_gt_i32_e64 s0, s8, v36
	v_cndmask_b32_sdwa v1, v27, v1, vcc_lo dst_sel:DWORD dst_unused:UNUSED_PAD src0_sel:DWORD src1_sel:WORD_1
	v_cndmask_b32_e64 v36, 0, v2, s1
	v_cmp_gt_i32_e64 s1, s8, v35
	s_mov_b32 vcc_lo, s0
	v_cmp_gt_i32_e64 s0, s8, v33
	v_cndmask_b32_sdwa v2, v27, v2, vcc_lo dst_sel:DWORD dst_unused:UNUSED_PAD src0_sel:DWORD src1_sel:WORD_1
	v_cmp_gt_i32_e32 vcc_lo, s23, v34
	v_perm_b32 v1, v1, v38, 0x5040100
	v_perm_b32 v2, v2, v36, 0x5040100
	v_cndmask_b32_e32 v34, 0, v3, vcc_lo
	s_mov_b32 vcc_lo, s1
	v_cndmask_b32_sdwa v3, v27, v3, vcc_lo dst_sel:DWORD dst_unused:UNUSED_PAD src0_sel:DWORD src1_sel:WORD_1
	v_cmp_gt_i32_e32 vcc_lo, s23, v32
	v_perm_b32 v3, v3, v34, 0x5040100
	v_cndmask_b32_e32 v32, 0, v4, vcc_lo
	s_mov_b32 vcc_lo, s0
	v_cndmask_b32_sdwa v4, v27, v4, vcc_lo dst_sel:DWORD dst_unused:UNUSED_PAD src0_sel:DWORD src1_sel:WORD_1
	v_perm_b32 v4, v4, v32, 0x5040100
	s_branch .LBB162_32
.LBB162_37:
	s_or_b32 exec_lo, exec_lo, s6
.LBB162_38:
	s_or_b32 exec_lo, exec_lo, s3
	ds_bpermute_b32 v1, v24, v26
	ds_bpermute_b32 v5, v24, v25
	v_lshrrev_b32_e32 v3, 1, v23
	v_and_b32_e32 v6, 0x3c1, v0
	s_mov_b32 s0, exec_lo
	s_waitcnt lgkmcnt(0)
	s_waitcnt_vscnt null, 0x0
	s_barrier
	v_lshl_add_u32 v4, v3, 2, 0x60
	buffer_gl0_inv
	v_add_f32_e32 v2, v26, v1
	v_add_f32_e32 v1, v25, v5
	v_cmpx_eq_u32_e32 64, v6
	s_cbranch_execz .LBB162_40
; %bb.39:
	v_lshl_add_u32 v5, v22, 7, v4
	v_add_nc_u32_e32 v6, 0xffffff00, v5
	v_add_nc_u32_e32 v5, 0xffffff40, v5
	ds_write_b32 v6, v2
	ds_write_b32 v5, v1
.LBB162_40:
	s_or_b32 exec_lo, exec_lo, s0
	v_and_b32_e32 v5, 0x3e0, v0
	v_lshlrev_b32_e32 v3, 2, v3
	s_mov_b32 s1, exec_lo
	v_cmp_eq_u32_e32 vcc_lo, 0, v21
	s_waitcnt lgkmcnt(0)
	v_lshlrev_b32_e32 v5, 2, v5
	s_barrier
	buffer_gl0_inv
	v_add3_u32 v3, 0x60, v5, v3
	v_cmpx_gt_u32_e32 64, v0
	s_cbranch_execz .LBB162_46
; %bb.41:
	s_and_saveexec_b32 s0, vcc_lo
	s_cbranch_execz .LBB162_43
; %bb.42:
	ds_read_b32 v5, v3
	s_waitcnt lgkmcnt(0)
	v_add_f32_e32 v2, v2, v5
.LBB162_43:
	s_or_b32 exec_lo, exec_lo, s0
	s_and_saveexec_b32 s0, vcc_lo
	s_cbranch_execz .LBB162_45
; %bb.44:
	ds_read_b32 v5, v3 offset:64
	s_waitcnt lgkmcnt(0)
	v_add_f32_e32 v1, v1, v5
.LBB162_45:
	s_or_b32 exec_lo, exec_lo, s0
.LBB162_46:
	s_or_b32 exec_lo, exec_lo, s1
	v_and_b32_e32 v5, 0x3e1, v0
	s_mov_b32 s1, exec_lo
	s_barrier
	buffer_gl0_inv
	v_cmpx_eq_u32_e32 32, v5
; %bb.47:
	ds_write2_b32 v4, v2, v1 offset1:16
; %bb.48:
	s_or_b32 exec_lo, exec_lo, s1
	s_mov_b32 s1, exec_lo
	s_waitcnt lgkmcnt(0)
	s_barrier
	buffer_gl0_inv
	v_cmpx_gt_u32_e32 32, v0
	s_cbranch_execz .LBB162_54
; %bb.49:
	s_and_saveexec_b32 s0, vcc_lo
	s_cbranch_execz .LBB162_51
; %bb.50:
	ds_read_b32 v0, v3
	s_waitcnt lgkmcnt(0)
	v_add_f32_e32 v2, v2, v0
.LBB162_51:
	s_or_b32 exec_lo, exec_lo, s0
	s_and_saveexec_b32 s0, vcc_lo
	s_cbranch_execz .LBB162_53
; %bb.52:
	ds_read_b32 v0, v3 offset:64
	s_waitcnt lgkmcnt(0)
	v_add_f32_e32 v1, v1, v0
.LBB162_53:
	s_or_b32 exec_lo, exec_lo, s0
.LBB162_54:
	s_or_b32 exec_lo, exec_lo, s1
	s_barrier
	buffer_gl0_inv
	s_mov_b32 s0, exec_lo
	v_cmpx_eq_u32_e32 0, v5
	s_cbranch_execz .LBB162_56
; %bb.55:
	s_lshl_b32 s0, s4, 5
	v_bfe_u32 v0, v2, 16, 1
	s_ashr_i32 s1, s0, 31
	s_mul_i32 s2, s7, s10
	s_lshl_b64 s[0:1], s[0:1], 1
	v_bfe_u32 v3, v1, 16, 1
	v_add3_u32 v0, v0, v2, 0x7fff
	v_or_b32_e32 v4, 0x400000, v2
	v_cmp_u_f32_e32 vcc_lo, v2, v2
	s_add_u32 s4, s20, s0
	s_addc_u32 s5, s21, s1
	s_ashr_i32 s3, s2, 31
	v_add3_u32 v3, v3, v1, 0x7fff
	s_lshl_b64 s[0:1], s[2:3], 1
	v_or_b32_e32 v5, 0x400000, v1
	v_cndmask_b32_e32 v0, v0, v4, vcc_lo
	v_cmp_u_f32_e32 vcc_lo, v1, v1
	s_add_u32 s2, s4, s0
	s_addc_u32 s3, s5, s1
	s_ashr_i32 s13, s12, 31
	v_lshlrev_b32_e32 v2, 1, v20
	s_lshl_b64 s[0:1], s[12:13], 1
	v_cndmask_b32_e32 v1, v3, v5, vcc_lo
	s_add_u32 s0, s2, s0
	s_addc_u32 s1, s3, s1
	global_store_short_d16_hi v2, v0, s[0:1]
	global_store_short_d16_hi v2, v1, s[0:1] offset:32
.LBB162_56:
	s_endpgm
	.section	.rodata,"a",@progbits
	.p2align	6, 0x0
	.amdhsa_kernel _ZN4vllm25paged_attention_v2_kernelI14__hip_bfloat16S1_Li32ELi16ELi128ELNS_18Fp8KVCacheDataTypeE0ELb0ELi512EEEvPfS3_PT_PKS4_PKT0_SA_ifPKiSC_iPKfiiiSE_SE_iiiii
		.amdhsa_group_segment_fixed_size 96
		.amdhsa_private_segment_fixed_size 0
		.amdhsa_kernarg_size 400
		.amdhsa_user_sgpr_count 6
		.amdhsa_user_sgpr_private_segment_buffer 1
		.amdhsa_user_sgpr_dispatch_ptr 0
		.amdhsa_user_sgpr_queue_ptr 0
		.amdhsa_user_sgpr_kernarg_segment_ptr 1
		.amdhsa_user_sgpr_dispatch_id 0
		.amdhsa_user_sgpr_flat_scratch_init 0
		.amdhsa_user_sgpr_private_segment_size 0
		.amdhsa_wavefront_size32 1
		.amdhsa_uses_dynamic_stack 0
		.amdhsa_system_sgpr_private_segment_wavefront_offset 0
		.amdhsa_system_sgpr_workgroup_id_x 1
		.amdhsa_system_sgpr_workgroup_id_y 1
		.amdhsa_system_sgpr_workgroup_id_z 1
		.amdhsa_system_sgpr_workgroup_info 0
		.amdhsa_system_vgpr_workitem_id 0
		.amdhsa_next_free_vgpr 51
		.amdhsa_next_free_sgpr 36
		.amdhsa_reserve_vcc 1
		.amdhsa_reserve_flat_scratch 0
		.amdhsa_float_round_mode_32 0
		.amdhsa_float_round_mode_16_64 0
		.amdhsa_float_denorm_mode_32 3
		.amdhsa_float_denorm_mode_16_64 3
		.amdhsa_dx10_clamp 1
		.amdhsa_ieee_mode 1
		.amdhsa_fp16_overflow 0
		.amdhsa_workgroup_processor_mode 1
		.amdhsa_memory_ordered 1
		.amdhsa_forward_progress 1
		.amdhsa_shared_vgpr_count 0
		.amdhsa_exception_fp_ieee_invalid_op 0
		.amdhsa_exception_fp_denorm_src 0
		.amdhsa_exception_fp_ieee_div_zero 0
		.amdhsa_exception_fp_ieee_overflow 0
		.amdhsa_exception_fp_ieee_underflow 0
		.amdhsa_exception_fp_ieee_inexact 0
		.amdhsa_exception_int_div_zero 0
	.end_amdhsa_kernel
	.section	.text._ZN4vllm25paged_attention_v2_kernelI14__hip_bfloat16S1_Li32ELi16ELi128ELNS_18Fp8KVCacheDataTypeE0ELb0ELi512EEEvPfS3_PT_PKS4_PKT0_SA_ifPKiSC_iPKfiiiSE_SE_iiiii,"axG",@progbits,_ZN4vllm25paged_attention_v2_kernelI14__hip_bfloat16S1_Li32ELi16ELi128ELNS_18Fp8KVCacheDataTypeE0ELb0ELi512EEEvPfS3_PT_PKS4_PKT0_SA_ifPKiSC_iPKfiiiSE_SE_iiiii,comdat
.Lfunc_end162:
	.size	_ZN4vllm25paged_attention_v2_kernelI14__hip_bfloat16S1_Li32ELi16ELi128ELNS_18Fp8KVCacheDataTypeE0ELb0ELi512EEEvPfS3_PT_PKS4_PKT0_SA_ifPKiSC_iPKfiiiSE_SE_iiiii, .Lfunc_end162-_ZN4vllm25paged_attention_v2_kernelI14__hip_bfloat16S1_Li32ELi16ELi128ELNS_18Fp8KVCacheDataTypeE0ELb0ELi512EEEvPfS3_PT_PKS4_PKT0_SA_ifPKiSC_iPKfiiiSE_SE_iiiii
                                        ; -- End function
	.set _ZN4vllm25paged_attention_v2_kernelI14__hip_bfloat16S1_Li32ELi16ELi128ELNS_18Fp8KVCacheDataTypeE0ELb0ELi512EEEvPfS3_PT_PKS4_PKT0_SA_ifPKiSC_iPKfiiiSE_SE_iiiii.num_vgpr, 51
	.set _ZN4vllm25paged_attention_v2_kernelI14__hip_bfloat16S1_Li32ELi16ELi128ELNS_18Fp8KVCacheDataTypeE0ELb0ELi512EEEvPfS3_PT_PKS4_PKT0_SA_ifPKiSC_iPKfiiiSE_SE_iiiii.num_agpr, 0
	.set _ZN4vllm25paged_attention_v2_kernelI14__hip_bfloat16S1_Li32ELi16ELi128ELNS_18Fp8KVCacheDataTypeE0ELb0ELi512EEEvPfS3_PT_PKS4_PKT0_SA_ifPKiSC_iPKfiiiSE_SE_iiiii.numbered_sgpr, 36
	.set _ZN4vllm25paged_attention_v2_kernelI14__hip_bfloat16S1_Li32ELi16ELi128ELNS_18Fp8KVCacheDataTypeE0ELb0ELi512EEEvPfS3_PT_PKS4_PKT0_SA_ifPKiSC_iPKfiiiSE_SE_iiiii.num_named_barrier, 0
	.set _ZN4vllm25paged_attention_v2_kernelI14__hip_bfloat16S1_Li32ELi16ELi128ELNS_18Fp8KVCacheDataTypeE0ELb0ELi512EEEvPfS3_PT_PKS4_PKT0_SA_ifPKiSC_iPKfiiiSE_SE_iiiii.private_seg_size, 0
	.set _ZN4vllm25paged_attention_v2_kernelI14__hip_bfloat16S1_Li32ELi16ELi128ELNS_18Fp8KVCacheDataTypeE0ELb0ELi512EEEvPfS3_PT_PKS4_PKT0_SA_ifPKiSC_iPKfiiiSE_SE_iiiii.uses_vcc, 1
	.set _ZN4vllm25paged_attention_v2_kernelI14__hip_bfloat16S1_Li32ELi16ELi128ELNS_18Fp8KVCacheDataTypeE0ELb0ELi512EEEvPfS3_PT_PKS4_PKT0_SA_ifPKiSC_iPKfiiiSE_SE_iiiii.uses_flat_scratch, 0
	.set _ZN4vllm25paged_attention_v2_kernelI14__hip_bfloat16S1_Li32ELi16ELi128ELNS_18Fp8KVCacheDataTypeE0ELb0ELi512EEEvPfS3_PT_PKS4_PKT0_SA_ifPKiSC_iPKfiiiSE_SE_iiiii.has_dyn_sized_stack, 0
	.set _ZN4vllm25paged_attention_v2_kernelI14__hip_bfloat16S1_Li32ELi16ELi128ELNS_18Fp8KVCacheDataTypeE0ELb0ELi512EEEvPfS3_PT_PKS4_PKT0_SA_ifPKiSC_iPKfiiiSE_SE_iiiii.has_recursion, 0
	.set _ZN4vllm25paged_attention_v2_kernelI14__hip_bfloat16S1_Li32ELi16ELi128ELNS_18Fp8KVCacheDataTypeE0ELb0ELi512EEEvPfS3_PT_PKS4_PKT0_SA_ifPKiSC_iPKfiiiSE_SE_iiiii.has_indirect_call, 0
	.section	.AMDGPU.csdata,"",@progbits
; Kernel info:
; codeLenInByte = 4964
; TotalNumSgprs: 38
; NumVgprs: 51
; ScratchSize: 0
; MemoryBound: 0
; FloatMode: 240
; IeeeMode: 1
; LDSByteSize: 96 bytes/workgroup (compile time only)
; SGPRBlocks: 0
; VGPRBlocks: 6
; NumSGPRsForWavesPerEU: 38
; NumVGPRsForWavesPerEU: 51
; Occupancy: 16
; WaveLimiterHint : 1
; COMPUTE_PGM_RSRC2:SCRATCH_EN: 0
; COMPUTE_PGM_RSRC2:USER_SGPR: 6
; COMPUTE_PGM_RSRC2:TRAP_HANDLER: 0
; COMPUTE_PGM_RSRC2:TGID_X_EN: 1
; COMPUTE_PGM_RSRC2:TGID_Y_EN: 1
; COMPUTE_PGM_RSRC2:TGID_Z_EN: 1
; COMPUTE_PGM_RSRC2:TIDIG_COMP_CNT: 0
	.section	.text._ZN4vllm25paged_attention_v2_kernelI14__hip_bfloat16S1_Li64ELi16ELi128ELNS_18Fp8KVCacheDataTypeE0ELb0ELi512EEEvPfS3_PT_PKS4_PKT0_SA_ifPKiSC_iPKfiiiSE_SE_iiiii,"axG",@progbits,_ZN4vllm25paged_attention_v2_kernelI14__hip_bfloat16S1_Li64ELi16ELi128ELNS_18Fp8KVCacheDataTypeE0ELb0ELi512EEEvPfS3_PT_PKS4_PKT0_SA_ifPKiSC_iPKfiiiSE_SE_iiiii,comdat
	.protected	_ZN4vllm25paged_attention_v2_kernelI14__hip_bfloat16S1_Li64ELi16ELi128ELNS_18Fp8KVCacheDataTypeE0ELb0ELi512EEEvPfS3_PT_PKS4_PKT0_SA_ifPKiSC_iPKfiiiSE_SE_iiiii ; -- Begin function _ZN4vllm25paged_attention_v2_kernelI14__hip_bfloat16S1_Li64ELi16ELi128ELNS_18Fp8KVCacheDataTypeE0ELb0ELi512EEEvPfS3_PT_PKS4_PKT0_SA_ifPKiSC_iPKfiiiSE_SE_iiiii
	.globl	_ZN4vllm25paged_attention_v2_kernelI14__hip_bfloat16S1_Li64ELi16ELi128ELNS_18Fp8KVCacheDataTypeE0ELb0ELi512EEEvPfS3_PT_PKS4_PKT0_SA_ifPKiSC_iPKfiiiSE_SE_iiiii
	.p2align	8
	.type	_ZN4vllm25paged_attention_v2_kernelI14__hip_bfloat16S1_Li64ELi16ELi128ELNS_18Fp8KVCacheDataTypeE0ELb0ELi512EEEvPfS3_PT_PKS4_PKT0_SA_ifPKiSC_iPKfiiiSE_SE_iiiii,@function
_ZN4vllm25paged_attention_v2_kernelI14__hip_bfloat16S1_Li64ELi16ELi128ELNS_18Fp8KVCacheDataTypeE0ELb0ELi512EEEvPfS3_PT_PKS4_PKT0_SA_ifPKiSC_iPKfiiiSE_SE_iiiii: ; @_ZN4vllm25paged_attention_v2_kernelI14__hip_bfloat16S1_Li64ELi16ELi128ELNS_18Fp8KVCacheDataTypeE0ELb0ELi512EEEvPfS3_PT_PKS4_PKT0_SA_ifPKiSC_iPKfiiiSE_SE_iiiii
; %bb.0:
	s_load_dwordx2 s[0:1], s[4:5], 0x40
	s_mov_b32 s22, s7
	s_ashr_i32 s23, s7, 31
	s_lshl_b64 s[2:3], s[22:23], 2
	s_waitcnt lgkmcnt(0)
	s_add_u32 s0, s0, s2
	s_addc_u32 s1, s1, s3
	s_lshl_b32 s33, s8, 9
	s_load_dword s23, s[0:1], 0x0
	s_waitcnt lgkmcnt(0)
	s_cmp_ge_i32 s33, s23
	s_cbranch_scc1 .LBB163_62
; %bb.1:
	s_clause 0x1
	s_load_dword s9, s[4:5], 0x90
	s_load_dwordx2 s[30:31], s[4:5], 0x30
	s_mov_b32 s34, 0
	s_waitcnt lgkmcnt(0)
	s_abs_i32 s3, s9
	s_abs_i32 s0, s30
	v_cvt_f32_u32_e32 v1, s0
	s_sub_i32 s2, 0, s0
	v_rcp_iflag_f32_e32 v1, v1
	v_mul_f32_e32 v1, 0x4f7ffffe, v1
	v_cvt_u32_f32_e32 v1, v1
	v_readfirstlane_b32 s1, v1
	s_mul_i32 s2, s2, s1
	s_mul_hi_u32 s2, s1, s2
	s_add_i32 s1, s1, s2
	s_xor_b32 s2, s9, s30
	s_mul_hi_u32 s1, s3, s1
	s_ashr_i32 s2, s2, 31
	s_mul_i32 s7, s1, s0
	s_sub_i32 s3, s3, s7
	s_add_i32 s7, s1, 1
	s_sub_i32 s10, s3, s0
	s_cmp_ge_u32 s3, s0
	s_cselect_b32 s1, s7, s1
	s_cselect_b32 s3, s10, s3
	s_add_i32 s7, s1, 1
	s_cmp_ge_u32 s3, s0
	s_cselect_b32 s0, s7, s1
	s_abs_i32 s16, s6
	s_xor_b32 s0, s0, s2
	s_sub_i32 s10, s0, s2
	s_load_dwordx2 s[0:1], s[4:5], 0x50
	s_abs_i32 s2, s10
	v_cvt_f32_u32_e32 v1, s2
	s_sub_i32 s7, 0, s2
	v_rcp_iflag_f32_e32 v1, v1
	v_mul_f32_e32 v1, 0x4f7ffffe, v1
	v_cvt_u32_f32_e32 v1, v1
	v_readfirstlane_b32 s3, v1
	s_mul_i32 s7, s7, s3
	s_mul_hi_u32 s7, s3, s7
	s_add_i32 s3, s3, s7
	s_waitcnt lgkmcnt(0)
	s_cmp_eq_u64 s[0:1], 0
	s_mul_hi_u32 s3, s16, s3
	s_cbranch_scc1 .LBB163_3
; %bb.2:
	s_ashr_i32 s7, s6, 31
	s_lshl_b64 s[12:13], s[6:7], 2
	s_add_u32 s0, s0, s12
	s_addc_u32 s1, s1, s13
	s_load_dword s34, s[0:1], 0x0
.LBB163_3:
	s_load_dwordx4 s[12:15], s[4:5], 0x58
	v_lshrrev_b32_e32 v28, 1, v0
	v_and_b32_e32 v29, 1, v0
	v_lshlrev_b32_e32 v3, 3, v0
	s_ashr_i32 s0, s6, 31
	s_ashr_i32 s1, s10, 31
	s_lshl_b32 s10, s6, 6
	s_mov_b32 s7, exec_lo
	v_cmpx_gt_u32_e32 16, v0
	s_cbranch_execz .LBB163_5
; %bb.4:
	s_load_dwordx2 s[18:19], s[4:5], 0x18
	s_waitcnt lgkmcnt(0)
	s_mul_i32 s20, s12, s22
	v_lshlrev_b32_e32 v4, 3, v28
	s_ashr_i32 s21, s20, 31
	s_lshl_b64 s[20:21], s[20:21], 1
	v_lshl_add_u32 v4, v29, 6, v4
	s_add_u32 s12, s18, s20
	s_addc_u32 s15, s19, s21
	s_ashr_i32 s11, s10, 31
	s_lshl_b64 s[18:19], s[10:11], 1
	s_add_u32 s18, s12, s18
	s_addc_u32 s19, s15, s19
	global_load_dwordx2 v[1:2], v3, s[18:19]
	s_waitcnt vmcnt(0)
	ds_write_b64 v4, v[1:2]
.LBB163_5:
	s_or_b32 exec_lo, exec_lo, s7
	s_add_i32 s7, s23, 15
	s_load_dwordx2 s[24:25], s[4:5], 0x38
	s_waitcnt lgkmcnt(0)
	s_load_dword s15, s[4:5], 0x48
	s_ashr_i32 s11, s7, 31
	s_lshl_b32 s30, s8, 5
	s_lshr_b32 s11, s11, 28
	s_xor_b32 s0, s0, s1
	s_add_i32 s7, s7, s11
	s_add_i32 s1, s30, 32
	s_ashr_i32 s12, s7, 4
	s_mul_i32 s7, s3, s2
	s_min_i32 s11, s1, s12
	s_sub_i32 s1, s16, s7
	s_add_i32 s7, s3, 1
	s_sub_i32 s16, s1, s2
	s_cmp_ge_u32 s1, s2
	v_lshrrev_b32_e32 v30, 5, v0
	s_cselect_b32 s3, s7, s3
	s_cselect_b32 s1, s16, s1
	s_add_i32 s7, s3, 1
	s_cmp_ge_u32 s1, s2
	v_or_b32_e32 v25, s30, v30
	s_cselect_b32 s1, s7, s3
	v_mbcnt_lo_u32_b32 v5, -1, 0
	s_xor_b32 s1, s1, s0
	s_waitcnt lgkmcnt(0)
	s_mul_i32 s26, s15, s22
	s_sub_i32 s1, s1, s0
	v_cmp_gt_i32_e64 s0, s11, v25
	s_ashr_i32 s27, s26, 31
	s_mov_b32 s2, exec_lo
	s_barrier
	buffer_gl0_inv
                                        ; implicit-def: $vgpr6
                                        ; implicit-def: $vgpr7
	v_cmpx_le_i32_e64 s11, v25
	s_xor_b32 s2, exec_lo, s2
; %bb.6:
	v_mov_b32_e32 v6, 0
	v_mbcnt_lo_u32_b32 v5, -1, 0
	v_mov_b32_e32 v7, 32
; %bb.7:
	s_or_saveexec_b32 s35, s2
	s_clause 0x3
	s_load_dwordx4 s[16:19], s[4:5], 0x0
	s_load_dwordx2 s[20:21], s[4:5], 0x10
	s_load_dwordx2 s[28:29], s[4:5], 0x28
	s_load_dword s7, s[4:5], 0x98
	v_mov_b32_e32 v41, 0xff7fffff
	v_ashrrev_i32_e32 v26, 31, v25
	v_lshlrev_b32_e32 v4, 4, v30
	s_mul_i32 s14, s1, s14
	s_xor_b32 exec_lo, exec_lo, s35
	s_cbranch_execz .LBB163_13
; %bb.8:
	s_load_dwordx2 s[2:3], s[4:5], 0x20
	v_lshlrev_b32_e32 v1, 6, v29
	v_bfe_u32 v2, v0, 1, 4
	s_ashr_i32 s15, s14, 31
	v_and_b32_e32 v7, 8, v3
	s_lshl_b64 s[4:5], s[14:15], 1
	ds_read_b128 v[14:17], v1
	v_lshlrev_b32_e32 v8, 4, v2
	ds_read_b128 v[31:34], v1 offset:16
	ds_read_b128 v[35:38], v1 offset:32
	;; [unrolled: 1-line block ×3, first 2 shown]
	v_lshlrev_b32_e32 v41, 2, v2
	v_add3_u32 v49, s33, v4, v2
	v_mov_b32_e32 v6, 0
	v_mov_b32_e32 v51, v25
	s_mov_b32 s15, s13
	v_lshl_or_b32 v41, v30, 6, v41
	v_add_nc_u32_e32 v50, 0xa0, v41
	s_waitcnt lgkmcnt(0)
	s_add_u32 s1, s2, s4
	s_addc_u32 s2, s3, s5
	v_add_co_u32 v1, s1, s1, v8
	v_add_co_ci_u32_e64 v18, null, s2, 0, s1
	v_lshlrev_b32_e32 v10, 16, v15
	v_and_b32_e32 v11, 0xffff0000, v15
	v_add_co_u32 v15, vcc_lo, v1, v7
	v_xor_b32_e32 v1, 1, v5
	v_lshlrev_b32_e32 v12, 16, v16
	v_and_b32_e32 v13, 0xffff0000, v16
	v_add_co_ci_u32_e64 v16, null, 0, v18, vcc_lo
	v_cmp_gt_i32_e32 vcc_lo, 32, v1
	s_lshl_b64 s[2:3], s[26:27], 2
	s_sub_i32 s4, 1, s23
	s_add_u32 s2, s24, s2
	s_addc_u32 s3, s25, s3
	v_cndmask_b32_e32 v1, v5, v1, vcc_lo
	v_lshlrev_b32_e32 v8, 16, v14
	v_and_b32_e32 v9, 0xffff0000, v14
	v_lshlrev_b32_e32 v14, 16, v17
	v_and_b32_e32 v17, 0xffff0000, v17
	v_lshlrev_b32_e32 v48, 2, v1
	v_lshlrev_b64 v[1:2], 2, v[25:26]
	v_lshlrev_b32_e32 v18, 16, v31
	v_and_b32_e32 v19, 0xffff0000, v31
	v_lshlrev_b32_e32 v20, 16, v32
	v_and_b32_e32 v21, 0xffff0000, v32
	v_lshlrev_b32_e32 v22, 16, v33
	v_add_co_u32 v1, s2, s2, v1
	v_and_b32_e32 v23, 0xffff0000, v33
	v_lshlrev_b32_e32 v24, 16, v34
	v_and_b32_e32 v27, 0xffff0000, v34
	v_lshlrev_b32_e32 v31, 16, v35
	;; [unrolled: 2-line block ×9, first 2 shown]
	v_and_b32_e32 v47, 0xffff0000, v47
	v_mov_b32_e32 v7, 32
	v_cmp_neq_f32_e64 s1, s34, 0
	v_add_co_ci_u32_e64 v2, null, s3, v2, s2
	v_mov_b32_e32 v41, 0xff7fffff
	s_mov_b32 s5, 0
	v_cmp_eq_u32_e32 vcc_lo, 0, v29
	s_branch .LBB163_10
.LBB163_9:                              ;   in Loop: Header=BB163_10 Depth=1
	s_or_b32 exec_lo, exec_lo, s3
	v_add_nc_u32_e32 v51, 4, v51
	v_add_co_u32 v1, s3, v1, 16
	v_add_nc_u32_e32 v49, 64, v49
	v_add_nc_u32_e32 v50, 0x100, v50
	v_cmp_le_i32_e64 s2, s11, v51
	v_add_co_ci_u32_e64 v2, null, 0, v2, s3
	s_or_b32 s5, s2, s5
	s_andn2_b32 exec_lo, exec_lo, s5
	s_cbranch_execz .LBB163_12
.LBB163_10:                             ; =>This Inner Loop Header: Depth=1
	global_load_dword v52, v[1:2], off
	s_waitcnt vmcnt(0) lgkmcnt(0)
	v_mad_i64_i32 v[52:53], null, v52, s15, 0
	v_lshlrev_b64 v[52:53], 1, v[52:53]
	v_add_co_u32 v52, s2, v15, v52
	v_add_co_ci_u32_e64 v53, null, v16, v53, s2
	s_clause 0x7
	global_load_dwordx2 v[54:55], v[52:53], off
	global_load_dwordx2 v[56:57], v[52:53], off offset:256
	global_load_dwordx2 v[58:59], v[52:53], off offset:512
	;; [unrolled: 1-line block ×7, first 2 shown]
	s_waitcnt vmcnt(7)
	v_lshlrev_b32_e32 v68, 16, v54
	s_waitcnt vmcnt(6)
	v_lshlrev_b32_e32 v70, 16, v56
	v_and_b32_e32 v56, 0xffff0000, v56
	v_and_b32_e32 v54, 0xffff0000, v54
	v_lshlrev_b32_e32 v71, 16, v57
	v_lshlrev_b32_e32 v69, 16, v55
	v_mul_f32_e32 v70, v12, v70
	v_mul_f32_e32 v56, v13, v56
	v_and_b32_e32 v57, 0xffff0000, v57
	s_waitcnt vmcnt(5)
	v_lshlrev_b32_e32 v72, 16, v58
	v_and_b32_e32 v58, 0xffff0000, v58
	v_mul_f32_e32 v71, v14, v71
	v_fmac_f32_e32 v70, v8, v68
	v_fmac_f32_e32 v56, v9, v54
	v_and_b32_e32 v55, 0xffff0000, v55
	v_lshlrev_b32_e32 v73, 16, v59
	s_waitcnt vmcnt(4)
	v_lshlrev_b32_e32 v74, 16, v60
	v_and_b32_e32 v60, 0xffff0000, v60
	v_mul_f32_e32 v57, v17, v57
	v_fmac_f32_e32 v71, v10, v69
	v_fmac_f32_e32 v70, v18, v72
	v_fmac_f32_e32 v56, v19, v58
	v_and_b32_e32 v59, 0xffff0000, v59
	v_lshlrev_b32_e32 v75, 16, v61
	s_waitcnt vmcnt(3)
	v_lshlrev_b32_e32 v76, 16, v62
	v_and_b32_e32 v62, 0xffff0000, v62
	v_fmac_f32_e32 v57, v11, v55
	v_fmac_f32_e32 v71, v20, v73
	v_fmac_f32_e32 v70, v22, v74
	v_fmac_f32_e32 v56, v23, v60
	v_and_b32_e32 v61, 0xffff0000, v61
	v_lshlrev_b32_e32 v77, 16, v63
	s_waitcnt vmcnt(2)
	v_lshlrev_b32_e32 v78, 16, v64
	v_and_b32_e32 v64, 0xffff0000, v64
	v_fmac_f32_e32 v57, v21, v59
	;; [unrolled: 9-line block ×4, first 2 shown]
	v_fmac_f32_e32 v71, v37, v79
	v_fmac_f32_e32 v70, v39, v80
	;; [unrolled: 1-line block ×3, first 2 shown]
	v_and_b32_e32 v55, 0xffff0000, v67
	v_lshlrev_b32_e32 v54, 16, v53
	v_fmac_f32_e32 v57, v38, v65
	v_fmac_f32_e32 v71, v42, v58
	;; [unrolled: 1-line block ×4, first 2 shown]
	v_and_b32_e32 v52, 0xffff0000, v53
	v_fmac_f32_e32 v57, v43, v55
	v_fmac_f32_e32 v71, v46, v54
	v_add_f32_e32 v53, v70, v56
	v_fmac_f32_e32 v57, v47, v52
	v_add_f32_e32 v52, v53, v71
	v_add_f32_e32 v52, v57, v52
	ds_bpermute_b32 v53, v48, v52
	s_and_saveexec_b32 s3, vcc_lo
	s_cbranch_execz .LBB163_9
; %bb.11:                               ;   in Loop: Header=BB163_10 Depth=1
	v_add_nc_u32_e32 v54, s4, v49
	s_waitcnt lgkmcnt(0)
	v_add_f32_e32 v52, v52, v53
	v_cmp_gt_i32_e64 s2, s23, v49
	v_cvt_f32_i32_e32 v54, v54
	v_mul_f32_e32 v54, s34, v54
	v_cndmask_b32_e64 v53, 0, v54, s1
	v_max_f32_e32 v54, v41, v41
	v_fmac_f32_e32 v53, s31, v52
	v_max_f32_e32 v52, v54, v53
	v_cndmask_b32_e64 v53, 0, v53, s2
	v_cndmask_b32_e64 v41, v41, v52, s2
	ds_write_b32 v50, v53
	s_branch .LBB163_9
.LBB163_12:
	s_or_b32 exec_lo, exec_lo, s5
.LBB163_13:
	s_or_b32 exec_lo, exec_lo, s35
	v_xor_b32_e32 v1, 16, v5
	v_xor_b32_e32 v2, 8, v5
	v_max_f32_e32 v10, v41, v41
	v_xor_b32_e32 v11, 2, v5
	v_and_b32_e32 v31, 31, v0
	v_cmp_lt_i32_e32 vcc_lo, v1, v7
	v_cndmask_b32_e32 v1, v5, v1, vcc_lo
	v_cmp_lt_i32_e32 vcc_lo, v2, v7
	v_lshlrev_b32_e32 v8, 2, v1
	v_cndmask_b32_e32 v2, v5, v2, vcc_lo
	ds_bpermute_b32 v1, v8, v41
	v_lshlrev_b32_e32 v9, 2, v2
	s_waitcnt lgkmcnt(0)
	v_max_f32_e32 v1, v1, v1
	v_max_f32_e32 v1, v10, v1
	v_xor_b32_e32 v10, 4, v5
	ds_bpermute_b32 v2, v9, v1
	v_cmp_lt_i32_e32 vcc_lo, v10, v7
	v_cndmask_b32_e32 v10, v5, v10, vcc_lo
	v_cmp_lt_i32_e32 vcc_lo, v11, v7
	v_lshlrev_b32_e32 v10, 2, v10
	v_cndmask_b32_e32 v11, v5, v11, vcc_lo
	v_cmp_eq_u32_e32 vcc_lo, 0, v31
	s_waitcnt lgkmcnt(0)
	v_max_f32_e32 v2, v2, v2
	v_max_f32_e32 v1, v1, v2
	ds_bpermute_b32 v2, v10, v1
	s_waitcnt lgkmcnt(0)
	v_max_f32_e32 v2, v2, v2
	v_max_f32_e32 v1, v1, v2
	v_lshlrev_b32_e32 v2, 2, v11
	v_lshlrev_b32_e32 v11, 2, v30
	ds_bpermute_b32 v12, v2, v1
	s_and_saveexec_b32 s1, vcc_lo
	s_cbranch_execz .LBB163_15
; %bb.14:
	s_waitcnt lgkmcnt(0)
	v_max_f32_e32 v12, v12, v12
	v_max_f32_e32 v1, v1, v1
	;; [unrolled: 1-line block ×3, first 2 shown]
	ds_write_b32 v11, v1 offset:128
.LBB163_15:
	s_or_b32 exec_lo, exec_lo, s1
	v_cmp_gt_u32_e64 s1, 4, v31
	v_mov_b32_e32 v1, 0xff7fffff
	s_waitcnt lgkmcnt(0)
	v_lshlrev_b32_e32 v12, 2, v31
	s_barrier
	buffer_gl0_inv
	s_and_saveexec_b32 s2, s1
; %bb.16:
	ds_read_b32 v1, v12 offset:128
; %bb.17:
	s_or_b32 exec_lo, exec_lo, s2
	s_waitcnt lgkmcnt(0)
	ds_bpermute_b32 v13, v2, v1
	v_xor_b32_e32 v14, 1, v5
	v_max_f32_e32 v1, v1, v1
	v_lshlrev_b32_e32 v6, 2, v6
	v_cmp_lt_i32_e64 s2, v14, v7
	v_cndmask_b32_e64 v7, v5, v14, s2
	s_sub_i32 s2, s11, s30
	s_lshl_b32 s2, s2, 4
	v_lshlrev_b32_e32 v32, 2, v7
	s_add_i32 s2, s2, s33
	s_min_i32 s2, s2, s23
	s_waitcnt lgkmcnt(0)
	v_max_f32_e32 v13, v13, v13
	s_sub_i32 s4, s2, s33
	v_cmp_gt_i32_e64 s2, s4, v0
	v_max_f32_e32 v1, v1, v13
	ds_bpermute_b32 v7, v32, v1
	s_waitcnt lgkmcnt(0)
	v_max_f32_e32 v7, v7, v7
	v_max_f32_e32 v1, v1, v7
	v_mov_b32_e32 v7, 0
	ds_bpermute_b32 v1, v6, v1
	v_lshl_add_u32 v6, v0, 2, 0xa0
	s_and_saveexec_b32 s5, s2
	s_cbranch_execz .LBB163_21
; %bb.18:
	v_lshl_add_u32 v13, v0, 2, 0xa0
	v_mov_b32_e32 v7, 0
	v_mov_b32_e32 v14, v0
	s_mov_b32 s15, 0
	.p2align	6
.LBB163_19:                             ; =>This Inner Loop Header: Depth=1
	ds_read_b32 v15, v13
	v_add_nc_u32_e32 v14, 0x80, v14
	v_cmp_le_i32_e64 s3, s4, v14
	s_or_b32 s15, s3, s15
	s_waitcnt lgkmcnt(0)
	v_sub_f32_e32 v15, v15, v1
	v_mul_f32_e32 v15, 0x3fb8aa3b, v15
	v_exp_f32_e32 v15, v15
	ds_write_b32 v13, v15
	v_add_f32_e32 v7, v7, v15
	v_add_nc_u32_e32 v13, 0x200, v13
	s_andn2_b32 exec_lo, exec_lo, s15
	s_cbranch_execnz .LBB163_19
; %bb.20:
	s_or_b32 exec_lo, exec_lo, s15
.LBB163_21:
	s_or_b32 exec_lo, exec_lo, s5
	ds_bpermute_b32 v8, v8, v7
	s_waitcnt lgkmcnt(0)
	v_add_f32_e32 v7, v7, v8
	ds_bpermute_b32 v8, v9, v7
	s_waitcnt lgkmcnt(0)
	v_add_f32_e32 v7, v7, v8
	;; [unrolled: 3-line block ×5, first 2 shown]
	s_and_saveexec_b32 s3, vcc_lo
; %bb.22:
	ds_write_b32 v11, v7 offset:144
; %bb.23:
	s_or_b32 exec_lo, exec_lo, s3
	s_waitcnt lgkmcnt(0)
	s_barrier
	buffer_gl0_inv
	s_and_saveexec_b32 s3, s1
; %bb.24:
	ds_read_b32 v7, v12 offset:144
; %bb.25:
	s_or_b32 exec_lo, exec_lo, s3
	s_waitcnt lgkmcnt(0)
	ds_bpermute_b32 v2, v2, v7
	v_lshlrev_b32_e32 v5, 2, v5
	v_and_b32_e32 v5, 0xffffff80, v5
	s_waitcnt lgkmcnt(0)
	v_add_f32_e32 v2, v7, v2
	ds_bpermute_b32 v7, v32, v2
	s_waitcnt lgkmcnt(0)
	v_add_f32_e32 v2, v2, v7
	ds_bpermute_b32 v2, v5, v2
	s_and_saveexec_b32 s1, s2
	s_cbranch_execz .LBB163_28
; %bb.26:
	s_waitcnt lgkmcnt(0)
	v_add_f32_e32 v5, 0x358637bd, v2
	s_mov_b32 s2, 0
	v_div_scale_f32 v7, null, v5, v5, 1.0
	v_div_scale_f32 v10, vcc_lo, 1.0, v5, 1.0
	v_rcp_f32_e32 v8, v7
	v_fma_f32 v9, -v7, v8, 1.0
	v_fmac_f32_e32 v8, v9, v8
	v_mul_f32_e32 v9, v10, v8
	v_fma_f32 v11, -v7, v9, v10
	v_fmac_f32_e32 v9, v11, v8
	v_fma_f32 v7, -v7, v9, v10
	v_div_fmas_f32 v7, v7, v8, v9
	v_div_fixup_f32 v5, v7, v5, 1.0
	v_mov_b32_e32 v7, v0
.LBB163_27:                             ; =>This Inner Loop Header: Depth=1
	ds_read_b32 v8, v6
	v_add_nc_u32_e32 v7, 0x80, v7
	v_cmp_le_i32_e32 vcc_lo, s4, v7
	s_or_b32 s2, vcc_lo, s2
	s_waitcnt lgkmcnt(0)
	v_mul_f32_e32 v8, v5, v8
	ds_write_b32 v6, v8
	v_add_nc_u32_e32 v6, 0x200, v6
	s_andn2_b32 exec_lo, exec_lo, s2
	s_cbranch_execnz .LBB163_27
.LBB163_28:
	s_or_b32 exec_lo, exec_lo, s1
	s_mul_i32 s1, s7, s22
	s_waitcnt lgkmcnt(0)
	s_mul_i32 s4, s1, s9
	s_mov_b32 s1, exec_lo
	s_barrier
	buffer_gl0_inv
	v_cmpx_eq_u32_e32 0, v0
	s_cbranch_execz .LBB163_30
; %bb.29:
	s_ashr_i32 s5, s4, 31
	s_mul_i32 s30, s7, s6
	s_lshl_b64 s[2:3], s[4:5], 2
	v_mov_b32_e32 v5, 0
	s_add_u32 s5, s18, s2
	s_addc_u32 s6, s19, s3
	s_ashr_i32 s31, s30, 31
	s_lshl_b64 s[18:19], s[30:31], 2
	s_add_u32 s5, s5, s18
	s_addc_u32 s6, s6, s19
	s_ashr_i32 s9, s8, 31
	s_lshl_b64 s[30:31], s[8:9], 2
	s_add_u32 s34, s5, s30
	s_addc_u32 s35, s6, s31
	s_add_u32 s2, s16, s2
	s_addc_u32 s3, s17, s3
	;; [unrolled: 2-line block ×4, first 2 shown]
	global_store_dword v5, v1, s[34:35]
	global_store_dword v5, v2, s[2:3]
.LBB163_30:
	s_or_b32 exec_lo, exec_lo, s1
	v_mov_b32_e32 v35, 0
	v_mov_b32_e32 v36, 0
	;; [unrolled: 1-line block ×4, first 2 shown]
	s_and_saveexec_b32 s3, s0
	s_cbranch_execz .LBB163_42
; %bb.31:
	v_lshlrev_b32_e32 v1, 4, v0
	s_ashr_i32 s15, s14, 31
	v_and_b32_e32 v2, 8, v3
	s_lshl_b64 s[0:1], s[14:15], 1
	v_lshlrev_b32_e32 v3, 5, v29
	v_and_b32_e32 v1, 0x1f0, v1
	s_add_u32 s0, s28, s0
	s_addc_u32 s1, s29, s1
	v_add3_u32 v40, s33, v4, v2
	s_add_i32 s5, s12, -1
	v_add_co_u32 v38, s0, s0, v1
	v_lshlrev_b64 v[1:2], 2, v[25:26]
	v_add_co_ci_u32_e64 v39, null, s1, 0, s0
	s_lshl_b64 s[0:1], s[26:27], 2
	v_lshl_or_b32 v3, v30, 6, v3
	s_add_u32 s0, s24, s0
	s_addc_u32 s1, s25, s1
	v_add_co_u32 v26, vcc_lo, s0, v1
	v_mov_b32_e32 v37, 0
	v_add_nc_u32_e32 v41, 0xa0, v3
	v_add_co_ci_u32_e64 v27, null, s1, v2, vcc_lo
	v_mov_b32_e32 v33, 0
	v_mov_b32_e32 v34, 0
	;; [unrolled: 1-line block ×4, first 2 shown]
	s_mov_b32 s6, s13
	s_mov_b32 s12, s23
	;; [unrolled: 1-line block ×3, first 2 shown]
	s_branch .LBB163_33
.LBB163_32:                             ;   in Loop: Header=BB163_33 Depth=1
	s_or_b32 exec_lo, exec_lo, s2
	s_waitcnt lgkmcnt(1)
	v_bfe_u32 v42, v17, 16, 1
	v_bfe_u32 v43, v18, 16, 1
	v_or_b32_e32 v44, 0x400000, v17
	v_cmp_u_f32_e32 vcc_lo, v17, v17
	v_or_b32_e32 v45, 0x400000, v18
	v_add3_u32 v42, v42, v17, 0x7fff
	v_bfe_u32 v46, v19, 16, 1
	v_add3_u32 v43, v43, v18, 0x7fff
	v_bfe_u32 v47, v20, 16, 1
	s_waitcnt vmcnt(1)
	v_and_b32_e32 v49, 0xffff0000, v24
	v_cndmask_b32_e32 v17, v42, v44, vcc_lo
	v_cmp_u_f32_e32 vcc_lo, v18, v18
	v_add3_u32 v42, v46, v19, 0x7fff
	v_add3_u32 v44, v47, v20, 0x7fff
	s_waitcnt lgkmcnt(0)
	v_bfe_u32 v46, v13, 16, 1
	v_and_b32_e32 v17, 0xffff0000, v17
	v_cndmask_b32_e32 v18, v43, v45, vcc_lo
	v_or_b32_e32 v43, 0x400000, v19
	v_cmp_u_f32_e32 vcc_lo, v19, v19
	v_or_b32_e32 v45, 0x400000, v20
	v_lshlrev_b32_e32 v24, 16, v24
	v_add_nc_u32_e32 v25, 4, v25
	v_add_co_u32 v26, s0, v26, 16
	v_cndmask_b32_e32 v19, v42, v43, vcc_lo
	v_cmp_u_f32_e32 vcc_lo, v20, v20
	v_bfe_u32 v42, v14, 16, 1
	v_add3_u32 v43, v46, v13, 0x7fff
	v_bfe_u32 v46, v15, 16, 1
	v_add_nc_u32_e32 v40, 64, v40
	v_cndmask_b32_e32 v20, v44, v45, vcc_lo
	v_or_b32_e32 v44, 0x400000, v13
	v_cmp_u_f32_e32 vcc_lo, v13, v13
	v_add3_u32 v42, v42, v14, 0x7fff
	v_or_b32_e32 v45, 0x400000, v14
	v_and_b32_e32 v13, 0xffff0000, v18
	v_and_b32_e32 v18, 0xffff0000, v21
	v_cndmask_b32_e32 v43, v43, v44, vcc_lo
	v_cmp_u_f32_e32 vcc_lo, v14, v14
	v_add3_u32 v14, v46, v15, 0x7fff
	v_bfe_u32 v44, v16, 16, 1
	v_lshlrev_b32_e32 v21, 16, v21
	v_mul_f32_e32 v18, v13, v18
	v_cndmask_b32_e32 v42, v42, v45, vcc_lo
	v_or_b32_e32 v45, 0x400000, v15
	v_cmp_u_f32_e32 vcc_lo, v15, v15
	v_add3_u32 v44, v44, v16, 0x7fff
	v_or_b32_e32 v46, 0x400000, v16
	v_mul_f32_e32 v21, v17, v21
	v_bfe_u32 v15, v18, 16, 1
	v_cndmask_b32_e32 v45, v14, v45, vcc_lo
	v_cmp_u_f32_e32 vcc_lo, v16, v16
	v_and_b32_e32 v14, 0xffff0000, v20
	v_and_b32_e32 v20, 0xffff0000, v22
	v_add3_u32 v15, v15, v18, 0x7fff
	v_or_b32_e32 v47, 0x400000, v21
	v_cndmask_b32_e32 v16, v44, v46, vcc_lo
	v_bfe_u32 v44, v21, 16, 1
	v_or_b32_e32 v46, 0x400000, v18
	v_cmp_u_f32_e32 vcc_lo, v18, v18
	v_mul_f32_e32 v48, v14, v20
	v_and_b32_e32 v20, 0xffff0000, v19
	v_add3_u32 v44, v44, v21, 0x7fff
	v_lshlrev_b32_e32 v19, 16, v22
	v_cndmask_b32_e32 v22, v15, v46, vcc_lo
	v_cmp_u_f32_e32 vcc_lo, v21, v21
	v_and_b32_e32 v15, 0xffff0000, v42
	v_and_b32_e32 v42, 0xffff0000, v23
	v_mul_f32_e32 v19, v20, v19
	v_and_b32_e32 v18, 0xffff0000, v43
	v_cndmask_b32_e32 v21, v44, v47, vcc_lo
	v_bfe_u32 v44, v48, 16, 1
	v_lshlrev_b32_e32 v23, 16, v23
	v_bfe_u32 v46, v19, 16, 1
	v_mul_f32_e32 v42, v15, v42
	v_cmp_u_f32_e32 vcc_lo, v48, v48
	v_add3_u32 v43, v44, v48, 0x7fff
	v_or_b32_e32 v44, 0x400000, v48
	v_mul_f32_e32 v23, v18, v23
	v_bfe_u32 v47, v42, 16, 1
	v_and_b32_e32 v16, 0xffff0000, v16
	v_and_b32_e32 v21, 0xffff0000, v21
	v_cndmask_b32_e32 v43, v43, v44, vcc_lo
	v_add3_u32 v44, v46, v19, 0x7fff
	v_or_b32_e32 v46, 0x400000, v19
	v_cmp_u_f32_e32 vcc_lo, v19, v19
	v_bfe_u32 v48, v23, 16, 1
	v_mul_f32_e32 v49, v16, v49
	v_and_b32_e32 v19, 0xffff0000, v45
	v_or_b32_e32 v45, 0x400000, v23
	v_cndmask_b32_e32 v44, v44, v46, vcc_lo
	v_add3_u32 v46, v47, v42, 0x7fff
	v_or_b32_e32 v47, 0x400000, v42
	v_cmp_u_f32_e32 vcc_lo, v42, v42
	v_add3_u32 v48, v48, v23, 0x7fff
	v_bfe_u32 v50, v49, 16, 1
	v_mul_f32_e32 v24, v19, v24
	v_and_b32_e32 v22, 0xffff0000, v22
	v_cndmask_b32_e32 v42, v46, v47, vcc_lo
	v_cmp_u_f32_e32 vcc_lo, v23, v23
	v_or_b32_e32 v46, 0x400000, v49
	v_bfe_u32 v47, v24, 16, 1
	v_and_b32_e32 v44, 0xffff0000, v44
	v_and_b32_e32 v43, 0xffff0000, v43
	v_cndmask_b32_e32 v23, v48, v45, vcc_lo
	v_add3_u32 v45, v50, v49, 0x7fff
	v_cmp_u_f32_e32 vcc_lo, v49, v49
	v_add_f32_e32 v21, v21, v22
	v_add_f32_e32 v22, v44, v43
	v_and_b32_e32 v23, 0xffff0000, v23
	v_and_b32_e32 v42, 0xffff0000, v42
	v_cndmask_b32_e32 v45, v45, v46, vcc_lo
	v_add3_u32 v46, v47, v24, 0x7fff
	v_or_b32_e32 v47, 0x400000, v24
	v_and_b32_e32 v43, 0xffff0000, v9
	v_cmp_u_f32_e32 vcc_lo, v24, v24
	v_lshlrev_b32_e32 v9, 16, v9
	v_add_f32_e32 v21, v22, v21
	v_add_f32_e32 v22, v23, v42
	v_mul_f32_e32 v23, v13, v43
	v_cndmask_b32_e32 v24, v46, v47, vcc_lo
	v_mul_f32_e32 v42, v17, v9
	v_and_b32_e32 v43, 0xffff0000, v45
	v_and_b32_e32 v44, 0xffff0000, v10
	v_bfe_u32 v45, v23, 16, 1
	v_and_b32_e32 v24, 0xffff0000, v24
	v_add_f32_e32 v9, v22, v21
	v_bfe_u32 v22, v42, 16, 1
	v_cmp_u_f32_e32 vcc_lo, v23, v23
	v_lshlrev_b32_e32 v10, 16, v10
	v_add_f32_e32 v21, v24, v43
	v_mul_f32_e32 v24, v14, v44
	v_add3_u32 v43, v45, v23, 0x7fff
	v_or_b32_e32 v44, 0x400000, v23
	v_add3_u32 v22, v22, v42, 0x7fff
	v_or_b32_e32 v45, 0x400000, v42
	v_bfe_u32 v46, v24, 16, 1
	v_mul_f32_e32 v10, v20, v10
	v_cndmask_b32_e32 v23, v43, v44, vcc_lo
	v_cmp_u_f32_e32 vcc_lo, v42, v42
	v_or_b32_e32 v43, 0x400000, v24
	v_add3_u32 v42, v46, v24, 0x7fff
	v_and_b32_e32 v44, 0xffff0000, v11
	v_lshlrev_b32_e32 v11, 16, v11
	v_cndmask_b32_e32 v22, v22, v45, vcc_lo
	v_cmp_u_f32_e32 vcc_lo, v24, v24
	v_bfe_u32 v45, v10, 16, 1
	v_and_b32_e32 v23, 0xffff0000, v23
	v_mul_f32_e32 v11, v18, v11
	v_and_b32_e32 v22, 0xffff0000, v22
	v_cndmask_b32_e32 v24, v42, v43, vcc_lo
	v_mul_f32_e32 v42, v15, v44
	v_add3_u32 v43, v45, v10, 0x7fff
	v_or_b32_e32 v44, 0x400000, v10
	v_and_b32_e32 v45, 0xffff0000, v12
	v_cmp_u_f32_e32 vcc_lo, v10, v10
	v_bfe_u32 v46, v42, 16, 1
	v_bfe_u32 v47, v11, 16, 1
	v_lshlrev_b32_e32 v12, 16, v12
	v_and_b32_e32 v24, 0xffff0000, v24
	v_cndmask_b32_e32 v10, v43, v44, vcc_lo
	v_mul_f32_e32 v43, v16, v45
	v_add3_u32 v44, v46, v42, 0x7fff
	v_or_b32_e32 v45, 0x400000, v42
	v_cmp_u_f32_e32 vcc_lo, v42, v42
	v_add3_u32 v46, v47, v11, 0x7fff
	v_or_b32_e32 v47, 0x400000, v11
	v_bfe_u32 v48, v43, 16, 1
	v_and_b32_e32 v10, 0xffff0000, v10
	v_cndmask_b32_e32 v42, v44, v45, vcc_lo
	v_cmp_u_f32_e32 vcc_lo, v11, v11
	v_or_b32_e32 v45, 0x400000, v43
	v_add3_u32 v44, v48, v43, 0x7fff
	v_mul_f32_e32 v12, v19, v12
	v_add_f32_e32 v22, v22, v23
	v_cndmask_b32_e32 v11, v46, v47, vcc_lo
	v_cmp_u_f32_e32 vcc_lo, v43, v43
	v_add_f32_e32 v10, v10, v24
	v_and_b32_e32 v23, 0xffff0000, v1
	v_and_b32_e32 v24, 0xffff0000, v42
	v_and_b32_e32 v11, 0xffff0000, v11
	v_cndmask_b32_e32 v43, v44, v45, vcc_lo
	v_bfe_u32 v44, v12, 16, 1
	v_add_f32_e32 v10, v10, v22
	v_mul_f32_e32 v22, v13, v23
	v_add_f32_e32 v11, v11, v24
	v_lshlrev_b32_e32 v1, 16, v1
	v_add3_u32 v42, v44, v12, 0x7fff
	v_or_b32_e32 v44, 0x400000, v12
	v_cmp_u_f32_e32 vcc_lo, v12, v12
	v_bfe_u32 v23, v22, 16, 1
	v_add_f32_e32 v10, v11, v10
	v_and_b32_e32 v11, 0xffff0000, v2
	v_mul_f32_e32 v1, v17, v1
	v_cndmask_b32_e32 v12, v42, v44, vcc_lo
	v_add3_u32 v23, v23, v22, 0x7fff
	v_or_b32_e32 v24, 0x400000, v22
	v_mul_f32_e32 v11, v14, v11
	v_and_b32_e32 v42, 0xffff0000, v43
	v_bfe_u32 v43, v1, 16, 1
	v_cmp_u_f32_e32 vcc_lo, v22, v22
	v_lshlrev_b32_e32 v2, 16, v2
	v_or_b32_e32 v44, 0x400000, v1
	v_or_b32_e32 v45, 0x400000, v11
	v_and_b32_e32 v12, 0xffff0000, v12
	v_cndmask_b32_e32 v22, v23, v24, vcc_lo
	v_bfe_u32 v23, v11, 16, 1
	v_add3_u32 v24, v43, v1, 0x7fff
	v_and_b32_e32 v43, 0xffff0000, v3
	v_mul_f32_e32 v2, v20, v2
	v_cmp_u_f32_e32 vcc_lo, v1, v1
	v_add3_u32 v23, v23, v11, 0x7fff
	v_lshlrev_b32_e32 v3, 16, v3
	v_mul_f32_e32 v43, v15, v43
	v_and_b32_e32 v22, 0xffff0000, v22
	v_cndmask_b32_e32 v1, v24, v44, vcc_lo
	v_bfe_u32 v24, v2, 16, 1
	v_cmp_u_f32_e32 vcc_lo, v11, v11
	v_and_b32_e32 v44, 0xffff0000, v4
	v_mul_f32_e32 v3, v18, v3
	v_or_b32_e32 v46, 0x400000, v43
	v_add3_u32 v24, v24, v2, 0x7fff
	v_cndmask_b32_e32 v11, v23, v45, vcc_lo
	v_bfe_u32 v23, v43, 16, 1
	v_or_b32_e32 v45, 0x400000, v2
	v_cmp_u_f32_e32 vcc_lo, v2, v2
	v_mul_f32_e32 v44, v16, v44
	v_lshlrev_b32_e32 v4, 16, v4
	v_add3_u32 v23, v23, v43, 0x7fff
	v_and_b32_e32 v1, 0xffff0000, v1
	v_cndmask_b32_e32 v2, v24, v45, vcc_lo
	v_bfe_u32 v24, v3, 16, 1
	v_cmp_u_f32_e32 vcc_lo, v43, v43
	v_bfe_u32 v45, v44, 16, 1
	v_or_b32_e32 v43, 0x400000, v3
	v_mul_f32_e32 v4, v19, v4
	v_add3_u32 v24, v24, v3, 0x7fff
	v_cndmask_b32_e32 v23, v23, v46, vcc_lo
	v_cmp_u_f32_e32 vcc_lo, v3, v3
	v_add3_u32 v45, v45, v44, 0x7fff
	v_or_b32_e32 v46, 0x400000, v44
	v_and_b32_e32 v2, 0xffff0000, v2
	v_and_b32_e32 v11, 0xffff0000, v11
	v_cndmask_b32_e32 v3, v24, v43, vcc_lo
	v_cmp_u_f32_e32 vcc_lo, v44, v44
	v_bfe_u32 v43, v4, 16, 1
	v_add_f32_e32 v1, v1, v22
	v_add_f32_e32 v2, v2, v11
	v_and_b32_e32 v3, 0xffff0000, v3
	v_cndmask_b32_e32 v24, v45, v46, vcc_lo
	s_waitcnt vmcnt(0)
	v_lshlrev_b32_e32 v45, 16, v5
	v_and_b32_e32 v11, 0xffff0000, v23
	v_and_b32_e32 v5, 0xffff0000, v5
	v_add3_u32 v43, v43, v4, 0x7fff
	v_or_b32_e32 v44, 0x400000, v4
	v_mul_f32_e32 v17, v17, v45
	v_cmp_u_f32_e32 vcc_lo, v4, v4
	v_add_f32_e32 v1, v2, v1
	v_add_f32_e32 v3, v3, v11
	v_mul_f32_e32 v5, v13, v5
	v_bfe_u32 v2, v17, 16, 1
	v_lshlrev_b32_e32 v11, 16, v6
	v_cndmask_b32_e32 v4, v43, v44, vcc_lo
	v_or_b32_e32 v13, 0x400000, v17
	v_bfe_u32 v22, v5, 16, 1
	v_add3_u32 v2, v2, v17, 0x7fff
	v_mul_f32_e32 v11, v20, v11
	v_and_b32_e32 v6, 0xffff0000, v6
	v_cmp_u_f32_e32 vcc_lo, v17, v17
	v_or_b32_e32 v17, 0x400000, v5
	v_and_b32_e32 v4, 0xffff0000, v4
	v_bfe_u32 v20, v11, 16, 1
	v_mul_f32_e32 v6, v14, v6
	v_cndmask_b32_e32 v2, v2, v13, vcc_lo
	v_add3_u32 v13, v22, v5, 0x7fff
	v_lshlrev_b32_e32 v14, 16, v7
	v_cmp_u_f32_e32 vcc_lo, v5, v5
	v_and_b32_e32 v7, 0xffff0000, v7
	v_and_b32_e32 v2, 0xffff0000, v2
	v_add_f32_e32 v1, v3, v1
	v_mul_f32_e32 v14, v18, v14
	v_cndmask_b32_e32 v5, v13, v17, vcc_lo
	v_add3_u32 v13, v20, v11, 0x7fff
	v_or_b32_e32 v17, 0x400000, v11
	v_bfe_u32 v20, v6, 16, 1
	v_cmp_u_f32_e32 vcc_lo, v11, v11
	v_bfe_u32 v18, v14, 16, 1
	v_mul_f32_e32 v7, v15, v7
	v_lshlrev_b32_e32 v15, 16, v8
	v_and_b32_e32 v8, 0xffff0000, v8
	v_cndmask_b32_e32 v11, v13, v17, vcc_lo
	v_add3_u32 v13, v20, v6, 0x7fff
	v_or_b32_e32 v17, 0x400000, v6
	v_cmp_u_f32_e32 vcc_lo, v6, v6
	v_mul_f32_e32 v8, v16, v8
	v_or_b32_e32 v16, 0x400000, v14
	v_mul_f32_e32 v15, v19, v15
	v_and_b32_e32 v5, 0xffff0000, v5
	v_cndmask_b32_e32 v6, v13, v17, vcc_lo
	v_bfe_u32 v13, v7, 16, 1
	v_add3_u32 v17, v18, v14, 0x7fff
	v_cmp_u_f32_e32 vcc_lo, v14, v14
	v_or_b32_e32 v18, 0x400000, v7
	v_bfe_u32 v20, v8, 16, 1
	v_add3_u32 v13, v13, v7, 0x7fff
	v_bfe_u32 v19, v15, 16, 1
	v_cndmask_b32_e32 v14, v17, v16, vcc_lo
	v_cmp_u_f32_e32 vcc_lo, v7, v7
	v_add3_u32 v16, v20, v8, 0x7fff
	v_or_b32_e32 v17, 0x400000, v8
	v_and_b32_e32 v6, 0xffff0000, v6
	v_and_b32_e32 v11, 0xffff0000, v11
	v_cndmask_b32_e32 v7, v13, v18, vcc_lo
	v_cmp_u_f32_e32 vcc_lo, v8, v8
	v_add3_u32 v13, v19, v15, 0x7fff
	v_or_b32_e32 v18, 0x400000, v15
	v_add_f32_e32 v2, v2, v5
	v_add_f32_e32 v5, v11, v6
	v_cndmask_b32_e32 v8, v16, v17, vcc_lo
	v_cmp_u_f32_e32 vcc_lo, v15, v15
	v_and_b32_e32 v6, 0xffff0000, v7
	v_and_b32_e32 v7, 0xffff0000, v14
	v_add_f32_e32 v2, v5, v2
	v_add_nc_u32_e32 v41, 0x100, v41
	v_cndmask_b32_e32 v11, v13, v18, vcc_lo
	v_and_b32_e32 v13, 0xffff0000, v24
	v_add_f32_e32 v5, v7, v6
	v_and_b32_e32 v6, 0xffff0000, v8
	v_add_f32_e32 v8, v12, v42
	;; [unrolled: 2-line block ×3, first 2 shown]
	v_add_f32_e32 v2, v5, v2
	v_add_f32_e32 v5, v21, v9
	v_cmp_le_i32_e32 vcc_lo, s11, v25
	v_add_f32_e32 v4, v7, v6
	v_add_f32_e32 v6, v8, v10
	;; [unrolled: 1-line block ×4, first 2 shown]
	v_add_co_ci_u32_e64 v27, null, 0, v27, s0
	v_add_f32_e32 v2, v4, v2
	v_add_f32_e32 v36, v36, v6
	;; [unrolled: 1-line block ×3, first 2 shown]
	s_or_b32 s9, vcc_lo, s9
	v_add_f32_e32 v33, v33, v2
	s_andn2_b32 exec_lo, exec_lo, s9
	s_cbranch_execz .LBB163_41
.LBB163_33:                             ; =>This Inner Loop Header: Depth=1
	global_load_dword v1, v[26:27], off
	v_cmp_eq_u32_e64 s0, s5, v25
	v_add_nc_u32_e32 v48, 1, v40
	v_or_b32_e32 v46, 3, v40
	v_or_b32_e32 v47, 2, v40
	v_or_b32_e32 v45, 5, v40
	v_or_b32_e32 v44, 4, v40
	v_or_b32_e32 v43, 7, v40
	v_or_b32_e32 v42, 6, v40
	s_waitcnt vmcnt(0)
	v_mad_i64_i32 v[1:2], null, v1, s6, 0
	v_lshlrev_b64 v[1:2], 1, v[1:2]
	v_add_co_u32 v5, vcc_lo, v38, v1
	v_add_co_ci_u32_e64 v6, null, v39, v2, vcc_lo
	global_load_dwordx4 v[1:4], v[5:6], off
	ds_read2_b64 v[17:20], v41 offset1:1
	ds_read2_b64 v[13:16], v41 offset0:2 offset1:3
	s_and_saveexec_b32 s13, s0
	s_cbranch_execnz .LBB163_37
; %bb.34:                               ;   in Loop: Header=BB163_33 Depth=1
	s_or_b32 exec_lo, exec_lo, s13
	global_load_dwordx4 v[9:12], v[5:6], off offset:512
	s_and_saveexec_b32 s13, s0
	s_cbranch_execnz .LBB163_38
.LBB163_35:                             ;   in Loop: Header=BB163_33 Depth=1
	s_or_b32 exec_lo, exec_lo, s13
	global_load_dwordx4 v[21:24], v[5:6], off offset:1024
	s_and_saveexec_b32 s13, s0
	s_cbranch_execnz .LBB163_39
.LBB163_36:                             ;   in Loop: Header=BB163_33 Depth=1
	s_or_b32 exec_lo, exec_lo, s13
	global_load_dwordx4 v[5:8], v[5:6], off offset:1536
	s_and_saveexec_b32 s2, s0
	s_cbranch_execz .LBB163_32
	s_branch .LBB163_40
.LBB163_37:                             ;   in Loop: Header=BB163_33 Depth=1
	v_cmp_gt_i32_e64 s1, s23, v40
	v_cmp_gt_i32_e32 vcc_lo, s12, v48
	v_cmp_gt_i32_e64 s2, s23, v47
	s_waitcnt vmcnt(0)
	v_cndmask_b32_e64 v7, 0, v1, s1
	v_cmp_gt_i32_e64 s1, s12, v46
	v_cndmask_b32_sdwa v1, v37, v1, vcc_lo dst_sel:DWORD dst_unused:UNUSED_PAD src0_sel:DWORD src1_sel:WORD_1
	v_cndmask_b32_e64 v8, 0, v2, s2
	v_cmp_gt_i32_e64 s2, s12, v45
	s_mov_b32 vcc_lo, s1
	v_cmp_gt_i32_e64 s1, s12, v43
	v_cndmask_b32_sdwa v2, v37, v2, vcc_lo dst_sel:DWORD dst_unused:UNUSED_PAD src0_sel:DWORD src1_sel:WORD_1
	v_cmp_gt_i32_e32 vcc_lo, s23, v44
	v_perm_b32 v1, v1, v7, 0x5040100
	v_perm_b32 v2, v2, v8, 0x5040100
	v_cndmask_b32_e32 v9, 0, v3, vcc_lo
	s_mov_b32 vcc_lo, s2
	v_cndmask_b32_sdwa v3, v37, v3, vcc_lo dst_sel:DWORD dst_unused:UNUSED_PAD src0_sel:DWORD src1_sel:WORD_1
	v_cmp_gt_i32_e32 vcc_lo, s23, v42
	v_perm_b32 v3, v3, v9, 0x5040100
	v_cndmask_b32_e32 v10, 0, v4, vcc_lo
	s_mov_b32 vcc_lo, s1
	v_cndmask_b32_sdwa v4, v37, v4, vcc_lo dst_sel:DWORD dst_unused:UNUSED_PAD src0_sel:DWORD src1_sel:WORD_1
	v_perm_b32 v4, v4, v10, 0x5040100
	s_or_b32 exec_lo, exec_lo, s13
	global_load_dwordx4 v[9:12], v[5:6], off offset:512
	s_and_saveexec_b32 s13, s0
	s_cbranch_execz .LBB163_35
.LBB163_38:                             ;   in Loop: Header=BB163_33 Depth=1
	v_cmp_gt_i32_e64 s1, s23, v40
	v_cmp_gt_i32_e32 vcc_lo, s12, v48
	v_cmp_gt_i32_e64 s2, s23, v47
	s_waitcnt vmcnt(0)
	v_cndmask_b32_e64 v7, 0, v9, s1
	v_cmp_gt_i32_e64 s1, s12, v46
	v_cndmask_b32_sdwa v9, v37, v9, vcc_lo dst_sel:DWORD dst_unused:UNUSED_PAD src0_sel:DWORD src1_sel:WORD_1
	v_cndmask_b32_e64 v8, 0, v10, s2
	v_cmp_gt_i32_e64 s2, s12, v45
	s_mov_b32 vcc_lo, s1
	v_cmp_gt_i32_e64 s1, s12, v43
	v_cndmask_b32_sdwa v10, v37, v10, vcc_lo dst_sel:DWORD dst_unused:UNUSED_PAD src0_sel:DWORD src1_sel:WORD_1
	v_cmp_gt_i32_e32 vcc_lo, s23, v44
	v_perm_b32 v9, v9, v7, 0x5040100
	v_perm_b32 v10, v10, v8, 0x5040100
	v_cndmask_b32_e32 v21, 0, v11, vcc_lo
	s_mov_b32 vcc_lo, s2
	v_cndmask_b32_sdwa v11, v37, v11, vcc_lo dst_sel:DWORD dst_unused:UNUSED_PAD src0_sel:DWORD src1_sel:WORD_1
	v_cmp_gt_i32_e32 vcc_lo, s23, v42
	v_perm_b32 v11, v11, v21, 0x5040100
	v_cndmask_b32_e32 v22, 0, v12, vcc_lo
	s_mov_b32 vcc_lo, s1
	v_cndmask_b32_sdwa v12, v37, v12, vcc_lo dst_sel:DWORD dst_unused:UNUSED_PAD src0_sel:DWORD src1_sel:WORD_1
	v_perm_b32 v12, v12, v22, 0x5040100
	s_or_b32 exec_lo, exec_lo, s13
	global_load_dwordx4 v[21:24], v[5:6], off offset:1024
	s_and_saveexec_b32 s13, s0
	s_cbranch_execz .LBB163_36
.LBB163_39:                             ;   in Loop: Header=BB163_33 Depth=1
	v_cmp_gt_i32_e64 s1, s23, v40
	v_cmp_gt_i32_e32 vcc_lo, s12, v48
	v_cmp_gt_i32_e64 s2, s23, v47
	s_waitcnt vmcnt(0)
	v_cndmask_b32_e64 v7, 0, v21, s1
	v_cmp_gt_i32_e64 s1, s12, v46
	v_cndmask_b32_sdwa v21, v37, v21, vcc_lo dst_sel:DWORD dst_unused:UNUSED_PAD src0_sel:DWORD src1_sel:WORD_1
	v_cndmask_b32_e64 v8, 0, v22, s2
	v_cmp_gt_i32_e64 s2, s12, v45
	s_mov_b32 vcc_lo, s1
	v_cmp_gt_i32_e64 s1, s12, v43
	v_cndmask_b32_sdwa v22, v37, v22, vcc_lo dst_sel:DWORD dst_unused:UNUSED_PAD src0_sel:DWORD src1_sel:WORD_1
	v_cmp_gt_i32_e32 vcc_lo, s23, v44
	v_perm_b32 v21, v21, v7, 0x5040100
	v_perm_b32 v22, v22, v8, 0x5040100
	v_cndmask_b32_e32 v49, 0, v23, vcc_lo
	s_mov_b32 vcc_lo, s2
	v_cndmask_b32_sdwa v23, v37, v23, vcc_lo dst_sel:DWORD dst_unused:UNUSED_PAD src0_sel:DWORD src1_sel:WORD_1
	v_cmp_gt_i32_e32 vcc_lo, s23, v42
	v_perm_b32 v23, v23, v49, 0x5040100
	v_cndmask_b32_e32 v50, 0, v24, vcc_lo
	s_mov_b32 vcc_lo, s1
	v_cndmask_b32_sdwa v24, v37, v24, vcc_lo dst_sel:DWORD dst_unused:UNUSED_PAD src0_sel:DWORD src1_sel:WORD_1
	v_perm_b32 v24, v24, v50, 0x5040100
	s_or_b32 exec_lo, exec_lo, s13
	global_load_dwordx4 v[5:8], v[5:6], off offset:1536
	s_and_saveexec_b32 s2, s0
	s_cbranch_execz .LBB163_32
.LBB163_40:                             ;   in Loop: Header=BB163_33 Depth=1
	v_cmp_gt_i32_e64 s0, s23, v40
	v_cmp_gt_i32_e32 vcc_lo, s12, v48
	v_cmp_gt_i32_e64 s1, s23, v47
	s_waitcnt vmcnt(0)
	v_cndmask_b32_e64 v48, 0, v5, s0
	v_cmp_gt_i32_e64 s0, s12, v46
	v_cndmask_b32_sdwa v5, v37, v5, vcc_lo dst_sel:DWORD dst_unused:UNUSED_PAD src0_sel:DWORD src1_sel:WORD_1
	v_cndmask_b32_e64 v46, 0, v6, s1
	v_cmp_gt_i32_e64 s1, s12, v45
	s_mov_b32 vcc_lo, s0
	v_cmp_gt_i32_e64 s0, s12, v43
	v_cndmask_b32_sdwa v6, v37, v6, vcc_lo dst_sel:DWORD dst_unused:UNUSED_PAD src0_sel:DWORD src1_sel:WORD_1
	v_cmp_gt_i32_e32 vcc_lo, s23, v44
	v_perm_b32 v5, v5, v48, 0x5040100
	v_perm_b32 v6, v6, v46, 0x5040100
	v_cndmask_b32_e32 v44, 0, v7, vcc_lo
	s_mov_b32 vcc_lo, s1
	v_cndmask_b32_sdwa v7, v37, v7, vcc_lo dst_sel:DWORD dst_unused:UNUSED_PAD src0_sel:DWORD src1_sel:WORD_1
	v_cmp_gt_i32_e32 vcc_lo, s23, v42
	v_perm_b32 v7, v7, v44, 0x5040100
	v_cndmask_b32_e32 v42, 0, v8, vcc_lo
	s_mov_b32 vcc_lo, s0
	v_cndmask_b32_sdwa v8, v37, v8, vcc_lo dst_sel:DWORD dst_unused:UNUSED_PAD src0_sel:DWORD src1_sel:WORD_1
	v_perm_b32 v8, v8, v42, 0x5040100
	s_branch .LBB163_32
.LBB163_41:
	s_or_b32 exec_lo, exec_lo, s9
.LBB163_42:
	s_or_b32 exec_lo, exec_lo, s3
	ds_bpermute_b32 v1, v32, v35
	ds_bpermute_b32 v2, v32, v36
	ds_bpermute_b32 v8, v32, v34
	ds_bpermute_b32 v9, v32, v33
	v_lshrrev_b32_e32 v5, 1, v31
	v_lshlrev_b32_e32 v7, 8, v30
	v_and_b32_e32 v10, 0x3c1, v0
	s_mov_b32 s0, exec_lo
	s_waitcnt lgkmcnt(0)
	s_waitcnt_vscnt null, 0x0
	v_lshl_add_u32 v6, v5, 2, 0xa0
	s_barrier
	buffer_gl0_inv
	v_add_f32_e32 v4, v35, v1
	v_add_f32_e32 v3, v36, v2
	;; [unrolled: 1-line block ×4, first 2 shown]
	v_cmpx_eq_u32_e32 64, v10
	s_cbranch_execz .LBB163_44
; %bb.43:
	v_add_nc_u32_e32 v8, v6, v7
	v_add_nc_u32_e32 v9, 0xfffffe00, v8
	;; [unrolled: 1-line block ×5, first 2 shown]
	ds_write_b32 v9, v4
	ds_write_b32 v10, v3
	;; [unrolled: 1-line block ×4, first 2 shown]
.LBB163_44:
	s_or_b32 exec_lo, exec_lo, s0
	v_lshlrev_b32_e32 v5, 2, v5
	s_mov_b32 s1, exec_lo
	v_cmp_eq_u32_e32 vcc_lo, 0, v29
	s_waitcnt lgkmcnt(0)
	s_barrier
	v_add3_u32 v5, 0xa0, v7, v5
	buffer_gl0_inv
	v_cmpx_gt_u32_e32 64, v0
	s_cbranch_execz .LBB163_51
; %bb.45:
	s_and_saveexec_b32 s0, vcc_lo
	s_cbranch_execnz .LBB163_63
; %bb.46:
	s_or_b32 exec_lo, exec_lo, s0
	s_and_saveexec_b32 s0, vcc_lo
	s_cbranch_execnz .LBB163_64
.LBB163_47:
	s_or_b32 exec_lo, exec_lo, s0
	s_and_saveexec_b32 s0, vcc_lo
	s_cbranch_execnz .LBB163_65
.LBB163_48:
	s_or_b32 exec_lo, exec_lo, s0
	s_and_saveexec_b32 s0, vcc_lo
	s_cbranch_execz .LBB163_50
.LBB163_49:
	ds_read_b32 v7, v5 offset:192
	s_waitcnt lgkmcnt(0)
	v_add_f32_e32 v1, v1, v7
.LBB163_50:
	s_or_b32 exec_lo, exec_lo, s0
.LBB163_51:
	s_or_b32 exec_lo, exec_lo, s1
	v_and_b32_e32 v7, 0x3e1, v0
	s_mov_b32 s1, exec_lo
	s_barrier
	buffer_gl0_inv
	v_cmpx_eq_u32_e32 32, v7
	s_cbranch_execz .LBB163_53
; %bb.52:
	ds_write2_b32 v6, v4, v3 offset1:16
	ds_write2_b32 v6, v2, v1 offset0:32 offset1:48
.LBB163_53:
	s_or_b32 exec_lo, exec_lo, s1
	s_mov_b32 s1, exec_lo
	s_waitcnt lgkmcnt(0)
	s_barrier
	buffer_gl0_inv
	v_cmpx_gt_u32_e32 32, v0
	s_cbranch_execz .LBB163_60
; %bb.54:
	s_and_saveexec_b32 s0, vcc_lo
	s_cbranch_execnz .LBB163_66
; %bb.55:
	s_or_b32 exec_lo, exec_lo, s0
	s_and_saveexec_b32 s0, vcc_lo
	s_cbranch_execnz .LBB163_67
.LBB163_56:
	s_or_b32 exec_lo, exec_lo, s0
	s_and_saveexec_b32 s0, vcc_lo
	s_cbranch_execnz .LBB163_68
.LBB163_57:
	s_or_b32 exec_lo, exec_lo, s0
	s_and_saveexec_b32 s0, vcc_lo
	s_cbranch_execz .LBB163_59
.LBB163_58:
	ds_read_b32 v0, v5 offset:192
	s_waitcnt lgkmcnt(0)
	v_add_f32_e32 v1, v1, v0
.LBB163_59:
	s_or_b32 exec_lo, exec_lo, s0
.LBB163_60:
	s_or_b32 exec_lo, exec_lo, s1
	s_barrier
	buffer_gl0_inv
	s_mov_b32 s0, exec_lo
	v_cmpx_eq_u32_e32 0, v7
	s_cbranch_execz .LBB163_62
; %bb.61:
	v_bfe_u32 v5, v4, 16, 1
	v_or_b32_e32 v6, 0x400000, v4
	v_bfe_u32 v7, v3, 16, 1
	v_cmp_u_f32_e32 vcc_lo, v4, v4
	s_lshl_b32 s0, s4, 6
	v_add3_u32 v5, v5, v4, 0x7fff
	s_ashr_i32 s1, s0, 31
	v_bfe_u32 v8, v2, 16, 1
	s_lshl_b64 s[0:1], s[0:1], 1
	s_mul_i32 s2, s7, s10
	v_cndmask_b32_e32 v4, v5, v6, vcc_lo
	v_add3_u32 v6, v7, v3, 0x7fff
	v_or_b32_e32 v7, 0x400000, v3
	v_cmp_u_f32_e32 vcc_lo, v3, v3
	s_add_u32 s4, s20, s0
	s_addc_u32 s5, s21, s1
	s_ashr_i32 s3, s2, 31
	v_bfe_u32 v5, v1, 16, 1
	s_lshl_b64 s[0:1], s[2:3], 1
	v_add3_u32 v8, v8, v2, 0x7fff
	v_or_b32_e32 v9, 0x400000, v2
	v_cndmask_b32_e32 v3, v6, v7, vcc_lo
	v_cmp_u_f32_e32 vcc_lo, v2, v2
	s_add_u32 s2, s4, s0
	s_addc_u32 s3, s5, s1
	s_lshl_b32 s0, s8, 6
	v_add3_u32 v5, v5, v1, 0x7fff
	s_ashr_i32 s1, s0, 31
	v_or_b32_e32 v10, 0x400000, v1
	v_cndmask_b32_e32 v2, v8, v9, vcc_lo
	v_cmp_u_f32_e32 vcc_lo, v1, v1
	v_lshlrev_b32_e32 v0, 1, v28
	s_lshl_b64 s[0:1], s[0:1], 1
	s_add_u32 s0, s2, s0
	s_addc_u32 s1, s3, s1
	v_cndmask_b32_e32 v1, v5, v10, vcc_lo
	global_store_short_d16_hi v0, v4, s[0:1]
	global_store_short_d16_hi v0, v3, s[0:1] offset:32
	global_store_short_d16_hi v0, v2, s[0:1] offset:64
	;; [unrolled: 1-line block ×3, first 2 shown]
.LBB163_62:
	s_endpgm
.LBB163_63:
	ds_read_b32 v7, v5
	s_waitcnt lgkmcnt(0)
	v_add_f32_e32 v4, v4, v7
	s_or_b32 exec_lo, exec_lo, s0
	s_and_saveexec_b32 s0, vcc_lo
	s_cbranch_execz .LBB163_47
.LBB163_64:
	ds_read_b32 v7, v5 offset:64
	s_waitcnt lgkmcnt(0)
	v_add_f32_e32 v3, v3, v7
	s_or_b32 exec_lo, exec_lo, s0
	s_and_saveexec_b32 s0, vcc_lo
	s_cbranch_execz .LBB163_48
.LBB163_65:
	ds_read_b32 v7, v5 offset:128
	s_waitcnt lgkmcnt(0)
	v_add_f32_e32 v2, v2, v7
	s_or_b32 exec_lo, exec_lo, s0
	s_and_saveexec_b32 s0, vcc_lo
	s_cbranch_execnz .LBB163_49
	s_branch .LBB163_50
.LBB163_66:
	ds_read_b32 v0, v5
	s_waitcnt lgkmcnt(0)
	v_add_f32_e32 v4, v4, v0
	s_or_b32 exec_lo, exec_lo, s0
	s_and_saveexec_b32 s0, vcc_lo
	s_cbranch_execz .LBB163_56
.LBB163_67:
	ds_read_b32 v0, v5 offset:64
	s_waitcnt lgkmcnt(0)
	v_add_f32_e32 v3, v3, v0
	s_or_b32 exec_lo, exec_lo, s0
	s_and_saveexec_b32 s0, vcc_lo
	s_cbranch_execz .LBB163_57
.LBB163_68:
	ds_read_b32 v0, v5 offset:128
	s_waitcnt lgkmcnt(0)
	v_add_f32_e32 v2, v2, v0
	s_or_b32 exec_lo, exec_lo, s0
	s_and_saveexec_b32 s0, vcc_lo
	s_cbranch_execnz .LBB163_58
	s_branch .LBB163_59
	.section	.rodata,"a",@progbits
	.p2align	6, 0x0
	.amdhsa_kernel _ZN4vllm25paged_attention_v2_kernelI14__hip_bfloat16S1_Li64ELi16ELi128ELNS_18Fp8KVCacheDataTypeE0ELb0ELi512EEEvPfS3_PT_PKS4_PKT0_SA_ifPKiSC_iPKfiiiSE_SE_iiiii
		.amdhsa_group_segment_fixed_size 160
		.amdhsa_private_segment_fixed_size 0
		.amdhsa_kernarg_size 400
		.amdhsa_user_sgpr_count 6
		.amdhsa_user_sgpr_private_segment_buffer 1
		.amdhsa_user_sgpr_dispatch_ptr 0
		.amdhsa_user_sgpr_queue_ptr 0
		.amdhsa_user_sgpr_kernarg_segment_ptr 1
		.amdhsa_user_sgpr_dispatch_id 0
		.amdhsa_user_sgpr_flat_scratch_init 0
		.amdhsa_user_sgpr_private_segment_size 0
		.amdhsa_wavefront_size32 1
		.amdhsa_uses_dynamic_stack 0
		.amdhsa_system_sgpr_private_segment_wavefront_offset 0
		.amdhsa_system_sgpr_workgroup_id_x 1
		.amdhsa_system_sgpr_workgroup_id_y 1
		.amdhsa_system_sgpr_workgroup_id_z 1
		.amdhsa_system_sgpr_workgroup_info 0
		.amdhsa_system_vgpr_workitem_id 0
		.amdhsa_next_free_vgpr 81
		.amdhsa_next_free_sgpr 36
		.amdhsa_reserve_vcc 1
		.amdhsa_reserve_flat_scratch 0
		.amdhsa_float_round_mode_32 0
		.amdhsa_float_round_mode_16_64 0
		.amdhsa_float_denorm_mode_32 3
		.amdhsa_float_denorm_mode_16_64 3
		.amdhsa_dx10_clamp 1
		.amdhsa_ieee_mode 1
		.amdhsa_fp16_overflow 0
		.amdhsa_workgroup_processor_mode 1
		.amdhsa_memory_ordered 1
		.amdhsa_forward_progress 1
		.amdhsa_shared_vgpr_count 0
		.amdhsa_exception_fp_ieee_invalid_op 0
		.amdhsa_exception_fp_denorm_src 0
		.amdhsa_exception_fp_ieee_div_zero 0
		.amdhsa_exception_fp_ieee_overflow 0
		.amdhsa_exception_fp_ieee_underflow 0
		.amdhsa_exception_fp_ieee_inexact 0
		.amdhsa_exception_int_div_zero 0
	.end_amdhsa_kernel
	.section	.text._ZN4vllm25paged_attention_v2_kernelI14__hip_bfloat16S1_Li64ELi16ELi128ELNS_18Fp8KVCacheDataTypeE0ELb0ELi512EEEvPfS3_PT_PKS4_PKT0_SA_ifPKiSC_iPKfiiiSE_SE_iiiii,"axG",@progbits,_ZN4vllm25paged_attention_v2_kernelI14__hip_bfloat16S1_Li64ELi16ELi128ELNS_18Fp8KVCacheDataTypeE0ELb0ELi512EEEvPfS3_PT_PKS4_PKT0_SA_ifPKiSC_iPKfiiiSE_SE_iiiii,comdat
.Lfunc_end163:
	.size	_ZN4vllm25paged_attention_v2_kernelI14__hip_bfloat16S1_Li64ELi16ELi128ELNS_18Fp8KVCacheDataTypeE0ELb0ELi512EEEvPfS3_PT_PKS4_PKT0_SA_ifPKiSC_iPKfiiiSE_SE_iiiii, .Lfunc_end163-_ZN4vllm25paged_attention_v2_kernelI14__hip_bfloat16S1_Li64ELi16ELi128ELNS_18Fp8KVCacheDataTypeE0ELb0ELi512EEEvPfS3_PT_PKS4_PKT0_SA_ifPKiSC_iPKfiiiSE_SE_iiiii
                                        ; -- End function
	.set _ZN4vllm25paged_attention_v2_kernelI14__hip_bfloat16S1_Li64ELi16ELi128ELNS_18Fp8KVCacheDataTypeE0ELb0ELi512EEEvPfS3_PT_PKS4_PKT0_SA_ifPKiSC_iPKfiiiSE_SE_iiiii.num_vgpr, 81
	.set _ZN4vllm25paged_attention_v2_kernelI14__hip_bfloat16S1_Li64ELi16ELi128ELNS_18Fp8KVCacheDataTypeE0ELb0ELi512EEEvPfS3_PT_PKS4_PKT0_SA_ifPKiSC_iPKfiiiSE_SE_iiiii.num_agpr, 0
	.set _ZN4vllm25paged_attention_v2_kernelI14__hip_bfloat16S1_Li64ELi16ELi128ELNS_18Fp8KVCacheDataTypeE0ELb0ELi512EEEvPfS3_PT_PKS4_PKT0_SA_ifPKiSC_iPKfiiiSE_SE_iiiii.numbered_sgpr, 36
	.set _ZN4vllm25paged_attention_v2_kernelI14__hip_bfloat16S1_Li64ELi16ELi128ELNS_18Fp8KVCacheDataTypeE0ELb0ELi512EEEvPfS3_PT_PKS4_PKT0_SA_ifPKiSC_iPKfiiiSE_SE_iiiii.num_named_barrier, 0
	.set _ZN4vllm25paged_attention_v2_kernelI14__hip_bfloat16S1_Li64ELi16ELi128ELNS_18Fp8KVCacheDataTypeE0ELb0ELi512EEEvPfS3_PT_PKS4_PKT0_SA_ifPKiSC_iPKfiiiSE_SE_iiiii.private_seg_size, 0
	.set _ZN4vllm25paged_attention_v2_kernelI14__hip_bfloat16S1_Li64ELi16ELi128ELNS_18Fp8KVCacheDataTypeE0ELb0ELi512EEEvPfS3_PT_PKS4_PKT0_SA_ifPKiSC_iPKfiiiSE_SE_iiiii.uses_vcc, 1
	.set _ZN4vllm25paged_attention_v2_kernelI14__hip_bfloat16S1_Li64ELi16ELi128ELNS_18Fp8KVCacheDataTypeE0ELb0ELi512EEEvPfS3_PT_PKS4_PKT0_SA_ifPKiSC_iPKfiiiSE_SE_iiiii.uses_flat_scratch, 0
	.set _ZN4vllm25paged_attention_v2_kernelI14__hip_bfloat16S1_Li64ELi16ELi128ELNS_18Fp8KVCacheDataTypeE0ELb0ELi512EEEvPfS3_PT_PKS4_PKT0_SA_ifPKiSC_iPKfiiiSE_SE_iiiii.has_dyn_sized_stack, 0
	.set _ZN4vllm25paged_attention_v2_kernelI14__hip_bfloat16S1_Li64ELi16ELi128ELNS_18Fp8KVCacheDataTypeE0ELb0ELi512EEEvPfS3_PT_PKS4_PKT0_SA_ifPKiSC_iPKfiiiSE_SE_iiiii.has_recursion, 0
	.set _ZN4vllm25paged_attention_v2_kernelI14__hip_bfloat16S1_Li64ELi16ELi128ELNS_18Fp8KVCacheDataTypeE0ELb0ELi512EEEvPfS3_PT_PKS4_PKT0_SA_ifPKiSC_iPKfiiiSE_SE_iiiii.has_indirect_call, 0
	.section	.AMDGPU.csdata,"",@progbits
; Kernel info:
; codeLenInByte = 7016
; TotalNumSgprs: 38
; NumVgprs: 81
; ScratchSize: 0
; MemoryBound: 0
; FloatMode: 240
; IeeeMode: 1
; LDSByteSize: 160 bytes/workgroup (compile time only)
; SGPRBlocks: 0
; VGPRBlocks: 10
; NumSGPRsForWavesPerEU: 38
; NumVGPRsForWavesPerEU: 81
; Occupancy: 10
; WaveLimiterHint : 1
; COMPUTE_PGM_RSRC2:SCRATCH_EN: 0
; COMPUTE_PGM_RSRC2:USER_SGPR: 6
; COMPUTE_PGM_RSRC2:TRAP_HANDLER: 0
; COMPUTE_PGM_RSRC2:TGID_X_EN: 1
; COMPUTE_PGM_RSRC2:TGID_Y_EN: 1
; COMPUTE_PGM_RSRC2:TGID_Z_EN: 1
; COMPUTE_PGM_RSRC2:TIDIG_COMP_CNT: 0
	.section	.text._ZN4vllm25paged_attention_v2_kernelI14__hip_bfloat16S1_Li80ELi16ELi128ELNS_18Fp8KVCacheDataTypeE0ELb0ELi512EEEvPfS3_PT_PKS4_PKT0_SA_ifPKiSC_iPKfiiiSE_SE_iiiii,"axG",@progbits,_ZN4vllm25paged_attention_v2_kernelI14__hip_bfloat16S1_Li80ELi16ELi128ELNS_18Fp8KVCacheDataTypeE0ELb0ELi512EEEvPfS3_PT_PKS4_PKT0_SA_ifPKiSC_iPKfiiiSE_SE_iiiii,comdat
	.protected	_ZN4vllm25paged_attention_v2_kernelI14__hip_bfloat16S1_Li80ELi16ELi128ELNS_18Fp8KVCacheDataTypeE0ELb0ELi512EEEvPfS3_PT_PKS4_PKT0_SA_ifPKiSC_iPKfiiiSE_SE_iiiii ; -- Begin function _ZN4vllm25paged_attention_v2_kernelI14__hip_bfloat16S1_Li80ELi16ELi128ELNS_18Fp8KVCacheDataTypeE0ELb0ELi512EEEvPfS3_PT_PKS4_PKT0_SA_ifPKiSC_iPKfiiiSE_SE_iiiii
	.globl	_ZN4vllm25paged_attention_v2_kernelI14__hip_bfloat16S1_Li80ELi16ELi128ELNS_18Fp8KVCacheDataTypeE0ELb0ELi512EEEvPfS3_PT_PKS4_PKT0_SA_ifPKiSC_iPKfiiiSE_SE_iiiii
	.p2align	8
	.type	_ZN4vllm25paged_attention_v2_kernelI14__hip_bfloat16S1_Li80ELi16ELi128ELNS_18Fp8KVCacheDataTypeE0ELb0ELi512EEEvPfS3_PT_PKS4_PKT0_SA_ifPKiSC_iPKfiiiSE_SE_iiiii,@function
_ZN4vllm25paged_attention_v2_kernelI14__hip_bfloat16S1_Li80ELi16ELi128ELNS_18Fp8KVCacheDataTypeE0ELb0ELi512EEEvPfS3_PT_PKS4_PKT0_SA_ifPKiSC_iPKfiiiSE_SE_iiiii: ; @_ZN4vllm25paged_attention_v2_kernelI14__hip_bfloat16S1_Li80ELi16ELi128ELNS_18Fp8KVCacheDataTypeE0ELb0ELi512EEEvPfS3_PT_PKS4_PKT0_SA_ifPKiSC_iPKfiiiSE_SE_iiiii
; %bb.0:
	s_load_dwordx2 s[0:1], s[4:5], 0x40
	s_mov_b32 s22, s7
	s_ashr_i32 s23, s7, 31
	s_lshl_b64 s[2:3], s[22:23], 2
	s_waitcnt lgkmcnt(0)
	s_add_u32 s0, s0, s2
	s_addc_u32 s1, s1, s3
	s_lshl_b32 s33, s8, 9
	s_load_dword s23, s[0:1], 0x0
	s_waitcnt lgkmcnt(0)
	s_cmp_ge_i32 s33, s23
	s_cbranch_scc1 .LBB164_66
; %bb.1:
	s_clause 0x1
	s_load_dword s9, s[4:5], 0x90
	s_load_dwordx2 s[30:31], s[4:5], 0x30
	s_mov_b32 s34, 0
	s_waitcnt lgkmcnt(0)
	s_abs_i32 s3, s9
	s_abs_i32 s0, s30
	v_cvt_f32_u32_e32 v1, s0
	s_sub_i32 s2, 0, s0
	v_rcp_iflag_f32_e32 v1, v1
	v_mul_f32_e32 v1, 0x4f7ffffe, v1
	v_cvt_u32_f32_e32 v1, v1
	v_readfirstlane_b32 s1, v1
	s_mul_i32 s2, s2, s1
	s_mul_hi_u32 s2, s1, s2
	s_add_i32 s1, s1, s2
	s_xor_b32 s2, s9, s30
	s_mul_hi_u32 s1, s3, s1
	s_ashr_i32 s2, s2, 31
	s_mul_i32 s7, s1, s0
	s_sub_i32 s3, s3, s7
	s_add_i32 s7, s1, 1
	s_sub_i32 s10, s3, s0
	s_cmp_ge_u32 s3, s0
	s_cselect_b32 s1, s7, s1
	s_cselect_b32 s3, s10, s3
	s_add_i32 s7, s1, 1
	s_cmp_ge_u32 s3, s0
	s_cselect_b32 s0, s7, s1
	s_abs_i32 s16, s6
	s_xor_b32 s0, s0, s2
	s_sub_i32 s10, s0, s2
	s_load_dwordx2 s[0:1], s[4:5], 0x50
	s_abs_i32 s2, s10
	v_cvt_f32_u32_e32 v1, s2
	s_sub_i32 s7, 0, s2
	v_rcp_iflag_f32_e32 v1, v1
	v_mul_f32_e32 v1, 0x4f7ffffe, v1
	v_cvt_u32_f32_e32 v1, v1
	v_readfirstlane_b32 s3, v1
	s_mul_i32 s7, s7, s3
	s_mul_hi_u32 s7, s3, s7
	s_add_i32 s3, s3, s7
	s_waitcnt lgkmcnt(0)
	s_cmp_eq_u64 s[0:1], 0
	s_mul_hi_u32 s3, s16, s3
	s_cbranch_scc1 .LBB164_3
; %bb.2:
	s_ashr_i32 s7, s6, 31
	s_lshl_b64 s[12:13], s[6:7], 2
	s_add_u32 s0, s0, s12
	s_addc_u32 s1, s1, s13
	s_load_dword s34, s[0:1], 0x0
.LBB164_3:
	s_load_dwordx4 s[12:15], s[4:5], 0x58
	v_lshrrev_b32_e32 v32, 1, v0
	v_and_b32_e32 v33, 1, v0
	v_lshlrev_b32_e32 v3, 3, v0
	s_ashr_i32 s0, s6, 31
	s_ashr_i32 s1, s10, 31
	s_mul_i32 s10, s6, 0x50
	s_mov_b32 s7, exec_lo
	v_cmpx_gt_u32_e32 20, v0
	s_cbranch_execz .LBB164_5
; %bb.4:
	s_load_dwordx2 s[18:19], s[4:5], 0x18
	s_waitcnt lgkmcnt(0)
	s_mul_i32 s20, s12, s22
	v_lshlrev_b32_e32 v4, 3, v32
	s_ashr_i32 s21, s20, 31
	s_lshl_b64 s[20:21], s[20:21], 1
	v_mad_u32_u24 v4, 0x50, v33, v4
	s_add_u32 s12, s18, s20
	s_addc_u32 s15, s19, s21
	s_ashr_i32 s11, s10, 31
	s_lshl_b64 s[18:19], s[10:11], 1
	s_add_u32 s18, s12, s18
	s_addc_u32 s19, s15, s19
	global_load_dwordx2 v[1:2], v3, s[18:19]
	s_waitcnt vmcnt(0)
	ds_write_b64 v4, v[1:2]
.LBB164_5:
	s_or_b32 exec_lo, exec_lo, s7
	s_add_i32 s7, s23, 15
	s_load_dwordx2 s[24:25], s[4:5], 0x38
	s_waitcnt lgkmcnt(0)
	s_load_dword s15, s[4:5], 0x48
	s_ashr_i32 s11, s7, 31
	s_lshl_b32 s30, s8, 5
	s_lshr_b32 s11, s11, 28
	s_xor_b32 s0, s0, s1
	s_add_i32 s7, s7, s11
	s_add_i32 s1, s30, 32
	s_ashr_i32 s12, s7, 4
	s_mul_i32 s7, s3, s2
	s_min_i32 s11, s1, s12
	s_sub_i32 s1, s16, s7
	s_add_i32 s7, s3, 1
	s_sub_i32 s16, s1, s2
	s_cmp_ge_u32 s1, s2
	v_lshrrev_b32_e32 v34, 5, v0
	s_cselect_b32 s3, s7, s3
	s_cselect_b32 s1, s16, s1
	s_add_i32 s7, s3, 1
	s_cmp_ge_u32 s1, s2
	v_or_b32_e32 v29, s30, v34
	s_cselect_b32 s1, s7, s3
	v_mbcnt_lo_u32_b32 v5, -1, 0
	s_xor_b32 s1, s1, s0
	s_waitcnt lgkmcnt(0)
	s_mul_i32 s26, s15, s22
	s_sub_i32 s1, s1, s0
	v_cmp_gt_i32_e64 s0, s11, v29
	s_ashr_i32 s27, s26, 31
	s_mov_b32 s2, exec_lo
	s_barrier
	buffer_gl0_inv
                                        ; implicit-def: $vgpr6
                                        ; implicit-def: $vgpr7
	v_cmpx_le_i32_e64 s11, v29
	s_xor_b32 s2, exec_lo, s2
; %bb.6:
	v_mov_b32_e32 v6, 0
	v_mbcnt_lo_u32_b32 v5, -1, 0
	v_mov_b32_e32 v7, 32
; %bb.7:
	s_or_saveexec_b32 s35, s2
	s_clause 0x3
	s_load_dwordx4 s[16:19], s[4:5], 0x0
	s_load_dwordx2 s[20:21], s[4:5], 0x10
	s_load_dwordx2 s[28:29], s[4:5], 0x28
	s_load_dword s7, s[4:5], 0x98
	v_mov_b32_e32 v49, 0xff7fffff
	v_ashrrev_i32_e32 v30, 31, v29
	v_lshlrev_b32_e32 v4, 4, v34
	s_mul_i32 s14, s1, s14
	s_xor_b32 exec_lo, exec_lo, s35
	s_cbranch_execz .LBB164_13
; %bb.8:
	s_load_dwordx2 s[2:3], s[4:5], 0x20
	v_mul_u32_u24_e32 v1, 0x50, v33
	v_bfe_u32 v2, v0, 1, 4
	s_ashr_i32 s15, s14, 31
	v_and_b32_e32 v7, 8, v3
	s_lshl_b64 s[4:5], s[14:15], 1
	ds_read_b128 v[14:17], v1
	v_lshlrev_b32_e32 v8, 4, v2
	ds_read_b128 v[22:25], v1 offset:16
	ds_read_b128 v[35:38], v1 offset:32
	;; [unrolled: 1-line block ×4, first 2 shown]
	v_xor_b32_e32 v1, 1, v5
	v_lshlrev_b32_e32 v49, 2, v2
	v_add3_u32 v57, s33, v4, v2
	v_mov_b32_e32 v6, 0
	v_mov_b32_e32 v59, v29
	s_mov_b32 s15, s13
	v_lshl_or_b32 v49, v34, 6, v49
	s_waitcnt lgkmcnt(0)
	s_add_u32 s1, s2, s4
	s_addc_u32 s2, s3, s5
	v_add_co_u32 v18, s1, s1, v8
	v_add_co_ci_u32_e64 v19, null, s2, 0, s1
	v_lshlrev_b32_e32 v10, 16, v15
	v_and_b32_e32 v11, 0xffff0000, v15
	v_add_co_u32 v15, vcc_lo, v18, v7
	v_lshlrev_b32_e32 v12, 16, v16
	v_and_b32_e32 v13, 0xffff0000, v16
	v_add_co_ci_u32_e64 v16, null, 0, v19, vcc_lo
	v_cmp_gt_i32_e32 vcc_lo, 32, v1
	s_lshl_b64 s[2:3], s[26:27], 2
	s_sub_i32 s4, 1, s23
	s_add_u32 s2, s24, s2
	s_addc_u32 s3, s25, s3
	v_cndmask_b32_e32 v1, v5, v1, vcc_lo
	v_lshlrev_b32_e32 v8, 16, v14
	v_and_b32_e32 v9, 0xffff0000, v14
	v_lshlrev_b32_e32 v14, 16, v17
	v_and_b32_e32 v17, 0xffff0000, v17
	v_lshlrev_b32_e32 v56, 2, v1
	v_lshlrev_b64 v[1:2], 2, v[29:30]
	v_lshlrev_b32_e32 v18, 16, v22
	v_and_b32_e32 v19, 0xffff0000, v22
	v_lshlrev_b32_e32 v20, 16, v23
	v_and_b32_e32 v21, 0xffff0000, v23
	v_lshlrev_b32_e32 v22, 16, v24
	v_add_co_u32 v1, s2, s2, v1
	v_and_b32_e32 v23, 0xffff0000, v24
	v_lshlrev_b32_e32 v24, 16, v25
	v_and_b32_e32 v25, 0xffff0000, v25
	v_lshlrev_b32_e32 v26, 16, v35
	;; [unrolled: 2-line block ×13, first 2 shown]
	v_and_b32_e32 v55, 0xffff0000, v55
	v_mov_b32_e32 v7, 32
	v_cmp_neq_f32_e64 s1, s34, 0
	v_add_nc_u32_e32 v58, 0xc0, v49
	v_add_co_ci_u32_e64 v2, null, s3, v2, s2
	v_mov_b32_e32 v49, 0xff7fffff
	s_mov_b32 s5, 0
	v_cmp_eq_u32_e32 vcc_lo, 0, v33
	s_branch .LBB164_10
.LBB164_9:                              ;   in Loop: Header=BB164_10 Depth=1
	s_or_b32 exec_lo, exec_lo, s3
	v_add_nc_u32_e32 v59, 4, v59
	v_add_co_u32 v1, s3, v1, 16
	v_add_nc_u32_e32 v57, 64, v57
	v_add_nc_u32_e32 v58, 0x100, v58
	v_cmp_le_i32_e64 s2, s11, v59
	v_add_co_ci_u32_e64 v2, null, 0, v2, s3
	s_or_b32 s5, s2, s5
	s_andn2_b32 exec_lo, exec_lo, s5
	s_cbranch_execz .LBB164_12
.LBB164_10:                             ; =>This Inner Loop Header: Depth=1
	global_load_dword v60, v[1:2], off
	s_waitcnt vmcnt(0) lgkmcnt(0)
	v_mad_i64_i32 v[60:61], null, v60, s15, 0
	v_lshlrev_b64 v[60:61], 1, v[60:61]
	v_add_co_u32 v60, s2, v15, v60
	v_add_co_ci_u32_e64 v61, null, v16, v61, s2
	s_clause 0x7
	global_load_dwordx2 v[62:63], v[60:61], off
	global_load_dwordx2 v[64:65], v[60:61], off offset:256
	global_load_dwordx2 v[66:67], v[60:61], off offset:512
	;; [unrolled: 1-line block ×7, first 2 shown]
	v_add_co_u32 v60, s2, 0x800, v60
	v_add_co_ci_u32_e64 v61, null, 0, v61, s2
	s_clause 0x1
	global_load_dwordx2 v[78:79], v[60:61], off
	global_load_dwordx2 v[60:61], v[60:61], off offset:256
	s_waitcnt vmcnt(9)
	v_lshlrev_b32_e32 v80, 16, v62
	s_waitcnt vmcnt(8)
	v_lshlrev_b32_e32 v82, 16, v64
	v_and_b32_e32 v64, 0xffff0000, v64
	v_and_b32_e32 v62, 0xffff0000, v62
	v_lshlrev_b32_e32 v83, 16, v65
	v_lshlrev_b32_e32 v81, 16, v63
	v_mul_f32_e32 v82, v12, v82
	v_mul_f32_e32 v64, v13, v64
	v_and_b32_e32 v65, 0xffff0000, v65
	s_waitcnt vmcnt(7)
	v_lshlrev_b32_e32 v84, 16, v66
	v_and_b32_e32 v66, 0xffff0000, v66
	v_mul_f32_e32 v83, v14, v83
	v_fmac_f32_e32 v82, v8, v80
	v_fmac_f32_e32 v64, v9, v62
	v_and_b32_e32 v63, 0xffff0000, v63
	v_lshlrev_b32_e32 v85, 16, v67
	s_waitcnt vmcnt(6)
	v_lshlrev_b32_e32 v86, 16, v68
	v_and_b32_e32 v68, 0xffff0000, v68
	v_mul_f32_e32 v65, v17, v65
	v_fmac_f32_e32 v83, v10, v81
	v_fmac_f32_e32 v82, v18, v84
	v_fmac_f32_e32 v64, v19, v66
	v_and_b32_e32 v67, 0xffff0000, v67
	v_lshlrev_b32_e32 v87, 16, v69
	s_waitcnt vmcnt(5)
	v_lshlrev_b32_e32 v88, 16, v70
	v_and_b32_e32 v70, 0xffff0000, v70
	v_fmac_f32_e32 v65, v11, v63
	v_fmac_f32_e32 v83, v20, v85
	v_fmac_f32_e32 v82, v22, v86
	v_fmac_f32_e32 v64, v23, v68
	v_and_b32_e32 v69, 0xffff0000, v69
	v_lshlrev_b32_e32 v89, 16, v71
	s_waitcnt vmcnt(4)
	v_lshlrev_b32_e32 v90, 16, v72
	v_and_b32_e32 v72, 0xffff0000, v72
	v_fmac_f32_e32 v65, v21, v67
	;; [unrolled: 9-line block ×6, first 2 shown]
	v_fmac_f32_e32 v83, v45, v95
	v_fmac_f32_e32 v82, v47, v66
	;; [unrolled: 1-line block ×3, first 2 shown]
	v_and_b32_e32 v68, 0xffff0000, v79
	v_lshlrev_b32_e32 v63, 16, v61
	v_fmac_f32_e32 v65, v46, v62
	v_fmac_f32_e32 v83, v50, v67
	;; [unrolled: 1-line block ×4, first 2 shown]
	v_and_b32_e32 v60, 0xffff0000, v61
	v_fmac_f32_e32 v65, v51, v68
	v_fmac_f32_e32 v83, v54, v63
	v_add_f32_e32 v61, v82, v64
	v_fmac_f32_e32 v65, v55, v60
	v_add_f32_e32 v60, v61, v83
	v_add_f32_e32 v60, v65, v60
	ds_bpermute_b32 v61, v56, v60
	s_and_saveexec_b32 s3, vcc_lo
	s_cbranch_execz .LBB164_9
; %bb.11:                               ;   in Loop: Header=BB164_10 Depth=1
	v_add_nc_u32_e32 v62, s4, v57
	s_waitcnt lgkmcnt(0)
	v_add_f32_e32 v60, v60, v61
	v_cmp_gt_i32_e64 s2, s23, v57
	v_cvt_f32_i32_e32 v62, v62
	v_mul_f32_e32 v62, s34, v62
	v_cndmask_b32_e64 v61, 0, v62, s1
	v_max_f32_e32 v62, v49, v49
	v_fmac_f32_e32 v61, s31, v60
	v_max_f32_e32 v60, v62, v61
	v_cndmask_b32_e64 v61, 0, v61, s2
	v_cndmask_b32_e64 v49, v49, v60, s2
	ds_write_b32 v58, v61
	s_branch .LBB164_9
.LBB164_12:
	s_or_b32 exec_lo, exec_lo, s5
.LBB164_13:
	s_or_b32 exec_lo, exec_lo, s35
	v_xor_b32_e32 v1, 16, v5
	v_xor_b32_e32 v2, 8, v5
	v_max_f32_e32 v10, v49, v49
	v_xor_b32_e32 v11, 2, v5
	v_and_b32_e32 v35, 31, v0
	v_cmp_lt_i32_e32 vcc_lo, v1, v7
	v_cndmask_b32_e32 v1, v5, v1, vcc_lo
	v_cmp_lt_i32_e32 vcc_lo, v2, v7
	v_lshlrev_b32_e32 v8, 2, v1
	v_cndmask_b32_e32 v2, v5, v2, vcc_lo
	ds_bpermute_b32 v1, v8, v49
	v_lshlrev_b32_e32 v9, 2, v2
	s_waitcnt lgkmcnt(0)
	v_max_f32_e32 v1, v1, v1
	v_max_f32_e32 v1, v10, v1
	v_xor_b32_e32 v10, 4, v5
	ds_bpermute_b32 v2, v9, v1
	v_cmp_lt_i32_e32 vcc_lo, v10, v7
	v_cndmask_b32_e32 v10, v5, v10, vcc_lo
	v_cmp_lt_i32_e32 vcc_lo, v11, v7
	v_lshlrev_b32_e32 v10, 2, v10
	v_cndmask_b32_e32 v11, v5, v11, vcc_lo
	v_cmp_eq_u32_e32 vcc_lo, 0, v35
	s_waitcnt lgkmcnt(0)
	v_max_f32_e32 v2, v2, v2
	v_max_f32_e32 v1, v1, v2
	ds_bpermute_b32 v2, v10, v1
	s_waitcnt lgkmcnt(0)
	v_max_f32_e32 v2, v2, v2
	v_max_f32_e32 v1, v1, v2
	v_lshlrev_b32_e32 v2, 2, v11
	v_lshlrev_b32_e32 v11, 2, v34
	ds_bpermute_b32 v12, v2, v1
	s_and_saveexec_b32 s1, vcc_lo
	s_cbranch_execz .LBB164_15
; %bb.14:
	s_waitcnt lgkmcnt(0)
	v_max_f32_e32 v12, v12, v12
	v_max_f32_e32 v1, v1, v1
	;; [unrolled: 1-line block ×3, first 2 shown]
	ds_write_b32 v11, v1 offset:160
.LBB164_15:
	s_or_b32 exec_lo, exec_lo, s1
	v_cmp_gt_u32_e64 s1, 4, v35
	v_mov_b32_e32 v1, 0xff7fffff
	s_waitcnt lgkmcnt(0)
	v_lshlrev_b32_e32 v12, 2, v35
	s_barrier
	buffer_gl0_inv
	s_and_saveexec_b32 s2, s1
; %bb.16:
	ds_read_b32 v1, v12 offset:160
; %bb.17:
	s_or_b32 exec_lo, exec_lo, s2
	s_waitcnt lgkmcnt(0)
	ds_bpermute_b32 v13, v2, v1
	v_xor_b32_e32 v14, 1, v5
	v_max_f32_e32 v1, v1, v1
	v_lshlrev_b32_e32 v6, 2, v6
	v_cmp_lt_i32_e64 s2, v14, v7
	v_cndmask_b32_e64 v7, v5, v14, s2
	s_sub_i32 s2, s11, s30
	s_lshl_b32 s2, s2, 4
	v_lshlrev_b32_e32 v36, 2, v7
	s_add_i32 s2, s2, s33
	s_min_i32 s2, s2, s23
	s_waitcnt lgkmcnt(0)
	v_max_f32_e32 v13, v13, v13
	s_sub_i32 s4, s2, s33
	v_cmp_gt_i32_e64 s2, s4, v0
	v_max_f32_e32 v1, v1, v13
	ds_bpermute_b32 v7, v36, v1
	s_waitcnt lgkmcnt(0)
	v_max_f32_e32 v7, v7, v7
	v_max_f32_e32 v1, v1, v7
	v_mov_b32_e32 v7, 0
	ds_bpermute_b32 v1, v6, v1
	v_lshl_add_u32 v6, v0, 2, 0xc0
	s_and_saveexec_b32 s5, s2
	s_cbranch_execz .LBB164_21
; %bb.18:
	v_lshl_add_u32 v13, v0, 2, 0xc0
	v_mov_b32_e32 v7, 0
	v_mov_b32_e32 v14, v0
	s_mov_b32 s15, 0
	.p2align	6
.LBB164_19:                             ; =>This Inner Loop Header: Depth=1
	ds_read_b32 v15, v13
	v_add_nc_u32_e32 v14, 0x80, v14
	v_cmp_le_i32_e64 s3, s4, v14
	s_or_b32 s15, s3, s15
	s_waitcnt lgkmcnt(0)
	v_sub_f32_e32 v15, v15, v1
	v_mul_f32_e32 v15, 0x3fb8aa3b, v15
	v_exp_f32_e32 v15, v15
	ds_write_b32 v13, v15
	v_add_f32_e32 v7, v7, v15
	v_add_nc_u32_e32 v13, 0x200, v13
	s_andn2_b32 exec_lo, exec_lo, s15
	s_cbranch_execnz .LBB164_19
; %bb.20:
	s_or_b32 exec_lo, exec_lo, s15
.LBB164_21:
	s_or_b32 exec_lo, exec_lo, s5
	ds_bpermute_b32 v8, v8, v7
	s_waitcnt lgkmcnt(0)
	v_add_f32_e32 v7, v7, v8
	ds_bpermute_b32 v8, v9, v7
	s_waitcnt lgkmcnt(0)
	v_add_f32_e32 v7, v7, v8
	ds_bpermute_b32 v8, v10, v7
	s_waitcnt lgkmcnt(0)
	v_add_f32_e32 v7, v7, v8
	ds_bpermute_b32 v8, v2, v7
	s_waitcnt lgkmcnt(0)
	v_add_f32_e32 v7, v7, v8
	ds_bpermute_b32 v8, v36, v7
	s_waitcnt lgkmcnt(0)
	v_add_f32_e32 v7, v7, v8
	s_and_saveexec_b32 s3, vcc_lo
; %bb.22:
	ds_write_b32 v11, v7 offset:176
; %bb.23:
	s_or_b32 exec_lo, exec_lo, s3
	s_waitcnt lgkmcnt(0)
	s_barrier
	buffer_gl0_inv
	s_and_saveexec_b32 s3, s1
; %bb.24:
	ds_read_b32 v7, v12 offset:176
; %bb.25:
	s_or_b32 exec_lo, exec_lo, s3
	s_waitcnt lgkmcnt(0)
	ds_bpermute_b32 v2, v2, v7
	v_lshlrev_b32_e32 v5, 2, v5
	v_and_b32_e32 v5, 0xffffff80, v5
	s_waitcnt lgkmcnt(0)
	v_add_f32_e32 v2, v7, v2
	ds_bpermute_b32 v7, v36, v2
	s_waitcnt lgkmcnt(0)
	v_add_f32_e32 v2, v2, v7
	ds_bpermute_b32 v2, v5, v2
	s_and_saveexec_b32 s1, s2
	s_cbranch_execz .LBB164_28
; %bb.26:
	s_waitcnt lgkmcnt(0)
	v_add_f32_e32 v5, 0x358637bd, v2
	s_mov_b32 s2, 0
	v_div_scale_f32 v7, null, v5, v5, 1.0
	v_div_scale_f32 v10, vcc_lo, 1.0, v5, 1.0
	v_rcp_f32_e32 v8, v7
	v_fma_f32 v9, -v7, v8, 1.0
	v_fmac_f32_e32 v8, v9, v8
	v_mul_f32_e32 v9, v10, v8
	v_fma_f32 v11, -v7, v9, v10
	v_fmac_f32_e32 v9, v11, v8
	v_fma_f32 v7, -v7, v9, v10
	v_div_fmas_f32 v7, v7, v8, v9
	v_div_fixup_f32 v5, v7, v5, 1.0
	v_mov_b32_e32 v7, v0
.LBB164_27:                             ; =>This Inner Loop Header: Depth=1
	ds_read_b32 v8, v6
	v_add_nc_u32_e32 v7, 0x80, v7
	v_cmp_le_i32_e32 vcc_lo, s4, v7
	s_or_b32 s2, vcc_lo, s2
	s_waitcnt lgkmcnt(0)
	v_mul_f32_e32 v8, v5, v8
	ds_write_b32 v6, v8
	v_add_nc_u32_e32 v6, 0x200, v6
	s_andn2_b32 exec_lo, exec_lo, s2
	s_cbranch_execnz .LBB164_27
.LBB164_28:
	s_or_b32 exec_lo, exec_lo, s1
	s_mul_i32 s1, s7, s22
	s_waitcnt lgkmcnt(0)
	s_mul_i32 s4, s1, s9
	s_mov_b32 s1, exec_lo
	s_barrier
	buffer_gl0_inv
	v_cmpx_eq_u32_e32 0, v0
	s_cbranch_execz .LBB164_30
; %bb.29:
	s_ashr_i32 s5, s4, 31
	s_mul_i32 s30, s7, s6
	s_lshl_b64 s[2:3], s[4:5], 2
	v_mov_b32_e32 v5, 0
	s_add_u32 s5, s18, s2
	s_addc_u32 s6, s19, s3
	s_ashr_i32 s31, s30, 31
	s_lshl_b64 s[18:19], s[30:31], 2
	s_add_u32 s5, s5, s18
	s_addc_u32 s6, s6, s19
	s_ashr_i32 s9, s8, 31
	s_lshl_b64 s[30:31], s[8:9], 2
	s_add_u32 s34, s5, s30
	s_addc_u32 s35, s6, s31
	s_add_u32 s2, s16, s2
	s_addc_u32 s3, s17, s3
	;; [unrolled: 2-line block ×4, first 2 shown]
	global_store_dword v5, v1, s[34:35]
	global_store_dword v5, v2, s[2:3]
.LBB164_30:
	s_or_b32 exec_lo, exec_lo, s1
	v_mov_b32_e32 v40, 0
	v_mov_b32_e32 v41, 0
	;; [unrolled: 1-line block ×5, first 2 shown]
	s_and_saveexec_b32 s3, s0
	s_cbranch_execz .LBB164_44
; %bb.31:
	v_lshlrev_b32_e32 v1, 4, v0
	s_ashr_i32 s15, s14, 31
	v_and_b32_e32 v2, 8, v3
	s_lshl_b64 s[0:1], s[14:15], 1
	v_lshlrev_b32_e32 v3, 5, v33
	v_and_b32_e32 v1, 0x1f0, v1
	s_add_u32 s0, s28, s0
	s_addc_u32 s1, s29, s1
	v_add3_u32 v45, s33, v4, v2
	s_add_i32 s5, s12, -1
	v_add_co_u32 v43, s0, s0, v1
	v_lshlrev_b64 v[1:2], 2, v[29:30]
	v_add_co_ci_u32_e64 v44, null, s1, 0, s0
	s_lshl_b64 s[0:1], s[26:27], 2
	v_lshl_or_b32 v3, v34, 6, v3
	s_add_u32 s0, s24, s0
	s_addc_u32 s1, s25, s1
	v_add_co_u32 v30, vcc_lo, s0, v1
	v_mov_b32_e32 v42, 0
	v_add_nc_u32_e32 v46, 0xc0, v3
	v_add_co_ci_u32_e64 v31, null, s1, v2, vcc_lo
	v_mov_b32_e32 v37, 0
	v_mov_b32_e32 v38, 0
	;; [unrolled: 1-line block ×5, first 2 shown]
	s_mov_b32 s6, s13
	s_mov_b32 s12, s23
	;; [unrolled: 1-line block ×3, first 2 shown]
	s_branch .LBB164_33
.LBB164_32:                             ;   in Loop: Header=BB164_33 Depth=1
	s_or_b32 exec_lo, exec_lo, s2
	s_waitcnt lgkmcnt(1)
	v_bfe_u32 v47, v21, 16, 1
	v_bfe_u32 v48, v22, 16, 1
	v_or_b32_e32 v49, 0x400000, v21
	v_cmp_u_f32_e32 vcc_lo, v21, v21
	v_or_b32_e32 v50, 0x400000, v22
	v_add3_u32 v47, v47, v21, 0x7fff
	v_bfe_u32 v51, v23, 16, 1
	v_add3_u32 v48, v48, v22, 0x7fff
	v_bfe_u32 v52, v24, 16, 1
	s_waitcnt vmcnt(1)
	v_and_b32_e32 v54, 0xffff0000, v28
	v_cndmask_b32_e32 v21, v47, v49, vcc_lo
	v_cmp_u_f32_e32 vcc_lo, v22, v22
	v_add3_u32 v47, v51, v23, 0x7fff
	v_add3_u32 v49, v52, v24, 0x7fff
	s_waitcnt lgkmcnt(0)
	v_bfe_u32 v51, v17, 16, 1
	v_and_b32_e32 v21, 0xffff0000, v21
	v_cndmask_b32_e32 v22, v48, v50, vcc_lo
	v_or_b32_e32 v48, 0x400000, v23
	v_cmp_u_f32_e32 vcc_lo, v23, v23
	v_or_b32_e32 v50, 0x400000, v24
	v_lshlrev_b32_e32 v28, 16, v28
	v_add_nc_u32_e32 v29, 4, v29
	v_add_co_u32 v30, s0, v30, 16
	v_cndmask_b32_e32 v23, v47, v48, vcc_lo
	v_cmp_u_f32_e32 vcc_lo, v24, v24
	v_bfe_u32 v47, v18, 16, 1
	v_add3_u32 v48, v51, v17, 0x7fff
	v_bfe_u32 v51, v19, 16, 1
	v_add_nc_u32_e32 v45, 64, v45
	v_cndmask_b32_e32 v24, v49, v50, vcc_lo
	v_or_b32_e32 v49, 0x400000, v17
	v_cmp_u_f32_e32 vcc_lo, v17, v17
	v_add3_u32 v47, v47, v18, 0x7fff
	v_or_b32_e32 v50, 0x400000, v18
	v_and_b32_e32 v17, 0xffff0000, v22
	v_and_b32_e32 v22, 0xffff0000, v25
	v_cndmask_b32_e32 v48, v48, v49, vcc_lo
	v_cmp_u_f32_e32 vcc_lo, v18, v18
	v_add3_u32 v18, v51, v19, 0x7fff
	v_bfe_u32 v49, v20, 16, 1
	v_lshlrev_b32_e32 v25, 16, v25
	v_mul_f32_e32 v22, v17, v22
	v_cndmask_b32_e32 v47, v47, v50, vcc_lo
	v_or_b32_e32 v50, 0x400000, v19
	v_cmp_u_f32_e32 vcc_lo, v19, v19
	v_add3_u32 v49, v49, v20, 0x7fff
	v_or_b32_e32 v51, 0x400000, v20
	v_mul_f32_e32 v25, v21, v25
	v_bfe_u32 v19, v22, 16, 1
	v_cndmask_b32_e32 v50, v18, v50, vcc_lo
	v_cmp_u_f32_e32 vcc_lo, v20, v20
	v_and_b32_e32 v18, 0xffff0000, v24
	v_and_b32_e32 v24, 0xffff0000, v26
	v_add3_u32 v19, v19, v22, 0x7fff
	v_or_b32_e32 v52, 0x400000, v25
	v_cndmask_b32_e32 v20, v49, v51, vcc_lo
	v_bfe_u32 v49, v25, 16, 1
	v_or_b32_e32 v51, 0x400000, v22
	v_cmp_u_f32_e32 vcc_lo, v22, v22
	v_mul_f32_e32 v53, v18, v24
	v_and_b32_e32 v24, 0xffff0000, v23
	v_add3_u32 v49, v49, v25, 0x7fff
	v_lshlrev_b32_e32 v23, 16, v26
	v_cndmask_b32_e32 v26, v19, v51, vcc_lo
	v_cmp_u_f32_e32 vcc_lo, v25, v25
	v_and_b32_e32 v19, 0xffff0000, v47
	v_and_b32_e32 v47, 0xffff0000, v27
	v_mul_f32_e32 v23, v24, v23
	v_and_b32_e32 v22, 0xffff0000, v48
	v_cndmask_b32_e32 v25, v49, v52, vcc_lo
	v_bfe_u32 v49, v53, 16, 1
	v_lshlrev_b32_e32 v27, 16, v27
	v_bfe_u32 v51, v23, 16, 1
	v_mul_f32_e32 v47, v19, v47
	v_cmp_u_f32_e32 vcc_lo, v53, v53
	v_add3_u32 v48, v49, v53, 0x7fff
	v_or_b32_e32 v49, 0x400000, v53
	v_mul_f32_e32 v27, v22, v27
	v_bfe_u32 v52, v47, 16, 1
	v_and_b32_e32 v20, 0xffff0000, v20
	v_and_b32_e32 v25, 0xffff0000, v25
	v_cndmask_b32_e32 v48, v48, v49, vcc_lo
	v_add3_u32 v49, v51, v23, 0x7fff
	v_or_b32_e32 v51, 0x400000, v23
	v_cmp_u_f32_e32 vcc_lo, v23, v23
	v_bfe_u32 v53, v27, 16, 1
	v_mul_f32_e32 v54, v20, v54
	v_and_b32_e32 v23, 0xffff0000, v50
	v_or_b32_e32 v50, 0x400000, v27
	v_cndmask_b32_e32 v49, v49, v51, vcc_lo
	v_add3_u32 v51, v52, v47, 0x7fff
	v_or_b32_e32 v52, 0x400000, v47
	v_cmp_u_f32_e32 vcc_lo, v47, v47
	v_add3_u32 v53, v53, v27, 0x7fff
	v_bfe_u32 v55, v54, 16, 1
	v_mul_f32_e32 v28, v23, v28
	v_and_b32_e32 v26, 0xffff0000, v26
	v_cndmask_b32_e32 v47, v51, v52, vcc_lo
	v_cmp_u_f32_e32 vcc_lo, v27, v27
	v_or_b32_e32 v51, 0x400000, v54
	v_bfe_u32 v52, v28, 16, 1
	v_and_b32_e32 v49, 0xffff0000, v49
	v_and_b32_e32 v48, 0xffff0000, v48
	v_cndmask_b32_e32 v27, v53, v50, vcc_lo
	v_add3_u32 v50, v55, v54, 0x7fff
	v_cmp_u_f32_e32 vcc_lo, v54, v54
	v_add_f32_e32 v25, v25, v26
	v_add_f32_e32 v26, v49, v48
	v_and_b32_e32 v27, 0xffff0000, v27
	v_and_b32_e32 v47, 0xffff0000, v47
	v_cndmask_b32_e32 v50, v50, v51, vcc_lo
	v_add3_u32 v51, v52, v28, 0x7fff
	v_or_b32_e32 v52, 0x400000, v28
	v_cmp_u_f32_e32 vcc_lo, v28, v28
	v_add_f32_e32 v25, v26, v25
	v_and_b32_e32 v26, 0xffff0000, v13
	v_add_f32_e32 v27, v27, v47
	v_lshlrev_b32_e32 v13, 16, v13
	v_cndmask_b32_e32 v28, v51, v52, vcc_lo
	v_and_b32_e32 v47, 0xffff0000, v50
	v_mul_f32_e32 v26, v17, v26
	v_and_b32_e32 v50, 0xffff0000, v16
	v_mul_f32_e32 v48, v21, v13
	v_and_b32_e32 v28, 0xffff0000, v28
	v_add_f32_e32 v13, v27, v25
	v_bfe_u32 v27, v26, 16, 1
	v_cmp_u_f32_e32 vcc_lo, v26, v26
	v_or_b32_e32 v49, 0x400000, v48
	v_add_f32_e32 v25, v28, v47
	v_bfe_u32 v28, v48, 16, 1
	v_and_b32_e32 v47, 0xffff0000, v14
	v_lshlrev_b32_e32 v14, 16, v14
	v_lshlrev_b32_e32 v16, 16, v16
	v_add_f32_e32 v13, v25, v13
	v_add3_u32 v25, v27, v26, 0x7fff
	v_or_b32_e32 v27, 0x400000, v26
	v_add3_u32 v28, v28, v48, 0x7fff
	v_mul_f32_e32 v47, v18, v47
	v_mul_f32_e32 v14, v24, v14
	;; [unrolled: 1-line block ×3, first 2 shown]
	v_cndmask_b32_e32 v25, v25, v27, vcc_lo
	v_cmp_u_f32_e32 vcc_lo, v48, v48
	v_bfe_u32 v26, v47, 16, 1
	v_or_b32_e32 v48, 0x400000, v47
	v_add_f32_e32 v38, v38, v13
	v_and_b32_e32 v25, 0xffff0000, v25
	v_cndmask_b32_e32 v27, v28, v49, vcc_lo
	v_and_b32_e32 v28, 0xffff0000, v15
	v_add3_u32 v26, v26, v47, 0x7fff
	v_lshlrev_b32_e32 v15, 16, v15
	v_bfe_u32 v49, v14, 16, 1
	v_cmp_u_f32_e32 vcc_lo, v47, v47
	v_mul_f32_e32 v28, v19, v28
	v_and_b32_e32 v27, 0xffff0000, v27
	v_mul_f32_e32 v15, v22, v15
	v_add3_u32 v47, v49, v14, 0x7fff
	v_cndmask_b32_e32 v26, v26, v48, vcc_lo
	v_or_b32_e32 v48, 0x400000, v14
	v_bfe_u32 v49, v28, 16, 1
	v_cmp_u_f32_e32 vcc_lo, v14, v14
	v_bfe_u32 v51, v15, 16, 1
	v_and_b32_e32 v26, 0xffff0000, v26
	v_add_f32_e32 v25, v27, v25
	v_and_b32_e32 v27, 0xffff0000, v9
	v_cndmask_b32_e32 v14, v47, v48, vcc_lo
	v_add3_u32 v47, v49, v28, 0x7fff
	v_mul_f32_e32 v48, v20, v50
	v_or_b32_e32 v49, 0x400000, v28
	v_cmp_u_f32_e32 vcc_lo, v28, v28
	v_add3_u32 v50, v51, v15, 0x7fff
	v_or_b32_e32 v51, 0x400000, v15
	v_bfe_u32 v52, v48, 16, 1
	v_and_b32_e32 v14, 0xffff0000, v14
	v_cndmask_b32_e32 v28, v47, v49, vcc_lo
	v_cmp_u_f32_e32 vcc_lo, v15, v15
	v_or_b32_e32 v49, 0x400000, v48
	v_add3_u32 v47, v52, v48, 0x7fff
	v_add_f32_e32 v14, v14, v26
	v_and_b32_e32 v26, 0xffff0000, v28
	v_cndmask_b32_e32 v15, v50, v51, vcc_lo
	v_bfe_u32 v50, v16, 16, 1
	v_cmp_u_f32_e32 vcc_lo, v48, v48
	v_lshlrev_b32_e32 v9, 16, v9
	v_add_f32_e32 v14, v14, v25
	v_and_b32_e32 v15, 0xffff0000, v15
	v_add3_u32 v48, v50, v16, 0x7fff
	v_cndmask_b32_e32 v47, v47, v49, vcc_lo
	v_or_b32_e32 v49, 0x400000, v16
	v_cmp_u_f32_e32 vcc_lo, v16, v16
	v_mul_f32_e32 v25, v17, v27
	v_add_f32_e32 v15, v15, v26
	v_mul_f32_e32 v26, v21, v9
	v_and_b32_e32 v27, 0xffff0000, v47
	v_cndmask_b32_e32 v16, v48, v49, vcc_lo
	v_and_b32_e32 v28, 0xffff0000, v10
	v_bfe_u32 v47, v25, 16, 1
	v_add_f32_e32 v9, v15, v14
	v_bfe_u32 v15, v26, 16, 1
	v_and_b32_e32 v16, 0xffff0000, v16
	v_cmp_u_f32_e32 vcc_lo, v25, v25
	v_lshlrev_b32_e32 v10, 16, v10
	v_add_nc_u32_e32 v46, 0x100, v46
	v_add3_u32 v15, v15, v26, 0x7fff
	v_add_f32_e32 v14, v16, v27
	v_mul_f32_e32 v16, v18, v28
	v_add3_u32 v27, v47, v25, 0x7fff
	v_or_b32_e32 v28, 0x400000, v25
	v_or_b32_e32 v47, 0x400000, v26
	v_mul_f32_e32 v10, v24, v10
	v_bfe_u32 v48, v16, 16, 1
	v_add_co_ci_u32_e64 v31, null, 0, v31, s0
	v_cndmask_b32_e32 v25, v27, v28, vcc_lo
	v_cmp_u_f32_e32 vcc_lo, v26, v26
	v_add3_u32 v26, v48, v16, 0x7fff
	v_or_b32_e32 v27, 0x400000, v16
	v_and_b32_e32 v28, 0xffff0000, v11
	v_lshlrev_b32_e32 v11, 16, v11
	v_cndmask_b32_e32 v15, v15, v47, vcc_lo
	v_cmp_u_f32_e32 vcc_lo, v16, v16
	v_bfe_u32 v47, v10, 16, 1
	v_and_b32_e32 v25, 0xffff0000, v25
	v_mul_f32_e32 v11, v22, v11
	v_and_b32_e32 v15, 0xffff0000, v15
	v_cndmask_b32_e32 v16, v26, v27, vcc_lo
	v_mul_f32_e32 v26, v19, v28
	v_add3_u32 v27, v47, v10, 0x7fff
	v_or_b32_e32 v28, 0x400000, v10
	v_and_b32_e32 v47, 0xffff0000, v12
	v_cmp_u_f32_e32 vcc_lo, v10, v10
	v_bfe_u32 v48, v26, 16, 1
	v_bfe_u32 v49, v11, 16, 1
	v_lshlrev_b32_e32 v12, 16, v12
	v_and_b32_e32 v16, 0xffff0000, v16
	v_cndmask_b32_e32 v10, v27, v28, vcc_lo
	v_mul_f32_e32 v27, v20, v47
	v_add3_u32 v28, v48, v26, 0x7fff
	v_or_b32_e32 v47, 0x400000, v26
	v_cmp_u_f32_e32 vcc_lo, v26, v26
	v_add3_u32 v48, v49, v11, 0x7fff
	v_or_b32_e32 v49, 0x400000, v11
	v_bfe_u32 v50, v27, 16, 1
	v_and_b32_e32 v10, 0xffff0000, v10
	v_cndmask_b32_e32 v26, v28, v47, vcc_lo
	v_cmp_u_f32_e32 vcc_lo, v11, v11
	v_or_b32_e32 v47, 0x400000, v27
	v_add3_u32 v28, v50, v27, 0x7fff
	v_mul_f32_e32 v12, v23, v12
	v_add_f32_e32 v15, v15, v25
	v_cndmask_b32_e32 v11, v48, v49, vcc_lo
	v_cmp_u_f32_e32 vcc_lo, v27, v27
	v_add_f32_e32 v10, v10, v16
	v_and_b32_e32 v16, 0xffff0000, v1
	v_and_b32_e32 v25, 0xffff0000, v26
	;; [unrolled: 1-line block ×3, first 2 shown]
	v_cndmask_b32_e32 v27, v28, v47, vcc_lo
	v_bfe_u32 v28, v12, 16, 1
	v_add_f32_e32 v10, v10, v15
	v_mul_f32_e32 v15, v17, v16
	v_add_f32_e32 v11, v11, v25
	v_lshlrev_b32_e32 v1, 16, v1
	v_add3_u32 v26, v28, v12, 0x7fff
	v_or_b32_e32 v28, 0x400000, v12
	v_cmp_u_f32_e32 vcc_lo, v12, v12
	v_bfe_u32 v16, v15, 16, 1
	v_add_f32_e32 v10, v11, v10
	v_and_b32_e32 v11, 0xffff0000, v2
	v_mul_f32_e32 v1, v21, v1
	v_cndmask_b32_e32 v12, v26, v28, vcc_lo
	v_add3_u32 v16, v16, v15, 0x7fff
	v_or_b32_e32 v25, 0x400000, v15
	v_mul_f32_e32 v11, v18, v11
	v_and_b32_e32 v26, 0xffff0000, v27
	v_bfe_u32 v27, v1, 16, 1
	v_cmp_u_f32_e32 vcc_lo, v15, v15
	v_lshlrev_b32_e32 v2, 16, v2
	v_or_b32_e32 v28, 0x400000, v1
	v_or_b32_e32 v47, 0x400000, v11
	v_and_b32_e32 v12, 0xffff0000, v12
	v_cndmask_b32_e32 v15, v16, v25, vcc_lo
	v_bfe_u32 v16, v11, 16, 1
	v_add3_u32 v25, v27, v1, 0x7fff
	v_and_b32_e32 v27, 0xffff0000, v3
	v_mul_f32_e32 v2, v24, v2
	v_cmp_u_f32_e32 vcc_lo, v1, v1
	v_add3_u32 v16, v16, v11, 0x7fff
	v_lshlrev_b32_e32 v3, 16, v3
	v_mul_f32_e32 v27, v19, v27
	v_and_b32_e32 v15, 0xffff0000, v15
	v_cndmask_b32_e32 v1, v25, v28, vcc_lo
	v_bfe_u32 v25, v2, 16, 1
	v_cmp_u_f32_e32 vcc_lo, v11, v11
	v_and_b32_e32 v28, 0xffff0000, v4
	v_mul_f32_e32 v3, v22, v3
	v_or_b32_e32 v48, 0x400000, v27
	v_add3_u32 v25, v25, v2, 0x7fff
	v_cndmask_b32_e32 v11, v16, v47, vcc_lo
	v_bfe_u32 v16, v27, 16, 1
	v_or_b32_e32 v47, 0x400000, v2
	v_cmp_u_f32_e32 vcc_lo, v2, v2
	v_mul_f32_e32 v28, v20, v28
	v_lshlrev_b32_e32 v4, 16, v4
	v_add3_u32 v16, v16, v27, 0x7fff
	v_and_b32_e32 v1, 0xffff0000, v1
	v_cndmask_b32_e32 v2, v25, v47, vcc_lo
	v_bfe_u32 v25, v3, 16, 1
	v_cmp_u_f32_e32 vcc_lo, v27, v27
	v_bfe_u32 v47, v28, 16, 1
	v_or_b32_e32 v27, 0x400000, v3
	v_mul_f32_e32 v4, v23, v4
	v_add3_u32 v25, v25, v3, 0x7fff
	v_cndmask_b32_e32 v16, v16, v48, vcc_lo
	v_cmp_u_f32_e32 vcc_lo, v3, v3
	v_add3_u32 v47, v47, v28, 0x7fff
	v_or_b32_e32 v48, 0x400000, v28
	v_and_b32_e32 v2, 0xffff0000, v2
	v_and_b32_e32 v11, 0xffff0000, v11
	v_cndmask_b32_e32 v3, v25, v27, vcc_lo
	v_cmp_u_f32_e32 vcc_lo, v28, v28
	v_bfe_u32 v27, v4, 16, 1
	v_add_f32_e32 v1, v1, v15
	v_add_f32_e32 v2, v2, v11
	v_and_b32_e32 v3, 0xffff0000, v3
	v_cndmask_b32_e32 v25, v47, v48, vcc_lo
	s_waitcnt vmcnt(0)
	v_lshlrev_b32_e32 v47, 16, v5
	v_and_b32_e32 v11, 0xffff0000, v16
	v_and_b32_e32 v5, 0xffff0000, v5
	v_add3_u32 v27, v27, v4, 0x7fff
	v_or_b32_e32 v28, 0x400000, v4
	v_mul_f32_e32 v15, v21, v47
	v_cmp_u_f32_e32 vcc_lo, v4, v4
	v_add_f32_e32 v1, v2, v1
	v_add_f32_e32 v3, v3, v11
	v_mul_f32_e32 v5, v17, v5
	v_bfe_u32 v2, v15, 16, 1
	v_lshlrev_b32_e32 v11, 16, v6
	v_cndmask_b32_e32 v4, v27, v28, vcc_lo
	v_or_b32_e32 v16, 0x400000, v15
	v_bfe_u32 v17, v5, 16, 1
	v_add3_u32 v2, v2, v15, 0x7fff
	v_mul_f32_e32 v11, v24, v11
	v_and_b32_e32 v6, 0xffff0000, v6
	v_cmp_u_f32_e32 vcc_lo, v15, v15
	v_add3_u32 v15, v17, v5, 0x7fff
	v_and_b32_e32 v4, 0xffff0000, v4
	v_bfe_u32 v17, v11, 16, 1
	v_mul_f32_e32 v6, v18, v6
	v_cndmask_b32_e32 v2, v2, v16, vcc_lo
	v_or_b32_e32 v16, 0x400000, v5
	v_lshlrev_b32_e32 v18, 16, v7
	v_cmp_u_f32_e32 vcc_lo, v5, v5
	v_and_b32_e32 v7, 0xffff0000, v7
	v_and_b32_e32 v2, 0xffff0000, v2
	v_add_f32_e32 v1, v3, v1
	v_mul_f32_e32 v18, v22, v18
	v_cndmask_b32_e32 v5, v15, v16, vcc_lo
	v_add3_u32 v15, v17, v11, 0x7fff
	v_or_b32_e32 v16, 0x400000, v11
	v_bfe_u32 v17, v6, 16, 1
	v_cmp_u_f32_e32 vcc_lo, v11, v11
	v_mul_f32_e32 v7, v19, v7
	v_lshlrev_b32_e32 v19, 16, v8
	v_and_b32_e32 v8, 0xffff0000, v8
	v_and_b32_e32 v5, 0xffff0000, v5
	v_cndmask_b32_e32 v11, v15, v16, vcc_lo
	v_add3_u32 v15, v17, v6, 0x7fff
	v_or_b32_e32 v16, 0x400000, v6
	v_bfe_u32 v17, v18, 16, 1
	v_cmp_u_f32_e32 vcc_lo, v6, v6
	v_mul_f32_e32 v8, v20, v8
	v_or_b32_e32 v20, 0x400000, v7
	v_and_b32_e32 v11, 0xffff0000, v11
	v_add_f32_e32 v2, v2, v5
	v_cndmask_b32_e32 v6, v15, v16, vcc_lo
	v_bfe_u32 v15, v7, 16, 1
	v_add3_u32 v16, v17, v18, 0x7fff
	v_mul_f32_e32 v17, v23, v19
	v_or_b32_e32 v19, 0x400000, v18
	v_cmp_u_f32_e32 vcc_lo, v18, v18
	v_add3_u32 v15, v15, v7, 0x7fff
	v_bfe_u32 v22, v8, 16, 1
	v_bfe_u32 v21, v17, 16, 1
	v_and_b32_e32 v6, 0xffff0000, v6
	v_cndmask_b32_e32 v16, v16, v19, vcc_lo
	v_cmp_u_f32_e32 vcc_lo, v7, v7
	v_add3_u32 v18, v22, v8, 0x7fff
	v_or_b32_e32 v19, 0x400000, v8
	v_add_f32_e32 v5, v11, v6
	v_cndmask_b32_e32 v7, v15, v20, vcc_lo
	v_cmp_u_f32_e32 vcc_lo, v8, v8
	v_add3_u32 v15, v21, v17, 0x7fff
	v_or_b32_e32 v20, 0x400000, v17
	v_add_f32_e32 v2, v5, v2
	v_and_b32_e32 v6, 0xffff0000, v7
	v_cndmask_b32_e32 v8, v18, v19, vcc_lo
	v_cmp_u_f32_e32 vcc_lo, v17, v17
	v_and_b32_e32 v7, 0xffff0000, v16
	v_cndmask_b32_e32 v11, v15, v20, vcc_lo
	v_and_b32_e32 v15, 0xffff0000, v25
	v_add_f32_e32 v5, v7, v6
	v_and_b32_e32 v6, 0xffff0000, v8
	v_add_f32_e32 v8, v12, v26
	;; [unrolled: 2-line block ×3, first 2 shown]
	v_add_f32_e32 v2, v5, v2
	v_add_f32_e32 v5, v14, v9
	v_cmp_le_i32_e32 vcc_lo, s11, v29
	v_add_f32_e32 v4, v7, v6
	v_add_f32_e32 v6, v8, v10
	;; [unrolled: 1-line block ×4, first 2 shown]
	s_or_b32 s9, vcc_lo, s9
	v_add_f32_e32 v2, v4, v2
	v_add_f32_e32 v41, v41, v6
	;; [unrolled: 1-line block ×4, first 2 shown]
	s_andn2_b32 exec_lo, exec_lo, s9
	s_cbranch_execz .LBB164_43
.LBB164_33:                             ; =>This Inner Loop Header: Depth=1
	global_load_dword v1, v[30:31], off
	v_cmp_eq_u32_e64 s0, s5, v29
	v_add_nc_u32_e32 v53, 1, v45
	v_or_b32_e32 v51, 3, v45
	v_or_b32_e32 v52, 2, v45
	;; [unrolled: 1-line block ×6, first 2 shown]
	s_waitcnt vmcnt(0)
	v_mad_i64_i32 v[1:2], null, v1, s6, 0
	v_lshlrev_b64 v[1:2], 1, v[1:2]
	v_add_co_u32 v5, vcc_lo, v43, v1
	v_add_co_ci_u32_e64 v6, null, v44, v2, vcc_lo
	global_load_dwordx4 v[1:4], v[5:6], off
	ds_read2_b64 v[21:24], v46 offset1:1
	ds_read2_b64 v[17:20], v46 offset0:2 offset1:3
	s_and_saveexec_b32 s13, s0
	s_cbranch_execnz .LBB164_40
; %bb.34:                               ;   in Loop: Header=BB164_33 Depth=1
	s_or_b32 exec_lo, exec_lo, s13
	global_load_dwordx4 v[9:12], v[5:6], off offset:512
	s_and_saveexec_b32 s13, s0
	s_cbranch_execnz .LBB164_41
.LBB164_35:                             ;   in Loop: Header=BB164_33 Depth=1
	s_or_b32 exec_lo, exec_lo, s13
	global_load_dwordx4 v[13:16], v[5:6], off offset:1024
	s_and_saveexec_b32 s13, s0
	s_cbranch_execnz .LBB164_42
.LBB164_36:                             ;   in Loop: Header=BB164_33 Depth=1
	s_or_b32 exec_lo, exec_lo, s13
	global_load_dwordx4 v[25:28], v[5:6], off offset:1536
	s_and_saveexec_b32 s13, s0
	s_cbranch_execz .LBB164_38
.LBB164_37:                             ;   in Loop: Header=BB164_33 Depth=1
	v_cmp_gt_i32_e64 s1, s23, v45
	v_cmp_gt_i32_e32 vcc_lo, s12, v53
	v_cmp_gt_i32_e64 s2, s23, v52
	s_waitcnt vmcnt(0)
	v_cndmask_b32_e64 v7, 0, v25, s1
	v_cmp_gt_i32_e64 s1, s12, v51
	v_cndmask_b32_sdwa v25, v42, v25, vcc_lo dst_sel:DWORD dst_unused:UNUSED_PAD src0_sel:DWORD src1_sel:WORD_1
	v_cndmask_b32_e64 v8, 0, v26, s2
	v_cmp_gt_i32_e64 s2, s12, v50
	s_mov_b32 vcc_lo, s1
	v_cmp_gt_i32_e64 s1, s12, v48
	v_cndmask_b32_sdwa v26, v42, v26, vcc_lo dst_sel:DWORD dst_unused:UNUSED_PAD src0_sel:DWORD src1_sel:WORD_1
	v_cmp_gt_i32_e32 vcc_lo, s23, v49
	v_perm_b32 v25, v25, v7, 0x5040100
	v_perm_b32 v26, v26, v8, 0x5040100
	v_cndmask_b32_e32 v54, 0, v27, vcc_lo
	s_mov_b32 vcc_lo, s2
	v_cndmask_b32_sdwa v27, v42, v27, vcc_lo dst_sel:DWORD dst_unused:UNUSED_PAD src0_sel:DWORD src1_sel:WORD_1
	v_cmp_gt_i32_e32 vcc_lo, s23, v47
	v_perm_b32 v27, v27, v54, 0x5040100
	v_cndmask_b32_e32 v55, 0, v28, vcc_lo
	s_mov_b32 vcc_lo, s1
	v_cndmask_b32_sdwa v28, v42, v28, vcc_lo dst_sel:DWORD dst_unused:UNUSED_PAD src0_sel:DWORD src1_sel:WORD_1
	v_perm_b32 v28, v28, v55, 0x5040100
.LBB164_38:                             ;   in Loop: Header=BB164_33 Depth=1
	s_or_b32 exec_lo, exec_lo, s13
	v_add_co_u32 v5, vcc_lo, 0x800, v5
	v_add_co_ci_u32_e64 v6, null, 0, v6, vcc_lo
	global_load_dwordx4 v[5:8], v[5:6], off
	s_and_saveexec_b32 s2, s0
	s_cbranch_execz .LBB164_32
; %bb.39:                               ;   in Loop: Header=BB164_33 Depth=1
	v_cmp_gt_i32_e64 s0, s23, v45
	v_cmp_gt_i32_e32 vcc_lo, s12, v53
	v_cmp_gt_i32_e64 s1, s23, v52
	s_waitcnt vmcnt(0)
	v_cndmask_b32_e64 v53, 0, v5, s0
	v_cmp_gt_i32_e64 s0, s12, v51
	v_cndmask_b32_sdwa v5, v42, v5, vcc_lo dst_sel:DWORD dst_unused:UNUSED_PAD src0_sel:DWORD src1_sel:WORD_1
	v_cndmask_b32_e64 v51, 0, v6, s1
	v_cmp_gt_i32_e64 s1, s12, v50
	s_mov_b32 vcc_lo, s0
	v_cmp_gt_i32_e64 s0, s12, v48
	v_cndmask_b32_sdwa v6, v42, v6, vcc_lo dst_sel:DWORD dst_unused:UNUSED_PAD src0_sel:DWORD src1_sel:WORD_1
	v_cmp_gt_i32_e32 vcc_lo, s23, v49
	v_perm_b32 v5, v5, v53, 0x5040100
	v_perm_b32 v6, v6, v51, 0x5040100
	v_cndmask_b32_e32 v49, 0, v7, vcc_lo
	s_mov_b32 vcc_lo, s1
	v_cndmask_b32_sdwa v7, v42, v7, vcc_lo dst_sel:DWORD dst_unused:UNUSED_PAD src0_sel:DWORD src1_sel:WORD_1
	v_cmp_gt_i32_e32 vcc_lo, s23, v47
	v_perm_b32 v7, v7, v49, 0x5040100
	v_cndmask_b32_e32 v47, 0, v8, vcc_lo
	s_mov_b32 vcc_lo, s0
	v_cndmask_b32_sdwa v8, v42, v8, vcc_lo dst_sel:DWORD dst_unused:UNUSED_PAD src0_sel:DWORD src1_sel:WORD_1
	v_perm_b32 v8, v8, v47, 0x5040100
	s_branch .LBB164_32
.LBB164_40:                             ;   in Loop: Header=BB164_33 Depth=1
	v_cmp_gt_i32_e64 s1, s23, v45
	v_cmp_gt_i32_e32 vcc_lo, s12, v53
	v_cmp_gt_i32_e64 s2, s23, v52
	s_waitcnt vmcnt(0)
	v_cndmask_b32_e64 v7, 0, v1, s1
	v_cmp_gt_i32_e64 s1, s12, v51
	v_cndmask_b32_sdwa v1, v42, v1, vcc_lo dst_sel:DWORD dst_unused:UNUSED_PAD src0_sel:DWORD src1_sel:WORD_1
	v_cndmask_b32_e64 v8, 0, v2, s2
	v_cmp_gt_i32_e64 s2, s12, v50
	s_mov_b32 vcc_lo, s1
	v_cmp_gt_i32_e64 s1, s12, v48
	v_cndmask_b32_sdwa v2, v42, v2, vcc_lo dst_sel:DWORD dst_unused:UNUSED_PAD src0_sel:DWORD src1_sel:WORD_1
	v_cmp_gt_i32_e32 vcc_lo, s23, v49
	v_perm_b32 v1, v1, v7, 0x5040100
	v_perm_b32 v2, v2, v8, 0x5040100
	v_cndmask_b32_e32 v9, 0, v3, vcc_lo
	s_mov_b32 vcc_lo, s2
	v_cndmask_b32_sdwa v3, v42, v3, vcc_lo dst_sel:DWORD dst_unused:UNUSED_PAD src0_sel:DWORD src1_sel:WORD_1
	v_cmp_gt_i32_e32 vcc_lo, s23, v47
	v_perm_b32 v3, v3, v9, 0x5040100
	v_cndmask_b32_e32 v10, 0, v4, vcc_lo
	s_mov_b32 vcc_lo, s1
	v_cndmask_b32_sdwa v4, v42, v4, vcc_lo dst_sel:DWORD dst_unused:UNUSED_PAD src0_sel:DWORD src1_sel:WORD_1
	v_perm_b32 v4, v4, v10, 0x5040100
	s_or_b32 exec_lo, exec_lo, s13
	global_load_dwordx4 v[9:12], v[5:6], off offset:512
	s_and_saveexec_b32 s13, s0
	s_cbranch_execz .LBB164_35
.LBB164_41:                             ;   in Loop: Header=BB164_33 Depth=1
	v_cmp_gt_i32_e64 s1, s23, v45
	v_cmp_gt_i32_e32 vcc_lo, s12, v53
	v_cmp_gt_i32_e64 s2, s23, v52
	s_waitcnt vmcnt(0)
	v_cndmask_b32_e64 v7, 0, v9, s1
	v_cmp_gt_i32_e64 s1, s12, v51
	v_cndmask_b32_sdwa v9, v42, v9, vcc_lo dst_sel:DWORD dst_unused:UNUSED_PAD src0_sel:DWORD src1_sel:WORD_1
	v_cndmask_b32_e64 v8, 0, v10, s2
	v_cmp_gt_i32_e64 s2, s12, v50
	s_mov_b32 vcc_lo, s1
	v_cmp_gt_i32_e64 s1, s12, v48
	v_cndmask_b32_sdwa v10, v42, v10, vcc_lo dst_sel:DWORD dst_unused:UNUSED_PAD src0_sel:DWORD src1_sel:WORD_1
	v_cmp_gt_i32_e32 vcc_lo, s23, v49
	v_perm_b32 v9, v9, v7, 0x5040100
	v_perm_b32 v10, v10, v8, 0x5040100
	v_cndmask_b32_e32 v13, 0, v11, vcc_lo
	s_mov_b32 vcc_lo, s2
	v_cndmask_b32_sdwa v11, v42, v11, vcc_lo dst_sel:DWORD dst_unused:UNUSED_PAD src0_sel:DWORD src1_sel:WORD_1
	v_cmp_gt_i32_e32 vcc_lo, s23, v47
	v_perm_b32 v11, v11, v13, 0x5040100
	v_cndmask_b32_e32 v14, 0, v12, vcc_lo
	s_mov_b32 vcc_lo, s1
	v_cndmask_b32_sdwa v12, v42, v12, vcc_lo dst_sel:DWORD dst_unused:UNUSED_PAD src0_sel:DWORD src1_sel:WORD_1
	v_perm_b32 v12, v12, v14, 0x5040100
	s_or_b32 exec_lo, exec_lo, s13
	global_load_dwordx4 v[13:16], v[5:6], off offset:1024
	s_and_saveexec_b32 s13, s0
	s_cbranch_execz .LBB164_36
.LBB164_42:                             ;   in Loop: Header=BB164_33 Depth=1
	v_cmp_gt_i32_e64 s1, s23, v45
	v_cmp_gt_i32_e32 vcc_lo, s12, v53
	v_cmp_gt_i32_e64 s2, s23, v52
	s_waitcnt vmcnt(0)
	v_cndmask_b32_e64 v7, 0, v13, s1
	v_cmp_gt_i32_e64 s1, s12, v51
	v_cndmask_b32_sdwa v13, v42, v13, vcc_lo dst_sel:DWORD dst_unused:UNUSED_PAD src0_sel:DWORD src1_sel:WORD_1
	v_cndmask_b32_e64 v8, 0, v14, s2
	v_cmp_gt_i32_e64 s2, s12, v50
	s_mov_b32 vcc_lo, s1
	v_cmp_gt_i32_e64 s1, s12, v48
	v_cndmask_b32_sdwa v14, v42, v14, vcc_lo dst_sel:DWORD dst_unused:UNUSED_PAD src0_sel:DWORD src1_sel:WORD_1
	v_cmp_gt_i32_e32 vcc_lo, s23, v49
	v_perm_b32 v13, v13, v7, 0x5040100
	v_perm_b32 v14, v14, v8, 0x5040100
	v_cndmask_b32_e32 v25, 0, v15, vcc_lo
	s_mov_b32 vcc_lo, s2
	v_cndmask_b32_sdwa v15, v42, v15, vcc_lo dst_sel:DWORD dst_unused:UNUSED_PAD src0_sel:DWORD src1_sel:WORD_1
	v_cmp_gt_i32_e32 vcc_lo, s23, v47
	v_perm_b32 v15, v15, v25, 0x5040100
	v_cndmask_b32_e32 v26, 0, v16, vcc_lo
	s_mov_b32 vcc_lo, s1
	v_cndmask_b32_sdwa v16, v42, v16, vcc_lo dst_sel:DWORD dst_unused:UNUSED_PAD src0_sel:DWORD src1_sel:WORD_1
	v_perm_b32 v16, v16, v26, 0x5040100
	s_or_b32 exec_lo, exec_lo, s13
	global_load_dwordx4 v[25:28], v[5:6], off offset:1536
	s_and_saveexec_b32 s13, s0
	s_cbranch_execnz .LBB164_37
	s_branch .LBB164_38
.LBB164_43:
	s_or_b32 exec_lo, exec_lo, s9
.LBB164_44:
	s_or_b32 exec_lo, exec_lo, s3
	ds_bpermute_b32 v1, v36, v40
	ds_bpermute_b32 v2, v36, v41
	;; [unrolled: 1-line block ×5, first 2 shown]
	v_lshrrev_b32_e32 v6, 1, v35
	v_mul_u32_u24_e32 v8, 0x140, v34
	v_and_b32_e32 v11, 0x3c1, v0
	s_mov_b32 s0, exec_lo
	s_waitcnt lgkmcnt(0)
	s_waitcnt_vscnt null, 0x0
	v_lshl_add_u32 v7, v6, 2, 0xc0
	s_barrier
	buffer_gl0_inv
	v_add_f32_e32 v5, v40, v1
	v_add_f32_e32 v4, v41, v2
	;; [unrolled: 1-line block ×5, first 2 shown]
	v_cmpx_eq_u32_e32 64, v11
	s_cbranch_execz .LBB164_46
; %bb.45:
	v_add_nc_u32_e32 v9, v7, v8
	v_add_nc_u32_e32 v10, 0xfffffd80, v9
	;; [unrolled: 1-line block ×6, first 2 shown]
	ds_write_b32 v10, v5
	ds_write_b32 v11, v4
	;; [unrolled: 1-line block ×5, first 2 shown]
.LBB164_46:
	s_or_b32 exec_lo, exec_lo, s0
	v_lshlrev_b32_e32 v6, 2, v6
	s_mov_b32 s1, exec_lo
	v_cmp_eq_u32_e32 vcc_lo, 0, v33
	s_waitcnt lgkmcnt(0)
	s_barrier
	v_add3_u32 v6, 0xc0, v8, v6
	buffer_gl0_inv
	v_cmpx_gt_u32_e32 64, v0
	s_cbranch_execz .LBB164_54
; %bb.47:
	s_and_saveexec_b32 s0, vcc_lo
	s_cbranch_execnz .LBB164_67
; %bb.48:
	s_or_b32 exec_lo, exec_lo, s0
	s_and_saveexec_b32 s0, vcc_lo
	s_cbranch_execnz .LBB164_68
.LBB164_49:
	s_or_b32 exec_lo, exec_lo, s0
	s_and_saveexec_b32 s0, vcc_lo
	s_cbranch_execnz .LBB164_69
.LBB164_50:
	s_or_b32 exec_lo, exec_lo, s0
	s_and_saveexec_b32 s0, vcc_lo
	s_cbranch_execnz .LBB164_70
.LBB164_51:
	s_or_b32 exec_lo, exec_lo, s0
	s_and_saveexec_b32 s0, vcc_lo
	s_cbranch_execz .LBB164_53
.LBB164_52:
	ds_read_b32 v8, v6 offset:256
	s_waitcnt lgkmcnt(0)
	v_add_f32_e32 v1, v1, v8
.LBB164_53:
	s_or_b32 exec_lo, exec_lo, s0
.LBB164_54:
	s_or_b32 exec_lo, exec_lo, s1
	v_and_b32_e32 v8, 0x3e1, v0
	s_mov_b32 s1, exec_lo
	s_barrier
	buffer_gl0_inv
	v_cmpx_eq_u32_e32 32, v8
	s_cbranch_execz .LBB164_56
; %bb.55:
	ds_write2_b32 v7, v5, v4 offset1:16
	ds_write2_b32 v7, v3, v2 offset0:32 offset1:48
	ds_write_b32 v7, v1 offset:256
.LBB164_56:
	s_or_b32 exec_lo, exec_lo, s1
	s_mov_b32 s1, exec_lo
	s_waitcnt lgkmcnt(0)
	s_barrier
	buffer_gl0_inv
	v_cmpx_gt_u32_e32 32, v0
	s_cbranch_execz .LBB164_64
; %bb.57:
	s_and_saveexec_b32 s0, vcc_lo
	s_cbranch_execnz .LBB164_71
; %bb.58:
	s_or_b32 exec_lo, exec_lo, s0
	s_and_saveexec_b32 s0, vcc_lo
	s_cbranch_execnz .LBB164_72
.LBB164_59:
	s_or_b32 exec_lo, exec_lo, s0
	s_and_saveexec_b32 s0, vcc_lo
	s_cbranch_execnz .LBB164_73
.LBB164_60:
	s_or_b32 exec_lo, exec_lo, s0
	s_and_saveexec_b32 s0, vcc_lo
	s_cbranch_execnz .LBB164_74
.LBB164_61:
	s_or_b32 exec_lo, exec_lo, s0
	s_and_saveexec_b32 s0, vcc_lo
	s_cbranch_execz .LBB164_63
.LBB164_62:
	ds_read_b32 v0, v6 offset:256
	s_waitcnt lgkmcnt(0)
	v_add_f32_e32 v1, v1, v0
.LBB164_63:
	s_or_b32 exec_lo, exec_lo, s0
.LBB164_64:
	s_or_b32 exec_lo, exec_lo, s1
	s_barrier
	buffer_gl0_inv
	s_mov_b32 s0, exec_lo
	v_cmpx_eq_u32_e32 0, v8
	s_cbranch_execz .LBB164_66
; %bb.65:
	v_bfe_u32 v0, v5, 16, 1
	v_bfe_u32 v6, v4, 16, 1
	v_or_b32_e32 v7, 0x400000, v5
	v_cmp_u_f32_e32 vcc_lo, v5, v5
	v_or_b32_e32 v9, 0x400000, v4
	v_add3_u32 v0, v0, v5, 0x7fff
	v_add3_u32 v6, v6, v4, 0x7fff
	v_bfe_u32 v5, v3, 16, 1
	s_mul_i32 s0, s4, 0x50
	s_mul_i32 s2, s7, s10
	v_cndmask_b32_e32 v0, v0, v7, vcc_lo
	v_cmp_u_f32_e32 vcc_lo, v4, v4
	s_ashr_i32 s1, s0, 31
	v_bfe_u32 v7, v2, 16, 1
	v_add3_u32 v5, v5, v3, 0x7fff
	s_lshl_b64 s[0:1], s[0:1], 1
	v_cndmask_b32_e32 v4, v6, v9, vcc_lo
	v_or_b32_e32 v9, 0x400000, v3
	v_cmp_u_f32_e32 vcc_lo, v3, v3
	s_add_u32 s4, s20, s0
	s_addc_u32 s1, s21, s1
	s_ashr_i32 s3, s2, 31
	v_bfe_u32 v6, v1, 16, 1
	v_add3_u32 v7, v7, v2, 0x7fff
	v_or_b32_e32 v10, 0x400000, v2
	v_cndmask_b32_e32 v3, v5, v9, vcc_lo
	v_cmp_u_f32_e32 vcc_lo, v2, v2
	s_lshl_b64 s[2:3], s[2:3], 1
	s_mul_i32 s0, s8, 0x50
	s_add_u32 s2, s4, s2
	s_addc_u32 s3, s1, s3
	s_ashr_i32 s1, s0, 31
	v_add3_u32 v6, v6, v1, 0x7fff
	v_or_b32_e32 v11, 0x400000, v1
	v_cndmask_b32_e32 v2, v7, v10, vcc_lo
	v_cmp_u_f32_e32 vcc_lo, v1, v1
	s_lshl_b64 s[0:1], s[0:1], 1
	v_lshlrev_b32_e32 v8, 1, v32
	s_add_u32 s0, s2, s0
	s_addc_u32 s1, s3, s1
	v_cndmask_b32_e32 v1, v6, v11, vcc_lo
	global_store_short_d16_hi v8, v0, s[0:1]
	global_store_short_d16_hi v8, v4, s[0:1] offset:32
	global_store_short_d16_hi v8, v3, s[0:1] offset:64
	;; [unrolled: 1-line block ×4, first 2 shown]
.LBB164_66:
	s_endpgm
.LBB164_67:
	ds_read_b32 v8, v6
	s_waitcnt lgkmcnt(0)
	v_add_f32_e32 v5, v5, v8
	s_or_b32 exec_lo, exec_lo, s0
	s_and_saveexec_b32 s0, vcc_lo
	s_cbranch_execz .LBB164_49
.LBB164_68:
	ds_read_b32 v8, v6 offset:64
	s_waitcnt lgkmcnt(0)
	v_add_f32_e32 v4, v4, v8
	s_or_b32 exec_lo, exec_lo, s0
	s_and_saveexec_b32 s0, vcc_lo
	s_cbranch_execz .LBB164_50
.LBB164_69:
	ds_read_b32 v8, v6 offset:128
	s_waitcnt lgkmcnt(0)
	v_add_f32_e32 v3, v3, v8
	s_or_b32 exec_lo, exec_lo, s0
	s_and_saveexec_b32 s0, vcc_lo
	s_cbranch_execz .LBB164_51
.LBB164_70:
	ds_read_b32 v8, v6 offset:192
	s_waitcnt lgkmcnt(0)
	v_add_f32_e32 v2, v2, v8
	s_or_b32 exec_lo, exec_lo, s0
	s_and_saveexec_b32 s0, vcc_lo
	s_cbranch_execnz .LBB164_52
	s_branch .LBB164_53
.LBB164_71:
	ds_read_b32 v0, v6
	s_waitcnt lgkmcnt(0)
	v_add_f32_e32 v5, v5, v0
	s_or_b32 exec_lo, exec_lo, s0
	s_and_saveexec_b32 s0, vcc_lo
	s_cbranch_execz .LBB164_59
.LBB164_72:
	ds_read_b32 v0, v6 offset:64
	s_waitcnt lgkmcnt(0)
	v_add_f32_e32 v4, v4, v0
	s_or_b32 exec_lo, exec_lo, s0
	s_and_saveexec_b32 s0, vcc_lo
	s_cbranch_execz .LBB164_60
.LBB164_73:
	ds_read_b32 v0, v6 offset:128
	s_waitcnt lgkmcnt(0)
	v_add_f32_e32 v3, v3, v0
	s_or_b32 exec_lo, exec_lo, s0
	s_and_saveexec_b32 s0, vcc_lo
	s_cbranch_execz .LBB164_61
.LBB164_74:
	ds_read_b32 v0, v6 offset:192
	s_waitcnt lgkmcnt(0)
	v_add_f32_e32 v2, v2, v0
	s_or_b32 exec_lo, exec_lo, s0
	s_and_saveexec_b32 s0, vcc_lo
	s_cbranch_execnz .LBB164_62
	s_branch .LBB164_63
	.section	.rodata,"a",@progbits
	.p2align	6, 0x0
	.amdhsa_kernel _ZN4vllm25paged_attention_v2_kernelI14__hip_bfloat16S1_Li80ELi16ELi128ELNS_18Fp8KVCacheDataTypeE0ELb0ELi512EEEvPfS3_PT_PKS4_PKT0_SA_ifPKiSC_iPKfiiiSE_SE_iiiii
		.amdhsa_group_segment_fixed_size 192
		.amdhsa_private_segment_fixed_size 0
		.amdhsa_kernarg_size 400
		.amdhsa_user_sgpr_count 6
		.amdhsa_user_sgpr_private_segment_buffer 1
		.amdhsa_user_sgpr_dispatch_ptr 0
		.amdhsa_user_sgpr_queue_ptr 0
		.amdhsa_user_sgpr_kernarg_segment_ptr 1
		.amdhsa_user_sgpr_dispatch_id 0
		.amdhsa_user_sgpr_flat_scratch_init 0
		.amdhsa_user_sgpr_private_segment_size 0
		.amdhsa_wavefront_size32 1
		.amdhsa_uses_dynamic_stack 0
		.amdhsa_system_sgpr_private_segment_wavefront_offset 0
		.amdhsa_system_sgpr_workgroup_id_x 1
		.amdhsa_system_sgpr_workgroup_id_y 1
		.amdhsa_system_sgpr_workgroup_id_z 1
		.amdhsa_system_sgpr_workgroup_info 0
		.amdhsa_system_vgpr_workitem_id 0
		.amdhsa_next_free_vgpr 96
		.amdhsa_next_free_sgpr 36
		.amdhsa_reserve_vcc 1
		.amdhsa_reserve_flat_scratch 0
		.amdhsa_float_round_mode_32 0
		.amdhsa_float_round_mode_16_64 0
		.amdhsa_float_denorm_mode_32 3
		.amdhsa_float_denorm_mode_16_64 3
		.amdhsa_dx10_clamp 1
		.amdhsa_ieee_mode 1
		.amdhsa_fp16_overflow 0
		.amdhsa_workgroup_processor_mode 1
		.amdhsa_memory_ordered 1
		.amdhsa_forward_progress 1
		.amdhsa_shared_vgpr_count 0
		.amdhsa_exception_fp_ieee_invalid_op 0
		.amdhsa_exception_fp_denorm_src 0
		.amdhsa_exception_fp_ieee_div_zero 0
		.amdhsa_exception_fp_ieee_overflow 0
		.amdhsa_exception_fp_ieee_underflow 0
		.amdhsa_exception_fp_ieee_inexact 0
		.amdhsa_exception_int_div_zero 0
	.end_amdhsa_kernel
	.section	.text._ZN4vllm25paged_attention_v2_kernelI14__hip_bfloat16S1_Li80ELi16ELi128ELNS_18Fp8KVCacheDataTypeE0ELb0ELi512EEEvPfS3_PT_PKS4_PKT0_SA_ifPKiSC_iPKfiiiSE_SE_iiiii,"axG",@progbits,_ZN4vllm25paged_attention_v2_kernelI14__hip_bfloat16S1_Li80ELi16ELi128ELNS_18Fp8KVCacheDataTypeE0ELb0ELi512EEEvPfS3_PT_PKS4_PKT0_SA_ifPKiSC_iPKfiiiSE_SE_iiiii,comdat
.Lfunc_end164:
	.size	_ZN4vllm25paged_attention_v2_kernelI14__hip_bfloat16S1_Li80ELi16ELi128ELNS_18Fp8KVCacheDataTypeE0ELb0ELi512EEEvPfS3_PT_PKS4_PKT0_SA_ifPKiSC_iPKfiiiSE_SE_iiiii, .Lfunc_end164-_ZN4vllm25paged_attention_v2_kernelI14__hip_bfloat16S1_Li80ELi16ELi128ELNS_18Fp8KVCacheDataTypeE0ELb0ELi512EEEvPfS3_PT_PKS4_PKT0_SA_ifPKiSC_iPKfiiiSE_SE_iiiii
                                        ; -- End function
	.set _ZN4vllm25paged_attention_v2_kernelI14__hip_bfloat16S1_Li80ELi16ELi128ELNS_18Fp8KVCacheDataTypeE0ELb0ELi512EEEvPfS3_PT_PKS4_PKT0_SA_ifPKiSC_iPKfiiiSE_SE_iiiii.num_vgpr, 96
	.set _ZN4vllm25paged_attention_v2_kernelI14__hip_bfloat16S1_Li80ELi16ELi128ELNS_18Fp8KVCacheDataTypeE0ELb0ELi512EEEvPfS3_PT_PKS4_PKT0_SA_ifPKiSC_iPKfiiiSE_SE_iiiii.num_agpr, 0
	.set _ZN4vllm25paged_attention_v2_kernelI14__hip_bfloat16S1_Li80ELi16ELi128ELNS_18Fp8KVCacheDataTypeE0ELb0ELi512EEEvPfS3_PT_PKS4_PKT0_SA_ifPKiSC_iPKfiiiSE_SE_iiiii.numbered_sgpr, 36
	.set _ZN4vllm25paged_attention_v2_kernelI14__hip_bfloat16S1_Li80ELi16ELi128ELNS_18Fp8KVCacheDataTypeE0ELb0ELi512EEEvPfS3_PT_PKS4_PKT0_SA_ifPKiSC_iPKfiiiSE_SE_iiiii.num_named_barrier, 0
	.set _ZN4vllm25paged_attention_v2_kernelI14__hip_bfloat16S1_Li80ELi16ELi128ELNS_18Fp8KVCacheDataTypeE0ELb0ELi512EEEvPfS3_PT_PKS4_PKT0_SA_ifPKiSC_iPKfiiiSE_SE_iiiii.private_seg_size, 0
	.set _ZN4vllm25paged_attention_v2_kernelI14__hip_bfloat16S1_Li80ELi16ELi128ELNS_18Fp8KVCacheDataTypeE0ELb0ELi512EEEvPfS3_PT_PKS4_PKT0_SA_ifPKiSC_iPKfiiiSE_SE_iiiii.uses_vcc, 1
	.set _ZN4vllm25paged_attention_v2_kernelI14__hip_bfloat16S1_Li80ELi16ELi128ELNS_18Fp8KVCacheDataTypeE0ELb0ELi512EEEvPfS3_PT_PKS4_PKT0_SA_ifPKiSC_iPKfiiiSE_SE_iiiii.uses_flat_scratch, 0
	.set _ZN4vllm25paged_attention_v2_kernelI14__hip_bfloat16S1_Li80ELi16ELi128ELNS_18Fp8KVCacheDataTypeE0ELb0ELi512EEEvPfS3_PT_PKS4_PKT0_SA_ifPKiSC_iPKfiiiSE_SE_iiiii.has_dyn_sized_stack, 0
	.set _ZN4vllm25paged_attention_v2_kernelI14__hip_bfloat16S1_Li80ELi16ELi128ELNS_18Fp8KVCacheDataTypeE0ELb0ELi512EEEvPfS3_PT_PKS4_PKT0_SA_ifPKiSC_iPKfiiiSE_SE_iiiii.has_recursion, 0
	.set _ZN4vllm25paged_attention_v2_kernelI14__hip_bfloat16S1_Li80ELi16ELi128ELNS_18Fp8KVCacheDataTypeE0ELb0ELi512EEEvPfS3_PT_PKS4_PKT0_SA_ifPKiSC_iPKfiiiSE_SE_iiiii.has_indirect_call, 0
	.section	.AMDGPU.csdata,"",@progbits
; Kernel info:
; codeLenInByte = 8064
; TotalNumSgprs: 38
; NumVgprs: 96
; ScratchSize: 0
; MemoryBound: 0
; FloatMode: 240
; IeeeMode: 1
; LDSByteSize: 192 bytes/workgroup (compile time only)
; SGPRBlocks: 0
; VGPRBlocks: 11
; NumSGPRsForWavesPerEU: 38
; NumVGPRsForWavesPerEU: 96
; Occupancy: 10
; WaveLimiterHint : 1
; COMPUTE_PGM_RSRC2:SCRATCH_EN: 0
; COMPUTE_PGM_RSRC2:USER_SGPR: 6
; COMPUTE_PGM_RSRC2:TRAP_HANDLER: 0
; COMPUTE_PGM_RSRC2:TGID_X_EN: 1
; COMPUTE_PGM_RSRC2:TGID_Y_EN: 1
; COMPUTE_PGM_RSRC2:TGID_Z_EN: 1
; COMPUTE_PGM_RSRC2:TIDIG_COMP_CNT: 0
	.section	.text._ZN4vllm25paged_attention_v2_kernelI14__hip_bfloat16S1_Li96ELi16ELi128ELNS_18Fp8KVCacheDataTypeE0ELb0ELi512EEEvPfS3_PT_PKS4_PKT0_SA_ifPKiSC_iPKfiiiSE_SE_iiiii,"axG",@progbits,_ZN4vllm25paged_attention_v2_kernelI14__hip_bfloat16S1_Li96ELi16ELi128ELNS_18Fp8KVCacheDataTypeE0ELb0ELi512EEEvPfS3_PT_PKS4_PKT0_SA_ifPKiSC_iPKfiiiSE_SE_iiiii,comdat
	.protected	_ZN4vllm25paged_attention_v2_kernelI14__hip_bfloat16S1_Li96ELi16ELi128ELNS_18Fp8KVCacheDataTypeE0ELb0ELi512EEEvPfS3_PT_PKS4_PKT0_SA_ifPKiSC_iPKfiiiSE_SE_iiiii ; -- Begin function _ZN4vllm25paged_attention_v2_kernelI14__hip_bfloat16S1_Li96ELi16ELi128ELNS_18Fp8KVCacheDataTypeE0ELb0ELi512EEEvPfS3_PT_PKS4_PKT0_SA_ifPKiSC_iPKfiiiSE_SE_iiiii
	.globl	_ZN4vllm25paged_attention_v2_kernelI14__hip_bfloat16S1_Li96ELi16ELi128ELNS_18Fp8KVCacheDataTypeE0ELb0ELi512EEEvPfS3_PT_PKS4_PKT0_SA_ifPKiSC_iPKfiiiSE_SE_iiiii
	.p2align	8
	.type	_ZN4vllm25paged_attention_v2_kernelI14__hip_bfloat16S1_Li96ELi16ELi128ELNS_18Fp8KVCacheDataTypeE0ELb0ELi512EEEvPfS3_PT_PKS4_PKT0_SA_ifPKiSC_iPKfiiiSE_SE_iiiii,@function
_ZN4vllm25paged_attention_v2_kernelI14__hip_bfloat16S1_Li96ELi16ELi128ELNS_18Fp8KVCacheDataTypeE0ELb0ELi512EEEvPfS3_PT_PKS4_PKT0_SA_ifPKiSC_iPKfiiiSE_SE_iiiii: ; @_ZN4vllm25paged_attention_v2_kernelI14__hip_bfloat16S1_Li96ELi16ELi128ELNS_18Fp8KVCacheDataTypeE0ELb0ELi512EEEvPfS3_PT_PKS4_PKT0_SA_ifPKiSC_iPKfiiiSE_SE_iiiii
; %bb.0:
	s_load_dwordx2 s[0:1], s[4:5], 0x40
	s_mov_b32 s22, s7
	s_ashr_i32 s23, s7, 31
	s_lshl_b64 s[2:3], s[22:23], 2
	s_waitcnt lgkmcnt(0)
	s_add_u32 s0, s0, s2
	s_addc_u32 s1, s1, s3
	s_lshl_b32 s33, s8, 9
	s_load_dword s23, s[0:1], 0x0
	s_waitcnt lgkmcnt(0)
	s_cmp_ge_i32 s33, s23
	s_cbranch_scc1 .LBB165_70
; %bb.1:
	s_clause 0x1
	s_load_dword s9, s[4:5], 0x90
	s_load_dwordx2 s[30:31], s[4:5], 0x30
	s_mov_b32 s34, 0
	s_waitcnt lgkmcnt(0)
	s_abs_i32 s3, s9
	s_abs_i32 s0, s30
	v_cvt_f32_u32_e32 v1, s0
	s_sub_i32 s2, 0, s0
	v_rcp_iflag_f32_e32 v1, v1
	v_mul_f32_e32 v1, 0x4f7ffffe, v1
	v_cvt_u32_f32_e32 v1, v1
	v_readfirstlane_b32 s1, v1
	s_mul_i32 s2, s2, s1
	s_mul_hi_u32 s2, s1, s2
	s_add_i32 s1, s1, s2
	s_xor_b32 s2, s9, s30
	s_mul_hi_u32 s1, s3, s1
	s_ashr_i32 s2, s2, 31
	s_mul_i32 s7, s1, s0
	s_sub_i32 s3, s3, s7
	s_add_i32 s7, s1, 1
	s_sub_i32 s10, s3, s0
	s_cmp_ge_u32 s3, s0
	s_cselect_b32 s1, s7, s1
	s_cselect_b32 s3, s10, s3
	s_add_i32 s7, s1, 1
	s_cmp_ge_u32 s3, s0
	s_cselect_b32 s0, s7, s1
	s_abs_i32 s16, s6
	s_xor_b32 s0, s0, s2
	s_sub_i32 s10, s0, s2
	s_load_dwordx2 s[0:1], s[4:5], 0x50
	s_abs_i32 s2, s10
	v_cvt_f32_u32_e32 v1, s2
	s_sub_i32 s7, 0, s2
	v_rcp_iflag_f32_e32 v1, v1
	v_mul_f32_e32 v1, 0x4f7ffffe, v1
	v_cvt_u32_f32_e32 v1, v1
	v_readfirstlane_b32 s3, v1
	s_mul_i32 s7, s7, s3
	s_mul_hi_u32 s7, s3, s7
	s_add_i32 s3, s3, s7
	s_waitcnt lgkmcnt(0)
	s_cmp_eq_u64 s[0:1], 0
	s_mul_hi_u32 s3, s16, s3
	s_cbranch_scc1 .LBB165_3
; %bb.2:
	s_ashr_i32 s7, s6, 31
	s_lshl_b64 s[12:13], s[6:7], 2
	s_add_u32 s0, s0, s12
	s_addc_u32 s1, s1, s13
	s_load_dword s34, s[0:1], 0x0
.LBB165_3:
	s_load_dwordx4 s[12:15], s[4:5], 0x58
	v_lshrrev_b32_e32 v36, 1, v0
	v_and_b32_e32 v37, 1, v0
	v_lshlrev_b32_e32 v3, 3, v0
	s_ashr_i32 s0, s6, 31
	s_ashr_i32 s1, s10, 31
	s_mul_i32 s10, s6, 0x60
	s_mov_b32 s7, exec_lo
	v_cmpx_gt_u32_e32 24, v0
	s_cbranch_execz .LBB165_5
; %bb.4:
	s_load_dwordx2 s[18:19], s[4:5], 0x18
	s_waitcnt lgkmcnt(0)
	s_mul_i32 s20, s12, s22
	v_lshlrev_b32_e32 v4, 3, v36
	s_ashr_i32 s21, s20, 31
	s_lshl_b64 s[20:21], s[20:21], 1
	v_mad_u32_u24 v4, 0x60, v37, v4
	s_add_u32 s12, s18, s20
	s_addc_u32 s15, s19, s21
	s_ashr_i32 s11, s10, 31
	s_lshl_b64 s[18:19], s[10:11], 1
	s_add_u32 s18, s12, s18
	s_addc_u32 s19, s15, s19
	global_load_dwordx2 v[1:2], v3, s[18:19]
	s_waitcnt vmcnt(0)
	ds_write_b64 v4, v[1:2]
.LBB165_5:
	s_or_b32 exec_lo, exec_lo, s7
	s_add_i32 s7, s23, 15
	s_load_dwordx2 s[24:25], s[4:5], 0x38
	s_waitcnt lgkmcnt(0)
	s_load_dword s15, s[4:5], 0x48
	s_ashr_i32 s11, s7, 31
	s_lshl_b32 s30, s8, 5
	s_lshr_b32 s11, s11, 28
	s_xor_b32 s0, s0, s1
	s_add_i32 s7, s7, s11
	s_add_i32 s1, s30, 32
	s_ashr_i32 s12, s7, 4
	s_mul_i32 s7, s3, s2
	s_min_i32 s11, s1, s12
	s_sub_i32 s1, s16, s7
	s_add_i32 s7, s3, 1
	s_sub_i32 s16, s1, s2
	s_cmp_ge_u32 s1, s2
	v_lshrrev_b32_e32 v38, 5, v0
	s_cselect_b32 s3, s7, s3
	s_cselect_b32 s1, s16, s1
	s_add_i32 s7, s3, 1
	s_cmp_ge_u32 s1, s2
	v_or_b32_e32 v33, s30, v38
	s_cselect_b32 s1, s7, s3
	v_mbcnt_lo_u32_b32 v5, -1, 0
	s_xor_b32 s1, s1, s0
	s_waitcnt lgkmcnt(0)
	s_mul_i32 s26, s15, s22
	s_sub_i32 s1, s1, s0
	v_cmp_gt_i32_e64 s0, s11, v33
	s_ashr_i32 s27, s26, 31
	s_mov_b32 s2, exec_lo
	s_barrier
	buffer_gl0_inv
                                        ; implicit-def: $vgpr6
                                        ; implicit-def: $vgpr7
	v_cmpx_le_i32_e64 s11, v33
	s_xor_b32 s2, exec_lo, s2
; %bb.6:
	v_mov_b32_e32 v6, 0
	v_mbcnt_lo_u32_b32 v5, -1, 0
	v_mov_b32_e32 v7, 32
; %bb.7:
	s_or_saveexec_b32 s35, s2
	s_clause 0x3
	s_load_dwordx4 s[16:19], s[4:5], 0x0
	s_load_dwordx2 s[20:21], s[4:5], 0x10
	s_load_dwordx2 s[28:29], s[4:5], 0x28
	s_load_dword s7, s[4:5], 0x98
	v_mov_b32_e32 v61, 0xff7fffff
	v_ashrrev_i32_e32 v34, 31, v33
	v_lshlrev_b32_e32 v4, 4, v38
	s_mul_i32 s14, s1, s14
	s_xor_b32 exec_lo, exec_lo, s35
	s_cbranch_execz .LBB165_13
; %bb.8:
	s_load_dwordx2 s[2:3], s[4:5], 0x20
	v_mul_u32_u24_e32 v1, 0x60, v37
	s_ashr_i32 s15, s14, 31
	v_bfe_u32 v6, v0, 1, 4
	s_lshl_b64 s[4:5], s[14:15], 1
	ds_read_b128 v[12:15], v1
	ds_read_b128 v[20:23], v1 offset:16
	ds_read_b128 v[28:31], v1 offset:32
	;; [unrolled: 1-line block ×5, first 2 shown]
	v_lshlrev_b64 v[1:2], 2, v[33:34]
	v_lshlrev_b32_e32 v7, 4, v6
	v_xor_b32_e32 v62, 1, v5
	v_and_b32_e32 v61, 8, v3
	v_lshlrev_b32_e32 v65, 2, v6
	v_mov_b32_e32 v67, v33
	s_mov_b32 s15, s13
	s_waitcnt lgkmcnt(0)
	s_add_u32 s1, s2, s4
	s_addc_u32 s5, s3, s5
	s_lshl_b64 s[2:3], s[26:27], 2
	s_sub_i32 s4, 1, s23
	s_add_u32 s2, s24, s2
	s_addc_u32 s3, s25, s3
	v_add_co_u32 v1, vcc_lo, s2, v1
	v_add_co_ci_u32_e64 v2, null, s3, v2, vcc_lo
	v_add_co_u32 v7, s1, s1, v7
	v_cmp_gt_i32_e32 vcc_lo, 32, v62
	v_add_co_ci_u32_e64 v63, null, s5, 0, s1
	v_lshlrev_b32_e32 v8, 16, v12
	v_and_b32_e32 v9, 0xffff0000, v12
	v_cndmask_b32_e32 v64, v5, v62, vcc_lo
	v_add_co_u32 v62, vcc_lo, v7, v61
	v_lshl_or_b32 v7, v38, 6, v65
	v_lshlrev_b32_e32 v10, 16, v13
	v_and_b32_e32 v11, 0xffff0000, v13
	v_lshlrev_b32_e32 v12, 16, v14
	v_and_b32_e32 v13, 0xffff0000, v14
	;; [unrolled: 2-line block ×23, first 2 shown]
	v_add_co_ci_u32_e64 v63, null, 0, v63, vcc_lo
	v_lshlrev_b32_e32 v64, 2, v64
	v_cmp_neq_f32_e64 s1, s34, 0
	v_add3_u32 v65, s33, v4, v6
	v_add_nc_u32_e32 v66, 0xe0, v7
	v_mov_b32_e32 v6, 0
	v_mov_b32_e32 v7, 32
	;; [unrolled: 1-line block ×3, first 2 shown]
	s_mov_b32 s5, 0
	v_cmp_eq_u32_e32 vcc_lo, 0, v37
	s_branch .LBB165_10
.LBB165_9:                              ;   in Loop: Header=BB165_10 Depth=1
	s_or_b32 exec_lo, exec_lo, s3
	v_add_nc_u32_e32 v67, 4, v67
	v_add_co_u32 v1, s3, v1, 16
	v_add_nc_u32_e32 v65, 64, v65
	v_add_nc_u32_e32 v66, 0x100, v66
	v_cmp_le_i32_e64 s2, s11, v67
	v_add_co_ci_u32_e64 v2, null, 0, v2, s3
	s_or_b32 s5, s2, s5
	s_andn2_b32 exec_lo, exec_lo, s5
	s_cbranch_execz .LBB165_12
.LBB165_10:                             ; =>This Inner Loop Header: Depth=1
	global_load_dword v68, v[1:2], off
	s_waitcnt vmcnt(0) lgkmcnt(0)
	v_mad_i64_i32 v[68:69], null, v68, s15, 0
	v_lshlrev_b64 v[68:69], 1, v[68:69]
	v_add_co_u32 v68, s2, v62, v68
	v_add_co_ci_u32_e64 v69, null, v63, v69, s2
	s_clause 0x6
	global_load_dwordx2 v[70:71], v[68:69], off
	global_load_dwordx2 v[72:73], v[68:69], off offset:256
	global_load_dwordx2 v[74:75], v[68:69], off offset:512
	;; [unrolled: 1-line block ×6, first 2 shown]
	v_add_co_u32 v84, s2, 0x800, v68
	v_add_co_ci_u32_e64 v85, null, 0, v69, s2
	s_clause 0x4
	global_load_dwordx2 v[68:69], v[68:69], off offset:1792
	global_load_dwordx2 v[86:87], v[84:85], off
	global_load_dwordx2 v[88:89], v[84:85], off offset:256
	global_load_dwordx2 v[90:91], v[84:85], off offset:512
	;; [unrolled: 1-line block ×3, first 2 shown]
	s_waitcnt vmcnt(11)
	v_lshlrev_b32_e32 v92, 16, v70
	s_waitcnt vmcnt(10)
	v_lshlrev_b32_e32 v94, 16, v72
	v_and_b32_e32 v72, 0xffff0000, v72
	v_and_b32_e32 v70, 0xffff0000, v70
	v_lshlrev_b32_e32 v95, 16, v73
	v_lshlrev_b32_e32 v93, 16, v71
	v_mul_f32_e32 v94, v12, v94
	v_mul_f32_e32 v72, v13, v72
	v_and_b32_e32 v73, 0xffff0000, v73
	s_waitcnt vmcnt(9)
	v_lshlrev_b32_e32 v96, 16, v74
	v_and_b32_e32 v74, 0xffff0000, v74
	v_mul_f32_e32 v95, v14, v95
	v_fmac_f32_e32 v94, v8, v92
	v_fmac_f32_e32 v72, v9, v70
	v_and_b32_e32 v71, 0xffff0000, v71
	v_lshlrev_b32_e32 v97, 16, v75
	s_waitcnt vmcnt(8)
	v_lshlrev_b32_e32 v98, 16, v76
	v_and_b32_e32 v76, 0xffff0000, v76
	v_mul_f32_e32 v73, v15, v73
	v_fmac_f32_e32 v95, v10, v93
	v_fmac_f32_e32 v94, v16, v96
	v_fmac_f32_e32 v72, v17, v74
	v_and_b32_e32 v75, 0xffff0000, v75
	v_lshlrev_b32_e32 v99, 16, v77
	s_waitcnt vmcnt(7)
	v_lshlrev_b32_e32 v100, 16, v78
	v_and_b32_e32 v78, 0xffff0000, v78
	v_fmac_f32_e32 v73, v11, v71
	v_fmac_f32_e32 v95, v18, v97
	v_fmac_f32_e32 v94, v20, v98
	v_fmac_f32_e32 v72, v21, v76
	v_and_b32_e32 v77, 0xffff0000, v77
	v_lshlrev_b32_e32 v101, 16, v79
	s_waitcnt vmcnt(6)
	v_lshlrev_b32_e32 v102, 16, v80
	v_and_b32_e32 v80, 0xffff0000, v80
	v_fmac_f32_e32 v73, v19, v75
	;; [unrolled: 9-line block ×8, first 2 shown]
	v_fmac_f32_e32 v95, v51, v74
	v_fmac_f32_e32 v94, v53, v75
	v_fmac_f32_e32 v72, v54, v76
	v_and_b32_e32 v68, 0xffff0000, v91
	v_lshlrev_b32_e32 v70, 16, v85
	v_fmac_f32_e32 v73, v52, v71
	v_fmac_f32_e32 v95, v55, v77
	;; [unrolled: 1-line block ×5, first 2 shown]
	v_and_b32_e32 v68, 0xffff0000, v85
	v_fmac_f32_e32 v95, v59, v70
	v_add_f32_e32 v69, v94, v72
	v_fmac_f32_e32 v73, v60, v68
	v_add_f32_e32 v68, v69, v95
	v_add_f32_e32 v68, v73, v68
	ds_bpermute_b32 v69, v64, v68
	s_and_saveexec_b32 s3, vcc_lo
	s_cbranch_execz .LBB165_9
; %bb.11:                               ;   in Loop: Header=BB165_10 Depth=1
	v_add_nc_u32_e32 v70, s4, v65
	s_waitcnt lgkmcnt(0)
	v_add_f32_e32 v68, v68, v69
	v_cmp_gt_i32_e64 s2, s23, v65
	v_cvt_f32_i32_e32 v70, v70
	v_mul_f32_e32 v70, s34, v70
	v_cndmask_b32_e64 v69, 0, v70, s1
	v_max_f32_e32 v70, v61, v61
	v_fmac_f32_e32 v69, s31, v68
	v_max_f32_e32 v68, v70, v69
	v_cndmask_b32_e64 v69, 0, v69, s2
	v_cndmask_b32_e64 v61, v61, v68, s2
	ds_write_b32 v66, v69
	s_branch .LBB165_9
.LBB165_12:
	s_or_b32 exec_lo, exec_lo, s5
.LBB165_13:
	s_or_b32 exec_lo, exec_lo, s35
	v_xor_b32_e32 v1, 16, v5
	v_xor_b32_e32 v2, 8, v5
	v_max_f32_e32 v10, v61, v61
	v_xor_b32_e32 v11, 2, v5
	v_and_b32_e32 v39, 31, v0
	v_cmp_lt_i32_e32 vcc_lo, v1, v7
	v_cndmask_b32_e32 v1, v5, v1, vcc_lo
	v_cmp_lt_i32_e32 vcc_lo, v2, v7
	v_lshlrev_b32_e32 v8, 2, v1
	v_cndmask_b32_e32 v2, v5, v2, vcc_lo
	ds_bpermute_b32 v1, v8, v61
	v_lshlrev_b32_e32 v9, 2, v2
	s_waitcnt lgkmcnt(0)
	v_max_f32_e32 v1, v1, v1
	v_max_f32_e32 v1, v10, v1
	v_xor_b32_e32 v10, 4, v5
	ds_bpermute_b32 v2, v9, v1
	v_cmp_lt_i32_e32 vcc_lo, v10, v7
	v_cndmask_b32_e32 v10, v5, v10, vcc_lo
	v_cmp_lt_i32_e32 vcc_lo, v11, v7
	v_lshlrev_b32_e32 v10, 2, v10
	v_cndmask_b32_e32 v11, v5, v11, vcc_lo
	v_cmp_eq_u32_e32 vcc_lo, 0, v39
	s_waitcnt lgkmcnt(0)
	v_max_f32_e32 v2, v2, v2
	v_max_f32_e32 v1, v1, v2
	ds_bpermute_b32 v2, v10, v1
	s_waitcnt lgkmcnt(0)
	v_max_f32_e32 v2, v2, v2
	v_max_f32_e32 v1, v1, v2
	v_lshlrev_b32_e32 v2, 2, v11
	v_lshlrev_b32_e32 v11, 2, v38
	ds_bpermute_b32 v12, v2, v1
	s_and_saveexec_b32 s1, vcc_lo
	s_cbranch_execz .LBB165_15
; %bb.14:
	s_waitcnt lgkmcnt(0)
	v_max_f32_e32 v12, v12, v12
	v_max_f32_e32 v1, v1, v1
	;; [unrolled: 1-line block ×3, first 2 shown]
	ds_write_b32 v11, v1 offset:192
.LBB165_15:
	s_or_b32 exec_lo, exec_lo, s1
	v_cmp_gt_u32_e64 s1, 4, v39
	v_mov_b32_e32 v1, 0xff7fffff
	s_waitcnt lgkmcnt(0)
	v_lshlrev_b32_e32 v12, 2, v39
	s_barrier
	buffer_gl0_inv
	s_and_saveexec_b32 s2, s1
; %bb.16:
	ds_read_b32 v1, v12 offset:192
; %bb.17:
	s_or_b32 exec_lo, exec_lo, s2
	s_waitcnt lgkmcnt(0)
	ds_bpermute_b32 v13, v2, v1
	v_xor_b32_e32 v14, 1, v5
	v_max_f32_e32 v1, v1, v1
	v_lshlrev_b32_e32 v6, 2, v6
	v_cmp_lt_i32_e64 s2, v14, v7
	v_cndmask_b32_e64 v7, v5, v14, s2
	s_sub_i32 s2, s11, s30
	s_lshl_b32 s2, s2, 4
	v_lshlrev_b32_e32 v40, 2, v7
	s_add_i32 s2, s2, s33
	s_min_i32 s2, s2, s23
	s_waitcnt lgkmcnt(0)
	v_max_f32_e32 v13, v13, v13
	s_sub_i32 s4, s2, s33
	v_cmp_gt_i32_e64 s2, s4, v0
	v_max_f32_e32 v1, v1, v13
	ds_bpermute_b32 v7, v40, v1
	s_waitcnt lgkmcnt(0)
	v_max_f32_e32 v7, v7, v7
	v_max_f32_e32 v1, v1, v7
	v_mov_b32_e32 v7, 0
	ds_bpermute_b32 v1, v6, v1
	v_lshl_add_u32 v6, v0, 2, 0xe0
	s_and_saveexec_b32 s5, s2
	s_cbranch_execz .LBB165_21
; %bb.18:
	v_lshl_add_u32 v13, v0, 2, 0xe0
	v_mov_b32_e32 v7, 0
	v_mov_b32_e32 v14, v0
	s_mov_b32 s15, 0
	.p2align	6
.LBB165_19:                             ; =>This Inner Loop Header: Depth=1
	ds_read_b32 v15, v13
	v_add_nc_u32_e32 v14, 0x80, v14
	v_cmp_le_i32_e64 s3, s4, v14
	s_or_b32 s15, s3, s15
	s_waitcnt lgkmcnt(0)
	v_sub_f32_e32 v15, v15, v1
	v_mul_f32_e32 v15, 0x3fb8aa3b, v15
	v_exp_f32_e32 v15, v15
	ds_write_b32 v13, v15
	v_add_f32_e32 v7, v7, v15
	v_add_nc_u32_e32 v13, 0x200, v13
	s_andn2_b32 exec_lo, exec_lo, s15
	s_cbranch_execnz .LBB165_19
; %bb.20:
	s_or_b32 exec_lo, exec_lo, s15
.LBB165_21:
	s_or_b32 exec_lo, exec_lo, s5
	ds_bpermute_b32 v8, v8, v7
	s_waitcnt lgkmcnt(0)
	v_add_f32_e32 v7, v7, v8
	ds_bpermute_b32 v8, v9, v7
	s_waitcnt lgkmcnt(0)
	v_add_f32_e32 v7, v7, v8
	;; [unrolled: 3-line block ×5, first 2 shown]
	s_and_saveexec_b32 s3, vcc_lo
; %bb.22:
	ds_write_b32 v11, v7 offset:208
; %bb.23:
	s_or_b32 exec_lo, exec_lo, s3
	s_waitcnt lgkmcnt(0)
	s_barrier
	buffer_gl0_inv
	s_and_saveexec_b32 s3, s1
; %bb.24:
	ds_read_b32 v7, v12 offset:208
; %bb.25:
	s_or_b32 exec_lo, exec_lo, s3
	s_waitcnt lgkmcnt(0)
	ds_bpermute_b32 v2, v2, v7
	v_lshlrev_b32_e32 v5, 2, v5
	v_and_b32_e32 v5, 0xffffff80, v5
	s_waitcnt lgkmcnt(0)
	v_add_f32_e32 v2, v7, v2
	ds_bpermute_b32 v7, v40, v2
	s_waitcnt lgkmcnt(0)
	v_add_f32_e32 v2, v2, v7
	ds_bpermute_b32 v2, v5, v2
	s_and_saveexec_b32 s1, s2
	s_cbranch_execz .LBB165_28
; %bb.26:
	s_waitcnt lgkmcnt(0)
	v_add_f32_e32 v5, 0x358637bd, v2
	s_mov_b32 s2, 0
	v_div_scale_f32 v7, null, v5, v5, 1.0
	v_div_scale_f32 v10, vcc_lo, 1.0, v5, 1.0
	v_rcp_f32_e32 v8, v7
	v_fma_f32 v9, -v7, v8, 1.0
	v_fmac_f32_e32 v8, v9, v8
	v_mul_f32_e32 v9, v10, v8
	v_fma_f32 v11, -v7, v9, v10
	v_fmac_f32_e32 v9, v11, v8
	v_fma_f32 v7, -v7, v9, v10
	v_div_fmas_f32 v7, v7, v8, v9
	v_div_fixup_f32 v5, v7, v5, 1.0
	v_mov_b32_e32 v7, v0
.LBB165_27:                             ; =>This Inner Loop Header: Depth=1
	ds_read_b32 v8, v6
	v_add_nc_u32_e32 v7, 0x80, v7
	v_cmp_le_i32_e32 vcc_lo, s4, v7
	s_or_b32 s2, vcc_lo, s2
	s_waitcnt lgkmcnt(0)
	v_mul_f32_e32 v8, v5, v8
	ds_write_b32 v6, v8
	v_add_nc_u32_e32 v6, 0x200, v6
	s_andn2_b32 exec_lo, exec_lo, s2
	s_cbranch_execnz .LBB165_27
.LBB165_28:
	s_or_b32 exec_lo, exec_lo, s1
	s_mul_i32 s1, s7, s22
	s_waitcnt lgkmcnt(0)
	s_mul_i32 s4, s1, s9
	s_mov_b32 s1, exec_lo
	s_barrier
	buffer_gl0_inv
	v_cmpx_eq_u32_e32 0, v0
	s_cbranch_execz .LBB165_30
; %bb.29:
	s_ashr_i32 s5, s4, 31
	s_mul_i32 s30, s7, s6
	s_lshl_b64 s[2:3], s[4:5], 2
	v_mov_b32_e32 v5, 0
	s_add_u32 s5, s18, s2
	s_addc_u32 s6, s19, s3
	s_ashr_i32 s31, s30, 31
	s_lshl_b64 s[18:19], s[30:31], 2
	s_add_u32 s5, s5, s18
	s_addc_u32 s6, s6, s19
	s_ashr_i32 s9, s8, 31
	s_lshl_b64 s[30:31], s[8:9], 2
	s_add_u32 s34, s5, s30
	s_addc_u32 s35, s6, s31
	s_add_u32 s2, s16, s2
	s_addc_u32 s3, s17, s3
	;; [unrolled: 2-line block ×4, first 2 shown]
	global_store_dword v5, v1, s[34:35]
	global_store_dword v5, v2, s[2:3]
.LBB165_30:
	s_or_b32 exec_lo, exec_lo, s1
	v_mov_b32_e32 v45, 0
	v_mov_b32_e32 v46, 0
	;; [unrolled: 1-line block ×6, first 2 shown]
	s_and_saveexec_b32 s3, s0
	s_cbranch_execz .LBB165_46
; %bb.31:
	v_lshlrev_b32_e32 v1, 4, v0
	s_ashr_i32 s15, s14, 31
	v_and_b32_e32 v2, 8, v3
	s_lshl_b64 s[0:1], s[14:15], 1
	v_lshlrev_b32_e32 v3, 5, v37
	v_and_b32_e32 v1, 0x1f0, v1
	s_add_u32 s0, s28, s0
	s_addc_u32 s1, s29, s1
	v_add3_u32 v50, s33, v4, v2
	s_add_i32 s5, s12, -1
	v_add_co_u32 v48, s0, s0, v1
	v_lshlrev_b64 v[1:2], 2, v[33:34]
	v_add_co_ci_u32_e64 v49, null, s1, 0, s0
	s_lshl_b64 s[0:1], s[26:27], 2
	v_lshl_or_b32 v3, v38, 6, v3
	s_add_u32 s0, s24, s0
	s_addc_u32 s1, s25, s1
	v_add_co_u32 v34, vcc_lo, s0, v1
	v_mov_b32_e32 v47, 0
	v_add_nc_u32_e32 v51, 0xe0, v3
	v_add_co_ci_u32_e64 v35, null, s1, v2, vcc_lo
	v_mov_b32_e32 v41, 0
	v_mov_b32_e32 v42, 0
	;; [unrolled: 1-line block ×6, first 2 shown]
	s_mov_b32 s6, s13
	s_mov_b32 s12, s23
	;; [unrolled: 1-line block ×3, first 2 shown]
	s_branch .LBB165_33
.LBB165_32:                             ;   in Loop: Header=BB165_33 Depth=1
	s_or_b32 exec_lo, exec_lo, s2
	s_waitcnt lgkmcnt(1)
	v_bfe_u32 v52, v25, 16, 1
	v_bfe_u32 v53, v26, 16, 1
	v_or_b32_e32 v54, 0x400000, v25
	v_cmp_u_f32_e32 vcc_lo, v25, v25
	v_or_b32_e32 v55, 0x400000, v26
	v_add3_u32 v52, v52, v25, 0x7fff
	v_bfe_u32 v56, v27, 16, 1
	v_add3_u32 v53, v53, v26, 0x7fff
	v_bfe_u32 v57, v28, 16, 1
	s_waitcnt vmcnt(1)
	v_and_b32_e32 v59, 0xffff0000, v32
	v_cndmask_b32_e32 v25, v52, v54, vcc_lo
	v_cmp_u_f32_e32 vcc_lo, v26, v26
	v_add3_u32 v52, v56, v27, 0x7fff
	v_add3_u32 v54, v57, v28, 0x7fff
	s_waitcnt lgkmcnt(0)
	v_bfe_u32 v56, v21, 16, 1
	v_and_b32_e32 v25, 0xffff0000, v25
	v_cndmask_b32_e32 v26, v53, v55, vcc_lo
	v_or_b32_e32 v53, 0x400000, v27
	v_cmp_u_f32_e32 vcc_lo, v27, v27
	v_or_b32_e32 v55, 0x400000, v28
	v_lshlrev_b32_e32 v32, 16, v32
	v_add_nc_u32_e32 v33, 4, v33
	v_add_co_u32 v34, s0, v34, 16
	v_cndmask_b32_e32 v27, v52, v53, vcc_lo
	v_cmp_u_f32_e32 vcc_lo, v28, v28
	v_bfe_u32 v52, v22, 16, 1
	v_add3_u32 v53, v56, v21, 0x7fff
	v_bfe_u32 v56, v23, 16, 1
	v_add_nc_u32_e32 v50, 64, v50
	v_cndmask_b32_e32 v28, v54, v55, vcc_lo
	v_or_b32_e32 v54, 0x400000, v21
	v_cmp_u_f32_e32 vcc_lo, v21, v21
	v_add3_u32 v52, v52, v22, 0x7fff
	v_or_b32_e32 v55, 0x400000, v22
	v_and_b32_e32 v21, 0xffff0000, v26
	v_and_b32_e32 v26, 0xffff0000, v29
	v_cndmask_b32_e32 v53, v53, v54, vcc_lo
	v_cmp_u_f32_e32 vcc_lo, v22, v22
	v_add3_u32 v22, v56, v23, 0x7fff
	v_bfe_u32 v54, v24, 16, 1
	v_lshlrev_b32_e32 v29, 16, v29
	v_mul_f32_e32 v26, v21, v26
	v_cndmask_b32_e32 v52, v52, v55, vcc_lo
	v_or_b32_e32 v55, 0x400000, v23
	v_cmp_u_f32_e32 vcc_lo, v23, v23
	v_add3_u32 v54, v54, v24, 0x7fff
	v_or_b32_e32 v56, 0x400000, v24
	v_mul_f32_e32 v29, v25, v29
	v_bfe_u32 v23, v26, 16, 1
	v_cndmask_b32_e32 v55, v22, v55, vcc_lo
	v_cmp_u_f32_e32 vcc_lo, v24, v24
	v_and_b32_e32 v22, 0xffff0000, v28
	v_and_b32_e32 v28, 0xffff0000, v30
	v_add3_u32 v23, v23, v26, 0x7fff
	v_or_b32_e32 v57, 0x400000, v29
	v_cndmask_b32_e32 v24, v54, v56, vcc_lo
	v_bfe_u32 v54, v29, 16, 1
	v_or_b32_e32 v56, 0x400000, v26
	v_cmp_u_f32_e32 vcc_lo, v26, v26
	v_mul_f32_e32 v58, v22, v28
	v_and_b32_e32 v28, 0xffff0000, v27
	v_add3_u32 v54, v54, v29, 0x7fff
	v_lshlrev_b32_e32 v27, 16, v30
	v_cndmask_b32_e32 v30, v23, v56, vcc_lo
	v_cmp_u_f32_e32 vcc_lo, v29, v29
	v_and_b32_e32 v23, 0xffff0000, v52
	v_and_b32_e32 v52, 0xffff0000, v31
	v_mul_f32_e32 v27, v28, v27
	v_and_b32_e32 v26, 0xffff0000, v53
	v_cndmask_b32_e32 v29, v54, v57, vcc_lo
	v_bfe_u32 v54, v58, 16, 1
	v_lshlrev_b32_e32 v31, 16, v31
	v_bfe_u32 v56, v27, 16, 1
	v_mul_f32_e32 v52, v23, v52
	v_cmp_u_f32_e32 vcc_lo, v58, v58
	v_add3_u32 v53, v54, v58, 0x7fff
	v_or_b32_e32 v54, 0x400000, v58
	v_mul_f32_e32 v31, v26, v31
	v_bfe_u32 v57, v52, 16, 1
	v_and_b32_e32 v24, 0xffff0000, v24
	v_and_b32_e32 v29, 0xffff0000, v29
	v_cndmask_b32_e32 v53, v53, v54, vcc_lo
	v_add3_u32 v54, v56, v27, 0x7fff
	v_or_b32_e32 v56, 0x400000, v27
	v_cmp_u_f32_e32 vcc_lo, v27, v27
	v_bfe_u32 v58, v31, 16, 1
	v_mul_f32_e32 v59, v24, v59
	v_and_b32_e32 v27, 0xffff0000, v55
	v_or_b32_e32 v55, 0x400000, v31
	v_cndmask_b32_e32 v54, v54, v56, vcc_lo
	v_add3_u32 v56, v57, v52, 0x7fff
	v_or_b32_e32 v57, 0x400000, v52
	v_cmp_u_f32_e32 vcc_lo, v52, v52
	v_add3_u32 v58, v58, v31, 0x7fff
	v_bfe_u32 v60, v59, 16, 1
	v_mul_f32_e32 v32, v27, v32
	v_and_b32_e32 v30, 0xffff0000, v30
	v_cndmask_b32_e32 v52, v56, v57, vcc_lo
	v_cmp_u_f32_e32 vcc_lo, v31, v31
	v_or_b32_e32 v56, 0x400000, v59
	v_bfe_u32 v57, v32, 16, 1
	v_and_b32_e32 v54, 0xffff0000, v54
	v_and_b32_e32 v53, 0xffff0000, v53
	v_cndmask_b32_e32 v31, v58, v55, vcc_lo
	v_add3_u32 v55, v60, v59, 0x7fff
	v_cmp_u_f32_e32 vcc_lo, v59, v59
	v_add_f32_e32 v29, v29, v30
	v_add_f32_e32 v30, v54, v53
	v_and_b32_e32 v53, 0xffff0000, v17
	v_and_b32_e32 v31, 0xffff0000, v31
	v_cndmask_b32_e32 v55, v55, v56, vcc_lo
	v_add3_u32 v56, v57, v32, 0x7fff
	v_or_b32_e32 v57, 0x400000, v32
	v_cmp_u_f32_e32 vcc_lo, v32, v32
	v_and_b32_e32 v52, 0xffff0000, v52
	v_lshlrev_b32_e32 v17, 16, v17
	v_add_f32_e32 v29, v30, v29
	v_mul_f32_e32 v30, v21, v53
	v_cndmask_b32_e32 v32, v56, v57, vcc_lo
	v_add_f32_e32 v31, v31, v52
	v_mul_f32_e32 v17, v25, v17
	v_and_b32_e32 v52, 0xffff0000, v55
	v_bfe_u32 v53, v30, 16, 1
	v_and_b32_e32 v32, 0xffff0000, v32
	v_add_f32_e32 v29, v31, v29
	v_bfe_u32 v31, v17, 16, 1
	v_and_b32_e32 v54, 0xffff0000, v18
	v_cmp_u_f32_e32 vcc_lo, v30, v30
	v_add_f32_e32 v32, v32, v52
	v_add3_u32 v52, v53, v30, 0x7fff
	v_or_b32_e32 v53, 0x400000, v30
	v_add3_u32 v31, v31, v17, 0x7fff
	v_mul_f32_e32 v54, v22, v54
	v_or_b32_e32 v55, 0x400000, v17
	v_lshlrev_b32_e32 v18, 16, v18
	v_cndmask_b32_e32 v30, v52, v53, vcc_lo
	v_cmp_u_f32_e32 vcc_lo, v17, v17
	v_bfe_u32 v52, v54, 16, 1
	v_or_b32_e32 v53, 0x400000, v54
	v_mul_f32_e32 v18, v28, v18
	v_and_b32_e32 v56, 0xffff0000, v20
	v_cndmask_b32_e32 v17, v31, v55, vcc_lo
	v_and_b32_e32 v31, 0xffff0000, v19
	v_add3_u32 v52, v52, v54, 0x7fff
	v_lshlrev_b32_e32 v19, 16, v19
	v_bfe_u32 v55, v18, 16, 1
	v_cmp_u_f32_e32 vcc_lo, v54, v54
	v_mul_f32_e32 v31, v23, v31
	v_or_b32_e32 v54, 0x400000, v18
	v_mul_f32_e32 v19, v26, v19
	v_lshlrev_b32_e32 v20, 16, v20
	v_cndmask_b32_e32 v52, v52, v53, vcc_lo
	v_add3_u32 v53, v55, v18, 0x7fff
	v_bfe_u32 v55, v31, 16, 1
	v_cmp_u_f32_e32 vcc_lo, v18, v18
	v_bfe_u32 v57, v19, 16, 1
	v_mul_f32_e32 v20, v27, v20
	v_and_b32_e32 v17, 0xffff0000, v17
	v_and_b32_e32 v30, 0xffff0000, v30
	v_cndmask_b32_e32 v18, v53, v54, vcc_lo
	v_add3_u32 v53, v55, v31, 0x7fff
	v_mul_f32_e32 v54, v24, v56
	v_or_b32_e32 v55, 0x400000, v31
	v_cmp_u_f32_e32 vcc_lo, v31, v31
	v_add3_u32 v56, v57, v19, 0x7fff
	v_or_b32_e32 v57, 0x400000, v19
	v_bfe_u32 v58, v54, 16, 1
	v_and_b32_e32 v18, 0xffff0000, v18
	v_cndmask_b32_e32 v31, v53, v55, vcc_lo
	v_cmp_u_f32_e32 vcc_lo, v19, v19
	v_or_b32_e32 v55, 0x400000, v54
	v_add3_u32 v53, v58, v54, 0x7fff
	v_and_b32_e32 v52, 0xffff0000, v52
	v_add_f32_e32 v17, v17, v30
	v_cndmask_b32_e32 v19, v56, v57, vcc_lo
	v_bfe_u32 v56, v20, 16, 1
	v_cmp_u_f32_e32 vcc_lo, v54, v54
	v_add_f32_e32 v18, v18, v52
	v_and_b32_e32 v30, 0xffff0000, v31
	v_and_b32_e32 v19, 0xffff0000, v19
	v_add3_u32 v54, v56, v20, 0x7fff
	v_cndmask_b32_e32 v53, v53, v55, vcc_lo
	v_or_b32_e32 v55, 0x400000, v20
	v_cmp_u_f32_e32 vcc_lo, v20, v20
	v_add_f32_e32 v17, v18, v17
	v_and_b32_e32 v18, 0xffff0000, v13
	v_add_f32_e32 v19, v19, v30
	v_lshlrev_b32_e32 v13, 16, v13
	v_cndmask_b32_e32 v20, v54, v55, vcc_lo
	v_and_b32_e32 v30, 0xffff0000, v53
	v_mul_f32_e32 v18, v21, v18
	v_add_f32_e32 v29, v32, v29
	v_mul_f32_e32 v31, v25, v13
	v_and_b32_e32 v20, 0xffff0000, v20
	v_add_f32_e32 v13, v19, v17
	v_bfe_u32 v19, v18, 16, 1
	v_add_f32_e32 v42, v42, v29
	v_and_b32_e32 v29, 0xffff0000, v14
	v_add_f32_e32 v17, v20, v30
	v_bfe_u32 v20, v31, 16, 1
	v_cmp_u_f32_e32 vcc_lo, v18, v18
	v_or_b32_e32 v30, 0x400000, v31
	v_mul_f32_e32 v29, v22, v29
	v_add_f32_e32 v13, v17, v13
	v_add3_u32 v17, v19, v18, 0x7fff
	v_or_b32_e32 v19, 0x400000, v18
	v_add3_u32 v20, v20, v31, 0x7fff
	v_lshlrev_b32_e32 v14, 16, v14
	v_bfe_u32 v18, v29, 16, 1
	v_and_b32_e32 v32, 0xffff0000, v16
	v_cndmask_b32_e32 v17, v17, v19, vcc_lo
	v_cmp_u_f32_e32 vcc_lo, v31, v31
	v_mul_f32_e32 v14, v28, v14
	v_add3_u32 v18, v18, v29, 0x7fff
	v_lshlrev_b32_e32 v16, 16, v16
	v_and_b32_e32 v17, 0xffff0000, v17
	v_cndmask_b32_e32 v19, v20, v30, vcc_lo
	v_and_b32_e32 v20, 0xffff0000, v15
	v_or_b32_e32 v30, 0x400000, v29
	v_lshlrev_b32_e32 v15, 16, v15
	v_bfe_u32 v31, v14, 16, 1
	v_cmp_u_f32_e32 vcc_lo, v29, v29
	v_mul_f32_e32 v20, v23, v20
	v_mul_f32_e32 v16, v27, v16
	;; [unrolled: 1-line block ×3, first 2 shown]
	v_add3_u32 v29, v31, v14, 0x7fff
	v_cndmask_b32_e32 v18, v18, v30, vcc_lo
	v_or_b32_e32 v30, 0x400000, v14
	v_bfe_u32 v31, v20, 16, 1
	v_cmp_u_f32_e32 vcc_lo, v14, v14
	v_bfe_u32 v52, v15, 16, 1
	v_and_b32_e32 v19, 0xffff0000, v19
	v_and_b32_e32 v18, 0xffff0000, v18
	v_add_f32_e32 v43, v43, v13
	v_cndmask_b32_e32 v14, v29, v30, vcc_lo
	v_add3_u32 v29, v31, v20, 0x7fff
	v_mul_f32_e32 v30, v24, v32
	v_or_b32_e32 v31, 0x400000, v20
	v_cmp_u_f32_e32 vcc_lo, v20, v20
	v_add3_u32 v32, v52, v15, 0x7fff
	v_or_b32_e32 v52, 0x400000, v15
	v_bfe_u32 v53, v30, 16, 1
	v_and_b32_e32 v14, 0xffff0000, v14
	v_cndmask_b32_e32 v20, v29, v31, vcc_lo
	v_cmp_u_f32_e32 vcc_lo, v15, v15
	v_or_b32_e32 v31, 0x400000, v30
	v_add3_u32 v29, v53, v30, 0x7fff
	v_add_f32_e32 v17, v19, v17
	v_add_f32_e32 v14, v14, v18
	v_cndmask_b32_e32 v15, v32, v52, vcc_lo
	v_bfe_u32 v32, v16, 16, 1
	v_cmp_u_f32_e32 vcc_lo, v30, v30
	v_and_b32_e32 v19, 0xffff0000, v5
	v_and_b32_e32 v18, 0xffff0000, v20
	;; [unrolled: 1-line block ×3, first 2 shown]
	v_add3_u32 v30, v32, v16, 0x7fff
	v_cndmask_b32_e32 v29, v29, v31, vcc_lo
	v_or_b32_e32 v31, 0x400000, v16
	v_cmp_u_f32_e32 vcc_lo, v16, v16
	v_lshlrev_b32_e32 v5, 16, v5
	v_add_f32_e32 v14, v14, v17
	v_mul_f32_e32 v17, v21, v19
	v_add_f32_e32 v15, v15, v18
	v_cndmask_b32_e32 v16, v30, v31, vcc_lo
	v_mul_f32_e32 v18, v25, v5
	v_and_b32_e32 v19, 0xffff0000, v29
	v_and_b32_e32 v20, 0xffff0000, v6
	v_bfe_u32 v29, v17, 16, 1
	v_and_b32_e32 v16, 0xffff0000, v16
	v_add_f32_e32 v5, v15, v14
	v_bfe_u32 v15, v18, 16, 1
	v_cmp_u_f32_e32 vcc_lo, v17, v17
	v_lshlrev_b32_e32 v6, 16, v6
	v_add_f32_e32 v14, v16, v19
	v_mul_f32_e32 v16, v22, v20
	v_add3_u32 v19, v29, v17, 0x7fff
	v_or_b32_e32 v20, 0x400000, v17
	v_add3_u32 v15, v15, v18, 0x7fff
	v_or_b32_e32 v29, 0x400000, v18
	v_bfe_u32 v30, v16, 16, 1
	v_mul_f32_e32 v6, v28, v6
	v_cndmask_b32_e32 v17, v19, v20, vcc_lo
	v_cmp_u_f32_e32 vcc_lo, v18, v18
	v_or_b32_e32 v19, 0x400000, v16
	v_add3_u32 v18, v30, v16, 0x7fff
	v_and_b32_e32 v20, 0xffff0000, v7
	v_lshlrev_b32_e32 v7, 16, v7
	v_cndmask_b32_e32 v15, v15, v29, vcc_lo
	v_cmp_u_f32_e32 vcc_lo, v16, v16
	v_bfe_u32 v29, v6, 16, 1
	v_and_b32_e32 v17, 0xffff0000, v17
	v_mul_f32_e32 v7, v26, v7
	v_and_b32_e32 v15, 0xffff0000, v15
	v_cndmask_b32_e32 v16, v18, v19, vcc_lo
	v_mul_f32_e32 v18, v23, v20
	v_add3_u32 v19, v29, v6, 0x7fff
	v_or_b32_e32 v20, 0x400000, v6
	v_and_b32_e32 v29, 0xffff0000, v8
	v_cmp_u_f32_e32 vcc_lo, v6, v6
	v_bfe_u32 v30, v18, 16, 1
	v_bfe_u32 v31, v7, 16, 1
	v_lshlrev_b32_e32 v8, 16, v8
	v_and_b32_e32 v16, 0xffff0000, v16
	v_cndmask_b32_e32 v6, v19, v20, vcc_lo
	v_mul_f32_e32 v19, v24, v29
	v_add3_u32 v20, v30, v18, 0x7fff
	v_or_b32_e32 v29, 0x400000, v18
	v_cmp_u_f32_e32 vcc_lo, v18, v18
	v_add3_u32 v30, v31, v7, 0x7fff
	v_or_b32_e32 v31, 0x400000, v7
	v_bfe_u32 v32, v19, 16, 1
	v_and_b32_e32 v6, 0xffff0000, v6
	v_cndmask_b32_e32 v18, v20, v29, vcc_lo
	v_cmp_u_f32_e32 vcc_lo, v7, v7
	v_or_b32_e32 v29, 0x400000, v19
	v_add3_u32 v20, v32, v19, 0x7fff
	v_mul_f32_e32 v8, v27, v8
	v_add_f32_e32 v15, v15, v17
	v_cndmask_b32_e32 v7, v30, v31, vcc_lo
	v_cmp_u_f32_e32 vcc_lo, v19, v19
	v_add_f32_e32 v6, v6, v16
	v_and_b32_e32 v16, 0xffff0000, v1
	v_and_b32_e32 v17, 0xffff0000, v18
	v_and_b32_e32 v7, 0xffff0000, v7
	v_cndmask_b32_e32 v19, v20, v29, vcc_lo
	v_bfe_u32 v20, v8, 16, 1
	v_add_f32_e32 v6, v6, v15
	v_mul_f32_e32 v15, v21, v16
	v_add_f32_e32 v7, v7, v17
	v_lshlrev_b32_e32 v1, 16, v1
	v_add3_u32 v18, v20, v8, 0x7fff
	v_or_b32_e32 v20, 0x400000, v8
	v_cmp_u_f32_e32 vcc_lo, v8, v8
	v_bfe_u32 v16, v15, 16, 1
	v_add_f32_e32 v6, v7, v6
	v_and_b32_e32 v7, 0xffff0000, v2
	v_mul_f32_e32 v1, v25, v1
	v_cndmask_b32_e32 v8, v18, v20, vcc_lo
	v_add3_u32 v16, v16, v15, 0x7fff
	v_or_b32_e32 v17, 0x400000, v15
	v_mul_f32_e32 v7, v22, v7
	v_and_b32_e32 v18, 0xffff0000, v19
	v_bfe_u32 v19, v1, 16, 1
	v_cmp_u_f32_e32 vcc_lo, v15, v15
	v_lshlrev_b32_e32 v2, 16, v2
	v_or_b32_e32 v20, 0x400000, v1
	v_or_b32_e32 v29, 0x400000, v7
	v_and_b32_e32 v8, 0xffff0000, v8
	v_cndmask_b32_e32 v15, v16, v17, vcc_lo
	v_bfe_u32 v16, v7, 16, 1
	v_add3_u32 v17, v19, v1, 0x7fff
	v_and_b32_e32 v19, 0xffff0000, v3
	v_mul_f32_e32 v2, v28, v2
	v_cmp_u_f32_e32 vcc_lo, v1, v1
	v_add3_u32 v16, v16, v7, 0x7fff
	v_lshlrev_b32_e32 v3, 16, v3
	v_mul_f32_e32 v19, v23, v19
	v_and_b32_e32 v15, 0xffff0000, v15
	v_cndmask_b32_e32 v1, v17, v20, vcc_lo
	v_bfe_u32 v17, v2, 16, 1
	v_cmp_u_f32_e32 vcc_lo, v7, v7
	v_and_b32_e32 v20, 0xffff0000, v4
	v_mul_f32_e32 v3, v26, v3
	v_or_b32_e32 v30, 0x400000, v19
	v_add3_u32 v17, v17, v2, 0x7fff
	v_cndmask_b32_e32 v7, v16, v29, vcc_lo
	v_bfe_u32 v16, v19, 16, 1
	v_or_b32_e32 v29, 0x400000, v2
	v_cmp_u_f32_e32 vcc_lo, v2, v2
	v_mul_f32_e32 v20, v24, v20
	v_lshlrev_b32_e32 v4, 16, v4
	v_add3_u32 v16, v16, v19, 0x7fff
	v_and_b32_e32 v1, 0xffff0000, v1
	v_cndmask_b32_e32 v2, v17, v29, vcc_lo
	v_bfe_u32 v17, v3, 16, 1
	v_cmp_u_f32_e32 vcc_lo, v19, v19
	v_bfe_u32 v29, v20, 16, 1
	v_or_b32_e32 v19, 0x400000, v3
	v_mul_f32_e32 v4, v27, v4
	v_add3_u32 v17, v17, v3, 0x7fff
	v_cndmask_b32_e32 v16, v16, v30, vcc_lo
	v_cmp_u_f32_e32 vcc_lo, v3, v3
	v_add3_u32 v29, v29, v20, 0x7fff
	v_or_b32_e32 v30, 0x400000, v20
	v_and_b32_e32 v2, 0xffff0000, v2
	v_and_b32_e32 v7, 0xffff0000, v7
	v_cndmask_b32_e32 v3, v17, v19, vcc_lo
	v_cmp_u_f32_e32 vcc_lo, v20, v20
	v_bfe_u32 v19, v4, 16, 1
	v_add_f32_e32 v1, v1, v15
	v_add_f32_e32 v2, v2, v7
	v_and_b32_e32 v3, 0xffff0000, v3
	v_cndmask_b32_e32 v17, v29, v30, vcc_lo
	s_waitcnt vmcnt(0)
	v_lshlrev_b32_e32 v29, 16, v9
	v_and_b32_e32 v7, 0xffff0000, v16
	v_and_b32_e32 v9, 0xffff0000, v9
	v_add3_u32 v19, v19, v4, 0x7fff
	v_or_b32_e32 v20, 0x400000, v4
	v_mul_f32_e32 v15, v25, v29
	v_cmp_u_f32_e32 vcc_lo, v4, v4
	v_add_f32_e32 v1, v2, v1
	v_add_f32_e32 v3, v3, v7
	v_mul_f32_e32 v7, v21, v9
	v_bfe_u32 v2, v15, 16, 1
	v_lshlrev_b32_e32 v9, 16, v10
	v_cndmask_b32_e32 v4, v19, v20, vcc_lo
	v_or_b32_e32 v16, 0x400000, v15
	v_bfe_u32 v19, v7, 16, 1
	v_add3_u32 v2, v2, v15, 0x7fff
	v_mul_f32_e32 v9, v28, v9
	v_and_b32_e32 v10, 0xffff0000, v10
	v_cmp_u_f32_e32 vcc_lo, v15, v15
	v_add3_u32 v15, v19, v7, 0x7fff
	v_lshlrev_b32_e32 v20, 16, v11
	v_bfe_u32 v19, v9, 16, 1
	v_mul_f32_e32 v10, v22, v10
	v_cndmask_b32_e32 v2, v2, v16, vcc_lo
	v_or_b32_e32 v16, 0x400000, v7
	v_cmp_u_f32_e32 vcc_lo, v7, v7
	v_mul_f32_e32 v20, v26, v20
	v_and_b32_e32 v11, 0xffff0000, v11
	v_lshlrev_b32_e32 v21, 16, v12
	v_and_b32_e32 v12, 0xffff0000, v12
	v_cndmask_b32_e32 v7, v15, v16, vcc_lo
	v_add3_u32 v15, v19, v9, 0x7fff
	v_or_b32_e32 v16, 0x400000, v9
	v_bfe_u32 v19, v10, 16, 1
	v_cmp_u_f32_e32 vcc_lo, v9, v9
	v_mul_f32_e32 v11, v23, v11
	v_mul_f32_e32 v12, v24, v12
	v_and_b32_e32 v7, 0xffff0000, v7
	v_and_b32_e32 v2, 0xffff0000, v2
	v_cndmask_b32_e32 v9, v15, v16, vcc_lo
	v_add3_u32 v15, v19, v10, 0x7fff
	v_or_b32_e32 v16, 0x400000, v10
	v_bfe_u32 v19, v20, 16, 1
	v_cmp_u_f32_e32 vcc_lo, v10, v10
	v_or_b32_e32 v22, 0x400000, v11
	v_bfe_u32 v24, v12, 16, 1
	v_and_b32_e32 v9, 0xffff0000, v9
	v_add_f32_e32 v2, v2, v7
	v_cndmask_b32_e32 v10, v15, v16, vcc_lo
	v_bfe_u32 v15, v11, 16, 1
	v_add3_u32 v16, v19, v20, 0x7fff
	v_mul_f32_e32 v19, v27, v21
	v_or_b32_e32 v21, 0x400000, v20
	v_cmp_u_f32_e32 vcc_lo, v20, v20
	v_add3_u32 v15, v15, v11, 0x7fff
	v_add3_u32 v20, v24, v12, 0x7fff
	v_bfe_u32 v23, v19, 16, 1
	v_and_b32_e32 v10, 0xffff0000, v10
	v_cndmask_b32_e32 v16, v16, v21, vcc_lo
	v_cmp_u_f32_e32 vcc_lo, v11, v11
	v_or_b32_e32 v21, 0x400000, v12
	v_and_b32_e32 v4, 0xffff0000, v4
	v_add_f32_e32 v7, v9, v10
	v_and_b32_e32 v10, 0xffff0000, v16
	v_cndmask_b32_e32 v11, v15, v22, vcc_lo
	v_cmp_u_f32_e32 vcc_lo, v12, v12
	v_add3_u32 v15, v23, v19, 0x7fff
	v_or_b32_e32 v22, 0x400000, v19
	v_add_f32_e32 v2, v7, v2
	v_and_b32_e32 v9, 0xffff0000, v11
	v_cndmask_b32_e32 v12, v20, v21, vcc_lo
	v_cmp_u_f32_e32 vcc_lo, v19, v19
	v_add_f32_e32 v8, v8, v18
	v_add_f32_e32 v1, v3, v1
	;; [unrolled: 1-line block ×3, first 2 shown]
	v_and_b32_e32 v9, 0xffff0000, v12
	v_cndmask_b32_e32 v11, v15, v22, vcc_lo
	v_and_b32_e32 v15, 0xffff0000, v17
	v_add_f32_e32 v5, v14, v5
	v_add_f32_e32 v2, v7, v2
	;; [unrolled: 1-line block ×3, first 2 shown]
	v_and_b32_e32 v10, 0xffff0000, v11
	v_add_f32_e32 v3, v4, v15
	v_cmp_le_i32_e32 vcc_lo, s11, v33
	v_add_f32_e32 v44, v44, v5
	v_add_f32_e32 v46, v46, v6
	;; [unrolled: 1-line block ×4, first 2 shown]
	v_add_nc_u32_e32 v51, 0x100, v51
	v_add_co_ci_u32_e64 v35, null, 0, v35, s0
	v_add_f32_e32 v2, v4, v2
	v_add_f32_e32 v45, v45, v1
	s_or_b32 s9, vcc_lo, s9
	v_add_f32_e32 v41, v41, v2
	s_andn2_b32 exec_lo, exec_lo, s9
	s_cbranch_execz .LBB165_45
.LBB165_33:                             ; =>This Inner Loop Header: Depth=1
	global_load_dword v1, v[34:35], off
	v_cmp_eq_u32_e64 s0, s5, v33
	v_add_nc_u32_e32 v58, 1, v50
	v_or_b32_e32 v56, 3, v50
	v_or_b32_e32 v57, 2, v50
	;; [unrolled: 1-line block ×6, first 2 shown]
	s_waitcnt vmcnt(0)
	v_mad_i64_i32 v[1:2], null, v1, s6, 0
	v_lshlrev_b64 v[1:2], 1, v[1:2]
	v_add_co_u32 v9, vcc_lo, v48, v1
	v_add_co_ci_u32_e64 v10, null, v49, v2, vcc_lo
	global_load_dwordx4 v[1:4], v[9:10], off
	ds_read2_b64 v[25:28], v51 offset1:1
	ds_read2_b64 v[21:24], v51 offset0:2 offset1:3
	s_and_saveexec_b32 s13, s0
	s_cbranch_execnz .LBB165_42
; %bb.34:                               ;   in Loop: Header=BB165_33 Depth=1
	s_or_b32 exec_lo, exec_lo, s13
	global_load_dwordx4 v[5:8], v[9:10], off offset:512
	s_and_saveexec_b32 s13, s0
	s_cbranch_execnz .LBB165_43
.LBB165_35:                             ;   in Loop: Header=BB165_33 Depth=1
	s_or_b32 exec_lo, exec_lo, s13
	global_load_dwordx4 v[13:16], v[9:10], off offset:1024
	s_and_saveexec_b32 s13, s0
	s_cbranch_execnz .LBB165_44
.LBB165_36:                             ;   in Loop: Header=BB165_33 Depth=1
	s_or_b32 exec_lo, exec_lo, s13
	global_load_dwordx4 v[17:20], v[9:10], off offset:1536
	s_and_saveexec_b32 s13, s0
	s_cbranch_execz .LBB165_38
.LBB165_37:                             ;   in Loop: Header=BB165_33 Depth=1
	v_cmp_gt_i32_e64 s1, s23, v50
	v_cmp_gt_i32_e32 vcc_lo, s12, v58
	v_cmp_gt_i32_e64 s2, s23, v57
	s_waitcnt vmcnt(0)
	v_cndmask_b32_e64 v11, 0, v17, s1
	v_cmp_gt_i32_e64 s1, s12, v56
	v_cndmask_b32_sdwa v17, v47, v17, vcc_lo dst_sel:DWORD dst_unused:UNUSED_PAD src0_sel:DWORD src1_sel:WORD_1
	v_cndmask_b32_e64 v12, 0, v18, s2
	v_cmp_gt_i32_e64 s2, s12, v55
	s_mov_b32 vcc_lo, s1
	v_cmp_gt_i32_e64 s1, s12, v53
	v_cndmask_b32_sdwa v18, v47, v18, vcc_lo dst_sel:DWORD dst_unused:UNUSED_PAD src0_sel:DWORD src1_sel:WORD_1
	v_cmp_gt_i32_e32 vcc_lo, s23, v54
	v_perm_b32 v17, v17, v11, 0x5040100
	v_perm_b32 v18, v18, v12, 0x5040100
	v_cndmask_b32_e32 v29, 0, v19, vcc_lo
	s_mov_b32 vcc_lo, s2
	v_cndmask_b32_sdwa v19, v47, v19, vcc_lo dst_sel:DWORD dst_unused:UNUSED_PAD src0_sel:DWORD src1_sel:WORD_1
	v_cmp_gt_i32_e32 vcc_lo, s23, v52
	v_perm_b32 v19, v19, v29, 0x5040100
	v_cndmask_b32_e32 v30, 0, v20, vcc_lo
	s_mov_b32 vcc_lo, s1
	v_cndmask_b32_sdwa v20, v47, v20, vcc_lo dst_sel:DWORD dst_unused:UNUSED_PAD src0_sel:DWORD src1_sel:WORD_1
	v_perm_b32 v20, v20, v30, 0x5040100
.LBB165_38:                             ;   in Loop: Header=BB165_33 Depth=1
	s_or_b32 exec_lo, exec_lo, s13
	v_add_co_u32 v9, vcc_lo, 0x800, v9
	v_add_co_ci_u32_e64 v10, null, 0, v10, vcc_lo
	global_load_dwordx4 v[29:32], v[9:10], off
	s_and_saveexec_b32 s13, s0
	s_cbranch_execz .LBB165_40
; %bb.39:                               ;   in Loop: Header=BB165_33 Depth=1
	v_cmp_gt_i32_e64 s1, s23, v50
	v_cmp_gt_i32_e32 vcc_lo, s12, v58
	v_cmp_gt_i32_e64 s2, s23, v57
	s_waitcnt vmcnt(0)
	v_cndmask_b32_e64 v11, 0, v29, s1
	v_cmp_gt_i32_e64 s1, s12, v56
	v_cndmask_b32_sdwa v29, v47, v29, vcc_lo dst_sel:DWORD dst_unused:UNUSED_PAD src0_sel:DWORD src1_sel:WORD_1
	v_cndmask_b32_e64 v12, 0, v30, s2
	v_cmp_gt_i32_e64 s2, s12, v55
	s_mov_b32 vcc_lo, s1
	v_cmp_gt_i32_e64 s1, s12, v53
	v_cndmask_b32_sdwa v30, v47, v30, vcc_lo dst_sel:DWORD dst_unused:UNUSED_PAD src0_sel:DWORD src1_sel:WORD_1
	v_cmp_gt_i32_e32 vcc_lo, s23, v54
	v_perm_b32 v29, v29, v11, 0x5040100
	v_perm_b32 v30, v30, v12, 0x5040100
	v_cndmask_b32_e32 v59, 0, v31, vcc_lo
	s_mov_b32 vcc_lo, s2
	v_cndmask_b32_sdwa v31, v47, v31, vcc_lo dst_sel:DWORD dst_unused:UNUSED_PAD src0_sel:DWORD src1_sel:WORD_1
	v_cmp_gt_i32_e32 vcc_lo, s23, v52
	v_perm_b32 v31, v31, v59, 0x5040100
	v_cndmask_b32_e32 v60, 0, v32, vcc_lo
	s_mov_b32 vcc_lo, s1
	v_cndmask_b32_sdwa v32, v47, v32, vcc_lo dst_sel:DWORD dst_unused:UNUSED_PAD src0_sel:DWORD src1_sel:WORD_1
	v_perm_b32 v32, v32, v60, 0x5040100
.LBB165_40:                             ;   in Loop: Header=BB165_33 Depth=1
	s_or_b32 exec_lo, exec_lo, s13
	global_load_dwordx4 v[9:12], v[9:10], off offset:512
	s_and_saveexec_b32 s2, s0
	s_cbranch_execz .LBB165_32
; %bb.41:                               ;   in Loop: Header=BB165_33 Depth=1
	v_cmp_gt_i32_e64 s0, s23, v50
	v_cmp_gt_i32_e32 vcc_lo, s12, v58
	v_cmp_gt_i32_e64 s1, s23, v57
	s_waitcnt vmcnt(0)
	v_cndmask_b32_e64 v58, 0, v9, s0
	v_cmp_gt_i32_e64 s0, s12, v56
	v_cndmask_b32_sdwa v9, v47, v9, vcc_lo dst_sel:DWORD dst_unused:UNUSED_PAD src0_sel:DWORD src1_sel:WORD_1
	v_cndmask_b32_e64 v56, 0, v10, s1
	v_cmp_gt_i32_e64 s1, s12, v55
	s_mov_b32 vcc_lo, s0
	v_cmp_gt_i32_e64 s0, s12, v53
	v_cndmask_b32_sdwa v10, v47, v10, vcc_lo dst_sel:DWORD dst_unused:UNUSED_PAD src0_sel:DWORD src1_sel:WORD_1
	v_cmp_gt_i32_e32 vcc_lo, s23, v54
	v_perm_b32 v9, v9, v58, 0x5040100
	v_perm_b32 v10, v10, v56, 0x5040100
	v_cndmask_b32_e32 v54, 0, v11, vcc_lo
	s_mov_b32 vcc_lo, s1
	v_cndmask_b32_sdwa v11, v47, v11, vcc_lo dst_sel:DWORD dst_unused:UNUSED_PAD src0_sel:DWORD src1_sel:WORD_1
	v_cmp_gt_i32_e32 vcc_lo, s23, v52
	v_perm_b32 v11, v11, v54, 0x5040100
	v_cndmask_b32_e32 v52, 0, v12, vcc_lo
	s_mov_b32 vcc_lo, s0
	v_cndmask_b32_sdwa v12, v47, v12, vcc_lo dst_sel:DWORD dst_unused:UNUSED_PAD src0_sel:DWORD src1_sel:WORD_1
	v_perm_b32 v12, v12, v52, 0x5040100
	s_branch .LBB165_32
.LBB165_42:                             ;   in Loop: Header=BB165_33 Depth=1
	v_cmp_gt_i32_e64 s1, s23, v50
	v_cmp_gt_i32_e32 vcc_lo, s12, v58
	v_cmp_gt_i32_e64 s2, s23, v57
	s_waitcnt vmcnt(0)
	v_cndmask_b32_e64 v5, 0, v1, s1
	v_cmp_gt_i32_e64 s1, s12, v56
	v_cndmask_b32_sdwa v1, v47, v1, vcc_lo dst_sel:DWORD dst_unused:UNUSED_PAD src0_sel:DWORD src1_sel:WORD_1
	v_cndmask_b32_e64 v6, 0, v2, s2
	v_cmp_gt_i32_e64 s2, s12, v55
	s_mov_b32 vcc_lo, s1
	v_cmp_gt_i32_e64 s1, s12, v53
	v_cndmask_b32_sdwa v2, v47, v2, vcc_lo dst_sel:DWORD dst_unused:UNUSED_PAD src0_sel:DWORD src1_sel:WORD_1
	v_cmp_gt_i32_e32 vcc_lo, s23, v54
	v_perm_b32 v1, v1, v5, 0x5040100
	v_perm_b32 v2, v2, v6, 0x5040100
	v_cndmask_b32_e32 v7, 0, v3, vcc_lo
	s_mov_b32 vcc_lo, s2
	v_cndmask_b32_sdwa v3, v47, v3, vcc_lo dst_sel:DWORD dst_unused:UNUSED_PAD src0_sel:DWORD src1_sel:WORD_1
	v_cmp_gt_i32_e32 vcc_lo, s23, v52
	v_perm_b32 v3, v3, v7, 0x5040100
	v_cndmask_b32_e32 v8, 0, v4, vcc_lo
	s_mov_b32 vcc_lo, s1
	v_cndmask_b32_sdwa v4, v47, v4, vcc_lo dst_sel:DWORD dst_unused:UNUSED_PAD src0_sel:DWORD src1_sel:WORD_1
	v_perm_b32 v4, v4, v8, 0x5040100
	s_or_b32 exec_lo, exec_lo, s13
	global_load_dwordx4 v[5:8], v[9:10], off offset:512
	s_and_saveexec_b32 s13, s0
	s_cbranch_execz .LBB165_35
.LBB165_43:                             ;   in Loop: Header=BB165_33 Depth=1
	v_cmp_gt_i32_e64 s1, s23, v50
	v_cmp_gt_i32_e32 vcc_lo, s12, v58
	v_cmp_gt_i32_e64 s2, s23, v57
	s_waitcnt vmcnt(0)
	v_cndmask_b32_e64 v11, 0, v5, s1
	v_cmp_gt_i32_e64 s1, s12, v56
	v_cndmask_b32_sdwa v5, v47, v5, vcc_lo dst_sel:DWORD dst_unused:UNUSED_PAD src0_sel:DWORD src1_sel:WORD_1
	v_cndmask_b32_e64 v12, 0, v6, s2
	v_cmp_gt_i32_e64 s2, s12, v55
	s_mov_b32 vcc_lo, s1
	v_cmp_gt_i32_e64 s1, s12, v53
	v_cndmask_b32_sdwa v6, v47, v6, vcc_lo dst_sel:DWORD dst_unused:UNUSED_PAD src0_sel:DWORD src1_sel:WORD_1
	v_cmp_gt_i32_e32 vcc_lo, s23, v54
	v_perm_b32 v5, v5, v11, 0x5040100
	v_perm_b32 v6, v6, v12, 0x5040100
	v_cndmask_b32_e32 v13, 0, v7, vcc_lo
	s_mov_b32 vcc_lo, s2
	v_cndmask_b32_sdwa v7, v47, v7, vcc_lo dst_sel:DWORD dst_unused:UNUSED_PAD src0_sel:DWORD src1_sel:WORD_1
	v_cmp_gt_i32_e32 vcc_lo, s23, v52
	v_perm_b32 v7, v7, v13, 0x5040100
	v_cndmask_b32_e32 v14, 0, v8, vcc_lo
	s_mov_b32 vcc_lo, s1
	v_cndmask_b32_sdwa v8, v47, v8, vcc_lo dst_sel:DWORD dst_unused:UNUSED_PAD src0_sel:DWORD src1_sel:WORD_1
	v_perm_b32 v8, v8, v14, 0x5040100
	s_or_b32 exec_lo, exec_lo, s13
	global_load_dwordx4 v[13:16], v[9:10], off offset:1024
	s_and_saveexec_b32 s13, s0
	s_cbranch_execz .LBB165_36
.LBB165_44:                             ;   in Loop: Header=BB165_33 Depth=1
	v_cmp_gt_i32_e64 s1, s23, v50
	v_cmp_gt_i32_e32 vcc_lo, s12, v58
	v_cmp_gt_i32_e64 s2, s23, v57
	s_waitcnt vmcnt(0)
	v_cndmask_b32_e64 v11, 0, v13, s1
	v_cmp_gt_i32_e64 s1, s12, v56
	v_cndmask_b32_sdwa v13, v47, v13, vcc_lo dst_sel:DWORD dst_unused:UNUSED_PAD src0_sel:DWORD src1_sel:WORD_1
	v_cndmask_b32_e64 v12, 0, v14, s2
	v_cmp_gt_i32_e64 s2, s12, v55
	s_mov_b32 vcc_lo, s1
	v_cmp_gt_i32_e64 s1, s12, v53
	v_cndmask_b32_sdwa v14, v47, v14, vcc_lo dst_sel:DWORD dst_unused:UNUSED_PAD src0_sel:DWORD src1_sel:WORD_1
	v_cmp_gt_i32_e32 vcc_lo, s23, v54
	v_perm_b32 v13, v13, v11, 0x5040100
	v_perm_b32 v14, v14, v12, 0x5040100
	v_cndmask_b32_e32 v17, 0, v15, vcc_lo
	s_mov_b32 vcc_lo, s2
	v_cndmask_b32_sdwa v15, v47, v15, vcc_lo dst_sel:DWORD dst_unused:UNUSED_PAD src0_sel:DWORD src1_sel:WORD_1
	v_cmp_gt_i32_e32 vcc_lo, s23, v52
	v_perm_b32 v15, v15, v17, 0x5040100
	v_cndmask_b32_e32 v18, 0, v16, vcc_lo
	s_mov_b32 vcc_lo, s1
	v_cndmask_b32_sdwa v16, v47, v16, vcc_lo dst_sel:DWORD dst_unused:UNUSED_PAD src0_sel:DWORD src1_sel:WORD_1
	v_perm_b32 v16, v16, v18, 0x5040100
	s_or_b32 exec_lo, exec_lo, s13
	global_load_dwordx4 v[17:20], v[9:10], off offset:1536
	s_and_saveexec_b32 s13, s0
	s_cbranch_execnz .LBB165_37
	s_branch .LBB165_38
.LBB165_45:
	s_or_b32 exec_lo, exec_lo, s9
.LBB165_46:
	s_or_b32 exec_lo, exec_lo, s3
	ds_bpermute_b32 v1, v40, v45
	ds_bpermute_b32 v2, v40, v46
	ds_bpermute_b32 v3, v40, v44
	ds_bpermute_b32 v10, v40, v43
	ds_bpermute_b32 v11, v40, v42
	ds_bpermute_b32 v12, v40, v41
	v_lshrrev_b32_e32 v7, 1, v39
	v_mul_u32_u24_e32 v9, 0x180, v38
	v_and_b32_e32 v13, 0x3c1, v0
	s_mov_b32 s0, exec_lo
	s_waitcnt lgkmcnt(0)
	s_waitcnt_vscnt null, 0x0
	v_lshl_add_u32 v8, v7, 2, 0xe0
	s_barrier
	buffer_gl0_inv
	v_add_f32_e32 v6, v45, v1
	v_add_f32_e32 v5, v46, v2
	;; [unrolled: 1-line block ×6, first 2 shown]
	v_cmpx_eq_u32_e32 64, v13
	s_cbranch_execz .LBB165_48
; %bb.47:
	v_add_nc_u32_e32 v10, v8, v9
	v_add_nc_u32_e32 v11, 0xfffffd00, v10
	;; [unrolled: 1-line block ×7, first 2 shown]
	ds_write_b32 v11, v6
	ds_write_b32 v12, v5
	ds_write_b32 v13, v4
	ds_write_b32 v14, v3
	ds_write_b32 v15, v2
	ds_write_b32 v10, v1
.LBB165_48:
	s_or_b32 exec_lo, exec_lo, s0
	v_lshlrev_b32_e32 v7, 2, v7
	s_mov_b32 s1, exec_lo
	v_cmp_eq_u32_e32 vcc_lo, 0, v37
	s_waitcnt lgkmcnt(0)
	s_barrier
	v_add3_u32 v7, 0xe0, v9, v7
	buffer_gl0_inv
	v_cmpx_gt_u32_e32 64, v0
	s_cbranch_execz .LBB165_57
; %bb.49:
	s_and_saveexec_b32 s0, vcc_lo
	s_cbranch_execnz .LBB165_71
; %bb.50:
	s_or_b32 exec_lo, exec_lo, s0
	s_and_saveexec_b32 s0, vcc_lo
	s_cbranch_execnz .LBB165_72
.LBB165_51:
	s_or_b32 exec_lo, exec_lo, s0
	s_and_saveexec_b32 s0, vcc_lo
	s_cbranch_execnz .LBB165_73
.LBB165_52:
	s_or_b32 exec_lo, exec_lo, s0
	s_and_saveexec_b32 s0, vcc_lo
	s_cbranch_execnz .LBB165_74
.LBB165_53:
	s_or_b32 exec_lo, exec_lo, s0
	s_and_saveexec_b32 s0, vcc_lo
	s_cbranch_execnz .LBB165_75
.LBB165_54:
	s_or_b32 exec_lo, exec_lo, s0
	s_and_saveexec_b32 s0, vcc_lo
	s_cbranch_execz .LBB165_56
.LBB165_55:
	ds_read_b32 v9, v7 offset:320
	s_waitcnt lgkmcnt(0)
	v_add_f32_e32 v1, v1, v9
.LBB165_56:
	s_or_b32 exec_lo, exec_lo, s0
.LBB165_57:
	s_or_b32 exec_lo, exec_lo, s1
	v_and_b32_e32 v9, 0x3e1, v0
	s_mov_b32 s1, exec_lo
	s_barrier
	buffer_gl0_inv
	v_cmpx_eq_u32_e32 32, v9
	s_cbranch_execz .LBB165_59
; %bb.58:
	ds_write2_b32 v8, v6, v5 offset1:16
	ds_write2_b32 v8, v4, v3 offset0:32 offset1:48
	ds_write2_b32 v8, v2, v1 offset0:64 offset1:80
.LBB165_59:
	s_or_b32 exec_lo, exec_lo, s1
	s_mov_b32 s1, exec_lo
	s_waitcnt lgkmcnt(0)
	s_barrier
	buffer_gl0_inv
	v_cmpx_gt_u32_e32 32, v0
	s_cbranch_execz .LBB165_68
; %bb.60:
	s_and_saveexec_b32 s0, vcc_lo
	s_cbranch_execnz .LBB165_76
; %bb.61:
	s_or_b32 exec_lo, exec_lo, s0
	s_and_saveexec_b32 s0, vcc_lo
	s_cbranch_execnz .LBB165_77
.LBB165_62:
	s_or_b32 exec_lo, exec_lo, s0
	s_and_saveexec_b32 s0, vcc_lo
	s_cbranch_execnz .LBB165_78
.LBB165_63:
	s_or_b32 exec_lo, exec_lo, s0
	s_and_saveexec_b32 s0, vcc_lo
	s_cbranch_execnz .LBB165_79
.LBB165_64:
	s_or_b32 exec_lo, exec_lo, s0
	s_and_saveexec_b32 s0, vcc_lo
	s_cbranch_execnz .LBB165_80
.LBB165_65:
	s_or_b32 exec_lo, exec_lo, s0
	s_and_saveexec_b32 s0, vcc_lo
	s_cbranch_execz .LBB165_67
.LBB165_66:
	ds_read_b32 v0, v7 offset:320
	s_waitcnt lgkmcnt(0)
	v_add_f32_e32 v1, v1, v0
.LBB165_67:
	s_or_b32 exec_lo, exec_lo, s0
.LBB165_68:
	s_or_b32 exec_lo, exec_lo, s1
	s_barrier
	buffer_gl0_inv
	s_mov_b32 s0, exec_lo
	v_cmpx_eq_u32_e32 0, v9
	s_cbranch_execz .LBB165_70
; %bb.69:
	s_mul_i32 s0, s4, 0x60
	v_bfe_u32 v0, v6, 16, 1
	s_ashr_i32 s1, s0, 31
	s_mul_i32 s2, s7, s10
	s_lshl_b64 s[0:1], s[0:1], 1
	v_or_b32_e32 v7, 0x400000, v6
	s_add_u32 s4, s20, s0
	s_addc_u32 s1, s21, s1
	s_ashr_i32 s3, s2, 31
	v_add3_u32 v0, v0, v6, 0x7fff
	s_lshl_b64 s[2:3], s[2:3], 1
	v_bfe_u32 v9, v5, 16, 1
	v_cmp_u_f32_e32 vcc_lo, v6, v6
	s_mul_i32 s0, s8, 0x60
	s_add_u32 s2, s4, s2
	s_addc_u32 s3, s1, s3
	s_ashr_i32 s1, s0, 31
	v_lshlrev_b32_e32 v8, 1, v36
	s_lshl_b64 s[0:1], s[0:1], 1
	v_cndmask_b32_e32 v0, v0, v7, vcc_lo
	v_bfe_u32 v6, v4, 16, 1
	v_add3_u32 v7, v9, v5, 0x7fff
	v_or_b32_e32 v9, 0x400000, v5
	v_cmp_u_f32_e32 vcc_lo, v5, v5
	s_add_u32 s0, s2, s0
	s_addc_u32 s1, s3, s1
	v_or_b32_e32 v10, 0x400000, v2
	global_store_short_d16_hi v8, v0, s[0:1]
	v_add3_u32 v0, v6, v4, 0x7fff
	v_or_b32_e32 v6, 0x400000, v4
	v_cndmask_b32_e32 v5, v7, v9, vcc_lo
	v_bfe_u32 v7, v3, 16, 1
	v_cmp_u_f32_e32 vcc_lo, v4, v4
	v_bfe_u32 v9, v2, 16, 1
	v_bfe_u32 v4, v1, 16, 1
	v_or_b32_e32 v11, 0x400000, v1
	v_cndmask_b32_e32 v0, v0, v6, vcc_lo
	v_add3_u32 v6, v7, v3, 0x7fff
	v_or_b32_e32 v7, 0x400000, v3
	v_cmp_u_f32_e32 vcc_lo, v3, v3
	v_add3_u32 v9, v9, v2, 0x7fff
	v_add3_u32 v4, v4, v1, 0x7fff
	v_cndmask_b32_e32 v3, v6, v7, vcc_lo
	v_cmp_u_f32_e32 vcc_lo, v2, v2
	v_cndmask_b32_e32 v2, v9, v10, vcc_lo
	v_cmp_u_f32_e32 vcc_lo, v1, v1
	v_cndmask_b32_e32 v1, v4, v11, vcc_lo
	global_store_short_d16_hi v8, v5, s[0:1] offset:32
	global_store_short_d16_hi v8, v0, s[0:1] offset:64
	global_store_short_d16_hi v8, v3, s[0:1] offset:96
	global_store_short_d16_hi v8, v2, s[0:1] offset:128
	global_store_short_d16_hi v8, v1, s[0:1] offset:160
.LBB165_70:
	s_endpgm
.LBB165_71:
	ds_read_b32 v9, v7
	s_waitcnt lgkmcnt(0)
	v_add_f32_e32 v6, v6, v9
	s_or_b32 exec_lo, exec_lo, s0
	s_and_saveexec_b32 s0, vcc_lo
	s_cbranch_execz .LBB165_51
.LBB165_72:
	ds_read_b32 v9, v7 offset:64
	s_waitcnt lgkmcnt(0)
	v_add_f32_e32 v5, v5, v9
	s_or_b32 exec_lo, exec_lo, s0
	s_and_saveexec_b32 s0, vcc_lo
	s_cbranch_execz .LBB165_52
.LBB165_73:
	ds_read_b32 v9, v7 offset:128
	s_waitcnt lgkmcnt(0)
	v_add_f32_e32 v4, v4, v9
	s_or_b32 exec_lo, exec_lo, s0
	s_and_saveexec_b32 s0, vcc_lo
	s_cbranch_execz .LBB165_53
.LBB165_74:
	ds_read_b32 v9, v7 offset:192
	s_waitcnt lgkmcnt(0)
	v_add_f32_e32 v3, v3, v9
	s_or_b32 exec_lo, exec_lo, s0
	s_and_saveexec_b32 s0, vcc_lo
	s_cbranch_execz .LBB165_54
.LBB165_75:
	ds_read_b32 v9, v7 offset:256
	s_waitcnt lgkmcnt(0)
	v_add_f32_e32 v2, v2, v9
	s_or_b32 exec_lo, exec_lo, s0
	s_and_saveexec_b32 s0, vcc_lo
	s_cbranch_execnz .LBB165_55
	s_branch .LBB165_56
.LBB165_76:
	ds_read_b32 v0, v7
	s_waitcnt lgkmcnt(0)
	v_add_f32_e32 v6, v6, v0
	s_or_b32 exec_lo, exec_lo, s0
	s_and_saveexec_b32 s0, vcc_lo
	s_cbranch_execz .LBB165_62
.LBB165_77:
	ds_read_b32 v0, v7 offset:64
	s_waitcnt lgkmcnt(0)
	v_add_f32_e32 v5, v5, v0
	s_or_b32 exec_lo, exec_lo, s0
	s_and_saveexec_b32 s0, vcc_lo
	s_cbranch_execz .LBB165_63
.LBB165_78:
	ds_read_b32 v0, v7 offset:128
	s_waitcnt lgkmcnt(0)
	v_add_f32_e32 v4, v4, v0
	s_or_b32 exec_lo, exec_lo, s0
	s_and_saveexec_b32 s0, vcc_lo
	s_cbranch_execz .LBB165_64
.LBB165_79:
	ds_read_b32 v0, v7 offset:192
	s_waitcnt lgkmcnt(0)
	v_add_f32_e32 v3, v3, v0
	s_or_b32 exec_lo, exec_lo, s0
	s_and_saveexec_b32 s0, vcc_lo
	s_cbranch_execz .LBB165_65
.LBB165_80:
	ds_read_b32 v0, v7 offset:256
	s_waitcnt lgkmcnt(0)
	v_add_f32_e32 v2, v2, v0
	s_or_b32 exec_lo, exec_lo, s0
	s_and_saveexec_b32 s0, vcc_lo
	s_cbranch_execnz .LBB165_66
	s_branch .LBB165_67
	.section	.rodata,"a",@progbits
	.p2align	6, 0x0
	.amdhsa_kernel _ZN4vllm25paged_attention_v2_kernelI14__hip_bfloat16S1_Li96ELi16ELi128ELNS_18Fp8KVCacheDataTypeE0ELb0ELi512EEEvPfS3_PT_PKS4_PKT0_SA_ifPKiSC_iPKfiiiSE_SE_iiiii
		.amdhsa_group_segment_fixed_size 224
		.amdhsa_private_segment_fixed_size 0
		.amdhsa_kernarg_size 400
		.amdhsa_user_sgpr_count 6
		.amdhsa_user_sgpr_private_segment_buffer 1
		.amdhsa_user_sgpr_dispatch_ptr 0
		.amdhsa_user_sgpr_queue_ptr 0
		.amdhsa_user_sgpr_kernarg_segment_ptr 1
		.amdhsa_user_sgpr_dispatch_id 0
		.amdhsa_user_sgpr_flat_scratch_init 0
		.amdhsa_user_sgpr_private_segment_size 0
		.amdhsa_wavefront_size32 1
		.amdhsa_uses_dynamic_stack 0
		.amdhsa_system_sgpr_private_segment_wavefront_offset 0
		.amdhsa_system_sgpr_workgroup_id_x 1
		.amdhsa_system_sgpr_workgroup_id_y 1
		.amdhsa_system_sgpr_workgroup_id_z 1
		.amdhsa_system_sgpr_workgroup_info 0
		.amdhsa_system_vgpr_workitem_id 0
		.amdhsa_next_free_vgpr 110
		.amdhsa_next_free_sgpr 36
		.amdhsa_reserve_vcc 1
		.amdhsa_reserve_flat_scratch 0
		.amdhsa_float_round_mode_32 0
		.amdhsa_float_round_mode_16_64 0
		.amdhsa_float_denorm_mode_32 3
		.amdhsa_float_denorm_mode_16_64 3
		.amdhsa_dx10_clamp 1
		.amdhsa_ieee_mode 1
		.amdhsa_fp16_overflow 0
		.amdhsa_workgroup_processor_mode 1
		.amdhsa_memory_ordered 1
		.amdhsa_forward_progress 1
		.amdhsa_shared_vgpr_count 0
		.amdhsa_exception_fp_ieee_invalid_op 0
		.amdhsa_exception_fp_denorm_src 0
		.amdhsa_exception_fp_ieee_div_zero 0
		.amdhsa_exception_fp_ieee_overflow 0
		.amdhsa_exception_fp_ieee_underflow 0
		.amdhsa_exception_fp_ieee_inexact 0
		.amdhsa_exception_int_div_zero 0
	.end_amdhsa_kernel
	.section	.text._ZN4vllm25paged_attention_v2_kernelI14__hip_bfloat16S1_Li96ELi16ELi128ELNS_18Fp8KVCacheDataTypeE0ELb0ELi512EEEvPfS3_PT_PKS4_PKT0_SA_ifPKiSC_iPKfiiiSE_SE_iiiii,"axG",@progbits,_ZN4vllm25paged_attention_v2_kernelI14__hip_bfloat16S1_Li96ELi16ELi128ELNS_18Fp8KVCacheDataTypeE0ELb0ELi512EEEvPfS3_PT_PKS4_PKT0_SA_ifPKiSC_iPKfiiiSE_SE_iiiii,comdat
.Lfunc_end165:
	.size	_ZN4vllm25paged_attention_v2_kernelI14__hip_bfloat16S1_Li96ELi16ELi128ELNS_18Fp8KVCacheDataTypeE0ELb0ELi512EEEvPfS3_PT_PKS4_PKT0_SA_ifPKiSC_iPKfiiiSE_SE_iiiii, .Lfunc_end165-_ZN4vllm25paged_attention_v2_kernelI14__hip_bfloat16S1_Li96ELi16ELi128ELNS_18Fp8KVCacheDataTypeE0ELb0ELi512EEEvPfS3_PT_PKS4_PKT0_SA_ifPKiSC_iPKfiiiSE_SE_iiiii
                                        ; -- End function
	.set _ZN4vllm25paged_attention_v2_kernelI14__hip_bfloat16S1_Li96ELi16ELi128ELNS_18Fp8KVCacheDataTypeE0ELb0ELi512EEEvPfS3_PT_PKS4_PKT0_SA_ifPKiSC_iPKfiiiSE_SE_iiiii.num_vgpr, 110
	.set _ZN4vllm25paged_attention_v2_kernelI14__hip_bfloat16S1_Li96ELi16ELi128ELNS_18Fp8KVCacheDataTypeE0ELb0ELi512EEEvPfS3_PT_PKS4_PKT0_SA_ifPKiSC_iPKfiiiSE_SE_iiiii.num_agpr, 0
	.set _ZN4vllm25paged_attention_v2_kernelI14__hip_bfloat16S1_Li96ELi16ELi128ELNS_18Fp8KVCacheDataTypeE0ELb0ELi512EEEvPfS3_PT_PKS4_PKT0_SA_ifPKiSC_iPKfiiiSE_SE_iiiii.numbered_sgpr, 36
	.set _ZN4vllm25paged_attention_v2_kernelI14__hip_bfloat16S1_Li96ELi16ELi128ELNS_18Fp8KVCacheDataTypeE0ELb0ELi512EEEvPfS3_PT_PKS4_PKT0_SA_ifPKiSC_iPKfiiiSE_SE_iiiii.num_named_barrier, 0
	.set _ZN4vllm25paged_attention_v2_kernelI14__hip_bfloat16S1_Li96ELi16ELi128ELNS_18Fp8KVCacheDataTypeE0ELb0ELi512EEEvPfS3_PT_PKS4_PKT0_SA_ifPKiSC_iPKfiiiSE_SE_iiiii.private_seg_size, 0
	.set _ZN4vllm25paged_attention_v2_kernelI14__hip_bfloat16S1_Li96ELi16ELi128ELNS_18Fp8KVCacheDataTypeE0ELb0ELi512EEEvPfS3_PT_PKS4_PKT0_SA_ifPKiSC_iPKfiiiSE_SE_iiiii.uses_vcc, 1
	.set _ZN4vllm25paged_attention_v2_kernelI14__hip_bfloat16S1_Li96ELi16ELi128ELNS_18Fp8KVCacheDataTypeE0ELb0ELi512EEEvPfS3_PT_PKS4_PKT0_SA_ifPKiSC_iPKfiiiSE_SE_iiiii.uses_flat_scratch, 0
	.set _ZN4vllm25paged_attention_v2_kernelI14__hip_bfloat16S1_Li96ELi16ELi128ELNS_18Fp8KVCacheDataTypeE0ELb0ELi512EEEvPfS3_PT_PKS4_PKT0_SA_ifPKiSC_iPKfiiiSE_SE_iiiii.has_dyn_sized_stack, 0
	.set _ZN4vllm25paged_attention_v2_kernelI14__hip_bfloat16S1_Li96ELi16ELi128ELNS_18Fp8KVCacheDataTypeE0ELb0ELi512EEEvPfS3_PT_PKS4_PKT0_SA_ifPKiSC_iPKfiiiSE_SE_iiiii.has_recursion, 0
	.set _ZN4vllm25paged_attention_v2_kernelI14__hip_bfloat16S1_Li96ELi16ELi128ELNS_18Fp8KVCacheDataTypeE0ELb0ELi512EEEvPfS3_PT_PKS4_PKT0_SA_ifPKiSC_iPKfiiiSE_SE_iiiii.has_indirect_call, 0
	.section	.AMDGPU.csdata,"",@progbits
; Kernel info:
; codeLenInByte = 9008
; TotalNumSgprs: 38
; NumVgprs: 110
; ScratchSize: 0
; MemoryBound: 0
; FloatMode: 240
; IeeeMode: 1
; LDSByteSize: 224 bytes/workgroup (compile time only)
; SGPRBlocks: 0
; VGPRBlocks: 13
; NumSGPRsForWavesPerEU: 38
; NumVGPRsForWavesPerEU: 110
; Occupancy: 9
; WaveLimiterHint : 1
; COMPUTE_PGM_RSRC2:SCRATCH_EN: 0
; COMPUTE_PGM_RSRC2:USER_SGPR: 6
; COMPUTE_PGM_RSRC2:TRAP_HANDLER: 0
; COMPUTE_PGM_RSRC2:TGID_X_EN: 1
; COMPUTE_PGM_RSRC2:TGID_Y_EN: 1
; COMPUTE_PGM_RSRC2:TGID_Z_EN: 1
; COMPUTE_PGM_RSRC2:TIDIG_COMP_CNT: 0
	.section	.text._ZN4vllm25paged_attention_v2_kernelI14__hip_bfloat16S1_Li112ELi16ELi128ELNS_18Fp8KVCacheDataTypeE0ELb0ELi512EEEvPfS3_PT_PKS4_PKT0_SA_ifPKiSC_iPKfiiiSE_SE_iiiii,"axG",@progbits,_ZN4vllm25paged_attention_v2_kernelI14__hip_bfloat16S1_Li112ELi16ELi128ELNS_18Fp8KVCacheDataTypeE0ELb0ELi512EEEvPfS3_PT_PKS4_PKT0_SA_ifPKiSC_iPKfiiiSE_SE_iiiii,comdat
	.protected	_ZN4vllm25paged_attention_v2_kernelI14__hip_bfloat16S1_Li112ELi16ELi128ELNS_18Fp8KVCacheDataTypeE0ELb0ELi512EEEvPfS3_PT_PKS4_PKT0_SA_ifPKiSC_iPKfiiiSE_SE_iiiii ; -- Begin function _ZN4vllm25paged_attention_v2_kernelI14__hip_bfloat16S1_Li112ELi16ELi128ELNS_18Fp8KVCacheDataTypeE0ELb0ELi512EEEvPfS3_PT_PKS4_PKT0_SA_ifPKiSC_iPKfiiiSE_SE_iiiii
	.globl	_ZN4vllm25paged_attention_v2_kernelI14__hip_bfloat16S1_Li112ELi16ELi128ELNS_18Fp8KVCacheDataTypeE0ELb0ELi512EEEvPfS3_PT_PKS4_PKT0_SA_ifPKiSC_iPKfiiiSE_SE_iiiii
	.p2align	8
	.type	_ZN4vllm25paged_attention_v2_kernelI14__hip_bfloat16S1_Li112ELi16ELi128ELNS_18Fp8KVCacheDataTypeE0ELb0ELi512EEEvPfS3_PT_PKS4_PKT0_SA_ifPKiSC_iPKfiiiSE_SE_iiiii,@function
_ZN4vllm25paged_attention_v2_kernelI14__hip_bfloat16S1_Li112ELi16ELi128ELNS_18Fp8KVCacheDataTypeE0ELb0ELi512EEEvPfS3_PT_PKS4_PKT0_SA_ifPKiSC_iPKfiiiSE_SE_iiiii: ; @_ZN4vllm25paged_attention_v2_kernelI14__hip_bfloat16S1_Li112ELi16ELi128ELNS_18Fp8KVCacheDataTypeE0ELb0ELi512EEEvPfS3_PT_PKS4_PKT0_SA_ifPKiSC_iPKfiiiSE_SE_iiiii
; %bb.0:
	s_load_dwordx2 s[0:1], s[4:5], 0x40
	s_mov_b32 s22, s7
	s_ashr_i32 s23, s7, 31
	s_lshl_b64 s[2:3], s[22:23], 2
	s_waitcnt lgkmcnt(0)
	s_add_u32 s0, s0, s2
	s_addc_u32 s1, s1, s3
	s_lshl_b32 s33, s8, 9
	s_load_dword s23, s[0:1], 0x0
	s_waitcnt lgkmcnt(0)
	s_cmp_ge_i32 s33, s23
	s_cbranch_scc1 .LBB166_74
; %bb.1:
	s_clause 0x1
	s_load_dword s9, s[4:5], 0x90
	s_load_dwordx2 s[30:31], s[4:5], 0x30
	s_mov_b32 s34, 0
	s_waitcnt lgkmcnt(0)
	s_abs_i32 s3, s9
	s_abs_i32 s0, s30
	v_cvt_f32_u32_e32 v1, s0
	s_sub_i32 s2, 0, s0
	v_rcp_iflag_f32_e32 v1, v1
	v_mul_f32_e32 v1, 0x4f7ffffe, v1
	v_cvt_u32_f32_e32 v1, v1
	v_readfirstlane_b32 s1, v1
	s_mul_i32 s2, s2, s1
	s_mul_hi_u32 s2, s1, s2
	s_add_i32 s1, s1, s2
	s_xor_b32 s2, s9, s30
	s_mul_hi_u32 s1, s3, s1
	s_ashr_i32 s2, s2, 31
	s_mul_i32 s7, s1, s0
	s_sub_i32 s3, s3, s7
	s_add_i32 s7, s1, 1
	s_sub_i32 s10, s3, s0
	s_cmp_ge_u32 s3, s0
	s_cselect_b32 s1, s7, s1
	s_cselect_b32 s3, s10, s3
	s_add_i32 s7, s1, 1
	s_cmp_ge_u32 s3, s0
	s_cselect_b32 s0, s7, s1
	s_abs_i32 s16, s6
	s_xor_b32 s0, s0, s2
	s_sub_i32 s10, s0, s2
	s_load_dwordx2 s[0:1], s[4:5], 0x50
	s_abs_i32 s2, s10
	v_cvt_f32_u32_e32 v1, s2
	s_sub_i32 s7, 0, s2
	v_rcp_iflag_f32_e32 v1, v1
	v_mul_f32_e32 v1, 0x4f7ffffe, v1
	v_cvt_u32_f32_e32 v1, v1
	v_readfirstlane_b32 s3, v1
	s_mul_i32 s7, s7, s3
	s_mul_hi_u32 s7, s3, s7
	s_add_i32 s3, s3, s7
	s_waitcnt lgkmcnt(0)
	s_cmp_eq_u64 s[0:1], 0
	s_mul_hi_u32 s3, s16, s3
	s_cbranch_scc1 .LBB166_3
; %bb.2:
	s_ashr_i32 s7, s6, 31
	s_lshl_b64 s[12:13], s[6:7], 2
	s_add_u32 s0, s0, s12
	s_addc_u32 s1, s1, s13
	s_load_dword s34, s[0:1], 0x0
.LBB166_3:
	s_load_dwordx4 s[12:15], s[4:5], 0x58
	v_lshrrev_b32_e32 v40, 1, v0
	v_and_b32_e32 v41, 1, v0
	v_lshlrev_b32_e32 v3, 3, v0
	s_ashr_i32 s0, s6, 31
	s_ashr_i32 s1, s10, 31
	s_mul_i32 s10, s6, 0x70
	s_mov_b32 s7, exec_lo
	v_cmpx_gt_u32_e32 28, v0
	s_cbranch_execz .LBB166_5
; %bb.4:
	s_load_dwordx2 s[18:19], s[4:5], 0x18
	s_waitcnt lgkmcnt(0)
	s_mul_i32 s20, s12, s22
	v_lshlrev_b32_e32 v4, 3, v40
	s_ashr_i32 s21, s20, 31
	s_lshl_b64 s[20:21], s[20:21], 1
	v_mad_u32_u24 v4, 0x70, v41, v4
	s_add_u32 s12, s18, s20
	s_addc_u32 s15, s19, s21
	s_ashr_i32 s11, s10, 31
	s_lshl_b64 s[18:19], s[10:11], 1
	s_add_u32 s18, s12, s18
	s_addc_u32 s19, s15, s19
	global_load_dwordx2 v[1:2], v3, s[18:19]
	s_waitcnt vmcnt(0)
	ds_write_b64 v4, v[1:2]
.LBB166_5:
	s_or_b32 exec_lo, exec_lo, s7
	s_add_i32 s7, s23, 15
	s_load_dwordx2 s[24:25], s[4:5], 0x38
	s_waitcnt lgkmcnt(0)
	s_load_dword s15, s[4:5], 0x48
	s_ashr_i32 s11, s7, 31
	s_lshl_b32 s30, s8, 5
	s_lshr_b32 s11, s11, 28
	s_xor_b32 s0, s0, s1
	s_add_i32 s7, s7, s11
	s_add_i32 s1, s30, 32
	s_ashr_i32 s12, s7, 4
	s_mul_i32 s7, s3, s2
	s_min_i32 s11, s1, s12
	s_sub_i32 s1, s16, s7
	s_add_i32 s7, s3, 1
	s_sub_i32 s16, s1, s2
	s_cmp_ge_u32 s1, s2
	v_lshrrev_b32_e32 v42, 5, v0
	s_cselect_b32 s3, s7, s3
	s_cselect_b32 s1, s16, s1
	s_add_i32 s7, s3, 1
	s_cmp_ge_u32 s1, s2
	v_or_b32_e32 v37, s30, v42
	s_cselect_b32 s1, s7, s3
	v_mbcnt_lo_u32_b32 v5, -1, 0
	s_xor_b32 s1, s1, s0
	s_waitcnt lgkmcnt(0)
	s_mul_i32 s26, s15, s22
	s_sub_i32 s1, s1, s0
	v_cmp_gt_i32_e64 s0, s11, v37
	s_ashr_i32 s27, s26, 31
	s_mov_b32 s2, exec_lo
	s_barrier
	buffer_gl0_inv
                                        ; implicit-def: $vgpr6
                                        ; implicit-def: $vgpr19
	v_cmpx_le_i32_e64 s11, v37
	s_xor_b32 s2, exec_lo, s2
; %bb.6:
	v_mov_b32_e32 v6, 0
	v_mbcnt_lo_u32_b32 v5, -1, 0
	v_mov_b32_e32 v19, 32
; %bb.7:
	s_or_saveexec_b32 s35, s2
	s_clause 0x3
	s_load_dwordx4 s[16:19], s[4:5], 0x0
	s_load_dwordx2 s[20:21], s[4:5], 0x10
	s_load_dwordx2 s[28:29], s[4:5], 0x28
	s_load_dword s7, s[4:5], 0x98
	v_mov_b32_e32 v69, 0xff7fffff
	v_ashrrev_i32_e32 v38, 31, v37
	v_lshlrev_b32_e32 v4, 4, v42
	s_mul_i32 s14, s1, s14
	s_xor_b32 exec_lo, exec_lo, s35
	s_cbranch_execz .LBB166_13
; %bb.8:
	s_load_dwordx2 s[2:3], s[4:5], 0x20
	v_mul_u32_u24_e32 v1, 0x70, v41
	s_ashr_i32 s15, s14, 31
	v_bfe_u32 v6, v0, 1, 4
	s_lshl_b64 s[4:5], s[14:15], 1
	ds_read_b128 v[11:14], v1
	ds_read_b128 v[20:23], v1 offset:16
	ds_read_b128 v[28:31], v1 offset:32
	;; [unrolled: 1-line block ×6, first 2 shown]
	v_lshlrev_b64 v[1:2], 2, v[37:38]
	v_lshlrev_b32_e32 v19, 4, v6
	v_xor_b32_e32 v70, 1, v5
	v_and_b32_e32 v69, 8, v3
	v_lshlrev_b32_e32 v73, 2, v6
	v_mov_b32_e32 v75, v37
	s_mov_b32 s15, s13
	s_waitcnt lgkmcnt(0)
	s_add_u32 s1, s2, s4
	s_addc_u32 s5, s3, s5
	s_lshl_b64 s[2:3], s[26:27], 2
	s_sub_i32 s4, 1, s23
	s_add_u32 s2, s24, s2
	s_addc_u32 s3, s25, s3
	v_add_co_u32 v1, vcc_lo, s2, v1
	v_add_co_ci_u32_e64 v2, null, s3, v2, vcc_lo
	v_add_co_u32 v19, s1, s1, v19
	v_cmp_gt_i32_e32 vcc_lo, 32, v70
	v_add_co_ci_u32_e64 v71, null, s5, 0, s1
	v_lshlrev_b32_e32 v7, 16, v11
	v_and_b32_e32 v8, 0xffff0000, v11
	v_cndmask_b32_e32 v72, v5, v70, vcc_lo
	v_add_co_u32 v70, vcc_lo, v19, v69
	v_lshl_or_b32 v19, v42, 6, v73
	v_lshlrev_b32_e32 v9, 16, v12
	v_and_b32_e32 v10, 0xffff0000, v12
	v_lshlrev_b32_e32 v11, 16, v13
	v_and_b32_e32 v12, 0xffff0000, v13
	;; [unrolled: 2-line block ×27, first 2 shown]
	v_add_co_ci_u32_e64 v71, null, 0, v71, vcc_lo
	v_lshlrev_b32_e32 v72, 2, v72
	v_cmp_neq_f32_e64 s1, s34, 0
	v_add3_u32 v73, s33, v4, v6
	v_add_nc_u32_e32 v74, 0x100, v19
	v_mov_b32_e32 v6, 0
	v_mov_b32_e32 v19, 32
	;; [unrolled: 1-line block ×3, first 2 shown]
	s_mov_b32 s5, 0
	v_cmp_eq_u32_e32 vcc_lo, 0, v41
	s_branch .LBB166_10
.LBB166_9:                              ;   in Loop: Header=BB166_10 Depth=1
	s_or_b32 exec_lo, exec_lo, s3
	v_add_nc_u32_e32 v75, 4, v75
	v_add_co_u32 v1, s3, v1, 16
	v_add_nc_u32_e32 v73, 64, v73
	v_add_nc_u32_e32 v74, 0x100, v74
	v_cmp_le_i32_e64 s2, s11, v75
	v_add_co_ci_u32_e64 v2, null, 0, v2, s3
	s_or_b32 s5, s2, s5
	s_andn2_b32 exec_lo, exec_lo, s5
	s_cbranch_execz .LBB166_12
.LBB166_10:                             ; =>This Inner Loop Header: Depth=1
	global_load_dword v76, v[1:2], off
	s_waitcnt vmcnt(0) lgkmcnt(0)
	v_mad_i64_i32 v[76:77], null, v76, s15, 0
	v_lshlrev_b64 v[76:77], 1, v[76:77]
	v_add_co_u32 v76, s2, v70, v76
	v_add_co_ci_u32_e64 v77, null, v71, v77, s2
	s_clause 0x6
	global_load_dwordx2 v[78:79], v[76:77], off
	global_load_dwordx2 v[80:81], v[76:77], off offset:256
	global_load_dwordx2 v[82:83], v[76:77], off offset:512
	;; [unrolled: 1-line block ×6, first 2 shown]
	v_add_co_u32 v92, s2, 0x800, v76
	v_add_co_ci_u32_e64 v93, null, 0, v77, s2
	s_clause 0x4
	global_load_dwordx2 v[76:77], v[76:77], off offset:1792
	global_load_dwordx2 v[94:95], v[92:93], off
	global_load_dwordx2 v[96:97], v[92:93], off offset:256
	global_load_dwordx2 v[98:99], v[92:93], off offset:512
	;; [unrolled: 1-line block ×3, first 2 shown]
	s_waitcnt vmcnt(11)
	v_lshlrev_b32_e32 v103, 16, v79
	v_and_b32_e32 v104, 0xffff0000, v79
	s_waitcnt vmcnt(10)
	v_lshlrev_b32_e32 v79, 16, v80
	v_and_b32_e32 v80, 0xffff0000, v80
	v_lshlrev_b32_e32 v102, 16, v78
	v_and_b32_e32 v78, 0xffff0000, v78
	v_lshlrev_b32_e32 v105, 16, v81
	v_mul_f32_e32 v126, v11, v79
	v_mul_f32_e32 v80, v12, v80
	s_waitcnt vmcnt(4)
	v_lshlrev_b32_e32 v116, 16, v76
	v_and_b32_e32 v117, 0xffff0000, v76
	v_lshlrev_b32_e32 v118, 16, v77
	v_and_b32_e32 v119, 0xffff0000, v77
	v_fmac_f32_e32 v80, v8, v78
	s_clause 0x1
	global_load_dwordx2 v[76:77], v[92:93], off offset:1024
	global_load_dwordx2 v[78:79], v[92:93], off offset:1280
	v_and_b32_e32 v81, 0xffff0000, v81
	v_lshlrev_b32_e32 v106, 16, v82
	v_and_b32_e32 v82, 0xffff0000, v82
	v_fmac_f32_e32 v126, v7, v102
	v_mul_f32_e32 v102, v13, v105
	v_lshlrev_b32_e32 v107, 16, v83
	v_lshlrev_b32_e32 v108, 16, v84
	v_and_b32_e32 v84, 0xffff0000, v84
	v_mul_f32_e32 v81, v14, v81
	v_fmac_f32_e32 v102, v9, v103
	v_fmac_f32_e32 v126, v15, v106
	v_fmac_f32_e32 v80, v16, v82
	v_and_b32_e32 v83, 0xffff0000, v83
	v_lshlrev_b32_e32 v109, 16, v85
	v_lshlrev_b32_e32 v110, 16, v86
	v_and_b32_e32 v86, 0xffff0000, v86
	v_fmac_f32_e32 v81, v10, v104
	v_fmac_f32_e32 v102, v17, v107
	v_fmac_f32_e32 v126, v20, v108
	v_fmac_f32_e32 v80, v21, v84
	v_and_b32_e32 v85, 0xffff0000, v85
	v_lshlrev_b32_e32 v111, 16, v87
	v_lshlrev_b32_e32 v112, 16, v88
	v_and_b32_e32 v88, 0xffff0000, v88
	v_fmac_f32_e32 v81, v18, v83
	;; [unrolled: 8-line block ×3, first 2 shown]
	v_fmac_f32_e32 v102, v26, v111
	v_fmac_f32_e32 v126, v28, v112
	;; [unrolled: 1-line block ×3, first 2 shown]
	v_and_b32_e32 v89, 0xffff0000, v89
	v_lshlrev_b32_e32 v115, 16, v91
	v_fmac_f32_e32 v81, v27, v87
	v_fmac_f32_e32 v102, v30, v113
	;; [unrolled: 1-line block ×4, first 2 shown]
	v_and_b32_e32 v91, 0xffff0000, v91
	s_waitcnt vmcnt(5)
	v_lshlrev_b32_e32 v120, 16, v94
	v_and_b32_e32 v94, 0xffff0000, v94
	v_fmac_f32_e32 v81, v31, v89
	v_fmac_f32_e32 v102, v34, v115
	;; [unrolled: 1-line block ×4, first 2 shown]
	v_lshlrev_b32_e32 v121, 16, v95
	s_waitcnt vmcnt(4)
	v_lshlrev_b32_e32 v122, 16, v96
	v_and_b32_e32 v96, 0xffff0000, v96
	v_fmac_f32_e32 v81, v35, v91
	v_fmac_f32_e32 v102, v43, v118
	v_fmac_f32_e32 v126, v45, v120
	v_fmac_f32_e32 v80, v46, v94
	v_and_b32_e32 v95, 0xffff0000, v95
	v_lshlrev_b32_e32 v123, 16, v97
	s_waitcnt vmcnt(3)
	v_lshlrev_b32_e32 v124, 16, v98
	v_and_b32_e32 v98, 0xffff0000, v98
	v_fmac_f32_e32 v81, v44, v119
	v_fmac_f32_e32 v102, v47, v121
	v_fmac_f32_e32 v126, v49, v122
	v_fmac_f32_e32 v80, v50, v96
	v_and_b32_e32 v97, 0xffff0000, v97
	;; [unrolled: 9-line block ×3, first 2 shown]
	v_lshlrev_b32_e32 v83, 16, v101
	v_fmac_f32_e32 v81, v52, v97
	v_fmac_f32_e32 v102, v55, v125
	;; [unrolled: 1-line block ×4, first 2 shown]
	v_and_b32_e32 v85, 0xffff0000, v101
	v_fmac_f32_e32 v81, v56, v99
	v_fmac_f32_e32 v102, v59, v83
	;; [unrolled: 1-line block ×3, first 2 shown]
	s_waitcnt vmcnt(1)
	v_lshlrev_b32_e32 v86, 16, v76
	v_and_b32_e32 v76, 0xffff0000, v76
	v_lshlrev_b32_e32 v87, 16, v77
	s_waitcnt vmcnt(0)
	v_lshlrev_b32_e32 v88, 16, v78
	v_and_b32_e32 v78, 0xffff0000, v78
	v_fmac_f32_e32 v126, v61, v86
	v_fmac_f32_e32 v80, v62, v76
	v_and_b32_e32 v77, 0xffff0000, v77
	v_lshlrev_b32_e32 v76, 16, v79
	v_fmac_f32_e32 v102, v63, v87
	v_fmac_f32_e32 v126, v65, v88
	;; [unrolled: 1-line block ×4, first 2 shown]
	v_and_b32_e32 v77, 0xffff0000, v79
	v_fmac_f32_e32 v102, v67, v76
	v_add_f32_e32 v76, v126, v80
	v_fmac_f32_e32 v81, v68, v77
	v_add_f32_e32 v76, v76, v102
	v_add_f32_e32 v76, v81, v76
	ds_bpermute_b32 v77, v72, v76
	s_and_saveexec_b32 s3, vcc_lo
	s_cbranch_execz .LBB166_9
; %bb.11:                               ;   in Loop: Header=BB166_10 Depth=1
	v_add_nc_u32_e32 v78, s4, v73
	s_waitcnt lgkmcnt(0)
	v_add_f32_e32 v76, v76, v77
	v_cmp_gt_i32_e64 s2, s23, v73
	v_cvt_f32_i32_e32 v78, v78
	v_mul_f32_e32 v78, s34, v78
	v_cndmask_b32_e64 v77, 0, v78, s1
	v_max_f32_e32 v78, v69, v69
	v_fmac_f32_e32 v77, s31, v76
	v_max_f32_e32 v76, v78, v77
	v_cndmask_b32_e64 v77, 0, v77, s2
	v_cndmask_b32_e64 v69, v69, v76, s2
	ds_write_b32 v74, v77
	s_branch .LBB166_9
.LBB166_12:
	s_or_b32 exec_lo, exec_lo, s5
.LBB166_13:
	s_or_b32 exec_lo, exec_lo, s35
	v_xor_b32_e32 v1, 16, v5
	v_xor_b32_e32 v2, 8, v5
	v_max_f32_e32 v9, v69, v69
	v_xor_b32_e32 v10, 2, v5
	v_and_b32_e32 v43, 31, v0
	v_cmp_lt_i32_e32 vcc_lo, v1, v19
	v_cndmask_b32_e32 v1, v5, v1, vcc_lo
	v_cmp_lt_i32_e32 vcc_lo, v2, v19
	v_lshlrev_b32_e32 v7, 2, v1
	v_cndmask_b32_e32 v2, v5, v2, vcc_lo
	ds_bpermute_b32 v1, v7, v69
	v_lshlrev_b32_e32 v8, 2, v2
	s_waitcnt lgkmcnt(0)
	v_max_f32_e32 v1, v1, v1
	v_max_f32_e32 v1, v9, v1
	v_xor_b32_e32 v9, 4, v5
	ds_bpermute_b32 v2, v8, v1
	v_cmp_lt_i32_e32 vcc_lo, v9, v19
	v_cndmask_b32_e32 v9, v5, v9, vcc_lo
	v_cmp_lt_i32_e32 vcc_lo, v10, v19
	v_lshlrev_b32_e32 v9, 2, v9
	v_cndmask_b32_e32 v10, v5, v10, vcc_lo
	v_cmp_eq_u32_e32 vcc_lo, 0, v43
	s_waitcnt lgkmcnt(0)
	v_max_f32_e32 v2, v2, v2
	v_max_f32_e32 v1, v1, v2
	ds_bpermute_b32 v2, v9, v1
	s_waitcnt lgkmcnt(0)
	v_max_f32_e32 v2, v2, v2
	v_max_f32_e32 v1, v1, v2
	v_lshlrev_b32_e32 v2, 2, v10
	v_lshlrev_b32_e32 v10, 2, v42
	ds_bpermute_b32 v11, v2, v1
	s_and_saveexec_b32 s1, vcc_lo
	s_cbranch_execz .LBB166_15
; %bb.14:
	s_waitcnt lgkmcnt(0)
	v_max_f32_e32 v11, v11, v11
	v_max_f32_e32 v1, v1, v1
	;; [unrolled: 1-line block ×3, first 2 shown]
	ds_write_b32 v10, v1 offset:224
.LBB166_15:
	s_or_b32 exec_lo, exec_lo, s1
	v_cmp_gt_u32_e64 s1, 4, v43
	v_mov_b32_e32 v1, 0xff7fffff
	s_waitcnt lgkmcnt(0)
	v_lshlrev_b32_e32 v11, 2, v43
	s_barrier
	buffer_gl0_inv
	s_and_saveexec_b32 s2, s1
; %bb.16:
	ds_read_b32 v1, v11 offset:224
; %bb.17:
	s_or_b32 exec_lo, exec_lo, s2
	s_waitcnt lgkmcnt(0)
	ds_bpermute_b32 v12, v2, v1
	v_xor_b32_e32 v13, 1, v5
	v_max_f32_e32 v1, v1, v1
	v_lshlrev_b32_e32 v6, 2, v6
	v_cmp_lt_i32_e64 s2, v13, v19
	v_cndmask_b32_e64 v13, v5, v13, s2
	s_sub_i32 s2, s11, s30
	s_lshl_b32 s2, s2, 4
	v_lshlrev_b32_e32 v44, 2, v13
	s_add_i32 s2, s2, s33
	s_min_i32 s2, s2, s23
	s_waitcnt lgkmcnt(0)
	v_max_f32_e32 v12, v12, v12
	s_sub_i32 s4, s2, s33
	v_cmp_gt_i32_e64 s2, s4, v0
	v_max_f32_e32 v1, v1, v12
	ds_bpermute_b32 v12, v44, v1
	s_waitcnt lgkmcnt(0)
	v_max_f32_e32 v12, v12, v12
	v_max_f32_e32 v1, v1, v12
	v_mov_b32_e32 v12, 0
	ds_bpermute_b32 v1, v6, v1
	v_lshl_add_u32 v6, v0, 2, 0x100
	s_and_saveexec_b32 s5, s2
	s_cbranch_execz .LBB166_21
; %bb.18:
	v_lshl_add_u32 v13, v0, 2, 0x100
	v_mov_b32_e32 v12, 0
	v_mov_b32_e32 v14, v0
	s_mov_b32 s15, 0
	.p2align	6
.LBB166_19:                             ; =>This Inner Loop Header: Depth=1
	ds_read_b32 v15, v13
	v_add_nc_u32_e32 v14, 0x80, v14
	v_cmp_le_i32_e64 s3, s4, v14
	s_or_b32 s15, s3, s15
	s_waitcnt lgkmcnt(0)
	v_sub_f32_e32 v15, v15, v1
	v_mul_f32_e32 v15, 0x3fb8aa3b, v15
	v_exp_f32_e32 v15, v15
	ds_write_b32 v13, v15
	v_add_f32_e32 v12, v12, v15
	v_add_nc_u32_e32 v13, 0x200, v13
	s_andn2_b32 exec_lo, exec_lo, s15
	s_cbranch_execnz .LBB166_19
; %bb.20:
	s_or_b32 exec_lo, exec_lo, s15
.LBB166_21:
	s_or_b32 exec_lo, exec_lo, s5
	ds_bpermute_b32 v7, v7, v12
	s_waitcnt lgkmcnt(0)
	v_add_f32_e32 v7, v12, v7
	ds_bpermute_b32 v8, v8, v7
	s_waitcnt lgkmcnt(0)
	v_add_f32_e32 v7, v7, v8
	;; [unrolled: 3-line block ×5, first 2 shown]
	s_and_saveexec_b32 s3, vcc_lo
; %bb.22:
	ds_write_b32 v10, v7 offset:240
; %bb.23:
	s_or_b32 exec_lo, exec_lo, s3
	s_waitcnt lgkmcnt(0)
	s_barrier
	buffer_gl0_inv
	s_and_saveexec_b32 s3, s1
; %bb.24:
	ds_read_b32 v7, v11 offset:240
; %bb.25:
	s_or_b32 exec_lo, exec_lo, s3
	s_waitcnt lgkmcnt(0)
	ds_bpermute_b32 v2, v2, v7
	v_lshlrev_b32_e32 v5, 2, v5
	v_and_b32_e32 v5, 0xffffff80, v5
	s_waitcnt lgkmcnt(0)
	v_add_f32_e32 v2, v7, v2
	ds_bpermute_b32 v7, v44, v2
	s_waitcnt lgkmcnt(0)
	v_add_f32_e32 v2, v2, v7
	ds_bpermute_b32 v2, v5, v2
	s_and_saveexec_b32 s1, s2
	s_cbranch_execz .LBB166_28
; %bb.26:
	s_waitcnt lgkmcnt(0)
	v_add_f32_e32 v5, 0x358637bd, v2
	s_mov_b32 s2, 0
	v_div_scale_f32 v7, null, v5, v5, 1.0
	v_div_scale_f32 v10, vcc_lo, 1.0, v5, 1.0
	v_rcp_f32_e32 v8, v7
	v_fma_f32 v9, -v7, v8, 1.0
	v_fmac_f32_e32 v8, v9, v8
	v_mul_f32_e32 v9, v10, v8
	v_fma_f32 v11, -v7, v9, v10
	v_fmac_f32_e32 v9, v11, v8
	v_fma_f32 v7, -v7, v9, v10
	v_div_fmas_f32 v7, v7, v8, v9
	v_div_fixup_f32 v5, v7, v5, 1.0
	v_mov_b32_e32 v7, v0
.LBB166_27:                             ; =>This Inner Loop Header: Depth=1
	ds_read_b32 v8, v6
	v_add_nc_u32_e32 v7, 0x80, v7
	v_cmp_le_i32_e32 vcc_lo, s4, v7
	s_or_b32 s2, vcc_lo, s2
	s_waitcnt lgkmcnt(0)
	v_mul_f32_e32 v8, v5, v8
	ds_write_b32 v6, v8
	v_add_nc_u32_e32 v6, 0x200, v6
	s_andn2_b32 exec_lo, exec_lo, s2
	s_cbranch_execnz .LBB166_27
.LBB166_28:
	s_or_b32 exec_lo, exec_lo, s1
	s_mul_i32 s1, s7, s22
	s_waitcnt lgkmcnt(0)
	s_mul_i32 s4, s1, s9
	s_mov_b32 s1, exec_lo
	s_barrier
	buffer_gl0_inv
	v_cmpx_eq_u32_e32 0, v0
	s_cbranch_execz .LBB166_30
; %bb.29:
	s_ashr_i32 s5, s4, 31
	s_mul_i32 s30, s7, s6
	s_lshl_b64 s[2:3], s[4:5], 2
	v_mov_b32_e32 v5, 0
	s_add_u32 s5, s18, s2
	s_addc_u32 s6, s19, s3
	s_ashr_i32 s31, s30, 31
	s_lshl_b64 s[18:19], s[30:31], 2
	s_add_u32 s5, s5, s18
	s_addc_u32 s6, s6, s19
	s_ashr_i32 s9, s8, 31
	s_lshl_b64 s[30:31], s[8:9], 2
	s_add_u32 s34, s5, s30
	s_addc_u32 s35, s6, s31
	s_add_u32 s2, s16, s2
	s_addc_u32 s3, s17, s3
	s_add_u32 s2, s2, s18
	s_addc_u32 s3, s3, s19
	s_add_u32 s2, s2, s30
	s_addc_u32 s3, s3, s31
	global_store_dword v5, v1, s[34:35]
	global_store_dword v5, v2, s[2:3]
.LBB166_30:
	s_or_b32 exec_lo, exec_lo, s1
	v_mov_b32_e32 v50, 0
	v_mov_b32_e32 v51, 0
	;; [unrolled: 1-line block ×7, first 2 shown]
	s_and_saveexec_b32 s3, s0
	s_cbranch_execz .LBB166_48
; %bb.31:
	v_lshlrev_b32_e32 v1, 4, v0
	s_ashr_i32 s15, s14, 31
	v_and_b32_e32 v2, 8, v3
	s_lshl_b64 s[0:1], s[14:15], 1
	v_lshlrev_b32_e32 v3, 5, v41
	v_and_b32_e32 v1, 0x1f0, v1
	s_add_u32 s0, s28, s0
	s_addc_u32 s1, s29, s1
	v_add3_u32 v55, s33, v4, v2
	s_add_i32 s5, s12, -1
	v_add_co_u32 v53, s0, s0, v1
	v_lshlrev_b64 v[1:2], 2, v[37:38]
	v_add_co_ci_u32_e64 v54, null, s1, 0, s0
	s_lshl_b64 s[0:1], s[26:27], 2
	v_lshl_or_b32 v3, v42, 6, v3
	s_add_u32 s0, s24, s0
	s_addc_u32 s1, s25, s1
	v_add_co_u32 v38, vcc_lo, s0, v1
	v_mov_b32_e32 v52, 0
	v_add_nc_u32_e32 v56, 0x100, v3
	v_add_co_ci_u32_e64 v39, null, s1, v2, vcc_lo
	v_mov_b32_e32 v45, 0
	v_mov_b32_e32 v46, 0
	;; [unrolled: 1-line block ×7, first 2 shown]
	s_mov_b32 s6, s13
	s_mov_b32 s12, s23
	;; [unrolled: 1-line block ×3, first 2 shown]
	s_branch .LBB166_33
.LBB166_32:                             ;   in Loop: Header=BB166_33 Depth=1
	s_or_b32 exec_lo, exec_lo, s2
	s_waitcnt lgkmcnt(1)
	v_bfe_u32 v57, v25, 16, 1
	v_or_b32_e32 v58, 0x400000, v25
	v_bfe_u32 v59, v26, 16, 1
	v_cmp_u_f32_e32 vcc_lo, v25, v25
	v_bfe_u32 v60, v27, 16, 1
	v_add3_u32 v57, v57, v25, 0x7fff
	v_or_b32_e32 v61, 0x400000, v26
	v_add3_u32 v59, v59, v26, 0x7fff
	v_or_b32_e32 v62, 0x400000, v27
	v_add3_u32 v60, v60, v27, 0x7fff
	v_cndmask_b32_e32 v25, v57, v58, vcc_lo
	v_cmp_u_f32_e32 vcc_lo, v26, v26
	v_bfe_u32 v57, v28, 16, 1
	s_waitcnt lgkmcnt(0)
	v_bfe_u32 v58, v21, 16, 1
	s_waitcnt vmcnt(1)
	v_and_b32_e32 v64, 0xffff0000, v36
	v_add_nc_u32_e32 v37, 4, v37
	v_cndmask_b32_e32 v26, v59, v61, vcc_lo
	v_cmp_u_f32_e32 vcc_lo, v27, v27
	v_add3_u32 v57, v57, v28, 0x7fff
	v_or_b32_e32 v59, 0x400000, v28
	v_add3_u32 v58, v58, v21, 0x7fff
	v_bfe_u32 v61, v22, 16, 1
	v_cndmask_b32_e32 v27, v60, v62, vcc_lo
	v_cmp_u_f32_e32 vcc_lo, v28, v28
	v_or_b32_e32 v60, 0x400000, v21
	v_add_co_u32 v38, s0, v38, 16
	v_and_b32_e32 v27, 0xffff0000, v27
	v_cndmask_b32_e32 v28, v57, v59, vcc_lo
	v_cmp_u_f32_e32 vcc_lo, v21, v21
	v_or_b32_e32 v59, 0x400000, v22
	v_and_b32_e32 v21, 0xffff0000, v26
	v_and_b32_e32 v26, 0xffff0000, v33
	v_add_nc_u32_e32 v55, 64, v55
	v_cndmask_b32_e32 v57, v58, v60, vcc_lo
	v_add3_u32 v58, v61, v22, 0x7fff
	v_bfe_u32 v60, v23, 16, 1
	v_cmp_u_f32_e32 vcc_lo, v22, v22
	v_mul_f32_e32 v61, v21, v26
	v_and_b32_e32 v26, 0xffff0000, v25
	v_lshlrev_b32_e32 v25, 16, v33
	v_add3_u32 v22, v60, v23, 0x7fff
	v_cndmask_b32_e32 v58, v58, v59, vcc_lo
	v_or_b32_e32 v59, 0x400000, v23
	v_bfe_u32 v60, v24, 16, 1
	v_cmp_u_f32_e32 vcc_lo, v23, v23
	v_mul_f32_e32 v25, v26, v25
	v_add_nc_u32_e32 v56, 0x100, v56
	v_add_co_ci_u32_e64 v39, null, 0, v39, s0
	v_cndmask_b32_e32 v33, v22, v59, vcc_lo
	v_add3_u32 v23, v60, v24, 0x7fff
	v_or_b32_e32 v59, 0x400000, v24
	v_bfe_u32 v60, v61, 16, 1
	v_and_b32_e32 v22, 0xffff0000, v28
	v_and_b32_e32 v28, 0xffff0000, v34
	v_cmp_u_f32_e32 vcc_lo, v24, v24
	v_mul_f32_e32 v62, v22, v28
	v_cndmask_b32_e32 v24, v23, v59, vcc_lo
	v_add3_u32 v23, v60, v61, 0x7fff
	v_or_b32_e32 v59, 0x400000, v61
	v_bfe_u32 v60, v25, 16, 1
	v_lshlrev_b32_e32 v28, 16, v34
	v_cmp_u_f32_e32 vcc_lo, v61, v61
	v_bfe_u32 v61, v62, 16, 1
	v_and_b32_e32 v24, 0xffff0000, v24
	v_mul_f32_e32 v63, v27, v28
	v_cndmask_b32_e32 v34, v23, v59, vcc_lo
	v_add3_u32 v59, v60, v25, 0x7fff
	v_or_b32_e32 v60, 0x400000, v25
	v_and_b32_e32 v23, 0xffff0000, v58
	v_and_b32_e32 v28, 0xffff0000, v35
	v_cmp_u_f32_e32 vcc_lo, v25, v25
	v_add3_u32 v25, v61, v62, 0x7fff
	v_lshlrev_b32_e32 v35, 16, v35
	v_and_b32_e32 v34, 0xffff0000, v34
	v_mul_f32_e32 v61, v23, v28
	v_cndmask_b32_e32 v58, v59, v60, vcc_lo
	v_or_b32_e32 v59, 0x400000, v62
	v_bfe_u32 v60, v63, 16, 1
	v_and_b32_e32 v28, 0xffff0000, v57
	v_cmp_u_f32_e32 vcc_lo, v62, v62
	v_bfe_u32 v62, v61, 16, 1
	v_and_b32_e32 v58, 0xffff0000, v58
	v_mul_f32_e32 v35, v28, v35
	v_cndmask_b32_e32 v57, v25, v59, vcc_lo
	v_add3_u32 v59, v60, v63, 0x7fff
	v_or_b32_e32 v60, 0x400000, v63
	v_and_b32_e32 v25, 0xffff0000, v33
	v_lshlrev_b32_e32 v33, 16, v36
	v_cmp_u_f32_e32 vcc_lo, v63, v63
	v_or_b32_e32 v63, 0x400000, v61
	v_and_b32_e32 v57, 0xffff0000, v57
	v_add_f32_e32 v34, v58, v34
	v_mul_f32_e32 v33, v25, v33
	v_cndmask_b32_e32 v36, v59, v60, vcc_lo
	v_bfe_u32 v59, v35, 16, 1
	v_add3_u32 v60, v62, v61, 0x7fff
	v_cmp_u_f32_e32 vcc_lo, v61, v61
	v_mul_f32_e32 v62, v24, v64
	v_or_b32_e32 v64, 0x400000, v35
	v_add3_u32 v59, v59, v35, 0x7fff
	v_bfe_u32 v66, v33, 16, 1
	v_cndmask_b32_e32 v60, v60, v63, vcc_lo
	v_cmp_u_f32_e32 vcc_lo, v35, v35
	v_bfe_u32 v65, v62, 16, 1
	v_or_b32_e32 v63, 0x400000, v33
	v_add3_u32 v61, v66, v33, 0x7fff
	v_and_b32_e32 v36, 0xffff0000, v36
	v_cndmask_b32_e32 v35, v59, v64, vcc_lo
	v_cmp_u_f32_e32 vcc_lo, v33, v33
	v_add3_u32 v59, v65, v62, 0x7fff
	v_or_b32_e32 v64, 0x400000, v62
	v_add_f32_e32 v36, v36, v57
	v_and_b32_e32 v35, 0xffff0000, v35
	v_cndmask_b32_e32 v33, v61, v63, vcc_lo
	v_cmp_u_f32_e32 vcc_lo, v62, v62
	v_and_b32_e32 v57, 0xffff0000, v60
	v_add_f32_e32 v34, v36, v34
	v_and_b32_e32 v33, 0xffff0000, v33
	v_cndmask_b32_e32 v58, v59, v64, vcc_lo
	v_add_f32_e32 v35, v35, v57
	v_and_b32_e32 v57, 0xffff0000, v29
	v_lshlrev_b32_e32 v29, 16, v29
	v_and_b32_e32 v59, 0xffff0000, v32
	v_and_b32_e32 v36, 0xffff0000, v58
	v_add_f32_e32 v34, v35, v34
	v_mul_f32_e32 v35, v21, v57
	v_mul_f32_e32 v29, v26, v29
	v_and_b32_e32 v57, 0xffff0000, v30
	v_add_f32_e32 v33, v33, v36
	v_lshlrev_b32_e32 v30, 16, v30
	v_cmp_u_f32_e32 vcc_lo, v35, v35
	v_bfe_u32 v36, v29, 16, 1
	v_mul_f32_e32 v57, v22, v57
	v_add_f32_e32 v33, v33, v34
	v_bfe_u32 v34, v35, 16, 1
	v_or_b32_e32 v58, 0x400000, v29
	v_add3_u32 v36, v36, v29, 0x7fff
	v_mul_f32_e32 v30, v27, v30
	v_add_f32_e32 v46, v46, v33
	v_add3_u32 v33, v34, v35, 0x7fff
	v_or_b32_e32 v34, 0x400000, v35
	v_and_b32_e32 v35, 0xffff0000, v31
	v_lshlrev_b32_e32 v31, 16, v31
	v_lshlrev_b32_e32 v32, 16, v32
	v_cndmask_b32_e32 v33, v33, v34, vcc_lo
	v_bfe_u32 v34, v57, 16, 1
	v_cmp_u_f32_e32 vcc_lo, v29, v29
	v_mul_f32_e32 v35, v23, v35
	v_mul_f32_e32 v31, v28, v31
	;; [unrolled: 1-line block ×3, first 2 shown]
	v_add3_u32 v34, v34, v57, 0x7fff
	v_cndmask_b32_e32 v29, v36, v58, vcc_lo
	v_or_b32_e32 v36, 0x400000, v57
	v_bfe_u32 v58, v30, 16, 1
	v_cmp_u_f32_e32 vcc_lo, v57, v57
	v_or_b32_e32 v57, 0x400000, v30
	v_bfe_u32 v60, v31, 16, 1
	v_and_b32_e32 v29, 0xffff0000, v29
	v_and_b32_e32 v33, 0xffff0000, v33
	v_cndmask_b32_e32 v34, v34, v36, vcc_lo
	v_add3_u32 v36, v58, v30, 0x7fff
	v_bfe_u32 v58, v35, 16, 1
	v_cmp_u_f32_e32 vcc_lo, v30, v30
	v_add_f32_e32 v29, v29, v33
	v_and_b32_e32 v34, 0xffff0000, v34
	v_cndmask_b32_e32 v30, v36, v57, vcc_lo
	v_add3_u32 v36, v58, v35, 0x7fff
	v_mul_f32_e32 v57, v24, v59
	v_or_b32_e32 v58, 0x400000, v35
	v_cmp_u_f32_e32 vcc_lo, v35, v35
	v_add3_u32 v59, v60, v31, 0x7fff
	v_or_b32_e32 v60, 0x400000, v31
	v_bfe_u32 v61, v57, 16, 1
	v_and_b32_e32 v30, 0xffff0000, v30
	v_cndmask_b32_e32 v35, v36, v58, vcc_lo
	v_cmp_u_f32_e32 vcc_lo, v31, v31
	v_or_b32_e32 v58, 0x400000, v57
	v_add3_u32 v36, v61, v57, 0x7fff
	v_add_f32_e32 v30, v30, v34
	v_and_b32_e32 v34, 0xffff0000, v17
	v_cndmask_b32_e32 v31, v59, v60, vcc_lo
	v_bfe_u32 v59, v32, 16, 1
	v_cmp_u_f32_e32 vcc_lo, v57, v57
	v_and_b32_e32 v33, 0xffff0000, v35
	v_lshlrev_b32_e32 v17, 16, v17
	v_and_b32_e32 v31, 0xffff0000, v31
	v_add3_u32 v57, v59, v32, 0x7fff
	v_cndmask_b32_e32 v36, v36, v58, vcc_lo
	v_or_b32_e32 v58, 0x400000, v32
	v_cmp_u_f32_e32 vcc_lo, v32, v32
	v_add_f32_e32 v29, v30, v29
	v_mul_f32_e32 v30, v21, v34
	v_add_f32_e32 v31, v31, v33
	v_mul_f32_e32 v17, v26, v17
	v_cndmask_b32_e32 v32, v57, v58, vcc_lo
	v_and_b32_e32 v33, 0xffff0000, v36
	v_bfe_u32 v34, v30, 16, 1
	v_add_f32_e32 v29, v31, v29
	v_bfe_u32 v31, v17, 16, 1
	v_and_b32_e32 v32, 0xffff0000, v32
	v_and_b32_e32 v35, 0xffff0000, v18
	v_cmp_u_f32_e32 vcc_lo, v30, v30
	v_or_b32_e32 v36, 0x400000, v17
	v_add3_u32 v31, v31, v17, 0x7fff
	v_add_f32_e32 v32, v32, v33
	v_add3_u32 v33, v34, v30, 0x7fff
	v_or_b32_e32 v34, 0x400000, v30
	v_mul_f32_e32 v35, v22, v35
	v_lshlrev_b32_e32 v18, 16, v18
	v_and_b32_e32 v57, 0xffff0000, v20
	v_lshlrev_b32_e32 v20, 16, v20
	v_cndmask_b32_e32 v30, v33, v34, vcc_lo
	v_cmp_u_f32_e32 vcc_lo, v17, v17
	v_bfe_u32 v33, v35, 16, 1
	v_mul_f32_e32 v18, v27, v18
	v_or_b32_e32 v34, 0x400000, v35
	v_mul_f32_e32 v20, v25, v20
	v_cndmask_b32_e32 v17, v31, v36, vcc_lo
	v_and_b32_e32 v31, 0xffff0000, v19
	v_add3_u32 v33, v33, v35, 0x7fff
	v_lshlrev_b32_e32 v19, 16, v19
	v_bfe_u32 v36, v18, 16, 1
	v_cmp_u_f32_e32 vcc_lo, v35, v35
	v_mul_f32_e32 v31, v23, v31
	v_or_b32_e32 v35, 0x400000, v18
	v_mul_f32_e32 v19, v28, v19
	v_and_b32_e32 v17, 0xffff0000, v17
	v_cndmask_b32_e32 v33, v33, v34, vcc_lo
	v_add3_u32 v34, v36, v18, 0x7fff
	v_bfe_u32 v36, v31, 16, 1
	v_cmp_u_f32_e32 vcc_lo, v18, v18
	v_bfe_u32 v58, v19, 16, 1
	v_and_b32_e32 v30, 0xffff0000, v30
	v_and_b32_e32 v33, 0xffff0000, v33
	v_add_f32_e32 v29, v32, v29
	v_cndmask_b32_e32 v18, v34, v35, vcc_lo
	v_add3_u32 v34, v36, v31, 0x7fff
	v_mul_f32_e32 v35, v24, v57
	v_or_b32_e32 v36, 0x400000, v31
	v_cmp_u_f32_e32 vcc_lo, v31, v31
	v_add3_u32 v57, v58, v19, 0x7fff
	v_or_b32_e32 v58, 0x400000, v19
	v_bfe_u32 v59, v35, 16, 1
	v_and_b32_e32 v18, 0xffff0000, v18
	v_cndmask_b32_e32 v31, v34, v36, vcc_lo
	v_cmp_u_f32_e32 vcc_lo, v19, v19
	v_or_b32_e32 v36, 0x400000, v35
	v_add3_u32 v34, v59, v35, 0x7fff
	v_add_f32_e32 v17, v17, v30
	v_add_f32_e32 v18, v18, v33
	v_cndmask_b32_e32 v19, v57, v58, vcc_lo
	v_bfe_u32 v57, v20, 16, 1
	v_cmp_u_f32_e32 vcc_lo, v35, v35
	v_and_b32_e32 v30, 0xffff0000, v31
	v_add_f32_e32 v17, v18, v17
	v_and_b32_e32 v19, 0xffff0000, v19
	v_add3_u32 v35, v57, v20, 0x7fff
	v_cndmask_b32_e32 v34, v34, v36, vcc_lo
	v_or_b32_e32 v36, 0x400000, v20
	v_cmp_u_f32_e32 vcc_lo, v20, v20
	v_and_b32_e32 v18, 0xffff0000, v13
	v_add_f32_e32 v19, v19, v30
	v_lshlrev_b32_e32 v13, 16, v13
	v_and_b32_e32 v30, 0xffff0000, v34
	v_cndmask_b32_e32 v20, v35, v36, vcc_lo
	v_mul_f32_e32 v18, v21, v18
	v_add_f32_e32 v47, v47, v29
	v_mul_f32_e32 v31, v26, v13
	v_add_f32_e32 v13, v19, v17
	v_and_b32_e32 v20, 0xffff0000, v20
	v_bfe_u32 v19, v18, 16, 1
	v_and_b32_e32 v29, 0xffff0000, v14
	v_cmp_u_f32_e32 vcc_lo, v18, v18
	v_lshlrev_b32_e32 v14, 16, v14
	v_add_f32_e32 v17, v20, v30
	v_bfe_u32 v20, v31, 16, 1
	v_mul_f32_e32 v29, v22, v29
	v_or_b32_e32 v30, 0x400000, v31
	v_mul_f32_e32 v14, v27, v14
	v_add_f32_e32 v13, v17, v13
	v_add3_u32 v17, v19, v18, 0x7fff
	v_or_b32_e32 v19, 0x400000, v18
	v_add3_u32 v20, v20, v31, 0x7fff
	v_bfe_u32 v18, v29, 16, 1
	v_and_b32_e32 v32, 0xffff0000, v16
	v_lshlrev_b32_e32 v16, 16, v16
	v_cndmask_b32_e32 v17, v17, v19, vcc_lo
	v_cmp_u_f32_e32 vcc_lo, v31, v31
	v_add3_u32 v18, v18, v29, 0x7fff
	v_bfe_u32 v31, v14, 16, 1
	v_mul_f32_e32 v16, v25, v16
	v_and_b32_e32 v17, 0xffff0000, v17
	v_cndmask_b32_e32 v19, v20, v30, vcc_lo
	v_and_b32_e32 v20, 0xffff0000, v15
	v_or_b32_e32 v30, 0x400000, v29
	v_lshlrev_b32_e32 v15, 16, v15
	v_cmp_u_f32_e32 vcc_lo, v29, v29
	v_add3_u32 v29, v31, v14, 0x7fff
	v_mul_f32_e32 v20, v23, v20
	v_and_b32_e32 v19, 0xffff0000, v19
	v_mul_f32_e32 v15, v28, v15
	v_cndmask_b32_e32 v18, v18, v30, vcc_lo
	v_or_b32_e32 v30, 0x400000, v14
	v_bfe_u32 v31, v20, 16, 1
	v_cmp_u_f32_e32 vcc_lo, v14, v14
	v_bfe_u32 v33, v15, 16, 1
	v_and_b32_e32 v18, 0xffff0000, v18
	v_add_f32_e32 v17, v19, v17
	v_and_b32_e32 v19, 0xffff0000, v5
	v_cndmask_b32_e32 v14, v29, v30, vcc_lo
	v_add3_u32 v29, v31, v20, 0x7fff
	v_mul_f32_e32 v30, v24, v32
	v_or_b32_e32 v31, 0x400000, v20
	v_cmp_u_f32_e32 vcc_lo, v20, v20
	v_add3_u32 v32, v33, v15, 0x7fff
	v_or_b32_e32 v33, 0x400000, v15
	v_bfe_u32 v34, v30, 16, 1
	v_and_b32_e32 v14, 0xffff0000, v14
	v_cndmask_b32_e32 v20, v29, v31, vcc_lo
	v_cmp_u_f32_e32 vcc_lo, v15, v15
	v_or_b32_e32 v31, 0x400000, v30
	v_add3_u32 v29, v34, v30, 0x7fff
	v_add_f32_e32 v14, v14, v18
	v_and_b32_e32 v18, 0xffff0000, v20
	v_cndmask_b32_e32 v15, v32, v33, vcc_lo
	v_bfe_u32 v32, v16, 16, 1
	v_cmp_u_f32_e32 vcc_lo, v30, v30
	v_lshlrev_b32_e32 v5, 16, v5
	v_add_f32_e32 v14, v14, v17
	v_and_b32_e32 v15, 0xffff0000, v15
	v_add3_u32 v30, v32, v16, 0x7fff
	v_cndmask_b32_e32 v29, v29, v31, vcc_lo
	v_or_b32_e32 v31, 0x400000, v16
	v_cmp_u_f32_e32 vcc_lo, v16, v16
	v_mul_f32_e32 v17, v21, v19
	v_add_f32_e32 v15, v15, v18
	v_mul_f32_e32 v18, v26, v5
	v_and_b32_e32 v19, 0xffff0000, v29
	v_cndmask_b32_e32 v16, v30, v31, vcc_lo
	v_and_b32_e32 v20, 0xffff0000, v6
	v_bfe_u32 v29, v17, 16, 1
	v_add_f32_e32 v5, v15, v14
	v_bfe_u32 v15, v18, 16, 1
	v_and_b32_e32 v16, 0xffff0000, v16
	v_cmp_u_f32_e32 vcc_lo, v17, v17
	v_lshlrev_b32_e32 v6, 16, v6
	v_add_f32_e32 v48, v48, v13
	v_add3_u32 v15, v15, v18, 0x7fff
	v_add_f32_e32 v14, v16, v19
	v_mul_f32_e32 v16, v22, v20
	v_add3_u32 v19, v29, v17, 0x7fff
	v_or_b32_e32 v20, 0x400000, v17
	v_or_b32_e32 v29, 0x400000, v18
	v_mul_f32_e32 v6, v27, v6
	v_bfe_u32 v30, v16, 16, 1
	v_add_f32_e32 v5, v14, v5
	v_cndmask_b32_e32 v17, v19, v20, vcc_lo
	v_cmp_u_f32_e32 vcc_lo, v18, v18
	v_or_b32_e32 v19, 0x400000, v16
	v_add3_u32 v18, v30, v16, 0x7fff
	v_and_b32_e32 v20, 0xffff0000, v7
	v_lshlrev_b32_e32 v7, 16, v7
	v_cndmask_b32_e32 v15, v15, v29, vcc_lo
	v_cmp_u_f32_e32 vcc_lo, v16, v16
	v_bfe_u32 v29, v6, 16, 1
	v_and_b32_e32 v17, 0xffff0000, v17
	v_mul_f32_e32 v7, v28, v7
	v_and_b32_e32 v15, 0xffff0000, v15
	v_cndmask_b32_e32 v16, v18, v19, vcc_lo
	v_mul_f32_e32 v18, v23, v20
	v_add3_u32 v19, v29, v6, 0x7fff
	v_or_b32_e32 v20, 0x400000, v6
	v_and_b32_e32 v29, 0xffff0000, v8
	v_cmp_u_f32_e32 vcc_lo, v6, v6
	v_bfe_u32 v30, v18, 16, 1
	v_bfe_u32 v31, v7, 16, 1
	v_lshlrev_b32_e32 v8, 16, v8
	v_and_b32_e32 v16, 0xffff0000, v16
	v_cndmask_b32_e32 v6, v19, v20, vcc_lo
	v_mul_f32_e32 v19, v24, v29
	v_add3_u32 v20, v30, v18, 0x7fff
	v_or_b32_e32 v29, 0x400000, v18
	v_cmp_u_f32_e32 vcc_lo, v18, v18
	v_add3_u32 v30, v31, v7, 0x7fff
	v_or_b32_e32 v31, 0x400000, v7
	v_bfe_u32 v32, v19, 16, 1
	v_and_b32_e32 v6, 0xffff0000, v6
	v_cndmask_b32_e32 v18, v20, v29, vcc_lo
	v_cmp_u_f32_e32 vcc_lo, v7, v7
	v_or_b32_e32 v29, 0x400000, v19
	v_add3_u32 v20, v32, v19, 0x7fff
	v_mul_f32_e32 v8, v25, v8
	v_add_f32_e32 v15, v15, v17
	v_cndmask_b32_e32 v7, v30, v31, vcc_lo
	v_cmp_u_f32_e32 vcc_lo, v19, v19
	v_add_f32_e32 v6, v6, v16
	v_and_b32_e32 v16, 0xffff0000, v1
	v_and_b32_e32 v17, 0xffff0000, v18
	;; [unrolled: 1-line block ×3, first 2 shown]
	v_cndmask_b32_e32 v19, v20, v29, vcc_lo
	v_bfe_u32 v20, v8, 16, 1
	v_add_f32_e32 v6, v6, v15
	v_mul_f32_e32 v15, v21, v16
	v_add_f32_e32 v7, v7, v17
	v_lshlrev_b32_e32 v1, 16, v1
	v_add3_u32 v18, v20, v8, 0x7fff
	v_or_b32_e32 v20, 0x400000, v8
	v_cmp_u_f32_e32 vcc_lo, v8, v8
	v_bfe_u32 v16, v15, 16, 1
	v_add_f32_e32 v6, v7, v6
	v_and_b32_e32 v7, 0xffff0000, v2
	v_mul_f32_e32 v1, v26, v1
	v_cndmask_b32_e32 v8, v18, v20, vcc_lo
	v_add3_u32 v16, v16, v15, 0x7fff
	v_or_b32_e32 v17, 0x400000, v15
	v_mul_f32_e32 v7, v22, v7
	v_and_b32_e32 v18, 0xffff0000, v19
	v_bfe_u32 v19, v1, 16, 1
	v_cmp_u_f32_e32 vcc_lo, v15, v15
	v_lshlrev_b32_e32 v2, 16, v2
	v_or_b32_e32 v20, 0x400000, v1
	v_or_b32_e32 v29, 0x400000, v7
	v_and_b32_e32 v8, 0xffff0000, v8
	v_cndmask_b32_e32 v15, v16, v17, vcc_lo
	v_bfe_u32 v16, v7, 16, 1
	v_add3_u32 v17, v19, v1, 0x7fff
	v_and_b32_e32 v19, 0xffff0000, v3
	v_mul_f32_e32 v2, v27, v2
	v_cmp_u_f32_e32 vcc_lo, v1, v1
	v_add3_u32 v16, v16, v7, 0x7fff
	v_lshlrev_b32_e32 v3, 16, v3
	v_mul_f32_e32 v19, v23, v19
	v_and_b32_e32 v15, 0xffff0000, v15
	v_cndmask_b32_e32 v1, v17, v20, vcc_lo
	v_bfe_u32 v17, v2, 16, 1
	v_cmp_u_f32_e32 vcc_lo, v7, v7
	v_and_b32_e32 v20, 0xffff0000, v4
	v_mul_f32_e32 v3, v28, v3
	v_or_b32_e32 v30, 0x400000, v19
	v_add3_u32 v17, v17, v2, 0x7fff
	v_cndmask_b32_e32 v7, v16, v29, vcc_lo
	v_bfe_u32 v16, v19, 16, 1
	v_or_b32_e32 v29, 0x400000, v2
	v_cmp_u_f32_e32 vcc_lo, v2, v2
	v_mul_f32_e32 v20, v24, v20
	v_lshlrev_b32_e32 v4, 16, v4
	v_add3_u32 v16, v16, v19, 0x7fff
	v_and_b32_e32 v1, 0xffff0000, v1
	v_cndmask_b32_e32 v2, v17, v29, vcc_lo
	v_bfe_u32 v17, v3, 16, 1
	v_cmp_u_f32_e32 vcc_lo, v19, v19
	v_bfe_u32 v29, v20, 16, 1
	v_or_b32_e32 v19, 0x400000, v3
	v_mul_f32_e32 v4, v25, v4
	v_add3_u32 v17, v17, v3, 0x7fff
	v_cndmask_b32_e32 v16, v16, v30, vcc_lo
	v_cmp_u_f32_e32 vcc_lo, v3, v3
	v_add3_u32 v29, v29, v20, 0x7fff
	v_or_b32_e32 v30, 0x400000, v20
	v_and_b32_e32 v2, 0xffff0000, v2
	v_and_b32_e32 v7, 0xffff0000, v7
	v_cndmask_b32_e32 v3, v17, v19, vcc_lo
	v_cmp_u_f32_e32 vcc_lo, v20, v20
	v_bfe_u32 v19, v4, 16, 1
	v_add_f32_e32 v1, v1, v15
	v_add_f32_e32 v2, v2, v7
	v_and_b32_e32 v3, 0xffff0000, v3
	v_cndmask_b32_e32 v17, v29, v30, vcc_lo
	s_waitcnt vmcnt(0)
	v_lshlrev_b32_e32 v29, 16, v9
	v_and_b32_e32 v7, 0xffff0000, v16
	v_and_b32_e32 v9, 0xffff0000, v9
	v_add3_u32 v19, v19, v4, 0x7fff
	v_or_b32_e32 v20, 0x400000, v4
	v_mul_f32_e32 v15, v26, v29
	v_cmp_u_f32_e32 vcc_lo, v4, v4
	v_add_f32_e32 v1, v2, v1
	v_add_f32_e32 v3, v3, v7
	v_mul_f32_e32 v7, v21, v9
	v_bfe_u32 v2, v15, 16, 1
	v_lshlrev_b32_e32 v9, 16, v10
	v_cndmask_b32_e32 v4, v19, v20, vcc_lo
	v_or_b32_e32 v16, 0x400000, v15
	v_bfe_u32 v19, v7, 16, 1
	v_add3_u32 v2, v2, v15, 0x7fff
	v_mul_f32_e32 v9, v27, v9
	v_and_b32_e32 v10, 0xffff0000, v10
	v_cmp_u_f32_e32 vcc_lo, v15, v15
	v_add3_u32 v15, v19, v7, 0x7fff
	v_lshlrev_b32_e32 v20, 16, v11
	v_bfe_u32 v19, v9, 16, 1
	v_mul_f32_e32 v10, v22, v10
	v_cndmask_b32_e32 v2, v2, v16, vcc_lo
	v_or_b32_e32 v16, 0x400000, v7
	v_cmp_u_f32_e32 vcc_lo, v7, v7
	v_mul_f32_e32 v20, v28, v20
	v_and_b32_e32 v11, 0xffff0000, v11
	v_lshlrev_b32_e32 v21, 16, v12
	v_and_b32_e32 v12, 0xffff0000, v12
	v_cndmask_b32_e32 v7, v15, v16, vcc_lo
	v_add3_u32 v15, v19, v9, 0x7fff
	v_or_b32_e32 v16, 0x400000, v9
	v_bfe_u32 v19, v10, 16, 1
	v_cmp_u_f32_e32 vcc_lo, v9, v9
	v_mul_f32_e32 v11, v23, v11
	v_mul_f32_e32 v12, v24, v12
	v_and_b32_e32 v7, 0xffff0000, v7
	v_and_b32_e32 v2, 0xffff0000, v2
	v_cndmask_b32_e32 v9, v15, v16, vcc_lo
	v_add3_u32 v15, v19, v10, 0x7fff
	v_or_b32_e32 v16, 0x400000, v10
	v_bfe_u32 v19, v20, 16, 1
	v_cmp_u_f32_e32 vcc_lo, v10, v10
	v_or_b32_e32 v22, 0x400000, v11
	v_bfe_u32 v24, v12, 16, 1
	v_and_b32_e32 v9, 0xffff0000, v9
	v_add_f32_e32 v2, v2, v7
	v_cndmask_b32_e32 v10, v15, v16, vcc_lo
	v_bfe_u32 v15, v11, 16, 1
	v_add3_u32 v16, v19, v20, 0x7fff
	v_mul_f32_e32 v19, v25, v21
	v_or_b32_e32 v21, 0x400000, v20
	v_cmp_u_f32_e32 vcc_lo, v20, v20
	v_add3_u32 v15, v15, v11, 0x7fff
	v_add3_u32 v20, v24, v12, 0x7fff
	v_bfe_u32 v23, v19, 16, 1
	v_and_b32_e32 v10, 0xffff0000, v10
	v_cndmask_b32_e32 v16, v16, v21, vcc_lo
	v_cmp_u_f32_e32 vcc_lo, v11, v11
	v_or_b32_e32 v21, 0x400000, v12
	v_and_b32_e32 v4, 0xffff0000, v4
	v_add_f32_e32 v7, v9, v10
	v_and_b32_e32 v10, 0xffff0000, v16
	v_cndmask_b32_e32 v11, v15, v22, vcc_lo
	v_cmp_u_f32_e32 vcc_lo, v12, v12
	v_add3_u32 v15, v23, v19, 0x7fff
	v_or_b32_e32 v22, 0x400000, v19
	v_add_f32_e32 v2, v7, v2
	v_and_b32_e32 v9, 0xffff0000, v11
	v_cndmask_b32_e32 v12, v20, v21, vcc_lo
	v_cmp_u_f32_e32 vcc_lo, v19, v19
	v_add_f32_e32 v8, v8, v18
	v_add_f32_e32 v1, v3, v1
	;; [unrolled: 1-line block ×3, first 2 shown]
	v_and_b32_e32 v9, 0xffff0000, v12
	v_cndmask_b32_e32 v11, v15, v22, vcc_lo
	v_and_b32_e32 v15, 0xffff0000, v17
	v_add_f32_e32 v6, v8, v6
	v_add_f32_e32 v2, v7, v2
	v_cmp_le_i32_e32 vcc_lo, s11, v37
	v_and_b32_e32 v10, 0xffff0000, v11
	v_add_f32_e32 v3, v4, v15
	v_add_f32_e32 v49, v49, v5
	;; [unrolled: 1-line block ×3, first 2 shown]
	s_or_b32 s9, vcc_lo, s9
	v_add_f32_e32 v4, v10, v9
	v_add_f32_e32 v1, v3, v1
	;; [unrolled: 1-line block ×5, first 2 shown]
	s_andn2_b32 exec_lo, exec_lo, s9
	s_cbranch_execz .LBB166_47
.LBB166_33:                             ; =>This Inner Loop Header: Depth=1
	global_load_dword v1, v[38:39], off
	v_cmp_eq_u32_e64 s0, s5, v37
	v_add_nc_u32_e32 v63, 1, v55
	v_or_b32_e32 v61, 3, v55
	v_or_b32_e32 v62, 2, v55
	v_or_b32_e32 v60, 5, v55
	v_or_b32_e32 v59, 4, v55
	v_or_b32_e32 v58, 7, v55
	v_or_b32_e32 v57, 6, v55
	s_waitcnt vmcnt(0)
	v_mad_i64_i32 v[1:2], null, v1, s6, 0
	v_lshlrev_b64 v[1:2], 1, v[1:2]
	v_add_co_u32 v9, vcc_lo, v53, v1
	v_add_co_ci_u32_e64 v10, null, v54, v2, vcc_lo
	global_load_dwordx4 v[1:4], v[9:10], off
	ds_read2_b64 v[25:28], v56 offset1:1
	ds_read2_b64 v[21:24], v56 offset0:2 offset1:3
	s_and_saveexec_b32 s13, s0
	s_cbranch_execnz .LBB166_41
; %bb.34:                               ;   in Loop: Header=BB166_33 Depth=1
	s_or_b32 exec_lo, exec_lo, s13
	global_load_dwordx4 v[5:8], v[9:10], off offset:512
	s_and_saveexec_b32 s13, s0
	s_cbranch_execnz .LBB166_42
.LBB166_35:                             ;   in Loop: Header=BB166_33 Depth=1
	s_or_b32 exec_lo, exec_lo, s13
	global_load_dwordx4 v[13:16], v[9:10], off offset:1024
	s_and_saveexec_b32 s13, s0
	s_cbranch_execnz .LBB166_43
.LBB166_36:                             ;   in Loop: Header=BB166_33 Depth=1
	s_or_b32 exec_lo, exec_lo, s13
	global_load_dwordx4 v[17:20], v[9:10], off offset:1536
	s_and_saveexec_b32 s13, s0
	s_cbranch_execz .LBB166_38
.LBB166_37:                             ;   in Loop: Header=BB166_33 Depth=1
	v_cmp_gt_i32_e64 s1, s23, v55
	v_cmp_gt_i32_e32 vcc_lo, s12, v63
	v_cmp_gt_i32_e64 s2, s23, v62
	s_waitcnt vmcnt(0)
	v_cndmask_b32_e64 v11, 0, v17, s1
	v_cmp_gt_i32_e64 s1, s12, v61
	v_cndmask_b32_sdwa v17, v52, v17, vcc_lo dst_sel:DWORD dst_unused:UNUSED_PAD src0_sel:DWORD src1_sel:WORD_1
	v_cndmask_b32_e64 v12, 0, v18, s2
	v_cmp_gt_i32_e64 s2, s12, v60
	s_mov_b32 vcc_lo, s1
	v_cmp_gt_i32_e64 s1, s12, v58
	v_cndmask_b32_sdwa v18, v52, v18, vcc_lo dst_sel:DWORD dst_unused:UNUSED_PAD src0_sel:DWORD src1_sel:WORD_1
	v_cmp_gt_i32_e32 vcc_lo, s23, v59
	v_perm_b32 v17, v17, v11, 0x5040100
	v_perm_b32 v18, v18, v12, 0x5040100
	v_cndmask_b32_e32 v29, 0, v19, vcc_lo
	s_mov_b32 vcc_lo, s2
	v_cndmask_b32_sdwa v19, v52, v19, vcc_lo dst_sel:DWORD dst_unused:UNUSED_PAD src0_sel:DWORD src1_sel:WORD_1
	v_cmp_gt_i32_e32 vcc_lo, s23, v57
	v_perm_b32 v19, v19, v29, 0x5040100
	v_cndmask_b32_e32 v30, 0, v20, vcc_lo
	s_mov_b32 vcc_lo, s1
	v_cndmask_b32_sdwa v20, v52, v20, vcc_lo dst_sel:DWORD dst_unused:UNUSED_PAD src0_sel:DWORD src1_sel:WORD_1
	v_perm_b32 v20, v20, v30, 0x5040100
.LBB166_38:                             ;   in Loop: Header=BB166_33 Depth=1
	s_or_b32 exec_lo, exec_lo, s13
	v_add_co_u32 v9, vcc_lo, 0x800, v9
	v_add_co_ci_u32_e64 v10, null, 0, v10, vcc_lo
	global_load_dwordx4 v[29:32], v[9:10], off
	s_and_saveexec_b32 s13, s0
	s_cbranch_execnz .LBB166_44
; %bb.39:                               ;   in Loop: Header=BB166_33 Depth=1
	s_or_b32 exec_lo, exec_lo, s13
	global_load_dwordx4 v[33:36], v[9:10], off offset:512
	s_and_saveexec_b32 s13, s0
	s_cbranch_execnz .LBB166_45
.LBB166_40:                             ;   in Loop: Header=BB166_33 Depth=1
	s_or_b32 exec_lo, exec_lo, s13
	global_load_dwordx4 v[9:12], v[9:10], off offset:1024
	s_and_saveexec_b32 s2, s0
	s_cbranch_execz .LBB166_32
	s_branch .LBB166_46
.LBB166_41:                             ;   in Loop: Header=BB166_33 Depth=1
	v_cmp_gt_i32_e64 s1, s23, v55
	v_cmp_gt_i32_e32 vcc_lo, s12, v63
	v_cmp_gt_i32_e64 s2, s23, v62
	s_waitcnt vmcnt(0)
	v_cndmask_b32_e64 v5, 0, v1, s1
	v_cmp_gt_i32_e64 s1, s12, v61
	v_cndmask_b32_sdwa v1, v52, v1, vcc_lo dst_sel:DWORD dst_unused:UNUSED_PAD src0_sel:DWORD src1_sel:WORD_1
	v_cndmask_b32_e64 v6, 0, v2, s2
	v_cmp_gt_i32_e64 s2, s12, v60
	s_mov_b32 vcc_lo, s1
	v_cmp_gt_i32_e64 s1, s12, v58
	v_cndmask_b32_sdwa v2, v52, v2, vcc_lo dst_sel:DWORD dst_unused:UNUSED_PAD src0_sel:DWORD src1_sel:WORD_1
	v_cmp_gt_i32_e32 vcc_lo, s23, v59
	v_perm_b32 v1, v1, v5, 0x5040100
	v_perm_b32 v2, v2, v6, 0x5040100
	v_cndmask_b32_e32 v7, 0, v3, vcc_lo
	s_mov_b32 vcc_lo, s2
	v_cndmask_b32_sdwa v3, v52, v3, vcc_lo dst_sel:DWORD dst_unused:UNUSED_PAD src0_sel:DWORD src1_sel:WORD_1
	v_cmp_gt_i32_e32 vcc_lo, s23, v57
	v_perm_b32 v3, v3, v7, 0x5040100
	v_cndmask_b32_e32 v8, 0, v4, vcc_lo
	s_mov_b32 vcc_lo, s1
	v_cndmask_b32_sdwa v4, v52, v4, vcc_lo dst_sel:DWORD dst_unused:UNUSED_PAD src0_sel:DWORD src1_sel:WORD_1
	v_perm_b32 v4, v4, v8, 0x5040100
	s_or_b32 exec_lo, exec_lo, s13
	global_load_dwordx4 v[5:8], v[9:10], off offset:512
	s_and_saveexec_b32 s13, s0
	s_cbranch_execz .LBB166_35
.LBB166_42:                             ;   in Loop: Header=BB166_33 Depth=1
	v_cmp_gt_i32_e64 s1, s23, v55
	v_cmp_gt_i32_e32 vcc_lo, s12, v63
	v_cmp_gt_i32_e64 s2, s23, v62
	s_waitcnt vmcnt(0)
	v_cndmask_b32_e64 v11, 0, v5, s1
	v_cmp_gt_i32_e64 s1, s12, v61
	v_cndmask_b32_sdwa v5, v52, v5, vcc_lo dst_sel:DWORD dst_unused:UNUSED_PAD src0_sel:DWORD src1_sel:WORD_1
	v_cndmask_b32_e64 v12, 0, v6, s2
	v_cmp_gt_i32_e64 s2, s12, v60
	s_mov_b32 vcc_lo, s1
	v_cmp_gt_i32_e64 s1, s12, v58
	v_cndmask_b32_sdwa v6, v52, v6, vcc_lo dst_sel:DWORD dst_unused:UNUSED_PAD src0_sel:DWORD src1_sel:WORD_1
	v_cmp_gt_i32_e32 vcc_lo, s23, v59
	v_perm_b32 v5, v5, v11, 0x5040100
	v_perm_b32 v6, v6, v12, 0x5040100
	v_cndmask_b32_e32 v13, 0, v7, vcc_lo
	s_mov_b32 vcc_lo, s2
	v_cndmask_b32_sdwa v7, v52, v7, vcc_lo dst_sel:DWORD dst_unused:UNUSED_PAD src0_sel:DWORD src1_sel:WORD_1
	v_cmp_gt_i32_e32 vcc_lo, s23, v57
	v_perm_b32 v7, v7, v13, 0x5040100
	v_cndmask_b32_e32 v14, 0, v8, vcc_lo
	s_mov_b32 vcc_lo, s1
	v_cndmask_b32_sdwa v8, v52, v8, vcc_lo dst_sel:DWORD dst_unused:UNUSED_PAD src0_sel:DWORD src1_sel:WORD_1
	v_perm_b32 v8, v8, v14, 0x5040100
	s_or_b32 exec_lo, exec_lo, s13
	global_load_dwordx4 v[13:16], v[9:10], off offset:1024
	s_and_saveexec_b32 s13, s0
	s_cbranch_execz .LBB166_36
.LBB166_43:                             ;   in Loop: Header=BB166_33 Depth=1
	v_cmp_gt_i32_e64 s1, s23, v55
	v_cmp_gt_i32_e32 vcc_lo, s12, v63
	v_cmp_gt_i32_e64 s2, s23, v62
	s_waitcnt vmcnt(0)
	v_cndmask_b32_e64 v11, 0, v13, s1
	v_cmp_gt_i32_e64 s1, s12, v61
	v_cndmask_b32_sdwa v13, v52, v13, vcc_lo dst_sel:DWORD dst_unused:UNUSED_PAD src0_sel:DWORD src1_sel:WORD_1
	v_cndmask_b32_e64 v12, 0, v14, s2
	v_cmp_gt_i32_e64 s2, s12, v60
	s_mov_b32 vcc_lo, s1
	v_cmp_gt_i32_e64 s1, s12, v58
	v_cndmask_b32_sdwa v14, v52, v14, vcc_lo dst_sel:DWORD dst_unused:UNUSED_PAD src0_sel:DWORD src1_sel:WORD_1
	v_cmp_gt_i32_e32 vcc_lo, s23, v59
	v_perm_b32 v13, v13, v11, 0x5040100
	v_perm_b32 v14, v14, v12, 0x5040100
	v_cndmask_b32_e32 v17, 0, v15, vcc_lo
	s_mov_b32 vcc_lo, s2
	v_cndmask_b32_sdwa v15, v52, v15, vcc_lo dst_sel:DWORD dst_unused:UNUSED_PAD src0_sel:DWORD src1_sel:WORD_1
	v_cmp_gt_i32_e32 vcc_lo, s23, v57
	v_perm_b32 v15, v15, v17, 0x5040100
	v_cndmask_b32_e32 v18, 0, v16, vcc_lo
	s_mov_b32 vcc_lo, s1
	v_cndmask_b32_sdwa v16, v52, v16, vcc_lo dst_sel:DWORD dst_unused:UNUSED_PAD src0_sel:DWORD src1_sel:WORD_1
	v_perm_b32 v16, v16, v18, 0x5040100
	s_or_b32 exec_lo, exec_lo, s13
	global_load_dwordx4 v[17:20], v[9:10], off offset:1536
	s_and_saveexec_b32 s13, s0
	s_cbranch_execnz .LBB166_37
	s_branch .LBB166_38
.LBB166_44:                             ;   in Loop: Header=BB166_33 Depth=1
	v_cmp_gt_i32_e64 s1, s23, v55
	v_cmp_gt_i32_e32 vcc_lo, s12, v63
	v_cmp_gt_i32_e64 s2, s23, v62
	s_waitcnt vmcnt(0)
	v_cndmask_b32_e64 v11, 0, v29, s1
	v_cmp_gt_i32_e64 s1, s12, v61
	v_cndmask_b32_sdwa v29, v52, v29, vcc_lo dst_sel:DWORD dst_unused:UNUSED_PAD src0_sel:DWORD src1_sel:WORD_1
	v_cndmask_b32_e64 v12, 0, v30, s2
	v_cmp_gt_i32_e64 s2, s12, v60
	s_mov_b32 vcc_lo, s1
	v_cmp_gt_i32_e64 s1, s12, v58
	v_cndmask_b32_sdwa v30, v52, v30, vcc_lo dst_sel:DWORD dst_unused:UNUSED_PAD src0_sel:DWORD src1_sel:WORD_1
	v_cmp_gt_i32_e32 vcc_lo, s23, v59
	v_perm_b32 v29, v29, v11, 0x5040100
	v_perm_b32 v30, v30, v12, 0x5040100
	v_cndmask_b32_e32 v33, 0, v31, vcc_lo
	s_mov_b32 vcc_lo, s2
	v_cndmask_b32_sdwa v31, v52, v31, vcc_lo dst_sel:DWORD dst_unused:UNUSED_PAD src0_sel:DWORD src1_sel:WORD_1
	v_cmp_gt_i32_e32 vcc_lo, s23, v57
	v_perm_b32 v31, v31, v33, 0x5040100
	v_cndmask_b32_e32 v34, 0, v32, vcc_lo
	s_mov_b32 vcc_lo, s1
	v_cndmask_b32_sdwa v32, v52, v32, vcc_lo dst_sel:DWORD dst_unused:UNUSED_PAD src0_sel:DWORD src1_sel:WORD_1
	v_perm_b32 v32, v32, v34, 0x5040100
	s_or_b32 exec_lo, exec_lo, s13
	global_load_dwordx4 v[33:36], v[9:10], off offset:512
	s_and_saveexec_b32 s13, s0
	s_cbranch_execz .LBB166_40
.LBB166_45:                             ;   in Loop: Header=BB166_33 Depth=1
	v_cmp_gt_i32_e64 s1, s23, v55
	v_cmp_gt_i32_e32 vcc_lo, s12, v63
	v_cmp_gt_i32_e64 s2, s23, v62
	s_waitcnt vmcnt(0)
	v_cndmask_b32_e64 v11, 0, v33, s1
	v_cmp_gt_i32_e64 s1, s12, v61
	v_cndmask_b32_sdwa v33, v52, v33, vcc_lo dst_sel:DWORD dst_unused:UNUSED_PAD src0_sel:DWORD src1_sel:WORD_1
	v_cndmask_b32_e64 v12, 0, v34, s2
	v_cmp_gt_i32_e64 s2, s12, v60
	s_mov_b32 vcc_lo, s1
	v_cmp_gt_i32_e64 s1, s12, v58
	v_cndmask_b32_sdwa v34, v52, v34, vcc_lo dst_sel:DWORD dst_unused:UNUSED_PAD src0_sel:DWORD src1_sel:WORD_1
	v_cmp_gt_i32_e32 vcc_lo, s23, v59
	v_perm_b32 v33, v33, v11, 0x5040100
	v_perm_b32 v34, v34, v12, 0x5040100
	v_cndmask_b32_e32 v64, 0, v35, vcc_lo
	s_mov_b32 vcc_lo, s2
	v_cndmask_b32_sdwa v35, v52, v35, vcc_lo dst_sel:DWORD dst_unused:UNUSED_PAD src0_sel:DWORD src1_sel:WORD_1
	v_cmp_gt_i32_e32 vcc_lo, s23, v57
	v_perm_b32 v35, v35, v64, 0x5040100
	v_cndmask_b32_e32 v65, 0, v36, vcc_lo
	s_mov_b32 vcc_lo, s1
	v_cndmask_b32_sdwa v36, v52, v36, vcc_lo dst_sel:DWORD dst_unused:UNUSED_PAD src0_sel:DWORD src1_sel:WORD_1
	v_perm_b32 v36, v36, v65, 0x5040100
	s_or_b32 exec_lo, exec_lo, s13
	global_load_dwordx4 v[9:12], v[9:10], off offset:1024
	s_and_saveexec_b32 s2, s0
	s_cbranch_execz .LBB166_32
.LBB166_46:                             ;   in Loop: Header=BB166_33 Depth=1
	v_cmp_gt_i32_e64 s0, s23, v55
	v_cmp_gt_i32_e32 vcc_lo, s12, v63
	v_cmp_gt_i32_e64 s1, s23, v62
	s_waitcnt vmcnt(0)
	v_cndmask_b32_e64 v63, 0, v9, s0
	v_cmp_gt_i32_e64 s0, s12, v61
	v_cndmask_b32_sdwa v9, v52, v9, vcc_lo dst_sel:DWORD dst_unused:UNUSED_PAD src0_sel:DWORD src1_sel:WORD_1
	v_cndmask_b32_e64 v61, 0, v10, s1
	v_cmp_gt_i32_e64 s1, s12, v60
	s_mov_b32 vcc_lo, s0
	v_cmp_gt_i32_e64 s0, s12, v58
	v_cndmask_b32_sdwa v10, v52, v10, vcc_lo dst_sel:DWORD dst_unused:UNUSED_PAD src0_sel:DWORD src1_sel:WORD_1
	v_cmp_gt_i32_e32 vcc_lo, s23, v59
	v_perm_b32 v9, v9, v63, 0x5040100
	v_perm_b32 v10, v10, v61, 0x5040100
	v_cndmask_b32_e32 v59, 0, v11, vcc_lo
	s_mov_b32 vcc_lo, s1
	v_cndmask_b32_sdwa v11, v52, v11, vcc_lo dst_sel:DWORD dst_unused:UNUSED_PAD src0_sel:DWORD src1_sel:WORD_1
	v_cmp_gt_i32_e32 vcc_lo, s23, v57
	v_perm_b32 v11, v11, v59, 0x5040100
	v_cndmask_b32_e32 v57, 0, v12, vcc_lo
	s_mov_b32 vcc_lo, s0
	v_cndmask_b32_sdwa v12, v52, v12, vcc_lo dst_sel:DWORD dst_unused:UNUSED_PAD src0_sel:DWORD src1_sel:WORD_1
	v_perm_b32 v12, v12, v57, 0x5040100
	s_branch .LBB166_32
.LBB166_47:
	s_or_b32 exec_lo, exec_lo, s9
.LBB166_48:
	s_or_b32 exec_lo, exec_lo, s3
	ds_bpermute_b32 v1, v44, v50
	ds_bpermute_b32 v2, v44, v51
	;; [unrolled: 1-line block ×7, first 2 shown]
	v_lshrrev_b32_e32 v8, 1, v43
	v_mul_u32_u24_e32 v10, 0x1c0, v42
	v_and_b32_e32 v14, 0x3c1, v0
	s_mov_b32 s0, exec_lo
	s_waitcnt lgkmcnt(0)
	s_waitcnt_vscnt null, 0x0
	v_lshl_add_u32 v9, v8, 2, 0x100
	s_barrier
	buffer_gl0_inv
	v_add_f32_e32 v7, v50, v1
	v_add_f32_e32 v6, v51, v2
	;; [unrolled: 1-line block ×7, first 2 shown]
	v_cmpx_eq_u32_e32 64, v14
	s_cbranch_execz .LBB166_50
; %bb.49:
	v_add_nc_u32_e32 v11, v9, v10
	v_add_nc_u32_e32 v12, 0xfffffc80, v11
	;; [unrolled: 1-line block ×8, first 2 shown]
	ds_write_b32 v12, v7
	ds_write_b32 v13, v6
	;; [unrolled: 1-line block ×7, first 2 shown]
.LBB166_50:
	s_or_b32 exec_lo, exec_lo, s0
	v_lshlrev_b32_e32 v8, 2, v8
	s_mov_b32 s1, exec_lo
	v_cmp_eq_u32_e32 vcc_lo, 0, v41
	s_waitcnt lgkmcnt(0)
	s_barrier
	v_add3_u32 v8, 0x100, v10, v8
	buffer_gl0_inv
	v_cmpx_gt_u32_e32 64, v0
	s_cbranch_execz .LBB166_60
; %bb.51:
	s_and_saveexec_b32 s0, vcc_lo
	s_cbranch_execnz .LBB166_75
; %bb.52:
	s_or_b32 exec_lo, exec_lo, s0
	s_and_saveexec_b32 s0, vcc_lo
	s_cbranch_execnz .LBB166_76
.LBB166_53:
	s_or_b32 exec_lo, exec_lo, s0
	s_and_saveexec_b32 s0, vcc_lo
	s_cbranch_execnz .LBB166_77
.LBB166_54:
	s_or_b32 exec_lo, exec_lo, s0
	s_and_saveexec_b32 s0, vcc_lo
	s_cbranch_execnz .LBB166_78
.LBB166_55:
	s_or_b32 exec_lo, exec_lo, s0
	s_and_saveexec_b32 s0, vcc_lo
	s_cbranch_execnz .LBB166_79
.LBB166_56:
	s_or_b32 exec_lo, exec_lo, s0
	s_and_saveexec_b32 s0, vcc_lo
	s_cbranch_execnz .LBB166_80
.LBB166_57:
	s_or_b32 exec_lo, exec_lo, s0
	s_and_saveexec_b32 s0, vcc_lo
	s_cbranch_execz .LBB166_59
.LBB166_58:
	ds_read_b32 v10, v8 offset:384
	s_waitcnt lgkmcnt(0)
	v_add_f32_e32 v1, v1, v10
.LBB166_59:
	s_or_b32 exec_lo, exec_lo, s0
.LBB166_60:
	s_or_b32 exec_lo, exec_lo, s1
	v_and_b32_e32 v10, 0x3e1, v0
	s_mov_b32 s1, exec_lo
	s_barrier
	buffer_gl0_inv
	v_cmpx_eq_u32_e32 32, v10
	s_cbranch_execz .LBB166_62
; %bb.61:
	ds_write2_b32 v9, v7, v6 offset1:16
	ds_write2_b32 v9, v5, v4 offset0:32 offset1:48
	ds_write2_b32 v9, v3, v2 offset0:64 offset1:80
	ds_write_b32 v9, v1 offset:384
.LBB166_62:
	s_or_b32 exec_lo, exec_lo, s1
	s_mov_b32 s1, exec_lo
	s_waitcnt lgkmcnt(0)
	s_barrier
	buffer_gl0_inv
	v_cmpx_gt_u32_e32 32, v0
	s_cbranch_execz .LBB166_72
; %bb.63:
	s_and_saveexec_b32 s0, vcc_lo
	s_cbranch_execnz .LBB166_81
; %bb.64:
	s_or_b32 exec_lo, exec_lo, s0
	s_and_saveexec_b32 s0, vcc_lo
	s_cbranch_execnz .LBB166_82
.LBB166_65:
	s_or_b32 exec_lo, exec_lo, s0
	s_and_saveexec_b32 s0, vcc_lo
	s_cbranch_execnz .LBB166_83
.LBB166_66:
	s_or_b32 exec_lo, exec_lo, s0
	s_and_saveexec_b32 s0, vcc_lo
	s_cbranch_execnz .LBB166_84
.LBB166_67:
	s_or_b32 exec_lo, exec_lo, s0
	s_and_saveexec_b32 s0, vcc_lo
	s_cbranch_execnz .LBB166_85
.LBB166_68:
	s_or_b32 exec_lo, exec_lo, s0
	s_and_saveexec_b32 s0, vcc_lo
	s_cbranch_execnz .LBB166_86
.LBB166_69:
	s_or_b32 exec_lo, exec_lo, s0
	s_and_saveexec_b32 s0, vcc_lo
	s_cbranch_execz .LBB166_71
.LBB166_70:
	ds_read_b32 v0, v8 offset:384
	s_waitcnt lgkmcnt(0)
	v_add_f32_e32 v1, v1, v0
.LBB166_71:
	s_or_b32 exec_lo, exec_lo, s0
.LBB166_72:
	s_or_b32 exec_lo, exec_lo, s1
	s_barrier
	buffer_gl0_inv
	s_mov_b32 s0, exec_lo
	v_cmpx_eq_u32_e32 0, v10
	s_cbranch_execz .LBB166_74
; %bb.73:
	s_mul_i32 s0, s4, 0x70
	v_bfe_u32 v0, v7, 16, 1
	s_ashr_i32 s1, s0, 31
	s_mul_i32 s2, s7, s10
	s_lshl_b64 s[0:1], s[0:1], 1
	v_bfe_u32 v8, v6, 16, 1
	s_add_u32 s4, s20, s0
	s_addc_u32 s1, s21, s1
	s_ashr_i32 s3, s2, 31
	v_add3_u32 v0, v0, v7, 0x7fff
	s_lshl_b64 s[2:3], s[2:3], 1
	v_or_b32_e32 v9, 0x400000, v7
	v_cmp_u_f32_e32 vcc_lo, v7, v7
	s_mul_i32 s0, s8, 0x70
	s_add_u32 s2, s4, s2
	s_addc_u32 s3, s1, s3
	s_ashr_i32 s1, s0, 31
	v_lshlrev_b32_e32 v10, 1, v40
	s_lshl_b64 s[0:1], s[0:1], 1
	v_add3_u32 v8, v8, v6, 0x7fff
	v_or_b32_e32 v11, 0x400000, v6
	v_cndmask_b32_e32 v0, v0, v9, vcc_lo
	v_bfe_u32 v7, v5, 16, 1
	v_cmp_u_f32_e32 vcc_lo, v6, v6
	s_add_u32 s0, s2, s0
	s_addc_u32 s1, s3, s1
	v_or_b32_e32 v9, 0x400000, v2
	global_store_short_d16_hi v10, v0, s[0:1]
	v_cndmask_b32_e32 v6, v8, v11, vcc_lo
	v_bfe_u32 v8, v4, 16, 1
	v_add3_u32 v0, v7, v5, 0x7fff
	v_or_b32_e32 v7, 0x400000, v5
	v_cmp_u_f32_e32 vcc_lo, v5, v5
	global_store_short_d16_hi v10, v6, s[0:1] offset:32
	v_add3_u32 v6, v8, v4, 0x7fff
	v_or_b32_e32 v8, 0x400000, v4
	v_bfe_u32 v5, v3, 16, 1
	v_cndmask_b32_e32 v0, v0, v7, vcc_lo
	v_cmp_u_f32_e32 vcc_lo, v4, v4
	v_bfe_u32 v7, v2, 16, 1
	v_or_b32_e32 v11, 0x400000, v1
	v_add3_u32 v5, v5, v3, 0x7fff
	v_cndmask_b32_e32 v4, v6, v8, vcc_lo
	v_or_b32_e32 v8, 0x400000, v3
	v_cmp_u_f32_e32 vcc_lo, v3, v3
	v_bfe_u32 v6, v1, 16, 1
	v_add3_u32 v7, v7, v2, 0x7fff
	v_cndmask_b32_e32 v3, v5, v8, vcc_lo
	v_cmp_u_f32_e32 vcc_lo, v2, v2
	v_add3_u32 v6, v6, v1, 0x7fff
	v_cndmask_b32_e32 v2, v7, v9, vcc_lo
	v_cmp_u_f32_e32 vcc_lo, v1, v1
	v_cndmask_b32_e32 v1, v6, v11, vcc_lo
	global_store_short_d16_hi v10, v0, s[0:1] offset:64
	global_store_short_d16_hi v10, v4, s[0:1] offset:96
	;; [unrolled: 1-line block ×5, first 2 shown]
.LBB166_74:
	s_endpgm
.LBB166_75:
	ds_read_b32 v10, v8
	s_waitcnt lgkmcnt(0)
	v_add_f32_e32 v7, v7, v10
	s_or_b32 exec_lo, exec_lo, s0
	s_and_saveexec_b32 s0, vcc_lo
	s_cbranch_execz .LBB166_53
.LBB166_76:
	ds_read_b32 v10, v8 offset:64
	s_waitcnt lgkmcnt(0)
	v_add_f32_e32 v6, v6, v10
	s_or_b32 exec_lo, exec_lo, s0
	s_and_saveexec_b32 s0, vcc_lo
	s_cbranch_execz .LBB166_54
.LBB166_77:
	ds_read_b32 v10, v8 offset:128
	s_waitcnt lgkmcnt(0)
	v_add_f32_e32 v5, v5, v10
	s_or_b32 exec_lo, exec_lo, s0
	s_and_saveexec_b32 s0, vcc_lo
	s_cbranch_execz .LBB166_55
.LBB166_78:
	ds_read_b32 v10, v8 offset:192
	s_waitcnt lgkmcnt(0)
	v_add_f32_e32 v4, v4, v10
	s_or_b32 exec_lo, exec_lo, s0
	s_and_saveexec_b32 s0, vcc_lo
	s_cbranch_execz .LBB166_56
.LBB166_79:
	ds_read_b32 v10, v8 offset:256
	s_waitcnt lgkmcnt(0)
	v_add_f32_e32 v3, v3, v10
	s_or_b32 exec_lo, exec_lo, s0
	s_and_saveexec_b32 s0, vcc_lo
	s_cbranch_execz .LBB166_57
.LBB166_80:
	ds_read_b32 v10, v8 offset:320
	s_waitcnt lgkmcnt(0)
	v_add_f32_e32 v2, v2, v10
	s_or_b32 exec_lo, exec_lo, s0
	s_and_saveexec_b32 s0, vcc_lo
	s_cbranch_execnz .LBB166_58
	s_branch .LBB166_59
.LBB166_81:
	ds_read_b32 v0, v8
	s_waitcnt lgkmcnt(0)
	v_add_f32_e32 v7, v7, v0
	s_or_b32 exec_lo, exec_lo, s0
	s_and_saveexec_b32 s0, vcc_lo
	s_cbranch_execz .LBB166_65
.LBB166_82:
	ds_read_b32 v0, v8 offset:64
	s_waitcnt lgkmcnt(0)
	v_add_f32_e32 v6, v6, v0
	s_or_b32 exec_lo, exec_lo, s0
	s_and_saveexec_b32 s0, vcc_lo
	s_cbranch_execz .LBB166_66
.LBB166_83:
	ds_read_b32 v0, v8 offset:128
	s_waitcnt lgkmcnt(0)
	v_add_f32_e32 v5, v5, v0
	s_or_b32 exec_lo, exec_lo, s0
	s_and_saveexec_b32 s0, vcc_lo
	s_cbranch_execz .LBB166_67
.LBB166_84:
	ds_read_b32 v0, v8 offset:192
	s_waitcnt lgkmcnt(0)
	v_add_f32_e32 v4, v4, v0
	s_or_b32 exec_lo, exec_lo, s0
	s_and_saveexec_b32 s0, vcc_lo
	s_cbranch_execz .LBB166_68
.LBB166_85:
	ds_read_b32 v0, v8 offset:256
	s_waitcnt lgkmcnt(0)
	v_add_f32_e32 v3, v3, v0
	s_or_b32 exec_lo, exec_lo, s0
	s_and_saveexec_b32 s0, vcc_lo
	s_cbranch_execz .LBB166_69
.LBB166_86:
	ds_read_b32 v0, v8 offset:320
	s_waitcnt lgkmcnt(0)
	v_add_f32_e32 v2, v2, v0
	s_or_b32 exec_lo, exec_lo, s0
	s_and_saveexec_b32 s0, vcc_lo
	s_cbranch_execnz .LBB166_70
	s_branch .LBB166_71
	.section	.rodata,"a",@progbits
	.p2align	6, 0x0
	.amdhsa_kernel _ZN4vllm25paged_attention_v2_kernelI14__hip_bfloat16S1_Li112ELi16ELi128ELNS_18Fp8KVCacheDataTypeE0ELb0ELi512EEEvPfS3_PT_PKS4_PKT0_SA_ifPKiSC_iPKfiiiSE_SE_iiiii
		.amdhsa_group_segment_fixed_size 256
		.amdhsa_private_segment_fixed_size 0
		.amdhsa_kernarg_size 400
		.amdhsa_user_sgpr_count 6
		.amdhsa_user_sgpr_private_segment_buffer 1
		.amdhsa_user_sgpr_dispatch_ptr 0
		.amdhsa_user_sgpr_queue_ptr 0
		.amdhsa_user_sgpr_kernarg_segment_ptr 1
		.amdhsa_user_sgpr_dispatch_id 0
		.amdhsa_user_sgpr_flat_scratch_init 0
		.amdhsa_user_sgpr_private_segment_size 0
		.amdhsa_wavefront_size32 1
		.amdhsa_uses_dynamic_stack 0
		.amdhsa_system_sgpr_private_segment_wavefront_offset 0
		.amdhsa_system_sgpr_workgroup_id_x 1
		.amdhsa_system_sgpr_workgroup_id_y 1
		.amdhsa_system_sgpr_workgroup_id_z 1
		.amdhsa_system_sgpr_workgroup_info 0
		.amdhsa_system_vgpr_workitem_id 0
		.amdhsa_next_free_vgpr 127
		.amdhsa_next_free_sgpr 36
		.amdhsa_reserve_vcc 1
		.amdhsa_reserve_flat_scratch 0
		.amdhsa_float_round_mode_32 0
		.amdhsa_float_round_mode_16_64 0
		.amdhsa_float_denorm_mode_32 3
		.amdhsa_float_denorm_mode_16_64 3
		.amdhsa_dx10_clamp 1
		.amdhsa_ieee_mode 1
		.amdhsa_fp16_overflow 0
		.amdhsa_workgroup_processor_mode 1
		.amdhsa_memory_ordered 1
		.amdhsa_forward_progress 1
		.amdhsa_shared_vgpr_count 0
		.amdhsa_exception_fp_ieee_invalid_op 0
		.amdhsa_exception_fp_denorm_src 0
		.amdhsa_exception_fp_ieee_div_zero 0
		.amdhsa_exception_fp_ieee_overflow 0
		.amdhsa_exception_fp_ieee_underflow 0
		.amdhsa_exception_fp_ieee_inexact 0
		.amdhsa_exception_int_div_zero 0
	.end_amdhsa_kernel
	.section	.text._ZN4vllm25paged_attention_v2_kernelI14__hip_bfloat16S1_Li112ELi16ELi128ELNS_18Fp8KVCacheDataTypeE0ELb0ELi512EEEvPfS3_PT_PKS4_PKT0_SA_ifPKiSC_iPKfiiiSE_SE_iiiii,"axG",@progbits,_ZN4vllm25paged_attention_v2_kernelI14__hip_bfloat16S1_Li112ELi16ELi128ELNS_18Fp8KVCacheDataTypeE0ELb0ELi512EEEvPfS3_PT_PKS4_PKT0_SA_ifPKiSC_iPKfiiiSE_SE_iiiii,comdat
.Lfunc_end166:
	.size	_ZN4vllm25paged_attention_v2_kernelI14__hip_bfloat16S1_Li112ELi16ELi128ELNS_18Fp8KVCacheDataTypeE0ELb0ELi512EEEvPfS3_PT_PKS4_PKT0_SA_ifPKiSC_iPKfiiiSE_SE_iiiii, .Lfunc_end166-_ZN4vllm25paged_attention_v2_kernelI14__hip_bfloat16S1_Li112ELi16ELi128ELNS_18Fp8KVCacheDataTypeE0ELb0ELi512EEEvPfS3_PT_PKS4_PKT0_SA_ifPKiSC_iPKfiiiSE_SE_iiiii
                                        ; -- End function
	.set _ZN4vllm25paged_attention_v2_kernelI14__hip_bfloat16S1_Li112ELi16ELi128ELNS_18Fp8KVCacheDataTypeE0ELb0ELi512EEEvPfS3_PT_PKS4_PKT0_SA_ifPKiSC_iPKfiiiSE_SE_iiiii.num_vgpr, 127
	.set _ZN4vllm25paged_attention_v2_kernelI14__hip_bfloat16S1_Li112ELi16ELi128ELNS_18Fp8KVCacheDataTypeE0ELb0ELi512EEEvPfS3_PT_PKS4_PKT0_SA_ifPKiSC_iPKfiiiSE_SE_iiiii.num_agpr, 0
	.set _ZN4vllm25paged_attention_v2_kernelI14__hip_bfloat16S1_Li112ELi16ELi128ELNS_18Fp8KVCacheDataTypeE0ELb0ELi512EEEvPfS3_PT_PKS4_PKT0_SA_ifPKiSC_iPKfiiiSE_SE_iiiii.numbered_sgpr, 36
	.set _ZN4vllm25paged_attention_v2_kernelI14__hip_bfloat16S1_Li112ELi16ELi128ELNS_18Fp8KVCacheDataTypeE0ELb0ELi512EEEvPfS3_PT_PKS4_PKT0_SA_ifPKiSC_iPKfiiiSE_SE_iiiii.num_named_barrier, 0
	.set _ZN4vllm25paged_attention_v2_kernelI14__hip_bfloat16S1_Li112ELi16ELi128ELNS_18Fp8KVCacheDataTypeE0ELb0ELi512EEEvPfS3_PT_PKS4_PKT0_SA_ifPKiSC_iPKfiiiSE_SE_iiiii.private_seg_size, 0
	.set _ZN4vllm25paged_attention_v2_kernelI14__hip_bfloat16S1_Li112ELi16ELi128ELNS_18Fp8KVCacheDataTypeE0ELb0ELi512EEEvPfS3_PT_PKS4_PKT0_SA_ifPKiSC_iPKfiiiSE_SE_iiiii.uses_vcc, 1
	.set _ZN4vllm25paged_attention_v2_kernelI14__hip_bfloat16S1_Li112ELi16ELi128ELNS_18Fp8KVCacheDataTypeE0ELb0ELi512EEEvPfS3_PT_PKS4_PKT0_SA_ifPKiSC_iPKfiiiSE_SE_iiiii.uses_flat_scratch, 0
	.set _ZN4vllm25paged_attention_v2_kernelI14__hip_bfloat16S1_Li112ELi16ELi128ELNS_18Fp8KVCacheDataTypeE0ELb0ELi512EEEvPfS3_PT_PKS4_PKT0_SA_ifPKiSC_iPKfiiiSE_SE_iiiii.has_dyn_sized_stack, 0
	.set _ZN4vllm25paged_attention_v2_kernelI14__hip_bfloat16S1_Li112ELi16ELi128ELNS_18Fp8KVCacheDataTypeE0ELb0ELi512EEEvPfS3_PT_PKS4_PKT0_SA_ifPKiSC_iPKfiiiSE_SE_iiiii.has_recursion, 0
	.set _ZN4vllm25paged_attention_v2_kernelI14__hip_bfloat16S1_Li112ELi16ELi128ELNS_18Fp8KVCacheDataTypeE0ELb0ELi512EEEvPfS3_PT_PKS4_PKT0_SA_ifPKiSC_iPKfiiiSE_SE_iiiii.has_indirect_call, 0
	.section	.AMDGPU.csdata,"",@progbits
; Kernel info:
; codeLenInByte = 10068
; TotalNumSgprs: 38
; NumVgprs: 127
; ScratchSize: 0
; MemoryBound: 0
; FloatMode: 240
; IeeeMode: 1
; LDSByteSize: 256 bytes/workgroup (compile time only)
; SGPRBlocks: 0
; VGPRBlocks: 15
; NumSGPRsForWavesPerEU: 38
; NumVGPRsForWavesPerEU: 127
; Occupancy: 8
; WaveLimiterHint : 1
; COMPUTE_PGM_RSRC2:SCRATCH_EN: 0
; COMPUTE_PGM_RSRC2:USER_SGPR: 6
; COMPUTE_PGM_RSRC2:TRAP_HANDLER: 0
; COMPUTE_PGM_RSRC2:TGID_X_EN: 1
; COMPUTE_PGM_RSRC2:TGID_Y_EN: 1
; COMPUTE_PGM_RSRC2:TGID_Z_EN: 1
; COMPUTE_PGM_RSRC2:TIDIG_COMP_CNT: 0
	.section	.text._ZN4vllm25paged_attention_v2_kernelI14__hip_bfloat16S1_Li120ELi16ELi128ELNS_18Fp8KVCacheDataTypeE0ELb0ELi512EEEvPfS3_PT_PKS4_PKT0_SA_ifPKiSC_iPKfiiiSE_SE_iiiii,"axG",@progbits,_ZN4vllm25paged_attention_v2_kernelI14__hip_bfloat16S1_Li120ELi16ELi128ELNS_18Fp8KVCacheDataTypeE0ELb0ELi512EEEvPfS3_PT_PKS4_PKT0_SA_ifPKiSC_iPKfiiiSE_SE_iiiii,comdat
	.protected	_ZN4vllm25paged_attention_v2_kernelI14__hip_bfloat16S1_Li120ELi16ELi128ELNS_18Fp8KVCacheDataTypeE0ELb0ELi512EEEvPfS3_PT_PKS4_PKT0_SA_ifPKiSC_iPKfiiiSE_SE_iiiii ; -- Begin function _ZN4vllm25paged_attention_v2_kernelI14__hip_bfloat16S1_Li120ELi16ELi128ELNS_18Fp8KVCacheDataTypeE0ELb0ELi512EEEvPfS3_PT_PKS4_PKT0_SA_ifPKiSC_iPKfiiiSE_SE_iiiii
	.globl	_ZN4vllm25paged_attention_v2_kernelI14__hip_bfloat16S1_Li120ELi16ELi128ELNS_18Fp8KVCacheDataTypeE0ELb0ELi512EEEvPfS3_PT_PKS4_PKT0_SA_ifPKiSC_iPKfiiiSE_SE_iiiii
	.p2align	8
	.type	_ZN4vllm25paged_attention_v2_kernelI14__hip_bfloat16S1_Li120ELi16ELi128ELNS_18Fp8KVCacheDataTypeE0ELb0ELi512EEEvPfS3_PT_PKS4_PKT0_SA_ifPKiSC_iPKfiiiSE_SE_iiiii,@function
_ZN4vllm25paged_attention_v2_kernelI14__hip_bfloat16S1_Li120ELi16ELi128ELNS_18Fp8KVCacheDataTypeE0ELb0ELi512EEEvPfS3_PT_PKS4_PKT0_SA_ifPKiSC_iPKfiiiSE_SE_iiiii: ; @_ZN4vllm25paged_attention_v2_kernelI14__hip_bfloat16S1_Li120ELi16ELi128ELNS_18Fp8KVCacheDataTypeE0ELb0ELi512EEEvPfS3_PT_PKS4_PKT0_SA_ifPKiSC_iPKfiiiSE_SE_iiiii
; %bb.0:
	s_load_dwordx2 s[0:1], s[4:5], 0x40
	s_mov_b32 s22, s7
	s_ashr_i32 s23, s7, 31
	s_lshl_b64 s[2:3], s[22:23], 2
	s_waitcnt lgkmcnt(0)
	s_add_u32 s0, s0, s2
	s_addc_u32 s1, s1, s3
	s_lshl_b32 s33, s8, 9
	s_load_dword s23, s[0:1], 0x0
	s_waitcnt lgkmcnt(0)
	s_cmp_ge_i32 s33, s23
	s_cbranch_scc1 .LBB167_105
; %bb.1:
	s_clause 0x1
	s_load_dword s9, s[4:5], 0x90
	s_load_dwordx2 s[30:31], s[4:5], 0x30
	s_mov_b32 s34, 0
	s_waitcnt lgkmcnt(0)
	s_abs_i32 s3, s9
	s_abs_i32 s0, s30
	v_cvt_f32_u32_e32 v1, s0
	s_sub_i32 s2, 0, s0
	v_rcp_iflag_f32_e32 v1, v1
	v_mul_f32_e32 v1, 0x4f7ffffe, v1
	v_cvt_u32_f32_e32 v1, v1
	v_readfirstlane_b32 s1, v1
	s_mul_i32 s2, s2, s1
	s_mul_hi_u32 s2, s1, s2
	s_add_i32 s1, s1, s2
	s_xor_b32 s2, s9, s30
	s_mul_hi_u32 s1, s3, s1
	s_ashr_i32 s2, s2, 31
	s_mul_i32 s7, s1, s0
	s_sub_i32 s3, s3, s7
	s_add_i32 s7, s1, 1
	s_sub_i32 s10, s3, s0
	s_cmp_ge_u32 s3, s0
	s_cselect_b32 s1, s7, s1
	s_cselect_b32 s3, s10, s3
	s_add_i32 s7, s1, 1
	s_cmp_ge_u32 s3, s0
	s_cselect_b32 s0, s7, s1
	s_abs_i32 s16, s6
	s_xor_b32 s0, s0, s2
	s_sub_i32 s10, s0, s2
	s_load_dwordx2 s[0:1], s[4:5], 0x50
	s_abs_i32 s2, s10
	v_cvt_f32_u32_e32 v1, s2
	s_sub_i32 s7, 0, s2
	v_rcp_iflag_f32_e32 v1, v1
	v_mul_f32_e32 v1, 0x4f7ffffe, v1
	v_cvt_u32_f32_e32 v1, v1
	v_readfirstlane_b32 s3, v1
	s_mul_i32 s7, s7, s3
	s_mul_hi_u32 s7, s3, s7
	s_add_i32 s3, s3, s7
	s_waitcnt lgkmcnt(0)
	s_cmp_eq_u64 s[0:1], 0
	s_mul_hi_u32 s3, s16, s3
	s_cbranch_scc1 .LBB167_3
; %bb.2:
	s_ashr_i32 s7, s6, 31
	s_lshl_b64 s[12:13], s[6:7], 2
	s_add_u32 s0, s0, s12
	s_addc_u32 s1, s1, s13
	s_load_dword s34, s[0:1], 0x0
.LBB167_3:
	s_load_dwordx4 s[12:15], s[4:5], 0x58
	v_lshrrev_b32_e32 v40, 1, v0
	v_and_b32_e32 v41, 1, v0
	v_lshlrev_b32_e32 v5, 3, v0
	s_ashr_i32 s0, s6, 31
	s_ashr_i32 s1, s10, 31
	s_mul_i32 s10, s6, 0x78
	s_mov_b32 s7, exec_lo
	v_cmpx_gt_u32_e32 30, v0
	s_cbranch_execz .LBB167_5
; %bb.4:
	s_load_dwordx2 s[18:19], s[4:5], 0x18
	s_waitcnt lgkmcnt(0)
	s_mul_i32 s20, s12, s22
	v_lshlrev_b32_e32 v3, 3, v40
	s_ashr_i32 s21, s20, 31
	s_lshl_b64 s[20:21], s[20:21], 1
	v_mad_u32_u24 v3, 0x78, v41, v3
	s_add_u32 s12, s18, s20
	s_addc_u32 s15, s19, s21
	s_ashr_i32 s11, s10, 31
	s_lshl_b64 s[18:19], s[10:11], 1
	s_add_u32 s18, s12, s18
	s_addc_u32 s19, s15, s19
	global_load_dwordx2 v[1:2], v5, s[18:19]
	s_waitcnt vmcnt(0)
	ds_write_b64 v3, v[1:2]
.LBB167_5:
	s_or_b32 exec_lo, exec_lo, s7
	s_add_i32 s7, s23, 15
	s_lshl_b32 s30, s8, 5
	s_ashr_i32 s11, s7, 31
	s_waitcnt lgkmcnt(0)
	s_mul_i32 s15, s3, s2
	s_lshr_b32 s11, s11, 28
	s_xor_b32 s0, s0, s1
	s_add_i32 s7, s7, s11
	s_add_i32 s11, s30, 32
	s_ashr_i32 s12, s7, 4
	s_clause 0x1
	s_load_dwordx2 s[24:25], s[4:5], 0x38
	s_load_dword s7, s[4:5], 0x48
	s_sub_i32 s1, s16, s15
	s_min_i32 s11, s11, s12
	s_add_i32 s15, s3, 1
	s_sub_i32 s16, s1, s2
	s_cmp_ge_u32 s1, s2
	v_lshrrev_b32_e32 v42, 5, v0
	s_cselect_b32 s3, s15, s3
	s_cselect_b32 s1, s16, s1
	s_add_i32 s15, s3, 1
	s_cmp_ge_u32 s1, s2
	v_or_b32_e32 v37, s30, v42
	s_cselect_b32 s1, s15, s3
	v_mbcnt_lo_u32_b32 v7, -1, 0
	s_xor_b32 s1, s1, s0
	s_waitcnt lgkmcnt(0)
	s_sub_i32 s1, s1, s0
	v_cmp_le_i32_e64 s0, s11, v37
	s_barrier
	buffer_gl0_inv
	s_mul_i32 s26, s7, s22
                                        ; implicit-def: $vgpr29
                                        ; implicit-def: $vgpr33
	s_ashr_i32 s27, s26, 31
	s_and_saveexec_b32 s2, s0
	s_xor_b32 s2, exec_lo, s2
; %bb.6:
	v_mov_b32_e32 v29, 0
	v_mbcnt_lo_u32_b32 v7, -1, 0
	v_mov_b32_e32 v33, 32
; %bb.7:
	s_or_saveexec_b32 s35, s2
	s_clause 0x3
	s_load_dwordx4 s[16:19], s[4:5], 0x0
	s_load_dwordx2 s[20:21], s[4:5], 0x10
	s_load_dwordx2 s[28:29], s[4:5], 0x28
	s_load_dword s7, s[4:5], 0x98
	v_mov_b32_e32 v71, 0xff7fffff
	v_ashrrev_i32_e32 v38, 31, v37
	v_lshlrev_b32_e32 v6, 4, v42
	s_mul_i32 s14, s1, s14
	s_xor_b32 exec_lo, exec_lo, s35
	s_cbranch_execz .LBB167_13
; %bb.8:
	v_mul_u32_u24_e32 v33, 0x78, v41
	s_load_dwordx2 s[2:3], s[4:5], 0x20
	s_ashr_i32 s15, s14, 31
	v_xor_b32_e32 v71, 1, v7
	s_lshl_b64 s[4:5], s[14:15], 1
	ds_read2_b64 v[1:4], v33 offset1:1
	ds_read2_b64 v[20:23], v33 offset0:2 offset1:3
	ds_read2_b64 v[29:32], v33 offset0:4 offset1:5
	;; [unrolled: 1-line block ×4, first 2 shown]
	v_mov_b32_e32 v81, v37
	s_mov_b32 s15, s13
	s_waitcnt lgkmcnt(0)
	s_add_u32 s1, s2, s4
	v_lshlrev_b32_e32 v8, 16, v1
	v_and_b32_e32 v9, 0xffff0000, v1
	v_lshlrev_b32_e32 v10, 16, v2
	v_and_b32_e32 v11, 0xffff0000, v2
	;; [unrolled: 2-line block ×4, first 2 shown]
	ds_read2_b64 v[1:4], v33 offset0:10 offset1:11
	ds_read_b64 v[74:75], v33 offset:112
	ds_read2_b64 v[67:70], v33 offset0:12 offset1:13
	s_addc_u32 s5, s3, s5
	s_lshl_b64 s[2:3], s[26:27], 2
	s_sub_i32 s4, 1, s23
	s_add_u32 s2, s24, s2
	s_addc_u32 s3, s25, s3
	v_lshlrev_b32_e32 v24, 16, v29
	v_and_b32_e32 v25, 0xffff0000, v29
	v_and_b32_e32 v29, 8, v5
	v_lshlrev_b32_e32 v16, 16, v20
	v_and_b32_e32 v17, 0xffff0000, v20
	v_lshlrev_b32_e32 v18, 16, v21
	;; [unrolled: 2-line block ×5, first 2 shown]
	v_and_b32_e32 v27, 0xffff0000, v30
	s_waitcnt lgkmcnt(2)
	v_lshlrev_b32_e32 v59, 16, v3
	v_and_b32_e32 v60, 0xffff0000, v3
	v_bfe_u32 v3, v0, 1, 4
	v_lshlrev_b32_e32 v55, 16, v1
	v_and_b32_e32 v56, 0xffff0000, v1
	v_lshlrev_b32_e32 v57, 16, v2
	v_and_b32_e32 v58, 0xffff0000, v2
	v_lshlrev_b64 v[1:2], 2, v[37:38]
	v_lshlrev_b32_e32 v61, 16, v4
	v_and_b32_e32 v62, 0xffff0000, v4
	v_lshlrev_b32_e32 v4, 4, v3
	v_lshlrev_b32_e32 v78, 2, v3
	v_lshlrev_b32_e32 v28, 16, v31
	v_add_co_u32 v1, vcc_lo, s2, v1
	v_add_co_ci_u32_e64 v2, null, s3, v2, vcc_lo
	v_add_co_u32 v4, s1, s1, v4
	v_cmp_gt_i32_e32 vcc_lo, 32, v71
	v_add_co_ci_u32_e64 v33, null, s5, 0, s1
	v_and_b32_e32 v30, 0xffff0000, v31
	v_lshlrev_b32_e32 v31, 16, v32
	v_cndmask_b32_e32 v71, v7, v71, vcc_lo
	v_add_co_u32 v76, vcc_lo, v4, v29
	v_lshl_or_b32 v4, v42, 6, v78
	v_and_b32_e32 v32, 0xffff0000, v32
	v_lshlrev_b32_e32 v34, 16, v43
	v_and_b32_e32 v35, 0xffff0000, v43
	v_lshlrev_b32_e32 v36, 16, v44
	;; [unrolled: 2-line block ×8, first 2 shown]
	v_and_b32_e32 v54, 0xffff0000, v54
	s_waitcnt lgkmcnt(0)
	v_lshlrev_b32_e32 v63, 16, v67
	v_and_b32_e32 v64, 0xffff0000, v67
	v_lshlrev_b32_e32 v65, 16, v68
	v_and_b32_e32 v66, 0xffff0000, v68
	;; [unrolled: 2-line block ×6, first 2 shown]
	v_add_co_ci_u32_e64 v77, null, 0, v33, vcc_lo
	v_lshlrev_b32_e32 v78, 2, v71
	v_cmp_neq_f32_e64 s1, s34, 0
	v_add3_u32 v79, s33, v6, v3
	v_add_nc_u32_e32 v80, 0x110, v4
	v_mov_b32_e32 v29, 0
	v_mov_b32_e32 v33, 32
	;; [unrolled: 1-line block ×3, first 2 shown]
	s_mov_b32 s5, 0
	v_cmp_eq_u32_e32 vcc_lo, 0, v41
	s_branch .LBB167_10
.LBB167_9:                              ;   in Loop: Header=BB167_10 Depth=1
	s_or_b32 exec_lo, exec_lo, s3
	v_add_nc_u32_e32 v81, 4, v81
	v_add_co_u32 v1, s3, v1, 16
	v_add_nc_u32_e32 v79, 64, v79
	v_add_nc_u32_e32 v80, 0x100, v80
	v_cmp_le_i32_e64 s2, s11, v81
	v_add_co_ci_u32_e64 v2, null, 0, v2, s3
	s_or_b32 s5, s2, s5
	s_andn2_b32 exec_lo, exec_lo, s5
	s_cbranch_execz .LBB167_12
.LBB167_10:                             ; =>This Inner Loop Header: Depth=1
	global_load_dword v3, v[1:2], off
	s_waitcnt vmcnt(0) lgkmcnt(0)
	v_mad_i64_i32 v[3:4], null, v3, s15, 0
	v_lshlrev_b64 v[3:4], 1, v[3:4]
	v_add_co_u32 v86, s2, v76, v3
	v_add_co_ci_u32_e64 v87, null, v77, v4, s2
	s_clause 0x3
	global_load_dwordx2 v[3:4], v[86:87], off
	global_load_dwordx2 v[82:83], v[86:87], off offset:256
	global_load_dwordx2 v[84:85], v[86:87], off offset:512
	;; [unrolled: 1-line block ×3, first 2 shown]
	s_waitcnt vmcnt(3)
	v_lshlrev_b32_e32 v90, 16, v3
	v_and_b32_e32 v91, 0xffff0000, v3
	v_lshlrev_b32_e32 v92, 16, v4
	v_and_b32_e32 v93, 0xffff0000, v4
	global_load_dwordx2 v[3:4], v[86:87], off offset:1024
	s_waitcnt vmcnt(3)
	v_lshlrev_b32_e32 v94, 16, v82
	v_and_b32_e32 v95, 0xffff0000, v82
	v_lshlrev_b32_e32 v96, 16, v83
	v_and_b32_e32 v97, 0xffff0000, v83
	s_waitcnt vmcnt(2)
	v_lshlrev_b32_e32 v98, 16, v84
	v_mul_f32_e32 v82, v12, v94
	v_mul_f32_e32 v83, v13, v95
	v_and_b32_e32 v99, 0xffff0000, v84
	v_lshlrev_b32_e32 v100, 16, v85
	v_and_b32_e32 v101, 0xffff0000, v85
	v_mul_f32_e32 v84, v14, v96
	v_mul_f32_e32 v85, v15, v97
	v_fmac_f32_e32 v82, v8, v90
	v_fmac_f32_e32 v83, v9, v91
	s_waitcnt vmcnt(1)
	v_lshlrev_b32_e32 v102, 16, v88
	v_fmac_f32_e32 v84, v10, v92
	v_fmac_f32_e32 v85, v11, v93
	v_and_b32_e32 v88, 0xffff0000, v88
	v_fmac_f32_e32 v83, v17, v99
	v_lshlrev_b32_e32 v103, 16, v89
	v_and_b32_e32 v89, 0xffff0000, v89
	v_fmac_f32_e32 v85, v19, v101
	v_fmac_f32_e32 v82, v16, v98
	;; [unrolled: 1-line block ×7, first 2 shown]
	s_waitcnt vmcnt(0)
	v_lshlrev_b32_e32 v104, 16, v3
	v_and_b32_e32 v105, 0xffff0000, v3
	v_lshlrev_b32_e32 v106, 16, v4
	v_and_b32_e32 v107, 0xffff0000, v4
	global_load_dwordx2 v[3:4], v[86:87], off offset:1280
	v_fmac_f32_e32 v82, v24, v104
	v_fmac_f32_e32 v83, v25, v105
	;; [unrolled: 1-line block ×4, first 2 shown]
	s_waitcnt vmcnt(0)
	v_lshlrev_b32_e32 v108, 16, v3
	v_and_b32_e32 v109, 0xffff0000, v3
	v_lshlrev_b32_e32 v110, 16, v4
	v_and_b32_e32 v111, 0xffff0000, v4
	global_load_dwordx2 v[3:4], v[86:87], off offset:1536
	v_fmac_f32_e32 v82, v28, v108
	v_fmac_f32_e32 v83, v30, v109
	;; [unrolled: 1-line block ×4, first 2 shown]
	s_waitcnt vmcnt(0)
	v_lshlrev_b32_e32 v90, 16, v3
	v_and_b32_e32 v91, 0xffff0000, v3
	v_add_co_u32 v3, s2, 0x800, v86
	v_lshlrev_b32_e32 v92, 16, v4
	v_and_b32_e32 v93, 0xffff0000, v4
	v_add_co_ci_u32_e64 v4, null, 0, v87, s2
	global_load_dwordx2 v[86:87], v[86:87], off offset:1792
	v_fmac_f32_e32 v82, v34, v90
	v_fmac_f32_e32 v83, v35, v91
	;; [unrolled: 1-line block ×4, first 2 shown]
	s_waitcnt vmcnt(0)
	v_lshlrev_b32_e32 v88, 16, v86
	v_and_b32_e32 v94, 0xffff0000, v86
	v_lshlrev_b32_e32 v95, 16, v87
	v_and_b32_e32 v96, 0xffff0000, v87
	global_load_dwordx2 v[86:87], v[3:4], off
	v_fmac_f32_e32 v82, v43, v88
	v_fmac_f32_e32 v83, v44, v94
	v_fmac_f32_e32 v84, v45, v95
	v_fmac_f32_e32 v85, v46, v96
	s_waitcnt vmcnt(0)
	v_lshlrev_b32_e32 v89, 16, v86
	v_and_b32_e32 v97, 0xffff0000, v86
	v_lshlrev_b32_e32 v98, 16, v87
	v_and_b32_e32 v99, 0xffff0000, v87
	global_load_dwordx2 v[86:87], v[3:4], off offset:256
	v_fmac_f32_e32 v82, v47, v89
	v_fmac_f32_e32 v83, v48, v97
	v_fmac_f32_e32 v84, v49, v98
	v_fmac_f32_e32 v85, v50, v99
	s_waitcnt vmcnt(0)
	v_lshlrev_b32_e32 v100, 16, v86
	v_and_b32_e32 v101, 0xffff0000, v86
	v_lshlrev_b32_e32 v102, 16, v87
	v_and_b32_e32 v103, 0xffff0000, v87
	global_load_dwordx2 v[86:87], v[3:4], off offset:512
	;; [unrolled: 10-line block ×4, first 2 shown]
	v_fmac_f32_e32 v82, v59, v88
	v_fmac_f32_e32 v83, v60, v92
	;; [unrolled: 1-line block ×4, first 2 shown]
	s_waitcnt vmcnt(0)
	v_lshlrev_b32_e32 v89, 16, v86
	v_and_b32_e32 v95, 0xffff0000, v86
	v_lshlrev_b32_e32 v96, 16, v87
	v_and_b32_e32 v97, 0xffff0000, v87
	s_clause 0x1
	global_load_dwordx2 v[86:87], v[3:4], off offset:1280
	global_load_dwordx2 v[3:4], v[3:4], off offset:1536
	v_fmac_f32_e32 v82, v63, v89
	v_fmac_f32_e32 v83, v64, v95
	;; [unrolled: 1-line block ×4, first 2 shown]
	s_waitcnt vmcnt(1)
	v_lshlrev_b32_e32 v98, 16, v86
	v_and_b32_e32 v86, 0xffff0000, v86
	v_lshlrev_b32_e32 v99, 16, v87
	s_waitcnt vmcnt(0)
	v_lshlrev_b32_e32 v88, 16, v3
	v_and_b32_e32 v3, 0xffff0000, v3
	v_fmac_f32_e32 v82, v67, v98
	v_fmac_f32_e32 v83, v68, v86
	v_and_b32_e32 v87, 0xffff0000, v87
	v_lshlrev_b32_e32 v86, 16, v4
	v_fmac_f32_e32 v84, v69, v99
	v_fmac_f32_e32 v82, v72, v88
	;; [unrolled: 1-line block ×4, first 2 shown]
	v_and_b32_e32 v3, 0xffff0000, v4
	v_fmac_f32_e32 v84, v74, v86
	v_add_f32_e32 v4, v82, v83
	v_fmac_f32_e32 v85, v75, v3
	v_add_f32_e32 v3, v4, v84
	v_add_f32_e32 v3, v85, v3
	ds_bpermute_b32 v4, v78, v3
	s_and_saveexec_b32 s3, vcc_lo
	s_cbranch_execz .LBB167_9
; %bb.11:                               ;   in Loop: Header=BB167_10 Depth=1
	v_add_nc_u32_e32 v82, s4, v79
	s_waitcnt lgkmcnt(0)
	v_add_f32_e32 v3, v3, v4
	v_cmp_gt_i32_e64 s2, s23, v79
	v_cvt_f32_i32_e32 v82, v82
	v_mul_f32_e32 v82, s34, v82
	v_cndmask_b32_e64 v4, 0, v82, s1
	v_max_f32_e32 v82, v71, v71
	v_fmac_f32_e32 v4, s31, v3
	v_max_f32_e32 v3, v82, v4
	v_cndmask_b32_e64 v4, 0, v4, s2
	v_cndmask_b32_e64 v71, v71, v3, s2
	ds_write_b32 v80, v4
	s_branch .LBB167_9
.LBB167_12:
	s_or_b32 exec_lo, exec_lo, s5
.LBB167_13:
	s_or_b32 exec_lo, exec_lo, s35
	v_xor_b32_e32 v1, 16, v7
	v_xor_b32_e32 v2, 8, v7
	v_max_f32_e32 v3, v71, v71
	v_lshlrev_b32_e32 v11, 2, v42
	v_cmp_lt_i32_e32 vcc_lo, v1, v33
	v_cndmask_b32_e32 v1, v7, v1, vcc_lo
	v_cmp_lt_i32_e32 vcc_lo, v2, v33
	s_waitcnt lgkmcnt(0)
	v_lshlrev_b32_e32 v4, 2, v1
	v_cndmask_b32_e32 v2, v7, v2, vcc_lo
	ds_bpermute_b32 v1, v4, v71
	v_lshlrev_b32_e32 v9, 2, v2
	s_waitcnt lgkmcnt(0)
	v_max_f32_e32 v1, v1, v1
	v_max_f32_e32 v1, v3, v1
	v_xor_b32_e32 v3, 4, v7
	ds_bpermute_b32 v2, v9, v1
	v_cmp_lt_i32_e32 vcc_lo, v3, v33
	v_cndmask_b32_e32 v3, v7, v3, vcc_lo
	v_lshlrev_b32_e32 v10, 2, v3
	v_xor_b32_e32 v3, 2, v7
	v_cmp_lt_i32_e32 vcc_lo, v3, v33
	s_waitcnt lgkmcnt(0)
	v_max_f32_e32 v2, v2, v2
	v_cndmask_b32_e32 v3, v7, v3, vcc_lo
	v_max_f32_e32 v1, v1, v2
	v_lshlrev_b32_e32 v3, 2, v3
	ds_bpermute_b32 v2, v10, v1
	s_waitcnt lgkmcnt(0)
	v_max_f32_e32 v2, v2, v2
	v_max_f32_e32 v2, v1, v2
	v_and_b32_e32 v1, 31, v0
	ds_bpermute_b32 v8, v3, v2
	v_cmp_eq_u32_e32 vcc_lo, 0, v1
	s_and_saveexec_b32 s1, vcc_lo
	s_cbranch_execz .LBB167_15
; %bb.14:
	s_waitcnt lgkmcnt(0)
	v_max_f32_e32 v8, v8, v8
	v_max_f32_e32 v2, v2, v2
	;; [unrolled: 1-line block ×3, first 2 shown]
	ds_write_b32 v11, v2 offset:240
.LBB167_15:
	s_or_b32 exec_lo, exec_lo, s1
	v_cmp_gt_u32_e64 s1, 4, v1
	v_mov_b32_e32 v2, 0xff7fffff
	v_lshlrev_b32_e32 v12, 2, v1
	s_waitcnt lgkmcnt(0)
	s_barrier
	buffer_gl0_inv
	s_and_saveexec_b32 s2, s1
; %bb.16:
	ds_read_b32 v2, v12 offset:240
; %bb.17:
	s_or_b32 exec_lo, exec_lo, s2
	s_waitcnt lgkmcnt(0)
	ds_bpermute_b32 v8, v3, v2
	v_xor_b32_e32 v13, 1, v7
	v_max_f32_e32 v2, v2, v2
	v_cmp_lt_i32_e64 s2, v13, v33
	v_cndmask_b32_e64 v13, v7, v13, s2
	s_sub_i32 s2, s11, s30
	s_lshl_b32 s2, s2, 4
	v_lshlrev_b32_e32 v44, 2, v13
	s_add_i32 s2, s2, s33
	v_mov_b32_e32 v13, 0
	s_min_i32 s2, s2, s23
	s_waitcnt lgkmcnt(0)
	v_max_f32_e32 v8, v8, v8
	s_sub_i32 s4, s2, s33
	v_cmp_gt_i32_e64 s2, s4, v0
	v_max_f32_e32 v2, v2, v8
	ds_bpermute_b32 v8, v44, v2
	s_waitcnt lgkmcnt(0)
	v_max_f32_e32 v8, v8, v8
	v_max_f32_e32 v2, v2, v8
	v_lshlrev_b32_e32 v8, 2, v29
	ds_bpermute_b32 v2, v8, v2
	v_lshl_add_u32 v8, v0, 2, 0x110
	s_and_saveexec_b32 s5, s2
	s_cbranch_execz .LBB167_21
; %bb.18:
	v_lshl_add_u32 v14, v0, 2, 0x110
	v_mov_b32_e32 v13, 0
	v_mov_b32_e32 v15, v0
	s_mov_b32 s15, 0
	.p2align	6
.LBB167_19:                             ; =>This Inner Loop Header: Depth=1
	ds_read_b32 v16, v14
	v_add_nc_u32_e32 v15, 0x80, v15
	v_cmp_le_i32_e64 s3, s4, v15
	s_or_b32 s15, s3, s15
	s_waitcnt lgkmcnt(0)
	v_sub_f32_e32 v16, v16, v2
	v_mul_f32_e32 v16, 0x3fb8aa3b, v16
	v_exp_f32_e32 v16, v16
	ds_write_b32 v14, v16
	v_add_f32_e32 v13, v13, v16
	v_add_nc_u32_e32 v14, 0x200, v14
	s_andn2_b32 exec_lo, exec_lo, s15
	s_cbranch_execnz .LBB167_19
; %bb.20:
	s_or_b32 exec_lo, exec_lo, s15
.LBB167_21:
	s_or_b32 exec_lo, exec_lo, s5
	ds_bpermute_b32 v4, v4, v13
	s_waitcnt lgkmcnt(0)
	v_add_f32_e32 v4, v13, v4
	ds_bpermute_b32 v9, v9, v4
	s_waitcnt lgkmcnt(0)
	v_add_f32_e32 v4, v4, v9
	;; [unrolled: 3-line block ×5, first 2 shown]
	s_and_saveexec_b32 s3, vcc_lo
; %bb.22:
	ds_write_b32 v11, v4 offset:256
; %bb.23:
	s_or_b32 exec_lo, exec_lo, s3
	s_waitcnt lgkmcnt(0)
	s_barrier
	buffer_gl0_inv
	s_and_saveexec_b32 s3, s1
; %bb.24:
	ds_read_b32 v4, v12 offset:256
; %bb.25:
	s_or_b32 exec_lo, exec_lo, s3
	s_waitcnt lgkmcnt(0)
	ds_bpermute_b32 v3, v3, v4
	v_lshlrev_b32_e32 v7, 2, v7
	s_waitcnt lgkmcnt(0)
	v_add_f32_e32 v3, v4, v3
	ds_bpermute_b32 v4, v44, v3
	s_waitcnt lgkmcnt(0)
	v_add_f32_e32 v3, v3, v4
	v_and_b32_e32 v4, 0xffffff80, v7
	ds_bpermute_b32 v3, v4, v3
	s_and_saveexec_b32 s1, s2
	s_cbranch_execz .LBB167_28
; %bb.26:
	s_waitcnt lgkmcnt(0)
	v_add_f32_e32 v4, 0x358637bd, v3
	s_mov_b32 s2, 0
	v_div_scale_f32 v7, null, v4, v4, 1.0
	v_div_scale_f32 v11, vcc_lo, 1.0, v4, 1.0
	v_rcp_f32_e32 v9, v7
	v_fma_f32 v10, -v7, v9, 1.0
	v_fmac_f32_e32 v9, v10, v9
	v_mul_f32_e32 v10, v11, v9
	v_fma_f32 v12, -v7, v10, v11
	v_fmac_f32_e32 v10, v12, v9
	v_fma_f32 v7, -v7, v10, v11
	v_div_fmas_f32 v7, v7, v9, v10
	v_div_fixup_f32 v4, v7, v4, 1.0
	v_mov_b32_e32 v7, v0
.LBB167_27:                             ; =>This Inner Loop Header: Depth=1
	ds_read_b32 v9, v8
	v_add_nc_u32_e32 v7, 0x80, v7
	v_cmp_le_i32_e32 vcc_lo, s4, v7
	s_or_b32 s2, vcc_lo, s2
	s_waitcnt lgkmcnt(0)
	v_mul_f32_e32 v9, v4, v9
	ds_write_b32 v8, v9
	v_add_nc_u32_e32 v8, 0x200, v8
	s_andn2_b32 exec_lo, exec_lo, s2
	s_cbranch_execnz .LBB167_27
.LBB167_28:
	s_or_b32 exec_lo, exec_lo, s1
	s_mul_i32 s1, s7, s22
	s_waitcnt lgkmcnt(0)
	s_mul_i32 s4, s1, s9
	s_mov_b32 s1, exec_lo
	s_barrier
	buffer_gl0_inv
	v_cmpx_eq_u32_e32 0, v0
	s_cbranch_execz .LBB167_30
; %bb.29:
	s_ashr_i32 s5, s4, 31
	s_mul_i32 s30, s7, s6
	s_lshl_b64 s[2:3], s[4:5], 2
	v_mov_b32_e32 v4, 0
	s_add_u32 s5, s18, s2
	s_addc_u32 s6, s19, s3
	s_ashr_i32 s31, s30, 31
	s_lshl_b64 s[18:19], s[30:31], 2
	s_add_u32 s5, s5, s18
	s_addc_u32 s6, s6, s19
	s_ashr_i32 s9, s8, 31
	s_lshl_b64 s[30:31], s[8:9], 2
	s_add_u32 s34, s5, s30
	s_addc_u32 s35, s6, s31
	s_add_u32 s2, s16, s2
	s_addc_u32 s3, s17, s3
	;; [unrolled: 2-line block ×4, first 2 shown]
	global_store_dword v4, v2, s[34:35]
	global_store_dword v4, v3, s[2:3]
.LBB167_30:
	s_or_b32 exec_lo, exec_lo, s1
	v_lshrrev_b32_e32 v43, 1, v1
	s_and_saveexec_b32 s1, s0
	s_xor_b32 s0, exec_lo, s1
; %bb.31:
	v_lshrrev_b32_e32 v43, 1, v1
                                        ; implicit-def: $vgpr37
                                        ; implicit-def: $vgpr5
                                        ; implicit-def: $vgpr6
; %bb.32:
	s_or_saveexec_b32 s5, s0
	v_mov_b32_e32 v51, 0
	v_mov_b32_e32 v52, 0
	;; [unrolled: 1-line block ×8, first 2 shown]
	s_xor_b32 exec_lo, exec_lo, s5
	s_cbranch_execz .LBB167_54
; %bb.33:
	v_and_b32_e32 v1, 8, v5
	v_or_b32_e32 v2, 0x70, v43
	s_ashr_i32 s15, s14, 31
	v_lshlrev_b32_e32 v3, 5, v41
	s_lshl_b64 s[0:1], s[14:15], 1
	v_lshl_or_b32 v4, v43, 4, v1
	s_add_u32 s6, s28, s0
	v_cmp_gt_u32_e64 s0, 0x78, v2
	v_lshl_or_b32 v5, v2, 4, v1
	v_add3_u32 v54, s33, v6, v1
	v_lshlrev_b64 v[1:2], 2, v[37:38]
	s_addc_u32 s9, s29, s1
	s_lshl_b64 s[2:3], s[26:27], 2
	s_add_i32 s12, s12, -1
	v_lshl_or_b32 v3, v42, 6, v3
	s_add_u32 s1, s24, s2
	s_addc_u32 s2, s25, s3
	v_add_co_u32 v38, vcc_lo, s1, v1
	v_mov_b32_e32 v53, 0
	v_add_nc_u32_e32 v55, 0x110, v3
	v_add_co_ci_u32_e64 v39, null, s2, v2, vcc_lo
	v_lshlrev_b32_e32 v56, 1, v4
	v_lshlrev_b32_e32 v57, 1, v5
	v_mov_b32_e32 v45, 0
	v_mov_b32_e32 v46, 0
	;; [unrolled: 1-line block ×8, first 2 shown]
	s_mov_b32 s15, s23
	s_mov_b32 s14, 0
	s_branch .LBB167_36
.LBB167_34:                             ;   in Loop: Header=BB167_36 Depth=1
	s_or_b32 exec_lo, exec_lo, s16
	s_waitcnt vmcnt(0)
	v_lshlrev_b32_e32 v31, 16, v25
	v_lshlrev_b32_e32 v58, 16, v60
	v_and_b32_e32 v25, 0xffff0000, v25
	v_and_b32_e32 v59, 0xffff0000, v60
	v_lshlrev_b32_e32 v61, 16, v26
	v_and_b32_e32 v26, 0xffff0000, v26
	v_mul_f32_e32 v31, v58, v31
	v_lshlrev_b32_e32 v58, 16, v29
	v_and_b32_e32 v62, 0xffff0000, v29
	v_mul_f32_e32 v25, v59, v25
	v_and_b32_e32 v66, 0xffff0000, v32
	v_bfe_u32 v59, v31, 16, 1
	v_mul_f32_e32 v58, v58, v61
	v_mul_f32_e32 v26, v62, v26
	v_bfe_u32 v61, v25, 16, 1
	v_or_b32_e32 v62, 0x400000, v31
	v_add3_u32 v59, v59, v31, 0x7fff
	v_cmp_u_f32_e32 vcc_lo, v31, v31
	v_or_b32_e32 v63, 0x400000, v25
	v_bfe_u32 v64, v58, 16, 1
	v_add3_u32 v61, v61, v25, 0x7fff
	v_lshlrev_b32_e32 v65, 16, v32
	v_cndmask_b32_e32 v31, v59, v62, vcc_lo
	v_lshlrev_b32_e32 v59, 16, v27
	v_lshlrev_b32_e32 v62, 16, v30
	v_cmp_u_f32_e32 vcc_lo, v25, v25
	v_and_b32_e32 v27, 0xffff0000, v27
	v_and_b32_e32 v31, 0xffff0000, v31
	v_mul_f32_e32 v59, v62, v59
	v_cndmask_b32_e32 v25, v61, v63, vcc_lo
	v_add3_u32 v61, v64, v58, 0x7fff
	v_or_b32_e32 v63, 0x400000, v58
	v_bfe_u32 v64, v26, 16, 1
	v_and_b32_e32 v62, 0xffff0000, v30
	v_cmp_u_f32_e32 vcc_lo, v58, v58
	v_and_b32_e32 v25, 0xffff0000, v25
	v_mul_f32_e32 v27, v62, v27
	v_cndmask_b32_e32 v58, v61, v63, vcc_lo
	v_add3_u32 v61, v64, v26, 0x7fff
	v_or_b32_e32 v63, 0x400000, v26
	v_bfe_u32 v64, v59, 16, 1
	v_lshlrev_b32_e32 v62, 16, v28
	v_and_b32_e32 v28, 0xffff0000, v28
	v_cmp_u_f32_e32 vcc_lo, v26, v26
	v_and_b32_e32 v58, 0xffff0000, v58
	v_add_f32_e32 v25, v31, v25
	v_mul_f32_e32 v62, v65, v62
	v_mul_f32_e32 v28, v66, v28
	v_cndmask_b32_e32 v26, v61, v63, vcc_lo
	v_bfe_u32 v61, v27, 16, 1
	v_add3_u32 v63, v64, v59, 0x7fff
	v_or_b32_e32 v64, 0x400000, v59
	v_cmp_u_f32_e32 vcc_lo, v59, v59
	v_or_b32_e32 v65, 0x400000, v27
	v_add3_u32 v61, v61, v27, 0x7fff
	v_bfe_u32 v67, v28, 16, 1
	v_bfe_u32 v66, v62, 16, 1
	v_cndmask_b32_e32 v59, v63, v64, vcc_lo
	v_cmp_u_f32_e32 vcc_lo, v27, v27
	v_or_b32_e32 v64, 0x400000, v28
	v_add3_u32 v63, v67, v28, 0x7fff
	v_and_b32_e32 v26, 0xffff0000, v26
	v_and_b32_e32 v31, 0xffff0000, v59
	v_cndmask_b32_e32 v27, v61, v65, vcc_lo
	v_cmp_u_f32_e32 vcc_lo, v28, v28
	v_add3_u32 v61, v66, v62, 0x7fff
	v_or_b32_e32 v65, 0x400000, v62
	v_add_f32_e32 v26, v58, v26
	v_and_b32_e32 v27, 0xffff0000, v27
	v_cndmask_b32_e32 v28, v63, v64, vcc_lo
	v_cmp_u_f32_e32 vcc_lo, v62, v62
	v_add_f32_e32 v25, v26, v25
	v_add_f32_e32 v26, v31, v27
	v_and_b32_e32 v27, 0xffff0000, v28
	v_cndmask_b32_e32 v58, v61, v65, vcc_lo
	v_add_f32_e32 v25, v26, v25
	v_and_b32_e32 v28, 0xffff0000, v58
	v_add_f32_e32 v26, v28, v27
	v_add_f32_e32 v25, v26, v25
	;; [unrolled: 1-line block ×3, first 2 shown]
.LBB167_35:                             ;   in Loop: Header=BB167_36 Depth=1
	s_or_b32 exec_lo, exec_lo, s3
	s_waitcnt vmcnt(0)
	v_and_b32_e32 v25, 0xffff0000, v33
	v_and_b32_e32 v31, 0xffff0000, v60
	v_lshlrev_b32_e32 v26, 16, v33
	v_lshlrev_b32_e32 v28, 16, v60
	v_and_b32_e32 v33, 0xffff0000, v34
	v_and_b32_e32 v27, 0xffff0000, v29
	v_mul_f32_e32 v58, v31, v25
	v_lshlrev_b32_e32 v25, 16, v29
	v_mul_f32_e32 v26, v28, v26
	v_lshlrev_b32_e32 v34, 16, v34
	v_mul_f32_e32 v33, v27, v33
	v_bfe_u32 v29, v58, 16, 1
	v_or_b32_e32 v60, 0x400000, v58
	v_bfe_u32 v59, v26, 16, 1
	v_cmp_u_f32_e32 vcc_lo, v58, v58
	v_mul_f32_e32 v34, v25, v34
	v_add3_u32 v29, v29, v58, 0x7fff
	v_or_b32_e32 v61, 0x400000, v26
	v_bfe_u32 v62, v33, 16, 1
	v_add3_u32 v59, v59, v26, 0x7fff
	v_and_b32_e32 v64, 0xffff0000, v36
	v_cndmask_b32_e32 v58, v29, v60, vcc_lo
	v_and_b32_e32 v60, 0xffff0000, v35
	v_and_b32_e32 v29, 0xffff0000, v30
	v_cmp_u_f32_e32 vcc_lo, v26, v26
	v_add3_u32 v26, v62, v33, 0x7fff
	v_bfe_u32 v62, v34, 16, 1
	v_lshlrev_b32_e32 v35, 16, v35
	v_mul_f32_e32 v60, v29, v60
	v_cndmask_b32_e32 v59, v59, v61, vcc_lo
	v_or_b32_e32 v61, 0x400000, v33
	v_lshlrev_b32_e32 v30, 16, v30
	v_cmp_u_f32_e32 vcc_lo, v33, v33
	v_bfe_u32 v63, v60, 16, 1
	v_lshlrev_b32_e32 v36, 16, v36
	v_and_b32_e32 v59, 0xffff0000, v59
	v_mul_f32_e32 v35, v30, v35
	v_cndmask_b32_e32 v33, v26, v61, vcc_lo
	v_add3_u32 v61, v62, v34, 0x7fff
	v_or_b32_e32 v62, 0x400000, v34
	v_and_b32_e32 v26, 0xffff0000, v32
	v_lshlrev_b32_e32 v32, 16, v32
	v_cmp_u_f32_e32 vcc_lo, v34, v34
	v_or_b32_e32 v65, 0x400000, v35
	v_and_b32_e32 v58, 0xffff0000, v58
	v_and_b32_e32 v33, 0xffff0000, v33
	v_mul_f32_e32 v36, v32, v36
	v_cndmask_b32_e32 v34, v61, v62, vcc_lo
	v_bfe_u32 v61, v35, 16, 1
	v_add3_u32 v62, v63, v60, 0x7fff
	v_mul_f32_e32 v63, v26, v64
	v_or_b32_e32 v64, 0x400000, v60
	v_cmp_u_f32_e32 vcc_lo, v60, v60
	v_add3_u32 v61, v61, v35, 0x7fff
	v_bfe_u32 v67, v36, 16, 1
	v_bfe_u32 v66, v63, 16, 1
	v_and_b32_e32 v34, 0xffff0000, v34
	v_cndmask_b32_e32 v60, v62, v64, vcc_lo
	v_cmp_u_f32_e32 vcc_lo, v35, v35
	v_add3_u32 v62, v67, v36, 0x7fff
	v_or_b32_e32 v64, 0x400000, v36
	v_add_f32_e32 v58, v59, v58
	v_add_f32_e32 v33, v34, v33
	v_cndmask_b32_e32 v35, v61, v65, vcc_lo
	v_cmp_u_f32_e32 vcc_lo, v36, v36
	v_add3_u32 v61, v66, v63, 0x7fff
	v_or_b32_e32 v65, 0x400000, v63
	v_add_f32_e32 v33, v33, v58
	v_and_b32_e32 v34, 0xffff0000, v35
	v_cndmask_b32_e32 v36, v62, v64, vcc_lo
	v_cmp_u_f32_e32 vcc_lo, v63, v63
	v_and_b32_e32 v35, 0xffff0000, v60
	v_and_b32_e32 v58, 0xffff0000, v21
	v_lshlrev_b32_e32 v21, 16, v21
	v_and_b32_e32 v60, 0xffff0000, v24
	v_cndmask_b32_e32 v59, v61, v65, vcc_lo
	v_add_f32_e32 v34, v34, v35
	v_and_b32_e32 v35, 0xffff0000, v36
	v_mul_f32_e32 v21, v28, v21
	v_lshlrev_b32_e32 v24, 16, v24
	v_and_b32_e32 v36, 0xffff0000, v59
	v_add_f32_e32 v33, v34, v33
	v_add_nc_u32_e32 v37, 4, v37
	v_or_b32_e32 v59, 0x400000, v21
	v_mul_f32_e32 v24, v32, v24
	v_add_f32_e32 v34, v35, v36
	v_mul_f32_e32 v35, v31, v58
	v_and_b32_e32 v58, 0xffff0000, v22
	v_bfe_u32 v36, v21, 16, 1
	v_lshlrev_b32_e32 v22, 16, v22
	v_add_f32_e32 v33, v34, v33
	v_bfe_u32 v34, v35, 16, 1
	v_mul_f32_e32 v58, v27, v58
	v_cmp_u_f32_e32 vcc_lo, v35, v35
	v_add3_u32 v36, v36, v21, 0x7fff
	v_add_f32_e32 v46, v46, v33
	v_add3_u32 v33, v34, v35, 0x7fff
	v_or_b32_e32 v34, 0x400000, v35
	v_mul_f32_e32 v22, v25, v22
	v_and_b32_e32 v35, 0xffff0000, v23
	v_lshlrev_b32_e32 v23, 16, v23
	v_add_co_u32 v38, s1, v38, 16
	v_cndmask_b32_e32 v33, v33, v34, vcc_lo
	v_bfe_u32 v34, v58, 16, 1
	v_cmp_u_f32_e32 vcc_lo, v21, v21
	v_mul_f32_e32 v35, v29, v35
	v_mul_f32_e32 v23, v30, v23
	v_and_b32_e32 v33, 0xffff0000, v33
	v_add3_u32 v34, v34, v58, 0x7fff
	v_cndmask_b32_e32 v21, v36, v59, vcc_lo
	v_or_b32_e32 v36, 0x400000, v58
	v_bfe_u32 v59, v22, 16, 1
	v_cmp_u_f32_e32 vcc_lo, v58, v58
	v_or_b32_e32 v58, 0x400000, v22
	v_bfe_u32 v61, v23, 16, 1
	v_and_b32_e32 v21, 0xffff0000, v21
	v_add_nc_u32_e32 v54, 64, v54
	v_cndmask_b32_e32 v34, v34, v36, vcc_lo
	v_add3_u32 v36, v59, v22, 0x7fff
	v_bfe_u32 v59, v35, 16, 1
	v_cmp_u_f32_e32 vcc_lo, v22, v22
	v_add_f32_e32 v21, v21, v33
	v_and_b32_e32 v34, 0xffff0000, v34
	v_add_nc_u32_e32 v55, 0x100, v55
	v_add_co_ci_u32_e64 v39, null, 0, v39, s1
	v_cndmask_b32_e32 v22, v36, v58, vcc_lo
	v_add3_u32 v36, v59, v35, 0x7fff
	v_mul_f32_e32 v58, v26, v60
	v_or_b32_e32 v59, 0x400000, v35
	v_cmp_u_f32_e32 vcc_lo, v35, v35
	v_add3_u32 v60, v61, v23, 0x7fff
	v_or_b32_e32 v61, 0x400000, v23
	v_bfe_u32 v62, v58, 16, 1
	v_and_b32_e32 v22, 0xffff0000, v22
	v_cndmask_b32_e32 v35, v36, v59, vcc_lo
	v_cmp_u_f32_e32 vcc_lo, v23, v23
	v_or_b32_e32 v59, 0x400000, v58
	v_add3_u32 v36, v62, v58, 0x7fff
	v_add_f32_e32 v22, v22, v34
	v_and_b32_e32 v34, 0xffff0000, v17
	v_cndmask_b32_e32 v23, v60, v61, vcc_lo
	v_bfe_u32 v60, v24, 16, 1
	v_cmp_u_f32_e32 vcc_lo, v58, v58
	v_and_b32_e32 v33, 0xffff0000, v35
	v_lshlrev_b32_e32 v17, 16, v17
	v_and_b32_e32 v23, 0xffff0000, v23
	v_add3_u32 v58, v60, v24, 0x7fff
	v_cndmask_b32_e32 v36, v36, v59, vcc_lo
	v_or_b32_e32 v59, 0x400000, v24
	v_cmp_u_f32_e32 vcc_lo, v24, v24
	v_add_f32_e32 v21, v22, v21
	v_mul_f32_e32 v22, v31, v34
	v_add_f32_e32 v23, v23, v33
	v_mul_f32_e32 v17, v28, v17
	v_cndmask_b32_e32 v24, v58, v59, vcc_lo
	v_and_b32_e32 v33, 0xffff0000, v36
	v_bfe_u32 v34, v22, 16, 1
	v_add_f32_e32 v21, v23, v21
	v_bfe_u32 v23, v17, 16, 1
	v_and_b32_e32 v24, 0xffff0000, v24
	v_and_b32_e32 v35, 0xffff0000, v18
	v_cmp_u_f32_e32 vcc_lo, v22, v22
	v_or_b32_e32 v36, 0x400000, v17
	v_add3_u32 v23, v23, v17, 0x7fff
	v_add_f32_e32 v24, v24, v33
	v_add3_u32 v33, v34, v22, 0x7fff
	v_or_b32_e32 v34, 0x400000, v22
	v_mul_f32_e32 v35, v27, v35
	v_lshlrev_b32_e32 v18, 16, v18
	v_and_b32_e32 v58, 0xffff0000, v20
	v_lshlrev_b32_e32 v20, 16, v20
	v_cndmask_b32_e32 v22, v33, v34, vcc_lo
	v_cmp_u_f32_e32 vcc_lo, v17, v17
	v_bfe_u32 v33, v35, 16, 1
	v_mul_f32_e32 v18, v25, v18
	v_or_b32_e32 v34, 0x400000, v35
	v_mul_f32_e32 v20, v32, v20
	v_cndmask_b32_e32 v17, v23, v36, vcc_lo
	v_and_b32_e32 v23, 0xffff0000, v19
	v_add3_u32 v33, v33, v35, 0x7fff
	v_lshlrev_b32_e32 v19, 16, v19
	v_bfe_u32 v36, v18, 16, 1
	v_cmp_u_f32_e32 vcc_lo, v35, v35
	v_mul_f32_e32 v23, v29, v23
	v_or_b32_e32 v35, 0x400000, v18
	v_mul_f32_e32 v19, v30, v19
	v_and_b32_e32 v17, 0xffff0000, v17
	v_cndmask_b32_e32 v33, v33, v34, vcc_lo
	v_add3_u32 v34, v36, v18, 0x7fff
	v_bfe_u32 v36, v23, 16, 1
	v_cmp_u_f32_e32 vcc_lo, v18, v18
	v_bfe_u32 v59, v19, 16, 1
	v_and_b32_e32 v22, 0xffff0000, v22
	v_and_b32_e32 v33, 0xffff0000, v33
	v_add_f32_e32 v21, v24, v21
	v_cndmask_b32_e32 v18, v34, v35, vcc_lo
	v_add3_u32 v34, v36, v23, 0x7fff
	v_mul_f32_e32 v35, v26, v58
	v_or_b32_e32 v36, 0x400000, v23
	v_cmp_u_f32_e32 vcc_lo, v23, v23
	v_add3_u32 v58, v59, v19, 0x7fff
	v_or_b32_e32 v59, 0x400000, v19
	v_bfe_u32 v60, v35, 16, 1
	v_and_b32_e32 v18, 0xffff0000, v18
	v_cndmask_b32_e32 v23, v34, v36, vcc_lo
	v_cmp_u_f32_e32 vcc_lo, v19, v19
	v_or_b32_e32 v36, 0x400000, v35
	v_add3_u32 v34, v60, v35, 0x7fff
	v_add_f32_e32 v17, v17, v22
	v_add_f32_e32 v18, v18, v33
	v_cndmask_b32_e32 v19, v58, v59, vcc_lo
	v_bfe_u32 v58, v20, 16, 1
	v_cmp_u_f32_e32 vcc_lo, v35, v35
	v_and_b32_e32 v22, 0xffff0000, v23
	v_add_f32_e32 v17, v18, v17
	v_and_b32_e32 v19, 0xffff0000, v19
	v_add3_u32 v35, v58, v20, 0x7fff
	v_cndmask_b32_e32 v34, v34, v36, vcc_lo
	v_or_b32_e32 v36, 0x400000, v20
	v_cmp_u_f32_e32 vcc_lo, v20, v20
	v_and_b32_e32 v18, 0xffff0000, v13
	v_add_f32_e32 v19, v19, v22
	v_lshlrev_b32_e32 v13, 16, v13
	v_and_b32_e32 v22, 0xffff0000, v34
	v_cndmask_b32_e32 v20, v35, v36, vcc_lo
	v_mul_f32_e32 v18, v31, v18
	v_add_f32_e32 v47, v47, v21
	v_mul_f32_e32 v23, v28, v13
	v_add_f32_e32 v13, v19, v17
	v_and_b32_e32 v20, 0xffff0000, v20
	v_bfe_u32 v19, v18, 16, 1
	v_and_b32_e32 v21, 0xffff0000, v14
	v_cmp_u_f32_e32 vcc_lo, v18, v18
	v_lshlrev_b32_e32 v14, 16, v14
	v_add_f32_e32 v17, v20, v22
	v_bfe_u32 v20, v23, 16, 1
	v_mul_f32_e32 v21, v27, v21
	v_or_b32_e32 v22, 0x400000, v23
	v_mul_f32_e32 v14, v25, v14
	v_add_f32_e32 v13, v17, v13
	v_add3_u32 v17, v19, v18, 0x7fff
	v_or_b32_e32 v19, 0x400000, v18
	v_add3_u32 v20, v20, v23, 0x7fff
	v_bfe_u32 v18, v21, 16, 1
	v_and_b32_e32 v24, 0xffff0000, v16
	v_lshlrev_b32_e32 v16, 16, v16
	v_cndmask_b32_e32 v17, v17, v19, vcc_lo
	v_cmp_u_f32_e32 vcc_lo, v23, v23
	v_add3_u32 v18, v18, v21, 0x7fff
	v_bfe_u32 v23, v14, 16, 1
	v_mul_f32_e32 v16, v32, v16
	v_and_b32_e32 v17, 0xffff0000, v17
	v_cndmask_b32_e32 v19, v20, v22, vcc_lo
	v_and_b32_e32 v20, 0xffff0000, v15
	v_or_b32_e32 v22, 0x400000, v21
	v_lshlrev_b32_e32 v15, 16, v15
	v_cmp_u_f32_e32 vcc_lo, v21, v21
	v_add3_u32 v21, v23, v14, 0x7fff
	v_mul_f32_e32 v20, v29, v20
	v_and_b32_e32 v19, 0xffff0000, v19
	v_mul_f32_e32 v15, v30, v15
	v_cndmask_b32_e32 v18, v18, v22, vcc_lo
	v_or_b32_e32 v22, 0x400000, v14
	v_bfe_u32 v23, v20, 16, 1
	v_cmp_u_f32_e32 vcc_lo, v14, v14
	v_bfe_u32 v33, v15, 16, 1
	v_and_b32_e32 v18, 0xffff0000, v18
	v_add_f32_e32 v17, v19, v17
	v_and_b32_e32 v19, 0xffff0000, v9
	v_cndmask_b32_e32 v14, v21, v22, vcc_lo
	v_add3_u32 v21, v23, v20, 0x7fff
	v_mul_f32_e32 v22, v26, v24
	v_or_b32_e32 v23, 0x400000, v20
	v_cmp_u_f32_e32 vcc_lo, v20, v20
	v_add3_u32 v24, v33, v15, 0x7fff
	v_or_b32_e32 v33, 0x400000, v15
	v_bfe_u32 v34, v22, 16, 1
	v_and_b32_e32 v14, 0xffff0000, v14
	v_cndmask_b32_e32 v20, v21, v23, vcc_lo
	v_cmp_u_f32_e32 vcc_lo, v15, v15
	v_or_b32_e32 v23, 0x400000, v22
	v_add3_u32 v21, v34, v22, 0x7fff
	v_add_f32_e32 v14, v14, v18
	v_and_b32_e32 v18, 0xffff0000, v20
	v_cndmask_b32_e32 v15, v24, v33, vcc_lo
	v_bfe_u32 v24, v16, 16, 1
	v_cmp_u_f32_e32 vcc_lo, v22, v22
	v_lshlrev_b32_e32 v9, 16, v9
	v_add_f32_e32 v14, v14, v17
	v_and_b32_e32 v15, 0xffff0000, v15
	v_add3_u32 v22, v24, v16, 0x7fff
	v_cndmask_b32_e32 v21, v21, v23, vcc_lo
	v_or_b32_e32 v23, 0x400000, v16
	v_cmp_u_f32_e32 vcc_lo, v16, v16
	v_mul_f32_e32 v17, v31, v19
	v_add_f32_e32 v15, v15, v18
	v_mul_f32_e32 v18, v28, v9
	v_and_b32_e32 v19, 0xffff0000, v21
	v_cndmask_b32_e32 v16, v22, v23, vcc_lo
	v_and_b32_e32 v20, 0xffff0000, v10
	v_bfe_u32 v21, v17, 16, 1
	v_add_f32_e32 v9, v15, v14
	v_bfe_u32 v15, v18, 16, 1
	v_and_b32_e32 v16, 0xffff0000, v16
	v_cmp_u_f32_e32 vcc_lo, v17, v17
	v_lshlrev_b32_e32 v10, 16, v10
	v_add_f32_e32 v48, v48, v13
	v_add3_u32 v15, v15, v18, 0x7fff
	v_add_f32_e32 v14, v16, v19
	v_mul_f32_e32 v16, v27, v20
	v_add3_u32 v19, v21, v17, 0x7fff
	v_or_b32_e32 v20, 0x400000, v17
	v_or_b32_e32 v21, 0x400000, v18
	v_mul_f32_e32 v10, v25, v10
	v_bfe_u32 v22, v16, 16, 1
	v_cndmask_b32_e32 v17, v19, v20, vcc_lo
	v_cmp_u_f32_e32 vcc_lo, v18, v18
	v_or_b32_e32 v19, 0x400000, v16
	v_add3_u32 v18, v22, v16, 0x7fff
	v_and_b32_e32 v20, 0xffff0000, v11
	v_lshlrev_b32_e32 v11, 16, v11
	v_cndmask_b32_e32 v15, v15, v21, vcc_lo
	v_cmp_u_f32_e32 vcc_lo, v16, v16
	v_bfe_u32 v21, v10, 16, 1
	v_and_b32_e32 v17, 0xffff0000, v17
	v_mul_f32_e32 v11, v30, v11
	v_and_b32_e32 v15, 0xffff0000, v15
	v_cndmask_b32_e32 v16, v18, v19, vcc_lo
	v_mul_f32_e32 v18, v29, v20
	v_add3_u32 v19, v21, v10, 0x7fff
	v_or_b32_e32 v20, 0x400000, v10
	v_and_b32_e32 v21, 0xffff0000, v12
	v_cmp_u_f32_e32 vcc_lo, v10, v10
	v_bfe_u32 v22, v18, 16, 1
	v_bfe_u32 v23, v11, 16, 1
	v_lshlrev_b32_e32 v12, 16, v12
	v_and_b32_e32 v16, 0xffff0000, v16
	v_cndmask_b32_e32 v10, v19, v20, vcc_lo
	v_mul_f32_e32 v19, v26, v21
	v_add3_u32 v20, v22, v18, 0x7fff
	v_or_b32_e32 v21, 0x400000, v18
	v_cmp_u_f32_e32 vcc_lo, v18, v18
	v_add3_u32 v22, v23, v11, 0x7fff
	v_or_b32_e32 v23, 0x400000, v11
	v_bfe_u32 v24, v19, 16, 1
	v_and_b32_e32 v10, 0xffff0000, v10
	v_cndmask_b32_e32 v18, v20, v21, vcc_lo
	v_cmp_u_f32_e32 vcc_lo, v11, v11
	v_or_b32_e32 v21, 0x400000, v19
	v_add3_u32 v20, v24, v19, 0x7fff
	v_mul_f32_e32 v12, v32, v12
	v_add_f32_e32 v15, v15, v17
	v_cndmask_b32_e32 v11, v22, v23, vcc_lo
	v_cmp_u_f32_e32 vcc_lo, v19, v19
	v_add_f32_e32 v10, v10, v16
	v_and_b32_e32 v16, 0xffff0000, v5
	v_and_b32_e32 v17, 0xffff0000, v18
	;; [unrolled: 1-line block ×3, first 2 shown]
	v_cndmask_b32_e32 v19, v20, v21, vcc_lo
	v_bfe_u32 v20, v12, 16, 1
	v_add_f32_e32 v10, v10, v15
	v_mul_f32_e32 v15, v31, v16
	v_add_f32_e32 v11, v11, v17
	v_lshlrev_b32_e32 v5, 16, v5
	v_add3_u32 v18, v20, v12, 0x7fff
	v_or_b32_e32 v20, 0x400000, v12
	v_cmp_u_f32_e32 vcc_lo, v12, v12
	v_bfe_u32 v16, v15, 16, 1
	v_add_f32_e32 v10, v11, v10
	v_and_b32_e32 v11, 0xffff0000, v6
	v_mul_f32_e32 v5, v28, v5
	v_cndmask_b32_e32 v12, v18, v20, vcc_lo
	v_add3_u32 v16, v16, v15, 0x7fff
	v_or_b32_e32 v17, 0x400000, v15
	v_mul_f32_e32 v11, v27, v11
	v_and_b32_e32 v18, 0xffff0000, v19
	v_bfe_u32 v19, v5, 16, 1
	v_cmp_u_f32_e32 vcc_lo, v15, v15
	v_lshlrev_b32_e32 v6, 16, v6
	v_or_b32_e32 v20, 0x400000, v5
	v_or_b32_e32 v21, 0x400000, v11
	v_and_b32_e32 v12, 0xffff0000, v12
	v_cndmask_b32_e32 v15, v16, v17, vcc_lo
	v_bfe_u32 v16, v11, 16, 1
	v_add3_u32 v17, v19, v5, 0x7fff
	v_and_b32_e32 v19, 0xffff0000, v7
	v_mul_f32_e32 v6, v25, v6
	v_cmp_u_f32_e32 vcc_lo, v5, v5
	v_add3_u32 v16, v16, v11, 0x7fff
	v_lshlrev_b32_e32 v7, 16, v7
	v_mul_f32_e32 v19, v29, v19
	v_and_b32_e32 v15, 0xffff0000, v15
	v_cndmask_b32_e32 v5, v17, v20, vcc_lo
	v_bfe_u32 v17, v6, 16, 1
	v_cmp_u_f32_e32 vcc_lo, v11, v11
	v_and_b32_e32 v20, 0xffff0000, v8
	v_mul_f32_e32 v7, v30, v7
	v_or_b32_e32 v22, 0x400000, v19
	v_add3_u32 v17, v17, v6, 0x7fff
	v_cndmask_b32_e32 v11, v16, v21, vcc_lo
	v_bfe_u32 v16, v19, 16, 1
	v_or_b32_e32 v21, 0x400000, v6
	v_cmp_u_f32_e32 vcc_lo, v6, v6
	v_mul_f32_e32 v20, v26, v20
	v_lshlrev_b32_e32 v8, 16, v8
	v_add3_u32 v16, v16, v19, 0x7fff
	v_and_b32_e32 v5, 0xffff0000, v5
	v_cndmask_b32_e32 v6, v17, v21, vcc_lo
	v_bfe_u32 v17, v7, 16, 1
	v_cmp_u_f32_e32 vcc_lo, v19, v19
	v_bfe_u32 v21, v20, 16, 1
	v_or_b32_e32 v19, 0x400000, v7
	v_mul_f32_e32 v8, v32, v8
	v_add3_u32 v17, v17, v7, 0x7fff
	v_cndmask_b32_e32 v16, v16, v22, vcc_lo
	v_cmp_u_f32_e32 vcc_lo, v7, v7
	v_add3_u32 v21, v21, v20, 0x7fff
	v_or_b32_e32 v22, 0x400000, v20
	v_and_b32_e32 v6, 0xffff0000, v6
	v_and_b32_e32 v11, 0xffff0000, v11
	v_cndmask_b32_e32 v7, v17, v19, vcc_lo
	v_cmp_u_f32_e32 vcc_lo, v20, v20
	v_bfe_u32 v19, v8, 16, 1
	v_add_f32_e32 v5, v5, v15
	v_add_f32_e32 v6, v6, v11
	v_and_b32_e32 v7, 0xffff0000, v7
	v_cndmask_b32_e32 v17, v21, v22, vcc_lo
	v_and_b32_e32 v21, 0xffff0000, v1
	v_and_b32_e32 v11, 0xffff0000, v16
	v_lshlrev_b32_e32 v1, 16, v1
	v_add3_u32 v19, v19, v8, 0x7fff
	v_or_b32_e32 v20, 0x400000, v8
	v_mul_f32_e32 v15, v31, v21
	v_cmp_u_f32_e32 vcc_lo, v8, v8
	v_add_f32_e32 v5, v6, v5
	v_add_f32_e32 v7, v7, v11
	v_mul_f32_e32 v1, v28, v1
	v_bfe_u32 v6, v15, 16, 1
	v_and_b32_e32 v11, 0xffff0000, v2
	v_cndmask_b32_e32 v8, v19, v20, vcc_lo
	v_or_b32_e32 v16, 0x400000, v15
	v_bfe_u32 v19, v1, 16, 1
	v_add3_u32 v6, v6, v15, 0x7fff
	v_mul_f32_e32 v11, v27, v11
	v_lshlrev_b32_e32 v2, 16, v2
	v_cmp_u_f32_e32 vcc_lo, v15, v15
	v_add3_u32 v15, v19, v1, 0x7fff
	v_and_b32_e32 v20, 0xffff0000, v3
	v_bfe_u32 v19, v11, 16, 1
	v_mul_f32_e32 v2, v25, v2
	v_cndmask_b32_e32 v6, v6, v16, vcc_lo
	v_or_b32_e32 v16, 0x400000, v1
	v_cmp_u_f32_e32 vcc_lo, v1, v1
	v_mul_f32_e32 v20, v29, v20
	v_lshlrev_b32_e32 v3, 16, v3
	v_and_b32_e32 v21, 0xffff0000, v4
	v_lshlrev_b32_e32 v4, 16, v4
	v_cndmask_b32_e32 v1, v15, v16, vcc_lo
	v_add3_u32 v15, v19, v11, 0x7fff
	v_or_b32_e32 v16, 0x400000, v11
	v_bfe_u32 v19, v2, 16, 1
	v_cmp_u_f32_e32 vcc_lo, v11, v11
	v_mul_f32_e32 v3, v30, v3
	v_mul_f32_e32 v4, v32, v4
	v_and_b32_e32 v1, 0xffff0000, v1
	v_and_b32_e32 v6, 0xffff0000, v6
	v_cndmask_b32_e32 v11, v15, v16, vcc_lo
	v_add3_u32 v15, v19, v2, 0x7fff
	v_or_b32_e32 v16, 0x400000, v2
	v_bfe_u32 v19, v20, 16, 1
	v_cmp_u_f32_e32 vcc_lo, v2, v2
	v_or_b32_e32 v22, 0x400000, v3
	v_bfe_u32 v24, v4, 16, 1
	v_and_b32_e32 v11, 0xffff0000, v11
	v_add_f32_e32 v1, v1, v6
	v_cndmask_b32_e32 v2, v15, v16, vcc_lo
	v_bfe_u32 v15, v3, 16, 1
	v_add3_u32 v16, v19, v20, 0x7fff
	v_mul_f32_e32 v19, v26, v21
	v_or_b32_e32 v21, 0x400000, v20
	v_cmp_u_f32_e32 vcc_lo, v20, v20
	v_add3_u32 v15, v15, v3, 0x7fff
	v_add3_u32 v20, v24, v4, 0x7fff
	v_bfe_u32 v23, v19, 16, 1
	v_and_b32_e32 v2, 0xffff0000, v2
	v_cndmask_b32_e32 v16, v16, v21, vcc_lo
	v_cmp_u_f32_e32 vcc_lo, v3, v3
	v_or_b32_e32 v21, 0x400000, v4
	v_and_b32_e32 v8, 0xffff0000, v8
	v_add_f32_e32 v2, v2, v11
	v_and_b32_e32 v6, 0xffff0000, v16
	v_cndmask_b32_e32 v3, v15, v22, vcc_lo
	v_cmp_u_f32_e32 vcc_lo, v4, v4
	v_add3_u32 v15, v23, v19, 0x7fff
	v_or_b32_e32 v22, 0x400000, v19
	v_add_f32_e32 v1, v2, v1
	v_and_b32_e32 v3, 0xffff0000, v3
	v_cndmask_b32_e32 v4, v20, v21, vcc_lo
	v_cmp_u_f32_e32 vcc_lo, v19, v19
	v_add_f32_e32 v5, v7, v5
	v_add_f32_e32 v2, v3, v6
	v_and_b32_e32 v3, 0xffff0000, v4
	v_cndmask_b32_e32 v11, v15, v22, vcc_lo
	v_and_b32_e32 v15, 0xffff0000, v17
	v_add_f32_e32 v6, v12, v18
	v_add_f32_e32 v1, v2, v1
	v_cmp_le_i32_e32 vcc_lo, s11, v37
	v_and_b32_e32 v4, 0xffff0000, v11
	v_add_f32_e32 v7, v8, v15
	s_or_b32 s14, vcc_lo, s14
	v_add_f32_e32 v2, v3, v4
	v_add_f32_e32 v3, v14, v9
	;; [unrolled: 1-line block ×9, first 2 shown]
	s_andn2_b32 exec_lo, exec_lo, s14
	s_cbranch_execz .LBB167_53
.LBB167_36:                             ; =>This Inner Loop Header: Depth=1
	global_load_dword v1, v[38:39], off
	v_cmp_eq_u32_e64 s1, s12, v37
	s_waitcnt vmcnt(0)
	v_mad_i64_i32 v[1:2], null, v1, s13, 0
	v_lshlrev_b64 v[1:2], 1, v[1:2]
	v_add_co_u32 v58, vcc_lo, s6, v1
	v_add_co_ci_u32_e64 v59, null, s9, v2, vcc_lo
	v_add_co_u32 v17, vcc_lo, v58, v56
	v_add_co_ci_u32_e64 v18, null, 0, v59, vcc_lo
	global_load_dwordx4 v[1:4], v[17:18], off
	ds_read2_b64 v[29:32], v55 offset1:1
	ds_read2_b64 v[25:28], v55 offset0:2 offset1:3
	s_and_saveexec_b32 s16, s1
	s_cbranch_execnz .LBB167_48
; %bb.37:                               ;   in Loop: Header=BB167_36 Depth=1
	s_or_b32 exec_lo, exec_lo, s16
	global_load_dwordx4 v[5:8], v[17:18], off offset:512
	s_and_saveexec_b32 s16, s1
	s_cbranch_execnz .LBB167_49
.LBB167_38:                             ;   in Loop: Header=BB167_36 Depth=1
	s_or_b32 exec_lo, exec_lo, s16
	global_load_dwordx4 v[9:12], v[17:18], off offset:1024
	s_and_saveexec_b32 s16, s1
	s_cbranch_execnz .LBB167_50
.LBB167_39:                             ;   in Loop: Header=BB167_36 Depth=1
	s_or_b32 exec_lo, exec_lo, s16
	global_load_dwordx4 v[13:16], v[17:18], off offset:1536
	s_and_saveexec_b32 s16, s1
	s_cbranch_execz .LBB167_41
.LBB167_40:                             ;   in Loop: Header=BB167_36 Depth=1
	v_add_nc_u32_e32 v19, 1, v54
	v_or_b32_e32 v20, 3, v54
	v_cmp_gt_i32_e32 vcc_lo, s23, v54
	v_or_b32_e32 v21, 2, v54
	v_or_b32_e32 v23, 7, v54
	v_cmp_gt_i32_e64 s2, s15, v20
	s_waitcnt vmcnt(0)
	v_cndmask_b32_e32 v22, 0, v13, vcc_lo
	v_cmp_gt_i32_e32 vcc_lo, s15, v19
	v_cmp_gt_i32_e64 s3, s23, v21
	v_or_b32_e32 v20, 5, v54
	v_or_b32_e32 v21, 4, v54
	v_cndmask_b32_sdwa v13, v53, v13, vcc_lo dst_sel:DWORD dst_unused:UNUSED_PAD src0_sel:DWORD src1_sel:WORD_1
	s_mov_b32 vcc_lo, s2
	v_cndmask_b32_e64 v19, 0, v14, s3
	v_cndmask_b32_sdwa v14, v53, v14, vcc_lo dst_sel:DWORD dst_unused:UNUSED_PAD src0_sel:DWORD src1_sel:WORD_1
	v_cmp_gt_i32_e32 vcc_lo, s15, v20
	v_cmp_gt_i32_e64 s2, s23, v21
	v_or_b32_e32 v21, 6, v54
	v_perm_b32 v13, v13, v22, 0x5040100
	v_perm_b32 v14, v14, v19, 0x5040100
	v_cndmask_b32_e64 v20, 0, v15, s2
	v_cmp_gt_i32_e64 s2, s15, v23
	v_cndmask_b32_sdwa v15, v53, v15, vcc_lo dst_sel:DWORD dst_unused:UNUSED_PAD src0_sel:DWORD src1_sel:WORD_1
	v_cmp_gt_i32_e32 vcc_lo, s23, v21
	v_perm_b32 v15, v15, v20, 0x5040100
	v_cndmask_b32_e32 v21, 0, v16, vcc_lo
	s_mov_b32 vcc_lo, s2
	v_cndmask_b32_sdwa v16, v53, v16, vcc_lo dst_sel:DWORD dst_unused:UNUSED_PAD src0_sel:DWORD src1_sel:WORD_1
	v_perm_b32 v16, v16, v21, 0x5040100
.LBB167_41:                             ;   in Loop: Header=BB167_36 Depth=1
	s_or_b32 exec_lo, exec_lo, s16
	v_add_co_u32 v33, vcc_lo, 0x800, v17
	v_add_co_ci_u32_e64 v34, null, 0, v18, vcc_lo
	global_load_dwordx4 v[17:20], v[33:34], off
	s_and_saveexec_b32 s16, s1
	s_cbranch_execnz .LBB167_51
; %bb.42:                               ;   in Loop: Header=BB167_36 Depth=1
	s_or_b32 exec_lo, exec_lo, s16
	global_load_dwordx4 v[21:24], v[33:34], off offset:512
	s_and_saveexec_b32 s16, s1
	s_cbranch_execnz .LBB167_52
.LBB167_43:                             ;   in Loop: Header=BB167_36 Depth=1
	s_or_b32 exec_lo, exec_lo, s16
	global_load_dwordx4 v[33:36], v[33:34], off offset:1024
	s_and_saveexec_b32 s16, s1
	s_cbranch_execz .LBB167_45
.LBB167_44:                             ;   in Loop: Header=BB167_36 Depth=1
	v_add_nc_u32_e32 v60, 1, v54
	v_or_b32_e32 v61, 3, v54
	v_cmp_gt_i32_e32 vcc_lo, s23, v54
	v_or_b32_e32 v62, 2, v54
	v_or_b32_e32 v64, 7, v54
	v_cmp_gt_i32_e64 s2, s15, v61
	s_waitcnt vmcnt(0)
	v_cndmask_b32_e32 v63, 0, v33, vcc_lo
	v_cmp_gt_i32_e32 vcc_lo, s15, v60
	v_cmp_gt_i32_e64 s3, s23, v62
	v_or_b32_e32 v61, 5, v54
	v_or_b32_e32 v62, 4, v54
	v_cndmask_b32_sdwa v33, v53, v33, vcc_lo dst_sel:DWORD dst_unused:UNUSED_PAD src0_sel:DWORD src1_sel:WORD_1
	s_mov_b32 vcc_lo, s2
	v_cndmask_b32_e64 v60, 0, v34, s3
	v_cndmask_b32_sdwa v34, v53, v34, vcc_lo dst_sel:DWORD dst_unused:UNUSED_PAD src0_sel:DWORD src1_sel:WORD_1
	v_cmp_gt_i32_e32 vcc_lo, s15, v61
	v_cmp_gt_i32_e64 s2, s23, v62
	v_or_b32_e32 v62, 6, v54
	v_perm_b32 v33, v33, v63, 0x5040100
	v_perm_b32 v34, v34, v60, 0x5040100
	v_cndmask_b32_e64 v61, 0, v35, s2
	v_cmp_gt_i32_e64 s2, s15, v64
	v_cndmask_b32_sdwa v35, v53, v35, vcc_lo dst_sel:DWORD dst_unused:UNUSED_PAD src0_sel:DWORD src1_sel:WORD_1
	v_cmp_gt_i32_e32 vcc_lo, s23, v62
	v_perm_b32 v35, v35, v61, 0x5040100
	v_cndmask_b32_e32 v62, 0, v36, vcc_lo
	s_mov_b32 vcc_lo, s2
	v_cndmask_b32_sdwa v36, v53, v36, vcc_lo dst_sel:DWORD dst_unused:UNUSED_PAD src0_sel:DWORD src1_sel:WORD_1
	v_perm_b32 v36, v36, v62, 0x5040100
.LBB167_45:                             ;   in Loop: Header=BB167_36 Depth=1
	s_or_b32 exec_lo, exec_lo, s16
	s_waitcnt lgkmcnt(1)
	v_bfe_u32 v60, v29, 16, 1
	v_bfe_u32 v61, v30, 16, 1
	v_or_b32_e32 v62, 0x400000, v29
	v_cmp_u_f32_e32 vcc_lo, v29, v29
	v_or_b32_e32 v63, 0x400000, v30
	v_add3_u32 v60, v60, v29, 0x7fff
	v_bfe_u32 v64, v31, 16, 1
	v_add3_u32 v61, v61, v30, 0x7fff
	v_bfe_u32 v65, v32, 16, 1
	v_cndmask_b32_e32 v29, v60, v62, vcc_lo
	v_cmp_u_f32_e32 vcc_lo, v30, v30
	v_add3_u32 v60, v64, v31, 0x7fff
	s_waitcnt lgkmcnt(0)
	v_bfe_u32 v62, v25, 16, 1
	v_or_b32_e32 v64, 0x400000, v32
	v_cndmask_b32_e32 v30, v61, v63, vcc_lo
	v_or_b32_e32 v61, 0x400000, v31
	v_cmp_u_f32_e32 vcc_lo, v31, v31
	v_add3_u32 v63, v65, v32, 0x7fff
	v_or_b32_e32 v65, 0x400000, v28
	v_cndmask_b32_e32 v31, v60, v61, vcc_lo
	v_cmp_u_f32_e32 vcc_lo, v32, v32
	v_add3_u32 v60, v62, v25, 0x7fff
	v_or_b32_e32 v61, 0x400000, v25
	v_bfe_u32 v62, v26, 16, 1
	v_cndmask_b32_e32 v32, v63, v64, vcc_lo
	v_cmp_u_f32_e32 vcc_lo, v25, v25
	v_bfe_u32 v63, v27, 16, 1
	v_or_b32_e32 v64, 0x400000, v27
	v_cndmask_b32_e32 v25, v60, v61, vcc_lo
	v_add3_u32 v61, v62, v26, 0x7fff
	v_or_b32_e32 v62, 0x400000, v26
	v_cmp_u_f32_e32 vcc_lo, v26, v26
	v_bfe_u32 v60, v28, 16, 1
	v_add3_u32 v63, v63, v27, 0x7fff
	v_cndmask_b32_e32 v26, v61, v62, vcc_lo
	v_cmp_u_f32_e32 vcc_lo, v27, v27
	v_add3_u32 v60, v60, v28, 0x7fff
	v_cndmask_b32_e32 v27, v63, v64, vcc_lo
	v_cmp_u_f32_e32 vcc_lo, v28, v28
	v_cndmask_b32_e32 v28, v60, v65, vcc_lo
	v_perm_b32 v60, v30, v29, 0x7060302
	v_perm_b32 v29, v32, v31, 0x7060302
	v_perm_b32 v30, v26, v25, 0x7060302
	v_perm_b32 v32, v28, v27, 0x7060302
	s_and_saveexec_b32 s3, s0
	s_cbranch_execz .LBB167_35
; %bb.46:                               ;   in Loop: Header=BB167_36 Depth=1
	v_add_co_u32 v25, vcc_lo, v58, v57
	v_add_co_ci_u32_e64 v26, null, 0, v59, vcc_lo
	global_load_dwordx4 v[25:28], v[25:26], off
	s_and_saveexec_b32 s16, s1
	s_cbranch_execz .LBB167_34
; %bb.47:                               ;   in Loop: Header=BB167_36 Depth=1
	v_add_nc_u32_e32 v31, 1, v54
	v_or_b32_e32 v58, 3, v54
	v_cmp_gt_i32_e32 vcc_lo, s23, v54
	v_or_b32_e32 v59, 2, v54
	v_or_b32_e32 v62, 7, v54
	v_cmp_gt_i32_e64 s1, s15, v58
	s_waitcnt vmcnt(0)
	v_cndmask_b32_e32 v61, 0, v25, vcc_lo
	v_cmp_gt_i32_e32 vcc_lo, s15, v31
	v_cmp_gt_i32_e64 s2, s23, v59
	v_or_b32_e32 v58, 5, v54
	v_or_b32_e32 v59, 4, v54
	v_cndmask_b32_sdwa v25, v53, v25, vcc_lo dst_sel:DWORD dst_unused:UNUSED_PAD src0_sel:DWORD src1_sel:WORD_1
	s_mov_b32 vcc_lo, s1
	v_cndmask_b32_e64 v31, 0, v26, s2
	v_cndmask_b32_sdwa v26, v53, v26, vcc_lo dst_sel:DWORD dst_unused:UNUSED_PAD src0_sel:DWORD src1_sel:WORD_1
	v_cmp_gt_i32_e32 vcc_lo, s15, v58
	v_cmp_gt_i32_e64 s1, s23, v59
	v_or_b32_e32 v59, 6, v54
	v_perm_b32 v25, v25, v61, 0x5040100
	v_perm_b32 v26, v26, v31, 0x5040100
	v_cndmask_b32_e64 v58, 0, v27, s1
	v_cmp_gt_i32_e64 s1, s15, v62
	v_cndmask_b32_sdwa v27, v53, v27, vcc_lo dst_sel:DWORD dst_unused:UNUSED_PAD src0_sel:DWORD src1_sel:WORD_1
	v_cmp_gt_i32_e32 vcc_lo, s23, v59
	v_perm_b32 v27, v27, v58, 0x5040100
	v_cndmask_b32_e32 v59, 0, v28, vcc_lo
	s_mov_b32 vcc_lo, s1
	v_cndmask_b32_sdwa v28, v53, v28, vcc_lo dst_sel:DWORD dst_unused:UNUSED_PAD src0_sel:DWORD src1_sel:WORD_1
	v_perm_b32 v28, v28, v59, 0x5040100
	s_branch .LBB167_34
.LBB167_48:                             ;   in Loop: Header=BB167_36 Depth=1
	v_add_nc_u32_e32 v5, 1, v54
	v_or_b32_e32 v6, 3, v54
	v_cmp_gt_i32_e32 vcc_lo, s23, v54
	v_or_b32_e32 v7, 2, v54
	v_or_b32_e32 v9, 7, v54
	v_cmp_gt_i32_e64 s2, s15, v6
	s_waitcnt vmcnt(0)
	v_cndmask_b32_e32 v8, 0, v1, vcc_lo
	v_cmp_gt_i32_e32 vcc_lo, s15, v5
	v_cmp_gt_i32_e64 s3, s23, v7
	v_or_b32_e32 v6, 5, v54
	v_or_b32_e32 v7, 4, v54
	v_cndmask_b32_sdwa v1, v53, v1, vcc_lo dst_sel:DWORD dst_unused:UNUSED_PAD src0_sel:DWORD src1_sel:WORD_1
	s_mov_b32 vcc_lo, s2
	v_cndmask_b32_e64 v5, 0, v2, s3
	v_cndmask_b32_sdwa v2, v53, v2, vcc_lo dst_sel:DWORD dst_unused:UNUSED_PAD src0_sel:DWORD src1_sel:WORD_1
	v_cmp_gt_i32_e32 vcc_lo, s15, v6
	v_cmp_gt_i32_e64 s2, s23, v7
	v_or_b32_e32 v7, 6, v54
	v_perm_b32 v1, v1, v8, 0x5040100
	v_perm_b32 v2, v2, v5, 0x5040100
	v_cndmask_b32_e64 v6, 0, v3, s2
	v_cmp_gt_i32_e64 s2, s15, v9
	v_cndmask_b32_sdwa v3, v53, v3, vcc_lo dst_sel:DWORD dst_unused:UNUSED_PAD src0_sel:DWORD src1_sel:WORD_1
	v_cmp_gt_i32_e32 vcc_lo, s23, v7
	v_perm_b32 v3, v3, v6, 0x5040100
	v_cndmask_b32_e32 v7, 0, v4, vcc_lo
	s_mov_b32 vcc_lo, s2
	v_cndmask_b32_sdwa v4, v53, v4, vcc_lo dst_sel:DWORD dst_unused:UNUSED_PAD src0_sel:DWORD src1_sel:WORD_1
	v_perm_b32 v4, v4, v7, 0x5040100
	s_or_b32 exec_lo, exec_lo, s16
	global_load_dwordx4 v[5:8], v[17:18], off offset:512
	s_and_saveexec_b32 s16, s1
	s_cbranch_execz .LBB167_38
.LBB167_49:                             ;   in Loop: Header=BB167_36 Depth=1
	v_add_nc_u32_e32 v9, 1, v54
	v_or_b32_e32 v10, 3, v54
	v_cmp_gt_i32_e32 vcc_lo, s23, v54
	v_or_b32_e32 v11, 2, v54
	v_or_b32_e32 v13, 7, v54
	v_cmp_gt_i32_e64 s2, s15, v10
	s_waitcnt vmcnt(0)
	v_cndmask_b32_e32 v12, 0, v5, vcc_lo
	v_cmp_gt_i32_e32 vcc_lo, s15, v9
	v_cmp_gt_i32_e64 s3, s23, v11
	v_or_b32_e32 v10, 5, v54
	v_or_b32_e32 v11, 4, v54
	v_cndmask_b32_sdwa v5, v53, v5, vcc_lo dst_sel:DWORD dst_unused:UNUSED_PAD src0_sel:DWORD src1_sel:WORD_1
	s_mov_b32 vcc_lo, s2
	v_cndmask_b32_e64 v9, 0, v6, s3
	v_cndmask_b32_sdwa v6, v53, v6, vcc_lo dst_sel:DWORD dst_unused:UNUSED_PAD src0_sel:DWORD src1_sel:WORD_1
	v_cmp_gt_i32_e32 vcc_lo, s15, v10
	v_cmp_gt_i32_e64 s2, s23, v11
	v_or_b32_e32 v11, 6, v54
	v_perm_b32 v5, v5, v12, 0x5040100
	v_perm_b32 v6, v6, v9, 0x5040100
	v_cndmask_b32_e64 v10, 0, v7, s2
	v_cmp_gt_i32_e64 s2, s15, v13
	v_cndmask_b32_sdwa v7, v53, v7, vcc_lo dst_sel:DWORD dst_unused:UNUSED_PAD src0_sel:DWORD src1_sel:WORD_1
	v_cmp_gt_i32_e32 vcc_lo, s23, v11
	v_perm_b32 v7, v7, v10, 0x5040100
	v_cndmask_b32_e32 v11, 0, v8, vcc_lo
	s_mov_b32 vcc_lo, s2
	v_cndmask_b32_sdwa v8, v53, v8, vcc_lo dst_sel:DWORD dst_unused:UNUSED_PAD src0_sel:DWORD src1_sel:WORD_1
	v_perm_b32 v8, v8, v11, 0x5040100
	s_or_b32 exec_lo, exec_lo, s16
	global_load_dwordx4 v[9:12], v[17:18], off offset:1024
	s_and_saveexec_b32 s16, s1
	s_cbranch_execz .LBB167_39
.LBB167_50:                             ;   in Loop: Header=BB167_36 Depth=1
	v_add_nc_u32_e32 v13, 1, v54
	v_or_b32_e32 v14, 3, v54
	v_cmp_gt_i32_e32 vcc_lo, s23, v54
	v_or_b32_e32 v15, 2, v54
	v_or_b32_e32 v19, 7, v54
	v_cmp_gt_i32_e64 s2, s15, v14
	s_waitcnt vmcnt(0)
	v_cndmask_b32_e32 v16, 0, v9, vcc_lo
	v_cmp_gt_i32_e32 vcc_lo, s15, v13
	v_cmp_gt_i32_e64 s3, s23, v15
	v_or_b32_e32 v14, 5, v54
	v_or_b32_e32 v15, 4, v54
	v_cndmask_b32_sdwa v9, v53, v9, vcc_lo dst_sel:DWORD dst_unused:UNUSED_PAD src0_sel:DWORD src1_sel:WORD_1
	s_mov_b32 vcc_lo, s2
	v_cndmask_b32_e64 v13, 0, v10, s3
	v_cndmask_b32_sdwa v10, v53, v10, vcc_lo dst_sel:DWORD dst_unused:UNUSED_PAD src0_sel:DWORD src1_sel:WORD_1
	v_cmp_gt_i32_e32 vcc_lo, s15, v14
	v_cmp_gt_i32_e64 s2, s23, v15
	v_or_b32_e32 v15, 6, v54
	v_perm_b32 v9, v9, v16, 0x5040100
	v_perm_b32 v10, v10, v13, 0x5040100
	v_cndmask_b32_e64 v14, 0, v11, s2
	v_cmp_gt_i32_e64 s2, s15, v19
	v_cndmask_b32_sdwa v11, v53, v11, vcc_lo dst_sel:DWORD dst_unused:UNUSED_PAD src0_sel:DWORD src1_sel:WORD_1
	v_cmp_gt_i32_e32 vcc_lo, s23, v15
	v_perm_b32 v11, v11, v14, 0x5040100
	v_cndmask_b32_e32 v15, 0, v12, vcc_lo
	s_mov_b32 vcc_lo, s2
	v_cndmask_b32_sdwa v12, v53, v12, vcc_lo dst_sel:DWORD dst_unused:UNUSED_PAD src0_sel:DWORD src1_sel:WORD_1
	v_perm_b32 v12, v12, v15, 0x5040100
	s_or_b32 exec_lo, exec_lo, s16
	global_load_dwordx4 v[13:16], v[17:18], off offset:1536
	s_and_saveexec_b32 s16, s1
	s_cbranch_execnz .LBB167_40
	s_branch .LBB167_41
.LBB167_51:                             ;   in Loop: Header=BB167_36 Depth=1
	v_add_nc_u32_e32 v21, 1, v54
	v_or_b32_e32 v22, 3, v54
	v_cmp_gt_i32_e32 vcc_lo, s23, v54
	v_or_b32_e32 v23, 2, v54
	v_or_b32_e32 v35, 7, v54
	v_cmp_gt_i32_e64 s2, s15, v22
	s_waitcnt vmcnt(0)
	v_cndmask_b32_e32 v24, 0, v17, vcc_lo
	v_cmp_gt_i32_e32 vcc_lo, s15, v21
	v_cmp_gt_i32_e64 s3, s23, v23
	v_or_b32_e32 v22, 5, v54
	v_or_b32_e32 v23, 4, v54
	v_cndmask_b32_sdwa v17, v53, v17, vcc_lo dst_sel:DWORD dst_unused:UNUSED_PAD src0_sel:DWORD src1_sel:WORD_1
	s_mov_b32 vcc_lo, s2
	v_cndmask_b32_e64 v21, 0, v18, s3
	v_cndmask_b32_sdwa v18, v53, v18, vcc_lo dst_sel:DWORD dst_unused:UNUSED_PAD src0_sel:DWORD src1_sel:WORD_1
	v_cmp_gt_i32_e32 vcc_lo, s15, v22
	v_cmp_gt_i32_e64 s2, s23, v23
	v_or_b32_e32 v23, 6, v54
	v_perm_b32 v17, v17, v24, 0x5040100
	v_perm_b32 v18, v18, v21, 0x5040100
	v_cndmask_b32_e64 v22, 0, v19, s2
	v_cmp_gt_i32_e64 s2, s15, v35
	v_cndmask_b32_sdwa v19, v53, v19, vcc_lo dst_sel:DWORD dst_unused:UNUSED_PAD src0_sel:DWORD src1_sel:WORD_1
	v_cmp_gt_i32_e32 vcc_lo, s23, v23
	v_perm_b32 v19, v19, v22, 0x5040100
	v_cndmask_b32_e32 v23, 0, v20, vcc_lo
	s_mov_b32 vcc_lo, s2
	v_cndmask_b32_sdwa v20, v53, v20, vcc_lo dst_sel:DWORD dst_unused:UNUSED_PAD src0_sel:DWORD src1_sel:WORD_1
	v_perm_b32 v20, v20, v23, 0x5040100
	s_or_b32 exec_lo, exec_lo, s16
	global_load_dwordx4 v[21:24], v[33:34], off offset:512
	s_and_saveexec_b32 s16, s1
	s_cbranch_execz .LBB167_43
.LBB167_52:                             ;   in Loop: Header=BB167_36 Depth=1
	v_add_nc_u32_e32 v35, 1, v54
	v_or_b32_e32 v36, 3, v54
	v_cmp_gt_i32_e32 vcc_lo, s23, v54
	v_or_b32_e32 v60, 2, v54
	v_or_b32_e32 v62, 7, v54
	v_cmp_gt_i32_e64 s2, s15, v36
	s_waitcnt vmcnt(0)
	v_cndmask_b32_e32 v61, 0, v21, vcc_lo
	v_cmp_gt_i32_e32 vcc_lo, s15, v35
	v_cmp_gt_i32_e64 s3, s23, v60
	v_or_b32_e32 v36, 5, v54
	v_or_b32_e32 v60, 4, v54
	v_cndmask_b32_sdwa v21, v53, v21, vcc_lo dst_sel:DWORD dst_unused:UNUSED_PAD src0_sel:DWORD src1_sel:WORD_1
	s_mov_b32 vcc_lo, s2
	v_cndmask_b32_e64 v35, 0, v22, s3
	v_cndmask_b32_sdwa v22, v53, v22, vcc_lo dst_sel:DWORD dst_unused:UNUSED_PAD src0_sel:DWORD src1_sel:WORD_1
	v_cmp_gt_i32_e32 vcc_lo, s15, v36
	v_cmp_gt_i32_e64 s2, s23, v60
	v_or_b32_e32 v60, 6, v54
	v_perm_b32 v21, v21, v61, 0x5040100
	v_perm_b32 v22, v22, v35, 0x5040100
	v_cndmask_b32_e64 v36, 0, v23, s2
	v_cmp_gt_i32_e64 s2, s15, v62
	v_cndmask_b32_sdwa v23, v53, v23, vcc_lo dst_sel:DWORD dst_unused:UNUSED_PAD src0_sel:DWORD src1_sel:WORD_1
	v_cmp_gt_i32_e32 vcc_lo, s23, v60
	v_perm_b32 v23, v23, v36, 0x5040100
	v_cndmask_b32_e32 v60, 0, v24, vcc_lo
	s_mov_b32 vcc_lo, s2
	v_cndmask_b32_sdwa v24, v53, v24, vcc_lo dst_sel:DWORD dst_unused:UNUSED_PAD src0_sel:DWORD src1_sel:WORD_1
	v_perm_b32 v24, v24, v60, 0x5040100
	s_or_b32 exec_lo, exec_lo, s16
	global_load_dwordx4 v[33:36], v[33:34], off offset:1024
	s_and_saveexec_b32 s16, s1
	s_cbranch_execnz .LBB167_44
	s_branch .LBB167_45
.LBB167_53:
	s_or_b32 exec_lo, exec_lo, s14
.LBB167_54:
	s_or_b32 exec_lo, exec_lo, s5
	ds_bpermute_b32 v1, v44, v51
	ds_bpermute_b32 v2, v44, v52
	;; [unrolled: 1-line block ×8, first 2 shown]
	s_movk_i32 s0, 0x1e0
	v_and_b32_e32 v14, 0x3c0, v0
	v_mad_u32_u24 v9, v42, s0, 0x110
	s_mov_b32 s1, exec_lo
	v_cmp_eq_u32_e32 vcc_lo, 0, v41
	s_waitcnt lgkmcnt(0)
	s_waitcnt_vscnt null, 0x0
	s_barrier
	buffer_gl0_inv
	v_add_f32_e32 v8, v51, v1
	v_add_f32_e32 v7, v52, v2
	;; [unrolled: 1-line block ×8, first 2 shown]
	v_cmpx_eq_u32_e32 64, v14
	s_cbranch_execz .LBB167_59
; %bb.55:
	v_add_nc_u32_e32 v10, 0xfffffc40, v9
	s_and_saveexec_b32 s0, vcc_lo
	s_cbranch_execz .LBB167_57
; %bb.56:
	v_lshl_add_u32 v11, v43, 2, v10
	ds_write2_b32 v11, v8, v7 offset1:16
	ds_write2_b32 v11, v6, v5 offset0:32 offset1:48
	ds_write2_b32 v11, v4, v3 offset0:64 offset1:80
	ds_write_b32 v11, v2 offset:384
.LBB167_57:
	s_or_b32 exec_lo, exec_lo, s0
	v_or_b32_e32 v11, 0x70, v43
	v_cmp_gt_u32_e64 s0, 0x78, v11
	s_and_b32 s0, vcc_lo, s0
	s_and_b32 exec_lo, exec_lo, s0
; %bb.58:
	v_lshl_add_u32 v10, v11, 2, v10
	ds_write_b32 v10, v1
.LBB167_59:
	s_or_b32 exec_lo, exec_lo, s1
	s_mov_b32 s1, exec_lo
	s_waitcnt lgkmcnt(0)
	s_barrier
	buffer_gl0_inv
	v_cmpx_gt_u32_e32 64, v0
	s_cbranch_execz .LBB167_71
; %bb.60:
	s_and_saveexec_b32 s0, vcc_lo
	s_cbranch_execnz .LBB167_106
; %bb.61:
	s_or_b32 exec_lo, exec_lo, s0
	s_and_saveexec_b32 s0, vcc_lo
	s_cbranch_execnz .LBB167_107
.LBB167_62:
	s_or_b32 exec_lo, exec_lo, s0
	s_and_saveexec_b32 s0, vcc_lo
	s_cbranch_execnz .LBB167_108
.LBB167_63:
	s_or_b32 exec_lo, exec_lo, s0
	s_and_saveexec_b32 s0, vcc_lo
	s_cbranch_execnz .LBB167_109
.LBB167_64:
	s_or_b32 exec_lo, exec_lo, s0
	s_and_saveexec_b32 s0, vcc_lo
	s_cbranch_execnz .LBB167_110
.LBB167_65:
	s_or_b32 exec_lo, exec_lo, s0
	s_and_saveexec_b32 s0, vcc_lo
	s_cbranch_execnz .LBB167_111
.LBB167_66:
	s_or_b32 exec_lo, exec_lo, s0
	s_and_saveexec_b32 s0, vcc_lo
	s_cbranch_execz .LBB167_68
.LBB167_67:
	v_lshl_add_u32 v10, v43, 2, v9
	ds_read_b32 v10, v10 offset:384
	s_waitcnt lgkmcnt(0)
	v_add_f32_e32 v2, v2, v10
.LBB167_68:
	s_or_b32 exec_lo, exec_lo, s0
	v_or_b32_e32 v10, 0x70, v43
	v_cmp_gt_u32_e64 s0, 0x78, v10
	s_and_b32 s2, vcc_lo, s0
	s_and_saveexec_b32 s0, s2
	s_cbranch_execz .LBB167_70
; %bb.69:
	v_lshl_add_u32 v10, v43, 2, v9
	ds_read_b32 v10, v10 offset:448
	s_waitcnt lgkmcnt(0)
	v_add_f32_e32 v1, v1, v10
.LBB167_70:
	s_or_b32 exec_lo, exec_lo, s0
.LBB167_71:
	s_or_b32 exec_lo, exec_lo, s1
	v_and_b32_e32 v10, 0x3e0, v0
	s_mov_b32 s1, exec_lo
	s_barrier
	buffer_gl0_inv
	v_cmpx_eq_u32_e32 32, v10
	s_cbranch_execz .LBB167_76
; %bb.72:
	v_lshl_add_u32 v10, v43, 2, 0x110
	s_and_saveexec_b32 s0, vcc_lo
	s_cbranch_execz .LBB167_74
; %bb.73:
	ds_write2_b32 v10, v8, v7 offset1:16
	ds_write2_b32 v10, v6, v5 offset0:32 offset1:48
	ds_write2_b32 v10, v4, v3 offset0:64 offset1:80
	ds_write_b32 v10, v2 offset:384
.LBB167_74:
	s_or_b32 exec_lo, exec_lo, s0
	v_or_b32_e32 v11, 0x70, v43
	v_cmp_gt_u32_e64 s0, 0x78, v11
	s_and_b32 s0, vcc_lo, s0
	s_and_b32 exec_lo, exec_lo, s0
; %bb.75:
	ds_write_b32 v10, v1 offset:448
.LBB167_76:
	s_or_b32 exec_lo, exec_lo, s1
	v_cmp_gt_u32_e64 s0, 32, v0
	s_waitcnt lgkmcnt(0)
	s_barrier
	buffer_gl0_inv
	s_and_saveexec_b32 s2, s0
	s_cbranch_execz .LBB167_88
; %bb.77:
	v_lshl_add_u32 v0, v43, 2, v9
	s_and_saveexec_b32 s1, vcc_lo
	s_cbranch_execnz .LBB167_112
; %bb.78:
	s_or_b32 exec_lo, exec_lo, s1
	s_and_saveexec_b32 s1, vcc_lo
	s_cbranch_execnz .LBB167_113
.LBB167_79:
	s_or_b32 exec_lo, exec_lo, s1
	s_and_saveexec_b32 s1, vcc_lo
	s_cbranch_execnz .LBB167_114
.LBB167_80:
	s_or_b32 exec_lo, exec_lo, s1
	s_and_saveexec_b32 s1, vcc_lo
	s_cbranch_execnz .LBB167_115
.LBB167_81:
	s_or_b32 exec_lo, exec_lo, s1
	s_and_saveexec_b32 s1, vcc_lo
	s_cbranch_execnz .LBB167_116
.LBB167_82:
	s_or_b32 exec_lo, exec_lo, s1
	s_and_saveexec_b32 s1, vcc_lo
	s_cbranch_execnz .LBB167_117
.LBB167_83:
	s_or_b32 exec_lo, exec_lo, s1
	s_and_saveexec_b32 s1, vcc_lo
	s_cbranch_execz .LBB167_85
.LBB167_84:
	ds_read_b32 v9, v0 offset:384
	s_waitcnt lgkmcnt(0)
	v_add_f32_e32 v2, v2, v9
.LBB167_85:
	s_or_b32 exec_lo, exec_lo, s1
	v_or_b32_e32 v9, 0x70, v43
	v_cmp_gt_u32_e64 s1, 0x78, v9
	s_and_b32 s3, vcc_lo, s1
	s_and_saveexec_b32 s1, s3
	s_cbranch_execz .LBB167_87
; %bb.86:
	ds_read_b32 v0, v0 offset:448
	s_waitcnt lgkmcnt(0)
	v_add_f32_e32 v1, v1, v0
.LBB167_87:
	s_or_b32 exec_lo, exec_lo, s1
.LBB167_88:
	s_or_b32 exec_lo, exec_lo, s2
	s_barrier
	buffer_gl0_inv
	s_and_saveexec_b32 s1, s0
	s_cbranch_execz .LBB167_105
; %bb.89:
	s_mul_i32 s0, s4, 0x78
	s_mul_i32 s2, s7, s10
	s_ashr_i32 s1, s0, 31
	v_lshlrev_b32_e32 v0, 1, v40
	s_lshl_b64 s[0:1], s[0:1], 1
	s_add_u32 s4, s20, s0
	s_addc_u32 s5, s21, s1
	s_ashr_i32 s3, s2, 31
	s_lshl_b64 s[0:1], s[2:3], 1
	s_mul_i32 s2, s8, 0x78
	s_add_u32 s4, s4, s0
	s_addc_u32 s5, s5, s1
	s_ashr_i32 s3, s2, 31
	s_lshl_b64 s[0:1], s[2:3], 1
	s_add_u32 s2, s4, s0
	s_addc_u32 s3, s5, s1
	s_and_saveexec_b32 s1, vcc_lo
	s_cbranch_execz .LBB167_91
; %bb.90:
	v_bfe_u32 v9, v8, 16, 1
	v_or_b32_e32 v10, 0x400000, v8
	v_cmp_u_f32_e64 s0, v8, v8
	v_add3_u32 v9, v9, v8, 0x7fff
	v_cndmask_b32_e64 v8, v9, v10, s0
	global_store_short_d16_hi v0, v8, s[2:3]
.LBB167_91:
	s_or_b32 exec_lo, exec_lo, s1
	v_or_b32_e32 v8, 16, v40
	v_cmp_gt_u32_e64 s0, 0x78, v8
	s_and_b32 s0, vcc_lo, s0
	s_and_saveexec_b32 s1, s0
	s_cbranch_execz .LBB167_93
; %bb.92:
	v_bfe_u32 v8, v7, 16, 1
	v_or_b32_e32 v9, 0x400000, v7
	v_cmp_u_f32_e64 s0, v7, v7
	v_add3_u32 v8, v8, v7, 0x7fff
	v_cndmask_b32_e64 v7, v8, v9, s0
	global_store_short_d16_hi v0, v7, s[2:3] offset:32
.LBB167_93:
	s_or_b32 exec_lo, exec_lo, s1
	v_or_b32_e32 v7, 32, v40
	v_cmp_gt_u32_e64 s0, 0x78, v7
	s_and_b32 s0, vcc_lo, s0
	s_and_saveexec_b32 s1, s0
	s_cbranch_execz .LBB167_95
; %bb.94:
	v_bfe_u32 v7, v6, 16, 1
	v_or_b32_e32 v8, 0x400000, v6
	v_cmp_u_f32_e64 s0, v6, v6
	v_add3_u32 v7, v7, v6, 0x7fff
	v_cndmask_b32_e64 v6, v7, v8, s0
	global_store_short_d16_hi v0, v6, s[2:3] offset:64
.LBB167_95:
	;; [unrolled: 14-line block ×6, first 2 shown]
	s_or_b32 exec_lo, exec_lo, s1
	v_or_b32_e32 v2, 0x70, v40
	v_cmp_gt_u32_e64 s0, 0x78, v2
	s_and_b32 s0, vcc_lo, s0
	s_and_b32 exec_lo, exec_lo, s0
	s_cbranch_execz .LBB167_105
; %bb.104:
	v_bfe_u32 v2, v1, 16, 1
	v_or_b32_e32 v3, 0x400000, v1
	v_cmp_u_f32_e32 vcc_lo, v1, v1
	v_add3_u32 v2, v2, v1, 0x7fff
	v_cndmask_b32_e32 v1, v2, v3, vcc_lo
	global_store_short_d16_hi v0, v1, s[2:3] offset:224
.LBB167_105:
	s_endpgm
.LBB167_106:
	v_lshl_add_u32 v10, v43, 2, v9
	ds_read_b32 v10, v10
	s_waitcnt lgkmcnt(0)
	v_add_f32_e32 v8, v8, v10
	s_or_b32 exec_lo, exec_lo, s0
	s_and_saveexec_b32 s0, vcc_lo
	s_cbranch_execz .LBB167_62
.LBB167_107:
	v_lshl_add_u32 v10, v43, 2, v9
	ds_read_b32 v10, v10 offset:64
	s_waitcnt lgkmcnt(0)
	v_add_f32_e32 v7, v7, v10
	s_or_b32 exec_lo, exec_lo, s0
	s_and_saveexec_b32 s0, vcc_lo
	s_cbranch_execz .LBB167_63
.LBB167_108:
	v_lshl_add_u32 v10, v43, 2, v9
	ds_read_b32 v10, v10 offset:128
	s_waitcnt lgkmcnt(0)
	v_add_f32_e32 v6, v6, v10
	s_or_b32 exec_lo, exec_lo, s0
	s_and_saveexec_b32 s0, vcc_lo
	s_cbranch_execz .LBB167_64
.LBB167_109:
	v_lshl_add_u32 v10, v43, 2, v9
	ds_read_b32 v10, v10 offset:192
	s_waitcnt lgkmcnt(0)
	v_add_f32_e32 v5, v5, v10
	s_or_b32 exec_lo, exec_lo, s0
	s_and_saveexec_b32 s0, vcc_lo
	s_cbranch_execz .LBB167_65
.LBB167_110:
	v_lshl_add_u32 v10, v43, 2, v9
	ds_read_b32 v10, v10 offset:256
	s_waitcnt lgkmcnt(0)
	v_add_f32_e32 v4, v4, v10
	s_or_b32 exec_lo, exec_lo, s0
	s_and_saveexec_b32 s0, vcc_lo
	s_cbranch_execz .LBB167_66
.LBB167_111:
	v_lshl_add_u32 v10, v43, 2, v9
	ds_read_b32 v10, v10 offset:320
	s_waitcnt lgkmcnt(0)
	v_add_f32_e32 v3, v3, v10
	s_or_b32 exec_lo, exec_lo, s0
	s_and_saveexec_b32 s0, vcc_lo
	s_cbranch_execnz .LBB167_67
	s_branch .LBB167_68
.LBB167_112:
	ds_read_b32 v9, v0
	s_waitcnt lgkmcnt(0)
	v_add_f32_e32 v8, v8, v9
	s_or_b32 exec_lo, exec_lo, s1
	s_and_saveexec_b32 s1, vcc_lo
	s_cbranch_execz .LBB167_79
.LBB167_113:
	ds_read_b32 v9, v0 offset:64
	s_waitcnt lgkmcnt(0)
	v_add_f32_e32 v7, v7, v9
	s_or_b32 exec_lo, exec_lo, s1
	s_and_saveexec_b32 s1, vcc_lo
	s_cbranch_execz .LBB167_80
.LBB167_114:
	ds_read_b32 v9, v0 offset:128
	s_waitcnt lgkmcnt(0)
	v_add_f32_e32 v6, v6, v9
	s_or_b32 exec_lo, exec_lo, s1
	s_and_saveexec_b32 s1, vcc_lo
	s_cbranch_execz .LBB167_81
.LBB167_115:
	ds_read_b32 v9, v0 offset:192
	s_waitcnt lgkmcnt(0)
	v_add_f32_e32 v5, v5, v9
	s_or_b32 exec_lo, exec_lo, s1
	s_and_saveexec_b32 s1, vcc_lo
	s_cbranch_execz .LBB167_82
.LBB167_116:
	ds_read_b32 v9, v0 offset:256
	s_waitcnt lgkmcnt(0)
	v_add_f32_e32 v4, v4, v9
	s_or_b32 exec_lo, exec_lo, s1
	s_and_saveexec_b32 s1, vcc_lo
	s_cbranch_execz .LBB167_83
.LBB167_117:
	ds_read_b32 v9, v0 offset:320
	s_waitcnt lgkmcnt(0)
	v_add_f32_e32 v3, v3, v9
	s_or_b32 exec_lo, exec_lo, s1
	s_and_saveexec_b32 s1, vcc_lo
	s_cbranch_execnz .LBB167_84
	s_branch .LBB167_85
	.section	.rodata,"a",@progbits
	.p2align	6, 0x0
	.amdhsa_kernel _ZN4vllm25paged_attention_v2_kernelI14__hip_bfloat16S1_Li120ELi16ELi128ELNS_18Fp8KVCacheDataTypeE0ELb0ELi512EEEvPfS3_PT_PKS4_PKT0_SA_ifPKiSC_iPKfiiiSE_SE_iiiii
		.amdhsa_group_segment_fixed_size 272
		.amdhsa_private_segment_fixed_size 0
		.amdhsa_kernarg_size 400
		.amdhsa_user_sgpr_count 6
		.amdhsa_user_sgpr_private_segment_buffer 1
		.amdhsa_user_sgpr_dispatch_ptr 0
		.amdhsa_user_sgpr_queue_ptr 0
		.amdhsa_user_sgpr_kernarg_segment_ptr 1
		.amdhsa_user_sgpr_dispatch_id 0
		.amdhsa_user_sgpr_flat_scratch_init 0
		.amdhsa_user_sgpr_private_segment_size 0
		.amdhsa_wavefront_size32 1
		.amdhsa_uses_dynamic_stack 0
		.amdhsa_system_sgpr_private_segment_wavefront_offset 0
		.amdhsa_system_sgpr_workgroup_id_x 1
		.amdhsa_system_sgpr_workgroup_id_y 1
		.amdhsa_system_sgpr_workgroup_id_z 1
		.amdhsa_system_sgpr_workgroup_info 0
		.amdhsa_system_vgpr_workitem_id 0
		.amdhsa_next_free_vgpr 112
		.amdhsa_next_free_sgpr 36
		.amdhsa_reserve_vcc 1
		.amdhsa_reserve_flat_scratch 0
		.amdhsa_float_round_mode_32 0
		.amdhsa_float_round_mode_16_64 0
		.amdhsa_float_denorm_mode_32 3
		.amdhsa_float_denorm_mode_16_64 3
		.amdhsa_dx10_clamp 1
		.amdhsa_ieee_mode 1
		.amdhsa_fp16_overflow 0
		.amdhsa_workgroup_processor_mode 1
		.amdhsa_memory_ordered 1
		.amdhsa_forward_progress 1
		.amdhsa_shared_vgpr_count 0
		.amdhsa_exception_fp_ieee_invalid_op 0
		.amdhsa_exception_fp_denorm_src 0
		.amdhsa_exception_fp_ieee_div_zero 0
		.amdhsa_exception_fp_ieee_overflow 0
		.amdhsa_exception_fp_ieee_underflow 0
		.amdhsa_exception_fp_ieee_inexact 0
		.amdhsa_exception_int_div_zero 0
	.end_amdhsa_kernel
	.section	.text._ZN4vllm25paged_attention_v2_kernelI14__hip_bfloat16S1_Li120ELi16ELi128ELNS_18Fp8KVCacheDataTypeE0ELb0ELi512EEEvPfS3_PT_PKS4_PKT0_SA_ifPKiSC_iPKfiiiSE_SE_iiiii,"axG",@progbits,_ZN4vllm25paged_attention_v2_kernelI14__hip_bfloat16S1_Li120ELi16ELi128ELNS_18Fp8KVCacheDataTypeE0ELb0ELi512EEEvPfS3_PT_PKS4_PKT0_SA_ifPKiSC_iPKfiiiSE_SE_iiiii,comdat
.Lfunc_end167:
	.size	_ZN4vllm25paged_attention_v2_kernelI14__hip_bfloat16S1_Li120ELi16ELi128ELNS_18Fp8KVCacheDataTypeE0ELb0ELi512EEEvPfS3_PT_PKS4_PKT0_SA_ifPKiSC_iPKfiiiSE_SE_iiiii, .Lfunc_end167-_ZN4vllm25paged_attention_v2_kernelI14__hip_bfloat16S1_Li120ELi16ELi128ELNS_18Fp8KVCacheDataTypeE0ELb0ELi512EEEvPfS3_PT_PKS4_PKT0_SA_ifPKiSC_iPKfiiiSE_SE_iiiii
                                        ; -- End function
	.set _ZN4vllm25paged_attention_v2_kernelI14__hip_bfloat16S1_Li120ELi16ELi128ELNS_18Fp8KVCacheDataTypeE0ELb0ELi512EEEvPfS3_PT_PKS4_PKT0_SA_ifPKiSC_iPKfiiiSE_SE_iiiii.num_vgpr, 112
	.set _ZN4vllm25paged_attention_v2_kernelI14__hip_bfloat16S1_Li120ELi16ELi128ELNS_18Fp8KVCacheDataTypeE0ELb0ELi512EEEvPfS3_PT_PKS4_PKT0_SA_ifPKiSC_iPKfiiiSE_SE_iiiii.num_agpr, 0
	.set _ZN4vllm25paged_attention_v2_kernelI14__hip_bfloat16S1_Li120ELi16ELi128ELNS_18Fp8KVCacheDataTypeE0ELb0ELi512EEEvPfS3_PT_PKS4_PKT0_SA_ifPKiSC_iPKfiiiSE_SE_iiiii.numbered_sgpr, 36
	.set _ZN4vllm25paged_attention_v2_kernelI14__hip_bfloat16S1_Li120ELi16ELi128ELNS_18Fp8KVCacheDataTypeE0ELb0ELi512EEEvPfS3_PT_PKS4_PKT0_SA_ifPKiSC_iPKfiiiSE_SE_iiiii.num_named_barrier, 0
	.set _ZN4vllm25paged_attention_v2_kernelI14__hip_bfloat16S1_Li120ELi16ELi128ELNS_18Fp8KVCacheDataTypeE0ELb0ELi512EEEvPfS3_PT_PKS4_PKT0_SA_ifPKiSC_iPKfiiiSE_SE_iiiii.private_seg_size, 0
	.set _ZN4vllm25paged_attention_v2_kernelI14__hip_bfloat16S1_Li120ELi16ELi128ELNS_18Fp8KVCacheDataTypeE0ELb0ELi512EEEvPfS3_PT_PKS4_PKT0_SA_ifPKiSC_iPKfiiiSE_SE_iiiii.uses_vcc, 1
	.set _ZN4vllm25paged_attention_v2_kernelI14__hip_bfloat16S1_Li120ELi16ELi128ELNS_18Fp8KVCacheDataTypeE0ELb0ELi512EEEvPfS3_PT_PKS4_PKT0_SA_ifPKiSC_iPKfiiiSE_SE_iiiii.uses_flat_scratch, 0
	.set _ZN4vllm25paged_attention_v2_kernelI14__hip_bfloat16S1_Li120ELi16ELi128ELNS_18Fp8KVCacheDataTypeE0ELb0ELi512EEEvPfS3_PT_PKS4_PKT0_SA_ifPKiSC_iPKfiiiSE_SE_iiiii.has_dyn_sized_stack, 0
	.set _ZN4vllm25paged_attention_v2_kernelI14__hip_bfloat16S1_Li120ELi16ELi128ELNS_18Fp8KVCacheDataTypeE0ELb0ELi512EEEvPfS3_PT_PKS4_PKT0_SA_ifPKiSC_iPKfiiiSE_SE_iiiii.has_recursion, 0
	.set _ZN4vllm25paged_attention_v2_kernelI14__hip_bfloat16S1_Li120ELi16ELi128ELNS_18Fp8KVCacheDataTypeE0ELb0ELi512EEEvPfS3_PT_PKS4_PKT0_SA_ifPKiSC_iPKfiiiSE_SE_iiiii.has_indirect_call, 0
	.section	.AMDGPU.csdata,"",@progbits
; Kernel info:
; codeLenInByte = 11640
; TotalNumSgprs: 38
; NumVgprs: 112
; ScratchSize: 0
; MemoryBound: 0
; FloatMode: 240
; IeeeMode: 1
; LDSByteSize: 272 bytes/workgroup (compile time only)
; SGPRBlocks: 0
; VGPRBlocks: 13
; NumSGPRsForWavesPerEU: 38
; NumVGPRsForWavesPerEU: 112
; Occupancy: 9
; WaveLimiterHint : 1
; COMPUTE_PGM_RSRC2:SCRATCH_EN: 0
; COMPUTE_PGM_RSRC2:USER_SGPR: 6
; COMPUTE_PGM_RSRC2:TRAP_HANDLER: 0
; COMPUTE_PGM_RSRC2:TGID_X_EN: 1
; COMPUTE_PGM_RSRC2:TGID_Y_EN: 1
; COMPUTE_PGM_RSRC2:TGID_Z_EN: 1
; COMPUTE_PGM_RSRC2:TIDIG_COMP_CNT: 0
	.section	.text._ZN4vllm25paged_attention_v2_kernelI14__hip_bfloat16S1_Li128ELi16ELi128ELNS_18Fp8KVCacheDataTypeE0ELb0ELi512EEEvPfS3_PT_PKS4_PKT0_SA_ifPKiSC_iPKfiiiSE_SE_iiiii,"axG",@progbits,_ZN4vllm25paged_attention_v2_kernelI14__hip_bfloat16S1_Li128ELi16ELi128ELNS_18Fp8KVCacheDataTypeE0ELb0ELi512EEEvPfS3_PT_PKS4_PKT0_SA_ifPKiSC_iPKfiiiSE_SE_iiiii,comdat
	.protected	_ZN4vllm25paged_attention_v2_kernelI14__hip_bfloat16S1_Li128ELi16ELi128ELNS_18Fp8KVCacheDataTypeE0ELb0ELi512EEEvPfS3_PT_PKS4_PKT0_SA_ifPKiSC_iPKfiiiSE_SE_iiiii ; -- Begin function _ZN4vllm25paged_attention_v2_kernelI14__hip_bfloat16S1_Li128ELi16ELi128ELNS_18Fp8KVCacheDataTypeE0ELb0ELi512EEEvPfS3_PT_PKS4_PKT0_SA_ifPKiSC_iPKfiiiSE_SE_iiiii
	.globl	_ZN4vllm25paged_attention_v2_kernelI14__hip_bfloat16S1_Li128ELi16ELi128ELNS_18Fp8KVCacheDataTypeE0ELb0ELi512EEEvPfS3_PT_PKS4_PKT0_SA_ifPKiSC_iPKfiiiSE_SE_iiiii
	.p2align	8
	.type	_ZN4vllm25paged_attention_v2_kernelI14__hip_bfloat16S1_Li128ELi16ELi128ELNS_18Fp8KVCacheDataTypeE0ELb0ELi512EEEvPfS3_PT_PKS4_PKT0_SA_ifPKiSC_iPKfiiiSE_SE_iiiii,@function
_ZN4vllm25paged_attention_v2_kernelI14__hip_bfloat16S1_Li128ELi16ELi128ELNS_18Fp8KVCacheDataTypeE0ELb0ELi512EEEvPfS3_PT_PKS4_PKT0_SA_ifPKiSC_iPKfiiiSE_SE_iiiii: ; @_ZN4vllm25paged_attention_v2_kernelI14__hip_bfloat16S1_Li128ELi16ELi128ELNS_18Fp8KVCacheDataTypeE0ELb0ELi512EEEvPfS3_PT_PKS4_PKT0_SA_ifPKiSC_iPKfiiiSE_SE_iiiii
; %bb.0:
	s_load_dwordx2 s[0:1], s[4:5], 0x40
	s_mov_b32 s22, s7
	s_ashr_i32 s23, s7, 31
	s_lshl_b64 s[2:3], s[22:23], 2
	s_waitcnt lgkmcnt(0)
	s_add_u32 s0, s0, s2
	s_addc_u32 s1, s1, s3
	s_lshl_b32 s33, s8, 9
	s_load_dword s23, s[0:1], 0x0
	s_waitcnt lgkmcnt(0)
	s_cmp_ge_i32 s33, s23
	s_cbranch_scc1 .LBB168_78
; %bb.1:
	s_clause 0x1
	s_load_dword s9, s[4:5], 0x90
	s_load_dwordx2 s[30:31], s[4:5], 0x30
	s_mov_b32 s34, 0
	s_waitcnt lgkmcnt(0)
	s_abs_i32 s3, s9
	s_abs_i32 s0, s30
	v_cvt_f32_u32_e32 v1, s0
	s_sub_i32 s2, 0, s0
	v_rcp_iflag_f32_e32 v1, v1
	v_mul_f32_e32 v1, 0x4f7ffffe, v1
	v_cvt_u32_f32_e32 v1, v1
	v_readfirstlane_b32 s1, v1
	s_mul_i32 s2, s2, s1
	s_mul_hi_u32 s2, s1, s2
	s_add_i32 s1, s1, s2
	s_xor_b32 s2, s9, s30
	s_mul_hi_u32 s1, s3, s1
	s_ashr_i32 s2, s2, 31
	s_mul_i32 s7, s1, s0
	s_sub_i32 s3, s3, s7
	s_add_i32 s7, s1, 1
	s_sub_i32 s10, s3, s0
	s_cmp_ge_u32 s3, s0
	s_cselect_b32 s1, s7, s1
	s_cselect_b32 s3, s10, s3
	s_add_i32 s7, s1, 1
	s_cmp_ge_u32 s3, s0
	s_cselect_b32 s0, s7, s1
	s_abs_i32 s16, s6
	s_xor_b32 s0, s0, s2
	s_sub_i32 s10, s0, s2
	s_load_dwordx2 s[0:1], s[4:5], 0x50
	s_abs_i32 s2, s10
	v_cvt_f32_u32_e32 v1, s2
	s_sub_i32 s7, 0, s2
	v_rcp_iflag_f32_e32 v1, v1
	v_mul_f32_e32 v1, 0x4f7ffffe, v1
	v_cvt_u32_f32_e32 v1, v1
	v_readfirstlane_b32 s3, v1
	s_mul_i32 s7, s7, s3
	s_mul_hi_u32 s7, s3, s7
	s_add_i32 s3, s3, s7
	s_waitcnt lgkmcnt(0)
	s_cmp_eq_u64 s[0:1], 0
	s_mul_hi_u32 s3, s16, s3
	s_cbranch_scc1 .LBB168_3
; %bb.2:
	s_ashr_i32 s7, s6, 31
	s_lshl_b64 s[12:13], s[6:7], 2
	s_add_u32 s0, s0, s12
	s_addc_u32 s1, s1, s13
	s_load_dword s34, s[0:1], 0x0
.LBB168_3:
	s_load_dwordx4 s[12:15], s[4:5], 0x58
	v_lshrrev_b32_e32 v44, 1, v0
	v_and_b32_e32 v45, 1, v0
	v_cmp_gt_u32_e64 s0, 32, v0
	v_lshlrev_b32_e32 v5, 3, v0
	s_ashr_i32 s1, s6, 31
	s_ashr_i32 s7, s10, 31
	s_lshl_b32 s10, s6, 7
	s_waitcnt lgkmcnt(0)
	s_and_saveexec_b32 s15, s0
	s_cbranch_execz .LBB168_5
; %bb.4:
	s_load_dwordx2 s[18:19], s[4:5], 0x18
	s_mul_i32 s20, s12, s22
	v_lshlrev_b32_e32 v3, 3, v44
	s_ashr_i32 s21, s20, 31
	s_lshl_b64 s[20:21], s[20:21], 1
	v_lshl_add_u32 v3, v45, 7, v3
	s_waitcnt lgkmcnt(0)
	s_add_u32 s12, s18, s20
	s_addc_u32 s17, s19, s21
	s_ashr_i32 s11, s10, 31
	s_lshl_b64 s[18:19], s[10:11], 1
	s_add_u32 s18, s12, s18
	s_addc_u32 s19, s17, s19
	global_load_dwordx2 v[1:2], v5, s[18:19]
	s_waitcnt vmcnt(0)
	ds_write_b64 v3, v[1:2]
.LBB168_5:
	s_or_b32 exec_lo, exec_lo, s15
	s_add_i32 s11, s23, 15
	s_lshl_b32 s30, s8, 5
	s_ashr_i32 s12, s11, 31
	s_xor_b32 s1, s1, s7
	s_lshr_b32 s12, s12, 28
	s_add_i32 s7, s30, 32
	s_add_i32 s11, s11, s12
	s_mul_i32 s15, s3, s2
	s_ashr_i32 s12, s11, 4
	s_sub_i32 s15, s16, s15
	s_min_i32 s11, s7, s12
	s_clause 0x1
	s_load_dwordx2 s[24:25], s[4:5], 0x38
	s_load_dword s7, s[4:5], 0x48
	s_add_i32 s16, s3, 1
	s_sub_i32 s17, s15, s2
	s_cmp_ge_u32 s15, s2
	v_lshrrev_b32_e32 v46, 5, v0
	s_cselect_b32 s3, s16, s3
	s_cselect_b32 s15, s17, s15
	s_add_i32 s16, s3, 1
	s_cmp_ge_u32 s15, s2
	v_or_b32_e32 v41, s30, v46
	s_cselect_b32 s2, s16, s3
	v_mbcnt_lo_u32_b32 v7, -1, 0
	s_xor_b32 s2, s2, s1
	s_mov_b32 s3, exec_lo
	s_sub_i32 s2, s2, s1
	v_cmp_gt_i32_e64 s1, s11, v41
	s_waitcnt lgkmcnt(0)
	s_barrier
	buffer_gl0_inv
                                        ; implicit-def: $vgpr29
                                        ; implicit-def: $vgpr36
	s_mul_i32 s26, s7, s22
	s_ashr_i32 s27, s26, 31
	v_cmpx_le_i32_e64 s11, v41
	s_xor_b32 s3, exec_lo, s3
; %bb.6:
	v_mov_b32_e32 v29, 0
	v_mbcnt_lo_u32_b32 v7, -1, 0
	v_mov_b32_e32 v36, 32
; %bb.7:
	s_or_saveexec_b32 s35, s3
	s_clause 0x3
	s_load_dwordx4 s[16:19], s[4:5], 0x0
	s_load_dwordx2 s[20:21], s[4:5], 0x10
	s_load_dwordx2 s[28:29], s[4:5], 0x28
	s_load_dword s7, s[4:5], 0x98
	v_mov_b32_e32 v79, 0xff7fffff
	v_ashrrev_i32_e32 v42, 31, v41
	v_lshlrev_b32_e32 v6, 4, v46
	s_mul_i32 s14, s2, s14
	s_xor_b32 exec_lo, exec_lo, s35
	s_cbranch_execz .LBB168_13
; %bb.8:
	v_lshlrev_b32_e32 v36, 7, v45
	s_load_dwordx2 s[2:3], s[4:5], 0x20
	s_ashr_i32 s15, s14, 31
	v_mov_b32_e32 v85, v41
	s_lshl_b64 s[4:5], s[14:15], 1
	ds_read_b128 v[1:4], v36
	ds_read_b128 v[20:23], v36 offset:16
	ds_read_b128 v[29:32], v36 offset:32
	;; [unrolled: 1-line block ×5, first 2 shown]
	s_mov_b32 s36, s13
	ds_read_b128 v[67:70], v36 offset:96
	s_waitcnt lgkmcnt(0)
	v_lshlrev_b32_e32 v8, 16, v1
	v_and_b32_e32 v9, 0xffff0000, v1
	v_lshlrev_b32_e32 v10, 16, v2
	v_and_b32_e32 v11, 0xffff0000, v2
	;; [unrolled: 2-line block ×4, first 2 shown]
	ds_read_b128 v[1:4], v36 offset:80
	s_add_u32 s4, s2, s4
	s_addc_u32 s15, s3, s5
	s_lshl_b64 s[2:3], s[26:27], 2
	s_sub_i32 s5, 1, s23
	v_xor_b32_e32 v36, 1, v7
	s_add_u32 s2, s24, s2
	s_addc_u32 s3, s25, s3
	v_lshlrev_b32_e32 v24, 16, v29
	v_and_b32_e32 v25, 0xffff0000, v29
	v_and_b32_e32 v29, 8, v5
	v_lshlrev_b32_e32 v16, 16, v20
	v_and_b32_e32 v17, 0xffff0000, v20
	v_lshlrev_b32_e32 v18, 16, v21
	;; [unrolled: 2-line block ×5, first 2 shown]
	s_waitcnt lgkmcnt(0)
	v_lshlrev_b32_e32 v59, 16, v3
	v_and_b32_e32 v60, 0xffff0000, v3
	v_bfe_u32 v3, v0, 1, 4
	v_lshlrev_b32_e32 v55, 16, v1
	v_and_b32_e32 v56, 0xffff0000, v1
	v_lshlrev_b32_e32 v57, 16, v2
	v_and_b32_e32 v58, 0xffff0000, v2
	v_lshlrev_b64 v[1:2], 2, v[41:42]
	v_lshlrev_b32_e32 v61, 16, v4
	v_and_b32_e32 v62, 0xffff0000, v4
	v_lshlrev_b32_e32 v4, 4, v3
	v_lshlrev_b32_e32 v82, 2, v3
	v_and_b32_e32 v27, 0xffff0000, v30
	v_add_co_u32 v1, vcc_lo, s2, v1
	v_add_co_ci_u32_e64 v2, null, s3, v2, vcc_lo
	v_add_co_u32 v4, s2, s4, v4
	v_cmp_gt_i32_e32 vcc_lo, 32, v36
	v_add_co_ci_u32_e64 v79, null, s15, 0, s2
	v_lshlrev_b32_e32 v28, 16, v31
	v_and_b32_e32 v30, 0xffff0000, v31
	v_cndmask_b32_e32 v36, v7, v36, vcc_lo
	v_add_co_u32 v80, vcc_lo, v4, v29
	v_lshl_or_b32 v4, v46, 6, v82
	v_lshlrev_b32_e32 v31, 16, v32
	v_and_b32_e32 v32, 0xffff0000, v32
	v_lshlrev_b32_e32 v33, 16, v47
	v_and_b32_e32 v34, 0xffff0000, v47
	;; [unrolled: 2-line block ×17, first 2 shown]
	v_add_co_ci_u32_e64 v81, null, 0, v79, vcc_lo
	v_lshlrev_b32_e32 v82, 2, v36
	v_cmp_neq_f32_e64 s2, s34, 0
	v_add3_u32 v83, s33, v6, v3
	v_add_nc_u32_e32 v84, 0x120, v4
	v_mov_b32_e32 v29, 0
	v_mov_b32_e32 v36, 32
	v_mov_b32_e32 v79, 0xff7fffff
	s_mov_b32 s15, 0
	v_cmp_eq_u32_e32 vcc_lo, 0, v45
	s_branch .LBB168_10
.LBB168_9:                              ;   in Loop: Header=BB168_10 Depth=1
	s_or_b32 exec_lo, exec_lo, s4
	v_add_nc_u32_e32 v85, 4, v85
	v_add_co_u32 v1, s4, v1, 16
	v_add_nc_u32_e32 v83, 64, v83
	v_add_nc_u32_e32 v84, 0x100, v84
	v_cmp_le_i32_e64 s3, s11, v85
	v_add_co_ci_u32_e64 v2, null, 0, v2, s4
	s_or_b32 s15, s3, s15
	s_andn2_b32 exec_lo, exec_lo, s15
	s_cbranch_execz .LBB168_12
.LBB168_10:                             ; =>This Inner Loop Header: Depth=1
	global_load_dword v3, v[1:2], off
	s_waitcnt vmcnt(0) lgkmcnt(0)
	v_mad_i64_i32 v[3:4], null, v3, s36, 0
	v_lshlrev_b64 v[3:4], 1, v[3:4]
	v_add_co_u32 v86, s3, v80, v3
	v_add_co_ci_u32_e64 v87, null, v81, v4, s3
	s_clause 0x6
	global_load_dwordx2 v[3:4], v[86:87], off
	global_load_dwordx2 v[88:89], v[86:87], off offset:256
	global_load_dwordx2 v[90:91], v[86:87], off offset:512
	;; [unrolled: 1-line block ×6, first 2 shown]
	s_waitcnt vmcnt(6)
	v_lshlrev_b32_e32 v100, 16, v3
	v_and_b32_e32 v101, 0xffff0000, v3
	v_add_co_u32 v3, s3, 0x800, v86
	v_lshlrev_b32_e32 v102, 16, v4
	v_and_b32_e32 v103, 0xffff0000, v4
	v_add_co_ci_u32_e64 v4, null, 0, v87, s3
	global_load_dwordx2 v[86:87], v[86:87], off offset:1792
	s_waitcnt vmcnt(5)
	v_lshlrev_b32_e32 v106, 16, v90
	v_and_b32_e32 v107, 0xffff0000, v90
	s_waitcnt vmcnt(3)
	v_lshlrev_b32_e32 v116, 16, v95
	v_and_b32_e32 v117, 0xffff0000, v95
	s_waitcnt vmcnt(1)
	v_lshlrev_b32_e32 v123, 16, v99
	v_and_b32_e32 v95, 0xffff0000, v99
	v_lshlrev_b32_e32 v118, 16, v96
	v_and_b32_e32 v119, 0xffff0000, v96
	v_lshlrev_b32_e32 v120, 16, v97
	v_and_b32_e32 v121, 0xffff0000, v97
	;; [unrolled: 2-line block ×3, first 2 shown]
	v_lshlrev_b32_e32 v105, 16, v89
	v_lshlrev_b32_e32 v108, 16, v91
	v_and_b32_e32 v109, 0xffff0000, v91
	v_lshlrev_b32_e32 v110, 16, v92
	v_and_b32_e32 v111, 0xffff0000, v92
	;; [unrolled: 2-line block ×4, first 2 shown]
	v_and_b32_e32 v89, 0xffff0000, v89
	v_lshlrev_b32_e32 v122, 16, v98
	v_and_b32_e32 v98, 0xffff0000, v98
	global_load_dwordx2 v[96:97], v[3:4], off offset:256
	v_mul_f32_e32 v89, v15, v89
	v_fmac_f32_e32 v89, v11, v103
	v_fmac_f32_e32 v89, v19, v109
	;; [unrolled: 1-line block ×6, first 2 shown]
	s_waitcnt vmcnt(1)
	v_lshlrev_b32_e32 v99, 16, v86
	v_and_b32_e32 v124, 0xffff0000, v86
	v_lshlrev_b32_e32 v125, 16, v87
	v_and_b32_e32 v90, 0xffff0000, v87
	global_load_dwordx2 v[86:87], v[3:4], off
	v_fmac_f32_e32 v89, v43, v90
	s_waitcnt vmcnt(1)
	v_and_b32_e32 v94, 0xffff0000, v97
	s_waitcnt vmcnt(0)
	v_lshlrev_b32_e32 v126, 16, v86
	v_and_b32_e32 v93, 0xffff0000, v86
	v_lshlrev_b32_e32 v92, 16, v87
	v_and_b32_e32 v91, 0xffff0000, v87
	v_mul_f32_e32 v86, v12, v104
	v_mul_f32_e32 v87, v13, v88
	;; [unrolled: 1-line block ×3, first 2 shown]
	v_fmac_f32_e32 v89, v50, v91
	v_fmac_f32_e32 v86, v8, v100
	;; [unrolled: 1-line block ×4, first 2 shown]
	v_lshlrev_b32_e32 v100, 16, v96
	v_and_b32_e32 v101, 0xffff0000, v96
	v_lshlrev_b32_e32 v102, 16, v97
	global_load_dwordx2 v[96:97], v[3:4], off offset:512
	v_fmac_f32_e32 v86, v16, v106
	v_fmac_f32_e32 v87, v17, v107
	;; [unrolled: 1-line block ×25, first 2 shown]
	s_waitcnt vmcnt(0)
	v_lshlrev_b32_e32 v103, 16, v96
	v_and_b32_e32 v104, 0xffff0000, v96
	v_lshlrev_b32_e32 v105, 16, v97
	v_and_b32_e32 v106, 0xffff0000, v97
	global_load_dwordx2 v[96:97], v[3:4], off offset:768
	v_fmac_f32_e32 v86, v55, v103
	v_fmac_f32_e32 v87, v56, v104
	v_fmac_f32_e32 v88, v57, v105
	v_fmac_f32_e32 v89, v58, v106
	s_waitcnt vmcnt(0)
	v_lshlrev_b32_e32 v107, 16, v96
	v_and_b32_e32 v108, 0xffff0000, v96
	v_lshlrev_b32_e32 v109, 16, v97
	v_and_b32_e32 v110, 0xffff0000, v97
	global_load_dwordx2 v[96:97], v[3:4], off offset:1024
	v_fmac_f32_e32 v86, v59, v107
	v_fmac_f32_e32 v87, v60, v108
	v_fmac_f32_e32 v88, v61, v109
	v_fmac_f32_e32 v89, v62, v110
	;; [unrolled: 10-line block ×3, first 2 shown]
	s_waitcnt vmcnt(0)
	v_lshlrev_b32_e32 v98, 16, v96
	v_and_b32_e32 v99, 0xffff0000, v96
	s_clause 0x1
	global_load_dwordx2 v[95:96], v[3:4], off offset:1536
	global_load_dwordx2 v[3:4], v[3:4], off offset:1792
	v_lshlrev_b32_e32 v115, 16, v97
	v_and_b32_e32 v97, 0xffff0000, v97
	v_fmac_f32_e32 v86, v67, v98
	v_fmac_f32_e32 v87, v68, v99
	;; [unrolled: 1-line block ×4, first 2 shown]
	s_waitcnt vmcnt(1)
	v_lshlrev_b32_e32 v93, 16, v95
	v_and_b32_e32 v90, 0xffff0000, v95
	v_lshlrev_b32_e32 v91, 16, v96
	s_waitcnt vmcnt(0)
	v_lshlrev_b32_e32 v94, 16, v3
	v_and_b32_e32 v3, 0xffff0000, v3
	v_fmac_f32_e32 v86, v71, v93
	v_fmac_f32_e32 v87, v72, v90
	v_and_b32_e32 v92, 0xffff0000, v96
	v_lshlrev_b32_e32 v90, 16, v4
	v_fmac_f32_e32 v88, v73, v91
	v_fmac_f32_e32 v86, v75, v94
	;; [unrolled: 1-line block ×4, first 2 shown]
	v_and_b32_e32 v3, 0xffff0000, v4
	v_fmac_f32_e32 v88, v77, v90
	v_add_f32_e32 v4, v86, v87
	v_fmac_f32_e32 v89, v78, v3
	v_add_f32_e32 v3, v4, v88
	v_add_f32_e32 v3, v89, v3
	ds_bpermute_b32 v4, v82, v3
	s_and_saveexec_b32 s4, vcc_lo
	s_cbranch_execz .LBB168_9
; %bb.11:                               ;   in Loop: Header=BB168_10 Depth=1
	v_add_nc_u32_e32 v86, s5, v83
	s_waitcnt lgkmcnt(0)
	v_add_f32_e32 v3, v3, v4
	v_cmp_gt_i32_e64 s3, s23, v83
	v_cvt_f32_i32_e32 v86, v86
	v_mul_f32_e32 v86, s34, v86
	v_cndmask_b32_e64 v4, 0, v86, s2
	v_max_f32_e32 v86, v79, v79
	v_fmac_f32_e32 v4, s31, v3
	v_max_f32_e32 v3, v86, v4
	v_cndmask_b32_e64 v4, 0, v4, s3
	v_cndmask_b32_e64 v79, v79, v3, s3
	ds_write_b32 v84, v4
	s_branch .LBB168_9
.LBB168_12:
	s_or_b32 exec_lo, exec_lo, s15
.LBB168_13:
	s_or_b32 exec_lo, exec_lo, s35
	v_xor_b32_e32 v1, 16, v7
	v_xor_b32_e32 v2, 8, v7
	s_waitcnt lgkmcnt(0)
	v_max_f32_e32 v4, v79, v79
	v_and_b32_e32 v47, 31, v0
	v_lshlrev_b32_e32 v10, 2, v46
	v_cmp_lt_i32_e32 vcc_lo, v1, v36
	v_cndmask_b32_e32 v1, v7, v1, vcc_lo
	v_cmp_lt_i32_e32 vcc_lo, v2, v36
	v_lshlrev_b32_e32 v3, 2, v1
	v_cndmask_b32_e32 v2, v7, v2, vcc_lo
	ds_bpermute_b32 v1, v3, v79
	v_lshlrev_b32_e32 v8, 2, v2
	s_waitcnt lgkmcnt(0)
	v_max_f32_e32 v1, v1, v1
	v_max_f32_e32 v1, v4, v1
	v_xor_b32_e32 v4, 4, v7
	ds_bpermute_b32 v2, v8, v1
	v_cmp_lt_i32_e32 vcc_lo, v4, v36
	v_cndmask_b32_e32 v4, v7, v4, vcc_lo
	v_lshlrev_b32_e32 v9, 2, v4
	v_xor_b32_e32 v4, 2, v7
	v_cmp_lt_i32_e32 vcc_lo, v4, v36
	s_waitcnt lgkmcnt(0)
	v_max_f32_e32 v2, v2, v2
	v_cndmask_b32_e32 v4, v7, v4, vcc_lo
	v_cmp_eq_u32_e32 vcc_lo, 0, v47
	v_max_f32_e32 v1, v1, v2
	ds_bpermute_b32 v2, v9, v1
	s_waitcnt lgkmcnt(0)
	v_max_f32_e32 v2, v2, v2
	v_max_f32_e32 v1, v1, v2
	v_lshlrev_b32_e32 v2, 2, v4
	ds_bpermute_b32 v4, v2, v1
	s_and_saveexec_b32 s2, vcc_lo
	s_cbranch_execz .LBB168_15
; %bb.14:
	s_waitcnt lgkmcnt(0)
	v_max_f32_e32 v4, v4, v4
	v_max_f32_e32 v1, v1, v1
	;; [unrolled: 1-line block ×3, first 2 shown]
	ds_write_b32 v10, v1 offset:256
.LBB168_15:
	s_or_b32 exec_lo, exec_lo, s2
	v_cmp_gt_u32_e64 s2, 4, v47
	v_mov_b32_e32 v1, 0xff7fffff
	v_lshlrev_b32_e32 v11, 2, v47
	s_waitcnt lgkmcnt(0)
	s_barrier
	buffer_gl0_inv
	s_and_saveexec_b32 s3, s2
; %bb.16:
	ds_read_b32 v1, v11 offset:256
; %bb.17:
	s_or_b32 exec_lo, exec_lo, s3
	s_waitcnt lgkmcnt(0)
	ds_bpermute_b32 v4, v2, v1
	v_xor_b32_e32 v12, 1, v7
	v_max_f32_e32 v1, v1, v1
	v_cmp_lt_i32_e64 s3, v12, v36
	v_cndmask_b32_e64 v12, v7, v12, s3
	s_sub_i32 s3, s11, s30
	s_lshl_b32 s3, s3, 4
	v_lshlrev_b32_e32 v48, 2, v12
	s_add_i32 s3, s3, s33
	v_mov_b32_e32 v12, 0
	s_min_i32 s3, s3, s23
	s_waitcnt lgkmcnt(0)
	v_max_f32_e32 v4, v4, v4
	s_sub_i32 s5, s3, s33
	v_cmp_gt_i32_e64 s3, s5, v0
	v_max_f32_e32 v1, v1, v4
	ds_bpermute_b32 v4, v48, v1
	s_waitcnt lgkmcnt(0)
	v_max_f32_e32 v4, v4, v4
	v_max_f32_e32 v1, v1, v4
	v_lshlrev_b32_e32 v4, 2, v29
	ds_bpermute_b32 v1, v4, v1
	v_lshl_add_u32 v4, v0, 2, 0x120
	s_and_saveexec_b32 s15, s3
	s_cbranch_execz .LBB168_21
; %bb.18:
	v_lshl_add_u32 v13, v0, 2, 0x120
	v_mov_b32_e32 v12, 0
	v_mov_b32_e32 v14, v0
	s_mov_b32 s30, 0
	.p2align	6
.LBB168_19:                             ; =>This Inner Loop Header: Depth=1
	ds_read_b32 v15, v13
	v_add_nc_u32_e32 v14, 0x80, v14
	v_cmp_le_i32_e64 s4, s5, v14
	s_or_b32 s30, s4, s30
	s_waitcnt lgkmcnt(0)
	v_sub_f32_e32 v15, v15, v1
	v_mul_f32_e32 v15, 0x3fb8aa3b, v15
	v_exp_f32_e32 v15, v15
	ds_write_b32 v13, v15
	v_add_f32_e32 v12, v12, v15
	v_add_nc_u32_e32 v13, 0x200, v13
	s_andn2_b32 exec_lo, exec_lo, s30
	s_cbranch_execnz .LBB168_19
; %bb.20:
	s_or_b32 exec_lo, exec_lo, s30
.LBB168_21:
	s_or_b32 exec_lo, exec_lo, s15
	ds_bpermute_b32 v3, v3, v12
	s_waitcnt lgkmcnt(0)
	v_add_f32_e32 v3, v12, v3
	ds_bpermute_b32 v8, v8, v3
	s_waitcnt lgkmcnt(0)
	v_add_f32_e32 v3, v3, v8
	;; [unrolled: 3-line block ×5, first 2 shown]
	s_and_saveexec_b32 s4, vcc_lo
; %bb.22:
	ds_write_b32 v10, v3 offset:272
; %bb.23:
	s_or_b32 exec_lo, exec_lo, s4
	s_waitcnt lgkmcnt(0)
	s_barrier
	buffer_gl0_inv
	s_and_saveexec_b32 s4, s2
; %bb.24:
	ds_read_b32 v3, v11 offset:272
; %bb.25:
	s_or_b32 exec_lo, exec_lo, s4
	s_waitcnt lgkmcnt(0)
	ds_bpermute_b32 v2, v2, v3
	v_lshlrev_b32_e32 v7, 2, v7
	s_waitcnt lgkmcnt(0)
	v_add_f32_e32 v2, v3, v2
	ds_bpermute_b32 v3, v48, v2
	s_waitcnt lgkmcnt(0)
	v_add_f32_e32 v2, v2, v3
	v_and_b32_e32 v3, 0xffffff80, v7
	ds_bpermute_b32 v2, v3, v2
	s_and_saveexec_b32 s2, s3
	s_cbranch_execz .LBB168_28
; %bb.26:
	s_waitcnt lgkmcnt(0)
	v_add_f32_e32 v3, 0x358637bd, v2
	s_mov_b32 s3, 0
	v_div_scale_f32 v7, null, v3, v3, 1.0
	v_div_scale_f32 v10, vcc_lo, 1.0, v3, 1.0
	v_rcp_f32_e32 v8, v7
	v_fma_f32 v9, -v7, v8, 1.0
	v_fmac_f32_e32 v8, v9, v8
	v_mul_f32_e32 v9, v10, v8
	v_fma_f32 v11, -v7, v9, v10
	v_fmac_f32_e32 v9, v11, v8
	v_fma_f32 v7, -v7, v9, v10
	v_div_fmas_f32 v7, v7, v8, v9
	v_div_fixup_f32 v3, v7, v3, 1.0
	v_mov_b32_e32 v7, v0
.LBB168_27:                             ; =>This Inner Loop Header: Depth=1
	ds_read_b32 v8, v4
	v_add_nc_u32_e32 v7, 0x80, v7
	v_cmp_le_i32_e32 vcc_lo, s5, v7
	s_or_b32 s3, vcc_lo, s3
	s_waitcnt lgkmcnt(0)
	v_mul_f32_e32 v8, v3, v8
	ds_write_b32 v4, v8
	v_add_nc_u32_e32 v4, 0x200, v4
	s_andn2_b32 exec_lo, exec_lo, s3
	s_cbranch_execnz .LBB168_27
.LBB168_28:
	s_or_b32 exec_lo, exec_lo, s2
	s_mul_i32 s2, s7, s22
	s_waitcnt lgkmcnt(0)
	s_mul_i32 s4, s2, s9
	s_mov_b32 s2, exec_lo
	s_barrier
	buffer_gl0_inv
	v_cmpx_eq_u32_e32 0, v0
	s_cbranch_execz .LBB168_30
; %bb.29:
	s_ashr_i32 s5, s4, 31
	s_mul_i32 s34, s7, s6
	s_lshl_b64 s[30:31], s[4:5], 2
	v_mov_b32_e32 v3, 0
	s_add_u32 s3, s18, s30
	s_addc_u32 s5, s19, s31
	s_ashr_i32 s35, s34, 31
	s_lshl_b64 s[18:19], s[34:35], 2
	s_add_u32 s3, s3, s18
	s_addc_u32 s5, s5, s19
	s_ashr_i32 s9, s8, 31
	s_lshl_b64 s[34:35], s[8:9], 2
	s_add_u32 s36, s3, s34
	s_addc_u32 s37, s5, s35
	s_add_u32 s3, s16, s30
	s_addc_u32 s5, s17, s31
	;; [unrolled: 2-line block ×4, first 2 shown]
	global_store_dword v3, v1, s[36:37]
	global_store_dword v3, v2, s[16:17]
.LBB168_30:
	s_or_b32 exec_lo, exec_lo, s2
	v_mov_b32_e32 v55, 0
	v_mov_b32_e32 v56, 0
	;; [unrolled: 1-line block ×8, first 2 shown]
	s_and_saveexec_b32 s5, s1
	s_cbranch_execz .LBB168_50
; %bb.31:
	v_lshlrev_b32_e32 v1, 4, v0
	s_ashr_i32 s15, s14, 31
	v_and_b32_e32 v2, 8, v5
	s_lshl_b64 s[2:3], s[14:15], 1
	v_lshlrev_b32_e32 v3, 5, v45
	v_and_b32_e32 v1, 0x1f0, v1
	s_add_u32 s1, s28, s2
	s_addc_u32 s2, s29, s3
	v_add3_u32 v60, s33, v6, v2
	s_add_i32 s6, s12, -1
	v_add_co_u32 v58, s1, s1, v1
	v_lshlrev_b64 v[1:2], 2, v[41:42]
	v_add_co_ci_u32_e64 v59, null, s2, 0, s1
	s_lshl_b64 s[2:3], s[26:27], 2
	v_lshl_or_b32 v3, v46, 6, v3
	s_add_u32 s1, s24, s2
	s_addc_u32 s2, s25, s3
	v_add_co_u32 v42, vcc_lo, s1, v1
	v_mov_b32_e32 v57, 0
	v_add_nc_u32_e32 v61, 0x120, v3
	v_add_co_ci_u32_e64 v43, null, s2, v2, vcc_lo
	v_mov_b32_e32 v49, 0
	v_mov_b32_e32 v50, 0
	;; [unrolled: 1-line block ×8, first 2 shown]
	s_mov_b32 s9, s13
	s_mov_b32 s13, s23
	;; [unrolled: 1-line block ×3, first 2 shown]
	s_branch .LBB168_33
.LBB168_32:                             ;   in Loop: Header=BB168_33 Depth=1
	s_or_b32 exec_lo, exec_lo, s3
	s_waitcnt lgkmcnt(1)
	v_bfe_u32 v62, v29, 16, 1
	v_bfe_u32 v63, v30, 16, 1
	v_or_b32_e32 v64, 0x400000, v29
	v_cmp_u_f32_e32 vcc_lo, v29, v29
	v_or_b32_e32 v65, 0x400000, v30
	v_add3_u32 v62, v62, v29, 0x7fff
	v_bfe_u32 v66, v31, 16, 1
	v_add3_u32 v63, v63, v30, 0x7fff
	v_bfe_u32 v67, v32, 16, 1
	v_add_nc_u32_e32 v41, 4, v41
	v_cndmask_b32_e32 v29, v62, v64, vcc_lo
	v_cmp_u_f32_e32 vcc_lo, v30, v30
	v_add3_u32 v62, v66, v31, 0x7fff
	s_waitcnt lgkmcnt(0)
	v_bfe_u32 v64, v25, 16, 1
	v_or_b32_e32 v66, 0x400000, v32
	v_and_b32_e32 v29, 0xffff0000, v29
	v_cndmask_b32_e32 v30, v63, v65, vcc_lo
	v_or_b32_e32 v63, 0x400000, v31
	v_cmp_u_f32_e32 vcc_lo, v31, v31
	v_add3_u32 v65, v67, v32, 0x7fff
	v_add_co_u32 v42, s1, v42, 16
	v_add_nc_u32_e32 v60, 64, v60
	v_cndmask_b32_e32 v31, v62, v63, vcc_lo
	v_cmp_u_f32_e32 vcc_lo, v32, v32
	v_add3_u32 v62, v64, v25, 0x7fff
	v_or_b32_e32 v63, 0x400000, v25
	v_bfe_u32 v64, v26, 16, 1
	v_add_nc_u32_e32 v61, 0x100, v61
	v_cndmask_b32_e32 v32, v65, v66, vcc_lo
	v_cmp_u_f32_e32 vcc_lo, v25, v25
	v_and_b32_e32 v25, 0xffff0000, v30
	s_waitcnt vmcnt(1)
	v_and_b32_e32 v30, 0xffff0000, v37
	v_add3_u32 v64, v64, v26, 0x7fff
	v_or_b32_e32 v65, 0x400000, v26
	v_cndmask_b32_e32 v62, v62, v63, vcc_lo
	v_bfe_u32 v63, v27, 16, 1
	v_cmp_u_f32_e32 vcc_lo, v26, v26
	v_or_b32_e32 v66, 0x400000, v27
	v_mul_f32_e32 v30, v25, v30
	v_lshlrev_b32_e32 v37, 16, v37
	v_add3_u32 v63, v63, v27, 0x7fff
	v_cndmask_b32_e32 v26, v64, v65, vcc_lo
	v_bfe_u32 v64, v28, 16, 1
	v_cmp_u_f32_e32 vcc_lo, v27, v27
	v_bfe_u32 v27, v30, 16, 1
	v_or_b32_e32 v65, 0x400000, v28
	v_or_b32_e32 v67, 0x400000, v30
	v_add3_u32 v64, v64, v28, 0x7fff
	v_cndmask_b32_e32 v63, v63, v66, vcc_lo
	v_cmp_u_f32_e32 vcc_lo, v28, v28
	v_add3_u32 v66, v27, v30, 0x7fff
	v_mul_f32_e32 v37, v29, v37
	v_and_b32_e32 v27, 0xffff0000, v32
	v_and_b32_e32 v32, 0xffff0000, v38
	v_cndmask_b32_e32 v28, v64, v65, vcc_lo
	v_cmp_u_f32_e32 vcc_lo, v30, v30
	v_bfe_u32 v65, v37, 16, 1
	v_and_b32_e32 v30, 0xffff0000, v31
	v_lshlrev_b32_e32 v31, 16, v38
	v_and_b32_e32 v26, 0xffff0000, v26
	v_cndmask_b32_e32 v64, v66, v67, vcc_lo
	v_mul_f32_e32 v66, v27, v32
	v_and_b32_e32 v32, 0xffff0000, v39
	v_add3_u32 v38, v65, v37, 0x7fff
	v_or_b32_e32 v65, 0x400000, v37
	v_mul_f32_e32 v31, v30, v31
	v_bfe_u32 v67, v66, 16, 1
	v_cmp_u_f32_e32 vcc_lo, v37, v37
	v_mul_f32_e32 v68, v26, v32
	v_and_b32_e32 v32, 0xffff0000, v62
	v_lshlrev_b32_e32 v39, 16, v39
	v_and_b32_e32 v28, 0xffff0000, v28
	v_cndmask_b32_e32 v37, v38, v65, vcc_lo
	v_add3_u32 v38, v67, v66, 0x7fff
	v_or_b32_e32 v65, 0x400000, v66
	v_bfe_u32 v67, v31, 16, 1
	v_cmp_u_f32_e32 vcc_lo, v66, v66
	v_bfe_u32 v69, v68, 16, 1
	v_mul_f32_e32 v39, v32, v39
	v_and_b32_e32 v37, 0xffff0000, v37
	v_add3_u32 v62, v67, v31, 0x7fff
	v_cndmask_b32_e32 v38, v38, v65, vcc_lo
	v_or_b32_e32 v65, 0x400000, v31
	v_cmp_u_f32_e32 vcc_lo, v31, v31
	v_add3_u32 v66, v69, v68, 0x7fff
	v_and_b32_e32 v67, 0xffff0000, v40
	v_or_b32_e32 v69, 0x400000, v68
	v_bfe_u32 v70, v39, 16, 1
	v_cndmask_b32_e32 v62, v62, v65, vcc_lo
	v_cmp_u_f32_e32 vcc_lo, v68, v68
	v_mul_f32_e32 v65, v28, v67
	v_or_b32_e32 v68, 0x400000, v39
	v_add3_u32 v67, v70, v39, 0x7fff
	v_and_b32_e32 v31, 0xffff0000, v63
	v_cndmask_b32_e32 v66, v66, v69, vcc_lo
	v_cmp_u_f32_e32 vcc_lo, v39, v39
	v_lshlrev_b32_e32 v40, 16, v40
	v_and_b32_e32 v64, 0xffff0000, v64
	v_and_b32_e32 v62, 0xffff0000, v62
	;; [unrolled: 1-line block ×3, first 2 shown]
	v_cndmask_b32_e32 v39, v67, v68, vcc_lo
	v_bfe_u32 v69, v65, 16, 1
	v_mul_f32_e32 v40, v31, v40
	v_add_f32_e32 v37, v37, v64
	v_add_f32_e32 v38, v62, v38
	v_and_b32_e32 v39, 0xffff0000, v39
	v_and_b32_e32 v62, 0xffff0000, v33
	;; [unrolled: 1-line block ×3, first 2 shown]
	v_add3_u32 v63, v69, v65, 0x7fff
	v_or_b32_e32 v67, 0x400000, v65
	v_cmp_u_f32_e32 vcc_lo, v65, v65
	v_bfe_u32 v65, v40, 16, 1
	v_add_f32_e32 v37, v38, v37
	v_mul_f32_e32 v38, v25, v62
	v_add_f32_e32 v39, v39, v64
	v_lshlrev_b32_e32 v33, 16, v33
	v_cndmask_b32_e32 v63, v63, v67, vcc_lo
	v_add3_u32 v65, v65, v40, 0x7fff
	v_or_b32_e32 v66, 0x400000, v40
	v_cmp_u_f32_e32 vcc_lo, v40, v40
	v_bfe_u32 v62, v38, 16, 1
	v_add_f32_e32 v37, v39, v37
	v_mul_f32_e32 v33, v29, v33
	v_and_b32_e32 v39, 0xffff0000, v34
	v_cndmask_b32_e32 v40, v65, v66, vcc_lo
	v_add3_u32 v62, v62, v38, 0x7fff
	v_or_b32_e32 v64, 0x400000, v38
	v_bfe_u32 v65, v33, 16, 1
	v_mul_f32_e32 v39, v27, v39
	v_lshlrev_b32_e32 v34, 16, v34
	v_cmp_u_f32_e32 vcc_lo, v38, v38
	v_and_b32_e32 v66, 0xffff0000, v35
	v_lshlrev_b32_e32 v35, 16, v35
	v_and_b32_e32 v67, 0xffff0000, v36
	v_mul_f32_e32 v34, v30, v34
	v_cndmask_b32_e32 v38, v62, v64, vcc_lo
	v_add3_u32 v62, v65, v33, 0x7fff
	v_or_b32_e32 v64, 0x400000, v33
	v_bfe_u32 v65, v39, 16, 1
	v_cmp_u_f32_e32 vcc_lo, v33, v33
	v_mul_f32_e32 v66, v26, v66
	v_mul_f32_e32 v35, v32, v35
	v_lshlrev_b32_e32 v36, 16, v36
	v_and_b32_e32 v38, 0xffff0000, v38
	v_cndmask_b32_e32 v33, v62, v64, vcc_lo
	v_add3_u32 v62, v65, v39, 0x7fff
	v_or_b32_e32 v64, 0x400000, v39
	v_bfe_u32 v65, v34, 16, 1
	v_cmp_u_f32_e32 vcc_lo, v39, v39
	v_mul_f32_e32 v36, v31, v36
	v_or_b32_e32 v68, 0x400000, v35
	v_and_b32_e32 v33, 0xffff0000, v33
	v_and_b32_e32 v40, 0xffff0000, v40
	v_cndmask_b32_e32 v39, v62, v64, vcc_lo
	v_add3_u32 v62, v65, v34, 0x7fff
	v_or_b32_e32 v64, 0x400000, v34
	v_bfe_u32 v65, v66, 16, 1
	v_cmp_u_f32_e32 vcc_lo, v34, v34
	v_bfe_u32 v70, v36, 16, 1
	v_and_b32_e32 v39, 0xffff0000, v39
	v_add_f32_e32 v33, v33, v38
	v_add_co_ci_u32_e64 v43, null, 0, v43, s1
	v_cndmask_b32_e32 v34, v62, v64, vcc_lo
	v_bfe_u32 v62, v35, 16, 1
	v_add3_u32 v64, v65, v66, 0x7fff
	v_mul_f32_e32 v65, v28, v67
	v_or_b32_e32 v67, 0x400000, v66
	v_cmp_u_f32_e32 vcc_lo, v66, v66
	v_add3_u32 v62, v62, v35, 0x7fff
	v_add3_u32 v66, v70, v36, 0x7fff
	v_bfe_u32 v69, v65, 16, 1
	v_and_b32_e32 v34, 0xffff0000, v34
	v_cndmask_b32_e32 v64, v64, v67, vcc_lo
	v_cmp_u_f32_e32 vcc_lo, v35, v35
	v_or_b32_e32 v67, 0x400000, v36
	v_add_f32_e32 v34, v34, v39
	v_and_b32_e32 v38, 0xffff0000, v64
	v_cndmask_b32_e32 v35, v62, v68, vcc_lo
	v_cmp_u_f32_e32 vcc_lo, v36, v36
	v_add3_u32 v62, v69, v65, 0x7fff
	v_or_b32_e32 v68, 0x400000, v65
	v_add_f32_e32 v33, v34, v33
	v_and_b32_e32 v35, 0xffff0000, v35
	v_cndmask_b32_e32 v36, v66, v67, vcc_lo
	v_cmp_u_f32_e32 vcc_lo, v65, v65
	v_add_f32_e32 v34, v35, v38
	v_and_b32_e32 v35, 0xffff0000, v36
	v_cndmask_b32_e32 v39, v62, v68, vcc_lo
	v_and_b32_e32 v62, 0xffff0000, v63
	v_and_b32_e32 v38, 0xffff0000, v21
	v_lshlrev_b32_e32 v21, 16, v21
	v_add_f32_e32 v33, v34, v33
	v_and_b32_e32 v36, 0xffff0000, v39
	v_add_f32_e32 v39, v40, v62
	v_mul_f32_e32 v21, v29, v21
	v_add_f32_e32 v34, v35, v36
	v_mul_f32_e32 v35, v25, v38
	v_add_f32_e32 v36, v39, v37
	v_and_b32_e32 v37, 0xffff0000, v22
	v_lshlrev_b32_e32 v22, 16, v22
	v_add_f32_e32 v33, v34, v33
	v_bfe_u32 v34, v35, 16, 1
	v_add_f32_e32 v50, v50, v36
	v_bfe_u32 v36, v21, 16, 1
	v_mul_f32_e32 v37, v27, v37
	v_add_f32_e32 v51, v51, v33
	v_add3_u32 v33, v34, v35, 0x7fff
	v_or_b32_e32 v34, 0x400000, v35
	v_cmp_u_f32_e32 vcc_lo, v35, v35
	v_add3_u32 v36, v36, v21, 0x7fff
	v_or_b32_e32 v38, 0x400000, v21
	v_mul_f32_e32 v22, v30, v22
	v_and_b32_e32 v35, 0xffff0000, v23
	v_cndmask_b32_e32 v33, v33, v34, vcc_lo
	v_bfe_u32 v34, v37, 16, 1
	v_cmp_u_f32_e32 vcc_lo, v21, v21
	v_lshlrev_b32_e32 v23, 16, v23
	v_mul_f32_e32 v35, v26, v35
	v_and_b32_e32 v39, 0xffff0000, v24
	v_add3_u32 v34, v34, v37, 0x7fff
	v_cndmask_b32_e32 v21, v36, v38, vcc_lo
	v_or_b32_e32 v36, 0x400000, v37
	v_bfe_u32 v38, v22, 16, 1
	v_cmp_u_f32_e32 vcc_lo, v37, v37
	v_mul_f32_e32 v23, v32, v23
	v_or_b32_e32 v37, 0x400000, v22
	v_lshlrev_b32_e32 v24, 16, v24
	v_and_b32_e32 v21, 0xffff0000, v21
	v_cndmask_b32_e32 v34, v34, v36, vcc_lo
	v_add3_u32 v36, v38, v22, 0x7fff
	v_bfe_u32 v38, v35, 16, 1
	v_cmp_u_f32_e32 vcc_lo, v22, v22
	v_bfe_u32 v40, v23, 16, 1
	v_mul_f32_e32 v24, v31, v24
	v_and_b32_e32 v33, 0xffff0000, v33
	v_and_b32_e32 v34, 0xffff0000, v34
	v_cndmask_b32_e32 v22, v36, v37, vcc_lo
	v_add3_u32 v36, v38, v35, 0x7fff
	v_mul_f32_e32 v37, v28, v39
	v_or_b32_e32 v38, 0x400000, v35
	v_cmp_u_f32_e32 vcc_lo, v35, v35
	v_add3_u32 v39, v40, v23, 0x7fff
	v_or_b32_e32 v40, 0x400000, v23
	v_bfe_u32 v62, v37, 16, 1
	v_and_b32_e32 v22, 0xffff0000, v22
	v_cndmask_b32_e32 v35, v36, v38, vcc_lo
	v_cmp_u_f32_e32 vcc_lo, v23, v23
	v_or_b32_e32 v38, 0x400000, v37
	v_add3_u32 v36, v62, v37, 0x7fff
	v_add_f32_e32 v21, v21, v33
	v_add_f32_e32 v22, v22, v34
	v_cndmask_b32_e32 v23, v39, v40, vcc_lo
	v_bfe_u32 v39, v24, 16, 1
	v_cmp_u_f32_e32 vcc_lo, v37, v37
	v_and_b32_e32 v34, 0xffff0000, v17
	v_and_b32_e32 v33, 0xffff0000, v35
	;; [unrolled: 1-line block ×3, first 2 shown]
	v_add3_u32 v37, v39, v24, 0x7fff
	v_cndmask_b32_e32 v36, v36, v38, vcc_lo
	v_or_b32_e32 v38, 0x400000, v24
	v_cmp_u_f32_e32 vcc_lo, v24, v24
	v_lshlrev_b32_e32 v17, 16, v17
	v_add_f32_e32 v21, v22, v21
	v_mul_f32_e32 v22, v25, v34
	v_add_f32_e32 v23, v23, v33
	v_cndmask_b32_e32 v24, v37, v38, vcc_lo
	v_mul_f32_e32 v17, v29, v17
	v_and_b32_e32 v33, 0xffff0000, v36
	v_bfe_u32 v34, v22, 16, 1
	v_add_f32_e32 v21, v23, v21
	v_and_b32_e32 v24, 0xffff0000, v24
	v_bfe_u32 v23, v17, 16, 1
	v_and_b32_e32 v35, 0xffff0000, v18
	v_cmp_u_f32_e32 vcc_lo, v22, v22
	v_or_b32_e32 v36, 0x400000, v17
	v_add_f32_e32 v24, v24, v33
	v_add3_u32 v33, v34, v22, 0x7fff
	v_or_b32_e32 v34, 0x400000, v22
	v_add3_u32 v23, v23, v17, 0x7fff
	v_mul_f32_e32 v35, v27, v35
	v_lshlrev_b32_e32 v18, 16, v18
	v_and_b32_e32 v37, 0xffff0000, v20
	v_cndmask_b32_e32 v22, v33, v34, vcc_lo
	v_cmp_u_f32_e32 vcc_lo, v17, v17
	v_bfe_u32 v33, v35, 16, 1
	v_mul_f32_e32 v18, v30, v18
	v_or_b32_e32 v34, 0x400000, v35
	v_lshlrev_b32_e32 v20, 16, v20
	v_cndmask_b32_e32 v17, v23, v36, vcc_lo
	v_and_b32_e32 v23, 0xffff0000, v19
	v_add3_u32 v33, v33, v35, 0x7fff
	v_lshlrev_b32_e32 v19, 16, v19
	v_bfe_u32 v36, v18, 16, 1
	v_cmp_u_f32_e32 vcc_lo, v35, v35
	v_mul_f32_e32 v23, v26, v23
	v_or_b32_e32 v35, 0x400000, v18
	v_mul_f32_e32 v19, v32, v19
	v_mul_f32_e32 v20, v31, v20
	v_cndmask_b32_e32 v33, v33, v34, vcc_lo
	v_add3_u32 v34, v36, v18, 0x7fff
	v_bfe_u32 v36, v23, 16, 1
	v_cmp_u_f32_e32 vcc_lo, v18, v18
	v_bfe_u32 v38, v19, 16, 1
	v_and_b32_e32 v17, 0xffff0000, v17
	v_and_b32_e32 v22, 0xffff0000, v22
	;; [unrolled: 1-line block ×3, first 2 shown]
	v_cndmask_b32_e32 v18, v34, v35, vcc_lo
	v_add3_u32 v34, v36, v23, 0x7fff
	v_mul_f32_e32 v35, v28, v37
	v_or_b32_e32 v36, 0x400000, v23
	v_cmp_u_f32_e32 vcc_lo, v23, v23
	v_add3_u32 v37, v38, v19, 0x7fff
	v_or_b32_e32 v38, 0x400000, v19
	v_bfe_u32 v39, v35, 16, 1
	v_and_b32_e32 v18, 0xffff0000, v18
	v_cndmask_b32_e32 v23, v34, v36, vcc_lo
	v_cmp_u_f32_e32 vcc_lo, v19, v19
	v_or_b32_e32 v36, 0x400000, v35
	v_add3_u32 v34, v39, v35, 0x7fff
	v_add_f32_e32 v17, v17, v22
	v_add_f32_e32 v18, v18, v33
	v_cndmask_b32_e32 v19, v37, v38, vcc_lo
	v_bfe_u32 v37, v20, 16, 1
	v_cmp_u_f32_e32 vcc_lo, v35, v35
	v_and_b32_e32 v22, 0xffff0000, v23
	v_add_f32_e32 v17, v18, v17
	v_and_b32_e32 v19, 0xffff0000, v19
	v_add3_u32 v35, v37, v20, 0x7fff
	v_cndmask_b32_e32 v34, v34, v36, vcc_lo
	v_or_b32_e32 v36, 0x400000, v20
	v_cmp_u_f32_e32 vcc_lo, v20, v20
	v_and_b32_e32 v18, 0xffff0000, v13
	v_add_f32_e32 v19, v19, v22
	v_lshlrev_b32_e32 v13, 16, v13
	v_and_b32_e32 v22, 0xffff0000, v34
	v_cndmask_b32_e32 v20, v35, v36, vcc_lo
	v_mul_f32_e32 v18, v25, v18
	v_add_f32_e32 v21, v24, v21
	v_mul_f32_e32 v23, v29, v13
	v_add_f32_e32 v13, v19, v17
	v_and_b32_e32 v20, 0xffff0000, v20
	v_bfe_u32 v19, v18, 16, 1
	v_add_f32_e32 v52, v52, v21
	v_and_b32_e32 v21, 0xffff0000, v14
	v_cmp_u_f32_e32 vcc_lo, v18, v18
	v_add_f32_e32 v17, v20, v22
	v_bfe_u32 v20, v23, 16, 1
	v_or_b32_e32 v22, 0x400000, v23
	v_mul_f32_e32 v21, v27, v21
	v_lshlrev_b32_e32 v14, 16, v14
	v_add_f32_e32 v13, v17, v13
	v_add3_u32 v17, v19, v18, 0x7fff
	v_or_b32_e32 v19, 0x400000, v18
	v_add3_u32 v20, v20, v23, 0x7fff
	v_bfe_u32 v18, v21, 16, 1
	v_mul_f32_e32 v14, v30, v14
	v_and_b32_e32 v24, 0xffff0000, v16
	v_cndmask_b32_e32 v17, v17, v19, vcc_lo
	v_cmp_u_f32_e32 vcc_lo, v23, v23
	v_add3_u32 v18, v18, v21, 0x7fff
	v_bfe_u32 v23, v14, 16, 1
	v_lshlrev_b32_e32 v16, 16, v16
	v_and_b32_e32 v17, 0xffff0000, v17
	v_cndmask_b32_e32 v19, v20, v22, vcc_lo
	v_and_b32_e32 v20, 0xffff0000, v15
	v_or_b32_e32 v22, 0x400000, v21
	v_lshlrev_b32_e32 v15, 16, v15
	v_cmp_u_f32_e32 vcc_lo, v21, v21
	v_add3_u32 v21, v23, v14, 0x7fff
	v_mul_f32_e32 v20, v26, v20
	v_mul_f32_e32 v16, v31, v16
	;; [unrolled: 1-line block ×3, first 2 shown]
	v_cndmask_b32_e32 v18, v18, v22, vcc_lo
	v_or_b32_e32 v22, 0x400000, v14
	v_bfe_u32 v23, v20, 16, 1
	v_cmp_u_f32_e32 vcc_lo, v14, v14
	v_bfe_u32 v33, v15, 16, 1
	v_and_b32_e32 v19, 0xffff0000, v19
	v_and_b32_e32 v18, 0xffff0000, v18
	v_add_f32_e32 v53, v53, v13
	v_cndmask_b32_e32 v14, v21, v22, vcc_lo
	v_add3_u32 v21, v23, v20, 0x7fff
	v_mul_f32_e32 v22, v28, v24
	v_or_b32_e32 v23, 0x400000, v20
	v_cmp_u_f32_e32 vcc_lo, v20, v20
	v_add3_u32 v24, v33, v15, 0x7fff
	v_or_b32_e32 v33, 0x400000, v15
	v_bfe_u32 v34, v22, 16, 1
	v_and_b32_e32 v14, 0xffff0000, v14
	v_cndmask_b32_e32 v20, v21, v23, vcc_lo
	v_cmp_u_f32_e32 vcc_lo, v15, v15
	v_or_b32_e32 v23, 0x400000, v22
	v_add3_u32 v21, v34, v22, 0x7fff
	v_add_f32_e32 v17, v19, v17
	v_add_f32_e32 v14, v14, v18
	v_cndmask_b32_e32 v15, v24, v33, vcc_lo
	v_bfe_u32 v24, v16, 16, 1
	v_cmp_u_f32_e32 vcc_lo, v22, v22
	v_and_b32_e32 v19, 0xffff0000, v5
	v_and_b32_e32 v18, 0xffff0000, v20
	;; [unrolled: 1-line block ×3, first 2 shown]
	v_add3_u32 v22, v24, v16, 0x7fff
	v_cndmask_b32_e32 v21, v21, v23, vcc_lo
	v_or_b32_e32 v23, 0x400000, v16
	v_cmp_u_f32_e32 vcc_lo, v16, v16
	v_lshlrev_b32_e32 v5, 16, v5
	v_add_f32_e32 v14, v14, v17
	v_mul_f32_e32 v17, v25, v19
	v_add_f32_e32 v15, v15, v18
	v_cndmask_b32_e32 v16, v22, v23, vcc_lo
	v_mul_f32_e32 v18, v29, v5
	v_and_b32_e32 v19, 0xffff0000, v21
	v_and_b32_e32 v20, 0xffff0000, v6
	v_bfe_u32 v21, v17, 16, 1
	v_and_b32_e32 v16, 0xffff0000, v16
	v_add_f32_e32 v5, v15, v14
	v_bfe_u32 v15, v18, 16, 1
	v_cmp_u_f32_e32 vcc_lo, v17, v17
	v_lshlrev_b32_e32 v6, 16, v6
	v_add_f32_e32 v14, v16, v19
	v_mul_f32_e32 v16, v27, v20
	v_add3_u32 v19, v21, v17, 0x7fff
	v_or_b32_e32 v20, 0x400000, v17
	v_add3_u32 v15, v15, v18, 0x7fff
	v_or_b32_e32 v21, 0x400000, v18
	v_bfe_u32 v22, v16, 16, 1
	v_mul_f32_e32 v6, v30, v6
	v_cndmask_b32_e32 v17, v19, v20, vcc_lo
	v_cmp_u_f32_e32 vcc_lo, v18, v18
	v_or_b32_e32 v19, 0x400000, v16
	v_add3_u32 v18, v22, v16, 0x7fff
	v_and_b32_e32 v20, 0xffff0000, v7
	v_lshlrev_b32_e32 v7, 16, v7
	v_cndmask_b32_e32 v15, v15, v21, vcc_lo
	v_cmp_u_f32_e32 vcc_lo, v16, v16
	v_bfe_u32 v21, v6, 16, 1
	v_and_b32_e32 v17, 0xffff0000, v17
	v_mul_f32_e32 v7, v32, v7
	v_and_b32_e32 v15, 0xffff0000, v15
	v_cndmask_b32_e32 v16, v18, v19, vcc_lo
	v_mul_f32_e32 v18, v26, v20
	v_add3_u32 v19, v21, v6, 0x7fff
	v_or_b32_e32 v20, 0x400000, v6
	v_and_b32_e32 v21, 0xffff0000, v8
	v_cmp_u_f32_e32 vcc_lo, v6, v6
	v_bfe_u32 v22, v18, 16, 1
	v_bfe_u32 v23, v7, 16, 1
	v_lshlrev_b32_e32 v8, 16, v8
	v_and_b32_e32 v16, 0xffff0000, v16
	v_cndmask_b32_e32 v6, v19, v20, vcc_lo
	v_mul_f32_e32 v19, v28, v21
	v_add3_u32 v20, v22, v18, 0x7fff
	v_or_b32_e32 v21, 0x400000, v18
	v_cmp_u_f32_e32 vcc_lo, v18, v18
	v_add3_u32 v22, v23, v7, 0x7fff
	v_or_b32_e32 v23, 0x400000, v7
	v_bfe_u32 v24, v19, 16, 1
	v_and_b32_e32 v6, 0xffff0000, v6
	v_cndmask_b32_e32 v18, v20, v21, vcc_lo
	v_cmp_u_f32_e32 vcc_lo, v7, v7
	v_or_b32_e32 v21, 0x400000, v19
	v_add3_u32 v20, v24, v19, 0x7fff
	v_mul_f32_e32 v8, v31, v8
	v_add_f32_e32 v15, v15, v17
	v_cndmask_b32_e32 v7, v22, v23, vcc_lo
	v_cmp_u_f32_e32 vcc_lo, v19, v19
	v_add_f32_e32 v6, v6, v16
	v_and_b32_e32 v16, 0xffff0000, v1
	v_and_b32_e32 v17, 0xffff0000, v18
	;; [unrolled: 1-line block ×3, first 2 shown]
	v_cndmask_b32_e32 v19, v20, v21, vcc_lo
	v_bfe_u32 v20, v8, 16, 1
	v_add_f32_e32 v6, v6, v15
	v_mul_f32_e32 v15, v25, v16
	v_add_f32_e32 v7, v7, v17
	v_lshlrev_b32_e32 v1, 16, v1
	v_add3_u32 v18, v20, v8, 0x7fff
	v_or_b32_e32 v20, 0x400000, v8
	v_cmp_u_f32_e32 vcc_lo, v8, v8
	v_bfe_u32 v16, v15, 16, 1
	v_add_f32_e32 v6, v7, v6
	v_and_b32_e32 v7, 0xffff0000, v2
	v_mul_f32_e32 v1, v29, v1
	v_cndmask_b32_e32 v8, v18, v20, vcc_lo
	v_add3_u32 v16, v16, v15, 0x7fff
	v_or_b32_e32 v17, 0x400000, v15
	v_mul_f32_e32 v7, v27, v7
	v_and_b32_e32 v18, 0xffff0000, v19
	v_bfe_u32 v19, v1, 16, 1
	v_cmp_u_f32_e32 vcc_lo, v15, v15
	v_lshlrev_b32_e32 v2, 16, v2
	v_or_b32_e32 v20, 0x400000, v1
	v_or_b32_e32 v21, 0x400000, v7
	v_and_b32_e32 v8, 0xffff0000, v8
	v_cndmask_b32_e32 v15, v16, v17, vcc_lo
	v_bfe_u32 v16, v7, 16, 1
	v_add3_u32 v17, v19, v1, 0x7fff
	v_and_b32_e32 v19, 0xffff0000, v3
	v_mul_f32_e32 v2, v30, v2
	v_cmp_u_f32_e32 vcc_lo, v1, v1
	v_add3_u32 v16, v16, v7, 0x7fff
	v_lshlrev_b32_e32 v3, 16, v3
	v_mul_f32_e32 v19, v26, v19
	v_and_b32_e32 v15, 0xffff0000, v15
	v_cndmask_b32_e32 v1, v17, v20, vcc_lo
	v_bfe_u32 v17, v2, 16, 1
	v_cmp_u_f32_e32 vcc_lo, v7, v7
	v_and_b32_e32 v20, 0xffff0000, v4
	v_mul_f32_e32 v3, v32, v3
	v_or_b32_e32 v22, 0x400000, v19
	v_add3_u32 v17, v17, v2, 0x7fff
	v_cndmask_b32_e32 v7, v16, v21, vcc_lo
	v_bfe_u32 v16, v19, 16, 1
	v_or_b32_e32 v21, 0x400000, v2
	v_cmp_u_f32_e32 vcc_lo, v2, v2
	v_mul_f32_e32 v20, v28, v20
	v_lshlrev_b32_e32 v4, 16, v4
	v_add3_u32 v16, v16, v19, 0x7fff
	v_and_b32_e32 v1, 0xffff0000, v1
	v_cndmask_b32_e32 v2, v17, v21, vcc_lo
	v_bfe_u32 v17, v3, 16, 1
	v_cmp_u_f32_e32 vcc_lo, v19, v19
	v_bfe_u32 v21, v20, 16, 1
	v_or_b32_e32 v19, 0x400000, v3
	v_mul_f32_e32 v4, v31, v4
	v_add3_u32 v17, v17, v3, 0x7fff
	v_cndmask_b32_e32 v16, v16, v22, vcc_lo
	v_cmp_u_f32_e32 vcc_lo, v3, v3
	v_add3_u32 v21, v21, v20, 0x7fff
	v_or_b32_e32 v22, 0x400000, v20
	v_and_b32_e32 v2, 0xffff0000, v2
	v_and_b32_e32 v7, 0xffff0000, v7
	v_cndmask_b32_e32 v3, v17, v19, vcc_lo
	v_cmp_u_f32_e32 vcc_lo, v20, v20
	v_bfe_u32 v19, v4, 16, 1
	v_add_f32_e32 v1, v1, v15
	v_add_f32_e32 v2, v2, v7
	v_and_b32_e32 v3, 0xffff0000, v3
	v_cndmask_b32_e32 v17, v21, v22, vcc_lo
	s_waitcnt vmcnt(0)
	v_lshlrev_b32_e32 v21, 16, v9
	v_and_b32_e32 v7, 0xffff0000, v16
	v_and_b32_e32 v9, 0xffff0000, v9
	v_add3_u32 v19, v19, v4, 0x7fff
	v_or_b32_e32 v20, 0x400000, v4
	v_mul_f32_e32 v15, v29, v21
	v_cmp_u_f32_e32 vcc_lo, v4, v4
	v_add_f32_e32 v1, v2, v1
	v_add_f32_e32 v3, v3, v7
	v_mul_f32_e32 v7, v25, v9
	v_bfe_u32 v2, v15, 16, 1
	v_lshlrev_b32_e32 v9, 16, v10
	v_cndmask_b32_e32 v4, v19, v20, vcc_lo
	v_or_b32_e32 v16, 0x400000, v15
	v_bfe_u32 v19, v7, 16, 1
	v_add3_u32 v2, v2, v15, 0x7fff
	v_mul_f32_e32 v9, v30, v9
	v_and_b32_e32 v10, 0xffff0000, v10
	v_cmp_u_f32_e32 vcc_lo, v15, v15
	v_add3_u32 v15, v19, v7, 0x7fff
	v_lshlrev_b32_e32 v20, 16, v11
	v_bfe_u32 v19, v9, 16, 1
	v_mul_f32_e32 v10, v27, v10
	v_cndmask_b32_e32 v2, v2, v16, vcc_lo
	v_or_b32_e32 v16, 0x400000, v7
	v_cmp_u_f32_e32 vcc_lo, v7, v7
	v_mul_f32_e32 v20, v32, v20
	v_and_b32_e32 v11, 0xffff0000, v11
	v_lshlrev_b32_e32 v21, 16, v12
	v_and_b32_e32 v12, 0xffff0000, v12
	v_cndmask_b32_e32 v7, v15, v16, vcc_lo
	v_add3_u32 v15, v19, v9, 0x7fff
	v_or_b32_e32 v16, 0x400000, v9
	v_bfe_u32 v19, v10, 16, 1
	v_cmp_u_f32_e32 vcc_lo, v9, v9
	v_mul_f32_e32 v11, v26, v11
	v_mul_f32_e32 v12, v28, v12
	v_and_b32_e32 v7, 0xffff0000, v7
	v_and_b32_e32 v2, 0xffff0000, v2
	v_cndmask_b32_e32 v9, v15, v16, vcc_lo
	v_add3_u32 v15, v19, v10, 0x7fff
	v_or_b32_e32 v16, 0x400000, v10
	v_bfe_u32 v19, v20, 16, 1
	v_cmp_u_f32_e32 vcc_lo, v10, v10
	v_or_b32_e32 v22, 0x400000, v11
	v_bfe_u32 v24, v12, 16, 1
	v_and_b32_e32 v9, 0xffff0000, v9
	v_add_f32_e32 v2, v2, v7
	v_cndmask_b32_e32 v10, v15, v16, vcc_lo
	v_bfe_u32 v15, v11, 16, 1
	v_add3_u32 v16, v19, v20, 0x7fff
	v_mul_f32_e32 v19, v31, v21
	v_or_b32_e32 v21, 0x400000, v20
	v_cmp_u_f32_e32 vcc_lo, v20, v20
	v_add3_u32 v15, v15, v11, 0x7fff
	v_add3_u32 v20, v24, v12, 0x7fff
	v_bfe_u32 v23, v19, 16, 1
	v_and_b32_e32 v10, 0xffff0000, v10
	v_cndmask_b32_e32 v16, v16, v21, vcc_lo
	v_cmp_u_f32_e32 vcc_lo, v11, v11
	v_or_b32_e32 v21, 0x400000, v12
	v_and_b32_e32 v4, 0xffff0000, v4
	v_add_f32_e32 v7, v9, v10
	v_and_b32_e32 v10, 0xffff0000, v16
	v_cndmask_b32_e32 v11, v15, v22, vcc_lo
	v_cmp_u_f32_e32 vcc_lo, v12, v12
	v_add3_u32 v15, v23, v19, 0x7fff
	v_or_b32_e32 v22, 0x400000, v19
	v_add_f32_e32 v2, v7, v2
	v_and_b32_e32 v9, 0xffff0000, v11
	v_cndmask_b32_e32 v12, v20, v21, vcc_lo
	v_cmp_u_f32_e32 vcc_lo, v19, v19
	v_add_f32_e32 v8, v8, v18
	v_add_f32_e32 v1, v3, v1
	;; [unrolled: 1-line block ×3, first 2 shown]
	v_and_b32_e32 v9, 0xffff0000, v12
	v_cndmask_b32_e32 v11, v15, v22, vcc_lo
	v_and_b32_e32 v15, 0xffff0000, v17
	v_add_f32_e32 v5, v14, v5
	v_add_f32_e32 v2, v7, v2
	;; [unrolled: 1-line block ×3, first 2 shown]
	v_and_b32_e32 v10, 0xffff0000, v11
	v_add_f32_e32 v3, v4, v15
	v_cmp_le_i32_e32 vcc_lo, s11, v41
	v_add_f32_e32 v54, v54, v5
	v_add_f32_e32 v56, v56, v6
	;; [unrolled: 1-line block ×4, first 2 shown]
	s_or_b32 s12, vcc_lo, s12
	v_add_f32_e32 v2, v4, v2
	v_add_f32_e32 v55, v55, v1
	;; [unrolled: 1-line block ×3, first 2 shown]
	s_andn2_b32 exec_lo, exec_lo, s12
	s_cbranch_execz .LBB168_49
.LBB168_33:                             ; =>This Inner Loop Header: Depth=1
	global_load_dword v1, v[42:43], off
	v_cmp_eq_u32_e64 s1, s6, v41
	v_add_nc_u32_e32 v68, 1, v60
	v_or_b32_e32 v66, 3, v60
	v_or_b32_e32 v67, 2, v60
	v_or_b32_e32 v65, 5, v60
	v_or_b32_e32 v64, 4, v60
	v_or_b32_e32 v63, 7, v60
	v_or_b32_e32 v62, 6, v60
	s_waitcnt vmcnt(0)
	v_mad_i64_i32 v[1:2], null, v1, s9, 0
	v_lshlrev_b64 v[1:2], 1, v[1:2]
	v_add_co_u32 v9, vcc_lo, v58, v1
	v_add_co_ci_u32_e64 v10, null, v59, v2, vcc_lo
	global_load_dwordx4 v[1:4], v[9:10], off
	ds_read2_b64 v[29:32], v61 offset1:1
	ds_read2_b64 v[25:28], v61 offset0:2 offset1:3
	s_and_saveexec_b32 s14, s1
	s_cbranch_execnz .LBB168_42
; %bb.34:                               ;   in Loop: Header=BB168_33 Depth=1
	s_or_b32 exec_lo, exec_lo, s14
	global_load_dwordx4 v[5:8], v[9:10], off offset:512
	s_and_saveexec_b32 s14, s1
	s_cbranch_execnz .LBB168_43
.LBB168_35:                             ;   in Loop: Header=BB168_33 Depth=1
	s_or_b32 exec_lo, exec_lo, s14
	global_load_dwordx4 v[13:16], v[9:10], off offset:1024
	s_and_saveexec_b32 s14, s1
	s_cbranch_execnz .LBB168_44
.LBB168_36:                             ;   in Loop: Header=BB168_33 Depth=1
	s_or_b32 exec_lo, exec_lo, s14
	global_load_dwordx4 v[17:20], v[9:10], off offset:1536
	s_and_saveexec_b32 s14, s1
	s_cbranch_execz .LBB168_38
.LBB168_37:                             ;   in Loop: Header=BB168_33 Depth=1
	v_cmp_gt_i32_e64 s2, s23, v60
	v_cmp_gt_i32_e32 vcc_lo, s13, v68
	v_cmp_gt_i32_e64 s3, s23, v67
	s_waitcnt vmcnt(0)
	v_cndmask_b32_e64 v11, 0, v17, s2
	v_cmp_gt_i32_e64 s2, s13, v66
	v_cndmask_b32_sdwa v17, v57, v17, vcc_lo dst_sel:DWORD dst_unused:UNUSED_PAD src0_sel:DWORD src1_sel:WORD_1
	v_cndmask_b32_e64 v12, 0, v18, s3
	v_cmp_gt_i32_e64 s3, s13, v65
	s_mov_b32 vcc_lo, s2
	v_cmp_gt_i32_e64 s2, s13, v63
	v_cndmask_b32_sdwa v18, v57, v18, vcc_lo dst_sel:DWORD dst_unused:UNUSED_PAD src0_sel:DWORD src1_sel:WORD_1
	v_cmp_gt_i32_e32 vcc_lo, s23, v64
	v_perm_b32 v17, v17, v11, 0x5040100
	v_perm_b32 v18, v18, v12, 0x5040100
	v_cndmask_b32_e32 v21, 0, v19, vcc_lo
	s_mov_b32 vcc_lo, s3
	v_cndmask_b32_sdwa v19, v57, v19, vcc_lo dst_sel:DWORD dst_unused:UNUSED_PAD src0_sel:DWORD src1_sel:WORD_1
	v_cmp_gt_i32_e32 vcc_lo, s23, v62
	v_perm_b32 v19, v19, v21, 0x5040100
	v_cndmask_b32_e32 v22, 0, v20, vcc_lo
	s_mov_b32 vcc_lo, s2
	v_cndmask_b32_sdwa v20, v57, v20, vcc_lo dst_sel:DWORD dst_unused:UNUSED_PAD src0_sel:DWORD src1_sel:WORD_1
	v_perm_b32 v20, v20, v22, 0x5040100
.LBB168_38:                             ;   in Loop: Header=BB168_33 Depth=1
	s_or_b32 exec_lo, exec_lo, s14
	v_add_co_u32 v9, vcc_lo, 0x800, v9
	v_add_co_ci_u32_e64 v10, null, 0, v10, vcc_lo
	global_load_dwordx4 v[21:24], v[9:10], off
	s_and_saveexec_b32 s14, s1
	s_cbranch_execnz .LBB168_45
; %bb.39:                               ;   in Loop: Header=BB168_33 Depth=1
	s_or_b32 exec_lo, exec_lo, s14
	global_load_dwordx4 v[33:36], v[9:10], off offset:512
	s_and_saveexec_b32 s14, s1
	s_cbranch_execnz .LBB168_46
.LBB168_40:                             ;   in Loop: Header=BB168_33 Depth=1
	s_or_b32 exec_lo, exec_lo, s14
	global_load_dwordx4 v[37:40], v[9:10], off offset:1024
	s_and_saveexec_b32 s14, s1
	s_cbranch_execnz .LBB168_47
.LBB168_41:                             ;   in Loop: Header=BB168_33 Depth=1
	s_or_b32 exec_lo, exec_lo, s14
	global_load_dwordx4 v[9:12], v[9:10], off offset:1536
	s_and_saveexec_b32 s3, s1
	s_cbranch_execz .LBB168_32
	s_branch .LBB168_48
.LBB168_42:                             ;   in Loop: Header=BB168_33 Depth=1
	v_cmp_gt_i32_e64 s2, s23, v60
	v_cmp_gt_i32_e32 vcc_lo, s13, v68
	v_cmp_gt_i32_e64 s3, s23, v67
	s_waitcnt vmcnt(0)
	v_cndmask_b32_e64 v5, 0, v1, s2
	v_cmp_gt_i32_e64 s2, s13, v66
	v_cndmask_b32_sdwa v1, v57, v1, vcc_lo dst_sel:DWORD dst_unused:UNUSED_PAD src0_sel:DWORD src1_sel:WORD_1
	v_cndmask_b32_e64 v6, 0, v2, s3
	v_cmp_gt_i32_e64 s3, s13, v65
	s_mov_b32 vcc_lo, s2
	v_cmp_gt_i32_e64 s2, s13, v63
	v_cndmask_b32_sdwa v2, v57, v2, vcc_lo dst_sel:DWORD dst_unused:UNUSED_PAD src0_sel:DWORD src1_sel:WORD_1
	v_cmp_gt_i32_e32 vcc_lo, s23, v64
	v_perm_b32 v1, v1, v5, 0x5040100
	v_perm_b32 v2, v2, v6, 0x5040100
	v_cndmask_b32_e32 v7, 0, v3, vcc_lo
	s_mov_b32 vcc_lo, s3
	v_cndmask_b32_sdwa v3, v57, v3, vcc_lo dst_sel:DWORD dst_unused:UNUSED_PAD src0_sel:DWORD src1_sel:WORD_1
	v_cmp_gt_i32_e32 vcc_lo, s23, v62
	v_perm_b32 v3, v3, v7, 0x5040100
	v_cndmask_b32_e32 v8, 0, v4, vcc_lo
	s_mov_b32 vcc_lo, s2
	v_cndmask_b32_sdwa v4, v57, v4, vcc_lo dst_sel:DWORD dst_unused:UNUSED_PAD src0_sel:DWORD src1_sel:WORD_1
	v_perm_b32 v4, v4, v8, 0x5040100
	s_or_b32 exec_lo, exec_lo, s14
	global_load_dwordx4 v[5:8], v[9:10], off offset:512
	s_and_saveexec_b32 s14, s1
	s_cbranch_execz .LBB168_35
.LBB168_43:                             ;   in Loop: Header=BB168_33 Depth=1
	v_cmp_gt_i32_e64 s2, s23, v60
	v_cmp_gt_i32_e32 vcc_lo, s13, v68
	v_cmp_gt_i32_e64 s3, s23, v67
	s_waitcnt vmcnt(0)
	v_cndmask_b32_e64 v11, 0, v5, s2
	v_cmp_gt_i32_e64 s2, s13, v66
	v_cndmask_b32_sdwa v5, v57, v5, vcc_lo dst_sel:DWORD dst_unused:UNUSED_PAD src0_sel:DWORD src1_sel:WORD_1
	v_cndmask_b32_e64 v12, 0, v6, s3
	v_cmp_gt_i32_e64 s3, s13, v65
	s_mov_b32 vcc_lo, s2
	v_cmp_gt_i32_e64 s2, s13, v63
	v_cndmask_b32_sdwa v6, v57, v6, vcc_lo dst_sel:DWORD dst_unused:UNUSED_PAD src0_sel:DWORD src1_sel:WORD_1
	v_cmp_gt_i32_e32 vcc_lo, s23, v64
	v_perm_b32 v5, v5, v11, 0x5040100
	v_perm_b32 v6, v6, v12, 0x5040100
	v_cndmask_b32_e32 v13, 0, v7, vcc_lo
	s_mov_b32 vcc_lo, s3
	v_cndmask_b32_sdwa v7, v57, v7, vcc_lo dst_sel:DWORD dst_unused:UNUSED_PAD src0_sel:DWORD src1_sel:WORD_1
	v_cmp_gt_i32_e32 vcc_lo, s23, v62
	v_perm_b32 v7, v7, v13, 0x5040100
	v_cndmask_b32_e32 v14, 0, v8, vcc_lo
	s_mov_b32 vcc_lo, s2
	v_cndmask_b32_sdwa v8, v57, v8, vcc_lo dst_sel:DWORD dst_unused:UNUSED_PAD src0_sel:DWORD src1_sel:WORD_1
	v_perm_b32 v8, v8, v14, 0x5040100
	s_or_b32 exec_lo, exec_lo, s14
	global_load_dwordx4 v[13:16], v[9:10], off offset:1024
	s_and_saveexec_b32 s14, s1
	s_cbranch_execz .LBB168_36
.LBB168_44:                             ;   in Loop: Header=BB168_33 Depth=1
	v_cmp_gt_i32_e64 s2, s23, v60
	v_cmp_gt_i32_e32 vcc_lo, s13, v68
	v_cmp_gt_i32_e64 s3, s23, v67
	s_waitcnt vmcnt(0)
	v_cndmask_b32_e64 v11, 0, v13, s2
	v_cmp_gt_i32_e64 s2, s13, v66
	v_cndmask_b32_sdwa v13, v57, v13, vcc_lo dst_sel:DWORD dst_unused:UNUSED_PAD src0_sel:DWORD src1_sel:WORD_1
	v_cndmask_b32_e64 v12, 0, v14, s3
	v_cmp_gt_i32_e64 s3, s13, v65
	s_mov_b32 vcc_lo, s2
	v_cmp_gt_i32_e64 s2, s13, v63
	v_cndmask_b32_sdwa v14, v57, v14, vcc_lo dst_sel:DWORD dst_unused:UNUSED_PAD src0_sel:DWORD src1_sel:WORD_1
	v_cmp_gt_i32_e32 vcc_lo, s23, v64
	v_perm_b32 v13, v13, v11, 0x5040100
	v_perm_b32 v14, v14, v12, 0x5040100
	v_cndmask_b32_e32 v17, 0, v15, vcc_lo
	s_mov_b32 vcc_lo, s3
	v_cndmask_b32_sdwa v15, v57, v15, vcc_lo dst_sel:DWORD dst_unused:UNUSED_PAD src0_sel:DWORD src1_sel:WORD_1
	v_cmp_gt_i32_e32 vcc_lo, s23, v62
	v_perm_b32 v15, v15, v17, 0x5040100
	v_cndmask_b32_e32 v18, 0, v16, vcc_lo
	s_mov_b32 vcc_lo, s2
	v_cndmask_b32_sdwa v16, v57, v16, vcc_lo dst_sel:DWORD dst_unused:UNUSED_PAD src0_sel:DWORD src1_sel:WORD_1
	v_perm_b32 v16, v16, v18, 0x5040100
	s_or_b32 exec_lo, exec_lo, s14
	global_load_dwordx4 v[17:20], v[9:10], off offset:1536
	s_and_saveexec_b32 s14, s1
	s_cbranch_execnz .LBB168_37
	s_branch .LBB168_38
.LBB168_45:                             ;   in Loop: Header=BB168_33 Depth=1
	v_cmp_gt_i32_e64 s2, s23, v60
	v_cmp_gt_i32_e32 vcc_lo, s13, v68
	v_cmp_gt_i32_e64 s3, s23, v67
	s_waitcnt vmcnt(0)
	v_cndmask_b32_e64 v11, 0, v21, s2
	v_cmp_gt_i32_e64 s2, s13, v66
	v_cndmask_b32_sdwa v21, v57, v21, vcc_lo dst_sel:DWORD dst_unused:UNUSED_PAD src0_sel:DWORD src1_sel:WORD_1
	v_cndmask_b32_e64 v12, 0, v22, s3
	v_cmp_gt_i32_e64 s3, s13, v65
	s_mov_b32 vcc_lo, s2
	v_cmp_gt_i32_e64 s2, s13, v63
	v_cndmask_b32_sdwa v22, v57, v22, vcc_lo dst_sel:DWORD dst_unused:UNUSED_PAD src0_sel:DWORD src1_sel:WORD_1
	v_cmp_gt_i32_e32 vcc_lo, s23, v64
	v_perm_b32 v21, v21, v11, 0x5040100
	v_perm_b32 v22, v22, v12, 0x5040100
	v_cndmask_b32_e32 v33, 0, v23, vcc_lo
	s_mov_b32 vcc_lo, s3
	v_cndmask_b32_sdwa v23, v57, v23, vcc_lo dst_sel:DWORD dst_unused:UNUSED_PAD src0_sel:DWORD src1_sel:WORD_1
	v_cmp_gt_i32_e32 vcc_lo, s23, v62
	v_perm_b32 v23, v23, v33, 0x5040100
	v_cndmask_b32_e32 v34, 0, v24, vcc_lo
	s_mov_b32 vcc_lo, s2
	v_cndmask_b32_sdwa v24, v57, v24, vcc_lo dst_sel:DWORD dst_unused:UNUSED_PAD src0_sel:DWORD src1_sel:WORD_1
	v_perm_b32 v24, v24, v34, 0x5040100
	s_or_b32 exec_lo, exec_lo, s14
	global_load_dwordx4 v[33:36], v[9:10], off offset:512
	s_and_saveexec_b32 s14, s1
	s_cbranch_execz .LBB168_40
.LBB168_46:                             ;   in Loop: Header=BB168_33 Depth=1
	v_cmp_gt_i32_e64 s2, s23, v60
	v_cmp_gt_i32_e32 vcc_lo, s13, v68
	v_cmp_gt_i32_e64 s3, s23, v67
	s_waitcnt vmcnt(0)
	v_cndmask_b32_e64 v11, 0, v33, s2
	v_cmp_gt_i32_e64 s2, s13, v66
	v_cndmask_b32_sdwa v33, v57, v33, vcc_lo dst_sel:DWORD dst_unused:UNUSED_PAD src0_sel:DWORD src1_sel:WORD_1
	v_cndmask_b32_e64 v12, 0, v34, s3
	v_cmp_gt_i32_e64 s3, s13, v65
	s_mov_b32 vcc_lo, s2
	v_cmp_gt_i32_e64 s2, s13, v63
	v_cndmask_b32_sdwa v34, v57, v34, vcc_lo dst_sel:DWORD dst_unused:UNUSED_PAD src0_sel:DWORD src1_sel:WORD_1
	v_cmp_gt_i32_e32 vcc_lo, s23, v64
	v_perm_b32 v33, v33, v11, 0x5040100
	v_perm_b32 v34, v34, v12, 0x5040100
	v_cndmask_b32_e32 v37, 0, v35, vcc_lo
	s_mov_b32 vcc_lo, s3
	v_cndmask_b32_sdwa v35, v57, v35, vcc_lo dst_sel:DWORD dst_unused:UNUSED_PAD src0_sel:DWORD src1_sel:WORD_1
	v_cmp_gt_i32_e32 vcc_lo, s23, v62
	v_perm_b32 v35, v35, v37, 0x5040100
	v_cndmask_b32_e32 v38, 0, v36, vcc_lo
	s_mov_b32 vcc_lo, s2
	v_cndmask_b32_sdwa v36, v57, v36, vcc_lo dst_sel:DWORD dst_unused:UNUSED_PAD src0_sel:DWORD src1_sel:WORD_1
	v_perm_b32 v36, v36, v38, 0x5040100
	s_or_b32 exec_lo, exec_lo, s14
	global_load_dwordx4 v[37:40], v[9:10], off offset:1024
	s_and_saveexec_b32 s14, s1
	s_cbranch_execz .LBB168_41
.LBB168_47:                             ;   in Loop: Header=BB168_33 Depth=1
	v_cmp_gt_i32_e64 s2, s23, v60
	v_cmp_gt_i32_e32 vcc_lo, s13, v68
	v_cmp_gt_i32_e64 s3, s23, v67
	s_waitcnt vmcnt(0)
	v_cndmask_b32_e64 v11, 0, v37, s2
	v_cmp_gt_i32_e64 s2, s13, v66
	v_cndmask_b32_sdwa v37, v57, v37, vcc_lo dst_sel:DWORD dst_unused:UNUSED_PAD src0_sel:DWORD src1_sel:WORD_1
	v_cndmask_b32_e64 v12, 0, v38, s3
	v_cmp_gt_i32_e64 s3, s13, v65
	s_mov_b32 vcc_lo, s2
	v_cmp_gt_i32_e64 s2, s13, v63
	v_cndmask_b32_sdwa v38, v57, v38, vcc_lo dst_sel:DWORD dst_unused:UNUSED_PAD src0_sel:DWORD src1_sel:WORD_1
	v_cmp_gt_i32_e32 vcc_lo, s23, v64
	v_perm_b32 v37, v37, v11, 0x5040100
	v_perm_b32 v38, v38, v12, 0x5040100
	v_cndmask_b32_e32 v69, 0, v39, vcc_lo
	s_mov_b32 vcc_lo, s3
	v_cndmask_b32_sdwa v39, v57, v39, vcc_lo dst_sel:DWORD dst_unused:UNUSED_PAD src0_sel:DWORD src1_sel:WORD_1
	v_cmp_gt_i32_e32 vcc_lo, s23, v62
	v_perm_b32 v39, v39, v69, 0x5040100
	v_cndmask_b32_e32 v70, 0, v40, vcc_lo
	s_mov_b32 vcc_lo, s2
	v_cndmask_b32_sdwa v40, v57, v40, vcc_lo dst_sel:DWORD dst_unused:UNUSED_PAD src0_sel:DWORD src1_sel:WORD_1
	v_perm_b32 v40, v40, v70, 0x5040100
	s_or_b32 exec_lo, exec_lo, s14
	global_load_dwordx4 v[9:12], v[9:10], off offset:1536
	s_and_saveexec_b32 s3, s1
	s_cbranch_execz .LBB168_32
.LBB168_48:                             ;   in Loop: Header=BB168_33 Depth=1
	v_cmp_gt_i32_e64 s1, s23, v60
	v_cmp_gt_i32_e32 vcc_lo, s13, v68
	v_cmp_gt_i32_e64 s2, s23, v67
	s_waitcnt vmcnt(0)
	v_cndmask_b32_e64 v68, 0, v9, s1
	v_cmp_gt_i32_e64 s1, s13, v66
	v_cndmask_b32_sdwa v9, v57, v9, vcc_lo dst_sel:DWORD dst_unused:UNUSED_PAD src0_sel:DWORD src1_sel:WORD_1
	v_cndmask_b32_e64 v66, 0, v10, s2
	v_cmp_gt_i32_e64 s2, s13, v65
	s_mov_b32 vcc_lo, s1
	v_cmp_gt_i32_e64 s1, s13, v63
	v_cndmask_b32_sdwa v10, v57, v10, vcc_lo dst_sel:DWORD dst_unused:UNUSED_PAD src0_sel:DWORD src1_sel:WORD_1
	v_cmp_gt_i32_e32 vcc_lo, s23, v64
	v_perm_b32 v9, v9, v68, 0x5040100
	v_perm_b32 v10, v10, v66, 0x5040100
	v_cndmask_b32_e32 v64, 0, v11, vcc_lo
	s_mov_b32 vcc_lo, s2
	v_cndmask_b32_sdwa v11, v57, v11, vcc_lo dst_sel:DWORD dst_unused:UNUSED_PAD src0_sel:DWORD src1_sel:WORD_1
	v_cmp_gt_i32_e32 vcc_lo, s23, v62
	v_perm_b32 v11, v11, v64, 0x5040100
	v_cndmask_b32_e32 v62, 0, v12, vcc_lo
	s_mov_b32 vcc_lo, s1
	v_cndmask_b32_sdwa v12, v57, v12, vcc_lo dst_sel:DWORD dst_unused:UNUSED_PAD src0_sel:DWORD src1_sel:WORD_1
	v_perm_b32 v12, v12, v62, 0x5040100
	s_branch .LBB168_32
.LBB168_49:
	s_or_b32 exec_lo, exec_lo, s12
.LBB168_50:
	s_or_b32 exec_lo, exec_lo, s5
	ds_bpermute_b32 v1, v48, v55
	ds_bpermute_b32 v2, v48, v56
	;; [unrolled: 1-line block ×8, first 2 shown]
	v_lshrrev_b32_e32 v9, 1, v47
	v_lshlrev_b32_e32 v11, 9, v46
	v_and_b32_e32 v16, 0x3c1, v0
	s_mov_b32 s1, exec_lo
	s_waitcnt lgkmcnt(0)
	s_waitcnt_vscnt null, 0x0
	v_lshl_add_u32 v10, v9, 2, 0x120
	s_barrier
	buffer_gl0_inv
	v_add_f32_e32 v8, v55, v1
	v_add_f32_e32 v7, v56, v2
	;; [unrolled: 1-line block ×8, first 2 shown]
	v_cmpx_eq_u32_e32 64, v16
	s_cbranch_execz .LBB168_52
; %bb.51:
	v_add_nc_u32_e32 v12, v10, v11
	v_add_nc_u32_e32 v13, 0xfffffc00, v12
	;; [unrolled: 1-line block ×9, first 2 shown]
	ds_write_b32 v13, v8
	ds_write_b32 v14, v7
	;; [unrolled: 1-line block ×8, first 2 shown]
.LBB168_52:
	s_or_b32 exec_lo, exec_lo, s1
	v_lshlrev_b32_e32 v9, 2, v9
	s_mov_b32 s2, exec_lo
	v_cmp_eq_u32_e32 vcc_lo, 0, v45
	s_waitcnt lgkmcnt(0)
	s_barrier
	v_add3_u32 v9, 0x120, v11, v9
	buffer_gl0_inv
	v_cmpx_gt_u32_e32 64, v0
	s_cbranch_execz .LBB168_63
; %bb.53:
	s_and_saveexec_b32 s1, vcc_lo
	s_cbranch_execnz .LBB168_79
; %bb.54:
	s_or_b32 exec_lo, exec_lo, s1
	s_and_saveexec_b32 s1, vcc_lo
	s_cbranch_execnz .LBB168_80
.LBB168_55:
	s_or_b32 exec_lo, exec_lo, s1
	s_and_saveexec_b32 s1, vcc_lo
	s_cbranch_execnz .LBB168_81
.LBB168_56:
	s_or_b32 exec_lo, exec_lo, s1
	s_and_saveexec_b32 s1, vcc_lo
	s_cbranch_execnz .LBB168_82
.LBB168_57:
	s_or_b32 exec_lo, exec_lo, s1
	s_and_saveexec_b32 s1, vcc_lo
	s_cbranch_execnz .LBB168_83
.LBB168_58:
	s_or_b32 exec_lo, exec_lo, s1
	s_and_saveexec_b32 s1, vcc_lo
	s_cbranch_execnz .LBB168_84
.LBB168_59:
	s_or_b32 exec_lo, exec_lo, s1
	s_and_saveexec_b32 s1, vcc_lo
	s_cbranch_execnz .LBB168_85
.LBB168_60:
	s_or_b32 exec_lo, exec_lo, s1
	s_and_saveexec_b32 s1, vcc_lo
	s_cbranch_execz .LBB168_62
.LBB168_61:
	ds_read_b32 v11, v9 offset:448
	s_waitcnt lgkmcnt(0)
	v_add_f32_e32 v1, v1, v11
.LBB168_62:
	s_or_b32 exec_lo, exec_lo, s1
.LBB168_63:
	s_or_b32 exec_lo, exec_lo, s2
	v_and_b32_e32 v0, 0x3e1, v0
	s_mov_b32 s2, exec_lo
	s_barrier
	buffer_gl0_inv
	v_cmpx_eq_u32_e32 32, v0
	s_cbranch_execz .LBB168_65
; %bb.64:
	ds_write2_b32 v10, v8, v7 offset1:16
	ds_write2_b32 v10, v6, v5 offset0:32 offset1:48
	ds_write2_b32 v10, v4, v3 offset0:64 offset1:80
	;; [unrolled: 1-line block ×3, first 2 shown]
.LBB168_65:
	s_or_b32 exec_lo, exec_lo, s2
	s_waitcnt lgkmcnt(0)
	s_barrier
	buffer_gl0_inv
	s_and_saveexec_b32 s1, s0
	s_cbranch_execz .LBB168_76
; %bb.66:
	s_and_saveexec_b32 s0, vcc_lo
	s_cbranch_execnz .LBB168_86
; %bb.67:
	s_or_b32 exec_lo, exec_lo, s0
	s_and_saveexec_b32 s0, vcc_lo
	s_cbranch_execnz .LBB168_87
.LBB168_68:
	s_or_b32 exec_lo, exec_lo, s0
	s_and_saveexec_b32 s0, vcc_lo
	s_cbranch_execnz .LBB168_88
.LBB168_69:
	s_or_b32 exec_lo, exec_lo, s0
	s_and_saveexec_b32 s0, vcc_lo
	s_cbranch_execnz .LBB168_89
.LBB168_70:
	s_or_b32 exec_lo, exec_lo, s0
	s_and_saveexec_b32 s0, vcc_lo
	s_cbranch_execnz .LBB168_90
.LBB168_71:
	s_or_b32 exec_lo, exec_lo, s0
	s_and_saveexec_b32 s0, vcc_lo
	s_cbranch_execnz .LBB168_91
.LBB168_72:
	s_or_b32 exec_lo, exec_lo, s0
	s_and_saveexec_b32 s0, vcc_lo
	s_cbranch_execnz .LBB168_92
.LBB168_73:
	s_or_b32 exec_lo, exec_lo, s0
	s_and_saveexec_b32 s0, vcc_lo
	s_cbranch_execz .LBB168_75
.LBB168_74:
	ds_read_b32 v9, v9 offset:448
	s_waitcnt lgkmcnt(0)
	v_add_f32_e32 v1, v1, v9
.LBB168_75:
	s_or_b32 exec_lo, exec_lo, s0
.LBB168_76:
	s_or_b32 exec_lo, exec_lo, s1
	s_barrier
	buffer_gl0_inv
	s_mov_b32 s0, exec_lo
	v_cmpx_eq_u32_e32 0, v0
	s_cbranch_execz .LBB168_78
; %bb.77:
	s_lshl_b32 s0, s4, 7
	s_mul_i32 s2, s7, s10
	s_ashr_i32 s1, s0, 31
	v_bfe_u32 v9, v8, 16, 1
	s_lshl_b64 s[0:1], s[0:1], 1
	v_or_b32_e32 v10, 0x400000, v8
	s_add_u32 s4, s20, s0
	s_addc_u32 s5, s21, s1
	s_ashr_i32 s3, s2, 31
	v_add3_u32 v9, v9, v8, 0x7fff
	s_lshl_b64 s[0:1], s[2:3], 1
	v_bfe_u32 v11, v7, 16, 1
	s_add_u32 s2, s4, s0
	v_cmp_u_f32_e32 vcc_lo, v8, v8
	s_addc_u32 s3, s5, s1
	s_lshl_b32 s0, s8, 7
	v_lshlrev_b32_e32 v0, 1, v44
	s_ashr_i32 s1, s0, 31
	v_cndmask_b32_e32 v8, v9, v10, vcc_lo
	s_lshl_b64 s[0:1], s[0:1], 1
	v_bfe_u32 v9, v6, 16, 1
	v_add3_u32 v10, v11, v7, 0x7fff
	v_or_b32_e32 v11, 0x400000, v7
	v_cmp_u_f32_e32 vcc_lo, v7, v7
	s_add_u32 s0, s2, s0
	s_addc_u32 s1, s3, s1
	global_store_short_d16_hi v0, v8, s[0:1]
	v_add3_u32 v8, v9, v6, 0x7fff
	v_or_b32_e32 v9, 0x400000, v6
	v_cndmask_b32_e32 v7, v10, v11, vcc_lo
	v_bfe_u32 v10, v5, 16, 1
	v_cmp_u_f32_e32 vcc_lo, v6, v6
	v_or_b32_e32 v11, 0x400000, v1
	global_store_short_d16_hi v0, v7, s[0:1] offset:32
	v_add3_u32 v7, v10, v5, 0x7fff
	v_cndmask_b32_e32 v6, v8, v9, vcc_lo
	v_bfe_u32 v8, v4, 16, 1
	v_or_b32_e32 v9, 0x400000, v5
	v_cmp_u_f32_e32 vcc_lo, v5, v5
	v_or_b32_e32 v10, 0x400000, v2
	global_store_short_d16_hi v0, v6, s[0:1] offset:64
	v_add3_u32 v6, v8, v4, 0x7fff
	v_or_b32_e32 v8, 0x400000, v4
	v_cndmask_b32_e32 v5, v7, v9, vcc_lo
	v_bfe_u32 v7, v3, 16, 1
	v_cmp_u_f32_e32 vcc_lo, v4, v4
	v_bfe_u32 v9, v2, 16, 1
	v_add3_u32 v7, v7, v3, 0x7fff
	v_cndmask_b32_e32 v4, v6, v8, vcc_lo
	v_or_b32_e32 v8, 0x400000, v3
	v_cmp_u_f32_e32 vcc_lo, v3, v3
	v_bfe_u32 v6, v1, 16, 1
	v_add3_u32 v9, v9, v2, 0x7fff
	v_cndmask_b32_e32 v3, v7, v8, vcc_lo
	v_cmp_u_f32_e32 vcc_lo, v2, v2
	v_add3_u32 v6, v6, v1, 0x7fff
	v_cndmask_b32_e32 v2, v9, v10, vcc_lo
	v_cmp_u_f32_e32 vcc_lo, v1, v1
	v_cndmask_b32_e32 v1, v6, v11, vcc_lo
	global_store_short_d16_hi v0, v5, s[0:1] offset:96
	global_store_short_d16_hi v0, v4, s[0:1] offset:128
	;; [unrolled: 1-line block ×5, first 2 shown]
.LBB168_78:
	s_endpgm
.LBB168_79:
	ds_read_b32 v11, v9
	s_waitcnt lgkmcnt(0)
	v_add_f32_e32 v8, v8, v11
	s_or_b32 exec_lo, exec_lo, s1
	s_and_saveexec_b32 s1, vcc_lo
	s_cbranch_execz .LBB168_55
.LBB168_80:
	ds_read_b32 v11, v9 offset:64
	s_waitcnt lgkmcnt(0)
	v_add_f32_e32 v7, v7, v11
	s_or_b32 exec_lo, exec_lo, s1
	s_and_saveexec_b32 s1, vcc_lo
	s_cbranch_execz .LBB168_56
.LBB168_81:
	ds_read_b32 v11, v9 offset:128
	s_waitcnt lgkmcnt(0)
	v_add_f32_e32 v6, v6, v11
	s_or_b32 exec_lo, exec_lo, s1
	s_and_saveexec_b32 s1, vcc_lo
	s_cbranch_execz .LBB168_57
.LBB168_82:
	ds_read_b32 v11, v9 offset:192
	s_waitcnt lgkmcnt(0)
	v_add_f32_e32 v5, v5, v11
	s_or_b32 exec_lo, exec_lo, s1
	s_and_saveexec_b32 s1, vcc_lo
	s_cbranch_execz .LBB168_58
.LBB168_83:
	ds_read_b32 v11, v9 offset:256
	s_waitcnt lgkmcnt(0)
	v_add_f32_e32 v4, v4, v11
	s_or_b32 exec_lo, exec_lo, s1
	s_and_saveexec_b32 s1, vcc_lo
	s_cbranch_execz .LBB168_59
.LBB168_84:
	ds_read_b32 v11, v9 offset:320
	s_waitcnt lgkmcnt(0)
	v_add_f32_e32 v3, v3, v11
	s_or_b32 exec_lo, exec_lo, s1
	s_and_saveexec_b32 s1, vcc_lo
	s_cbranch_execz .LBB168_60
.LBB168_85:
	ds_read_b32 v11, v9 offset:384
	s_waitcnt lgkmcnt(0)
	v_add_f32_e32 v2, v2, v11
	s_or_b32 exec_lo, exec_lo, s1
	s_and_saveexec_b32 s1, vcc_lo
	s_cbranch_execnz .LBB168_61
	s_branch .LBB168_62
.LBB168_86:
	ds_read_b32 v10, v9
	s_waitcnt lgkmcnt(0)
	v_add_f32_e32 v8, v8, v10
	s_or_b32 exec_lo, exec_lo, s0
	s_and_saveexec_b32 s0, vcc_lo
	s_cbranch_execz .LBB168_68
.LBB168_87:
	ds_read_b32 v10, v9 offset:64
	s_waitcnt lgkmcnt(0)
	v_add_f32_e32 v7, v7, v10
	s_or_b32 exec_lo, exec_lo, s0
	s_and_saveexec_b32 s0, vcc_lo
	s_cbranch_execz .LBB168_69
.LBB168_88:
	ds_read_b32 v10, v9 offset:128
	s_waitcnt lgkmcnt(0)
	v_add_f32_e32 v6, v6, v10
	s_or_b32 exec_lo, exec_lo, s0
	s_and_saveexec_b32 s0, vcc_lo
	s_cbranch_execz .LBB168_70
.LBB168_89:
	ds_read_b32 v10, v9 offset:192
	s_waitcnt lgkmcnt(0)
	v_add_f32_e32 v5, v5, v10
	s_or_b32 exec_lo, exec_lo, s0
	s_and_saveexec_b32 s0, vcc_lo
	s_cbranch_execz .LBB168_71
.LBB168_90:
	ds_read_b32 v10, v9 offset:256
	s_waitcnt lgkmcnt(0)
	v_add_f32_e32 v4, v4, v10
	s_or_b32 exec_lo, exec_lo, s0
	s_and_saveexec_b32 s0, vcc_lo
	s_cbranch_execz .LBB168_72
.LBB168_91:
	ds_read_b32 v10, v9 offset:320
	s_waitcnt lgkmcnt(0)
	v_add_f32_e32 v3, v3, v10
	s_or_b32 exec_lo, exec_lo, s0
	s_and_saveexec_b32 s0, vcc_lo
	s_cbranch_execz .LBB168_73
.LBB168_92:
	ds_read_b32 v10, v9 offset:384
	s_waitcnt lgkmcnt(0)
	v_add_f32_e32 v2, v2, v10
	s_or_b32 exec_lo, exec_lo, s0
	s_and_saveexec_b32 s0, vcc_lo
	s_cbranch_execnz .LBB168_74
	s_branch .LBB168_75
	.section	.rodata,"a",@progbits
	.p2align	6, 0x0
	.amdhsa_kernel _ZN4vllm25paged_attention_v2_kernelI14__hip_bfloat16S1_Li128ELi16ELi128ELNS_18Fp8KVCacheDataTypeE0ELb0ELi512EEEvPfS3_PT_PKS4_PKT0_SA_ifPKiSC_iPKfiiiSE_SE_iiiii
		.amdhsa_group_segment_fixed_size 288
		.amdhsa_private_segment_fixed_size 0
		.amdhsa_kernarg_size 400
		.amdhsa_user_sgpr_count 6
		.amdhsa_user_sgpr_private_segment_buffer 1
		.amdhsa_user_sgpr_dispatch_ptr 0
		.amdhsa_user_sgpr_queue_ptr 0
		.amdhsa_user_sgpr_kernarg_segment_ptr 1
		.amdhsa_user_sgpr_dispatch_id 0
		.amdhsa_user_sgpr_flat_scratch_init 0
		.amdhsa_user_sgpr_private_segment_size 0
		.amdhsa_wavefront_size32 1
		.amdhsa_uses_dynamic_stack 0
		.amdhsa_system_sgpr_private_segment_wavefront_offset 0
		.amdhsa_system_sgpr_workgroup_id_x 1
		.amdhsa_system_sgpr_workgroup_id_y 1
		.amdhsa_system_sgpr_workgroup_id_z 1
		.amdhsa_system_sgpr_workgroup_info 0
		.amdhsa_system_vgpr_workitem_id 0
		.amdhsa_next_free_vgpr 127
		.amdhsa_next_free_sgpr 38
		.amdhsa_reserve_vcc 1
		.amdhsa_reserve_flat_scratch 0
		.amdhsa_float_round_mode_32 0
		.amdhsa_float_round_mode_16_64 0
		.amdhsa_float_denorm_mode_32 3
		.amdhsa_float_denorm_mode_16_64 3
		.amdhsa_dx10_clamp 1
		.amdhsa_ieee_mode 1
		.amdhsa_fp16_overflow 0
		.amdhsa_workgroup_processor_mode 1
		.amdhsa_memory_ordered 1
		.amdhsa_forward_progress 1
		.amdhsa_shared_vgpr_count 0
		.amdhsa_exception_fp_ieee_invalid_op 0
		.amdhsa_exception_fp_denorm_src 0
		.amdhsa_exception_fp_ieee_div_zero 0
		.amdhsa_exception_fp_ieee_overflow 0
		.amdhsa_exception_fp_ieee_underflow 0
		.amdhsa_exception_fp_ieee_inexact 0
		.amdhsa_exception_int_div_zero 0
	.end_amdhsa_kernel
	.section	.text._ZN4vllm25paged_attention_v2_kernelI14__hip_bfloat16S1_Li128ELi16ELi128ELNS_18Fp8KVCacheDataTypeE0ELb0ELi512EEEvPfS3_PT_PKS4_PKT0_SA_ifPKiSC_iPKfiiiSE_SE_iiiii,"axG",@progbits,_ZN4vllm25paged_attention_v2_kernelI14__hip_bfloat16S1_Li128ELi16ELi128ELNS_18Fp8KVCacheDataTypeE0ELb0ELi512EEEvPfS3_PT_PKS4_PKT0_SA_ifPKiSC_iPKfiiiSE_SE_iiiii,comdat
.Lfunc_end168:
	.size	_ZN4vllm25paged_attention_v2_kernelI14__hip_bfloat16S1_Li128ELi16ELi128ELNS_18Fp8KVCacheDataTypeE0ELb0ELi512EEEvPfS3_PT_PKS4_PKT0_SA_ifPKiSC_iPKfiiiSE_SE_iiiii, .Lfunc_end168-_ZN4vllm25paged_attention_v2_kernelI14__hip_bfloat16S1_Li128ELi16ELi128ELNS_18Fp8KVCacheDataTypeE0ELb0ELi512EEEvPfS3_PT_PKS4_PKT0_SA_ifPKiSC_iPKfiiiSE_SE_iiiii
                                        ; -- End function
	.set _ZN4vllm25paged_attention_v2_kernelI14__hip_bfloat16S1_Li128ELi16ELi128ELNS_18Fp8KVCacheDataTypeE0ELb0ELi512EEEvPfS3_PT_PKS4_PKT0_SA_ifPKiSC_iPKfiiiSE_SE_iiiii.num_vgpr, 127
	.set _ZN4vllm25paged_attention_v2_kernelI14__hip_bfloat16S1_Li128ELi16ELi128ELNS_18Fp8KVCacheDataTypeE0ELb0ELi512EEEvPfS3_PT_PKS4_PKT0_SA_ifPKiSC_iPKfiiiSE_SE_iiiii.num_agpr, 0
	.set _ZN4vllm25paged_attention_v2_kernelI14__hip_bfloat16S1_Li128ELi16ELi128ELNS_18Fp8KVCacheDataTypeE0ELb0ELi512EEEvPfS3_PT_PKS4_PKT0_SA_ifPKiSC_iPKfiiiSE_SE_iiiii.numbered_sgpr, 38
	.set _ZN4vllm25paged_attention_v2_kernelI14__hip_bfloat16S1_Li128ELi16ELi128ELNS_18Fp8KVCacheDataTypeE0ELb0ELi512EEEvPfS3_PT_PKS4_PKT0_SA_ifPKiSC_iPKfiiiSE_SE_iiiii.num_named_barrier, 0
	.set _ZN4vllm25paged_attention_v2_kernelI14__hip_bfloat16S1_Li128ELi16ELi128ELNS_18Fp8KVCacheDataTypeE0ELb0ELi512EEEvPfS3_PT_PKS4_PKT0_SA_ifPKiSC_iPKfiiiSE_SE_iiiii.private_seg_size, 0
	.set _ZN4vllm25paged_attention_v2_kernelI14__hip_bfloat16S1_Li128ELi16ELi128ELNS_18Fp8KVCacheDataTypeE0ELb0ELi512EEEvPfS3_PT_PKS4_PKT0_SA_ifPKiSC_iPKfiiiSE_SE_iiiii.uses_vcc, 1
	.set _ZN4vllm25paged_attention_v2_kernelI14__hip_bfloat16S1_Li128ELi16ELi128ELNS_18Fp8KVCacheDataTypeE0ELb0ELi512EEEvPfS3_PT_PKS4_PKT0_SA_ifPKiSC_iPKfiiiSE_SE_iiiii.uses_flat_scratch, 0
	.set _ZN4vllm25paged_attention_v2_kernelI14__hip_bfloat16S1_Li128ELi16ELi128ELNS_18Fp8KVCacheDataTypeE0ELb0ELi512EEEvPfS3_PT_PKS4_PKT0_SA_ifPKiSC_iPKfiiiSE_SE_iiiii.has_dyn_sized_stack, 0
	.set _ZN4vllm25paged_attention_v2_kernelI14__hip_bfloat16S1_Li128ELi16ELi128ELNS_18Fp8KVCacheDataTypeE0ELb0ELi512EEEvPfS3_PT_PKS4_PKT0_SA_ifPKiSC_iPKfiiiSE_SE_iiiii.has_recursion, 0
	.set _ZN4vllm25paged_attention_v2_kernelI14__hip_bfloat16S1_Li128ELi16ELi128ELNS_18Fp8KVCacheDataTypeE0ELb0ELi512EEEvPfS3_PT_PKS4_PKT0_SA_ifPKiSC_iPKfiiiSE_SE_iiiii.has_indirect_call, 0
	.section	.AMDGPU.csdata,"",@progbits
; Kernel info:
; codeLenInByte = 11016
; TotalNumSgprs: 40
; NumVgprs: 127
; ScratchSize: 0
; MemoryBound: 0
; FloatMode: 240
; IeeeMode: 1
; LDSByteSize: 288 bytes/workgroup (compile time only)
; SGPRBlocks: 0
; VGPRBlocks: 15
; NumSGPRsForWavesPerEU: 40
; NumVGPRsForWavesPerEU: 127
; Occupancy: 8
; WaveLimiterHint : 1
; COMPUTE_PGM_RSRC2:SCRATCH_EN: 0
; COMPUTE_PGM_RSRC2:USER_SGPR: 6
; COMPUTE_PGM_RSRC2:TRAP_HANDLER: 0
; COMPUTE_PGM_RSRC2:TGID_X_EN: 1
; COMPUTE_PGM_RSRC2:TGID_Y_EN: 1
; COMPUTE_PGM_RSRC2:TGID_Z_EN: 1
; COMPUTE_PGM_RSRC2:TIDIG_COMP_CNT: 0
	.section	.text._ZN4vllm25paged_attention_v2_kernelI14__hip_bfloat16S1_Li192ELi16ELi128ELNS_18Fp8KVCacheDataTypeE0ELb0ELi512EEEvPfS3_PT_PKS4_PKT0_SA_ifPKiSC_iPKfiiiSE_SE_iiiii,"axG",@progbits,_ZN4vllm25paged_attention_v2_kernelI14__hip_bfloat16S1_Li192ELi16ELi128ELNS_18Fp8KVCacheDataTypeE0ELb0ELi512EEEvPfS3_PT_PKS4_PKT0_SA_ifPKiSC_iPKfiiiSE_SE_iiiii,comdat
	.protected	_ZN4vllm25paged_attention_v2_kernelI14__hip_bfloat16S1_Li192ELi16ELi128ELNS_18Fp8KVCacheDataTypeE0ELb0ELi512EEEvPfS3_PT_PKS4_PKT0_SA_ifPKiSC_iPKfiiiSE_SE_iiiii ; -- Begin function _ZN4vllm25paged_attention_v2_kernelI14__hip_bfloat16S1_Li192ELi16ELi128ELNS_18Fp8KVCacheDataTypeE0ELb0ELi512EEEvPfS3_PT_PKS4_PKT0_SA_ifPKiSC_iPKfiiiSE_SE_iiiii
	.globl	_ZN4vllm25paged_attention_v2_kernelI14__hip_bfloat16S1_Li192ELi16ELi128ELNS_18Fp8KVCacheDataTypeE0ELb0ELi512EEEvPfS3_PT_PKS4_PKT0_SA_ifPKiSC_iPKfiiiSE_SE_iiiii
	.p2align	8
	.type	_ZN4vllm25paged_attention_v2_kernelI14__hip_bfloat16S1_Li192ELi16ELi128ELNS_18Fp8KVCacheDataTypeE0ELb0ELi512EEEvPfS3_PT_PKS4_PKT0_SA_ifPKiSC_iPKfiiiSE_SE_iiiii,@function
_ZN4vllm25paged_attention_v2_kernelI14__hip_bfloat16S1_Li192ELi16ELi128ELNS_18Fp8KVCacheDataTypeE0ELb0ELi512EEEvPfS3_PT_PKS4_PKT0_SA_ifPKiSC_iPKfiiiSE_SE_iiiii: ; @_ZN4vllm25paged_attention_v2_kernelI14__hip_bfloat16S1_Li192ELi16ELi128ELNS_18Fp8KVCacheDataTypeE0ELb0ELi512EEEvPfS3_PT_PKS4_PKT0_SA_ifPKiSC_iPKfiiiSE_SE_iiiii
; %bb.0:
	s_mov_b64 s[38:39], s[2:3]
	s_mov_b64 s[36:37], s[0:1]
	s_load_dwordx2 s[0:1], s[4:5], 0x40
	s_add_u32 s36, s36, s9
	s_addc_u32 s37, s37, 0
	s_mov_b32 s22, s7
	s_ashr_i32 s23, s7, 31
	s_lshl_b64 s[2:3], s[22:23], 2
	s_waitcnt lgkmcnt(0)
	s_add_u32 s0, s0, s2
	s_addc_u32 s1, s1, s3
	s_lshl_b32 s33, s8, 9
	s_load_dword s23, s[0:1], 0x0
	s_waitcnt lgkmcnt(0)
	s_cmp_ge_i32 s33, s23
	s_cbranch_scc1 .LBB169_94
; %bb.1:
	s_clause 0x1
	s_load_dword s9, s[4:5], 0x90
	s_load_dwordx2 s[30:31], s[4:5], 0x30
	v_mov_b32_e32 v116, v0
	s_mov_b32 s34, 0
	s_waitcnt lgkmcnt(0)
	s_abs_i32 s3, s9
	s_abs_i32 s0, s30
	v_cvt_f32_u32_e32 v1, s0
	s_sub_i32 s2, 0, s0
	v_rcp_iflag_f32_e32 v1, v1
	v_mul_f32_e32 v1, 0x4f7ffffe, v1
	v_cvt_u32_f32_e32 v1, v1
	v_readfirstlane_b32 s1, v1
	s_mul_i32 s2, s2, s1
	s_mul_hi_u32 s2, s1, s2
	s_add_i32 s1, s1, s2
	s_xor_b32 s2, s9, s30
	s_mul_hi_u32 s1, s3, s1
	s_ashr_i32 s2, s2, 31
	s_mul_i32 s7, s1, s0
	s_sub_i32 s3, s3, s7
	s_add_i32 s7, s1, 1
	s_sub_i32 s10, s3, s0
	s_cmp_ge_u32 s3, s0
	s_cselect_b32 s1, s7, s1
	s_cselect_b32 s3, s10, s3
	s_add_i32 s7, s1, 1
	s_cmp_ge_u32 s3, s0
	s_cselect_b32 s0, s7, s1
	s_abs_i32 s16, s6
	s_xor_b32 s0, s0, s2
	s_sub_i32 s10, s0, s2
	s_load_dwordx2 s[0:1], s[4:5], 0x50
	s_abs_i32 s2, s10
	v_cvt_f32_u32_e32 v1, s2
	s_sub_i32 s7, 0, s2
	v_rcp_iflag_f32_e32 v1, v1
	v_mul_f32_e32 v1, 0x4f7ffffe, v1
	v_cvt_u32_f32_e32 v1, v1
	v_readfirstlane_b32 s3, v1
	s_mul_i32 s7, s7, s3
	s_mul_hi_u32 s7, s3, s7
	s_add_i32 s3, s3, s7
	s_waitcnt lgkmcnt(0)
	s_cmp_eq_u64 s[0:1], 0
	s_mul_hi_u32 s3, s16, s3
	s_cbranch_scc1 .LBB169_3
; %bb.2:
	s_ashr_i32 s7, s6, 31
	s_lshl_b64 s[12:13], s[6:7], 2
	s_add_u32 s0, s0, s12
	s_addc_u32 s1, s1, s13
	s_load_dword s34, s[0:1], 0x0
.LBB169_3:
	s_load_dwordx4 s[12:15], s[4:5], 0x58
	v_lshrrev_b32_e32 v89, 1, v116
	v_and_b32_e32 v119, 1, v116
	v_lshlrev_b32_e32 v9, 3, v116
	s_ashr_i32 s0, s6, 31
	s_ashr_i32 s1, s10, 31
	s_mul_i32 s10, s6, 0xc0
	s_mov_b32 s7, exec_lo
	v_cmpx_gt_u32_e32 48, v116
	s_cbranch_execz .LBB169_5
; %bb.4:
	s_load_dwordx2 s[18:19], s[4:5], 0x18
	s_waitcnt lgkmcnt(0)
	s_mul_i32 s20, s12, s22
	v_lshlrev_b32_e32 v3, 3, v89
	s_ashr_i32 s21, s20, 31
	s_lshl_b64 s[20:21], s[20:21], 1
	v_mad_u32_u24 v3, 0xc0, v119, v3
	s_add_u32 s12, s18, s20
	s_addc_u32 s15, s19, s21
	s_ashr_i32 s11, s10, 31
	s_lshl_b64 s[18:19], s[10:11], 1
	s_add_u32 s18, s12, s18
	s_addc_u32 s19, s15, s19
	global_load_dwordx2 v[1:2], v9, s[18:19]
	s_waitcnt vmcnt(0)
	ds_write_b64 v3, v[1:2]
.LBB169_5:
	s_or_b32 exec_lo, exec_lo, s7
	s_add_i32 s7, s23, 15
	s_load_dwordx2 s[24:25], s[4:5], 0x38
	s_waitcnt lgkmcnt(0)
	s_load_dword s15, s[4:5], 0x48
	s_ashr_i32 s11, s7, 31
	s_lshl_b32 s30, s8, 5
	s_lshr_b32 s11, s11, 28
	s_xor_b32 s0, s0, s1
	s_add_i32 s7, s7, s11
	s_add_i32 s1, s30, 32
	s_ashr_i32 s12, s7, 4
	s_mul_i32 s7, s3, s2
	s_min_i32 s11, s1, s12
	s_sub_i32 s1, s16, s7
	s_add_i32 s7, s3, 1
	s_sub_i32 s16, s1, s2
	s_cmp_ge_u32 s1, s2
	v_lshrrev_b32_e32 v118, 5, v116
	s_cselect_b32 s3, s7, s3
	s_cselect_b32 s1, s16, s1
	s_add_i32 s7, s3, 1
	s_cmp_ge_u32 s1, s2
	v_or_b32_e32 v57, s30, v118
	s_cselect_b32 s1, s7, s3
	v_mbcnt_lo_u32_b32 v11, -1, 0
	s_xor_b32 s1, s1, s0
	s_waitcnt lgkmcnt(0)
	s_mul_i32 s26, s15, s22
	s_sub_i32 s1, s1, s0
	v_cmp_gt_i32_e64 s0, s11, v57
	s_ashr_i32 s27, s26, 31
	s_mov_b32 s2, exec_lo
	s_barrier
	buffer_gl0_inv
                                        ; implicit-def: $vgpr12
                                        ; implicit-def: $vgpr13
	v_cmpx_le_i32_e64 s11, v57
	s_xor_b32 s2, exec_lo, s2
; %bb.6:
	v_mov_b32_e32 v12, 0
	v_mbcnt_lo_u32_b32 v11, -1, 0
	v_mov_b32_e32 v13, 32
; %bb.7:
	s_or_saveexec_b32 s35, s2
	s_clause 0x3
	s_load_dwordx4 s[16:19], s[4:5], 0x0
	s_load_dwordx2 s[20:21], s[4:5], 0x10
	s_load_dwordx2 s[28:29], s[4:5], 0x28
	s_load_dword s7, s[4:5], 0x98
	v_mov_b32_e32 v115, 0xff7fffff
	v_ashrrev_i32_e32 v58, 31, v57
	v_lshlrev_b32_e32 v10, 4, v118
	s_mul_i32 s14, s1, s14
	s_xor_b32 exec_lo, exec_lo, s35
	s_cbranch_execz .LBB169_13
; %bb.8:
	v_mul_u32_u24_e32 v65, 0xc0, v119
	s_load_dwordx2 s[2:3], s[4:5], 0x20
	s_ashr_i32 s15, s14, 31
	v_mov_b32_e32 v115, 0xff7fffff
	s_lshl_b64 s[4:5], s[14:15], 1
	ds_read_b128 v[1:4], v65
	ds_read_b128 v[5:8], v65 offset:16
	ds_read_b128 v[32:35], v65 offset:32
	;; [unrolled: 1-line block ×7, first 2 shown]
	buffer_store_dword v116, off, s[36:39], 0 ; 4-byte Folded Spill
	buffer_store_dword v118, off, s[36:39], 0 offset:8 ; 4-byte Folded Spill
	buffer_store_dword v119, off, s[36:39], 0 offset:4 ; 4-byte Folded Spill
	v_mov_b32_e32 v121, v57
	s_mov_b32 s15, s13
	buffer_store_dword v9, off, s[36:39], 0 offset:12 ; 4-byte Folded Spill
	buffer_store_dword v10, off, s[36:39], 0 offset:16 ; 4-byte Folded Spill
	s_waitcnt lgkmcnt(0)
	s_add_u32 s1, s2, s4
	v_lshlrev_b32_e32 v12, 16, v1
	v_and_b32_e32 v13, 0xffff0000, v1
	v_lshlrev_b32_e32 v14, 16, v2
	v_and_b32_e32 v15, 0xffff0000, v2
	;; [unrolled: 2-line block ×4, first 2 shown]
	ds_read_b128 v[1:4], v65 offset:80
	v_lshlrev_b32_e32 v20, 16, v5
	v_and_b32_e32 v21, 0xffff0000, v5
	v_lshlrev_b32_e32 v22, 16, v6
	v_and_b32_e32 v23, 0xffff0000, v6
	;; [unrolled: 2-line block ×4, first 2 shown]
	ds_read_b128 v[5:8], v65 offset:96
	s_addc_u32 s5, s3, s5
	s_lshl_b64 s[2:3], s[26:27], 2
	s_sub_i32 s4, 1, s23
	s_add_u32 s2, s24, s2
	s_addc_u32 s3, s25, s3
	v_lshlrev_b32_e32 v28, 16, v32
	v_and_b32_e32 v29, 0xffff0000, v32
	v_lshlrev_b32_e32 v30, 16, v33
	v_and_b32_e32 v31, 0xffff0000, v33
	v_lshlrev_b32_e32 v32, 16, v34
	s_waitcnt lgkmcnt(1)
	v_lshlrev_b32_e32 v52, 16, v1
	v_and_b32_e32 v53, 0xffff0000, v1
	v_lshlrev_b32_e32 v54, 16, v2
	v_and_b32_e32 v55, 0xffff0000, v2
	;; [unrolled: 2-line block ×4, first 2 shown]
	ds_read_b128 v[1:4], v65 offset:144
	s_waitcnt lgkmcnt(1)
	v_lshlrev_b32_e32 v66, 16, v5
	v_and_b32_e32 v67, 0xffff0000, v5
	v_lshlrev_b32_e32 v68, 16, v6
	v_and_b32_e32 v69, 0xffff0000, v6
	;; [unrolled: 2-line block ×4, first 2 shown]
	ds_read_b128 v[5:8], v65 offset:160
	v_and_b32_e32 v33, 0xffff0000, v34
	v_lshlrev_b32_e32 v34, 16, v35
	v_and_b32_e32 v35, 0xffff0000, v35
	v_lshlrev_b32_e32 v36, 16, v40
	;; [unrolled: 2-line block ×5, first 2 shown]
	s_waitcnt lgkmcnt(1)
	v_lshlrev_b32_e32 v95, 16, v3
	v_and_b32_e32 v96, 0xffff0000, v3
	v_bfe_u32 v3, v116, 1, 4
	v_lshlrev_b32_e32 v91, 16, v1
	v_and_b32_e32 v92, 0xffff0000, v1
	v_lshlrev_b32_e32 v93, 16, v2
	v_and_b32_e32 v94, 0xffff0000, v2
	v_lshlrev_b64 v[1:2], 2, v[57:58]
	v_lshlrev_b32_e32 v97, 16, v4
	v_and_b32_e32 v98, 0xffff0000, v4
	s_waitcnt lgkmcnt(0)
	v_lshlrev_b32_e32 v101, 16, v6
	v_and_b32_e32 v102, 0xffff0000, v6
	v_lshlrev_b32_e32 v4, 4, v3
	v_xor_b32_e32 v6, 1, v11
	v_add_co_u32 v1, vcc_lo, s2, v1
	v_lshlrev_b32_e32 v99, 16, v5
	v_and_b32_e32 v100, 0xffff0000, v5
	v_lshlrev_b32_e32 v105, 16, v8
	v_and_b32_e32 v106, 0xffff0000, v8
	v_add_co_ci_u32_e64 v2, null, s3, v2, vcc_lo
	v_and_b32_e32 v5, 8, v9
	v_add_co_u32 v4, s1, s1, v4
	v_cmp_gt_i32_e32 vcc_lo, 32, v6
	v_lshlrev_b32_e32 v8, 2, v3
	v_lshlrev_b32_e32 v103, 16, v7
	v_and_b32_e32 v104, 0xffff0000, v7
	v_add_co_ci_u32_e64 v7, null, s5, 0, s1
	v_cndmask_b32_e32 v6, v11, v6, vcc_lo
	v_add_co_u32 v116, vcc_lo, v4, v5
	v_lshl_or_b32 v4, v118, 6, v8
	v_and_b32_e32 v43, 0xffff0000, v43
	v_lshlrev_b32_e32 v44, 16, v48
	v_and_b32_e32 v45, 0xffff0000, v48
	v_lshlrev_b32_e32 v46, 16, v49
	;; [unrolled: 2-line block ×16, first 2 shown]
	v_and_b32_e32 v114, 0xffff0000, v114
	v_add_co_ci_u32_e64 v117, null, 0, v7, vcc_lo
	v_lshlrev_b32_e32 v118, 2, v6
	v_cmp_eq_u32_e32 vcc_lo, 0, v119
	v_cmp_neq_f32_e64 s1, s34, 0
	v_add3_u32 v119, s33, v10, v3
	v_add_nc_u32_e32 v120, 0x1a0, v4
	s_mov_b32 s5, 0
	s_branch .LBB169_10
.LBB169_9:                              ;   in Loop: Header=BB169_10 Depth=1
	s_or_b32 exec_lo, exec_lo, s3
	v_add_nc_u32_e32 v121, 4, v121
	v_add_co_u32 v1, s3, v1, 16
	v_add_nc_u32_e32 v119, 64, v119
	v_add_nc_u32_e32 v120, 0x100, v120
	v_cmp_le_i32_e64 s2, s11, v121
	v_add_co_ci_u32_e64 v2, null, 0, v2, s3
	s_or_b32 s5, s2, s5
	s_andn2_b32 exec_lo, exec_lo, s5
	s_cbranch_execz .LBB169_12
.LBB169_10:                             ; =>This Inner Loop Header: Depth=1
	global_load_dword v3, v[1:2], off
	s_waitcnt vmcnt(0) lgkmcnt(0)
	v_mad_i64_i32 v[3:4], null, v3, s15, 0
	v_lshlrev_b64 v[3:4], 1, v[3:4]
	v_add_co_u32 v7, s2, v116, v3
	v_add_co_ci_u32_e64 v8, null, v117, v4, s2
	global_load_dwordx2 v[3:4], v[7:8], off
	s_waitcnt vmcnt(0)
	v_lshlrev_b32_e32 v5, 16, v3
	v_and_b32_e32 v6, 0xffff0000, v3
	v_lshlrev_b32_e32 v125, 16, v4
	v_and_b32_e32 v126, 0xffff0000, v4
	global_load_dwordx2 v[3:4], v[7:8], off offset:256
	s_waitcnt vmcnt(0)
	v_lshlrev_b32_e32 v122, 16, v3
	v_and_b32_e32 v123, 0xffff0000, v3
	v_lshlrev_b32_e32 v124, 16, v4
	v_and_b32_e32 v127, 0xffff0000, v4
	global_load_dwordx2 v[3:4], v[7:8], off offset:512
	v_mul_f32_e32 v122, v16, v122
	v_mul_f32_e32 v123, v17, v123
	;; [unrolled: 1-line block ×3, first 2 shown]
	v_fmac_f32_e32 v122, v12, v5
	v_fmac_f32_e32 v123, v13, v6
	;; [unrolled: 1-line block ×3, first 2 shown]
	v_mul_f32_e32 v125, v19, v127
	v_fmac_f32_e32 v125, v15, v126
	s_waitcnt vmcnt(0)
	v_lshlrev_b32_e32 v60, 16, v3
	v_and_b32_e32 v61, 0xffff0000, v3
	v_lshlrev_b32_e32 v10, 16, v4
	v_and_b32_e32 v9, 0xffff0000, v4
	global_load_dwordx2 v[3:4], v[7:8], off offset:768
	v_fmac_f32_e32 v122, v20, v60
	v_fmac_f32_e32 v123, v21, v61
	v_fmac_f32_e32 v124, v22, v10
	v_fmac_f32_e32 v125, v23, v9
	s_waitcnt vmcnt(0)
	v_lshlrev_b32_e32 v5, 16, v3
	v_and_b32_e32 v6, 0xffff0000, v3
	v_lshlrev_b32_e32 v126, 16, v4
	v_and_b32_e32 v127, 0xffff0000, v4
	global_load_dwordx2 v[3:4], v[7:8], off offset:1024
	v_fmac_f32_e32 v122, v24, v5
	v_fmac_f32_e32 v123, v25, v6
	v_fmac_f32_e32 v124, v26, v126
	;; [unrolled: 10-line block ×4, first 2 shown]
	v_add_co_u32 v126, s2, 0x800, v7
	v_fmac_f32_e32 v125, v35, v127
	v_add_co_ci_u32_e64 v127, null, 0, v8, s2
	v_add_co_u32 v5, s2, v7, 0x1000
	v_add_co_ci_u32_e64 v6, null, 0, v8, s2
	s_waitcnt vmcnt(0)
	v_lshlrev_b32_e32 v9, 16, v3
	v_and_b32_e32 v10, 0xffff0000, v3
	v_add_co_u32 v3, s2, 0x1000, v7
	v_lshlrev_b32_e32 v60, 16, v4
	v_and_b32_e32 v61, 0xffff0000, v4
	v_add_co_ci_u32_e64 v4, null, 0, v8, s2
	global_load_dwordx2 v[7:8], v[7:8], off offset:1792
	v_fmac_f32_e32 v122, v36, v9
	v_fmac_f32_e32 v123, v37, v10
	v_fmac_f32_e32 v124, v38, v60
	v_fmac_f32_e32 v125, v39, v61
	s_waitcnt vmcnt(0)
	v_lshlrev_b32_e32 v62, 16, v7
	v_and_b32_e32 v65, 0xffff0000, v7
	v_lshlrev_b32_e32 v73, 16, v8
	v_and_b32_e32 v0, 0xffff0000, v8
	global_load_dwordx2 v[7:8], v[5:6], off offset:-2048
	v_fmac_f32_e32 v122, v40, v62
	v_fmac_f32_e32 v123, v41, v65
	;; [unrolled: 1-line block ×4, first 2 shown]
	global_load_dwordx2 v[5:6], v[5:6], off
	s_waitcnt vmcnt(1)
	v_lshlrev_b32_e32 v9, 16, v7
	v_and_b32_e32 v10, 0xffff0000, v7
	v_lshlrev_b32_e32 v60, 16, v8
	v_and_b32_e32 v61, 0xffff0000, v8
	global_load_dwordx2 v[7:8], v[126:127], off offset:256
	v_fmac_f32_e32 v122, v44, v9
	v_fmac_f32_e32 v123, v45, v10
	v_fmac_f32_e32 v124, v46, v60
	v_fmac_f32_e32 v125, v47, v61
	s_waitcnt vmcnt(0)
	v_lshlrev_b32_e32 v0, 16, v7
	v_and_b32_e32 v62, 0xffff0000, v7
	v_lshlrev_b32_e32 v65, 16, v8
	v_and_b32_e32 v73, 0xffff0000, v8
	global_load_dwordx2 v[7:8], v[126:127], off offset:512
	v_fmac_f32_e32 v122, v48, v0
	v_fmac_f32_e32 v123, v49, v62
	v_fmac_f32_e32 v124, v50, v65
	v_fmac_f32_e32 v125, v51, v73
	;; [unrolled: 10-line block ×7, first 2 shown]
	v_lshlrev_b32_e32 v9, 16, v5
	v_and_b32_e32 v10, 0xffff0000, v5
	v_lshlrev_b32_e32 v60, 16, v6
	v_and_b32_e32 v61, 0xffff0000, v6
	global_load_dwordx2 v[5:6], v[3:4], off offset:256
	s_waitcnt vmcnt(1)
	v_lshlrev_b32_e32 v0, 16, v7
	v_and_b32_e32 v7, 0xffff0000, v7
	v_lshlrev_b32_e32 v62, 16, v8
	v_and_b32_e32 v8, 0xffff0000, v8
	v_fmac_f32_e32 v122, v79, v0
	v_fmac_f32_e32 v123, v80, v7
	v_fmac_f32_e32 v124, v81, v62
	v_fmac_f32_e32 v125, v82, v8
	s_waitcnt vmcnt(0)
	v_lshlrev_b32_e32 v0, 16, v5
	v_and_b32_e32 v7, 0xffff0000, v5
	v_lshlrev_b32_e32 v8, 16, v6
	v_and_b32_e32 v62, 0xffff0000, v6
	global_load_dwordx2 v[5:6], v[3:4], off offset:512
	v_fmac_f32_e32 v122, v83, v9
	v_fmac_f32_e32 v123, v84, v10
	;; [unrolled: 1-line block ×8, first 2 shown]
	s_waitcnt vmcnt(0)
	v_lshlrev_b32_e32 v9, 16, v5
	v_and_b32_e32 v10, 0xffff0000, v5
	v_lshlrev_b32_e32 v60, 16, v6
	v_and_b32_e32 v61, 0xffff0000, v6
	global_load_dwordx2 v[5:6], v[3:4], off offset:768
	v_fmac_f32_e32 v122, v91, v9
	v_fmac_f32_e32 v123, v92, v10
	v_fmac_f32_e32 v124, v93, v60
	v_fmac_f32_e32 v125, v94, v61
	s_waitcnt vmcnt(0)
	v_lshlrev_b32_e32 v0, 16, v5
	v_and_b32_e32 v7, 0xffff0000, v5
	v_lshlrev_b32_e32 v8, 16, v6
	v_and_b32_e32 v62, 0xffff0000, v6
	global_load_dwordx2 v[5:6], v[3:4], off offset:1024
	v_fmac_f32_e32 v122, v95, v0
	v_fmac_f32_e32 v123, v96, v7
	v_fmac_f32_e32 v124, v97, v8
	v_fmac_f32_e32 v125, v98, v62
	s_waitcnt vmcnt(0)
	v_lshlrev_b32_e32 v9, 16, v5
	v_and_b32_e32 v10, 0xffff0000, v5
	v_lshlrev_b32_e32 v60, 16, v6
	v_and_b32_e32 v61, 0xffff0000, v6
	global_load_dwordx2 v[5:6], v[3:4], off offset:1280
	v_fmac_f32_e32 v122, v99, v9
	v_fmac_f32_e32 v123, v100, v10
	v_fmac_f32_e32 v124, v101, v60
	v_fmac_f32_e32 v125, v102, v61
	s_waitcnt vmcnt(0)
	v_lshlrev_b32_e32 v0, 16, v5
	v_and_b32_e32 v7, 0xffff0000, v5
	v_lshlrev_b32_e32 v8, 16, v6
	v_and_b32_e32 v62, 0xffff0000, v6
	s_clause 0x1
	global_load_dwordx2 v[5:6], v[3:4], off offset:1536
	global_load_dwordx2 v[3:4], v[3:4], off offset:1792
	v_fmac_f32_e32 v122, v103, v0
	v_fmac_f32_e32 v123, v104, v7
	;; [unrolled: 1-line block ×4, first 2 shown]
	s_waitcnt vmcnt(1)
	v_lshlrev_b32_e32 v9, 16, v5
	v_and_b32_e32 v5, 0xffff0000, v5
	s_waitcnt vmcnt(0)
	v_lshlrev_b32_e32 v0, 16, v3
	v_lshlrev_b32_e32 v10, 16, v6
	v_and_b32_e32 v6, 0xffff0000, v6
	v_fmac_f32_e32 v122, v107, v9
	v_fmac_f32_e32 v123, v108, v5
	;; [unrolled: 1-line block ×5, first 2 shown]
	v_and_b32_e32 v0, 0xffff0000, v3
	v_and_b32_e32 v3, 0xffff0000, v4
	v_fmac_f32_e32 v123, v112, v0
	v_lshlrev_b32_e32 v0, 16, v4
	v_fmac_f32_e32 v125, v114, v3
	v_fmac_f32_e32 v124, v113, v0
	v_add_f32_e32 v0, v122, v123
	v_add_f32_e32 v0, v0, v124
	;; [unrolled: 1-line block ×3, first 2 shown]
	ds_bpermute_b32 v4, v118, v3
	s_and_saveexec_b32 s3, vcc_lo
	s_cbranch_execz .LBB169_9
; %bb.11:                               ;   in Loop: Header=BB169_10 Depth=1
	v_add_nc_u32_e32 v0, s4, v119
	s_waitcnt lgkmcnt(0)
	v_add_f32_e32 v3, v3, v4
	v_max_f32_e32 v4, v115, v115
	v_cmp_gt_i32_e64 s2, s23, v119
	v_cvt_f32_i32_e32 v0, v0
	v_mul_f32_e32 v0, s34, v0
	v_cndmask_b32_e64 v0, 0, v0, s1
	v_fmac_f32_e32 v0, s31, v3
	v_max_f32_e32 v3, v4, v0
	v_cndmask_b32_e64 v0, 0, v0, s2
	v_cndmask_b32_e64 v115, v115, v3, s2
	ds_write_b32 v120, v0
	s_branch .LBB169_9
.LBB169_12:
	s_or_b32 exec_lo, exec_lo, s5
	s_clause 0x4
	buffer_load_dword v116, off, s[36:39], 0
	buffer_load_dword v119, off, s[36:39], 0 offset:4
	buffer_load_dword v118, off, s[36:39], 0 offset:8
	;; [unrolled: 1-line block ×4, first 2 shown]
	v_mov_b32_e32 v12, 0
	v_mov_b32_e32 v13, 32
	s_waitcnt vmcnt(4)
	v_lshrrev_b32_e32 v89, 1, v116
.LBB169_13:
	s_or_b32 exec_lo, exec_lo, s35
	v_xor_b32_e32 v1, 16, v11
	v_xor_b32_e32 v2, 8, v11
	s_waitcnt lgkmcnt(0)
	v_max_f32_e32 v4, v115, v115
	v_and_b32_e32 v63, 31, v116
	s_waitcnt vmcnt(2)
	v_lshlrev_b32_e32 v7, 2, v118
	v_cmp_lt_i32_e32 vcc_lo, v1, v13
	v_cndmask_b32_e32 v1, v11, v1, vcc_lo
	v_cmp_lt_i32_e32 vcc_lo, v2, v13
	v_lshlrev_b32_e32 v3, 2, v1
	v_cndmask_b32_e32 v2, v11, v2, vcc_lo
	ds_bpermute_b32 v1, v3, v115
	v_lshlrev_b32_e32 v5, 2, v2
	s_waitcnt lgkmcnt(0)
	v_max_f32_e32 v1, v1, v1
	v_max_f32_e32 v1, v4, v1
	v_xor_b32_e32 v4, 4, v11
	ds_bpermute_b32 v2, v5, v1
	v_cmp_lt_i32_e32 vcc_lo, v4, v13
	v_cndmask_b32_e32 v4, v11, v4, vcc_lo
	v_lshlrev_b32_e32 v6, 2, v4
	v_xor_b32_e32 v4, 2, v11
	v_cmp_lt_i32_e32 vcc_lo, v4, v13
	s_waitcnt lgkmcnt(0)
	v_max_f32_e32 v2, v2, v2
	v_cndmask_b32_e32 v4, v11, v4, vcc_lo
	v_cmp_eq_u32_e32 vcc_lo, 0, v63
	v_max_f32_e32 v1, v1, v2
	ds_bpermute_b32 v2, v6, v1
	s_waitcnt lgkmcnt(0)
	v_max_f32_e32 v2, v2, v2
	v_max_f32_e32 v1, v1, v2
	v_lshlrev_b32_e32 v2, 2, v4
	ds_bpermute_b32 v4, v2, v1
	s_and_saveexec_b32 s1, vcc_lo
	s_cbranch_execz .LBB169_15
; %bb.14:
	s_waitcnt lgkmcnt(0)
	v_max_f32_e32 v0, v4, v4
	v_max_f32_e32 v1, v1, v1
	;; [unrolled: 1-line block ×3, first 2 shown]
	ds_write_b32 v7, v0 offset:384
.LBB169_15:
	s_or_b32 exec_lo, exec_lo, s1
	v_cmp_gt_u32_e64 s1, 4, v63
	v_mov_b32_e32 v1, 0xff7fffff
	v_lshlrev_b32_e32 v8, 2, v63
	s_waitcnt vmcnt(0) lgkmcnt(0)
	s_waitcnt_vscnt null, 0x0
	s_barrier
	buffer_gl0_inv
	s_and_saveexec_b32 s2, s1
; %bb.16:
	ds_read_b32 v1, v8 offset:384
; %bb.17:
	s_or_b32 exec_lo, exec_lo, s2
	s_waitcnt lgkmcnt(0)
	ds_bpermute_b32 v0, v2, v1
	v_xor_b32_e32 v4, 1, v11
	v_max_f32_e32 v1, v1, v1
	v_cmp_lt_i32_e64 s2, v4, v13
	v_cndmask_b32_e64 v4, v11, v4, s2
	s_sub_i32 s2, s11, s30
	s_lshl_b32 s2, s2, 4
	v_lshlrev_b32_e32 v64, 2, v4
	s_add_i32 s2, s2, s33
	v_lshl_add_u32 v4, v116, 2, 0x1a0
	s_min_i32 s2, s2, s23
	s_waitcnt lgkmcnt(0)
	v_max_f32_e32 v0, v0, v0
	s_sub_i32 s4, s2, s33
	v_cmp_gt_i32_e64 s2, s4, v116
	v_max_f32_e32 v0, v1, v0
	ds_bpermute_b32 v1, v64, v0
	s_waitcnt lgkmcnt(0)
	v_max_f32_e32 v1, v1, v1
	v_max_f32_e32 v0, v0, v1
	v_lshlrev_b32_e32 v1, 2, v12
	v_mov_b32_e32 v12, 0
	ds_bpermute_b32 v1, v1, v0
	s_and_saveexec_b32 s5, s2
	s_cbranch_execz .LBB169_21
; %bb.18:
	v_lshl_add_u32 v13, v116, 2, 0x1a0
	v_mov_b32_e32 v12, 0
	v_mov_b32_e32 v14, v116
	s_mov_b32 s15, 0
	.p2align	6
.LBB169_19:                             ; =>This Inner Loop Header: Depth=1
	ds_read_b32 v0, v13
	v_add_nc_u32_e32 v14, 0x80, v14
	v_cmp_le_i32_e64 s3, s4, v14
	s_or_b32 s15, s3, s15
	s_waitcnt lgkmcnt(0)
	v_sub_f32_e32 v0, v0, v1
	v_mul_f32_e32 v0, 0x3fb8aa3b, v0
	v_exp_f32_e32 v0, v0
	ds_write_b32 v13, v0
	v_add_f32_e32 v12, v12, v0
	v_add_nc_u32_e32 v13, 0x200, v13
	s_andn2_b32 exec_lo, exec_lo, s15
	s_cbranch_execnz .LBB169_19
; %bb.20:
	s_or_b32 exec_lo, exec_lo, s15
.LBB169_21:
	s_or_b32 exec_lo, exec_lo, s5
	ds_bpermute_b32 v0, v3, v12
	s_waitcnt lgkmcnt(0)
	v_add_f32_e32 v0, v12, v0
	ds_bpermute_b32 v3, v5, v0
	s_waitcnt lgkmcnt(0)
	v_add_f32_e32 v0, v0, v3
	;; [unrolled: 3-line block ×5, first 2 shown]
	s_and_saveexec_b32 s3, vcc_lo
; %bb.22:
	ds_write_b32 v7, v3 offset:400
; %bb.23:
	s_or_b32 exec_lo, exec_lo, s3
	s_waitcnt lgkmcnt(0)
	s_barrier
	buffer_gl0_inv
	s_and_saveexec_b32 s3, s1
; %bb.24:
	ds_read_b32 v3, v8 offset:400
; %bb.25:
	s_or_b32 exec_lo, exec_lo, s3
	s_waitcnt lgkmcnt(0)
	ds_bpermute_b32 v0, v2, v3
	s_waitcnt lgkmcnt(0)
	v_add_f32_e32 v0, v3, v0
	v_lshlrev_b32_e32 v3, 2, v11
	ds_bpermute_b32 v2, v64, v0
	s_waitcnt lgkmcnt(0)
	v_add_f32_e32 v0, v0, v2
	v_and_b32_e32 v2, 0xffffff80, v3
	ds_bpermute_b32 v2, v2, v0
	s_and_saveexec_b32 s1, s2
	s_cbranch_execz .LBB169_28
; %bb.26:
	s_waitcnt lgkmcnt(0)
	v_add_f32_e32 v0, 0x358637bd, v2
	s_mov_b32 s2, 0
	v_div_scale_f32 v3, null, v0, v0, 1.0
	v_div_scale_f32 v7, vcc_lo, 1.0, v0, 1.0
	v_rcp_f32_e32 v5, v3
	v_fma_f32 v6, -v3, v5, 1.0
	v_fmac_f32_e32 v5, v6, v5
	v_mul_f32_e32 v6, v7, v5
	v_fma_f32 v8, -v3, v6, v7
	v_fmac_f32_e32 v6, v8, v5
	v_fma_f32 v3, -v3, v6, v7
	v_div_fmas_f32 v3, v3, v5, v6
	v_mov_b32_e32 v5, v116
	v_div_fixup_f32 v3, v3, v0, 1.0
.LBB169_27:                             ; =>This Inner Loop Header: Depth=1
	ds_read_b32 v0, v4
	v_add_nc_u32_e32 v5, 0x80, v5
	v_cmp_le_i32_e32 vcc_lo, s4, v5
	s_or_b32 s2, vcc_lo, s2
	s_waitcnt lgkmcnt(0)
	v_mul_f32_e32 v0, v3, v0
	ds_write_b32 v4, v0
	v_add_nc_u32_e32 v4, 0x200, v4
	s_andn2_b32 exec_lo, exec_lo, s2
	s_cbranch_execnz .LBB169_27
.LBB169_28:
	s_or_b32 exec_lo, exec_lo, s1
	s_mul_i32 s1, s7, s22
	s_waitcnt lgkmcnt(0)
	s_mul_i32 s4, s1, s9
	s_mov_b32 s1, exec_lo
	s_barrier
	buffer_gl0_inv
	v_cmpx_eq_u32_e32 0, v116
	s_cbranch_execz .LBB169_30
; %bb.29:
	s_ashr_i32 s5, s4, 31
	s_mul_i32 s30, s7, s6
	s_lshl_b64 s[2:3], s[4:5], 2
	v_mov_b32_e32 v0, 0
	s_add_u32 s5, s18, s2
	s_addc_u32 s6, s19, s3
	s_ashr_i32 s31, s30, 31
	s_lshl_b64 s[18:19], s[30:31], 2
	s_add_u32 s5, s5, s18
	s_addc_u32 s6, s6, s19
	s_ashr_i32 s9, s8, 31
	s_lshl_b64 s[30:31], s[8:9], 2
	s_add_u32 s34, s5, s30
	s_addc_u32 s35, s6, s31
	s_add_u32 s2, s16, s2
	s_addc_u32 s3, s17, s3
	;; [unrolled: 2-line block ×4, first 2 shown]
	global_store_dword v0, v1, s[34:35]
	global_store_dword v0, v2, s[2:3]
.LBB169_30:
	s_or_b32 exec_lo, exec_lo, s1
	v_mov_b32_e32 v75, 0
	v_mov_b32_e32 v76, 0
	;; [unrolled: 1-line block ×12, first 2 shown]
	s_and_saveexec_b32 s3, s0
	s_cbranch_execz .LBB169_58
; %bb.31:
	v_lshlrev_b32_e32 v0, 4, v116
	s_ashr_i32 s15, s14, 31
	v_and_b32_e32 v1, 8, v9
	v_lshlrev_b32_e32 v2, 5, v119
	s_lshl_b64 s[0:1], s[14:15], 1
	v_and_b32_e32 v0, 0x1f0, v0
	s_add_u32 s0, s28, s0
	s_addc_u32 s1, s29, s1
	v_lshl_or_b32 v3, v118, 6, v2
	v_add3_u32 v80, s33, v10, v1
	v_add_co_u32 v78, s0, s0, v0
	v_lshlrev_b64 v[1:2], 2, v[57:58]
	v_add_co_ci_u32_e64 v79, null, s1, 0, s0
	s_lshl_b64 s[0:1], s[26:27], 2
	s_add_i32 s5, s12, -1
	s_add_u32 s0, s24, s0
	s_addc_u32 s1, s25, s1
	v_add_co_u32 v58, vcc_lo, s0, v1
	v_mov_b32_e32 v77, 0
	v_add_nc_u32_e32 v81, 0x1a0, v3
	v_add_co_ci_u32_e64 v59, null, s1, v2, vcc_lo
	v_mov_b32_e32 v65, 0
	v_mov_b32_e32 v66, 0
	;; [unrolled: 1-line block ×12, first 2 shown]
	s_mov_b32 s6, s13
	s_mov_b32 s12, s23
	;; [unrolled: 1-line block ×3, first 2 shown]
	s_branch .LBB169_33
.LBB169_32:                             ;   in Loop: Header=BB169_33 Depth=1
	s_or_b32 exec_lo, exec_lo, s2
	s_waitcnt lgkmcnt(1)
	v_bfe_u32 v0, v41, 16, 1
	v_bfe_u32 v60, v42, 16, 1
	v_or_b32_e32 v61, 0x400000, v41
	v_cmp_u_f32_e32 vcc_lo, v41, v41
	v_or_b32_e32 v62, 0x400000, v42
	v_add3_u32 v0, v0, v41, 0x7fff
	v_bfe_u32 v82, v43, 16, 1
	v_add3_u32 v60, v60, v42, 0x7fff
	v_bfe_u32 v83, v44, 16, 1
	v_add_nc_u32_e32 v57, 4, v57
	v_cndmask_b32_e32 v0, v0, v61, vcc_lo
	v_cmp_u_f32_e32 vcc_lo, v42, v42
	v_add3_u32 v42, v82, v43, 0x7fff
	s_waitcnt lgkmcnt(0)
	v_bfe_u32 v61, v33, 16, 1
	v_or_b32_e32 v82, 0x400000, v44
	v_add_co_u32 v58, s0, v58, 16
	v_cndmask_b32_e32 v41, v60, v62, vcc_lo
	v_or_b32_e32 v60, 0x400000, v43
	v_cmp_u_f32_e32 vcc_lo, v43, v43
	v_add3_u32 v62, v83, v44, 0x7fff
	v_add3_u32 v43, v61, v33, 0x7fff
	v_bfe_u32 v61, v34, 16, 1
	v_add_nc_u32_e32 v80, 64, v80
	v_cndmask_b32_e32 v42, v42, v60, vcc_lo
	v_cmp_u_f32_e32 vcc_lo, v44, v44
	v_or_b32_e32 v60, 0x400000, v33
	v_add3_u32 v61, v61, v34, 0x7fff
	v_add_nc_u32_e32 v81, 0x100, v81
	v_and_b32_e32 v42, 0xffff0000, v42
	v_cndmask_b32_e32 v44, v62, v82, vcc_lo
	v_cmp_u_f32_e32 vcc_lo, v33, v33
	v_and_b32_e32 v33, 0xffff0000, v41
	s_waitcnt vmcnt(1)
	v_and_b32_e32 v41, 0xffff0000, v53
	v_or_b32_e32 v62, 0x400000, v34
	v_or_b32_e32 v82, 0x400000, v35
	v_cndmask_b32_e32 v43, v43, v60, vcc_lo
	v_bfe_u32 v60, v35, 16, 1
	v_cmp_u_f32_e32 vcc_lo, v34, v34
	v_mul_f32_e32 v83, v33, v41
	v_and_b32_e32 v41, 0xffff0000, v0
	v_lshlrev_b32_e32 v0, 16, v53
	v_add3_u32 v60, v60, v35, 0x7fff
	v_cndmask_b32_e32 v34, v61, v62, vcc_lo
	v_bfe_u32 v61, v36, 16, 1
	v_cmp_u_f32_e32 vcc_lo, v35, v35
	v_bfe_u32 v35, v83, 16, 1
	v_mul_f32_e32 v0, v41, v0
	v_and_b32_e32 v34, 0xffff0000, v34
	v_add3_u32 v53, v61, v36, 0x7fff
	v_cndmask_b32_e32 v60, v60, v82, vcc_lo
	v_or_b32_e32 v61, 0x400000, v36
	v_cmp_u_f32_e32 vcc_lo, v36, v36
	v_add3_u32 v62, v35, v83, 0x7fff
	v_or_b32_e32 v82, 0x400000, v83
	v_and_b32_e32 v35, 0xffff0000, v44
	v_and_b32_e32 v44, 0xffff0000, v54
	v_cndmask_b32_e32 v36, v53, v61, vcc_lo
	v_cmp_u_f32_e32 vcc_lo, v83, v83
	v_bfe_u32 v61, v0, 16, 1
	v_add_co_ci_u32_e64 v59, null, 0, v59, s0
	v_and_b32_e32 v36, 0xffff0000, v36
	v_cndmask_b32_e32 v53, v62, v82, vcc_lo
	v_mul_f32_e32 v62, v35, v44
	v_lshlrev_b32_e32 v44, 16, v54
	v_and_b32_e32 v54, 0xffff0000, v55
	v_add3_u32 v61, v61, v0, 0x7fff
	v_or_b32_e32 v82, 0x400000, v0
	v_bfe_u32 v83, v62, 16, 1
	v_mul_f32_e32 v84, v42, v44
	v_cmp_u_f32_e32 vcc_lo, v0, v0
	v_mul_f32_e32 v54, v34, v54
	v_and_b32_e32 v44, 0xffff0000, v43
	v_lshlrev_b32_e32 v43, 16, v55
	v_and_b32_e32 v53, 0xffff0000, v53
	v_cndmask_b32_e32 v0, v61, v82, vcc_lo
	v_add3_u32 v61, v83, v62, 0x7fff
	v_or_b32_e32 v82, 0x400000, v62
	v_bfe_u32 v83, v84, 16, 1
	v_cmp_u_f32_e32 vcc_lo, v62, v62
	v_bfe_u32 v85, v54, 16, 1
	v_or_b32_e32 v62, 0x400000, v84
	v_and_b32_e32 v0, 0xffff0000, v0
	v_cndmask_b32_e32 v55, v61, v82, vcc_lo
	v_add3_u32 v61, v83, v84, 0x7fff
	v_mul_f32_e32 v82, v44, v43
	v_cmp_u_f32_e32 vcc_lo, v84, v84
	v_add3_u32 v43, v85, v54, 0x7fff
	v_and_b32_e32 v83, 0xffff0000, v56
	v_or_b32_e32 v85, 0x400000, v54
	v_bfe_u32 v86, v82, 16, 1
	v_cndmask_b32_e32 v61, v61, v62, vcc_lo
	v_cmp_u_f32_e32 vcc_lo, v54, v54
	v_mul_f32_e32 v62, v36, v83
	v_or_b32_e32 v84, 0x400000, v82
	v_add3_u32 v83, v86, v82, 0x7fff
	v_lshlrev_b32_e32 v56, 16, v56
	v_cndmask_b32_e32 v54, v43, v85, vcc_lo
	v_cmp_u_f32_e32 vcc_lo, v82, v82
	v_bfe_u32 v85, v62, 16, 1
	v_and_b32_e32 v43, 0xffff0000, v60
	v_and_b32_e32 v61, 0xffff0000, v61
	;; [unrolled: 1-line block ×3, first 2 shown]
	v_cndmask_b32_e32 v60, v83, v84, vcc_lo
	v_add3_u32 v82, v85, v62, 0x7fff
	v_or_b32_e32 v83, 0x400000, v62
	v_mul_f32_e32 v56, v43, v56
	v_cmp_u_f32_e32 vcc_lo, v62, v62
	v_add_f32_e32 v0, v0, v53
	v_add_f32_e32 v53, v61, v55
	v_and_b32_e32 v55, 0xffff0000, v60
	v_and_b32_e32 v60, 0xffff0000, v49
	;; [unrolled: 1-line block ×3, first 2 shown]
	v_cndmask_b32_e32 v62, v82, v83, vcc_lo
	v_bfe_u32 v82, v56, 16, 1
	v_add_f32_e32 v0, v53, v0
	v_mul_f32_e32 v53, v33, v60
	v_add_f32_e32 v54, v55, v54
	v_lshlrev_b32_e32 v49, 16, v49
	v_add3_u32 v61, v82, v56, 0x7fff
	v_or_b32_e32 v82, 0x400000, v56
	v_cmp_u_f32_e32 vcc_lo, v56, v56
	v_bfe_u32 v56, v53, 16, 1
	v_add_f32_e32 v0, v54, v0
	v_mul_f32_e32 v49, v41, v49
	v_and_b32_e32 v54, 0xffff0000, v50
	v_cndmask_b32_e32 v55, v61, v82, vcc_lo
	v_add3_u32 v56, v56, v53, 0x7fff
	v_or_b32_e32 v60, 0x400000, v53
	v_bfe_u32 v61, v49, 16, 1
	v_mul_f32_e32 v54, v35, v54
	v_lshlrev_b32_e32 v50, 16, v50
	v_cmp_u_f32_e32 vcc_lo, v53, v53
	v_and_b32_e32 v82, 0xffff0000, v51
	v_lshlrev_b32_e32 v51, 16, v51
	v_and_b32_e32 v83, 0xffff0000, v52
	v_mul_f32_e32 v50, v42, v50
	v_cndmask_b32_e32 v53, v56, v60, vcc_lo
	v_add3_u32 v56, v61, v49, 0x7fff
	v_or_b32_e32 v60, 0x400000, v49
	v_bfe_u32 v61, v54, 16, 1
	v_cmp_u_f32_e32 vcc_lo, v49, v49
	v_mul_f32_e32 v82, v34, v82
	v_mul_f32_e32 v51, v44, v51
	v_lshlrev_b32_e32 v52, 16, v52
	v_and_b32_e32 v53, 0xffff0000, v53
	v_cndmask_b32_e32 v49, v56, v60, vcc_lo
	v_add3_u32 v56, v61, v54, 0x7fff
	v_or_b32_e32 v60, 0x400000, v54
	v_bfe_u32 v61, v50, 16, 1
	v_cmp_u_f32_e32 vcc_lo, v54, v54
	v_mul_f32_e32 v52, v43, v52
	v_or_b32_e32 v84, 0x400000, v51
	v_and_b32_e32 v49, 0xffff0000, v49
	v_and_b32_e32 v55, 0xffff0000, v55
	v_cndmask_b32_e32 v54, v56, v60, vcc_lo
	v_add3_u32 v56, v61, v50, 0x7fff
	v_or_b32_e32 v60, 0x400000, v50
	v_bfe_u32 v61, v82, 16, 1
	v_cmp_u_f32_e32 vcc_lo, v50, v50
	v_bfe_u32 v86, v52, 16, 1
	v_and_b32_e32 v54, 0xffff0000, v54
	v_add_f32_e32 v49, v49, v53
	v_cndmask_b32_e32 v50, v56, v60, vcc_lo
	v_bfe_u32 v56, v51, 16, 1
	v_add3_u32 v60, v61, v82, 0x7fff
	v_mul_f32_e32 v61, v36, v83
	v_or_b32_e32 v83, 0x400000, v82
	v_cmp_u_f32_e32 vcc_lo, v82, v82
	v_add3_u32 v56, v56, v51, 0x7fff
	v_add3_u32 v82, v86, v52, 0x7fff
	v_bfe_u32 v85, v61, 16, 1
	v_and_b32_e32 v50, 0xffff0000, v50
	v_cndmask_b32_e32 v60, v60, v83, vcc_lo
	v_cmp_u_f32_e32 vcc_lo, v51, v51
	v_or_b32_e32 v83, 0x400000, v52
	v_add_f32_e32 v50, v50, v54
	v_and_b32_e32 v53, 0xffff0000, v60
	v_cndmask_b32_e32 v51, v56, v84, vcc_lo
	v_cmp_u_f32_e32 vcc_lo, v52, v52
	v_add3_u32 v56, v85, v61, 0x7fff
	v_or_b32_e32 v84, 0x400000, v61
	v_add_f32_e32 v49, v50, v49
	v_and_b32_e32 v51, 0xffff0000, v51
	v_cndmask_b32_e32 v52, v82, v83, vcc_lo
	v_cmp_u_f32_e32 vcc_lo, v61, v61
	v_add_f32_e32 v50, v51, v53
	v_and_b32_e32 v51, 0xffff0000, v52
	v_cndmask_b32_e32 v54, v56, v84, vcc_lo
	v_and_b32_e32 v56, 0xffff0000, v62
	v_and_b32_e32 v53, 0xffff0000, v45
	v_lshlrev_b32_e32 v45, 16, v45
	v_add_f32_e32 v49, v50, v49
	v_and_b32_e32 v52, 0xffff0000, v54
	v_add_f32_e32 v54, v55, v56
	v_mul_f32_e32 v45, v41, v45
	v_add_f32_e32 v50, v51, v52
	v_mul_f32_e32 v51, v33, v53
	v_add_f32_e32 v0, v54, v0
	v_and_b32_e32 v52, 0xffff0000, v46
	v_lshlrev_b32_e32 v46, 16, v46
	v_add_f32_e32 v49, v50, v49
	v_bfe_u32 v50, v51, 16, 1
	v_add_f32_e32 v66, v66, v0
	v_bfe_u32 v0, v45, 16, 1
	v_mul_f32_e32 v52, v35, v52
	v_add_f32_e32 v67, v67, v49
	v_add3_u32 v49, v50, v51, 0x7fff
	v_or_b32_e32 v50, 0x400000, v51
	v_cmp_u_f32_e32 vcc_lo, v51, v51
	v_add3_u32 v0, v0, v45, 0x7fff
	v_or_b32_e32 v53, 0x400000, v45
	v_or_b32_e32 v51, 0x400000, v52
	v_and_b32_e32 v54, 0xffff0000, v48
	v_cndmask_b32_e32 v49, v49, v50, vcc_lo
	v_bfe_u32 v50, v52, 16, 1
	v_cmp_u_f32_e32 vcc_lo, v45, v45
	v_mul_f32_e32 v45, v42, v46
	v_and_b32_e32 v46, 0xffff0000, v47
	v_lshlrev_b32_e32 v47, 16, v47
	v_add3_u32 v50, v50, v52, 0x7fff
	v_cndmask_b32_e32 v0, v0, v53, vcc_lo
	v_bfe_u32 v53, v45, 16, 1
	v_mul_f32_e32 v46, v34, v46
	v_cmp_u_f32_e32 vcc_lo, v52, v52
	v_mul_f32_e32 v47, v44, v47
	v_or_b32_e32 v52, 0x400000, v45
	v_lshlrev_b32_e32 v48, 16, v48
	v_and_b32_e32 v0, 0xffff0000, v0
	v_cndmask_b32_e32 v50, v50, v51, vcc_lo
	v_add3_u32 v51, v53, v45, 0x7fff
	v_bfe_u32 v53, v46, 16, 1
	v_cmp_u_f32_e32 vcc_lo, v45, v45
	v_bfe_u32 v55, v47, 16, 1
	v_mul_f32_e32 v48, v43, v48
	v_and_b32_e32 v49, 0xffff0000, v49
	v_and_b32_e32 v50, 0xffff0000, v50
	v_cndmask_b32_e32 v45, v51, v52, vcc_lo
	v_add3_u32 v51, v53, v46, 0x7fff
	v_mul_f32_e32 v52, v36, v54
	v_or_b32_e32 v53, 0x400000, v46
	v_cmp_u_f32_e32 vcc_lo, v46, v46
	v_add3_u32 v54, v55, v47, 0x7fff
	v_or_b32_e32 v55, 0x400000, v47
	v_bfe_u32 v56, v52, 16, 1
	v_and_b32_e32 v45, 0xffff0000, v45
	v_cndmask_b32_e32 v46, v51, v53, vcc_lo
	v_cmp_u_f32_e32 vcc_lo, v47, v47
	v_or_b32_e32 v53, 0x400000, v52
	v_add3_u32 v51, v56, v52, 0x7fff
	v_add_f32_e32 v0, v0, v49
	v_add_f32_e32 v45, v45, v50
	v_cndmask_b32_e32 v47, v54, v55, vcc_lo
	v_bfe_u32 v54, v48, 16, 1
	v_cmp_u_f32_e32 vcc_lo, v52, v52
	v_and_b32_e32 v49, 0xffff0000, v37
	v_and_b32_e32 v46, 0xffff0000, v46
	;; [unrolled: 1-line block ×3, first 2 shown]
	v_add3_u32 v52, v54, v48, 0x7fff
	v_cndmask_b32_e32 v51, v51, v53, vcc_lo
	v_or_b32_e32 v53, 0x400000, v48
	v_cmp_u_f32_e32 vcc_lo, v48, v48
	v_add_f32_e32 v0, v45, v0
	v_mul_f32_e32 v45, v33, v49
	v_add_f32_e32 v46, v47, v46
	v_lshlrev_b32_e32 v37, 16, v37
	v_cndmask_b32_e32 v48, v52, v53, vcc_lo
	v_and_b32_e32 v52, 0xffff0000, v40
	v_bfe_u32 v49, v45, 16, 1
	v_add_f32_e32 v0, v46, v0
	v_mul_f32_e32 v37, v41, v37
	v_and_b32_e32 v47, 0xffff0000, v48
	v_and_b32_e32 v48, 0xffff0000, v51
	;; [unrolled: 1-line block ×3, first 2 shown]
	v_lshlrev_b32_e32 v38, 16, v38
	v_bfe_u32 v50, v37, 16, 1
	v_cmp_u_f32_e32 vcc_lo, v45, v45
	v_add_f32_e32 v47, v47, v48
	v_add3_u32 v48, v49, v45, 0x7fff
	v_or_b32_e32 v49, 0x400000, v45
	v_mul_f32_e32 v46, v35, v46
	v_mul_f32_e32 v38, v42, v38
	v_and_b32_e32 v51, 0xffff0000, v39
	v_lshlrev_b32_e32 v39, 16, v39
	v_cndmask_b32_e32 v45, v48, v49, vcc_lo
	v_add3_u32 v48, v50, v37, 0x7fff
	v_or_b32_e32 v49, 0x400000, v37
	v_bfe_u32 v50, v46, 16, 1
	v_cmp_u_f32_e32 vcc_lo, v37, v37
	v_mul_f32_e32 v51, v34, v51
	v_mul_f32_e32 v39, v44, v39
	v_lshlrev_b32_e32 v40, 16, v40
	v_and_b32_e32 v45, 0xffff0000, v45
	v_cndmask_b32_e32 v37, v48, v49, vcc_lo
	v_add3_u32 v48, v50, v46, 0x7fff
	v_or_b32_e32 v49, 0x400000, v46
	v_bfe_u32 v50, v38, 16, 1
	v_cmp_u_f32_e32 vcc_lo, v46, v46
	v_mul_f32_e32 v40, v43, v40
	v_or_b32_e32 v53, 0x400000, v39
	v_and_b32_e32 v37, 0xffff0000, v37
	v_add_f32_e32 v0, v47, v0
	v_cndmask_b32_e32 v46, v48, v49, vcc_lo
	v_add3_u32 v48, v50, v38, 0x7fff
	v_or_b32_e32 v49, 0x400000, v38
	v_bfe_u32 v50, v51, 16, 1
	v_cmp_u_f32_e32 vcc_lo, v38, v38
	v_and_b32_e32 v46, 0xffff0000, v46
	v_add_f32_e32 v37, v37, v45
	v_add_f32_e32 v68, v68, v0
	v_cndmask_b32_e32 v38, v48, v49, vcc_lo
	v_bfe_u32 v48, v39, 16, 1
	v_add3_u32 v49, v50, v51, 0x7fff
	v_mul_f32_e32 v50, v36, v52
	v_or_b32_e32 v52, 0x400000, v51
	v_cmp_u_f32_e32 vcc_lo, v51, v51
	v_add3_u32 v48, v48, v39, 0x7fff
	v_bfe_u32 v51, v40, 16, 1
	v_bfe_u32 v54, v50, 16, 1
	v_and_b32_e32 v38, 0xffff0000, v38
	v_cndmask_b32_e32 v49, v49, v52, vcc_lo
	v_cmp_u_f32_e32 vcc_lo, v39, v39
	v_add3_u32 v51, v51, v40, 0x7fff
	v_or_b32_e32 v52, 0x400000, v50
	v_add_f32_e32 v38, v38, v46
	v_and_b32_e32 v45, 0xffff0000, v49
	v_cndmask_b32_e32 v39, v48, v53, vcc_lo
	v_or_b32_e32 v53, 0x400000, v40
	v_cmp_u_f32_e32 vcc_lo, v40, v40
	v_add3_u32 v48, v54, v50, 0x7fff
	v_add_f32_e32 v37, v38, v37
	v_and_b32_e32 v39, 0xffff0000, v39
	v_cndmask_b32_e32 v40, v51, v53, vcc_lo
	v_cmp_u_f32_e32 vcc_lo, v50, v50
	v_add_f32_e32 v38, v39, v45
	v_and_b32_e32 v39, 0xffff0000, v29
	v_and_b32_e32 v40, 0xffff0000, v40
	v_cndmask_b32_e32 v46, v48, v52, vcc_lo
	v_lshlrev_b32_e32 v29, 16, v29
	v_add_f32_e32 v37, v38, v37
	v_mul_f32_e32 v39, v33, v39
	v_and_b32_e32 v45, 0xffff0000, v46
	v_mul_f32_e32 v29, v41, v29
	v_cmp_u_f32_e32 vcc_lo, v39, v39
	v_add_f32_e32 v38, v40, v45
	v_and_b32_e32 v40, 0xffff0000, v30
	v_bfe_u32 v45, v39, 16, 1
	v_bfe_u32 v0, v29, 16, 1
	v_lshlrev_b32_e32 v30, 16, v30
	v_add_f32_e32 v37, v38, v37
	v_mul_f32_e32 v38, v35, v40
	v_add3_u32 v40, v45, v39, 0x7fff
	v_or_b32_e32 v45, 0x400000, v39
	v_add3_u32 v0, v0, v29, 0x7fff
	v_or_b32_e32 v46, 0x400000, v29
	v_bfe_u32 v47, v38, 16, 1
	v_add_f32_e32 v69, v69, v37
	v_cndmask_b32_e32 v39, v40, v45, vcc_lo
	v_cmp_u_f32_e32 vcc_lo, v29, v29
	v_mul_f32_e32 v29, v42, v30
	v_and_b32_e32 v45, 0xffff0000, v31
	v_add3_u32 v30, v47, v38, 0x7fff
	v_or_b32_e32 v40, 0x400000, v38
	v_cndmask_b32_e32 v0, v0, v46, vcc_lo
	v_lshlrev_b32_e32 v31, 16, v31
	v_bfe_u32 v46, v29, 16, 1
	v_cmp_u_f32_e32 vcc_lo, v38, v38
	v_mul_f32_e32 v38, v34, v45
	v_or_b32_e32 v45, 0x400000, v29
	v_mul_f32_e32 v31, v44, v31
	v_and_b32_e32 v0, 0xffff0000, v0
	v_cndmask_b32_e32 v30, v30, v40, vcc_lo
	v_add3_u32 v40, v46, v29, 0x7fff
	v_and_b32_e32 v46, 0xffff0000, v32
	v_bfe_u32 v47, v38, 16, 1
	v_cmp_u_f32_e32 vcc_lo, v29, v29
	v_bfe_u32 v48, v31, 16, 1
	v_lshlrev_b32_e32 v32, 16, v32
	v_and_b32_e32 v39, 0xffff0000, v39
	v_and_b32_e32 v30, 0xffff0000, v30
	v_cndmask_b32_e32 v29, v40, v45, vcc_lo
	v_mul_f32_e32 v40, v36, v46
	v_add3_u32 v45, v47, v38, 0x7fff
	v_or_b32_e32 v46, 0x400000, v38
	v_cmp_u_f32_e32 vcc_lo, v38, v38
	v_add3_u32 v47, v48, v31, 0x7fff
	v_or_b32_e32 v48, 0x400000, v31
	v_bfe_u32 v49, v40, 16, 1
	v_and_b32_e32 v29, 0xffff0000, v29
	v_cndmask_b32_e32 v38, v45, v46, vcc_lo
	v_cmp_u_f32_e32 vcc_lo, v31, v31
	v_or_b32_e32 v46, 0x400000, v40
	v_add3_u32 v45, v49, v40, 0x7fff
	v_mul_f32_e32 v32, v43, v32
	v_add_f32_e32 v0, v0, v39
	v_cndmask_b32_e32 v31, v47, v48, vcc_lo
	v_cmp_u_f32_e32 vcc_lo, v40, v40
	v_add_f32_e32 v29, v29, v30
	v_and_b32_e32 v38, 0xffff0000, v38
	v_and_b32_e32 v30, 0xffff0000, v31
	;; [unrolled: 1-line block ×3, first 2 shown]
	v_cndmask_b32_e32 v40, v45, v46, vcc_lo
	v_bfe_u32 v45, v32, 16, 1
	v_add_f32_e32 v0, v29, v0
	v_add_f32_e32 v30, v30, v38
	v_mul_f32_e32 v29, v33, v31
	v_lshlrev_b32_e32 v25, 16, v25
	v_add3_u32 v39, v45, v32, 0x7fff
	v_or_b32_e32 v45, 0x400000, v32
	v_cmp_u_f32_e32 vcc_lo, v32, v32
	v_bfe_u32 v32, v29, 16, 1
	v_add_f32_e32 v0, v30, v0
	v_mul_f32_e32 v25, v41, v25
	v_and_b32_e32 v30, 0xffff0000, v26
	v_cndmask_b32_e32 v31, v39, v45, vcc_lo
	v_add3_u32 v32, v32, v29, 0x7fff
	v_or_b32_e32 v38, 0x400000, v29
	v_bfe_u32 v39, v25, 16, 1
	v_mul_f32_e32 v30, v35, v30
	v_lshlrev_b32_e32 v26, 16, v26
	v_cmp_u_f32_e32 vcc_lo, v29, v29
	v_and_b32_e32 v45, 0xffff0000, v27
	v_lshlrev_b32_e32 v27, 16, v27
	v_and_b32_e32 v46, 0xffff0000, v28
	v_mul_f32_e32 v26, v42, v26
	v_cndmask_b32_e32 v29, v32, v38, vcc_lo
	v_add3_u32 v32, v39, v25, 0x7fff
	v_or_b32_e32 v38, 0x400000, v25
	v_bfe_u32 v39, v30, 16, 1
	v_cmp_u_f32_e32 vcc_lo, v25, v25
	v_mul_f32_e32 v45, v34, v45
	v_mul_f32_e32 v27, v44, v27
	v_lshlrev_b32_e32 v28, 16, v28
	v_and_b32_e32 v29, 0xffff0000, v29
	v_cndmask_b32_e32 v25, v32, v38, vcc_lo
	v_add3_u32 v32, v39, v30, 0x7fff
	v_or_b32_e32 v38, 0x400000, v30
	v_bfe_u32 v39, v26, 16, 1
	v_cmp_u_f32_e32 vcc_lo, v30, v30
	v_mul_f32_e32 v28, v43, v28
	v_or_b32_e32 v47, 0x400000, v27
	v_and_b32_e32 v25, 0xffff0000, v25
	v_and_b32_e32 v31, 0xffff0000, v31
	v_cndmask_b32_e32 v30, v32, v38, vcc_lo
	v_add3_u32 v32, v39, v26, 0x7fff
	v_or_b32_e32 v38, 0x400000, v26
	v_bfe_u32 v39, v45, 16, 1
	v_cmp_u_f32_e32 vcc_lo, v26, v26
	v_bfe_u32 v49, v28, 16, 1
	v_and_b32_e32 v30, 0xffff0000, v30
	v_add_f32_e32 v25, v25, v29
	v_cndmask_b32_e32 v26, v32, v38, vcc_lo
	v_bfe_u32 v32, v27, 16, 1
	v_add3_u32 v38, v39, v45, 0x7fff
	v_mul_f32_e32 v39, v36, v46
	v_or_b32_e32 v46, 0x400000, v45
	v_cmp_u_f32_e32 vcc_lo, v45, v45
	v_add3_u32 v32, v32, v27, 0x7fff
	v_add3_u32 v45, v49, v28, 0x7fff
	v_bfe_u32 v48, v39, 16, 1
	v_and_b32_e32 v26, 0xffff0000, v26
	v_cndmask_b32_e32 v38, v38, v46, vcc_lo
	v_cmp_u_f32_e32 vcc_lo, v27, v27
	v_or_b32_e32 v46, 0x400000, v28
	v_add_f32_e32 v26, v26, v30
	v_and_b32_e32 v29, 0xffff0000, v38
	v_cndmask_b32_e32 v27, v32, v47, vcc_lo
	v_cmp_u_f32_e32 vcc_lo, v28, v28
	v_add3_u32 v32, v48, v39, 0x7fff
	v_or_b32_e32 v47, 0x400000, v39
	v_add_f32_e32 v25, v26, v25
	v_and_b32_e32 v27, 0xffff0000, v27
	v_cndmask_b32_e32 v28, v45, v46, vcc_lo
	v_cmp_u_f32_e32 vcc_lo, v39, v39
	v_add_f32_e32 v26, v27, v29
	v_and_b32_e32 v27, 0xffff0000, v28
	v_cndmask_b32_e32 v30, v32, v47, vcc_lo
	v_and_b32_e32 v32, 0xffff0000, v40
	v_and_b32_e32 v29, 0xffff0000, v21
	v_lshlrev_b32_e32 v21, 16, v21
	v_add_f32_e32 v25, v26, v25
	v_and_b32_e32 v28, 0xffff0000, v30
	v_add_f32_e32 v30, v31, v32
	v_mul_f32_e32 v21, v41, v21
	v_add_f32_e32 v26, v27, v28
	v_mul_f32_e32 v27, v33, v29
	v_add_f32_e32 v0, v30, v0
	v_and_b32_e32 v28, 0xffff0000, v22
	v_lshlrev_b32_e32 v22, 16, v22
	v_add_f32_e32 v25, v26, v25
	v_bfe_u32 v26, v27, 16, 1
	v_add_f32_e32 v70, v70, v0
	v_bfe_u32 v0, v21, 16, 1
	v_mul_f32_e32 v28, v35, v28
	v_add_f32_e32 v71, v71, v25
	v_add3_u32 v25, v26, v27, 0x7fff
	v_or_b32_e32 v26, 0x400000, v27
	v_cmp_u_f32_e32 vcc_lo, v27, v27
	v_add3_u32 v0, v0, v21, 0x7fff
	v_or_b32_e32 v29, 0x400000, v21
	v_or_b32_e32 v27, 0x400000, v28
	v_and_b32_e32 v30, 0xffff0000, v24
	v_cndmask_b32_e32 v25, v25, v26, vcc_lo
	v_bfe_u32 v26, v28, 16, 1
	v_cmp_u_f32_e32 vcc_lo, v21, v21
	v_mul_f32_e32 v21, v42, v22
	v_and_b32_e32 v22, 0xffff0000, v23
	v_lshlrev_b32_e32 v23, 16, v23
	v_add3_u32 v26, v26, v28, 0x7fff
	v_cndmask_b32_e32 v0, v0, v29, vcc_lo
	v_bfe_u32 v29, v21, 16, 1
	v_mul_f32_e32 v22, v34, v22
	v_cmp_u_f32_e32 vcc_lo, v28, v28
	v_mul_f32_e32 v23, v44, v23
	v_or_b32_e32 v28, 0x400000, v21
	v_lshlrev_b32_e32 v24, 16, v24
	v_and_b32_e32 v0, 0xffff0000, v0
	v_cndmask_b32_e32 v26, v26, v27, vcc_lo
	v_add3_u32 v27, v29, v21, 0x7fff
	v_bfe_u32 v29, v22, 16, 1
	v_cmp_u_f32_e32 vcc_lo, v21, v21
	v_bfe_u32 v31, v23, 16, 1
	v_mul_f32_e32 v24, v43, v24
	v_and_b32_e32 v25, 0xffff0000, v25
	v_and_b32_e32 v26, 0xffff0000, v26
	v_cndmask_b32_e32 v21, v27, v28, vcc_lo
	v_add3_u32 v27, v29, v22, 0x7fff
	v_mul_f32_e32 v28, v36, v30
	v_or_b32_e32 v29, 0x400000, v22
	v_cmp_u_f32_e32 vcc_lo, v22, v22
	v_add3_u32 v30, v31, v23, 0x7fff
	v_or_b32_e32 v31, 0x400000, v23
	v_bfe_u32 v32, v28, 16, 1
	v_and_b32_e32 v21, 0xffff0000, v21
	v_cndmask_b32_e32 v22, v27, v29, vcc_lo
	v_cmp_u_f32_e32 vcc_lo, v23, v23
	v_or_b32_e32 v29, 0x400000, v28
	v_add3_u32 v27, v32, v28, 0x7fff
	v_add_f32_e32 v0, v0, v25
	v_add_f32_e32 v21, v21, v26
	v_cndmask_b32_e32 v23, v30, v31, vcc_lo
	v_bfe_u32 v30, v24, 16, 1
	v_cmp_u_f32_e32 vcc_lo, v28, v28
	v_and_b32_e32 v25, 0xffff0000, v13
	v_and_b32_e32 v22, 0xffff0000, v22
	v_and_b32_e32 v23, 0xffff0000, v23
	v_add3_u32 v28, v30, v24, 0x7fff
	v_cndmask_b32_e32 v27, v27, v29, vcc_lo
	v_or_b32_e32 v29, 0x400000, v24
	v_cmp_u_f32_e32 vcc_lo, v24, v24
	v_lshlrev_b32_e32 v13, 16, v13
	v_add_f32_e32 v0, v21, v0
	v_mul_f32_e32 v21, v33, v25
	v_add_f32_e32 v22, v23, v22
	v_cndmask_b32_e32 v24, v28, v29, vcc_lo
	v_mul_f32_e32 v13, v41, v13
	v_and_b32_e32 v26, 0xffff0000, v14
	v_bfe_u32 v25, v21, 16, 1
	v_add_f32_e32 v0, v22, v0
	v_and_b32_e32 v23, 0xffff0000, v24
	v_and_b32_e32 v24, 0xffff0000, v27
	v_bfe_u32 v22, v13, 16, 1
	v_cmp_u_f32_e32 vcc_lo, v21, v21
	v_mul_f32_e32 v26, v35, v26
	v_or_b32_e32 v27, 0x400000, v13
	v_add_f32_e32 v23, v23, v24
	v_add3_u32 v24, v25, v21, 0x7fff
	v_or_b32_e32 v25, 0x400000, v21
	v_add3_u32 v22, v22, v13, 0x7fff
	v_lshlrev_b32_e32 v14, 16, v14
	v_and_b32_e32 v28, 0xffff0000, v16
	v_lshlrev_b32_e32 v16, 16, v16
	v_cndmask_b32_e32 v21, v24, v25, vcc_lo
	v_cmp_u_f32_e32 vcc_lo, v13, v13
	v_bfe_u32 v24, v26, 16, 1
	v_mul_f32_e32 v14, v42, v14
	v_or_b32_e32 v25, 0x400000, v26
	v_mul_f32_e32 v16, v43, v16
	v_cndmask_b32_e32 v13, v22, v27, vcc_lo
	v_and_b32_e32 v22, 0xffff0000, v15
	v_add3_u32 v24, v24, v26, 0x7fff
	v_lshlrev_b32_e32 v15, 16, v15
	v_bfe_u32 v27, v14, 16, 1
	v_cmp_u_f32_e32 vcc_lo, v26, v26
	v_mul_f32_e32 v22, v34, v22
	v_or_b32_e32 v26, 0x400000, v14
	v_mul_f32_e32 v15, v44, v15
	v_and_b32_e32 v13, 0xffff0000, v13
	v_cndmask_b32_e32 v24, v24, v25, vcc_lo
	v_add3_u32 v25, v27, v14, 0x7fff
	v_bfe_u32 v27, v22, 16, 1
	v_cmp_u_f32_e32 vcc_lo, v14, v14
	v_bfe_u32 v29, v15, 16, 1
	v_and_b32_e32 v21, 0xffff0000, v21
	v_and_b32_e32 v24, 0xffff0000, v24
	v_add_f32_e32 v0, v23, v0
	v_cndmask_b32_e32 v14, v25, v26, vcc_lo
	v_add3_u32 v25, v27, v22, 0x7fff
	v_mul_f32_e32 v26, v36, v28
	v_or_b32_e32 v27, 0x400000, v22
	v_cmp_u_f32_e32 vcc_lo, v22, v22
	v_add3_u32 v28, v29, v15, 0x7fff
	v_or_b32_e32 v29, 0x400000, v15
	v_bfe_u32 v30, v26, 16, 1
	v_and_b32_e32 v14, 0xffff0000, v14
	v_cndmask_b32_e32 v22, v25, v27, vcc_lo
	v_cmp_u_f32_e32 vcc_lo, v15, v15
	v_or_b32_e32 v27, 0x400000, v26
	v_add3_u32 v25, v30, v26, 0x7fff
	v_add_f32_e32 v13, v13, v21
	v_add_f32_e32 v14, v14, v24
	v_cndmask_b32_e32 v15, v28, v29, vcc_lo
	v_bfe_u32 v28, v16, 16, 1
	v_cmp_u_f32_e32 vcc_lo, v26, v26
	v_and_b32_e32 v21, 0xffff0000, v22
	v_add_f32_e32 v13, v14, v13
	v_and_b32_e32 v15, 0xffff0000, v15
	v_add3_u32 v26, v28, v16, 0x7fff
	v_cndmask_b32_e32 v25, v25, v27, vcc_lo
	v_or_b32_e32 v27, 0x400000, v16
	v_cmp_u_f32_e32 vcc_lo, v16, v16
	v_and_b32_e32 v14, 0xffff0000, v9
	v_add_f32_e32 v15, v15, v21
	v_lshlrev_b32_e32 v9, 16, v9
	v_and_b32_e32 v21, 0xffff0000, v25
	v_cndmask_b32_e32 v16, v26, v27, vcc_lo
	v_mul_f32_e32 v14, v33, v14
	v_add_f32_e32 v72, v72, v0
	v_mul_f32_e32 v22, v41, v9
	v_add_f32_e32 v9, v15, v13
	v_and_b32_e32 v16, 0xffff0000, v16
	v_bfe_u32 v15, v14, 16, 1
	v_cmp_u_f32_e32 vcc_lo, v14, v14
	v_bfe_u32 v0, v22, 16, 1
	v_and_b32_e32 v23, 0xffff0000, v12
	v_add_f32_e32 v13, v16, v21
	v_and_b32_e32 v16, 0xffff0000, v10
	v_lshlrev_b32_e32 v10, 16, v10
	v_add3_u32 v0, v0, v22, 0x7fff
	v_or_b32_e32 v21, 0x400000, v22
	v_add_f32_e32 v9, v13, v9
	v_add3_u32 v13, v15, v14, 0x7fff
	v_or_b32_e32 v15, 0x400000, v14
	v_mul_f32_e32 v16, v35, v16
	v_mul_f32_e32 v10, v42, v10
	v_lshlrev_b32_e32 v12, 16, v12
	v_add_f32_e32 v73, v73, v9
	v_cndmask_b32_e32 v13, v13, v15, vcc_lo
	v_bfe_u32 v14, v16, 16, 1
	v_cmp_u_f32_e32 vcc_lo, v22, v22
	v_and_b32_e32 v15, 0xffff0000, v11
	v_lshlrev_b32_e32 v11, 16, v11
	v_bfe_u32 v22, v10, 16, 1
	v_add3_u32 v14, v14, v16, 0x7fff
	v_cndmask_b32_e32 v0, v0, v21, vcc_lo
	v_or_b32_e32 v21, 0x400000, v16
	v_mul_f32_e32 v15, v34, v15
	v_cmp_u_f32_e32 vcc_lo, v16, v16
	v_mul_f32_e32 v11, v44, v11
	v_add3_u32 v16, v22, v10, 0x7fff
	v_mul_f32_e32 v12, v43, v12
	v_bfe_u32 v22, v15, 16, 1
	v_cndmask_b32_e32 v14, v14, v21, vcc_lo
	v_or_b32_e32 v21, 0x400000, v10
	v_cmp_u_f32_e32 vcc_lo, v10, v10
	v_bfe_u32 v24, v11, 16, 1
	v_and_b32_e32 v0, 0xffff0000, v0
	v_and_b32_e32 v13, 0xffff0000, v13
	;; [unrolled: 1-line block ×3, first 2 shown]
	v_cndmask_b32_e32 v10, v16, v21, vcc_lo
	v_add3_u32 v16, v22, v15, 0x7fff
	v_mul_f32_e32 v21, v36, v23
	v_or_b32_e32 v22, 0x400000, v15
	v_cmp_u_f32_e32 vcc_lo, v15, v15
	v_add3_u32 v23, v24, v11, 0x7fff
	v_or_b32_e32 v24, 0x400000, v11
	v_bfe_u32 v25, v21, 16, 1
	v_and_b32_e32 v10, 0xffff0000, v10
	v_cndmask_b32_e32 v15, v16, v22, vcc_lo
	v_cmp_u_f32_e32 vcc_lo, v11, v11
	v_or_b32_e32 v22, 0x400000, v21
	v_add3_u32 v16, v25, v21, 0x7fff
	v_add_f32_e32 v0, v0, v13
	v_add_f32_e32 v10, v10, v14
	v_cndmask_b32_e32 v11, v23, v24, vcc_lo
	v_bfe_u32 v23, v12, 16, 1
	v_cmp_u_f32_e32 vcc_lo, v21, v21
	v_and_b32_e32 v13, 0xffff0000, v15
	v_and_b32_e32 v14, 0xffff0000, v5
	;; [unrolled: 1-line block ×3, first 2 shown]
	v_add3_u32 v21, v23, v12, 0x7fff
	v_cndmask_b32_e32 v16, v16, v22, vcc_lo
	v_or_b32_e32 v22, 0x400000, v12
	v_cmp_u_f32_e32 vcc_lo, v12, v12
	v_lshlrev_b32_e32 v5, 16, v5
	v_add_f32_e32 v0, v10, v0
	v_add_f32_e32 v10, v11, v13
	v_mul_f32_e32 v11, v33, v14
	v_cndmask_b32_e32 v12, v21, v22, vcc_lo
	v_mul_f32_e32 v13, v41, v5
	v_and_b32_e32 v14, 0xffff0000, v16
	v_and_b32_e32 v15, 0xffff0000, v6
	v_bfe_u32 v16, v11, 16, 1
	v_and_b32_e32 v12, 0xffff0000, v12
	v_add_f32_e32 v5, v10, v0
	v_bfe_u32 v0, v13, 16, 1
	v_cmp_u_f32_e32 vcc_lo, v11, v11
	v_lshlrev_b32_e32 v6, 16, v6
	v_add_f32_e32 v10, v12, v14
	v_mul_f32_e32 v12, v35, v15
	v_add3_u32 v14, v16, v11, 0x7fff
	v_or_b32_e32 v15, 0x400000, v11
	v_add3_u32 v0, v0, v13, 0x7fff
	v_or_b32_e32 v16, 0x400000, v13
	v_bfe_u32 v21, v12, 16, 1
	v_mul_f32_e32 v6, v42, v6
	v_cndmask_b32_e32 v11, v14, v15, vcc_lo
	v_cmp_u_f32_e32 vcc_lo, v13, v13
	v_or_b32_e32 v14, 0x400000, v12
	v_add3_u32 v13, v21, v12, 0x7fff
	v_and_b32_e32 v15, 0xffff0000, v7
	v_lshlrev_b32_e32 v7, 16, v7
	v_cndmask_b32_e32 v0, v0, v16, vcc_lo
	v_cmp_u_f32_e32 vcc_lo, v12, v12
	v_bfe_u32 v16, v6, 16, 1
	v_and_b32_e32 v11, 0xffff0000, v11
	v_mul_f32_e32 v7, v44, v7
	v_and_b32_e32 v0, 0xffff0000, v0
	v_cndmask_b32_e32 v12, v13, v14, vcc_lo
	v_mul_f32_e32 v13, v34, v15
	v_add3_u32 v14, v16, v6, 0x7fff
	v_or_b32_e32 v15, 0x400000, v6
	v_and_b32_e32 v16, 0xffff0000, v8
	v_cmp_u_f32_e32 vcc_lo, v6, v6
	v_bfe_u32 v21, v13, 16, 1
	v_bfe_u32 v22, v7, 16, 1
	v_lshlrev_b32_e32 v8, 16, v8
	v_and_b32_e32 v12, 0xffff0000, v12
	v_cndmask_b32_e32 v6, v14, v15, vcc_lo
	v_mul_f32_e32 v14, v36, v16
	v_add3_u32 v15, v21, v13, 0x7fff
	v_or_b32_e32 v16, 0x400000, v13
	v_cmp_u_f32_e32 vcc_lo, v13, v13
	v_add3_u32 v21, v22, v7, 0x7fff
	v_or_b32_e32 v22, 0x400000, v7
	v_bfe_u32 v23, v14, 16, 1
	v_and_b32_e32 v6, 0xffff0000, v6
	v_cndmask_b32_e32 v13, v15, v16, vcc_lo
	v_cmp_u_f32_e32 vcc_lo, v7, v7
	v_or_b32_e32 v16, 0x400000, v14
	v_add3_u32 v15, v23, v14, 0x7fff
	v_mul_f32_e32 v8, v43, v8
	v_add_f32_e32 v0, v0, v11
	v_cndmask_b32_e32 v7, v21, v22, vcc_lo
	v_cmp_u_f32_e32 vcc_lo, v14, v14
	v_add_f32_e32 v6, v6, v12
	v_and_b32_e32 v11, 0xffff0000, v1
	v_and_b32_e32 v12, 0xffff0000, v13
	;; [unrolled: 1-line block ×3, first 2 shown]
	v_cndmask_b32_e32 v14, v15, v16, vcc_lo
	v_bfe_u32 v15, v8, 16, 1
	v_add_f32_e32 v0, v6, v0
	v_mul_f32_e32 v6, v33, v11
	v_add_f32_e32 v7, v7, v12
	v_lshlrev_b32_e32 v1, 16, v1
	v_add3_u32 v13, v15, v8, 0x7fff
	v_or_b32_e32 v15, 0x400000, v8
	v_cmp_u_f32_e32 vcc_lo, v8, v8
	v_bfe_u32 v11, v6, 16, 1
	v_add_f32_e32 v0, v7, v0
	v_and_b32_e32 v7, 0xffff0000, v2
	v_mul_f32_e32 v1, v41, v1
	v_cndmask_b32_e32 v8, v13, v15, vcc_lo
	v_add3_u32 v11, v11, v6, 0x7fff
	v_or_b32_e32 v12, 0x400000, v6
	v_mul_f32_e32 v7, v35, v7
	v_and_b32_e32 v13, 0xffff0000, v14
	v_bfe_u32 v14, v1, 16, 1
	v_cmp_u_f32_e32 vcc_lo, v6, v6
	v_lshlrev_b32_e32 v2, 16, v2
	v_or_b32_e32 v15, 0x400000, v1
	v_or_b32_e32 v16, 0x400000, v7
	v_and_b32_e32 v8, 0xffff0000, v8
	v_cndmask_b32_e32 v6, v11, v12, vcc_lo
	v_bfe_u32 v11, v7, 16, 1
	v_add3_u32 v12, v14, v1, 0x7fff
	v_and_b32_e32 v14, 0xffff0000, v3
	v_mul_f32_e32 v2, v42, v2
	v_cmp_u_f32_e32 vcc_lo, v1, v1
	v_add3_u32 v11, v11, v7, 0x7fff
	v_lshlrev_b32_e32 v3, 16, v3
	v_mul_f32_e32 v14, v34, v14
	v_and_b32_e32 v6, 0xffff0000, v6
	v_cndmask_b32_e32 v1, v12, v15, vcc_lo
	v_bfe_u32 v12, v2, 16, 1
	v_cmp_u_f32_e32 vcc_lo, v7, v7
	v_and_b32_e32 v15, 0xffff0000, v4
	v_mul_f32_e32 v3, v44, v3
	v_or_b32_e32 v21, 0x400000, v14
	v_add3_u32 v12, v12, v2, 0x7fff
	v_cndmask_b32_e32 v7, v11, v16, vcc_lo
	v_bfe_u32 v11, v14, 16, 1
	v_or_b32_e32 v16, 0x400000, v2
	v_cmp_u_f32_e32 vcc_lo, v2, v2
	v_mul_f32_e32 v15, v36, v15
	v_lshlrev_b32_e32 v4, 16, v4
	v_add3_u32 v11, v11, v14, 0x7fff
	v_and_b32_e32 v1, 0xffff0000, v1
	v_cndmask_b32_e32 v2, v12, v16, vcc_lo
	v_bfe_u32 v12, v3, 16, 1
	v_cmp_u_f32_e32 vcc_lo, v14, v14
	v_bfe_u32 v16, v15, 16, 1
	v_or_b32_e32 v14, 0x400000, v3
	v_mul_f32_e32 v4, v43, v4
	v_add3_u32 v12, v12, v3, 0x7fff
	v_cndmask_b32_e32 v11, v11, v21, vcc_lo
	v_cmp_u_f32_e32 vcc_lo, v3, v3
	v_add3_u32 v16, v16, v15, 0x7fff
	v_or_b32_e32 v21, 0x400000, v15
	v_and_b32_e32 v2, 0xffff0000, v2
	v_and_b32_e32 v7, 0xffff0000, v7
	v_cndmask_b32_e32 v3, v12, v14, vcc_lo
	v_cmp_u_f32_e32 vcc_lo, v15, v15
	v_bfe_u32 v14, v4, 16, 1
	v_add_f32_e32 v1, v1, v6
	v_add_f32_e32 v2, v2, v7
	v_and_b32_e32 v3, 0xffff0000, v3
	v_cndmask_b32_e32 v12, v16, v21, vcc_lo
	s_waitcnt vmcnt(0)
	v_lshlrev_b32_e32 v16, 16, v17
	v_and_b32_e32 v6, 0xffff0000, v11
	v_and_b32_e32 v11, 0xffff0000, v17
	v_add3_u32 v14, v14, v4, 0x7fff
	v_or_b32_e32 v15, 0x400000, v4
	v_mul_f32_e32 v7, v41, v16
	v_cmp_u_f32_e32 vcc_lo, v4, v4
	v_add_f32_e32 v1, v2, v1
	v_add_f32_e32 v3, v3, v6
	v_mul_f32_e32 v6, v33, v11
	v_bfe_u32 v2, v7, 16, 1
	v_lshlrev_b32_e32 v11, 16, v18
	v_cndmask_b32_e32 v4, v14, v15, vcc_lo
	v_or_b32_e32 v14, 0x400000, v7
	v_bfe_u32 v15, v6, 16, 1
	v_add3_u32 v2, v2, v7, 0x7fff
	v_mul_f32_e32 v11, v42, v11
	v_and_b32_e32 v16, 0xffff0000, v18
	v_cmp_u_f32_e32 vcc_lo, v7, v7
	v_add3_u32 v7, v15, v6, 0x7fff
	v_lshlrev_b32_e32 v17, 16, v19
	v_bfe_u32 v15, v11, 16, 1
	v_mul_f32_e32 v16, v35, v16
	v_cndmask_b32_e32 v2, v2, v14, vcc_lo
	v_or_b32_e32 v14, 0x400000, v6
	v_cmp_u_f32_e32 vcc_lo, v6, v6
	v_mul_f32_e32 v17, v44, v17
	v_and_b32_e32 v18, 0xffff0000, v19
	v_lshlrev_b32_e32 v19, 16, v20
	v_and_b32_e32 v20, 0xffff0000, v20
	v_cndmask_b32_e32 v6, v7, v14, vcc_lo
	v_add3_u32 v7, v15, v11, 0x7fff
	v_or_b32_e32 v14, 0x400000, v11
	v_bfe_u32 v15, v16, 16, 1
	v_cmp_u_f32_e32 vcc_lo, v11, v11
	v_mul_f32_e32 v18, v34, v18
	v_and_b32_e32 v6, 0xffff0000, v6
	v_and_b32_e32 v2, 0xffff0000, v2
	v_add3_u32 v11, v15, v16, 0x7fff
	v_cndmask_b32_e32 v7, v7, v14, vcc_lo
	v_or_b32_e32 v14, 0x400000, v16
	v_bfe_u32 v15, v17, 16, 1
	v_cmp_u_f32_e32 vcc_lo, v16, v16
	v_mul_f32_e32 v16, v43, v19
	v_mul_f32_e32 v19, v36, v20
	v_or_b32_e32 v20, 0x400000, v17
	v_add3_u32 v15, v15, v17, 0x7fff
	v_cndmask_b32_e32 v11, v11, v14, vcc_lo
	v_bfe_u32 v14, v18, 16, 1
	v_cmp_u_f32_e32 vcc_lo, v17, v17
	v_or_b32_e32 v21, 0x400000, v18
	v_bfe_u32 v23, v19, 16, 1
	v_bfe_u32 v22, v16, 16, 1
	v_add3_u32 v14, v14, v18, 0x7fff
	v_cndmask_b32_e32 v15, v15, v20, vcc_lo
	v_cmp_u_f32_e32 vcc_lo, v18, v18
	v_add3_u32 v18, v23, v19, 0x7fff
	v_or_b32_e32 v20, 0x400000, v19
	v_add3_u32 v17, v22, v16, 0x7fff
	v_and_b32_e32 v11, 0xffff0000, v11
	v_cndmask_b32_e32 v14, v14, v21, vcc_lo
	v_cmp_u_f32_e32 vcc_lo, v19, v19
	v_and_b32_e32 v7, 0xffff0000, v7
	v_or_b32_e32 v21, 0x400000, v16
	v_add_f32_e32 v2, v2, v6
	v_and_b32_e32 v4, 0xffff0000, v4
	v_cndmask_b32_e32 v18, v18, v20, vcc_lo
	v_cmp_u_f32_e32 vcc_lo, v16, v16
	v_add_f32_e32 v6, v7, v11
	v_and_b32_e32 v7, 0xffff0000, v14
	v_and_b32_e32 v11, 0xffff0000, v15
	;; [unrolled: 1-line block ×3, first 2 shown]
	v_cndmask_b32_e32 v14, v17, v21, vcc_lo
	v_add_f32_e32 v2, v6, v2
	v_add_f32_e32 v8, v8, v13
	;; [unrolled: 1-line block ×3, first 2 shown]
	v_and_b32_e32 v7, 0xffff0000, v18
	v_and_b32_e32 v11, 0xffff0000, v14
	v_add_f32_e32 v1, v3, v1
	v_add_f32_e32 v3, v4, v12
	;; [unrolled: 1-line block ×7, first 2 shown]
	v_cmp_le_i32_e32 vcc_lo, s11, v57
	v_add_f32_e32 v74, v74, v5
	v_add_f32_e32 v2, v4, v2
	;; [unrolled: 1-line block ×4, first 2 shown]
	s_or_b32 s9, vcc_lo, s9
	v_add_f32_e32 v65, v65, v2
	s_andn2_b32 exec_lo, exec_lo, s9
	s_cbranch_execz .LBB169_57
.LBB169_33:                             ; =>This Inner Loop Header: Depth=1
	global_load_dword v0, v[58:59], off
	v_cmp_eq_u32_e64 s0, s5, v57
	v_add_nc_u32_e32 v88, 1, v80
	v_or_b32_e32 v86, 3, v80
	v_or_b32_e32 v87, 2, v80
	;; [unrolled: 1-line block ×6, first 2 shown]
	s_waitcnt vmcnt(0)
	v_mad_i64_i32 v[1:2], null, v0, s6, 0
	v_lshlrev_b64 v[1:2], 1, v[1:2]
	v_add_co_u32 v17, vcc_lo, v78, v1
	v_add_co_ci_u32_e64 v18, null, v79, v2, vcc_lo
	global_load_dwordx4 v[1:4], v[17:18], off
	ds_read2_b64 v[41:44], v81 offset1:1
	ds_read2_b64 v[33:36], v81 offset0:2 offset1:3
	s_and_saveexec_b32 s13, s0
	s_cbranch_execnz .LBB169_47
; %bb.34:                               ;   in Loop: Header=BB169_33 Depth=1
	s_or_b32 exec_lo, exec_lo, s13
	global_load_dwordx4 v[5:8], v[17:18], off offset:512
	s_and_saveexec_b32 s13, s0
	s_cbranch_execnz .LBB169_48
.LBB169_35:                             ;   in Loop: Header=BB169_33 Depth=1
	s_or_b32 exec_lo, exec_lo, s13
	global_load_dwordx4 v[9:12], v[17:18], off offset:1024
	s_and_saveexec_b32 s13, s0
	s_cbranch_execnz .LBB169_49
.LBB169_36:                             ;   in Loop: Header=BB169_33 Depth=1
	s_or_b32 exec_lo, exec_lo, s13
	global_load_dwordx4 v[13:16], v[17:18], off offset:1536
	s_and_saveexec_b32 s13, s0
	s_cbranch_execz .LBB169_38
.LBB169_37:                             ;   in Loop: Header=BB169_33 Depth=1
	v_cmp_gt_i32_e64 s1, s23, v80
	v_cmp_gt_i32_e32 vcc_lo, s12, v88
	v_cmp_gt_i32_e64 s2, s23, v87
	s_waitcnt vmcnt(0)
	v_cndmask_b32_e64 v0, 0, v13, s1
	v_cmp_gt_i32_e64 s1, s12, v86
	v_cndmask_b32_sdwa v13, v77, v13, vcc_lo dst_sel:DWORD dst_unused:UNUSED_PAD src0_sel:DWORD src1_sel:WORD_1
	v_cndmask_b32_e64 v19, 0, v14, s2
	v_cmp_gt_i32_e64 s2, s12, v85
	s_mov_b32 vcc_lo, s1
	v_cmp_gt_i32_e64 s1, s12, v83
	v_cndmask_b32_sdwa v14, v77, v14, vcc_lo dst_sel:DWORD dst_unused:UNUSED_PAD src0_sel:DWORD src1_sel:WORD_1
	v_cmp_gt_i32_e32 vcc_lo, s23, v84
	v_perm_b32 v13, v13, v0, 0x5040100
	v_perm_b32 v14, v14, v19, 0x5040100
	v_cndmask_b32_e32 v20, 0, v15, vcc_lo
	s_mov_b32 vcc_lo, s2
	v_cndmask_b32_sdwa v15, v77, v15, vcc_lo dst_sel:DWORD dst_unused:UNUSED_PAD src0_sel:DWORD src1_sel:WORD_1
	v_cmp_gt_i32_e32 vcc_lo, s23, v82
	v_perm_b32 v15, v15, v20, 0x5040100
	v_cndmask_b32_e32 v21, 0, v16, vcc_lo
	s_mov_b32 vcc_lo, s1
	v_cndmask_b32_sdwa v16, v77, v16, vcc_lo dst_sel:DWORD dst_unused:UNUSED_PAD src0_sel:DWORD src1_sel:WORD_1
	v_perm_b32 v16, v16, v21, 0x5040100
.LBB169_38:                             ;   in Loop: Header=BB169_33 Depth=1
	s_or_b32 exec_lo, exec_lo, s13
	v_add_co_u32 v19, vcc_lo, 0x800, v17
	v_add_co_ci_u32_e64 v20, null, 0, v18, vcc_lo
	global_load_dwordx4 v[21:24], v[19:20], off
	s_and_saveexec_b32 s13, s0
	s_cbranch_execnz .LBB169_50
; %bb.39:                               ;   in Loop: Header=BB169_33 Depth=1
	s_or_b32 exec_lo, exec_lo, s13
	global_load_dwordx4 v[25:28], v[19:20], off offset:512
	s_and_saveexec_b32 s13, s0
	s_cbranch_execnz .LBB169_51
.LBB169_40:                             ;   in Loop: Header=BB169_33 Depth=1
	s_or_b32 exec_lo, exec_lo, s13
	global_load_dwordx4 v[29:32], v[19:20], off offset:1024
	s_and_saveexec_b32 s13, s0
	s_cbranch_execnz .LBB169_52
.LBB169_41:                             ;   in Loop: Header=BB169_33 Depth=1
	s_or_b32 exec_lo, exec_lo, s13
	global_load_dwordx4 v[37:40], v[19:20], off offset:1536
	s_and_saveexec_b32 s13, s0
	s_cbranch_execz .LBB169_43
.LBB169_42:                             ;   in Loop: Header=BB169_33 Depth=1
	v_cmp_gt_i32_e64 s1, s23, v80
	v_cmp_gt_i32_e32 vcc_lo, s12, v88
	v_cmp_gt_i32_e64 s2, s23, v87
	s_waitcnt vmcnt(0)
	v_cndmask_b32_e64 v0, 0, v37, s1
	v_cmp_gt_i32_e64 s1, s12, v86
	v_cndmask_b32_sdwa v20, v77, v37, vcc_lo dst_sel:DWORD dst_unused:UNUSED_PAD src0_sel:DWORD src1_sel:WORD_1
	v_cndmask_b32_e64 v19, 0, v38, s2
	v_cmp_gt_i32_e64 s2, s12, v85
	s_mov_b32 vcc_lo, s1
	v_cmp_gt_i32_e64 s1, s12, v83
	v_cndmask_b32_sdwa v38, v77, v38, vcc_lo dst_sel:DWORD dst_unused:UNUSED_PAD src0_sel:DWORD src1_sel:WORD_1
	v_cmp_gt_i32_e32 vcc_lo, s23, v84
	v_perm_b32 v37, v20, v0, 0x5040100
	v_perm_b32 v38, v38, v19, 0x5040100
	v_cndmask_b32_e32 v45, 0, v39, vcc_lo
	s_mov_b32 vcc_lo, s2
	v_cndmask_b32_sdwa v39, v77, v39, vcc_lo dst_sel:DWORD dst_unused:UNUSED_PAD src0_sel:DWORD src1_sel:WORD_1
	v_cmp_gt_i32_e32 vcc_lo, s23, v82
	v_perm_b32 v39, v39, v45, 0x5040100
	v_cndmask_b32_e32 v46, 0, v40, vcc_lo
	s_mov_b32 vcc_lo, s1
	v_cndmask_b32_sdwa v40, v77, v40, vcc_lo dst_sel:DWORD dst_unused:UNUSED_PAD src0_sel:DWORD src1_sel:WORD_1
	v_perm_b32 v40, v40, v46, 0x5040100
.LBB169_43:                             ;   in Loop: Header=BB169_33 Depth=1
	s_or_b32 exec_lo, exec_lo, s13
	v_add_co_u32 v17, vcc_lo, 0x1000, v17
	v_add_co_ci_u32_e64 v18, null, 0, v18, vcc_lo
	global_load_dwordx4 v[45:48], v[17:18], off
	s_and_saveexec_b32 s13, s0
	s_cbranch_execnz .LBB169_53
; %bb.44:                               ;   in Loop: Header=BB169_33 Depth=1
	s_or_b32 exec_lo, exec_lo, s13
	global_load_dwordx4 v[49:52], v[17:18], off offset:512
	s_and_saveexec_b32 s13, s0
	s_cbranch_execnz .LBB169_54
.LBB169_45:                             ;   in Loop: Header=BB169_33 Depth=1
	s_or_b32 exec_lo, exec_lo, s13
	global_load_dwordx4 v[53:56], v[17:18], off offset:1024
	s_and_saveexec_b32 s13, s0
	s_cbranch_execnz .LBB169_55
.LBB169_46:                             ;   in Loop: Header=BB169_33 Depth=1
	s_or_b32 exec_lo, exec_lo, s13
	global_load_dwordx4 v[17:20], v[17:18], off offset:1536
	s_and_saveexec_b32 s2, s0
	s_cbranch_execz .LBB169_32
	s_branch .LBB169_56
.LBB169_47:                             ;   in Loop: Header=BB169_33 Depth=1
	v_cmp_gt_i32_e64 s1, s23, v80
	v_cmp_gt_i32_e32 vcc_lo, s12, v88
	v_cmp_gt_i32_e64 s2, s23, v87
	s_waitcnt vmcnt(0)
	v_cndmask_b32_e64 v0, 0, v1, s1
	v_cmp_gt_i32_e64 s1, s12, v86
	v_cndmask_b32_sdwa v1, v77, v1, vcc_lo dst_sel:DWORD dst_unused:UNUSED_PAD src0_sel:DWORD src1_sel:WORD_1
	v_cndmask_b32_e64 v5, 0, v2, s2
	v_cmp_gt_i32_e64 s2, s12, v85
	s_mov_b32 vcc_lo, s1
	v_cmp_gt_i32_e64 s1, s12, v83
	v_cndmask_b32_sdwa v2, v77, v2, vcc_lo dst_sel:DWORD dst_unused:UNUSED_PAD src0_sel:DWORD src1_sel:WORD_1
	v_cmp_gt_i32_e32 vcc_lo, s23, v84
	v_perm_b32 v1, v1, v0, 0x5040100
	v_perm_b32 v2, v2, v5, 0x5040100
	v_cndmask_b32_e32 v6, 0, v3, vcc_lo
	s_mov_b32 vcc_lo, s2
	v_cndmask_b32_sdwa v3, v77, v3, vcc_lo dst_sel:DWORD dst_unused:UNUSED_PAD src0_sel:DWORD src1_sel:WORD_1
	v_cmp_gt_i32_e32 vcc_lo, s23, v82
	v_perm_b32 v3, v3, v6, 0x5040100
	v_cndmask_b32_e32 v7, 0, v4, vcc_lo
	s_mov_b32 vcc_lo, s1
	v_cndmask_b32_sdwa v4, v77, v4, vcc_lo dst_sel:DWORD dst_unused:UNUSED_PAD src0_sel:DWORD src1_sel:WORD_1
	v_perm_b32 v4, v4, v7, 0x5040100
	s_or_b32 exec_lo, exec_lo, s13
	global_load_dwordx4 v[5:8], v[17:18], off offset:512
	s_and_saveexec_b32 s13, s0
	s_cbranch_execz .LBB169_35
.LBB169_48:                             ;   in Loop: Header=BB169_33 Depth=1
	v_cmp_gt_i32_e64 s1, s23, v80
	v_cmp_gt_i32_e32 vcc_lo, s12, v88
	v_cmp_gt_i32_e64 s2, s23, v87
	s_waitcnt vmcnt(0)
	v_cndmask_b32_e64 v0, 0, v5, s1
	v_cmp_gt_i32_e64 s1, s12, v86
	v_cndmask_b32_sdwa v5, v77, v5, vcc_lo dst_sel:DWORD dst_unused:UNUSED_PAD src0_sel:DWORD src1_sel:WORD_1
	v_cndmask_b32_e64 v9, 0, v6, s2
	v_cmp_gt_i32_e64 s2, s12, v85
	s_mov_b32 vcc_lo, s1
	v_cmp_gt_i32_e64 s1, s12, v83
	v_cndmask_b32_sdwa v6, v77, v6, vcc_lo dst_sel:DWORD dst_unused:UNUSED_PAD src0_sel:DWORD src1_sel:WORD_1
	v_cmp_gt_i32_e32 vcc_lo, s23, v84
	v_perm_b32 v5, v5, v0, 0x5040100
	v_perm_b32 v6, v6, v9, 0x5040100
	v_cndmask_b32_e32 v10, 0, v7, vcc_lo
	s_mov_b32 vcc_lo, s2
	v_cndmask_b32_sdwa v7, v77, v7, vcc_lo dst_sel:DWORD dst_unused:UNUSED_PAD src0_sel:DWORD src1_sel:WORD_1
	v_cmp_gt_i32_e32 vcc_lo, s23, v82
	v_perm_b32 v7, v7, v10, 0x5040100
	v_cndmask_b32_e32 v11, 0, v8, vcc_lo
	s_mov_b32 vcc_lo, s1
	v_cndmask_b32_sdwa v8, v77, v8, vcc_lo dst_sel:DWORD dst_unused:UNUSED_PAD src0_sel:DWORD src1_sel:WORD_1
	v_perm_b32 v8, v8, v11, 0x5040100
	s_or_b32 exec_lo, exec_lo, s13
	global_load_dwordx4 v[9:12], v[17:18], off offset:1024
	s_and_saveexec_b32 s13, s0
	s_cbranch_execz .LBB169_36
.LBB169_49:                             ;   in Loop: Header=BB169_33 Depth=1
	v_cmp_gt_i32_e64 s1, s23, v80
	v_cmp_gt_i32_e32 vcc_lo, s12, v88
	v_cmp_gt_i32_e64 s2, s23, v87
	s_waitcnt vmcnt(0)
	v_cndmask_b32_e64 v0, 0, v9, s1
	v_cmp_gt_i32_e64 s1, s12, v86
	v_cndmask_b32_sdwa v9, v77, v9, vcc_lo dst_sel:DWORD dst_unused:UNUSED_PAD src0_sel:DWORD src1_sel:WORD_1
	v_cndmask_b32_e64 v13, 0, v10, s2
	v_cmp_gt_i32_e64 s2, s12, v85
	s_mov_b32 vcc_lo, s1
	v_cmp_gt_i32_e64 s1, s12, v83
	v_cndmask_b32_sdwa v10, v77, v10, vcc_lo dst_sel:DWORD dst_unused:UNUSED_PAD src0_sel:DWORD src1_sel:WORD_1
	v_cmp_gt_i32_e32 vcc_lo, s23, v84
	v_perm_b32 v9, v9, v0, 0x5040100
	v_perm_b32 v10, v10, v13, 0x5040100
	v_cndmask_b32_e32 v14, 0, v11, vcc_lo
	s_mov_b32 vcc_lo, s2
	v_cndmask_b32_sdwa v11, v77, v11, vcc_lo dst_sel:DWORD dst_unused:UNUSED_PAD src0_sel:DWORD src1_sel:WORD_1
	v_cmp_gt_i32_e32 vcc_lo, s23, v82
	v_perm_b32 v11, v11, v14, 0x5040100
	v_cndmask_b32_e32 v15, 0, v12, vcc_lo
	s_mov_b32 vcc_lo, s1
	v_cndmask_b32_sdwa v12, v77, v12, vcc_lo dst_sel:DWORD dst_unused:UNUSED_PAD src0_sel:DWORD src1_sel:WORD_1
	v_perm_b32 v12, v12, v15, 0x5040100
	s_or_b32 exec_lo, exec_lo, s13
	global_load_dwordx4 v[13:16], v[17:18], off offset:1536
	s_and_saveexec_b32 s13, s0
	s_cbranch_execnz .LBB169_37
	s_branch .LBB169_38
.LBB169_50:                             ;   in Loop: Header=BB169_33 Depth=1
	v_cmp_gt_i32_e64 s1, s23, v80
	v_cmp_gt_i32_e32 vcc_lo, s12, v88
	v_cmp_gt_i32_e64 s2, s23, v87
	s_waitcnt vmcnt(0)
	v_cndmask_b32_e64 v0, 0, v21, s1
	v_cmp_gt_i32_e64 s1, s12, v86
	v_cndmask_b32_sdwa v21, v77, v21, vcc_lo dst_sel:DWORD dst_unused:UNUSED_PAD src0_sel:DWORD src1_sel:WORD_1
	v_cndmask_b32_e64 v25, 0, v22, s2
	v_cmp_gt_i32_e64 s2, s12, v85
	s_mov_b32 vcc_lo, s1
	v_cmp_gt_i32_e64 s1, s12, v83
	v_cndmask_b32_sdwa v22, v77, v22, vcc_lo dst_sel:DWORD dst_unused:UNUSED_PAD src0_sel:DWORD src1_sel:WORD_1
	v_cmp_gt_i32_e32 vcc_lo, s23, v84
	v_perm_b32 v21, v21, v0, 0x5040100
	v_perm_b32 v22, v22, v25, 0x5040100
	v_cndmask_b32_e32 v26, 0, v23, vcc_lo
	s_mov_b32 vcc_lo, s2
	v_cndmask_b32_sdwa v23, v77, v23, vcc_lo dst_sel:DWORD dst_unused:UNUSED_PAD src0_sel:DWORD src1_sel:WORD_1
	v_cmp_gt_i32_e32 vcc_lo, s23, v82
	v_perm_b32 v23, v23, v26, 0x5040100
	v_cndmask_b32_e32 v27, 0, v24, vcc_lo
	s_mov_b32 vcc_lo, s1
	v_cndmask_b32_sdwa v24, v77, v24, vcc_lo dst_sel:DWORD dst_unused:UNUSED_PAD src0_sel:DWORD src1_sel:WORD_1
	v_perm_b32 v24, v24, v27, 0x5040100
	s_or_b32 exec_lo, exec_lo, s13
	global_load_dwordx4 v[25:28], v[19:20], off offset:512
	s_and_saveexec_b32 s13, s0
	s_cbranch_execz .LBB169_40
.LBB169_51:                             ;   in Loop: Header=BB169_33 Depth=1
	v_cmp_gt_i32_e64 s1, s23, v80
	v_cmp_gt_i32_e32 vcc_lo, s12, v88
	v_cmp_gt_i32_e64 s2, s23, v87
	s_waitcnt vmcnt(0)
	v_cndmask_b32_e64 v0, 0, v25, s1
	v_cmp_gt_i32_e64 s1, s12, v86
	v_cndmask_b32_sdwa v25, v77, v25, vcc_lo dst_sel:DWORD dst_unused:UNUSED_PAD src0_sel:DWORD src1_sel:WORD_1
	v_cndmask_b32_e64 v29, 0, v26, s2
	v_cmp_gt_i32_e64 s2, s12, v85
	s_mov_b32 vcc_lo, s1
	v_cmp_gt_i32_e64 s1, s12, v83
	v_cndmask_b32_sdwa v26, v77, v26, vcc_lo dst_sel:DWORD dst_unused:UNUSED_PAD src0_sel:DWORD src1_sel:WORD_1
	v_cmp_gt_i32_e32 vcc_lo, s23, v84
	v_perm_b32 v25, v25, v0, 0x5040100
	v_perm_b32 v26, v26, v29, 0x5040100
	v_cndmask_b32_e32 v30, 0, v27, vcc_lo
	s_mov_b32 vcc_lo, s2
	v_cndmask_b32_sdwa v27, v77, v27, vcc_lo dst_sel:DWORD dst_unused:UNUSED_PAD src0_sel:DWORD src1_sel:WORD_1
	v_cmp_gt_i32_e32 vcc_lo, s23, v82
	v_perm_b32 v27, v27, v30, 0x5040100
	v_cndmask_b32_e32 v31, 0, v28, vcc_lo
	s_mov_b32 vcc_lo, s1
	v_cndmask_b32_sdwa v28, v77, v28, vcc_lo dst_sel:DWORD dst_unused:UNUSED_PAD src0_sel:DWORD src1_sel:WORD_1
	v_perm_b32 v28, v28, v31, 0x5040100
	s_or_b32 exec_lo, exec_lo, s13
	global_load_dwordx4 v[29:32], v[19:20], off offset:1024
	s_and_saveexec_b32 s13, s0
	s_cbranch_execz .LBB169_41
.LBB169_52:                             ;   in Loop: Header=BB169_33 Depth=1
	v_cmp_gt_i32_e64 s1, s23, v80
	v_cmp_gt_i32_e32 vcc_lo, s12, v88
	v_cmp_gt_i32_e64 s2, s23, v87
	s_waitcnt vmcnt(0)
	v_cndmask_b32_e64 v0, 0, v29, s1
	v_cmp_gt_i32_e64 s1, s12, v86
	v_cndmask_b32_sdwa v29, v77, v29, vcc_lo dst_sel:DWORD dst_unused:UNUSED_PAD src0_sel:DWORD src1_sel:WORD_1
	v_cndmask_b32_e64 v37, 0, v30, s2
	v_cmp_gt_i32_e64 s2, s12, v85
	s_mov_b32 vcc_lo, s1
	v_cmp_gt_i32_e64 s1, s12, v83
	v_cndmask_b32_sdwa v30, v77, v30, vcc_lo dst_sel:DWORD dst_unused:UNUSED_PAD src0_sel:DWORD src1_sel:WORD_1
	v_cmp_gt_i32_e32 vcc_lo, s23, v84
	v_perm_b32 v29, v29, v0, 0x5040100
	v_perm_b32 v30, v30, v37, 0x5040100
	v_cndmask_b32_e32 v38, 0, v31, vcc_lo
	s_mov_b32 vcc_lo, s2
	v_cndmask_b32_sdwa v31, v77, v31, vcc_lo dst_sel:DWORD dst_unused:UNUSED_PAD src0_sel:DWORD src1_sel:WORD_1
	v_cmp_gt_i32_e32 vcc_lo, s23, v82
	v_perm_b32 v31, v31, v38, 0x5040100
	v_cndmask_b32_e32 v39, 0, v32, vcc_lo
	s_mov_b32 vcc_lo, s1
	v_cndmask_b32_sdwa v32, v77, v32, vcc_lo dst_sel:DWORD dst_unused:UNUSED_PAD src0_sel:DWORD src1_sel:WORD_1
	v_perm_b32 v32, v32, v39, 0x5040100
	s_or_b32 exec_lo, exec_lo, s13
	global_load_dwordx4 v[37:40], v[19:20], off offset:1536
	s_and_saveexec_b32 s13, s0
	s_cbranch_execnz .LBB169_42
	s_branch .LBB169_43
.LBB169_53:                             ;   in Loop: Header=BB169_33 Depth=1
	v_cmp_gt_i32_e64 s1, s23, v80
	v_cmp_gt_i32_e32 vcc_lo, s12, v88
	v_cmp_gt_i32_e64 s2, s23, v87
	s_waitcnt vmcnt(0)
	v_cndmask_b32_e64 v0, 0, v45, s1
	v_cmp_gt_i32_e64 s1, s12, v86
	v_cndmask_b32_sdwa v20, v77, v45, vcc_lo dst_sel:DWORD dst_unused:UNUSED_PAD src0_sel:DWORD src1_sel:WORD_1
	v_cndmask_b32_e64 v19, 0, v46, s2
	v_cmp_gt_i32_e64 s2, s12, v85
	s_mov_b32 vcc_lo, s1
	v_cmp_gt_i32_e64 s1, s12, v83
	v_cndmask_b32_sdwa v46, v77, v46, vcc_lo dst_sel:DWORD dst_unused:UNUSED_PAD src0_sel:DWORD src1_sel:WORD_1
	v_cmp_gt_i32_e32 vcc_lo, s23, v84
	v_perm_b32 v45, v20, v0, 0x5040100
	v_perm_b32 v46, v46, v19, 0x5040100
	v_cndmask_b32_e32 v49, 0, v47, vcc_lo
	s_mov_b32 vcc_lo, s2
	v_cndmask_b32_sdwa v47, v77, v47, vcc_lo dst_sel:DWORD dst_unused:UNUSED_PAD src0_sel:DWORD src1_sel:WORD_1
	v_cmp_gt_i32_e32 vcc_lo, s23, v82
	v_perm_b32 v47, v47, v49, 0x5040100
	v_cndmask_b32_e32 v50, 0, v48, vcc_lo
	s_mov_b32 vcc_lo, s1
	v_cndmask_b32_sdwa v48, v77, v48, vcc_lo dst_sel:DWORD dst_unused:UNUSED_PAD src0_sel:DWORD src1_sel:WORD_1
	v_perm_b32 v48, v48, v50, 0x5040100
	s_or_b32 exec_lo, exec_lo, s13
	global_load_dwordx4 v[49:52], v[17:18], off offset:512
	s_and_saveexec_b32 s13, s0
	s_cbranch_execz .LBB169_45
.LBB169_54:                             ;   in Loop: Header=BB169_33 Depth=1
	v_cmp_gt_i32_e64 s1, s23, v80
	v_cmp_gt_i32_e32 vcc_lo, s12, v88
	v_cmp_gt_i32_e64 s2, s23, v87
	s_waitcnt vmcnt(0)
	v_cndmask_b32_e64 v0, 0, v49, s1
	v_cmp_gt_i32_e64 s1, s12, v86
	v_cndmask_b32_sdwa v20, v77, v49, vcc_lo dst_sel:DWORD dst_unused:UNUSED_PAD src0_sel:DWORD src1_sel:WORD_1
	v_cndmask_b32_e64 v19, 0, v50, s2
	v_cmp_gt_i32_e64 s2, s12, v85
	s_mov_b32 vcc_lo, s1
	v_cmp_gt_i32_e64 s1, s12, v83
	v_cndmask_b32_sdwa v50, v77, v50, vcc_lo dst_sel:DWORD dst_unused:UNUSED_PAD src0_sel:DWORD src1_sel:WORD_1
	v_cmp_gt_i32_e32 vcc_lo, s23, v84
	v_perm_b32 v49, v20, v0, 0x5040100
	v_perm_b32 v50, v50, v19, 0x5040100
	v_cndmask_b32_e32 v53, 0, v51, vcc_lo
	s_mov_b32 vcc_lo, s2
	v_cndmask_b32_sdwa v51, v77, v51, vcc_lo dst_sel:DWORD dst_unused:UNUSED_PAD src0_sel:DWORD src1_sel:WORD_1
	v_cmp_gt_i32_e32 vcc_lo, s23, v82
	v_perm_b32 v51, v51, v53, 0x5040100
	v_cndmask_b32_e32 v54, 0, v52, vcc_lo
	s_mov_b32 vcc_lo, s1
	v_cndmask_b32_sdwa v52, v77, v52, vcc_lo dst_sel:DWORD dst_unused:UNUSED_PAD src0_sel:DWORD src1_sel:WORD_1
	v_perm_b32 v52, v52, v54, 0x5040100
	s_or_b32 exec_lo, exec_lo, s13
	global_load_dwordx4 v[53:56], v[17:18], off offset:1024
	s_and_saveexec_b32 s13, s0
	s_cbranch_execz .LBB169_46
.LBB169_55:                             ;   in Loop: Header=BB169_33 Depth=1
	v_cmp_gt_i32_e64 s1, s23, v80
	v_cmp_gt_i32_e32 vcc_lo, s12, v88
	v_cmp_gt_i32_e64 s2, s23, v87
	s_waitcnt vmcnt(0)
	v_cndmask_b32_e64 v0, 0, v53, s1
	v_cmp_gt_i32_e64 s1, s12, v86
	v_cndmask_b32_sdwa v20, v77, v53, vcc_lo dst_sel:DWORD dst_unused:UNUSED_PAD src0_sel:DWORD src1_sel:WORD_1
	v_cndmask_b32_e64 v19, 0, v54, s2
	v_cmp_gt_i32_e64 s2, s12, v85
	s_mov_b32 vcc_lo, s1
	v_cmp_gt_i32_e64 s1, s12, v83
	v_cndmask_b32_sdwa v54, v77, v54, vcc_lo dst_sel:DWORD dst_unused:UNUSED_PAD src0_sel:DWORD src1_sel:WORD_1
	v_cmp_gt_i32_e32 vcc_lo, s23, v84
	v_perm_b32 v53, v20, v0, 0x5040100
	v_perm_b32 v54, v54, v19, 0x5040100
	v_cndmask_b32_e32 v60, 0, v55, vcc_lo
	s_mov_b32 vcc_lo, s2
	v_cndmask_b32_sdwa v55, v77, v55, vcc_lo dst_sel:DWORD dst_unused:UNUSED_PAD src0_sel:DWORD src1_sel:WORD_1
	v_cmp_gt_i32_e32 vcc_lo, s23, v82
	v_perm_b32 v55, v55, v60, 0x5040100
	v_cndmask_b32_e32 v61, 0, v56, vcc_lo
	s_mov_b32 vcc_lo, s1
	v_cndmask_b32_sdwa v56, v77, v56, vcc_lo dst_sel:DWORD dst_unused:UNUSED_PAD src0_sel:DWORD src1_sel:WORD_1
	v_perm_b32 v56, v56, v61, 0x5040100
	s_or_b32 exec_lo, exec_lo, s13
	global_load_dwordx4 v[17:20], v[17:18], off offset:1536
	s_and_saveexec_b32 s2, s0
	s_cbranch_execz .LBB169_32
.LBB169_56:                             ;   in Loop: Header=BB169_33 Depth=1
	v_cmp_gt_i32_e64 s0, s23, v80
	v_cmp_gt_i32_e32 vcc_lo, s12, v88
	v_cmp_gt_i32_e64 s1, s23, v87
	s_waitcnt vmcnt(0)
	v_cndmask_b32_e64 v0, 0, v17, s0
	v_cmp_gt_i32_e64 s0, s12, v86
	v_cndmask_b32_sdwa v17, v77, v17, vcc_lo dst_sel:DWORD dst_unused:UNUSED_PAD src0_sel:DWORD src1_sel:WORD_1
	v_cndmask_b32_e64 v60, 0, v18, s1
	v_cmp_gt_i32_e64 s1, s12, v85
	s_mov_b32 vcc_lo, s0
	v_cmp_gt_i32_e64 s0, s12, v83
	v_cndmask_b32_sdwa v18, v77, v18, vcc_lo dst_sel:DWORD dst_unused:UNUSED_PAD src0_sel:DWORD src1_sel:WORD_1
	v_cmp_gt_i32_e32 vcc_lo, s23, v84
	v_perm_b32 v17, v17, v0, 0x5040100
	v_perm_b32 v18, v18, v60, 0x5040100
	v_cndmask_b32_e32 v61, 0, v19, vcc_lo
	s_mov_b32 vcc_lo, s1
	v_cndmask_b32_sdwa v19, v77, v19, vcc_lo dst_sel:DWORD dst_unused:UNUSED_PAD src0_sel:DWORD src1_sel:WORD_1
	v_cmp_gt_i32_e32 vcc_lo, s23, v82
	v_perm_b32 v19, v19, v61, 0x5040100
	v_cndmask_b32_e32 v62, 0, v20, vcc_lo
	s_mov_b32 vcc_lo, s0
	v_cndmask_b32_sdwa v20, v77, v20, vcc_lo dst_sel:DWORD dst_unused:UNUSED_PAD src0_sel:DWORD src1_sel:WORD_1
	v_perm_b32 v20, v20, v62, 0x5040100
	s_branch .LBB169_32
.LBB169_57:
	s_or_b32 exec_lo, exec_lo, s9
.LBB169_58:
	s_or_b32 exec_lo, exec_lo, s3
	ds_bpermute_b32 v5, v64, v71
	ds_bpermute_b32 v13, v64, v69
	;; [unrolled: 1-line block ×12, first 2 shown]
	s_mov_b32 s0, exec_lo
	s_waitcnt lgkmcnt(0)
	s_waitcnt_vscnt null, 0x0
	s_barrier
	buffer_gl0_inv
	v_add_f32_e32 v7, v71, v5
	v_add_f32_e32 v5, v69, v13
	v_lshrrev_b32_e32 v13, 1, v63
	v_add_f32_e32 v12, v75, v0
	v_add_f32_e32 v11, v76, v1
	;; [unrolled: 1-line block ×8, first 2 shown]
	v_and_b32_e32 v0, 0x3c1, v116
	v_add_f32_e32 v3, v66, v16
	v_add_f32_e32 v2, v65, v17
	v_lshl_add_u32 v14, v13, 2, 0x1a0
	v_mul_u32_u24_e32 v15, 0x300, v118
	v_cmpx_eq_u32_e32 64, v0
	s_cbranch_execz .LBB169_60
; %bb.59:
	v_add_nc_u32_e32 v0, v14, v15
	v_add_nc_u32_e32 v16, 0xfffffa00, v0
	;; [unrolled: 1-line block ×8, first 2 shown]
	ds_write_b32 v16, v12
	ds_write_b32 v17, v11
	;; [unrolled: 1-line block ×7, first 2 shown]
	v_add_nc_u32_e32 v16, 0xfffffbc0, v0
	v_add_nc_u32_e32 v17, 0xfffffc00, v0
	;; [unrolled: 1-line block ×5, first 2 shown]
	ds_write_b32 v16, v5
	ds_write_b32 v17, v4
	ds_write_b32 v18, v1
	ds_write_b32 v19, v3
	ds_write_b32 v0, v2
.LBB169_60:
	s_or_b32 exec_lo, exec_lo, s0
	v_lshlrev_b32_e32 v0, 2, v13
	s_mov_b32 s1, exec_lo
	v_cmp_eq_u32_e32 vcc_lo, 0, v119
	s_waitcnt lgkmcnt(0)
	s_barrier
	v_add3_u32 v13, 0x1a0, v15, v0
	buffer_gl0_inv
	v_cmpx_gt_u32_e32 64, v116
	s_cbranch_execz .LBB169_75
; %bb.61:
	s_and_saveexec_b32 s0, vcc_lo
	s_cbranch_execnz .LBB169_95
; %bb.62:
	s_or_b32 exec_lo, exec_lo, s0
	s_and_saveexec_b32 s0, vcc_lo
	s_cbranch_execnz .LBB169_96
.LBB169_63:
	s_or_b32 exec_lo, exec_lo, s0
	s_and_saveexec_b32 s0, vcc_lo
	s_cbranch_execnz .LBB169_97
.LBB169_64:
	s_or_b32 exec_lo, exec_lo, s0
	s_and_saveexec_b32 s0, vcc_lo
	s_cbranch_execnz .LBB169_98
.LBB169_65:
	s_or_b32 exec_lo, exec_lo, s0
	s_and_saveexec_b32 s0, vcc_lo
	s_cbranch_execnz .LBB169_99
.LBB169_66:
	s_or_b32 exec_lo, exec_lo, s0
	s_and_saveexec_b32 s0, vcc_lo
	s_cbranch_execnz .LBB169_100
.LBB169_67:
	s_or_b32 exec_lo, exec_lo, s0
	s_and_saveexec_b32 s0, vcc_lo
	s_cbranch_execnz .LBB169_101
.LBB169_68:
	s_or_b32 exec_lo, exec_lo, s0
	s_and_saveexec_b32 s0, vcc_lo
	s_cbranch_execnz .LBB169_102
.LBB169_69:
	s_or_b32 exec_lo, exec_lo, s0
	s_and_saveexec_b32 s0, vcc_lo
	s_cbranch_execnz .LBB169_103
.LBB169_70:
	s_or_b32 exec_lo, exec_lo, s0
	s_and_saveexec_b32 s0, vcc_lo
	s_cbranch_execnz .LBB169_104
.LBB169_71:
	s_or_b32 exec_lo, exec_lo, s0
	s_and_saveexec_b32 s0, vcc_lo
	s_cbranch_execnz .LBB169_105
.LBB169_72:
	s_or_b32 exec_lo, exec_lo, s0
	s_and_saveexec_b32 s0, vcc_lo
	s_cbranch_execz .LBB169_74
.LBB169_73:
	ds_read_b32 v0, v13 offset:704
	s_waitcnt lgkmcnt(0)
	v_add_f32_e32 v2, v2, v0
.LBB169_74:
	s_or_b32 exec_lo, exec_lo, s0
.LBB169_75:
	s_or_b32 exec_lo, exec_lo, s1
	v_and_b32_e32 v15, 0x3e1, v116
	s_mov_b32 s1, exec_lo
	s_barrier
	buffer_gl0_inv
	v_cmpx_eq_u32_e32 32, v15
	s_cbranch_execz .LBB169_77
; %bb.76:
	ds_write2_b32 v14, v12, v11 offset1:16
	ds_write2_b32 v14, v10, v9 offset0:32 offset1:48
	ds_write2_b32 v14, v8, v7 offset0:64 offset1:80
	;; [unrolled: 1-line block ×5, first 2 shown]
.LBB169_77:
	s_or_b32 exec_lo, exec_lo, s1
	s_mov_b32 s1, exec_lo
	s_waitcnt lgkmcnt(0)
	s_barrier
	buffer_gl0_inv
	v_cmpx_gt_u32_e32 32, v116
	s_cbranch_execz .LBB169_92
; %bb.78:
	s_and_saveexec_b32 s0, vcc_lo
	s_cbranch_execnz .LBB169_106
; %bb.79:
	s_or_b32 exec_lo, exec_lo, s0
	s_and_saveexec_b32 s0, vcc_lo
	s_cbranch_execnz .LBB169_107
.LBB169_80:
	s_or_b32 exec_lo, exec_lo, s0
	s_and_saveexec_b32 s0, vcc_lo
	s_cbranch_execnz .LBB169_108
.LBB169_81:
	s_or_b32 exec_lo, exec_lo, s0
	s_and_saveexec_b32 s0, vcc_lo
	s_cbranch_execnz .LBB169_109
.LBB169_82:
	s_or_b32 exec_lo, exec_lo, s0
	s_and_saveexec_b32 s0, vcc_lo
	s_cbranch_execnz .LBB169_110
.LBB169_83:
	s_or_b32 exec_lo, exec_lo, s0
	s_and_saveexec_b32 s0, vcc_lo
	s_cbranch_execnz .LBB169_111
.LBB169_84:
	s_or_b32 exec_lo, exec_lo, s0
	s_and_saveexec_b32 s0, vcc_lo
	s_cbranch_execnz .LBB169_112
.LBB169_85:
	s_or_b32 exec_lo, exec_lo, s0
	s_and_saveexec_b32 s0, vcc_lo
	s_cbranch_execnz .LBB169_113
.LBB169_86:
	s_or_b32 exec_lo, exec_lo, s0
	s_and_saveexec_b32 s0, vcc_lo
	s_cbranch_execnz .LBB169_114
.LBB169_87:
	s_or_b32 exec_lo, exec_lo, s0
	s_and_saveexec_b32 s0, vcc_lo
	s_cbranch_execnz .LBB169_115
.LBB169_88:
	s_or_b32 exec_lo, exec_lo, s0
	s_and_saveexec_b32 s0, vcc_lo
	s_cbranch_execnz .LBB169_116
.LBB169_89:
	s_or_b32 exec_lo, exec_lo, s0
	s_and_saveexec_b32 s0, vcc_lo
	s_cbranch_execz .LBB169_91
.LBB169_90:
	ds_read_b32 v0, v13 offset:704
	s_waitcnt lgkmcnt(0)
	v_add_f32_e32 v2, v2, v0
.LBB169_91:
	s_or_b32 exec_lo, exec_lo, s0
.LBB169_92:
	s_or_b32 exec_lo, exec_lo, s1
	s_barrier
	buffer_gl0_inv
	s_mov_b32 s0, exec_lo
	v_cmpx_eq_u32_e32 0, v15
	s_cbranch_execz .LBB169_94
; %bb.93:
	s_mul_i32 s0, s4, 0xc0
	v_bfe_u32 v0, v12, 16, 1
	s_ashr_i32 s1, s0, 31
	s_mul_i32 s2, s7, s10
	s_lshl_b64 s[0:1], s[0:1], 1
	v_or_b32_e32 v13, 0x400000, v12
	s_add_u32 s4, s20, s0
	s_addc_u32 s1, s21, s1
	s_ashr_i32 s3, s2, 31
	v_add3_u32 v0, v0, v12, 0x7fff
	s_lshl_b64 s[2:3], s[2:3], 1
	v_bfe_u32 v15, v11, 16, 1
	v_cmp_u_f32_e32 vcc_lo, v12, v12
	s_mul_i32 s0, s8, 0xc0
	s_add_u32 s2, s4, s2
	s_addc_u32 s3, s1, s3
	s_ashr_i32 s1, s0, 31
	v_lshlrev_b32_e32 v14, 1, v89
	s_lshl_b64 s[0:1], s[0:1], 1
	v_cndmask_b32_e32 v0, v0, v13, vcc_lo
	v_bfe_u32 v12, v10, 16, 1
	v_add3_u32 v13, v15, v11, 0x7fff
	v_or_b32_e32 v15, 0x400000, v11
	v_cmp_u_f32_e32 vcc_lo, v11, v11
	s_add_u32 s0, s2, s0
	s_addc_u32 s1, s3, s1
	global_store_short_d16_hi v14, v0, s[0:1]
	v_add3_u32 v0, v12, v10, 0x7fff
	v_or_b32_e32 v12, 0x400000, v10
	v_cndmask_b32_e32 v11, v13, v15, vcc_lo
	v_bfe_u32 v13, v9, 16, 1
	v_cmp_u_f32_e32 vcc_lo, v10, v10
	v_bfe_u32 v10, v8, 16, 1
	global_store_short_d16_hi v14, v11, s[0:1] offset:32
	v_add3_u32 v11, v13, v9, 0x7fff
	v_cndmask_b32_e32 v0, v0, v12, vcc_lo
	v_or_b32_e32 v12, 0x400000, v9
	v_cmp_u_f32_e32 vcc_lo, v9, v9
	global_store_short_d16_hi v14, v0, s[0:1] offset:64
	v_add3_u32 v0, v10, v8, 0x7fff
	v_or_b32_e32 v10, 0x400000, v8
	v_cndmask_b32_e32 v9, v11, v12, vcc_lo
	v_bfe_u32 v11, v7, 16, 1
	v_cmp_u_f32_e32 vcc_lo, v8, v8
	v_bfe_u32 v8, v6, 16, 1
	global_store_short_d16_hi v14, v9, s[0:1] offset:96
	v_add3_u32 v9, v11, v7, 0x7fff
	v_cndmask_b32_e32 v0, v0, v10, vcc_lo
	v_or_b32_e32 v10, 0x400000, v7
	v_cmp_u_f32_e32 vcc_lo, v7, v7
	global_store_short_d16_hi v14, v0, s[0:1] offset:128
	v_add3_u32 v0, v8, v6, 0x7fff
	v_or_b32_e32 v8, 0x400000, v6
	v_cndmask_b32_e32 v7, v9, v10, vcc_lo
	v_bfe_u32 v9, v5, 16, 1
	v_cmp_u_f32_e32 vcc_lo, v6, v6
	v_bfe_u32 v6, v4, 16, 1
	v_or_b32_e32 v10, 0x400000, v2
	global_store_short_d16_hi v14, v7, s[0:1] offset:160
	v_add3_u32 v7, v9, v5, 0x7fff
	v_cndmask_b32_e32 v0, v0, v8, vcc_lo
	v_or_b32_e32 v8, 0x400000, v5
	v_cmp_u_f32_e32 vcc_lo, v5, v5
	v_or_b32_e32 v9, 0x400000, v3
	global_store_short_d16_hi v14, v0, s[0:1] offset:192
	v_add3_u32 v0, v6, v4, 0x7fff
	v_or_b32_e32 v6, 0x400000, v4
	v_cndmask_b32_e32 v5, v7, v8, vcc_lo
	v_bfe_u32 v7, v1, 16, 1
	v_cmp_u_f32_e32 vcc_lo, v4, v4
	v_bfe_u32 v8, v3, 16, 1
	v_bfe_u32 v4, v2, 16, 1
	v_cndmask_b32_e32 v0, v0, v6, vcc_lo
	v_add3_u32 v6, v7, v1, 0x7fff
	v_or_b32_e32 v7, 0x400000, v1
	v_cmp_u_f32_e32 vcc_lo, v1, v1
	v_add3_u32 v8, v8, v3, 0x7fff
	v_add3_u32 v4, v4, v2, 0x7fff
	v_cndmask_b32_e32 v1, v6, v7, vcc_lo
	v_cmp_u_f32_e32 vcc_lo, v3, v3
	v_cndmask_b32_e32 v3, v8, v9, vcc_lo
	v_cmp_u_f32_e32 vcc_lo, v2, v2
	v_cndmask_b32_e32 v2, v4, v10, vcc_lo
	global_store_short_d16_hi v14, v5, s[0:1] offset:224
	global_store_short_d16_hi v14, v0, s[0:1] offset:256
	global_store_short_d16_hi v14, v1, s[0:1] offset:288
	global_store_short_d16_hi v14, v3, s[0:1] offset:320
	global_store_short_d16_hi v14, v2, s[0:1] offset:352
.LBB169_94:
	s_endpgm
.LBB169_95:
	ds_read_b32 v0, v13
	s_waitcnt lgkmcnt(0)
	v_add_f32_e32 v12, v12, v0
	s_or_b32 exec_lo, exec_lo, s0
	s_and_saveexec_b32 s0, vcc_lo
	s_cbranch_execz .LBB169_63
.LBB169_96:
	ds_read_b32 v0, v13 offset:64
	s_waitcnt lgkmcnt(0)
	v_add_f32_e32 v11, v11, v0
	s_or_b32 exec_lo, exec_lo, s0
	s_and_saveexec_b32 s0, vcc_lo
	s_cbranch_execz .LBB169_64
.LBB169_97:
	ds_read_b32 v0, v13 offset:128
	s_waitcnt lgkmcnt(0)
	v_add_f32_e32 v10, v10, v0
	s_or_b32 exec_lo, exec_lo, s0
	s_and_saveexec_b32 s0, vcc_lo
	s_cbranch_execz .LBB169_65
.LBB169_98:
	ds_read_b32 v0, v13 offset:192
	s_waitcnt lgkmcnt(0)
	v_add_f32_e32 v9, v9, v0
	s_or_b32 exec_lo, exec_lo, s0
	s_and_saveexec_b32 s0, vcc_lo
	s_cbranch_execz .LBB169_66
.LBB169_99:
	ds_read_b32 v0, v13 offset:256
	s_waitcnt lgkmcnt(0)
	v_add_f32_e32 v8, v8, v0
	s_or_b32 exec_lo, exec_lo, s0
	s_and_saveexec_b32 s0, vcc_lo
	s_cbranch_execz .LBB169_67
.LBB169_100:
	ds_read_b32 v0, v13 offset:320
	s_waitcnt lgkmcnt(0)
	v_add_f32_e32 v7, v7, v0
	s_or_b32 exec_lo, exec_lo, s0
	s_and_saveexec_b32 s0, vcc_lo
	s_cbranch_execz .LBB169_68
.LBB169_101:
	ds_read_b32 v0, v13 offset:384
	s_waitcnt lgkmcnt(0)
	v_add_f32_e32 v6, v6, v0
	s_or_b32 exec_lo, exec_lo, s0
	s_and_saveexec_b32 s0, vcc_lo
	s_cbranch_execz .LBB169_69
.LBB169_102:
	ds_read_b32 v0, v13 offset:448
	s_waitcnt lgkmcnt(0)
	v_add_f32_e32 v5, v5, v0
	s_or_b32 exec_lo, exec_lo, s0
	s_and_saveexec_b32 s0, vcc_lo
	s_cbranch_execz .LBB169_70
.LBB169_103:
	ds_read_b32 v0, v13 offset:512
	s_waitcnt lgkmcnt(0)
	v_add_f32_e32 v4, v4, v0
	s_or_b32 exec_lo, exec_lo, s0
	s_and_saveexec_b32 s0, vcc_lo
	s_cbranch_execz .LBB169_71
.LBB169_104:
	ds_read_b32 v0, v13 offset:576
	s_waitcnt lgkmcnt(0)
	v_add_f32_e32 v1, v1, v0
	s_or_b32 exec_lo, exec_lo, s0
	s_and_saveexec_b32 s0, vcc_lo
	s_cbranch_execz .LBB169_72
.LBB169_105:
	ds_read_b32 v0, v13 offset:640
	s_waitcnt lgkmcnt(0)
	v_add_f32_e32 v3, v3, v0
	s_or_b32 exec_lo, exec_lo, s0
	s_and_saveexec_b32 s0, vcc_lo
	s_cbranch_execnz .LBB169_73
	s_branch .LBB169_74
.LBB169_106:
	ds_read_b32 v0, v13
	s_waitcnt lgkmcnt(0)
	v_add_f32_e32 v12, v12, v0
	s_or_b32 exec_lo, exec_lo, s0
	s_and_saveexec_b32 s0, vcc_lo
	s_cbranch_execz .LBB169_80
.LBB169_107:
	ds_read_b32 v0, v13 offset:64
	s_waitcnt lgkmcnt(0)
	v_add_f32_e32 v11, v11, v0
	s_or_b32 exec_lo, exec_lo, s0
	s_and_saveexec_b32 s0, vcc_lo
	s_cbranch_execz .LBB169_81
.LBB169_108:
	ds_read_b32 v0, v13 offset:128
	s_waitcnt lgkmcnt(0)
	v_add_f32_e32 v10, v10, v0
	s_or_b32 exec_lo, exec_lo, s0
	s_and_saveexec_b32 s0, vcc_lo
	s_cbranch_execz .LBB169_82
.LBB169_109:
	ds_read_b32 v0, v13 offset:192
	s_waitcnt lgkmcnt(0)
	v_add_f32_e32 v9, v9, v0
	s_or_b32 exec_lo, exec_lo, s0
	s_and_saveexec_b32 s0, vcc_lo
	s_cbranch_execz .LBB169_83
.LBB169_110:
	ds_read_b32 v0, v13 offset:256
	s_waitcnt lgkmcnt(0)
	v_add_f32_e32 v8, v8, v0
	s_or_b32 exec_lo, exec_lo, s0
	s_and_saveexec_b32 s0, vcc_lo
	s_cbranch_execz .LBB169_84
.LBB169_111:
	ds_read_b32 v0, v13 offset:320
	s_waitcnt lgkmcnt(0)
	v_add_f32_e32 v7, v7, v0
	s_or_b32 exec_lo, exec_lo, s0
	s_and_saveexec_b32 s0, vcc_lo
	s_cbranch_execz .LBB169_85
.LBB169_112:
	ds_read_b32 v0, v13 offset:384
	s_waitcnt lgkmcnt(0)
	v_add_f32_e32 v6, v6, v0
	s_or_b32 exec_lo, exec_lo, s0
	s_and_saveexec_b32 s0, vcc_lo
	s_cbranch_execz .LBB169_86
.LBB169_113:
	ds_read_b32 v0, v13 offset:448
	s_waitcnt lgkmcnt(0)
	v_add_f32_e32 v5, v5, v0
	s_or_b32 exec_lo, exec_lo, s0
	s_and_saveexec_b32 s0, vcc_lo
	s_cbranch_execz .LBB169_87
.LBB169_114:
	ds_read_b32 v0, v13 offset:512
	s_waitcnt lgkmcnt(0)
	v_add_f32_e32 v4, v4, v0
	s_or_b32 exec_lo, exec_lo, s0
	s_and_saveexec_b32 s0, vcc_lo
	s_cbranch_execz .LBB169_88
.LBB169_115:
	ds_read_b32 v0, v13 offset:576
	s_waitcnt lgkmcnt(0)
	v_add_f32_e32 v1, v1, v0
	s_or_b32 exec_lo, exec_lo, s0
	s_and_saveexec_b32 s0, vcc_lo
	s_cbranch_execz .LBB169_89
.LBB169_116:
	ds_read_b32 v0, v13 offset:640
	s_waitcnt lgkmcnt(0)
	v_add_f32_e32 v3, v3, v0
	s_or_b32 exec_lo, exec_lo, s0
	s_and_saveexec_b32 s0, vcc_lo
	s_cbranch_execnz .LBB169_90
	s_branch .LBB169_91
	.section	.rodata,"a",@progbits
	.p2align	6, 0x0
	.amdhsa_kernel _ZN4vllm25paged_attention_v2_kernelI14__hip_bfloat16S1_Li192ELi16ELi128ELNS_18Fp8KVCacheDataTypeE0ELb0ELi512EEEvPfS3_PT_PKS4_PKT0_SA_ifPKiSC_iPKfiiiSE_SE_iiiii
		.amdhsa_group_segment_fixed_size 416
		.amdhsa_private_segment_fixed_size 24
		.amdhsa_kernarg_size 400
		.amdhsa_user_sgpr_count 6
		.amdhsa_user_sgpr_private_segment_buffer 1
		.amdhsa_user_sgpr_dispatch_ptr 0
		.amdhsa_user_sgpr_queue_ptr 0
		.amdhsa_user_sgpr_kernarg_segment_ptr 1
		.amdhsa_user_sgpr_dispatch_id 0
		.amdhsa_user_sgpr_flat_scratch_init 0
		.amdhsa_user_sgpr_private_segment_size 0
		.amdhsa_wavefront_size32 1
		.amdhsa_uses_dynamic_stack 0
		.amdhsa_system_sgpr_private_segment_wavefront_offset 1
		.amdhsa_system_sgpr_workgroup_id_x 1
		.amdhsa_system_sgpr_workgroup_id_y 1
		.amdhsa_system_sgpr_workgroup_id_z 1
		.amdhsa_system_sgpr_workgroup_info 0
		.amdhsa_system_vgpr_workitem_id 0
		.amdhsa_next_free_vgpr 128
		.amdhsa_next_free_sgpr 40
		.amdhsa_reserve_vcc 1
		.amdhsa_reserve_flat_scratch 0
		.amdhsa_float_round_mode_32 0
		.amdhsa_float_round_mode_16_64 0
		.amdhsa_float_denorm_mode_32 3
		.amdhsa_float_denorm_mode_16_64 3
		.amdhsa_dx10_clamp 1
		.amdhsa_ieee_mode 1
		.amdhsa_fp16_overflow 0
		.amdhsa_workgroup_processor_mode 1
		.amdhsa_memory_ordered 1
		.amdhsa_forward_progress 1
		.amdhsa_shared_vgpr_count 0
		.amdhsa_exception_fp_ieee_invalid_op 0
		.amdhsa_exception_fp_denorm_src 0
		.amdhsa_exception_fp_ieee_div_zero 0
		.amdhsa_exception_fp_ieee_overflow 0
		.amdhsa_exception_fp_ieee_underflow 0
		.amdhsa_exception_fp_ieee_inexact 0
		.amdhsa_exception_int_div_zero 0
	.end_amdhsa_kernel
	.section	.text._ZN4vllm25paged_attention_v2_kernelI14__hip_bfloat16S1_Li192ELi16ELi128ELNS_18Fp8KVCacheDataTypeE0ELb0ELi512EEEvPfS3_PT_PKS4_PKT0_SA_ifPKiSC_iPKfiiiSE_SE_iiiii,"axG",@progbits,_ZN4vllm25paged_attention_v2_kernelI14__hip_bfloat16S1_Li192ELi16ELi128ELNS_18Fp8KVCacheDataTypeE0ELb0ELi512EEEvPfS3_PT_PKS4_PKT0_SA_ifPKiSC_iPKfiiiSE_SE_iiiii,comdat
.Lfunc_end169:
	.size	_ZN4vllm25paged_attention_v2_kernelI14__hip_bfloat16S1_Li192ELi16ELi128ELNS_18Fp8KVCacheDataTypeE0ELb0ELi512EEEvPfS3_PT_PKS4_PKT0_SA_ifPKiSC_iPKfiiiSE_SE_iiiii, .Lfunc_end169-_ZN4vllm25paged_attention_v2_kernelI14__hip_bfloat16S1_Li192ELi16ELi128ELNS_18Fp8KVCacheDataTypeE0ELb0ELi512EEEvPfS3_PT_PKS4_PKT0_SA_ifPKiSC_iPKfiiiSE_SE_iiiii
                                        ; -- End function
	.set _ZN4vllm25paged_attention_v2_kernelI14__hip_bfloat16S1_Li192ELi16ELi128ELNS_18Fp8KVCacheDataTypeE0ELb0ELi512EEEvPfS3_PT_PKS4_PKT0_SA_ifPKiSC_iPKfiiiSE_SE_iiiii.num_vgpr, 128
	.set _ZN4vllm25paged_attention_v2_kernelI14__hip_bfloat16S1_Li192ELi16ELi128ELNS_18Fp8KVCacheDataTypeE0ELb0ELi512EEEvPfS3_PT_PKS4_PKT0_SA_ifPKiSC_iPKfiiiSE_SE_iiiii.num_agpr, 0
	.set _ZN4vllm25paged_attention_v2_kernelI14__hip_bfloat16S1_Li192ELi16ELi128ELNS_18Fp8KVCacheDataTypeE0ELb0ELi512EEEvPfS3_PT_PKS4_PKT0_SA_ifPKiSC_iPKfiiiSE_SE_iiiii.numbered_sgpr, 40
	.set _ZN4vllm25paged_attention_v2_kernelI14__hip_bfloat16S1_Li192ELi16ELi128ELNS_18Fp8KVCacheDataTypeE0ELb0ELi512EEEvPfS3_PT_PKS4_PKT0_SA_ifPKiSC_iPKfiiiSE_SE_iiiii.num_named_barrier, 0
	.set _ZN4vllm25paged_attention_v2_kernelI14__hip_bfloat16S1_Li192ELi16ELi128ELNS_18Fp8KVCacheDataTypeE0ELb0ELi512EEEvPfS3_PT_PKS4_PKT0_SA_ifPKiSC_iPKfiiiSE_SE_iiiii.private_seg_size, 24
	.set _ZN4vllm25paged_attention_v2_kernelI14__hip_bfloat16S1_Li192ELi16ELi128ELNS_18Fp8KVCacheDataTypeE0ELb0ELi512EEEvPfS3_PT_PKS4_PKT0_SA_ifPKiSC_iPKfiiiSE_SE_iiiii.uses_vcc, 1
	.set _ZN4vllm25paged_attention_v2_kernelI14__hip_bfloat16S1_Li192ELi16ELi128ELNS_18Fp8KVCacheDataTypeE0ELb0ELi512EEEvPfS3_PT_PKS4_PKT0_SA_ifPKiSC_iPKfiiiSE_SE_iiiii.uses_flat_scratch, 0
	.set _ZN4vllm25paged_attention_v2_kernelI14__hip_bfloat16S1_Li192ELi16ELi128ELNS_18Fp8KVCacheDataTypeE0ELb0ELi512EEEvPfS3_PT_PKS4_PKT0_SA_ifPKiSC_iPKfiiiSE_SE_iiiii.has_dyn_sized_stack, 0
	.set _ZN4vllm25paged_attention_v2_kernelI14__hip_bfloat16S1_Li192ELi16ELi128ELNS_18Fp8KVCacheDataTypeE0ELb0ELi512EEEvPfS3_PT_PKS4_PKT0_SA_ifPKiSC_iPKfiiiSE_SE_iiiii.has_recursion, 0
	.set _ZN4vllm25paged_attention_v2_kernelI14__hip_bfloat16S1_Li192ELi16ELi128ELNS_18Fp8KVCacheDataTypeE0ELb0ELi512EEEvPfS3_PT_PKS4_PKT0_SA_ifPKiSC_iPKfiiiSE_SE_iiiii.has_indirect_call, 0
	.section	.AMDGPU.csdata,"",@progbits
; Kernel info:
; codeLenInByte = 15228
; TotalNumSgprs: 42
; NumVgprs: 128
; ScratchSize: 24
; MemoryBound: 0
; FloatMode: 240
; IeeeMode: 1
; LDSByteSize: 416 bytes/workgroup (compile time only)
; SGPRBlocks: 0
; VGPRBlocks: 15
; NumSGPRsForWavesPerEU: 42
; NumVGPRsForWavesPerEU: 128
; Occupancy: 8
; WaveLimiterHint : 1
; COMPUTE_PGM_RSRC2:SCRATCH_EN: 1
; COMPUTE_PGM_RSRC2:USER_SGPR: 6
; COMPUTE_PGM_RSRC2:TRAP_HANDLER: 0
; COMPUTE_PGM_RSRC2:TGID_X_EN: 1
; COMPUTE_PGM_RSRC2:TGID_Y_EN: 1
; COMPUTE_PGM_RSRC2:TGID_Z_EN: 1
; COMPUTE_PGM_RSRC2:TIDIG_COMP_CNT: 0
	.section	.text._ZN4vllm25paged_attention_v2_kernelI14__hip_bfloat16S1_Li256ELi16ELi128ELNS_18Fp8KVCacheDataTypeE0ELb0ELi512EEEvPfS3_PT_PKS4_PKT0_SA_ifPKiSC_iPKfiiiSE_SE_iiiii,"axG",@progbits,_ZN4vllm25paged_attention_v2_kernelI14__hip_bfloat16S1_Li256ELi16ELi128ELNS_18Fp8KVCacheDataTypeE0ELb0ELi512EEEvPfS3_PT_PKS4_PKT0_SA_ifPKiSC_iPKfiiiSE_SE_iiiii,comdat
	.protected	_ZN4vllm25paged_attention_v2_kernelI14__hip_bfloat16S1_Li256ELi16ELi128ELNS_18Fp8KVCacheDataTypeE0ELb0ELi512EEEvPfS3_PT_PKS4_PKT0_SA_ifPKiSC_iPKfiiiSE_SE_iiiii ; -- Begin function _ZN4vllm25paged_attention_v2_kernelI14__hip_bfloat16S1_Li256ELi16ELi128ELNS_18Fp8KVCacheDataTypeE0ELb0ELi512EEEvPfS3_PT_PKS4_PKT0_SA_ifPKiSC_iPKfiiiSE_SE_iiiii
	.globl	_ZN4vllm25paged_attention_v2_kernelI14__hip_bfloat16S1_Li256ELi16ELi128ELNS_18Fp8KVCacheDataTypeE0ELb0ELi512EEEvPfS3_PT_PKS4_PKT0_SA_ifPKiSC_iPKfiiiSE_SE_iiiii
	.p2align	8
	.type	_ZN4vllm25paged_attention_v2_kernelI14__hip_bfloat16S1_Li256ELi16ELi128ELNS_18Fp8KVCacheDataTypeE0ELb0ELi512EEEvPfS3_PT_PKS4_PKT0_SA_ifPKiSC_iPKfiiiSE_SE_iiiii,@function
_ZN4vllm25paged_attention_v2_kernelI14__hip_bfloat16S1_Li256ELi16ELi128ELNS_18Fp8KVCacheDataTypeE0ELb0ELi512EEEvPfS3_PT_PKS4_PKT0_SA_ifPKiSC_iPKfiiiSE_SE_iiiii: ; @_ZN4vllm25paged_attention_v2_kernelI14__hip_bfloat16S1_Li256ELi16ELi128ELNS_18Fp8KVCacheDataTypeE0ELb0ELi512EEEvPfS3_PT_PKS4_PKT0_SA_ifPKiSC_iPKfiiiSE_SE_iiiii
; %bb.0:
	s_mov_b64 s[42:43], s[2:3]
	s_mov_b64 s[40:41], s[0:1]
	s_load_dwordx2 s[0:1], s[4:5], 0x40
	s_add_u32 s40, s40, s9
	s_addc_u32 s41, s41, 0
	s_mov_b32 s22, s7
	s_ashr_i32 s23, s7, 31
	s_lshl_b64 s[2:3], s[22:23], 2
	s_waitcnt lgkmcnt(0)
	s_add_u32 s0, s0, s2
	s_addc_u32 s1, s1, s3
	s_lshl_b32 s33, s8, 9
	s_load_dword s23, s[0:1], 0x0
	s_waitcnt lgkmcnt(0)
	s_cmp_ge_i32 s33, s23
	s_cbranch_scc1 .LBB170_110
; %bb.1:
	s_clause 0x1
	s_load_dword s9, s[4:5], 0x90
	s_load_dwordx2 s[30:31], s[4:5], 0x30
	v_mov_b32_e32 v108, v0
	s_mov_b32 s34, 0
	s_waitcnt lgkmcnt(0)
	s_abs_i32 s3, s9
	s_abs_i32 s0, s30
	v_cvt_f32_u32_e32 v0, s0
	s_sub_i32 s2, 0, s0
	v_rcp_iflag_f32_e32 v0, v0
	v_mul_f32_e32 v0, 0x4f7ffffe, v0
	v_cvt_u32_f32_e32 v0, v0
	v_readfirstlane_b32 s1, v0
	s_mul_i32 s2, s2, s1
	s_mul_hi_u32 s2, s1, s2
	s_add_i32 s1, s1, s2
	s_xor_b32 s2, s9, s30
	s_mul_hi_u32 s1, s3, s1
	s_ashr_i32 s2, s2, 31
	s_mul_i32 s7, s1, s0
	s_sub_i32 s3, s3, s7
	s_add_i32 s7, s1, 1
	s_sub_i32 s10, s3, s0
	s_cmp_ge_u32 s3, s0
	s_cselect_b32 s1, s7, s1
	s_cselect_b32 s3, s10, s3
	s_add_i32 s7, s1, 1
	s_cmp_ge_u32 s3, s0
	s_cselect_b32 s0, s7, s1
	s_abs_i32 s16, s6
	s_xor_b32 s0, s0, s2
	s_sub_i32 s10, s0, s2
	s_load_dwordx2 s[0:1], s[4:5], 0x50
	s_abs_i32 s2, s10
	v_cvt_f32_u32_e32 v0, s2
	s_sub_i32 s7, 0, s2
	v_rcp_iflag_f32_e32 v0, v0
	v_mul_f32_e32 v0, 0x4f7ffffe, v0
	v_cvt_u32_f32_e32 v0, v0
	v_readfirstlane_b32 s3, v0
	s_mul_i32 s7, s7, s3
	s_mul_hi_u32 s7, s3, s7
	s_add_i32 s3, s3, s7
	s_waitcnt lgkmcnt(0)
	s_cmp_eq_u64 s[0:1], 0
	s_mul_hi_u32 s3, s16, s3
	s_cbranch_scc1 .LBB170_3
; %bb.2:
	s_ashr_i32 s7, s6, 31
	s_lshl_b64 s[12:13], s[6:7], 2
	s_add_u32 s0, s0, s12
	s_addc_u32 s1, s1, s13
	s_load_dword s34, s[0:1], 0x0
.LBB170_3:
	s_load_dwordx4 s[12:15], s[4:5], 0x58
	v_lshrrev_b32_e32 v107, 1, v108
	v_and_b32_e32 v109, 1, v108
	v_cmp_gt_u32_e64 s0, 64, v108
	v_lshlrev_b32_e32 v22, 3, v108
	s_ashr_i32 s1, s6, 31
	s_ashr_i32 s7, s10, 31
	s_lshl_b32 s10, s6, 8
	s_waitcnt lgkmcnt(0)
	s_and_saveexec_b32 s15, s0
	s_cbranch_execz .LBB170_5
; %bb.4:
	s_load_dwordx2 s[18:19], s[4:5], 0x18
	s_mul_i32 s20, s12, s22
	v_lshlrev_b32_e32 v2, 3, v107
	s_ashr_i32 s21, s20, 31
	s_lshl_b64 s[20:21], s[20:21], 1
	v_lshl_add_u32 v2, v109, 8, v2
	s_waitcnt lgkmcnt(0)
	s_add_u32 s12, s18, s20
	s_addc_u32 s17, s19, s21
	s_ashr_i32 s11, s10, 31
	s_lshl_b64 s[18:19], s[10:11], 1
	s_add_u32 s18, s12, s18
	s_addc_u32 s19, s17, s19
	global_load_dwordx2 v[0:1], v22, s[18:19]
	s_waitcnt vmcnt(0)
	ds_write_b64 v2, v[0:1]
.LBB170_5:
	s_or_b32 exec_lo, exec_lo, s15
	s_add_i32 s11, s23, 15
	s_lshl_b32 s30, s8, 5
	s_ashr_i32 s12, s11, 31
	s_xor_b32 s1, s1, s7
	s_lshr_b32 s12, s12, 28
	s_add_i32 s7, s30, 32
	s_add_i32 s11, s11, s12
	s_mul_i32 s15, s3, s2
	s_ashr_i32 s12, s11, 4
	s_sub_i32 s15, s16, s15
	s_min_i32 s11, s7, s12
	s_clause 0x1
	s_load_dwordx2 s[24:25], s[4:5], 0x38
	s_load_dword s7, s[4:5], 0x48
	s_add_i32 s16, s3, 1
	s_sub_i32 s17, s15, s2
	s_cmp_ge_u32 s15, s2
	v_lshrrev_b32_e32 v110, 5, v108
	s_cselect_b32 s3, s16, s3
	s_cselect_b32 s15, s17, s15
	s_add_i32 s16, s3, 1
	s_cmp_ge_u32 s15, s2
	v_or_b32_e32 v73, s30, v110
	s_cselect_b32 s2, s16, s3
	v_mbcnt_lo_u32_b32 v24, -1, 0
	s_xor_b32 s2, s2, s1
	s_mov_b32 s3, exec_lo
	s_sub_i32 s2, s2, s1
	v_cmp_gt_i32_e64 s1, s11, v73
	s_waitcnt lgkmcnt(0)
	s_barrier
	buffer_gl0_inv
                                        ; implicit-def: $vgpr9
                                        ; implicit-def: $vgpr10
	s_mul_i32 s26, s7, s22
	s_ashr_i32 s27, s26, 31
	v_cmpx_le_i32_e64 s11, v73
	s_xor_b32 s3, exec_lo, s3
; %bb.6:
	v_mov_b32_e32 v9, 0
	v_mbcnt_lo_u32_b32 v24, -1, 0
	v_mov_b32_e32 v10, 32
; %bb.7:
	s_or_saveexec_b32 s35, s3
	s_clause 0x3
	s_load_dwordx4 s[16:19], s[4:5], 0x0
	s_load_dwordx2 s[20:21], s[4:5], 0x10
	s_load_dwordx2 s[28:29], s[4:5], 0x28
	s_load_dword s7, s[4:5], 0x98
	v_mov_b32_e32 v23, 0xff7fffff
	v_ashrrev_i32_e32 v74, 31, v73
	v_lshlrev_b32_e32 v26, 4, v110
	s_mul_i32 s14, s2, s14
	s_xor_b32 exec_lo, exec_lo, s35
	s_cbranch_execz .LBB170_13
; %bb.8:
	v_lshlrev_b32_e32 v1, 8, v109
	v_mov_b32_e32 v6, v108
	v_mov_b32_e32 v7, v109
	;; [unrolled: 1-line block ×3, first 2 shown]
	s_load_dwordx2 s[2:3], s[4:5], 0x20
	ds_read_b128 v[2:5], v1
	s_ashr_i32 s15, s14, 31
	buffer_store_dword v22, off, s[40:43], 0 offset:144 ; 4-byte Folded Spill
	s_lshl_b64 s[4:5], s[14:15], 1
	buffer_store_dword v24, off, s[40:43], 0 offset:152 ; 4-byte Folded Spill
	buffer_store_dword v26, off, s[40:43], 0 offset:148 ; 4-byte Folded Spill
	v_mov_b32_e32 v23, 0xff7fffff
	v_mov_b32_e32 v28, v73
	buffer_store_dword v6, off, s[40:43], 0 offset:132 ; 4-byte Folded Spill
	buffer_store_dword v8, off, s[40:43], 0 offset:140 ; 4-byte Folded Spill
	;; [unrolled: 1-line block ×3, first 2 shown]
	s_waitcnt lgkmcnt(0)
	s_add_u32 s15, s2, s4
	v_lshlrev_b32_e32 v0, 16, v2
	s_addc_u32 s36, s3, s5
	s_lshl_b64 s[2:3], s[26:27], 2
	s_sub_i32 s4, 1, s23
	s_add_u32 s2, s24, s2
	buffer_store_dword v0, off, s[40:43], 0 ; 4-byte Folded Spill
	v_and_b32_e32 v0, 0xffff0000, v2
	s_addc_u32 s3, s25, s3
	s_mov_b32 s5, s13
	buffer_store_dword v0, off, s[40:43], 0 offset:4 ; 4-byte Folded Spill
	v_lshlrev_b32_e32 v0, 16, v3
	buffer_store_dword v0, off, s[40:43], 0 offset:8 ; 4-byte Folded Spill
	v_and_b32_e32 v0, 0xffff0000, v3
	buffer_store_dword v0, off, s[40:43], 0 offset:12 ; 4-byte Folded Spill
	v_lshlrev_b32_e32 v0, 16, v4
	buffer_store_dword v0, off, s[40:43], 0 offset:16 ; 4-byte Folded Spill
	v_and_b32_e32 v0, 0xffff0000, v4
	buffer_store_dword v0, off, s[40:43], 0 offset:20 ; 4-byte Folded Spill
	v_lshlrev_b32_e32 v0, 16, v5
	buffer_store_dword v0, off, s[40:43], 0 offset:24 ; 4-byte Folded Spill
	v_and_b32_e32 v0, 0xffff0000, v5
	ds_read_b128 v[2:5], v1 offset:16
	buffer_store_dword v0, off, s[40:43], 0 offset:28 ; 4-byte Folded Spill
	s_waitcnt lgkmcnt(0)
	v_lshlrev_b32_e32 v0, 16, v2
	buffer_store_dword v0, off, s[40:43], 0 offset:32 ; 4-byte Folded Spill
	v_and_b32_e32 v0, 0xffff0000, v2
	buffer_store_dword v0, off, s[40:43], 0 offset:36 ; 4-byte Folded Spill
	v_lshlrev_b32_e32 v0, 16, v3
	buffer_store_dword v0, off, s[40:43], 0 offset:40 ; 4-byte Folded Spill
	v_and_b32_e32 v0, 0xffff0000, v3
	buffer_store_dword v0, off, s[40:43], 0 offset:44 ; 4-byte Folded Spill
	v_lshlrev_b32_e32 v0, 16, v4
	buffer_store_dword v0, off, s[40:43], 0 offset:48 ; 4-byte Folded Spill
	v_and_b32_e32 v0, 0xffff0000, v4
	buffer_store_dword v0, off, s[40:43], 0 offset:52 ; 4-byte Folded Spill
	v_lshlrev_b32_e32 v0, 16, v5
	buffer_store_dword v0, off, s[40:43], 0 offset:56 ; 4-byte Folded Spill
	v_and_b32_e32 v0, 0xffff0000, v5
	ds_read_b128 v[2:5], v1 offset:32
	buffer_store_dword v0, off, s[40:43], 0 offset:60 ; 4-byte Folded Spill
	s_waitcnt lgkmcnt(0)
	v_lshlrev_b32_e32 v0, 16, v2
	buffer_store_dword v0, off, s[40:43], 0 offset:64 ; 4-byte Folded Spill
	v_and_b32_e32 v0, 0xffff0000, v2
	;; [unrolled: 18-line block ×3, first 2 shown]
	buffer_store_dword v0, off, s[40:43], 0 offset:100 ; 4-byte Folded Spill
	v_lshlrev_b32_e32 v0, 16, v3
	buffer_store_dword v0, off, s[40:43], 0 offset:104 ; 4-byte Folded Spill
	v_and_b32_e32 v0, 0xffff0000, v3
	buffer_store_dword v0, off, s[40:43], 0 offset:108 ; 4-byte Folded Spill
	v_lshlrev_b32_e32 v0, 16, v4
	buffer_store_dword v0, off, s[40:43], 0 offset:112 ; 4-byte Folded Spill
	v_and_b32_e32 v0, 0xffff0000, v4
	;; [unrolled: 4-line block ×3, first 2 shown]
	ds_read_b128 v[2:5], v1 offset:64
	buffer_store_dword v0, off, s[40:43], 0 offset:124 ; 4-byte Folded Spill
	s_waitcnt lgkmcnt(0)
	v_lshlrev_b32_e32 v0, 16, v2
	v_and_b32_e32 v45, 0xffff0000, v2
	v_lshlrev_b32_e32 v46, 16, v3
	v_and_b32_e32 v47, 0xffff0000, v3
	;; [unrolled: 2-line block ×4, first 2 shown]
	ds_read_b128 v[2:5], v1 offset:80
	buffer_store_dword v0, off, s[40:43], 0 offset:128 ; 4-byte Folded Spill
	s_waitcnt lgkmcnt(0)
	v_lshlrev_b32_e32 v52, 16, v2
	v_and_b32_e32 v53, 0xffff0000, v2
	v_lshlrev_b32_e32 v54, 16, v3
	v_and_b32_e32 v55, 0xffff0000, v3
	v_lshlrev_b32_e32 v56, 16, v4
	v_and_b32_e32 v57, 0xffff0000, v4
	v_lshlrev_b32_e32 v58, 16, v5
	v_and_b32_e32 v59, 0xffff0000, v5
	ds_read_b128 v[2:5], v1 offset:96
	s_waitcnt lgkmcnt(0)
	v_lshlrev_b32_e32 v60, 16, v2
	v_and_b32_e32 v61, 0xffff0000, v2
	v_lshlrev_b32_e32 v62, 16, v3
	v_and_b32_e32 v63, 0xffff0000, v3
	v_lshlrev_b32_e32 v64, 16, v4
	v_and_b32_e32 v65, 0xffff0000, v4
	v_lshlrev_b32_e32 v66, 16, v5
	v_and_b32_e32 v67, 0xffff0000, v5
	ds_read_b128 v[2:5], v1 offset:112
	;; [unrolled: 10-line block ×9, first 2 shown]
	s_waitcnt lgkmcnt(0)
	v_lshlrev_b32_e32 v9, 16, v2
	v_and_b32_e32 v78, 0xffff0000, v2
	v_lshlrev_b32_e32 v121, 16, v3
	v_and_b32_e32 v122, 0xffff0000, v3
	;; [unrolled: 2-line block ×3, first 2 shown]
	ds_read_b128 v[1:4], v1 offset:240
	v_lshlrev_b32_e32 v12, 16, v5
	v_and_b32_e32 v13, 0xffff0000, v5
	v_and_b32_e32 v5, 8, v22
	s_waitcnt lgkmcnt(0)
	v_lshlrev_b32_e32 v18, 16, v3
	v_and_b32_e32 v19, 0xffff0000, v3
	v_bfe_u32 v3, v6, 1, 4
	v_lshlrev_b32_e32 v14, 16, v1
	v_and_b32_e32 v15, 0xffff0000, v1
	v_lshlrev_b32_e32 v16, 16, v2
	v_and_b32_e32 v17, 0xffff0000, v2
	v_lshlrev_b64 v[1:2], 2, v[73:74]
	v_lshlrev_b32_e32 v20, 16, v4
	v_and_b32_e32 v21, 0xffff0000, v4
	v_lshlrev_b32_e32 v4, 4, v3
	v_add3_u32 v26, s33, v26, v3
	v_add_co_u32 v1, vcc_lo, s2, v1
	v_add_co_ci_u32_e64 v2, null, s3, v2, vcc_lo
	v_add_co_u32 v4, s3, s15, v4
	s_mov_b32 s15, 0
	v_add_co_u32 v22, vcc_lo, v4, v5
	v_xor_b32_e32 v4, 1, v24
	v_add_co_ci_u32_e64 v5, null, s36, 0, s3
	v_cmp_gt_i32_e64 s2, 32, v4
	v_cndmask_b32_e64 v4, v24, v4, s2
	v_add_co_ci_u32_e64 v24, null, 0, v5, vcc_lo
	v_cmp_neq_f32_e64 s2, s34, 0
	v_cmp_eq_u32_e32 vcc_lo, 0, v7
	v_lshlrev_b32_e32 v25, 2, v4
	v_lshlrev_b32_e32 v4, 2, v3
	v_lshl_or_b32 v4, v8, 6, v4
	v_add_nc_u32_e32 v27, 0x220, v4
	s_branch .LBB170_10
.LBB170_9:                              ;   in Loop: Header=BB170_10 Depth=1
	s_or_b32 exec_lo, exec_lo, s36
	v_add_nc_u32_e32 v28, 4, v28
	v_add_co_u32 v1, s3, v1, 16
	v_add_co_ci_u32_e64 v2, null, 0, v2, s3
	v_cmp_le_i32_e64 s3, s11, v28
	v_add_nc_u32_e32 v26, 64, v26
	v_add_nc_u32_e32 v27, 0x100, v27
	s_or_b32 s15, s3, s15
	s_andn2_b32 exec_lo, exec_lo, s15
	s_cbranch_execz .LBB170_12
.LBB170_10:                             ; =>This Inner Loop Header: Depth=1
	global_load_dword v3, v[1:2], off
	s_waitcnt vmcnt(0) lgkmcnt(0)
	v_mad_i64_i32 v[3:4], null, v3, s5, 0
	v_lshlrev_b64 v[3:4], 1, v[3:4]
	v_add_co_u32 v33, s3, v22, v3
	v_add_co_ci_u32_e64 v34, null, v24, v4, s3
	global_load_dwordx2 v[3:4], v[33:34], off
	s_waitcnt vmcnt(0)
	v_lshlrev_b32_e32 v5, 16, v3
	v_and_b32_e32 v6, 0xffff0000, v3
	v_lshlrev_b32_e32 v7, 16, v4
	v_and_b32_e32 v8, 0xffff0000, v4
	global_load_dwordx2 v[3:4], v[33:34], off offset:256
	s_waitcnt vmcnt(0)
	v_lshlrev_b32_e32 v29, 16, v3
	v_and_b32_e32 v30, 0xffff0000, v3
	v_lshlrev_b32_e32 v31, 16, v4
	v_and_b32_e32 v32, 0xffff0000, v4
	global_load_dwordx2 v[3:4], v[33:34], off offset:512
	s_waitcnt vmcnt(0)
	v_lshlrev_b32_e32 v35, 16, v3
	v_and_b32_e32 v36, 0xffff0000, v3
	buffer_load_dword v3, off, s[40:43], 0 offset:16 ; 4-byte Folded Reload
	v_lshlrev_b32_e32 v37, 16, v4
	v_and_b32_e32 v38, 0xffff0000, v4
	s_waitcnt vmcnt(0)
	v_mul_f32_e32 v29, v3, v29
	buffer_load_dword v3, off, s[40:43], 0  ; 4-byte Folded Reload
	s_waitcnt vmcnt(0)
	v_fmac_f32_e32 v29, v3, v5
	buffer_load_dword v3, off, s[40:43], 0 offset:20 ; 4-byte Folded Reload
	s_waitcnt vmcnt(0)
	v_mul_f32_e32 v30, v3, v30
	buffer_load_dword v3, off, s[40:43], 0 offset:4 ; 4-byte Folded Reload
	s_waitcnt vmcnt(0)
	v_fmac_f32_e32 v30, v3, v6
	buffer_load_dword v3, off, s[40:43], 0 offset:24 ; 4-byte Folded Reload
	s_waitcnt vmcnt(0)
	v_mul_f32_e32 v31, v3, v31
	buffer_load_dword v3, off, s[40:43], 0 offset:8 ; 4-byte Folded Reload
	;; [unrolled: 6-line block ×3, first 2 shown]
	s_waitcnt vmcnt(0)
	v_fmac_f32_e32 v32, v3, v8
	global_load_dwordx2 v[3:4], v[33:34], off offset:768
	s_waitcnt vmcnt(0)
	v_lshlrev_b32_e32 v5, 16, v3
	v_and_b32_e32 v6, 0xffff0000, v3
	buffer_load_dword v3, off, s[40:43], 0 offset:32 ; 4-byte Folded Reload
	v_lshlrev_b32_e32 v7, 16, v4
	v_and_b32_e32 v8, 0xffff0000, v4
	s_waitcnt vmcnt(0)
	v_fmac_f32_e32 v29, v3, v35
	buffer_load_dword v3, off, s[40:43], 0 offset:36 ; 4-byte Folded Reload
	s_waitcnt vmcnt(0)
	v_fmac_f32_e32 v30, v3, v36
	buffer_load_dword v3, off, s[40:43], 0 offset:40 ; 4-byte Folded Reload
	;; [unrolled: 3-line block ×3, first 2 shown]
	s_waitcnt vmcnt(0)
	v_fmac_f32_e32 v32, v3, v38
	global_load_dwordx2 v[3:4], v[33:34], off offset:1024
	s_waitcnt vmcnt(0)
	v_lshlrev_b32_e32 v35, 16, v3
	v_and_b32_e32 v36, 0xffff0000, v3
	buffer_load_dword v3, off, s[40:43], 0 offset:48 ; 4-byte Folded Reload
	v_lshlrev_b32_e32 v37, 16, v4
	v_and_b32_e32 v38, 0xffff0000, v4
	s_waitcnt vmcnt(0)
	v_fmac_f32_e32 v29, v3, v5
	buffer_load_dword v3, off, s[40:43], 0 offset:52 ; 4-byte Folded Reload
	s_waitcnt vmcnt(0)
	v_fmac_f32_e32 v30, v3, v6
	buffer_load_dword v3, off, s[40:43], 0 offset:56 ; 4-byte Folded Reload
	;; [unrolled: 3-line block ×3, first 2 shown]
	s_waitcnt vmcnt(0)
	v_fmac_f32_e32 v32, v3, v8
	global_load_dwordx2 v[3:4], v[33:34], off offset:1280
	s_waitcnt vmcnt(0)
	v_lshlrev_b32_e32 v5, 16, v3
	v_and_b32_e32 v6, 0xffff0000, v3
	buffer_load_dword v3, off, s[40:43], 0 offset:64 ; 4-byte Folded Reload
	v_lshlrev_b32_e32 v7, 16, v4
	v_and_b32_e32 v8, 0xffff0000, v4
	s_waitcnt vmcnt(0)
	v_fmac_f32_e32 v29, v3, v35
	buffer_load_dword v3, off, s[40:43], 0 offset:68 ; 4-byte Folded Reload
	v_add_co_u32 v35, s3, 0x800, v33
	s_waitcnt vmcnt(0)
	v_fmac_f32_e32 v30, v3, v36
	buffer_load_dword v3, off, s[40:43], 0 offset:72 ; 4-byte Folded Reload
	v_add_co_ci_u32_e64 v36, null, 0, v34, s3
	s_waitcnt vmcnt(0)
	v_fmac_f32_e32 v31, v3, v37
	buffer_load_dword v3, off, s[40:43], 0 offset:76 ; 4-byte Folded Reload
	s_waitcnt vmcnt(0)
	v_fmac_f32_e32 v32, v3, v38
	global_load_dwordx2 v[3:4], v[33:34], off offset:1536
	s_waitcnt vmcnt(0)
	v_lshlrev_b32_e32 v37, 16, v3
	v_and_b32_e32 v38, 0xffff0000, v3
	buffer_load_dword v3, off, s[40:43], 0 offset:80 ; 4-byte Folded Reload
	v_lshlrev_b32_e32 v39, 16, v4
	v_and_b32_e32 v40, 0xffff0000, v4
	s_waitcnt vmcnt(0)
	v_fmac_f32_e32 v29, v3, v5
	buffer_load_dword v3, off, s[40:43], 0 offset:84 ; 4-byte Folded Reload
	s_waitcnt vmcnt(0)
	v_fmac_f32_e32 v30, v3, v6
	buffer_load_dword v3, off, s[40:43], 0 offset:88 ; 4-byte Folded Reload
	;; [unrolled: 3-line block ×3, first 2 shown]
	v_add_co_u32 v7, s3, v33, 0x1000
	s_waitcnt vmcnt(0)
	v_fmac_f32_e32 v32, v3, v8
	v_add_co_ci_u32_e64 v8, null, 0, v34, s3
	v_add_co_u32 v5, s3, 0x1000, v33
	v_add_co_ci_u32_e64 v6, null, 0, v34, s3
	v_add_co_u32 v3, s3, 0x1800, v33
	v_add_co_ci_u32_e64 v4, null, 0, v34, s3
	global_load_dwordx2 v[33:34], v[33:34], off offset:1792
	s_waitcnt vmcnt(0)
	v_lshlrev_b32_e32 v41, 16, v33
	v_and_b32_e32 v42, 0xffff0000, v33
	buffer_load_dword v33, off, s[40:43], 0 offset:96 ; 4-byte Folded Reload
	v_lshlrev_b32_e32 v43, 16, v34
	v_and_b32_e32 v44, 0xffff0000, v34
	s_waitcnt vmcnt(0)
	v_fmac_f32_e32 v29, v33, v37
	buffer_load_dword v33, off, s[40:43], 0 offset:100 ; 4-byte Folded Reload
	s_waitcnt vmcnt(0)
	v_fmac_f32_e32 v30, v33, v38
	buffer_load_dword v33, off, s[40:43], 0 offset:104 ; 4-byte Folded Reload
	;; [unrolled: 3-line block ×3, first 2 shown]
	s_waitcnt vmcnt(0)
	v_fmac_f32_e32 v32, v33, v40
	s_clause 0x1
	global_load_dwordx2 v[33:34], v[7:8], off offset:-2048
	global_load_dwordx2 v[7:8], v[7:8], off
	s_waitcnt vmcnt(1)
	v_lshlrev_b32_e32 v37, 16, v33
	v_and_b32_e32 v38, 0xffff0000, v33
	buffer_load_dword v33, off, s[40:43], 0 offset:112 ; 4-byte Folded Reload
	v_lshlrev_b32_e32 v39, 16, v34
	v_and_b32_e32 v40, 0xffff0000, v34
	s_waitcnt vmcnt(0)
	v_fmac_f32_e32 v29, v33, v41
	buffer_load_dword v33, off, s[40:43], 0 offset:116 ; 4-byte Folded Reload
	s_waitcnt vmcnt(0)
	v_fmac_f32_e32 v30, v33, v42
	buffer_load_dword v33, off, s[40:43], 0 offset:120 ; 4-byte Folded Reload
	v_fmac_f32_e32 v30, v45, v38
	s_waitcnt vmcnt(0)
	v_fmac_f32_e32 v31, v33, v43
	buffer_load_dword v33, off, s[40:43], 0 offset:124 ; 4-byte Folded Reload
	v_fmac_f32_e32 v31, v46, v39
	s_waitcnt vmcnt(0)
	v_fmac_f32_e32 v32, v33, v44
	global_load_dwordx2 v[33:34], v[35:36], off offset:256
	v_fmac_f32_e32 v32, v47, v40
	s_waitcnt vmcnt(0)
	v_lshlrev_b32_e32 v41, 16, v33
	v_and_b32_e32 v42, 0xffff0000, v33
	buffer_load_dword v33, off, s[40:43], 0 offset:128 ; 4-byte Folded Reload
	v_lshlrev_b32_e32 v43, 16, v34
	v_and_b32_e32 v44, 0xffff0000, v34
	v_fmac_f32_e32 v30, v49, v42
	v_fmac_f32_e32 v31, v50, v43
	;; [unrolled: 1-line block ×3, first 2 shown]
	s_waitcnt vmcnt(0)
	v_fmac_f32_e32 v29, v33, v37
	global_load_dwordx2 v[33:34], v[35:36], off offset:512
	v_fmac_f32_e32 v29, v48, v41
	s_waitcnt vmcnt(0)
	v_lshlrev_b32_e32 v37, 16, v33
	v_and_b32_e32 v38, 0xffff0000, v33
	v_lshlrev_b32_e32 v39, 16, v34
	v_and_b32_e32 v40, 0xffff0000, v34
	global_load_dwordx2 v[33:34], v[35:36], off offset:768
	v_fmac_f32_e32 v29, v52, v37
	v_fmac_f32_e32 v30, v53, v38
	v_fmac_f32_e32 v31, v54, v39
	v_fmac_f32_e32 v32, v55, v40
	s_waitcnt vmcnt(0)
	v_lshlrev_b32_e32 v41, 16, v33
	v_and_b32_e32 v42, 0xffff0000, v33
	v_lshlrev_b32_e32 v43, 16, v34
	v_and_b32_e32 v44, 0xffff0000, v34
	global_load_dwordx2 v[33:34], v[35:36], off offset:1024
	v_fmac_f32_e32 v29, v56, v41
	v_fmac_f32_e32 v30, v57, v42
	v_fmac_f32_e32 v31, v58, v43
	v_fmac_f32_e32 v32, v59, v44
	s_waitcnt vmcnt(0)
	v_lshlrev_b32_e32 v37, 16, v33
	v_and_b32_e32 v38, 0xffff0000, v33
	v_lshlrev_b32_e32 v39, 16, v34
	v_and_b32_e32 v40, 0xffff0000, v34
	global_load_dwordx2 v[33:34], v[35:36], off offset:1280
	v_fmac_f32_e32 v29, v60, v37
	v_fmac_f32_e32 v30, v61, v38
	v_fmac_f32_e32 v31, v62, v39
	v_fmac_f32_e32 v32, v63, v40
	s_waitcnt vmcnt(0)
	v_lshlrev_b32_e32 v41, 16, v33
	v_and_b32_e32 v42, 0xffff0000, v33
	v_lshlrev_b32_e32 v43, 16, v34
	v_and_b32_e32 v44, 0xffff0000, v34
	global_load_dwordx2 v[33:34], v[35:36], off offset:1536
	v_fmac_f32_e32 v29, v64, v41
	v_fmac_f32_e32 v30, v65, v42
	v_fmac_f32_e32 v31, v66, v43
	v_fmac_f32_e32 v32, v67, v44
	s_waitcnt vmcnt(0)
	v_lshlrev_b32_e32 v37, 16, v33
	v_and_b32_e32 v38, 0xffff0000, v33
	v_lshlrev_b32_e32 v39, 16, v34
	v_and_b32_e32 v40, 0xffff0000, v34
	global_load_dwordx2 v[33:34], v[35:36], off offset:1792
	v_fmac_f32_e32 v29, v68, v37
	v_fmac_f32_e32 v30, v69, v38
	v_fmac_f32_e32 v31, v70, v39
	v_fmac_f32_e32 v32, v71, v40
	v_lshlrev_b32_e32 v37, 16, v7
	v_and_b32_e32 v38, 0xffff0000, v7
	v_lshlrev_b32_e32 v39, 16, v8
	v_and_b32_e32 v40, 0xffff0000, v8
	global_load_dwordx2 v[7:8], v[5:6], off offset:256
	s_waitcnt vmcnt(1)
	v_lshlrev_b32_e32 v35, 16, v33
	v_and_b32_e32 v33, 0xffff0000, v33
	v_lshlrev_b32_e32 v36, 16, v34
	v_and_b32_e32 v34, 0xffff0000, v34
	v_fmac_f32_e32 v29, v72, v35
	v_fmac_f32_e32 v30, v75, v33
	v_fmac_f32_e32 v31, v79, v36
	v_fmac_f32_e32 v32, v80, v34
	s_waitcnt vmcnt(0)
	v_lshlrev_b32_e32 v33, 16, v7
	v_and_b32_e32 v34, 0xffff0000, v7
	v_lshlrev_b32_e32 v35, 16, v8
	v_and_b32_e32 v36, 0xffff0000, v8
	global_load_dwordx2 v[7:8], v[5:6], off offset:512
	v_fmac_f32_e32 v29, v81, v37
	v_fmac_f32_e32 v30, v82, v38
	;; [unrolled: 1-line block ×8, first 2 shown]
	s_waitcnt vmcnt(0)
	v_lshlrev_b32_e32 v37, 16, v7
	v_and_b32_e32 v38, 0xffff0000, v7
	v_lshlrev_b32_e32 v39, 16, v8
	v_and_b32_e32 v40, 0xffff0000, v8
	global_load_dwordx2 v[7:8], v[5:6], off offset:768
	v_fmac_f32_e32 v29, v89, v37
	v_fmac_f32_e32 v30, v90, v38
	v_fmac_f32_e32 v31, v91, v39
	v_fmac_f32_e32 v32, v92, v40
	s_waitcnt vmcnt(0)
	v_lshlrev_b32_e32 v33, 16, v7
	v_and_b32_e32 v34, 0xffff0000, v7
	v_lshlrev_b32_e32 v35, 16, v8
	v_and_b32_e32 v36, 0xffff0000, v8
	global_load_dwordx2 v[7:8], v[5:6], off offset:1024
	v_fmac_f32_e32 v29, v93, v33
	v_fmac_f32_e32 v30, v94, v34
	v_fmac_f32_e32 v31, v95, v35
	v_fmac_f32_e32 v32, v96, v36
	;; [unrolled: 10-line block ×3, first 2 shown]
	s_waitcnt vmcnt(0)
	v_lshlrev_b32_e32 v33, 16, v7
	v_and_b32_e32 v34, 0xffff0000, v7
	v_lshlrev_b32_e32 v35, 16, v8
	v_and_b32_e32 v36, 0xffff0000, v8
	s_clause 0x1
	global_load_dwordx2 v[7:8], v[5:6], off offset:1536
	global_load_dwordx2 v[5:6], v[5:6], off offset:1792
	v_fmac_f32_e32 v29, v101, v33
	v_fmac_f32_e32 v30, v102, v34
	;; [unrolled: 1-line block ×4, first 2 shown]
	s_waitcnt vmcnt(1)
	v_lshlrev_b32_e32 v37, 16, v7
	s_waitcnt vmcnt(0)
	v_lshlrev_b32_e32 v33, 16, v5
	v_and_b32_e32 v34, 0xffff0000, v5
	v_lshlrev_b32_e32 v35, 16, v6
	v_and_b32_e32 v36, 0xffff0000, v6
	global_load_dwordx2 v[5:6], v[3:4], off
	v_and_b32_e32 v7, 0xffff0000, v7
	v_lshlrev_b32_e32 v38, 16, v8
	v_and_b32_e32 v8, 0xffff0000, v8
	v_fmac_f32_e32 v29, v105, v37
	v_fmac_f32_e32 v30, v106, v7
	;; [unrolled: 1-line block ×8, first 2 shown]
	s_waitcnt vmcnt(0)
	v_lshlrev_b32_e32 v7, 16, v5
	v_and_b32_e32 v8, 0xffff0000, v5
	v_lshlrev_b32_e32 v37, 16, v6
	v_and_b32_e32 v38, 0xffff0000, v6
	global_load_dwordx2 v[5:6], v[3:4], off offset:256
	v_fmac_f32_e32 v29, v113, v7
	v_fmac_f32_e32 v30, v114, v8
	v_fmac_f32_e32 v31, v115, v37
	v_fmac_f32_e32 v32, v116, v38
	s_waitcnt vmcnt(0)
	v_lshlrev_b32_e32 v33, 16, v5
	v_and_b32_e32 v34, 0xffff0000, v5
	v_lshlrev_b32_e32 v35, 16, v6
	v_and_b32_e32 v36, 0xffff0000, v6
	global_load_dwordx2 v[5:6], v[3:4], off offset:512
	v_fmac_f32_e32 v29, v117, v33
	v_fmac_f32_e32 v30, v118, v34
	v_fmac_f32_e32 v31, v119, v35
	v_fmac_f32_e32 v32, v120, v36
	;; [unrolled: 10-line block ×5, first 2 shown]
	s_waitcnt vmcnt(0)
	v_lshlrev_b32_e32 v33, 16, v5
	v_and_b32_e32 v34, 0xffff0000, v5
	v_lshlrev_b32_e32 v35, 16, v6
	v_and_b32_e32 v36, 0xffff0000, v6
	s_clause 0x1
	global_load_dwordx2 v[5:6], v[3:4], off offset:1536
	global_load_dwordx2 v[3:4], v[3:4], off offset:1792
	v_fmac_f32_e32 v29, v0, v33
	v_fmac_f32_e32 v30, v11, v34
	;; [unrolled: 1-line block ×4, first 2 shown]
	s_waitcnt vmcnt(1)
	v_lshlrev_b32_e32 v7, 16, v5
	v_and_b32_e32 v5, 0xffff0000, v5
	v_lshlrev_b32_e32 v8, 16, v6
	v_and_b32_e32 v6, 0xffff0000, v6
	v_fmac_f32_e32 v29, v14, v7
	v_fmac_f32_e32 v30, v15, v5
	s_waitcnt vmcnt(0)
	v_lshlrev_b32_e32 v5, 16, v3
	v_and_b32_e32 v3, 0xffff0000, v3
	v_fmac_f32_e32 v31, v16, v8
	v_fmac_f32_e32 v32, v17, v6
	;; [unrolled: 1-line block ×4, first 2 shown]
	v_lshlrev_b32_e32 v3, 16, v4
	v_and_b32_e32 v4, 0xffff0000, v4
	v_fmac_f32_e32 v31, v20, v3
	v_add_f32_e32 v3, v29, v30
	v_fmac_f32_e32 v32, v21, v4
	v_add_f32_e32 v3, v3, v31
	v_add_f32_e32 v3, v32, v3
	ds_bpermute_b32 v4, v25, v3
	s_and_saveexec_b32 s36, vcc_lo
	s_cbranch_execz .LBB170_9
; %bb.11:                               ;   in Loop: Header=BB170_10 Depth=1
	v_add_nc_u32_e32 v5, s4, v26
	s_waitcnt lgkmcnt(0)
	v_add_f32_e32 v3, v3, v4
	v_cmp_gt_i32_e64 s3, s23, v26
	v_cvt_f32_i32_e32 v5, v5
	v_mul_f32_e32 v5, s34, v5
	v_cndmask_b32_e64 v4, 0, v5, s2
	v_max_f32_e32 v5, v23, v23
	v_fmac_f32_e32 v4, s31, v3
	v_max_f32_e32 v3, v5, v4
	v_cndmask_b32_e64 v4, 0, v4, s3
	v_cndmask_b32_e64 v23, v23, v3, s3
	ds_write_b32 v27, v4
	s_branch .LBB170_9
.LBB170_12:
	s_or_b32 exec_lo, exec_lo, s15
	s_clause 0x5
	buffer_load_dword v108, off, s[40:43], 0 offset:132
	buffer_load_dword v109, off, s[40:43], 0 offset:136
	;; [unrolled: 1-line block ×6, first 2 shown]
	v_mov_b32_e32 v9, 0
	v_mov_b32_e32 v10, 32
	s_waitcnt vmcnt(5)
	v_lshrrev_b32_e32 v107, 1, v108
.LBB170_13:
	s_or_b32 exec_lo, exec_lo, s35
	s_waitcnt vmcnt(0)
	v_xor_b32_e32 v0, 16, v24
	v_xor_b32_e32 v1, 8, v24
	v_max_f32_e32 v3, v23, v23
	v_and_b32_e32 v79, 31, v108
	v_lshlrev_b32_e32 v6, 2, v110
	v_cmp_lt_i32_e32 vcc_lo, v0, v10
	v_cndmask_b32_e32 v0, v24, v0, vcc_lo
	v_cmp_lt_i32_e32 vcc_lo, v1, v10
	v_lshlrev_b32_e32 v2, 2, v0
	v_cndmask_b32_e32 v1, v24, v1, vcc_lo
	ds_bpermute_b32 v0, v2, v23
	s_waitcnt lgkmcnt(0)
	v_lshlrev_b32_e32 v4, 2, v1
	v_max_f32_e32 v0, v0, v0
	v_max_f32_e32 v0, v3, v0
	v_xor_b32_e32 v3, 4, v24
	ds_bpermute_b32 v1, v4, v0
	v_cmp_lt_i32_e32 vcc_lo, v3, v10
	v_cndmask_b32_e32 v3, v24, v3, vcc_lo
	v_lshlrev_b32_e32 v5, 2, v3
	v_xor_b32_e32 v3, 2, v24
	v_cmp_lt_i32_e32 vcc_lo, v3, v10
	s_waitcnt lgkmcnt(0)
	v_max_f32_e32 v1, v1, v1
	v_cndmask_b32_e32 v3, v24, v3, vcc_lo
	v_cmp_eq_u32_e32 vcc_lo, 0, v79
	v_max_f32_e32 v0, v0, v1
	ds_bpermute_b32 v1, v5, v0
	s_waitcnt lgkmcnt(0)
	v_max_f32_e32 v1, v1, v1
	v_max_f32_e32 v0, v0, v1
	v_lshlrev_b32_e32 v1, 2, v3
	ds_bpermute_b32 v3, v1, v0
	s_and_saveexec_b32 s2, vcc_lo
	s_cbranch_execz .LBB170_15
; %bb.14:
	s_waitcnt lgkmcnt(0)
	v_max_f32_e32 v3, v3, v3
	v_max_f32_e32 v0, v0, v0
	;; [unrolled: 1-line block ×3, first 2 shown]
	ds_write_b32 v6, v0 offset:512
.LBB170_15:
	s_or_b32 exec_lo, exec_lo, s2
	v_cmp_gt_u32_e64 s2, 4, v79
	v_mov_b32_e32 v0, 0xff7fffff
	v_lshlrev_b32_e32 v7, 2, v79
	s_waitcnt lgkmcnt(0)
	s_waitcnt_vscnt null, 0x0
	s_barrier
	buffer_gl0_inv
	s_and_saveexec_b32 s3, s2
; %bb.16:
	ds_read_b32 v0, v7 offset:512
; %bb.17:
	s_or_b32 exec_lo, exec_lo, s3
	s_waitcnt lgkmcnt(0)
	ds_bpermute_b32 v3, v1, v0
	v_xor_b32_e32 v8, 1, v24
	v_max_f32_e32 v0, v0, v0
	v_cmp_lt_i32_e64 s3, v8, v10
	v_cndmask_b32_e64 v8, v24, v8, s3
	s_sub_i32 s3, s11, s30
	s_lshl_b32 s3, s3, 4
	v_lshlrev_b32_e32 v80, 2, v8
	s_add_i32 s3, s3, s33
	v_mov_b32_e32 v8, 0
	s_min_i32 s3, s3, s23
	s_waitcnt lgkmcnt(0)
	v_max_f32_e32 v3, v3, v3
	s_sub_i32 s5, s3, s33
	v_cmp_gt_i32_e64 s3, s5, v108
	v_max_f32_e32 v0, v0, v3
	ds_bpermute_b32 v3, v80, v0
	s_waitcnt lgkmcnt(0)
	v_max_f32_e32 v3, v3, v3
	v_max_f32_e32 v0, v0, v3
	v_lshlrev_b32_e32 v3, 2, v9
	ds_bpermute_b32 v0, v3, v0
	v_lshl_add_u32 v3, v108, 2, 0x220
	s_and_saveexec_b32 s15, s3
	s_cbranch_execz .LBB170_21
; %bb.18:
	v_lshl_add_u32 v9, v108, 2, 0x220
	v_mov_b32_e32 v8, 0
	v_mov_b32_e32 v10, v108
	s_mov_b32 s30, 0
	.p2align	6
.LBB170_19:                             ; =>This Inner Loop Header: Depth=1
	ds_read_b32 v11, v9
	v_add_nc_u32_e32 v10, 0x80, v10
	v_cmp_le_i32_e64 s4, s5, v10
	s_or_b32 s30, s4, s30
	s_waitcnt lgkmcnt(0)
	v_sub_f32_e32 v11, v11, v0
	v_mul_f32_e32 v11, 0x3fb8aa3b, v11
	v_exp_f32_e32 v11, v11
	ds_write_b32 v9, v11
	v_add_f32_e32 v8, v8, v11
	v_add_nc_u32_e32 v9, 0x200, v9
	s_andn2_b32 exec_lo, exec_lo, s30
	s_cbranch_execnz .LBB170_19
; %bb.20:
	s_or_b32 exec_lo, exec_lo, s30
.LBB170_21:
	s_or_b32 exec_lo, exec_lo, s15
	ds_bpermute_b32 v2, v2, v8
	s_waitcnt lgkmcnt(0)
	v_add_f32_e32 v2, v8, v2
	ds_bpermute_b32 v4, v4, v2
	s_waitcnt lgkmcnt(0)
	v_add_f32_e32 v2, v2, v4
	;; [unrolled: 3-line block ×5, first 2 shown]
	s_and_saveexec_b32 s4, vcc_lo
; %bb.22:
	ds_write_b32 v6, v2 offset:528
; %bb.23:
	s_or_b32 exec_lo, exec_lo, s4
	s_waitcnt lgkmcnt(0)
	s_barrier
	buffer_gl0_inv
	s_and_saveexec_b32 s4, s2
; %bb.24:
	ds_read_b32 v2, v7 offset:528
; %bb.25:
	s_or_b32 exec_lo, exec_lo, s4
	s_waitcnt lgkmcnt(0)
	ds_bpermute_b32 v1, v1, v2
	v_lshlrev_b32_e32 v4, 2, v24
	s_waitcnt lgkmcnt(0)
	v_add_f32_e32 v1, v2, v1
	ds_bpermute_b32 v2, v80, v1
	s_waitcnt lgkmcnt(0)
	v_add_f32_e32 v1, v1, v2
	v_and_b32_e32 v2, 0xffffff80, v4
	ds_bpermute_b32 v1, v2, v1
	s_and_saveexec_b32 s2, s3
	s_cbranch_execz .LBB170_28
; %bb.26:
	s_waitcnt lgkmcnt(0)
	v_add_f32_e32 v2, 0x358637bd, v1
	s_mov_b32 s3, 0
	v_div_scale_f32 v4, null, v2, v2, 1.0
	v_div_scale_f32 v7, vcc_lo, 1.0, v2, 1.0
	v_rcp_f32_e32 v5, v4
	v_fma_f32 v6, -v4, v5, 1.0
	v_fmac_f32_e32 v5, v6, v5
	v_mul_f32_e32 v6, v7, v5
	v_fma_f32 v8, -v4, v6, v7
	v_fmac_f32_e32 v6, v8, v5
	v_fma_f32 v4, -v4, v6, v7
	v_div_fmas_f32 v4, v4, v5, v6
	v_div_fixup_f32 v2, v4, v2, 1.0
	v_mov_b32_e32 v4, v108
.LBB170_27:                             ; =>This Inner Loop Header: Depth=1
	ds_read_b32 v5, v3
	v_add_nc_u32_e32 v4, 0x80, v4
	v_cmp_le_i32_e32 vcc_lo, s5, v4
	s_or_b32 s3, vcc_lo, s3
	s_waitcnt lgkmcnt(0)
	v_mul_f32_e32 v5, v2, v5
	ds_write_b32 v3, v5
	v_add_nc_u32_e32 v3, 0x200, v3
	s_andn2_b32 exec_lo, exec_lo, s3
	s_cbranch_execnz .LBB170_27
.LBB170_28:
	s_or_b32 exec_lo, exec_lo, s2
	s_mul_i32 s2, s7, s22
	s_waitcnt lgkmcnt(0)
	s_mul_i32 s4, s2, s9
	s_mov_b32 s2, exec_lo
	s_barrier
	buffer_gl0_inv
	v_cmpx_eq_u32_e32 0, v108
	s_cbranch_execz .LBB170_30
; %bb.29:
	s_ashr_i32 s5, s4, 31
	s_mul_i32 s34, s7, s6
	s_lshl_b64 s[30:31], s[4:5], 2
	v_mov_b32_e32 v2, 0
	s_add_u32 s3, s18, s30
	s_addc_u32 s5, s19, s31
	s_ashr_i32 s35, s34, 31
	s_lshl_b64 s[18:19], s[34:35], 2
	s_add_u32 s3, s3, s18
	s_addc_u32 s5, s5, s19
	s_ashr_i32 s9, s8, 31
	s_lshl_b64 s[34:35], s[8:9], 2
	s_add_u32 s36, s3, s34
	s_addc_u32 s37, s5, s35
	s_add_u32 s3, s16, s30
	s_addc_u32 s5, s17, s31
	s_add_u32 s3, s3, s18
	s_addc_u32 s5, s5, s19
	s_add_u32 s16, s3, s34
	s_addc_u32 s17, s5, s35
	global_store_dword v2, v0, s[36:37]
	global_store_dword v2, v1, s[16:17]
.LBB170_30:
	s_or_b32 exec_lo, exec_lo, s2
	v_mov_b32_e32 v95, 0
	v_mov_b32_e32 v96, 0
	;; [unrolled: 1-line block ×16, first 2 shown]
	s_and_saveexec_b32 s5, s1
	s_cbranch_execz .LBB170_66
; %bb.31:
	v_lshlrev_b32_e32 v0, 4, v108
	s_ashr_i32 s15, s14, 31
	v_and_b32_e32 v1, 8, v22
	s_lshl_b64 s[2:3], s[14:15], 1
	v_lshlrev_b32_e32 v2, 5, v109
	v_and_b32_e32 v0, 0x1f0, v0
	s_add_u32 s1, s28, s2
	s_addc_u32 s2, s29, s3
	v_add3_u32 v100, s33, v26, v1
	s_add_i32 s6, s12, -1
	v_add_co_u32 v98, s1, s1, v0
	v_lshlrev_b64 v[0:1], 2, v[73:74]
	v_add_co_ci_u32_e64 v99, null, s2, 0, s1
	s_lshl_b64 s[2:3], s[26:27], 2
	v_lshl_or_b32 v2, v110, 6, v2
	s_add_u32 s1, s24, s2
	s_addc_u32 s2, s25, s3
	v_add_co_u32 v74, vcc_lo, s1, v0
	v_mov_b32_e32 v97, 0
	v_add_nc_u32_e32 v101, 0x220, v2
	v_add_co_ci_u32_e64 v75, null, s2, v1, vcc_lo
	v_mov_b32_e32 v81, 0
	v_mov_b32_e32 v82, 0
	;; [unrolled: 1-line block ×16, first 2 shown]
	s_mov_b32 s9, s13
	s_mov_b32 s13, s23
	;; [unrolled: 1-line block ×3, first 2 shown]
	s_branch .LBB170_33
.LBB170_32:                             ;   in Loop: Header=BB170_33 Depth=1
	s_or_b32 exec_lo, exec_lo, s3
	s_waitcnt lgkmcnt(1)
	v_bfe_u32 v0, v49, 16, 1
	v_bfe_u32 v76, v50, 16, 1
	v_or_b32_e32 v77, 0x400000, v49
	v_cmp_u_f32_e32 vcc_lo, v49, v49
	v_or_b32_e32 v78, 0x400000, v50
	v_add3_u32 v0, v0, v49, 0x7fff
	v_bfe_u32 v102, v51, 16, 1
	v_add3_u32 v76, v76, v50, 0x7fff
	v_bfe_u32 v103, v52, 16, 1
	v_add_nc_u32_e32 v73, 4, v73
	v_cndmask_b32_e32 v0, v0, v77, vcc_lo
	v_cmp_u_f32_e32 vcc_lo, v50, v50
	v_add3_u32 v50, v102, v51, 0x7fff
	s_waitcnt lgkmcnt(0)
	v_bfe_u32 v77, v45, 16, 1
	v_or_b32_e32 v102, 0x400000, v52
	v_add_co_u32 v74, s1, v74, 16
	v_cndmask_b32_e32 v49, v76, v78, vcc_lo
	v_or_b32_e32 v76, 0x400000, v51
	v_cmp_u_f32_e32 vcc_lo, v51, v51
	v_add3_u32 v78, v103, v52, 0x7fff
	v_add3_u32 v51, v77, v45, 0x7fff
	v_bfe_u32 v77, v46, 16, 1
	v_add_nc_u32_e32 v100, 64, v100
	v_cndmask_b32_e32 v50, v50, v76, vcc_lo
	v_cmp_u_f32_e32 vcc_lo, v52, v52
	v_or_b32_e32 v76, 0x400000, v45
	v_add3_u32 v77, v77, v46, 0x7fff
	v_add_nc_u32_e32 v101, 0x100, v101
	v_and_b32_e32 v50, 0xffff0000, v50
	v_cndmask_b32_e32 v52, v78, v102, vcc_lo
	v_cmp_u_f32_e32 vcc_lo, v45, v45
	v_and_b32_e32 v45, 0xffff0000, v49
	s_waitcnt vmcnt(1)
	v_and_b32_e32 v49, 0xffff0000, v69
	v_or_b32_e32 v78, 0x400000, v46
	v_or_b32_e32 v102, 0x400000, v47
	v_cndmask_b32_e32 v51, v51, v76, vcc_lo
	v_bfe_u32 v76, v47, 16, 1
	v_cmp_u_f32_e32 vcc_lo, v46, v46
	v_mul_f32_e32 v103, v45, v49
	v_and_b32_e32 v49, 0xffff0000, v0
	v_lshlrev_b32_e32 v0, 16, v69
	v_add3_u32 v76, v76, v47, 0x7fff
	v_cndmask_b32_e32 v46, v77, v78, vcc_lo
	v_bfe_u32 v77, v48, 16, 1
	v_cmp_u_f32_e32 vcc_lo, v47, v47
	v_bfe_u32 v47, v103, 16, 1
	v_mul_f32_e32 v0, v49, v0
	v_and_b32_e32 v46, 0xffff0000, v46
	v_add3_u32 v69, v77, v48, 0x7fff
	v_cndmask_b32_e32 v76, v76, v102, vcc_lo
	v_or_b32_e32 v77, 0x400000, v48
	v_cmp_u_f32_e32 vcc_lo, v48, v48
	v_add3_u32 v78, v47, v103, 0x7fff
	v_or_b32_e32 v102, 0x400000, v103
	v_and_b32_e32 v47, 0xffff0000, v52
	v_and_b32_e32 v52, 0xffff0000, v70
	v_cndmask_b32_e32 v48, v69, v77, vcc_lo
	v_cmp_u_f32_e32 vcc_lo, v103, v103
	v_bfe_u32 v77, v0, 16, 1
	v_add_co_ci_u32_e64 v75, null, 0, v75, s1
	v_and_b32_e32 v48, 0xffff0000, v48
	v_cndmask_b32_e32 v69, v78, v102, vcc_lo
	v_mul_f32_e32 v78, v47, v52
	v_lshlrev_b32_e32 v52, 16, v70
	v_and_b32_e32 v70, 0xffff0000, v71
	v_add3_u32 v77, v77, v0, 0x7fff
	v_or_b32_e32 v102, 0x400000, v0
	v_bfe_u32 v103, v78, 16, 1
	v_mul_f32_e32 v104, v50, v52
	v_cmp_u_f32_e32 vcc_lo, v0, v0
	v_mul_f32_e32 v70, v46, v70
	v_and_b32_e32 v52, 0xffff0000, v51
	v_lshlrev_b32_e32 v51, 16, v71
	v_and_b32_e32 v69, 0xffff0000, v69
	v_cndmask_b32_e32 v0, v77, v102, vcc_lo
	v_add3_u32 v77, v103, v78, 0x7fff
	v_or_b32_e32 v102, 0x400000, v78
	v_bfe_u32 v103, v104, 16, 1
	v_cmp_u_f32_e32 vcc_lo, v78, v78
	v_bfe_u32 v105, v70, 16, 1
	v_or_b32_e32 v78, 0x400000, v104
	v_and_b32_e32 v0, 0xffff0000, v0
	v_cndmask_b32_e32 v71, v77, v102, vcc_lo
	v_add3_u32 v77, v103, v104, 0x7fff
	v_mul_f32_e32 v102, v52, v51
	v_cmp_u_f32_e32 vcc_lo, v104, v104
	v_add3_u32 v51, v105, v70, 0x7fff
	v_and_b32_e32 v103, 0xffff0000, v72
	v_or_b32_e32 v105, 0x400000, v70
	v_bfe_u32 v106, v102, 16, 1
	v_cndmask_b32_e32 v77, v77, v78, vcc_lo
	v_cmp_u_f32_e32 vcc_lo, v70, v70
	v_mul_f32_e32 v78, v48, v103
	v_or_b32_e32 v104, 0x400000, v102
	v_add3_u32 v103, v106, v102, 0x7fff
	v_lshlrev_b32_e32 v72, 16, v72
	v_cndmask_b32_e32 v70, v51, v105, vcc_lo
	v_cmp_u_f32_e32 vcc_lo, v102, v102
	v_bfe_u32 v105, v78, 16, 1
	v_and_b32_e32 v51, 0xffff0000, v76
	v_and_b32_e32 v77, 0xffff0000, v77
	;; [unrolled: 1-line block ×3, first 2 shown]
	v_cndmask_b32_e32 v76, v103, v104, vcc_lo
	v_add3_u32 v102, v105, v78, 0x7fff
	v_or_b32_e32 v103, 0x400000, v78
	v_mul_f32_e32 v72, v51, v72
	v_cmp_u_f32_e32 vcc_lo, v78, v78
	v_add_f32_e32 v0, v0, v69
	v_add_f32_e32 v69, v77, v71
	v_and_b32_e32 v71, 0xffff0000, v76
	v_and_b32_e32 v76, 0xffff0000, v65
	;; [unrolled: 1-line block ×3, first 2 shown]
	v_cndmask_b32_e32 v78, v102, v103, vcc_lo
	v_bfe_u32 v102, v72, 16, 1
	v_add_f32_e32 v0, v69, v0
	v_mul_f32_e32 v69, v45, v76
	v_add_f32_e32 v70, v71, v70
	v_lshlrev_b32_e32 v65, 16, v65
	v_add3_u32 v77, v102, v72, 0x7fff
	v_or_b32_e32 v102, 0x400000, v72
	v_cmp_u_f32_e32 vcc_lo, v72, v72
	v_bfe_u32 v72, v69, 16, 1
	v_add_f32_e32 v0, v70, v0
	v_mul_f32_e32 v65, v49, v65
	v_and_b32_e32 v70, 0xffff0000, v66
	v_cndmask_b32_e32 v71, v77, v102, vcc_lo
	v_add3_u32 v72, v72, v69, 0x7fff
	v_or_b32_e32 v76, 0x400000, v69
	v_bfe_u32 v77, v65, 16, 1
	v_mul_f32_e32 v70, v47, v70
	v_lshlrev_b32_e32 v66, 16, v66
	v_cmp_u_f32_e32 vcc_lo, v69, v69
	v_and_b32_e32 v102, 0xffff0000, v67
	v_lshlrev_b32_e32 v67, 16, v67
	v_and_b32_e32 v103, 0xffff0000, v68
	v_mul_f32_e32 v66, v50, v66
	v_cndmask_b32_e32 v69, v72, v76, vcc_lo
	v_add3_u32 v72, v77, v65, 0x7fff
	v_or_b32_e32 v76, 0x400000, v65
	v_bfe_u32 v77, v70, 16, 1
	v_cmp_u_f32_e32 vcc_lo, v65, v65
	v_mul_f32_e32 v102, v46, v102
	v_mul_f32_e32 v67, v52, v67
	v_lshlrev_b32_e32 v68, 16, v68
	v_and_b32_e32 v69, 0xffff0000, v69
	v_cndmask_b32_e32 v65, v72, v76, vcc_lo
	v_add3_u32 v72, v77, v70, 0x7fff
	v_or_b32_e32 v76, 0x400000, v70
	v_bfe_u32 v77, v66, 16, 1
	v_cmp_u_f32_e32 vcc_lo, v70, v70
	v_mul_f32_e32 v68, v51, v68
	v_or_b32_e32 v104, 0x400000, v67
	v_and_b32_e32 v65, 0xffff0000, v65
	v_and_b32_e32 v71, 0xffff0000, v71
	v_cndmask_b32_e32 v70, v72, v76, vcc_lo
	v_add3_u32 v72, v77, v66, 0x7fff
	v_or_b32_e32 v76, 0x400000, v66
	v_bfe_u32 v77, v102, 16, 1
	v_cmp_u_f32_e32 vcc_lo, v66, v66
	v_bfe_u32 v106, v68, 16, 1
	v_and_b32_e32 v70, 0xffff0000, v70
	v_add_f32_e32 v65, v65, v69
	v_cndmask_b32_e32 v66, v72, v76, vcc_lo
	v_bfe_u32 v72, v67, 16, 1
	v_add3_u32 v76, v77, v102, 0x7fff
	v_mul_f32_e32 v77, v48, v103
	v_or_b32_e32 v103, 0x400000, v102
	v_cmp_u_f32_e32 vcc_lo, v102, v102
	v_add3_u32 v72, v72, v67, 0x7fff
	v_add3_u32 v102, v106, v68, 0x7fff
	v_bfe_u32 v105, v77, 16, 1
	v_and_b32_e32 v66, 0xffff0000, v66
	v_cndmask_b32_e32 v76, v76, v103, vcc_lo
	v_cmp_u_f32_e32 vcc_lo, v67, v67
	v_or_b32_e32 v103, 0x400000, v68
	v_add_f32_e32 v66, v66, v70
	v_and_b32_e32 v69, 0xffff0000, v76
	v_cndmask_b32_e32 v67, v72, v104, vcc_lo
	v_cmp_u_f32_e32 vcc_lo, v68, v68
	v_add3_u32 v72, v105, v77, 0x7fff
	v_or_b32_e32 v104, 0x400000, v77
	v_add_f32_e32 v65, v66, v65
	v_and_b32_e32 v67, 0xffff0000, v67
	v_cndmask_b32_e32 v68, v102, v103, vcc_lo
	v_cmp_u_f32_e32 vcc_lo, v77, v77
	v_add_f32_e32 v66, v67, v69
	v_and_b32_e32 v67, 0xffff0000, v68
	v_cndmask_b32_e32 v70, v72, v104, vcc_lo
	v_and_b32_e32 v72, 0xffff0000, v78
	v_and_b32_e32 v69, 0xffff0000, v61
	v_lshlrev_b32_e32 v61, 16, v61
	v_add_f32_e32 v65, v66, v65
	v_and_b32_e32 v68, 0xffff0000, v70
	v_add_f32_e32 v70, v71, v72
	v_mul_f32_e32 v61, v49, v61
	v_add_f32_e32 v66, v67, v68
	v_mul_f32_e32 v67, v45, v69
	v_add_f32_e32 v0, v70, v0
	v_and_b32_e32 v68, 0xffff0000, v62
	v_lshlrev_b32_e32 v62, 16, v62
	v_add_f32_e32 v65, v66, v65
	v_bfe_u32 v66, v67, 16, 1
	v_add_f32_e32 v82, v82, v0
	v_bfe_u32 v0, v61, 16, 1
	v_mul_f32_e32 v68, v47, v68
	v_add_f32_e32 v83, v83, v65
	v_add3_u32 v65, v66, v67, 0x7fff
	v_or_b32_e32 v66, 0x400000, v67
	v_cmp_u_f32_e32 vcc_lo, v67, v67
	v_add3_u32 v0, v0, v61, 0x7fff
	v_or_b32_e32 v69, 0x400000, v61
	v_or_b32_e32 v67, 0x400000, v68
	v_and_b32_e32 v70, 0xffff0000, v64
	v_cndmask_b32_e32 v65, v65, v66, vcc_lo
	v_bfe_u32 v66, v68, 16, 1
	v_cmp_u_f32_e32 vcc_lo, v61, v61
	v_mul_f32_e32 v61, v50, v62
	v_and_b32_e32 v62, 0xffff0000, v63
	v_lshlrev_b32_e32 v63, 16, v63
	v_add3_u32 v66, v66, v68, 0x7fff
	v_cndmask_b32_e32 v0, v0, v69, vcc_lo
	v_bfe_u32 v69, v61, 16, 1
	v_mul_f32_e32 v62, v46, v62
	v_cmp_u_f32_e32 vcc_lo, v68, v68
	v_mul_f32_e32 v63, v52, v63
	v_or_b32_e32 v68, 0x400000, v61
	v_lshlrev_b32_e32 v64, 16, v64
	v_and_b32_e32 v0, 0xffff0000, v0
	v_cndmask_b32_e32 v66, v66, v67, vcc_lo
	v_add3_u32 v67, v69, v61, 0x7fff
	v_bfe_u32 v69, v62, 16, 1
	v_cmp_u_f32_e32 vcc_lo, v61, v61
	v_bfe_u32 v71, v63, 16, 1
	v_mul_f32_e32 v64, v51, v64
	v_and_b32_e32 v65, 0xffff0000, v65
	v_and_b32_e32 v66, 0xffff0000, v66
	v_cndmask_b32_e32 v61, v67, v68, vcc_lo
	v_add3_u32 v67, v69, v62, 0x7fff
	v_mul_f32_e32 v68, v48, v70
	v_or_b32_e32 v69, 0x400000, v62
	v_cmp_u_f32_e32 vcc_lo, v62, v62
	v_add3_u32 v70, v71, v63, 0x7fff
	v_or_b32_e32 v71, 0x400000, v63
	v_bfe_u32 v72, v68, 16, 1
	v_and_b32_e32 v61, 0xffff0000, v61
	v_cndmask_b32_e32 v62, v67, v69, vcc_lo
	v_cmp_u_f32_e32 vcc_lo, v63, v63
	v_or_b32_e32 v69, 0x400000, v68
	v_add3_u32 v67, v72, v68, 0x7fff
	v_add_f32_e32 v0, v0, v65
	v_add_f32_e32 v61, v61, v66
	v_cndmask_b32_e32 v63, v70, v71, vcc_lo
	v_bfe_u32 v70, v64, 16, 1
	v_cmp_u_f32_e32 vcc_lo, v68, v68
	v_and_b32_e32 v65, 0xffff0000, v57
	v_and_b32_e32 v62, 0xffff0000, v62
	;; [unrolled: 1-line block ×3, first 2 shown]
	v_add3_u32 v68, v70, v64, 0x7fff
	v_cndmask_b32_e32 v67, v67, v69, vcc_lo
	v_or_b32_e32 v69, 0x400000, v64
	v_cmp_u_f32_e32 vcc_lo, v64, v64
	v_add_f32_e32 v0, v61, v0
	v_mul_f32_e32 v61, v45, v65
	v_add_f32_e32 v62, v63, v62
	v_lshlrev_b32_e32 v57, 16, v57
	v_cndmask_b32_e32 v64, v68, v69, vcc_lo
	v_and_b32_e32 v68, 0xffff0000, v60
	v_bfe_u32 v65, v61, 16, 1
	v_add_f32_e32 v0, v62, v0
	v_mul_f32_e32 v57, v49, v57
	v_and_b32_e32 v63, 0xffff0000, v64
	v_and_b32_e32 v64, 0xffff0000, v67
	v_and_b32_e32 v62, 0xffff0000, v58
	v_lshlrev_b32_e32 v58, 16, v58
	v_bfe_u32 v66, v57, 16, 1
	v_cmp_u_f32_e32 vcc_lo, v61, v61
	v_add_f32_e32 v63, v63, v64
	v_add3_u32 v64, v65, v61, 0x7fff
	v_or_b32_e32 v65, 0x400000, v61
	v_mul_f32_e32 v62, v47, v62
	v_mul_f32_e32 v58, v50, v58
	v_and_b32_e32 v67, 0xffff0000, v59
	v_lshlrev_b32_e32 v59, 16, v59
	v_cndmask_b32_e32 v61, v64, v65, vcc_lo
	v_add3_u32 v64, v66, v57, 0x7fff
	v_or_b32_e32 v65, 0x400000, v57
	v_bfe_u32 v66, v62, 16, 1
	v_cmp_u_f32_e32 vcc_lo, v57, v57
	v_mul_f32_e32 v67, v46, v67
	v_mul_f32_e32 v59, v52, v59
	v_lshlrev_b32_e32 v60, 16, v60
	v_and_b32_e32 v61, 0xffff0000, v61
	v_cndmask_b32_e32 v57, v64, v65, vcc_lo
	v_add3_u32 v64, v66, v62, 0x7fff
	v_or_b32_e32 v65, 0x400000, v62
	v_bfe_u32 v66, v58, 16, 1
	v_cmp_u_f32_e32 vcc_lo, v62, v62
	v_mul_f32_e32 v60, v51, v60
	v_or_b32_e32 v69, 0x400000, v59
	v_and_b32_e32 v57, 0xffff0000, v57
	v_add_f32_e32 v0, v63, v0
	v_cndmask_b32_e32 v62, v64, v65, vcc_lo
	v_add3_u32 v64, v66, v58, 0x7fff
	v_or_b32_e32 v65, 0x400000, v58
	v_bfe_u32 v66, v67, 16, 1
	v_cmp_u_f32_e32 vcc_lo, v58, v58
	v_and_b32_e32 v62, 0xffff0000, v62
	v_add_f32_e32 v57, v57, v61
	v_add_f32_e32 v84, v84, v0
	v_cndmask_b32_e32 v58, v64, v65, vcc_lo
	v_bfe_u32 v64, v59, 16, 1
	v_add3_u32 v65, v66, v67, 0x7fff
	v_mul_f32_e32 v66, v48, v68
	v_or_b32_e32 v68, 0x400000, v67
	v_cmp_u_f32_e32 vcc_lo, v67, v67
	v_add3_u32 v64, v64, v59, 0x7fff
	v_bfe_u32 v67, v60, 16, 1
	v_bfe_u32 v70, v66, 16, 1
	v_and_b32_e32 v58, 0xffff0000, v58
	v_cndmask_b32_e32 v65, v65, v68, vcc_lo
	v_cmp_u_f32_e32 vcc_lo, v59, v59
	v_add3_u32 v67, v67, v60, 0x7fff
	v_or_b32_e32 v68, 0x400000, v66
	v_add_f32_e32 v58, v58, v62
	v_and_b32_e32 v61, 0xffff0000, v65
	v_cndmask_b32_e32 v59, v64, v69, vcc_lo
	v_or_b32_e32 v69, 0x400000, v60
	v_cmp_u_f32_e32 vcc_lo, v60, v60
	v_add3_u32 v64, v70, v66, 0x7fff
	v_add_f32_e32 v57, v58, v57
	v_and_b32_e32 v59, 0xffff0000, v59
	v_cndmask_b32_e32 v60, v67, v69, vcc_lo
	v_cmp_u_f32_e32 vcc_lo, v66, v66
	v_add_f32_e32 v58, v59, v61
	v_and_b32_e32 v59, 0xffff0000, v53
	v_and_b32_e32 v60, 0xffff0000, v60
	v_cndmask_b32_e32 v62, v64, v68, vcc_lo
	v_lshlrev_b32_e32 v53, 16, v53
	v_add_f32_e32 v57, v58, v57
	v_mul_f32_e32 v59, v45, v59
	v_and_b32_e32 v61, 0xffff0000, v62
	v_mul_f32_e32 v53, v49, v53
	v_cmp_u_f32_e32 vcc_lo, v59, v59
	v_add_f32_e32 v58, v60, v61
	v_and_b32_e32 v60, 0xffff0000, v54
	v_bfe_u32 v61, v59, 16, 1
	v_bfe_u32 v0, v53, 16, 1
	v_lshlrev_b32_e32 v54, 16, v54
	v_add_f32_e32 v57, v58, v57
	v_mul_f32_e32 v58, v47, v60
	v_add3_u32 v60, v61, v59, 0x7fff
	v_or_b32_e32 v61, 0x400000, v59
	v_add3_u32 v0, v0, v53, 0x7fff
	v_or_b32_e32 v62, 0x400000, v53
	v_bfe_u32 v63, v58, 16, 1
	v_add_f32_e32 v85, v85, v57
	v_cndmask_b32_e32 v59, v60, v61, vcc_lo
	v_cmp_u_f32_e32 vcc_lo, v53, v53
	v_mul_f32_e32 v53, v50, v54
	v_and_b32_e32 v61, 0xffff0000, v55
	v_add3_u32 v54, v63, v58, 0x7fff
	v_or_b32_e32 v60, 0x400000, v58
	v_cndmask_b32_e32 v0, v0, v62, vcc_lo
	v_lshlrev_b32_e32 v55, 16, v55
	v_bfe_u32 v62, v53, 16, 1
	v_cmp_u_f32_e32 vcc_lo, v58, v58
	v_mul_f32_e32 v58, v46, v61
	v_or_b32_e32 v61, 0x400000, v53
	v_mul_f32_e32 v55, v52, v55
	v_and_b32_e32 v0, 0xffff0000, v0
	v_cndmask_b32_e32 v54, v54, v60, vcc_lo
	v_add3_u32 v60, v62, v53, 0x7fff
	v_and_b32_e32 v62, 0xffff0000, v56
	v_bfe_u32 v63, v58, 16, 1
	v_cmp_u_f32_e32 vcc_lo, v53, v53
	v_bfe_u32 v64, v55, 16, 1
	v_lshlrev_b32_e32 v56, 16, v56
	v_and_b32_e32 v59, 0xffff0000, v59
	v_and_b32_e32 v54, 0xffff0000, v54
	v_cndmask_b32_e32 v53, v60, v61, vcc_lo
	v_mul_f32_e32 v60, v48, v62
	v_add3_u32 v61, v63, v58, 0x7fff
	v_or_b32_e32 v62, 0x400000, v58
	v_cmp_u_f32_e32 vcc_lo, v58, v58
	v_add3_u32 v63, v64, v55, 0x7fff
	v_or_b32_e32 v64, 0x400000, v55
	v_bfe_u32 v65, v60, 16, 1
	v_and_b32_e32 v53, 0xffff0000, v53
	v_cndmask_b32_e32 v58, v61, v62, vcc_lo
	v_cmp_u_f32_e32 vcc_lo, v55, v55
	v_or_b32_e32 v62, 0x400000, v60
	v_add3_u32 v61, v65, v60, 0x7fff
	v_mul_f32_e32 v56, v51, v56
	v_add_f32_e32 v0, v0, v59
	v_cndmask_b32_e32 v55, v63, v64, vcc_lo
	v_cmp_u_f32_e32 vcc_lo, v60, v60
	v_add_f32_e32 v53, v53, v54
	v_and_b32_e32 v58, 0xffff0000, v58
	v_and_b32_e32 v54, 0xffff0000, v55
	;; [unrolled: 1-line block ×3, first 2 shown]
	v_cndmask_b32_e32 v60, v61, v62, vcc_lo
	v_bfe_u32 v61, v56, 16, 1
	v_add_f32_e32 v0, v53, v0
	v_add_f32_e32 v54, v54, v58
	v_mul_f32_e32 v53, v45, v55
	v_lshlrev_b32_e32 v41, 16, v41
	v_add3_u32 v59, v61, v56, 0x7fff
	v_or_b32_e32 v61, 0x400000, v56
	v_cmp_u_f32_e32 vcc_lo, v56, v56
	v_bfe_u32 v56, v53, 16, 1
	v_add_f32_e32 v0, v54, v0
	v_mul_f32_e32 v41, v49, v41
	v_and_b32_e32 v54, 0xffff0000, v42
	v_cndmask_b32_e32 v55, v59, v61, vcc_lo
	v_add3_u32 v56, v56, v53, 0x7fff
	v_or_b32_e32 v58, 0x400000, v53
	v_bfe_u32 v59, v41, 16, 1
	v_mul_f32_e32 v54, v47, v54
	v_lshlrev_b32_e32 v42, 16, v42
	v_cmp_u_f32_e32 vcc_lo, v53, v53
	v_and_b32_e32 v61, 0xffff0000, v43
	v_lshlrev_b32_e32 v43, 16, v43
	v_and_b32_e32 v62, 0xffff0000, v44
	v_mul_f32_e32 v42, v50, v42
	v_cndmask_b32_e32 v53, v56, v58, vcc_lo
	v_add3_u32 v56, v59, v41, 0x7fff
	v_or_b32_e32 v58, 0x400000, v41
	v_bfe_u32 v59, v54, 16, 1
	v_cmp_u_f32_e32 vcc_lo, v41, v41
	v_mul_f32_e32 v61, v46, v61
	v_mul_f32_e32 v43, v52, v43
	v_lshlrev_b32_e32 v44, 16, v44
	v_and_b32_e32 v53, 0xffff0000, v53
	v_cndmask_b32_e32 v41, v56, v58, vcc_lo
	v_add3_u32 v56, v59, v54, 0x7fff
	v_or_b32_e32 v58, 0x400000, v54
	v_bfe_u32 v59, v42, 16, 1
	v_cmp_u_f32_e32 vcc_lo, v54, v54
	v_mul_f32_e32 v44, v51, v44
	v_or_b32_e32 v63, 0x400000, v43
	v_and_b32_e32 v41, 0xffff0000, v41
	v_and_b32_e32 v55, 0xffff0000, v55
	v_cndmask_b32_e32 v54, v56, v58, vcc_lo
	v_add3_u32 v56, v59, v42, 0x7fff
	v_or_b32_e32 v58, 0x400000, v42
	v_bfe_u32 v59, v61, 16, 1
	v_cmp_u_f32_e32 vcc_lo, v42, v42
	v_bfe_u32 v65, v44, 16, 1
	v_and_b32_e32 v54, 0xffff0000, v54
	v_add_f32_e32 v41, v41, v53
	v_cndmask_b32_e32 v42, v56, v58, vcc_lo
	v_bfe_u32 v56, v43, 16, 1
	v_add3_u32 v58, v59, v61, 0x7fff
	v_mul_f32_e32 v59, v48, v62
	v_or_b32_e32 v62, 0x400000, v61
	v_cmp_u_f32_e32 vcc_lo, v61, v61
	v_add3_u32 v56, v56, v43, 0x7fff
	v_add3_u32 v61, v65, v44, 0x7fff
	v_bfe_u32 v64, v59, 16, 1
	v_and_b32_e32 v42, 0xffff0000, v42
	v_cndmask_b32_e32 v58, v58, v62, vcc_lo
	v_cmp_u_f32_e32 vcc_lo, v43, v43
	v_or_b32_e32 v62, 0x400000, v44
	v_add_f32_e32 v42, v42, v54
	v_and_b32_e32 v53, 0xffff0000, v58
	v_cndmask_b32_e32 v43, v56, v63, vcc_lo
	v_cmp_u_f32_e32 vcc_lo, v44, v44
	v_add3_u32 v56, v64, v59, 0x7fff
	v_or_b32_e32 v63, 0x400000, v59
	v_add_f32_e32 v41, v42, v41
	v_and_b32_e32 v43, 0xffff0000, v43
	v_cndmask_b32_e32 v44, v61, v62, vcc_lo
	v_cmp_u_f32_e32 vcc_lo, v59, v59
	v_add_f32_e32 v42, v43, v53
	v_and_b32_e32 v43, 0xffff0000, v44
	v_cndmask_b32_e32 v54, v56, v63, vcc_lo
	v_and_b32_e32 v56, 0xffff0000, v60
	v_and_b32_e32 v53, 0xffff0000, v37
	v_lshlrev_b32_e32 v37, 16, v37
	v_add_f32_e32 v41, v42, v41
	v_and_b32_e32 v44, 0xffff0000, v54
	v_add_f32_e32 v54, v55, v56
	v_mul_f32_e32 v37, v49, v37
	v_add_f32_e32 v42, v43, v44
	v_mul_f32_e32 v43, v45, v53
	v_add_f32_e32 v0, v54, v0
	v_and_b32_e32 v44, 0xffff0000, v38
	v_lshlrev_b32_e32 v38, 16, v38
	v_add_f32_e32 v41, v42, v41
	v_bfe_u32 v42, v43, 16, 1
	v_add_f32_e32 v86, v86, v0
	v_bfe_u32 v0, v37, 16, 1
	v_mul_f32_e32 v44, v47, v44
	v_add_f32_e32 v87, v87, v41
	v_add3_u32 v41, v42, v43, 0x7fff
	v_or_b32_e32 v42, 0x400000, v43
	v_cmp_u_f32_e32 vcc_lo, v43, v43
	v_add3_u32 v0, v0, v37, 0x7fff
	v_or_b32_e32 v53, 0x400000, v37
	v_or_b32_e32 v43, 0x400000, v44
	v_and_b32_e32 v54, 0xffff0000, v40
	v_cndmask_b32_e32 v41, v41, v42, vcc_lo
	v_bfe_u32 v42, v44, 16, 1
	v_cmp_u_f32_e32 vcc_lo, v37, v37
	v_mul_f32_e32 v37, v50, v38
	v_and_b32_e32 v38, 0xffff0000, v39
	v_lshlrev_b32_e32 v39, 16, v39
	v_add3_u32 v42, v42, v44, 0x7fff
	v_cndmask_b32_e32 v0, v0, v53, vcc_lo
	v_bfe_u32 v53, v37, 16, 1
	v_mul_f32_e32 v38, v46, v38
	v_cmp_u_f32_e32 vcc_lo, v44, v44
	v_mul_f32_e32 v39, v52, v39
	v_or_b32_e32 v44, 0x400000, v37
	v_lshlrev_b32_e32 v40, 16, v40
	v_and_b32_e32 v0, 0xffff0000, v0
	v_cndmask_b32_e32 v42, v42, v43, vcc_lo
	v_add3_u32 v43, v53, v37, 0x7fff
	v_bfe_u32 v53, v38, 16, 1
	v_cmp_u_f32_e32 vcc_lo, v37, v37
	v_bfe_u32 v55, v39, 16, 1
	v_mul_f32_e32 v40, v51, v40
	v_and_b32_e32 v41, 0xffff0000, v41
	v_and_b32_e32 v42, 0xffff0000, v42
	v_cndmask_b32_e32 v37, v43, v44, vcc_lo
	v_add3_u32 v43, v53, v38, 0x7fff
	v_mul_f32_e32 v44, v48, v54
	v_or_b32_e32 v53, 0x400000, v38
	v_cmp_u_f32_e32 vcc_lo, v38, v38
	v_add3_u32 v54, v55, v39, 0x7fff
	v_or_b32_e32 v55, 0x400000, v39
	v_bfe_u32 v56, v44, 16, 1
	v_and_b32_e32 v37, 0xffff0000, v37
	v_cndmask_b32_e32 v38, v43, v53, vcc_lo
	v_cmp_u_f32_e32 vcc_lo, v39, v39
	v_or_b32_e32 v53, 0x400000, v44
	v_add3_u32 v43, v56, v44, 0x7fff
	v_add_f32_e32 v0, v0, v41
	v_add_f32_e32 v37, v37, v42
	v_cndmask_b32_e32 v39, v54, v55, vcc_lo
	v_bfe_u32 v54, v40, 16, 1
	v_cmp_u_f32_e32 vcc_lo, v44, v44
	v_and_b32_e32 v41, 0xffff0000, v33
	v_and_b32_e32 v38, 0xffff0000, v38
	;; [unrolled: 1-line block ×3, first 2 shown]
	v_add3_u32 v44, v54, v40, 0x7fff
	v_cndmask_b32_e32 v43, v43, v53, vcc_lo
	v_or_b32_e32 v53, 0x400000, v40
	v_cmp_u_f32_e32 vcc_lo, v40, v40
	v_add_f32_e32 v0, v37, v0
	v_mul_f32_e32 v37, v45, v41
	v_add_f32_e32 v38, v39, v38
	v_lshlrev_b32_e32 v33, 16, v33
	v_cndmask_b32_e32 v40, v44, v53, vcc_lo
	v_and_b32_e32 v44, 0xffff0000, v36
	v_bfe_u32 v41, v37, 16, 1
	v_add_f32_e32 v0, v38, v0
	v_mul_f32_e32 v33, v49, v33
	v_and_b32_e32 v39, 0xffff0000, v40
	v_and_b32_e32 v40, 0xffff0000, v43
	;; [unrolled: 1-line block ×3, first 2 shown]
	v_lshlrev_b32_e32 v34, 16, v34
	v_bfe_u32 v42, v33, 16, 1
	v_cmp_u_f32_e32 vcc_lo, v37, v37
	v_add_f32_e32 v39, v39, v40
	v_add3_u32 v40, v41, v37, 0x7fff
	v_or_b32_e32 v41, 0x400000, v37
	v_mul_f32_e32 v38, v47, v38
	v_mul_f32_e32 v34, v50, v34
	v_and_b32_e32 v43, 0xffff0000, v35
	v_lshlrev_b32_e32 v35, 16, v35
	v_cndmask_b32_e32 v37, v40, v41, vcc_lo
	v_add3_u32 v40, v42, v33, 0x7fff
	v_or_b32_e32 v41, 0x400000, v33
	v_bfe_u32 v42, v38, 16, 1
	v_cmp_u_f32_e32 vcc_lo, v33, v33
	v_mul_f32_e32 v43, v46, v43
	v_mul_f32_e32 v35, v52, v35
	v_lshlrev_b32_e32 v36, 16, v36
	v_and_b32_e32 v37, 0xffff0000, v37
	v_cndmask_b32_e32 v33, v40, v41, vcc_lo
	v_add3_u32 v40, v42, v38, 0x7fff
	v_or_b32_e32 v41, 0x400000, v38
	v_bfe_u32 v42, v34, 16, 1
	v_cmp_u_f32_e32 vcc_lo, v38, v38
	v_mul_f32_e32 v36, v51, v36
	v_or_b32_e32 v53, 0x400000, v35
	v_and_b32_e32 v33, 0xffff0000, v33
	v_add_f32_e32 v0, v39, v0
	v_cndmask_b32_e32 v38, v40, v41, vcc_lo
	v_add3_u32 v40, v42, v34, 0x7fff
	v_or_b32_e32 v41, 0x400000, v34
	v_bfe_u32 v42, v43, 16, 1
	v_cmp_u_f32_e32 vcc_lo, v34, v34
	v_and_b32_e32 v38, 0xffff0000, v38
	v_add_f32_e32 v33, v33, v37
	v_add_f32_e32 v88, v88, v0
	v_cndmask_b32_e32 v34, v40, v41, vcc_lo
	v_bfe_u32 v40, v35, 16, 1
	v_add3_u32 v41, v42, v43, 0x7fff
	v_mul_f32_e32 v42, v48, v44
	v_or_b32_e32 v44, 0x400000, v43
	v_cmp_u_f32_e32 vcc_lo, v43, v43
	v_add3_u32 v40, v40, v35, 0x7fff
	v_bfe_u32 v43, v36, 16, 1
	v_bfe_u32 v54, v42, 16, 1
	v_and_b32_e32 v34, 0xffff0000, v34
	v_cndmask_b32_e32 v41, v41, v44, vcc_lo
	v_cmp_u_f32_e32 vcc_lo, v35, v35
	v_add3_u32 v43, v43, v36, 0x7fff
	v_or_b32_e32 v44, 0x400000, v42
	v_add_f32_e32 v34, v34, v38
	v_and_b32_e32 v37, 0xffff0000, v41
	v_cndmask_b32_e32 v35, v40, v53, vcc_lo
	v_or_b32_e32 v53, 0x400000, v36
	v_cmp_u_f32_e32 vcc_lo, v36, v36
	v_add3_u32 v40, v54, v42, 0x7fff
	v_add_f32_e32 v33, v34, v33
	v_and_b32_e32 v35, 0xffff0000, v35
	v_cndmask_b32_e32 v36, v43, v53, vcc_lo
	v_cmp_u_f32_e32 vcc_lo, v42, v42
	v_add_f32_e32 v34, v35, v37
	v_and_b32_e32 v35, 0xffff0000, v29
	v_and_b32_e32 v36, 0xffff0000, v36
	v_cndmask_b32_e32 v38, v40, v44, vcc_lo
	v_lshlrev_b32_e32 v29, 16, v29
	v_add_f32_e32 v33, v34, v33
	v_mul_f32_e32 v35, v45, v35
	v_and_b32_e32 v37, 0xffff0000, v38
	v_mul_f32_e32 v29, v49, v29
	v_cmp_u_f32_e32 vcc_lo, v35, v35
	v_add_f32_e32 v34, v36, v37
	v_and_b32_e32 v36, 0xffff0000, v30
	v_bfe_u32 v37, v35, 16, 1
	v_bfe_u32 v0, v29, 16, 1
	v_lshlrev_b32_e32 v30, 16, v30
	v_add_f32_e32 v33, v34, v33
	v_mul_f32_e32 v34, v47, v36
	v_add3_u32 v36, v37, v35, 0x7fff
	v_or_b32_e32 v37, 0x400000, v35
	v_add3_u32 v0, v0, v29, 0x7fff
	v_or_b32_e32 v38, 0x400000, v29
	v_bfe_u32 v39, v34, 16, 1
	v_add_f32_e32 v89, v89, v33
	v_cndmask_b32_e32 v35, v36, v37, vcc_lo
	v_cmp_u_f32_e32 vcc_lo, v29, v29
	v_mul_f32_e32 v29, v50, v30
	v_and_b32_e32 v37, 0xffff0000, v31
	v_add3_u32 v30, v39, v34, 0x7fff
	v_or_b32_e32 v36, 0x400000, v34
	v_cndmask_b32_e32 v0, v0, v38, vcc_lo
	v_lshlrev_b32_e32 v31, 16, v31
	v_bfe_u32 v38, v29, 16, 1
	v_cmp_u_f32_e32 vcc_lo, v34, v34
	v_mul_f32_e32 v34, v46, v37
	v_or_b32_e32 v37, 0x400000, v29
	v_mul_f32_e32 v31, v52, v31
	v_and_b32_e32 v0, 0xffff0000, v0
	v_cndmask_b32_e32 v30, v30, v36, vcc_lo
	v_add3_u32 v36, v38, v29, 0x7fff
	v_and_b32_e32 v38, 0xffff0000, v32
	v_bfe_u32 v39, v34, 16, 1
	v_cmp_u_f32_e32 vcc_lo, v29, v29
	v_bfe_u32 v40, v31, 16, 1
	v_lshlrev_b32_e32 v32, 16, v32
	v_and_b32_e32 v35, 0xffff0000, v35
	v_and_b32_e32 v30, 0xffff0000, v30
	v_cndmask_b32_e32 v29, v36, v37, vcc_lo
	v_mul_f32_e32 v36, v48, v38
	v_add3_u32 v37, v39, v34, 0x7fff
	v_or_b32_e32 v38, 0x400000, v34
	v_cmp_u_f32_e32 vcc_lo, v34, v34
	v_add3_u32 v39, v40, v31, 0x7fff
	v_or_b32_e32 v40, 0x400000, v31
	v_bfe_u32 v41, v36, 16, 1
	v_and_b32_e32 v29, 0xffff0000, v29
	v_cndmask_b32_e32 v34, v37, v38, vcc_lo
	v_cmp_u_f32_e32 vcc_lo, v31, v31
	v_or_b32_e32 v38, 0x400000, v36
	v_add3_u32 v37, v41, v36, 0x7fff
	v_mul_f32_e32 v32, v51, v32
	v_add_f32_e32 v0, v0, v35
	v_cndmask_b32_e32 v31, v39, v40, vcc_lo
	v_cmp_u_f32_e32 vcc_lo, v36, v36
	v_add_f32_e32 v29, v29, v30
	v_and_b32_e32 v34, 0xffff0000, v34
	v_and_b32_e32 v30, 0xffff0000, v31
	;; [unrolled: 1-line block ×3, first 2 shown]
	v_cndmask_b32_e32 v36, v37, v38, vcc_lo
	v_bfe_u32 v37, v32, 16, 1
	v_add_f32_e32 v0, v29, v0
	v_add_f32_e32 v30, v30, v34
	v_mul_f32_e32 v29, v45, v31
	v_lshlrev_b32_e32 v25, 16, v25
	v_add3_u32 v35, v37, v32, 0x7fff
	v_or_b32_e32 v37, 0x400000, v32
	v_cmp_u_f32_e32 vcc_lo, v32, v32
	v_bfe_u32 v32, v29, 16, 1
	v_add_f32_e32 v0, v30, v0
	v_mul_f32_e32 v25, v49, v25
	v_and_b32_e32 v30, 0xffff0000, v26
	v_cndmask_b32_e32 v31, v35, v37, vcc_lo
	v_add3_u32 v32, v32, v29, 0x7fff
	v_or_b32_e32 v34, 0x400000, v29
	v_bfe_u32 v35, v25, 16, 1
	v_mul_f32_e32 v30, v47, v30
	v_lshlrev_b32_e32 v26, 16, v26
	v_cmp_u_f32_e32 vcc_lo, v29, v29
	v_and_b32_e32 v37, 0xffff0000, v27
	v_lshlrev_b32_e32 v27, 16, v27
	v_and_b32_e32 v38, 0xffff0000, v28
	v_mul_f32_e32 v26, v50, v26
	v_cndmask_b32_e32 v29, v32, v34, vcc_lo
	v_add3_u32 v32, v35, v25, 0x7fff
	v_or_b32_e32 v34, 0x400000, v25
	v_bfe_u32 v35, v30, 16, 1
	v_cmp_u_f32_e32 vcc_lo, v25, v25
	v_mul_f32_e32 v37, v46, v37
	v_mul_f32_e32 v27, v52, v27
	v_lshlrev_b32_e32 v28, 16, v28
	v_and_b32_e32 v29, 0xffff0000, v29
	v_cndmask_b32_e32 v25, v32, v34, vcc_lo
	v_add3_u32 v32, v35, v30, 0x7fff
	v_or_b32_e32 v34, 0x400000, v30
	v_bfe_u32 v35, v26, 16, 1
	v_cmp_u_f32_e32 vcc_lo, v30, v30
	v_mul_f32_e32 v28, v51, v28
	v_or_b32_e32 v39, 0x400000, v27
	v_and_b32_e32 v25, 0xffff0000, v25
	v_and_b32_e32 v31, 0xffff0000, v31
	v_cndmask_b32_e32 v30, v32, v34, vcc_lo
	v_add3_u32 v32, v35, v26, 0x7fff
	v_or_b32_e32 v34, 0x400000, v26
	v_bfe_u32 v35, v37, 16, 1
	v_cmp_u_f32_e32 vcc_lo, v26, v26
	v_bfe_u32 v41, v28, 16, 1
	v_and_b32_e32 v30, 0xffff0000, v30
	v_add_f32_e32 v25, v25, v29
	v_cndmask_b32_e32 v26, v32, v34, vcc_lo
	v_bfe_u32 v32, v27, 16, 1
	v_add3_u32 v34, v35, v37, 0x7fff
	v_mul_f32_e32 v35, v48, v38
	v_or_b32_e32 v38, 0x400000, v37
	v_cmp_u_f32_e32 vcc_lo, v37, v37
	v_add3_u32 v32, v32, v27, 0x7fff
	v_add3_u32 v37, v41, v28, 0x7fff
	v_bfe_u32 v40, v35, 16, 1
	v_and_b32_e32 v26, 0xffff0000, v26
	v_cndmask_b32_e32 v34, v34, v38, vcc_lo
	v_cmp_u_f32_e32 vcc_lo, v27, v27
	v_or_b32_e32 v38, 0x400000, v28
	v_add_f32_e32 v26, v26, v30
	v_and_b32_e32 v29, 0xffff0000, v34
	v_cndmask_b32_e32 v27, v32, v39, vcc_lo
	v_cmp_u_f32_e32 vcc_lo, v28, v28
	v_add3_u32 v32, v40, v35, 0x7fff
	v_or_b32_e32 v39, 0x400000, v35
	v_add_f32_e32 v25, v26, v25
	v_and_b32_e32 v27, 0xffff0000, v27
	v_cndmask_b32_e32 v28, v37, v38, vcc_lo
	v_cmp_u_f32_e32 vcc_lo, v35, v35
	v_add_f32_e32 v26, v27, v29
	v_and_b32_e32 v27, 0xffff0000, v28
	v_cndmask_b32_e32 v30, v32, v39, vcc_lo
	v_and_b32_e32 v32, 0xffff0000, v36
	v_and_b32_e32 v29, 0xffff0000, v17
	v_lshlrev_b32_e32 v17, 16, v17
	v_add_f32_e32 v25, v26, v25
	v_and_b32_e32 v28, 0xffff0000, v30
	v_add_f32_e32 v30, v31, v32
	v_mul_f32_e32 v17, v49, v17
	v_add_f32_e32 v26, v27, v28
	v_mul_f32_e32 v27, v45, v29
	v_add_f32_e32 v0, v30, v0
	v_and_b32_e32 v28, 0xffff0000, v18
	v_lshlrev_b32_e32 v18, 16, v18
	v_add_f32_e32 v25, v26, v25
	v_bfe_u32 v26, v27, 16, 1
	v_add_f32_e32 v90, v90, v0
	v_bfe_u32 v0, v17, 16, 1
	v_mul_f32_e32 v28, v47, v28
	v_add_f32_e32 v91, v91, v25
	v_add3_u32 v25, v26, v27, 0x7fff
	v_or_b32_e32 v26, 0x400000, v27
	v_cmp_u_f32_e32 vcc_lo, v27, v27
	v_add3_u32 v0, v0, v17, 0x7fff
	v_or_b32_e32 v29, 0x400000, v17
	v_or_b32_e32 v27, 0x400000, v28
	v_and_b32_e32 v30, 0xffff0000, v20
	v_cndmask_b32_e32 v25, v25, v26, vcc_lo
	v_bfe_u32 v26, v28, 16, 1
	v_cmp_u_f32_e32 vcc_lo, v17, v17
	v_mul_f32_e32 v17, v50, v18
	v_and_b32_e32 v18, 0xffff0000, v19
	v_lshlrev_b32_e32 v19, 16, v19
	v_add3_u32 v26, v26, v28, 0x7fff
	v_cndmask_b32_e32 v0, v0, v29, vcc_lo
	v_bfe_u32 v29, v17, 16, 1
	v_mul_f32_e32 v18, v46, v18
	v_cmp_u_f32_e32 vcc_lo, v28, v28
	v_mul_f32_e32 v19, v52, v19
	v_or_b32_e32 v28, 0x400000, v17
	v_lshlrev_b32_e32 v20, 16, v20
	v_and_b32_e32 v0, 0xffff0000, v0
	v_cndmask_b32_e32 v26, v26, v27, vcc_lo
	v_add3_u32 v27, v29, v17, 0x7fff
	v_bfe_u32 v29, v18, 16, 1
	v_cmp_u_f32_e32 vcc_lo, v17, v17
	v_bfe_u32 v31, v19, 16, 1
	v_mul_f32_e32 v20, v51, v20
	v_and_b32_e32 v25, 0xffff0000, v25
	v_and_b32_e32 v26, 0xffff0000, v26
	v_cndmask_b32_e32 v17, v27, v28, vcc_lo
	v_add3_u32 v27, v29, v18, 0x7fff
	v_mul_f32_e32 v28, v48, v30
	v_or_b32_e32 v29, 0x400000, v18
	v_cmp_u_f32_e32 vcc_lo, v18, v18
	v_add3_u32 v30, v31, v19, 0x7fff
	v_or_b32_e32 v31, 0x400000, v19
	v_bfe_u32 v32, v28, 16, 1
	v_and_b32_e32 v17, 0xffff0000, v17
	v_cndmask_b32_e32 v18, v27, v29, vcc_lo
	v_cmp_u_f32_e32 vcc_lo, v19, v19
	v_or_b32_e32 v29, 0x400000, v28
	v_add3_u32 v27, v32, v28, 0x7fff
	v_add_f32_e32 v0, v0, v25
	v_add_f32_e32 v17, v17, v26
	v_cndmask_b32_e32 v19, v30, v31, vcc_lo
	v_bfe_u32 v30, v20, 16, 1
	v_cmp_u_f32_e32 vcc_lo, v28, v28
	v_and_b32_e32 v25, 0xffff0000, v13
	v_and_b32_e32 v18, 0xffff0000, v18
	;; [unrolled: 1-line block ×3, first 2 shown]
	v_add3_u32 v28, v30, v20, 0x7fff
	v_cndmask_b32_e32 v27, v27, v29, vcc_lo
	v_or_b32_e32 v29, 0x400000, v20
	v_cmp_u_f32_e32 vcc_lo, v20, v20
	v_lshlrev_b32_e32 v13, 16, v13
	v_add_f32_e32 v0, v17, v0
	v_mul_f32_e32 v17, v45, v25
	v_add_f32_e32 v18, v19, v18
	v_cndmask_b32_e32 v20, v28, v29, vcc_lo
	v_mul_f32_e32 v13, v49, v13
	v_and_b32_e32 v26, 0xffff0000, v14
	v_bfe_u32 v25, v17, 16, 1
	v_add_f32_e32 v0, v18, v0
	v_and_b32_e32 v19, 0xffff0000, v20
	v_and_b32_e32 v20, 0xffff0000, v27
	v_bfe_u32 v18, v13, 16, 1
	v_cmp_u_f32_e32 vcc_lo, v17, v17
	v_mul_f32_e32 v26, v47, v26
	v_or_b32_e32 v27, 0x400000, v13
	v_add_f32_e32 v19, v19, v20
	v_add3_u32 v20, v25, v17, 0x7fff
	v_or_b32_e32 v25, 0x400000, v17
	v_add3_u32 v18, v18, v13, 0x7fff
	v_lshlrev_b32_e32 v14, 16, v14
	v_and_b32_e32 v28, 0xffff0000, v16
	v_lshlrev_b32_e32 v16, 16, v16
	v_cndmask_b32_e32 v17, v20, v25, vcc_lo
	v_cmp_u_f32_e32 vcc_lo, v13, v13
	v_bfe_u32 v20, v26, 16, 1
	v_mul_f32_e32 v14, v50, v14
	v_or_b32_e32 v25, 0x400000, v26
	v_mul_f32_e32 v16, v51, v16
	v_cndmask_b32_e32 v13, v18, v27, vcc_lo
	v_and_b32_e32 v18, 0xffff0000, v15
	v_add3_u32 v20, v20, v26, 0x7fff
	v_lshlrev_b32_e32 v15, 16, v15
	v_bfe_u32 v27, v14, 16, 1
	v_cmp_u_f32_e32 vcc_lo, v26, v26
	v_mul_f32_e32 v18, v46, v18
	v_or_b32_e32 v26, 0x400000, v14
	v_mul_f32_e32 v15, v52, v15
	v_and_b32_e32 v13, 0xffff0000, v13
	v_cndmask_b32_e32 v20, v20, v25, vcc_lo
	v_add3_u32 v25, v27, v14, 0x7fff
	v_bfe_u32 v27, v18, 16, 1
	v_cmp_u_f32_e32 vcc_lo, v14, v14
	v_bfe_u32 v29, v15, 16, 1
	v_and_b32_e32 v17, 0xffff0000, v17
	v_and_b32_e32 v20, 0xffff0000, v20
	v_add_f32_e32 v0, v19, v0
	v_cndmask_b32_e32 v14, v25, v26, vcc_lo
	v_add3_u32 v25, v27, v18, 0x7fff
	v_mul_f32_e32 v26, v48, v28
	v_or_b32_e32 v27, 0x400000, v18
	v_cmp_u_f32_e32 vcc_lo, v18, v18
	v_add3_u32 v28, v29, v15, 0x7fff
	v_or_b32_e32 v29, 0x400000, v15
	v_bfe_u32 v30, v26, 16, 1
	v_and_b32_e32 v14, 0xffff0000, v14
	v_cndmask_b32_e32 v18, v25, v27, vcc_lo
	v_cmp_u_f32_e32 vcc_lo, v15, v15
	v_or_b32_e32 v27, 0x400000, v26
	v_add3_u32 v25, v30, v26, 0x7fff
	v_add_f32_e32 v13, v13, v17
	v_add_f32_e32 v14, v14, v20
	v_cndmask_b32_e32 v15, v28, v29, vcc_lo
	v_bfe_u32 v28, v16, 16, 1
	v_cmp_u_f32_e32 vcc_lo, v26, v26
	v_and_b32_e32 v17, 0xffff0000, v18
	v_add_f32_e32 v13, v14, v13
	v_and_b32_e32 v15, 0xffff0000, v15
	v_add3_u32 v26, v28, v16, 0x7fff
	v_cndmask_b32_e32 v25, v25, v27, vcc_lo
	v_or_b32_e32 v27, 0x400000, v16
	v_cmp_u_f32_e32 vcc_lo, v16, v16
	v_and_b32_e32 v14, 0xffff0000, v9
	v_lshlrev_b32_e32 v9, 16, v9
	v_add_f32_e32 v15, v15, v17
	v_and_b32_e32 v17, 0xffff0000, v25
	v_cndmask_b32_e32 v16, v26, v27, vcc_lo
	v_mul_f32_e32 v14, v45, v14
	v_mul_f32_e32 v9, v49, v9
	v_add_f32_e32 v13, v15, v13
	v_and_b32_e32 v18, 0xffff0000, v10
	v_and_b32_e32 v16, 0xffff0000, v16
	v_add_f32_e32 v92, v92, v0
	v_lshlrev_b32_e32 v10, 16, v10
	v_cmp_u_f32_e32 vcc_lo, v14, v14
	v_and_b32_e32 v19, 0xffff0000, v12
	v_add_f32_e32 v15, v16, v17
	v_bfe_u32 v16, v14, 16, 1
	v_bfe_u32 v17, v9, 16, 1
	v_mul_f32_e32 v10, v50, v10
	v_lshlrev_b32_e32 v12, 16, v12
	v_add_f32_e32 v0, v15, v13
	v_add3_u32 v13, v16, v14, 0x7fff
	v_or_b32_e32 v15, 0x400000, v14
	v_add3_u32 v16, v17, v9, 0x7fff
	v_mul_f32_e32 v17, v47, v18
	v_or_b32_e32 v18, 0x400000, v9
	v_mul_f32_e32 v12, v51, v12
	v_cndmask_b32_e32 v13, v13, v15, vcc_lo
	v_cmp_u_f32_e32 vcc_lo, v9, v9
	v_bfe_u32 v14, v17, 16, 1
	v_and_b32_e32 v15, 0xffff0000, v11
	v_lshlrev_b32_e32 v11, 16, v11
	v_and_b32_e32 v13, 0xffff0000, v13
	v_cndmask_b32_e32 v9, v16, v18, vcc_lo
	v_add3_u32 v14, v14, v17, 0x7fff
	v_or_b32_e32 v16, 0x400000, v17
	v_bfe_u32 v18, v10, 16, 1
	v_mul_f32_e32 v15, v46, v15
	v_cmp_u_f32_e32 vcc_lo, v17, v17
	v_mul_f32_e32 v11, v52, v11
	v_or_b32_e32 v17, 0x400000, v10
	v_and_b32_e32 v9, 0xffff0000, v9
	v_add_f32_e32 v93, v93, v0
	v_cndmask_b32_e32 v14, v14, v16, vcc_lo
	v_add3_u32 v16, v18, v10, 0x7fff
	v_bfe_u32 v18, v15, 16, 1
	v_cmp_u_f32_e32 vcc_lo, v10, v10
	v_bfe_u32 v20, v11, 16, 1
	v_and_b32_e32 v14, 0xffff0000, v14
	v_add_f32_e32 v9, v9, v13
	v_cndmask_b32_e32 v10, v16, v17, vcc_lo
	v_add3_u32 v16, v18, v15, 0x7fff
	v_mul_f32_e32 v17, v48, v19
	v_or_b32_e32 v18, 0x400000, v15
	v_cmp_u_f32_e32 vcc_lo, v15, v15
	v_add3_u32 v19, v20, v11, 0x7fff
	v_or_b32_e32 v20, 0x400000, v11
	v_bfe_u32 v25, v17, 16, 1
	v_and_b32_e32 v10, 0xffff0000, v10
	v_cndmask_b32_e32 v15, v16, v18, vcc_lo
	v_cmp_u_f32_e32 vcc_lo, v11, v11
	v_or_b32_e32 v18, 0x400000, v17
	v_add3_u32 v16, v25, v17, 0x7fff
	v_add_f32_e32 v10, v10, v14
	v_and_b32_e32 v13, 0xffff0000, v15
	v_cndmask_b32_e32 v11, v19, v20, vcc_lo
	v_bfe_u32 v19, v12, 16, 1
	v_cmp_u_f32_e32 vcc_lo, v17, v17
	v_and_b32_e32 v14, 0xffff0000, v5
	v_lshlrev_b32_e32 v5, 16, v5
	v_and_b32_e32 v11, 0xffff0000, v11
	v_add3_u32 v17, v19, v12, 0x7fff
	v_cndmask_b32_e32 v16, v16, v18, vcc_lo
	v_or_b32_e32 v18, 0x400000, v12
	v_cmp_u_f32_e32 vcc_lo, v12, v12
	v_add_f32_e32 v9, v10, v9
	v_add_f32_e32 v10, v11, v13
	v_mul_f32_e32 v11, v45, v14
	v_mul_f32_e32 v13, v49, v5
	v_cndmask_b32_e32 v12, v17, v18, vcc_lo
	v_and_b32_e32 v14, 0xffff0000, v16
	v_and_b32_e32 v15, 0xffff0000, v6
	v_bfe_u32 v16, v11, 16, 1
	v_add_f32_e32 v5, v10, v9
	v_and_b32_e32 v12, 0xffff0000, v12
	v_bfe_u32 v10, v13, 16, 1
	v_cmp_u_f32_e32 vcc_lo, v11, v11
	v_lshlrev_b32_e32 v6, 16, v6
	s_waitcnt vmcnt(0)
	v_and_b32_e32 v20, 0xffff0000, v24
	v_add_f32_e32 v9, v12, v14
	v_mul_f32_e32 v12, v47, v15
	v_add3_u32 v14, v16, v11, 0x7fff
	v_or_b32_e32 v15, 0x400000, v11
	v_add3_u32 v10, v10, v13, 0x7fff
	v_or_b32_e32 v16, 0x400000, v13
	v_bfe_u32 v17, v12, 16, 1
	v_mul_f32_e32 v6, v50, v6
	v_cndmask_b32_e32 v11, v14, v15, vcc_lo
	v_cmp_u_f32_e32 vcc_lo, v13, v13
	v_or_b32_e32 v14, 0x400000, v12
	v_add3_u32 v13, v17, v12, 0x7fff
	v_and_b32_e32 v15, 0xffff0000, v7
	v_lshlrev_b32_e32 v7, 16, v7
	v_cndmask_b32_e32 v10, v10, v16, vcc_lo
	v_cmp_u_f32_e32 vcc_lo, v12, v12
	v_bfe_u32 v16, v6, 16, 1
	v_and_b32_e32 v11, 0xffff0000, v11
	v_mul_f32_e32 v7, v52, v7
	v_and_b32_e32 v10, 0xffff0000, v10
	v_cndmask_b32_e32 v12, v13, v14, vcc_lo
	v_mul_f32_e32 v13, v46, v15
	v_add3_u32 v14, v16, v6, 0x7fff
	v_or_b32_e32 v15, 0x400000, v6
	v_and_b32_e32 v16, 0xffff0000, v8
	v_cmp_u_f32_e32 vcc_lo, v6, v6
	v_bfe_u32 v17, v13, 16, 1
	v_bfe_u32 v18, v7, 16, 1
	v_lshlrev_b32_e32 v8, 16, v8
	v_and_b32_e32 v12, 0xffff0000, v12
	v_cndmask_b32_e32 v6, v14, v15, vcc_lo
	v_mul_f32_e32 v14, v48, v16
	v_add3_u32 v15, v17, v13, 0x7fff
	v_or_b32_e32 v16, 0x400000, v13
	v_cmp_u_f32_e32 vcc_lo, v13, v13
	v_add3_u32 v17, v18, v7, 0x7fff
	v_or_b32_e32 v18, 0x400000, v7
	v_bfe_u32 v19, v14, 16, 1
	v_and_b32_e32 v6, 0xffff0000, v6
	v_cndmask_b32_e32 v13, v15, v16, vcc_lo
	v_cmp_u_f32_e32 vcc_lo, v7, v7
	v_or_b32_e32 v16, 0x400000, v14
	v_add3_u32 v15, v19, v14, 0x7fff
	v_mul_f32_e32 v8, v51, v8
	v_add_f32_e32 v10, v10, v11
	v_cndmask_b32_e32 v7, v17, v18, vcc_lo
	v_cmp_u_f32_e32 vcc_lo, v14, v14
	v_add_f32_e32 v6, v6, v12
	v_and_b32_e32 v11, 0xffff0000, v1
	v_and_b32_e32 v12, 0xffff0000, v13
	;; [unrolled: 1-line block ×3, first 2 shown]
	v_cndmask_b32_e32 v14, v15, v16, vcc_lo
	v_bfe_u32 v15, v8, 16, 1
	v_add_f32_e32 v6, v6, v10
	v_mul_f32_e32 v10, v45, v11
	v_add_f32_e32 v7, v7, v12
	v_lshlrev_b32_e32 v1, 16, v1
	v_add3_u32 v13, v15, v8, 0x7fff
	v_or_b32_e32 v15, 0x400000, v8
	v_cmp_u_f32_e32 vcc_lo, v8, v8
	v_bfe_u32 v11, v10, 16, 1
	v_add_f32_e32 v6, v7, v6
	v_and_b32_e32 v7, 0xffff0000, v2
	v_mul_f32_e32 v1, v49, v1
	v_cndmask_b32_e32 v8, v13, v15, vcc_lo
	v_add3_u32 v11, v11, v10, 0x7fff
	v_or_b32_e32 v12, 0x400000, v10
	v_mul_f32_e32 v7, v47, v7
	v_and_b32_e32 v13, 0xffff0000, v14
	v_bfe_u32 v14, v1, 16, 1
	v_cmp_u_f32_e32 vcc_lo, v10, v10
	v_lshlrev_b32_e32 v2, 16, v2
	v_or_b32_e32 v15, 0x400000, v1
	v_or_b32_e32 v16, 0x400000, v7
	v_and_b32_e32 v18, 0xffff0000, v23
	v_cndmask_b32_e32 v10, v11, v12, vcc_lo
	v_bfe_u32 v11, v7, 16, 1
	v_add3_u32 v12, v14, v1, 0x7fff
	v_and_b32_e32 v14, 0xffff0000, v3
	v_mul_f32_e32 v2, v50, v2
	v_cmp_u_f32_e32 vcc_lo, v1, v1
	v_add3_u32 v11, v11, v7, 0x7fff
	v_lshlrev_b32_e32 v3, 16, v3
	v_mul_f32_e32 v14, v46, v14
	v_and_b32_e32 v10, 0xffff0000, v10
	v_cndmask_b32_e32 v1, v12, v15, vcc_lo
	v_bfe_u32 v12, v2, 16, 1
	v_cmp_u_f32_e32 vcc_lo, v7, v7
	v_and_b32_e32 v15, 0xffff0000, v4
	v_mul_f32_e32 v3, v52, v3
	v_or_b32_e32 v17, 0x400000, v14
	v_add3_u32 v12, v12, v2, 0x7fff
	v_cndmask_b32_e32 v7, v11, v16, vcc_lo
	v_bfe_u32 v11, v14, 16, 1
	v_or_b32_e32 v16, 0x400000, v2
	v_cmp_u_f32_e32 vcc_lo, v2, v2
	v_mul_f32_e32 v15, v48, v15
	v_lshlrev_b32_e32 v4, 16, v4
	v_add3_u32 v11, v11, v14, 0x7fff
	v_and_b32_e32 v1, 0xffff0000, v1
	v_cndmask_b32_e32 v2, v12, v16, vcc_lo
	v_bfe_u32 v12, v3, 16, 1
	v_cmp_u_f32_e32 vcc_lo, v14, v14
	v_bfe_u32 v16, v15, 16, 1
	v_or_b32_e32 v14, 0x400000, v3
	v_mul_f32_e32 v4, v51, v4
	v_add3_u32 v12, v12, v3, 0x7fff
	v_cndmask_b32_e32 v11, v11, v17, vcc_lo
	v_cmp_u_f32_e32 vcc_lo, v3, v3
	v_add3_u32 v16, v16, v15, 0x7fff
	v_or_b32_e32 v17, 0x400000, v15
	v_and_b32_e32 v2, 0xffff0000, v2
	v_and_b32_e32 v7, 0xffff0000, v7
	v_cndmask_b32_e32 v3, v12, v14, vcc_lo
	v_cmp_u_f32_e32 vcc_lo, v15, v15
	v_bfe_u32 v14, v4, 16, 1
	v_add_f32_e32 v1, v1, v10
	v_add_f32_e32 v2, v2, v7
	v_and_b32_e32 v3, 0xffff0000, v3
	v_cndmask_b32_e32 v12, v16, v17, vcc_lo
	v_lshlrev_b32_e32 v16, 16, v21
	v_and_b32_e32 v7, 0xffff0000, v11
	v_and_b32_e32 v11, 0xffff0000, v21
	v_add3_u32 v14, v14, v4, 0x7fff
	v_or_b32_e32 v15, 0x400000, v4
	v_mul_f32_e32 v10, v49, v16
	v_cmp_u_f32_e32 vcc_lo, v4, v4
	v_add_f32_e32 v1, v2, v1
	v_add_f32_e32 v3, v3, v7
	v_mul_f32_e32 v7, v45, v11
	v_bfe_u32 v2, v10, 16, 1
	v_lshlrev_b32_e32 v11, 16, v22
	v_cndmask_b32_e32 v4, v14, v15, vcc_lo
	v_or_b32_e32 v14, 0x400000, v10
	v_bfe_u32 v15, v7, 16, 1
	v_add3_u32 v2, v2, v10, 0x7fff
	v_mul_f32_e32 v11, v50, v11
	v_and_b32_e32 v16, 0xffff0000, v22
	v_cmp_u_f32_e32 vcc_lo, v10, v10
	v_add3_u32 v10, v15, v7, 0x7fff
	v_lshlrev_b32_e32 v17, 16, v23
	v_bfe_u32 v15, v11, 16, 1
	v_mul_f32_e32 v16, v47, v16
	v_cndmask_b32_e32 v2, v2, v14, vcc_lo
	v_or_b32_e32 v14, 0x400000, v7
	v_cmp_u_f32_e32 vcc_lo, v7, v7
	v_mul_f32_e32 v17, v52, v17
	v_mul_f32_e32 v18, v46, v18
	v_lshlrev_b32_e32 v19, 16, v24
	v_and_b32_e32 v2, 0xffff0000, v2
	v_cndmask_b32_e32 v7, v10, v14, vcc_lo
	v_add3_u32 v10, v15, v11, 0x7fff
	v_or_b32_e32 v14, 0x400000, v11
	v_bfe_u32 v15, v16, 16, 1
	v_cmp_u_f32_e32 vcc_lo, v11, v11
	v_or_b32_e32 v21, 0x400000, v18
	v_and_b32_e32 v7, 0xffff0000, v7
	v_and_b32_e32 v8, 0xffff0000, v8
	v_add3_u32 v11, v15, v16, 0x7fff
	v_cndmask_b32_e32 v10, v10, v14, vcc_lo
	v_or_b32_e32 v14, 0x400000, v16
	v_bfe_u32 v15, v17, 16, 1
	v_cmp_u_f32_e32 vcc_lo, v16, v16
	v_mul_f32_e32 v16, v51, v19
	v_mul_f32_e32 v19, v48, v20
	v_or_b32_e32 v20, 0x400000, v17
	v_add3_u32 v15, v15, v17, 0x7fff
	v_cndmask_b32_e32 v11, v11, v14, vcc_lo
	v_bfe_u32 v14, v18, 16, 1
	v_cmp_u_f32_e32 vcc_lo, v17, v17
	v_bfe_u32 v23, v19, 16, 1
	v_bfe_u32 v22, v16, 16, 1
	v_and_b32_e32 v11, 0xffff0000, v11
	v_add3_u32 v14, v14, v18, 0x7fff
	v_cndmask_b32_e32 v15, v15, v20, vcc_lo
	v_cmp_u_f32_e32 vcc_lo, v18, v18
	v_add3_u32 v18, v23, v19, 0x7fff
	v_or_b32_e32 v20, 0x400000, v19
	v_add3_u32 v17, v22, v16, 0x7fff
	v_and_b32_e32 v10, 0xffff0000, v10
	v_cndmask_b32_e32 v14, v14, v21, vcc_lo
	v_cmp_u_f32_e32 vcc_lo, v19, v19
	v_or_b32_e32 v21, 0x400000, v16
	v_add_f32_e32 v2, v2, v7
	v_add_f32_e32 v7, v10, v11
	v_and_b32_e32 v10, 0xffff0000, v14
	v_cndmask_b32_e32 v18, v18, v20, vcc_lo
	v_cmp_u_f32_e32 vcc_lo, v16, v16
	v_and_b32_e32 v11, 0xffff0000, v15
	v_and_b32_e32 v4, 0xffff0000, v4
	;; [unrolled: 1-line block ×3, first 2 shown]
	v_add_f32_e32 v2, v7, v2
	v_cndmask_b32_e32 v14, v17, v21, vcc_lo
	v_add_f32_e32 v7, v11, v10
	v_and_b32_e32 v10, 0xffff0000, v18
	v_add_f32_e32 v8, v8, v13
	v_add_f32_e32 v1, v3, v1
	v_and_b32_e32 v11, 0xffff0000, v14
	v_add_f32_e32 v3, v4, v12
	v_add_f32_e32 v2, v7, v2
	;; [unrolled: 1-line block ×6, first 2 shown]
	v_cmp_le_i32_e32 vcc_lo, s11, v73
	v_add_f32_e32 v94, v94, v5
	v_add_f32_e32 v96, v96, v6
	;; [unrolled: 1-line block ×4, first 2 shown]
	s_or_b32 s12, vcc_lo, s12
	v_add_f32_e32 v81, v81, v1
	s_andn2_b32 exec_lo, exec_lo, s12
	s_cbranch_execz .LBB170_65
.LBB170_33:                             ; =>This Inner Loop Header: Depth=1
	global_load_dword v0, v[74:75], off
	v_cmp_eq_u32_e64 s1, s6, v73
	v_add_nc_u32_e32 v104, 1, v100
	v_or_b32_e32 v102, 3, v100
	v_or_b32_e32 v103, 2, v100
	;; [unrolled: 1-line block ×5, first 2 shown]
	s_waitcnt vmcnt(0)
	v_mad_i64_i32 v[0:1], null, v0, s9, 0
	v_lshlrev_b64 v[0:1], 1, v[0:1]
	v_add_co_u32 v21, vcc_lo, v98, v0
	v_add_co_ci_u32_e64 v22, null, v99, v1, vcc_lo
	v_or_b32_e32 v0, 6, v100
	global_load_dwordx4 v[1:4], v[21:22], off
	ds_read2_b64 v[49:52], v101 offset1:1
	ds_read2_b64 v[45:48], v101 offset0:2 offset1:3
	s_and_saveexec_b32 s14, s1
	s_cbranch_execnz .LBB170_52
; %bb.34:                               ;   in Loop: Header=BB170_33 Depth=1
	s_or_b32 exec_lo, exec_lo, s14
	global_load_dwordx4 v[5:8], v[21:22], off offset:512
	s_and_saveexec_b32 s14, s1
	s_cbranch_execnz .LBB170_53
.LBB170_35:                             ;   in Loop: Header=BB170_33 Depth=1
	s_or_b32 exec_lo, exec_lo, s14
	global_load_dwordx4 v[9:12], v[21:22], off offset:1024
	s_and_saveexec_b32 s14, s1
	s_cbranch_execnz .LBB170_54
.LBB170_36:                             ;   in Loop: Header=BB170_33 Depth=1
	s_or_b32 exec_lo, exec_lo, s14
	global_load_dwordx4 v[13:16], v[21:22], off offset:1536
	s_and_saveexec_b32 s14, s1
	s_cbranch_execz .LBB170_38
.LBB170_37:                             ;   in Loop: Header=BB170_33 Depth=1
	v_cmp_gt_i32_e64 s2, s23, v100
	v_cmp_gt_i32_e32 vcc_lo, s13, v104
	v_cmp_gt_i32_e64 s3, s23, v103
	s_waitcnt vmcnt(0)
	v_cndmask_b32_e64 v17, 0, v13, s2
	v_cmp_gt_i32_e64 s2, s13, v102
	v_cndmask_b32_sdwa v13, v97, v13, vcc_lo dst_sel:DWORD dst_unused:UNUSED_PAD src0_sel:DWORD src1_sel:WORD_1
	v_cndmask_b32_e64 v18, 0, v14, s3
	v_cmp_gt_i32_e64 s3, s13, v78
	s_mov_b32 vcc_lo, s2
	v_cmp_gt_i32_e64 s2, s13, v76
	v_cndmask_b32_sdwa v14, v97, v14, vcc_lo dst_sel:DWORD dst_unused:UNUSED_PAD src0_sel:DWORD src1_sel:WORD_1
	v_cmp_gt_i32_e32 vcc_lo, s23, v77
	v_perm_b32 v13, v13, v17, 0x5040100
	v_perm_b32 v14, v14, v18, 0x5040100
	v_cndmask_b32_e32 v19, 0, v15, vcc_lo
	s_mov_b32 vcc_lo, s3
	v_cndmask_b32_sdwa v15, v97, v15, vcc_lo dst_sel:DWORD dst_unused:UNUSED_PAD src0_sel:DWORD src1_sel:WORD_1
	v_cmp_gt_i32_e32 vcc_lo, s23, v0
	v_perm_b32 v15, v15, v19, 0x5040100
	v_cndmask_b32_e32 v20, 0, v16, vcc_lo
	s_mov_b32 vcc_lo, s2
	v_cndmask_b32_sdwa v16, v97, v16, vcc_lo dst_sel:DWORD dst_unused:UNUSED_PAD src0_sel:DWORD src1_sel:WORD_1
	v_perm_b32 v16, v16, v20, 0x5040100
.LBB170_38:                             ;   in Loop: Header=BB170_33 Depth=1
	s_or_b32 exec_lo, exec_lo, s14
	v_add_co_u32 v23, vcc_lo, 0x800, v21
	v_add_co_ci_u32_e64 v24, null, 0, v22, vcc_lo
	global_load_dwordx4 v[17:20], v[23:24], off
	s_and_saveexec_b32 s14, s1
	s_cbranch_execnz .LBB170_55
; %bb.39:                               ;   in Loop: Header=BB170_33 Depth=1
	s_or_b32 exec_lo, exec_lo, s14
	global_load_dwordx4 v[25:28], v[23:24], off offset:512
	s_and_saveexec_b32 s14, s1
	s_cbranch_execnz .LBB170_56
.LBB170_40:                             ;   in Loop: Header=BB170_33 Depth=1
	s_or_b32 exec_lo, exec_lo, s14
	global_load_dwordx4 v[29:32], v[23:24], off offset:1024
	s_and_saveexec_b32 s14, s1
	s_cbranch_execnz .LBB170_57
.LBB170_41:                             ;   in Loop: Header=BB170_33 Depth=1
	s_or_b32 exec_lo, exec_lo, s14
	global_load_dwordx4 v[33:36], v[23:24], off offset:1536
	s_and_saveexec_b32 s14, s1
	s_cbranch_execz .LBB170_43
.LBB170_42:                             ;   in Loop: Header=BB170_33 Depth=1
	v_cmp_gt_i32_e64 s2, s23, v100
	v_cmp_gt_i32_e32 vcc_lo, s13, v104
	v_cmp_gt_i32_e64 s3, s23, v103
	s_waitcnt vmcnt(0)
	v_cndmask_b32_e64 v23, 0, v33, s2
	v_cmp_gt_i32_e64 s2, s13, v102
	v_cndmask_b32_sdwa v33, v97, v33, vcc_lo dst_sel:DWORD dst_unused:UNUSED_PAD src0_sel:DWORD src1_sel:WORD_1
	v_cndmask_b32_e64 v24, 0, v34, s3
	v_cmp_gt_i32_e64 s3, s13, v78
	s_mov_b32 vcc_lo, s2
	v_cmp_gt_i32_e64 s2, s13, v76
	v_cndmask_b32_sdwa v34, v97, v34, vcc_lo dst_sel:DWORD dst_unused:UNUSED_PAD src0_sel:DWORD src1_sel:WORD_1
	v_cmp_gt_i32_e32 vcc_lo, s23, v77
	v_perm_b32 v33, v33, v23, 0x5040100
	v_perm_b32 v34, v34, v24, 0x5040100
	v_cndmask_b32_e32 v37, 0, v35, vcc_lo
	s_mov_b32 vcc_lo, s3
	v_cndmask_b32_sdwa v35, v97, v35, vcc_lo dst_sel:DWORD dst_unused:UNUSED_PAD src0_sel:DWORD src1_sel:WORD_1
	v_cmp_gt_i32_e32 vcc_lo, s23, v0
	v_perm_b32 v35, v35, v37, 0x5040100
	v_cndmask_b32_e32 v38, 0, v36, vcc_lo
	s_mov_b32 vcc_lo, s2
	v_cndmask_b32_sdwa v36, v97, v36, vcc_lo dst_sel:DWORD dst_unused:UNUSED_PAD src0_sel:DWORD src1_sel:WORD_1
	v_perm_b32 v36, v36, v38, 0x5040100
.LBB170_43:                             ;   in Loop: Header=BB170_33 Depth=1
	s_or_b32 exec_lo, exec_lo, s14
	v_add_co_u32 v23, vcc_lo, 0x1000, v21
	v_add_co_ci_u32_e64 v24, null, 0, v22, vcc_lo
	global_load_dwordx4 v[37:40], v[23:24], off
	s_and_saveexec_b32 s14, s1
	s_cbranch_execnz .LBB170_58
; %bb.44:                               ;   in Loop: Header=BB170_33 Depth=1
	s_or_b32 exec_lo, exec_lo, s14
	global_load_dwordx4 v[41:44], v[23:24], off offset:512
	s_and_saveexec_b32 s14, s1
	s_cbranch_execnz .LBB170_59
.LBB170_45:                             ;   in Loop: Header=BB170_33 Depth=1
	s_or_b32 exec_lo, exec_lo, s14
	global_load_dwordx4 v[53:56], v[23:24], off offset:1024
	s_and_saveexec_b32 s14, s1
	s_cbranch_execnz .LBB170_60
.LBB170_46:                             ;   in Loop: Header=BB170_33 Depth=1
	s_or_b32 exec_lo, exec_lo, s14
	global_load_dwordx4 v[57:60], v[23:24], off offset:1536
	s_and_saveexec_b32 s14, s1
	s_cbranch_execz .LBB170_48
.LBB170_47:                             ;   in Loop: Header=BB170_33 Depth=1
	v_cmp_gt_i32_e64 s2, s23, v100
	v_cmp_gt_i32_e32 vcc_lo, s13, v104
	v_cmp_gt_i32_e64 s3, s23, v103
	s_waitcnt vmcnt(0)
	v_cndmask_b32_e64 v23, 0, v57, s2
	v_cmp_gt_i32_e64 s2, s13, v102
	v_cndmask_b32_sdwa v57, v97, v57, vcc_lo dst_sel:DWORD dst_unused:UNUSED_PAD src0_sel:DWORD src1_sel:WORD_1
	v_cndmask_b32_e64 v24, 0, v58, s3
	v_cmp_gt_i32_e64 s3, s13, v78
	s_mov_b32 vcc_lo, s2
	v_cmp_gt_i32_e64 s2, s13, v76
	v_cndmask_b32_sdwa v58, v97, v58, vcc_lo dst_sel:DWORD dst_unused:UNUSED_PAD src0_sel:DWORD src1_sel:WORD_1
	v_cmp_gt_i32_e32 vcc_lo, s23, v77
	v_perm_b32 v57, v57, v23, 0x5040100
	v_perm_b32 v58, v58, v24, 0x5040100
	v_cndmask_b32_e32 v61, 0, v59, vcc_lo
	s_mov_b32 vcc_lo, s3
	v_cndmask_b32_sdwa v59, v97, v59, vcc_lo dst_sel:DWORD dst_unused:UNUSED_PAD src0_sel:DWORD src1_sel:WORD_1
	v_cmp_gt_i32_e32 vcc_lo, s23, v0
	v_perm_b32 v59, v59, v61, 0x5040100
	v_cndmask_b32_e32 v62, 0, v60, vcc_lo
	s_mov_b32 vcc_lo, s2
	v_cndmask_b32_sdwa v60, v97, v60, vcc_lo dst_sel:DWORD dst_unused:UNUSED_PAD src0_sel:DWORD src1_sel:WORD_1
	v_perm_b32 v60, v60, v62, 0x5040100
.LBB170_48:                             ;   in Loop: Header=BB170_33 Depth=1
	s_or_b32 exec_lo, exec_lo, s14
	v_add_co_u32 v21, vcc_lo, 0x1800, v21
	v_add_co_ci_u32_e64 v22, null, 0, v22, vcc_lo
	global_load_dwordx4 v[61:64], v[21:22], off
	s_and_saveexec_b32 s14, s1
	s_cbranch_execnz .LBB170_61
; %bb.49:                               ;   in Loop: Header=BB170_33 Depth=1
	s_or_b32 exec_lo, exec_lo, s14
	global_load_dwordx4 v[65:68], v[21:22], off offset:512
	s_and_saveexec_b32 s14, s1
	s_cbranch_execnz .LBB170_62
.LBB170_50:                             ;   in Loop: Header=BB170_33 Depth=1
	s_or_b32 exec_lo, exec_lo, s14
	global_load_dwordx4 v[69:72], v[21:22], off offset:1024
	s_and_saveexec_b32 s14, s1
	s_cbranch_execnz .LBB170_63
.LBB170_51:                             ;   in Loop: Header=BB170_33 Depth=1
	s_or_b32 exec_lo, exec_lo, s14
	global_load_dwordx4 v[21:24], v[21:22], off offset:1536
	s_and_saveexec_b32 s3, s1
	s_cbranch_execz .LBB170_32
	s_branch .LBB170_64
.LBB170_52:                             ;   in Loop: Header=BB170_33 Depth=1
	v_cmp_gt_i32_e64 s2, s23, v100
	v_cmp_gt_i32_e32 vcc_lo, s13, v104
	v_cmp_gt_i32_e64 s3, s23, v103
	s_waitcnt vmcnt(0)
	v_cndmask_b32_e64 v5, 0, v1, s2
	v_cmp_gt_i32_e64 s2, s13, v102
	v_cndmask_b32_sdwa v1, v97, v1, vcc_lo dst_sel:DWORD dst_unused:UNUSED_PAD src0_sel:DWORD src1_sel:WORD_1
	v_cndmask_b32_e64 v6, 0, v2, s3
	v_cmp_gt_i32_e64 s3, s13, v78
	s_mov_b32 vcc_lo, s2
	v_cmp_gt_i32_e64 s2, s13, v76
	v_cndmask_b32_sdwa v2, v97, v2, vcc_lo dst_sel:DWORD dst_unused:UNUSED_PAD src0_sel:DWORD src1_sel:WORD_1
	v_cmp_gt_i32_e32 vcc_lo, s23, v77
	v_perm_b32 v1, v1, v5, 0x5040100
	v_perm_b32 v2, v2, v6, 0x5040100
	v_cndmask_b32_e32 v7, 0, v3, vcc_lo
	s_mov_b32 vcc_lo, s3
	v_cndmask_b32_sdwa v3, v97, v3, vcc_lo dst_sel:DWORD dst_unused:UNUSED_PAD src0_sel:DWORD src1_sel:WORD_1
	v_cmp_gt_i32_e32 vcc_lo, s23, v0
	v_perm_b32 v3, v3, v7, 0x5040100
	v_cndmask_b32_e32 v8, 0, v4, vcc_lo
	s_mov_b32 vcc_lo, s2
	v_cndmask_b32_sdwa v4, v97, v4, vcc_lo dst_sel:DWORD dst_unused:UNUSED_PAD src0_sel:DWORD src1_sel:WORD_1
	v_perm_b32 v4, v4, v8, 0x5040100
	s_or_b32 exec_lo, exec_lo, s14
	global_load_dwordx4 v[5:8], v[21:22], off offset:512
	s_and_saveexec_b32 s14, s1
	s_cbranch_execz .LBB170_35
.LBB170_53:                             ;   in Loop: Header=BB170_33 Depth=1
	v_cmp_gt_i32_e64 s2, s23, v100
	v_cmp_gt_i32_e32 vcc_lo, s13, v104
	v_cmp_gt_i32_e64 s3, s23, v103
	s_waitcnt vmcnt(0)
	v_cndmask_b32_e64 v9, 0, v5, s2
	v_cmp_gt_i32_e64 s2, s13, v102
	v_cndmask_b32_sdwa v5, v97, v5, vcc_lo dst_sel:DWORD dst_unused:UNUSED_PAD src0_sel:DWORD src1_sel:WORD_1
	v_cndmask_b32_e64 v10, 0, v6, s3
	v_cmp_gt_i32_e64 s3, s13, v78
	s_mov_b32 vcc_lo, s2
	v_cmp_gt_i32_e64 s2, s13, v76
	v_cndmask_b32_sdwa v6, v97, v6, vcc_lo dst_sel:DWORD dst_unused:UNUSED_PAD src0_sel:DWORD src1_sel:WORD_1
	v_cmp_gt_i32_e32 vcc_lo, s23, v77
	v_perm_b32 v5, v5, v9, 0x5040100
	v_perm_b32 v6, v6, v10, 0x5040100
	v_cndmask_b32_e32 v11, 0, v7, vcc_lo
	s_mov_b32 vcc_lo, s3
	v_cndmask_b32_sdwa v7, v97, v7, vcc_lo dst_sel:DWORD dst_unused:UNUSED_PAD src0_sel:DWORD src1_sel:WORD_1
	v_cmp_gt_i32_e32 vcc_lo, s23, v0
	v_perm_b32 v7, v7, v11, 0x5040100
	v_cndmask_b32_e32 v12, 0, v8, vcc_lo
	s_mov_b32 vcc_lo, s2
	v_cndmask_b32_sdwa v8, v97, v8, vcc_lo dst_sel:DWORD dst_unused:UNUSED_PAD src0_sel:DWORD src1_sel:WORD_1
	v_perm_b32 v8, v8, v12, 0x5040100
	s_or_b32 exec_lo, exec_lo, s14
	global_load_dwordx4 v[9:12], v[21:22], off offset:1024
	s_and_saveexec_b32 s14, s1
	s_cbranch_execz .LBB170_36
.LBB170_54:                             ;   in Loop: Header=BB170_33 Depth=1
	v_cmp_gt_i32_e64 s2, s23, v100
	v_cmp_gt_i32_e32 vcc_lo, s13, v104
	v_cmp_gt_i32_e64 s3, s23, v103
	s_waitcnt vmcnt(0)
	v_cndmask_b32_e64 v13, 0, v9, s2
	v_cmp_gt_i32_e64 s2, s13, v102
	v_cndmask_b32_sdwa v9, v97, v9, vcc_lo dst_sel:DWORD dst_unused:UNUSED_PAD src0_sel:DWORD src1_sel:WORD_1
	v_cndmask_b32_e64 v14, 0, v10, s3
	v_cmp_gt_i32_e64 s3, s13, v78
	s_mov_b32 vcc_lo, s2
	v_cmp_gt_i32_e64 s2, s13, v76
	v_cndmask_b32_sdwa v10, v97, v10, vcc_lo dst_sel:DWORD dst_unused:UNUSED_PAD src0_sel:DWORD src1_sel:WORD_1
	v_cmp_gt_i32_e32 vcc_lo, s23, v77
	v_perm_b32 v9, v9, v13, 0x5040100
	v_perm_b32 v10, v10, v14, 0x5040100
	v_cndmask_b32_e32 v15, 0, v11, vcc_lo
	s_mov_b32 vcc_lo, s3
	v_cndmask_b32_sdwa v11, v97, v11, vcc_lo dst_sel:DWORD dst_unused:UNUSED_PAD src0_sel:DWORD src1_sel:WORD_1
	v_cmp_gt_i32_e32 vcc_lo, s23, v0
	v_perm_b32 v11, v11, v15, 0x5040100
	v_cndmask_b32_e32 v16, 0, v12, vcc_lo
	s_mov_b32 vcc_lo, s2
	v_cndmask_b32_sdwa v12, v97, v12, vcc_lo dst_sel:DWORD dst_unused:UNUSED_PAD src0_sel:DWORD src1_sel:WORD_1
	v_perm_b32 v12, v12, v16, 0x5040100
	s_or_b32 exec_lo, exec_lo, s14
	global_load_dwordx4 v[13:16], v[21:22], off offset:1536
	s_and_saveexec_b32 s14, s1
	s_cbranch_execnz .LBB170_37
	s_branch .LBB170_38
.LBB170_55:                             ;   in Loop: Header=BB170_33 Depth=1
	v_cmp_gt_i32_e64 s2, s23, v100
	v_cmp_gt_i32_e32 vcc_lo, s13, v104
	v_cmp_gt_i32_e64 s3, s23, v103
	s_waitcnt vmcnt(0)
	v_cndmask_b32_e64 v25, 0, v17, s2
	v_cmp_gt_i32_e64 s2, s13, v102
	v_cndmask_b32_sdwa v17, v97, v17, vcc_lo dst_sel:DWORD dst_unused:UNUSED_PAD src0_sel:DWORD src1_sel:WORD_1
	v_cndmask_b32_e64 v26, 0, v18, s3
	v_cmp_gt_i32_e64 s3, s13, v78
	s_mov_b32 vcc_lo, s2
	v_cmp_gt_i32_e64 s2, s13, v76
	v_cndmask_b32_sdwa v18, v97, v18, vcc_lo dst_sel:DWORD dst_unused:UNUSED_PAD src0_sel:DWORD src1_sel:WORD_1
	v_cmp_gt_i32_e32 vcc_lo, s23, v77
	v_perm_b32 v17, v17, v25, 0x5040100
	v_perm_b32 v18, v18, v26, 0x5040100
	v_cndmask_b32_e32 v27, 0, v19, vcc_lo
	s_mov_b32 vcc_lo, s3
	v_cndmask_b32_sdwa v19, v97, v19, vcc_lo dst_sel:DWORD dst_unused:UNUSED_PAD src0_sel:DWORD src1_sel:WORD_1
	v_cmp_gt_i32_e32 vcc_lo, s23, v0
	v_perm_b32 v19, v19, v27, 0x5040100
	v_cndmask_b32_e32 v28, 0, v20, vcc_lo
	s_mov_b32 vcc_lo, s2
	v_cndmask_b32_sdwa v20, v97, v20, vcc_lo dst_sel:DWORD dst_unused:UNUSED_PAD src0_sel:DWORD src1_sel:WORD_1
	v_perm_b32 v20, v20, v28, 0x5040100
	s_or_b32 exec_lo, exec_lo, s14
	global_load_dwordx4 v[25:28], v[23:24], off offset:512
	s_and_saveexec_b32 s14, s1
	s_cbranch_execz .LBB170_40
.LBB170_56:                             ;   in Loop: Header=BB170_33 Depth=1
	v_cmp_gt_i32_e64 s2, s23, v100
	v_cmp_gt_i32_e32 vcc_lo, s13, v104
	v_cmp_gt_i32_e64 s3, s23, v103
	s_waitcnt vmcnt(0)
	v_cndmask_b32_e64 v29, 0, v25, s2
	v_cmp_gt_i32_e64 s2, s13, v102
	v_cndmask_b32_sdwa v25, v97, v25, vcc_lo dst_sel:DWORD dst_unused:UNUSED_PAD src0_sel:DWORD src1_sel:WORD_1
	v_cndmask_b32_e64 v30, 0, v26, s3
	v_cmp_gt_i32_e64 s3, s13, v78
	s_mov_b32 vcc_lo, s2
	v_cmp_gt_i32_e64 s2, s13, v76
	v_cndmask_b32_sdwa v26, v97, v26, vcc_lo dst_sel:DWORD dst_unused:UNUSED_PAD src0_sel:DWORD src1_sel:WORD_1
	v_cmp_gt_i32_e32 vcc_lo, s23, v77
	v_perm_b32 v25, v25, v29, 0x5040100
	v_perm_b32 v26, v26, v30, 0x5040100
	v_cndmask_b32_e32 v31, 0, v27, vcc_lo
	s_mov_b32 vcc_lo, s3
	v_cndmask_b32_sdwa v27, v97, v27, vcc_lo dst_sel:DWORD dst_unused:UNUSED_PAD src0_sel:DWORD src1_sel:WORD_1
	v_cmp_gt_i32_e32 vcc_lo, s23, v0
	v_perm_b32 v27, v27, v31, 0x5040100
	v_cndmask_b32_e32 v32, 0, v28, vcc_lo
	s_mov_b32 vcc_lo, s2
	v_cndmask_b32_sdwa v28, v97, v28, vcc_lo dst_sel:DWORD dst_unused:UNUSED_PAD src0_sel:DWORD src1_sel:WORD_1
	v_perm_b32 v28, v28, v32, 0x5040100
	s_or_b32 exec_lo, exec_lo, s14
	global_load_dwordx4 v[29:32], v[23:24], off offset:1024
	s_and_saveexec_b32 s14, s1
	s_cbranch_execz .LBB170_41
.LBB170_57:                             ;   in Loop: Header=BB170_33 Depth=1
	v_cmp_gt_i32_e64 s2, s23, v100
	v_cmp_gt_i32_e32 vcc_lo, s13, v104
	v_cmp_gt_i32_e64 s3, s23, v103
	s_waitcnt vmcnt(0)
	v_cndmask_b32_e64 v33, 0, v29, s2
	v_cmp_gt_i32_e64 s2, s13, v102
	v_cndmask_b32_sdwa v29, v97, v29, vcc_lo dst_sel:DWORD dst_unused:UNUSED_PAD src0_sel:DWORD src1_sel:WORD_1
	v_cndmask_b32_e64 v34, 0, v30, s3
	v_cmp_gt_i32_e64 s3, s13, v78
	s_mov_b32 vcc_lo, s2
	v_cmp_gt_i32_e64 s2, s13, v76
	v_cndmask_b32_sdwa v30, v97, v30, vcc_lo dst_sel:DWORD dst_unused:UNUSED_PAD src0_sel:DWORD src1_sel:WORD_1
	v_cmp_gt_i32_e32 vcc_lo, s23, v77
	v_perm_b32 v29, v29, v33, 0x5040100
	v_perm_b32 v30, v30, v34, 0x5040100
	v_cndmask_b32_e32 v35, 0, v31, vcc_lo
	s_mov_b32 vcc_lo, s3
	v_cndmask_b32_sdwa v31, v97, v31, vcc_lo dst_sel:DWORD dst_unused:UNUSED_PAD src0_sel:DWORD src1_sel:WORD_1
	v_cmp_gt_i32_e32 vcc_lo, s23, v0
	v_perm_b32 v31, v31, v35, 0x5040100
	v_cndmask_b32_e32 v36, 0, v32, vcc_lo
	s_mov_b32 vcc_lo, s2
	v_cndmask_b32_sdwa v32, v97, v32, vcc_lo dst_sel:DWORD dst_unused:UNUSED_PAD src0_sel:DWORD src1_sel:WORD_1
	v_perm_b32 v32, v32, v36, 0x5040100
	s_or_b32 exec_lo, exec_lo, s14
	global_load_dwordx4 v[33:36], v[23:24], off offset:1536
	s_and_saveexec_b32 s14, s1
	s_cbranch_execnz .LBB170_42
	s_branch .LBB170_43
.LBB170_58:                             ;   in Loop: Header=BB170_33 Depth=1
	v_cmp_gt_i32_e64 s2, s23, v100
	v_cmp_gt_i32_e32 vcc_lo, s13, v104
	v_cmp_gt_i32_e64 s3, s23, v103
	s_waitcnt vmcnt(0)
	v_cndmask_b32_e64 v41, 0, v37, s2
	v_cmp_gt_i32_e64 s2, s13, v102
	v_cndmask_b32_sdwa v37, v97, v37, vcc_lo dst_sel:DWORD dst_unused:UNUSED_PAD src0_sel:DWORD src1_sel:WORD_1
	v_cndmask_b32_e64 v42, 0, v38, s3
	v_cmp_gt_i32_e64 s3, s13, v78
	s_mov_b32 vcc_lo, s2
	v_cmp_gt_i32_e64 s2, s13, v76
	v_cndmask_b32_sdwa v38, v97, v38, vcc_lo dst_sel:DWORD dst_unused:UNUSED_PAD src0_sel:DWORD src1_sel:WORD_1
	v_cmp_gt_i32_e32 vcc_lo, s23, v77
	v_perm_b32 v37, v37, v41, 0x5040100
	v_perm_b32 v38, v38, v42, 0x5040100
	v_cndmask_b32_e32 v43, 0, v39, vcc_lo
	s_mov_b32 vcc_lo, s3
	v_cndmask_b32_sdwa v39, v97, v39, vcc_lo dst_sel:DWORD dst_unused:UNUSED_PAD src0_sel:DWORD src1_sel:WORD_1
	v_cmp_gt_i32_e32 vcc_lo, s23, v0
	v_perm_b32 v39, v39, v43, 0x5040100
	v_cndmask_b32_e32 v44, 0, v40, vcc_lo
	s_mov_b32 vcc_lo, s2
	v_cndmask_b32_sdwa v40, v97, v40, vcc_lo dst_sel:DWORD dst_unused:UNUSED_PAD src0_sel:DWORD src1_sel:WORD_1
	v_perm_b32 v40, v40, v44, 0x5040100
	s_or_b32 exec_lo, exec_lo, s14
	global_load_dwordx4 v[41:44], v[23:24], off offset:512
	s_and_saveexec_b32 s14, s1
	s_cbranch_execz .LBB170_45
.LBB170_59:                             ;   in Loop: Header=BB170_33 Depth=1
	v_cmp_gt_i32_e64 s2, s23, v100
	v_cmp_gt_i32_e32 vcc_lo, s13, v104
	v_cmp_gt_i32_e64 s3, s23, v103
	s_waitcnt vmcnt(0)
	v_cndmask_b32_e64 v53, 0, v41, s2
	v_cmp_gt_i32_e64 s2, s13, v102
	v_cndmask_b32_sdwa v41, v97, v41, vcc_lo dst_sel:DWORD dst_unused:UNUSED_PAD src0_sel:DWORD src1_sel:WORD_1
	v_cndmask_b32_e64 v54, 0, v42, s3
	v_cmp_gt_i32_e64 s3, s13, v78
	s_mov_b32 vcc_lo, s2
	v_cmp_gt_i32_e64 s2, s13, v76
	v_cndmask_b32_sdwa v42, v97, v42, vcc_lo dst_sel:DWORD dst_unused:UNUSED_PAD src0_sel:DWORD src1_sel:WORD_1
	v_cmp_gt_i32_e32 vcc_lo, s23, v77
	v_perm_b32 v41, v41, v53, 0x5040100
	v_perm_b32 v42, v42, v54, 0x5040100
	v_cndmask_b32_e32 v55, 0, v43, vcc_lo
	s_mov_b32 vcc_lo, s3
	v_cndmask_b32_sdwa v43, v97, v43, vcc_lo dst_sel:DWORD dst_unused:UNUSED_PAD src0_sel:DWORD src1_sel:WORD_1
	v_cmp_gt_i32_e32 vcc_lo, s23, v0
	v_perm_b32 v43, v43, v55, 0x5040100
	v_cndmask_b32_e32 v56, 0, v44, vcc_lo
	s_mov_b32 vcc_lo, s2
	v_cndmask_b32_sdwa v44, v97, v44, vcc_lo dst_sel:DWORD dst_unused:UNUSED_PAD src0_sel:DWORD src1_sel:WORD_1
	v_perm_b32 v44, v44, v56, 0x5040100
	s_or_b32 exec_lo, exec_lo, s14
	global_load_dwordx4 v[53:56], v[23:24], off offset:1024
	s_and_saveexec_b32 s14, s1
	s_cbranch_execz .LBB170_46
.LBB170_60:                             ;   in Loop: Header=BB170_33 Depth=1
	v_cmp_gt_i32_e64 s2, s23, v100
	v_cmp_gt_i32_e32 vcc_lo, s13, v104
	v_cmp_gt_i32_e64 s3, s23, v103
	s_waitcnt vmcnt(0)
	v_cndmask_b32_e64 v57, 0, v53, s2
	v_cmp_gt_i32_e64 s2, s13, v102
	v_cndmask_b32_sdwa v53, v97, v53, vcc_lo dst_sel:DWORD dst_unused:UNUSED_PAD src0_sel:DWORD src1_sel:WORD_1
	v_cndmask_b32_e64 v58, 0, v54, s3
	v_cmp_gt_i32_e64 s3, s13, v78
	s_mov_b32 vcc_lo, s2
	v_cmp_gt_i32_e64 s2, s13, v76
	v_cndmask_b32_sdwa v54, v97, v54, vcc_lo dst_sel:DWORD dst_unused:UNUSED_PAD src0_sel:DWORD src1_sel:WORD_1
	v_cmp_gt_i32_e32 vcc_lo, s23, v77
	v_perm_b32 v53, v53, v57, 0x5040100
	v_perm_b32 v54, v54, v58, 0x5040100
	v_cndmask_b32_e32 v59, 0, v55, vcc_lo
	s_mov_b32 vcc_lo, s3
	v_cndmask_b32_sdwa v55, v97, v55, vcc_lo dst_sel:DWORD dst_unused:UNUSED_PAD src0_sel:DWORD src1_sel:WORD_1
	v_cmp_gt_i32_e32 vcc_lo, s23, v0
	v_perm_b32 v55, v55, v59, 0x5040100
	v_cndmask_b32_e32 v60, 0, v56, vcc_lo
	s_mov_b32 vcc_lo, s2
	v_cndmask_b32_sdwa v56, v97, v56, vcc_lo dst_sel:DWORD dst_unused:UNUSED_PAD src0_sel:DWORD src1_sel:WORD_1
	v_perm_b32 v56, v56, v60, 0x5040100
	s_or_b32 exec_lo, exec_lo, s14
	global_load_dwordx4 v[57:60], v[23:24], off offset:1536
	s_and_saveexec_b32 s14, s1
	s_cbranch_execnz .LBB170_47
	s_branch .LBB170_48
.LBB170_61:                             ;   in Loop: Header=BB170_33 Depth=1
	v_cmp_gt_i32_e64 s2, s23, v100
	v_cmp_gt_i32_e32 vcc_lo, s13, v104
	v_cmp_gt_i32_e64 s3, s23, v103
	s_waitcnt vmcnt(0)
	v_cndmask_b32_e64 v23, 0, v61, s2
	v_cmp_gt_i32_e64 s2, s13, v102
	v_cndmask_b32_sdwa v61, v97, v61, vcc_lo dst_sel:DWORD dst_unused:UNUSED_PAD src0_sel:DWORD src1_sel:WORD_1
	v_cndmask_b32_e64 v24, 0, v62, s3
	v_cmp_gt_i32_e64 s3, s13, v78
	s_mov_b32 vcc_lo, s2
	v_cmp_gt_i32_e64 s2, s13, v76
	v_cndmask_b32_sdwa v62, v97, v62, vcc_lo dst_sel:DWORD dst_unused:UNUSED_PAD src0_sel:DWORD src1_sel:WORD_1
	v_cmp_gt_i32_e32 vcc_lo, s23, v77
	v_perm_b32 v61, v61, v23, 0x5040100
	v_perm_b32 v62, v62, v24, 0x5040100
	v_cndmask_b32_e32 v65, 0, v63, vcc_lo
	s_mov_b32 vcc_lo, s3
	v_cndmask_b32_sdwa v63, v97, v63, vcc_lo dst_sel:DWORD dst_unused:UNUSED_PAD src0_sel:DWORD src1_sel:WORD_1
	v_cmp_gt_i32_e32 vcc_lo, s23, v0
	v_perm_b32 v63, v63, v65, 0x5040100
	v_cndmask_b32_e32 v66, 0, v64, vcc_lo
	s_mov_b32 vcc_lo, s2
	v_cndmask_b32_sdwa v64, v97, v64, vcc_lo dst_sel:DWORD dst_unused:UNUSED_PAD src0_sel:DWORD src1_sel:WORD_1
	v_perm_b32 v64, v64, v66, 0x5040100
	s_or_b32 exec_lo, exec_lo, s14
	global_load_dwordx4 v[65:68], v[21:22], off offset:512
	s_and_saveexec_b32 s14, s1
	s_cbranch_execz .LBB170_50
.LBB170_62:                             ;   in Loop: Header=BB170_33 Depth=1
	v_cmp_gt_i32_e64 s2, s23, v100
	v_cmp_gt_i32_e32 vcc_lo, s13, v104
	v_cmp_gt_i32_e64 s3, s23, v103
	s_waitcnt vmcnt(0)
	v_cndmask_b32_e64 v23, 0, v65, s2
	v_cmp_gt_i32_e64 s2, s13, v102
	v_cndmask_b32_sdwa v65, v97, v65, vcc_lo dst_sel:DWORD dst_unused:UNUSED_PAD src0_sel:DWORD src1_sel:WORD_1
	v_cndmask_b32_e64 v24, 0, v66, s3
	v_cmp_gt_i32_e64 s3, s13, v78
	s_mov_b32 vcc_lo, s2
	v_cmp_gt_i32_e64 s2, s13, v76
	v_cndmask_b32_sdwa v66, v97, v66, vcc_lo dst_sel:DWORD dst_unused:UNUSED_PAD src0_sel:DWORD src1_sel:WORD_1
	v_cmp_gt_i32_e32 vcc_lo, s23, v77
	v_perm_b32 v65, v65, v23, 0x5040100
	v_perm_b32 v66, v66, v24, 0x5040100
	v_cndmask_b32_e32 v69, 0, v67, vcc_lo
	s_mov_b32 vcc_lo, s3
	v_cndmask_b32_sdwa v67, v97, v67, vcc_lo dst_sel:DWORD dst_unused:UNUSED_PAD src0_sel:DWORD src1_sel:WORD_1
	v_cmp_gt_i32_e32 vcc_lo, s23, v0
	v_perm_b32 v67, v67, v69, 0x5040100
	v_cndmask_b32_e32 v70, 0, v68, vcc_lo
	s_mov_b32 vcc_lo, s2
	v_cndmask_b32_sdwa v68, v97, v68, vcc_lo dst_sel:DWORD dst_unused:UNUSED_PAD src0_sel:DWORD src1_sel:WORD_1
	v_perm_b32 v68, v68, v70, 0x5040100
	s_or_b32 exec_lo, exec_lo, s14
	global_load_dwordx4 v[69:72], v[21:22], off offset:1024
	s_and_saveexec_b32 s14, s1
	s_cbranch_execz .LBB170_51
.LBB170_63:                             ;   in Loop: Header=BB170_33 Depth=1
	v_cmp_gt_i32_e64 s2, s23, v100
	v_cmp_gt_i32_e32 vcc_lo, s13, v104
	v_cmp_gt_i32_e64 s3, s23, v103
	s_waitcnt vmcnt(0)
	v_cndmask_b32_e64 v23, 0, v69, s2
	v_cmp_gt_i32_e64 s2, s13, v102
	v_cndmask_b32_sdwa v69, v97, v69, vcc_lo dst_sel:DWORD dst_unused:UNUSED_PAD src0_sel:DWORD src1_sel:WORD_1
	v_cndmask_b32_e64 v24, 0, v70, s3
	v_cmp_gt_i32_e64 s3, s13, v78
	s_mov_b32 vcc_lo, s2
	v_cmp_gt_i32_e64 s2, s13, v76
	v_cndmask_b32_sdwa v70, v97, v70, vcc_lo dst_sel:DWORD dst_unused:UNUSED_PAD src0_sel:DWORD src1_sel:WORD_1
	v_cmp_gt_i32_e32 vcc_lo, s23, v77
	v_perm_b32 v69, v69, v23, 0x5040100
	v_perm_b32 v70, v70, v24, 0x5040100
	v_cndmask_b32_e32 v105, 0, v71, vcc_lo
	s_mov_b32 vcc_lo, s3
	v_cndmask_b32_sdwa v71, v97, v71, vcc_lo dst_sel:DWORD dst_unused:UNUSED_PAD src0_sel:DWORD src1_sel:WORD_1
	v_cmp_gt_i32_e32 vcc_lo, s23, v0
	v_perm_b32 v71, v71, v105, 0x5040100
	v_cndmask_b32_e32 v106, 0, v72, vcc_lo
	s_mov_b32 vcc_lo, s2
	v_cndmask_b32_sdwa v72, v97, v72, vcc_lo dst_sel:DWORD dst_unused:UNUSED_PAD src0_sel:DWORD src1_sel:WORD_1
	v_perm_b32 v72, v72, v106, 0x5040100
	s_or_b32 exec_lo, exec_lo, s14
	global_load_dwordx4 v[21:24], v[21:22], off offset:1536
	s_and_saveexec_b32 s3, s1
	s_cbranch_execz .LBB170_32
.LBB170_64:                             ;   in Loop: Header=BB170_33 Depth=1
	v_cmp_gt_i32_e64 s1, s23, v100
	v_cmp_gt_i32_e32 vcc_lo, s13, v104
	v_cmp_gt_i32_e64 s2, s23, v103
	s_waitcnt vmcnt(0)
	v_cndmask_b32_e64 v104, 0, v21, s1
	v_cmp_gt_i32_e64 s1, s13, v102
	v_cndmask_b32_sdwa v21, v97, v21, vcc_lo dst_sel:DWORD dst_unused:UNUSED_PAD src0_sel:DWORD src1_sel:WORD_1
	v_cndmask_b32_e64 v102, 0, v22, s2
	v_cmp_gt_i32_e64 s2, s13, v78
	s_mov_b32 vcc_lo, s1
	v_cmp_gt_i32_e64 s1, s13, v76
	v_cndmask_b32_sdwa v22, v97, v22, vcc_lo dst_sel:DWORD dst_unused:UNUSED_PAD src0_sel:DWORD src1_sel:WORD_1
	v_cmp_gt_i32_e32 vcc_lo, s23, v77
	v_perm_b32 v21, v21, v104, 0x5040100
	v_perm_b32 v22, v22, v102, 0x5040100
	v_cndmask_b32_e32 v77, 0, v23, vcc_lo
	s_mov_b32 vcc_lo, s2
	v_cndmask_b32_sdwa v23, v97, v23, vcc_lo dst_sel:DWORD dst_unused:UNUSED_PAD src0_sel:DWORD src1_sel:WORD_1
	v_cmp_gt_i32_e32 vcc_lo, s23, v0
	v_perm_b32 v23, v23, v77, 0x5040100
	v_cndmask_b32_e32 v0, 0, v24, vcc_lo
	s_mov_b32 vcc_lo, s1
	v_cndmask_b32_sdwa v24, v97, v24, vcc_lo dst_sel:DWORD dst_unused:UNUSED_PAD src0_sel:DWORD src1_sel:WORD_1
	v_perm_b32 v24, v24, v0, 0x5040100
	s_branch .LBB170_32
.LBB170_65:
	s_or_b32 exec_lo, exec_lo, s12
.LBB170_66:
	s_or_b32 exec_lo, exec_lo, s5
	ds_bpermute_b32 v7, v80, v89
	ds_bpermute_b32 v16, v80, v88
	;; [unrolled: 1-line block ×16, first 2 shown]
	s_mov_b32 s1, exec_lo
	s_waitcnt lgkmcnt(0)
	s_waitcnt_vscnt null, 0x0
	s_barrier
	buffer_gl0_inv
	v_add_f32_e32 v8, v89, v7
	v_add_f32_e32 v7, v88, v16
	v_lshrrev_b32_e32 v16, 1, v79
	v_add_f32_e32 v15, v95, v0
	v_add_f32_e32 v14, v96, v1
	;; [unrolled: 1-line block ×12, first 2 shown]
	v_and_b32_e32 v19, 0x3c1, v108
	v_add_f32_e32 v2, v82, v22
	v_add_f32_e32 v1, v81, v23
	v_lshl_add_u32 v17, v16, 2, 0x220
	v_lshlrev_b32_e32 v18, 10, v110
	v_cmpx_eq_u32_e32 64, v19
	s_cbranch_execz .LBB170_68
; %bb.67:
	v_add_nc_u32_e32 v19, v17, v18
	v_add_nc_u32_e32 v20, 0xfffff800, v19
	;; [unrolled: 1-line block ×7, first 2 shown]
	ds_write_b32 v20, v15
	ds_write_b32 v21, v14
	;; [unrolled: 1-line block ×6, first 2 shown]
	v_add_nc_u32_e32 v20, 0xfffff980, v19
	v_add_nc_u32_e32 v21, 0xfffff9c0, v19
	;; [unrolled: 1-line block ×5, first 2 shown]
	ds_write_b32 v20, v9
	ds_write_b32 v21, v8
	;; [unrolled: 1-line block ×5, first 2 shown]
	v_add_nc_u32_e32 v20, 0xfffffac0, v19
	v_add_nc_u32_e32 v21, 0xfffffb00, v19
	;; [unrolled: 1-line block ×5, first 2 shown]
	ds_write_b32 v20, v4
	ds_write_b32 v21, v3
	;; [unrolled: 1-line block ×5, first 2 shown]
.LBB170_68:
	s_or_b32 exec_lo, exec_lo, s1
	v_lshlrev_b32_e32 v16, 2, v16
	v_cmp_eq_u32_e32 vcc_lo, 0, v109
	s_waitcnt lgkmcnt(0)
	s_barrier
	buffer_gl0_inv
	v_add3_u32 v16, 0x220, v18, v16
	s_and_saveexec_b32 s1, s0
	s_cbranch_execz .LBB170_87
; %bb.69:
	s_and_saveexec_b32 s0, vcc_lo
	s_cbranch_execnz .LBB170_111
; %bb.70:
	s_or_b32 exec_lo, exec_lo, s0
	s_and_saveexec_b32 s0, vcc_lo
	s_cbranch_execnz .LBB170_112
.LBB170_71:
	s_or_b32 exec_lo, exec_lo, s0
	s_and_saveexec_b32 s0, vcc_lo
	s_cbranch_execnz .LBB170_113
.LBB170_72:
	s_or_b32 exec_lo, exec_lo, s0
	s_and_saveexec_b32 s0, vcc_lo
	s_cbranch_execnz .LBB170_114
.LBB170_73:
	s_or_b32 exec_lo, exec_lo, s0
	s_and_saveexec_b32 s0, vcc_lo
	s_cbranch_execnz .LBB170_115
.LBB170_74:
	s_or_b32 exec_lo, exec_lo, s0
	s_and_saveexec_b32 s0, vcc_lo
	s_cbranch_execnz .LBB170_116
.LBB170_75:
	s_or_b32 exec_lo, exec_lo, s0
	s_and_saveexec_b32 s0, vcc_lo
	s_cbranch_execnz .LBB170_117
.LBB170_76:
	s_or_b32 exec_lo, exec_lo, s0
	s_and_saveexec_b32 s0, vcc_lo
	s_cbranch_execnz .LBB170_118
.LBB170_77:
	s_or_b32 exec_lo, exec_lo, s0
	s_and_saveexec_b32 s0, vcc_lo
	s_cbranch_execnz .LBB170_119
.LBB170_78:
	s_or_b32 exec_lo, exec_lo, s0
	s_and_saveexec_b32 s0, vcc_lo
	s_cbranch_execnz .LBB170_120
.LBB170_79:
	s_or_b32 exec_lo, exec_lo, s0
	s_and_saveexec_b32 s0, vcc_lo
	s_cbranch_execnz .LBB170_121
.LBB170_80:
	s_or_b32 exec_lo, exec_lo, s0
	s_and_saveexec_b32 s0, vcc_lo
	s_cbranch_execnz .LBB170_122
.LBB170_81:
	s_or_b32 exec_lo, exec_lo, s0
	s_and_saveexec_b32 s0, vcc_lo
	s_cbranch_execnz .LBB170_123
.LBB170_82:
	s_or_b32 exec_lo, exec_lo, s0
	s_and_saveexec_b32 s0, vcc_lo
	s_cbranch_execnz .LBB170_124
.LBB170_83:
	s_or_b32 exec_lo, exec_lo, s0
	s_and_saveexec_b32 s0, vcc_lo
	s_cbranch_execnz .LBB170_125
.LBB170_84:
	s_or_b32 exec_lo, exec_lo, s0
	s_and_saveexec_b32 s0, vcc_lo
	s_cbranch_execz .LBB170_86
.LBB170_85:
	ds_read_b32 v18, v16 offset:960
	s_waitcnt lgkmcnt(0)
	v_add_f32_e32 v1, v1, v18
.LBB170_86:
	s_or_b32 exec_lo, exec_lo, s0
.LBB170_87:
	s_or_b32 exec_lo, exec_lo, s1
	v_and_b32_e32 v18, 0x3e1, v108
	s_mov_b32 s1, exec_lo
	s_barrier
	buffer_gl0_inv
	v_cmpx_eq_u32_e32 32, v18
	s_cbranch_execz .LBB170_89
; %bb.88:
	ds_write2_b32 v17, v15, v14 offset1:16
	ds_write2_b32 v17, v13, v12 offset0:32 offset1:48
	ds_write2_b32 v17, v11, v10 offset0:64 offset1:80
	;; [unrolled: 1-line block ×7, first 2 shown]
.LBB170_89:
	s_or_b32 exec_lo, exec_lo, s1
	s_mov_b32 s1, exec_lo
	s_waitcnt lgkmcnt(0)
	s_barrier
	buffer_gl0_inv
	v_cmpx_gt_u32_e32 32, v108
	s_cbranch_execz .LBB170_108
; %bb.90:
	s_and_saveexec_b32 s0, vcc_lo
	s_cbranch_execnz .LBB170_126
; %bb.91:
	s_or_b32 exec_lo, exec_lo, s0
	s_and_saveexec_b32 s0, vcc_lo
	s_cbranch_execnz .LBB170_127
.LBB170_92:
	s_or_b32 exec_lo, exec_lo, s0
	s_and_saveexec_b32 s0, vcc_lo
	s_cbranch_execnz .LBB170_128
.LBB170_93:
	s_or_b32 exec_lo, exec_lo, s0
	s_and_saveexec_b32 s0, vcc_lo
	s_cbranch_execnz .LBB170_129
.LBB170_94:
	s_or_b32 exec_lo, exec_lo, s0
	s_and_saveexec_b32 s0, vcc_lo
	s_cbranch_execnz .LBB170_130
.LBB170_95:
	s_or_b32 exec_lo, exec_lo, s0
	s_and_saveexec_b32 s0, vcc_lo
	s_cbranch_execnz .LBB170_131
.LBB170_96:
	s_or_b32 exec_lo, exec_lo, s0
	s_and_saveexec_b32 s0, vcc_lo
	s_cbranch_execnz .LBB170_132
.LBB170_97:
	s_or_b32 exec_lo, exec_lo, s0
	s_and_saveexec_b32 s0, vcc_lo
	s_cbranch_execnz .LBB170_133
.LBB170_98:
	s_or_b32 exec_lo, exec_lo, s0
	s_and_saveexec_b32 s0, vcc_lo
	s_cbranch_execnz .LBB170_134
.LBB170_99:
	s_or_b32 exec_lo, exec_lo, s0
	s_and_saveexec_b32 s0, vcc_lo
	s_cbranch_execnz .LBB170_135
.LBB170_100:
	s_or_b32 exec_lo, exec_lo, s0
	s_and_saveexec_b32 s0, vcc_lo
	s_cbranch_execnz .LBB170_136
.LBB170_101:
	s_or_b32 exec_lo, exec_lo, s0
	s_and_saveexec_b32 s0, vcc_lo
	s_cbranch_execnz .LBB170_137
.LBB170_102:
	s_or_b32 exec_lo, exec_lo, s0
	s_and_saveexec_b32 s0, vcc_lo
	s_cbranch_execnz .LBB170_138
.LBB170_103:
	s_or_b32 exec_lo, exec_lo, s0
	s_and_saveexec_b32 s0, vcc_lo
	s_cbranch_execnz .LBB170_139
.LBB170_104:
	s_or_b32 exec_lo, exec_lo, s0
	s_and_saveexec_b32 s0, vcc_lo
	s_cbranch_execnz .LBB170_140
.LBB170_105:
	s_or_b32 exec_lo, exec_lo, s0
	s_and_saveexec_b32 s0, vcc_lo
	s_cbranch_execz .LBB170_107
.LBB170_106:
	ds_read_b32 v16, v16 offset:960
	s_waitcnt lgkmcnt(0)
	v_add_f32_e32 v1, v1, v16
.LBB170_107:
	s_or_b32 exec_lo, exec_lo, s0
.LBB170_108:
	s_or_b32 exec_lo, exec_lo, s1
	s_barrier
	buffer_gl0_inv
	s_mov_b32 s0, exec_lo
	v_cmpx_eq_u32_e32 0, v18
	s_cbranch_execz .LBB170_110
; %bb.109:
	s_lshl_b32 s0, s4, 8
	s_mul_i32 s2, s7, s10
	s_ashr_i32 s1, s0, 31
	v_bfe_u32 v17, v15, 16, 1
	s_lshl_b64 s[0:1], s[0:1], 1
	v_or_b32_e32 v18, 0x400000, v15
	s_add_u32 s4, s20, s0
	s_addc_u32 s5, s21, s1
	s_ashr_i32 s3, s2, 31
	v_add3_u32 v17, v17, v15, 0x7fff
	s_lshl_b64 s[0:1], s[2:3], 1
	v_bfe_u32 v19, v14, 16, 1
	s_add_u32 s2, s4, s0
	v_cmp_u_f32_e32 vcc_lo, v15, v15
	s_addc_u32 s3, s5, s1
	s_lshl_b32 s0, s8, 8
	v_lshlrev_b32_e32 v16, 1, v107
	s_ashr_i32 s1, s0, 31
	v_cndmask_b32_e32 v15, v17, v18, vcc_lo
	s_lshl_b64 s[0:1], s[0:1], 1
	v_bfe_u32 v17, v13, 16, 1
	v_add3_u32 v18, v19, v14, 0x7fff
	v_or_b32_e32 v19, 0x400000, v14
	v_cmp_u_f32_e32 vcc_lo, v14, v14
	s_add_u32 s0, s2, s0
	s_addc_u32 s1, s3, s1
	global_store_short_d16_hi v16, v15, s[0:1]
	v_add3_u32 v15, v17, v13, 0x7fff
	v_or_b32_e32 v17, 0x400000, v13
	v_cndmask_b32_e32 v14, v18, v19, vcc_lo
	v_bfe_u32 v18, v12, 16, 1
	v_cmp_u_f32_e32 vcc_lo, v13, v13
	global_store_short_d16_hi v16, v14, s[0:1] offset:32
	v_add3_u32 v14, v18, v12, 0x7fff
	v_cndmask_b32_e32 v13, v15, v17, vcc_lo
	v_bfe_u32 v15, v11, 16, 1
	v_or_b32_e32 v17, 0x400000, v12
	v_cmp_u_f32_e32 vcc_lo, v12, v12
	global_store_short_d16_hi v16, v13, s[0:1] offset:64
	v_add3_u32 v13, v15, v11, 0x7fff
	v_or_b32_e32 v15, 0x400000, v11
	v_cndmask_b32_e32 v12, v14, v17, vcc_lo
	v_bfe_u32 v14, v10, 16, 1
	v_cmp_u_f32_e32 vcc_lo, v11, v11
	global_store_short_d16_hi v16, v12, s[0:1] offset:96
	v_add3_u32 v12, v14, v10, 0x7fff
	v_cndmask_b32_e32 v11, v13, v15, vcc_lo
	v_bfe_u32 v13, v9, 16, 1
	v_or_b32_e32 v14, 0x400000, v10
	v_cmp_u_f32_e32 vcc_lo, v10, v10
	global_store_short_d16_hi v16, v11, s[0:1] offset:128
	;; [unrolled: 12-line block ×4, first 2 shown]
	v_add3_u32 v7, v9, v5, 0x7fff
	v_or_b32_e32 v9, 0x400000, v5
	v_cndmask_b32_e32 v6, v8, v10, vcc_lo
	v_bfe_u32 v8, v4, 16, 1
	v_cmp_u_f32_e32 vcc_lo, v5, v5
	v_or_b32_e32 v10, 0x400000, v1
	global_store_short_d16_hi v16, v6, s[0:1] offset:288
	v_add3_u32 v6, v8, v4, 0x7fff
	v_cndmask_b32_e32 v5, v7, v9, vcc_lo
	v_bfe_u32 v7, v3, 16, 1
	v_or_b32_e32 v8, 0x400000, v4
	v_cmp_u_f32_e32 vcc_lo, v4, v4
	v_or_b32_e32 v9, 0x400000, v2
	global_store_short_d16_hi v16, v5, s[0:1] offset:320
	v_add3_u32 v5, v7, v3, 0x7fff
	v_or_b32_e32 v7, 0x400000, v3
	v_cndmask_b32_e32 v4, v6, v8, vcc_lo
	v_bfe_u32 v6, v0, 16, 1
	v_cmp_u_f32_e32 vcc_lo, v3, v3
	v_bfe_u32 v8, v2, 16, 1
	v_add3_u32 v6, v6, v0, 0x7fff
	v_cndmask_b32_e32 v3, v5, v7, vcc_lo
	v_or_b32_e32 v7, 0x400000, v0
	v_cmp_u_f32_e32 vcc_lo, v0, v0
	v_bfe_u32 v5, v1, 16, 1
	v_add3_u32 v8, v8, v2, 0x7fff
	v_cndmask_b32_e32 v0, v6, v7, vcc_lo
	v_cmp_u_f32_e32 vcc_lo, v2, v2
	v_add3_u32 v5, v5, v1, 0x7fff
	v_cndmask_b32_e32 v2, v8, v9, vcc_lo
	v_cmp_u_f32_e32 vcc_lo, v1, v1
	v_cndmask_b32_e32 v1, v5, v10, vcc_lo
	global_store_short_d16_hi v16, v4, s[0:1] offset:352
	global_store_short_d16_hi v16, v3, s[0:1] offset:384
	;; [unrolled: 1-line block ×5, first 2 shown]
.LBB170_110:
	s_endpgm
.LBB170_111:
	ds_read_b32 v18, v16
	s_waitcnt lgkmcnt(0)
	v_add_f32_e32 v15, v15, v18
	s_or_b32 exec_lo, exec_lo, s0
	s_and_saveexec_b32 s0, vcc_lo
	s_cbranch_execz .LBB170_71
.LBB170_112:
	ds_read_b32 v18, v16 offset:64
	s_waitcnt lgkmcnt(0)
	v_add_f32_e32 v14, v14, v18
	s_or_b32 exec_lo, exec_lo, s0
	s_and_saveexec_b32 s0, vcc_lo
	s_cbranch_execz .LBB170_72
.LBB170_113:
	ds_read_b32 v18, v16 offset:128
	s_waitcnt lgkmcnt(0)
	v_add_f32_e32 v13, v13, v18
	s_or_b32 exec_lo, exec_lo, s0
	s_and_saveexec_b32 s0, vcc_lo
	s_cbranch_execz .LBB170_73
.LBB170_114:
	ds_read_b32 v18, v16 offset:192
	s_waitcnt lgkmcnt(0)
	v_add_f32_e32 v12, v12, v18
	s_or_b32 exec_lo, exec_lo, s0
	s_and_saveexec_b32 s0, vcc_lo
	s_cbranch_execz .LBB170_74
.LBB170_115:
	ds_read_b32 v18, v16 offset:256
	s_waitcnt lgkmcnt(0)
	v_add_f32_e32 v11, v11, v18
	s_or_b32 exec_lo, exec_lo, s0
	s_and_saveexec_b32 s0, vcc_lo
	s_cbranch_execz .LBB170_75
.LBB170_116:
	ds_read_b32 v18, v16 offset:320
	s_waitcnt lgkmcnt(0)
	v_add_f32_e32 v10, v10, v18
	s_or_b32 exec_lo, exec_lo, s0
	s_and_saveexec_b32 s0, vcc_lo
	s_cbranch_execz .LBB170_76
.LBB170_117:
	ds_read_b32 v18, v16 offset:384
	s_waitcnt lgkmcnt(0)
	v_add_f32_e32 v9, v9, v18
	s_or_b32 exec_lo, exec_lo, s0
	s_and_saveexec_b32 s0, vcc_lo
	s_cbranch_execz .LBB170_77
.LBB170_118:
	ds_read_b32 v18, v16 offset:448
	s_waitcnt lgkmcnt(0)
	v_add_f32_e32 v8, v8, v18
	s_or_b32 exec_lo, exec_lo, s0
	s_and_saveexec_b32 s0, vcc_lo
	s_cbranch_execz .LBB170_78
.LBB170_119:
	ds_read_b32 v18, v16 offset:512
	s_waitcnt lgkmcnt(0)
	v_add_f32_e32 v7, v7, v18
	s_or_b32 exec_lo, exec_lo, s0
	s_and_saveexec_b32 s0, vcc_lo
	s_cbranch_execz .LBB170_79
.LBB170_120:
	ds_read_b32 v18, v16 offset:576
	s_waitcnt lgkmcnt(0)
	v_add_f32_e32 v6, v6, v18
	s_or_b32 exec_lo, exec_lo, s0
	s_and_saveexec_b32 s0, vcc_lo
	s_cbranch_execz .LBB170_80
.LBB170_121:
	ds_read_b32 v18, v16 offset:640
	s_waitcnt lgkmcnt(0)
	v_add_f32_e32 v5, v5, v18
	s_or_b32 exec_lo, exec_lo, s0
	s_and_saveexec_b32 s0, vcc_lo
	s_cbranch_execz .LBB170_81
.LBB170_122:
	ds_read_b32 v18, v16 offset:704
	s_waitcnt lgkmcnt(0)
	v_add_f32_e32 v4, v4, v18
	s_or_b32 exec_lo, exec_lo, s0
	s_and_saveexec_b32 s0, vcc_lo
	s_cbranch_execz .LBB170_82
.LBB170_123:
	ds_read_b32 v18, v16 offset:768
	s_waitcnt lgkmcnt(0)
	v_add_f32_e32 v3, v3, v18
	s_or_b32 exec_lo, exec_lo, s0
	s_and_saveexec_b32 s0, vcc_lo
	s_cbranch_execz .LBB170_83
.LBB170_124:
	ds_read_b32 v18, v16 offset:832
	s_waitcnt lgkmcnt(0)
	v_add_f32_e32 v0, v0, v18
	s_or_b32 exec_lo, exec_lo, s0
	s_and_saveexec_b32 s0, vcc_lo
	s_cbranch_execz .LBB170_84
.LBB170_125:
	ds_read_b32 v18, v16 offset:896
	s_waitcnt lgkmcnt(0)
	v_add_f32_e32 v2, v2, v18
	s_or_b32 exec_lo, exec_lo, s0
	s_and_saveexec_b32 s0, vcc_lo
	s_cbranch_execnz .LBB170_85
	s_branch .LBB170_86
.LBB170_126:
	ds_read_b32 v17, v16
	s_waitcnt lgkmcnt(0)
	v_add_f32_e32 v15, v15, v17
	s_or_b32 exec_lo, exec_lo, s0
	s_and_saveexec_b32 s0, vcc_lo
	s_cbranch_execz .LBB170_92
.LBB170_127:
	ds_read_b32 v17, v16 offset:64
	s_waitcnt lgkmcnt(0)
	v_add_f32_e32 v14, v14, v17
	s_or_b32 exec_lo, exec_lo, s0
	s_and_saveexec_b32 s0, vcc_lo
	s_cbranch_execz .LBB170_93
.LBB170_128:
	ds_read_b32 v17, v16 offset:128
	s_waitcnt lgkmcnt(0)
	v_add_f32_e32 v13, v13, v17
	s_or_b32 exec_lo, exec_lo, s0
	s_and_saveexec_b32 s0, vcc_lo
	s_cbranch_execz .LBB170_94
.LBB170_129:
	ds_read_b32 v17, v16 offset:192
	s_waitcnt lgkmcnt(0)
	v_add_f32_e32 v12, v12, v17
	s_or_b32 exec_lo, exec_lo, s0
	s_and_saveexec_b32 s0, vcc_lo
	s_cbranch_execz .LBB170_95
.LBB170_130:
	ds_read_b32 v17, v16 offset:256
	s_waitcnt lgkmcnt(0)
	v_add_f32_e32 v11, v11, v17
	s_or_b32 exec_lo, exec_lo, s0
	s_and_saveexec_b32 s0, vcc_lo
	s_cbranch_execz .LBB170_96
.LBB170_131:
	ds_read_b32 v17, v16 offset:320
	s_waitcnt lgkmcnt(0)
	v_add_f32_e32 v10, v10, v17
	s_or_b32 exec_lo, exec_lo, s0
	s_and_saveexec_b32 s0, vcc_lo
	s_cbranch_execz .LBB170_97
.LBB170_132:
	ds_read_b32 v17, v16 offset:384
	s_waitcnt lgkmcnt(0)
	v_add_f32_e32 v9, v9, v17
	s_or_b32 exec_lo, exec_lo, s0
	s_and_saveexec_b32 s0, vcc_lo
	s_cbranch_execz .LBB170_98
.LBB170_133:
	ds_read_b32 v17, v16 offset:448
	s_waitcnt lgkmcnt(0)
	v_add_f32_e32 v8, v8, v17
	s_or_b32 exec_lo, exec_lo, s0
	s_and_saveexec_b32 s0, vcc_lo
	s_cbranch_execz .LBB170_99
.LBB170_134:
	ds_read_b32 v17, v16 offset:512
	s_waitcnt lgkmcnt(0)
	v_add_f32_e32 v7, v7, v17
	s_or_b32 exec_lo, exec_lo, s0
	s_and_saveexec_b32 s0, vcc_lo
	s_cbranch_execz .LBB170_100
.LBB170_135:
	ds_read_b32 v17, v16 offset:576
	s_waitcnt lgkmcnt(0)
	v_add_f32_e32 v6, v6, v17
	s_or_b32 exec_lo, exec_lo, s0
	s_and_saveexec_b32 s0, vcc_lo
	s_cbranch_execz .LBB170_101
.LBB170_136:
	ds_read_b32 v17, v16 offset:640
	s_waitcnt lgkmcnt(0)
	v_add_f32_e32 v5, v5, v17
	s_or_b32 exec_lo, exec_lo, s0
	s_and_saveexec_b32 s0, vcc_lo
	s_cbranch_execz .LBB170_102
.LBB170_137:
	ds_read_b32 v17, v16 offset:704
	s_waitcnt lgkmcnt(0)
	v_add_f32_e32 v4, v4, v17
	s_or_b32 exec_lo, exec_lo, s0
	s_and_saveexec_b32 s0, vcc_lo
	s_cbranch_execz .LBB170_103
.LBB170_138:
	ds_read_b32 v17, v16 offset:768
	s_waitcnt lgkmcnt(0)
	v_add_f32_e32 v3, v3, v17
	s_or_b32 exec_lo, exec_lo, s0
	s_and_saveexec_b32 s0, vcc_lo
	s_cbranch_execz .LBB170_104
.LBB170_139:
	ds_read_b32 v17, v16 offset:832
	s_waitcnt lgkmcnt(0)
	v_add_f32_e32 v0, v0, v17
	s_or_b32 exec_lo, exec_lo, s0
	s_and_saveexec_b32 s0, vcc_lo
	s_cbranch_execz .LBB170_105
.LBB170_140:
	ds_read_b32 v17, v16 offset:896
	s_waitcnt lgkmcnt(0)
	v_add_f32_e32 v2, v2, v17
	s_or_b32 exec_lo, exec_lo, s0
	s_and_saveexec_b32 s0, vcc_lo
	s_cbranch_execnz .LBB170_106
	s_branch .LBB170_107
	.section	.rodata,"a",@progbits
	.p2align	6, 0x0
	.amdhsa_kernel _ZN4vllm25paged_attention_v2_kernelI14__hip_bfloat16S1_Li256ELi16ELi128ELNS_18Fp8KVCacheDataTypeE0ELb0ELi512EEEvPfS3_PT_PKS4_PKT0_SA_ifPKiSC_iPKfiiiSE_SE_iiiii
		.amdhsa_group_segment_fixed_size 544
		.amdhsa_private_segment_fixed_size 160
		.amdhsa_kernarg_size 400
		.amdhsa_user_sgpr_count 6
		.amdhsa_user_sgpr_private_segment_buffer 1
		.amdhsa_user_sgpr_dispatch_ptr 0
		.amdhsa_user_sgpr_queue_ptr 0
		.amdhsa_user_sgpr_kernarg_segment_ptr 1
		.amdhsa_user_sgpr_dispatch_id 0
		.amdhsa_user_sgpr_flat_scratch_init 0
		.amdhsa_user_sgpr_private_segment_size 0
		.amdhsa_wavefront_size32 1
		.amdhsa_uses_dynamic_stack 0
		.amdhsa_system_sgpr_private_segment_wavefront_offset 1
		.amdhsa_system_sgpr_workgroup_id_x 1
		.amdhsa_system_sgpr_workgroup_id_y 1
		.amdhsa_system_sgpr_workgroup_id_z 1
		.amdhsa_system_sgpr_workgroup_info 0
		.amdhsa_system_vgpr_workitem_id 0
		.amdhsa_next_free_vgpr 128
		.amdhsa_next_free_sgpr 44
		.amdhsa_reserve_vcc 1
		.amdhsa_reserve_flat_scratch 0
		.amdhsa_float_round_mode_32 0
		.amdhsa_float_round_mode_16_64 0
		.amdhsa_float_denorm_mode_32 3
		.amdhsa_float_denorm_mode_16_64 3
		.amdhsa_dx10_clamp 1
		.amdhsa_ieee_mode 1
		.amdhsa_fp16_overflow 0
		.amdhsa_workgroup_processor_mode 1
		.amdhsa_memory_ordered 1
		.amdhsa_forward_progress 1
		.amdhsa_shared_vgpr_count 0
		.amdhsa_exception_fp_ieee_invalid_op 0
		.amdhsa_exception_fp_denorm_src 0
		.amdhsa_exception_fp_ieee_div_zero 0
		.amdhsa_exception_fp_ieee_overflow 0
		.amdhsa_exception_fp_ieee_underflow 0
		.amdhsa_exception_fp_ieee_inexact 0
		.amdhsa_exception_int_div_zero 0
	.end_amdhsa_kernel
	.section	.text._ZN4vllm25paged_attention_v2_kernelI14__hip_bfloat16S1_Li256ELi16ELi128ELNS_18Fp8KVCacheDataTypeE0ELb0ELi512EEEvPfS3_PT_PKS4_PKT0_SA_ifPKiSC_iPKfiiiSE_SE_iiiii,"axG",@progbits,_ZN4vllm25paged_attention_v2_kernelI14__hip_bfloat16S1_Li256ELi16ELi128ELNS_18Fp8KVCacheDataTypeE0ELb0ELi512EEEvPfS3_PT_PKS4_PKT0_SA_ifPKiSC_iPKfiiiSE_SE_iiiii,comdat
.Lfunc_end170:
	.size	_ZN4vllm25paged_attention_v2_kernelI14__hip_bfloat16S1_Li256ELi16ELi128ELNS_18Fp8KVCacheDataTypeE0ELb0ELi512EEEvPfS3_PT_PKS4_PKT0_SA_ifPKiSC_iPKfiiiSE_SE_iiiii, .Lfunc_end170-_ZN4vllm25paged_attention_v2_kernelI14__hip_bfloat16S1_Li256ELi16ELi128ELNS_18Fp8KVCacheDataTypeE0ELb0ELi512EEEvPfS3_PT_PKS4_PKT0_SA_ifPKiSC_iPKfiiiSE_SE_iiiii
                                        ; -- End function
	.set _ZN4vllm25paged_attention_v2_kernelI14__hip_bfloat16S1_Li256ELi16ELi128ELNS_18Fp8KVCacheDataTypeE0ELb0ELi512EEEvPfS3_PT_PKS4_PKT0_SA_ifPKiSC_iPKfiiiSE_SE_iiiii.num_vgpr, 128
	.set _ZN4vllm25paged_attention_v2_kernelI14__hip_bfloat16S1_Li256ELi16ELi128ELNS_18Fp8KVCacheDataTypeE0ELb0ELi512EEEvPfS3_PT_PKS4_PKT0_SA_ifPKiSC_iPKfiiiSE_SE_iiiii.num_agpr, 0
	.set _ZN4vllm25paged_attention_v2_kernelI14__hip_bfloat16S1_Li256ELi16ELi128ELNS_18Fp8KVCacheDataTypeE0ELb0ELi512EEEvPfS3_PT_PKS4_PKT0_SA_ifPKiSC_iPKfiiiSE_SE_iiiii.numbered_sgpr, 44
	.set _ZN4vllm25paged_attention_v2_kernelI14__hip_bfloat16S1_Li256ELi16ELi128ELNS_18Fp8KVCacheDataTypeE0ELb0ELi512EEEvPfS3_PT_PKS4_PKT0_SA_ifPKiSC_iPKfiiiSE_SE_iiiii.num_named_barrier, 0
	.set _ZN4vllm25paged_attention_v2_kernelI14__hip_bfloat16S1_Li256ELi16ELi128ELNS_18Fp8KVCacheDataTypeE0ELb0ELi512EEEvPfS3_PT_PKS4_PKT0_SA_ifPKiSC_iPKfiiiSE_SE_iiiii.private_seg_size, 160
	.set _ZN4vllm25paged_attention_v2_kernelI14__hip_bfloat16S1_Li256ELi16ELi128ELNS_18Fp8KVCacheDataTypeE0ELb0ELi512EEEvPfS3_PT_PKS4_PKT0_SA_ifPKiSC_iPKfiiiSE_SE_iiiii.uses_vcc, 1
	.set _ZN4vllm25paged_attention_v2_kernelI14__hip_bfloat16S1_Li256ELi16ELi128ELNS_18Fp8KVCacheDataTypeE0ELb0ELi512EEEvPfS3_PT_PKS4_PKT0_SA_ifPKiSC_iPKfiiiSE_SE_iiiii.uses_flat_scratch, 0
	.set _ZN4vllm25paged_attention_v2_kernelI14__hip_bfloat16S1_Li256ELi16ELi128ELNS_18Fp8KVCacheDataTypeE0ELb0ELi512EEEvPfS3_PT_PKS4_PKT0_SA_ifPKiSC_iPKfiiiSE_SE_iiiii.has_dyn_sized_stack, 0
	.set _ZN4vllm25paged_attention_v2_kernelI14__hip_bfloat16S1_Li256ELi16ELi128ELNS_18Fp8KVCacheDataTypeE0ELb0ELi512EEEvPfS3_PT_PKS4_PKT0_SA_ifPKiSC_iPKfiiiSE_SE_iiiii.has_recursion, 0
	.set _ZN4vllm25paged_attention_v2_kernelI14__hip_bfloat16S1_Li256ELi16ELi128ELNS_18Fp8KVCacheDataTypeE0ELb0ELi512EEEvPfS3_PT_PKS4_PKT0_SA_ifPKiSC_iPKfiiiSE_SE_iiiii.has_indirect_call, 0
	.section	.AMDGPU.csdata,"",@progbits
; Kernel info:
; codeLenInByte = 19984
; TotalNumSgprs: 46
; NumVgprs: 128
; ScratchSize: 160
; MemoryBound: 0
; FloatMode: 240
; IeeeMode: 1
; LDSByteSize: 544 bytes/workgroup (compile time only)
; SGPRBlocks: 0
; VGPRBlocks: 15
; NumSGPRsForWavesPerEU: 46
; NumVGPRsForWavesPerEU: 128
; Occupancy: 8
; WaveLimiterHint : 1
; COMPUTE_PGM_RSRC2:SCRATCH_EN: 1
; COMPUTE_PGM_RSRC2:USER_SGPR: 6
; COMPUTE_PGM_RSRC2:TRAP_HANDLER: 0
; COMPUTE_PGM_RSRC2:TGID_X_EN: 1
; COMPUTE_PGM_RSRC2:TGID_Y_EN: 1
; COMPUTE_PGM_RSRC2:TGID_Z_EN: 1
; COMPUTE_PGM_RSRC2:TIDIG_COMP_CNT: 0
	.section	.text._ZN4vllm25paged_attention_v2_kernelI14__hip_bfloat16S1_Li32ELi32ELi128ELNS_18Fp8KVCacheDataTypeE0ELb1ELi512EEEvPfS3_PT_PKS4_PKT0_SA_ifPKiSC_iPKfiiiSE_SE_iiiii,"axG",@progbits,_ZN4vllm25paged_attention_v2_kernelI14__hip_bfloat16S1_Li32ELi32ELi128ELNS_18Fp8KVCacheDataTypeE0ELb1ELi512EEEvPfS3_PT_PKS4_PKT0_SA_ifPKiSC_iPKfiiiSE_SE_iiiii,comdat
	.protected	_ZN4vllm25paged_attention_v2_kernelI14__hip_bfloat16S1_Li32ELi32ELi128ELNS_18Fp8KVCacheDataTypeE0ELb1ELi512EEEvPfS3_PT_PKS4_PKT0_SA_ifPKiSC_iPKfiiiSE_SE_iiiii ; -- Begin function _ZN4vllm25paged_attention_v2_kernelI14__hip_bfloat16S1_Li32ELi32ELi128ELNS_18Fp8KVCacheDataTypeE0ELb1ELi512EEEvPfS3_PT_PKS4_PKT0_SA_ifPKiSC_iPKfiiiSE_SE_iiiii
	.globl	_ZN4vllm25paged_attention_v2_kernelI14__hip_bfloat16S1_Li32ELi32ELi128ELNS_18Fp8KVCacheDataTypeE0ELb1ELi512EEEvPfS3_PT_PKS4_PKT0_SA_ifPKiSC_iPKfiiiSE_SE_iiiii
	.p2align	8
	.type	_ZN4vllm25paged_attention_v2_kernelI14__hip_bfloat16S1_Li32ELi32ELi128ELNS_18Fp8KVCacheDataTypeE0ELb1ELi512EEEvPfS3_PT_PKS4_PKT0_SA_ifPKiSC_iPKfiiiSE_SE_iiiii,@function
_ZN4vllm25paged_attention_v2_kernelI14__hip_bfloat16S1_Li32ELi32ELi128ELNS_18Fp8KVCacheDataTypeE0ELb1ELi512EEEvPfS3_PT_PKS4_PKT0_SA_ifPKiSC_iPKfiiiSE_SE_iiiii: ; @_ZN4vllm25paged_attention_v2_kernelI14__hip_bfloat16S1_Li32ELi32ELi128ELNS_18Fp8KVCacheDataTypeE0ELb1ELi512EEEvPfS3_PT_PKS4_PKT0_SA_ifPKiSC_iPKfiiiSE_SE_iiiii
; %bb.0:
	s_load_dwordx2 s[0:1], s[4:5], 0x40
	s_mov_b32 s26, s7
	s_ashr_i32 s27, s7, 31
	s_lshl_b64 s[2:3], s[26:27], 2
	s_waitcnt lgkmcnt(0)
	s_add_u32 s0, s0, s2
	s_addc_u32 s1, s1, s3
	s_lshl_b32 s37, s8, 9
	s_load_dword s27, s[0:1], 0x0
	s_waitcnt lgkmcnt(0)
	s_cmp_ge_i32 s37, s27
	s_cbranch_scc1 .LBB171_68
; %bb.1:
	s_clause 0x1
	s_load_dword s9, s[4:5], 0x90
	s_load_dwordx2 s[2:3], s[4:5], 0x30
	s_mov_b32 s39, 0
	s_waitcnt lgkmcnt(0)
	s_abs_i32 s10, s9
	s_abs_i32 s0, s2
	v_cvt_f32_u32_e32 v1, s0
	s_sub_i32 s7, 0, s0
	v_rcp_iflag_f32_e32 v1, v1
	v_mul_f32_e32 v1, 0x4f7ffffe, v1
	v_cvt_u32_f32_e32 v1, v1
	v_readfirstlane_b32 s1, v1
	s_mul_i32 s7, s7, s1
	s_mul_hi_u32 s7, s1, s7
	s_add_i32 s1, s1, s7
	s_xor_b32 s7, s9, s2
	s_mul_hi_u32 s1, s10, s1
	s_ashr_i32 s7, s7, 31
	s_mul_i32 s11, s1, s0
	s_sub_i32 s10, s10, s11
	s_add_i32 s11, s1, 1
	s_sub_i32 s12, s10, s0
	s_cmp_ge_u32 s10, s0
	s_cselect_b32 s1, s11, s1
	s_cselect_b32 s10, s12, s10
	s_add_i32 s11, s1, 1
	s_cmp_ge_u32 s10, s0
	s_cselect_b32 s0, s11, s1
	s_abs_i32 s21, s6
	s_xor_b32 s0, s0, s7
	s_sub_i32 s10, s0, s7
	s_load_dwordx2 s[0:1], s[4:5], 0x50
	s_abs_i32 s20, s10
	v_cvt_f32_u32_e32 v1, s20
	s_sub_i32 s11, 0, s20
	v_rcp_iflag_f32_e32 v1, v1
	v_mul_f32_e32 v1, 0x4f7ffffe, v1
	v_cvt_u32_f32_e32 v1, v1
	v_readfirstlane_b32 s7, v1
	s_mul_i32 s11, s11, s7
	s_mul_hi_u32 s11, s7, s11
	s_add_i32 s7, s7, s11
	s_waitcnt lgkmcnt(0)
	s_cmp_eq_u64 s[0:1], 0
	s_mul_hi_u32 s22, s21, s7
	s_cbranch_scc1 .LBB171_3
; %bb.2:
	s_ashr_i32 s7, s6, 31
	s_lshl_b64 s[12:13], s[6:7], 2
	s_add_u32 s0, s0, s12
	s_addc_u32 s1, s1, s13
	s_load_dword s39, s[0:1], 0x0
.LBB171_3:
	s_load_dwordx4 s[12:15], s[4:5], 0x58
	v_lshlrev_b32_e32 v3, 4, v0
	s_ashr_i32 s0, s6, 31
	s_ashr_i32 s1, s10, 31
	s_lshl_b32 s10, s6, 5
	s_mov_b32 s7, exec_lo
	v_cmpx_gt_u32_e32 4, v0
	s_cbranch_execz .LBB171_5
; %bb.4:
	s_load_dwordx2 s[16:17], s[4:5], 0x18
	s_waitcnt lgkmcnt(0)
	s_mul_i32 s18, s12, s26
	s_ashr_i32 s19, s18, 31
	s_lshl_b64 s[18:19], s[18:19], 1
	s_add_u32 s12, s16, s18
	s_addc_u32 s15, s17, s19
	s_ashr_i32 s11, s10, 31
	s_lshl_b64 s[16:17], s[10:11], 1
	s_add_u32 s16, s12, s16
	s_addc_u32 s17, s15, s17
	global_load_dwordx4 v[4:7], v3, s[16:17]
	s_waitcnt vmcnt(0)
	ds_write_b128 v3, v[4:7]
.LBB171_5:
	s_or_b32 exec_lo, exec_lo, s7
	s_load_dwordx4 s[16:19], s[4:5], 0x78
	s_mul_i32 s7, s22, s20
	s_xor_b32 s0, s0, s1
	s_sub_i32 s1, s21, s7
	s_add_i32 s7, s22, 1
	s_sub_i32 s11, s1, s20
	s_cmp_ge_u32 s1, s20
	s_mov_b32 s21, -1
	s_cselect_b32 s7, s7, s22
	s_cselect_b32 s1, s11, s1
	s_add_i32 s11, s7, 1
	s_cmp_ge_u32 s1, s20
                                        ; implicit-def: $sgpr33
	s_cselect_b32 s1, s11, s7
	s_load_dword s7, s[4:5], 0x88
	s_xor_b32 s1, s1, s0
	s_add_i32 s20, s27, -1
	s_sub_i32 s1, s1, s0
	s_waitcnt lgkmcnt(0)
	s_abs_i32 s15, s20
	s_abs_i32 s11, s19
	s_barrier
	v_cvt_f32_u32_e32 v1, s11
	s_sub_i32 s0, 0, s11
	buffer_gl0_inv
	v_rcp_iflag_f32_e32 v1, v1
	v_mul_f32_e32 v1, 0x4f7ffffe, v1
	v_cvt_u32_f32_e32 v1, v1
	v_readfirstlane_b32 s12, v1
	s_mul_i32 s0, s0, s12
	s_mul_hi_u32 s0, s12, s0
	s_add_i32 s12, s12, s0
	s_cmp_lt_i32 s7, 0
	s_mul_hi_u32 s0, s15, s12
	s_cbranch_scc0 .LBB171_7
; %bb.6:
	s_mul_i32 s2, s16, s2
	s_mov_b32 s21, 0
	s_add_i32 s2, s1, s2
	s_mul_i32 s2, s2, s7
	s_sub_i32 s33, 1, s2
.LBB171_7:
	s_load_dwordx2 s[28:29], s[4:5], 0x38
	s_ashr_i32 s2, s20, 31
	s_andn2_b32 vcc_lo, exec_lo, s21
	s_ashr_i32 s19, s19, 31
	s_cbranch_vccnz .LBB171_9
; %bb.8:
	s_mul_i32 s16, s9, s16
	s_add_i32 s16, s16, s6
	s_mul_i32 s7, s16, s7
	s_add_i32 s33, s7, 1
.LBB171_9:
	s_clause 0x4
	s_load_dword s16, s[4:5], 0x48
	s_load_dwordx2 s[34:35], s[4:5], 0x28
	s_load_dword s7, s[4:5], 0x98
	s_load_dwordx4 s[20:23], s[4:5], 0x0
	s_load_dwordx2 s[24:25], s[4:5], 0x10
	s_mul_i32 s30, s0, s11
	s_xor_b32 s2, s2, s19
	s_sub_i32 s15, s15, s30
	s_add_i32 s36, s0, 1
	v_lshrrev_b32_e32 v28, 5, v0
	v_and_b32_e32 v29, 31, v0
	v_mov_b32_e32 v10, 0xff7fffff
	s_mul_i32 s14, s1, s14
	v_lshl_add_u32 v30, v28, 5, s37
	v_lshlrev_b32_e32 v4, 2, v29
	s_waitcnt lgkmcnt(0)
	s_mul_i32 s30, s16, s26
	s_sub_i32 s16, s15, s11
	s_ashr_i32 s31, s30, 31
	s_cmp_ge_u32 s15, s11
	s_cselect_b32 s0, s36, s0
	s_cselect_b32 s15, s16, s15
	s_add_i32 s16, s0, 1
	s_cmp_ge_u32 s15, s11
	s_cselect_b32 s0, s16, s0
	s_add_i32 s15, s27, 31
	s_lshl_b32 s40, s8, 4
	s_ashr_i32 s16, s15, 31
	v_add_nc_u32_e32 v25, s40, v28
	s_lshr_b32 s16, s16, 27
	s_add_i32 s15, s15, s16
	s_add_i32 s16, s40, 16
	s_ashr_i32 s36, s15, 5
	s_xor_b32 s15, s0, s2
	s_min_i32 s16, s16, s36
	v_ashrrev_i32_e32 v26, 31, v25
	v_cmp_gt_i32_e64 s0, s16, v25
	s_sub_i32 s38, s15, s2
	s_and_saveexec_b32 s41, s0
	s_cbranch_execz .LBB171_17
; %bb.10:
	s_load_dwordx2 s[42:43], s[4:5], 0x20
	s_ashr_i32 s15, s14, 31
	s_sub_i32 s4, s38, s17
	s_lshl_b64 s[44:45], s[14:15], 1
	v_mov_b32_e32 v5, 0
	v_lshlrev_b32_e32 v6, 4, v29
	v_lshlrev_b64 v[1:2], 2, v[25:26]
	v_subrev_nc_u32_e32 v10, s27, v29
	v_lshl_or_b32 v48, v28, 7, v4
	ds_read_b128 v[39:42], v5 offset:32
	ds_read_b128 v[43:46], v5 offset:48
	ds_read_b128 v[31:34], v5
	ds_read_b128 v[35:38], v5 offset:16
	v_cmp_neq_f32_e64 vcc_lo, s39, 0
	v_add_nc_u32_e32 v48, 0x60, v48
	v_mov_b32_e32 v50, v25
	s_waitcnt lgkmcnt(0)
	s_add_u32 s1, s42, s44
	s_addc_u32 s2, s43, s45
	s_abs_i32 s5, s18
	v_add_co_u32 v5, s1, s1, v6
	v_cvt_f32_u32_e32 v9, s5
	v_add_co_ci_u32_e64 v6, null, s2, 0, s1
	s_sub_i32 s1, 0, s5
	v_and_b32_e32 v12, 0xffff0000, v39
	v_rcp_iflag_f32_e32 v19, v9
	v_lshlrev_b32_e32 v13, 16, v39
	s_lshl_b64 s[42:43], s[30:31], 2
	v_and_b32_e32 v7, 0xffff0000, v31
	s_add_u32 s2, s28, s42
	s_addc_u32 s15, s29, s43
	v_lshlrev_b32_e32 v8, 16, v31
	v_and_b32_e32 v9, 0xffff0000, v35
	v_lshlrev_b32_e32 v11, 16, v35
	v_and_b32_e32 v14, 0xffff0000, v32
	v_mul_f32_e32 v23, 0x4f7ffffe, v19
	v_lshlrev_b32_e32 v15, 16, v32
	v_and_b32_e32 v16, 0xffff0000, v36
	v_lshlrev_b32_e32 v17, 16, v36
	v_and_b32_e32 v18, 0xffff0000, v40
	v_cvt_u32_f32_e32 v47, v23
	v_lshlrev_b32_e32 v19, 16, v40
	v_and_b32_e32 v20, 0xffff0000, v33
	v_lshlrev_b32_e32 v21, 16, v33
	v_and_b32_e32 v22, 0xffff0000, v37
	v_mul_lo_u32 v39, s1, v47
	v_add_co_u32 v1, s1, s2, v1
	v_lshlrev_b32_e32 v23, 16, v37
	v_and_b32_e32 v24, 0xffff0000, v41
	v_lshlrev_b32_e32 v27, 16, v41
	v_and_b32_e32 v31, 0xffff0000, v34
	v_lshlrev_b32_e32 v32, 16, v34
	v_mul_hi_u32 v49, v47, v39
	v_and_b32_e32 v33, 0xffff0000, v38
	v_lshlrev_b32_e32 v34, 16, v38
	v_and_b32_e32 v35, 0xffff0000, v42
	v_lshlrev_b32_e32 v36, 16, v42
	;; [unrolled: 2-line block ×6, first 2 shown]
	v_add_nc_u32_e32 v45, v47, v49
	v_add_co_ci_u32_e64 v2, null, s15, v2, s1
	v_lshl_add_u32 v46, v28, 5, s37
	v_add_nc_u32_e32 v47, 1, v10
	v_mov_b32_e32 v49, 0xff7fffff
	v_mov_b32_e32 v10, 0xff7fffff
	s_mov_b32 s42, s13
	s_mov_b32 s15, 0
	s_branch .LBB171_12
.LBB171_11:                             ;   in Loop: Header=BB171_12 Depth=1
	s_or_b32 exec_lo, exec_lo, s2
	v_add_nc_u32_e32 v50, 4, v50
	v_add_co_u32 v1, s2, v1, 16
	v_add_co_ci_u32_e64 v2, null, 0, v2, s2
	v_cmp_le_i32_e64 s1, s16, v50
	v_add_nc_u32_e32 v46, 0x80, v46
	v_add_nc_u32_e32 v48, 0x200, v48
	s_or_b32 s15, s1, s15
	s_andn2_b32 exec_lo, exec_lo, s15
	s_cbranch_execz .LBB171_16
.LBB171_12:                             ; =>This Inner Loop Header: Depth=1
	v_sub_nc_u32_e32 v51, 0, v46
	v_max_i32_e32 v51, v46, v51
	v_mul_hi_u32 v52, v51, s12
	v_mul_lo_u32 v53, v52, s11
	v_sub_nc_u32_e32 v51, v51, v53
	v_add_nc_u32_e32 v53, 1, v52
	v_subrev_nc_u32_e32 v54, s11, v51
	v_cmp_le_u32_e64 s1, s11, v51
	v_cndmask_b32_e64 v52, v52, v53, s1
	v_cndmask_b32_e64 v51, v51, v54, s1
	v_ashrrev_i32_e32 v53, 31, v46
	v_add_nc_u32_e32 v54, 1, v52
	v_cmp_le_u32_e64 s1, s11, v51
	v_xor_b32_e32 v53, s19, v53
	v_cndmask_b32_e64 v51, v52, v54, s1
	v_xor_b32_e32 v51, v51, v53
	v_sub_nc_u32_e32 v51, v51, v53
	v_add_nc_u32_e32 v52, s33, v51
	v_cmp_ge_i32_e64 s2, s4, v51
	v_sub_nc_u32_e32 v53, 0, v52
	v_max_i32_e32 v53, v52, v53
	v_ashrrev_i32_e32 v52, 31, v52
	v_mul_hi_u32 v54, v53, v45
	v_mul_lo_u32 v54, v54, s5
	v_sub_nc_u32_e32 v53, v53, v54
	v_subrev_nc_u32_e32 v54, s5, v53
	v_cmp_le_u32_e64 s1, s5, v53
	v_cndmask_b32_e64 v53, v53, v54, s1
	v_subrev_nc_u32_e32 v54, s5, v53
	v_cmp_le_u32_e64 s1, s5, v53
	v_cndmask_b32_e64 v53, v53, v54, s1
	v_xor_b32_e32 v53, v53, v52
	v_sub_nc_u32_e32 v52, v53, v52
	v_cmp_ne_u32_e64 s1, 0, v52
	s_and_b32 s1, s1, s2
	s_and_saveexec_b32 s2, s1
	s_xor_b32 s1, exec_lo, s2
; %bb.13:                               ;   in Loop: Header=BB171_12 Depth=1
	ds_write_b32 v48, v49
; %bb.14:                               ;   in Loop: Header=BB171_12 Depth=1
	s_andn2_saveexec_b32 s2, s1
	s_cbranch_execz .LBB171_11
; %bb.15:                               ;   in Loop: Header=BB171_12 Depth=1
	global_load_dword v51, v[1:2], off
	v_add_nc_u32_e32 v67, v47, v46
	s_waitcnt vmcnt(0)
	v_mad_i64_i32 v[51:52], null, v51, s42, 0
	v_lshlrev_b64 v[51:52], 1, v[51:52]
	v_add_co_u32 v63, s1, v5, v51
	v_add_co_ci_u32_e64 v64, null, v6, v52, s1
	s_clause 0x3
	global_load_dwordx4 v[51:54], v[63:64], off
	global_load_dwordx4 v[55:58], v[63:64], off offset:512
	global_load_dwordx4 v[59:62], v[63:64], off offset:1024
	;; [unrolled: 1-line block ×3, first 2 shown]
	s_waitcnt vmcnt(3)
	v_lshlrev_b32_e32 v68, 16, v51
	s_waitcnt vmcnt(2)
	v_and_b32_e32 v72, 0xffff0000, v55
	v_lshlrev_b32_e32 v55, 16, v55
	v_and_b32_e32 v51, 0xffff0000, v51
	v_and_b32_e32 v73, 0xffff0000, v56
	v_lshlrev_b32_e32 v56, 16, v56
	v_mul_f32_e32 v72, v9, v72
	v_mul_f32_e32 v55, v11, v55
	v_lshlrev_b32_e32 v69, 16, v52
	s_waitcnt vmcnt(1)
	v_and_b32_e32 v76, 0xffff0000, v59
	v_lshlrev_b32_e32 v59, 16, v59
	v_mul_f32_e32 v56, v17, v56
	v_fmac_f32_e32 v72, v7, v51
	v_fmac_f32_e32 v55, v8, v68
	v_and_b32_e32 v52, 0xffff0000, v52
	v_and_b32_e32 v74, 0xffff0000, v57
	v_lshlrev_b32_e32 v57, 16, v57
	v_and_b32_e32 v77, 0xffff0000, v60
	v_lshlrev_b32_e32 v60, 16, v60
	s_waitcnt vmcnt(0)
	v_and_b32_e32 v80, 0xffff0000, v63
	v_lshlrev_b32_e32 v63, 16, v63
	v_lshlrev_b32_e32 v82, 16, v65
	v_and_b32_e32 v51, 0xffff0000, v65
	v_mul_f32_e32 v65, v16, v73
	v_fmac_f32_e32 v56, v15, v69
	v_fmac_f32_e32 v72, v12, v76
	;; [unrolled: 1-line block ×3, first 2 shown]
	v_lshlrev_b32_e32 v70, 16, v53
	v_lshlrev_b32_e32 v81, 16, v64
	v_mul_f32_e32 v57, v23, v57
	v_fmac_f32_e32 v65, v14, v52
	v_fmac_f32_e32 v56, v19, v60
	;; [unrolled: 1-line block ×4, first 2 shown]
	v_and_b32_e32 v53, 0xffff0000, v53
	v_and_b32_e32 v75, 0xffff0000, v58
	v_lshlrev_b32_e32 v58, 16, v58
	v_and_b32_e32 v78, 0xffff0000, v61
	v_lshlrev_b32_e32 v61, 16, v61
	v_and_b32_e32 v64, 0xffff0000, v64
	v_mul_f32_e32 v52, v22, v74
	v_fmac_f32_e32 v57, v21, v70
	v_fmac_f32_e32 v65, v18, v77
	;; [unrolled: 1-line block ×3, first 2 shown]
	v_add_f32_e32 v55, v55, v72
	v_lshlrev_b32_e32 v71, 16, v54
	v_mul_f32_e32 v58, v34, v58
	v_fmac_f32_e32 v52, v20, v53
	v_fmac_f32_e32 v57, v27, v61
	;; [unrolled: 1-line block ×3, first 2 shown]
	v_add_f32_e32 v53, v55, v56
	v_and_b32_e32 v54, 0xffff0000, v54
	v_and_b32_e32 v79, 0xffff0000, v62
	v_lshlrev_b32_e32 v62, 16, v62
	v_mul_f32_e32 v55, v33, v75
	v_fmac_f32_e32 v58, v32, v71
	v_fmac_f32_e32 v52, v24, v78
	;; [unrolled: 1-line block ×3, first 2 shown]
	v_add_f32_e32 v53, v65, v53
	v_lshlrev_b32_e32 v56, 16, v66
	v_fmac_f32_e32 v55, v31, v54
	v_fmac_f32_e32 v58, v36, v62
	;; [unrolled: 1-line block ×3, first 2 shown]
	v_add_f32_e32 v51, v57, v53
	v_cvt_f32_i32_e32 v53, v67
	v_and_b32_e32 v54, 0xffff0000, v66
	v_fmac_f32_e32 v55, v35, v79
	v_fmac_f32_e32 v58, v44, v56
	v_add_f32_e32 v51, v52, v51
	v_mul_f32_e32 v52, s39, v53
	v_max_f32_e32 v53, v10, v10
	v_fmac_f32_e32 v55, v43, v54
	v_add_f32_e32 v51, v58, v51
	v_cndmask_b32_e32 v52, 0, v52, vcc_lo
	v_add_f32_e32 v51, v55, v51
	v_fmac_f32_e32 v52, s3, v51
	v_add_nc_u32_e32 v51, v29, v46
	v_max_f32_e32 v53, v53, v52
	v_cmp_gt_i32_e64 s1, s27, v51
	v_cndmask_b32_e64 v51, 0, v52, s1
	v_cndmask_b32_e64 v10, v10, v53, s1
	ds_write_b32 v48, v51
	s_branch .LBB171_11
.LBB171_16:
	s_or_b32 exec_lo, exec_lo, s15
.LBB171_17:
	s_or_b32 exec_lo, exec_lo, s41
	v_mbcnt_lo_u32_b32 v1, -1, 0
	v_max_f32_e32 v7, v10, v10
	v_xor_b32_e32 v2, 16, v1
	v_xor_b32_e32 v6, 8, v1
	v_cmp_gt_i32_e32 vcc_lo, 32, v2
	v_cndmask_b32_e32 v2, v1, v2, vcc_lo
	v_cmp_gt_i32_e32 vcc_lo, 32, v6
	v_lshlrev_b32_e32 v2, 2, v2
	v_cndmask_b32_e32 v6, v1, v6, vcc_lo
	ds_bpermute_b32 v5, v2, v10
	s_waitcnt lgkmcnt(0)
	v_max_f32_e32 v8, v5, v5
	v_lshlrev_b32_e32 v5, 2, v6
	v_max_f32_e32 v6, v7, v8
	v_xor_b32_e32 v8, 4, v1
	ds_bpermute_b32 v7, v5, v6
	v_cmp_gt_i32_e32 vcc_lo, 32, v8
	v_cndmask_b32_e32 v8, v1, v8, vcc_lo
	s_waitcnt lgkmcnt(0)
	v_max_f32_e32 v9, v7, v7
	v_lshlrev_b32_e32 v7, 2, v8
	v_max_f32_e32 v6, v6, v9
	v_xor_b32_e32 v9, 2, v1
	ds_bpermute_b32 v8, v7, v6
	v_cmp_gt_i32_e32 vcc_lo, 32, v9
	v_cndmask_b32_e32 v9, v1, v9, vcc_lo
	v_lshlrev_b32_e32 v31, 2, v9
	v_xor_b32_e32 v9, 1, v1
	v_cmp_gt_i32_e32 vcc_lo, 32, v9
	s_waitcnt lgkmcnt(0)
	v_max_f32_e32 v8, v8, v8
	v_cndmask_b32_e32 v9, v1, v9, vcc_lo
	v_cmp_eq_u32_e32 vcc_lo, 0, v29
	v_max_f32_e32 v6, v6, v8
	v_lshlrev_b32_e32 v32, 2, v9
	ds_bpermute_b32 v8, v31, v6
	s_waitcnt lgkmcnt(0)
	v_max_f32_e32 v8, v8, v8
	v_max_f32_e32 v1, v6, v8
	v_lshlrev_b32_e32 v8, 2, v28
	ds_bpermute_b32 v6, v32, v1
	s_and_saveexec_b32 s1, vcc_lo
	s_cbranch_execz .LBB171_19
; %bb.18:
	s_waitcnt lgkmcnt(0)
	v_max_f32_e32 v6, v6, v6
	v_max_f32_e32 v1, v1, v1
	;; [unrolled: 1-line block ×3, first 2 shown]
	ds_write_b32 v8, v1 offset:64
.LBB171_19:
	s_or_b32 exec_lo, exec_lo, s1
	v_cmp_gt_u32_e64 s1, 4, v29
	v_mov_b32_e32 v1, 0xff7fffff
	s_waitcnt lgkmcnt(0)
	s_barrier
	buffer_gl0_inv
	s_and_saveexec_b32 s2, s1
; %bb.20:
	ds_read_b32 v1, v4 offset:64
; %bb.21:
	s_or_b32 exec_lo, exec_lo, s2
	s_waitcnt lgkmcnt(0)
	ds_bpermute_b32 v6, v31, v1
	v_max_f32_e32 v1, v1, v1
	v_mov_b32_e32 v9, 0
	s_sub_i32 s2, s16, s40
	s_lshl_b32 s2, s2, 5
	s_add_i32 s2, s2, s37
	s_min_i32 s2, s2, s27
	s_sub_i32 s4, s2, s37
	v_cmp_gt_i32_e64 s2, s4, v0
	s_waitcnt lgkmcnt(0)
	v_max_f32_e32 v6, v6, v6
	v_max_f32_e32 v1, v1, v6
	ds_bpermute_b32 v6, v32, v1
	s_waitcnt lgkmcnt(0)
	v_max_f32_e32 v6, v6, v6
	v_max_f32_e32 v1, v1, v6
	v_lshl_add_u32 v6, v0, 2, 0x60
	ds_bpermute_b32 v1, v9, v1
	s_and_saveexec_b32 s5, s2
	s_cbranch_execz .LBB171_25
; %bb.22:
	v_lshl_add_u32 v10, v0, 2, 0x60
	v_mov_b32_e32 v9, 0
	v_mov_b32_e32 v11, v0
	s_mov_b32 s15, 0
	.p2align	6
.LBB171_23:                             ; =>This Inner Loop Header: Depth=1
	ds_read_b32 v12, v10
	v_add_nc_u32_e32 v11, 0x80, v11
	v_cmp_le_i32_e64 s3, s4, v11
	s_or_b32 s15, s3, s15
	s_waitcnt lgkmcnt(0)
	v_sub_f32_e32 v12, v12, v1
	v_mul_f32_e32 v12, 0x3fb8aa3b, v12
	v_exp_f32_e32 v12, v12
	ds_write_b32 v10, v12
	v_add_f32_e32 v9, v9, v12
	v_add_nc_u32_e32 v10, 0x200, v10
	s_andn2_b32 exec_lo, exec_lo, s15
	s_cbranch_execnz .LBB171_23
; %bb.24:
	s_or_b32 exec_lo, exec_lo, s15
.LBB171_25:
	s_or_b32 exec_lo, exec_lo, s5
	ds_bpermute_b32 v2, v2, v9
	s_waitcnt lgkmcnt(0)
	v_add_f32_e32 v2, v9, v2
	ds_bpermute_b32 v5, v5, v2
	s_waitcnt lgkmcnt(0)
	v_add_f32_e32 v2, v2, v5
	;; [unrolled: 3-line block ×5, first 2 shown]
	s_and_saveexec_b32 s3, vcc_lo
; %bb.26:
	ds_write_b32 v8, v2 offset:80
; %bb.27:
	s_or_b32 exec_lo, exec_lo, s3
	s_waitcnt lgkmcnt(0)
	s_barrier
	buffer_gl0_inv
	s_and_saveexec_b32 s3, s1
; %bb.28:
	ds_read_b32 v2, v4 offset:80
; %bb.29:
	s_or_b32 exec_lo, exec_lo, s3
	s_waitcnt lgkmcnt(0)
	ds_bpermute_b32 v4, v31, v2
	s_waitcnt lgkmcnt(0)
	v_add_f32_e32 v2, v2, v4
	ds_bpermute_b32 v4, v32, v2
	s_waitcnt lgkmcnt(0)
	v_add_f32_e32 v2, v2, v4
	v_mov_b32_e32 v4, 0
	ds_bpermute_b32 v2, v4, v2
	s_and_saveexec_b32 s1, s2
	s_cbranch_execz .LBB171_32
; %bb.30:
	s_waitcnt lgkmcnt(0)
	v_add_f32_e32 v4, 0x358637bd, v2
	s_mov_b32 s2, 0
	v_div_scale_f32 v5, null, v4, v4, 1.0
	v_div_scale_f32 v9, vcc_lo, 1.0, v4, 1.0
	v_rcp_f32_e32 v7, v5
	v_fma_f32 v8, -v5, v7, 1.0
	v_fmac_f32_e32 v7, v8, v7
	v_mul_f32_e32 v8, v9, v7
	v_fma_f32 v10, -v5, v8, v9
	v_fmac_f32_e32 v8, v10, v7
	v_fma_f32 v5, -v5, v8, v9
	v_div_fmas_f32 v5, v5, v7, v8
	v_div_fixup_f32 v4, v5, v4, 1.0
	v_mov_b32_e32 v5, v0
.LBB171_31:                             ; =>This Inner Loop Header: Depth=1
	ds_read_b32 v7, v6
	v_add_nc_u32_e32 v5, 0x80, v5
	v_cmp_le_i32_e32 vcc_lo, s4, v5
	s_or_b32 s2, vcc_lo, s2
	s_waitcnt lgkmcnt(0)
	v_mul_f32_e32 v7, v4, v7
	ds_write_b32 v6, v7
	v_add_nc_u32_e32 v6, 0x200, v6
	s_andn2_b32 exec_lo, exec_lo, s2
	s_cbranch_execnz .LBB171_31
.LBB171_32:
	s_or_b32 exec_lo, exec_lo, s1
	s_mul_i32 s1, s7, s26
	s_waitcnt lgkmcnt(0)
	s_mul_i32 s4, s1, s9
	s_mov_b32 s1, exec_lo
	s_barrier
	buffer_gl0_inv
	v_cmpx_eq_u32_e32 0, v0
	s_cbranch_execz .LBB171_34
; %bb.33:
	s_ashr_i32 s5, s4, 31
	s_mul_i32 s40, s7, s6
	s_lshl_b64 s[2:3], s[4:5], 2
	v_mov_b32_e32 v4, 0
	s_add_u32 s5, s22, s2
	s_addc_u32 s6, s23, s3
	s_ashr_i32 s41, s40, 31
	s_lshl_b64 s[22:23], s[40:41], 2
	s_add_u32 s5, s5, s22
	s_addc_u32 s6, s6, s23
	s_ashr_i32 s9, s8, 31
	s_lshl_b64 s[40:41], s[8:9], 2
	s_add_u32 s42, s5, s40
	s_addc_u32 s43, s6, s41
	s_add_u32 s2, s20, s2
	s_addc_u32 s3, s21, s3
	;; [unrolled: 2-line block ×4, first 2 shown]
	global_store_dword v4, v1, s[42:43]
	global_store_dword v4, v2, s[2:3]
.LBB171_34:
	s_or_b32 exec_lo, exec_lo, s1
	v_mov_b32_e32 v38, 0
	v_and_b32_e32 v33, 3, v0
	v_mov_b32_e32 v36, 0
	v_mov_b32_e32 v35, 0
	;; [unrolled: 1-line block ×3, first 2 shown]
	s_and_saveexec_b32 s3, s0
	s_cbranch_execz .LBB171_48
; %bb.35:
	s_ashr_i32 s15, s14, 31
	s_sub_i32 s5, s38, s17
	s_lshl_b64 s[0:1], s[14:15], 1
	v_lshlrev_b32_e32 v4, 3, v0
	s_add_u32 s2, s34, s0
	s_addc_u32 s14, s35, s1
	s_abs_i32 s6, s18
	v_and_b32_e32 v3, 0x1f0, v3
	v_cvt_f32_u32_e32 v1, s6
	s_sub_i32 s0, 0, s6
	v_and_b32_e32 v39, 24, v4
	v_lshlrev_b32_e32 v6, 5, v33
	v_add_co_u32 v40, s2, s2, v3
	v_rcp_iflag_f32_e32 v1, v1
	s_add_i32 s9, s36, -1
	v_lshl_or_b32 v6, v28, 7, v6
	v_mov_b32_e32 v37, 0
	v_mov_b32_e32 v34, 0
	v_mov_b32_e32 v35, 0
	v_mov_b32_e32 v36, 0
	v_add_co_ci_u32_e64 v41, null, s14, 0, s2
	v_add_nc_u32_e32 v42, 0x60, v6
	v_mul_f32_e32 v5, 0x4f7ffffe, v1
	v_lshlrev_b64 v[1:2], 2, v[25:26]
	v_mov_b32_e32 v38, 0
	s_mov_b32 s15, s27
	s_mov_b32 s14, 0
	v_cvt_u32_f32_e32 v5, v5
	v_mul_lo_u32 v4, s0, v5
	s_lshl_b64 s[0:1], s[30:31], 2
	s_add_u32 s0, s28, s0
	s_addc_u32 s1, s29, s1
	v_add_co_u32 v26, vcc_lo, s0, v1
	v_add_co_ci_u32_e64 v27, null, s1, v2, vcc_lo
	v_mul_hi_u32 v3, v5, v4
	v_add_nc_u32_e32 v43, v5, v3
	s_branch .LBB171_38
.LBB171_36:                             ;   in Loop: Header=BB171_38 Depth=1
	s_or_b32 exec_lo, exec_lo, s2
	s_waitcnt lgkmcnt(1)
	v_bfe_u32 v44, v17, 16, 1
	v_bfe_u32 v45, v18, 16, 1
	v_or_b32_e32 v46, 0x400000, v17
	v_cmp_u_f32_e32 vcc_lo, v17, v17
	v_or_b32_e32 v47, 0x400000, v18
	v_add3_u32 v44, v44, v17, 0x7fff
	v_bfe_u32 v48, v19, 16, 1
	v_add3_u32 v45, v45, v18, 0x7fff
	v_bfe_u32 v49, v20, 16, 1
	s_waitcnt vmcnt(1)
	v_and_b32_e32 v51, 0xffff0000, v24
	v_cndmask_b32_e32 v17, v44, v46, vcc_lo
	v_cmp_u_f32_e32 vcc_lo, v18, v18
	v_add3_u32 v44, v48, v19, 0x7fff
	v_add3_u32 v46, v49, v20, 0x7fff
	s_waitcnt lgkmcnt(0)
	v_bfe_u32 v48, v13, 16, 1
	v_and_b32_e32 v17, 0xffff0000, v17
	v_cndmask_b32_e32 v18, v45, v47, vcc_lo
	v_or_b32_e32 v45, 0x400000, v19
	v_cmp_u_f32_e32 vcc_lo, v19, v19
	v_or_b32_e32 v47, 0x400000, v20
	v_lshlrev_b32_e32 v24, 16, v24
	v_cndmask_b32_e32 v19, v44, v45, vcc_lo
	v_cmp_u_f32_e32 vcc_lo, v20, v20
	v_bfe_u32 v44, v14, 16, 1
	v_add3_u32 v45, v48, v13, 0x7fff
	v_bfe_u32 v48, v15, 16, 1
	v_cndmask_b32_e32 v20, v46, v47, vcc_lo
	v_or_b32_e32 v46, 0x400000, v13
	v_cmp_u_f32_e32 vcc_lo, v13, v13
	v_add3_u32 v44, v44, v14, 0x7fff
	v_or_b32_e32 v47, 0x400000, v14
	v_and_b32_e32 v13, 0xffff0000, v18
	v_and_b32_e32 v18, 0xffff0000, v21
	v_cndmask_b32_e32 v45, v45, v46, vcc_lo
	v_cmp_u_f32_e32 vcc_lo, v14, v14
	v_add3_u32 v14, v48, v15, 0x7fff
	v_bfe_u32 v46, v16, 16, 1
	v_lshlrev_b32_e32 v21, 16, v21
	v_mul_f32_e32 v18, v13, v18
	v_cndmask_b32_e32 v44, v44, v47, vcc_lo
	v_or_b32_e32 v47, 0x400000, v15
	v_cmp_u_f32_e32 vcc_lo, v15, v15
	v_add3_u32 v46, v46, v16, 0x7fff
	v_or_b32_e32 v48, 0x400000, v16
	v_mul_f32_e32 v21, v17, v21
	v_bfe_u32 v15, v18, 16, 1
	v_cndmask_b32_e32 v47, v14, v47, vcc_lo
	v_cmp_u_f32_e32 vcc_lo, v16, v16
	v_and_b32_e32 v14, 0xffff0000, v20
	v_and_b32_e32 v20, 0xffff0000, v22
	v_add3_u32 v15, v15, v18, 0x7fff
	v_or_b32_e32 v49, 0x400000, v21
	v_cndmask_b32_e32 v16, v46, v48, vcc_lo
	v_bfe_u32 v46, v21, 16, 1
	v_or_b32_e32 v48, 0x400000, v18
	v_cmp_u_f32_e32 vcc_lo, v18, v18
	v_mul_f32_e32 v50, v14, v20
	v_and_b32_e32 v20, 0xffff0000, v19
	v_add3_u32 v46, v46, v21, 0x7fff
	v_lshlrev_b32_e32 v19, 16, v22
	v_cndmask_b32_e32 v22, v15, v48, vcc_lo
	v_cmp_u_f32_e32 vcc_lo, v21, v21
	v_and_b32_e32 v15, 0xffff0000, v44
	v_and_b32_e32 v44, 0xffff0000, v23
	v_mul_f32_e32 v19, v20, v19
	v_and_b32_e32 v18, 0xffff0000, v45
	v_cndmask_b32_e32 v21, v46, v49, vcc_lo
	v_bfe_u32 v46, v50, 16, 1
	v_lshlrev_b32_e32 v23, 16, v23
	v_bfe_u32 v48, v19, 16, 1
	v_mul_f32_e32 v44, v15, v44
	v_cmp_u_f32_e32 vcc_lo, v50, v50
	v_add3_u32 v45, v46, v50, 0x7fff
	v_or_b32_e32 v46, 0x400000, v50
	v_mul_f32_e32 v23, v18, v23
	v_bfe_u32 v49, v44, 16, 1
	v_and_b32_e32 v16, 0xffff0000, v16
	v_and_b32_e32 v21, 0xffff0000, v21
	v_cndmask_b32_e32 v45, v45, v46, vcc_lo
	v_add3_u32 v46, v48, v19, 0x7fff
	v_or_b32_e32 v48, 0x400000, v19
	v_cmp_u_f32_e32 vcc_lo, v19, v19
	v_bfe_u32 v50, v23, 16, 1
	v_mul_f32_e32 v51, v16, v51
	v_and_b32_e32 v19, 0xffff0000, v47
	v_or_b32_e32 v47, 0x400000, v23
	v_cndmask_b32_e32 v46, v46, v48, vcc_lo
	v_add3_u32 v48, v49, v44, 0x7fff
	v_or_b32_e32 v49, 0x400000, v44
	v_cmp_u_f32_e32 vcc_lo, v44, v44
	v_add3_u32 v50, v50, v23, 0x7fff
	v_bfe_u32 v52, v51, 16, 1
	v_mul_f32_e32 v24, v19, v24
	v_and_b32_e32 v22, 0xffff0000, v22
	v_cndmask_b32_e32 v44, v48, v49, vcc_lo
	v_cmp_u_f32_e32 vcc_lo, v23, v23
	v_or_b32_e32 v48, 0x400000, v51
	v_bfe_u32 v49, v24, 16, 1
	v_and_b32_e32 v46, 0xffff0000, v46
	v_and_b32_e32 v45, 0xffff0000, v45
	v_cndmask_b32_e32 v23, v50, v47, vcc_lo
	v_add3_u32 v47, v52, v51, 0x7fff
	v_cmp_u_f32_e32 vcc_lo, v51, v51
	v_add_f32_e32 v21, v21, v22
	v_add_f32_e32 v22, v46, v45
	v_and_b32_e32 v23, 0xffff0000, v23
	v_and_b32_e32 v44, 0xffff0000, v44
	v_cndmask_b32_e32 v47, v47, v48, vcc_lo
	v_add3_u32 v48, v49, v24, 0x7fff
	v_or_b32_e32 v49, 0x400000, v24
	v_and_b32_e32 v45, 0xffff0000, v9
	v_cmp_u_f32_e32 vcc_lo, v24, v24
	v_lshlrev_b32_e32 v9, 16, v9
	v_add_f32_e32 v21, v22, v21
	v_add_f32_e32 v22, v23, v44
	v_mul_f32_e32 v23, v13, v45
	v_cndmask_b32_e32 v24, v48, v49, vcc_lo
	v_mul_f32_e32 v44, v17, v9
	v_and_b32_e32 v45, 0xffff0000, v47
	v_and_b32_e32 v46, 0xffff0000, v10
	v_bfe_u32 v47, v23, 16, 1
	v_and_b32_e32 v24, 0xffff0000, v24
	v_add_f32_e32 v9, v22, v21
	v_bfe_u32 v22, v44, 16, 1
	v_cmp_u_f32_e32 vcc_lo, v23, v23
	v_lshlrev_b32_e32 v10, 16, v10
	v_add_f32_e32 v21, v24, v45
	v_mul_f32_e32 v24, v14, v46
	v_add3_u32 v45, v47, v23, 0x7fff
	v_or_b32_e32 v46, 0x400000, v23
	v_add3_u32 v22, v22, v44, 0x7fff
	v_or_b32_e32 v47, 0x400000, v44
	v_bfe_u32 v48, v24, 16, 1
	v_mul_f32_e32 v10, v20, v10
	v_cndmask_b32_e32 v23, v45, v46, vcc_lo
	v_cmp_u_f32_e32 vcc_lo, v44, v44
	v_or_b32_e32 v45, 0x400000, v24
	v_add3_u32 v44, v48, v24, 0x7fff
	v_and_b32_e32 v46, 0xffff0000, v11
	v_lshlrev_b32_e32 v11, 16, v11
	v_cndmask_b32_e32 v22, v22, v47, vcc_lo
	v_cmp_u_f32_e32 vcc_lo, v24, v24
	v_bfe_u32 v47, v10, 16, 1
	v_and_b32_e32 v23, 0xffff0000, v23
	v_mul_f32_e32 v11, v18, v11
	v_and_b32_e32 v22, 0xffff0000, v22
	v_cndmask_b32_e32 v24, v44, v45, vcc_lo
	v_mul_f32_e32 v44, v15, v46
	v_add3_u32 v45, v47, v10, 0x7fff
	v_or_b32_e32 v46, 0x400000, v10
	v_and_b32_e32 v47, 0xffff0000, v12
	v_cmp_u_f32_e32 vcc_lo, v10, v10
	v_bfe_u32 v48, v44, 16, 1
	v_bfe_u32 v49, v11, 16, 1
	v_lshlrev_b32_e32 v12, 16, v12
	v_and_b32_e32 v24, 0xffff0000, v24
	v_cndmask_b32_e32 v10, v45, v46, vcc_lo
	v_mul_f32_e32 v45, v16, v47
	v_add3_u32 v46, v48, v44, 0x7fff
	v_or_b32_e32 v47, 0x400000, v44
	v_cmp_u_f32_e32 vcc_lo, v44, v44
	v_add3_u32 v48, v49, v11, 0x7fff
	v_or_b32_e32 v49, 0x400000, v11
	v_bfe_u32 v50, v45, 16, 1
	v_and_b32_e32 v10, 0xffff0000, v10
	v_cndmask_b32_e32 v44, v46, v47, vcc_lo
	v_cmp_u_f32_e32 vcc_lo, v11, v11
	v_or_b32_e32 v47, 0x400000, v45
	v_add3_u32 v46, v50, v45, 0x7fff
	v_mul_f32_e32 v12, v19, v12
	v_add_f32_e32 v22, v22, v23
	v_cndmask_b32_e32 v11, v48, v49, vcc_lo
	v_cmp_u_f32_e32 vcc_lo, v45, v45
	v_add_f32_e32 v10, v10, v24
	v_and_b32_e32 v23, 0xffff0000, v1
	v_and_b32_e32 v24, 0xffff0000, v44
	;; [unrolled: 1-line block ×3, first 2 shown]
	v_cndmask_b32_e32 v45, v46, v47, vcc_lo
	v_bfe_u32 v46, v12, 16, 1
	v_add_f32_e32 v10, v10, v22
	v_mul_f32_e32 v22, v13, v23
	v_add_f32_e32 v11, v11, v24
	v_lshlrev_b32_e32 v1, 16, v1
	v_add3_u32 v44, v46, v12, 0x7fff
	v_or_b32_e32 v46, 0x400000, v12
	v_cmp_u_f32_e32 vcc_lo, v12, v12
	v_bfe_u32 v23, v22, 16, 1
	v_add_f32_e32 v10, v11, v10
	v_and_b32_e32 v11, 0xffff0000, v2
	v_mul_f32_e32 v1, v17, v1
	v_cndmask_b32_e32 v12, v44, v46, vcc_lo
	v_add3_u32 v23, v23, v22, 0x7fff
	v_or_b32_e32 v24, 0x400000, v22
	v_mul_f32_e32 v11, v14, v11
	v_and_b32_e32 v44, 0xffff0000, v45
	v_bfe_u32 v45, v1, 16, 1
	v_cmp_u_f32_e32 vcc_lo, v22, v22
	v_lshlrev_b32_e32 v2, 16, v2
	v_or_b32_e32 v46, 0x400000, v1
	v_or_b32_e32 v47, 0x400000, v11
	v_and_b32_e32 v12, 0xffff0000, v12
	v_cndmask_b32_e32 v22, v23, v24, vcc_lo
	v_bfe_u32 v23, v11, 16, 1
	v_add3_u32 v24, v45, v1, 0x7fff
	v_and_b32_e32 v45, 0xffff0000, v3
	v_mul_f32_e32 v2, v20, v2
	v_cmp_u_f32_e32 vcc_lo, v1, v1
	v_add3_u32 v23, v23, v11, 0x7fff
	v_lshlrev_b32_e32 v3, 16, v3
	v_mul_f32_e32 v45, v15, v45
	v_and_b32_e32 v22, 0xffff0000, v22
	v_cndmask_b32_e32 v1, v24, v46, vcc_lo
	v_bfe_u32 v24, v2, 16, 1
	v_cmp_u_f32_e32 vcc_lo, v11, v11
	v_and_b32_e32 v46, 0xffff0000, v4
	v_mul_f32_e32 v3, v18, v3
	v_or_b32_e32 v48, 0x400000, v45
	v_add3_u32 v24, v24, v2, 0x7fff
	v_cndmask_b32_e32 v11, v23, v47, vcc_lo
	v_bfe_u32 v23, v45, 16, 1
	v_or_b32_e32 v47, 0x400000, v2
	v_cmp_u_f32_e32 vcc_lo, v2, v2
	v_mul_f32_e32 v46, v16, v46
	v_lshlrev_b32_e32 v4, 16, v4
	v_add3_u32 v23, v23, v45, 0x7fff
	v_and_b32_e32 v1, 0xffff0000, v1
	v_cndmask_b32_e32 v2, v24, v47, vcc_lo
	v_bfe_u32 v24, v3, 16, 1
	v_cmp_u_f32_e32 vcc_lo, v45, v45
	v_bfe_u32 v47, v46, 16, 1
	v_or_b32_e32 v45, 0x400000, v3
	v_mul_f32_e32 v4, v19, v4
	v_add3_u32 v24, v24, v3, 0x7fff
	v_cndmask_b32_e32 v23, v23, v48, vcc_lo
	v_cmp_u_f32_e32 vcc_lo, v3, v3
	v_add3_u32 v47, v47, v46, 0x7fff
	v_or_b32_e32 v48, 0x400000, v46
	v_and_b32_e32 v2, 0xffff0000, v2
	v_and_b32_e32 v11, 0xffff0000, v11
	v_cndmask_b32_e32 v3, v24, v45, vcc_lo
	v_cmp_u_f32_e32 vcc_lo, v46, v46
	v_bfe_u32 v45, v4, 16, 1
	v_add_f32_e32 v1, v1, v22
	v_add_f32_e32 v2, v2, v11
	v_and_b32_e32 v3, 0xffff0000, v3
	v_cndmask_b32_e32 v24, v47, v48, vcc_lo
	s_waitcnt vmcnt(0)
	v_lshlrev_b32_e32 v47, 16, v5
	v_and_b32_e32 v11, 0xffff0000, v23
	v_and_b32_e32 v5, 0xffff0000, v5
	v_add3_u32 v45, v45, v4, 0x7fff
	v_or_b32_e32 v46, 0x400000, v4
	v_mul_f32_e32 v17, v17, v47
	v_cmp_u_f32_e32 vcc_lo, v4, v4
	v_add_f32_e32 v1, v2, v1
	v_add_f32_e32 v3, v3, v11
	v_mul_f32_e32 v5, v13, v5
	v_bfe_u32 v2, v17, 16, 1
	v_lshlrev_b32_e32 v11, 16, v6
	v_cndmask_b32_e32 v4, v45, v46, vcc_lo
	v_or_b32_e32 v13, 0x400000, v17
	v_bfe_u32 v22, v5, 16, 1
	v_add3_u32 v2, v2, v17, 0x7fff
	v_mul_f32_e32 v11, v20, v11
	v_and_b32_e32 v6, 0xffff0000, v6
	v_cmp_u_f32_e32 vcc_lo, v17, v17
	v_or_b32_e32 v17, 0x400000, v5
	v_and_b32_e32 v4, 0xffff0000, v4
	v_bfe_u32 v20, v11, 16, 1
	v_mul_f32_e32 v6, v14, v6
	v_cndmask_b32_e32 v2, v2, v13, vcc_lo
	v_add3_u32 v13, v22, v5, 0x7fff
	v_lshlrev_b32_e32 v14, 16, v7
	v_cmp_u_f32_e32 vcc_lo, v5, v5
	v_and_b32_e32 v7, 0xffff0000, v7
	v_and_b32_e32 v2, 0xffff0000, v2
	v_add_f32_e32 v1, v3, v1
	v_mul_f32_e32 v14, v18, v14
	v_cndmask_b32_e32 v5, v13, v17, vcc_lo
	v_add3_u32 v13, v20, v11, 0x7fff
	v_or_b32_e32 v17, 0x400000, v11
	v_bfe_u32 v20, v6, 16, 1
	v_cmp_u_f32_e32 vcc_lo, v11, v11
	v_bfe_u32 v18, v14, 16, 1
	v_mul_f32_e32 v7, v15, v7
	v_lshlrev_b32_e32 v15, 16, v8
	v_and_b32_e32 v8, 0xffff0000, v8
	v_cndmask_b32_e32 v11, v13, v17, vcc_lo
	v_add3_u32 v13, v20, v6, 0x7fff
	v_or_b32_e32 v17, 0x400000, v6
	v_cmp_u_f32_e32 vcc_lo, v6, v6
	v_mul_f32_e32 v8, v16, v8
	v_or_b32_e32 v16, 0x400000, v14
	v_mul_f32_e32 v15, v19, v15
	v_and_b32_e32 v5, 0xffff0000, v5
	v_cndmask_b32_e32 v6, v13, v17, vcc_lo
	v_bfe_u32 v13, v7, 16, 1
	v_add3_u32 v17, v18, v14, 0x7fff
	v_cmp_u_f32_e32 vcc_lo, v14, v14
	v_or_b32_e32 v18, 0x400000, v7
	v_bfe_u32 v20, v8, 16, 1
	v_add3_u32 v13, v13, v7, 0x7fff
	v_bfe_u32 v19, v15, 16, 1
	v_cndmask_b32_e32 v14, v17, v16, vcc_lo
	v_cmp_u_f32_e32 vcc_lo, v7, v7
	v_add3_u32 v16, v20, v8, 0x7fff
	v_or_b32_e32 v17, 0x400000, v8
	v_and_b32_e32 v6, 0xffff0000, v6
	v_and_b32_e32 v11, 0xffff0000, v11
	v_cndmask_b32_e32 v7, v13, v18, vcc_lo
	v_cmp_u_f32_e32 vcc_lo, v8, v8
	v_add3_u32 v13, v19, v15, 0x7fff
	v_or_b32_e32 v18, 0x400000, v15
	v_add_f32_e32 v2, v2, v5
	v_add_f32_e32 v5, v11, v6
	v_cndmask_b32_e32 v8, v16, v17, vcc_lo
	v_cmp_u_f32_e32 vcc_lo, v15, v15
	v_and_b32_e32 v6, 0xffff0000, v7
	v_and_b32_e32 v7, 0xffff0000, v14
	v_add_f32_e32 v2, v5, v2
	v_cndmask_b32_e32 v11, v13, v18, vcc_lo
	v_and_b32_e32 v13, 0xffff0000, v24
	v_add_f32_e32 v5, v7, v6
	v_and_b32_e32 v6, 0xffff0000, v8
	v_add_f32_e32 v8, v12, v44
	;; [unrolled: 2-line block ×3, first 2 shown]
	v_add_f32_e32 v2, v5, v2
	v_add_f32_e32 v5, v21, v9
	;; [unrolled: 1-line block ×10, first 2 shown]
.LBB171_37:                             ;   in Loop: Header=BB171_38 Depth=1
	s_or_b32 exec_lo, exec_lo, s17
	v_add_nc_u32_e32 v25, 4, v25
	v_add_co_u32 v26, s0, v26, 16
	v_add_co_ci_u32_e64 v27, null, 0, v27, s0
	v_cmp_le_i32_e32 vcc_lo, s16, v25
	v_add_nc_u32_e32 v30, 0x80, v30
	v_add_nc_u32_e32 v42, 0x200, v42
	s_or_b32 s14, vcc_lo, s14
	s_andn2_b32 exec_lo, exec_lo, s14
	s_cbranch_execz .LBB171_47
.LBB171_38:                             ; =>This Inner Loop Header: Depth=1
	v_sub_nc_u32_e32 v1, 0, v30
	v_max_i32_e32 v1, v30, v1
	v_mul_hi_u32 v2, v1, s12
	v_mul_lo_u32 v3, v2, s11
	v_sub_nc_u32_e32 v1, v1, v3
	v_add_nc_u32_e32 v3, 1, v2
	v_subrev_nc_u32_e32 v4, s11, v1
	v_cmp_le_u32_e32 vcc_lo, s11, v1
	v_cndmask_b32_e32 v2, v2, v3, vcc_lo
	v_cndmask_b32_e32 v1, v1, v4, vcc_lo
	v_ashrrev_i32_e32 v3, 31, v30
	v_add_nc_u32_e32 v4, 1, v2
	v_cmp_le_u32_e32 vcc_lo, s11, v1
	v_xor_b32_e32 v3, s19, v3
	v_cndmask_b32_e32 v1, v2, v4, vcc_lo
	v_xor_b32_e32 v1, v1, v3
	v_sub_nc_u32_e32 v1, v1, v3
	v_add_nc_u32_e32 v2, s33, v1
	v_cmp_lt_i32_e64 s0, s5, v1
	v_sub_nc_u32_e32 v3, 0, v2
	v_max_i32_e32 v3, v2, v3
	v_ashrrev_i32_e32 v2, 31, v2
	v_mul_hi_u32 v4, v3, v43
	v_mul_lo_u32 v4, v4, s6
	v_sub_nc_u32_e32 v3, v3, v4
	v_subrev_nc_u32_e32 v4, s6, v3
	v_cmp_le_u32_e32 vcc_lo, s6, v3
	v_cndmask_b32_e32 v3, v3, v4, vcc_lo
	v_subrev_nc_u32_e32 v4, s6, v3
	v_cmp_le_u32_e32 vcc_lo, s6, v3
	v_cndmask_b32_e32 v3, v3, v4, vcc_lo
	v_xor_b32_e32 v3, v3, v2
	v_sub_nc_u32_e32 v2, v3, v2
	v_cmp_eq_u32_e32 vcc_lo, 0, v2
	s_or_b32 s0, vcc_lo, s0
	s_and_saveexec_b32 s17, s0
	s_cbranch_execz .LBB171_37
; %bb.39:                               ;   in Loop: Header=BB171_38 Depth=1
	global_load_dword v1, v[26:27], off
	v_add_nc_u32_e32 v48, v39, v30
	v_cmp_eq_u32_e64 s0, s9, v25
	v_add_nc_u32_e32 v51, 1, v48
	v_or_b32_e32 v49, 3, v48
	v_or_b32_e32 v50, 2, v48
	;; [unrolled: 1-line block ×6, first 2 shown]
	s_waitcnt vmcnt(0)
	v_mad_i64_i32 v[1:2], null, v1, s13, 0
	v_lshlrev_b64 v[1:2], 1, v[1:2]
	v_add_co_u32 v5, vcc_lo, v40, v1
	v_add_co_ci_u32_e64 v6, null, v41, v2, vcc_lo
	global_load_dwordx4 v[1:4], v[5:6], off
	ds_read2_b64 v[17:20], v42 offset1:1
	ds_read2_b64 v[13:16], v42 offset0:2 offset1:3
	s_and_saveexec_b32 s18, s0
	s_cbranch_execnz .LBB171_43
; %bb.40:                               ;   in Loop: Header=BB171_38 Depth=1
	s_or_b32 exec_lo, exec_lo, s18
	global_load_dwordx4 v[9:12], v[5:6], off offset:512
	s_and_saveexec_b32 s18, s0
	s_cbranch_execnz .LBB171_44
.LBB171_41:                             ;   in Loop: Header=BB171_38 Depth=1
	s_or_b32 exec_lo, exec_lo, s18
	global_load_dwordx4 v[21:24], v[5:6], off offset:1024
	s_and_saveexec_b32 s18, s0
	s_cbranch_execnz .LBB171_45
.LBB171_42:                             ;   in Loop: Header=BB171_38 Depth=1
	s_or_b32 exec_lo, exec_lo, s18
	global_load_dwordx4 v[5:8], v[5:6], off offset:1536
	s_and_saveexec_b32 s2, s0
	s_cbranch_execz .LBB171_36
	s_branch .LBB171_46
.LBB171_43:                             ;   in Loop: Header=BB171_38 Depth=1
	v_cmp_gt_i32_e64 s1, s27, v48
	v_cmp_gt_i32_e32 vcc_lo, s15, v51
	v_cmp_gt_i32_e64 s2, s27, v50
	s_waitcnt vmcnt(0)
	v_cndmask_b32_e64 v7, 0, v1, s1
	v_cmp_gt_i32_e64 s1, s15, v49
	v_cndmask_b32_sdwa v1, v37, v1, vcc_lo dst_sel:DWORD dst_unused:UNUSED_PAD src0_sel:DWORD src1_sel:WORD_1
	v_cndmask_b32_e64 v8, 0, v2, s2
	v_cmp_gt_i32_e64 s2, s15, v47
	s_mov_b32 vcc_lo, s1
	v_cmp_gt_i32_e64 s1, s15, v45
	v_cndmask_b32_sdwa v2, v37, v2, vcc_lo dst_sel:DWORD dst_unused:UNUSED_PAD src0_sel:DWORD src1_sel:WORD_1
	v_cmp_gt_i32_e32 vcc_lo, s27, v46
	v_perm_b32 v1, v1, v7, 0x5040100
	v_perm_b32 v2, v2, v8, 0x5040100
	v_cndmask_b32_e32 v9, 0, v3, vcc_lo
	s_mov_b32 vcc_lo, s2
	v_cndmask_b32_sdwa v3, v37, v3, vcc_lo dst_sel:DWORD dst_unused:UNUSED_PAD src0_sel:DWORD src1_sel:WORD_1
	v_cmp_gt_i32_e32 vcc_lo, s27, v44
	v_perm_b32 v3, v3, v9, 0x5040100
	v_cndmask_b32_e32 v10, 0, v4, vcc_lo
	s_mov_b32 vcc_lo, s1
	v_cndmask_b32_sdwa v4, v37, v4, vcc_lo dst_sel:DWORD dst_unused:UNUSED_PAD src0_sel:DWORD src1_sel:WORD_1
	v_perm_b32 v4, v4, v10, 0x5040100
	s_or_b32 exec_lo, exec_lo, s18
	global_load_dwordx4 v[9:12], v[5:6], off offset:512
	s_and_saveexec_b32 s18, s0
	s_cbranch_execz .LBB171_41
.LBB171_44:                             ;   in Loop: Header=BB171_38 Depth=1
	v_cmp_gt_i32_e64 s1, s27, v48
	v_cmp_gt_i32_e32 vcc_lo, s15, v51
	v_cmp_gt_i32_e64 s2, s27, v50
	s_waitcnt vmcnt(0)
	v_cndmask_b32_e64 v7, 0, v9, s1
	v_cmp_gt_i32_e64 s1, s15, v49
	v_cndmask_b32_sdwa v9, v37, v9, vcc_lo dst_sel:DWORD dst_unused:UNUSED_PAD src0_sel:DWORD src1_sel:WORD_1
	v_cndmask_b32_e64 v8, 0, v10, s2
	v_cmp_gt_i32_e64 s2, s15, v47
	s_mov_b32 vcc_lo, s1
	v_cmp_gt_i32_e64 s1, s15, v45
	v_cndmask_b32_sdwa v10, v37, v10, vcc_lo dst_sel:DWORD dst_unused:UNUSED_PAD src0_sel:DWORD src1_sel:WORD_1
	v_cmp_gt_i32_e32 vcc_lo, s27, v46
	v_perm_b32 v9, v9, v7, 0x5040100
	v_perm_b32 v10, v10, v8, 0x5040100
	v_cndmask_b32_e32 v21, 0, v11, vcc_lo
	s_mov_b32 vcc_lo, s2
	v_cndmask_b32_sdwa v11, v37, v11, vcc_lo dst_sel:DWORD dst_unused:UNUSED_PAD src0_sel:DWORD src1_sel:WORD_1
	v_cmp_gt_i32_e32 vcc_lo, s27, v44
	v_perm_b32 v11, v11, v21, 0x5040100
	v_cndmask_b32_e32 v22, 0, v12, vcc_lo
	s_mov_b32 vcc_lo, s1
	v_cndmask_b32_sdwa v12, v37, v12, vcc_lo dst_sel:DWORD dst_unused:UNUSED_PAD src0_sel:DWORD src1_sel:WORD_1
	v_perm_b32 v12, v12, v22, 0x5040100
	s_or_b32 exec_lo, exec_lo, s18
	global_load_dwordx4 v[21:24], v[5:6], off offset:1024
	s_and_saveexec_b32 s18, s0
	s_cbranch_execz .LBB171_42
.LBB171_45:                             ;   in Loop: Header=BB171_38 Depth=1
	v_cmp_gt_i32_e64 s1, s27, v48
	v_cmp_gt_i32_e32 vcc_lo, s15, v51
	v_cmp_gt_i32_e64 s2, s27, v50
	s_waitcnt vmcnt(0)
	v_cndmask_b32_e64 v7, 0, v21, s1
	v_cmp_gt_i32_e64 s1, s15, v49
	v_cndmask_b32_sdwa v21, v37, v21, vcc_lo dst_sel:DWORD dst_unused:UNUSED_PAD src0_sel:DWORD src1_sel:WORD_1
	v_cndmask_b32_e64 v8, 0, v22, s2
	v_cmp_gt_i32_e64 s2, s15, v47
	s_mov_b32 vcc_lo, s1
	v_cmp_gt_i32_e64 s1, s15, v45
	v_cndmask_b32_sdwa v22, v37, v22, vcc_lo dst_sel:DWORD dst_unused:UNUSED_PAD src0_sel:DWORD src1_sel:WORD_1
	v_cmp_gt_i32_e32 vcc_lo, s27, v46
	v_perm_b32 v21, v21, v7, 0x5040100
	v_perm_b32 v22, v22, v8, 0x5040100
	v_cndmask_b32_e32 v52, 0, v23, vcc_lo
	s_mov_b32 vcc_lo, s2
	v_cndmask_b32_sdwa v23, v37, v23, vcc_lo dst_sel:DWORD dst_unused:UNUSED_PAD src0_sel:DWORD src1_sel:WORD_1
	v_cmp_gt_i32_e32 vcc_lo, s27, v44
	v_perm_b32 v23, v23, v52, 0x5040100
	v_cndmask_b32_e32 v53, 0, v24, vcc_lo
	s_mov_b32 vcc_lo, s1
	v_cndmask_b32_sdwa v24, v37, v24, vcc_lo dst_sel:DWORD dst_unused:UNUSED_PAD src0_sel:DWORD src1_sel:WORD_1
	v_perm_b32 v24, v24, v53, 0x5040100
	s_or_b32 exec_lo, exec_lo, s18
	global_load_dwordx4 v[5:8], v[5:6], off offset:1536
	s_and_saveexec_b32 s2, s0
	s_cbranch_execz .LBB171_36
.LBB171_46:                             ;   in Loop: Header=BB171_38 Depth=1
	v_cmp_gt_i32_e64 s0, s27, v48
	v_cmp_gt_i32_e32 vcc_lo, s15, v51
	v_cmp_gt_i32_e64 s1, s27, v50
	s_waitcnt vmcnt(0)
	v_cndmask_b32_e64 v48, 0, v5, s0
	v_cmp_gt_i32_e64 s0, s15, v49
	v_cndmask_b32_sdwa v5, v37, v5, vcc_lo dst_sel:DWORD dst_unused:UNUSED_PAD src0_sel:DWORD src1_sel:WORD_1
	v_cndmask_b32_e64 v49, 0, v6, s1
	v_cmp_gt_i32_e64 s1, s15, v47
	s_mov_b32 vcc_lo, s0
	v_cmp_gt_i32_e64 s0, s15, v45
	v_cndmask_b32_sdwa v6, v37, v6, vcc_lo dst_sel:DWORD dst_unused:UNUSED_PAD src0_sel:DWORD src1_sel:WORD_1
	v_cmp_gt_i32_e32 vcc_lo, s27, v46
	v_perm_b32 v5, v5, v48, 0x5040100
	v_perm_b32 v6, v6, v49, 0x5040100
	v_cndmask_b32_e32 v46, 0, v7, vcc_lo
	s_mov_b32 vcc_lo, s1
	v_cndmask_b32_sdwa v7, v37, v7, vcc_lo dst_sel:DWORD dst_unused:UNUSED_PAD src0_sel:DWORD src1_sel:WORD_1
	v_cmp_gt_i32_e32 vcc_lo, s27, v44
	v_perm_b32 v7, v7, v46, 0x5040100
	v_cndmask_b32_e32 v44, 0, v8, vcc_lo
	s_mov_b32 vcc_lo, s0
	v_cndmask_b32_sdwa v8, v37, v8, vcc_lo dst_sel:DWORD dst_unused:UNUSED_PAD src0_sel:DWORD src1_sel:WORD_1
	v_perm_b32 v8, v8, v44, 0x5040100
	s_branch .LBB171_36
.LBB171_47:
	s_or_b32 exec_lo, exec_lo, s14
.LBB171_48:
	s_or_b32 exec_lo, exec_lo, s3
	ds_bpermute_b32 v1, v31, v38
	ds_bpermute_b32 v2, v31, v36
	;; [unrolled: 1-line block ×4, first 2 shown]
	v_lshrrev_b32_e32 v5, 2, v29
	v_and_b32_e32 v12, 0x3c3, v0
	s_mov_b32 s0, exec_lo
	s_waitcnt lgkmcnt(0)
	s_waitcnt_vscnt null, 0x0
	s_barrier
	buffer_gl0_inv
	v_add_f32_e32 v1, v38, v1
	v_add_f32_e32 v2, v36, v2
	v_add_f32_e32 v7, v35, v3
	v_add_f32_e32 v8, v34, v4
	v_and_b32_e32 v4, 28, v29
	ds_bpermute_b32 v3, v32, v1
	ds_bpermute_b32 v9, v32, v2
	;; [unrolled: 1-line block ×4, first 2 shown]
	v_add_nc_u32_e32 v6, 0x60, v4
	s_waitcnt lgkmcnt(3)
	v_add_f32_e32 v4, v1, v3
	s_waitcnt lgkmcnt(2)
	v_add_f32_e32 v3, v2, v9
	;; [unrolled: 2-line block ×4, first 2 shown]
	v_cmpx_eq_u32_e32 64, v12
	s_cbranch_execz .LBB171_50
; %bb.49:
	v_lshl_add_u32 v7, v28, 7, v6
	v_add_nc_u32_e32 v8, 0xffffff00, v7
	v_add_nc_u32_e32 v9, 0xffffff20, v7
	;; [unrolled: 1-line block ×4, first 2 shown]
	ds_write_b32 v8, v4
	ds_write_b32 v9, v3
	;; [unrolled: 1-line block ×4, first 2 shown]
.LBB171_50:
	s_or_b32 exec_lo, exec_lo, s0
	v_and_b32_e32 v7, 0x3e0, v0
	v_lshlrev_b32_e32 v5, 2, v5
	s_mov_b32 s1, exec_lo
	v_cmp_eq_u32_e32 vcc_lo, 0, v33
	s_waitcnt lgkmcnt(0)
	v_lshlrev_b32_e32 v7, 2, v7
	s_barrier
	buffer_gl0_inv
	v_add3_u32 v5, 0x60, v7, v5
	v_cmpx_gt_u32_e32 64, v0
	s_cbranch_execz .LBB171_57
; %bb.51:
	s_and_saveexec_b32 s0, vcc_lo
	s_cbranch_execnz .LBB171_69
; %bb.52:
	s_or_b32 exec_lo, exec_lo, s0
	s_and_saveexec_b32 s0, vcc_lo
	s_cbranch_execnz .LBB171_70
.LBB171_53:
	s_or_b32 exec_lo, exec_lo, s0
	s_and_saveexec_b32 s0, vcc_lo
	s_cbranch_execnz .LBB171_71
.LBB171_54:
	s_or_b32 exec_lo, exec_lo, s0
	s_and_saveexec_b32 s0, vcc_lo
	s_cbranch_execz .LBB171_56
.LBB171_55:
	ds_read_b32 v7, v5 offset:96
	s_waitcnt lgkmcnt(0)
	v_add_f32_e32 v1, v1, v7
.LBB171_56:
	s_or_b32 exec_lo, exec_lo, s0
.LBB171_57:
	s_or_b32 exec_lo, exec_lo, s1
	v_and_b32_e32 v7, 0x3e3, v0
	s_mov_b32 s1, exec_lo
	s_barrier
	buffer_gl0_inv
	v_cmpx_eq_u32_e32 32, v7
	s_cbranch_execz .LBB171_59
; %bb.58:
	ds_write2_b32 v6, v4, v3 offset1:8
	ds_write2_b32 v6, v2, v1 offset0:16 offset1:24
.LBB171_59:
	s_or_b32 exec_lo, exec_lo, s1
	s_mov_b32 s1, exec_lo
	s_waitcnt lgkmcnt(0)
	s_barrier
	buffer_gl0_inv
	v_cmpx_gt_u32_e32 32, v0
	s_cbranch_execz .LBB171_66
; %bb.60:
	s_and_saveexec_b32 s0, vcc_lo
	s_cbranch_execnz .LBB171_72
; %bb.61:
	s_or_b32 exec_lo, exec_lo, s0
	s_and_saveexec_b32 s0, vcc_lo
	s_cbranch_execnz .LBB171_73
.LBB171_62:
	s_or_b32 exec_lo, exec_lo, s0
	s_and_saveexec_b32 s0, vcc_lo
	s_cbranch_execnz .LBB171_74
.LBB171_63:
	s_or_b32 exec_lo, exec_lo, s0
	s_and_saveexec_b32 s0, vcc_lo
	s_cbranch_execz .LBB171_65
.LBB171_64:
	ds_read_b32 v5, v5 offset:96
	s_waitcnt lgkmcnt(0)
	v_add_f32_e32 v1, v1, v5
.LBB171_65:
	s_or_b32 exec_lo, exec_lo, s0
.LBB171_66:
	s_or_b32 exec_lo, exec_lo, s1
	s_barrier
	buffer_gl0_inv
	s_mov_b32 s0, exec_lo
	v_cmpx_eq_u32_e32 0, v7
	s_cbranch_execz .LBB171_68
; %bb.67:
	v_bfe_u32 v5, v4, 16, 1
	v_or_b32_e32 v6, 0x400000, v4
	v_bfe_u32 v7, v3, 16, 1
	v_cmp_u_f32_e32 vcc_lo, v4, v4
	s_lshl_b32 s0, s4, 5
	v_add3_u32 v5, v5, v4, 0x7fff
	s_ashr_i32 s1, s0, 31
	v_bfe_u32 v8, v2, 16, 1
	s_lshl_b64 s[0:1], s[0:1], 1
	s_mul_i32 s2, s7, s10
	v_cndmask_b32_e32 v4, v5, v6, vcc_lo
	v_add3_u32 v6, v7, v3, 0x7fff
	v_or_b32_e32 v7, 0x400000, v3
	v_cmp_u_f32_e32 vcc_lo, v3, v3
	s_add_u32 s4, s24, s0
	s_addc_u32 s5, s25, s1
	s_ashr_i32 s3, s2, 31
	v_bfe_u32 v5, v1, 16, 1
	s_lshl_b64 s[0:1], s[2:3], 1
	v_add3_u32 v8, v8, v2, 0x7fff
	v_or_b32_e32 v9, 0x400000, v2
	v_cndmask_b32_e32 v3, v6, v7, vcc_lo
	v_cmp_u_f32_e32 vcc_lo, v2, v2
	s_add_u32 s2, s4, s0
	s_addc_u32 s3, s5, s1
	s_lshl_b32 s0, s8, 5
	v_add3_u32 v5, v5, v1, 0x7fff
	s_ashr_i32 s1, s0, 31
	v_or_b32_e32 v10, 0x400000, v1
	v_cndmask_b32_e32 v2, v8, v9, vcc_lo
	v_cmp_u_f32_e32 vcc_lo, v1, v1
	v_lshrrev_b32_e32 v0, 1, v0
	s_lshl_b64 s[0:1], s[0:1], 1
	s_add_u32 s0, s2, s0
	s_addc_u32 s1, s3, s1
	v_cndmask_b32_e32 v1, v5, v10, vcc_lo
	global_store_short_d16_hi v0, v4, s[0:1]
	global_store_short_d16_hi v0, v3, s[0:1] offset:16
	global_store_short_d16_hi v0, v2, s[0:1] offset:32
	;; [unrolled: 1-line block ×3, first 2 shown]
.LBB171_68:
	s_endpgm
.LBB171_69:
	ds_read_b32 v7, v5
	s_waitcnt lgkmcnt(0)
	v_add_f32_e32 v4, v4, v7
	s_or_b32 exec_lo, exec_lo, s0
	s_and_saveexec_b32 s0, vcc_lo
	s_cbranch_execz .LBB171_53
.LBB171_70:
	ds_read_b32 v7, v5 offset:32
	s_waitcnt lgkmcnt(0)
	v_add_f32_e32 v3, v3, v7
	s_or_b32 exec_lo, exec_lo, s0
	s_and_saveexec_b32 s0, vcc_lo
	s_cbranch_execz .LBB171_54
.LBB171_71:
	ds_read_b32 v7, v5 offset:64
	s_waitcnt lgkmcnt(0)
	v_add_f32_e32 v2, v2, v7
	s_or_b32 exec_lo, exec_lo, s0
	s_and_saveexec_b32 s0, vcc_lo
	s_cbranch_execnz .LBB171_55
	s_branch .LBB171_56
.LBB171_72:
	ds_read_b32 v6, v5
	s_waitcnt lgkmcnt(0)
	v_add_f32_e32 v4, v4, v6
	s_or_b32 exec_lo, exec_lo, s0
	s_and_saveexec_b32 s0, vcc_lo
	s_cbranch_execz .LBB171_62
.LBB171_73:
	ds_read_b32 v6, v5 offset:32
	s_waitcnt lgkmcnt(0)
	v_add_f32_e32 v3, v3, v6
	s_or_b32 exec_lo, exec_lo, s0
	s_and_saveexec_b32 s0, vcc_lo
	s_cbranch_execz .LBB171_63
.LBB171_74:
	ds_read_b32 v6, v5 offset:64
	s_waitcnt lgkmcnt(0)
	v_add_f32_e32 v2, v2, v6
	s_or_b32 exec_lo, exec_lo, s0
	s_and_saveexec_b32 s0, vcc_lo
	s_cbranch_execnz .LBB171_64
	s_branch .LBB171_65
	.section	.rodata,"a",@progbits
	.p2align	6, 0x0
	.amdhsa_kernel _ZN4vllm25paged_attention_v2_kernelI14__hip_bfloat16S1_Li32ELi32ELi128ELNS_18Fp8KVCacheDataTypeE0ELb1ELi512EEEvPfS3_PT_PKS4_PKT0_SA_ifPKiSC_iPKfiiiSE_SE_iiiii
		.amdhsa_group_segment_fixed_size 96
		.amdhsa_private_segment_fixed_size 0
		.amdhsa_kernarg_size 400
		.amdhsa_user_sgpr_count 6
		.amdhsa_user_sgpr_private_segment_buffer 1
		.amdhsa_user_sgpr_dispatch_ptr 0
		.amdhsa_user_sgpr_queue_ptr 0
		.amdhsa_user_sgpr_kernarg_segment_ptr 1
		.amdhsa_user_sgpr_dispatch_id 0
		.amdhsa_user_sgpr_flat_scratch_init 0
		.amdhsa_user_sgpr_private_segment_size 0
		.amdhsa_wavefront_size32 1
		.amdhsa_uses_dynamic_stack 0
		.amdhsa_system_sgpr_private_segment_wavefront_offset 0
		.amdhsa_system_sgpr_workgroup_id_x 1
		.amdhsa_system_sgpr_workgroup_id_y 1
		.amdhsa_system_sgpr_workgroup_id_z 1
		.amdhsa_system_sgpr_workgroup_info 0
		.amdhsa_system_vgpr_workitem_id 0
		.amdhsa_next_free_vgpr 83
		.amdhsa_next_free_sgpr 46
		.amdhsa_reserve_vcc 1
		.amdhsa_reserve_flat_scratch 0
		.amdhsa_float_round_mode_32 0
		.amdhsa_float_round_mode_16_64 0
		.amdhsa_float_denorm_mode_32 3
		.amdhsa_float_denorm_mode_16_64 3
		.amdhsa_dx10_clamp 1
		.amdhsa_ieee_mode 1
		.amdhsa_fp16_overflow 0
		.amdhsa_workgroup_processor_mode 1
		.amdhsa_memory_ordered 1
		.amdhsa_forward_progress 1
		.amdhsa_shared_vgpr_count 0
		.amdhsa_exception_fp_ieee_invalid_op 0
		.amdhsa_exception_fp_denorm_src 0
		.amdhsa_exception_fp_ieee_div_zero 0
		.amdhsa_exception_fp_ieee_overflow 0
		.amdhsa_exception_fp_ieee_underflow 0
		.amdhsa_exception_fp_ieee_inexact 0
		.amdhsa_exception_int_div_zero 0
	.end_amdhsa_kernel
	.section	.text._ZN4vllm25paged_attention_v2_kernelI14__hip_bfloat16S1_Li32ELi32ELi128ELNS_18Fp8KVCacheDataTypeE0ELb1ELi512EEEvPfS3_PT_PKS4_PKT0_SA_ifPKiSC_iPKfiiiSE_SE_iiiii,"axG",@progbits,_ZN4vllm25paged_attention_v2_kernelI14__hip_bfloat16S1_Li32ELi32ELi128ELNS_18Fp8KVCacheDataTypeE0ELb1ELi512EEEvPfS3_PT_PKS4_PKT0_SA_ifPKiSC_iPKfiiiSE_SE_iiiii,comdat
.Lfunc_end171:
	.size	_ZN4vllm25paged_attention_v2_kernelI14__hip_bfloat16S1_Li32ELi32ELi128ELNS_18Fp8KVCacheDataTypeE0ELb1ELi512EEEvPfS3_PT_PKS4_PKT0_SA_ifPKiSC_iPKfiiiSE_SE_iiiii, .Lfunc_end171-_ZN4vllm25paged_attention_v2_kernelI14__hip_bfloat16S1_Li32ELi32ELi128ELNS_18Fp8KVCacheDataTypeE0ELb1ELi512EEEvPfS3_PT_PKS4_PKT0_SA_ifPKiSC_iPKfiiiSE_SE_iiiii
                                        ; -- End function
	.set _ZN4vllm25paged_attention_v2_kernelI14__hip_bfloat16S1_Li32ELi32ELi128ELNS_18Fp8KVCacheDataTypeE0ELb1ELi512EEEvPfS3_PT_PKS4_PKT0_SA_ifPKiSC_iPKfiiiSE_SE_iiiii.num_vgpr, 83
	.set _ZN4vllm25paged_attention_v2_kernelI14__hip_bfloat16S1_Li32ELi32ELi128ELNS_18Fp8KVCacheDataTypeE0ELb1ELi512EEEvPfS3_PT_PKS4_PKT0_SA_ifPKiSC_iPKfiiiSE_SE_iiiii.num_agpr, 0
	.set _ZN4vllm25paged_attention_v2_kernelI14__hip_bfloat16S1_Li32ELi32ELi128ELNS_18Fp8KVCacheDataTypeE0ELb1ELi512EEEvPfS3_PT_PKS4_PKT0_SA_ifPKiSC_iPKfiiiSE_SE_iiiii.numbered_sgpr, 46
	.set _ZN4vllm25paged_attention_v2_kernelI14__hip_bfloat16S1_Li32ELi32ELi128ELNS_18Fp8KVCacheDataTypeE0ELb1ELi512EEEvPfS3_PT_PKS4_PKT0_SA_ifPKiSC_iPKfiiiSE_SE_iiiii.num_named_barrier, 0
	.set _ZN4vllm25paged_attention_v2_kernelI14__hip_bfloat16S1_Li32ELi32ELi128ELNS_18Fp8KVCacheDataTypeE0ELb1ELi512EEEvPfS3_PT_PKS4_PKT0_SA_ifPKiSC_iPKfiiiSE_SE_iiiii.private_seg_size, 0
	.set _ZN4vllm25paged_attention_v2_kernelI14__hip_bfloat16S1_Li32ELi32ELi128ELNS_18Fp8KVCacheDataTypeE0ELb1ELi512EEEvPfS3_PT_PKS4_PKT0_SA_ifPKiSC_iPKfiiiSE_SE_iiiii.uses_vcc, 1
	.set _ZN4vllm25paged_attention_v2_kernelI14__hip_bfloat16S1_Li32ELi32ELi128ELNS_18Fp8KVCacheDataTypeE0ELb1ELi512EEEvPfS3_PT_PKS4_PKT0_SA_ifPKiSC_iPKfiiiSE_SE_iiiii.uses_flat_scratch, 0
	.set _ZN4vllm25paged_attention_v2_kernelI14__hip_bfloat16S1_Li32ELi32ELi128ELNS_18Fp8KVCacheDataTypeE0ELb1ELi512EEEvPfS3_PT_PKS4_PKT0_SA_ifPKiSC_iPKfiiiSE_SE_iiiii.has_dyn_sized_stack, 0
	.set _ZN4vllm25paged_attention_v2_kernelI14__hip_bfloat16S1_Li32ELi32ELi128ELNS_18Fp8KVCacheDataTypeE0ELb1ELi512EEEvPfS3_PT_PKS4_PKT0_SA_ifPKiSC_iPKfiiiSE_SE_iiiii.has_recursion, 0
	.set _ZN4vllm25paged_attention_v2_kernelI14__hip_bfloat16S1_Li32ELi32ELi128ELNS_18Fp8KVCacheDataTypeE0ELb1ELi512EEEvPfS3_PT_PKS4_PKT0_SA_ifPKiSC_iPKfiiiSE_SE_iiiii.has_indirect_call, 0
	.section	.AMDGPU.csdata,"",@progbits
; Kernel info:
; codeLenInByte = 7628
; TotalNumSgprs: 48
; NumVgprs: 83
; ScratchSize: 0
; MemoryBound: 0
; FloatMode: 240
; IeeeMode: 1
; LDSByteSize: 96 bytes/workgroup (compile time only)
; SGPRBlocks: 0
; VGPRBlocks: 10
; NumSGPRsForWavesPerEU: 48
; NumVGPRsForWavesPerEU: 83
; Occupancy: 10
; WaveLimiterHint : 1
; COMPUTE_PGM_RSRC2:SCRATCH_EN: 0
; COMPUTE_PGM_RSRC2:USER_SGPR: 6
; COMPUTE_PGM_RSRC2:TRAP_HANDLER: 0
; COMPUTE_PGM_RSRC2:TGID_X_EN: 1
; COMPUTE_PGM_RSRC2:TGID_Y_EN: 1
; COMPUTE_PGM_RSRC2:TGID_Z_EN: 1
; COMPUTE_PGM_RSRC2:TIDIG_COMP_CNT: 0
	.section	.text._ZN4vllm25paged_attention_v2_kernelI14__hip_bfloat16S1_Li64ELi32ELi128ELNS_18Fp8KVCacheDataTypeE0ELb1ELi512EEEvPfS3_PT_PKS4_PKT0_SA_ifPKiSC_iPKfiiiSE_SE_iiiii,"axG",@progbits,_ZN4vllm25paged_attention_v2_kernelI14__hip_bfloat16S1_Li64ELi32ELi128ELNS_18Fp8KVCacheDataTypeE0ELb1ELi512EEEvPfS3_PT_PKS4_PKT0_SA_ifPKiSC_iPKfiiiSE_SE_iiiii,comdat
	.protected	_ZN4vllm25paged_attention_v2_kernelI14__hip_bfloat16S1_Li64ELi32ELi128ELNS_18Fp8KVCacheDataTypeE0ELb1ELi512EEEvPfS3_PT_PKS4_PKT0_SA_ifPKiSC_iPKfiiiSE_SE_iiiii ; -- Begin function _ZN4vllm25paged_attention_v2_kernelI14__hip_bfloat16S1_Li64ELi32ELi128ELNS_18Fp8KVCacheDataTypeE0ELb1ELi512EEEvPfS3_PT_PKS4_PKT0_SA_ifPKiSC_iPKfiiiSE_SE_iiiii
	.globl	_ZN4vllm25paged_attention_v2_kernelI14__hip_bfloat16S1_Li64ELi32ELi128ELNS_18Fp8KVCacheDataTypeE0ELb1ELi512EEEvPfS3_PT_PKS4_PKT0_SA_ifPKiSC_iPKfiiiSE_SE_iiiii
	.p2align	8
	.type	_ZN4vllm25paged_attention_v2_kernelI14__hip_bfloat16S1_Li64ELi32ELi128ELNS_18Fp8KVCacheDataTypeE0ELb1ELi512EEEvPfS3_PT_PKS4_PKT0_SA_ifPKiSC_iPKfiiiSE_SE_iiiii,@function
_ZN4vllm25paged_attention_v2_kernelI14__hip_bfloat16S1_Li64ELi32ELi128ELNS_18Fp8KVCacheDataTypeE0ELb1ELi512EEEvPfS3_PT_PKS4_PKT0_SA_ifPKiSC_iPKfiiiSE_SE_iiiii: ; @_ZN4vllm25paged_attention_v2_kernelI14__hip_bfloat16S1_Li64ELi32ELi128ELNS_18Fp8KVCacheDataTypeE0ELb1ELi512EEEvPfS3_PT_PKS4_PKT0_SA_ifPKiSC_iPKfiiiSE_SE_iiiii
; %bb.0:
	s_load_dwordx2 s[0:1], s[4:5], 0x40
	s_mov_b32 s26, s7
	s_ashr_i32 s27, s7, 31
	s_lshl_b64 s[2:3], s[26:27], 2
	s_waitcnt lgkmcnt(0)
	s_add_u32 s0, s0, s2
	s_addc_u32 s1, s1, s3
	s_lshl_b32 s37, s8, 9
	s_load_dword s27, s[0:1], 0x0
	s_waitcnt lgkmcnt(0)
	s_cmp_ge_i32 s37, s27
	s_cbranch_scc1 .LBB172_84
; %bb.1:
	s_clause 0x1
	s_load_dword s9, s[4:5], 0x90
	s_load_dwordx2 s[2:3], s[4:5], 0x30
	s_mov_b32 s39, 0
	s_waitcnt lgkmcnt(0)
	s_abs_i32 s10, s9
	s_abs_i32 s0, s2
	v_cvt_f32_u32_e32 v1, s0
	s_sub_i32 s7, 0, s0
	v_rcp_iflag_f32_e32 v1, v1
	v_mul_f32_e32 v1, 0x4f7ffffe, v1
	v_cvt_u32_f32_e32 v1, v1
	v_readfirstlane_b32 s1, v1
	s_mul_i32 s7, s7, s1
	s_mul_hi_u32 s7, s1, s7
	s_add_i32 s1, s1, s7
	s_xor_b32 s7, s9, s2
	s_mul_hi_u32 s1, s10, s1
	s_ashr_i32 s7, s7, 31
	s_mul_i32 s11, s1, s0
	s_sub_i32 s10, s10, s11
	s_add_i32 s11, s1, 1
	s_sub_i32 s12, s10, s0
	s_cmp_ge_u32 s10, s0
	s_cselect_b32 s1, s11, s1
	s_cselect_b32 s10, s12, s10
	s_add_i32 s11, s1, 1
	s_cmp_ge_u32 s10, s0
	s_cselect_b32 s0, s11, s1
	s_abs_i32 s21, s6
	s_xor_b32 s0, s0, s7
	s_sub_i32 s10, s0, s7
	s_load_dwordx2 s[0:1], s[4:5], 0x50
	s_abs_i32 s20, s10
	v_cvt_f32_u32_e32 v1, s20
	s_sub_i32 s11, 0, s20
	v_rcp_iflag_f32_e32 v1, v1
	v_mul_f32_e32 v1, 0x4f7ffffe, v1
	v_cvt_u32_f32_e32 v1, v1
	v_readfirstlane_b32 s7, v1
	s_mul_i32 s11, s11, s7
	s_mul_hi_u32 s11, s7, s11
	s_add_i32 s7, s7, s11
	s_waitcnt lgkmcnt(0)
	s_cmp_eq_u64 s[0:1], 0
	s_mul_hi_u32 s22, s21, s7
	s_cbranch_scc1 .LBB172_3
; %bb.2:
	s_ashr_i32 s7, s6, 31
	s_lshl_b64 s[12:13], s[6:7], 2
	s_add_u32 s0, s0, s12
	s_addc_u32 s1, s1, s13
	s_load_dword s39, s[0:1], 0x0
.LBB172_3:
	s_load_dwordx4 s[12:15], s[4:5], 0x58
	v_lshlrev_b32_e32 v35, 4, v0
	s_ashr_i32 s0, s6, 31
	s_ashr_i32 s1, s10, 31
	s_lshl_b32 s10, s6, 6
	s_mov_b32 s7, exec_lo
	v_cmpx_gt_u32_e32 8, v0
	s_cbranch_execz .LBB172_5
; %bb.4:
	s_load_dwordx2 s[16:17], s[4:5], 0x18
	s_waitcnt lgkmcnt(0)
	s_mul_i32 s18, s12, s26
	s_ashr_i32 s19, s18, 31
	s_lshl_b64 s[18:19], s[18:19], 1
	s_add_u32 s12, s16, s18
	s_addc_u32 s15, s17, s19
	s_ashr_i32 s11, s10, 31
	s_lshl_b64 s[16:17], s[10:11], 1
	s_add_u32 s16, s12, s16
	s_addc_u32 s17, s15, s17
	global_load_dwordx4 v[1:4], v35, s[16:17]
	s_waitcnt vmcnt(0)
	ds_write_b128 v35, v[1:4]
.LBB172_5:
	s_or_b32 exec_lo, exec_lo, s7
	s_load_dwordx4 s[16:19], s[4:5], 0x78
	s_mul_i32 s7, s22, s20
	s_xor_b32 s0, s0, s1
	s_sub_i32 s1, s21, s7
	s_add_i32 s7, s22, 1
	s_sub_i32 s11, s1, s20
	s_cmp_ge_u32 s1, s20
	s_mov_b32 s21, -1
	s_cselect_b32 s7, s7, s22
	s_cselect_b32 s1, s11, s1
	s_add_i32 s11, s7, 1
	s_cmp_ge_u32 s1, s20
                                        ; implicit-def: $sgpr33
	s_cselect_b32 s1, s11, s7
	s_load_dword s7, s[4:5], 0x88
	s_xor_b32 s1, s1, s0
	s_add_i32 s20, s27, -1
	s_sub_i32 s1, s1, s0
	s_waitcnt lgkmcnt(0)
	s_abs_i32 s15, s20
	s_abs_i32 s11, s19
	s_barrier
	v_cvt_f32_u32_e32 v1, s11
	s_sub_i32 s0, 0, s11
	buffer_gl0_inv
	v_rcp_iflag_f32_e32 v1, v1
	v_mul_f32_e32 v1, 0x4f7ffffe, v1
	v_cvt_u32_f32_e32 v1, v1
	v_readfirstlane_b32 s12, v1
	s_mul_i32 s0, s0, s12
	s_mul_hi_u32 s0, s12, s0
	s_add_i32 s12, s12, s0
	s_cmp_lt_i32 s7, 0
	s_mul_hi_u32 s0, s15, s12
	s_cbranch_scc0 .LBB172_7
; %bb.6:
	s_mul_i32 s2, s16, s2
	s_mov_b32 s21, 0
	s_add_i32 s2, s1, s2
	s_mul_i32 s2, s2, s7
	s_sub_i32 s33, 1, s2
.LBB172_7:
	s_load_dwordx2 s[28:29], s[4:5], 0x38
	s_ashr_i32 s2, s20, 31
	s_andn2_b32 vcc_lo, exec_lo, s21
	s_ashr_i32 s19, s19, 31
	s_cbranch_vccnz .LBB172_9
; %bb.8:
	s_mul_i32 s16, s9, s16
	s_add_i32 s16, s16, s6
	s_mul_i32 s7, s16, s7
	s_add_i32 s33, s7, 1
.LBB172_9:
	s_clause 0x4
	s_load_dword s16, s[4:5], 0x48
	s_load_dwordx2 s[34:35], s[4:5], 0x28
	s_load_dword s7, s[4:5], 0x98
	s_load_dwordx4 s[20:23], s[4:5], 0x0
	s_load_dwordx2 s[24:25], s[4:5], 0x10
	s_mul_i32 s30, s0, s11
	s_xor_b32 s2, s2, s19
	s_sub_i32 s15, s15, s30
	s_add_i32 s36, s0, 1
	v_lshrrev_b32_e32 v44, 5, v0
	v_and_b32_e32 v45, 31, v0
	v_mov_b32_e32 v95, 0xff7fffff
	s_mul_i32 s14, s1, s14
	v_lshl_add_u32 v46, v44, 5, s37
	v_lshlrev_b32_e32 v36, 2, v45
	s_waitcnt lgkmcnt(0)
	s_mul_i32 s30, s16, s26
	s_sub_i32 s16, s15, s11
	s_ashr_i32 s31, s30, 31
	s_cmp_ge_u32 s15, s11
	s_cselect_b32 s0, s36, s0
	s_cselect_b32 s15, s16, s15
	s_add_i32 s16, s0, 1
	s_cmp_ge_u32 s15, s11
	s_cselect_b32 s0, s16, s0
	s_add_i32 s15, s27, 31
	s_lshl_b32 s40, s8, 4
	s_ashr_i32 s16, s15, 31
	v_add_nc_u32_e32 v41, s40, v44
	s_lshr_b32 s16, s16, 27
	s_add_i32 s15, s15, s16
	s_add_i32 s16, s40, 16
	s_ashr_i32 s36, s15, 5
	s_xor_b32 s15, s0, s2
	s_min_i32 s16, s16, s36
	v_ashrrev_i32_e32 v42, 31, v41
	v_cmp_gt_i32_e64 s0, s16, v41
	s_sub_i32 s38, s15, s2
	s_and_saveexec_b32 s41, s0
	s_cbranch_execz .LBB172_17
; %bb.10:
	v_mov_b32_e32 v25, 0
	s_load_dwordx2 s[42:43], s[4:5], 0x20
	s_ashr_i32 s15, s14, 31
	s_sub_i32 s4, s38, s17
	s_lshl_b64 s[44:45], s[14:15], 1
	ds_read_b128 v[1:4], v25
	ds_read_b128 v[5:8], v25 offset:16
	ds_read_b128 v[9:12], v25 offset:32
	;; [unrolled: 1-line block ×5, first 2 shown]
	v_lshl_add_u32 v112, v44, 5, s37
	v_mov_b32_e32 v113, 0xff7fffff
	v_mov_b32_e32 v95, 0xff7fffff
	;; [unrolled: 1-line block ×3, first 2 shown]
	s_waitcnt lgkmcnt(0)
	v_and_b32_e32 v37, 0xffff0000, v1
	v_lshlrev_b32_e32 v38, 16, v1
	v_and_b32_e32 v54, 0xffff0000, v2
	v_lshlrev_b32_e32 v55, 16, v2
	v_and_b32_e32 v66, 0xffff0000, v3
	v_lshlrev_b32_e32 v67, 16, v3
	v_and_b32_e32 v71, 0xffff0000, v4
	v_lshlrev_b32_e32 v72, 16, v4
	ds_read_b128 v[1:4], v25 offset:96
	s_add_u32 s1, s42, s44
	s_addc_u32 s2, s43, s45
	s_abs_i32 s5, s18
	v_and_b32_e32 v43, 0xffff0000, v9
	v_lshlrev_b32_e32 v47, 16, v9
	v_cvt_f32_u32_e32 v9, s5
	v_and_b32_e32 v39, 0xffff0000, v5
	v_lshlrev_b32_e32 v40, 16, v5
	v_and_b32_e32 v56, 0xffff0000, v6
	v_lshlrev_b32_e32 v57, 16, v6
	v_rcp_iflag_f32_e32 v9, v9
	v_and_b32_e32 v68, 0xffff0000, v7
	v_lshlrev_b32_e32 v69, 16, v7
	v_and_b32_e32 v75, 0xffff0000, v8
	v_lshlrev_b32_e32 v76, 16, v8
	ds_read_b128 v[5:8], v25 offset:112
	s_sub_i32 s15, 0, s5
	s_lshl_b64 s[42:43], s[30:31], 2
	v_and_b32_e32 v48, 0xffff0000, v13
	s_waitcnt lgkmcnt(1)
	v_and_b32_e32 v90, 0xffff0000, v1
	v_lshlrev_b32_e32 v91, 16, v1
	v_mul_f32_e32 v1, 0x4f7ffffe, v9
	v_and_b32_e32 v94, 0xffff0000, v3
	v_lshlrev_b32_e32 v96, 16, v3
	v_and_b32_e32 v97, 0xffff0000, v4
	v_lshlrev_b32_e32 v98, 16, v4
	v_cvt_u32_f32_e32 v3, v1
	v_and_b32_e32 v92, 0xffff0000, v2
	v_lshlrev_b32_e32 v93, 16, v2
	v_lshlrev_b64 v[1:2], 2, v[41:42]
	v_lshlrev_b32_e32 v49, 16, v13
	v_mul_lo_u32 v4, s15, v3
	s_add_u32 s15, s28, s42
	s_addc_u32 s42, s29, s43
	v_and_b32_e32 v50, 0xffff0000, v17
	v_add_co_u32 v33, vcc_lo, s15, v1
	v_add_co_ci_u32_e64 v34, null, s42, v2, vcc_lo
	v_mul_hi_u32 v4, v3, v4
	v_subrev_nc_u32_e32 v1, s27, v45
	v_lshl_or_b32 v2, v44, 7, v36
	v_lshlrev_b32_e32 v51, 16, v17
	v_and_b32_e32 v52, 0xffff0000, v21
	v_lshlrev_b32_e32 v53, 16, v21
	v_and_b32_e32 v58, 0xffff0000, v10
	v_lshlrev_b32_e32 v59, 16, v10
	v_add_nc_u32_e32 v107, v3, v4
	v_lshlrev_b32_e32 v3, 4, v45
	v_and_b32_e32 v60, 0xffff0000, v14
	v_lshlrev_b32_e32 v61, 16, v14
	v_and_b32_e32 v62, 0xffff0000, v18
	v_lshlrev_b32_e32 v63, 16, v18
	v_add_co_u32 v110, s1, s1, v3
	v_and_b32_e32 v64, 0xffff0000, v22
	v_lshlrev_b32_e32 v65, 16, v22
	v_and_b32_e32 v70, 0xffff0000, v11
	v_lshlrev_b32_e32 v73, 16, v11
	;; [unrolled: 2-line block ×3, first 2 shown]
	v_and_b32_e32 v78, 0xffff0000, v19
	v_and_b32_e32 v79, 0xffff0000, v12
	v_lshlrev_b32_e32 v80, 16, v12
	v_lshlrev_b32_e32 v81, 16, v19
	v_and_b32_e32 v82, 0xffff0000, v23
	v_and_b32_e32 v83, 0xffff0000, v16
	v_lshlrev_b32_e32 v84, 16, v16
	v_lshlrev_b32_e32 v85, 16, v23
	v_and_b32_e32 v86, 0xffff0000, v20
	v_lshlrev_b32_e32 v87, 16, v20
	v_and_b32_e32 v88, 0xffff0000, v24
	v_lshlrev_b32_e32 v89, 16, v24
	s_waitcnt lgkmcnt(0)
	v_and_b32_e32 v99, 0xffff0000, v5
	v_lshlrev_b32_e32 v100, 16, v5
	v_and_b32_e32 v101, 0xffff0000, v6
	v_lshlrev_b32_e32 v102, 16, v6
	;; [unrolled: 2-line block ×4, first 2 shown]
	v_cmp_neq_f32_e64 vcc_lo, s39, 0
	v_add_nc_u32_e32 v108, 1, v1
	v_add_nc_u32_e32 v109, 0xa0, v2
	v_add_co_ci_u32_e64 v111, null, s2, 0, s1
	s_mov_b32 s42, s13
	s_mov_b32 s15, 0
	s_branch .LBB172_12
.LBB172_11:                             ;   in Loop: Header=BB172_12 Depth=1
	s_or_b32 exec_lo, exec_lo, s43
	v_add_nc_u32_e32 v114, 4, v114
	v_add_co_u32 v33, s2, v33, 16
	v_add_co_ci_u32_e64 v34, null, 0, v34, s2
	v_cmp_le_i32_e64 s1, s16, v114
	v_add_nc_u32_e32 v112, 0x80, v112
	v_add_nc_u32_e32 v109, 0x200, v109
	s_or_b32 s15, s1, s15
	s_andn2_b32 exec_lo, exec_lo, s15
	s_cbranch_execz .LBB172_16
.LBB172_12:                             ; =>This Inner Loop Header: Depth=1
	v_sub_nc_u32_e32 v1, 0, v112
	v_max_i32_e32 v1, v112, v1
	v_mul_hi_u32 v2, v1, s12
	v_mul_lo_u32 v3, v2, s11
	v_sub_nc_u32_e32 v1, v1, v3
	v_add_nc_u32_e32 v3, 1, v2
	v_subrev_nc_u32_e32 v4, s11, v1
	v_cmp_le_u32_e64 s1, s11, v1
	v_cndmask_b32_e64 v2, v2, v3, s1
	v_cndmask_b32_e64 v1, v1, v4, s1
	v_ashrrev_i32_e32 v3, 31, v112
	v_add_nc_u32_e32 v4, 1, v2
	v_cmp_le_u32_e64 s1, s11, v1
	v_xor_b32_e32 v3, s19, v3
	v_cndmask_b32_e64 v1, v2, v4, s1
	v_xor_b32_e32 v1, v1, v3
	v_sub_nc_u32_e32 v1, v1, v3
	v_add_nc_u32_e32 v2, s33, v1
	v_cmp_ge_i32_e64 s2, s4, v1
	v_sub_nc_u32_e32 v3, 0, v2
	v_max_i32_e32 v3, v2, v3
	v_ashrrev_i32_e32 v2, 31, v2
	v_mul_hi_u32 v4, v3, v107
	v_mul_lo_u32 v4, v4, s5
	v_sub_nc_u32_e32 v3, v3, v4
	v_subrev_nc_u32_e32 v4, s5, v3
	v_cmp_le_u32_e64 s1, s5, v3
	v_cndmask_b32_e64 v3, v3, v4, s1
	v_subrev_nc_u32_e32 v4, s5, v3
	v_cmp_le_u32_e64 s1, s5, v3
	v_cndmask_b32_e64 v3, v3, v4, s1
	v_xor_b32_e32 v3, v3, v2
	v_sub_nc_u32_e32 v2, v3, v2
	v_cmp_ne_u32_e64 s1, 0, v2
	s_and_b32 s1, s1, s2
	s_and_saveexec_b32 s2, s1
	s_xor_b32 s1, exec_lo, s2
; %bb.13:                               ;   in Loop: Header=BB172_12 Depth=1
	ds_write_b32 v109, v113
; %bb.14:                               ;   in Loop: Header=BB172_12 Depth=1
	s_andn2_saveexec_b32 s43, s1
	s_cbranch_execz .LBB172_11
; %bb.15:                               ;   in Loop: Header=BB172_12 Depth=1
	global_load_dword v1, v[33:34], off
	v_add_nc_u32_e32 v4, v108, v112
	v_add_nc_u32_e32 v3, v45, v112
	v_cvt_f32_i32_e32 v4, v4
	v_mul_f32_e32 v4, s39, v4
	v_cndmask_b32_e32 v115, 0, v4, vcc_lo
	s_waitcnt vmcnt(0)
	v_mad_i64_i32 v[1:2], null, v1, s42, 0
	v_lshlrev_b64 v[1:2], 1, v[1:2]
	v_add_co_u32 v1, s1, v110, v1
	v_add_co_ci_u32_e64 v2, null, v111, v2, s1
	v_cmp_gt_i32_e64 s1, s27, v3
	s_clause 0x3
	global_load_dwordx4 v[29:32], v[1:2], off
	global_load_dwordx4 v[25:28], v[1:2], off offset:512
	global_load_dwordx4 v[21:24], v[1:2], off offset:1024
	;; [unrolled: 1-line block ×3, first 2 shown]
	v_add_co_u32 v1, s2, 0x800, v1
	v_add_co_ci_u32_e64 v2, null, 0, v2, s2
	s_clause 0x3
	global_load_dwordx4 v[13:16], v[1:2], off
	global_load_dwordx4 v[9:12], v[1:2], off offset:512
	global_load_dwordx4 v[5:8], v[1:2], off offset:1024
	;; [unrolled: 1-line block ×3, first 2 shown]
	s_waitcnt vmcnt(7)
	v_lshlrev_b32_e32 v116, 16, v29
	v_and_b32_e32 v117, 0xffff0000, v29
	s_waitcnt vmcnt(6)
	v_and_b32_e32 v29, 0xffff0000, v25
	v_lshlrev_b32_e32 v25, 16, v25
	v_mul_f32_e32 v29, v39, v29
	v_mul_f32_e32 v25, v40, v25
	v_fmac_f32_e32 v29, v37, v117
	v_fmac_f32_e32 v25, v38, v116
	s_waitcnt vmcnt(5)
	v_and_b32_e32 v116, 0xffff0000, v21
	v_lshlrev_b32_e32 v21, 16, v21
	v_fmac_f32_e32 v29, v43, v116
	v_fmac_f32_e32 v25, v47, v21
	s_waitcnt vmcnt(4)
	v_lshlrev_b32_e32 v21, 16, v17
	v_and_b32_e32 v17, 0xffff0000, v17
	v_fmac_f32_e32 v25, v49, v21
	v_fmac_f32_e32 v29, v48, v17
	s_waitcnt vmcnt(3)
	v_and_b32_e32 v17, 0xffff0000, v13
	v_lshlrev_b32_e32 v13, 16, v13
	v_fmac_f32_e32 v29, v50, v17
	v_fmac_f32_e32 v25, v51, v13
	s_waitcnt vmcnt(2)
	v_lshlrev_b32_e32 v13, 16, v9
	v_and_b32_e32 v9, 0xffff0000, v9
	v_fmac_f32_e32 v25, v53, v13
	v_fmac_f32_e32 v29, v52, v9
	s_waitcnt vmcnt(1)
	v_and_b32_e32 v9, 0xffff0000, v5
	v_lshlrev_b32_e32 v5, 16, v5
	v_and_b32_e32 v13, 0xffff0000, v30
	v_fmac_f32_e32 v29, v90, v9
	v_fmac_f32_e32 v25, v91, v5
	s_waitcnt vmcnt(0)
	v_lshlrev_b32_e32 v5, 16, v1
	v_and_b32_e32 v1, 0xffff0000, v1
	v_lshlrev_b32_e32 v9, 16, v30
	v_fmac_f32_e32 v25, v100, v5
	v_fmac_f32_e32 v29, v99, v1
	v_and_b32_e32 v1, 0xffff0000, v26
	v_lshlrev_b32_e32 v5, 16, v26
	v_mul_f32_e32 v1, v56, v1
	v_mul_f32_e32 v5, v57, v5
	v_fmac_f32_e32 v1, v54, v13
	v_fmac_f32_e32 v5, v55, v9
	v_and_b32_e32 v9, 0xffff0000, v22
	v_lshlrev_b32_e32 v13, 16, v22
	v_fmac_f32_e32 v1, v58, v9
	v_fmac_f32_e32 v5, v59, v13
	v_lshlrev_b32_e32 v9, 16, v18
	v_and_b32_e32 v13, 0xffff0000, v18
	v_fmac_f32_e32 v5, v61, v9
	v_fmac_f32_e32 v1, v60, v13
	v_and_b32_e32 v9, 0xffff0000, v14
	v_lshlrev_b32_e32 v13, 16, v14
	v_fmac_f32_e32 v1, v62, v9
	v_fmac_f32_e32 v5, v63, v13
	v_lshlrev_b32_e32 v9, 16, v10
	v_and_b32_e32 v10, 0xffff0000, v10
	v_fmac_f32_e32 v5, v65, v9
	v_fmac_f32_e32 v1, v64, v10
	v_and_b32_e32 v9, 0xffff0000, v6
	v_lshlrev_b32_e32 v6, 16, v6
	v_and_b32_e32 v10, 0xffff0000, v31
	v_fmac_f32_e32 v1, v92, v9
	v_fmac_f32_e32 v5, v93, v6
	v_lshlrev_b32_e32 v6, 16, v2
	v_and_b32_e32 v2, 0xffff0000, v2
	v_lshlrev_b32_e32 v9, 16, v31
	v_fmac_f32_e32 v5, v102, v6
	v_fmac_f32_e32 v1, v101, v2
	v_and_b32_e32 v2, 0xffff0000, v27
	v_lshlrev_b32_e32 v6, 16, v27
	v_mul_f32_e32 v2, v68, v2
	v_mul_f32_e32 v6, v69, v6
	v_fmac_f32_e32 v2, v66, v10
	v_fmac_f32_e32 v6, v67, v9
	v_and_b32_e32 v9, 0xffff0000, v23
	v_lshlrev_b32_e32 v10, 16, v23
	v_fmac_f32_e32 v2, v70, v9
	v_fmac_f32_e32 v6, v73, v10
	v_lshlrev_b32_e32 v9, 16, v19
	v_and_b32_e32 v10, 0xffff0000, v19
	v_fmac_f32_e32 v6, v77, v9
	v_fmac_f32_e32 v2, v74, v10
	v_and_b32_e32 v9, 0xffff0000, v15
	v_lshlrev_b32_e32 v10, 16, v15
	v_fmac_f32_e32 v2, v78, v9
	v_fmac_f32_e32 v6, v81, v10
	v_lshlrev_b32_e32 v9, 16, v11
	v_and_b32_e32 v10, 0xffff0000, v11
	v_fmac_f32_e32 v6, v85, v9
	v_fmac_f32_e32 v2, v82, v10
	v_and_b32_e32 v9, 0xffff0000, v7
	v_lshlrev_b32_e32 v7, 16, v7
	v_and_b32_e32 v10, 0xffff0000, v32
	v_fmac_f32_e32 v2, v94, v9
	v_fmac_f32_e32 v6, v96, v7
	v_lshlrev_b32_e32 v7, 16, v3
	v_and_b32_e32 v3, 0xffff0000, v3
	v_lshlrev_b32_e32 v9, 16, v32
	v_fmac_f32_e32 v6, v104, v7
	v_fmac_f32_e32 v2, v103, v3
	v_and_b32_e32 v3, 0xffff0000, v28
	v_lshlrev_b32_e32 v7, 16, v28
	v_mul_f32_e32 v3, v75, v3
	v_mul_f32_e32 v7, v76, v7
	v_fmac_f32_e32 v3, v71, v10
	v_fmac_f32_e32 v7, v72, v9
	v_and_b32_e32 v9, 0xffff0000, v24
	v_lshlrev_b32_e32 v10, 16, v24
	v_fmac_f32_e32 v3, v79, v9
	v_fmac_f32_e32 v7, v80, v10
	v_lshlrev_b32_e32 v9, 16, v20
	v_and_b32_e32 v10, 0xffff0000, v20
	v_fmac_f32_e32 v7, v84, v9
	v_fmac_f32_e32 v3, v83, v10
	v_and_b32_e32 v9, 0xffff0000, v16
	v_lshlrev_b32_e32 v10, 16, v16
	v_fmac_f32_e32 v3, v86, v9
	v_fmac_f32_e32 v7, v87, v10
	v_lshlrev_b32_e32 v9, 16, v12
	v_and_b32_e32 v10, 0xffff0000, v12
	;; [unrolled: 8-line block ×3, first 2 shown]
	v_fmac_f32_e32 v7, v106, v8
	v_fmac_f32_e32 v3, v105, v4
	v_add_f32_e32 v4, v25, v29
	v_add_f32_e32 v4, v4, v5
	;; [unrolled: 1-line block ×5, first 2 shown]
	v_max_f32_e32 v2, v95, v95
	v_add_f32_e32 v1, v7, v1
	v_add_f32_e32 v1, v3, v1
	v_fmac_f32_e32 v115, s3, v1
	v_max_f32_e32 v2, v2, v115
	v_cndmask_b32_e64 v1, 0, v115, s1
	v_cndmask_b32_e64 v95, v95, v2, s1
	ds_write_b32 v109, v1
	s_branch .LBB172_11
.LBB172_16:
	s_or_b32 exec_lo, exec_lo, s15
.LBB172_17:
	s_or_b32 exec_lo, exec_lo, s41
	v_mbcnt_lo_u32_b32 v1, -1, 0
	v_max_f32_e32 v5, v95, v95
	v_xor_b32_e32 v2, 16, v1
	v_xor_b32_e32 v4, 8, v1
	v_cmp_gt_i32_e32 vcc_lo, 32, v2
	v_cndmask_b32_e32 v2, v1, v2, vcc_lo
	v_cmp_gt_i32_e32 vcc_lo, 32, v4
	v_lshlrev_b32_e32 v2, 2, v2
	v_cndmask_b32_e32 v4, v1, v4, vcc_lo
	ds_bpermute_b32 v3, v2, v95
	s_waitcnt lgkmcnt(0)
	v_max_f32_e32 v6, v3, v3
	v_lshlrev_b32_e32 v3, 2, v4
	v_max_f32_e32 v4, v5, v6
	v_xor_b32_e32 v6, 4, v1
	ds_bpermute_b32 v5, v3, v4
	v_cmp_gt_i32_e32 vcc_lo, 32, v6
	v_cndmask_b32_e32 v6, v1, v6, vcc_lo
	s_waitcnt lgkmcnt(0)
	v_max_f32_e32 v7, v5, v5
	v_lshlrev_b32_e32 v5, 2, v6
	v_max_f32_e32 v4, v4, v7
	v_xor_b32_e32 v7, 2, v1
	ds_bpermute_b32 v6, v5, v4
	v_cmp_gt_i32_e32 vcc_lo, 32, v7
	v_cndmask_b32_e32 v7, v1, v7, vcc_lo
	v_lshlrev_b32_e32 v48, 2, v7
	v_xor_b32_e32 v7, 1, v1
	v_cmp_gt_i32_e32 vcc_lo, 32, v7
	s_waitcnt lgkmcnt(0)
	v_max_f32_e32 v6, v6, v6
	v_cndmask_b32_e32 v7, v1, v7, vcc_lo
	v_cmp_eq_u32_e32 vcc_lo, 0, v45
	v_max_f32_e32 v4, v4, v6
	v_lshlrev_b32_e32 v47, 2, v7
	ds_bpermute_b32 v6, v48, v4
	s_waitcnt lgkmcnt(0)
	v_max_f32_e32 v6, v6, v6
	v_max_f32_e32 v1, v4, v6
	v_lshlrev_b32_e32 v6, 2, v44
	ds_bpermute_b32 v4, v47, v1
	s_and_saveexec_b32 s1, vcc_lo
	s_cbranch_execz .LBB172_19
; %bb.18:
	s_waitcnt lgkmcnt(0)
	v_max_f32_e32 v4, v4, v4
	v_max_f32_e32 v1, v1, v1
	;; [unrolled: 1-line block ×3, first 2 shown]
	ds_write_b32 v6, v1 offset:128
.LBB172_19:
	s_or_b32 exec_lo, exec_lo, s1
	v_cmp_gt_u32_e64 s1, 4, v45
	v_mov_b32_e32 v1, 0xff7fffff
	s_waitcnt lgkmcnt(0)
	s_barrier
	buffer_gl0_inv
	s_and_saveexec_b32 s2, s1
; %bb.20:
	ds_read_b32 v1, v36 offset:128
; %bb.21:
	s_or_b32 exec_lo, exec_lo, s2
	s_waitcnt lgkmcnt(0)
	ds_bpermute_b32 v4, v48, v1
	v_max_f32_e32 v1, v1, v1
	v_mov_b32_e32 v7, 0
	s_sub_i32 s2, s16, s40
	s_lshl_b32 s2, s2, 5
	s_add_i32 s2, s2, s37
	s_min_i32 s2, s2, s27
	s_sub_i32 s4, s2, s37
	v_cmp_gt_i32_e64 s2, s4, v0
	s_waitcnt lgkmcnt(0)
	v_max_f32_e32 v4, v4, v4
	v_max_f32_e32 v1, v1, v4
	ds_bpermute_b32 v4, v47, v1
	s_waitcnt lgkmcnt(0)
	v_max_f32_e32 v4, v4, v4
	v_max_f32_e32 v1, v1, v4
	v_lshl_add_u32 v4, v0, 2, 0xa0
	ds_bpermute_b32 v1, v7, v1
	s_and_saveexec_b32 s5, s2
	s_cbranch_execz .LBB172_25
; %bb.22:
	v_lshl_add_u32 v8, v0, 2, 0xa0
	v_mov_b32_e32 v7, 0
	v_mov_b32_e32 v9, v0
	s_mov_b32 s15, 0
	.p2align	6
.LBB172_23:                             ; =>This Inner Loop Header: Depth=1
	ds_read_b32 v10, v8
	v_add_nc_u32_e32 v9, 0x80, v9
	v_cmp_le_i32_e64 s3, s4, v9
	s_or_b32 s15, s3, s15
	s_waitcnt lgkmcnt(0)
	v_sub_f32_e32 v10, v10, v1
	v_mul_f32_e32 v10, 0x3fb8aa3b, v10
	v_exp_f32_e32 v10, v10
	ds_write_b32 v8, v10
	v_add_f32_e32 v7, v7, v10
	v_add_nc_u32_e32 v8, 0x200, v8
	s_andn2_b32 exec_lo, exec_lo, s15
	s_cbranch_execnz .LBB172_23
; %bb.24:
	s_or_b32 exec_lo, exec_lo, s15
.LBB172_25:
	s_or_b32 exec_lo, exec_lo, s5
	ds_bpermute_b32 v2, v2, v7
	s_waitcnt lgkmcnt(0)
	v_add_f32_e32 v2, v7, v2
	ds_bpermute_b32 v3, v3, v2
	s_waitcnt lgkmcnt(0)
	v_add_f32_e32 v2, v2, v3
	;; [unrolled: 3-line block ×5, first 2 shown]
	s_and_saveexec_b32 s3, vcc_lo
; %bb.26:
	ds_write_b32 v6, v2 offset:144
; %bb.27:
	s_or_b32 exec_lo, exec_lo, s3
	s_waitcnt lgkmcnt(0)
	s_barrier
	buffer_gl0_inv
	s_and_saveexec_b32 s3, s1
; %bb.28:
	ds_read_b32 v2, v36 offset:144
; %bb.29:
	s_or_b32 exec_lo, exec_lo, s3
	s_waitcnt lgkmcnt(0)
	ds_bpermute_b32 v3, v48, v2
	s_waitcnt lgkmcnt(0)
	v_add_f32_e32 v2, v2, v3
	ds_bpermute_b32 v3, v47, v2
	s_waitcnt lgkmcnt(0)
	v_add_f32_e32 v2, v2, v3
	v_mov_b32_e32 v3, 0
	ds_bpermute_b32 v2, v3, v2
	s_and_saveexec_b32 s1, s2
	s_cbranch_execz .LBB172_32
; %bb.30:
	s_waitcnt lgkmcnt(0)
	v_add_f32_e32 v3, 0x358637bd, v2
	s_mov_b32 s2, 0
	v_div_scale_f32 v5, null, v3, v3, 1.0
	v_div_scale_f32 v8, vcc_lo, 1.0, v3, 1.0
	v_rcp_f32_e32 v6, v5
	v_fma_f32 v7, -v5, v6, 1.0
	v_fmac_f32_e32 v6, v7, v6
	v_mul_f32_e32 v7, v8, v6
	v_fma_f32 v9, -v5, v7, v8
	v_fmac_f32_e32 v7, v9, v6
	v_fma_f32 v5, -v5, v7, v8
	v_div_fmas_f32 v5, v5, v6, v7
	v_div_fixup_f32 v3, v5, v3, 1.0
	v_mov_b32_e32 v5, v0
.LBB172_31:                             ; =>This Inner Loop Header: Depth=1
	ds_read_b32 v6, v4
	v_add_nc_u32_e32 v5, 0x80, v5
	v_cmp_le_i32_e32 vcc_lo, s4, v5
	s_or_b32 s2, vcc_lo, s2
	s_waitcnt lgkmcnt(0)
	v_mul_f32_e32 v6, v3, v6
	ds_write_b32 v4, v6
	v_add_nc_u32_e32 v4, 0x200, v4
	s_andn2_b32 exec_lo, exec_lo, s2
	s_cbranch_execnz .LBB172_31
.LBB172_32:
	s_or_b32 exec_lo, exec_lo, s1
	s_mul_i32 s1, s7, s26
	s_waitcnt lgkmcnt(0)
	s_mul_i32 s4, s1, s9
	s_mov_b32 s1, exec_lo
	s_barrier
	buffer_gl0_inv
	v_cmpx_eq_u32_e32 0, v0
	s_cbranch_execz .LBB172_34
; %bb.33:
	s_ashr_i32 s5, s4, 31
	s_mul_i32 s40, s7, s6
	s_lshl_b64 s[2:3], s[4:5], 2
	v_mov_b32_e32 v3, 0
	s_add_u32 s5, s22, s2
	s_addc_u32 s6, s23, s3
	s_ashr_i32 s41, s40, 31
	s_lshl_b64 s[22:23], s[40:41], 2
	s_add_u32 s5, s5, s22
	s_addc_u32 s6, s6, s23
	s_ashr_i32 s9, s8, 31
	s_lshl_b64 s[40:41], s[8:9], 2
	s_add_u32 s42, s5, s40
	s_addc_u32 s43, s6, s41
	s_add_u32 s2, s20, s2
	s_addc_u32 s3, s21, s3
	;; [unrolled: 2-line block ×4, first 2 shown]
	global_store_dword v3, v1, s[42:43]
	global_store_dword v3, v2, s[2:3]
.LBB172_34:
	s_or_b32 exec_lo, exec_lo, s1
	v_mov_b32_e32 v57, 0
	v_and_b32_e32 v49, 3, v0
	v_mov_b32_e32 v56, 0
	v_mov_b32_e32 v55, 0
	;; [unrolled: 1-line block ×7, first 2 shown]
	s_and_saveexec_b32 s3, s0
	s_cbranch_execz .LBB172_56
; %bb.35:
	s_ashr_i32 s15, s14, 31
	s_sub_i32 s5, s38, s17
	s_lshl_b64 s[0:1], s[14:15], 1
	v_lshlrev_b32_e32 v4, 3, v0
	s_add_u32 s2, s34, s0
	s_addc_u32 s14, s35, s1
	s_abs_i32 s6, s18
	v_lshlrev_b32_e32 v6, 5, v49
	v_cvt_f32_u32_e32 v1, s6
	s_sub_i32 s0, 0, s6
	v_and_b32_e32 v59, 24, v4
	v_and_b32_e32 v5, 0x1f0, v35
	s_add_i32 s9, s36, -1
	v_rcp_iflag_f32_e32 v3, v1
	v_lshlrev_b64 v[1:2], 2, v[41:42]
	v_lshl_or_b32 v6, v44, 7, v6
	v_add_co_u32 v60, s2, s2, v5
	v_mov_b32_e32 v58, 0
	v_mov_b32_e32 v50, 0
	;; [unrolled: 1-line block ×5, first 2 shown]
	v_mul_f32_e32 v3, 0x4f7ffffe, v3
	v_mov_b32_e32 v54, 0
	v_mov_b32_e32 v55, 0
	;; [unrolled: 1-line block ×3, first 2 shown]
	v_add_co_ci_u32_e64 v61, null, s14, 0, s2
	v_cvt_u32_f32_e32 v3, v3
	v_add_nc_u32_e32 v62, 0xa0, v6
	v_mov_b32_e32 v57, 0
	s_mov_b32 s15, s27
	s_mov_b32 s14, 0
	v_mul_lo_u32 v4, s0, v3
	s_lshl_b64 s[0:1], s[30:31], 2
	s_add_u32 s0, s28, s0
	s_addc_u32 s1, s29, s1
	v_add_co_u32 v42, vcc_lo, s0, v1
	v_add_co_ci_u32_e64 v43, null, s1, v2, vcc_lo
	v_mul_hi_u32 v4, v3, v4
	v_add_nc_u32_e32 v63, v3, v4
	s_branch .LBB172_38
.LBB172_36:                             ;   in Loop: Header=BB172_38 Depth=1
	s_or_b32 exec_lo, exec_lo, s2
	s_waitcnt lgkmcnt(1)
	v_bfe_u32 v64, v29, 16, 1
	v_or_b32_e32 v65, 0x400000, v29
	v_bfe_u32 v66, v30, 16, 1
	v_cmp_u_f32_e32 vcc_lo, v29, v29
	v_bfe_u32 v67, v31, 16, 1
	v_add3_u32 v64, v64, v29, 0x7fff
	v_or_b32_e32 v68, 0x400000, v30
	v_add3_u32 v66, v66, v30, 0x7fff
	v_or_b32_e32 v69, 0x400000, v31
	v_add3_u32 v67, v67, v31, 0x7fff
	v_cndmask_b32_e32 v29, v64, v65, vcc_lo
	v_cmp_u_f32_e32 vcc_lo, v30, v30
	v_bfe_u32 v64, v32, 16, 1
	s_waitcnt lgkmcnt(0)
	v_bfe_u32 v65, v25, 16, 1
	v_and_b32_e32 v29, 0xffff0000, v29
	v_cndmask_b32_e32 v30, v66, v68, vcc_lo
	v_cmp_u_f32_e32 vcc_lo, v31, v31
	v_add3_u32 v64, v64, v32, 0x7fff
	v_or_b32_e32 v66, 0x400000, v32
	v_add3_u32 v65, v65, v25, 0x7fff
	v_bfe_u32 v68, v26, 16, 1
	v_cndmask_b32_e32 v31, v67, v69, vcc_lo
	v_cmp_u_f32_e32 vcc_lo, v32, v32
	v_or_b32_e32 v67, 0x400000, v25
	v_and_b32_e32 v31, 0xffff0000, v31
	v_cndmask_b32_e32 v32, v64, v66, vcc_lo
	v_cmp_u_f32_e32 vcc_lo, v25, v25
	v_or_b32_e32 v66, 0x400000, v26
	v_and_b32_e32 v25, 0xffff0000, v30
	s_waitcnt vmcnt(1)
	v_and_b32_e32 v30, 0xffff0000, v37
	v_lshlrev_b32_e32 v37, 16, v37
	v_cndmask_b32_e32 v64, v65, v67, vcc_lo
	v_add3_u32 v65, v68, v26, 0x7fff
	v_bfe_u32 v67, v27, 16, 1
	v_cmp_u_f32_e32 vcc_lo, v26, v26
	v_mul_f32_e32 v30, v25, v30
	v_mul_f32_e32 v37, v29, v37
	v_add3_u32 v26, v67, v27, 0x7fff
	v_cndmask_b32_e32 v65, v65, v66, vcc_lo
	v_or_b32_e32 v66, 0x400000, v27
	v_bfe_u32 v67, v28, 16, 1
	v_cmp_u_f32_e32 vcc_lo, v27, v27
	v_bfe_u32 v68, v30, 16, 1
	v_add3_u32 v27, v67, v28, 0x7fff
	v_cndmask_b32_e32 v66, v26, v66, vcc_lo
	v_or_b32_e32 v67, 0x400000, v28
	v_and_b32_e32 v26, 0xffff0000, v32
	v_and_b32_e32 v32, 0xffff0000, v38
	v_cmp_u_f32_e32 vcc_lo, v28, v28
	v_mul_f32_e32 v69, v26, v32
	v_cndmask_b32_e32 v28, v27, v67, vcc_lo
	v_add3_u32 v27, v68, v30, 0x7fff
	v_or_b32_e32 v67, 0x400000, v30
	v_bfe_u32 v68, v37, 16, 1
	v_lshlrev_b32_e32 v32, 16, v38
	v_cmp_u_f32_e32 vcc_lo, v30, v30
	v_and_b32_e32 v28, 0xffff0000, v28
	v_add3_u32 v30, v68, v37, 0x7fff
	v_bfe_u32 v68, v69, 16, 1
	v_cndmask_b32_e32 v38, v27, v67, vcc_lo
	v_or_b32_e32 v67, 0x400000, v37
	v_mul_f32_e32 v70, v31, v32
	v_cmp_u_f32_e32 vcc_lo, v37, v37
	v_and_b32_e32 v27, 0xffff0000, v65
	v_and_b32_e32 v32, 0xffff0000, v39
	v_or_b32_e32 v65, 0x400000, v69
	v_lshlrev_b32_e32 v39, 16, v39
	v_cndmask_b32_e32 v37, v30, v67, vcc_lo
	v_add3_u32 v30, v68, v69, 0x7fff
	v_bfe_u32 v67, v70, 16, 1
	v_cmp_u_f32_e32 vcc_lo, v69, v69
	v_mul_f32_e32 v68, v27, v32
	v_and_b32_e32 v32, 0xffff0000, v64
	v_and_b32_e32 v69, 0xffff0000, v40
	v_lshlrev_b32_e32 v40, 16, v40
	v_cndmask_b32_e32 v64, v30, v65, vcc_lo
	v_add3_u32 v30, v67, v70, 0x7fff
	v_or_b32_e32 v65, 0x400000, v70
	v_cmp_u_f32_e32 vcc_lo, v70, v70
	v_bfe_u32 v67, v68, 16, 1
	v_mul_f32_e32 v39, v32, v39
	v_mul_f32_e32 v69, v28, v69
	v_and_b32_e32 v37, 0xffff0000, v37
	v_cndmask_b32_e32 v65, v30, v65, vcc_lo
	v_and_b32_e32 v30, 0xffff0000, v66
	v_add3_u32 v67, v67, v68, 0x7fff
	v_bfe_u32 v70, v39, 16, 1
	v_or_b32_e32 v66, 0x400000, v68
	v_cmp_u_f32_e32 vcc_lo, v68, v68
	v_mul_f32_e32 v40, v30, v40
	v_or_b32_e32 v71, 0x400000, v39
	v_add3_u32 v70, v70, v39, 0x7fff
	v_bfe_u32 v72, v69, 16, 1
	v_cndmask_b32_e32 v66, v67, v66, vcc_lo
	v_cmp_u_f32_e32 vcc_lo, v39, v39
	v_bfe_u32 v68, v40, 16, 1
	v_and_b32_e32 v38, 0xffff0000, v38
	v_and_b32_e32 v65, 0xffff0000, v65
	;; [unrolled: 1-line block ×3, first 2 shown]
	v_cndmask_b32_e32 v39, v70, v71, vcc_lo
	v_add3_u32 v68, v68, v40, 0x7fff
	v_or_b32_e32 v71, 0x400000, v40
	v_cmp_u_f32_e32 vcc_lo, v40, v40
	v_add3_u32 v67, v72, v69, 0x7fff
	v_or_b32_e32 v70, 0x400000, v69
	v_add_f32_e32 v37, v37, v38
	v_add_f32_e32 v38, v65, v64
	v_and_b32_e32 v39, 0xffff0000, v39
	v_and_b32_e32 v64, 0xffff0000, v66
	v_cndmask_b32_e32 v40, v68, v71, vcc_lo
	v_cmp_u_f32_e32 vcc_lo, v69, v69
	v_add_f32_e32 v37, v38, v37
	v_add_f32_e32 v38, v39, v64
	v_and_b32_e32 v39, 0xffff0000, v33
	v_cndmask_b32_e32 v65, v67, v70, vcc_lo
	v_and_b32_e32 v40, 0xffff0000, v40
	v_lshlrev_b32_e32 v33, 16, v33
	v_add_f32_e32 v37, v38, v37
	v_mul_f32_e32 v39, v25, v39
	v_and_b32_e32 v64, 0xffff0000, v65
	v_mul_f32_e32 v33, v29, v33
	v_cmp_u_f32_e32 vcc_lo, v39, v39
	v_add_f32_e32 v38, v40, v64
	v_and_b32_e32 v40, 0xffff0000, v34
	v_bfe_u32 v64, v39, 16, 1
	v_bfe_u32 v65, v33, 16, 1
	v_or_b32_e32 v66, 0x400000, v33
	v_add_f32_e32 v37, v38, v37
	v_mul_f32_e32 v38, v26, v40
	v_add3_u32 v40, v64, v39, 0x7fff
	v_or_b32_e32 v64, 0x400000, v39
	v_add3_u32 v65, v65, v33, 0x7fff
	v_lshlrev_b32_e32 v34, 16, v34
	v_bfe_u32 v67, v38, 16, 1
	v_add_f32_e32 v51, v51, v37
	v_cndmask_b32_e32 v39, v40, v64, vcc_lo
	v_cmp_u_f32_e32 vcc_lo, v33, v33
	v_mul_f32_e32 v34, v31, v34
	v_add3_u32 v40, v67, v38, 0x7fff
	v_or_b32_e32 v64, 0x400000, v38
	v_and_b32_e32 v39, 0xffff0000, v39
	v_cndmask_b32_e32 v33, v65, v66, vcc_lo
	v_and_b32_e32 v65, 0xffff0000, v35
	v_cmp_u_f32_e32 vcc_lo, v38, v38
	v_lshlrev_b32_e32 v35, 16, v35
	v_bfe_u32 v66, v34, 16, 1
	v_and_b32_e32 v33, 0xffff0000, v33
	v_cndmask_b32_e32 v38, v40, v64, vcc_lo
	v_mul_f32_e32 v40, v27, v65
	v_mul_f32_e32 v35, v32, v35
	v_add3_u32 v64, v66, v34, 0x7fff
	v_or_b32_e32 v65, 0x400000, v34
	v_and_b32_e32 v66, 0xffff0000, v36
	v_bfe_u32 v67, v40, 16, 1
	v_cmp_u_f32_e32 vcc_lo, v34, v34
	v_bfe_u32 v68, v35, 16, 1
	v_lshlrev_b32_e32 v36, 16, v36
	v_and_b32_e32 v38, 0xffff0000, v38
	v_add_f32_e32 v33, v33, v39
	v_cndmask_b32_e32 v34, v64, v65, vcc_lo
	v_mul_f32_e32 v64, v28, v66
	v_add3_u32 v65, v67, v40, 0x7fff
	v_or_b32_e32 v66, 0x400000, v40
	v_cmp_u_f32_e32 vcc_lo, v40, v40
	v_add3_u32 v67, v68, v35, 0x7fff
	v_or_b32_e32 v68, 0x400000, v35
	v_bfe_u32 v69, v64, 16, 1
	v_and_b32_e32 v34, 0xffff0000, v34
	v_cndmask_b32_e32 v40, v65, v66, vcc_lo
	v_cmp_u_f32_e32 vcc_lo, v35, v35
	v_or_b32_e32 v66, 0x400000, v64
	v_add3_u32 v65, v69, v64, 0x7fff
	v_mul_f32_e32 v36, v30, v36
	v_add_f32_e32 v34, v34, v38
	v_cndmask_b32_e32 v35, v67, v68, vcc_lo
	v_cmp_u_f32_e32 vcc_lo, v64, v64
	v_and_b32_e32 v38, 0xffff0000, v21
	v_and_b32_e32 v39, 0xffff0000, v40
	v_add_f32_e32 v33, v34, v33
	v_and_b32_e32 v35, 0xffff0000, v35
	v_cndmask_b32_e32 v64, v65, v66, vcc_lo
	v_bfe_u32 v65, v36, 16, 1
	v_mul_f32_e32 v34, v25, v38
	v_lshlrev_b32_e32 v21, 16, v21
	v_add_f32_e32 v35, v35, v39
	v_cmp_u_f32_e32 vcc_lo, v36, v36
	v_add3_u32 v40, v65, v36, 0x7fff
	v_or_b32_e32 v65, 0x400000, v36
	v_bfe_u32 v38, v34, 16, 1
	v_add_f32_e32 v33, v35, v33
	v_mul_f32_e32 v21, v29, v21
	v_and_b32_e32 v35, 0xffff0000, v22
	v_cndmask_b32_e32 v36, v40, v65, vcc_lo
	v_add3_u32 v38, v38, v34, 0x7fff
	v_or_b32_e32 v39, 0x400000, v34
	v_bfe_u32 v40, v21, 16, 1
	v_mul_f32_e32 v35, v26, v35
	v_lshlrev_b32_e32 v22, 16, v22
	v_cmp_u_f32_e32 vcc_lo, v34, v34
	v_and_b32_e32 v65, 0xffff0000, v23
	v_lshlrev_b32_e32 v23, 16, v23
	v_and_b32_e32 v66, 0xffff0000, v24
	v_mul_f32_e32 v22, v31, v22
	v_cndmask_b32_e32 v34, v38, v39, vcc_lo
	v_add3_u32 v38, v40, v21, 0x7fff
	v_or_b32_e32 v39, 0x400000, v21
	v_bfe_u32 v40, v35, 16, 1
	v_cmp_u_f32_e32 vcc_lo, v21, v21
	v_mul_f32_e32 v65, v27, v65
	v_mul_f32_e32 v23, v32, v23
	v_lshlrev_b32_e32 v24, 16, v24
	v_and_b32_e32 v34, 0xffff0000, v34
	v_cndmask_b32_e32 v21, v38, v39, vcc_lo
	v_add3_u32 v38, v40, v35, 0x7fff
	v_or_b32_e32 v39, 0x400000, v35
	v_bfe_u32 v40, v22, 16, 1
	v_cmp_u_f32_e32 vcc_lo, v35, v35
	v_mul_f32_e32 v24, v30, v24
	v_or_b32_e32 v67, 0x400000, v23
	v_and_b32_e32 v21, 0xffff0000, v21
	v_and_b32_e32 v36, 0xffff0000, v36
	v_cndmask_b32_e32 v35, v38, v39, vcc_lo
	v_add3_u32 v38, v40, v22, 0x7fff
	v_or_b32_e32 v39, 0x400000, v22
	v_bfe_u32 v40, v65, 16, 1
	v_cmp_u_f32_e32 vcc_lo, v22, v22
	v_bfe_u32 v69, v24, 16, 1
	v_and_b32_e32 v35, 0xffff0000, v35
	v_add_f32_e32 v21, v21, v34
	v_cndmask_b32_e32 v22, v38, v39, vcc_lo
	v_bfe_u32 v38, v23, 16, 1
	v_add3_u32 v39, v40, v65, 0x7fff
	v_mul_f32_e32 v40, v28, v66
	v_or_b32_e32 v66, 0x400000, v65
	v_cmp_u_f32_e32 vcc_lo, v65, v65
	v_add3_u32 v38, v38, v23, 0x7fff
	v_add3_u32 v65, v69, v24, 0x7fff
	v_bfe_u32 v68, v40, 16, 1
	v_and_b32_e32 v22, 0xffff0000, v22
	v_cndmask_b32_e32 v39, v39, v66, vcc_lo
	v_cmp_u_f32_e32 vcc_lo, v23, v23
	v_or_b32_e32 v66, 0x400000, v24
	v_add_f32_e32 v22, v22, v35
	v_and_b32_e32 v34, 0xffff0000, v39
	v_cndmask_b32_e32 v23, v38, v67, vcc_lo
	v_cmp_u_f32_e32 vcc_lo, v24, v24
	v_add3_u32 v38, v68, v40, 0x7fff
	v_or_b32_e32 v67, 0x400000, v40
	v_add_f32_e32 v21, v22, v21
	v_and_b32_e32 v23, 0xffff0000, v23
	v_cndmask_b32_e32 v24, v65, v66, vcc_lo
	v_cmp_u_f32_e32 vcc_lo, v40, v40
	v_add_f32_e32 v22, v23, v34
	v_and_b32_e32 v23, 0xffff0000, v24
	v_cndmask_b32_e32 v35, v38, v67, vcc_lo
	v_and_b32_e32 v38, 0xffff0000, v64
	v_and_b32_e32 v34, 0xffff0000, v17
	v_lshlrev_b32_e32 v17, 16, v17
	v_add_f32_e32 v21, v22, v21
	v_and_b32_e32 v24, 0xffff0000, v35
	v_add_f32_e32 v35, v36, v38
	v_mul_f32_e32 v17, v29, v17
	v_add_f32_e32 v22, v23, v24
	v_mul_f32_e32 v23, v25, v34
	v_add_f32_e32 v24, v35, v33
	v_and_b32_e32 v33, 0xffff0000, v18
	v_lshlrev_b32_e32 v18, 16, v18
	v_add_f32_e32 v21, v22, v21
	v_bfe_u32 v22, v23, 16, 1
	v_add_f32_e32 v52, v52, v24
	v_bfe_u32 v24, v17, 16, 1
	v_mul_f32_e32 v33, v26, v33
	v_add_f32_e32 v53, v53, v21
	v_add3_u32 v21, v22, v23, 0x7fff
	v_or_b32_e32 v22, 0x400000, v23
	v_cmp_u_f32_e32 vcc_lo, v23, v23
	v_add3_u32 v24, v24, v17, 0x7fff
	v_or_b32_e32 v34, 0x400000, v17
	v_mul_f32_e32 v18, v31, v18
	v_and_b32_e32 v23, 0xffff0000, v19
	v_cndmask_b32_e32 v21, v21, v22, vcc_lo
	v_bfe_u32 v22, v33, 16, 1
	v_cmp_u_f32_e32 vcc_lo, v17, v17
	v_lshlrev_b32_e32 v19, 16, v19
	v_mul_f32_e32 v23, v27, v23
	v_and_b32_e32 v35, 0xffff0000, v20
	v_add3_u32 v22, v22, v33, 0x7fff
	v_cndmask_b32_e32 v17, v24, v34, vcc_lo
	v_or_b32_e32 v24, 0x400000, v33
	v_bfe_u32 v34, v18, 16, 1
	v_cmp_u_f32_e32 vcc_lo, v33, v33
	v_mul_f32_e32 v19, v32, v19
	v_or_b32_e32 v33, 0x400000, v18
	v_lshlrev_b32_e32 v20, 16, v20
	v_and_b32_e32 v17, 0xffff0000, v17
	v_cndmask_b32_e32 v22, v22, v24, vcc_lo
	v_add3_u32 v24, v34, v18, 0x7fff
	v_bfe_u32 v34, v23, 16, 1
	v_cmp_u_f32_e32 vcc_lo, v18, v18
	v_bfe_u32 v36, v19, 16, 1
	v_mul_f32_e32 v20, v30, v20
	v_and_b32_e32 v21, 0xffff0000, v21
	v_and_b32_e32 v22, 0xffff0000, v22
	v_cndmask_b32_e32 v18, v24, v33, vcc_lo
	v_add3_u32 v24, v34, v23, 0x7fff
	v_mul_f32_e32 v33, v28, v35
	v_or_b32_e32 v34, 0x400000, v23
	v_cmp_u_f32_e32 vcc_lo, v23, v23
	v_add3_u32 v35, v36, v19, 0x7fff
	v_or_b32_e32 v36, 0x400000, v19
	v_bfe_u32 v37, v33, 16, 1
	v_and_b32_e32 v18, 0xffff0000, v18
	v_cndmask_b32_e32 v23, v24, v34, vcc_lo
	v_cmp_u_f32_e32 vcc_lo, v19, v19
	v_or_b32_e32 v34, 0x400000, v33
	v_add3_u32 v24, v37, v33, 0x7fff
	v_add_f32_e32 v17, v17, v21
	v_add_f32_e32 v18, v18, v22
	v_cndmask_b32_e32 v19, v35, v36, vcc_lo
	v_bfe_u32 v35, v20, 16, 1
	v_cmp_u_f32_e32 vcc_lo, v33, v33
	v_and_b32_e32 v22, 0xffff0000, v13
	v_and_b32_e32 v21, 0xffff0000, v23
	;; [unrolled: 1-line block ×3, first 2 shown]
	v_add3_u32 v33, v35, v20, 0x7fff
	v_cndmask_b32_e32 v24, v24, v34, vcc_lo
	v_or_b32_e32 v34, 0x400000, v20
	v_cmp_u_f32_e32 vcc_lo, v20, v20
	v_lshlrev_b32_e32 v13, 16, v13
	v_add_f32_e32 v17, v18, v17
	v_mul_f32_e32 v18, v25, v22
	v_add_f32_e32 v19, v19, v21
	v_cndmask_b32_e32 v20, v33, v34, vcc_lo
	v_mul_f32_e32 v21, v29, v13
	v_and_b32_e32 v22, 0xffff0000, v24
	v_bfe_u32 v23, v18, 16, 1
	v_and_b32_e32 v24, 0xffff0000, v14
	v_and_b32_e32 v20, 0xffff0000, v20
	v_add_f32_e32 v13, v19, v17
	v_bfe_u32 v19, v21, 16, 1
	v_lshlrev_b32_e32 v14, 16, v14
	v_cmp_u_f32_e32 vcc_lo, v18, v18
	v_add_f32_e32 v17, v20, v22
	v_add3_u32 v20, v23, v18, 0x7fff
	v_or_b32_e32 v22, 0x400000, v18
	v_mul_f32_e32 v23, v26, v24
	v_add3_u32 v19, v19, v21, 0x7fff
	v_or_b32_e32 v24, 0x400000, v21
	v_mul_f32_e32 v14, v31, v14
	v_cndmask_b32_e32 v18, v20, v22, vcc_lo
	v_bfe_u32 v20, v23, 16, 1
	v_cmp_u_f32_e32 vcc_lo, v21, v21
	v_and_b32_e32 v21, 0xffff0000, v15
	v_or_b32_e32 v22, 0x400000, v23
	v_lshlrev_b32_e32 v15, 16, v15
	v_add3_u32 v20, v20, v23, 0x7fff
	v_cndmask_b32_e32 v19, v19, v24, vcc_lo
	v_bfe_u32 v24, v14, 16, 1
	v_mul_f32_e32 v21, v27, v21
	v_cmp_u_f32_e32 vcc_lo, v23, v23
	v_mul_f32_e32 v15, v32, v15
	v_or_b32_e32 v23, 0x400000, v14
	v_and_b32_e32 v33, 0xffff0000, v16
	v_lshlrev_b32_e32 v16, 16, v16
	v_cndmask_b32_e32 v20, v20, v22, vcc_lo
	v_add3_u32 v22, v24, v14, 0x7fff
	v_bfe_u32 v24, v21, 16, 1
	v_cmp_u_f32_e32 vcc_lo, v14, v14
	v_bfe_u32 v34, v15, 16, 1
	v_mul_f32_e32 v16, v30, v16
	v_and_b32_e32 v19, 0xffff0000, v19
	v_and_b32_e32 v18, 0xffff0000, v18
	v_cndmask_b32_e32 v14, v22, v23, vcc_lo
	v_add3_u32 v22, v24, v21, 0x7fff
	v_mul_f32_e32 v23, v28, v33
	v_or_b32_e32 v24, 0x400000, v21
	v_cmp_u_f32_e32 vcc_lo, v21, v21
	v_add3_u32 v33, v34, v15, 0x7fff
	v_or_b32_e32 v34, 0x400000, v15
	v_bfe_u32 v35, v23, 16, 1
	v_and_b32_e32 v14, 0xffff0000, v14
	v_cndmask_b32_e32 v21, v22, v24, vcc_lo
	v_cmp_u_f32_e32 vcc_lo, v15, v15
	v_or_b32_e32 v24, 0x400000, v23
	v_add3_u32 v22, v35, v23, 0x7fff
	v_and_b32_e32 v20, 0xffff0000, v20
	v_add_f32_e32 v18, v19, v18
	v_cndmask_b32_e32 v15, v33, v34, vcc_lo
	v_bfe_u32 v33, v16, 16, 1
	v_cmp_u_f32_e32 vcc_lo, v23, v23
	v_add_f32_e32 v14, v14, v20
	v_and_b32_e32 v20, 0xffff0000, v5
	v_and_b32_e32 v15, 0xffff0000, v15
	v_add3_u32 v23, v33, v16, 0x7fff
	v_cndmask_b32_e32 v22, v22, v24, vcc_lo
	v_or_b32_e32 v24, 0x400000, v16
	v_cmp_u_f32_e32 vcc_lo, v16, v16
	v_and_b32_e32 v19, 0xffff0000, v21
	v_lshlrev_b32_e32 v5, 16, v5
	v_add_f32_e32 v14, v14, v18
	v_mul_f32_e32 v18, v25, v20
	v_cndmask_b32_e32 v16, v23, v24, vcc_lo
	v_add_f32_e32 v15, v15, v19
	v_mul_f32_e32 v19, v29, v5
	v_and_b32_e32 v20, 0xffff0000, v22
	v_and_b32_e32 v21, 0xffff0000, v6
	v_and_b32_e32 v16, 0xffff0000, v16
	v_bfe_u32 v22, v18, 16, 1
	v_add_f32_e32 v5, v15, v14
	v_bfe_u32 v15, v19, 16, 1
	v_cmp_u_f32_e32 vcc_lo, v18, v18
	v_add_f32_e32 v14, v16, v20
	v_mul_f32_e32 v16, v26, v21
	v_add3_u32 v20, v22, v18, 0x7fff
	v_or_b32_e32 v21, 0x400000, v18
	v_add3_u32 v15, v15, v19, 0x7fff
	v_or_b32_e32 v22, 0x400000, v19
	v_bfe_u32 v23, v16, 16, 1
	v_lshlrev_b32_e32 v6, 16, v6
	v_cndmask_b32_e32 v18, v20, v21, vcc_lo
	v_cmp_u_f32_e32 vcc_lo, v19, v19
	v_or_b32_e32 v20, 0x400000, v16
	v_add3_u32 v19, v23, v16, 0x7fff
	v_mul_f32_e32 v6, v31, v6
	v_and_b32_e32 v21, 0xffff0000, v7
	v_cndmask_b32_e32 v15, v15, v22, vcc_lo
	v_cmp_u_f32_e32 vcc_lo, v16, v16
	v_lshlrev_b32_e32 v7, 16, v7
	v_bfe_u32 v22, v6, 16, 1
	v_and_b32_e32 v18, 0xffff0000, v18
	v_and_b32_e32 v15, 0xffff0000, v15
	v_cndmask_b32_e32 v16, v19, v20, vcc_lo
	v_mul_f32_e32 v19, v27, v21
	v_mul_f32_e32 v7, v32, v7
	v_add3_u32 v20, v22, v6, 0x7fff
	v_or_b32_e32 v21, 0x400000, v6
	v_and_b32_e32 v22, 0xffff0000, v8
	v_bfe_u32 v23, v19, 16, 1
	v_cmp_u_f32_e32 vcc_lo, v6, v6
	v_bfe_u32 v24, v7, 16, 1
	v_lshlrev_b32_e32 v8, 16, v8
	v_and_b32_e32 v16, 0xffff0000, v16
	v_add_f32_e32 v15, v15, v18
	v_cndmask_b32_e32 v6, v20, v21, vcc_lo
	v_mul_f32_e32 v20, v28, v22
	v_add3_u32 v21, v23, v19, 0x7fff
	v_or_b32_e32 v22, 0x400000, v19
	v_cmp_u_f32_e32 vcc_lo, v19, v19
	v_add3_u32 v23, v24, v7, 0x7fff
	v_or_b32_e32 v24, 0x400000, v7
	v_bfe_u32 v33, v20, 16, 1
	v_and_b32_e32 v6, 0xffff0000, v6
	v_cndmask_b32_e32 v19, v21, v22, vcc_lo
	v_cmp_u_f32_e32 vcc_lo, v7, v7
	v_or_b32_e32 v22, 0x400000, v20
	v_add3_u32 v21, v33, v20, 0x7fff
	v_mul_f32_e32 v8, v30, v8
	v_add_f32_e32 v6, v6, v16
	v_cndmask_b32_e32 v7, v23, v24, vcc_lo
	v_cmp_u_f32_e32 vcc_lo, v20, v20
	v_and_b32_e32 v16, 0xffff0000, v1
	v_and_b32_e32 v18, 0xffff0000, v19
	v_add_f32_e32 v6, v6, v15
	v_and_b32_e32 v7, 0xffff0000, v7
	v_cndmask_b32_e32 v20, v21, v22, vcc_lo
	v_bfe_u32 v21, v8, 16, 1
	v_mul_f32_e32 v15, v25, v16
	v_lshlrev_b32_e32 v1, 16, v1
	v_add_f32_e32 v7, v7, v18
	v_cmp_u_f32_e32 vcc_lo, v8, v8
	v_add3_u32 v19, v21, v8, 0x7fff
	v_or_b32_e32 v21, 0x400000, v8
	v_bfe_u32 v16, v15, 16, 1
	v_add_f32_e32 v6, v7, v6
	v_and_b32_e32 v7, 0xffff0000, v2
	v_mul_f32_e32 v1, v29, v1
	v_cndmask_b32_e32 v8, v19, v21, vcc_lo
	v_add3_u32 v16, v16, v15, 0x7fff
	v_or_b32_e32 v18, 0x400000, v15
	v_mul_f32_e32 v7, v26, v7
	v_and_b32_e32 v19, 0xffff0000, v20
	v_bfe_u32 v20, v1, 16, 1
	v_cmp_u_f32_e32 vcc_lo, v15, v15
	v_lshlrev_b32_e32 v2, 16, v2
	v_or_b32_e32 v21, 0x400000, v1
	v_or_b32_e32 v22, 0x400000, v7
	v_and_b32_e32 v8, 0xffff0000, v8
	v_cndmask_b32_e32 v15, v16, v18, vcc_lo
	v_bfe_u32 v16, v7, 16, 1
	v_add3_u32 v18, v20, v1, 0x7fff
	v_and_b32_e32 v20, 0xffff0000, v3
	v_mul_f32_e32 v2, v31, v2
	v_cmp_u_f32_e32 vcc_lo, v1, v1
	v_add3_u32 v16, v16, v7, 0x7fff
	v_lshlrev_b32_e32 v3, 16, v3
	v_mul_f32_e32 v20, v27, v20
	v_and_b32_e32 v15, 0xffff0000, v15
	v_cndmask_b32_e32 v1, v18, v21, vcc_lo
	v_bfe_u32 v18, v2, 16, 1
	v_cmp_u_f32_e32 vcc_lo, v7, v7
	v_and_b32_e32 v21, 0xffff0000, v4
	v_mul_f32_e32 v3, v32, v3
	v_or_b32_e32 v23, 0x400000, v20
	v_add3_u32 v18, v18, v2, 0x7fff
	v_cndmask_b32_e32 v7, v16, v22, vcc_lo
	v_bfe_u32 v16, v20, 16, 1
	v_or_b32_e32 v22, 0x400000, v2
	v_cmp_u_f32_e32 vcc_lo, v2, v2
	v_mul_f32_e32 v21, v28, v21
	v_lshlrev_b32_e32 v4, 16, v4
	v_add3_u32 v16, v16, v20, 0x7fff
	v_and_b32_e32 v1, 0xffff0000, v1
	v_cndmask_b32_e32 v2, v18, v22, vcc_lo
	v_bfe_u32 v18, v3, 16, 1
	v_cmp_u_f32_e32 vcc_lo, v20, v20
	v_bfe_u32 v22, v21, 16, 1
	v_or_b32_e32 v20, 0x400000, v3
	v_mul_f32_e32 v4, v30, v4
	v_add3_u32 v18, v18, v3, 0x7fff
	v_cndmask_b32_e32 v16, v16, v23, vcc_lo
	v_cmp_u_f32_e32 vcc_lo, v3, v3
	v_add3_u32 v22, v22, v21, 0x7fff
	v_or_b32_e32 v23, 0x400000, v21
	v_and_b32_e32 v2, 0xffff0000, v2
	v_and_b32_e32 v7, 0xffff0000, v7
	v_cndmask_b32_e32 v3, v18, v20, vcc_lo
	v_cmp_u_f32_e32 vcc_lo, v21, v21
	v_bfe_u32 v20, v4, 16, 1
	v_add_f32_e32 v1, v1, v15
	v_add_f32_e32 v2, v2, v7
	v_and_b32_e32 v3, 0xffff0000, v3
	v_cndmask_b32_e32 v18, v22, v23, vcc_lo
	s_waitcnt vmcnt(0)
	v_lshlrev_b32_e32 v22, 16, v9
	v_and_b32_e32 v7, 0xffff0000, v16
	v_and_b32_e32 v9, 0xffff0000, v9
	v_add3_u32 v20, v20, v4, 0x7fff
	v_or_b32_e32 v21, 0x400000, v4
	v_mul_f32_e32 v15, v29, v22
	v_cmp_u_f32_e32 vcc_lo, v4, v4
	v_add_f32_e32 v1, v2, v1
	v_add_f32_e32 v3, v3, v7
	v_mul_f32_e32 v7, v25, v9
	v_bfe_u32 v2, v15, 16, 1
	v_lshlrev_b32_e32 v9, 16, v10
	v_cndmask_b32_e32 v4, v20, v21, vcc_lo
	v_or_b32_e32 v16, 0x400000, v15
	v_bfe_u32 v20, v7, 16, 1
	v_add3_u32 v2, v2, v15, 0x7fff
	v_mul_f32_e32 v9, v31, v9
	v_and_b32_e32 v10, 0xffff0000, v10
	v_cmp_u_f32_e32 vcc_lo, v15, v15
	v_add3_u32 v15, v20, v7, 0x7fff
	v_lshlrev_b32_e32 v21, 16, v11
	v_bfe_u32 v20, v9, 16, 1
	v_mul_f32_e32 v10, v26, v10
	v_cndmask_b32_e32 v2, v2, v16, vcc_lo
	v_or_b32_e32 v16, 0x400000, v7
	v_cmp_u_f32_e32 vcc_lo, v7, v7
	v_mul_f32_e32 v21, v32, v21
	v_and_b32_e32 v11, 0xffff0000, v11
	v_lshlrev_b32_e32 v22, 16, v12
	v_and_b32_e32 v12, 0xffff0000, v12
	v_cndmask_b32_e32 v7, v15, v16, vcc_lo
	v_add3_u32 v15, v20, v9, 0x7fff
	v_or_b32_e32 v16, 0x400000, v9
	v_bfe_u32 v20, v10, 16, 1
	v_cmp_u_f32_e32 vcc_lo, v9, v9
	v_mul_f32_e32 v11, v27, v11
	v_mul_f32_e32 v12, v28, v12
	v_and_b32_e32 v7, 0xffff0000, v7
	v_and_b32_e32 v2, 0xffff0000, v2
	v_cndmask_b32_e32 v9, v15, v16, vcc_lo
	v_add3_u32 v15, v20, v10, 0x7fff
	v_or_b32_e32 v16, 0x400000, v10
	v_bfe_u32 v20, v21, 16, 1
	v_cmp_u_f32_e32 vcc_lo, v10, v10
	v_or_b32_e32 v23, 0x400000, v11
	v_bfe_u32 v25, v12, 16, 1
	v_and_b32_e32 v9, 0xffff0000, v9
	v_add_f32_e32 v2, v2, v7
	v_cndmask_b32_e32 v10, v15, v16, vcc_lo
	v_bfe_u32 v15, v11, 16, 1
	v_add3_u32 v16, v20, v21, 0x7fff
	v_mul_f32_e32 v20, v30, v22
	v_or_b32_e32 v22, 0x400000, v21
	v_cmp_u_f32_e32 vcc_lo, v21, v21
	v_add3_u32 v15, v15, v11, 0x7fff
	v_add3_u32 v21, v25, v12, 0x7fff
	v_bfe_u32 v24, v20, 16, 1
	v_and_b32_e32 v10, 0xffff0000, v10
	v_cndmask_b32_e32 v16, v16, v22, vcc_lo
	v_cmp_u_f32_e32 vcc_lo, v11, v11
	v_or_b32_e32 v22, 0x400000, v12
	v_and_b32_e32 v4, 0xffff0000, v4
	v_add_f32_e32 v7, v9, v10
	v_and_b32_e32 v10, 0xffff0000, v16
	v_cndmask_b32_e32 v11, v15, v23, vcc_lo
	v_cmp_u_f32_e32 vcc_lo, v12, v12
	v_add3_u32 v15, v24, v20, 0x7fff
	v_or_b32_e32 v23, 0x400000, v20
	v_add_f32_e32 v2, v7, v2
	v_and_b32_e32 v9, 0xffff0000, v11
	v_cndmask_b32_e32 v12, v21, v22, vcc_lo
	v_cmp_u_f32_e32 vcc_lo, v20, v20
	v_add_f32_e32 v8, v8, v19
	v_add_f32_e32 v1, v3, v1
	;; [unrolled: 1-line block ×3, first 2 shown]
	v_and_b32_e32 v9, 0xffff0000, v12
	v_cndmask_b32_e32 v11, v15, v23, vcc_lo
	v_and_b32_e32 v15, 0xffff0000, v18
	v_add_f32_e32 v5, v14, v5
	v_add_f32_e32 v2, v7, v2
	;; [unrolled: 1-line block ×3, first 2 shown]
	v_and_b32_e32 v10, 0xffff0000, v11
	v_add_f32_e32 v3, v4, v15
	v_add_f32_e32 v6, v8, v6
	v_add_f32_e32 v55, v55, v5
	v_add_f32_e32 v54, v54, v7
	v_add_f32_e32 v4, v10, v9
	v_add_f32_e32 v1, v3, v1
	v_add_f32_e32 v56, v56, v6
	v_add_f32_e32 v2, v4, v2
	v_add_f32_e32 v57, v57, v1
	v_add_f32_e32 v50, v50, v2
.LBB172_37:                             ;   in Loop: Header=BB172_38 Depth=1
	s_or_b32 exec_lo, exec_lo, s17
	v_add_nc_u32_e32 v41, 4, v41
	v_add_co_u32 v42, s0, v42, 16
	v_add_co_ci_u32_e64 v43, null, 0, v43, s0
	v_cmp_le_i32_e32 vcc_lo, s16, v41
	v_add_nc_u32_e32 v46, 0x80, v46
	v_add_nc_u32_e32 v62, 0x200, v62
	s_or_b32 s14, vcc_lo, s14
	s_andn2_b32 exec_lo, exec_lo, s14
	s_cbranch_execz .LBB172_55
.LBB172_38:                             ; =>This Inner Loop Header: Depth=1
	v_sub_nc_u32_e32 v1, 0, v46
	v_max_i32_e32 v1, v46, v1
	v_mul_hi_u32 v2, v1, s12
	v_mul_lo_u32 v3, v2, s11
	v_sub_nc_u32_e32 v1, v1, v3
	v_add_nc_u32_e32 v3, 1, v2
	v_subrev_nc_u32_e32 v4, s11, v1
	v_cmp_le_u32_e32 vcc_lo, s11, v1
	v_cndmask_b32_e32 v2, v2, v3, vcc_lo
	v_cndmask_b32_e32 v1, v1, v4, vcc_lo
	v_ashrrev_i32_e32 v3, 31, v46
	v_add_nc_u32_e32 v4, 1, v2
	v_cmp_le_u32_e32 vcc_lo, s11, v1
	v_xor_b32_e32 v3, s19, v3
	v_cndmask_b32_e32 v1, v2, v4, vcc_lo
	v_xor_b32_e32 v1, v1, v3
	v_sub_nc_u32_e32 v1, v1, v3
	v_add_nc_u32_e32 v2, s33, v1
	v_cmp_lt_i32_e64 s0, s5, v1
	v_sub_nc_u32_e32 v3, 0, v2
	v_max_i32_e32 v3, v2, v3
	v_ashrrev_i32_e32 v2, 31, v2
	v_mul_hi_u32 v4, v3, v63
	v_mul_lo_u32 v4, v4, s6
	v_sub_nc_u32_e32 v3, v3, v4
	v_subrev_nc_u32_e32 v4, s6, v3
	v_cmp_le_u32_e32 vcc_lo, s6, v3
	v_cndmask_b32_e32 v3, v3, v4, vcc_lo
	v_subrev_nc_u32_e32 v4, s6, v3
	v_cmp_le_u32_e32 vcc_lo, s6, v3
	v_cndmask_b32_e32 v3, v3, v4, vcc_lo
	v_xor_b32_e32 v3, v3, v2
	v_sub_nc_u32_e32 v2, v3, v2
	v_cmp_eq_u32_e32 vcc_lo, 0, v2
	s_or_b32 s0, vcc_lo, s0
	s_and_saveexec_b32 s17, s0
	s_cbranch_execz .LBB172_37
; %bb.39:                               ;   in Loop: Header=BB172_38 Depth=1
	global_load_dword v1, v[42:43], off
	v_add_nc_u32_e32 v68, v59, v46
	v_cmp_eq_u32_e64 s0, s9, v41
	v_add_nc_u32_e32 v71, 1, v68
	v_or_b32_e32 v69, 3, v68
	v_or_b32_e32 v70, 2, v68
	;; [unrolled: 1-line block ×6, first 2 shown]
	s_waitcnt vmcnt(0)
	v_mad_i64_i32 v[1:2], null, v1, s13, 0
	v_lshlrev_b64 v[1:2], 1, v[1:2]
	v_add_co_u32 v9, vcc_lo, v60, v1
	v_add_co_ci_u32_e64 v10, null, v61, v2, vcc_lo
	global_load_dwordx4 v[1:4], v[9:10], off
	ds_read2_b64 v[29:32], v62 offset1:1
	ds_read2_b64 v[25:28], v62 offset0:2 offset1:3
	s_and_saveexec_b32 s18, s0
	s_cbranch_execnz .LBB172_48
; %bb.40:                               ;   in Loop: Header=BB172_38 Depth=1
	s_or_b32 exec_lo, exec_lo, s18
	global_load_dwordx4 v[5:8], v[9:10], off offset:512
	s_and_saveexec_b32 s18, s0
	s_cbranch_execnz .LBB172_49
.LBB172_41:                             ;   in Loop: Header=BB172_38 Depth=1
	s_or_b32 exec_lo, exec_lo, s18
	global_load_dwordx4 v[13:16], v[9:10], off offset:1024
	s_and_saveexec_b32 s18, s0
	s_cbranch_execnz .LBB172_50
.LBB172_42:                             ;   in Loop: Header=BB172_38 Depth=1
	s_or_b32 exec_lo, exec_lo, s18
	global_load_dwordx4 v[17:20], v[9:10], off offset:1536
	s_and_saveexec_b32 s18, s0
	s_cbranch_execz .LBB172_44
.LBB172_43:                             ;   in Loop: Header=BB172_38 Depth=1
	v_cmp_gt_i32_e64 s1, s27, v68
	v_cmp_gt_i32_e32 vcc_lo, s15, v71
	v_cmp_gt_i32_e64 s2, s27, v70
	s_waitcnt vmcnt(0)
	v_cndmask_b32_e64 v11, 0, v17, s1
	v_cmp_gt_i32_e64 s1, s15, v69
	v_cndmask_b32_sdwa v17, v58, v17, vcc_lo dst_sel:DWORD dst_unused:UNUSED_PAD src0_sel:DWORD src1_sel:WORD_1
	v_cndmask_b32_e64 v12, 0, v18, s2
	v_cmp_gt_i32_e64 s2, s15, v67
	s_mov_b32 vcc_lo, s1
	v_cmp_gt_i32_e64 s1, s15, v65
	v_cndmask_b32_sdwa v18, v58, v18, vcc_lo dst_sel:DWORD dst_unused:UNUSED_PAD src0_sel:DWORD src1_sel:WORD_1
	v_cmp_gt_i32_e32 vcc_lo, s27, v66
	v_perm_b32 v17, v17, v11, 0x5040100
	v_perm_b32 v18, v18, v12, 0x5040100
	v_cndmask_b32_e32 v21, 0, v19, vcc_lo
	s_mov_b32 vcc_lo, s2
	v_cndmask_b32_sdwa v19, v58, v19, vcc_lo dst_sel:DWORD dst_unused:UNUSED_PAD src0_sel:DWORD src1_sel:WORD_1
	v_cmp_gt_i32_e32 vcc_lo, s27, v64
	v_perm_b32 v19, v19, v21, 0x5040100
	v_cndmask_b32_e32 v22, 0, v20, vcc_lo
	s_mov_b32 vcc_lo, s1
	v_cndmask_b32_sdwa v20, v58, v20, vcc_lo dst_sel:DWORD dst_unused:UNUSED_PAD src0_sel:DWORD src1_sel:WORD_1
	v_perm_b32 v20, v20, v22, 0x5040100
.LBB172_44:                             ;   in Loop: Header=BB172_38 Depth=1
	s_or_b32 exec_lo, exec_lo, s18
	v_add_co_u32 v9, vcc_lo, 0x800, v9
	v_add_co_ci_u32_e64 v10, null, 0, v10, vcc_lo
	global_load_dwordx4 v[21:24], v[9:10], off
	s_and_saveexec_b32 s18, s0
	s_cbranch_execnz .LBB172_51
; %bb.45:                               ;   in Loop: Header=BB172_38 Depth=1
	s_or_b32 exec_lo, exec_lo, s18
	global_load_dwordx4 v[33:36], v[9:10], off offset:512
	s_and_saveexec_b32 s18, s0
	s_cbranch_execnz .LBB172_52
.LBB172_46:                             ;   in Loop: Header=BB172_38 Depth=1
	s_or_b32 exec_lo, exec_lo, s18
	global_load_dwordx4 v[37:40], v[9:10], off offset:1024
	s_and_saveexec_b32 s18, s0
	s_cbranch_execnz .LBB172_53
.LBB172_47:                             ;   in Loop: Header=BB172_38 Depth=1
	s_or_b32 exec_lo, exec_lo, s18
	global_load_dwordx4 v[9:12], v[9:10], off offset:1536
	s_and_saveexec_b32 s2, s0
	s_cbranch_execz .LBB172_36
	s_branch .LBB172_54
.LBB172_48:                             ;   in Loop: Header=BB172_38 Depth=1
	v_cmp_gt_i32_e64 s1, s27, v68
	v_cmp_gt_i32_e32 vcc_lo, s15, v71
	v_cmp_gt_i32_e64 s2, s27, v70
	s_waitcnt vmcnt(0)
	v_cndmask_b32_e64 v5, 0, v1, s1
	v_cmp_gt_i32_e64 s1, s15, v69
	v_cndmask_b32_sdwa v1, v58, v1, vcc_lo dst_sel:DWORD dst_unused:UNUSED_PAD src0_sel:DWORD src1_sel:WORD_1
	v_cndmask_b32_e64 v6, 0, v2, s2
	v_cmp_gt_i32_e64 s2, s15, v67
	s_mov_b32 vcc_lo, s1
	v_cmp_gt_i32_e64 s1, s15, v65
	v_cndmask_b32_sdwa v2, v58, v2, vcc_lo dst_sel:DWORD dst_unused:UNUSED_PAD src0_sel:DWORD src1_sel:WORD_1
	v_cmp_gt_i32_e32 vcc_lo, s27, v66
	v_perm_b32 v1, v1, v5, 0x5040100
	v_perm_b32 v2, v2, v6, 0x5040100
	v_cndmask_b32_e32 v7, 0, v3, vcc_lo
	s_mov_b32 vcc_lo, s2
	v_cndmask_b32_sdwa v3, v58, v3, vcc_lo dst_sel:DWORD dst_unused:UNUSED_PAD src0_sel:DWORD src1_sel:WORD_1
	v_cmp_gt_i32_e32 vcc_lo, s27, v64
	v_perm_b32 v3, v3, v7, 0x5040100
	v_cndmask_b32_e32 v8, 0, v4, vcc_lo
	s_mov_b32 vcc_lo, s1
	v_cndmask_b32_sdwa v4, v58, v4, vcc_lo dst_sel:DWORD dst_unused:UNUSED_PAD src0_sel:DWORD src1_sel:WORD_1
	v_perm_b32 v4, v4, v8, 0x5040100
	s_or_b32 exec_lo, exec_lo, s18
	global_load_dwordx4 v[5:8], v[9:10], off offset:512
	s_and_saveexec_b32 s18, s0
	s_cbranch_execz .LBB172_41
.LBB172_49:                             ;   in Loop: Header=BB172_38 Depth=1
	v_cmp_gt_i32_e64 s1, s27, v68
	v_cmp_gt_i32_e32 vcc_lo, s15, v71
	v_cmp_gt_i32_e64 s2, s27, v70
	s_waitcnt vmcnt(0)
	v_cndmask_b32_e64 v11, 0, v5, s1
	v_cmp_gt_i32_e64 s1, s15, v69
	v_cndmask_b32_sdwa v5, v58, v5, vcc_lo dst_sel:DWORD dst_unused:UNUSED_PAD src0_sel:DWORD src1_sel:WORD_1
	v_cndmask_b32_e64 v12, 0, v6, s2
	v_cmp_gt_i32_e64 s2, s15, v67
	s_mov_b32 vcc_lo, s1
	v_cmp_gt_i32_e64 s1, s15, v65
	v_cndmask_b32_sdwa v6, v58, v6, vcc_lo dst_sel:DWORD dst_unused:UNUSED_PAD src0_sel:DWORD src1_sel:WORD_1
	v_cmp_gt_i32_e32 vcc_lo, s27, v66
	v_perm_b32 v5, v5, v11, 0x5040100
	v_perm_b32 v6, v6, v12, 0x5040100
	v_cndmask_b32_e32 v13, 0, v7, vcc_lo
	s_mov_b32 vcc_lo, s2
	v_cndmask_b32_sdwa v7, v58, v7, vcc_lo dst_sel:DWORD dst_unused:UNUSED_PAD src0_sel:DWORD src1_sel:WORD_1
	v_cmp_gt_i32_e32 vcc_lo, s27, v64
	v_perm_b32 v7, v7, v13, 0x5040100
	v_cndmask_b32_e32 v14, 0, v8, vcc_lo
	s_mov_b32 vcc_lo, s1
	v_cndmask_b32_sdwa v8, v58, v8, vcc_lo dst_sel:DWORD dst_unused:UNUSED_PAD src0_sel:DWORD src1_sel:WORD_1
	v_perm_b32 v8, v8, v14, 0x5040100
	s_or_b32 exec_lo, exec_lo, s18
	global_load_dwordx4 v[13:16], v[9:10], off offset:1024
	s_and_saveexec_b32 s18, s0
	s_cbranch_execz .LBB172_42
.LBB172_50:                             ;   in Loop: Header=BB172_38 Depth=1
	v_cmp_gt_i32_e64 s1, s27, v68
	v_cmp_gt_i32_e32 vcc_lo, s15, v71
	v_cmp_gt_i32_e64 s2, s27, v70
	s_waitcnt vmcnt(0)
	v_cndmask_b32_e64 v11, 0, v13, s1
	v_cmp_gt_i32_e64 s1, s15, v69
	v_cndmask_b32_sdwa v13, v58, v13, vcc_lo dst_sel:DWORD dst_unused:UNUSED_PAD src0_sel:DWORD src1_sel:WORD_1
	v_cndmask_b32_e64 v12, 0, v14, s2
	v_cmp_gt_i32_e64 s2, s15, v67
	s_mov_b32 vcc_lo, s1
	v_cmp_gt_i32_e64 s1, s15, v65
	v_cndmask_b32_sdwa v14, v58, v14, vcc_lo dst_sel:DWORD dst_unused:UNUSED_PAD src0_sel:DWORD src1_sel:WORD_1
	v_cmp_gt_i32_e32 vcc_lo, s27, v66
	v_perm_b32 v13, v13, v11, 0x5040100
	v_perm_b32 v14, v14, v12, 0x5040100
	v_cndmask_b32_e32 v17, 0, v15, vcc_lo
	s_mov_b32 vcc_lo, s2
	v_cndmask_b32_sdwa v15, v58, v15, vcc_lo dst_sel:DWORD dst_unused:UNUSED_PAD src0_sel:DWORD src1_sel:WORD_1
	v_cmp_gt_i32_e32 vcc_lo, s27, v64
	v_perm_b32 v15, v15, v17, 0x5040100
	v_cndmask_b32_e32 v18, 0, v16, vcc_lo
	s_mov_b32 vcc_lo, s1
	v_cndmask_b32_sdwa v16, v58, v16, vcc_lo dst_sel:DWORD dst_unused:UNUSED_PAD src0_sel:DWORD src1_sel:WORD_1
	v_perm_b32 v16, v16, v18, 0x5040100
	s_or_b32 exec_lo, exec_lo, s18
	global_load_dwordx4 v[17:20], v[9:10], off offset:1536
	s_and_saveexec_b32 s18, s0
	s_cbranch_execnz .LBB172_43
	s_branch .LBB172_44
.LBB172_51:                             ;   in Loop: Header=BB172_38 Depth=1
	v_cmp_gt_i32_e64 s1, s27, v68
	v_cmp_gt_i32_e32 vcc_lo, s15, v71
	v_cmp_gt_i32_e64 s2, s27, v70
	s_waitcnt vmcnt(0)
	v_cndmask_b32_e64 v11, 0, v21, s1
	v_cmp_gt_i32_e64 s1, s15, v69
	v_cndmask_b32_sdwa v21, v58, v21, vcc_lo dst_sel:DWORD dst_unused:UNUSED_PAD src0_sel:DWORD src1_sel:WORD_1
	v_cndmask_b32_e64 v12, 0, v22, s2
	v_cmp_gt_i32_e64 s2, s15, v67
	s_mov_b32 vcc_lo, s1
	v_cmp_gt_i32_e64 s1, s15, v65
	v_cndmask_b32_sdwa v22, v58, v22, vcc_lo dst_sel:DWORD dst_unused:UNUSED_PAD src0_sel:DWORD src1_sel:WORD_1
	v_cmp_gt_i32_e32 vcc_lo, s27, v66
	v_perm_b32 v21, v21, v11, 0x5040100
	v_perm_b32 v22, v22, v12, 0x5040100
	v_cndmask_b32_e32 v33, 0, v23, vcc_lo
	s_mov_b32 vcc_lo, s2
	v_cndmask_b32_sdwa v23, v58, v23, vcc_lo dst_sel:DWORD dst_unused:UNUSED_PAD src0_sel:DWORD src1_sel:WORD_1
	v_cmp_gt_i32_e32 vcc_lo, s27, v64
	v_perm_b32 v23, v23, v33, 0x5040100
	v_cndmask_b32_e32 v34, 0, v24, vcc_lo
	s_mov_b32 vcc_lo, s1
	v_cndmask_b32_sdwa v24, v58, v24, vcc_lo dst_sel:DWORD dst_unused:UNUSED_PAD src0_sel:DWORD src1_sel:WORD_1
	v_perm_b32 v24, v24, v34, 0x5040100
	s_or_b32 exec_lo, exec_lo, s18
	global_load_dwordx4 v[33:36], v[9:10], off offset:512
	s_and_saveexec_b32 s18, s0
	s_cbranch_execz .LBB172_46
.LBB172_52:                             ;   in Loop: Header=BB172_38 Depth=1
	v_cmp_gt_i32_e64 s1, s27, v68
	v_cmp_gt_i32_e32 vcc_lo, s15, v71
	v_cmp_gt_i32_e64 s2, s27, v70
	s_waitcnt vmcnt(0)
	v_cndmask_b32_e64 v11, 0, v33, s1
	v_cmp_gt_i32_e64 s1, s15, v69
	v_cndmask_b32_sdwa v33, v58, v33, vcc_lo dst_sel:DWORD dst_unused:UNUSED_PAD src0_sel:DWORD src1_sel:WORD_1
	v_cndmask_b32_e64 v12, 0, v34, s2
	v_cmp_gt_i32_e64 s2, s15, v67
	s_mov_b32 vcc_lo, s1
	v_cmp_gt_i32_e64 s1, s15, v65
	v_cndmask_b32_sdwa v34, v58, v34, vcc_lo dst_sel:DWORD dst_unused:UNUSED_PAD src0_sel:DWORD src1_sel:WORD_1
	v_cmp_gt_i32_e32 vcc_lo, s27, v66
	v_perm_b32 v33, v33, v11, 0x5040100
	v_perm_b32 v34, v34, v12, 0x5040100
	v_cndmask_b32_e32 v37, 0, v35, vcc_lo
	s_mov_b32 vcc_lo, s2
	v_cndmask_b32_sdwa v35, v58, v35, vcc_lo dst_sel:DWORD dst_unused:UNUSED_PAD src0_sel:DWORD src1_sel:WORD_1
	v_cmp_gt_i32_e32 vcc_lo, s27, v64
	v_perm_b32 v35, v35, v37, 0x5040100
	v_cndmask_b32_e32 v38, 0, v36, vcc_lo
	s_mov_b32 vcc_lo, s1
	v_cndmask_b32_sdwa v36, v58, v36, vcc_lo dst_sel:DWORD dst_unused:UNUSED_PAD src0_sel:DWORD src1_sel:WORD_1
	v_perm_b32 v36, v36, v38, 0x5040100
	s_or_b32 exec_lo, exec_lo, s18
	global_load_dwordx4 v[37:40], v[9:10], off offset:1024
	s_and_saveexec_b32 s18, s0
	s_cbranch_execz .LBB172_47
.LBB172_53:                             ;   in Loop: Header=BB172_38 Depth=1
	v_cmp_gt_i32_e64 s1, s27, v68
	v_cmp_gt_i32_e32 vcc_lo, s15, v71
	v_cmp_gt_i32_e64 s2, s27, v70
	s_waitcnt vmcnt(0)
	v_cndmask_b32_e64 v11, 0, v37, s1
	v_cmp_gt_i32_e64 s1, s15, v69
	v_cndmask_b32_sdwa v37, v58, v37, vcc_lo dst_sel:DWORD dst_unused:UNUSED_PAD src0_sel:DWORD src1_sel:WORD_1
	v_cndmask_b32_e64 v12, 0, v38, s2
	v_cmp_gt_i32_e64 s2, s15, v67
	s_mov_b32 vcc_lo, s1
	v_cmp_gt_i32_e64 s1, s15, v65
	v_cndmask_b32_sdwa v38, v58, v38, vcc_lo dst_sel:DWORD dst_unused:UNUSED_PAD src0_sel:DWORD src1_sel:WORD_1
	v_cmp_gt_i32_e32 vcc_lo, s27, v66
	v_perm_b32 v37, v37, v11, 0x5040100
	v_perm_b32 v38, v38, v12, 0x5040100
	v_cndmask_b32_e32 v72, 0, v39, vcc_lo
	s_mov_b32 vcc_lo, s2
	v_cndmask_b32_sdwa v39, v58, v39, vcc_lo dst_sel:DWORD dst_unused:UNUSED_PAD src0_sel:DWORD src1_sel:WORD_1
	v_cmp_gt_i32_e32 vcc_lo, s27, v64
	v_perm_b32 v39, v39, v72, 0x5040100
	v_cndmask_b32_e32 v73, 0, v40, vcc_lo
	s_mov_b32 vcc_lo, s1
	v_cndmask_b32_sdwa v40, v58, v40, vcc_lo dst_sel:DWORD dst_unused:UNUSED_PAD src0_sel:DWORD src1_sel:WORD_1
	v_perm_b32 v40, v40, v73, 0x5040100
	s_or_b32 exec_lo, exec_lo, s18
	global_load_dwordx4 v[9:12], v[9:10], off offset:1536
	s_and_saveexec_b32 s2, s0
	s_cbranch_execz .LBB172_36
.LBB172_54:                             ;   in Loop: Header=BB172_38 Depth=1
	v_cmp_gt_i32_e64 s0, s27, v68
	v_cmp_gt_i32_e32 vcc_lo, s15, v71
	v_cmp_gt_i32_e64 s1, s27, v70
	s_waitcnt vmcnt(0)
	v_cndmask_b32_e64 v68, 0, v9, s0
	v_cmp_gt_i32_e64 s0, s15, v69
	v_cndmask_b32_sdwa v9, v58, v9, vcc_lo dst_sel:DWORD dst_unused:UNUSED_PAD src0_sel:DWORD src1_sel:WORD_1
	v_cndmask_b32_e64 v69, 0, v10, s1
	v_cmp_gt_i32_e64 s1, s15, v67
	s_mov_b32 vcc_lo, s0
	v_cmp_gt_i32_e64 s0, s15, v65
	v_cndmask_b32_sdwa v10, v58, v10, vcc_lo dst_sel:DWORD dst_unused:UNUSED_PAD src0_sel:DWORD src1_sel:WORD_1
	v_cmp_gt_i32_e32 vcc_lo, s27, v66
	v_perm_b32 v9, v9, v68, 0x5040100
	v_perm_b32 v10, v10, v69, 0x5040100
	v_cndmask_b32_e32 v66, 0, v11, vcc_lo
	s_mov_b32 vcc_lo, s1
	v_cndmask_b32_sdwa v11, v58, v11, vcc_lo dst_sel:DWORD dst_unused:UNUSED_PAD src0_sel:DWORD src1_sel:WORD_1
	v_cmp_gt_i32_e32 vcc_lo, s27, v64
	v_perm_b32 v11, v11, v66, 0x5040100
	v_cndmask_b32_e32 v64, 0, v12, vcc_lo
	s_mov_b32 vcc_lo, s0
	v_cndmask_b32_sdwa v12, v58, v12, vcc_lo dst_sel:DWORD dst_unused:UNUSED_PAD src0_sel:DWORD src1_sel:WORD_1
	v_perm_b32 v12, v12, v64, 0x5040100
	s_branch .LBB172_36
.LBB172_55:
	s_or_b32 exec_lo, exec_lo, s14
.LBB172_56:
	s_or_b32 exec_lo, exec_lo, s3
	ds_bpermute_b32 v1, v48, v57
	ds_bpermute_b32 v2, v48, v56
	;; [unrolled: 1-line block ×8, first 2 shown]
	v_lshrrev_b32_e32 v9, 2, v45
	v_lshlrev_b32_e32 v11, 8, v44
	v_and_b32_e32 v22, 0x3c3, v0
	s_mov_b32 s0, exec_lo
	s_waitcnt lgkmcnt(0)
	s_waitcnt_vscnt null, 0x0
	s_barrier
	buffer_gl0_inv
	v_add_f32_e32 v1, v57, v1
	v_add_f32_e32 v2, v56, v2
	;; [unrolled: 1-line block ×8, first 2 shown]
	ds_bpermute_b32 v5, v47, v1
	ds_bpermute_b32 v6, v47, v2
	;; [unrolled: 1-line block ×8, first 2 shown]
	v_and_b32_e32 v7, 28, v45
	v_add_nc_u32_e32 v10, 0xa0, v7
	s_waitcnt lgkmcnt(7)
	v_add_f32_e32 v8, v1, v5
	s_waitcnt lgkmcnt(6)
	v_add_f32_e32 v7, v2, v6
	;; [unrolled: 2-line block ×8, first 2 shown]
	v_cmpx_eq_u32_e32 64, v22
	s_cbranch_execz .LBB172_58
; %bb.57:
	v_add_nc_u32_e32 v12, v10, v11
	v_add_nc_u32_e32 v13, 0xfffffe00, v12
	v_add_nc_u32_e32 v16, 0xfffffe60, v12
	v_add_nc_u32_e32 v14, 0xfffffe20, v12
	v_add_nc_u32_e32 v17, 0xfffffe80, v12
	v_add_nc_u32_e32 v15, 0xfffffe40, v12
	v_add_nc_u32_e32 v18, 0xfffffea0, v12
	v_add_nc_u32_e32 v19, 0xfffffec0, v12
	v_add_nc_u32_e32 v12, 0xfffffee0, v12
	ds_write_b32 v13, v8
	ds_write_b32 v14, v7
	;; [unrolled: 1-line block ×8, first 2 shown]
.LBB172_58:
	s_or_b32 exec_lo, exec_lo, s0
	v_lshlrev_b32_e32 v9, 2, v9
	s_mov_b32 s1, exec_lo
	v_cmp_eq_u32_e32 vcc_lo, 0, v49
	s_waitcnt lgkmcnt(0)
	s_barrier
	v_add3_u32 v9, 0xa0, v11, v9
	buffer_gl0_inv
	v_cmpx_gt_u32_e32 64, v0
	s_cbranch_execz .LBB172_69
; %bb.59:
	s_and_saveexec_b32 s0, vcc_lo
	s_cbranch_execnz .LBB172_85
; %bb.60:
	s_or_b32 exec_lo, exec_lo, s0
	s_and_saveexec_b32 s0, vcc_lo
	s_cbranch_execnz .LBB172_86
.LBB172_61:
	s_or_b32 exec_lo, exec_lo, s0
	s_and_saveexec_b32 s0, vcc_lo
	s_cbranch_execnz .LBB172_87
.LBB172_62:
	s_or_b32 exec_lo, exec_lo, s0
	s_and_saveexec_b32 s0, vcc_lo
	s_cbranch_execnz .LBB172_88
.LBB172_63:
	s_or_b32 exec_lo, exec_lo, s0
	s_and_saveexec_b32 s0, vcc_lo
	s_cbranch_execnz .LBB172_89
.LBB172_64:
	s_or_b32 exec_lo, exec_lo, s0
	s_and_saveexec_b32 s0, vcc_lo
	s_cbranch_execnz .LBB172_90
.LBB172_65:
	s_or_b32 exec_lo, exec_lo, s0
	s_and_saveexec_b32 s0, vcc_lo
	s_cbranch_execnz .LBB172_91
.LBB172_66:
	s_or_b32 exec_lo, exec_lo, s0
	s_and_saveexec_b32 s0, vcc_lo
	s_cbranch_execz .LBB172_68
.LBB172_67:
	ds_read_b32 v11, v9 offset:224
	s_waitcnt lgkmcnt(0)
	v_add_f32_e32 v1, v1, v11
.LBB172_68:
	s_or_b32 exec_lo, exec_lo, s0
.LBB172_69:
	s_or_b32 exec_lo, exec_lo, s1
	v_and_b32_e32 v11, 0x3e3, v0
	s_mov_b32 s1, exec_lo
	s_barrier
	buffer_gl0_inv
	v_cmpx_eq_u32_e32 32, v11
	s_cbranch_execz .LBB172_71
; %bb.70:
	ds_write2_b32 v10, v8, v7 offset1:8
	ds_write2_b32 v10, v6, v5 offset0:16 offset1:24
	ds_write2_b32 v10, v4, v3 offset0:32 offset1:40
	;; [unrolled: 1-line block ×3, first 2 shown]
.LBB172_71:
	s_or_b32 exec_lo, exec_lo, s1
	s_mov_b32 s1, exec_lo
	s_waitcnt lgkmcnt(0)
	s_barrier
	buffer_gl0_inv
	v_cmpx_gt_u32_e32 32, v0
	s_cbranch_execz .LBB172_82
; %bb.72:
	s_and_saveexec_b32 s0, vcc_lo
	s_cbranch_execnz .LBB172_92
; %bb.73:
	s_or_b32 exec_lo, exec_lo, s0
	s_and_saveexec_b32 s0, vcc_lo
	s_cbranch_execnz .LBB172_93
.LBB172_74:
	s_or_b32 exec_lo, exec_lo, s0
	s_and_saveexec_b32 s0, vcc_lo
	s_cbranch_execnz .LBB172_94
.LBB172_75:
	s_or_b32 exec_lo, exec_lo, s0
	s_and_saveexec_b32 s0, vcc_lo
	s_cbranch_execnz .LBB172_95
.LBB172_76:
	s_or_b32 exec_lo, exec_lo, s0
	s_and_saveexec_b32 s0, vcc_lo
	s_cbranch_execnz .LBB172_96
.LBB172_77:
	s_or_b32 exec_lo, exec_lo, s0
	s_and_saveexec_b32 s0, vcc_lo
	s_cbranch_execnz .LBB172_97
.LBB172_78:
	s_or_b32 exec_lo, exec_lo, s0
	s_and_saveexec_b32 s0, vcc_lo
	s_cbranch_execnz .LBB172_98
.LBB172_79:
	s_or_b32 exec_lo, exec_lo, s0
	s_and_saveexec_b32 s0, vcc_lo
	s_cbranch_execz .LBB172_81
.LBB172_80:
	ds_read_b32 v9, v9 offset:224
	s_waitcnt lgkmcnt(0)
	v_add_f32_e32 v1, v1, v9
.LBB172_81:
	s_or_b32 exec_lo, exec_lo, s0
.LBB172_82:
	s_or_b32 exec_lo, exec_lo, s1
	s_barrier
	buffer_gl0_inv
	s_mov_b32 s0, exec_lo
	v_cmpx_eq_u32_e32 0, v11
	s_cbranch_execz .LBB172_84
; %bb.83:
	s_lshl_b32 s0, s4, 6
	s_mul_i32 s2, s7, s10
	s_ashr_i32 s1, s0, 31
	v_bfe_u32 v9, v8, 16, 1
	s_lshl_b64 s[0:1], s[0:1], 1
	v_or_b32_e32 v10, 0x400000, v8
	s_add_u32 s4, s24, s0
	s_addc_u32 s5, s25, s1
	s_ashr_i32 s3, s2, 31
	v_add3_u32 v9, v9, v8, 0x7fff
	s_lshl_b64 s[0:1], s[2:3], 1
	v_bfe_u32 v11, v7, 16, 1
	s_add_u32 s2, s4, s0
	v_cmp_u_f32_e32 vcc_lo, v8, v8
	s_addc_u32 s3, s5, s1
	s_lshl_b32 s0, s8, 6
	v_lshrrev_b32_e32 v0, 1, v0
	s_ashr_i32 s1, s0, 31
	v_cndmask_b32_e32 v8, v9, v10, vcc_lo
	s_lshl_b64 s[0:1], s[0:1], 1
	v_bfe_u32 v9, v6, 16, 1
	v_add3_u32 v10, v11, v7, 0x7fff
	v_or_b32_e32 v11, 0x400000, v7
	v_cmp_u_f32_e32 vcc_lo, v7, v7
	s_add_u32 s0, s2, s0
	s_addc_u32 s1, s3, s1
	global_store_short_d16_hi v0, v8, s[0:1]
	v_add3_u32 v8, v9, v6, 0x7fff
	v_or_b32_e32 v9, 0x400000, v6
	v_cndmask_b32_e32 v7, v10, v11, vcc_lo
	v_bfe_u32 v10, v5, 16, 1
	v_cmp_u_f32_e32 vcc_lo, v6, v6
	v_or_b32_e32 v11, 0x400000, v1
	global_store_short_d16_hi v0, v7, s[0:1] offset:16
	v_add3_u32 v7, v10, v5, 0x7fff
	v_cndmask_b32_e32 v6, v8, v9, vcc_lo
	v_bfe_u32 v8, v4, 16, 1
	v_or_b32_e32 v9, 0x400000, v5
	v_cmp_u_f32_e32 vcc_lo, v5, v5
	v_or_b32_e32 v10, 0x400000, v2
	global_store_short_d16_hi v0, v6, s[0:1] offset:32
	v_add3_u32 v6, v8, v4, 0x7fff
	v_or_b32_e32 v8, 0x400000, v4
	v_cndmask_b32_e32 v5, v7, v9, vcc_lo
	v_bfe_u32 v7, v3, 16, 1
	v_cmp_u_f32_e32 vcc_lo, v4, v4
	v_bfe_u32 v9, v2, 16, 1
	v_add3_u32 v7, v7, v3, 0x7fff
	v_cndmask_b32_e32 v4, v6, v8, vcc_lo
	v_or_b32_e32 v8, 0x400000, v3
	v_cmp_u_f32_e32 vcc_lo, v3, v3
	v_bfe_u32 v6, v1, 16, 1
	v_add3_u32 v9, v9, v2, 0x7fff
	v_cndmask_b32_e32 v3, v7, v8, vcc_lo
	v_cmp_u_f32_e32 vcc_lo, v2, v2
	v_add3_u32 v6, v6, v1, 0x7fff
	v_cndmask_b32_e32 v2, v9, v10, vcc_lo
	v_cmp_u_f32_e32 vcc_lo, v1, v1
	v_cndmask_b32_e32 v1, v6, v11, vcc_lo
	global_store_short_d16_hi v0, v5, s[0:1] offset:48
	global_store_short_d16_hi v0, v4, s[0:1] offset:64
	;; [unrolled: 1-line block ×5, first 2 shown]
.LBB172_84:
	s_endpgm
.LBB172_85:
	ds_read_b32 v11, v9
	s_waitcnt lgkmcnt(0)
	v_add_f32_e32 v8, v8, v11
	s_or_b32 exec_lo, exec_lo, s0
	s_and_saveexec_b32 s0, vcc_lo
	s_cbranch_execz .LBB172_61
.LBB172_86:
	ds_read_b32 v11, v9 offset:32
	s_waitcnt lgkmcnt(0)
	v_add_f32_e32 v7, v7, v11
	s_or_b32 exec_lo, exec_lo, s0
	s_and_saveexec_b32 s0, vcc_lo
	s_cbranch_execz .LBB172_62
.LBB172_87:
	ds_read_b32 v11, v9 offset:64
	s_waitcnt lgkmcnt(0)
	v_add_f32_e32 v6, v6, v11
	s_or_b32 exec_lo, exec_lo, s0
	s_and_saveexec_b32 s0, vcc_lo
	s_cbranch_execz .LBB172_63
.LBB172_88:
	ds_read_b32 v11, v9 offset:96
	s_waitcnt lgkmcnt(0)
	v_add_f32_e32 v5, v5, v11
	s_or_b32 exec_lo, exec_lo, s0
	s_and_saveexec_b32 s0, vcc_lo
	s_cbranch_execz .LBB172_64
.LBB172_89:
	ds_read_b32 v11, v9 offset:128
	s_waitcnt lgkmcnt(0)
	v_add_f32_e32 v4, v4, v11
	s_or_b32 exec_lo, exec_lo, s0
	s_and_saveexec_b32 s0, vcc_lo
	s_cbranch_execz .LBB172_65
.LBB172_90:
	ds_read_b32 v11, v9 offset:160
	s_waitcnt lgkmcnt(0)
	v_add_f32_e32 v3, v3, v11
	s_or_b32 exec_lo, exec_lo, s0
	s_and_saveexec_b32 s0, vcc_lo
	s_cbranch_execz .LBB172_66
.LBB172_91:
	ds_read_b32 v11, v9 offset:192
	s_waitcnt lgkmcnt(0)
	v_add_f32_e32 v2, v2, v11
	s_or_b32 exec_lo, exec_lo, s0
	s_and_saveexec_b32 s0, vcc_lo
	s_cbranch_execnz .LBB172_67
	s_branch .LBB172_68
.LBB172_92:
	ds_read_b32 v10, v9
	s_waitcnt lgkmcnt(0)
	v_add_f32_e32 v8, v8, v10
	s_or_b32 exec_lo, exec_lo, s0
	s_and_saveexec_b32 s0, vcc_lo
	s_cbranch_execz .LBB172_74
.LBB172_93:
	ds_read_b32 v10, v9 offset:32
	s_waitcnt lgkmcnt(0)
	v_add_f32_e32 v7, v7, v10
	s_or_b32 exec_lo, exec_lo, s0
	s_and_saveexec_b32 s0, vcc_lo
	s_cbranch_execz .LBB172_75
.LBB172_94:
	ds_read_b32 v10, v9 offset:64
	s_waitcnt lgkmcnt(0)
	v_add_f32_e32 v6, v6, v10
	s_or_b32 exec_lo, exec_lo, s0
	s_and_saveexec_b32 s0, vcc_lo
	s_cbranch_execz .LBB172_76
.LBB172_95:
	ds_read_b32 v10, v9 offset:96
	s_waitcnt lgkmcnt(0)
	v_add_f32_e32 v5, v5, v10
	s_or_b32 exec_lo, exec_lo, s0
	s_and_saveexec_b32 s0, vcc_lo
	s_cbranch_execz .LBB172_77
.LBB172_96:
	ds_read_b32 v10, v9 offset:128
	s_waitcnt lgkmcnt(0)
	v_add_f32_e32 v4, v4, v10
	s_or_b32 exec_lo, exec_lo, s0
	s_and_saveexec_b32 s0, vcc_lo
	s_cbranch_execz .LBB172_78
.LBB172_97:
	ds_read_b32 v10, v9 offset:160
	s_waitcnt lgkmcnt(0)
	v_add_f32_e32 v3, v3, v10
	s_or_b32 exec_lo, exec_lo, s0
	s_and_saveexec_b32 s0, vcc_lo
	s_cbranch_execz .LBB172_79
.LBB172_98:
	ds_read_b32 v10, v9 offset:192
	s_waitcnt lgkmcnt(0)
	v_add_f32_e32 v2, v2, v10
	s_or_b32 exec_lo, exec_lo, s0
	s_and_saveexec_b32 s0, vcc_lo
	s_cbranch_execnz .LBB172_80
	s_branch .LBB172_81
	.section	.rodata,"a",@progbits
	.p2align	6, 0x0
	.amdhsa_kernel _ZN4vllm25paged_attention_v2_kernelI14__hip_bfloat16S1_Li64ELi32ELi128ELNS_18Fp8KVCacheDataTypeE0ELb1ELi512EEEvPfS3_PT_PKS4_PKT0_SA_ifPKiSC_iPKfiiiSE_SE_iiiii
		.amdhsa_group_segment_fixed_size 160
		.amdhsa_private_segment_fixed_size 0
		.amdhsa_kernarg_size 400
		.amdhsa_user_sgpr_count 6
		.amdhsa_user_sgpr_private_segment_buffer 1
		.amdhsa_user_sgpr_dispatch_ptr 0
		.amdhsa_user_sgpr_queue_ptr 0
		.amdhsa_user_sgpr_kernarg_segment_ptr 1
		.amdhsa_user_sgpr_dispatch_id 0
		.amdhsa_user_sgpr_flat_scratch_init 0
		.amdhsa_user_sgpr_private_segment_size 0
		.amdhsa_wavefront_size32 1
		.amdhsa_uses_dynamic_stack 0
		.amdhsa_system_sgpr_private_segment_wavefront_offset 0
		.amdhsa_system_sgpr_workgroup_id_x 1
		.amdhsa_system_sgpr_workgroup_id_y 1
		.amdhsa_system_sgpr_workgroup_id_z 1
		.amdhsa_system_sgpr_workgroup_info 0
		.amdhsa_system_vgpr_workitem_id 0
		.amdhsa_next_free_vgpr 118
		.amdhsa_next_free_sgpr 46
		.amdhsa_reserve_vcc 1
		.amdhsa_reserve_flat_scratch 0
		.amdhsa_float_round_mode_32 0
		.amdhsa_float_round_mode_16_64 0
		.amdhsa_float_denorm_mode_32 3
		.amdhsa_float_denorm_mode_16_64 3
		.amdhsa_dx10_clamp 1
		.amdhsa_ieee_mode 1
		.amdhsa_fp16_overflow 0
		.amdhsa_workgroup_processor_mode 1
		.amdhsa_memory_ordered 1
		.amdhsa_forward_progress 1
		.amdhsa_shared_vgpr_count 0
		.amdhsa_exception_fp_ieee_invalid_op 0
		.amdhsa_exception_fp_denorm_src 0
		.amdhsa_exception_fp_ieee_div_zero 0
		.amdhsa_exception_fp_ieee_overflow 0
		.amdhsa_exception_fp_ieee_underflow 0
		.amdhsa_exception_fp_ieee_inexact 0
		.amdhsa_exception_int_div_zero 0
	.end_amdhsa_kernel
	.section	.text._ZN4vllm25paged_attention_v2_kernelI14__hip_bfloat16S1_Li64ELi32ELi128ELNS_18Fp8KVCacheDataTypeE0ELb1ELi512EEEvPfS3_PT_PKS4_PKT0_SA_ifPKiSC_iPKfiiiSE_SE_iiiii,"axG",@progbits,_ZN4vllm25paged_attention_v2_kernelI14__hip_bfloat16S1_Li64ELi32ELi128ELNS_18Fp8KVCacheDataTypeE0ELb1ELi512EEEvPfS3_PT_PKS4_PKT0_SA_ifPKiSC_iPKfiiiSE_SE_iiiii,comdat
.Lfunc_end172:
	.size	_ZN4vllm25paged_attention_v2_kernelI14__hip_bfloat16S1_Li64ELi32ELi128ELNS_18Fp8KVCacheDataTypeE0ELb1ELi512EEEvPfS3_PT_PKS4_PKT0_SA_ifPKiSC_iPKfiiiSE_SE_iiiii, .Lfunc_end172-_ZN4vllm25paged_attention_v2_kernelI14__hip_bfloat16S1_Li64ELi32ELi128ELNS_18Fp8KVCacheDataTypeE0ELb1ELi512EEEvPfS3_PT_PKS4_PKT0_SA_ifPKiSC_iPKfiiiSE_SE_iiiii
                                        ; -- End function
	.set _ZN4vllm25paged_attention_v2_kernelI14__hip_bfloat16S1_Li64ELi32ELi128ELNS_18Fp8KVCacheDataTypeE0ELb1ELi512EEEvPfS3_PT_PKS4_PKT0_SA_ifPKiSC_iPKfiiiSE_SE_iiiii.num_vgpr, 118
	.set _ZN4vllm25paged_attention_v2_kernelI14__hip_bfloat16S1_Li64ELi32ELi128ELNS_18Fp8KVCacheDataTypeE0ELb1ELi512EEEvPfS3_PT_PKS4_PKT0_SA_ifPKiSC_iPKfiiiSE_SE_iiiii.num_agpr, 0
	.set _ZN4vllm25paged_attention_v2_kernelI14__hip_bfloat16S1_Li64ELi32ELi128ELNS_18Fp8KVCacheDataTypeE0ELb1ELi512EEEvPfS3_PT_PKS4_PKT0_SA_ifPKiSC_iPKfiiiSE_SE_iiiii.numbered_sgpr, 46
	.set _ZN4vllm25paged_attention_v2_kernelI14__hip_bfloat16S1_Li64ELi32ELi128ELNS_18Fp8KVCacheDataTypeE0ELb1ELi512EEEvPfS3_PT_PKS4_PKT0_SA_ifPKiSC_iPKfiiiSE_SE_iiiii.num_named_barrier, 0
	.set _ZN4vllm25paged_attention_v2_kernelI14__hip_bfloat16S1_Li64ELi32ELi128ELNS_18Fp8KVCacheDataTypeE0ELb1ELi512EEEvPfS3_PT_PKS4_PKT0_SA_ifPKiSC_iPKfiiiSE_SE_iiiii.private_seg_size, 0
	.set _ZN4vllm25paged_attention_v2_kernelI14__hip_bfloat16S1_Li64ELi32ELi128ELNS_18Fp8KVCacheDataTypeE0ELb1ELi512EEEvPfS3_PT_PKS4_PKT0_SA_ifPKiSC_iPKfiiiSE_SE_iiiii.uses_vcc, 1
	.set _ZN4vllm25paged_attention_v2_kernelI14__hip_bfloat16S1_Li64ELi32ELi128ELNS_18Fp8KVCacheDataTypeE0ELb1ELi512EEEvPfS3_PT_PKS4_PKT0_SA_ifPKiSC_iPKfiiiSE_SE_iiiii.uses_flat_scratch, 0
	.set _ZN4vllm25paged_attention_v2_kernelI14__hip_bfloat16S1_Li64ELi32ELi128ELNS_18Fp8KVCacheDataTypeE0ELb1ELi512EEEvPfS3_PT_PKS4_PKT0_SA_ifPKiSC_iPKfiiiSE_SE_iiiii.has_dyn_sized_stack, 0
	.set _ZN4vllm25paged_attention_v2_kernelI14__hip_bfloat16S1_Li64ELi32ELi128ELNS_18Fp8KVCacheDataTypeE0ELb1ELi512EEEvPfS3_PT_PKS4_PKT0_SA_ifPKiSC_iPKfiiiSE_SE_iiiii.has_recursion, 0
	.set _ZN4vllm25paged_attention_v2_kernelI14__hip_bfloat16S1_Li64ELi32ELi128ELNS_18Fp8KVCacheDataTypeE0ELb1ELi512EEEvPfS3_PT_PKS4_PKT0_SA_ifPKiSC_iPKfiiiSE_SE_iiiii.has_indirect_call, 0
	.section	.AMDGPU.csdata,"",@progbits
; Kernel info:
; codeLenInByte = 11620
; TotalNumSgprs: 48
; NumVgprs: 118
; ScratchSize: 0
; MemoryBound: 0
; FloatMode: 240
; IeeeMode: 1
; LDSByteSize: 160 bytes/workgroup (compile time only)
; SGPRBlocks: 0
; VGPRBlocks: 14
; NumSGPRsForWavesPerEU: 48
; NumVGPRsForWavesPerEU: 118
; Occupancy: 8
; WaveLimiterHint : 1
; COMPUTE_PGM_RSRC2:SCRATCH_EN: 0
; COMPUTE_PGM_RSRC2:USER_SGPR: 6
; COMPUTE_PGM_RSRC2:TRAP_HANDLER: 0
; COMPUTE_PGM_RSRC2:TGID_X_EN: 1
; COMPUTE_PGM_RSRC2:TGID_Y_EN: 1
; COMPUTE_PGM_RSRC2:TGID_Z_EN: 1
; COMPUTE_PGM_RSRC2:TIDIG_COMP_CNT: 0
	.section	.text._ZN4vllm25paged_attention_v2_kernelI14__hip_bfloat16S1_Li80ELi32ELi128ELNS_18Fp8KVCacheDataTypeE0ELb1ELi512EEEvPfS3_PT_PKS4_PKT0_SA_ifPKiSC_iPKfiiiSE_SE_iiiii,"axG",@progbits,_ZN4vllm25paged_attention_v2_kernelI14__hip_bfloat16S1_Li80ELi32ELi128ELNS_18Fp8KVCacheDataTypeE0ELb1ELi512EEEvPfS3_PT_PKS4_PKT0_SA_ifPKiSC_iPKfiiiSE_SE_iiiii,comdat
	.protected	_ZN4vllm25paged_attention_v2_kernelI14__hip_bfloat16S1_Li80ELi32ELi128ELNS_18Fp8KVCacheDataTypeE0ELb1ELi512EEEvPfS3_PT_PKS4_PKT0_SA_ifPKiSC_iPKfiiiSE_SE_iiiii ; -- Begin function _ZN4vllm25paged_attention_v2_kernelI14__hip_bfloat16S1_Li80ELi32ELi128ELNS_18Fp8KVCacheDataTypeE0ELb1ELi512EEEvPfS3_PT_PKS4_PKT0_SA_ifPKiSC_iPKfiiiSE_SE_iiiii
	.globl	_ZN4vllm25paged_attention_v2_kernelI14__hip_bfloat16S1_Li80ELi32ELi128ELNS_18Fp8KVCacheDataTypeE0ELb1ELi512EEEvPfS3_PT_PKS4_PKT0_SA_ifPKiSC_iPKfiiiSE_SE_iiiii
	.p2align	8
	.type	_ZN4vllm25paged_attention_v2_kernelI14__hip_bfloat16S1_Li80ELi32ELi128ELNS_18Fp8KVCacheDataTypeE0ELb1ELi512EEEvPfS3_PT_PKS4_PKT0_SA_ifPKiSC_iPKfiiiSE_SE_iiiii,@function
_ZN4vllm25paged_attention_v2_kernelI14__hip_bfloat16S1_Li80ELi32ELi128ELNS_18Fp8KVCacheDataTypeE0ELb1ELi512EEEvPfS3_PT_PKS4_PKT0_SA_ifPKiSC_iPKfiiiSE_SE_iiiii: ; @_ZN4vllm25paged_attention_v2_kernelI14__hip_bfloat16S1_Li80ELi32ELi128ELNS_18Fp8KVCacheDataTypeE0ELb1ELi512EEEvPfS3_PT_PKS4_PKT0_SA_ifPKiSC_iPKfiiiSE_SE_iiiii
; %bb.0:
	s_mov_b64 s[50:51], s[2:3]
	s_mov_b64 s[48:49], s[0:1]
	s_load_dwordx2 s[0:1], s[4:5], 0x40
	s_add_u32 s48, s48, s9
	s_addc_u32 s49, s49, 0
	s_mov_b32 s26, s7
	s_ashr_i32 s27, s7, 31
	s_lshl_b64 s[2:3], s[26:27], 2
	s_waitcnt lgkmcnt(0)
	s_add_u32 s0, s0, s2
	s_addc_u32 s1, s1, s3
	s_lshl_b32 s37, s8, 9
	s_load_dword s27, s[0:1], 0x0
	s_waitcnt lgkmcnt(0)
	s_cmp_ge_i32 s37, s27
	s_cbranch_scc1 .LBB173_92
; %bb.1:
	s_clause 0x1
	s_load_dword s9, s[4:5], 0x90
	s_load_dwordx2 s[2:3], s[4:5], 0x30
	v_mov_b32_e32 v81, v0
	s_mov_b32 s39, 0
	s_waitcnt lgkmcnt(0)
	s_abs_i32 s10, s9
	s_abs_i32 s0, s2
	v_cvt_f32_u32_e32 v0, s0
	s_sub_i32 s7, 0, s0
	v_rcp_iflag_f32_e32 v0, v0
	v_mul_f32_e32 v0, 0x4f7ffffe, v0
	v_cvt_u32_f32_e32 v0, v0
	v_readfirstlane_b32 s1, v0
	s_mul_i32 s7, s7, s1
	s_mul_hi_u32 s7, s1, s7
	s_add_i32 s1, s1, s7
	s_xor_b32 s7, s9, s2
	s_mul_hi_u32 s1, s10, s1
	s_ashr_i32 s7, s7, 31
	s_mul_i32 s11, s1, s0
	s_sub_i32 s10, s10, s11
	s_add_i32 s11, s1, 1
	s_sub_i32 s12, s10, s0
	s_cmp_ge_u32 s10, s0
	s_cselect_b32 s1, s11, s1
	s_cselect_b32 s10, s12, s10
	s_add_i32 s11, s1, 1
	s_cmp_ge_u32 s10, s0
	s_cselect_b32 s0, s11, s1
	s_abs_i32 s21, s6
	s_xor_b32 s0, s0, s7
	s_sub_i32 s10, s0, s7
	s_load_dwordx2 s[0:1], s[4:5], 0x50
	s_abs_i32 s20, s10
	v_cvt_f32_u32_e32 v0, s20
	s_sub_i32 s11, 0, s20
	v_rcp_iflag_f32_e32 v0, v0
	v_mul_f32_e32 v0, 0x4f7ffffe, v0
	v_cvt_u32_f32_e32 v0, v0
	v_readfirstlane_b32 s7, v0
	s_mul_i32 s11, s11, s7
	s_mul_hi_u32 s11, s7, s11
	s_add_i32 s7, s7, s11
	s_waitcnt lgkmcnt(0)
	s_cmp_eq_u64 s[0:1], 0
	s_mul_hi_u32 s22, s21, s7
	s_cbranch_scc1 .LBB173_3
; %bb.2:
	s_ashr_i32 s7, s6, 31
	s_lshl_b64 s[12:13], s[6:7], 2
	s_add_u32 s0, s0, s12
	s_addc_u32 s1, s1, s13
	s_load_dword s39, s[0:1], 0x0
.LBB173_3:
	s_load_dwordx4 s[12:15], s[4:5], 0x58
	v_lshlrev_b32_e32 v10, 4, v81
	s_ashr_i32 s0, s6, 31
	s_ashr_i32 s1, s10, 31
	s_mul_i32 s10, s6, 0x50
	s_mov_b32 s7, exec_lo
	v_cmpx_gt_u32_e32 10, v81
	s_cbranch_execz .LBB173_5
; %bb.4:
	s_load_dwordx2 s[16:17], s[4:5], 0x18
	s_waitcnt lgkmcnt(0)
	s_mul_i32 s18, s12, s26
	s_ashr_i32 s19, s18, 31
	s_lshl_b64 s[18:19], s[18:19], 1
	s_add_u32 s12, s16, s18
	s_addc_u32 s15, s17, s19
	s_ashr_i32 s11, s10, 31
	s_lshl_b64 s[16:17], s[10:11], 1
	s_add_u32 s16, s12, s16
	s_addc_u32 s17, s15, s17
	global_load_dwordx4 v[0:3], v10, s[16:17]
	s_waitcnt vmcnt(0)
	ds_write_b128 v10, v[0:3]
.LBB173_5:
	s_or_b32 exec_lo, exec_lo, s7
	s_load_dwordx4 s[16:19], s[4:5], 0x78
	s_mul_i32 s7, s22, s20
	s_xor_b32 s0, s0, s1
	s_sub_i32 s1, s21, s7
	s_add_i32 s7, s22, 1
	s_sub_i32 s11, s1, s20
	s_cmp_ge_u32 s1, s20
	s_mov_b32 s21, -1
	s_cselect_b32 s7, s7, s22
	s_cselect_b32 s1, s11, s1
	s_add_i32 s11, s7, 1
	s_cmp_ge_u32 s1, s20
                                        ; implicit-def: $sgpr33
	s_cselect_b32 s1, s11, s7
	s_load_dword s7, s[4:5], 0x88
	s_xor_b32 s1, s1, s0
	s_add_i32 s20, s27, -1
	s_sub_i32 s1, s1, s0
	s_waitcnt lgkmcnt(0)
	s_abs_i32 s15, s20
	s_abs_i32 s11, s19
	s_barrier
	v_cvt_f32_u32_e32 v0, s11
	s_sub_i32 s0, 0, s11
	buffer_gl0_inv
	v_rcp_iflag_f32_e32 v0, v0
	v_mul_f32_e32 v0, 0x4f7ffffe, v0
	v_cvt_u32_f32_e32 v0, v0
	v_readfirstlane_b32 s12, v0
	s_mul_i32 s0, s0, s12
	s_mul_hi_u32 s0, s12, s0
	s_add_i32 s12, s12, s0
	s_cmp_lt_i32 s7, 0
	s_mul_hi_u32 s0, s15, s12
	s_cbranch_scc0 .LBB173_7
; %bb.6:
	s_mul_i32 s2, s16, s2
	s_mov_b32 s21, 0
	s_add_i32 s2, s1, s2
	s_mul_i32 s2, s2, s7
	s_sub_i32 s33, 1, s2
.LBB173_7:
	s_load_dwordx2 s[28:29], s[4:5], 0x38
	s_ashr_i32 s2, s20, 31
	s_andn2_b32 vcc_lo, exec_lo, s21
	s_ashr_i32 s19, s19, 31
	s_cbranch_vccnz .LBB173_9
; %bb.8:
	s_mul_i32 s16, s9, s16
	s_add_i32 s16, s16, s6
	s_mul_i32 s7, s16, s7
	s_add_i32 s33, s7, 1
.LBB173_9:
	s_clause 0x4
	s_load_dword s16, s[4:5], 0x48
	s_load_dwordx2 s[34:35], s[4:5], 0x28
	s_load_dword s7, s[4:5], 0x98
	s_load_dwordx4 s[20:23], s[4:5], 0x0
	s_load_dwordx2 s[24:25], s[4:5], 0x10
	s_mul_i32 s30, s0, s11
	s_xor_b32 s2, s2, s19
	s_sub_i32 s15, s15, s30
	s_add_i32 s36, s0, 1
	v_lshrrev_b32_e32 v25, 5, v81
	v_and_b32_e32 v0, 31, v81
	v_mov_b32_e32 v119, 0xff7fffff
	s_mul_i32 s14, s1, s14
	v_lshl_add_u32 v54, v25, 5, s37
	v_lshlrev_b32_e32 v26, 2, v0
	buffer_store_dword v0, off, s[48:51], 0 ; 4-byte Folded Spill
	s_waitcnt lgkmcnt(0)
	s_mul_i32 s30, s16, s26
	s_sub_i32 s16, s15, s11
	s_ashr_i32 s31, s30, 31
	s_cmp_ge_u32 s15, s11
	s_cselect_b32 s0, s36, s0
	s_cselect_b32 s15, s16, s15
	s_add_i32 s16, s0, 1
	s_cmp_ge_u32 s15, s11
	s_cselect_b32 s0, s16, s0
	s_add_i32 s15, s27, 31
	s_lshl_b32 s40, s8, 4
	s_ashr_i32 s16, s15, 31
	v_add_nc_u32_e32 v49, s40, v25
	s_lshr_b32 s16, s16, 27
	s_add_i32 s15, s15, s16
	s_add_i32 s16, s40, 16
	s_ashr_i32 s36, s15, 5
	s_xor_b32 s15, s0, s2
	s_min_i32 s16, s16, s36
	v_ashrrev_i32_e32 v50, 31, v49
	v_cmp_gt_i32_e64 s0, s16, v49
	s_sub_i32 s38, s15, s2
	s_and_saveexec_b32 s41, s0
	s_cbranch_execz .LBB173_17
; %bb.10:
	v_mov_b32_e32 v24, 0
	buffer_store_dword v10, off, s[48:51], 0 offset:48 ; 4-byte Folded Spill
	buffer_store_dword v81, off, s[48:51], 0 offset:40 ; 4-byte Folded Spill
	s_load_dwordx2 s[42:43], s[4:5], 0x20
	s_ashr_i32 s15, s14, 31
	s_sub_i32 s4, s38, s17
	ds_read_b128 v[0:3], v24
	ds_read_b128 v[4:7], v24 offset:16
	ds_read_b128 v[8:11], v24 offset:32
	;; [unrolled: 1-line block ×5, first 2 shown]
	s_lshl_b64 s[44:45], s[14:15], 1
	v_lshl_add_u32 v48, v25, 5, s37
	v_mov_b32_e32 v119, 0xff7fffff
	v_mov_b32_e32 v51, v49
	buffer_store_dword v26, off, s[48:51], 0 offset:52 ; 4-byte Folded Spill
	buffer_store_dword v25, off, s[48:51], 0 offset:44 ; 4-byte Folded Spill
	s_waitcnt lgkmcnt(0)
	v_and_b32_e32 v27, 0xffff0000, v0
	v_lshlrev_b32_e32 v0, 16, v0
	v_and_b32_e32 v62, 0xffff0000, v1
	v_lshlrev_b32_e32 v63, 16, v1
	;; [unrolled: 2-line block ×3, first 2 shown]
	buffer_store_dword v0, off, s[48:51], 0 offset:8 ; 4-byte Folded Spill
	v_and_b32_e32 v0, 0xffff0000, v4
	v_and_b32_e32 v79, 0xffff0000, v3
	v_lshlrev_b32_e32 v80, 16, v3
	v_and_b32_e32 v64, 0xffff0000, v5
	v_lshlrev_b32_e32 v65, 16, v5
	buffer_store_dword v0, off, s[48:51], 0 offset:12 ; 4-byte Folded Spill
	v_lshlrev_b32_e32 v0, 16, v4
	v_and_b32_e32 v66, 0xffff0000, v9
	v_lshlrev_b32_e32 v67, 16, v9
	v_and_b32_e32 v76, 0xffff0000, v6
	v_lshlrev_b32_e32 v77, 16, v6
	buffer_store_dword v0, off, s[48:51], 0 offset:16 ; 4-byte Folded Spill
	v_and_b32_e32 v0, 0xffff0000, v8
	v_and_b32_e32 v78, 0xffff0000, v10
	v_lshlrev_b32_e32 v81, 16, v10
	v_and_b32_e32 v83, 0xffff0000, v7
	v_lshlrev_b32_e32 v84, 16, v7
	buffer_store_dword v0, off, s[48:51], 0 offset:20 ; 4-byte Folded Spill
	v_lshlrev_b32_e32 v0, 16, v8
	v_and_b32_e32 v87, 0xffff0000, v11
	v_lshlrev_b32_e32 v88, 16, v11
	ds_read_b128 v[8:11], v24 offset:128
	s_add_u32 s1, s42, s44
	buffer_store_dword v0, off, s[48:51], 0 offset:24 ; 4-byte Folded Spill
	v_and_b32_e32 v0, 0xffff0000, v12
	s_addc_u32 s2, s43, s45
	s_abs_i32 s5, s18
	s_lshl_b64 s[42:43], s[30:31], 2
	s_sub_i32 s15, 0, s5
	buffer_store_dword v0, off, s[48:51], 0 offset:28 ; 4-byte Folded Spill
	v_lshlrev_b32_e32 v0, 16, v12
	v_cvt_f32_u32_e32 v12, s5
	v_lshlrev_b32_e32 v59, 16, v16
	ds_read_b128 v[4:7], v24 offset:112
	v_and_b32_e32 v60, 0xffff0000, v20
	buffer_store_dword v0, off, s[48:51], 0 offset:32 ; 4-byte Folded Spill
	v_and_b32_e32 v0, 0xffff0000, v16
	v_lshlrev_b32_e32 v61, 16, v20
	v_and_b32_e32 v68, 0xffff0000, v13
	v_lshlrev_b32_e32 v69, 16, v13
	v_and_b32_e32 v70, 0xffff0000, v17
	buffer_store_dword v0, off, s[48:51], 0 offset:36 ; 4-byte Folded Spill
	ds_read_b128 v[0:3], v24 offset:96
	v_lshlrev_b32_e32 v71, 16, v17
	v_and_b32_e32 v72, 0xffff0000, v21
	v_lshlrev_b32_e32 v73, 16, v21
	v_and_b32_e32 v82, 0xffff0000, v14
	;; [unrolled: 2-line block ×4, first 2 shown]
	v_and_b32_e32 v91, 0xffff0000, v15
	v_lshlrev_b32_e32 v92, 16, v15
	s_waitcnt lgkmcnt(1)
	v_and_b32_e32 v106, 0xffff0000, v4
	v_lshlrev_b32_e32 v107, 16, v4
	v_rcp_iflag_f32_e32 v4, v12
	v_and_b32_e32 v108, 0xffff0000, v5
	v_lshlrev_b32_e32 v109, 16, v5
	v_lshlrev_b32_e32 v93, 16, v22
	v_and_b32_e32 v94, 0xffff0000, v19
	v_lshlrev_b32_e32 v95, 16, v19
	v_and_b32_e32 v96, 0xffff0000, v23
	s_waitcnt lgkmcnt(0)
	v_and_b32_e32 v98, 0xffff0000, v0
	v_lshlrev_b32_e32 v99, 16, v0
	v_and_b32_e32 v100, 0xffff0000, v1
	v_lshlrev_b32_e32 v101, 16, v1
	;; [unrolled: 2-line block ×4, first 2 shown]
	ds_read_b128 v[0:3], v24 offset:144
	v_mul_f32_e32 v4, 0x4f7ffffe, v4
	v_lshlrev_b32_e32 v97, 16, v23
	v_and_b32_e32 v110, 0xffff0000, v6
	v_lshlrev_b32_e32 v111, 16, v6
	v_and_b32_e32 v112, 0xffff0000, v7
	v_cvt_u32_f32_e32 v4, v4
	v_lshlrev_b32_e32 v113, 16, v7
	v_and_b32_e32 v114, 0xffff0000, v8
	v_lshlrev_b32_e32 v115, 16, v8
	v_and_b32_e32 v116, 0xffff0000, v9
	v_mul_lo_u32 v5, s15, v4
	s_add_u32 s15, s28, s42
	s_addc_u32 s42, s29, s43
	v_lshlrev_b32_e32 v117, 16, v9
	v_and_b32_e32 v118, 0xffff0000, v10
	v_lshlrev_b32_e32 v120, 16, v10
	v_and_b32_e32 v121, 0xffff0000, v11
	v_lshlrev_b32_e32 v122, 16, v11
	buffer_store_dword v27, off, s[48:51], 0 offset:4 ; 4-byte Folded Spill
	s_waitcnt lgkmcnt(0)
	v_and_b32_e32 v44, 0xffff0000, v3
	v_lshlrev_b32_e32 v52, 16, v3
	buffer_load_dword v3, off, s[48:51], 0  ; 4-byte Folded Reload
	v_and_b32_e32 v127, 0xffff0000, v2
	v_lshlrev_b32_e32 v43, 16, v2
	v_mul_hi_u32 v2, v4, v5
	v_and_b32_e32 v123, 0xffff0000, v0
	v_lshlrev_b32_e32 v124, 16, v0
	v_and_b32_e32 v125, 0xffff0000, v1
	v_lshlrev_b32_e32 v126, 16, v1
	v_lshlrev_b64 v[0:1], 2, v[49:50]
	v_add_nc_u32_e32 v53, v4, v2
	v_add_co_u32 v41, vcc_lo, s15, v0
	v_add_co_ci_u32_e64 v42, null, s42, v1, vcc_lo
	v_lshl_or_b32 v1, v25, 7, v26
	v_cmp_neq_f32_e64 vcc_lo, s39, 0
	s_mov_b32 s42, s13
	s_mov_b32 s15, 0
	s_waitcnt vmcnt(0)
	v_lshlrev_b32_e32 v2, 4, v3
	v_subrev_nc_u32_e32 v0, s27, v3
	v_add_co_u32 v46, s1, s1, v2
	v_add_nc_u32_e32 v45, 1, v0
	v_add_nc_u32_e32 v0, 0xc0, v1
	v_add_co_ci_u32_e64 v47, null, s2, 0, s1
	s_branch .LBB173_12
.LBB173_11:                             ;   in Loop: Header=BB173_12 Depth=1
	s_or_b32 exec_lo, exec_lo, s43
	v_add_nc_u32_e32 v51, 4, v51
	v_add_co_u32 v41, s2, v41, 16
	v_add_co_ci_u32_e64 v42, null, 0, v42, s2
	v_cmp_le_i32_e64 s1, s16, v51
	v_add_nc_u32_e32 v48, 0x80, v48
	v_add_nc_u32_e32 v0, 0x200, v0
	s_or_b32 s15, s1, s15
	s_andn2_b32 exec_lo, exec_lo, s15
	s_cbranch_execz .LBB173_16
.LBB173_12:                             ; =>This Inner Loop Header: Depth=1
	v_sub_nc_u32_e32 v1, 0, v48
	v_max_i32_e32 v1, v48, v1
	v_mul_hi_u32 v2, v1, s12
	v_mul_lo_u32 v3, v2, s11
	v_sub_nc_u32_e32 v1, v1, v3
	v_add_nc_u32_e32 v3, 1, v2
	v_subrev_nc_u32_e32 v4, s11, v1
	v_cmp_le_u32_e64 s1, s11, v1
	v_cndmask_b32_e64 v2, v2, v3, s1
	v_cndmask_b32_e64 v1, v1, v4, s1
	v_ashrrev_i32_e32 v3, 31, v48
	v_add_nc_u32_e32 v4, 1, v2
	v_cmp_le_u32_e64 s1, s11, v1
	v_xor_b32_e32 v3, s19, v3
	v_cndmask_b32_e64 v1, v2, v4, s1
	v_xor_b32_e32 v1, v1, v3
	v_sub_nc_u32_e32 v1, v1, v3
	v_add_nc_u32_e32 v2, s33, v1
	v_cmp_ge_i32_e64 s2, s4, v1
	v_sub_nc_u32_e32 v3, 0, v2
	v_max_i32_e32 v3, v2, v3
	v_ashrrev_i32_e32 v2, 31, v2
	v_mul_hi_u32 v4, v3, v53
	v_mul_lo_u32 v4, v4, s5
	v_sub_nc_u32_e32 v3, v3, v4
	v_subrev_nc_u32_e32 v4, s5, v3
	v_cmp_le_u32_e64 s1, s5, v3
	v_cndmask_b32_e64 v3, v3, v4, s1
	v_subrev_nc_u32_e32 v4, s5, v3
	v_cmp_le_u32_e64 s1, s5, v3
	v_cndmask_b32_e64 v3, v3, v4, s1
	v_xor_b32_e32 v3, v3, v2
	v_sub_nc_u32_e32 v2, v3, v2
	v_cmp_ne_u32_e64 s1, 0, v2
	s_and_b32 s1, s1, s2
	s_and_saveexec_b32 s2, s1
	s_xor_b32 s1, exec_lo, s2
; %bb.13:                               ;   in Loop: Header=BB173_12 Depth=1
	v_mov_b32_e32 v1, 0xff7fffff
	ds_write_b32 v0, v1
; %bb.14:                               ;   in Loop: Header=BB173_12 Depth=1
	s_andn2_saveexec_b32 s43, s1
	s_cbranch_execz .LBB173_11
; %bb.15:                               ;   in Loop: Header=BB173_12 Depth=1
	global_load_dword v1, v[41:42], off
	buffer_load_dword v2, off, s[48:51], 0  ; 4-byte Folded Reload
	v_add_nc_u32_e32 v4, v45, v48
	v_cvt_f32_i32_e32 v4, v4
	v_mul_f32_e32 v4, s39, v4
	v_cndmask_b32_e32 v55, 0, v4, vcc_lo
	s_waitcnt vmcnt(0)
	v_add_nc_u32_e32 v3, v2, v48
	v_mad_i64_i32 v[1:2], null, v1, s42, 0
	v_lshlrev_b64 v[1:2], 1, v[1:2]
	v_add_co_u32 v1, s1, v46, v1
	v_add_co_ci_u32_e64 v2, null, v47, v2, s1
	v_cmp_gt_i32_e64 s1, s27, v3
	v_add_co_u32 v3, s2, 0x800, v1
	v_add_co_ci_u32_e64 v4, null, 0, v2, s2
	v_add_co_u32 v5, s2, v1, 0x1000
	s_clause 0x3
	global_load_dwordx4 v[37:40], v[1:2], off
	global_load_dwordx4 v[33:36], v[1:2], off offset:512
	global_load_dwordx4 v[29:32], v[1:2], off offset:1024
	;; [unrolled: 1-line block ×3, first 2 shown]
	v_add_co_ci_u32_e64 v6, null, 0, v2, s2
	v_add_co_u32 v1, s2, 0x1000, v1
	v_add_co_ci_u32_e64 v2, null, 0, v2, s2
	s_clause 0x5
	global_load_dwordx4 v[21:24], v[5:6], off offset:-2048
	global_load_dwordx4 v[17:20], v[3:4], off offset:512
	global_load_dwordx4 v[13:16], v[3:4], off offset:1024
	;; [unrolled: 1-line block ×3, first 2 shown]
	global_load_dwordx4 v[5:8], v[5:6], off
	global_load_dwordx4 v[1:4], v[1:2], off offset:512
	buffer_load_dword v58, off, s[48:51], 0 offset:16 ; 4-byte Folded Reload
	s_waitcnt vmcnt(10)
	v_lshlrev_b32_e32 v56, 16, v37
	v_and_b32_e32 v57, 0xffff0000, v37
	s_waitcnt vmcnt(9)
	v_and_b32_e32 v37, 0xffff0000, v33
	v_lshlrev_b32_e32 v33, 16, v33
	s_waitcnt vmcnt(0)
	v_mul_f32_e32 v33, v58, v33
	buffer_load_dword v58, off, s[48:51], 0 offset:12 ; 4-byte Folded Reload
	s_waitcnt vmcnt(0)
	v_mul_f32_e32 v37, v58, v37
	buffer_load_dword v58, off, s[48:51], 0 offset:4 ; 4-byte Folded Reload
	s_waitcnt vmcnt(0)
	v_fmac_f32_e32 v37, v58, v57
	buffer_load_dword v57, off, s[48:51], 0 offset:8 ; 4-byte Folded Reload
	s_waitcnt vmcnt(0)
	v_fmac_f32_e32 v33, v57, v56
	buffer_load_dword v57, off, s[48:51], 0 offset:24 ; 4-byte Folded Reload
	v_and_b32_e32 v56, 0xffff0000, v29
	v_lshlrev_b32_e32 v29, 16, v29
	s_waitcnt vmcnt(0)
	v_fmac_f32_e32 v33, v57, v29
	buffer_load_dword v29, off, s[48:51], 0 offset:20 ; 4-byte Folded Reload
	s_waitcnt vmcnt(0)
	v_fmac_f32_e32 v37, v29, v56
	buffer_load_dword v56, off, s[48:51], 0 offset:28 ; 4-byte Folded Reload
	v_lshlrev_b32_e32 v29, 16, v25
	v_and_b32_e32 v25, 0xffff0000, v25
	s_waitcnt vmcnt(0)
	v_fmac_f32_e32 v37, v56, v25
	buffer_load_dword v25, off, s[48:51], 0 offset:32 ; 4-byte Folded Reload
	s_waitcnt vmcnt(0)
	v_fmac_f32_e32 v33, v25, v29
	v_and_b32_e32 v25, 0xffff0000, v21
	v_lshlrev_b32_e32 v21, 16, v21
	v_fmac_f32_e32 v33, v59, v21
	buffer_load_dword v21, off, s[48:51], 0 offset:36 ; 4-byte Folded Reload
	s_waitcnt vmcnt(0)
	v_fmac_f32_e32 v37, v21, v25
	v_lshlrev_b32_e32 v21, 16, v17
	v_and_b32_e32 v17, 0xffff0000, v17
	v_fmac_f32_e32 v33, v61, v21
	v_fmac_f32_e32 v37, v60, v17
	v_and_b32_e32 v17, 0xffff0000, v13
	v_lshlrev_b32_e32 v13, 16, v13
	v_fmac_f32_e32 v37, v98, v17
	v_fmac_f32_e32 v33, v99, v13
	v_lshlrev_b32_e32 v13, 16, v9
	v_and_b32_e32 v9, 0xffff0000, v9
	v_fmac_f32_e32 v33, v107, v13
	v_fmac_f32_e32 v37, v106, v9
	v_and_b32_e32 v9, 0xffff0000, v5
	v_lshlrev_b32_e32 v5, 16, v5
	v_and_b32_e32 v13, 0xffff0000, v38
	v_fmac_f32_e32 v37, v114, v9
	v_fmac_f32_e32 v33, v115, v5
	v_lshlrev_b32_e32 v5, 16, v1
	v_and_b32_e32 v1, 0xffff0000, v1
	v_lshlrev_b32_e32 v9, 16, v38
	v_fmac_f32_e32 v33, v124, v5
	v_fmac_f32_e32 v37, v123, v1
	v_and_b32_e32 v1, 0xffff0000, v34
	v_lshlrev_b32_e32 v5, 16, v34
	v_mul_f32_e32 v1, v64, v1
	v_mul_f32_e32 v5, v65, v5
	v_fmac_f32_e32 v1, v62, v13
	v_fmac_f32_e32 v5, v63, v9
	v_and_b32_e32 v9, 0xffff0000, v30
	v_lshlrev_b32_e32 v13, 16, v30
	v_fmac_f32_e32 v1, v66, v9
	v_fmac_f32_e32 v5, v67, v13
	v_lshlrev_b32_e32 v9, 16, v26
	v_and_b32_e32 v13, 0xffff0000, v26
	v_fmac_f32_e32 v5, v69, v9
	v_fmac_f32_e32 v1, v68, v13
	v_and_b32_e32 v9, 0xffff0000, v22
	v_lshlrev_b32_e32 v13, 16, v22
	v_fmac_f32_e32 v1, v70, v9
	v_fmac_f32_e32 v5, v71, v13
	v_lshlrev_b32_e32 v9, 16, v18
	v_and_b32_e32 v13, 0xffff0000, v18
	v_fmac_f32_e32 v5, v73, v9
	v_fmac_f32_e32 v1, v72, v13
	v_and_b32_e32 v9, 0xffff0000, v14
	v_lshlrev_b32_e32 v13, 16, v14
	v_fmac_f32_e32 v1, v100, v9
	v_fmac_f32_e32 v5, v101, v13
	v_lshlrev_b32_e32 v9, 16, v10
	v_and_b32_e32 v10, 0xffff0000, v10
	v_fmac_f32_e32 v5, v109, v9
	v_fmac_f32_e32 v1, v108, v10
	v_and_b32_e32 v9, 0xffff0000, v6
	v_lshlrev_b32_e32 v6, 16, v6
	v_and_b32_e32 v10, 0xffff0000, v39
	v_fmac_f32_e32 v1, v116, v9
	v_fmac_f32_e32 v5, v117, v6
	v_lshlrev_b32_e32 v6, 16, v2
	v_and_b32_e32 v2, 0xffff0000, v2
	v_lshlrev_b32_e32 v9, 16, v39
	v_fmac_f32_e32 v5, v126, v6
	v_fmac_f32_e32 v1, v125, v2
	v_and_b32_e32 v2, 0xffff0000, v35
	v_lshlrev_b32_e32 v6, 16, v35
	v_mul_f32_e32 v2, v76, v2
	v_mul_f32_e32 v6, v77, v6
	v_fmac_f32_e32 v2, v74, v10
	v_fmac_f32_e32 v6, v75, v9
	v_and_b32_e32 v9, 0xffff0000, v31
	v_lshlrev_b32_e32 v10, 16, v31
	v_fmac_f32_e32 v2, v78, v9
	v_fmac_f32_e32 v6, v81, v10
	v_lshlrev_b32_e32 v9, 16, v27
	v_and_b32_e32 v10, 0xffff0000, v27
	v_fmac_f32_e32 v6, v85, v9
	v_fmac_f32_e32 v2, v82, v10
	v_and_b32_e32 v9, 0xffff0000, v23
	v_lshlrev_b32_e32 v10, 16, v23
	v_fmac_f32_e32 v2, v86, v9
	;; [unrolled: 40-line block ×3, first 2 shown]
	v_fmac_f32_e32 v7, v95, v10
	v_lshlrev_b32_e32 v9, 16, v20
	v_and_b32_e32 v10, 0xffff0000, v20
	v_fmac_f32_e32 v7, v97, v9
	v_fmac_f32_e32 v3, v96, v10
	v_and_b32_e32 v9, 0xffff0000, v16
	v_lshlrev_b32_e32 v10, 16, v16
	v_fmac_f32_e32 v3, v104, v9
	v_fmac_f32_e32 v7, v105, v10
	v_lshlrev_b32_e32 v9, 16, v12
	v_and_b32_e32 v10, 0xffff0000, v12
	v_fmac_f32_e32 v7, v113, v9
	v_fmac_f32_e32 v3, v112, v10
	v_and_b32_e32 v9, 0xffff0000, v8
	v_lshlrev_b32_e32 v8, 16, v8
	v_fmac_f32_e32 v3, v121, v9
	v_fmac_f32_e32 v7, v122, v8
	v_lshlrev_b32_e32 v8, 16, v4
	v_and_b32_e32 v4, 0xffff0000, v4
	v_fmac_f32_e32 v7, v52, v8
	v_fmac_f32_e32 v3, v44, v4
	v_add_f32_e32 v4, v33, v37
	v_add_f32_e32 v4, v4, v5
	;; [unrolled: 1-line block ×5, first 2 shown]
	v_max_f32_e32 v2, v119, v119
	v_add_f32_e32 v1, v7, v1
	v_add_f32_e32 v1, v3, v1
	v_fmac_f32_e32 v55, s3, v1
	v_max_f32_e32 v2, v2, v55
	v_cndmask_b32_e64 v1, 0, v55, s1
	v_cndmask_b32_e64 v119, v119, v2, s1
	ds_write_b32 v0, v1
	s_branch .LBB173_11
.LBB173_16:
	s_or_b32 exec_lo, exec_lo, s15
	s_clause 0x3
	buffer_load_dword v81, off, s[48:51], 0 offset:40
	buffer_load_dword v25, off, s[48:51], 0 offset:44
	;; [unrolled: 1-line block ×4, first 2 shown]
.LBB173_17:
	s_or_b32 exec_lo, exec_lo, s41
	v_mbcnt_lo_u32_b32 v0, -1, 0
	v_max_f32_e32 v4, v119, v119
	v_xor_b32_e32 v1, 16, v0
	v_xor_b32_e32 v3, 8, v0
	v_cmp_gt_i32_e32 vcc_lo, 32, v1
	v_cndmask_b32_e32 v1, v0, v1, vcc_lo
	v_cmp_gt_i32_e32 vcc_lo, 32, v3
	v_lshlrev_b32_e32 v1, 2, v1
	v_cndmask_b32_e32 v3, v0, v3, vcc_lo
	ds_bpermute_b32 v2, v1, v119
	s_waitcnt lgkmcnt(0)
	v_max_f32_e32 v5, v2, v2
	v_lshlrev_b32_e32 v2, 2, v3
	v_max_f32_e32 v3, v4, v5
	v_xor_b32_e32 v5, 4, v0
	ds_bpermute_b32 v4, v2, v3
	v_cmp_gt_i32_e32 vcc_lo, 32, v5
	v_cndmask_b32_e32 v5, v0, v5, vcc_lo
	s_waitcnt lgkmcnt(0)
	v_max_f32_e32 v6, v4, v4
	v_lshlrev_b32_e32 v4, 2, v5
	v_max_f32_e32 v3, v3, v6
	v_xor_b32_e32 v6, 2, v0
	ds_bpermute_b32 v5, v4, v3
	v_cmp_gt_i32_e32 vcc_lo, 32, v6
	v_cndmask_b32_e32 v6, v0, v6, vcc_lo
	v_lshlrev_b32_e32 v56, 2, v6
	v_xor_b32_e32 v6, 1, v0
	v_cmp_gt_i32_e32 vcc_lo, 32, v6
	s_waitcnt lgkmcnt(0)
	v_max_f32_e32 v5, v5, v5
	v_cndmask_b32_e32 v6, v0, v6, vcc_lo
	v_max_f32_e32 v3, v3, v5
	v_lshlrev_b32_e32 v55, 2, v6
	ds_bpermute_b32 v5, v56, v3
	s_waitcnt lgkmcnt(0)
	v_max_f32_e32 v5, v5, v5
	v_max_f32_e32 v0, v3, v5
	buffer_load_dword v5, off, s[48:51], 0  ; 4-byte Folded Reload
	ds_bpermute_b32 v3, v55, v0
	s_waitcnt vmcnt(0)
	v_cmp_eq_u32_e32 vcc_lo, 0, v5
	v_lshlrev_b32_e32 v5, 2, v25
	s_and_saveexec_b32 s1, vcc_lo
	s_cbranch_execz .LBB173_19
; %bb.18:
	s_waitcnt lgkmcnt(0)
	v_max_f32_e32 v3, v3, v3
	v_max_f32_e32 v0, v0, v0
	;; [unrolled: 1-line block ×3, first 2 shown]
	ds_write_b32 v5, v0 offset:160
.LBB173_19:
	s_or_b32 exec_lo, exec_lo, s1
	buffer_load_dword v0, off, s[48:51], 0  ; 4-byte Folded Reload
	s_waitcnt vmcnt(0) lgkmcnt(0)
	s_waitcnt_vscnt null, 0x0
	s_barrier
	buffer_gl0_inv
	v_cmp_gt_u32_e64 s1, 4, v0
	v_mov_b32_e32 v0, 0xff7fffff
	s_and_saveexec_b32 s2, s1
; %bb.20:
	ds_read_b32 v0, v26 offset:160
; %bb.21:
	s_or_b32 exec_lo, exec_lo, s2
	s_waitcnt lgkmcnt(0)
	ds_bpermute_b32 v3, v56, v0
	v_max_f32_e32 v0, v0, v0
	v_mov_b32_e32 v6, 0
	s_sub_i32 s2, s16, s40
	s_lshl_b32 s2, s2, 5
	s_add_i32 s2, s2, s37
	s_min_i32 s2, s2, s27
	s_sub_i32 s4, s2, s37
	v_cmp_gt_i32_e64 s2, s4, v81
	s_waitcnt lgkmcnt(0)
	v_max_f32_e32 v3, v3, v3
	v_max_f32_e32 v0, v0, v3
	ds_bpermute_b32 v3, v55, v0
	s_waitcnt lgkmcnt(0)
	v_max_f32_e32 v3, v3, v3
	v_max_f32_e32 v0, v0, v3
	v_lshl_add_u32 v3, v81, 2, 0xc0
	ds_bpermute_b32 v0, v6, v0
	s_and_saveexec_b32 s5, s2
	s_cbranch_execz .LBB173_25
; %bb.22:
	v_lshl_add_u32 v7, v81, 2, 0xc0
	v_mov_b32_e32 v6, 0
	v_mov_b32_e32 v8, v81
	s_mov_b32 s15, 0
	.p2align	6
.LBB173_23:                             ; =>This Inner Loop Header: Depth=1
	ds_read_b32 v9, v7
	v_add_nc_u32_e32 v8, 0x80, v8
	v_cmp_le_i32_e64 s3, s4, v8
	s_or_b32 s15, s3, s15
	s_waitcnt lgkmcnt(0)
	v_sub_f32_e32 v9, v9, v0
	v_mul_f32_e32 v9, 0x3fb8aa3b, v9
	v_exp_f32_e32 v9, v9
	ds_write_b32 v7, v9
	v_add_f32_e32 v6, v6, v9
	v_add_nc_u32_e32 v7, 0x200, v7
	s_andn2_b32 exec_lo, exec_lo, s15
	s_cbranch_execnz .LBB173_23
; %bb.24:
	s_or_b32 exec_lo, exec_lo, s15
.LBB173_25:
	s_or_b32 exec_lo, exec_lo, s5
	ds_bpermute_b32 v1, v1, v6
	s_waitcnt lgkmcnt(0)
	v_add_f32_e32 v1, v6, v1
	ds_bpermute_b32 v2, v2, v1
	s_waitcnt lgkmcnt(0)
	v_add_f32_e32 v1, v1, v2
	;; [unrolled: 3-line block ×5, first 2 shown]
	s_and_saveexec_b32 s3, vcc_lo
; %bb.26:
	ds_write_b32 v5, v1 offset:176
; %bb.27:
	s_or_b32 exec_lo, exec_lo, s3
	s_waitcnt lgkmcnt(0)
	s_barrier
	buffer_gl0_inv
	s_and_saveexec_b32 s3, s1
; %bb.28:
	ds_read_b32 v1, v26 offset:176
; %bb.29:
	s_or_b32 exec_lo, exec_lo, s3
	s_waitcnt lgkmcnt(0)
	ds_bpermute_b32 v2, v56, v1
	s_waitcnt lgkmcnt(0)
	v_add_f32_e32 v1, v1, v2
	ds_bpermute_b32 v2, v55, v1
	s_waitcnt lgkmcnt(0)
	v_add_f32_e32 v1, v1, v2
	v_mov_b32_e32 v2, 0
	ds_bpermute_b32 v1, v2, v1
	s_and_saveexec_b32 s1, s2
	s_cbranch_execz .LBB173_32
; %bb.30:
	s_waitcnt lgkmcnt(0)
	v_add_f32_e32 v2, 0x358637bd, v1
	s_mov_b32 s2, 0
	v_div_scale_f32 v4, null, v2, v2, 1.0
	v_div_scale_f32 v7, vcc_lo, 1.0, v2, 1.0
	v_rcp_f32_e32 v5, v4
	v_fma_f32 v6, -v4, v5, 1.0
	v_fmac_f32_e32 v5, v6, v5
	v_mul_f32_e32 v6, v7, v5
	v_fma_f32 v8, -v4, v6, v7
	v_fmac_f32_e32 v6, v8, v5
	v_fma_f32 v4, -v4, v6, v7
	v_div_fmas_f32 v4, v4, v5, v6
	v_div_fixup_f32 v2, v4, v2, 1.0
	v_mov_b32_e32 v4, v81
.LBB173_31:                             ; =>This Inner Loop Header: Depth=1
	ds_read_b32 v5, v3
	v_add_nc_u32_e32 v4, 0x80, v4
	v_cmp_le_i32_e32 vcc_lo, s4, v4
	s_or_b32 s2, vcc_lo, s2
	s_waitcnt lgkmcnt(0)
	v_mul_f32_e32 v5, v2, v5
	ds_write_b32 v3, v5
	v_add_nc_u32_e32 v3, 0x200, v3
	s_andn2_b32 exec_lo, exec_lo, s2
	s_cbranch_execnz .LBB173_31
.LBB173_32:
	s_or_b32 exec_lo, exec_lo, s1
	s_mul_i32 s1, s7, s26
	s_waitcnt lgkmcnt(0)
	s_mul_i32 s4, s1, s9
	s_mov_b32 s1, exec_lo
	s_barrier
	buffer_gl0_inv
	v_cmpx_eq_u32_e32 0, v81
	s_cbranch_execz .LBB173_34
; %bb.33:
	s_ashr_i32 s5, s4, 31
	s_mul_i32 s40, s7, s6
	s_lshl_b64 s[2:3], s[4:5], 2
	v_mov_b32_e32 v2, 0
	s_add_u32 s5, s22, s2
	s_addc_u32 s6, s23, s3
	s_ashr_i32 s41, s40, 31
	s_lshl_b64 s[22:23], s[40:41], 2
	s_add_u32 s5, s5, s22
	s_addc_u32 s6, s6, s23
	s_ashr_i32 s9, s8, 31
	s_lshl_b64 s[40:41], s[8:9], 2
	s_add_u32 s42, s5, s40
	s_addc_u32 s43, s6, s41
	s_add_u32 s2, s20, s2
	s_addc_u32 s3, s21, s3
	;; [unrolled: 2-line block ×4, first 2 shown]
	global_store_dword v2, v0, s[42:43]
	global_store_dword v2, v1, s[2:3]
.LBB173_34:
	s_or_b32 exec_lo, exec_lo, s1
	v_mov_b32_e32 v67, 0
	v_and_b32_e32 v57, 3, v81
	v_mov_b32_e32 v66, 0
	v_mov_b32_e32 v65, 0
	;; [unrolled: 1-line block ×9, first 2 shown]
	s_and_saveexec_b32 s3, s0
	s_cbranch_execz .LBB173_60
; %bb.35:
	s_ashr_i32 s15, s14, 31
	s_sub_i32 s5, s38, s17
	s_lshl_b64 s[0:1], s[14:15], 1
	v_lshlrev_b32_e32 v3, 3, v81
	s_add_u32 s2, s34, s0
	s_addc_u32 s9, s35, s1
	s_abs_i32 s6, s18
	v_lshlrev_b32_e32 v5, 5, v57
	v_cvt_f32_u32_e32 v0, s6
	s_sub_i32 s0, 0, s6
	v_and_b32_e32 v69, 24, v3
	v_and_b32_e32 v4, 0x1f0, v10
	s_add_i32 s36, s36, -1
	v_rcp_iflag_f32_e32 v2, v0
	v_lshlrev_b64 v[0:1], 2, v[49:50]
	v_lshl_or_b32 v5, v25, 7, v5
	v_add_co_u32 v70, s2, s2, v4
	v_mov_b32_e32 v68, 0
	v_mov_b32_e32 v58, 0
	;; [unrolled: 1-line block ×5, first 2 shown]
	v_mul_f32_e32 v2, 0x4f7ffffe, v2
	v_mov_b32_e32 v62, 0
	v_mov_b32_e32 v63, 0
	;; [unrolled: 1-line block ×4, first 2 shown]
	v_cvt_u32_f32_e32 v2, v2
	v_mov_b32_e32 v66, 0
	v_mov_b32_e32 v82, v25
	v_add_co_ci_u32_e64 v71, null, s9, 0, s2
	v_mul_lo_u32 v3, s0, v2
	s_lshl_b64 s[0:1], s[30:31], 2
	v_add_nc_u32_e32 v72, 0xc0, v5
	s_add_u32 s0, s28, s0
	s_addc_u32 s1, s29, s1
	v_add_co_u32 v50, vcc_lo, s0, v0
	v_add_co_ci_u32_e64 v51, null, s1, v1, vcc_lo
	v_mul_hi_u32 v3, v2, v3
	v_mov_b32_e32 v67, 0
	s_mov_b32 s9, s13
	s_mov_b32 s14, s27
	;; [unrolled: 1-line block ×3, first 2 shown]
	v_add_nc_u32_e32 v73, v2, v3
	s_branch .LBB173_38
.LBB173_36:                             ;   in Loop: Header=BB173_38 Depth=1
	s_or_b32 exec_lo, exec_lo, s2
	s_waitcnt lgkmcnt(1)
	v_bfe_u32 v0, v33, 16, 1
	v_or_b32_e32 v52, 0x400000, v33
	v_bfe_u32 v53, v34, 16, 1
	v_cmp_u_f32_e32 vcc_lo, v33, v33
	v_bfe_u32 v74, v35, 16, 1
	v_add3_u32 v0, v0, v33, 0x7fff
	v_or_b32_e32 v75, 0x400000, v34
	v_add3_u32 v53, v53, v34, 0x7fff
	v_or_b32_e32 v76, 0x400000, v35
	v_add3_u32 v74, v74, v35, 0x7fff
	v_cndmask_b32_e32 v33, v0, v52, vcc_lo
	v_cmp_u_f32_e32 vcc_lo, v34, v34
	v_bfe_u32 v0, v36, 16, 1
	s_waitcnt lgkmcnt(0)
	v_bfe_u32 v52, v29, 16, 1
	s_waitcnt vmcnt(1)
	v_and_b32_e32 v78, 0xffff0000, v48
	v_and_b32_e32 v33, 0xffff0000, v33
	v_cndmask_b32_e32 v34, v53, v75, vcc_lo
	v_cmp_u_f32_e32 vcc_lo, v35, v35
	v_add3_u32 v0, v0, v36, 0x7fff
	v_or_b32_e32 v53, 0x400000, v36
	v_add3_u32 v52, v52, v29, 0x7fff
	v_bfe_u32 v75, v30, 16, 1
	v_cndmask_b32_e32 v35, v74, v76, vcc_lo
	v_cmp_u_f32_e32 vcc_lo, v36, v36
	v_or_b32_e32 v74, 0x400000, v29
	v_cndmask_b32_e32 v36, v0, v53, vcc_lo
	v_cmp_u_f32_e32 vcc_lo, v29, v29
	v_add3_u32 v29, v75, v30, 0x7fff
	v_or_b32_e32 v53, 0x400000, v30
	v_and_b32_e32 v0, 0xffff0000, v34
	v_and_b32_e32 v34, 0xffff0000, v45
	v_cndmask_b32_e32 v52, v52, v74, vcc_lo
	v_bfe_u32 v74, v31, 16, 1
	v_cmp_u_f32_e32 vcc_lo, v30, v30
	v_mul_f32_e32 v75, v0, v34
	v_lshlrev_b32_e32 v34, 16, v45
	v_cndmask_b32_e32 v30, v29, v53, vcc_lo
	v_add3_u32 v29, v74, v31, 0x7fff
	v_or_b32_e32 v53, 0x400000, v31
	v_bfe_u32 v74, v32, 16, 1
	v_cmp_u_f32_e32 vcc_lo, v31, v31
	v_mul_f32_e32 v76, v33, v34
	v_and_b32_e32 v34, 0xffff0000, v46
	v_and_b32_e32 v30, 0xffff0000, v30
	v_add3_u32 v31, v74, v32, 0x7fff
	v_cndmask_b32_e32 v45, v29, v53, vcc_lo
	v_or_b32_e32 v53, 0x400000, v32
	v_bfe_u32 v74, v75, 16, 1
	v_and_b32_e32 v29, 0xffff0000, v36
	v_cmp_u_f32_e32 vcc_lo, v32, v32
	v_or_b32_e32 v36, 0x400000, v75
	v_add3_u32 v32, v74, v75, 0x7fff
	v_mul_f32_e32 v74, v29, v34
	v_cndmask_b32_e32 v31, v31, v53, vcc_lo
	v_bfe_u32 v53, v76, 16, 1
	v_and_b32_e32 v34, 0xffff0000, v35
	v_lshlrev_b32_e32 v35, 16, v46
	v_cmp_u_f32_e32 vcc_lo, v75, v75
	v_or_b32_e32 v46, 0x400000, v76
	v_and_b32_e32 v31, 0xffff0000, v31
	v_mul_f32_e32 v75, v34, v35
	v_cndmask_b32_e32 v36, v32, v36, vcc_lo
	v_add3_u32 v32, v53, v76, 0x7fff
	v_bfe_u32 v53, v74, 16, 1
	v_and_b32_e32 v35, 0xffff0000, v47
	v_cmp_u_f32_e32 vcc_lo, v76, v76
	v_bfe_u32 v76, v75, 16, 1
	v_lshlrev_b32_e32 v47, 16, v47
	v_and_b32_e32 v36, 0xffff0000, v36
	v_mul_f32_e32 v77, v30, v35
	v_cndmask_b32_e32 v46, v32, v46, vcc_lo
	v_add3_u32 v32, v53, v74, 0x7fff
	v_or_b32_e32 v53, 0x400000, v74
	v_and_b32_e32 v35, 0xffff0000, v52
	v_cmp_u_f32_e32 vcc_lo, v74, v74
	v_or_b32_e32 v74, 0x400000, v75
	v_and_b32_e32 v46, 0xffff0000, v46
	v_mul_f32_e32 v47, v35, v47
	v_cndmask_b32_e32 v52, v32, v53, vcc_lo
	v_add3_u32 v53, v76, v75, 0x7fff
	v_bfe_u32 v76, v77, 16, 1
	v_and_b32_e32 v32, 0xffff0000, v45
	v_lshlrev_b32_e32 v45, 16, v48
	v_cmp_u_f32_e32 vcc_lo, v75, v75
	v_mul_f32_e32 v75, v31, v78
	v_or_b32_e32 v78, 0x400000, v47
	v_and_b32_e32 v52, 0xffff0000, v52
	v_mul_f32_e32 v45, v32, v45
	v_cndmask_b32_e32 v48, v53, v74, vcc_lo
	v_bfe_u32 v53, v47, 16, 1
	v_add3_u32 v74, v76, v77, 0x7fff
	v_or_b32_e32 v76, 0x400000, v77
	v_cmp_u_f32_e32 vcc_lo, v77, v77
	v_bfe_u32 v80, v45, 16, 1
	v_add3_u32 v53, v53, v47, 0x7fff
	v_bfe_u32 v79, v75, 16, 1
	v_or_b32_e32 v77, 0x400000, v45
	v_cndmask_b32_e32 v74, v74, v76, vcc_lo
	v_cmp_u_f32_e32 vcc_lo, v47, v47
	v_add3_u32 v76, v80, v45, 0x7fff
	v_and_b32_e32 v48, 0xffff0000, v48
	v_add_f32_e32 v36, v46, v36
	v_cndmask_b32_e32 v47, v53, v78, vcc_lo
	v_cmp_u_f32_e32 vcc_lo, v45, v45
	v_add3_u32 v53, v79, v75, 0x7fff
	v_or_b32_e32 v78, 0x400000, v75
	v_add_f32_e32 v46, v48, v52
	v_and_b32_e32 v47, 0xffff0000, v47
	v_cndmask_b32_e32 v45, v76, v77, vcc_lo
	v_cmp_u_f32_e32 vcc_lo, v75, v75
	v_and_b32_e32 v48, 0xffff0000, v74
	v_add_f32_e32 v36, v46, v36
	v_and_b32_e32 v45, 0xffff0000, v45
	v_cndmask_b32_e32 v52, v53, v78, vcc_lo
	v_add_f32_e32 v46, v47, v48
	v_and_b32_e32 v48, 0xffff0000, v41
	v_lshlrev_b32_e32 v41, 16, v41
	v_and_b32_e32 v53, 0xffff0000, v44
	v_and_b32_e32 v47, 0xffff0000, v52
	v_add_f32_e32 v36, v46, v36
	v_mul_f32_e32 v46, v0, v48
	v_mul_f32_e32 v41, v33, v41
	v_and_b32_e32 v48, 0xffff0000, v42
	v_add_f32_e32 v45, v45, v47
	v_lshlrev_b32_e32 v42, 16, v42
	v_cmp_u_f32_e32 vcc_lo, v46, v46
	v_bfe_u32 v47, v41, 16, 1
	v_mul_f32_e32 v48, v29, v48
	v_add_f32_e32 v36, v45, v36
	v_bfe_u32 v45, v46, 16, 1
	v_or_b32_e32 v52, 0x400000, v41
	v_add3_u32 v47, v47, v41, 0x7fff
	v_mul_f32_e32 v42, v34, v42
	v_add_f32_e32 v59, v59, v36
	v_add3_u32 v36, v45, v46, 0x7fff
	v_or_b32_e32 v45, 0x400000, v46
	v_and_b32_e32 v46, 0xffff0000, v43
	v_lshlrev_b32_e32 v43, 16, v43
	v_lshlrev_b32_e32 v44, 16, v44
	v_cndmask_b32_e32 v36, v36, v45, vcc_lo
	v_bfe_u32 v45, v48, 16, 1
	v_cmp_u_f32_e32 vcc_lo, v41, v41
	v_mul_f32_e32 v46, v30, v46
	v_mul_f32_e32 v43, v35, v43
	;; [unrolled: 1-line block ×3, first 2 shown]
	v_add3_u32 v45, v45, v48, 0x7fff
	v_cndmask_b32_e32 v41, v47, v52, vcc_lo
	v_or_b32_e32 v47, 0x400000, v48
	v_bfe_u32 v52, v42, 16, 1
	v_cmp_u_f32_e32 vcc_lo, v48, v48
	v_or_b32_e32 v48, 0x400000, v42
	v_bfe_u32 v74, v43, 16, 1
	v_and_b32_e32 v41, 0xffff0000, v41
	v_and_b32_e32 v36, 0xffff0000, v36
	v_cndmask_b32_e32 v45, v45, v47, vcc_lo
	v_add3_u32 v47, v52, v42, 0x7fff
	v_bfe_u32 v52, v46, 16, 1
	v_cmp_u_f32_e32 vcc_lo, v42, v42
	v_add_f32_e32 v36, v41, v36
	v_and_b32_e32 v45, 0xffff0000, v45
	v_cndmask_b32_e32 v42, v47, v48, vcc_lo
	v_add3_u32 v47, v52, v46, 0x7fff
	v_mul_f32_e32 v48, v31, v53
	v_or_b32_e32 v52, 0x400000, v46
	v_cmp_u_f32_e32 vcc_lo, v46, v46
	v_add3_u32 v53, v74, v43, 0x7fff
	v_or_b32_e32 v74, 0x400000, v43
	v_bfe_u32 v75, v48, 16, 1
	v_and_b32_e32 v42, 0xffff0000, v42
	v_cndmask_b32_e32 v46, v47, v52, vcc_lo
	v_cmp_u_f32_e32 vcc_lo, v43, v43
	v_or_b32_e32 v52, 0x400000, v48
	v_add3_u32 v47, v75, v48, 0x7fff
	v_add_f32_e32 v41, v42, v45
	v_and_b32_e32 v45, 0xffff0000, v46
	v_cndmask_b32_e32 v43, v53, v74, vcc_lo
	v_bfe_u32 v53, v44, 16, 1
	v_cmp_u_f32_e32 vcc_lo, v48, v48
	v_add_f32_e32 v36, v41, v36
	v_and_b32_e32 v42, 0xffff0000, v43
	v_add3_u32 v48, v53, v44, 0x7fff
	v_cndmask_b32_e32 v47, v47, v52, vcc_lo
	v_or_b32_e32 v52, 0x400000, v44
	v_and_b32_e32 v43, 0xffff0000, v37
	v_cmp_u_f32_e32 vcc_lo, v44, v44
	v_add_f32_e32 v42, v42, v45
	v_lshlrev_b32_e32 v37, 16, v37
	v_mul_f32_e32 v41, v0, v43
	v_cndmask_b32_e32 v44, v48, v52, vcc_lo
	v_add_f32_e32 v36, v42, v36
	v_mul_f32_e32 v37, v33, v37
	v_and_b32_e32 v42, 0xffff0000, v38
	v_bfe_u32 v45, v41, 16, 1
	v_and_b32_e32 v43, 0xffff0000, v44
	v_and_b32_e32 v44, 0xffff0000, v47
	v_bfe_u32 v46, v37, 16, 1
	v_mul_f32_e32 v42, v29, v42
	v_lshlrev_b32_e32 v38, 16, v38
	v_cmp_u_f32_e32 vcc_lo, v41, v41
	v_add_f32_e32 v43, v43, v44
	v_add3_u32 v44, v45, v41, 0x7fff
	v_or_b32_e32 v45, 0x400000, v41
	v_mul_f32_e32 v38, v34, v38
	v_and_b32_e32 v47, 0xffff0000, v39
	v_lshlrev_b32_e32 v39, 16, v39
	v_and_b32_e32 v48, 0xffff0000, v40
	v_cndmask_b32_e32 v41, v44, v45, vcc_lo
	v_add3_u32 v44, v46, v37, 0x7fff
	v_or_b32_e32 v45, 0x400000, v37
	v_bfe_u32 v46, v42, 16, 1
	v_cmp_u_f32_e32 vcc_lo, v37, v37
	v_mul_f32_e32 v47, v30, v47
	v_mul_f32_e32 v39, v35, v39
	v_lshlrev_b32_e32 v40, 16, v40
	v_and_b32_e32 v41, 0xffff0000, v41
	v_cndmask_b32_e32 v37, v44, v45, vcc_lo
	v_add3_u32 v44, v46, v42, 0x7fff
	v_or_b32_e32 v45, 0x400000, v42
	v_bfe_u32 v46, v38, 16, 1
	v_cmp_u_f32_e32 vcc_lo, v42, v42
	v_mul_f32_e32 v40, v32, v40
	v_or_b32_e32 v52, 0x400000, v39
	v_and_b32_e32 v37, 0xffff0000, v37
	v_add_f32_e32 v36, v43, v36
	v_cndmask_b32_e32 v42, v44, v45, vcc_lo
	v_add3_u32 v44, v46, v38, 0x7fff
	v_or_b32_e32 v45, 0x400000, v38
	v_bfe_u32 v46, v47, 16, 1
	v_cmp_u_f32_e32 vcc_lo, v38, v38
	v_and_b32_e32 v42, 0xffff0000, v42
	v_add_f32_e32 v37, v37, v41
	v_add_f32_e32 v60, v60, v36
	v_cndmask_b32_e32 v38, v44, v45, vcc_lo
	v_bfe_u32 v44, v39, 16, 1
	v_add3_u32 v45, v46, v47, 0x7fff
	v_mul_f32_e32 v46, v31, v48
	v_or_b32_e32 v48, 0x400000, v47
	v_cmp_u_f32_e32 vcc_lo, v47, v47
	v_add3_u32 v44, v44, v39, 0x7fff
	v_bfe_u32 v47, v40, 16, 1
	v_bfe_u32 v53, v46, 16, 1
	v_and_b32_e32 v38, 0xffff0000, v38
	v_cndmask_b32_e32 v45, v45, v48, vcc_lo
	v_cmp_u_f32_e32 vcc_lo, v39, v39
	v_add3_u32 v47, v47, v40, 0x7fff
	v_or_b32_e32 v48, 0x400000, v46
	v_add_f32_e32 v38, v38, v42
	v_and_b32_e32 v41, 0xffff0000, v45
	v_cndmask_b32_e32 v39, v44, v52, vcc_lo
	v_or_b32_e32 v52, 0x400000, v40
	v_cmp_u_f32_e32 vcc_lo, v40, v40
	v_add3_u32 v44, v53, v46, 0x7fff
	v_add_f32_e32 v37, v38, v37
	v_and_b32_e32 v39, 0xffff0000, v39
	v_cndmask_b32_e32 v40, v47, v52, vcc_lo
	v_cmp_u_f32_e32 vcc_lo, v46, v46
	v_add_f32_e32 v38, v39, v41
	v_and_b32_e32 v39, 0xffff0000, v25
	v_and_b32_e32 v40, 0xffff0000, v40
	v_cndmask_b32_e32 v42, v44, v48, vcc_lo
	v_lshlrev_b32_e32 v25, 16, v25
	v_add_f32_e32 v37, v38, v37
	v_mul_f32_e32 v39, v0, v39
	v_and_b32_e32 v41, 0xffff0000, v42
	v_mul_f32_e32 v25, v33, v25
	v_cmp_u_f32_e32 vcc_lo, v39, v39
	v_add_f32_e32 v38, v40, v41
	v_and_b32_e32 v40, 0xffff0000, v26
	v_bfe_u32 v41, v39, 16, 1
	v_bfe_u32 v36, v25, 16, 1
	v_lshlrev_b32_e32 v26, 16, v26
	v_add_f32_e32 v37, v38, v37
	v_mul_f32_e32 v38, v29, v40
	v_add3_u32 v40, v41, v39, 0x7fff
	v_or_b32_e32 v41, 0x400000, v39
	v_add3_u32 v36, v36, v25, 0x7fff
	v_or_b32_e32 v42, 0x400000, v25
	v_bfe_u32 v43, v38, 16, 1
	v_mul_f32_e32 v26, v34, v26
	v_cndmask_b32_e32 v39, v40, v41, vcc_lo
	v_cmp_u_f32_e32 vcc_lo, v25, v25
	v_and_b32_e32 v41, 0xffff0000, v27
	v_or_b32_e32 v40, 0x400000, v38
	v_lshlrev_b32_e32 v27, 16, v27
	v_and_b32_e32 v39, 0xffff0000, v39
	v_cndmask_b32_e32 v25, v36, v42, vcc_lo
	v_add3_u32 v36, v43, v38, 0x7fff
	v_bfe_u32 v42, v26, 16, 1
	v_cmp_u_f32_e32 vcc_lo, v38, v38
	v_mul_f32_e32 v38, v30, v41
	v_mul_f32_e32 v27, v35, v27
	v_or_b32_e32 v41, 0x400000, v26
	v_and_b32_e32 v25, 0xffff0000, v25
	v_cndmask_b32_e32 v36, v36, v40, vcc_lo
	v_add3_u32 v40, v42, v26, 0x7fff
	v_and_b32_e32 v42, 0xffff0000, v28
	v_bfe_u32 v43, v38, 16, 1
	v_cmp_u_f32_e32 vcc_lo, v26, v26
	v_bfe_u32 v44, v27, 16, 1
	v_lshlrev_b32_e32 v28, 16, v28
	v_and_b32_e32 v36, 0xffff0000, v36
	v_add_f32_e32 v25, v25, v39
	v_cndmask_b32_e32 v26, v40, v41, vcc_lo
	v_mul_f32_e32 v40, v31, v42
	v_add3_u32 v41, v43, v38, 0x7fff
	v_or_b32_e32 v42, 0x400000, v38
	v_cmp_u_f32_e32 vcc_lo, v38, v38
	v_add3_u32 v43, v44, v27, 0x7fff
	v_or_b32_e32 v44, 0x400000, v27
	v_bfe_u32 v45, v40, 16, 1
	v_and_b32_e32 v26, 0xffff0000, v26
	v_cndmask_b32_e32 v38, v41, v42, vcc_lo
	v_cmp_u_f32_e32 vcc_lo, v27, v27
	v_or_b32_e32 v42, 0x400000, v40
	v_add3_u32 v41, v45, v40, 0x7fff
	v_mul_f32_e32 v28, v32, v28
	v_add_f32_e32 v26, v26, v36
	v_cndmask_b32_e32 v27, v43, v44, vcc_lo
	v_cmp_u_f32_e32 vcc_lo, v40, v40
	v_and_b32_e32 v36, 0xffff0000, v21
	v_and_b32_e32 v38, 0xffff0000, v38
	v_add_f32_e32 v25, v26, v25
	v_and_b32_e32 v27, 0xffff0000, v27
	v_cndmask_b32_e32 v40, v41, v42, vcc_lo
	v_bfe_u32 v41, v28, 16, 1
	v_mul_f32_e32 v26, v0, v36
	v_lshlrev_b32_e32 v21, 16, v21
	v_add_f32_e32 v27, v27, v38
	v_cmp_u_f32_e32 vcc_lo, v28, v28
	v_add3_u32 v39, v41, v28, 0x7fff
	v_or_b32_e32 v41, 0x400000, v28
	v_bfe_u32 v36, v26, 16, 1
	v_add_f32_e32 v25, v27, v25
	v_mul_f32_e32 v21, v33, v21
	v_and_b32_e32 v27, 0xffff0000, v22
	v_cndmask_b32_e32 v28, v39, v41, vcc_lo
	v_add3_u32 v36, v36, v26, 0x7fff
	v_or_b32_e32 v38, 0x400000, v26
	v_bfe_u32 v39, v21, 16, 1
	v_mul_f32_e32 v27, v29, v27
	v_lshlrev_b32_e32 v22, 16, v22
	v_cmp_u_f32_e32 vcc_lo, v26, v26
	v_and_b32_e32 v41, 0xffff0000, v23
	v_lshlrev_b32_e32 v23, 16, v23
	v_and_b32_e32 v42, 0xffff0000, v24
	v_mul_f32_e32 v22, v34, v22
	v_cndmask_b32_e32 v26, v36, v38, vcc_lo
	v_add3_u32 v36, v39, v21, 0x7fff
	v_or_b32_e32 v38, 0x400000, v21
	v_bfe_u32 v39, v27, 16, 1
	v_cmp_u_f32_e32 vcc_lo, v21, v21
	v_mul_f32_e32 v41, v30, v41
	v_mul_f32_e32 v23, v35, v23
	v_lshlrev_b32_e32 v24, 16, v24
	v_and_b32_e32 v26, 0xffff0000, v26
	v_cndmask_b32_e32 v21, v36, v38, vcc_lo
	v_add3_u32 v36, v39, v27, 0x7fff
	v_or_b32_e32 v38, 0x400000, v27
	v_bfe_u32 v39, v22, 16, 1
	v_cmp_u_f32_e32 vcc_lo, v27, v27
	v_mul_f32_e32 v24, v32, v24
	v_or_b32_e32 v43, 0x400000, v23
	v_and_b32_e32 v21, 0xffff0000, v21
	v_and_b32_e32 v28, 0xffff0000, v28
	v_cndmask_b32_e32 v27, v36, v38, vcc_lo
	v_add3_u32 v36, v39, v22, 0x7fff
	v_or_b32_e32 v38, 0x400000, v22
	v_bfe_u32 v39, v41, 16, 1
	v_cmp_u_f32_e32 vcc_lo, v22, v22
	v_bfe_u32 v45, v24, 16, 1
	v_and_b32_e32 v27, 0xffff0000, v27
	v_add_f32_e32 v21, v21, v26
	v_add_f32_e32 v61, v61, v37
	v_cndmask_b32_e32 v22, v36, v38, vcc_lo
	v_bfe_u32 v36, v23, 16, 1
	v_add3_u32 v38, v39, v41, 0x7fff
	v_mul_f32_e32 v39, v31, v42
	v_or_b32_e32 v42, 0x400000, v41
	v_cmp_u_f32_e32 vcc_lo, v41, v41
	v_add3_u32 v36, v36, v23, 0x7fff
	v_add3_u32 v41, v45, v24, 0x7fff
	v_bfe_u32 v44, v39, 16, 1
	v_and_b32_e32 v22, 0xffff0000, v22
	v_cndmask_b32_e32 v38, v38, v42, vcc_lo
	v_cmp_u_f32_e32 vcc_lo, v23, v23
	v_or_b32_e32 v42, 0x400000, v24
	v_add_f32_e32 v22, v22, v27
	v_and_b32_e32 v26, 0xffff0000, v38
	v_cndmask_b32_e32 v23, v36, v43, vcc_lo
	v_cmp_u_f32_e32 vcc_lo, v24, v24
	v_add3_u32 v36, v44, v39, 0x7fff
	v_or_b32_e32 v43, 0x400000, v39
	v_add_f32_e32 v21, v22, v21
	v_and_b32_e32 v23, 0xffff0000, v23
	v_cndmask_b32_e32 v24, v41, v42, vcc_lo
	v_cmp_u_f32_e32 vcc_lo, v39, v39
	v_add_f32_e32 v22, v23, v26
	v_and_b32_e32 v23, 0xffff0000, v24
	v_cndmask_b32_e32 v27, v36, v43, vcc_lo
	v_and_b32_e32 v36, 0xffff0000, v40
	v_and_b32_e32 v26, 0xffff0000, v17
	v_lshlrev_b32_e32 v17, 16, v17
	v_add_f32_e32 v21, v22, v21
	v_and_b32_e32 v24, 0xffff0000, v27
	v_add_f32_e32 v27, v28, v36
	v_mul_f32_e32 v17, v33, v17
	v_add_f32_e32 v22, v23, v24
	v_mul_f32_e32 v23, v0, v26
	v_add_f32_e32 v24, v27, v25
	v_and_b32_e32 v25, 0xffff0000, v18
	v_lshlrev_b32_e32 v18, 16, v18
	v_add_f32_e32 v21, v22, v21
	v_bfe_u32 v22, v23, 16, 1
	v_add_f32_e32 v62, v62, v24
	v_bfe_u32 v24, v17, 16, 1
	v_mul_f32_e32 v25, v29, v25
	v_add_f32_e32 v63, v63, v21
	v_add3_u32 v21, v22, v23, 0x7fff
	v_or_b32_e32 v22, 0x400000, v23
	v_cmp_u_f32_e32 vcc_lo, v23, v23
	v_add3_u32 v24, v24, v17, 0x7fff
	v_or_b32_e32 v26, 0x400000, v17
	v_mul_f32_e32 v18, v34, v18
	v_and_b32_e32 v23, 0xffff0000, v19
	v_cndmask_b32_e32 v21, v21, v22, vcc_lo
	v_bfe_u32 v22, v25, 16, 1
	v_cmp_u_f32_e32 vcc_lo, v17, v17
	v_lshlrev_b32_e32 v19, 16, v19
	v_mul_f32_e32 v23, v30, v23
	v_and_b32_e32 v27, 0xffff0000, v20
	v_add3_u32 v22, v22, v25, 0x7fff
	v_cndmask_b32_e32 v17, v24, v26, vcc_lo
	v_or_b32_e32 v24, 0x400000, v25
	v_bfe_u32 v26, v18, 16, 1
	v_cmp_u_f32_e32 vcc_lo, v25, v25
	v_mul_f32_e32 v19, v35, v19
	v_or_b32_e32 v25, 0x400000, v18
	v_lshlrev_b32_e32 v20, 16, v20
	v_and_b32_e32 v17, 0xffff0000, v17
	v_cndmask_b32_e32 v22, v22, v24, vcc_lo
	v_add3_u32 v24, v26, v18, 0x7fff
	v_bfe_u32 v26, v23, 16, 1
	v_cmp_u_f32_e32 vcc_lo, v18, v18
	v_bfe_u32 v28, v19, 16, 1
	v_mul_f32_e32 v20, v32, v20
	v_and_b32_e32 v21, 0xffff0000, v21
	v_and_b32_e32 v22, 0xffff0000, v22
	v_cndmask_b32_e32 v18, v24, v25, vcc_lo
	v_add3_u32 v24, v26, v23, 0x7fff
	v_mul_f32_e32 v25, v31, v27
	v_or_b32_e32 v26, 0x400000, v23
	v_cmp_u_f32_e32 vcc_lo, v23, v23
	v_add3_u32 v27, v28, v19, 0x7fff
	v_or_b32_e32 v28, 0x400000, v19
	v_bfe_u32 v36, v25, 16, 1
	v_and_b32_e32 v18, 0xffff0000, v18
	v_cndmask_b32_e32 v23, v24, v26, vcc_lo
	v_cmp_u_f32_e32 vcc_lo, v19, v19
	v_or_b32_e32 v26, 0x400000, v25
	v_add3_u32 v24, v36, v25, 0x7fff
	v_add_f32_e32 v17, v17, v21
	v_add_f32_e32 v18, v18, v22
	v_cndmask_b32_e32 v19, v27, v28, vcc_lo
	v_bfe_u32 v27, v20, 16, 1
	v_cmp_u_f32_e32 vcc_lo, v25, v25
	v_and_b32_e32 v22, 0xffff0000, v9
	v_and_b32_e32 v21, 0xffff0000, v23
	;; [unrolled: 1-line block ×3, first 2 shown]
	v_add3_u32 v25, v27, v20, 0x7fff
	v_cndmask_b32_e32 v24, v24, v26, vcc_lo
	v_or_b32_e32 v26, 0x400000, v20
	v_cmp_u_f32_e32 vcc_lo, v20, v20
	v_lshlrev_b32_e32 v9, 16, v9
	v_add_f32_e32 v17, v18, v17
	v_mul_f32_e32 v18, v0, v22
	v_add_f32_e32 v19, v19, v21
	v_cndmask_b32_e32 v20, v25, v26, vcc_lo
	v_mul_f32_e32 v21, v33, v9
	v_and_b32_e32 v22, 0xffff0000, v24
	v_bfe_u32 v23, v18, 16, 1
	v_and_b32_e32 v24, 0xffff0000, v10
	v_and_b32_e32 v20, 0xffff0000, v20
	v_add_f32_e32 v9, v19, v17
	v_bfe_u32 v19, v21, 16, 1
	v_lshlrev_b32_e32 v10, 16, v10
	v_cmp_u_f32_e32 vcc_lo, v18, v18
	v_add_f32_e32 v17, v20, v22
	v_add3_u32 v20, v23, v18, 0x7fff
	v_or_b32_e32 v22, 0x400000, v18
	v_mul_f32_e32 v23, v29, v24
	v_add3_u32 v19, v19, v21, 0x7fff
	v_or_b32_e32 v24, 0x400000, v21
	v_mul_f32_e32 v10, v34, v10
	v_cndmask_b32_e32 v18, v20, v22, vcc_lo
	v_bfe_u32 v20, v23, 16, 1
	v_cmp_u_f32_e32 vcc_lo, v21, v21
	v_and_b32_e32 v21, 0xffff0000, v11
	v_or_b32_e32 v22, 0x400000, v23
	v_lshlrev_b32_e32 v11, 16, v11
	v_add3_u32 v20, v20, v23, 0x7fff
	v_cndmask_b32_e32 v19, v19, v24, vcc_lo
	v_bfe_u32 v24, v10, 16, 1
	v_mul_f32_e32 v21, v30, v21
	v_cmp_u_f32_e32 vcc_lo, v23, v23
	v_mul_f32_e32 v11, v35, v11
	v_or_b32_e32 v23, 0x400000, v10
	v_and_b32_e32 v25, 0xffff0000, v12
	v_lshlrev_b32_e32 v12, 16, v12
	v_cndmask_b32_e32 v20, v20, v22, vcc_lo
	v_add3_u32 v22, v24, v10, 0x7fff
	v_bfe_u32 v24, v21, 16, 1
	v_cmp_u_f32_e32 vcc_lo, v10, v10
	v_bfe_u32 v26, v11, 16, 1
	v_mul_f32_e32 v12, v32, v12
	v_and_b32_e32 v19, 0xffff0000, v19
	v_and_b32_e32 v18, 0xffff0000, v18
	v_cndmask_b32_e32 v10, v22, v23, vcc_lo
	v_add3_u32 v22, v24, v21, 0x7fff
	v_mul_f32_e32 v23, v31, v25
	v_or_b32_e32 v24, 0x400000, v21
	v_cmp_u_f32_e32 vcc_lo, v21, v21
	v_add3_u32 v25, v26, v11, 0x7fff
	v_or_b32_e32 v26, 0x400000, v11
	v_bfe_u32 v27, v23, 16, 1
	v_and_b32_e32 v10, 0xffff0000, v10
	v_cndmask_b32_e32 v21, v22, v24, vcc_lo
	v_cmp_u_f32_e32 vcc_lo, v11, v11
	v_or_b32_e32 v24, 0x400000, v23
	v_add3_u32 v22, v27, v23, 0x7fff
	v_and_b32_e32 v20, 0xffff0000, v20
	v_add_f32_e32 v18, v19, v18
	v_cndmask_b32_e32 v11, v25, v26, vcc_lo
	v_bfe_u32 v25, v12, 16, 1
	v_cmp_u_f32_e32 vcc_lo, v23, v23
	v_add_f32_e32 v10, v10, v20
	v_and_b32_e32 v20, 0xffff0000, v5
	v_and_b32_e32 v11, 0xffff0000, v11
	v_add3_u32 v23, v25, v12, 0x7fff
	v_cndmask_b32_e32 v22, v22, v24, vcc_lo
	v_or_b32_e32 v24, 0x400000, v12
	v_cmp_u_f32_e32 vcc_lo, v12, v12
	v_and_b32_e32 v19, 0xffff0000, v21
	v_lshlrev_b32_e32 v5, 16, v5
	v_add_f32_e32 v10, v10, v18
	v_mul_f32_e32 v18, v0, v20
	v_cndmask_b32_e32 v12, v23, v24, vcc_lo
	v_add_f32_e32 v11, v11, v19
	v_mul_f32_e32 v19, v33, v5
	v_and_b32_e32 v20, 0xffff0000, v22
	v_and_b32_e32 v21, 0xffff0000, v6
	;; [unrolled: 1-line block ×3, first 2 shown]
	v_bfe_u32 v22, v18, 16, 1
	v_add_f32_e32 v5, v11, v10
	v_bfe_u32 v11, v19, 16, 1
	v_cmp_u_f32_e32 vcc_lo, v18, v18
	v_add_f32_e32 v10, v12, v20
	v_mul_f32_e32 v12, v29, v21
	v_add3_u32 v20, v22, v18, 0x7fff
	v_or_b32_e32 v21, 0x400000, v18
	v_add3_u32 v11, v11, v19, 0x7fff
	v_or_b32_e32 v22, 0x400000, v19
	v_bfe_u32 v23, v12, 16, 1
	v_lshlrev_b32_e32 v6, 16, v6
	v_cndmask_b32_e32 v18, v20, v21, vcc_lo
	v_cmp_u_f32_e32 vcc_lo, v19, v19
	v_or_b32_e32 v20, 0x400000, v12
	v_add3_u32 v19, v23, v12, 0x7fff
	v_mul_f32_e32 v6, v34, v6
	v_and_b32_e32 v21, 0xffff0000, v7
	v_cndmask_b32_e32 v11, v11, v22, vcc_lo
	v_cmp_u_f32_e32 vcc_lo, v12, v12
	v_lshlrev_b32_e32 v7, 16, v7
	v_bfe_u32 v22, v6, 16, 1
	v_and_b32_e32 v18, 0xffff0000, v18
	v_and_b32_e32 v11, 0xffff0000, v11
	v_cndmask_b32_e32 v12, v19, v20, vcc_lo
	v_mul_f32_e32 v19, v30, v21
	v_mul_f32_e32 v7, v35, v7
	v_add3_u32 v20, v22, v6, 0x7fff
	v_or_b32_e32 v21, 0x400000, v6
	v_and_b32_e32 v22, 0xffff0000, v8
	v_bfe_u32 v23, v19, 16, 1
	v_cmp_u_f32_e32 vcc_lo, v6, v6
	v_bfe_u32 v24, v7, 16, 1
	v_lshlrev_b32_e32 v8, 16, v8
	v_and_b32_e32 v12, 0xffff0000, v12
	v_add_f32_e32 v11, v11, v18
	v_cndmask_b32_e32 v6, v20, v21, vcc_lo
	v_mul_f32_e32 v20, v31, v22
	v_add3_u32 v21, v23, v19, 0x7fff
	v_or_b32_e32 v22, 0x400000, v19
	v_cmp_u_f32_e32 vcc_lo, v19, v19
	v_add3_u32 v23, v24, v7, 0x7fff
	v_or_b32_e32 v24, 0x400000, v7
	v_bfe_u32 v25, v20, 16, 1
	v_and_b32_e32 v6, 0xffff0000, v6
	v_cndmask_b32_e32 v19, v21, v22, vcc_lo
	v_cmp_u_f32_e32 vcc_lo, v7, v7
	v_or_b32_e32 v22, 0x400000, v20
	v_add3_u32 v21, v25, v20, 0x7fff
	v_mul_f32_e32 v8, v32, v8
	v_add_f32_e32 v6, v6, v12
	v_cndmask_b32_e32 v7, v23, v24, vcc_lo
	v_cmp_u_f32_e32 vcc_lo, v20, v20
	v_and_b32_e32 v12, 0xffff0000, v1
	v_and_b32_e32 v18, 0xffff0000, v19
	v_add_f32_e32 v6, v6, v11
	v_and_b32_e32 v7, 0xffff0000, v7
	v_cndmask_b32_e32 v20, v21, v22, vcc_lo
	v_bfe_u32 v21, v8, 16, 1
	v_mul_f32_e32 v11, v0, v12
	v_lshlrev_b32_e32 v1, 16, v1
	v_add_f32_e32 v7, v7, v18
	v_cmp_u_f32_e32 vcc_lo, v8, v8
	v_add3_u32 v19, v21, v8, 0x7fff
	v_or_b32_e32 v21, 0x400000, v8
	v_bfe_u32 v12, v11, 16, 1
	v_add_f32_e32 v6, v7, v6
	v_and_b32_e32 v7, 0xffff0000, v2
	v_mul_f32_e32 v1, v33, v1
	v_cndmask_b32_e32 v8, v19, v21, vcc_lo
	v_add3_u32 v12, v12, v11, 0x7fff
	v_or_b32_e32 v18, 0x400000, v11
	v_mul_f32_e32 v7, v29, v7
	v_and_b32_e32 v19, 0xffff0000, v20
	v_bfe_u32 v20, v1, 16, 1
	v_cmp_u_f32_e32 vcc_lo, v11, v11
	v_lshlrev_b32_e32 v2, 16, v2
	v_or_b32_e32 v21, 0x400000, v1
	v_or_b32_e32 v22, 0x400000, v7
	v_and_b32_e32 v8, 0xffff0000, v8
	v_cndmask_b32_e32 v11, v12, v18, vcc_lo
	v_bfe_u32 v12, v7, 16, 1
	v_add3_u32 v18, v20, v1, 0x7fff
	v_and_b32_e32 v20, 0xffff0000, v3
	v_mul_f32_e32 v2, v34, v2
	v_cmp_u_f32_e32 vcc_lo, v1, v1
	v_add3_u32 v12, v12, v7, 0x7fff
	v_lshlrev_b32_e32 v3, 16, v3
	v_mul_f32_e32 v20, v30, v20
	v_and_b32_e32 v11, 0xffff0000, v11
	v_cndmask_b32_e32 v1, v18, v21, vcc_lo
	v_bfe_u32 v18, v2, 16, 1
	v_cmp_u_f32_e32 vcc_lo, v7, v7
	v_and_b32_e32 v21, 0xffff0000, v4
	v_mul_f32_e32 v3, v35, v3
	v_or_b32_e32 v23, 0x400000, v20
	v_add3_u32 v18, v18, v2, 0x7fff
	v_cndmask_b32_e32 v7, v12, v22, vcc_lo
	v_bfe_u32 v12, v20, 16, 1
	v_or_b32_e32 v22, 0x400000, v2
	v_cmp_u_f32_e32 vcc_lo, v2, v2
	v_mul_f32_e32 v21, v31, v21
	v_lshlrev_b32_e32 v4, 16, v4
	v_add3_u32 v12, v12, v20, 0x7fff
	v_and_b32_e32 v1, 0xffff0000, v1
	v_cndmask_b32_e32 v2, v18, v22, vcc_lo
	v_bfe_u32 v18, v3, 16, 1
	v_cmp_u_f32_e32 vcc_lo, v20, v20
	v_bfe_u32 v22, v21, 16, 1
	v_or_b32_e32 v20, 0x400000, v3
	v_mul_f32_e32 v4, v32, v4
	v_add3_u32 v18, v18, v3, 0x7fff
	v_cndmask_b32_e32 v12, v12, v23, vcc_lo
	v_cmp_u_f32_e32 vcc_lo, v3, v3
	v_add3_u32 v22, v22, v21, 0x7fff
	v_or_b32_e32 v23, 0x400000, v21
	v_and_b32_e32 v2, 0xffff0000, v2
	v_and_b32_e32 v7, 0xffff0000, v7
	v_cndmask_b32_e32 v3, v18, v20, vcc_lo
	v_cmp_u_f32_e32 vcc_lo, v21, v21
	v_bfe_u32 v20, v4, 16, 1
	v_add_f32_e32 v1, v1, v11
	v_add_f32_e32 v2, v2, v7
	v_and_b32_e32 v3, 0xffff0000, v3
	v_cndmask_b32_e32 v18, v22, v23, vcc_lo
	s_waitcnt vmcnt(0)
	v_lshlrev_b32_e32 v22, 16, v13
	v_and_b32_e32 v7, 0xffff0000, v12
	v_and_b32_e32 v12, 0xffff0000, v13
	v_add3_u32 v20, v20, v4, 0x7fff
	v_or_b32_e32 v21, 0x400000, v4
	v_mul_f32_e32 v11, v33, v22
	v_cmp_u_f32_e32 vcc_lo, v4, v4
	v_add_f32_e32 v1, v2, v1
	v_add_f32_e32 v3, v3, v7
	v_mul_f32_e32 v0, v0, v12
	v_bfe_u32 v2, v11, 16, 1
	v_lshlrev_b32_e32 v7, 16, v14
	v_cndmask_b32_e32 v4, v20, v21, vcc_lo
	v_or_b32_e32 v12, 0x400000, v11
	v_bfe_u32 v13, v0, 16, 1
	v_add3_u32 v2, v2, v11, 0x7fff
	v_mul_f32_e32 v7, v34, v7
	v_and_b32_e32 v14, 0xffff0000, v14
	v_cmp_u_f32_e32 vcc_lo, v11, v11
	v_add3_u32 v11, v13, v0, 0x7fff
	v_lshlrev_b32_e32 v20, 16, v15
	v_bfe_u32 v13, v7, 16, 1
	v_mul_f32_e32 v14, v29, v14
	v_cndmask_b32_e32 v2, v2, v12, vcc_lo
	v_or_b32_e32 v12, 0x400000, v0
	v_cmp_u_f32_e32 vcc_lo, v0, v0
	v_mul_f32_e32 v20, v35, v20
	v_and_b32_e32 v15, 0xffff0000, v15
	v_lshlrev_b32_e32 v21, 16, v16
	v_and_b32_e32 v16, 0xffff0000, v16
	v_cndmask_b32_e32 v0, v11, v12, vcc_lo
	v_add3_u32 v11, v13, v7, 0x7fff
	v_or_b32_e32 v12, 0x400000, v7
	v_bfe_u32 v13, v14, 16, 1
	v_cmp_u_f32_e32 vcc_lo, v7, v7
	v_mul_f32_e32 v15, v30, v15
	v_mul_f32_e32 v16, v31, v16
	v_and_b32_e32 v0, 0xffff0000, v0
	v_and_b32_e32 v2, 0xffff0000, v2
	v_cndmask_b32_e32 v7, v11, v12, vcc_lo
	v_add3_u32 v11, v13, v14, 0x7fff
	v_or_b32_e32 v12, 0x400000, v14
	v_bfe_u32 v13, v20, 16, 1
	v_cmp_u_f32_e32 vcc_lo, v14, v14
	v_mul_f32_e32 v14, v32, v21
	v_or_b32_e32 v21, 0x400000, v20
	v_or_b32_e32 v22, 0x400000, v15
	v_add3_u32 v13, v13, v20, 0x7fff
	v_cndmask_b32_e32 v11, v11, v12, vcc_lo
	v_bfe_u32 v12, v15, 16, 1
	v_cmp_u_f32_e32 vcc_lo, v20, v20
	v_bfe_u32 v24, v16, 16, 1
	v_bfe_u32 v23, v14, 16, 1
	v_and_b32_e32 v11, 0xffff0000, v11
	v_add3_u32 v12, v12, v15, 0x7fff
	v_cndmask_b32_e32 v13, v13, v21, vcc_lo
	v_cmp_u_f32_e32 vcc_lo, v15, v15
	v_add3_u32 v20, v24, v16, 0x7fff
	v_or_b32_e32 v21, 0x400000, v16
	v_add3_u32 v15, v23, v14, 0x7fff
	v_and_b32_e32 v7, 0xffff0000, v7
	v_cndmask_b32_e32 v12, v12, v22, vcc_lo
	v_cmp_u_f32_e32 vcc_lo, v16, v16
	v_or_b32_e32 v22, 0x400000, v14
	v_add_f32_e32 v0, v2, v0
	v_add_f32_e32 v2, v7, v11
	v_and_b32_e32 v7, 0xffff0000, v12
	v_cndmask_b32_e32 v16, v20, v21, vcc_lo
	v_cmp_u_f32_e32 vcc_lo, v14, v14
	v_and_b32_e32 v11, 0xffff0000, v13
	v_and_b32_e32 v4, 0xffff0000, v4
	;; [unrolled: 1-line block ×3, first 2 shown]
	v_add_f32_e32 v0, v2, v0
	v_cndmask_b32_e32 v12, v15, v22, vcc_lo
	v_add_f32_e32 v2, v11, v7
	v_and_b32_e32 v7, 0xffff0000, v16
	v_add_f32_e32 v8, v8, v19
	v_add_f32_e32 v1, v3, v1
	v_and_b32_e32 v11, 0xffff0000, v12
	v_add_f32_e32 v3, v4, v13
	v_add_f32_e32 v0, v2, v0
	;; [unrolled: 1-line block ×13, first 2 shown]
.LBB173_37:                             ;   in Loop: Header=BB173_38 Depth=1
	s_or_b32 exec_lo, exec_lo, s15
	v_add_nc_u32_e32 v49, 4, v49
	v_add_co_u32 v50, s0, v50, 16
	v_add_co_ci_u32_e64 v51, null, 0, v51, s0
	v_cmp_le_i32_e32 vcc_lo, s16, v49
	v_add_nc_u32_e32 v54, 0x80, v54
	v_add_nc_u32_e32 v72, 0x200, v72
	s_or_b32 s13, vcc_lo, s13
	s_andn2_b32 exec_lo, exec_lo, s13
	s_cbranch_execz .LBB173_59
.LBB173_38:                             ; =>This Inner Loop Header: Depth=1
	v_sub_nc_u32_e32 v0, 0, v54
	v_max_i32_e32 v0, v54, v0
	v_mul_hi_u32 v1, v0, s12
	v_mul_lo_u32 v2, v1, s11
	v_sub_nc_u32_e32 v0, v0, v2
	v_add_nc_u32_e32 v2, 1, v1
	v_subrev_nc_u32_e32 v3, s11, v0
	v_cmp_le_u32_e32 vcc_lo, s11, v0
	v_cndmask_b32_e32 v1, v1, v2, vcc_lo
	v_cndmask_b32_e32 v0, v0, v3, vcc_lo
	v_ashrrev_i32_e32 v2, 31, v54
	v_add_nc_u32_e32 v3, 1, v1
	v_cmp_le_u32_e32 vcc_lo, s11, v0
	v_xor_b32_e32 v2, s19, v2
	v_cndmask_b32_e32 v0, v1, v3, vcc_lo
	v_xor_b32_e32 v0, v0, v2
	v_sub_nc_u32_e32 v0, v0, v2
	v_add_nc_u32_e32 v1, s33, v0
	v_cmp_lt_i32_e64 s0, s5, v0
	v_sub_nc_u32_e32 v2, 0, v1
	v_max_i32_e32 v2, v1, v2
	v_ashrrev_i32_e32 v1, 31, v1
	v_mul_hi_u32 v3, v2, v73
	v_mul_lo_u32 v3, v3, s6
	v_sub_nc_u32_e32 v2, v2, v3
	v_subrev_nc_u32_e32 v3, s6, v2
	v_cmp_le_u32_e32 vcc_lo, s6, v2
	v_cndmask_b32_e32 v2, v2, v3, vcc_lo
	v_subrev_nc_u32_e32 v3, s6, v2
	v_cmp_le_u32_e32 vcc_lo, s6, v2
	v_cndmask_b32_e32 v2, v2, v3, vcc_lo
	v_xor_b32_e32 v2, v2, v1
	v_sub_nc_u32_e32 v1, v2, v1
	v_cmp_eq_u32_e32 vcc_lo, 0, v1
	s_or_b32 s0, vcc_lo, s0
	s_and_saveexec_b32 s15, s0
	s_cbranch_execz .LBB173_37
; %bb.39:                               ;   in Loop: Header=BB173_38 Depth=1
	global_load_dword v0, v[50:51], off
	v_add_nc_u32_e32 v75, v69, v54
	v_cmp_eq_u32_e64 s0, s36, v49
	v_add_nc_u32_e32 v78, 1, v75
	v_or_b32_e32 v76, 3, v75
	v_or_b32_e32 v77, 2, v75
	;; [unrolled: 1-line block ×5, first 2 shown]
	s_waitcnt vmcnt(0)
	v_mad_i64_i32 v[0:1], null, v0, s9, 0
	v_lshlrev_b64 v[0:1], 1, v[0:1]
	v_add_co_u32 v13, vcc_lo, v70, v0
	v_add_co_ci_u32_e64 v14, null, v71, v1, vcc_lo
	v_or_b32_e32 v0, 6, v75
	global_load_dwordx4 v[1:4], v[13:14], off
	ds_read2_b64 v[33:36], v72 offset1:1
	ds_read2_b64 v[29:32], v72 offset0:2 offset1:3
	s_and_saveexec_b32 s17, s0
	s_cbranch_execnz .LBB173_53
; %bb.40:                               ;   in Loop: Header=BB173_38 Depth=1
	s_or_b32 exec_lo, exec_lo, s17
	global_load_dwordx4 v[5:8], v[13:14], off offset:512
	s_and_saveexec_b32 s17, s0
	s_cbranch_execnz .LBB173_54
.LBB173_41:                             ;   in Loop: Header=BB173_38 Depth=1
	s_or_b32 exec_lo, exec_lo, s17
	global_load_dwordx4 v[9:12], v[13:14], off offset:1024
	s_and_saveexec_b32 s17, s0
	s_cbranch_execnz .LBB173_55
.LBB173_42:                             ;   in Loop: Header=BB173_38 Depth=1
	s_or_b32 exec_lo, exec_lo, s17
	global_load_dwordx4 v[17:20], v[13:14], off offset:1536
	s_and_saveexec_b32 s17, s0
	s_cbranch_execz .LBB173_44
.LBB173_43:                             ;   in Loop: Header=BB173_38 Depth=1
	v_cmp_gt_i32_e64 s1, s27, v75
	v_cmp_gt_i32_e32 vcc_lo, s14, v78
	v_cmp_gt_i32_e64 s2, s27, v77
	s_waitcnt vmcnt(0)
	v_cndmask_b32_e64 v15, 0, v17, s1
	v_cmp_gt_i32_e64 s1, s14, v76
	v_cndmask_b32_sdwa v17, v68, v17, vcc_lo dst_sel:DWORD dst_unused:UNUSED_PAD src0_sel:DWORD src1_sel:WORD_1
	v_cndmask_b32_e64 v16, 0, v18, s2
	v_cmp_gt_i32_e64 s2, s14, v74
	s_mov_b32 vcc_lo, s1
	v_cmp_gt_i32_e64 s1, s14, v52
	v_cndmask_b32_sdwa v18, v68, v18, vcc_lo dst_sel:DWORD dst_unused:UNUSED_PAD src0_sel:DWORD src1_sel:WORD_1
	v_cmp_gt_i32_e32 vcc_lo, s27, v53
	v_perm_b32 v17, v17, v15, 0x5040100
	v_perm_b32 v18, v18, v16, 0x5040100
	v_cndmask_b32_e32 v21, 0, v19, vcc_lo
	s_mov_b32 vcc_lo, s2
	v_cndmask_b32_sdwa v19, v68, v19, vcc_lo dst_sel:DWORD dst_unused:UNUSED_PAD src0_sel:DWORD src1_sel:WORD_1
	v_cmp_gt_i32_e32 vcc_lo, s27, v0
	v_perm_b32 v19, v19, v21, 0x5040100
	v_cndmask_b32_e32 v22, 0, v20, vcc_lo
	s_mov_b32 vcc_lo, s1
	v_cndmask_b32_sdwa v20, v68, v20, vcc_lo dst_sel:DWORD dst_unused:UNUSED_PAD src0_sel:DWORD src1_sel:WORD_1
	v_perm_b32 v20, v20, v22, 0x5040100
.LBB173_44:                             ;   in Loop: Header=BB173_38 Depth=1
	s_or_b32 exec_lo, exec_lo, s17
	v_add_co_u32 v15, vcc_lo, 0x800, v13
	v_add_co_ci_u32_e64 v16, null, 0, v14, vcc_lo
	global_load_dwordx4 v[21:24], v[15:16], off
	s_and_saveexec_b32 s17, s0
	s_cbranch_execnz .LBB173_56
; %bb.45:                               ;   in Loop: Header=BB173_38 Depth=1
	s_or_b32 exec_lo, exec_lo, s17
	global_load_dwordx4 v[25:28], v[15:16], off offset:512
	s_and_saveexec_b32 s17, s0
	s_cbranch_execnz .LBB173_57
.LBB173_46:                             ;   in Loop: Header=BB173_38 Depth=1
	s_or_b32 exec_lo, exec_lo, s17
	global_load_dwordx4 v[37:40], v[15:16], off offset:1024
	s_and_saveexec_b32 s17, s0
	s_cbranch_execnz .LBB173_58
.LBB173_47:                             ;   in Loop: Header=BB173_38 Depth=1
	s_or_b32 exec_lo, exec_lo, s17
	global_load_dwordx4 v[41:44], v[15:16], off offset:1536
	s_and_saveexec_b32 s17, s0
	s_cbranch_execz .LBB173_49
.LBB173_48:                             ;   in Loop: Header=BB173_38 Depth=1
	v_cmp_gt_i32_e64 s1, s27, v75
	v_cmp_gt_i32_e32 vcc_lo, s14, v78
	v_cmp_gt_i32_e64 s2, s27, v77
	s_waitcnt vmcnt(0)
	v_cndmask_b32_e64 v15, 0, v41, s1
	v_cmp_gt_i32_e64 s1, s14, v76
	v_cndmask_b32_sdwa v41, v68, v41, vcc_lo dst_sel:DWORD dst_unused:UNUSED_PAD src0_sel:DWORD src1_sel:WORD_1
	v_cndmask_b32_e64 v16, 0, v42, s2
	v_cmp_gt_i32_e64 s2, s14, v74
	s_mov_b32 vcc_lo, s1
	v_cmp_gt_i32_e64 s1, s14, v52
	v_cndmask_b32_sdwa v42, v68, v42, vcc_lo dst_sel:DWORD dst_unused:UNUSED_PAD src0_sel:DWORD src1_sel:WORD_1
	v_cmp_gt_i32_e32 vcc_lo, s27, v53
	v_perm_b32 v41, v41, v15, 0x5040100
	v_perm_b32 v42, v42, v16, 0x5040100
	v_cndmask_b32_e32 v45, 0, v43, vcc_lo
	s_mov_b32 vcc_lo, s2
	v_cndmask_b32_sdwa v43, v68, v43, vcc_lo dst_sel:DWORD dst_unused:UNUSED_PAD src0_sel:DWORD src1_sel:WORD_1
	v_cmp_gt_i32_e32 vcc_lo, s27, v0
	v_perm_b32 v43, v43, v45, 0x5040100
	v_cndmask_b32_e32 v46, 0, v44, vcc_lo
	s_mov_b32 vcc_lo, s1
	v_cndmask_b32_sdwa v44, v68, v44, vcc_lo dst_sel:DWORD dst_unused:UNUSED_PAD src0_sel:DWORD src1_sel:WORD_1
	v_perm_b32 v44, v44, v46, 0x5040100
.LBB173_49:                             ;   in Loop: Header=BB173_38 Depth=1
	s_or_b32 exec_lo, exec_lo, s17
	v_add_co_u32 v13, vcc_lo, 0x1000, v13
	v_add_co_ci_u32_e64 v14, null, 0, v14, vcc_lo
	global_load_dwordx4 v[45:48], v[13:14], off
	s_and_saveexec_b32 s17, s0
	s_cbranch_execz .LBB173_51
; %bb.50:                               ;   in Loop: Header=BB173_38 Depth=1
	v_cmp_gt_i32_e64 s1, s27, v75
	v_cmp_gt_i32_e32 vcc_lo, s14, v78
	v_cmp_gt_i32_e64 s2, s27, v77
	s_waitcnt vmcnt(0)
	v_cndmask_b32_e64 v15, 0, v45, s1
	v_cmp_gt_i32_e64 s1, s14, v76
	v_cndmask_b32_sdwa v45, v68, v45, vcc_lo dst_sel:DWORD dst_unused:UNUSED_PAD src0_sel:DWORD src1_sel:WORD_1
	v_cndmask_b32_e64 v16, 0, v46, s2
	v_cmp_gt_i32_e64 s2, s14, v74
	s_mov_b32 vcc_lo, s1
	v_cmp_gt_i32_e64 s1, s14, v52
	v_cndmask_b32_sdwa v46, v68, v46, vcc_lo dst_sel:DWORD dst_unused:UNUSED_PAD src0_sel:DWORD src1_sel:WORD_1
	v_cmp_gt_i32_e32 vcc_lo, s27, v53
	v_perm_b32 v45, v45, v15, 0x5040100
	v_perm_b32 v46, v46, v16, 0x5040100
	v_cndmask_b32_e32 v79, 0, v47, vcc_lo
	s_mov_b32 vcc_lo, s2
	v_cndmask_b32_sdwa v47, v68, v47, vcc_lo dst_sel:DWORD dst_unused:UNUSED_PAD src0_sel:DWORD src1_sel:WORD_1
	v_cmp_gt_i32_e32 vcc_lo, s27, v0
	v_perm_b32 v47, v47, v79, 0x5040100
	v_cndmask_b32_e32 v80, 0, v48, vcc_lo
	s_mov_b32 vcc_lo, s1
	v_cndmask_b32_sdwa v48, v68, v48, vcc_lo dst_sel:DWORD dst_unused:UNUSED_PAD src0_sel:DWORD src1_sel:WORD_1
	v_perm_b32 v48, v48, v80, 0x5040100
.LBB173_51:                             ;   in Loop: Header=BB173_38 Depth=1
	s_or_b32 exec_lo, exec_lo, s17
	global_load_dwordx4 v[13:16], v[13:14], off offset:512
	s_and_saveexec_b32 s2, s0
	s_cbranch_execz .LBB173_36
; %bb.52:                               ;   in Loop: Header=BB173_38 Depth=1
	v_cmp_gt_i32_e64 s0, s27, v75
	v_cmp_gt_i32_e32 vcc_lo, s14, v78
	v_cmp_gt_i32_e64 s1, s27, v77
	s_waitcnt vmcnt(0)
	v_cndmask_b32_e64 v75, 0, v13, s0
	v_cmp_gt_i32_e64 s0, s14, v76
	v_cndmask_b32_sdwa v13, v68, v13, vcc_lo dst_sel:DWORD dst_unused:UNUSED_PAD src0_sel:DWORD src1_sel:WORD_1
	v_cndmask_b32_e64 v76, 0, v14, s1
	v_cmp_gt_i32_e64 s1, s14, v74
	s_mov_b32 vcc_lo, s0
	v_cmp_gt_i32_e64 s0, s14, v52
	v_cndmask_b32_sdwa v14, v68, v14, vcc_lo dst_sel:DWORD dst_unused:UNUSED_PAD src0_sel:DWORD src1_sel:WORD_1
	v_cmp_gt_i32_e32 vcc_lo, s27, v53
	v_perm_b32 v13, v13, v75, 0x5040100
	v_perm_b32 v14, v14, v76, 0x5040100
	v_cndmask_b32_e32 v53, 0, v15, vcc_lo
	s_mov_b32 vcc_lo, s1
	v_cndmask_b32_sdwa v15, v68, v15, vcc_lo dst_sel:DWORD dst_unused:UNUSED_PAD src0_sel:DWORD src1_sel:WORD_1
	v_cmp_gt_i32_e32 vcc_lo, s27, v0
	v_perm_b32 v15, v15, v53, 0x5040100
	v_cndmask_b32_e32 v0, 0, v16, vcc_lo
	s_mov_b32 vcc_lo, s0
	v_cndmask_b32_sdwa v16, v68, v16, vcc_lo dst_sel:DWORD dst_unused:UNUSED_PAD src0_sel:DWORD src1_sel:WORD_1
	v_perm_b32 v16, v16, v0, 0x5040100
	s_branch .LBB173_36
.LBB173_53:                             ;   in Loop: Header=BB173_38 Depth=1
	v_cmp_gt_i32_e64 s1, s27, v75
	v_cmp_gt_i32_e32 vcc_lo, s14, v78
	v_cmp_gt_i32_e64 s2, s27, v77
	s_waitcnt vmcnt(0)
	v_cndmask_b32_e64 v5, 0, v1, s1
	v_cmp_gt_i32_e64 s1, s14, v76
	v_cndmask_b32_sdwa v1, v68, v1, vcc_lo dst_sel:DWORD dst_unused:UNUSED_PAD src0_sel:DWORD src1_sel:WORD_1
	v_cndmask_b32_e64 v6, 0, v2, s2
	v_cmp_gt_i32_e64 s2, s14, v74
	s_mov_b32 vcc_lo, s1
	v_cmp_gt_i32_e64 s1, s14, v52
	v_cndmask_b32_sdwa v2, v68, v2, vcc_lo dst_sel:DWORD dst_unused:UNUSED_PAD src0_sel:DWORD src1_sel:WORD_1
	v_cmp_gt_i32_e32 vcc_lo, s27, v53
	v_perm_b32 v1, v1, v5, 0x5040100
	v_perm_b32 v2, v2, v6, 0x5040100
	v_cndmask_b32_e32 v7, 0, v3, vcc_lo
	s_mov_b32 vcc_lo, s2
	v_cndmask_b32_sdwa v3, v68, v3, vcc_lo dst_sel:DWORD dst_unused:UNUSED_PAD src0_sel:DWORD src1_sel:WORD_1
	v_cmp_gt_i32_e32 vcc_lo, s27, v0
	v_perm_b32 v3, v3, v7, 0x5040100
	v_cndmask_b32_e32 v8, 0, v4, vcc_lo
	s_mov_b32 vcc_lo, s1
	v_cndmask_b32_sdwa v4, v68, v4, vcc_lo dst_sel:DWORD dst_unused:UNUSED_PAD src0_sel:DWORD src1_sel:WORD_1
	v_perm_b32 v4, v4, v8, 0x5040100
	s_or_b32 exec_lo, exec_lo, s17
	global_load_dwordx4 v[5:8], v[13:14], off offset:512
	s_and_saveexec_b32 s17, s0
	s_cbranch_execz .LBB173_41
.LBB173_54:                             ;   in Loop: Header=BB173_38 Depth=1
	v_cmp_gt_i32_e64 s1, s27, v75
	v_cmp_gt_i32_e32 vcc_lo, s14, v78
	v_cmp_gt_i32_e64 s2, s27, v77
	s_waitcnt vmcnt(0)
	v_cndmask_b32_e64 v9, 0, v5, s1
	v_cmp_gt_i32_e64 s1, s14, v76
	v_cndmask_b32_sdwa v5, v68, v5, vcc_lo dst_sel:DWORD dst_unused:UNUSED_PAD src0_sel:DWORD src1_sel:WORD_1
	v_cndmask_b32_e64 v10, 0, v6, s2
	v_cmp_gt_i32_e64 s2, s14, v74
	s_mov_b32 vcc_lo, s1
	v_cmp_gt_i32_e64 s1, s14, v52
	v_cndmask_b32_sdwa v6, v68, v6, vcc_lo dst_sel:DWORD dst_unused:UNUSED_PAD src0_sel:DWORD src1_sel:WORD_1
	v_cmp_gt_i32_e32 vcc_lo, s27, v53
	v_perm_b32 v5, v5, v9, 0x5040100
	v_perm_b32 v6, v6, v10, 0x5040100
	v_cndmask_b32_e32 v11, 0, v7, vcc_lo
	s_mov_b32 vcc_lo, s2
	v_cndmask_b32_sdwa v7, v68, v7, vcc_lo dst_sel:DWORD dst_unused:UNUSED_PAD src0_sel:DWORD src1_sel:WORD_1
	v_cmp_gt_i32_e32 vcc_lo, s27, v0
	v_perm_b32 v7, v7, v11, 0x5040100
	v_cndmask_b32_e32 v12, 0, v8, vcc_lo
	s_mov_b32 vcc_lo, s1
	v_cndmask_b32_sdwa v8, v68, v8, vcc_lo dst_sel:DWORD dst_unused:UNUSED_PAD src0_sel:DWORD src1_sel:WORD_1
	v_perm_b32 v8, v8, v12, 0x5040100
	s_or_b32 exec_lo, exec_lo, s17
	global_load_dwordx4 v[9:12], v[13:14], off offset:1024
	s_and_saveexec_b32 s17, s0
	s_cbranch_execz .LBB173_42
.LBB173_55:                             ;   in Loop: Header=BB173_38 Depth=1
	v_cmp_gt_i32_e64 s1, s27, v75
	v_cmp_gt_i32_e32 vcc_lo, s14, v78
	v_cmp_gt_i32_e64 s2, s27, v77
	s_waitcnt vmcnt(0)
	v_cndmask_b32_e64 v15, 0, v9, s1
	v_cmp_gt_i32_e64 s1, s14, v76
	v_cndmask_b32_sdwa v9, v68, v9, vcc_lo dst_sel:DWORD dst_unused:UNUSED_PAD src0_sel:DWORD src1_sel:WORD_1
	v_cndmask_b32_e64 v16, 0, v10, s2
	v_cmp_gt_i32_e64 s2, s14, v74
	s_mov_b32 vcc_lo, s1
	v_cmp_gt_i32_e64 s1, s14, v52
	v_cndmask_b32_sdwa v10, v68, v10, vcc_lo dst_sel:DWORD dst_unused:UNUSED_PAD src0_sel:DWORD src1_sel:WORD_1
	v_cmp_gt_i32_e32 vcc_lo, s27, v53
	v_perm_b32 v9, v9, v15, 0x5040100
	v_perm_b32 v10, v10, v16, 0x5040100
	v_cndmask_b32_e32 v17, 0, v11, vcc_lo
	s_mov_b32 vcc_lo, s2
	v_cndmask_b32_sdwa v11, v68, v11, vcc_lo dst_sel:DWORD dst_unused:UNUSED_PAD src0_sel:DWORD src1_sel:WORD_1
	v_cmp_gt_i32_e32 vcc_lo, s27, v0
	v_perm_b32 v11, v11, v17, 0x5040100
	v_cndmask_b32_e32 v18, 0, v12, vcc_lo
	s_mov_b32 vcc_lo, s1
	v_cndmask_b32_sdwa v12, v68, v12, vcc_lo dst_sel:DWORD dst_unused:UNUSED_PAD src0_sel:DWORD src1_sel:WORD_1
	v_perm_b32 v12, v12, v18, 0x5040100
	s_or_b32 exec_lo, exec_lo, s17
	global_load_dwordx4 v[17:20], v[13:14], off offset:1536
	s_and_saveexec_b32 s17, s0
	s_cbranch_execnz .LBB173_43
	s_branch .LBB173_44
.LBB173_56:                             ;   in Loop: Header=BB173_38 Depth=1
	v_cmp_gt_i32_e64 s1, s27, v75
	v_cmp_gt_i32_e32 vcc_lo, s14, v78
	v_cmp_gt_i32_e64 s2, s27, v77
	s_waitcnt vmcnt(0)
	v_cndmask_b32_e64 v25, 0, v21, s1
	v_cmp_gt_i32_e64 s1, s14, v76
	v_cndmask_b32_sdwa v21, v68, v21, vcc_lo dst_sel:DWORD dst_unused:UNUSED_PAD src0_sel:DWORD src1_sel:WORD_1
	v_cndmask_b32_e64 v26, 0, v22, s2
	v_cmp_gt_i32_e64 s2, s14, v74
	s_mov_b32 vcc_lo, s1
	v_cmp_gt_i32_e64 s1, s14, v52
	v_cndmask_b32_sdwa v22, v68, v22, vcc_lo dst_sel:DWORD dst_unused:UNUSED_PAD src0_sel:DWORD src1_sel:WORD_1
	v_cmp_gt_i32_e32 vcc_lo, s27, v53
	v_perm_b32 v21, v21, v25, 0x5040100
	v_perm_b32 v22, v22, v26, 0x5040100
	v_cndmask_b32_e32 v27, 0, v23, vcc_lo
	s_mov_b32 vcc_lo, s2
	v_cndmask_b32_sdwa v23, v68, v23, vcc_lo dst_sel:DWORD dst_unused:UNUSED_PAD src0_sel:DWORD src1_sel:WORD_1
	v_cmp_gt_i32_e32 vcc_lo, s27, v0
	v_perm_b32 v23, v23, v27, 0x5040100
	v_cndmask_b32_e32 v28, 0, v24, vcc_lo
	s_mov_b32 vcc_lo, s1
	v_cndmask_b32_sdwa v24, v68, v24, vcc_lo dst_sel:DWORD dst_unused:UNUSED_PAD src0_sel:DWORD src1_sel:WORD_1
	v_perm_b32 v24, v24, v28, 0x5040100
	s_or_b32 exec_lo, exec_lo, s17
	global_load_dwordx4 v[25:28], v[15:16], off offset:512
	s_and_saveexec_b32 s17, s0
	s_cbranch_execz .LBB173_46
.LBB173_57:                             ;   in Loop: Header=BB173_38 Depth=1
	v_cmp_gt_i32_e64 s1, s27, v75
	v_cmp_gt_i32_e32 vcc_lo, s14, v78
	v_cmp_gt_i32_e64 s2, s27, v77
	s_waitcnt vmcnt(0)
	v_cndmask_b32_e64 v37, 0, v25, s1
	v_cmp_gt_i32_e64 s1, s14, v76
	v_cndmask_b32_sdwa v25, v68, v25, vcc_lo dst_sel:DWORD dst_unused:UNUSED_PAD src0_sel:DWORD src1_sel:WORD_1
	v_cndmask_b32_e64 v38, 0, v26, s2
	v_cmp_gt_i32_e64 s2, s14, v74
	s_mov_b32 vcc_lo, s1
	v_cmp_gt_i32_e64 s1, s14, v52
	v_cndmask_b32_sdwa v26, v68, v26, vcc_lo dst_sel:DWORD dst_unused:UNUSED_PAD src0_sel:DWORD src1_sel:WORD_1
	v_cmp_gt_i32_e32 vcc_lo, s27, v53
	v_perm_b32 v25, v25, v37, 0x5040100
	v_perm_b32 v26, v26, v38, 0x5040100
	v_cndmask_b32_e32 v39, 0, v27, vcc_lo
	s_mov_b32 vcc_lo, s2
	v_cndmask_b32_sdwa v27, v68, v27, vcc_lo dst_sel:DWORD dst_unused:UNUSED_PAD src0_sel:DWORD src1_sel:WORD_1
	v_cmp_gt_i32_e32 vcc_lo, s27, v0
	v_perm_b32 v27, v27, v39, 0x5040100
	v_cndmask_b32_e32 v40, 0, v28, vcc_lo
	s_mov_b32 vcc_lo, s1
	v_cndmask_b32_sdwa v28, v68, v28, vcc_lo dst_sel:DWORD dst_unused:UNUSED_PAD src0_sel:DWORD src1_sel:WORD_1
	v_perm_b32 v28, v28, v40, 0x5040100
	s_or_b32 exec_lo, exec_lo, s17
	global_load_dwordx4 v[37:40], v[15:16], off offset:1024
	s_and_saveexec_b32 s17, s0
	s_cbranch_execz .LBB173_47
.LBB173_58:                             ;   in Loop: Header=BB173_38 Depth=1
	v_cmp_gt_i32_e64 s1, s27, v75
	v_cmp_gt_i32_e32 vcc_lo, s14, v78
	v_cmp_gt_i32_e64 s2, s27, v77
	s_waitcnt vmcnt(0)
	v_cndmask_b32_e64 v41, 0, v37, s1
	v_cmp_gt_i32_e64 s1, s14, v76
	v_cndmask_b32_sdwa v37, v68, v37, vcc_lo dst_sel:DWORD dst_unused:UNUSED_PAD src0_sel:DWORD src1_sel:WORD_1
	v_cndmask_b32_e64 v42, 0, v38, s2
	v_cmp_gt_i32_e64 s2, s14, v74
	s_mov_b32 vcc_lo, s1
	v_cmp_gt_i32_e64 s1, s14, v52
	v_cndmask_b32_sdwa v38, v68, v38, vcc_lo dst_sel:DWORD dst_unused:UNUSED_PAD src0_sel:DWORD src1_sel:WORD_1
	v_cmp_gt_i32_e32 vcc_lo, s27, v53
	v_perm_b32 v37, v37, v41, 0x5040100
	v_perm_b32 v38, v38, v42, 0x5040100
	v_cndmask_b32_e32 v43, 0, v39, vcc_lo
	s_mov_b32 vcc_lo, s2
	v_cndmask_b32_sdwa v39, v68, v39, vcc_lo dst_sel:DWORD dst_unused:UNUSED_PAD src0_sel:DWORD src1_sel:WORD_1
	v_cmp_gt_i32_e32 vcc_lo, s27, v0
	v_perm_b32 v39, v39, v43, 0x5040100
	v_cndmask_b32_e32 v44, 0, v40, vcc_lo
	s_mov_b32 vcc_lo, s1
	v_cndmask_b32_sdwa v40, v68, v40, vcc_lo dst_sel:DWORD dst_unused:UNUSED_PAD src0_sel:DWORD src1_sel:WORD_1
	v_perm_b32 v40, v40, v44, 0x5040100
	s_or_b32 exec_lo, exec_lo, s17
	global_load_dwordx4 v[41:44], v[15:16], off offset:1536
	s_and_saveexec_b32 s17, s0
	s_cbranch_execnz .LBB173_48
	s_branch .LBB173_49
.LBB173_59:
	s_or_b32 exec_lo, exec_lo, s13
	v_mov_b32_e32 v25, v82
.LBB173_60:
	s_or_b32 exec_lo, exec_lo, s3
	ds_bpermute_b32 v9, v56, v58
	ds_bpermute_b32 v0, v56, v67
	;; [unrolled: 1-line block ×10, first 2 shown]
	v_mul_u32_u24_e32 v12, 0x140, v25
	v_and_b32_e32 v25, 0x3c3, v81
	s_mov_b32 s0, exec_lo
	s_waitcnt lgkmcnt(9)
	v_add_f32_e32 v17, v58, v9
	buffer_load_dword v9, off, s[48:51], 0  ; 4-byte Folded Reload
	s_waitcnt lgkmcnt(8)
	v_add_f32_e32 v0, v67, v0
	s_waitcnt lgkmcnt(7)
	v_add_f32_e32 v1, v66, v1
	;; [unrolled: 2-line block ×9, first 2 shown]
	ds_bpermute_b32 v5, v55, v0
	ds_bpermute_b32 v6, v55, v1
	;; [unrolled: 1-line block ×10, first 2 shown]
	s_waitcnt vmcnt(0) lgkmcnt(0)
	s_waitcnt_vscnt null, 0x0
	s_barrier
	buffer_gl0_inv
	v_add_f32_e32 v7, v2, v7
	v_add_f32_e32 v2, v15, v22
	v_and_b32_e32 v8, 28, v9
	v_lshrrev_b32_e32 v10, 2, v9
	v_add_f32_e32 v9, v0, v5
	v_add_f32_e32 v5, v4, v19
	v_add_f32_e32 v4, v13, v20
	v_add_nc_u32_e32 v11, 0xc0, v8
	v_add_f32_e32 v8, v1, v6
	v_add_f32_e32 v6, v3, v18
	;; [unrolled: 1-line block ×5, first 2 shown]
	v_cmpx_eq_u32_e32 64, v25
	s_cbranch_execz .LBB173_62
; %bb.61:
	v_add_nc_u32_e32 v13, v11, v12
	v_add_nc_u32_e32 v14, 0xfffffd80, v13
	;; [unrolled: 1-line block ×6, first 2 shown]
	ds_write_b32 v14, v9
	ds_write_b32 v15, v8
	;; [unrolled: 1-line block ×5, first 2 shown]
	v_add_nc_u32_e32 v14, 0xfffffe20, v13
	v_add_nc_u32_e32 v15, 0xfffffe40, v13
	;; [unrolled: 1-line block ×5, first 2 shown]
	ds_write_b32 v14, v4
	ds_write_b32 v15, v3
	ds_write_b32 v16, v2
	ds_write_b32 v17, v1
	ds_write_b32 v13, v0
.LBB173_62:
	s_or_b32 exec_lo, exec_lo, s0
	v_lshlrev_b32_e32 v10, 2, v10
	s_mov_b32 s1, exec_lo
	v_cmp_eq_u32_e32 vcc_lo, 0, v57
	s_waitcnt lgkmcnt(0)
	s_barrier
	v_add3_u32 v10, 0xc0, v12, v10
	buffer_gl0_inv
	v_cmpx_gt_u32_e32 64, v81
	s_cbranch_execz .LBB173_75
; %bb.63:
	s_and_saveexec_b32 s0, vcc_lo
	s_cbranch_execnz .LBB173_93
; %bb.64:
	s_or_b32 exec_lo, exec_lo, s0
	s_and_saveexec_b32 s0, vcc_lo
	s_cbranch_execnz .LBB173_94
.LBB173_65:
	s_or_b32 exec_lo, exec_lo, s0
	s_and_saveexec_b32 s0, vcc_lo
	s_cbranch_execnz .LBB173_95
.LBB173_66:
	s_or_b32 exec_lo, exec_lo, s0
	s_and_saveexec_b32 s0, vcc_lo
	s_cbranch_execnz .LBB173_96
.LBB173_67:
	s_or_b32 exec_lo, exec_lo, s0
	s_and_saveexec_b32 s0, vcc_lo
	s_cbranch_execnz .LBB173_97
.LBB173_68:
	s_or_b32 exec_lo, exec_lo, s0
	s_and_saveexec_b32 s0, vcc_lo
	s_cbranch_execnz .LBB173_98
.LBB173_69:
	s_or_b32 exec_lo, exec_lo, s0
	s_and_saveexec_b32 s0, vcc_lo
	s_cbranch_execnz .LBB173_99
.LBB173_70:
	s_or_b32 exec_lo, exec_lo, s0
	s_and_saveexec_b32 s0, vcc_lo
	s_cbranch_execnz .LBB173_100
.LBB173_71:
	s_or_b32 exec_lo, exec_lo, s0
	s_and_saveexec_b32 s0, vcc_lo
	s_cbranch_execnz .LBB173_101
.LBB173_72:
	s_or_b32 exec_lo, exec_lo, s0
	s_and_saveexec_b32 s0, vcc_lo
	s_cbranch_execz .LBB173_74
.LBB173_73:
	ds_read_b32 v12, v10 offset:288
	s_waitcnt lgkmcnt(0)
	v_add_f32_e32 v0, v0, v12
.LBB173_74:
	s_or_b32 exec_lo, exec_lo, s0
.LBB173_75:
	s_or_b32 exec_lo, exec_lo, s1
	v_and_b32_e32 v12, 0x3e3, v81
	s_mov_b32 s1, exec_lo
	s_barrier
	buffer_gl0_inv
	v_cmpx_eq_u32_e32 32, v12
	s_cbranch_execz .LBB173_77
; %bb.76:
	ds_write2_b32 v11, v9, v8 offset1:8
	ds_write2_b32 v11, v7, v6 offset0:16 offset1:24
	ds_write2_b32 v11, v5, v4 offset0:32 offset1:40
	;; [unrolled: 1-line block ×4, first 2 shown]
.LBB173_77:
	s_or_b32 exec_lo, exec_lo, s1
	s_mov_b32 s1, exec_lo
	s_waitcnt lgkmcnt(0)
	s_barrier
	buffer_gl0_inv
	v_cmpx_gt_u32_e32 32, v81
	s_cbranch_execz .LBB173_90
; %bb.78:
	s_and_saveexec_b32 s0, vcc_lo
	s_cbranch_execnz .LBB173_102
; %bb.79:
	s_or_b32 exec_lo, exec_lo, s0
	s_and_saveexec_b32 s0, vcc_lo
	s_cbranch_execnz .LBB173_103
.LBB173_80:
	s_or_b32 exec_lo, exec_lo, s0
	s_and_saveexec_b32 s0, vcc_lo
	s_cbranch_execnz .LBB173_104
.LBB173_81:
	s_or_b32 exec_lo, exec_lo, s0
	s_and_saveexec_b32 s0, vcc_lo
	s_cbranch_execnz .LBB173_105
.LBB173_82:
	s_or_b32 exec_lo, exec_lo, s0
	s_and_saveexec_b32 s0, vcc_lo
	s_cbranch_execnz .LBB173_106
.LBB173_83:
	s_or_b32 exec_lo, exec_lo, s0
	s_and_saveexec_b32 s0, vcc_lo
	s_cbranch_execnz .LBB173_107
.LBB173_84:
	s_or_b32 exec_lo, exec_lo, s0
	s_and_saveexec_b32 s0, vcc_lo
	s_cbranch_execnz .LBB173_108
.LBB173_85:
	s_or_b32 exec_lo, exec_lo, s0
	s_and_saveexec_b32 s0, vcc_lo
	s_cbranch_execnz .LBB173_109
.LBB173_86:
	s_or_b32 exec_lo, exec_lo, s0
	s_and_saveexec_b32 s0, vcc_lo
	s_cbranch_execnz .LBB173_110
.LBB173_87:
	s_or_b32 exec_lo, exec_lo, s0
	s_and_saveexec_b32 s0, vcc_lo
	s_cbranch_execz .LBB173_89
.LBB173_88:
	ds_read_b32 v10, v10 offset:288
	s_waitcnt lgkmcnt(0)
	v_add_f32_e32 v0, v0, v10
.LBB173_89:
	s_or_b32 exec_lo, exec_lo, s0
.LBB173_90:
	s_or_b32 exec_lo, exec_lo, s1
	s_barrier
	buffer_gl0_inv
	s_mov_b32 s0, exec_lo
	v_cmpx_eq_u32_e32 0, v12
	s_cbranch_execz .LBB173_92
; %bb.91:
	s_mul_i32 s0, s4, 0x50
	v_bfe_u32 v10, v9, 16, 1
	s_ashr_i32 s1, s0, 31
	s_mul_i32 s2, s7, s10
	s_lshl_b64 s[0:1], s[0:1], 1
	v_or_b32_e32 v11, 0x400000, v9
	s_add_u32 s4, s24, s0
	s_addc_u32 s1, s25, s1
	s_ashr_i32 s3, s2, 31
	v_add3_u32 v10, v10, v9, 0x7fff
	s_lshl_b64 s[2:3], s[2:3], 1
	v_bfe_u32 v13, v8, 16, 1
	v_cmp_u_f32_e32 vcc_lo, v9, v9
	s_mul_i32 s0, s8, 0x50
	s_add_u32 s2, s4, s2
	s_addc_u32 s3, s1, s3
	s_ashr_i32 s1, s0, 31
	v_lshrrev_b32_e32 v12, 1, v81
	s_lshl_b64 s[0:1], s[0:1], 1
	v_cndmask_b32_e32 v9, v10, v11, vcc_lo
	v_bfe_u32 v10, v7, 16, 1
	v_add3_u32 v11, v13, v8, 0x7fff
	v_or_b32_e32 v13, 0x400000, v8
	v_cmp_u_f32_e32 vcc_lo, v8, v8
	s_add_u32 s0, s2, s0
	s_addc_u32 s1, s3, s1
	global_store_short_d16_hi v12, v9, s[0:1]
	v_add3_u32 v9, v10, v7, 0x7fff
	v_or_b32_e32 v10, 0x400000, v7
	v_cndmask_b32_e32 v8, v11, v13, vcc_lo
	v_bfe_u32 v11, v6, 16, 1
	v_cmp_u_f32_e32 vcc_lo, v7, v7
	global_store_short_d16_hi v12, v8, s[0:1] offset:16
	v_add3_u32 v8, v11, v6, 0x7fff
	v_cndmask_b32_e32 v7, v9, v10, vcc_lo
	v_bfe_u32 v9, v5, 16, 1
	v_or_b32_e32 v10, 0x400000, v6
	v_cmp_u_f32_e32 vcc_lo, v6, v6
	global_store_short_d16_hi v12, v7, s[0:1] offset:32
	v_add3_u32 v7, v9, v5, 0x7fff
	v_or_b32_e32 v9, 0x400000, v5
	v_cndmask_b32_e32 v6, v8, v10, vcc_lo
	v_bfe_u32 v8, v4, 16, 1
	v_cmp_u_f32_e32 vcc_lo, v5, v5
	v_or_b32_e32 v10, 0x400000, v0
	global_store_short_d16_hi v12, v6, s[0:1] offset:48
	v_add3_u32 v6, v8, v4, 0x7fff
	v_cndmask_b32_e32 v5, v7, v9, vcc_lo
	v_bfe_u32 v7, v3, 16, 1
	v_or_b32_e32 v8, 0x400000, v4
	v_cmp_u_f32_e32 vcc_lo, v4, v4
	v_or_b32_e32 v9, 0x400000, v1
	global_store_short_d16_hi v12, v5, s[0:1] offset:64
	v_add3_u32 v5, v7, v3, 0x7fff
	v_or_b32_e32 v7, 0x400000, v3
	v_cndmask_b32_e32 v4, v6, v8, vcc_lo
	v_bfe_u32 v6, v2, 16, 1
	v_cmp_u_f32_e32 vcc_lo, v3, v3
	v_bfe_u32 v8, v1, 16, 1
	v_add3_u32 v6, v6, v2, 0x7fff
	v_cndmask_b32_e32 v3, v5, v7, vcc_lo
	v_or_b32_e32 v7, 0x400000, v2
	v_cmp_u_f32_e32 vcc_lo, v2, v2
	v_bfe_u32 v5, v0, 16, 1
	v_add3_u32 v8, v8, v1, 0x7fff
	v_cndmask_b32_e32 v2, v6, v7, vcc_lo
	v_cmp_u_f32_e32 vcc_lo, v1, v1
	v_add3_u32 v5, v5, v0, 0x7fff
	v_cndmask_b32_e32 v1, v8, v9, vcc_lo
	v_cmp_u_f32_e32 vcc_lo, v0, v0
	v_cndmask_b32_e32 v0, v5, v10, vcc_lo
	global_store_short_d16_hi v12, v4, s[0:1] offset:80
	global_store_short_d16_hi v12, v3, s[0:1] offset:96
	;; [unrolled: 1-line block ×5, first 2 shown]
.LBB173_92:
	s_endpgm
.LBB173_93:
	ds_read_b32 v12, v10
	s_waitcnt lgkmcnt(0)
	v_add_f32_e32 v9, v9, v12
	s_or_b32 exec_lo, exec_lo, s0
	s_and_saveexec_b32 s0, vcc_lo
	s_cbranch_execz .LBB173_65
.LBB173_94:
	ds_read_b32 v12, v10 offset:32
	s_waitcnt lgkmcnt(0)
	v_add_f32_e32 v8, v8, v12
	s_or_b32 exec_lo, exec_lo, s0
	s_and_saveexec_b32 s0, vcc_lo
	s_cbranch_execz .LBB173_66
.LBB173_95:
	ds_read_b32 v12, v10 offset:64
	s_waitcnt lgkmcnt(0)
	v_add_f32_e32 v7, v7, v12
	s_or_b32 exec_lo, exec_lo, s0
	s_and_saveexec_b32 s0, vcc_lo
	s_cbranch_execz .LBB173_67
.LBB173_96:
	ds_read_b32 v12, v10 offset:96
	s_waitcnt lgkmcnt(0)
	v_add_f32_e32 v6, v6, v12
	s_or_b32 exec_lo, exec_lo, s0
	s_and_saveexec_b32 s0, vcc_lo
	s_cbranch_execz .LBB173_68
.LBB173_97:
	ds_read_b32 v12, v10 offset:128
	s_waitcnt lgkmcnt(0)
	v_add_f32_e32 v5, v5, v12
	s_or_b32 exec_lo, exec_lo, s0
	s_and_saveexec_b32 s0, vcc_lo
	s_cbranch_execz .LBB173_69
.LBB173_98:
	ds_read_b32 v12, v10 offset:160
	s_waitcnt lgkmcnt(0)
	v_add_f32_e32 v4, v4, v12
	s_or_b32 exec_lo, exec_lo, s0
	s_and_saveexec_b32 s0, vcc_lo
	s_cbranch_execz .LBB173_70
.LBB173_99:
	ds_read_b32 v12, v10 offset:192
	s_waitcnt lgkmcnt(0)
	v_add_f32_e32 v3, v3, v12
	s_or_b32 exec_lo, exec_lo, s0
	s_and_saveexec_b32 s0, vcc_lo
	s_cbranch_execz .LBB173_71
.LBB173_100:
	ds_read_b32 v12, v10 offset:224
	s_waitcnt lgkmcnt(0)
	v_add_f32_e32 v2, v2, v12
	s_or_b32 exec_lo, exec_lo, s0
	s_and_saveexec_b32 s0, vcc_lo
	s_cbranch_execz .LBB173_72
.LBB173_101:
	ds_read_b32 v12, v10 offset:256
	s_waitcnt lgkmcnt(0)
	v_add_f32_e32 v1, v1, v12
	s_or_b32 exec_lo, exec_lo, s0
	s_and_saveexec_b32 s0, vcc_lo
	s_cbranch_execnz .LBB173_73
	s_branch .LBB173_74
.LBB173_102:
	ds_read_b32 v11, v10
	s_waitcnt lgkmcnt(0)
	v_add_f32_e32 v9, v9, v11
	s_or_b32 exec_lo, exec_lo, s0
	s_and_saveexec_b32 s0, vcc_lo
	s_cbranch_execz .LBB173_80
.LBB173_103:
	ds_read_b32 v11, v10 offset:32
	s_waitcnt lgkmcnt(0)
	v_add_f32_e32 v8, v8, v11
	s_or_b32 exec_lo, exec_lo, s0
	s_and_saveexec_b32 s0, vcc_lo
	s_cbranch_execz .LBB173_81
.LBB173_104:
	ds_read_b32 v11, v10 offset:64
	s_waitcnt lgkmcnt(0)
	v_add_f32_e32 v7, v7, v11
	s_or_b32 exec_lo, exec_lo, s0
	s_and_saveexec_b32 s0, vcc_lo
	s_cbranch_execz .LBB173_82
.LBB173_105:
	ds_read_b32 v11, v10 offset:96
	s_waitcnt lgkmcnt(0)
	v_add_f32_e32 v6, v6, v11
	s_or_b32 exec_lo, exec_lo, s0
	s_and_saveexec_b32 s0, vcc_lo
	s_cbranch_execz .LBB173_83
.LBB173_106:
	ds_read_b32 v11, v10 offset:128
	s_waitcnt lgkmcnt(0)
	v_add_f32_e32 v5, v5, v11
	s_or_b32 exec_lo, exec_lo, s0
	s_and_saveexec_b32 s0, vcc_lo
	s_cbranch_execz .LBB173_84
.LBB173_107:
	ds_read_b32 v11, v10 offset:160
	s_waitcnt lgkmcnt(0)
	v_add_f32_e32 v4, v4, v11
	s_or_b32 exec_lo, exec_lo, s0
	s_and_saveexec_b32 s0, vcc_lo
	s_cbranch_execz .LBB173_85
.LBB173_108:
	ds_read_b32 v11, v10 offset:192
	s_waitcnt lgkmcnt(0)
	v_add_f32_e32 v3, v3, v11
	s_or_b32 exec_lo, exec_lo, s0
	s_and_saveexec_b32 s0, vcc_lo
	s_cbranch_execz .LBB173_86
.LBB173_109:
	ds_read_b32 v11, v10 offset:224
	s_waitcnt lgkmcnt(0)
	v_add_f32_e32 v2, v2, v11
	s_or_b32 exec_lo, exec_lo, s0
	s_and_saveexec_b32 s0, vcc_lo
	s_cbranch_execz .LBB173_87
.LBB173_110:
	ds_read_b32 v11, v10 offset:256
	s_waitcnt lgkmcnt(0)
	v_add_f32_e32 v1, v1, v11
	s_or_b32 exec_lo, exec_lo, s0
	s_and_saveexec_b32 s0, vcc_lo
	s_cbranch_execnz .LBB173_88
	s_branch .LBB173_89
	.section	.rodata,"a",@progbits
	.p2align	6, 0x0
	.amdhsa_kernel _ZN4vllm25paged_attention_v2_kernelI14__hip_bfloat16S1_Li80ELi32ELi128ELNS_18Fp8KVCacheDataTypeE0ELb1ELi512EEEvPfS3_PT_PKS4_PKT0_SA_ifPKiSC_iPKfiiiSE_SE_iiiii
		.amdhsa_group_segment_fixed_size 192
		.amdhsa_private_segment_fixed_size 60
		.amdhsa_kernarg_size 400
		.amdhsa_user_sgpr_count 6
		.amdhsa_user_sgpr_private_segment_buffer 1
		.amdhsa_user_sgpr_dispatch_ptr 0
		.amdhsa_user_sgpr_queue_ptr 0
		.amdhsa_user_sgpr_kernarg_segment_ptr 1
		.amdhsa_user_sgpr_dispatch_id 0
		.amdhsa_user_sgpr_flat_scratch_init 0
		.amdhsa_user_sgpr_private_segment_size 0
		.amdhsa_wavefront_size32 1
		.amdhsa_uses_dynamic_stack 0
		.amdhsa_system_sgpr_private_segment_wavefront_offset 1
		.amdhsa_system_sgpr_workgroup_id_x 1
		.amdhsa_system_sgpr_workgroup_id_y 1
		.amdhsa_system_sgpr_workgroup_id_z 1
		.amdhsa_system_sgpr_workgroup_info 0
		.amdhsa_system_vgpr_workitem_id 0
		.amdhsa_next_free_vgpr 128
		.amdhsa_next_free_sgpr 52
		.amdhsa_reserve_vcc 1
		.amdhsa_reserve_flat_scratch 0
		.amdhsa_float_round_mode_32 0
		.amdhsa_float_round_mode_16_64 0
		.amdhsa_float_denorm_mode_32 3
		.amdhsa_float_denorm_mode_16_64 3
		.amdhsa_dx10_clamp 1
		.amdhsa_ieee_mode 1
		.amdhsa_fp16_overflow 0
		.amdhsa_workgroup_processor_mode 1
		.amdhsa_memory_ordered 1
		.amdhsa_forward_progress 1
		.amdhsa_shared_vgpr_count 0
		.amdhsa_exception_fp_ieee_invalid_op 0
		.amdhsa_exception_fp_denorm_src 0
		.amdhsa_exception_fp_ieee_div_zero 0
		.amdhsa_exception_fp_ieee_overflow 0
		.amdhsa_exception_fp_ieee_underflow 0
		.amdhsa_exception_fp_ieee_inexact 0
		.amdhsa_exception_int_div_zero 0
	.end_amdhsa_kernel
	.section	.text._ZN4vllm25paged_attention_v2_kernelI14__hip_bfloat16S1_Li80ELi32ELi128ELNS_18Fp8KVCacheDataTypeE0ELb1ELi512EEEvPfS3_PT_PKS4_PKT0_SA_ifPKiSC_iPKfiiiSE_SE_iiiii,"axG",@progbits,_ZN4vllm25paged_attention_v2_kernelI14__hip_bfloat16S1_Li80ELi32ELi128ELNS_18Fp8KVCacheDataTypeE0ELb1ELi512EEEvPfS3_PT_PKS4_PKT0_SA_ifPKiSC_iPKfiiiSE_SE_iiiii,comdat
.Lfunc_end173:
	.size	_ZN4vllm25paged_attention_v2_kernelI14__hip_bfloat16S1_Li80ELi32ELi128ELNS_18Fp8KVCacheDataTypeE0ELb1ELi512EEEvPfS3_PT_PKS4_PKT0_SA_ifPKiSC_iPKfiiiSE_SE_iiiii, .Lfunc_end173-_ZN4vllm25paged_attention_v2_kernelI14__hip_bfloat16S1_Li80ELi32ELi128ELNS_18Fp8KVCacheDataTypeE0ELb1ELi512EEEvPfS3_PT_PKS4_PKT0_SA_ifPKiSC_iPKfiiiSE_SE_iiiii
                                        ; -- End function
	.set _ZN4vllm25paged_attention_v2_kernelI14__hip_bfloat16S1_Li80ELi32ELi128ELNS_18Fp8KVCacheDataTypeE0ELb1ELi512EEEvPfS3_PT_PKS4_PKT0_SA_ifPKiSC_iPKfiiiSE_SE_iiiii.num_vgpr, 128
	.set _ZN4vllm25paged_attention_v2_kernelI14__hip_bfloat16S1_Li80ELi32ELi128ELNS_18Fp8KVCacheDataTypeE0ELb1ELi512EEEvPfS3_PT_PKS4_PKT0_SA_ifPKiSC_iPKfiiiSE_SE_iiiii.num_agpr, 0
	.set _ZN4vllm25paged_attention_v2_kernelI14__hip_bfloat16S1_Li80ELi32ELi128ELNS_18Fp8KVCacheDataTypeE0ELb1ELi512EEEvPfS3_PT_PKS4_PKT0_SA_ifPKiSC_iPKfiiiSE_SE_iiiii.numbered_sgpr, 52
	.set _ZN4vllm25paged_attention_v2_kernelI14__hip_bfloat16S1_Li80ELi32ELi128ELNS_18Fp8KVCacheDataTypeE0ELb1ELi512EEEvPfS3_PT_PKS4_PKT0_SA_ifPKiSC_iPKfiiiSE_SE_iiiii.num_named_barrier, 0
	.set _ZN4vllm25paged_attention_v2_kernelI14__hip_bfloat16S1_Li80ELi32ELi128ELNS_18Fp8KVCacheDataTypeE0ELb1ELi512EEEvPfS3_PT_PKS4_PKT0_SA_ifPKiSC_iPKfiiiSE_SE_iiiii.private_seg_size, 60
	.set _ZN4vllm25paged_attention_v2_kernelI14__hip_bfloat16S1_Li80ELi32ELi128ELNS_18Fp8KVCacheDataTypeE0ELb1ELi512EEEvPfS3_PT_PKS4_PKT0_SA_ifPKiSC_iPKfiiiSE_SE_iiiii.uses_vcc, 1
	.set _ZN4vllm25paged_attention_v2_kernelI14__hip_bfloat16S1_Li80ELi32ELi128ELNS_18Fp8KVCacheDataTypeE0ELb1ELi512EEEvPfS3_PT_PKS4_PKT0_SA_ifPKiSC_iPKfiiiSE_SE_iiiii.uses_flat_scratch, 0
	.set _ZN4vllm25paged_attention_v2_kernelI14__hip_bfloat16S1_Li80ELi32ELi128ELNS_18Fp8KVCacheDataTypeE0ELb1ELi512EEEvPfS3_PT_PKS4_PKT0_SA_ifPKiSC_iPKfiiiSE_SE_iiiii.has_dyn_sized_stack, 0
	.set _ZN4vllm25paged_attention_v2_kernelI14__hip_bfloat16S1_Li80ELi32ELi128ELNS_18Fp8KVCacheDataTypeE0ELb1ELi512EEEvPfS3_PT_PKS4_PKT0_SA_ifPKiSC_iPKfiiiSE_SE_iiiii.has_recursion, 0
	.set _ZN4vllm25paged_attention_v2_kernelI14__hip_bfloat16S1_Li80ELi32ELi128ELNS_18Fp8KVCacheDataTypeE0ELb1ELi512EEEvPfS3_PT_PKS4_PKT0_SA_ifPKiSC_iPKfiiiSE_SE_iiiii.has_indirect_call, 0
	.section	.AMDGPU.csdata,"",@progbits
; Kernel info:
; codeLenInByte = 13984
; TotalNumSgprs: 54
; NumVgprs: 128
; ScratchSize: 60
; MemoryBound: 0
; FloatMode: 240
; IeeeMode: 1
; LDSByteSize: 192 bytes/workgroup (compile time only)
; SGPRBlocks: 0
; VGPRBlocks: 15
; NumSGPRsForWavesPerEU: 54
; NumVGPRsForWavesPerEU: 128
; Occupancy: 8
; WaveLimiterHint : 1
; COMPUTE_PGM_RSRC2:SCRATCH_EN: 1
; COMPUTE_PGM_RSRC2:USER_SGPR: 6
; COMPUTE_PGM_RSRC2:TRAP_HANDLER: 0
; COMPUTE_PGM_RSRC2:TGID_X_EN: 1
; COMPUTE_PGM_RSRC2:TGID_Y_EN: 1
; COMPUTE_PGM_RSRC2:TGID_Z_EN: 1
; COMPUTE_PGM_RSRC2:TIDIG_COMP_CNT: 0
	.section	.text._ZN4vllm25paged_attention_v2_kernelI14__hip_bfloat16S1_Li96ELi32ELi128ELNS_18Fp8KVCacheDataTypeE0ELb1ELi512EEEvPfS3_PT_PKS4_PKT0_SA_ifPKiSC_iPKfiiiSE_SE_iiiii,"axG",@progbits,_ZN4vllm25paged_attention_v2_kernelI14__hip_bfloat16S1_Li96ELi32ELi128ELNS_18Fp8KVCacheDataTypeE0ELb1ELi512EEEvPfS3_PT_PKS4_PKT0_SA_ifPKiSC_iPKfiiiSE_SE_iiiii,comdat
	.protected	_ZN4vllm25paged_attention_v2_kernelI14__hip_bfloat16S1_Li96ELi32ELi128ELNS_18Fp8KVCacheDataTypeE0ELb1ELi512EEEvPfS3_PT_PKS4_PKT0_SA_ifPKiSC_iPKfiiiSE_SE_iiiii ; -- Begin function _ZN4vllm25paged_attention_v2_kernelI14__hip_bfloat16S1_Li96ELi32ELi128ELNS_18Fp8KVCacheDataTypeE0ELb1ELi512EEEvPfS3_PT_PKS4_PKT0_SA_ifPKiSC_iPKfiiiSE_SE_iiiii
	.globl	_ZN4vllm25paged_attention_v2_kernelI14__hip_bfloat16S1_Li96ELi32ELi128ELNS_18Fp8KVCacheDataTypeE0ELb1ELi512EEEvPfS3_PT_PKS4_PKT0_SA_ifPKiSC_iPKfiiiSE_SE_iiiii
	.p2align	8
	.type	_ZN4vllm25paged_attention_v2_kernelI14__hip_bfloat16S1_Li96ELi32ELi128ELNS_18Fp8KVCacheDataTypeE0ELb1ELi512EEEvPfS3_PT_PKS4_PKT0_SA_ifPKiSC_iPKfiiiSE_SE_iiiii,@function
_ZN4vllm25paged_attention_v2_kernelI14__hip_bfloat16S1_Li96ELi32ELi128ELNS_18Fp8KVCacheDataTypeE0ELb1ELi512EEEvPfS3_PT_PKS4_PKT0_SA_ifPKiSC_iPKfiiiSE_SE_iiiii: ; @_ZN4vllm25paged_attention_v2_kernelI14__hip_bfloat16S1_Li96ELi32ELi128ELNS_18Fp8KVCacheDataTypeE0ELb1ELi512EEEvPfS3_PT_PKS4_PKT0_SA_ifPKiSC_iPKfiiiSE_SE_iiiii
; %bb.0:
	s_mov_b64 s[50:51], s[2:3]
	s_mov_b64 s[48:49], s[0:1]
	s_load_dwordx2 s[0:1], s[4:5], 0x40
	s_add_u32 s48, s48, s9
	s_addc_u32 s49, s49, 0
	s_mov_b32 s26, s7
	s_ashr_i32 s27, s7, 31
	s_lshl_b64 s[2:3], s[26:27], 2
	s_waitcnt lgkmcnt(0)
	s_add_u32 s0, s0, s2
	s_addc_u32 s1, s1, s3
	s_lshl_b32 s37, s8, 9
	s_load_dword s27, s[0:1], 0x0
	s_waitcnt lgkmcnt(0)
	s_cmp_ge_i32 s37, s27
	s_cbranch_scc1 .LBB174_100
; %bb.1:
	s_clause 0x1
	s_load_dword s9, s[4:5], 0x90
	s_load_dwordx2 s[2:3], s[4:5], 0x30
	v_mov_b32_e32 v91, v0
	s_mov_b32 s39, 0
	s_waitcnt lgkmcnt(0)
	s_abs_i32 s10, s9
	s_abs_i32 s0, s2
	v_cvt_f32_u32_e32 v0, s0
	s_sub_i32 s7, 0, s0
	v_rcp_iflag_f32_e32 v0, v0
	v_mul_f32_e32 v0, 0x4f7ffffe, v0
	v_cvt_u32_f32_e32 v0, v0
	v_readfirstlane_b32 s1, v0
	s_mul_i32 s7, s7, s1
	s_mul_hi_u32 s7, s1, s7
	s_add_i32 s1, s1, s7
	s_xor_b32 s7, s9, s2
	s_mul_hi_u32 s1, s10, s1
	s_ashr_i32 s7, s7, 31
	s_mul_i32 s11, s1, s0
	s_sub_i32 s10, s10, s11
	s_add_i32 s11, s1, 1
	s_sub_i32 s12, s10, s0
	s_cmp_ge_u32 s10, s0
	s_cselect_b32 s1, s11, s1
	s_cselect_b32 s10, s12, s10
	s_add_i32 s11, s1, 1
	s_cmp_ge_u32 s10, s0
	s_cselect_b32 s0, s11, s1
	s_abs_i32 s21, s6
	s_xor_b32 s0, s0, s7
	s_sub_i32 s10, s0, s7
	s_load_dwordx2 s[0:1], s[4:5], 0x50
	s_abs_i32 s20, s10
	v_cvt_f32_u32_e32 v0, s20
	s_sub_i32 s11, 0, s20
	v_rcp_iflag_f32_e32 v0, v0
	v_mul_f32_e32 v0, 0x4f7ffffe, v0
	v_cvt_u32_f32_e32 v0, v0
	v_readfirstlane_b32 s7, v0
	s_mul_i32 s11, s11, s7
	s_mul_hi_u32 s11, s7, s11
	s_add_i32 s7, s7, s11
	s_waitcnt lgkmcnt(0)
	s_cmp_eq_u64 s[0:1], 0
	s_mul_hi_u32 s22, s21, s7
	s_cbranch_scc1 .LBB174_3
; %bb.2:
	s_ashr_i32 s7, s6, 31
	s_lshl_b64 s[12:13], s[6:7], 2
	s_add_u32 s0, s0, s12
	s_addc_u32 s1, s1, s13
	s_load_dword s39, s[0:1], 0x0
.LBB174_3:
	s_load_dwordx4 s[12:15], s[4:5], 0x58
	v_lshlrev_b32_e32 v10, 4, v91
	s_ashr_i32 s0, s6, 31
	s_ashr_i32 s1, s10, 31
	s_mul_i32 s10, s6, 0x60
	s_mov_b32 s7, exec_lo
	v_cmpx_gt_u32_e32 12, v91
	s_cbranch_execz .LBB174_5
; %bb.4:
	s_load_dwordx2 s[16:17], s[4:5], 0x18
	s_waitcnt lgkmcnt(0)
	s_mul_i32 s18, s12, s26
	s_ashr_i32 s19, s18, 31
	s_lshl_b64 s[18:19], s[18:19], 1
	s_add_u32 s12, s16, s18
	s_addc_u32 s15, s17, s19
	s_ashr_i32 s11, s10, 31
	s_lshl_b64 s[16:17], s[10:11], 1
	s_add_u32 s16, s12, s16
	s_addc_u32 s17, s15, s17
	global_load_dwordx4 v[0:3], v10, s[16:17]
	s_waitcnt vmcnt(0)
	ds_write_b128 v10, v[0:3]
.LBB174_5:
	s_or_b32 exec_lo, exec_lo, s7
	s_load_dwordx4 s[16:19], s[4:5], 0x78
	s_mul_i32 s7, s22, s20
	s_xor_b32 s0, s0, s1
	s_sub_i32 s1, s21, s7
	s_add_i32 s7, s22, 1
	s_sub_i32 s11, s1, s20
	s_cmp_ge_u32 s1, s20
	s_mov_b32 s21, -1
	s_cselect_b32 s7, s7, s22
	s_cselect_b32 s1, s11, s1
	s_add_i32 s11, s7, 1
	s_cmp_ge_u32 s1, s20
                                        ; implicit-def: $sgpr33
	s_cselect_b32 s1, s11, s7
	s_load_dword s7, s[4:5], 0x88
	s_xor_b32 s1, s1, s0
	s_add_i32 s20, s27, -1
	s_sub_i32 s1, s1, s0
	s_waitcnt lgkmcnt(0)
	s_abs_i32 s15, s20
	s_abs_i32 s11, s19
	s_barrier
	v_cvt_f32_u32_e32 v0, s11
	s_sub_i32 s0, 0, s11
	buffer_gl0_inv
	v_rcp_iflag_f32_e32 v0, v0
	v_mul_f32_e32 v0, 0x4f7ffffe, v0
	v_cvt_u32_f32_e32 v0, v0
	v_readfirstlane_b32 s12, v0
	s_mul_i32 s0, s0, s12
	s_mul_hi_u32 s0, s12, s0
	s_add_i32 s12, s12, s0
	s_cmp_lt_i32 s7, 0
	s_mul_hi_u32 s0, s15, s12
	s_cbranch_scc0 .LBB174_7
; %bb.6:
	s_mul_i32 s2, s16, s2
	s_mov_b32 s21, 0
	s_add_i32 s2, s1, s2
	s_mul_i32 s2, s2, s7
	s_sub_i32 s33, 1, s2
.LBB174_7:
	s_load_dwordx2 s[28:29], s[4:5], 0x38
	s_ashr_i32 s2, s20, 31
	s_andn2_b32 vcc_lo, exec_lo, s21
	s_ashr_i32 s19, s19, 31
	s_cbranch_vccnz .LBB174_9
; %bb.8:
	s_mul_i32 s16, s9, s16
	s_add_i32 s16, s16, s6
	s_mul_i32 s7, s16, s7
	s_add_i32 s33, s7, 1
.LBB174_9:
	s_clause 0x4
	s_load_dword s16, s[4:5], 0x48
	s_load_dwordx2 s[34:35], s[4:5], 0x28
	s_load_dword s7, s[4:5], 0x98
	s_load_dwordx4 s[20:23], s[4:5], 0x0
	s_load_dwordx2 s[24:25], s[4:5], 0x10
	s_mul_i32 s30, s0, s11
	s_xor_b32 s2, s2, s19
	s_sub_i32 s15, s15, s30
	s_add_i32 s36, s0, 1
	v_lshrrev_b32_e32 v92, 5, v91
	v_and_b32_e32 v0, 31, v91
	v_mov_b32_e32 v47, 0xff7fffff
	s_mul_i32 s14, s1, s14
	v_lshl_add_u32 v62, v92, 5, s37
	v_lshlrev_b32_e32 v25, 2, v0
	buffer_store_dword v0, off, s[48:51], 0 ; 4-byte Folded Spill
	s_waitcnt lgkmcnt(0)
	s_mul_i32 s30, s16, s26
	s_sub_i32 s16, s15, s11
	s_ashr_i32 s31, s30, 31
	s_cmp_ge_u32 s15, s11
	s_cselect_b32 s0, s36, s0
	s_cselect_b32 s15, s16, s15
	s_add_i32 s16, s0, 1
	s_cmp_ge_u32 s15, s11
	s_cselect_b32 s0, s16, s0
	s_add_i32 s15, s27, 31
	s_lshl_b32 s40, s8, 4
	s_ashr_i32 s16, s15, 31
	v_add_nc_u32_e32 v57, s40, v92
	s_lshr_b32 s16, s16, 27
	s_add_i32 s15, s15, s16
	s_add_i32 s16, s40, 16
	s_ashr_i32 s36, s15, 5
	s_xor_b32 s15, s0, s2
	s_min_i32 s16, s16, s36
	v_ashrrev_i32_e32 v58, 31, v57
	v_cmp_gt_i32_e64 s0, s16, v57
	s_sub_i32 s38, s15, s2
	s_and_saveexec_b32 s41, s0
	s_cbranch_execz .LBB174_17
; %bb.10:
	v_mov_b32_e32 v24, 0
	buffer_store_dword v10, off, s[48:51], 0 offset:168 ; 4-byte Folded Spill
	buffer_store_dword v91, off, s[48:51], 0 offset:160 ; 4-byte Folded Spill
	s_load_dwordx2 s[42:43], s[4:5], 0x20
	s_ashr_i32 s15, s14, 31
	s_sub_i32 s4, s38, s17
	ds_read_b128 v[0:3], v24
	ds_read_b128 v[4:7], v24 offset:16
	ds_read_b128 v[8:11], v24 offset:32
	;; [unrolled: 1-line block ×5, first 2 shown]
	s_lshl_b64 s[44:45], s[14:15], 1
	v_mov_b32_e32 v47, 0xff7fffff
	v_mov_b32_e32 v70, v57
	buffer_store_dword v25, off, s[48:51], 0 offset:172 ; 4-byte Folded Spill
	s_waitcnt lgkmcnt(0)
	v_and_b32_e32 v26, 0xffff0000, v0
	v_lshlrev_b32_e32 v0, 16, v0
	s_add_u32 s1, s42, s44
	s_addc_u32 s2, s43, s45
	s_abs_i32 s5, s18
	s_lshl_b64 s[42:43], s[30:31], 2
	buffer_store_dword v0, off, s[48:51], 0 offset:8 ; 4-byte Folded Spill
	v_and_b32_e32 v0, 0xffff0000, v1
	s_sub_i32 s15, 0, s5
	v_lshlrev_b32_e32 v89, 16, v18
	v_and_b32_e32 v90, 0xffff0000, v22
	v_and_b32_e32 v91, 0xffff0000, v15
	buffer_store_dword v0, off, s[48:51], 0 offset:12 ; 4-byte Folded Spill
	v_lshlrev_b32_e32 v0, 16, v1
	v_lshlrev_b32_e32 v93, 16, v22
	v_and_b32_e32 v94, 0xffff0000, v19
	v_lshlrev_b32_e32 v95, 16, v19
	v_and_b32_e32 v96, 0xffff0000, v23
	buffer_store_dword v0, off, s[48:51], 0 offset:16 ; 4-byte Folded Spill
	v_and_b32_e32 v0, 0xffff0000, v2
	v_lshlrev_b32_e32 v97, 16, v23
	buffer_store_dword v26, off, s[48:51], 0 offset:4 ; 4-byte Folded Spill
	buffer_store_dword v0, off, s[48:51], 0 offset:20 ; 4-byte Folded Spill
	v_lshlrev_b32_e32 v0, 16, v2
	buffer_store_dword v0, off, s[48:51], 0 offset:24 ; 4-byte Folded Spill
	v_and_b32_e32 v0, 0xffff0000, v3
	buffer_store_dword v0, off, s[48:51], 0 offset:28 ; 4-byte Folded Spill
	v_lshlrev_b32_e32 v0, 16, v3
	buffer_store_dword v0, off, s[48:51], 0 offset:32 ; 4-byte Folded Spill
	v_and_b32_e32 v0, 0xffff0000, v4
	buffer_store_dword v0, off, s[48:51], 0 offset:36 ; 4-byte Folded Spill
	v_lshlrev_b32_e32 v0, 16, v4
	v_lshlrev_b32_e32 v4, 16, v21
	buffer_store_dword v0, off, s[48:51], 0 offset:40 ; 4-byte Folded Spill
	v_and_b32_e32 v0, 0xffff0000, v5
	buffer_store_dword v4, off, s[48:51], 0 offset:128 ; 4-byte Folded Spill
	v_and_b32_e32 v4, 0xffff0000, v10
	buffer_store_dword v0, off, s[48:51], 0 offset:44 ; 4-byte Folded Spill
	v_lshlrev_b32_e32 v0, 16, v5
	buffer_store_dword v4, off, s[48:51], 0 offset:132 ; 4-byte Folded Spill
	v_lshlrev_b32_e32 v4, 16, v10
	buffer_store_dword v0, off, s[48:51], 0 offset:48 ; 4-byte Folded Spill
	v_and_b32_e32 v0, 0xffff0000, v6
	buffer_store_dword v4, off, s[48:51], 0 offset:136 ; 4-byte Folded Spill
	v_and_b32_e32 v4, 0xffff0000, v14
	buffer_store_dword v0, off, s[48:51], 0 offset:52 ; 4-byte Folded Spill
	v_lshlrev_b32_e32 v0, 16, v6
	buffer_store_dword v4, off, s[48:51], 0 offset:140 ; 4-byte Folded Spill
	;; [unrolled: 8-line block ×3, first 2 shown]
	v_and_b32_e32 v4, 0xffff0000, v11
	buffer_store_dword v0, off, s[48:51], 0 offset:64 ; 4-byte Folded Spill
	v_and_b32_e32 v0, 0xffff0000, v8
	buffer_store_dword v4, off, s[48:51], 0 offset:152 ; 4-byte Folded Spill
	ds_read_b128 v[4:7], v24 offset:112
	buffer_store_dword v0, off, s[48:51], 0 offset:68 ; 4-byte Folded Spill
	v_lshlrev_b32_e32 v0, 16, v8
	v_lshlrev_b32_e32 v8, 16, v11
	buffer_store_dword v0, off, s[48:51], 0 offset:72 ; 4-byte Folded Spill
	v_and_b32_e32 v0, 0xffff0000, v12
	buffer_store_dword v8, off, s[48:51], 0 offset:156 ; 4-byte Folded Spill
	buffer_store_dword v0, off, s[48:51], 0 offset:76 ; 4-byte Folded Spill
	v_lshlrev_b32_e32 v0, 16, v12
	v_cvt_f32_u32_e32 v12, s5
	s_waitcnt lgkmcnt(0)
	v_and_b32_e32 v106, 0xffff0000, v4
	buffer_store_dword v0, off, s[48:51], 0 offset:80 ; 4-byte Folded Spill
	v_and_b32_e32 v0, 0xffff0000, v16
	v_lshlrev_b32_e32 v107, 16, v4
	v_and_b32_e32 v108, 0xffff0000, v5
	v_lshlrev_b32_e32 v109, 16, v5
	v_and_b32_e32 v110, 0xffff0000, v6
	buffer_store_dword v0, off, s[48:51], 0 offset:84 ; 4-byte Folded Spill
	v_lshlrev_b32_e32 v0, 16, v16
	v_lshlrev_b32_e32 v111, 16, v6
	v_and_b32_e32 v112, 0xffff0000, v7
	v_lshlrev_b32_e32 v113, 16, v7
	ds_read_b128 v[4:7], v24 offset:160
	buffer_store_dword v0, off, s[48:51], 0 offset:88 ; 4-byte Folded Spill
	v_and_b32_e32 v0, 0xffff0000, v20
	buffer_store_dword v0, off, s[48:51], 0 offset:92 ; 4-byte Folded Spill
	v_lshlrev_b32_e32 v0, 16, v20
	buffer_store_dword v0, off, s[48:51], 0 offset:96 ; 4-byte Folded Spill
	v_and_b32_e32 v0, 0xffff0000, v9
	buffer_store_dword v0, off, s[48:51], 0 offset:100 ; 4-byte Folded Spill
	v_lshlrev_b32_e32 v0, 16, v9
	ds_read_b128 v[8:11], v24 offset:128
	buffer_store_dword v0, off, s[48:51], 0 offset:104 ; 4-byte Folded Spill
	v_and_b32_e32 v0, 0xffff0000, v13
	buffer_store_dword v0, off, s[48:51], 0 offset:108 ; 4-byte Folded Spill
	v_lshlrev_b32_e32 v0, 16, v13
	v_mov_b32_e32 v13, v92
	v_lshlrev_b32_e32 v92, 16, v15
	buffer_store_dword v0, off, s[48:51], 0 offset:112 ; 4-byte Folded Spill
	v_and_b32_e32 v0, 0xffff0000, v17
	v_lshl_add_u32 v69, v13, 5, s37
	buffer_store_dword v13, off, s[48:51], 0 offset:164 ; 4-byte Folded Spill
	buffer_store_dword v0, off, s[48:51], 0 offset:116 ; 4-byte Folded Spill
	v_lshlrev_b32_e32 v0, 16, v17
	buffer_store_dword v0, off, s[48:51], 0 offset:120 ; 4-byte Folded Spill
	v_and_b32_e32 v0, 0xffff0000, v21
	buffer_store_dword v0, off, s[48:51], 0 offset:124 ; 4-byte Folded Spill
	ds_read_b128 v[0:3], v24 offset:96
	s_waitcnt lgkmcnt(0)
	v_and_b32_e32 v98, 0xffff0000, v0
	v_lshlrev_b32_e32 v99, 16, v0
	v_and_b32_e32 v100, 0xffff0000, v1
	v_lshlrev_b32_e32 v101, 16, v1
	;; [unrolled: 2-line block ×4, first 2 shown]
	ds_read_b128 v[0:3], v24 offset:144
	v_and_b32_e32 v114, 0xffff0000, v8
	v_lshlrev_b32_e32 v115, 16, v8
	v_and_b32_e32 v116, 0xffff0000, v9
	v_lshlrev_b32_e32 v117, 16, v9
	;; [unrolled: 2-line block ×4, first 2 shown]
	ds_read_b128 v[8:11], v24 offset:176
	v_and_b32_e32 v45, 0xffff0000, v5
	v_and_b32_e32 v60, 0xffff0000, v4
	v_lshlrev_b32_e32 v61, 16, v4
	v_and_b32_e32 v46, 0xffff0000, v6
	v_lshlrev_b32_e32 v48, 16, v6
	;; [unrolled: 2-line block ×3, first 2 shown]
	s_waitcnt lgkmcnt(1)
	v_and_b32_e32 v122, 0xffff0000, v0
	v_lshlrev_b32_e32 v123, 16, v0
	v_lshlrev_b32_e32 v0, 16, v5
	buffer_load_dword v5, off, s[48:51], 0  ; 4-byte Folded Reload
	v_and_b32_e32 v124, 0xffff0000, v1
	v_lshlrev_b32_e32 v125, 16, v1
	v_rcp_iflag_f32_e32 v1, v12
	v_and_b32_e32 v43, 0xffff0000, v3
	v_lshlrev_b32_e32 v44, 16, v3
	v_and_b32_e32 v126, 0xffff0000, v2
	v_lshlrev_b32_e32 v127, 16, v2
	s_waitcnt lgkmcnt(0)
	v_and_b32_e32 v51, 0xffff0000, v8
	v_lshlrev_b32_e32 v52, 16, v8
	v_and_b32_e32 v53, 0xffff0000, v9
	v_lshlrev_b32_e32 v54, 16, v9
	v_and_b32_e32 v55, 0xffff0000, v10
	v_mul_f32_e32 v1, 0x4f7ffffe, v1
	v_lshlrev_b32_e32 v56, 16, v10
	v_and_b32_e32 v59, 0xffff0000, v11
	v_lshlrev_b32_e32 v63, 16, v11
	v_cvt_u32_f32_e32 v3, v1
	v_lshlrev_b64 v[1:2], 2, v[57:58]
	v_mul_lo_u32 v4, s15, v3
	s_add_u32 s15, s28, s42
	s_addc_u32 s42, s29, s43
	v_add_co_u32 v41, vcc_lo, s15, v1
	v_add_co_ci_u32_e64 v42, null, s42, v2, vcc_lo
	v_lshl_or_b32 v2, v13, 7, v25
	v_mul_hi_u32 v4, v3, v4
	v_cmp_neq_f32_e64 vcc_lo, s39, 0
	s_mov_b32 s42, s13
	s_mov_b32 s15, 0
	v_add_nc_u32_e32 v66, 0xe0, v2
	v_add_nc_u32_e32 v64, v3, v4
	s_waitcnt vmcnt(0)
	v_lshlrev_b32_e32 v3, 4, v5
	v_subrev_nc_u32_e32 v1, s27, v5
	v_add_co_u32 v67, s1, s1, v3
	v_add_nc_u32_e32 v65, 1, v1
	v_add_co_ci_u32_e64 v68, null, s2, 0, s1
	s_branch .LBB174_12
.LBB174_11:                             ;   in Loop: Header=BB174_12 Depth=1
	s_or_b32 exec_lo, exec_lo, s43
	v_add_nc_u32_e32 v70, 4, v70
	v_add_co_u32 v41, s2, v41, 16
	v_add_co_ci_u32_e64 v42, null, 0, v42, s2
	v_cmp_le_i32_e64 s1, s16, v70
	v_add_nc_u32_e32 v69, 0x80, v69
	v_add_nc_u32_e32 v66, 0x200, v66
	s_or_b32 s15, s1, s15
	s_andn2_b32 exec_lo, exec_lo, s15
	s_cbranch_execz .LBB174_16
.LBB174_12:                             ; =>This Inner Loop Header: Depth=1
	v_sub_nc_u32_e32 v1, 0, v69
	v_max_i32_e32 v1, v69, v1
	v_mul_hi_u32 v2, v1, s12
	v_mul_lo_u32 v3, v2, s11
	v_sub_nc_u32_e32 v1, v1, v3
	v_add_nc_u32_e32 v3, 1, v2
	v_subrev_nc_u32_e32 v4, s11, v1
	v_cmp_le_u32_e64 s1, s11, v1
	v_cndmask_b32_e64 v2, v2, v3, s1
	v_cndmask_b32_e64 v1, v1, v4, s1
	v_ashrrev_i32_e32 v3, 31, v69
	v_add_nc_u32_e32 v4, 1, v2
	v_cmp_le_u32_e64 s1, s11, v1
	v_xor_b32_e32 v3, s19, v3
	v_cndmask_b32_e64 v1, v2, v4, s1
	v_xor_b32_e32 v1, v1, v3
	v_sub_nc_u32_e32 v1, v1, v3
	v_add_nc_u32_e32 v2, s33, v1
	v_cmp_ge_i32_e64 s2, s4, v1
	v_sub_nc_u32_e32 v3, 0, v2
	v_max_i32_e32 v3, v2, v3
	v_ashrrev_i32_e32 v2, 31, v2
	v_mul_hi_u32 v4, v3, v64
	v_mul_lo_u32 v4, v4, s5
	v_sub_nc_u32_e32 v3, v3, v4
	v_subrev_nc_u32_e32 v4, s5, v3
	v_cmp_le_u32_e64 s1, s5, v3
	v_cndmask_b32_e64 v3, v3, v4, s1
	v_subrev_nc_u32_e32 v4, s5, v3
	v_cmp_le_u32_e64 s1, s5, v3
	v_cndmask_b32_e64 v3, v3, v4, s1
	v_xor_b32_e32 v3, v3, v2
	v_sub_nc_u32_e32 v2, v3, v2
	v_cmp_ne_u32_e64 s1, 0, v2
	s_and_b32 s1, s1, s2
	s_and_saveexec_b32 s2, s1
	s_xor_b32 s1, exec_lo, s2
; %bb.13:                               ;   in Loop: Header=BB174_12 Depth=1
	v_mov_b32_e32 v1, 0xff7fffff
	ds_write_b32 v66, v1
; %bb.14:                               ;   in Loop: Header=BB174_12 Depth=1
	s_andn2_saveexec_b32 s43, s1
	s_cbranch_execz .LBB174_11
; %bb.15:                               ;   in Loop: Header=BB174_12 Depth=1
	global_load_dword v1, v[41:42], off
	buffer_load_dword v2, off, s[48:51], 0  ; 4-byte Folded Reload
	s_waitcnt vmcnt(0)
	v_add_nc_u32_e32 v3, v2, v69
	v_mad_i64_i32 v[1:2], null, v1, s42, 0
	v_lshlrev_b64 v[1:2], 1, v[1:2]
	v_add_co_u32 v5, s1, v67, v1
	v_add_nc_u32_e32 v1, v65, v69
	v_add_co_ci_u32_e64 v6, null, v68, v2, s1
	v_cmp_gt_i32_e64 s1, s27, v3
	v_cvt_f32_i32_e32 v1, v1
	v_mul_f32_e32 v1, s39, v1
	v_cndmask_b32_e32 v71, 0, v1, vcc_lo
	global_load_dwordx4 v[1:4], v[5:6], off
	s_waitcnt vmcnt(0)
	v_lshlrev_b32_e32 v82, 16, v1
	v_and_b32_e32 v83, 0xffff0000, v1
	v_lshlrev_b32_e32 v84, 16, v2
	v_and_b32_e32 v85, 0xffff0000, v2
	;; [unrolled: 2-line block ×4, first 2 shown]
	s_clause 0x2
	global_load_dwordx4 v[1:4], v[5:6], off offset:512
	global_load_dwordx4 v[37:40], v[5:6], off offset:1024
	;; [unrolled: 1-line block ×3, first 2 shown]
	s_waitcnt vmcnt(2)
	v_and_b32_e32 v73, 0xffff0000, v1
	v_lshlrev_b32_e32 v72, 16, v1
	v_add_co_u32 v1, s2, 0x800, v5
	v_and_b32_e32 v86, 0xffff0000, v2
	v_lshlrev_b32_e32 v87, 16, v2
	v_and_b32_e32 v80, 0xffff0000, v3
	v_lshlrev_b32_e32 v81, 16, v3
	v_add_co_ci_u32_e64 v2, null, 0, v6, s2
	v_add_co_u32 v3, s2, v5, 0x1000
	v_and_b32_e32 v76, 0xffff0000, v4
	v_lshlrev_b32_e32 v77, 16, v4
	v_add_co_ci_u32_e64 v4, null, 0, v6, s2
	s_clause 0x3
	global_load_dwordx4 v[29:32], v[3:4], off offset:-2048
	global_load_dwordx4 v[25:28], v[1:2], off offset:512
	global_load_dwordx4 v[21:24], v[1:2], off offset:1024
	;; [unrolled: 1-line block ×3, first 2 shown]
	v_add_co_u32 v1, s2, 0x1000, v5
	v_add_co_ci_u32_e64 v2, null, 0, v6, s2
	s_clause 0x3
	global_load_dwordx4 v[13:16], v[3:4], off
	global_load_dwordx4 v[9:12], v[1:2], off offset:512
	global_load_dwordx4 v[5:8], v[1:2], off offset:1024
	;; [unrolled: 1-line block ×3, first 2 shown]
	buffer_load_dword v88, off, s[48:51], 0 offset:40 ; 4-byte Folded Reload
	s_waitcnt vmcnt(0)
	v_mul_f32_e32 v72, v88, v72
	buffer_load_dword v88, off, s[48:51], 0 offset:36 ; 4-byte Folded Reload
	s_waitcnt vmcnt(0)
	v_mul_f32_e32 v73, v88, v73
	buffer_load_dword v88, off, s[48:51], 0 offset:4 ; 4-byte Folded Reload
	s_waitcnt vmcnt(0)
	v_fmac_f32_e32 v73, v88, v83
	buffer_load_dword v83, off, s[48:51], 0 offset:8 ; 4-byte Folded Reload
	s_waitcnt vmcnt(0)
	v_fmac_f32_e32 v72, v83, v82
	buffer_load_dword v83, off, s[48:51], 0 offset:72 ; 4-byte Folded Reload
	v_and_b32_e32 v82, 0xffff0000, v37
	v_lshlrev_b32_e32 v37, 16, v37
	s_waitcnt vmcnt(0)
	v_fmac_f32_e32 v72, v83, v37
	buffer_load_dword v37, off, s[48:51], 0 offset:68 ; 4-byte Folded Reload
	s_waitcnt vmcnt(0)
	v_fmac_f32_e32 v73, v37, v82
	buffer_load_dword v82, off, s[48:51], 0 offset:76 ; 4-byte Folded Reload
	v_lshlrev_b32_e32 v37, 16, v33
	v_and_b32_e32 v33, 0xffff0000, v33
	s_waitcnt vmcnt(0)
	v_fmac_f32_e32 v73, v82, v33
	buffer_load_dword v33, off, s[48:51], 0 offset:80 ; 4-byte Folded Reload
	s_waitcnt vmcnt(0)
	v_fmac_f32_e32 v72, v33, v37
	buffer_load_dword v37, off, s[48:51], 0 offset:88 ; 4-byte Folded Reload
	v_and_b32_e32 v33, 0xffff0000, v29
	v_lshlrev_b32_e32 v29, 16, v29
	s_waitcnt vmcnt(0)
	v_fmac_f32_e32 v72, v37, v29
	buffer_load_dword v29, off, s[48:51], 0 offset:84 ; 4-byte Folded Reload
	s_waitcnt vmcnt(0)
	v_fmac_f32_e32 v73, v29, v33
	buffer_load_dword v33, off, s[48:51], 0 offset:92 ; 4-byte Folded Reload
	v_lshlrev_b32_e32 v29, 16, v25
	v_and_b32_e32 v25, 0xffff0000, v25
	s_waitcnt vmcnt(0)
	v_fmac_f32_e32 v73, v33, v25
	buffer_load_dword v25, off, s[48:51], 0 offset:96 ; 4-byte Folded Reload
	s_waitcnt vmcnt(0)
	v_fmac_f32_e32 v72, v25, v29
	v_and_b32_e32 v25, 0xffff0000, v21
	v_lshlrev_b32_e32 v21, 16, v21
	v_fmac_f32_e32 v73, v98, v25
	v_fmac_f32_e32 v72, v99, v21
	v_lshlrev_b32_e32 v21, 16, v17
	v_and_b32_e32 v17, 0xffff0000, v17
	v_fmac_f32_e32 v72, v107, v21
	v_fmac_f32_e32 v73, v106, v17
	v_and_b32_e32 v17, 0xffff0000, v13
	v_lshlrev_b32_e32 v13, 16, v13
	v_fmac_f32_e32 v73, v114, v17
	v_fmac_f32_e32 v72, v115, v13
	v_lshlrev_b32_e32 v13, 16, v9
	v_and_b32_e32 v9, 0xffff0000, v9
	buffer_load_dword v17, off, s[48:51], 0 offset:104 ; 4-byte Folded Reload
	v_fmac_f32_e32 v72, v123, v13
	v_fmac_f32_e32 v73, v122, v9
	v_and_b32_e32 v9, 0xffff0000, v5
	v_lshlrev_b32_e32 v5, 16, v5
	v_lshlrev_b32_e32 v13, 16, v38
	v_fmac_f32_e32 v73, v60, v9
	v_fmac_f32_e32 v72, v61, v5
	v_lshlrev_b32_e32 v5, 16, v1
	v_and_b32_e32 v1, 0xffff0000, v1
	buffer_load_dword v9, off, s[48:51], 0 offset:12 ; 4-byte Folded Reload
	v_fmac_f32_e32 v72, v52, v5
	v_fmac_f32_e32 v73, v51, v1
	buffer_load_dword v1, off, s[48:51], 0 offset:48 ; 4-byte Folded Reload
	s_waitcnt vmcnt(0)
	v_mul_f32_e32 v5, v1, v87
	buffer_load_dword v1, off, s[48:51], 0 offset:44 ; 4-byte Folded Reload
	s_waitcnt vmcnt(0)
	v_mul_f32_e32 v1, v1, v86
	v_fmac_f32_e32 v1, v9, v85
	buffer_load_dword v9, off, s[48:51], 0 offset:16 ; 4-byte Folded Reload
	s_waitcnt vmcnt(0)
	v_fmac_f32_e32 v5, v9, v84
	v_and_b32_e32 v9, 0xffff0000, v38
	v_fmac_f32_e32 v5, v17, v13
	s_clause 0x1
	buffer_load_dword v13, off, s[48:51], 0 offset:100
	buffer_load_dword v17, off, s[48:51], 0 offset:108
	s_waitcnt vmcnt(1)
	v_fmac_f32_e32 v1, v13, v9
	v_and_b32_e32 v13, 0xffff0000, v34
	v_lshlrev_b32_e32 v9, 16, v34
	s_waitcnt vmcnt(0)
	v_fmac_f32_e32 v1, v17, v13
	s_clause 0x1
	buffer_load_dword v13, off, s[48:51], 0 offset:112
	buffer_load_dword v17, off, s[48:51], 0 offset:120
	s_waitcnt vmcnt(1)
	v_fmac_f32_e32 v5, v13, v9
	v_lshlrev_b32_e32 v13, 16, v30
	v_and_b32_e32 v9, 0xffff0000, v30
	s_waitcnt vmcnt(0)
	v_fmac_f32_e32 v5, v17, v13
	s_clause 0x1
	buffer_load_dword v13, off, s[48:51], 0 offset:116
	buffer_load_dword v17, off, s[48:51], 0 offset:124
	s_waitcnt vmcnt(1)
	v_fmac_f32_e32 v1, v13, v9
	v_and_b32_e32 v13, 0xffff0000, v26
	v_lshlrev_b32_e32 v9, 16, v26
	s_waitcnt vmcnt(0)
	v_fmac_f32_e32 v1, v17, v13
	buffer_load_dword v13, off, s[48:51], 0 offset:128 ; 4-byte Folded Reload
	s_waitcnt vmcnt(0)
	v_fmac_f32_e32 v5, v13, v9
	v_and_b32_e32 v9, 0xffff0000, v22
	v_lshlrev_b32_e32 v13, 16, v22
	v_fmac_f32_e32 v1, v100, v9
	v_fmac_f32_e32 v5, v101, v13
	v_lshlrev_b32_e32 v9, 16, v18
	v_and_b32_e32 v13, 0xffff0000, v18
	v_fmac_f32_e32 v5, v109, v9
	v_fmac_f32_e32 v1, v108, v13
	v_and_b32_e32 v9, 0xffff0000, v14
	v_lshlrev_b32_e32 v13, 16, v14
	v_fmac_f32_e32 v1, v116, v9
	v_fmac_f32_e32 v5, v117, v13
	v_lshlrev_b32_e32 v9, 16, v10
	v_and_b32_e32 v10, 0xffff0000, v10
	buffer_load_dword v13, off, s[48:51], 0 offset:136 ; 4-byte Folded Reload
	v_fmac_f32_e32 v5, v125, v9
	v_fmac_f32_e32 v1, v124, v10
	v_and_b32_e32 v9, 0xffff0000, v6
	v_lshlrev_b32_e32 v6, 16, v6
	v_lshlrev_b32_e32 v10, 16, v39
	v_fmac_f32_e32 v1, v45, v9
	v_fmac_f32_e32 v5, v0, v6
	v_lshlrev_b32_e32 v6, 16, v2
	v_and_b32_e32 v2, 0xffff0000, v2
	buffer_load_dword v9, off, s[48:51], 0 offset:20 ; 4-byte Folded Reload
	v_fmac_f32_e32 v5, v54, v6
	v_fmac_f32_e32 v1, v53, v2
	buffer_load_dword v2, off, s[48:51], 0 offset:56 ; 4-byte Folded Reload
	s_waitcnt vmcnt(0)
	v_mul_f32_e32 v6, v2, v81
	buffer_load_dword v2, off, s[48:51], 0 offset:52 ; 4-byte Folded Reload
	s_waitcnt vmcnt(0)
	v_mul_f32_e32 v2, v2, v80
	v_fmac_f32_e32 v2, v9, v79
	buffer_load_dword v9, off, s[48:51], 0 offset:24 ; 4-byte Folded Reload
	s_waitcnt vmcnt(0)
	v_fmac_f32_e32 v6, v9, v78
	v_and_b32_e32 v9, 0xffff0000, v39
	v_fmac_f32_e32 v6, v13, v10
	s_clause 0x1
	buffer_load_dword v10, off, s[48:51], 0 offset:132
	buffer_load_dword v13, off, s[48:51], 0 offset:140
	s_waitcnt vmcnt(1)
	v_fmac_f32_e32 v2, v10, v9
	v_and_b32_e32 v10, 0xffff0000, v35
	v_lshlrev_b32_e32 v9, 16, v35
	s_waitcnt vmcnt(0)
	v_fmac_f32_e32 v2, v13, v10
	buffer_load_dword v10, off, s[48:51], 0 offset:144 ; 4-byte Folded Reload
	s_waitcnt vmcnt(0)
	v_fmac_f32_e32 v6, v10, v9
	v_lshlrev_b32_e32 v10, 16, v31
	v_and_b32_e32 v9, 0xffff0000, v31
	v_fmac_f32_e32 v6, v89, v10
	buffer_load_dword v10, off, s[48:51], 0 offset:148 ; 4-byte Folded Reload
	s_waitcnt vmcnt(0)
	v_fmac_f32_e32 v2, v10, v9
	v_lshlrev_b32_e32 v9, 16, v27
	v_and_b32_e32 v10, 0xffff0000, v27
	v_fmac_f32_e32 v6, v93, v9
	v_fmac_f32_e32 v2, v90, v10
	v_and_b32_e32 v9, 0xffff0000, v23
	v_lshlrev_b32_e32 v10, 16, v23
	v_fmac_f32_e32 v2, v102, v9
	v_fmac_f32_e32 v6, v103, v10
	v_lshlrev_b32_e32 v9, 16, v19
	v_and_b32_e32 v10, 0xffff0000, v19
	v_fmac_f32_e32 v6, v111, v9
	v_fmac_f32_e32 v2, v110, v10
	v_and_b32_e32 v9, 0xffff0000, v15
	v_lshlrev_b32_e32 v10, 16, v15
	v_fmac_f32_e32 v2, v118, v9
	v_fmac_f32_e32 v6, v119, v10
	v_lshlrev_b32_e32 v9, 16, v11
	v_and_b32_e32 v10, 0xffff0000, v11
	buffer_load_dword v11, off, s[48:51], 0 offset:156 ; 4-byte Folded Reload
	v_fmac_f32_e32 v6, v127, v9
	v_fmac_f32_e32 v2, v126, v10
	v_and_b32_e32 v9, 0xffff0000, v7
	v_lshlrev_b32_e32 v7, 16, v7
	v_lshlrev_b32_e32 v10, 16, v40
	v_fmac_f32_e32 v2, v46, v9
	v_fmac_f32_e32 v6, v48, v7
	v_lshlrev_b32_e32 v7, 16, v3
	v_and_b32_e32 v3, 0xffff0000, v3
	buffer_load_dword v9, off, s[48:51], 0 offset:28 ; 4-byte Folded Reload
	v_fmac_f32_e32 v6, v56, v7
	v_fmac_f32_e32 v2, v55, v3
	buffer_load_dword v3, off, s[48:51], 0 offset:64 ; 4-byte Folded Reload
	s_waitcnt vmcnt(0)
	v_mul_f32_e32 v7, v3, v77
	buffer_load_dword v3, off, s[48:51], 0 offset:60 ; 4-byte Folded Reload
	s_waitcnt vmcnt(0)
	v_mul_f32_e32 v3, v3, v76
	v_fmac_f32_e32 v3, v9, v75
	buffer_load_dword v9, off, s[48:51], 0 offset:32 ; 4-byte Folded Reload
	s_waitcnt vmcnt(0)
	v_fmac_f32_e32 v7, v9, v74
	v_and_b32_e32 v9, 0xffff0000, v40
	v_fmac_f32_e32 v7, v11, v10
	buffer_load_dword v10, off, s[48:51], 0 offset:152 ; 4-byte Folded Reload
	s_waitcnt vmcnt(0)
	v_fmac_f32_e32 v3, v10, v9
	v_lshlrev_b32_e32 v9, 16, v36
	v_and_b32_e32 v10, 0xffff0000, v36
	v_fmac_f32_e32 v7, v92, v9
	v_fmac_f32_e32 v3, v91, v10
	v_and_b32_e32 v9, 0xffff0000, v32
	v_lshlrev_b32_e32 v10, 16, v32
	v_fmac_f32_e32 v3, v94, v9
	v_fmac_f32_e32 v7, v95, v10
	v_lshlrev_b32_e32 v9, 16, v28
	v_and_b32_e32 v10, 0xffff0000, v28
	v_fmac_f32_e32 v7, v97, v9
	v_fmac_f32_e32 v3, v96, v10
	v_and_b32_e32 v9, 0xffff0000, v24
	v_lshlrev_b32_e32 v10, 16, v24
	v_fmac_f32_e32 v3, v104, v9
	;; [unrolled: 8-line block ×4, first 2 shown]
	v_fmac_f32_e32 v7, v50, v8
	v_lshlrev_b32_e32 v8, 16, v4
	v_and_b32_e32 v4, 0xffff0000, v4
	v_fmac_f32_e32 v7, v63, v8
	v_fmac_f32_e32 v3, v59, v4
	v_add_f32_e32 v4, v72, v73
	v_add_f32_e32 v4, v4, v5
	;; [unrolled: 1-line block ×5, first 2 shown]
	v_max_f32_e32 v2, v47, v47
	v_add_f32_e32 v1, v7, v1
	v_add_f32_e32 v1, v3, v1
	v_fmac_f32_e32 v71, s3, v1
	v_max_f32_e32 v2, v2, v71
	v_cndmask_b32_e64 v1, 0, v71, s1
	v_cndmask_b32_e64 v47, v47, v2, s1
	ds_write_b32 v66, v1
	s_branch .LBB174_11
.LBB174_16:
	s_or_b32 exec_lo, exec_lo, s15
	s_clause 0x3
	buffer_load_dword v91, off, s[48:51], 0 offset:160
	buffer_load_dword v92, off, s[48:51], 0 offset:164
	;; [unrolled: 1-line block ×4, first 2 shown]
.LBB174_17:
	s_or_b32 exec_lo, exec_lo, s41
	v_mbcnt_lo_u32_b32 v0, -1, 0
	v_max_f32_e32 v4, v47, v47
	v_xor_b32_e32 v1, 16, v0
	v_xor_b32_e32 v3, 8, v0
	v_cmp_gt_i32_e32 vcc_lo, 32, v1
	v_cndmask_b32_e32 v1, v0, v1, vcc_lo
	v_cmp_gt_i32_e32 vcc_lo, 32, v3
	v_lshlrev_b32_e32 v1, 2, v1
	v_cndmask_b32_e32 v3, v0, v3, vcc_lo
	ds_bpermute_b32 v2, v1, v47
	s_waitcnt lgkmcnt(0)
	v_max_f32_e32 v5, v2, v2
	v_lshlrev_b32_e32 v2, 2, v3
	v_max_f32_e32 v3, v4, v5
	v_xor_b32_e32 v5, 4, v0
	ds_bpermute_b32 v4, v2, v3
	v_cmp_gt_i32_e32 vcc_lo, 32, v5
	v_cndmask_b32_e32 v5, v0, v5, vcc_lo
	s_waitcnt lgkmcnt(0)
	v_max_f32_e32 v6, v4, v4
	v_lshlrev_b32_e32 v4, 2, v5
	v_max_f32_e32 v3, v3, v6
	v_xor_b32_e32 v6, 2, v0
	ds_bpermute_b32 v5, v4, v3
	v_cmp_gt_i32_e32 vcc_lo, 32, v6
	v_cndmask_b32_e32 v6, v0, v6, vcc_lo
	v_lshlrev_b32_e32 v64, 2, v6
	v_xor_b32_e32 v6, 1, v0
	v_cmp_gt_i32_e32 vcc_lo, 32, v6
	s_waitcnt lgkmcnt(0)
	v_max_f32_e32 v5, v5, v5
	v_cndmask_b32_e32 v6, v0, v6, vcc_lo
	v_max_f32_e32 v3, v3, v5
	v_lshlrev_b32_e32 v63, 2, v6
	ds_bpermute_b32 v5, v64, v3
	s_waitcnt lgkmcnt(0)
	v_max_f32_e32 v5, v5, v5
	v_max_f32_e32 v0, v3, v5
	buffer_load_dword v5, off, s[48:51], 0  ; 4-byte Folded Reload
	ds_bpermute_b32 v3, v63, v0
	s_waitcnt vmcnt(0)
	v_cmp_eq_u32_e32 vcc_lo, 0, v5
	v_lshlrev_b32_e32 v5, 2, v92
	s_and_saveexec_b32 s1, vcc_lo
	s_cbranch_execz .LBB174_19
; %bb.18:
	s_waitcnt lgkmcnt(0)
	v_max_f32_e32 v3, v3, v3
	v_max_f32_e32 v0, v0, v0
	;; [unrolled: 1-line block ×3, first 2 shown]
	ds_write_b32 v5, v0 offset:192
.LBB174_19:
	s_or_b32 exec_lo, exec_lo, s1
	buffer_load_dword v0, off, s[48:51], 0  ; 4-byte Folded Reload
	s_waitcnt vmcnt(0) lgkmcnt(0)
	s_waitcnt_vscnt null, 0x0
	s_barrier
	buffer_gl0_inv
	v_cmp_gt_u32_e64 s1, 4, v0
	v_mov_b32_e32 v0, 0xff7fffff
	s_and_saveexec_b32 s2, s1
; %bb.20:
	ds_read_b32 v0, v25 offset:192
; %bb.21:
	s_or_b32 exec_lo, exec_lo, s2
	s_waitcnt lgkmcnt(0)
	ds_bpermute_b32 v3, v64, v0
	v_max_f32_e32 v0, v0, v0
	v_mov_b32_e32 v6, 0
	s_sub_i32 s2, s16, s40
	s_lshl_b32 s2, s2, 5
	s_add_i32 s2, s2, s37
	s_min_i32 s2, s2, s27
	s_sub_i32 s4, s2, s37
	v_cmp_gt_i32_e64 s2, s4, v91
	s_waitcnt lgkmcnt(0)
	v_max_f32_e32 v3, v3, v3
	v_max_f32_e32 v0, v0, v3
	ds_bpermute_b32 v3, v63, v0
	s_waitcnt lgkmcnt(0)
	v_max_f32_e32 v3, v3, v3
	v_max_f32_e32 v0, v0, v3
	v_lshl_add_u32 v3, v91, 2, 0xe0
	ds_bpermute_b32 v0, v6, v0
	s_and_saveexec_b32 s5, s2
	s_cbranch_execz .LBB174_25
; %bb.22:
	v_lshl_add_u32 v7, v91, 2, 0xe0
	v_mov_b32_e32 v6, 0
	v_mov_b32_e32 v8, v91
	s_mov_b32 s15, 0
	.p2align	6
.LBB174_23:                             ; =>This Inner Loop Header: Depth=1
	ds_read_b32 v9, v7
	v_add_nc_u32_e32 v8, 0x80, v8
	v_cmp_le_i32_e64 s3, s4, v8
	s_or_b32 s15, s3, s15
	s_waitcnt lgkmcnt(0)
	v_sub_f32_e32 v9, v9, v0
	v_mul_f32_e32 v9, 0x3fb8aa3b, v9
	v_exp_f32_e32 v9, v9
	ds_write_b32 v7, v9
	v_add_f32_e32 v6, v6, v9
	v_add_nc_u32_e32 v7, 0x200, v7
	s_andn2_b32 exec_lo, exec_lo, s15
	s_cbranch_execnz .LBB174_23
; %bb.24:
	s_or_b32 exec_lo, exec_lo, s15
.LBB174_25:
	s_or_b32 exec_lo, exec_lo, s5
	ds_bpermute_b32 v1, v1, v6
	s_waitcnt lgkmcnt(0)
	v_add_f32_e32 v1, v6, v1
	ds_bpermute_b32 v2, v2, v1
	s_waitcnt lgkmcnt(0)
	v_add_f32_e32 v1, v1, v2
	;; [unrolled: 3-line block ×5, first 2 shown]
	s_and_saveexec_b32 s3, vcc_lo
; %bb.26:
	ds_write_b32 v5, v1 offset:208
; %bb.27:
	s_or_b32 exec_lo, exec_lo, s3
	s_waitcnt lgkmcnt(0)
	s_barrier
	buffer_gl0_inv
	s_and_saveexec_b32 s3, s1
; %bb.28:
	ds_read_b32 v1, v25 offset:208
; %bb.29:
	s_or_b32 exec_lo, exec_lo, s3
	s_waitcnt lgkmcnt(0)
	ds_bpermute_b32 v2, v64, v1
	s_waitcnt lgkmcnt(0)
	v_add_f32_e32 v1, v1, v2
	ds_bpermute_b32 v2, v63, v1
	s_waitcnt lgkmcnt(0)
	v_add_f32_e32 v1, v1, v2
	v_mov_b32_e32 v2, 0
	ds_bpermute_b32 v1, v2, v1
	s_and_saveexec_b32 s1, s2
	s_cbranch_execz .LBB174_32
; %bb.30:
	s_waitcnt lgkmcnt(0)
	v_add_f32_e32 v2, 0x358637bd, v1
	s_mov_b32 s2, 0
	v_div_scale_f32 v4, null, v2, v2, 1.0
	v_div_scale_f32 v7, vcc_lo, 1.0, v2, 1.0
	v_rcp_f32_e32 v5, v4
	v_fma_f32 v6, -v4, v5, 1.0
	v_fmac_f32_e32 v5, v6, v5
	v_mul_f32_e32 v6, v7, v5
	v_fma_f32 v8, -v4, v6, v7
	v_fmac_f32_e32 v6, v8, v5
	v_fma_f32 v4, -v4, v6, v7
	v_div_fmas_f32 v4, v4, v5, v6
	v_div_fixup_f32 v2, v4, v2, 1.0
	v_mov_b32_e32 v4, v91
.LBB174_31:                             ; =>This Inner Loop Header: Depth=1
	ds_read_b32 v5, v3
	v_add_nc_u32_e32 v4, 0x80, v4
	v_cmp_le_i32_e32 vcc_lo, s4, v4
	s_or_b32 s2, vcc_lo, s2
	s_waitcnt lgkmcnt(0)
	v_mul_f32_e32 v5, v2, v5
	ds_write_b32 v3, v5
	v_add_nc_u32_e32 v3, 0x200, v3
	s_andn2_b32 exec_lo, exec_lo, s2
	s_cbranch_execnz .LBB174_31
.LBB174_32:
	s_or_b32 exec_lo, exec_lo, s1
	s_mul_i32 s1, s7, s26
	s_waitcnt lgkmcnt(0)
	s_mul_i32 s4, s1, s9
	s_mov_b32 s1, exec_lo
	s_barrier
	buffer_gl0_inv
	v_cmpx_eq_u32_e32 0, v91
	s_cbranch_execz .LBB174_34
; %bb.33:
	s_ashr_i32 s5, s4, 31
	s_mul_i32 s40, s7, s6
	s_lshl_b64 s[2:3], s[4:5], 2
	v_mov_b32_e32 v2, 0
	s_add_u32 s5, s22, s2
	s_addc_u32 s6, s23, s3
	s_ashr_i32 s41, s40, 31
	s_lshl_b64 s[22:23], s[40:41], 2
	s_add_u32 s5, s5, s22
	s_addc_u32 s6, s6, s23
	s_ashr_i32 s9, s8, 31
	s_lshl_b64 s[40:41], s[8:9], 2
	s_add_u32 s42, s5, s40
	s_addc_u32 s43, s6, s41
	s_add_u32 s2, s20, s2
	s_addc_u32 s3, s21, s3
	s_add_u32 s2, s2, s22
	s_addc_u32 s3, s3, s23
	s_add_u32 s2, s2, s40
	s_addc_u32 s3, s3, s41
	global_store_dword v2, v0, s[42:43]
	global_store_dword v2, v1, s[2:3]
.LBB174_34:
	s_or_b32 exec_lo, exec_lo, s1
	v_mov_b32_e32 v77, 0
	v_and_b32_e32 v65, 3, v91
	v_mov_b32_e32 v76, 0
	v_mov_b32_e32 v75, 0
	;; [unrolled: 1-line block ×11, first 2 shown]
	s_and_saveexec_b32 s3, s0
	s_cbranch_execz .LBB174_64
; %bb.35:
	s_ashr_i32 s15, s14, 31
	s_sub_i32 s5, s38, s17
	s_lshl_b64 s[0:1], s[14:15], 1
	v_lshlrev_b32_e32 v2, 3, v91
	s_add_u32 s2, s34, s0
	s_addc_u32 s9, s35, s1
	s_abs_i32 s6, s18
	v_lshlrev_b32_e32 v5, 5, v65
	v_cvt_f32_u32_e32 v0, s6
	s_sub_i32 s0, 0, s6
	v_and_b32_e32 v79, 24, v2
	v_and_b32_e32 v4, 0x1f0, v10
	s_add_i32 s36, s36, -1
	v_rcp_iflag_f32_e32 v3, v0
	v_lshlrev_b64 v[0:1], 2, v[57:58]
	v_lshl_or_b32 v5, v92, 7, v5
	v_add_co_u32 v80, s2, s2, v4
	v_mov_b32_e32 v78, 0
	v_mov_b32_e32 v66, 0
	;; [unrolled: 1-line block ×5, first 2 shown]
	v_mul_f32_e32 v3, 0x4f7ffffe, v3
	v_mov_b32_e32 v70, 0
	v_mov_b32_e32 v71, 0
	;; [unrolled: 1-line block ×4, first 2 shown]
	v_cvt_u32_f32_e32 v3, v3
	v_mov_b32_e32 v74, 0
	v_mov_b32_e32 v75, 0
	;; [unrolled: 1-line block ×3, first 2 shown]
	v_add_co_ci_u32_e64 v81, null, s9, 0, s2
	v_mul_lo_u32 v2, s0, v3
	s_lshl_b64 s[0:1], s[30:31], 2
	v_add_nc_u32_e32 v82, 0xe0, v5
	s_add_u32 s0, s28, s0
	s_addc_u32 s1, s29, s1
	v_add_co_u32 v58, vcc_lo, s0, v0
	v_add_co_ci_u32_e64 v59, null, s1, v1, vcc_lo
	v_mul_hi_u32 v2, v3, v2
	v_mov_b32_e32 v77, 0
	s_mov_b32 s9, s13
	s_mov_b32 s14, s27
	;; [unrolled: 1-line block ×3, first 2 shown]
	v_add_nc_u32_e32 v83, v3, v2
	s_branch .LBB174_38
.LBB174_36:                             ;   in Loop: Header=BB174_38 Depth=1
	s_or_b32 exec_lo, exec_lo, s2
	s_waitcnt lgkmcnt(1)
	v_bfe_u32 v0, v41, 16, 1
	v_or_b32_e32 v60, 0x400000, v41
	v_bfe_u32 v61, v42, 16, 1
	v_cmp_u_f32_e32 vcc_lo, v41, v41
	v_bfe_u32 v84, v43, 16, 1
	v_add3_u32 v0, v0, v41, 0x7fff
	v_or_b32_e32 v85, 0x400000, v42
	v_add3_u32 v61, v61, v42, 0x7fff
	v_or_b32_e32 v86, 0x400000, v43
	v_add3_u32 v84, v84, v43, 0x7fff
	v_cndmask_b32_e32 v41, v0, v60, vcc_lo
	v_cmp_u_f32_e32 vcc_lo, v42, v42
	v_bfe_u32 v0, v44, 16, 1
	s_waitcnt lgkmcnt(0)
	v_bfe_u32 v60, v33, 16, 1
	v_and_b32_e32 v41, 0xffff0000, v41
	v_cndmask_b32_e32 v42, v61, v85, vcc_lo
	v_cmp_u_f32_e32 vcc_lo, v43, v43
	v_add3_u32 v0, v0, v44, 0x7fff
	v_or_b32_e32 v61, 0x400000, v44
	v_add3_u32 v60, v60, v33, 0x7fff
	v_bfe_u32 v85, v34, 16, 1
	v_cndmask_b32_e32 v43, v84, v86, vcc_lo
	v_cmp_u_f32_e32 vcc_lo, v44, v44
	v_or_b32_e32 v84, 0x400000, v33
	v_cndmask_b32_e32 v44, v0, v61, vcc_lo
	v_cmp_u_f32_e32 vcc_lo, v33, v33
	v_add3_u32 v33, v85, v34, 0x7fff
	v_or_b32_e32 v61, 0x400000, v34
	v_and_b32_e32 v0, 0xffff0000, v42
	s_waitcnt vmcnt(1)
	v_and_b32_e32 v42, 0xffff0000, v53
	v_cndmask_b32_e32 v60, v60, v84, vcc_lo
	v_bfe_u32 v84, v35, 16, 1
	v_cmp_u_f32_e32 vcc_lo, v34, v34
	v_mul_f32_e32 v85, v0, v42
	v_lshlrev_b32_e32 v42, 16, v53
	v_cndmask_b32_e32 v34, v33, v61, vcc_lo
	v_add3_u32 v33, v84, v35, 0x7fff
	v_or_b32_e32 v61, 0x400000, v35
	v_bfe_u32 v84, v36, 16, 1
	v_cmp_u_f32_e32 vcc_lo, v35, v35
	v_mul_f32_e32 v86, v41, v42
	v_and_b32_e32 v42, 0xffff0000, v54
	v_and_b32_e32 v34, 0xffff0000, v34
	v_add3_u32 v35, v84, v36, 0x7fff
	v_cndmask_b32_e32 v53, v33, v61, vcc_lo
	v_or_b32_e32 v61, 0x400000, v36
	v_bfe_u32 v84, v85, 16, 1
	v_and_b32_e32 v33, 0xffff0000, v44
	v_cmp_u_f32_e32 vcc_lo, v36, v36
	v_or_b32_e32 v44, 0x400000, v85
	v_add3_u32 v36, v84, v85, 0x7fff
	v_mul_f32_e32 v84, v33, v42
	v_cndmask_b32_e32 v35, v35, v61, vcc_lo
	v_bfe_u32 v61, v86, 16, 1
	v_and_b32_e32 v42, 0xffff0000, v43
	v_lshlrev_b32_e32 v43, 16, v54
	v_cmp_u_f32_e32 vcc_lo, v85, v85
	v_or_b32_e32 v54, 0x400000, v86
	v_and_b32_e32 v35, 0xffff0000, v35
	v_mul_f32_e32 v85, v42, v43
	v_cndmask_b32_e32 v44, v36, v44, vcc_lo
	v_add3_u32 v36, v61, v86, 0x7fff
	v_bfe_u32 v61, v84, 16, 1
	v_and_b32_e32 v43, 0xffff0000, v55
	v_cmp_u_f32_e32 vcc_lo, v86, v86
	v_bfe_u32 v86, v85, 16, 1
	v_lshlrev_b32_e32 v55, 16, v55
	v_and_b32_e32 v44, 0xffff0000, v44
	v_mul_f32_e32 v87, v34, v43
	v_cndmask_b32_e32 v54, v36, v54, vcc_lo
	v_add3_u32 v36, v61, v84, 0x7fff
	v_or_b32_e32 v61, 0x400000, v84
	v_and_b32_e32 v43, 0xffff0000, v60
	v_cmp_u_f32_e32 vcc_lo, v84, v84
	v_bfe_u32 v84, v87, 16, 1
	v_and_b32_e32 v54, 0xffff0000, v54
	v_mul_f32_e32 v55, v43, v55
	v_cndmask_b32_e32 v60, v36, v61, vcc_lo
	v_add3_u32 v36, v86, v85, 0x7fff
	v_or_b32_e32 v61, 0x400000, v85
	v_cmp_u_f32_e32 vcc_lo, v85, v85
	v_and_b32_e32 v86, 0xffff0000, v56
	v_add3_u32 v84, v84, v87, 0x7fff
	v_bfe_u32 v85, v55, 16, 1
	v_or_b32_e32 v88, 0x400000, v55
	v_cndmask_b32_e32 v61, v36, v61, vcc_lo
	v_and_b32_e32 v36, 0xffff0000, v53
	v_lshlrev_b32_e32 v53, 16, v56
	v_or_b32_e32 v56, 0x400000, v87
	v_cmp_u_f32_e32 vcc_lo, v87, v87
	v_add3_u32 v85, v85, v55, 0x7fff
	v_mul_f32_e32 v86, v35, v86
	v_mul_f32_e32 v53, v36, v53
	v_and_b32_e32 v61, 0xffff0000, v61
	v_cndmask_b32_e32 v56, v84, v56, vcc_lo
	v_cmp_u_f32_e32 vcc_lo, v55, v55
	v_bfe_u32 v89, v86, 16, 1
	v_and_b32_e32 v60, 0xffff0000, v60
	v_or_b32_e32 v87, 0x400000, v86
	v_add_f32_e32 v44, v54, v44
	v_cndmask_b32_e32 v55, v85, v88, vcc_lo
	v_bfe_u32 v85, v53, 16, 1
	v_or_b32_e32 v88, 0x400000, v53
	v_cmp_u_f32_e32 vcc_lo, v53, v53
	v_add3_u32 v84, v89, v86, 0x7fff
	v_add_f32_e32 v54, v61, v60
	v_add3_u32 v85, v85, v53, 0x7fff
	v_and_b32_e32 v55, 0xffff0000, v55
	v_and_b32_e32 v56, 0xffff0000, v56
	v_add_f32_e32 v44, v54, v44
	v_cndmask_b32_e32 v53, v85, v88, vcc_lo
	v_cmp_u_f32_e32 vcc_lo, v86, v86
	v_add_f32_e32 v54, v55, v56
	v_and_b32_e32 v55, 0xffff0000, v49
	v_lshlrev_b32_e32 v49, 16, v49
	v_and_b32_e32 v53, 0xffff0000, v53
	v_cndmask_b32_e32 v60, v84, v87, vcc_lo
	v_add_f32_e32 v44, v54, v44
	v_mul_f32_e32 v55, v0, v55
	v_mul_f32_e32 v49, v41, v49
	v_and_b32_e32 v54, 0xffff0000, v50
	v_and_b32_e32 v56, 0xffff0000, v60
	v_lshlrev_b32_e32 v50, 16, v50
	v_cmp_u_f32_e32 vcc_lo, v55, v55
	v_bfe_u32 v60, v49, 16, 1
	v_or_b32_e32 v61, 0x400000, v49
	v_add_f32_e32 v53, v53, v56
	v_bfe_u32 v56, v55, 16, 1
	v_mul_f32_e32 v50, v42, v50
	v_add3_u32 v60, v60, v49, 0x7fff
	v_add_f32_e32 v44, v53, v44
	v_mul_f32_e32 v53, v33, v54
	v_add3_u32 v54, v56, v55, 0x7fff
	v_or_b32_e32 v56, 0x400000, v55
	v_add_f32_e32 v67, v67, v44
	v_bfe_u32 v84, v53, 16, 1
	v_cndmask_b32_e32 v54, v54, v56, vcc_lo
	v_cmp_u_f32_e32 vcc_lo, v49, v49
	v_or_b32_e32 v56, 0x400000, v53
	v_add3_u32 v55, v84, v53, 0x7fff
	v_and_b32_e32 v54, 0xffff0000, v54
	v_cndmask_b32_e32 v49, v60, v61, vcc_lo
	v_and_b32_e32 v60, 0xffff0000, v51
	v_cmp_u_f32_e32 vcc_lo, v53, v53
	v_lshlrev_b32_e32 v51, 16, v51
	v_bfe_u32 v61, v50, 16, 1
	v_and_b32_e32 v49, 0xffff0000, v49
	v_cndmask_b32_e32 v53, v55, v56, vcc_lo
	v_mul_f32_e32 v55, v34, v60
	v_mul_f32_e32 v51, v43, v51
	v_add3_u32 v56, v61, v50, 0x7fff
	v_or_b32_e32 v60, 0x400000, v50
	v_and_b32_e32 v61, 0xffff0000, v52
	v_bfe_u32 v84, v55, 16, 1
	v_cmp_u_f32_e32 vcc_lo, v50, v50
	v_bfe_u32 v85, v51, 16, 1
	v_lshlrev_b32_e32 v52, 16, v52
	v_and_b32_e32 v53, 0xffff0000, v53
	v_add_f32_e32 v49, v49, v54
	v_cndmask_b32_e32 v50, v56, v60, vcc_lo
	v_mul_f32_e32 v56, v35, v61
	v_add3_u32 v60, v84, v55, 0x7fff
	v_or_b32_e32 v61, 0x400000, v55
	v_cmp_u_f32_e32 vcc_lo, v55, v55
	v_add3_u32 v84, v85, v51, 0x7fff
	v_or_b32_e32 v85, 0x400000, v51
	v_bfe_u32 v86, v56, 16, 1
	v_and_b32_e32 v50, 0xffff0000, v50
	v_cndmask_b32_e32 v55, v60, v61, vcc_lo
	v_cmp_u_f32_e32 vcc_lo, v51, v51
	v_or_b32_e32 v61, 0x400000, v56
	v_add3_u32 v60, v86, v56, 0x7fff
	v_mul_f32_e32 v52, v36, v52
	v_add_f32_e32 v50, v50, v53
	v_cndmask_b32_e32 v51, v84, v85, vcc_lo
	v_cmp_u_f32_e32 vcc_lo, v56, v56
	v_and_b32_e32 v53, 0xffff0000, v45
	v_and_b32_e32 v54, 0xffff0000, v55
	v_add_f32_e32 v49, v50, v49
	v_and_b32_e32 v51, 0xffff0000, v51
	v_cndmask_b32_e32 v56, v60, v61, vcc_lo
	v_bfe_u32 v60, v52, 16, 1
	v_mul_f32_e32 v50, v0, v53
	v_lshlrev_b32_e32 v45, 16, v45
	v_add_f32_e32 v51, v51, v54
	v_cmp_u_f32_e32 vcc_lo, v52, v52
	v_add3_u32 v55, v60, v52, 0x7fff
	v_or_b32_e32 v60, 0x400000, v52
	v_bfe_u32 v53, v50, 16, 1
	v_add_f32_e32 v49, v51, v49
	v_mul_f32_e32 v45, v41, v45
	v_and_b32_e32 v51, 0xffff0000, v46
	v_cndmask_b32_e32 v52, v55, v60, vcc_lo
	v_add3_u32 v53, v53, v50, 0x7fff
	v_or_b32_e32 v54, 0x400000, v50
	v_bfe_u32 v55, v45, 16, 1
	v_mul_f32_e32 v51, v33, v51
	v_lshlrev_b32_e32 v46, 16, v46
	v_cmp_u_f32_e32 vcc_lo, v50, v50
	v_and_b32_e32 v60, 0xffff0000, v47
	v_lshlrev_b32_e32 v47, 16, v47
	v_and_b32_e32 v61, 0xffff0000, v48
	v_mul_f32_e32 v46, v42, v46
	v_cndmask_b32_e32 v50, v53, v54, vcc_lo
	v_add3_u32 v53, v55, v45, 0x7fff
	v_or_b32_e32 v54, 0x400000, v45
	v_bfe_u32 v55, v51, 16, 1
	v_cmp_u_f32_e32 vcc_lo, v45, v45
	v_mul_f32_e32 v60, v34, v60
	v_mul_f32_e32 v47, v43, v47
	v_lshlrev_b32_e32 v48, 16, v48
	v_and_b32_e32 v50, 0xffff0000, v50
	v_cndmask_b32_e32 v45, v53, v54, vcc_lo
	v_add3_u32 v53, v55, v51, 0x7fff
	v_or_b32_e32 v54, 0x400000, v51
	v_bfe_u32 v55, v46, 16, 1
	v_cmp_u_f32_e32 vcc_lo, v51, v51
	v_mul_f32_e32 v48, v36, v48
	v_or_b32_e32 v84, 0x400000, v47
	v_and_b32_e32 v45, 0xffff0000, v45
	v_and_b32_e32 v52, 0xffff0000, v52
	v_cndmask_b32_e32 v51, v53, v54, vcc_lo
	v_add3_u32 v53, v55, v46, 0x7fff
	v_or_b32_e32 v54, 0x400000, v46
	v_bfe_u32 v55, v60, 16, 1
	v_cmp_u_f32_e32 vcc_lo, v46, v46
	v_bfe_u32 v86, v48, 16, 1
	v_and_b32_e32 v51, 0xffff0000, v51
	v_add_f32_e32 v45, v45, v50
	v_cndmask_b32_e32 v46, v53, v54, vcc_lo
	v_bfe_u32 v53, v47, 16, 1
	v_add3_u32 v54, v55, v60, 0x7fff
	v_mul_f32_e32 v55, v35, v61
	v_or_b32_e32 v61, 0x400000, v60
	v_cmp_u_f32_e32 vcc_lo, v60, v60
	v_add3_u32 v53, v53, v47, 0x7fff
	v_add3_u32 v60, v86, v48, 0x7fff
	v_bfe_u32 v85, v55, 16, 1
	v_and_b32_e32 v46, 0xffff0000, v46
	v_cndmask_b32_e32 v54, v54, v61, vcc_lo
	v_cmp_u_f32_e32 vcc_lo, v47, v47
	v_or_b32_e32 v61, 0x400000, v48
	v_add_f32_e32 v46, v46, v51
	v_and_b32_e32 v50, 0xffff0000, v54
	v_cndmask_b32_e32 v47, v53, v84, vcc_lo
	v_cmp_u_f32_e32 vcc_lo, v48, v48
	v_add3_u32 v53, v85, v55, 0x7fff
	v_or_b32_e32 v84, 0x400000, v55
	v_add_f32_e32 v45, v46, v45
	v_and_b32_e32 v47, 0xffff0000, v47
	v_cndmask_b32_e32 v48, v60, v61, vcc_lo
	v_cmp_u_f32_e32 vcc_lo, v55, v55
	v_add_f32_e32 v46, v47, v50
	v_and_b32_e32 v47, 0xffff0000, v48
	v_cndmask_b32_e32 v51, v53, v84, vcc_lo
	v_and_b32_e32 v53, 0xffff0000, v56
	v_and_b32_e32 v50, 0xffff0000, v37
	v_lshlrev_b32_e32 v37, 16, v37
	v_add_f32_e32 v45, v46, v45
	v_and_b32_e32 v48, 0xffff0000, v51
	v_add_f32_e32 v51, v52, v53
	v_mul_f32_e32 v37, v41, v37
	v_add_f32_e32 v46, v47, v48
	v_mul_f32_e32 v47, v0, v50
	v_add_f32_e32 v48, v51, v49
	v_or_b32_e32 v49, 0x400000, v37
	v_and_b32_e32 v50, 0xffff0000, v40
	v_add_f32_e32 v44, v46, v45
	v_bfe_u32 v45, v47, 16, 1
	v_add_f32_e32 v68, v68, v48
	v_bfe_u32 v46, v37, 16, 1
	v_and_b32_e32 v48, 0xffff0000, v38
	v_add_f32_e32 v69, v69, v44
	v_add3_u32 v44, v45, v47, 0x7fff
	v_or_b32_e32 v45, 0x400000, v47
	v_cmp_u_f32_e32 vcc_lo, v47, v47
	v_add3_u32 v46, v46, v37, 0x7fff
	v_mul_f32_e32 v48, v33, v48
	v_lshlrev_b32_e32 v38, 16, v38
	v_lshlrev_b32_e32 v40, 16, v40
	v_cndmask_b32_e32 v44, v44, v45, vcc_lo
	v_cmp_u_f32_e32 vcc_lo, v37, v37
	v_bfe_u32 v45, v48, 16, 1
	v_mul_f32_e32 v38, v42, v38
	v_or_b32_e32 v47, 0x400000, v48
	v_mul_f32_e32 v40, v36, v40
	v_cndmask_b32_e32 v37, v46, v49, vcc_lo
	v_and_b32_e32 v46, 0xffff0000, v39
	v_add3_u32 v45, v45, v48, 0x7fff
	v_lshlrev_b32_e32 v39, 16, v39
	v_bfe_u32 v49, v38, 16, 1
	v_cmp_u_f32_e32 vcc_lo, v48, v48
	v_mul_f32_e32 v46, v34, v46
	v_or_b32_e32 v48, 0x400000, v38
	v_mul_f32_e32 v39, v43, v39
	v_and_b32_e32 v37, 0xffff0000, v37
	v_cndmask_b32_e32 v45, v45, v47, vcc_lo
	v_add3_u32 v47, v49, v38, 0x7fff
	v_bfe_u32 v49, v46, 16, 1
	v_cmp_u_f32_e32 vcc_lo, v38, v38
	v_bfe_u32 v51, v39, 16, 1
	v_and_b32_e32 v44, 0xffff0000, v44
	v_and_b32_e32 v45, 0xffff0000, v45
	v_cndmask_b32_e32 v38, v47, v48, vcc_lo
	v_add3_u32 v47, v49, v46, 0x7fff
	v_mul_f32_e32 v48, v35, v50
	v_or_b32_e32 v49, 0x400000, v46
	v_cmp_u_f32_e32 vcc_lo, v46, v46
	v_add3_u32 v50, v51, v39, 0x7fff
	v_or_b32_e32 v51, 0x400000, v39
	v_bfe_u32 v52, v48, 16, 1
	v_and_b32_e32 v38, 0xffff0000, v38
	v_cndmask_b32_e32 v46, v47, v49, vcc_lo
	v_cmp_u_f32_e32 vcc_lo, v39, v39
	v_or_b32_e32 v49, 0x400000, v48
	v_add3_u32 v47, v52, v48, 0x7fff
	v_add_f32_e32 v37, v37, v44
	v_add_f32_e32 v38, v38, v45
	v_cndmask_b32_e32 v39, v50, v51, vcc_lo
	v_bfe_u32 v50, v40, 16, 1
	v_cmp_u_f32_e32 vcc_lo, v48, v48
	v_and_b32_e32 v44, 0xffff0000, v29
	v_and_b32_e32 v45, 0xffff0000, v46
	;; [unrolled: 1-line block ×3, first 2 shown]
	v_add3_u32 v48, v50, v40, 0x7fff
	v_cndmask_b32_e32 v47, v47, v49, vcc_lo
	v_or_b32_e32 v49, 0x400000, v40
	v_cmp_u_f32_e32 vcc_lo, v40, v40
	v_add_f32_e32 v37, v38, v37
	v_mul_f32_e32 v38, v0, v44
	v_add_f32_e32 v39, v39, v45
	v_lshlrev_b32_e32 v29, 16, v29
	v_cndmask_b32_e32 v40, v48, v49, vcc_lo
	v_and_b32_e32 v44, 0xffff0000, v47
	v_bfe_u32 v45, v38, 16, 1
	v_add_f32_e32 v37, v39, v37
	v_mul_f32_e32 v29, v41, v29
	v_and_b32_e32 v40, 0xffff0000, v40
	v_and_b32_e32 v39, 0xffff0000, v30
	v_lshlrev_b32_e32 v30, 16, v30
	v_cmp_u_f32_e32 vcc_lo, v38, v38
	v_bfe_u32 v46, v29, 16, 1
	v_add_f32_e32 v40, v40, v44
	v_add3_u32 v44, v45, v38, 0x7fff
	v_or_b32_e32 v45, 0x400000, v38
	v_mul_f32_e32 v39, v33, v39
	v_mul_f32_e32 v30, v42, v30
	v_and_b32_e32 v47, 0xffff0000, v31
	v_lshlrev_b32_e32 v31, 16, v31
	v_cndmask_b32_e32 v38, v44, v45, vcc_lo
	v_add3_u32 v44, v46, v29, 0x7fff
	v_or_b32_e32 v45, 0x400000, v29
	v_bfe_u32 v46, v39, 16, 1
	v_cmp_u_f32_e32 vcc_lo, v29, v29
	v_mul_f32_e32 v47, v34, v47
	v_mul_f32_e32 v31, v43, v31
	v_and_b32_e32 v48, 0xffff0000, v32
	v_lshlrev_b32_e32 v32, 16, v32
	v_cndmask_b32_e32 v29, v44, v45, vcc_lo
	v_add3_u32 v44, v46, v39, 0x7fff
	v_or_b32_e32 v45, 0x400000, v39
	v_bfe_u32 v46, v30, 16, 1
	v_cmp_u_f32_e32 vcc_lo, v39, v39
	v_mul_f32_e32 v32, v36, v32
	v_or_b32_e32 v49, 0x400000, v31
	v_and_b32_e32 v29, 0xffff0000, v29
	v_and_b32_e32 v38, 0xffff0000, v38
	v_cndmask_b32_e32 v39, v44, v45, vcc_lo
	v_add3_u32 v44, v46, v30, 0x7fff
	v_or_b32_e32 v45, 0x400000, v30
	v_bfe_u32 v46, v47, 16, 1
	v_cmp_u_f32_e32 vcc_lo, v30, v30
	v_and_b32_e32 v39, 0xffff0000, v39
	v_add_f32_e32 v29, v29, v38
	v_add_f32_e32 v37, v40, v37
	v_cndmask_b32_e32 v30, v44, v45, vcc_lo
	v_bfe_u32 v44, v31, 16, 1
	v_add3_u32 v45, v46, v47, 0x7fff
	v_mul_f32_e32 v46, v35, v48
	v_or_b32_e32 v48, 0x400000, v47
	v_cmp_u_f32_e32 vcc_lo, v47, v47
	v_add3_u32 v44, v44, v31, 0x7fff
	v_bfe_u32 v47, v32, 16, 1
	v_bfe_u32 v50, v46, 16, 1
	v_and_b32_e32 v30, 0xffff0000, v30
	v_cndmask_b32_e32 v45, v45, v48, vcc_lo
	v_cmp_u_f32_e32 vcc_lo, v31, v31
	v_add3_u32 v47, v47, v32, 0x7fff
	v_or_b32_e32 v48, 0x400000, v46
	v_add_f32_e32 v30, v30, v39
	v_and_b32_e32 v38, 0xffff0000, v45
	v_cndmask_b32_e32 v31, v44, v49, vcc_lo
	v_or_b32_e32 v49, 0x400000, v32
	v_cmp_u_f32_e32 vcc_lo, v32, v32
	v_add3_u32 v44, v50, v46, 0x7fff
	v_add_f32_e32 v29, v30, v29
	v_and_b32_e32 v31, 0xffff0000, v31
	v_add_f32_e32 v70, v70, v37
	v_cndmask_b32_e32 v32, v47, v49, vcc_lo
	v_cmp_u_f32_e32 vcc_lo, v46, v46
	v_add_f32_e32 v30, v31, v38
	v_and_b32_e32 v31, 0xffff0000, v25
	v_and_b32_e32 v32, 0xffff0000, v32
	v_cndmask_b32_e32 v39, v44, v48, vcc_lo
	v_lshlrev_b32_e32 v25, 16, v25
	v_add_f32_e32 v29, v30, v29
	v_mul_f32_e32 v31, v0, v31
	v_and_b32_e32 v38, 0xffff0000, v39
	v_mul_f32_e32 v25, v41, v25
	v_cmp_u_f32_e32 vcc_lo, v31, v31
	v_add_f32_e32 v30, v32, v38
	v_and_b32_e32 v32, 0xffff0000, v26
	v_bfe_u32 v38, v31, 16, 1
	v_bfe_u32 v37, v25, 16, 1
	v_or_b32_e32 v39, 0x400000, v25
	v_add_f32_e32 v29, v30, v29
	v_mul_f32_e32 v30, v33, v32
	v_add3_u32 v32, v38, v31, 0x7fff
	v_or_b32_e32 v38, 0x400000, v31
	v_add3_u32 v37, v37, v25, 0x7fff
	v_lshlrev_b32_e32 v26, 16, v26
	v_bfe_u32 v40, v30, 16, 1
	v_add_f32_e32 v71, v71, v29
	v_cndmask_b32_e32 v31, v32, v38, vcc_lo
	v_cmp_u_f32_e32 vcc_lo, v25, v25
	v_mul_f32_e32 v26, v42, v26
	v_add3_u32 v32, v40, v30, 0x7fff
	v_and_b32_e32 v38, 0xffff0000, v27
	v_lshlrev_b32_e32 v27, 16, v27
	v_cndmask_b32_e32 v25, v37, v39, vcc_lo
	v_or_b32_e32 v37, 0x400000, v30
	v_cmp_u_f32_e32 vcc_lo, v30, v30
	v_bfe_u32 v39, v26, 16, 1
	v_mul_f32_e32 v27, v43, v27
	v_and_b32_e32 v25, 0xffff0000, v25
	v_and_b32_e32 v31, 0xffff0000, v31
	v_cndmask_b32_e32 v30, v32, v37, vcc_lo
	v_mul_f32_e32 v32, v34, v38
	v_add3_u32 v37, v39, v26, 0x7fff
	v_or_b32_e32 v38, 0x400000, v26
	v_and_b32_e32 v39, 0xffff0000, v28
	v_cmp_u_f32_e32 vcc_lo, v26, v26
	v_bfe_u32 v40, v32, 16, 1
	v_bfe_u32 v44, v27, 16, 1
	v_lshlrev_b32_e32 v28, 16, v28
	v_and_b32_e32 v30, 0xffff0000, v30
	v_cndmask_b32_e32 v26, v37, v38, vcc_lo
	v_mul_f32_e32 v37, v35, v39
	v_add3_u32 v38, v40, v32, 0x7fff
	v_or_b32_e32 v39, 0x400000, v32
	v_cmp_u_f32_e32 vcc_lo, v32, v32
	v_add3_u32 v40, v44, v27, 0x7fff
	v_or_b32_e32 v44, 0x400000, v27
	v_bfe_u32 v45, v37, 16, 1
	v_and_b32_e32 v26, 0xffff0000, v26
	v_cndmask_b32_e32 v32, v38, v39, vcc_lo
	v_cmp_u_f32_e32 vcc_lo, v27, v27
	v_or_b32_e32 v39, 0x400000, v37
	v_add3_u32 v38, v45, v37, 0x7fff
	v_mul_f32_e32 v28, v36, v28
	v_add_f32_e32 v25, v25, v31
	v_cndmask_b32_e32 v27, v40, v44, vcc_lo
	v_cmp_u_f32_e32 vcc_lo, v37, v37
	v_add_f32_e32 v26, v26, v30
	v_and_b32_e32 v30, 0xffff0000, v21
	v_and_b32_e32 v31, 0xffff0000, v32
	;; [unrolled: 1-line block ×3, first 2 shown]
	v_cndmask_b32_e32 v37, v38, v39, vcc_lo
	v_bfe_u32 v38, v28, 16, 1
	v_add_f32_e32 v25, v26, v25
	v_mul_f32_e32 v26, v0, v30
	v_add_f32_e32 v27, v27, v31
	v_lshlrev_b32_e32 v21, 16, v21
	v_add3_u32 v32, v38, v28, 0x7fff
	v_or_b32_e32 v38, 0x400000, v28
	v_cmp_u_f32_e32 vcc_lo, v28, v28
	v_bfe_u32 v30, v26, 16, 1
	v_add_f32_e32 v25, v27, v25
	v_mul_f32_e32 v21, v41, v21
	v_and_b32_e32 v27, 0xffff0000, v22
	v_cndmask_b32_e32 v28, v32, v38, vcc_lo
	v_add3_u32 v30, v30, v26, 0x7fff
	v_or_b32_e32 v31, 0x400000, v26
	v_bfe_u32 v32, v21, 16, 1
	v_mul_f32_e32 v27, v33, v27
	v_lshlrev_b32_e32 v22, 16, v22
	v_cmp_u_f32_e32 vcc_lo, v26, v26
	v_and_b32_e32 v38, 0xffff0000, v23
	v_lshlrev_b32_e32 v23, 16, v23
	v_and_b32_e32 v39, 0xffff0000, v24
	v_mul_f32_e32 v22, v42, v22
	v_cndmask_b32_e32 v26, v30, v31, vcc_lo
	v_add3_u32 v30, v32, v21, 0x7fff
	v_or_b32_e32 v31, 0x400000, v21
	v_bfe_u32 v32, v27, 16, 1
	v_cmp_u_f32_e32 vcc_lo, v21, v21
	v_mul_f32_e32 v38, v34, v38
	v_mul_f32_e32 v23, v43, v23
	v_lshlrev_b32_e32 v24, 16, v24
	v_and_b32_e32 v26, 0xffff0000, v26
	v_cndmask_b32_e32 v21, v30, v31, vcc_lo
	v_add3_u32 v30, v32, v27, 0x7fff
	v_or_b32_e32 v31, 0x400000, v27
	v_bfe_u32 v32, v22, 16, 1
	v_cmp_u_f32_e32 vcc_lo, v27, v27
	v_mul_f32_e32 v24, v36, v24
	v_or_b32_e32 v40, 0x400000, v23
	v_and_b32_e32 v21, 0xffff0000, v21
	v_and_b32_e32 v28, 0xffff0000, v28
	v_cndmask_b32_e32 v27, v30, v31, vcc_lo
	v_add3_u32 v30, v32, v22, 0x7fff
	v_or_b32_e32 v31, 0x400000, v22
	v_bfe_u32 v32, v38, 16, 1
	v_cmp_u_f32_e32 vcc_lo, v22, v22
	v_bfe_u32 v45, v24, 16, 1
	v_and_b32_e32 v27, 0xffff0000, v27
	v_add_f32_e32 v21, v21, v26
	v_cndmask_b32_e32 v22, v30, v31, vcc_lo
	v_bfe_u32 v30, v23, 16, 1
	v_add3_u32 v31, v32, v38, 0x7fff
	v_mul_f32_e32 v32, v35, v39
	v_or_b32_e32 v39, 0x400000, v38
	v_cmp_u_f32_e32 vcc_lo, v38, v38
	v_add3_u32 v30, v30, v23, 0x7fff
	v_add3_u32 v38, v45, v24, 0x7fff
	v_bfe_u32 v44, v32, 16, 1
	v_and_b32_e32 v22, 0xffff0000, v22
	v_cndmask_b32_e32 v31, v31, v39, vcc_lo
	v_cmp_u_f32_e32 vcc_lo, v23, v23
	v_or_b32_e32 v39, 0x400000, v24
	v_add_f32_e32 v22, v22, v27
	v_and_b32_e32 v26, 0xffff0000, v31
	v_cndmask_b32_e32 v23, v30, v40, vcc_lo
	v_cmp_u_f32_e32 vcc_lo, v24, v24
	v_add3_u32 v30, v44, v32, 0x7fff
	v_or_b32_e32 v40, 0x400000, v32
	v_add_f32_e32 v21, v22, v21
	v_and_b32_e32 v23, 0xffff0000, v23
	v_cndmask_b32_e32 v24, v38, v39, vcc_lo
	v_cmp_u_f32_e32 vcc_lo, v32, v32
	v_add_f32_e32 v22, v23, v26
	v_and_b32_e32 v23, 0xffff0000, v24
	v_cndmask_b32_e32 v27, v30, v40, vcc_lo
	v_and_b32_e32 v30, 0xffff0000, v37
	v_and_b32_e32 v26, 0xffff0000, v13
	v_lshlrev_b32_e32 v13, 16, v13
	v_add_f32_e32 v21, v22, v21
	v_and_b32_e32 v24, 0xffff0000, v27
	v_add_f32_e32 v27, v28, v30
	v_mul_f32_e32 v13, v41, v13
	v_add_f32_e32 v22, v23, v24
	v_mul_f32_e32 v23, v0, v26
	v_add_f32_e32 v24, v27, v25
	v_and_b32_e32 v25, 0xffff0000, v14
	v_lshlrev_b32_e32 v14, 16, v14
	v_add_f32_e32 v21, v22, v21
	v_bfe_u32 v22, v23, 16, 1
	v_add_f32_e32 v72, v72, v24
	v_bfe_u32 v24, v13, 16, 1
	v_mul_f32_e32 v25, v33, v25
	v_add_f32_e32 v73, v73, v21
	v_add3_u32 v21, v22, v23, 0x7fff
	v_or_b32_e32 v22, 0x400000, v23
	v_cmp_u_f32_e32 vcc_lo, v23, v23
	v_add3_u32 v24, v24, v13, 0x7fff
	v_or_b32_e32 v26, 0x400000, v13
	v_mul_f32_e32 v14, v42, v14
	v_and_b32_e32 v23, 0xffff0000, v15
	v_cndmask_b32_e32 v21, v21, v22, vcc_lo
	v_bfe_u32 v22, v25, 16, 1
	v_cmp_u_f32_e32 vcc_lo, v13, v13
	v_lshlrev_b32_e32 v15, 16, v15
	v_mul_f32_e32 v23, v34, v23
	v_and_b32_e32 v27, 0xffff0000, v16
	v_add3_u32 v22, v22, v25, 0x7fff
	v_cndmask_b32_e32 v13, v24, v26, vcc_lo
	v_or_b32_e32 v24, 0x400000, v25
	v_bfe_u32 v26, v14, 16, 1
	v_cmp_u_f32_e32 vcc_lo, v25, v25
	v_mul_f32_e32 v15, v43, v15
	v_or_b32_e32 v25, 0x400000, v14
	v_lshlrev_b32_e32 v16, 16, v16
	v_and_b32_e32 v13, 0xffff0000, v13
	v_cndmask_b32_e32 v22, v22, v24, vcc_lo
	v_add3_u32 v24, v26, v14, 0x7fff
	v_bfe_u32 v26, v23, 16, 1
	v_cmp_u_f32_e32 vcc_lo, v14, v14
	v_bfe_u32 v28, v15, 16, 1
	v_mul_f32_e32 v16, v36, v16
	v_and_b32_e32 v21, 0xffff0000, v21
	v_and_b32_e32 v22, 0xffff0000, v22
	v_cndmask_b32_e32 v14, v24, v25, vcc_lo
	v_add3_u32 v24, v26, v23, 0x7fff
	v_mul_f32_e32 v25, v35, v27
	v_or_b32_e32 v26, 0x400000, v23
	v_cmp_u_f32_e32 vcc_lo, v23, v23
	v_add3_u32 v27, v28, v15, 0x7fff
	v_or_b32_e32 v28, 0x400000, v15
	v_bfe_u32 v29, v25, 16, 1
	v_and_b32_e32 v14, 0xffff0000, v14
	v_cndmask_b32_e32 v23, v24, v26, vcc_lo
	v_cmp_u_f32_e32 vcc_lo, v15, v15
	v_or_b32_e32 v26, 0x400000, v25
	v_add3_u32 v24, v29, v25, 0x7fff
	v_add_f32_e32 v13, v13, v21
	v_add_f32_e32 v14, v14, v22
	v_cndmask_b32_e32 v15, v27, v28, vcc_lo
	v_bfe_u32 v27, v16, 16, 1
	v_cmp_u_f32_e32 vcc_lo, v25, v25
	v_and_b32_e32 v22, 0xffff0000, v9
	v_and_b32_e32 v21, 0xffff0000, v23
	;; [unrolled: 1-line block ×3, first 2 shown]
	v_add3_u32 v25, v27, v16, 0x7fff
	v_cndmask_b32_e32 v24, v24, v26, vcc_lo
	v_or_b32_e32 v26, 0x400000, v16
	v_cmp_u_f32_e32 vcc_lo, v16, v16
	v_lshlrev_b32_e32 v9, 16, v9
	v_add_f32_e32 v13, v14, v13
	v_mul_f32_e32 v14, v0, v22
	v_add_f32_e32 v15, v15, v21
	v_cndmask_b32_e32 v16, v25, v26, vcc_lo
	v_mul_f32_e32 v21, v41, v9
	v_and_b32_e32 v22, 0xffff0000, v24
	v_bfe_u32 v23, v14, 16, 1
	v_and_b32_e32 v24, 0xffff0000, v10
	v_and_b32_e32 v16, 0xffff0000, v16
	v_add_f32_e32 v9, v15, v13
	v_bfe_u32 v15, v21, 16, 1
	v_lshlrev_b32_e32 v10, 16, v10
	v_cmp_u_f32_e32 vcc_lo, v14, v14
	v_add_f32_e32 v13, v16, v22
	v_add3_u32 v16, v23, v14, 0x7fff
	v_or_b32_e32 v22, 0x400000, v14
	v_mul_f32_e32 v23, v33, v24
	v_add3_u32 v15, v15, v21, 0x7fff
	v_or_b32_e32 v24, 0x400000, v21
	v_mul_f32_e32 v10, v42, v10
	v_cndmask_b32_e32 v14, v16, v22, vcc_lo
	v_bfe_u32 v16, v23, 16, 1
	v_cmp_u_f32_e32 vcc_lo, v21, v21
	v_and_b32_e32 v21, 0xffff0000, v11
	v_or_b32_e32 v22, 0x400000, v23
	v_lshlrev_b32_e32 v11, 16, v11
	v_add3_u32 v16, v16, v23, 0x7fff
	v_cndmask_b32_e32 v15, v15, v24, vcc_lo
	v_bfe_u32 v24, v10, 16, 1
	v_mul_f32_e32 v21, v34, v21
	v_cmp_u_f32_e32 vcc_lo, v23, v23
	v_mul_f32_e32 v11, v43, v11
	v_or_b32_e32 v23, 0x400000, v10
	v_and_b32_e32 v25, 0xffff0000, v12
	v_lshlrev_b32_e32 v12, 16, v12
	v_cndmask_b32_e32 v16, v16, v22, vcc_lo
	v_add3_u32 v22, v24, v10, 0x7fff
	v_bfe_u32 v24, v21, 16, 1
	v_cmp_u_f32_e32 vcc_lo, v10, v10
	v_bfe_u32 v26, v11, 16, 1
	v_mul_f32_e32 v12, v36, v12
	v_and_b32_e32 v15, 0xffff0000, v15
	v_and_b32_e32 v14, 0xffff0000, v14
	v_cndmask_b32_e32 v10, v22, v23, vcc_lo
	v_add3_u32 v22, v24, v21, 0x7fff
	v_mul_f32_e32 v23, v35, v25
	v_or_b32_e32 v24, 0x400000, v21
	v_cmp_u_f32_e32 vcc_lo, v21, v21
	v_add3_u32 v25, v26, v11, 0x7fff
	v_or_b32_e32 v26, 0x400000, v11
	v_bfe_u32 v27, v23, 16, 1
	v_and_b32_e32 v10, 0xffff0000, v10
	v_cndmask_b32_e32 v21, v22, v24, vcc_lo
	v_cmp_u_f32_e32 vcc_lo, v11, v11
	v_or_b32_e32 v24, 0x400000, v23
	v_add3_u32 v22, v27, v23, 0x7fff
	v_and_b32_e32 v16, 0xffff0000, v16
	v_add_f32_e32 v14, v15, v14
	v_cndmask_b32_e32 v11, v25, v26, vcc_lo
	v_bfe_u32 v25, v12, 16, 1
	v_cmp_u_f32_e32 vcc_lo, v23, v23
	v_add_f32_e32 v10, v10, v16
	v_and_b32_e32 v16, 0xffff0000, v5
	v_and_b32_e32 v11, 0xffff0000, v11
	v_add3_u32 v23, v25, v12, 0x7fff
	v_cndmask_b32_e32 v22, v22, v24, vcc_lo
	v_or_b32_e32 v24, 0x400000, v12
	v_cmp_u_f32_e32 vcc_lo, v12, v12
	v_and_b32_e32 v15, 0xffff0000, v21
	v_lshlrev_b32_e32 v5, 16, v5
	v_add_f32_e32 v10, v10, v14
	v_mul_f32_e32 v14, v0, v16
	v_cndmask_b32_e32 v12, v23, v24, vcc_lo
	v_add_f32_e32 v11, v11, v15
	v_mul_f32_e32 v15, v41, v5
	v_and_b32_e32 v16, 0xffff0000, v22
	v_and_b32_e32 v21, 0xffff0000, v6
	v_and_b32_e32 v12, 0xffff0000, v12
	v_bfe_u32 v22, v14, 16, 1
	v_add_f32_e32 v5, v11, v10
	v_bfe_u32 v11, v15, 16, 1
	v_cmp_u_f32_e32 vcc_lo, v14, v14
	v_add_f32_e32 v10, v12, v16
	v_mul_f32_e32 v12, v33, v21
	v_add3_u32 v16, v22, v14, 0x7fff
	v_or_b32_e32 v21, 0x400000, v14
	v_add3_u32 v11, v11, v15, 0x7fff
	v_or_b32_e32 v22, 0x400000, v15
	v_bfe_u32 v23, v12, 16, 1
	v_lshlrev_b32_e32 v6, 16, v6
	v_cndmask_b32_e32 v14, v16, v21, vcc_lo
	v_cmp_u_f32_e32 vcc_lo, v15, v15
	v_or_b32_e32 v16, 0x400000, v12
	v_add3_u32 v15, v23, v12, 0x7fff
	v_mul_f32_e32 v6, v42, v6
	v_and_b32_e32 v21, 0xffff0000, v7
	v_cndmask_b32_e32 v11, v11, v22, vcc_lo
	v_cmp_u_f32_e32 vcc_lo, v12, v12
	v_lshlrev_b32_e32 v7, 16, v7
	v_bfe_u32 v22, v6, 16, 1
	v_and_b32_e32 v14, 0xffff0000, v14
	v_and_b32_e32 v11, 0xffff0000, v11
	v_cndmask_b32_e32 v12, v15, v16, vcc_lo
	v_mul_f32_e32 v15, v34, v21
	v_mul_f32_e32 v7, v43, v7
	v_add3_u32 v16, v22, v6, 0x7fff
	v_or_b32_e32 v21, 0x400000, v6
	v_and_b32_e32 v22, 0xffff0000, v8
	v_bfe_u32 v23, v15, 16, 1
	v_cmp_u_f32_e32 vcc_lo, v6, v6
	v_bfe_u32 v24, v7, 16, 1
	v_lshlrev_b32_e32 v8, 16, v8
	v_and_b32_e32 v12, 0xffff0000, v12
	v_add_f32_e32 v11, v11, v14
	v_cndmask_b32_e32 v6, v16, v21, vcc_lo
	v_mul_f32_e32 v16, v35, v22
	v_add3_u32 v21, v23, v15, 0x7fff
	v_or_b32_e32 v22, 0x400000, v15
	v_cmp_u_f32_e32 vcc_lo, v15, v15
	v_add3_u32 v23, v24, v7, 0x7fff
	v_or_b32_e32 v24, 0x400000, v7
	v_bfe_u32 v25, v16, 16, 1
	v_and_b32_e32 v6, 0xffff0000, v6
	v_cndmask_b32_e32 v15, v21, v22, vcc_lo
	v_cmp_u_f32_e32 vcc_lo, v7, v7
	v_or_b32_e32 v22, 0x400000, v16
	v_add3_u32 v21, v25, v16, 0x7fff
	v_mul_f32_e32 v8, v36, v8
	v_add_f32_e32 v6, v6, v12
	v_cndmask_b32_e32 v7, v23, v24, vcc_lo
	v_cmp_u_f32_e32 vcc_lo, v16, v16
	v_and_b32_e32 v12, 0xffff0000, v1
	v_and_b32_e32 v14, 0xffff0000, v15
	v_add_f32_e32 v6, v6, v11
	v_and_b32_e32 v7, 0xffff0000, v7
	v_cndmask_b32_e32 v16, v21, v22, vcc_lo
	v_bfe_u32 v21, v8, 16, 1
	v_mul_f32_e32 v11, v0, v12
	v_lshlrev_b32_e32 v1, 16, v1
	v_add_f32_e32 v7, v7, v14
	v_cmp_u_f32_e32 vcc_lo, v8, v8
	v_add3_u32 v15, v21, v8, 0x7fff
	v_or_b32_e32 v21, 0x400000, v8
	v_bfe_u32 v12, v11, 16, 1
	v_add_f32_e32 v6, v7, v6
	v_and_b32_e32 v7, 0xffff0000, v2
	v_mul_f32_e32 v1, v41, v1
	v_cndmask_b32_e32 v8, v15, v21, vcc_lo
	v_add3_u32 v12, v12, v11, 0x7fff
	v_or_b32_e32 v14, 0x400000, v11
	v_mul_f32_e32 v7, v33, v7
	v_and_b32_e32 v15, 0xffff0000, v16
	v_bfe_u32 v16, v1, 16, 1
	v_cmp_u_f32_e32 vcc_lo, v11, v11
	v_lshlrev_b32_e32 v2, 16, v2
	v_or_b32_e32 v21, 0x400000, v1
	v_or_b32_e32 v22, 0x400000, v7
	v_and_b32_e32 v8, 0xffff0000, v8
	v_cndmask_b32_e32 v11, v12, v14, vcc_lo
	v_bfe_u32 v12, v7, 16, 1
	v_add3_u32 v14, v16, v1, 0x7fff
	v_and_b32_e32 v16, 0xffff0000, v3
	v_mul_f32_e32 v2, v42, v2
	v_cmp_u_f32_e32 vcc_lo, v1, v1
	v_add3_u32 v12, v12, v7, 0x7fff
	v_lshlrev_b32_e32 v3, 16, v3
	v_mul_f32_e32 v16, v34, v16
	v_and_b32_e32 v11, 0xffff0000, v11
	v_cndmask_b32_e32 v1, v14, v21, vcc_lo
	v_bfe_u32 v14, v2, 16, 1
	v_cmp_u_f32_e32 vcc_lo, v7, v7
	v_and_b32_e32 v21, 0xffff0000, v4
	v_mul_f32_e32 v3, v43, v3
	v_or_b32_e32 v23, 0x400000, v16
	v_add3_u32 v14, v14, v2, 0x7fff
	v_cndmask_b32_e32 v7, v12, v22, vcc_lo
	v_bfe_u32 v12, v16, 16, 1
	v_or_b32_e32 v22, 0x400000, v2
	v_cmp_u_f32_e32 vcc_lo, v2, v2
	v_mul_f32_e32 v21, v35, v21
	v_lshlrev_b32_e32 v4, 16, v4
	v_add3_u32 v12, v12, v16, 0x7fff
	v_and_b32_e32 v1, 0xffff0000, v1
	v_cndmask_b32_e32 v2, v14, v22, vcc_lo
	v_bfe_u32 v14, v3, 16, 1
	v_cmp_u_f32_e32 vcc_lo, v16, v16
	v_bfe_u32 v22, v21, 16, 1
	v_or_b32_e32 v16, 0x400000, v3
	v_mul_f32_e32 v4, v36, v4
	v_add3_u32 v14, v14, v3, 0x7fff
	v_cndmask_b32_e32 v12, v12, v23, vcc_lo
	v_cmp_u_f32_e32 vcc_lo, v3, v3
	v_add3_u32 v22, v22, v21, 0x7fff
	v_or_b32_e32 v23, 0x400000, v21
	v_and_b32_e32 v2, 0xffff0000, v2
	v_and_b32_e32 v7, 0xffff0000, v7
	v_cndmask_b32_e32 v3, v14, v16, vcc_lo
	v_cmp_u_f32_e32 vcc_lo, v21, v21
	v_bfe_u32 v16, v4, 16, 1
	v_add_f32_e32 v1, v1, v11
	v_add_f32_e32 v2, v2, v7
	v_and_b32_e32 v3, 0xffff0000, v3
	v_cndmask_b32_e32 v14, v22, v23, vcc_lo
	s_waitcnt vmcnt(0)
	v_lshlrev_b32_e32 v22, 16, v17
	v_and_b32_e32 v7, 0xffff0000, v12
	v_and_b32_e32 v12, 0xffff0000, v17
	v_add3_u32 v16, v16, v4, 0x7fff
	v_or_b32_e32 v21, 0x400000, v4
	v_mul_f32_e32 v11, v41, v22
	v_cmp_u_f32_e32 vcc_lo, v4, v4
	v_add_f32_e32 v1, v2, v1
	v_add_f32_e32 v3, v3, v7
	v_mul_f32_e32 v0, v0, v12
	v_bfe_u32 v2, v11, 16, 1
	v_lshlrev_b32_e32 v7, 16, v18
	v_cndmask_b32_e32 v4, v16, v21, vcc_lo
	v_or_b32_e32 v12, 0x400000, v11
	v_bfe_u32 v16, v0, 16, 1
	v_add3_u32 v2, v2, v11, 0x7fff
	v_mul_f32_e32 v7, v42, v7
	v_and_b32_e32 v17, 0xffff0000, v18
	v_cmp_u_f32_e32 vcc_lo, v11, v11
	v_add3_u32 v11, v16, v0, 0x7fff
	v_lshlrev_b32_e32 v18, 16, v19
	v_bfe_u32 v16, v7, 16, 1
	v_mul_f32_e32 v17, v33, v17
	v_cndmask_b32_e32 v2, v2, v12, vcc_lo
	v_or_b32_e32 v12, 0x400000, v0
	v_cmp_u_f32_e32 vcc_lo, v0, v0
	v_mul_f32_e32 v18, v43, v18
	v_and_b32_e32 v19, 0xffff0000, v19
	v_lshlrev_b32_e32 v21, 16, v20
	v_and_b32_e32 v20, 0xffff0000, v20
	v_cndmask_b32_e32 v0, v11, v12, vcc_lo
	v_add3_u32 v11, v16, v7, 0x7fff
	v_or_b32_e32 v12, 0x400000, v7
	v_bfe_u32 v16, v17, 16, 1
	v_cmp_u_f32_e32 vcc_lo, v7, v7
	v_mul_f32_e32 v19, v34, v19
	v_mul_f32_e32 v20, v35, v20
	v_and_b32_e32 v0, 0xffff0000, v0
	v_and_b32_e32 v2, 0xffff0000, v2
	v_cndmask_b32_e32 v7, v11, v12, vcc_lo
	v_add3_u32 v11, v16, v17, 0x7fff
	v_or_b32_e32 v12, 0x400000, v17
	v_bfe_u32 v16, v18, 16, 1
	v_cmp_u_f32_e32 vcc_lo, v17, v17
	v_mul_f32_e32 v17, v36, v21
	v_or_b32_e32 v21, 0x400000, v18
	v_or_b32_e32 v22, 0x400000, v19
	v_add3_u32 v16, v16, v18, 0x7fff
	v_cndmask_b32_e32 v11, v11, v12, vcc_lo
	v_bfe_u32 v12, v19, 16, 1
	v_cmp_u_f32_e32 vcc_lo, v18, v18
	v_bfe_u32 v24, v20, 16, 1
	v_bfe_u32 v23, v17, 16, 1
	v_and_b32_e32 v11, 0xffff0000, v11
	v_add3_u32 v12, v12, v19, 0x7fff
	v_cndmask_b32_e32 v16, v16, v21, vcc_lo
	v_cmp_u_f32_e32 vcc_lo, v19, v19
	v_add3_u32 v19, v24, v20, 0x7fff
	v_or_b32_e32 v21, 0x400000, v20
	v_add3_u32 v18, v23, v17, 0x7fff
	v_and_b32_e32 v7, 0xffff0000, v7
	v_cndmask_b32_e32 v12, v12, v22, vcc_lo
	v_cmp_u_f32_e32 vcc_lo, v20, v20
	v_or_b32_e32 v22, 0x400000, v17
	v_add_f32_e32 v0, v2, v0
	v_add_f32_e32 v2, v7, v11
	v_and_b32_e32 v7, 0xffff0000, v12
	v_cndmask_b32_e32 v19, v19, v21, vcc_lo
	v_cmp_u_f32_e32 vcc_lo, v17, v17
	v_and_b32_e32 v11, 0xffff0000, v16
	v_and_b32_e32 v4, 0xffff0000, v4
	;; [unrolled: 1-line block ×3, first 2 shown]
	v_add_f32_e32 v0, v2, v0
	v_cndmask_b32_e32 v12, v18, v22, vcc_lo
	v_add_f32_e32 v2, v11, v7
	v_and_b32_e32 v7, 0xffff0000, v19
	v_add_f32_e32 v8, v8, v15
	v_add_f32_e32 v1, v3, v1
	v_and_b32_e32 v11, 0xffff0000, v12
	v_add_f32_e32 v3, v4, v14
	v_add_f32_e32 v0, v2, v0
	;; [unrolled: 1-line block ×13, first 2 shown]
.LBB174_37:                             ;   in Loop: Header=BB174_38 Depth=1
	s_or_b32 exec_lo, exec_lo, s15
	v_add_nc_u32_e32 v57, 4, v57
	v_add_co_u32 v58, s0, v58, 16
	v_add_co_ci_u32_e64 v59, null, 0, v59, s0
	v_cmp_le_i32_e32 vcc_lo, s16, v57
	v_add_nc_u32_e32 v62, 0x80, v62
	v_add_nc_u32_e32 v82, 0x200, v82
	s_or_b32 s13, vcc_lo, s13
	s_andn2_b32 exec_lo, exec_lo, s13
	s_cbranch_execz .LBB174_63
.LBB174_38:                             ; =>This Inner Loop Header: Depth=1
	v_sub_nc_u32_e32 v0, 0, v62
	v_max_i32_e32 v0, v62, v0
	v_mul_hi_u32 v1, v0, s12
	v_mul_lo_u32 v2, v1, s11
	v_sub_nc_u32_e32 v0, v0, v2
	v_add_nc_u32_e32 v2, 1, v1
	v_subrev_nc_u32_e32 v3, s11, v0
	v_cmp_le_u32_e32 vcc_lo, s11, v0
	v_cndmask_b32_e32 v1, v1, v2, vcc_lo
	v_cndmask_b32_e32 v0, v0, v3, vcc_lo
	v_ashrrev_i32_e32 v2, 31, v62
	v_add_nc_u32_e32 v3, 1, v1
	v_cmp_le_u32_e32 vcc_lo, s11, v0
	v_xor_b32_e32 v2, s19, v2
	v_cndmask_b32_e32 v0, v1, v3, vcc_lo
	v_xor_b32_e32 v0, v0, v2
	v_sub_nc_u32_e32 v0, v0, v2
	v_add_nc_u32_e32 v1, s33, v0
	v_cmp_lt_i32_e64 s0, s5, v0
	v_sub_nc_u32_e32 v2, 0, v1
	v_max_i32_e32 v2, v1, v2
	v_ashrrev_i32_e32 v1, 31, v1
	v_mul_hi_u32 v3, v2, v83
	v_mul_lo_u32 v3, v3, s6
	v_sub_nc_u32_e32 v2, v2, v3
	v_subrev_nc_u32_e32 v3, s6, v2
	v_cmp_le_u32_e32 vcc_lo, s6, v2
	v_cndmask_b32_e32 v2, v2, v3, vcc_lo
	v_subrev_nc_u32_e32 v3, s6, v2
	v_cmp_le_u32_e32 vcc_lo, s6, v2
	v_cndmask_b32_e32 v2, v2, v3, vcc_lo
	v_xor_b32_e32 v2, v2, v1
	v_sub_nc_u32_e32 v1, v2, v1
	v_cmp_eq_u32_e32 vcc_lo, 0, v1
	s_or_b32 s0, vcc_lo, s0
	s_and_saveexec_b32 s15, s0
	s_cbranch_execz .LBB174_37
; %bb.39:                               ;   in Loop: Header=BB174_38 Depth=1
	global_load_dword v0, v[58:59], off
	v_add_nc_u32_e32 v85, v79, v62
	v_cmp_eq_u32_e64 s0, s36, v57
	v_add_nc_u32_e32 v88, 1, v85
	v_or_b32_e32 v86, 3, v85
	v_or_b32_e32 v87, 2, v85
	v_or_b32_e32 v84, 5, v85
	v_or_b32_e32 v61, 4, v85
	v_or_b32_e32 v60, 7, v85
	s_waitcnt vmcnt(0)
	v_mad_i64_i32 v[0:1], null, v0, s9, 0
	v_lshlrev_b64 v[0:1], 1, v[0:1]
	v_add_co_u32 v17, vcc_lo, v80, v0
	v_add_co_ci_u32_e64 v18, null, v81, v1, vcc_lo
	v_or_b32_e32 v0, 6, v85
	global_load_dwordx4 v[1:4], v[17:18], off
	ds_read2_b64 v[41:44], v82 offset1:1
	ds_read2_b64 v[33:36], v82 offset0:2 offset1:3
	s_and_saveexec_b32 s17, s0
	s_cbranch_execnz .LBB174_53
; %bb.40:                               ;   in Loop: Header=BB174_38 Depth=1
	s_or_b32 exec_lo, exec_lo, s17
	global_load_dwordx4 v[5:8], v[17:18], off offset:512
	s_and_saveexec_b32 s17, s0
	s_cbranch_execnz .LBB174_54
.LBB174_41:                             ;   in Loop: Header=BB174_38 Depth=1
	s_or_b32 exec_lo, exec_lo, s17
	global_load_dwordx4 v[9:12], v[17:18], off offset:1024
	s_and_saveexec_b32 s17, s0
	s_cbranch_execnz .LBB174_55
.LBB174_42:                             ;   in Loop: Header=BB174_38 Depth=1
	s_or_b32 exec_lo, exec_lo, s17
	global_load_dwordx4 v[13:16], v[17:18], off offset:1536
	s_and_saveexec_b32 s17, s0
	s_cbranch_execz .LBB174_44
.LBB174_43:                             ;   in Loop: Header=BB174_38 Depth=1
	v_cmp_gt_i32_e64 s1, s27, v85
	v_cmp_gt_i32_e32 vcc_lo, s14, v88
	v_cmp_gt_i32_e64 s2, s27, v87
	s_waitcnt vmcnt(0)
	v_cndmask_b32_e64 v19, 0, v13, s1
	v_cmp_gt_i32_e64 s1, s14, v86
	v_cndmask_b32_sdwa v13, v78, v13, vcc_lo dst_sel:DWORD dst_unused:UNUSED_PAD src0_sel:DWORD src1_sel:WORD_1
	v_cndmask_b32_e64 v20, 0, v14, s2
	v_cmp_gt_i32_e64 s2, s14, v84
	s_mov_b32 vcc_lo, s1
	v_cmp_gt_i32_e64 s1, s14, v60
	v_cndmask_b32_sdwa v14, v78, v14, vcc_lo dst_sel:DWORD dst_unused:UNUSED_PAD src0_sel:DWORD src1_sel:WORD_1
	v_cmp_gt_i32_e32 vcc_lo, s27, v61
	v_perm_b32 v13, v13, v19, 0x5040100
	v_perm_b32 v14, v14, v20, 0x5040100
	v_cndmask_b32_e32 v21, 0, v15, vcc_lo
	s_mov_b32 vcc_lo, s2
	v_cndmask_b32_sdwa v15, v78, v15, vcc_lo dst_sel:DWORD dst_unused:UNUSED_PAD src0_sel:DWORD src1_sel:WORD_1
	v_cmp_gt_i32_e32 vcc_lo, s27, v0
	v_perm_b32 v15, v15, v21, 0x5040100
	v_cndmask_b32_e32 v22, 0, v16, vcc_lo
	s_mov_b32 vcc_lo, s1
	v_cndmask_b32_sdwa v16, v78, v16, vcc_lo dst_sel:DWORD dst_unused:UNUSED_PAD src0_sel:DWORD src1_sel:WORD_1
	v_perm_b32 v16, v16, v22, 0x5040100
.LBB174_44:                             ;   in Loop: Header=BB174_38 Depth=1
	s_or_b32 exec_lo, exec_lo, s17
	v_add_co_u32 v19, vcc_lo, 0x800, v17
	v_add_co_ci_u32_e64 v20, null, 0, v18, vcc_lo
	global_load_dwordx4 v[21:24], v[19:20], off
	s_and_saveexec_b32 s17, s0
	s_cbranch_execnz .LBB174_56
; %bb.45:                               ;   in Loop: Header=BB174_38 Depth=1
	s_or_b32 exec_lo, exec_lo, s17
	global_load_dwordx4 v[25:28], v[19:20], off offset:512
	s_and_saveexec_b32 s17, s0
	s_cbranch_execnz .LBB174_57
.LBB174_46:                             ;   in Loop: Header=BB174_38 Depth=1
	s_or_b32 exec_lo, exec_lo, s17
	global_load_dwordx4 v[29:32], v[19:20], off offset:1024
	s_and_saveexec_b32 s17, s0
	s_cbranch_execnz .LBB174_58
.LBB174_47:                             ;   in Loop: Header=BB174_38 Depth=1
	s_or_b32 exec_lo, exec_lo, s17
	global_load_dwordx4 v[37:40], v[19:20], off offset:1536
	s_and_saveexec_b32 s17, s0
	s_cbranch_execz .LBB174_49
.LBB174_48:                             ;   in Loop: Header=BB174_38 Depth=1
	v_cmp_gt_i32_e64 s1, s27, v85
	v_cmp_gt_i32_e32 vcc_lo, s14, v88
	v_cmp_gt_i32_e64 s2, s27, v87
	s_waitcnt vmcnt(0)
	v_cndmask_b32_e64 v19, 0, v37, s1
	v_cmp_gt_i32_e64 s1, s14, v86
	v_cndmask_b32_sdwa v37, v78, v37, vcc_lo dst_sel:DWORD dst_unused:UNUSED_PAD src0_sel:DWORD src1_sel:WORD_1
	v_cndmask_b32_e64 v20, 0, v38, s2
	v_cmp_gt_i32_e64 s2, s14, v84
	s_mov_b32 vcc_lo, s1
	v_cmp_gt_i32_e64 s1, s14, v60
	v_cndmask_b32_sdwa v38, v78, v38, vcc_lo dst_sel:DWORD dst_unused:UNUSED_PAD src0_sel:DWORD src1_sel:WORD_1
	v_cmp_gt_i32_e32 vcc_lo, s27, v61
	v_perm_b32 v37, v37, v19, 0x5040100
	v_perm_b32 v38, v38, v20, 0x5040100
	v_cndmask_b32_e32 v45, 0, v39, vcc_lo
	s_mov_b32 vcc_lo, s2
	v_cndmask_b32_sdwa v39, v78, v39, vcc_lo dst_sel:DWORD dst_unused:UNUSED_PAD src0_sel:DWORD src1_sel:WORD_1
	v_cmp_gt_i32_e32 vcc_lo, s27, v0
	v_perm_b32 v39, v39, v45, 0x5040100
	v_cndmask_b32_e32 v46, 0, v40, vcc_lo
	s_mov_b32 vcc_lo, s1
	v_cndmask_b32_sdwa v40, v78, v40, vcc_lo dst_sel:DWORD dst_unused:UNUSED_PAD src0_sel:DWORD src1_sel:WORD_1
	v_perm_b32 v40, v40, v46, 0x5040100
.LBB174_49:                             ;   in Loop: Header=BB174_38 Depth=1
	s_or_b32 exec_lo, exec_lo, s17
	v_add_co_u32 v17, vcc_lo, 0x1000, v17
	v_add_co_ci_u32_e64 v18, null, 0, v18, vcc_lo
	global_load_dwordx4 v[45:48], v[17:18], off
	s_and_saveexec_b32 s17, s0
	s_cbranch_execnz .LBB174_59
; %bb.50:                               ;   in Loop: Header=BB174_38 Depth=1
	s_or_b32 exec_lo, exec_lo, s17
	global_load_dwordx4 v[49:52], v[17:18], off offset:512
	s_and_saveexec_b32 s17, s0
	s_cbranch_execnz .LBB174_60
.LBB174_51:                             ;   in Loop: Header=BB174_38 Depth=1
	s_or_b32 exec_lo, exec_lo, s17
	global_load_dwordx4 v[53:56], v[17:18], off offset:1024
	s_and_saveexec_b32 s17, s0
	s_cbranch_execnz .LBB174_61
.LBB174_52:                             ;   in Loop: Header=BB174_38 Depth=1
	s_or_b32 exec_lo, exec_lo, s17
	global_load_dwordx4 v[17:20], v[17:18], off offset:1536
	s_and_saveexec_b32 s2, s0
	s_cbranch_execz .LBB174_36
	s_branch .LBB174_62
.LBB174_53:                             ;   in Loop: Header=BB174_38 Depth=1
	v_cmp_gt_i32_e64 s1, s27, v85
	v_cmp_gt_i32_e32 vcc_lo, s14, v88
	v_cmp_gt_i32_e64 s2, s27, v87
	s_waitcnt vmcnt(0)
	v_cndmask_b32_e64 v5, 0, v1, s1
	v_cmp_gt_i32_e64 s1, s14, v86
	v_cndmask_b32_sdwa v1, v78, v1, vcc_lo dst_sel:DWORD dst_unused:UNUSED_PAD src0_sel:DWORD src1_sel:WORD_1
	v_cndmask_b32_e64 v6, 0, v2, s2
	v_cmp_gt_i32_e64 s2, s14, v84
	s_mov_b32 vcc_lo, s1
	v_cmp_gt_i32_e64 s1, s14, v60
	v_cndmask_b32_sdwa v2, v78, v2, vcc_lo dst_sel:DWORD dst_unused:UNUSED_PAD src0_sel:DWORD src1_sel:WORD_1
	v_cmp_gt_i32_e32 vcc_lo, s27, v61
	v_perm_b32 v1, v1, v5, 0x5040100
	v_perm_b32 v2, v2, v6, 0x5040100
	v_cndmask_b32_e32 v7, 0, v3, vcc_lo
	s_mov_b32 vcc_lo, s2
	v_cndmask_b32_sdwa v3, v78, v3, vcc_lo dst_sel:DWORD dst_unused:UNUSED_PAD src0_sel:DWORD src1_sel:WORD_1
	v_cmp_gt_i32_e32 vcc_lo, s27, v0
	v_perm_b32 v3, v3, v7, 0x5040100
	v_cndmask_b32_e32 v8, 0, v4, vcc_lo
	s_mov_b32 vcc_lo, s1
	v_cndmask_b32_sdwa v4, v78, v4, vcc_lo dst_sel:DWORD dst_unused:UNUSED_PAD src0_sel:DWORD src1_sel:WORD_1
	v_perm_b32 v4, v4, v8, 0x5040100
	s_or_b32 exec_lo, exec_lo, s17
	global_load_dwordx4 v[5:8], v[17:18], off offset:512
	s_and_saveexec_b32 s17, s0
	s_cbranch_execz .LBB174_41
.LBB174_54:                             ;   in Loop: Header=BB174_38 Depth=1
	v_cmp_gt_i32_e64 s1, s27, v85
	v_cmp_gt_i32_e32 vcc_lo, s14, v88
	v_cmp_gt_i32_e64 s2, s27, v87
	s_waitcnt vmcnt(0)
	v_cndmask_b32_e64 v9, 0, v5, s1
	v_cmp_gt_i32_e64 s1, s14, v86
	v_cndmask_b32_sdwa v5, v78, v5, vcc_lo dst_sel:DWORD dst_unused:UNUSED_PAD src0_sel:DWORD src1_sel:WORD_1
	v_cndmask_b32_e64 v10, 0, v6, s2
	v_cmp_gt_i32_e64 s2, s14, v84
	s_mov_b32 vcc_lo, s1
	v_cmp_gt_i32_e64 s1, s14, v60
	v_cndmask_b32_sdwa v6, v78, v6, vcc_lo dst_sel:DWORD dst_unused:UNUSED_PAD src0_sel:DWORD src1_sel:WORD_1
	v_cmp_gt_i32_e32 vcc_lo, s27, v61
	v_perm_b32 v5, v5, v9, 0x5040100
	v_perm_b32 v6, v6, v10, 0x5040100
	v_cndmask_b32_e32 v11, 0, v7, vcc_lo
	s_mov_b32 vcc_lo, s2
	v_cndmask_b32_sdwa v7, v78, v7, vcc_lo dst_sel:DWORD dst_unused:UNUSED_PAD src0_sel:DWORD src1_sel:WORD_1
	v_cmp_gt_i32_e32 vcc_lo, s27, v0
	v_perm_b32 v7, v7, v11, 0x5040100
	v_cndmask_b32_e32 v12, 0, v8, vcc_lo
	s_mov_b32 vcc_lo, s1
	v_cndmask_b32_sdwa v8, v78, v8, vcc_lo dst_sel:DWORD dst_unused:UNUSED_PAD src0_sel:DWORD src1_sel:WORD_1
	v_perm_b32 v8, v8, v12, 0x5040100
	s_or_b32 exec_lo, exec_lo, s17
	global_load_dwordx4 v[9:12], v[17:18], off offset:1024
	s_and_saveexec_b32 s17, s0
	s_cbranch_execz .LBB174_42
.LBB174_55:                             ;   in Loop: Header=BB174_38 Depth=1
	v_cmp_gt_i32_e64 s1, s27, v85
	v_cmp_gt_i32_e32 vcc_lo, s14, v88
	v_cmp_gt_i32_e64 s2, s27, v87
	s_waitcnt vmcnt(0)
	v_cndmask_b32_e64 v13, 0, v9, s1
	v_cmp_gt_i32_e64 s1, s14, v86
	v_cndmask_b32_sdwa v9, v78, v9, vcc_lo dst_sel:DWORD dst_unused:UNUSED_PAD src0_sel:DWORD src1_sel:WORD_1
	v_cndmask_b32_e64 v14, 0, v10, s2
	v_cmp_gt_i32_e64 s2, s14, v84
	s_mov_b32 vcc_lo, s1
	v_cmp_gt_i32_e64 s1, s14, v60
	v_cndmask_b32_sdwa v10, v78, v10, vcc_lo dst_sel:DWORD dst_unused:UNUSED_PAD src0_sel:DWORD src1_sel:WORD_1
	v_cmp_gt_i32_e32 vcc_lo, s27, v61
	v_perm_b32 v9, v9, v13, 0x5040100
	v_perm_b32 v10, v10, v14, 0x5040100
	v_cndmask_b32_e32 v15, 0, v11, vcc_lo
	s_mov_b32 vcc_lo, s2
	v_cndmask_b32_sdwa v11, v78, v11, vcc_lo dst_sel:DWORD dst_unused:UNUSED_PAD src0_sel:DWORD src1_sel:WORD_1
	v_cmp_gt_i32_e32 vcc_lo, s27, v0
	v_perm_b32 v11, v11, v15, 0x5040100
	v_cndmask_b32_e32 v16, 0, v12, vcc_lo
	s_mov_b32 vcc_lo, s1
	v_cndmask_b32_sdwa v12, v78, v12, vcc_lo dst_sel:DWORD dst_unused:UNUSED_PAD src0_sel:DWORD src1_sel:WORD_1
	v_perm_b32 v12, v12, v16, 0x5040100
	s_or_b32 exec_lo, exec_lo, s17
	global_load_dwordx4 v[13:16], v[17:18], off offset:1536
	s_and_saveexec_b32 s17, s0
	s_cbranch_execnz .LBB174_43
	s_branch .LBB174_44
.LBB174_56:                             ;   in Loop: Header=BB174_38 Depth=1
	v_cmp_gt_i32_e64 s1, s27, v85
	v_cmp_gt_i32_e32 vcc_lo, s14, v88
	v_cmp_gt_i32_e64 s2, s27, v87
	s_waitcnt vmcnt(0)
	v_cndmask_b32_e64 v25, 0, v21, s1
	v_cmp_gt_i32_e64 s1, s14, v86
	v_cndmask_b32_sdwa v21, v78, v21, vcc_lo dst_sel:DWORD dst_unused:UNUSED_PAD src0_sel:DWORD src1_sel:WORD_1
	v_cndmask_b32_e64 v26, 0, v22, s2
	v_cmp_gt_i32_e64 s2, s14, v84
	s_mov_b32 vcc_lo, s1
	v_cmp_gt_i32_e64 s1, s14, v60
	v_cndmask_b32_sdwa v22, v78, v22, vcc_lo dst_sel:DWORD dst_unused:UNUSED_PAD src0_sel:DWORD src1_sel:WORD_1
	v_cmp_gt_i32_e32 vcc_lo, s27, v61
	v_perm_b32 v21, v21, v25, 0x5040100
	v_perm_b32 v22, v22, v26, 0x5040100
	v_cndmask_b32_e32 v27, 0, v23, vcc_lo
	s_mov_b32 vcc_lo, s2
	v_cndmask_b32_sdwa v23, v78, v23, vcc_lo dst_sel:DWORD dst_unused:UNUSED_PAD src0_sel:DWORD src1_sel:WORD_1
	v_cmp_gt_i32_e32 vcc_lo, s27, v0
	v_perm_b32 v23, v23, v27, 0x5040100
	v_cndmask_b32_e32 v28, 0, v24, vcc_lo
	s_mov_b32 vcc_lo, s1
	v_cndmask_b32_sdwa v24, v78, v24, vcc_lo dst_sel:DWORD dst_unused:UNUSED_PAD src0_sel:DWORD src1_sel:WORD_1
	v_perm_b32 v24, v24, v28, 0x5040100
	s_or_b32 exec_lo, exec_lo, s17
	global_load_dwordx4 v[25:28], v[19:20], off offset:512
	s_and_saveexec_b32 s17, s0
	s_cbranch_execz .LBB174_46
.LBB174_57:                             ;   in Loop: Header=BB174_38 Depth=1
	v_cmp_gt_i32_e64 s1, s27, v85
	v_cmp_gt_i32_e32 vcc_lo, s14, v88
	v_cmp_gt_i32_e64 s2, s27, v87
	s_waitcnt vmcnt(0)
	v_cndmask_b32_e64 v29, 0, v25, s1
	v_cmp_gt_i32_e64 s1, s14, v86
	v_cndmask_b32_sdwa v25, v78, v25, vcc_lo dst_sel:DWORD dst_unused:UNUSED_PAD src0_sel:DWORD src1_sel:WORD_1
	v_cndmask_b32_e64 v30, 0, v26, s2
	v_cmp_gt_i32_e64 s2, s14, v84
	s_mov_b32 vcc_lo, s1
	v_cmp_gt_i32_e64 s1, s14, v60
	v_cndmask_b32_sdwa v26, v78, v26, vcc_lo dst_sel:DWORD dst_unused:UNUSED_PAD src0_sel:DWORD src1_sel:WORD_1
	v_cmp_gt_i32_e32 vcc_lo, s27, v61
	v_perm_b32 v25, v25, v29, 0x5040100
	v_perm_b32 v26, v26, v30, 0x5040100
	v_cndmask_b32_e32 v31, 0, v27, vcc_lo
	s_mov_b32 vcc_lo, s2
	v_cndmask_b32_sdwa v27, v78, v27, vcc_lo dst_sel:DWORD dst_unused:UNUSED_PAD src0_sel:DWORD src1_sel:WORD_1
	v_cmp_gt_i32_e32 vcc_lo, s27, v0
	v_perm_b32 v27, v27, v31, 0x5040100
	v_cndmask_b32_e32 v32, 0, v28, vcc_lo
	s_mov_b32 vcc_lo, s1
	v_cndmask_b32_sdwa v28, v78, v28, vcc_lo dst_sel:DWORD dst_unused:UNUSED_PAD src0_sel:DWORD src1_sel:WORD_1
	v_perm_b32 v28, v28, v32, 0x5040100
	s_or_b32 exec_lo, exec_lo, s17
	global_load_dwordx4 v[29:32], v[19:20], off offset:1024
	s_and_saveexec_b32 s17, s0
	s_cbranch_execz .LBB174_47
.LBB174_58:                             ;   in Loop: Header=BB174_38 Depth=1
	v_cmp_gt_i32_e64 s1, s27, v85
	v_cmp_gt_i32_e32 vcc_lo, s14, v88
	v_cmp_gt_i32_e64 s2, s27, v87
	s_waitcnt vmcnt(0)
	v_cndmask_b32_e64 v37, 0, v29, s1
	v_cmp_gt_i32_e64 s1, s14, v86
	v_cndmask_b32_sdwa v29, v78, v29, vcc_lo dst_sel:DWORD dst_unused:UNUSED_PAD src0_sel:DWORD src1_sel:WORD_1
	v_cndmask_b32_e64 v38, 0, v30, s2
	v_cmp_gt_i32_e64 s2, s14, v84
	s_mov_b32 vcc_lo, s1
	v_cmp_gt_i32_e64 s1, s14, v60
	v_cndmask_b32_sdwa v30, v78, v30, vcc_lo dst_sel:DWORD dst_unused:UNUSED_PAD src0_sel:DWORD src1_sel:WORD_1
	v_cmp_gt_i32_e32 vcc_lo, s27, v61
	v_perm_b32 v29, v29, v37, 0x5040100
	v_perm_b32 v30, v30, v38, 0x5040100
	v_cndmask_b32_e32 v39, 0, v31, vcc_lo
	s_mov_b32 vcc_lo, s2
	v_cndmask_b32_sdwa v31, v78, v31, vcc_lo dst_sel:DWORD dst_unused:UNUSED_PAD src0_sel:DWORD src1_sel:WORD_1
	v_cmp_gt_i32_e32 vcc_lo, s27, v0
	v_perm_b32 v31, v31, v39, 0x5040100
	v_cndmask_b32_e32 v40, 0, v32, vcc_lo
	s_mov_b32 vcc_lo, s1
	v_cndmask_b32_sdwa v32, v78, v32, vcc_lo dst_sel:DWORD dst_unused:UNUSED_PAD src0_sel:DWORD src1_sel:WORD_1
	v_perm_b32 v32, v32, v40, 0x5040100
	s_or_b32 exec_lo, exec_lo, s17
	global_load_dwordx4 v[37:40], v[19:20], off offset:1536
	s_and_saveexec_b32 s17, s0
	s_cbranch_execnz .LBB174_48
	s_branch .LBB174_49
.LBB174_59:                             ;   in Loop: Header=BB174_38 Depth=1
	v_cmp_gt_i32_e64 s1, s27, v85
	v_cmp_gt_i32_e32 vcc_lo, s14, v88
	v_cmp_gt_i32_e64 s2, s27, v87
	s_waitcnt vmcnt(0)
	v_cndmask_b32_e64 v19, 0, v45, s1
	v_cmp_gt_i32_e64 s1, s14, v86
	v_cndmask_b32_sdwa v45, v78, v45, vcc_lo dst_sel:DWORD dst_unused:UNUSED_PAD src0_sel:DWORD src1_sel:WORD_1
	v_cndmask_b32_e64 v20, 0, v46, s2
	v_cmp_gt_i32_e64 s2, s14, v84
	s_mov_b32 vcc_lo, s1
	v_cmp_gt_i32_e64 s1, s14, v60
	v_cndmask_b32_sdwa v46, v78, v46, vcc_lo dst_sel:DWORD dst_unused:UNUSED_PAD src0_sel:DWORD src1_sel:WORD_1
	v_cmp_gt_i32_e32 vcc_lo, s27, v61
	v_perm_b32 v45, v45, v19, 0x5040100
	v_perm_b32 v46, v46, v20, 0x5040100
	v_cndmask_b32_e32 v49, 0, v47, vcc_lo
	s_mov_b32 vcc_lo, s2
	v_cndmask_b32_sdwa v47, v78, v47, vcc_lo dst_sel:DWORD dst_unused:UNUSED_PAD src0_sel:DWORD src1_sel:WORD_1
	v_cmp_gt_i32_e32 vcc_lo, s27, v0
	v_perm_b32 v47, v47, v49, 0x5040100
	v_cndmask_b32_e32 v50, 0, v48, vcc_lo
	s_mov_b32 vcc_lo, s1
	v_cndmask_b32_sdwa v48, v78, v48, vcc_lo dst_sel:DWORD dst_unused:UNUSED_PAD src0_sel:DWORD src1_sel:WORD_1
	v_perm_b32 v48, v48, v50, 0x5040100
	s_or_b32 exec_lo, exec_lo, s17
	global_load_dwordx4 v[49:52], v[17:18], off offset:512
	s_and_saveexec_b32 s17, s0
	s_cbranch_execz .LBB174_51
.LBB174_60:                             ;   in Loop: Header=BB174_38 Depth=1
	v_cmp_gt_i32_e64 s1, s27, v85
	v_cmp_gt_i32_e32 vcc_lo, s14, v88
	v_cmp_gt_i32_e64 s2, s27, v87
	s_waitcnt vmcnt(0)
	v_cndmask_b32_e64 v19, 0, v49, s1
	v_cmp_gt_i32_e64 s1, s14, v86
	v_cndmask_b32_sdwa v49, v78, v49, vcc_lo dst_sel:DWORD dst_unused:UNUSED_PAD src0_sel:DWORD src1_sel:WORD_1
	v_cndmask_b32_e64 v20, 0, v50, s2
	v_cmp_gt_i32_e64 s2, s14, v84
	s_mov_b32 vcc_lo, s1
	v_cmp_gt_i32_e64 s1, s14, v60
	v_cndmask_b32_sdwa v50, v78, v50, vcc_lo dst_sel:DWORD dst_unused:UNUSED_PAD src0_sel:DWORD src1_sel:WORD_1
	v_cmp_gt_i32_e32 vcc_lo, s27, v61
	v_perm_b32 v49, v49, v19, 0x5040100
	v_perm_b32 v50, v50, v20, 0x5040100
	v_cndmask_b32_e32 v53, 0, v51, vcc_lo
	s_mov_b32 vcc_lo, s2
	v_cndmask_b32_sdwa v51, v78, v51, vcc_lo dst_sel:DWORD dst_unused:UNUSED_PAD src0_sel:DWORD src1_sel:WORD_1
	v_cmp_gt_i32_e32 vcc_lo, s27, v0
	v_perm_b32 v51, v51, v53, 0x5040100
	v_cndmask_b32_e32 v54, 0, v52, vcc_lo
	s_mov_b32 vcc_lo, s1
	v_cndmask_b32_sdwa v52, v78, v52, vcc_lo dst_sel:DWORD dst_unused:UNUSED_PAD src0_sel:DWORD src1_sel:WORD_1
	v_perm_b32 v52, v52, v54, 0x5040100
	s_or_b32 exec_lo, exec_lo, s17
	global_load_dwordx4 v[53:56], v[17:18], off offset:1024
	s_and_saveexec_b32 s17, s0
	s_cbranch_execz .LBB174_52
.LBB174_61:                             ;   in Loop: Header=BB174_38 Depth=1
	v_cmp_gt_i32_e64 s1, s27, v85
	v_cmp_gt_i32_e32 vcc_lo, s14, v88
	v_cmp_gt_i32_e64 s2, s27, v87
	s_waitcnt vmcnt(0)
	v_cndmask_b32_e64 v19, 0, v53, s1
	v_cmp_gt_i32_e64 s1, s14, v86
	v_cndmask_b32_sdwa v53, v78, v53, vcc_lo dst_sel:DWORD dst_unused:UNUSED_PAD src0_sel:DWORD src1_sel:WORD_1
	v_cndmask_b32_e64 v20, 0, v54, s2
	v_cmp_gt_i32_e64 s2, s14, v84
	s_mov_b32 vcc_lo, s1
	v_cmp_gt_i32_e64 s1, s14, v60
	v_cndmask_b32_sdwa v54, v78, v54, vcc_lo dst_sel:DWORD dst_unused:UNUSED_PAD src0_sel:DWORD src1_sel:WORD_1
	v_cmp_gt_i32_e32 vcc_lo, s27, v61
	v_perm_b32 v53, v53, v19, 0x5040100
	v_perm_b32 v54, v54, v20, 0x5040100
	v_cndmask_b32_e32 v89, 0, v55, vcc_lo
	s_mov_b32 vcc_lo, s2
	v_cndmask_b32_sdwa v55, v78, v55, vcc_lo dst_sel:DWORD dst_unused:UNUSED_PAD src0_sel:DWORD src1_sel:WORD_1
	v_cmp_gt_i32_e32 vcc_lo, s27, v0
	v_perm_b32 v55, v55, v89, 0x5040100
	v_cndmask_b32_e32 v90, 0, v56, vcc_lo
	s_mov_b32 vcc_lo, s1
	v_cndmask_b32_sdwa v56, v78, v56, vcc_lo dst_sel:DWORD dst_unused:UNUSED_PAD src0_sel:DWORD src1_sel:WORD_1
	v_perm_b32 v56, v56, v90, 0x5040100
	s_or_b32 exec_lo, exec_lo, s17
	global_load_dwordx4 v[17:20], v[17:18], off offset:1536
	s_and_saveexec_b32 s2, s0
	s_cbranch_execz .LBB174_36
.LBB174_62:                             ;   in Loop: Header=BB174_38 Depth=1
	v_cmp_gt_i32_e64 s0, s27, v85
	v_cmp_gt_i32_e32 vcc_lo, s14, v88
	v_cmp_gt_i32_e64 s1, s27, v87
	s_waitcnt vmcnt(0)
	v_cndmask_b32_e64 v85, 0, v17, s0
	v_cmp_gt_i32_e64 s0, s14, v86
	v_cndmask_b32_sdwa v17, v78, v17, vcc_lo dst_sel:DWORD dst_unused:UNUSED_PAD src0_sel:DWORD src1_sel:WORD_1
	v_cndmask_b32_e64 v86, 0, v18, s1
	v_cmp_gt_i32_e64 s1, s14, v84
	s_mov_b32 vcc_lo, s0
	v_cmp_gt_i32_e64 s0, s14, v60
	v_cndmask_b32_sdwa v18, v78, v18, vcc_lo dst_sel:DWORD dst_unused:UNUSED_PAD src0_sel:DWORD src1_sel:WORD_1
	v_cmp_gt_i32_e32 vcc_lo, s27, v61
	v_perm_b32 v17, v17, v85, 0x5040100
	v_perm_b32 v18, v18, v86, 0x5040100
	v_cndmask_b32_e32 v61, 0, v19, vcc_lo
	s_mov_b32 vcc_lo, s1
	v_cndmask_b32_sdwa v19, v78, v19, vcc_lo dst_sel:DWORD dst_unused:UNUSED_PAD src0_sel:DWORD src1_sel:WORD_1
	v_cmp_gt_i32_e32 vcc_lo, s27, v0
	v_perm_b32 v19, v19, v61, 0x5040100
	v_cndmask_b32_e32 v0, 0, v20, vcc_lo
	s_mov_b32 vcc_lo, s0
	v_cndmask_b32_sdwa v20, v78, v20, vcc_lo dst_sel:DWORD dst_unused:UNUSED_PAD src0_sel:DWORD src1_sel:WORD_1
	v_perm_b32 v20, v20, v0, 0x5040100
	s_branch .LBB174_36
.LBB174_63:
	s_or_b32 exec_lo, exec_lo, s13
.LBB174_64:
	s_or_b32 exec_lo, exec_lo, s3
	ds_bpermute_b32 v0, v64, v77
	ds_bpermute_b32 v5, v64, v72
	;; [unrolled: 1-line block ×12, first 2 shown]
	s_mov_b32 s0, exec_lo
	s_waitcnt lgkmcnt(11)
	v_add_f32_e32 v0, v77, v0
	s_waitcnt lgkmcnt(10)
	v_add_f32_e32 v5, v72, v5
	;; [unrolled: 2-line block ×5, first 2 shown]
	ds_bpermute_b32 v6, v63, v0
	ds_bpermute_b32 v20, v63, v5
	;; [unrolled: 1-line block ×3, first 2 shown]
	s_waitcnt lgkmcnt(9)
	v_add_f32_e32 v4, v73, v4
	s_waitcnt lgkmcnt(8)
	v_add_f32_e32 v13, v70, v7
	;; [unrolled: 2-line block ×7, first 2 shown]
	ds_bpermute_b32 v7, v63, v1
	ds_bpermute_b32 v19, v63, v4
	;; [unrolled: 1-line block ×9, first 2 shown]
	s_waitcnt lgkmcnt(11)
	v_add_f32_e32 v11, v0, v6
	s_waitcnt lgkmcnt(10)
	v_add_f32_e32 v6, v5, v20
	;; [unrolled: 2-line block ×3, first 2 shown]
	buffer_load_dword v12, off, s[48:51], 0 ; 4-byte Folded Reload
	s_waitcnt vmcnt(0) lgkmcnt(0)
	s_waitcnt_vscnt null, 0x0
	s_barrier
	buffer_gl0_inv
	v_add_f32_e32 v10, v1, v7
	v_add_f32_e32 v7, v4, v19
	;; [unrolled: 1-line block ×8, first 2 shown]
	v_and_b32_e32 v15, 0x3c3, v91
	v_add_f32_e32 v2, v17, v26
	v_mul_u32_u24_e32 v14, 0x180, v92
	v_and_b32_e32 v13, 28, v12
	v_lshrrev_b32_e32 v12, 2, v12
	v_add_nc_u32_e32 v13, 0xe0, v13
	v_cmpx_eq_u32_e32 64, v15
	s_cbranch_execz .LBB174_66
; %bb.65:
	v_add_nc_u32_e32 v15, v13, v14
	v_add_nc_u32_e32 v16, 0xfffffd00, v15
	;; [unrolled: 1-line block ×8, first 2 shown]
	ds_write_b32 v16, v11
	ds_write_b32 v17, v10
	;; [unrolled: 1-line block ×7, first 2 shown]
	v_add_nc_u32_e32 v16, 0xfffffde0, v15
	v_add_nc_u32_e32 v17, 0xfffffe00, v15
	;; [unrolled: 1-line block ×5, first 2 shown]
	ds_write_b32 v16, v4
	ds_write_b32 v17, v3
	;; [unrolled: 1-line block ×5, first 2 shown]
.LBB174_66:
	s_or_b32 exec_lo, exec_lo, s0
	v_lshlrev_b32_e32 v12, 2, v12
	s_mov_b32 s1, exec_lo
	v_cmp_eq_u32_e32 vcc_lo, 0, v65
	s_waitcnt lgkmcnt(0)
	s_barrier
	v_add3_u32 v12, 0xe0, v14, v12
	buffer_gl0_inv
	v_cmpx_gt_u32_e32 64, v91
	s_cbranch_execz .LBB174_81
; %bb.67:
	s_and_saveexec_b32 s0, vcc_lo
	s_cbranch_execnz .LBB174_101
; %bb.68:
	s_or_b32 exec_lo, exec_lo, s0
	s_and_saveexec_b32 s0, vcc_lo
	s_cbranch_execnz .LBB174_102
.LBB174_69:
	s_or_b32 exec_lo, exec_lo, s0
	s_and_saveexec_b32 s0, vcc_lo
	s_cbranch_execnz .LBB174_103
.LBB174_70:
	s_or_b32 exec_lo, exec_lo, s0
	s_and_saveexec_b32 s0, vcc_lo
	s_cbranch_execnz .LBB174_104
.LBB174_71:
	s_or_b32 exec_lo, exec_lo, s0
	s_and_saveexec_b32 s0, vcc_lo
	s_cbranch_execnz .LBB174_105
.LBB174_72:
	s_or_b32 exec_lo, exec_lo, s0
	s_and_saveexec_b32 s0, vcc_lo
	s_cbranch_execnz .LBB174_106
.LBB174_73:
	s_or_b32 exec_lo, exec_lo, s0
	s_and_saveexec_b32 s0, vcc_lo
	s_cbranch_execnz .LBB174_107
.LBB174_74:
	s_or_b32 exec_lo, exec_lo, s0
	s_and_saveexec_b32 s0, vcc_lo
	s_cbranch_execnz .LBB174_108
.LBB174_75:
	s_or_b32 exec_lo, exec_lo, s0
	s_and_saveexec_b32 s0, vcc_lo
	s_cbranch_execnz .LBB174_109
.LBB174_76:
	s_or_b32 exec_lo, exec_lo, s0
	s_and_saveexec_b32 s0, vcc_lo
	s_cbranch_execnz .LBB174_110
.LBB174_77:
	s_or_b32 exec_lo, exec_lo, s0
	s_and_saveexec_b32 s0, vcc_lo
	s_cbranch_execnz .LBB174_111
.LBB174_78:
	s_or_b32 exec_lo, exec_lo, s0
	s_and_saveexec_b32 s0, vcc_lo
	s_cbranch_execz .LBB174_80
.LBB174_79:
	ds_read_b32 v14, v12 offset:352
	s_waitcnt lgkmcnt(0)
	v_add_f32_e32 v2, v2, v14
.LBB174_80:
	s_or_b32 exec_lo, exec_lo, s0
.LBB174_81:
	s_or_b32 exec_lo, exec_lo, s1
	v_and_b32_e32 v14, 0x3e3, v91
	s_mov_b32 s1, exec_lo
	s_barrier
	buffer_gl0_inv
	v_cmpx_eq_u32_e32 32, v14
	s_cbranch_execz .LBB174_83
; %bb.82:
	ds_write2_b32 v13, v11, v10 offset1:8
	ds_write2_b32 v13, v9, v8 offset0:16 offset1:24
	ds_write2_b32 v13, v7, v6 offset0:32 offset1:40
	;; [unrolled: 1-line block ×5, first 2 shown]
.LBB174_83:
	s_or_b32 exec_lo, exec_lo, s1
	s_mov_b32 s1, exec_lo
	s_waitcnt lgkmcnt(0)
	s_barrier
	buffer_gl0_inv
	v_cmpx_gt_u32_e32 32, v91
	s_cbranch_execz .LBB174_98
; %bb.84:
	s_and_saveexec_b32 s0, vcc_lo
	s_cbranch_execnz .LBB174_112
; %bb.85:
	s_or_b32 exec_lo, exec_lo, s0
	s_and_saveexec_b32 s0, vcc_lo
	s_cbranch_execnz .LBB174_113
.LBB174_86:
	s_or_b32 exec_lo, exec_lo, s0
	s_and_saveexec_b32 s0, vcc_lo
	s_cbranch_execnz .LBB174_114
.LBB174_87:
	s_or_b32 exec_lo, exec_lo, s0
	s_and_saveexec_b32 s0, vcc_lo
	s_cbranch_execnz .LBB174_115
.LBB174_88:
	s_or_b32 exec_lo, exec_lo, s0
	s_and_saveexec_b32 s0, vcc_lo
	s_cbranch_execnz .LBB174_116
.LBB174_89:
	s_or_b32 exec_lo, exec_lo, s0
	s_and_saveexec_b32 s0, vcc_lo
	s_cbranch_execnz .LBB174_117
.LBB174_90:
	s_or_b32 exec_lo, exec_lo, s0
	s_and_saveexec_b32 s0, vcc_lo
	s_cbranch_execnz .LBB174_118
.LBB174_91:
	s_or_b32 exec_lo, exec_lo, s0
	s_and_saveexec_b32 s0, vcc_lo
	s_cbranch_execnz .LBB174_119
.LBB174_92:
	s_or_b32 exec_lo, exec_lo, s0
	s_and_saveexec_b32 s0, vcc_lo
	s_cbranch_execnz .LBB174_120
.LBB174_93:
	s_or_b32 exec_lo, exec_lo, s0
	s_and_saveexec_b32 s0, vcc_lo
	s_cbranch_execnz .LBB174_121
.LBB174_94:
	s_or_b32 exec_lo, exec_lo, s0
	s_and_saveexec_b32 s0, vcc_lo
	s_cbranch_execnz .LBB174_122
.LBB174_95:
	s_or_b32 exec_lo, exec_lo, s0
	s_and_saveexec_b32 s0, vcc_lo
	s_cbranch_execz .LBB174_97
.LBB174_96:
	ds_read_b32 v12, v12 offset:352
	s_waitcnt lgkmcnt(0)
	v_add_f32_e32 v2, v2, v12
.LBB174_97:
	s_or_b32 exec_lo, exec_lo, s0
.LBB174_98:
	s_or_b32 exec_lo, exec_lo, s1
	s_barrier
	buffer_gl0_inv
	s_mov_b32 s0, exec_lo
	v_cmpx_eq_u32_e32 0, v14
	s_cbranch_execz .LBB174_100
; %bb.99:
	s_mul_i32 s0, s4, 0x60
	v_bfe_u32 v12, v11, 16, 1
	s_ashr_i32 s1, s0, 31
	s_mul_i32 s2, s7, s10
	s_lshl_b64 s[0:1], s[0:1], 1
	v_or_b32_e32 v13, 0x400000, v11
	s_add_u32 s4, s24, s0
	s_addc_u32 s1, s25, s1
	s_ashr_i32 s3, s2, 31
	v_add3_u32 v12, v12, v11, 0x7fff
	s_lshl_b64 s[2:3], s[2:3], 1
	v_bfe_u32 v15, v10, 16, 1
	v_cmp_u_f32_e32 vcc_lo, v11, v11
	s_mul_i32 s0, s8, 0x60
	s_add_u32 s2, s4, s2
	s_addc_u32 s3, s1, s3
	s_ashr_i32 s1, s0, 31
	v_lshrrev_b32_e32 v14, 1, v91
	s_lshl_b64 s[0:1], s[0:1], 1
	v_cndmask_b32_e32 v11, v12, v13, vcc_lo
	v_bfe_u32 v12, v9, 16, 1
	v_add3_u32 v13, v15, v10, 0x7fff
	v_or_b32_e32 v15, 0x400000, v10
	v_cmp_u_f32_e32 vcc_lo, v10, v10
	s_add_u32 s0, s2, s0
	s_addc_u32 s1, s3, s1
	global_store_short_d16_hi v14, v11, s[0:1]
	v_add3_u32 v11, v12, v9, 0x7fff
	v_or_b32_e32 v12, 0x400000, v9
	v_cndmask_b32_e32 v10, v13, v15, vcc_lo
	v_bfe_u32 v13, v8, 16, 1
	v_cmp_u_f32_e32 vcc_lo, v9, v9
	global_store_short_d16_hi v14, v10, s[0:1] offset:16
	v_add3_u32 v10, v13, v8, 0x7fff
	v_cndmask_b32_e32 v9, v11, v12, vcc_lo
	v_bfe_u32 v11, v7, 16, 1
	v_or_b32_e32 v12, 0x400000, v8
	v_cmp_u_f32_e32 vcc_lo, v8, v8
	global_store_short_d16_hi v14, v9, s[0:1] offset:32
	v_add3_u32 v9, v11, v7, 0x7fff
	v_or_b32_e32 v11, 0x400000, v7
	v_cndmask_b32_e32 v8, v10, v12, vcc_lo
	v_bfe_u32 v10, v6, 16, 1
	v_cmp_u_f32_e32 vcc_lo, v7, v7
	global_store_short_d16_hi v14, v8, s[0:1] offset:48
	v_add3_u32 v8, v10, v6, 0x7fff
	v_cndmask_b32_e32 v7, v9, v11, vcc_lo
	v_bfe_u32 v9, v5, 16, 1
	v_or_b32_e32 v10, 0x400000, v6
	v_cmp_u_f32_e32 vcc_lo, v6, v6
	global_store_short_d16_hi v14, v7, s[0:1] offset:64
	v_add3_u32 v7, v9, v5, 0x7fff
	v_or_b32_e32 v9, 0x400000, v5
	v_cndmask_b32_e32 v6, v8, v10, vcc_lo
	v_bfe_u32 v8, v4, 16, 1
	v_cmp_u_f32_e32 vcc_lo, v5, v5
	v_or_b32_e32 v10, 0x400000, v2
	global_store_short_d16_hi v14, v6, s[0:1] offset:80
	v_add3_u32 v6, v8, v4, 0x7fff
	v_cndmask_b32_e32 v5, v7, v9, vcc_lo
	v_bfe_u32 v7, v3, 16, 1
	v_or_b32_e32 v8, 0x400000, v4
	v_cmp_u_f32_e32 vcc_lo, v4, v4
	v_or_b32_e32 v9, 0x400000, v1
	global_store_short_d16_hi v14, v5, s[0:1] offset:96
	v_add3_u32 v5, v7, v3, 0x7fff
	v_or_b32_e32 v7, 0x400000, v3
	v_cndmask_b32_e32 v4, v6, v8, vcc_lo
	v_bfe_u32 v6, v0, 16, 1
	v_cmp_u_f32_e32 vcc_lo, v3, v3
	v_bfe_u32 v8, v1, 16, 1
	v_add3_u32 v6, v6, v0, 0x7fff
	v_cndmask_b32_e32 v3, v5, v7, vcc_lo
	v_or_b32_e32 v7, 0x400000, v0
	v_cmp_u_f32_e32 vcc_lo, v0, v0
	v_bfe_u32 v5, v2, 16, 1
	v_add3_u32 v8, v8, v1, 0x7fff
	v_cndmask_b32_e32 v0, v6, v7, vcc_lo
	v_cmp_u_f32_e32 vcc_lo, v1, v1
	v_add3_u32 v5, v5, v2, 0x7fff
	v_cndmask_b32_e32 v1, v8, v9, vcc_lo
	v_cmp_u_f32_e32 vcc_lo, v2, v2
	v_cndmask_b32_e32 v2, v5, v10, vcc_lo
	global_store_short_d16_hi v14, v4, s[0:1] offset:112
	global_store_short_d16_hi v14, v3, s[0:1] offset:128
	;; [unrolled: 1-line block ×5, first 2 shown]
.LBB174_100:
	s_endpgm
.LBB174_101:
	ds_read_b32 v14, v12
	s_waitcnt lgkmcnt(0)
	v_add_f32_e32 v11, v11, v14
	s_or_b32 exec_lo, exec_lo, s0
	s_and_saveexec_b32 s0, vcc_lo
	s_cbranch_execz .LBB174_69
.LBB174_102:
	ds_read_b32 v14, v12 offset:32
	s_waitcnt lgkmcnt(0)
	v_add_f32_e32 v10, v10, v14
	s_or_b32 exec_lo, exec_lo, s0
	s_and_saveexec_b32 s0, vcc_lo
	s_cbranch_execz .LBB174_70
.LBB174_103:
	ds_read_b32 v14, v12 offset:64
	s_waitcnt lgkmcnt(0)
	v_add_f32_e32 v9, v9, v14
	s_or_b32 exec_lo, exec_lo, s0
	s_and_saveexec_b32 s0, vcc_lo
	s_cbranch_execz .LBB174_71
.LBB174_104:
	ds_read_b32 v14, v12 offset:96
	s_waitcnt lgkmcnt(0)
	v_add_f32_e32 v8, v8, v14
	s_or_b32 exec_lo, exec_lo, s0
	s_and_saveexec_b32 s0, vcc_lo
	s_cbranch_execz .LBB174_72
.LBB174_105:
	ds_read_b32 v14, v12 offset:128
	s_waitcnt lgkmcnt(0)
	v_add_f32_e32 v7, v7, v14
	s_or_b32 exec_lo, exec_lo, s0
	s_and_saveexec_b32 s0, vcc_lo
	s_cbranch_execz .LBB174_73
.LBB174_106:
	ds_read_b32 v14, v12 offset:160
	s_waitcnt lgkmcnt(0)
	v_add_f32_e32 v6, v6, v14
	s_or_b32 exec_lo, exec_lo, s0
	s_and_saveexec_b32 s0, vcc_lo
	s_cbranch_execz .LBB174_74
.LBB174_107:
	ds_read_b32 v14, v12 offset:192
	s_waitcnt lgkmcnt(0)
	v_add_f32_e32 v5, v5, v14
	s_or_b32 exec_lo, exec_lo, s0
	s_and_saveexec_b32 s0, vcc_lo
	s_cbranch_execz .LBB174_75
.LBB174_108:
	ds_read_b32 v14, v12 offset:224
	s_waitcnt lgkmcnt(0)
	v_add_f32_e32 v4, v4, v14
	s_or_b32 exec_lo, exec_lo, s0
	s_and_saveexec_b32 s0, vcc_lo
	s_cbranch_execz .LBB174_76
.LBB174_109:
	ds_read_b32 v14, v12 offset:256
	s_waitcnt lgkmcnt(0)
	v_add_f32_e32 v3, v3, v14
	s_or_b32 exec_lo, exec_lo, s0
	s_and_saveexec_b32 s0, vcc_lo
	s_cbranch_execz .LBB174_77
.LBB174_110:
	ds_read_b32 v14, v12 offset:288
	s_waitcnt lgkmcnt(0)
	v_add_f32_e32 v0, v0, v14
	s_or_b32 exec_lo, exec_lo, s0
	s_and_saveexec_b32 s0, vcc_lo
	s_cbranch_execz .LBB174_78
.LBB174_111:
	ds_read_b32 v14, v12 offset:320
	s_waitcnt lgkmcnt(0)
	v_add_f32_e32 v1, v1, v14
	s_or_b32 exec_lo, exec_lo, s0
	s_and_saveexec_b32 s0, vcc_lo
	s_cbranch_execnz .LBB174_79
	s_branch .LBB174_80
.LBB174_112:
	ds_read_b32 v13, v12
	s_waitcnt lgkmcnt(0)
	v_add_f32_e32 v11, v11, v13
	s_or_b32 exec_lo, exec_lo, s0
	s_and_saveexec_b32 s0, vcc_lo
	s_cbranch_execz .LBB174_86
.LBB174_113:
	ds_read_b32 v13, v12 offset:32
	s_waitcnt lgkmcnt(0)
	v_add_f32_e32 v10, v10, v13
	s_or_b32 exec_lo, exec_lo, s0
	s_and_saveexec_b32 s0, vcc_lo
	s_cbranch_execz .LBB174_87
.LBB174_114:
	ds_read_b32 v13, v12 offset:64
	s_waitcnt lgkmcnt(0)
	v_add_f32_e32 v9, v9, v13
	s_or_b32 exec_lo, exec_lo, s0
	s_and_saveexec_b32 s0, vcc_lo
	s_cbranch_execz .LBB174_88
.LBB174_115:
	ds_read_b32 v13, v12 offset:96
	s_waitcnt lgkmcnt(0)
	v_add_f32_e32 v8, v8, v13
	s_or_b32 exec_lo, exec_lo, s0
	s_and_saveexec_b32 s0, vcc_lo
	s_cbranch_execz .LBB174_89
.LBB174_116:
	ds_read_b32 v13, v12 offset:128
	s_waitcnt lgkmcnt(0)
	v_add_f32_e32 v7, v7, v13
	s_or_b32 exec_lo, exec_lo, s0
	s_and_saveexec_b32 s0, vcc_lo
	s_cbranch_execz .LBB174_90
.LBB174_117:
	ds_read_b32 v13, v12 offset:160
	s_waitcnt lgkmcnt(0)
	v_add_f32_e32 v6, v6, v13
	s_or_b32 exec_lo, exec_lo, s0
	s_and_saveexec_b32 s0, vcc_lo
	s_cbranch_execz .LBB174_91
.LBB174_118:
	ds_read_b32 v13, v12 offset:192
	s_waitcnt lgkmcnt(0)
	v_add_f32_e32 v5, v5, v13
	s_or_b32 exec_lo, exec_lo, s0
	s_and_saveexec_b32 s0, vcc_lo
	s_cbranch_execz .LBB174_92
.LBB174_119:
	ds_read_b32 v13, v12 offset:224
	s_waitcnt lgkmcnt(0)
	v_add_f32_e32 v4, v4, v13
	s_or_b32 exec_lo, exec_lo, s0
	s_and_saveexec_b32 s0, vcc_lo
	s_cbranch_execz .LBB174_93
.LBB174_120:
	ds_read_b32 v13, v12 offset:256
	s_waitcnt lgkmcnt(0)
	v_add_f32_e32 v3, v3, v13
	s_or_b32 exec_lo, exec_lo, s0
	s_and_saveexec_b32 s0, vcc_lo
	s_cbranch_execz .LBB174_94
.LBB174_121:
	ds_read_b32 v13, v12 offset:288
	s_waitcnt lgkmcnt(0)
	v_add_f32_e32 v0, v0, v13
	s_or_b32 exec_lo, exec_lo, s0
	s_and_saveexec_b32 s0, vcc_lo
	s_cbranch_execz .LBB174_95
.LBB174_122:
	ds_read_b32 v13, v12 offset:320
	s_waitcnt lgkmcnt(0)
	v_add_f32_e32 v1, v1, v13
	s_or_b32 exec_lo, exec_lo, s0
	s_and_saveexec_b32 s0, vcc_lo
	s_cbranch_execnz .LBB174_96
	s_branch .LBB174_97
	.section	.rodata,"a",@progbits
	.p2align	6, 0x0
	.amdhsa_kernel _ZN4vllm25paged_attention_v2_kernelI14__hip_bfloat16S1_Li96ELi32ELi128ELNS_18Fp8KVCacheDataTypeE0ELb1ELi512EEEvPfS3_PT_PKS4_PKT0_SA_ifPKiSC_iPKfiiiSE_SE_iiiii
		.amdhsa_group_segment_fixed_size 224
		.amdhsa_private_segment_fixed_size 180
		.amdhsa_kernarg_size 400
		.amdhsa_user_sgpr_count 6
		.amdhsa_user_sgpr_private_segment_buffer 1
		.amdhsa_user_sgpr_dispatch_ptr 0
		.amdhsa_user_sgpr_queue_ptr 0
		.amdhsa_user_sgpr_kernarg_segment_ptr 1
		.amdhsa_user_sgpr_dispatch_id 0
		.amdhsa_user_sgpr_flat_scratch_init 0
		.amdhsa_user_sgpr_private_segment_size 0
		.amdhsa_wavefront_size32 1
		.amdhsa_uses_dynamic_stack 0
		.amdhsa_system_sgpr_private_segment_wavefront_offset 1
		.amdhsa_system_sgpr_workgroup_id_x 1
		.amdhsa_system_sgpr_workgroup_id_y 1
		.amdhsa_system_sgpr_workgroup_id_z 1
		.amdhsa_system_sgpr_workgroup_info 0
		.amdhsa_system_vgpr_workitem_id 0
		.amdhsa_next_free_vgpr 128
		.amdhsa_next_free_sgpr 52
		.amdhsa_reserve_vcc 1
		.amdhsa_reserve_flat_scratch 0
		.amdhsa_float_round_mode_32 0
		.amdhsa_float_round_mode_16_64 0
		.amdhsa_float_denorm_mode_32 3
		.amdhsa_float_denorm_mode_16_64 3
		.amdhsa_dx10_clamp 1
		.amdhsa_ieee_mode 1
		.amdhsa_fp16_overflow 0
		.amdhsa_workgroup_processor_mode 1
		.amdhsa_memory_ordered 1
		.amdhsa_forward_progress 1
		.amdhsa_shared_vgpr_count 0
		.amdhsa_exception_fp_ieee_invalid_op 0
		.amdhsa_exception_fp_denorm_src 0
		.amdhsa_exception_fp_ieee_div_zero 0
		.amdhsa_exception_fp_ieee_overflow 0
		.amdhsa_exception_fp_ieee_underflow 0
		.amdhsa_exception_fp_ieee_inexact 0
		.amdhsa_exception_int_div_zero 0
	.end_amdhsa_kernel
	.section	.text._ZN4vllm25paged_attention_v2_kernelI14__hip_bfloat16S1_Li96ELi32ELi128ELNS_18Fp8KVCacheDataTypeE0ELb1ELi512EEEvPfS3_PT_PKS4_PKT0_SA_ifPKiSC_iPKfiiiSE_SE_iiiii,"axG",@progbits,_ZN4vllm25paged_attention_v2_kernelI14__hip_bfloat16S1_Li96ELi32ELi128ELNS_18Fp8KVCacheDataTypeE0ELb1ELi512EEEvPfS3_PT_PKS4_PKT0_SA_ifPKiSC_iPKfiiiSE_SE_iiiii,comdat
.Lfunc_end174:
	.size	_ZN4vllm25paged_attention_v2_kernelI14__hip_bfloat16S1_Li96ELi32ELi128ELNS_18Fp8KVCacheDataTypeE0ELb1ELi512EEEvPfS3_PT_PKS4_PKT0_SA_ifPKiSC_iPKfiiiSE_SE_iiiii, .Lfunc_end174-_ZN4vllm25paged_attention_v2_kernelI14__hip_bfloat16S1_Li96ELi32ELi128ELNS_18Fp8KVCacheDataTypeE0ELb1ELi512EEEvPfS3_PT_PKS4_PKT0_SA_ifPKiSC_iPKfiiiSE_SE_iiiii
                                        ; -- End function
	.set _ZN4vllm25paged_attention_v2_kernelI14__hip_bfloat16S1_Li96ELi32ELi128ELNS_18Fp8KVCacheDataTypeE0ELb1ELi512EEEvPfS3_PT_PKS4_PKT0_SA_ifPKiSC_iPKfiiiSE_SE_iiiii.num_vgpr, 128
	.set _ZN4vllm25paged_attention_v2_kernelI14__hip_bfloat16S1_Li96ELi32ELi128ELNS_18Fp8KVCacheDataTypeE0ELb1ELi512EEEvPfS3_PT_PKS4_PKT0_SA_ifPKiSC_iPKfiiiSE_SE_iiiii.num_agpr, 0
	.set _ZN4vllm25paged_attention_v2_kernelI14__hip_bfloat16S1_Li96ELi32ELi128ELNS_18Fp8KVCacheDataTypeE0ELb1ELi512EEEvPfS3_PT_PKS4_PKT0_SA_ifPKiSC_iPKfiiiSE_SE_iiiii.numbered_sgpr, 52
	.set _ZN4vllm25paged_attention_v2_kernelI14__hip_bfloat16S1_Li96ELi32ELi128ELNS_18Fp8KVCacheDataTypeE0ELb1ELi512EEEvPfS3_PT_PKS4_PKT0_SA_ifPKiSC_iPKfiiiSE_SE_iiiii.num_named_barrier, 0
	.set _ZN4vllm25paged_attention_v2_kernelI14__hip_bfloat16S1_Li96ELi32ELi128ELNS_18Fp8KVCacheDataTypeE0ELb1ELi512EEEvPfS3_PT_PKS4_PKT0_SA_ifPKiSC_iPKfiiiSE_SE_iiiii.private_seg_size, 180
	.set _ZN4vllm25paged_attention_v2_kernelI14__hip_bfloat16S1_Li96ELi32ELi128ELNS_18Fp8KVCacheDataTypeE0ELb1ELi512EEEvPfS3_PT_PKS4_PKT0_SA_ifPKiSC_iPKfiiiSE_SE_iiiii.uses_vcc, 1
	.set _ZN4vllm25paged_attention_v2_kernelI14__hip_bfloat16S1_Li96ELi32ELi128ELNS_18Fp8KVCacheDataTypeE0ELb1ELi512EEEvPfS3_PT_PKS4_PKT0_SA_ifPKiSC_iPKfiiiSE_SE_iiiii.uses_flat_scratch, 0
	.set _ZN4vllm25paged_attention_v2_kernelI14__hip_bfloat16S1_Li96ELi32ELi128ELNS_18Fp8KVCacheDataTypeE0ELb1ELi512EEEvPfS3_PT_PKS4_PKT0_SA_ifPKiSC_iPKfiiiSE_SE_iiiii.has_dyn_sized_stack, 0
	.set _ZN4vllm25paged_attention_v2_kernelI14__hip_bfloat16S1_Li96ELi32ELi128ELNS_18Fp8KVCacheDataTypeE0ELb1ELi512EEEvPfS3_PT_PKS4_PKT0_SA_ifPKiSC_iPKfiiiSE_SE_iiiii.has_recursion, 0
	.set _ZN4vllm25paged_attention_v2_kernelI14__hip_bfloat16S1_Li96ELi32ELi128ELNS_18Fp8KVCacheDataTypeE0ELb1ELi512EEEvPfS3_PT_PKS4_PKT0_SA_ifPKiSC_iPKfiiiSE_SE_iiiii.has_indirect_call, 0
	.section	.AMDGPU.csdata,"",@progbits
; Kernel info:
; codeLenInByte = 16620
; TotalNumSgprs: 54
; NumVgprs: 128
; ScratchSize: 180
; MemoryBound: 0
; FloatMode: 240
; IeeeMode: 1
; LDSByteSize: 224 bytes/workgroup (compile time only)
; SGPRBlocks: 0
; VGPRBlocks: 15
; NumSGPRsForWavesPerEU: 54
; NumVGPRsForWavesPerEU: 128
; Occupancy: 8
; WaveLimiterHint : 1
; COMPUTE_PGM_RSRC2:SCRATCH_EN: 1
; COMPUTE_PGM_RSRC2:USER_SGPR: 6
; COMPUTE_PGM_RSRC2:TRAP_HANDLER: 0
; COMPUTE_PGM_RSRC2:TGID_X_EN: 1
; COMPUTE_PGM_RSRC2:TGID_Y_EN: 1
; COMPUTE_PGM_RSRC2:TGID_Z_EN: 1
; COMPUTE_PGM_RSRC2:TIDIG_COMP_CNT: 0
	.section	.text._ZN4vllm25paged_attention_v2_kernelI14__hip_bfloat16S1_Li112ELi32ELi128ELNS_18Fp8KVCacheDataTypeE0ELb1ELi512EEEvPfS3_PT_PKS4_PKT0_SA_ifPKiSC_iPKfiiiSE_SE_iiiii,"axG",@progbits,_ZN4vllm25paged_attention_v2_kernelI14__hip_bfloat16S1_Li112ELi32ELi128ELNS_18Fp8KVCacheDataTypeE0ELb1ELi512EEEvPfS3_PT_PKS4_PKT0_SA_ifPKiSC_iPKfiiiSE_SE_iiiii,comdat
	.protected	_ZN4vllm25paged_attention_v2_kernelI14__hip_bfloat16S1_Li112ELi32ELi128ELNS_18Fp8KVCacheDataTypeE0ELb1ELi512EEEvPfS3_PT_PKS4_PKT0_SA_ifPKiSC_iPKfiiiSE_SE_iiiii ; -- Begin function _ZN4vllm25paged_attention_v2_kernelI14__hip_bfloat16S1_Li112ELi32ELi128ELNS_18Fp8KVCacheDataTypeE0ELb1ELi512EEEvPfS3_PT_PKS4_PKT0_SA_ifPKiSC_iPKfiiiSE_SE_iiiii
	.globl	_ZN4vllm25paged_attention_v2_kernelI14__hip_bfloat16S1_Li112ELi32ELi128ELNS_18Fp8KVCacheDataTypeE0ELb1ELi512EEEvPfS3_PT_PKS4_PKT0_SA_ifPKiSC_iPKfiiiSE_SE_iiiii
	.p2align	8
	.type	_ZN4vllm25paged_attention_v2_kernelI14__hip_bfloat16S1_Li112ELi32ELi128ELNS_18Fp8KVCacheDataTypeE0ELb1ELi512EEEvPfS3_PT_PKS4_PKT0_SA_ifPKiSC_iPKfiiiSE_SE_iiiii,@function
_ZN4vllm25paged_attention_v2_kernelI14__hip_bfloat16S1_Li112ELi32ELi128ELNS_18Fp8KVCacheDataTypeE0ELb1ELi512EEEvPfS3_PT_PKS4_PKT0_SA_ifPKiSC_iPKfiiiSE_SE_iiiii: ; @_ZN4vllm25paged_attention_v2_kernelI14__hip_bfloat16S1_Li112ELi32ELi128ELNS_18Fp8KVCacheDataTypeE0ELb1ELi512EEEvPfS3_PT_PKS4_PKT0_SA_ifPKiSC_iPKfiiiSE_SE_iiiii
; %bb.0:
	s_mov_b64 s[50:51], s[2:3]
	s_mov_b64 s[48:49], s[0:1]
	s_load_dwordx2 s[0:1], s[4:5], 0x40
	s_add_u32 s48, s48, s9
	s_addc_u32 s49, s49, 0
	s_mov_b32 s26, s7
	s_ashr_i32 s27, s7, 31
	s_lshl_b64 s[2:3], s[26:27], 2
	s_waitcnt lgkmcnt(0)
	s_add_u32 s0, s0, s2
	s_addc_u32 s1, s1, s3
	s_lshl_b32 s37, s8, 9
	s_load_dword s27, s[0:1], 0x0
	s_waitcnt lgkmcnt(0)
	s_cmp_ge_i32 s37, s27
	s_cbranch_scc1 .LBB175_108
; %bb.1:
	s_clause 0x1
	s_load_dword s9, s[4:5], 0x90
	s_load_dwordx2 s[2:3], s[4:5], 0x30
	v_mov_b32_e32 v101, v0
	s_mov_b32 s39, 0
	s_waitcnt lgkmcnt(0)
	s_abs_i32 s10, s9
	s_abs_i32 s0, s2
	v_cvt_f32_u32_e32 v0, s0
	s_sub_i32 s7, 0, s0
	v_rcp_iflag_f32_e32 v0, v0
	v_mul_f32_e32 v0, 0x4f7ffffe, v0
	v_cvt_u32_f32_e32 v0, v0
	v_readfirstlane_b32 s1, v0
	s_mul_i32 s7, s7, s1
	s_mul_hi_u32 s7, s1, s7
	s_add_i32 s1, s1, s7
	s_xor_b32 s7, s9, s2
	s_mul_hi_u32 s1, s10, s1
	s_ashr_i32 s7, s7, 31
	s_mul_i32 s11, s1, s0
	s_sub_i32 s10, s10, s11
	s_add_i32 s11, s1, 1
	s_sub_i32 s12, s10, s0
	s_cmp_ge_u32 s10, s0
	s_cselect_b32 s1, s11, s1
	s_cselect_b32 s10, s12, s10
	s_add_i32 s11, s1, 1
	s_cmp_ge_u32 s10, s0
	s_cselect_b32 s0, s11, s1
	s_abs_i32 s21, s6
	s_xor_b32 s0, s0, s7
	s_sub_i32 s10, s0, s7
	s_load_dwordx2 s[0:1], s[4:5], 0x50
	s_abs_i32 s20, s10
	v_cvt_f32_u32_e32 v0, s20
	s_sub_i32 s11, 0, s20
	v_rcp_iflag_f32_e32 v0, v0
	v_mul_f32_e32 v0, 0x4f7ffffe, v0
	v_cvt_u32_f32_e32 v0, v0
	v_readfirstlane_b32 s7, v0
	s_mul_i32 s11, s11, s7
	s_mul_hi_u32 s11, s7, s11
	s_add_i32 s7, s7, s11
	s_waitcnt lgkmcnt(0)
	s_cmp_eq_u64 s[0:1], 0
	s_mul_hi_u32 s22, s21, s7
	s_cbranch_scc1 .LBB175_3
; %bb.2:
	s_ashr_i32 s7, s6, 31
	s_lshl_b64 s[12:13], s[6:7], 2
	s_add_u32 s0, s0, s12
	s_addc_u32 s1, s1, s13
	s_load_dword s39, s[0:1], 0x0
.LBB175_3:
	s_load_dwordx4 s[12:15], s[4:5], 0x58
	v_lshlrev_b32_e32 v10, 4, v101
	s_ashr_i32 s0, s6, 31
	s_ashr_i32 s1, s10, 31
	s_mul_i32 s10, s6, 0x70
	s_mov_b32 s7, exec_lo
	v_cmpx_gt_u32_e32 14, v101
	s_cbranch_execz .LBB175_5
; %bb.4:
	s_load_dwordx2 s[16:17], s[4:5], 0x18
	s_waitcnt lgkmcnt(0)
	s_mul_i32 s18, s12, s26
	s_ashr_i32 s19, s18, 31
	s_lshl_b64 s[18:19], s[18:19], 1
	s_add_u32 s12, s16, s18
	s_addc_u32 s15, s17, s19
	s_ashr_i32 s11, s10, 31
	s_lshl_b64 s[16:17], s[10:11], 1
	s_add_u32 s16, s12, s16
	s_addc_u32 s17, s15, s17
	global_load_dwordx4 v[0:3], v10, s[16:17]
	s_waitcnt vmcnt(0)
	ds_write_b128 v10, v[0:3]
.LBB175_5:
	s_or_b32 exec_lo, exec_lo, s7
	s_load_dwordx4 s[16:19], s[4:5], 0x78
	s_mul_i32 s7, s22, s20
	s_xor_b32 s0, s0, s1
	s_sub_i32 s1, s21, s7
	s_add_i32 s7, s22, 1
	s_sub_i32 s11, s1, s20
	s_cmp_ge_u32 s1, s20
	s_mov_b32 s21, -1
	s_cselect_b32 s7, s7, s22
	s_cselect_b32 s1, s11, s1
	s_add_i32 s11, s7, 1
	s_cmp_ge_u32 s1, s20
                                        ; implicit-def: $sgpr33
	s_cselect_b32 s1, s11, s7
	s_load_dword s7, s[4:5], 0x88
	s_xor_b32 s1, s1, s0
	s_add_i32 s20, s27, -1
	s_sub_i32 s1, s1, s0
	s_waitcnt lgkmcnt(0)
	s_abs_i32 s15, s20
	s_abs_i32 s11, s19
	s_barrier
	v_cvt_f32_u32_e32 v0, s11
	s_sub_i32 s0, 0, s11
	buffer_gl0_inv
	v_rcp_iflag_f32_e32 v0, v0
	v_mul_f32_e32 v0, 0x4f7ffffe, v0
	v_cvt_u32_f32_e32 v0, v0
	v_readfirstlane_b32 s12, v0
	s_mul_i32 s0, s0, s12
	s_mul_hi_u32 s0, s12, s0
	s_add_i32 s12, s12, s0
	s_cmp_lt_i32 s7, 0
	s_mul_hi_u32 s0, s15, s12
	s_cbranch_scc0 .LBB175_7
; %bb.6:
	s_mul_i32 s2, s16, s2
	s_mov_b32 s21, 0
	s_add_i32 s2, s1, s2
	s_mul_i32 s2, s2, s7
	s_sub_i32 s33, 1, s2
.LBB175_7:
	s_load_dwordx2 s[28:29], s[4:5], 0x38
	s_ashr_i32 s2, s20, 31
	s_andn2_b32 vcc_lo, exec_lo, s21
	s_ashr_i32 s19, s19, 31
	s_cbranch_vccnz .LBB175_9
; %bb.8:
	s_mul_i32 s16, s9, s16
	s_add_i32 s16, s16, s6
	s_mul_i32 s7, s16, s7
	s_add_i32 s33, s7, 1
.LBB175_9:
	s_clause 0x4
	s_load_dword s16, s[4:5], 0x48
	s_load_dwordx2 s[34:35], s[4:5], 0x28
	s_load_dword s7, s[4:5], 0x98
	s_load_dwordx4 s[20:23], s[4:5], 0x0
	s_load_dwordx2 s[24:25], s[4:5], 0x10
	s_mul_i32 s30, s0, s11
	s_xor_b32 s2, s2, s19
	s_sub_i32 s15, s15, s30
	s_add_i32 s36, s0, 1
	v_lshrrev_b32_e32 v102, 5, v101
	v_and_b32_e32 v0, 31, v101
	v_mov_b32_e32 v79, 0xff7fffff
	s_mul_i32 s14, s1, s14
	v_lshl_add_u32 v70, v102, 5, s37
	v_lshlrev_b32_e32 v11, 2, v0
	buffer_store_dword v0, off, s[48:51], 0 ; 4-byte Folded Spill
	s_waitcnt lgkmcnt(0)
	s_mul_i32 s30, s16, s26
	s_sub_i32 s16, s15, s11
	s_ashr_i32 s31, s30, 31
	s_cmp_ge_u32 s15, s11
	s_cselect_b32 s0, s36, s0
	s_cselect_b32 s15, s16, s15
	s_add_i32 s16, s0, 1
	s_cmp_ge_u32 s15, s11
	s_cselect_b32 s0, s16, s0
	s_add_i32 s15, s27, 31
	s_lshl_b32 s40, s8, 4
	s_ashr_i32 s16, s15, 31
	v_add_nc_u32_e32 v65, s40, v102
	s_lshr_b32 s16, s16, 27
	s_add_i32 s15, s15, s16
	s_add_i32 s16, s40, 16
	s_ashr_i32 s36, s15, 5
	s_xor_b32 s15, s0, s2
	s_min_i32 s16, s16, s36
	v_ashrrev_i32_e32 v66, 31, v65
	v_cmp_gt_i32_e64 s0, s16, v65
	s_sub_i32 s38, s15, s2
	s_and_saveexec_b32 s41, s0
	s_cbranch_execz .LBB175_17
; %bb.10:
	v_mov_b32_e32 v1, 0
	buffer_store_dword v10, off, s[48:51], 0 offset:264 ; 4-byte Folded Spill
	buffer_store_dword v101, off, s[48:51], 0 offset:256 ; 4-byte Folded Spill
	s_load_dwordx2 s[42:43], s[4:5], 0x20
	s_ashr_i32 s15, s14, 31
	s_sub_i32 s4, s38, s17
	ds_read_b128 v[2:5], v1
	ds_read_b128 v[6:9], v1 offset:16
	s_lshl_b64 s[44:45], s[14:15], 1
	v_lshl_add_u32 v85, v102, 5, s37
	v_mov_b32_e32 v79, 0xff7fffff
	v_mov_b32_e32 v86, v65
	s_waitcnt lgkmcnt(0)
	s_add_u32 s1, s42, s44
	s_addc_u32 s2, s43, s45
	v_and_b32_e32 v0, 0xffff0000, v2
	s_abs_i32 s5, s18
	s_lshl_b64 s[42:43], s[30:31], 2
	s_sub_i32 s15, 0, s5
	s_add_u32 s42, s28, s42
	buffer_store_dword v0, off, s[48:51], 0 offset:4 ; 4-byte Folded Spill
	v_lshlrev_b32_e32 v0, 16, v2
	s_addc_u32 s43, s29, s43
	buffer_store_dword v0, off, s[48:51], 0 offset:8 ; 4-byte Folded Spill
	v_and_b32_e32 v0, 0xffff0000, v3
	buffer_store_dword v0, off, s[48:51], 0 offset:12 ; 4-byte Folded Spill
	v_lshlrev_b32_e32 v0, 16, v3
	buffer_store_dword v0, off, s[48:51], 0 offset:16 ; 4-byte Folded Spill
	v_and_b32_e32 v0, 0xffff0000, v4
	buffer_store_dword v0, off, s[48:51], 0 offset:20 ; 4-byte Folded Spill
	v_lshlrev_b32_e32 v0, 16, v4
	;; [unrolled: 4-line block ×7, first 2 shown]
	buffer_store_dword v0, off, s[48:51], 0 offset:64 ; 4-byte Folded Spill
	ds_read_b128 v[2:5], v1 offset:32
	ds_read_b128 v[6:9], v1 offset:48
	s_waitcnt lgkmcnt(1)
	v_and_b32_e32 v0, 0xffff0000, v2
	buffer_store_dword v0, off, s[48:51], 0 offset:68 ; 4-byte Folded Spill
	v_lshlrev_b32_e32 v0, 16, v2
	buffer_store_dword v0, off, s[48:51], 0 offset:72 ; 4-byte Folded Spill
	v_and_b32_e32 v0, 0xffff0000, v3
	buffer_store_dword v0, off, s[48:51], 0 offset:76 ; 4-byte Folded Spill
	v_lshlrev_b32_e32 v0, 16, v3
	buffer_store_dword v0, off, s[48:51], 0 offset:80 ; 4-byte Folded Spill
	;; [unrolled: 4-line block ×4, first 2 shown]
	s_waitcnt lgkmcnt(0)
	v_and_b32_e32 v0, 0xffff0000, v6
	buffer_store_dword v0, off, s[48:51], 0 offset:100 ; 4-byte Folded Spill
	v_lshlrev_b32_e32 v0, 16, v6
	buffer_store_dword v0, off, s[48:51], 0 offset:104 ; 4-byte Folded Spill
	v_and_b32_e32 v0, 0xffff0000, v7
	buffer_store_dword v0, off, s[48:51], 0 offset:108 ; 4-byte Folded Spill
	v_lshlrev_b32_e32 v0, 16, v7
	buffer_store_dword v0, off, s[48:51], 0 offset:112 ; 4-byte Folded Spill
	;; [unrolled: 4-line block ×4, first 2 shown]
	ds_read_b128 v[2:5], v1 offset:64
	ds_read_b128 v[6:9], v1 offset:80
	s_waitcnt lgkmcnt(1)
	v_and_b32_e32 v0, 0xffff0000, v2
	buffer_store_dword v0, off, s[48:51], 0 offset:132 ; 4-byte Folded Spill
	v_lshlrev_b32_e32 v0, 16, v2
	buffer_store_dword v0, off, s[48:51], 0 offset:136 ; 4-byte Folded Spill
	v_and_b32_e32 v0, 0xffff0000, v3
	buffer_store_dword v0, off, s[48:51], 0 offset:140 ; 4-byte Folded Spill
	v_lshlrev_b32_e32 v0, 16, v3
	buffer_store_dword v0, off, s[48:51], 0 offset:144 ; 4-byte Folded Spill
	;; [unrolled: 4-line block ×4, first 2 shown]
	s_waitcnt lgkmcnt(0)
	v_and_b32_e32 v0, 0xffff0000, v6
	buffer_store_dword v0, off, s[48:51], 0 offset:164 ; 4-byte Folded Spill
	v_lshlrev_b32_e32 v0, 16, v6
	buffer_store_dword v0, off, s[48:51], 0 offset:168 ; 4-byte Folded Spill
	v_and_b32_e32 v0, 0xffff0000, v7
	buffer_store_dword v0, off, s[48:51], 0 offset:172 ; 4-byte Folded Spill
	v_lshlrev_b32_e32 v0, 16, v7
	buffer_store_dword v0, off, s[48:51], 0 offset:176 ; 4-byte Folded Spill
	;; [unrolled: 4-line block ×4, first 2 shown]
	ds_read_b128 v[2:5], v1 offset:96
	ds_read_b128 v[6:9], v1 offset:112
	s_waitcnt lgkmcnt(1)
	v_and_b32_e32 v0, 0xffff0000, v2
	s_waitcnt lgkmcnt(0)
	v_lshlrev_b32_e32 v113, 16, v9
	buffer_store_dword v0, off, s[48:51], 0 offset:196 ; 4-byte Folded Spill
	v_lshlrev_b32_e32 v0, 16, v2
	buffer_store_dword v0, off, s[48:51], 0 offset:200 ; 4-byte Folded Spill
	v_and_b32_e32 v0, 0xffff0000, v3
	buffer_store_dword v0, off, s[48:51], 0 offset:204 ; 4-byte Folded Spill
	v_lshlrev_b32_e32 v0, 16, v3
	buffer_store_dword v0, off, s[48:51], 0 offset:208 ; 4-byte Folded Spill
	v_and_b32_e32 v0, 0xffff0000, v4
	;; [unrolled: 4-line block ×7, first 2 shown]
	buffer_store_dword v0, off, s[48:51], 0 offset:252 ; 4-byte Folded Spill
	ds_read_b128 v[2:5], v1 offset:128
	ds_read_b128 v[6:9], v1 offset:144
	s_waitcnt lgkmcnt(1)
	v_and_b32_e32 v114, 0xffff0000, v2
	v_lshlrev_b32_e32 v115, 16, v2
	v_and_b32_e32 v116, 0xffff0000, v3
	v_lshlrev_b32_e32 v117, 16, v3
	;; [unrolled: 2-line block ×4, first 2 shown]
	s_waitcnt lgkmcnt(0)
	v_and_b32_e32 v122, 0xffff0000, v6
	v_lshlrev_b32_e32 v123, 16, v6
	v_and_b32_e32 v124, 0xffff0000, v7
	v_lshlrev_b32_e32 v125, 16, v7
	;; [unrolled: 2-line block ×4, first 2 shown]
	ds_read_b128 v[2:5], v1 offset:160
	ds_read_b128 v[6:9], v1 offset:176
	s_waitcnt lgkmcnt(1)
	v_and_b32_e32 v68, 0xffff0000, v2
	v_lshlrev_b32_e32 v69, 16, v2
	v_and_b32_e32 v45, 0xffff0000, v3
	v_lshlrev_b32_e32 v0, 16, v3
	;; [unrolled: 2-line block ×4, first 2 shown]
	s_waitcnt lgkmcnt(0)
	v_and_b32_e32 v50, 0xffff0000, v6
	v_lshlrev_b32_e32 v51, 16, v6
	v_and_b32_e32 v52, 0xffff0000, v7
	v_lshlrev_b32_e32 v53, 16, v7
	;; [unrolled: 2-line block ×4, first 2 shown]
	ds_read_b128 v[2:5], v1 offset:192
	ds_read_b128 v[6:9], v1 offset:208
	buffer_store_dword v11, off, s[48:51], 0 offset:268 ; 4-byte Folded Spill
	buffer_store_dword v102, off, s[48:51], 0 offset:260 ; 4-byte Folded Spill
	s_waitcnt lgkmcnt(1)
	v_and_b32_e32 v58, 0xffff0000, v2
	v_lshlrev_b32_e32 v59, 16, v2
	v_lshlrev_b64 v[1:2], 2, v[65:66]
	v_and_b32_e32 v60, 0xffff0000, v3
	v_lshlrev_b32_e32 v61, 16, v3
	v_and_b32_e32 v62, 0xffff0000, v4
	v_lshlrev_b32_e32 v63, 16, v4
	v_and_b32_e32 v64, 0xffff0000, v5
	v_add_co_u32 v41, vcc_lo, s42, v1
	v_cvt_f32_u32_e32 v1, s5
	v_add_co_ci_u32_e64 v42, null, s43, v2, vcc_lo
	v_lshlrev_b32_e32 v67, 16, v5
	s_waitcnt lgkmcnt(0)
	v_and_b32_e32 v71, 0xffff0000, v6
	v_rcp_iflag_f32_e32 v1, v1
	v_lshlrev_b32_e32 v72, 16, v6
	v_and_b32_e32 v73, 0xffff0000, v7
	v_lshlrev_b32_e32 v74, 16, v7
	v_and_b32_e32 v75, 0xffff0000, v8
	v_lshlrev_b32_e32 v76, 16, v8
	v_and_b32_e32 v77, 0xffff0000, v9
	v_lshlrev_b32_e32 v78, 16, v9
	v_cmp_neq_f32_e64 vcc_lo, s39, 0
	s_mov_b32 s42, s13
	v_mul_f32_e32 v1, 0x4f7ffffe, v1
	v_cvt_u32_f32_e32 v1, v1
	v_mul_lo_u32 v2, s15, v1
	s_mov_b32 s15, 0
	v_mul_hi_u32 v2, v1, v2
	v_add_nc_u32_e32 v80, v1, v2
	buffer_load_dword v2, off, s[48:51], 0  ; 4-byte Folded Reload
	s_waitcnt vmcnt(0)
	v_subrev_nc_u32_e32 v1, s27, v2
	v_add_nc_u32_e32 v81, 1, v1
	v_lshl_or_b32 v1, v102, 7, v11
	v_add_nc_u32_e32 v82, 0x100, v1
	v_lshlrev_b32_e32 v1, 4, v2
	v_add_co_u32 v83, s1, s1, v1
	v_add_co_ci_u32_e64 v84, null, s2, 0, s1
	s_branch .LBB175_12
.LBB175_11:                             ;   in Loop: Header=BB175_12 Depth=1
	s_or_b32 exec_lo, exec_lo, s43
	v_add_nc_u32_e32 v86, 4, v86
	v_add_co_u32 v41, s1, v41, 16
	v_add_co_ci_u32_e64 v42, null, 0, v42, s1
	v_cmp_le_i32_e64 s1, s16, v86
	v_add_nc_u32_e32 v85, 0x80, v85
	v_add_nc_u32_e32 v82, 0x200, v82
	s_or_b32 s15, s1, s15
	s_andn2_b32 exec_lo, exec_lo, s15
	s_cbranch_execz .LBB175_16
.LBB175_12:                             ; =>This Inner Loop Header: Depth=1
	v_sub_nc_u32_e32 v1, 0, v85
	v_max_i32_e32 v1, v85, v1
	v_mul_hi_u32 v2, v1, s12
	v_mul_lo_u32 v3, v2, s11
	v_sub_nc_u32_e32 v1, v1, v3
	v_add_nc_u32_e32 v3, 1, v2
	v_subrev_nc_u32_e32 v4, s11, v1
	v_cmp_le_u32_e64 s1, s11, v1
	v_cndmask_b32_e64 v2, v2, v3, s1
	v_cndmask_b32_e64 v1, v1, v4, s1
	v_ashrrev_i32_e32 v3, 31, v85
	v_add_nc_u32_e32 v4, 1, v2
	v_cmp_le_u32_e64 s1, s11, v1
	v_xor_b32_e32 v3, s19, v3
	v_cndmask_b32_e64 v1, v2, v4, s1
	v_xor_b32_e32 v1, v1, v3
	v_sub_nc_u32_e32 v1, v1, v3
	v_add_nc_u32_e32 v2, s33, v1
	v_cmp_ge_i32_e64 s2, s4, v1
	v_sub_nc_u32_e32 v3, 0, v2
	v_max_i32_e32 v3, v2, v3
	v_ashrrev_i32_e32 v2, 31, v2
	v_mul_hi_u32 v4, v3, v80
	v_mul_lo_u32 v4, v4, s5
	v_sub_nc_u32_e32 v3, v3, v4
	v_subrev_nc_u32_e32 v4, s5, v3
	v_cmp_le_u32_e64 s1, s5, v3
	v_cndmask_b32_e64 v3, v3, v4, s1
	v_subrev_nc_u32_e32 v4, s5, v3
	v_cmp_le_u32_e64 s1, s5, v3
	v_cndmask_b32_e64 v3, v3, v4, s1
	v_xor_b32_e32 v3, v3, v2
	v_sub_nc_u32_e32 v2, v3, v2
	v_cmp_ne_u32_e64 s1, 0, v2
	s_and_b32 s1, s1, s2
	s_and_saveexec_b32 s2, s1
	s_xor_b32 s1, exec_lo, s2
; %bb.13:                               ;   in Loop: Header=BB175_12 Depth=1
	v_mov_b32_e32 v1, 0xff7fffff
	ds_write_b32 v82, v1
; %bb.14:                               ;   in Loop: Header=BB175_12 Depth=1
	s_andn2_saveexec_b32 s43, s1
	s_cbranch_execz .LBB175_11
; %bb.15:                               ;   in Loop: Header=BB175_12 Depth=1
	global_load_dword v1, v[41:42], off
	buffer_load_dword v2, off, s[48:51], 0  ; 4-byte Folded Reload
	v_add_nc_u32_e32 v4, v81, v85
	v_cvt_f32_i32_e32 v4, v4
	v_mul_f32_e32 v4, s39, v4
	v_cndmask_b32_e32 v87, 0, v4, vcc_lo
	s_waitcnt vmcnt(0)
	v_add_nc_u32_e32 v3, v2, v85
	v_mad_i64_i32 v[1:2], null, v1, s42, 0
	v_lshlrev_b64 v[1:2], 1, v[1:2]
	v_add_co_u32 v1, s1, v83, v1
	v_add_co_ci_u32_e64 v2, null, v84, v2, s1
	v_cmp_gt_i32_e64 s1, s27, v3
	s_clause 0x1
	global_load_dwordx4 v[3:6], v[1:2], off
	global_load_dwordx4 v[7:10], v[1:2], off offset:512
	buffer_load_dword v13, off, s[48:51], 0 offset:40 ; 4-byte Folded Reload
	s_waitcnt vmcnt(2)
	v_lshlrev_b32_e32 v11, 16, v3
	s_waitcnt vmcnt(1)
	v_and_b32_e32 v12, 0xffff0000, v7
	v_lshlrev_b32_e32 v7, 16, v7
	v_and_b32_e32 v3, 0xffff0000, v3
	s_waitcnt vmcnt(0)
	v_mul_f32_e32 v88, v13, v7
	buffer_load_dword v7, off, s[48:51], 0 offset:36 ; 4-byte Folded Reload
	s_waitcnt vmcnt(0)
	v_mul_f32_e32 v89, v7, v12
	buffer_load_dword v7, off, s[48:51], 0 offset:4 ; 4-byte Folded Reload
	s_waitcnt vmcnt(0)
	v_fmac_f32_e32 v89, v7, v3
	buffer_load_dword v3, off, s[48:51], 0 offset:8 ; 4-byte Folded Reload
	v_and_b32_e32 v7, 0xffff0000, v8
	v_lshlrev_b32_e32 v8, 16, v8
	s_waitcnt vmcnt(0)
	v_fmac_f32_e32 v88, v3, v11
	buffer_load_dword v11, off, s[48:51], 0 offset:48 ; 4-byte Folded Reload
	v_lshlrev_b32_e32 v3, 16, v4
	v_and_b32_e32 v4, 0xffff0000, v4
	s_waitcnt vmcnt(0)
	v_mul_f32_e32 v92, v11, v8
	buffer_load_dword v8, off, s[48:51], 0 offset:44 ; 4-byte Folded Reload
	s_waitcnt vmcnt(0)
	v_mul_f32_e32 v90, v8, v7
	s_clause 0x1
	buffer_load_dword v7, off, s[48:51], 0 offset:12
	buffer_load_dword v8, off, s[48:51], 0 offset:56
	s_waitcnt vmcnt(1)
	v_fmac_f32_e32 v90, v7, v4
	buffer_load_dword v4, off, s[48:51], 0 offset:16 ; 4-byte Folded Reload
	v_lshlrev_b32_e32 v7, 16, v9
	s_waitcnt vmcnt(1)
	v_mul_f32_e32 v93, v8, v7
	buffer_load_dword v7, off, s[48:51], 0 offset:52 ; 4-byte Folded Reload
	s_waitcnt vmcnt(1)
	v_fmac_f32_e32 v92, v4, v3
	v_lshlrev_b32_e32 v3, 16, v5
	v_and_b32_e32 v4, 0xffff0000, v5
	v_and_b32_e32 v5, 0xffff0000, v9
	s_waitcnt vmcnt(0)
	v_mul_f32_e32 v91, v7, v5
	s_clause 0x1
	buffer_load_dword v5, off, s[48:51], 0 offset:20
	buffer_load_dword v7, off, s[48:51], 0 offset:64
	s_waitcnt vmcnt(1)
	v_fmac_f32_e32 v91, v5, v4
	buffer_load_dword v4, off, s[48:51], 0 offset:24 ; 4-byte Folded Reload
	v_and_b32_e32 v5, 0xffff0000, v10
	s_waitcnt vmcnt(0)
	v_fmac_f32_e32 v93, v4, v3
	v_lshlrev_b32_e32 v3, 16, v6
	v_and_b32_e32 v4, 0xffff0000, v6
	v_lshlrev_b32_e32 v6, 16, v10
	v_mul_f32_e32 v95, v7, v6
	buffer_load_dword v6, off, s[48:51], 0 offset:60 ; 4-byte Folded Reload
	s_waitcnt vmcnt(0)
	v_mul_f32_e32 v94, v6, v5
	buffer_load_dword v5, off, s[48:51], 0 offset:28 ; 4-byte Folded Reload
	s_waitcnt vmcnt(0)
	v_fmac_f32_e32 v94, v5, v4
	buffer_load_dword v4, off, s[48:51], 0 offset:32 ; 4-byte Folded Reload
	s_waitcnt vmcnt(0)
	v_fmac_f32_e32 v95, v4, v3
	global_load_dwordx4 v[3:6], v[1:2], off offset:1024
	s_waitcnt vmcnt(0)
	v_and_b32_e32 v104, 0xffff0000, v3
	v_lshlrev_b32_e32 v105, 16, v3
	v_and_b32_e32 v106, 0xffff0000, v4
	v_lshlrev_b32_e32 v107, 16, v4
	;; [unrolled: 2-line block ×4, first 2 shown]
	global_load_dwordx4 v[3:6], v[1:2], off offset:1536
	s_waitcnt vmcnt(0)
	v_lshlrev_b32_e32 v108, 16, v3
	v_and_b32_e32 v109, 0xffff0000, v3
	v_add_co_u32 v3, s2, 0x800, v1
	v_lshlrev_b32_e32 v110, 16, v4
	v_and_b32_e32 v111, 0xffff0000, v4
	v_lshlrev_b32_e32 v102, 16, v5
	v_and_b32_e32 v103, 0xffff0000, v5
	v_add_co_ci_u32_e64 v4, null, 0, v2, s2
	v_add_co_u32 v5, s2, v1, 0x1000
	v_lshlrev_b32_e32 v98, 16, v6
	v_and_b32_e32 v99, 0xffff0000, v6
	v_add_co_ci_u32_e64 v6, null, 0, v2, s2
	s_clause 0x3
	global_load_dwordx4 v[37:40], v[5:6], off offset:-2048
	global_load_dwordx4 v[33:36], v[3:4], off offset:512
	global_load_dwordx4 v[29:32], v[3:4], off offset:1024
	;; [unrolled: 1-line block ×3, first 2 shown]
	v_add_co_u32 v3, s2, 0x1000, v1
	v_add_co_ci_u32_e64 v4, null, 0, v2, s2
	v_add_co_u32 v1, s2, 0x1800, v1
	v_add_co_ci_u32_e64 v2, null, 0, v2, s2
	s_clause 0x5
	global_load_dwordx4 v[21:24], v[5:6], off
	global_load_dwordx4 v[17:20], v[3:4], off offset:512
	global_load_dwordx4 v[13:16], v[3:4], off offset:1024
	;; [unrolled: 1-line block ×3, first 2 shown]
	global_load_dwordx4 v[5:8], v[1:2], off
	global_load_dwordx4 v[1:4], v[1:2], off offset:512
	buffer_load_dword v112, off, s[48:51], 0 offset:72 ; 4-byte Folded Reload
	s_waitcnt vmcnt(0)
	v_fmac_f32_e32 v88, v112, v105
	buffer_load_dword v105, off, s[48:51], 0 offset:68 ; 4-byte Folded Reload
	s_waitcnt vmcnt(0)
	v_fmac_f32_e32 v89, v105, v104
	s_clause 0x1
	buffer_load_dword v104, off, s[48:51], 0 offset:100
	buffer_load_dword v105, off, s[48:51], 0 offset:136
	s_waitcnt vmcnt(1)
	v_fmac_f32_e32 v89, v104, v109
	buffer_load_dword v104, off, s[48:51], 0 offset:104 ; 4-byte Folded Reload
	s_waitcnt vmcnt(0)
	v_fmac_f32_e32 v88, v104, v108
	v_and_b32_e32 v104, 0xffff0000, v37
	v_lshlrev_b32_e32 v37, 16, v37
	v_fmac_f32_e32 v88, v105, v37
	buffer_load_dword v37, off, s[48:51], 0 offset:132 ; 4-byte Folded Reload
	s_waitcnt vmcnt(0)
	v_fmac_f32_e32 v89, v37, v104
	buffer_load_dword v104, off, s[48:51], 0 offset:164 ; 4-byte Folded Reload
	v_lshlrev_b32_e32 v37, 16, v33
	v_and_b32_e32 v33, 0xffff0000, v33
	s_waitcnt vmcnt(0)
	v_fmac_f32_e32 v89, v104, v33
	buffer_load_dword v33, off, s[48:51], 0 offset:168 ; 4-byte Folded Reload
	s_waitcnt vmcnt(0)
	v_fmac_f32_e32 v88, v33, v37
	buffer_load_dword v37, off, s[48:51], 0 offset:200 ; 4-byte Folded Reload
	v_and_b32_e32 v33, 0xffff0000, v29
	v_lshlrev_b32_e32 v29, 16, v29
	s_waitcnt vmcnt(0)
	v_fmac_f32_e32 v88, v37, v29
	buffer_load_dword v29, off, s[48:51], 0 offset:196 ; 4-byte Folded Reload
	s_waitcnt vmcnt(0)
	v_fmac_f32_e32 v89, v29, v33
	buffer_load_dword v33, off, s[48:51], 0 offset:228 ; 4-byte Folded Reload
	v_lshlrev_b32_e32 v29, 16, v25
	v_and_b32_e32 v25, 0xffff0000, v25
	s_waitcnt vmcnt(0)
	v_fmac_f32_e32 v89, v33, v25
	buffer_load_dword v25, off, s[48:51], 0 offset:232 ; 4-byte Folded Reload
	s_waitcnt vmcnt(0)
	v_fmac_f32_e32 v88, v25, v29
	v_and_b32_e32 v25, 0xffff0000, v21
	v_lshlrev_b32_e32 v21, 16, v21
	v_fmac_f32_e32 v89, v114, v25
	v_fmac_f32_e32 v88, v115, v21
	v_lshlrev_b32_e32 v21, 16, v17
	v_and_b32_e32 v17, 0xffff0000, v17
	v_fmac_f32_e32 v88, v123, v21
	v_fmac_f32_e32 v89, v122, v17
	v_and_b32_e32 v17, 0xffff0000, v13
	v_lshlrev_b32_e32 v13, 16, v13
	v_fmac_f32_e32 v89, v68, v17
	v_fmac_f32_e32 v88, v69, v13
	v_lshlrev_b32_e32 v13, 16, v9
	v_and_b32_e32 v9, 0xffff0000, v9
	v_fmac_f32_e32 v88, v51, v13
	v_fmac_f32_e32 v89, v50, v9
	v_and_b32_e32 v9, 0xffff0000, v5
	v_lshlrev_b32_e32 v5, 16, v5
	v_fmac_f32_e32 v89, v58, v9
	v_fmac_f32_e32 v88, v59, v5
	v_lshlrev_b32_e32 v5, 16, v1
	v_and_b32_e32 v1, 0xffff0000, v1
	buffer_load_dword v9, off, s[48:51], 0 offset:144 ; 4-byte Folded Reload
	v_fmac_f32_e32 v88, v72, v5
	v_fmac_f32_e32 v89, v71, v1
	buffer_load_dword v1, off, s[48:51], 0 offset:80 ; 4-byte Folded Reload
	v_lshlrev_b32_e32 v5, 16, v38
	s_waitcnt vmcnt(0)
	v_fmac_f32_e32 v92, v1, v107
	buffer_load_dword v1, off, s[48:51], 0 offset:76 ; 4-byte Folded Reload
	s_waitcnt vmcnt(0)
	v_fmac_f32_e32 v90, v1, v106
	buffer_load_dword v1, off, s[48:51], 0 offset:108 ; 4-byte Folded Reload
	;; [unrolled: 3-line block ×3, first 2 shown]
	s_waitcnt vmcnt(0)
	v_fmac_f32_e32 v92, v1, v110
	v_and_b32_e32 v1, 0xffff0000, v38
	v_fmac_f32_e32 v92, v9, v5
	s_clause 0x1
	buffer_load_dword v5, off, s[48:51], 0 offset:140
	buffer_load_dword v9, off, s[48:51], 0 offset:172
	s_waitcnt vmcnt(1)
	v_fmac_f32_e32 v90, v5, v1
	v_and_b32_e32 v5, 0xffff0000, v34
	v_lshlrev_b32_e32 v1, 16, v34
	s_waitcnt vmcnt(0)
	v_fmac_f32_e32 v90, v9, v5
	s_clause 0x1
	buffer_load_dword v5, off, s[48:51], 0 offset:176
	buffer_load_dword v9, off, s[48:51], 0 offset:208
	s_waitcnt vmcnt(1)
	v_fmac_f32_e32 v92, v5, v1
	v_lshlrev_b32_e32 v5, 16, v30
	v_and_b32_e32 v1, 0xffff0000, v30
	s_waitcnt vmcnt(0)
	v_fmac_f32_e32 v92, v9, v5
	s_clause 0x1
	buffer_load_dword v5, off, s[48:51], 0 offset:204
	buffer_load_dword v9, off, s[48:51], 0 offset:236
	s_waitcnt vmcnt(1)
	v_fmac_f32_e32 v90, v5, v1
	v_and_b32_e32 v5, 0xffff0000, v26
	v_lshlrev_b32_e32 v1, 16, v26
	s_waitcnt vmcnt(0)
	v_fmac_f32_e32 v90, v9, v5
	buffer_load_dword v5, off, s[48:51], 0 offset:240 ; 4-byte Folded Reload
	s_waitcnt vmcnt(0)
	v_fmac_f32_e32 v92, v5, v1
	v_and_b32_e32 v1, 0xffff0000, v22
	v_lshlrev_b32_e32 v5, 16, v22
	v_fmac_f32_e32 v90, v116, v1
	v_fmac_f32_e32 v92, v117, v5
	v_lshlrev_b32_e32 v1, 16, v18
	v_and_b32_e32 v5, 0xffff0000, v18
	v_fmac_f32_e32 v92, v125, v1
	v_fmac_f32_e32 v90, v124, v5
	v_and_b32_e32 v1, 0xffff0000, v14
	v_lshlrev_b32_e32 v5, 16, v14
	v_fmac_f32_e32 v90, v45, v1
	v_fmac_f32_e32 v92, v0, v5
	v_lshlrev_b32_e32 v1, 16, v10
	v_and_b32_e32 v5, 0xffff0000, v10
	v_fmac_f32_e32 v92, v53, v1
	v_fmac_f32_e32 v90, v52, v5
	v_and_b32_e32 v1, 0xffff0000, v6
	v_lshlrev_b32_e32 v5, 16, v6
	v_fmac_f32_e32 v90, v60, v1
	v_fmac_f32_e32 v92, v61, v5
	v_lshlrev_b32_e32 v1, 16, v2
	v_and_b32_e32 v2, 0xffff0000, v2
	buffer_load_dword v5, off, s[48:51], 0 offset:152 ; 4-byte Folded Reload
	v_fmac_f32_e32 v92, v74, v1
	buffer_load_dword v1, off, s[48:51], 0 offset:88 ; 4-byte Folded Reload
	v_fmac_f32_e32 v90, v73, v2
	v_lshlrev_b32_e32 v2, 16, v39
	s_waitcnt vmcnt(0)
	v_fmac_f32_e32 v93, v1, v101
	buffer_load_dword v1, off, s[48:51], 0 offset:84 ; 4-byte Folded Reload
	s_waitcnt vmcnt(0)
	v_fmac_f32_e32 v91, v1, v100
	buffer_load_dword v1, off, s[48:51], 0 offset:116 ; 4-byte Folded Reload
	;; [unrolled: 3-line block ×3, first 2 shown]
	s_waitcnt vmcnt(0)
	v_fmac_f32_e32 v93, v1, v102
	v_and_b32_e32 v1, 0xffff0000, v39
	v_fmac_f32_e32 v93, v5, v2
	s_clause 0x1
	buffer_load_dword v2, off, s[48:51], 0 offset:148
	buffer_load_dword v5, off, s[48:51], 0 offset:180
	s_waitcnt vmcnt(1)
	v_fmac_f32_e32 v91, v2, v1
	v_and_b32_e32 v2, 0xffff0000, v35
	v_lshlrev_b32_e32 v1, 16, v35
	s_waitcnt vmcnt(0)
	v_fmac_f32_e32 v91, v5, v2
	s_clause 0x1
	buffer_load_dword v2, off, s[48:51], 0 offset:184
	buffer_load_dword v5, off, s[48:51], 0 offset:216
	s_waitcnt vmcnt(1)
	v_fmac_f32_e32 v93, v2, v1
	v_lshlrev_b32_e32 v2, 16, v31
	v_and_b32_e32 v1, 0xffff0000, v31
	s_waitcnt vmcnt(0)
	v_fmac_f32_e32 v93, v5, v2
	s_clause 0x1
	buffer_load_dword v2, off, s[48:51], 0 offset:212
	buffer_load_dword v5, off, s[48:51], 0 offset:244
	s_waitcnt vmcnt(1)
	v_fmac_f32_e32 v91, v2, v1
	v_and_b32_e32 v2, 0xffff0000, v27
	v_lshlrev_b32_e32 v1, 16, v27
	s_waitcnt vmcnt(0)
	v_fmac_f32_e32 v91, v5, v2
	buffer_load_dword v2, off, s[48:51], 0 offset:248 ; 4-byte Folded Reload
	s_waitcnt vmcnt(0)
	v_fmac_f32_e32 v93, v2, v1
	v_and_b32_e32 v1, 0xffff0000, v23
	v_lshlrev_b32_e32 v2, 16, v23
	v_fmac_f32_e32 v91, v118, v1
	v_fmac_f32_e32 v93, v119, v2
	v_lshlrev_b32_e32 v1, 16, v19
	v_and_b32_e32 v2, 0xffff0000, v19
	v_fmac_f32_e32 v93, v127, v1
	v_fmac_f32_e32 v91, v126, v2
	v_and_b32_e32 v1, 0xffff0000, v15
	v_lshlrev_b32_e32 v2, 16, v15
	v_fmac_f32_e32 v91, v46, v1
	v_fmac_f32_e32 v93, v47, v2
	v_lshlrev_b32_e32 v1, 16, v11
	v_and_b32_e32 v2, 0xffff0000, v11
	v_fmac_f32_e32 v93, v55, v1
	v_fmac_f32_e32 v91, v54, v2
	v_and_b32_e32 v1, 0xffff0000, v7
	v_lshlrev_b32_e32 v2, 16, v7
	v_fmac_f32_e32 v91, v62, v1
	v_fmac_f32_e32 v93, v63, v2
	v_lshlrev_b32_e32 v1, 16, v3
	v_and_b32_e32 v2, 0xffff0000, v3
	buffer_load_dword v3, off, s[48:51], 0 offset:160 ; 4-byte Folded Reload
	v_fmac_f32_e32 v93, v76, v1
	buffer_load_dword v1, off, s[48:51], 0 offset:96 ; 4-byte Folded Reload
	v_fmac_f32_e32 v91, v75, v2
	v_lshlrev_b32_e32 v2, 16, v40
	s_waitcnt vmcnt(0)
	v_fmac_f32_e32 v95, v1, v97
	buffer_load_dword v1, off, s[48:51], 0 offset:92 ; 4-byte Folded Reload
	s_waitcnt vmcnt(0)
	v_fmac_f32_e32 v94, v1, v96
	buffer_load_dword v1, off, s[48:51], 0 offset:124 ; 4-byte Folded Reload
	;; [unrolled: 3-line block ×3, first 2 shown]
	s_waitcnt vmcnt(0)
	v_fmac_f32_e32 v95, v1, v98
	v_and_b32_e32 v1, 0xffff0000, v40
	v_fmac_f32_e32 v95, v3, v2
	s_clause 0x1
	buffer_load_dword v2, off, s[48:51], 0 offset:156
	buffer_load_dword v3, off, s[48:51], 0 offset:188
	s_waitcnt vmcnt(1)
	v_fmac_f32_e32 v94, v2, v1
	v_and_b32_e32 v2, 0xffff0000, v36
	v_lshlrev_b32_e32 v1, 16, v36
	s_waitcnt vmcnt(0)
	v_fmac_f32_e32 v94, v3, v2
	s_clause 0x1
	buffer_load_dword v2, off, s[48:51], 0 offset:192
	buffer_load_dword v3, off, s[48:51], 0 offset:224
	s_waitcnt vmcnt(1)
	v_fmac_f32_e32 v95, v2, v1
	v_lshlrev_b32_e32 v2, 16, v32
	v_and_b32_e32 v1, 0xffff0000, v32
	s_waitcnt vmcnt(0)
	v_fmac_f32_e32 v95, v3, v2
	s_clause 0x1
	buffer_load_dword v2, off, s[48:51], 0 offset:220
	buffer_load_dword v3, off, s[48:51], 0 offset:252
	s_waitcnt vmcnt(1)
	v_fmac_f32_e32 v94, v2, v1
	v_lshlrev_b32_e32 v1, 16, v28
	v_and_b32_e32 v2, 0xffff0000, v28
	v_fmac_f32_e32 v95, v113, v1
	s_waitcnt vmcnt(0)
	v_fmac_f32_e32 v94, v3, v2
	v_and_b32_e32 v1, 0xffff0000, v24
	v_lshlrev_b32_e32 v2, 16, v24
	v_fmac_f32_e32 v94, v120, v1
	v_fmac_f32_e32 v95, v121, v2
	v_lshlrev_b32_e32 v1, 16, v20
	v_and_b32_e32 v2, 0xffff0000, v20
	v_fmac_f32_e32 v95, v44, v1
	v_fmac_f32_e32 v94, v43, v2
	v_and_b32_e32 v1, 0xffff0000, v16
	v_lshlrev_b32_e32 v2, 16, v16
	v_fmac_f32_e32 v94, v48, v1
	v_fmac_f32_e32 v95, v49, v2
	v_lshlrev_b32_e32 v1, 16, v12
	v_and_b32_e32 v2, 0xffff0000, v12
	v_fmac_f32_e32 v95, v57, v1
	;; [unrolled: 8-line block ×3, first 2 shown]
	v_add_f32_e32 v1, v88, v89
	v_fmac_f32_e32 v94, v77, v2
	v_max_f32_e32 v2, v79, v79
	v_add_f32_e32 v1, v1, v92
	v_add_f32_e32 v1, v90, v1
	;; [unrolled: 1-line block ×6, first 2 shown]
	v_fmac_f32_e32 v87, s3, v1
	v_max_f32_e32 v2, v2, v87
	v_cndmask_b32_e64 v1, 0, v87, s1
	v_cndmask_b32_e64 v79, v79, v2, s1
	ds_write_b32 v82, v1
	s_branch .LBB175_11
.LBB175_16:
	s_or_b32 exec_lo, exec_lo, s15
	s_clause 0x3
	buffer_load_dword v101, off, s[48:51], 0 offset:256
	buffer_load_dword v102, off, s[48:51], 0 offset:260
	;; [unrolled: 1-line block ×4, first 2 shown]
.LBB175_17:
	s_or_b32 exec_lo, exec_lo, s41
	v_mbcnt_lo_u32_b32 v0, -1, 0
	v_max_f32_e32 v4, v79, v79
	v_xor_b32_e32 v1, 16, v0
	v_xor_b32_e32 v3, 8, v0
	v_cmp_gt_i32_e32 vcc_lo, 32, v1
	v_cndmask_b32_e32 v1, v0, v1, vcc_lo
	v_cmp_gt_i32_e32 vcc_lo, 32, v3
	v_lshlrev_b32_e32 v1, 2, v1
	v_cndmask_b32_e32 v3, v0, v3, vcc_lo
	ds_bpermute_b32 v2, v1, v79
	s_waitcnt lgkmcnt(0)
	v_max_f32_e32 v5, v2, v2
	v_lshlrev_b32_e32 v2, 2, v3
	v_max_f32_e32 v3, v4, v5
	v_xor_b32_e32 v5, 4, v0
	ds_bpermute_b32 v4, v2, v3
	v_cmp_gt_i32_e32 vcc_lo, 32, v5
	v_cndmask_b32_e32 v5, v0, v5, vcc_lo
	s_waitcnt lgkmcnt(0)
	v_max_f32_e32 v6, v4, v4
	v_lshlrev_b32_e32 v4, 2, v5
	v_max_f32_e32 v3, v3, v6
	v_xor_b32_e32 v6, 2, v0
	ds_bpermute_b32 v5, v4, v3
	v_cmp_gt_i32_e32 vcc_lo, 32, v6
	v_cndmask_b32_e32 v6, v0, v6, vcc_lo
	v_lshlrev_b32_e32 v72, 2, v6
	v_xor_b32_e32 v6, 1, v0
	v_cmp_gt_i32_e32 vcc_lo, 32, v6
	s_waitcnt lgkmcnt(0)
	v_max_f32_e32 v5, v5, v5
	v_cndmask_b32_e32 v6, v0, v6, vcc_lo
	v_max_f32_e32 v3, v3, v5
	v_lshlrev_b32_e32 v71, 2, v6
	ds_bpermute_b32 v5, v72, v3
	s_waitcnt lgkmcnt(0)
	v_max_f32_e32 v5, v5, v5
	v_max_f32_e32 v0, v3, v5
	buffer_load_dword v5, off, s[48:51], 0  ; 4-byte Folded Reload
	ds_bpermute_b32 v3, v71, v0
	s_waitcnt vmcnt(0)
	v_cmp_eq_u32_e32 vcc_lo, 0, v5
	v_lshlrev_b32_e32 v5, 2, v102
	s_and_saveexec_b32 s1, vcc_lo
	s_cbranch_execz .LBB175_19
; %bb.18:
	s_waitcnt lgkmcnt(0)
	v_max_f32_e32 v3, v3, v3
	v_max_f32_e32 v0, v0, v0
	;; [unrolled: 1-line block ×3, first 2 shown]
	ds_write_b32 v5, v0 offset:224
.LBB175_19:
	s_or_b32 exec_lo, exec_lo, s1
	buffer_load_dword v0, off, s[48:51], 0  ; 4-byte Folded Reload
	s_waitcnt vmcnt(0) lgkmcnt(0)
	s_waitcnt_vscnt null, 0x0
	s_barrier
	buffer_gl0_inv
	v_cmp_gt_u32_e64 s1, 4, v0
	v_mov_b32_e32 v0, 0xff7fffff
	s_and_saveexec_b32 s2, s1
; %bb.20:
	ds_read_b32 v0, v11 offset:224
; %bb.21:
	s_or_b32 exec_lo, exec_lo, s2
	s_waitcnt lgkmcnt(0)
	ds_bpermute_b32 v3, v72, v0
	v_max_f32_e32 v0, v0, v0
	v_mov_b32_e32 v6, 0
	s_sub_i32 s2, s16, s40
	s_lshl_b32 s2, s2, 5
	s_add_i32 s2, s2, s37
	s_min_i32 s2, s2, s27
	s_sub_i32 s4, s2, s37
	v_cmp_gt_i32_e64 s2, s4, v101
	s_waitcnt lgkmcnt(0)
	v_max_f32_e32 v3, v3, v3
	v_max_f32_e32 v0, v0, v3
	ds_bpermute_b32 v3, v71, v0
	s_waitcnt lgkmcnt(0)
	v_max_f32_e32 v3, v3, v3
	v_max_f32_e32 v0, v0, v3
	v_lshl_add_u32 v3, v101, 2, 0x100
	ds_bpermute_b32 v0, v6, v0
	s_and_saveexec_b32 s5, s2
	s_cbranch_execz .LBB175_25
; %bb.22:
	v_lshl_add_u32 v7, v101, 2, 0x100
	v_mov_b32_e32 v6, 0
	v_mov_b32_e32 v8, v101
	s_mov_b32 s15, 0
	.p2align	6
.LBB175_23:                             ; =>This Inner Loop Header: Depth=1
	ds_read_b32 v9, v7
	v_add_nc_u32_e32 v8, 0x80, v8
	v_cmp_le_i32_e64 s3, s4, v8
	s_or_b32 s15, s3, s15
	s_waitcnt lgkmcnt(0)
	v_sub_f32_e32 v9, v9, v0
	v_mul_f32_e32 v9, 0x3fb8aa3b, v9
	v_exp_f32_e32 v9, v9
	ds_write_b32 v7, v9
	v_add_f32_e32 v6, v6, v9
	v_add_nc_u32_e32 v7, 0x200, v7
	s_andn2_b32 exec_lo, exec_lo, s15
	s_cbranch_execnz .LBB175_23
; %bb.24:
	s_or_b32 exec_lo, exec_lo, s15
.LBB175_25:
	s_or_b32 exec_lo, exec_lo, s5
	ds_bpermute_b32 v1, v1, v6
	s_waitcnt lgkmcnt(0)
	v_add_f32_e32 v1, v6, v1
	ds_bpermute_b32 v2, v2, v1
	s_waitcnt lgkmcnt(0)
	v_add_f32_e32 v1, v1, v2
	ds_bpermute_b32 v2, v4, v1
	s_waitcnt lgkmcnt(0)
	v_add_f32_e32 v1, v1, v2
	ds_bpermute_b32 v2, v72, v1
	s_waitcnt lgkmcnt(0)
	v_add_f32_e32 v1, v1, v2
	ds_bpermute_b32 v2, v71, v1
	s_waitcnt lgkmcnt(0)
	v_add_f32_e32 v1, v1, v2
	s_and_saveexec_b32 s3, vcc_lo
; %bb.26:
	ds_write_b32 v5, v1 offset:240
; %bb.27:
	s_or_b32 exec_lo, exec_lo, s3
	s_waitcnt lgkmcnt(0)
	s_barrier
	buffer_gl0_inv
	s_and_saveexec_b32 s3, s1
; %bb.28:
	ds_read_b32 v1, v11 offset:240
; %bb.29:
	s_or_b32 exec_lo, exec_lo, s3
	s_waitcnt lgkmcnt(0)
	ds_bpermute_b32 v2, v72, v1
	s_waitcnt lgkmcnt(0)
	v_add_f32_e32 v1, v1, v2
	ds_bpermute_b32 v2, v71, v1
	s_waitcnt lgkmcnt(0)
	v_add_f32_e32 v1, v1, v2
	v_mov_b32_e32 v2, 0
	ds_bpermute_b32 v1, v2, v1
	s_and_saveexec_b32 s1, s2
	s_cbranch_execz .LBB175_32
; %bb.30:
	s_waitcnt lgkmcnt(0)
	v_add_f32_e32 v2, 0x358637bd, v1
	s_mov_b32 s2, 0
	v_div_scale_f32 v4, null, v2, v2, 1.0
	v_div_scale_f32 v7, vcc_lo, 1.0, v2, 1.0
	v_rcp_f32_e32 v5, v4
	v_fma_f32 v6, -v4, v5, 1.0
	v_fmac_f32_e32 v5, v6, v5
	v_mul_f32_e32 v6, v7, v5
	v_fma_f32 v8, -v4, v6, v7
	v_fmac_f32_e32 v6, v8, v5
	v_fma_f32 v4, -v4, v6, v7
	v_div_fmas_f32 v4, v4, v5, v6
	v_div_fixup_f32 v2, v4, v2, 1.0
	v_mov_b32_e32 v4, v101
.LBB175_31:                             ; =>This Inner Loop Header: Depth=1
	ds_read_b32 v5, v3
	v_add_nc_u32_e32 v4, 0x80, v4
	v_cmp_le_i32_e32 vcc_lo, s4, v4
	s_or_b32 s2, vcc_lo, s2
	s_waitcnt lgkmcnt(0)
	v_mul_f32_e32 v5, v2, v5
	ds_write_b32 v3, v5
	v_add_nc_u32_e32 v3, 0x200, v3
	s_andn2_b32 exec_lo, exec_lo, s2
	s_cbranch_execnz .LBB175_31
.LBB175_32:
	s_or_b32 exec_lo, exec_lo, s1
	s_mul_i32 s1, s7, s26
	s_waitcnt lgkmcnt(0)
	s_mul_i32 s4, s1, s9
	s_mov_b32 s1, exec_lo
	s_barrier
	buffer_gl0_inv
	v_cmpx_eq_u32_e32 0, v101
	s_cbranch_execz .LBB175_34
; %bb.33:
	s_ashr_i32 s5, s4, 31
	s_mul_i32 s40, s7, s6
	s_lshl_b64 s[2:3], s[4:5], 2
	v_mov_b32_e32 v2, 0
	s_add_u32 s5, s22, s2
	s_addc_u32 s6, s23, s3
	s_ashr_i32 s41, s40, 31
	s_lshl_b64 s[22:23], s[40:41], 2
	s_add_u32 s5, s5, s22
	s_addc_u32 s6, s6, s23
	s_ashr_i32 s9, s8, 31
	s_lshl_b64 s[40:41], s[8:9], 2
	s_add_u32 s42, s5, s40
	s_addc_u32 s43, s6, s41
	s_add_u32 s2, s20, s2
	s_addc_u32 s3, s21, s3
	;; [unrolled: 2-line block ×4, first 2 shown]
	global_store_dword v2, v0, s[42:43]
	global_store_dword v2, v1, s[2:3]
.LBB175_34:
	s_or_b32 exec_lo, exec_lo, s1
	v_mov_b32_e32 v87, 0
	v_and_b32_e32 v73, 3, v101
	v_mov_b32_e32 v86, 0
	v_mov_b32_e32 v85, 0
	;; [unrolled: 1-line block ×13, first 2 shown]
	s_and_saveexec_b32 s3, s0
	s_cbranch_execz .LBB175_68
; %bb.35:
	s_ashr_i32 s15, s14, 31
	s_sub_i32 s5, s38, s17
	s_lshl_b64 s[0:1], s[14:15], 1
	v_lshlrev_b32_e32 v2, 3, v101
	s_add_u32 s2, s34, s0
	s_addc_u32 s9, s35, s1
	s_abs_i32 s6, s18
	v_lshlrev_b32_e32 v5, 5, v73
	v_cvt_f32_u32_e32 v0, s6
	s_sub_i32 s0, 0, s6
	v_and_b32_e32 v89, 24, v2
	v_and_b32_e32 v3, 0x1f0, v10
	s_add_i32 s36, s36, -1
	v_rcp_iflag_f32_e32 v4, v0
	v_lshlrev_b64 v[0:1], 2, v[65:66]
	v_lshl_or_b32 v5, v102, 7, v5
	v_add_co_u32 v90, s2, s2, v3
	v_mov_b32_e32 v88, 0
	v_mov_b32_e32 v74, 0
	;; [unrolled: 1-line block ×5, first 2 shown]
	v_mul_f32_e32 v4, 0x4f7ffffe, v4
	v_mov_b32_e32 v78, 0
	v_mov_b32_e32 v79, 0
	;; [unrolled: 1-line block ×4, first 2 shown]
	v_cvt_u32_f32_e32 v4, v4
	v_mov_b32_e32 v82, 0
	v_mov_b32_e32 v83, 0
	;; [unrolled: 1-line block ×4, first 2 shown]
	v_mul_lo_u32 v2, s0, v4
	s_lshl_b64 s[0:1], s[30:31], 2
	v_mov_b32_e32 v86, 0
	s_add_u32 s0, s28, s0
	s_addc_u32 s1, s29, s1
	v_add_co_u32 v66, vcc_lo, s0, v0
	v_add_co_ci_u32_e64 v91, null, s9, 0, s2
	v_mul_hi_u32 v2, v4, v2
	v_add_nc_u32_e32 v92, 0x100, v5
	v_add_co_ci_u32_e64 v67, null, s1, v1, vcc_lo
	v_mov_b32_e32 v87, 0
	s_mov_b32 s9, s13
	s_mov_b32 s14, s27
	;; [unrolled: 1-line block ×3, first 2 shown]
	v_add_nc_u32_e32 v93, v4, v2
	s_branch .LBB175_38
.LBB175_36:                             ;   in Loop: Header=BB175_38 Depth=1
	s_or_b32 exec_lo, exec_lo, s2
	s_waitcnt lgkmcnt(1)
	v_bfe_u32 v0, v45, 16, 1
	v_or_b32_e32 v68, 0x400000, v45
	v_bfe_u32 v69, v46, 16, 1
	v_cmp_u_f32_e32 vcc_lo, v45, v45
	v_bfe_u32 v94, v47, 16, 1
	v_add3_u32 v0, v0, v45, 0x7fff
	v_or_b32_e32 v95, 0x400000, v46
	v_add3_u32 v69, v69, v46, 0x7fff
	v_or_b32_e32 v96, 0x400000, v47
	v_add3_u32 v94, v94, v47, 0x7fff
	v_cndmask_b32_e32 v45, v0, v68, vcc_lo
	v_cmp_u_f32_e32 vcc_lo, v46, v46
	v_bfe_u32 v0, v48, 16, 1
	s_waitcnt lgkmcnt(0)
	v_bfe_u32 v68, v41, 16, 1
	s_waitcnt vmcnt(1)
	v_and_b32_e32 v98, 0xffff0000, v64
	v_and_b32_e32 v45, 0xffff0000, v45
	v_cndmask_b32_e32 v46, v69, v95, vcc_lo
	v_cmp_u_f32_e32 vcc_lo, v47, v47
	v_add3_u32 v0, v0, v48, 0x7fff
	v_or_b32_e32 v69, 0x400000, v48
	v_add3_u32 v68, v68, v41, 0x7fff
	v_bfe_u32 v95, v42, 16, 1
	v_cndmask_b32_e32 v47, v94, v96, vcc_lo
	v_cmp_u_f32_e32 vcc_lo, v48, v48
	v_or_b32_e32 v94, 0x400000, v41
	v_cndmask_b32_e32 v48, v0, v69, vcc_lo
	v_cmp_u_f32_e32 vcc_lo, v41, v41
	v_add3_u32 v41, v95, v42, 0x7fff
	v_or_b32_e32 v69, 0x400000, v42
	v_and_b32_e32 v0, 0xffff0000, v46
	v_and_b32_e32 v46, 0xffff0000, v61
	v_cndmask_b32_e32 v68, v68, v94, vcc_lo
	v_bfe_u32 v94, v43, 16, 1
	v_cmp_u_f32_e32 vcc_lo, v42, v42
	v_mul_f32_e32 v95, v0, v46
	v_lshlrev_b32_e32 v46, 16, v61
	v_cndmask_b32_e32 v42, v41, v69, vcc_lo
	v_add3_u32 v41, v94, v43, 0x7fff
	v_or_b32_e32 v69, 0x400000, v43
	v_bfe_u32 v94, v44, 16, 1
	v_cmp_u_f32_e32 vcc_lo, v43, v43
	v_mul_f32_e32 v96, v45, v46
	v_and_b32_e32 v46, 0xffff0000, v62
	v_and_b32_e32 v42, 0xffff0000, v42
	v_add3_u32 v43, v94, v44, 0x7fff
	v_cndmask_b32_e32 v61, v41, v69, vcc_lo
	v_or_b32_e32 v69, 0x400000, v44
	v_bfe_u32 v94, v95, 16, 1
	v_and_b32_e32 v41, 0xffff0000, v48
	v_cmp_u_f32_e32 vcc_lo, v44, v44
	v_or_b32_e32 v48, 0x400000, v95
	v_add3_u32 v44, v94, v95, 0x7fff
	v_mul_f32_e32 v94, v41, v46
	v_cndmask_b32_e32 v43, v43, v69, vcc_lo
	v_bfe_u32 v69, v96, 16, 1
	v_and_b32_e32 v46, 0xffff0000, v47
	v_lshlrev_b32_e32 v47, 16, v62
	v_cmp_u_f32_e32 vcc_lo, v95, v95
	v_or_b32_e32 v62, 0x400000, v96
	v_and_b32_e32 v43, 0xffff0000, v43
	v_mul_f32_e32 v95, v46, v47
	v_cndmask_b32_e32 v48, v44, v48, vcc_lo
	v_add3_u32 v44, v69, v96, 0x7fff
	v_bfe_u32 v69, v94, 16, 1
	v_and_b32_e32 v47, 0xffff0000, v63
	v_cmp_u_f32_e32 vcc_lo, v96, v96
	v_bfe_u32 v96, v95, 16, 1
	v_lshlrev_b32_e32 v63, 16, v63
	v_and_b32_e32 v48, 0xffff0000, v48
	v_mul_f32_e32 v97, v42, v47
	v_cndmask_b32_e32 v62, v44, v62, vcc_lo
	v_add3_u32 v44, v69, v94, 0x7fff
	v_or_b32_e32 v69, 0x400000, v94
	v_and_b32_e32 v47, 0xffff0000, v68
	v_cmp_u_f32_e32 vcc_lo, v94, v94
	v_or_b32_e32 v94, 0x400000, v95
	v_and_b32_e32 v62, 0xffff0000, v62
	v_mul_f32_e32 v63, v47, v63
	v_cndmask_b32_e32 v68, v44, v69, vcc_lo
	v_add3_u32 v69, v96, v95, 0x7fff
	v_bfe_u32 v96, v97, 16, 1
	v_and_b32_e32 v44, 0xffff0000, v61
	v_lshlrev_b32_e32 v61, 16, v64
	v_cmp_u_f32_e32 vcc_lo, v95, v95
	v_mul_f32_e32 v95, v43, v98
	v_or_b32_e32 v98, 0x400000, v63
	v_and_b32_e32 v68, 0xffff0000, v68
	v_mul_f32_e32 v61, v44, v61
	v_cndmask_b32_e32 v64, v69, v94, vcc_lo
	v_bfe_u32 v69, v63, 16, 1
	v_add3_u32 v94, v96, v97, 0x7fff
	v_or_b32_e32 v96, 0x400000, v97
	v_cmp_u_f32_e32 vcc_lo, v97, v97
	v_bfe_u32 v100, v61, 16, 1
	v_add3_u32 v69, v69, v63, 0x7fff
	v_bfe_u32 v99, v95, 16, 1
	v_or_b32_e32 v97, 0x400000, v61
	v_cndmask_b32_e32 v94, v94, v96, vcc_lo
	v_cmp_u_f32_e32 vcc_lo, v63, v63
	v_add3_u32 v96, v100, v61, 0x7fff
	v_and_b32_e32 v64, 0xffff0000, v64
	v_add_f32_e32 v48, v62, v48
	v_cndmask_b32_e32 v63, v69, v98, vcc_lo
	v_cmp_u_f32_e32 vcc_lo, v61, v61
	v_add3_u32 v69, v99, v95, 0x7fff
	v_or_b32_e32 v98, 0x400000, v95
	v_add_f32_e32 v62, v64, v68
	v_and_b32_e32 v63, 0xffff0000, v63
	v_cndmask_b32_e32 v61, v96, v97, vcc_lo
	v_cmp_u_f32_e32 vcc_lo, v95, v95
	v_and_b32_e32 v64, 0xffff0000, v94
	v_add_f32_e32 v48, v62, v48
	v_and_b32_e32 v61, 0xffff0000, v61
	v_cndmask_b32_e32 v68, v69, v98, vcc_lo
	v_add_f32_e32 v62, v63, v64
	v_and_b32_e32 v64, 0xffff0000, v57
	v_lshlrev_b32_e32 v57, 16, v57
	v_and_b32_e32 v69, 0xffff0000, v60
	v_and_b32_e32 v63, 0xffff0000, v68
	v_add_f32_e32 v48, v62, v48
	v_mul_f32_e32 v62, v0, v64
	v_mul_f32_e32 v57, v45, v57
	v_and_b32_e32 v64, 0xffff0000, v58
	v_add_f32_e32 v61, v61, v63
	v_lshlrev_b32_e32 v58, 16, v58
	v_cmp_u_f32_e32 vcc_lo, v62, v62
	v_bfe_u32 v63, v57, 16, 1
	v_mul_f32_e32 v64, v41, v64
	v_add_f32_e32 v48, v61, v48
	v_bfe_u32 v61, v62, 16, 1
	v_or_b32_e32 v68, 0x400000, v57
	v_add3_u32 v63, v63, v57, 0x7fff
	v_mul_f32_e32 v58, v46, v58
	v_add_f32_e32 v75, v75, v48
	v_add3_u32 v48, v61, v62, 0x7fff
	v_or_b32_e32 v61, 0x400000, v62
	v_and_b32_e32 v62, 0xffff0000, v59
	v_lshlrev_b32_e32 v59, 16, v59
	v_lshlrev_b32_e32 v60, 16, v60
	v_cndmask_b32_e32 v48, v48, v61, vcc_lo
	v_bfe_u32 v61, v64, 16, 1
	v_cmp_u_f32_e32 vcc_lo, v57, v57
	v_mul_f32_e32 v62, v42, v62
	v_mul_f32_e32 v59, v47, v59
	;; [unrolled: 1-line block ×3, first 2 shown]
	v_add3_u32 v61, v61, v64, 0x7fff
	v_cndmask_b32_e32 v57, v63, v68, vcc_lo
	v_or_b32_e32 v63, 0x400000, v64
	v_bfe_u32 v68, v58, 16, 1
	v_cmp_u_f32_e32 vcc_lo, v64, v64
	v_or_b32_e32 v64, 0x400000, v58
	v_bfe_u32 v94, v59, 16, 1
	v_and_b32_e32 v57, 0xffff0000, v57
	v_and_b32_e32 v48, 0xffff0000, v48
	v_cndmask_b32_e32 v61, v61, v63, vcc_lo
	v_add3_u32 v63, v68, v58, 0x7fff
	v_bfe_u32 v68, v62, 16, 1
	v_cmp_u_f32_e32 vcc_lo, v58, v58
	v_add_f32_e32 v48, v57, v48
	v_and_b32_e32 v61, 0xffff0000, v61
	v_cndmask_b32_e32 v58, v63, v64, vcc_lo
	v_add3_u32 v63, v68, v62, 0x7fff
	v_mul_f32_e32 v64, v43, v69
	v_or_b32_e32 v68, 0x400000, v62
	v_cmp_u_f32_e32 vcc_lo, v62, v62
	v_add3_u32 v69, v94, v59, 0x7fff
	v_or_b32_e32 v94, 0x400000, v59
	v_bfe_u32 v95, v64, 16, 1
	v_and_b32_e32 v58, 0xffff0000, v58
	v_cndmask_b32_e32 v62, v63, v68, vcc_lo
	v_cmp_u_f32_e32 vcc_lo, v59, v59
	v_or_b32_e32 v68, 0x400000, v64
	v_add3_u32 v63, v95, v64, 0x7fff
	v_add_f32_e32 v57, v58, v61
	v_and_b32_e32 v61, 0xffff0000, v62
	v_cndmask_b32_e32 v59, v69, v94, vcc_lo
	v_bfe_u32 v69, v60, 16, 1
	v_cmp_u_f32_e32 vcc_lo, v64, v64
	v_add_f32_e32 v48, v57, v48
	v_and_b32_e32 v58, 0xffff0000, v59
	v_add3_u32 v64, v69, v60, 0x7fff
	v_cndmask_b32_e32 v63, v63, v68, vcc_lo
	v_or_b32_e32 v68, 0x400000, v60
	v_and_b32_e32 v59, 0xffff0000, v53
	v_cmp_u_f32_e32 vcc_lo, v60, v60
	v_add_f32_e32 v58, v58, v61
	v_lshlrev_b32_e32 v53, 16, v53
	v_mul_f32_e32 v57, v0, v59
	v_cndmask_b32_e32 v60, v64, v68, vcc_lo
	v_add_f32_e32 v48, v58, v48
	v_mul_f32_e32 v53, v45, v53
	v_and_b32_e32 v58, 0xffff0000, v54
	v_bfe_u32 v61, v57, 16, 1
	v_and_b32_e32 v59, 0xffff0000, v60
	v_and_b32_e32 v60, 0xffff0000, v63
	v_bfe_u32 v62, v53, 16, 1
	v_mul_f32_e32 v58, v41, v58
	v_lshlrev_b32_e32 v54, 16, v54
	v_cmp_u_f32_e32 vcc_lo, v57, v57
	v_add_f32_e32 v59, v59, v60
	v_add3_u32 v60, v61, v57, 0x7fff
	v_or_b32_e32 v61, 0x400000, v57
	v_mul_f32_e32 v54, v46, v54
	v_and_b32_e32 v63, 0xffff0000, v55
	v_lshlrev_b32_e32 v55, 16, v55
	v_and_b32_e32 v64, 0xffff0000, v56
	v_cndmask_b32_e32 v57, v60, v61, vcc_lo
	v_add3_u32 v60, v62, v53, 0x7fff
	v_or_b32_e32 v61, 0x400000, v53
	v_bfe_u32 v62, v58, 16, 1
	v_cmp_u_f32_e32 vcc_lo, v53, v53
	v_mul_f32_e32 v63, v42, v63
	v_mul_f32_e32 v55, v47, v55
	v_lshlrev_b32_e32 v56, 16, v56
	v_and_b32_e32 v57, 0xffff0000, v57
	v_cndmask_b32_e32 v53, v60, v61, vcc_lo
	v_add3_u32 v60, v62, v58, 0x7fff
	v_or_b32_e32 v61, 0x400000, v58
	v_bfe_u32 v62, v54, 16, 1
	v_cmp_u_f32_e32 vcc_lo, v58, v58
	v_mul_f32_e32 v56, v44, v56
	v_or_b32_e32 v68, 0x400000, v55
	v_and_b32_e32 v53, 0xffff0000, v53
	v_add_f32_e32 v48, v59, v48
	v_cndmask_b32_e32 v58, v60, v61, vcc_lo
	v_add3_u32 v60, v62, v54, 0x7fff
	v_or_b32_e32 v61, 0x400000, v54
	v_bfe_u32 v62, v63, 16, 1
	v_cmp_u_f32_e32 vcc_lo, v54, v54
	v_and_b32_e32 v58, 0xffff0000, v58
	v_add_f32_e32 v53, v53, v57
	v_add_f32_e32 v76, v76, v48
	v_cndmask_b32_e32 v54, v60, v61, vcc_lo
	v_bfe_u32 v60, v55, 16, 1
	v_add3_u32 v61, v62, v63, 0x7fff
	v_mul_f32_e32 v62, v43, v64
	v_or_b32_e32 v64, 0x400000, v63
	v_cmp_u_f32_e32 vcc_lo, v63, v63
	v_add3_u32 v60, v60, v55, 0x7fff
	v_bfe_u32 v63, v56, 16, 1
	v_bfe_u32 v69, v62, 16, 1
	v_and_b32_e32 v54, 0xffff0000, v54
	v_cndmask_b32_e32 v61, v61, v64, vcc_lo
	v_cmp_u_f32_e32 vcc_lo, v55, v55
	v_add3_u32 v63, v63, v56, 0x7fff
	v_or_b32_e32 v64, 0x400000, v62
	v_add_f32_e32 v54, v54, v58
	v_and_b32_e32 v57, 0xffff0000, v61
	v_cndmask_b32_e32 v55, v60, v68, vcc_lo
	v_or_b32_e32 v68, 0x400000, v56
	v_cmp_u_f32_e32 vcc_lo, v56, v56
	v_add3_u32 v60, v69, v62, 0x7fff
	v_add_f32_e32 v53, v54, v53
	v_and_b32_e32 v55, 0xffff0000, v55
	v_cndmask_b32_e32 v56, v63, v68, vcc_lo
	v_cmp_u_f32_e32 vcc_lo, v62, v62
	v_add_f32_e32 v54, v55, v57
	v_and_b32_e32 v55, 0xffff0000, v49
	v_and_b32_e32 v56, 0xffff0000, v56
	v_cndmask_b32_e32 v58, v60, v64, vcc_lo
	v_lshlrev_b32_e32 v49, 16, v49
	v_add_f32_e32 v53, v54, v53
	v_mul_f32_e32 v55, v0, v55
	v_and_b32_e32 v57, 0xffff0000, v58
	v_mul_f32_e32 v49, v45, v49
	v_cmp_u_f32_e32 vcc_lo, v55, v55
	v_add_f32_e32 v54, v56, v57
	v_and_b32_e32 v56, 0xffff0000, v50
	v_bfe_u32 v57, v55, 16, 1
	v_bfe_u32 v48, v49, 16, 1
	v_lshlrev_b32_e32 v50, 16, v50
	v_add_f32_e32 v53, v54, v53
	v_mul_f32_e32 v54, v41, v56
	v_add3_u32 v56, v57, v55, 0x7fff
	v_or_b32_e32 v57, 0x400000, v55
	v_add3_u32 v48, v48, v49, 0x7fff
	v_or_b32_e32 v58, 0x400000, v49
	v_bfe_u32 v59, v54, 16, 1
	v_add_f32_e32 v77, v77, v53
	v_cndmask_b32_e32 v55, v56, v57, vcc_lo
	v_cmp_u_f32_e32 vcc_lo, v49, v49
	v_mul_f32_e32 v49, v46, v50
	v_and_b32_e32 v57, 0xffff0000, v51
	v_add3_u32 v50, v59, v54, 0x7fff
	v_or_b32_e32 v56, 0x400000, v54
	v_cndmask_b32_e32 v48, v48, v58, vcc_lo
	v_lshlrev_b32_e32 v51, 16, v51
	v_bfe_u32 v58, v49, 16, 1
	v_cmp_u_f32_e32 vcc_lo, v54, v54
	v_mul_f32_e32 v54, v42, v57
	v_or_b32_e32 v57, 0x400000, v49
	v_mul_f32_e32 v51, v47, v51
	v_and_b32_e32 v48, 0xffff0000, v48
	v_cndmask_b32_e32 v50, v50, v56, vcc_lo
	v_add3_u32 v56, v58, v49, 0x7fff
	v_and_b32_e32 v58, 0xffff0000, v52
	v_bfe_u32 v59, v54, 16, 1
	v_cmp_u_f32_e32 vcc_lo, v49, v49
	v_bfe_u32 v60, v51, 16, 1
	v_lshlrev_b32_e32 v52, 16, v52
	v_and_b32_e32 v55, 0xffff0000, v55
	v_and_b32_e32 v50, 0xffff0000, v50
	v_cndmask_b32_e32 v49, v56, v57, vcc_lo
	v_mul_f32_e32 v56, v43, v58
	v_add3_u32 v57, v59, v54, 0x7fff
	v_or_b32_e32 v58, 0x400000, v54
	v_cmp_u_f32_e32 vcc_lo, v54, v54
	v_add3_u32 v59, v60, v51, 0x7fff
	v_or_b32_e32 v60, 0x400000, v51
	v_bfe_u32 v61, v56, 16, 1
	v_and_b32_e32 v49, 0xffff0000, v49
	v_cndmask_b32_e32 v54, v57, v58, vcc_lo
	v_cmp_u_f32_e32 vcc_lo, v51, v51
	v_or_b32_e32 v58, 0x400000, v56
	v_add3_u32 v57, v61, v56, 0x7fff
	v_mul_f32_e32 v52, v44, v52
	v_add_f32_e32 v48, v48, v55
	v_cndmask_b32_e32 v51, v59, v60, vcc_lo
	v_cmp_u_f32_e32 vcc_lo, v56, v56
	v_add_f32_e32 v49, v49, v50
	v_and_b32_e32 v54, 0xffff0000, v54
	v_and_b32_e32 v50, 0xffff0000, v51
	;; [unrolled: 1-line block ×3, first 2 shown]
	v_cndmask_b32_e32 v56, v57, v58, vcc_lo
	v_bfe_u32 v57, v52, 16, 1
	v_add_f32_e32 v48, v49, v48
	v_add_f32_e32 v50, v50, v54
	v_mul_f32_e32 v49, v0, v51
	v_lshlrev_b32_e32 v37, 16, v37
	v_add3_u32 v55, v57, v52, 0x7fff
	v_or_b32_e32 v57, 0x400000, v52
	v_cmp_u_f32_e32 vcc_lo, v52, v52
	v_bfe_u32 v52, v49, 16, 1
	v_add_f32_e32 v48, v50, v48
	v_mul_f32_e32 v37, v45, v37
	v_and_b32_e32 v50, 0xffff0000, v38
	v_cndmask_b32_e32 v51, v55, v57, vcc_lo
	v_add3_u32 v52, v52, v49, 0x7fff
	v_or_b32_e32 v54, 0x400000, v49
	v_bfe_u32 v55, v37, 16, 1
	v_mul_f32_e32 v50, v41, v50
	v_lshlrev_b32_e32 v38, 16, v38
	v_cmp_u_f32_e32 vcc_lo, v49, v49
	v_and_b32_e32 v57, 0xffff0000, v39
	v_lshlrev_b32_e32 v39, 16, v39
	v_and_b32_e32 v58, 0xffff0000, v40
	v_mul_f32_e32 v38, v46, v38
	v_cndmask_b32_e32 v49, v52, v54, vcc_lo
	v_add3_u32 v52, v55, v37, 0x7fff
	v_or_b32_e32 v54, 0x400000, v37
	v_bfe_u32 v55, v50, 16, 1
	v_cmp_u_f32_e32 vcc_lo, v37, v37
	v_mul_f32_e32 v57, v42, v57
	v_mul_f32_e32 v39, v47, v39
	v_lshlrev_b32_e32 v40, 16, v40
	v_and_b32_e32 v49, 0xffff0000, v49
	v_cndmask_b32_e32 v37, v52, v54, vcc_lo
	v_add3_u32 v52, v55, v50, 0x7fff
	v_or_b32_e32 v54, 0x400000, v50
	v_bfe_u32 v55, v38, 16, 1
	v_cmp_u_f32_e32 vcc_lo, v50, v50
	v_mul_f32_e32 v40, v44, v40
	v_or_b32_e32 v59, 0x400000, v39
	v_and_b32_e32 v37, 0xffff0000, v37
	v_and_b32_e32 v51, 0xffff0000, v51
	v_cndmask_b32_e32 v50, v52, v54, vcc_lo
	v_add3_u32 v52, v55, v38, 0x7fff
	v_or_b32_e32 v54, 0x400000, v38
	v_bfe_u32 v55, v57, 16, 1
	v_cmp_u_f32_e32 vcc_lo, v38, v38
	v_bfe_u32 v61, v40, 16, 1
	v_and_b32_e32 v50, 0xffff0000, v50
	v_add_f32_e32 v37, v37, v49
	v_cndmask_b32_e32 v38, v52, v54, vcc_lo
	v_bfe_u32 v52, v39, 16, 1
	v_add3_u32 v54, v55, v57, 0x7fff
	v_mul_f32_e32 v55, v43, v58
	v_or_b32_e32 v58, 0x400000, v57
	v_cmp_u_f32_e32 vcc_lo, v57, v57
	v_add3_u32 v52, v52, v39, 0x7fff
	v_add3_u32 v57, v61, v40, 0x7fff
	v_bfe_u32 v60, v55, 16, 1
	v_and_b32_e32 v38, 0xffff0000, v38
	v_cndmask_b32_e32 v54, v54, v58, vcc_lo
	v_cmp_u_f32_e32 vcc_lo, v39, v39
	v_or_b32_e32 v58, 0x400000, v40
	v_add_f32_e32 v38, v38, v50
	v_and_b32_e32 v49, 0xffff0000, v54
	v_cndmask_b32_e32 v39, v52, v59, vcc_lo
	v_cmp_u_f32_e32 vcc_lo, v40, v40
	v_add3_u32 v52, v60, v55, 0x7fff
	v_or_b32_e32 v59, 0x400000, v55
	v_add_f32_e32 v37, v38, v37
	v_and_b32_e32 v39, 0xffff0000, v39
	v_cndmask_b32_e32 v40, v57, v58, vcc_lo
	v_cmp_u_f32_e32 vcc_lo, v55, v55
	v_add_f32_e32 v38, v39, v49
	v_and_b32_e32 v39, 0xffff0000, v40
	v_cndmask_b32_e32 v50, v52, v59, vcc_lo
	v_and_b32_e32 v52, 0xffff0000, v56
	v_and_b32_e32 v49, 0xffff0000, v33
	v_lshlrev_b32_e32 v33, 16, v33
	v_add_f32_e32 v37, v38, v37
	v_and_b32_e32 v40, 0xffff0000, v50
	v_add_f32_e32 v50, v51, v52
	v_mul_f32_e32 v33, v45, v33
	v_add_f32_e32 v38, v39, v40
	v_mul_f32_e32 v39, v0, v49
	v_add_f32_e32 v40, v50, v48
	v_and_b32_e32 v48, 0xffff0000, v34
	v_lshlrev_b32_e32 v34, 16, v34
	v_add_f32_e32 v37, v38, v37
	v_bfe_u32 v38, v39, 16, 1
	v_add_f32_e32 v78, v78, v40
	v_bfe_u32 v40, v33, 16, 1
	v_mul_f32_e32 v48, v41, v48
	v_add_f32_e32 v79, v79, v37
	v_add3_u32 v37, v38, v39, 0x7fff
	v_or_b32_e32 v38, 0x400000, v39
	v_cmp_u_f32_e32 vcc_lo, v39, v39
	v_add3_u32 v40, v40, v33, 0x7fff
	v_or_b32_e32 v49, 0x400000, v33
	v_mul_f32_e32 v34, v46, v34
	v_and_b32_e32 v39, 0xffff0000, v35
	v_cndmask_b32_e32 v37, v37, v38, vcc_lo
	v_bfe_u32 v38, v48, 16, 1
	v_cmp_u_f32_e32 vcc_lo, v33, v33
	v_lshlrev_b32_e32 v35, 16, v35
	v_mul_f32_e32 v39, v42, v39
	v_and_b32_e32 v50, 0xffff0000, v36
	v_add3_u32 v38, v38, v48, 0x7fff
	v_cndmask_b32_e32 v33, v40, v49, vcc_lo
	v_or_b32_e32 v40, 0x400000, v48
	v_bfe_u32 v49, v34, 16, 1
	v_cmp_u_f32_e32 vcc_lo, v48, v48
	v_mul_f32_e32 v35, v47, v35
	v_or_b32_e32 v48, 0x400000, v34
	v_lshlrev_b32_e32 v36, 16, v36
	v_and_b32_e32 v33, 0xffff0000, v33
	v_cndmask_b32_e32 v38, v38, v40, vcc_lo
	v_add3_u32 v40, v49, v34, 0x7fff
	v_bfe_u32 v49, v39, 16, 1
	v_cmp_u_f32_e32 vcc_lo, v34, v34
	v_bfe_u32 v51, v35, 16, 1
	v_mul_f32_e32 v36, v44, v36
	v_and_b32_e32 v37, 0xffff0000, v37
	v_and_b32_e32 v38, 0xffff0000, v38
	v_cndmask_b32_e32 v34, v40, v48, vcc_lo
	v_add3_u32 v40, v49, v39, 0x7fff
	v_mul_f32_e32 v48, v43, v50
	v_or_b32_e32 v49, 0x400000, v39
	v_cmp_u_f32_e32 vcc_lo, v39, v39
	v_add3_u32 v50, v51, v35, 0x7fff
	v_or_b32_e32 v51, 0x400000, v35
	v_bfe_u32 v52, v48, 16, 1
	v_and_b32_e32 v34, 0xffff0000, v34
	v_cndmask_b32_e32 v39, v40, v49, vcc_lo
	v_cmp_u_f32_e32 vcc_lo, v35, v35
	v_or_b32_e32 v49, 0x400000, v48
	v_add3_u32 v40, v52, v48, 0x7fff
	v_add_f32_e32 v33, v33, v37
	v_add_f32_e32 v34, v34, v38
	v_cndmask_b32_e32 v35, v50, v51, vcc_lo
	v_bfe_u32 v50, v36, 16, 1
	v_cmp_u_f32_e32 vcc_lo, v48, v48
	v_and_b32_e32 v37, 0xffff0000, v29
	v_and_b32_e32 v38, 0xffff0000, v39
	;; [unrolled: 1-line block ×3, first 2 shown]
	v_add3_u32 v48, v50, v36, 0x7fff
	v_cndmask_b32_e32 v40, v40, v49, vcc_lo
	v_or_b32_e32 v49, 0x400000, v36
	v_cmp_u_f32_e32 vcc_lo, v36, v36
	v_add_f32_e32 v33, v34, v33
	v_mul_f32_e32 v34, v0, v37
	v_add_f32_e32 v35, v35, v38
	v_lshlrev_b32_e32 v29, 16, v29
	v_cndmask_b32_e32 v36, v48, v49, vcc_lo
	v_and_b32_e32 v37, 0xffff0000, v40
	v_bfe_u32 v38, v34, 16, 1
	v_add_f32_e32 v33, v35, v33
	v_mul_f32_e32 v29, v45, v29
	v_and_b32_e32 v36, 0xffff0000, v36
	v_and_b32_e32 v35, 0xffff0000, v30
	v_lshlrev_b32_e32 v30, 16, v30
	v_cmp_u_f32_e32 vcc_lo, v34, v34
	v_bfe_u32 v39, v29, 16, 1
	v_add_f32_e32 v36, v36, v37
	v_add3_u32 v37, v38, v34, 0x7fff
	v_or_b32_e32 v38, 0x400000, v34
	v_mul_f32_e32 v35, v41, v35
	v_mul_f32_e32 v30, v46, v30
	v_and_b32_e32 v40, 0xffff0000, v31
	v_lshlrev_b32_e32 v31, 16, v31
	v_cndmask_b32_e32 v34, v37, v38, vcc_lo
	v_add3_u32 v37, v39, v29, 0x7fff
	v_or_b32_e32 v38, 0x400000, v29
	v_bfe_u32 v39, v35, 16, 1
	v_cmp_u_f32_e32 vcc_lo, v29, v29
	v_mul_f32_e32 v40, v42, v40
	v_mul_f32_e32 v31, v47, v31
	v_and_b32_e32 v48, 0xffff0000, v32
	v_lshlrev_b32_e32 v32, 16, v32
	v_cndmask_b32_e32 v29, v37, v38, vcc_lo
	v_add3_u32 v37, v39, v35, 0x7fff
	v_or_b32_e32 v38, 0x400000, v35
	v_bfe_u32 v39, v30, 16, 1
	v_cmp_u_f32_e32 vcc_lo, v35, v35
	v_mul_f32_e32 v32, v44, v32
	v_or_b32_e32 v49, 0x400000, v31
	v_and_b32_e32 v29, 0xffff0000, v29
	v_and_b32_e32 v34, 0xffff0000, v34
	v_cndmask_b32_e32 v35, v37, v38, vcc_lo
	v_add3_u32 v37, v39, v30, 0x7fff
	v_or_b32_e32 v38, 0x400000, v30
	v_bfe_u32 v39, v40, 16, 1
	v_cmp_u_f32_e32 vcc_lo, v30, v30
	v_and_b32_e32 v35, 0xffff0000, v35
	v_add_f32_e32 v29, v29, v34
	v_add_f32_e32 v33, v36, v33
	v_cndmask_b32_e32 v30, v37, v38, vcc_lo
	v_bfe_u32 v37, v31, 16, 1
	v_add3_u32 v38, v39, v40, 0x7fff
	v_mul_f32_e32 v39, v43, v48
	v_or_b32_e32 v48, 0x400000, v40
	v_cmp_u_f32_e32 vcc_lo, v40, v40
	v_add3_u32 v37, v37, v31, 0x7fff
	v_bfe_u32 v40, v32, 16, 1
	v_bfe_u32 v50, v39, 16, 1
	v_and_b32_e32 v30, 0xffff0000, v30
	v_cndmask_b32_e32 v38, v38, v48, vcc_lo
	v_cmp_u_f32_e32 vcc_lo, v31, v31
	v_add3_u32 v40, v40, v32, 0x7fff
	v_or_b32_e32 v48, 0x400000, v39
	v_add_f32_e32 v30, v30, v35
	v_and_b32_e32 v34, 0xffff0000, v38
	v_cndmask_b32_e32 v31, v37, v49, vcc_lo
	v_or_b32_e32 v49, 0x400000, v32
	v_cmp_u_f32_e32 vcc_lo, v32, v32
	v_add3_u32 v37, v50, v39, 0x7fff
	v_add_f32_e32 v29, v30, v29
	v_and_b32_e32 v31, 0xffff0000, v31
	v_add_f32_e32 v80, v80, v33
	v_cndmask_b32_e32 v32, v40, v49, vcc_lo
	v_cmp_u_f32_e32 vcc_lo, v39, v39
	v_add_f32_e32 v30, v31, v34
	v_and_b32_e32 v31, 0xffff0000, v25
	v_and_b32_e32 v32, 0xffff0000, v32
	v_cndmask_b32_e32 v35, v37, v48, vcc_lo
	v_lshlrev_b32_e32 v25, 16, v25
	v_add_f32_e32 v29, v30, v29
	v_mul_f32_e32 v31, v0, v31
	v_and_b32_e32 v34, 0xffff0000, v35
	v_mul_f32_e32 v25, v45, v25
	v_cmp_u_f32_e32 vcc_lo, v31, v31
	v_add_f32_e32 v30, v32, v34
	v_and_b32_e32 v32, 0xffff0000, v26
	v_bfe_u32 v34, v31, 16, 1
	v_bfe_u32 v33, v25, 16, 1
	v_or_b32_e32 v35, 0x400000, v25
	v_add_f32_e32 v29, v30, v29
	v_mul_f32_e32 v30, v41, v32
	v_add3_u32 v32, v34, v31, 0x7fff
	v_or_b32_e32 v34, 0x400000, v31
	v_add3_u32 v33, v33, v25, 0x7fff
	v_lshlrev_b32_e32 v26, 16, v26
	v_bfe_u32 v36, v30, 16, 1
	v_add_f32_e32 v81, v81, v29
	v_cndmask_b32_e32 v31, v32, v34, vcc_lo
	v_cmp_u_f32_e32 vcc_lo, v25, v25
	v_mul_f32_e32 v26, v46, v26
	v_add3_u32 v32, v36, v30, 0x7fff
	v_and_b32_e32 v34, 0xffff0000, v27
	v_lshlrev_b32_e32 v27, 16, v27
	v_cndmask_b32_e32 v25, v33, v35, vcc_lo
	v_or_b32_e32 v33, 0x400000, v30
	v_cmp_u_f32_e32 vcc_lo, v30, v30
	v_bfe_u32 v35, v26, 16, 1
	v_mul_f32_e32 v27, v47, v27
	v_and_b32_e32 v25, 0xffff0000, v25
	v_and_b32_e32 v31, 0xffff0000, v31
	v_cndmask_b32_e32 v30, v32, v33, vcc_lo
	v_mul_f32_e32 v32, v42, v34
	v_add3_u32 v33, v35, v26, 0x7fff
	v_or_b32_e32 v34, 0x400000, v26
	v_and_b32_e32 v35, 0xffff0000, v28
	v_cmp_u_f32_e32 vcc_lo, v26, v26
	v_bfe_u32 v36, v32, 16, 1
	v_bfe_u32 v37, v27, 16, 1
	v_lshlrev_b32_e32 v28, 16, v28
	v_and_b32_e32 v30, 0xffff0000, v30
	v_cndmask_b32_e32 v26, v33, v34, vcc_lo
	v_mul_f32_e32 v33, v43, v35
	v_add3_u32 v34, v36, v32, 0x7fff
	v_or_b32_e32 v35, 0x400000, v32
	v_cmp_u_f32_e32 vcc_lo, v32, v32
	v_add3_u32 v36, v37, v27, 0x7fff
	v_or_b32_e32 v37, 0x400000, v27
	v_bfe_u32 v38, v33, 16, 1
	v_and_b32_e32 v26, 0xffff0000, v26
	v_cndmask_b32_e32 v32, v34, v35, vcc_lo
	v_cmp_u_f32_e32 vcc_lo, v27, v27
	v_or_b32_e32 v35, 0x400000, v33
	v_add3_u32 v34, v38, v33, 0x7fff
	v_mul_f32_e32 v28, v44, v28
	v_add_f32_e32 v25, v25, v31
	v_cndmask_b32_e32 v27, v36, v37, vcc_lo
	v_cmp_u_f32_e32 vcc_lo, v33, v33
	v_add_f32_e32 v26, v26, v30
	v_and_b32_e32 v30, 0xffff0000, v21
	v_and_b32_e32 v31, 0xffff0000, v32
	;; [unrolled: 1-line block ×3, first 2 shown]
	v_cndmask_b32_e32 v33, v34, v35, vcc_lo
	v_bfe_u32 v34, v28, 16, 1
	v_add_f32_e32 v25, v26, v25
	v_mul_f32_e32 v26, v0, v30
	v_add_f32_e32 v27, v27, v31
	v_lshlrev_b32_e32 v21, 16, v21
	v_add3_u32 v32, v34, v28, 0x7fff
	v_or_b32_e32 v34, 0x400000, v28
	v_cmp_u_f32_e32 vcc_lo, v28, v28
	v_bfe_u32 v30, v26, 16, 1
	v_add_f32_e32 v25, v27, v25
	v_mul_f32_e32 v21, v45, v21
	v_and_b32_e32 v27, 0xffff0000, v22
	v_cndmask_b32_e32 v28, v32, v34, vcc_lo
	v_add3_u32 v30, v30, v26, 0x7fff
	v_or_b32_e32 v31, 0x400000, v26
	v_bfe_u32 v32, v21, 16, 1
	v_mul_f32_e32 v27, v41, v27
	v_lshlrev_b32_e32 v22, 16, v22
	v_cmp_u_f32_e32 vcc_lo, v26, v26
	v_and_b32_e32 v34, 0xffff0000, v23
	v_lshlrev_b32_e32 v23, 16, v23
	v_and_b32_e32 v35, 0xffff0000, v24
	v_mul_f32_e32 v22, v46, v22
	v_cndmask_b32_e32 v26, v30, v31, vcc_lo
	v_add3_u32 v30, v32, v21, 0x7fff
	v_or_b32_e32 v31, 0x400000, v21
	v_bfe_u32 v32, v27, 16, 1
	v_cmp_u_f32_e32 vcc_lo, v21, v21
	v_mul_f32_e32 v34, v42, v34
	v_mul_f32_e32 v23, v47, v23
	v_lshlrev_b32_e32 v24, 16, v24
	v_and_b32_e32 v26, 0xffff0000, v26
	v_cndmask_b32_e32 v21, v30, v31, vcc_lo
	v_add3_u32 v30, v32, v27, 0x7fff
	v_or_b32_e32 v31, 0x400000, v27
	v_bfe_u32 v32, v22, 16, 1
	v_cmp_u_f32_e32 vcc_lo, v27, v27
	v_mul_f32_e32 v24, v44, v24
	v_or_b32_e32 v36, 0x400000, v23
	v_and_b32_e32 v21, 0xffff0000, v21
	v_and_b32_e32 v28, 0xffff0000, v28
	v_cndmask_b32_e32 v27, v30, v31, vcc_lo
	v_add3_u32 v30, v32, v22, 0x7fff
	v_or_b32_e32 v31, 0x400000, v22
	v_bfe_u32 v32, v34, 16, 1
	v_cmp_u_f32_e32 vcc_lo, v22, v22
	v_bfe_u32 v38, v24, 16, 1
	v_and_b32_e32 v27, 0xffff0000, v27
	v_add_f32_e32 v21, v21, v26
	v_cndmask_b32_e32 v22, v30, v31, vcc_lo
	v_bfe_u32 v30, v23, 16, 1
	v_add3_u32 v31, v32, v34, 0x7fff
	v_mul_f32_e32 v32, v43, v35
	v_or_b32_e32 v35, 0x400000, v34
	v_cmp_u_f32_e32 vcc_lo, v34, v34
	v_add3_u32 v30, v30, v23, 0x7fff
	v_add3_u32 v34, v38, v24, 0x7fff
	v_bfe_u32 v37, v32, 16, 1
	v_and_b32_e32 v22, 0xffff0000, v22
	v_cndmask_b32_e32 v31, v31, v35, vcc_lo
	v_cmp_u_f32_e32 vcc_lo, v23, v23
	v_or_b32_e32 v35, 0x400000, v24
	v_add_f32_e32 v22, v22, v27
	v_and_b32_e32 v26, 0xffff0000, v31
	v_cndmask_b32_e32 v23, v30, v36, vcc_lo
	v_cmp_u_f32_e32 vcc_lo, v24, v24
	v_add3_u32 v30, v37, v32, 0x7fff
	v_or_b32_e32 v36, 0x400000, v32
	v_add_f32_e32 v21, v22, v21
	v_and_b32_e32 v23, 0xffff0000, v23
	v_cndmask_b32_e32 v24, v34, v35, vcc_lo
	v_cmp_u_f32_e32 vcc_lo, v32, v32
	v_add_f32_e32 v22, v23, v26
	v_and_b32_e32 v23, 0xffff0000, v24
	v_cndmask_b32_e32 v27, v30, v36, vcc_lo
	v_and_b32_e32 v30, 0xffff0000, v33
	v_and_b32_e32 v26, 0xffff0000, v13
	v_lshlrev_b32_e32 v13, 16, v13
	v_add_f32_e32 v21, v22, v21
	v_and_b32_e32 v24, 0xffff0000, v27
	v_add_f32_e32 v27, v28, v30
	v_mul_f32_e32 v13, v45, v13
	v_add_f32_e32 v22, v23, v24
	v_mul_f32_e32 v23, v0, v26
	v_add_f32_e32 v24, v27, v25
	v_and_b32_e32 v25, 0xffff0000, v14
	v_lshlrev_b32_e32 v14, 16, v14
	v_add_f32_e32 v21, v22, v21
	v_bfe_u32 v22, v23, 16, 1
	v_add_f32_e32 v82, v82, v24
	v_bfe_u32 v24, v13, 16, 1
	v_mul_f32_e32 v25, v41, v25
	v_add_f32_e32 v83, v83, v21
	v_add3_u32 v21, v22, v23, 0x7fff
	v_or_b32_e32 v22, 0x400000, v23
	v_cmp_u_f32_e32 vcc_lo, v23, v23
	v_add3_u32 v24, v24, v13, 0x7fff
	v_or_b32_e32 v26, 0x400000, v13
	v_mul_f32_e32 v14, v46, v14
	v_and_b32_e32 v23, 0xffff0000, v15
	v_cndmask_b32_e32 v21, v21, v22, vcc_lo
	v_bfe_u32 v22, v25, 16, 1
	v_cmp_u_f32_e32 vcc_lo, v13, v13
	v_lshlrev_b32_e32 v15, 16, v15
	v_mul_f32_e32 v23, v42, v23
	v_and_b32_e32 v27, 0xffff0000, v16
	v_add3_u32 v22, v22, v25, 0x7fff
	v_cndmask_b32_e32 v13, v24, v26, vcc_lo
	v_or_b32_e32 v24, 0x400000, v25
	v_bfe_u32 v26, v14, 16, 1
	v_cmp_u_f32_e32 vcc_lo, v25, v25
	v_mul_f32_e32 v15, v47, v15
	v_or_b32_e32 v25, 0x400000, v14
	v_lshlrev_b32_e32 v16, 16, v16
	v_and_b32_e32 v13, 0xffff0000, v13
	v_cndmask_b32_e32 v22, v22, v24, vcc_lo
	v_add3_u32 v24, v26, v14, 0x7fff
	v_bfe_u32 v26, v23, 16, 1
	v_cmp_u_f32_e32 vcc_lo, v14, v14
	v_bfe_u32 v28, v15, 16, 1
	v_mul_f32_e32 v16, v44, v16
	v_and_b32_e32 v21, 0xffff0000, v21
	v_and_b32_e32 v22, 0xffff0000, v22
	v_cndmask_b32_e32 v14, v24, v25, vcc_lo
	v_add3_u32 v24, v26, v23, 0x7fff
	v_mul_f32_e32 v25, v43, v27
	v_or_b32_e32 v26, 0x400000, v23
	v_cmp_u_f32_e32 vcc_lo, v23, v23
	v_add3_u32 v27, v28, v15, 0x7fff
	v_or_b32_e32 v28, 0x400000, v15
	v_bfe_u32 v29, v25, 16, 1
	v_and_b32_e32 v14, 0xffff0000, v14
	v_cndmask_b32_e32 v23, v24, v26, vcc_lo
	v_cmp_u_f32_e32 vcc_lo, v15, v15
	v_or_b32_e32 v26, 0x400000, v25
	v_add3_u32 v24, v29, v25, 0x7fff
	v_add_f32_e32 v13, v13, v21
	v_add_f32_e32 v14, v14, v22
	v_cndmask_b32_e32 v15, v27, v28, vcc_lo
	v_bfe_u32 v27, v16, 16, 1
	v_cmp_u_f32_e32 vcc_lo, v25, v25
	v_and_b32_e32 v22, 0xffff0000, v9
	v_and_b32_e32 v21, 0xffff0000, v23
	;; [unrolled: 1-line block ×3, first 2 shown]
	v_add3_u32 v25, v27, v16, 0x7fff
	v_cndmask_b32_e32 v24, v24, v26, vcc_lo
	v_or_b32_e32 v26, 0x400000, v16
	v_cmp_u_f32_e32 vcc_lo, v16, v16
	v_lshlrev_b32_e32 v9, 16, v9
	v_add_f32_e32 v13, v14, v13
	v_mul_f32_e32 v14, v0, v22
	v_add_f32_e32 v15, v15, v21
	v_cndmask_b32_e32 v16, v25, v26, vcc_lo
	v_mul_f32_e32 v21, v45, v9
	v_and_b32_e32 v22, 0xffff0000, v24
	v_bfe_u32 v23, v14, 16, 1
	v_and_b32_e32 v24, 0xffff0000, v10
	v_and_b32_e32 v16, 0xffff0000, v16
	v_add_f32_e32 v9, v15, v13
	v_bfe_u32 v15, v21, 16, 1
	v_lshlrev_b32_e32 v10, 16, v10
	v_cmp_u_f32_e32 vcc_lo, v14, v14
	v_add_f32_e32 v13, v16, v22
	v_add3_u32 v16, v23, v14, 0x7fff
	v_or_b32_e32 v22, 0x400000, v14
	v_mul_f32_e32 v23, v41, v24
	v_add3_u32 v15, v15, v21, 0x7fff
	v_or_b32_e32 v24, 0x400000, v21
	v_mul_f32_e32 v10, v46, v10
	v_cndmask_b32_e32 v14, v16, v22, vcc_lo
	v_bfe_u32 v16, v23, 16, 1
	v_cmp_u_f32_e32 vcc_lo, v21, v21
	v_and_b32_e32 v21, 0xffff0000, v11
	v_or_b32_e32 v22, 0x400000, v23
	v_lshlrev_b32_e32 v11, 16, v11
	v_add3_u32 v16, v16, v23, 0x7fff
	v_cndmask_b32_e32 v15, v15, v24, vcc_lo
	v_bfe_u32 v24, v10, 16, 1
	v_mul_f32_e32 v21, v42, v21
	v_cmp_u_f32_e32 vcc_lo, v23, v23
	v_mul_f32_e32 v11, v47, v11
	v_or_b32_e32 v23, 0x400000, v10
	v_and_b32_e32 v25, 0xffff0000, v12
	v_lshlrev_b32_e32 v12, 16, v12
	v_cndmask_b32_e32 v16, v16, v22, vcc_lo
	v_add3_u32 v22, v24, v10, 0x7fff
	v_bfe_u32 v24, v21, 16, 1
	v_cmp_u_f32_e32 vcc_lo, v10, v10
	v_bfe_u32 v26, v11, 16, 1
	v_mul_f32_e32 v12, v44, v12
	v_and_b32_e32 v15, 0xffff0000, v15
	v_and_b32_e32 v14, 0xffff0000, v14
	v_cndmask_b32_e32 v10, v22, v23, vcc_lo
	v_add3_u32 v22, v24, v21, 0x7fff
	v_mul_f32_e32 v23, v43, v25
	v_or_b32_e32 v24, 0x400000, v21
	v_cmp_u_f32_e32 vcc_lo, v21, v21
	v_add3_u32 v25, v26, v11, 0x7fff
	v_or_b32_e32 v26, 0x400000, v11
	v_bfe_u32 v27, v23, 16, 1
	v_and_b32_e32 v10, 0xffff0000, v10
	v_cndmask_b32_e32 v21, v22, v24, vcc_lo
	v_cmp_u_f32_e32 vcc_lo, v11, v11
	v_or_b32_e32 v24, 0x400000, v23
	v_add3_u32 v22, v27, v23, 0x7fff
	v_and_b32_e32 v16, 0xffff0000, v16
	v_add_f32_e32 v14, v15, v14
	v_cndmask_b32_e32 v11, v25, v26, vcc_lo
	v_bfe_u32 v25, v12, 16, 1
	v_cmp_u_f32_e32 vcc_lo, v23, v23
	v_add_f32_e32 v10, v10, v16
	v_and_b32_e32 v16, 0xffff0000, v5
	v_and_b32_e32 v11, 0xffff0000, v11
	v_add3_u32 v23, v25, v12, 0x7fff
	v_cndmask_b32_e32 v22, v22, v24, vcc_lo
	v_or_b32_e32 v24, 0x400000, v12
	v_cmp_u_f32_e32 vcc_lo, v12, v12
	v_and_b32_e32 v15, 0xffff0000, v21
	v_lshlrev_b32_e32 v5, 16, v5
	v_add_f32_e32 v10, v10, v14
	v_mul_f32_e32 v14, v0, v16
	v_cndmask_b32_e32 v12, v23, v24, vcc_lo
	v_add_f32_e32 v11, v11, v15
	v_mul_f32_e32 v15, v45, v5
	v_and_b32_e32 v16, 0xffff0000, v22
	v_and_b32_e32 v21, 0xffff0000, v6
	;; [unrolled: 1-line block ×3, first 2 shown]
	v_bfe_u32 v22, v14, 16, 1
	v_add_f32_e32 v5, v11, v10
	v_bfe_u32 v11, v15, 16, 1
	v_cmp_u_f32_e32 vcc_lo, v14, v14
	v_add_f32_e32 v10, v12, v16
	v_mul_f32_e32 v12, v41, v21
	v_add3_u32 v16, v22, v14, 0x7fff
	v_or_b32_e32 v21, 0x400000, v14
	v_add3_u32 v11, v11, v15, 0x7fff
	v_or_b32_e32 v22, 0x400000, v15
	v_bfe_u32 v23, v12, 16, 1
	v_lshlrev_b32_e32 v6, 16, v6
	v_cndmask_b32_e32 v14, v16, v21, vcc_lo
	v_cmp_u_f32_e32 vcc_lo, v15, v15
	v_or_b32_e32 v16, 0x400000, v12
	v_add3_u32 v15, v23, v12, 0x7fff
	v_mul_f32_e32 v6, v46, v6
	v_and_b32_e32 v21, 0xffff0000, v7
	v_cndmask_b32_e32 v11, v11, v22, vcc_lo
	v_cmp_u_f32_e32 vcc_lo, v12, v12
	v_lshlrev_b32_e32 v7, 16, v7
	v_bfe_u32 v22, v6, 16, 1
	v_and_b32_e32 v14, 0xffff0000, v14
	v_and_b32_e32 v11, 0xffff0000, v11
	v_cndmask_b32_e32 v12, v15, v16, vcc_lo
	v_mul_f32_e32 v15, v42, v21
	v_mul_f32_e32 v7, v47, v7
	v_add3_u32 v16, v22, v6, 0x7fff
	v_or_b32_e32 v21, 0x400000, v6
	v_and_b32_e32 v22, 0xffff0000, v8
	v_bfe_u32 v23, v15, 16, 1
	v_cmp_u_f32_e32 vcc_lo, v6, v6
	v_bfe_u32 v24, v7, 16, 1
	v_lshlrev_b32_e32 v8, 16, v8
	v_and_b32_e32 v12, 0xffff0000, v12
	v_add_f32_e32 v11, v11, v14
	v_cndmask_b32_e32 v6, v16, v21, vcc_lo
	v_mul_f32_e32 v16, v43, v22
	v_add3_u32 v21, v23, v15, 0x7fff
	v_or_b32_e32 v22, 0x400000, v15
	v_cmp_u_f32_e32 vcc_lo, v15, v15
	v_add3_u32 v23, v24, v7, 0x7fff
	v_or_b32_e32 v24, 0x400000, v7
	v_bfe_u32 v25, v16, 16, 1
	v_and_b32_e32 v6, 0xffff0000, v6
	v_cndmask_b32_e32 v15, v21, v22, vcc_lo
	v_cmp_u_f32_e32 vcc_lo, v7, v7
	v_or_b32_e32 v22, 0x400000, v16
	v_add3_u32 v21, v25, v16, 0x7fff
	v_mul_f32_e32 v8, v44, v8
	v_add_f32_e32 v6, v6, v12
	v_cndmask_b32_e32 v7, v23, v24, vcc_lo
	v_cmp_u_f32_e32 vcc_lo, v16, v16
	v_and_b32_e32 v12, 0xffff0000, v1
	v_and_b32_e32 v14, 0xffff0000, v15
	v_add_f32_e32 v6, v6, v11
	v_and_b32_e32 v7, 0xffff0000, v7
	v_cndmask_b32_e32 v16, v21, v22, vcc_lo
	v_bfe_u32 v21, v8, 16, 1
	v_mul_f32_e32 v11, v0, v12
	v_lshlrev_b32_e32 v1, 16, v1
	v_add_f32_e32 v7, v7, v14
	v_cmp_u_f32_e32 vcc_lo, v8, v8
	v_add3_u32 v15, v21, v8, 0x7fff
	v_or_b32_e32 v21, 0x400000, v8
	v_bfe_u32 v12, v11, 16, 1
	v_add_f32_e32 v6, v7, v6
	v_and_b32_e32 v7, 0xffff0000, v2
	v_mul_f32_e32 v1, v45, v1
	v_cndmask_b32_e32 v8, v15, v21, vcc_lo
	v_add3_u32 v12, v12, v11, 0x7fff
	v_or_b32_e32 v14, 0x400000, v11
	v_mul_f32_e32 v7, v41, v7
	v_and_b32_e32 v15, 0xffff0000, v16
	v_bfe_u32 v16, v1, 16, 1
	v_cmp_u_f32_e32 vcc_lo, v11, v11
	v_lshlrev_b32_e32 v2, 16, v2
	v_or_b32_e32 v21, 0x400000, v1
	v_or_b32_e32 v22, 0x400000, v7
	v_and_b32_e32 v8, 0xffff0000, v8
	v_cndmask_b32_e32 v11, v12, v14, vcc_lo
	v_bfe_u32 v12, v7, 16, 1
	v_add3_u32 v14, v16, v1, 0x7fff
	v_and_b32_e32 v16, 0xffff0000, v3
	v_mul_f32_e32 v2, v46, v2
	v_cmp_u_f32_e32 vcc_lo, v1, v1
	v_add3_u32 v12, v12, v7, 0x7fff
	v_lshlrev_b32_e32 v3, 16, v3
	v_mul_f32_e32 v16, v42, v16
	v_and_b32_e32 v11, 0xffff0000, v11
	v_cndmask_b32_e32 v1, v14, v21, vcc_lo
	v_bfe_u32 v14, v2, 16, 1
	v_cmp_u_f32_e32 vcc_lo, v7, v7
	v_and_b32_e32 v21, 0xffff0000, v4
	v_mul_f32_e32 v3, v47, v3
	v_or_b32_e32 v23, 0x400000, v16
	v_add3_u32 v14, v14, v2, 0x7fff
	v_cndmask_b32_e32 v7, v12, v22, vcc_lo
	v_bfe_u32 v12, v16, 16, 1
	v_or_b32_e32 v22, 0x400000, v2
	v_cmp_u_f32_e32 vcc_lo, v2, v2
	v_mul_f32_e32 v21, v43, v21
	v_lshlrev_b32_e32 v4, 16, v4
	v_add3_u32 v12, v12, v16, 0x7fff
	v_and_b32_e32 v1, 0xffff0000, v1
	v_cndmask_b32_e32 v2, v14, v22, vcc_lo
	v_bfe_u32 v14, v3, 16, 1
	v_cmp_u_f32_e32 vcc_lo, v16, v16
	v_bfe_u32 v22, v21, 16, 1
	v_or_b32_e32 v16, 0x400000, v3
	v_mul_f32_e32 v4, v44, v4
	v_add3_u32 v14, v14, v3, 0x7fff
	v_cndmask_b32_e32 v12, v12, v23, vcc_lo
	v_cmp_u_f32_e32 vcc_lo, v3, v3
	v_add3_u32 v22, v22, v21, 0x7fff
	v_or_b32_e32 v23, 0x400000, v21
	v_and_b32_e32 v2, 0xffff0000, v2
	v_and_b32_e32 v7, 0xffff0000, v7
	v_cndmask_b32_e32 v3, v14, v16, vcc_lo
	v_cmp_u_f32_e32 vcc_lo, v21, v21
	v_bfe_u32 v16, v4, 16, 1
	v_add_f32_e32 v1, v1, v11
	v_add_f32_e32 v2, v2, v7
	v_and_b32_e32 v3, 0xffff0000, v3
	v_cndmask_b32_e32 v14, v22, v23, vcc_lo
	s_waitcnt vmcnt(0)
	v_lshlrev_b32_e32 v22, 16, v17
	v_and_b32_e32 v7, 0xffff0000, v12
	v_and_b32_e32 v12, 0xffff0000, v17
	v_add3_u32 v16, v16, v4, 0x7fff
	v_or_b32_e32 v21, 0x400000, v4
	v_mul_f32_e32 v11, v45, v22
	v_cmp_u_f32_e32 vcc_lo, v4, v4
	v_add_f32_e32 v1, v2, v1
	v_add_f32_e32 v3, v3, v7
	v_mul_f32_e32 v0, v0, v12
	v_bfe_u32 v2, v11, 16, 1
	v_lshlrev_b32_e32 v7, 16, v18
	v_cndmask_b32_e32 v4, v16, v21, vcc_lo
	v_or_b32_e32 v12, 0x400000, v11
	v_bfe_u32 v16, v0, 16, 1
	v_add3_u32 v2, v2, v11, 0x7fff
	v_mul_f32_e32 v7, v46, v7
	v_and_b32_e32 v17, 0xffff0000, v18
	v_cmp_u_f32_e32 vcc_lo, v11, v11
	v_add3_u32 v11, v16, v0, 0x7fff
	v_lshlrev_b32_e32 v18, 16, v19
	v_bfe_u32 v16, v7, 16, 1
	v_mul_f32_e32 v17, v41, v17
	v_cndmask_b32_e32 v2, v2, v12, vcc_lo
	v_or_b32_e32 v12, 0x400000, v0
	v_cmp_u_f32_e32 vcc_lo, v0, v0
	v_mul_f32_e32 v18, v47, v18
	v_and_b32_e32 v19, 0xffff0000, v19
	v_lshlrev_b32_e32 v21, 16, v20
	v_and_b32_e32 v20, 0xffff0000, v20
	v_cndmask_b32_e32 v0, v11, v12, vcc_lo
	v_add3_u32 v11, v16, v7, 0x7fff
	v_or_b32_e32 v12, 0x400000, v7
	v_bfe_u32 v16, v17, 16, 1
	v_cmp_u_f32_e32 vcc_lo, v7, v7
	v_mul_f32_e32 v19, v42, v19
	v_mul_f32_e32 v20, v43, v20
	v_and_b32_e32 v0, 0xffff0000, v0
	v_and_b32_e32 v2, 0xffff0000, v2
	v_cndmask_b32_e32 v7, v11, v12, vcc_lo
	v_add3_u32 v11, v16, v17, 0x7fff
	v_or_b32_e32 v12, 0x400000, v17
	v_bfe_u32 v16, v18, 16, 1
	v_cmp_u_f32_e32 vcc_lo, v17, v17
	v_mul_f32_e32 v17, v44, v21
	v_or_b32_e32 v21, 0x400000, v18
	v_or_b32_e32 v22, 0x400000, v19
	v_add3_u32 v16, v16, v18, 0x7fff
	v_cndmask_b32_e32 v11, v11, v12, vcc_lo
	v_bfe_u32 v12, v19, 16, 1
	v_cmp_u_f32_e32 vcc_lo, v18, v18
	v_bfe_u32 v24, v20, 16, 1
	v_bfe_u32 v23, v17, 16, 1
	v_and_b32_e32 v11, 0xffff0000, v11
	v_add3_u32 v12, v12, v19, 0x7fff
	v_cndmask_b32_e32 v16, v16, v21, vcc_lo
	v_cmp_u_f32_e32 vcc_lo, v19, v19
	v_add3_u32 v19, v24, v20, 0x7fff
	v_or_b32_e32 v21, 0x400000, v20
	v_add3_u32 v18, v23, v17, 0x7fff
	v_and_b32_e32 v7, 0xffff0000, v7
	v_cndmask_b32_e32 v12, v12, v22, vcc_lo
	v_cmp_u_f32_e32 vcc_lo, v20, v20
	v_or_b32_e32 v22, 0x400000, v17
	v_add_f32_e32 v0, v2, v0
	v_add_f32_e32 v2, v7, v11
	v_and_b32_e32 v7, 0xffff0000, v12
	v_cndmask_b32_e32 v19, v19, v21, vcc_lo
	v_cmp_u_f32_e32 vcc_lo, v17, v17
	v_and_b32_e32 v11, 0xffff0000, v16
	v_and_b32_e32 v4, 0xffff0000, v4
	;; [unrolled: 1-line block ×3, first 2 shown]
	v_add_f32_e32 v0, v2, v0
	v_cndmask_b32_e32 v12, v18, v22, vcc_lo
	v_add_f32_e32 v2, v11, v7
	v_and_b32_e32 v7, 0xffff0000, v19
	v_add_f32_e32 v8, v8, v15
	v_add_f32_e32 v1, v3, v1
	v_and_b32_e32 v11, 0xffff0000, v12
	v_add_f32_e32 v3, v4, v14
	v_add_f32_e32 v0, v2, v0
	;; [unrolled: 1-line block ×13, first 2 shown]
.LBB175_37:                             ;   in Loop: Header=BB175_38 Depth=1
	s_or_b32 exec_lo, exec_lo, s15
	v_add_nc_u32_e32 v65, 4, v65
	v_add_co_u32 v66, s0, v66, 16
	v_add_co_ci_u32_e64 v67, null, 0, v67, s0
	v_cmp_le_i32_e32 vcc_lo, s16, v65
	v_add_nc_u32_e32 v70, 0x80, v70
	v_add_nc_u32_e32 v92, 0x200, v92
	s_or_b32 s13, vcc_lo, s13
	s_andn2_b32 exec_lo, exec_lo, s13
	s_cbranch_execz .LBB175_67
.LBB175_38:                             ; =>This Inner Loop Header: Depth=1
	v_sub_nc_u32_e32 v0, 0, v70
	v_max_i32_e32 v0, v70, v0
	v_mul_hi_u32 v1, v0, s12
	v_mul_lo_u32 v2, v1, s11
	v_sub_nc_u32_e32 v0, v0, v2
	v_add_nc_u32_e32 v2, 1, v1
	v_subrev_nc_u32_e32 v3, s11, v0
	v_cmp_le_u32_e32 vcc_lo, s11, v0
	v_cndmask_b32_e32 v1, v1, v2, vcc_lo
	v_cndmask_b32_e32 v0, v0, v3, vcc_lo
	v_ashrrev_i32_e32 v2, 31, v70
	v_add_nc_u32_e32 v3, 1, v1
	v_cmp_le_u32_e32 vcc_lo, s11, v0
	v_xor_b32_e32 v2, s19, v2
	v_cndmask_b32_e32 v0, v1, v3, vcc_lo
	v_xor_b32_e32 v0, v0, v2
	v_sub_nc_u32_e32 v0, v0, v2
	v_add_nc_u32_e32 v1, s33, v0
	v_cmp_lt_i32_e64 s0, s5, v0
	v_sub_nc_u32_e32 v2, 0, v1
	v_max_i32_e32 v2, v1, v2
	v_ashrrev_i32_e32 v1, 31, v1
	v_mul_hi_u32 v3, v2, v93
	v_mul_lo_u32 v3, v3, s6
	v_sub_nc_u32_e32 v2, v2, v3
	v_subrev_nc_u32_e32 v3, s6, v2
	v_cmp_le_u32_e32 vcc_lo, s6, v2
	v_cndmask_b32_e32 v2, v2, v3, vcc_lo
	v_subrev_nc_u32_e32 v3, s6, v2
	v_cmp_le_u32_e32 vcc_lo, s6, v2
	v_cndmask_b32_e32 v2, v2, v3, vcc_lo
	v_xor_b32_e32 v2, v2, v1
	v_sub_nc_u32_e32 v1, v2, v1
	v_cmp_eq_u32_e32 vcc_lo, 0, v1
	s_or_b32 s0, vcc_lo, s0
	s_and_saveexec_b32 s15, s0
	s_cbranch_execz .LBB175_37
; %bb.39:                               ;   in Loop: Header=BB175_38 Depth=1
	global_load_dword v0, v[66:67], off
	v_add_nc_u32_e32 v95, v89, v70
	v_cmp_eq_u32_e64 s0, s36, v65
	v_add_nc_u32_e32 v98, 1, v95
	v_or_b32_e32 v96, 3, v95
	v_or_b32_e32 v97, 2, v95
	;; [unrolled: 1-line block ×5, first 2 shown]
	s_waitcnt vmcnt(0)
	v_mad_i64_i32 v[0:1], null, v0, s9, 0
	v_lshlrev_b64 v[0:1], 1, v[0:1]
	v_add_co_u32 v17, vcc_lo, v90, v0
	v_add_co_ci_u32_e64 v18, null, v91, v1, vcc_lo
	v_or_b32_e32 v0, 6, v95
	global_load_dwordx4 v[1:4], v[17:18], off
	ds_read2_b64 v[45:48], v92 offset1:1
	ds_read2_b64 v[41:44], v92 offset0:2 offset1:3
	s_and_saveexec_b32 s17, s0
	s_cbranch_execnz .LBB175_58
; %bb.40:                               ;   in Loop: Header=BB175_38 Depth=1
	s_or_b32 exec_lo, exec_lo, s17
	global_load_dwordx4 v[5:8], v[17:18], off offset:512
	s_and_saveexec_b32 s17, s0
	s_cbranch_execnz .LBB175_59
.LBB175_41:                             ;   in Loop: Header=BB175_38 Depth=1
	s_or_b32 exec_lo, exec_lo, s17
	global_load_dwordx4 v[9:12], v[17:18], off offset:1024
	s_and_saveexec_b32 s17, s0
	s_cbranch_execnz .LBB175_60
.LBB175_42:                             ;   in Loop: Header=BB175_38 Depth=1
	s_or_b32 exec_lo, exec_lo, s17
	global_load_dwordx4 v[13:16], v[17:18], off offset:1536
	s_and_saveexec_b32 s17, s0
	s_cbranch_execz .LBB175_44
.LBB175_43:                             ;   in Loop: Header=BB175_38 Depth=1
	v_cmp_gt_i32_e64 s1, s27, v95
	v_cmp_gt_i32_e32 vcc_lo, s14, v98
	v_cmp_gt_i32_e64 s2, s27, v97
	s_waitcnt vmcnt(0)
	v_cndmask_b32_e64 v19, 0, v13, s1
	v_cmp_gt_i32_e64 s1, s14, v96
	v_cndmask_b32_sdwa v13, v88, v13, vcc_lo dst_sel:DWORD dst_unused:UNUSED_PAD src0_sel:DWORD src1_sel:WORD_1
	v_cndmask_b32_e64 v20, 0, v14, s2
	v_cmp_gt_i32_e64 s2, s14, v94
	s_mov_b32 vcc_lo, s1
	v_cmp_gt_i32_e64 s1, s14, v68
	v_cndmask_b32_sdwa v14, v88, v14, vcc_lo dst_sel:DWORD dst_unused:UNUSED_PAD src0_sel:DWORD src1_sel:WORD_1
	v_cmp_gt_i32_e32 vcc_lo, s27, v69
	v_perm_b32 v13, v13, v19, 0x5040100
	v_perm_b32 v14, v14, v20, 0x5040100
	v_cndmask_b32_e32 v21, 0, v15, vcc_lo
	s_mov_b32 vcc_lo, s2
	v_cndmask_b32_sdwa v15, v88, v15, vcc_lo dst_sel:DWORD dst_unused:UNUSED_PAD src0_sel:DWORD src1_sel:WORD_1
	v_cmp_gt_i32_e32 vcc_lo, s27, v0
	v_perm_b32 v15, v15, v21, 0x5040100
	v_cndmask_b32_e32 v22, 0, v16, vcc_lo
	s_mov_b32 vcc_lo, s1
	v_cndmask_b32_sdwa v16, v88, v16, vcc_lo dst_sel:DWORD dst_unused:UNUSED_PAD src0_sel:DWORD src1_sel:WORD_1
	v_perm_b32 v16, v16, v22, 0x5040100
.LBB175_44:                             ;   in Loop: Header=BB175_38 Depth=1
	s_or_b32 exec_lo, exec_lo, s17
	v_add_co_u32 v19, vcc_lo, 0x800, v17
	v_add_co_ci_u32_e64 v20, null, 0, v18, vcc_lo
	global_load_dwordx4 v[21:24], v[19:20], off
	s_and_saveexec_b32 s17, s0
	s_cbranch_execnz .LBB175_61
; %bb.45:                               ;   in Loop: Header=BB175_38 Depth=1
	s_or_b32 exec_lo, exec_lo, s17
	global_load_dwordx4 v[25:28], v[19:20], off offset:512
	s_and_saveexec_b32 s17, s0
	s_cbranch_execnz .LBB175_62
.LBB175_46:                             ;   in Loop: Header=BB175_38 Depth=1
	s_or_b32 exec_lo, exec_lo, s17
	global_load_dwordx4 v[29:32], v[19:20], off offset:1024
	s_and_saveexec_b32 s17, s0
	s_cbranch_execnz .LBB175_63
.LBB175_47:                             ;   in Loop: Header=BB175_38 Depth=1
	s_or_b32 exec_lo, exec_lo, s17
	global_load_dwordx4 v[33:36], v[19:20], off offset:1536
	s_and_saveexec_b32 s17, s0
	s_cbranch_execz .LBB175_49
.LBB175_48:                             ;   in Loop: Header=BB175_38 Depth=1
	v_cmp_gt_i32_e64 s1, s27, v95
	v_cmp_gt_i32_e32 vcc_lo, s14, v98
	v_cmp_gt_i32_e64 s2, s27, v97
	s_waitcnt vmcnt(0)
	v_cndmask_b32_e64 v19, 0, v33, s1
	v_cmp_gt_i32_e64 s1, s14, v96
	v_cndmask_b32_sdwa v33, v88, v33, vcc_lo dst_sel:DWORD dst_unused:UNUSED_PAD src0_sel:DWORD src1_sel:WORD_1
	v_cndmask_b32_e64 v20, 0, v34, s2
	v_cmp_gt_i32_e64 s2, s14, v94
	s_mov_b32 vcc_lo, s1
	v_cmp_gt_i32_e64 s1, s14, v68
	v_cndmask_b32_sdwa v34, v88, v34, vcc_lo dst_sel:DWORD dst_unused:UNUSED_PAD src0_sel:DWORD src1_sel:WORD_1
	v_cmp_gt_i32_e32 vcc_lo, s27, v69
	v_perm_b32 v33, v33, v19, 0x5040100
	v_perm_b32 v34, v34, v20, 0x5040100
	v_cndmask_b32_e32 v37, 0, v35, vcc_lo
	s_mov_b32 vcc_lo, s2
	v_cndmask_b32_sdwa v35, v88, v35, vcc_lo dst_sel:DWORD dst_unused:UNUSED_PAD src0_sel:DWORD src1_sel:WORD_1
	v_cmp_gt_i32_e32 vcc_lo, s27, v0
	v_perm_b32 v35, v35, v37, 0x5040100
	v_cndmask_b32_e32 v38, 0, v36, vcc_lo
	s_mov_b32 vcc_lo, s1
	v_cndmask_b32_sdwa v36, v88, v36, vcc_lo dst_sel:DWORD dst_unused:UNUSED_PAD src0_sel:DWORD src1_sel:WORD_1
	v_perm_b32 v36, v36, v38, 0x5040100
.LBB175_49:                             ;   in Loop: Header=BB175_38 Depth=1
	s_or_b32 exec_lo, exec_lo, s17
	v_add_co_u32 v19, vcc_lo, 0x1000, v17
	v_add_co_ci_u32_e64 v20, null, 0, v18, vcc_lo
	global_load_dwordx4 v[37:40], v[19:20], off
	s_and_saveexec_b32 s17, s0
	s_cbranch_execnz .LBB175_64
; %bb.50:                               ;   in Loop: Header=BB175_38 Depth=1
	s_or_b32 exec_lo, exec_lo, s17
	global_load_dwordx4 v[49:52], v[19:20], off offset:512
	s_and_saveexec_b32 s17, s0
	s_cbranch_execnz .LBB175_65
.LBB175_51:                             ;   in Loop: Header=BB175_38 Depth=1
	s_or_b32 exec_lo, exec_lo, s17
	global_load_dwordx4 v[53:56], v[19:20], off offset:1024
	s_and_saveexec_b32 s17, s0
	s_cbranch_execnz .LBB175_66
.LBB175_52:                             ;   in Loop: Header=BB175_38 Depth=1
	s_or_b32 exec_lo, exec_lo, s17
	global_load_dwordx4 v[57:60], v[19:20], off offset:1536
	s_and_saveexec_b32 s17, s0
	s_cbranch_execz .LBB175_54
.LBB175_53:                             ;   in Loop: Header=BB175_38 Depth=1
	v_cmp_gt_i32_e64 s1, s27, v95
	v_cmp_gt_i32_e32 vcc_lo, s14, v98
	v_cmp_gt_i32_e64 s2, s27, v97
	s_waitcnt vmcnt(0)
	v_cndmask_b32_e64 v19, 0, v57, s1
	v_cmp_gt_i32_e64 s1, s14, v96
	v_cndmask_b32_sdwa v57, v88, v57, vcc_lo dst_sel:DWORD dst_unused:UNUSED_PAD src0_sel:DWORD src1_sel:WORD_1
	v_cndmask_b32_e64 v20, 0, v58, s2
	v_cmp_gt_i32_e64 s2, s14, v94
	s_mov_b32 vcc_lo, s1
	v_cmp_gt_i32_e64 s1, s14, v68
	v_cndmask_b32_sdwa v58, v88, v58, vcc_lo dst_sel:DWORD dst_unused:UNUSED_PAD src0_sel:DWORD src1_sel:WORD_1
	v_cmp_gt_i32_e32 vcc_lo, s27, v69
	v_perm_b32 v57, v57, v19, 0x5040100
	v_perm_b32 v58, v58, v20, 0x5040100
	v_cndmask_b32_e32 v61, 0, v59, vcc_lo
	s_mov_b32 vcc_lo, s2
	v_cndmask_b32_sdwa v59, v88, v59, vcc_lo dst_sel:DWORD dst_unused:UNUSED_PAD src0_sel:DWORD src1_sel:WORD_1
	v_cmp_gt_i32_e32 vcc_lo, s27, v0
	v_perm_b32 v59, v59, v61, 0x5040100
	v_cndmask_b32_e32 v62, 0, v60, vcc_lo
	s_mov_b32 vcc_lo, s1
	v_cndmask_b32_sdwa v60, v88, v60, vcc_lo dst_sel:DWORD dst_unused:UNUSED_PAD src0_sel:DWORD src1_sel:WORD_1
	v_perm_b32 v60, v60, v62, 0x5040100
.LBB175_54:                             ;   in Loop: Header=BB175_38 Depth=1
	s_or_b32 exec_lo, exec_lo, s17
	v_add_co_u32 v17, vcc_lo, 0x1800, v17
	v_add_co_ci_u32_e64 v18, null, 0, v18, vcc_lo
	global_load_dwordx4 v[61:64], v[17:18], off
	s_and_saveexec_b32 s17, s0
	s_cbranch_execz .LBB175_56
; %bb.55:                               ;   in Loop: Header=BB175_38 Depth=1
	v_cmp_gt_i32_e64 s1, s27, v95
	v_cmp_gt_i32_e32 vcc_lo, s14, v98
	v_cmp_gt_i32_e64 s2, s27, v97
	s_waitcnt vmcnt(0)
	v_cndmask_b32_e64 v19, 0, v61, s1
	v_cmp_gt_i32_e64 s1, s14, v96
	v_cndmask_b32_sdwa v61, v88, v61, vcc_lo dst_sel:DWORD dst_unused:UNUSED_PAD src0_sel:DWORD src1_sel:WORD_1
	v_cndmask_b32_e64 v20, 0, v62, s2
	v_cmp_gt_i32_e64 s2, s14, v94
	s_mov_b32 vcc_lo, s1
	v_cmp_gt_i32_e64 s1, s14, v68
	v_cndmask_b32_sdwa v62, v88, v62, vcc_lo dst_sel:DWORD dst_unused:UNUSED_PAD src0_sel:DWORD src1_sel:WORD_1
	v_cmp_gt_i32_e32 vcc_lo, s27, v69
	v_perm_b32 v61, v61, v19, 0x5040100
	v_perm_b32 v62, v62, v20, 0x5040100
	v_cndmask_b32_e32 v99, 0, v63, vcc_lo
	s_mov_b32 vcc_lo, s2
	v_cndmask_b32_sdwa v63, v88, v63, vcc_lo dst_sel:DWORD dst_unused:UNUSED_PAD src0_sel:DWORD src1_sel:WORD_1
	v_cmp_gt_i32_e32 vcc_lo, s27, v0
	v_perm_b32 v63, v63, v99, 0x5040100
	v_cndmask_b32_e32 v100, 0, v64, vcc_lo
	s_mov_b32 vcc_lo, s1
	v_cndmask_b32_sdwa v64, v88, v64, vcc_lo dst_sel:DWORD dst_unused:UNUSED_PAD src0_sel:DWORD src1_sel:WORD_1
	v_perm_b32 v64, v64, v100, 0x5040100
.LBB175_56:                             ;   in Loop: Header=BB175_38 Depth=1
	s_or_b32 exec_lo, exec_lo, s17
	global_load_dwordx4 v[17:20], v[17:18], off offset:512
	s_and_saveexec_b32 s2, s0
	s_cbranch_execz .LBB175_36
; %bb.57:                               ;   in Loop: Header=BB175_38 Depth=1
	v_cmp_gt_i32_e64 s0, s27, v95
	v_cmp_gt_i32_e32 vcc_lo, s14, v98
	v_cmp_gt_i32_e64 s1, s27, v97
	s_waitcnt vmcnt(0)
	v_cndmask_b32_e64 v95, 0, v17, s0
	v_cmp_gt_i32_e64 s0, s14, v96
	v_cndmask_b32_sdwa v17, v88, v17, vcc_lo dst_sel:DWORD dst_unused:UNUSED_PAD src0_sel:DWORD src1_sel:WORD_1
	v_cndmask_b32_e64 v96, 0, v18, s1
	v_cmp_gt_i32_e64 s1, s14, v94
	s_mov_b32 vcc_lo, s0
	v_cmp_gt_i32_e64 s0, s14, v68
	v_cndmask_b32_sdwa v18, v88, v18, vcc_lo dst_sel:DWORD dst_unused:UNUSED_PAD src0_sel:DWORD src1_sel:WORD_1
	v_cmp_gt_i32_e32 vcc_lo, s27, v69
	v_perm_b32 v17, v17, v95, 0x5040100
	v_perm_b32 v18, v18, v96, 0x5040100
	v_cndmask_b32_e32 v69, 0, v19, vcc_lo
	s_mov_b32 vcc_lo, s1
	v_cndmask_b32_sdwa v19, v88, v19, vcc_lo dst_sel:DWORD dst_unused:UNUSED_PAD src0_sel:DWORD src1_sel:WORD_1
	v_cmp_gt_i32_e32 vcc_lo, s27, v0
	v_perm_b32 v19, v19, v69, 0x5040100
	v_cndmask_b32_e32 v0, 0, v20, vcc_lo
	s_mov_b32 vcc_lo, s0
	v_cndmask_b32_sdwa v20, v88, v20, vcc_lo dst_sel:DWORD dst_unused:UNUSED_PAD src0_sel:DWORD src1_sel:WORD_1
	v_perm_b32 v20, v20, v0, 0x5040100
	s_branch .LBB175_36
.LBB175_58:                             ;   in Loop: Header=BB175_38 Depth=1
	v_cmp_gt_i32_e64 s1, s27, v95
	v_cmp_gt_i32_e32 vcc_lo, s14, v98
	v_cmp_gt_i32_e64 s2, s27, v97
	s_waitcnt vmcnt(0)
	v_cndmask_b32_e64 v5, 0, v1, s1
	v_cmp_gt_i32_e64 s1, s14, v96
	v_cndmask_b32_sdwa v1, v88, v1, vcc_lo dst_sel:DWORD dst_unused:UNUSED_PAD src0_sel:DWORD src1_sel:WORD_1
	v_cndmask_b32_e64 v6, 0, v2, s2
	v_cmp_gt_i32_e64 s2, s14, v94
	s_mov_b32 vcc_lo, s1
	v_cmp_gt_i32_e64 s1, s14, v68
	v_cndmask_b32_sdwa v2, v88, v2, vcc_lo dst_sel:DWORD dst_unused:UNUSED_PAD src0_sel:DWORD src1_sel:WORD_1
	v_cmp_gt_i32_e32 vcc_lo, s27, v69
	v_perm_b32 v1, v1, v5, 0x5040100
	v_perm_b32 v2, v2, v6, 0x5040100
	v_cndmask_b32_e32 v7, 0, v3, vcc_lo
	s_mov_b32 vcc_lo, s2
	v_cndmask_b32_sdwa v3, v88, v3, vcc_lo dst_sel:DWORD dst_unused:UNUSED_PAD src0_sel:DWORD src1_sel:WORD_1
	v_cmp_gt_i32_e32 vcc_lo, s27, v0
	v_perm_b32 v3, v3, v7, 0x5040100
	v_cndmask_b32_e32 v8, 0, v4, vcc_lo
	s_mov_b32 vcc_lo, s1
	v_cndmask_b32_sdwa v4, v88, v4, vcc_lo dst_sel:DWORD dst_unused:UNUSED_PAD src0_sel:DWORD src1_sel:WORD_1
	v_perm_b32 v4, v4, v8, 0x5040100
	s_or_b32 exec_lo, exec_lo, s17
	global_load_dwordx4 v[5:8], v[17:18], off offset:512
	s_and_saveexec_b32 s17, s0
	s_cbranch_execz .LBB175_41
.LBB175_59:                             ;   in Loop: Header=BB175_38 Depth=1
	v_cmp_gt_i32_e64 s1, s27, v95
	v_cmp_gt_i32_e32 vcc_lo, s14, v98
	v_cmp_gt_i32_e64 s2, s27, v97
	s_waitcnt vmcnt(0)
	v_cndmask_b32_e64 v9, 0, v5, s1
	v_cmp_gt_i32_e64 s1, s14, v96
	v_cndmask_b32_sdwa v5, v88, v5, vcc_lo dst_sel:DWORD dst_unused:UNUSED_PAD src0_sel:DWORD src1_sel:WORD_1
	v_cndmask_b32_e64 v10, 0, v6, s2
	v_cmp_gt_i32_e64 s2, s14, v94
	s_mov_b32 vcc_lo, s1
	v_cmp_gt_i32_e64 s1, s14, v68
	v_cndmask_b32_sdwa v6, v88, v6, vcc_lo dst_sel:DWORD dst_unused:UNUSED_PAD src0_sel:DWORD src1_sel:WORD_1
	v_cmp_gt_i32_e32 vcc_lo, s27, v69
	v_perm_b32 v5, v5, v9, 0x5040100
	v_perm_b32 v6, v6, v10, 0x5040100
	v_cndmask_b32_e32 v11, 0, v7, vcc_lo
	s_mov_b32 vcc_lo, s2
	v_cndmask_b32_sdwa v7, v88, v7, vcc_lo dst_sel:DWORD dst_unused:UNUSED_PAD src0_sel:DWORD src1_sel:WORD_1
	v_cmp_gt_i32_e32 vcc_lo, s27, v0
	v_perm_b32 v7, v7, v11, 0x5040100
	v_cndmask_b32_e32 v12, 0, v8, vcc_lo
	s_mov_b32 vcc_lo, s1
	v_cndmask_b32_sdwa v8, v88, v8, vcc_lo dst_sel:DWORD dst_unused:UNUSED_PAD src0_sel:DWORD src1_sel:WORD_1
	v_perm_b32 v8, v8, v12, 0x5040100
	s_or_b32 exec_lo, exec_lo, s17
	global_load_dwordx4 v[9:12], v[17:18], off offset:1024
	s_and_saveexec_b32 s17, s0
	s_cbranch_execz .LBB175_42
.LBB175_60:                             ;   in Loop: Header=BB175_38 Depth=1
	v_cmp_gt_i32_e64 s1, s27, v95
	v_cmp_gt_i32_e32 vcc_lo, s14, v98
	v_cmp_gt_i32_e64 s2, s27, v97
	s_waitcnt vmcnt(0)
	v_cndmask_b32_e64 v13, 0, v9, s1
	v_cmp_gt_i32_e64 s1, s14, v96
	v_cndmask_b32_sdwa v9, v88, v9, vcc_lo dst_sel:DWORD dst_unused:UNUSED_PAD src0_sel:DWORD src1_sel:WORD_1
	v_cndmask_b32_e64 v14, 0, v10, s2
	v_cmp_gt_i32_e64 s2, s14, v94
	s_mov_b32 vcc_lo, s1
	v_cmp_gt_i32_e64 s1, s14, v68
	v_cndmask_b32_sdwa v10, v88, v10, vcc_lo dst_sel:DWORD dst_unused:UNUSED_PAD src0_sel:DWORD src1_sel:WORD_1
	v_cmp_gt_i32_e32 vcc_lo, s27, v69
	v_perm_b32 v9, v9, v13, 0x5040100
	v_perm_b32 v10, v10, v14, 0x5040100
	v_cndmask_b32_e32 v15, 0, v11, vcc_lo
	s_mov_b32 vcc_lo, s2
	v_cndmask_b32_sdwa v11, v88, v11, vcc_lo dst_sel:DWORD dst_unused:UNUSED_PAD src0_sel:DWORD src1_sel:WORD_1
	v_cmp_gt_i32_e32 vcc_lo, s27, v0
	v_perm_b32 v11, v11, v15, 0x5040100
	v_cndmask_b32_e32 v16, 0, v12, vcc_lo
	s_mov_b32 vcc_lo, s1
	v_cndmask_b32_sdwa v12, v88, v12, vcc_lo dst_sel:DWORD dst_unused:UNUSED_PAD src0_sel:DWORD src1_sel:WORD_1
	v_perm_b32 v12, v12, v16, 0x5040100
	s_or_b32 exec_lo, exec_lo, s17
	global_load_dwordx4 v[13:16], v[17:18], off offset:1536
	s_and_saveexec_b32 s17, s0
	s_cbranch_execnz .LBB175_43
	s_branch .LBB175_44
.LBB175_61:                             ;   in Loop: Header=BB175_38 Depth=1
	v_cmp_gt_i32_e64 s1, s27, v95
	v_cmp_gt_i32_e32 vcc_lo, s14, v98
	v_cmp_gt_i32_e64 s2, s27, v97
	s_waitcnt vmcnt(0)
	v_cndmask_b32_e64 v25, 0, v21, s1
	v_cmp_gt_i32_e64 s1, s14, v96
	v_cndmask_b32_sdwa v21, v88, v21, vcc_lo dst_sel:DWORD dst_unused:UNUSED_PAD src0_sel:DWORD src1_sel:WORD_1
	v_cndmask_b32_e64 v26, 0, v22, s2
	v_cmp_gt_i32_e64 s2, s14, v94
	s_mov_b32 vcc_lo, s1
	v_cmp_gt_i32_e64 s1, s14, v68
	v_cndmask_b32_sdwa v22, v88, v22, vcc_lo dst_sel:DWORD dst_unused:UNUSED_PAD src0_sel:DWORD src1_sel:WORD_1
	v_cmp_gt_i32_e32 vcc_lo, s27, v69
	v_perm_b32 v21, v21, v25, 0x5040100
	v_perm_b32 v22, v22, v26, 0x5040100
	v_cndmask_b32_e32 v27, 0, v23, vcc_lo
	s_mov_b32 vcc_lo, s2
	v_cndmask_b32_sdwa v23, v88, v23, vcc_lo dst_sel:DWORD dst_unused:UNUSED_PAD src0_sel:DWORD src1_sel:WORD_1
	v_cmp_gt_i32_e32 vcc_lo, s27, v0
	v_perm_b32 v23, v23, v27, 0x5040100
	v_cndmask_b32_e32 v28, 0, v24, vcc_lo
	s_mov_b32 vcc_lo, s1
	v_cndmask_b32_sdwa v24, v88, v24, vcc_lo dst_sel:DWORD dst_unused:UNUSED_PAD src0_sel:DWORD src1_sel:WORD_1
	v_perm_b32 v24, v24, v28, 0x5040100
	s_or_b32 exec_lo, exec_lo, s17
	global_load_dwordx4 v[25:28], v[19:20], off offset:512
	s_and_saveexec_b32 s17, s0
	s_cbranch_execz .LBB175_46
.LBB175_62:                             ;   in Loop: Header=BB175_38 Depth=1
	v_cmp_gt_i32_e64 s1, s27, v95
	v_cmp_gt_i32_e32 vcc_lo, s14, v98
	v_cmp_gt_i32_e64 s2, s27, v97
	s_waitcnt vmcnt(0)
	v_cndmask_b32_e64 v29, 0, v25, s1
	v_cmp_gt_i32_e64 s1, s14, v96
	v_cndmask_b32_sdwa v25, v88, v25, vcc_lo dst_sel:DWORD dst_unused:UNUSED_PAD src0_sel:DWORD src1_sel:WORD_1
	v_cndmask_b32_e64 v30, 0, v26, s2
	v_cmp_gt_i32_e64 s2, s14, v94
	s_mov_b32 vcc_lo, s1
	v_cmp_gt_i32_e64 s1, s14, v68
	v_cndmask_b32_sdwa v26, v88, v26, vcc_lo dst_sel:DWORD dst_unused:UNUSED_PAD src0_sel:DWORD src1_sel:WORD_1
	v_cmp_gt_i32_e32 vcc_lo, s27, v69
	v_perm_b32 v25, v25, v29, 0x5040100
	v_perm_b32 v26, v26, v30, 0x5040100
	v_cndmask_b32_e32 v31, 0, v27, vcc_lo
	s_mov_b32 vcc_lo, s2
	v_cndmask_b32_sdwa v27, v88, v27, vcc_lo dst_sel:DWORD dst_unused:UNUSED_PAD src0_sel:DWORD src1_sel:WORD_1
	v_cmp_gt_i32_e32 vcc_lo, s27, v0
	v_perm_b32 v27, v27, v31, 0x5040100
	v_cndmask_b32_e32 v32, 0, v28, vcc_lo
	s_mov_b32 vcc_lo, s1
	v_cndmask_b32_sdwa v28, v88, v28, vcc_lo dst_sel:DWORD dst_unused:UNUSED_PAD src0_sel:DWORD src1_sel:WORD_1
	v_perm_b32 v28, v28, v32, 0x5040100
	s_or_b32 exec_lo, exec_lo, s17
	global_load_dwordx4 v[29:32], v[19:20], off offset:1024
	s_and_saveexec_b32 s17, s0
	s_cbranch_execz .LBB175_47
.LBB175_63:                             ;   in Loop: Header=BB175_38 Depth=1
	v_cmp_gt_i32_e64 s1, s27, v95
	v_cmp_gt_i32_e32 vcc_lo, s14, v98
	v_cmp_gt_i32_e64 s2, s27, v97
	s_waitcnt vmcnt(0)
	v_cndmask_b32_e64 v33, 0, v29, s1
	v_cmp_gt_i32_e64 s1, s14, v96
	v_cndmask_b32_sdwa v29, v88, v29, vcc_lo dst_sel:DWORD dst_unused:UNUSED_PAD src0_sel:DWORD src1_sel:WORD_1
	v_cndmask_b32_e64 v34, 0, v30, s2
	v_cmp_gt_i32_e64 s2, s14, v94
	s_mov_b32 vcc_lo, s1
	v_cmp_gt_i32_e64 s1, s14, v68
	v_cndmask_b32_sdwa v30, v88, v30, vcc_lo dst_sel:DWORD dst_unused:UNUSED_PAD src0_sel:DWORD src1_sel:WORD_1
	v_cmp_gt_i32_e32 vcc_lo, s27, v69
	v_perm_b32 v29, v29, v33, 0x5040100
	v_perm_b32 v30, v30, v34, 0x5040100
	v_cndmask_b32_e32 v35, 0, v31, vcc_lo
	s_mov_b32 vcc_lo, s2
	v_cndmask_b32_sdwa v31, v88, v31, vcc_lo dst_sel:DWORD dst_unused:UNUSED_PAD src0_sel:DWORD src1_sel:WORD_1
	v_cmp_gt_i32_e32 vcc_lo, s27, v0
	v_perm_b32 v31, v31, v35, 0x5040100
	v_cndmask_b32_e32 v36, 0, v32, vcc_lo
	s_mov_b32 vcc_lo, s1
	v_cndmask_b32_sdwa v32, v88, v32, vcc_lo dst_sel:DWORD dst_unused:UNUSED_PAD src0_sel:DWORD src1_sel:WORD_1
	v_perm_b32 v32, v32, v36, 0x5040100
	s_or_b32 exec_lo, exec_lo, s17
	global_load_dwordx4 v[33:36], v[19:20], off offset:1536
	s_and_saveexec_b32 s17, s0
	s_cbranch_execnz .LBB175_48
	s_branch .LBB175_49
.LBB175_64:                             ;   in Loop: Header=BB175_38 Depth=1
	v_cmp_gt_i32_e64 s1, s27, v95
	v_cmp_gt_i32_e32 vcc_lo, s14, v98
	v_cmp_gt_i32_e64 s2, s27, v97
	s_waitcnt vmcnt(0)
	v_cndmask_b32_e64 v49, 0, v37, s1
	v_cmp_gt_i32_e64 s1, s14, v96
	v_cndmask_b32_sdwa v37, v88, v37, vcc_lo dst_sel:DWORD dst_unused:UNUSED_PAD src0_sel:DWORD src1_sel:WORD_1
	v_cndmask_b32_e64 v50, 0, v38, s2
	v_cmp_gt_i32_e64 s2, s14, v94
	s_mov_b32 vcc_lo, s1
	v_cmp_gt_i32_e64 s1, s14, v68
	v_cndmask_b32_sdwa v38, v88, v38, vcc_lo dst_sel:DWORD dst_unused:UNUSED_PAD src0_sel:DWORD src1_sel:WORD_1
	v_cmp_gt_i32_e32 vcc_lo, s27, v69
	v_perm_b32 v37, v37, v49, 0x5040100
	v_perm_b32 v38, v38, v50, 0x5040100
	v_cndmask_b32_e32 v51, 0, v39, vcc_lo
	s_mov_b32 vcc_lo, s2
	v_cndmask_b32_sdwa v39, v88, v39, vcc_lo dst_sel:DWORD dst_unused:UNUSED_PAD src0_sel:DWORD src1_sel:WORD_1
	v_cmp_gt_i32_e32 vcc_lo, s27, v0
	v_perm_b32 v39, v39, v51, 0x5040100
	v_cndmask_b32_e32 v52, 0, v40, vcc_lo
	s_mov_b32 vcc_lo, s1
	v_cndmask_b32_sdwa v40, v88, v40, vcc_lo dst_sel:DWORD dst_unused:UNUSED_PAD src0_sel:DWORD src1_sel:WORD_1
	v_perm_b32 v40, v40, v52, 0x5040100
	s_or_b32 exec_lo, exec_lo, s17
	global_load_dwordx4 v[49:52], v[19:20], off offset:512
	s_and_saveexec_b32 s17, s0
	s_cbranch_execz .LBB175_51
.LBB175_65:                             ;   in Loop: Header=BB175_38 Depth=1
	v_cmp_gt_i32_e64 s1, s27, v95
	v_cmp_gt_i32_e32 vcc_lo, s14, v98
	v_cmp_gt_i32_e64 s2, s27, v97
	s_waitcnt vmcnt(0)
	v_cndmask_b32_e64 v53, 0, v49, s1
	v_cmp_gt_i32_e64 s1, s14, v96
	v_cndmask_b32_sdwa v49, v88, v49, vcc_lo dst_sel:DWORD dst_unused:UNUSED_PAD src0_sel:DWORD src1_sel:WORD_1
	v_cndmask_b32_e64 v54, 0, v50, s2
	v_cmp_gt_i32_e64 s2, s14, v94
	s_mov_b32 vcc_lo, s1
	v_cmp_gt_i32_e64 s1, s14, v68
	v_cndmask_b32_sdwa v50, v88, v50, vcc_lo dst_sel:DWORD dst_unused:UNUSED_PAD src0_sel:DWORD src1_sel:WORD_1
	v_cmp_gt_i32_e32 vcc_lo, s27, v69
	v_perm_b32 v49, v49, v53, 0x5040100
	v_perm_b32 v50, v50, v54, 0x5040100
	v_cndmask_b32_e32 v55, 0, v51, vcc_lo
	s_mov_b32 vcc_lo, s2
	v_cndmask_b32_sdwa v51, v88, v51, vcc_lo dst_sel:DWORD dst_unused:UNUSED_PAD src0_sel:DWORD src1_sel:WORD_1
	v_cmp_gt_i32_e32 vcc_lo, s27, v0
	v_perm_b32 v51, v51, v55, 0x5040100
	v_cndmask_b32_e32 v56, 0, v52, vcc_lo
	s_mov_b32 vcc_lo, s1
	v_cndmask_b32_sdwa v52, v88, v52, vcc_lo dst_sel:DWORD dst_unused:UNUSED_PAD src0_sel:DWORD src1_sel:WORD_1
	v_perm_b32 v52, v52, v56, 0x5040100
	s_or_b32 exec_lo, exec_lo, s17
	global_load_dwordx4 v[53:56], v[19:20], off offset:1024
	s_and_saveexec_b32 s17, s0
	s_cbranch_execz .LBB175_52
.LBB175_66:                             ;   in Loop: Header=BB175_38 Depth=1
	v_cmp_gt_i32_e64 s1, s27, v95
	v_cmp_gt_i32_e32 vcc_lo, s14, v98
	v_cmp_gt_i32_e64 s2, s27, v97
	s_waitcnt vmcnt(0)
	v_cndmask_b32_e64 v57, 0, v53, s1
	v_cmp_gt_i32_e64 s1, s14, v96
	v_cndmask_b32_sdwa v53, v88, v53, vcc_lo dst_sel:DWORD dst_unused:UNUSED_PAD src0_sel:DWORD src1_sel:WORD_1
	v_cndmask_b32_e64 v58, 0, v54, s2
	v_cmp_gt_i32_e64 s2, s14, v94
	s_mov_b32 vcc_lo, s1
	v_cmp_gt_i32_e64 s1, s14, v68
	v_cndmask_b32_sdwa v54, v88, v54, vcc_lo dst_sel:DWORD dst_unused:UNUSED_PAD src0_sel:DWORD src1_sel:WORD_1
	v_cmp_gt_i32_e32 vcc_lo, s27, v69
	v_perm_b32 v53, v53, v57, 0x5040100
	v_perm_b32 v54, v54, v58, 0x5040100
	v_cndmask_b32_e32 v59, 0, v55, vcc_lo
	s_mov_b32 vcc_lo, s2
	v_cndmask_b32_sdwa v55, v88, v55, vcc_lo dst_sel:DWORD dst_unused:UNUSED_PAD src0_sel:DWORD src1_sel:WORD_1
	v_cmp_gt_i32_e32 vcc_lo, s27, v0
	v_perm_b32 v55, v55, v59, 0x5040100
	v_cndmask_b32_e32 v60, 0, v56, vcc_lo
	s_mov_b32 vcc_lo, s1
	v_cndmask_b32_sdwa v56, v88, v56, vcc_lo dst_sel:DWORD dst_unused:UNUSED_PAD src0_sel:DWORD src1_sel:WORD_1
	v_perm_b32 v56, v56, v60, 0x5040100
	s_or_b32 exec_lo, exec_lo, s17
	global_load_dwordx4 v[57:60], v[19:20], off offset:1536
	s_and_saveexec_b32 s17, s0
	s_cbranch_execnz .LBB175_53
	s_branch .LBB175_54
.LBB175_67:
	s_or_b32 exec_lo, exec_lo, s13
.LBB175_68:
	s_or_b32 exec_lo, exec_lo, s3
	ds_bpermute_b32 v0, v72, v87
	ds_bpermute_b32 v13, v72, v74
	;; [unrolled: 1-line block ×14, first 2 shown]
	s_mov_b32 s0, exec_lo
	s_waitcnt lgkmcnt(13)
	v_add_f32_e32 v0, v87, v0
	s_waitcnt lgkmcnt(12)
	v_add_f32_e32 v30, v74, v13
	;; [unrolled: 2-line block ×5, first 2 shown]
	ds_bpermute_b32 v14, v71, v0
	s_waitcnt lgkmcnt(9)
	v_add_f32_e32 v4, v83, v4
	s_waitcnt lgkmcnt(8)
	v_add_f32_e32 v5, v82, v5
	;; [unrolled: 2-line block ×3, first 2 shown]
	ds_bpermute_b32 v15, v71, v1
	s_waitcnt lgkmcnt(7)
	v_add_f32_e32 v19, v80, v7
	s_waitcnt lgkmcnt(6)
	v_add_f32_e32 v20, v79, v8
	;; [unrolled: 2-line block ×6, first 2 shown]
	ds_bpermute_b32 v16, v71, v2
	ds_bpermute_b32 v17, v71, v3
	;; [unrolled: 1-line block ×9, first 2 shown]
	s_waitcnt lgkmcnt(10)
	v_add_f32_e32 v13, v0, v14
	buffer_load_dword v14, off, s[48:51], 0 ; 4-byte Folded Reload
	ds_bpermute_b32 v31, v71, v26
	ds_bpermute_b32 v32, v71, v28
	;; [unrolled: 1-line block ×3, first 2 shown]
	s_waitcnt lgkmcnt(12)
	v_add_f32_e32 v12, v1, v15
	s_waitcnt vmcnt(0) lgkmcnt(0)
	s_waitcnt_vscnt null, 0x0
	s_barrier
	buffer_gl0_inv
	v_add_f32_e32 v11, v2, v16
	v_add_f32_e32 v10, v3, v17
	;; [unrolled: 1-line block ×9, first 2 shown]
	v_and_b32_e32 v17, 0x3c3, v101
	v_mul_u32_u24_e32 v16, 0x1c0, v102
	v_add_f32_e32 v0, v26, v31
	v_add_f32_e32 v1, v28, v32
	;; [unrolled: 1-line block ×3, first 2 shown]
	v_and_b32_e32 v15, 28, v14
	v_lshrrev_b32_e32 v14, 2, v14
	v_add_nc_u32_e32 v15, 0x100, v15
	v_cmpx_eq_u32_e32 64, v17
	s_cbranch_execz .LBB175_70
; %bb.69:
	v_add_nc_u32_e32 v17, v15, v16
	v_add_nc_u32_e32 v18, 0xfffffc80, v17
	;; [unrolled: 1-line block ×7, first 2 shown]
	ds_write_b32 v18, v13
	ds_write_b32 v19, v12
	ds_write_b32 v20, v11
	ds_write_b32 v21, v10
	v_add_nc_u32_e32 v18, 0xfffffd40, v17
	v_add_nc_u32_e32 v19, 0xfffffd60, v17
	;; [unrolled: 1-line block ×3, first 2 shown]
	ds_write_b32 v22, v9
	ds_write_b32 v23, v8
	ds_write_b32 v18, v7
	ds_write_b32 v19, v6
	ds_write_b32 v20, v5
	v_add_nc_u32_e32 v18, 0xfffffda0, v17
	v_add_nc_u32_e32 v19, 0xfffffdc0, v17
	;; [unrolled: 1-line block ×5, first 2 shown]
	ds_write_b32 v18, v4
	ds_write_b32 v19, v3
	;; [unrolled: 1-line block ×5, first 2 shown]
.LBB175_70:
	s_or_b32 exec_lo, exec_lo, s0
	v_lshlrev_b32_e32 v14, 2, v14
	s_mov_b32 s1, exec_lo
	v_cmp_eq_u32_e32 vcc_lo, 0, v73
	s_waitcnt lgkmcnt(0)
	s_barrier
	v_add3_u32 v14, 0x100, v16, v14
	buffer_gl0_inv
	v_cmpx_gt_u32_e32 64, v101
	s_cbranch_execz .LBB175_87
; %bb.71:
	s_and_saveexec_b32 s0, vcc_lo
	s_cbranch_execnz .LBB175_109
; %bb.72:
	s_or_b32 exec_lo, exec_lo, s0
	s_and_saveexec_b32 s0, vcc_lo
	s_cbranch_execnz .LBB175_110
.LBB175_73:
	s_or_b32 exec_lo, exec_lo, s0
	s_and_saveexec_b32 s0, vcc_lo
	s_cbranch_execnz .LBB175_111
.LBB175_74:
	s_or_b32 exec_lo, exec_lo, s0
	s_and_saveexec_b32 s0, vcc_lo
	s_cbranch_execnz .LBB175_112
.LBB175_75:
	s_or_b32 exec_lo, exec_lo, s0
	s_and_saveexec_b32 s0, vcc_lo
	s_cbranch_execnz .LBB175_113
.LBB175_76:
	s_or_b32 exec_lo, exec_lo, s0
	s_and_saveexec_b32 s0, vcc_lo
	s_cbranch_execnz .LBB175_114
.LBB175_77:
	s_or_b32 exec_lo, exec_lo, s0
	s_and_saveexec_b32 s0, vcc_lo
	s_cbranch_execnz .LBB175_115
.LBB175_78:
	s_or_b32 exec_lo, exec_lo, s0
	s_and_saveexec_b32 s0, vcc_lo
	s_cbranch_execnz .LBB175_116
.LBB175_79:
	s_or_b32 exec_lo, exec_lo, s0
	s_and_saveexec_b32 s0, vcc_lo
	s_cbranch_execnz .LBB175_117
.LBB175_80:
	s_or_b32 exec_lo, exec_lo, s0
	s_and_saveexec_b32 s0, vcc_lo
	s_cbranch_execnz .LBB175_118
.LBB175_81:
	s_or_b32 exec_lo, exec_lo, s0
	s_and_saveexec_b32 s0, vcc_lo
	s_cbranch_execnz .LBB175_119
.LBB175_82:
	s_or_b32 exec_lo, exec_lo, s0
	s_and_saveexec_b32 s0, vcc_lo
	s_cbranch_execnz .LBB175_120
.LBB175_83:
	s_or_b32 exec_lo, exec_lo, s0
	s_and_saveexec_b32 s0, vcc_lo
	s_cbranch_execnz .LBB175_121
.LBB175_84:
	s_or_b32 exec_lo, exec_lo, s0
	s_and_saveexec_b32 s0, vcc_lo
	s_cbranch_execz .LBB175_86
.LBB175_85:
	ds_read_b32 v16, v14 offset:416
	s_waitcnt lgkmcnt(0)
	v_add_f32_e32 v2, v2, v16
.LBB175_86:
	s_or_b32 exec_lo, exec_lo, s0
.LBB175_87:
	s_or_b32 exec_lo, exec_lo, s1
	v_and_b32_e32 v16, 0x3e3, v101
	s_mov_b32 s1, exec_lo
	s_barrier
	buffer_gl0_inv
	v_cmpx_eq_u32_e32 32, v16
	s_cbranch_execz .LBB175_89
; %bb.88:
	ds_write2_b32 v15, v13, v12 offset1:8
	ds_write2_b32 v15, v11, v10 offset0:16 offset1:24
	ds_write2_b32 v15, v9, v8 offset0:32 offset1:40
	;; [unrolled: 1-line block ×6, first 2 shown]
.LBB175_89:
	s_or_b32 exec_lo, exec_lo, s1
	s_mov_b32 s1, exec_lo
	s_waitcnt lgkmcnt(0)
	s_barrier
	buffer_gl0_inv
	v_cmpx_gt_u32_e32 32, v101
	s_cbranch_execz .LBB175_106
; %bb.90:
	s_and_saveexec_b32 s0, vcc_lo
	s_cbranch_execnz .LBB175_122
; %bb.91:
	s_or_b32 exec_lo, exec_lo, s0
	s_and_saveexec_b32 s0, vcc_lo
	s_cbranch_execnz .LBB175_123
.LBB175_92:
	s_or_b32 exec_lo, exec_lo, s0
	s_and_saveexec_b32 s0, vcc_lo
	s_cbranch_execnz .LBB175_124
.LBB175_93:
	s_or_b32 exec_lo, exec_lo, s0
	s_and_saveexec_b32 s0, vcc_lo
	s_cbranch_execnz .LBB175_125
.LBB175_94:
	s_or_b32 exec_lo, exec_lo, s0
	s_and_saveexec_b32 s0, vcc_lo
	s_cbranch_execnz .LBB175_126
.LBB175_95:
	s_or_b32 exec_lo, exec_lo, s0
	s_and_saveexec_b32 s0, vcc_lo
	s_cbranch_execnz .LBB175_127
.LBB175_96:
	s_or_b32 exec_lo, exec_lo, s0
	s_and_saveexec_b32 s0, vcc_lo
	s_cbranch_execnz .LBB175_128
.LBB175_97:
	s_or_b32 exec_lo, exec_lo, s0
	s_and_saveexec_b32 s0, vcc_lo
	s_cbranch_execnz .LBB175_129
.LBB175_98:
	s_or_b32 exec_lo, exec_lo, s0
	s_and_saveexec_b32 s0, vcc_lo
	s_cbranch_execnz .LBB175_130
.LBB175_99:
	s_or_b32 exec_lo, exec_lo, s0
	s_and_saveexec_b32 s0, vcc_lo
	s_cbranch_execnz .LBB175_131
.LBB175_100:
	s_or_b32 exec_lo, exec_lo, s0
	s_and_saveexec_b32 s0, vcc_lo
	s_cbranch_execnz .LBB175_132
.LBB175_101:
	s_or_b32 exec_lo, exec_lo, s0
	s_and_saveexec_b32 s0, vcc_lo
	s_cbranch_execnz .LBB175_133
.LBB175_102:
	s_or_b32 exec_lo, exec_lo, s0
	s_and_saveexec_b32 s0, vcc_lo
	s_cbranch_execnz .LBB175_134
.LBB175_103:
	s_or_b32 exec_lo, exec_lo, s0
	s_and_saveexec_b32 s0, vcc_lo
	s_cbranch_execz .LBB175_105
.LBB175_104:
	ds_read_b32 v14, v14 offset:416
	s_waitcnt lgkmcnt(0)
	v_add_f32_e32 v2, v2, v14
.LBB175_105:
	s_or_b32 exec_lo, exec_lo, s0
.LBB175_106:
	s_or_b32 exec_lo, exec_lo, s1
	s_barrier
	buffer_gl0_inv
	s_mov_b32 s0, exec_lo
	v_cmpx_eq_u32_e32 0, v16
	s_cbranch_execz .LBB175_108
; %bb.107:
	s_mul_i32 s0, s4, 0x70
	v_bfe_u32 v14, v13, 16, 1
	s_ashr_i32 s1, s0, 31
	s_mul_i32 s2, s7, s10
	s_lshl_b64 s[0:1], s[0:1], 1
	v_or_b32_e32 v15, 0x400000, v13
	s_add_u32 s4, s24, s0
	s_addc_u32 s1, s25, s1
	s_ashr_i32 s3, s2, 31
	v_add3_u32 v14, v14, v13, 0x7fff
	s_lshl_b64 s[2:3], s[2:3], 1
	v_bfe_u32 v17, v12, 16, 1
	v_cmp_u_f32_e32 vcc_lo, v13, v13
	s_mul_i32 s0, s8, 0x70
	s_add_u32 s2, s4, s2
	s_addc_u32 s3, s1, s3
	s_ashr_i32 s1, s0, 31
	v_lshrrev_b32_e32 v16, 1, v101
	s_lshl_b64 s[0:1], s[0:1], 1
	v_cndmask_b32_e32 v13, v14, v15, vcc_lo
	v_bfe_u32 v14, v11, 16, 1
	v_add3_u32 v15, v17, v12, 0x7fff
	v_or_b32_e32 v17, 0x400000, v12
	v_cmp_u_f32_e32 vcc_lo, v12, v12
	s_add_u32 s0, s2, s0
	s_addc_u32 s1, s3, s1
	global_store_short_d16_hi v16, v13, s[0:1]
	v_add3_u32 v13, v14, v11, 0x7fff
	v_or_b32_e32 v14, 0x400000, v11
	v_cndmask_b32_e32 v12, v15, v17, vcc_lo
	v_bfe_u32 v15, v10, 16, 1
	v_cmp_u_f32_e32 vcc_lo, v11, v11
	global_store_short_d16_hi v16, v12, s[0:1] offset:16
	v_add3_u32 v12, v15, v10, 0x7fff
	v_cndmask_b32_e32 v11, v13, v14, vcc_lo
	v_bfe_u32 v13, v9, 16, 1
	v_or_b32_e32 v14, 0x400000, v10
	v_cmp_u_f32_e32 vcc_lo, v10, v10
	global_store_short_d16_hi v16, v11, s[0:1] offset:32
	v_add3_u32 v11, v13, v9, 0x7fff
	v_or_b32_e32 v13, 0x400000, v9
	v_cndmask_b32_e32 v10, v12, v14, vcc_lo
	v_bfe_u32 v12, v8, 16, 1
	v_cmp_u_f32_e32 vcc_lo, v9, v9
	global_store_short_d16_hi v16, v10, s[0:1] offset:48
	v_add3_u32 v10, v12, v8, 0x7fff
	v_cndmask_b32_e32 v9, v11, v13, vcc_lo
	v_bfe_u32 v11, v7, 16, 1
	v_or_b32_e32 v12, 0x400000, v8
	v_cmp_u_f32_e32 vcc_lo, v8, v8
	global_store_short_d16_hi v16, v9, s[0:1] offset:64
	;; [unrolled: 12-line block ×3, first 2 shown]
	v_add3_u32 v7, v9, v5, 0x7fff
	v_or_b32_e32 v9, 0x400000, v5
	v_cndmask_b32_e32 v6, v8, v10, vcc_lo
	v_bfe_u32 v8, v4, 16, 1
	v_cmp_u_f32_e32 vcc_lo, v5, v5
	v_or_b32_e32 v10, 0x400000, v2
	global_store_short_d16_hi v16, v6, s[0:1] offset:112
	v_add3_u32 v6, v8, v4, 0x7fff
	v_cndmask_b32_e32 v5, v7, v9, vcc_lo
	v_bfe_u32 v7, v3, 16, 1
	v_or_b32_e32 v8, 0x400000, v4
	v_cmp_u_f32_e32 vcc_lo, v4, v4
	v_or_b32_e32 v9, 0x400000, v1
	global_store_short_d16_hi v16, v5, s[0:1] offset:128
	v_add3_u32 v5, v7, v3, 0x7fff
	v_or_b32_e32 v7, 0x400000, v3
	v_cndmask_b32_e32 v4, v6, v8, vcc_lo
	v_bfe_u32 v6, v0, 16, 1
	v_cmp_u_f32_e32 vcc_lo, v3, v3
	v_bfe_u32 v8, v1, 16, 1
	v_add3_u32 v6, v6, v0, 0x7fff
	v_cndmask_b32_e32 v3, v5, v7, vcc_lo
	v_or_b32_e32 v7, 0x400000, v0
	v_cmp_u_f32_e32 vcc_lo, v0, v0
	v_bfe_u32 v5, v2, 16, 1
	v_add3_u32 v8, v8, v1, 0x7fff
	v_cndmask_b32_e32 v0, v6, v7, vcc_lo
	v_cmp_u_f32_e32 vcc_lo, v1, v1
	v_add3_u32 v5, v5, v2, 0x7fff
	v_cndmask_b32_e32 v1, v8, v9, vcc_lo
	v_cmp_u_f32_e32 vcc_lo, v2, v2
	v_cndmask_b32_e32 v2, v5, v10, vcc_lo
	global_store_short_d16_hi v16, v4, s[0:1] offset:144
	global_store_short_d16_hi v16, v3, s[0:1] offset:160
	;; [unrolled: 1-line block ×5, first 2 shown]
.LBB175_108:
	s_endpgm
.LBB175_109:
	ds_read_b32 v16, v14
	s_waitcnt lgkmcnt(0)
	v_add_f32_e32 v13, v13, v16
	s_or_b32 exec_lo, exec_lo, s0
	s_and_saveexec_b32 s0, vcc_lo
	s_cbranch_execz .LBB175_73
.LBB175_110:
	ds_read_b32 v16, v14 offset:32
	s_waitcnt lgkmcnt(0)
	v_add_f32_e32 v12, v12, v16
	s_or_b32 exec_lo, exec_lo, s0
	s_and_saveexec_b32 s0, vcc_lo
	s_cbranch_execz .LBB175_74
.LBB175_111:
	ds_read_b32 v16, v14 offset:64
	s_waitcnt lgkmcnt(0)
	v_add_f32_e32 v11, v11, v16
	s_or_b32 exec_lo, exec_lo, s0
	s_and_saveexec_b32 s0, vcc_lo
	s_cbranch_execz .LBB175_75
.LBB175_112:
	ds_read_b32 v16, v14 offset:96
	s_waitcnt lgkmcnt(0)
	v_add_f32_e32 v10, v10, v16
	s_or_b32 exec_lo, exec_lo, s0
	s_and_saveexec_b32 s0, vcc_lo
	s_cbranch_execz .LBB175_76
.LBB175_113:
	ds_read_b32 v16, v14 offset:128
	s_waitcnt lgkmcnt(0)
	v_add_f32_e32 v9, v9, v16
	s_or_b32 exec_lo, exec_lo, s0
	s_and_saveexec_b32 s0, vcc_lo
	s_cbranch_execz .LBB175_77
.LBB175_114:
	ds_read_b32 v16, v14 offset:160
	s_waitcnt lgkmcnt(0)
	v_add_f32_e32 v8, v8, v16
	s_or_b32 exec_lo, exec_lo, s0
	s_and_saveexec_b32 s0, vcc_lo
	s_cbranch_execz .LBB175_78
.LBB175_115:
	ds_read_b32 v16, v14 offset:192
	s_waitcnt lgkmcnt(0)
	v_add_f32_e32 v7, v7, v16
	s_or_b32 exec_lo, exec_lo, s0
	s_and_saveexec_b32 s0, vcc_lo
	s_cbranch_execz .LBB175_79
.LBB175_116:
	ds_read_b32 v16, v14 offset:224
	s_waitcnt lgkmcnt(0)
	v_add_f32_e32 v6, v6, v16
	s_or_b32 exec_lo, exec_lo, s0
	s_and_saveexec_b32 s0, vcc_lo
	s_cbranch_execz .LBB175_80
.LBB175_117:
	ds_read_b32 v16, v14 offset:256
	s_waitcnt lgkmcnt(0)
	v_add_f32_e32 v5, v5, v16
	s_or_b32 exec_lo, exec_lo, s0
	s_and_saveexec_b32 s0, vcc_lo
	s_cbranch_execz .LBB175_81
.LBB175_118:
	ds_read_b32 v16, v14 offset:288
	s_waitcnt lgkmcnt(0)
	v_add_f32_e32 v4, v4, v16
	s_or_b32 exec_lo, exec_lo, s0
	s_and_saveexec_b32 s0, vcc_lo
	s_cbranch_execz .LBB175_82
.LBB175_119:
	ds_read_b32 v16, v14 offset:320
	s_waitcnt lgkmcnt(0)
	v_add_f32_e32 v3, v3, v16
	s_or_b32 exec_lo, exec_lo, s0
	s_and_saveexec_b32 s0, vcc_lo
	s_cbranch_execz .LBB175_83
.LBB175_120:
	ds_read_b32 v16, v14 offset:352
	s_waitcnt lgkmcnt(0)
	v_add_f32_e32 v0, v0, v16
	s_or_b32 exec_lo, exec_lo, s0
	s_and_saveexec_b32 s0, vcc_lo
	s_cbranch_execz .LBB175_84
.LBB175_121:
	ds_read_b32 v16, v14 offset:384
	s_waitcnt lgkmcnt(0)
	v_add_f32_e32 v1, v1, v16
	s_or_b32 exec_lo, exec_lo, s0
	s_and_saveexec_b32 s0, vcc_lo
	s_cbranch_execnz .LBB175_85
	s_branch .LBB175_86
.LBB175_122:
	ds_read_b32 v15, v14
	s_waitcnt lgkmcnt(0)
	v_add_f32_e32 v13, v13, v15
	s_or_b32 exec_lo, exec_lo, s0
	s_and_saveexec_b32 s0, vcc_lo
	s_cbranch_execz .LBB175_92
.LBB175_123:
	ds_read_b32 v15, v14 offset:32
	s_waitcnt lgkmcnt(0)
	v_add_f32_e32 v12, v12, v15
	s_or_b32 exec_lo, exec_lo, s0
	s_and_saveexec_b32 s0, vcc_lo
	s_cbranch_execz .LBB175_93
.LBB175_124:
	ds_read_b32 v15, v14 offset:64
	s_waitcnt lgkmcnt(0)
	v_add_f32_e32 v11, v11, v15
	s_or_b32 exec_lo, exec_lo, s0
	s_and_saveexec_b32 s0, vcc_lo
	s_cbranch_execz .LBB175_94
.LBB175_125:
	ds_read_b32 v15, v14 offset:96
	s_waitcnt lgkmcnt(0)
	v_add_f32_e32 v10, v10, v15
	s_or_b32 exec_lo, exec_lo, s0
	s_and_saveexec_b32 s0, vcc_lo
	s_cbranch_execz .LBB175_95
.LBB175_126:
	ds_read_b32 v15, v14 offset:128
	s_waitcnt lgkmcnt(0)
	v_add_f32_e32 v9, v9, v15
	s_or_b32 exec_lo, exec_lo, s0
	s_and_saveexec_b32 s0, vcc_lo
	s_cbranch_execz .LBB175_96
.LBB175_127:
	ds_read_b32 v15, v14 offset:160
	s_waitcnt lgkmcnt(0)
	v_add_f32_e32 v8, v8, v15
	s_or_b32 exec_lo, exec_lo, s0
	s_and_saveexec_b32 s0, vcc_lo
	s_cbranch_execz .LBB175_97
.LBB175_128:
	ds_read_b32 v15, v14 offset:192
	s_waitcnt lgkmcnt(0)
	v_add_f32_e32 v7, v7, v15
	s_or_b32 exec_lo, exec_lo, s0
	s_and_saveexec_b32 s0, vcc_lo
	s_cbranch_execz .LBB175_98
.LBB175_129:
	ds_read_b32 v15, v14 offset:224
	s_waitcnt lgkmcnt(0)
	v_add_f32_e32 v6, v6, v15
	s_or_b32 exec_lo, exec_lo, s0
	s_and_saveexec_b32 s0, vcc_lo
	s_cbranch_execz .LBB175_99
.LBB175_130:
	ds_read_b32 v15, v14 offset:256
	s_waitcnt lgkmcnt(0)
	v_add_f32_e32 v5, v5, v15
	s_or_b32 exec_lo, exec_lo, s0
	s_and_saveexec_b32 s0, vcc_lo
	s_cbranch_execz .LBB175_100
.LBB175_131:
	ds_read_b32 v15, v14 offset:288
	s_waitcnt lgkmcnt(0)
	v_add_f32_e32 v4, v4, v15
	s_or_b32 exec_lo, exec_lo, s0
	s_and_saveexec_b32 s0, vcc_lo
	s_cbranch_execz .LBB175_101
.LBB175_132:
	ds_read_b32 v15, v14 offset:320
	s_waitcnt lgkmcnt(0)
	v_add_f32_e32 v3, v3, v15
	s_or_b32 exec_lo, exec_lo, s0
	s_and_saveexec_b32 s0, vcc_lo
	s_cbranch_execz .LBB175_102
.LBB175_133:
	ds_read_b32 v15, v14 offset:352
	s_waitcnt lgkmcnt(0)
	v_add_f32_e32 v0, v0, v15
	s_or_b32 exec_lo, exec_lo, s0
	s_and_saveexec_b32 s0, vcc_lo
	s_cbranch_execz .LBB175_103
.LBB175_134:
	ds_read_b32 v15, v14 offset:384
	s_waitcnt lgkmcnt(0)
	v_add_f32_e32 v1, v1, v15
	s_or_b32 exec_lo, exec_lo, s0
	s_and_saveexec_b32 s0, vcc_lo
	s_cbranch_execnz .LBB175_104
	s_branch .LBB175_105
	.section	.rodata,"a",@progbits
	.p2align	6, 0x0
	.amdhsa_kernel _ZN4vllm25paged_attention_v2_kernelI14__hip_bfloat16S1_Li112ELi32ELi128ELNS_18Fp8KVCacheDataTypeE0ELb1ELi512EEEvPfS3_PT_PKS4_PKT0_SA_ifPKiSC_iPKfiiiSE_SE_iiiii
		.amdhsa_group_segment_fixed_size 256
		.amdhsa_private_segment_fixed_size 276
		.amdhsa_kernarg_size 400
		.amdhsa_user_sgpr_count 6
		.amdhsa_user_sgpr_private_segment_buffer 1
		.amdhsa_user_sgpr_dispatch_ptr 0
		.amdhsa_user_sgpr_queue_ptr 0
		.amdhsa_user_sgpr_kernarg_segment_ptr 1
		.amdhsa_user_sgpr_dispatch_id 0
		.amdhsa_user_sgpr_flat_scratch_init 0
		.amdhsa_user_sgpr_private_segment_size 0
		.amdhsa_wavefront_size32 1
		.amdhsa_uses_dynamic_stack 0
		.amdhsa_system_sgpr_private_segment_wavefront_offset 1
		.amdhsa_system_sgpr_workgroup_id_x 1
		.amdhsa_system_sgpr_workgroup_id_y 1
		.amdhsa_system_sgpr_workgroup_id_z 1
		.amdhsa_system_sgpr_workgroup_info 0
		.amdhsa_system_vgpr_workitem_id 0
		.amdhsa_next_free_vgpr 128
		.amdhsa_next_free_sgpr 52
		.amdhsa_reserve_vcc 1
		.amdhsa_reserve_flat_scratch 0
		.amdhsa_float_round_mode_32 0
		.amdhsa_float_round_mode_16_64 0
		.amdhsa_float_denorm_mode_32 3
		.amdhsa_float_denorm_mode_16_64 3
		.amdhsa_dx10_clamp 1
		.amdhsa_ieee_mode 1
		.amdhsa_fp16_overflow 0
		.amdhsa_workgroup_processor_mode 1
		.amdhsa_memory_ordered 1
		.amdhsa_forward_progress 1
		.amdhsa_shared_vgpr_count 0
		.amdhsa_exception_fp_ieee_invalid_op 0
		.amdhsa_exception_fp_denorm_src 0
		.amdhsa_exception_fp_ieee_div_zero 0
		.amdhsa_exception_fp_ieee_overflow 0
		.amdhsa_exception_fp_ieee_underflow 0
		.amdhsa_exception_fp_ieee_inexact 0
		.amdhsa_exception_int_div_zero 0
	.end_amdhsa_kernel
	.section	.text._ZN4vllm25paged_attention_v2_kernelI14__hip_bfloat16S1_Li112ELi32ELi128ELNS_18Fp8KVCacheDataTypeE0ELb1ELi512EEEvPfS3_PT_PKS4_PKT0_SA_ifPKiSC_iPKfiiiSE_SE_iiiii,"axG",@progbits,_ZN4vllm25paged_attention_v2_kernelI14__hip_bfloat16S1_Li112ELi32ELi128ELNS_18Fp8KVCacheDataTypeE0ELb1ELi512EEEvPfS3_PT_PKS4_PKT0_SA_ifPKiSC_iPKfiiiSE_SE_iiiii,comdat
.Lfunc_end175:
	.size	_ZN4vllm25paged_attention_v2_kernelI14__hip_bfloat16S1_Li112ELi32ELi128ELNS_18Fp8KVCacheDataTypeE0ELb1ELi512EEEvPfS3_PT_PKS4_PKT0_SA_ifPKiSC_iPKfiiiSE_SE_iiiii, .Lfunc_end175-_ZN4vllm25paged_attention_v2_kernelI14__hip_bfloat16S1_Li112ELi32ELi128ELNS_18Fp8KVCacheDataTypeE0ELb1ELi512EEEvPfS3_PT_PKS4_PKT0_SA_ifPKiSC_iPKfiiiSE_SE_iiiii
                                        ; -- End function
	.set _ZN4vllm25paged_attention_v2_kernelI14__hip_bfloat16S1_Li112ELi32ELi128ELNS_18Fp8KVCacheDataTypeE0ELb1ELi512EEEvPfS3_PT_PKS4_PKT0_SA_ifPKiSC_iPKfiiiSE_SE_iiiii.num_vgpr, 128
	.set _ZN4vllm25paged_attention_v2_kernelI14__hip_bfloat16S1_Li112ELi32ELi128ELNS_18Fp8KVCacheDataTypeE0ELb1ELi512EEEvPfS3_PT_PKS4_PKT0_SA_ifPKiSC_iPKfiiiSE_SE_iiiii.num_agpr, 0
	.set _ZN4vllm25paged_attention_v2_kernelI14__hip_bfloat16S1_Li112ELi32ELi128ELNS_18Fp8KVCacheDataTypeE0ELb1ELi512EEEvPfS3_PT_PKS4_PKT0_SA_ifPKiSC_iPKfiiiSE_SE_iiiii.numbered_sgpr, 52
	.set _ZN4vllm25paged_attention_v2_kernelI14__hip_bfloat16S1_Li112ELi32ELi128ELNS_18Fp8KVCacheDataTypeE0ELb1ELi512EEEvPfS3_PT_PKS4_PKT0_SA_ifPKiSC_iPKfiiiSE_SE_iiiii.num_named_barrier, 0
	.set _ZN4vllm25paged_attention_v2_kernelI14__hip_bfloat16S1_Li112ELi32ELi128ELNS_18Fp8KVCacheDataTypeE0ELb1ELi512EEEvPfS3_PT_PKS4_PKT0_SA_ifPKiSC_iPKfiiiSE_SE_iiiii.private_seg_size, 276
	.set _ZN4vllm25paged_attention_v2_kernelI14__hip_bfloat16S1_Li112ELi32ELi128ELNS_18Fp8KVCacheDataTypeE0ELb1ELi512EEEvPfS3_PT_PKS4_PKT0_SA_ifPKiSC_iPKfiiiSE_SE_iiiii.uses_vcc, 1
	.set _ZN4vllm25paged_attention_v2_kernelI14__hip_bfloat16S1_Li112ELi32ELi128ELNS_18Fp8KVCacheDataTypeE0ELb1ELi512EEEvPfS3_PT_PKS4_PKT0_SA_ifPKiSC_iPKfiiiSE_SE_iiiii.uses_flat_scratch, 0
	.set _ZN4vllm25paged_attention_v2_kernelI14__hip_bfloat16S1_Li112ELi32ELi128ELNS_18Fp8KVCacheDataTypeE0ELb1ELi512EEEvPfS3_PT_PKS4_PKT0_SA_ifPKiSC_iPKfiiiSE_SE_iiiii.has_dyn_sized_stack, 0
	.set _ZN4vllm25paged_attention_v2_kernelI14__hip_bfloat16S1_Li112ELi32ELi128ELNS_18Fp8KVCacheDataTypeE0ELb1ELi512EEEvPfS3_PT_PKS4_PKT0_SA_ifPKiSC_iPKfiiiSE_SE_iiiii.has_recursion, 0
	.set _ZN4vllm25paged_attention_v2_kernelI14__hip_bfloat16S1_Li112ELi32ELi128ELNS_18Fp8KVCacheDataTypeE0ELb1ELi512EEEvPfS3_PT_PKS4_PKT0_SA_ifPKiSC_iPKfiiiSE_SE_iiiii.has_indirect_call, 0
	.section	.AMDGPU.csdata,"",@progbits
; Kernel info:
; codeLenInByte = 19204
; TotalNumSgprs: 54
; NumVgprs: 128
; ScratchSize: 276
; MemoryBound: 0
; FloatMode: 240
; IeeeMode: 1
; LDSByteSize: 256 bytes/workgroup (compile time only)
; SGPRBlocks: 0
; VGPRBlocks: 15
; NumSGPRsForWavesPerEU: 54
; NumVGPRsForWavesPerEU: 128
; Occupancy: 8
; WaveLimiterHint : 1
; COMPUTE_PGM_RSRC2:SCRATCH_EN: 1
; COMPUTE_PGM_RSRC2:USER_SGPR: 6
; COMPUTE_PGM_RSRC2:TRAP_HANDLER: 0
; COMPUTE_PGM_RSRC2:TGID_X_EN: 1
; COMPUTE_PGM_RSRC2:TGID_Y_EN: 1
; COMPUTE_PGM_RSRC2:TGID_Z_EN: 1
; COMPUTE_PGM_RSRC2:TIDIG_COMP_CNT: 0
	.section	.text._ZN4vllm25paged_attention_v2_kernelI14__hip_bfloat16S1_Li120ELi32ELi128ELNS_18Fp8KVCacheDataTypeE0ELb1ELi512EEEvPfS3_PT_PKS4_PKT0_SA_ifPKiSC_iPKfiiiSE_SE_iiiii,"axG",@progbits,_ZN4vllm25paged_attention_v2_kernelI14__hip_bfloat16S1_Li120ELi32ELi128ELNS_18Fp8KVCacheDataTypeE0ELb1ELi512EEEvPfS3_PT_PKS4_PKT0_SA_ifPKiSC_iPKfiiiSE_SE_iiiii,comdat
	.protected	_ZN4vllm25paged_attention_v2_kernelI14__hip_bfloat16S1_Li120ELi32ELi128ELNS_18Fp8KVCacheDataTypeE0ELb1ELi512EEEvPfS3_PT_PKS4_PKT0_SA_ifPKiSC_iPKfiiiSE_SE_iiiii ; -- Begin function _ZN4vllm25paged_attention_v2_kernelI14__hip_bfloat16S1_Li120ELi32ELi128ELNS_18Fp8KVCacheDataTypeE0ELb1ELi512EEEvPfS3_PT_PKS4_PKT0_SA_ifPKiSC_iPKfiiiSE_SE_iiiii
	.globl	_ZN4vllm25paged_attention_v2_kernelI14__hip_bfloat16S1_Li120ELi32ELi128ELNS_18Fp8KVCacheDataTypeE0ELb1ELi512EEEvPfS3_PT_PKS4_PKT0_SA_ifPKiSC_iPKfiiiSE_SE_iiiii
	.p2align	8
	.type	_ZN4vllm25paged_attention_v2_kernelI14__hip_bfloat16S1_Li120ELi32ELi128ELNS_18Fp8KVCacheDataTypeE0ELb1ELi512EEEvPfS3_PT_PKS4_PKT0_SA_ifPKiSC_iPKfiiiSE_SE_iiiii,@function
_ZN4vllm25paged_attention_v2_kernelI14__hip_bfloat16S1_Li120ELi32ELi128ELNS_18Fp8KVCacheDataTypeE0ELb1ELi512EEEvPfS3_PT_PKS4_PKT0_SA_ifPKiSC_iPKfiiiSE_SE_iiiii: ; @_ZN4vllm25paged_attention_v2_kernelI14__hip_bfloat16S1_Li120ELi32ELi128ELNS_18Fp8KVCacheDataTypeE0ELb1ELi512EEEvPfS3_PT_PKS4_PKT0_SA_ifPKiSC_iPKfiiiSE_SE_iiiii
; %bb.0:
	s_mov_b64 s[50:51], s[2:3]
	s_mov_b64 s[48:49], s[0:1]
	s_load_dwordx2 s[0:1], s[4:5], 0x40
	s_add_u32 s48, s48, s9
	s_addc_u32 s49, s49, 0
	s_mov_b32 s26, s7
	s_ashr_i32 s27, s7, 31
	s_lshl_b64 s[2:3], s[26:27], 2
	s_waitcnt lgkmcnt(0)
	s_add_u32 s0, s0, s2
	s_addc_u32 s1, s1, s3
	s_lshl_b32 s37, s8, 9
	s_load_dword s27, s[0:1], 0x0
	s_waitcnt lgkmcnt(0)
	s_cmp_ge_i32 s37, s27
	s_cbranch_scc1 .LBB176_112
; %bb.1:
	s_clause 0x1
	s_load_dword s9, s[4:5], 0x90
	s_load_dwordx2 s[2:3], s[4:5], 0x30
	v_mov_b32_e32 v106, v0
	s_mov_b32 s39, 0
	s_waitcnt lgkmcnt(0)
	s_abs_i32 s10, s9
	s_abs_i32 s0, s2
	v_cvt_f32_u32_e32 v0, s0
	s_sub_i32 s7, 0, s0
	v_rcp_iflag_f32_e32 v0, v0
	v_mul_f32_e32 v0, 0x4f7ffffe, v0
	v_cvt_u32_f32_e32 v0, v0
	v_readfirstlane_b32 s1, v0
	s_mul_i32 s7, s7, s1
	s_mul_hi_u32 s7, s1, s7
	s_add_i32 s1, s1, s7
	s_xor_b32 s7, s9, s2
	s_mul_hi_u32 s1, s10, s1
	s_ashr_i32 s7, s7, 31
	s_mul_i32 s11, s1, s0
	s_sub_i32 s10, s10, s11
	s_add_i32 s11, s1, 1
	s_sub_i32 s12, s10, s0
	s_cmp_ge_u32 s10, s0
	s_cselect_b32 s1, s11, s1
	s_cselect_b32 s10, s12, s10
	s_add_i32 s11, s1, 1
	s_cmp_ge_u32 s10, s0
	s_cselect_b32 s0, s11, s1
	s_abs_i32 s21, s6
	s_xor_b32 s0, s0, s7
	s_sub_i32 s10, s0, s7
	s_load_dwordx2 s[0:1], s[4:5], 0x50
	s_abs_i32 s20, s10
	v_cvt_f32_u32_e32 v0, s20
	s_sub_i32 s11, 0, s20
	v_rcp_iflag_f32_e32 v0, v0
	v_mul_f32_e32 v0, 0x4f7ffffe, v0
	v_cvt_u32_f32_e32 v0, v0
	v_readfirstlane_b32 s7, v0
	s_mul_i32 s11, s11, s7
	s_mul_hi_u32 s11, s7, s11
	s_add_i32 s7, s7, s11
	s_waitcnt lgkmcnt(0)
	s_cmp_eq_u64 s[0:1], 0
	s_mul_hi_u32 s22, s21, s7
	s_cbranch_scc1 .LBB176_3
; %bb.2:
	s_ashr_i32 s7, s6, 31
	s_lshl_b64 s[12:13], s[6:7], 2
	s_add_u32 s0, s0, s12
	s_addc_u32 s1, s1, s13
	s_load_dword s39, s[0:1], 0x0
.LBB176_3:
	s_load_dwordx4 s[12:15], s[4:5], 0x58
	v_lshlrev_b32_e32 v10, 4, v106
	s_ashr_i32 s0, s6, 31
	s_ashr_i32 s1, s10, 31
	s_mul_i32 s10, s6, 0x78
	s_mov_b32 s7, exec_lo
	v_cmpx_gt_u32_e32 15, v106
	s_cbranch_execz .LBB176_5
; %bb.4:
	s_load_dwordx2 s[16:17], s[4:5], 0x18
	s_waitcnt lgkmcnt(0)
	s_mul_i32 s18, s12, s26
	s_ashr_i32 s19, s18, 31
	s_lshl_b64 s[18:19], s[18:19], 1
	s_add_u32 s12, s16, s18
	s_addc_u32 s15, s17, s19
	s_ashr_i32 s11, s10, 31
	s_lshl_b64 s[16:17], s[10:11], 1
	s_add_u32 s16, s12, s16
	s_addc_u32 s17, s15, s17
	global_load_dwordx4 v[0:3], v10, s[16:17]
	s_waitcnt vmcnt(0)
	ds_write_b128 v10, v[0:3]
.LBB176_5:
	s_or_b32 exec_lo, exec_lo, s7
	s_load_dwordx4 s[16:19], s[4:5], 0x78
	s_mul_i32 s7, s22, s20
	s_xor_b32 s0, s0, s1
	s_sub_i32 s1, s21, s7
	s_add_i32 s7, s22, 1
	s_sub_i32 s11, s1, s20
	s_cmp_ge_u32 s1, s20
	s_mov_b32 s21, -1
	s_cselect_b32 s7, s7, s22
	s_cselect_b32 s1, s11, s1
	s_add_i32 s11, s7, 1
	s_cmp_ge_u32 s1, s20
                                        ; implicit-def: $sgpr33
	s_cselect_b32 s1, s11, s7
	s_load_dword s7, s[4:5], 0x88
	s_xor_b32 s1, s1, s0
	s_add_i32 s20, s27, -1
	s_sub_i32 s1, s1, s0
	s_waitcnt lgkmcnt(0)
	s_abs_i32 s15, s20
	s_abs_i32 s11, s19
	s_barrier
	v_cvt_f32_u32_e32 v0, s11
	s_sub_i32 s0, 0, s11
	buffer_gl0_inv
	v_rcp_iflag_f32_e32 v0, v0
	v_mul_f32_e32 v0, 0x4f7ffffe, v0
	v_cvt_u32_f32_e32 v0, v0
	v_readfirstlane_b32 s12, v0
	s_mul_i32 s0, s0, s12
	s_mul_hi_u32 s0, s12, s0
	s_add_i32 s12, s12, s0
	s_cmp_lt_i32 s7, 0
	s_mul_hi_u32 s0, s15, s12
	s_cbranch_scc0 .LBB176_7
; %bb.6:
	s_mul_i32 s2, s16, s2
	s_mov_b32 s21, 0
	s_add_i32 s2, s1, s2
	s_mul_i32 s2, s2, s7
	s_sub_i32 s33, 1, s2
.LBB176_7:
	s_load_dwordx2 s[28:29], s[4:5], 0x38
	s_ashr_i32 s2, s20, 31
	s_andn2_b32 vcc_lo, exec_lo, s21
	s_ashr_i32 s19, s19, 31
	s_cbranch_vccnz .LBB176_9
; %bb.8:
	s_mul_i32 s16, s9, s16
	s_add_i32 s16, s16, s6
	s_mul_i32 s7, s16, s7
	s_add_i32 s33, s7, 1
.LBB176_9:
	s_clause 0x4
	s_load_dword s16, s[4:5], 0x48
	s_load_dwordx2 s[34:35], s[4:5], 0x28
	s_load_dword s7, s[4:5], 0x98
	s_load_dwordx4 s[20:23], s[4:5], 0x0
	s_load_dwordx2 s[24:25], s[4:5], 0x10
	s_mul_i32 s30, s0, s11
	s_xor_b32 s2, s2, s19
	s_sub_i32 s15, s15, s30
	s_add_i32 s36, s0, 1
	v_lshrrev_b32_e32 v107, 5, v106
	v_and_b32_e32 v0, 31, v106
	v_mov_b32_e32 v87, 0xff7fffff
	s_mul_i32 s14, s1, s14
	v_lshl_add_u32 v74, v107, 5, s37
	v_lshlrev_b32_e32 v11, 2, v0
	buffer_store_dword v0, off, s[48:51], 0 ; 4-byte Folded Spill
	s_waitcnt lgkmcnt(0)
	s_mul_i32 s30, s16, s26
	s_sub_i32 s16, s15, s11
	s_ashr_i32 s31, s30, 31
	s_cmp_ge_u32 s15, s11
	s_cselect_b32 s0, s36, s0
	s_cselect_b32 s15, s16, s15
	s_add_i32 s16, s0, 1
	s_cmp_ge_u32 s15, s11
	s_cselect_b32 s0, s16, s0
	s_add_i32 s15, s27, 31
	s_lshl_b32 s40, s8, 4
	s_ashr_i32 s16, s15, 31
	v_add_nc_u32_e32 v69, s40, v107
	s_lshr_b32 s16, s16, 27
	s_add_i32 s15, s15, s16
	s_add_i32 s16, s40, 16
	s_ashr_i32 s36, s15, 5
	s_xor_b32 s15, s0, s2
	s_min_i32 s16, s16, s36
	v_ashrrev_i32_e32 v70, 31, v69
	v_cmp_gt_i32_e64 s0, s16, v69
	s_sub_i32 s38, s15, s2
	s_and_saveexec_b32 s41, s0
	s_cbranch_execz .LBB176_17
; %bb.10:
	v_mov_b32_e32 v1, 0
	buffer_store_dword v10, off, s[48:51], 0 offset:296 ; 4-byte Folded Spill
	buffer_store_dword v106, off, s[48:51], 0 offset:288 ; 4-byte Folded Spill
	s_load_dwordx2 s[42:43], s[4:5], 0x20
	s_ashr_i32 s15, s14, 31
	s_sub_i32 s4, s38, s17
	ds_read_b128 v[2:5], v1
	ds_read_b128 v[6:9], v1 offset:16
	s_lshl_b64 s[44:45], s[14:15], 1
	v_lshl_add_u32 v93, v107, 5, s37
	v_mov_b32_e32 v87, 0xff7fffff
	v_mov_b32_e32 v94, v69
	s_waitcnt lgkmcnt(0)
	s_add_u32 s1, s42, s44
	s_addc_u32 s2, s43, s45
	v_and_b32_e32 v0, 0xffff0000, v2
	s_abs_i32 s5, s18
	s_lshl_b64 s[42:43], s[30:31], 2
	s_sub_i32 s15, 0, s5
	s_add_u32 s42, s28, s42
	buffer_store_dword v0, off, s[48:51], 0 offset:4 ; 4-byte Folded Spill
	v_lshlrev_b32_e32 v0, 16, v2
	s_addc_u32 s43, s29, s43
	buffer_store_dword v0, off, s[48:51], 0 offset:8 ; 4-byte Folded Spill
	v_and_b32_e32 v0, 0xffff0000, v6
	buffer_store_dword v0, off, s[48:51], 0 offset:12 ; 4-byte Folded Spill
	v_lshlrev_b32_e32 v0, 16, v6
	buffer_store_dword v0, off, s[48:51], 0 offset:16 ; 4-byte Folded Spill
	v_and_b32_e32 v0, 0xffff0000, v3
	buffer_store_dword v0, off, s[48:51], 0 offset:20 ; 4-byte Folded Spill
	v_lshlrev_b32_e32 v0, 16, v3
	;; [unrolled: 4-line block ×7, first 2 shown]
	buffer_store_dword v0, off, s[48:51], 0 offset:64 ; 4-byte Folded Spill
	ds_read_b128 v[2:5], v1 offset:32
	ds_read_b128 v[6:9], v1 offset:48
	s_waitcnt lgkmcnt(1)
	v_and_b32_e32 v0, 0xffff0000, v2
	buffer_store_dword v0, off, s[48:51], 0 offset:68 ; 4-byte Folded Spill
	v_lshlrev_b32_e32 v0, 16, v2
	buffer_store_dword v0, off, s[48:51], 0 offset:72 ; 4-byte Folded Spill
	v_and_b32_e32 v0, 0xffff0000, v3
	buffer_store_dword v0, off, s[48:51], 0 offset:76 ; 4-byte Folded Spill
	v_lshlrev_b32_e32 v0, 16, v3
	buffer_store_dword v0, off, s[48:51], 0 offset:80 ; 4-byte Folded Spill
	v_and_b32_e32 v0, 0xffff0000, v4
	buffer_store_dword v0, off, s[48:51], 0 offset:84 ; 4-byte Folded Spill
	v_lshlrev_b32_e32 v0, 16, v4
	buffer_store_dword v0, off, s[48:51], 0 offset:88 ; 4-byte Folded Spill
	v_and_b32_e32 v0, 0xffff0000, v5
	buffer_store_dword v0, off, s[48:51], 0 offset:92 ; 4-byte Folded Spill
	v_lshlrev_b32_e32 v0, 16, v5
	buffer_store_dword v0, off, s[48:51], 0 offset:96 ; 4-byte Folded Spill
	s_waitcnt lgkmcnt(0)
	v_and_b32_e32 v0, 0xffff0000, v6
	buffer_store_dword v0, off, s[48:51], 0 offset:100 ; 4-byte Folded Spill
	v_lshlrev_b32_e32 v0, 16, v6
	buffer_store_dword v0, off, s[48:51], 0 offset:104 ; 4-byte Folded Spill
	v_and_b32_e32 v0, 0xffff0000, v7
	buffer_store_dword v0, off, s[48:51], 0 offset:108 ; 4-byte Folded Spill
	v_lshlrev_b32_e32 v0, 16, v7
	buffer_store_dword v0, off, s[48:51], 0 offset:112 ; 4-byte Folded Spill
	v_and_b32_e32 v0, 0xffff0000, v8
	buffer_store_dword v0, off, s[48:51], 0 offset:116 ; 4-byte Folded Spill
	v_lshlrev_b32_e32 v0, 16, v8
	buffer_store_dword v0, off, s[48:51], 0 offset:120 ; 4-byte Folded Spill
	v_and_b32_e32 v0, 0xffff0000, v9
	buffer_store_dword v0, off, s[48:51], 0 offset:124 ; 4-byte Folded Spill
	v_lshlrev_b32_e32 v0, 16, v9
	buffer_store_dword v0, off, s[48:51], 0 offset:128 ; 4-byte Folded Spill
	ds_read_b128 v[2:5], v1 offset:64
	ds_read_b128 v[6:9], v1 offset:80
	s_waitcnt lgkmcnt(1)
	v_and_b32_e32 v0, 0xffff0000, v2
	buffer_store_dword v0, off, s[48:51], 0 offset:132 ; 4-byte Folded Spill
	v_lshlrev_b32_e32 v0, 16, v2
	buffer_store_dword v0, off, s[48:51], 0 offset:136 ; 4-byte Folded Spill
	v_and_b32_e32 v0, 0xffff0000, v3
	buffer_store_dword v0, off, s[48:51], 0 offset:140 ; 4-byte Folded Spill
	v_lshlrev_b32_e32 v0, 16, v3
	buffer_store_dword v0, off, s[48:51], 0 offset:144 ; 4-byte Folded Spill
	v_and_b32_e32 v0, 0xffff0000, v4
	buffer_store_dword v0, off, s[48:51], 0 offset:148 ; 4-byte Folded Spill
	v_lshlrev_b32_e32 v0, 16, v4
	buffer_store_dword v0, off, s[48:51], 0 offset:152 ; 4-byte Folded Spill
	v_and_b32_e32 v0, 0xffff0000, v5
	buffer_store_dword v0, off, s[48:51], 0 offset:156 ; 4-byte Folded Spill
	v_lshlrev_b32_e32 v0, 16, v5
	buffer_store_dword v0, off, s[48:51], 0 offset:160 ; 4-byte Folded Spill
	s_waitcnt lgkmcnt(0)
	v_and_b32_e32 v0, 0xffff0000, v6
	buffer_store_dword v0, off, s[48:51], 0 offset:164 ; 4-byte Folded Spill
	v_lshlrev_b32_e32 v0, 16, v6
	buffer_store_dword v0, off, s[48:51], 0 offset:168 ; 4-byte Folded Spill
	v_and_b32_e32 v0, 0xffff0000, v7
	buffer_store_dword v0, off, s[48:51], 0 offset:172 ; 4-byte Folded Spill
	v_lshlrev_b32_e32 v0, 16, v7
	buffer_store_dword v0, off, s[48:51], 0 offset:176 ; 4-byte Folded Spill
	v_and_b32_e32 v0, 0xffff0000, v8
	buffer_store_dword v0, off, s[48:51], 0 offset:180 ; 4-byte Folded Spill
	v_lshlrev_b32_e32 v0, 16, v8
	buffer_store_dword v0, off, s[48:51], 0 offset:184 ; 4-byte Folded Spill
	v_and_b32_e32 v0, 0xffff0000, v9
	buffer_store_dword v0, off, s[48:51], 0 offset:188 ; 4-byte Folded Spill
	v_lshlrev_b32_e32 v0, 16, v9
	;; [unrolled: 36-line block ×3, first 2 shown]
	buffer_store_dword v0, off, s[48:51], 0 offset:256 ; 4-byte Folded Spill
	ds_read_b128 v[2:5], v1 offset:128
	ds_read_b128 v[6:9], v1 offset:144
	s_waitcnt lgkmcnt(1)
	v_and_b32_e32 v0, 0xffff0000, v2
	v_lshlrev_b32_e32 v121, 16, v5
	s_waitcnt lgkmcnt(0)
	v_and_b32_e32 v122, 0xffff0000, v6
	v_lshlrev_b32_e32 v123, 16, v6
	v_and_b32_e32 v124, 0xffff0000, v7
	buffer_store_dword v0, off, s[48:51], 0 offset:260 ; 4-byte Folded Spill
	v_lshlrev_b32_e32 v0, 16, v2
	v_lshlrev_b32_e32 v125, 16, v7
	v_and_b32_e32 v126, 0xffff0000, v8
	v_lshlrev_b32_e32 v127, 16, v8
	v_and_b32_e32 v43, 0xffff0000, v9
	buffer_store_dword v0, off, s[48:51], 0 offset:264 ; 4-byte Folded Spill
	v_and_b32_e32 v0, 0xffff0000, v3
	v_lshlrev_b32_e32 v44, 16, v9
	buffer_store_dword v0, off, s[48:51], 0 offset:268 ; 4-byte Folded Spill
	v_lshlrev_b32_e32 v0, 16, v3
	buffer_store_dword v0, off, s[48:51], 0 offset:272 ; 4-byte Folded Spill
	v_and_b32_e32 v0, 0xffff0000, v4
	buffer_store_dword v0, off, s[48:51], 0 offset:276 ; 4-byte Folded Spill
	v_lshlrev_b32_e32 v0, 16, v4
	buffer_store_dword v0, off, s[48:51], 0 offset:280 ; 4-byte Folded Spill
	v_and_b32_e32 v0, 0xffff0000, v5
	buffer_store_dword v0, off, s[48:51], 0 offset:284 ; 4-byte Folded Spill
	ds_read_b128 v[2:5], v1 offset:160
	ds_read_b128 v[6:9], v1 offset:176
	s_waitcnt lgkmcnt(1)
	v_and_b32_e32 v72, 0xffff0000, v2
	v_lshlrev_b32_e32 v73, 16, v2
	v_and_b32_e32 v45, 0xffff0000, v3
	v_lshlrev_b32_e32 v0, 16, v3
	;; [unrolled: 2-line block ×4, first 2 shown]
	s_waitcnt lgkmcnt(0)
	v_and_b32_e32 v50, 0xffff0000, v6
	v_lshlrev_b32_e32 v51, 16, v6
	v_and_b32_e32 v52, 0xffff0000, v7
	v_lshlrev_b32_e32 v53, 16, v7
	v_and_b32_e32 v54, 0xffff0000, v8
	v_lshlrev_b32_e32 v55, 16, v8
	v_and_b32_e32 v56, 0xffff0000, v9
	v_lshlrev_b32_e32 v57, 16, v9
	ds_read_b128 v[2:5], v1 offset:192
	ds_read_b128 v[6:9], v1 offset:208
	buffer_store_dword v11, off, s[48:51], 0 offset:300 ; 4-byte Folded Spill
	buffer_store_dword v107, off, s[48:51], 0 offset:292 ; 4-byte Folded Spill
	s_waitcnt lgkmcnt(1)
	v_and_b32_e32 v58, 0xffff0000, v2
	v_lshlrev_b32_e32 v59, 16, v2
	v_and_b32_e32 v60, 0xffff0000, v3
	v_lshlrev_b32_e32 v61, 16, v3
	;; [unrolled: 2-line block ×3, first 2 shown]
	ds_read_b128 v[1:4], v1 offset:224
	v_and_b32_e32 v64, 0xffff0000, v5
	v_lshlrev_b32_e32 v65, 16, v5
	s_waitcnt lgkmcnt(1)
	v_and_b32_e32 v66, 0xffff0000, v6
	v_lshlrev_b32_e32 v67, 16, v6
	v_and_b32_e32 v68, 0xffff0000, v7
	v_lshlrev_b32_e32 v71, 16, v7
	;; [unrolled: 2-line block ×4, first 2 shown]
	s_waitcnt lgkmcnt(0)
	v_and_b32_e32 v79, 0xffff0000, v1
	v_lshlrev_b32_e32 v80, 16, v1
	v_and_b32_e32 v81, 0xffff0000, v2
	v_lshlrev_b32_e32 v82, 16, v2
	v_lshlrev_b64 v[1:2], 2, v[69:70]
	v_and_b32_e32 v83, 0xffff0000, v3
	v_lshlrev_b32_e32 v84, 16, v3
	v_and_b32_e32 v85, 0xffff0000, v4
	v_lshlrev_b32_e32 v86, 16, v4
	v_add_co_u32 v41, vcc_lo, s42, v1
	v_cvt_f32_u32_e32 v1, s5
	v_add_co_ci_u32_e64 v42, null, s43, v2, vcc_lo
	v_cmp_neq_f32_e64 vcc_lo, s39, 0
	s_mov_b32 s42, s13
	v_rcp_iflag_f32_e32 v1, v1
	v_mul_f32_e32 v1, 0x4f7ffffe, v1
	v_cvt_u32_f32_e32 v1, v1
	v_mul_lo_u32 v2, s15, v1
	s_mov_b32 s15, 0
	v_mul_hi_u32 v2, v1, v2
	v_add_nc_u32_e32 v88, v1, v2
	buffer_load_dword v2, off, s[48:51], 0  ; 4-byte Folded Reload
	s_waitcnt vmcnt(0)
	v_subrev_nc_u32_e32 v1, s27, v2
	v_add_nc_u32_e32 v89, 1, v1
	v_lshl_or_b32 v1, v107, 7, v11
	v_add_nc_u32_e32 v90, 0x110, v1
	v_lshlrev_b32_e32 v1, 4, v2
	v_add_co_u32 v91, s1, s1, v1
	v_add_co_ci_u32_e64 v92, null, s2, 0, s1
	s_branch .LBB176_12
.LBB176_11:                             ;   in Loop: Header=BB176_12 Depth=1
	s_or_b32 exec_lo, exec_lo, s43
	v_add_nc_u32_e32 v94, 4, v94
	v_add_co_u32 v41, s1, v41, 16
	v_add_co_ci_u32_e64 v42, null, 0, v42, s1
	v_cmp_le_i32_e64 s1, s16, v94
	v_add_nc_u32_e32 v93, 0x80, v93
	v_add_nc_u32_e32 v90, 0x200, v90
	s_or_b32 s15, s1, s15
	s_andn2_b32 exec_lo, exec_lo, s15
	s_cbranch_execz .LBB176_16
.LBB176_12:                             ; =>This Inner Loop Header: Depth=1
	v_sub_nc_u32_e32 v1, 0, v93
	v_max_i32_e32 v1, v93, v1
	v_mul_hi_u32 v2, v1, s12
	v_mul_lo_u32 v3, v2, s11
	v_sub_nc_u32_e32 v1, v1, v3
	v_add_nc_u32_e32 v3, 1, v2
	v_subrev_nc_u32_e32 v4, s11, v1
	v_cmp_le_u32_e64 s1, s11, v1
	v_cndmask_b32_e64 v2, v2, v3, s1
	v_cndmask_b32_e64 v1, v1, v4, s1
	v_ashrrev_i32_e32 v3, 31, v93
	v_add_nc_u32_e32 v4, 1, v2
	v_cmp_le_u32_e64 s1, s11, v1
	v_xor_b32_e32 v3, s19, v3
	v_cndmask_b32_e64 v1, v2, v4, s1
	v_xor_b32_e32 v1, v1, v3
	v_sub_nc_u32_e32 v1, v1, v3
	v_add_nc_u32_e32 v2, s33, v1
	v_cmp_ge_i32_e64 s2, s4, v1
	v_sub_nc_u32_e32 v3, 0, v2
	v_max_i32_e32 v3, v2, v3
	v_ashrrev_i32_e32 v2, 31, v2
	v_mul_hi_u32 v4, v3, v88
	v_mul_lo_u32 v4, v4, s5
	v_sub_nc_u32_e32 v3, v3, v4
	v_subrev_nc_u32_e32 v4, s5, v3
	v_cmp_le_u32_e64 s1, s5, v3
	v_cndmask_b32_e64 v3, v3, v4, s1
	v_subrev_nc_u32_e32 v4, s5, v3
	v_cmp_le_u32_e64 s1, s5, v3
	v_cndmask_b32_e64 v3, v3, v4, s1
	v_xor_b32_e32 v3, v3, v2
	v_sub_nc_u32_e32 v2, v3, v2
	v_cmp_ne_u32_e64 s1, 0, v2
	s_and_b32 s1, s1, s2
	s_and_saveexec_b32 s2, s1
	s_xor_b32 s1, exec_lo, s2
; %bb.13:                               ;   in Loop: Header=BB176_12 Depth=1
	v_mov_b32_e32 v1, 0xff7fffff
	ds_write_b32 v90, v1
; %bb.14:                               ;   in Loop: Header=BB176_12 Depth=1
	s_andn2_saveexec_b32 s43, s1
	s_cbranch_execz .LBB176_11
; %bb.15:                               ;   in Loop: Header=BB176_12 Depth=1
	global_load_dword v1, v[41:42], off
	buffer_load_dword v2, off, s[48:51], 0  ; 4-byte Folded Reload
	v_add_nc_u32_e32 v4, v89, v93
	v_cvt_f32_i32_e32 v4, v4
	v_mul_f32_e32 v4, s39, v4
	v_cndmask_b32_e32 v95, 0, v4, vcc_lo
	s_waitcnt vmcnt(0)
	v_add_nc_u32_e32 v3, v2, v93
	v_mad_i64_i32 v[1:2], null, v1, s42, 0
	v_lshlrev_b64 v[1:2], 1, v[1:2]
	v_add_co_u32 v1, s1, v91, v1
	v_add_co_ci_u32_e64 v2, null, v92, v2, s1
	v_cmp_gt_i32_e64 s1, s27, v3
	s_clause 0x2
	global_load_dwordx4 v[3:6], v[1:2], off
	global_load_dwordx4 v[7:10], v[1:2], off offset:512
	global_load_dwordx4 v[11:14], v[1:2], off offset:1024
	buffer_load_dword v17, off, s[48:51], 0 offset:12 ; 4-byte Folded Reload
	s_waitcnt vmcnt(3)
	v_and_b32_e32 v15, 0xffff0000, v3
	s_waitcnt vmcnt(2)
	v_lshlrev_b32_e32 v16, 16, v7
	v_and_b32_e32 v7, 0xffff0000, v7
	v_lshlrev_b32_e32 v3, 16, v3
	s_waitcnt vmcnt(0)
	v_mul_f32_e32 v96, v17, v7
	buffer_load_dword v7, off, s[48:51], 0 offset:16 ; 4-byte Folded Reload
	s_waitcnt vmcnt(0)
	v_mul_f32_e32 v97, v7, v16
	buffer_load_dword v7, off, s[48:51], 0 offset:8 ; 4-byte Folded Reload
	s_waitcnt vmcnt(0)
	v_fmac_f32_e32 v97, v7, v3
	buffer_load_dword v3, off, s[48:51], 0 offset:4 ; 4-byte Folded Reload
	v_and_b32_e32 v7, 0xffff0000, v11
	s_waitcnt vmcnt(0)
	v_fmac_f32_e32 v96, v3, v15
	v_lshlrev_b32_e32 v3, 16, v11
	buffer_load_dword v11, off, s[48:51], 0 offset:68 ; 4-byte Folded Reload
	s_waitcnt vmcnt(0)
	v_fmac_f32_e32 v96, v11, v7
	s_clause 0x1
	buffer_load_dword v7, off, s[48:51], 0 offset:72
	buffer_load_dword v11, off, s[48:51], 0 offset:28
	s_waitcnt vmcnt(1)
	v_fmac_f32_e32 v97, v7, v3
	v_lshlrev_b32_e32 v7, 16, v8
	v_and_b32_e32 v8, 0xffff0000, v8
	v_and_b32_e32 v3, 0xffff0000, v4
	v_lshlrev_b32_e32 v4, 16, v4
	s_waitcnt vmcnt(0)
	v_mul_f32_e32 v98, v11, v8
	buffer_load_dword v8, off, s[48:51], 0 offset:32 ; 4-byte Folded Reload
	s_waitcnt vmcnt(0)
	v_mul_f32_e32 v99, v8, v7
	s_clause 0x1
	buffer_load_dword v7, off, s[48:51], 0 offset:24
	buffer_load_dword v8, off, s[48:51], 0 offset:44
	s_waitcnt vmcnt(1)
	v_fmac_f32_e32 v99, v7, v4
	s_clause 0x1
	buffer_load_dword v4, off, s[48:51], 0 offset:20
	buffer_load_dword v7, off, s[48:51], 0 offset:76
	s_waitcnt vmcnt(1)
	v_fmac_f32_e32 v98, v4, v3
	v_and_b32_e32 v4, 0xffff0000, v12
	v_lshlrev_b32_e32 v3, 16, v12
	s_waitcnt vmcnt(0)
	v_fmac_f32_e32 v98, v7, v4
	buffer_load_dword v4, off, s[48:51], 0 offset:80 ; 4-byte Folded Reload
	v_and_b32_e32 v7, 0xffff0000, v9
	v_mul_f32_e32 v100, v8, v7
	buffer_load_dword v7, off, s[48:51], 0 offset:48 ; 4-byte Folded Reload
	s_waitcnt vmcnt(1)
	v_fmac_f32_e32 v99, v4, v3
	v_and_b32_e32 v3, 0xffff0000, v5
	v_lshlrev_b32_e32 v4, 16, v5
	v_lshlrev_b32_e32 v5, 16, v9
	s_waitcnt vmcnt(0)
	v_mul_f32_e32 v101, v7, v5
	s_clause 0x1
	buffer_load_dword v5, off, s[48:51], 0 offset:40
	buffer_load_dword v7, off, s[48:51], 0 offset:60
	s_waitcnt vmcnt(1)
	v_fmac_f32_e32 v101, v5, v4
	s_clause 0x1
	buffer_load_dword v4, off, s[48:51], 0 offset:36
	buffer_load_dword v5, off, s[48:51], 0 offset:84
	s_waitcnt vmcnt(1)
	v_fmac_f32_e32 v100, v4, v3
	v_and_b32_e32 v4, 0xffff0000, v13
	v_lshlrev_b32_e32 v3, 16, v13
	s_waitcnt vmcnt(0)
	v_fmac_f32_e32 v100, v5, v4
	buffer_load_dword v4, off, s[48:51], 0 offset:88 ; 4-byte Folded Reload
	v_lshlrev_b32_e32 v5, 16, v10
	s_waitcnt vmcnt(0)
	v_fmac_f32_e32 v101, v4, v3
	v_and_b32_e32 v3, 0xffff0000, v6
	v_lshlrev_b32_e32 v4, 16, v6
	v_and_b32_e32 v6, 0xffff0000, v10
	v_mul_f32_e32 v102, v7, v6
	buffer_load_dword v6, off, s[48:51], 0 offset:64 ; 4-byte Folded Reload
	v_add_co_u32 v7, s2, 0x800, v1
	v_add_co_ci_u32_e64 v8, null, 0, v2, s2
	v_add_co_u32 v9, s2, v1, 0x1000
	v_add_co_ci_u32_e64 v10, null, 0, v2, s2
	s_waitcnt vmcnt(0)
	v_mul_f32_e32 v103, v6, v5
	buffer_load_dword v5, off, s[48:51], 0 offset:56 ; 4-byte Folded Reload
	s_waitcnt vmcnt(0)
	v_fmac_f32_e32 v103, v5, v4
	s_clause 0x1
	buffer_load_dword v4, off, s[48:51], 0 offset:52
	buffer_load_dword v5, off, s[48:51], 0 offset:92
	s_waitcnt vmcnt(1)
	v_fmac_f32_e32 v102, v4, v3
	v_and_b32_e32 v4, 0xffff0000, v14
	v_lshlrev_b32_e32 v3, 16, v14
	s_waitcnt vmcnt(0)
	v_fmac_f32_e32 v102, v5, v4
	buffer_load_dword v4, off, s[48:51], 0 offset:96 ; 4-byte Folded Reload
	s_waitcnt vmcnt(0)
	v_fmac_f32_e32 v103, v4, v3
	global_load_dwordx4 v[3:6], v[1:2], off offset:1536
	s_waitcnt vmcnt(0)
	v_and_b32_e32 v112, 0xffff0000, v3
	v_lshlrev_b32_e32 v113, 16, v3
	v_and_b32_e32 v114, 0xffff0000, v4
	v_lshlrev_b32_e32 v115, 16, v4
	;; [unrolled: 2-line block ×4, first 2 shown]
	s_clause 0x3
	global_load_dwordx4 v[3:6], v[9:10], off offset:-2048
	global_load_dwordx4 v[37:40], v[7:8], off offset:512
	global_load_dwordx4 v[33:36], v[7:8], off offset:1024
	;; [unrolled: 1-line block ×3, first 2 shown]
	s_waitcnt vmcnt(3)
	v_lshlrev_b32_e32 v116, 16, v3
	v_and_b32_e32 v117, 0xffff0000, v3
	v_add_co_u32 v3, s2, 0x1000, v1
	v_lshlrev_b32_e32 v118, 16, v4
	v_and_b32_e32 v119, 0xffff0000, v4
	v_add_co_ci_u32_e64 v4, null, 0, v2, s2
	v_add_co_u32 v1, s2, 0x1800, v1
	v_add_co_ci_u32_e64 v2, null, 0, v2, s2
	v_lshlrev_b32_e32 v110, 16, v5
	v_and_b32_e32 v111, 0xffff0000, v5
	v_lshlrev_b32_e32 v106, 16, v6
	v_and_b32_e32 v107, 0xffff0000, v6
	s_clause 0x6
	global_load_dwordx4 v[25:28], v[9:10], off
	global_load_dwordx4 v[21:24], v[3:4], off offset:512
	global_load_dwordx4 v[17:20], v[3:4], off offset:1024
	;; [unrolled: 1-line block ×3, first 2 shown]
	global_load_dwordx4 v[9:12], v[1:2], off
	global_load_dwordx4 v[5:8], v[1:2], off offset:512
	global_load_dwordx4 v[1:4], v[1:2], off offset:1024
	buffer_load_dword v120, off, s[48:51], 0 offset:104 ; 4-byte Folded Reload
	s_waitcnt vmcnt(0)
	v_fmac_f32_e32 v97, v120, v113
	buffer_load_dword v113, off, s[48:51], 0 offset:100 ; 4-byte Folded Reload
	s_waitcnt vmcnt(0)
	v_fmac_f32_e32 v96, v113, v112
	s_clause 0x1
	buffer_load_dword v112, off, s[48:51], 0 offset:132
	buffer_load_dword v113, off, s[48:51], 0 offset:168
	s_waitcnt vmcnt(1)
	v_fmac_f32_e32 v96, v112, v117
	buffer_load_dword v112, off, s[48:51], 0 offset:136 ; 4-byte Folded Reload
	s_waitcnt vmcnt(0)
	v_fmac_f32_e32 v97, v112, v116
	v_and_b32_e32 v112, 0xffff0000, v37
	v_lshlrev_b32_e32 v37, 16, v37
	v_fmac_f32_e32 v97, v113, v37
	buffer_load_dword v37, off, s[48:51], 0 offset:164 ; 4-byte Folded Reload
	s_waitcnt vmcnt(0)
	v_fmac_f32_e32 v96, v37, v112
	buffer_load_dword v112, off, s[48:51], 0 offset:196 ; 4-byte Folded Reload
	v_lshlrev_b32_e32 v37, 16, v33
	v_and_b32_e32 v33, 0xffff0000, v33
	s_waitcnt vmcnt(0)
	v_fmac_f32_e32 v96, v112, v33
	buffer_load_dword v33, off, s[48:51], 0 offset:200 ; 4-byte Folded Reload
	s_waitcnt vmcnt(0)
	v_fmac_f32_e32 v97, v33, v37
	buffer_load_dword v37, off, s[48:51], 0 offset:232 ; 4-byte Folded Reload
	v_and_b32_e32 v33, 0xffff0000, v29
	v_lshlrev_b32_e32 v29, 16, v29
	s_waitcnt vmcnt(0)
	v_fmac_f32_e32 v97, v37, v29
	buffer_load_dword v29, off, s[48:51], 0 offset:228 ; 4-byte Folded Reload
	s_waitcnt vmcnt(0)
	v_fmac_f32_e32 v96, v29, v33
	buffer_load_dword v33, off, s[48:51], 0 offset:260 ; 4-byte Folded Reload
	v_lshlrev_b32_e32 v29, 16, v25
	v_and_b32_e32 v25, 0xffff0000, v25
	s_waitcnt vmcnt(0)
	v_fmac_f32_e32 v96, v33, v25
	buffer_load_dword v25, off, s[48:51], 0 offset:264 ; 4-byte Folded Reload
	s_waitcnt vmcnt(0)
	v_fmac_f32_e32 v97, v25, v29
	v_and_b32_e32 v25, 0xffff0000, v21
	v_lshlrev_b32_e32 v21, 16, v21
	v_fmac_f32_e32 v96, v122, v25
	v_fmac_f32_e32 v97, v123, v21
	v_lshlrev_b32_e32 v21, 16, v17
	v_and_b32_e32 v17, 0xffff0000, v17
	v_fmac_f32_e32 v97, v73, v21
	v_fmac_f32_e32 v96, v72, v17
	v_and_b32_e32 v17, 0xffff0000, v13
	v_lshlrev_b32_e32 v13, 16, v13
	v_fmac_f32_e32 v96, v50, v17
	v_fmac_f32_e32 v97, v51, v13
	v_lshlrev_b32_e32 v13, 16, v9
	v_and_b32_e32 v9, 0xffff0000, v9
	v_fmac_f32_e32 v97, v59, v13
	v_fmac_f32_e32 v96, v58, v9
	v_and_b32_e32 v9, 0xffff0000, v5
	v_lshlrev_b32_e32 v5, 16, v5
	v_fmac_f32_e32 v96, v66, v9
	v_fmac_f32_e32 v97, v67, v5
	v_lshlrev_b32_e32 v5, 16, v1
	v_and_b32_e32 v1, 0xffff0000, v1
	buffer_load_dword v9, off, s[48:51], 0 offset:176 ; 4-byte Folded Reload
	v_fmac_f32_e32 v97, v80, v5
	v_fmac_f32_e32 v96, v79, v1
	buffer_load_dword v1, off, s[48:51], 0 offset:112 ; 4-byte Folded Reload
	v_lshlrev_b32_e32 v5, 16, v38
	s_waitcnt vmcnt(0)
	v_fmac_f32_e32 v99, v1, v115
	buffer_load_dword v1, off, s[48:51], 0 offset:108 ; 4-byte Folded Reload
	s_waitcnt vmcnt(0)
	v_fmac_f32_e32 v98, v1, v114
	buffer_load_dword v1, off, s[48:51], 0 offset:140 ; 4-byte Folded Reload
	;; [unrolled: 3-line block ×3, first 2 shown]
	s_waitcnt vmcnt(0)
	v_fmac_f32_e32 v99, v1, v118
	v_and_b32_e32 v1, 0xffff0000, v38
	v_fmac_f32_e32 v99, v9, v5
	s_clause 0x1
	buffer_load_dword v5, off, s[48:51], 0 offset:172
	buffer_load_dword v9, off, s[48:51], 0 offset:204
	s_waitcnt vmcnt(1)
	v_fmac_f32_e32 v98, v5, v1
	v_and_b32_e32 v5, 0xffff0000, v34
	v_lshlrev_b32_e32 v1, 16, v34
	s_waitcnt vmcnt(0)
	v_fmac_f32_e32 v98, v9, v5
	s_clause 0x1
	buffer_load_dword v5, off, s[48:51], 0 offset:208
	buffer_load_dword v9, off, s[48:51], 0 offset:240
	s_waitcnt vmcnt(1)
	v_fmac_f32_e32 v99, v5, v1
	v_lshlrev_b32_e32 v5, 16, v30
	v_and_b32_e32 v1, 0xffff0000, v30
	s_waitcnt vmcnt(0)
	v_fmac_f32_e32 v99, v9, v5
	s_clause 0x1
	buffer_load_dword v5, off, s[48:51], 0 offset:236
	buffer_load_dword v9, off, s[48:51], 0 offset:268
	s_waitcnt vmcnt(1)
	v_fmac_f32_e32 v98, v5, v1
	v_and_b32_e32 v5, 0xffff0000, v26
	v_lshlrev_b32_e32 v1, 16, v26
	s_waitcnt vmcnt(0)
	v_fmac_f32_e32 v98, v9, v5
	buffer_load_dword v5, off, s[48:51], 0 offset:272 ; 4-byte Folded Reload
	s_waitcnt vmcnt(0)
	v_fmac_f32_e32 v99, v5, v1
	v_and_b32_e32 v1, 0xffff0000, v22
	v_lshlrev_b32_e32 v5, 16, v22
	v_fmac_f32_e32 v98, v124, v1
	v_fmac_f32_e32 v99, v125, v5
	v_lshlrev_b32_e32 v1, 16, v18
	v_and_b32_e32 v5, 0xffff0000, v18
	v_fmac_f32_e32 v99, v0, v1
	v_fmac_f32_e32 v98, v45, v5
	v_and_b32_e32 v1, 0xffff0000, v14
	v_lshlrev_b32_e32 v5, 16, v14
	v_fmac_f32_e32 v98, v52, v1
	v_fmac_f32_e32 v99, v53, v5
	v_lshlrev_b32_e32 v1, 16, v10
	v_and_b32_e32 v5, 0xffff0000, v10
	v_fmac_f32_e32 v99, v61, v1
	v_fmac_f32_e32 v98, v60, v5
	v_and_b32_e32 v1, 0xffff0000, v6
	v_lshlrev_b32_e32 v5, 16, v6
	v_fmac_f32_e32 v98, v68, v1
	v_fmac_f32_e32 v99, v71, v5
	v_lshlrev_b32_e32 v1, 16, v2
	v_and_b32_e32 v2, 0xffff0000, v2
	buffer_load_dword v5, off, s[48:51], 0 offset:184 ; 4-byte Folded Reload
	v_fmac_f32_e32 v99, v82, v1
	buffer_load_dword v1, off, s[48:51], 0 offset:120 ; 4-byte Folded Reload
	v_fmac_f32_e32 v98, v81, v2
	v_lshlrev_b32_e32 v2, 16, v39
	s_waitcnt vmcnt(0)
	v_fmac_f32_e32 v101, v1, v109
	buffer_load_dword v1, off, s[48:51], 0 offset:116 ; 4-byte Folded Reload
	s_waitcnt vmcnt(0)
	v_fmac_f32_e32 v100, v1, v108
	buffer_load_dword v1, off, s[48:51], 0 offset:148 ; 4-byte Folded Reload
	s_waitcnt vmcnt(0)
	v_fmac_f32_e32 v100, v1, v111
	buffer_load_dword v1, off, s[48:51], 0 offset:152 ; 4-byte Folded Reload
	s_waitcnt vmcnt(0)
	v_fmac_f32_e32 v101, v1, v110
	v_and_b32_e32 v1, 0xffff0000, v39
	v_fmac_f32_e32 v101, v5, v2
	s_clause 0x1
	buffer_load_dword v2, off, s[48:51], 0 offset:180
	buffer_load_dword v5, off, s[48:51], 0 offset:212
	s_waitcnt vmcnt(1)
	v_fmac_f32_e32 v100, v2, v1
	v_and_b32_e32 v2, 0xffff0000, v35
	v_lshlrev_b32_e32 v1, 16, v35
	s_waitcnt vmcnt(0)
	v_fmac_f32_e32 v100, v5, v2
	s_clause 0x1
	buffer_load_dword v2, off, s[48:51], 0 offset:216
	buffer_load_dword v5, off, s[48:51], 0 offset:248
	s_waitcnt vmcnt(1)
	v_fmac_f32_e32 v101, v2, v1
	v_lshlrev_b32_e32 v2, 16, v31
	v_and_b32_e32 v1, 0xffff0000, v31
	s_waitcnt vmcnt(0)
	v_fmac_f32_e32 v101, v5, v2
	s_clause 0x1
	buffer_load_dword v2, off, s[48:51], 0 offset:244
	buffer_load_dword v5, off, s[48:51], 0 offset:276
	s_waitcnt vmcnt(1)
	v_fmac_f32_e32 v100, v2, v1
	v_and_b32_e32 v2, 0xffff0000, v27
	v_lshlrev_b32_e32 v1, 16, v27
	s_waitcnt vmcnt(0)
	v_fmac_f32_e32 v100, v5, v2
	buffer_load_dword v2, off, s[48:51], 0 offset:280 ; 4-byte Folded Reload
	s_waitcnt vmcnt(0)
	v_fmac_f32_e32 v101, v2, v1
	v_and_b32_e32 v1, 0xffff0000, v23
	v_lshlrev_b32_e32 v2, 16, v23
	v_fmac_f32_e32 v100, v126, v1
	v_fmac_f32_e32 v101, v127, v2
	v_lshlrev_b32_e32 v1, 16, v19
	v_and_b32_e32 v2, 0xffff0000, v19
	v_fmac_f32_e32 v101, v47, v1
	v_fmac_f32_e32 v100, v46, v2
	v_and_b32_e32 v1, 0xffff0000, v15
	v_lshlrev_b32_e32 v2, 16, v15
	v_fmac_f32_e32 v100, v54, v1
	v_fmac_f32_e32 v101, v55, v2
	v_lshlrev_b32_e32 v1, 16, v11
	v_and_b32_e32 v2, 0xffff0000, v11
	v_fmac_f32_e32 v101, v63, v1
	v_fmac_f32_e32 v100, v62, v2
	v_and_b32_e32 v1, 0xffff0000, v7
	v_lshlrev_b32_e32 v2, 16, v7
	v_fmac_f32_e32 v100, v75, v1
	v_fmac_f32_e32 v101, v76, v2
	v_lshlrev_b32_e32 v1, 16, v3
	v_and_b32_e32 v2, 0xffff0000, v3
	buffer_load_dword v3, off, s[48:51], 0 offset:192 ; 4-byte Folded Reload
	v_fmac_f32_e32 v101, v84, v1
	buffer_load_dword v1, off, s[48:51], 0 offset:128 ; 4-byte Folded Reload
	v_fmac_f32_e32 v100, v83, v2
	v_lshlrev_b32_e32 v2, 16, v40
	s_waitcnt vmcnt(0)
	v_fmac_f32_e32 v103, v1, v105
	buffer_load_dword v1, off, s[48:51], 0 offset:124 ; 4-byte Folded Reload
	s_waitcnt vmcnt(0)
	v_fmac_f32_e32 v102, v1, v104
	buffer_load_dword v1, off, s[48:51], 0 offset:156 ; 4-byte Folded Reload
	;; [unrolled: 3-line block ×3, first 2 shown]
	s_waitcnt vmcnt(0)
	v_fmac_f32_e32 v103, v1, v106
	v_and_b32_e32 v1, 0xffff0000, v40
	v_fmac_f32_e32 v103, v3, v2
	s_clause 0x1
	buffer_load_dword v2, off, s[48:51], 0 offset:188
	buffer_load_dword v3, off, s[48:51], 0 offset:220
	s_waitcnt vmcnt(1)
	v_fmac_f32_e32 v102, v2, v1
	v_and_b32_e32 v2, 0xffff0000, v36
	v_lshlrev_b32_e32 v1, 16, v36
	s_waitcnt vmcnt(0)
	v_fmac_f32_e32 v102, v3, v2
	s_clause 0x1
	buffer_load_dword v2, off, s[48:51], 0 offset:224
	buffer_load_dword v3, off, s[48:51], 0 offset:256
	s_waitcnt vmcnt(1)
	v_fmac_f32_e32 v103, v2, v1
	v_lshlrev_b32_e32 v2, 16, v32
	v_and_b32_e32 v1, 0xffff0000, v32
	s_waitcnt vmcnt(0)
	v_fmac_f32_e32 v103, v3, v2
	s_clause 0x1
	buffer_load_dword v2, off, s[48:51], 0 offset:252
	buffer_load_dword v3, off, s[48:51], 0 offset:284
	s_waitcnt vmcnt(1)
	v_fmac_f32_e32 v102, v2, v1
	v_lshlrev_b32_e32 v1, 16, v28
	v_and_b32_e32 v2, 0xffff0000, v28
	v_fmac_f32_e32 v103, v121, v1
	s_waitcnt vmcnt(0)
	v_fmac_f32_e32 v102, v3, v2
	v_and_b32_e32 v1, 0xffff0000, v24
	v_lshlrev_b32_e32 v2, 16, v24
	v_fmac_f32_e32 v102, v43, v1
	v_fmac_f32_e32 v103, v44, v2
	v_lshlrev_b32_e32 v1, 16, v20
	v_and_b32_e32 v2, 0xffff0000, v20
	v_fmac_f32_e32 v103, v49, v1
	v_fmac_f32_e32 v102, v48, v2
	v_and_b32_e32 v1, 0xffff0000, v16
	v_lshlrev_b32_e32 v2, 16, v16
	v_fmac_f32_e32 v102, v56, v1
	v_fmac_f32_e32 v103, v57, v2
	v_lshlrev_b32_e32 v1, 16, v12
	v_and_b32_e32 v2, 0xffff0000, v12
	v_fmac_f32_e32 v103, v65, v1
	;; [unrolled: 8-line block ×3, first 2 shown]
	v_add_f32_e32 v1, v97, v96
	v_fmac_f32_e32 v102, v85, v2
	v_add_f32_e32 v1, v1, v99
	v_add_f32_e32 v1, v98, v1
	;; [unrolled: 1-line block ×6, first 2 shown]
	v_fmac_f32_e32 v95, s3, v1
	v_cndmask_b32_e64 v1, 0, v95, s1
	ds_write_b32 v90, v1
	v_max_f32_e32 v1, v87, v87
	v_max_f32_e32 v1, v1, v95
	v_cndmask_b32_e64 v87, v87, v1, s1
	s_branch .LBB176_11
.LBB176_16:
	s_or_b32 exec_lo, exec_lo, s15
	s_clause 0x3
	buffer_load_dword v106, off, s[48:51], 0 offset:288
	buffer_load_dword v107, off, s[48:51], 0 offset:292
	;; [unrolled: 1-line block ×4, first 2 shown]
.LBB176_17:
	s_or_b32 exec_lo, exec_lo, s41
	v_mbcnt_lo_u32_b32 v0, -1, 0
	v_max_f32_e32 v4, v87, v87
	v_xor_b32_e32 v1, 16, v0
	v_xor_b32_e32 v3, 8, v0
	v_cmp_gt_i32_e32 vcc_lo, 32, v1
	v_cndmask_b32_e32 v1, v0, v1, vcc_lo
	v_cmp_gt_i32_e32 vcc_lo, 32, v3
	v_lshlrev_b32_e32 v1, 2, v1
	v_cndmask_b32_e32 v3, v0, v3, vcc_lo
	ds_bpermute_b32 v2, v1, v87
	s_waitcnt lgkmcnt(0)
	v_max_f32_e32 v5, v2, v2
	v_lshlrev_b32_e32 v2, 2, v3
	v_max_f32_e32 v3, v4, v5
	v_xor_b32_e32 v5, 4, v0
	ds_bpermute_b32 v4, v2, v3
	v_cmp_gt_i32_e32 vcc_lo, 32, v5
	v_cndmask_b32_e32 v5, v0, v5, vcc_lo
	s_waitcnt lgkmcnt(0)
	v_max_f32_e32 v6, v4, v4
	v_lshlrev_b32_e32 v4, 2, v5
	v_max_f32_e32 v3, v3, v6
	v_xor_b32_e32 v6, 2, v0
	ds_bpermute_b32 v5, v4, v3
	v_cmp_gt_i32_e32 vcc_lo, 32, v6
	v_cndmask_b32_e32 v6, v0, v6, vcc_lo
	v_lshlrev_b32_e32 v76, 2, v6
	v_xor_b32_e32 v6, 1, v0
	v_cmp_gt_i32_e32 vcc_lo, 32, v6
	s_waitcnt lgkmcnt(0)
	v_max_f32_e32 v5, v5, v5
	v_cndmask_b32_e32 v6, v0, v6, vcc_lo
	v_max_f32_e32 v3, v3, v5
	v_lshlrev_b32_e32 v75, 2, v6
	ds_bpermute_b32 v5, v76, v3
	s_waitcnt lgkmcnt(0)
	v_max_f32_e32 v5, v5, v5
	v_max_f32_e32 v0, v3, v5
	buffer_load_dword v5, off, s[48:51], 0  ; 4-byte Folded Reload
	ds_bpermute_b32 v3, v75, v0
	s_waitcnt vmcnt(0)
	v_cmp_eq_u32_e32 vcc_lo, 0, v5
	v_lshlrev_b32_e32 v5, 2, v107
	s_and_saveexec_b32 s1, vcc_lo
	s_cbranch_execz .LBB176_19
; %bb.18:
	s_waitcnt lgkmcnt(0)
	v_max_f32_e32 v3, v3, v3
	v_max_f32_e32 v0, v0, v0
	;; [unrolled: 1-line block ×3, first 2 shown]
	ds_write_b32 v5, v0 offset:240
.LBB176_19:
	s_or_b32 exec_lo, exec_lo, s1
	buffer_load_dword v0, off, s[48:51], 0  ; 4-byte Folded Reload
	s_waitcnt vmcnt(0) lgkmcnt(0)
	s_waitcnt_vscnt null, 0x0
	s_barrier
	buffer_gl0_inv
	v_cmp_gt_u32_e64 s1, 4, v0
	v_mov_b32_e32 v0, 0xff7fffff
	s_and_saveexec_b32 s2, s1
; %bb.20:
	ds_read_b32 v0, v11 offset:240
; %bb.21:
	s_or_b32 exec_lo, exec_lo, s2
	s_waitcnt lgkmcnt(0)
	ds_bpermute_b32 v3, v76, v0
	v_max_f32_e32 v0, v0, v0
	v_mov_b32_e32 v6, 0
	s_sub_i32 s2, s16, s40
	s_lshl_b32 s2, s2, 5
	s_add_i32 s2, s2, s37
	s_min_i32 s2, s2, s27
	s_sub_i32 s4, s2, s37
	v_cmp_gt_i32_e64 s2, s4, v106
	s_waitcnt lgkmcnt(0)
	v_max_f32_e32 v3, v3, v3
	v_max_f32_e32 v0, v0, v3
	ds_bpermute_b32 v3, v75, v0
	s_waitcnt lgkmcnt(0)
	v_max_f32_e32 v3, v3, v3
	v_max_f32_e32 v0, v0, v3
	v_lshl_add_u32 v3, v106, 2, 0x110
	ds_bpermute_b32 v0, v6, v0
	s_and_saveexec_b32 s5, s2
	s_cbranch_execz .LBB176_25
; %bb.22:
	v_lshl_add_u32 v7, v106, 2, 0x110
	v_mov_b32_e32 v6, 0
	v_mov_b32_e32 v8, v106
	s_mov_b32 s15, 0
	.p2align	6
.LBB176_23:                             ; =>This Inner Loop Header: Depth=1
	ds_read_b32 v9, v7
	v_add_nc_u32_e32 v8, 0x80, v8
	v_cmp_le_i32_e64 s3, s4, v8
	s_or_b32 s15, s3, s15
	s_waitcnt lgkmcnt(0)
	v_sub_f32_e32 v9, v9, v0
	v_mul_f32_e32 v9, 0x3fb8aa3b, v9
	v_exp_f32_e32 v9, v9
	ds_write_b32 v7, v9
	v_add_f32_e32 v6, v6, v9
	v_add_nc_u32_e32 v7, 0x200, v7
	s_andn2_b32 exec_lo, exec_lo, s15
	s_cbranch_execnz .LBB176_23
; %bb.24:
	s_or_b32 exec_lo, exec_lo, s15
.LBB176_25:
	s_or_b32 exec_lo, exec_lo, s5
	ds_bpermute_b32 v1, v1, v6
	s_waitcnt lgkmcnt(0)
	v_add_f32_e32 v1, v6, v1
	ds_bpermute_b32 v2, v2, v1
	s_waitcnt lgkmcnt(0)
	v_add_f32_e32 v1, v1, v2
	;; [unrolled: 3-line block ×5, first 2 shown]
	s_and_saveexec_b32 s3, vcc_lo
; %bb.26:
	ds_write_b32 v5, v1 offset:256
; %bb.27:
	s_or_b32 exec_lo, exec_lo, s3
	s_waitcnt lgkmcnt(0)
	s_barrier
	buffer_gl0_inv
	s_and_saveexec_b32 s3, s1
; %bb.28:
	ds_read_b32 v1, v11 offset:256
; %bb.29:
	s_or_b32 exec_lo, exec_lo, s3
	s_waitcnt lgkmcnt(0)
	ds_bpermute_b32 v2, v76, v1
	s_waitcnt lgkmcnt(0)
	v_add_f32_e32 v1, v1, v2
	ds_bpermute_b32 v2, v75, v1
	s_waitcnt lgkmcnt(0)
	v_add_f32_e32 v1, v1, v2
	v_mov_b32_e32 v2, 0
	ds_bpermute_b32 v1, v2, v1
	s_and_saveexec_b32 s1, s2
	s_cbranch_execz .LBB176_32
; %bb.30:
	s_waitcnt lgkmcnt(0)
	v_add_f32_e32 v2, 0x358637bd, v1
	s_mov_b32 s2, 0
	v_div_scale_f32 v4, null, v2, v2, 1.0
	v_div_scale_f32 v7, vcc_lo, 1.0, v2, 1.0
	v_rcp_f32_e32 v5, v4
	v_fma_f32 v6, -v4, v5, 1.0
	v_fmac_f32_e32 v5, v6, v5
	v_mul_f32_e32 v6, v7, v5
	v_fma_f32 v8, -v4, v6, v7
	v_fmac_f32_e32 v6, v8, v5
	v_fma_f32 v4, -v4, v6, v7
	v_div_fmas_f32 v4, v4, v5, v6
	v_div_fixup_f32 v2, v4, v2, 1.0
	v_mov_b32_e32 v4, v106
.LBB176_31:                             ; =>This Inner Loop Header: Depth=1
	ds_read_b32 v5, v3
	v_add_nc_u32_e32 v4, 0x80, v4
	v_cmp_le_i32_e32 vcc_lo, s4, v4
	s_or_b32 s2, vcc_lo, s2
	s_waitcnt lgkmcnt(0)
	v_mul_f32_e32 v5, v2, v5
	ds_write_b32 v3, v5
	v_add_nc_u32_e32 v3, 0x200, v3
	s_andn2_b32 exec_lo, exec_lo, s2
	s_cbranch_execnz .LBB176_31
.LBB176_32:
	s_or_b32 exec_lo, exec_lo, s1
	s_mul_i32 s1, s7, s26
	s_waitcnt lgkmcnt(0)
	s_mul_i32 s4, s1, s9
	s_mov_b32 s1, exec_lo
	s_barrier
	buffer_gl0_inv
	v_cmpx_eq_u32_e32 0, v106
	s_cbranch_execz .LBB176_34
; %bb.33:
	s_ashr_i32 s5, s4, 31
	s_mul_i32 s40, s7, s6
	s_lshl_b64 s[2:3], s[4:5], 2
	v_mov_b32_e32 v2, 0
	s_add_u32 s5, s22, s2
	s_addc_u32 s6, s23, s3
	s_ashr_i32 s41, s40, 31
	s_lshl_b64 s[22:23], s[40:41], 2
	s_add_u32 s5, s5, s22
	s_addc_u32 s6, s6, s23
	s_ashr_i32 s9, s8, 31
	s_lshl_b64 s[40:41], s[8:9], 2
	s_add_u32 s42, s5, s40
	s_addc_u32 s43, s6, s41
	s_add_u32 s2, s20, s2
	s_addc_u32 s3, s21, s3
	;; [unrolled: 2-line block ×4, first 2 shown]
	global_store_dword v2, v0, s[42:43]
	global_store_dword v2, v1, s[2:3]
.LBB176_34:
	s_or_b32 exec_lo, exec_lo, s1
	v_mov_b32_e32 v92, 0
	v_and_b32_e32 v77, 3, v106
	v_mov_b32_e32 v91, 0
	v_mov_b32_e32 v90, 0
	;; [unrolled: 1-line block ×14, first 2 shown]
	s_and_saveexec_b32 s3, s0
	s_cbranch_execz .LBB176_70
; %bb.35:
	s_ashr_i32 s15, s14, 31
	s_sub_i32 s5, s38, s17
	s_lshl_b64 s[0:1], s[14:15], 1
	v_lshlrev_b32_e32 v3, 3, v106
	s_add_u32 s2, s34, s0
	s_addc_u32 s9, s35, s1
	s_abs_i32 s6, s18
	v_lshlrev_b32_e32 v5, 5, v77
	v_cvt_f32_u32_e32 v2, s6
	s_sub_i32 s0, 0, s6
	v_and_b32_e32 v94, 24, v3
	v_lshlrev_b64 v[0:1], 2, v[69:70]
	v_and_b32_e32 v4, 0x1f0, v10
	v_rcp_iflag_f32_e32 v2, v2
	s_add_i32 s36, s36, -1
	v_lshl_or_b32 v5, v107, 7, v5
	v_mov_b32_e32 v93, 0
	v_add_co_u32 v95, s2, s2, v4
	v_mov_b32_e32 v78, 0
	v_mov_b32_e32 v79, 0
	;; [unrolled: 1-line block ×4, first 2 shown]
	v_mul_f32_e32 v2, 0x4f7ffffe, v2
	v_mov_b32_e32 v82, 0
	v_mov_b32_e32 v83, 0
	;; [unrolled: 1-line block ×4, first 2 shown]
	v_cvt_u32_f32_e32 v2, v2
	v_mov_b32_e32 v86, 0
	v_mov_b32_e32 v87, 0
	;; [unrolled: 1-line block ×4, first 2 shown]
	v_mul_lo_u32 v3, s0, v2
	s_lshl_b64 s[0:1], s[30:31], 2
	v_mov_b32_e32 v90, 0
	s_add_u32 s0, s28, s0
	s_addc_u32 s1, s29, s1
	v_add_co_u32 v70, vcc_lo, s0, v0
	v_mov_b32_e32 v91, 0
	v_mul_hi_u32 v3, v2, v3
	v_add_co_ci_u32_e64 v96, null, s9, 0, s2
	v_add_nc_u32_e32 v97, 0x110, v5
	v_add_co_ci_u32_e64 v71, null, s1, v1, vcc_lo
	v_mov_b32_e32 v92, 0
	s_mov_b32 s9, s13
	v_add_nc_u32_e32 v98, v2, v3
	s_mov_b32 s14, s27
	s_mov_b32 s13, 0
	s_branch .LBB176_38
.LBB176_36:                             ;   in Loop: Header=BB176_38 Depth=1
	s_or_b32 exec_lo, exec_lo, s2
	s_waitcnt lgkmcnt(1)
	v_bfe_u32 v0, v49, 16, 1
	v_bfe_u32 v72, v50, 16, 1
	v_or_b32_e32 v73, 0x400000, v49
	v_cmp_u_f32_e32 vcc_lo, v49, v49
	v_or_b32_e32 v99, 0x400000, v50
	v_add3_u32 v0, v0, v49, 0x7fff
	v_bfe_u32 v100, v51, 16, 1
	v_add3_u32 v72, v72, v50, 0x7fff
	v_bfe_u32 v101, v52, 16, 1
	v_cndmask_b32_e32 v49, v0, v73, vcc_lo
	v_cmp_u_f32_e32 vcc_lo, v50, v50
	v_add3_u32 v50, v100, v51, 0x7fff
	s_waitcnt lgkmcnt(0)
	v_bfe_u32 v73, v41, 16, 1
	v_or_b32_e32 v100, 0x400000, v52
	v_and_b32_e32 v49, 0xffff0000, v49
	v_cndmask_b32_e32 v0, v72, v99, vcc_lo
	v_or_b32_e32 v72, 0x400000, v51
	v_cmp_u_f32_e32 vcc_lo, v51, v51
	v_add3_u32 v99, v101, v52, 0x7fff
	v_add3_u32 v51, v73, v41, 0x7fff
	v_bfe_u32 v73, v42, 16, 1
	v_and_b32_e32 v0, 0xffff0000, v0
	v_cndmask_b32_e32 v50, v50, v72, vcc_lo
	v_cmp_u_f32_e32 vcc_lo, v52, v52
	v_or_b32_e32 v72, 0x400000, v41
	v_add3_u32 v73, v73, v42, 0x7fff
	v_cndmask_b32_e32 v52, v99, v100, vcc_lo
	v_cmp_u_f32_e32 vcc_lo, v41, v41
	v_bfe_u32 v41, v43, 16, 1
	v_or_b32_e32 v99, 0x400000, v42
	v_or_b32_e32 v100, 0x400000, v43
	v_cndmask_b32_e32 v51, v51, v72, vcc_lo
	s_waitcnt vmcnt(1)
	v_and_b32_e32 v72, 0xffff0000, v65
	v_cmp_u_f32_e32 vcc_lo, v42, v42
	v_add3_u32 v41, v41, v43, 0x7fff
	v_bfe_u32 v42, v44, 16, 1
	v_and_b32_e32 v51, 0xffff0000, v51
	v_mul_f32_e32 v72, v0, v72
	v_cndmask_b32_e32 v73, v73, v99, vcc_lo
	v_cmp_u_f32_e32 vcc_lo, v43, v43
	v_lshlrev_b32_e32 v43, 16, v65
	v_add3_u32 v65, v42, v44, 0x7fff
	v_and_b32_e32 v42, 0xffff0000, v52
	v_and_b32_e32 v52, 0xffff0000, v66
	v_cndmask_b32_e32 v99, v41, v100, vcc_lo
	v_bfe_u32 v41, v72, 16, 1
	v_or_b32_e32 v100, 0x400000, v44
	v_mul_f32_e32 v43, v49, v43
	v_cmp_u_f32_e32 vcc_lo, v44, v44
	v_or_b32_e32 v101, 0x400000, v72
	v_add3_u32 v41, v41, v72, 0x7fff
	v_mul_f32_e32 v52, v42, v52
	v_and_b32_e32 v44, 0xffff0000, v50
	v_cndmask_b32_e32 v65, v65, v100, vcc_lo
	v_cmp_u_f32_e32 vcc_lo, v72, v72
	v_bfe_u32 v100, v43, 16, 1
	v_lshlrev_b32_e32 v50, 16, v66
	v_and_b32_e32 v66, 0xffff0000, v67
	v_lshlrev_b32_e32 v67, 16, v67
	v_cndmask_b32_e32 v72, v41, v101, vcc_lo
	v_and_b32_e32 v41, 0xffff0000, v73
	v_add3_u32 v73, v100, v43, 0x7fff
	v_or_b32_e32 v100, 0x400000, v43
	v_bfe_u32 v101, v52, 16, 1
	v_mul_f32_e32 v50, v44, v50
	v_cmp_u_f32_e32 vcc_lo, v43, v43
	v_mul_f32_e32 v66, v41, v66
	v_mul_f32_e32 v67, v51, v67
	v_add3_u32 v43, v101, v52, 0x7fff
	v_bfe_u32 v101, v50, 16, 1
	v_cndmask_b32_e32 v73, v73, v100, vcc_lo
	v_or_b32_e32 v100, 0x400000, v52
	v_cmp_u_f32_e32 vcc_lo, v52, v52
	v_bfe_u32 v102, v66, 16, 1
	v_or_b32_e32 v103, 0x400000, v66
	v_bfe_u32 v104, v67, 16, 1
	v_and_b32_e32 v73, 0xffff0000, v73
	v_cndmask_b32_e32 v52, v43, v100, vcc_lo
	v_add3_u32 v100, v101, v50, 0x7fff
	v_or_b32_e32 v101, 0x400000, v50
	v_cmp_u_f32_e32 vcc_lo, v50, v50
	v_add3_u32 v102, v102, v66, 0x7fff
	v_and_b32_e32 v43, 0xffff0000, v65
	v_and_b32_e32 v65, 0xffff0000, v68
	;; [unrolled: 1-line block ×3, first 2 shown]
	v_cndmask_b32_e32 v100, v100, v101, vcc_lo
	v_cmp_u_f32_e32 vcc_lo, v66, v66
	v_add3_u32 v101, v104, v67, 0x7fff
	v_mul_f32_e32 v65, v43, v65
	v_lshlrev_b32_e32 v68, 16, v68
	v_and_b32_e32 v72, 0xffff0000, v72
	v_cndmask_b32_e32 v66, v102, v103, vcc_lo
	v_or_b32_e32 v102, 0x400000, v67
	v_cmp_u_f32_e32 vcc_lo, v67, v67
	v_bfe_u32 v103, v65, 16, 1
	v_and_b32_e32 v100, 0xffff0000, v100
	v_and_b32_e32 v52, 0xffff0000, v52
	v_mul_f32_e32 v68, v50, v68
	v_cndmask_b32_e32 v67, v101, v102, vcc_lo
	v_add3_u32 v99, v103, v65, 0x7fff
	v_or_b32_e32 v101, 0x400000, v65
	v_cmp_u_f32_e32 vcc_lo, v65, v65
	v_add_f32_e32 v72, v73, v72
	v_add_f32_e32 v52, v100, v52
	v_and_b32_e32 v67, 0xffff0000, v67
	v_and_b32_e32 v73, 0xffff0000, v61
	;; [unrolled: 1-line block ×3, first 2 shown]
	v_cndmask_b32_e32 v65, v99, v101, vcc_lo
	v_bfe_u32 v99, v68, 16, 1
	v_add_f32_e32 v52, v52, v72
	v_mul_f32_e32 v72, v0, v73
	v_add_f32_e32 v66, v67, v66
	v_lshlrev_b32_e32 v61, 16, v61
	v_add3_u32 v99, v99, v68, 0x7fff
	v_or_b32_e32 v100, 0x400000, v68
	v_cmp_u_f32_e32 vcc_lo, v68, v68
	v_bfe_u32 v68, v72, 16, 1
	v_add_f32_e32 v52, v66, v52
	v_mul_f32_e32 v61, v49, v61
	v_and_b32_e32 v66, 0xffff0000, v62
	v_cndmask_b32_e32 v67, v99, v100, vcc_lo
	v_add3_u32 v68, v68, v72, 0x7fff
	v_or_b32_e32 v73, 0x400000, v72
	v_bfe_u32 v99, v61, 16, 1
	v_mul_f32_e32 v66, v42, v66
	v_lshlrev_b32_e32 v62, 16, v62
	v_cmp_u_f32_e32 vcc_lo, v72, v72
	v_and_b32_e32 v100, 0xffff0000, v63
	v_add3_u32 v72, v99, v61, 0x7fff
	v_bfe_u32 v99, v66, 16, 1
	v_mul_f32_e32 v62, v44, v62
	v_cndmask_b32_e32 v68, v68, v73, vcc_lo
	v_or_b32_e32 v73, 0x400000, v61
	v_cmp_u_f32_e32 vcc_lo, v61, v61
	v_mul_f32_e32 v100, v41, v100
	v_lshlrev_b32_e32 v63, 16, v63
	v_and_b32_e32 v101, 0xffff0000, v64
	v_lshlrev_b32_e32 v64, 16, v64
	v_cndmask_b32_e32 v61, v72, v73, vcc_lo
	v_add3_u32 v72, v99, v66, 0x7fff
	v_or_b32_e32 v73, 0x400000, v66
	v_bfe_u32 v99, v62, 16, 1
	v_cmp_u_f32_e32 vcc_lo, v66, v66
	v_mul_f32_e32 v63, v51, v63
	v_mul_f32_e32 v64, v50, v64
	v_and_b32_e32 v61, 0xffff0000, v61
	v_and_b32_e32 v68, 0xffff0000, v68
	v_cndmask_b32_e32 v66, v72, v73, vcc_lo
	v_add3_u32 v72, v99, v62, 0x7fff
	v_or_b32_e32 v73, 0x400000, v62
	v_bfe_u32 v99, v100, 16, 1
	v_cmp_u_f32_e32 vcc_lo, v62, v62
	v_or_b32_e32 v102, 0x400000, v63
	v_bfe_u32 v104, v64, 16, 1
	v_and_b32_e32 v66, 0xffff0000, v66
	v_add_f32_e32 v61, v61, v68
	v_cndmask_b32_e32 v62, v72, v73, vcc_lo
	v_bfe_u32 v72, v63, 16, 1
	v_add3_u32 v73, v99, v100, 0x7fff
	v_mul_f32_e32 v99, v43, v101
	v_or_b32_e32 v101, 0x400000, v100
	v_cmp_u_f32_e32 vcc_lo, v100, v100
	v_add3_u32 v72, v72, v63, 0x7fff
	v_add3_u32 v100, v104, v64, 0x7fff
	v_bfe_u32 v103, v99, 16, 1
	v_and_b32_e32 v62, 0xffff0000, v62
	v_cndmask_b32_e32 v73, v73, v101, vcc_lo
	v_cmp_u_f32_e32 vcc_lo, v63, v63
	v_or_b32_e32 v101, 0x400000, v64
	v_and_b32_e32 v67, 0xffff0000, v67
	v_add_f32_e32 v62, v62, v66
	v_and_b32_e32 v66, 0xffff0000, v73
	v_cndmask_b32_e32 v63, v72, v102, vcc_lo
	v_cmp_u_f32_e32 vcc_lo, v64, v64
	v_add3_u32 v72, v103, v99, 0x7fff
	v_or_b32_e32 v102, 0x400000, v99
	v_and_b32_e32 v65, 0xffff0000, v65
	v_and_b32_e32 v63, 0xffff0000, v63
	v_cndmask_b32_e32 v64, v100, v101, vcc_lo
	v_cmp_u_f32_e32 vcc_lo, v99, v99
	v_add_f32_e32 v61, v62, v61
	v_add_f32_e32 v65, v67, v65
	;; [unrolled: 1-line block ×3, first 2 shown]
	v_and_b32_e32 v63, 0xffff0000, v64
	v_cndmask_b32_e32 v68, v72, v102, vcc_lo
	v_and_b32_e32 v66, 0xffff0000, v57
	v_lshlrev_b32_e32 v57, 16, v57
	v_add_f32_e32 v61, v62, v61
	v_add_f32_e32 v52, v65, v52
	v_and_b32_e32 v64, 0xffff0000, v68
	v_mul_f32_e32 v57, v49, v57
	v_add_f32_e32 v79, v79, v52
	v_add_f32_e32 v62, v63, v64
	v_mul_f32_e32 v63, v0, v66
	v_and_b32_e32 v64, 0xffff0000, v58
	v_bfe_u32 v52, v57, 16, 1
	v_lshlrev_b32_e32 v58, 16, v58
	v_add_f32_e32 v61, v62, v61
	v_bfe_u32 v62, v63, 16, 1
	v_mul_f32_e32 v64, v42, v64
	v_cmp_u_f32_e32 vcc_lo, v63, v63
	v_add3_u32 v52, v52, v57, 0x7fff
	v_add_f32_e32 v80, v80, v61
	v_add3_u32 v61, v62, v63, 0x7fff
	v_or_b32_e32 v62, 0x400000, v63
	v_or_b32_e32 v65, 0x400000, v57
	v_or_b32_e32 v63, 0x400000, v64
	v_and_b32_e32 v66, 0xffff0000, v60
	v_lshlrev_b32_e32 v60, 16, v60
	v_cndmask_b32_e32 v61, v61, v62, vcc_lo
	v_bfe_u32 v62, v64, 16, 1
	v_cmp_u_f32_e32 vcc_lo, v57, v57
	v_mul_f32_e32 v57, v44, v58
	v_and_b32_e32 v58, 0xffff0000, v59
	v_lshlrev_b32_e32 v59, 16, v59
	v_add3_u32 v62, v62, v64, 0x7fff
	v_cndmask_b32_e32 v52, v52, v65, vcc_lo
	v_bfe_u32 v65, v57, 16, 1
	v_mul_f32_e32 v58, v41, v58
	v_cmp_u_f32_e32 vcc_lo, v64, v64
	v_mul_f32_e32 v59, v51, v59
	v_or_b32_e32 v64, 0x400000, v57
	v_mul_f32_e32 v60, v50, v60
	v_and_b32_e32 v52, 0xffff0000, v52
	v_cndmask_b32_e32 v62, v62, v63, vcc_lo
	v_add3_u32 v63, v65, v57, 0x7fff
	v_bfe_u32 v65, v58, 16, 1
	v_cmp_u_f32_e32 vcc_lo, v57, v57
	v_bfe_u32 v67, v59, 16, 1
	v_and_b32_e32 v61, 0xffff0000, v61
	v_and_b32_e32 v62, 0xffff0000, v62
	v_cndmask_b32_e32 v57, v63, v64, vcc_lo
	v_add3_u32 v63, v65, v58, 0x7fff
	v_mul_f32_e32 v64, v43, v66
	v_or_b32_e32 v65, 0x400000, v58
	v_cmp_u_f32_e32 vcc_lo, v58, v58
	v_add3_u32 v66, v67, v59, 0x7fff
	v_or_b32_e32 v67, 0x400000, v59
	v_bfe_u32 v68, v64, 16, 1
	v_and_b32_e32 v57, 0xffff0000, v57
	v_cndmask_b32_e32 v58, v63, v65, vcc_lo
	v_cmp_u_f32_e32 vcc_lo, v59, v59
	v_or_b32_e32 v65, 0x400000, v64
	v_add3_u32 v63, v68, v64, 0x7fff
	v_add_f32_e32 v52, v52, v61
	v_add_f32_e32 v57, v57, v62
	v_cndmask_b32_e32 v59, v66, v67, vcc_lo
	v_bfe_u32 v66, v60, 16, 1
	v_cmp_u_f32_e32 vcc_lo, v64, v64
	v_and_b32_e32 v61, 0xffff0000, v53
	v_and_b32_e32 v58, 0xffff0000, v58
	;; [unrolled: 1-line block ×3, first 2 shown]
	v_add3_u32 v64, v66, v60, 0x7fff
	v_cndmask_b32_e32 v63, v63, v65, vcc_lo
	v_or_b32_e32 v65, 0x400000, v60
	v_cmp_u_f32_e32 vcc_lo, v60, v60
	v_add_f32_e32 v52, v57, v52
	v_mul_f32_e32 v57, v0, v61
	v_add_f32_e32 v58, v59, v58
	v_lshlrev_b32_e32 v53, 16, v53
	v_cndmask_b32_e32 v60, v64, v65, vcc_lo
	v_and_b32_e32 v64, 0xffff0000, v56
	v_bfe_u32 v61, v57, 16, 1
	v_add_f32_e32 v52, v58, v52
	v_mul_f32_e32 v53, v49, v53
	v_and_b32_e32 v59, 0xffff0000, v60
	v_and_b32_e32 v60, 0xffff0000, v63
	;; [unrolled: 1-line block ×3, first 2 shown]
	v_lshlrev_b32_e32 v54, 16, v54
	v_bfe_u32 v62, v53, 16, 1
	v_cmp_u_f32_e32 vcc_lo, v57, v57
	v_add_f32_e32 v59, v59, v60
	v_add3_u32 v60, v61, v57, 0x7fff
	v_or_b32_e32 v61, 0x400000, v57
	v_mul_f32_e32 v58, v42, v58
	v_mul_f32_e32 v54, v44, v54
	v_and_b32_e32 v63, 0xffff0000, v55
	v_lshlrev_b32_e32 v55, 16, v55
	v_cndmask_b32_e32 v57, v60, v61, vcc_lo
	v_add3_u32 v60, v62, v53, 0x7fff
	v_or_b32_e32 v61, 0x400000, v53
	v_bfe_u32 v62, v58, 16, 1
	v_cmp_u_f32_e32 vcc_lo, v53, v53
	v_mul_f32_e32 v63, v41, v63
	v_mul_f32_e32 v55, v51, v55
	v_lshlrev_b32_e32 v56, 16, v56
	v_and_b32_e32 v57, 0xffff0000, v57
	v_cndmask_b32_e32 v53, v60, v61, vcc_lo
	v_add3_u32 v60, v62, v58, 0x7fff
	v_or_b32_e32 v61, 0x400000, v58
	v_bfe_u32 v62, v54, 16, 1
	v_cmp_u_f32_e32 vcc_lo, v58, v58
	v_mul_f32_e32 v56, v50, v56
	v_or_b32_e32 v65, 0x400000, v55
	v_and_b32_e32 v53, 0xffff0000, v53
	v_add_f32_e32 v52, v59, v52
	v_cndmask_b32_e32 v58, v60, v61, vcc_lo
	v_add3_u32 v60, v62, v54, 0x7fff
	v_or_b32_e32 v61, 0x400000, v54
	v_bfe_u32 v62, v63, 16, 1
	v_cmp_u_f32_e32 vcc_lo, v54, v54
	v_and_b32_e32 v58, 0xffff0000, v58
	v_add_f32_e32 v53, v53, v57
	v_add_f32_e32 v81, v81, v52
	v_cndmask_b32_e32 v54, v60, v61, vcc_lo
	v_bfe_u32 v60, v55, 16, 1
	v_add3_u32 v61, v62, v63, 0x7fff
	v_mul_f32_e32 v62, v43, v64
	v_or_b32_e32 v64, 0x400000, v63
	v_cmp_u_f32_e32 vcc_lo, v63, v63
	v_add3_u32 v60, v60, v55, 0x7fff
	v_bfe_u32 v63, v56, 16, 1
	v_bfe_u32 v66, v62, 16, 1
	v_and_b32_e32 v54, 0xffff0000, v54
	v_cndmask_b32_e32 v61, v61, v64, vcc_lo
	v_cmp_u_f32_e32 vcc_lo, v55, v55
	v_add3_u32 v63, v63, v56, 0x7fff
	v_or_b32_e32 v64, 0x400000, v62
	v_add_f32_e32 v54, v54, v58
	v_and_b32_e32 v57, 0xffff0000, v61
	v_cndmask_b32_e32 v55, v60, v65, vcc_lo
	v_or_b32_e32 v65, 0x400000, v56
	v_cmp_u_f32_e32 vcc_lo, v56, v56
	v_add3_u32 v60, v66, v62, 0x7fff
	v_add_f32_e32 v53, v54, v53
	v_and_b32_e32 v55, 0xffff0000, v55
	v_cndmask_b32_e32 v56, v63, v65, vcc_lo
	v_cmp_u_f32_e32 vcc_lo, v62, v62
	v_add_f32_e32 v54, v55, v57
	v_and_b32_e32 v55, 0xffff0000, v45
	v_and_b32_e32 v56, 0xffff0000, v56
	v_cndmask_b32_e32 v58, v60, v64, vcc_lo
	v_lshlrev_b32_e32 v45, 16, v45
	v_add_f32_e32 v53, v54, v53
	v_mul_f32_e32 v55, v0, v55
	v_and_b32_e32 v57, 0xffff0000, v58
	v_mul_f32_e32 v45, v49, v45
	v_cmp_u_f32_e32 vcc_lo, v55, v55
	v_add_f32_e32 v54, v56, v57
	v_and_b32_e32 v56, 0xffff0000, v46
	v_bfe_u32 v57, v55, 16, 1
	v_bfe_u32 v52, v45, 16, 1
	v_lshlrev_b32_e32 v46, 16, v46
	v_add_f32_e32 v53, v54, v53
	v_mul_f32_e32 v54, v42, v56
	v_add3_u32 v56, v57, v55, 0x7fff
	v_or_b32_e32 v57, 0x400000, v55
	v_add3_u32 v52, v52, v45, 0x7fff
	v_or_b32_e32 v58, 0x400000, v45
	v_bfe_u32 v59, v54, 16, 1
	v_mul_f32_e32 v46, v44, v46
	v_cndmask_b32_e32 v55, v56, v57, vcc_lo
	v_cmp_u_f32_e32 vcc_lo, v45, v45
	v_and_b32_e32 v57, 0xffff0000, v47
	v_or_b32_e32 v56, 0x400000, v54
	v_lshlrev_b32_e32 v47, 16, v47
	v_and_b32_e32 v55, 0xffff0000, v55
	v_cndmask_b32_e32 v45, v52, v58, vcc_lo
	v_add3_u32 v52, v59, v54, 0x7fff
	v_bfe_u32 v58, v46, 16, 1
	v_cmp_u_f32_e32 vcc_lo, v54, v54
	v_mul_f32_e32 v54, v41, v57
	v_mul_f32_e32 v47, v51, v47
	v_or_b32_e32 v57, 0x400000, v46
	v_and_b32_e32 v45, 0xffff0000, v45
	v_cndmask_b32_e32 v52, v52, v56, vcc_lo
	v_add3_u32 v56, v58, v46, 0x7fff
	v_and_b32_e32 v58, 0xffff0000, v48
	v_bfe_u32 v59, v54, 16, 1
	v_cmp_u_f32_e32 vcc_lo, v46, v46
	v_bfe_u32 v60, v47, 16, 1
	v_lshlrev_b32_e32 v48, 16, v48
	v_and_b32_e32 v52, 0xffff0000, v52
	v_add_f32_e32 v45, v45, v55
	v_cndmask_b32_e32 v46, v56, v57, vcc_lo
	v_mul_f32_e32 v56, v43, v58
	v_add3_u32 v57, v59, v54, 0x7fff
	v_or_b32_e32 v58, 0x400000, v54
	v_cmp_u_f32_e32 vcc_lo, v54, v54
	v_add3_u32 v59, v60, v47, 0x7fff
	v_or_b32_e32 v60, 0x400000, v47
	v_bfe_u32 v61, v56, 16, 1
	v_and_b32_e32 v46, 0xffff0000, v46
	v_cndmask_b32_e32 v54, v57, v58, vcc_lo
	v_cmp_u_f32_e32 vcc_lo, v47, v47
	v_or_b32_e32 v58, 0x400000, v56
	v_add3_u32 v57, v61, v56, 0x7fff
	v_mul_f32_e32 v48, v50, v48
	v_add_f32_e32 v46, v46, v52
	v_cndmask_b32_e32 v47, v59, v60, vcc_lo
	v_cmp_u_f32_e32 vcc_lo, v56, v56
	v_and_b32_e32 v52, 0xffff0000, v37
	v_and_b32_e32 v54, 0xffff0000, v54
	v_add_f32_e32 v45, v46, v45
	v_and_b32_e32 v47, 0xffff0000, v47
	v_cndmask_b32_e32 v56, v57, v58, vcc_lo
	v_bfe_u32 v57, v48, 16, 1
	v_mul_f32_e32 v46, v0, v52
	v_lshlrev_b32_e32 v37, 16, v37
	v_add_f32_e32 v47, v47, v54
	v_cmp_u_f32_e32 vcc_lo, v48, v48
	v_add3_u32 v55, v57, v48, 0x7fff
	v_or_b32_e32 v57, 0x400000, v48
	v_bfe_u32 v52, v46, 16, 1
	v_add_f32_e32 v45, v47, v45
	v_mul_f32_e32 v37, v49, v37
	v_and_b32_e32 v47, 0xffff0000, v38
	v_cndmask_b32_e32 v48, v55, v57, vcc_lo
	v_add3_u32 v52, v52, v46, 0x7fff
	v_or_b32_e32 v54, 0x400000, v46
	v_bfe_u32 v55, v37, 16, 1
	v_mul_f32_e32 v47, v42, v47
	v_lshlrev_b32_e32 v38, 16, v38
	v_cmp_u_f32_e32 vcc_lo, v46, v46
	v_and_b32_e32 v57, 0xffff0000, v39
	v_lshlrev_b32_e32 v39, 16, v39
	v_and_b32_e32 v58, 0xffff0000, v40
	v_mul_f32_e32 v38, v44, v38
	v_cndmask_b32_e32 v46, v52, v54, vcc_lo
	v_add3_u32 v52, v55, v37, 0x7fff
	v_or_b32_e32 v54, 0x400000, v37
	v_bfe_u32 v55, v47, 16, 1
	v_cmp_u_f32_e32 vcc_lo, v37, v37
	v_mul_f32_e32 v57, v41, v57
	v_mul_f32_e32 v39, v51, v39
	v_lshlrev_b32_e32 v40, 16, v40
	v_and_b32_e32 v46, 0xffff0000, v46
	v_cndmask_b32_e32 v37, v52, v54, vcc_lo
	v_add3_u32 v52, v55, v47, 0x7fff
	v_or_b32_e32 v54, 0x400000, v47
	v_bfe_u32 v55, v38, 16, 1
	v_cmp_u_f32_e32 vcc_lo, v47, v47
	v_mul_f32_e32 v40, v50, v40
	v_or_b32_e32 v59, 0x400000, v39
	v_and_b32_e32 v37, 0xffff0000, v37
	v_and_b32_e32 v48, 0xffff0000, v48
	v_cndmask_b32_e32 v47, v52, v54, vcc_lo
	v_add3_u32 v52, v55, v38, 0x7fff
	v_or_b32_e32 v54, 0x400000, v38
	v_bfe_u32 v55, v57, 16, 1
	v_cmp_u_f32_e32 vcc_lo, v38, v38
	v_bfe_u32 v61, v40, 16, 1
	v_and_b32_e32 v47, 0xffff0000, v47
	v_add_f32_e32 v37, v37, v46
	v_add_f32_e32 v82, v82, v53
	v_cndmask_b32_e32 v38, v52, v54, vcc_lo
	v_bfe_u32 v52, v39, 16, 1
	v_add3_u32 v54, v55, v57, 0x7fff
	v_mul_f32_e32 v55, v43, v58
	v_or_b32_e32 v58, 0x400000, v57
	v_cmp_u_f32_e32 vcc_lo, v57, v57
	v_add3_u32 v52, v52, v39, 0x7fff
	v_add3_u32 v57, v61, v40, 0x7fff
	v_bfe_u32 v60, v55, 16, 1
	v_and_b32_e32 v38, 0xffff0000, v38
	v_cndmask_b32_e32 v54, v54, v58, vcc_lo
	v_cmp_u_f32_e32 vcc_lo, v39, v39
	v_or_b32_e32 v58, 0x400000, v40
	v_add_f32_e32 v38, v38, v47
	v_and_b32_e32 v46, 0xffff0000, v54
	v_cndmask_b32_e32 v39, v52, v59, vcc_lo
	v_cmp_u_f32_e32 vcc_lo, v40, v40
	v_add3_u32 v52, v60, v55, 0x7fff
	v_or_b32_e32 v59, 0x400000, v55
	v_add_f32_e32 v37, v38, v37
	v_and_b32_e32 v39, 0xffff0000, v39
	v_cndmask_b32_e32 v40, v57, v58, vcc_lo
	v_cmp_u_f32_e32 vcc_lo, v55, v55
	v_add_f32_e32 v38, v39, v46
	v_and_b32_e32 v39, 0xffff0000, v40
	v_cndmask_b32_e32 v47, v52, v59, vcc_lo
	v_and_b32_e32 v52, 0xffff0000, v56
	v_and_b32_e32 v46, 0xffff0000, v33
	v_lshlrev_b32_e32 v33, 16, v33
	v_add_f32_e32 v37, v38, v37
	v_and_b32_e32 v40, 0xffff0000, v47
	v_add_f32_e32 v47, v48, v52
	v_mul_f32_e32 v33, v49, v33
	v_add_f32_e32 v38, v39, v40
	v_mul_f32_e32 v39, v0, v46
	v_add_f32_e32 v40, v47, v45
	v_and_b32_e32 v45, 0xffff0000, v34
	v_lshlrev_b32_e32 v34, 16, v34
	v_add_f32_e32 v37, v38, v37
	v_bfe_u32 v38, v39, 16, 1
	v_add_f32_e32 v83, v83, v40
	v_bfe_u32 v40, v33, 16, 1
	v_mul_f32_e32 v45, v42, v45
	v_add_f32_e32 v84, v84, v37
	v_add3_u32 v37, v38, v39, 0x7fff
	v_or_b32_e32 v38, 0x400000, v39
	v_cmp_u_f32_e32 vcc_lo, v39, v39
	v_add3_u32 v40, v40, v33, 0x7fff
	v_or_b32_e32 v46, 0x400000, v33
	v_mul_f32_e32 v34, v44, v34
	v_and_b32_e32 v39, 0xffff0000, v35
	v_cndmask_b32_e32 v37, v37, v38, vcc_lo
	v_bfe_u32 v38, v45, 16, 1
	v_cmp_u_f32_e32 vcc_lo, v33, v33
	v_lshlrev_b32_e32 v35, 16, v35
	v_mul_f32_e32 v39, v41, v39
	v_and_b32_e32 v47, 0xffff0000, v36
	v_add3_u32 v38, v38, v45, 0x7fff
	v_cndmask_b32_e32 v33, v40, v46, vcc_lo
	v_or_b32_e32 v40, 0x400000, v45
	v_bfe_u32 v46, v34, 16, 1
	v_cmp_u_f32_e32 vcc_lo, v45, v45
	v_mul_f32_e32 v35, v51, v35
	v_or_b32_e32 v45, 0x400000, v34
	v_lshlrev_b32_e32 v36, 16, v36
	v_and_b32_e32 v33, 0xffff0000, v33
	v_cndmask_b32_e32 v38, v38, v40, vcc_lo
	v_add3_u32 v40, v46, v34, 0x7fff
	v_bfe_u32 v46, v39, 16, 1
	v_cmp_u_f32_e32 vcc_lo, v34, v34
	v_bfe_u32 v48, v35, 16, 1
	v_mul_f32_e32 v36, v50, v36
	v_and_b32_e32 v37, 0xffff0000, v37
	v_and_b32_e32 v38, 0xffff0000, v38
	v_cndmask_b32_e32 v34, v40, v45, vcc_lo
	v_add3_u32 v40, v46, v39, 0x7fff
	v_mul_f32_e32 v45, v43, v47
	v_or_b32_e32 v46, 0x400000, v39
	v_cmp_u_f32_e32 vcc_lo, v39, v39
	v_add3_u32 v47, v48, v35, 0x7fff
	v_or_b32_e32 v48, 0x400000, v35
	v_bfe_u32 v52, v45, 16, 1
	v_and_b32_e32 v34, 0xffff0000, v34
	v_cndmask_b32_e32 v39, v40, v46, vcc_lo
	v_cmp_u_f32_e32 vcc_lo, v35, v35
	v_or_b32_e32 v46, 0x400000, v45
	v_add3_u32 v40, v52, v45, 0x7fff
	v_add_f32_e32 v33, v33, v37
	v_add_f32_e32 v34, v34, v38
	v_cndmask_b32_e32 v35, v47, v48, vcc_lo
	v_bfe_u32 v47, v36, 16, 1
	v_cmp_u_f32_e32 vcc_lo, v45, v45
	v_and_b32_e32 v37, 0xffff0000, v29
	v_and_b32_e32 v38, 0xffff0000, v39
	;; [unrolled: 1-line block ×3, first 2 shown]
	v_add3_u32 v45, v47, v36, 0x7fff
	v_cndmask_b32_e32 v40, v40, v46, vcc_lo
	v_or_b32_e32 v46, 0x400000, v36
	v_cmp_u_f32_e32 vcc_lo, v36, v36
	v_add_f32_e32 v33, v34, v33
	v_mul_f32_e32 v34, v0, v37
	v_add_f32_e32 v35, v35, v38
	v_lshlrev_b32_e32 v29, 16, v29
	v_cndmask_b32_e32 v36, v45, v46, vcc_lo
	v_and_b32_e32 v37, 0xffff0000, v40
	v_bfe_u32 v38, v34, 16, 1
	v_add_f32_e32 v33, v35, v33
	v_mul_f32_e32 v29, v49, v29
	v_and_b32_e32 v36, 0xffff0000, v36
	v_and_b32_e32 v35, 0xffff0000, v30
	v_lshlrev_b32_e32 v30, 16, v30
	v_cmp_u_f32_e32 vcc_lo, v34, v34
	v_bfe_u32 v39, v29, 16, 1
	v_add_f32_e32 v36, v36, v37
	v_add3_u32 v37, v38, v34, 0x7fff
	v_or_b32_e32 v38, 0x400000, v34
	v_mul_f32_e32 v35, v42, v35
	v_mul_f32_e32 v30, v44, v30
	v_and_b32_e32 v40, 0xffff0000, v31
	v_lshlrev_b32_e32 v31, 16, v31
	v_cndmask_b32_e32 v34, v37, v38, vcc_lo
	v_add3_u32 v37, v39, v29, 0x7fff
	v_or_b32_e32 v38, 0x400000, v29
	v_bfe_u32 v39, v35, 16, 1
	v_cmp_u_f32_e32 vcc_lo, v29, v29
	v_mul_f32_e32 v40, v41, v40
	v_mul_f32_e32 v31, v51, v31
	v_and_b32_e32 v45, 0xffff0000, v32
	v_lshlrev_b32_e32 v32, 16, v32
	v_cndmask_b32_e32 v29, v37, v38, vcc_lo
	v_add3_u32 v37, v39, v35, 0x7fff
	v_or_b32_e32 v38, 0x400000, v35
	v_bfe_u32 v39, v30, 16, 1
	v_cmp_u_f32_e32 vcc_lo, v35, v35
	v_mul_f32_e32 v32, v50, v32
	v_or_b32_e32 v46, 0x400000, v31
	v_and_b32_e32 v29, 0xffff0000, v29
	v_and_b32_e32 v34, 0xffff0000, v34
	v_cndmask_b32_e32 v35, v37, v38, vcc_lo
	v_add3_u32 v37, v39, v30, 0x7fff
	v_or_b32_e32 v38, 0x400000, v30
	v_bfe_u32 v39, v40, 16, 1
	v_cmp_u_f32_e32 vcc_lo, v30, v30
	v_and_b32_e32 v35, 0xffff0000, v35
	v_add_f32_e32 v29, v29, v34
	v_add_f32_e32 v33, v36, v33
	v_cndmask_b32_e32 v30, v37, v38, vcc_lo
	v_bfe_u32 v37, v31, 16, 1
	v_add3_u32 v38, v39, v40, 0x7fff
	v_mul_f32_e32 v39, v43, v45
	v_or_b32_e32 v45, 0x400000, v40
	v_cmp_u_f32_e32 vcc_lo, v40, v40
	v_add3_u32 v37, v37, v31, 0x7fff
	v_bfe_u32 v40, v32, 16, 1
	v_bfe_u32 v47, v39, 16, 1
	v_and_b32_e32 v30, 0xffff0000, v30
	v_cndmask_b32_e32 v38, v38, v45, vcc_lo
	v_cmp_u_f32_e32 vcc_lo, v31, v31
	v_add3_u32 v40, v40, v32, 0x7fff
	v_or_b32_e32 v45, 0x400000, v39
	v_add_f32_e32 v30, v30, v35
	v_and_b32_e32 v34, 0xffff0000, v38
	v_cndmask_b32_e32 v31, v37, v46, vcc_lo
	v_or_b32_e32 v46, 0x400000, v32
	v_cmp_u_f32_e32 vcc_lo, v32, v32
	v_add3_u32 v37, v47, v39, 0x7fff
	v_add_f32_e32 v29, v30, v29
	v_and_b32_e32 v31, 0xffff0000, v31
	v_add_f32_e32 v85, v85, v33
	v_cndmask_b32_e32 v32, v40, v46, vcc_lo
	v_cmp_u_f32_e32 vcc_lo, v39, v39
	v_add_f32_e32 v30, v31, v34
	v_and_b32_e32 v31, 0xffff0000, v25
	v_and_b32_e32 v32, 0xffff0000, v32
	v_cndmask_b32_e32 v35, v37, v45, vcc_lo
	v_lshlrev_b32_e32 v25, 16, v25
	v_add_f32_e32 v29, v30, v29
	v_mul_f32_e32 v31, v0, v31
	v_and_b32_e32 v34, 0xffff0000, v35
	v_mul_f32_e32 v25, v49, v25
	v_cmp_u_f32_e32 vcc_lo, v31, v31
	v_add_f32_e32 v30, v32, v34
	v_and_b32_e32 v32, 0xffff0000, v26
	v_bfe_u32 v34, v31, 16, 1
	v_bfe_u32 v33, v25, 16, 1
	v_or_b32_e32 v35, 0x400000, v25
	v_add_f32_e32 v29, v30, v29
	v_mul_f32_e32 v30, v42, v32
	v_add3_u32 v32, v34, v31, 0x7fff
	v_or_b32_e32 v34, 0x400000, v31
	v_add3_u32 v33, v33, v25, 0x7fff
	v_lshlrev_b32_e32 v26, 16, v26
	v_bfe_u32 v36, v30, 16, 1
	v_add_f32_e32 v86, v86, v29
	v_cndmask_b32_e32 v31, v32, v34, vcc_lo
	v_cmp_u_f32_e32 vcc_lo, v25, v25
	v_mul_f32_e32 v26, v44, v26
	v_add3_u32 v32, v36, v30, 0x7fff
	v_and_b32_e32 v34, 0xffff0000, v27
	v_lshlrev_b32_e32 v27, 16, v27
	v_cndmask_b32_e32 v25, v33, v35, vcc_lo
	v_or_b32_e32 v33, 0x400000, v30
	v_cmp_u_f32_e32 vcc_lo, v30, v30
	v_bfe_u32 v35, v26, 16, 1
	v_mul_f32_e32 v27, v51, v27
	v_and_b32_e32 v25, 0xffff0000, v25
	v_and_b32_e32 v31, 0xffff0000, v31
	v_cndmask_b32_e32 v30, v32, v33, vcc_lo
	v_mul_f32_e32 v32, v41, v34
	v_add3_u32 v33, v35, v26, 0x7fff
	v_or_b32_e32 v34, 0x400000, v26
	v_and_b32_e32 v35, 0xffff0000, v28
	v_cmp_u_f32_e32 vcc_lo, v26, v26
	v_bfe_u32 v36, v32, 16, 1
	v_bfe_u32 v37, v27, 16, 1
	v_lshlrev_b32_e32 v28, 16, v28
	v_and_b32_e32 v30, 0xffff0000, v30
	v_cndmask_b32_e32 v26, v33, v34, vcc_lo
	v_mul_f32_e32 v33, v43, v35
	v_add3_u32 v34, v36, v32, 0x7fff
	v_or_b32_e32 v35, 0x400000, v32
	v_cmp_u_f32_e32 vcc_lo, v32, v32
	v_add3_u32 v36, v37, v27, 0x7fff
	v_or_b32_e32 v37, 0x400000, v27
	v_bfe_u32 v38, v33, 16, 1
	v_and_b32_e32 v26, 0xffff0000, v26
	v_cndmask_b32_e32 v32, v34, v35, vcc_lo
	v_cmp_u_f32_e32 vcc_lo, v27, v27
	v_or_b32_e32 v35, 0x400000, v33
	v_add3_u32 v34, v38, v33, 0x7fff
	v_mul_f32_e32 v28, v50, v28
	v_add_f32_e32 v25, v25, v31
	v_cndmask_b32_e32 v27, v36, v37, vcc_lo
	v_cmp_u_f32_e32 vcc_lo, v33, v33
	v_add_f32_e32 v26, v26, v30
	v_and_b32_e32 v30, 0xffff0000, v17
	v_and_b32_e32 v31, 0xffff0000, v32
	;; [unrolled: 1-line block ×3, first 2 shown]
	v_cndmask_b32_e32 v33, v34, v35, vcc_lo
	v_bfe_u32 v34, v28, 16, 1
	v_add_f32_e32 v25, v26, v25
	v_mul_f32_e32 v26, v0, v30
	v_add_f32_e32 v27, v27, v31
	v_lshlrev_b32_e32 v17, 16, v17
	v_add3_u32 v32, v34, v28, 0x7fff
	v_or_b32_e32 v34, 0x400000, v28
	v_cmp_u_f32_e32 vcc_lo, v28, v28
	v_bfe_u32 v30, v26, 16, 1
	v_add_f32_e32 v25, v27, v25
	v_mul_f32_e32 v17, v49, v17
	v_and_b32_e32 v27, 0xffff0000, v18
	v_cndmask_b32_e32 v28, v32, v34, vcc_lo
	v_add3_u32 v30, v30, v26, 0x7fff
	v_or_b32_e32 v31, 0x400000, v26
	v_bfe_u32 v32, v17, 16, 1
	v_mul_f32_e32 v27, v42, v27
	v_lshlrev_b32_e32 v18, 16, v18
	v_cmp_u_f32_e32 vcc_lo, v26, v26
	v_and_b32_e32 v34, 0xffff0000, v19
	v_lshlrev_b32_e32 v19, 16, v19
	v_and_b32_e32 v35, 0xffff0000, v20
	v_mul_f32_e32 v18, v44, v18
	v_cndmask_b32_e32 v26, v30, v31, vcc_lo
	v_add3_u32 v30, v32, v17, 0x7fff
	v_or_b32_e32 v31, 0x400000, v17
	v_bfe_u32 v32, v27, 16, 1
	v_cmp_u_f32_e32 vcc_lo, v17, v17
	v_mul_f32_e32 v34, v41, v34
	v_mul_f32_e32 v19, v51, v19
	v_lshlrev_b32_e32 v20, 16, v20
	v_and_b32_e32 v26, 0xffff0000, v26
	v_cndmask_b32_e32 v17, v30, v31, vcc_lo
	v_add3_u32 v30, v32, v27, 0x7fff
	v_or_b32_e32 v31, 0x400000, v27
	v_bfe_u32 v32, v18, 16, 1
	v_cmp_u_f32_e32 vcc_lo, v27, v27
	v_mul_f32_e32 v20, v50, v20
	v_or_b32_e32 v36, 0x400000, v19
	v_and_b32_e32 v17, 0xffff0000, v17
	v_and_b32_e32 v28, 0xffff0000, v28
	v_cndmask_b32_e32 v27, v30, v31, vcc_lo
	v_add3_u32 v30, v32, v18, 0x7fff
	v_or_b32_e32 v31, 0x400000, v18
	v_bfe_u32 v32, v34, 16, 1
	v_cmp_u_f32_e32 vcc_lo, v18, v18
	v_bfe_u32 v38, v20, 16, 1
	v_and_b32_e32 v27, 0xffff0000, v27
	v_add_f32_e32 v17, v17, v26
	v_cndmask_b32_e32 v18, v30, v31, vcc_lo
	v_bfe_u32 v30, v19, 16, 1
	v_add3_u32 v31, v32, v34, 0x7fff
	v_mul_f32_e32 v32, v43, v35
	v_or_b32_e32 v35, 0x400000, v34
	v_cmp_u_f32_e32 vcc_lo, v34, v34
	v_add3_u32 v30, v30, v19, 0x7fff
	v_add3_u32 v34, v38, v20, 0x7fff
	v_bfe_u32 v37, v32, 16, 1
	v_and_b32_e32 v18, 0xffff0000, v18
	v_cndmask_b32_e32 v31, v31, v35, vcc_lo
	v_cmp_u_f32_e32 vcc_lo, v19, v19
	v_or_b32_e32 v35, 0x400000, v20
	v_add_f32_e32 v18, v18, v27
	v_and_b32_e32 v26, 0xffff0000, v31
	v_cndmask_b32_e32 v19, v30, v36, vcc_lo
	v_cmp_u_f32_e32 vcc_lo, v20, v20
	v_add3_u32 v30, v37, v32, 0x7fff
	v_or_b32_e32 v36, 0x400000, v32
	v_add_f32_e32 v17, v18, v17
	v_and_b32_e32 v19, 0xffff0000, v19
	v_cndmask_b32_e32 v20, v34, v35, vcc_lo
	v_cmp_u_f32_e32 vcc_lo, v32, v32
	v_add_f32_e32 v18, v19, v26
	v_and_b32_e32 v19, 0xffff0000, v20
	v_cndmask_b32_e32 v27, v30, v36, vcc_lo
	v_and_b32_e32 v30, 0xffff0000, v33
	v_and_b32_e32 v26, 0xffff0000, v13
	v_lshlrev_b32_e32 v13, 16, v13
	v_add_f32_e32 v17, v18, v17
	v_and_b32_e32 v20, 0xffff0000, v27
	v_add_f32_e32 v27, v28, v30
	v_mul_f32_e32 v13, v49, v13
	v_add_f32_e32 v18, v19, v20
	v_mul_f32_e32 v19, v0, v26
	v_add_f32_e32 v20, v27, v25
	v_and_b32_e32 v25, 0xffff0000, v14
	v_lshlrev_b32_e32 v14, 16, v14
	v_add_f32_e32 v17, v18, v17
	v_bfe_u32 v18, v19, 16, 1
	v_add_f32_e32 v87, v87, v20
	v_bfe_u32 v20, v13, 16, 1
	v_mul_f32_e32 v25, v42, v25
	v_add_f32_e32 v88, v88, v17
	v_add3_u32 v17, v18, v19, 0x7fff
	v_or_b32_e32 v18, 0x400000, v19
	v_cmp_u_f32_e32 vcc_lo, v19, v19
	v_add3_u32 v20, v20, v13, 0x7fff
	v_or_b32_e32 v26, 0x400000, v13
	v_mul_f32_e32 v14, v44, v14
	v_and_b32_e32 v19, 0xffff0000, v15
	v_cndmask_b32_e32 v17, v17, v18, vcc_lo
	v_bfe_u32 v18, v25, 16, 1
	v_cmp_u_f32_e32 vcc_lo, v13, v13
	v_lshlrev_b32_e32 v15, 16, v15
	v_mul_f32_e32 v19, v41, v19
	v_and_b32_e32 v27, 0xffff0000, v16
	v_add3_u32 v18, v18, v25, 0x7fff
	v_cndmask_b32_e32 v13, v20, v26, vcc_lo
	v_or_b32_e32 v20, 0x400000, v25
	v_bfe_u32 v26, v14, 16, 1
	v_cmp_u_f32_e32 vcc_lo, v25, v25
	v_mul_f32_e32 v15, v51, v15
	v_or_b32_e32 v25, 0x400000, v14
	v_lshlrev_b32_e32 v16, 16, v16
	v_and_b32_e32 v13, 0xffff0000, v13
	v_cndmask_b32_e32 v18, v18, v20, vcc_lo
	v_add3_u32 v20, v26, v14, 0x7fff
	v_bfe_u32 v26, v19, 16, 1
	v_cmp_u_f32_e32 vcc_lo, v14, v14
	v_bfe_u32 v28, v15, 16, 1
	v_mul_f32_e32 v16, v50, v16
	v_and_b32_e32 v17, 0xffff0000, v17
	v_and_b32_e32 v18, 0xffff0000, v18
	v_cndmask_b32_e32 v14, v20, v25, vcc_lo
	v_add3_u32 v20, v26, v19, 0x7fff
	v_mul_f32_e32 v25, v43, v27
	v_or_b32_e32 v26, 0x400000, v19
	v_cmp_u_f32_e32 vcc_lo, v19, v19
	v_add3_u32 v27, v28, v15, 0x7fff
	v_or_b32_e32 v28, 0x400000, v15
	v_bfe_u32 v29, v25, 16, 1
	v_and_b32_e32 v14, 0xffff0000, v14
	v_cndmask_b32_e32 v19, v20, v26, vcc_lo
	v_cmp_u_f32_e32 vcc_lo, v15, v15
	v_or_b32_e32 v26, 0x400000, v25
	v_add3_u32 v20, v29, v25, 0x7fff
	v_add_f32_e32 v13, v13, v17
	v_add_f32_e32 v14, v14, v18
	v_cndmask_b32_e32 v15, v27, v28, vcc_lo
	v_bfe_u32 v27, v16, 16, 1
	v_cmp_u_f32_e32 vcc_lo, v25, v25
	v_and_b32_e32 v18, 0xffff0000, v9
	v_and_b32_e32 v17, 0xffff0000, v19
	;; [unrolled: 1-line block ×3, first 2 shown]
	v_add3_u32 v25, v27, v16, 0x7fff
	v_cndmask_b32_e32 v20, v20, v26, vcc_lo
	v_or_b32_e32 v26, 0x400000, v16
	v_cmp_u_f32_e32 vcc_lo, v16, v16
	v_lshlrev_b32_e32 v9, 16, v9
	v_add_f32_e32 v13, v14, v13
	v_mul_f32_e32 v14, v0, v18
	v_add_f32_e32 v15, v15, v17
	v_cndmask_b32_e32 v16, v25, v26, vcc_lo
	v_mul_f32_e32 v17, v49, v9
	v_and_b32_e32 v18, 0xffff0000, v20
	v_bfe_u32 v19, v14, 16, 1
	v_and_b32_e32 v20, 0xffff0000, v10
	v_and_b32_e32 v16, 0xffff0000, v16
	v_add_f32_e32 v9, v15, v13
	v_bfe_u32 v15, v17, 16, 1
	v_lshlrev_b32_e32 v10, 16, v10
	v_cmp_u_f32_e32 vcc_lo, v14, v14
	v_add_f32_e32 v13, v16, v18
	v_add3_u32 v16, v19, v14, 0x7fff
	v_or_b32_e32 v18, 0x400000, v14
	v_mul_f32_e32 v19, v42, v20
	v_add3_u32 v15, v15, v17, 0x7fff
	v_or_b32_e32 v20, 0x400000, v17
	v_mul_f32_e32 v10, v44, v10
	v_cndmask_b32_e32 v14, v16, v18, vcc_lo
	v_bfe_u32 v16, v19, 16, 1
	v_cmp_u_f32_e32 vcc_lo, v17, v17
	v_and_b32_e32 v17, 0xffff0000, v11
	v_or_b32_e32 v18, 0x400000, v19
	v_lshlrev_b32_e32 v11, 16, v11
	v_add3_u32 v16, v16, v19, 0x7fff
	v_cndmask_b32_e32 v15, v15, v20, vcc_lo
	v_bfe_u32 v20, v10, 16, 1
	v_mul_f32_e32 v17, v41, v17
	v_cmp_u_f32_e32 vcc_lo, v19, v19
	v_mul_f32_e32 v11, v51, v11
	v_or_b32_e32 v19, 0x400000, v10
	v_and_b32_e32 v25, 0xffff0000, v12
	v_lshlrev_b32_e32 v12, 16, v12
	v_cndmask_b32_e32 v16, v16, v18, vcc_lo
	v_add3_u32 v18, v20, v10, 0x7fff
	v_bfe_u32 v20, v17, 16, 1
	v_cmp_u_f32_e32 vcc_lo, v10, v10
	v_bfe_u32 v26, v11, 16, 1
	v_mul_f32_e32 v12, v50, v12
	v_and_b32_e32 v15, 0xffff0000, v15
	v_and_b32_e32 v14, 0xffff0000, v14
	v_cndmask_b32_e32 v10, v18, v19, vcc_lo
	v_add3_u32 v18, v20, v17, 0x7fff
	v_mul_f32_e32 v19, v43, v25
	v_or_b32_e32 v20, 0x400000, v17
	v_cmp_u_f32_e32 vcc_lo, v17, v17
	v_add3_u32 v25, v26, v11, 0x7fff
	v_or_b32_e32 v26, 0x400000, v11
	v_bfe_u32 v27, v19, 16, 1
	v_and_b32_e32 v10, 0xffff0000, v10
	v_cndmask_b32_e32 v17, v18, v20, vcc_lo
	v_cmp_u_f32_e32 vcc_lo, v11, v11
	v_or_b32_e32 v20, 0x400000, v19
	v_add3_u32 v18, v27, v19, 0x7fff
	v_and_b32_e32 v16, 0xffff0000, v16
	v_add_f32_e32 v14, v15, v14
	v_cndmask_b32_e32 v11, v25, v26, vcc_lo
	v_bfe_u32 v25, v12, 16, 1
	v_cmp_u_f32_e32 vcc_lo, v19, v19
	v_add_f32_e32 v10, v10, v16
	v_and_b32_e32 v16, 0xffff0000, v5
	v_and_b32_e32 v11, 0xffff0000, v11
	v_add3_u32 v19, v25, v12, 0x7fff
	v_cndmask_b32_e32 v18, v18, v20, vcc_lo
	v_or_b32_e32 v20, 0x400000, v12
	v_cmp_u_f32_e32 vcc_lo, v12, v12
	v_and_b32_e32 v15, 0xffff0000, v17
	v_lshlrev_b32_e32 v5, 16, v5
	v_add_f32_e32 v10, v10, v14
	v_mul_f32_e32 v14, v0, v16
	v_cndmask_b32_e32 v12, v19, v20, vcc_lo
	v_add_f32_e32 v11, v11, v15
	v_mul_f32_e32 v15, v49, v5
	v_and_b32_e32 v16, 0xffff0000, v18
	v_and_b32_e32 v17, 0xffff0000, v6
	;; [unrolled: 1-line block ×3, first 2 shown]
	v_bfe_u32 v18, v14, 16, 1
	v_add_f32_e32 v5, v11, v10
	v_bfe_u32 v11, v15, 16, 1
	v_cmp_u_f32_e32 vcc_lo, v14, v14
	v_add_f32_e32 v10, v12, v16
	v_mul_f32_e32 v12, v42, v17
	v_add3_u32 v16, v18, v14, 0x7fff
	v_or_b32_e32 v17, 0x400000, v14
	v_add3_u32 v11, v11, v15, 0x7fff
	v_or_b32_e32 v18, 0x400000, v15
	v_bfe_u32 v19, v12, 16, 1
	v_lshlrev_b32_e32 v6, 16, v6
	v_cndmask_b32_e32 v14, v16, v17, vcc_lo
	v_cmp_u_f32_e32 vcc_lo, v15, v15
	v_or_b32_e32 v16, 0x400000, v12
	v_add3_u32 v15, v19, v12, 0x7fff
	v_mul_f32_e32 v6, v44, v6
	v_and_b32_e32 v17, 0xffff0000, v7
	v_cndmask_b32_e32 v11, v11, v18, vcc_lo
	v_cmp_u_f32_e32 vcc_lo, v12, v12
	v_lshlrev_b32_e32 v7, 16, v7
	v_bfe_u32 v18, v6, 16, 1
	v_and_b32_e32 v14, 0xffff0000, v14
	v_and_b32_e32 v11, 0xffff0000, v11
	v_cndmask_b32_e32 v12, v15, v16, vcc_lo
	v_mul_f32_e32 v15, v41, v17
	v_mul_f32_e32 v7, v51, v7
	v_add3_u32 v16, v18, v6, 0x7fff
	v_or_b32_e32 v17, 0x400000, v6
	v_and_b32_e32 v18, 0xffff0000, v8
	v_bfe_u32 v19, v15, 16, 1
	v_cmp_u_f32_e32 vcc_lo, v6, v6
	v_bfe_u32 v20, v7, 16, 1
	v_lshlrev_b32_e32 v8, 16, v8
	v_and_b32_e32 v12, 0xffff0000, v12
	v_add_f32_e32 v11, v11, v14
	v_cndmask_b32_e32 v6, v16, v17, vcc_lo
	v_mul_f32_e32 v16, v43, v18
	v_add3_u32 v17, v19, v15, 0x7fff
	v_or_b32_e32 v18, 0x400000, v15
	v_cmp_u_f32_e32 vcc_lo, v15, v15
	v_add3_u32 v19, v20, v7, 0x7fff
	v_or_b32_e32 v20, 0x400000, v7
	v_bfe_u32 v25, v16, 16, 1
	v_and_b32_e32 v6, 0xffff0000, v6
	v_cndmask_b32_e32 v15, v17, v18, vcc_lo
	v_cmp_u_f32_e32 vcc_lo, v7, v7
	v_or_b32_e32 v18, 0x400000, v16
	v_add3_u32 v17, v25, v16, 0x7fff
	v_mul_f32_e32 v8, v50, v8
	v_add_f32_e32 v6, v6, v12
	v_cndmask_b32_e32 v7, v19, v20, vcc_lo
	v_cmp_u_f32_e32 vcc_lo, v16, v16
	v_and_b32_e32 v12, 0xffff0000, v1
	v_and_b32_e32 v14, 0xffff0000, v15
	v_add_f32_e32 v6, v6, v11
	v_and_b32_e32 v7, 0xffff0000, v7
	v_cndmask_b32_e32 v16, v17, v18, vcc_lo
	v_bfe_u32 v17, v8, 16, 1
	v_mul_f32_e32 v11, v0, v12
	v_lshlrev_b32_e32 v1, 16, v1
	v_add_f32_e32 v7, v7, v14
	v_cmp_u_f32_e32 vcc_lo, v8, v8
	v_add3_u32 v15, v17, v8, 0x7fff
	v_or_b32_e32 v17, 0x400000, v8
	v_bfe_u32 v12, v11, 16, 1
	v_add_f32_e32 v6, v7, v6
	v_and_b32_e32 v7, 0xffff0000, v2
	v_mul_f32_e32 v1, v49, v1
	v_cndmask_b32_e32 v8, v15, v17, vcc_lo
	v_add3_u32 v12, v12, v11, 0x7fff
	v_or_b32_e32 v14, 0x400000, v11
	v_mul_f32_e32 v7, v42, v7
	v_and_b32_e32 v15, 0xffff0000, v16
	v_bfe_u32 v16, v1, 16, 1
	v_cmp_u_f32_e32 vcc_lo, v11, v11
	v_lshlrev_b32_e32 v2, 16, v2
	v_or_b32_e32 v17, 0x400000, v1
	v_or_b32_e32 v18, 0x400000, v7
	s_waitcnt vmcnt(0)
	v_lshlrev_b32_e32 v20, 16, v24
	v_cndmask_b32_e32 v11, v12, v14, vcc_lo
	v_bfe_u32 v12, v7, 16, 1
	v_add3_u32 v14, v16, v1, 0x7fff
	v_and_b32_e32 v16, 0xffff0000, v3
	v_mul_f32_e32 v2, v44, v2
	v_cmp_u_f32_e32 vcc_lo, v1, v1
	v_add3_u32 v12, v12, v7, 0x7fff
	v_lshlrev_b32_e32 v3, 16, v3
	v_mul_f32_e32 v16, v41, v16
	v_and_b32_e32 v11, 0xffff0000, v11
	v_cndmask_b32_e32 v1, v14, v17, vcc_lo
	v_bfe_u32 v14, v2, 16, 1
	v_cmp_u_f32_e32 vcc_lo, v7, v7
	v_and_b32_e32 v17, 0xffff0000, v4
	v_mul_f32_e32 v3, v51, v3
	v_or_b32_e32 v19, 0x400000, v16
	v_add3_u32 v14, v14, v2, 0x7fff
	v_cndmask_b32_e32 v7, v12, v18, vcc_lo
	v_bfe_u32 v12, v16, 16, 1
	v_or_b32_e32 v18, 0x400000, v2
	v_cmp_u_f32_e32 vcc_lo, v2, v2
	v_mul_f32_e32 v17, v43, v17
	v_lshlrev_b32_e32 v4, 16, v4
	v_add3_u32 v12, v12, v16, 0x7fff
	v_and_b32_e32 v1, 0xffff0000, v1
	v_cndmask_b32_e32 v2, v14, v18, vcc_lo
	v_bfe_u32 v14, v3, 16, 1
	v_cmp_u_f32_e32 vcc_lo, v16, v16
	v_bfe_u32 v18, v17, 16, 1
	v_or_b32_e32 v16, 0x400000, v3
	v_mul_f32_e32 v4, v50, v4
	v_add3_u32 v14, v14, v3, 0x7fff
	v_cndmask_b32_e32 v12, v12, v19, vcc_lo
	v_cmp_u_f32_e32 vcc_lo, v3, v3
	v_add3_u32 v18, v18, v17, 0x7fff
	v_or_b32_e32 v19, 0x400000, v17
	v_and_b32_e32 v2, 0xffff0000, v2
	v_and_b32_e32 v7, 0xffff0000, v7
	v_cndmask_b32_e32 v3, v14, v16, vcc_lo
	v_cmp_u_f32_e32 vcc_lo, v17, v17
	v_bfe_u32 v16, v4, 16, 1
	v_add_f32_e32 v1, v1, v11
	v_add_f32_e32 v2, v2, v7
	v_and_b32_e32 v3, 0xffff0000, v3
	v_cndmask_b32_e32 v14, v18, v19, vcc_lo
	v_lshlrev_b32_e32 v18, 16, v21
	v_and_b32_e32 v7, 0xffff0000, v12
	v_and_b32_e32 v12, 0xffff0000, v21
	v_add3_u32 v16, v16, v4, 0x7fff
	v_or_b32_e32 v17, 0x400000, v4
	v_mul_f32_e32 v11, v49, v18
	v_cmp_u_f32_e32 vcc_lo, v4, v4
	v_add_f32_e32 v1, v2, v1
	v_add_f32_e32 v3, v3, v7
	v_mul_f32_e32 v0, v0, v12
	v_bfe_u32 v2, v11, 16, 1
	v_lshlrev_b32_e32 v7, 16, v22
	v_cndmask_b32_e32 v4, v16, v17, vcc_lo
	v_or_b32_e32 v12, 0x400000, v11
	v_bfe_u32 v16, v0, 16, 1
	v_add3_u32 v2, v2, v11, 0x7fff
	v_mul_f32_e32 v7, v44, v7
	v_and_b32_e32 v17, 0xffff0000, v22
	v_cmp_u_f32_e32 vcc_lo, v11, v11
	v_add3_u32 v11, v16, v0, 0x7fff
	v_lshlrev_b32_e32 v18, 16, v23
	v_bfe_u32 v16, v7, 16, 1
	v_mul_f32_e32 v17, v42, v17
	v_cndmask_b32_e32 v2, v2, v12, vcc_lo
	v_or_b32_e32 v12, 0x400000, v0
	v_cmp_u_f32_e32 vcc_lo, v0, v0
	v_mul_f32_e32 v18, v51, v18
	v_and_b32_e32 v19, 0xffff0000, v23
	v_and_b32_e32 v21, 0xffff0000, v24
	;; [unrolled: 1-line block ×3, first 2 shown]
	v_cndmask_b32_e32 v0, v11, v12, vcc_lo
	v_add3_u32 v11, v16, v7, 0x7fff
	v_or_b32_e32 v12, 0x400000, v7
	v_bfe_u32 v16, v17, 16, 1
	v_cmp_u_f32_e32 vcc_lo, v7, v7
	v_mul_f32_e32 v19, v41, v19
	v_and_b32_e32 v0, 0xffff0000, v0
	v_and_b32_e32 v8, 0xffff0000, v8
	;; [unrolled: 1-line block ×3, first 2 shown]
	v_cndmask_b32_e32 v7, v11, v12, vcc_lo
	v_add3_u32 v11, v16, v17, 0x7fff
	v_or_b32_e32 v12, 0x400000, v17
	v_bfe_u32 v16, v18, 16, 1
	v_cmp_u_f32_e32 vcc_lo, v17, v17
	v_mul_f32_e32 v17, v50, v20
	v_mul_f32_e32 v20, v43, v21
	v_or_b32_e32 v21, 0x400000, v18
	v_add3_u32 v16, v16, v18, 0x7fff
	v_cndmask_b32_e32 v11, v11, v12, vcc_lo
	v_bfe_u32 v12, v19, 16, 1
	v_cmp_u_f32_e32 vcc_lo, v18, v18
	v_or_b32_e32 v22, 0x400000, v19
	v_bfe_u32 v24, v20, 16, 1
	v_bfe_u32 v23, v17, 16, 1
	v_add3_u32 v12, v12, v19, 0x7fff
	v_cndmask_b32_e32 v16, v16, v21, vcc_lo
	v_cmp_u_f32_e32 vcc_lo, v19, v19
	v_add3_u32 v19, v24, v20, 0x7fff
	v_or_b32_e32 v21, 0x400000, v20
	v_add3_u32 v18, v23, v17, 0x7fff
	v_and_b32_e32 v11, 0xffff0000, v11
	v_cndmask_b32_e32 v12, v12, v22, vcc_lo
	v_cmp_u_f32_e32 vcc_lo, v20, v20
	v_and_b32_e32 v7, 0xffff0000, v7
	v_or_b32_e32 v22, 0x400000, v17
	v_add_f32_e32 v0, v2, v0
	v_and_b32_e32 v14, 0xffff0000, v14
	v_cndmask_b32_e32 v19, v19, v21, vcc_lo
	v_cmp_u_f32_e32 vcc_lo, v17, v17
	v_add_f32_e32 v2, v7, v11
	v_and_b32_e32 v7, 0xffff0000, v12
	v_and_b32_e32 v11, 0xffff0000, v16
	v_add_f32_e32 v8, v8, v15
	v_cndmask_b32_e32 v12, v18, v22, vcc_lo
	v_add_f32_e32 v0, v2, v0
	v_add_f32_e32 v1, v3, v1
	;; [unrolled: 1-line block ×3, first 2 shown]
	v_and_b32_e32 v7, 0xffff0000, v19
	v_and_b32_e32 v11, 0xffff0000, v12
	v_add_f32_e32 v3, v4, v14
	v_add_f32_e32 v4, v13, v9
	;; [unrolled: 1-line block ×13, first 2 shown]
.LBB176_37:                             ;   in Loop: Header=BB176_38 Depth=1
	s_or_b32 exec_lo, exec_lo, s15
	v_add_nc_u32_e32 v69, 4, v69
	v_add_co_u32 v70, s0, v70, 16
	v_add_co_ci_u32_e64 v71, null, 0, v71, s0
	v_cmp_le_i32_e32 vcc_lo, s16, v69
	v_add_nc_u32_e32 v74, 0x80, v74
	v_add_nc_u32_e32 v97, 0x200, v97
	s_or_b32 s13, vcc_lo, s13
	s_andn2_b32 exec_lo, exec_lo, s13
	s_cbranch_execz .LBB176_69
.LBB176_38:                             ; =>This Inner Loop Header: Depth=1
	v_sub_nc_u32_e32 v0, 0, v74
	v_max_i32_e32 v0, v74, v0
	v_mul_hi_u32 v1, v0, s12
	v_mul_lo_u32 v2, v1, s11
	v_sub_nc_u32_e32 v0, v0, v2
	v_add_nc_u32_e32 v2, 1, v1
	v_subrev_nc_u32_e32 v3, s11, v0
	v_cmp_le_u32_e32 vcc_lo, s11, v0
	v_cndmask_b32_e32 v1, v1, v2, vcc_lo
	v_cndmask_b32_e32 v0, v0, v3, vcc_lo
	v_ashrrev_i32_e32 v2, 31, v74
	v_add_nc_u32_e32 v3, 1, v1
	v_cmp_le_u32_e32 vcc_lo, s11, v0
	v_xor_b32_e32 v2, s19, v2
	v_cndmask_b32_e32 v0, v1, v3, vcc_lo
	v_xor_b32_e32 v0, v0, v2
	v_sub_nc_u32_e32 v0, v0, v2
	v_add_nc_u32_e32 v1, s33, v0
	v_cmp_lt_i32_e64 s0, s5, v0
	v_sub_nc_u32_e32 v2, 0, v1
	v_max_i32_e32 v2, v1, v2
	v_ashrrev_i32_e32 v1, 31, v1
	v_mul_hi_u32 v3, v2, v98
	v_mul_lo_u32 v3, v3, s6
	v_sub_nc_u32_e32 v2, v2, v3
	v_subrev_nc_u32_e32 v3, s6, v2
	v_cmp_le_u32_e32 vcc_lo, s6, v2
	v_cndmask_b32_e32 v2, v2, v3, vcc_lo
	v_subrev_nc_u32_e32 v3, s6, v2
	v_cmp_le_u32_e32 vcc_lo, s6, v2
	v_cndmask_b32_e32 v2, v2, v3, vcc_lo
	v_xor_b32_e32 v2, v2, v1
	v_sub_nc_u32_e32 v1, v2, v1
	v_cmp_eq_u32_e32 vcc_lo, 0, v1
	s_or_b32 s0, vcc_lo, s0
	s_and_saveexec_b32 s15, s0
	s_cbranch_execz .LBB176_37
; %bb.39:                               ;   in Loop: Header=BB176_38 Depth=1
	global_load_dword v0, v[70:71], off
	v_add_nc_u32_e32 v100, v94, v74
	v_cmp_eq_u32_e64 s0, s36, v69
	v_add_nc_u32_e32 v103, 1, v100
	v_or_b32_e32 v101, 3, v100
	v_or_b32_e32 v102, 2, v100
	;; [unrolled: 1-line block ×5, first 2 shown]
	s_waitcnt vmcnt(0)
	v_mad_i64_i32 v[0:1], null, v0, s9, 0
	v_lshlrev_b64 v[0:1], 1, v[0:1]
	v_add_co_u32 v21, vcc_lo, v95, v0
	v_add_co_ci_u32_e64 v22, null, v96, v1, vcc_lo
	v_or_b32_e32 v0, 6, v100
	global_load_dwordx4 v[1:4], v[21:22], off
	ds_read2_b64 v[49:52], v97 offset1:1
	ds_read2_b64 v[41:44], v97 offset0:2 offset1:3
	s_and_saveexec_b32 s17, s0
	s_cbranch_execnz .LBB176_57
; %bb.40:                               ;   in Loop: Header=BB176_38 Depth=1
	s_or_b32 exec_lo, exec_lo, s17
	global_load_dwordx4 v[5:8], v[21:22], off offset:512
	s_and_saveexec_b32 s17, s0
	s_cbranch_execnz .LBB176_58
.LBB176_41:                             ;   in Loop: Header=BB176_38 Depth=1
	s_or_b32 exec_lo, exec_lo, s17
	global_load_dwordx4 v[9:12], v[21:22], off offset:1024
	s_and_saveexec_b32 s17, s0
	s_cbranch_execnz .LBB176_59
.LBB176_42:                             ;   in Loop: Header=BB176_38 Depth=1
	s_or_b32 exec_lo, exec_lo, s17
	global_load_dwordx4 v[13:16], v[21:22], off offset:1536
	s_and_saveexec_b32 s17, s0
	s_cbranch_execz .LBB176_44
.LBB176_43:                             ;   in Loop: Header=BB176_38 Depth=1
	v_cmp_gt_i32_e64 s1, s27, v100
	v_cmp_gt_i32_e32 vcc_lo, s14, v103
	v_cmp_gt_i32_e64 s2, s27, v102
	s_waitcnt vmcnt(0)
	v_cndmask_b32_e64 v17, 0, v13, s1
	v_cmp_gt_i32_e64 s1, s14, v101
	v_cndmask_b32_sdwa v13, v93, v13, vcc_lo dst_sel:DWORD dst_unused:UNUSED_PAD src0_sel:DWORD src1_sel:WORD_1
	v_cndmask_b32_e64 v18, 0, v14, s2
	v_cmp_gt_i32_e64 s2, s14, v99
	s_mov_b32 vcc_lo, s1
	v_cmp_gt_i32_e64 s1, s14, v72
	v_cndmask_b32_sdwa v14, v93, v14, vcc_lo dst_sel:DWORD dst_unused:UNUSED_PAD src0_sel:DWORD src1_sel:WORD_1
	v_cmp_gt_i32_e32 vcc_lo, s27, v73
	v_perm_b32 v13, v13, v17, 0x5040100
	v_perm_b32 v14, v14, v18, 0x5040100
	v_cndmask_b32_e32 v19, 0, v15, vcc_lo
	s_mov_b32 vcc_lo, s2
	v_cndmask_b32_sdwa v15, v93, v15, vcc_lo dst_sel:DWORD dst_unused:UNUSED_PAD src0_sel:DWORD src1_sel:WORD_1
	v_cmp_gt_i32_e32 vcc_lo, s27, v0
	v_perm_b32 v15, v15, v19, 0x5040100
	v_cndmask_b32_e32 v20, 0, v16, vcc_lo
	s_mov_b32 vcc_lo, s1
	v_cndmask_b32_sdwa v16, v93, v16, vcc_lo dst_sel:DWORD dst_unused:UNUSED_PAD src0_sel:DWORD src1_sel:WORD_1
	v_perm_b32 v16, v16, v20, 0x5040100
.LBB176_44:                             ;   in Loop: Header=BB176_38 Depth=1
	s_or_b32 exec_lo, exec_lo, s17
	v_add_co_u32 v23, vcc_lo, 0x800, v21
	v_add_co_ci_u32_e64 v24, null, 0, v22, vcc_lo
	global_load_dwordx4 v[17:20], v[23:24], off
	s_and_saveexec_b32 s17, s0
	s_cbranch_execnz .LBB176_60
; %bb.45:                               ;   in Loop: Header=BB176_38 Depth=1
	s_or_b32 exec_lo, exec_lo, s17
	global_load_dwordx4 v[25:28], v[23:24], off offset:512
	s_and_saveexec_b32 s17, s0
	s_cbranch_execnz .LBB176_61
.LBB176_46:                             ;   in Loop: Header=BB176_38 Depth=1
	s_or_b32 exec_lo, exec_lo, s17
	global_load_dwordx4 v[29:32], v[23:24], off offset:1024
	s_and_saveexec_b32 s17, s0
	s_cbranch_execnz .LBB176_62
.LBB176_47:                             ;   in Loop: Header=BB176_38 Depth=1
	s_or_b32 exec_lo, exec_lo, s17
	global_load_dwordx4 v[33:36], v[23:24], off offset:1536
	s_and_saveexec_b32 s17, s0
	s_cbranch_execz .LBB176_49
.LBB176_48:                             ;   in Loop: Header=BB176_38 Depth=1
	v_cmp_gt_i32_e64 s1, s27, v100
	v_cmp_gt_i32_e32 vcc_lo, s14, v103
	v_cmp_gt_i32_e64 s2, s27, v102
	s_waitcnt vmcnt(0)
	v_cndmask_b32_e64 v23, 0, v33, s1
	v_cmp_gt_i32_e64 s1, s14, v101
	v_cndmask_b32_sdwa v33, v93, v33, vcc_lo dst_sel:DWORD dst_unused:UNUSED_PAD src0_sel:DWORD src1_sel:WORD_1
	v_cndmask_b32_e64 v24, 0, v34, s2
	v_cmp_gt_i32_e64 s2, s14, v99
	s_mov_b32 vcc_lo, s1
	v_cmp_gt_i32_e64 s1, s14, v72
	v_cndmask_b32_sdwa v34, v93, v34, vcc_lo dst_sel:DWORD dst_unused:UNUSED_PAD src0_sel:DWORD src1_sel:WORD_1
	v_cmp_gt_i32_e32 vcc_lo, s27, v73
	v_perm_b32 v33, v33, v23, 0x5040100
	v_perm_b32 v34, v34, v24, 0x5040100
	v_cndmask_b32_e32 v37, 0, v35, vcc_lo
	s_mov_b32 vcc_lo, s2
	v_cndmask_b32_sdwa v35, v93, v35, vcc_lo dst_sel:DWORD dst_unused:UNUSED_PAD src0_sel:DWORD src1_sel:WORD_1
	v_cmp_gt_i32_e32 vcc_lo, s27, v0
	v_perm_b32 v35, v35, v37, 0x5040100
	v_cndmask_b32_e32 v38, 0, v36, vcc_lo
	s_mov_b32 vcc_lo, s1
	v_cndmask_b32_sdwa v36, v93, v36, vcc_lo dst_sel:DWORD dst_unused:UNUSED_PAD src0_sel:DWORD src1_sel:WORD_1
	v_perm_b32 v36, v36, v38, 0x5040100
.LBB176_49:                             ;   in Loop: Header=BB176_38 Depth=1
	s_or_b32 exec_lo, exec_lo, s17
	v_add_co_u32 v23, vcc_lo, 0x1000, v21
	v_add_co_ci_u32_e64 v24, null, 0, v22, vcc_lo
	global_load_dwordx4 v[37:40], v[23:24], off
	s_and_saveexec_b32 s17, s0
	s_cbranch_execnz .LBB176_63
; %bb.50:                               ;   in Loop: Header=BB176_38 Depth=1
	s_or_b32 exec_lo, exec_lo, s17
	global_load_dwordx4 v[45:48], v[23:24], off offset:512
	s_and_saveexec_b32 s17, s0
	s_cbranch_execnz .LBB176_64
.LBB176_51:                             ;   in Loop: Header=BB176_38 Depth=1
	s_or_b32 exec_lo, exec_lo, s17
	global_load_dwordx4 v[53:56], v[23:24], off offset:1024
	s_and_saveexec_b32 s17, s0
	s_cbranch_execnz .LBB176_65
.LBB176_52:                             ;   in Loop: Header=BB176_38 Depth=1
	s_or_b32 exec_lo, exec_lo, s17
	global_load_dwordx4 v[57:60], v[23:24], off offset:1536
	s_and_saveexec_b32 s17, s0
	s_cbranch_execz .LBB176_54
.LBB176_53:                             ;   in Loop: Header=BB176_38 Depth=1
	v_cmp_gt_i32_e64 s1, s27, v100
	v_cmp_gt_i32_e32 vcc_lo, s14, v103
	v_cmp_gt_i32_e64 s2, s27, v102
	s_waitcnt vmcnt(0)
	v_cndmask_b32_e64 v23, 0, v57, s1
	v_cmp_gt_i32_e64 s1, s14, v101
	v_cndmask_b32_sdwa v57, v93, v57, vcc_lo dst_sel:DWORD dst_unused:UNUSED_PAD src0_sel:DWORD src1_sel:WORD_1
	v_cndmask_b32_e64 v24, 0, v58, s2
	v_cmp_gt_i32_e64 s2, s14, v99
	s_mov_b32 vcc_lo, s1
	v_cmp_gt_i32_e64 s1, s14, v72
	v_cndmask_b32_sdwa v58, v93, v58, vcc_lo dst_sel:DWORD dst_unused:UNUSED_PAD src0_sel:DWORD src1_sel:WORD_1
	v_cmp_gt_i32_e32 vcc_lo, s27, v73
	v_perm_b32 v57, v57, v23, 0x5040100
	v_perm_b32 v58, v58, v24, 0x5040100
	v_cndmask_b32_e32 v61, 0, v59, vcc_lo
	s_mov_b32 vcc_lo, s2
	v_cndmask_b32_sdwa v59, v93, v59, vcc_lo dst_sel:DWORD dst_unused:UNUSED_PAD src0_sel:DWORD src1_sel:WORD_1
	v_cmp_gt_i32_e32 vcc_lo, s27, v0
	v_perm_b32 v59, v59, v61, 0x5040100
	v_cndmask_b32_e32 v62, 0, v60, vcc_lo
	s_mov_b32 vcc_lo, s1
	v_cndmask_b32_sdwa v60, v93, v60, vcc_lo dst_sel:DWORD dst_unused:UNUSED_PAD src0_sel:DWORD src1_sel:WORD_1
	v_perm_b32 v60, v60, v62, 0x5040100
.LBB176_54:                             ;   in Loop: Header=BB176_38 Depth=1
	s_or_b32 exec_lo, exec_lo, s17
	v_add_co_u32 v21, vcc_lo, 0x1800, v21
	v_add_co_ci_u32_e64 v22, null, 0, v22, vcc_lo
	global_load_dwordx4 v[61:64], v[21:22], off
	s_and_saveexec_b32 s17, s0
	s_cbranch_execnz .LBB176_66
; %bb.55:                               ;   in Loop: Header=BB176_38 Depth=1
	s_or_b32 exec_lo, exec_lo, s17
	global_load_dwordx4 v[65:68], v[21:22], off offset:512
	s_and_saveexec_b32 s17, s0
	s_cbranch_execnz .LBB176_67
.LBB176_56:                             ;   in Loop: Header=BB176_38 Depth=1
	s_or_b32 exec_lo, exec_lo, s17
	global_load_dwordx4 v[21:24], v[21:22], off offset:1024
	s_and_saveexec_b32 s2, s0
	s_cbranch_execz .LBB176_36
	s_branch .LBB176_68
.LBB176_57:                             ;   in Loop: Header=BB176_38 Depth=1
	v_cmp_gt_i32_e64 s1, s27, v100
	v_cmp_gt_i32_e32 vcc_lo, s14, v103
	v_cmp_gt_i32_e64 s2, s27, v102
	s_waitcnt vmcnt(0)
	v_cndmask_b32_e64 v5, 0, v1, s1
	v_cmp_gt_i32_e64 s1, s14, v101
	v_cndmask_b32_sdwa v1, v93, v1, vcc_lo dst_sel:DWORD dst_unused:UNUSED_PAD src0_sel:DWORD src1_sel:WORD_1
	v_cndmask_b32_e64 v6, 0, v2, s2
	v_cmp_gt_i32_e64 s2, s14, v99
	s_mov_b32 vcc_lo, s1
	v_cmp_gt_i32_e64 s1, s14, v72
	v_cndmask_b32_sdwa v2, v93, v2, vcc_lo dst_sel:DWORD dst_unused:UNUSED_PAD src0_sel:DWORD src1_sel:WORD_1
	v_cmp_gt_i32_e32 vcc_lo, s27, v73
	v_perm_b32 v1, v1, v5, 0x5040100
	v_perm_b32 v2, v2, v6, 0x5040100
	v_cndmask_b32_e32 v7, 0, v3, vcc_lo
	s_mov_b32 vcc_lo, s2
	v_cndmask_b32_sdwa v3, v93, v3, vcc_lo dst_sel:DWORD dst_unused:UNUSED_PAD src0_sel:DWORD src1_sel:WORD_1
	v_cmp_gt_i32_e32 vcc_lo, s27, v0
	v_perm_b32 v3, v3, v7, 0x5040100
	v_cndmask_b32_e32 v8, 0, v4, vcc_lo
	s_mov_b32 vcc_lo, s1
	v_cndmask_b32_sdwa v4, v93, v4, vcc_lo dst_sel:DWORD dst_unused:UNUSED_PAD src0_sel:DWORD src1_sel:WORD_1
	v_perm_b32 v4, v4, v8, 0x5040100
	s_or_b32 exec_lo, exec_lo, s17
	global_load_dwordx4 v[5:8], v[21:22], off offset:512
	s_and_saveexec_b32 s17, s0
	s_cbranch_execz .LBB176_41
.LBB176_58:                             ;   in Loop: Header=BB176_38 Depth=1
	v_cmp_gt_i32_e64 s1, s27, v100
	v_cmp_gt_i32_e32 vcc_lo, s14, v103
	v_cmp_gt_i32_e64 s2, s27, v102
	s_waitcnt vmcnt(0)
	v_cndmask_b32_e64 v9, 0, v5, s1
	v_cmp_gt_i32_e64 s1, s14, v101
	v_cndmask_b32_sdwa v5, v93, v5, vcc_lo dst_sel:DWORD dst_unused:UNUSED_PAD src0_sel:DWORD src1_sel:WORD_1
	v_cndmask_b32_e64 v10, 0, v6, s2
	v_cmp_gt_i32_e64 s2, s14, v99
	s_mov_b32 vcc_lo, s1
	v_cmp_gt_i32_e64 s1, s14, v72
	v_cndmask_b32_sdwa v6, v93, v6, vcc_lo dst_sel:DWORD dst_unused:UNUSED_PAD src0_sel:DWORD src1_sel:WORD_1
	v_cmp_gt_i32_e32 vcc_lo, s27, v73
	v_perm_b32 v5, v5, v9, 0x5040100
	v_perm_b32 v6, v6, v10, 0x5040100
	v_cndmask_b32_e32 v11, 0, v7, vcc_lo
	s_mov_b32 vcc_lo, s2
	v_cndmask_b32_sdwa v7, v93, v7, vcc_lo dst_sel:DWORD dst_unused:UNUSED_PAD src0_sel:DWORD src1_sel:WORD_1
	v_cmp_gt_i32_e32 vcc_lo, s27, v0
	v_perm_b32 v7, v7, v11, 0x5040100
	v_cndmask_b32_e32 v12, 0, v8, vcc_lo
	s_mov_b32 vcc_lo, s1
	v_cndmask_b32_sdwa v8, v93, v8, vcc_lo dst_sel:DWORD dst_unused:UNUSED_PAD src0_sel:DWORD src1_sel:WORD_1
	v_perm_b32 v8, v8, v12, 0x5040100
	s_or_b32 exec_lo, exec_lo, s17
	global_load_dwordx4 v[9:12], v[21:22], off offset:1024
	s_and_saveexec_b32 s17, s0
	s_cbranch_execz .LBB176_42
.LBB176_59:                             ;   in Loop: Header=BB176_38 Depth=1
	v_cmp_gt_i32_e64 s1, s27, v100
	v_cmp_gt_i32_e32 vcc_lo, s14, v103
	v_cmp_gt_i32_e64 s2, s27, v102
	s_waitcnt vmcnt(0)
	v_cndmask_b32_e64 v13, 0, v9, s1
	v_cmp_gt_i32_e64 s1, s14, v101
	v_cndmask_b32_sdwa v9, v93, v9, vcc_lo dst_sel:DWORD dst_unused:UNUSED_PAD src0_sel:DWORD src1_sel:WORD_1
	v_cndmask_b32_e64 v14, 0, v10, s2
	v_cmp_gt_i32_e64 s2, s14, v99
	s_mov_b32 vcc_lo, s1
	v_cmp_gt_i32_e64 s1, s14, v72
	v_cndmask_b32_sdwa v10, v93, v10, vcc_lo dst_sel:DWORD dst_unused:UNUSED_PAD src0_sel:DWORD src1_sel:WORD_1
	v_cmp_gt_i32_e32 vcc_lo, s27, v73
	v_perm_b32 v9, v9, v13, 0x5040100
	v_perm_b32 v10, v10, v14, 0x5040100
	v_cndmask_b32_e32 v15, 0, v11, vcc_lo
	s_mov_b32 vcc_lo, s2
	v_cndmask_b32_sdwa v11, v93, v11, vcc_lo dst_sel:DWORD dst_unused:UNUSED_PAD src0_sel:DWORD src1_sel:WORD_1
	v_cmp_gt_i32_e32 vcc_lo, s27, v0
	v_perm_b32 v11, v11, v15, 0x5040100
	v_cndmask_b32_e32 v16, 0, v12, vcc_lo
	s_mov_b32 vcc_lo, s1
	v_cndmask_b32_sdwa v12, v93, v12, vcc_lo dst_sel:DWORD dst_unused:UNUSED_PAD src0_sel:DWORD src1_sel:WORD_1
	v_perm_b32 v12, v12, v16, 0x5040100
	s_or_b32 exec_lo, exec_lo, s17
	global_load_dwordx4 v[13:16], v[21:22], off offset:1536
	s_and_saveexec_b32 s17, s0
	s_cbranch_execnz .LBB176_43
	s_branch .LBB176_44
.LBB176_60:                             ;   in Loop: Header=BB176_38 Depth=1
	v_cmp_gt_i32_e64 s1, s27, v100
	v_cmp_gt_i32_e32 vcc_lo, s14, v103
	v_cmp_gt_i32_e64 s2, s27, v102
	s_waitcnt vmcnt(0)
	v_cndmask_b32_e64 v25, 0, v17, s1
	v_cmp_gt_i32_e64 s1, s14, v101
	v_cndmask_b32_sdwa v17, v93, v17, vcc_lo dst_sel:DWORD dst_unused:UNUSED_PAD src0_sel:DWORD src1_sel:WORD_1
	v_cndmask_b32_e64 v26, 0, v18, s2
	v_cmp_gt_i32_e64 s2, s14, v99
	s_mov_b32 vcc_lo, s1
	v_cmp_gt_i32_e64 s1, s14, v72
	v_cndmask_b32_sdwa v18, v93, v18, vcc_lo dst_sel:DWORD dst_unused:UNUSED_PAD src0_sel:DWORD src1_sel:WORD_1
	v_cmp_gt_i32_e32 vcc_lo, s27, v73
	v_perm_b32 v17, v17, v25, 0x5040100
	v_perm_b32 v18, v18, v26, 0x5040100
	v_cndmask_b32_e32 v27, 0, v19, vcc_lo
	s_mov_b32 vcc_lo, s2
	v_cndmask_b32_sdwa v19, v93, v19, vcc_lo dst_sel:DWORD dst_unused:UNUSED_PAD src0_sel:DWORD src1_sel:WORD_1
	v_cmp_gt_i32_e32 vcc_lo, s27, v0
	v_perm_b32 v19, v19, v27, 0x5040100
	v_cndmask_b32_e32 v28, 0, v20, vcc_lo
	s_mov_b32 vcc_lo, s1
	v_cndmask_b32_sdwa v20, v93, v20, vcc_lo dst_sel:DWORD dst_unused:UNUSED_PAD src0_sel:DWORD src1_sel:WORD_1
	v_perm_b32 v20, v20, v28, 0x5040100
	s_or_b32 exec_lo, exec_lo, s17
	global_load_dwordx4 v[25:28], v[23:24], off offset:512
	s_and_saveexec_b32 s17, s0
	s_cbranch_execz .LBB176_46
.LBB176_61:                             ;   in Loop: Header=BB176_38 Depth=1
	v_cmp_gt_i32_e64 s1, s27, v100
	v_cmp_gt_i32_e32 vcc_lo, s14, v103
	v_cmp_gt_i32_e64 s2, s27, v102
	s_waitcnt vmcnt(0)
	v_cndmask_b32_e64 v29, 0, v25, s1
	v_cmp_gt_i32_e64 s1, s14, v101
	v_cndmask_b32_sdwa v25, v93, v25, vcc_lo dst_sel:DWORD dst_unused:UNUSED_PAD src0_sel:DWORD src1_sel:WORD_1
	v_cndmask_b32_e64 v30, 0, v26, s2
	v_cmp_gt_i32_e64 s2, s14, v99
	s_mov_b32 vcc_lo, s1
	v_cmp_gt_i32_e64 s1, s14, v72
	v_cndmask_b32_sdwa v26, v93, v26, vcc_lo dst_sel:DWORD dst_unused:UNUSED_PAD src0_sel:DWORD src1_sel:WORD_1
	v_cmp_gt_i32_e32 vcc_lo, s27, v73
	v_perm_b32 v25, v25, v29, 0x5040100
	v_perm_b32 v26, v26, v30, 0x5040100
	v_cndmask_b32_e32 v31, 0, v27, vcc_lo
	s_mov_b32 vcc_lo, s2
	v_cndmask_b32_sdwa v27, v93, v27, vcc_lo dst_sel:DWORD dst_unused:UNUSED_PAD src0_sel:DWORD src1_sel:WORD_1
	v_cmp_gt_i32_e32 vcc_lo, s27, v0
	v_perm_b32 v27, v27, v31, 0x5040100
	v_cndmask_b32_e32 v32, 0, v28, vcc_lo
	s_mov_b32 vcc_lo, s1
	v_cndmask_b32_sdwa v28, v93, v28, vcc_lo dst_sel:DWORD dst_unused:UNUSED_PAD src0_sel:DWORD src1_sel:WORD_1
	v_perm_b32 v28, v28, v32, 0x5040100
	s_or_b32 exec_lo, exec_lo, s17
	global_load_dwordx4 v[29:32], v[23:24], off offset:1024
	s_and_saveexec_b32 s17, s0
	s_cbranch_execz .LBB176_47
.LBB176_62:                             ;   in Loop: Header=BB176_38 Depth=1
	v_cmp_gt_i32_e64 s1, s27, v100
	v_cmp_gt_i32_e32 vcc_lo, s14, v103
	v_cmp_gt_i32_e64 s2, s27, v102
	s_waitcnt vmcnt(0)
	v_cndmask_b32_e64 v33, 0, v29, s1
	v_cmp_gt_i32_e64 s1, s14, v101
	v_cndmask_b32_sdwa v29, v93, v29, vcc_lo dst_sel:DWORD dst_unused:UNUSED_PAD src0_sel:DWORD src1_sel:WORD_1
	v_cndmask_b32_e64 v34, 0, v30, s2
	v_cmp_gt_i32_e64 s2, s14, v99
	s_mov_b32 vcc_lo, s1
	v_cmp_gt_i32_e64 s1, s14, v72
	v_cndmask_b32_sdwa v30, v93, v30, vcc_lo dst_sel:DWORD dst_unused:UNUSED_PAD src0_sel:DWORD src1_sel:WORD_1
	v_cmp_gt_i32_e32 vcc_lo, s27, v73
	v_perm_b32 v29, v29, v33, 0x5040100
	v_perm_b32 v30, v30, v34, 0x5040100
	v_cndmask_b32_e32 v35, 0, v31, vcc_lo
	s_mov_b32 vcc_lo, s2
	v_cndmask_b32_sdwa v31, v93, v31, vcc_lo dst_sel:DWORD dst_unused:UNUSED_PAD src0_sel:DWORD src1_sel:WORD_1
	v_cmp_gt_i32_e32 vcc_lo, s27, v0
	v_perm_b32 v31, v31, v35, 0x5040100
	v_cndmask_b32_e32 v36, 0, v32, vcc_lo
	s_mov_b32 vcc_lo, s1
	v_cndmask_b32_sdwa v32, v93, v32, vcc_lo dst_sel:DWORD dst_unused:UNUSED_PAD src0_sel:DWORD src1_sel:WORD_1
	v_perm_b32 v32, v32, v36, 0x5040100
	s_or_b32 exec_lo, exec_lo, s17
	global_load_dwordx4 v[33:36], v[23:24], off offset:1536
	s_and_saveexec_b32 s17, s0
	s_cbranch_execnz .LBB176_48
	s_branch .LBB176_49
.LBB176_63:                             ;   in Loop: Header=BB176_38 Depth=1
	v_cmp_gt_i32_e64 s1, s27, v100
	v_cmp_gt_i32_e32 vcc_lo, s14, v103
	v_cmp_gt_i32_e64 s2, s27, v102
	s_waitcnt vmcnt(0)
	v_cndmask_b32_e64 v45, 0, v37, s1
	v_cmp_gt_i32_e64 s1, s14, v101
	v_cndmask_b32_sdwa v37, v93, v37, vcc_lo dst_sel:DWORD dst_unused:UNUSED_PAD src0_sel:DWORD src1_sel:WORD_1
	v_cndmask_b32_e64 v46, 0, v38, s2
	v_cmp_gt_i32_e64 s2, s14, v99
	s_mov_b32 vcc_lo, s1
	v_cmp_gt_i32_e64 s1, s14, v72
	v_cndmask_b32_sdwa v38, v93, v38, vcc_lo dst_sel:DWORD dst_unused:UNUSED_PAD src0_sel:DWORD src1_sel:WORD_1
	v_cmp_gt_i32_e32 vcc_lo, s27, v73
	v_perm_b32 v37, v37, v45, 0x5040100
	v_perm_b32 v38, v38, v46, 0x5040100
	v_cndmask_b32_e32 v47, 0, v39, vcc_lo
	s_mov_b32 vcc_lo, s2
	v_cndmask_b32_sdwa v39, v93, v39, vcc_lo dst_sel:DWORD dst_unused:UNUSED_PAD src0_sel:DWORD src1_sel:WORD_1
	v_cmp_gt_i32_e32 vcc_lo, s27, v0
	v_perm_b32 v39, v39, v47, 0x5040100
	v_cndmask_b32_e32 v48, 0, v40, vcc_lo
	s_mov_b32 vcc_lo, s1
	v_cndmask_b32_sdwa v40, v93, v40, vcc_lo dst_sel:DWORD dst_unused:UNUSED_PAD src0_sel:DWORD src1_sel:WORD_1
	v_perm_b32 v40, v40, v48, 0x5040100
	s_or_b32 exec_lo, exec_lo, s17
	global_load_dwordx4 v[45:48], v[23:24], off offset:512
	s_and_saveexec_b32 s17, s0
	s_cbranch_execz .LBB176_51
.LBB176_64:                             ;   in Loop: Header=BB176_38 Depth=1
	v_cmp_gt_i32_e64 s1, s27, v100
	v_cmp_gt_i32_e32 vcc_lo, s14, v103
	v_cmp_gt_i32_e64 s2, s27, v102
	s_waitcnt vmcnt(0)
	v_cndmask_b32_e64 v53, 0, v45, s1
	v_cmp_gt_i32_e64 s1, s14, v101
	v_cndmask_b32_sdwa v45, v93, v45, vcc_lo dst_sel:DWORD dst_unused:UNUSED_PAD src0_sel:DWORD src1_sel:WORD_1
	v_cndmask_b32_e64 v54, 0, v46, s2
	v_cmp_gt_i32_e64 s2, s14, v99
	s_mov_b32 vcc_lo, s1
	v_cmp_gt_i32_e64 s1, s14, v72
	v_cndmask_b32_sdwa v46, v93, v46, vcc_lo dst_sel:DWORD dst_unused:UNUSED_PAD src0_sel:DWORD src1_sel:WORD_1
	v_cmp_gt_i32_e32 vcc_lo, s27, v73
	v_perm_b32 v45, v45, v53, 0x5040100
	v_perm_b32 v46, v46, v54, 0x5040100
	v_cndmask_b32_e32 v55, 0, v47, vcc_lo
	s_mov_b32 vcc_lo, s2
	v_cndmask_b32_sdwa v47, v93, v47, vcc_lo dst_sel:DWORD dst_unused:UNUSED_PAD src0_sel:DWORD src1_sel:WORD_1
	v_cmp_gt_i32_e32 vcc_lo, s27, v0
	v_perm_b32 v47, v47, v55, 0x5040100
	v_cndmask_b32_e32 v56, 0, v48, vcc_lo
	s_mov_b32 vcc_lo, s1
	v_cndmask_b32_sdwa v48, v93, v48, vcc_lo dst_sel:DWORD dst_unused:UNUSED_PAD src0_sel:DWORD src1_sel:WORD_1
	v_perm_b32 v48, v48, v56, 0x5040100
	s_or_b32 exec_lo, exec_lo, s17
	global_load_dwordx4 v[53:56], v[23:24], off offset:1024
	s_and_saveexec_b32 s17, s0
	s_cbranch_execz .LBB176_52
.LBB176_65:                             ;   in Loop: Header=BB176_38 Depth=1
	v_cmp_gt_i32_e64 s1, s27, v100
	v_cmp_gt_i32_e32 vcc_lo, s14, v103
	v_cmp_gt_i32_e64 s2, s27, v102
	s_waitcnt vmcnt(0)
	v_cndmask_b32_e64 v57, 0, v53, s1
	v_cmp_gt_i32_e64 s1, s14, v101
	v_cndmask_b32_sdwa v53, v93, v53, vcc_lo dst_sel:DWORD dst_unused:UNUSED_PAD src0_sel:DWORD src1_sel:WORD_1
	v_cndmask_b32_e64 v58, 0, v54, s2
	v_cmp_gt_i32_e64 s2, s14, v99
	s_mov_b32 vcc_lo, s1
	v_cmp_gt_i32_e64 s1, s14, v72
	v_cndmask_b32_sdwa v54, v93, v54, vcc_lo dst_sel:DWORD dst_unused:UNUSED_PAD src0_sel:DWORD src1_sel:WORD_1
	v_cmp_gt_i32_e32 vcc_lo, s27, v73
	v_perm_b32 v53, v53, v57, 0x5040100
	v_perm_b32 v54, v54, v58, 0x5040100
	v_cndmask_b32_e32 v59, 0, v55, vcc_lo
	s_mov_b32 vcc_lo, s2
	v_cndmask_b32_sdwa v55, v93, v55, vcc_lo dst_sel:DWORD dst_unused:UNUSED_PAD src0_sel:DWORD src1_sel:WORD_1
	v_cmp_gt_i32_e32 vcc_lo, s27, v0
	v_perm_b32 v55, v55, v59, 0x5040100
	v_cndmask_b32_e32 v60, 0, v56, vcc_lo
	s_mov_b32 vcc_lo, s1
	v_cndmask_b32_sdwa v56, v93, v56, vcc_lo dst_sel:DWORD dst_unused:UNUSED_PAD src0_sel:DWORD src1_sel:WORD_1
	v_perm_b32 v56, v56, v60, 0x5040100
	s_or_b32 exec_lo, exec_lo, s17
	global_load_dwordx4 v[57:60], v[23:24], off offset:1536
	s_and_saveexec_b32 s17, s0
	s_cbranch_execnz .LBB176_53
	s_branch .LBB176_54
.LBB176_66:                             ;   in Loop: Header=BB176_38 Depth=1
	v_cmp_gt_i32_e64 s1, s27, v100
	v_cmp_gt_i32_e32 vcc_lo, s14, v103
	v_cmp_gt_i32_e64 s2, s27, v102
	s_waitcnt vmcnt(0)
	v_cndmask_b32_e64 v23, 0, v61, s1
	v_cmp_gt_i32_e64 s1, s14, v101
	v_cndmask_b32_sdwa v61, v93, v61, vcc_lo dst_sel:DWORD dst_unused:UNUSED_PAD src0_sel:DWORD src1_sel:WORD_1
	v_cndmask_b32_e64 v24, 0, v62, s2
	v_cmp_gt_i32_e64 s2, s14, v99
	s_mov_b32 vcc_lo, s1
	v_cmp_gt_i32_e64 s1, s14, v72
	v_cndmask_b32_sdwa v62, v93, v62, vcc_lo dst_sel:DWORD dst_unused:UNUSED_PAD src0_sel:DWORD src1_sel:WORD_1
	v_cmp_gt_i32_e32 vcc_lo, s27, v73
	v_perm_b32 v61, v61, v23, 0x5040100
	v_perm_b32 v62, v62, v24, 0x5040100
	v_cndmask_b32_e32 v65, 0, v63, vcc_lo
	s_mov_b32 vcc_lo, s2
	v_cndmask_b32_sdwa v63, v93, v63, vcc_lo dst_sel:DWORD dst_unused:UNUSED_PAD src0_sel:DWORD src1_sel:WORD_1
	v_cmp_gt_i32_e32 vcc_lo, s27, v0
	v_perm_b32 v63, v63, v65, 0x5040100
	v_cndmask_b32_e32 v66, 0, v64, vcc_lo
	s_mov_b32 vcc_lo, s1
	v_cndmask_b32_sdwa v64, v93, v64, vcc_lo dst_sel:DWORD dst_unused:UNUSED_PAD src0_sel:DWORD src1_sel:WORD_1
	v_perm_b32 v64, v64, v66, 0x5040100
	s_or_b32 exec_lo, exec_lo, s17
	global_load_dwordx4 v[65:68], v[21:22], off offset:512
	s_and_saveexec_b32 s17, s0
	s_cbranch_execz .LBB176_56
.LBB176_67:                             ;   in Loop: Header=BB176_38 Depth=1
	v_cmp_gt_i32_e64 s1, s27, v100
	v_cmp_gt_i32_e32 vcc_lo, s14, v103
	v_cmp_gt_i32_e64 s2, s27, v102
	s_waitcnt vmcnt(0)
	v_cndmask_b32_e64 v23, 0, v65, s1
	v_cmp_gt_i32_e64 s1, s14, v101
	v_cndmask_b32_sdwa v65, v93, v65, vcc_lo dst_sel:DWORD dst_unused:UNUSED_PAD src0_sel:DWORD src1_sel:WORD_1
	v_cndmask_b32_e64 v24, 0, v66, s2
	v_cmp_gt_i32_e64 s2, s14, v99
	s_mov_b32 vcc_lo, s1
	v_cmp_gt_i32_e64 s1, s14, v72
	v_cndmask_b32_sdwa v66, v93, v66, vcc_lo dst_sel:DWORD dst_unused:UNUSED_PAD src0_sel:DWORD src1_sel:WORD_1
	v_cmp_gt_i32_e32 vcc_lo, s27, v73
	v_perm_b32 v65, v65, v23, 0x5040100
	v_perm_b32 v66, v66, v24, 0x5040100
	v_cndmask_b32_e32 v104, 0, v67, vcc_lo
	s_mov_b32 vcc_lo, s2
	v_cndmask_b32_sdwa v67, v93, v67, vcc_lo dst_sel:DWORD dst_unused:UNUSED_PAD src0_sel:DWORD src1_sel:WORD_1
	v_cmp_gt_i32_e32 vcc_lo, s27, v0
	v_perm_b32 v67, v67, v104, 0x5040100
	v_cndmask_b32_e32 v105, 0, v68, vcc_lo
	s_mov_b32 vcc_lo, s1
	v_cndmask_b32_sdwa v68, v93, v68, vcc_lo dst_sel:DWORD dst_unused:UNUSED_PAD src0_sel:DWORD src1_sel:WORD_1
	v_perm_b32 v68, v68, v105, 0x5040100
	s_or_b32 exec_lo, exec_lo, s17
	global_load_dwordx4 v[21:24], v[21:22], off offset:1024
	s_and_saveexec_b32 s2, s0
	s_cbranch_execz .LBB176_36
.LBB176_68:                             ;   in Loop: Header=BB176_38 Depth=1
	v_cmp_gt_i32_e64 s0, s27, v100
	v_cmp_gt_i32_e32 vcc_lo, s14, v103
	v_cmp_gt_i32_e64 s1, s27, v102
	s_waitcnt vmcnt(0)
	v_cndmask_b32_e64 v100, 0, v21, s0
	v_cmp_gt_i32_e64 s0, s14, v101
	v_cndmask_b32_sdwa v21, v93, v21, vcc_lo dst_sel:DWORD dst_unused:UNUSED_PAD src0_sel:DWORD src1_sel:WORD_1
	v_cndmask_b32_e64 v101, 0, v22, s1
	v_cmp_gt_i32_e64 s1, s14, v99
	s_mov_b32 vcc_lo, s0
	v_cmp_gt_i32_e64 s0, s14, v72
	v_cndmask_b32_sdwa v22, v93, v22, vcc_lo dst_sel:DWORD dst_unused:UNUSED_PAD src0_sel:DWORD src1_sel:WORD_1
	v_cmp_gt_i32_e32 vcc_lo, s27, v73
	v_perm_b32 v21, v21, v100, 0x5040100
	v_perm_b32 v22, v22, v101, 0x5040100
	v_cndmask_b32_e32 v73, 0, v23, vcc_lo
	s_mov_b32 vcc_lo, s1
	v_cndmask_b32_sdwa v23, v93, v23, vcc_lo dst_sel:DWORD dst_unused:UNUSED_PAD src0_sel:DWORD src1_sel:WORD_1
	v_cmp_gt_i32_e32 vcc_lo, s27, v0
	v_perm_b32 v23, v23, v73, 0x5040100
	v_cndmask_b32_e32 v0, 0, v24, vcc_lo
	s_mov_b32 vcc_lo, s0
	v_cndmask_b32_sdwa v24, v93, v24, vcc_lo dst_sel:DWORD dst_unused:UNUSED_PAD src0_sel:DWORD src1_sel:WORD_1
	v_perm_b32 v24, v24, v0, 0x5040100
	s_branch .LBB176_36
.LBB176_69:
	s_or_b32 exec_lo, exec_lo, s13
.LBB176_70:
	s_or_b32 exec_lo, exec_lo, s3
	ds_bpermute_b32 v0, v76, v92
	ds_bpermute_b32 v14, v76, v78
	;; [unrolled: 1-line block ×15, first 2 shown]
	s_mov_b32 s0, exec_lo
	s_waitcnt lgkmcnt(14)
	v_add_f32_e32 v0, v92, v0
	s_waitcnt lgkmcnt(13)
	v_add_f32_e32 v32, v78, v14
	;; [unrolled: 2-line block ×5, first 2 shown]
	ds_bpermute_b32 v15, v75, v0
	s_waitcnt lgkmcnt(10)
	v_add_f32_e32 v4, v88, v4
	s_waitcnt lgkmcnt(9)
	v_add_f32_e32 v5, v87, v5
	;; [unrolled: 2-line block ×3, first 2 shown]
	ds_bpermute_b32 v16, v75, v1
	s_waitcnt lgkmcnt(8)
	v_add_f32_e32 v7, v85, v7
	s_waitcnt lgkmcnt(7)
	v_add_f32_e32 v21, v84, v8
	;; [unrolled: 2-line block ×7, first 2 shown]
	ds_bpermute_b32 v17, v75, v2
	ds_bpermute_b32 v18, v75, v3
	;; [unrolled: 1-line block ×8, first 2 shown]
	s_waitcnt lgkmcnt(9)
	v_add_f32_e32 v14, v0, v15
	buffer_load_dword v15, off, s[48:51], 0 ; 4-byte Folded Reload
	ds_bpermute_b32 v29, v75, v24
	ds_bpermute_b32 v31, v75, v26
	;; [unrolled: 1-line block ×5, first 2 shown]
	s_waitcnt lgkmcnt(13)
	v_add_f32_e32 v13, v1, v16
	s_waitcnt vmcnt(0) lgkmcnt(0)
	s_waitcnt_vscnt null, 0x0
	s_barrier
	buffer_gl0_inv
	v_add_f32_e32 v12, v2, v17
	v_add_f32_e32 v11, v3, v18
	;; [unrolled: 1-line block ×8, first 2 shown]
	v_and_b32_e32 v18, 0x3c3, v106
	v_mul_u32_u24_e32 v17, 0x1e0, v107
	v_add_f32_e32 v4, v24, v29
	v_add_f32_e32 v3, v26, v31
	;; [unrolled: 1-line block ×5, first 2 shown]
	v_and_b32_e32 v16, 28, v15
	v_lshrrev_b32_e32 v15, 2, v15
	v_add_nc_u32_e32 v16, 0x110, v16
	v_cmpx_eq_u32_e32 64, v18
	s_cbranch_execz .LBB176_72
; %bb.71:
	v_add_nc_u32_e32 v18, v16, v17
	v_add_nc_u32_e32 v19, 0xfffffc40, v18
	;; [unrolled: 1-line block ×6, first 2 shown]
	ds_write_b32 v19, v14
	ds_write_b32 v20, v13
	;; [unrolled: 1-line block ×5, first 2 shown]
	v_add_nc_u32_e32 v19, 0xfffffce0, v18
	v_add_nc_u32_e32 v20, 0xfffffd00, v18
	;; [unrolled: 1-line block ×5, first 2 shown]
	ds_write_b32 v19, v9
	ds_write_b32 v20, v8
	;; [unrolled: 1-line block ×5, first 2 shown]
	v_add_nc_u32_e32 v19, 0xfffffd80, v18
	v_add_nc_u32_e32 v20, 0xfffffda0, v18
	;; [unrolled: 1-line block ×5, first 2 shown]
	ds_write_b32 v19, v4
	ds_write_b32 v20, v3
	;; [unrolled: 1-line block ×5, first 2 shown]
.LBB176_72:
	s_or_b32 exec_lo, exec_lo, s0
	v_lshlrev_b32_e32 v15, 2, v15
	s_mov_b32 s1, exec_lo
	v_cmp_eq_u32_e32 vcc_lo, 0, v77
	s_waitcnt lgkmcnt(0)
	s_barrier
	v_add3_u32 v15, 0x110, v17, v15
	buffer_gl0_inv
	v_cmpx_gt_u32_e32 64, v106
	s_cbranch_execz .LBB176_90
; %bb.73:
	s_and_saveexec_b32 s0, vcc_lo
	s_cbranch_execnz .LBB176_113
; %bb.74:
	s_or_b32 exec_lo, exec_lo, s0
	s_and_saveexec_b32 s0, vcc_lo
	s_cbranch_execnz .LBB176_114
.LBB176_75:
	s_or_b32 exec_lo, exec_lo, s0
	s_and_saveexec_b32 s0, vcc_lo
	s_cbranch_execnz .LBB176_115
.LBB176_76:
	s_or_b32 exec_lo, exec_lo, s0
	s_and_saveexec_b32 s0, vcc_lo
	s_cbranch_execnz .LBB176_116
.LBB176_77:
	s_or_b32 exec_lo, exec_lo, s0
	s_and_saveexec_b32 s0, vcc_lo
	s_cbranch_execnz .LBB176_117
.LBB176_78:
	s_or_b32 exec_lo, exec_lo, s0
	s_and_saveexec_b32 s0, vcc_lo
	s_cbranch_execnz .LBB176_118
.LBB176_79:
	s_or_b32 exec_lo, exec_lo, s0
	s_and_saveexec_b32 s0, vcc_lo
	s_cbranch_execnz .LBB176_119
.LBB176_80:
	s_or_b32 exec_lo, exec_lo, s0
	s_and_saveexec_b32 s0, vcc_lo
	s_cbranch_execnz .LBB176_120
.LBB176_81:
	s_or_b32 exec_lo, exec_lo, s0
	s_and_saveexec_b32 s0, vcc_lo
	s_cbranch_execnz .LBB176_121
.LBB176_82:
	s_or_b32 exec_lo, exec_lo, s0
	s_and_saveexec_b32 s0, vcc_lo
	s_cbranch_execnz .LBB176_122
.LBB176_83:
	s_or_b32 exec_lo, exec_lo, s0
	s_and_saveexec_b32 s0, vcc_lo
	s_cbranch_execnz .LBB176_123
.LBB176_84:
	s_or_b32 exec_lo, exec_lo, s0
	s_and_saveexec_b32 s0, vcc_lo
	s_cbranch_execnz .LBB176_124
.LBB176_85:
	s_or_b32 exec_lo, exec_lo, s0
	s_and_saveexec_b32 s0, vcc_lo
	s_cbranch_execnz .LBB176_125
.LBB176_86:
	s_or_b32 exec_lo, exec_lo, s0
	s_and_saveexec_b32 s0, vcc_lo
	s_cbranch_execnz .LBB176_126
.LBB176_87:
	s_or_b32 exec_lo, exec_lo, s0
	s_and_saveexec_b32 s0, vcc_lo
	s_cbranch_execz .LBB176_89
.LBB176_88:
	ds_read_b32 v17, v15 offset:448
	s_waitcnt lgkmcnt(0)
	v_add_f32_e32 v2, v2, v17
.LBB176_89:
	s_or_b32 exec_lo, exec_lo, s0
.LBB176_90:
	s_or_b32 exec_lo, exec_lo, s1
	v_and_b32_e32 v17, 0x3e3, v106
	s_mov_b32 s1, exec_lo
	s_barrier
	buffer_gl0_inv
	v_cmpx_eq_u32_e32 32, v17
	s_cbranch_execz .LBB176_92
; %bb.91:
	ds_write2_b32 v16, v14, v13 offset1:8
	ds_write2_b32 v16, v12, v11 offset0:16 offset1:24
	ds_write2_b32 v16, v10, v9 offset0:32 offset1:40
	;; [unrolled: 1-line block ×6, first 2 shown]
	ds_write_b32 v16, v2 offset:448
.LBB176_92:
	s_or_b32 exec_lo, exec_lo, s1
	s_mov_b32 s1, exec_lo
	s_waitcnt lgkmcnt(0)
	s_barrier
	buffer_gl0_inv
	v_cmpx_gt_u32_e32 32, v106
	s_cbranch_execz .LBB176_110
; %bb.93:
	s_and_saveexec_b32 s0, vcc_lo
	s_cbranch_execnz .LBB176_127
; %bb.94:
	s_or_b32 exec_lo, exec_lo, s0
	s_and_saveexec_b32 s0, vcc_lo
	s_cbranch_execnz .LBB176_128
.LBB176_95:
	s_or_b32 exec_lo, exec_lo, s0
	s_and_saveexec_b32 s0, vcc_lo
	s_cbranch_execnz .LBB176_129
.LBB176_96:
	s_or_b32 exec_lo, exec_lo, s0
	s_and_saveexec_b32 s0, vcc_lo
	s_cbranch_execnz .LBB176_130
.LBB176_97:
	s_or_b32 exec_lo, exec_lo, s0
	s_and_saveexec_b32 s0, vcc_lo
	s_cbranch_execnz .LBB176_131
.LBB176_98:
	s_or_b32 exec_lo, exec_lo, s0
	s_and_saveexec_b32 s0, vcc_lo
	s_cbranch_execnz .LBB176_132
.LBB176_99:
	s_or_b32 exec_lo, exec_lo, s0
	s_and_saveexec_b32 s0, vcc_lo
	s_cbranch_execnz .LBB176_133
.LBB176_100:
	s_or_b32 exec_lo, exec_lo, s0
	s_and_saveexec_b32 s0, vcc_lo
	s_cbranch_execnz .LBB176_134
.LBB176_101:
	s_or_b32 exec_lo, exec_lo, s0
	s_and_saveexec_b32 s0, vcc_lo
	s_cbranch_execnz .LBB176_135
.LBB176_102:
	s_or_b32 exec_lo, exec_lo, s0
	s_and_saveexec_b32 s0, vcc_lo
	s_cbranch_execnz .LBB176_136
.LBB176_103:
	s_or_b32 exec_lo, exec_lo, s0
	s_and_saveexec_b32 s0, vcc_lo
	s_cbranch_execnz .LBB176_137
.LBB176_104:
	s_or_b32 exec_lo, exec_lo, s0
	s_and_saveexec_b32 s0, vcc_lo
	s_cbranch_execnz .LBB176_138
.LBB176_105:
	s_or_b32 exec_lo, exec_lo, s0
	s_and_saveexec_b32 s0, vcc_lo
	s_cbranch_execnz .LBB176_139
.LBB176_106:
	s_or_b32 exec_lo, exec_lo, s0
	s_and_saveexec_b32 s0, vcc_lo
	s_cbranch_execnz .LBB176_140
.LBB176_107:
	s_or_b32 exec_lo, exec_lo, s0
	s_and_saveexec_b32 s0, vcc_lo
	s_cbranch_execz .LBB176_109
.LBB176_108:
	ds_read_b32 v15, v15 offset:448
	s_waitcnt lgkmcnt(0)
	v_add_f32_e32 v2, v2, v15
.LBB176_109:
	s_or_b32 exec_lo, exec_lo, s0
.LBB176_110:
	s_or_b32 exec_lo, exec_lo, s1
	s_barrier
	buffer_gl0_inv
	s_mov_b32 s0, exec_lo
	v_cmpx_eq_u32_e32 0, v17
	s_cbranch_execz .LBB176_112
; %bb.111:
	s_mul_i32 s0, s4, 0x78
	v_bfe_u32 v15, v14, 16, 1
	s_ashr_i32 s1, s0, 31
	s_mul_i32 s2, s7, s10
	s_lshl_b64 s[0:1], s[0:1], 1
	v_bfe_u32 v16, v13, 16, 1
	s_add_u32 s4, s24, s0
	s_addc_u32 s1, s25, s1
	s_ashr_i32 s3, s2, 31
	v_add3_u32 v15, v15, v14, 0x7fff
	s_lshl_b64 s[2:3], s[2:3], 1
	v_or_b32_e32 v17, 0x400000, v14
	v_cmp_u_f32_e32 vcc_lo, v14, v14
	s_mul_i32 s0, s8, 0x78
	s_add_u32 s2, s4, s2
	s_addc_u32 s3, s1, s3
	s_ashr_i32 s1, s0, 31
	v_lshrrev_b32_e32 v18, 1, v106
	s_lshl_b64 s[0:1], s[0:1], 1
	v_add3_u32 v16, v16, v13, 0x7fff
	v_or_b32_e32 v19, 0x400000, v13
	v_cndmask_b32_e32 v14, v15, v17, vcc_lo
	v_bfe_u32 v15, v12, 16, 1
	v_cmp_u_f32_e32 vcc_lo, v13, v13
	s_add_u32 s0, s2, s0
	s_addc_u32 s1, s3, s1
	global_store_short_d16_hi v18, v14, s[0:1]
	v_cndmask_b32_e32 v13, v16, v19, vcc_lo
	v_bfe_u32 v16, v11, 16, 1
	v_add3_u32 v14, v15, v12, 0x7fff
	v_or_b32_e32 v15, 0x400000, v12
	v_cmp_u_f32_e32 vcc_lo, v12, v12
	global_store_short_d16_hi v18, v13, s[0:1] offset:16
	v_add3_u32 v13, v16, v11, 0x7fff
	v_or_b32_e32 v16, 0x400000, v11
	v_cndmask_b32_e32 v12, v14, v15, vcc_lo
	v_bfe_u32 v14, v10, 16, 1
	v_cmp_u_f32_e32 vcc_lo, v11, v11
	global_store_short_d16_hi v18, v12, s[0:1] offset:32
	v_add3_u32 v12, v14, v10, 0x7fff
	v_cndmask_b32_e32 v11, v13, v16, vcc_lo
	v_bfe_u32 v13, v9, 16, 1
	v_or_b32_e32 v14, 0x400000, v10
	v_cmp_u_f32_e32 vcc_lo, v10, v10
	global_store_short_d16_hi v18, v11, s[0:1] offset:48
	v_add3_u32 v11, v13, v9, 0x7fff
	v_or_b32_e32 v13, 0x400000, v9
	v_cndmask_b32_e32 v10, v12, v14, vcc_lo
	v_bfe_u32 v12, v8, 16, 1
	v_cmp_u_f32_e32 vcc_lo, v9, v9
	global_store_short_d16_hi v18, v10, s[0:1] offset:64
	v_add3_u32 v10, v12, v8, 0x7fff
	v_cndmask_b32_e32 v9, v11, v13, vcc_lo
	v_bfe_u32 v11, v7, 16, 1
	;; [unrolled: 12-line block ×3, first 2 shown]
	v_or_b32_e32 v10, 0x400000, v6
	v_cmp_u_f32_e32 vcc_lo, v6, v6
	global_store_short_d16_hi v18, v7, s[0:1] offset:112
	v_add3_u32 v7, v9, v5, 0x7fff
	v_or_b32_e32 v9, 0x400000, v5
	v_cndmask_b32_e32 v6, v8, v10, vcc_lo
	v_bfe_u32 v8, v4, 16, 1
	v_cmp_u_f32_e32 vcc_lo, v5, v5
	v_or_b32_e32 v10, 0x400000, v2
	global_store_short_d16_hi v18, v6, s[0:1] offset:128
	v_add3_u32 v6, v8, v4, 0x7fff
	v_cndmask_b32_e32 v5, v7, v9, vcc_lo
	v_bfe_u32 v7, v3, 16, 1
	v_or_b32_e32 v8, 0x400000, v4
	v_cmp_u_f32_e32 vcc_lo, v4, v4
	v_or_b32_e32 v9, 0x400000, v1
	global_store_short_d16_hi v18, v5, s[0:1] offset:144
	v_add3_u32 v5, v7, v3, 0x7fff
	v_or_b32_e32 v7, 0x400000, v3
	v_cndmask_b32_e32 v4, v6, v8, vcc_lo
	v_bfe_u32 v6, v0, 16, 1
	v_cmp_u_f32_e32 vcc_lo, v3, v3
	v_bfe_u32 v8, v1, 16, 1
	v_add3_u32 v6, v6, v0, 0x7fff
	v_cndmask_b32_e32 v3, v5, v7, vcc_lo
	v_or_b32_e32 v7, 0x400000, v0
	v_cmp_u_f32_e32 vcc_lo, v0, v0
	v_bfe_u32 v5, v2, 16, 1
	v_add3_u32 v8, v8, v1, 0x7fff
	v_cndmask_b32_e32 v0, v6, v7, vcc_lo
	v_cmp_u_f32_e32 vcc_lo, v1, v1
	v_add3_u32 v5, v5, v2, 0x7fff
	v_cndmask_b32_e32 v1, v8, v9, vcc_lo
	v_cmp_u_f32_e32 vcc_lo, v2, v2
	v_cndmask_b32_e32 v2, v5, v10, vcc_lo
	global_store_short_d16_hi v18, v4, s[0:1] offset:160
	global_store_short_d16_hi v18, v3, s[0:1] offset:176
	;; [unrolled: 1-line block ×5, first 2 shown]
.LBB176_112:
	s_endpgm
.LBB176_113:
	ds_read_b32 v17, v15
	s_waitcnt lgkmcnt(0)
	v_add_f32_e32 v14, v14, v17
	s_or_b32 exec_lo, exec_lo, s0
	s_and_saveexec_b32 s0, vcc_lo
	s_cbranch_execz .LBB176_75
.LBB176_114:
	ds_read_b32 v17, v15 offset:32
	s_waitcnt lgkmcnt(0)
	v_add_f32_e32 v13, v13, v17
	s_or_b32 exec_lo, exec_lo, s0
	s_and_saveexec_b32 s0, vcc_lo
	s_cbranch_execz .LBB176_76
.LBB176_115:
	ds_read_b32 v17, v15 offset:64
	s_waitcnt lgkmcnt(0)
	v_add_f32_e32 v12, v12, v17
	s_or_b32 exec_lo, exec_lo, s0
	s_and_saveexec_b32 s0, vcc_lo
	s_cbranch_execz .LBB176_77
.LBB176_116:
	ds_read_b32 v17, v15 offset:96
	s_waitcnt lgkmcnt(0)
	v_add_f32_e32 v11, v11, v17
	s_or_b32 exec_lo, exec_lo, s0
	s_and_saveexec_b32 s0, vcc_lo
	s_cbranch_execz .LBB176_78
.LBB176_117:
	ds_read_b32 v17, v15 offset:128
	s_waitcnt lgkmcnt(0)
	v_add_f32_e32 v10, v10, v17
	s_or_b32 exec_lo, exec_lo, s0
	s_and_saveexec_b32 s0, vcc_lo
	s_cbranch_execz .LBB176_79
.LBB176_118:
	ds_read_b32 v17, v15 offset:160
	s_waitcnt lgkmcnt(0)
	v_add_f32_e32 v9, v9, v17
	s_or_b32 exec_lo, exec_lo, s0
	s_and_saveexec_b32 s0, vcc_lo
	s_cbranch_execz .LBB176_80
.LBB176_119:
	ds_read_b32 v17, v15 offset:192
	s_waitcnt lgkmcnt(0)
	v_add_f32_e32 v8, v8, v17
	s_or_b32 exec_lo, exec_lo, s0
	s_and_saveexec_b32 s0, vcc_lo
	s_cbranch_execz .LBB176_81
.LBB176_120:
	ds_read_b32 v17, v15 offset:224
	s_waitcnt lgkmcnt(0)
	v_add_f32_e32 v7, v7, v17
	s_or_b32 exec_lo, exec_lo, s0
	s_and_saveexec_b32 s0, vcc_lo
	s_cbranch_execz .LBB176_82
.LBB176_121:
	ds_read_b32 v17, v15 offset:256
	s_waitcnt lgkmcnt(0)
	v_add_f32_e32 v6, v6, v17
	s_or_b32 exec_lo, exec_lo, s0
	s_and_saveexec_b32 s0, vcc_lo
	s_cbranch_execz .LBB176_83
.LBB176_122:
	ds_read_b32 v17, v15 offset:288
	s_waitcnt lgkmcnt(0)
	v_add_f32_e32 v5, v5, v17
	s_or_b32 exec_lo, exec_lo, s0
	s_and_saveexec_b32 s0, vcc_lo
	s_cbranch_execz .LBB176_84
.LBB176_123:
	ds_read_b32 v17, v15 offset:320
	s_waitcnt lgkmcnt(0)
	v_add_f32_e32 v4, v4, v17
	s_or_b32 exec_lo, exec_lo, s0
	s_and_saveexec_b32 s0, vcc_lo
	s_cbranch_execz .LBB176_85
.LBB176_124:
	ds_read_b32 v17, v15 offset:352
	s_waitcnt lgkmcnt(0)
	v_add_f32_e32 v3, v3, v17
	s_or_b32 exec_lo, exec_lo, s0
	s_and_saveexec_b32 s0, vcc_lo
	s_cbranch_execz .LBB176_86
.LBB176_125:
	ds_read_b32 v17, v15 offset:384
	s_waitcnt lgkmcnt(0)
	v_add_f32_e32 v0, v0, v17
	s_or_b32 exec_lo, exec_lo, s0
	s_and_saveexec_b32 s0, vcc_lo
	s_cbranch_execz .LBB176_87
.LBB176_126:
	ds_read_b32 v17, v15 offset:416
	s_waitcnt lgkmcnt(0)
	v_add_f32_e32 v1, v1, v17
	s_or_b32 exec_lo, exec_lo, s0
	s_and_saveexec_b32 s0, vcc_lo
	s_cbranch_execnz .LBB176_88
	s_branch .LBB176_89
.LBB176_127:
	ds_read_b32 v16, v15
	s_waitcnt lgkmcnt(0)
	v_add_f32_e32 v14, v14, v16
	s_or_b32 exec_lo, exec_lo, s0
	s_and_saveexec_b32 s0, vcc_lo
	s_cbranch_execz .LBB176_95
.LBB176_128:
	ds_read_b32 v16, v15 offset:32
	s_waitcnt lgkmcnt(0)
	v_add_f32_e32 v13, v13, v16
	s_or_b32 exec_lo, exec_lo, s0
	s_and_saveexec_b32 s0, vcc_lo
	s_cbranch_execz .LBB176_96
.LBB176_129:
	ds_read_b32 v16, v15 offset:64
	s_waitcnt lgkmcnt(0)
	v_add_f32_e32 v12, v12, v16
	s_or_b32 exec_lo, exec_lo, s0
	s_and_saveexec_b32 s0, vcc_lo
	s_cbranch_execz .LBB176_97
.LBB176_130:
	ds_read_b32 v16, v15 offset:96
	s_waitcnt lgkmcnt(0)
	v_add_f32_e32 v11, v11, v16
	s_or_b32 exec_lo, exec_lo, s0
	s_and_saveexec_b32 s0, vcc_lo
	s_cbranch_execz .LBB176_98
.LBB176_131:
	ds_read_b32 v16, v15 offset:128
	s_waitcnt lgkmcnt(0)
	v_add_f32_e32 v10, v10, v16
	s_or_b32 exec_lo, exec_lo, s0
	s_and_saveexec_b32 s0, vcc_lo
	s_cbranch_execz .LBB176_99
.LBB176_132:
	ds_read_b32 v16, v15 offset:160
	s_waitcnt lgkmcnt(0)
	v_add_f32_e32 v9, v9, v16
	s_or_b32 exec_lo, exec_lo, s0
	s_and_saveexec_b32 s0, vcc_lo
	s_cbranch_execz .LBB176_100
.LBB176_133:
	ds_read_b32 v16, v15 offset:192
	s_waitcnt lgkmcnt(0)
	v_add_f32_e32 v8, v8, v16
	s_or_b32 exec_lo, exec_lo, s0
	s_and_saveexec_b32 s0, vcc_lo
	s_cbranch_execz .LBB176_101
.LBB176_134:
	ds_read_b32 v16, v15 offset:224
	s_waitcnt lgkmcnt(0)
	v_add_f32_e32 v7, v7, v16
	s_or_b32 exec_lo, exec_lo, s0
	s_and_saveexec_b32 s0, vcc_lo
	s_cbranch_execz .LBB176_102
.LBB176_135:
	ds_read_b32 v16, v15 offset:256
	s_waitcnt lgkmcnt(0)
	v_add_f32_e32 v6, v6, v16
	s_or_b32 exec_lo, exec_lo, s0
	s_and_saveexec_b32 s0, vcc_lo
	s_cbranch_execz .LBB176_103
.LBB176_136:
	ds_read_b32 v16, v15 offset:288
	s_waitcnt lgkmcnt(0)
	v_add_f32_e32 v5, v5, v16
	s_or_b32 exec_lo, exec_lo, s0
	s_and_saveexec_b32 s0, vcc_lo
	s_cbranch_execz .LBB176_104
.LBB176_137:
	ds_read_b32 v16, v15 offset:320
	s_waitcnt lgkmcnt(0)
	v_add_f32_e32 v4, v4, v16
	s_or_b32 exec_lo, exec_lo, s0
	s_and_saveexec_b32 s0, vcc_lo
	s_cbranch_execz .LBB176_105
.LBB176_138:
	ds_read_b32 v16, v15 offset:352
	s_waitcnt lgkmcnt(0)
	v_add_f32_e32 v3, v3, v16
	s_or_b32 exec_lo, exec_lo, s0
	s_and_saveexec_b32 s0, vcc_lo
	s_cbranch_execz .LBB176_106
.LBB176_139:
	ds_read_b32 v16, v15 offset:384
	s_waitcnt lgkmcnt(0)
	v_add_f32_e32 v0, v0, v16
	s_or_b32 exec_lo, exec_lo, s0
	s_and_saveexec_b32 s0, vcc_lo
	s_cbranch_execz .LBB176_107
.LBB176_140:
	ds_read_b32 v16, v15 offset:416
	s_waitcnt lgkmcnt(0)
	v_add_f32_e32 v1, v1, v16
	s_or_b32 exec_lo, exec_lo, s0
	s_and_saveexec_b32 s0, vcc_lo
	s_cbranch_execnz .LBB176_108
	s_branch .LBB176_109
	.section	.rodata,"a",@progbits
	.p2align	6, 0x0
	.amdhsa_kernel _ZN4vllm25paged_attention_v2_kernelI14__hip_bfloat16S1_Li120ELi32ELi128ELNS_18Fp8KVCacheDataTypeE0ELb1ELi512EEEvPfS3_PT_PKS4_PKT0_SA_ifPKiSC_iPKfiiiSE_SE_iiiii
		.amdhsa_group_segment_fixed_size 272
		.amdhsa_private_segment_fixed_size 308
		.amdhsa_kernarg_size 400
		.amdhsa_user_sgpr_count 6
		.amdhsa_user_sgpr_private_segment_buffer 1
		.amdhsa_user_sgpr_dispatch_ptr 0
		.amdhsa_user_sgpr_queue_ptr 0
		.amdhsa_user_sgpr_kernarg_segment_ptr 1
		.amdhsa_user_sgpr_dispatch_id 0
		.amdhsa_user_sgpr_flat_scratch_init 0
		.amdhsa_user_sgpr_private_segment_size 0
		.amdhsa_wavefront_size32 1
		.amdhsa_uses_dynamic_stack 0
		.amdhsa_system_sgpr_private_segment_wavefront_offset 1
		.amdhsa_system_sgpr_workgroup_id_x 1
		.amdhsa_system_sgpr_workgroup_id_y 1
		.amdhsa_system_sgpr_workgroup_id_z 1
		.amdhsa_system_sgpr_workgroup_info 0
		.amdhsa_system_vgpr_workitem_id 0
		.amdhsa_next_free_vgpr 128
		.amdhsa_next_free_sgpr 52
		.amdhsa_reserve_vcc 1
		.amdhsa_reserve_flat_scratch 0
		.amdhsa_float_round_mode_32 0
		.amdhsa_float_round_mode_16_64 0
		.amdhsa_float_denorm_mode_32 3
		.amdhsa_float_denorm_mode_16_64 3
		.amdhsa_dx10_clamp 1
		.amdhsa_ieee_mode 1
		.amdhsa_fp16_overflow 0
		.amdhsa_workgroup_processor_mode 1
		.amdhsa_memory_ordered 1
		.amdhsa_forward_progress 1
		.amdhsa_shared_vgpr_count 0
		.amdhsa_exception_fp_ieee_invalid_op 0
		.amdhsa_exception_fp_denorm_src 0
		.amdhsa_exception_fp_ieee_div_zero 0
		.amdhsa_exception_fp_ieee_overflow 0
		.amdhsa_exception_fp_ieee_underflow 0
		.amdhsa_exception_fp_ieee_inexact 0
		.amdhsa_exception_int_div_zero 0
	.end_amdhsa_kernel
	.section	.text._ZN4vllm25paged_attention_v2_kernelI14__hip_bfloat16S1_Li120ELi32ELi128ELNS_18Fp8KVCacheDataTypeE0ELb1ELi512EEEvPfS3_PT_PKS4_PKT0_SA_ifPKiSC_iPKfiiiSE_SE_iiiii,"axG",@progbits,_ZN4vllm25paged_attention_v2_kernelI14__hip_bfloat16S1_Li120ELi32ELi128ELNS_18Fp8KVCacheDataTypeE0ELb1ELi512EEEvPfS3_PT_PKS4_PKT0_SA_ifPKiSC_iPKfiiiSE_SE_iiiii,comdat
.Lfunc_end176:
	.size	_ZN4vllm25paged_attention_v2_kernelI14__hip_bfloat16S1_Li120ELi32ELi128ELNS_18Fp8KVCacheDataTypeE0ELb1ELi512EEEvPfS3_PT_PKS4_PKT0_SA_ifPKiSC_iPKfiiiSE_SE_iiiii, .Lfunc_end176-_ZN4vllm25paged_attention_v2_kernelI14__hip_bfloat16S1_Li120ELi32ELi128ELNS_18Fp8KVCacheDataTypeE0ELb1ELi512EEEvPfS3_PT_PKS4_PKT0_SA_ifPKiSC_iPKfiiiSE_SE_iiiii
                                        ; -- End function
	.set _ZN4vllm25paged_attention_v2_kernelI14__hip_bfloat16S1_Li120ELi32ELi128ELNS_18Fp8KVCacheDataTypeE0ELb1ELi512EEEvPfS3_PT_PKS4_PKT0_SA_ifPKiSC_iPKfiiiSE_SE_iiiii.num_vgpr, 128
	.set _ZN4vllm25paged_attention_v2_kernelI14__hip_bfloat16S1_Li120ELi32ELi128ELNS_18Fp8KVCacheDataTypeE0ELb1ELi512EEEvPfS3_PT_PKS4_PKT0_SA_ifPKiSC_iPKfiiiSE_SE_iiiii.num_agpr, 0
	.set _ZN4vllm25paged_attention_v2_kernelI14__hip_bfloat16S1_Li120ELi32ELi128ELNS_18Fp8KVCacheDataTypeE0ELb1ELi512EEEvPfS3_PT_PKS4_PKT0_SA_ifPKiSC_iPKfiiiSE_SE_iiiii.numbered_sgpr, 52
	.set _ZN4vllm25paged_attention_v2_kernelI14__hip_bfloat16S1_Li120ELi32ELi128ELNS_18Fp8KVCacheDataTypeE0ELb1ELi512EEEvPfS3_PT_PKS4_PKT0_SA_ifPKiSC_iPKfiiiSE_SE_iiiii.num_named_barrier, 0
	.set _ZN4vllm25paged_attention_v2_kernelI14__hip_bfloat16S1_Li120ELi32ELi128ELNS_18Fp8KVCacheDataTypeE0ELb1ELi512EEEvPfS3_PT_PKS4_PKT0_SA_ifPKiSC_iPKfiiiSE_SE_iiiii.private_seg_size, 308
	.set _ZN4vllm25paged_attention_v2_kernelI14__hip_bfloat16S1_Li120ELi32ELi128ELNS_18Fp8KVCacheDataTypeE0ELb1ELi512EEEvPfS3_PT_PKS4_PKT0_SA_ifPKiSC_iPKfiiiSE_SE_iiiii.uses_vcc, 1
	.set _ZN4vllm25paged_attention_v2_kernelI14__hip_bfloat16S1_Li120ELi32ELi128ELNS_18Fp8KVCacheDataTypeE0ELb1ELi512EEEvPfS3_PT_PKS4_PKT0_SA_ifPKiSC_iPKfiiiSE_SE_iiiii.uses_flat_scratch, 0
	.set _ZN4vllm25paged_attention_v2_kernelI14__hip_bfloat16S1_Li120ELi32ELi128ELNS_18Fp8KVCacheDataTypeE0ELb1ELi512EEEvPfS3_PT_PKS4_PKT0_SA_ifPKiSC_iPKfiiiSE_SE_iiiii.has_dyn_sized_stack, 0
	.set _ZN4vllm25paged_attention_v2_kernelI14__hip_bfloat16S1_Li120ELi32ELi128ELNS_18Fp8KVCacheDataTypeE0ELb1ELi512EEEvPfS3_PT_PKS4_PKT0_SA_ifPKiSC_iPKfiiiSE_SE_iiiii.has_recursion, 0
	.set _ZN4vllm25paged_attention_v2_kernelI14__hip_bfloat16S1_Li120ELi32ELi128ELNS_18Fp8KVCacheDataTypeE0ELb1ELi512EEEvPfS3_PT_PKS4_PKT0_SA_ifPKiSC_iPKfiiiSE_SE_iiiii.has_indirect_call, 0
	.section	.AMDGPU.csdata,"",@progbits
; Kernel info:
; codeLenInByte = 20408
; TotalNumSgprs: 54
; NumVgprs: 128
; ScratchSize: 308
; MemoryBound: 0
; FloatMode: 240
; IeeeMode: 1
; LDSByteSize: 272 bytes/workgroup (compile time only)
; SGPRBlocks: 0
; VGPRBlocks: 15
; NumSGPRsForWavesPerEU: 54
; NumVGPRsForWavesPerEU: 128
; Occupancy: 8
; WaveLimiterHint : 1
; COMPUTE_PGM_RSRC2:SCRATCH_EN: 1
; COMPUTE_PGM_RSRC2:USER_SGPR: 6
; COMPUTE_PGM_RSRC2:TRAP_HANDLER: 0
; COMPUTE_PGM_RSRC2:TGID_X_EN: 1
; COMPUTE_PGM_RSRC2:TGID_Y_EN: 1
; COMPUTE_PGM_RSRC2:TGID_Z_EN: 1
; COMPUTE_PGM_RSRC2:TIDIG_COMP_CNT: 0
	.section	.text._ZN4vllm25paged_attention_v2_kernelI14__hip_bfloat16S1_Li128ELi32ELi128ELNS_18Fp8KVCacheDataTypeE0ELb1ELi512EEEvPfS3_PT_PKS4_PKT0_SA_ifPKiSC_iPKfiiiSE_SE_iiiii,"axG",@progbits,_ZN4vllm25paged_attention_v2_kernelI14__hip_bfloat16S1_Li128ELi32ELi128ELNS_18Fp8KVCacheDataTypeE0ELb1ELi512EEEvPfS3_PT_PKS4_PKT0_SA_ifPKiSC_iPKfiiiSE_SE_iiiii,comdat
	.protected	_ZN4vllm25paged_attention_v2_kernelI14__hip_bfloat16S1_Li128ELi32ELi128ELNS_18Fp8KVCacheDataTypeE0ELb1ELi512EEEvPfS3_PT_PKS4_PKT0_SA_ifPKiSC_iPKfiiiSE_SE_iiiii ; -- Begin function _ZN4vllm25paged_attention_v2_kernelI14__hip_bfloat16S1_Li128ELi32ELi128ELNS_18Fp8KVCacheDataTypeE0ELb1ELi512EEEvPfS3_PT_PKS4_PKT0_SA_ifPKiSC_iPKfiiiSE_SE_iiiii
	.globl	_ZN4vllm25paged_attention_v2_kernelI14__hip_bfloat16S1_Li128ELi32ELi128ELNS_18Fp8KVCacheDataTypeE0ELb1ELi512EEEvPfS3_PT_PKS4_PKT0_SA_ifPKiSC_iPKfiiiSE_SE_iiiii
	.p2align	8
	.type	_ZN4vllm25paged_attention_v2_kernelI14__hip_bfloat16S1_Li128ELi32ELi128ELNS_18Fp8KVCacheDataTypeE0ELb1ELi512EEEvPfS3_PT_PKS4_PKT0_SA_ifPKiSC_iPKfiiiSE_SE_iiiii,@function
_ZN4vllm25paged_attention_v2_kernelI14__hip_bfloat16S1_Li128ELi32ELi128ELNS_18Fp8KVCacheDataTypeE0ELb1ELi512EEEvPfS3_PT_PKS4_PKT0_SA_ifPKiSC_iPKfiiiSE_SE_iiiii: ; @_ZN4vllm25paged_attention_v2_kernelI14__hip_bfloat16S1_Li128ELi32ELi128ELNS_18Fp8KVCacheDataTypeE0ELb1ELi512EEEvPfS3_PT_PKS4_PKT0_SA_ifPKiSC_iPKfiiiSE_SE_iiiii
; %bb.0:
	s_mov_b64 s[50:51], s[2:3]
	s_mov_b64 s[48:49], s[0:1]
	s_load_dwordx2 s[0:1], s[4:5], 0x40
	s_add_u32 s48, s48, s9
	s_addc_u32 s49, s49, 0
	s_mov_b32 s26, s7
	s_ashr_i32 s27, s7, 31
	s_lshl_b64 s[2:3], s[26:27], 2
	s_waitcnt lgkmcnt(0)
	s_add_u32 s0, s0, s2
	s_addc_u32 s1, s1, s3
	s_lshl_b32 s37, s8, 9
	s_load_dword s27, s[0:1], 0x0
	s_waitcnt lgkmcnt(0)
	s_cmp_ge_i32 s37, s27
	s_cbranch_scc1 .LBB177_116
; %bb.1:
	s_clause 0x1
	s_load_dword s9, s[4:5], 0x90
	s_load_dwordx2 s[2:3], s[4:5], 0x30
	v_mov_b32_e32 v39, v0
	s_mov_b32 s39, 0
	s_waitcnt lgkmcnt(0)
	s_abs_i32 s10, s9
	s_abs_i32 s0, s2
	v_cvt_f32_u32_e32 v0, s0
	s_sub_i32 s7, 0, s0
	v_rcp_iflag_f32_e32 v0, v0
	v_mul_f32_e32 v0, 0x4f7ffffe, v0
	v_cvt_u32_f32_e32 v0, v0
	v_readfirstlane_b32 s1, v0
	s_mul_i32 s7, s7, s1
	s_mul_hi_u32 s7, s1, s7
	s_add_i32 s1, s1, s7
	s_xor_b32 s7, s9, s2
	s_mul_hi_u32 s1, s10, s1
	s_ashr_i32 s7, s7, 31
	s_mul_i32 s11, s1, s0
	s_sub_i32 s10, s10, s11
	s_add_i32 s11, s1, 1
	s_sub_i32 s12, s10, s0
	s_cmp_ge_u32 s10, s0
	s_cselect_b32 s1, s11, s1
	s_cselect_b32 s10, s12, s10
	s_add_i32 s11, s1, 1
	s_cmp_ge_u32 s10, s0
	s_cselect_b32 s0, s11, s1
	s_abs_i32 s21, s6
	s_xor_b32 s0, s0, s7
	s_sub_i32 s10, s0, s7
	s_load_dwordx2 s[0:1], s[4:5], 0x50
	s_abs_i32 s20, s10
	v_cvt_f32_u32_e32 v0, s20
	s_sub_i32 s11, 0, s20
	v_rcp_iflag_f32_e32 v0, v0
	v_mul_f32_e32 v0, 0x4f7ffffe, v0
	v_cvt_u32_f32_e32 v0, v0
	v_readfirstlane_b32 s7, v0
	s_mul_i32 s11, s11, s7
	s_mul_hi_u32 s11, s7, s11
	s_add_i32 s7, s7, s11
	s_waitcnt lgkmcnt(0)
	s_cmp_eq_u64 s[0:1], 0
	s_mul_hi_u32 s22, s21, s7
	s_cbranch_scc1 .LBB177_3
; %bb.2:
	s_ashr_i32 s7, s6, 31
	s_lshl_b64 s[12:13], s[6:7], 2
	s_add_u32 s0, s0, s12
	s_addc_u32 s1, s1, s13
	s_load_dword s39, s[0:1], 0x0
.LBB177_3:
	s_load_dwordx4 s[12:15], s[4:5], 0x58
	v_lshlrev_b32_e32 v10, 4, v39
	s_ashr_i32 s0, s6, 31
	s_ashr_i32 s1, s10, 31
	s_lshl_b32 s10, s6, 7
	s_mov_b32 s7, exec_lo
	v_cmpx_gt_u32_e32 16, v39
	s_cbranch_execz .LBB177_5
; %bb.4:
	s_load_dwordx2 s[16:17], s[4:5], 0x18
	s_waitcnt lgkmcnt(0)
	s_mul_i32 s18, s12, s26
	s_ashr_i32 s19, s18, 31
	s_lshl_b64 s[18:19], s[18:19], 1
	s_add_u32 s12, s16, s18
	s_addc_u32 s15, s17, s19
	s_ashr_i32 s11, s10, 31
	s_lshl_b64 s[16:17], s[10:11], 1
	s_add_u32 s16, s12, s16
	s_addc_u32 s17, s15, s17
	global_load_dwordx4 v[0:3], v10, s[16:17]
	s_waitcnt vmcnt(0)
	ds_write_b128 v10, v[0:3]
.LBB177_5:
	s_or_b32 exec_lo, exec_lo, s7
	s_load_dwordx4 s[16:19], s[4:5], 0x78
	s_mul_i32 s7, s22, s20
	s_xor_b32 s0, s0, s1
	s_sub_i32 s1, s21, s7
	s_add_i32 s7, s22, 1
	s_sub_i32 s11, s1, s20
	s_cmp_ge_u32 s1, s20
	s_mov_b32 s21, -1
	s_cselect_b32 s7, s7, s22
	s_cselect_b32 s1, s11, s1
	s_add_i32 s11, s7, 1
	s_cmp_ge_u32 s1, s20
                                        ; implicit-def: $sgpr33
	s_cselect_b32 s1, s11, s7
	s_load_dword s7, s[4:5], 0x88
	s_xor_b32 s1, s1, s0
	s_add_i32 s20, s27, -1
	s_sub_i32 s1, s1, s0
	s_waitcnt lgkmcnt(0)
	s_abs_i32 s15, s20
	s_abs_i32 s11, s19
	s_barrier
	v_cvt_f32_u32_e32 v0, s11
	s_sub_i32 s0, 0, s11
	buffer_gl0_inv
	v_rcp_iflag_f32_e32 v0, v0
	v_mul_f32_e32 v0, 0x4f7ffffe, v0
	v_cvt_u32_f32_e32 v0, v0
	v_readfirstlane_b32 s12, v0
	s_mul_i32 s0, s0, s12
	s_mul_hi_u32 s0, s12, s0
	s_add_i32 s12, s12, s0
	s_cmp_lt_i32 s7, 0
	s_mul_hi_u32 s0, s15, s12
	s_cbranch_scc0 .LBB177_7
; %bb.6:
	s_mul_i32 s2, s16, s2
	s_mov_b32 s21, 0
	s_add_i32 s2, s1, s2
	s_mul_i32 s2, s2, s7
	s_sub_i32 s33, 1, s2
.LBB177_7:
	s_load_dwordx2 s[28:29], s[4:5], 0x38
	s_ashr_i32 s2, s20, 31
	s_andn2_b32 vcc_lo, exec_lo, s21
	s_ashr_i32 s19, s19, 31
	s_cbranch_vccnz .LBB177_9
; %bb.8:
	s_mul_i32 s16, s9, s16
	s_add_i32 s16, s16, s6
	s_mul_i32 s7, s16, s7
	s_add_i32 s33, s7, 1
.LBB177_9:
	s_clause 0x4
	s_load_dword s16, s[4:5], 0x48
	s_load_dwordx2 s[34:35], s[4:5], 0x28
	s_load_dword s7, s[4:5], 0x98
	s_load_dwordx4 s[20:23], s[4:5], 0x0
	s_load_dwordx2 s[24:25], s[4:5], 0x10
	s_mul_i32 s30, s0, s11
	s_xor_b32 s2, s2, s19
	s_sub_i32 s15, s15, s30
	s_add_i32 s36, s0, 1
	v_lshrrev_b32_e32 v40, 5, v39
	v_and_b32_e32 v0, 31, v39
	v_mov_b32_e32 v95, 0xff7fffff
	s_mul_i32 s14, s1, s14
	v_lshl_add_u32 v78, v40, 5, s37
	v_lshlrev_b32_e32 v11, 2, v0
	buffer_store_dword v0, off, s[48:51], 0 ; 4-byte Folded Spill
	s_waitcnt lgkmcnt(0)
	s_mul_i32 s30, s16, s26
	s_sub_i32 s16, s15, s11
	s_ashr_i32 s31, s30, 31
	s_cmp_ge_u32 s15, s11
	s_cselect_b32 s0, s36, s0
	s_cselect_b32 s15, s16, s15
	s_add_i32 s16, s0, 1
	s_cmp_ge_u32 s15, s11
	s_cselect_b32 s0, s16, s0
	s_add_i32 s15, s27, 31
	s_lshl_b32 s40, s8, 4
	s_ashr_i32 s16, s15, 31
	v_add_nc_u32_e32 v73, s40, v40
	s_lshr_b32 s16, s16, 27
	s_add_i32 s15, s15, s16
	s_add_i32 s16, s40, 16
	s_ashr_i32 s36, s15, 5
	s_xor_b32 s15, s0, s2
	s_min_i32 s16, s16, s36
	v_ashrrev_i32_e32 v74, 31, v73
	v_cmp_gt_i32_e64 s0, s16, v73
	s_sub_i32 s38, s15, s2
	s_and_saveexec_b32 s41, s0
	s_cbranch_execz .LBB177_17
; %bb.10:
	v_mov_b32_e32 v1, 0
	buffer_store_dword v10, off, s[48:51], 0 offset:328 ; 4-byte Folded Spill
	buffer_store_dword v39, off, s[48:51], 0 offset:320 ; 4-byte Folded Spill
	s_load_dwordx2 s[42:43], s[4:5], 0x20
	s_ashr_i32 s15, s14, 31
	s_sub_i32 s4, s38, s17
	ds_read_b128 v[2:5], v1
	ds_read_b128 v[6:9], v1 offset:16
	s_lshl_b64 s[44:45], s[14:15], 1
	v_lshl_add_u32 v101, v40, 5, s37
	v_mov_b32_e32 v95, 0xff7fffff
	v_mov_b32_e32 v102, v73
	s_waitcnt lgkmcnt(0)
	s_add_u32 s1, s42, s44
	s_addc_u32 s2, s43, s45
	v_and_b32_e32 v0, 0xffff0000, v2
	s_abs_i32 s5, s18
	s_lshl_b64 s[42:43], s[30:31], 2
	s_sub_i32 s15, 0, s5
	s_add_u32 s42, s28, s42
	buffer_store_dword v0, off, s[48:51], 0 offset:4 ; 4-byte Folded Spill
	v_lshlrev_b32_e32 v0, 16, v2
	s_addc_u32 s43, s29, s43
	buffer_store_dword v0, off, s[48:51], 0 offset:8 ; 4-byte Folded Spill
	v_and_b32_e32 v0, 0xffff0000, v6
	buffer_store_dword v0, off, s[48:51], 0 offset:12 ; 4-byte Folded Spill
	v_lshlrev_b32_e32 v0, 16, v6
	buffer_store_dword v0, off, s[48:51], 0 offset:16 ; 4-byte Folded Spill
	v_and_b32_e32 v0, 0xffff0000, v3
	buffer_store_dword v0, off, s[48:51], 0 offset:20 ; 4-byte Folded Spill
	v_lshlrev_b32_e32 v0, 16, v3
	;; [unrolled: 4-line block ×7, first 2 shown]
	buffer_store_dword v0, off, s[48:51], 0 offset:64 ; 4-byte Folded Spill
	ds_read_b128 v[2:5], v1 offset:32
	ds_read_b128 v[6:9], v1 offset:48
	s_waitcnt lgkmcnt(1)
	v_and_b32_e32 v0, 0xffff0000, v2
	buffer_store_dword v0, off, s[48:51], 0 offset:68 ; 4-byte Folded Spill
	v_lshlrev_b32_e32 v0, 16, v2
	buffer_store_dword v0, off, s[48:51], 0 offset:72 ; 4-byte Folded Spill
	v_and_b32_e32 v0, 0xffff0000, v3
	buffer_store_dword v0, off, s[48:51], 0 offset:76 ; 4-byte Folded Spill
	v_lshlrev_b32_e32 v0, 16, v3
	buffer_store_dword v0, off, s[48:51], 0 offset:80 ; 4-byte Folded Spill
	v_and_b32_e32 v0, 0xffff0000, v4
	buffer_store_dword v0, off, s[48:51], 0 offset:84 ; 4-byte Folded Spill
	v_lshlrev_b32_e32 v0, 16, v4
	buffer_store_dword v0, off, s[48:51], 0 offset:88 ; 4-byte Folded Spill
	v_and_b32_e32 v0, 0xffff0000, v5
	buffer_store_dword v0, off, s[48:51], 0 offset:92 ; 4-byte Folded Spill
	v_lshlrev_b32_e32 v0, 16, v5
	buffer_store_dword v0, off, s[48:51], 0 offset:96 ; 4-byte Folded Spill
	s_waitcnt lgkmcnt(0)
	v_and_b32_e32 v0, 0xffff0000, v6
	buffer_store_dword v0, off, s[48:51], 0 offset:100 ; 4-byte Folded Spill
	v_lshlrev_b32_e32 v0, 16, v6
	buffer_store_dword v0, off, s[48:51], 0 offset:104 ; 4-byte Folded Spill
	v_and_b32_e32 v0, 0xffff0000, v7
	buffer_store_dword v0, off, s[48:51], 0 offset:108 ; 4-byte Folded Spill
	v_lshlrev_b32_e32 v0, 16, v7
	buffer_store_dword v0, off, s[48:51], 0 offset:112 ; 4-byte Folded Spill
	v_and_b32_e32 v0, 0xffff0000, v8
	buffer_store_dword v0, off, s[48:51], 0 offset:116 ; 4-byte Folded Spill
	v_lshlrev_b32_e32 v0, 16, v8
	buffer_store_dword v0, off, s[48:51], 0 offset:120 ; 4-byte Folded Spill
	v_and_b32_e32 v0, 0xffff0000, v9
	buffer_store_dword v0, off, s[48:51], 0 offset:124 ; 4-byte Folded Spill
	v_lshlrev_b32_e32 v0, 16, v9
	buffer_store_dword v0, off, s[48:51], 0 offset:128 ; 4-byte Folded Spill
	ds_read_b128 v[2:5], v1 offset:64
	ds_read_b128 v[6:9], v1 offset:80
	s_waitcnt lgkmcnt(1)
	v_and_b32_e32 v0, 0xffff0000, v2
	buffer_store_dword v0, off, s[48:51], 0 offset:132 ; 4-byte Folded Spill
	v_lshlrev_b32_e32 v0, 16, v2
	buffer_store_dword v0, off, s[48:51], 0 offset:136 ; 4-byte Folded Spill
	v_and_b32_e32 v0, 0xffff0000, v3
	buffer_store_dword v0, off, s[48:51], 0 offset:140 ; 4-byte Folded Spill
	v_lshlrev_b32_e32 v0, 16, v3
	buffer_store_dword v0, off, s[48:51], 0 offset:144 ; 4-byte Folded Spill
	v_and_b32_e32 v0, 0xffff0000, v4
	buffer_store_dword v0, off, s[48:51], 0 offset:148 ; 4-byte Folded Spill
	v_lshlrev_b32_e32 v0, 16, v4
	buffer_store_dword v0, off, s[48:51], 0 offset:152 ; 4-byte Folded Spill
	v_and_b32_e32 v0, 0xffff0000, v5
	buffer_store_dword v0, off, s[48:51], 0 offset:156 ; 4-byte Folded Spill
	v_lshlrev_b32_e32 v0, 16, v5
	buffer_store_dword v0, off, s[48:51], 0 offset:160 ; 4-byte Folded Spill
	s_waitcnt lgkmcnt(0)
	v_and_b32_e32 v0, 0xffff0000, v6
	buffer_store_dword v0, off, s[48:51], 0 offset:164 ; 4-byte Folded Spill
	v_lshlrev_b32_e32 v0, 16, v6
	buffer_store_dword v0, off, s[48:51], 0 offset:168 ; 4-byte Folded Spill
	v_and_b32_e32 v0, 0xffff0000, v7
	buffer_store_dword v0, off, s[48:51], 0 offset:172 ; 4-byte Folded Spill
	v_lshlrev_b32_e32 v0, 16, v7
	buffer_store_dword v0, off, s[48:51], 0 offset:176 ; 4-byte Folded Spill
	v_and_b32_e32 v0, 0xffff0000, v8
	buffer_store_dword v0, off, s[48:51], 0 offset:180 ; 4-byte Folded Spill
	v_lshlrev_b32_e32 v0, 16, v8
	buffer_store_dword v0, off, s[48:51], 0 offset:184 ; 4-byte Folded Spill
	v_and_b32_e32 v0, 0xffff0000, v9
	buffer_store_dword v0, off, s[48:51], 0 offset:188 ; 4-byte Folded Spill
	v_lshlrev_b32_e32 v0, 16, v9
	;; [unrolled: 36-line block ×3, first 2 shown]
	buffer_store_dword v0, off, s[48:51], 0 offset:256 ; 4-byte Folded Spill
	ds_read_b128 v[2:5], v1 offset:128
	ds_read_b128 v[6:9], v1 offset:144
	s_waitcnt lgkmcnt(1)
	v_and_b32_e32 v0, 0xffff0000, v2
	s_waitcnt lgkmcnt(0)
	v_lshlrev_b32_e32 v44, 16, v9
	buffer_store_dword v0, off, s[48:51], 0 offset:260 ; 4-byte Folded Spill
	v_lshlrev_b32_e32 v0, 16, v2
	buffer_store_dword v0, off, s[48:51], 0 offset:264 ; 4-byte Folded Spill
	v_and_b32_e32 v0, 0xffff0000, v3
	buffer_store_dword v0, off, s[48:51], 0 offset:268 ; 4-byte Folded Spill
	v_lshlrev_b32_e32 v0, 16, v3
	buffer_store_dword v0, off, s[48:51], 0 offset:272 ; 4-byte Folded Spill
	v_and_b32_e32 v0, 0xffff0000, v4
	;; [unrolled: 4-line block ×7, first 2 shown]
	buffer_store_dword v0, off, s[48:51], 0 offset:316 ; 4-byte Folded Spill
	ds_read_b128 v[2:5], v1 offset:160
	ds_read_b128 v[6:9], v1 offset:176
	s_waitcnt lgkmcnt(1)
	v_and_b32_e32 v76, 0xffff0000, v2
	v_lshlrev_b32_e32 v77, 16, v2
	v_and_b32_e32 v45, 0xffff0000, v3
	v_lshlrev_b32_e32 v0, 16, v3
	;; [unrolled: 2-line block ×4, first 2 shown]
	s_waitcnt lgkmcnt(0)
	v_and_b32_e32 v50, 0xffff0000, v6
	v_lshlrev_b32_e32 v51, 16, v6
	v_and_b32_e32 v52, 0xffff0000, v7
	v_lshlrev_b32_e32 v53, 16, v7
	;; [unrolled: 2-line block ×4, first 2 shown]
	ds_read_b128 v[2:5], v1 offset:192
	ds_read_b128 v[6:9], v1 offset:208
	s_waitcnt lgkmcnt(1)
	v_and_b32_e32 v58, 0xffff0000, v2
	v_lshlrev_b32_e32 v59, 16, v2
	v_and_b32_e32 v60, 0xffff0000, v3
	v_lshlrev_b32_e32 v61, 16, v3
	;; [unrolled: 2-line block ×4, first 2 shown]
	s_waitcnt lgkmcnt(0)
	v_and_b32_e32 v66, 0xffff0000, v6
	v_lshlrev_b32_e32 v67, 16, v6
	v_and_b32_e32 v68, 0xffff0000, v7
	v_lshlrev_b32_e32 v69, 16, v7
	;; [unrolled: 2-line block ×4, first 2 shown]
	ds_read_b128 v[2:5], v1 offset:224
	ds_read_b128 v[6:9], v1 offset:240
	buffer_store_dword v11, off, s[48:51], 0 offset:332 ; 4-byte Folded Spill
	buffer_store_dword v40, off, s[48:51], 0 offset:324 ; 4-byte Folded Spill
	s_waitcnt lgkmcnt(1)
	v_and_b32_e32 v79, 0xffff0000, v2
	v_lshlrev_b32_e32 v80, 16, v2
	v_lshlrev_b64 v[1:2], 2, v[73:74]
	v_and_b32_e32 v81, 0xffff0000, v3
	v_lshlrev_b32_e32 v82, 16, v3
	v_and_b32_e32 v83, 0xffff0000, v4
	v_lshlrev_b32_e32 v84, 16, v4
	v_and_b32_e32 v85, 0xffff0000, v5
	v_add_co_u32 v41, vcc_lo, s42, v1
	v_cvt_f32_u32_e32 v1, s5
	v_add_co_ci_u32_e64 v42, null, s43, v2, vcc_lo
	v_lshlrev_b32_e32 v86, 16, v5
	s_waitcnt lgkmcnt(0)
	v_and_b32_e32 v87, 0xffff0000, v6
	v_rcp_iflag_f32_e32 v1, v1
	v_lshlrev_b32_e32 v88, 16, v6
	v_and_b32_e32 v89, 0xffff0000, v7
	v_lshlrev_b32_e32 v90, 16, v7
	v_and_b32_e32 v91, 0xffff0000, v8
	;; [unrolled: 2-line block ×3, first 2 shown]
	v_lshlrev_b32_e32 v94, 16, v9
	v_cmp_neq_f32_e64 vcc_lo, s39, 0
	s_mov_b32 s42, s13
	v_mul_f32_e32 v1, 0x4f7ffffe, v1
	v_cvt_u32_f32_e32 v1, v1
	v_mul_lo_u32 v2, s15, v1
	s_mov_b32 s15, 0
	v_mul_hi_u32 v2, v1, v2
	v_add_nc_u32_e32 v96, v1, v2
	buffer_load_dword v2, off, s[48:51], 0  ; 4-byte Folded Reload
	s_waitcnt vmcnt(0)
	v_subrev_nc_u32_e32 v1, s27, v2
	v_add_nc_u32_e32 v97, 1, v1
	v_lshl_or_b32 v1, v40, 7, v11
	v_add_nc_u32_e32 v98, 0x120, v1
	v_lshlrev_b32_e32 v1, 4, v2
	v_add_co_u32 v99, s1, s1, v1
	v_add_co_ci_u32_e64 v100, null, s2, 0, s1
	s_branch .LBB177_12
.LBB177_11:                             ;   in Loop: Header=BB177_12 Depth=1
	s_or_b32 exec_lo, exec_lo, s43
	v_add_nc_u32_e32 v102, 4, v102
	v_add_co_u32 v41, s1, v41, 16
	v_add_co_ci_u32_e64 v42, null, 0, v42, s1
	v_cmp_le_i32_e64 s1, s16, v102
	v_add_nc_u32_e32 v101, 0x80, v101
	v_add_nc_u32_e32 v98, 0x200, v98
	s_or_b32 s15, s1, s15
	s_andn2_b32 exec_lo, exec_lo, s15
	s_cbranch_execz .LBB177_16
.LBB177_12:                             ; =>This Inner Loop Header: Depth=1
	v_sub_nc_u32_e32 v1, 0, v101
	v_max_i32_e32 v1, v101, v1
	v_mul_hi_u32 v2, v1, s12
	v_mul_lo_u32 v3, v2, s11
	v_sub_nc_u32_e32 v1, v1, v3
	v_add_nc_u32_e32 v3, 1, v2
	v_subrev_nc_u32_e32 v4, s11, v1
	v_cmp_le_u32_e64 s1, s11, v1
	v_cndmask_b32_e64 v2, v2, v3, s1
	v_cndmask_b32_e64 v1, v1, v4, s1
	v_ashrrev_i32_e32 v3, 31, v101
	v_add_nc_u32_e32 v4, 1, v2
	v_cmp_le_u32_e64 s1, s11, v1
	v_xor_b32_e32 v3, s19, v3
	v_cndmask_b32_e64 v1, v2, v4, s1
	v_xor_b32_e32 v1, v1, v3
	v_sub_nc_u32_e32 v1, v1, v3
	v_add_nc_u32_e32 v2, s33, v1
	v_cmp_ge_i32_e64 s2, s4, v1
	v_sub_nc_u32_e32 v3, 0, v2
	v_max_i32_e32 v3, v2, v3
	v_ashrrev_i32_e32 v2, 31, v2
	v_mul_hi_u32 v4, v3, v96
	v_mul_lo_u32 v4, v4, s5
	v_sub_nc_u32_e32 v3, v3, v4
	v_subrev_nc_u32_e32 v4, s5, v3
	v_cmp_le_u32_e64 s1, s5, v3
	v_cndmask_b32_e64 v3, v3, v4, s1
	v_subrev_nc_u32_e32 v4, s5, v3
	v_cmp_le_u32_e64 s1, s5, v3
	v_cndmask_b32_e64 v3, v3, v4, s1
	v_xor_b32_e32 v3, v3, v2
	v_sub_nc_u32_e32 v2, v3, v2
	v_cmp_ne_u32_e64 s1, 0, v2
	s_and_b32 s1, s1, s2
	s_and_saveexec_b32 s2, s1
	s_xor_b32 s1, exec_lo, s2
; %bb.13:                               ;   in Loop: Header=BB177_12 Depth=1
	v_mov_b32_e32 v1, 0xff7fffff
	ds_write_b32 v98, v1
; %bb.14:                               ;   in Loop: Header=BB177_12 Depth=1
	s_andn2_saveexec_b32 s43, s1
	s_cbranch_execz .LBB177_11
; %bb.15:                               ;   in Loop: Header=BB177_12 Depth=1
	global_load_dword v1, v[41:42], off
	buffer_load_dword v2, off, s[48:51], 0  ; 4-byte Folded Reload
	s_waitcnt vmcnt(0)
	v_add_nc_u32_e32 v3, v2, v101
	v_mad_i64_i32 v[1:2], null, v1, s42, 0
	v_lshlrev_b64 v[1:2], 1, v[1:2]
	v_add_co_u32 v13, s1, v99, v1
	v_add_nc_u32_e32 v1, v97, v101
	v_add_co_ci_u32_e64 v14, null, v100, v2, s1
	v_cmp_gt_i32_e64 s1, s27, v3
	v_cvt_f32_i32_e32 v1, v1
	v_mul_f32_e32 v1, s39, v1
	v_cndmask_b32_e32 v103, 0, v1, vcc_lo
	s_clause 0x3
	global_load_dwordx4 v[15:18], v[13:14], off
	global_load_dwordx4 v[9:12], v[13:14], off offset:512
	global_load_dwordx4 v[5:8], v[13:14], off offset:1024
	;; [unrolled: 1-line block ×3, first 2 shown]
	buffer_load_dword v21, off, s[48:51], 0 offset:16 ; 4-byte Folded Reload
	s_waitcnt vmcnt(4)
	v_lshlrev_b32_e32 v19, 16, v15
	s_waitcnt vmcnt(3)
	v_and_b32_e32 v20, 0xffff0000, v9
	v_lshlrev_b32_e32 v9, 16, v9
	v_and_b32_e32 v15, 0xffff0000, v15
	s_waitcnt vmcnt(0)
	v_mul_f32_e32 v104, v21, v9
	buffer_load_dword v9, off, s[48:51], 0 offset:12 ; 4-byte Folded Reload
	s_waitcnt vmcnt(0)
	v_mul_f32_e32 v105, v9, v20
	buffer_load_dword v9, off, s[48:51], 0 offset:4 ; 4-byte Folded Reload
	s_waitcnt vmcnt(0)
	v_fmac_f32_e32 v105, v9, v15
	s_clause 0x1
	buffer_load_dword v9, off, s[48:51], 0 offset:8
	buffer_load_dword v15, off, s[48:51], 0 offset:72
	s_waitcnt vmcnt(1)
	v_fmac_f32_e32 v104, v9, v19
	v_and_b32_e32 v9, 0xffff0000, v5
	v_lshlrev_b32_e32 v5, 16, v5
	s_waitcnt vmcnt(0)
	v_fmac_f32_e32 v104, v15, v5
	s_clause 0x1
	buffer_load_dword v5, off, s[48:51], 0 offset:68
	buffer_load_dword v15, off, s[48:51], 0 offset:32
	s_waitcnt vmcnt(1)
	v_fmac_f32_e32 v105, v5, v9
	buffer_load_dword v9, off, s[48:51], 0 offset:100 ; 4-byte Folded Reload
	v_lshlrev_b32_e32 v5, 16, v1
	v_and_b32_e32 v1, 0xffff0000, v1
	s_waitcnt vmcnt(0)
	v_fmac_f32_e32 v105, v9, v1
	v_and_b32_e32 v9, 0xffff0000, v10
	v_lshlrev_b32_e32 v10, 16, v10
	buffer_load_dword v1, off, s[48:51], 0 offset:104 ; 4-byte Folded Reload
	v_mul_f32_e32 v107, v15, v10
	buffer_load_dword v10, off, s[48:51], 0 offset:28 ; 4-byte Folded Reload
	s_waitcnt vmcnt(0)
	v_mul_f32_e32 v106, v10, v9
	buffer_load_dword v9, off, s[48:51], 0 offset:20 ; 4-byte Folded Reload
	v_fmac_f32_e32 v104, v1, v5
	v_and_b32_e32 v5, 0xffff0000, v16
	v_lshlrev_b32_e32 v1, 16, v16
	s_waitcnt vmcnt(0)
	v_fmac_f32_e32 v106, v9, v5
	s_clause 0x1
	buffer_load_dword v5, off, s[48:51], 0 offset:24
	buffer_load_dword v9, off, s[48:51], 0 offset:56
	s_waitcnt vmcnt(1)
	v_fmac_f32_e32 v107, v5, v1
	v_and_b32_e32 v1, 0xffff0000, v6
	v_lshlrev_b32_e32 v5, 16, v6
	buffer_load_dword v6, off, s[48:51], 0 offset:80 ; 4-byte Folded Reload
	s_waitcnt vmcnt(0)
	v_fmac_f32_e32 v107, v6, v5
	buffer_load_dword v5, off, s[48:51], 0 offset:76 ; 4-byte Folded Reload
	v_lshlrev_b32_e32 v6, 16, v11
	v_mul_f32_e32 v109, v9, v6
	buffer_load_dword v6, off, s[48:51], 0 offset:52 ; 4-byte Folded Reload
	s_waitcnt vmcnt(1)
	v_fmac_f32_e32 v106, v5, v1
	buffer_load_dword v5, off, s[48:51], 0 offset:108 ; 4-byte Folded Reload
	v_lshlrev_b32_e32 v1, 16, v2
	v_and_b32_e32 v2, 0xffff0000, v2
	s_waitcnt vmcnt(0)
	v_fmac_f32_e32 v106, v5, v2
	buffer_load_dword v2, off, s[48:51], 0 offset:112 ; 4-byte Folded Reload
	v_and_b32_e32 v5, 0xffff0000, v11
	v_mul_f32_e32 v108, v6, v5
	s_clause 0x1
	buffer_load_dword v5, off, s[48:51], 0 offset:36
	buffer_load_dword v6, off, s[48:51], 0 offset:64
	s_waitcnt vmcnt(2)
	v_fmac_f32_e32 v107, v2, v1
	v_and_b32_e32 v2, 0xffff0000, v17
	v_lshlrev_b32_e32 v1, 16, v17
	s_waitcnt vmcnt(1)
	v_fmac_f32_e32 v108, v5, v2
	s_clause 0x1
	buffer_load_dword v2, off, s[48:51], 0 offset:40
	buffer_load_dword v5, off, s[48:51], 0 offset:88
	s_waitcnt vmcnt(1)
	v_fmac_f32_e32 v109, v2, v1
	v_lshlrev_b32_e32 v2, 16, v7
	v_and_b32_e32 v1, 0xffff0000, v7
	s_waitcnt vmcnt(0)
	v_fmac_f32_e32 v109, v5, v2
	buffer_load_dword v2, off, s[48:51], 0 offset:84 ; 4-byte Folded Reload
	v_lshlrev_b32_e32 v5, 16, v12
	v_mul_f32_e32 v111, v6, v5
	buffer_load_dword v5, off, s[48:51], 0 offset:60 ; 4-byte Folded Reload
	s_waitcnt vmcnt(1)
	v_fmac_f32_e32 v108, v2, v1
	v_lshlrev_b32_e32 v1, 16, v3
	v_and_b32_e32 v2, 0xffff0000, v3
	buffer_load_dword v3, off, s[48:51], 0 offset:116 ; 4-byte Folded Reload
	s_waitcnt vmcnt(0)
	v_fmac_f32_e32 v108, v3, v2
	buffer_load_dword v2, off, s[48:51], 0 offset:120 ; 4-byte Folded Reload
	v_and_b32_e32 v3, 0xffff0000, v12
	v_mul_f32_e32 v110, v5, v3
	buffer_load_dword v3, off, s[48:51], 0 offset:44 ; 4-byte Folded Reload
	v_add_co_u32 v5, s2, 0x800, v13
	v_add_co_ci_u32_e64 v6, null, 0, v14, s2
	v_add_co_u32 v7, s2, v13, 0x1000
	s_waitcnt vmcnt(1)
	v_fmac_f32_e32 v109, v2, v1
	v_and_b32_e32 v2, 0xffff0000, v18
	v_lshlrev_b32_e32 v1, 16, v18
	s_waitcnt vmcnt(0)
	v_fmac_f32_e32 v110, v3, v2
	s_clause 0x1
	buffer_load_dword v2, off, s[48:51], 0 offset:48
	buffer_load_dword v3, off, s[48:51], 0 offset:96
	s_waitcnt vmcnt(1)
	v_fmac_f32_e32 v111, v2, v1
	v_lshlrev_b32_e32 v2, 16, v8
	v_and_b32_e32 v1, 0xffff0000, v8
	v_add_co_ci_u32_e64 v8, null, 0, v14, s2
	s_waitcnt vmcnt(0)
	v_fmac_f32_e32 v111, v3, v2
	s_clause 0x1
	buffer_load_dword v2, off, s[48:51], 0 offset:92
	buffer_load_dword v3, off, s[48:51], 0 offset:124
	s_waitcnt vmcnt(1)
	v_fmac_f32_e32 v110, v2, v1
	v_and_b32_e32 v2, 0xffff0000, v4
	v_lshlrev_b32_e32 v1, 16, v4
	s_waitcnt vmcnt(0)
	v_fmac_f32_e32 v110, v3, v2
	buffer_load_dword v2, off, s[48:51], 0 offset:128 ; 4-byte Folded Reload
	s_waitcnt vmcnt(0)
	v_fmac_f32_e32 v111, v2, v1
	global_load_dwordx4 v[1:4], v[7:8], off offset:-2048
	s_waitcnt vmcnt(0)
	v_and_b32_e32 v122, 0xffff0000, v1
	v_lshlrev_b32_e32 v123, 16, v1
	v_and_b32_e32 v120, 0xffff0000, v2
	v_lshlrev_b32_e32 v121, 16, v2
	;; [unrolled: 2-line block ×4, first 2 shown]
	s_clause 0x2
	global_load_dwordx4 v[1:4], v[5:6], off offset:512
	global_load_dwordx4 v[37:40], v[5:6], off offset:1024
	;; [unrolled: 1-line block ×3, first 2 shown]
	s_waitcnt vmcnt(2)
	v_lshlrev_b32_e32 v124, 16, v1
	v_and_b32_e32 v125, 0xffff0000, v1
	v_add_co_u32 v1, s2, 0x1000, v13
	v_lshlrev_b32_e32 v126, 16, v2
	v_and_b32_e32 v127, 0xffff0000, v2
	v_add_co_ci_u32_e64 v2, null, 0, v14, s2
	s_clause 0x3
	global_load_dwordx4 v[33:36], v[7:8], off
	global_load_dwordx4 v[25:28], v[1:2], off offset:512
	global_load_dwordx4 v[21:24], v[1:2], off offset:1024
	;; [unrolled: 1-line block ×3, first 2 shown]
	v_add_co_u32 v1, s2, 0x1800, v13
	v_add_co_ci_u32_e64 v2, null, 0, v14, s2
	v_lshlrev_b32_e32 v118, 16, v3
	v_and_b32_e32 v119, 0xffff0000, v3
	v_lshlrev_b32_e32 v114, 16, v4
	v_and_b32_e32 v115, 0xffff0000, v4
	s_clause 0x3
	global_load_dwordx4 v[13:16], v[1:2], off
	global_load_dwordx4 v[9:12], v[1:2], off offset:512
	global_load_dwordx4 v[5:8], v[1:2], off offset:1024
	;; [unrolled: 1-line block ×3, first 2 shown]
	buffer_load_dword v43, off, s[48:51], 0 offset:136 ; 4-byte Folded Reload
	s_waitcnt vmcnt(0)
	v_fmac_f32_e32 v104, v43, v123
	s_clause 0x1
	buffer_load_dword v123, off, s[48:51], 0 offset:132
	buffer_load_dword v43, off, s[48:51], 0 offset:164
	s_waitcnt vmcnt(1)
	v_fmac_f32_e32 v105, v123, v122
	v_and_b32_e32 v122, 0xffff0000, v37
	v_lshlrev_b32_e32 v37, 16, v37
	s_waitcnt vmcnt(0)
	v_fmac_f32_e32 v105, v43, v125
	buffer_load_dword v43, off, s[48:51], 0 offset:168 ; 4-byte Folded Reload
	s_waitcnt vmcnt(0)
	v_fmac_f32_e32 v104, v43, v124
	buffer_load_dword v43, off, s[48:51], 0 offset:200 ; 4-byte Folded Reload
	s_waitcnt vmcnt(0)
	v_fmac_f32_e32 v104, v43, v37
	s_clause 0x1
	buffer_load_dword v37, off, s[48:51], 0 offset:196
	buffer_load_dword v43, off, s[48:51], 0 offset:228
	s_waitcnt vmcnt(1)
	v_fmac_f32_e32 v105, v37, v122
	v_lshlrev_b32_e32 v37, 16, v29
	v_and_b32_e32 v29, 0xffff0000, v29
	s_waitcnt vmcnt(0)
	v_fmac_f32_e32 v105, v43, v29
	buffer_load_dword v29, off, s[48:51], 0 offset:232 ; 4-byte Folded Reload
	s_waitcnt vmcnt(0)
	v_fmac_f32_e32 v104, v29, v37
	buffer_load_dword v37, off, s[48:51], 0 offset:264 ; 4-byte Folded Reload
	v_and_b32_e32 v29, 0xffff0000, v33
	v_lshlrev_b32_e32 v33, 16, v33
	s_waitcnt vmcnt(0)
	v_fmac_f32_e32 v104, v37, v33
	buffer_load_dword v33, off, s[48:51], 0 offset:260 ; 4-byte Folded Reload
	s_waitcnt vmcnt(0)
	v_fmac_f32_e32 v105, v33, v29
	buffer_load_dword v33, off, s[48:51], 0 offset:292 ; 4-byte Folded Reload
	v_lshlrev_b32_e32 v29, 16, v25
	v_and_b32_e32 v25, 0xffff0000, v25
	s_waitcnt vmcnt(0)
	v_fmac_f32_e32 v105, v33, v25
	buffer_load_dword v25, off, s[48:51], 0 offset:296 ; 4-byte Folded Reload
	s_waitcnt vmcnt(0)
	v_fmac_f32_e32 v104, v25, v29
	v_and_b32_e32 v25, 0xffff0000, v21
	v_lshlrev_b32_e32 v21, 16, v21
	v_fmac_f32_e32 v105, v76, v25
	v_fmac_f32_e32 v104, v77, v21
	v_lshlrev_b32_e32 v21, 16, v17
	v_and_b32_e32 v17, 0xffff0000, v17
	v_fmac_f32_e32 v104, v51, v21
	v_fmac_f32_e32 v105, v50, v17
	v_and_b32_e32 v17, 0xffff0000, v13
	v_lshlrev_b32_e32 v13, 16, v13
	v_fmac_f32_e32 v105, v58, v17
	v_fmac_f32_e32 v104, v59, v13
	v_lshlrev_b32_e32 v13, 16, v9
	v_and_b32_e32 v9, 0xffff0000, v9
	v_fmac_f32_e32 v104, v67, v13
	v_fmac_f32_e32 v105, v66, v9
	v_and_b32_e32 v9, 0xffff0000, v5
	v_lshlrev_b32_e32 v5, 16, v5
	v_fmac_f32_e32 v105, v79, v9
	v_fmac_f32_e32 v104, v80, v5
	v_lshlrev_b32_e32 v5, 16, v1
	v_and_b32_e32 v1, 0xffff0000, v1
	buffer_load_dword v9, off, s[48:51], 0 offset:208 ; 4-byte Folded Reload
	v_fmac_f32_e32 v104, v88, v5
	v_fmac_f32_e32 v105, v87, v1
	buffer_load_dword v1, off, s[48:51], 0 offset:144 ; 4-byte Folded Reload
	v_lshlrev_b32_e32 v5, 16, v38
	s_waitcnt vmcnt(0)
	v_fmac_f32_e32 v107, v1, v121
	buffer_load_dword v1, off, s[48:51], 0 offset:140 ; 4-byte Folded Reload
	s_waitcnt vmcnt(0)
	v_fmac_f32_e32 v106, v1, v120
	buffer_load_dword v1, off, s[48:51], 0 offset:172 ; 4-byte Folded Reload
	;; [unrolled: 3-line block ×3, first 2 shown]
	s_waitcnt vmcnt(0)
	v_fmac_f32_e32 v107, v1, v126
	v_and_b32_e32 v1, 0xffff0000, v38
	v_fmac_f32_e32 v107, v9, v5
	s_clause 0x1
	buffer_load_dword v5, off, s[48:51], 0 offset:204
	buffer_load_dword v9, off, s[48:51], 0 offset:236
	s_waitcnt vmcnt(1)
	v_fmac_f32_e32 v106, v5, v1
	v_and_b32_e32 v5, 0xffff0000, v30
	v_lshlrev_b32_e32 v1, 16, v30
	s_waitcnt vmcnt(0)
	v_fmac_f32_e32 v106, v9, v5
	s_clause 0x1
	buffer_load_dword v5, off, s[48:51], 0 offset:240
	buffer_load_dword v9, off, s[48:51], 0 offset:272
	s_waitcnt vmcnt(1)
	v_fmac_f32_e32 v107, v5, v1
	v_lshlrev_b32_e32 v5, 16, v34
	v_and_b32_e32 v1, 0xffff0000, v34
	s_waitcnt vmcnt(0)
	v_fmac_f32_e32 v107, v9, v5
	s_clause 0x1
	buffer_load_dword v5, off, s[48:51], 0 offset:268
	buffer_load_dword v9, off, s[48:51], 0 offset:300
	s_waitcnt vmcnt(1)
	v_fmac_f32_e32 v106, v5, v1
	v_and_b32_e32 v5, 0xffff0000, v26
	v_lshlrev_b32_e32 v1, 16, v26
	s_waitcnt vmcnt(0)
	v_fmac_f32_e32 v106, v9, v5
	buffer_load_dword v5, off, s[48:51], 0 offset:304 ; 4-byte Folded Reload
	s_waitcnt vmcnt(0)
	v_fmac_f32_e32 v107, v5, v1
	v_and_b32_e32 v1, 0xffff0000, v22
	v_lshlrev_b32_e32 v5, 16, v22
	v_fmac_f32_e32 v106, v45, v1
	v_fmac_f32_e32 v107, v0, v5
	v_lshlrev_b32_e32 v1, 16, v18
	v_and_b32_e32 v5, 0xffff0000, v18
	v_fmac_f32_e32 v107, v53, v1
	v_fmac_f32_e32 v106, v52, v5
	v_and_b32_e32 v1, 0xffff0000, v14
	v_lshlrev_b32_e32 v5, 16, v14
	v_fmac_f32_e32 v106, v60, v1
	v_fmac_f32_e32 v107, v61, v5
	v_lshlrev_b32_e32 v1, 16, v10
	v_and_b32_e32 v5, 0xffff0000, v10
	v_fmac_f32_e32 v107, v69, v1
	v_fmac_f32_e32 v106, v68, v5
	v_and_b32_e32 v1, 0xffff0000, v6
	v_lshlrev_b32_e32 v5, 16, v6
	v_fmac_f32_e32 v106, v81, v1
	v_fmac_f32_e32 v107, v82, v5
	v_lshlrev_b32_e32 v1, 16, v2
	v_and_b32_e32 v2, 0xffff0000, v2
	buffer_load_dword v5, off, s[48:51], 0 offset:216 ; 4-byte Folded Reload
	v_fmac_f32_e32 v107, v90, v1
	buffer_load_dword v1, off, s[48:51], 0 offset:152 ; 4-byte Folded Reload
	v_fmac_f32_e32 v106, v89, v2
	v_lshlrev_b32_e32 v2, 16, v39
	s_waitcnt vmcnt(0)
	v_fmac_f32_e32 v109, v1, v117
	buffer_load_dword v1, off, s[48:51], 0 offset:148 ; 4-byte Folded Reload
	s_waitcnt vmcnt(0)
	v_fmac_f32_e32 v108, v1, v116
	buffer_load_dword v1, off, s[48:51], 0 offset:180 ; 4-byte Folded Reload
	;; [unrolled: 3-line block ×3, first 2 shown]
	s_waitcnt vmcnt(0)
	v_fmac_f32_e32 v109, v1, v118
	v_and_b32_e32 v1, 0xffff0000, v39
	v_fmac_f32_e32 v109, v5, v2
	s_clause 0x1
	buffer_load_dword v2, off, s[48:51], 0 offset:212
	buffer_load_dword v5, off, s[48:51], 0 offset:244
	s_waitcnt vmcnt(1)
	v_fmac_f32_e32 v108, v2, v1
	v_and_b32_e32 v2, 0xffff0000, v31
	v_lshlrev_b32_e32 v1, 16, v31
	s_waitcnt vmcnt(0)
	v_fmac_f32_e32 v108, v5, v2
	s_clause 0x1
	buffer_load_dword v2, off, s[48:51], 0 offset:248
	buffer_load_dword v5, off, s[48:51], 0 offset:280
	s_waitcnt vmcnt(1)
	v_fmac_f32_e32 v109, v2, v1
	v_lshlrev_b32_e32 v2, 16, v35
	v_and_b32_e32 v1, 0xffff0000, v35
	s_waitcnt vmcnt(0)
	v_fmac_f32_e32 v109, v5, v2
	s_clause 0x1
	buffer_load_dword v2, off, s[48:51], 0 offset:276
	buffer_load_dword v5, off, s[48:51], 0 offset:308
	s_waitcnt vmcnt(1)
	v_fmac_f32_e32 v108, v2, v1
	v_and_b32_e32 v2, 0xffff0000, v27
	v_lshlrev_b32_e32 v1, 16, v27
	s_waitcnt vmcnt(0)
	v_fmac_f32_e32 v108, v5, v2
	buffer_load_dword v2, off, s[48:51], 0 offset:312 ; 4-byte Folded Reload
	s_waitcnt vmcnt(0)
	v_fmac_f32_e32 v109, v2, v1
	v_and_b32_e32 v1, 0xffff0000, v23
	v_lshlrev_b32_e32 v2, 16, v23
	v_fmac_f32_e32 v108, v46, v1
	v_fmac_f32_e32 v109, v47, v2
	v_lshlrev_b32_e32 v1, 16, v19
	v_and_b32_e32 v2, 0xffff0000, v19
	v_fmac_f32_e32 v109, v55, v1
	v_fmac_f32_e32 v108, v54, v2
	v_and_b32_e32 v1, 0xffff0000, v15
	v_lshlrev_b32_e32 v2, 16, v15
	v_fmac_f32_e32 v108, v62, v1
	v_fmac_f32_e32 v109, v63, v2
	v_lshlrev_b32_e32 v1, 16, v11
	v_and_b32_e32 v2, 0xffff0000, v11
	v_fmac_f32_e32 v109, v71, v1
	v_fmac_f32_e32 v108, v70, v2
	v_and_b32_e32 v1, 0xffff0000, v7
	v_lshlrev_b32_e32 v2, 16, v7
	v_fmac_f32_e32 v108, v83, v1
	v_fmac_f32_e32 v109, v84, v2
	v_lshlrev_b32_e32 v1, 16, v3
	v_and_b32_e32 v2, 0xffff0000, v3
	buffer_load_dword v3, off, s[48:51], 0 offset:224 ; 4-byte Folded Reload
	v_fmac_f32_e32 v109, v92, v1
	buffer_load_dword v1, off, s[48:51], 0 offset:160 ; 4-byte Folded Reload
	v_fmac_f32_e32 v108, v91, v2
	v_lshlrev_b32_e32 v2, 16, v40
	s_waitcnt vmcnt(0)
	v_fmac_f32_e32 v111, v1, v113
	buffer_load_dword v1, off, s[48:51], 0 offset:156 ; 4-byte Folded Reload
	s_waitcnt vmcnt(0)
	v_fmac_f32_e32 v110, v1, v112
	buffer_load_dword v1, off, s[48:51], 0 offset:188 ; 4-byte Folded Reload
	;; [unrolled: 3-line block ×3, first 2 shown]
	s_waitcnt vmcnt(0)
	v_fmac_f32_e32 v111, v1, v114
	v_and_b32_e32 v1, 0xffff0000, v40
	v_fmac_f32_e32 v111, v3, v2
	s_clause 0x1
	buffer_load_dword v2, off, s[48:51], 0 offset:220
	buffer_load_dword v3, off, s[48:51], 0 offset:252
	s_waitcnt vmcnt(1)
	v_fmac_f32_e32 v110, v2, v1
	v_and_b32_e32 v2, 0xffff0000, v32
	v_lshlrev_b32_e32 v1, 16, v32
	s_waitcnt vmcnt(0)
	v_fmac_f32_e32 v110, v3, v2
	s_clause 0x1
	buffer_load_dword v2, off, s[48:51], 0 offset:256
	buffer_load_dword v3, off, s[48:51], 0 offset:288
	s_waitcnt vmcnt(1)
	v_fmac_f32_e32 v111, v2, v1
	v_lshlrev_b32_e32 v2, 16, v36
	v_and_b32_e32 v1, 0xffff0000, v36
	s_waitcnt vmcnt(0)
	v_fmac_f32_e32 v111, v3, v2
	s_clause 0x1
	buffer_load_dword v2, off, s[48:51], 0 offset:284
	buffer_load_dword v3, off, s[48:51], 0 offset:316
	s_waitcnt vmcnt(1)
	v_fmac_f32_e32 v110, v2, v1
	v_lshlrev_b32_e32 v1, 16, v28
	v_and_b32_e32 v2, 0xffff0000, v28
	v_fmac_f32_e32 v111, v44, v1
	s_waitcnt vmcnt(0)
	v_fmac_f32_e32 v110, v3, v2
	v_and_b32_e32 v1, 0xffff0000, v24
	v_lshlrev_b32_e32 v2, 16, v24
	v_fmac_f32_e32 v110, v48, v1
	v_fmac_f32_e32 v111, v49, v2
	v_lshlrev_b32_e32 v1, 16, v20
	v_and_b32_e32 v2, 0xffff0000, v20
	v_fmac_f32_e32 v111, v57, v1
	v_fmac_f32_e32 v110, v56, v2
	v_and_b32_e32 v1, 0xffff0000, v16
	v_lshlrev_b32_e32 v2, 16, v16
	v_fmac_f32_e32 v110, v64, v1
	v_fmac_f32_e32 v111, v65, v2
	v_lshlrev_b32_e32 v1, 16, v12
	v_and_b32_e32 v2, 0xffff0000, v12
	v_fmac_f32_e32 v111, v75, v1
	;; [unrolled: 8-line block ×3, first 2 shown]
	v_add_f32_e32 v1, v104, v105
	v_fmac_f32_e32 v110, v93, v2
	v_add_f32_e32 v1, v1, v107
	v_add_f32_e32 v1, v106, v1
	;; [unrolled: 1-line block ×6, first 2 shown]
	v_fmac_f32_e32 v103, s3, v1
	v_cndmask_b32_e64 v1, 0, v103, s1
	ds_write_b32 v98, v1
	v_max_f32_e32 v1, v95, v95
	v_max_f32_e32 v1, v1, v103
	v_cndmask_b32_e64 v95, v95, v1, s1
	s_branch .LBB177_11
.LBB177_16:
	s_or_b32 exec_lo, exec_lo, s15
	s_clause 0x3
	buffer_load_dword v39, off, s[48:51], 0 offset:320
	buffer_load_dword v40, off, s[48:51], 0 offset:324
	buffer_load_dword v10, off, s[48:51], 0 offset:328
	buffer_load_dword v11, off, s[48:51], 0 offset:332
.LBB177_17:
	s_or_b32 exec_lo, exec_lo, s41
	v_mbcnt_lo_u32_b32 v0, -1, 0
	v_max_f32_e32 v4, v95, v95
	v_xor_b32_e32 v1, 16, v0
	v_xor_b32_e32 v3, 8, v0
	v_cmp_gt_i32_e32 vcc_lo, 32, v1
	v_cndmask_b32_e32 v1, v0, v1, vcc_lo
	v_cmp_gt_i32_e32 vcc_lo, 32, v3
	v_lshlrev_b32_e32 v1, 2, v1
	v_cndmask_b32_e32 v3, v0, v3, vcc_lo
	ds_bpermute_b32 v2, v1, v95
	s_waitcnt lgkmcnt(0)
	v_max_f32_e32 v5, v2, v2
	v_lshlrev_b32_e32 v2, 2, v3
	v_max_f32_e32 v3, v4, v5
	v_xor_b32_e32 v5, 4, v0
	ds_bpermute_b32 v4, v2, v3
	v_cmp_gt_i32_e32 vcc_lo, 32, v5
	v_cndmask_b32_e32 v5, v0, v5, vcc_lo
	s_waitcnt lgkmcnt(0)
	v_max_f32_e32 v6, v4, v4
	v_lshlrev_b32_e32 v4, 2, v5
	v_max_f32_e32 v3, v3, v6
	v_xor_b32_e32 v6, 2, v0
	ds_bpermute_b32 v5, v4, v3
	v_cmp_gt_i32_e32 vcc_lo, 32, v6
	v_cndmask_b32_e32 v6, v0, v6, vcc_lo
	v_lshlrev_b32_e32 v80, 2, v6
	v_xor_b32_e32 v6, 1, v0
	v_cmp_gt_i32_e32 vcc_lo, 32, v6
	s_waitcnt lgkmcnt(0)
	v_max_f32_e32 v5, v5, v5
	v_cndmask_b32_e32 v6, v0, v6, vcc_lo
	v_max_f32_e32 v3, v3, v5
	v_lshlrev_b32_e32 v79, 2, v6
	ds_bpermute_b32 v5, v80, v3
	s_waitcnt lgkmcnt(0)
	v_max_f32_e32 v5, v5, v5
	v_max_f32_e32 v0, v3, v5
	buffer_load_dword v5, off, s[48:51], 0  ; 4-byte Folded Reload
	ds_bpermute_b32 v3, v79, v0
	s_waitcnt vmcnt(0)
	v_cmp_eq_u32_e32 vcc_lo, 0, v5
	v_lshlrev_b32_e32 v5, 2, v40
	s_and_saveexec_b32 s1, vcc_lo
	s_cbranch_execz .LBB177_19
; %bb.18:
	s_waitcnt lgkmcnt(0)
	v_max_f32_e32 v3, v3, v3
	v_max_f32_e32 v0, v0, v0
	;; [unrolled: 1-line block ×3, first 2 shown]
	ds_write_b32 v5, v0 offset:256
.LBB177_19:
	s_or_b32 exec_lo, exec_lo, s1
	buffer_load_dword v0, off, s[48:51], 0  ; 4-byte Folded Reload
	s_waitcnt vmcnt(0) lgkmcnt(0)
	s_waitcnt_vscnt null, 0x0
	s_barrier
	buffer_gl0_inv
	v_cmp_gt_u32_e64 s1, 4, v0
	v_mov_b32_e32 v0, 0xff7fffff
	s_and_saveexec_b32 s2, s1
; %bb.20:
	ds_read_b32 v0, v11 offset:256
; %bb.21:
	s_or_b32 exec_lo, exec_lo, s2
	s_waitcnt lgkmcnt(0)
	ds_bpermute_b32 v3, v80, v0
	v_max_f32_e32 v0, v0, v0
	v_mov_b32_e32 v6, 0
	s_sub_i32 s2, s16, s40
	s_lshl_b32 s2, s2, 5
	s_add_i32 s2, s2, s37
	s_min_i32 s2, s2, s27
	s_sub_i32 s4, s2, s37
	v_cmp_gt_i32_e64 s2, s4, v39
	s_waitcnt lgkmcnt(0)
	v_max_f32_e32 v3, v3, v3
	v_max_f32_e32 v0, v0, v3
	ds_bpermute_b32 v3, v79, v0
	s_waitcnt lgkmcnt(0)
	v_max_f32_e32 v3, v3, v3
	v_max_f32_e32 v0, v0, v3
	v_lshl_add_u32 v3, v39, 2, 0x120
	ds_bpermute_b32 v0, v6, v0
	s_and_saveexec_b32 s5, s2
	s_cbranch_execz .LBB177_25
; %bb.22:
	v_lshl_add_u32 v7, v39, 2, 0x120
	v_mov_b32_e32 v6, 0
	v_mov_b32_e32 v8, v39
	s_mov_b32 s15, 0
	.p2align	6
.LBB177_23:                             ; =>This Inner Loop Header: Depth=1
	ds_read_b32 v9, v7
	v_add_nc_u32_e32 v8, 0x80, v8
	v_cmp_le_i32_e64 s3, s4, v8
	s_or_b32 s15, s3, s15
	s_waitcnt lgkmcnt(0)
	v_sub_f32_e32 v9, v9, v0
	v_mul_f32_e32 v9, 0x3fb8aa3b, v9
	v_exp_f32_e32 v9, v9
	ds_write_b32 v7, v9
	v_add_f32_e32 v6, v6, v9
	v_add_nc_u32_e32 v7, 0x200, v7
	s_andn2_b32 exec_lo, exec_lo, s15
	s_cbranch_execnz .LBB177_23
; %bb.24:
	s_or_b32 exec_lo, exec_lo, s15
.LBB177_25:
	s_or_b32 exec_lo, exec_lo, s5
	ds_bpermute_b32 v1, v1, v6
	s_waitcnt lgkmcnt(0)
	v_add_f32_e32 v1, v6, v1
	ds_bpermute_b32 v2, v2, v1
	s_waitcnt lgkmcnt(0)
	v_add_f32_e32 v1, v1, v2
	ds_bpermute_b32 v2, v4, v1
	s_waitcnt lgkmcnt(0)
	v_add_f32_e32 v1, v1, v2
	ds_bpermute_b32 v2, v80, v1
	s_waitcnt lgkmcnt(0)
	v_add_f32_e32 v1, v1, v2
	ds_bpermute_b32 v2, v79, v1
	s_waitcnt lgkmcnt(0)
	v_add_f32_e32 v1, v1, v2
	s_and_saveexec_b32 s3, vcc_lo
; %bb.26:
	ds_write_b32 v5, v1 offset:272
; %bb.27:
	s_or_b32 exec_lo, exec_lo, s3
	s_waitcnt lgkmcnt(0)
	s_barrier
	buffer_gl0_inv
	s_and_saveexec_b32 s3, s1
; %bb.28:
	ds_read_b32 v1, v11 offset:272
; %bb.29:
	s_or_b32 exec_lo, exec_lo, s3
	s_waitcnt lgkmcnt(0)
	ds_bpermute_b32 v2, v80, v1
	s_waitcnt lgkmcnt(0)
	v_add_f32_e32 v1, v1, v2
	ds_bpermute_b32 v2, v79, v1
	s_waitcnt lgkmcnt(0)
	v_add_f32_e32 v1, v1, v2
	v_mov_b32_e32 v2, 0
	ds_bpermute_b32 v1, v2, v1
	s_and_saveexec_b32 s1, s2
	s_cbranch_execz .LBB177_32
; %bb.30:
	s_waitcnt lgkmcnt(0)
	v_add_f32_e32 v2, 0x358637bd, v1
	s_mov_b32 s2, 0
	v_div_scale_f32 v4, null, v2, v2, 1.0
	v_div_scale_f32 v7, vcc_lo, 1.0, v2, 1.0
	v_rcp_f32_e32 v5, v4
	v_fma_f32 v6, -v4, v5, 1.0
	v_fmac_f32_e32 v5, v6, v5
	v_mul_f32_e32 v6, v7, v5
	v_fma_f32 v8, -v4, v6, v7
	v_fmac_f32_e32 v6, v8, v5
	v_fma_f32 v4, -v4, v6, v7
	v_div_fmas_f32 v4, v4, v5, v6
	v_div_fixup_f32 v2, v4, v2, 1.0
	v_mov_b32_e32 v4, v39
.LBB177_31:                             ; =>This Inner Loop Header: Depth=1
	ds_read_b32 v5, v3
	v_add_nc_u32_e32 v4, 0x80, v4
	v_cmp_le_i32_e32 vcc_lo, s4, v4
	s_or_b32 s2, vcc_lo, s2
	s_waitcnt lgkmcnt(0)
	v_mul_f32_e32 v5, v2, v5
	ds_write_b32 v3, v5
	v_add_nc_u32_e32 v3, 0x200, v3
	s_andn2_b32 exec_lo, exec_lo, s2
	s_cbranch_execnz .LBB177_31
.LBB177_32:
	s_or_b32 exec_lo, exec_lo, s1
	s_mul_i32 s1, s7, s26
	s_waitcnt lgkmcnt(0)
	s_mul_i32 s4, s1, s9
	s_mov_b32 s1, exec_lo
	s_barrier
	buffer_gl0_inv
	v_cmpx_eq_u32_e32 0, v39
	s_cbranch_execz .LBB177_34
; %bb.33:
	s_ashr_i32 s5, s4, 31
	s_mul_i32 s40, s7, s6
	s_lshl_b64 s[2:3], s[4:5], 2
	v_mov_b32_e32 v2, 0
	s_add_u32 s5, s22, s2
	s_addc_u32 s6, s23, s3
	s_ashr_i32 s41, s40, 31
	s_lshl_b64 s[22:23], s[40:41], 2
	s_add_u32 s5, s5, s22
	s_addc_u32 s6, s6, s23
	s_ashr_i32 s9, s8, 31
	s_lshl_b64 s[40:41], s[8:9], 2
	s_add_u32 s42, s5, s40
	s_addc_u32 s43, s6, s41
	s_add_u32 s2, s20, s2
	s_addc_u32 s3, s21, s3
	;; [unrolled: 2-line block ×4, first 2 shown]
	global_store_dword v2, v0, s[42:43]
	global_store_dword v2, v1, s[2:3]
.LBB177_34:
	s_or_b32 exec_lo, exec_lo, s1
	v_mov_b32_e32 v97, 0
	v_and_b32_e32 v81, 3, v39
	v_mov_b32_e32 v96, 0
	v_mov_b32_e32 v95, 0
	;; [unrolled: 1-line block ×15, first 2 shown]
	s_and_saveexec_b32 s3, s0
	s_cbranch_execz .LBB177_72
; %bb.35:
	s_ashr_i32 s15, s14, 31
	s_sub_i32 s5, s38, s17
	s_lshl_b64 s[0:1], s[14:15], 1
	v_lshlrev_b32_e32 v2, 3, v39
	s_add_u32 s2, s34, s0
	s_addc_u32 s9, s35, s1
	s_abs_i32 s6, s18
	v_lshlrev_b32_e32 v5, 5, v81
	v_cvt_f32_u32_e32 v3, s6
	s_sub_i32 s0, 0, s6
	v_and_b32_e32 v99, 24, v2
	v_lshlrev_b64 v[0:1], 2, v[73:74]
	v_and_b32_e32 v4, 0x1f0, v10
	v_rcp_iflag_f32_e32 v3, v3
	s_add_i32 s36, s36, -1
	v_lshl_or_b32 v5, v40, 7, v5
	v_mov_b32_e32 v111, v39
	v_add_co_u32 v100, s2, s2, v4
	v_mov_b32_e32 v98, 0
	v_mov_b32_e32 v82, 0
	;; [unrolled: 1-line block ×4, first 2 shown]
	v_mul_f32_e32 v3, 0x4f7ffffe, v3
	v_mov_b32_e32 v85, 0
	v_mov_b32_e32 v86, 0
	;; [unrolled: 1-line block ×4, first 2 shown]
	v_cvt_u32_f32_e32 v3, v3
	v_mov_b32_e32 v89, 0
	v_mov_b32_e32 v90, 0
	;; [unrolled: 1-line block ×4, first 2 shown]
	v_mul_lo_u32 v2, s0, v3
	s_lshl_b64 s[0:1], s[30:31], 2
	v_mov_b32_e32 v93, 0
	s_add_u32 s0, s28, s0
	s_addc_u32 s1, s29, s1
	v_add_co_u32 v74, vcc_lo, s0, v0
	v_mov_b32_e32 v94, 0
	v_mul_hi_u32 v2, v3, v2
	v_mov_b32_e32 v95, 0
	v_mov_b32_e32 v96, 0
	;; [unrolled: 1-line block ×3, first 2 shown]
	v_add_co_ci_u32_e64 v101, null, s9, 0, s2
	v_add_nc_u32_e32 v102, 0x120, v5
	v_add_co_ci_u32_e64 v75, null, s1, v1, vcc_lo
	v_add_nc_u32_e32 v103, v3, v2
	v_mov_b32_e32 v97, 0
	s_mov_b32 s9, s13
	s_mov_b32 s14, s27
	;; [unrolled: 1-line block ×3, first 2 shown]
	s_branch .LBB177_38
.LBB177_36:                             ;   in Loop: Header=BB177_38 Depth=1
	s_or_b32 exec_lo, exec_lo, s2
	s_waitcnt lgkmcnt(1)
	v_bfe_u32 v0, v49, 16, 1
	v_or_b32_e32 v76, 0x400000, v49
	v_bfe_u32 v77, v50, 16, 1
	v_cmp_u_f32_e32 vcc_lo, v49, v49
	v_bfe_u32 v104, v51, 16, 1
	v_add3_u32 v0, v0, v49, 0x7fff
	v_or_b32_e32 v105, 0x400000, v50
	v_add3_u32 v77, v77, v50, 0x7fff
	v_or_b32_e32 v106, 0x400000, v51
	v_add3_u32 v104, v104, v51, 0x7fff
	v_cndmask_b32_e32 v49, v0, v76, vcc_lo
	v_cmp_u_f32_e32 vcc_lo, v50, v50
	v_bfe_u32 v0, v52, 16, 1
	s_waitcnt lgkmcnt(0)
	v_bfe_u32 v76, v45, 16, 1
	v_and_b32_e32 v49, 0xffff0000, v49
	v_cndmask_b32_e32 v50, v77, v105, vcc_lo
	v_cmp_u_f32_e32 vcc_lo, v51, v51
	v_add3_u32 v0, v0, v52, 0x7fff
	v_or_b32_e32 v77, 0x400000, v52
	v_add3_u32 v76, v76, v45, 0x7fff
	v_bfe_u32 v105, v46, 16, 1
	v_cndmask_b32_e32 v51, v104, v106, vcc_lo
	v_cmp_u_f32_e32 vcc_lo, v52, v52
	v_or_b32_e32 v104, 0x400000, v45
	v_cndmask_b32_e32 v52, v0, v77, vcc_lo
	v_cmp_u_f32_e32 vcc_lo, v45, v45
	v_add3_u32 v45, v105, v46, 0x7fff
	v_or_b32_e32 v77, 0x400000, v46
	v_and_b32_e32 v0, 0xffff0000, v50
	s_waitcnt vmcnt(1)
	v_and_b32_e32 v50, 0xffff0000, v69
	v_cndmask_b32_e32 v76, v76, v104, vcc_lo
	v_bfe_u32 v104, v47, 16, 1
	v_cmp_u_f32_e32 vcc_lo, v46, v46
	v_mul_f32_e32 v105, v0, v50
	v_lshlrev_b32_e32 v50, 16, v69
	v_cndmask_b32_e32 v46, v45, v77, vcc_lo
	v_add3_u32 v45, v104, v47, 0x7fff
	v_or_b32_e32 v77, 0x400000, v47
	v_bfe_u32 v104, v48, 16, 1
	v_cmp_u_f32_e32 vcc_lo, v47, v47
	v_mul_f32_e32 v106, v49, v50
	v_and_b32_e32 v50, 0xffff0000, v70
	v_and_b32_e32 v46, 0xffff0000, v46
	v_add3_u32 v47, v104, v48, 0x7fff
	v_cndmask_b32_e32 v69, v45, v77, vcc_lo
	v_or_b32_e32 v77, 0x400000, v48
	v_bfe_u32 v104, v105, 16, 1
	v_and_b32_e32 v45, 0xffff0000, v52
	v_cmp_u_f32_e32 vcc_lo, v48, v48
	v_or_b32_e32 v52, 0x400000, v105
	v_add3_u32 v48, v104, v105, 0x7fff
	v_mul_f32_e32 v104, v45, v50
	v_cndmask_b32_e32 v47, v47, v77, vcc_lo
	v_bfe_u32 v77, v106, 16, 1
	v_and_b32_e32 v50, 0xffff0000, v51
	v_lshlrev_b32_e32 v51, 16, v70
	v_cmp_u_f32_e32 vcc_lo, v105, v105
	v_or_b32_e32 v70, 0x400000, v106
	v_and_b32_e32 v47, 0xffff0000, v47
	v_mul_f32_e32 v105, v50, v51
	v_cndmask_b32_e32 v52, v48, v52, vcc_lo
	v_add3_u32 v48, v77, v106, 0x7fff
	v_bfe_u32 v77, v104, 16, 1
	v_and_b32_e32 v51, 0xffff0000, v71
	v_cmp_u_f32_e32 vcc_lo, v106, v106
	v_bfe_u32 v106, v105, 16, 1
	v_lshlrev_b32_e32 v71, 16, v71
	v_and_b32_e32 v52, 0xffff0000, v52
	v_mul_f32_e32 v107, v46, v51
	v_cndmask_b32_e32 v70, v48, v70, vcc_lo
	v_add3_u32 v48, v77, v104, 0x7fff
	v_or_b32_e32 v77, 0x400000, v104
	v_and_b32_e32 v51, 0xffff0000, v76
	v_cmp_u_f32_e32 vcc_lo, v104, v104
	v_bfe_u32 v104, v107, 16, 1
	v_and_b32_e32 v70, 0xffff0000, v70
	v_mul_f32_e32 v71, v51, v71
	v_cndmask_b32_e32 v76, v48, v77, vcc_lo
	v_add3_u32 v48, v106, v105, 0x7fff
	v_or_b32_e32 v77, 0x400000, v105
	v_cmp_u_f32_e32 vcc_lo, v105, v105
	v_and_b32_e32 v106, 0xffff0000, v72
	v_add3_u32 v104, v104, v107, 0x7fff
	v_bfe_u32 v105, v71, 16, 1
	v_or_b32_e32 v108, 0x400000, v71
	v_cndmask_b32_e32 v77, v48, v77, vcc_lo
	v_and_b32_e32 v48, 0xffff0000, v69
	v_lshlrev_b32_e32 v69, 16, v72
	v_or_b32_e32 v72, 0x400000, v107
	v_cmp_u_f32_e32 vcc_lo, v107, v107
	v_add3_u32 v105, v105, v71, 0x7fff
	v_mul_f32_e32 v106, v47, v106
	v_mul_f32_e32 v69, v48, v69
	v_and_b32_e32 v77, 0xffff0000, v77
	v_cndmask_b32_e32 v72, v104, v72, vcc_lo
	v_cmp_u_f32_e32 vcc_lo, v71, v71
	v_bfe_u32 v109, v106, 16, 1
	v_and_b32_e32 v76, 0xffff0000, v76
	v_or_b32_e32 v107, 0x400000, v106
	v_add_f32_e32 v52, v70, v52
	v_cndmask_b32_e32 v71, v105, v108, vcc_lo
	v_bfe_u32 v105, v69, 16, 1
	v_or_b32_e32 v108, 0x400000, v69
	v_cmp_u_f32_e32 vcc_lo, v69, v69
	v_add3_u32 v104, v109, v106, 0x7fff
	v_add_f32_e32 v70, v77, v76
	v_add3_u32 v105, v105, v69, 0x7fff
	v_and_b32_e32 v71, 0xffff0000, v71
	v_and_b32_e32 v72, 0xffff0000, v72
	v_add_f32_e32 v52, v70, v52
	v_cndmask_b32_e32 v69, v105, v108, vcc_lo
	v_cmp_u_f32_e32 vcc_lo, v106, v106
	v_add_f32_e32 v70, v71, v72
	v_and_b32_e32 v71, 0xffff0000, v65
	v_lshlrev_b32_e32 v65, 16, v65
	v_and_b32_e32 v69, 0xffff0000, v69
	v_cndmask_b32_e32 v76, v104, v107, vcc_lo
	v_add_f32_e32 v52, v70, v52
	v_mul_f32_e32 v71, v0, v71
	v_mul_f32_e32 v65, v49, v65
	v_and_b32_e32 v70, 0xffff0000, v66
	v_and_b32_e32 v72, 0xffff0000, v76
	v_lshlrev_b32_e32 v66, 16, v66
	v_cmp_u_f32_e32 vcc_lo, v71, v71
	v_bfe_u32 v76, v65, 16, 1
	v_or_b32_e32 v77, 0x400000, v65
	v_add_f32_e32 v69, v69, v72
	v_bfe_u32 v72, v71, 16, 1
	v_mul_f32_e32 v66, v50, v66
	v_add3_u32 v76, v76, v65, 0x7fff
	v_add_f32_e32 v52, v69, v52
	v_mul_f32_e32 v69, v45, v70
	v_add3_u32 v70, v72, v71, 0x7fff
	v_or_b32_e32 v72, 0x400000, v71
	v_add_f32_e32 v83, v83, v52
	v_bfe_u32 v104, v69, 16, 1
	v_cndmask_b32_e32 v70, v70, v72, vcc_lo
	v_cmp_u_f32_e32 vcc_lo, v65, v65
	v_or_b32_e32 v72, 0x400000, v69
	v_add3_u32 v71, v104, v69, 0x7fff
	v_and_b32_e32 v70, 0xffff0000, v70
	v_cndmask_b32_e32 v65, v76, v77, vcc_lo
	v_and_b32_e32 v76, 0xffff0000, v67
	v_cmp_u_f32_e32 vcc_lo, v69, v69
	v_lshlrev_b32_e32 v67, 16, v67
	v_bfe_u32 v77, v66, 16, 1
	v_and_b32_e32 v65, 0xffff0000, v65
	v_cndmask_b32_e32 v69, v71, v72, vcc_lo
	v_mul_f32_e32 v71, v46, v76
	v_mul_f32_e32 v67, v51, v67
	v_add3_u32 v72, v77, v66, 0x7fff
	v_or_b32_e32 v76, 0x400000, v66
	v_and_b32_e32 v77, 0xffff0000, v68
	v_bfe_u32 v104, v71, 16, 1
	v_cmp_u_f32_e32 vcc_lo, v66, v66
	v_bfe_u32 v105, v67, 16, 1
	v_lshlrev_b32_e32 v68, 16, v68
	v_and_b32_e32 v69, 0xffff0000, v69
	v_add_f32_e32 v65, v65, v70
	v_cndmask_b32_e32 v66, v72, v76, vcc_lo
	v_mul_f32_e32 v72, v47, v77
	v_add3_u32 v76, v104, v71, 0x7fff
	v_or_b32_e32 v77, 0x400000, v71
	v_cmp_u_f32_e32 vcc_lo, v71, v71
	v_add3_u32 v104, v105, v67, 0x7fff
	v_or_b32_e32 v105, 0x400000, v67
	v_bfe_u32 v106, v72, 16, 1
	v_and_b32_e32 v66, 0xffff0000, v66
	v_cndmask_b32_e32 v71, v76, v77, vcc_lo
	v_cmp_u_f32_e32 vcc_lo, v67, v67
	v_or_b32_e32 v77, 0x400000, v72
	v_add3_u32 v76, v106, v72, 0x7fff
	v_mul_f32_e32 v68, v48, v68
	v_add_f32_e32 v66, v66, v69
	v_cndmask_b32_e32 v67, v104, v105, vcc_lo
	v_cmp_u_f32_e32 vcc_lo, v72, v72
	v_and_b32_e32 v69, 0xffff0000, v61
	v_and_b32_e32 v70, 0xffff0000, v71
	v_add_f32_e32 v65, v66, v65
	v_and_b32_e32 v67, 0xffff0000, v67
	v_cndmask_b32_e32 v72, v76, v77, vcc_lo
	v_bfe_u32 v76, v68, 16, 1
	v_mul_f32_e32 v66, v0, v69
	v_lshlrev_b32_e32 v61, 16, v61
	v_add_f32_e32 v67, v67, v70
	v_cmp_u_f32_e32 vcc_lo, v68, v68
	v_add3_u32 v71, v76, v68, 0x7fff
	v_or_b32_e32 v76, 0x400000, v68
	v_bfe_u32 v69, v66, 16, 1
	v_add_f32_e32 v65, v67, v65
	v_mul_f32_e32 v61, v49, v61
	v_and_b32_e32 v67, 0xffff0000, v62
	v_cndmask_b32_e32 v68, v71, v76, vcc_lo
	v_add3_u32 v69, v69, v66, 0x7fff
	v_or_b32_e32 v70, 0x400000, v66
	v_bfe_u32 v71, v61, 16, 1
	v_mul_f32_e32 v67, v45, v67
	v_lshlrev_b32_e32 v62, 16, v62
	v_cmp_u_f32_e32 vcc_lo, v66, v66
	v_and_b32_e32 v76, 0xffff0000, v63
	v_lshlrev_b32_e32 v63, 16, v63
	v_and_b32_e32 v77, 0xffff0000, v64
	v_mul_f32_e32 v62, v50, v62
	v_cndmask_b32_e32 v66, v69, v70, vcc_lo
	v_add3_u32 v69, v71, v61, 0x7fff
	v_or_b32_e32 v70, 0x400000, v61
	v_bfe_u32 v71, v67, 16, 1
	v_cmp_u_f32_e32 vcc_lo, v61, v61
	v_mul_f32_e32 v76, v46, v76
	v_mul_f32_e32 v63, v51, v63
	v_lshlrev_b32_e32 v64, 16, v64
	v_and_b32_e32 v66, 0xffff0000, v66
	v_cndmask_b32_e32 v61, v69, v70, vcc_lo
	v_add3_u32 v69, v71, v67, 0x7fff
	v_or_b32_e32 v70, 0x400000, v67
	v_bfe_u32 v71, v62, 16, 1
	v_cmp_u_f32_e32 vcc_lo, v67, v67
	v_mul_f32_e32 v64, v48, v64
	v_or_b32_e32 v104, 0x400000, v63
	v_and_b32_e32 v61, 0xffff0000, v61
	v_and_b32_e32 v68, 0xffff0000, v68
	v_cndmask_b32_e32 v67, v69, v70, vcc_lo
	v_add3_u32 v69, v71, v62, 0x7fff
	v_or_b32_e32 v70, 0x400000, v62
	v_bfe_u32 v71, v76, 16, 1
	v_cmp_u_f32_e32 vcc_lo, v62, v62
	v_bfe_u32 v106, v64, 16, 1
	v_and_b32_e32 v67, 0xffff0000, v67
	v_add_f32_e32 v61, v61, v66
	v_cndmask_b32_e32 v62, v69, v70, vcc_lo
	v_bfe_u32 v69, v63, 16, 1
	v_add3_u32 v70, v71, v76, 0x7fff
	v_mul_f32_e32 v71, v47, v77
	v_or_b32_e32 v77, 0x400000, v76
	v_cmp_u_f32_e32 vcc_lo, v76, v76
	v_add3_u32 v69, v69, v63, 0x7fff
	v_add3_u32 v76, v106, v64, 0x7fff
	v_bfe_u32 v105, v71, 16, 1
	v_and_b32_e32 v62, 0xffff0000, v62
	v_cndmask_b32_e32 v70, v70, v77, vcc_lo
	v_cmp_u_f32_e32 vcc_lo, v63, v63
	v_or_b32_e32 v77, 0x400000, v64
	v_add_f32_e32 v62, v62, v67
	v_and_b32_e32 v66, 0xffff0000, v70
	v_cndmask_b32_e32 v63, v69, v104, vcc_lo
	v_cmp_u_f32_e32 vcc_lo, v64, v64
	v_add3_u32 v69, v105, v71, 0x7fff
	v_or_b32_e32 v104, 0x400000, v71
	v_add_f32_e32 v61, v62, v61
	v_and_b32_e32 v63, 0xffff0000, v63
	v_cndmask_b32_e32 v64, v76, v77, vcc_lo
	v_cmp_u_f32_e32 vcc_lo, v71, v71
	v_add_f32_e32 v62, v63, v66
	v_and_b32_e32 v63, 0xffff0000, v64
	v_cndmask_b32_e32 v67, v69, v104, vcc_lo
	v_and_b32_e32 v69, 0xffff0000, v72
	v_and_b32_e32 v66, 0xffff0000, v57
	v_lshlrev_b32_e32 v57, 16, v57
	v_add_f32_e32 v61, v62, v61
	v_and_b32_e32 v64, 0xffff0000, v67
	v_add_f32_e32 v67, v68, v69
	v_mul_f32_e32 v57, v49, v57
	v_add_f32_e32 v62, v63, v64
	v_mul_f32_e32 v63, v0, v66
	v_add_f32_e32 v64, v67, v65
	v_or_b32_e32 v65, 0x400000, v57
	v_and_b32_e32 v66, 0xffff0000, v60
	v_add_f32_e32 v52, v62, v61
	v_bfe_u32 v61, v63, 16, 1
	v_add_f32_e32 v84, v84, v64
	v_bfe_u32 v62, v57, 16, 1
	v_and_b32_e32 v64, 0xffff0000, v58
	v_add_f32_e32 v85, v85, v52
	v_add3_u32 v52, v61, v63, 0x7fff
	v_or_b32_e32 v61, 0x400000, v63
	v_cmp_u_f32_e32 vcc_lo, v63, v63
	v_add3_u32 v62, v62, v57, 0x7fff
	v_mul_f32_e32 v64, v45, v64
	v_lshlrev_b32_e32 v58, 16, v58
	v_lshlrev_b32_e32 v60, 16, v60
	v_cndmask_b32_e32 v52, v52, v61, vcc_lo
	v_cmp_u_f32_e32 vcc_lo, v57, v57
	v_bfe_u32 v61, v64, 16, 1
	v_mul_f32_e32 v58, v50, v58
	v_or_b32_e32 v63, 0x400000, v64
	v_mul_f32_e32 v60, v48, v60
	v_cndmask_b32_e32 v57, v62, v65, vcc_lo
	v_and_b32_e32 v62, 0xffff0000, v59
	v_add3_u32 v61, v61, v64, 0x7fff
	v_lshlrev_b32_e32 v59, 16, v59
	v_bfe_u32 v65, v58, 16, 1
	v_cmp_u_f32_e32 vcc_lo, v64, v64
	v_mul_f32_e32 v62, v46, v62
	v_or_b32_e32 v64, 0x400000, v58
	v_mul_f32_e32 v59, v51, v59
	v_and_b32_e32 v57, 0xffff0000, v57
	v_cndmask_b32_e32 v61, v61, v63, vcc_lo
	v_add3_u32 v63, v65, v58, 0x7fff
	v_bfe_u32 v65, v62, 16, 1
	v_cmp_u_f32_e32 vcc_lo, v58, v58
	v_bfe_u32 v67, v59, 16, 1
	v_and_b32_e32 v52, 0xffff0000, v52
	v_and_b32_e32 v61, 0xffff0000, v61
	v_cndmask_b32_e32 v58, v63, v64, vcc_lo
	v_add3_u32 v63, v65, v62, 0x7fff
	v_mul_f32_e32 v64, v47, v66
	v_or_b32_e32 v65, 0x400000, v62
	v_cmp_u_f32_e32 vcc_lo, v62, v62
	v_add3_u32 v66, v67, v59, 0x7fff
	v_or_b32_e32 v67, 0x400000, v59
	v_bfe_u32 v68, v64, 16, 1
	v_and_b32_e32 v58, 0xffff0000, v58
	v_cndmask_b32_e32 v62, v63, v65, vcc_lo
	v_cmp_u_f32_e32 vcc_lo, v59, v59
	v_or_b32_e32 v65, 0x400000, v64
	v_add3_u32 v63, v68, v64, 0x7fff
	v_add_f32_e32 v52, v57, v52
	v_add_f32_e32 v57, v58, v61
	v_cndmask_b32_e32 v59, v66, v67, vcc_lo
	v_bfe_u32 v66, v60, 16, 1
	v_cmp_u_f32_e32 vcc_lo, v64, v64
	v_and_b32_e32 v61, 0xffff0000, v62
	v_add_f32_e32 v52, v57, v52
	v_and_b32_e32 v58, 0xffff0000, v59
	v_add3_u32 v64, v66, v60, 0x7fff
	v_cndmask_b32_e32 v63, v63, v65, vcc_lo
	v_or_b32_e32 v65, 0x400000, v60
	v_and_b32_e32 v59, 0xffff0000, v53
	v_cmp_u_f32_e32 vcc_lo, v60, v60
	v_add_f32_e32 v58, v58, v61
	v_lshlrev_b32_e32 v53, 16, v53
	v_mul_f32_e32 v57, v0, v59
	v_cndmask_b32_e32 v60, v64, v65, vcc_lo
	v_add_f32_e32 v52, v58, v52
	v_mul_f32_e32 v53, v49, v53
	v_and_b32_e32 v58, 0xffff0000, v54
	v_bfe_u32 v61, v57, 16, 1
	v_and_b32_e32 v59, 0xffff0000, v60
	v_and_b32_e32 v60, 0xffff0000, v63
	v_bfe_u32 v62, v53, 16, 1
	v_mul_f32_e32 v58, v45, v58
	v_lshlrev_b32_e32 v54, 16, v54
	v_cmp_u_f32_e32 vcc_lo, v57, v57
	v_add_f32_e32 v59, v59, v60
	v_add3_u32 v60, v61, v57, 0x7fff
	v_or_b32_e32 v61, 0x400000, v57
	v_mul_f32_e32 v54, v50, v54
	v_and_b32_e32 v63, 0xffff0000, v55
	v_lshlrev_b32_e32 v55, 16, v55
	v_and_b32_e32 v64, 0xffff0000, v56
	v_cndmask_b32_e32 v57, v60, v61, vcc_lo
	v_add3_u32 v60, v62, v53, 0x7fff
	v_or_b32_e32 v61, 0x400000, v53
	v_bfe_u32 v62, v58, 16, 1
	v_cmp_u_f32_e32 vcc_lo, v53, v53
	v_mul_f32_e32 v63, v46, v63
	v_mul_f32_e32 v55, v51, v55
	v_lshlrev_b32_e32 v56, 16, v56
	v_and_b32_e32 v57, 0xffff0000, v57
	v_cndmask_b32_e32 v53, v60, v61, vcc_lo
	v_add3_u32 v60, v62, v58, 0x7fff
	v_or_b32_e32 v61, 0x400000, v58
	v_bfe_u32 v62, v54, 16, 1
	v_cmp_u_f32_e32 vcc_lo, v58, v58
	v_mul_f32_e32 v56, v48, v56
	v_or_b32_e32 v65, 0x400000, v55
	v_and_b32_e32 v53, 0xffff0000, v53
	v_add_f32_e32 v52, v59, v52
	v_cndmask_b32_e32 v58, v60, v61, vcc_lo
	v_add3_u32 v60, v62, v54, 0x7fff
	v_or_b32_e32 v61, 0x400000, v54
	v_bfe_u32 v62, v63, 16, 1
	v_cmp_u_f32_e32 vcc_lo, v54, v54
	v_and_b32_e32 v58, 0xffff0000, v58
	v_add_f32_e32 v53, v53, v57
	v_add_f32_e32 v86, v86, v52
	v_cndmask_b32_e32 v54, v60, v61, vcc_lo
	v_bfe_u32 v60, v55, 16, 1
	v_add3_u32 v61, v62, v63, 0x7fff
	v_mul_f32_e32 v62, v47, v64
	v_or_b32_e32 v64, 0x400000, v63
	v_cmp_u_f32_e32 vcc_lo, v63, v63
	v_add3_u32 v60, v60, v55, 0x7fff
	v_bfe_u32 v63, v56, 16, 1
	v_bfe_u32 v66, v62, 16, 1
	v_and_b32_e32 v54, 0xffff0000, v54
	v_cndmask_b32_e32 v61, v61, v64, vcc_lo
	v_cmp_u_f32_e32 vcc_lo, v55, v55
	v_add3_u32 v63, v63, v56, 0x7fff
	v_or_b32_e32 v64, 0x400000, v62
	v_add_f32_e32 v54, v54, v58
	v_and_b32_e32 v57, 0xffff0000, v61
	v_cndmask_b32_e32 v55, v60, v65, vcc_lo
	v_or_b32_e32 v65, 0x400000, v56
	v_cmp_u_f32_e32 vcc_lo, v56, v56
	v_add3_u32 v60, v66, v62, 0x7fff
	v_add_f32_e32 v53, v54, v53
	v_and_b32_e32 v55, 0xffff0000, v55
	v_cndmask_b32_e32 v56, v63, v65, vcc_lo
	v_cmp_u_f32_e32 vcc_lo, v62, v62
	v_add_f32_e32 v54, v55, v57
	v_and_b32_e32 v55, 0xffff0000, v41
	v_and_b32_e32 v56, 0xffff0000, v56
	v_cndmask_b32_e32 v58, v60, v64, vcc_lo
	v_lshlrev_b32_e32 v41, 16, v41
	v_add_f32_e32 v53, v54, v53
	v_mul_f32_e32 v55, v0, v55
	v_and_b32_e32 v57, 0xffff0000, v58
	v_mul_f32_e32 v41, v49, v41
	v_cmp_u_f32_e32 vcc_lo, v55, v55
	v_add_f32_e32 v54, v56, v57
	v_and_b32_e32 v56, 0xffff0000, v42
	v_bfe_u32 v57, v55, 16, 1
	v_bfe_u32 v52, v41, 16, 1
	v_lshlrev_b32_e32 v42, 16, v42
	v_add_f32_e32 v53, v54, v53
	v_mul_f32_e32 v54, v45, v56
	v_add3_u32 v56, v57, v55, 0x7fff
	v_or_b32_e32 v57, 0x400000, v55
	v_add3_u32 v52, v52, v41, 0x7fff
	v_or_b32_e32 v58, 0x400000, v41
	v_bfe_u32 v59, v54, 16, 1
	v_mul_f32_e32 v42, v50, v42
	v_cndmask_b32_e32 v55, v56, v57, vcc_lo
	v_cmp_u_f32_e32 vcc_lo, v41, v41
	v_and_b32_e32 v57, 0xffff0000, v43
	v_or_b32_e32 v56, 0x400000, v54
	v_lshlrev_b32_e32 v43, 16, v43
	v_and_b32_e32 v55, 0xffff0000, v55
	v_cndmask_b32_e32 v41, v52, v58, vcc_lo
	v_add3_u32 v52, v59, v54, 0x7fff
	v_bfe_u32 v58, v42, 16, 1
	v_cmp_u_f32_e32 vcc_lo, v54, v54
	v_mul_f32_e32 v54, v46, v57
	v_mul_f32_e32 v43, v51, v43
	v_or_b32_e32 v57, 0x400000, v42
	v_and_b32_e32 v41, 0xffff0000, v41
	v_cndmask_b32_e32 v52, v52, v56, vcc_lo
	v_add3_u32 v56, v58, v42, 0x7fff
	v_and_b32_e32 v58, 0xffff0000, v44
	v_bfe_u32 v59, v54, 16, 1
	v_cmp_u_f32_e32 vcc_lo, v42, v42
	v_bfe_u32 v60, v43, 16, 1
	v_lshlrev_b32_e32 v44, 16, v44
	v_and_b32_e32 v52, 0xffff0000, v52
	v_add_f32_e32 v41, v41, v55
	v_cndmask_b32_e32 v42, v56, v57, vcc_lo
	v_mul_f32_e32 v56, v47, v58
	v_add3_u32 v57, v59, v54, 0x7fff
	v_or_b32_e32 v58, 0x400000, v54
	v_cmp_u_f32_e32 vcc_lo, v54, v54
	v_add3_u32 v59, v60, v43, 0x7fff
	v_or_b32_e32 v60, 0x400000, v43
	v_bfe_u32 v61, v56, 16, 1
	v_and_b32_e32 v42, 0xffff0000, v42
	v_cndmask_b32_e32 v54, v57, v58, vcc_lo
	v_cmp_u_f32_e32 vcc_lo, v43, v43
	v_or_b32_e32 v58, 0x400000, v56
	v_add3_u32 v57, v61, v56, 0x7fff
	v_mul_f32_e32 v44, v48, v44
	v_add_f32_e32 v42, v42, v52
	v_cndmask_b32_e32 v43, v59, v60, vcc_lo
	v_cmp_u_f32_e32 vcc_lo, v56, v56
	v_and_b32_e32 v52, 0xffff0000, v37
	v_and_b32_e32 v54, 0xffff0000, v54
	v_add_f32_e32 v41, v42, v41
	v_and_b32_e32 v43, 0xffff0000, v43
	v_cndmask_b32_e32 v56, v57, v58, vcc_lo
	v_bfe_u32 v57, v44, 16, 1
	v_mul_f32_e32 v42, v0, v52
	v_lshlrev_b32_e32 v37, 16, v37
	v_add_f32_e32 v43, v43, v54
	v_cmp_u_f32_e32 vcc_lo, v44, v44
	v_add3_u32 v55, v57, v44, 0x7fff
	v_or_b32_e32 v57, 0x400000, v44
	v_bfe_u32 v52, v42, 16, 1
	v_add_f32_e32 v41, v43, v41
	v_mul_f32_e32 v37, v49, v37
	v_and_b32_e32 v43, 0xffff0000, v38
	v_cndmask_b32_e32 v44, v55, v57, vcc_lo
	v_add3_u32 v52, v52, v42, 0x7fff
	v_or_b32_e32 v54, 0x400000, v42
	v_bfe_u32 v55, v37, 16, 1
	v_mul_f32_e32 v43, v45, v43
	v_lshlrev_b32_e32 v38, 16, v38
	v_cmp_u_f32_e32 vcc_lo, v42, v42
	v_and_b32_e32 v57, 0xffff0000, v39
	v_lshlrev_b32_e32 v39, 16, v39
	v_and_b32_e32 v58, 0xffff0000, v40
	v_mul_f32_e32 v38, v50, v38
	v_cndmask_b32_e32 v42, v52, v54, vcc_lo
	v_add3_u32 v52, v55, v37, 0x7fff
	v_or_b32_e32 v54, 0x400000, v37
	v_bfe_u32 v55, v43, 16, 1
	v_cmp_u_f32_e32 vcc_lo, v37, v37
	v_mul_f32_e32 v57, v46, v57
	v_mul_f32_e32 v39, v51, v39
	v_lshlrev_b32_e32 v40, 16, v40
	v_and_b32_e32 v42, 0xffff0000, v42
	v_cndmask_b32_e32 v37, v52, v54, vcc_lo
	v_add3_u32 v52, v55, v43, 0x7fff
	v_or_b32_e32 v54, 0x400000, v43
	v_bfe_u32 v55, v38, 16, 1
	v_cmp_u_f32_e32 vcc_lo, v43, v43
	v_mul_f32_e32 v40, v48, v40
	v_or_b32_e32 v59, 0x400000, v39
	v_and_b32_e32 v37, 0xffff0000, v37
	v_and_b32_e32 v44, 0xffff0000, v44
	v_cndmask_b32_e32 v43, v52, v54, vcc_lo
	v_add3_u32 v52, v55, v38, 0x7fff
	v_or_b32_e32 v54, 0x400000, v38
	v_bfe_u32 v55, v57, 16, 1
	v_cmp_u_f32_e32 vcc_lo, v38, v38
	v_bfe_u32 v61, v40, 16, 1
	v_and_b32_e32 v43, 0xffff0000, v43
	v_add_f32_e32 v37, v37, v42
	v_add_f32_e32 v87, v87, v53
	v_cndmask_b32_e32 v38, v52, v54, vcc_lo
	v_bfe_u32 v52, v39, 16, 1
	v_add3_u32 v54, v55, v57, 0x7fff
	v_mul_f32_e32 v55, v47, v58
	v_or_b32_e32 v58, 0x400000, v57
	v_cmp_u_f32_e32 vcc_lo, v57, v57
	v_add3_u32 v52, v52, v39, 0x7fff
	v_add3_u32 v57, v61, v40, 0x7fff
	v_bfe_u32 v60, v55, 16, 1
	v_and_b32_e32 v38, 0xffff0000, v38
	v_cndmask_b32_e32 v54, v54, v58, vcc_lo
	v_cmp_u_f32_e32 vcc_lo, v39, v39
	v_or_b32_e32 v58, 0x400000, v40
	v_add_f32_e32 v38, v38, v43
	v_and_b32_e32 v42, 0xffff0000, v54
	v_cndmask_b32_e32 v39, v52, v59, vcc_lo
	v_cmp_u_f32_e32 vcc_lo, v40, v40
	v_add3_u32 v52, v60, v55, 0x7fff
	v_or_b32_e32 v59, 0x400000, v55
	v_add_f32_e32 v37, v38, v37
	v_and_b32_e32 v39, 0xffff0000, v39
	v_cndmask_b32_e32 v40, v57, v58, vcc_lo
	v_cmp_u_f32_e32 vcc_lo, v55, v55
	v_add_f32_e32 v38, v39, v42
	v_and_b32_e32 v39, 0xffff0000, v40
	v_cndmask_b32_e32 v43, v52, v59, vcc_lo
	v_and_b32_e32 v52, 0xffff0000, v56
	v_and_b32_e32 v42, 0xffff0000, v33
	v_lshlrev_b32_e32 v33, 16, v33
	v_add_f32_e32 v37, v38, v37
	v_and_b32_e32 v40, 0xffff0000, v43
	v_add_f32_e32 v43, v44, v52
	v_mul_f32_e32 v33, v49, v33
	v_add_f32_e32 v38, v39, v40
	v_mul_f32_e32 v39, v0, v42
	v_add_f32_e32 v40, v43, v41
	v_and_b32_e32 v41, 0xffff0000, v34
	v_lshlrev_b32_e32 v34, 16, v34
	v_add_f32_e32 v37, v38, v37
	v_bfe_u32 v38, v39, 16, 1
	v_add_f32_e32 v88, v88, v40
	v_bfe_u32 v40, v33, 16, 1
	v_mul_f32_e32 v41, v45, v41
	v_add_f32_e32 v89, v89, v37
	v_add3_u32 v37, v38, v39, 0x7fff
	v_or_b32_e32 v38, 0x400000, v39
	v_cmp_u_f32_e32 vcc_lo, v39, v39
	v_add3_u32 v40, v40, v33, 0x7fff
	v_or_b32_e32 v42, 0x400000, v33
	v_mul_f32_e32 v34, v50, v34
	v_and_b32_e32 v39, 0xffff0000, v35
	v_cndmask_b32_e32 v37, v37, v38, vcc_lo
	v_bfe_u32 v38, v41, 16, 1
	v_cmp_u_f32_e32 vcc_lo, v33, v33
	v_lshlrev_b32_e32 v35, 16, v35
	v_mul_f32_e32 v39, v46, v39
	v_and_b32_e32 v43, 0xffff0000, v36
	v_add3_u32 v38, v38, v41, 0x7fff
	v_cndmask_b32_e32 v33, v40, v42, vcc_lo
	v_or_b32_e32 v40, 0x400000, v41
	v_bfe_u32 v42, v34, 16, 1
	v_cmp_u_f32_e32 vcc_lo, v41, v41
	v_mul_f32_e32 v35, v51, v35
	v_or_b32_e32 v41, 0x400000, v34
	v_lshlrev_b32_e32 v36, 16, v36
	v_and_b32_e32 v33, 0xffff0000, v33
	v_cndmask_b32_e32 v38, v38, v40, vcc_lo
	v_add3_u32 v40, v42, v34, 0x7fff
	v_bfe_u32 v42, v39, 16, 1
	v_cmp_u_f32_e32 vcc_lo, v34, v34
	v_bfe_u32 v44, v35, 16, 1
	v_mul_f32_e32 v36, v48, v36
	v_and_b32_e32 v37, 0xffff0000, v37
	v_and_b32_e32 v38, 0xffff0000, v38
	v_cndmask_b32_e32 v34, v40, v41, vcc_lo
	v_add3_u32 v40, v42, v39, 0x7fff
	v_mul_f32_e32 v41, v47, v43
	v_or_b32_e32 v42, 0x400000, v39
	v_cmp_u_f32_e32 vcc_lo, v39, v39
	v_add3_u32 v43, v44, v35, 0x7fff
	v_or_b32_e32 v44, 0x400000, v35
	v_bfe_u32 v52, v41, 16, 1
	v_and_b32_e32 v34, 0xffff0000, v34
	v_cndmask_b32_e32 v39, v40, v42, vcc_lo
	v_cmp_u_f32_e32 vcc_lo, v35, v35
	v_or_b32_e32 v42, 0x400000, v41
	v_add3_u32 v40, v52, v41, 0x7fff
	v_add_f32_e32 v33, v33, v37
	v_add_f32_e32 v34, v34, v38
	v_cndmask_b32_e32 v35, v43, v44, vcc_lo
	v_bfe_u32 v43, v36, 16, 1
	v_cmp_u_f32_e32 vcc_lo, v41, v41
	v_and_b32_e32 v37, 0xffff0000, v29
	v_and_b32_e32 v38, 0xffff0000, v39
	;; [unrolled: 1-line block ×3, first 2 shown]
	v_add3_u32 v41, v43, v36, 0x7fff
	v_cndmask_b32_e32 v40, v40, v42, vcc_lo
	v_or_b32_e32 v42, 0x400000, v36
	v_cmp_u_f32_e32 vcc_lo, v36, v36
	v_add_f32_e32 v33, v34, v33
	v_mul_f32_e32 v34, v0, v37
	v_add_f32_e32 v35, v35, v38
	v_lshlrev_b32_e32 v29, 16, v29
	v_cndmask_b32_e32 v36, v41, v42, vcc_lo
	v_and_b32_e32 v37, 0xffff0000, v40
	v_bfe_u32 v38, v34, 16, 1
	v_add_f32_e32 v33, v35, v33
	v_mul_f32_e32 v29, v49, v29
	v_and_b32_e32 v36, 0xffff0000, v36
	v_and_b32_e32 v35, 0xffff0000, v30
	v_lshlrev_b32_e32 v30, 16, v30
	v_cmp_u_f32_e32 vcc_lo, v34, v34
	v_bfe_u32 v39, v29, 16, 1
	v_add_f32_e32 v36, v36, v37
	v_add3_u32 v37, v38, v34, 0x7fff
	v_or_b32_e32 v38, 0x400000, v34
	v_mul_f32_e32 v35, v45, v35
	v_mul_f32_e32 v30, v50, v30
	v_and_b32_e32 v40, 0xffff0000, v31
	v_lshlrev_b32_e32 v31, 16, v31
	v_cndmask_b32_e32 v34, v37, v38, vcc_lo
	v_add3_u32 v37, v39, v29, 0x7fff
	v_or_b32_e32 v38, 0x400000, v29
	v_bfe_u32 v39, v35, 16, 1
	v_cmp_u_f32_e32 vcc_lo, v29, v29
	v_mul_f32_e32 v40, v46, v40
	v_mul_f32_e32 v31, v51, v31
	v_and_b32_e32 v41, 0xffff0000, v32
	v_lshlrev_b32_e32 v32, 16, v32
	v_cndmask_b32_e32 v29, v37, v38, vcc_lo
	v_add3_u32 v37, v39, v35, 0x7fff
	v_or_b32_e32 v38, 0x400000, v35
	v_bfe_u32 v39, v30, 16, 1
	v_cmp_u_f32_e32 vcc_lo, v35, v35
	v_mul_f32_e32 v32, v48, v32
	v_or_b32_e32 v42, 0x400000, v31
	v_and_b32_e32 v29, 0xffff0000, v29
	v_and_b32_e32 v34, 0xffff0000, v34
	v_cndmask_b32_e32 v35, v37, v38, vcc_lo
	v_add3_u32 v37, v39, v30, 0x7fff
	v_or_b32_e32 v38, 0x400000, v30
	v_bfe_u32 v39, v40, 16, 1
	v_cmp_u_f32_e32 vcc_lo, v30, v30
	v_and_b32_e32 v35, 0xffff0000, v35
	v_add_f32_e32 v29, v29, v34
	v_add_f32_e32 v33, v36, v33
	v_cndmask_b32_e32 v30, v37, v38, vcc_lo
	v_bfe_u32 v37, v31, 16, 1
	v_add3_u32 v38, v39, v40, 0x7fff
	v_mul_f32_e32 v39, v47, v41
	v_or_b32_e32 v41, 0x400000, v40
	v_cmp_u_f32_e32 vcc_lo, v40, v40
	v_add3_u32 v37, v37, v31, 0x7fff
	v_bfe_u32 v40, v32, 16, 1
	v_bfe_u32 v43, v39, 16, 1
	v_and_b32_e32 v30, 0xffff0000, v30
	v_cndmask_b32_e32 v38, v38, v41, vcc_lo
	v_cmp_u_f32_e32 vcc_lo, v31, v31
	v_add3_u32 v40, v40, v32, 0x7fff
	v_or_b32_e32 v41, 0x400000, v39
	v_add_f32_e32 v30, v30, v35
	v_and_b32_e32 v34, 0xffff0000, v38
	v_cndmask_b32_e32 v31, v37, v42, vcc_lo
	v_or_b32_e32 v42, 0x400000, v32
	v_cmp_u_f32_e32 vcc_lo, v32, v32
	v_add3_u32 v37, v43, v39, 0x7fff
	v_add_f32_e32 v29, v30, v29
	v_and_b32_e32 v31, 0xffff0000, v31
	v_add_f32_e32 v90, v90, v33
	v_cndmask_b32_e32 v32, v40, v42, vcc_lo
	v_cmp_u_f32_e32 vcc_lo, v39, v39
	v_add_f32_e32 v30, v31, v34
	v_and_b32_e32 v31, 0xffff0000, v25
	v_and_b32_e32 v32, 0xffff0000, v32
	v_cndmask_b32_e32 v35, v37, v41, vcc_lo
	v_lshlrev_b32_e32 v25, 16, v25
	v_add_f32_e32 v29, v30, v29
	v_mul_f32_e32 v31, v0, v31
	v_and_b32_e32 v34, 0xffff0000, v35
	v_mul_f32_e32 v25, v49, v25
	v_cmp_u_f32_e32 vcc_lo, v31, v31
	v_add_f32_e32 v30, v32, v34
	v_and_b32_e32 v32, 0xffff0000, v26
	v_bfe_u32 v34, v31, 16, 1
	v_bfe_u32 v33, v25, 16, 1
	v_or_b32_e32 v35, 0x400000, v25
	v_add_f32_e32 v29, v30, v29
	v_mul_f32_e32 v30, v45, v32
	v_add3_u32 v32, v34, v31, 0x7fff
	v_or_b32_e32 v34, 0x400000, v31
	v_add3_u32 v33, v33, v25, 0x7fff
	v_lshlrev_b32_e32 v26, 16, v26
	v_bfe_u32 v36, v30, 16, 1
	v_add_f32_e32 v91, v91, v29
	v_cndmask_b32_e32 v31, v32, v34, vcc_lo
	v_cmp_u_f32_e32 vcc_lo, v25, v25
	v_mul_f32_e32 v26, v50, v26
	v_add3_u32 v32, v36, v30, 0x7fff
	v_and_b32_e32 v34, 0xffff0000, v27
	v_lshlrev_b32_e32 v27, 16, v27
	v_cndmask_b32_e32 v25, v33, v35, vcc_lo
	v_or_b32_e32 v33, 0x400000, v30
	v_cmp_u_f32_e32 vcc_lo, v30, v30
	v_bfe_u32 v35, v26, 16, 1
	v_mul_f32_e32 v27, v51, v27
	v_and_b32_e32 v25, 0xffff0000, v25
	v_and_b32_e32 v31, 0xffff0000, v31
	v_cndmask_b32_e32 v30, v32, v33, vcc_lo
	v_mul_f32_e32 v32, v46, v34
	v_add3_u32 v33, v35, v26, 0x7fff
	v_or_b32_e32 v34, 0x400000, v26
	v_and_b32_e32 v35, 0xffff0000, v28
	v_cmp_u_f32_e32 vcc_lo, v26, v26
	v_bfe_u32 v36, v32, 16, 1
	v_bfe_u32 v37, v27, 16, 1
	v_lshlrev_b32_e32 v28, 16, v28
	v_and_b32_e32 v30, 0xffff0000, v30
	v_cndmask_b32_e32 v26, v33, v34, vcc_lo
	v_mul_f32_e32 v33, v47, v35
	v_add3_u32 v34, v36, v32, 0x7fff
	v_or_b32_e32 v35, 0x400000, v32
	v_cmp_u_f32_e32 vcc_lo, v32, v32
	v_add3_u32 v36, v37, v27, 0x7fff
	v_or_b32_e32 v37, 0x400000, v27
	v_bfe_u32 v38, v33, 16, 1
	v_and_b32_e32 v26, 0xffff0000, v26
	v_cndmask_b32_e32 v32, v34, v35, vcc_lo
	v_cmp_u_f32_e32 vcc_lo, v27, v27
	v_or_b32_e32 v35, 0x400000, v33
	v_add3_u32 v34, v38, v33, 0x7fff
	v_mul_f32_e32 v28, v48, v28
	v_add_f32_e32 v25, v25, v31
	v_cndmask_b32_e32 v27, v36, v37, vcc_lo
	v_cmp_u_f32_e32 vcc_lo, v33, v33
	v_add_f32_e32 v26, v26, v30
	v_and_b32_e32 v30, 0xffff0000, v17
	v_and_b32_e32 v31, 0xffff0000, v32
	;; [unrolled: 1-line block ×3, first 2 shown]
	v_cndmask_b32_e32 v33, v34, v35, vcc_lo
	v_bfe_u32 v34, v28, 16, 1
	v_add_f32_e32 v25, v26, v25
	v_mul_f32_e32 v26, v0, v30
	v_add_f32_e32 v27, v27, v31
	v_lshlrev_b32_e32 v17, 16, v17
	v_add3_u32 v32, v34, v28, 0x7fff
	v_or_b32_e32 v34, 0x400000, v28
	v_cmp_u_f32_e32 vcc_lo, v28, v28
	v_bfe_u32 v30, v26, 16, 1
	v_add_f32_e32 v25, v27, v25
	v_mul_f32_e32 v17, v49, v17
	v_and_b32_e32 v27, 0xffff0000, v18
	v_cndmask_b32_e32 v28, v32, v34, vcc_lo
	v_add3_u32 v30, v30, v26, 0x7fff
	v_or_b32_e32 v31, 0x400000, v26
	v_bfe_u32 v32, v17, 16, 1
	v_mul_f32_e32 v27, v45, v27
	v_lshlrev_b32_e32 v18, 16, v18
	v_cmp_u_f32_e32 vcc_lo, v26, v26
	v_and_b32_e32 v34, 0xffff0000, v19
	v_lshlrev_b32_e32 v19, 16, v19
	v_and_b32_e32 v35, 0xffff0000, v20
	v_mul_f32_e32 v18, v50, v18
	v_cndmask_b32_e32 v26, v30, v31, vcc_lo
	v_add3_u32 v30, v32, v17, 0x7fff
	v_or_b32_e32 v31, 0x400000, v17
	v_bfe_u32 v32, v27, 16, 1
	v_cmp_u_f32_e32 vcc_lo, v17, v17
	v_mul_f32_e32 v34, v46, v34
	v_mul_f32_e32 v19, v51, v19
	v_lshlrev_b32_e32 v20, 16, v20
	v_and_b32_e32 v26, 0xffff0000, v26
	v_cndmask_b32_e32 v17, v30, v31, vcc_lo
	v_add3_u32 v30, v32, v27, 0x7fff
	v_or_b32_e32 v31, 0x400000, v27
	v_bfe_u32 v32, v18, 16, 1
	v_cmp_u_f32_e32 vcc_lo, v27, v27
	v_mul_f32_e32 v20, v48, v20
	v_or_b32_e32 v36, 0x400000, v19
	v_and_b32_e32 v17, 0xffff0000, v17
	v_and_b32_e32 v28, 0xffff0000, v28
	v_cndmask_b32_e32 v27, v30, v31, vcc_lo
	v_add3_u32 v30, v32, v18, 0x7fff
	v_or_b32_e32 v31, 0x400000, v18
	v_bfe_u32 v32, v34, 16, 1
	v_cmp_u_f32_e32 vcc_lo, v18, v18
	v_bfe_u32 v38, v20, 16, 1
	v_and_b32_e32 v27, 0xffff0000, v27
	v_add_f32_e32 v17, v17, v26
	v_cndmask_b32_e32 v18, v30, v31, vcc_lo
	v_bfe_u32 v30, v19, 16, 1
	v_add3_u32 v31, v32, v34, 0x7fff
	v_mul_f32_e32 v32, v47, v35
	v_or_b32_e32 v35, 0x400000, v34
	v_cmp_u_f32_e32 vcc_lo, v34, v34
	v_add3_u32 v30, v30, v19, 0x7fff
	v_add3_u32 v34, v38, v20, 0x7fff
	v_bfe_u32 v37, v32, 16, 1
	v_and_b32_e32 v18, 0xffff0000, v18
	v_cndmask_b32_e32 v31, v31, v35, vcc_lo
	v_cmp_u_f32_e32 vcc_lo, v19, v19
	v_or_b32_e32 v35, 0x400000, v20
	v_add_f32_e32 v18, v18, v27
	v_and_b32_e32 v26, 0xffff0000, v31
	v_cndmask_b32_e32 v19, v30, v36, vcc_lo
	v_cmp_u_f32_e32 vcc_lo, v20, v20
	v_add3_u32 v30, v37, v32, 0x7fff
	v_or_b32_e32 v36, 0x400000, v32
	v_add_f32_e32 v17, v18, v17
	v_and_b32_e32 v19, 0xffff0000, v19
	v_cndmask_b32_e32 v20, v34, v35, vcc_lo
	v_cmp_u_f32_e32 vcc_lo, v32, v32
	v_add_f32_e32 v18, v19, v26
	v_and_b32_e32 v19, 0xffff0000, v20
	v_cndmask_b32_e32 v27, v30, v36, vcc_lo
	v_and_b32_e32 v30, 0xffff0000, v33
	v_and_b32_e32 v26, 0xffff0000, v13
	v_lshlrev_b32_e32 v13, 16, v13
	v_add_f32_e32 v17, v18, v17
	v_and_b32_e32 v20, 0xffff0000, v27
	v_add_f32_e32 v27, v28, v30
	v_mul_f32_e32 v13, v49, v13
	v_add_f32_e32 v18, v19, v20
	v_mul_f32_e32 v19, v0, v26
	v_add_f32_e32 v20, v27, v25
	v_and_b32_e32 v25, 0xffff0000, v14
	v_lshlrev_b32_e32 v14, 16, v14
	v_add_f32_e32 v17, v18, v17
	v_bfe_u32 v18, v19, 16, 1
	v_add_f32_e32 v92, v92, v20
	v_bfe_u32 v20, v13, 16, 1
	v_mul_f32_e32 v25, v45, v25
	v_add_f32_e32 v93, v93, v17
	v_add3_u32 v17, v18, v19, 0x7fff
	v_or_b32_e32 v18, 0x400000, v19
	v_cmp_u_f32_e32 vcc_lo, v19, v19
	v_add3_u32 v20, v20, v13, 0x7fff
	v_or_b32_e32 v26, 0x400000, v13
	v_mul_f32_e32 v14, v50, v14
	v_and_b32_e32 v19, 0xffff0000, v15
	v_cndmask_b32_e32 v17, v17, v18, vcc_lo
	v_bfe_u32 v18, v25, 16, 1
	v_cmp_u_f32_e32 vcc_lo, v13, v13
	v_lshlrev_b32_e32 v15, 16, v15
	v_mul_f32_e32 v19, v46, v19
	v_and_b32_e32 v27, 0xffff0000, v16
	v_add3_u32 v18, v18, v25, 0x7fff
	v_cndmask_b32_e32 v13, v20, v26, vcc_lo
	v_or_b32_e32 v20, 0x400000, v25
	v_bfe_u32 v26, v14, 16, 1
	v_cmp_u_f32_e32 vcc_lo, v25, v25
	v_mul_f32_e32 v15, v51, v15
	v_or_b32_e32 v25, 0x400000, v14
	v_lshlrev_b32_e32 v16, 16, v16
	v_and_b32_e32 v13, 0xffff0000, v13
	v_cndmask_b32_e32 v18, v18, v20, vcc_lo
	v_add3_u32 v20, v26, v14, 0x7fff
	v_bfe_u32 v26, v19, 16, 1
	v_cmp_u_f32_e32 vcc_lo, v14, v14
	v_bfe_u32 v28, v15, 16, 1
	v_mul_f32_e32 v16, v48, v16
	v_and_b32_e32 v17, 0xffff0000, v17
	v_and_b32_e32 v18, 0xffff0000, v18
	v_cndmask_b32_e32 v14, v20, v25, vcc_lo
	v_add3_u32 v20, v26, v19, 0x7fff
	v_mul_f32_e32 v25, v47, v27
	v_or_b32_e32 v26, 0x400000, v19
	v_cmp_u_f32_e32 vcc_lo, v19, v19
	v_add3_u32 v27, v28, v15, 0x7fff
	v_or_b32_e32 v28, 0x400000, v15
	v_bfe_u32 v29, v25, 16, 1
	v_and_b32_e32 v14, 0xffff0000, v14
	v_cndmask_b32_e32 v19, v20, v26, vcc_lo
	v_cmp_u_f32_e32 vcc_lo, v15, v15
	v_or_b32_e32 v26, 0x400000, v25
	v_add3_u32 v20, v29, v25, 0x7fff
	v_add_f32_e32 v13, v13, v17
	v_add_f32_e32 v14, v14, v18
	v_cndmask_b32_e32 v15, v27, v28, vcc_lo
	v_bfe_u32 v27, v16, 16, 1
	v_cmp_u_f32_e32 vcc_lo, v25, v25
	v_and_b32_e32 v18, 0xffff0000, v9
	v_and_b32_e32 v17, 0xffff0000, v19
	;; [unrolled: 1-line block ×3, first 2 shown]
	v_add3_u32 v25, v27, v16, 0x7fff
	v_cndmask_b32_e32 v20, v20, v26, vcc_lo
	v_or_b32_e32 v26, 0x400000, v16
	v_cmp_u_f32_e32 vcc_lo, v16, v16
	v_lshlrev_b32_e32 v9, 16, v9
	v_add_f32_e32 v13, v14, v13
	v_mul_f32_e32 v14, v0, v18
	v_add_f32_e32 v15, v15, v17
	v_cndmask_b32_e32 v16, v25, v26, vcc_lo
	v_mul_f32_e32 v17, v49, v9
	v_and_b32_e32 v18, 0xffff0000, v20
	v_bfe_u32 v19, v14, 16, 1
	v_and_b32_e32 v20, 0xffff0000, v10
	v_and_b32_e32 v16, 0xffff0000, v16
	v_add_f32_e32 v9, v15, v13
	v_bfe_u32 v15, v17, 16, 1
	v_lshlrev_b32_e32 v10, 16, v10
	v_cmp_u_f32_e32 vcc_lo, v14, v14
	v_add_f32_e32 v13, v16, v18
	v_add3_u32 v16, v19, v14, 0x7fff
	v_or_b32_e32 v18, 0x400000, v14
	v_mul_f32_e32 v19, v45, v20
	v_add3_u32 v15, v15, v17, 0x7fff
	v_or_b32_e32 v20, 0x400000, v17
	v_mul_f32_e32 v10, v50, v10
	v_cndmask_b32_e32 v14, v16, v18, vcc_lo
	v_bfe_u32 v16, v19, 16, 1
	v_cmp_u_f32_e32 vcc_lo, v17, v17
	v_and_b32_e32 v17, 0xffff0000, v11
	v_or_b32_e32 v18, 0x400000, v19
	v_lshlrev_b32_e32 v11, 16, v11
	v_add3_u32 v16, v16, v19, 0x7fff
	v_cndmask_b32_e32 v15, v15, v20, vcc_lo
	v_bfe_u32 v20, v10, 16, 1
	v_mul_f32_e32 v17, v46, v17
	v_cmp_u_f32_e32 vcc_lo, v19, v19
	v_mul_f32_e32 v11, v51, v11
	v_or_b32_e32 v19, 0x400000, v10
	v_and_b32_e32 v25, 0xffff0000, v12
	v_lshlrev_b32_e32 v12, 16, v12
	v_cndmask_b32_e32 v16, v16, v18, vcc_lo
	v_add3_u32 v18, v20, v10, 0x7fff
	v_bfe_u32 v20, v17, 16, 1
	v_cmp_u_f32_e32 vcc_lo, v10, v10
	v_bfe_u32 v26, v11, 16, 1
	v_mul_f32_e32 v12, v48, v12
	v_and_b32_e32 v15, 0xffff0000, v15
	v_and_b32_e32 v14, 0xffff0000, v14
	v_cndmask_b32_e32 v10, v18, v19, vcc_lo
	v_add3_u32 v18, v20, v17, 0x7fff
	v_mul_f32_e32 v19, v47, v25
	v_or_b32_e32 v20, 0x400000, v17
	v_cmp_u_f32_e32 vcc_lo, v17, v17
	v_add3_u32 v25, v26, v11, 0x7fff
	v_or_b32_e32 v26, 0x400000, v11
	v_bfe_u32 v27, v19, 16, 1
	v_and_b32_e32 v10, 0xffff0000, v10
	v_cndmask_b32_e32 v17, v18, v20, vcc_lo
	v_cmp_u_f32_e32 vcc_lo, v11, v11
	v_or_b32_e32 v20, 0x400000, v19
	v_add3_u32 v18, v27, v19, 0x7fff
	v_and_b32_e32 v16, 0xffff0000, v16
	v_add_f32_e32 v14, v15, v14
	v_cndmask_b32_e32 v11, v25, v26, vcc_lo
	v_bfe_u32 v25, v12, 16, 1
	v_cmp_u_f32_e32 vcc_lo, v19, v19
	v_add_f32_e32 v10, v10, v16
	v_and_b32_e32 v16, 0xffff0000, v5
	v_and_b32_e32 v11, 0xffff0000, v11
	v_add3_u32 v19, v25, v12, 0x7fff
	v_cndmask_b32_e32 v18, v18, v20, vcc_lo
	v_or_b32_e32 v20, 0x400000, v12
	v_cmp_u_f32_e32 vcc_lo, v12, v12
	v_and_b32_e32 v15, 0xffff0000, v17
	v_lshlrev_b32_e32 v5, 16, v5
	v_add_f32_e32 v10, v10, v14
	v_mul_f32_e32 v14, v0, v16
	v_cndmask_b32_e32 v12, v19, v20, vcc_lo
	v_add_f32_e32 v11, v11, v15
	v_mul_f32_e32 v15, v49, v5
	v_and_b32_e32 v16, 0xffff0000, v18
	v_and_b32_e32 v17, 0xffff0000, v6
	;; [unrolled: 1-line block ×3, first 2 shown]
	v_bfe_u32 v18, v14, 16, 1
	v_add_f32_e32 v5, v11, v10
	v_bfe_u32 v11, v15, 16, 1
	v_cmp_u_f32_e32 vcc_lo, v14, v14
	v_add_f32_e32 v10, v12, v16
	v_mul_f32_e32 v12, v45, v17
	v_add3_u32 v16, v18, v14, 0x7fff
	v_or_b32_e32 v17, 0x400000, v14
	v_add3_u32 v11, v11, v15, 0x7fff
	v_or_b32_e32 v18, 0x400000, v15
	v_bfe_u32 v19, v12, 16, 1
	v_lshlrev_b32_e32 v6, 16, v6
	v_cndmask_b32_e32 v14, v16, v17, vcc_lo
	v_cmp_u_f32_e32 vcc_lo, v15, v15
	v_or_b32_e32 v16, 0x400000, v12
	v_add3_u32 v15, v19, v12, 0x7fff
	v_mul_f32_e32 v6, v50, v6
	v_and_b32_e32 v17, 0xffff0000, v7
	v_cndmask_b32_e32 v11, v11, v18, vcc_lo
	v_cmp_u_f32_e32 vcc_lo, v12, v12
	v_lshlrev_b32_e32 v7, 16, v7
	v_bfe_u32 v18, v6, 16, 1
	v_and_b32_e32 v14, 0xffff0000, v14
	v_and_b32_e32 v11, 0xffff0000, v11
	v_cndmask_b32_e32 v12, v15, v16, vcc_lo
	v_mul_f32_e32 v15, v46, v17
	v_mul_f32_e32 v7, v51, v7
	v_add3_u32 v16, v18, v6, 0x7fff
	v_or_b32_e32 v17, 0x400000, v6
	v_and_b32_e32 v18, 0xffff0000, v8
	v_bfe_u32 v19, v15, 16, 1
	v_cmp_u_f32_e32 vcc_lo, v6, v6
	v_bfe_u32 v20, v7, 16, 1
	v_lshlrev_b32_e32 v8, 16, v8
	v_and_b32_e32 v12, 0xffff0000, v12
	v_add_f32_e32 v11, v11, v14
	v_cndmask_b32_e32 v6, v16, v17, vcc_lo
	v_mul_f32_e32 v16, v47, v18
	v_add3_u32 v17, v19, v15, 0x7fff
	v_or_b32_e32 v18, 0x400000, v15
	v_cmp_u_f32_e32 vcc_lo, v15, v15
	v_add3_u32 v19, v20, v7, 0x7fff
	v_or_b32_e32 v20, 0x400000, v7
	v_bfe_u32 v25, v16, 16, 1
	v_and_b32_e32 v6, 0xffff0000, v6
	v_cndmask_b32_e32 v15, v17, v18, vcc_lo
	v_cmp_u_f32_e32 vcc_lo, v7, v7
	v_or_b32_e32 v18, 0x400000, v16
	v_add3_u32 v17, v25, v16, 0x7fff
	v_mul_f32_e32 v8, v48, v8
	v_add_f32_e32 v6, v6, v12
	v_cndmask_b32_e32 v7, v19, v20, vcc_lo
	v_cmp_u_f32_e32 vcc_lo, v16, v16
	v_and_b32_e32 v12, 0xffff0000, v1
	v_and_b32_e32 v14, 0xffff0000, v15
	v_add_f32_e32 v6, v6, v11
	v_and_b32_e32 v7, 0xffff0000, v7
	v_cndmask_b32_e32 v16, v17, v18, vcc_lo
	v_bfe_u32 v17, v8, 16, 1
	v_mul_f32_e32 v11, v0, v12
	v_lshlrev_b32_e32 v1, 16, v1
	v_add_f32_e32 v7, v7, v14
	v_cmp_u_f32_e32 vcc_lo, v8, v8
	v_add3_u32 v15, v17, v8, 0x7fff
	v_or_b32_e32 v17, 0x400000, v8
	v_bfe_u32 v12, v11, 16, 1
	v_add_f32_e32 v6, v7, v6
	v_and_b32_e32 v7, 0xffff0000, v2
	v_mul_f32_e32 v1, v49, v1
	v_cndmask_b32_e32 v8, v15, v17, vcc_lo
	v_add3_u32 v12, v12, v11, 0x7fff
	v_or_b32_e32 v14, 0x400000, v11
	v_mul_f32_e32 v7, v45, v7
	v_and_b32_e32 v15, 0xffff0000, v16
	v_bfe_u32 v16, v1, 16, 1
	v_cmp_u_f32_e32 vcc_lo, v11, v11
	v_lshlrev_b32_e32 v2, 16, v2
	v_or_b32_e32 v17, 0x400000, v1
	v_or_b32_e32 v18, 0x400000, v7
	s_waitcnt vmcnt(0)
	v_lshlrev_b32_e32 v20, 16, v24
	v_cndmask_b32_e32 v11, v12, v14, vcc_lo
	v_bfe_u32 v12, v7, 16, 1
	v_add3_u32 v14, v16, v1, 0x7fff
	v_and_b32_e32 v16, 0xffff0000, v3
	v_mul_f32_e32 v2, v50, v2
	v_cmp_u_f32_e32 vcc_lo, v1, v1
	v_add3_u32 v12, v12, v7, 0x7fff
	v_lshlrev_b32_e32 v3, 16, v3
	v_mul_f32_e32 v16, v46, v16
	v_and_b32_e32 v11, 0xffff0000, v11
	v_cndmask_b32_e32 v1, v14, v17, vcc_lo
	v_bfe_u32 v14, v2, 16, 1
	v_cmp_u_f32_e32 vcc_lo, v7, v7
	v_and_b32_e32 v17, 0xffff0000, v4
	v_mul_f32_e32 v3, v51, v3
	v_or_b32_e32 v19, 0x400000, v16
	v_add3_u32 v14, v14, v2, 0x7fff
	v_cndmask_b32_e32 v7, v12, v18, vcc_lo
	v_bfe_u32 v12, v16, 16, 1
	v_or_b32_e32 v18, 0x400000, v2
	v_cmp_u_f32_e32 vcc_lo, v2, v2
	v_mul_f32_e32 v17, v47, v17
	v_lshlrev_b32_e32 v4, 16, v4
	v_add3_u32 v12, v12, v16, 0x7fff
	v_and_b32_e32 v1, 0xffff0000, v1
	v_cndmask_b32_e32 v2, v14, v18, vcc_lo
	v_bfe_u32 v14, v3, 16, 1
	v_cmp_u_f32_e32 vcc_lo, v16, v16
	v_bfe_u32 v18, v17, 16, 1
	v_or_b32_e32 v16, 0x400000, v3
	v_mul_f32_e32 v4, v48, v4
	v_add3_u32 v14, v14, v3, 0x7fff
	v_cndmask_b32_e32 v12, v12, v19, vcc_lo
	v_cmp_u_f32_e32 vcc_lo, v3, v3
	v_add3_u32 v18, v18, v17, 0x7fff
	v_or_b32_e32 v19, 0x400000, v17
	v_and_b32_e32 v2, 0xffff0000, v2
	v_and_b32_e32 v7, 0xffff0000, v7
	v_cndmask_b32_e32 v3, v14, v16, vcc_lo
	v_cmp_u_f32_e32 vcc_lo, v17, v17
	v_bfe_u32 v16, v4, 16, 1
	v_add_f32_e32 v1, v1, v11
	v_add_f32_e32 v2, v2, v7
	v_and_b32_e32 v3, 0xffff0000, v3
	v_cndmask_b32_e32 v14, v18, v19, vcc_lo
	v_lshlrev_b32_e32 v18, 16, v21
	v_and_b32_e32 v7, 0xffff0000, v12
	v_and_b32_e32 v12, 0xffff0000, v21
	v_add3_u32 v16, v16, v4, 0x7fff
	v_or_b32_e32 v17, 0x400000, v4
	v_mul_f32_e32 v11, v49, v18
	v_cmp_u_f32_e32 vcc_lo, v4, v4
	v_add_f32_e32 v1, v2, v1
	v_add_f32_e32 v3, v3, v7
	v_mul_f32_e32 v0, v0, v12
	v_bfe_u32 v2, v11, 16, 1
	v_lshlrev_b32_e32 v7, 16, v22
	v_cndmask_b32_e32 v4, v16, v17, vcc_lo
	v_or_b32_e32 v12, 0x400000, v11
	v_bfe_u32 v16, v0, 16, 1
	v_add3_u32 v2, v2, v11, 0x7fff
	v_mul_f32_e32 v7, v50, v7
	v_and_b32_e32 v17, 0xffff0000, v22
	v_cmp_u_f32_e32 vcc_lo, v11, v11
	v_add3_u32 v11, v16, v0, 0x7fff
	v_lshlrev_b32_e32 v18, 16, v23
	v_bfe_u32 v16, v7, 16, 1
	v_mul_f32_e32 v17, v45, v17
	v_cndmask_b32_e32 v2, v2, v12, vcc_lo
	v_or_b32_e32 v12, 0x400000, v0
	v_cmp_u_f32_e32 vcc_lo, v0, v0
	v_mul_f32_e32 v18, v51, v18
	v_and_b32_e32 v19, 0xffff0000, v23
	v_and_b32_e32 v21, 0xffff0000, v24
	v_and_b32_e32 v2, 0xffff0000, v2
	v_cndmask_b32_e32 v0, v11, v12, vcc_lo
	v_add3_u32 v11, v16, v7, 0x7fff
	v_or_b32_e32 v12, 0x400000, v7
	v_bfe_u32 v16, v17, 16, 1
	v_cmp_u_f32_e32 vcc_lo, v7, v7
	v_mul_f32_e32 v19, v46, v19
	v_and_b32_e32 v0, 0xffff0000, v0
	v_and_b32_e32 v8, 0xffff0000, v8
	v_and_b32_e32 v4, 0xffff0000, v4
	v_cndmask_b32_e32 v7, v11, v12, vcc_lo
	v_add3_u32 v11, v16, v17, 0x7fff
	v_or_b32_e32 v12, 0x400000, v17
	v_bfe_u32 v16, v18, 16, 1
	v_cmp_u_f32_e32 vcc_lo, v17, v17
	v_mul_f32_e32 v17, v48, v20
	v_mul_f32_e32 v20, v47, v21
	v_or_b32_e32 v21, 0x400000, v18
	v_add3_u32 v16, v16, v18, 0x7fff
	v_cndmask_b32_e32 v11, v11, v12, vcc_lo
	v_bfe_u32 v12, v19, 16, 1
	v_cmp_u_f32_e32 vcc_lo, v18, v18
	v_or_b32_e32 v22, 0x400000, v19
	v_bfe_u32 v24, v20, 16, 1
	v_bfe_u32 v23, v17, 16, 1
	v_add3_u32 v12, v12, v19, 0x7fff
	v_cndmask_b32_e32 v16, v16, v21, vcc_lo
	v_cmp_u_f32_e32 vcc_lo, v19, v19
	v_add3_u32 v19, v24, v20, 0x7fff
	v_or_b32_e32 v21, 0x400000, v20
	v_add3_u32 v18, v23, v17, 0x7fff
	v_and_b32_e32 v11, 0xffff0000, v11
	v_cndmask_b32_e32 v12, v12, v22, vcc_lo
	v_cmp_u_f32_e32 vcc_lo, v20, v20
	v_and_b32_e32 v7, 0xffff0000, v7
	v_or_b32_e32 v22, 0x400000, v17
	v_add_f32_e32 v0, v2, v0
	v_and_b32_e32 v14, 0xffff0000, v14
	v_cndmask_b32_e32 v19, v19, v21, vcc_lo
	v_cmp_u_f32_e32 vcc_lo, v17, v17
	v_add_f32_e32 v2, v7, v11
	v_and_b32_e32 v7, 0xffff0000, v12
	v_and_b32_e32 v11, 0xffff0000, v16
	v_add_f32_e32 v8, v8, v15
	v_cndmask_b32_e32 v12, v18, v22, vcc_lo
	v_add_f32_e32 v0, v2, v0
	v_add_f32_e32 v1, v3, v1
	;; [unrolled: 1-line block ×3, first 2 shown]
	v_and_b32_e32 v7, 0xffff0000, v19
	v_and_b32_e32 v11, 0xffff0000, v12
	v_add_f32_e32 v3, v4, v14
	v_add_f32_e32 v4, v13, v9
	;; [unrolled: 1-line block ×13, first 2 shown]
.LBB177_37:                             ;   in Loop: Header=BB177_38 Depth=1
	s_or_b32 exec_lo, exec_lo, s15
	v_add_nc_u32_e32 v73, 4, v73
	v_add_co_u32 v74, s0, v74, 16
	v_add_co_ci_u32_e64 v75, null, 0, v75, s0
	v_cmp_le_i32_e32 vcc_lo, s16, v73
	v_add_nc_u32_e32 v78, 0x80, v78
	v_add_nc_u32_e32 v102, 0x200, v102
	s_or_b32 s13, vcc_lo, s13
	s_andn2_b32 exec_lo, exec_lo, s13
	s_cbranch_execz .LBB177_71
.LBB177_38:                             ; =>This Inner Loop Header: Depth=1
	v_sub_nc_u32_e32 v0, 0, v78
	v_max_i32_e32 v0, v78, v0
	v_mul_hi_u32 v1, v0, s12
	v_mul_lo_u32 v2, v1, s11
	v_sub_nc_u32_e32 v0, v0, v2
	v_add_nc_u32_e32 v2, 1, v1
	v_subrev_nc_u32_e32 v3, s11, v0
	v_cmp_le_u32_e32 vcc_lo, s11, v0
	v_cndmask_b32_e32 v1, v1, v2, vcc_lo
	v_cndmask_b32_e32 v0, v0, v3, vcc_lo
	v_ashrrev_i32_e32 v2, 31, v78
	v_add_nc_u32_e32 v3, 1, v1
	v_cmp_le_u32_e32 vcc_lo, s11, v0
	v_xor_b32_e32 v2, s19, v2
	v_cndmask_b32_e32 v0, v1, v3, vcc_lo
	v_xor_b32_e32 v0, v0, v2
	v_sub_nc_u32_e32 v0, v0, v2
	v_add_nc_u32_e32 v1, s33, v0
	v_cmp_lt_i32_e64 s0, s5, v0
	v_sub_nc_u32_e32 v2, 0, v1
	v_max_i32_e32 v2, v1, v2
	v_ashrrev_i32_e32 v1, 31, v1
	v_mul_hi_u32 v3, v2, v103
	v_mul_lo_u32 v3, v3, s6
	v_sub_nc_u32_e32 v2, v2, v3
	v_subrev_nc_u32_e32 v3, s6, v2
	v_cmp_le_u32_e32 vcc_lo, s6, v2
	v_cndmask_b32_e32 v2, v2, v3, vcc_lo
	v_subrev_nc_u32_e32 v3, s6, v2
	v_cmp_le_u32_e32 vcc_lo, s6, v2
	v_cndmask_b32_e32 v2, v2, v3, vcc_lo
	v_xor_b32_e32 v2, v2, v1
	v_sub_nc_u32_e32 v1, v2, v1
	v_cmp_eq_u32_e32 vcc_lo, 0, v1
	s_or_b32 s0, vcc_lo, s0
	s_and_saveexec_b32 s15, s0
	s_cbranch_execz .LBB177_37
; %bb.39:                               ;   in Loop: Header=BB177_38 Depth=1
	global_load_dword v0, v[74:75], off
	v_add_nc_u32_e32 v105, v99, v78
	v_cmp_eq_u32_e64 s0, s36, v73
	v_add_nc_u32_e32 v108, 1, v105
	v_or_b32_e32 v106, 3, v105
	v_or_b32_e32 v107, 2, v105
	;; [unrolled: 1-line block ×5, first 2 shown]
	s_waitcnt vmcnt(0)
	v_mad_i64_i32 v[0:1], null, v0, s9, 0
	v_lshlrev_b64 v[0:1], 1, v[0:1]
	v_add_co_u32 v21, vcc_lo, v100, v0
	v_add_co_ci_u32_e64 v22, null, v101, v1, vcc_lo
	v_or_b32_e32 v0, 6, v105
	global_load_dwordx4 v[1:4], v[21:22], off
	ds_read2_b64 v[49:52], v102 offset1:1
	ds_read2_b64 v[45:48], v102 offset0:2 offset1:3
	s_and_saveexec_b32 s17, s0
	s_cbranch_execnz .LBB177_58
; %bb.40:                               ;   in Loop: Header=BB177_38 Depth=1
	s_or_b32 exec_lo, exec_lo, s17
	global_load_dwordx4 v[5:8], v[21:22], off offset:512
	s_and_saveexec_b32 s17, s0
	s_cbranch_execnz .LBB177_59
.LBB177_41:                             ;   in Loop: Header=BB177_38 Depth=1
	s_or_b32 exec_lo, exec_lo, s17
	global_load_dwordx4 v[9:12], v[21:22], off offset:1024
	s_and_saveexec_b32 s17, s0
	s_cbranch_execnz .LBB177_60
.LBB177_42:                             ;   in Loop: Header=BB177_38 Depth=1
	s_or_b32 exec_lo, exec_lo, s17
	global_load_dwordx4 v[13:16], v[21:22], off offset:1536
	s_and_saveexec_b32 s17, s0
	s_cbranch_execz .LBB177_44
.LBB177_43:                             ;   in Loop: Header=BB177_38 Depth=1
	v_cmp_gt_i32_e64 s1, s27, v105
	v_cmp_gt_i32_e32 vcc_lo, s14, v108
	v_cmp_gt_i32_e64 s2, s27, v107
	s_waitcnt vmcnt(0)
	v_cndmask_b32_e64 v17, 0, v13, s1
	v_cmp_gt_i32_e64 s1, s14, v106
	v_cndmask_b32_sdwa v13, v98, v13, vcc_lo dst_sel:DWORD dst_unused:UNUSED_PAD src0_sel:DWORD src1_sel:WORD_1
	v_cndmask_b32_e64 v18, 0, v14, s2
	v_cmp_gt_i32_e64 s2, s14, v104
	s_mov_b32 vcc_lo, s1
	v_cmp_gt_i32_e64 s1, s14, v76
	v_cndmask_b32_sdwa v14, v98, v14, vcc_lo dst_sel:DWORD dst_unused:UNUSED_PAD src0_sel:DWORD src1_sel:WORD_1
	v_cmp_gt_i32_e32 vcc_lo, s27, v77
	v_perm_b32 v13, v13, v17, 0x5040100
	v_perm_b32 v14, v14, v18, 0x5040100
	v_cndmask_b32_e32 v19, 0, v15, vcc_lo
	s_mov_b32 vcc_lo, s2
	v_cndmask_b32_sdwa v15, v98, v15, vcc_lo dst_sel:DWORD dst_unused:UNUSED_PAD src0_sel:DWORD src1_sel:WORD_1
	v_cmp_gt_i32_e32 vcc_lo, s27, v0
	v_perm_b32 v15, v15, v19, 0x5040100
	v_cndmask_b32_e32 v20, 0, v16, vcc_lo
	s_mov_b32 vcc_lo, s1
	v_cndmask_b32_sdwa v16, v98, v16, vcc_lo dst_sel:DWORD dst_unused:UNUSED_PAD src0_sel:DWORD src1_sel:WORD_1
	v_perm_b32 v16, v16, v20, 0x5040100
.LBB177_44:                             ;   in Loop: Header=BB177_38 Depth=1
	s_or_b32 exec_lo, exec_lo, s17
	v_add_co_u32 v23, vcc_lo, 0x800, v21
	v_add_co_ci_u32_e64 v24, null, 0, v22, vcc_lo
	global_load_dwordx4 v[17:20], v[23:24], off
	s_and_saveexec_b32 s17, s0
	s_cbranch_execnz .LBB177_61
; %bb.45:                               ;   in Loop: Header=BB177_38 Depth=1
	s_or_b32 exec_lo, exec_lo, s17
	global_load_dwordx4 v[25:28], v[23:24], off offset:512
	s_and_saveexec_b32 s17, s0
	s_cbranch_execnz .LBB177_62
.LBB177_46:                             ;   in Loop: Header=BB177_38 Depth=1
	s_or_b32 exec_lo, exec_lo, s17
	global_load_dwordx4 v[29:32], v[23:24], off offset:1024
	s_and_saveexec_b32 s17, s0
	s_cbranch_execnz .LBB177_63
.LBB177_47:                             ;   in Loop: Header=BB177_38 Depth=1
	s_or_b32 exec_lo, exec_lo, s17
	global_load_dwordx4 v[33:36], v[23:24], off offset:1536
	s_and_saveexec_b32 s17, s0
	s_cbranch_execz .LBB177_49
.LBB177_48:                             ;   in Loop: Header=BB177_38 Depth=1
	v_cmp_gt_i32_e64 s1, s27, v105
	v_cmp_gt_i32_e32 vcc_lo, s14, v108
	v_cmp_gt_i32_e64 s2, s27, v107
	s_waitcnt vmcnt(0)
	v_cndmask_b32_e64 v23, 0, v33, s1
	v_cmp_gt_i32_e64 s1, s14, v106
	v_cndmask_b32_sdwa v33, v98, v33, vcc_lo dst_sel:DWORD dst_unused:UNUSED_PAD src0_sel:DWORD src1_sel:WORD_1
	v_cndmask_b32_e64 v24, 0, v34, s2
	v_cmp_gt_i32_e64 s2, s14, v104
	s_mov_b32 vcc_lo, s1
	v_cmp_gt_i32_e64 s1, s14, v76
	v_cndmask_b32_sdwa v34, v98, v34, vcc_lo dst_sel:DWORD dst_unused:UNUSED_PAD src0_sel:DWORD src1_sel:WORD_1
	v_cmp_gt_i32_e32 vcc_lo, s27, v77
	v_perm_b32 v33, v33, v23, 0x5040100
	v_perm_b32 v34, v34, v24, 0x5040100
	v_cndmask_b32_e32 v37, 0, v35, vcc_lo
	s_mov_b32 vcc_lo, s2
	v_cndmask_b32_sdwa v35, v98, v35, vcc_lo dst_sel:DWORD dst_unused:UNUSED_PAD src0_sel:DWORD src1_sel:WORD_1
	v_cmp_gt_i32_e32 vcc_lo, s27, v0
	v_perm_b32 v35, v35, v37, 0x5040100
	v_cndmask_b32_e32 v38, 0, v36, vcc_lo
	s_mov_b32 vcc_lo, s1
	v_cndmask_b32_sdwa v36, v98, v36, vcc_lo dst_sel:DWORD dst_unused:UNUSED_PAD src0_sel:DWORD src1_sel:WORD_1
	v_perm_b32 v36, v36, v38, 0x5040100
.LBB177_49:                             ;   in Loop: Header=BB177_38 Depth=1
	s_or_b32 exec_lo, exec_lo, s17
	v_add_co_u32 v23, vcc_lo, 0x1000, v21
	v_add_co_ci_u32_e64 v24, null, 0, v22, vcc_lo
	global_load_dwordx4 v[37:40], v[23:24], off
	s_and_saveexec_b32 s17, s0
	s_cbranch_execnz .LBB177_64
; %bb.50:                               ;   in Loop: Header=BB177_38 Depth=1
	s_or_b32 exec_lo, exec_lo, s17
	global_load_dwordx4 v[41:44], v[23:24], off offset:512
	s_and_saveexec_b32 s17, s0
	s_cbranch_execnz .LBB177_65
.LBB177_51:                             ;   in Loop: Header=BB177_38 Depth=1
	s_or_b32 exec_lo, exec_lo, s17
	global_load_dwordx4 v[53:56], v[23:24], off offset:1024
	s_and_saveexec_b32 s17, s0
	s_cbranch_execnz .LBB177_66
.LBB177_52:                             ;   in Loop: Header=BB177_38 Depth=1
	s_or_b32 exec_lo, exec_lo, s17
	global_load_dwordx4 v[57:60], v[23:24], off offset:1536
	s_and_saveexec_b32 s17, s0
	s_cbranch_execz .LBB177_54
.LBB177_53:                             ;   in Loop: Header=BB177_38 Depth=1
	v_cmp_gt_i32_e64 s1, s27, v105
	v_cmp_gt_i32_e32 vcc_lo, s14, v108
	v_cmp_gt_i32_e64 s2, s27, v107
	s_waitcnt vmcnt(0)
	v_cndmask_b32_e64 v23, 0, v57, s1
	v_cmp_gt_i32_e64 s1, s14, v106
	v_cndmask_b32_sdwa v57, v98, v57, vcc_lo dst_sel:DWORD dst_unused:UNUSED_PAD src0_sel:DWORD src1_sel:WORD_1
	v_cndmask_b32_e64 v24, 0, v58, s2
	v_cmp_gt_i32_e64 s2, s14, v104
	s_mov_b32 vcc_lo, s1
	v_cmp_gt_i32_e64 s1, s14, v76
	v_cndmask_b32_sdwa v58, v98, v58, vcc_lo dst_sel:DWORD dst_unused:UNUSED_PAD src0_sel:DWORD src1_sel:WORD_1
	v_cmp_gt_i32_e32 vcc_lo, s27, v77
	v_perm_b32 v57, v57, v23, 0x5040100
	v_perm_b32 v58, v58, v24, 0x5040100
	v_cndmask_b32_e32 v61, 0, v59, vcc_lo
	s_mov_b32 vcc_lo, s2
	v_cndmask_b32_sdwa v59, v98, v59, vcc_lo dst_sel:DWORD dst_unused:UNUSED_PAD src0_sel:DWORD src1_sel:WORD_1
	v_cmp_gt_i32_e32 vcc_lo, s27, v0
	v_perm_b32 v59, v59, v61, 0x5040100
	v_cndmask_b32_e32 v62, 0, v60, vcc_lo
	s_mov_b32 vcc_lo, s1
	v_cndmask_b32_sdwa v60, v98, v60, vcc_lo dst_sel:DWORD dst_unused:UNUSED_PAD src0_sel:DWORD src1_sel:WORD_1
	v_perm_b32 v60, v60, v62, 0x5040100
.LBB177_54:                             ;   in Loop: Header=BB177_38 Depth=1
	s_or_b32 exec_lo, exec_lo, s17
	v_add_co_u32 v21, vcc_lo, 0x1800, v21
	v_add_co_ci_u32_e64 v22, null, 0, v22, vcc_lo
	global_load_dwordx4 v[61:64], v[21:22], off
	s_and_saveexec_b32 s17, s0
	s_cbranch_execnz .LBB177_67
; %bb.55:                               ;   in Loop: Header=BB177_38 Depth=1
	s_or_b32 exec_lo, exec_lo, s17
	global_load_dwordx4 v[65:68], v[21:22], off offset:512
	s_and_saveexec_b32 s17, s0
	s_cbranch_execnz .LBB177_68
.LBB177_56:                             ;   in Loop: Header=BB177_38 Depth=1
	s_or_b32 exec_lo, exec_lo, s17
	global_load_dwordx4 v[69:72], v[21:22], off offset:1024
	s_and_saveexec_b32 s17, s0
	s_cbranch_execnz .LBB177_69
.LBB177_57:                             ;   in Loop: Header=BB177_38 Depth=1
	s_or_b32 exec_lo, exec_lo, s17
	global_load_dwordx4 v[21:24], v[21:22], off offset:1536
	s_and_saveexec_b32 s2, s0
	s_cbranch_execz .LBB177_36
	s_branch .LBB177_70
.LBB177_58:                             ;   in Loop: Header=BB177_38 Depth=1
	v_cmp_gt_i32_e64 s1, s27, v105
	v_cmp_gt_i32_e32 vcc_lo, s14, v108
	v_cmp_gt_i32_e64 s2, s27, v107
	s_waitcnt vmcnt(0)
	v_cndmask_b32_e64 v5, 0, v1, s1
	v_cmp_gt_i32_e64 s1, s14, v106
	v_cndmask_b32_sdwa v1, v98, v1, vcc_lo dst_sel:DWORD dst_unused:UNUSED_PAD src0_sel:DWORD src1_sel:WORD_1
	v_cndmask_b32_e64 v6, 0, v2, s2
	v_cmp_gt_i32_e64 s2, s14, v104
	s_mov_b32 vcc_lo, s1
	v_cmp_gt_i32_e64 s1, s14, v76
	v_cndmask_b32_sdwa v2, v98, v2, vcc_lo dst_sel:DWORD dst_unused:UNUSED_PAD src0_sel:DWORD src1_sel:WORD_1
	v_cmp_gt_i32_e32 vcc_lo, s27, v77
	v_perm_b32 v1, v1, v5, 0x5040100
	v_perm_b32 v2, v2, v6, 0x5040100
	v_cndmask_b32_e32 v7, 0, v3, vcc_lo
	s_mov_b32 vcc_lo, s2
	v_cndmask_b32_sdwa v3, v98, v3, vcc_lo dst_sel:DWORD dst_unused:UNUSED_PAD src0_sel:DWORD src1_sel:WORD_1
	v_cmp_gt_i32_e32 vcc_lo, s27, v0
	v_perm_b32 v3, v3, v7, 0x5040100
	v_cndmask_b32_e32 v8, 0, v4, vcc_lo
	s_mov_b32 vcc_lo, s1
	v_cndmask_b32_sdwa v4, v98, v4, vcc_lo dst_sel:DWORD dst_unused:UNUSED_PAD src0_sel:DWORD src1_sel:WORD_1
	v_perm_b32 v4, v4, v8, 0x5040100
	s_or_b32 exec_lo, exec_lo, s17
	global_load_dwordx4 v[5:8], v[21:22], off offset:512
	s_and_saveexec_b32 s17, s0
	s_cbranch_execz .LBB177_41
.LBB177_59:                             ;   in Loop: Header=BB177_38 Depth=1
	v_cmp_gt_i32_e64 s1, s27, v105
	v_cmp_gt_i32_e32 vcc_lo, s14, v108
	v_cmp_gt_i32_e64 s2, s27, v107
	s_waitcnt vmcnt(0)
	v_cndmask_b32_e64 v9, 0, v5, s1
	v_cmp_gt_i32_e64 s1, s14, v106
	v_cndmask_b32_sdwa v5, v98, v5, vcc_lo dst_sel:DWORD dst_unused:UNUSED_PAD src0_sel:DWORD src1_sel:WORD_1
	v_cndmask_b32_e64 v10, 0, v6, s2
	v_cmp_gt_i32_e64 s2, s14, v104
	s_mov_b32 vcc_lo, s1
	v_cmp_gt_i32_e64 s1, s14, v76
	v_cndmask_b32_sdwa v6, v98, v6, vcc_lo dst_sel:DWORD dst_unused:UNUSED_PAD src0_sel:DWORD src1_sel:WORD_1
	v_cmp_gt_i32_e32 vcc_lo, s27, v77
	v_perm_b32 v5, v5, v9, 0x5040100
	v_perm_b32 v6, v6, v10, 0x5040100
	v_cndmask_b32_e32 v11, 0, v7, vcc_lo
	s_mov_b32 vcc_lo, s2
	v_cndmask_b32_sdwa v7, v98, v7, vcc_lo dst_sel:DWORD dst_unused:UNUSED_PAD src0_sel:DWORD src1_sel:WORD_1
	v_cmp_gt_i32_e32 vcc_lo, s27, v0
	v_perm_b32 v7, v7, v11, 0x5040100
	v_cndmask_b32_e32 v12, 0, v8, vcc_lo
	s_mov_b32 vcc_lo, s1
	v_cndmask_b32_sdwa v8, v98, v8, vcc_lo dst_sel:DWORD dst_unused:UNUSED_PAD src0_sel:DWORD src1_sel:WORD_1
	v_perm_b32 v8, v8, v12, 0x5040100
	s_or_b32 exec_lo, exec_lo, s17
	global_load_dwordx4 v[9:12], v[21:22], off offset:1024
	s_and_saveexec_b32 s17, s0
	s_cbranch_execz .LBB177_42
.LBB177_60:                             ;   in Loop: Header=BB177_38 Depth=1
	v_cmp_gt_i32_e64 s1, s27, v105
	v_cmp_gt_i32_e32 vcc_lo, s14, v108
	v_cmp_gt_i32_e64 s2, s27, v107
	s_waitcnt vmcnt(0)
	v_cndmask_b32_e64 v13, 0, v9, s1
	v_cmp_gt_i32_e64 s1, s14, v106
	v_cndmask_b32_sdwa v9, v98, v9, vcc_lo dst_sel:DWORD dst_unused:UNUSED_PAD src0_sel:DWORD src1_sel:WORD_1
	v_cndmask_b32_e64 v14, 0, v10, s2
	v_cmp_gt_i32_e64 s2, s14, v104
	s_mov_b32 vcc_lo, s1
	v_cmp_gt_i32_e64 s1, s14, v76
	v_cndmask_b32_sdwa v10, v98, v10, vcc_lo dst_sel:DWORD dst_unused:UNUSED_PAD src0_sel:DWORD src1_sel:WORD_1
	v_cmp_gt_i32_e32 vcc_lo, s27, v77
	v_perm_b32 v9, v9, v13, 0x5040100
	v_perm_b32 v10, v10, v14, 0x5040100
	v_cndmask_b32_e32 v15, 0, v11, vcc_lo
	s_mov_b32 vcc_lo, s2
	v_cndmask_b32_sdwa v11, v98, v11, vcc_lo dst_sel:DWORD dst_unused:UNUSED_PAD src0_sel:DWORD src1_sel:WORD_1
	v_cmp_gt_i32_e32 vcc_lo, s27, v0
	v_perm_b32 v11, v11, v15, 0x5040100
	v_cndmask_b32_e32 v16, 0, v12, vcc_lo
	s_mov_b32 vcc_lo, s1
	v_cndmask_b32_sdwa v12, v98, v12, vcc_lo dst_sel:DWORD dst_unused:UNUSED_PAD src0_sel:DWORD src1_sel:WORD_1
	v_perm_b32 v12, v12, v16, 0x5040100
	s_or_b32 exec_lo, exec_lo, s17
	global_load_dwordx4 v[13:16], v[21:22], off offset:1536
	s_and_saveexec_b32 s17, s0
	s_cbranch_execnz .LBB177_43
	s_branch .LBB177_44
.LBB177_61:                             ;   in Loop: Header=BB177_38 Depth=1
	v_cmp_gt_i32_e64 s1, s27, v105
	v_cmp_gt_i32_e32 vcc_lo, s14, v108
	v_cmp_gt_i32_e64 s2, s27, v107
	s_waitcnt vmcnt(0)
	v_cndmask_b32_e64 v25, 0, v17, s1
	v_cmp_gt_i32_e64 s1, s14, v106
	v_cndmask_b32_sdwa v17, v98, v17, vcc_lo dst_sel:DWORD dst_unused:UNUSED_PAD src0_sel:DWORD src1_sel:WORD_1
	v_cndmask_b32_e64 v26, 0, v18, s2
	v_cmp_gt_i32_e64 s2, s14, v104
	s_mov_b32 vcc_lo, s1
	v_cmp_gt_i32_e64 s1, s14, v76
	v_cndmask_b32_sdwa v18, v98, v18, vcc_lo dst_sel:DWORD dst_unused:UNUSED_PAD src0_sel:DWORD src1_sel:WORD_1
	v_cmp_gt_i32_e32 vcc_lo, s27, v77
	v_perm_b32 v17, v17, v25, 0x5040100
	v_perm_b32 v18, v18, v26, 0x5040100
	v_cndmask_b32_e32 v27, 0, v19, vcc_lo
	s_mov_b32 vcc_lo, s2
	v_cndmask_b32_sdwa v19, v98, v19, vcc_lo dst_sel:DWORD dst_unused:UNUSED_PAD src0_sel:DWORD src1_sel:WORD_1
	v_cmp_gt_i32_e32 vcc_lo, s27, v0
	v_perm_b32 v19, v19, v27, 0x5040100
	v_cndmask_b32_e32 v28, 0, v20, vcc_lo
	s_mov_b32 vcc_lo, s1
	v_cndmask_b32_sdwa v20, v98, v20, vcc_lo dst_sel:DWORD dst_unused:UNUSED_PAD src0_sel:DWORD src1_sel:WORD_1
	v_perm_b32 v20, v20, v28, 0x5040100
	s_or_b32 exec_lo, exec_lo, s17
	global_load_dwordx4 v[25:28], v[23:24], off offset:512
	s_and_saveexec_b32 s17, s0
	s_cbranch_execz .LBB177_46
.LBB177_62:                             ;   in Loop: Header=BB177_38 Depth=1
	v_cmp_gt_i32_e64 s1, s27, v105
	v_cmp_gt_i32_e32 vcc_lo, s14, v108
	v_cmp_gt_i32_e64 s2, s27, v107
	s_waitcnt vmcnt(0)
	v_cndmask_b32_e64 v29, 0, v25, s1
	v_cmp_gt_i32_e64 s1, s14, v106
	v_cndmask_b32_sdwa v25, v98, v25, vcc_lo dst_sel:DWORD dst_unused:UNUSED_PAD src0_sel:DWORD src1_sel:WORD_1
	v_cndmask_b32_e64 v30, 0, v26, s2
	v_cmp_gt_i32_e64 s2, s14, v104
	s_mov_b32 vcc_lo, s1
	v_cmp_gt_i32_e64 s1, s14, v76
	v_cndmask_b32_sdwa v26, v98, v26, vcc_lo dst_sel:DWORD dst_unused:UNUSED_PAD src0_sel:DWORD src1_sel:WORD_1
	v_cmp_gt_i32_e32 vcc_lo, s27, v77
	v_perm_b32 v25, v25, v29, 0x5040100
	v_perm_b32 v26, v26, v30, 0x5040100
	v_cndmask_b32_e32 v31, 0, v27, vcc_lo
	s_mov_b32 vcc_lo, s2
	v_cndmask_b32_sdwa v27, v98, v27, vcc_lo dst_sel:DWORD dst_unused:UNUSED_PAD src0_sel:DWORD src1_sel:WORD_1
	v_cmp_gt_i32_e32 vcc_lo, s27, v0
	v_perm_b32 v27, v27, v31, 0x5040100
	v_cndmask_b32_e32 v32, 0, v28, vcc_lo
	s_mov_b32 vcc_lo, s1
	v_cndmask_b32_sdwa v28, v98, v28, vcc_lo dst_sel:DWORD dst_unused:UNUSED_PAD src0_sel:DWORD src1_sel:WORD_1
	v_perm_b32 v28, v28, v32, 0x5040100
	s_or_b32 exec_lo, exec_lo, s17
	global_load_dwordx4 v[29:32], v[23:24], off offset:1024
	s_and_saveexec_b32 s17, s0
	s_cbranch_execz .LBB177_47
.LBB177_63:                             ;   in Loop: Header=BB177_38 Depth=1
	v_cmp_gt_i32_e64 s1, s27, v105
	v_cmp_gt_i32_e32 vcc_lo, s14, v108
	v_cmp_gt_i32_e64 s2, s27, v107
	s_waitcnt vmcnt(0)
	v_cndmask_b32_e64 v33, 0, v29, s1
	v_cmp_gt_i32_e64 s1, s14, v106
	v_cndmask_b32_sdwa v29, v98, v29, vcc_lo dst_sel:DWORD dst_unused:UNUSED_PAD src0_sel:DWORD src1_sel:WORD_1
	v_cndmask_b32_e64 v34, 0, v30, s2
	v_cmp_gt_i32_e64 s2, s14, v104
	s_mov_b32 vcc_lo, s1
	v_cmp_gt_i32_e64 s1, s14, v76
	v_cndmask_b32_sdwa v30, v98, v30, vcc_lo dst_sel:DWORD dst_unused:UNUSED_PAD src0_sel:DWORD src1_sel:WORD_1
	v_cmp_gt_i32_e32 vcc_lo, s27, v77
	v_perm_b32 v29, v29, v33, 0x5040100
	v_perm_b32 v30, v30, v34, 0x5040100
	v_cndmask_b32_e32 v35, 0, v31, vcc_lo
	s_mov_b32 vcc_lo, s2
	v_cndmask_b32_sdwa v31, v98, v31, vcc_lo dst_sel:DWORD dst_unused:UNUSED_PAD src0_sel:DWORD src1_sel:WORD_1
	v_cmp_gt_i32_e32 vcc_lo, s27, v0
	v_perm_b32 v31, v31, v35, 0x5040100
	v_cndmask_b32_e32 v36, 0, v32, vcc_lo
	s_mov_b32 vcc_lo, s1
	v_cndmask_b32_sdwa v32, v98, v32, vcc_lo dst_sel:DWORD dst_unused:UNUSED_PAD src0_sel:DWORD src1_sel:WORD_1
	v_perm_b32 v32, v32, v36, 0x5040100
	s_or_b32 exec_lo, exec_lo, s17
	global_load_dwordx4 v[33:36], v[23:24], off offset:1536
	s_and_saveexec_b32 s17, s0
	s_cbranch_execnz .LBB177_48
	s_branch .LBB177_49
.LBB177_64:                             ;   in Loop: Header=BB177_38 Depth=1
	v_cmp_gt_i32_e64 s1, s27, v105
	v_cmp_gt_i32_e32 vcc_lo, s14, v108
	v_cmp_gt_i32_e64 s2, s27, v107
	s_waitcnt vmcnt(0)
	v_cndmask_b32_e64 v41, 0, v37, s1
	v_cmp_gt_i32_e64 s1, s14, v106
	v_cndmask_b32_sdwa v37, v98, v37, vcc_lo dst_sel:DWORD dst_unused:UNUSED_PAD src0_sel:DWORD src1_sel:WORD_1
	v_cndmask_b32_e64 v42, 0, v38, s2
	v_cmp_gt_i32_e64 s2, s14, v104
	s_mov_b32 vcc_lo, s1
	v_cmp_gt_i32_e64 s1, s14, v76
	v_cndmask_b32_sdwa v38, v98, v38, vcc_lo dst_sel:DWORD dst_unused:UNUSED_PAD src0_sel:DWORD src1_sel:WORD_1
	v_cmp_gt_i32_e32 vcc_lo, s27, v77
	v_perm_b32 v37, v37, v41, 0x5040100
	v_perm_b32 v38, v38, v42, 0x5040100
	v_cndmask_b32_e32 v43, 0, v39, vcc_lo
	s_mov_b32 vcc_lo, s2
	v_cndmask_b32_sdwa v39, v98, v39, vcc_lo dst_sel:DWORD dst_unused:UNUSED_PAD src0_sel:DWORD src1_sel:WORD_1
	v_cmp_gt_i32_e32 vcc_lo, s27, v0
	v_perm_b32 v39, v39, v43, 0x5040100
	v_cndmask_b32_e32 v44, 0, v40, vcc_lo
	s_mov_b32 vcc_lo, s1
	v_cndmask_b32_sdwa v40, v98, v40, vcc_lo dst_sel:DWORD dst_unused:UNUSED_PAD src0_sel:DWORD src1_sel:WORD_1
	v_perm_b32 v40, v40, v44, 0x5040100
	s_or_b32 exec_lo, exec_lo, s17
	global_load_dwordx4 v[41:44], v[23:24], off offset:512
	s_and_saveexec_b32 s17, s0
	s_cbranch_execz .LBB177_51
.LBB177_65:                             ;   in Loop: Header=BB177_38 Depth=1
	v_cmp_gt_i32_e64 s1, s27, v105
	v_cmp_gt_i32_e32 vcc_lo, s14, v108
	v_cmp_gt_i32_e64 s2, s27, v107
	s_waitcnt vmcnt(0)
	v_cndmask_b32_e64 v53, 0, v41, s1
	v_cmp_gt_i32_e64 s1, s14, v106
	v_cndmask_b32_sdwa v41, v98, v41, vcc_lo dst_sel:DWORD dst_unused:UNUSED_PAD src0_sel:DWORD src1_sel:WORD_1
	v_cndmask_b32_e64 v54, 0, v42, s2
	v_cmp_gt_i32_e64 s2, s14, v104
	s_mov_b32 vcc_lo, s1
	v_cmp_gt_i32_e64 s1, s14, v76
	v_cndmask_b32_sdwa v42, v98, v42, vcc_lo dst_sel:DWORD dst_unused:UNUSED_PAD src0_sel:DWORD src1_sel:WORD_1
	v_cmp_gt_i32_e32 vcc_lo, s27, v77
	v_perm_b32 v41, v41, v53, 0x5040100
	v_perm_b32 v42, v42, v54, 0x5040100
	v_cndmask_b32_e32 v55, 0, v43, vcc_lo
	s_mov_b32 vcc_lo, s2
	v_cndmask_b32_sdwa v43, v98, v43, vcc_lo dst_sel:DWORD dst_unused:UNUSED_PAD src0_sel:DWORD src1_sel:WORD_1
	v_cmp_gt_i32_e32 vcc_lo, s27, v0
	v_perm_b32 v43, v43, v55, 0x5040100
	v_cndmask_b32_e32 v56, 0, v44, vcc_lo
	s_mov_b32 vcc_lo, s1
	v_cndmask_b32_sdwa v44, v98, v44, vcc_lo dst_sel:DWORD dst_unused:UNUSED_PAD src0_sel:DWORD src1_sel:WORD_1
	v_perm_b32 v44, v44, v56, 0x5040100
	s_or_b32 exec_lo, exec_lo, s17
	global_load_dwordx4 v[53:56], v[23:24], off offset:1024
	s_and_saveexec_b32 s17, s0
	s_cbranch_execz .LBB177_52
.LBB177_66:                             ;   in Loop: Header=BB177_38 Depth=1
	v_cmp_gt_i32_e64 s1, s27, v105
	v_cmp_gt_i32_e32 vcc_lo, s14, v108
	v_cmp_gt_i32_e64 s2, s27, v107
	s_waitcnt vmcnt(0)
	v_cndmask_b32_e64 v57, 0, v53, s1
	v_cmp_gt_i32_e64 s1, s14, v106
	v_cndmask_b32_sdwa v53, v98, v53, vcc_lo dst_sel:DWORD dst_unused:UNUSED_PAD src0_sel:DWORD src1_sel:WORD_1
	v_cndmask_b32_e64 v58, 0, v54, s2
	v_cmp_gt_i32_e64 s2, s14, v104
	s_mov_b32 vcc_lo, s1
	v_cmp_gt_i32_e64 s1, s14, v76
	v_cndmask_b32_sdwa v54, v98, v54, vcc_lo dst_sel:DWORD dst_unused:UNUSED_PAD src0_sel:DWORD src1_sel:WORD_1
	v_cmp_gt_i32_e32 vcc_lo, s27, v77
	v_perm_b32 v53, v53, v57, 0x5040100
	v_perm_b32 v54, v54, v58, 0x5040100
	v_cndmask_b32_e32 v59, 0, v55, vcc_lo
	s_mov_b32 vcc_lo, s2
	v_cndmask_b32_sdwa v55, v98, v55, vcc_lo dst_sel:DWORD dst_unused:UNUSED_PAD src0_sel:DWORD src1_sel:WORD_1
	v_cmp_gt_i32_e32 vcc_lo, s27, v0
	v_perm_b32 v55, v55, v59, 0x5040100
	v_cndmask_b32_e32 v60, 0, v56, vcc_lo
	s_mov_b32 vcc_lo, s1
	v_cndmask_b32_sdwa v56, v98, v56, vcc_lo dst_sel:DWORD dst_unused:UNUSED_PAD src0_sel:DWORD src1_sel:WORD_1
	v_perm_b32 v56, v56, v60, 0x5040100
	s_or_b32 exec_lo, exec_lo, s17
	global_load_dwordx4 v[57:60], v[23:24], off offset:1536
	s_and_saveexec_b32 s17, s0
	s_cbranch_execnz .LBB177_53
	s_branch .LBB177_54
.LBB177_67:                             ;   in Loop: Header=BB177_38 Depth=1
	v_cmp_gt_i32_e64 s1, s27, v105
	v_cmp_gt_i32_e32 vcc_lo, s14, v108
	v_cmp_gt_i32_e64 s2, s27, v107
	s_waitcnt vmcnt(0)
	v_cndmask_b32_e64 v23, 0, v61, s1
	v_cmp_gt_i32_e64 s1, s14, v106
	v_cndmask_b32_sdwa v61, v98, v61, vcc_lo dst_sel:DWORD dst_unused:UNUSED_PAD src0_sel:DWORD src1_sel:WORD_1
	v_cndmask_b32_e64 v24, 0, v62, s2
	v_cmp_gt_i32_e64 s2, s14, v104
	s_mov_b32 vcc_lo, s1
	v_cmp_gt_i32_e64 s1, s14, v76
	v_cndmask_b32_sdwa v62, v98, v62, vcc_lo dst_sel:DWORD dst_unused:UNUSED_PAD src0_sel:DWORD src1_sel:WORD_1
	v_cmp_gt_i32_e32 vcc_lo, s27, v77
	v_perm_b32 v61, v61, v23, 0x5040100
	v_perm_b32 v62, v62, v24, 0x5040100
	v_cndmask_b32_e32 v65, 0, v63, vcc_lo
	s_mov_b32 vcc_lo, s2
	v_cndmask_b32_sdwa v63, v98, v63, vcc_lo dst_sel:DWORD dst_unused:UNUSED_PAD src0_sel:DWORD src1_sel:WORD_1
	v_cmp_gt_i32_e32 vcc_lo, s27, v0
	v_perm_b32 v63, v63, v65, 0x5040100
	v_cndmask_b32_e32 v66, 0, v64, vcc_lo
	s_mov_b32 vcc_lo, s1
	v_cndmask_b32_sdwa v64, v98, v64, vcc_lo dst_sel:DWORD dst_unused:UNUSED_PAD src0_sel:DWORD src1_sel:WORD_1
	v_perm_b32 v64, v64, v66, 0x5040100
	s_or_b32 exec_lo, exec_lo, s17
	global_load_dwordx4 v[65:68], v[21:22], off offset:512
	s_and_saveexec_b32 s17, s0
	s_cbranch_execz .LBB177_56
.LBB177_68:                             ;   in Loop: Header=BB177_38 Depth=1
	v_cmp_gt_i32_e64 s1, s27, v105
	v_cmp_gt_i32_e32 vcc_lo, s14, v108
	v_cmp_gt_i32_e64 s2, s27, v107
	s_waitcnt vmcnt(0)
	v_cndmask_b32_e64 v23, 0, v65, s1
	v_cmp_gt_i32_e64 s1, s14, v106
	v_cndmask_b32_sdwa v65, v98, v65, vcc_lo dst_sel:DWORD dst_unused:UNUSED_PAD src0_sel:DWORD src1_sel:WORD_1
	v_cndmask_b32_e64 v24, 0, v66, s2
	v_cmp_gt_i32_e64 s2, s14, v104
	s_mov_b32 vcc_lo, s1
	v_cmp_gt_i32_e64 s1, s14, v76
	v_cndmask_b32_sdwa v66, v98, v66, vcc_lo dst_sel:DWORD dst_unused:UNUSED_PAD src0_sel:DWORD src1_sel:WORD_1
	v_cmp_gt_i32_e32 vcc_lo, s27, v77
	v_perm_b32 v65, v65, v23, 0x5040100
	v_perm_b32 v66, v66, v24, 0x5040100
	v_cndmask_b32_e32 v69, 0, v67, vcc_lo
	s_mov_b32 vcc_lo, s2
	v_cndmask_b32_sdwa v67, v98, v67, vcc_lo dst_sel:DWORD dst_unused:UNUSED_PAD src0_sel:DWORD src1_sel:WORD_1
	v_cmp_gt_i32_e32 vcc_lo, s27, v0
	v_perm_b32 v67, v67, v69, 0x5040100
	v_cndmask_b32_e32 v70, 0, v68, vcc_lo
	s_mov_b32 vcc_lo, s1
	v_cndmask_b32_sdwa v68, v98, v68, vcc_lo dst_sel:DWORD dst_unused:UNUSED_PAD src0_sel:DWORD src1_sel:WORD_1
	v_perm_b32 v68, v68, v70, 0x5040100
	s_or_b32 exec_lo, exec_lo, s17
	global_load_dwordx4 v[69:72], v[21:22], off offset:1024
	s_and_saveexec_b32 s17, s0
	s_cbranch_execz .LBB177_57
.LBB177_69:                             ;   in Loop: Header=BB177_38 Depth=1
	v_cmp_gt_i32_e64 s1, s27, v105
	v_cmp_gt_i32_e32 vcc_lo, s14, v108
	v_cmp_gt_i32_e64 s2, s27, v107
	s_waitcnt vmcnt(0)
	v_cndmask_b32_e64 v23, 0, v69, s1
	v_cmp_gt_i32_e64 s1, s14, v106
	v_cndmask_b32_sdwa v69, v98, v69, vcc_lo dst_sel:DWORD dst_unused:UNUSED_PAD src0_sel:DWORD src1_sel:WORD_1
	v_cndmask_b32_e64 v24, 0, v70, s2
	v_cmp_gt_i32_e64 s2, s14, v104
	s_mov_b32 vcc_lo, s1
	v_cmp_gt_i32_e64 s1, s14, v76
	v_cndmask_b32_sdwa v70, v98, v70, vcc_lo dst_sel:DWORD dst_unused:UNUSED_PAD src0_sel:DWORD src1_sel:WORD_1
	v_cmp_gt_i32_e32 vcc_lo, s27, v77
	v_perm_b32 v69, v69, v23, 0x5040100
	v_perm_b32 v70, v70, v24, 0x5040100
	v_cndmask_b32_e32 v109, 0, v71, vcc_lo
	s_mov_b32 vcc_lo, s2
	v_cndmask_b32_sdwa v71, v98, v71, vcc_lo dst_sel:DWORD dst_unused:UNUSED_PAD src0_sel:DWORD src1_sel:WORD_1
	v_cmp_gt_i32_e32 vcc_lo, s27, v0
	v_perm_b32 v71, v71, v109, 0x5040100
	v_cndmask_b32_e32 v110, 0, v72, vcc_lo
	s_mov_b32 vcc_lo, s1
	v_cndmask_b32_sdwa v72, v98, v72, vcc_lo dst_sel:DWORD dst_unused:UNUSED_PAD src0_sel:DWORD src1_sel:WORD_1
	v_perm_b32 v72, v72, v110, 0x5040100
	s_or_b32 exec_lo, exec_lo, s17
	global_load_dwordx4 v[21:24], v[21:22], off offset:1536
	s_and_saveexec_b32 s2, s0
	s_cbranch_execz .LBB177_36
.LBB177_70:                             ;   in Loop: Header=BB177_38 Depth=1
	v_cmp_gt_i32_e64 s0, s27, v105
	v_cmp_gt_i32_e32 vcc_lo, s14, v108
	v_cmp_gt_i32_e64 s1, s27, v107
	s_waitcnt vmcnt(0)
	v_cndmask_b32_e64 v105, 0, v21, s0
	v_cmp_gt_i32_e64 s0, s14, v106
	v_cndmask_b32_sdwa v21, v98, v21, vcc_lo dst_sel:DWORD dst_unused:UNUSED_PAD src0_sel:DWORD src1_sel:WORD_1
	v_cndmask_b32_e64 v106, 0, v22, s1
	v_cmp_gt_i32_e64 s1, s14, v104
	s_mov_b32 vcc_lo, s0
	v_cmp_gt_i32_e64 s0, s14, v76
	v_cndmask_b32_sdwa v22, v98, v22, vcc_lo dst_sel:DWORD dst_unused:UNUSED_PAD src0_sel:DWORD src1_sel:WORD_1
	v_cmp_gt_i32_e32 vcc_lo, s27, v77
	v_perm_b32 v21, v21, v105, 0x5040100
	v_perm_b32 v22, v22, v106, 0x5040100
	v_cndmask_b32_e32 v77, 0, v23, vcc_lo
	s_mov_b32 vcc_lo, s1
	v_cndmask_b32_sdwa v23, v98, v23, vcc_lo dst_sel:DWORD dst_unused:UNUSED_PAD src0_sel:DWORD src1_sel:WORD_1
	v_cmp_gt_i32_e32 vcc_lo, s27, v0
	v_perm_b32 v23, v23, v77, 0x5040100
	v_cndmask_b32_e32 v0, 0, v24, vcc_lo
	s_mov_b32 vcc_lo, s0
	v_cndmask_b32_sdwa v24, v98, v24, vcc_lo dst_sel:DWORD dst_unused:UNUSED_PAD src0_sel:DWORD src1_sel:WORD_1
	v_perm_b32 v24, v24, v0, 0x5040100
	s_branch .LBB177_36
.LBB177_71:
	s_or_b32 exec_lo, exec_lo, s13
	v_mov_b32_e32 v39, v111
	v_mov_b32_e32 v40, v112
.LBB177_72:
	s_or_b32 exec_lo, exec_lo, s3
	ds_bpermute_b32 v0, v80, v97
	ds_bpermute_b32 v15, v80, v82
	ds_bpermute_b32 v1, v80, v96
	ds_bpermute_b32 v2, v80, v95
	ds_bpermute_b32 v3, v80, v94
	ds_bpermute_b32 v4, v80, v93
	ds_bpermute_b32 v5, v80, v92
	ds_bpermute_b32 v6, v80, v91
	ds_bpermute_b32 v7, v80, v90
	ds_bpermute_b32 v8, v80, v89
	ds_bpermute_b32 v9, v80, v88
	ds_bpermute_b32 v10, v80, v87
	ds_bpermute_b32 v11, v80, v86
	ds_bpermute_b32 v12, v80, v85
	ds_bpermute_b32 v13, v80, v84
	ds_bpermute_b32 v14, v80, v83
	s_mov_b32 s0, exec_lo
	s_waitcnt lgkmcnt(15)
	v_add_f32_e32 v0, v97, v0
	s_waitcnt lgkmcnt(14)
	v_add_f32_e32 v35, v82, v15
	;; [unrolled: 2-line block ×5, first 2 shown]
	ds_bpermute_b32 v16, v79, v0
	s_waitcnt lgkmcnt(11)
	v_add_f32_e32 v4, v93, v4
	s_waitcnt lgkmcnt(10)
	v_add_f32_e32 v5, v92, v5
	ds_bpermute_b32 v17, v79, v1
	s_waitcnt lgkmcnt(10)
	v_add_f32_e32 v6, v91, v6
	s_waitcnt lgkmcnt(9)
	v_add_f32_e32 v7, v90, v7
	;; [unrolled: 2-line block ×9, first 2 shown]
	ds_bpermute_b32 v18, v79, v2
	ds_bpermute_b32 v19, v79, v3
	;; [unrolled: 1-line block ×7, first 2 shown]
	s_waitcnt lgkmcnt(8)
	v_add_f32_e32 v15, v0, v16
	buffer_load_dword v16, off, s[48:51], 0 ; 4-byte Folded Reload
	ds_bpermute_b32 v28, v79, v23
	ds_bpermute_b32 v30, v79, v25
	;; [unrolled: 1-line block ×7, first 2 shown]
	s_waitcnt lgkmcnt(14)
	v_add_f32_e32 v14, v1, v17
	s_waitcnt vmcnt(0) lgkmcnt(0)
	s_waitcnt_vscnt null, 0x0
	s_barrier
	buffer_gl0_inv
	v_add_f32_e32 v13, v2, v18
	v_add_f32_e32 v12, v3, v19
	;; [unrolled: 1-line block ×7, first 2 shown]
	v_and_b32_e32 v19, 0x3c3, v39
	v_lshlrev_b32_e32 v18, 9, v40
	v_add_f32_e32 v6, v23, v28
	v_add_f32_e32 v5, v25, v30
	;; [unrolled: 1-line block ×7, first 2 shown]
	v_and_b32_e32 v17, 28, v16
	v_lshrrev_b32_e32 v16, 2, v16
	v_add_nc_u32_e32 v17, 0x120, v17
	v_cmpx_eq_u32_e32 64, v19
	s_cbranch_execz .LBB177_74
; %bb.73:
	v_add_nc_u32_e32 v19, v17, v18
	v_add_nc_u32_e32 v20, 0xfffffc00, v19
	;; [unrolled: 1-line block ×7, first 2 shown]
	ds_write_b32 v20, v15
	ds_write_b32 v21, v14
	;; [unrolled: 1-line block ×6, first 2 shown]
	v_add_nc_u32_e32 v20, 0xfffffcc0, v19
	v_add_nc_u32_e32 v21, 0xfffffce0, v19
	;; [unrolled: 1-line block ×5, first 2 shown]
	ds_write_b32 v20, v9
	ds_write_b32 v21, v8
	;; [unrolled: 1-line block ×5, first 2 shown]
	v_add_nc_u32_e32 v20, 0xfffffd60, v19
	v_add_nc_u32_e32 v21, 0xfffffd80, v19
	;; [unrolled: 1-line block ×5, first 2 shown]
	ds_write_b32 v20, v4
	ds_write_b32 v21, v3
	;; [unrolled: 1-line block ×5, first 2 shown]
.LBB177_74:
	s_or_b32 exec_lo, exec_lo, s0
	v_lshlrev_b32_e32 v16, 2, v16
	s_mov_b32 s1, exec_lo
	v_cmp_eq_u32_e32 vcc_lo, 0, v81
	s_waitcnt lgkmcnt(0)
	s_barrier
	v_add3_u32 v16, 0x120, v18, v16
	buffer_gl0_inv
	v_cmpx_gt_u32_e32 64, v39
	s_cbranch_execz .LBB177_93
; %bb.75:
	s_and_saveexec_b32 s0, vcc_lo
	s_cbranch_execnz .LBB177_117
; %bb.76:
	s_or_b32 exec_lo, exec_lo, s0
	s_and_saveexec_b32 s0, vcc_lo
	s_cbranch_execnz .LBB177_118
.LBB177_77:
	s_or_b32 exec_lo, exec_lo, s0
	s_and_saveexec_b32 s0, vcc_lo
	s_cbranch_execnz .LBB177_119
.LBB177_78:
	s_or_b32 exec_lo, exec_lo, s0
	s_and_saveexec_b32 s0, vcc_lo
	s_cbranch_execnz .LBB177_120
.LBB177_79:
	s_or_b32 exec_lo, exec_lo, s0
	s_and_saveexec_b32 s0, vcc_lo
	s_cbranch_execnz .LBB177_121
.LBB177_80:
	s_or_b32 exec_lo, exec_lo, s0
	s_and_saveexec_b32 s0, vcc_lo
	s_cbranch_execnz .LBB177_122
.LBB177_81:
	s_or_b32 exec_lo, exec_lo, s0
	s_and_saveexec_b32 s0, vcc_lo
	s_cbranch_execnz .LBB177_123
.LBB177_82:
	s_or_b32 exec_lo, exec_lo, s0
	s_and_saveexec_b32 s0, vcc_lo
	s_cbranch_execnz .LBB177_124
.LBB177_83:
	s_or_b32 exec_lo, exec_lo, s0
	s_and_saveexec_b32 s0, vcc_lo
	s_cbranch_execnz .LBB177_125
.LBB177_84:
	s_or_b32 exec_lo, exec_lo, s0
	s_and_saveexec_b32 s0, vcc_lo
	s_cbranch_execnz .LBB177_126
.LBB177_85:
	s_or_b32 exec_lo, exec_lo, s0
	s_and_saveexec_b32 s0, vcc_lo
	s_cbranch_execnz .LBB177_127
.LBB177_86:
	s_or_b32 exec_lo, exec_lo, s0
	s_and_saveexec_b32 s0, vcc_lo
	s_cbranch_execnz .LBB177_128
.LBB177_87:
	s_or_b32 exec_lo, exec_lo, s0
	s_and_saveexec_b32 s0, vcc_lo
	s_cbranch_execnz .LBB177_129
.LBB177_88:
	s_or_b32 exec_lo, exec_lo, s0
	s_and_saveexec_b32 s0, vcc_lo
	s_cbranch_execnz .LBB177_130
.LBB177_89:
	s_or_b32 exec_lo, exec_lo, s0
	s_and_saveexec_b32 s0, vcc_lo
	s_cbranch_execnz .LBB177_131
.LBB177_90:
	s_or_b32 exec_lo, exec_lo, s0
	s_and_saveexec_b32 s0, vcc_lo
	s_cbranch_execz .LBB177_92
.LBB177_91:
	ds_read_b32 v18, v16 offset:480
	s_waitcnt lgkmcnt(0)
	v_add_f32_e32 v2, v2, v18
.LBB177_92:
	s_or_b32 exec_lo, exec_lo, s0
.LBB177_93:
	s_or_b32 exec_lo, exec_lo, s1
	v_and_b32_e32 v18, 0x3e3, v39
	s_mov_b32 s1, exec_lo
	s_barrier
	buffer_gl0_inv
	v_cmpx_eq_u32_e32 32, v18
	s_cbranch_execz .LBB177_95
; %bb.94:
	ds_write2_b32 v17, v15, v14 offset1:8
	ds_write2_b32 v17, v13, v12 offset0:16 offset1:24
	ds_write2_b32 v17, v11, v10 offset0:32 offset1:40
	;; [unrolled: 1-line block ×7, first 2 shown]
.LBB177_95:
	s_or_b32 exec_lo, exec_lo, s1
	s_mov_b32 s1, exec_lo
	s_waitcnt lgkmcnt(0)
	s_barrier
	buffer_gl0_inv
	v_cmpx_gt_u32_e32 32, v39
	s_cbranch_execz .LBB177_114
; %bb.96:
	s_and_saveexec_b32 s0, vcc_lo
	s_cbranch_execnz .LBB177_132
; %bb.97:
	s_or_b32 exec_lo, exec_lo, s0
	s_and_saveexec_b32 s0, vcc_lo
	s_cbranch_execnz .LBB177_133
.LBB177_98:
	s_or_b32 exec_lo, exec_lo, s0
	s_and_saveexec_b32 s0, vcc_lo
	s_cbranch_execnz .LBB177_134
.LBB177_99:
	s_or_b32 exec_lo, exec_lo, s0
	s_and_saveexec_b32 s0, vcc_lo
	s_cbranch_execnz .LBB177_135
.LBB177_100:
	s_or_b32 exec_lo, exec_lo, s0
	s_and_saveexec_b32 s0, vcc_lo
	s_cbranch_execnz .LBB177_136
.LBB177_101:
	s_or_b32 exec_lo, exec_lo, s0
	s_and_saveexec_b32 s0, vcc_lo
	s_cbranch_execnz .LBB177_137
.LBB177_102:
	s_or_b32 exec_lo, exec_lo, s0
	s_and_saveexec_b32 s0, vcc_lo
	s_cbranch_execnz .LBB177_138
.LBB177_103:
	s_or_b32 exec_lo, exec_lo, s0
	s_and_saveexec_b32 s0, vcc_lo
	s_cbranch_execnz .LBB177_139
.LBB177_104:
	s_or_b32 exec_lo, exec_lo, s0
	s_and_saveexec_b32 s0, vcc_lo
	s_cbranch_execnz .LBB177_140
.LBB177_105:
	s_or_b32 exec_lo, exec_lo, s0
	s_and_saveexec_b32 s0, vcc_lo
	s_cbranch_execnz .LBB177_141
.LBB177_106:
	s_or_b32 exec_lo, exec_lo, s0
	s_and_saveexec_b32 s0, vcc_lo
	s_cbranch_execnz .LBB177_142
.LBB177_107:
	s_or_b32 exec_lo, exec_lo, s0
	s_and_saveexec_b32 s0, vcc_lo
	s_cbranch_execnz .LBB177_143
.LBB177_108:
	s_or_b32 exec_lo, exec_lo, s0
	s_and_saveexec_b32 s0, vcc_lo
	s_cbranch_execnz .LBB177_144
.LBB177_109:
	s_or_b32 exec_lo, exec_lo, s0
	s_and_saveexec_b32 s0, vcc_lo
	s_cbranch_execnz .LBB177_145
.LBB177_110:
	s_or_b32 exec_lo, exec_lo, s0
	s_and_saveexec_b32 s0, vcc_lo
	s_cbranch_execnz .LBB177_146
.LBB177_111:
	s_or_b32 exec_lo, exec_lo, s0
	s_and_saveexec_b32 s0, vcc_lo
	s_cbranch_execz .LBB177_113
.LBB177_112:
	ds_read_b32 v16, v16 offset:480
	s_waitcnt lgkmcnt(0)
	v_add_f32_e32 v2, v2, v16
.LBB177_113:
	s_or_b32 exec_lo, exec_lo, s0
.LBB177_114:
	s_or_b32 exec_lo, exec_lo, s1
	s_barrier
	buffer_gl0_inv
	s_mov_b32 s0, exec_lo
	v_cmpx_eq_u32_e32 0, v18
	s_cbranch_execz .LBB177_116
; %bb.115:
	s_lshl_b32 s0, s4, 7
	s_mul_i32 s2, s7, s10
	s_ashr_i32 s1, s0, 31
	v_bfe_u32 v17, v15, 16, 1
	s_lshl_b64 s[0:1], s[0:1], 1
	v_or_b32_e32 v18, 0x400000, v15
	s_add_u32 s4, s24, s0
	s_addc_u32 s5, s25, s1
	s_ashr_i32 s3, s2, 31
	v_add3_u32 v17, v17, v15, 0x7fff
	s_lshl_b64 s[0:1], s[2:3], 1
	v_bfe_u32 v19, v14, 16, 1
	s_add_u32 s2, s4, s0
	v_cmp_u_f32_e32 vcc_lo, v15, v15
	s_addc_u32 s3, s5, s1
	s_lshl_b32 s0, s8, 7
	v_lshrrev_b32_e32 v16, 1, v39
	s_ashr_i32 s1, s0, 31
	v_cndmask_b32_e32 v15, v17, v18, vcc_lo
	s_lshl_b64 s[0:1], s[0:1], 1
	v_bfe_u32 v17, v13, 16, 1
	v_add3_u32 v18, v19, v14, 0x7fff
	v_or_b32_e32 v19, 0x400000, v14
	v_cmp_u_f32_e32 vcc_lo, v14, v14
	s_add_u32 s0, s2, s0
	s_addc_u32 s1, s3, s1
	global_store_short_d16_hi v16, v15, s[0:1]
	v_add3_u32 v15, v17, v13, 0x7fff
	v_or_b32_e32 v17, 0x400000, v13
	v_cndmask_b32_e32 v14, v18, v19, vcc_lo
	v_bfe_u32 v18, v12, 16, 1
	v_cmp_u_f32_e32 vcc_lo, v13, v13
	global_store_short_d16_hi v16, v14, s[0:1] offset:16
	v_add3_u32 v14, v18, v12, 0x7fff
	v_cndmask_b32_e32 v13, v15, v17, vcc_lo
	v_bfe_u32 v15, v11, 16, 1
	v_or_b32_e32 v17, 0x400000, v12
	v_cmp_u_f32_e32 vcc_lo, v12, v12
	global_store_short_d16_hi v16, v13, s[0:1] offset:32
	v_add3_u32 v13, v15, v11, 0x7fff
	v_or_b32_e32 v15, 0x400000, v11
	v_cndmask_b32_e32 v12, v14, v17, vcc_lo
	v_bfe_u32 v14, v10, 16, 1
	v_cmp_u_f32_e32 vcc_lo, v11, v11
	global_store_short_d16_hi v16, v12, s[0:1] offset:48
	v_add3_u32 v12, v14, v10, 0x7fff
	v_cndmask_b32_e32 v11, v13, v15, vcc_lo
	v_bfe_u32 v13, v9, 16, 1
	v_or_b32_e32 v14, 0x400000, v10
	v_cmp_u_f32_e32 vcc_lo, v10, v10
	global_store_short_d16_hi v16, v11, s[0:1] offset:64
	;; [unrolled: 12-line block ×4, first 2 shown]
	v_add3_u32 v7, v9, v5, 0x7fff
	v_or_b32_e32 v9, 0x400000, v5
	v_cndmask_b32_e32 v6, v8, v10, vcc_lo
	v_bfe_u32 v8, v4, 16, 1
	v_cmp_u_f32_e32 vcc_lo, v5, v5
	v_or_b32_e32 v10, 0x400000, v2
	global_store_short_d16_hi v16, v6, s[0:1] offset:144
	v_add3_u32 v6, v8, v4, 0x7fff
	v_cndmask_b32_e32 v5, v7, v9, vcc_lo
	v_bfe_u32 v7, v3, 16, 1
	v_or_b32_e32 v8, 0x400000, v4
	v_cmp_u_f32_e32 vcc_lo, v4, v4
	v_or_b32_e32 v9, 0x400000, v1
	global_store_short_d16_hi v16, v5, s[0:1] offset:160
	v_add3_u32 v5, v7, v3, 0x7fff
	v_or_b32_e32 v7, 0x400000, v3
	v_cndmask_b32_e32 v4, v6, v8, vcc_lo
	v_bfe_u32 v6, v0, 16, 1
	v_cmp_u_f32_e32 vcc_lo, v3, v3
	v_bfe_u32 v8, v1, 16, 1
	v_add3_u32 v6, v6, v0, 0x7fff
	v_cndmask_b32_e32 v3, v5, v7, vcc_lo
	v_or_b32_e32 v7, 0x400000, v0
	v_cmp_u_f32_e32 vcc_lo, v0, v0
	v_bfe_u32 v5, v2, 16, 1
	v_add3_u32 v8, v8, v1, 0x7fff
	v_cndmask_b32_e32 v0, v6, v7, vcc_lo
	v_cmp_u_f32_e32 vcc_lo, v1, v1
	v_add3_u32 v5, v5, v2, 0x7fff
	v_cndmask_b32_e32 v1, v8, v9, vcc_lo
	v_cmp_u_f32_e32 vcc_lo, v2, v2
	v_cndmask_b32_e32 v2, v5, v10, vcc_lo
	global_store_short_d16_hi v16, v4, s[0:1] offset:176
	global_store_short_d16_hi v16, v3, s[0:1] offset:192
	;; [unrolled: 1-line block ×5, first 2 shown]
.LBB177_116:
	s_endpgm
.LBB177_117:
	ds_read_b32 v18, v16
	s_waitcnt lgkmcnt(0)
	v_add_f32_e32 v15, v15, v18
	s_or_b32 exec_lo, exec_lo, s0
	s_and_saveexec_b32 s0, vcc_lo
	s_cbranch_execz .LBB177_77
.LBB177_118:
	ds_read_b32 v18, v16 offset:32
	s_waitcnt lgkmcnt(0)
	v_add_f32_e32 v14, v14, v18
	s_or_b32 exec_lo, exec_lo, s0
	s_and_saveexec_b32 s0, vcc_lo
	s_cbranch_execz .LBB177_78
.LBB177_119:
	ds_read_b32 v18, v16 offset:64
	s_waitcnt lgkmcnt(0)
	v_add_f32_e32 v13, v13, v18
	s_or_b32 exec_lo, exec_lo, s0
	s_and_saveexec_b32 s0, vcc_lo
	s_cbranch_execz .LBB177_79
.LBB177_120:
	ds_read_b32 v18, v16 offset:96
	s_waitcnt lgkmcnt(0)
	v_add_f32_e32 v12, v12, v18
	s_or_b32 exec_lo, exec_lo, s0
	s_and_saveexec_b32 s0, vcc_lo
	s_cbranch_execz .LBB177_80
.LBB177_121:
	ds_read_b32 v18, v16 offset:128
	s_waitcnt lgkmcnt(0)
	v_add_f32_e32 v11, v11, v18
	s_or_b32 exec_lo, exec_lo, s0
	s_and_saveexec_b32 s0, vcc_lo
	s_cbranch_execz .LBB177_81
.LBB177_122:
	ds_read_b32 v18, v16 offset:160
	s_waitcnt lgkmcnt(0)
	v_add_f32_e32 v10, v10, v18
	s_or_b32 exec_lo, exec_lo, s0
	s_and_saveexec_b32 s0, vcc_lo
	s_cbranch_execz .LBB177_82
.LBB177_123:
	ds_read_b32 v18, v16 offset:192
	s_waitcnt lgkmcnt(0)
	v_add_f32_e32 v9, v9, v18
	s_or_b32 exec_lo, exec_lo, s0
	s_and_saveexec_b32 s0, vcc_lo
	s_cbranch_execz .LBB177_83
.LBB177_124:
	ds_read_b32 v18, v16 offset:224
	s_waitcnt lgkmcnt(0)
	v_add_f32_e32 v8, v8, v18
	s_or_b32 exec_lo, exec_lo, s0
	s_and_saveexec_b32 s0, vcc_lo
	s_cbranch_execz .LBB177_84
.LBB177_125:
	ds_read_b32 v18, v16 offset:256
	s_waitcnt lgkmcnt(0)
	v_add_f32_e32 v7, v7, v18
	s_or_b32 exec_lo, exec_lo, s0
	s_and_saveexec_b32 s0, vcc_lo
	s_cbranch_execz .LBB177_85
.LBB177_126:
	ds_read_b32 v18, v16 offset:288
	s_waitcnt lgkmcnt(0)
	v_add_f32_e32 v6, v6, v18
	s_or_b32 exec_lo, exec_lo, s0
	s_and_saveexec_b32 s0, vcc_lo
	s_cbranch_execz .LBB177_86
.LBB177_127:
	ds_read_b32 v18, v16 offset:320
	s_waitcnt lgkmcnt(0)
	v_add_f32_e32 v5, v5, v18
	s_or_b32 exec_lo, exec_lo, s0
	s_and_saveexec_b32 s0, vcc_lo
	s_cbranch_execz .LBB177_87
.LBB177_128:
	ds_read_b32 v18, v16 offset:352
	s_waitcnt lgkmcnt(0)
	v_add_f32_e32 v4, v4, v18
	s_or_b32 exec_lo, exec_lo, s0
	s_and_saveexec_b32 s0, vcc_lo
	s_cbranch_execz .LBB177_88
.LBB177_129:
	ds_read_b32 v18, v16 offset:384
	s_waitcnt lgkmcnt(0)
	v_add_f32_e32 v3, v3, v18
	s_or_b32 exec_lo, exec_lo, s0
	s_and_saveexec_b32 s0, vcc_lo
	s_cbranch_execz .LBB177_89
.LBB177_130:
	ds_read_b32 v18, v16 offset:416
	s_waitcnt lgkmcnt(0)
	v_add_f32_e32 v0, v0, v18
	s_or_b32 exec_lo, exec_lo, s0
	s_and_saveexec_b32 s0, vcc_lo
	s_cbranch_execz .LBB177_90
.LBB177_131:
	ds_read_b32 v18, v16 offset:448
	s_waitcnt lgkmcnt(0)
	v_add_f32_e32 v1, v1, v18
	s_or_b32 exec_lo, exec_lo, s0
	s_and_saveexec_b32 s0, vcc_lo
	s_cbranch_execnz .LBB177_91
	s_branch .LBB177_92
.LBB177_132:
	ds_read_b32 v17, v16
	s_waitcnt lgkmcnt(0)
	v_add_f32_e32 v15, v15, v17
	s_or_b32 exec_lo, exec_lo, s0
	s_and_saveexec_b32 s0, vcc_lo
	s_cbranch_execz .LBB177_98
.LBB177_133:
	ds_read_b32 v17, v16 offset:32
	s_waitcnt lgkmcnt(0)
	v_add_f32_e32 v14, v14, v17
	s_or_b32 exec_lo, exec_lo, s0
	s_and_saveexec_b32 s0, vcc_lo
	s_cbranch_execz .LBB177_99
.LBB177_134:
	ds_read_b32 v17, v16 offset:64
	s_waitcnt lgkmcnt(0)
	v_add_f32_e32 v13, v13, v17
	s_or_b32 exec_lo, exec_lo, s0
	s_and_saveexec_b32 s0, vcc_lo
	s_cbranch_execz .LBB177_100
.LBB177_135:
	ds_read_b32 v17, v16 offset:96
	s_waitcnt lgkmcnt(0)
	v_add_f32_e32 v12, v12, v17
	s_or_b32 exec_lo, exec_lo, s0
	s_and_saveexec_b32 s0, vcc_lo
	s_cbranch_execz .LBB177_101
.LBB177_136:
	ds_read_b32 v17, v16 offset:128
	s_waitcnt lgkmcnt(0)
	v_add_f32_e32 v11, v11, v17
	s_or_b32 exec_lo, exec_lo, s0
	s_and_saveexec_b32 s0, vcc_lo
	s_cbranch_execz .LBB177_102
.LBB177_137:
	ds_read_b32 v17, v16 offset:160
	s_waitcnt lgkmcnt(0)
	v_add_f32_e32 v10, v10, v17
	s_or_b32 exec_lo, exec_lo, s0
	s_and_saveexec_b32 s0, vcc_lo
	s_cbranch_execz .LBB177_103
.LBB177_138:
	ds_read_b32 v17, v16 offset:192
	s_waitcnt lgkmcnt(0)
	v_add_f32_e32 v9, v9, v17
	s_or_b32 exec_lo, exec_lo, s0
	s_and_saveexec_b32 s0, vcc_lo
	s_cbranch_execz .LBB177_104
.LBB177_139:
	ds_read_b32 v17, v16 offset:224
	s_waitcnt lgkmcnt(0)
	v_add_f32_e32 v8, v8, v17
	s_or_b32 exec_lo, exec_lo, s0
	s_and_saveexec_b32 s0, vcc_lo
	s_cbranch_execz .LBB177_105
.LBB177_140:
	ds_read_b32 v17, v16 offset:256
	s_waitcnt lgkmcnt(0)
	v_add_f32_e32 v7, v7, v17
	s_or_b32 exec_lo, exec_lo, s0
	s_and_saveexec_b32 s0, vcc_lo
	s_cbranch_execz .LBB177_106
.LBB177_141:
	ds_read_b32 v17, v16 offset:288
	s_waitcnt lgkmcnt(0)
	v_add_f32_e32 v6, v6, v17
	s_or_b32 exec_lo, exec_lo, s0
	s_and_saveexec_b32 s0, vcc_lo
	s_cbranch_execz .LBB177_107
.LBB177_142:
	ds_read_b32 v17, v16 offset:320
	s_waitcnt lgkmcnt(0)
	v_add_f32_e32 v5, v5, v17
	s_or_b32 exec_lo, exec_lo, s0
	s_and_saveexec_b32 s0, vcc_lo
	s_cbranch_execz .LBB177_108
.LBB177_143:
	ds_read_b32 v17, v16 offset:352
	s_waitcnt lgkmcnt(0)
	v_add_f32_e32 v4, v4, v17
	s_or_b32 exec_lo, exec_lo, s0
	s_and_saveexec_b32 s0, vcc_lo
	s_cbranch_execz .LBB177_109
.LBB177_144:
	ds_read_b32 v17, v16 offset:384
	s_waitcnt lgkmcnt(0)
	v_add_f32_e32 v3, v3, v17
	s_or_b32 exec_lo, exec_lo, s0
	s_and_saveexec_b32 s0, vcc_lo
	s_cbranch_execz .LBB177_110
.LBB177_145:
	ds_read_b32 v17, v16 offset:416
	s_waitcnt lgkmcnt(0)
	v_add_f32_e32 v0, v0, v17
	s_or_b32 exec_lo, exec_lo, s0
	s_and_saveexec_b32 s0, vcc_lo
	s_cbranch_execz .LBB177_111
.LBB177_146:
	ds_read_b32 v17, v16 offset:448
	s_waitcnt lgkmcnt(0)
	v_add_f32_e32 v1, v1, v17
	s_or_b32 exec_lo, exec_lo, s0
	s_and_saveexec_b32 s0, vcc_lo
	s_cbranch_execnz .LBB177_112
	s_branch .LBB177_113
	.section	.rodata,"a",@progbits
	.p2align	6, 0x0
	.amdhsa_kernel _ZN4vllm25paged_attention_v2_kernelI14__hip_bfloat16S1_Li128ELi32ELi128ELNS_18Fp8KVCacheDataTypeE0ELb1ELi512EEEvPfS3_PT_PKS4_PKT0_SA_ifPKiSC_iPKfiiiSE_SE_iiiii
		.amdhsa_group_segment_fixed_size 288
		.amdhsa_private_segment_fixed_size 340
		.amdhsa_kernarg_size 400
		.amdhsa_user_sgpr_count 6
		.amdhsa_user_sgpr_private_segment_buffer 1
		.amdhsa_user_sgpr_dispatch_ptr 0
		.amdhsa_user_sgpr_queue_ptr 0
		.amdhsa_user_sgpr_kernarg_segment_ptr 1
		.amdhsa_user_sgpr_dispatch_id 0
		.amdhsa_user_sgpr_flat_scratch_init 0
		.amdhsa_user_sgpr_private_segment_size 0
		.amdhsa_wavefront_size32 1
		.amdhsa_uses_dynamic_stack 0
		.amdhsa_system_sgpr_private_segment_wavefront_offset 1
		.amdhsa_system_sgpr_workgroup_id_x 1
		.amdhsa_system_sgpr_workgroup_id_y 1
		.amdhsa_system_sgpr_workgroup_id_z 1
		.amdhsa_system_sgpr_workgroup_info 0
		.amdhsa_system_vgpr_workitem_id 0
		.amdhsa_next_free_vgpr 128
		.amdhsa_next_free_sgpr 52
		.amdhsa_reserve_vcc 1
		.amdhsa_reserve_flat_scratch 0
		.amdhsa_float_round_mode_32 0
		.amdhsa_float_round_mode_16_64 0
		.amdhsa_float_denorm_mode_32 3
		.amdhsa_float_denorm_mode_16_64 3
		.amdhsa_dx10_clamp 1
		.amdhsa_ieee_mode 1
		.amdhsa_fp16_overflow 0
		.amdhsa_workgroup_processor_mode 1
		.amdhsa_memory_ordered 1
		.amdhsa_forward_progress 1
		.amdhsa_shared_vgpr_count 0
		.amdhsa_exception_fp_ieee_invalid_op 0
		.amdhsa_exception_fp_denorm_src 0
		.amdhsa_exception_fp_ieee_div_zero 0
		.amdhsa_exception_fp_ieee_overflow 0
		.amdhsa_exception_fp_ieee_underflow 0
		.amdhsa_exception_fp_ieee_inexact 0
		.amdhsa_exception_int_div_zero 0
	.end_amdhsa_kernel
	.section	.text._ZN4vllm25paged_attention_v2_kernelI14__hip_bfloat16S1_Li128ELi32ELi128ELNS_18Fp8KVCacheDataTypeE0ELb1ELi512EEEvPfS3_PT_PKS4_PKT0_SA_ifPKiSC_iPKfiiiSE_SE_iiiii,"axG",@progbits,_ZN4vllm25paged_attention_v2_kernelI14__hip_bfloat16S1_Li128ELi32ELi128ELNS_18Fp8KVCacheDataTypeE0ELb1ELi512EEEvPfS3_PT_PKS4_PKT0_SA_ifPKiSC_iPKfiiiSE_SE_iiiii,comdat
.Lfunc_end177:
	.size	_ZN4vllm25paged_attention_v2_kernelI14__hip_bfloat16S1_Li128ELi32ELi128ELNS_18Fp8KVCacheDataTypeE0ELb1ELi512EEEvPfS3_PT_PKS4_PKT0_SA_ifPKiSC_iPKfiiiSE_SE_iiiii, .Lfunc_end177-_ZN4vllm25paged_attention_v2_kernelI14__hip_bfloat16S1_Li128ELi32ELi128ELNS_18Fp8KVCacheDataTypeE0ELb1ELi512EEEvPfS3_PT_PKS4_PKT0_SA_ifPKiSC_iPKfiiiSE_SE_iiiii
                                        ; -- End function
	.set _ZN4vllm25paged_attention_v2_kernelI14__hip_bfloat16S1_Li128ELi32ELi128ELNS_18Fp8KVCacheDataTypeE0ELb1ELi512EEEvPfS3_PT_PKS4_PKT0_SA_ifPKiSC_iPKfiiiSE_SE_iiiii.num_vgpr, 128
	.set _ZN4vllm25paged_attention_v2_kernelI14__hip_bfloat16S1_Li128ELi32ELi128ELNS_18Fp8KVCacheDataTypeE0ELb1ELi512EEEvPfS3_PT_PKS4_PKT0_SA_ifPKiSC_iPKfiiiSE_SE_iiiii.num_agpr, 0
	.set _ZN4vllm25paged_attention_v2_kernelI14__hip_bfloat16S1_Li128ELi32ELi128ELNS_18Fp8KVCacheDataTypeE0ELb1ELi512EEEvPfS3_PT_PKS4_PKT0_SA_ifPKiSC_iPKfiiiSE_SE_iiiii.numbered_sgpr, 52
	.set _ZN4vllm25paged_attention_v2_kernelI14__hip_bfloat16S1_Li128ELi32ELi128ELNS_18Fp8KVCacheDataTypeE0ELb1ELi512EEEvPfS3_PT_PKS4_PKT0_SA_ifPKiSC_iPKfiiiSE_SE_iiiii.num_named_barrier, 0
	.set _ZN4vllm25paged_attention_v2_kernelI14__hip_bfloat16S1_Li128ELi32ELi128ELNS_18Fp8KVCacheDataTypeE0ELb1ELi512EEEvPfS3_PT_PKS4_PKT0_SA_ifPKiSC_iPKfiiiSE_SE_iiiii.private_seg_size, 340
	.set _ZN4vllm25paged_attention_v2_kernelI14__hip_bfloat16S1_Li128ELi32ELi128ELNS_18Fp8KVCacheDataTypeE0ELb1ELi512EEEvPfS3_PT_PKS4_PKT0_SA_ifPKiSC_iPKfiiiSE_SE_iiiii.uses_vcc, 1
	.set _ZN4vllm25paged_attention_v2_kernelI14__hip_bfloat16S1_Li128ELi32ELi128ELNS_18Fp8KVCacheDataTypeE0ELb1ELi512EEEvPfS3_PT_PKS4_PKT0_SA_ifPKiSC_iPKfiiiSE_SE_iiiii.uses_flat_scratch, 0
	.set _ZN4vllm25paged_attention_v2_kernelI14__hip_bfloat16S1_Li128ELi32ELi128ELNS_18Fp8KVCacheDataTypeE0ELb1ELi512EEEvPfS3_PT_PKS4_PKT0_SA_ifPKiSC_iPKfiiiSE_SE_iiiii.has_dyn_sized_stack, 0
	.set _ZN4vllm25paged_attention_v2_kernelI14__hip_bfloat16S1_Li128ELi32ELi128ELNS_18Fp8KVCacheDataTypeE0ELb1ELi512EEEvPfS3_PT_PKS4_PKT0_SA_ifPKiSC_iPKfiiiSE_SE_iiiii.has_recursion, 0
	.set _ZN4vllm25paged_attention_v2_kernelI14__hip_bfloat16S1_Li128ELi32ELi128ELNS_18Fp8KVCacheDataTypeE0ELb1ELi512EEEvPfS3_PT_PKS4_PKT0_SA_ifPKiSC_iPKfiiiSE_SE_iiiii.has_indirect_call, 0
	.section	.AMDGPU.csdata,"",@progbits
; Kernel info:
; codeLenInByte = 21520
; TotalNumSgprs: 54
; NumVgprs: 128
; ScratchSize: 340
; MemoryBound: 0
; FloatMode: 240
; IeeeMode: 1
; LDSByteSize: 288 bytes/workgroup (compile time only)
; SGPRBlocks: 0
; VGPRBlocks: 15
; NumSGPRsForWavesPerEU: 54
; NumVGPRsForWavesPerEU: 128
; Occupancy: 8
; WaveLimiterHint : 1
; COMPUTE_PGM_RSRC2:SCRATCH_EN: 1
; COMPUTE_PGM_RSRC2:USER_SGPR: 6
; COMPUTE_PGM_RSRC2:TRAP_HANDLER: 0
; COMPUTE_PGM_RSRC2:TGID_X_EN: 1
; COMPUTE_PGM_RSRC2:TGID_Y_EN: 1
; COMPUTE_PGM_RSRC2:TGID_Z_EN: 1
; COMPUTE_PGM_RSRC2:TIDIG_COMP_CNT: 0
	.section	.text._ZN4vllm25paged_attention_v2_kernelI14__hip_bfloat16S1_Li192ELi32ELi128ELNS_18Fp8KVCacheDataTypeE0ELb1ELi512EEEvPfS3_PT_PKS4_PKT0_SA_ifPKiSC_iPKfiiiSE_SE_iiiii,"axG",@progbits,_ZN4vllm25paged_attention_v2_kernelI14__hip_bfloat16S1_Li192ELi32ELi128ELNS_18Fp8KVCacheDataTypeE0ELb1ELi512EEEvPfS3_PT_PKS4_PKT0_SA_ifPKiSC_iPKfiiiSE_SE_iiiii,comdat
	.protected	_ZN4vllm25paged_attention_v2_kernelI14__hip_bfloat16S1_Li192ELi32ELi128ELNS_18Fp8KVCacheDataTypeE0ELb1ELi512EEEvPfS3_PT_PKS4_PKT0_SA_ifPKiSC_iPKfiiiSE_SE_iiiii ; -- Begin function _ZN4vllm25paged_attention_v2_kernelI14__hip_bfloat16S1_Li192ELi32ELi128ELNS_18Fp8KVCacheDataTypeE0ELb1ELi512EEEvPfS3_PT_PKS4_PKT0_SA_ifPKiSC_iPKfiiiSE_SE_iiiii
	.globl	_ZN4vllm25paged_attention_v2_kernelI14__hip_bfloat16S1_Li192ELi32ELi128ELNS_18Fp8KVCacheDataTypeE0ELb1ELi512EEEvPfS3_PT_PKS4_PKT0_SA_ifPKiSC_iPKfiiiSE_SE_iiiii
	.p2align	8
	.type	_ZN4vllm25paged_attention_v2_kernelI14__hip_bfloat16S1_Li192ELi32ELi128ELNS_18Fp8KVCacheDataTypeE0ELb1ELi512EEEvPfS3_PT_PKS4_PKT0_SA_ifPKiSC_iPKfiiiSE_SE_iiiii,@function
_ZN4vllm25paged_attention_v2_kernelI14__hip_bfloat16S1_Li192ELi32ELi128ELNS_18Fp8KVCacheDataTypeE0ELb1ELi512EEEvPfS3_PT_PKS4_PKT0_SA_ifPKiSC_iPKfiiiSE_SE_iiiii: ; @_ZN4vllm25paged_attention_v2_kernelI14__hip_bfloat16S1_Li192ELi32ELi128ELNS_18Fp8KVCacheDataTypeE0ELb1ELi512EEEvPfS3_PT_PKS4_PKT0_SA_ifPKiSC_iPKfiiiSE_SE_iiiii
; %bb.0:
	s_mov_b64 s[50:51], s[2:3]
	s_mov_b64 s[48:49], s[0:1]
	s_load_dwordx2 s[0:1], s[4:5], 0x40
	s_add_u32 s48, s48, s9
	s_addc_u32 s49, s49, 0
	s_mov_b32 s26, s7
	s_ashr_i32 s27, s7, 31
	s_lshl_b64 s[2:3], s[26:27], 2
	s_waitcnt lgkmcnt(0)
	s_add_u32 s0, s0, s2
	s_addc_u32 s1, s1, s3
	s_lshl_b32 s37, s8, 9
	s_load_dword s27, s[0:1], 0x0
	s_waitcnt lgkmcnt(0)
	s_cmp_ge_i32 s37, s27
	s_cbranch_scc1 .LBB178_148
; %bb.1:
	s_clause 0x1
	s_load_dword s9, s[4:5], 0x90
	s_load_dwordx2 s[2:3], s[4:5], 0x30
	v_mov_b32_e32 v51, v0
	s_mov_b32 s39, 0
	s_waitcnt lgkmcnt(0)
	s_abs_i32 s10, s9
	s_abs_i32 s0, s2
	v_cvt_f32_u32_e32 v0, s0
	s_sub_i32 s7, 0, s0
	v_rcp_iflag_f32_e32 v0, v0
	v_mul_f32_e32 v0, 0x4f7ffffe, v0
	v_cvt_u32_f32_e32 v0, v0
	v_readfirstlane_b32 s1, v0
	s_mul_i32 s7, s7, s1
	s_mul_hi_u32 s7, s1, s7
	s_add_i32 s1, s1, s7
	s_xor_b32 s7, s9, s2
	s_mul_hi_u32 s1, s10, s1
	s_ashr_i32 s7, s7, 31
	s_mul_i32 s11, s1, s0
	s_sub_i32 s10, s10, s11
	s_add_i32 s11, s1, 1
	s_sub_i32 s12, s10, s0
	s_cmp_ge_u32 s10, s0
	s_cselect_b32 s1, s11, s1
	s_cselect_b32 s10, s12, s10
	s_add_i32 s11, s1, 1
	s_cmp_ge_u32 s10, s0
	s_cselect_b32 s0, s11, s1
	s_abs_i32 s21, s6
	s_xor_b32 s0, s0, s7
	s_sub_i32 s10, s0, s7
	s_load_dwordx2 s[0:1], s[4:5], 0x50
	s_abs_i32 s20, s10
	v_cvt_f32_u32_e32 v0, s20
	s_sub_i32 s11, 0, s20
	v_rcp_iflag_f32_e32 v0, v0
	v_mul_f32_e32 v0, 0x4f7ffffe, v0
	v_cvt_u32_f32_e32 v0, v0
	v_readfirstlane_b32 s7, v0
	s_mul_i32 s11, s11, s7
	s_mul_hi_u32 s11, s7, s11
	s_add_i32 s7, s7, s11
	s_waitcnt lgkmcnt(0)
	s_cmp_eq_u64 s[0:1], 0
	s_mul_hi_u32 s22, s21, s7
	s_cbranch_scc1 .LBB178_3
; %bb.2:
	s_ashr_i32 s7, s6, 31
	s_lshl_b64 s[12:13], s[6:7], 2
	s_add_u32 s0, s0, s12
	s_addc_u32 s1, s1, s13
	s_load_dword s39, s[0:1], 0x0
.LBB178_3:
	s_load_dwordx4 s[12:15], s[4:5], 0x58
	v_lshlrev_b32_e32 v10, 4, v51
	s_ashr_i32 s0, s6, 31
	s_ashr_i32 s1, s10, 31
	s_mul_i32 s10, s6, 0xc0
	s_mov_b32 s7, exec_lo
	v_cmpx_gt_u32_e32 24, v51
	s_cbranch_execz .LBB178_5
; %bb.4:
	s_load_dwordx2 s[16:17], s[4:5], 0x18
	s_waitcnt lgkmcnt(0)
	s_mul_i32 s18, s12, s26
	s_ashr_i32 s19, s18, 31
	s_lshl_b64 s[18:19], s[18:19], 1
	s_add_u32 s12, s16, s18
	s_addc_u32 s15, s17, s19
	s_ashr_i32 s11, s10, 31
	s_lshl_b64 s[16:17], s[10:11], 1
	s_add_u32 s16, s12, s16
	s_addc_u32 s17, s15, s17
	global_load_dwordx4 v[0:3], v10, s[16:17]
	s_waitcnt vmcnt(0)
	ds_write_b128 v10, v[0:3]
.LBB178_5:
	s_or_b32 exec_lo, exec_lo, s7
	s_load_dwordx4 s[16:19], s[4:5], 0x78
	s_mul_i32 s7, s22, s20
	s_xor_b32 s0, s0, s1
	s_sub_i32 s1, s21, s7
	s_add_i32 s7, s22, 1
	s_sub_i32 s11, s1, s20
	s_cmp_ge_u32 s1, s20
	s_mov_b32 s21, -1
	s_cselect_b32 s7, s7, s22
	s_cselect_b32 s1, s11, s1
	s_add_i32 s11, s7, 1
	s_cmp_ge_u32 s1, s20
                                        ; implicit-def: $sgpr33
	s_cselect_b32 s1, s11, s7
	s_load_dword s7, s[4:5], 0x88
	s_xor_b32 s1, s1, s0
	s_add_i32 s20, s27, -1
	s_sub_i32 s1, s1, s0
	s_waitcnt lgkmcnt(0)
	s_abs_i32 s15, s20
	s_abs_i32 s11, s19
	s_barrier
	v_cvt_f32_u32_e32 v0, s11
	s_sub_i32 s0, 0, s11
	buffer_gl0_inv
	v_rcp_iflag_f32_e32 v0, v0
	v_mul_f32_e32 v0, 0x4f7ffffe, v0
	v_cvt_u32_f32_e32 v0, v0
	v_readfirstlane_b32 s12, v0
	s_mul_i32 s0, s0, s12
	s_mul_hi_u32 s0, s12, s0
	s_add_i32 s12, s12, s0
	s_cmp_lt_i32 s7, 0
	s_mul_hi_u32 s0, s15, s12
	s_cbranch_scc0 .LBB178_7
; %bb.6:
	s_mul_i32 s2, s16, s2
	s_mov_b32 s21, 0
	s_add_i32 s2, s1, s2
	s_mul_i32 s2, s2, s7
	s_sub_i32 s33, 1, s2
.LBB178_7:
	s_load_dwordx2 s[28:29], s[4:5], 0x38
	s_ashr_i32 s2, s20, 31
	s_andn2_b32 vcc_lo, exec_lo, s21
	s_ashr_i32 s19, s19, 31
	s_cbranch_vccnz .LBB178_9
; %bb.8:
	s_mul_i32 s16, s9, s16
	s_add_i32 s16, s16, s6
	s_mul_i32 s7, s16, s7
	s_add_i32 s33, s7, 1
.LBB178_9:
	s_clause 0x4
	s_load_dword s16, s[4:5], 0x48
	s_load_dwordx2 s[34:35], s[4:5], 0x28
	s_load_dword s7, s[4:5], 0x98
	s_load_dwordx4 s[20:23], s[4:5], 0x0
	s_load_dwordx2 s[24:25], s[4:5], 0x10
	s_mul_i32 s30, s0, s11
	s_xor_b32 s2, s2, s19
	s_sub_i32 s15, s15, s30
	s_add_i32 s36, s0, 1
	v_lshrrev_b32_e32 v52, 5, v51
	v_and_b32_e32 v0, 31, v51
	v_mov_b32_e32 v76, 0xff7fffff
	s_mul_i32 s14, s1, s14
	v_lshl_add_u32 v110, v52, 5, s37
	v_lshlrev_b32_e32 v26, 2, v0
	buffer_store_dword v0, off, s[48:51], 0 offset:60 ; 4-byte Folded Spill
	s_waitcnt lgkmcnt(0)
	s_mul_i32 s30, s16, s26
	s_sub_i32 s16, s15, s11
	s_ashr_i32 s31, s30, 31
	s_cmp_ge_u32 s15, s11
	s_cselect_b32 s0, s36, s0
	s_cselect_b32 s15, s16, s15
	s_add_i32 s16, s0, 1
	s_cmp_ge_u32 s15, s11
	s_cselect_b32 s0, s16, s0
	s_add_i32 s15, s27, 31
	s_lshl_b32 s40, s8, 4
	s_ashr_i32 s16, s15, 31
	v_add_nc_u32_e32 v105, s40, v52
	s_lshr_b32 s16, s16, 27
	s_add_i32 s15, s15, s16
	s_add_i32 s16, s40, 16
	s_ashr_i32 s36, s15, 5
	s_xor_b32 s15, s0, s2
	s_min_i32 s16, s16, s36
	v_ashrrev_i32_e32 v106, 31, v105
	v_cmp_gt_i32_e64 s0, s16, v105
	s_sub_i32 s38, s15, s2
	s_mov_b32 s41, exec_lo
	s_and_b32 s1, s41, s0
	buffer_store_dword v51, off, s[48:51], 0 offset:580 ; 4-byte Folded Spill
	buffer_store_dword v52, off, s[48:51], 0 offset:584 ; 4-byte Folded Spill
	s_mov_b32 exec_lo, s1
	s_cbranch_execz .LBB178_17
; %bb.10:
	v_mov_b32_e32 v1, 0
	buffer_store_dword v10, off, s[48:51], 0 offset:588 ; 4-byte Folded Spill
	s_load_dwordx2 s[42:43], s[4:5], 0x20
	s_ashr_i32 s15, s14, 31
	s_sub_i32 s4, s38, s17
	ds_read_b128 v[2:5], v1
	ds_read_b128 v[6:9], v1 offset:16
	ds_read_b128 v[10:13], v1 offset:32
	;; [unrolled: 1-line block ×5, first 2 shown]
	s_lshl_b64 s[44:45], s[14:15], 1
	v_mov_b32_e32 v76, 0xff7fffff
	v_mov_b32_e32 v83, v105
	s_waitcnt lgkmcnt(0)
	v_and_b32_e32 v0, 0xffff0000, v2
	s_add_u32 s1, s42, s44
	s_addc_u32 s2, s43, s45
	s_abs_i32 s5, s18
	buffer_store_dword v0, off, s[48:51], 0 ; 4-byte Folded Spill
	v_lshlrev_b32_e32 v0, 16, v2
	s_lshl_b64 s[42:43], s[30:31], 2
	s_sub_i32 s15, 0, s5
	s_add_u32 s42, s28, s42
	s_addc_u32 s43, s29, s43
	buffer_store_dword v0, off, s[48:51], 0 offset:4 ; 4-byte Folded Spill
	v_and_b32_e32 v0, 0xffff0000, v3
	buffer_store_dword v0, off, s[48:51], 0 offset:8 ; 4-byte Folded Spill
	v_lshlrev_b32_e32 v0, 16, v3
	buffer_store_dword v0, off, s[48:51], 0 offset:12 ; 4-byte Folded Spill
	v_and_b32_e32 v0, 0xffff0000, v4
	buffer_store_dword v0, off, s[48:51], 0 offset:16 ; 4-byte Folded Spill
	v_lshlrev_b32_e32 v0, 16, v4
	;; [unrolled: 4-line block ×3, first 2 shown]
	ds_read_b128 v[2:5], v1 offset:96
	buffer_store_dword v0, off, s[48:51], 0 offset:28 ; 4-byte Folded Spill
	v_and_b32_e32 v0, 0xffff0000, v6
	buffer_store_dword v0, off, s[48:51], 0 offset:32 ; 4-byte Folded Spill
	v_lshlrev_b32_e32 v0, 16, v6
	buffer_store_dword v0, off, s[48:51], 0 offset:36 ; 4-byte Folded Spill
	v_and_b32_e32 v0, 0xffff0000, v7
	buffer_store_dword v0, off, s[48:51], 0 offset:40 ; 4-byte Folded Spill
	v_lshlrev_b32_e32 v0, 16, v7
	;; [unrolled: 4-line block ×4, first 2 shown]
	ds_read_b128 v[6:9], v1 offset:112
	buffer_store_dword v0, off, s[48:51], 0 offset:64 ; 4-byte Folded Spill
	v_and_b32_e32 v0, 0xffff0000, v10
	buffer_store_dword v0, off, s[48:51], 0 offset:68 ; 4-byte Folded Spill
	v_lshlrev_b32_e32 v0, 16, v10
	v_mov_b32_e32 v10, v52
	buffer_store_dword v0, off, s[48:51], 0 offset:72 ; 4-byte Folded Spill
	v_and_b32_e32 v0, 0xffff0000, v11
	v_lshl_add_u32 v82, v10, 5, s37
	buffer_store_dword v0, off, s[48:51], 0 offset:76 ; 4-byte Folded Spill
	v_lshlrev_b32_e32 v0, 16, v11
	buffer_store_dword v0, off, s[48:51], 0 offset:80 ; 4-byte Folded Spill
	v_and_b32_e32 v0, 0xffff0000, v12
	buffer_store_dword v0, off, s[48:51], 0 offset:84 ; 4-byte Folded Spill
	v_lshlrev_b32_e32 v0, 16, v12
	buffer_store_dword v0, off, s[48:51], 0 offset:88 ; 4-byte Folded Spill
	v_and_b32_e32 v0, 0xffff0000, v13
	;; [unrolled: 4-line block ×11, first 2 shown]
	buffer_store_dword v0, off, s[48:51], 0 offset:164 ; 4-byte Folded Spill
	v_and_b32_e32 v0, 0xffff0000, v17
	buffer_store_dword v0, off, s[48:51], 0 offset:168 ; 4-byte Folded Spill
	v_lshlrev_b32_e32 v0, 16, v17
	buffer_store_dword v0, off, s[48:51], 0 offset:172 ; 4-byte Folded Spill
	v_lshlrev_b32_e32 v0, 16, v24
	buffer_store_dword v0, off, s[48:51], 0 offset:176 ; 4-byte Folded Spill
	v_and_b32_e32 v0, 0xffff0000, v21
	buffer_store_dword v0, off, s[48:51], 0 offset:180 ; 4-byte Folded Spill
	v_lshlrev_b32_e32 v0, 16, v21
	buffer_store_dword v0, off, s[48:51], 0 offset:184 ; 4-byte Folded Spill
	v_and_b32_e32 v0, 0xffff0000, v25
	buffer_store_dword v0, off, s[48:51], 0 offset:188 ; 4-byte Folded Spill
	v_lshlrev_b32_e32 v0, 16, v25
	buffer_store_dword v0, off, s[48:51], 0 offset:192 ; 4-byte Folded Spill
	s_waitcnt lgkmcnt(1)
	v_and_b32_e32 v0, 0xffff0000, v2
	buffer_store_dword v0, off, s[48:51], 0 offset:196 ; 4-byte Folded Spill
	v_lshlrev_b32_e32 v0, 16, v2
	buffer_store_dword v0, off, s[48:51], 0 offset:200 ; 4-byte Folded Spill
	v_and_b32_e32 v0, 0xffff0000, v3
	buffer_store_dword v0, off, s[48:51], 0 offset:204 ; 4-byte Folded Spill
	v_lshlrev_b32_e32 v0, 16, v3
	buffer_store_dword v0, off, s[48:51], 0 offset:208 ; 4-byte Folded Spill
	v_and_b32_e32 v0, 0xffff0000, v4
	buffer_store_dword v0, off, s[48:51], 0 offset:212 ; 4-byte Folded Spill
	v_lshlrev_b32_e32 v0, 16, v4
	buffer_store_dword v0, off, s[48:51], 0 offset:216 ; 4-byte Folded Spill
	v_and_b32_e32 v0, 0xffff0000, v5
	buffer_store_dword v0, off, s[48:51], 0 offset:220 ; 4-byte Folded Spill
	v_lshlrev_b32_e32 v0, 16, v5
	buffer_store_dword v0, off, s[48:51], 0 offset:224 ; 4-byte Folded Spill
	s_waitcnt lgkmcnt(0)
	v_and_b32_e32 v0, 0xffff0000, v6
	buffer_store_dword v0, off, s[48:51], 0 offset:228 ; 4-byte Folded Spill
	v_lshlrev_b32_e32 v0, 16, v6
	buffer_store_dword v0, off, s[48:51], 0 offset:232 ; 4-byte Folded Spill
	v_and_b32_e32 v0, 0xffff0000, v7
	buffer_store_dword v0, off, s[48:51], 0 offset:236 ; 4-byte Folded Spill
	v_lshlrev_b32_e32 v0, 16, v7
	buffer_store_dword v0, off, s[48:51], 0 offset:240 ; 4-byte Folded Spill
	v_and_b32_e32 v0, 0xffff0000, v8
	buffer_store_dword v0, off, s[48:51], 0 offset:244 ; 4-byte Folded Spill
	v_lshlrev_b32_e32 v0, 16, v8
	buffer_store_dword v0, off, s[48:51], 0 offset:248 ; 4-byte Folded Spill
	v_and_b32_e32 v0, 0xffff0000, v9
	buffer_store_dword v0, off, s[48:51], 0 offset:252 ; 4-byte Folded Spill
	v_lshlrev_b32_e32 v0, 16, v9
	buffer_store_dword v0, off, s[48:51], 0 offset:256 ; 4-byte Folded Spill
	ds_read_b128 v[2:5], v1 offset:128
	ds_read_b128 v[6:9], v1 offset:144
	s_waitcnt lgkmcnt(1)
	v_and_b32_e32 v0, 0xffff0000, v2
	buffer_store_dword v0, off, s[48:51], 0 offset:260 ; 4-byte Folded Spill
	v_lshlrev_b32_e32 v0, 16, v2
	buffer_store_dword v0, off, s[48:51], 0 offset:264 ; 4-byte Folded Spill
	v_and_b32_e32 v0, 0xffff0000, v3
	buffer_store_dword v0, off, s[48:51], 0 offset:268 ; 4-byte Folded Spill
	v_lshlrev_b32_e32 v0, 16, v3
	buffer_store_dword v0, off, s[48:51], 0 offset:272 ; 4-byte Folded Spill
	v_and_b32_e32 v0, 0xffff0000, v4
	buffer_store_dword v0, off, s[48:51], 0 offset:276 ; 4-byte Folded Spill
	v_lshlrev_b32_e32 v0, 16, v4
	buffer_store_dword v0, off, s[48:51], 0 offset:280 ; 4-byte Folded Spill
	v_and_b32_e32 v0, 0xffff0000, v5
	buffer_store_dword v0, off, s[48:51], 0 offset:284 ; 4-byte Folded Spill
	v_lshlrev_b32_e32 v0, 16, v5
	buffer_store_dword v0, off, s[48:51], 0 offset:288 ; 4-byte Folded Spill
	s_waitcnt lgkmcnt(0)
	v_and_b32_e32 v0, 0xffff0000, v6
	buffer_store_dword v0, off, s[48:51], 0 offset:292 ; 4-byte Folded Spill
	v_lshlrev_b32_e32 v0, 16, v6
	buffer_store_dword v0, off, s[48:51], 0 offset:296 ; 4-byte Folded Spill
	v_and_b32_e32 v0, 0xffff0000, v7
	buffer_store_dword v0, off, s[48:51], 0 offset:300 ; 4-byte Folded Spill
	v_lshlrev_b32_e32 v0, 16, v7
	buffer_store_dword v0, off, s[48:51], 0 offset:304 ; 4-byte Folded Spill
	v_and_b32_e32 v0, 0xffff0000, v8
	buffer_store_dword v0, off, s[48:51], 0 offset:308 ; 4-byte Folded Spill
	v_lshlrev_b32_e32 v0, 16, v8
	buffer_store_dword v0, off, s[48:51], 0 offset:312 ; 4-byte Folded Spill
	v_and_b32_e32 v0, 0xffff0000, v9
	buffer_store_dword v0, off, s[48:51], 0 offset:316 ; 4-byte Folded Spill
	v_lshlrev_b32_e32 v0, 16, v9
	buffer_store_dword v0, off, s[48:51], 0 offset:320 ; 4-byte Folded Spill
	ds_read_b128 v[2:5], v1 offset:160
	ds_read_b128 v[6:9], v1 offset:176
	;; [unrolled: 36-line block ×6, first 2 shown]
	s_waitcnt lgkmcnt(1)
	v_and_b32_e32 v112, 0xffff0000, v2
	v_lshlrev_b32_e32 v113, 16, v2
	v_and_b32_e32 v114, 0xffff0000, v3
	v_lshlrev_b32_e32 v115, 16, v3
	;; [unrolled: 2-line block ×4, first 2 shown]
	s_waitcnt lgkmcnt(0)
	v_and_b32_e32 v120, 0xffff0000, v6
	v_lshlrev_b32_e32 v121, 16, v6
	v_and_b32_e32 v122, 0xffff0000, v7
	v_lshlrev_b32_e32 v123, 16, v7
	;; [unrolled: 2-line block ×4, first 2 shown]
	ds_read_b128 v[2:5], v1 offset:320
	ds_read_b128 v[6:9], v1 offset:336
	s_waitcnt lgkmcnt(1)
	v_and_b32_e32 v45, 0xffff0000, v2
	v_lshlrev_b32_e32 v0, 16, v2
	v_and_b32_e32 v46, 0xffff0000, v3
	v_lshlrev_b32_e32 v47, 16, v3
	;; [unrolled: 2-line block ×4, first 2 shown]
	s_waitcnt lgkmcnt(0)
	v_and_b32_e32 v52, 0xffff0000, v6
	v_lshlrev_b32_e32 v53, 16, v6
	v_and_b32_e32 v54, 0xffff0000, v7
	v_lshlrev_b32_e32 v55, 16, v7
	;; [unrolled: 2-line block ×4, first 2 shown]
	ds_read_b128 v[2:5], v1 offset:352
	ds_read_b128 v[6:9], v1 offset:368
	buffer_store_dword v26, off, s[48:51], 0 offset:592 ; 4-byte Folded Spill
	s_waitcnt lgkmcnt(1)
	v_and_b32_e32 v60, 0xffff0000, v2
	v_lshlrev_b32_e32 v61, 16, v2
	v_lshlrev_b64 v[1:2], 2, v[105:106]
	v_and_b32_e32 v62, 0xffff0000, v3
	v_lshlrev_b32_e32 v63, 16, v3
	v_and_b32_e32 v64, 0xffff0000, v4
	v_lshlrev_b32_e32 v65, 16, v4
	v_and_b32_e32 v66, 0xffff0000, v5
	v_add_co_u32 v41, vcc_lo, s42, v1
	v_cvt_f32_u32_e32 v1, s5
	v_add_co_ci_u32_e64 v42, null, s43, v2, vcc_lo
	v_lshlrev_b32_e32 v67, 16, v5
	s_waitcnt lgkmcnt(0)
	v_and_b32_e32 v68, 0xffff0000, v6
	v_rcp_iflag_f32_e32 v1, v1
	v_lshlrev_b32_e32 v69, 16, v6
	v_and_b32_e32 v70, 0xffff0000, v7
	v_lshlrev_b32_e32 v71, 16, v7
	v_and_b32_e32 v72, 0xffff0000, v8
	;; [unrolled: 2-line block ×3, first 2 shown]
	v_lshlrev_b32_e32 v75, 16, v9
	v_cmp_neq_f32_e64 vcc_lo, s39, 0
	s_mov_b32 s42, s13
	v_mul_f32_e32 v1, 0x4f7ffffe, v1
	v_cvt_u32_f32_e32 v1, v1
	v_mul_lo_u32 v2, s15, v1
	s_mov_b32 s15, 0
	v_mul_hi_u32 v2, v1, v2
	v_add_nc_u32_e32 v77, v1, v2
	buffer_load_dword v2, off, s[48:51], 0 offset:60 ; 4-byte Folded Reload
	s_waitcnt vmcnt(0)
	v_subrev_nc_u32_e32 v1, s27, v2
	v_add_nc_u32_e32 v78, 1, v1
	v_lshl_or_b32 v1, v10, 7, v26
	v_add_nc_u32_e32 v79, 0x1a0, v1
	v_lshlrev_b32_e32 v1, 4, v2
	v_add_co_u32 v80, s1, s1, v1
	v_add_co_ci_u32_e64 v81, null, s2, 0, s1
	s_branch .LBB178_12
.LBB178_11:                             ;   in Loop: Header=BB178_12 Depth=1
	s_or_b32 exec_lo, exec_lo, s43
	v_add_nc_u32_e32 v83, 4, v83
	v_add_co_u32 v41, s1, v41, 16
	v_add_co_ci_u32_e64 v42, null, 0, v42, s1
	v_cmp_le_i32_e64 s1, s16, v83
	v_add_nc_u32_e32 v82, 0x80, v82
	v_add_nc_u32_e32 v79, 0x200, v79
	s_or_b32 s15, s1, s15
	s_andn2_b32 exec_lo, exec_lo, s15
	s_cbranch_execz .LBB178_16
.LBB178_12:                             ; =>This Inner Loop Header: Depth=1
	v_sub_nc_u32_e32 v1, 0, v82
	v_max_i32_e32 v1, v82, v1
	v_mul_hi_u32 v2, v1, s12
	v_mul_lo_u32 v3, v2, s11
	v_sub_nc_u32_e32 v1, v1, v3
	v_add_nc_u32_e32 v3, 1, v2
	v_subrev_nc_u32_e32 v4, s11, v1
	v_cmp_le_u32_e64 s1, s11, v1
	v_cndmask_b32_e64 v2, v2, v3, s1
	v_cndmask_b32_e64 v1, v1, v4, s1
	v_ashrrev_i32_e32 v3, 31, v82
	v_add_nc_u32_e32 v4, 1, v2
	v_cmp_le_u32_e64 s1, s11, v1
	v_xor_b32_e32 v3, s19, v3
	v_cndmask_b32_e64 v1, v2, v4, s1
	v_xor_b32_e32 v1, v1, v3
	v_sub_nc_u32_e32 v1, v1, v3
	v_add_nc_u32_e32 v2, s33, v1
	v_cmp_ge_i32_e64 s2, s4, v1
	v_sub_nc_u32_e32 v3, 0, v2
	v_max_i32_e32 v3, v2, v3
	v_ashrrev_i32_e32 v2, 31, v2
	v_mul_hi_u32 v4, v3, v77
	v_mul_lo_u32 v4, v4, s5
	v_sub_nc_u32_e32 v3, v3, v4
	v_subrev_nc_u32_e32 v4, s5, v3
	v_cmp_le_u32_e64 s1, s5, v3
	v_cndmask_b32_e64 v3, v3, v4, s1
	v_subrev_nc_u32_e32 v4, s5, v3
	v_cmp_le_u32_e64 s1, s5, v3
	v_cndmask_b32_e64 v3, v3, v4, s1
	v_xor_b32_e32 v3, v3, v2
	v_sub_nc_u32_e32 v2, v3, v2
	v_cmp_ne_u32_e64 s1, 0, v2
	s_and_b32 s1, s1, s2
	s_and_saveexec_b32 s2, s1
	s_xor_b32 s1, exec_lo, s2
; %bb.13:                               ;   in Loop: Header=BB178_12 Depth=1
	v_mov_b32_e32 v1, 0xff7fffff
	ds_write_b32 v79, v1
; %bb.14:                               ;   in Loop: Header=BB178_12 Depth=1
	s_andn2_saveexec_b32 s43, s1
	s_cbranch_execz .LBB178_11
; %bb.15:                               ;   in Loop: Header=BB178_12 Depth=1
	global_load_dword v1, v[41:42], off
	s_clause 0x1
	buffer_load_dword v2, off, s[48:51], 0 offset:60
	buffer_load_dword v6, off, s[48:51], 0 offset:36
	s_waitcnt vmcnt(1)
	v_add_nc_u32_e32 v3, v2, v82
	v_mad_i64_i32 v[1:2], null, v1, s42, 0
	v_lshlrev_b64 v[1:2], 1, v[1:2]
	v_add_co_u32 v43, s1, v80, v1
	v_add_nc_u32_e32 v1, v78, v82
	v_add_co_ci_u32_e64 v44, null, v81, v2, s1
	v_cmp_gt_i32_e64 s1, s27, v3
	v_cvt_f32_i32_e32 v1, v1
	global_load_dwordx4 v[33:36], v[43:44], off offset:1536
	v_mul_f32_e32 v1, s39, v1
	v_cndmask_b32_e32 v84, 0, v1, vcc_lo
	global_load_dwordx4 v[1:4], v[43:44], off
	s_waitcnt vmcnt(0)
	v_lshlrev_b32_e32 v99, 16, v1
	v_and_b32_e32 v100, 0xffff0000, v1
	v_lshlrev_b32_e32 v97, 16, v2
	v_and_b32_e32 v98, 0xffff0000, v2
	;; [unrolled: 2-line block ×4, first 2 shown]
	global_load_dwordx4 v[1:4], v[43:44], off offset:512
	s_waitcnt vmcnt(0)
	v_and_b32_e32 v5, 0xffff0000, v1
	v_lshlrev_b32_e32 v1, 16, v1
	v_mul_f32_e32 v91, v6, v1
	buffer_load_dword v1, off, s[48:51], 0 offset:32 ; 4-byte Folded Reload
	s_waitcnt vmcnt(0)
	v_mul_f32_e32 v92, v1, v5
	buffer_load_dword v5, off, s[48:51], 0 offset:44 ; 4-byte Folded Reload
	v_and_b32_e32 v1, 0xffff0000, v2
	v_lshlrev_b32_e32 v2, 16, v2
	s_waitcnt vmcnt(0)
	v_mul_f32_e32 v90, v5, v2
	buffer_load_dword v2, off, s[48:51], 0 offset:40 ; 4-byte Folded Reload
	s_waitcnt vmcnt(0)
	v_mul_f32_e32 v89, v2, v1
	v_and_b32_e32 v1, 0xffff0000, v3
	v_lshlrev_b32_e32 v2, 16, v3
	buffer_load_dword v3, off, s[48:51], 0 offset:52 ; 4-byte Folded Reload
	s_waitcnt vmcnt(0)
	v_mul_f32_e32 v88, v3, v2
	s_clause 0x1
	buffer_load_dword v2, off, s[48:51], 0 offset:48
	buffer_load_dword v3, off, s[48:51], 0 offset:64
	s_waitcnt vmcnt(1)
	v_mul_f32_e32 v85, v2, v1
	v_lshlrev_b32_e32 v2, 16, v4
	v_and_b32_e32 v1, 0xffff0000, v4
	s_waitcnt vmcnt(0)
	v_mul_f32_e32 v87, v3, v2
	buffer_load_dword v2, off, s[48:51], 0 offset:56 ; 4-byte Folded Reload
	s_waitcnt vmcnt(0)
	v_mul_f32_e32 v86, v2, v1
	global_load_dwordx4 v[1:4], v[43:44], off offset:1024
	s_waitcnt vmcnt(0)
	v_and_b32_e32 v101, 0xffff0000, v1
	v_lshlrev_b32_e32 v102, 16, v1
	v_add_co_u32 v1, s2, 0x800, v43
	v_and_b32_e32 v103, 0xffff0000, v2
	v_lshlrev_b32_e32 v104, 16, v2
	v_and_b32_e32 v95, 0xffff0000, v3
	v_lshlrev_b32_e32 v96, 16, v3
	v_add_co_ci_u32_e64 v2, null, 0, v44, s2
	v_add_co_u32 v3, s2, v43, 0x1000
	v_and_b32_e32 v39, 0xffff0000, v4
	v_lshlrev_b32_e32 v40, 16, v4
	v_add_co_ci_u32_e64 v4, null, 0, v44, s2
	s_clause 0x3
	global_load_dwordx4 v[29:32], v[3:4], off offset:-2048
	global_load_dwordx4 v[25:28], v[1:2], off offset:512
	global_load_dwordx4 v[21:24], v[1:2], off offset:1024
	;; [unrolled: 1-line block ×3, first 2 shown]
	v_add_co_u32 v1, s2, 0x1000, v43
	v_add_co_ci_u32_e64 v2, null, 0, v44, s2
	s_clause 0x3
	global_load_dwordx4 v[13:16], v[3:4], off
	global_load_dwordx4 v[9:12], v[1:2], off offset:512
	global_load_dwordx4 v[5:8], v[1:2], off offset:1024
	;; [unrolled: 1-line block ×3, first 2 shown]
	buffer_load_dword v107, off, s[48:51], 0 ; 4-byte Folded Reload
	s_waitcnt vmcnt(0)
	v_fmac_f32_e32 v92, v107, v100
	buffer_load_dword v100, off, s[48:51], 0 offset:4 ; 4-byte Folded Reload
	s_waitcnt vmcnt(0)
	v_fmac_f32_e32 v91, v100, v99
	s_clause 0x1
	buffer_load_dword v99, off, s[48:51], 0 offset:72
	buffer_load_dword v100, off, s[48:51], 0 offset:100
	s_waitcnt vmcnt(1)
	v_fmac_f32_e32 v91, v99, v102
	buffer_load_dword v99, off, s[48:51], 0 offset:68 ; 4-byte Folded Reload
	s_waitcnt vmcnt(0)
	v_fmac_f32_e32 v92, v99, v101
	v_lshlrev_b32_e32 v99, 16, v33
	v_and_b32_e32 v33, 0xffff0000, v33
	v_fmac_f32_e32 v92, v100, v33
	buffer_load_dword v33, off, s[48:51], 0 offset:104 ; 4-byte Folded Reload
	s_waitcnt vmcnt(0)
	v_fmac_f32_e32 v91, v33, v99
	buffer_load_dword v99, off, s[48:51], 0 offset:112 ; 4-byte Folded Reload
	v_and_b32_e32 v33, 0xffff0000, v29
	v_lshlrev_b32_e32 v29, 16, v29
	s_waitcnt vmcnt(0)
	v_fmac_f32_e32 v91, v99, v29
	buffer_load_dword v29, off, s[48:51], 0 offset:108 ; 4-byte Folded Reload
	s_waitcnt vmcnt(0)
	v_fmac_f32_e32 v92, v29, v33
	buffer_load_dword v33, off, s[48:51], 0 offset:116 ; 4-byte Folded Reload
	v_lshlrev_b32_e32 v29, 16, v25
	v_and_b32_e32 v25, 0xffff0000, v25
	s_waitcnt vmcnt(0)
	v_fmac_f32_e32 v92, v33, v25
	buffer_load_dword v25, off, s[48:51], 0 offset:120 ; 4-byte Folded Reload
	s_waitcnt vmcnt(0)
	v_fmac_f32_e32 v91, v25, v29
	buffer_load_dword v29, off, s[48:51], 0 offset:200 ; 4-byte Folded Reload
	v_and_b32_e32 v25, 0xffff0000, v21
	v_lshlrev_b32_e32 v21, 16, v21
	s_waitcnt vmcnt(0)
	v_fmac_f32_e32 v91, v29, v21
	buffer_load_dword v21, off, s[48:51], 0 offset:196 ; 4-byte Folded Reload
	s_waitcnt vmcnt(0)
	v_fmac_f32_e32 v92, v21, v25
	buffer_load_dword v25, off, s[48:51], 0 offset:228 ; 4-byte Folded Reload
	v_lshlrev_b32_e32 v21, 16, v17
	v_and_b32_e32 v17, 0xffff0000, v17
	s_waitcnt vmcnt(0)
	;; [unrolled: 16-line block ×4, first 2 shown]
	v_fmac_f32_e32 v92, v9, v1
	s_clause 0x1
	buffer_load_dword v1, off, s[48:51], 0 offset:360
	buffer_load_dword v9, off, s[48:51], 0 offset:124
	s_waitcnt vmcnt(1)
	v_fmac_f32_e32 v91, v1, v5
	buffer_load_dword v1, off, s[48:51], 0 offset:8 ; 4-byte Folded Reload
	v_and_b32_e32 v5, 0xffff0000, v34
	s_waitcnt vmcnt(0)
	v_fmac_f32_e32 v89, v1, v98
	buffer_load_dword v1, off, s[48:51], 0 offset:12 ; 4-byte Folded Reload
	s_waitcnt vmcnt(0)
	v_fmac_f32_e32 v90, v1, v97
	buffer_load_dword v1, off, s[48:51], 0 offset:80 ; 4-byte Folded Reload
	;; [unrolled: 3-line block ×3, first 2 shown]
	s_waitcnt vmcnt(0)
	v_fmac_f32_e32 v89, v1, v103
	v_lshlrev_b32_e32 v1, 16, v34
	v_fmac_f32_e32 v89, v9, v5
	s_clause 0x1
	buffer_load_dword v5, off, s[48:51], 0 offset:128
	buffer_load_dword v9, off, s[48:51], 0 offset:136
	s_waitcnt vmcnt(1)
	v_fmac_f32_e32 v90, v5, v1
	v_lshlrev_b32_e32 v5, 16, v30
	v_and_b32_e32 v1, 0xffff0000, v30
	s_waitcnt vmcnt(0)
	v_fmac_f32_e32 v90, v9, v5
	s_clause 0x1
	buffer_load_dword v5, off, s[48:51], 0 offset:132
	buffer_load_dword v9, off, s[48:51], 0 offset:140
	s_waitcnt vmcnt(1)
	v_fmac_f32_e32 v89, v5, v1
	v_and_b32_e32 v5, 0xffff0000, v26
	v_lshlrev_b32_e32 v1, 16, v26
	s_waitcnt vmcnt(0)
	v_fmac_f32_e32 v89, v9, v5
	s_clause 0x1
	buffer_load_dword v5, off, s[48:51], 0 offset:144
	buffer_load_dword v9, off, s[48:51], 0 offset:208
	s_waitcnt vmcnt(1)
	v_fmac_f32_e32 v90, v5, v1
	v_lshlrev_b32_e32 v5, 16, v22
	v_and_b32_e32 v1, 0xffff0000, v22
	s_waitcnt vmcnt(0)
	v_fmac_f32_e32 v90, v9, v5
	s_clause 0x1
	buffer_load_dword v5, off, s[48:51], 0 offset:204
	buffer_load_dword v9, off, s[48:51], 0 offset:236
	s_waitcnt vmcnt(1)
	v_fmac_f32_e32 v89, v5, v1
	v_and_b32_e32 v5, 0xffff0000, v18
	v_lshlrev_b32_e32 v1, 16, v18
	s_waitcnt vmcnt(0)
	;; [unrolled: 18-line block ×3, first 2 shown]
	v_fmac_f32_e32 v89, v9, v5
	buffer_load_dword v5, off, s[48:51], 0 offset:304 ; 4-byte Folded Reload
	s_waitcnt vmcnt(0)
	v_fmac_f32_e32 v90, v5, v1
	v_and_b32_e32 v1, 0xffff0000, v6
	v_lshlrev_b32_e32 v5, 16, v6
	buffer_load_dword v6, off, s[48:51], 0 offset:336 ; 4-byte Folded Reload
	s_waitcnt vmcnt(0)
	v_fmac_f32_e32 v90, v6, v5
	buffer_load_dword v5, off, s[48:51], 0 offset:332 ; 4-byte Folded Reload
	s_waitcnt vmcnt(0)
	v_fmac_f32_e32 v89, v5, v1
	buffer_load_dword v5, off, s[48:51], 0 offset:364 ; 4-byte Folded Reload
	v_lshlrev_b32_e32 v1, 16, v2
	v_and_b32_e32 v2, 0xffff0000, v2
	s_waitcnt vmcnt(0)
	v_fmac_f32_e32 v89, v5, v2
	s_clause 0x1
	buffer_load_dword v2, off, s[48:51], 0 offset:368
	buffer_load_dword v5, off, s[48:51], 0 offset:148
	s_waitcnt vmcnt(1)
	v_fmac_f32_e32 v90, v2, v1
	buffer_load_dword v1, off, s[48:51], 0 offset:16 ; 4-byte Folded Reload
	v_and_b32_e32 v2, 0xffff0000, v35
	s_waitcnt vmcnt(0)
	v_fmac_f32_e32 v85, v1, v94
	buffer_load_dword v1, off, s[48:51], 0 offset:20 ; 4-byte Folded Reload
	s_waitcnt vmcnt(0)
	v_fmac_f32_e32 v88, v1, v93
	buffer_load_dword v1, off, s[48:51], 0 offset:88 ; 4-byte Folded Reload
	;; [unrolled: 3-line block ×3, first 2 shown]
	s_waitcnt vmcnt(0)
	v_fmac_f32_e32 v85, v1, v95
	v_lshlrev_b32_e32 v1, 16, v35
	v_fmac_f32_e32 v85, v5, v2
	s_clause 0x1
	buffer_load_dword v2, off, s[48:51], 0 offset:152
	buffer_load_dword v5, off, s[48:51], 0 offset:160
	s_waitcnt vmcnt(1)
	v_fmac_f32_e32 v88, v2, v1
	v_lshlrev_b32_e32 v2, 16, v31
	v_and_b32_e32 v1, 0xffff0000, v31
	s_waitcnt vmcnt(0)
	v_fmac_f32_e32 v88, v5, v2
	s_clause 0x1
	buffer_load_dword v2, off, s[48:51], 0 offset:156
	buffer_load_dword v5, off, s[48:51], 0 offset:164
	s_waitcnt vmcnt(1)
	v_fmac_f32_e32 v85, v2, v1
	v_and_b32_e32 v2, 0xffff0000, v27
	v_lshlrev_b32_e32 v1, 16, v27
	s_waitcnt vmcnt(0)
	v_fmac_f32_e32 v85, v5, v2
	s_clause 0x1
	buffer_load_dword v2, off, s[48:51], 0 offset:176
	buffer_load_dword v5, off, s[48:51], 0 offset:216
	s_waitcnt vmcnt(1)
	v_fmac_f32_e32 v88, v2, v1
	v_lshlrev_b32_e32 v2, 16, v23
	v_and_b32_e32 v1, 0xffff0000, v23
	s_waitcnt vmcnt(0)
	v_fmac_f32_e32 v88, v5, v2
	s_clause 0x1
	buffer_load_dword v2, off, s[48:51], 0 offset:212
	buffer_load_dword v5, off, s[48:51], 0 offset:244
	s_waitcnt vmcnt(1)
	v_fmac_f32_e32 v85, v2, v1
	v_and_b32_e32 v2, 0xffff0000, v19
	v_lshlrev_b32_e32 v1, 16, v19
	s_waitcnt vmcnt(0)
	;; [unrolled: 18-line block ×3, first 2 shown]
	v_fmac_f32_e32 v85, v5, v2
	s_clause 0x1
	buffer_load_dword v2, off, s[48:51], 0 offset:312
	buffer_load_dword v5, off, s[48:51], 0 offset:344
	s_waitcnt vmcnt(1)
	v_fmac_f32_e32 v88, v2, v1
	v_lshlrev_b32_e32 v2, 16, v7
	v_and_b32_e32 v1, 0xffff0000, v7
	s_waitcnt vmcnt(0)
	v_fmac_f32_e32 v88, v5, v2
	buffer_load_dword v2, off, s[48:51], 0 offset:340 ; 4-byte Folded Reload
	v_add_co_u32 v5, s2, 0x1800, v43
	v_add_co_ci_u32_e64 v6, null, 0, v44, s2
	v_add_co_u32 v7, s2, v43, 0x2000
	s_waitcnt vmcnt(0)
	v_fmac_f32_e32 v85, v2, v1
	v_lshlrev_b32_e32 v1, 16, v3
	v_and_b32_e32 v2, 0xffff0000, v3
	buffer_load_dword v3, off, s[48:51], 0 offset:372 ; 4-byte Folded Reload
	s_waitcnt vmcnt(0)
	v_fmac_f32_e32 v85, v3, v2
	s_clause 0x1
	buffer_load_dword v2, off, s[48:51], 0 offset:376
	buffer_load_dword v3, off, s[48:51], 0 offset:168
	s_waitcnt vmcnt(1)
	v_fmac_f32_e32 v88, v2, v1
	buffer_load_dword v1, off, s[48:51], 0 offset:24 ; 4-byte Folded Reload
	v_and_b32_e32 v2, 0xffff0000, v36
	s_waitcnt vmcnt(0)
	v_fmac_f32_e32 v86, v1, v38
	buffer_load_dword v1, off, s[48:51], 0 offset:28 ; 4-byte Folded Reload
	s_waitcnt vmcnt(0)
	v_fmac_f32_e32 v87, v1, v37
	buffer_load_dword v1, off, s[48:51], 0 offset:96 ; 4-byte Folded Reload
	;; [unrolled: 3-line block ×3, first 2 shown]
	s_waitcnt vmcnt(0)
	v_fmac_f32_e32 v86, v1, v39
	v_lshlrev_b32_e32 v1, 16, v36
	v_fmac_f32_e32 v86, v3, v2
	s_clause 0x1
	buffer_load_dword v2, off, s[48:51], 0 offset:172
	buffer_load_dword v3, off, s[48:51], 0 offset:184
	s_waitcnt vmcnt(1)
	v_fmac_f32_e32 v87, v2, v1
	v_lshlrev_b32_e32 v2, 16, v32
	v_and_b32_e32 v1, 0xffff0000, v32
	s_waitcnt vmcnt(0)
	v_fmac_f32_e32 v87, v3, v2
	s_clause 0x1
	buffer_load_dword v2, off, s[48:51], 0 offset:180
	buffer_load_dword v3, off, s[48:51], 0 offset:188
	s_waitcnt vmcnt(1)
	v_fmac_f32_e32 v86, v2, v1
	v_and_b32_e32 v2, 0xffff0000, v28
	v_lshlrev_b32_e32 v1, 16, v28
	s_waitcnt vmcnt(0)
	v_fmac_f32_e32 v86, v3, v2
	s_clause 0x1
	buffer_load_dword v2, off, s[48:51], 0 offset:192
	buffer_load_dword v3, off, s[48:51], 0 offset:224
	s_waitcnt vmcnt(1)
	v_fmac_f32_e32 v87, v2, v1
	v_lshlrev_b32_e32 v2, 16, v24
	v_and_b32_e32 v1, 0xffff0000, v24
	s_waitcnt vmcnt(0)
	v_fmac_f32_e32 v87, v3, v2
	s_clause 0x1
	buffer_load_dword v2, off, s[48:51], 0 offset:220
	buffer_load_dword v3, off, s[48:51], 0 offset:252
	s_waitcnt vmcnt(1)
	v_fmac_f32_e32 v86, v2, v1
	v_and_b32_e32 v2, 0xffff0000, v20
	v_lshlrev_b32_e32 v1, 16, v20
	s_waitcnt vmcnt(0)
	;; [unrolled: 18-line block ×3, first 2 shown]
	v_fmac_f32_e32 v86, v3, v2
	s_clause 0x1
	buffer_load_dword v2, off, s[48:51], 0 offset:320
	buffer_load_dword v3, off, s[48:51], 0 offset:352
	s_waitcnt vmcnt(1)
	v_fmac_f32_e32 v87, v2, v1
	v_lshlrev_b32_e32 v2, 16, v8
	v_and_b32_e32 v1, 0xffff0000, v8
	v_add_co_ci_u32_e64 v8, null, 0, v44, s2
	s_waitcnt vmcnt(0)
	v_fmac_f32_e32 v87, v3, v2
	s_clause 0x1
	buffer_load_dword v2, off, s[48:51], 0 offset:348
	buffer_load_dword v3, off, s[48:51], 0 offset:380
	s_waitcnt vmcnt(1)
	v_fmac_f32_e32 v86, v2, v1
	v_and_b32_e32 v2, 0xffff0000, v4
	v_lshlrev_b32_e32 v1, 16, v4
	s_waitcnt vmcnt(0)
	v_fmac_f32_e32 v86, v3, v2
	buffer_load_dword v2, off, s[48:51], 0 offset:384 ; 4-byte Folded Reload
	s_waitcnt vmcnt(0)
	v_fmac_f32_e32 v87, v2, v1
	global_load_dwordx4 v[1:4], v[7:8], off offset:-2048
	s_waitcnt vmcnt(0)
	v_and_b32_e32 v103, 0xffff0000, v1
	v_lshlrev_b32_e32 v104, 16, v1
	v_and_b32_e32 v101, 0xffff0000, v2
	v_lshlrev_b32_e32 v102, 16, v2
	;; [unrolled: 2-line block ×4, first 2 shown]
	s_clause 0x2
	global_load_dwordx4 v[1:4], v[5:6], off offset:512
	global_load_dwordx4 v[37:40], v[5:6], off offset:1024
	;; [unrolled: 1-line block ×3, first 2 shown]
	s_waitcnt vmcnt(2)
	v_lshlrev_b32_e32 v107, 16, v1
	v_and_b32_e32 v108, 0xffff0000, v1
	v_add_co_u32 v1, s2, 0x2000, v43
	v_lshlrev_b32_e32 v109, 16, v2
	v_and_b32_e32 v111, 0xffff0000, v2
	v_add_co_ci_u32_e64 v2, null, 0, v44, s2
	s_clause 0x3
	global_load_dwordx4 v[33:36], v[7:8], off
	global_load_dwordx4 v[25:28], v[1:2], off offset:512
	global_load_dwordx4 v[21:24], v[1:2], off offset:1024
	global_load_dwordx4 v[17:20], v[1:2], off offset:1536
	v_add_co_u32 v1, s2, 0x2800, v43
	v_add_co_ci_u32_e64 v2, null, 0, v44, s2
	v_lshlrev_b32_e32 v99, 16, v3
	v_and_b32_e32 v100, 0xffff0000, v3
	v_lshlrev_b32_e32 v95, 16, v4
	v_and_b32_e32 v96, 0xffff0000, v4
	s_clause 0x3
	global_load_dwordx4 v[13:16], v[1:2], off
	global_load_dwordx4 v[9:12], v[1:2], off offset:512
	global_load_dwordx4 v[5:8], v[1:2], off offset:1024
	;; [unrolled: 1-line block ×3, first 2 shown]
	s_clause 0x1
	buffer_load_dword v43, off, s[48:51], 0 offset:392
	buffer_load_dword v44, off, s[48:51], 0 offset:456
	s_waitcnt vmcnt(1)
	v_fmac_f32_e32 v91, v43, v104
	buffer_load_dword v43, off, s[48:51], 0 offset:388 ; 4-byte Folded Reload
	s_waitcnt vmcnt(0)
	v_fmac_f32_e32 v92, v43, v103
	buffer_load_dword v43, off, s[48:51], 0 offset:420 ; 4-byte Folded Reload
	;; [unrolled: 3-line block ×3, first 2 shown]
	s_waitcnt vmcnt(0)
	v_fmac_f32_e32 v91, v43, v107
	v_and_b32_e32 v43, 0xffff0000, v37
	v_lshlrev_b32_e32 v37, 16, v37
	v_fmac_f32_e32 v91, v44, v37
	buffer_load_dword v37, off, s[48:51], 0 offset:452 ; 4-byte Folded Reload
	s_waitcnt vmcnt(0)
	v_fmac_f32_e32 v92, v37, v43
	buffer_load_dword v43, off, s[48:51], 0 offset:484 ; 4-byte Folded Reload
	v_lshlrev_b32_e32 v37, 16, v29
	v_and_b32_e32 v29, 0xffff0000, v29
	s_waitcnt vmcnt(0)
	v_fmac_f32_e32 v92, v43, v29
	buffer_load_dword v29, off, s[48:51], 0 offset:488 ; 4-byte Folded Reload
	s_waitcnt vmcnt(0)
	v_fmac_f32_e32 v91, v29, v37
	buffer_load_dword v37, off, s[48:51], 0 offset:520 ; 4-byte Folded Reload
	v_and_b32_e32 v29, 0xffff0000, v33
	v_lshlrev_b32_e32 v33, 16, v33
	s_waitcnt vmcnt(0)
	v_fmac_f32_e32 v91, v37, v33
	buffer_load_dword v33, off, s[48:51], 0 offset:516 ; 4-byte Folded Reload
	s_waitcnt vmcnt(0)
	v_fmac_f32_e32 v92, v33, v29
	buffer_load_dword v33, off, s[48:51], 0 offset:548 ; 4-byte Folded Reload
	v_lshlrev_b32_e32 v29, 16, v25
	v_and_b32_e32 v25, 0xffff0000, v25
	s_waitcnt vmcnt(0)
	v_fmac_f32_e32 v92, v33, v25
	buffer_load_dword v25, off, s[48:51], 0 offset:552 ; 4-byte Folded Reload
	s_waitcnt vmcnt(0)
	v_fmac_f32_e32 v91, v25, v29
	v_and_b32_e32 v25, 0xffff0000, v21
	v_lshlrev_b32_e32 v21, 16, v21
	v_fmac_f32_e32 v92, v112, v25
	v_fmac_f32_e32 v91, v113, v21
	v_lshlrev_b32_e32 v21, 16, v17
	v_and_b32_e32 v17, 0xffff0000, v17
	v_fmac_f32_e32 v91, v121, v21
	v_fmac_f32_e32 v92, v120, v17
	v_and_b32_e32 v17, 0xffff0000, v13
	v_lshlrev_b32_e32 v13, 16, v13
	v_fmac_f32_e32 v92, v45, v17
	v_fmac_f32_e32 v91, v0, v13
	v_lshlrev_b32_e32 v13, 16, v9
	v_and_b32_e32 v9, 0xffff0000, v9
	v_fmac_f32_e32 v91, v53, v13
	v_fmac_f32_e32 v92, v52, v9
	v_and_b32_e32 v9, 0xffff0000, v5
	v_lshlrev_b32_e32 v5, 16, v5
	v_fmac_f32_e32 v92, v60, v9
	v_fmac_f32_e32 v91, v61, v5
	v_lshlrev_b32_e32 v5, 16, v1
	v_and_b32_e32 v1, 0xffff0000, v1
	buffer_load_dword v9, off, s[48:51], 0 offset:464 ; 4-byte Folded Reload
	v_fmac_f32_e32 v91, v69, v5
	v_fmac_f32_e32 v92, v68, v1
	buffer_load_dword v1, off, s[48:51], 0 offset:400 ; 4-byte Folded Reload
	v_lshlrev_b32_e32 v5, 16, v38
	s_waitcnt vmcnt(0)
	v_fmac_f32_e32 v90, v1, v102
	buffer_load_dword v1, off, s[48:51], 0 offset:396 ; 4-byte Folded Reload
	s_waitcnt vmcnt(0)
	v_fmac_f32_e32 v89, v1, v101
	buffer_load_dword v1, off, s[48:51], 0 offset:428 ; 4-byte Folded Reload
	;; [unrolled: 3-line block ×3, first 2 shown]
	s_waitcnt vmcnt(0)
	v_fmac_f32_e32 v90, v1, v109
	v_and_b32_e32 v1, 0xffff0000, v38
	v_fmac_f32_e32 v90, v9, v5
	s_clause 0x1
	buffer_load_dword v5, off, s[48:51], 0 offset:460
	buffer_load_dword v9, off, s[48:51], 0 offset:492
	s_waitcnt vmcnt(1)
	v_fmac_f32_e32 v89, v5, v1
	v_and_b32_e32 v5, 0xffff0000, v30
	v_lshlrev_b32_e32 v1, 16, v30
	s_waitcnt vmcnt(0)
	v_fmac_f32_e32 v89, v9, v5
	s_clause 0x1
	buffer_load_dword v5, off, s[48:51], 0 offset:496
	buffer_load_dword v9, off, s[48:51], 0 offset:528
	s_waitcnt vmcnt(1)
	v_fmac_f32_e32 v90, v5, v1
	v_lshlrev_b32_e32 v5, 16, v34
	v_and_b32_e32 v1, 0xffff0000, v34
	s_waitcnt vmcnt(0)
	v_fmac_f32_e32 v90, v9, v5
	s_clause 0x1
	buffer_load_dword v5, off, s[48:51], 0 offset:524
	buffer_load_dword v9, off, s[48:51], 0 offset:556
	s_waitcnt vmcnt(1)
	v_fmac_f32_e32 v89, v5, v1
	v_and_b32_e32 v5, 0xffff0000, v26
	v_lshlrev_b32_e32 v1, 16, v26
	s_waitcnt vmcnt(0)
	v_fmac_f32_e32 v89, v9, v5
	buffer_load_dword v5, off, s[48:51], 0 offset:560 ; 4-byte Folded Reload
	s_waitcnt vmcnt(0)
	v_fmac_f32_e32 v90, v5, v1
	v_and_b32_e32 v1, 0xffff0000, v22
	v_lshlrev_b32_e32 v5, 16, v22
	v_fmac_f32_e32 v89, v114, v1
	v_fmac_f32_e32 v90, v115, v5
	v_lshlrev_b32_e32 v1, 16, v18
	v_and_b32_e32 v5, 0xffff0000, v18
	v_fmac_f32_e32 v90, v123, v1
	v_fmac_f32_e32 v89, v122, v5
	v_and_b32_e32 v1, 0xffff0000, v14
	v_lshlrev_b32_e32 v5, 16, v14
	v_fmac_f32_e32 v89, v46, v1
	v_fmac_f32_e32 v90, v47, v5
	v_lshlrev_b32_e32 v1, 16, v10
	v_and_b32_e32 v5, 0xffff0000, v10
	v_fmac_f32_e32 v90, v55, v1
	v_fmac_f32_e32 v89, v54, v5
	v_and_b32_e32 v1, 0xffff0000, v6
	v_lshlrev_b32_e32 v5, 16, v6
	v_fmac_f32_e32 v89, v62, v1
	v_fmac_f32_e32 v90, v63, v5
	v_lshlrev_b32_e32 v1, 16, v2
	v_and_b32_e32 v2, 0xffff0000, v2
	buffer_load_dword v5, off, s[48:51], 0 offset:472 ; 4-byte Folded Reload
	v_fmac_f32_e32 v90, v71, v1
	buffer_load_dword v1, off, s[48:51], 0 offset:408 ; 4-byte Folded Reload
	v_fmac_f32_e32 v89, v70, v2
	v_lshlrev_b32_e32 v2, 16, v39
	s_waitcnt vmcnt(0)
	v_fmac_f32_e32 v88, v1, v98
	buffer_load_dword v1, off, s[48:51], 0 offset:404 ; 4-byte Folded Reload
	s_waitcnt vmcnt(0)
	v_fmac_f32_e32 v85, v1, v97
	buffer_load_dword v1, off, s[48:51], 0 offset:436 ; 4-byte Folded Reload
	;; [unrolled: 3-line block ×3, first 2 shown]
	s_waitcnt vmcnt(0)
	v_fmac_f32_e32 v88, v1, v99
	v_and_b32_e32 v1, 0xffff0000, v39
	v_fmac_f32_e32 v88, v5, v2
	s_clause 0x1
	buffer_load_dword v2, off, s[48:51], 0 offset:468
	buffer_load_dword v5, off, s[48:51], 0 offset:500
	s_waitcnt vmcnt(1)
	v_fmac_f32_e32 v85, v2, v1
	v_and_b32_e32 v2, 0xffff0000, v31
	v_lshlrev_b32_e32 v1, 16, v31
	s_waitcnt vmcnt(0)
	v_fmac_f32_e32 v85, v5, v2
	s_clause 0x1
	buffer_load_dword v2, off, s[48:51], 0 offset:504
	buffer_load_dword v5, off, s[48:51], 0 offset:536
	s_waitcnt vmcnt(1)
	v_fmac_f32_e32 v88, v2, v1
	v_lshlrev_b32_e32 v2, 16, v35
	v_and_b32_e32 v1, 0xffff0000, v35
	s_waitcnt vmcnt(0)
	v_fmac_f32_e32 v88, v5, v2
	s_clause 0x1
	buffer_load_dword v2, off, s[48:51], 0 offset:532
	buffer_load_dword v5, off, s[48:51], 0 offset:564
	s_waitcnt vmcnt(1)
	v_fmac_f32_e32 v85, v2, v1
	v_and_b32_e32 v2, 0xffff0000, v27
	v_lshlrev_b32_e32 v1, 16, v27
	s_waitcnt vmcnt(0)
	v_fmac_f32_e32 v85, v5, v2
	buffer_load_dword v2, off, s[48:51], 0 offset:568 ; 4-byte Folded Reload
	s_waitcnt vmcnt(0)
	v_fmac_f32_e32 v88, v2, v1
	v_and_b32_e32 v1, 0xffff0000, v23
	v_lshlrev_b32_e32 v2, 16, v23
	v_fmac_f32_e32 v85, v116, v1
	v_fmac_f32_e32 v88, v117, v2
	v_lshlrev_b32_e32 v1, 16, v19
	v_and_b32_e32 v2, 0xffff0000, v19
	v_fmac_f32_e32 v88, v125, v1
	v_fmac_f32_e32 v85, v124, v2
	v_and_b32_e32 v1, 0xffff0000, v15
	v_lshlrev_b32_e32 v2, 16, v15
	v_fmac_f32_e32 v85, v48, v1
	v_fmac_f32_e32 v88, v49, v2
	v_lshlrev_b32_e32 v1, 16, v11
	v_and_b32_e32 v2, 0xffff0000, v11
	v_fmac_f32_e32 v88, v57, v1
	v_fmac_f32_e32 v85, v56, v2
	v_and_b32_e32 v1, 0xffff0000, v7
	v_lshlrev_b32_e32 v2, 16, v7
	v_fmac_f32_e32 v85, v64, v1
	v_fmac_f32_e32 v88, v65, v2
	v_lshlrev_b32_e32 v1, 16, v3
	v_and_b32_e32 v2, 0xffff0000, v3
	buffer_load_dword v3, off, s[48:51], 0 offset:480 ; 4-byte Folded Reload
	v_fmac_f32_e32 v88, v73, v1
	buffer_load_dword v1, off, s[48:51], 0 offset:416 ; 4-byte Folded Reload
	v_fmac_f32_e32 v85, v72, v2
	v_lshlrev_b32_e32 v2, 16, v40
	s_waitcnt vmcnt(0)
	v_fmac_f32_e32 v87, v1, v94
	buffer_load_dword v1, off, s[48:51], 0 offset:412 ; 4-byte Folded Reload
	s_waitcnt vmcnt(0)
	v_fmac_f32_e32 v86, v1, v93
	buffer_load_dword v1, off, s[48:51], 0 offset:444 ; 4-byte Folded Reload
	;; [unrolled: 3-line block ×3, first 2 shown]
	s_waitcnt vmcnt(0)
	v_fmac_f32_e32 v87, v1, v95
	v_and_b32_e32 v1, 0xffff0000, v40
	v_fmac_f32_e32 v87, v3, v2
	s_clause 0x1
	buffer_load_dword v2, off, s[48:51], 0 offset:476
	buffer_load_dword v3, off, s[48:51], 0 offset:508
	s_waitcnt vmcnt(1)
	v_fmac_f32_e32 v86, v2, v1
	v_and_b32_e32 v2, 0xffff0000, v32
	v_lshlrev_b32_e32 v1, 16, v32
	s_waitcnt vmcnt(0)
	v_fmac_f32_e32 v86, v3, v2
	s_clause 0x1
	buffer_load_dword v2, off, s[48:51], 0 offset:512
	buffer_load_dword v3, off, s[48:51], 0 offset:544
	s_waitcnt vmcnt(1)
	v_fmac_f32_e32 v87, v2, v1
	v_lshlrev_b32_e32 v2, 16, v36
	v_and_b32_e32 v1, 0xffff0000, v36
	s_waitcnt vmcnt(0)
	v_fmac_f32_e32 v87, v3, v2
	s_clause 0x1
	buffer_load_dword v2, off, s[48:51], 0 offset:540
	buffer_load_dword v3, off, s[48:51], 0 offset:572
	s_waitcnt vmcnt(1)
	v_fmac_f32_e32 v86, v2, v1
	v_and_b32_e32 v2, 0xffff0000, v28
	v_lshlrev_b32_e32 v1, 16, v28
	s_waitcnt vmcnt(0)
	v_fmac_f32_e32 v86, v3, v2
	buffer_load_dword v2, off, s[48:51], 0 offset:576 ; 4-byte Folded Reload
	s_waitcnt vmcnt(0)
	v_fmac_f32_e32 v87, v2, v1
	v_and_b32_e32 v1, 0xffff0000, v24
	v_lshlrev_b32_e32 v2, 16, v24
	v_fmac_f32_e32 v86, v118, v1
	v_fmac_f32_e32 v87, v119, v2
	v_lshlrev_b32_e32 v1, 16, v20
	v_and_b32_e32 v2, 0xffff0000, v20
	v_fmac_f32_e32 v87, v127, v1
	v_fmac_f32_e32 v86, v126, v2
	v_and_b32_e32 v1, 0xffff0000, v16
	v_lshlrev_b32_e32 v2, 16, v16
	v_fmac_f32_e32 v86, v50, v1
	v_fmac_f32_e32 v87, v51, v2
	v_lshlrev_b32_e32 v1, 16, v12
	v_and_b32_e32 v2, 0xffff0000, v12
	v_fmac_f32_e32 v87, v59, v1
	;; [unrolled: 8-line block ×3, first 2 shown]
	v_add_f32_e32 v1, v91, v92
	v_fmac_f32_e32 v86, v74, v2
	v_add_f32_e32 v1, v1, v90
	v_add_f32_e32 v1, v89, v1
	;; [unrolled: 1-line block ×6, first 2 shown]
	v_fmac_f32_e32 v84, s3, v1
	v_cndmask_b32_e64 v1, 0, v84, s1
	ds_write_b32 v79, v1
	v_max_f32_e32 v1, v76, v76
	v_max_f32_e32 v1, v1, v84
	v_cndmask_b32_e64 v76, v76, v1, s1
	s_branch .LBB178_11
.LBB178_16:
	s_or_b32 exec_lo, exec_lo, s15
	s_clause 0x3
	buffer_load_dword v51, off, s[48:51], 0 offset:580
	buffer_load_dword v52, off, s[48:51], 0 offset:584
	;; [unrolled: 1-line block ×4, first 2 shown]
.LBB178_17:
	s_or_b32 exec_lo, exec_lo, s41
	v_mbcnt_lo_u32_b32 v0, -1, 0
	v_max_f32_e32 v4, v76, v76
	v_xor_b32_e32 v1, 16, v0
	v_xor_b32_e32 v3, 8, v0
	v_cmp_gt_i32_e32 vcc_lo, 32, v1
	v_cndmask_b32_e32 v1, v0, v1, vcc_lo
	v_cmp_gt_i32_e32 vcc_lo, 32, v3
	v_lshlrev_b32_e32 v1, 2, v1
	v_cndmask_b32_e32 v3, v0, v3, vcc_lo
	ds_bpermute_b32 v2, v1, v76
	s_waitcnt lgkmcnt(0)
	v_max_f32_e32 v5, v2, v2
	v_lshlrev_b32_e32 v2, 2, v3
	v_max_f32_e32 v3, v4, v5
	v_xor_b32_e32 v5, 4, v0
	ds_bpermute_b32 v4, v2, v3
	v_cmp_gt_i32_e32 vcc_lo, 32, v5
	v_cndmask_b32_e32 v5, v0, v5, vcc_lo
	s_waitcnt lgkmcnt(0)
	v_max_f32_e32 v6, v4, v4
	v_lshlrev_b32_e32 v4, 2, v5
	v_max_f32_e32 v3, v3, v6
	v_xor_b32_e32 v6, 2, v0
	ds_bpermute_b32 v5, v4, v3
	v_cmp_gt_i32_e32 vcc_lo, 32, v6
	v_cndmask_b32_e32 v6, v0, v6, vcc_lo
	v_lshlrev_b32_e32 v33, 2, v6
	v_xor_b32_e32 v6, 1, v0
	v_cmp_gt_i32_e32 vcc_lo, 32, v6
	s_waitcnt lgkmcnt(0)
	v_max_f32_e32 v5, v5, v5
	v_cndmask_b32_e32 v6, v0, v6, vcc_lo
	v_max_f32_e32 v3, v3, v5
	v_lshlrev_b32_e32 v54, 2, v6
	ds_bpermute_b32 v5, v33, v3
	s_waitcnt lgkmcnt(0)
	v_max_f32_e32 v5, v5, v5
	v_max_f32_e32 v0, v3, v5
	buffer_load_dword v5, off, s[48:51], 0 offset:60 ; 4-byte Folded Reload
	ds_bpermute_b32 v3, v54, v0
	s_waitcnt vmcnt(0)
	v_cmp_eq_u32_e32 vcc_lo, 0, v5
	v_lshlrev_b32_e32 v5, 2, v52
	s_and_saveexec_b32 s1, vcc_lo
	s_cbranch_execz .LBB178_19
; %bb.18:
	s_waitcnt lgkmcnt(0)
	v_max_f32_e32 v3, v3, v3
	v_max_f32_e32 v0, v0, v0
	;; [unrolled: 1-line block ×3, first 2 shown]
	ds_write_b32 v5, v0 offset:384
.LBB178_19:
	s_or_b32 exec_lo, exec_lo, s1
	buffer_load_dword v0, off, s[48:51], 0 offset:60 ; 4-byte Folded Reload
	s_waitcnt vmcnt(0) lgkmcnt(0)
	s_waitcnt_vscnt null, 0x0
	s_barrier
	buffer_gl0_inv
	v_cmp_gt_u32_e64 s1, 4, v0
	v_mov_b32_e32 v0, 0xff7fffff
	s_and_saveexec_b32 s2, s1
; %bb.20:
	ds_read_b32 v0, v26 offset:384
; %bb.21:
	s_or_b32 exec_lo, exec_lo, s2
	s_waitcnt lgkmcnt(0)
	ds_bpermute_b32 v3, v33, v0
	v_max_f32_e32 v0, v0, v0
	v_mov_b32_e32 v6, 0
	s_sub_i32 s2, s16, s40
	s_lshl_b32 s2, s2, 5
	s_add_i32 s2, s2, s37
	s_min_i32 s2, s2, s27
	s_sub_i32 s4, s2, s37
	v_cmp_gt_i32_e64 s2, s4, v51
	s_waitcnt lgkmcnt(0)
	v_max_f32_e32 v3, v3, v3
	v_max_f32_e32 v0, v0, v3
	ds_bpermute_b32 v3, v54, v0
	s_waitcnt lgkmcnt(0)
	v_max_f32_e32 v3, v3, v3
	v_max_f32_e32 v0, v0, v3
	v_lshl_add_u32 v3, v51, 2, 0x1a0
	ds_bpermute_b32 v0, v6, v0
	s_and_saveexec_b32 s5, s2
	s_cbranch_execz .LBB178_25
; %bb.22:
	v_lshl_add_u32 v7, v51, 2, 0x1a0
	v_mov_b32_e32 v6, 0
	v_mov_b32_e32 v8, v51
	s_mov_b32 s15, 0
	.p2align	6
.LBB178_23:                             ; =>This Inner Loop Header: Depth=1
	ds_read_b32 v9, v7
	v_add_nc_u32_e32 v8, 0x80, v8
	v_cmp_le_i32_e64 s3, s4, v8
	s_or_b32 s15, s3, s15
	s_waitcnt lgkmcnt(0)
	v_sub_f32_e32 v9, v9, v0
	v_mul_f32_e32 v9, 0x3fb8aa3b, v9
	v_exp_f32_e32 v9, v9
	ds_write_b32 v7, v9
	v_add_f32_e32 v6, v6, v9
	v_add_nc_u32_e32 v7, 0x200, v7
	s_andn2_b32 exec_lo, exec_lo, s15
	s_cbranch_execnz .LBB178_23
; %bb.24:
	s_or_b32 exec_lo, exec_lo, s15
.LBB178_25:
	s_or_b32 exec_lo, exec_lo, s5
	ds_bpermute_b32 v1, v1, v6
	s_waitcnt lgkmcnt(0)
	v_add_f32_e32 v1, v6, v1
	ds_bpermute_b32 v2, v2, v1
	s_waitcnt lgkmcnt(0)
	v_add_f32_e32 v1, v1, v2
	;; [unrolled: 3-line block ×5, first 2 shown]
	s_and_saveexec_b32 s3, vcc_lo
; %bb.26:
	ds_write_b32 v5, v1 offset:400
; %bb.27:
	s_or_b32 exec_lo, exec_lo, s3
	s_waitcnt lgkmcnt(0)
	s_barrier
	buffer_gl0_inv
	s_and_saveexec_b32 s3, s1
; %bb.28:
	ds_read_b32 v1, v26 offset:400
; %bb.29:
	s_or_b32 exec_lo, exec_lo, s3
	s_waitcnt lgkmcnt(0)
	ds_bpermute_b32 v2, v33, v1
	s_waitcnt lgkmcnt(0)
	v_add_f32_e32 v1, v1, v2
	ds_bpermute_b32 v2, v54, v1
	s_waitcnt lgkmcnt(0)
	v_add_f32_e32 v1, v1, v2
	v_mov_b32_e32 v2, 0
	ds_bpermute_b32 v1, v2, v1
	s_and_saveexec_b32 s1, s2
	s_cbranch_execz .LBB178_32
; %bb.30:
	s_waitcnt lgkmcnt(0)
	v_add_f32_e32 v2, 0x358637bd, v1
	s_mov_b32 s2, 0
	v_div_scale_f32 v4, null, v2, v2, 1.0
	v_div_scale_f32 v7, vcc_lo, 1.0, v2, 1.0
	v_rcp_f32_e32 v5, v4
	v_fma_f32 v6, -v4, v5, 1.0
	v_fmac_f32_e32 v5, v6, v5
	v_mul_f32_e32 v6, v7, v5
	v_fma_f32 v8, -v4, v6, v7
	v_fmac_f32_e32 v6, v8, v5
	v_fma_f32 v4, -v4, v6, v7
	v_div_fmas_f32 v4, v4, v5, v6
	v_div_fixup_f32 v2, v4, v2, 1.0
	v_mov_b32_e32 v4, v51
.LBB178_31:                             ; =>This Inner Loop Header: Depth=1
	ds_read_b32 v5, v3
	v_add_nc_u32_e32 v4, 0x80, v4
	v_cmp_le_i32_e32 vcc_lo, s4, v4
	s_or_b32 s2, vcc_lo, s2
	s_waitcnt lgkmcnt(0)
	v_mul_f32_e32 v5, v2, v5
	ds_write_b32 v3, v5
	v_add_nc_u32_e32 v3, 0x200, v3
	s_andn2_b32 exec_lo, exec_lo, s2
	s_cbranch_execnz .LBB178_31
.LBB178_32:
	s_or_b32 exec_lo, exec_lo, s1
	s_mul_i32 s1, s7, s26
	s_waitcnt lgkmcnt(0)
	s_mul_i32 s4, s1, s9
	s_mov_b32 s1, exec_lo
	s_barrier
	buffer_gl0_inv
	v_cmpx_eq_u32_e32 0, v51
	s_cbranch_execz .LBB178_34
; %bb.33:
	s_ashr_i32 s5, s4, 31
	s_mul_i32 s40, s7, s6
	s_lshl_b64 s[2:3], s[4:5], 2
	v_mov_b32_e32 v2, 0
	s_add_u32 s5, s22, s2
	s_addc_u32 s6, s23, s3
	s_ashr_i32 s41, s40, 31
	s_lshl_b64 s[22:23], s[40:41], 2
	s_add_u32 s5, s5, s22
	s_addc_u32 s6, s6, s23
	s_ashr_i32 s9, s8, 31
	s_lshl_b64 s[40:41], s[8:9], 2
	s_add_u32 s42, s5, s40
	s_addc_u32 s43, s6, s41
	s_add_u32 s2, s20, s2
	s_addc_u32 s3, s21, s3
	;; [unrolled: 2-line block ×4, first 2 shown]
	global_store_dword v2, v0, s[42:43]
	global_store_dword v2, v1, s[2:3]
.LBB178_34:
	s_or_b32 exec_lo, exec_lo, s1
	v_mov_b32_e32 v21, 0
	v_and_b32_e32 v53, 3, v51
	v_mov_b32_e32 v22, 0
	v_mov_b32_e32 v15, 0
	;; [unrolled: 1-line block ×23, first 2 shown]
	s_and_saveexec_b32 s3, s0
	s_cbranch_execz .LBB178_88
; %bb.35:
	s_ashr_i32 s15, s14, 31
	s_sub_i32 s5, s38, s17
	s_lshl_b64 s[0:1], s[14:15], 1
	v_lshlrev_b32_e32 v2, 3, v51
	s_add_u32 s2, s34, s0
	s_addc_u32 s14, s35, s1
	s_abs_i32 s6, s18
	buffer_store_dword v33, off, s[48:51], 0 offset:84 ; 4-byte Folded Spill
	buffer_store_dword v54, off, s[48:51], 0 offset:80 ; 4-byte Folded Spill
	v_cvt_f32_u32_e32 v3, s6
	v_and_b32_e32 v2, 24, v2
	s_sub_i32 s0, 0, s6
	v_lshlrev_b64 v[0:1], 2, v[105:106]
	v_and_b32_e32 v4, 0x1f0, v10
	v_rcp_iflag_f32_e32 v3, v3
	buffer_store_dword v2, off, s[48:51], 0 offset:64 ; 4-byte Folded Spill
	v_lshlrev_b32_e32 v5, 5, v53
	s_add_i32 s9, s36, -1
	v_add_co_u32 v4, s2, s2, v4
	v_mov_b32_e32 v120, 0
	v_lshl_or_b32 v5, v52, 7, v5
	v_mov_b32_e32 v48, 0
	v_mov_b32_e32 v109, 0
	v_mul_f32_e32 v3, 0x4f7ffffe, v3
	v_mov_b32_e32 v114, 0
	v_mov_b32_e32 v99, 0
	;; [unrolled: 1-line block ×4, first 2 shown]
	v_cvt_u32_f32_e32 v3, v3
	v_mov_b32_e32 v117, 0
	v_mov_b32_e32 v118, 0
	;; [unrolled: 1-line block ×4, first 2 shown]
	v_mul_lo_u32 v2, s0, v3
	s_lshl_b64 s[0:1], s[30:31], 2
	v_mov_b32_e32 v112, 0
	s_add_u32 s0, s28, s0
	s_addc_u32 s1, s29, s1
	v_add_co_u32 v106, vcc_lo, s0, v0
	v_mov_b32_e32 v59, 0
	v_mul_hi_u32 v2, v3, v2
	v_mov_b32_e32 v55, 0
	v_mov_b32_e32 v56, 0
	;; [unrolled: 1-line block ×3, first 2 shown]
	buffer_store_dword v4, off, s[48:51], 0 offset:68 ; 4-byte Folded Spill
	v_add_co_ci_u32_e64 v4, null, s14, 0, s2
	v_add_nc_u32_e32 v121, 0x1a0, v5
	v_add_nc_u32_e32 v0, v3, v2
	v_add_co_ci_u32_e64 v107, null, s1, v1, vcc_lo
	v_mov_b32_e32 v43, 0
	v_mov_b32_e32 v39, 0
	buffer_store_dword v0, off, s[48:51], 0 ; 4-byte Folded Spill
	v_mov_b32_e32 v35, 0
	v_mov_b32_e32 v0, 0
	;; [unrolled: 1-line block ×7, first 2 shown]
	s_mov_b32 s15, s27
	s_mov_b32 s14, 0
	buffer_store_dword v53, off, s[48:51], 0 offset:76 ; 4-byte Folded Spill
	buffer_store_dword v4, off, s[48:51], 0 offset:72 ; 4-byte Folded Spill
	s_branch .LBB178_38
.LBB178_36:                             ;   in Loop: Header=BB178_38 Depth=1
	s_or_b32 exec_lo, exec_lo, s1
	s_waitcnt lgkmcnt(1)
	v_bfe_u32 v108, v85, 16, 1
	v_or_b32_e32 v113, 0x400000, v85
	v_cmp_u_f32_e32 vcc_lo, v85, v85
	v_add3_u32 v108, v108, v85, 0x7fff
	v_cndmask_b32_e32 v85, v108, v113, vcc_lo
	v_bfe_u32 v108, v86, 16, 1
	v_or_b32_e32 v113, 0x400000, v86
	v_cmp_u_f32_e32 vcc_lo, v86, v86
	v_add3_u32 v108, v108, v86, 0x7fff
	v_cndmask_b32_e32 v86, v108, v113, vcc_lo
	;; [unrolled: 5-line block ×3, first 2 shown]
	v_bfe_u32 v108, v88, 16, 1
	v_or_b32_e32 v113, 0x400000, v88
	v_cmp_u_f32_e32 vcc_lo, v88, v88
	v_and_b32_e32 v87, 0xffff0000, v87
	v_add3_u32 v108, v108, v88, 0x7fff
	s_waitcnt lgkmcnt(0)
	v_bfe_u32 v88, v81, 16, 1
	v_cndmask_b32_e32 v108, v108, v113, vcc_lo
	v_add3_u32 v88, v88, v81, 0x7fff
	v_or_b32_e32 v113, 0x400000, v81
	v_cmp_u_f32_e32 vcc_lo, v81, v81
	v_cndmask_b32_e32 v81, v88, v113, vcc_lo
	v_bfe_u32 v88, v82, 16, 1
	v_or_b32_e32 v113, 0x400000, v82
	v_cmp_u_f32_e32 vcc_lo, v82, v82
	v_add3_u32 v88, v88, v82, 0x7fff
	v_cndmask_b32_e32 v82, v88, v113, vcc_lo
	v_bfe_u32 v88, v83, 16, 1
	v_or_b32_e32 v113, 0x400000, v83
	v_cmp_u_f32_e32 vcc_lo, v83, v83
	v_and_b32_e32 v82, 0xffff0000, v82
	v_add3_u32 v88, v88, v83, 0x7fff
	v_bfe_u32 v83, v84, 16, 1
	v_cndmask_b32_e32 v113, v88, v113, vcc_lo
	v_add3_u32 v83, v83, v84, 0x7fff
	v_or_b32_e32 v88, 0x400000, v84
	v_cmp_u_f32_e32 vcc_lo, v84, v84
	v_and_b32_e32 v84, 0xffff0000, v86
	v_cndmask_b32_e32 v122, v83, v88, vcc_lo
	s_waitcnt vmcnt(1)
	v_and_b32_e32 v83, 0xffff0000, v101
	v_mul_f32_e32 v83, v84, v83
	v_bfe_u32 v86, v83, 16, 1
	v_or_b32_e32 v88, 0x400000, v83
	v_cmp_u_f32_e32 vcc_lo, v83, v83
	v_add3_u32 v86, v86, v83, 0x7fff
	v_lshlrev_b32_e32 v83, 16, v101
	v_cndmask_b32_e32 v123, v86, v88, vcc_lo
	v_and_b32_e32 v88, 0xffff0000, v85
	v_mul_f32_e32 v83, v88, v83
	v_bfe_u32 v85, v83, 16, 1
	v_or_b32_e32 v86, 0x400000, v83
	v_cmp_u_f32_e32 vcc_lo, v83, v83
	v_add3_u32 v85, v85, v83, 0x7fff
	v_and_b32_e32 v83, 0xffff0000, v108
	v_cndmask_b32_e32 v101, v85, v86, vcc_lo
	v_and_b32_e32 v85, 0xffff0000, v102
	v_and_b32_e32 v101, 0xffff0000, v101
	v_mul_f32_e32 v85, v83, v85
	v_bfe_u32 v86, v85, 16, 1
	v_or_b32_e32 v108, 0x400000, v85
	v_cmp_u_f32_e32 vcc_lo, v85, v85
	v_add3_u32 v86, v86, v85, 0x7fff
	v_lshlrev_b32_e32 v85, 16, v102
	v_cndmask_b32_e32 v108, v86, v108, vcc_lo
	v_mul_f32_e32 v85, v87, v85
	v_and_b32_e32 v108, 0xffff0000, v108
	v_bfe_u32 v86, v85, 16, 1
	v_or_b32_e32 v102, 0x400000, v85
	v_cmp_u_f32_e32 vcc_lo, v85, v85
	v_add3_u32 v86, v86, v85, 0x7fff
	v_and_b32_e32 v85, 0xffff0000, v103
	v_cndmask_b32_e32 v102, v86, v102, vcc_lo
	v_mul_f32_e32 v85, v82, v85
	v_and_b32_e32 v102, 0xffff0000, v102
	v_bfe_u32 v86, v85, 16, 1
	v_or_b32_e32 v124, 0x400000, v85
	v_cmp_u_f32_e32 vcc_lo, v85, v85
	v_add_f32_e32 v102, v102, v108
	v_add3_u32 v86, v86, v85, 0x7fff
	v_cndmask_b32_e32 v124, v86, v124, vcc_lo
	v_and_b32_e32 v86, 0xffff0000, v81
	v_lshlrev_b32_e32 v81, 16, v103
	v_mul_f32_e32 v81, v86, v81
	v_bfe_u32 v85, v81, 16, 1
	v_or_b32_e32 v103, 0x400000, v81
	v_cmp_u_f32_e32 vcc_lo, v81, v81
	v_add3_u32 v85, v85, v81, 0x7fff
	v_and_b32_e32 v81, 0xffff0000, v122
	v_cndmask_b32_e32 v103, v85, v103, vcc_lo
	v_and_b32_e32 v85, 0xffff0000, v104
	v_lshlrev_b32_e32 v104, 16, v104
	v_mul_f32_e32 v85, v81, v85
	v_bfe_u32 v122, v85, 16, 1
	v_or_b32_e32 v125, 0x400000, v85
	v_cmp_u_f32_e32 vcc_lo, v85, v85
	v_add3_u32 v122, v122, v85, 0x7fff
	v_and_b32_e32 v85, 0xffff0000, v113
	v_cndmask_b32_e32 v122, v122, v125, vcc_lo
	v_mul_f32_e32 v104, v85, v104
	v_bfe_u32 v113, v104, 16, 1
	v_or_b32_e32 v125, 0x400000, v104
	v_cmp_u_f32_e32 vcc_lo, v104, v104
	v_add3_u32 v113, v113, v104, 0x7fff
	v_cndmask_b32_e32 v104, v113, v125, vcc_lo
	v_and_b32_e32 v113, 0xffff0000, v123
	v_add_f32_e32 v101, v101, v113
	v_add_f32_e32 v101, v102, v101
	v_and_b32_e32 v102, 0xffff0000, v103
	v_and_b32_e32 v103, 0xffff0000, v124
	v_add_f32_e32 v102, v102, v103
	v_and_b32_e32 v103, 0xffff0000, v122
	v_add_f32_e32 v101, v102, v101
	;; [unrolled: 2-line block ×3, first 2 shown]
	v_add_f32_e32 v101, v102, v101
	v_add_f32_e32 v109, v109, v101
	v_and_b32_e32 v101, 0xffff0000, v97
	v_lshlrev_b32_e32 v97, 16, v97
	v_mul_f32_e32 v101, v84, v101
	v_mul_f32_e32 v97, v88, v97
	v_bfe_u32 v102, v101, 16, 1
	v_or_b32_e32 v103, 0x400000, v101
	v_cmp_u_f32_e32 vcc_lo, v101, v101
	v_add3_u32 v102, v102, v101, 0x7fff
	v_cndmask_b32_e32 v101, v102, v103, vcc_lo
	v_bfe_u32 v102, v97, 16, 1
	v_or_b32_e32 v103, 0x400000, v97
	v_cmp_u_f32_e32 vcc_lo, v97, v97
	v_and_b32_e32 v101, 0xffff0000, v101
	v_add3_u32 v102, v102, v97, 0x7fff
	v_cndmask_b32_e32 v97, v102, v103, vcc_lo
	v_and_b32_e32 v102, 0xffff0000, v98
	v_lshlrev_b32_e32 v98, 16, v98
	v_and_b32_e32 v97, 0xffff0000, v97
	v_mul_f32_e32 v102, v83, v102
	v_mul_f32_e32 v98, v87, v98
	v_add_f32_e32 v97, v97, v101
	v_bfe_u32 v103, v102, 16, 1
	v_or_b32_e32 v104, 0x400000, v102
	v_cmp_u_f32_e32 vcc_lo, v102, v102
	v_add3_u32 v103, v103, v102, 0x7fff
	v_cndmask_b32_e32 v102, v103, v104, vcc_lo
	v_bfe_u32 v103, v98, 16, 1
	v_or_b32_e32 v104, 0x400000, v98
	v_cmp_u_f32_e32 vcc_lo, v98, v98
	v_and_b32_e32 v101, 0xffff0000, v102
	v_add3_u32 v103, v103, v98, 0x7fff
	v_cndmask_b32_e32 v98, v103, v104, vcc_lo
	v_and_b32_e32 v103, 0xffff0000, v99
	v_lshlrev_b32_e32 v99, 16, v99
	v_and_b32_e32 v98, 0xffff0000, v98
	v_mul_f32_e32 v103, v82, v103
	v_mul_f32_e32 v99, v86, v99
	v_add_f32_e32 v98, v98, v101
	v_bfe_u32 v104, v103, 16, 1
	v_or_b32_e32 v108, 0x400000, v103
	v_cmp_u_f32_e32 vcc_lo, v103, v103
	v_add_f32_e32 v97, v98, v97
	v_add3_u32 v104, v104, v103, 0x7fff
	v_cndmask_b32_e32 v103, v104, v108, vcc_lo
	v_bfe_u32 v104, v99, 16, 1
	v_or_b32_e32 v108, 0x400000, v99
	v_cmp_u_f32_e32 vcc_lo, v99, v99
	v_add3_u32 v104, v104, v99, 0x7fff
	v_cndmask_b32_e32 v99, v104, v108, vcc_lo
	v_and_b32_e32 v104, 0xffff0000, v100
	v_lshlrev_b32_e32 v100, 16, v100
	v_and_b32_e32 v98, 0xffff0000, v99
	v_mul_f32_e32 v104, v81, v104
	v_mul_f32_e32 v100, v85, v100
	v_and_b32_e32 v99, 0xffff0000, v103
	v_bfe_u32 v108, v104, 16, 1
	v_or_b32_e32 v113, 0x400000, v104
	v_cmp_u_f32_e32 vcc_lo, v104, v104
	v_add_f32_e32 v98, v98, v99
	v_add3_u32 v108, v108, v104, 0x7fff
	v_add_f32_e32 v97, v98, v97
	v_cndmask_b32_e32 v104, v108, v113, vcc_lo
	v_bfe_u32 v108, v100, 16, 1
	v_or_b32_e32 v113, 0x400000, v100
	v_cmp_u_f32_e32 vcc_lo, v100, v100
	v_and_b32_e32 v99, 0xffff0000, v104
	v_add3_u32 v108, v108, v100, 0x7fff
	v_cndmask_b32_e32 v100, v108, v113, vcc_lo
	v_and_b32_e32 v98, 0xffff0000, v100
	v_add_f32_e32 v98, v98, v99
	v_add_f32_e32 v97, v98, v97
	;; [unrolled: 1-line block ×3, first 2 shown]
	v_and_b32_e32 v97, 0xffff0000, v93
	v_lshlrev_b32_e32 v93, 16, v93
	v_mul_f32_e32 v97, v84, v97
	v_mul_f32_e32 v93, v88, v93
	v_bfe_u32 v98, v97, 16, 1
	v_or_b32_e32 v99, 0x400000, v97
	v_cmp_u_f32_e32 vcc_lo, v97, v97
	v_add3_u32 v98, v98, v97, 0x7fff
	v_cndmask_b32_e32 v97, v98, v99, vcc_lo
	v_bfe_u32 v98, v93, 16, 1
	v_or_b32_e32 v99, 0x400000, v93
	v_cmp_u_f32_e32 vcc_lo, v93, v93
	v_and_b32_e32 v97, 0xffff0000, v97
	v_add3_u32 v98, v98, v93, 0x7fff
	v_cndmask_b32_e32 v93, v98, v99, vcc_lo
	v_and_b32_e32 v98, 0xffff0000, v94
	v_lshlrev_b32_e32 v94, 16, v94
	v_and_b32_e32 v93, 0xffff0000, v93
	v_mul_f32_e32 v98, v83, v98
	v_mul_f32_e32 v94, v87, v94
	v_add_f32_e32 v93, v93, v97
	v_bfe_u32 v99, v98, 16, 1
	v_or_b32_e32 v100, 0x400000, v98
	v_cmp_u_f32_e32 vcc_lo, v98, v98
	v_add3_u32 v99, v99, v98, 0x7fff
	v_cndmask_b32_e32 v98, v99, v100, vcc_lo
	v_bfe_u32 v99, v94, 16, 1
	v_or_b32_e32 v100, 0x400000, v94
	v_cmp_u_f32_e32 vcc_lo, v94, v94
	v_and_b32_e32 v97, 0xffff0000, v98
	v_add3_u32 v99, v99, v94, 0x7fff
	v_cndmask_b32_e32 v94, v99, v100, vcc_lo
	v_and_b32_e32 v99, 0xffff0000, v95
	v_lshlrev_b32_e32 v95, 16, v95
	v_and_b32_e32 v94, 0xffff0000, v94
	v_mul_f32_e32 v99, v82, v99
	v_mul_f32_e32 v95, v86, v95
	v_add_f32_e32 v94, v94, v97
	v_bfe_u32 v100, v99, 16, 1
	v_or_b32_e32 v101, 0x400000, v99
	v_cmp_u_f32_e32 vcc_lo, v99, v99
	v_add_f32_e32 v93, v94, v93
	v_add3_u32 v100, v100, v99, 0x7fff
	v_cndmask_b32_e32 v99, v100, v101, vcc_lo
	v_bfe_u32 v100, v95, 16, 1
	v_or_b32_e32 v101, 0x400000, v95
	v_cmp_u_f32_e32 vcc_lo, v95, v95
	v_add3_u32 v100, v100, v95, 0x7fff
	v_cndmask_b32_e32 v95, v100, v101, vcc_lo
	v_and_b32_e32 v100, 0xffff0000, v96
	v_lshlrev_b32_e32 v96, 16, v96
	v_and_b32_e32 v94, 0xffff0000, v95
	v_mul_f32_e32 v100, v81, v100
	v_mul_f32_e32 v96, v85, v96
	v_and_b32_e32 v95, 0xffff0000, v99
	v_mov_b32_e32 v99, v0
	buffer_load_dword v0, off, s[48:51], 0 offset:36 ; 4-byte Folded Reload
	v_bfe_u32 v101, v100, 16, 1
	v_or_b32_e32 v102, 0x400000, v100
	v_cmp_u_f32_e32 vcc_lo, v100, v100
	v_add_f32_e32 v94, v94, v95
	v_add3_u32 v101, v101, v100, 0x7fff
	v_add_f32_e32 v93, v94, v93
	v_cndmask_b32_e32 v100, v101, v102, vcc_lo
	v_bfe_u32 v101, v96, 16, 1
	v_or_b32_e32 v102, 0x400000, v96
	v_cmp_u_f32_e32 vcc_lo, v96, v96
	v_and_b32_e32 v95, 0xffff0000, v100
	v_add3_u32 v101, v101, v96, 0x7fff
	v_cndmask_b32_e32 v96, v101, v102, vcc_lo
	v_and_b32_e32 v94, 0xffff0000, v96
	v_add_f32_e32 v94, v94, v95
	v_add_f32_e32 v93, v94, v93
	;; [unrolled: 1-line block ×3, first 2 shown]
	v_and_b32_e32 v93, 0xffff0000, v89
	v_lshlrev_b32_e32 v89, 16, v89
	v_mul_f32_e32 v93, v84, v93
	v_mul_f32_e32 v89, v88, v89
	v_bfe_u32 v94, v93, 16, 1
	v_or_b32_e32 v95, 0x400000, v93
	v_cmp_u_f32_e32 vcc_lo, v93, v93
	v_add3_u32 v94, v94, v93, 0x7fff
	v_cndmask_b32_e32 v93, v94, v95, vcc_lo
	v_bfe_u32 v94, v89, 16, 1
	v_or_b32_e32 v95, 0x400000, v89
	v_cmp_u_f32_e32 vcc_lo, v89, v89
	v_and_b32_e32 v93, 0xffff0000, v93
	v_add3_u32 v94, v94, v89, 0x7fff
	v_cndmask_b32_e32 v89, v94, v95, vcc_lo
	v_and_b32_e32 v94, 0xffff0000, v90
	v_lshlrev_b32_e32 v90, 16, v90
	v_and_b32_e32 v89, 0xffff0000, v89
	v_mul_f32_e32 v94, v83, v94
	v_mul_f32_e32 v90, v87, v90
	v_add_f32_e32 v89, v89, v93
	v_bfe_u32 v95, v94, 16, 1
	v_or_b32_e32 v96, 0x400000, v94
	v_cmp_u_f32_e32 vcc_lo, v94, v94
	v_add3_u32 v95, v95, v94, 0x7fff
	v_cndmask_b32_e32 v94, v95, v96, vcc_lo
	v_bfe_u32 v95, v90, 16, 1
	v_or_b32_e32 v96, 0x400000, v90
	v_cmp_u_f32_e32 vcc_lo, v90, v90
	v_and_b32_e32 v93, 0xffff0000, v94
	v_add3_u32 v95, v95, v90, 0x7fff
	v_cndmask_b32_e32 v90, v95, v96, vcc_lo
	v_and_b32_e32 v95, 0xffff0000, v91
	v_lshlrev_b32_e32 v91, 16, v91
	v_and_b32_e32 v90, 0xffff0000, v90
	v_mul_f32_e32 v95, v82, v95
	v_mul_f32_e32 v91, v86, v91
	v_add_f32_e32 v90, v90, v93
	v_bfe_u32 v96, v95, 16, 1
	v_or_b32_e32 v97, 0x400000, v95
	v_cmp_u_f32_e32 vcc_lo, v95, v95
	v_add_f32_e32 v89, v90, v89
	v_add3_u32 v96, v96, v95, 0x7fff
	v_cndmask_b32_e32 v95, v96, v97, vcc_lo
	v_bfe_u32 v96, v91, 16, 1
	v_or_b32_e32 v97, 0x400000, v91
	v_cmp_u_f32_e32 vcc_lo, v91, v91
	v_add3_u32 v96, v96, v91, 0x7fff
	v_cndmask_b32_e32 v91, v96, v97, vcc_lo
	v_and_b32_e32 v96, 0xffff0000, v92
	v_lshlrev_b32_e32 v92, 16, v92
	v_and_b32_e32 v90, 0xffff0000, v91
	v_mul_f32_e32 v96, v81, v96
	v_mul_f32_e32 v92, v85, v92
	v_and_b32_e32 v91, 0xffff0000, v95
	v_bfe_u32 v97, v96, 16, 1
	v_or_b32_e32 v98, 0x400000, v96
	v_cmp_u_f32_e32 vcc_lo, v96, v96
	v_add_f32_e32 v90, v90, v91
	v_add3_u32 v97, v97, v96, 0x7fff
	v_add_f32_e32 v89, v90, v89
	v_cndmask_b32_e32 v96, v97, v98, vcc_lo
	v_bfe_u32 v97, v92, 16, 1
	v_or_b32_e32 v98, 0x400000, v92
	v_cmp_u_f32_e32 vcc_lo, v92, v92
	v_and_b32_e32 v91, 0xffff0000, v96
	v_add3_u32 v97, v97, v92, 0x7fff
	v_cndmask_b32_e32 v92, v97, v98, vcc_lo
	v_and_b32_e32 v90, 0xffff0000, v92
	v_add_f32_e32 v90, v90, v91
	v_add_f32_e32 v89, v90, v89
	;; [unrolled: 1-line block ×3, first 2 shown]
	v_and_b32_e32 v89, 0xffff0000, v77
	v_lshlrev_b32_e32 v77, 16, v77
	v_mul_f32_e32 v89, v84, v89
	v_mul_f32_e32 v77, v88, v77
	v_bfe_u32 v90, v89, 16, 1
	v_or_b32_e32 v91, 0x400000, v89
	v_cmp_u_f32_e32 vcc_lo, v89, v89
	v_add3_u32 v90, v90, v89, 0x7fff
	v_cndmask_b32_e32 v89, v90, v91, vcc_lo
	v_bfe_u32 v90, v77, 16, 1
	v_or_b32_e32 v91, 0x400000, v77
	v_cmp_u_f32_e32 vcc_lo, v77, v77
	v_and_b32_e32 v89, 0xffff0000, v89
	v_add3_u32 v90, v90, v77, 0x7fff
	v_cndmask_b32_e32 v77, v90, v91, vcc_lo
	v_and_b32_e32 v90, 0xffff0000, v78
	v_lshlrev_b32_e32 v78, 16, v78
	v_and_b32_e32 v77, 0xffff0000, v77
	v_mul_f32_e32 v90, v83, v90
	v_mul_f32_e32 v78, v87, v78
	v_add_f32_e32 v77, v77, v89
	v_bfe_u32 v91, v90, 16, 1
	v_or_b32_e32 v92, 0x400000, v90
	v_cmp_u_f32_e32 vcc_lo, v90, v90
	v_add3_u32 v91, v91, v90, 0x7fff
	v_cndmask_b32_e32 v90, v91, v92, vcc_lo
	v_bfe_u32 v91, v78, 16, 1
	v_or_b32_e32 v92, 0x400000, v78
	v_cmp_u_f32_e32 vcc_lo, v78, v78
	v_and_b32_e32 v89, 0xffff0000, v90
	v_add3_u32 v91, v91, v78, 0x7fff
	v_cndmask_b32_e32 v78, v91, v92, vcc_lo
	v_and_b32_e32 v91, 0xffff0000, v79
	v_lshlrev_b32_e32 v79, 16, v79
	v_and_b32_e32 v78, 0xffff0000, v78
	v_mul_f32_e32 v91, v82, v91
	v_mul_f32_e32 v79, v86, v79
	v_add_f32_e32 v78, v78, v89
	v_bfe_u32 v92, v91, 16, 1
	v_or_b32_e32 v93, 0x400000, v91
	v_cmp_u_f32_e32 vcc_lo, v91, v91
	v_add_f32_e32 v77, v78, v77
	v_add3_u32 v92, v92, v91, 0x7fff
	v_cndmask_b32_e32 v91, v92, v93, vcc_lo
	v_bfe_u32 v92, v79, 16, 1
	v_or_b32_e32 v93, 0x400000, v79
	v_cmp_u_f32_e32 vcc_lo, v79, v79
	v_add3_u32 v92, v92, v79, 0x7fff
	v_cndmask_b32_e32 v79, v92, v93, vcc_lo
	v_and_b32_e32 v92, 0xffff0000, v80
	v_lshlrev_b32_e32 v80, 16, v80
	v_and_b32_e32 v78, 0xffff0000, v79
	v_mul_f32_e32 v92, v81, v92
	v_mul_f32_e32 v80, v85, v80
	v_and_b32_e32 v79, 0xffff0000, v91
	v_bfe_u32 v93, v92, 16, 1
	v_or_b32_e32 v94, 0x400000, v92
	v_cmp_u_f32_e32 vcc_lo, v92, v92
	v_add_f32_e32 v78, v78, v79
	v_add3_u32 v93, v93, v92, 0x7fff
	v_add_f32_e32 v77, v78, v77
	v_cndmask_b32_e32 v92, v93, v94, vcc_lo
	v_bfe_u32 v93, v80, 16, 1
	v_or_b32_e32 v94, 0x400000, v80
	v_cmp_u_f32_e32 vcc_lo, v80, v80
	v_and_b32_e32 v79, 0xffff0000, v92
	v_add3_u32 v93, v93, v80, 0x7fff
	v_cndmask_b32_e32 v80, v93, v94, vcc_lo
	v_and_b32_e32 v78, 0xffff0000, v80
	v_add_f32_e32 v78, v78, v79
	v_add_f32_e32 v77, v78, v77
	;; [unrolled: 1-line block ×3, first 2 shown]
	v_and_b32_e32 v77, 0xffff0000, v73
	v_lshlrev_b32_e32 v73, 16, v73
	v_mul_f32_e32 v77, v84, v77
	v_mul_f32_e32 v73, v88, v73
	v_bfe_u32 v78, v77, 16, 1
	v_or_b32_e32 v79, 0x400000, v77
	v_cmp_u_f32_e32 vcc_lo, v77, v77
	v_add3_u32 v78, v78, v77, 0x7fff
	v_cndmask_b32_e32 v77, v78, v79, vcc_lo
	v_bfe_u32 v78, v73, 16, 1
	v_or_b32_e32 v79, 0x400000, v73
	v_cmp_u_f32_e32 vcc_lo, v73, v73
	v_and_b32_e32 v77, 0xffff0000, v77
	v_add3_u32 v78, v78, v73, 0x7fff
	v_cndmask_b32_e32 v73, v78, v79, vcc_lo
	v_and_b32_e32 v78, 0xffff0000, v74
	v_lshlrev_b32_e32 v74, 16, v74
	v_and_b32_e32 v73, 0xffff0000, v73
	v_mul_f32_e32 v78, v83, v78
	v_mul_f32_e32 v74, v87, v74
	v_add_f32_e32 v73, v73, v77
	v_bfe_u32 v79, v78, 16, 1
	v_or_b32_e32 v80, 0x400000, v78
	v_cmp_u_f32_e32 vcc_lo, v78, v78
	v_add3_u32 v79, v79, v78, 0x7fff
	v_cndmask_b32_e32 v78, v79, v80, vcc_lo
	v_bfe_u32 v79, v74, 16, 1
	v_or_b32_e32 v80, 0x400000, v74
	v_cmp_u_f32_e32 vcc_lo, v74, v74
	v_and_b32_e32 v77, 0xffff0000, v78
	v_add3_u32 v79, v79, v74, 0x7fff
	v_cndmask_b32_e32 v74, v79, v80, vcc_lo
	v_and_b32_e32 v79, 0xffff0000, v75
	v_lshlrev_b32_e32 v75, 16, v75
	v_and_b32_e32 v74, 0xffff0000, v74
	v_mul_f32_e32 v79, v82, v79
	v_mul_f32_e32 v75, v86, v75
	v_add_f32_e32 v74, v74, v77
	v_bfe_u32 v80, v79, 16, 1
	v_or_b32_e32 v89, 0x400000, v79
	v_cmp_u_f32_e32 vcc_lo, v79, v79
	v_add_f32_e32 v73, v74, v73
	v_add3_u32 v80, v80, v79, 0x7fff
	v_cndmask_b32_e32 v79, v80, v89, vcc_lo
	v_bfe_u32 v80, v75, 16, 1
	v_or_b32_e32 v89, 0x400000, v75
	v_cmp_u_f32_e32 vcc_lo, v75, v75
	v_add3_u32 v80, v80, v75, 0x7fff
	v_cndmask_b32_e32 v75, v80, v89, vcc_lo
	v_and_b32_e32 v80, 0xffff0000, v76
	v_lshlrev_b32_e32 v76, 16, v76
	v_and_b32_e32 v74, 0xffff0000, v75
	v_mul_f32_e32 v80, v81, v80
	v_mul_f32_e32 v76, v85, v76
	v_and_b32_e32 v75, 0xffff0000, v79
	v_bfe_u32 v89, v80, 16, 1
	v_or_b32_e32 v90, 0x400000, v80
	v_cmp_u_f32_e32 vcc_lo, v80, v80
	v_add_f32_e32 v74, v74, v75
	v_add3_u32 v89, v89, v80, 0x7fff
	v_add_f32_e32 v73, v74, v73
	v_cndmask_b32_e32 v80, v89, v90, vcc_lo
	v_bfe_u32 v89, v76, 16, 1
	v_or_b32_e32 v90, 0x400000, v76
	v_cmp_u_f32_e32 vcc_lo, v76, v76
	v_and_b32_e32 v75, 0xffff0000, v80
	v_add3_u32 v89, v89, v76, 0x7fff
	v_cndmask_b32_e32 v76, v89, v90, vcc_lo
	v_and_b32_e32 v74, 0xffff0000, v76
	v_add_f32_e32 v74, v74, v75
	v_add_f32_e32 v73, v74, v73
	;; [unrolled: 1-line block ×3, first 2 shown]
	v_and_b32_e32 v73, 0xffff0000, v69
	v_lshlrev_b32_e32 v69, 16, v69
	v_mul_f32_e32 v73, v84, v73
	v_mul_f32_e32 v69, v88, v69
	v_bfe_u32 v74, v73, 16, 1
	v_or_b32_e32 v75, 0x400000, v73
	v_cmp_u_f32_e32 vcc_lo, v73, v73
	v_add3_u32 v74, v74, v73, 0x7fff
	v_cndmask_b32_e32 v73, v74, v75, vcc_lo
	v_bfe_u32 v74, v69, 16, 1
	v_or_b32_e32 v75, 0x400000, v69
	v_cmp_u_f32_e32 vcc_lo, v69, v69
	v_and_b32_e32 v73, 0xffff0000, v73
	v_add3_u32 v74, v74, v69, 0x7fff
	v_cndmask_b32_e32 v69, v74, v75, vcc_lo
	v_and_b32_e32 v74, 0xffff0000, v70
	v_lshlrev_b32_e32 v70, 16, v70
	v_and_b32_e32 v69, 0xffff0000, v69
	v_mul_f32_e32 v74, v83, v74
	v_mul_f32_e32 v70, v87, v70
	v_add_f32_e32 v69, v69, v73
	v_bfe_u32 v75, v74, 16, 1
	v_or_b32_e32 v76, 0x400000, v74
	v_cmp_u_f32_e32 vcc_lo, v74, v74
	v_add3_u32 v75, v75, v74, 0x7fff
	v_cndmask_b32_e32 v74, v75, v76, vcc_lo
	v_bfe_u32 v75, v70, 16, 1
	v_or_b32_e32 v76, 0x400000, v70
	v_cmp_u_f32_e32 vcc_lo, v70, v70
	v_and_b32_e32 v73, 0xffff0000, v74
	v_add3_u32 v75, v75, v70, 0x7fff
	v_cndmask_b32_e32 v70, v75, v76, vcc_lo
	v_and_b32_e32 v75, 0xffff0000, v71
	v_lshlrev_b32_e32 v71, 16, v71
	v_and_b32_e32 v70, 0xffff0000, v70
	v_mul_f32_e32 v75, v82, v75
	v_mul_f32_e32 v71, v86, v71
	v_add_f32_e32 v70, v70, v73
	v_bfe_u32 v76, v75, 16, 1
	v_or_b32_e32 v77, 0x400000, v75
	v_cmp_u_f32_e32 vcc_lo, v75, v75
	v_add_f32_e32 v69, v70, v69
	v_add3_u32 v76, v76, v75, 0x7fff
	v_cndmask_b32_e32 v75, v76, v77, vcc_lo
	v_bfe_u32 v76, v71, 16, 1
	v_or_b32_e32 v77, 0x400000, v71
	v_cmp_u_f32_e32 vcc_lo, v71, v71
	v_add3_u32 v76, v76, v71, 0x7fff
	v_cndmask_b32_e32 v71, v76, v77, vcc_lo
	v_and_b32_e32 v76, 0xffff0000, v72
	v_lshlrev_b32_e32 v72, 16, v72
	v_and_b32_e32 v70, 0xffff0000, v71
	v_mul_f32_e32 v76, v81, v76
	v_mul_f32_e32 v72, v85, v72
	v_and_b32_e32 v71, 0xffff0000, v75
	v_bfe_u32 v77, v76, 16, 1
	v_or_b32_e32 v78, 0x400000, v76
	v_cmp_u_f32_e32 vcc_lo, v76, v76
	v_add_f32_e32 v70, v70, v71
	v_add3_u32 v77, v77, v76, 0x7fff
	v_add_f32_e32 v69, v70, v69
	v_cndmask_b32_e32 v76, v77, v78, vcc_lo
	v_bfe_u32 v77, v72, 16, 1
	v_or_b32_e32 v78, 0x400000, v72
	v_cmp_u_f32_e32 vcc_lo, v72, v72
	v_and_b32_e32 v71, 0xffff0000, v76
	v_add3_u32 v77, v77, v72, 0x7fff
	v_cndmask_b32_e32 v72, v77, v78, vcc_lo
	v_and_b32_e32 v70, 0xffff0000, v72
	v_add_f32_e32 v70, v70, v71
	v_add_f32_e32 v69, v70, v69
	v_add_f32_e32 v118, v118, v69
	v_and_b32_e32 v69, 0xffff0000, v65
	v_lshlrev_b32_e32 v65, 16, v65
	v_mul_f32_e32 v69, v84, v69
	v_mul_f32_e32 v65, v88, v65
	v_bfe_u32 v70, v69, 16, 1
	v_or_b32_e32 v71, 0x400000, v69
	v_cmp_u_f32_e32 vcc_lo, v69, v69
	v_add3_u32 v70, v70, v69, 0x7fff
	v_cndmask_b32_e32 v69, v70, v71, vcc_lo
	v_bfe_u32 v70, v65, 16, 1
	v_or_b32_e32 v71, 0x400000, v65
	v_cmp_u_f32_e32 vcc_lo, v65, v65
	v_and_b32_e32 v69, 0xffff0000, v69
	v_add3_u32 v70, v70, v65, 0x7fff
	v_cndmask_b32_e32 v65, v70, v71, vcc_lo
	v_and_b32_e32 v70, 0xffff0000, v66
	v_lshlrev_b32_e32 v66, 16, v66
	v_and_b32_e32 v65, 0xffff0000, v65
	v_mul_f32_e32 v70, v83, v70
	v_mul_f32_e32 v66, v87, v66
	v_add_f32_e32 v65, v65, v69
	v_bfe_u32 v71, v70, 16, 1
	v_or_b32_e32 v72, 0x400000, v70
	v_cmp_u_f32_e32 vcc_lo, v70, v70
	v_add3_u32 v71, v71, v70, 0x7fff
	v_cndmask_b32_e32 v70, v71, v72, vcc_lo
	v_bfe_u32 v71, v66, 16, 1
	v_or_b32_e32 v72, 0x400000, v66
	v_cmp_u_f32_e32 vcc_lo, v66, v66
	v_and_b32_e32 v69, 0xffff0000, v70
	v_add3_u32 v71, v71, v66, 0x7fff
	v_cndmask_b32_e32 v66, v71, v72, vcc_lo
	v_and_b32_e32 v71, 0xffff0000, v67
	v_lshlrev_b32_e32 v67, 16, v67
	v_and_b32_e32 v66, 0xffff0000, v66
	v_mul_f32_e32 v71, v82, v71
	v_mul_f32_e32 v67, v86, v67
	v_add_f32_e32 v66, v66, v69
	v_bfe_u32 v72, v71, 16, 1
	v_or_b32_e32 v73, 0x400000, v71
	v_cmp_u_f32_e32 vcc_lo, v71, v71
	v_add_f32_e32 v65, v66, v65
	v_add3_u32 v72, v72, v71, 0x7fff
	v_cndmask_b32_e32 v71, v72, v73, vcc_lo
	v_bfe_u32 v72, v67, 16, 1
	v_or_b32_e32 v73, 0x400000, v67
	v_cmp_u_f32_e32 vcc_lo, v67, v67
	v_add3_u32 v72, v72, v67, 0x7fff
	v_cndmask_b32_e32 v67, v72, v73, vcc_lo
	v_and_b32_e32 v72, 0xffff0000, v68
	v_lshlrev_b32_e32 v68, 16, v68
	v_and_b32_e32 v66, 0xffff0000, v67
	v_mul_f32_e32 v72, v81, v72
	v_mul_f32_e32 v68, v85, v68
	v_and_b32_e32 v67, 0xffff0000, v71
	v_bfe_u32 v73, v72, 16, 1
	v_or_b32_e32 v74, 0x400000, v72
	v_cmp_u_f32_e32 vcc_lo, v72, v72
	v_add_f32_e32 v66, v66, v67
	v_add3_u32 v73, v73, v72, 0x7fff
	v_add_f32_e32 v65, v66, v65
	v_cndmask_b32_e32 v72, v73, v74, vcc_lo
	v_bfe_u32 v73, v68, 16, 1
	v_or_b32_e32 v74, 0x400000, v68
	v_cmp_u_f32_e32 vcc_lo, v68, v68
	v_and_b32_e32 v67, 0xffff0000, v72
	v_add3_u32 v73, v73, v68, 0x7fff
	v_cndmask_b32_e32 v68, v73, v74, vcc_lo
	v_and_b32_e32 v66, 0xffff0000, v68
	v_add_f32_e32 v66, v66, v67
	v_add_f32_e32 v65, v66, v65
	;; [unrolled: 1-line block ×3, first 2 shown]
	v_and_b32_e32 v65, 0xffff0000, v61
	v_lshlrev_b32_e32 v61, 16, v61
	v_mul_f32_e32 v65, v84, v65
	v_mul_f32_e32 v61, v88, v61
	v_bfe_u32 v66, v65, 16, 1
	v_or_b32_e32 v67, 0x400000, v65
	v_cmp_u_f32_e32 vcc_lo, v65, v65
	v_add3_u32 v66, v66, v65, 0x7fff
	v_cndmask_b32_e32 v65, v66, v67, vcc_lo
	v_bfe_u32 v66, v61, 16, 1
	v_or_b32_e32 v67, 0x400000, v61
	v_cmp_u_f32_e32 vcc_lo, v61, v61
	v_and_b32_e32 v65, 0xffff0000, v65
	v_add3_u32 v66, v66, v61, 0x7fff
	v_cndmask_b32_e32 v61, v66, v67, vcc_lo
	v_and_b32_e32 v66, 0xffff0000, v62
	v_lshlrev_b32_e32 v62, 16, v62
	v_and_b32_e32 v61, 0xffff0000, v61
	v_mul_f32_e32 v66, v83, v66
	v_mul_f32_e32 v62, v87, v62
	v_add_f32_e32 v61, v61, v65
	v_bfe_u32 v67, v66, 16, 1
	v_or_b32_e32 v68, 0x400000, v66
	v_cmp_u_f32_e32 vcc_lo, v66, v66
	v_add3_u32 v67, v67, v66, 0x7fff
	v_cndmask_b32_e32 v66, v67, v68, vcc_lo
	v_bfe_u32 v67, v62, 16, 1
	v_or_b32_e32 v68, 0x400000, v62
	v_cmp_u_f32_e32 vcc_lo, v62, v62
	v_and_b32_e32 v65, 0xffff0000, v66
	v_add3_u32 v67, v67, v62, 0x7fff
	v_cndmask_b32_e32 v62, v67, v68, vcc_lo
	v_and_b32_e32 v67, 0xffff0000, v63
	v_lshlrev_b32_e32 v63, 16, v63
	v_and_b32_e32 v62, 0xffff0000, v62
	v_mul_f32_e32 v67, v82, v67
	v_mul_f32_e32 v63, v86, v63
	v_add_f32_e32 v62, v62, v65
	v_bfe_u32 v68, v67, 16, 1
	v_or_b32_e32 v69, 0x400000, v67
	v_cmp_u_f32_e32 vcc_lo, v67, v67
	v_add_f32_e32 v61, v62, v61
	v_add3_u32 v68, v68, v67, 0x7fff
	v_cndmask_b32_e32 v67, v68, v69, vcc_lo
	v_bfe_u32 v68, v63, 16, 1
	v_or_b32_e32 v69, 0x400000, v63
	v_cmp_u_f32_e32 vcc_lo, v63, v63
	v_add3_u32 v68, v68, v63, 0x7fff
	v_cndmask_b32_e32 v63, v68, v69, vcc_lo
	v_and_b32_e32 v68, 0xffff0000, v64
	v_lshlrev_b32_e32 v64, 16, v64
	v_and_b32_e32 v62, 0xffff0000, v63
	v_mul_f32_e32 v68, v81, v68
	v_mul_f32_e32 v64, v85, v64
	v_and_b32_e32 v63, 0xffff0000, v67
	v_bfe_u32 v69, v68, 16, 1
	v_or_b32_e32 v70, 0x400000, v68
	v_cmp_u_f32_e32 vcc_lo, v68, v68
	v_add_f32_e32 v62, v62, v63
	v_add3_u32 v69, v69, v68, 0x7fff
	v_add_f32_e32 v61, v62, v61
	v_cndmask_b32_e32 v68, v69, v70, vcc_lo
	v_bfe_u32 v69, v64, 16, 1
	v_or_b32_e32 v70, 0x400000, v64
	v_cmp_u_f32_e32 vcc_lo, v64, v64
	v_and_b32_e32 v63, 0xffff0000, v68
	v_add3_u32 v69, v69, v64, 0x7fff
	v_cndmask_b32_e32 v64, v69, v70, vcc_lo
	v_and_b32_e32 v62, 0xffff0000, v64
	v_add_f32_e32 v62, v62, v63
	v_add_f32_e32 v61, v62, v61
	;; [unrolled: 1-line block ×3, first 2 shown]
	v_and_b32_e32 v61, 0xffff0000, v57
	v_lshlrev_b32_e32 v57, 16, v57
	v_mul_f32_e32 v61, v84, v61
	v_mul_f32_e32 v57, v88, v57
	v_bfe_u32 v62, v61, 16, 1
	v_or_b32_e32 v63, 0x400000, v61
	v_cmp_u_f32_e32 vcc_lo, v61, v61
	v_add3_u32 v62, v62, v61, 0x7fff
	v_cndmask_b32_e32 v61, v62, v63, vcc_lo
	v_bfe_u32 v62, v57, 16, 1
	v_or_b32_e32 v63, 0x400000, v57
	v_cmp_u_f32_e32 vcc_lo, v57, v57
	v_and_b32_e32 v61, 0xffff0000, v61
	v_add3_u32 v62, v62, v57, 0x7fff
	v_cndmask_b32_e32 v57, v62, v63, vcc_lo
	v_and_b32_e32 v62, 0xffff0000, v58
	v_lshlrev_b32_e32 v58, 16, v58
	v_and_b32_e32 v57, 0xffff0000, v57
	v_mul_f32_e32 v62, v83, v62
	v_mul_f32_e32 v58, v87, v58
	v_add_f32_e32 v57, v57, v61
	v_bfe_u32 v63, v62, 16, 1
	v_or_b32_e32 v64, 0x400000, v62
	v_cmp_u_f32_e32 vcc_lo, v62, v62
	v_add3_u32 v63, v63, v62, 0x7fff
	v_cndmask_b32_e32 v62, v63, v64, vcc_lo
	v_bfe_u32 v63, v58, 16, 1
	v_or_b32_e32 v64, 0x400000, v58
	v_cmp_u_f32_e32 vcc_lo, v58, v58
	v_and_b32_e32 v61, 0xffff0000, v62
	v_add3_u32 v63, v63, v58, 0x7fff
	v_cndmask_b32_e32 v58, v63, v64, vcc_lo
	v_and_b32_e32 v63, 0xffff0000, v59
	v_lshlrev_b32_e32 v59, 16, v59
	v_and_b32_e32 v58, 0xffff0000, v58
	v_mul_f32_e32 v63, v82, v63
	v_mul_f32_e32 v59, v86, v59
	v_add_f32_e32 v58, v58, v61
	v_bfe_u32 v64, v63, 16, 1
	v_or_b32_e32 v65, 0x400000, v63
	v_cmp_u_f32_e32 vcc_lo, v63, v63
	v_add_f32_e32 v57, v58, v57
	v_add3_u32 v64, v64, v63, 0x7fff
	v_cndmask_b32_e32 v63, v64, v65, vcc_lo
	v_bfe_u32 v64, v59, 16, 1
	v_or_b32_e32 v65, 0x400000, v59
	v_cmp_u_f32_e32 vcc_lo, v59, v59
	v_add3_u32 v64, v64, v59, 0x7fff
	v_cndmask_b32_e32 v59, v64, v65, vcc_lo
	v_and_b32_e32 v64, 0xffff0000, v60
	v_lshlrev_b32_e32 v60, 16, v60
	v_and_b32_e32 v58, 0xffff0000, v59
	v_mul_f32_e32 v64, v81, v64
	v_mul_f32_e32 v60, v85, v60
	v_and_b32_e32 v59, 0xffff0000, v63
	v_bfe_u32 v65, v64, 16, 1
	v_or_b32_e32 v66, 0x400000, v64
	v_cmp_u_f32_e32 vcc_lo, v64, v64
	v_add_f32_e32 v58, v58, v59
	v_add3_u32 v65, v65, v64, 0x7fff
	v_add_f32_e32 v57, v58, v57
	v_cndmask_b32_e32 v64, v65, v66, vcc_lo
	v_bfe_u32 v65, v60, 16, 1
	v_or_b32_e32 v66, 0x400000, v60
	v_cmp_u_f32_e32 vcc_lo, v60, v60
	v_and_b32_e32 v59, 0xffff0000, v64
	v_add3_u32 v65, v65, v60, 0x7fff
	v_cndmask_b32_e32 v60, v65, v66, vcc_lo
	v_and_b32_e32 v58, 0xffff0000, v60
	v_add_f32_e32 v58, v58, v59
	v_add_f32_e32 v57, v58, v57
	;; [unrolled: 1-line block ×3, first 2 shown]
	v_and_b32_e32 v57, 0xffff0000, v53
	v_lshlrev_b32_e32 v53, 16, v53
	v_mul_f32_e32 v57, v84, v57
	v_mul_f32_e32 v53, v88, v53
	v_bfe_u32 v58, v57, 16, 1
	v_or_b32_e32 v59, 0x400000, v57
	v_cmp_u_f32_e32 vcc_lo, v57, v57
	v_add3_u32 v58, v58, v57, 0x7fff
	v_cndmask_b32_e32 v57, v58, v59, vcc_lo
	v_bfe_u32 v58, v53, 16, 1
	v_or_b32_e32 v59, 0x400000, v53
	v_cmp_u_f32_e32 vcc_lo, v53, v53
	v_and_b32_e32 v57, 0xffff0000, v57
	v_add3_u32 v58, v58, v53, 0x7fff
	v_cndmask_b32_e32 v53, v58, v59, vcc_lo
	v_and_b32_e32 v58, 0xffff0000, v54
	v_lshlrev_b32_e32 v54, 16, v54
	v_and_b32_e32 v53, 0xffff0000, v53
	v_mul_f32_e32 v58, v83, v58
	v_mul_f32_e32 v54, v87, v54
	v_add_f32_e32 v53, v53, v57
	v_bfe_u32 v59, v58, 16, 1
	v_or_b32_e32 v60, 0x400000, v58
	v_cmp_u_f32_e32 vcc_lo, v58, v58
	v_add3_u32 v59, v59, v58, 0x7fff
	v_cndmask_b32_e32 v58, v59, v60, vcc_lo
	v_bfe_u32 v59, v54, 16, 1
	v_or_b32_e32 v60, 0x400000, v54
	v_cmp_u_f32_e32 vcc_lo, v54, v54
	v_and_b32_e32 v57, 0xffff0000, v58
	v_add3_u32 v59, v59, v54, 0x7fff
	v_cndmask_b32_e32 v54, v59, v60, vcc_lo
	v_and_b32_e32 v59, 0xffff0000, v55
	v_lshlrev_b32_e32 v55, 16, v55
	v_and_b32_e32 v54, 0xffff0000, v54
	v_mul_f32_e32 v59, v82, v59
	v_mul_f32_e32 v55, v86, v55
	v_add_f32_e32 v54, v54, v57
	v_bfe_u32 v60, v59, 16, 1
	v_or_b32_e32 v61, 0x400000, v59
	v_cmp_u_f32_e32 vcc_lo, v59, v59
	v_add_f32_e32 v53, v54, v53
	v_add3_u32 v60, v60, v59, 0x7fff
	v_cndmask_b32_e32 v59, v60, v61, vcc_lo
	v_bfe_u32 v60, v55, 16, 1
	v_or_b32_e32 v61, 0x400000, v55
	v_cmp_u_f32_e32 vcc_lo, v55, v55
	v_add3_u32 v60, v60, v55, 0x7fff
	v_cndmask_b32_e32 v55, v60, v61, vcc_lo
	v_and_b32_e32 v60, 0xffff0000, v56
	v_lshlrev_b32_e32 v56, 16, v56
	v_and_b32_e32 v54, 0xffff0000, v55
	v_and_b32_e32 v55, 0xffff0000, v59
	buffer_load_dword v59, off, s[48:51], 0 offset:8 ; 4-byte Folded Reload
	v_mul_f32_e32 v60, v81, v60
	v_mul_f32_e32 v56, v85, v56
	v_add_f32_e32 v54, v54, v55
	v_bfe_u32 v61, v60, 16, 1
	v_or_b32_e32 v62, 0x400000, v60
	v_cmp_u_f32_e32 vcc_lo, v60, v60
	v_add_f32_e32 v53, v54, v53
	v_add3_u32 v61, v61, v60, 0x7fff
	v_cndmask_b32_e32 v60, v61, v62, vcc_lo
	v_bfe_u32 v61, v56, 16, 1
	v_or_b32_e32 v62, 0x400000, v56
	v_cmp_u_f32_e32 vcc_lo, v56, v56
	v_and_b32_e32 v55, 0xffff0000, v60
	v_add3_u32 v61, v61, v56, 0x7fff
	v_cndmask_b32_e32 v56, v61, v62, vcc_lo
	v_and_b32_e32 v54, 0xffff0000, v56
	v_add_f32_e32 v54, v54, v55
	v_add_f32_e32 v53, v54, v53
	s_waitcnt vmcnt(0)
	v_add_f32_e32 v59, v59, v53
	v_and_b32_e32 v53, 0xffff0000, v49
	v_lshlrev_b32_e32 v49, 16, v49
	v_mul_f32_e32 v53, v84, v53
	v_mul_f32_e32 v49, v88, v49
	v_bfe_u32 v54, v53, 16, 1
	v_or_b32_e32 v55, 0x400000, v53
	v_cmp_u_f32_e32 vcc_lo, v53, v53
	v_add3_u32 v54, v54, v53, 0x7fff
	v_cndmask_b32_e32 v53, v54, v55, vcc_lo
	v_bfe_u32 v54, v49, 16, 1
	v_or_b32_e32 v55, 0x400000, v49
	v_cmp_u_f32_e32 vcc_lo, v49, v49
	v_and_b32_e32 v53, 0xffff0000, v53
	v_add3_u32 v54, v54, v49, 0x7fff
	v_cndmask_b32_e32 v49, v54, v55, vcc_lo
	v_and_b32_e32 v54, 0xffff0000, v50
	v_lshlrev_b32_e32 v50, 16, v50
	v_and_b32_e32 v49, 0xffff0000, v49
	v_mul_f32_e32 v54, v83, v54
	v_mul_f32_e32 v50, v87, v50
	v_add_f32_e32 v49, v49, v53
	v_bfe_u32 v55, v54, 16, 1
	v_or_b32_e32 v56, 0x400000, v54
	v_cmp_u_f32_e32 vcc_lo, v54, v54
	v_add3_u32 v55, v55, v54, 0x7fff
	v_cndmask_b32_e32 v54, v55, v56, vcc_lo
	v_bfe_u32 v55, v50, 16, 1
	v_or_b32_e32 v56, 0x400000, v50
	v_cmp_u_f32_e32 vcc_lo, v50, v50
	v_and_b32_e32 v53, 0xffff0000, v54
	v_add3_u32 v55, v55, v50, 0x7fff
	v_cndmask_b32_e32 v50, v55, v56, vcc_lo
	v_and_b32_e32 v55, 0xffff0000, v51
	v_lshlrev_b32_e32 v51, 16, v51
	v_and_b32_e32 v50, 0xffff0000, v50
	v_mul_f32_e32 v55, v82, v55
	v_mul_f32_e32 v51, v86, v51
	v_add_f32_e32 v50, v50, v53
	v_bfe_u32 v56, v55, 16, 1
	v_or_b32_e32 v57, 0x400000, v55
	v_cmp_u_f32_e32 vcc_lo, v55, v55
	v_add_f32_e32 v49, v50, v49
	v_add3_u32 v56, v56, v55, 0x7fff
	v_cndmask_b32_e32 v55, v56, v57, vcc_lo
	v_bfe_u32 v56, v51, 16, 1
	v_or_b32_e32 v57, 0x400000, v51
	v_cmp_u_f32_e32 vcc_lo, v51, v51
	v_add3_u32 v56, v56, v51, 0x7fff
	v_cndmask_b32_e32 v51, v56, v57, vcc_lo
	v_and_b32_e32 v56, 0xffff0000, v52
	v_lshlrev_b32_e32 v52, 16, v52
	v_and_b32_e32 v50, 0xffff0000, v51
	v_and_b32_e32 v51, 0xffff0000, v55
	buffer_load_dword v55, off, s[48:51], 0 offset:12 ; 4-byte Folded Reload
	v_mul_f32_e32 v56, v81, v56
	v_mul_f32_e32 v52, v85, v52
	v_add_f32_e32 v50, v50, v51
	v_bfe_u32 v57, v56, 16, 1
	v_or_b32_e32 v58, 0x400000, v56
	v_cmp_u_f32_e32 vcc_lo, v56, v56
	v_add_f32_e32 v49, v50, v49
	v_add3_u32 v57, v57, v56, 0x7fff
	v_cndmask_b32_e32 v56, v57, v58, vcc_lo
	v_bfe_u32 v57, v52, 16, 1
	v_or_b32_e32 v58, 0x400000, v52
	v_cmp_u_f32_e32 vcc_lo, v52, v52
	v_and_b32_e32 v51, 0xffff0000, v56
	buffer_load_dword v56, off, s[48:51], 0 offset:16 ; 4-byte Folded Reload
	v_add3_u32 v57, v57, v52, 0x7fff
	v_cndmask_b32_e32 v52, v57, v58, vcc_lo
	v_and_b32_e32 v50, 0xffff0000, v52
	v_add_f32_e32 v50, v50, v51
	v_add_f32_e32 v49, v50, v49
	s_waitcnt vmcnt(1)
	v_add_f32_e32 v55, v55, v49
	v_and_b32_e32 v49, 0xffff0000, v45
	v_lshlrev_b32_e32 v45, 16, v45
	v_mul_f32_e32 v49, v84, v49
	v_mul_f32_e32 v45, v88, v45
	v_bfe_u32 v50, v49, 16, 1
	v_or_b32_e32 v51, 0x400000, v49
	v_cmp_u_f32_e32 vcc_lo, v49, v49
	v_add3_u32 v50, v50, v49, 0x7fff
	v_cndmask_b32_e32 v49, v50, v51, vcc_lo
	v_bfe_u32 v50, v45, 16, 1
	v_or_b32_e32 v51, 0x400000, v45
	v_cmp_u_f32_e32 vcc_lo, v45, v45
	v_and_b32_e32 v49, 0xffff0000, v49
	v_add3_u32 v50, v50, v45, 0x7fff
	v_cndmask_b32_e32 v45, v50, v51, vcc_lo
	v_and_b32_e32 v50, 0xffff0000, v46
	v_lshlrev_b32_e32 v46, 16, v46
	v_and_b32_e32 v45, 0xffff0000, v45
	v_mul_f32_e32 v50, v83, v50
	v_mul_f32_e32 v46, v87, v46
	v_add_f32_e32 v45, v45, v49
	v_bfe_u32 v51, v50, 16, 1
	v_or_b32_e32 v52, 0x400000, v50
	v_cmp_u_f32_e32 vcc_lo, v50, v50
	v_add3_u32 v51, v51, v50, 0x7fff
	v_cndmask_b32_e32 v50, v51, v52, vcc_lo
	v_bfe_u32 v51, v46, 16, 1
	v_or_b32_e32 v52, 0x400000, v46
	v_cmp_u_f32_e32 vcc_lo, v46, v46
	v_and_b32_e32 v49, 0xffff0000, v50
	v_add3_u32 v51, v51, v46, 0x7fff
	v_cndmask_b32_e32 v46, v51, v52, vcc_lo
	v_and_b32_e32 v51, 0xffff0000, v47
	v_lshlrev_b32_e32 v47, 16, v47
	v_and_b32_e32 v46, 0xffff0000, v46
	v_mul_f32_e32 v51, v82, v51
	v_mul_f32_e32 v47, v86, v47
	v_add_f32_e32 v46, v46, v49
	v_bfe_u32 v52, v51, 16, 1
	v_or_b32_e32 v53, 0x400000, v51
	v_cmp_u_f32_e32 vcc_lo, v51, v51
	v_add_f32_e32 v45, v46, v45
	v_add3_u32 v52, v52, v51, 0x7fff
	v_cndmask_b32_e32 v51, v52, v53, vcc_lo
	v_bfe_u32 v52, v47, 16, 1
	v_or_b32_e32 v53, 0x400000, v47
	v_cmp_u_f32_e32 vcc_lo, v47, v47
	v_add3_u32 v52, v52, v47, 0x7fff
	v_cndmask_b32_e32 v47, v52, v53, vcc_lo
	v_and_b32_e32 v52, 0xffff0000, v48
	v_lshlrev_b32_e32 v48, 16, v48
	v_and_b32_e32 v46, 0xffff0000, v47
	v_mul_f32_e32 v52, v81, v52
	v_mul_f32_e32 v48, v85, v48
	v_and_b32_e32 v47, 0xffff0000, v51
	v_bfe_u32 v53, v52, 16, 1
	v_or_b32_e32 v54, 0x400000, v52
	v_cmp_u_f32_e32 vcc_lo, v52, v52
	v_add_f32_e32 v46, v46, v47
	v_add3_u32 v53, v53, v52, 0x7fff
	v_add_f32_e32 v45, v46, v45
	v_cndmask_b32_e32 v52, v53, v54, vcc_lo
	v_bfe_u32 v53, v48, 16, 1
	v_or_b32_e32 v54, 0x400000, v48
	v_cmp_u_f32_e32 vcc_lo, v48, v48
	v_and_b32_e32 v47, 0xffff0000, v52
	v_add3_u32 v53, v53, v48, 0x7fff
	v_cndmask_b32_e32 v48, v53, v54, vcc_lo
	v_and_b32_e32 v46, 0xffff0000, v48
	v_add_f32_e32 v46, v46, v47
	v_add_f32_e32 v45, v46, v45
	s_waitcnt vmcnt(0)
	v_add_f32_e32 v56, v56, v45
	v_and_b32_e32 v45, 0xffff0000, v41
	v_lshlrev_b32_e32 v41, 16, v41
	v_mul_f32_e32 v45, v84, v45
	v_mul_f32_e32 v41, v88, v41
	v_bfe_u32 v46, v45, 16, 1
	v_or_b32_e32 v47, 0x400000, v45
	v_cmp_u_f32_e32 vcc_lo, v45, v45
	v_add3_u32 v46, v46, v45, 0x7fff
	v_cndmask_b32_e32 v45, v46, v47, vcc_lo
	v_bfe_u32 v46, v41, 16, 1
	v_or_b32_e32 v47, 0x400000, v41
	v_cmp_u_f32_e32 vcc_lo, v41, v41
	v_and_b32_e32 v45, 0xffff0000, v45
	v_add3_u32 v46, v46, v41, 0x7fff
	v_cndmask_b32_e32 v41, v46, v47, vcc_lo
	v_and_b32_e32 v46, 0xffff0000, v42
	v_lshlrev_b32_e32 v42, 16, v42
	v_and_b32_e32 v41, 0xffff0000, v41
	v_mul_f32_e32 v46, v83, v46
	v_mul_f32_e32 v42, v87, v42
	v_add_f32_e32 v41, v41, v45
	v_bfe_u32 v47, v46, 16, 1
	v_or_b32_e32 v48, 0x400000, v46
	v_cmp_u_f32_e32 vcc_lo, v46, v46
	v_add3_u32 v47, v47, v46, 0x7fff
	v_cndmask_b32_e32 v46, v47, v48, vcc_lo
	v_bfe_u32 v47, v42, 16, 1
	v_or_b32_e32 v48, 0x400000, v42
	v_cmp_u_f32_e32 vcc_lo, v42, v42
	v_and_b32_e32 v45, 0xffff0000, v46
	v_add3_u32 v47, v47, v42, 0x7fff
	v_cndmask_b32_e32 v42, v47, v48, vcc_lo
	v_and_b32_e32 v47, 0xffff0000, v43
	v_lshlrev_b32_e32 v43, 16, v43
	v_and_b32_e32 v42, 0xffff0000, v42
	v_mul_f32_e32 v47, v82, v47
	v_mul_f32_e32 v43, v86, v43
	v_add_f32_e32 v42, v42, v45
	v_bfe_u32 v48, v47, 16, 1
	v_or_b32_e32 v49, 0x400000, v47
	v_cmp_u_f32_e32 vcc_lo, v47, v47
	v_add_f32_e32 v41, v42, v41
	v_add3_u32 v48, v48, v47, 0x7fff
	v_cndmask_b32_e32 v47, v48, v49, vcc_lo
	v_bfe_u32 v48, v43, 16, 1
	v_or_b32_e32 v49, 0x400000, v43
	v_cmp_u_f32_e32 vcc_lo, v43, v43
	v_add3_u32 v48, v48, v43, 0x7fff
	v_cndmask_b32_e32 v43, v48, v49, vcc_lo
	v_and_b32_e32 v48, 0xffff0000, v44
	v_lshlrev_b32_e32 v44, 16, v44
	v_and_b32_e32 v42, 0xffff0000, v43
	v_and_b32_e32 v43, 0xffff0000, v47
	buffer_load_dword v47, off, s[48:51], 0 offset:20 ; 4-byte Folded Reload
	v_mul_f32_e32 v48, v81, v48
	v_mul_f32_e32 v44, v85, v44
	v_add_f32_e32 v42, v42, v43
	v_bfe_u32 v49, v48, 16, 1
	v_or_b32_e32 v50, 0x400000, v48
	v_cmp_u_f32_e32 vcc_lo, v48, v48
	v_add_f32_e32 v41, v42, v41
	v_add3_u32 v49, v49, v48, 0x7fff
	v_cndmask_b32_e32 v48, v49, v50, vcc_lo
	v_bfe_u32 v49, v44, 16, 1
	v_or_b32_e32 v50, 0x400000, v44
	v_cmp_u_f32_e32 vcc_lo, v44, v44
	v_and_b32_e32 v43, 0xffff0000, v48
	v_add3_u32 v49, v49, v44, 0x7fff
	buffer_load_dword v48, off, s[48:51], 0 offset:4 ; 4-byte Folded Reload
	v_cndmask_b32_e32 v44, v49, v50, vcc_lo
	v_and_b32_e32 v42, 0xffff0000, v44
	v_add_f32_e32 v42, v42, v43
	v_add_f32_e32 v41, v42, v41
	s_waitcnt vmcnt(1)
	v_add_f32_e32 v47, v47, v41
	v_and_b32_e32 v41, 0xffff0000, v37
	v_lshlrev_b32_e32 v37, 16, v37
	v_mul_f32_e32 v41, v84, v41
	v_mul_f32_e32 v37, v88, v37
	v_bfe_u32 v42, v41, 16, 1
	v_or_b32_e32 v43, 0x400000, v41
	v_cmp_u_f32_e32 vcc_lo, v41, v41
	v_add3_u32 v42, v42, v41, 0x7fff
	v_cndmask_b32_e32 v41, v42, v43, vcc_lo
	v_bfe_u32 v42, v37, 16, 1
	v_or_b32_e32 v43, 0x400000, v37
	v_cmp_u_f32_e32 vcc_lo, v37, v37
	v_and_b32_e32 v41, 0xffff0000, v41
	v_add3_u32 v42, v42, v37, 0x7fff
	v_cndmask_b32_e32 v37, v42, v43, vcc_lo
	v_and_b32_e32 v42, 0xffff0000, v38
	v_lshlrev_b32_e32 v38, 16, v38
	v_and_b32_e32 v37, 0xffff0000, v37
	v_mul_f32_e32 v42, v83, v42
	v_mul_f32_e32 v38, v87, v38
	v_add_f32_e32 v37, v37, v41
	v_bfe_u32 v43, v42, 16, 1
	v_or_b32_e32 v44, 0x400000, v42
	v_cmp_u_f32_e32 vcc_lo, v42, v42
	v_add3_u32 v43, v43, v42, 0x7fff
	v_cndmask_b32_e32 v42, v43, v44, vcc_lo
	v_bfe_u32 v43, v38, 16, 1
	v_or_b32_e32 v44, 0x400000, v38
	v_cmp_u_f32_e32 vcc_lo, v38, v38
	v_and_b32_e32 v41, 0xffff0000, v42
	v_add3_u32 v43, v43, v38, 0x7fff
	v_cndmask_b32_e32 v38, v43, v44, vcc_lo
	v_and_b32_e32 v43, 0xffff0000, v39
	v_lshlrev_b32_e32 v39, 16, v39
	v_and_b32_e32 v38, 0xffff0000, v38
	v_mul_f32_e32 v43, v82, v43
	v_mul_f32_e32 v39, v86, v39
	v_add_f32_e32 v38, v38, v41
	v_bfe_u32 v44, v43, 16, 1
	v_or_b32_e32 v45, 0x400000, v43
	v_cmp_u_f32_e32 vcc_lo, v43, v43
	v_add_f32_e32 v37, v38, v37
	v_add3_u32 v44, v44, v43, 0x7fff
	v_cndmask_b32_e32 v43, v44, v45, vcc_lo
	v_bfe_u32 v44, v39, 16, 1
	v_or_b32_e32 v45, 0x400000, v39
	v_cmp_u_f32_e32 vcc_lo, v39, v39
	v_add3_u32 v44, v44, v39, 0x7fff
	v_cndmask_b32_e32 v39, v44, v45, vcc_lo
	v_and_b32_e32 v44, 0xffff0000, v40
	v_lshlrev_b32_e32 v40, 16, v40
	v_and_b32_e32 v38, 0xffff0000, v39
	v_and_b32_e32 v39, 0xffff0000, v43
	buffer_load_dword v43, off, s[48:51], 0 offset:24 ; 4-byte Folded Reload
	v_mul_f32_e32 v44, v81, v44
	v_mul_f32_e32 v40, v85, v40
	v_add_f32_e32 v38, v38, v39
	v_bfe_u32 v45, v44, 16, 1
	v_or_b32_e32 v46, 0x400000, v44
	v_cmp_u_f32_e32 vcc_lo, v44, v44
	v_add_f32_e32 v37, v38, v37
	v_add3_u32 v45, v45, v44, 0x7fff
	v_cndmask_b32_e32 v44, v45, v46, vcc_lo
	v_bfe_u32 v45, v40, 16, 1
	v_or_b32_e32 v46, 0x400000, v40
	v_cmp_u_f32_e32 vcc_lo, v40, v40
	v_and_b32_e32 v39, 0xffff0000, v44
	v_add3_u32 v45, v45, v40, 0x7fff
	v_cndmask_b32_e32 v40, v45, v46, vcc_lo
	v_and_b32_e32 v38, 0xffff0000, v40
	v_add_f32_e32 v38, v38, v39
	v_add_f32_e32 v37, v38, v37
	s_waitcnt vmcnt(0)
	v_add_f32_e32 v43, v43, v37
	v_and_b32_e32 v37, 0xffff0000, v33
	v_lshlrev_b32_e32 v33, 16, v33
	v_mul_f32_e32 v37, v84, v37
	v_mul_f32_e32 v33, v88, v33
	v_bfe_u32 v38, v37, 16, 1
	v_or_b32_e32 v39, 0x400000, v37
	v_cmp_u_f32_e32 vcc_lo, v37, v37
	v_add3_u32 v38, v38, v37, 0x7fff
	v_cndmask_b32_e32 v37, v38, v39, vcc_lo
	v_bfe_u32 v38, v33, 16, 1
	v_or_b32_e32 v39, 0x400000, v33
	v_cmp_u_f32_e32 vcc_lo, v33, v33
	v_and_b32_e32 v37, 0xffff0000, v37
	v_add3_u32 v38, v38, v33, 0x7fff
	v_cndmask_b32_e32 v33, v38, v39, vcc_lo
	v_and_b32_e32 v38, 0xffff0000, v34
	v_lshlrev_b32_e32 v34, 16, v34
	v_and_b32_e32 v33, 0xffff0000, v33
	v_mul_f32_e32 v38, v83, v38
	v_mul_f32_e32 v34, v87, v34
	v_add_f32_e32 v33, v33, v37
	v_bfe_u32 v39, v38, 16, 1
	v_or_b32_e32 v40, 0x400000, v38
	v_cmp_u_f32_e32 vcc_lo, v38, v38
	v_add3_u32 v39, v39, v38, 0x7fff
	v_cndmask_b32_e32 v38, v39, v40, vcc_lo
	v_bfe_u32 v39, v34, 16, 1
	v_or_b32_e32 v40, 0x400000, v34
	v_cmp_u_f32_e32 vcc_lo, v34, v34
	v_and_b32_e32 v37, 0xffff0000, v38
	v_add3_u32 v39, v39, v34, 0x7fff
	v_cndmask_b32_e32 v34, v39, v40, vcc_lo
	v_and_b32_e32 v39, 0xffff0000, v35
	v_lshlrev_b32_e32 v35, 16, v35
	v_and_b32_e32 v34, 0xffff0000, v34
	v_mul_f32_e32 v39, v82, v39
	v_mul_f32_e32 v35, v86, v35
	v_add_f32_e32 v34, v34, v37
	v_bfe_u32 v40, v39, 16, 1
	v_or_b32_e32 v41, 0x400000, v39
	v_cmp_u_f32_e32 vcc_lo, v39, v39
	v_add_f32_e32 v33, v34, v33
	v_add3_u32 v40, v40, v39, 0x7fff
	v_cndmask_b32_e32 v39, v40, v41, vcc_lo
	v_bfe_u32 v40, v35, 16, 1
	v_or_b32_e32 v41, 0x400000, v35
	v_cmp_u_f32_e32 vcc_lo, v35, v35
	v_add3_u32 v40, v40, v35, 0x7fff
	v_cndmask_b32_e32 v35, v40, v41, vcc_lo
	v_and_b32_e32 v40, 0xffff0000, v36
	v_lshlrev_b32_e32 v36, 16, v36
	v_and_b32_e32 v34, 0xffff0000, v35
	v_and_b32_e32 v35, 0xffff0000, v39
	buffer_load_dword v39, off, s[48:51], 0 offset:28 ; 4-byte Folded Reload
	v_mul_f32_e32 v40, v81, v40
	v_mul_f32_e32 v36, v85, v36
	v_add_f32_e32 v34, v34, v35
	v_bfe_u32 v41, v40, 16, 1
	v_or_b32_e32 v42, 0x400000, v40
	v_cmp_u_f32_e32 vcc_lo, v40, v40
	v_add_f32_e32 v33, v34, v33
	v_add3_u32 v41, v41, v40, 0x7fff
	v_cndmask_b32_e32 v40, v41, v42, vcc_lo
	v_bfe_u32 v41, v36, 16, 1
	v_or_b32_e32 v42, 0x400000, v36
	v_cmp_u_f32_e32 vcc_lo, v36, v36
	v_and_b32_e32 v35, 0xffff0000, v40
	v_add3_u32 v41, v41, v36, 0x7fff
	v_cndmask_b32_e32 v36, v41, v42, vcc_lo
	v_and_b32_e32 v34, 0xffff0000, v36
	v_add_f32_e32 v34, v34, v35
	v_add_f32_e32 v33, v34, v33
	s_waitcnt vmcnt(0)
	v_add_f32_e32 v39, v39, v33
	v_and_b32_e32 v33, 0xffff0000, v29
	v_lshlrev_b32_e32 v29, 16, v29
	v_mul_f32_e32 v33, v84, v33
	v_mul_f32_e32 v29, v88, v29
	v_bfe_u32 v34, v33, 16, 1
	v_or_b32_e32 v35, 0x400000, v33
	v_cmp_u_f32_e32 vcc_lo, v33, v33
	v_add3_u32 v34, v34, v33, 0x7fff
	v_cndmask_b32_e32 v33, v34, v35, vcc_lo
	v_bfe_u32 v34, v29, 16, 1
	v_or_b32_e32 v35, 0x400000, v29
	v_cmp_u_f32_e32 vcc_lo, v29, v29
	v_and_b32_e32 v33, 0xffff0000, v33
	v_add3_u32 v34, v34, v29, 0x7fff
	v_cndmask_b32_e32 v29, v34, v35, vcc_lo
	v_and_b32_e32 v34, 0xffff0000, v30
	v_lshlrev_b32_e32 v30, 16, v30
	v_and_b32_e32 v29, 0xffff0000, v29
	v_mul_f32_e32 v34, v83, v34
	v_mul_f32_e32 v30, v87, v30
	v_add_f32_e32 v29, v29, v33
	v_bfe_u32 v35, v34, 16, 1
	v_or_b32_e32 v36, 0x400000, v34
	v_cmp_u_f32_e32 vcc_lo, v34, v34
	v_add3_u32 v35, v35, v34, 0x7fff
	v_cndmask_b32_e32 v34, v35, v36, vcc_lo
	v_bfe_u32 v35, v30, 16, 1
	v_or_b32_e32 v36, 0x400000, v30
	v_cmp_u_f32_e32 vcc_lo, v30, v30
	v_and_b32_e32 v33, 0xffff0000, v34
	v_add3_u32 v35, v35, v30, 0x7fff
	v_cndmask_b32_e32 v30, v35, v36, vcc_lo
	v_and_b32_e32 v35, 0xffff0000, v31
	v_lshlrev_b32_e32 v31, 16, v31
	v_and_b32_e32 v30, 0xffff0000, v30
	v_mul_f32_e32 v35, v82, v35
	v_mul_f32_e32 v31, v86, v31
	v_add_f32_e32 v30, v30, v33
	v_bfe_u32 v36, v35, 16, 1
	v_or_b32_e32 v37, 0x400000, v35
	v_cmp_u_f32_e32 vcc_lo, v35, v35
	v_add_f32_e32 v29, v30, v29
	v_add3_u32 v36, v36, v35, 0x7fff
	v_cndmask_b32_e32 v35, v36, v37, vcc_lo
	v_bfe_u32 v36, v31, 16, 1
	v_or_b32_e32 v37, 0x400000, v31
	v_cmp_u_f32_e32 vcc_lo, v31, v31
	v_add3_u32 v36, v36, v31, 0x7fff
	v_cndmask_b32_e32 v31, v36, v37, vcc_lo
	v_and_b32_e32 v36, 0xffff0000, v32
	v_lshlrev_b32_e32 v32, 16, v32
	v_and_b32_e32 v30, 0xffff0000, v31
	v_and_b32_e32 v31, 0xffff0000, v35
	buffer_load_dword v35, off, s[48:51], 0 offset:32 ; 4-byte Folded Reload
	v_mul_f32_e32 v36, v81, v36
	v_mul_f32_e32 v32, v85, v32
	v_add_f32_e32 v30, v30, v31
	v_bfe_u32 v37, v36, 16, 1
	v_or_b32_e32 v38, 0x400000, v36
	v_cmp_u_f32_e32 vcc_lo, v36, v36
	v_add_f32_e32 v29, v30, v29
	v_add3_u32 v37, v37, v36, 0x7fff
	v_cndmask_b32_e32 v36, v37, v38, vcc_lo
	v_bfe_u32 v37, v32, 16, 1
	v_or_b32_e32 v38, 0x400000, v32
	v_cmp_u_f32_e32 vcc_lo, v32, v32
	v_and_b32_e32 v31, 0xffff0000, v36
	v_add3_u32 v37, v37, v32, 0x7fff
	v_cndmask_b32_e32 v32, v37, v38, vcc_lo
	v_and_b32_e32 v30, 0xffff0000, v32
	v_add_f32_e32 v30, v30, v31
	v_add_f32_e32 v29, v30, v29
	s_waitcnt vmcnt(0)
	v_add_f32_e32 v35, v35, v29
	v_and_b32_e32 v29, 0xffff0000, v25
	v_lshlrev_b32_e32 v25, 16, v25
	v_mul_f32_e32 v29, v84, v29
	v_mul_f32_e32 v25, v88, v25
	v_bfe_u32 v30, v29, 16, 1
	v_or_b32_e32 v31, 0x400000, v29
	v_cmp_u_f32_e32 vcc_lo, v29, v29
	v_add3_u32 v30, v30, v29, 0x7fff
	v_cndmask_b32_e32 v29, v30, v31, vcc_lo
	v_bfe_u32 v30, v25, 16, 1
	v_or_b32_e32 v31, 0x400000, v25
	v_cmp_u_f32_e32 vcc_lo, v25, v25
	v_and_b32_e32 v29, 0xffff0000, v29
	v_add3_u32 v30, v30, v25, 0x7fff
	v_cndmask_b32_e32 v25, v30, v31, vcc_lo
	v_and_b32_e32 v30, 0xffff0000, v26
	v_lshlrev_b32_e32 v26, 16, v26
	v_and_b32_e32 v25, 0xffff0000, v25
	v_mul_f32_e32 v30, v83, v30
	v_mul_f32_e32 v26, v87, v26
	v_add_f32_e32 v25, v25, v29
	v_bfe_u32 v31, v30, 16, 1
	v_or_b32_e32 v32, 0x400000, v30
	v_cmp_u_f32_e32 vcc_lo, v30, v30
	v_add3_u32 v31, v31, v30, 0x7fff
	v_cndmask_b32_e32 v30, v31, v32, vcc_lo
	v_bfe_u32 v31, v26, 16, 1
	v_or_b32_e32 v32, 0x400000, v26
	v_cmp_u_f32_e32 vcc_lo, v26, v26
	v_and_b32_e32 v29, 0xffff0000, v30
	v_add3_u32 v31, v31, v26, 0x7fff
	v_cndmask_b32_e32 v26, v31, v32, vcc_lo
	v_and_b32_e32 v31, 0xffff0000, v27
	v_lshlrev_b32_e32 v27, 16, v27
	v_and_b32_e32 v26, 0xffff0000, v26
	v_mul_f32_e32 v31, v82, v31
	v_mul_f32_e32 v27, v86, v27
	v_add_f32_e32 v26, v26, v29
	v_bfe_u32 v32, v31, 16, 1
	v_or_b32_e32 v33, 0x400000, v31
	v_cmp_u_f32_e32 vcc_lo, v31, v31
	v_add_f32_e32 v25, v26, v25
	v_add3_u32 v32, v32, v31, 0x7fff
	v_cndmask_b32_e32 v31, v32, v33, vcc_lo
	v_bfe_u32 v32, v27, 16, 1
	v_or_b32_e32 v33, 0x400000, v27
	v_cmp_u_f32_e32 vcc_lo, v27, v27
	v_add3_u32 v32, v32, v27, 0x7fff
	v_cndmask_b32_e32 v27, v32, v33, vcc_lo
	v_and_b32_e32 v32, 0xffff0000, v28
	v_lshlrev_b32_e32 v28, 16, v28
	v_and_b32_e32 v26, 0xffff0000, v27
	v_mul_f32_e32 v32, v81, v32
	v_mul_f32_e32 v28, v85, v28
	v_and_b32_e32 v27, 0xffff0000, v31
	v_bfe_u32 v33, v32, 16, 1
	v_or_b32_e32 v34, 0x400000, v32
	v_cmp_u_f32_e32 vcc_lo, v32, v32
	v_add_f32_e32 v26, v26, v27
	v_add3_u32 v33, v33, v32, 0x7fff
	v_add_f32_e32 v25, v26, v25
	v_cndmask_b32_e32 v32, v33, v34, vcc_lo
	v_bfe_u32 v33, v28, 16, 1
	v_or_b32_e32 v34, 0x400000, v28
	v_cmp_u_f32_e32 vcc_lo, v28, v28
	v_and_b32_e32 v27, 0xffff0000, v32
	v_add3_u32 v33, v33, v28, 0x7fff
	v_cndmask_b32_e32 v28, v33, v34, vcc_lo
	v_and_b32_e32 v26, 0xffff0000, v28
	v_add_f32_e32 v26, v26, v27
	v_add_f32_e32 v25, v26, v25
	;; [unrolled: 1-line block ×3, first 2 shown]
	v_and_b32_e32 v25, 0xffff0000, v21
	v_lshlrev_b32_e32 v21, 16, v21
	v_mul_f32_e32 v25, v84, v25
	v_mul_f32_e32 v21, v88, v21
	v_bfe_u32 v26, v25, 16, 1
	v_or_b32_e32 v27, 0x400000, v25
	v_cmp_u_f32_e32 vcc_lo, v25, v25
	v_add3_u32 v26, v26, v25, 0x7fff
	v_cndmask_b32_e32 v25, v26, v27, vcc_lo
	v_bfe_u32 v26, v21, 16, 1
	v_or_b32_e32 v27, 0x400000, v21
	v_cmp_u_f32_e32 vcc_lo, v21, v21
	v_and_b32_e32 v25, 0xffff0000, v25
	v_add3_u32 v26, v26, v21, 0x7fff
	v_cndmask_b32_e32 v21, v26, v27, vcc_lo
	v_and_b32_e32 v26, 0xffff0000, v22
	v_lshlrev_b32_e32 v22, 16, v22
	v_and_b32_e32 v21, 0xffff0000, v21
	v_mul_f32_e32 v26, v83, v26
	v_mul_f32_e32 v22, v87, v22
	v_add_f32_e32 v21, v21, v25
	v_bfe_u32 v27, v26, 16, 1
	v_or_b32_e32 v28, 0x400000, v26
	v_cmp_u_f32_e32 vcc_lo, v26, v26
	v_add3_u32 v27, v27, v26, 0x7fff
	v_cndmask_b32_e32 v26, v27, v28, vcc_lo
	v_bfe_u32 v27, v22, 16, 1
	v_or_b32_e32 v28, 0x400000, v22
	v_cmp_u_f32_e32 vcc_lo, v22, v22
	v_and_b32_e32 v25, 0xffff0000, v26
	v_add3_u32 v27, v27, v22, 0x7fff
	v_cndmask_b32_e32 v22, v27, v28, vcc_lo
	v_and_b32_e32 v27, 0xffff0000, v23
	v_lshlrev_b32_e32 v23, 16, v23
	v_and_b32_e32 v22, 0xffff0000, v22
	v_mul_f32_e32 v27, v82, v27
	v_mul_f32_e32 v23, v86, v23
	v_add_f32_e32 v22, v22, v25
	v_bfe_u32 v28, v27, 16, 1
	v_or_b32_e32 v29, 0x400000, v27
	v_cmp_u_f32_e32 vcc_lo, v27, v27
	v_add_f32_e32 v21, v22, v21
	v_add3_u32 v28, v28, v27, 0x7fff
	v_cndmask_b32_e32 v27, v28, v29, vcc_lo
	v_bfe_u32 v28, v23, 16, 1
	v_or_b32_e32 v29, 0x400000, v23
	v_cmp_u_f32_e32 vcc_lo, v23, v23
	v_add3_u32 v28, v28, v23, 0x7fff
	v_cndmask_b32_e32 v23, v28, v29, vcc_lo
	v_and_b32_e32 v28, 0xffff0000, v24
	v_lshlrev_b32_e32 v24, 16, v24
	v_and_b32_e32 v22, 0xffff0000, v23
	v_and_b32_e32 v23, 0xffff0000, v27
	buffer_load_dword v27, off, s[48:51], 0 offset:40 ; 4-byte Folded Reload
	v_mul_f32_e32 v28, v81, v28
	v_mul_f32_e32 v24, v85, v24
	v_add_f32_e32 v22, v22, v23
	v_bfe_u32 v29, v28, 16, 1
	v_or_b32_e32 v30, 0x400000, v28
	v_cmp_u_f32_e32 vcc_lo, v28, v28
	v_add_f32_e32 v21, v22, v21
	v_add3_u32 v29, v29, v28, 0x7fff
	v_cndmask_b32_e32 v28, v29, v30, vcc_lo
	v_bfe_u32 v29, v24, 16, 1
	v_or_b32_e32 v30, 0x400000, v24
	v_cmp_u_f32_e32 vcc_lo, v24, v24
	v_and_b32_e32 v23, 0xffff0000, v28
	v_add3_u32 v29, v29, v24, 0x7fff
	v_cndmask_b32_e32 v24, v29, v30, vcc_lo
	v_and_b32_e32 v22, 0xffff0000, v24
	v_add_f32_e32 v22, v22, v23
	v_add_f32_e32 v21, v22, v21
	s_waitcnt vmcnt(0)
	v_add_f32_e32 v27, v27, v21
	v_and_b32_e32 v21, 0xffff0000, v13
	v_lshlrev_b32_e32 v13, 16, v13
	v_mul_f32_e32 v21, v84, v21
	v_mul_f32_e32 v13, v88, v13
	v_bfe_u32 v22, v21, 16, 1
	v_or_b32_e32 v23, 0x400000, v21
	v_cmp_u_f32_e32 vcc_lo, v21, v21
	v_add3_u32 v22, v22, v21, 0x7fff
	v_cndmask_b32_e32 v21, v22, v23, vcc_lo
	v_bfe_u32 v22, v13, 16, 1
	v_or_b32_e32 v23, 0x400000, v13
	v_cmp_u_f32_e32 vcc_lo, v13, v13
	v_and_b32_e32 v21, 0xffff0000, v21
	v_add3_u32 v22, v22, v13, 0x7fff
	v_cndmask_b32_e32 v13, v22, v23, vcc_lo
	v_and_b32_e32 v22, 0xffff0000, v14
	v_lshlrev_b32_e32 v14, 16, v14
	v_and_b32_e32 v13, 0xffff0000, v13
	v_mul_f32_e32 v22, v83, v22
	v_mul_f32_e32 v14, v87, v14
	v_add_f32_e32 v13, v13, v21
	v_bfe_u32 v23, v22, 16, 1
	v_or_b32_e32 v24, 0x400000, v22
	v_cmp_u_f32_e32 vcc_lo, v22, v22
	v_add3_u32 v23, v23, v22, 0x7fff
	v_cndmask_b32_e32 v22, v23, v24, vcc_lo
	v_bfe_u32 v23, v14, 16, 1
	v_or_b32_e32 v24, 0x400000, v14
	v_cmp_u_f32_e32 vcc_lo, v14, v14
	v_and_b32_e32 v21, 0xffff0000, v22
	v_add3_u32 v23, v23, v14, 0x7fff
	v_cndmask_b32_e32 v14, v23, v24, vcc_lo
	v_and_b32_e32 v23, 0xffff0000, v15
	v_lshlrev_b32_e32 v15, 16, v15
	v_and_b32_e32 v14, 0xffff0000, v14
	v_mul_f32_e32 v23, v82, v23
	v_mul_f32_e32 v15, v86, v15
	v_add_f32_e32 v14, v14, v21
	v_bfe_u32 v24, v23, 16, 1
	v_or_b32_e32 v25, 0x400000, v23
	v_cmp_u_f32_e32 vcc_lo, v23, v23
	v_add_f32_e32 v13, v14, v13
	v_add3_u32 v24, v24, v23, 0x7fff
	v_cndmask_b32_e32 v23, v24, v25, vcc_lo
	v_bfe_u32 v24, v15, 16, 1
	v_or_b32_e32 v25, 0x400000, v15
	v_cmp_u_f32_e32 vcc_lo, v15, v15
	v_add3_u32 v24, v24, v15, 0x7fff
	v_cndmask_b32_e32 v15, v24, v25, vcc_lo
	v_and_b32_e32 v24, 0xffff0000, v16
	v_lshlrev_b32_e32 v16, 16, v16
	v_and_b32_e32 v14, 0xffff0000, v15
	v_and_b32_e32 v15, 0xffff0000, v23
	buffer_load_dword v23, off, s[48:51], 0 offset:44 ; 4-byte Folded Reload
	v_mul_f32_e32 v24, v81, v24
	v_mul_f32_e32 v16, v85, v16
	v_add_f32_e32 v14, v14, v15
	v_bfe_u32 v25, v24, 16, 1
	v_or_b32_e32 v26, 0x400000, v24
	v_cmp_u_f32_e32 vcc_lo, v24, v24
	v_add_f32_e32 v13, v14, v13
	v_add3_u32 v25, v25, v24, 0x7fff
	v_cndmask_b32_e32 v24, v25, v26, vcc_lo
	v_bfe_u32 v25, v16, 16, 1
	v_or_b32_e32 v26, 0x400000, v16
	v_cmp_u_f32_e32 vcc_lo, v16, v16
	v_and_b32_e32 v15, 0xffff0000, v24
	v_add3_u32 v25, v25, v16, 0x7fff
	v_cndmask_b32_e32 v16, v25, v26, vcc_lo
	v_and_b32_e32 v14, 0xffff0000, v16
	v_add_f32_e32 v14, v14, v15
	v_add_f32_e32 v13, v14, v13
	s_waitcnt vmcnt(0)
	v_add_f32_e32 v23, v23, v13
	v_and_b32_e32 v13, 0xffff0000, v9
	v_lshlrev_b32_e32 v9, 16, v9
	v_mul_f32_e32 v13, v84, v13
	v_mul_f32_e32 v9, v88, v9
	v_bfe_u32 v14, v13, 16, 1
	v_or_b32_e32 v15, 0x400000, v13
	v_cmp_u_f32_e32 vcc_lo, v13, v13
	v_add3_u32 v14, v14, v13, 0x7fff
	v_cndmask_b32_e32 v13, v14, v15, vcc_lo
	v_bfe_u32 v14, v9, 16, 1
	v_or_b32_e32 v15, 0x400000, v9
	v_cmp_u_f32_e32 vcc_lo, v9, v9
	v_and_b32_e32 v13, 0xffff0000, v13
	v_add3_u32 v14, v14, v9, 0x7fff
	v_cndmask_b32_e32 v9, v14, v15, vcc_lo
	v_and_b32_e32 v14, 0xffff0000, v10
	v_lshlrev_b32_e32 v10, 16, v10
	v_and_b32_e32 v9, 0xffff0000, v9
	v_mul_f32_e32 v14, v83, v14
	v_mul_f32_e32 v10, v87, v10
	v_add_f32_e32 v9, v9, v13
	v_bfe_u32 v15, v14, 16, 1
	v_or_b32_e32 v16, 0x400000, v14
	v_cmp_u_f32_e32 vcc_lo, v14, v14
	v_add3_u32 v15, v15, v14, 0x7fff
	v_cndmask_b32_e32 v14, v15, v16, vcc_lo
	v_bfe_u32 v15, v10, 16, 1
	v_or_b32_e32 v16, 0x400000, v10
	v_cmp_u_f32_e32 vcc_lo, v10, v10
	v_and_b32_e32 v13, 0xffff0000, v14
	v_add3_u32 v15, v15, v10, 0x7fff
	v_cndmask_b32_e32 v10, v15, v16, vcc_lo
	v_and_b32_e32 v15, 0xffff0000, v11
	v_lshlrev_b32_e32 v11, 16, v11
	v_and_b32_e32 v10, 0xffff0000, v10
	v_mul_f32_e32 v15, v82, v15
	v_mul_f32_e32 v11, v86, v11
	v_add_f32_e32 v10, v10, v13
	v_bfe_u32 v16, v15, 16, 1
	v_or_b32_e32 v21, 0x400000, v15
	v_cmp_u_f32_e32 vcc_lo, v15, v15
	v_add_f32_e32 v9, v10, v9
	v_add3_u32 v16, v16, v15, 0x7fff
	v_cndmask_b32_e32 v15, v16, v21, vcc_lo
	v_bfe_u32 v16, v11, 16, 1
	v_or_b32_e32 v21, 0x400000, v11
	v_cmp_u_f32_e32 vcc_lo, v11, v11
	v_add3_u32 v16, v16, v11, 0x7fff
	v_cndmask_b32_e32 v11, v16, v21, vcc_lo
	v_and_b32_e32 v16, 0xffff0000, v12
	v_lshlrev_b32_e32 v12, 16, v12
	v_and_b32_e32 v10, 0xffff0000, v11
	v_and_b32_e32 v11, 0xffff0000, v15
	buffer_load_dword v15, off, s[48:51], 0 offset:48 ; 4-byte Folded Reload
	v_mul_f32_e32 v16, v81, v16
	v_mul_f32_e32 v12, v85, v12
	v_add_f32_e32 v10, v10, v11
	v_bfe_u32 v21, v16, 16, 1
	v_or_b32_e32 v22, 0x400000, v16
	v_cmp_u_f32_e32 vcc_lo, v16, v16
	v_add_f32_e32 v9, v10, v9
	v_add3_u32 v21, v21, v16, 0x7fff
	v_cndmask_b32_e32 v16, v21, v22, vcc_lo
	v_bfe_u32 v21, v12, 16, 1
	v_or_b32_e32 v22, 0x400000, v12
	v_cmp_u_f32_e32 vcc_lo, v12, v12
	v_and_b32_e32 v11, 0xffff0000, v16
	v_add3_u32 v21, v21, v12, 0x7fff
	v_cndmask_b32_e32 v12, v21, v22, vcc_lo
	s_clause 0x1
	buffer_load_dword v22, off, s[48:51], 0 offset:56
	buffer_load_dword v21, off, s[48:51], 0 offset:52
	v_and_b32_e32 v10, 0xffff0000, v12
	v_add_f32_e32 v10, v10, v11
	v_add_f32_e32 v9, v10, v9
	s_waitcnt vmcnt(2)
	v_add_f32_e32 v15, v15, v9
	v_and_b32_e32 v9, 0xffff0000, v5
	v_lshlrev_b32_e32 v5, 16, v5
	v_mul_f32_e32 v9, v84, v9
	v_mul_f32_e32 v5, v88, v5
	v_bfe_u32 v10, v9, 16, 1
	v_or_b32_e32 v11, 0x400000, v9
	v_cmp_u_f32_e32 vcc_lo, v9, v9
	v_add3_u32 v10, v10, v9, 0x7fff
	v_cndmask_b32_e32 v9, v10, v11, vcc_lo
	v_bfe_u32 v10, v5, 16, 1
	v_or_b32_e32 v11, 0x400000, v5
	v_cmp_u_f32_e32 vcc_lo, v5, v5
	v_and_b32_e32 v9, 0xffff0000, v9
	v_add3_u32 v10, v10, v5, 0x7fff
	v_cndmask_b32_e32 v5, v10, v11, vcc_lo
	v_and_b32_e32 v10, 0xffff0000, v6
	v_lshlrev_b32_e32 v6, 16, v6
	v_and_b32_e32 v5, 0xffff0000, v5
	v_mul_f32_e32 v10, v83, v10
	v_mul_f32_e32 v6, v87, v6
	v_add_f32_e32 v5, v5, v9
	v_bfe_u32 v11, v10, 16, 1
	v_or_b32_e32 v12, 0x400000, v10
	v_cmp_u_f32_e32 vcc_lo, v10, v10
	v_add3_u32 v11, v11, v10, 0x7fff
	v_cndmask_b32_e32 v10, v11, v12, vcc_lo
	v_bfe_u32 v11, v6, 16, 1
	v_or_b32_e32 v12, 0x400000, v6
	v_cmp_u_f32_e32 vcc_lo, v6, v6
	v_and_b32_e32 v9, 0xffff0000, v10
	v_add3_u32 v11, v11, v6, 0x7fff
	v_cndmask_b32_e32 v6, v11, v12, vcc_lo
	v_and_b32_e32 v11, 0xffff0000, v7
	v_lshlrev_b32_e32 v7, 16, v7
	v_and_b32_e32 v6, 0xffff0000, v6
	v_mul_f32_e32 v11, v82, v11
	v_mul_f32_e32 v7, v86, v7
	v_add_f32_e32 v6, v6, v9
	v_bfe_u32 v12, v11, 16, 1
	v_or_b32_e32 v13, 0x400000, v11
	v_cmp_u_f32_e32 vcc_lo, v11, v11
	v_add_f32_e32 v5, v6, v5
	v_add3_u32 v12, v12, v11, 0x7fff
	v_cndmask_b32_e32 v11, v12, v13, vcc_lo
	v_bfe_u32 v12, v7, 16, 1
	v_or_b32_e32 v13, 0x400000, v7
	v_cmp_u_f32_e32 vcc_lo, v7, v7
	v_add3_u32 v12, v12, v7, 0x7fff
	v_cndmask_b32_e32 v7, v12, v13, vcc_lo
	v_and_b32_e32 v12, 0xffff0000, v8
	v_lshlrev_b32_e32 v8, 16, v8
	v_and_b32_e32 v6, 0xffff0000, v7
	v_mul_f32_e32 v12, v81, v12
	v_mul_f32_e32 v8, v85, v8
	v_and_b32_e32 v7, 0xffff0000, v11
	v_bfe_u32 v13, v12, 16, 1
	v_or_b32_e32 v14, 0x400000, v12
	v_cmp_u_f32_e32 vcc_lo, v12, v12
	v_add_f32_e32 v6, v6, v7
	v_add3_u32 v13, v13, v12, 0x7fff
	v_add_f32_e32 v5, v6, v5
	v_cndmask_b32_e32 v12, v13, v14, vcc_lo
	v_bfe_u32 v13, v8, 16, 1
	v_or_b32_e32 v14, 0x400000, v8
	v_cmp_u_f32_e32 vcc_lo, v8, v8
	v_and_b32_e32 v7, 0xffff0000, v12
	v_add3_u32 v13, v13, v8, 0x7fff
	v_cndmask_b32_e32 v8, v13, v14, vcc_lo
	v_and_b32_e32 v6, 0xffff0000, v8
	v_add_f32_e32 v6, v6, v7
	v_add_f32_e32 v5, v6, v5
	s_waitcnt vmcnt(1)
	v_add_f32_e32 v22, v22, v5
	v_and_b32_e32 v5, 0xffff0000, v1
	v_lshlrev_b32_e32 v1, 16, v1
	v_mul_f32_e32 v5, v84, v5
	v_mul_f32_e32 v1, v88, v1
	v_bfe_u32 v6, v5, 16, 1
	v_or_b32_e32 v7, 0x400000, v5
	v_cmp_u_f32_e32 vcc_lo, v5, v5
	v_add3_u32 v6, v6, v5, 0x7fff
	v_cndmask_b32_e32 v5, v6, v7, vcc_lo
	v_bfe_u32 v6, v1, 16, 1
	v_or_b32_e32 v7, 0x400000, v1
	v_cmp_u_f32_e32 vcc_lo, v1, v1
	v_and_b32_e32 v5, 0xffff0000, v5
	v_add3_u32 v6, v6, v1, 0x7fff
	v_cndmask_b32_e32 v1, v6, v7, vcc_lo
	v_and_b32_e32 v6, 0xffff0000, v2
	v_lshlrev_b32_e32 v2, 16, v2
	v_and_b32_e32 v1, 0xffff0000, v1
	v_mul_f32_e32 v6, v83, v6
	v_mul_f32_e32 v2, v87, v2
	v_add_f32_e32 v1, v1, v5
	v_bfe_u32 v7, v6, 16, 1
	v_or_b32_e32 v8, 0x400000, v6
	v_cmp_u_f32_e32 vcc_lo, v6, v6
	v_add3_u32 v7, v7, v6, 0x7fff
	v_cndmask_b32_e32 v6, v7, v8, vcc_lo
	v_bfe_u32 v7, v2, 16, 1
	v_or_b32_e32 v8, 0x400000, v2
	v_cmp_u_f32_e32 vcc_lo, v2, v2
	v_and_b32_e32 v5, 0xffff0000, v6
	v_add3_u32 v7, v7, v2, 0x7fff
	v_cndmask_b32_e32 v2, v7, v8, vcc_lo
	v_and_b32_e32 v7, 0xffff0000, v3
	v_lshlrev_b32_e32 v3, 16, v3
	v_and_b32_e32 v2, 0xffff0000, v2
	v_mul_f32_e32 v7, v82, v7
	v_mul_f32_e32 v3, v86, v3
	v_add_f32_e32 v2, v2, v5
	v_bfe_u32 v8, v7, 16, 1
	v_or_b32_e32 v9, 0x400000, v7
	v_cmp_u_f32_e32 vcc_lo, v7, v7
	v_add_f32_e32 v1, v2, v1
	v_add3_u32 v8, v8, v7, 0x7fff
	v_cndmask_b32_e32 v7, v8, v9, vcc_lo
	v_bfe_u32 v8, v3, 16, 1
	v_or_b32_e32 v9, 0x400000, v3
	v_cmp_u_f32_e32 vcc_lo, v3, v3
	v_add3_u32 v8, v8, v3, 0x7fff
	v_cndmask_b32_e32 v3, v8, v9, vcc_lo
	v_and_b32_e32 v8, 0xffff0000, v4
	v_lshlrev_b32_e32 v4, 16, v4
	v_and_b32_e32 v2, 0xffff0000, v3
	v_mul_f32_e32 v8, v81, v8
	v_mul_f32_e32 v4, v85, v4
	v_and_b32_e32 v3, 0xffff0000, v7
	v_bfe_u32 v9, v8, 16, 1
	v_or_b32_e32 v10, 0x400000, v8
	v_cmp_u_f32_e32 vcc_lo, v8, v8
	v_add_f32_e32 v2, v2, v3
	v_add3_u32 v9, v9, v8, 0x7fff
	v_add_f32_e32 v1, v2, v1
	v_cndmask_b32_e32 v8, v9, v10, vcc_lo
	v_bfe_u32 v9, v4, 16, 1
	v_or_b32_e32 v10, 0x400000, v4
	v_cmp_u_f32_e32 vcc_lo, v4, v4
	v_and_b32_e32 v3, 0xffff0000, v8
	v_add3_u32 v9, v9, v4, 0x7fff
	v_cndmask_b32_e32 v4, v9, v10, vcc_lo
	v_and_b32_e32 v2, 0xffff0000, v4
	v_add_f32_e32 v2, v2, v3
	v_add_f32_e32 v1, v2, v1
	s_waitcnt vmcnt(0)
	v_add_f32_e32 v21, v21, v1
	v_lshlrev_b32_e32 v1, 16, v17
	v_mul_f32_e32 v1, v88, v1
	v_bfe_u32 v2, v1, 16, 1
	v_or_b32_e32 v3, 0x400000, v1
	v_cmp_u_f32_e32 vcc_lo, v1, v1
	v_add3_u32 v2, v2, v1, 0x7fff
	v_cndmask_b32_e32 v1, v2, v3, vcc_lo
	v_and_b32_e32 v2, 0xffff0000, v17
	v_and_b32_e32 v1, 0xffff0000, v1
	v_mul_f32_e32 v2, v84, v2
	v_bfe_u32 v3, v2, 16, 1
	v_or_b32_e32 v4, 0x400000, v2
	v_cmp_u_f32_e32 vcc_lo, v2, v2
	v_add3_u32 v3, v3, v2, 0x7fff
	v_cndmask_b32_e32 v2, v3, v4, vcc_lo
	v_lshlrev_b32_e32 v3, 16, v18
	v_and_b32_e32 v2, 0xffff0000, v2
	v_mul_f32_e32 v3, v87, v3
	v_add_f32_e32 v1, v1, v2
	v_bfe_u32 v4, v3, 16, 1
	v_or_b32_e32 v5, 0x400000, v3
	v_cmp_u_f32_e32 vcc_lo, v3, v3
	v_add3_u32 v4, v4, v3, 0x7fff
	v_cndmask_b32_e32 v3, v4, v5, vcc_lo
	v_and_b32_e32 v4, 0xffff0000, v18
	v_and_b32_e32 v3, 0xffff0000, v3
	v_mul_f32_e32 v4, v83, v4
	v_bfe_u32 v5, v4, 16, 1
	v_or_b32_e32 v6, 0x400000, v4
	v_cmp_u_f32_e32 vcc_lo, v4, v4
	v_add3_u32 v5, v5, v4, 0x7fff
	v_cndmask_b32_e32 v4, v5, v6, vcc_lo
	v_lshlrev_b32_e32 v5, 16, v19
	v_and_b32_e32 v2, 0xffff0000, v4
	v_mul_f32_e32 v5, v86, v5
	v_add_f32_e32 v2, v3, v2
	v_bfe_u32 v6, v5, 16, 1
	v_or_b32_e32 v7, 0x400000, v5
	v_cmp_u_f32_e32 vcc_lo, v5, v5
	v_add_f32_e32 v1, v2, v1
	v_add3_u32 v6, v6, v5, 0x7fff
	v_cndmask_b32_e32 v5, v6, v7, vcc_lo
	v_and_b32_e32 v6, 0xffff0000, v19
	v_and_b32_e32 v3, 0xffff0000, v5
	v_mul_f32_e32 v6, v82, v6
	v_bfe_u32 v7, v6, 16, 1
	v_or_b32_e32 v8, 0x400000, v6
	v_cmp_u_f32_e32 vcc_lo, v6, v6
	v_add3_u32 v7, v7, v6, 0x7fff
	v_cndmask_b32_e32 v6, v7, v8, vcc_lo
	v_lshlrev_b32_e32 v7, 16, v20
	v_and_b32_e32 v2, 0xffff0000, v6
	v_mul_f32_e32 v7, v85, v7
	v_add_f32_e32 v2, v3, v2
	v_bfe_u32 v8, v7, 16, 1
	v_or_b32_e32 v9, 0x400000, v7
	v_cmp_u_f32_e32 vcc_lo, v7, v7
	v_add_f32_e32 v1, v2, v1
	v_add3_u32 v8, v8, v7, 0x7fff
	v_cndmask_b32_e32 v7, v8, v9, vcc_lo
	v_and_b32_e32 v8, 0xffff0000, v20
	v_and_b32_e32 v3, 0xffff0000, v7
	v_mul_f32_e32 v8, v81, v8
	v_bfe_u32 v9, v8, 16, 1
	v_or_b32_e32 v10, 0x400000, v8
	v_cmp_u_f32_e32 vcc_lo, v8, v8
	v_add3_u32 v9, v9, v8, 0x7fff
	v_cndmask_b32_e32 v8, v9, v10, vcc_lo
	v_and_b32_e32 v2, 0xffff0000, v8
	v_add_f32_e32 v2, v3, v2
	v_add_f32_e32 v1, v2, v1
	;; [unrolled: 1-line block ×3, first 2 shown]
.LBB178_37:                             ;   in Loop: Header=BB178_38 Depth=1
	s_or_b32 exec_lo, exec_lo, s17
	v_add_nc_u32_e32 v105, 4, v105
	v_add_co_u32 v106, s0, v106, 16
	v_add_co_ci_u32_e64 v107, null, 0, v107, s0
	v_cmp_le_i32_e32 vcc_lo, s16, v105
	v_add_nc_u32_e32 v110, 0x80, v110
	v_add_nc_u32_e32 v121, 0x200, v121
	s_or_b32 s14, vcc_lo, s14
	s_andn2_b32 exec_lo, exec_lo, s14
	s_cbranch_execz .LBB178_87
.LBB178_38:                             ; =>This Inner Loop Header: Depth=1
	v_sub_nc_u32_e32 v1, 0, v110
	v_max_i32_e32 v1, v110, v1
	v_mul_hi_u32 v2, v1, s12
	v_mul_lo_u32 v3, v2, s11
	v_sub_nc_u32_e32 v1, v1, v3
	v_add_nc_u32_e32 v3, 1, v2
	v_subrev_nc_u32_e32 v4, s11, v1
	v_cmp_le_u32_e32 vcc_lo, s11, v1
	v_cndmask_b32_e32 v2, v2, v3, vcc_lo
	v_cndmask_b32_e32 v1, v1, v4, vcc_lo
	v_ashrrev_i32_e32 v3, 31, v110
	v_add_nc_u32_e32 v4, 1, v2
	v_cmp_le_u32_e32 vcc_lo, s11, v1
	v_xor_b32_e32 v3, s19, v3
	v_cndmask_b32_e32 v1, v2, v4, vcc_lo
	buffer_load_dword v4, off, s[48:51], 0  ; 4-byte Folded Reload
	v_xor_b32_e32 v1, v1, v3
	v_sub_nc_u32_e32 v1, v1, v3
	v_add_nc_u32_e32 v2, s33, v1
	v_cmp_lt_i32_e64 s0, s5, v1
	v_sub_nc_u32_e32 v3, 0, v2
	v_max_i32_e32 v3, v2, v3
	v_ashrrev_i32_e32 v2, 31, v2
	s_waitcnt vmcnt(0)
	v_mul_hi_u32 v4, v3, v4
	v_mul_lo_u32 v4, v4, s6
	v_sub_nc_u32_e32 v3, v3, v4
	v_subrev_nc_u32_e32 v4, s6, v3
	v_cmp_le_u32_e32 vcc_lo, s6, v3
	v_cndmask_b32_e32 v3, v3, v4, vcc_lo
	v_subrev_nc_u32_e32 v4, s6, v3
	v_cmp_le_u32_e32 vcc_lo, s6, v3
	v_cndmask_b32_e32 v3, v3, v4, vcc_lo
	v_xor_b32_e32 v3, v3, v2
	v_sub_nc_u32_e32 v2, v3, v2
	v_cmp_eq_u32_e32 vcc_lo, 0, v2
	s_or_b32 s0, vcc_lo, s0
	s_and_saveexec_b32 s17, s0
	s_cbranch_execz .LBB178_37
; %bb.39:                               ;   in Loop: Header=BB178_38 Depth=1
	buffer_store_dword v22, off, s[48:51], 0 offset:56 ; 4-byte Folded Spill
	buffer_store_dword v21, off, s[48:51], 0 offset:52 ; 4-byte Folded Spill
	;; [unrolled: 1-line block ×13, first 2 shown]
	global_load_dword v1, v[106:107], off
	buffer_load_dword v3, off, s[48:51], 0 offset:68 ; 4-byte Folded Reload
	buffer_store_dword v48, off, s[48:51], 0 offset:4 ; 4-byte Folded Spill
	v_mov_b32_e32 v0, v99
	v_cmp_eq_u32_e64 s0, s9, v105
	s_waitcnt vmcnt(1)
	v_mad_i64_i32 v[1:2], null, v1, s13, 0
	v_lshlrev_b64 v[1:2], 1, v[1:2]
	s_waitcnt vmcnt(0)
	v_add_co_u32 v17, vcc_lo, v3, v1
	buffer_load_dword v1, off, s[48:51], 0 offset:72 ; 4-byte Folded Reload
	s_waitcnt vmcnt(0)
	v_add_co_ci_u32_e64 v18, null, v1, v2, vcc_lo
	global_load_dwordx4 v[1:4], v[17:18], off
	ds_read2_b64 v[85:88], v121 offset1:1
	ds_read2_b64 v[81:84], v121 offset0:2 offset1:3
	buffer_load_dword v5, off, s[48:51], 0 offset:64 ; 4-byte Folded Reload
	s_waitcnt vmcnt(0)
	v_add_nc_u32_e32 v113, v5, v110
	v_add_nc_u32_e32 v108, 1, v113
	v_or_b32_e32 v127, 3, v113
	v_or_b32_e32 v126, 2, v113
	;; [unrolled: 1-line block ×6, first 2 shown]
	s_and_saveexec_b32 s18, s0
	s_cbranch_execnz .LBB178_68
; %bb.40:                               ;   in Loop: Header=BB178_38 Depth=1
	s_or_b32 exec_lo, exec_lo, s18
	global_load_dwordx4 v[5:8], v[17:18], off offset:512
	s_and_saveexec_b32 s18, s0
	s_cbranch_execnz .LBB178_69
.LBB178_41:                             ;   in Loop: Header=BB178_38 Depth=1
	s_or_b32 exec_lo, exec_lo, s18
	global_load_dwordx4 v[9:12], v[17:18], off offset:1024
	s_and_saveexec_b32 s18, s0
	s_cbranch_execnz .LBB178_70
.LBB178_42:                             ;   in Loop: Header=BB178_38 Depth=1
	s_or_b32 exec_lo, exec_lo, s18
	global_load_dwordx4 v[13:16], v[17:18], off offset:1536
	s_and_saveexec_b32 s18, s0
	s_cbranch_execz .LBB178_44
.LBB178_43:                             ;   in Loop: Header=BB178_38 Depth=1
	v_cmp_gt_i32_e64 s1, s27, v113
	v_cmp_gt_i32_e32 vcc_lo, s15, v108
	v_cmp_gt_i32_e64 s2, s27, v126
	s_waitcnt vmcnt(0)
	v_cndmask_b32_e64 v19, 0, v13, s1
	v_cmp_gt_i32_e64 s1, s15, v127
	v_cndmask_b32_sdwa v13, v120, v13, vcc_lo dst_sel:DWORD dst_unused:UNUSED_PAD src0_sel:DWORD src1_sel:WORD_1
	v_cndmask_b32_e64 v20, 0, v14, s2
	v_cmp_gt_i32_e64 s2, s15, v125
	s_mov_b32 vcc_lo, s1
	v_cmp_gt_i32_e64 s1, s15, v123
	v_cndmask_b32_sdwa v14, v120, v14, vcc_lo dst_sel:DWORD dst_unused:UNUSED_PAD src0_sel:DWORD src1_sel:WORD_1
	v_cmp_gt_i32_e32 vcc_lo, s27, v124
	v_perm_b32 v13, v13, v19, 0x5040100
	v_perm_b32 v14, v14, v20, 0x5040100
	v_cndmask_b32_e32 v21, 0, v15, vcc_lo
	s_mov_b32 vcc_lo, s2
	v_cndmask_b32_sdwa v15, v120, v15, vcc_lo dst_sel:DWORD dst_unused:UNUSED_PAD src0_sel:DWORD src1_sel:WORD_1
	v_cmp_gt_i32_e32 vcc_lo, s27, v122
	v_perm_b32 v15, v15, v21, 0x5040100
	v_cndmask_b32_e32 v22, 0, v16, vcc_lo
	s_mov_b32 vcc_lo, s1
	v_cndmask_b32_sdwa v16, v120, v16, vcc_lo dst_sel:DWORD dst_unused:UNUSED_PAD src0_sel:DWORD src1_sel:WORD_1
	v_perm_b32 v16, v16, v22, 0x5040100
.LBB178_44:                             ;   in Loop: Header=BB178_38 Depth=1
	s_or_b32 exec_lo, exec_lo, s18
	v_add_co_u32 v19, vcc_lo, 0x800, v17
	v_add_co_ci_u32_e64 v20, null, 0, v18, vcc_lo
	global_load_dwordx4 v[21:24], v[19:20], off
	s_and_saveexec_b32 s18, s0
	s_cbranch_execnz .LBB178_71
; %bb.45:                               ;   in Loop: Header=BB178_38 Depth=1
	s_or_b32 exec_lo, exec_lo, s18
	global_load_dwordx4 v[25:28], v[19:20], off offset:512
	s_and_saveexec_b32 s18, s0
	s_cbranch_execnz .LBB178_72
.LBB178_46:                             ;   in Loop: Header=BB178_38 Depth=1
	s_or_b32 exec_lo, exec_lo, s18
	global_load_dwordx4 v[29:32], v[19:20], off offset:1024
	s_and_saveexec_b32 s18, s0
	s_cbranch_execnz .LBB178_73
.LBB178_47:                             ;   in Loop: Header=BB178_38 Depth=1
	s_or_b32 exec_lo, exec_lo, s18
	global_load_dwordx4 v[33:36], v[19:20], off offset:1536
	s_and_saveexec_b32 s18, s0
	s_cbranch_execz .LBB178_49
.LBB178_48:                             ;   in Loop: Header=BB178_38 Depth=1
	v_cmp_gt_i32_e64 s1, s27, v113
	v_cmp_gt_i32_e32 vcc_lo, s15, v108
	v_cmp_gt_i32_e64 s2, s27, v126
	s_waitcnt vmcnt(0)
	v_cndmask_b32_e64 v19, 0, v33, s1
	v_cmp_gt_i32_e64 s1, s15, v127
	v_cndmask_b32_sdwa v33, v120, v33, vcc_lo dst_sel:DWORD dst_unused:UNUSED_PAD src0_sel:DWORD src1_sel:WORD_1
	v_cndmask_b32_e64 v20, 0, v34, s2
	v_cmp_gt_i32_e64 s2, s15, v125
	s_mov_b32 vcc_lo, s1
	v_cmp_gt_i32_e64 s1, s15, v123
	v_cndmask_b32_sdwa v34, v120, v34, vcc_lo dst_sel:DWORD dst_unused:UNUSED_PAD src0_sel:DWORD src1_sel:WORD_1
	v_cmp_gt_i32_e32 vcc_lo, s27, v124
	v_perm_b32 v33, v33, v19, 0x5040100
	v_perm_b32 v34, v34, v20, 0x5040100
	v_cndmask_b32_e32 v37, 0, v35, vcc_lo
	s_mov_b32 vcc_lo, s2
	v_cndmask_b32_sdwa v35, v120, v35, vcc_lo dst_sel:DWORD dst_unused:UNUSED_PAD src0_sel:DWORD src1_sel:WORD_1
	v_cmp_gt_i32_e32 vcc_lo, s27, v122
	v_perm_b32 v35, v35, v37, 0x5040100
	v_cndmask_b32_e32 v38, 0, v36, vcc_lo
	s_mov_b32 vcc_lo, s1
	v_cndmask_b32_sdwa v36, v120, v36, vcc_lo dst_sel:DWORD dst_unused:UNUSED_PAD src0_sel:DWORD src1_sel:WORD_1
	v_perm_b32 v36, v36, v38, 0x5040100
.LBB178_49:                             ;   in Loop: Header=BB178_38 Depth=1
	s_or_b32 exec_lo, exec_lo, s18
	v_add_co_u32 v19, vcc_lo, 0x1000, v17
	v_add_co_ci_u32_e64 v20, null, 0, v18, vcc_lo
	global_load_dwordx4 v[37:40], v[19:20], off
	s_and_saveexec_b32 s18, s0
	s_cbranch_execnz .LBB178_74
; %bb.50:                               ;   in Loop: Header=BB178_38 Depth=1
	s_or_b32 exec_lo, exec_lo, s18
	global_load_dwordx4 v[41:44], v[19:20], off offset:512
	s_and_saveexec_b32 s18, s0
	s_cbranch_execnz .LBB178_75
.LBB178_51:                             ;   in Loop: Header=BB178_38 Depth=1
	s_or_b32 exec_lo, exec_lo, s18
	global_load_dwordx4 v[45:48], v[19:20], off offset:1024
	s_and_saveexec_b32 s18, s0
	s_cbranch_execnz .LBB178_76
.LBB178_52:                             ;   in Loop: Header=BB178_38 Depth=1
	s_or_b32 exec_lo, exec_lo, s18
	global_load_dwordx4 v[49:52], v[19:20], off offset:1536
	s_and_saveexec_b32 s18, s0
	s_cbranch_execz .LBB178_54
.LBB178_53:                             ;   in Loop: Header=BB178_38 Depth=1
	v_cmp_gt_i32_e64 s1, s27, v113
	v_cmp_gt_i32_e32 vcc_lo, s15, v108
	v_cmp_gt_i32_e64 s2, s27, v126
	s_waitcnt vmcnt(0)
	v_cndmask_b32_e64 v19, 0, v49, s1
	v_cmp_gt_i32_e64 s1, s15, v127
	v_cndmask_b32_sdwa v49, v120, v49, vcc_lo dst_sel:DWORD dst_unused:UNUSED_PAD src0_sel:DWORD src1_sel:WORD_1
	v_cndmask_b32_e64 v20, 0, v50, s2
	v_cmp_gt_i32_e64 s2, s15, v125
	s_mov_b32 vcc_lo, s1
	v_cmp_gt_i32_e64 s1, s15, v123
	v_cndmask_b32_sdwa v50, v120, v50, vcc_lo dst_sel:DWORD dst_unused:UNUSED_PAD src0_sel:DWORD src1_sel:WORD_1
	v_cmp_gt_i32_e32 vcc_lo, s27, v124
	v_perm_b32 v49, v49, v19, 0x5040100
	v_perm_b32 v50, v50, v20, 0x5040100
	v_cndmask_b32_e32 v53, 0, v51, vcc_lo
	s_mov_b32 vcc_lo, s2
	v_cndmask_b32_sdwa v51, v120, v51, vcc_lo dst_sel:DWORD dst_unused:UNUSED_PAD src0_sel:DWORD src1_sel:WORD_1
	v_cmp_gt_i32_e32 vcc_lo, s27, v122
	v_perm_b32 v51, v51, v53, 0x5040100
	v_cndmask_b32_e32 v54, 0, v52, vcc_lo
	s_mov_b32 vcc_lo, s1
	v_cndmask_b32_sdwa v52, v120, v52, vcc_lo dst_sel:DWORD dst_unused:UNUSED_PAD src0_sel:DWORD src1_sel:WORD_1
	v_perm_b32 v52, v52, v54, 0x5040100
.LBB178_54:                             ;   in Loop: Header=BB178_38 Depth=1
	s_or_b32 exec_lo, exec_lo, s18
	v_add_co_u32 v19, vcc_lo, 0x1800, v17
	v_add_co_ci_u32_e64 v20, null, 0, v18, vcc_lo
	global_load_dwordx4 v[53:56], v[19:20], off
	s_and_saveexec_b32 s18, s0
	s_cbranch_execnz .LBB178_77
; %bb.55:                               ;   in Loop: Header=BB178_38 Depth=1
	s_or_b32 exec_lo, exec_lo, s18
	global_load_dwordx4 v[57:60], v[19:20], off offset:512
	s_and_saveexec_b32 s18, s0
	s_cbranch_execnz .LBB178_78
.LBB178_56:                             ;   in Loop: Header=BB178_38 Depth=1
	s_or_b32 exec_lo, exec_lo, s18
	global_load_dwordx4 v[61:64], v[19:20], off offset:1024
	s_and_saveexec_b32 s18, s0
	s_cbranch_execnz .LBB178_79
.LBB178_57:                             ;   in Loop: Header=BB178_38 Depth=1
	s_or_b32 exec_lo, exec_lo, s18
	global_load_dwordx4 v[65:68], v[19:20], off offset:1536
	s_and_saveexec_b32 s18, s0
	s_cbranch_execz .LBB178_59
.LBB178_58:                             ;   in Loop: Header=BB178_38 Depth=1
	v_cmp_gt_i32_e64 s1, s27, v113
	v_cmp_gt_i32_e32 vcc_lo, s15, v108
	v_cmp_gt_i32_e64 s2, s27, v126
	s_waitcnt vmcnt(0)
	v_cndmask_b32_e64 v19, 0, v65, s1
	v_cmp_gt_i32_e64 s1, s15, v127
	v_cndmask_b32_sdwa v65, v120, v65, vcc_lo dst_sel:DWORD dst_unused:UNUSED_PAD src0_sel:DWORD src1_sel:WORD_1
	v_cndmask_b32_e64 v20, 0, v66, s2
	v_cmp_gt_i32_e64 s2, s15, v125
	s_mov_b32 vcc_lo, s1
	v_cmp_gt_i32_e64 s1, s15, v123
	v_cndmask_b32_sdwa v66, v120, v66, vcc_lo dst_sel:DWORD dst_unused:UNUSED_PAD src0_sel:DWORD src1_sel:WORD_1
	v_cmp_gt_i32_e32 vcc_lo, s27, v124
	v_perm_b32 v65, v65, v19, 0x5040100
	v_perm_b32 v66, v66, v20, 0x5040100
	v_cndmask_b32_e32 v69, 0, v67, vcc_lo
	s_mov_b32 vcc_lo, s2
	v_cndmask_b32_sdwa v67, v120, v67, vcc_lo dst_sel:DWORD dst_unused:UNUSED_PAD src0_sel:DWORD src1_sel:WORD_1
	v_cmp_gt_i32_e32 vcc_lo, s27, v122
	v_perm_b32 v67, v67, v69, 0x5040100
	v_cndmask_b32_e32 v70, 0, v68, vcc_lo
	s_mov_b32 vcc_lo, s1
	v_cndmask_b32_sdwa v68, v120, v68, vcc_lo dst_sel:DWORD dst_unused:UNUSED_PAD src0_sel:DWORD src1_sel:WORD_1
	v_perm_b32 v68, v68, v70, 0x5040100
.LBB178_59:                             ;   in Loop: Header=BB178_38 Depth=1
	s_or_b32 exec_lo, exec_lo, s18
	v_add_co_u32 v19, vcc_lo, 0x2000, v17
	v_add_co_ci_u32_e64 v20, null, 0, v18, vcc_lo
	global_load_dwordx4 v[69:72], v[19:20], off
	s_and_saveexec_b32 s2, s0
	s_cbranch_execnz .LBB178_80
; %bb.60:                               ;   in Loop: Header=BB178_38 Depth=1
	s_or_b32 exec_lo, exec_lo, s2
	global_load_dwordx4 v[73:76], v[19:20], off offset:512
	s_and_saveexec_b32 s2, s0
	s_cbranch_execnz .LBB178_81
.LBB178_61:                             ;   in Loop: Header=BB178_38 Depth=1
	s_or_b32 exec_lo, exec_lo, s2
	global_load_dwordx4 v[77:80], v[19:20], off offset:1024
	s_and_saveexec_b32 s2, s0
	s_cbranch_execnz .LBB178_82
.LBB178_62:                             ;   in Loop: Header=BB178_38 Depth=1
	s_or_b32 exec_lo, exec_lo, s2
	global_load_dwordx4 v[89:92], v[19:20], off offset:1536
	s_and_saveexec_b32 s2, s0
	s_cbranch_execz .LBB178_64
.LBB178_63:                             ;   in Loop: Header=BB178_38 Depth=1
	v_cmp_gt_i32_e64 s1, s27, v113
	v_cmp_gt_i32_e32 vcc_lo, s15, v108
	s_waitcnt vmcnt(0)
	v_cndmask_b32_e64 v20, 0, v89, s1
	v_cndmask_b32_sdwa v19, v120, v89, vcc_lo dst_sel:DWORD dst_unused:UNUSED_PAD src0_sel:DWORD src1_sel:WORD_1
	v_cmp_gt_i32_e32 vcc_lo, s15, v127
	v_cmp_gt_i32_e64 s1, s27, v126
	v_perm_b32 v89, v19, v20, 0x5040100
	v_cndmask_b32_sdwa v20, v120, v90, vcc_lo dst_sel:DWORD dst_unused:UNUSED_PAD src0_sel:DWORD src1_sel:WORD_1
	v_cndmask_b32_e64 v19, 0, v90, s1
	v_cmp_gt_i32_e32 vcc_lo, s15, v125
	v_cmp_gt_i32_e64 s1, s27, v124
	v_perm_b32 v90, v20, v19, 0x5040100
	v_cndmask_b32_sdwa v20, v120, v91, vcc_lo dst_sel:DWORD dst_unused:UNUSED_PAD src0_sel:DWORD src1_sel:WORD_1
	v_cndmask_b32_e64 v19, 0, v91, s1
	;; [unrolled: 5-line block ×3, first 2 shown]
	v_perm_b32 v92, v20, v19, 0x5040100
.LBB178_64:                             ;   in Loop: Header=BB178_38 Depth=1
	s_or_b32 exec_lo, exec_lo, s2
	v_add_co_u32 v17, vcc_lo, 0x2800, v17
	v_add_co_ci_u32_e64 v18, null, 0, v18, vcc_lo
	global_load_dwordx4 v[93:96], v[17:18], off
	s_and_saveexec_b32 s2, s0
	s_cbranch_execnz .LBB178_83
; %bb.65:                               ;   in Loop: Header=BB178_38 Depth=1
	s_or_b32 exec_lo, exec_lo, s2
	global_load_dwordx4 v[97:100], v[17:18], off offset:512
	s_and_saveexec_b32 s2, s0
	s_cbranch_execnz .LBB178_84
.LBB178_66:                             ;   in Loop: Header=BB178_38 Depth=1
	s_or_b32 exec_lo, exec_lo, s2
	global_load_dwordx4 v[101:104], v[17:18], off offset:1024
	s_and_saveexec_b32 s2, s0
	s_cbranch_execnz .LBB178_85
.LBB178_67:                             ;   in Loop: Header=BB178_38 Depth=1
	s_or_b32 exec_lo, exec_lo, s2
	global_load_dwordx4 v[17:20], v[17:18], off offset:1536
	s_and_saveexec_b32 s1, s0
	s_cbranch_execz .LBB178_36
	s_branch .LBB178_86
.LBB178_68:                             ;   in Loop: Header=BB178_38 Depth=1
	v_cmp_gt_i32_e64 s1, s27, v113
	v_cmp_gt_i32_e32 vcc_lo, s15, v108
	v_cmp_gt_i32_e64 s2, s27, v126
	v_cndmask_b32_e64 v5, 0, v1, s1
	v_cmp_gt_i32_e64 s1, s15, v127
	v_cndmask_b32_sdwa v1, v120, v1, vcc_lo dst_sel:DWORD dst_unused:UNUSED_PAD src0_sel:DWORD src1_sel:WORD_1
	v_cndmask_b32_e64 v6, 0, v2, s2
	v_cmp_gt_i32_e64 s2, s15, v125
	s_mov_b32 vcc_lo, s1
	v_cmp_gt_i32_e64 s1, s15, v123
	v_cndmask_b32_sdwa v2, v120, v2, vcc_lo dst_sel:DWORD dst_unused:UNUSED_PAD src0_sel:DWORD src1_sel:WORD_1
	v_cmp_gt_i32_e32 vcc_lo, s27, v124
	v_perm_b32 v1, v1, v5, 0x5040100
	v_perm_b32 v2, v2, v6, 0x5040100
	v_cndmask_b32_e32 v7, 0, v3, vcc_lo
	s_mov_b32 vcc_lo, s2
	v_cndmask_b32_sdwa v3, v120, v3, vcc_lo dst_sel:DWORD dst_unused:UNUSED_PAD src0_sel:DWORD src1_sel:WORD_1
	v_cmp_gt_i32_e32 vcc_lo, s27, v122
	v_perm_b32 v3, v3, v7, 0x5040100
	v_cndmask_b32_e32 v8, 0, v4, vcc_lo
	s_mov_b32 vcc_lo, s1
	v_cndmask_b32_sdwa v4, v120, v4, vcc_lo dst_sel:DWORD dst_unused:UNUSED_PAD src0_sel:DWORD src1_sel:WORD_1
	v_perm_b32 v4, v4, v8, 0x5040100
	s_or_b32 exec_lo, exec_lo, s18
	global_load_dwordx4 v[5:8], v[17:18], off offset:512
	s_and_saveexec_b32 s18, s0
	s_cbranch_execz .LBB178_41
.LBB178_69:                             ;   in Loop: Header=BB178_38 Depth=1
	v_cmp_gt_i32_e64 s1, s27, v113
	v_cmp_gt_i32_e32 vcc_lo, s15, v108
	v_cmp_gt_i32_e64 s2, s27, v126
	s_waitcnt vmcnt(0)
	v_cndmask_b32_e64 v9, 0, v5, s1
	v_cmp_gt_i32_e64 s1, s15, v127
	v_cndmask_b32_sdwa v5, v120, v5, vcc_lo dst_sel:DWORD dst_unused:UNUSED_PAD src0_sel:DWORD src1_sel:WORD_1
	v_cndmask_b32_e64 v10, 0, v6, s2
	v_cmp_gt_i32_e64 s2, s15, v125
	s_mov_b32 vcc_lo, s1
	v_cmp_gt_i32_e64 s1, s15, v123
	v_cndmask_b32_sdwa v6, v120, v6, vcc_lo dst_sel:DWORD dst_unused:UNUSED_PAD src0_sel:DWORD src1_sel:WORD_1
	v_cmp_gt_i32_e32 vcc_lo, s27, v124
	v_perm_b32 v5, v5, v9, 0x5040100
	v_perm_b32 v6, v6, v10, 0x5040100
	v_cndmask_b32_e32 v11, 0, v7, vcc_lo
	s_mov_b32 vcc_lo, s2
	v_cndmask_b32_sdwa v7, v120, v7, vcc_lo dst_sel:DWORD dst_unused:UNUSED_PAD src0_sel:DWORD src1_sel:WORD_1
	v_cmp_gt_i32_e32 vcc_lo, s27, v122
	v_perm_b32 v7, v7, v11, 0x5040100
	v_cndmask_b32_e32 v12, 0, v8, vcc_lo
	s_mov_b32 vcc_lo, s1
	v_cndmask_b32_sdwa v8, v120, v8, vcc_lo dst_sel:DWORD dst_unused:UNUSED_PAD src0_sel:DWORD src1_sel:WORD_1
	v_perm_b32 v8, v8, v12, 0x5040100
	s_or_b32 exec_lo, exec_lo, s18
	global_load_dwordx4 v[9:12], v[17:18], off offset:1024
	s_and_saveexec_b32 s18, s0
	s_cbranch_execz .LBB178_42
.LBB178_70:                             ;   in Loop: Header=BB178_38 Depth=1
	v_cmp_gt_i32_e64 s1, s27, v113
	v_cmp_gt_i32_e32 vcc_lo, s15, v108
	v_cmp_gt_i32_e64 s2, s27, v126
	s_waitcnt vmcnt(0)
	v_cndmask_b32_e64 v13, 0, v9, s1
	v_cmp_gt_i32_e64 s1, s15, v127
	v_cndmask_b32_sdwa v9, v120, v9, vcc_lo dst_sel:DWORD dst_unused:UNUSED_PAD src0_sel:DWORD src1_sel:WORD_1
	v_cndmask_b32_e64 v14, 0, v10, s2
	v_cmp_gt_i32_e64 s2, s15, v125
	s_mov_b32 vcc_lo, s1
	v_cmp_gt_i32_e64 s1, s15, v123
	v_cndmask_b32_sdwa v10, v120, v10, vcc_lo dst_sel:DWORD dst_unused:UNUSED_PAD src0_sel:DWORD src1_sel:WORD_1
	v_cmp_gt_i32_e32 vcc_lo, s27, v124
	v_perm_b32 v9, v9, v13, 0x5040100
	v_perm_b32 v10, v10, v14, 0x5040100
	v_cndmask_b32_e32 v15, 0, v11, vcc_lo
	s_mov_b32 vcc_lo, s2
	v_cndmask_b32_sdwa v11, v120, v11, vcc_lo dst_sel:DWORD dst_unused:UNUSED_PAD src0_sel:DWORD src1_sel:WORD_1
	v_cmp_gt_i32_e32 vcc_lo, s27, v122
	v_perm_b32 v11, v11, v15, 0x5040100
	v_cndmask_b32_e32 v16, 0, v12, vcc_lo
	s_mov_b32 vcc_lo, s1
	v_cndmask_b32_sdwa v12, v120, v12, vcc_lo dst_sel:DWORD dst_unused:UNUSED_PAD src0_sel:DWORD src1_sel:WORD_1
	v_perm_b32 v12, v12, v16, 0x5040100
	s_or_b32 exec_lo, exec_lo, s18
	global_load_dwordx4 v[13:16], v[17:18], off offset:1536
	s_and_saveexec_b32 s18, s0
	s_cbranch_execnz .LBB178_43
	s_branch .LBB178_44
.LBB178_71:                             ;   in Loop: Header=BB178_38 Depth=1
	v_cmp_gt_i32_e64 s1, s27, v113
	v_cmp_gt_i32_e32 vcc_lo, s15, v108
	v_cmp_gt_i32_e64 s2, s27, v126
	s_waitcnt vmcnt(0)
	v_cndmask_b32_e64 v25, 0, v21, s1
	v_cmp_gt_i32_e64 s1, s15, v127
	v_cndmask_b32_sdwa v21, v120, v21, vcc_lo dst_sel:DWORD dst_unused:UNUSED_PAD src0_sel:DWORD src1_sel:WORD_1
	v_cndmask_b32_e64 v26, 0, v22, s2
	v_cmp_gt_i32_e64 s2, s15, v125
	s_mov_b32 vcc_lo, s1
	v_cmp_gt_i32_e64 s1, s15, v123
	v_cndmask_b32_sdwa v22, v120, v22, vcc_lo dst_sel:DWORD dst_unused:UNUSED_PAD src0_sel:DWORD src1_sel:WORD_1
	v_cmp_gt_i32_e32 vcc_lo, s27, v124
	v_perm_b32 v21, v21, v25, 0x5040100
	v_perm_b32 v22, v22, v26, 0x5040100
	v_cndmask_b32_e32 v27, 0, v23, vcc_lo
	s_mov_b32 vcc_lo, s2
	v_cndmask_b32_sdwa v23, v120, v23, vcc_lo dst_sel:DWORD dst_unused:UNUSED_PAD src0_sel:DWORD src1_sel:WORD_1
	v_cmp_gt_i32_e32 vcc_lo, s27, v122
	v_perm_b32 v23, v23, v27, 0x5040100
	v_cndmask_b32_e32 v28, 0, v24, vcc_lo
	s_mov_b32 vcc_lo, s1
	v_cndmask_b32_sdwa v24, v120, v24, vcc_lo dst_sel:DWORD dst_unused:UNUSED_PAD src0_sel:DWORD src1_sel:WORD_1
	v_perm_b32 v24, v24, v28, 0x5040100
	s_or_b32 exec_lo, exec_lo, s18
	global_load_dwordx4 v[25:28], v[19:20], off offset:512
	s_and_saveexec_b32 s18, s0
	s_cbranch_execz .LBB178_46
.LBB178_72:                             ;   in Loop: Header=BB178_38 Depth=1
	v_cmp_gt_i32_e64 s1, s27, v113
	v_cmp_gt_i32_e32 vcc_lo, s15, v108
	v_cmp_gt_i32_e64 s2, s27, v126
	s_waitcnt vmcnt(0)
	v_cndmask_b32_e64 v29, 0, v25, s1
	v_cmp_gt_i32_e64 s1, s15, v127
	v_cndmask_b32_sdwa v25, v120, v25, vcc_lo dst_sel:DWORD dst_unused:UNUSED_PAD src0_sel:DWORD src1_sel:WORD_1
	v_cndmask_b32_e64 v30, 0, v26, s2
	v_cmp_gt_i32_e64 s2, s15, v125
	s_mov_b32 vcc_lo, s1
	v_cmp_gt_i32_e64 s1, s15, v123
	v_cndmask_b32_sdwa v26, v120, v26, vcc_lo dst_sel:DWORD dst_unused:UNUSED_PAD src0_sel:DWORD src1_sel:WORD_1
	v_cmp_gt_i32_e32 vcc_lo, s27, v124
	v_perm_b32 v25, v25, v29, 0x5040100
	v_perm_b32 v26, v26, v30, 0x5040100
	v_cndmask_b32_e32 v31, 0, v27, vcc_lo
	s_mov_b32 vcc_lo, s2
	v_cndmask_b32_sdwa v27, v120, v27, vcc_lo dst_sel:DWORD dst_unused:UNUSED_PAD src0_sel:DWORD src1_sel:WORD_1
	v_cmp_gt_i32_e32 vcc_lo, s27, v122
	v_perm_b32 v27, v27, v31, 0x5040100
	v_cndmask_b32_e32 v32, 0, v28, vcc_lo
	s_mov_b32 vcc_lo, s1
	v_cndmask_b32_sdwa v28, v120, v28, vcc_lo dst_sel:DWORD dst_unused:UNUSED_PAD src0_sel:DWORD src1_sel:WORD_1
	v_perm_b32 v28, v28, v32, 0x5040100
	s_or_b32 exec_lo, exec_lo, s18
	global_load_dwordx4 v[29:32], v[19:20], off offset:1024
	s_and_saveexec_b32 s18, s0
	s_cbranch_execz .LBB178_47
.LBB178_73:                             ;   in Loop: Header=BB178_38 Depth=1
	v_cmp_gt_i32_e64 s1, s27, v113
	v_cmp_gt_i32_e32 vcc_lo, s15, v108
	v_cmp_gt_i32_e64 s2, s27, v126
	s_waitcnt vmcnt(0)
	v_cndmask_b32_e64 v33, 0, v29, s1
	v_cmp_gt_i32_e64 s1, s15, v127
	v_cndmask_b32_sdwa v29, v120, v29, vcc_lo dst_sel:DWORD dst_unused:UNUSED_PAD src0_sel:DWORD src1_sel:WORD_1
	v_cndmask_b32_e64 v34, 0, v30, s2
	v_cmp_gt_i32_e64 s2, s15, v125
	s_mov_b32 vcc_lo, s1
	v_cmp_gt_i32_e64 s1, s15, v123
	v_cndmask_b32_sdwa v30, v120, v30, vcc_lo dst_sel:DWORD dst_unused:UNUSED_PAD src0_sel:DWORD src1_sel:WORD_1
	v_cmp_gt_i32_e32 vcc_lo, s27, v124
	v_perm_b32 v29, v29, v33, 0x5040100
	v_perm_b32 v30, v30, v34, 0x5040100
	v_cndmask_b32_e32 v35, 0, v31, vcc_lo
	s_mov_b32 vcc_lo, s2
	v_cndmask_b32_sdwa v31, v120, v31, vcc_lo dst_sel:DWORD dst_unused:UNUSED_PAD src0_sel:DWORD src1_sel:WORD_1
	v_cmp_gt_i32_e32 vcc_lo, s27, v122
	v_perm_b32 v31, v31, v35, 0x5040100
	v_cndmask_b32_e32 v36, 0, v32, vcc_lo
	s_mov_b32 vcc_lo, s1
	v_cndmask_b32_sdwa v32, v120, v32, vcc_lo dst_sel:DWORD dst_unused:UNUSED_PAD src0_sel:DWORD src1_sel:WORD_1
	v_perm_b32 v32, v32, v36, 0x5040100
	s_or_b32 exec_lo, exec_lo, s18
	global_load_dwordx4 v[33:36], v[19:20], off offset:1536
	s_and_saveexec_b32 s18, s0
	s_cbranch_execnz .LBB178_48
	s_branch .LBB178_49
.LBB178_74:                             ;   in Loop: Header=BB178_38 Depth=1
	v_cmp_gt_i32_e64 s1, s27, v113
	v_cmp_gt_i32_e32 vcc_lo, s15, v108
	v_cmp_gt_i32_e64 s2, s27, v126
	s_waitcnt vmcnt(0)
	v_cndmask_b32_e64 v41, 0, v37, s1
	v_cmp_gt_i32_e64 s1, s15, v127
	v_cndmask_b32_sdwa v37, v120, v37, vcc_lo dst_sel:DWORD dst_unused:UNUSED_PAD src0_sel:DWORD src1_sel:WORD_1
	v_cndmask_b32_e64 v42, 0, v38, s2
	v_cmp_gt_i32_e64 s2, s15, v125
	s_mov_b32 vcc_lo, s1
	v_cmp_gt_i32_e64 s1, s15, v123
	v_cndmask_b32_sdwa v38, v120, v38, vcc_lo dst_sel:DWORD dst_unused:UNUSED_PAD src0_sel:DWORD src1_sel:WORD_1
	v_cmp_gt_i32_e32 vcc_lo, s27, v124
	v_perm_b32 v37, v37, v41, 0x5040100
	v_perm_b32 v38, v38, v42, 0x5040100
	v_cndmask_b32_e32 v43, 0, v39, vcc_lo
	s_mov_b32 vcc_lo, s2
	v_cndmask_b32_sdwa v39, v120, v39, vcc_lo dst_sel:DWORD dst_unused:UNUSED_PAD src0_sel:DWORD src1_sel:WORD_1
	v_cmp_gt_i32_e32 vcc_lo, s27, v122
	v_perm_b32 v39, v39, v43, 0x5040100
	v_cndmask_b32_e32 v44, 0, v40, vcc_lo
	s_mov_b32 vcc_lo, s1
	v_cndmask_b32_sdwa v40, v120, v40, vcc_lo dst_sel:DWORD dst_unused:UNUSED_PAD src0_sel:DWORD src1_sel:WORD_1
	v_perm_b32 v40, v40, v44, 0x5040100
	s_or_b32 exec_lo, exec_lo, s18
	global_load_dwordx4 v[41:44], v[19:20], off offset:512
	s_and_saveexec_b32 s18, s0
	s_cbranch_execz .LBB178_51
.LBB178_75:                             ;   in Loop: Header=BB178_38 Depth=1
	v_cmp_gt_i32_e64 s1, s27, v113
	v_cmp_gt_i32_e32 vcc_lo, s15, v108
	v_cmp_gt_i32_e64 s2, s27, v126
	s_waitcnt vmcnt(0)
	v_cndmask_b32_e64 v45, 0, v41, s1
	v_cmp_gt_i32_e64 s1, s15, v127
	v_cndmask_b32_sdwa v41, v120, v41, vcc_lo dst_sel:DWORD dst_unused:UNUSED_PAD src0_sel:DWORD src1_sel:WORD_1
	v_cndmask_b32_e64 v46, 0, v42, s2
	v_cmp_gt_i32_e64 s2, s15, v125
	s_mov_b32 vcc_lo, s1
	v_cmp_gt_i32_e64 s1, s15, v123
	v_cndmask_b32_sdwa v42, v120, v42, vcc_lo dst_sel:DWORD dst_unused:UNUSED_PAD src0_sel:DWORD src1_sel:WORD_1
	v_cmp_gt_i32_e32 vcc_lo, s27, v124
	v_perm_b32 v41, v41, v45, 0x5040100
	v_perm_b32 v42, v42, v46, 0x5040100
	v_cndmask_b32_e32 v47, 0, v43, vcc_lo
	s_mov_b32 vcc_lo, s2
	v_cndmask_b32_sdwa v43, v120, v43, vcc_lo dst_sel:DWORD dst_unused:UNUSED_PAD src0_sel:DWORD src1_sel:WORD_1
	v_cmp_gt_i32_e32 vcc_lo, s27, v122
	v_perm_b32 v43, v43, v47, 0x5040100
	v_cndmask_b32_e32 v48, 0, v44, vcc_lo
	s_mov_b32 vcc_lo, s1
	v_cndmask_b32_sdwa v44, v120, v44, vcc_lo dst_sel:DWORD dst_unused:UNUSED_PAD src0_sel:DWORD src1_sel:WORD_1
	v_perm_b32 v44, v44, v48, 0x5040100
	s_or_b32 exec_lo, exec_lo, s18
	global_load_dwordx4 v[45:48], v[19:20], off offset:1024
	s_and_saveexec_b32 s18, s0
	s_cbranch_execz .LBB178_52
.LBB178_76:                             ;   in Loop: Header=BB178_38 Depth=1
	v_cmp_gt_i32_e64 s1, s27, v113
	v_cmp_gt_i32_e32 vcc_lo, s15, v108
	v_cmp_gt_i32_e64 s2, s27, v126
	s_waitcnt vmcnt(0)
	v_cndmask_b32_e64 v49, 0, v45, s1
	v_cmp_gt_i32_e64 s1, s15, v127
	v_cndmask_b32_sdwa v45, v120, v45, vcc_lo dst_sel:DWORD dst_unused:UNUSED_PAD src0_sel:DWORD src1_sel:WORD_1
	v_cndmask_b32_e64 v50, 0, v46, s2
	v_cmp_gt_i32_e64 s2, s15, v125
	s_mov_b32 vcc_lo, s1
	v_cmp_gt_i32_e64 s1, s15, v123
	v_cndmask_b32_sdwa v46, v120, v46, vcc_lo dst_sel:DWORD dst_unused:UNUSED_PAD src0_sel:DWORD src1_sel:WORD_1
	v_cmp_gt_i32_e32 vcc_lo, s27, v124
	v_perm_b32 v45, v45, v49, 0x5040100
	v_perm_b32 v46, v46, v50, 0x5040100
	v_cndmask_b32_e32 v51, 0, v47, vcc_lo
	s_mov_b32 vcc_lo, s2
	v_cndmask_b32_sdwa v47, v120, v47, vcc_lo dst_sel:DWORD dst_unused:UNUSED_PAD src0_sel:DWORD src1_sel:WORD_1
	v_cmp_gt_i32_e32 vcc_lo, s27, v122
	v_perm_b32 v47, v47, v51, 0x5040100
	v_cndmask_b32_e32 v52, 0, v48, vcc_lo
	s_mov_b32 vcc_lo, s1
	v_cndmask_b32_sdwa v48, v120, v48, vcc_lo dst_sel:DWORD dst_unused:UNUSED_PAD src0_sel:DWORD src1_sel:WORD_1
	v_perm_b32 v48, v48, v52, 0x5040100
	s_or_b32 exec_lo, exec_lo, s18
	global_load_dwordx4 v[49:52], v[19:20], off offset:1536
	s_and_saveexec_b32 s18, s0
	s_cbranch_execnz .LBB178_53
	s_branch .LBB178_54
.LBB178_77:                             ;   in Loop: Header=BB178_38 Depth=1
	v_cmp_gt_i32_e64 s1, s27, v113
	v_cmp_gt_i32_e32 vcc_lo, s15, v108
	v_cmp_gt_i32_e64 s2, s27, v126
	s_waitcnt vmcnt(0)
	v_cndmask_b32_e64 v57, 0, v53, s1
	v_cmp_gt_i32_e64 s1, s15, v127
	v_cndmask_b32_sdwa v53, v120, v53, vcc_lo dst_sel:DWORD dst_unused:UNUSED_PAD src0_sel:DWORD src1_sel:WORD_1
	v_cndmask_b32_e64 v58, 0, v54, s2
	v_cmp_gt_i32_e64 s2, s15, v125
	s_mov_b32 vcc_lo, s1
	v_cmp_gt_i32_e64 s1, s15, v123
	v_cndmask_b32_sdwa v54, v120, v54, vcc_lo dst_sel:DWORD dst_unused:UNUSED_PAD src0_sel:DWORD src1_sel:WORD_1
	v_cmp_gt_i32_e32 vcc_lo, s27, v124
	v_perm_b32 v53, v53, v57, 0x5040100
	v_perm_b32 v54, v54, v58, 0x5040100
	v_cndmask_b32_e32 v59, 0, v55, vcc_lo
	s_mov_b32 vcc_lo, s2
	v_cndmask_b32_sdwa v55, v120, v55, vcc_lo dst_sel:DWORD dst_unused:UNUSED_PAD src0_sel:DWORD src1_sel:WORD_1
	v_cmp_gt_i32_e32 vcc_lo, s27, v122
	v_perm_b32 v55, v55, v59, 0x5040100
	v_cndmask_b32_e32 v60, 0, v56, vcc_lo
	s_mov_b32 vcc_lo, s1
	v_cndmask_b32_sdwa v56, v120, v56, vcc_lo dst_sel:DWORD dst_unused:UNUSED_PAD src0_sel:DWORD src1_sel:WORD_1
	v_perm_b32 v56, v56, v60, 0x5040100
	s_or_b32 exec_lo, exec_lo, s18
	global_load_dwordx4 v[57:60], v[19:20], off offset:512
	s_and_saveexec_b32 s18, s0
	s_cbranch_execz .LBB178_56
.LBB178_78:                             ;   in Loop: Header=BB178_38 Depth=1
	v_cmp_gt_i32_e64 s1, s27, v113
	v_cmp_gt_i32_e32 vcc_lo, s15, v108
	v_cmp_gt_i32_e64 s2, s27, v126
	s_waitcnt vmcnt(0)
	v_cndmask_b32_e64 v61, 0, v57, s1
	v_cmp_gt_i32_e64 s1, s15, v127
	v_cndmask_b32_sdwa v57, v120, v57, vcc_lo dst_sel:DWORD dst_unused:UNUSED_PAD src0_sel:DWORD src1_sel:WORD_1
	v_cndmask_b32_e64 v62, 0, v58, s2
	v_cmp_gt_i32_e64 s2, s15, v125
	s_mov_b32 vcc_lo, s1
	v_cmp_gt_i32_e64 s1, s15, v123
	v_cndmask_b32_sdwa v58, v120, v58, vcc_lo dst_sel:DWORD dst_unused:UNUSED_PAD src0_sel:DWORD src1_sel:WORD_1
	v_cmp_gt_i32_e32 vcc_lo, s27, v124
	v_perm_b32 v57, v57, v61, 0x5040100
	v_perm_b32 v58, v58, v62, 0x5040100
	v_cndmask_b32_e32 v63, 0, v59, vcc_lo
	s_mov_b32 vcc_lo, s2
	v_cndmask_b32_sdwa v59, v120, v59, vcc_lo dst_sel:DWORD dst_unused:UNUSED_PAD src0_sel:DWORD src1_sel:WORD_1
	v_cmp_gt_i32_e32 vcc_lo, s27, v122
	v_perm_b32 v59, v59, v63, 0x5040100
	v_cndmask_b32_e32 v64, 0, v60, vcc_lo
	s_mov_b32 vcc_lo, s1
	v_cndmask_b32_sdwa v60, v120, v60, vcc_lo dst_sel:DWORD dst_unused:UNUSED_PAD src0_sel:DWORD src1_sel:WORD_1
	v_perm_b32 v60, v60, v64, 0x5040100
	s_or_b32 exec_lo, exec_lo, s18
	global_load_dwordx4 v[61:64], v[19:20], off offset:1024
	s_and_saveexec_b32 s18, s0
	s_cbranch_execz .LBB178_57
.LBB178_79:                             ;   in Loop: Header=BB178_38 Depth=1
	v_cmp_gt_i32_e64 s1, s27, v113
	v_cmp_gt_i32_e32 vcc_lo, s15, v108
	v_cmp_gt_i32_e64 s2, s27, v126
	s_waitcnt vmcnt(0)
	v_cndmask_b32_e64 v65, 0, v61, s1
	v_cmp_gt_i32_e64 s1, s15, v127
	v_cndmask_b32_sdwa v61, v120, v61, vcc_lo dst_sel:DWORD dst_unused:UNUSED_PAD src0_sel:DWORD src1_sel:WORD_1
	v_cndmask_b32_e64 v66, 0, v62, s2
	v_cmp_gt_i32_e64 s2, s15, v125
	s_mov_b32 vcc_lo, s1
	v_cmp_gt_i32_e64 s1, s15, v123
	v_cndmask_b32_sdwa v62, v120, v62, vcc_lo dst_sel:DWORD dst_unused:UNUSED_PAD src0_sel:DWORD src1_sel:WORD_1
	v_cmp_gt_i32_e32 vcc_lo, s27, v124
	v_perm_b32 v61, v61, v65, 0x5040100
	v_perm_b32 v62, v62, v66, 0x5040100
	v_cndmask_b32_e32 v67, 0, v63, vcc_lo
	s_mov_b32 vcc_lo, s2
	v_cndmask_b32_sdwa v63, v120, v63, vcc_lo dst_sel:DWORD dst_unused:UNUSED_PAD src0_sel:DWORD src1_sel:WORD_1
	v_cmp_gt_i32_e32 vcc_lo, s27, v122
	v_perm_b32 v63, v63, v67, 0x5040100
	v_cndmask_b32_e32 v68, 0, v64, vcc_lo
	s_mov_b32 vcc_lo, s1
	v_cndmask_b32_sdwa v64, v120, v64, vcc_lo dst_sel:DWORD dst_unused:UNUSED_PAD src0_sel:DWORD src1_sel:WORD_1
	v_perm_b32 v64, v64, v68, 0x5040100
	s_or_b32 exec_lo, exec_lo, s18
	global_load_dwordx4 v[65:68], v[19:20], off offset:1536
	s_and_saveexec_b32 s18, s0
	s_cbranch_execnz .LBB178_58
	s_branch .LBB178_59
.LBB178_80:                             ;   in Loop: Header=BB178_38 Depth=1
	v_cmp_gt_i32_e64 s1, s27, v113
	v_cmp_gt_i32_e32 vcc_lo, s15, v108
	s_waitcnt vmcnt(0)
	v_cndmask_b32_sdwa v73, v120, v69, vcc_lo dst_sel:DWORD dst_unused:UNUSED_PAD src0_sel:DWORD src1_sel:WORD_1
	v_cndmask_b32_e64 v69, 0, v69, s1
	v_cmp_gt_i32_e32 vcc_lo, s15, v127
	v_cmp_gt_i32_e64 s1, s27, v126
	v_perm_b32 v69, v73, v69, 0x5040100
	v_cndmask_b32_e64 v73, 0, v70, s1
	v_cndmask_b32_sdwa v70, v120, v70, vcc_lo dst_sel:DWORD dst_unused:UNUSED_PAD src0_sel:DWORD src1_sel:WORD_1
	v_cmp_gt_i32_e32 vcc_lo, s15, v125
	v_cmp_gt_i32_e64 s1, s27, v124
	v_perm_b32 v70, v70, v73, 0x5040100
	v_cndmask_b32_e64 v73, 0, v71, s1
	v_cndmask_b32_sdwa v71, v120, v71, vcc_lo dst_sel:DWORD dst_unused:UNUSED_PAD src0_sel:DWORD src1_sel:WORD_1
	;; [unrolled: 5-line block ×3, first 2 shown]
	v_perm_b32 v72, v72, v73, 0x5040100
	s_or_b32 exec_lo, exec_lo, s2
	global_load_dwordx4 v[73:76], v[19:20], off offset:512
	s_and_saveexec_b32 s2, s0
	s_cbranch_execz .LBB178_61
.LBB178_81:                             ;   in Loop: Header=BB178_38 Depth=1
	v_cmp_gt_i32_e64 s1, s27, v113
	v_cmp_gt_i32_e32 vcc_lo, s15, v108
	s_waitcnt vmcnt(0)
	v_cndmask_b32_sdwa v77, v120, v73, vcc_lo dst_sel:DWORD dst_unused:UNUSED_PAD src0_sel:DWORD src1_sel:WORD_1
	v_cndmask_b32_e64 v73, 0, v73, s1
	v_cmp_gt_i32_e32 vcc_lo, s15, v127
	v_cmp_gt_i32_e64 s1, s27, v126
	v_perm_b32 v73, v77, v73, 0x5040100
	v_cndmask_b32_e64 v77, 0, v74, s1
	v_cndmask_b32_sdwa v74, v120, v74, vcc_lo dst_sel:DWORD dst_unused:UNUSED_PAD src0_sel:DWORD src1_sel:WORD_1
	v_cmp_gt_i32_e32 vcc_lo, s15, v125
	v_cmp_gt_i32_e64 s1, s27, v124
	v_perm_b32 v74, v74, v77, 0x5040100
	v_cndmask_b32_e64 v77, 0, v75, s1
	v_cndmask_b32_sdwa v75, v120, v75, vcc_lo dst_sel:DWORD dst_unused:UNUSED_PAD src0_sel:DWORD src1_sel:WORD_1
	v_cmp_gt_i32_e32 vcc_lo, s15, v123
	v_cmp_gt_i32_e64 s1, s27, v122
	v_perm_b32 v75, v75, v77, 0x5040100
	v_cndmask_b32_e64 v77, 0, v76, s1
	v_cndmask_b32_sdwa v76, v120, v76, vcc_lo dst_sel:DWORD dst_unused:UNUSED_PAD src0_sel:DWORD src1_sel:WORD_1
	v_perm_b32 v76, v76, v77, 0x5040100
	s_or_b32 exec_lo, exec_lo, s2
	global_load_dwordx4 v[77:80], v[19:20], off offset:1024
	s_and_saveexec_b32 s2, s0
	s_cbranch_execz .LBB178_62
.LBB178_82:                             ;   in Loop: Header=BB178_38 Depth=1
	v_cmp_gt_i32_e64 s1, s27, v113
	v_cmp_gt_i32_e32 vcc_lo, s15, v108
	s_waitcnt vmcnt(0)
	v_cndmask_b32_sdwa v89, v120, v77, vcc_lo dst_sel:DWORD dst_unused:UNUSED_PAD src0_sel:DWORD src1_sel:WORD_1
	v_cndmask_b32_e64 v77, 0, v77, s1
	v_cmp_gt_i32_e32 vcc_lo, s15, v127
	v_cmp_gt_i32_e64 s1, s27, v126
	v_perm_b32 v77, v89, v77, 0x5040100
	v_cndmask_b32_e64 v89, 0, v78, s1
	v_cndmask_b32_sdwa v78, v120, v78, vcc_lo dst_sel:DWORD dst_unused:UNUSED_PAD src0_sel:DWORD src1_sel:WORD_1
	v_cmp_gt_i32_e32 vcc_lo, s15, v125
	v_cmp_gt_i32_e64 s1, s27, v124
	v_perm_b32 v78, v78, v89, 0x5040100
	v_cndmask_b32_e64 v89, 0, v79, s1
	v_cndmask_b32_sdwa v79, v120, v79, vcc_lo dst_sel:DWORD dst_unused:UNUSED_PAD src0_sel:DWORD src1_sel:WORD_1
	;; [unrolled: 5-line block ×3, first 2 shown]
	v_perm_b32 v80, v80, v89, 0x5040100
	s_or_b32 exec_lo, exec_lo, s2
	global_load_dwordx4 v[89:92], v[19:20], off offset:1536
	s_and_saveexec_b32 s2, s0
	s_cbranch_execnz .LBB178_63
	s_branch .LBB178_64
.LBB178_83:                             ;   in Loop: Header=BB178_38 Depth=1
	v_cmp_gt_i32_e64 s1, s27, v113
	v_cmp_gt_i32_e32 vcc_lo, s15, v108
	s_waitcnt vmcnt(0)
	v_cndmask_b32_e64 v20, 0, v93, s1
	v_cndmask_b32_sdwa v19, v120, v93, vcc_lo dst_sel:DWORD dst_unused:UNUSED_PAD src0_sel:DWORD src1_sel:WORD_1
	v_cmp_gt_i32_e32 vcc_lo, s15, v127
	v_cmp_gt_i32_e64 s1, s27, v126
	v_perm_b32 v93, v19, v20, 0x5040100
	v_cndmask_b32_sdwa v20, v120, v94, vcc_lo dst_sel:DWORD dst_unused:UNUSED_PAD src0_sel:DWORD src1_sel:WORD_1
	v_cndmask_b32_e64 v19, 0, v94, s1
	v_cmp_gt_i32_e32 vcc_lo, s15, v125
	v_cmp_gt_i32_e64 s1, s27, v124
	v_perm_b32 v94, v20, v19, 0x5040100
	v_cndmask_b32_sdwa v20, v120, v95, vcc_lo dst_sel:DWORD dst_unused:UNUSED_PAD src0_sel:DWORD src1_sel:WORD_1
	v_cndmask_b32_e64 v19, 0, v95, s1
	;; [unrolled: 5-line block ×3, first 2 shown]
	v_perm_b32 v96, v20, v19, 0x5040100
	s_or_b32 exec_lo, exec_lo, s2
	global_load_dwordx4 v[97:100], v[17:18], off offset:512
	s_and_saveexec_b32 s2, s0
	s_cbranch_execz .LBB178_66
.LBB178_84:                             ;   in Loop: Header=BB178_38 Depth=1
	v_cmp_gt_i32_e64 s1, s27, v113
	v_cmp_gt_i32_e32 vcc_lo, s15, v108
	s_waitcnt vmcnt(0)
	v_cndmask_b32_e64 v20, 0, v97, s1
	v_cndmask_b32_sdwa v19, v120, v97, vcc_lo dst_sel:DWORD dst_unused:UNUSED_PAD src0_sel:DWORD src1_sel:WORD_1
	v_cmp_gt_i32_e32 vcc_lo, s15, v127
	v_cmp_gt_i32_e64 s1, s27, v126
	v_perm_b32 v97, v19, v20, 0x5040100
	v_cndmask_b32_sdwa v20, v120, v98, vcc_lo dst_sel:DWORD dst_unused:UNUSED_PAD src0_sel:DWORD src1_sel:WORD_1
	v_cndmask_b32_e64 v19, 0, v98, s1
	v_cmp_gt_i32_e32 vcc_lo, s15, v125
	v_cmp_gt_i32_e64 s1, s27, v124
	v_perm_b32 v98, v20, v19, 0x5040100
	v_cndmask_b32_sdwa v20, v120, v99, vcc_lo dst_sel:DWORD dst_unused:UNUSED_PAD src0_sel:DWORD src1_sel:WORD_1
	v_cndmask_b32_e64 v19, 0, v99, s1
	;; [unrolled: 5-line block ×3, first 2 shown]
	v_perm_b32 v100, v20, v19, 0x5040100
	s_or_b32 exec_lo, exec_lo, s2
	global_load_dwordx4 v[101:104], v[17:18], off offset:1024
	s_and_saveexec_b32 s2, s0
	s_cbranch_execz .LBB178_67
.LBB178_85:                             ;   in Loop: Header=BB178_38 Depth=1
	v_cmp_gt_i32_e64 s1, s27, v113
	v_cmp_gt_i32_e32 vcc_lo, s15, v108
	s_waitcnt vmcnt(0)
	v_cndmask_b32_e64 v20, 0, v101, s1
	v_cndmask_b32_sdwa v19, v120, v101, vcc_lo dst_sel:DWORD dst_unused:UNUSED_PAD src0_sel:DWORD src1_sel:WORD_1
	v_cmp_gt_i32_e32 vcc_lo, s15, v127
	v_cmp_gt_i32_e64 s1, s27, v126
	v_perm_b32 v101, v19, v20, 0x5040100
	v_cndmask_b32_sdwa v20, v120, v102, vcc_lo dst_sel:DWORD dst_unused:UNUSED_PAD src0_sel:DWORD src1_sel:WORD_1
	v_cndmask_b32_e64 v19, 0, v102, s1
	v_cmp_gt_i32_e32 vcc_lo, s15, v125
	v_cmp_gt_i32_e64 s1, s27, v124
	v_perm_b32 v102, v20, v19, 0x5040100
	v_cndmask_b32_sdwa v20, v120, v103, vcc_lo dst_sel:DWORD dst_unused:UNUSED_PAD src0_sel:DWORD src1_sel:WORD_1
	v_cndmask_b32_e64 v19, 0, v103, s1
	;; [unrolled: 5-line block ×3, first 2 shown]
	v_perm_b32 v104, v20, v19, 0x5040100
	s_or_b32 exec_lo, exec_lo, s2
	global_load_dwordx4 v[17:20], v[17:18], off offset:1536
	s_and_saveexec_b32 s1, s0
	s_cbranch_execz .LBB178_36
.LBB178_86:                             ;   in Loop: Header=BB178_38 Depth=1
	v_cmp_gt_i32_e64 s0, s27, v113
	v_cmp_gt_i32_e32 vcc_lo, s15, v108
	s_waitcnt vmcnt(0)
	v_cndmask_b32_sdwa v108, v120, v17, vcc_lo dst_sel:DWORD dst_unused:UNUSED_PAD src0_sel:DWORD src1_sel:WORD_1
	v_cndmask_b32_e64 v17, 0, v17, s0
	v_cmp_gt_i32_e32 vcc_lo, s15, v127
	v_cmp_gt_i32_e64 s0, s27, v126
	v_perm_b32 v17, v108, v17, 0x5040100
	v_cndmask_b32_e64 v108, 0, v18, s0
	v_cndmask_b32_sdwa v18, v120, v18, vcc_lo dst_sel:DWORD dst_unused:UNUSED_PAD src0_sel:DWORD src1_sel:WORD_1
	v_cmp_gt_i32_e32 vcc_lo, s15, v125
	v_cmp_gt_i32_e64 s0, s27, v124
	v_perm_b32 v18, v18, v108, 0x5040100
	v_cndmask_b32_e64 v108, 0, v19, s0
	v_cndmask_b32_sdwa v19, v120, v19, vcc_lo dst_sel:DWORD dst_unused:UNUSED_PAD src0_sel:DWORD src1_sel:WORD_1
	;; [unrolled: 5-line block ×3, first 2 shown]
	v_perm_b32 v20, v20, v108, 0x5040100
	s_branch .LBB178_36
.LBB178_87:
	s_or_b32 exec_lo, exec_lo, s14
	s_clause 0x4
	buffer_load_dword v51, off, s[48:51], 0 offset:580
	buffer_load_dword v52, off, s[48:51], 0 offset:584
	;; [unrolled: 1-line block ×5, first 2 shown]
.LBB178_88:
	s_or_b32 exec_lo, exec_lo, s3
	s_waitcnt vmcnt(0)
	ds_bpermute_b32 v1, v33, v21
	ds_bpermute_b32 v4, v33, v23
	;; [unrolled: 1-line block ×19, first 2 shown]
	s_mov_b32 s0, exec_lo
	s_waitcnt lgkmcnt(18)
	v_add_f32_e32 v1, v21, v1
	s_waitcnt lgkmcnt(17)
	v_add_f32_e32 v4, v23, v4
	s_waitcnt lgkmcnt(16)
	v_add_f32_e32 v3, v15, v3
	s_waitcnt lgkmcnt(15)
	v_add_f32_e32 v2, v22, v2
	s_waitcnt lgkmcnt(14)
	v_add_f32_e32 v0, v0, v6
	ds_bpermute_b32 v15, v54, v1
	ds_bpermute_b32 v24, v54, v4
	s_waitcnt lgkmcnt(15)
	v_add_f32_e32 v6, v35, v7
	s_waitcnt lgkmcnt(14)
	v_add_f32_e32 v7, v39, v8
	;; [unrolled: 2-line block ×5, first 2 shown]
	ds_bpermute_b32 v18, v54, v2
	ds_bpermute_b32 v23, v54, v3
	ds_bpermute_b32 v21, v33, v117
	s_waitcnt lgkmcnt(10)
	v_add_f32_e32 v5, v27, v5
	ds_bpermute_b32 v32, v54, v10
	ds_bpermute_b32 v27, v54, v0
	s_waitcnt lgkmcnt(11)
	v_add_f32_e32 v25, v116, v25
	s_waitcnt lgkmcnt(10)
	v_add_f32_e32 v34, v111, v16
	ds_bpermute_b32 v11, v54, v5
	s_waitcnt lgkmcnt(10)
	v_add_f32_e32 v36, v119, v17
	s_waitcnt lgkmcnt(9)
	v_add_f32_e32 v38, v118, v20
	;; [unrolled: 2-line block ×3, first 2 shown]
	ds_bpermute_b32 v44, v54, v25
	s_waitcnt lgkmcnt(8)
	v_add_f32_e32 v22, v1, v15
	s_waitcnt lgkmcnt(7)
	v_add_f32_e32 v15, v4, v24
	v_add_f32_e32 v24, v112, v14
	;; [unrolled: 1-line block ×3, first 2 shown]
	ds_bpermute_b32 v13, v33, v48
	ds_bpermute_b32 v1, v33, v99
	;; [unrolled: 1-line block ×4, first 2 shown]
	s_waitcnt lgkmcnt(10)
	v_add_f32_e32 v19, v2, v18
	s_waitcnt lgkmcnt(9)
	v_add_f32_e32 v18, v3, v23
	v_add_f32_e32 v2, v55, v12
	ds_bpermute_b32 v3, v33, v114
	ds_bpermute_b32 v12, v33, v109
	s_waitcnt lgkmcnt(10)
	v_add_f32_e32 v40, v117, v21
	ds_bpermute_b32 v29, v54, v7
	ds_bpermute_b32 v30, v54, v8
	ds_bpermute_b32 v31, v54, v9
	ds_bpermute_b32 v33, v54, v2
	ds_bpermute_b32 v35, v54, v4
	ds_bpermute_b32 v39, v54, v34
	ds_bpermute_b32 v41, v54, v36
	ds_bpermute_b32 v42, v54, v38
	ds_bpermute_b32 v43, v54, v40
	s_waitcnt lgkmcnt(17)
	v_add_f32_e32 v21, v0, v27
	s_waitcnt lgkmcnt(14)
	v_add_f32_e32 v48, v48, v13
	v_add_f32_e32 v13, v10, v32
	s_waitcnt lgkmcnt(13)
	v_add_f32_e32 v1, v99, v1
	s_waitcnt lgkmcnt(11)
	v_add_f32_e32 v10, v24, v37
	buffer_load_dword v24, off, s[48:51], 0 offset:60 ; 4-byte Folded Reload
	ds_bpermute_b32 v27, v54, v48
	v_add_f32_e32 v23, v5, v11
	s_waitcnt lgkmcnt(11)
	v_add_f32_e32 v45, v114, v3
	s_waitcnt lgkmcnt(10)
	v_add_f32_e32 v46, v109, v12
	ds_bpermute_b32 v3, v54, v26
	ds_bpermute_b32 v47, v54, v1
	v_add_f32_e32 v5, v25, v44
	ds_bpermute_b32 v49, v54, v45
	ds_bpermute_b32 v50, v54, v46
	v_add_f32_e32 v20, v6, v28
	s_waitcnt lgkmcnt(13)
	v_add_f32_e32 v17, v7, v29
	s_waitcnt lgkmcnt(12)
	;; [unrolled: 2-line block ×9, first 2 shown]
	v_add_f32_e32 v6, v40, v43
	v_and_b32_e32 v28, 0x3c3, v51
	s_waitcnt lgkmcnt(4)
	v_add_f32_e32 v2, v48, v27
	s_waitcnt vmcnt(0) lgkmcnt(0)
	s_waitcnt_vscnt null, 0x0
	s_barrier
	buffer_gl0_inv
	v_add_f32_e32 v4, v26, v3
	v_add_f32_e32 v3, v1, v47
	v_mul_u32_u24_e32 v26, 0x300, v52
	v_add_f32_e32 v0, v45, v49
	v_add_f32_e32 v1, v46, v50
	v_and_b32_e32 v25, 28, v24
	v_lshrrev_b32_e32 v24, 2, v24
	v_add_nc_u32_e32 v25, 0x1a0, v25
	v_cmpx_eq_u32_e32 64, v28
	s_cbranch_execz .LBB178_90
; %bb.89:
	v_add_nc_u32_e32 v27, v25, v26
	v_add_nc_u32_e32 v28, 0xfffffa00, v27
	;; [unrolled: 1-line block ×7, first 2 shown]
	ds_write_b32 v28, v22
	ds_write_b32 v29, v19
	;; [unrolled: 1-line block ×4, first 2 shown]
	v_add_nc_u32_e32 v28, 0xfffffac0, v27
	v_add_nc_u32_e32 v29, 0xfffffae0, v27
	v_add_nc_u32_e32 v30, 0xfffffb00, v27
	ds_write_b32 v32, v23
	ds_write_b32 v33, v21
	ds_write_b32 v28, v20
	ds_write_b32 v29, v17
	ds_write_b32 v30, v16
	v_add_nc_u32_e32 v28, 0xfffffb20, v27
	v_add_nc_u32_e32 v29, 0xfffffb40, v27
	v_add_nc_u32_e32 v30, 0xfffffb60, v27
	v_add_nc_u32_e32 v31, 0xfffffb80, v27
	v_add_nc_u32_e32 v32, 0xfffffba0, v27
	ds_write_b32 v28, v14
	ds_write_b32 v29, v13
	ds_write_b32 v30, v12
	ds_write_b32 v31, v11
	ds_write_b32 v32, v10
	v_add_nc_u32_e32 v28, 0xfffffbc0, v27
	v_add_nc_u32_e32 v29, 0xfffffbe0, v27
	;; [unrolled: 10-line block ×3, first 2 shown]
	v_add_nc_u32_e32 v30, 0xfffffca0, v27
	v_add_nc_u32_e32 v31, 0xfffffcc0, v27
	;; [unrolled: 1-line block ×3, first 2 shown]
	ds_write_b32 v28, v4
	ds_write_b32 v29, v3
	;; [unrolled: 1-line block ×5, first 2 shown]
.LBB178_90:
	s_or_b32 exec_lo, exec_lo, s0
	v_lshlrev_b32_e32 v24, 2, v24
	s_mov_b32 s1, exec_lo
	v_cmp_eq_u32_e32 vcc_lo, 0, v53
	s_waitcnt lgkmcnt(0)
	s_barrier
	v_add3_u32 v24, 0x1a0, v26, v24
	buffer_gl0_inv
	v_cmpx_gt_u32_e32 64, v51
	s_cbranch_execz .LBB178_117
; %bb.91:
	s_and_saveexec_b32 s0, vcc_lo
	s_cbranch_execnz .LBB178_149
; %bb.92:
	s_or_b32 exec_lo, exec_lo, s0
	s_and_saveexec_b32 s0, vcc_lo
	s_cbranch_execnz .LBB178_150
.LBB178_93:
	s_or_b32 exec_lo, exec_lo, s0
	s_and_saveexec_b32 s0, vcc_lo
	s_cbranch_execnz .LBB178_151
.LBB178_94:
	s_or_b32 exec_lo, exec_lo, s0
	s_and_saveexec_b32 s0, vcc_lo
	s_cbranch_execnz .LBB178_152
.LBB178_95:
	s_or_b32 exec_lo, exec_lo, s0
	s_and_saveexec_b32 s0, vcc_lo
	s_cbranch_execnz .LBB178_153
.LBB178_96:
	s_or_b32 exec_lo, exec_lo, s0
	s_and_saveexec_b32 s0, vcc_lo
	s_cbranch_execnz .LBB178_154
.LBB178_97:
	s_or_b32 exec_lo, exec_lo, s0
	s_and_saveexec_b32 s0, vcc_lo
	s_cbranch_execnz .LBB178_155
.LBB178_98:
	s_or_b32 exec_lo, exec_lo, s0
	s_and_saveexec_b32 s0, vcc_lo
	s_cbranch_execnz .LBB178_156
.LBB178_99:
	s_or_b32 exec_lo, exec_lo, s0
	s_and_saveexec_b32 s0, vcc_lo
	s_cbranch_execnz .LBB178_157
.LBB178_100:
	s_or_b32 exec_lo, exec_lo, s0
	s_and_saveexec_b32 s0, vcc_lo
	s_cbranch_execnz .LBB178_158
.LBB178_101:
	s_or_b32 exec_lo, exec_lo, s0
	s_and_saveexec_b32 s0, vcc_lo
	s_cbranch_execnz .LBB178_159
.LBB178_102:
	s_or_b32 exec_lo, exec_lo, s0
	s_and_saveexec_b32 s0, vcc_lo
	s_cbranch_execnz .LBB178_160
.LBB178_103:
	s_or_b32 exec_lo, exec_lo, s0
	s_and_saveexec_b32 s0, vcc_lo
	s_cbranch_execnz .LBB178_161
.LBB178_104:
	s_or_b32 exec_lo, exec_lo, s0
	s_and_saveexec_b32 s0, vcc_lo
	s_cbranch_execnz .LBB178_162
.LBB178_105:
	s_or_b32 exec_lo, exec_lo, s0
	s_and_saveexec_b32 s0, vcc_lo
	s_cbranch_execnz .LBB178_163
.LBB178_106:
	s_or_b32 exec_lo, exec_lo, s0
	s_and_saveexec_b32 s0, vcc_lo
	s_cbranch_execnz .LBB178_164
.LBB178_107:
	s_or_b32 exec_lo, exec_lo, s0
	s_and_saveexec_b32 s0, vcc_lo
	s_cbranch_execnz .LBB178_165
.LBB178_108:
	s_or_b32 exec_lo, exec_lo, s0
	s_and_saveexec_b32 s0, vcc_lo
	s_cbranch_execnz .LBB178_166
.LBB178_109:
	s_or_b32 exec_lo, exec_lo, s0
	s_and_saveexec_b32 s0, vcc_lo
	s_cbranch_execnz .LBB178_167
.LBB178_110:
	s_or_b32 exec_lo, exec_lo, s0
	s_and_saveexec_b32 s0, vcc_lo
	s_cbranch_execnz .LBB178_168
.LBB178_111:
	s_or_b32 exec_lo, exec_lo, s0
	s_and_saveexec_b32 s0, vcc_lo
	s_cbranch_execnz .LBB178_169
.LBB178_112:
	s_or_b32 exec_lo, exec_lo, s0
	s_and_saveexec_b32 s0, vcc_lo
	s_cbranch_execnz .LBB178_170
.LBB178_113:
	s_or_b32 exec_lo, exec_lo, s0
	s_and_saveexec_b32 s0, vcc_lo
	s_cbranch_execnz .LBB178_171
.LBB178_114:
	s_or_b32 exec_lo, exec_lo, s0
	s_and_saveexec_b32 s0, vcc_lo
	s_cbranch_execz .LBB178_116
.LBB178_115:
	ds_read_b32 v26, v24 offset:736
	s_waitcnt lgkmcnt(0)
	v_add_f32_e32 v2, v2, v26
.LBB178_116:
	s_or_b32 exec_lo, exec_lo, s0
.LBB178_117:
	s_or_b32 exec_lo, exec_lo, s1
	v_and_b32_e32 v26, 0x3e3, v51
	s_mov_b32 s1, exec_lo
	s_barrier
	buffer_gl0_inv
	v_cmpx_eq_u32_e32 32, v26
	s_cbranch_execz .LBB178_119
; %bb.118:
	ds_write2_b32 v25, v22, v19 offset1:8
	ds_write2_b32 v25, v18, v15 offset0:16 offset1:24
	ds_write2_b32 v25, v23, v21 offset0:32 offset1:40
	;; [unrolled: 1-line block ×11, first 2 shown]
.LBB178_119:
	s_or_b32 exec_lo, exec_lo, s1
	s_mov_b32 s1, exec_lo
	s_waitcnt lgkmcnt(0)
	s_barrier
	buffer_gl0_inv
	v_cmpx_gt_u32_e32 32, v51
	s_cbranch_execz .LBB178_146
; %bb.120:
	s_and_saveexec_b32 s0, vcc_lo
	s_cbranch_execnz .LBB178_172
; %bb.121:
	s_or_b32 exec_lo, exec_lo, s0
	s_and_saveexec_b32 s0, vcc_lo
	s_cbranch_execnz .LBB178_173
.LBB178_122:
	s_or_b32 exec_lo, exec_lo, s0
	s_and_saveexec_b32 s0, vcc_lo
	s_cbranch_execnz .LBB178_174
.LBB178_123:
	s_or_b32 exec_lo, exec_lo, s0
	s_and_saveexec_b32 s0, vcc_lo
	s_cbranch_execnz .LBB178_175
.LBB178_124:
	s_or_b32 exec_lo, exec_lo, s0
	s_and_saveexec_b32 s0, vcc_lo
	s_cbranch_execnz .LBB178_176
.LBB178_125:
	s_or_b32 exec_lo, exec_lo, s0
	s_and_saveexec_b32 s0, vcc_lo
	s_cbranch_execnz .LBB178_177
.LBB178_126:
	s_or_b32 exec_lo, exec_lo, s0
	s_and_saveexec_b32 s0, vcc_lo
	s_cbranch_execnz .LBB178_178
.LBB178_127:
	s_or_b32 exec_lo, exec_lo, s0
	s_and_saveexec_b32 s0, vcc_lo
	s_cbranch_execnz .LBB178_179
.LBB178_128:
	s_or_b32 exec_lo, exec_lo, s0
	s_and_saveexec_b32 s0, vcc_lo
	s_cbranch_execnz .LBB178_180
.LBB178_129:
	s_or_b32 exec_lo, exec_lo, s0
	s_and_saveexec_b32 s0, vcc_lo
	s_cbranch_execnz .LBB178_181
.LBB178_130:
	s_or_b32 exec_lo, exec_lo, s0
	s_and_saveexec_b32 s0, vcc_lo
	s_cbranch_execnz .LBB178_182
.LBB178_131:
	s_or_b32 exec_lo, exec_lo, s0
	s_and_saveexec_b32 s0, vcc_lo
	s_cbranch_execnz .LBB178_183
.LBB178_132:
	s_or_b32 exec_lo, exec_lo, s0
	s_and_saveexec_b32 s0, vcc_lo
	s_cbranch_execnz .LBB178_184
.LBB178_133:
	s_or_b32 exec_lo, exec_lo, s0
	s_and_saveexec_b32 s0, vcc_lo
	s_cbranch_execnz .LBB178_185
.LBB178_134:
	s_or_b32 exec_lo, exec_lo, s0
	s_and_saveexec_b32 s0, vcc_lo
	s_cbranch_execnz .LBB178_186
.LBB178_135:
	s_or_b32 exec_lo, exec_lo, s0
	s_and_saveexec_b32 s0, vcc_lo
	s_cbranch_execnz .LBB178_187
.LBB178_136:
	s_or_b32 exec_lo, exec_lo, s0
	s_and_saveexec_b32 s0, vcc_lo
	s_cbranch_execnz .LBB178_188
.LBB178_137:
	s_or_b32 exec_lo, exec_lo, s0
	s_and_saveexec_b32 s0, vcc_lo
	s_cbranch_execnz .LBB178_189
.LBB178_138:
	s_or_b32 exec_lo, exec_lo, s0
	s_and_saveexec_b32 s0, vcc_lo
	s_cbranch_execnz .LBB178_190
.LBB178_139:
	s_or_b32 exec_lo, exec_lo, s0
	s_and_saveexec_b32 s0, vcc_lo
	s_cbranch_execnz .LBB178_191
.LBB178_140:
	s_or_b32 exec_lo, exec_lo, s0
	s_and_saveexec_b32 s0, vcc_lo
	s_cbranch_execnz .LBB178_192
.LBB178_141:
	s_or_b32 exec_lo, exec_lo, s0
	s_and_saveexec_b32 s0, vcc_lo
	s_cbranch_execnz .LBB178_193
.LBB178_142:
	s_or_b32 exec_lo, exec_lo, s0
	s_and_saveexec_b32 s0, vcc_lo
	s_cbranch_execnz .LBB178_194
.LBB178_143:
	s_or_b32 exec_lo, exec_lo, s0
	s_and_saveexec_b32 s0, vcc_lo
	s_cbranch_execz .LBB178_145
.LBB178_144:
	ds_read_b32 v24, v24 offset:736
	s_waitcnt lgkmcnt(0)
	v_add_f32_e32 v2, v2, v24
.LBB178_145:
	s_or_b32 exec_lo, exec_lo, s0
.LBB178_146:
	s_or_b32 exec_lo, exec_lo, s1
	s_barrier
	buffer_gl0_inv
	s_mov_b32 s0, exec_lo
	v_cmpx_eq_u32_e32 0, v26
	s_cbranch_execz .LBB178_148
; %bb.147:
	s_mul_i32 s0, s4, 0xc0
	v_bfe_u32 v24, v22, 16, 1
	s_ashr_i32 s1, s0, 31
	s_mul_i32 s2, s7, s10
	s_lshl_b64 s[0:1], s[0:1], 1
	v_or_b32_e32 v25, 0x400000, v22
	s_add_u32 s4, s24, s0
	s_addc_u32 s1, s25, s1
	s_ashr_i32 s3, s2, 31
	v_add3_u32 v24, v24, v22, 0x7fff
	s_lshl_b64 s[2:3], s[2:3], 1
	v_bfe_u32 v27, v19, 16, 1
	v_cmp_u_f32_e32 vcc_lo, v22, v22
	s_mul_i32 s0, s8, 0xc0
	s_add_u32 s2, s4, s2
	s_addc_u32 s3, s1, s3
	s_ashr_i32 s1, s0, 31
	v_lshrrev_b32_e32 v26, 1, v51
	s_lshl_b64 s[0:1], s[0:1], 1
	v_cndmask_b32_e32 v22, v24, v25, vcc_lo
	v_bfe_u32 v24, v18, 16, 1
	v_add3_u32 v25, v27, v19, 0x7fff
	v_or_b32_e32 v27, 0x400000, v19
	v_cmp_u_f32_e32 vcc_lo, v19, v19
	s_add_u32 s0, s2, s0
	s_addc_u32 s1, s3, s1
	global_store_short_d16_hi v26, v22, s[0:1]
	v_add3_u32 v22, v24, v18, 0x7fff
	v_or_b32_e32 v24, 0x400000, v18
	v_cndmask_b32_e32 v19, v25, v27, vcc_lo
	v_bfe_u32 v25, v15, 16, 1
	v_cmp_u_f32_e32 vcc_lo, v18, v18
	global_store_short_d16_hi v26, v19, s[0:1] offset:16
	v_add3_u32 v19, v25, v15, 0x7fff
	v_cndmask_b32_e32 v18, v22, v24, vcc_lo
	v_bfe_u32 v22, v23, 16, 1
	v_or_b32_e32 v24, 0x400000, v15
	v_cmp_u_f32_e32 vcc_lo, v15, v15
	global_store_short_d16_hi v26, v18, s[0:1] offset:32
	v_add3_u32 v18, v22, v23, 0x7fff
	v_or_b32_e32 v22, 0x400000, v23
	v_cndmask_b32_e32 v15, v19, v24, vcc_lo
	v_bfe_u32 v19, v21, 16, 1
	v_cmp_u_f32_e32 vcc_lo, v23, v23
	global_store_short_d16_hi v26, v15, s[0:1] offset:48
	v_add3_u32 v15, v19, v21, 0x7fff
	v_cndmask_b32_e32 v18, v18, v22, vcc_lo
	v_bfe_u32 v22, v20, 16, 1
	v_or_b32_e32 v19, 0x400000, v21
	v_cmp_u_f32_e32 vcc_lo, v21, v21
	global_store_short_d16_hi v26, v18, s[0:1] offset:64
	v_add3_u32 v18, v22, v20, 0x7fff
	v_or_b32_e32 v22, 0x400000, v20
	v_cndmask_b32_e32 v15, v15, v19, vcc_lo
	v_bfe_u32 v19, v17, 16, 1
	v_cmp_u_f32_e32 vcc_lo, v20, v20
	v_bfe_u32 v20, v16, 16, 1
	global_store_short_d16_hi v26, v15, s[0:1] offset:80
	v_add3_u32 v15, v19, v17, 0x7fff
	v_cndmask_b32_e32 v18, v18, v22, vcc_lo
	v_or_b32_e32 v19, 0x400000, v17
	v_cmp_u_f32_e32 vcc_lo, v17, v17
	v_bfe_u32 v17, v14, 16, 1
	global_store_short_d16_hi v26, v18, s[0:1] offset:96
	v_add3_u32 v18, v20, v16, 0x7fff
	v_or_b32_e32 v20, 0x400000, v16
	v_cndmask_b32_e32 v15, v15, v19, vcc_lo
	v_cmp_u_f32_e32 vcc_lo, v16, v16
	global_store_short_d16_hi v26, v15, s[0:1] offset:112
	v_cndmask_b32_e32 v16, v18, v20, vcc_lo
	v_bfe_u32 v18, v13, 16, 1
	v_add3_u32 v15, v17, v14, 0x7fff
	v_or_b32_e32 v17, 0x400000, v14
	v_cmp_u_f32_e32 vcc_lo, v14, v14
	global_store_short_d16_hi v26, v16, s[0:1] offset:128
	v_add3_u32 v16, v18, v13, 0x7fff
	v_or_b32_e32 v18, 0x400000, v13
	v_cndmask_b32_e32 v14, v15, v17, vcc_lo
	v_bfe_u32 v15, v12, 16, 1
	v_cmp_u_f32_e32 vcc_lo, v13, v13
	global_store_short_d16_hi v26, v14, s[0:1] offset:144
	v_add3_u32 v14, v15, v12, 0x7fff
	v_cndmask_b32_e32 v13, v16, v18, vcc_lo
	v_bfe_u32 v16, v11, 16, 1
	v_or_b32_e32 v15, 0x400000, v12
	v_cmp_u_f32_e32 vcc_lo, v12, v12
	global_store_short_d16_hi v26, v13, s[0:1] offset:160
	v_add3_u32 v13, v16, v11, 0x7fff
	v_or_b32_e32 v16, 0x400000, v11
	v_cndmask_b32_e32 v12, v14, v15, vcc_lo
	v_bfe_u32 v14, v10, 16, 1
	v_cmp_u_f32_e32 vcc_lo, v11, v11
	global_store_short_d16_hi v26, v12, s[0:1] offset:176
	v_add3_u32 v12, v14, v10, 0x7fff
	v_cndmask_b32_e32 v11, v13, v16, vcc_lo
	v_bfe_u32 v13, v9, 16, 1
	;; [unrolled: 12-line block ×4, first 2 shown]
	v_or_b32_e32 v10, 0x400000, v6
	v_cmp_u_f32_e32 vcc_lo, v6, v6
	global_store_short_d16_hi v26, v7, s[0:1] offset:256
	v_add3_u32 v7, v9, v5, 0x7fff
	v_or_b32_e32 v9, 0x400000, v5
	v_cndmask_b32_e32 v6, v8, v10, vcc_lo
	v_bfe_u32 v8, v4, 16, 1
	v_cmp_u_f32_e32 vcc_lo, v5, v5
	v_or_b32_e32 v10, 0x400000, v2
	global_store_short_d16_hi v26, v6, s[0:1] offset:272
	v_add3_u32 v6, v8, v4, 0x7fff
	v_cndmask_b32_e32 v5, v7, v9, vcc_lo
	v_bfe_u32 v7, v3, 16, 1
	v_or_b32_e32 v8, 0x400000, v4
	v_cmp_u_f32_e32 vcc_lo, v4, v4
	v_or_b32_e32 v9, 0x400000, v1
	global_store_short_d16_hi v26, v5, s[0:1] offset:288
	v_add3_u32 v5, v7, v3, 0x7fff
	v_or_b32_e32 v7, 0x400000, v3
	v_cndmask_b32_e32 v4, v6, v8, vcc_lo
	v_bfe_u32 v6, v0, 16, 1
	v_cmp_u_f32_e32 vcc_lo, v3, v3
	v_bfe_u32 v8, v1, 16, 1
	v_add3_u32 v6, v6, v0, 0x7fff
	v_cndmask_b32_e32 v3, v5, v7, vcc_lo
	v_or_b32_e32 v7, 0x400000, v0
	v_cmp_u_f32_e32 vcc_lo, v0, v0
	v_bfe_u32 v5, v2, 16, 1
	v_add3_u32 v8, v8, v1, 0x7fff
	v_cndmask_b32_e32 v0, v6, v7, vcc_lo
	v_cmp_u_f32_e32 vcc_lo, v1, v1
	v_add3_u32 v5, v5, v2, 0x7fff
	v_cndmask_b32_e32 v1, v8, v9, vcc_lo
	v_cmp_u_f32_e32 vcc_lo, v2, v2
	v_cndmask_b32_e32 v2, v5, v10, vcc_lo
	global_store_short_d16_hi v26, v4, s[0:1] offset:304
	global_store_short_d16_hi v26, v3, s[0:1] offset:320
	;; [unrolled: 1-line block ×5, first 2 shown]
.LBB178_148:
	s_endpgm
.LBB178_149:
	ds_read_b32 v26, v24
	s_waitcnt lgkmcnt(0)
	v_add_f32_e32 v22, v22, v26
	s_or_b32 exec_lo, exec_lo, s0
	s_and_saveexec_b32 s0, vcc_lo
	s_cbranch_execz .LBB178_93
.LBB178_150:
	ds_read_b32 v26, v24 offset:32
	s_waitcnt lgkmcnt(0)
	v_add_f32_e32 v19, v19, v26
	s_or_b32 exec_lo, exec_lo, s0
	s_and_saveexec_b32 s0, vcc_lo
	s_cbranch_execz .LBB178_94
.LBB178_151:
	ds_read_b32 v26, v24 offset:64
	s_waitcnt lgkmcnt(0)
	v_add_f32_e32 v18, v18, v26
	s_or_b32 exec_lo, exec_lo, s0
	s_and_saveexec_b32 s0, vcc_lo
	s_cbranch_execz .LBB178_95
.LBB178_152:
	ds_read_b32 v26, v24 offset:96
	s_waitcnt lgkmcnt(0)
	v_add_f32_e32 v15, v15, v26
	s_or_b32 exec_lo, exec_lo, s0
	s_and_saveexec_b32 s0, vcc_lo
	s_cbranch_execz .LBB178_96
.LBB178_153:
	ds_read_b32 v26, v24 offset:128
	s_waitcnt lgkmcnt(0)
	v_add_f32_e32 v23, v23, v26
	s_or_b32 exec_lo, exec_lo, s0
	s_and_saveexec_b32 s0, vcc_lo
	s_cbranch_execz .LBB178_97
.LBB178_154:
	ds_read_b32 v26, v24 offset:160
	s_waitcnt lgkmcnt(0)
	v_add_f32_e32 v21, v21, v26
	s_or_b32 exec_lo, exec_lo, s0
	s_and_saveexec_b32 s0, vcc_lo
	s_cbranch_execz .LBB178_98
.LBB178_155:
	ds_read_b32 v26, v24 offset:192
	s_waitcnt lgkmcnt(0)
	v_add_f32_e32 v20, v20, v26
	s_or_b32 exec_lo, exec_lo, s0
	s_and_saveexec_b32 s0, vcc_lo
	s_cbranch_execz .LBB178_99
.LBB178_156:
	ds_read_b32 v26, v24 offset:224
	s_waitcnt lgkmcnt(0)
	v_add_f32_e32 v17, v17, v26
	s_or_b32 exec_lo, exec_lo, s0
	s_and_saveexec_b32 s0, vcc_lo
	s_cbranch_execz .LBB178_100
.LBB178_157:
	ds_read_b32 v26, v24 offset:256
	s_waitcnt lgkmcnt(0)
	v_add_f32_e32 v16, v16, v26
	s_or_b32 exec_lo, exec_lo, s0
	s_and_saveexec_b32 s0, vcc_lo
	s_cbranch_execz .LBB178_101
.LBB178_158:
	ds_read_b32 v26, v24 offset:288
	s_waitcnt lgkmcnt(0)
	v_add_f32_e32 v14, v14, v26
	s_or_b32 exec_lo, exec_lo, s0
	s_and_saveexec_b32 s0, vcc_lo
	s_cbranch_execz .LBB178_102
.LBB178_159:
	ds_read_b32 v26, v24 offset:320
	s_waitcnt lgkmcnt(0)
	v_add_f32_e32 v13, v13, v26
	s_or_b32 exec_lo, exec_lo, s0
	s_and_saveexec_b32 s0, vcc_lo
	s_cbranch_execz .LBB178_103
.LBB178_160:
	ds_read_b32 v26, v24 offset:352
	s_waitcnt lgkmcnt(0)
	v_add_f32_e32 v12, v12, v26
	s_or_b32 exec_lo, exec_lo, s0
	s_and_saveexec_b32 s0, vcc_lo
	s_cbranch_execz .LBB178_104
.LBB178_161:
	ds_read_b32 v26, v24 offset:384
	s_waitcnt lgkmcnt(0)
	v_add_f32_e32 v11, v11, v26
	s_or_b32 exec_lo, exec_lo, s0
	s_and_saveexec_b32 s0, vcc_lo
	s_cbranch_execz .LBB178_105
.LBB178_162:
	ds_read_b32 v26, v24 offset:416
	s_waitcnt lgkmcnt(0)
	v_add_f32_e32 v10, v10, v26
	s_or_b32 exec_lo, exec_lo, s0
	s_and_saveexec_b32 s0, vcc_lo
	s_cbranch_execz .LBB178_106
.LBB178_163:
	ds_read_b32 v26, v24 offset:448
	s_waitcnt lgkmcnt(0)
	v_add_f32_e32 v9, v9, v26
	s_or_b32 exec_lo, exec_lo, s0
	s_and_saveexec_b32 s0, vcc_lo
	s_cbranch_execz .LBB178_107
.LBB178_164:
	ds_read_b32 v26, v24 offset:480
	s_waitcnt lgkmcnt(0)
	v_add_f32_e32 v8, v8, v26
	s_or_b32 exec_lo, exec_lo, s0
	s_and_saveexec_b32 s0, vcc_lo
	s_cbranch_execz .LBB178_108
.LBB178_165:
	ds_read_b32 v26, v24 offset:512
	s_waitcnt lgkmcnt(0)
	v_add_f32_e32 v7, v7, v26
	s_or_b32 exec_lo, exec_lo, s0
	s_and_saveexec_b32 s0, vcc_lo
	s_cbranch_execz .LBB178_109
.LBB178_166:
	ds_read_b32 v26, v24 offset:544
	s_waitcnt lgkmcnt(0)
	v_add_f32_e32 v6, v6, v26
	s_or_b32 exec_lo, exec_lo, s0
	s_and_saveexec_b32 s0, vcc_lo
	s_cbranch_execz .LBB178_110
.LBB178_167:
	ds_read_b32 v26, v24 offset:576
	s_waitcnt lgkmcnt(0)
	v_add_f32_e32 v5, v5, v26
	s_or_b32 exec_lo, exec_lo, s0
	s_and_saveexec_b32 s0, vcc_lo
	s_cbranch_execz .LBB178_111
.LBB178_168:
	ds_read_b32 v26, v24 offset:608
	s_waitcnt lgkmcnt(0)
	v_add_f32_e32 v4, v4, v26
	s_or_b32 exec_lo, exec_lo, s0
	s_and_saveexec_b32 s0, vcc_lo
	s_cbranch_execz .LBB178_112
.LBB178_169:
	ds_read_b32 v26, v24 offset:640
	s_waitcnt lgkmcnt(0)
	v_add_f32_e32 v3, v3, v26
	s_or_b32 exec_lo, exec_lo, s0
	s_and_saveexec_b32 s0, vcc_lo
	s_cbranch_execz .LBB178_113
.LBB178_170:
	ds_read_b32 v26, v24 offset:672
	s_waitcnt lgkmcnt(0)
	v_add_f32_e32 v0, v0, v26
	s_or_b32 exec_lo, exec_lo, s0
	s_and_saveexec_b32 s0, vcc_lo
	s_cbranch_execz .LBB178_114
.LBB178_171:
	ds_read_b32 v26, v24 offset:704
	s_waitcnt lgkmcnt(0)
	v_add_f32_e32 v1, v1, v26
	s_or_b32 exec_lo, exec_lo, s0
	s_and_saveexec_b32 s0, vcc_lo
	s_cbranch_execnz .LBB178_115
	s_branch .LBB178_116
.LBB178_172:
	ds_read_b32 v25, v24
	s_waitcnt lgkmcnt(0)
	v_add_f32_e32 v22, v22, v25
	s_or_b32 exec_lo, exec_lo, s0
	s_and_saveexec_b32 s0, vcc_lo
	s_cbranch_execz .LBB178_122
.LBB178_173:
	ds_read_b32 v25, v24 offset:32
	s_waitcnt lgkmcnt(0)
	v_add_f32_e32 v19, v19, v25
	s_or_b32 exec_lo, exec_lo, s0
	s_and_saveexec_b32 s0, vcc_lo
	s_cbranch_execz .LBB178_123
.LBB178_174:
	ds_read_b32 v25, v24 offset:64
	s_waitcnt lgkmcnt(0)
	v_add_f32_e32 v18, v18, v25
	s_or_b32 exec_lo, exec_lo, s0
	s_and_saveexec_b32 s0, vcc_lo
	s_cbranch_execz .LBB178_124
.LBB178_175:
	ds_read_b32 v25, v24 offset:96
	s_waitcnt lgkmcnt(0)
	v_add_f32_e32 v15, v15, v25
	s_or_b32 exec_lo, exec_lo, s0
	s_and_saveexec_b32 s0, vcc_lo
	s_cbranch_execz .LBB178_125
.LBB178_176:
	ds_read_b32 v25, v24 offset:128
	s_waitcnt lgkmcnt(0)
	v_add_f32_e32 v23, v23, v25
	s_or_b32 exec_lo, exec_lo, s0
	s_and_saveexec_b32 s0, vcc_lo
	s_cbranch_execz .LBB178_126
.LBB178_177:
	ds_read_b32 v25, v24 offset:160
	s_waitcnt lgkmcnt(0)
	v_add_f32_e32 v21, v21, v25
	s_or_b32 exec_lo, exec_lo, s0
	s_and_saveexec_b32 s0, vcc_lo
	s_cbranch_execz .LBB178_127
.LBB178_178:
	ds_read_b32 v25, v24 offset:192
	s_waitcnt lgkmcnt(0)
	v_add_f32_e32 v20, v20, v25
	s_or_b32 exec_lo, exec_lo, s0
	s_and_saveexec_b32 s0, vcc_lo
	s_cbranch_execz .LBB178_128
.LBB178_179:
	ds_read_b32 v25, v24 offset:224
	s_waitcnt lgkmcnt(0)
	v_add_f32_e32 v17, v17, v25
	s_or_b32 exec_lo, exec_lo, s0
	s_and_saveexec_b32 s0, vcc_lo
	s_cbranch_execz .LBB178_129
.LBB178_180:
	ds_read_b32 v25, v24 offset:256
	s_waitcnt lgkmcnt(0)
	v_add_f32_e32 v16, v16, v25
	s_or_b32 exec_lo, exec_lo, s0
	s_and_saveexec_b32 s0, vcc_lo
	s_cbranch_execz .LBB178_130
.LBB178_181:
	ds_read_b32 v25, v24 offset:288
	s_waitcnt lgkmcnt(0)
	v_add_f32_e32 v14, v14, v25
	s_or_b32 exec_lo, exec_lo, s0
	s_and_saveexec_b32 s0, vcc_lo
	s_cbranch_execz .LBB178_131
.LBB178_182:
	ds_read_b32 v25, v24 offset:320
	s_waitcnt lgkmcnt(0)
	v_add_f32_e32 v13, v13, v25
	s_or_b32 exec_lo, exec_lo, s0
	s_and_saveexec_b32 s0, vcc_lo
	s_cbranch_execz .LBB178_132
.LBB178_183:
	ds_read_b32 v25, v24 offset:352
	s_waitcnt lgkmcnt(0)
	v_add_f32_e32 v12, v12, v25
	s_or_b32 exec_lo, exec_lo, s0
	s_and_saveexec_b32 s0, vcc_lo
	s_cbranch_execz .LBB178_133
.LBB178_184:
	ds_read_b32 v25, v24 offset:384
	s_waitcnt lgkmcnt(0)
	v_add_f32_e32 v11, v11, v25
	s_or_b32 exec_lo, exec_lo, s0
	s_and_saveexec_b32 s0, vcc_lo
	s_cbranch_execz .LBB178_134
.LBB178_185:
	ds_read_b32 v25, v24 offset:416
	s_waitcnt lgkmcnt(0)
	v_add_f32_e32 v10, v10, v25
	s_or_b32 exec_lo, exec_lo, s0
	s_and_saveexec_b32 s0, vcc_lo
	s_cbranch_execz .LBB178_135
.LBB178_186:
	ds_read_b32 v25, v24 offset:448
	s_waitcnt lgkmcnt(0)
	v_add_f32_e32 v9, v9, v25
	s_or_b32 exec_lo, exec_lo, s0
	s_and_saveexec_b32 s0, vcc_lo
	s_cbranch_execz .LBB178_136
.LBB178_187:
	ds_read_b32 v25, v24 offset:480
	s_waitcnt lgkmcnt(0)
	v_add_f32_e32 v8, v8, v25
	s_or_b32 exec_lo, exec_lo, s0
	s_and_saveexec_b32 s0, vcc_lo
	s_cbranch_execz .LBB178_137
.LBB178_188:
	ds_read_b32 v25, v24 offset:512
	s_waitcnt lgkmcnt(0)
	v_add_f32_e32 v7, v7, v25
	s_or_b32 exec_lo, exec_lo, s0
	s_and_saveexec_b32 s0, vcc_lo
	s_cbranch_execz .LBB178_138
.LBB178_189:
	ds_read_b32 v25, v24 offset:544
	s_waitcnt lgkmcnt(0)
	v_add_f32_e32 v6, v6, v25
	s_or_b32 exec_lo, exec_lo, s0
	s_and_saveexec_b32 s0, vcc_lo
	s_cbranch_execz .LBB178_139
.LBB178_190:
	ds_read_b32 v25, v24 offset:576
	s_waitcnt lgkmcnt(0)
	v_add_f32_e32 v5, v5, v25
	s_or_b32 exec_lo, exec_lo, s0
	s_and_saveexec_b32 s0, vcc_lo
	s_cbranch_execz .LBB178_140
.LBB178_191:
	ds_read_b32 v25, v24 offset:608
	s_waitcnt lgkmcnt(0)
	v_add_f32_e32 v4, v4, v25
	s_or_b32 exec_lo, exec_lo, s0
	s_and_saveexec_b32 s0, vcc_lo
	s_cbranch_execz .LBB178_141
.LBB178_192:
	ds_read_b32 v25, v24 offset:640
	s_waitcnt lgkmcnt(0)
	v_add_f32_e32 v3, v3, v25
	s_or_b32 exec_lo, exec_lo, s0
	s_and_saveexec_b32 s0, vcc_lo
	s_cbranch_execz .LBB178_142
.LBB178_193:
	ds_read_b32 v25, v24 offset:672
	s_waitcnt lgkmcnt(0)
	v_add_f32_e32 v0, v0, v25
	s_or_b32 exec_lo, exec_lo, s0
	s_and_saveexec_b32 s0, vcc_lo
	s_cbranch_execz .LBB178_143
.LBB178_194:
	ds_read_b32 v25, v24 offset:704
	s_waitcnt lgkmcnt(0)
	v_add_f32_e32 v1, v1, v25
	s_or_b32 exec_lo, exec_lo, s0
	s_and_saveexec_b32 s0, vcc_lo
	s_cbranch_execnz .LBB178_144
	s_branch .LBB178_145
	.section	.rodata,"a",@progbits
	.p2align	6, 0x0
	.amdhsa_kernel _ZN4vllm25paged_attention_v2_kernelI14__hip_bfloat16S1_Li192ELi32ELi128ELNS_18Fp8KVCacheDataTypeE0ELb1ELi512EEEvPfS3_PT_PKS4_PKT0_SA_ifPKiSC_iPKfiiiSE_SE_iiiii
		.amdhsa_group_segment_fixed_size 416
		.amdhsa_private_segment_fixed_size 600
		.amdhsa_kernarg_size 400
		.amdhsa_user_sgpr_count 6
		.amdhsa_user_sgpr_private_segment_buffer 1
		.amdhsa_user_sgpr_dispatch_ptr 0
		.amdhsa_user_sgpr_queue_ptr 0
		.amdhsa_user_sgpr_kernarg_segment_ptr 1
		.amdhsa_user_sgpr_dispatch_id 0
		.amdhsa_user_sgpr_flat_scratch_init 0
		.amdhsa_user_sgpr_private_segment_size 0
		.amdhsa_wavefront_size32 1
		.amdhsa_uses_dynamic_stack 0
		.amdhsa_system_sgpr_private_segment_wavefront_offset 1
		.amdhsa_system_sgpr_workgroup_id_x 1
		.amdhsa_system_sgpr_workgroup_id_y 1
		.amdhsa_system_sgpr_workgroup_id_z 1
		.amdhsa_system_sgpr_workgroup_info 0
		.amdhsa_system_vgpr_workitem_id 0
		.amdhsa_next_free_vgpr 128
		.amdhsa_next_free_sgpr 52
		.amdhsa_reserve_vcc 1
		.amdhsa_reserve_flat_scratch 0
		.amdhsa_float_round_mode_32 0
		.amdhsa_float_round_mode_16_64 0
		.amdhsa_float_denorm_mode_32 3
		.amdhsa_float_denorm_mode_16_64 3
		.amdhsa_dx10_clamp 1
		.amdhsa_ieee_mode 1
		.amdhsa_fp16_overflow 0
		.amdhsa_workgroup_processor_mode 1
		.amdhsa_memory_ordered 1
		.amdhsa_forward_progress 1
		.amdhsa_shared_vgpr_count 0
		.amdhsa_exception_fp_ieee_invalid_op 0
		.amdhsa_exception_fp_denorm_src 0
		.amdhsa_exception_fp_ieee_div_zero 0
		.amdhsa_exception_fp_ieee_overflow 0
		.amdhsa_exception_fp_ieee_underflow 0
		.amdhsa_exception_fp_ieee_inexact 0
		.amdhsa_exception_int_div_zero 0
	.end_amdhsa_kernel
	.section	.text._ZN4vllm25paged_attention_v2_kernelI14__hip_bfloat16S1_Li192ELi32ELi128ELNS_18Fp8KVCacheDataTypeE0ELb1ELi512EEEvPfS3_PT_PKS4_PKT0_SA_ifPKiSC_iPKfiiiSE_SE_iiiii,"axG",@progbits,_ZN4vllm25paged_attention_v2_kernelI14__hip_bfloat16S1_Li192ELi32ELi128ELNS_18Fp8KVCacheDataTypeE0ELb1ELi512EEEvPfS3_PT_PKS4_PKT0_SA_ifPKiSC_iPKfiiiSE_SE_iiiii,comdat
.Lfunc_end178:
	.size	_ZN4vllm25paged_attention_v2_kernelI14__hip_bfloat16S1_Li192ELi32ELi128ELNS_18Fp8KVCacheDataTypeE0ELb1ELi512EEEvPfS3_PT_PKS4_PKT0_SA_ifPKiSC_iPKfiiiSE_SE_iiiii, .Lfunc_end178-_ZN4vllm25paged_attention_v2_kernelI14__hip_bfloat16S1_Li192ELi32ELi128ELNS_18Fp8KVCacheDataTypeE0ELb1ELi512EEEvPfS3_PT_PKS4_PKT0_SA_ifPKiSC_iPKfiiiSE_SE_iiiii
                                        ; -- End function
	.set _ZN4vllm25paged_attention_v2_kernelI14__hip_bfloat16S1_Li192ELi32ELi128ELNS_18Fp8KVCacheDataTypeE0ELb1ELi512EEEvPfS3_PT_PKS4_PKT0_SA_ifPKiSC_iPKfiiiSE_SE_iiiii.num_vgpr, 128
	.set _ZN4vllm25paged_attention_v2_kernelI14__hip_bfloat16S1_Li192ELi32ELi128ELNS_18Fp8KVCacheDataTypeE0ELb1ELi512EEEvPfS3_PT_PKS4_PKT0_SA_ifPKiSC_iPKfiiiSE_SE_iiiii.num_agpr, 0
	.set _ZN4vllm25paged_attention_v2_kernelI14__hip_bfloat16S1_Li192ELi32ELi128ELNS_18Fp8KVCacheDataTypeE0ELb1ELi512EEEvPfS3_PT_PKS4_PKT0_SA_ifPKiSC_iPKfiiiSE_SE_iiiii.numbered_sgpr, 52
	.set _ZN4vllm25paged_attention_v2_kernelI14__hip_bfloat16S1_Li192ELi32ELi128ELNS_18Fp8KVCacheDataTypeE0ELb1ELi512EEEvPfS3_PT_PKS4_PKT0_SA_ifPKiSC_iPKfiiiSE_SE_iiiii.num_named_barrier, 0
	.set _ZN4vllm25paged_attention_v2_kernelI14__hip_bfloat16S1_Li192ELi32ELi128ELNS_18Fp8KVCacheDataTypeE0ELb1ELi512EEEvPfS3_PT_PKS4_PKT0_SA_ifPKiSC_iPKfiiiSE_SE_iiiii.private_seg_size, 600
	.set _ZN4vllm25paged_attention_v2_kernelI14__hip_bfloat16S1_Li192ELi32ELi128ELNS_18Fp8KVCacheDataTypeE0ELb1ELi512EEEvPfS3_PT_PKS4_PKT0_SA_ifPKiSC_iPKfiiiSE_SE_iiiii.uses_vcc, 1
	.set _ZN4vllm25paged_attention_v2_kernelI14__hip_bfloat16S1_Li192ELi32ELi128ELNS_18Fp8KVCacheDataTypeE0ELb1ELi512EEEvPfS3_PT_PKS4_PKT0_SA_ifPKiSC_iPKfiiiSE_SE_iiiii.uses_flat_scratch, 0
	.set _ZN4vllm25paged_attention_v2_kernelI14__hip_bfloat16S1_Li192ELi32ELi128ELNS_18Fp8KVCacheDataTypeE0ELb1ELi512EEEvPfS3_PT_PKS4_PKT0_SA_ifPKiSC_iPKfiiiSE_SE_iiiii.has_dyn_sized_stack, 0
	.set _ZN4vllm25paged_attention_v2_kernelI14__hip_bfloat16S1_Li192ELi32ELi128ELNS_18Fp8KVCacheDataTypeE0ELb1ELi512EEEvPfS3_PT_PKS4_PKT0_SA_ifPKiSC_iPKfiiiSE_SE_iiiii.has_recursion, 0
	.set _ZN4vllm25paged_attention_v2_kernelI14__hip_bfloat16S1_Li192ELi32ELi128ELNS_18Fp8KVCacheDataTypeE0ELb1ELi512EEEvPfS3_PT_PKS4_PKT0_SA_ifPKiSC_iPKfiiiSE_SE_iiiii.has_indirect_call, 0
	.section	.AMDGPU.csdata,"",@progbits
; Kernel info:
; codeLenInByte = 31464
; TotalNumSgprs: 54
; NumVgprs: 128
; ScratchSize: 600
; MemoryBound: 0
; FloatMode: 240
; IeeeMode: 1
; LDSByteSize: 416 bytes/workgroup (compile time only)
; SGPRBlocks: 0
; VGPRBlocks: 15
; NumSGPRsForWavesPerEU: 54
; NumVGPRsForWavesPerEU: 128
; Occupancy: 8
; WaveLimiterHint : 1
; COMPUTE_PGM_RSRC2:SCRATCH_EN: 1
; COMPUTE_PGM_RSRC2:USER_SGPR: 6
; COMPUTE_PGM_RSRC2:TRAP_HANDLER: 0
; COMPUTE_PGM_RSRC2:TGID_X_EN: 1
; COMPUTE_PGM_RSRC2:TGID_Y_EN: 1
; COMPUTE_PGM_RSRC2:TGID_Z_EN: 1
; COMPUTE_PGM_RSRC2:TIDIG_COMP_CNT: 0
	.section	.text._ZN4vllm25paged_attention_v2_kernelI14__hip_bfloat16S1_Li256ELi32ELi128ELNS_18Fp8KVCacheDataTypeE0ELb1ELi512EEEvPfS3_PT_PKS4_PKT0_SA_ifPKiSC_iPKfiiiSE_SE_iiiii,"axG",@progbits,_ZN4vllm25paged_attention_v2_kernelI14__hip_bfloat16S1_Li256ELi32ELi128ELNS_18Fp8KVCacheDataTypeE0ELb1ELi512EEEvPfS3_PT_PKS4_PKT0_SA_ifPKiSC_iPKfiiiSE_SE_iiiii,comdat
	.protected	_ZN4vllm25paged_attention_v2_kernelI14__hip_bfloat16S1_Li256ELi32ELi128ELNS_18Fp8KVCacheDataTypeE0ELb1ELi512EEEvPfS3_PT_PKS4_PKT0_SA_ifPKiSC_iPKfiiiSE_SE_iiiii ; -- Begin function _ZN4vllm25paged_attention_v2_kernelI14__hip_bfloat16S1_Li256ELi32ELi128ELNS_18Fp8KVCacheDataTypeE0ELb1ELi512EEEvPfS3_PT_PKS4_PKT0_SA_ifPKiSC_iPKfiiiSE_SE_iiiii
	.globl	_ZN4vllm25paged_attention_v2_kernelI14__hip_bfloat16S1_Li256ELi32ELi128ELNS_18Fp8KVCacheDataTypeE0ELb1ELi512EEEvPfS3_PT_PKS4_PKT0_SA_ifPKiSC_iPKfiiiSE_SE_iiiii
	.p2align	8
	.type	_ZN4vllm25paged_attention_v2_kernelI14__hip_bfloat16S1_Li256ELi32ELi128ELNS_18Fp8KVCacheDataTypeE0ELb1ELi512EEEvPfS3_PT_PKS4_PKT0_SA_ifPKiSC_iPKfiiiSE_SE_iiiii,@function
_ZN4vllm25paged_attention_v2_kernelI14__hip_bfloat16S1_Li256ELi32ELi128ELNS_18Fp8KVCacheDataTypeE0ELb1ELi512EEEvPfS3_PT_PKS4_PKT0_SA_ifPKiSC_iPKfiiiSE_SE_iiiii: ; @_ZN4vllm25paged_attention_v2_kernelI14__hip_bfloat16S1_Li256ELi32ELi128ELNS_18Fp8KVCacheDataTypeE0ELb1ELi512EEEvPfS3_PT_PKS4_PKT0_SA_ifPKiSC_iPKfiiiSE_SE_iiiii
; %bb.0:
	s_mov_b64 s[50:51], s[2:3]
	s_mov_b64 s[48:49], s[0:1]
	s_load_dwordx2 s[0:1], s[4:5], 0x40
	s_add_u32 s48, s48, s9
	s_addc_u32 s49, s49, 0
	s_mov_b32 s26, s7
	s_ashr_i32 s27, s7, 31
	s_lshl_b64 s[2:3], s[26:27], 2
	s_waitcnt lgkmcnt(0)
	s_add_u32 s0, s0, s2
	s_addc_u32 s1, s1, s3
	s_lshl_b32 s38, s8, 9
	s_load_dword s27, s[0:1], 0x0
	s_waitcnt lgkmcnt(0)
	s_cmp_ge_i32 s38, s27
	s_cbranch_scc1 .LBB179_180
; %bb.1:
	s_clause 0x1
	s_load_dword s9, s[4:5], 0x90
	s_load_dwordx2 s[36:37], s[4:5], 0x30
	v_mov_b32_e32 v58, v0
	s_mov_b32 s40, 0
	s_waitcnt lgkmcnt(0)
	s_abs_i32 s3, s9
	s_abs_i32 s0, s36
	v_cvt_f32_u32_e32 v0, s0
	s_sub_i32 s2, 0, s0
	v_rcp_iflag_f32_e32 v0, v0
	v_mul_f32_e32 v0, 0x4f7ffffe, v0
	v_cvt_u32_f32_e32 v0, v0
	v_readfirstlane_b32 s1, v0
	s_mul_i32 s2, s2, s1
	s_mul_hi_u32 s2, s1, s2
	s_add_i32 s1, s1, s2
	s_xor_b32 s2, s9, s36
	s_mul_hi_u32 s1, s3, s1
	s_ashr_i32 s2, s2, 31
	s_mul_i32 s7, s1, s0
	s_sub_i32 s3, s3, s7
	s_add_i32 s7, s1, 1
	s_sub_i32 s10, s3, s0
	s_cmp_ge_u32 s3, s0
	s_cselect_b32 s1, s7, s1
	s_cselect_b32 s3, s10, s3
	s_add_i32 s7, s1, 1
	s_cmp_ge_u32 s3, s0
	s_cselect_b32 s0, s7, s1
	s_xor_b32 s0, s0, s2
	s_sub_i32 s10, s0, s2
	s_load_dwordx2 s[0:1], s[4:5], 0x50
	s_abs_i32 s2, s10
	v_cvt_f32_u32_e32 v0, s2
	s_sub_i32 s3, 0, s2
	v_rcp_iflag_f32_e32 v0, v0
	v_mul_f32_e32 v0, 0x4f7ffffe, v0
	v_cvt_u32_f32_e32 v0, v0
	v_readfirstlane_b32 s7, v0
	s_mul_i32 s3, s3, s7
	s_mul_hi_u32 s11, s7, s3
	s_abs_i32 s3, s6
	s_add_i32 s7, s7, s11
	s_waitcnt lgkmcnt(0)
	s_cmp_eq_u64 s[0:1], 0
	s_mul_hi_u32 s20, s3, s7
	s_cbranch_scc1 .LBB179_3
; %bb.2:
	s_ashr_i32 s7, s6, 31
	s_lshl_b64 s[12:13], s[6:7], 2
	s_add_u32 s0, s0, s12
	s_addc_u32 s1, s1, s13
	s_load_dword s40, s[0:1], 0x0
.LBB179_3:
	s_load_dwordx4 s[12:15], s[4:5], 0x58
	v_cmp_gt_u32_e64 s0, 32, v58
	s_ashr_i32 s1, s6, 31
	s_ashr_i32 s7, s10, 31
	s_lshl_b32 s10, s6, 8
	s_waitcnt lgkmcnt(0)
	s_and_saveexec_b32 s15, s0
	s_cbranch_execz .LBB179_5
; %bb.4:
	s_load_dwordx2 s[16:17], s[4:5], 0x18
	s_mul_i32 s18, s12, s26
	v_lshlrev_b32_e32 v4, 4, v58
	s_ashr_i32 s19, s18, 31
	s_lshl_b64 s[18:19], s[18:19], 1
	s_waitcnt lgkmcnt(0)
	s_add_u32 s12, s16, s18
	s_addc_u32 s18, s17, s19
	s_ashr_i32 s11, s10, 31
	s_lshl_b64 s[16:17], s[10:11], 1
	s_add_u32 s16, s12, s16
	s_addc_u32 s17, s18, s17
	global_load_dwordx4 v[0:3], v4, s[16:17]
	s_waitcnt vmcnt(0)
	ds_write_b128 v4, v[0:3]
.LBB179_5:
	s_or_b32 exec_lo, exec_lo, s15
	s_load_dwordx4 s[16:19], s[4:5], 0x78
	s_mul_i32 s11, s20, s2
	s_xor_b32 s1, s1, s7
	s_sub_i32 s3, s3, s11
	s_add_i32 s7, s20, 1
	s_sub_i32 s11, s3, s2
	s_cmp_ge_u32 s3, s2
                                        ; implicit-def: $sgpr33
	s_cselect_b32 s7, s7, s20
	s_cselect_b32 s3, s11, s3
	s_add_i32 s11, s7, 1
	s_cmp_ge_u32 s3, s2
	s_mov_b32 s20, -1
	s_cselect_b32 s2, s11, s7
	s_load_dword s7, s[4:5], 0x88
	s_xor_b32 s2, s2, s1
	s_add_i32 s15, s27, -1
	s_sub_i32 s2, s2, s1
	s_abs_i32 s3, s15
	s_waitcnt lgkmcnt(0)
	s_abs_i32 s11, s19
	s_barrier
	v_cvt_f32_u32_e32 v0, s11
	s_sub_i32 s1, 0, s11
	buffer_gl0_inv
	v_rcp_iflag_f32_e32 v0, v0
	v_mul_f32_e32 v0, 0x4f7ffffe, v0
	v_cvt_u32_f32_e32 v0, v0
	v_readfirstlane_b32 s12, v0
	s_mul_i32 s1, s1, s12
	s_mul_hi_u32 s1, s12, s1
	s_add_i32 s12, s12, s1
	s_cmp_lt_i32 s7, 0
	s_mul_hi_u32 s1, s3, s12
	s_cbranch_scc0 .LBB179_7
; %bb.6:
	s_mul_i32 s20, s16, s36
	s_add_i32 s20, s2, s20
	s_mul_i32 s20, s20, s7
	s_sub_i32 s33, 1, s20
	s_mov_b32 s20, 0
.LBB179_7:
	s_load_dwordx2 s[28:29], s[4:5], 0x38
	s_ashr_i32 s15, s15, 31
	s_andn2_b32 vcc_lo, exec_lo, s20
	s_ashr_i32 s19, s19, 31
	s_cbranch_vccnz .LBB179_9
; %bb.8:
	s_mul_i32 s16, s9, s16
	s_add_i32 s16, s16, s6
	s_mul_i32 s7, s16, s7
	s_add_i32 s33, s7, 1
.LBB179_9:
	s_clause 0x4
	s_load_dword s16, s[4:5], 0x48
	s_load_dwordx2 s[34:35], s[4:5], 0x28
	s_load_dword s7, s[4:5], 0x98
	s_load_dwordx4 s[20:23], s[4:5], 0x0
	s_load_dwordx2 s[24:25], s[4:5], 0x10
	s_mul_i32 s30, s1, s11
	s_xor_b32 s15, s15, s19
	s_sub_i32 s3, s3, s30
	s_add_i32 s36, s1, 1
	v_lshrrev_b32_e32 v59, 5, v58
	v_and_b32_e32 v0, 31, v58
	v_mov_b32_e32 v125, 0xff7fffff
	s_mul_i32 s14, s2, s14
	v_lshl_add_u32 v1, v59, 5, s38
	v_lshlrev_b32_e32 v25, 2, v0
	buffer_store_dword v1, off, s[48:51], 0 offset:8 ; 4-byte Folded Spill
	s_waitcnt lgkmcnt(0)
	s_mul_i32 s30, s16, s26
	s_sub_i32 s16, s3, s11
	s_ashr_i32 s31, s30, 31
	s_cmp_ge_u32 s3, s11
	s_cselect_b32 s1, s36, s1
	s_cselect_b32 s3, s16, s3
	s_add_i32 s16, s1, 1
	s_cmp_ge_u32 s3, s11
	s_cselect_b32 s1, s16, s1
	s_lshl_b32 s41, s8, 4
	s_add_i32 s3, s27, 31
	v_add_nc_u32_e32 v1, s41, v59
	s_ashr_i32 s16, s3, 31
	s_lshr_b32 s16, s16, 27
	v_ashrrev_i32_e32 v2, 31, v1
	s_add_i32 s3, s3, s16
	s_add_i32 s16, s41, 16
	s_ashr_i32 s36, s3, 5
	buffer_store_dword v1, off, s[48:51], 0 ; 4-byte Folded Spill
	buffer_store_dword v2, off, s[48:51], 0 offset:4 ; 4-byte Folded Spill
	s_min_i32 s16, s16, s36
	s_xor_b32 s3, s1, s15
	buffer_store_dword v0, off, s[48:51], 0 offset:228 ; 4-byte Folded Spill
	s_sub_i32 s39, s3, s15
	v_cmp_gt_i32_e64 s1, s16, v1
	s_mov_b32 s42, exec_lo
	s_and_b32 s2, s42, s1
	buffer_store_dword v58, off, s[48:51], 0 offset:896 ; 4-byte Folded Spill
	buffer_store_dword v59, off, s[48:51], 0 offset:900 ; 4-byte Folded Spill
	s_mov_b32 exec_lo, s2
	s_cbranch_execz .LBB179_17
; %bb.10:
	v_mov_b32_e32 v0, 0
	s_load_dwordx2 s[2:3], s[4:5], 0x20
	s_ashr_i32 s15, s14, 31
	s_sub_i32 s4, s39, s17
	s_lshl_b64 s[44:45], s[14:15], 1
	ds_read_b128 v[1:4], v0
	ds_read_b128 v[5:8], v0 offset:16
	ds_read_b128 v[9:12], v0 offset:32
	;; [unrolled: 1-line block ×5, first 2 shown]
	v_lshl_add_u32 v55, v59, 5, s38
	v_mov_b32_e32 v125, 0xff7fffff
	s_mov_b32 s43, s13
	s_waitcnt lgkmcnt(0)
	v_and_b32_e32 v26, 0xffff0000, v1
	v_lshlrev_b32_e32 v1, 16, v1
	s_add_u32 s44, s2, s44
	s_addc_u32 s45, s3, s45
	s_abs_i32 s5, s18
	buffer_store_dword v26, off, s[48:51], 0 offset:12 ; 4-byte Folded Spill
	buffer_store_dword v1, off, s[48:51], 0 offset:16 ; 4-byte Folded Spill
	v_and_b32_e32 v1, 0xffff0000, v5
	s_lshl_b64 s[2:3], s[30:31], 2
	s_sub_i32 s15, 0, s5
	s_add_u32 s2, s28, s2
	s_addc_u32 s3, s29, s3
	buffer_store_dword v1, off, s[48:51], 0 offset:32 ; 4-byte Folded Spill
	v_lshlrev_b32_e32 v1, 16, v5
	v_lshlrev_b32_e32 v5, 16, v11
	buffer_store_dword v1, off, s[48:51], 0 offset:48 ; 4-byte Folded Spill
	v_and_b32_e32 v1, 0xffff0000, v9
	buffer_store_dword v5, off, s[48:51], 0 offset:196 ; 4-byte Folded Spill
	v_and_b32_e32 v5, 0xffff0000, v15
	buffer_store_dword v1, off, s[48:51], 0 offset:64 ; 4-byte Folded Spill
	v_lshlrev_b32_e32 v1, 16, v9
	buffer_store_dword v5, off, s[48:51], 0 offset:200 ; 4-byte Folded Spill
	v_and_b32_e32 v5, 0xffff0000, v8
	v_lshlrev_b32_e32 v9, 16, v19
	buffer_store_dword v1, off, s[48:51], 0 offset:80 ; 4-byte Folded Spill
	v_and_b32_e32 v1, 0xffff0000, v13
	buffer_store_dword v5, off, s[48:51], 0 offset:204 ; 4-byte Folded Spill
	v_lshlrev_b32_e32 v5, 16, v8
	buffer_store_dword v9, off, s[48:51], 0 offset:232 ; 4-byte Folded Spill
	v_and_b32_e32 v9, 0xffff0000, v23
	buffer_store_dword v1, off, s[48:51], 0 offset:96 ; 4-byte Folded Spill
	v_lshlrev_b32_e32 v1, 16, v13
	buffer_store_dword v5, off, s[48:51], 0 offset:208 ; 4-byte Folded Spill
	v_lshlrev_b32_e32 v5, 16, v15
	v_lshlrev_b32_e32 v13, 16, v24
	buffer_store_dword v9, off, s[48:51], 0 offset:236 ; 4-byte Folded Spill
	buffer_store_dword v1, off, s[48:51], 0 offset:100 ; 4-byte Folded Spill
	v_and_b32_e32 v1, 0xffff0000, v17
	buffer_store_dword v5, off, s[48:51], 0 offset:212 ; 4-byte Folded Spill
	v_and_b32_e32 v5, 0xffff0000, v19
	;; [unrolled: 2-line block ×3, first 2 shown]
	buffer_store_dword v1, off, s[48:51], 0 offset:104 ; 4-byte Folded Spill
	v_lshlrev_b32_e32 v1, 16, v17
	buffer_store_dword v5, off, s[48:51], 0 offset:216 ; 4-byte Folded Spill
	v_and_b32_e32 v5, 0xffff0000, v12
	buffer_store_dword v9, off, s[48:51], 0 offset:240 ; 4-byte Folded Spill
	v_lshlrev_b32_e32 v9, 16, v16
	buffer_store_dword v1, off, s[48:51], 0 offset:108 ; 4-byte Folded Spill
	v_and_b32_e32 v1, 0xffff0000, v21
	buffer_store_dword v5, off, s[48:51], 0 offset:220 ; 4-byte Folded Spill
	v_lshlrev_b32_e32 v5, 16, v12
	buffer_store_dword v9, off, s[48:51], 0 offset:244 ; 4-byte Folded Spill
	v_lshlrev_b32_e32 v9, 16, v23
	;; [unrolled: 2-line block ×3, first 2 shown]
	buffer_store_dword v5, off, s[48:51], 0 offset:224 ; 4-byte Folded Spill
	buffer_store_dword v9, off, s[48:51], 0 offset:248 ; 4-byte Folded Spill
	v_and_b32_e32 v9, 0xffff0000, v20
	buffer_store_dword v1, off, s[48:51], 0 offset:116 ; 4-byte Folded Spill
	v_and_b32_e32 v1, 0xffff0000, v2
	buffer_store_dword v9, off, s[48:51], 0 offset:252 ; 4-byte Folded Spill
	v_lshlrev_b32_e32 v9, 16, v20
	buffer_store_dword v1, off, s[48:51], 0 offset:120 ; 4-byte Folded Spill
	v_lshlrev_b32_e32 v1, 16, v2
	buffer_store_dword v9, off, s[48:51], 0 offset:256 ; 4-byte Folded Spill
	v_and_b32_e32 v9, 0xffff0000, v24
	buffer_store_dword v1, off, s[48:51], 0 offset:124 ; 4-byte Folded Spill
	v_and_b32_e32 v1, 0xffff0000, v6
	buffer_store_dword v9, off, s[48:51], 0 offset:260 ; 4-byte Folded Spill
	buffer_store_dword v1, off, s[48:51], 0 offset:128 ; 4-byte Folded Spill
	v_lshlrev_b32_e32 v1, 16, v6
	buffer_store_dword v1, off, s[48:51], 0 offset:132 ; 4-byte Folded Spill
	v_and_b32_e32 v1, 0xffff0000, v10
	buffer_store_dword v1, off, s[48:51], 0 offset:136 ; 4-byte Folded Spill
	v_lshlrev_b32_e32 v1, 16, v10
	buffer_store_dword v1, off, s[48:51], 0 offset:140 ; 4-byte Folded Spill
	v_and_b32_e32 v1, 0xffff0000, v14
	;; [unrolled: 4-line block ×6, first 2 shown]
	buffer_store_dword v1, off, s[48:51], 0 offset:176 ; 4-byte Folded Spill
	v_lshlrev_b32_e32 v1, 16, v7
	ds_read_b128 v[5:8], v0 offset:112
	buffer_store_dword v1, off, s[48:51], 0 offset:180 ; 4-byte Folded Spill
	v_and_b32_e32 v1, 0xffff0000, v11
	ds_read_b128 v[9:12], v0 offset:128
	buffer_store_dword v1, off, s[48:51], 0 offset:184 ; 4-byte Folded Spill
	v_and_b32_e32 v1, 0xffff0000, v4
	buffer_store_dword v1, off, s[48:51], 0 offset:188 ; 4-byte Folded Spill
	v_lshlrev_b32_e32 v1, 16, v4
	buffer_store_dword v1, off, s[48:51], 0 offset:192 ; 4-byte Folded Spill
	ds_read_b128 v[1:4], v0 offset:96
	s_waitcnt lgkmcnt(0)
	v_and_b32_e32 v13, 0xffff0000, v1
	v_lshlrev_b32_e32 v1, 16, v1
	buffer_store_dword v13, off, s[48:51], 0 offset:268 ; 4-byte Folded Spill
	buffer_store_dword v1, off, s[48:51], 0 offset:272 ; 4-byte Folded Spill
	v_and_b32_e32 v1, 0xffff0000, v2
	ds_read_b128 v[13:16], v0 offset:144
	buffer_store_dword v1, off, s[48:51], 0 offset:276 ; 4-byte Folded Spill
	v_lshlrev_b32_e32 v1, 16, v2
	buffer_store_dword v1, off, s[48:51], 0 offset:280 ; 4-byte Folded Spill
	v_and_b32_e32 v1, 0xffff0000, v3
	buffer_store_dword v1, off, s[48:51], 0 offset:284 ; 4-byte Folded Spill
	v_lshlrev_b32_e32 v1, 16, v3
	buffer_store_dword v1, off, s[48:51], 0 offset:288 ; 4-byte Folded Spill
	v_and_b32_e32 v1, 0xffff0000, v4
	;; [unrolled: 4-line block ×3, first 2 shown]
	buffer_store_dword v1, off, s[48:51], 0 offset:300 ; 4-byte Folded Spill
	v_lshlrev_b32_e32 v1, 16, v5
	v_lshlrev_b32_e32 v5, 16, v8
	buffer_store_dword v1, off, s[48:51], 0 offset:304 ; 4-byte Folded Spill
	v_and_b32_e32 v1, 0xffff0000, v6
	buffer_store_dword v5, off, s[48:51], 0 offset:328 ; 4-byte Folded Spill
	v_and_b32_e32 v5, 0xffff0000, v9
	buffer_store_dword v1, off, s[48:51], 0 offset:308 ; 4-byte Folded Spill
	v_lshlrev_b32_e32 v1, 16, v6
	buffer_store_dword v5, off, s[48:51], 0 offset:332 ; 4-byte Folded Spill
	v_lshlrev_b32_e32 v5, 16, v9
	v_lshlrev_b32_e32 v9, 16, v12
	buffer_store_dword v1, off, s[48:51], 0 offset:312 ; 4-byte Folded Spill
	v_and_b32_e32 v1, 0xffff0000, v7
	buffer_store_dword v5, off, s[48:51], 0 offset:336 ; 4-byte Folded Spill
	v_and_b32_e32 v5, 0xffff0000, v10
	buffer_store_dword v9, off, s[48:51], 0 offset:360 ; 4-byte Folded Spill
	s_waitcnt lgkmcnt(0)
	v_and_b32_e32 v9, 0xffff0000, v13
	buffer_store_dword v1, off, s[48:51], 0 offset:316 ; 4-byte Folded Spill
	v_lshlrev_b32_e32 v1, 16, v7
	buffer_store_dword v5, off, s[48:51], 0 offset:340 ; 4-byte Folded Spill
	v_lshlrev_b32_e32 v5, 16, v10
	;; [unrolled: 2-line block ×3, first 2 shown]
	buffer_store_dword v1, off, s[48:51], 0 offset:320 ; 4-byte Folded Spill
	v_and_b32_e32 v1, 0xffff0000, v8
	buffer_store_dword v5, off, s[48:51], 0 offset:344 ; 4-byte Folded Spill
	v_and_b32_e32 v5, 0xffff0000, v11
	v_and_b32_e32 v13, 0xffff0000, v16
	buffer_store_dword v9, off, s[48:51], 0 offset:368 ; 4-byte Folded Spill
	buffer_store_dword v1, off, s[48:51], 0 offset:324 ; 4-byte Folded Spill
	ds_read_b128 v[1:4], v0 offset:160
	buffer_store_dword v5, off, s[48:51], 0 offset:348 ; 4-byte Folded Spill
	v_lshlrev_b32_e32 v5, 16, v11
	buffer_store_dword v13, off, s[48:51], 0 offset:388 ; 4-byte Folded Spill
	v_lshlrev_b32_e32 v13, 16, v16
	v_and_b32_e32 v9, 0xffff0000, v14
	buffer_store_dword v5, off, s[48:51], 0 offset:352 ; 4-byte Folded Spill
	v_and_b32_e32 v5, 0xffff0000, v12
	buffer_store_dword v13, off, s[48:51], 0 offset:392 ; 4-byte Folded Spill
	buffer_store_dword v9, off, s[48:51], 0 offset:372 ; 4-byte Folded Spill
	v_lshlrev_b32_e32 v9, 16, v14
	buffer_store_dword v5, off, s[48:51], 0 offset:356 ; 4-byte Folded Spill
	ds_read_b128 v[5:8], v0 offset:176
	buffer_store_dword v9, off, s[48:51], 0 offset:376 ; 4-byte Folded Spill
	v_and_b32_e32 v9, 0xffff0000, v15
	s_waitcnt lgkmcnt(1)
	v_and_b32_e32 v13, 0xffff0000, v1
	v_lshlrev_b32_e32 v1, 16, v1
	buffer_store_dword v9, off, s[48:51], 0 offset:380 ; 4-byte Folded Spill
	v_lshlrev_b32_e32 v9, 16, v15
	buffer_store_dword v13, off, s[48:51], 0 offset:396 ; 4-byte Folded Spill
	buffer_store_dword v1, off, s[48:51], 0 offset:400 ; 4-byte Folded Spill
	v_and_b32_e32 v1, 0xffff0000, v2
	buffer_store_dword v9, off, s[48:51], 0 offset:384 ; 4-byte Folded Spill
	ds_read_b128 v[9:12], v0 offset:192
	ds_read_b128 v[13:16], v0 offset:208
	buffer_store_dword v1, off, s[48:51], 0 offset:404 ; 4-byte Folded Spill
	v_lshlrev_b32_e32 v1, 16, v2
	buffer_store_dword v1, off, s[48:51], 0 offset:408 ; 4-byte Folded Spill
	v_and_b32_e32 v1, 0xffff0000, v3
	buffer_store_dword v1, off, s[48:51], 0 offset:412 ; 4-byte Folded Spill
	v_lshlrev_b32_e32 v1, 16, v3
	buffer_store_dword v1, off, s[48:51], 0 offset:416 ; 4-byte Folded Spill
	v_and_b32_e32 v1, 0xffff0000, v4
	buffer_store_dword v1, off, s[48:51], 0 offset:420 ; 4-byte Folded Spill
	v_lshlrev_b32_e32 v1, 16, v4
	buffer_store_dword v1, off, s[48:51], 0 offset:424 ; 4-byte Folded Spill
	s_waitcnt lgkmcnt(2)
	v_and_b32_e32 v1, 0xffff0000, v5
	buffer_store_dword v1, off, s[48:51], 0 offset:428 ; 4-byte Folded Spill
	v_lshlrev_b32_e32 v1, 16, v5
	buffer_store_dword v1, off, s[48:51], 0 offset:432 ; 4-byte Folded Spill
	v_and_b32_e32 v1, 0xffff0000, v6
	buffer_store_dword v1, off, s[48:51], 0 offset:436 ; 4-byte Folded Spill
	v_lshlrev_b32_e32 v1, 16, v6
	buffer_store_dword v1, off, s[48:51], 0 offset:440 ; 4-byte Folded Spill
	v_and_b32_e32 v1, 0xffff0000, v7
	buffer_store_dword v1, off, s[48:51], 0 offset:444 ; 4-byte Folded Spill
	v_lshlrev_b32_e32 v1, 16, v7
	buffer_store_dword v1, off, s[48:51], 0 offset:448 ; 4-byte Folded Spill
	v_and_b32_e32 v1, 0xffff0000, v8
	buffer_store_dword v1, off, s[48:51], 0 offset:452 ; 4-byte Folded Spill
	v_lshlrev_b32_e32 v1, 16, v8
	buffer_store_dword v1, off, s[48:51], 0 offset:456 ; 4-byte Folded Spill
	s_waitcnt lgkmcnt(1)
	v_and_b32_e32 v1, 0xffff0000, v9
	buffer_store_dword v1, off, s[48:51], 0 offset:460 ; 4-byte Folded Spill
	v_lshlrev_b32_e32 v1, 16, v9
	buffer_store_dword v1, off, s[48:51], 0 offset:464 ; 4-byte Folded Spill
	v_and_b32_e32 v1, 0xffff0000, v10
	;; [unrolled: 17-line block ×3, first 2 shown]
	buffer_store_dword v1, off, s[48:51], 0 offset:500 ; 4-byte Folded Spill
	v_lshlrev_b32_e32 v1, 16, v14
	buffer_store_dword v1, off, s[48:51], 0 offset:504 ; 4-byte Folded Spill
	v_and_b32_e32 v1, 0xffff0000, v15
	buffer_store_dword v1, off, s[48:51], 0 offset:508 ; 4-byte Folded Spill
	v_lshlrev_b32_e32 v1, 16, v15
	buffer_store_dword v1, off, s[48:51], 0 offset:512 ; 4-byte Folded Spill
	v_and_b32_e32 v1, 0xffff0000, v16
	buffer_store_dword v1, off, s[48:51], 0 offset:516 ; 4-byte Folded Spill
	v_lshlrev_b32_e32 v1, 16, v16
	buffer_store_dword v1, off, s[48:51], 0 offset:520 ; 4-byte Folded Spill
	ds_read_b128 v[1:4], v0 offset:224
	ds_read_b128 v[5:8], v0 offset:240
	s_waitcnt lgkmcnt(1)
	v_and_b32_e32 v9, 0xffff0000, v1
	v_lshlrev_b32_e32 v1, 16, v1
	buffer_store_dword v9, off, s[48:51], 0 offset:524 ; 4-byte Folded Spill
	buffer_store_dword v1, off, s[48:51], 0 offset:528 ; 4-byte Folded Spill
	v_and_b32_e32 v1, 0xffff0000, v2
	buffer_store_dword v1, off, s[48:51], 0 offset:532 ; 4-byte Folded Spill
	v_lshlrev_b32_e32 v1, 16, v2
	buffer_store_dword v1, off, s[48:51], 0 offset:536 ; 4-byte Folded Spill
	v_and_b32_e32 v1, 0xffff0000, v3
	buffer_store_dword v1, off, s[48:51], 0 offset:540 ; 4-byte Folded Spill
	v_lshlrev_b32_e32 v1, 16, v3
	buffer_store_dword v1, off, s[48:51], 0 offset:544 ; 4-byte Folded Spill
	v_and_b32_e32 v1, 0xffff0000, v4
	buffer_store_dword v1, off, s[48:51], 0 offset:548 ; 4-byte Folded Spill
	v_lshlrev_b32_e32 v1, 16, v4
	buffer_store_dword v1, off, s[48:51], 0 offset:552 ; 4-byte Folded Spill
	s_waitcnt lgkmcnt(0)
	v_and_b32_e32 v1, 0xffff0000, v5
	buffer_store_dword v1, off, s[48:51], 0 offset:556 ; 4-byte Folded Spill
	v_lshlrev_b32_e32 v1, 16, v5
	buffer_store_dword v1, off, s[48:51], 0 offset:560 ; 4-byte Folded Spill
	v_and_b32_e32 v1, 0xffff0000, v6
	buffer_store_dword v1, off, s[48:51], 0 offset:564 ; 4-byte Folded Spill
	v_lshlrev_b32_e32 v1, 16, v6
	buffer_store_dword v1, off, s[48:51], 0 offset:568 ; 4-byte Folded Spill
	v_and_b32_e32 v1, 0xffff0000, v7
	buffer_store_dword v1, off, s[48:51], 0 offset:572 ; 4-byte Folded Spill
	v_lshlrev_b32_e32 v1, 16, v7
	buffer_store_dword v1, off, s[48:51], 0 offset:576 ; 4-byte Folded Spill
	v_and_b32_e32 v1, 0xffff0000, v8
	buffer_store_dword v1, off, s[48:51], 0 offset:580 ; 4-byte Folded Spill
	v_lshlrev_b32_e32 v1, 16, v8
	buffer_store_dword v1, off, s[48:51], 0 offset:584 ; 4-byte Folded Spill
	ds_read_b128 v[1:4], v0 offset:256
	ds_read_b128 v[5:8], v0 offset:272
	s_waitcnt lgkmcnt(1)
	v_and_b32_e32 v9, 0xffff0000, v1
	v_lshlrev_b32_e32 v1, 16, v1
	buffer_store_dword v9, off, s[48:51], 0 offset:588 ; 4-byte Folded Spill
	buffer_store_dword v1, off, s[48:51], 0 offset:592 ; 4-byte Folded Spill
	v_and_b32_e32 v1, 0xffff0000, v2
	buffer_store_dword v1, off, s[48:51], 0 offset:596 ; 4-byte Folded Spill
	v_lshlrev_b32_e32 v1, 16, v2
	buffer_store_dword v1, off, s[48:51], 0 offset:600 ; 4-byte Folded Spill
	v_and_b32_e32 v1, 0xffff0000, v3
	buffer_store_dword v1, off, s[48:51], 0 offset:604 ; 4-byte Folded Spill
	v_lshlrev_b32_e32 v1, 16, v3
	buffer_store_dword v1, off, s[48:51], 0 offset:608 ; 4-byte Folded Spill
	v_and_b32_e32 v1, 0xffff0000, v4
	buffer_store_dword v1, off, s[48:51], 0 offset:612 ; 4-byte Folded Spill
	v_lshlrev_b32_e32 v1, 16, v4
	buffer_store_dword v1, off, s[48:51], 0 offset:616 ; 4-byte Folded Spill
	s_waitcnt lgkmcnt(0)
	v_and_b32_e32 v1, 0xffff0000, v5
	buffer_store_dword v1, off, s[48:51], 0 offset:620 ; 4-byte Folded Spill
	v_lshlrev_b32_e32 v1, 16, v5
	buffer_store_dword v1, off, s[48:51], 0 offset:624 ; 4-byte Folded Spill
	v_and_b32_e32 v1, 0xffff0000, v6
	buffer_store_dword v1, off, s[48:51], 0 offset:628 ; 4-byte Folded Spill
	v_lshlrev_b32_e32 v1, 16, v6
	buffer_store_dword v1, off, s[48:51], 0 offset:632 ; 4-byte Folded Spill
	v_and_b32_e32 v1, 0xffff0000, v7
	buffer_store_dword v1, off, s[48:51], 0 offset:636 ; 4-byte Folded Spill
	v_lshlrev_b32_e32 v1, 16, v7
	buffer_store_dword v1, off, s[48:51], 0 offset:640 ; 4-byte Folded Spill
	v_and_b32_e32 v1, 0xffff0000, v8
	buffer_store_dword v1, off, s[48:51], 0 offset:644 ; 4-byte Folded Spill
	v_lshlrev_b32_e32 v1, 16, v8
	buffer_store_dword v1, off, s[48:51], 0 offset:648 ; 4-byte Folded Spill
	ds_read_b128 v[1:4], v0 offset:288
	ds_read_b128 v[5:8], v0 offset:304
	s_waitcnt lgkmcnt(1)
	v_and_b32_e32 v9, 0xffff0000, v1
	v_lshlrev_b32_e32 v1, 16, v1
	buffer_store_dword v9, off, s[48:51], 0 offset:652 ; 4-byte Folded Spill
	buffer_store_dword v1, off, s[48:51], 0 offset:656 ; 4-byte Folded Spill
	v_and_b32_e32 v1, 0xffff0000, v2
	buffer_store_dword v1, off, s[48:51], 0 offset:660 ; 4-byte Folded Spill
	v_lshlrev_b32_e32 v1, 16, v2
	buffer_store_dword v1, off, s[48:51], 0 offset:664 ; 4-byte Folded Spill
	v_and_b32_e32 v1, 0xffff0000, v3
	buffer_store_dword v1, off, s[48:51], 0 offset:668 ; 4-byte Folded Spill
	v_lshlrev_b32_e32 v1, 16, v3
	buffer_store_dword v1, off, s[48:51], 0 offset:672 ; 4-byte Folded Spill
	v_and_b32_e32 v1, 0xffff0000, v4
	buffer_store_dword v1, off, s[48:51], 0 offset:676 ; 4-byte Folded Spill
	v_lshlrev_b32_e32 v1, 16, v4
	buffer_store_dword v1, off, s[48:51], 0 offset:680 ; 4-byte Folded Spill
	s_waitcnt lgkmcnt(0)
	v_and_b32_e32 v1, 0xffff0000, v5
	buffer_store_dword v1, off, s[48:51], 0 offset:684 ; 4-byte Folded Spill
	v_lshlrev_b32_e32 v1, 16, v5
	buffer_store_dword v1, off, s[48:51], 0 offset:688 ; 4-byte Folded Spill
	v_and_b32_e32 v1, 0xffff0000, v6
	buffer_store_dword v1, off, s[48:51], 0 offset:692 ; 4-byte Folded Spill
	v_lshlrev_b32_e32 v1, 16, v6
	buffer_store_dword v1, off, s[48:51], 0 offset:696 ; 4-byte Folded Spill
	v_and_b32_e32 v1, 0xffff0000, v7
	buffer_store_dword v1, off, s[48:51], 0 offset:700 ; 4-byte Folded Spill
	v_lshlrev_b32_e32 v1, 16, v7
	buffer_store_dword v1, off, s[48:51], 0 offset:704 ; 4-byte Folded Spill
	v_and_b32_e32 v1, 0xffff0000, v8
	buffer_store_dword v1, off, s[48:51], 0 offset:708 ; 4-byte Folded Spill
	v_lshlrev_b32_e32 v1, 16, v8
	buffer_store_dword v1, off, s[48:51], 0 offset:712 ; 4-byte Folded Spill
	ds_read_b128 v[1:4], v0 offset:320
	ds_read_b128 v[5:8], v0 offset:336
	s_waitcnt lgkmcnt(1)
	v_and_b32_e32 v9, 0xffff0000, v1
	v_lshlrev_b32_e32 v1, 16, v1
	buffer_store_dword v9, off, s[48:51], 0 offset:716 ; 4-byte Folded Spill
	buffer_store_dword v1, off, s[48:51], 0 offset:720 ; 4-byte Folded Spill
	v_and_b32_e32 v1, 0xffff0000, v2
	buffer_store_dword v1, off, s[48:51], 0 offset:724 ; 4-byte Folded Spill
	v_lshlrev_b32_e32 v1, 16, v2
	buffer_store_dword v1, off, s[48:51], 0 offset:728 ; 4-byte Folded Spill
	v_and_b32_e32 v1, 0xffff0000, v3
	buffer_store_dword v1, off, s[48:51], 0 offset:732 ; 4-byte Folded Spill
	v_lshlrev_b32_e32 v1, 16, v3
	buffer_store_dword v1, off, s[48:51], 0 offset:736 ; 4-byte Folded Spill
	v_and_b32_e32 v1, 0xffff0000, v4
	buffer_store_dword v1, off, s[48:51], 0 offset:740 ; 4-byte Folded Spill
	v_lshlrev_b32_e32 v1, 16, v4
	buffer_store_dword v1, off, s[48:51], 0 offset:744 ; 4-byte Folded Spill
	s_waitcnt lgkmcnt(0)
	v_and_b32_e32 v1, 0xffff0000, v5
	buffer_store_dword v1, off, s[48:51], 0 offset:748 ; 4-byte Folded Spill
	v_lshlrev_b32_e32 v1, 16, v5
	buffer_store_dword v1, off, s[48:51], 0 offset:752 ; 4-byte Folded Spill
	v_and_b32_e32 v1, 0xffff0000, v6
	buffer_store_dword v1, off, s[48:51], 0 offset:756 ; 4-byte Folded Spill
	v_lshlrev_b32_e32 v1, 16, v6
	buffer_store_dword v1, off, s[48:51], 0 offset:760 ; 4-byte Folded Spill
	v_and_b32_e32 v1, 0xffff0000, v7
	buffer_store_dword v1, off, s[48:51], 0 offset:764 ; 4-byte Folded Spill
	v_lshlrev_b32_e32 v1, 16, v7
	buffer_store_dword v1, off, s[48:51], 0 offset:768 ; 4-byte Folded Spill
	v_and_b32_e32 v1, 0xffff0000, v8
	buffer_store_dword v1, off, s[48:51], 0 offset:772 ; 4-byte Folded Spill
	v_lshlrev_b32_e32 v1, 16, v8
	buffer_store_dword v1, off, s[48:51], 0 offset:776 ; 4-byte Folded Spill
	ds_read_b128 v[1:4], v0 offset:352
	ds_read_b128 v[5:8], v0 offset:368
	s_waitcnt lgkmcnt(1)
	v_and_b32_e32 v9, 0xffff0000, v1
	v_lshlrev_b32_e32 v1, 16, v1
	buffer_store_dword v9, off, s[48:51], 0 offset:780 ; 4-byte Folded Spill
	buffer_store_dword v1, off, s[48:51], 0 offset:784 ; 4-byte Folded Spill
	v_and_b32_e32 v1, 0xffff0000, v2
	buffer_store_dword v1, off, s[48:51], 0 offset:788 ; 4-byte Folded Spill
	v_lshlrev_b32_e32 v1, 16, v2
	buffer_store_dword v1, off, s[48:51], 0 offset:792 ; 4-byte Folded Spill
	v_and_b32_e32 v1, 0xffff0000, v3
	buffer_store_dword v1, off, s[48:51], 0 offset:796 ; 4-byte Folded Spill
	v_lshlrev_b32_e32 v1, 16, v3
	buffer_store_dword v1, off, s[48:51], 0 offset:800 ; 4-byte Folded Spill
	v_and_b32_e32 v1, 0xffff0000, v4
	buffer_store_dword v1, off, s[48:51], 0 offset:804 ; 4-byte Folded Spill
	v_lshlrev_b32_e32 v1, 16, v4
	buffer_store_dword v1, off, s[48:51], 0 offset:808 ; 4-byte Folded Spill
	s_waitcnt lgkmcnt(0)
	v_and_b32_e32 v1, 0xffff0000, v5
	buffer_store_dword v1, off, s[48:51], 0 offset:812 ; 4-byte Folded Spill
	v_lshlrev_b32_e32 v1, 16, v5
	buffer_store_dword v1, off, s[48:51], 0 offset:816 ; 4-byte Folded Spill
	v_and_b32_e32 v1, 0xffff0000, v6
	buffer_store_dword v1, off, s[48:51], 0 offset:820 ; 4-byte Folded Spill
	v_lshlrev_b32_e32 v1, 16, v6
	buffer_store_dword v1, off, s[48:51], 0 offset:824 ; 4-byte Folded Spill
	v_and_b32_e32 v1, 0xffff0000, v7
	buffer_store_dword v1, off, s[48:51], 0 offset:828 ; 4-byte Folded Spill
	v_lshlrev_b32_e32 v1, 16, v7
	buffer_store_dword v1, off, s[48:51], 0 offset:832 ; 4-byte Folded Spill
	v_and_b32_e32 v1, 0xffff0000, v8
	buffer_store_dword v1, off, s[48:51], 0 offset:836 ; 4-byte Folded Spill
	v_lshlrev_b32_e32 v1, 16, v8
	buffer_store_dword v1, off, s[48:51], 0 offset:840 ; 4-byte Folded Spill
	ds_read_b128 v[1:4], v0 offset:384
	ds_read_b128 v[5:8], v0 offset:400
	s_waitcnt lgkmcnt(1)
	v_and_b32_e32 v9, 0xffff0000, v1
	v_lshlrev_b32_e32 v1, 16, v1
	s_waitcnt lgkmcnt(0)
	v_lshlrev_b32_e32 v82, 16, v7
	v_and_b32_e32 v83, 0xffff0000, v8
	v_lshlrev_b32_e32 v84, 16, v8
	buffer_store_dword v9, off, s[48:51], 0 offset:844 ; 4-byte Folded Spill
	buffer_store_dword v1, off, s[48:51], 0 offset:848 ; 4-byte Folded Spill
	v_and_b32_e32 v1, 0xffff0000, v2
	buffer_store_dword v1, off, s[48:51], 0 offset:852 ; 4-byte Folded Spill
	v_lshlrev_b32_e32 v1, 16, v2
	buffer_store_dword v1, off, s[48:51], 0 offset:856 ; 4-byte Folded Spill
	v_and_b32_e32 v1, 0xffff0000, v3
	buffer_store_dword v1, off, s[48:51], 0 offset:860 ; 4-byte Folded Spill
	v_lshlrev_b32_e32 v1, 16, v3
	;; [unrolled: 4-line block ×5, first 2 shown]
	buffer_store_dword v1, off, s[48:51], 0 offset:888 ; 4-byte Folded Spill
	v_and_b32_e32 v1, 0xffff0000, v7
	buffer_store_dword v1, off, s[48:51], 0 offset:892 ; 4-byte Folded Spill
	ds_read_b128 v[1:4], v0 offset:416
	ds_read_b128 v[5:8], v0 offset:432
	s_waitcnt lgkmcnt(1)
	v_and_b32_e32 v85, 0xffff0000, v1
	v_lshlrev_b32_e32 v86, 16, v1
	v_and_b32_e32 v87, 0xffff0000, v2
	v_lshlrev_b32_e32 v88, 16, v2
	;; [unrolled: 2-line block ×4, first 2 shown]
	s_waitcnt lgkmcnt(0)
	v_and_b32_e32 v93, 0xffff0000, v5
	v_lshlrev_b32_e32 v94, 16, v5
	v_and_b32_e32 v95, 0xffff0000, v6
	v_lshlrev_b32_e32 v96, 16, v6
	;; [unrolled: 2-line block ×4, first 2 shown]
	ds_read_b128 v[1:4], v0 offset:448
	ds_read_b128 v[5:8], v0 offset:464
	s_waitcnt lgkmcnt(1)
	v_and_b32_e32 v101, 0xffff0000, v1
	v_lshlrev_b32_e32 v102, 16, v1
	v_and_b32_e32 v103, 0xffff0000, v2
	v_lshlrev_b32_e32 v104, 16, v2
	;; [unrolled: 2-line block ×4, first 2 shown]
	s_waitcnt lgkmcnt(0)
	v_and_b32_e32 v109, 0xffff0000, v5
	v_lshlrev_b32_e32 v110, 16, v5
	v_and_b32_e32 v111, 0xffff0000, v6
	v_lshlrev_b32_e32 v112, 16, v6
	;; [unrolled: 2-line block ×4, first 2 shown]
	ds_read_b128 v[1:4], v0 offset:480
	ds_read_b128 v[5:8], v0 offset:496
	s_waitcnt lgkmcnt(1)
	v_and_b32_e32 v121, 0xffff0000, v3
	v_lshlrev_b32_e32 v122, 16, v3
	v_and_b32_e32 v123, 0xffff0000, v4
	v_lshlrev_b32_e32 v124, 16, v4
	s_clause 0x1
	buffer_load_dword v3, off, s[48:51], 0
	buffer_load_dword v4, off, s[48:51], 0 offset:4
	v_and_b32_e32 v117, 0xffff0000, v1
	v_lshlrev_b32_e32 v118, 16, v1
	v_and_b32_e32 v119, 0xffff0000, v2
	v_lshlrev_b32_e32 v120, 16, v2
	s_waitcnt lgkmcnt(0)
	v_and_b32_e32 v126, 0xffff0000, v5
	v_lshlrev_b32_e32 v127, 16, v5
	v_and_b32_e32 v0, 0xffff0000, v6
	v_lshlrev_b32_e32 v45, 16, v6
	;; [unrolled: 2-line block ×4, first 2 shown]
	buffer_store_dword v25, off, s[48:51], 0 offset:904 ; 4-byte Folded Spill
	s_waitcnt vmcnt(1)
	v_mov_b32_e32 v56, v3
	s_waitcnt vmcnt(0)
	v_lshlrev_b64 v[1:2], 2, v[3:4]
	v_add_co_u32 v41, vcc_lo, s2, v1
	v_cvt_f32_u32_e32 v1, s5
	v_add_co_ci_u32_e64 v42, null, s3, v2, vcc_lo
	v_cmp_neq_f32_e64 vcc_lo, s40, 0
	v_rcp_iflag_f32_e32 v1, v1
	v_mul_f32_e32 v1, 0x4f7ffffe, v1
	v_cvt_u32_f32_e32 v1, v1
	v_mul_lo_u32 v2, s15, v1
	s_mov_b32 s15, 0
	v_mul_hi_u32 v2, v1, v2
	v_add_nc_u32_e32 v50, v1, v2
	buffer_load_dword v2, off, s[48:51], 0 offset:228 ; 4-byte Folded Reload
	s_waitcnt vmcnt(0)
	v_subrev_nc_u32_e32 v1, s27, v2
	v_add_nc_u32_e32 v51, 1, v1
	v_lshl_or_b32 v1, v59, 7, v25
	v_add_nc_u32_e32 v52, 0x220, v1
	v_lshlrev_b32_e32 v1, 4, v2
	v_add_co_u32 v53, s2, s44, v1
	v_add_co_ci_u32_e64 v54, null, s45, 0, s2
	s_branch .LBB179_12
.LBB179_11:                             ;   in Loop: Header=BB179_12 Depth=1
	s_or_b32 exec_lo, exec_lo, s44
	v_add_nc_u32_e32 v56, 4, v56
	v_add_co_u32 v41, s2, v41, 16
	v_add_co_ci_u32_e64 v42, null, 0, v42, s2
	v_cmp_le_i32_e64 s2, s16, v56
	v_add_nc_u32_e32 v55, 0x80, v55
	v_add_nc_u32_e32 v52, 0x200, v52
	s_or_b32 s15, s2, s15
	s_andn2_b32 exec_lo, exec_lo, s15
	s_cbranch_execz .LBB179_16
.LBB179_12:                             ; =>This Inner Loop Header: Depth=1
	v_sub_nc_u32_e32 v1, 0, v55
	v_max_i32_e32 v1, v55, v1
	v_mul_hi_u32 v2, v1, s12
	v_mul_lo_u32 v3, v2, s11
	v_sub_nc_u32_e32 v1, v1, v3
	v_add_nc_u32_e32 v3, 1, v2
	v_subrev_nc_u32_e32 v4, s11, v1
	v_cmp_le_u32_e64 s2, s11, v1
	v_cndmask_b32_e64 v2, v2, v3, s2
	v_cndmask_b32_e64 v1, v1, v4, s2
	v_ashrrev_i32_e32 v3, 31, v55
	v_add_nc_u32_e32 v4, 1, v2
	v_cmp_le_u32_e64 s2, s11, v1
	v_xor_b32_e32 v3, s19, v3
	v_cndmask_b32_e64 v1, v2, v4, s2
	v_xor_b32_e32 v1, v1, v3
	v_sub_nc_u32_e32 v1, v1, v3
	v_add_nc_u32_e32 v2, s33, v1
	v_cmp_ge_i32_e64 s3, s4, v1
	v_sub_nc_u32_e32 v3, 0, v2
	v_max_i32_e32 v3, v2, v3
	v_ashrrev_i32_e32 v2, 31, v2
	v_mul_hi_u32 v4, v3, v50
	v_mul_lo_u32 v4, v4, s5
	v_sub_nc_u32_e32 v3, v3, v4
	v_subrev_nc_u32_e32 v4, s5, v3
	v_cmp_le_u32_e64 s2, s5, v3
	v_cndmask_b32_e64 v3, v3, v4, s2
	v_subrev_nc_u32_e32 v4, s5, v3
	v_cmp_le_u32_e64 s2, s5, v3
	v_cndmask_b32_e64 v3, v3, v4, s2
	v_xor_b32_e32 v3, v3, v2
	v_sub_nc_u32_e32 v2, v3, v2
	v_cmp_ne_u32_e64 s2, 0, v2
	s_and_b32 s2, s2, s3
	s_and_saveexec_b32 s3, s2
	s_xor_b32 s2, exec_lo, s3
; %bb.13:                               ;   in Loop: Header=BB179_12 Depth=1
	v_mov_b32_e32 v1, 0xff7fffff
	ds_write_b32 v52, v1
; %bb.14:                               ;   in Loop: Header=BB179_12 Depth=1
	s_andn2_saveexec_b32 s44, s2
	s_cbranch_execz .LBB179_11
; %bb.15:                               ;   in Loop: Header=BB179_12 Depth=1
	global_load_dword v1, v[41:42], off
	buffer_load_dword v2, off, s[48:51], 0 offset:228 ; 4-byte Folded Reload
	s_waitcnt vmcnt(0)
	v_add_nc_u32_e32 v3, v2, v55
	v_mad_i64_i32 v[1:2], null, v1, s43, 0
	v_lshlrev_b64 v[1:2], 1, v[1:2]
	v_add_co_u32 v43, s2, v53, v1
	v_add_nc_u32_e32 v1, v51, v55
	v_add_co_ci_u32_e64 v44, null, v54, v2, s2
	v_cmp_gt_i32_e64 s2, s27, v3
	s_clause 0x3
	global_load_dwordx4 v[33:36], v[43:44], off
	global_load_dwordx4 v[29:32], v[43:44], off offset:512
	global_load_dwordx4 v[25:28], v[43:44], off offset:1024
	;; [unrolled: 1-line block ×3, first 2 shown]
	v_cvt_f32_i32_e32 v1, v1
	v_mul_f32_e32 v1, s40, v1
	v_cndmask_b32_e32 v57, 0, v1, vcc_lo
	v_add_co_u32 v1, s3, 0x800, v43
	v_add_co_ci_u32_e64 v2, null, 0, v44, s3
	v_add_co_u32 v3, s3, v43, 0x1000
	v_add_co_ci_u32_e64 v4, null, 0, v44, s3
	s_clause 0x3
	global_load_dwordx4 v[17:20], v[3:4], off offset:-2048
	global_load_dwordx4 v[13:16], v[1:2], off offset:512
	global_load_dwordx4 v[9:12], v[1:2], off offset:1024
	;; [unrolled: 1-line block ×3, first 2 shown]
	buffer_load_dword v58, off, s[48:51], 0 offset:48 ; 4-byte Folded Reload
	global_load_dwordx4 v[1:4], v[3:4], off
	v_add_co_u32 v37, s3, 0x1000, v43
	v_add_co_ci_u32_e64 v38, null, 0, v44, s3
	s_waitcnt vmcnt(9)
	v_lshlrev_b32_e32 v39, 16, v33
	s_waitcnt vmcnt(8)
	v_and_b32_e32 v40, 0xffff0000, v29
	v_lshlrev_b32_e32 v29, 16, v29
	v_and_b32_e32 v33, 0xffff0000, v33
	s_waitcnt vmcnt(1)
	v_mul_f32_e32 v58, v58, v29
	buffer_load_dword v29, off, s[48:51], 0 offset:32 ; 4-byte Folded Reload
	s_waitcnt vmcnt(0)
	v_mul_f32_e32 v59, v29, v40
	buffer_load_dword v29, off, s[48:51], 0 offset:12 ; 4-byte Folded Reload
	s_waitcnt vmcnt(0)
	v_fmac_f32_e32 v59, v29, v33
	s_clause 0x1
	buffer_load_dword v29, off, s[48:51], 0 offset:16
	buffer_load_dword v33, off, s[48:51], 0 offset:80
	s_waitcnt vmcnt(1)
	v_fmac_f32_e32 v58, v29, v39
	v_and_b32_e32 v29, 0xffff0000, v25
	v_lshlrev_b32_e32 v25, 16, v25
	s_waitcnt vmcnt(0)
	v_fmac_f32_e32 v58, v33, v25
	buffer_load_dword v25, off, s[48:51], 0 offset:64 ; 4-byte Folded Reload
	s_waitcnt vmcnt(0)
	v_fmac_f32_e32 v59, v25, v29
	buffer_load_dword v29, off, s[48:51], 0 offset:96 ; 4-byte Folded Reload
	v_lshlrev_b32_e32 v25, 16, v21
	v_and_b32_e32 v21, 0xffff0000, v21
	s_waitcnt vmcnt(0)
	v_fmac_f32_e32 v59, v29, v21
	buffer_load_dword v21, off, s[48:51], 0 offset:100 ; 4-byte Folded Reload
	s_waitcnt vmcnt(0)
	v_fmac_f32_e32 v58, v21, v25
	buffer_load_dword v25, off, s[48:51], 0 offset:108 ; 4-byte Folded Reload
	v_and_b32_e32 v21, 0xffff0000, v17
	v_lshlrev_b32_e32 v17, 16, v17
	s_waitcnt vmcnt(0)
	v_fmac_f32_e32 v58, v25, v17
	buffer_load_dword v17, off, s[48:51], 0 offset:104 ; 4-byte Folded Reload
	s_waitcnt vmcnt(0)
	v_fmac_f32_e32 v59, v17, v21
	buffer_load_dword v21, off, s[48:51], 0 offset:112 ; 4-byte Folded Reload
	v_lshlrev_b32_e32 v17, 16, v13
	v_and_b32_e32 v13, 0xffff0000, v13
	s_waitcnt vmcnt(0)
	v_fmac_f32_e32 v59, v21, v13
	buffer_load_dword v13, off, s[48:51], 0 offset:116 ; 4-byte Folded Reload
	s_waitcnt vmcnt(0)
	v_fmac_f32_e32 v58, v13, v17
	buffer_load_dword v17, off, s[48:51], 0 offset:272 ; 4-byte Folded Reload
	v_and_b32_e32 v13, 0xffff0000, v9
	v_lshlrev_b32_e32 v9, 16, v9
	s_waitcnt vmcnt(0)
	v_fmac_f32_e32 v58, v17, v9
	s_clause 0x1
	buffer_load_dword v9, off, s[48:51], 0 offset:268
	buffer_load_dword v17, off, s[48:51], 0 offset:132
	s_waitcnt vmcnt(1)
	v_fmac_f32_e32 v59, v9, v13
	buffer_load_dword v13, off, s[48:51], 0 offset:300 ; 4-byte Folded Reload
	v_lshlrev_b32_e32 v9, 16, v5
	v_and_b32_e32 v5, 0xffff0000, v5
	s_waitcnt vmcnt(0)
	v_fmac_f32_e32 v59, v13, v5
	buffer_load_dword v5, off, s[48:51], 0 offset:304 ; 4-byte Folded Reload
	v_lshlrev_b32_e32 v13, 16, v30
	v_mul_f32_e32 v61, v17, v13
	buffer_load_dword v13, off, s[48:51], 0 offset:128 ; 4-byte Folded Reload
	s_waitcnt vmcnt(1)
	v_fmac_f32_e32 v58, v5, v9
	buffer_load_dword v9, off, s[48:51], 0 offset:336 ; 4-byte Folded Reload
	v_and_b32_e32 v5, 0xffff0000, v1
	v_lshlrev_b32_e32 v1, 16, v1
	s_waitcnt vmcnt(0)
	v_fmac_f32_e32 v58, v9, v1
	buffer_load_dword v1, off, s[48:51], 0 offset:332 ; 4-byte Folded Reload
	v_and_b32_e32 v9, 0xffff0000, v30
	v_mul_f32_e32 v60, v13, v9
	buffer_load_dword v9, off, s[48:51], 0 offset:120 ; 4-byte Folded Reload
	s_waitcnt vmcnt(1)
	v_fmac_f32_e32 v59, v1, v5
	v_and_b32_e32 v5, 0xffff0000, v34
	v_lshlrev_b32_e32 v1, 16, v34
	s_waitcnt vmcnt(0)
	v_fmac_f32_e32 v60, v9, v5
	s_clause 0x1
	buffer_load_dword v5, off, s[48:51], 0 offset:124
	buffer_load_dword v9, off, s[48:51], 0 offset:140
	s_waitcnt vmcnt(1)
	v_fmac_f32_e32 v61, v5, v1
	v_lshlrev_b32_e32 v5, 16, v26
	v_and_b32_e32 v1, 0xffff0000, v26
	s_waitcnt vmcnt(0)
	v_fmac_f32_e32 v61, v9, v5
	s_clause 0x1
	buffer_load_dword v5, off, s[48:51], 0 offset:136
	buffer_load_dword v9, off, s[48:51], 0 offset:144
	s_waitcnt vmcnt(1)
	v_fmac_f32_e32 v60, v5, v1
	v_and_b32_e32 v5, 0xffff0000, v22
	v_lshlrev_b32_e32 v1, 16, v22
	s_waitcnt vmcnt(0)
	v_fmac_f32_e32 v60, v9, v5
	s_clause 0x1
	buffer_load_dword v5, off, s[48:51], 0 offset:148
	buffer_load_dword v9, off, s[48:51], 0 offset:156
	s_waitcnt vmcnt(1)
	v_fmac_f32_e32 v61, v5, v1
	v_lshlrev_b32_e32 v5, 16, v18
	v_and_b32_e32 v1, 0xffff0000, v18
	s_waitcnt vmcnt(0)
	v_fmac_f32_e32 v61, v9, v5
	s_clause 0x1
	buffer_load_dword v5, off, s[48:51], 0 offset:152
	buffer_load_dword v9, off, s[48:51], 0 offset:160
	;; [unrolled: 18-line block ×3, first 2 shown]
	s_waitcnt vmcnt(1)
	v_fmac_f32_e32 v60, v5, v1
	v_lshlrev_b32_e32 v1, 16, v6
	v_and_b32_e32 v5, 0xffff0000, v6
	buffer_load_dword v6, off, s[48:51], 0 offset:308 ; 4-byte Folded Reload
	s_waitcnt vmcnt(0)
	v_fmac_f32_e32 v60, v6, v5
	buffer_load_dword v5, off, s[48:51], 0 offset:312 ; 4-byte Folded Reload
	v_lshlrev_b32_e32 v6, 16, v31
	v_mul_f32_e32 v63, v9, v6
	buffer_load_dword v6, off, s[48:51], 0 offset:176 ; 4-byte Folded Reload
	s_waitcnt vmcnt(1)
	v_fmac_f32_e32 v61, v5, v1
	buffer_load_dword v5, off, s[48:51], 0 offset:344 ; 4-byte Folded Reload
	v_and_b32_e32 v1, 0xffff0000, v2
	v_lshlrev_b32_e32 v2, 16, v2
	s_waitcnt vmcnt(0)
	v_fmac_f32_e32 v61, v5, v2
	buffer_load_dword v2, off, s[48:51], 0 offset:340 ; 4-byte Folded Reload
	v_and_b32_e32 v5, 0xffff0000, v31
	v_mul_f32_e32 v62, v6, v5
	s_clause 0x1
	buffer_load_dword v5, off, s[48:51], 0 offset:168
	buffer_load_dword v6, off, s[48:51], 0 offset:208
	s_waitcnt vmcnt(2)
	v_fmac_f32_e32 v60, v2, v1
	v_and_b32_e32 v2, 0xffff0000, v35
	v_lshlrev_b32_e32 v1, 16, v35
	s_waitcnt vmcnt(1)
	v_fmac_f32_e32 v62, v5, v2
	s_clause 0x1
	buffer_load_dword v2, off, s[48:51], 0 offset:172
	buffer_load_dword v5, off, s[48:51], 0 offset:196
	s_waitcnt vmcnt(1)
	v_fmac_f32_e32 v63, v2, v1
	v_lshlrev_b32_e32 v2, 16, v27
	v_and_b32_e32 v1, 0xffff0000, v27
	s_waitcnt vmcnt(0)
	v_fmac_f32_e32 v63, v5, v2
	s_clause 0x1
	buffer_load_dword v2, off, s[48:51], 0 offset:184
	buffer_load_dword v5, off, s[48:51], 0 offset:200
	s_waitcnt vmcnt(1)
	v_fmac_f32_e32 v62, v2, v1
	v_and_b32_e32 v2, 0xffff0000, v23
	v_lshlrev_b32_e32 v1, 16, v23
	s_waitcnt vmcnt(0)
	v_fmac_f32_e32 v62, v5, v2
	s_clause 0x1
	buffer_load_dword v2, off, s[48:51], 0 offset:212
	buffer_load_dword v5, off, s[48:51], 0 offset:232
	s_waitcnt vmcnt(1)
	v_fmac_f32_e32 v63, v2, v1
	v_lshlrev_b32_e32 v2, 16, v19
	v_and_b32_e32 v1, 0xffff0000, v19
	s_waitcnt vmcnt(0)
	v_fmac_f32_e32 v63, v5, v2
	;; [unrolled: 18-line block ×3, first 2 shown]
	s_clause 0x1
	buffer_load_dword v2, off, s[48:51], 0 offset:284
	buffer_load_dword v5, off, s[48:51], 0 offset:316
	s_waitcnt vmcnt(1)
	v_fmac_f32_e32 v62, v2, v1
	v_and_b32_e32 v2, 0xffff0000, v7
	v_lshlrev_b32_e32 v1, 16, v7
	s_waitcnt vmcnt(0)
	v_fmac_f32_e32 v62, v5, v2
	buffer_load_dword v2, off, s[48:51], 0 offset:320 ; 4-byte Folded Reload
	v_lshlrev_b32_e32 v5, 16, v32
	v_mul_f32_e32 v65, v6, v5
	buffer_load_dword v5, off, s[48:51], 0 offset:204 ; 4-byte Folded Reload
	s_waitcnt vmcnt(1)
	v_fmac_f32_e32 v63, v2, v1
	v_and_b32_e32 v1, 0xffff0000, v3
	v_lshlrev_b32_e32 v2, 16, v3
	buffer_load_dword v3, off, s[48:51], 0 offset:352 ; 4-byte Folded Reload
	s_waitcnt vmcnt(0)
	v_fmac_f32_e32 v63, v3, v2
	buffer_load_dword v2, off, s[48:51], 0 offset:348 ; 4-byte Folded Reload
	v_and_b32_e32 v3, 0xffff0000, v32
	v_mul_f32_e32 v64, v5, v3
	buffer_load_dword v3, off, s[48:51], 0 offset:188 ; 4-byte Folded Reload
	s_waitcnt vmcnt(1)
	v_fmac_f32_e32 v62, v2, v1
	v_and_b32_e32 v2, 0xffff0000, v36
	v_lshlrev_b32_e32 v1, 16, v36
	global_load_dwordx4 v[33:36], v[37:38], off offset:1536
	s_waitcnt vmcnt(1)
	v_fmac_f32_e32 v64, v3, v2
	s_clause 0x1
	buffer_load_dword v2, off, s[48:51], 0 offset:192
	buffer_load_dword v3, off, s[48:51], 0 offset:224
	s_waitcnt vmcnt(1)
	v_fmac_f32_e32 v65, v2, v1
	v_lshlrev_b32_e32 v2, 16, v28
	v_and_b32_e32 v1, 0xffff0000, v28
	s_waitcnt vmcnt(0)
	v_fmac_f32_e32 v65, v3, v2
	s_clause 0x1
	buffer_load_dword v2, off, s[48:51], 0 offset:220
	buffer_load_dword v3, off, s[48:51], 0 offset:240
	s_waitcnt vmcnt(1)
	v_fmac_f32_e32 v64, v2, v1
	v_and_b32_e32 v2, 0xffff0000, v24
	v_lshlrev_b32_e32 v1, 16, v24
	s_waitcnt vmcnt(0)
	v_fmac_f32_e32 v64, v3, v2
	s_clause 0x1
	buffer_load_dword v2, off, s[48:51], 0 offset:244
	buffer_load_dword v3, off, s[48:51], 0 offset:256
	s_waitcnt vmcnt(1)
	v_fmac_f32_e32 v65, v2, v1
	v_lshlrev_b32_e32 v2, 16, v20
	v_and_b32_e32 v1, 0xffff0000, v20
	s_waitcnt vmcnt(0)
	v_fmac_f32_e32 v65, v3, v2
	s_clause 0x1
	buffer_load_dword v2, off, s[48:51], 0 offset:252
	buffer_load_dword v3, off, s[48:51], 0 offset:260
	s_waitcnt vmcnt(1)
	v_fmac_f32_e32 v64, v2, v1
	v_and_b32_e32 v2, 0xffff0000, v16
	v_lshlrev_b32_e32 v1, 16, v16
	;; [unrolled: 18-line block ×3, first 2 shown]
	s_waitcnt vmcnt(0)
	v_fmac_f32_e32 v64, v3, v2
	s_clause 0x1
	buffer_load_dword v2, off, s[48:51], 0 offset:328
	buffer_load_dword v3, off, s[48:51], 0 offset:360
	s_waitcnt vmcnt(1)
	v_fmac_f32_e32 v65, v2, v1
	v_lshlrev_b32_e32 v2, 16, v4
	v_and_b32_e32 v1, 0xffff0000, v4
	s_waitcnt vmcnt(0)
	v_fmac_f32_e32 v65, v3, v2
	buffer_load_dword v2, off, s[48:51], 0 offset:356 ; 4-byte Folded Reload
	s_waitcnt vmcnt(0)
	v_fmac_f32_e32 v64, v2, v1
	global_load_dwordx4 v[1:4], v[37:38], off offset:512
	s_waitcnt vmcnt(0)
	v_lshlrev_b32_e32 v72, 16, v1
	v_and_b32_e32 v73, 0xffff0000, v1
	v_lshlrev_b32_e32 v74, 16, v2
	v_and_b32_e32 v75, 0xffff0000, v2
	;; [unrolled: 2-line block ×4, first 2 shown]
	global_load_dwordx4 v[1:4], v[37:38], off offset:1024
	s_waitcnt vmcnt(0)
	v_and_b32_e32 v76, 0xffff0000, v1
	v_lshlrev_b32_e32 v77, 16, v1
	v_add_co_u32 v1, s3, 0x1800, v43
	v_and_b32_e32 v78, 0xffff0000, v2
	v_lshlrev_b32_e32 v79, 16, v2
	v_and_b32_e32 v70, 0xffff0000, v3
	v_lshlrev_b32_e32 v71, 16, v3
	v_add_co_ci_u32_e64 v2, null, 0, v44, s3
	v_add_co_u32 v3, s3, v43, 0x2000
	v_and_b32_e32 v66, 0xffff0000, v4
	v_lshlrev_b32_e32 v67, 16, v4
	v_add_co_ci_u32_e64 v4, null, 0, v44, s3
	s_clause 0x3
	global_load_dwordx4 v[29:32], v[3:4], off offset:-2048
	global_load_dwordx4 v[25:28], v[1:2], off offset:512
	global_load_dwordx4 v[21:24], v[1:2], off offset:1024
	;; [unrolled: 1-line block ×3, first 2 shown]
	v_add_co_u32 v1, s3, 0x2000, v43
	v_add_co_ci_u32_e64 v2, null, 0, v44, s3
	s_clause 0x3
	global_load_dwordx4 v[13:16], v[3:4], off
	global_load_dwordx4 v[9:12], v[1:2], off offset:512
	global_load_dwordx4 v[5:8], v[1:2], off offset:1024
	;; [unrolled: 1-line block ×3, first 2 shown]
	s_clause 0x1
	buffer_load_dword v37, off, s[48:51], 0 offset:364
	buffer_load_dword v38, off, s[48:51], 0 offset:428
	s_waitcnt vmcnt(1)
	v_fmac_f32_e32 v59, v37, v73
	buffer_load_dword v37, off, s[48:51], 0 offset:368 ; 4-byte Folded Reload
	s_waitcnt vmcnt(0)
	v_fmac_f32_e32 v58, v37, v72
	buffer_load_dword v37, off, s[48:51], 0 offset:400 ; 4-byte Folded Reload
	;; [unrolled: 3-line block ×3, first 2 shown]
	s_waitcnt vmcnt(0)
	v_fmac_f32_e32 v59, v37, v76
	v_lshlrev_b32_e32 v37, 16, v33
	v_and_b32_e32 v33, 0xffff0000, v33
	v_fmac_f32_e32 v59, v38, v33
	buffer_load_dword v33, off, s[48:51], 0 offset:432 ; 4-byte Folded Reload
	s_waitcnt vmcnt(0)
	v_fmac_f32_e32 v58, v33, v37
	buffer_load_dword v37, off, s[48:51], 0 offset:464 ; 4-byte Folded Reload
	v_and_b32_e32 v33, 0xffff0000, v29
	v_lshlrev_b32_e32 v29, 16, v29
	s_waitcnt vmcnt(0)
	v_fmac_f32_e32 v58, v37, v29
	buffer_load_dword v29, off, s[48:51], 0 offset:460 ; 4-byte Folded Reload
	s_waitcnt vmcnt(0)
	v_fmac_f32_e32 v59, v29, v33
	buffer_load_dword v33, off, s[48:51], 0 offset:492 ; 4-byte Folded Reload
	v_lshlrev_b32_e32 v29, 16, v25
	v_and_b32_e32 v25, 0xffff0000, v25
	s_waitcnt vmcnt(0)
	v_fmac_f32_e32 v59, v33, v25
	buffer_load_dword v25, off, s[48:51], 0 offset:496 ; 4-byte Folded Reload
	s_waitcnt vmcnt(0)
	v_fmac_f32_e32 v58, v25, v29
	buffer_load_dword v29, off, s[48:51], 0 offset:528 ; 4-byte Folded Reload
	v_and_b32_e32 v25, 0xffff0000, v21
	v_lshlrev_b32_e32 v21, 16, v21
	s_waitcnt vmcnt(0)
	v_fmac_f32_e32 v58, v29, v21
	buffer_load_dword v21, off, s[48:51], 0 offset:524 ; 4-byte Folded Reload
	s_waitcnt vmcnt(0)
	v_fmac_f32_e32 v59, v21, v25
	buffer_load_dword v25, off, s[48:51], 0 offset:556 ; 4-byte Folded Reload
	v_lshlrev_b32_e32 v21, 16, v17
	v_and_b32_e32 v17, 0xffff0000, v17
	s_waitcnt vmcnt(0)
	;; [unrolled: 16-line block ×4, first 2 shown]
	v_fmac_f32_e32 v59, v9, v1
	s_clause 0x1
	buffer_load_dword v1, off, s[48:51], 0 offset:688
	buffer_load_dword v9, off, s[48:51], 0 offset:436
	s_waitcnt vmcnt(1)
	v_fmac_f32_e32 v58, v1, v5
	buffer_load_dword v1, off, s[48:51], 0 offset:372 ; 4-byte Folded Reload
	v_and_b32_e32 v5, 0xffff0000, v34
	s_waitcnt vmcnt(0)
	v_fmac_f32_e32 v60, v1, v75
	buffer_load_dword v1, off, s[48:51], 0 offset:376 ; 4-byte Folded Reload
	s_waitcnt vmcnt(0)
	v_fmac_f32_e32 v61, v1, v74
	buffer_load_dword v1, off, s[48:51], 0 offset:408 ; 4-byte Folded Reload
	;; [unrolled: 3-line block ×3, first 2 shown]
	s_waitcnt vmcnt(0)
	v_fmac_f32_e32 v60, v1, v78
	v_lshlrev_b32_e32 v1, 16, v34
	v_fmac_f32_e32 v60, v9, v5
	s_clause 0x1
	buffer_load_dword v5, off, s[48:51], 0 offset:440
	buffer_load_dword v9, off, s[48:51], 0 offset:472
	s_waitcnt vmcnt(1)
	v_fmac_f32_e32 v61, v5, v1
	v_lshlrev_b32_e32 v5, 16, v30
	v_and_b32_e32 v1, 0xffff0000, v30
	s_waitcnt vmcnt(0)
	v_fmac_f32_e32 v61, v9, v5
	s_clause 0x1
	buffer_load_dword v5, off, s[48:51], 0 offset:468
	buffer_load_dword v9, off, s[48:51], 0 offset:500
	s_waitcnt vmcnt(1)
	v_fmac_f32_e32 v60, v5, v1
	v_and_b32_e32 v5, 0xffff0000, v26
	v_lshlrev_b32_e32 v1, 16, v26
	s_waitcnt vmcnt(0)
	v_fmac_f32_e32 v60, v9, v5
	s_clause 0x1
	buffer_load_dword v5, off, s[48:51], 0 offset:504
	buffer_load_dword v9, off, s[48:51], 0 offset:536
	s_waitcnt vmcnt(1)
	v_fmac_f32_e32 v61, v5, v1
	v_lshlrev_b32_e32 v5, 16, v22
	v_and_b32_e32 v1, 0xffff0000, v22
	s_waitcnt vmcnt(0)
	v_fmac_f32_e32 v61, v9, v5
	s_clause 0x1
	buffer_load_dword v5, off, s[48:51], 0 offset:532
	buffer_load_dword v9, off, s[48:51], 0 offset:564
	s_waitcnt vmcnt(1)
	v_fmac_f32_e32 v60, v5, v1
	v_and_b32_e32 v5, 0xffff0000, v18
	v_lshlrev_b32_e32 v1, 16, v18
	s_waitcnt vmcnt(0)
	v_fmac_f32_e32 v60, v9, v5
	s_clause 0x1
	buffer_load_dword v5, off, s[48:51], 0 offset:568
	buffer_load_dword v9, off, s[48:51], 0 offset:600
	s_waitcnt vmcnt(1)
	v_fmac_f32_e32 v61, v5, v1
	v_lshlrev_b32_e32 v5, 16, v14
	v_and_b32_e32 v1, 0xffff0000, v14
	s_waitcnt vmcnt(0)
	v_fmac_f32_e32 v61, v9, v5
	s_clause 0x1
	buffer_load_dword v5, off, s[48:51], 0 offset:596
	buffer_load_dword v9, off, s[48:51], 0 offset:628
	s_waitcnt vmcnt(1)
	v_fmac_f32_e32 v60, v5, v1
	v_and_b32_e32 v5, 0xffff0000, v10
	v_lshlrev_b32_e32 v1, 16, v10
	s_waitcnt vmcnt(0)
	v_fmac_f32_e32 v60, v9, v5
	buffer_load_dword v5, off, s[48:51], 0 offset:632 ; 4-byte Folded Reload
	s_waitcnt vmcnt(0)
	v_fmac_f32_e32 v61, v5, v1
	v_and_b32_e32 v1, 0xffff0000, v6
	v_lshlrev_b32_e32 v5, 16, v6
	buffer_load_dword v6, off, s[48:51], 0 offset:664 ; 4-byte Folded Reload
	s_waitcnt vmcnt(0)
	v_fmac_f32_e32 v61, v6, v5
	buffer_load_dword v5, off, s[48:51], 0 offset:660 ; 4-byte Folded Reload
	s_waitcnt vmcnt(0)
	v_fmac_f32_e32 v60, v5, v1
	buffer_load_dword v5, off, s[48:51], 0 offset:692 ; 4-byte Folded Reload
	v_lshlrev_b32_e32 v1, 16, v2
	v_and_b32_e32 v2, 0xffff0000, v2
	s_waitcnt vmcnt(0)
	v_fmac_f32_e32 v60, v5, v2
	s_clause 0x1
	buffer_load_dword v2, off, s[48:51], 0 offset:696
	buffer_load_dword v5, off, s[48:51], 0 offset:444
	s_waitcnt vmcnt(1)
	v_fmac_f32_e32 v61, v2, v1
	buffer_load_dword v1, off, s[48:51], 0 offset:380 ; 4-byte Folded Reload
	v_and_b32_e32 v2, 0xffff0000, v35
	s_waitcnt vmcnt(0)
	v_fmac_f32_e32 v62, v1, v69
	buffer_load_dword v1, off, s[48:51], 0 offset:384 ; 4-byte Folded Reload
	s_waitcnt vmcnt(0)
	v_fmac_f32_e32 v63, v1, v68
	buffer_load_dword v1, off, s[48:51], 0 offset:416 ; 4-byte Folded Reload
	;; [unrolled: 3-line block ×3, first 2 shown]
	s_waitcnt vmcnt(0)
	v_fmac_f32_e32 v62, v1, v70
	v_lshlrev_b32_e32 v1, 16, v35
	v_fmac_f32_e32 v62, v5, v2
	s_clause 0x1
	buffer_load_dword v2, off, s[48:51], 0 offset:448
	buffer_load_dword v5, off, s[48:51], 0 offset:480
	s_waitcnt vmcnt(1)
	v_fmac_f32_e32 v63, v2, v1
	v_lshlrev_b32_e32 v2, 16, v31
	v_and_b32_e32 v1, 0xffff0000, v31
	s_waitcnt vmcnt(0)
	v_fmac_f32_e32 v63, v5, v2
	s_clause 0x1
	buffer_load_dword v2, off, s[48:51], 0 offset:476
	buffer_load_dword v5, off, s[48:51], 0 offset:508
	s_waitcnt vmcnt(1)
	v_fmac_f32_e32 v62, v2, v1
	v_and_b32_e32 v2, 0xffff0000, v27
	v_lshlrev_b32_e32 v1, 16, v27
	s_waitcnt vmcnt(0)
	v_fmac_f32_e32 v62, v5, v2
	s_clause 0x1
	buffer_load_dword v2, off, s[48:51], 0 offset:512
	buffer_load_dword v5, off, s[48:51], 0 offset:544
	s_waitcnt vmcnt(1)
	v_fmac_f32_e32 v63, v2, v1
	v_lshlrev_b32_e32 v2, 16, v23
	v_and_b32_e32 v1, 0xffff0000, v23
	s_waitcnt vmcnt(0)
	v_fmac_f32_e32 v63, v5, v2
	s_clause 0x1
	buffer_load_dword v2, off, s[48:51], 0 offset:540
	buffer_load_dword v5, off, s[48:51], 0 offset:572
	s_waitcnt vmcnt(1)
	v_fmac_f32_e32 v62, v2, v1
	v_and_b32_e32 v2, 0xffff0000, v19
	v_lshlrev_b32_e32 v1, 16, v19
	s_waitcnt vmcnt(0)
	;; [unrolled: 18-line block ×3, first 2 shown]
	v_fmac_f32_e32 v62, v5, v2
	s_clause 0x1
	buffer_load_dword v2, off, s[48:51], 0 offset:640
	buffer_load_dword v5, off, s[48:51], 0 offset:672
	s_waitcnt vmcnt(1)
	v_fmac_f32_e32 v63, v2, v1
	v_lshlrev_b32_e32 v2, 16, v7
	v_and_b32_e32 v1, 0xffff0000, v7
	s_waitcnt vmcnt(0)
	v_fmac_f32_e32 v63, v5, v2
	buffer_load_dword v2, off, s[48:51], 0 offset:668 ; 4-byte Folded Reload
	v_add_co_u32 v5, s3, 0x2800, v43
	v_add_co_ci_u32_e64 v6, null, 0, v44, s3
	v_add_co_u32 v7, s3, v43, 0x3000
	s_waitcnt vmcnt(0)
	v_fmac_f32_e32 v62, v2, v1
	v_lshlrev_b32_e32 v1, 16, v3
	v_and_b32_e32 v2, 0xffff0000, v3
	buffer_load_dword v3, off, s[48:51], 0 offset:700 ; 4-byte Folded Reload
	s_waitcnt vmcnt(0)
	v_fmac_f32_e32 v62, v3, v2
	s_clause 0x1
	buffer_load_dword v2, off, s[48:51], 0 offset:704
	buffer_load_dword v3, off, s[48:51], 0 offset:452
	s_waitcnt vmcnt(1)
	v_fmac_f32_e32 v63, v2, v1
	buffer_load_dword v1, off, s[48:51], 0 offset:388 ; 4-byte Folded Reload
	v_and_b32_e32 v2, 0xffff0000, v36
	s_waitcnt vmcnt(0)
	v_fmac_f32_e32 v64, v1, v40
	buffer_load_dword v1, off, s[48:51], 0 offset:392 ; 4-byte Folded Reload
	s_waitcnt vmcnt(0)
	v_fmac_f32_e32 v65, v1, v39
	buffer_load_dword v1, off, s[48:51], 0 offset:424 ; 4-byte Folded Reload
	;; [unrolled: 3-line block ×3, first 2 shown]
	s_waitcnt vmcnt(0)
	v_fmac_f32_e32 v64, v1, v66
	v_lshlrev_b32_e32 v1, 16, v36
	v_fmac_f32_e32 v64, v3, v2
	s_clause 0x1
	buffer_load_dword v2, off, s[48:51], 0 offset:456
	buffer_load_dword v3, off, s[48:51], 0 offset:488
	s_waitcnt vmcnt(1)
	v_fmac_f32_e32 v65, v2, v1
	v_lshlrev_b32_e32 v2, 16, v32
	v_and_b32_e32 v1, 0xffff0000, v32
	s_waitcnt vmcnt(0)
	v_fmac_f32_e32 v65, v3, v2
	s_clause 0x1
	buffer_load_dword v2, off, s[48:51], 0 offset:484
	buffer_load_dword v3, off, s[48:51], 0 offset:516
	s_waitcnt vmcnt(1)
	v_fmac_f32_e32 v64, v2, v1
	v_and_b32_e32 v2, 0xffff0000, v28
	v_lshlrev_b32_e32 v1, 16, v28
	s_waitcnt vmcnt(0)
	v_fmac_f32_e32 v64, v3, v2
	s_clause 0x1
	buffer_load_dword v2, off, s[48:51], 0 offset:520
	buffer_load_dword v3, off, s[48:51], 0 offset:552
	s_waitcnt vmcnt(1)
	v_fmac_f32_e32 v65, v2, v1
	v_lshlrev_b32_e32 v2, 16, v24
	v_and_b32_e32 v1, 0xffff0000, v24
	s_waitcnt vmcnt(0)
	v_fmac_f32_e32 v65, v3, v2
	s_clause 0x1
	buffer_load_dword v2, off, s[48:51], 0 offset:548
	buffer_load_dword v3, off, s[48:51], 0 offset:580
	s_waitcnt vmcnt(1)
	v_fmac_f32_e32 v64, v2, v1
	v_and_b32_e32 v2, 0xffff0000, v20
	v_lshlrev_b32_e32 v1, 16, v20
	s_waitcnt vmcnt(0)
	;; [unrolled: 18-line block ×3, first 2 shown]
	v_fmac_f32_e32 v64, v3, v2
	s_clause 0x1
	buffer_load_dword v2, off, s[48:51], 0 offset:648
	buffer_load_dword v3, off, s[48:51], 0 offset:680
	s_waitcnt vmcnt(1)
	v_fmac_f32_e32 v65, v2, v1
	v_lshlrev_b32_e32 v2, 16, v8
	v_and_b32_e32 v1, 0xffff0000, v8
	v_add_co_ci_u32_e64 v8, null, 0, v44, s3
	s_waitcnt vmcnt(0)
	v_fmac_f32_e32 v65, v3, v2
	s_clause 0x1
	buffer_load_dword v2, off, s[48:51], 0 offset:676
	buffer_load_dword v3, off, s[48:51], 0 offset:708
	s_waitcnt vmcnt(1)
	v_fmac_f32_e32 v64, v2, v1
	v_and_b32_e32 v2, 0xffff0000, v4
	v_lshlrev_b32_e32 v1, 16, v4
	s_waitcnt vmcnt(0)
	v_fmac_f32_e32 v64, v3, v2
	buffer_load_dword v2, off, s[48:51], 0 offset:712 ; 4-byte Folded Reload
	s_waitcnt vmcnt(0)
	v_fmac_f32_e32 v65, v2, v1
	global_load_dwordx4 v[1:4], v[7:8], off offset:-2048
	s_waitcnt vmcnt(0)
	v_and_b32_e32 v76, 0xffff0000, v1
	v_lshlrev_b32_e32 v77, 16, v1
	v_and_b32_e32 v74, 0xffff0000, v2
	v_lshlrev_b32_e32 v75, 16, v2
	;; [unrolled: 2-line block ×4, first 2 shown]
	s_clause 0x2
	global_load_dwordx4 v[1:4], v[5:6], off offset:512
	global_load_dwordx4 v[37:40], v[5:6], off offset:1024
	;; [unrolled: 1-line block ×3, first 2 shown]
	s_waitcnt vmcnt(2)
	v_lshlrev_b32_e32 v78, 16, v1
	v_and_b32_e32 v79, 0xffff0000, v1
	v_add_co_u32 v1, s3, 0x3000, v43
	v_lshlrev_b32_e32 v80, 16, v2
	v_and_b32_e32 v81, 0xffff0000, v2
	v_add_co_ci_u32_e64 v2, null, 0, v44, s3
	s_clause 0x3
	global_load_dwordx4 v[33:36], v[7:8], off
	global_load_dwordx4 v[25:28], v[1:2], off offset:512
	global_load_dwordx4 v[21:24], v[1:2], off offset:1024
	;; [unrolled: 1-line block ×3, first 2 shown]
	v_add_co_u32 v1, s3, 0x3800, v43
	v_add_co_ci_u32_e64 v2, null, 0, v44, s3
	v_lshlrev_b32_e32 v72, 16, v3
	v_and_b32_e32 v73, 0xffff0000, v3
	v_lshlrev_b32_e32 v68, 16, v4
	v_and_b32_e32 v69, 0xffff0000, v4
	s_clause 0x3
	global_load_dwordx4 v[13:16], v[1:2], off
	global_load_dwordx4 v[9:12], v[1:2], off offset:512
	global_load_dwordx4 v[5:8], v[1:2], off offset:1024
	;; [unrolled: 1-line block ×3, first 2 shown]
	s_clause 0x1
	buffer_load_dword v43, off, s[48:51], 0 offset:720
	buffer_load_dword v44, off, s[48:51], 0 offset:784
	s_waitcnt vmcnt(1)
	v_fmac_f32_e32 v58, v43, v77
	buffer_load_dword v43, off, s[48:51], 0 offset:716 ; 4-byte Folded Reload
	s_waitcnt vmcnt(0)
	v_fmac_f32_e32 v59, v43, v76
	buffer_load_dword v43, off, s[48:51], 0 offset:748 ; 4-byte Folded Reload
	;; [unrolled: 3-line block ×3, first 2 shown]
	s_waitcnt vmcnt(0)
	v_fmac_f32_e32 v58, v43, v78
	v_and_b32_e32 v43, 0xffff0000, v37
	v_lshlrev_b32_e32 v37, 16, v37
	v_fmac_f32_e32 v58, v44, v37
	buffer_load_dword v37, off, s[48:51], 0 offset:780 ; 4-byte Folded Reload
	s_waitcnt vmcnt(0)
	v_fmac_f32_e32 v59, v37, v43
	buffer_load_dword v43, off, s[48:51], 0 offset:812 ; 4-byte Folded Reload
	v_lshlrev_b32_e32 v37, 16, v29
	v_and_b32_e32 v29, 0xffff0000, v29
	s_waitcnt vmcnt(0)
	v_fmac_f32_e32 v59, v43, v29
	buffer_load_dword v29, off, s[48:51], 0 offset:816 ; 4-byte Folded Reload
	s_waitcnt vmcnt(0)
	v_fmac_f32_e32 v58, v29, v37
	buffer_load_dword v37, off, s[48:51], 0 offset:848 ; 4-byte Folded Reload
	v_and_b32_e32 v29, 0xffff0000, v33
	v_lshlrev_b32_e32 v33, 16, v33
	s_waitcnt vmcnt(0)
	v_fmac_f32_e32 v58, v37, v33
	buffer_load_dword v33, off, s[48:51], 0 offset:844 ; 4-byte Folded Reload
	s_waitcnt vmcnt(0)
	v_fmac_f32_e32 v59, v33, v29
	buffer_load_dword v33, off, s[48:51], 0 offset:876 ; 4-byte Folded Reload
	v_lshlrev_b32_e32 v29, 16, v25
	v_and_b32_e32 v25, 0xffff0000, v25
	s_waitcnt vmcnt(0)
	v_fmac_f32_e32 v59, v25, v33
	buffer_load_dword v25, off, s[48:51], 0 offset:880 ; 4-byte Folded Reload
	s_waitcnt vmcnt(0)
	v_fmac_f32_e32 v58, v29, v25
	v_and_b32_e32 v25, 0xffff0000, v21
	v_lshlrev_b32_e32 v21, 16, v21
	v_fmac_f32_e32 v59, v25, v85
	v_fmac_f32_e32 v58, v21, v86
	v_lshlrev_b32_e32 v21, 16, v17
	v_and_b32_e32 v17, 0xffff0000, v17
	v_fmac_f32_e32 v58, v21, v94
	v_fmac_f32_e32 v59, v17, v93
	v_and_b32_e32 v17, 0xffff0000, v13
	v_lshlrev_b32_e32 v13, 16, v13
	v_fmac_f32_e32 v59, v17, v101
	v_fmac_f32_e32 v58, v13, v102
	v_lshlrev_b32_e32 v13, 16, v9
	v_and_b32_e32 v9, 0xffff0000, v9
	v_fmac_f32_e32 v58, v13, v110
	v_fmac_f32_e32 v59, v9, v109
	v_and_b32_e32 v9, 0xffff0000, v5
	v_lshlrev_b32_e32 v5, 16, v5
	v_fmac_f32_e32 v59, v9, v117
	v_fmac_f32_e32 v58, v5, v118
	v_lshlrev_b32_e32 v5, 16, v1
	v_and_b32_e32 v1, 0xffff0000, v1
	buffer_load_dword v9, off, s[48:51], 0 offset:792 ; 4-byte Folded Reload
	v_fmac_f32_e32 v58, v5, v127
	v_fmac_f32_e32 v59, v1, v126
	buffer_load_dword v1, off, s[48:51], 0 offset:728 ; 4-byte Folded Reload
	v_lshlrev_b32_e32 v5, 16, v38
	s_waitcnt vmcnt(0)
	v_fmac_f32_e32 v61, v1, v75
	buffer_load_dword v1, off, s[48:51], 0 offset:724 ; 4-byte Folded Reload
	s_waitcnt vmcnt(0)
	v_fmac_f32_e32 v60, v1, v74
	buffer_load_dword v1, off, s[48:51], 0 offset:756 ; 4-byte Folded Reload
	;; [unrolled: 3-line block ×3, first 2 shown]
	s_waitcnt vmcnt(0)
	v_fmac_f32_e32 v61, v1, v80
	v_and_b32_e32 v1, 0xffff0000, v38
	v_fmac_f32_e32 v61, v9, v5
	s_clause 0x1
	buffer_load_dword v5, off, s[48:51], 0 offset:788
	buffer_load_dword v9, off, s[48:51], 0 offset:820
	s_waitcnt vmcnt(1)
	v_fmac_f32_e32 v60, v5, v1
	v_and_b32_e32 v5, 0xffff0000, v30
	v_lshlrev_b32_e32 v1, 16, v30
	s_waitcnt vmcnt(0)
	v_fmac_f32_e32 v60, v9, v5
	s_clause 0x1
	buffer_load_dword v5, off, s[48:51], 0 offset:824
	buffer_load_dword v9, off, s[48:51], 0 offset:856
	s_waitcnt vmcnt(1)
	v_fmac_f32_e32 v61, v5, v1
	v_lshlrev_b32_e32 v5, 16, v34
	v_and_b32_e32 v1, 0xffff0000, v34
	s_waitcnt vmcnt(0)
	v_fmac_f32_e32 v61, v9, v5
	s_clause 0x1
	buffer_load_dword v5, off, s[48:51], 0 offset:852
	buffer_load_dword v9, off, s[48:51], 0 offset:884
	s_waitcnt vmcnt(1)
	v_fmac_f32_e32 v60, v5, v1
	v_and_b32_e32 v5, 0xffff0000, v26
	v_lshlrev_b32_e32 v1, 16, v26
	s_waitcnt vmcnt(0)
	v_fmac_f32_e32 v60, v5, v9
	buffer_load_dword v5, off, s[48:51], 0 offset:888 ; 4-byte Folded Reload
	s_waitcnt vmcnt(0)
	v_fmac_f32_e32 v61, v1, v5
	v_and_b32_e32 v1, 0xffff0000, v22
	v_lshlrev_b32_e32 v5, 16, v22
	v_fmac_f32_e32 v60, v1, v87
	v_fmac_f32_e32 v61, v5, v88
	v_lshlrev_b32_e32 v1, 16, v18
	v_and_b32_e32 v5, 0xffff0000, v18
	v_fmac_f32_e32 v61, v1, v96
	v_fmac_f32_e32 v60, v5, v95
	v_and_b32_e32 v1, 0xffff0000, v14
	v_lshlrev_b32_e32 v5, 16, v14
	v_fmac_f32_e32 v60, v1, v103
	v_fmac_f32_e32 v61, v5, v104
	v_lshlrev_b32_e32 v1, 16, v10
	v_and_b32_e32 v5, 0xffff0000, v10
	v_fmac_f32_e32 v61, v1, v112
	v_fmac_f32_e32 v60, v5, v111
	v_and_b32_e32 v1, 0xffff0000, v6
	v_lshlrev_b32_e32 v5, 16, v6
	v_fmac_f32_e32 v60, v1, v119
	v_fmac_f32_e32 v61, v5, v120
	v_lshlrev_b32_e32 v1, 16, v2
	v_and_b32_e32 v2, 0xffff0000, v2
	buffer_load_dword v5, off, s[48:51], 0 offset:800 ; 4-byte Folded Reload
	v_fmac_f32_e32 v61, v1, v45
	buffer_load_dword v1, off, s[48:51], 0 offset:736 ; 4-byte Folded Reload
	v_fmac_f32_e32 v60, v2, v0
	v_lshlrev_b32_e32 v2, 16, v39
	s_waitcnt vmcnt(0)
	v_fmac_f32_e32 v63, v1, v71
	buffer_load_dword v1, off, s[48:51], 0 offset:732 ; 4-byte Folded Reload
	s_waitcnt vmcnt(0)
	v_fmac_f32_e32 v62, v1, v70
	buffer_load_dword v1, off, s[48:51], 0 offset:764 ; 4-byte Folded Reload
	;; [unrolled: 3-line block ×3, first 2 shown]
	s_waitcnt vmcnt(0)
	v_fmac_f32_e32 v63, v1, v72
	v_and_b32_e32 v1, 0xffff0000, v39
	v_fmac_f32_e32 v63, v5, v2
	s_clause 0x1
	buffer_load_dword v2, off, s[48:51], 0 offset:796
	buffer_load_dword v5, off, s[48:51], 0 offset:828
	s_waitcnt vmcnt(1)
	v_fmac_f32_e32 v62, v2, v1
	v_and_b32_e32 v2, 0xffff0000, v31
	v_lshlrev_b32_e32 v1, 16, v31
	s_waitcnt vmcnt(0)
	v_fmac_f32_e32 v62, v5, v2
	s_clause 0x1
	buffer_load_dword v2, off, s[48:51], 0 offset:832
	buffer_load_dword v5, off, s[48:51], 0 offset:864
	s_waitcnt vmcnt(1)
	v_fmac_f32_e32 v63, v2, v1
	v_lshlrev_b32_e32 v2, 16, v35
	v_and_b32_e32 v1, 0xffff0000, v35
	s_waitcnt vmcnt(0)
	v_fmac_f32_e32 v63, v5, v2
	s_clause 0x1
	buffer_load_dword v2, off, s[48:51], 0 offset:860
	buffer_load_dword v5, off, s[48:51], 0 offset:892
	s_waitcnt vmcnt(1)
	v_fmac_f32_e32 v62, v2, v1
	v_lshlrev_b32_e32 v1, 16, v27
	v_and_b32_e32 v2, 0xffff0000, v27
	v_fmac_f32_e32 v63, v1, v82
	s_waitcnt vmcnt(0)
	v_fmac_f32_e32 v62, v2, v5
	v_and_b32_e32 v1, 0xffff0000, v23
	v_lshlrev_b32_e32 v2, 16, v23
	v_fmac_f32_e32 v62, v1, v89
	v_fmac_f32_e32 v63, v2, v90
	v_lshlrev_b32_e32 v1, 16, v19
	v_and_b32_e32 v2, 0xffff0000, v19
	v_fmac_f32_e32 v63, v1, v98
	v_fmac_f32_e32 v62, v2, v97
	v_and_b32_e32 v1, 0xffff0000, v15
	v_lshlrev_b32_e32 v2, 16, v15
	v_fmac_f32_e32 v62, v1, v105
	v_fmac_f32_e32 v63, v2, v106
	v_lshlrev_b32_e32 v1, 16, v11
	v_and_b32_e32 v2, 0xffff0000, v11
	v_fmac_f32_e32 v63, v1, v114
	v_fmac_f32_e32 v62, v2, v113
	v_and_b32_e32 v1, 0xffff0000, v7
	v_lshlrev_b32_e32 v2, 16, v7
	v_fmac_f32_e32 v62, v1, v121
	v_fmac_f32_e32 v63, v2, v122
	v_lshlrev_b32_e32 v1, 16, v3
	v_and_b32_e32 v2, 0xffff0000, v3
	buffer_load_dword v3, off, s[48:51], 0 offset:808 ; 4-byte Folded Reload
	v_fmac_f32_e32 v63, v1, v47
	buffer_load_dword v1, off, s[48:51], 0 offset:744 ; 4-byte Folded Reload
	v_fmac_f32_e32 v62, v2, v46
	v_lshlrev_b32_e32 v2, 16, v40
	s_waitcnt vmcnt(0)
	v_fmac_f32_e32 v65, v1, v67
	buffer_load_dword v1, off, s[48:51], 0 offset:740 ; 4-byte Folded Reload
	s_waitcnt vmcnt(0)
	v_fmac_f32_e32 v64, v1, v66
	buffer_load_dword v1, off, s[48:51], 0 offset:772 ; 4-byte Folded Reload
	;; [unrolled: 3-line block ×3, first 2 shown]
	s_waitcnt vmcnt(0)
	v_fmac_f32_e32 v65, v1, v68
	v_and_b32_e32 v1, 0xffff0000, v40
	v_fmac_f32_e32 v65, v3, v2
	s_clause 0x1
	buffer_load_dword v2, off, s[48:51], 0 offset:804
	buffer_load_dword v3, off, s[48:51], 0 offset:836
	s_waitcnt vmcnt(1)
	v_fmac_f32_e32 v64, v2, v1
	v_and_b32_e32 v2, 0xffff0000, v32
	v_lshlrev_b32_e32 v1, 16, v32
	s_waitcnt vmcnt(0)
	v_fmac_f32_e32 v64, v3, v2
	s_clause 0x1
	buffer_load_dword v2, off, s[48:51], 0 offset:840
	buffer_load_dword v3, off, s[48:51], 0 offset:872
	s_waitcnt vmcnt(1)
	v_fmac_f32_e32 v65, v2, v1
	v_lshlrev_b32_e32 v2, 16, v36
	v_and_b32_e32 v1, 0xffff0000, v36
	s_waitcnt vmcnt(0)
	v_fmac_f32_e32 v65, v3, v2
	buffer_load_dword v2, off, s[48:51], 0 offset:868 ; 4-byte Folded Reload
	s_waitcnt vmcnt(0)
	v_fmac_f32_e32 v64, v2, v1
	v_lshlrev_b32_e32 v1, 16, v28
	v_and_b32_e32 v2, 0xffff0000, v28
	v_fmac_f32_e32 v65, v1, v84
	v_fmac_f32_e32 v64, v2, v83
	v_and_b32_e32 v1, 0xffff0000, v24
	v_lshlrev_b32_e32 v2, 16, v24
	v_fmac_f32_e32 v64, v1, v91
	v_fmac_f32_e32 v65, v2, v92
	v_lshlrev_b32_e32 v1, 16, v20
	v_and_b32_e32 v2, 0xffff0000, v20
	v_fmac_f32_e32 v65, v1, v100
	v_fmac_f32_e32 v64, v2, v99
	v_and_b32_e32 v1, 0xffff0000, v16
	v_lshlrev_b32_e32 v2, 16, v16
	v_fmac_f32_e32 v64, v1, v107
	;; [unrolled: 8-line block ×3, first 2 shown]
	v_fmac_f32_e32 v65, v2, v124
	v_lshlrev_b32_e32 v1, 16, v4
	v_and_b32_e32 v2, 0xffff0000, v4
	v_fmac_f32_e32 v65, v1, v49
	v_add_f32_e32 v1, v58, v59
	v_fmac_f32_e32 v64, v2, v48
	v_add_f32_e32 v1, v1, v61
	v_add_f32_e32 v1, v60, v1
	;; [unrolled: 1-line block ×6, first 2 shown]
	v_fmac_f32_e32 v57, s37, v1
	v_cndmask_b32_e64 v1, 0, v57, s2
	ds_write_b32 v52, v1
	v_max_f32_e32 v1, v125, v125
	v_max_f32_e32 v1, v1, v57
	v_cndmask_b32_e64 v125, v125, v1, s2
	s_branch .LBB179_11
.LBB179_16:
	s_or_b32 exec_lo, exec_lo, s15
	s_clause 0x2
	buffer_load_dword v58, off, s[48:51], 0 offset:896
	buffer_load_dword v59, off, s[48:51], 0 offset:900
	;; [unrolled: 1-line block ×3, first 2 shown]
.LBB179_17:
	s_or_b32 exec_lo, exec_lo, s42
	v_mbcnt_lo_u32_b32 v0, -1, 0
	v_max_f32_e32 v4, v125, v125
	v_xor_b32_e32 v1, 16, v0
	v_xor_b32_e32 v3, 8, v0
	v_cmp_gt_i32_e32 vcc_lo, 32, v1
	v_cndmask_b32_e32 v1, v0, v1, vcc_lo
	v_cmp_gt_i32_e32 vcc_lo, 32, v3
	v_lshlrev_b32_e32 v1, 2, v1
	v_cndmask_b32_e32 v3, v0, v3, vcc_lo
	ds_bpermute_b32 v2, v1, v125
	s_waitcnt lgkmcnt(0)
	v_max_f32_e32 v5, v2, v2
	v_lshlrev_b32_e32 v2, 2, v3
	v_max_f32_e32 v3, v4, v5
	v_xor_b32_e32 v5, 4, v0
	ds_bpermute_b32 v4, v2, v3
	v_cmp_gt_i32_e32 vcc_lo, 32, v5
	v_cndmask_b32_e32 v5, v0, v5, vcc_lo
	s_waitcnt lgkmcnt(0)
	v_max_f32_e32 v6, v4, v4
	v_lshlrev_b32_e32 v4, 2, v5
	v_max_f32_e32 v3, v3, v6
	v_xor_b32_e32 v6, 2, v0
	ds_bpermute_b32 v5, v4, v3
	v_cmp_gt_i32_e32 vcc_lo, 32, v6
	v_cndmask_b32_e32 v6, v0, v6, vcc_lo
	v_lshlrev_b32_e32 v39, 2, v6
	v_xor_b32_e32 v6, 1, v0
	v_cmp_gt_i32_e32 vcc_lo, 32, v6
	s_waitcnt lgkmcnt(0)
	v_max_f32_e32 v5, v5, v5
	v_cndmask_b32_e32 v6, v0, v6, vcc_lo
	v_max_f32_e32 v3, v3, v5
	v_lshlrev_b32_e32 v57, 2, v6
	ds_bpermute_b32 v5, v39, v3
	s_waitcnt lgkmcnt(0)
	v_max_f32_e32 v5, v5, v5
	v_max_f32_e32 v0, v3, v5
	buffer_load_dword v5, off, s[48:51], 0 offset:228 ; 4-byte Folded Reload
	ds_bpermute_b32 v3, v57, v0
	s_waitcnt vmcnt(0)
	v_cmp_eq_u32_e32 vcc_lo, 0, v5
	v_lshlrev_b32_e32 v5, 2, v59
	s_and_saveexec_b32 s2, vcc_lo
	s_cbranch_execz .LBB179_19
; %bb.18:
	s_waitcnt lgkmcnt(0)
	v_max_f32_e32 v3, v3, v3
	v_max_f32_e32 v0, v0, v0
	v_max_f32_e32 v0, v0, v3
	ds_write_b32 v5, v0 offset:512
.LBB179_19:
	s_or_b32 exec_lo, exec_lo, s2
	buffer_load_dword v0, off, s[48:51], 0 offset:228 ; 4-byte Folded Reload
	s_waitcnt vmcnt(0) lgkmcnt(0)
	s_waitcnt_vscnt null, 0x0
	s_barrier
	buffer_gl0_inv
	v_cmp_gt_u32_e64 s2, 4, v0
	v_mov_b32_e32 v0, 0xff7fffff
	s_and_saveexec_b32 s3, s2
; %bb.20:
	ds_read_b32 v0, v25 offset:512
; %bb.21:
	s_or_b32 exec_lo, exec_lo, s3
	s_waitcnt lgkmcnt(0)
	ds_bpermute_b32 v3, v39, v0
	v_max_f32_e32 v0, v0, v0
	v_mov_b32_e32 v6, 0
	s_sub_i32 s3, s16, s41
	s_lshl_b32 s3, s3, 5
	s_add_i32 s3, s3, s38
	s_min_i32 s3, s3, s27
	s_sub_i32 s5, s3, s38
	v_cmp_gt_i32_e64 s3, s5, v58
	s_waitcnt lgkmcnt(0)
	v_max_f32_e32 v3, v3, v3
	v_max_f32_e32 v0, v0, v3
	ds_bpermute_b32 v3, v57, v0
	s_waitcnt lgkmcnt(0)
	v_max_f32_e32 v3, v3, v3
	v_max_f32_e32 v0, v0, v3
	v_lshl_add_u32 v3, v58, 2, 0x220
	ds_bpermute_b32 v0, v6, v0
	s_and_saveexec_b32 s15, s3
	s_cbranch_execz .LBB179_25
; %bb.22:
	v_lshl_add_u32 v7, v58, 2, 0x220
	v_mov_b32_e32 v6, 0
	v_mov_b32_e32 v8, v58
	s_mov_b32 s37, 0
	.p2align	6
.LBB179_23:                             ; =>This Inner Loop Header: Depth=1
	ds_read_b32 v9, v7
	v_add_nc_u32_e32 v8, 0x80, v8
	v_cmp_le_i32_e64 s4, s5, v8
	s_or_b32 s37, s4, s37
	s_waitcnt lgkmcnt(0)
	v_sub_f32_e32 v9, v9, v0
	v_mul_f32_e32 v9, 0x3fb8aa3b, v9
	v_exp_f32_e32 v9, v9
	ds_write_b32 v7, v9
	v_add_f32_e32 v6, v6, v9
	v_add_nc_u32_e32 v7, 0x200, v7
	s_andn2_b32 exec_lo, exec_lo, s37
	s_cbranch_execnz .LBB179_23
; %bb.24:
	s_or_b32 exec_lo, exec_lo, s37
.LBB179_25:
	s_or_b32 exec_lo, exec_lo, s15
	ds_bpermute_b32 v1, v1, v6
	s_waitcnt lgkmcnt(0)
	v_add_f32_e32 v1, v6, v1
	ds_bpermute_b32 v2, v2, v1
	s_waitcnt lgkmcnt(0)
	v_add_f32_e32 v1, v1, v2
	;; [unrolled: 3-line block ×5, first 2 shown]
	s_and_saveexec_b32 s4, vcc_lo
; %bb.26:
	ds_write_b32 v5, v1 offset:528
; %bb.27:
	s_or_b32 exec_lo, exec_lo, s4
	s_waitcnt lgkmcnt(0)
	s_barrier
	buffer_gl0_inv
	s_and_saveexec_b32 s4, s2
; %bb.28:
	ds_read_b32 v1, v25 offset:528
; %bb.29:
	s_or_b32 exec_lo, exec_lo, s4
	s_waitcnt lgkmcnt(0)
	ds_bpermute_b32 v2, v39, v1
	s_waitcnt lgkmcnt(0)
	v_add_f32_e32 v1, v1, v2
	ds_bpermute_b32 v2, v57, v1
	s_waitcnt lgkmcnt(0)
	v_add_f32_e32 v1, v1, v2
	v_mov_b32_e32 v2, 0
	ds_bpermute_b32 v1, v2, v1
	s_and_saveexec_b32 s2, s3
	s_cbranch_execz .LBB179_32
; %bb.30:
	s_waitcnt lgkmcnt(0)
	v_add_f32_e32 v2, 0x358637bd, v1
	s_mov_b32 s3, 0
	v_div_scale_f32 v4, null, v2, v2, 1.0
	v_div_scale_f32 v7, vcc_lo, 1.0, v2, 1.0
	v_rcp_f32_e32 v5, v4
	v_fma_f32 v6, -v4, v5, 1.0
	v_fmac_f32_e32 v5, v6, v5
	v_mul_f32_e32 v6, v7, v5
	v_fma_f32 v8, -v4, v6, v7
	v_fmac_f32_e32 v6, v8, v5
	v_fma_f32 v4, -v4, v6, v7
	v_div_fmas_f32 v4, v4, v5, v6
	v_div_fixup_f32 v2, v4, v2, 1.0
	v_mov_b32_e32 v4, v58
.LBB179_31:                             ; =>This Inner Loop Header: Depth=1
	ds_read_b32 v5, v3
	v_add_nc_u32_e32 v4, 0x80, v4
	v_cmp_le_i32_e32 vcc_lo, s5, v4
	s_or_b32 s3, vcc_lo, s3
	s_waitcnt lgkmcnt(0)
	v_mul_f32_e32 v5, v2, v5
	ds_write_b32 v3, v5
	v_add_nc_u32_e32 v3, 0x200, v3
	s_andn2_b32 exec_lo, exec_lo, s3
	s_cbranch_execnz .LBB179_31
.LBB179_32:
	s_or_b32 exec_lo, exec_lo, s2
	s_mul_i32 s2, s7, s26
	s_waitcnt lgkmcnt(0)
	s_mul_i32 s4, s2, s9
	s_mov_b32 s2, exec_lo
	s_barrier
	buffer_gl0_inv
	v_cmpx_eq_u32_e32 0, v58
	s_cbranch_execz .LBB179_34
; %bb.33:
	s_ashr_i32 s5, s4, 31
	s_mul_i32 s42, s7, s6
	s_lshl_b64 s[40:41], s[4:5], 2
	v_mov_b32_e32 v2, 0
	s_add_u32 s3, s22, s40
	s_addc_u32 s5, s23, s41
	s_ashr_i32 s43, s42, 31
	s_lshl_b64 s[22:23], s[42:43], 2
	s_add_u32 s3, s3, s22
	s_addc_u32 s5, s5, s23
	s_ashr_i32 s9, s8, 31
	s_lshl_b64 s[42:43], s[8:9], 2
	s_add_u32 s44, s3, s42
	s_addc_u32 s45, s5, s43
	s_add_u32 s3, s20, s40
	s_addc_u32 s5, s21, s41
	;; [unrolled: 2-line block ×4, first 2 shown]
	global_store_dword v2, v0, s[44:45]
	global_store_dword v2, v1, s[20:21]
.LBB179_34:
	s_or_b32 exec_lo, exec_lo, s2
	v_mov_b32_e32 v24, 0
	v_and_b32_e32 v60, 3, v58
	v_mov_b32_e32 v25, 0
	v_mov_b32_e32 v23, 0
	;; [unrolled: 1-line block ×31, first 2 shown]
	s_and_saveexec_b32 s5, s1
	s_cbranch_execz .LBB179_104
; %bb.35:
	buffer_store_dword v39, off, s[48:51], 0 offset:248 ; 4-byte Folded Spill
	buffer_store_dword v57, off, s[48:51], 0 offset:244 ; 4-byte Folded Spill
	s_clause 0x1
	buffer_load_dword v1, off, s[48:51], 0
	buffer_load_dword v2, off, s[48:51], 0 offset:4
	v_mov_b32_e32 v6, 0
	s_ashr_i32 s15, s14, 31
	s_sub_i32 s6, s39, s17
	s_lshl_b64 s[2:3], s[14:15], 1
	v_lshlrev_b32_e32 v3, 3, v58
	buffer_store_dword v6, off, s[48:51], 0 offset:96 ; 4-byte Folded Spill
	v_mov_b32_e32 v6, 0
	s_add_u32 s9, s34, s2
	s_addc_u32 s14, s35, s3
	s_abs_i32 s15, s18
	s_lshl_b64 s[2:3], s[30:31], 2
	buffer_store_dword v6, off, s[48:51], 0 offset:100 ; 4-byte Folded Spill
	v_mov_b32_e32 v6, 0
	v_cvt_f32_u32_e32 v4, s15
	s_sub_i32 s1, 0, s15
	s_add_i32 s17, s36, -1
	v_lshlrev_b32_e32 v5, 5, v60
	buffer_store_dword v6, off, s[48:51], 0 offset:104 ; 4-byte Folded Spill
	v_mov_b32_e32 v6, 0
	v_rcp_iflag_f32_e32 v4, v4
	v_and_b32_e32 v7, 0xf8, v3
	v_lshl_or_b32 v5, v59, 7, v5
	v_mov_b32_e32 v0, 0
	buffer_store_dword v6, off, s[48:51], 0 offset:108 ; 4-byte Folded Spill
	v_mov_b32_e32 v6, 0
	v_mov_b32_e32 v55, 0
	v_add_nc_u32_e32 v5, 0x220, v5
	v_mov_b32_e32 v106, 0
	v_mov_b32_e32 v107, 0
	buffer_store_dword v6, off, s[48:51], 0 offset:112 ; 4-byte Folded Spill
	v_mov_b32_e32 v6, 0
	v_mul_f32_e32 v4, 0x4f7ffffe, v4
	v_mov_b32_e32 v108, 0
	buffer_store_dword v5, off, s[48:51], 0 offset:12 ; 4-byte Folded Spill
	v_lshlrev_b32_e32 v5, 1, v7
	buffer_store_dword v6, off, s[48:51], 0 offset:116 ; 4-byte Folded Spill
	v_mov_b32_e32 v6, 0
	v_cvt_u32_f32_e32 v4, v4
	v_mov_b32_e32 v14, 0
	v_mov_b32_e32 v15, 0
	;; [unrolled: 1-line block ×3, first 2 shown]
	buffer_store_dword v6, off, s[48:51], 0 offset:120 ; 4-byte Folded Spill
	v_mov_b32_e32 v6, 0
	v_mov_b32_e32 v20, 0
	;; [unrolled: 1-line block ×5, first 2 shown]
	buffer_store_dword v6, off, s[48:51], 0 offset:124 ; 4-byte Folded Spill
	v_mov_b32_e32 v6, 0
	s_mov_b32 s20, s27
	s_mov_b32 s18, 0
	buffer_store_dword v60, off, s[48:51], 0 offset:252 ; 4-byte Folded Spill
	buffer_store_dword v5, off, s[48:51], 0 offset:236 ; 4-byte Folded Spill
	buffer_store_dword v6, off, s[48:51], 0 offset:128 ; 4-byte Folded Spill
	v_mov_b32_e32 v6, 0
	buffer_store_dword v6, off, s[48:51], 0 offset:132 ; 4-byte Folded Spill
	v_mov_b32_e32 v6, 0
	buffer_store_dword v6, off, s[48:51], 0 offset:136 ; 4-byte Folded Spill
	;; [unrolled: 2-line block ×3, first 2 shown]
	v_and_b32_e32 v6, 24, v3
	v_or_b32_e32 v3, 0x1f00, v3
	buffer_store_dword v6, off, s[48:51], 0 offset:232 ; 4-byte Folded Spill
	v_mul_lo_u32 v6, s1, v4
	s_add_u32 s1, s28, s2
	s_addc_u32 s2, s29, s3
	v_lshlrev_b32_e32 v3, 1, v3
	v_mul_hi_u32 v6, v4, v6
	buffer_store_dword v3, off, s[48:51], 0 offset:240 ; 4-byte Folded Spill
	s_waitcnt vmcnt(0)
	v_lshlrev_b64 v[1:2], 2, v[1:2]
	v_add_co_u32 v126, vcc_lo, s1, v1
	v_add_nc_u32_e32 v1, v4, v6
	v_add_co_ci_u32_e64 v127, null, s2, v2, vcc_lo
	buffer_store_dword v1, off, s[48:51], 0 offset:180 ; 4-byte Folded Spill
	v_mov_b32_e32 v1, 0
	buffer_store_dword v1, off, s[48:51], 0 offset:144 ; 4-byte Folded Spill
	v_mov_b32_e32 v1, 0
	;; [unrolled: 2-line block ×9, first 2 shown]
	buffer_store_dword v1, off, s[48:51], 0 offset:172 ; 4-byte Folded Spill
	buffer_load_dword v1, off, s[48:51], 0 offset:8 ; 4-byte Folded Reload
	s_branch .LBB179_38
.LBB179_36:                             ;   in Loop: Header=BB179_38 Depth=1
	s_or_b32 exec_lo, exec_lo, s2
	s_waitcnt lgkmcnt(1)
	v_bfe_u32 v13, v105, 16, 1
	v_or_b32_e32 v14, 0x400000, v105
	v_cmp_u_f32_e32 vcc_lo, v105, v105
	v_or_b32_e32 v15, 0x400000, v106
	v_or_b32_e32 v16, 0x400000, v107
	v_add3_u32 v13, v13, v105, 0x7fff
	v_or_b32_e32 v17, 0x400000, v108
	s_waitcnt lgkmcnt(0)
	v_or_b32_e32 v18, 0x400000, v101
	v_or_b32_e32 v19, 0x400000, v102
	;; [unrolled: 1-line block ×3, first 2 shown]
	v_cndmask_b32_e32 v13, v13, v14, vcc_lo
	v_bfe_u32 v14, v106, 16, 1
	v_cmp_u_f32_e32 vcc_lo, v106, v106
	v_and_b32_e32 v105, 0xffff0000, v13
	v_add3_u32 v14, v14, v106, 0x7fff
	v_cndmask_b32_e32 v14, v14, v15, vcc_lo
	v_bfe_u32 v15, v107, 16, 1
	v_cmp_u_f32_e32 vcc_lo, v107, v107
	v_add3_u32 v15, v15, v107, 0x7fff
	buffer_load_dword v107, off, s[48:51], 0 offset:192 ; 4-byte Folded Reload
	v_cndmask_b32_e32 v15, v15, v16, vcc_lo
	v_bfe_u32 v16, v108, 16, 1
	v_cmp_u_f32_e32 vcc_lo, v108, v108
	v_add3_u32 v16, v16, v108, 0x7fff
	buffer_load_dword v108, off, s[48:51], 0 offset:196 ; 4-byte Folded Reload
	v_cndmask_b32_e32 v16, v16, v17, vcc_lo
	v_bfe_u32 v17, v101, 16, 1
	v_cmp_u_f32_e32 vcc_lo, v101, v101
	v_add3_u32 v17, v17, v101, 0x7fff
	v_or_b32_e32 v101, 0x400000, v104
	v_cndmask_b32_e32 v17, v17, v18, vcc_lo
	v_bfe_u32 v18, v102, 16, 1
	v_cmp_u_f32_e32 vcc_lo, v102, v102
	v_add3_u32 v18, v18, v102, 0x7fff
	v_and_b32_e32 v102, 0xffff0000, v14
	v_and_b32_e32 v14, 0xffff0000, v9
	v_lshlrev_b32_e32 v9, 16, v9
	v_cndmask_b32_e32 v18, v18, v19, vcc_lo
	v_bfe_u32 v19, v103, 16, 1
	v_cmp_u_f32_e32 vcc_lo, v103, v103
	v_mul_f32_e32 v14, v102, v14
	v_mul_f32_e32 v9, v105, v9
	v_add3_u32 v19, v19, v103, 0x7fff
	v_or_b32_e32 v103, 0x400000, v14
	v_bfe_u32 v13, v9, 16, 1
	v_cndmask_b32_e32 v19, v19, v20, vcc_lo
	v_bfe_u32 v20, v104, 16, 1
	v_cmp_u_f32_e32 vcc_lo, v104, v104
	v_add3_u32 v13, v13, v9, 0x7fff
	v_add3_u32 v20, v20, v104, 0x7fff
	v_and_b32_e32 v104, 0xffff0000, v15
	v_cndmask_b32_e32 v20, v20, v101, vcc_lo
	v_bfe_u32 v101, v14, 16, 1
	v_cmp_u_f32_e32 vcc_lo, v14, v14
	v_add3_u32 v101, v101, v14, 0x7fff
	v_cndmask_b32_e32 v14, v101, v103, vcc_lo
	v_or_b32_e32 v101, 0x400000, v9
	v_cmp_u_f32_e32 vcc_lo, v9, v9
	v_and_b32_e32 v9, 0xffff0000, v10
	v_and_b32_e32 v14, 0xffff0000, v14
	v_cndmask_b32_e32 v13, v13, v101, vcc_lo
	v_and_b32_e32 v101, 0xffff0000, v16
	v_and_b32_e32 v13, 0xffff0000, v13
	v_mul_f32_e32 v9, v101, v9
	v_add_f32_e32 v13, v13, v14
	v_bfe_u32 v16, v9, 16, 1
	v_or_b32_e32 v103, 0x400000, v9
	v_cmp_u_f32_e32 vcc_lo, v9, v9
	v_add3_u32 v16, v16, v9, 0x7fff
	v_lshlrev_b32_e32 v9, 16, v10
	v_cndmask_b32_e32 v16, v16, v103, vcc_lo
	v_mul_f32_e32 v9, v104, v9
	v_bfe_u32 v10, v9, 16, 1
	v_or_b32_e32 v15, 0x400000, v9
	v_cmp_u_f32_e32 vcc_lo, v9, v9
	v_add3_u32 v10, v10, v9, 0x7fff
	v_and_b32_e32 v9, 0xffff0000, v11
	v_cndmask_b32_e32 v15, v10, v15, vcc_lo
	v_and_b32_e32 v10, 0xffff0000, v18
	v_and_b32_e32 v14, 0xffff0000, v15
	v_mul_f32_e32 v9, v10, v9
	v_and_b32_e32 v15, 0xffff0000, v16
	v_bfe_u32 v18, v9, 16, 1
	v_or_b32_e32 v103, 0x400000, v9
	v_cmp_u_f32_e32 vcc_lo, v9, v9
	v_add_f32_e32 v14, v14, v15
	v_add3_u32 v18, v18, v9, 0x7fff
	v_lshlrev_b32_e32 v9, 16, v11
	v_add_f32_e32 v13, v14, v13
	v_cndmask_b32_e32 v18, v18, v103, vcc_lo
	v_and_b32_e32 v103, 0xffff0000, v17
	v_and_b32_e32 v15, 0xffff0000, v18
	v_mul_f32_e32 v9, v103, v9
	buffer_load_dword v18, off, s[48:51], 0 offset:220 ; 4-byte Folded Reload
	v_bfe_u32 v11, v9, 16, 1
	v_or_b32_e32 v17, 0x400000, v9
	v_cmp_u_f32_e32 vcc_lo, v9, v9
	v_add3_u32 v11, v11, v9, 0x7fff
	v_and_b32_e32 v9, 0xffff0000, v20
	v_cndmask_b32_e32 v17, v11, v17, vcc_lo
	v_and_b32_e32 v11, 0xffff0000, v12
	v_lshlrev_b32_e32 v12, 16, v12
	v_and_b32_e32 v14, 0xffff0000, v17
	v_mul_f32_e32 v11, v9, v11
	v_add_f32_e32 v14, v14, v15
	v_bfe_u32 v20, v11, 16, 1
	v_or_b32_e32 v106, 0x400000, v11
	v_cmp_u_f32_e32 vcc_lo, v11, v11
	v_add_f32_e32 v13, v14, v13
	v_add3_u32 v20, v20, v11, 0x7fff
	v_and_b32_e32 v11, 0xffff0000, v19
	v_cndmask_b32_e32 v20, v20, v106, vcc_lo
	v_mul_f32_e32 v12, v11, v12
	v_and_b32_e32 v14, 0xffff0000, v20
	v_bfe_u32 v19, v12, 16, 1
	v_or_b32_e32 v106, 0x400000, v12
	v_cmp_u_f32_e32 vcc_lo, v12, v12
	buffer_load_dword v20, off, s[48:51], 0 offset:212 ; 4-byte Folded Reload
	v_add3_u32 v19, v19, v12, 0x7fff
	v_cndmask_b32_e32 v12, v19, v106, vcc_lo
	s_clause 0x1
	buffer_load_dword v106, off, s[48:51], 0 offset:188
	buffer_load_dword v19, off, s[48:51], 0 offset:224
	v_and_b32_e32 v12, 0xffff0000, v12
	v_add_f32_e32 v12, v12, v14
	v_add_f32_e32 v12, v12, v13
	s_waitcnt vmcnt(1)
	v_add_f32_e32 v106, v106, v12
	v_and_b32_e32 v12, 0xffff0000, v5
	v_lshlrev_b32_e32 v5, 16, v5
	v_mul_f32_e32 v12, v102, v12
	v_mul_f32_e32 v5, v105, v5
	v_bfe_u32 v13, v12, 16, 1
	v_or_b32_e32 v14, 0x400000, v12
	v_cmp_u_f32_e32 vcc_lo, v12, v12
	v_add3_u32 v13, v13, v12, 0x7fff
	v_cndmask_b32_e32 v12, v13, v14, vcc_lo
	v_bfe_u32 v13, v5, 16, 1
	v_or_b32_e32 v14, 0x400000, v5
	v_cmp_u_f32_e32 vcc_lo, v5, v5
	v_and_b32_e32 v12, 0xffff0000, v12
	v_add3_u32 v13, v13, v5, 0x7fff
	v_cndmask_b32_e32 v5, v13, v14, vcc_lo
	v_and_b32_e32 v13, 0xffff0000, v6
	v_lshlrev_b32_e32 v6, 16, v6
	v_and_b32_e32 v5, 0xffff0000, v5
	v_mul_f32_e32 v13, v101, v13
	v_mul_f32_e32 v6, v104, v6
	v_add_f32_e32 v5, v5, v12
	v_bfe_u32 v14, v13, 16, 1
	v_or_b32_e32 v15, 0x400000, v13
	v_cmp_u_f32_e32 vcc_lo, v13, v13
	v_add3_u32 v14, v14, v13, 0x7fff
	v_cndmask_b32_e32 v13, v14, v15, vcc_lo
	v_bfe_u32 v14, v6, 16, 1
	v_or_b32_e32 v15, 0x400000, v6
	v_cmp_u_f32_e32 vcc_lo, v6, v6
	v_and_b32_e32 v12, 0xffff0000, v13
	v_add3_u32 v14, v14, v6, 0x7fff
	v_cndmask_b32_e32 v6, v14, v15, vcc_lo
	v_and_b32_e32 v14, 0xffff0000, v7
	v_lshlrev_b32_e32 v7, 16, v7
	v_and_b32_e32 v6, 0xffff0000, v6
	v_mul_f32_e32 v14, v10, v14
	v_mul_f32_e32 v7, v103, v7
	v_add_f32_e32 v6, v6, v12
	v_bfe_u32 v15, v14, 16, 1
	v_or_b32_e32 v16, 0x400000, v14
	v_cmp_u_f32_e32 vcc_lo, v14, v14
	v_add_f32_e32 v5, v6, v5
	v_add3_u32 v15, v15, v14, 0x7fff
	v_cndmask_b32_e32 v14, v15, v16, vcc_lo
	v_bfe_u32 v15, v7, 16, 1
	v_or_b32_e32 v16, 0x400000, v7
	v_cmp_u_f32_e32 vcc_lo, v7, v7
	v_add3_u32 v15, v15, v7, 0x7fff
	v_cndmask_b32_e32 v7, v15, v16, vcc_lo
	v_and_b32_e32 v15, 0xffff0000, v8
	v_lshlrev_b32_e32 v8, 16, v8
	v_and_b32_e32 v6, 0xffff0000, v7
	v_mul_f32_e32 v15, v9, v15
	v_mul_f32_e32 v8, v11, v8
	v_and_b32_e32 v7, 0xffff0000, v14
	buffer_load_dword v14, off, s[48:51], 0 offset:200 ; 4-byte Folded Reload
	v_bfe_u32 v16, v15, 16, 1
	v_or_b32_e32 v17, 0x400000, v15
	v_cmp_u_f32_e32 vcc_lo, v15, v15
	v_add_f32_e32 v6, v6, v7
	v_add3_u32 v16, v16, v15, 0x7fff
	v_add_f32_e32 v5, v6, v5
	v_cndmask_b32_e32 v15, v16, v17, vcc_lo
	v_bfe_u32 v16, v8, 16, 1
	v_or_b32_e32 v17, 0x400000, v8
	v_cmp_u_f32_e32 vcc_lo, v8, v8
	v_and_b32_e32 v7, 0xffff0000, v15
	v_add3_u32 v16, v16, v8, 0x7fff
	buffer_load_dword v15, off, s[48:51], 0 offset:204 ; 4-byte Folded Reload
	v_cndmask_b32_e32 v8, v16, v17, vcc_lo
	s_clause 0x1
	buffer_load_dword v16, off, s[48:51], 0 offset:208
	buffer_load_dword v17, off, s[48:51], 0 offset:216
	v_and_b32_e32 v6, 0xffff0000, v8
	v_add_f32_e32 v6, v6, v7
	v_add_f32_e32 v5, v6, v5
	;; [unrolled: 1-line block ×3, first 2 shown]
	v_and_b32_e32 v5, 0xffff0000, v1
	v_lshlrev_b32_e32 v1, 16, v1
	v_mul_f32_e32 v5, v102, v5
	v_mul_f32_e32 v1, v105, v1
	v_bfe_u32 v6, v5, 16, 1
	v_or_b32_e32 v7, 0x400000, v5
	v_cmp_u_f32_e32 vcc_lo, v5, v5
	v_add3_u32 v6, v6, v5, 0x7fff
	v_cndmask_b32_e32 v5, v6, v7, vcc_lo
	v_bfe_u32 v6, v1, 16, 1
	v_or_b32_e32 v7, 0x400000, v1
	v_cmp_u_f32_e32 vcc_lo, v1, v1
	v_and_b32_e32 v5, 0xffff0000, v5
	v_add3_u32 v6, v6, v1, 0x7fff
	v_cndmask_b32_e32 v1, v6, v7, vcc_lo
	v_and_b32_e32 v6, 0xffff0000, v2
	v_lshlrev_b32_e32 v2, 16, v2
	v_and_b32_e32 v1, 0xffff0000, v1
	v_mul_f32_e32 v6, v101, v6
	v_mul_f32_e32 v2, v104, v2
	v_add_f32_e32 v1, v1, v5
	v_bfe_u32 v7, v6, 16, 1
	v_or_b32_e32 v8, 0x400000, v6
	v_cmp_u_f32_e32 vcc_lo, v6, v6
	v_add3_u32 v7, v7, v6, 0x7fff
	v_cndmask_b32_e32 v6, v7, v8, vcc_lo
	v_bfe_u32 v7, v2, 16, 1
	v_or_b32_e32 v8, 0x400000, v2
	v_cmp_u_f32_e32 vcc_lo, v2, v2
	v_and_b32_e32 v5, 0xffff0000, v6
	v_add3_u32 v7, v7, v2, 0x7fff
	v_cndmask_b32_e32 v2, v7, v8, vcc_lo
	v_and_b32_e32 v7, 0xffff0000, v3
	v_lshlrev_b32_e32 v3, 16, v3
	v_and_b32_e32 v2, 0xffff0000, v2
	v_mul_f32_e32 v7, v10, v7
	v_mul_f32_e32 v3, v103, v3
	v_add_f32_e32 v2, v2, v5
	v_bfe_u32 v8, v7, 16, 1
	v_or_b32_e32 v12, 0x400000, v7
	v_cmp_u_f32_e32 vcc_lo, v7, v7
	v_add_f32_e32 v1, v2, v1
	v_add3_u32 v8, v8, v7, 0x7fff
	v_cndmask_b32_e32 v7, v8, v12, vcc_lo
	v_bfe_u32 v8, v3, 16, 1
	v_or_b32_e32 v12, 0x400000, v3
	v_cmp_u_f32_e32 vcc_lo, v3, v3
	v_add3_u32 v8, v8, v3, 0x7fff
	v_cndmask_b32_e32 v3, v8, v12, vcc_lo
	v_and_b32_e32 v8, 0xffff0000, v4
	v_lshlrev_b32_e32 v4, 16, v4
	v_and_b32_e32 v2, 0xffff0000, v3
	v_mul_f32_e32 v8, v9, v8
	v_mul_f32_e32 v4, v11, v4
	v_and_b32_e32 v3, 0xffff0000, v7
	v_bfe_u32 v12, v8, 16, 1
	v_or_b32_e32 v13, 0x400000, v8
	v_cmp_u_f32_e32 vcc_lo, v8, v8
	v_add_f32_e32 v2, v2, v3
	v_add3_u32 v12, v12, v8, 0x7fff
	v_add_f32_e32 v1, v2, v1
	v_cndmask_b32_e32 v8, v12, v13, vcc_lo
	v_bfe_u32 v12, v4, 16, 1
	v_or_b32_e32 v13, 0x400000, v4
	v_cmp_u_f32_e32 vcc_lo, v4, v4
	v_and_b32_e32 v3, 0xffff0000, v8
	v_add3_u32 v12, v12, v4, 0x7fff
	v_cndmask_b32_e32 v4, v12, v13, vcc_lo
	v_and_b32_e32 v2, 0xffff0000, v4
	v_add_f32_e32 v2, v2, v3
	v_add_f32_e32 v1, v2, v1
	;; [unrolled: 1-line block ×3, first 2 shown]
	v_and_b32_e32 v1, 0xffff0000, v121
	v_mul_f32_e32 v1, v102, v1
	v_bfe_u32 v2, v1, 16, 1
	v_or_b32_e32 v3, 0x400000, v1
	v_cmp_u_f32_e32 vcc_lo, v1, v1
	v_add3_u32 v2, v2, v1, 0x7fff
	v_cndmask_b32_e32 v1, v2, v3, vcc_lo
	v_lshlrev_b32_e32 v2, 16, v121
	v_and_b32_e32 v1, 0xffff0000, v1
	v_mul_f32_e32 v2, v105, v2
	v_bfe_u32 v3, v2, 16, 1
	v_or_b32_e32 v4, 0x400000, v2
	v_cmp_u_f32_e32 vcc_lo, v2, v2
	v_add3_u32 v3, v3, v2, 0x7fff
	v_cndmask_b32_e32 v2, v3, v4, vcc_lo
	v_and_b32_e32 v3, 0xffff0000, v122
	v_and_b32_e32 v2, 0xffff0000, v2
	v_mul_f32_e32 v3, v101, v3
	v_add_f32_e32 v1, v2, v1
	v_bfe_u32 v4, v3, 16, 1
	v_or_b32_e32 v5, 0x400000, v3
	v_cmp_u_f32_e32 vcc_lo, v3, v3
	v_add3_u32 v4, v4, v3, 0x7fff
	v_cndmask_b32_e32 v3, v4, v5, vcc_lo
	v_lshlrev_b32_e32 v4, 16, v122
	v_and_b32_e32 v3, 0xffff0000, v3
	v_mul_f32_e32 v4, v104, v4
	v_bfe_u32 v5, v4, 16, 1
	v_or_b32_e32 v6, 0x400000, v4
	v_cmp_u_f32_e32 vcc_lo, v4, v4
	v_add3_u32 v5, v5, v4, 0x7fff
	v_cndmask_b32_e32 v4, v5, v6, vcc_lo
	v_and_b32_e32 v5, 0xffff0000, v123
	v_and_b32_e32 v2, 0xffff0000, v4
	v_mul_f32_e32 v5, v10, v5
	v_add_f32_e32 v2, v2, v3
	v_bfe_u32 v6, v5, 16, 1
	v_or_b32_e32 v7, 0x400000, v5
	v_cmp_u_f32_e32 vcc_lo, v5, v5
	v_add_f32_e32 v1, v2, v1
	v_add3_u32 v6, v6, v5, 0x7fff
	v_cndmask_b32_e32 v5, v6, v7, vcc_lo
	v_lshlrev_b32_e32 v6, 16, v123
	v_and_b32_e32 v3, 0xffff0000, v5
	v_mul_f32_e32 v6, v103, v6
	v_bfe_u32 v7, v6, 16, 1
	v_or_b32_e32 v8, 0x400000, v6
	v_cmp_u_f32_e32 vcc_lo, v6, v6
	v_add3_u32 v7, v7, v6, 0x7fff
	v_cndmask_b32_e32 v6, v7, v8, vcc_lo
	v_and_b32_e32 v7, 0xffff0000, v124
	v_and_b32_e32 v2, 0xffff0000, v6
	v_mul_f32_e32 v7, v9, v7
	v_add_f32_e32 v2, v2, v3
	v_bfe_u32 v8, v7, 16, 1
	v_or_b32_e32 v12, 0x400000, v7
	v_cmp_u_f32_e32 vcc_lo, v7, v7
	v_add_f32_e32 v1, v2, v1
	v_add3_u32 v8, v8, v7, 0x7fff
	v_cndmask_b32_e32 v7, v8, v12, vcc_lo
	v_lshlrev_b32_e32 v8, 16, v124
	v_and_b32_e32 v3, 0xffff0000, v7
	v_mul_f32_e32 v8, v11, v8
	v_bfe_u32 v12, v8, 16, 1
	v_or_b32_e32 v13, 0x400000, v8
	v_cmp_u_f32_e32 vcc_lo, v8, v8
	v_add3_u32 v12, v12, v8, 0x7fff
	v_cndmask_b32_e32 v8, v12, v13, vcc_lo
	v_and_b32_e32 v2, 0xffff0000, v8
	v_add_f32_e32 v2, v2, v3
	v_add_f32_e32 v1, v2, v1
	buffer_load_dword v2, off, s[48:51], 0 offset:96 ; 4-byte Folded Reload
	s_waitcnt vmcnt(0)
	v_add_f32_e32 v2, v2, v1
	v_and_b32_e32 v1, 0xffff0000, v117
	buffer_store_dword v2, off, s[48:51], 0 offset:96 ; 4-byte Folded Spill
	v_mul_f32_e32 v1, v102, v1
	v_bfe_u32 v2, v1, 16, 1
	v_or_b32_e32 v3, 0x400000, v1
	v_cmp_u_f32_e32 vcc_lo, v1, v1
	v_add3_u32 v2, v2, v1, 0x7fff
	v_cndmask_b32_e32 v1, v2, v3, vcc_lo
	v_lshlrev_b32_e32 v2, 16, v117
	v_and_b32_e32 v1, 0xffff0000, v1
	v_mul_f32_e32 v2, v105, v2
	v_bfe_u32 v3, v2, 16, 1
	v_or_b32_e32 v4, 0x400000, v2
	v_cmp_u_f32_e32 vcc_lo, v2, v2
	v_add3_u32 v3, v3, v2, 0x7fff
	v_cndmask_b32_e32 v2, v3, v4, vcc_lo
	v_and_b32_e32 v3, 0xffff0000, v118
	v_and_b32_e32 v2, 0xffff0000, v2
	v_mul_f32_e32 v3, v101, v3
	v_add_f32_e32 v1, v2, v1
	v_bfe_u32 v4, v3, 16, 1
	v_or_b32_e32 v5, 0x400000, v3
	v_cmp_u_f32_e32 vcc_lo, v3, v3
	v_add3_u32 v4, v4, v3, 0x7fff
	v_cndmask_b32_e32 v3, v4, v5, vcc_lo
	v_lshlrev_b32_e32 v4, 16, v118
	v_and_b32_e32 v3, 0xffff0000, v3
	v_mul_f32_e32 v4, v104, v4
	v_bfe_u32 v5, v4, 16, 1
	v_or_b32_e32 v6, 0x400000, v4
	v_cmp_u_f32_e32 vcc_lo, v4, v4
	v_add3_u32 v5, v5, v4, 0x7fff
	v_cndmask_b32_e32 v4, v5, v6, vcc_lo
	v_and_b32_e32 v5, 0xffff0000, v119
	v_and_b32_e32 v2, 0xffff0000, v4
	v_mul_f32_e32 v5, v10, v5
	v_add_f32_e32 v2, v2, v3
	v_bfe_u32 v6, v5, 16, 1
	v_or_b32_e32 v7, 0x400000, v5
	v_cmp_u_f32_e32 vcc_lo, v5, v5
	v_add_f32_e32 v1, v2, v1
	v_add3_u32 v6, v6, v5, 0x7fff
	v_cndmask_b32_e32 v5, v6, v7, vcc_lo
	v_lshlrev_b32_e32 v6, 16, v119
	v_and_b32_e32 v3, 0xffff0000, v5
	v_mul_f32_e32 v6, v103, v6
	v_bfe_u32 v7, v6, 16, 1
	v_or_b32_e32 v8, 0x400000, v6
	v_cmp_u_f32_e32 vcc_lo, v6, v6
	v_add3_u32 v7, v7, v6, 0x7fff
	v_cndmask_b32_e32 v6, v7, v8, vcc_lo
	v_and_b32_e32 v7, 0xffff0000, v120
	v_and_b32_e32 v2, 0xffff0000, v6
	v_mul_f32_e32 v7, v9, v7
	v_add_f32_e32 v2, v2, v3
	v_bfe_u32 v8, v7, 16, 1
	v_or_b32_e32 v12, 0x400000, v7
	v_cmp_u_f32_e32 vcc_lo, v7, v7
	v_add_f32_e32 v1, v2, v1
	v_add3_u32 v8, v8, v7, 0x7fff
	v_cndmask_b32_e32 v7, v8, v12, vcc_lo
	v_lshlrev_b32_e32 v8, 16, v120
	v_and_b32_e32 v3, 0xffff0000, v7
	v_mul_f32_e32 v8, v11, v8
	v_bfe_u32 v12, v8, 16, 1
	v_or_b32_e32 v13, 0x400000, v8
	v_cmp_u_f32_e32 vcc_lo, v8, v8
	v_add3_u32 v12, v12, v8, 0x7fff
	v_cndmask_b32_e32 v8, v12, v13, vcc_lo
	v_and_b32_e32 v2, 0xffff0000, v8
	v_add_f32_e32 v2, v2, v3
	v_add_f32_e32 v1, v2, v1
	buffer_load_dword v2, off, s[48:51], 0 offset:100 ; 4-byte Folded Reload
	s_waitcnt vmcnt(0)
	v_add_f32_e32 v2, v2, v1
	v_and_b32_e32 v1, 0xffff0000, v113
	buffer_store_dword v2, off, s[48:51], 0 offset:100 ; 4-byte Folded Spill
	v_mul_f32_e32 v1, v102, v1
	v_bfe_u32 v2, v1, 16, 1
	v_or_b32_e32 v3, 0x400000, v1
	v_cmp_u_f32_e32 vcc_lo, v1, v1
	v_add3_u32 v2, v2, v1, 0x7fff
	v_cndmask_b32_e32 v1, v2, v3, vcc_lo
	v_lshlrev_b32_e32 v2, 16, v113
	v_and_b32_e32 v1, 0xffff0000, v1
	v_mul_f32_e32 v2, v105, v2
	v_bfe_u32 v3, v2, 16, 1
	v_or_b32_e32 v4, 0x400000, v2
	v_cmp_u_f32_e32 vcc_lo, v2, v2
	v_add3_u32 v3, v3, v2, 0x7fff
	v_cndmask_b32_e32 v2, v3, v4, vcc_lo
	v_and_b32_e32 v3, 0xffff0000, v114
	v_and_b32_e32 v2, 0xffff0000, v2
	v_mul_f32_e32 v3, v101, v3
	v_add_f32_e32 v1, v2, v1
	v_bfe_u32 v4, v3, 16, 1
	v_or_b32_e32 v5, 0x400000, v3
	v_cmp_u_f32_e32 vcc_lo, v3, v3
	v_add3_u32 v4, v4, v3, 0x7fff
	v_cndmask_b32_e32 v3, v4, v5, vcc_lo
	v_lshlrev_b32_e32 v4, 16, v114
	v_and_b32_e32 v3, 0xffff0000, v3
	v_mul_f32_e32 v4, v104, v4
	v_bfe_u32 v5, v4, 16, 1
	v_or_b32_e32 v6, 0x400000, v4
	v_cmp_u_f32_e32 vcc_lo, v4, v4
	v_add3_u32 v5, v5, v4, 0x7fff
	v_cndmask_b32_e32 v4, v5, v6, vcc_lo
	v_and_b32_e32 v5, 0xffff0000, v115
	v_and_b32_e32 v2, 0xffff0000, v4
	v_mul_f32_e32 v5, v10, v5
	v_add_f32_e32 v2, v2, v3
	v_bfe_u32 v6, v5, 16, 1
	v_or_b32_e32 v7, 0x400000, v5
	v_cmp_u_f32_e32 vcc_lo, v5, v5
	v_add_f32_e32 v1, v2, v1
	v_add3_u32 v6, v6, v5, 0x7fff
	v_cndmask_b32_e32 v5, v6, v7, vcc_lo
	v_lshlrev_b32_e32 v6, 16, v115
	v_and_b32_e32 v3, 0xffff0000, v5
	v_mul_f32_e32 v6, v103, v6
	v_bfe_u32 v7, v6, 16, 1
	v_or_b32_e32 v8, 0x400000, v6
	v_cmp_u_f32_e32 vcc_lo, v6, v6
	v_add3_u32 v7, v7, v6, 0x7fff
	v_cndmask_b32_e32 v6, v7, v8, vcc_lo
	v_and_b32_e32 v7, 0xffff0000, v116
	v_and_b32_e32 v2, 0xffff0000, v6
	v_mul_f32_e32 v7, v9, v7
	v_add_f32_e32 v2, v2, v3
	v_bfe_u32 v8, v7, 16, 1
	v_or_b32_e32 v12, 0x400000, v7
	v_cmp_u_f32_e32 vcc_lo, v7, v7
	v_add_f32_e32 v1, v2, v1
	v_add3_u32 v8, v8, v7, 0x7fff
	v_cndmask_b32_e32 v7, v8, v12, vcc_lo
	v_lshlrev_b32_e32 v8, 16, v116
	v_and_b32_e32 v3, 0xffff0000, v7
	v_mul_f32_e32 v8, v11, v8
	v_bfe_u32 v12, v8, 16, 1
	v_or_b32_e32 v13, 0x400000, v8
	v_cmp_u_f32_e32 vcc_lo, v8, v8
	v_add3_u32 v12, v12, v8, 0x7fff
	v_cndmask_b32_e32 v8, v12, v13, vcc_lo
	v_and_b32_e32 v2, 0xffff0000, v8
	v_add_f32_e32 v2, v2, v3
	v_add_f32_e32 v1, v2, v1
	buffer_load_dword v2, off, s[48:51], 0 offset:104 ; 4-byte Folded Reload
	s_waitcnt vmcnt(0)
	v_add_f32_e32 v2, v2, v1
	v_and_b32_e32 v1, 0xffff0000, v109
	buffer_store_dword v2, off, s[48:51], 0 offset:104 ; 4-byte Folded Spill
	v_mul_f32_e32 v1, v102, v1
	v_bfe_u32 v2, v1, 16, 1
	v_or_b32_e32 v3, 0x400000, v1
	v_cmp_u_f32_e32 vcc_lo, v1, v1
	v_add3_u32 v2, v2, v1, 0x7fff
	v_cndmask_b32_e32 v1, v2, v3, vcc_lo
	v_lshlrev_b32_e32 v2, 16, v109
	v_and_b32_e32 v1, 0xffff0000, v1
	v_mul_f32_e32 v2, v105, v2
	v_bfe_u32 v3, v2, 16, 1
	v_or_b32_e32 v4, 0x400000, v2
	v_cmp_u_f32_e32 vcc_lo, v2, v2
	v_add3_u32 v3, v3, v2, 0x7fff
	v_cndmask_b32_e32 v2, v3, v4, vcc_lo
	v_and_b32_e32 v3, 0xffff0000, v110
	v_and_b32_e32 v2, 0xffff0000, v2
	v_mul_f32_e32 v3, v101, v3
	v_add_f32_e32 v1, v2, v1
	v_bfe_u32 v4, v3, 16, 1
	v_or_b32_e32 v5, 0x400000, v3
	v_cmp_u_f32_e32 vcc_lo, v3, v3
	v_add3_u32 v4, v4, v3, 0x7fff
	v_cndmask_b32_e32 v3, v4, v5, vcc_lo
	v_lshlrev_b32_e32 v4, 16, v110
	v_and_b32_e32 v3, 0xffff0000, v3
	v_mul_f32_e32 v4, v104, v4
	v_bfe_u32 v5, v4, 16, 1
	v_or_b32_e32 v6, 0x400000, v4
	v_cmp_u_f32_e32 vcc_lo, v4, v4
	v_add3_u32 v5, v5, v4, 0x7fff
	v_cndmask_b32_e32 v4, v5, v6, vcc_lo
	v_and_b32_e32 v5, 0xffff0000, v111
	v_and_b32_e32 v2, 0xffff0000, v4
	v_mul_f32_e32 v5, v10, v5
	v_add_f32_e32 v2, v2, v3
	v_bfe_u32 v6, v5, 16, 1
	v_or_b32_e32 v7, 0x400000, v5
	v_cmp_u_f32_e32 vcc_lo, v5, v5
	v_add_f32_e32 v1, v2, v1
	v_add3_u32 v6, v6, v5, 0x7fff
	v_cndmask_b32_e32 v5, v6, v7, vcc_lo
	v_lshlrev_b32_e32 v6, 16, v111
	v_and_b32_e32 v3, 0xffff0000, v5
	v_mul_f32_e32 v6, v103, v6
	v_bfe_u32 v7, v6, 16, 1
	v_or_b32_e32 v8, 0x400000, v6
	v_cmp_u_f32_e32 vcc_lo, v6, v6
	v_add3_u32 v7, v7, v6, 0x7fff
	v_cndmask_b32_e32 v6, v7, v8, vcc_lo
	v_and_b32_e32 v7, 0xffff0000, v112
	v_and_b32_e32 v2, 0xffff0000, v6
	v_mul_f32_e32 v7, v9, v7
	v_add_f32_e32 v2, v2, v3
	v_bfe_u32 v8, v7, 16, 1
	v_or_b32_e32 v12, 0x400000, v7
	v_cmp_u_f32_e32 vcc_lo, v7, v7
	v_add_f32_e32 v1, v2, v1
	v_add3_u32 v8, v8, v7, 0x7fff
	v_cndmask_b32_e32 v7, v8, v12, vcc_lo
	v_lshlrev_b32_e32 v8, 16, v112
	v_and_b32_e32 v3, 0xffff0000, v7
	v_mul_f32_e32 v8, v11, v8
	v_bfe_u32 v12, v8, 16, 1
	v_or_b32_e32 v13, 0x400000, v8
	v_cmp_u_f32_e32 vcc_lo, v8, v8
	v_add3_u32 v12, v12, v8, 0x7fff
	v_cndmask_b32_e32 v8, v12, v13, vcc_lo
	v_and_b32_e32 v2, 0xffff0000, v8
	v_add_f32_e32 v2, v2, v3
	v_add_f32_e32 v1, v2, v1
	buffer_load_dword v2, off, s[48:51], 0 offset:108 ; 4-byte Folded Reload
	s_waitcnt vmcnt(0)
	v_add_f32_e32 v2, v2, v1
	v_and_b32_e32 v1, 0xffff0000, v97
	buffer_store_dword v2, off, s[48:51], 0 offset:108 ; 4-byte Folded Spill
	v_mul_f32_e32 v1, v102, v1
	v_bfe_u32 v2, v1, 16, 1
	v_or_b32_e32 v3, 0x400000, v1
	v_cmp_u_f32_e32 vcc_lo, v1, v1
	v_add3_u32 v2, v2, v1, 0x7fff
	v_cndmask_b32_e32 v1, v2, v3, vcc_lo
	v_lshlrev_b32_e32 v2, 16, v97
	v_and_b32_e32 v1, 0xffff0000, v1
	v_mul_f32_e32 v2, v105, v2
	v_bfe_u32 v3, v2, 16, 1
	v_or_b32_e32 v4, 0x400000, v2
	v_cmp_u_f32_e32 vcc_lo, v2, v2
	v_add3_u32 v3, v3, v2, 0x7fff
	v_cndmask_b32_e32 v2, v3, v4, vcc_lo
	v_and_b32_e32 v3, 0xffff0000, v98
	v_and_b32_e32 v2, 0xffff0000, v2
	v_mul_f32_e32 v3, v101, v3
	v_add_f32_e32 v1, v2, v1
	v_bfe_u32 v4, v3, 16, 1
	v_or_b32_e32 v5, 0x400000, v3
	v_cmp_u_f32_e32 vcc_lo, v3, v3
	v_add3_u32 v4, v4, v3, 0x7fff
	v_cndmask_b32_e32 v3, v4, v5, vcc_lo
	v_lshlrev_b32_e32 v4, 16, v98
	v_and_b32_e32 v3, 0xffff0000, v3
	v_mul_f32_e32 v4, v104, v4
	v_bfe_u32 v5, v4, 16, 1
	v_or_b32_e32 v6, 0x400000, v4
	v_cmp_u_f32_e32 vcc_lo, v4, v4
	v_add3_u32 v5, v5, v4, 0x7fff
	v_cndmask_b32_e32 v4, v5, v6, vcc_lo
	v_and_b32_e32 v5, 0xffff0000, v99
	v_and_b32_e32 v2, 0xffff0000, v4
	v_mul_f32_e32 v5, v10, v5
	v_add_f32_e32 v2, v2, v3
	v_bfe_u32 v6, v5, 16, 1
	v_or_b32_e32 v7, 0x400000, v5
	v_cmp_u_f32_e32 vcc_lo, v5, v5
	v_add_f32_e32 v1, v2, v1
	v_add3_u32 v6, v6, v5, 0x7fff
	v_cndmask_b32_e32 v5, v6, v7, vcc_lo
	v_lshlrev_b32_e32 v6, 16, v99
	v_and_b32_e32 v3, 0xffff0000, v5
	v_mul_f32_e32 v6, v103, v6
	v_bfe_u32 v7, v6, 16, 1
	v_or_b32_e32 v8, 0x400000, v6
	v_cmp_u_f32_e32 vcc_lo, v6, v6
	v_add3_u32 v7, v7, v6, 0x7fff
	v_cndmask_b32_e32 v6, v7, v8, vcc_lo
	v_and_b32_e32 v7, 0xffff0000, v100
	v_and_b32_e32 v2, 0xffff0000, v6
	v_mul_f32_e32 v7, v9, v7
	v_add_f32_e32 v2, v2, v3
	v_bfe_u32 v8, v7, 16, 1
	v_or_b32_e32 v12, 0x400000, v7
	v_cmp_u_f32_e32 vcc_lo, v7, v7
	v_add_f32_e32 v1, v2, v1
	v_add3_u32 v8, v8, v7, 0x7fff
	v_cndmask_b32_e32 v7, v8, v12, vcc_lo
	v_lshlrev_b32_e32 v8, 16, v100
	v_and_b32_e32 v3, 0xffff0000, v7
	v_mul_f32_e32 v8, v11, v8
	v_bfe_u32 v12, v8, 16, 1
	v_or_b32_e32 v13, 0x400000, v8
	v_cmp_u_f32_e32 vcc_lo, v8, v8
	v_add3_u32 v12, v12, v8, 0x7fff
	v_cndmask_b32_e32 v8, v12, v13, vcc_lo
	v_and_b32_e32 v2, 0xffff0000, v8
	v_add_f32_e32 v2, v2, v3
	v_add_f32_e32 v1, v2, v1
	buffer_load_dword v2, off, s[48:51], 0 offset:112 ; 4-byte Folded Reload
	s_waitcnt vmcnt(0)
	v_add_f32_e32 v2, v2, v1
	v_and_b32_e32 v1, 0xffff0000, v93
	buffer_store_dword v2, off, s[48:51], 0 offset:112 ; 4-byte Folded Spill
	v_mul_f32_e32 v1, v102, v1
	v_bfe_u32 v2, v1, 16, 1
	v_or_b32_e32 v3, 0x400000, v1
	v_cmp_u_f32_e32 vcc_lo, v1, v1
	v_add3_u32 v2, v2, v1, 0x7fff
	v_cndmask_b32_e32 v1, v2, v3, vcc_lo
	v_lshlrev_b32_e32 v2, 16, v93
	v_and_b32_e32 v1, 0xffff0000, v1
	v_mul_f32_e32 v2, v105, v2
	v_bfe_u32 v3, v2, 16, 1
	v_or_b32_e32 v4, 0x400000, v2
	v_cmp_u_f32_e32 vcc_lo, v2, v2
	v_add3_u32 v3, v3, v2, 0x7fff
	v_cndmask_b32_e32 v2, v3, v4, vcc_lo
	v_and_b32_e32 v3, 0xffff0000, v94
	v_and_b32_e32 v2, 0xffff0000, v2
	v_mul_f32_e32 v3, v101, v3
	v_add_f32_e32 v1, v2, v1
	v_bfe_u32 v4, v3, 16, 1
	v_or_b32_e32 v5, 0x400000, v3
	v_cmp_u_f32_e32 vcc_lo, v3, v3
	v_add3_u32 v4, v4, v3, 0x7fff
	v_cndmask_b32_e32 v3, v4, v5, vcc_lo
	v_lshlrev_b32_e32 v4, 16, v94
	v_and_b32_e32 v3, 0xffff0000, v3
	v_mul_f32_e32 v4, v104, v4
	v_bfe_u32 v5, v4, 16, 1
	v_or_b32_e32 v6, 0x400000, v4
	v_cmp_u_f32_e32 vcc_lo, v4, v4
	v_add3_u32 v5, v5, v4, 0x7fff
	v_cndmask_b32_e32 v4, v5, v6, vcc_lo
	v_and_b32_e32 v5, 0xffff0000, v95
	v_and_b32_e32 v2, 0xffff0000, v4
	v_mul_f32_e32 v5, v10, v5
	v_add_f32_e32 v2, v2, v3
	v_bfe_u32 v6, v5, 16, 1
	v_or_b32_e32 v7, 0x400000, v5
	v_cmp_u_f32_e32 vcc_lo, v5, v5
	v_add_f32_e32 v1, v2, v1
	v_add3_u32 v6, v6, v5, 0x7fff
	v_cndmask_b32_e32 v5, v6, v7, vcc_lo
	v_lshlrev_b32_e32 v6, 16, v95
	v_and_b32_e32 v3, 0xffff0000, v5
	v_mul_f32_e32 v6, v103, v6
	v_bfe_u32 v7, v6, 16, 1
	v_or_b32_e32 v8, 0x400000, v6
	v_cmp_u_f32_e32 vcc_lo, v6, v6
	v_add3_u32 v7, v7, v6, 0x7fff
	v_cndmask_b32_e32 v6, v7, v8, vcc_lo
	v_and_b32_e32 v7, 0xffff0000, v96
	v_and_b32_e32 v2, 0xffff0000, v6
	v_mul_f32_e32 v7, v9, v7
	v_add_f32_e32 v2, v2, v3
	v_bfe_u32 v8, v7, 16, 1
	v_or_b32_e32 v12, 0x400000, v7
	v_cmp_u_f32_e32 vcc_lo, v7, v7
	v_add_f32_e32 v1, v2, v1
	v_add3_u32 v8, v8, v7, 0x7fff
	v_cndmask_b32_e32 v7, v8, v12, vcc_lo
	v_lshlrev_b32_e32 v8, 16, v96
	v_and_b32_e32 v3, 0xffff0000, v7
	v_mul_f32_e32 v8, v11, v8
	v_bfe_u32 v12, v8, 16, 1
	v_or_b32_e32 v13, 0x400000, v8
	v_cmp_u_f32_e32 vcc_lo, v8, v8
	v_add3_u32 v12, v12, v8, 0x7fff
	v_cndmask_b32_e32 v8, v12, v13, vcc_lo
	v_and_b32_e32 v2, 0xffff0000, v8
	v_add_f32_e32 v2, v2, v3
	v_add_f32_e32 v1, v2, v1
	buffer_load_dword v2, off, s[48:51], 0 offset:116 ; 4-byte Folded Reload
	s_waitcnt vmcnt(0)
	v_add_f32_e32 v2, v2, v1
	v_and_b32_e32 v1, 0xffff0000, v89
	buffer_store_dword v2, off, s[48:51], 0 offset:116 ; 4-byte Folded Spill
	v_mul_f32_e32 v1, v102, v1
	v_bfe_u32 v2, v1, 16, 1
	v_or_b32_e32 v3, 0x400000, v1
	v_cmp_u_f32_e32 vcc_lo, v1, v1
	v_add3_u32 v2, v2, v1, 0x7fff
	v_cndmask_b32_e32 v1, v2, v3, vcc_lo
	v_lshlrev_b32_e32 v2, 16, v89
	v_and_b32_e32 v1, 0xffff0000, v1
	v_mul_f32_e32 v2, v105, v2
	v_bfe_u32 v3, v2, 16, 1
	v_or_b32_e32 v4, 0x400000, v2
	v_cmp_u_f32_e32 vcc_lo, v2, v2
	v_add3_u32 v3, v3, v2, 0x7fff
	v_cndmask_b32_e32 v2, v3, v4, vcc_lo
	v_and_b32_e32 v3, 0xffff0000, v90
	v_and_b32_e32 v2, 0xffff0000, v2
	v_mul_f32_e32 v3, v101, v3
	v_add_f32_e32 v1, v2, v1
	v_bfe_u32 v4, v3, 16, 1
	v_or_b32_e32 v5, 0x400000, v3
	v_cmp_u_f32_e32 vcc_lo, v3, v3
	v_add3_u32 v4, v4, v3, 0x7fff
	v_cndmask_b32_e32 v3, v4, v5, vcc_lo
	v_lshlrev_b32_e32 v4, 16, v90
	v_and_b32_e32 v3, 0xffff0000, v3
	v_mul_f32_e32 v4, v104, v4
	v_bfe_u32 v5, v4, 16, 1
	v_or_b32_e32 v6, 0x400000, v4
	v_cmp_u_f32_e32 vcc_lo, v4, v4
	v_add3_u32 v5, v5, v4, 0x7fff
	v_cndmask_b32_e32 v4, v5, v6, vcc_lo
	v_and_b32_e32 v5, 0xffff0000, v91
	v_and_b32_e32 v2, 0xffff0000, v4
	v_mul_f32_e32 v5, v10, v5
	v_add_f32_e32 v2, v2, v3
	v_bfe_u32 v6, v5, 16, 1
	v_or_b32_e32 v7, 0x400000, v5
	v_cmp_u_f32_e32 vcc_lo, v5, v5
	v_add_f32_e32 v1, v2, v1
	v_add3_u32 v6, v6, v5, 0x7fff
	v_cndmask_b32_e32 v5, v6, v7, vcc_lo
	v_lshlrev_b32_e32 v6, 16, v91
	v_and_b32_e32 v3, 0xffff0000, v5
	v_mul_f32_e32 v6, v103, v6
	v_bfe_u32 v7, v6, 16, 1
	v_or_b32_e32 v8, 0x400000, v6
	v_cmp_u_f32_e32 vcc_lo, v6, v6
	v_add3_u32 v7, v7, v6, 0x7fff
	v_cndmask_b32_e32 v6, v7, v8, vcc_lo
	v_and_b32_e32 v7, 0xffff0000, v92
	v_and_b32_e32 v2, 0xffff0000, v6
	v_mul_f32_e32 v7, v9, v7
	v_add_f32_e32 v2, v2, v3
	v_bfe_u32 v8, v7, 16, 1
	v_or_b32_e32 v12, 0x400000, v7
	v_cmp_u_f32_e32 vcc_lo, v7, v7
	v_add_f32_e32 v1, v2, v1
	v_add3_u32 v8, v8, v7, 0x7fff
	v_cndmask_b32_e32 v7, v8, v12, vcc_lo
	v_lshlrev_b32_e32 v8, 16, v92
	v_and_b32_e32 v3, 0xffff0000, v7
	v_mul_f32_e32 v8, v11, v8
	v_bfe_u32 v12, v8, 16, 1
	v_or_b32_e32 v13, 0x400000, v8
	v_cmp_u_f32_e32 vcc_lo, v8, v8
	v_add3_u32 v12, v12, v8, 0x7fff
	v_cndmask_b32_e32 v8, v12, v13, vcc_lo
	v_and_b32_e32 v2, 0xffff0000, v8
	v_add_f32_e32 v2, v2, v3
	v_add_f32_e32 v1, v2, v1
	buffer_load_dword v2, off, s[48:51], 0 offset:120 ; 4-byte Folded Reload
	s_waitcnt vmcnt(0)
	v_add_f32_e32 v2, v2, v1
	v_and_b32_e32 v1, 0xffff0000, v85
	buffer_store_dword v2, off, s[48:51], 0 offset:120 ; 4-byte Folded Spill
	v_mul_f32_e32 v1, v102, v1
	v_bfe_u32 v2, v1, 16, 1
	v_or_b32_e32 v3, 0x400000, v1
	v_cmp_u_f32_e32 vcc_lo, v1, v1
	v_add3_u32 v2, v2, v1, 0x7fff
	v_cndmask_b32_e32 v1, v2, v3, vcc_lo
	v_lshlrev_b32_e32 v2, 16, v85
	v_and_b32_e32 v1, 0xffff0000, v1
	v_mul_f32_e32 v2, v105, v2
	v_bfe_u32 v3, v2, 16, 1
	v_or_b32_e32 v4, 0x400000, v2
	v_cmp_u_f32_e32 vcc_lo, v2, v2
	v_add3_u32 v3, v3, v2, 0x7fff
	v_cndmask_b32_e32 v2, v3, v4, vcc_lo
	v_and_b32_e32 v3, 0xffff0000, v86
	v_and_b32_e32 v2, 0xffff0000, v2
	v_mul_f32_e32 v3, v101, v3
	v_add_f32_e32 v1, v2, v1
	v_bfe_u32 v4, v3, 16, 1
	v_or_b32_e32 v5, 0x400000, v3
	v_cmp_u_f32_e32 vcc_lo, v3, v3
	v_add3_u32 v4, v4, v3, 0x7fff
	v_cndmask_b32_e32 v3, v4, v5, vcc_lo
	v_lshlrev_b32_e32 v4, 16, v86
	v_and_b32_e32 v3, 0xffff0000, v3
	v_mul_f32_e32 v4, v104, v4
	v_bfe_u32 v5, v4, 16, 1
	v_or_b32_e32 v6, 0x400000, v4
	v_cmp_u_f32_e32 vcc_lo, v4, v4
	v_add3_u32 v5, v5, v4, 0x7fff
	v_cndmask_b32_e32 v4, v5, v6, vcc_lo
	v_and_b32_e32 v5, 0xffff0000, v87
	v_and_b32_e32 v2, 0xffff0000, v4
	v_mul_f32_e32 v5, v10, v5
	v_add_f32_e32 v2, v2, v3
	v_bfe_u32 v6, v5, 16, 1
	v_or_b32_e32 v7, 0x400000, v5
	v_cmp_u_f32_e32 vcc_lo, v5, v5
	v_add_f32_e32 v1, v2, v1
	v_add3_u32 v6, v6, v5, 0x7fff
	v_cndmask_b32_e32 v5, v6, v7, vcc_lo
	v_lshlrev_b32_e32 v6, 16, v87
	v_and_b32_e32 v3, 0xffff0000, v5
	v_mul_f32_e32 v6, v103, v6
	v_bfe_u32 v7, v6, 16, 1
	v_or_b32_e32 v8, 0x400000, v6
	v_cmp_u_f32_e32 vcc_lo, v6, v6
	v_add3_u32 v7, v7, v6, 0x7fff
	v_cndmask_b32_e32 v6, v7, v8, vcc_lo
	v_and_b32_e32 v7, 0xffff0000, v88
	v_and_b32_e32 v2, 0xffff0000, v6
	v_mul_f32_e32 v7, v9, v7
	v_add_f32_e32 v2, v2, v3
	v_bfe_u32 v8, v7, 16, 1
	v_or_b32_e32 v12, 0x400000, v7
	v_cmp_u_f32_e32 vcc_lo, v7, v7
	v_add_f32_e32 v1, v2, v1
	v_add3_u32 v8, v8, v7, 0x7fff
	v_cndmask_b32_e32 v7, v8, v12, vcc_lo
	v_lshlrev_b32_e32 v8, 16, v88
	v_and_b32_e32 v3, 0xffff0000, v7
	v_mul_f32_e32 v8, v11, v8
	v_bfe_u32 v12, v8, 16, 1
	v_or_b32_e32 v13, 0x400000, v8
	v_cmp_u_f32_e32 vcc_lo, v8, v8
	v_add3_u32 v12, v12, v8, 0x7fff
	v_cndmask_b32_e32 v8, v12, v13, vcc_lo
	v_and_b32_e32 v2, 0xffff0000, v8
	v_add_f32_e32 v2, v2, v3
	v_add_f32_e32 v1, v2, v1
	buffer_load_dword v2, off, s[48:51], 0 offset:124 ; 4-byte Folded Reload
	s_waitcnt vmcnt(0)
	v_add_f32_e32 v2, v2, v1
	v_and_b32_e32 v1, 0xffff0000, v81
	buffer_store_dword v2, off, s[48:51], 0 offset:124 ; 4-byte Folded Spill
	v_mul_f32_e32 v1, v102, v1
	v_bfe_u32 v2, v1, 16, 1
	v_or_b32_e32 v3, 0x400000, v1
	v_cmp_u_f32_e32 vcc_lo, v1, v1
	v_add3_u32 v2, v2, v1, 0x7fff
	v_cndmask_b32_e32 v1, v2, v3, vcc_lo
	v_lshlrev_b32_e32 v2, 16, v81
	v_and_b32_e32 v1, 0xffff0000, v1
	v_mul_f32_e32 v2, v105, v2
	v_bfe_u32 v3, v2, 16, 1
	v_or_b32_e32 v4, 0x400000, v2
	v_cmp_u_f32_e32 vcc_lo, v2, v2
	v_add3_u32 v3, v3, v2, 0x7fff
	v_cndmask_b32_e32 v2, v3, v4, vcc_lo
	v_and_b32_e32 v3, 0xffff0000, v82
	v_and_b32_e32 v2, 0xffff0000, v2
	v_mul_f32_e32 v3, v101, v3
	v_add_f32_e32 v1, v2, v1
	v_bfe_u32 v4, v3, 16, 1
	v_or_b32_e32 v5, 0x400000, v3
	v_cmp_u_f32_e32 vcc_lo, v3, v3
	v_add3_u32 v4, v4, v3, 0x7fff
	v_cndmask_b32_e32 v3, v4, v5, vcc_lo
	v_lshlrev_b32_e32 v4, 16, v82
	v_and_b32_e32 v3, 0xffff0000, v3
	v_mul_f32_e32 v4, v104, v4
	v_bfe_u32 v5, v4, 16, 1
	v_or_b32_e32 v6, 0x400000, v4
	v_cmp_u_f32_e32 vcc_lo, v4, v4
	v_add3_u32 v5, v5, v4, 0x7fff
	v_cndmask_b32_e32 v4, v5, v6, vcc_lo
	v_and_b32_e32 v5, 0xffff0000, v83
	v_and_b32_e32 v2, 0xffff0000, v4
	v_mul_f32_e32 v5, v10, v5
	v_add_f32_e32 v2, v2, v3
	v_bfe_u32 v6, v5, 16, 1
	v_or_b32_e32 v7, 0x400000, v5
	v_cmp_u_f32_e32 vcc_lo, v5, v5
	v_add_f32_e32 v1, v2, v1
	v_add3_u32 v6, v6, v5, 0x7fff
	v_cndmask_b32_e32 v5, v6, v7, vcc_lo
	v_lshlrev_b32_e32 v6, 16, v83
	v_and_b32_e32 v3, 0xffff0000, v5
	v_mul_f32_e32 v6, v103, v6
	v_bfe_u32 v7, v6, 16, 1
	v_or_b32_e32 v8, 0x400000, v6
	v_cmp_u_f32_e32 vcc_lo, v6, v6
	v_add3_u32 v7, v7, v6, 0x7fff
	v_cndmask_b32_e32 v6, v7, v8, vcc_lo
	v_and_b32_e32 v7, 0xffff0000, v84
	v_and_b32_e32 v2, 0xffff0000, v6
	v_mul_f32_e32 v7, v9, v7
	v_add_f32_e32 v2, v2, v3
	v_bfe_u32 v8, v7, 16, 1
	v_or_b32_e32 v12, 0x400000, v7
	v_cmp_u_f32_e32 vcc_lo, v7, v7
	v_add_f32_e32 v1, v2, v1
	v_add3_u32 v8, v8, v7, 0x7fff
	v_cndmask_b32_e32 v7, v8, v12, vcc_lo
	v_lshlrev_b32_e32 v8, 16, v84
	v_and_b32_e32 v3, 0xffff0000, v7
	v_mul_f32_e32 v8, v11, v8
	v_bfe_u32 v12, v8, 16, 1
	v_or_b32_e32 v13, 0x400000, v8
	v_cmp_u_f32_e32 vcc_lo, v8, v8
	v_add3_u32 v12, v12, v8, 0x7fff
	v_cndmask_b32_e32 v8, v12, v13, vcc_lo
	v_and_b32_e32 v2, 0xffff0000, v8
	v_add_f32_e32 v2, v2, v3
	v_add_f32_e32 v1, v2, v1
	buffer_load_dword v2, off, s[48:51], 0 offset:128 ; 4-byte Folded Reload
	s_waitcnt vmcnt(0)
	v_add_f32_e32 v2, v2, v1
	v_and_b32_e32 v1, 0xffff0000, v77
	buffer_store_dword v2, off, s[48:51], 0 offset:128 ; 4-byte Folded Spill
	v_mul_f32_e32 v1, v102, v1
	v_bfe_u32 v2, v1, 16, 1
	v_or_b32_e32 v3, 0x400000, v1
	v_cmp_u_f32_e32 vcc_lo, v1, v1
	v_add3_u32 v2, v2, v1, 0x7fff
	v_cndmask_b32_e32 v1, v2, v3, vcc_lo
	v_lshlrev_b32_e32 v2, 16, v77
	v_and_b32_e32 v1, 0xffff0000, v1
	v_mul_f32_e32 v2, v105, v2
	v_bfe_u32 v3, v2, 16, 1
	v_or_b32_e32 v4, 0x400000, v2
	v_cmp_u_f32_e32 vcc_lo, v2, v2
	v_add3_u32 v3, v3, v2, 0x7fff
	v_cndmask_b32_e32 v2, v3, v4, vcc_lo
	v_and_b32_e32 v3, 0xffff0000, v78
	v_and_b32_e32 v2, 0xffff0000, v2
	v_mul_f32_e32 v3, v101, v3
	v_add_f32_e32 v1, v2, v1
	v_bfe_u32 v4, v3, 16, 1
	v_or_b32_e32 v5, 0x400000, v3
	v_cmp_u_f32_e32 vcc_lo, v3, v3
	v_add3_u32 v4, v4, v3, 0x7fff
	v_cndmask_b32_e32 v3, v4, v5, vcc_lo
	v_lshlrev_b32_e32 v4, 16, v78
	v_and_b32_e32 v3, 0xffff0000, v3
	v_mul_f32_e32 v4, v104, v4
	v_bfe_u32 v5, v4, 16, 1
	v_or_b32_e32 v6, 0x400000, v4
	v_cmp_u_f32_e32 vcc_lo, v4, v4
	v_add3_u32 v5, v5, v4, 0x7fff
	v_cndmask_b32_e32 v4, v5, v6, vcc_lo
	v_and_b32_e32 v5, 0xffff0000, v79
	v_and_b32_e32 v2, 0xffff0000, v4
	v_mul_f32_e32 v5, v10, v5
	v_add_f32_e32 v2, v2, v3
	v_bfe_u32 v6, v5, 16, 1
	v_or_b32_e32 v7, 0x400000, v5
	v_cmp_u_f32_e32 vcc_lo, v5, v5
	v_add_f32_e32 v1, v2, v1
	v_add3_u32 v6, v6, v5, 0x7fff
	v_cndmask_b32_e32 v5, v6, v7, vcc_lo
	v_lshlrev_b32_e32 v6, 16, v79
	v_and_b32_e32 v3, 0xffff0000, v5
	v_mul_f32_e32 v6, v103, v6
	v_bfe_u32 v7, v6, 16, 1
	v_or_b32_e32 v8, 0x400000, v6
	v_cmp_u_f32_e32 vcc_lo, v6, v6
	v_add3_u32 v7, v7, v6, 0x7fff
	v_cndmask_b32_e32 v6, v7, v8, vcc_lo
	v_and_b32_e32 v7, 0xffff0000, v80
	v_and_b32_e32 v2, 0xffff0000, v6
	v_mul_f32_e32 v7, v9, v7
	v_add_f32_e32 v2, v2, v3
	v_bfe_u32 v8, v7, 16, 1
	v_or_b32_e32 v12, 0x400000, v7
	v_cmp_u_f32_e32 vcc_lo, v7, v7
	v_add_f32_e32 v1, v2, v1
	v_add3_u32 v8, v8, v7, 0x7fff
	v_cndmask_b32_e32 v7, v8, v12, vcc_lo
	v_lshlrev_b32_e32 v8, 16, v80
	v_and_b32_e32 v3, 0xffff0000, v7
	v_mul_f32_e32 v8, v11, v8
	v_bfe_u32 v12, v8, 16, 1
	v_or_b32_e32 v13, 0x400000, v8
	v_cmp_u_f32_e32 vcc_lo, v8, v8
	v_add3_u32 v12, v12, v8, 0x7fff
	v_cndmask_b32_e32 v8, v12, v13, vcc_lo
	v_and_b32_e32 v2, 0xffff0000, v8
	v_add_f32_e32 v2, v2, v3
	v_add_f32_e32 v1, v2, v1
	buffer_load_dword v2, off, s[48:51], 0 offset:132 ; 4-byte Folded Reload
	s_waitcnt vmcnt(0)
	v_add_f32_e32 v2, v2, v1
	v_and_b32_e32 v1, 0xffff0000, v73
	buffer_store_dword v2, off, s[48:51], 0 offset:132 ; 4-byte Folded Spill
	v_mul_f32_e32 v1, v102, v1
	v_bfe_u32 v2, v1, 16, 1
	v_or_b32_e32 v3, 0x400000, v1
	v_cmp_u_f32_e32 vcc_lo, v1, v1
	v_add3_u32 v2, v2, v1, 0x7fff
	v_cndmask_b32_e32 v1, v2, v3, vcc_lo
	v_lshlrev_b32_e32 v2, 16, v73
	v_and_b32_e32 v1, 0xffff0000, v1
	v_mul_f32_e32 v2, v105, v2
	v_bfe_u32 v3, v2, 16, 1
	v_or_b32_e32 v4, 0x400000, v2
	v_cmp_u_f32_e32 vcc_lo, v2, v2
	v_add3_u32 v3, v3, v2, 0x7fff
	v_cndmask_b32_e32 v2, v3, v4, vcc_lo
	v_and_b32_e32 v3, 0xffff0000, v74
	v_and_b32_e32 v2, 0xffff0000, v2
	v_mul_f32_e32 v3, v101, v3
	v_add_f32_e32 v1, v2, v1
	v_bfe_u32 v4, v3, 16, 1
	v_or_b32_e32 v5, 0x400000, v3
	v_cmp_u_f32_e32 vcc_lo, v3, v3
	v_add3_u32 v4, v4, v3, 0x7fff
	v_cndmask_b32_e32 v3, v4, v5, vcc_lo
	v_lshlrev_b32_e32 v4, 16, v74
	v_and_b32_e32 v3, 0xffff0000, v3
	v_mul_f32_e32 v4, v104, v4
	v_bfe_u32 v5, v4, 16, 1
	v_or_b32_e32 v6, 0x400000, v4
	v_cmp_u_f32_e32 vcc_lo, v4, v4
	v_add3_u32 v5, v5, v4, 0x7fff
	v_cndmask_b32_e32 v4, v5, v6, vcc_lo
	v_and_b32_e32 v5, 0xffff0000, v75
	v_and_b32_e32 v2, 0xffff0000, v4
	v_mul_f32_e32 v5, v10, v5
	v_add_f32_e32 v2, v2, v3
	v_bfe_u32 v6, v5, 16, 1
	v_or_b32_e32 v7, 0x400000, v5
	v_cmp_u_f32_e32 vcc_lo, v5, v5
	v_add_f32_e32 v1, v2, v1
	v_add3_u32 v6, v6, v5, 0x7fff
	v_cndmask_b32_e32 v5, v6, v7, vcc_lo
	v_lshlrev_b32_e32 v6, 16, v75
	v_and_b32_e32 v3, 0xffff0000, v5
	v_mul_f32_e32 v6, v103, v6
	v_bfe_u32 v7, v6, 16, 1
	v_or_b32_e32 v8, 0x400000, v6
	v_cmp_u_f32_e32 vcc_lo, v6, v6
	v_add3_u32 v7, v7, v6, 0x7fff
	v_cndmask_b32_e32 v6, v7, v8, vcc_lo
	v_and_b32_e32 v7, 0xffff0000, v76
	v_and_b32_e32 v2, 0xffff0000, v6
	v_mul_f32_e32 v7, v9, v7
	v_add_f32_e32 v2, v2, v3
	v_bfe_u32 v8, v7, 16, 1
	v_or_b32_e32 v12, 0x400000, v7
	v_cmp_u_f32_e32 vcc_lo, v7, v7
	v_add_f32_e32 v1, v2, v1
	v_add3_u32 v8, v8, v7, 0x7fff
	v_cndmask_b32_e32 v7, v8, v12, vcc_lo
	v_lshlrev_b32_e32 v8, 16, v76
	v_and_b32_e32 v3, 0xffff0000, v7
	v_mul_f32_e32 v8, v11, v8
	v_bfe_u32 v12, v8, 16, 1
	v_or_b32_e32 v13, 0x400000, v8
	v_cmp_u_f32_e32 vcc_lo, v8, v8
	v_add3_u32 v12, v12, v8, 0x7fff
	v_cndmask_b32_e32 v8, v12, v13, vcc_lo
	v_and_b32_e32 v2, 0xffff0000, v8
	v_add_f32_e32 v2, v2, v3
	v_add_f32_e32 v1, v2, v1
	buffer_load_dword v2, off, s[48:51], 0 offset:136 ; 4-byte Folded Reload
	s_waitcnt vmcnt(0)
	v_add_f32_e32 v2, v2, v1
	v_and_b32_e32 v1, 0xffff0000, v69
	buffer_store_dword v2, off, s[48:51], 0 offset:136 ; 4-byte Folded Spill
	v_mul_f32_e32 v1, v102, v1
	v_bfe_u32 v2, v1, 16, 1
	v_or_b32_e32 v3, 0x400000, v1
	v_cmp_u_f32_e32 vcc_lo, v1, v1
	v_add3_u32 v2, v2, v1, 0x7fff
	v_cndmask_b32_e32 v1, v2, v3, vcc_lo
	v_lshlrev_b32_e32 v2, 16, v69
	v_and_b32_e32 v1, 0xffff0000, v1
	v_mul_f32_e32 v2, v105, v2
	v_bfe_u32 v3, v2, 16, 1
	v_or_b32_e32 v4, 0x400000, v2
	v_cmp_u_f32_e32 vcc_lo, v2, v2
	v_add3_u32 v3, v3, v2, 0x7fff
	v_cndmask_b32_e32 v2, v3, v4, vcc_lo
	v_and_b32_e32 v3, 0xffff0000, v70
	v_and_b32_e32 v2, 0xffff0000, v2
	v_mul_f32_e32 v3, v101, v3
	v_add_f32_e32 v1, v2, v1
	v_bfe_u32 v4, v3, 16, 1
	v_or_b32_e32 v5, 0x400000, v3
	v_cmp_u_f32_e32 vcc_lo, v3, v3
	v_add3_u32 v4, v4, v3, 0x7fff
	v_cndmask_b32_e32 v3, v4, v5, vcc_lo
	v_lshlrev_b32_e32 v4, 16, v70
	v_and_b32_e32 v3, 0xffff0000, v3
	v_mul_f32_e32 v4, v104, v4
	v_bfe_u32 v5, v4, 16, 1
	v_or_b32_e32 v6, 0x400000, v4
	v_cmp_u_f32_e32 vcc_lo, v4, v4
	v_add3_u32 v5, v5, v4, 0x7fff
	v_cndmask_b32_e32 v4, v5, v6, vcc_lo
	v_and_b32_e32 v5, 0xffff0000, v71
	v_and_b32_e32 v2, 0xffff0000, v4
	v_mul_f32_e32 v5, v10, v5
	v_add_f32_e32 v2, v2, v3
	v_bfe_u32 v6, v5, 16, 1
	v_or_b32_e32 v7, 0x400000, v5
	v_cmp_u_f32_e32 vcc_lo, v5, v5
	v_add_f32_e32 v1, v2, v1
	v_add3_u32 v6, v6, v5, 0x7fff
	v_cndmask_b32_e32 v5, v6, v7, vcc_lo
	v_lshlrev_b32_e32 v6, 16, v71
	v_and_b32_e32 v3, 0xffff0000, v5
	v_mul_f32_e32 v6, v103, v6
	v_bfe_u32 v7, v6, 16, 1
	v_or_b32_e32 v8, 0x400000, v6
	v_cmp_u_f32_e32 vcc_lo, v6, v6
	v_add3_u32 v7, v7, v6, 0x7fff
	v_cndmask_b32_e32 v6, v7, v8, vcc_lo
	v_and_b32_e32 v7, 0xffff0000, v72
	v_and_b32_e32 v2, 0xffff0000, v6
	v_mul_f32_e32 v7, v9, v7
	v_add_f32_e32 v2, v2, v3
	v_bfe_u32 v8, v7, 16, 1
	v_or_b32_e32 v12, 0x400000, v7
	v_cmp_u_f32_e32 vcc_lo, v7, v7
	v_add_f32_e32 v1, v2, v1
	v_add3_u32 v8, v8, v7, 0x7fff
	v_cndmask_b32_e32 v7, v8, v12, vcc_lo
	v_lshlrev_b32_e32 v8, 16, v72
	v_and_b32_e32 v3, 0xffff0000, v7
	v_mul_f32_e32 v8, v11, v8
	v_bfe_u32 v12, v8, 16, 1
	v_or_b32_e32 v13, 0x400000, v8
	v_cmp_u_f32_e32 vcc_lo, v8, v8
	v_add3_u32 v12, v12, v8, 0x7fff
	v_cndmask_b32_e32 v8, v12, v13, vcc_lo
	v_and_b32_e32 v2, 0xffff0000, v8
	v_add_f32_e32 v2, v2, v3
	v_add_f32_e32 v1, v2, v1
	buffer_load_dword v2, off, s[48:51], 0 offset:140 ; 4-byte Folded Reload
	s_waitcnt vmcnt(0)
	v_add_f32_e32 v2, v2, v1
	v_and_b32_e32 v1, 0xffff0000, v65
	buffer_store_dword v2, off, s[48:51], 0 offset:140 ; 4-byte Folded Spill
	v_mul_f32_e32 v1, v102, v1
	v_bfe_u32 v2, v1, 16, 1
	v_or_b32_e32 v3, 0x400000, v1
	v_cmp_u_f32_e32 vcc_lo, v1, v1
	v_add3_u32 v2, v2, v1, 0x7fff
	v_cndmask_b32_e32 v1, v2, v3, vcc_lo
	v_lshlrev_b32_e32 v2, 16, v65
	v_and_b32_e32 v1, 0xffff0000, v1
	v_mul_f32_e32 v2, v105, v2
	v_bfe_u32 v3, v2, 16, 1
	v_or_b32_e32 v4, 0x400000, v2
	v_cmp_u_f32_e32 vcc_lo, v2, v2
	v_add3_u32 v3, v3, v2, 0x7fff
	v_cndmask_b32_e32 v2, v3, v4, vcc_lo
	v_and_b32_e32 v3, 0xffff0000, v66
	v_and_b32_e32 v2, 0xffff0000, v2
	v_mul_f32_e32 v3, v101, v3
	v_add_f32_e32 v1, v2, v1
	v_bfe_u32 v4, v3, 16, 1
	v_or_b32_e32 v5, 0x400000, v3
	v_cmp_u_f32_e32 vcc_lo, v3, v3
	v_add3_u32 v4, v4, v3, 0x7fff
	v_cndmask_b32_e32 v3, v4, v5, vcc_lo
	v_lshlrev_b32_e32 v4, 16, v66
	v_and_b32_e32 v3, 0xffff0000, v3
	v_mul_f32_e32 v4, v104, v4
	v_bfe_u32 v5, v4, 16, 1
	v_or_b32_e32 v6, 0x400000, v4
	v_cmp_u_f32_e32 vcc_lo, v4, v4
	v_add3_u32 v5, v5, v4, 0x7fff
	v_cndmask_b32_e32 v4, v5, v6, vcc_lo
	v_and_b32_e32 v5, 0xffff0000, v67
	v_and_b32_e32 v2, 0xffff0000, v4
	v_mul_f32_e32 v5, v10, v5
	v_add_f32_e32 v2, v2, v3
	v_bfe_u32 v6, v5, 16, 1
	v_or_b32_e32 v7, 0x400000, v5
	v_cmp_u_f32_e32 vcc_lo, v5, v5
	v_add_f32_e32 v1, v2, v1
	v_add3_u32 v6, v6, v5, 0x7fff
	v_cndmask_b32_e32 v5, v6, v7, vcc_lo
	v_lshlrev_b32_e32 v6, 16, v67
	v_and_b32_e32 v3, 0xffff0000, v5
	v_mul_f32_e32 v6, v103, v6
	v_bfe_u32 v7, v6, 16, 1
	v_or_b32_e32 v8, 0x400000, v6
	v_cmp_u_f32_e32 vcc_lo, v6, v6
	v_add3_u32 v7, v7, v6, 0x7fff
	v_cndmask_b32_e32 v6, v7, v8, vcc_lo
	v_and_b32_e32 v7, 0xffff0000, v68
	v_and_b32_e32 v2, 0xffff0000, v6
	v_mul_f32_e32 v7, v9, v7
	v_add_f32_e32 v2, v2, v3
	v_bfe_u32 v8, v7, 16, 1
	v_or_b32_e32 v12, 0x400000, v7
	v_cmp_u_f32_e32 vcc_lo, v7, v7
	v_add_f32_e32 v1, v2, v1
	v_add3_u32 v8, v8, v7, 0x7fff
	v_cndmask_b32_e32 v7, v8, v12, vcc_lo
	v_lshlrev_b32_e32 v8, 16, v68
	v_and_b32_e32 v3, 0xffff0000, v7
	v_mul_f32_e32 v8, v11, v8
	v_bfe_u32 v12, v8, 16, 1
	v_or_b32_e32 v13, 0x400000, v8
	v_cmp_u_f32_e32 vcc_lo, v8, v8
	v_add3_u32 v12, v12, v8, 0x7fff
	v_cndmask_b32_e32 v8, v12, v13, vcc_lo
	v_and_b32_e32 v2, 0xffff0000, v8
	v_add_f32_e32 v2, v2, v3
	v_add_f32_e32 v1, v2, v1
	buffer_load_dword v2, off, s[48:51], 0 offset:144 ; 4-byte Folded Reload
	s_waitcnt vmcnt(0)
	v_add_f32_e32 v2, v2, v1
	v_and_b32_e32 v1, 0xffff0000, v61
	buffer_store_dword v2, off, s[48:51], 0 offset:144 ; 4-byte Folded Spill
	v_mul_f32_e32 v1, v102, v1
	v_bfe_u32 v2, v1, 16, 1
	v_or_b32_e32 v3, 0x400000, v1
	v_cmp_u_f32_e32 vcc_lo, v1, v1
	v_add3_u32 v2, v2, v1, 0x7fff
	v_cndmask_b32_e32 v1, v2, v3, vcc_lo
	v_lshlrev_b32_e32 v2, 16, v61
	v_and_b32_e32 v1, 0xffff0000, v1
	v_mul_f32_e32 v2, v105, v2
	v_bfe_u32 v3, v2, 16, 1
	v_or_b32_e32 v4, 0x400000, v2
	v_cmp_u_f32_e32 vcc_lo, v2, v2
	v_add3_u32 v3, v3, v2, 0x7fff
	v_cndmask_b32_e32 v2, v3, v4, vcc_lo
	v_and_b32_e32 v3, 0xffff0000, v62
	v_and_b32_e32 v2, 0xffff0000, v2
	v_mul_f32_e32 v3, v101, v3
	v_add_f32_e32 v1, v2, v1
	v_bfe_u32 v4, v3, 16, 1
	v_or_b32_e32 v5, 0x400000, v3
	v_cmp_u_f32_e32 vcc_lo, v3, v3
	v_add3_u32 v4, v4, v3, 0x7fff
	v_cndmask_b32_e32 v3, v4, v5, vcc_lo
	v_lshlrev_b32_e32 v4, 16, v62
	v_and_b32_e32 v3, 0xffff0000, v3
	v_mul_f32_e32 v4, v104, v4
	v_bfe_u32 v5, v4, 16, 1
	v_or_b32_e32 v6, 0x400000, v4
	v_cmp_u_f32_e32 vcc_lo, v4, v4
	v_add3_u32 v5, v5, v4, 0x7fff
	v_cndmask_b32_e32 v4, v5, v6, vcc_lo
	v_and_b32_e32 v5, 0xffff0000, v63
	v_and_b32_e32 v2, 0xffff0000, v4
	v_mul_f32_e32 v5, v10, v5
	v_add_f32_e32 v2, v2, v3
	v_bfe_u32 v6, v5, 16, 1
	v_or_b32_e32 v7, 0x400000, v5
	v_cmp_u_f32_e32 vcc_lo, v5, v5
	v_add_f32_e32 v1, v2, v1
	v_add3_u32 v6, v6, v5, 0x7fff
	v_cndmask_b32_e32 v5, v6, v7, vcc_lo
	v_lshlrev_b32_e32 v6, 16, v63
	v_and_b32_e32 v3, 0xffff0000, v5
	v_mul_f32_e32 v6, v103, v6
	v_bfe_u32 v7, v6, 16, 1
	v_or_b32_e32 v8, 0x400000, v6
	v_cmp_u_f32_e32 vcc_lo, v6, v6
	v_add3_u32 v7, v7, v6, 0x7fff
	v_cndmask_b32_e32 v6, v7, v8, vcc_lo
	v_and_b32_e32 v7, 0xffff0000, v64
	v_and_b32_e32 v2, 0xffff0000, v6
	v_mul_f32_e32 v7, v9, v7
	v_add_f32_e32 v2, v2, v3
	v_bfe_u32 v8, v7, 16, 1
	v_or_b32_e32 v12, 0x400000, v7
	v_cmp_u_f32_e32 vcc_lo, v7, v7
	v_add_f32_e32 v1, v2, v1
	v_add3_u32 v8, v8, v7, 0x7fff
	v_cndmask_b32_e32 v7, v8, v12, vcc_lo
	v_lshlrev_b32_e32 v8, 16, v64
	v_and_b32_e32 v3, 0xffff0000, v7
	v_mul_f32_e32 v8, v11, v8
	v_bfe_u32 v12, v8, 16, 1
	v_or_b32_e32 v13, 0x400000, v8
	v_cmp_u_f32_e32 vcc_lo, v8, v8
	v_add3_u32 v12, v12, v8, 0x7fff
	v_cndmask_b32_e32 v8, v12, v13, vcc_lo
	v_and_b32_e32 v2, 0xffff0000, v8
	v_add_f32_e32 v2, v2, v3
	v_add_f32_e32 v1, v2, v1
	buffer_load_dword v2, off, s[48:51], 0 offset:148 ; 4-byte Folded Reload
	s_waitcnt vmcnt(0)
	v_add_f32_e32 v2, v2, v1
	v_and_b32_e32 v1, 0xffff0000, v57
	buffer_store_dword v2, off, s[48:51], 0 offset:148 ; 4-byte Folded Spill
	v_mul_f32_e32 v1, v102, v1
	v_bfe_u32 v2, v1, 16, 1
	v_or_b32_e32 v3, 0x400000, v1
	v_cmp_u_f32_e32 vcc_lo, v1, v1
	v_add3_u32 v2, v2, v1, 0x7fff
	v_cndmask_b32_e32 v1, v2, v3, vcc_lo
	v_lshlrev_b32_e32 v2, 16, v57
	v_and_b32_e32 v1, 0xffff0000, v1
	v_mul_f32_e32 v2, v105, v2
	v_bfe_u32 v3, v2, 16, 1
	v_or_b32_e32 v4, 0x400000, v2
	v_cmp_u_f32_e32 vcc_lo, v2, v2
	v_add3_u32 v3, v3, v2, 0x7fff
	v_cndmask_b32_e32 v2, v3, v4, vcc_lo
	v_and_b32_e32 v3, 0xffff0000, v58
	v_and_b32_e32 v2, 0xffff0000, v2
	v_mul_f32_e32 v3, v101, v3
	v_add_f32_e32 v1, v2, v1
	v_bfe_u32 v4, v3, 16, 1
	v_or_b32_e32 v5, 0x400000, v3
	v_cmp_u_f32_e32 vcc_lo, v3, v3
	v_add3_u32 v4, v4, v3, 0x7fff
	v_cndmask_b32_e32 v3, v4, v5, vcc_lo
	v_lshlrev_b32_e32 v4, 16, v58
	v_and_b32_e32 v3, 0xffff0000, v3
	v_mul_f32_e32 v4, v104, v4
	v_bfe_u32 v5, v4, 16, 1
	v_or_b32_e32 v6, 0x400000, v4
	v_cmp_u_f32_e32 vcc_lo, v4, v4
	v_add3_u32 v5, v5, v4, 0x7fff
	v_cndmask_b32_e32 v4, v5, v6, vcc_lo
	v_and_b32_e32 v5, 0xffff0000, v59
	v_and_b32_e32 v2, 0xffff0000, v4
	v_mul_f32_e32 v5, v10, v5
	v_add_f32_e32 v2, v2, v3
	v_bfe_u32 v6, v5, 16, 1
	v_or_b32_e32 v7, 0x400000, v5
	v_cmp_u_f32_e32 vcc_lo, v5, v5
	v_add_f32_e32 v1, v2, v1
	v_add3_u32 v6, v6, v5, 0x7fff
	v_cndmask_b32_e32 v5, v6, v7, vcc_lo
	v_lshlrev_b32_e32 v6, 16, v59
	v_and_b32_e32 v3, 0xffff0000, v5
	v_mul_f32_e32 v6, v103, v6
	v_bfe_u32 v7, v6, 16, 1
	v_or_b32_e32 v8, 0x400000, v6
	v_cmp_u_f32_e32 vcc_lo, v6, v6
	v_add3_u32 v7, v7, v6, 0x7fff
	v_cndmask_b32_e32 v6, v7, v8, vcc_lo
	v_and_b32_e32 v7, 0xffff0000, v60
	v_and_b32_e32 v2, 0xffff0000, v6
	v_mul_f32_e32 v7, v9, v7
	v_add_f32_e32 v2, v2, v3
	v_bfe_u32 v8, v7, 16, 1
	v_or_b32_e32 v12, 0x400000, v7
	v_cmp_u_f32_e32 vcc_lo, v7, v7
	v_add_f32_e32 v1, v2, v1
	v_add3_u32 v8, v8, v7, 0x7fff
	v_cndmask_b32_e32 v7, v8, v12, vcc_lo
	v_lshlrev_b32_e32 v8, 16, v60
	v_and_b32_e32 v3, 0xffff0000, v7
	v_mul_f32_e32 v8, v11, v8
	v_bfe_u32 v12, v8, 16, 1
	v_or_b32_e32 v13, 0x400000, v8
	v_cmp_u_f32_e32 vcc_lo, v8, v8
	v_add3_u32 v12, v12, v8, 0x7fff
	v_cndmask_b32_e32 v8, v12, v13, vcc_lo
	v_and_b32_e32 v2, 0xffff0000, v8
	v_add_f32_e32 v2, v2, v3
	v_add_f32_e32 v1, v2, v1
	buffer_load_dword v2, off, s[48:51], 0 offset:152 ; 4-byte Folded Reload
	s_waitcnt vmcnt(0)
	v_add_f32_e32 v2, v2, v1
	v_and_b32_e32 v1, 0xffff0000, v53
	buffer_store_dword v2, off, s[48:51], 0 offset:152 ; 4-byte Folded Spill
	v_mul_f32_e32 v1, v102, v1
	v_bfe_u32 v2, v1, 16, 1
	v_or_b32_e32 v3, 0x400000, v1
	v_cmp_u_f32_e32 vcc_lo, v1, v1
	v_add3_u32 v2, v2, v1, 0x7fff
	v_cndmask_b32_e32 v1, v2, v3, vcc_lo
	v_lshlrev_b32_e32 v2, 16, v53
	v_and_b32_e32 v1, 0xffff0000, v1
	v_mul_f32_e32 v2, v105, v2
	v_bfe_u32 v3, v2, 16, 1
	v_or_b32_e32 v4, 0x400000, v2
	v_cmp_u_f32_e32 vcc_lo, v2, v2
	v_add3_u32 v3, v3, v2, 0x7fff
	v_cndmask_b32_e32 v2, v3, v4, vcc_lo
	v_and_b32_e32 v3, 0xffff0000, v54
	v_and_b32_e32 v2, 0xffff0000, v2
	v_mul_f32_e32 v3, v101, v3
	v_add_f32_e32 v1, v2, v1
	v_bfe_u32 v4, v3, 16, 1
	v_or_b32_e32 v5, 0x400000, v3
	v_cmp_u_f32_e32 vcc_lo, v3, v3
	v_add3_u32 v4, v4, v3, 0x7fff
	v_cndmask_b32_e32 v3, v4, v5, vcc_lo
	v_lshlrev_b32_e32 v4, 16, v54
	v_and_b32_e32 v3, 0xffff0000, v3
	v_mul_f32_e32 v4, v104, v4
	v_bfe_u32 v5, v4, 16, 1
	v_or_b32_e32 v6, 0x400000, v4
	v_cmp_u_f32_e32 vcc_lo, v4, v4
	v_add3_u32 v5, v5, v4, 0x7fff
	v_cndmask_b32_e32 v4, v5, v6, vcc_lo
	v_and_b32_e32 v5, 0xffff0000, v55
	v_and_b32_e32 v2, 0xffff0000, v4
	v_mul_f32_e32 v5, v10, v5
	v_add_f32_e32 v2, v2, v3
	v_bfe_u32 v6, v5, 16, 1
	v_or_b32_e32 v7, 0x400000, v5
	v_cmp_u_f32_e32 vcc_lo, v5, v5
	v_add_f32_e32 v1, v2, v1
	v_add3_u32 v6, v6, v5, 0x7fff
	v_cndmask_b32_e32 v5, v6, v7, vcc_lo
	v_lshlrev_b32_e32 v6, 16, v55
	v_and_b32_e32 v3, 0xffff0000, v5
	v_mul_f32_e32 v6, v103, v6
	v_bfe_u32 v7, v6, 16, 1
	v_or_b32_e32 v8, 0x400000, v6
	v_cmp_u_f32_e32 vcc_lo, v6, v6
	v_add3_u32 v7, v7, v6, 0x7fff
	v_cndmask_b32_e32 v6, v7, v8, vcc_lo
	v_and_b32_e32 v7, 0xffff0000, v56
	v_and_b32_e32 v2, 0xffff0000, v6
	v_mul_f32_e32 v7, v9, v7
	v_add_f32_e32 v2, v2, v3
	v_bfe_u32 v8, v7, 16, 1
	v_or_b32_e32 v12, 0x400000, v7
	v_cmp_u_f32_e32 vcc_lo, v7, v7
	v_add_f32_e32 v1, v2, v1
	v_add3_u32 v8, v8, v7, 0x7fff
	v_cndmask_b32_e32 v7, v8, v12, vcc_lo
	v_lshlrev_b32_e32 v8, 16, v56
	v_and_b32_e32 v3, 0xffff0000, v7
	v_mul_f32_e32 v8, v11, v8
	v_bfe_u32 v12, v8, 16, 1
	v_or_b32_e32 v13, 0x400000, v8
	v_cmp_u_f32_e32 vcc_lo, v8, v8
	v_add3_u32 v12, v12, v8, 0x7fff
	v_cndmask_b32_e32 v8, v12, v13, vcc_lo
	v_and_b32_e32 v2, 0xffff0000, v8
	v_add_f32_e32 v2, v2, v3
	v_add_f32_e32 v1, v2, v1
	;; [unrolled: 1-line block ×3, first 2 shown]
	v_and_b32_e32 v1, 0xffff0000, v49
	v_mul_f32_e32 v1, v102, v1
	v_bfe_u32 v2, v1, 16, 1
	v_or_b32_e32 v3, 0x400000, v1
	v_cmp_u_f32_e32 vcc_lo, v1, v1
	v_add3_u32 v2, v2, v1, 0x7fff
	v_cndmask_b32_e32 v1, v2, v3, vcc_lo
	v_lshlrev_b32_e32 v2, 16, v49
	v_and_b32_e32 v1, 0xffff0000, v1
	v_mul_f32_e32 v2, v105, v2
	v_bfe_u32 v3, v2, 16, 1
	v_or_b32_e32 v4, 0x400000, v2
	v_cmp_u_f32_e32 vcc_lo, v2, v2
	v_add3_u32 v3, v3, v2, 0x7fff
	v_cndmask_b32_e32 v2, v3, v4, vcc_lo
	v_and_b32_e32 v3, 0xffff0000, v50
	v_and_b32_e32 v2, 0xffff0000, v2
	v_mul_f32_e32 v3, v101, v3
	v_add_f32_e32 v1, v2, v1
	v_bfe_u32 v4, v3, 16, 1
	v_or_b32_e32 v5, 0x400000, v3
	v_cmp_u_f32_e32 vcc_lo, v3, v3
	v_add3_u32 v4, v4, v3, 0x7fff
	v_cndmask_b32_e32 v3, v4, v5, vcc_lo
	v_lshlrev_b32_e32 v4, 16, v50
	v_and_b32_e32 v3, 0xffff0000, v3
	v_mul_f32_e32 v4, v104, v4
	v_bfe_u32 v5, v4, 16, 1
	v_or_b32_e32 v6, 0x400000, v4
	v_cmp_u_f32_e32 vcc_lo, v4, v4
	v_add3_u32 v5, v5, v4, 0x7fff
	v_cndmask_b32_e32 v4, v5, v6, vcc_lo
	v_and_b32_e32 v5, 0xffff0000, v51
	v_and_b32_e32 v2, 0xffff0000, v4
	v_mul_f32_e32 v5, v10, v5
	v_add_f32_e32 v2, v2, v3
	v_bfe_u32 v6, v5, 16, 1
	v_or_b32_e32 v7, 0x400000, v5
	v_cmp_u_f32_e32 vcc_lo, v5, v5
	v_add_f32_e32 v1, v2, v1
	v_add3_u32 v6, v6, v5, 0x7fff
	v_cndmask_b32_e32 v5, v6, v7, vcc_lo
	v_lshlrev_b32_e32 v6, 16, v51
	v_and_b32_e32 v3, 0xffff0000, v5
	v_mul_f32_e32 v6, v103, v6
	v_bfe_u32 v7, v6, 16, 1
	v_or_b32_e32 v8, 0x400000, v6
	v_cmp_u_f32_e32 vcc_lo, v6, v6
	v_add3_u32 v7, v7, v6, 0x7fff
	v_cndmask_b32_e32 v6, v7, v8, vcc_lo
	v_and_b32_e32 v7, 0xffff0000, v52
	v_and_b32_e32 v2, 0xffff0000, v6
	v_mul_f32_e32 v7, v9, v7
	v_add_f32_e32 v2, v2, v3
	v_bfe_u32 v8, v7, 16, 1
	v_or_b32_e32 v12, 0x400000, v7
	v_cmp_u_f32_e32 vcc_lo, v7, v7
	v_add_f32_e32 v1, v2, v1
	v_add3_u32 v8, v8, v7, 0x7fff
	v_cndmask_b32_e32 v7, v8, v12, vcc_lo
	v_lshlrev_b32_e32 v8, 16, v52
	v_and_b32_e32 v3, 0xffff0000, v7
	v_mul_f32_e32 v8, v11, v8
	v_bfe_u32 v12, v8, 16, 1
	v_or_b32_e32 v13, 0x400000, v8
	v_cmp_u_f32_e32 vcc_lo, v8, v8
	v_add3_u32 v12, v12, v8, 0x7fff
	v_cndmask_b32_e32 v8, v12, v13, vcc_lo
	v_and_b32_e32 v2, 0xffff0000, v8
	v_add_f32_e32 v2, v2, v3
	v_add_f32_e32 v1, v2, v1
	;; [unrolled: 1-line block ×3, first 2 shown]
	v_and_b32_e32 v1, 0xffff0000, v45
	v_mul_f32_e32 v1, v102, v1
	v_bfe_u32 v2, v1, 16, 1
	v_or_b32_e32 v3, 0x400000, v1
	v_cmp_u_f32_e32 vcc_lo, v1, v1
	v_add3_u32 v2, v2, v1, 0x7fff
	v_cndmask_b32_e32 v1, v2, v3, vcc_lo
	v_lshlrev_b32_e32 v2, 16, v45
	v_and_b32_e32 v1, 0xffff0000, v1
	v_mul_f32_e32 v2, v105, v2
	v_bfe_u32 v3, v2, 16, 1
	v_or_b32_e32 v4, 0x400000, v2
	v_cmp_u_f32_e32 vcc_lo, v2, v2
	v_add3_u32 v3, v3, v2, 0x7fff
	v_cndmask_b32_e32 v2, v3, v4, vcc_lo
	v_and_b32_e32 v3, 0xffff0000, v46
	v_and_b32_e32 v2, 0xffff0000, v2
	v_mul_f32_e32 v3, v101, v3
	v_add_f32_e32 v1, v2, v1
	v_bfe_u32 v4, v3, 16, 1
	v_or_b32_e32 v5, 0x400000, v3
	v_cmp_u_f32_e32 vcc_lo, v3, v3
	v_add3_u32 v4, v4, v3, 0x7fff
	v_cndmask_b32_e32 v3, v4, v5, vcc_lo
	v_lshlrev_b32_e32 v4, 16, v46
	v_and_b32_e32 v3, 0xffff0000, v3
	v_mul_f32_e32 v4, v104, v4
	v_bfe_u32 v5, v4, 16, 1
	v_or_b32_e32 v6, 0x400000, v4
	v_cmp_u_f32_e32 vcc_lo, v4, v4
	v_add3_u32 v5, v5, v4, 0x7fff
	v_cndmask_b32_e32 v4, v5, v6, vcc_lo
	v_and_b32_e32 v5, 0xffff0000, v47
	v_and_b32_e32 v2, 0xffff0000, v4
	v_mul_f32_e32 v5, v10, v5
	v_add_f32_e32 v2, v2, v3
	v_bfe_u32 v6, v5, 16, 1
	v_or_b32_e32 v7, 0x400000, v5
	v_cmp_u_f32_e32 vcc_lo, v5, v5
	v_add_f32_e32 v1, v2, v1
	v_add3_u32 v6, v6, v5, 0x7fff
	v_cndmask_b32_e32 v5, v6, v7, vcc_lo
	v_lshlrev_b32_e32 v6, 16, v47
	v_and_b32_e32 v3, 0xffff0000, v5
	v_mul_f32_e32 v6, v103, v6
	v_bfe_u32 v7, v6, 16, 1
	v_or_b32_e32 v8, 0x400000, v6
	v_cmp_u_f32_e32 vcc_lo, v6, v6
	v_add3_u32 v7, v7, v6, 0x7fff
	v_cndmask_b32_e32 v6, v7, v8, vcc_lo
	v_and_b32_e32 v7, 0xffff0000, v48
	v_and_b32_e32 v2, 0xffff0000, v6
	v_mul_f32_e32 v7, v9, v7
	v_add_f32_e32 v2, v2, v3
	v_bfe_u32 v8, v7, 16, 1
	v_or_b32_e32 v12, 0x400000, v7
	v_cmp_u_f32_e32 vcc_lo, v7, v7
	v_add_f32_e32 v1, v2, v1
	v_add3_u32 v8, v8, v7, 0x7fff
	v_cndmask_b32_e32 v7, v8, v12, vcc_lo
	v_lshlrev_b32_e32 v8, 16, v48
	v_and_b32_e32 v3, 0xffff0000, v7
	v_mul_f32_e32 v8, v11, v8
	v_bfe_u32 v12, v8, 16, 1
	v_or_b32_e32 v13, 0x400000, v8
	v_cmp_u_f32_e32 vcc_lo, v8, v8
	v_add3_u32 v12, v12, v8, 0x7fff
	v_cndmask_b32_e32 v8, v12, v13, vcc_lo
	v_and_b32_e32 v2, 0xffff0000, v8
	v_add_f32_e32 v2, v2, v3
	v_add_f32_e32 v1, v2, v1
	;; [unrolled: 1-line block ×3, first 2 shown]
	v_and_b32_e32 v1, 0xffff0000, v41
	v_mul_f32_e32 v1, v102, v1
	v_bfe_u32 v2, v1, 16, 1
	v_or_b32_e32 v3, 0x400000, v1
	v_cmp_u_f32_e32 vcc_lo, v1, v1
	v_add3_u32 v2, v2, v1, 0x7fff
	v_cndmask_b32_e32 v1, v2, v3, vcc_lo
	v_lshlrev_b32_e32 v2, 16, v41
	v_and_b32_e32 v1, 0xffff0000, v1
	v_mul_f32_e32 v2, v105, v2
	v_bfe_u32 v3, v2, 16, 1
	v_or_b32_e32 v4, 0x400000, v2
	v_cmp_u_f32_e32 vcc_lo, v2, v2
	v_add3_u32 v3, v3, v2, 0x7fff
	v_cndmask_b32_e32 v2, v3, v4, vcc_lo
	v_and_b32_e32 v3, 0xffff0000, v42
	v_and_b32_e32 v2, 0xffff0000, v2
	v_mul_f32_e32 v3, v101, v3
	v_add_f32_e32 v1, v2, v1
	v_bfe_u32 v4, v3, 16, 1
	v_or_b32_e32 v5, 0x400000, v3
	v_cmp_u_f32_e32 vcc_lo, v3, v3
	v_add3_u32 v4, v4, v3, 0x7fff
	v_cndmask_b32_e32 v3, v4, v5, vcc_lo
	v_lshlrev_b32_e32 v4, 16, v42
	v_and_b32_e32 v3, 0xffff0000, v3
	v_mul_f32_e32 v4, v104, v4
	v_bfe_u32 v5, v4, 16, 1
	v_or_b32_e32 v6, 0x400000, v4
	v_cmp_u_f32_e32 vcc_lo, v4, v4
	v_add3_u32 v5, v5, v4, 0x7fff
	v_cndmask_b32_e32 v4, v5, v6, vcc_lo
	v_and_b32_e32 v5, 0xffff0000, v43
	v_and_b32_e32 v2, 0xffff0000, v4
	v_mul_f32_e32 v5, v10, v5
	v_add_f32_e32 v2, v2, v3
	v_bfe_u32 v6, v5, 16, 1
	v_or_b32_e32 v7, 0x400000, v5
	v_cmp_u_f32_e32 vcc_lo, v5, v5
	v_add_f32_e32 v1, v2, v1
	v_add3_u32 v6, v6, v5, 0x7fff
	v_cndmask_b32_e32 v5, v6, v7, vcc_lo
	v_lshlrev_b32_e32 v6, 16, v43
	v_and_b32_e32 v3, 0xffff0000, v5
	v_mul_f32_e32 v6, v103, v6
	v_bfe_u32 v7, v6, 16, 1
	v_or_b32_e32 v8, 0x400000, v6
	v_cmp_u_f32_e32 vcc_lo, v6, v6
	v_add3_u32 v7, v7, v6, 0x7fff
	v_cndmask_b32_e32 v6, v7, v8, vcc_lo
	v_and_b32_e32 v7, 0xffff0000, v44
	v_and_b32_e32 v2, 0xffff0000, v6
	v_mul_f32_e32 v7, v9, v7
	v_add_f32_e32 v2, v2, v3
	v_bfe_u32 v8, v7, 16, 1
	v_or_b32_e32 v12, 0x400000, v7
	v_cmp_u_f32_e32 vcc_lo, v7, v7
	v_add_f32_e32 v1, v2, v1
	v_add3_u32 v8, v8, v7, 0x7fff
	v_cndmask_b32_e32 v7, v8, v12, vcc_lo
	v_lshlrev_b32_e32 v8, 16, v44
	v_and_b32_e32 v3, 0xffff0000, v7
	v_mul_f32_e32 v8, v11, v8
	v_bfe_u32 v12, v8, 16, 1
	v_or_b32_e32 v13, 0x400000, v8
	v_cmp_u_f32_e32 vcc_lo, v8, v8
	v_add3_u32 v12, v12, v8, 0x7fff
	v_cndmask_b32_e32 v8, v12, v13, vcc_lo
	v_and_b32_e32 v2, 0xffff0000, v8
	v_add_f32_e32 v2, v2, v3
	v_add_f32_e32 v1, v2, v1
	;; [unrolled: 1-line block ×3, first 2 shown]
	v_and_b32_e32 v1, 0xffff0000, v37
	v_mul_f32_e32 v1, v102, v1
	v_bfe_u32 v2, v1, 16, 1
	v_or_b32_e32 v3, 0x400000, v1
	v_cmp_u_f32_e32 vcc_lo, v1, v1
	v_add3_u32 v2, v2, v1, 0x7fff
	v_cndmask_b32_e32 v1, v2, v3, vcc_lo
	v_lshlrev_b32_e32 v2, 16, v37
	v_and_b32_e32 v1, 0xffff0000, v1
	v_mul_f32_e32 v2, v105, v2
	v_bfe_u32 v3, v2, 16, 1
	v_or_b32_e32 v4, 0x400000, v2
	v_cmp_u_f32_e32 vcc_lo, v2, v2
	v_add3_u32 v3, v3, v2, 0x7fff
	v_cndmask_b32_e32 v2, v3, v4, vcc_lo
	v_and_b32_e32 v3, 0xffff0000, v38
	v_and_b32_e32 v2, 0xffff0000, v2
	v_mul_f32_e32 v3, v101, v3
	v_add_f32_e32 v1, v2, v1
	v_bfe_u32 v4, v3, 16, 1
	v_or_b32_e32 v5, 0x400000, v3
	v_cmp_u_f32_e32 vcc_lo, v3, v3
	v_add3_u32 v4, v4, v3, 0x7fff
	v_cndmask_b32_e32 v3, v4, v5, vcc_lo
	v_lshlrev_b32_e32 v4, 16, v38
	v_and_b32_e32 v3, 0xffff0000, v3
	v_mul_f32_e32 v4, v104, v4
	v_bfe_u32 v5, v4, 16, 1
	v_or_b32_e32 v6, 0x400000, v4
	v_cmp_u_f32_e32 vcc_lo, v4, v4
	v_add3_u32 v5, v5, v4, 0x7fff
	v_cndmask_b32_e32 v4, v5, v6, vcc_lo
	v_and_b32_e32 v5, 0xffff0000, v39
	v_and_b32_e32 v2, 0xffff0000, v4
	v_mul_f32_e32 v5, v10, v5
	v_add_f32_e32 v2, v2, v3
	v_bfe_u32 v6, v5, 16, 1
	v_or_b32_e32 v7, 0x400000, v5
	v_cmp_u_f32_e32 vcc_lo, v5, v5
	v_add_f32_e32 v1, v2, v1
	v_add3_u32 v6, v6, v5, 0x7fff
	v_cndmask_b32_e32 v5, v6, v7, vcc_lo
	v_lshlrev_b32_e32 v6, 16, v39
	v_and_b32_e32 v3, 0xffff0000, v5
	v_mul_f32_e32 v6, v103, v6
	v_bfe_u32 v7, v6, 16, 1
	v_or_b32_e32 v8, 0x400000, v6
	v_cmp_u_f32_e32 vcc_lo, v6, v6
	v_add3_u32 v7, v7, v6, 0x7fff
	v_cndmask_b32_e32 v6, v7, v8, vcc_lo
	v_and_b32_e32 v7, 0xffff0000, v40
	v_and_b32_e32 v2, 0xffff0000, v6
	v_mul_f32_e32 v7, v9, v7
	v_add_f32_e32 v2, v2, v3
	v_bfe_u32 v8, v7, 16, 1
	v_or_b32_e32 v12, 0x400000, v7
	v_cmp_u_f32_e32 vcc_lo, v7, v7
	v_add_f32_e32 v1, v2, v1
	v_add3_u32 v8, v8, v7, 0x7fff
	v_cndmask_b32_e32 v7, v8, v12, vcc_lo
	v_lshlrev_b32_e32 v8, 16, v40
	v_and_b32_e32 v3, 0xffff0000, v7
	v_mul_f32_e32 v8, v11, v8
	v_bfe_u32 v12, v8, 16, 1
	v_or_b32_e32 v13, 0x400000, v8
	v_cmp_u_f32_e32 vcc_lo, v8, v8
	v_add3_u32 v12, v12, v8, 0x7fff
	v_cndmask_b32_e32 v8, v12, v13, vcc_lo
	v_and_b32_e32 v2, 0xffff0000, v8
	v_add_f32_e32 v2, v2, v3
	v_add_f32_e32 v1, v2, v1
	;; [unrolled: 1-line block ×3, first 2 shown]
	v_and_b32_e32 v1, 0xffff0000, v33
	v_mul_f32_e32 v1, v102, v1
	v_bfe_u32 v2, v1, 16, 1
	v_or_b32_e32 v3, 0x400000, v1
	v_cmp_u_f32_e32 vcc_lo, v1, v1
	v_add3_u32 v2, v2, v1, 0x7fff
	v_cndmask_b32_e32 v1, v2, v3, vcc_lo
	v_lshlrev_b32_e32 v2, 16, v33
	v_and_b32_e32 v1, 0xffff0000, v1
	v_mul_f32_e32 v2, v105, v2
	v_bfe_u32 v3, v2, 16, 1
	v_or_b32_e32 v4, 0x400000, v2
	v_cmp_u_f32_e32 vcc_lo, v2, v2
	v_add3_u32 v3, v3, v2, 0x7fff
	v_cndmask_b32_e32 v2, v3, v4, vcc_lo
	v_and_b32_e32 v3, 0xffff0000, v34
	v_and_b32_e32 v2, 0xffff0000, v2
	v_mul_f32_e32 v3, v101, v3
	v_add_f32_e32 v1, v2, v1
	v_bfe_u32 v4, v3, 16, 1
	v_or_b32_e32 v5, 0x400000, v3
	v_cmp_u_f32_e32 vcc_lo, v3, v3
	v_add3_u32 v4, v4, v3, 0x7fff
	v_cndmask_b32_e32 v3, v4, v5, vcc_lo
	v_lshlrev_b32_e32 v4, 16, v34
	v_and_b32_e32 v3, 0xffff0000, v3
	v_mul_f32_e32 v4, v104, v4
	v_bfe_u32 v5, v4, 16, 1
	v_or_b32_e32 v6, 0x400000, v4
	v_cmp_u_f32_e32 vcc_lo, v4, v4
	v_add3_u32 v5, v5, v4, 0x7fff
	v_cndmask_b32_e32 v4, v5, v6, vcc_lo
	v_and_b32_e32 v5, 0xffff0000, v35
	v_and_b32_e32 v2, 0xffff0000, v4
	v_mul_f32_e32 v5, v10, v5
	v_add_f32_e32 v2, v2, v3
	v_bfe_u32 v6, v5, 16, 1
	v_or_b32_e32 v7, 0x400000, v5
	v_cmp_u_f32_e32 vcc_lo, v5, v5
	v_add_f32_e32 v1, v2, v1
	v_add3_u32 v6, v6, v5, 0x7fff
	v_cndmask_b32_e32 v5, v6, v7, vcc_lo
	v_lshlrev_b32_e32 v6, 16, v35
	v_and_b32_e32 v3, 0xffff0000, v5
	v_mul_f32_e32 v6, v103, v6
	v_bfe_u32 v7, v6, 16, 1
	v_or_b32_e32 v8, 0x400000, v6
	v_cmp_u_f32_e32 vcc_lo, v6, v6
	v_add3_u32 v7, v7, v6, 0x7fff
	v_cndmask_b32_e32 v6, v7, v8, vcc_lo
	v_and_b32_e32 v7, 0xffff0000, v36
	v_and_b32_e32 v2, 0xffff0000, v6
	v_mul_f32_e32 v7, v9, v7
	v_add_f32_e32 v2, v2, v3
	v_bfe_u32 v8, v7, 16, 1
	v_or_b32_e32 v12, 0x400000, v7
	v_cmp_u_f32_e32 vcc_lo, v7, v7
	v_add_f32_e32 v1, v2, v1
	v_add3_u32 v8, v8, v7, 0x7fff
	v_cndmask_b32_e32 v7, v8, v12, vcc_lo
	v_lshlrev_b32_e32 v8, 16, v36
	v_and_b32_e32 v3, 0xffff0000, v7
	v_mul_f32_e32 v8, v11, v8
	v_bfe_u32 v12, v8, 16, 1
	v_or_b32_e32 v13, 0x400000, v8
	v_cmp_u_f32_e32 vcc_lo, v8, v8
	v_add3_u32 v12, v12, v8, 0x7fff
	v_cndmask_b32_e32 v8, v12, v13, vcc_lo
	v_and_b32_e32 v2, 0xffff0000, v8
	v_add_f32_e32 v2, v2, v3
	v_add_f32_e32 v1, v2, v1
	;; [unrolled: 1-line block ×3, first 2 shown]
	v_and_b32_e32 v1, 0xffff0000, v25
	v_mul_f32_e32 v1, v102, v1
	v_bfe_u32 v2, v1, 16, 1
	v_or_b32_e32 v3, 0x400000, v1
	v_cmp_u_f32_e32 vcc_lo, v1, v1
	v_add3_u32 v2, v2, v1, 0x7fff
	v_cndmask_b32_e32 v1, v2, v3, vcc_lo
	v_lshlrev_b32_e32 v2, 16, v25
	v_and_b32_e32 v1, 0xffff0000, v1
	v_mul_f32_e32 v2, v105, v2
	v_bfe_u32 v3, v2, 16, 1
	v_or_b32_e32 v4, 0x400000, v2
	v_cmp_u_f32_e32 vcc_lo, v2, v2
	v_add3_u32 v3, v3, v2, 0x7fff
	v_cndmask_b32_e32 v2, v3, v4, vcc_lo
	v_and_b32_e32 v3, 0xffff0000, v26
	v_and_b32_e32 v2, 0xffff0000, v2
	v_mul_f32_e32 v3, v101, v3
	v_add_f32_e32 v1, v2, v1
	v_bfe_u32 v4, v3, 16, 1
	v_or_b32_e32 v5, 0x400000, v3
	v_cmp_u_f32_e32 vcc_lo, v3, v3
	v_add3_u32 v4, v4, v3, 0x7fff
	v_cndmask_b32_e32 v3, v4, v5, vcc_lo
	v_lshlrev_b32_e32 v4, 16, v26
	v_and_b32_e32 v3, 0xffff0000, v3
	v_mul_f32_e32 v4, v104, v4
	v_bfe_u32 v5, v4, 16, 1
	v_or_b32_e32 v6, 0x400000, v4
	v_cmp_u_f32_e32 vcc_lo, v4, v4
	v_add3_u32 v5, v5, v4, 0x7fff
	v_cndmask_b32_e32 v4, v5, v6, vcc_lo
	v_and_b32_e32 v5, 0xffff0000, v27
	v_and_b32_e32 v2, 0xffff0000, v4
	v_mul_f32_e32 v5, v10, v5
	v_add_f32_e32 v2, v2, v3
	v_bfe_u32 v6, v5, 16, 1
	v_or_b32_e32 v7, 0x400000, v5
	v_cmp_u_f32_e32 vcc_lo, v5, v5
	v_add_f32_e32 v1, v2, v1
	v_add3_u32 v6, v6, v5, 0x7fff
	v_cndmask_b32_e32 v5, v6, v7, vcc_lo
	v_lshlrev_b32_e32 v6, 16, v27
	v_and_b32_e32 v3, 0xffff0000, v5
	v_mul_f32_e32 v6, v103, v6
	v_bfe_u32 v7, v6, 16, 1
	v_or_b32_e32 v8, 0x400000, v6
	v_cmp_u_f32_e32 vcc_lo, v6, v6
	v_add3_u32 v7, v7, v6, 0x7fff
	v_cndmask_b32_e32 v6, v7, v8, vcc_lo
	v_and_b32_e32 v7, 0xffff0000, v28
	v_and_b32_e32 v2, 0xffff0000, v6
	v_mul_f32_e32 v7, v9, v7
	v_add_f32_e32 v2, v2, v3
	v_bfe_u32 v8, v7, 16, 1
	v_or_b32_e32 v12, 0x400000, v7
	v_cmp_u_f32_e32 vcc_lo, v7, v7
	v_add_f32_e32 v1, v2, v1
	v_add3_u32 v8, v8, v7, 0x7fff
	v_cndmask_b32_e32 v7, v8, v12, vcc_lo
	v_lshlrev_b32_e32 v8, 16, v28
	v_and_b32_e32 v3, 0xffff0000, v7
	v_mul_f32_e32 v8, v11, v8
	v_bfe_u32 v12, v8, 16, 1
	v_or_b32_e32 v13, 0x400000, v8
	v_cmp_u_f32_e32 vcc_lo, v8, v8
	v_add3_u32 v12, v12, v8, 0x7fff
	v_cndmask_b32_e32 v8, v12, v13, vcc_lo
	v_and_b32_e32 v2, 0xffff0000, v8
	v_add_f32_e32 v2, v2, v3
	v_add_f32_e32 v1, v2, v1
	;; [unrolled: 1-line block ×3, first 2 shown]
	v_and_b32_e32 v1, 0xffff0000, v21
	v_mul_f32_e32 v1, v102, v1
	v_bfe_u32 v2, v1, 16, 1
	v_or_b32_e32 v3, 0x400000, v1
	v_cmp_u_f32_e32 vcc_lo, v1, v1
	v_add3_u32 v2, v2, v1, 0x7fff
	v_cndmask_b32_e32 v1, v2, v3, vcc_lo
	v_lshlrev_b32_e32 v2, 16, v21
	v_and_b32_e32 v1, 0xffff0000, v1
	v_mul_f32_e32 v2, v105, v2
	v_bfe_u32 v3, v2, 16, 1
	v_or_b32_e32 v4, 0x400000, v2
	v_cmp_u_f32_e32 vcc_lo, v2, v2
	v_add3_u32 v3, v3, v2, 0x7fff
	v_cndmask_b32_e32 v2, v3, v4, vcc_lo
	v_and_b32_e32 v3, 0xffff0000, v22
	v_and_b32_e32 v2, 0xffff0000, v2
	v_mul_f32_e32 v3, v101, v3
	v_add_f32_e32 v1, v2, v1
	v_bfe_u32 v4, v3, 16, 1
	v_or_b32_e32 v5, 0x400000, v3
	v_cmp_u_f32_e32 vcc_lo, v3, v3
	v_add3_u32 v4, v4, v3, 0x7fff
	v_cndmask_b32_e32 v3, v4, v5, vcc_lo
	v_lshlrev_b32_e32 v4, 16, v22
	v_and_b32_e32 v3, 0xffff0000, v3
	v_mul_f32_e32 v4, v104, v4
	v_bfe_u32 v5, v4, 16, 1
	v_or_b32_e32 v6, 0x400000, v4
	v_cmp_u_f32_e32 vcc_lo, v4, v4
	v_add3_u32 v5, v5, v4, 0x7fff
	v_cndmask_b32_e32 v4, v5, v6, vcc_lo
	v_and_b32_e32 v5, 0xffff0000, v23
	v_and_b32_e32 v2, 0xffff0000, v4
	v_mul_f32_e32 v5, v10, v5
	v_add_f32_e32 v2, v2, v3
	v_bfe_u32 v6, v5, 16, 1
	v_or_b32_e32 v7, 0x400000, v5
	v_cmp_u_f32_e32 vcc_lo, v5, v5
	v_add_f32_e32 v1, v2, v1
	v_add3_u32 v6, v6, v5, 0x7fff
	v_cndmask_b32_e32 v5, v6, v7, vcc_lo
	v_lshlrev_b32_e32 v6, 16, v23
	v_and_b32_e32 v3, 0xffff0000, v5
	v_mul_f32_e32 v6, v103, v6
	v_bfe_u32 v7, v6, 16, 1
	v_or_b32_e32 v8, 0x400000, v6
	v_cmp_u_f32_e32 vcc_lo, v6, v6
	v_add3_u32 v7, v7, v6, 0x7fff
	v_cndmask_b32_e32 v6, v7, v8, vcc_lo
	v_and_b32_e32 v7, 0xffff0000, v24
	v_and_b32_e32 v2, 0xffff0000, v6
	v_mul_f32_e32 v7, v9, v7
	v_add_f32_e32 v2, v2, v3
	v_bfe_u32 v8, v7, 16, 1
	v_or_b32_e32 v12, 0x400000, v7
	v_cmp_u_f32_e32 vcc_lo, v7, v7
	v_add_f32_e32 v1, v2, v1
	v_add3_u32 v8, v8, v7, 0x7fff
	v_cndmask_b32_e32 v7, v8, v12, vcc_lo
	v_lshlrev_b32_e32 v8, 16, v24
	v_and_b32_e32 v3, 0xffff0000, v7
	v_mul_f32_e32 v8, v11, v8
	v_bfe_u32 v12, v8, 16, 1
	v_or_b32_e32 v13, 0x400000, v8
	v_cmp_u_f32_e32 vcc_lo, v8, v8
	v_add3_u32 v12, v12, v8, 0x7fff
	v_cndmask_b32_e32 v8, v12, v13, vcc_lo
	v_and_b32_e32 v2, 0xffff0000, v8
	v_add_f32_e32 v2, v2, v3
	v_add_f32_e32 v1, v2, v1
	buffer_load_dword v2, off, s[48:51], 0 offset:156 ; 4-byte Folded Reload
	s_waitcnt vmcnt(0)
	v_add_f32_e32 v2, v2, v1
	buffer_store_dword v2, off, s[48:51], 0 offset:156 ; 4-byte Folded Spill
	s_clause 0x3
	buffer_load_dword v21, off, s[48:51], 0 offset:80
	buffer_load_dword v22, off, s[48:51], 0 offset:84
	;; [unrolled: 1-line block ×4, first 2 shown]
	s_waitcnt vmcnt(3)
	v_and_b32_e32 v1, 0xffff0000, v21
	v_mul_f32_e32 v1, v102, v1
	v_bfe_u32 v2, v1, 16, 1
	v_or_b32_e32 v3, 0x400000, v1
	v_cmp_u_f32_e32 vcc_lo, v1, v1
	v_add3_u32 v2, v2, v1, 0x7fff
	v_cndmask_b32_e32 v1, v2, v3, vcc_lo
	v_lshlrev_b32_e32 v2, 16, v21
	v_and_b32_e32 v1, 0xffff0000, v1
	v_mul_f32_e32 v2, v105, v2
	v_bfe_u32 v3, v2, 16, 1
	v_or_b32_e32 v4, 0x400000, v2
	v_cmp_u_f32_e32 vcc_lo, v2, v2
	v_add3_u32 v3, v3, v2, 0x7fff
	v_cndmask_b32_e32 v2, v3, v4, vcc_lo
	s_waitcnt vmcnt(2)
	v_and_b32_e32 v3, 0xffff0000, v22
	v_and_b32_e32 v2, 0xffff0000, v2
	v_mul_f32_e32 v3, v101, v3
	v_add_f32_e32 v1, v2, v1
	v_bfe_u32 v4, v3, 16, 1
	v_or_b32_e32 v5, 0x400000, v3
	v_cmp_u_f32_e32 vcc_lo, v3, v3
	v_add3_u32 v4, v4, v3, 0x7fff
	v_cndmask_b32_e32 v3, v4, v5, vcc_lo
	v_lshlrev_b32_e32 v4, 16, v22
	v_and_b32_e32 v3, 0xffff0000, v3
	v_mul_f32_e32 v4, v104, v4
	v_bfe_u32 v5, v4, 16, 1
	v_or_b32_e32 v6, 0x400000, v4
	v_cmp_u_f32_e32 vcc_lo, v4, v4
	v_add3_u32 v5, v5, v4, 0x7fff
	v_cndmask_b32_e32 v4, v5, v6, vcc_lo
	s_waitcnt vmcnt(1)
	v_and_b32_e32 v5, 0xffff0000, v23
	v_and_b32_e32 v2, 0xffff0000, v4
	v_mul_f32_e32 v5, v10, v5
	v_add_f32_e32 v2, v2, v3
	v_bfe_u32 v6, v5, 16, 1
	v_or_b32_e32 v7, 0x400000, v5
	v_cmp_u_f32_e32 vcc_lo, v5, v5
	v_add_f32_e32 v1, v2, v1
	v_add3_u32 v6, v6, v5, 0x7fff
	v_cndmask_b32_e32 v5, v6, v7, vcc_lo
	v_lshlrev_b32_e32 v6, 16, v23
	v_and_b32_e32 v3, 0xffff0000, v5
	v_mul_f32_e32 v6, v103, v6
	v_bfe_u32 v7, v6, 16, 1
	v_or_b32_e32 v8, 0x400000, v6
	v_cmp_u_f32_e32 vcc_lo, v6, v6
	v_add3_u32 v7, v7, v6, 0x7fff
	v_cndmask_b32_e32 v6, v7, v8, vcc_lo
	s_waitcnt vmcnt(0)
	v_and_b32_e32 v7, 0xffff0000, v24
	v_and_b32_e32 v2, 0xffff0000, v6
	v_mul_f32_e32 v7, v9, v7
	v_add_f32_e32 v2, v2, v3
	v_bfe_u32 v8, v7, 16, 1
	v_or_b32_e32 v12, 0x400000, v7
	v_cmp_u_f32_e32 vcc_lo, v7, v7
	v_add_f32_e32 v1, v2, v1
	v_add3_u32 v8, v8, v7, 0x7fff
	v_cndmask_b32_e32 v7, v8, v12, vcc_lo
	v_lshlrev_b32_e32 v8, 16, v24
	v_and_b32_e32 v3, 0xffff0000, v7
	v_mul_f32_e32 v8, v11, v8
	v_bfe_u32 v12, v8, 16, 1
	v_or_b32_e32 v13, 0x400000, v8
	v_cmp_u_f32_e32 vcc_lo, v8, v8
	v_add3_u32 v12, v12, v8, 0x7fff
	v_cndmask_b32_e32 v8, v12, v13, vcc_lo
	v_and_b32_e32 v2, 0xffff0000, v8
	v_add_f32_e32 v2, v2, v3
	v_add_f32_e32 v1, v2, v1
	buffer_load_dword v2, off, s[48:51], 0 offset:160 ; 4-byte Folded Reload
	s_waitcnt vmcnt(0)
	v_add_f32_e32 v2, v2, v1
	buffer_store_dword v2, off, s[48:51], 0 offset:160 ; 4-byte Folded Spill
	s_clause 0x3
	buffer_load_dword v21, off, s[48:51], 0 offset:64
	buffer_load_dword v22, off, s[48:51], 0 offset:68
	;; [unrolled: 1-line block ×4, first 2 shown]
	s_waitcnt vmcnt(3)
	v_and_b32_e32 v1, 0xffff0000, v21
	v_mul_f32_e32 v1, v102, v1
	v_bfe_u32 v2, v1, 16, 1
	v_or_b32_e32 v3, 0x400000, v1
	v_cmp_u_f32_e32 vcc_lo, v1, v1
	v_add3_u32 v2, v2, v1, 0x7fff
	v_cndmask_b32_e32 v1, v2, v3, vcc_lo
	v_lshlrev_b32_e32 v2, 16, v21
	v_and_b32_e32 v1, 0xffff0000, v1
	v_mul_f32_e32 v2, v105, v2
	v_bfe_u32 v3, v2, 16, 1
	v_or_b32_e32 v4, 0x400000, v2
	v_cmp_u_f32_e32 vcc_lo, v2, v2
	v_add3_u32 v3, v3, v2, 0x7fff
	v_cndmask_b32_e32 v2, v3, v4, vcc_lo
	s_waitcnt vmcnt(2)
	v_and_b32_e32 v3, 0xffff0000, v22
	v_and_b32_e32 v2, 0xffff0000, v2
	v_mul_f32_e32 v3, v101, v3
	v_add_f32_e32 v1, v2, v1
	v_bfe_u32 v4, v3, 16, 1
	v_or_b32_e32 v5, 0x400000, v3
	v_cmp_u_f32_e32 vcc_lo, v3, v3
	v_add3_u32 v4, v4, v3, 0x7fff
	v_cndmask_b32_e32 v3, v4, v5, vcc_lo
	v_lshlrev_b32_e32 v4, 16, v22
	v_and_b32_e32 v3, 0xffff0000, v3
	v_mul_f32_e32 v4, v104, v4
	v_bfe_u32 v5, v4, 16, 1
	v_or_b32_e32 v6, 0x400000, v4
	v_cmp_u_f32_e32 vcc_lo, v4, v4
	v_add3_u32 v5, v5, v4, 0x7fff
	v_cndmask_b32_e32 v4, v5, v6, vcc_lo
	s_waitcnt vmcnt(1)
	v_and_b32_e32 v5, 0xffff0000, v23
	v_and_b32_e32 v2, 0xffff0000, v4
	v_mul_f32_e32 v5, v10, v5
	v_add_f32_e32 v2, v2, v3
	v_bfe_u32 v6, v5, 16, 1
	v_or_b32_e32 v7, 0x400000, v5
	v_cmp_u_f32_e32 vcc_lo, v5, v5
	v_add_f32_e32 v1, v2, v1
	v_add3_u32 v6, v6, v5, 0x7fff
	v_cndmask_b32_e32 v5, v6, v7, vcc_lo
	v_lshlrev_b32_e32 v6, 16, v23
	v_and_b32_e32 v3, 0xffff0000, v5
	v_mul_f32_e32 v6, v103, v6
	v_bfe_u32 v7, v6, 16, 1
	v_or_b32_e32 v8, 0x400000, v6
	v_cmp_u_f32_e32 vcc_lo, v6, v6
	v_add3_u32 v7, v7, v6, 0x7fff
	v_cndmask_b32_e32 v6, v7, v8, vcc_lo
	s_waitcnt vmcnt(0)
	v_and_b32_e32 v7, 0xffff0000, v24
	v_and_b32_e32 v2, 0xffff0000, v6
	v_mul_f32_e32 v7, v9, v7
	v_add_f32_e32 v2, v2, v3
	v_bfe_u32 v8, v7, 16, 1
	v_or_b32_e32 v12, 0x400000, v7
	v_cmp_u_f32_e32 vcc_lo, v7, v7
	v_add_f32_e32 v1, v2, v1
	v_add3_u32 v8, v8, v7, 0x7fff
	v_cndmask_b32_e32 v7, v8, v12, vcc_lo
	v_lshlrev_b32_e32 v8, 16, v24
	v_and_b32_e32 v3, 0xffff0000, v7
	v_mul_f32_e32 v8, v11, v8
	v_bfe_u32 v12, v8, 16, 1
	v_or_b32_e32 v13, 0x400000, v8
	v_cmp_u_f32_e32 vcc_lo, v8, v8
	v_add3_u32 v12, v12, v8, 0x7fff
	v_cndmask_b32_e32 v8, v12, v13, vcc_lo
	v_and_b32_e32 v2, 0xffff0000, v8
	v_add_f32_e32 v2, v2, v3
	v_add_f32_e32 v1, v2, v1
	buffer_load_dword v2, off, s[48:51], 0 offset:164 ; 4-byte Folded Reload
	s_waitcnt vmcnt(0)
	v_add_f32_e32 v2, v2, v1
	buffer_store_dword v2, off, s[48:51], 0 offset:164 ; 4-byte Folded Spill
	s_clause 0x3
	buffer_load_dword v21, off, s[48:51], 0 offset:48
	buffer_load_dword v22, off, s[48:51], 0 offset:52
	;; [unrolled: 1-line block ×4, first 2 shown]
	s_waitcnt vmcnt(3)
	v_and_b32_e32 v1, 0xffff0000, v21
	v_mul_f32_e32 v1, v102, v1
	v_bfe_u32 v2, v1, 16, 1
	v_or_b32_e32 v3, 0x400000, v1
	v_cmp_u_f32_e32 vcc_lo, v1, v1
	v_add3_u32 v2, v2, v1, 0x7fff
	v_cndmask_b32_e32 v1, v2, v3, vcc_lo
	v_lshlrev_b32_e32 v2, 16, v21
	v_and_b32_e32 v1, 0xffff0000, v1
	v_mul_f32_e32 v2, v105, v2
	v_bfe_u32 v3, v2, 16, 1
	v_or_b32_e32 v4, 0x400000, v2
	v_cmp_u_f32_e32 vcc_lo, v2, v2
	v_add3_u32 v3, v3, v2, 0x7fff
	v_cndmask_b32_e32 v2, v3, v4, vcc_lo
	s_waitcnt vmcnt(2)
	v_and_b32_e32 v3, 0xffff0000, v22
	v_and_b32_e32 v2, 0xffff0000, v2
	v_mul_f32_e32 v3, v101, v3
	v_add_f32_e32 v1, v2, v1
	v_bfe_u32 v4, v3, 16, 1
	v_or_b32_e32 v5, 0x400000, v3
	v_cmp_u_f32_e32 vcc_lo, v3, v3
	v_add3_u32 v4, v4, v3, 0x7fff
	v_cndmask_b32_e32 v3, v4, v5, vcc_lo
	v_lshlrev_b32_e32 v4, 16, v22
	v_and_b32_e32 v3, 0xffff0000, v3
	v_mul_f32_e32 v4, v104, v4
	v_bfe_u32 v5, v4, 16, 1
	v_or_b32_e32 v6, 0x400000, v4
	v_cmp_u_f32_e32 vcc_lo, v4, v4
	v_add3_u32 v5, v5, v4, 0x7fff
	v_cndmask_b32_e32 v4, v5, v6, vcc_lo
	s_waitcnt vmcnt(1)
	v_and_b32_e32 v5, 0xffff0000, v23
	v_and_b32_e32 v2, 0xffff0000, v4
	v_mul_f32_e32 v5, v10, v5
	v_add_f32_e32 v2, v2, v3
	v_bfe_u32 v6, v5, 16, 1
	v_or_b32_e32 v7, 0x400000, v5
	v_cmp_u_f32_e32 vcc_lo, v5, v5
	v_add_f32_e32 v1, v2, v1
	v_add3_u32 v6, v6, v5, 0x7fff
	v_cndmask_b32_e32 v5, v6, v7, vcc_lo
	v_lshlrev_b32_e32 v6, 16, v23
	v_and_b32_e32 v3, 0xffff0000, v5
	v_mul_f32_e32 v6, v103, v6
	v_bfe_u32 v7, v6, 16, 1
	v_or_b32_e32 v8, 0x400000, v6
	v_cmp_u_f32_e32 vcc_lo, v6, v6
	v_add3_u32 v7, v7, v6, 0x7fff
	v_cndmask_b32_e32 v6, v7, v8, vcc_lo
	s_waitcnt vmcnt(0)
	v_and_b32_e32 v7, 0xffff0000, v24
	v_and_b32_e32 v2, 0xffff0000, v6
	v_mul_f32_e32 v7, v9, v7
	v_add_f32_e32 v2, v2, v3
	v_bfe_u32 v8, v7, 16, 1
	v_or_b32_e32 v12, 0x400000, v7
	v_cmp_u_f32_e32 vcc_lo, v7, v7
	v_add_f32_e32 v1, v2, v1
	v_add3_u32 v8, v8, v7, 0x7fff
	v_cndmask_b32_e32 v7, v8, v12, vcc_lo
	v_lshlrev_b32_e32 v8, 16, v24
	v_and_b32_e32 v3, 0xffff0000, v7
	v_mul_f32_e32 v8, v11, v8
	v_bfe_u32 v12, v8, 16, 1
	v_or_b32_e32 v13, 0x400000, v8
	v_cmp_u_f32_e32 vcc_lo, v8, v8
	v_add3_u32 v12, v12, v8, 0x7fff
	v_cndmask_b32_e32 v8, v12, v13, vcc_lo
	v_and_b32_e32 v2, 0xffff0000, v8
	v_add_f32_e32 v2, v2, v3
	v_add_f32_e32 v1, v2, v1
	buffer_load_dword v2, off, s[48:51], 0 offset:168 ; 4-byte Folded Reload
	s_waitcnt vmcnt(0)
	v_add_f32_e32 v2, v2, v1
	buffer_store_dword v2, off, s[48:51], 0 offset:168 ; 4-byte Folded Spill
	s_clause 0x3
	buffer_load_dword v21, off, s[48:51], 0 offset:32
	buffer_load_dword v22, off, s[48:51], 0 offset:36
	;; [unrolled: 1-line block ×4, first 2 shown]
	s_waitcnt vmcnt(3)
	v_and_b32_e32 v1, 0xffff0000, v21
	v_mul_f32_e32 v1, v102, v1
	v_bfe_u32 v2, v1, 16, 1
	v_or_b32_e32 v3, 0x400000, v1
	v_cmp_u_f32_e32 vcc_lo, v1, v1
	v_add3_u32 v2, v2, v1, 0x7fff
	v_cndmask_b32_e32 v1, v2, v3, vcc_lo
	v_lshlrev_b32_e32 v2, 16, v21
	v_and_b32_e32 v1, 0xffff0000, v1
	v_mul_f32_e32 v2, v105, v2
	v_bfe_u32 v3, v2, 16, 1
	v_or_b32_e32 v4, 0x400000, v2
	v_cmp_u_f32_e32 vcc_lo, v2, v2
	v_add3_u32 v3, v3, v2, 0x7fff
	v_cndmask_b32_e32 v2, v3, v4, vcc_lo
	s_waitcnt vmcnt(2)
	v_and_b32_e32 v3, 0xffff0000, v22
	v_and_b32_e32 v2, 0xffff0000, v2
	v_mul_f32_e32 v3, v101, v3
	v_add_f32_e32 v1, v2, v1
	v_bfe_u32 v4, v3, 16, 1
	v_or_b32_e32 v5, 0x400000, v3
	v_cmp_u_f32_e32 vcc_lo, v3, v3
	v_add3_u32 v4, v4, v3, 0x7fff
	v_cndmask_b32_e32 v3, v4, v5, vcc_lo
	v_lshlrev_b32_e32 v4, 16, v22
	v_and_b32_e32 v3, 0xffff0000, v3
	v_mul_f32_e32 v4, v104, v4
	v_bfe_u32 v5, v4, 16, 1
	v_or_b32_e32 v6, 0x400000, v4
	v_cmp_u_f32_e32 vcc_lo, v4, v4
	v_add3_u32 v5, v5, v4, 0x7fff
	v_cndmask_b32_e32 v4, v5, v6, vcc_lo
	s_waitcnt vmcnt(1)
	v_and_b32_e32 v5, 0xffff0000, v23
	v_and_b32_e32 v2, 0xffff0000, v4
	v_mul_f32_e32 v5, v10, v5
	v_add_f32_e32 v2, v2, v3
	v_bfe_u32 v6, v5, 16, 1
	v_or_b32_e32 v7, 0x400000, v5
	v_cmp_u_f32_e32 vcc_lo, v5, v5
	v_add_f32_e32 v1, v2, v1
	v_add3_u32 v6, v6, v5, 0x7fff
	v_cndmask_b32_e32 v5, v6, v7, vcc_lo
	v_lshlrev_b32_e32 v6, 16, v23
	v_and_b32_e32 v3, 0xffff0000, v5
	v_mul_f32_e32 v6, v103, v6
	v_bfe_u32 v7, v6, 16, 1
	v_or_b32_e32 v8, 0x400000, v6
	v_cmp_u_f32_e32 vcc_lo, v6, v6
	v_add3_u32 v7, v7, v6, 0x7fff
	v_cndmask_b32_e32 v6, v7, v8, vcc_lo
	s_waitcnt vmcnt(0)
	v_and_b32_e32 v7, 0xffff0000, v24
	v_and_b32_e32 v2, 0xffff0000, v6
	v_mul_f32_e32 v7, v9, v7
	v_add_f32_e32 v2, v2, v3
	v_bfe_u32 v8, v7, 16, 1
	v_or_b32_e32 v12, 0x400000, v7
	v_cmp_u_f32_e32 vcc_lo, v7, v7
	v_add_f32_e32 v1, v2, v1
	v_add3_u32 v8, v8, v7, 0x7fff
	v_cndmask_b32_e32 v7, v8, v12, vcc_lo
	v_lshlrev_b32_e32 v8, 16, v24
	v_and_b32_e32 v3, 0xffff0000, v7
	v_mul_f32_e32 v8, v11, v8
	v_bfe_u32 v12, v8, 16, 1
	v_or_b32_e32 v13, 0x400000, v8
	v_cmp_u_f32_e32 vcc_lo, v8, v8
	v_add3_u32 v12, v12, v8, 0x7fff
	v_cndmask_b32_e32 v8, v12, v13, vcc_lo
	v_and_b32_e32 v2, 0xffff0000, v8
	v_add_f32_e32 v2, v2, v3
	v_add_f32_e32 v1, v2, v1
	buffer_load_dword v2, off, s[48:51], 0 offset:176 ; 4-byte Folded Reload
	s_waitcnt vmcnt(0)
	v_add_f32_e32 v2, v2, v1
	buffer_store_dword v2, off, s[48:51], 0 offset:176 ; 4-byte Folded Spill
	s_clause 0x4
	buffer_load_dword v21, off, s[48:51], 0 offset:16
	buffer_load_dword v22, off, s[48:51], 0 offset:20
	;; [unrolled: 1-line block ×5, first 2 shown]
	s_waitcnt vmcnt(4)
	v_and_b32_e32 v1, 0xffff0000, v21
	v_mul_f32_e32 v1, v102, v1
	v_bfe_u32 v2, v1, 16, 1
	v_or_b32_e32 v3, 0x400000, v1
	v_cmp_u_f32_e32 vcc_lo, v1, v1
	v_add3_u32 v2, v2, v1, 0x7fff
	v_cndmask_b32_e32 v1, v2, v3, vcc_lo
	v_lshlrev_b32_e32 v2, 16, v21
	v_and_b32_e32 v1, 0xffff0000, v1
	v_mul_f32_e32 v2, v105, v2
	v_bfe_u32 v3, v2, 16, 1
	v_or_b32_e32 v4, 0x400000, v2
	v_cmp_u_f32_e32 vcc_lo, v2, v2
	v_add3_u32 v3, v3, v2, 0x7fff
	v_cndmask_b32_e32 v2, v3, v4, vcc_lo
	s_waitcnt vmcnt(3)
	v_and_b32_e32 v3, 0xffff0000, v22
	v_and_b32_e32 v2, 0xffff0000, v2
	v_mul_f32_e32 v3, v101, v3
	v_add_f32_e32 v1, v2, v1
	v_bfe_u32 v4, v3, 16, 1
	v_or_b32_e32 v5, 0x400000, v3
	v_cmp_u_f32_e32 vcc_lo, v3, v3
	v_add3_u32 v4, v4, v3, 0x7fff
	v_cndmask_b32_e32 v3, v4, v5, vcc_lo
	v_lshlrev_b32_e32 v4, 16, v22
	v_and_b32_e32 v3, 0xffff0000, v3
	v_mul_f32_e32 v4, v104, v4
	v_bfe_u32 v5, v4, 16, 1
	v_or_b32_e32 v6, 0x400000, v4
	v_cmp_u_f32_e32 vcc_lo, v4, v4
	v_add3_u32 v5, v5, v4, 0x7fff
	v_cndmask_b32_e32 v4, v5, v6, vcc_lo
	s_waitcnt vmcnt(2)
	v_and_b32_e32 v5, 0xffff0000, v23
	v_and_b32_e32 v2, 0xffff0000, v4
	v_mul_f32_e32 v5, v10, v5
	v_add_f32_e32 v2, v2, v3
	v_bfe_u32 v6, v5, 16, 1
	v_or_b32_e32 v7, 0x400000, v5
	v_cmp_u_f32_e32 vcc_lo, v5, v5
	v_add_f32_e32 v1, v2, v1
	v_add3_u32 v6, v6, v5, 0x7fff
	v_cndmask_b32_e32 v5, v6, v7, vcc_lo
	v_lshlrev_b32_e32 v6, 16, v23
	v_and_b32_e32 v3, 0xffff0000, v5
	v_mul_f32_e32 v6, v103, v6
	v_bfe_u32 v7, v6, 16, 1
	v_or_b32_e32 v8, 0x400000, v6
	v_cmp_u_f32_e32 vcc_lo, v6, v6
	v_add3_u32 v7, v7, v6, 0x7fff
	v_cndmask_b32_e32 v6, v7, v8, vcc_lo
	s_waitcnt vmcnt(1)
	v_and_b32_e32 v7, 0xffff0000, v24
	v_and_b32_e32 v2, 0xffff0000, v6
	v_mul_f32_e32 v7, v9, v7
	v_add_f32_e32 v2, v2, v3
	v_bfe_u32 v8, v7, 16, 1
	v_or_b32_e32 v12, 0x400000, v7
	v_cmp_u_f32_e32 vcc_lo, v7, v7
	v_add_f32_e32 v1, v2, v1
	v_add3_u32 v8, v8, v7, 0x7fff
	v_cndmask_b32_e32 v7, v8, v12, vcc_lo
	v_lshlrev_b32_e32 v8, 16, v24
	v_and_b32_e32 v3, 0xffff0000, v7
	v_mul_f32_e32 v8, v11, v8
	v_bfe_u32 v12, v8, 16, 1
	v_or_b32_e32 v13, 0x400000, v8
	v_cmp_u_f32_e32 vcc_lo, v8, v8
	v_add3_u32 v12, v12, v8, 0x7fff
	v_cndmask_b32_e32 v8, v12, v13, vcc_lo
	v_and_b32_e32 v2, 0xffff0000, v8
	v_add_f32_e32 v2, v2, v3
	v_add_f32_e32 v1, v2, v1
	buffer_load_dword v2, off, s[48:51], 0 offset:172 ; 4-byte Folded Reload
	s_waitcnt vmcnt(0)
	v_add_f32_e32 v2, v2, v1
	v_lshlrev_b32_e32 v1, 16, v29
	buffer_store_dword v2, off, s[48:51], 0 offset:172 ; 4-byte Folded Spill
	v_mul_f32_e32 v1, v105, v1
	v_bfe_u32 v2, v1, 16, 1
	v_or_b32_e32 v3, 0x400000, v1
	v_cmp_u_f32_e32 vcc_lo, v1, v1
	v_add3_u32 v2, v2, v1, 0x7fff
	v_cndmask_b32_e32 v1, v2, v3, vcc_lo
	v_and_b32_e32 v2, 0xffff0000, v29
	v_and_b32_e32 v1, 0xffff0000, v1
	v_mul_f32_e32 v2, v102, v2
	v_bfe_u32 v3, v2, 16, 1
	v_or_b32_e32 v4, 0x400000, v2
	v_cmp_u_f32_e32 vcc_lo, v2, v2
	v_add3_u32 v3, v3, v2, 0x7fff
	v_cndmask_b32_e32 v2, v3, v4, vcc_lo
	v_lshlrev_b32_e32 v3, 16, v30
	v_and_b32_e32 v2, 0xffff0000, v2
	v_mul_f32_e32 v3, v104, v3
	v_add_f32_e32 v1, v1, v2
	v_bfe_u32 v4, v3, 16, 1
	v_or_b32_e32 v5, 0x400000, v3
	v_cmp_u_f32_e32 vcc_lo, v3, v3
	v_add3_u32 v4, v4, v3, 0x7fff
	v_cndmask_b32_e32 v3, v4, v5, vcc_lo
	v_and_b32_e32 v4, 0xffff0000, v30
	v_and_b32_e32 v3, 0xffff0000, v3
	v_mul_f32_e32 v4, v101, v4
	v_bfe_u32 v5, v4, 16, 1
	v_or_b32_e32 v6, 0x400000, v4
	v_cmp_u_f32_e32 vcc_lo, v4, v4
	v_add3_u32 v5, v5, v4, 0x7fff
	v_cndmask_b32_e32 v4, v5, v6, vcc_lo
	v_lshlrev_b32_e32 v5, 16, v31
	v_and_b32_e32 v2, 0xffff0000, v4
	v_mul_f32_e32 v5, v103, v5
	v_add_f32_e32 v2, v3, v2
	v_bfe_u32 v6, v5, 16, 1
	v_or_b32_e32 v7, 0x400000, v5
	v_cmp_u_f32_e32 vcc_lo, v5, v5
	v_add_f32_e32 v1, v2, v1
	v_add3_u32 v6, v6, v5, 0x7fff
	v_cndmask_b32_e32 v5, v6, v7, vcc_lo
	v_and_b32_e32 v6, 0xffff0000, v31
	v_and_b32_e32 v3, 0xffff0000, v5
	v_mul_f32_e32 v6, v10, v6
	v_bfe_u32 v7, v6, 16, 1
	v_or_b32_e32 v8, 0x400000, v6
	v_cmp_u_f32_e32 vcc_lo, v6, v6
	v_add3_u32 v7, v7, v6, 0x7fff
	v_cndmask_b32_e32 v6, v7, v8, vcc_lo
	v_lshlrev_b32_e32 v7, 16, v32
	v_and_b32_e32 v2, 0xffff0000, v6
	v_mul_f32_e32 v7, v11, v7
	v_add_f32_e32 v2, v3, v2
	v_bfe_u32 v8, v7, 16, 1
	v_or_b32_e32 v10, 0x400000, v7
	v_cmp_u_f32_e32 vcc_lo, v7, v7
	v_add_f32_e32 v1, v2, v1
	v_add3_u32 v8, v8, v7, 0x7fff
	v_cndmask_b32_e32 v7, v8, v10, vcc_lo
	v_and_b32_e32 v8, 0xffff0000, v32
	v_and_b32_e32 v3, 0xffff0000, v7
	v_mul_f32_e32 v8, v9, v8
	v_bfe_u32 v9, v8, 16, 1
	v_or_b32_e32 v10, 0x400000, v8
	v_cmp_u_f32_e32 vcc_lo, v8, v8
	v_add3_u32 v9, v9, v8, 0x7fff
	v_cndmask_b32_e32 v8, v9, v10, vcc_lo
	v_and_b32_e32 v2, 0xffff0000, v8
	v_add_f32_e32 v2, v3, v2
	v_add_f32_e32 v1, v2, v1
	;; [unrolled: 1-line block ×3, first 2 shown]
.LBB179_37:                             ;   in Loop: Header=BB179_38 Depth=1
	s_or_b32 exec_lo, exec_lo, s21
	s_clause 0x1
	buffer_load_dword v1, off, s[48:51], 0
	buffer_load_dword v2, off, s[48:51], 0 offset:4
	v_add_co_u32 v126, s1, v126, 16
	v_add_co_ci_u32_e64 v127, null, 0, v127, s1
	s_waitcnt vmcnt(0)
	v_mov_b32_e32 v2, v1
	v_add_nc_u32_e32 v2, 4, v2
	v_mov_b32_e32 v1, v2
	buffer_store_dword v1, off, s[48:51], 0 ; 4-byte Folded Spill
	buffer_store_dword v2, off, s[48:51], 0 offset:4 ; 4-byte Folded Spill
	buffer_load_dword v1, off, s[48:51], 0 offset:8 ; 4-byte Folded Reload
	v_cmp_le_i32_e32 vcc_lo, s16, v2
	buffer_load_dword v2, off, s[48:51], 0 offset:12 ; 4-byte Folded Reload
	s_waitcnt vmcnt(1)
	v_add_nc_u32_e32 v1, 0x80, v1
	s_or_b32 s18, vcc_lo, s18
	s_waitcnt vmcnt(0)
	v_add_nc_u32_e32 v2, 0x200, v2
	buffer_store_dword v2, off, s[48:51], 0 offset:12 ; 4-byte Folded Spill
	s_andn2_b32 exec_lo, exec_lo, s18
	s_cbranch_execz .LBB179_103
.LBB179_38:                             ; =>This Inner Loop Header: Depth=1
	s_waitcnt vmcnt(0)
	v_mov_b32_e32 v5, v1
	v_sub_nc_u32_e32 v1, 0, v5
	buffer_store_dword v5, off, s[48:51], 0 offset:8 ; 4-byte Folded Spill
	v_max_i32_e32 v1, v5, v1
	v_mul_hi_u32 v2, v1, s12
	v_mul_lo_u32 v3, v2, s11
	v_sub_nc_u32_e32 v1, v1, v3
	v_add_nc_u32_e32 v3, 1, v2
	v_subrev_nc_u32_e32 v4, s11, v1
	v_cmp_le_u32_e32 vcc_lo, s11, v1
	v_cndmask_b32_e32 v2, v2, v3, vcc_lo
	v_cndmask_b32_e32 v1, v1, v4, vcc_lo
	v_ashrrev_i32_e32 v3, 31, v5
	v_add_nc_u32_e32 v4, 1, v2
	v_cmp_le_u32_e32 vcc_lo, s11, v1
	v_xor_b32_e32 v3, s19, v3
	v_cndmask_b32_e32 v1, v2, v4, vcc_lo
	buffer_load_dword v4, off, s[48:51], 0 offset:180 ; 4-byte Folded Reload
	v_xor_b32_e32 v1, v1, v3
	v_sub_nc_u32_e32 v1, v1, v3
	v_add_nc_u32_e32 v2, s33, v1
	v_cmp_lt_i32_e64 s1, s6, v1
	v_sub_nc_u32_e32 v3, 0, v2
	v_max_i32_e32 v3, v2, v3
	v_ashrrev_i32_e32 v2, 31, v2
	s_waitcnt vmcnt(0)
	v_mul_hi_u32 v4, v3, v4
	v_mul_lo_u32 v4, v4, s15
	v_sub_nc_u32_e32 v3, v3, v4
	v_subrev_nc_u32_e32 v4, s15, v3
	v_cmp_le_u32_e32 vcc_lo, s15, v3
	v_cndmask_b32_e32 v3, v3, v4, vcc_lo
	v_subrev_nc_u32_e32 v4, s15, v3
	v_cmp_le_u32_e32 vcc_lo, s15, v3
	v_cndmask_b32_e32 v3, v3, v4, vcc_lo
	v_xor_b32_e32 v3, v3, v2
	v_sub_nc_u32_e32 v2, v3, v2
	v_cmp_eq_u32_e32 vcc_lo, 0, v2
	s_or_b32 s1, vcc_lo, s1
	s_and_saveexec_b32 s21, s1
	s_cbranch_execz .LBB179_37
; %bb.39:                               ;   in Loop: Header=BB179_38 Depth=1
	buffer_store_dword v19, off, s[48:51], 0 offset:224 ; 4-byte Folded Spill
	buffer_store_dword v18, off, s[48:51], 0 offset:220 ; 4-byte Folded Spill
	;; [unrolled: 1-line block ×11, first 2 shown]
	global_load_dword v1, v[126:127], off
	s_waitcnt vmcnt(0)
	v_mad_i64_i32 v[1:2], null, v1, s13, 0
	v_lshlrev_b64 v[1:2], 1, v[1:2]
	v_add_co_u32 v20, vcc_lo, s9, v1
	buffer_load_dword v1, off, s[48:51], 0 offset:236 ; 4-byte Folded Reload
	v_add_co_ci_u32_e64 v29, null, s14, v2, vcc_lo
	s_waitcnt vmcnt(0)
	v_add_co_u32 v1, vcc_lo, v20, v1
	v_add_co_ci_u32_e64 v2, null, 0, v29, vcc_lo
	global_load_dwordx4 v[3:6], v[1:2], off
	s_waitcnt vmcnt(0)
	buffer_store_dword v3, off, s[48:51], 0 offset:16 ; 4-byte Folded Spill
	buffer_store_dword v4, off, s[48:51], 0 offset:20 ; 4-byte Folded Spill
	;; [unrolled: 1-line block ×4, first 2 shown]
	buffer_load_dword v3, off, s[48:51], 0 offset:12 ; 4-byte Folded Reload
	s_waitcnt vmcnt(0)
	ds_read2_b64 v[105:108], v3 offset1:1
	ds_read2_b64 v[101:104], v3 offset0:2 offset1:3
	s_clause 0x1
	buffer_load_dword v3, off, s[48:51], 0 offset:8
	buffer_load_dword v4, off, s[48:51], 0 offset:232
	s_waitcnt vmcnt(0)
	v_add_nc_u32_e32 v18, v4, v3
	s_clause 0x1
	buffer_load_dword v3, off, s[48:51], 0
	buffer_load_dword v4, off, s[48:51], 0 offset:4
	v_add_nc_u32_e32 v19, 1, v18
	v_or_b32_e32 v17, 3, v18
	v_or_b32_e32 v16, 2, v18
	v_or_b32_e32 v15, 5, v18
	v_or_b32_e32 v14, 4, v18
	v_or_b32_e32 v13, 7, v18
	v_or_b32_e32 v125, 6, v18
	s_waitcnt vmcnt(1)
	v_cmp_eq_u32_e64 s1, s17, v3
	s_and_saveexec_b32 s22, s1
	s_cbranch_execz .LBB179_41
; %bb.40:                               ;   in Loop: Header=BB179_38 Depth=1
	s_clause 0x3
	buffer_load_dword v7, off, s[48:51], 0 offset:16
	buffer_load_dword v8, off, s[48:51], 0 offset:20
	buffer_load_dword v9, off, s[48:51], 0 offset:24
	buffer_load_dword v10, off, s[48:51], 0 offset:28
	v_cmp_gt_i32_e64 s2, s27, v18
	v_cmp_gt_i32_e32 vcc_lo, s20, v19
	v_cmp_gt_i32_e64 s3, s27, v16
	s_waitcnt vmcnt(3)
	v_cndmask_b32_e64 v3, 0, v7, s2
	v_cmp_gt_i32_e64 s2, s20, v17
	v_cndmask_b32_sdwa v5, v0, v7, vcc_lo dst_sel:DWORD dst_unused:UNUSED_PAD src0_sel:DWORD src1_sel:WORD_1
	s_waitcnt vmcnt(2)
	v_cndmask_b32_e64 v4, 0, v8, s3
	v_cmp_gt_i32_e64 s3, s20, v15
	s_mov_b32 vcc_lo, s2
	v_cmp_gt_i32_e64 s2, s20, v13
	v_cndmask_b32_sdwa v6, v0, v8, vcc_lo dst_sel:DWORD dst_unused:UNUSED_PAD src0_sel:DWORD src1_sel:WORD_1
	v_cmp_gt_i32_e32 vcc_lo, s27, v14
	v_perm_b32 v3, v5, v3, 0x5040100
	v_perm_b32 v4, v6, v4, 0x5040100
	s_waitcnt vmcnt(1)
	v_cndmask_b32_e32 v7, 0, v9, vcc_lo
	s_mov_b32 vcc_lo, s3
	v_cndmask_b32_sdwa v8, v0, v9, vcc_lo dst_sel:DWORD dst_unused:UNUSED_PAD src0_sel:DWORD src1_sel:WORD_1
	v_cmp_gt_i32_e32 vcc_lo, s27, v125
	v_perm_b32 v5, v8, v7, 0x5040100
	s_waitcnt vmcnt(0)
	v_cndmask_b32_e32 v9, 0, v10, vcc_lo
	s_mov_b32 vcc_lo, s2
	v_cndmask_b32_sdwa v10, v0, v10, vcc_lo dst_sel:DWORD dst_unused:UNUSED_PAD src0_sel:DWORD src1_sel:WORD_1
	v_perm_b32 v6, v10, v9, 0x5040100
	buffer_store_dword v3, off, s[48:51], 0 offset:16 ; 4-byte Folded Spill
	buffer_store_dword v4, off, s[48:51], 0 offset:20 ; 4-byte Folded Spill
	buffer_store_dword v5, off, s[48:51], 0 offset:24 ; 4-byte Folded Spill
	buffer_store_dword v6, off, s[48:51], 0 offset:28 ; 4-byte Folded Spill
.LBB179_41:                             ;   in Loop: Header=BB179_38 Depth=1
	s_or_b32 exec_lo, exec_lo, s22
	global_load_dwordx4 v[3:6], v[1:2], off offset:512
	s_waitcnt vmcnt(0)
	buffer_store_dword v3, off, s[48:51], 0 offset:32 ; 4-byte Folded Spill
	buffer_store_dword v4, off, s[48:51], 0 offset:36 ; 4-byte Folded Spill
	buffer_store_dword v5, off, s[48:51], 0 offset:40 ; 4-byte Folded Spill
	buffer_store_dword v6, off, s[48:51], 0 offset:44 ; 4-byte Folded Spill
	s_and_saveexec_b32 s22, s1
	s_cbranch_execz .LBB179_43
; %bb.42:                               ;   in Loop: Header=BB179_38 Depth=1
	s_clause 0x3
	buffer_load_dword v7, off, s[48:51], 0 offset:32
	buffer_load_dword v8, off, s[48:51], 0 offset:36
	buffer_load_dword v9, off, s[48:51], 0 offset:40
	buffer_load_dword v10, off, s[48:51], 0 offset:44
	v_cmp_gt_i32_e64 s2, s27, v18
	v_cmp_gt_i32_e32 vcc_lo, s20, v19
	v_cmp_gt_i32_e64 s3, s27, v16
	s_waitcnt vmcnt(3)
	v_cndmask_b32_e64 v3, 0, v7, s2
	v_cmp_gt_i32_e64 s2, s20, v17
	v_cndmask_b32_sdwa v5, v0, v7, vcc_lo dst_sel:DWORD dst_unused:UNUSED_PAD src0_sel:DWORD src1_sel:WORD_1
	s_waitcnt vmcnt(2)
	v_cndmask_b32_e64 v4, 0, v8, s3
	v_cmp_gt_i32_e64 s3, s20, v15
	s_mov_b32 vcc_lo, s2
	v_cmp_gt_i32_e64 s2, s20, v13
	v_cndmask_b32_sdwa v6, v0, v8, vcc_lo dst_sel:DWORD dst_unused:UNUSED_PAD src0_sel:DWORD src1_sel:WORD_1
	v_cmp_gt_i32_e32 vcc_lo, s27, v14
	v_perm_b32 v3, v5, v3, 0x5040100
	v_perm_b32 v4, v6, v4, 0x5040100
	s_waitcnt vmcnt(1)
	v_cndmask_b32_e32 v7, 0, v9, vcc_lo
	s_mov_b32 vcc_lo, s3
	v_cndmask_b32_sdwa v8, v0, v9, vcc_lo dst_sel:DWORD dst_unused:UNUSED_PAD src0_sel:DWORD src1_sel:WORD_1
	v_cmp_gt_i32_e32 vcc_lo, s27, v125
	v_perm_b32 v5, v8, v7, 0x5040100
	s_waitcnt vmcnt(0)
	v_cndmask_b32_e32 v9, 0, v10, vcc_lo
	s_mov_b32 vcc_lo, s2
	v_cndmask_b32_sdwa v10, v0, v10, vcc_lo dst_sel:DWORD dst_unused:UNUSED_PAD src0_sel:DWORD src1_sel:WORD_1
	v_perm_b32 v6, v10, v9, 0x5040100
	buffer_store_dword v3, off, s[48:51], 0 offset:32 ; 4-byte Folded Spill
	buffer_store_dword v4, off, s[48:51], 0 offset:36 ; 4-byte Folded Spill
	buffer_store_dword v5, off, s[48:51], 0 offset:40 ; 4-byte Folded Spill
	buffer_store_dword v6, off, s[48:51], 0 offset:44 ; 4-byte Folded Spill
.LBB179_43:                             ;   in Loop: Header=BB179_38 Depth=1
	s_or_b32 exec_lo, exec_lo, s22
	global_load_dwordx4 v[3:6], v[1:2], off offset:1024
	s_waitcnt vmcnt(0)
	buffer_store_dword v3, off, s[48:51], 0 offset:48 ; 4-byte Folded Spill
	buffer_store_dword v4, off, s[48:51], 0 offset:52 ; 4-byte Folded Spill
	buffer_store_dword v5, off, s[48:51], 0 offset:56 ; 4-byte Folded Spill
	buffer_store_dword v6, off, s[48:51], 0 offset:60 ; 4-byte Folded Spill
	;; [unrolled: 47-line block ×3, first 2 shown]
	s_and_saveexec_b32 s22, s1
	s_cbranch_execz .LBB179_47
; %bb.46:                               ;   in Loop: Header=BB179_38 Depth=1
	s_clause 0x3
	buffer_load_dword v7, off, s[48:51], 0 offset:64
	buffer_load_dword v8, off, s[48:51], 0 offset:68
	;; [unrolled: 1-line block ×4, first 2 shown]
	v_cmp_gt_i32_e64 s2, s27, v18
	v_cmp_gt_i32_e32 vcc_lo, s20, v19
	v_cmp_gt_i32_e64 s3, s27, v16
	s_waitcnt vmcnt(3)
	v_cndmask_b32_e64 v3, 0, v7, s2
	v_cmp_gt_i32_e64 s2, s20, v17
	v_cndmask_b32_sdwa v5, v0, v7, vcc_lo dst_sel:DWORD dst_unused:UNUSED_PAD src0_sel:DWORD src1_sel:WORD_1
	s_waitcnt vmcnt(2)
	v_cndmask_b32_e64 v4, 0, v8, s3
	v_cmp_gt_i32_e64 s3, s20, v15
	s_mov_b32 vcc_lo, s2
	v_cmp_gt_i32_e64 s2, s20, v13
	v_cndmask_b32_sdwa v6, v0, v8, vcc_lo dst_sel:DWORD dst_unused:UNUSED_PAD src0_sel:DWORD src1_sel:WORD_1
	v_cmp_gt_i32_e32 vcc_lo, s27, v14
	v_perm_b32 v3, v5, v3, 0x5040100
	v_perm_b32 v4, v6, v4, 0x5040100
	s_waitcnt vmcnt(1)
	v_cndmask_b32_e32 v7, 0, v9, vcc_lo
	s_mov_b32 vcc_lo, s3
	v_cndmask_b32_sdwa v8, v0, v9, vcc_lo dst_sel:DWORD dst_unused:UNUSED_PAD src0_sel:DWORD src1_sel:WORD_1
	v_cmp_gt_i32_e32 vcc_lo, s27, v125
	v_perm_b32 v5, v8, v7, 0x5040100
	s_waitcnt vmcnt(0)
	v_cndmask_b32_e32 v9, 0, v10, vcc_lo
	s_mov_b32 vcc_lo, s2
	v_cndmask_b32_sdwa v10, v0, v10, vcc_lo dst_sel:DWORD dst_unused:UNUSED_PAD src0_sel:DWORD src1_sel:WORD_1
	v_perm_b32 v6, v10, v9, 0x5040100
	buffer_store_dword v3, off, s[48:51], 0 offset:64 ; 4-byte Folded Spill
	buffer_store_dword v4, off, s[48:51], 0 offset:68 ; 4-byte Folded Spill
	;; [unrolled: 1-line block ×4, first 2 shown]
.LBB179_47:                             ;   in Loop: Header=BB179_38 Depth=1
	s_or_b32 exec_lo, exec_lo, s22
	v_add_co_u32 v3, vcc_lo, 0x800, v1
	v_add_co_ci_u32_e64 v4, null, 0, v2, vcc_lo
	global_load_dwordx4 v[5:8], v[3:4], off
	s_waitcnt vmcnt(0)
	buffer_store_dword v5, off, s[48:51], 0 offset:80 ; 4-byte Folded Spill
	buffer_store_dword v6, off, s[48:51], 0 offset:84 ; 4-byte Folded Spill
	;; [unrolled: 1-line block ×4, first 2 shown]
	s_and_saveexec_b32 s22, s1
	s_cbranch_execnz .LBB179_83
; %bb.48:                               ;   in Loop: Header=BB179_38 Depth=1
	s_or_b32 exec_lo, exec_lo, s22
	global_load_dwordx4 v[21:24], v[3:4], off offset:512
	s_and_saveexec_b32 s22, s1
	s_cbranch_execnz .LBB179_84
.LBB179_49:                             ;   in Loop: Header=BB179_38 Depth=1
	s_or_b32 exec_lo, exec_lo, s22
	global_load_dwordx4 v[25:28], v[3:4], off offset:1024
	s_and_saveexec_b32 s22, s1
	s_cbranch_execnz .LBB179_85
.LBB179_50:                             ;   in Loop: Header=BB179_38 Depth=1
	s_or_b32 exec_lo, exec_lo, s22
	global_load_dwordx4 v[33:36], v[3:4], off offset:1536
	s_and_saveexec_b32 s22, s1
	s_cbranch_execz .LBB179_52
.LBB179_51:                             ;   in Loop: Header=BB179_38 Depth=1
	v_cmp_gt_i32_e64 s2, s27, v18
	v_cmp_gt_i32_e32 vcc_lo, s20, v19
	v_cmp_gt_i32_e64 s3, s27, v16
	s_waitcnt vmcnt(0)
	v_cndmask_b32_e64 v3, 0, v33, s2
	v_cmp_gt_i32_e64 s2, s20, v17
	v_cndmask_b32_sdwa v5, v0, v33, vcc_lo dst_sel:DWORD dst_unused:UNUSED_PAD src0_sel:DWORD src1_sel:WORD_1
	v_cndmask_b32_e64 v4, 0, v34, s3
	v_cmp_gt_i32_e64 s3, s20, v15
	s_mov_b32 vcc_lo, s2
	v_cmp_gt_i32_e64 s2, s20, v13
	v_cndmask_b32_sdwa v6, v0, v34, vcc_lo dst_sel:DWORD dst_unused:UNUSED_PAD src0_sel:DWORD src1_sel:WORD_1
	v_cmp_gt_i32_e32 vcc_lo, s27, v14
	v_perm_b32 v33, v5, v3, 0x5040100
	v_perm_b32 v34, v6, v4, 0x5040100
	v_cndmask_b32_e32 v7, 0, v35, vcc_lo
	s_mov_b32 vcc_lo, s3
	v_cndmask_b32_sdwa v8, v0, v35, vcc_lo dst_sel:DWORD dst_unused:UNUSED_PAD src0_sel:DWORD src1_sel:WORD_1
	v_cmp_gt_i32_e32 vcc_lo, s27, v125
	v_perm_b32 v35, v8, v7, 0x5040100
	v_cndmask_b32_e32 v9, 0, v36, vcc_lo
	s_mov_b32 vcc_lo, s2
	v_cndmask_b32_sdwa v10, v0, v36, vcc_lo dst_sel:DWORD dst_unused:UNUSED_PAD src0_sel:DWORD src1_sel:WORD_1
	v_perm_b32 v36, v10, v9, 0x5040100
.LBB179_52:                             ;   in Loop: Header=BB179_38 Depth=1
	s_or_b32 exec_lo, exec_lo, s22
	v_add_co_u32 v3, vcc_lo, 0x1000, v1
	v_add_co_ci_u32_e64 v4, null, 0, v2, vcc_lo
	global_load_dwordx4 v[37:40], v[3:4], off
	s_and_saveexec_b32 s22, s1
	s_cbranch_execnz .LBB179_86
; %bb.53:                               ;   in Loop: Header=BB179_38 Depth=1
	s_or_b32 exec_lo, exec_lo, s22
	global_load_dwordx4 v[41:44], v[3:4], off offset:512
	s_and_saveexec_b32 s22, s1
	s_cbranch_execnz .LBB179_87
.LBB179_54:                             ;   in Loop: Header=BB179_38 Depth=1
	s_or_b32 exec_lo, exec_lo, s22
	global_load_dwordx4 v[45:48], v[3:4], off offset:1024
	s_and_saveexec_b32 s22, s1
	s_cbranch_execnz .LBB179_88
.LBB179_55:                             ;   in Loop: Header=BB179_38 Depth=1
	s_or_b32 exec_lo, exec_lo, s22
	global_load_dwordx4 v[49:52], v[3:4], off offset:1536
	s_and_saveexec_b32 s22, s1
	s_cbranch_execz .LBB179_57
.LBB179_56:                             ;   in Loop: Header=BB179_38 Depth=1
	v_cmp_gt_i32_e64 s2, s27, v18
	v_cmp_gt_i32_e32 vcc_lo, s20, v19
	v_cmp_gt_i32_e64 s3, s27, v16
	s_waitcnt vmcnt(0)
	v_cndmask_b32_e64 v3, 0, v49, s2
	v_cmp_gt_i32_e64 s2, s20, v17
	v_cndmask_b32_sdwa v5, v0, v49, vcc_lo dst_sel:DWORD dst_unused:UNUSED_PAD src0_sel:DWORD src1_sel:WORD_1
	v_cndmask_b32_e64 v4, 0, v50, s3
	v_cmp_gt_i32_e64 s3, s20, v15
	s_mov_b32 vcc_lo, s2
	v_cmp_gt_i32_e64 s2, s20, v13
	v_cndmask_b32_sdwa v6, v0, v50, vcc_lo dst_sel:DWORD dst_unused:UNUSED_PAD src0_sel:DWORD src1_sel:WORD_1
	v_cmp_gt_i32_e32 vcc_lo, s27, v14
	v_perm_b32 v49, v5, v3, 0x5040100
	v_perm_b32 v50, v6, v4, 0x5040100
	v_cndmask_b32_e32 v7, 0, v51, vcc_lo
	s_mov_b32 vcc_lo, s3
	v_cndmask_b32_sdwa v8, v0, v51, vcc_lo dst_sel:DWORD dst_unused:UNUSED_PAD src0_sel:DWORD src1_sel:WORD_1
	v_cmp_gt_i32_e32 vcc_lo, s27, v125
	v_perm_b32 v51, v8, v7, 0x5040100
	v_cndmask_b32_e32 v9, 0, v52, vcc_lo
	s_mov_b32 vcc_lo, s2
	v_cndmask_b32_sdwa v10, v0, v52, vcc_lo dst_sel:DWORD dst_unused:UNUSED_PAD src0_sel:DWORD src1_sel:WORD_1
	v_perm_b32 v52, v10, v9, 0x5040100
.LBB179_57:                             ;   in Loop: Header=BB179_38 Depth=1
	s_or_b32 exec_lo, exec_lo, s22
	v_add_co_u32 v3, vcc_lo, 0x1800, v1
	v_add_co_ci_u32_e64 v4, null, 0, v2, vcc_lo
	global_load_dwordx4 v[53:56], v[3:4], off
	s_and_saveexec_b32 s22, s1
	s_cbranch_execnz .LBB179_89
; %bb.58:                               ;   in Loop: Header=BB179_38 Depth=1
	s_or_b32 exec_lo, exec_lo, s22
	global_load_dwordx4 v[57:60], v[3:4], off offset:512
	s_and_saveexec_b32 s3, s1
	s_cbranch_execnz .LBB179_90
.LBB179_59:                             ;   in Loop: Header=BB179_38 Depth=1
	s_or_b32 exec_lo, exec_lo, s3
	global_load_dwordx4 v[61:64], v[3:4], off offset:1024
	s_and_saveexec_b32 s3, s1
	s_cbranch_execnz .LBB179_91
.LBB179_60:                             ;   in Loop: Header=BB179_38 Depth=1
	s_or_b32 exec_lo, exec_lo, s3
	global_load_dwordx4 v[65:68], v[3:4], off offset:1536
	s_and_saveexec_b32 s3, s1
	s_cbranch_execz .LBB179_62
.LBB179_61:                             ;   in Loop: Header=BB179_38 Depth=1
	v_cmp_gt_i32_e64 s2, s27, v18
	v_cmp_gt_i32_e32 vcc_lo, s20, v19
	s_waitcnt vmcnt(0)
	v_cndmask_b32_e64 v4, 0, v65, s2
	v_cndmask_b32_sdwa v3, v0, v65, vcc_lo dst_sel:DWORD dst_unused:UNUSED_PAD src0_sel:DWORD src1_sel:WORD_1
	v_cmp_gt_i32_e32 vcc_lo, s20, v17
	v_cmp_gt_i32_e64 s2, s27, v16
	v_perm_b32 v65, v3, v4, 0x5040100
	v_cndmask_b32_sdwa v4, v0, v66, vcc_lo dst_sel:DWORD dst_unused:UNUSED_PAD src0_sel:DWORD src1_sel:WORD_1
	v_cndmask_b32_e64 v3, 0, v66, s2
	v_cmp_gt_i32_e32 vcc_lo, s20, v15
	v_cmp_gt_i32_e64 s2, s27, v14
	v_perm_b32 v66, v4, v3, 0x5040100
	v_cndmask_b32_sdwa v4, v0, v67, vcc_lo dst_sel:DWORD dst_unused:UNUSED_PAD src0_sel:DWORD src1_sel:WORD_1
	v_cndmask_b32_e64 v3, 0, v67, s2
	;; [unrolled: 5-line block ×3, first 2 shown]
	v_perm_b32 v68, v4, v3, 0x5040100
.LBB179_62:                             ;   in Loop: Header=BB179_38 Depth=1
	s_or_b32 exec_lo, exec_lo, s3
	v_add_co_u32 v3, vcc_lo, 0x2000, v1
	v_add_co_ci_u32_e64 v4, null, 0, v2, vcc_lo
	global_load_dwordx4 v[69:72], v[3:4], off
	s_and_saveexec_b32 s3, s1
	s_cbranch_execnz .LBB179_92
; %bb.63:                               ;   in Loop: Header=BB179_38 Depth=1
	s_or_b32 exec_lo, exec_lo, s3
	global_load_dwordx4 v[73:76], v[3:4], off offset:512
	s_and_saveexec_b32 s3, s1
	s_cbranch_execnz .LBB179_93
.LBB179_64:                             ;   in Loop: Header=BB179_38 Depth=1
	s_or_b32 exec_lo, exec_lo, s3
	global_load_dwordx4 v[77:80], v[3:4], off offset:1024
	s_and_saveexec_b32 s3, s1
	s_cbranch_execnz .LBB179_94
.LBB179_65:                             ;   in Loop: Header=BB179_38 Depth=1
	s_or_b32 exec_lo, exec_lo, s3
	global_load_dwordx4 v[81:84], v[3:4], off offset:1536
	s_and_saveexec_b32 s3, s1
	s_cbranch_execz .LBB179_67
.LBB179_66:                             ;   in Loop: Header=BB179_38 Depth=1
	v_cmp_gt_i32_e64 s2, s27, v18
	v_cmp_gt_i32_e32 vcc_lo, s20, v19
	s_waitcnt vmcnt(0)
	v_cndmask_b32_e64 v4, 0, v81, s2
	v_cndmask_b32_sdwa v3, v0, v81, vcc_lo dst_sel:DWORD dst_unused:UNUSED_PAD src0_sel:DWORD src1_sel:WORD_1
	v_cmp_gt_i32_e32 vcc_lo, s20, v17
	v_cmp_gt_i32_e64 s2, s27, v16
	v_perm_b32 v81, v3, v4, 0x5040100
	v_cndmask_b32_sdwa v4, v0, v82, vcc_lo dst_sel:DWORD dst_unused:UNUSED_PAD src0_sel:DWORD src1_sel:WORD_1
	v_cndmask_b32_e64 v3, 0, v82, s2
	v_cmp_gt_i32_e32 vcc_lo, s20, v15
	v_cmp_gt_i32_e64 s2, s27, v14
	v_perm_b32 v82, v4, v3, 0x5040100
	v_cndmask_b32_sdwa v4, v0, v83, vcc_lo dst_sel:DWORD dst_unused:UNUSED_PAD src0_sel:DWORD src1_sel:WORD_1
	v_cndmask_b32_e64 v3, 0, v83, s2
	;; [unrolled: 5-line block ×3, first 2 shown]
	v_perm_b32 v84, v4, v3, 0x5040100
.LBB179_67:                             ;   in Loop: Header=BB179_38 Depth=1
	s_or_b32 exec_lo, exec_lo, s3
	v_add_co_u32 v3, vcc_lo, 0x2800, v1
	v_add_co_ci_u32_e64 v4, null, 0, v2, vcc_lo
	global_load_dwordx4 v[85:88], v[3:4], off
	s_and_saveexec_b32 s3, s1
	s_cbranch_execnz .LBB179_95
; %bb.68:                               ;   in Loop: Header=BB179_38 Depth=1
	s_or_b32 exec_lo, exec_lo, s3
	global_load_dwordx4 v[89:92], v[3:4], off offset:512
	s_and_saveexec_b32 s3, s1
	s_cbranch_execnz .LBB179_96
.LBB179_69:                             ;   in Loop: Header=BB179_38 Depth=1
	s_or_b32 exec_lo, exec_lo, s3
	global_load_dwordx4 v[93:96], v[3:4], off offset:1024
	s_and_saveexec_b32 s3, s1
	s_cbranch_execnz .LBB179_97
.LBB179_70:                             ;   in Loop: Header=BB179_38 Depth=1
	s_or_b32 exec_lo, exec_lo, s3
	global_load_dwordx4 v[97:100], v[3:4], off offset:1536
	s_and_saveexec_b32 s3, s1
	s_cbranch_execz .LBB179_72
.LBB179_71:                             ;   in Loop: Header=BB179_38 Depth=1
	v_cmp_gt_i32_e64 s2, s27, v18
	v_cmp_gt_i32_e32 vcc_lo, s20, v19
	s_waitcnt vmcnt(0)
	v_cndmask_b32_e64 v4, 0, v97, s2
	v_cndmask_b32_sdwa v3, v0, v97, vcc_lo dst_sel:DWORD dst_unused:UNUSED_PAD src0_sel:DWORD src1_sel:WORD_1
	v_cmp_gt_i32_e32 vcc_lo, s20, v17
	v_cmp_gt_i32_e64 s2, s27, v16
	v_perm_b32 v97, v3, v4, 0x5040100
	v_cndmask_b32_sdwa v4, v0, v98, vcc_lo dst_sel:DWORD dst_unused:UNUSED_PAD src0_sel:DWORD src1_sel:WORD_1
	v_cndmask_b32_e64 v3, 0, v98, s2
	v_cmp_gt_i32_e32 vcc_lo, s20, v15
	v_cmp_gt_i32_e64 s2, s27, v14
	v_perm_b32 v98, v4, v3, 0x5040100
	v_cndmask_b32_sdwa v4, v0, v99, vcc_lo dst_sel:DWORD dst_unused:UNUSED_PAD src0_sel:DWORD src1_sel:WORD_1
	v_cndmask_b32_e64 v3, 0, v99, s2
	;; [unrolled: 5-line block ×3, first 2 shown]
	v_perm_b32 v100, v4, v3, 0x5040100
.LBB179_72:                             ;   in Loop: Header=BB179_38 Depth=1
	s_or_b32 exec_lo, exec_lo, s3
	v_add_co_u32 v3, vcc_lo, 0x3000, v1
	v_add_co_ci_u32_e64 v4, null, 0, v2, vcc_lo
	global_load_dwordx4 v[109:112], v[3:4], off
	s_and_saveexec_b32 s3, s1
	s_cbranch_execnz .LBB179_98
; %bb.73:                               ;   in Loop: Header=BB179_38 Depth=1
	s_or_b32 exec_lo, exec_lo, s3
	global_load_dwordx4 v[113:116], v[3:4], off offset:512
	s_and_saveexec_b32 s3, s1
	s_cbranch_execnz .LBB179_99
.LBB179_74:                             ;   in Loop: Header=BB179_38 Depth=1
	s_or_b32 exec_lo, exec_lo, s3
	global_load_dwordx4 v[117:120], v[3:4], off offset:1024
	s_and_saveexec_b32 s3, s1
	s_cbranch_execnz .LBB179_100
.LBB179_75:                             ;   in Loop: Header=BB179_38 Depth=1
	s_or_b32 exec_lo, exec_lo, s3
	global_load_dwordx4 v[121:124], v[3:4], off offset:1536
	s_and_saveexec_b32 s3, s1
	s_cbranch_execz .LBB179_77
.LBB179_76:                             ;   in Loop: Header=BB179_38 Depth=1
	v_cmp_gt_i32_e64 s2, s27, v18
	v_cmp_gt_i32_e32 vcc_lo, s20, v19
	s_waitcnt vmcnt(0)
	v_cndmask_b32_e64 v4, 0, v121, s2
	v_cndmask_b32_sdwa v3, v0, v121, vcc_lo dst_sel:DWORD dst_unused:UNUSED_PAD src0_sel:DWORD src1_sel:WORD_1
	v_cmp_gt_i32_e32 vcc_lo, s20, v17
	v_cmp_gt_i32_e64 s2, s27, v16
	v_perm_b32 v121, v3, v4, 0x5040100
	v_cndmask_b32_sdwa v4, v0, v122, vcc_lo dst_sel:DWORD dst_unused:UNUSED_PAD src0_sel:DWORD src1_sel:WORD_1
	v_cndmask_b32_e64 v3, 0, v122, s2
	v_cmp_gt_i32_e32 vcc_lo, s20, v15
	v_cmp_gt_i32_e64 s2, s27, v14
	v_perm_b32 v122, v4, v3, 0x5040100
	v_cndmask_b32_sdwa v4, v0, v123, vcc_lo dst_sel:DWORD dst_unused:UNUSED_PAD src0_sel:DWORD src1_sel:WORD_1
	v_cndmask_b32_e64 v3, 0, v123, s2
	;; [unrolled: 5-line block ×3, first 2 shown]
	v_perm_b32 v124, v4, v3, 0x5040100
.LBB179_77:                             ;   in Loop: Header=BB179_38 Depth=1
	s_or_b32 exec_lo, exec_lo, s3
	v_add_co_u32 v9, vcc_lo, 0x3800, v1
	v_add_co_ci_u32_e64 v10, null, 0, v2, vcc_lo
	global_load_dwordx4 v[1:4], v[9:10], off
	s_and_saveexec_b32 s3, s1
	s_cbranch_execnz .LBB179_101
; %bb.78:                               ;   in Loop: Header=BB179_38 Depth=1
	s_or_b32 exec_lo, exec_lo, s3
	global_load_dwordx4 v[5:8], v[9:10], off offset:512
	s_and_saveexec_b32 s3, s1
	s_cbranch_execnz .LBB179_102
.LBB179_79:                             ;   in Loop: Header=BB179_38 Depth=1
	s_or_b32 exec_lo, exec_lo, s3
	global_load_dwordx4 v[9:12], v[9:10], off offset:1024
	s_and_saveexec_b32 s3, s1
	s_cbranch_execz .LBB179_81
.LBB179_80:                             ;   in Loop: Header=BB179_38 Depth=1
	v_cmp_gt_i32_e64 s2, s27, v18
	v_cmp_gt_i32_e32 vcc_lo, s20, v19
	s_waitcnt vmcnt(0)
	v_cndmask_b32_sdwa v30, v0, v9, vcc_lo dst_sel:DWORD dst_unused:UNUSED_PAD src0_sel:DWORD src1_sel:WORD_1
	v_cndmask_b32_e64 v9, 0, v9, s2
	v_cmp_gt_i32_e32 vcc_lo, s20, v17
	v_cmp_gt_i32_e64 s2, s27, v16
	v_perm_b32 v9, v30, v9, 0x5040100
	v_cndmask_b32_e64 v30, 0, v10, s2
	v_cndmask_b32_sdwa v10, v0, v10, vcc_lo dst_sel:DWORD dst_unused:UNUSED_PAD src0_sel:DWORD src1_sel:WORD_1
	v_cmp_gt_i32_e32 vcc_lo, s20, v15
	v_cmp_gt_i32_e64 s2, s27, v14
	v_perm_b32 v10, v10, v30, 0x5040100
	v_cndmask_b32_e64 v30, 0, v11, s2
	v_cndmask_b32_sdwa v11, v0, v11, vcc_lo dst_sel:DWORD dst_unused:UNUSED_PAD src0_sel:DWORD src1_sel:WORD_1
	;; [unrolled: 5-line block ×3, first 2 shown]
	v_perm_b32 v12, v12, v30, 0x5040100
.LBB179_81:                             ;   in Loop: Header=BB179_38 Depth=1
	s_or_b32 exec_lo, exec_lo, s3
	buffer_load_dword v30, off, s[48:51], 0 offset:240 ; 4-byte Folded Reload
	s_waitcnt vmcnt(0)
	v_add_co_u32 v30, vcc_lo, v20, v30
	v_add_co_ci_u32_e64 v31, null, 0, v29, vcc_lo
	global_load_dwordx4 v[29:32], v[30:31], off
	s_and_saveexec_b32 s2, s1
	s_cbranch_execz .LBB179_36
; %bb.82:                               ;   in Loop: Header=BB179_38 Depth=1
	v_cmp_gt_i32_e64 s1, s27, v18
	v_cmp_gt_i32_e32 vcc_lo, s20, v19
	s_waitcnt vmcnt(0)
	v_cndmask_b32_e64 v19, 0, v29, s1
	v_cndmask_b32_sdwa v18, v0, v29, vcc_lo dst_sel:DWORD dst_unused:UNUSED_PAD src0_sel:DWORD src1_sel:WORD_1
	v_cmp_gt_i32_e32 vcc_lo, s20, v17
	v_cmp_gt_i32_e64 s1, s27, v16
	v_perm_b32 v29, v18, v19, 0x5040100
	v_cndmask_b32_sdwa v17, v0, v30, vcc_lo dst_sel:DWORD dst_unused:UNUSED_PAD src0_sel:DWORD src1_sel:WORD_1
	v_cndmask_b32_e64 v16, 0, v30, s1
	v_cmp_gt_i32_e32 vcc_lo, s20, v15
	v_cmp_gt_i32_e64 s1, s27, v14
	v_perm_b32 v30, v17, v16, 0x5040100
	v_cndmask_b32_sdwa v15, v0, v31, vcc_lo dst_sel:DWORD dst_unused:UNUSED_PAD src0_sel:DWORD src1_sel:WORD_1
	v_cndmask_b32_e64 v14, 0, v31, s1
	;; [unrolled: 5-line block ×3, first 2 shown]
	v_perm_b32 v32, v14, v13, 0x5040100
	s_branch .LBB179_36
.LBB179_83:                             ;   in Loop: Header=BB179_38 Depth=1
	s_clause 0x3
	buffer_load_dword v9, off, s[48:51], 0 offset:80
	buffer_load_dword v10, off, s[48:51], 0 offset:84
	;; [unrolled: 1-line block ×4, first 2 shown]
	v_cmp_gt_i32_e64 s2, s27, v18
	v_cmp_gt_i32_e32 vcc_lo, s20, v19
	v_cmp_gt_i32_e64 s3, s27, v16
	s_waitcnt vmcnt(3)
	v_cndmask_b32_e64 v5, 0, v9, s2
	v_cmp_gt_i32_e64 s2, s20, v17
	v_cndmask_b32_sdwa v7, v0, v9, vcc_lo dst_sel:DWORD dst_unused:UNUSED_PAD src0_sel:DWORD src1_sel:WORD_1
	s_waitcnt vmcnt(2)
	v_cndmask_b32_e64 v6, 0, v10, s3
	v_cmp_gt_i32_e64 s3, s20, v15
	s_mov_b32 vcc_lo, s2
	v_cmp_gt_i32_e64 s2, s20, v13
	v_cndmask_b32_sdwa v8, v0, v10, vcc_lo dst_sel:DWORD dst_unused:UNUSED_PAD src0_sel:DWORD src1_sel:WORD_1
	v_cmp_gt_i32_e32 vcc_lo, s27, v14
	v_perm_b32 v5, v7, v5, 0x5040100
	v_perm_b32 v6, v8, v6, 0x5040100
	s_waitcnt vmcnt(1)
	v_cndmask_b32_e32 v9, 0, v11, vcc_lo
	s_mov_b32 vcc_lo, s3
	v_cndmask_b32_sdwa v10, v0, v11, vcc_lo dst_sel:DWORD dst_unused:UNUSED_PAD src0_sel:DWORD src1_sel:WORD_1
	v_cmp_gt_i32_e32 vcc_lo, s27, v125
	v_perm_b32 v7, v10, v9, 0x5040100
	s_waitcnt vmcnt(0)
	v_cndmask_b32_e32 v11, 0, v12, vcc_lo
	s_mov_b32 vcc_lo, s2
	v_cndmask_b32_sdwa v12, v0, v12, vcc_lo dst_sel:DWORD dst_unused:UNUSED_PAD src0_sel:DWORD src1_sel:WORD_1
	v_perm_b32 v8, v12, v11, 0x5040100
	buffer_store_dword v5, off, s[48:51], 0 offset:80 ; 4-byte Folded Spill
	buffer_store_dword v6, off, s[48:51], 0 offset:84 ; 4-byte Folded Spill
	;; [unrolled: 1-line block ×4, first 2 shown]
	s_or_b32 exec_lo, exec_lo, s22
	global_load_dwordx4 v[21:24], v[3:4], off offset:512
	s_and_saveexec_b32 s22, s1
	s_cbranch_execz .LBB179_49
.LBB179_84:                             ;   in Loop: Header=BB179_38 Depth=1
	v_cmp_gt_i32_e64 s2, s27, v18
	v_cmp_gt_i32_e32 vcc_lo, s20, v19
	v_cmp_gt_i32_e64 s3, s27, v16
	s_waitcnt vmcnt(0)
	v_cndmask_b32_e64 v5, 0, v21, s2
	v_cmp_gt_i32_e64 s2, s20, v17
	v_cndmask_b32_sdwa v7, v0, v21, vcc_lo dst_sel:DWORD dst_unused:UNUSED_PAD src0_sel:DWORD src1_sel:WORD_1
	v_cndmask_b32_e64 v6, 0, v22, s3
	v_cmp_gt_i32_e64 s3, s20, v15
	s_mov_b32 vcc_lo, s2
	v_cmp_gt_i32_e64 s2, s20, v13
	v_cndmask_b32_sdwa v8, v0, v22, vcc_lo dst_sel:DWORD dst_unused:UNUSED_PAD src0_sel:DWORD src1_sel:WORD_1
	v_cmp_gt_i32_e32 vcc_lo, s27, v14
	v_perm_b32 v21, v7, v5, 0x5040100
	v_perm_b32 v22, v8, v6, 0x5040100
	v_cndmask_b32_e32 v9, 0, v23, vcc_lo
	s_mov_b32 vcc_lo, s3
	v_cndmask_b32_sdwa v10, v0, v23, vcc_lo dst_sel:DWORD dst_unused:UNUSED_PAD src0_sel:DWORD src1_sel:WORD_1
	v_cmp_gt_i32_e32 vcc_lo, s27, v125
	v_perm_b32 v23, v10, v9, 0x5040100
	v_cndmask_b32_e32 v11, 0, v24, vcc_lo
	s_mov_b32 vcc_lo, s2
	v_cndmask_b32_sdwa v12, v0, v24, vcc_lo dst_sel:DWORD dst_unused:UNUSED_PAD src0_sel:DWORD src1_sel:WORD_1
	v_perm_b32 v24, v12, v11, 0x5040100
	s_or_b32 exec_lo, exec_lo, s22
	global_load_dwordx4 v[25:28], v[3:4], off offset:1024
	s_and_saveexec_b32 s22, s1
	s_cbranch_execz .LBB179_50
.LBB179_85:                             ;   in Loop: Header=BB179_38 Depth=1
	v_cmp_gt_i32_e64 s2, s27, v18
	v_cmp_gt_i32_e32 vcc_lo, s20, v19
	v_cmp_gt_i32_e64 s3, s27, v16
	s_waitcnt vmcnt(0)
	v_cndmask_b32_e64 v5, 0, v25, s2
	v_cmp_gt_i32_e64 s2, s20, v17
	v_cndmask_b32_sdwa v7, v0, v25, vcc_lo dst_sel:DWORD dst_unused:UNUSED_PAD src0_sel:DWORD src1_sel:WORD_1
	v_cndmask_b32_e64 v6, 0, v26, s3
	v_cmp_gt_i32_e64 s3, s20, v15
	s_mov_b32 vcc_lo, s2
	v_cmp_gt_i32_e64 s2, s20, v13
	v_cndmask_b32_sdwa v8, v0, v26, vcc_lo dst_sel:DWORD dst_unused:UNUSED_PAD src0_sel:DWORD src1_sel:WORD_1
	v_cmp_gt_i32_e32 vcc_lo, s27, v14
	v_perm_b32 v25, v7, v5, 0x5040100
	v_perm_b32 v26, v8, v6, 0x5040100
	v_cndmask_b32_e32 v9, 0, v27, vcc_lo
	s_mov_b32 vcc_lo, s3
	v_cndmask_b32_sdwa v10, v0, v27, vcc_lo dst_sel:DWORD dst_unused:UNUSED_PAD src0_sel:DWORD src1_sel:WORD_1
	v_cmp_gt_i32_e32 vcc_lo, s27, v125
	v_perm_b32 v27, v10, v9, 0x5040100
	v_cndmask_b32_e32 v11, 0, v28, vcc_lo
	s_mov_b32 vcc_lo, s2
	v_cndmask_b32_sdwa v12, v0, v28, vcc_lo dst_sel:DWORD dst_unused:UNUSED_PAD src0_sel:DWORD src1_sel:WORD_1
	v_perm_b32 v28, v12, v11, 0x5040100
	s_or_b32 exec_lo, exec_lo, s22
	global_load_dwordx4 v[33:36], v[3:4], off offset:1536
	s_and_saveexec_b32 s22, s1
	s_cbranch_execnz .LBB179_51
	s_branch .LBB179_52
.LBB179_86:                             ;   in Loop: Header=BB179_38 Depth=1
	v_cmp_gt_i32_e64 s2, s27, v18
	v_cmp_gt_i32_e32 vcc_lo, s20, v19
	v_cmp_gt_i32_e64 s3, s27, v16
	s_waitcnt vmcnt(0)
	v_cndmask_b32_e64 v5, 0, v37, s2
	v_cmp_gt_i32_e64 s2, s20, v17
	v_cndmask_b32_sdwa v7, v0, v37, vcc_lo dst_sel:DWORD dst_unused:UNUSED_PAD src0_sel:DWORD src1_sel:WORD_1
	v_cndmask_b32_e64 v6, 0, v38, s3
	v_cmp_gt_i32_e64 s3, s20, v15
	s_mov_b32 vcc_lo, s2
	v_cmp_gt_i32_e64 s2, s20, v13
	v_cndmask_b32_sdwa v8, v0, v38, vcc_lo dst_sel:DWORD dst_unused:UNUSED_PAD src0_sel:DWORD src1_sel:WORD_1
	v_cmp_gt_i32_e32 vcc_lo, s27, v14
	v_perm_b32 v37, v7, v5, 0x5040100
	v_perm_b32 v38, v8, v6, 0x5040100
	v_cndmask_b32_e32 v9, 0, v39, vcc_lo
	s_mov_b32 vcc_lo, s3
	v_cndmask_b32_sdwa v10, v0, v39, vcc_lo dst_sel:DWORD dst_unused:UNUSED_PAD src0_sel:DWORD src1_sel:WORD_1
	v_cmp_gt_i32_e32 vcc_lo, s27, v125
	v_perm_b32 v39, v10, v9, 0x5040100
	v_cndmask_b32_e32 v11, 0, v40, vcc_lo
	s_mov_b32 vcc_lo, s2
	v_cndmask_b32_sdwa v12, v0, v40, vcc_lo dst_sel:DWORD dst_unused:UNUSED_PAD src0_sel:DWORD src1_sel:WORD_1
	v_perm_b32 v40, v12, v11, 0x5040100
	s_or_b32 exec_lo, exec_lo, s22
	global_load_dwordx4 v[41:44], v[3:4], off offset:512
	s_and_saveexec_b32 s22, s1
	s_cbranch_execz .LBB179_54
.LBB179_87:                             ;   in Loop: Header=BB179_38 Depth=1
	v_cmp_gt_i32_e64 s2, s27, v18
	v_cmp_gt_i32_e32 vcc_lo, s20, v19
	v_cmp_gt_i32_e64 s3, s27, v16
	s_waitcnt vmcnt(0)
	v_cndmask_b32_e64 v5, 0, v41, s2
	v_cmp_gt_i32_e64 s2, s20, v17
	v_cndmask_b32_sdwa v7, v0, v41, vcc_lo dst_sel:DWORD dst_unused:UNUSED_PAD src0_sel:DWORD src1_sel:WORD_1
	v_cndmask_b32_e64 v6, 0, v42, s3
	v_cmp_gt_i32_e64 s3, s20, v15
	s_mov_b32 vcc_lo, s2
	v_cmp_gt_i32_e64 s2, s20, v13
	v_cndmask_b32_sdwa v8, v0, v42, vcc_lo dst_sel:DWORD dst_unused:UNUSED_PAD src0_sel:DWORD src1_sel:WORD_1
	v_cmp_gt_i32_e32 vcc_lo, s27, v14
	v_perm_b32 v41, v7, v5, 0x5040100
	v_perm_b32 v42, v8, v6, 0x5040100
	v_cndmask_b32_e32 v9, 0, v43, vcc_lo
	s_mov_b32 vcc_lo, s3
	v_cndmask_b32_sdwa v10, v0, v43, vcc_lo dst_sel:DWORD dst_unused:UNUSED_PAD src0_sel:DWORD src1_sel:WORD_1
	v_cmp_gt_i32_e32 vcc_lo, s27, v125
	v_perm_b32 v43, v10, v9, 0x5040100
	v_cndmask_b32_e32 v11, 0, v44, vcc_lo
	s_mov_b32 vcc_lo, s2
	v_cndmask_b32_sdwa v12, v0, v44, vcc_lo dst_sel:DWORD dst_unused:UNUSED_PAD src0_sel:DWORD src1_sel:WORD_1
	v_perm_b32 v44, v12, v11, 0x5040100
	s_or_b32 exec_lo, exec_lo, s22
	global_load_dwordx4 v[45:48], v[3:4], off offset:1024
	s_and_saveexec_b32 s22, s1
	s_cbranch_execz .LBB179_55
.LBB179_88:                             ;   in Loop: Header=BB179_38 Depth=1
	v_cmp_gt_i32_e64 s2, s27, v18
	v_cmp_gt_i32_e32 vcc_lo, s20, v19
	v_cmp_gt_i32_e64 s3, s27, v16
	s_waitcnt vmcnt(0)
	v_cndmask_b32_e64 v5, 0, v45, s2
	v_cmp_gt_i32_e64 s2, s20, v17
	v_cndmask_b32_sdwa v7, v0, v45, vcc_lo dst_sel:DWORD dst_unused:UNUSED_PAD src0_sel:DWORD src1_sel:WORD_1
	v_cndmask_b32_e64 v6, 0, v46, s3
	v_cmp_gt_i32_e64 s3, s20, v15
	s_mov_b32 vcc_lo, s2
	v_cmp_gt_i32_e64 s2, s20, v13
	v_cndmask_b32_sdwa v8, v0, v46, vcc_lo dst_sel:DWORD dst_unused:UNUSED_PAD src0_sel:DWORD src1_sel:WORD_1
	v_cmp_gt_i32_e32 vcc_lo, s27, v14
	v_perm_b32 v45, v7, v5, 0x5040100
	v_perm_b32 v46, v8, v6, 0x5040100
	v_cndmask_b32_e32 v9, 0, v47, vcc_lo
	s_mov_b32 vcc_lo, s3
	v_cndmask_b32_sdwa v10, v0, v47, vcc_lo dst_sel:DWORD dst_unused:UNUSED_PAD src0_sel:DWORD src1_sel:WORD_1
	v_cmp_gt_i32_e32 vcc_lo, s27, v125
	v_perm_b32 v47, v10, v9, 0x5040100
	v_cndmask_b32_e32 v11, 0, v48, vcc_lo
	s_mov_b32 vcc_lo, s2
	v_cndmask_b32_sdwa v12, v0, v48, vcc_lo dst_sel:DWORD dst_unused:UNUSED_PAD src0_sel:DWORD src1_sel:WORD_1
	v_perm_b32 v48, v12, v11, 0x5040100
	s_or_b32 exec_lo, exec_lo, s22
	global_load_dwordx4 v[49:52], v[3:4], off offset:1536
	s_and_saveexec_b32 s22, s1
	s_cbranch_execnz .LBB179_56
	s_branch .LBB179_57
.LBB179_89:                             ;   in Loop: Header=BB179_38 Depth=1
	v_cmp_gt_i32_e64 s2, s27, v18
	v_cmp_gt_i32_e32 vcc_lo, s20, v19
	v_cmp_gt_i32_e64 s3, s27, v16
	s_waitcnt vmcnt(0)
	v_cndmask_b32_e64 v5, 0, v53, s2
	v_cmp_gt_i32_e64 s2, s20, v17
	v_cndmask_b32_sdwa v7, v0, v53, vcc_lo dst_sel:DWORD dst_unused:UNUSED_PAD src0_sel:DWORD src1_sel:WORD_1
	v_cndmask_b32_e64 v6, 0, v54, s3
	v_cmp_gt_i32_e64 s3, s20, v15
	s_mov_b32 vcc_lo, s2
	v_cmp_gt_i32_e64 s2, s20, v13
	v_cndmask_b32_sdwa v8, v0, v54, vcc_lo dst_sel:DWORD dst_unused:UNUSED_PAD src0_sel:DWORD src1_sel:WORD_1
	v_cmp_gt_i32_e32 vcc_lo, s27, v14
	v_perm_b32 v53, v7, v5, 0x5040100
	v_perm_b32 v54, v8, v6, 0x5040100
	v_cndmask_b32_e32 v9, 0, v55, vcc_lo
	s_mov_b32 vcc_lo, s3
	v_cndmask_b32_sdwa v10, v0, v55, vcc_lo dst_sel:DWORD dst_unused:UNUSED_PAD src0_sel:DWORD src1_sel:WORD_1
	v_cmp_gt_i32_e32 vcc_lo, s27, v125
	v_perm_b32 v55, v10, v9, 0x5040100
	v_cndmask_b32_e32 v11, 0, v56, vcc_lo
	s_mov_b32 vcc_lo, s2
	v_cndmask_b32_sdwa v12, v0, v56, vcc_lo dst_sel:DWORD dst_unused:UNUSED_PAD src0_sel:DWORD src1_sel:WORD_1
	v_perm_b32 v56, v12, v11, 0x5040100
	s_or_b32 exec_lo, exec_lo, s22
	global_load_dwordx4 v[57:60], v[3:4], off offset:512
	s_and_saveexec_b32 s3, s1
	s_cbranch_execz .LBB179_59
.LBB179_90:                             ;   in Loop: Header=BB179_38 Depth=1
	v_cmp_gt_i32_e64 s2, s27, v18
	v_cmp_gt_i32_e32 vcc_lo, s20, v19
	s_waitcnt vmcnt(0)
	v_cndmask_b32_e64 v6, 0, v57, s2
	v_cndmask_b32_sdwa v5, v0, v57, vcc_lo dst_sel:DWORD dst_unused:UNUSED_PAD src0_sel:DWORD src1_sel:WORD_1
	v_cmp_gt_i32_e32 vcc_lo, s20, v17
	v_cmp_gt_i32_e64 s2, s27, v16
	v_perm_b32 v57, v5, v6, 0x5040100
	v_cndmask_b32_sdwa v6, v0, v58, vcc_lo dst_sel:DWORD dst_unused:UNUSED_PAD src0_sel:DWORD src1_sel:WORD_1
	v_cndmask_b32_e64 v5, 0, v58, s2
	v_cmp_gt_i32_e32 vcc_lo, s20, v15
	v_cmp_gt_i32_e64 s2, s27, v14
	v_perm_b32 v58, v6, v5, 0x5040100
	v_cndmask_b32_sdwa v6, v0, v59, vcc_lo dst_sel:DWORD dst_unused:UNUSED_PAD src0_sel:DWORD src1_sel:WORD_1
	v_cndmask_b32_e64 v5, 0, v59, s2
	;; [unrolled: 5-line block ×3, first 2 shown]
	v_perm_b32 v60, v6, v5, 0x5040100
	s_or_b32 exec_lo, exec_lo, s3
	global_load_dwordx4 v[61:64], v[3:4], off offset:1024
	s_and_saveexec_b32 s3, s1
	s_cbranch_execz .LBB179_60
.LBB179_91:                             ;   in Loop: Header=BB179_38 Depth=1
	v_cmp_gt_i32_e64 s2, s27, v18
	v_cmp_gt_i32_e32 vcc_lo, s20, v19
	s_waitcnt vmcnt(0)
	v_cndmask_b32_e64 v6, 0, v61, s2
	v_cndmask_b32_sdwa v5, v0, v61, vcc_lo dst_sel:DWORD dst_unused:UNUSED_PAD src0_sel:DWORD src1_sel:WORD_1
	v_cmp_gt_i32_e32 vcc_lo, s20, v17
	v_cmp_gt_i32_e64 s2, s27, v16
	v_perm_b32 v61, v5, v6, 0x5040100
	v_cndmask_b32_sdwa v6, v0, v62, vcc_lo dst_sel:DWORD dst_unused:UNUSED_PAD src0_sel:DWORD src1_sel:WORD_1
	v_cndmask_b32_e64 v5, 0, v62, s2
	v_cmp_gt_i32_e32 vcc_lo, s20, v15
	v_cmp_gt_i32_e64 s2, s27, v14
	v_perm_b32 v62, v6, v5, 0x5040100
	v_cndmask_b32_sdwa v6, v0, v63, vcc_lo dst_sel:DWORD dst_unused:UNUSED_PAD src0_sel:DWORD src1_sel:WORD_1
	v_cndmask_b32_e64 v5, 0, v63, s2
	;; [unrolled: 5-line block ×3, first 2 shown]
	v_perm_b32 v64, v6, v5, 0x5040100
	s_or_b32 exec_lo, exec_lo, s3
	global_load_dwordx4 v[65:68], v[3:4], off offset:1536
	s_and_saveexec_b32 s3, s1
	s_cbranch_execnz .LBB179_61
	s_branch .LBB179_62
.LBB179_92:                             ;   in Loop: Header=BB179_38 Depth=1
	v_cmp_gt_i32_e64 s2, s27, v18
	v_cmp_gt_i32_e32 vcc_lo, s20, v19
	s_waitcnt vmcnt(0)
	v_cndmask_b32_e64 v6, 0, v69, s2
	v_cndmask_b32_sdwa v5, v0, v69, vcc_lo dst_sel:DWORD dst_unused:UNUSED_PAD src0_sel:DWORD src1_sel:WORD_1
	v_cmp_gt_i32_e32 vcc_lo, s20, v17
	v_cmp_gt_i32_e64 s2, s27, v16
	v_perm_b32 v69, v5, v6, 0x5040100
	v_cndmask_b32_sdwa v6, v0, v70, vcc_lo dst_sel:DWORD dst_unused:UNUSED_PAD src0_sel:DWORD src1_sel:WORD_1
	v_cndmask_b32_e64 v5, 0, v70, s2
	v_cmp_gt_i32_e32 vcc_lo, s20, v15
	v_cmp_gt_i32_e64 s2, s27, v14
	v_perm_b32 v70, v6, v5, 0x5040100
	v_cndmask_b32_sdwa v6, v0, v71, vcc_lo dst_sel:DWORD dst_unused:UNUSED_PAD src0_sel:DWORD src1_sel:WORD_1
	v_cndmask_b32_e64 v5, 0, v71, s2
	;; [unrolled: 5-line block ×3, first 2 shown]
	v_perm_b32 v72, v6, v5, 0x5040100
	s_or_b32 exec_lo, exec_lo, s3
	global_load_dwordx4 v[73:76], v[3:4], off offset:512
	s_and_saveexec_b32 s3, s1
	s_cbranch_execz .LBB179_64
.LBB179_93:                             ;   in Loop: Header=BB179_38 Depth=1
	v_cmp_gt_i32_e64 s2, s27, v18
	v_cmp_gt_i32_e32 vcc_lo, s20, v19
	s_waitcnt vmcnt(0)
	v_cndmask_b32_e64 v6, 0, v73, s2
	v_cndmask_b32_sdwa v5, v0, v73, vcc_lo dst_sel:DWORD dst_unused:UNUSED_PAD src0_sel:DWORD src1_sel:WORD_1
	v_cmp_gt_i32_e32 vcc_lo, s20, v17
	v_cmp_gt_i32_e64 s2, s27, v16
	v_perm_b32 v73, v5, v6, 0x5040100
	v_cndmask_b32_sdwa v6, v0, v74, vcc_lo dst_sel:DWORD dst_unused:UNUSED_PAD src0_sel:DWORD src1_sel:WORD_1
	v_cndmask_b32_e64 v5, 0, v74, s2
	v_cmp_gt_i32_e32 vcc_lo, s20, v15
	v_cmp_gt_i32_e64 s2, s27, v14
	v_perm_b32 v74, v6, v5, 0x5040100
	v_cndmask_b32_sdwa v6, v0, v75, vcc_lo dst_sel:DWORD dst_unused:UNUSED_PAD src0_sel:DWORD src1_sel:WORD_1
	v_cndmask_b32_e64 v5, 0, v75, s2
	;; [unrolled: 5-line block ×3, first 2 shown]
	v_perm_b32 v76, v6, v5, 0x5040100
	s_or_b32 exec_lo, exec_lo, s3
	global_load_dwordx4 v[77:80], v[3:4], off offset:1024
	s_and_saveexec_b32 s3, s1
	s_cbranch_execz .LBB179_65
.LBB179_94:                             ;   in Loop: Header=BB179_38 Depth=1
	v_cmp_gt_i32_e64 s2, s27, v18
	v_cmp_gt_i32_e32 vcc_lo, s20, v19
	s_waitcnt vmcnt(0)
	v_cndmask_b32_e64 v6, 0, v77, s2
	v_cndmask_b32_sdwa v5, v0, v77, vcc_lo dst_sel:DWORD dst_unused:UNUSED_PAD src0_sel:DWORD src1_sel:WORD_1
	v_cmp_gt_i32_e32 vcc_lo, s20, v17
	v_cmp_gt_i32_e64 s2, s27, v16
	v_perm_b32 v77, v5, v6, 0x5040100
	v_cndmask_b32_sdwa v6, v0, v78, vcc_lo dst_sel:DWORD dst_unused:UNUSED_PAD src0_sel:DWORD src1_sel:WORD_1
	v_cndmask_b32_e64 v5, 0, v78, s2
	v_cmp_gt_i32_e32 vcc_lo, s20, v15
	v_cmp_gt_i32_e64 s2, s27, v14
	v_perm_b32 v78, v6, v5, 0x5040100
	v_cndmask_b32_sdwa v6, v0, v79, vcc_lo dst_sel:DWORD dst_unused:UNUSED_PAD src0_sel:DWORD src1_sel:WORD_1
	v_cndmask_b32_e64 v5, 0, v79, s2
	;; [unrolled: 5-line block ×3, first 2 shown]
	v_perm_b32 v80, v6, v5, 0x5040100
	s_or_b32 exec_lo, exec_lo, s3
	global_load_dwordx4 v[81:84], v[3:4], off offset:1536
	s_and_saveexec_b32 s3, s1
	s_cbranch_execnz .LBB179_66
	s_branch .LBB179_67
.LBB179_95:                             ;   in Loop: Header=BB179_38 Depth=1
	v_cmp_gt_i32_e64 s2, s27, v18
	v_cmp_gt_i32_e32 vcc_lo, s20, v19
	s_waitcnt vmcnt(0)
	v_cndmask_b32_e64 v6, 0, v85, s2
	v_cndmask_b32_sdwa v5, v0, v85, vcc_lo dst_sel:DWORD dst_unused:UNUSED_PAD src0_sel:DWORD src1_sel:WORD_1
	v_cmp_gt_i32_e32 vcc_lo, s20, v17
	v_cmp_gt_i32_e64 s2, s27, v16
	v_perm_b32 v85, v5, v6, 0x5040100
	v_cndmask_b32_sdwa v6, v0, v86, vcc_lo dst_sel:DWORD dst_unused:UNUSED_PAD src0_sel:DWORD src1_sel:WORD_1
	v_cndmask_b32_e64 v5, 0, v86, s2
	v_cmp_gt_i32_e32 vcc_lo, s20, v15
	v_cmp_gt_i32_e64 s2, s27, v14
	v_perm_b32 v86, v6, v5, 0x5040100
	v_cndmask_b32_sdwa v6, v0, v87, vcc_lo dst_sel:DWORD dst_unused:UNUSED_PAD src0_sel:DWORD src1_sel:WORD_1
	v_cndmask_b32_e64 v5, 0, v87, s2
	;; [unrolled: 5-line block ×3, first 2 shown]
	v_perm_b32 v88, v6, v5, 0x5040100
	s_or_b32 exec_lo, exec_lo, s3
	global_load_dwordx4 v[89:92], v[3:4], off offset:512
	s_and_saveexec_b32 s3, s1
	s_cbranch_execz .LBB179_69
.LBB179_96:                             ;   in Loop: Header=BB179_38 Depth=1
	v_cmp_gt_i32_e64 s2, s27, v18
	v_cmp_gt_i32_e32 vcc_lo, s20, v19
	s_waitcnt vmcnt(0)
	v_cndmask_b32_e64 v6, 0, v89, s2
	v_cndmask_b32_sdwa v5, v0, v89, vcc_lo dst_sel:DWORD dst_unused:UNUSED_PAD src0_sel:DWORD src1_sel:WORD_1
	v_cmp_gt_i32_e32 vcc_lo, s20, v17
	v_cmp_gt_i32_e64 s2, s27, v16
	v_perm_b32 v89, v5, v6, 0x5040100
	v_cndmask_b32_sdwa v6, v0, v90, vcc_lo dst_sel:DWORD dst_unused:UNUSED_PAD src0_sel:DWORD src1_sel:WORD_1
	v_cndmask_b32_e64 v5, 0, v90, s2
	v_cmp_gt_i32_e32 vcc_lo, s20, v15
	v_cmp_gt_i32_e64 s2, s27, v14
	v_perm_b32 v90, v6, v5, 0x5040100
	v_cndmask_b32_sdwa v6, v0, v91, vcc_lo dst_sel:DWORD dst_unused:UNUSED_PAD src0_sel:DWORD src1_sel:WORD_1
	v_cndmask_b32_e64 v5, 0, v91, s2
	;; [unrolled: 5-line block ×3, first 2 shown]
	v_perm_b32 v92, v6, v5, 0x5040100
	s_or_b32 exec_lo, exec_lo, s3
	global_load_dwordx4 v[93:96], v[3:4], off offset:1024
	s_and_saveexec_b32 s3, s1
	s_cbranch_execz .LBB179_70
.LBB179_97:                             ;   in Loop: Header=BB179_38 Depth=1
	v_cmp_gt_i32_e64 s2, s27, v18
	v_cmp_gt_i32_e32 vcc_lo, s20, v19
	s_waitcnt vmcnt(0)
	v_cndmask_b32_e64 v6, 0, v93, s2
	v_cndmask_b32_sdwa v5, v0, v93, vcc_lo dst_sel:DWORD dst_unused:UNUSED_PAD src0_sel:DWORD src1_sel:WORD_1
	v_cmp_gt_i32_e32 vcc_lo, s20, v17
	v_cmp_gt_i32_e64 s2, s27, v16
	v_perm_b32 v93, v5, v6, 0x5040100
	v_cndmask_b32_sdwa v6, v0, v94, vcc_lo dst_sel:DWORD dst_unused:UNUSED_PAD src0_sel:DWORD src1_sel:WORD_1
	v_cndmask_b32_e64 v5, 0, v94, s2
	v_cmp_gt_i32_e32 vcc_lo, s20, v15
	v_cmp_gt_i32_e64 s2, s27, v14
	v_perm_b32 v94, v6, v5, 0x5040100
	v_cndmask_b32_sdwa v6, v0, v95, vcc_lo dst_sel:DWORD dst_unused:UNUSED_PAD src0_sel:DWORD src1_sel:WORD_1
	v_cndmask_b32_e64 v5, 0, v95, s2
	;; [unrolled: 5-line block ×3, first 2 shown]
	v_perm_b32 v96, v6, v5, 0x5040100
	s_or_b32 exec_lo, exec_lo, s3
	global_load_dwordx4 v[97:100], v[3:4], off offset:1536
	s_and_saveexec_b32 s3, s1
	s_cbranch_execnz .LBB179_71
	s_branch .LBB179_72
.LBB179_98:                             ;   in Loop: Header=BB179_38 Depth=1
	v_cmp_gt_i32_e64 s2, s27, v18
	v_cmp_gt_i32_e32 vcc_lo, s20, v19
	s_waitcnt vmcnt(0)
	v_cndmask_b32_e64 v6, 0, v109, s2
	v_cndmask_b32_sdwa v5, v0, v109, vcc_lo dst_sel:DWORD dst_unused:UNUSED_PAD src0_sel:DWORD src1_sel:WORD_1
	v_cmp_gt_i32_e32 vcc_lo, s20, v17
	v_cmp_gt_i32_e64 s2, s27, v16
	v_perm_b32 v109, v5, v6, 0x5040100
	v_cndmask_b32_sdwa v6, v0, v110, vcc_lo dst_sel:DWORD dst_unused:UNUSED_PAD src0_sel:DWORD src1_sel:WORD_1
	v_cndmask_b32_e64 v5, 0, v110, s2
	v_cmp_gt_i32_e32 vcc_lo, s20, v15
	v_cmp_gt_i32_e64 s2, s27, v14
	v_perm_b32 v110, v6, v5, 0x5040100
	v_cndmask_b32_sdwa v6, v0, v111, vcc_lo dst_sel:DWORD dst_unused:UNUSED_PAD src0_sel:DWORD src1_sel:WORD_1
	v_cndmask_b32_e64 v5, 0, v111, s2
	;; [unrolled: 5-line block ×3, first 2 shown]
	v_perm_b32 v112, v6, v5, 0x5040100
	s_or_b32 exec_lo, exec_lo, s3
	global_load_dwordx4 v[113:116], v[3:4], off offset:512
	s_and_saveexec_b32 s3, s1
	s_cbranch_execz .LBB179_74
.LBB179_99:                             ;   in Loop: Header=BB179_38 Depth=1
	v_cmp_gt_i32_e64 s2, s27, v18
	v_cmp_gt_i32_e32 vcc_lo, s20, v19
	s_waitcnt vmcnt(0)
	v_cndmask_b32_e64 v6, 0, v113, s2
	v_cndmask_b32_sdwa v5, v0, v113, vcc_lo dst_sel:DWORD dst_unused:UNUSED_PAD src0_sel:DWORD src1_sel:WORD_1
	v_cmp_gt_i32_e32 vcc_lo, s20, v17
	v_cmp_gt_i32_e64 s2, s27, v16
	v_perm_b32 v113, v5, v6, 0x5040100
	v_cndmask_b32_sdwa v6, v0, v114, vcc_lo dst_sel:DWORD dst_unused:UNUSED_PAD src0_sel:DWORD src1_sel:WORD_1
	v_cndmask_b32_e64 v5, 0, v114, s2
	v_cmp_gt_i32_e32 vcc_lo, s20, v15
	v_cmp_gt_i32_e64 s2, s27, v14
	v_perm_b32 v114, v6, v5, 0x5040100
	v_cndmask_b32_sdwa v6, v0, v115, vcc_lo dst_sel:DWORD dst_unused:UNUSED_PAD src0_sel:DWORD src1_sel:WORD_1
	v_cndmask_b32_e64 v5, 0, v115, s2
	;; [unrolled: 5-line block ×3, first 2 shown]
	v_perm_b32 v116, v6, v5, 0x5040100
	s_or_b32 exec_lo, exec_lo, s3
	global_load_dwordx4 v[117:120], v[3:4], off offset:1024
	s_and_saveexec_b32 s3, s1
	s_cbranch_execz .LBB179_75
.LBB179_100:                            ;   in Loop: Header=BB179_38 Depth=1
	v_cmp_gt_i32_e64 s2, s27, v18
	v_cmp_gt_i32_e32 vcc_lo, s20, v19
	s_waitcnt vmcnt(0)
	v_cndmask_b32_e64 v6, 0, v117, s2
	v_cndmask_b32_sdwa v5, v0, v117, vcc_lo dst_sel:DWORD dst_unused:UNUSED_PAD src0_sel:DWORD src1_sel:WORD_1
	v_cmp_gt_i32_e32 vcc_lo, s20, v17
	v_cmp_gt_i32_e64 s2, s27, v16
	v_perm_b32 v117, v5, v6, 0x5040100
	v_cndmask_b32_sdwa v6, v0, v118, vcc_lo dst_sel:DWORD dst_unused:UNUSED_PAD src0_sel:DWORD src1_sel:WORD_1
	v_cndmask_b32_e64 v5, 0, v118, s2
	v_cmp_gt_i32_e32 vcc_lo, s20, v15
	v_cmp_gt_i32_e64 s2, s27, v14
	v_perm_b32 v118, v6, v5, 0x5040100
	v_cndmask_b32_sdwa v6, v0, v119, vcc_lo dst_sel:DWORD dst_unused:UNUSED_PAD src0_sel:DWORD src1_sel:WORD_1
	v_cndmask_b32_e64 v5, 0, v119, s2
	;; [unrolled: 5-line block ×3, first 2 shown]
	v_perm_b32 v120, v6, v5, 0x5040100
	s_or_b32 exec_lo, exec_lo, s3
	global_load_dwordx4 v[121:124], v[3:4], off offset:1536
	s_and_saveexec_b32 s3, s1
	s_cbranch_execnz .LBB179_76
	s_branch .LBB179_77
.LBB179_101:                            ;   in Loop: Header=BB179_38 Depth=1
	v_cmp_gt_i32_e64 s2, s27, v18
	v_cmp_gt_i32_e32 vcc_lo, s20, v19
	s_waitcnt vmcnt(0)
	v_cndmask_b32_sdwa v5, v0, v1, vcc_lo dst_sel:DWORD dst_unused:UNUSED_PAD src0_sel:DWORD src1_sel:WORD_1
	v_cndmask_b32_e64 v1, 0, v1, s2
	v_cmp_gt_i32_e32 vcc_lo, s20, v17
	v_cmp_gt_i32_e64 s2, s27, v16
	v_perm_b32 v1, v5, v1, 0x5040100
	v_cndmask_b32_e64 v5, 0, v2, s2
	v_cndmask_b32_sdwa v2, v0, v2, vcc_lo dst_sel:DWORD dst_unused:UNUSED_PAD src0_sel:DWORD src1_sel:WORD_1
	v_cmp_gt_i32_e32 vcc_lo, s20, v15
	v_cmp_gt_i32_e64 s2, s27, v14
	v_perm_b32 v2, v2, v5, 0x5040100
	v_cndmask_b32_e64 v5, 0, v3, s2
	v_cndmask_b32_sdwa v3, v0, v3, vcc_lo dst_sel:DWORD dst_unused:UNUSED_PAD src0_sel:DWORD src1_sel:WORD_1
	;; [unrolled: 5-line block ×3, first 2 shown]
	v_perm_b32 v4, v4, v5, 0x5040100
	s_or_b32 exec_lo, exec_lo, s3
	global_load_dwordx4 v[5:8], v[9:10], off offset:512
	s_and_saveexec_b32 s3, s1
	s_cbranch_execz .LBB179_79
.LBB179_102:                            ;   in Loop: Header=BB179_38 Depth=1
	v_cmp_gt_i32_e64 s2, s27, v18
	v_cmp_gt_i32_e32 vcc_lo, s20, v19
	s_waitcnt vmcnt(0)
	v_cndmask_b32_sdwa v11, v0, v5, vcc_lo dst_sel:DWORD dst_unused:UNUSED_PAD src0_sel:DWORD src1_sel:WORD_1
	v_cndmask_b32_e64 v5, 0, v5, s2
	v_cmp_gt_i32_e32 vcc_lo, s20, v17
	v_cmp_gt_i32_e64 s2, s27, v16
	v_perm_b32 v5, v11, v5, 0x5040100
	v_cndmask_b32_e64 v11, 0, v6, s2
	v_cndmask_b32_sdwa v6, v0, v6, vcc_lo dst_sel:DWORD dst_unused:UNUSED_PAD src0_sel:DWORD src1_sel:WORD_1
	v_cmp_gt_i32_e32 vcc_lo, s20, v15
	v_cmp_gt_i32_e64 s2, s27, v14
	v_perm_b32 v6, v6, v11, 0x5040100
	v_cndmask_b32_e64 v11, 0, v7, s2
	v_cndmask_b32_sdwa v7, v0, v7, vcc_lo dst_sel:DWORD dst_unused:UNUSED_PAD src0_sel:DWORD src1_sel:WORD_1
	;; [unrolled: 5-line block ×3, first 2 shown]
	v_perm_b32 v8, v8, v11, 0x5040100
	s_or_b32 exec_lo, exec_lo, s3
	global_load_dwordx4 v[9:12], v[9:10], off offset:1024
	s_and_saveexec_b32 s3, s1
	s_cbranch_execnz .LBB179_80
	s_branch .LBB179_81
.LBB179_103:
	s_or_b32 exec_lo, exec_lo, s18
	s_clause 0x19
	buffer_load_dword v58, off, s[48:51], 0 offset:896
	buffer_load_dword v59, off, s[48:51], 0 offset:900
	buffer_load_dword v57, off, s[48:51], 0 offset:244
	buffer_load_dword v39, off, s[48:51], 0 offset:248
	buffer_load_dword v60, off, s[48:51], 0 offset:252
	buffer_load_dword v50, off, s[48:51], 0 offset:96
	buffer_load_dword v48, off, s[48:51], 0 offset:100
	buffer_load_dword v46, off, s[48:51], 0 offset:104
	buffer_load_dword v44, off, s[48:51], 0 offset:108
	buffer_load_dword v42, off, s[48:51], 0 offset:112
	buffer_load_dword v40, off, s[48:51], 0 offset:116
	buffer_load_dword v38, off, s[48:51], 0 offset:120
	buffer_load_dword v37, off, s[48:51], 0 offset:124
	buffer_load_dword v36, off, s[48:51], 0 offset:128
	buffer_load_dword v34, off, s[48:51], 0 offset:132
	buffer_load_dword v35, off, s[48:51], 0 offset:136
	buffer_load_dword v41, off, s[48:51], 0 offset:140
	buffer_load_dword v43, off, s[48:51], 0 offset:144
	buffer_load_dword v45, off, s[48:51], 0 offset:148
	buffer_load_dword v47, off, s[48:51], 0 offset:152
	buffer_load_dword v13, off, s[48:51], 0 offset:156
	buffer_load_dword v21, off, s[48:51], 0 offset:160
	buffer_load_dword v22, off, s[48:51], 0 offset:164
	buffer_load_dword v23, off, s[48:51], 0 offset:168
	buffer_load_dword v24, off, s[48:51], 0 offset:172
	buffer_load_dword v25, off, s[48:51], 0 offset:176
.LBB179_104:
	s_or_b32 exec_lo, exec_lo, s5
	s_waitcnt vmcnt(1)
	ds_bpermute_b32 v0, v39, v24
	ds_bpermute_b32 v5, v39, v13
	ds_bpermute_b32 v3, v39, v22
	ds_bpermute_b32 v4, v39, v21
	ds_bpermute_b32 v6, v39, v19
	ds_bpermute_b32 v8, v39, v17
	ds_bpermute_b32 v10, v39, v16
	ds_bpermute_b32 v2, v39, v23
	ds_bpermute_b32 v32, v39, v45
	s_waitcnt vmcnt(0)
	ds_bpermute_b32 v1, v39, v25
	ds_bpermute_b32 v7, v39, v18
	;; [unrolled: 1-line block ×5, first 2 shown]
	v_mov_b32_e32 v49, v14
	ds_bpermute_b32 v30, v39, v47
	ds_bpermute_b32 v33, v39, v43
	s_mov_b32 s1, exec_lo
	s_waitcnt lgkmcnt(15)
	v_add_f32_e32 v0, v24, v0
	s_waitcnt lgkmcnt(14)
	v_add_f32_e32 v5, v13, v5
	;; [unrolled: 2-line block ×5, first 2 shown]
	ds_bpermute_b32 v13, v57, v0
	s_waitcnt lgkmcnt(11)
	v_add_f32_e32 v8, v17, v8
	v_mov_b32_e32 v22, v16
	ds_bpermute_b32 v17, v57, v4
	ds_bpermute_b32 v19, v57, v6
	s_waitcnt lgkmcnt(11)
	v_add_f32_e32 v2, v23, v2
	s_waitcnt lgkmcnt(9)
	v_add_f32_e32 v1, v25, v1
	v_add_f32_e32 v10, v22, v10
	ds_bpermute_b32 v22, v57, v8
	s_waitcnt lgkmcnt(9)
	v_add_f32_e32 v7, v18, v7
	s_waitcnt lgkmcnt(8)
	v_add_f32_e32 v9, v20, v9
	ds_bpermute_b32 v14, v57, v1
	ds_bpermute_b32 v16, v57, v3
	v_mov_b32_e32 v21, v15
	ds_bpermute_b32 v20, v57, v7
	ds_bpermute_b32 v24, v57, v9
	;; [unrolled: 1-line block ×4, first 2 shown]
	s_waitcnt lgkmcnt(13)
	v_add_f32_e32 v11, v21, v11
	ds_bpermute_b32 v26, v57, v10
	s_waitcnt lgkmcnt(10)
	v_add_f32_e32 v31, v0, v13
	ds_bpermute_b32 v0, v39, v41
	ds_bpermute_b32 v13, v39, v38
	s_waitcnt lgkmcnt(11)
	v_add_f32_e32 v23, v4, v17
	s_waitcnt lgkmcnt(10)
	v_add_f32_e32 v19, v6, v19
	v_add_f32_e32 v6, v45, v32
	ds_bpermute_b32 v28, v57, v11
	s_waitcnt lgkmcnt(10)
	v_add_f32_e32 v17, v8, v22
	ds_bpermute_b32 v22, v39, v42
	v_add_f32_e32 v8, v43, v33
	s_waitcnt lgkmcnt(10)
	v_add_f32_e32 v29, v1, v14
	s_waitcnt lgkmcnt(9)
	v_add_f32_e32 v25, v3, v16
	ds_bpermute_b32 v1, v39, v35
	s_waitcnt lgkmcnt(9)
	v_add_f32_e32 v16, v7, v20
	s_waitcnt lgkmcnt(8)
	v_add_f32_e32 v14, v9, v24
	ds_bpermute_b32 v7, v39, v36
	ds_bpermute_b32 v9, v39, v37
	s_waitcnt lgkmcnt(9)
	v_add_f32_e32 v27, v2, v15
	s_waitcnt lgkmcnt(8)
	v_add_f32_e32 v21, v5, v18
	v_add_f32_e32 v2, v49, v12
	s_waitcnt lgkmcnt(6)
	v_add_f32_e32 v0, v41, v0
	ds_bpermute_b32 v3, v39, v34
	v_add_f32_e32 v12, v10, v26
	v_add_f32_e32 v5, v47, v30
	ds_bpermute_b32 v20, v39, v40
	ds_bpermute_b32 v32, v57, v0
	s_waitcnt lgkmcnt(7)
	v_add_f32_e32 v10, v11, v28
	ds_bpermute_b32 v24, v39, v44
	s_waitcnt lgkmcnt(7)
	v_add_f32_e32 v42, v42, v22
	ds_bpermute_b32 v26, v39, v46
	ds_bpermute_b32 v28, v39, v48
	ds_bpermute_b32 v30, v39, v50
	s_waitcnt lgkmcnt(9)
	v_add_f32_e32 v1, v35, v1
	ds_bpermute_b32 v35, v39, v108
	v_add_f32_e32 v38, v38, v13
	s_waitcnt lgkmcnt(9)
	v_add_f32_e32 v7, v36, v7
	ds_bpermute_b32 v36, v39, v107
	s_waitcnt lgkmcnt(9)
	v_add_f32_e32 v9, v37, v9
	ds_bpermute_b32 v37, v39, v106
	ds_bpermute_b32 v13, v39, v55
	;; [unrolled: 1-line block ×3, first 2 shown]
	s_waitcnt lgkmcnt(11)
	v_add_f32_e32 v3, v34, v3
	ds_bpermute_b32 v33, v57, v1
	ds_bpermute_b32 v11, v57, v5
	s_waitcnt lgkmcnt(12)
	v_add_f32_e32 v40, v40, v20
	s_waitcnt lgkmcnt(11)
	v_add_f32_e32 v22, v0, v32
	buffer_load_dword v32, off, s[48:51], 0 offset:228 ; 4-byte Folded Reload
	s_waitcnt lgkmcnt(10)
	v_add_f32_e32 v44, v44, v24
	ds_bpermute_b32 v15, v57, v6
	s_waitcnt lgkmcnt(10)
	v_add_f32_e32 v46, v46, v26
	s_waitcnt lgkmcnt(9)
	v_add_f32_e32 v48, v48, v28
	;; [unrolled: 2-line block ×3, first 2 shown]
	ds_bpermute_b32 v18, v57, v8
	s_waitcnt lgkmcnt(8)
	v_add_f32_e32 v35, v108, v35
	ds_bpermute_b32 v34, v57, v3
	ds_bpermute_b32 v39, v57, v7
	s_waitcnt lgkmcnt(9)
	v_add_f32_e32 v36, v107, v36
	ds_bpermute_b32 v41, v57, v9
	s_waitcnt lgkmcnt(9)
	v_add_f32_e32 v37, v106, v37
	s_waitcnt lgkmcnt(8)
	v_add_f32_e32 v55, v55, v13
	ds_bpermute_b32 v43, v57, v38
	ds_bpermute_b32 v45, v57, v40
	;; [unrolled: 1-line block ×9, first 2 shown]
	s_waitcnt lgkmcnt(16)
	v_add_f32_e32 v30, v2, v4
	ds_bpermute_b32 v2, v57, v37
	ds_bpermute_b32 v57, v57, v55
	s_waitcnt lgkmcnt(17)
	v_add_f32_e32 v20, v1, v33
	s_waitcnt lgkmcnt(16)
	v_add_f32_e32 v28, v5, v11
	s_waitcnt lgkmcnt(15)
	v_add_f32_e32 v26, v6, v15
	s_waitcnt lgkmcnt(14)
	v_add_f32_e32 v24, v8, v18
	s_waitcnt lgkmcnt(13)
	v_add_f32_e32 v18, v3, v34
	s_waitcnt lgkmcnt(12)
	v_add_f32_e32 v15, v7, v39
	s_waitcnt lgkmcnt(11)
	v_add_f32_e32 v13, v9, v41
	v_lshlrev_b32_e32 v34, 10, v59
	s_waitcnt lgkmcnt(10)
	v_add_f32_e32 v11, v38, v43
	s_waitcnt lgkmcnt(9)
	v_add_f32_e32 v9, v40, v45
	;; [unrolled: 2-line block ×9, first 2 shown]
	v_and_b32_e32 v35, 0x3c3, v58
	s_waitcnt lgkmcnt(1)
	v_add_f32_e32 v1, v37, v2
	s_waitcnt lgkmcnt(0)
	v_add_f32_e32 v2, v55, v57
	s_waitcnt vmcnt(0)
	s_waitcnt_vscnt null, 0x0
	s_barrier
	buffer_gl0_inv
	v_and_b32_e32 v33, 28, v32
	v_lshrrev_b32_e32 v32, 2, v32
	v_add_nc_u32_e32 v33, 0x220, v33
	v_cmpx_eq_u32_e32 64, v35
	s_cbranch_execz .LBB179_106
; %bb.105:
	v_add_nc_u32_e32 v35, v33, v34
	v_add_nc_u32_e32 v36, 0xfffff800, v35
	;; [unrolled: 1-line block ×8, first 2 shown]
	ds_write_b32 v36, v31
	ds_write_b32 v37, v29
	;; [unrolled: 1-line block ×7, first 2 shown]
	v_add_nc_u32_e32 v36, 0xfffff8e0, v35
	v_add_nc_u32_e32 v37, 0xfffff900, v35
	v_add_nc_u32_e32 v38, 0xfffff920, v35
	v_add_nc_u32_e32 v39, 0xfffff940, v35
	v_add_nc_u32_e32 v40, 0xfffff960, v35
	ds_write_b32 v36, v16
	ds_write_b32 v37, v17
	ds_write_b32 v38, v14
	ds_write_b32 v39, v12
	ds_write_b32 v40, v10
	v_add_nc_u32_e32 v36, 0xfffff980, v35
	v_add_nc_u32_e32 v37, 0xfffff9a0, v35
	v_add_nc_u32_e32 v38, 0xfffff9c0, v35
	v_add_nc_u32_e32 v39, 0xfffff9e0, v35
	v_add_nc_u32_e32 v40, 0xfffffa00, v35
	ds_write_b32 v36, v30
	ds_write_b32 v37, v28
	ds_write_b32 v38, v26
	ds_write_b32 v39, v24
	ds_write_b32 v40, v22
	;; [unrolled: 10-line block ×5, first 2 shown]
.LBB179_106:
	s_or_b32 exec_lo, exec_lo, s1
	v_lshlrev_b32_e32 v32, 2, v32
	s_mov_b32 s2, exec_lo
	v_cmp_eq_u32_e32 vcc_lo, 0, v60
	s_waitcnt lgkmcnt(0)
	s_barrier
	v_add3_u32 v32, 0x220, v34, v32
	buffer_gl0_inv
	v_cmpx_gt_u32_e32 64, v58
	s_cbranch_execz .LBB179_141
; %bb.107:
	s_and_saveexec_b32 s1, vcc_lo
	s_cbranch_execnz .LBB179_181
; %bb.108:
	s_or_b32 exec_lo, exec_lo, s1
	s_and_saveexec_b32 s1, vcc_lo
	s_cbranch_execnz .LBB179_182
.LBB179_109:
	s_or_b32 exec_lo, exec_lo, s1
	s_and_saveexec_b32 s1, vcc_lo
	s_cbranch_execnz .LBB179_183
.LBB179_110:
	s_or_b32 exec_lo, exec_lo, s1
	s_and_saveexec_b32 s1, vcc_lo
	s_cbranch_execnz .LBB179_184
.LBB179_111:
	s_or_b32 exec_lo, exec_lo, s1
	s_and_saveexec_b32 s1, vcc_lo
	s_cbranch_execnz .LBB179_185
.LBB179_112:
	s_or_b32 exec_lo, exec_lo, s1
	s_and_saveexec_b32 s1, vcc_lo
	s_cbranch_execnz .LBB179_186
.LBB179_113:
	s_or_b32 exec_lo, exec_lo, s1
	s_and_saveexec_b32 s1, vcc_lo
	s_cbranch_execnz .LBB179_187
.LBB179_114:
	s_or_b32 exec_lo, exec_lo, s1
	s_and_saveexec_b32 s1, vcc_lo
	s_cbranch_execnz .LBB179_188
.LBB179_115:
	s_or_b32 exec_lo, exec_lo, s1
	s_and_saveexec_b32 s1, vcc_lo
	s_cbranch_execnz .LBB179_189
.LBB179_116:
	s_or_b32 exec_lo, exec_lo, s1
	s_and_saveexec_b32 s1, vcc_lo
	s_cbranch_execnz .LBB179_190
.LBB179_117:
	s_or_b32 exec_lo, exec_lo, s1
	s_and_saveexec_b32 s1, vcc_lo
	s_cbranch_execnz .LBB179_191
.LBB179_118:
	s_or_b32 exec_lo, exec_lo, s1
	s_and_saveexec_b32 s1, vcc_lo
	s_cbranch_execnz .LBB179_192
.LBB179_119:
	s_or_b32 exec_lo, exec_lo, s1
	s_and_saveexec_b32 s1, vcc_lo
	s_cbranch_execnz .LBB179_193
.LBB179_120:
	s_or_b32 exec_lo, exec_lo, s1
	s_and_saveexec_b32 s1, vcc_lo
	s_cbranch_execnz .LBB179_194
.LBB179_121:
	s_or_b32 exec_lo, exec_lo, s1
	s_and_saveexec_b32 s1, vcc_lo
	s_cbranch_execnz .LBB179_195
.LBB179_122:
	s_or_b32 exec_lo, exec_lo, s1
	s_and_saveexec_b32 s1, vcc_lo
	s_cbranch_execnz .LBB179_196
.LBB179_123:
	s_or_b32 exec_lo, exec_lo, s1
	s_and_saveexec_b32 s1, vcc_lo
	s_cbranch_execnz .LBB179_197
.LBB179_124:
	s_or_b32 exec_lo, exec_lo, s1
	s_and_saveexec_b32 s1, vcc_lo
	s_cbranch_execnz .LBB179_198
.LBB179_125:
	s_or_b32 exec_lo, exec_lo, s1
	s_and_saveexec_b32 s1, vcc_lo
	s_cbranch_execnz .LBB179_199
.LBB179_126:
	s_or_b32 exec_lo, exec_lo, s1
	s_and_saveexec_b32 s1, vcc_lo
	s_cbranch_execnz .LBB179_200
.LBB179_127:
	s_or_b32 exec_lo, exec_lo, s1
	s_and_saveexec_b32 s1, vcc_lo
	s_cbranch_execnz .LBB179_201
.LBB179_128:
	s_or_b32 exec_lo, exec_lo, s1
	s_and_saveexec_b32 s1, vcc_lo
	s_cbranch_execnz .LBB179_202
.LBB179_129:
	s_or_b32 exec_lo, exec_lo, s1
	s_and_saveexec_b32 s1, vcc_lo
	s_cbranch_execnz .LBB179_203
.LBB179_130:
	s_or_b32 exec_lo, exec_lo, s1
	s_and_saveexec_b32 s1, vcc_lo
	s_cbranch_execnz .LBB179_204
.LBB179_131:
	s_or_b32 exec_lo, exec_lo, s1
	s_and_saveexec_b32 s1, vcc_lo
	s_cbranch_execnz .LBB179_205
.LBB179_132:
	s_or_b32 exec_lo, exec_lo, s1
	s_and_saveexec_b32 s1, vcc_lo
	s_cbranch_execnz .LBB179_206
.LBB179_133:
	s_or_b32 exec_lo, exec_lo, s1
	s_and_saveexec_b32 s1, vcc_lo
	s_cbranch_execnz .LBB179_207
.LBB179_134:
	s_or_b32 exec_lo, exec_lo, s1
	s_and_saveexec_b32 s1, vcc_lo
	s_cbranch_execnz .LBB179_208
.LBB179_135:
	s_or_b32 exec_lo, exec_lo, s1
	s_and_saveexec_b32 s1, vcc_lo
	s_cbranch_execnz .LBB179_209
.LBB179_136:
	s_or_b32 exec_lo, exec_lo, s1
	s_and_saveexec_b32 s1, vcc_lo
	s_cbranch_execnz .LBB179_210
.LBB179_137:
	s_or_b32 exec_lo, exec_lo, s1
	s_and_saveexec_b32 s1, vcc_lo
	s_cbranch_execnz .LBB179_211
.LBB179_138:
	s_or_b32 exec_lo, exec_lo, s1
	s_and_saveexec_b32 s1, vcc_lo
	s_cbranch_execz .LBB179_140
.LBB179_139:
	ds_read_b32 v34, v32 offset:992
	s_waitcnt lgkmcnt(0)
	v_add_f32_e32 v2, v2, v34
.LBB179_140:
	s_or_b32 exec_lo, exec_lo, s1
.LBB179_141:
	s_or_b32 exec_lo, exec_lo, s2
	v_and_b32_e32 v34, 0x3e3, v58
	s_mov_b32 s2, exec_lo
	s_barrier
	buffer_gl0_inv
	v_cmpx_eq_u32_e32 32, v34
	s_cbranch_execz .LBB179_143
; %bb.142:
	ds_write2_b32 v33, v31, v29 offset1:8
	ds_write2_b32 v33, v27, v25 offset0:16 offset1:24
	ds_write2_b32 v33, v23, v21 offset0:32 offset1:40
	;; [unrolled: 1-line block ×15, first 2 shown]
.LBB179_143:
	s_or_b32 exec_lo, exec_lo, s2
	s_waitcnt lgkmcnt(0)
	s_barrier
	buffer_gl0_inv
	s_and_saveexec_b32 s1, s0
	s_cbranch_execz .LBB179_178
; %bb.144:
	s_and_saveexec_b32 s0, vcc_lo
	s_cbranch_execnz .LBB179_212
; %bb.145:
	s_or_b32 exec_lo, exec_lo, s0
	s_and_saveexec_b32 s0, vcc_lo
	s_cbranch_execnz .LBB179_213
.LBB179_146:
	s_or_b32 exec_lo, exec_lo, s0
	s_and_saveexec_b32 s0, vcc_lo
	s_cbranch_execnz .LBB179_214
.LBB179_147:
	s_or_b32 exec_lo, exec_lo, s0
	s_and_saveexec_b32 s0, vcc_lo
	s_cbranch_execnz .LBB179_215
.LBB179_148:
	s_or_b32 exec_lo, exec_lo, s0
	s_and_saveexec_b32 s0, vcc_lo
	s_cbranch_execnz .LBB179_216
.LBB179_149:
	s_or_b32 exec_lo, exec_lo, s0
	s_and_saveexec_b32 s0, vcc_lo
	s_cbranch_execnz .LBB179_217
.LBB179_150:
	s_or_b32 exec_lo, exec_lo, s0
	s_and_saveexec_b32 s0, vcc_lo
	s_cbranch_execnz .LBB179_218
.LBB179_151:
	s_or_b32 exec_lo, exec_lo, s0
	s_and_saveexec_b32 s0, vcc_lo
	s_cbranch_execnz .LBB179_219
.LBB179_152:
	s_or_b32 exec_lo, exec_lo, s0
	s_and_saveexec_b32 s0, vcc_lo
	s_cbranch_execnz .LBB179_220
.LBB179_153:
	s_or_b32 exec_lo, exec_lo, s0
	s_and_saveexec_b32 s0, vcc_lo
	s_cbranch_execnz .LBB179_221
.LBB179_154:
	s_or_b32 exec_lo, exec_lo, s0
	s_and_saveexec_b32 s0, vcc_lo
	s_cbranch_execnz .LBB179_222
.LBB179_155:
	s_or_b32 exec_lo, exec_lo, s0
	s_and_saveexec_b32 s0, vcc_lo
	s_cbranch_execnz .LBB179_223
.LBB179_156:
	s_or_b32 exec_lo, exec_lo, s0
	s_and_saveexec_b32 s0, vcc_lo
	s_cbranch_execnz .LBB179_224
.LBB179_157:
	s_or_b32 exec_lo, exec_lo, s0
	s_and_saveexec_b32 s0, vcc_lo
	s_cbranch_execnz .LBB179_225
.LBB179_158:
	s_or_b32 exec_lo, exec_lo, s0
	s_and_saveexec_b32 s0, vcc_lo
	s_cbranch_execnz .LBB179_226
.LBB179_159:
	s_or_b32 exec_lo, exec_lo, s0
	s_and_saveexec_b32 s0, vcc_lo
	s_cbranch_execnz .LBB179_227
.LBB179_160:
	s_or_b32 exec_lo, exec_lo, s0
	s_and_saveexec_b32 s0, vcc_lo
	s_cbranch_execnz .LBB179_228
.LBB179_161:
	s_or_b32 exec_lo, exec_lo, s0
	s_and_saveexec_b32 s0, vcc_lo
	s_cbranch_execnz .LBB179_229
.LBB179_162:
	s_or_b32 exec_lo, exec_lo, s0
	s_and_saveexec_b32 s0, vcc_lo
	s_cbranch_execnz .LBB179_230
.LBB179_163:
	s_or_b32 exec_lo, exec_lo, s0
	s_and_saveexec_b32 s0, vcc_lo
	s_cbranch_execnz .LBB179_231
.LBB179_164:
	s_or_b32 exec_lo, exec_lo, s0
	s_and_saveexec_b32 s0, vcc_lo
	s_cbranch_execnz .LBB179_232
.LBB179_165:
	s_or_b32 exec_lo, exec_lo, s0
	s_and_saveexec_b32 s0, vcc_lo
	s_cbranch_execnz .LBB179_233
.LBB179_166:
	s_or_b32 exec_lo, exec_lo, s0
	s_and_saveexec_b32 s0, vcc_lo
	s_cbranch_execnz .LBB179_234
.LBB179_167:
	s_or_b32 exec_lo, exec_lo, s0
	s_and_saveexec_b32 s0, vcc_lo
	s_cbranch_execnz .LBB179_235
.LBB179_168:
	s_or_b32 exec_lo, exec_lo, s0
	s_and_saveexec_b32 s0, vcc_lo
	s_cbranch_execnz .LBB179_236
.LBB179_169:
	s_or_b32 exec_lo, exec_lo, s0
	s_and_saveexec_b32 s0, vcc_lo
	s_cbranch_execnz .LBB179_237
.LBB179_170:
	s_or_b32 exec_lo, exec_lo, s0
	s_and_saveexec_b32 s0, vcc_lo
	s_cbranch_execnz .LBB179_238
.LBB179_171:
	s_or_b32 exec_lo, exec_lo, s0
	s_and_saveexec_b32 s0, vcc_lo
	s_cbranch_execnz .LBB179_239
.LBB179_172:
	s_or_b32 exec_lo, exec_lo, s0
	s_and_saveexec_b32 s0, vcc_lo
	s_cbranch_execnz .LBB179_240
.LBB179_173:
	s_or_b32 exec_lo, exec_lo, s0
	s_and_saveexec_b32 s0, vcc_lo
	s_cbranch_execnz .LBB179_241
.LBB179_174:
	s_or_b32 exec_lo, exec_lo, s0
	s_and_saveexec_b32 s0, vcc_lo
	s_cbranch_execnz .LBB179_242
.LBB179_175:
	s_or_b32 exec_lo, exec_lo, s0
	s_and_saveexec_b32 s0, vcc_lo
	s_cbranch_execz .LBB179_177
.LBB179_176:
	ds_read_b32 v32, v32 offset:992
	s_waitcnt lgkmcnt(0)
	v_add_f32_e32 v2, v2, v32
.LBB179_177:
	s_or_b32 exec_lo, exec_lo, s0
.LBB179_178:
	s_or_b32 exec_lo, exec_lo, s1
	s_barrier
	buffer_gl0_inv
	s_mov_b32 s0, exec_lo
	v_cmpx_eq_u32_e32 0, v34
	s_cbranch_execz .LBB179_180
; %bb.179:
	s_lshl_b32 s0, s4, 8
	s_mul_i32 s2, s7, s10
	s_ashr_i32 s1, s0, 31
	v_bfe_u32 v33, v31, 16, 1
	s_lshl_b64 s[0:1], s[0:1], 1
	v_or_b32_e32 v34, 0x400000, v31
	s_add_u32 s4, s24, s0
	s_addc_u32 s5, s25, s1
	s_ashr_i32 s3, s2, 31
	v_add3_u32 v33, v33, v31, 0x7fff
	s_lshl_b64 s[0:1], s[2:3], 1
	v_bfe_u32 v35, v29, 16, 1
	s_add_u32 s2, s4, s0
	v_cmp_u_f32_e32 vcc_lo, v31, v31
	s_addc_u32 s3, s5, s1
	s_lshl_b32 s0, s8, 8
	v_lshrrev_b32_e32 v32, 1, v58
	s_ashr_i32 s1, s0, 31
	v_cndmask_b32_e32 v31, v33, v34, vcc_lo
	s_lshl_b64 s[0:1], s[0:1], 1
	v_bfe_u32 v33, v27, 16, 1
	v_add3_u32 v34, v35, v29, 0x7fff
	v_or_b32_e32 v35, 0x400000, v29
	v_cmp_u_f32_e32 vcc_lo, v29, v29
	s_add_u32 s0, s2, s0
	s_addc_u32 s1, s3, s1
	global_store_short_d16_hi v32, v31, s[0:1]
	v_add3_u32 v31, v33, v27, 0x7fff
	v_or_b32_e32 v33, 0x400000, v27
	v_cndmask_b32_e32 v29, v34, v35, vcc_lo
	v_bfe_u32 v34, v25, 16, 1
	v_cmp_u_f32_e32 vcc_lo, v27, v27
	global_store_short_d16_hi v32, v29, s[0:1] offset:16
	v_add3_u32 v29, v34, v25, 0x7fff
	v_cndmask_b32_e32 v27, v31, v33, vcc_lo
	v_bfe_u32 v31, v23, 16, 1
	v_or_b32_e32 v33, 0x400000, v25
	v_cmp_u_f32_e32 vcc_lo, v25, v25
	global_store_short_d16_hi v32, v27, s[0:1] offset:32
	v_add3_u32 v27, v31, v23, 0x7fff
	v_or_b32_e32 v31, 0x400000, v23
	v_cndmask_b32_e32 v25, v29, v33, vcc_lo
	v_bfe_u32 v29, v21, 16, 1
	v_cmp_u_f32_e32 vcc_lo, v23, v23
	global_store_short_d16_hi v32, v25, s[0:1] offset:48
	v_add3_u32 v25, v29, v21, 0x7fff
	v_cndmask_b32_e32 v23, v27, v31, vcc_lo
	v_bfe_u32 v27, v19, 16, 1
	v_or_b32_e32 v29, 0x400000, v21
	v_cmp_u_f32_e32 vcc_lo, v21, v21
	global_store_short_d16_hi v32, v23, s[0:1] offset:64
	;; [unrolled: 12-line block ×5, first 2 shown]
	v_add3_u32 v12, v17, v30, 0x7fff
	v_or_b32_e32 v17, 0x400000, v30
	v_cndmask_b32_e32 v10, v14, v16, vcc_lo
	v_bfe_u32 v14, v28, 16, 1
	v_cmp_u_f32_e32 vcc_lo, v30, v30
	v_bfe_u32 v16, v26, 16, 1
	global_store_short_d16_hi v32, v10, s[0:1] offset:176
	v_add3_u32 v10, v14, v28, 0x7fff
	v_cndmask_b32_e32 v12, v12, v17, vcc_lo
	v_or_b32_e32 v14, 0x400000, v28
	v_cmp_u_f32_e32 vcc_lo, v28, v28
	global_store_short_d16_hi v32, v12, s[0:1] offset:192
	v_add3_u32 v12, v16, v26, 0x7fff
	v_or_b32_e32 v16, 0x400000, v26
	v_cndmask_b32_e32 v10, v10, v14, vcc_lo
	v_bfe_u32 v14, v24, 16, 1
	v_cmp_u_f32_e32 vcc_lo, v26, v26
	global_store_short_d16_hi v32, v10, s[0:1] offset:208
	v_add3_u32 v10, v14, v24, 0x7fff
	v_cndmask_b32_e32 v12, v12, v16, vcc_lo
	v_bfe_u32 v16, v22, 16, 1
	v_or_b32_e32 v14, 0x400000, v24
	v_cmp_u_f32_e32 vcc_lo, v24, v24
	global_store_short_d16_hi v32, v12, s[0:1] offset:224
	v_add3_u32 v12, v16, v22, 0x7fff
	v_or_b32_e32 v16, 0x400000, v22
	v_cndmask_b32_e32 v10, v10, v14, vcc_lo
	v_bfe_u32 v14, v20, 16, 1
	v_cmp_u_f32_e32 vcc_lo, v22, v22
	global_store_short_d16_hi v32, v10, s[0:1] offset:240
	v_add3_u32 v10, v14, v20, 0x7fff
	v_cndmask_b32_e32 v12, v12, v16, vcc_lo
	v_bfe_u32 v16, v18, 16, 1
	;; [unrolled: 12-line block ×3, first 2 shown]
	v_or_b32_e32 v14, 0x400000, v15
	v_cmp_u_f32_e32 vcc_lo, v15, v15
	global_store_short_d16_hi v32, v12, s[0:1] offset:288
	v_add3_u32 v12, v16, v13, 0x7fff
	v_or_b32_e32 v16, 0x400000, v13
	v_cndmask_b32_e32 v10, v10, v14, vcc_lo
	v_bfe_u32 v14, v11, 16, 1
	v_cmp_u_f32_e32 vcc_lo, v13, v13
	v_bfe_u32 v13, v9, 16, 1
	global_store_short_d16_hi v32, v10, s[0:1] offset:304
	v_add3_u32 v10, v14, v11, 0x7fff
	v_cndmask_b32_e32 v12, v12, v16, vcc_lo
	v_or_b32_e32 v14, 0x400000, v11
	v_cmp_u_f32_e32 vcc_lo, v11, v11
	v_bfe_u32 v11, v8, 16, 1
	global_store_short_d16_hi v32, v12, s[0:1] offset:320
	v_add3_u32 v12, v13, v9, 0x7fff
	v_or_b32_e32 v13, 0x400000, v9
	v_cndmask_b32_e32 v10, v10, v14, vcc_lo
	v_cmp_u_f32_e32 vcc_lo, v9, v9
	global_store_short_d16_hi v32, v10, s[0:1] offset:336
	v_cndmask_b32_e32 v9, v12, v13, vcc_lo
	v_bfe_u32 v12, v7, 16, 1
	v_add3_u32 v10, v11, v8, 0x7fff
	v_or_b32_e32 v11, 0x400000, v8
	v_cmp_u_f32_e32 vcc_lo, v8, v8
	global_store_short_d16_hi v32, v9, s[0:1] offset:352
	v_add3_u32 v9, v12, v7, 0x7fff
	v_or_b32_e32 v12, 0x400000, v7
	v_cndmask_b32_e32 v8, v10, v11, vcc_lo
	v_bfe_u32 v10, v6, 16, 1
	v_cmp_u_f32_e32 vcc_lo, v7, v7
	global_store_short_d16_hi v32, v8, s[0:1] offset:368
	v_add3_u32 v8, v10, v6, 0x7fff
	v_cndmask_b32_e32 v7, v9, v12, vcc_lo
	v_bfe_u32 v9, v5, 16, 1
	v_or_b32_e32 v10, 0x400000, v6
	v_cmp_u_f32_e32 vcc_lo, v6, v6
	global_store_short_d16_hi v32, v7, s[0:1] offset:384
	v_add3_u32 v7, v9, v5, 0x7fff
	v_or_b32_e32 v9, 0x400000, v5
	v_cndmask_b32_e32 v6, v8, v10, vcc_lo
	v_bfe_u32 v8, v4, 16, 1
	v_cmp_u_f32_e32 vcc_lo, v5, v5
	v_or_b32_e32 v10, 0x400000, v2
	global_store_short_d16_hi v32, v6, s[0:1] offset:400
	v_add3_u32 v6, v8, v4, 0x7fff
	v_cndmask_b32_e32 v5, v7, v9, vcc_lo
	v_bfe_u32 v7, v3, 16, 1
	v_or_b32_e32 v8, 0x400000, v4
	v_cmp_u_f32_e32 vcc_lo, v4, v4
	v_or_b32_e32 v9, 0x400000, v1
	global_store_short_d16_hi v32, v5, s[0:1] offset:416
	v_add3_u32 v5, v7, v3, 0x7fff
	v_or_b32_e32 v7, 0x400000, v3
	v_cndmask_b32_e32 v4, v6, v8, vcc_lo
	v_bfe_u32 v6, v0, 16, 1
	v_cmp_u_f32_e32 vcc_lo, v3, v3
	v_bfe_u32 v8, v1, 16, 1
	v_add3_u32 v6, v6, v0, 0x7fff
	v_cndmask_b32_e32 v3, v5, v7, vcc_lo
	v_or_b32_e32 v7, 0x400000, v0
	v_cmp_u_f32_e32 vcc_lo, v0, v0
	v_bfe_u32 v5, v2, 16, 1
	v_add3_u32 v8, v8, v1, 0x7fff
	v_cndmask_b32_e32 v0, v6, v7, vcc_lo
	v_cmp_u_f32_e32 vcc_lo, v1, v1
	v_add3_u32 v5, v5, v2, 0x7fff
	v_cndmask_b32_e32 v1, v8, v9, vcc_lo
	v_cmp_u_f32_e32 vcc_lo, v2, v2
	v_cndmask_b32_e32 v2, v5, v10, vcc_lo
	global_store_short_d16_hi v32, v4, s[0:1] offset:432
	global_store_short_d16_hi v32, v3, s[0:1] offset:448
	;; [unrolled: 1-line block ×5, first 2 shown]
.LBB179_180:
	s_endpgm
.LBB179_181:
	ds_read_b32 v34, v32
	s_waitcnt lgkmcnt(0)
	v_add_f32_e32 v31, v31, v34
	s_or_b32 exec_lo, exec_lo, s1
	s_and_saveexec_b32 s1, vcc_lo
	s_cbranch_execz .LBB179_109
.LBB179_182:
	ds_read_b32 v34, v32 offset:32
	s_waitcnt lgkmcnt(0)
	v_add_f32_e32 v29, v29, v34
	s_or_b32 exec_lo, exec_lo, s1
	s_and_saveexec_b32 s1, vcc_lo
	s_cbranch_execz .LBB179_110
.LBB179_183:
	ds_read_b32 v34, v32 offset:64
	s_waitcnt lgkmcnt(0)
	v_add_f32_e32 v27, v27, v34
	s_or_b32 exec_lo, exec_lo, s1
	s_and_saveexec_b32 s1, vcc_lo
	s_cbranch_execz .LBB179_111
.LBB179_184:
	ds_read_b32 v34, v32 offset:96
	s_waitcnt lgkmcnt(0)
	v_add_f32_e32 v25, v25, v34
	s_or_b32 exec_lo, exec_lo, s1
	s_and_saveexec_b32 s1, vcc_lo
	s_cbranch_execz .LBB179_112
.LBB179_185:
	ds_read_b32 v34, v32 offset:128
	s_waitcnt lgkmcnt(0)
	v_add_f32_e32 v23, v23, v34
	s_or_b32 exec_lo, exec_lo, s1
	s_and_saveexec_b32 s1, vcc_lo
	s_cbranch_execz .LBB179_113
.LBB179_186:
	ds_read_b32 v34, v32 offset:160
	s_waitcnt lgkmcnt(0)
	v_add_f32_e32 v21, v21, v34
	s_or_b32 exec_lo, exec_lo, s1
	s_and_saveexec_b32 s1, vcc_lo
	s_cbranch_execz .LBB179_114
.LBB179_187:
	ds_read_b32 v34, v32 offset:192
	s_waitcnt lgkmcnt(0)
	v_add_f32_e32 v19, v19, v34
	s_or_b32 exec_lo, exec_lo, s1
	s_and_saveexec_b32 s1, vcc_lo
	s_cbranch_execz .LBB179_115
.LBB179_188:
	ds_read_b32 v34, v32 offset:224
	s_waitcnt lgkmcnt(0)
	v_add_f32_e32 v16, v16, v34
	s_or_b32 exec_lo, exec_lo, s1
	s_and_saveexec_b32 s1, vcc_lo
	s_cbranch_execz .LBB179_116
.LBB179_189:
	ds_read_b32 v34, v32 offset:256
	s_waitcnt lgkmcnt(0)
	v_add_f32_e32 v17, v17, v34
	s_or_b32 exec_lo, exec_lo, s1
	s_and_saveexec_b32 s1, vcc_lo
	s_cbranch_execz .LBB179_117
.LBB179_190:
	ds_read_b32 v34, v32 offset:288
	s_waitcnt lgkmcnt(0)
	v_add_f32_e32 v14, v14, v34
	s_or_b32 exec_lo, exec_lo, s1
	s_and_saveexec_b32 s1, vcc_lo
	s_cbranch_execz .LBB179_118
.LBB179_191:
	ds_read_b32 v34, v32 offset:320
	s_waitcnt lgkmcnt(0)
	v_add_f32_e32 v12, v12, v34
	s_or_b32 exec_lo, exec_lo, s1
	s_and_saveexec_b32 s1, vcc_lo
	s_cbranch_execz .LBB179_119
.LBB179_192:
	ds_read_b32 v34, v32 offset:352
	s_waitcnt lgkmcnt(0)
	v_add_f32_e32 v10, v10, v34
	s_or_b32 exec_lo, exec_lo, s1
	s_and_saveexec_b32 s1, vcc_lo
	s_cbranch_execz .LBB179_120
.LBB179_193:
	ds_read_b32 v34, v32 offset:384
	s_waitcnt lgkmcnt(0)
	v_add_f32_e32 v30, v30, v34
	s_or_b32 exec_lo, exec_lo, s1
	s_and_saveexec_b32 s1, vcc_lo
	s_cbranch_execz .LBB179_121
.LBB179_194:
	ds_read_b32 v34, v32 offset:416
	s_waitcnt lgkmcnt(0)
	v_add_f32_e32 v28, v28, v34
	s_or_b32 exec_lo, exec_lo, s1
	s_and_saveexec_b32 s1, vcc_lo
	s_cbranch_execz .LBB179_122
.LBB179_195:
	ds_read_b32 v34, v32 offset:448
	s_waitcnt lgkmcnt(0)
	v_add_f32_e32 v26, v26, v34
	s_or_b32 exec_lo, exec_lo, s1
	s_and_saveexec_b32 s1, vcc_lo
	s_cbranch_execz .LBB179_123
.LBB179_196:
	ds_read_b32 v34, v32 offset:480
	s_waitcnt lgkmcnt(0)
	v_add_f32_e32 v24, v24, v34
	s_or_b32 exec_lo, exec_lo, s1
	s_and_saveexec_b32 s1, vcc_lo
	s_cbranch_execz .LBB179_124
.LBB179_197:
	ds_read_b32 v34, v32 offset:512
	s_waitcnt lgkmcnt(0)
	v_add_f32_e32 v22, v22, v34
	s_or_b32 exec_lo, exec_lo, s1
	s_and_saveexec_b32 s1, vcc_lo
	s_cbranch_execz .LBB179_125
.LBB179_198:
	ds_read_b32 v34, v32 offset:544
	s_waitcnt lgkmcnt(0)
	v_add_f32_e32 v20, v20, v34
	s_or_b32 exec_lo, exec_lo, s1
	s_and_saveexec_b32 s1, vcc_lo
	s_cbranch_execz .LBB179_126
.LBB179_199:
	ds_read_b32 v34, v32 offset:576
	s_waitcnt lgkmcnt(0)
	v_add_f32_e32 v18, v18, v34
	s_or_b32 exec_lo, exec_lo, s1
	s_and_saveexec_b32 s1, vcc_lo
	s_cbranch_execz .LBB179_127
.LBB179_200:
	ds_read_b32 v34, v32 offset:608
	s_waitcnt lgkmcnt(0)
	v_add_f32_e32 v15, v15, v34
	s_or_b32 exec_lo, exec_lo, s1
	s_and_saveexec_b32 s1, vcc_lo
	s_cbranch_execz .LBB179_128
.LBB179_201:
	ds_read_b32 v34, v32 offset:640
	s_waitcnt lgkmcnt(0)
	v_add_f32_e32 v13, v13, v34
	s_or_b32 exec_lo, exec_lo, s1
	s_and_saveexec_b32 s1, vcc_lo
	s_cbranch_execz .LBB179_129
.LBB179_202:
	ds_read_b32 v34, v32 offset:672
	s_waitcnt lgkmcnt(0)
	v_add_f32_e32 v11, v11, v34
	s_or_b32 exec_lo, exec_lo, s1
	s_and_saveexec_b32 s1, vcc_lo
	s_cbranch_execz .LBB179_130
.LBB179_203:
	ds_read_b32 v34, v32 offset:704
	s_waitcnt lgkmcnt(0)
	v_add_f32_e32 v9, v9, v34
	s_or_b32 exec_lo, exec_lo, s1
	s_and_saveexec_b32 s1, vcc_lo
	s_cbranch_execz .LBB179_131
.LBB179_204:
	ds_read_b32 v34, v32 offset:736
	s_waitcnt lgkmcnt(0)
	v_add_f32_e32 v8, v8, v34
	s_or_b32 exec_lo, exec_lo, s1
	s_and_saveexec_b32 s1, vcc_lo
	s_cbranch_execz .LBB179_132
.LBB179_205:
	ds_read_b32 v34, v32 offset:768
	s_waitcnt lgkmcnt(0)
	v_add_f32_e32 v7, v7, v34
	s_or_b32 exec_lo, exec_lo, s1
	s_and_saveexec_b32 s1, vcc_lo
	s_cbranch_execz .LBB179_133
.LBB179_206:
	ds_read_b32 v34, v32 offset:800
	s_waitcnt lgkmcnt(0)
	v_add_f32_e32 v6, v6, v34
	s_or_b32 exec_lo, exec_lo, s1
	s_and_saveexec_b32 s1, vcc_lo
	s_cbranch_execz .LBB179_134
.LBB179_207:
	ds_read_b32 v34, v32 offset:832
	s_waitcnt lgkmcnt(0)
	v_add_f32_e32 v5, v5, v34
	s_or_b32 exec_lo, exec_lo, s1
	s_and_saveexec_b32 s1, vcc_lo
	s_cbranch_execz .LBB179_135
.LBB179_208:
	ds_read_b32 v34, v32 offset:864
	s_waitcnt lgkmcnt(0)
	v_add_f32_e32 v4, v4, v34
	s_or_b32 exec_lo, exec_lo, s1
	s_and_saveexec_b32 s1, vcc_lo
	s_cbranch_execz .LBB179_136
.LBB179_209:
	ds_read_b32 v34, v32 offset:896
	s_waitcnt lgkmcnt(0)
	v_add_f32_e32 v3, v3, v34
	s_or_b32 exec_lo, exec_lo, s1
	s_and_saveexec_b32 s1, vcc_lo
	s_cbranch_execz .LBB179_137
.LBB179_210:
	ds_read_b32 v34, v32 offset:928
	s_waitcnt lgkmcnt(0)
	v_add_f32_e32 v0, v0, v34
	s_or_b32 exec_lo, exec_lo, s1
	s_and_saveexec_b32 s1, vcc_lo
	s_cbranch_execz .LBB179_138
.LBB179_211:
	ds_read_b32 v34, v32 offset:960
	s_waitcnt lgkmcnt(0)
	v_add_f32_e32 v1, v1, v34
	s_or_b32 exec_lo, exec_lo, s1
	s_and_saveexec_b32 s1, vcc_lo
	s_cbranch_execnz .LBB179_139
	s_branch .LBB179_140
.LBB179_212:
	ds_read_b32 v33, v32
	s_waitcnt lgkmcnt(0)
	v_add_f32_e32 v31, v31, v33
	s_or_b32 exec_lo, exec_lo, s0
	s_and_saveexec_b32 s0, vcc_lo
	s_cbranch_execz .LBB179_146
.LBB179_213:
	ds_read_b32 v33, v32 offset:32
	s_waitcnt lgkmcnt(0)
	v_add_f32_e32 v29, v29, v33
	s_or_b32 exec_lo, exec_lo, s0
	s_and_saveexec_b32 s0, vcc_lo
	s_cbranch_execz .LBB179_147
.LBB179_214:
	ds_read_b32 v33, v32 offset:64
	s_waitcnt lgkmcnt(0)
	v_add_f32_e32 v27, v27, v33
	s_or_b32 exec_lo, exec_lo, s0
	s_and_saveexec_b32 s0, vcc_lo
	s_cbranch_execz .LBB179_148
.LBB179_215:
	ds_read_b32 v33, v32 offset:96
	s_waitcnt lgkmcnt(0)
	v_add_f32_e32 v25, v25, v33
	s_or_b32 exec_lo, exec_lo, s0
	s_and_saveexec_b32 s0, vcc_lo
	s_cbranch_execz .LBB179_149
.LBB179_216:
	ds_read_b32 v33, v32 offset:128
	s_waitcnt lgkmcnt(0)
	v_add_f32_e32 v23, v23, v33
	s_or_b32 exec_lo, exec_lo, s0
	s_and_saveexec_b32 s0, vcc_lo
	s_cbranch_execz .LBB179_150
.LBB179_217:
	ds_read_b32 v33, v32 offset:160
	s_waitcnt lgkmcnt(0)
	v_add_f32_e32 v21, v21, v33
	s_or_b32 exec_lo, exec_lo, s0
	s_and_saveexec_b32 s0, vcc_lo
	s_cbranch_execz .LBB179_151
.LBB179_218:
	ds_read_b32 v33, v32 offset:192
	s_waitcnt lgkmcnt(0)
	v_add_f32_e32 v19, v19, v33
	s_or_b32 exec_lo, exec_lo, s0
	s_and_saveexec_b32 s0, vcc_lo
	s_cbranch_execz .LBB179_152
.LBB179_219:
	ds_read_b32 v33, v32 offset:224
	s_waitcnt lgkmcnt(0)
	v_add_f32_e32 v16, v16, v33
	s_or_b32 exec_lo, exec_lo, s0
	s_and_saveexec_b32 s0, vcc_lo
	s_cbranch_execz .LBB179_153
.LBB179_220:
	ds_read_b32 v33, v32 offset:256
	s_waitcnt lgkmcnt(0)
	v_add_f32_e32 v17, v17, v33
	s_or_b32 exec_lo, exec_lo, s0
	s_and_saveexec_b32 s0, vcc_lo
	s_cbranch_execz .LBB179_154
.LBB179_221:
	ds_read_b32 v33, v32 offset:288
	s_waitcnt lgkmcnt(0)
	v_add_f32_e32 v14, v14, v33
	s_or_b32 exec_lo, exec_lo, s0
	s_and_saveexec_b32 s0, vcc_lo
	s_cbranch_execz .LBB179_155
.LBB179_222:
	ds_read_b32 v33, v32 offset:320
	s_waitcnt lgkmcnt(0)
	v_add_f32_e32 v12, v12, v33
	s_or_b32 exec_lo, exec_lo, s0
	s_and_saveexec_b32 s0, vcc_lo
	s_cbranch_execz .LBB179_156
.LBB179_223:
	ds_read_b32 v33, v32 offset:352
	s_waitcnt lgkmcnt(0)
	v_add_f32_e32 v10, v10, v33
	s_or_b32 exec_lo, exec_lo, s0
	s_and_saveexec_b32 s0, vcc_lo
	s_cbranch_execz .LBB179_157
.LBB179_224:
	ds_read_b32 v33, v32 offset:384
	s_waitcnt lgkmcnt(0)
	v_add_f32_e32 v30, v30, v33
	s_or_b32 exec_lo, exec_lo, s0
	s_and_saveexec_b32 s0, vcc_lo
	s_cbranch_execz .LBB179_158
.LBB179_225:
	ds_read_b32 v33, v32 offset:416
	s_waitcnt lgkmcnt(0)
	v_add_f32_e32 v28, v28, v33
	s_or_b32 exec_lo, exec_lo, s0
	s_and_saveexec_b32 s0, vcc_lo
	s_cbranch_execz .LBB179_159
.LBB179_226:
	ds_read_b32 v33, v32 offset:448
	s_waitcnt lgkmcnt(0)
	v_add_f32_e32 v26, v26, v33
	s_or_b32 exec_lo, exec_lo, s0
	s_and_saveexec_b32 s0, vcc_lo
	s_cbranch_execz .LBB179_160
.LBB179_227:
	ds_read_b32 v33, v32 offset:480
	s_waitcnt lgkmcnt(0)
	v_add_f32_e32 v24, v24, v33
	s_or_b32 exec_lo, exec_lo, s0
	s_and_saveexec_b32 s0, vcc_lo
	s_cbranch_execz .LBB179_161
.LBB179_228:
	ds_read_b32 v33, v32 offset:512
	s_waitcnt lgkmcnt(0)
	v_add_f32_e32 v22, v22, v33
	s_or_b32 exec_lo, exec_lo, s0
	s_and_saveexec_b32 s0, vcc_lo
	s_cbranch_execz .LBB179_162
.LBB179_229:
	ds_read_b32 v33, v32 offset:544
	s_waitcnt lgkmcnt(0)
	v_add_f32_e32 v20, v20, v33
	s_or_b32 exec_lo, exec_lo, s0
	s_and_saveexec_b32 s0, vcc_lo
	s_cbranch_execz .LBB179_163
.LBB179_230:
	ds_read_b32 v33, v32 offset:576
	s_waitcnt lgkmcnt(0)
	v_add_f32_e32 v18, v18, v33
	s_or_b32 exec_lo, exec_lo, s0
	s_and_saveexec_b32 s0, vcc_lo
	s_cbranch_execz .LBB179_164
.LBB179_231:
	ds_read_b32 v33, v32 offset:608
	s_waitcnt lgkmcnt(0)
	v_add_f32_e32 v15, v15, v33
	s_or_b32 exec_lo, exec_lo, s0
	s_and_saveexec_b32 s0, vcc_lo
	s_cbranch_execz .LBB179_165
.LBB179_232:
	ds_read_b32 v33, v32 offset:640
	s_waitcnt lgkmcnt(0)
	v_add_f32_e32 v13, v13, v33
	s_or_b32 exec_lo, exec_lo, s0
	s_and_saveexec_b32 s0, vcc_lo
	s_cbranch_execz .LBB179_166
.LBB179_233:
	ds_read_b32 v33, v32 offset:672
	s_waitcnt lgkmcnt(0)
	v_add_f32_e32 v11, v11, v33
	s_or_b32 exec_lo, exec_lo, s0
	s_and_saveexec_b32 s0, vcc_lo
	s_cbranch_execz .LBB179_167
.LBB179_234:
	ds_read_b32 v33, v32 offset:704
	s_waitcnt lgkmcnt(0)
	v_add_f32_e32 v9, v9, v33
	s_or_b32 exec_lo, exec_lo, s0
	s_and_saveexec_b32 s0, vcc_lo
	s_cbranch_execz .LBB179_168
.LBB179_235:
	ds_read_b32 v33, v32 offset:736
	s_waitcnt lgkmcnt(0)
	v_add_f32_e32 v8, v8, v33
	s_or_b32 exec_lo, exec_lo, s0
	s_and_saveexec_b32 s0, vcc_lo
	s_cbranch_execz .LBB179_169
.LBB179_236:
	ds_read_b32 v33, v32 offset:768
	s_waitcnt lgkmcnt(0)
	v_add_f32_e32 v7, v7, v33
	s_or_b32 exec_lo, exec_lo, s0
	s_and_saveexec_b32 s0, vcc_lo
	s_cbranch_execz .LBB179_170
.LBB179_237:
	ds_read_b32 v33, v32 offset:800
	s_waitcnt lgkmcnt(0)
	v_add_f32_e32 v6, v6, v33
	s_or_b32 exec_lo, exec_lo, s0
	s_and_saveexec_b32 s0, vcc_lo
	s_cbranch_execz .LBB179_171
.LBB179_238:
	ds_read_b32 v33, v32 offset:832
	s_waitcnt lgkmcnt(0)
	v_add_f32_e32 v5, v5, v33
	s_or_b32 exec_lo, exec_lo, s0
	s_and_saveexec_b32 s0, vcc_lo
	s_cbranch_execz .LBB179_172
.LBB179_239:
	ds_read_b32 v33, v32 offset:864
	s_waitcnt lgkmcnt(0)
	v_add_f32_e32 v4, v4, v33
	s_or_b32 exec_lo, exec_lo, s0
	s_and_saveexec_b32 s0, vcc_lo
	s_cbranch_execz .LBB179_173
.LBB179_240:
	ds_read_b32 v33, v32 offset:896
	s_waitcnt lgkmcnt(0)
	v_add_f32_e32 v3, v3, v33
	s_or_b32 exec_lo, exec_lo, s0
	s_and_saveexec_b32 s0, vcc_lo
	s_cbranch_execz .LBB179_174
.LBB179_241:
	ds_read_b32 v33, v32 offset:928
	s_waitcnt lgkmcnt(0)
	v_add_f32_e32 v0, v0, v33
	s_or_b32 exec_lo, exec_lo, s0
	s_and_saveexec_b32 s0, vcc_lo
	s_cbranch_execz .LBB179_175
.LBB179_242:
	ds_read_b32 v33, v32 offset:960
	s_waitcnt lgkmcnt(0)
	v_add_f32_e32 v1, v1, v33
	s_or_b32 exec_lo, exec_lo, s0
	s_and_saveexec_b32 s0, vcc_lo
	s_cbranch_execnz .LBB179_176
	s_branch .LBB179_177
	.section	.rodata,"a",@progbits
	.p2align	6, 0x0
	.amdhsa_kernel _ZN4vllm25paged_attention_v2_kernelI14__hip_bfloat16S1_Li256ELi32ELi128ELNS_18Fp8KVCacheDataTypeE0ELb1ELi512EEEvPfS3_PT_PKS4_PKT0_SA_ifPKiSC_iPKfiiiSE_SE_iiiii
		.amdhsa_group_segment_fixed_size 544
		.amdhsa_private_segment_fixed_size 912
		.amdhsa_kernarg_size 400
		.amdhsa_user_sgpr_count 6
		.amdhsa_user_sgpr_private_segment_buffer 1
		.amdhsa_user_sgpr_dispatch_ptr 0
		.amdhsa_user_sgpr_queue_ptr 0
		.amdhsa_user_sgpr_kernarg_segment_ptr 1
		.amdhsa_user_sgpr_dispatch_id 0
		.amdhsa_user_sgpr_flat_scratch_init 0
		.amdhsa_user_sgpr_private_segment_size 0
		.amdhsa_wavefront_size32 1
		.amdhsa_uses_dynamic_stack 0
		.amdhsa_system_sgpr_private_segment_wavefront_offset 1
		.amdhsa_system_sgpr_workgroup_id_x 1
		.amdhsa_system_sgpr_workgroup_id_y 1
		.amdhsa_system_sgpr_workgroup_id_z 1
		.amdhsa_system_sgpr_workgroup_info 0
		.amdhsa_system_vgpr_workitem_id 0
		.amdhsa_next_free_vgpr 128
		.amdhsa_next_free_sgpr 52
		.amdhsa_reserve_vcc 1
		.amdhsa_reserve_flat_scratch 0
		.amdhsa_float_round_mode_32 0
		.amdhsa_float_round_mode_16_64 0
		.amdhsa_float_denorm_mode_32 3
		.amdhsa_float_denorm_mode_16_64 3
		.amdhsa_dx10_clamp 1
		.amdhsa_ieee_mode 1
		.amdhsa_fp16_overflow 0
		.amdhsa_workgroup_processor_mode 1
		.amdhsa_memory_ordered 1
		.amdhsa_forward_progress 1
		.amdhsa_shared_vgpr_count 0
		.amdhsa_exception_fp_ieee_invalid_op 0
		.amdhsa_exception_fp_denorm_src 0
		.amdhsa_exception_fp_ieee_div_zero 0
		.amdhsa_exception_fp_ieee_overflow 0
		.amdhsa_exception_fp_ieee_underflow 0
		.amdhsa_exception_fp_ieee_inexact 0
		.amdhsa_exception_int_div_zero 0
	.end_amdhsa_kernel
	.section	.text._ZN4vllm25paged_attention_v2_kernelI14__hip_bfloat16S1_Li256ELi32ELi128ELNS_18Fp8KVCacheDataTypeE0ELb1ELi512EEEvPfS3_PT_PKS4_PKT0_SA_ifPKiSC_iPKfiiiSE_SE_iiiii,"axG",@progbits,_ZN4vllm25paged_attention_v2_kernelI14__hip_bfloat16S1_Li256ELi32ELi128ELNS_18Fp8KVCacheDataTypeE0ELb1ELi512EEEvPfS3_PT_PKS4_PKT0_SA_ifPKiSC_iPKfiiiSE_SE_iiiii,comdat
.Lfunc_end179:
	.size	_ZN4vllm25paged_attention_v2_kernelI14__hip_bfloat16S1_Li256ELi32ELi128ELNS_18Fp8KVCacheDataTypeE0ELb1ELi512EEEvPfS3_PT_PKS4_PKT0_SA_ifPKiSC_iPKfiiiSE_SE_iiiii, .Lfunc_end179-_ZN4vllm25paged_attention_v2_kernelI14__hip_bfloat16S1_Li256ELi32ELi128ELNS_18Fp8KVCacheDataTypeE0ELb1ELi512EEEvPfS3_PT_PKS4_PKT0_SA_ifPKiSC_iPKfiiiSE_SE_iiiii
                                        ; -- End function
	.set _ZN4vllm25paged_attention_v2_kernelI14__hip_bfloat16S1_Li256ELi32ELi128ELNS_18Fp8KVCacheDataTypeE0ELb1ELi512EEEvPfS3_PT_PKS4_PKT0_SA_ifPKiSC_iPKfiiiSE_SE_iiiii.num_vgpr, 128
	.set _ZN4vllm25paged_attention_v2_kernelI14__hip_bfloat16S1_Li256ELi32ELi128ELNS_18Fp8KVCacheDataTypeE0ELb1ELi512EEEvPfS3_PT_PKS4_PKT0_SA_ifPKiSC_iPKfiiiSE_SE_iiiii.num_agpr, 0
	.set _ZN4vllm25paged_attention_v2_kernelI14__hip_bfloat16S1_Li256ELi32ELi128ELNS_18Fp8KVCacheDataTypeE0ELb1ELi512EEEvPfS3_PT_PKS4_PKT0_SA_ifPKiSC_iPKfiiiSE_SE_iiiii.numbered_sgpr, 52
	.set _ZN4vllm25paged_attention_v2_kernelI14__hip_bfloat16S1_Li256ELi32ELi128ELNS_18Fp8KVCacheDataTypeE0ELb1ELi512EEEvPfS3_PT_PKS4_PKT0_SA_ifPKiSC_iPKfiiiSE_SE_iiiii.num_named_barrier, 0
	.set _ZN4vllm25paged_attention_v2_kernelI14__hip_bfloat16S1_Li256ELi32ELi128ELNS_18Fp8KVCacheDataTypeE0ELb1ELi512EEEvPfS3_PT_PKS4_PKT0_SA_ifPKiSC_iPKfiiiSE_SE_iiiii.private_seg_size, 912
	.set _ZN4vllm25paged_attention_v2_kernelI14__hip_bfloat16S1_Li256ELi32ELi128ELNS_18Fp8KVCacheDataTypeE0ELb1ELi512EEEvPfS3_PT_PKS4_PKT0_SA_ifPKiSC_iPKfiiiSE_SE_iiiii.uses_vcc, 1
	.set _ZN4vllm25paged_attention_v2_kernelI14__hip_bfloat16S1_Li256ELi32ELi128ELNS_18Fp8KVCacheDataTypeE0ELb1ELi512EEEvPfS3_PT_PKS4_PKT0_SA_ifPKiSC_iPKfiiiSE_SE_iiiii.uses_flat_scratch, 0
	.set _ZN4vllm25paged_attention_v2_kernelI14__hip_bfloat16S1_Li256ELi32ELi128ELNS_18Fp8KVCacheDataTypeE0ELb1ELi512EEEvPfS3_PT_PKS4_PKT0_SA_ifPKiSC_iPKfiiiSE_SE_iiiii.has_dyn_sized_stack, 0
	.set _ZN4vllm25paged_attention_v2_kernelI14__hip_bfloat16S1_Li256ELi32ELi128ELNS_18Fp8KVCacheDataTypeE0ELb1ELi512EEEvPfS3_PT_PKS4_PKT0_SA_ifPKiSC_iPKfiiiSE_SE_iiiii.has_recursion, 0
	.set _ZN4vllm25paged_attention_v2_kernelI14__hip_bfloat16S1_Li256ELi32ELi128ELNS_18Fp8KVCacheDataTypeE0ELb1ELi512EEEvPfS3_PT_PKS4_PKT0_SA_ifPKiSC_iPKfiiiSE_SE_iiiii.has_indirect_call, 0
	.section	.AMDGPU.csdata,"",@progbits
; Kernel info:
; codeLenInByte = 42472
; TotalNumSgprs: 54
; NumVgprs: 128
; ScratchSize: 912
; MemoryBound: 0
; FloatMode: 240
; IeeeMode: 1
; LDSByteSize: 544 bytes/workgroup (compile time only)
; SGPRBlocks: 0
; VGPRBlocks: 15
; NumSGPRsForWavesPerEU: 54
; NumVGPRsForWavesPerEU: 128
; Occupancy: 8
; WaveLimiterHint : 1
; COMPUTE_PGM_RSRC2:SCRATCH_EN: 1
; COMPUTE_PGM_RSRC2:USER_SGPR: 6
; COMPUTE_PGM_RSRC2:TRAP_HANDLER: 0
; COMPUTE_PGM_RSRC2:TGID_X_EN: 1
; COMPUTE_PGM_RSRC2:TGID_Y_EN: 1
; COMPUTE_PGM_RSRC2:TGID_Z_EN: 1
; COMPUTE_PGM_RSRC2:TIDIG_COMP_CNT: 0
	.section	.text._ZN4vllm25paged_attention_v2_kernelI14__hip_bfloat16S1_Li32ELi32ELi128ELNS_18Fp8KVCacheDataTypeE0ELb0ELi512EEEvPfS3_PT_PKS4_PKT0_SA_ifPKiSC_iPKfiiiSE_SE_iiiii,"axG",@progbits,_ZN4vllm25paged_attention_v2_kernelI14__hip_bfloat16S1_Li32ELi32ELi128ELNS_18Fp8KVCacheDataTypeE0ELb0ELi512EEEvPfS3_PT_PKS4_PKT0_SA_ifPKiSC_iPKfiiiSE_SE_iiiii,comdat
	.protected	_ZN4vllm25paged_attention_v2_kernelI14__hip_bfloat16S1_Li32ELi32ELi128ELNS_18Fp8KVCacheDataTypeE0ELb0ELi512EEEvPfS3_PT_PKS4_PKT0_SA_ifPKiSC_iPKfiiiSE_SE_iiiii ; -- Begin function _ZN4vllm25paged_attention_v2_kernelI14__hip_bfloat16S1_Li32ELi32ELi128ELNS_18Fp8KVCacheDataTypeE0ELb0ELi512EEEvPfS3_PT_PKS4_PKT0_SA_ifPKiSC_iPKfiiiSE_SE_iiiii
	.globl	_ZN4vllm25paged_attention_v2_kernelI14__hip_bfloat16S1_Li32ELi32ELi128ELNS_18Fp8KVCacheDataTypeE0ELb0ELi512EEEvPfS3_PT_PKS4_PKT0_SA_ifPKiSC_iPKfiiiSE_SE_iiiii
	.p2align	8
	.type	_ZN4vllm25paged_attention_v2_kernelI14__hip_bfloat16S1_Li32ELi32ELi128ELNS_18Fp8KVCacheDataTypeE0ELb0ELi512EEEvPfS3_PT_PKS4_PKT0_SA_ifPKiSC_iPKfiiiSE_SE_iiiii,@function
_ZN4vllm25paged_attention_v2_kernelI14__hip_bfloat16S1_Li32ELi32ELi128ELNS_18Fp8KVCacheDataTypeE0ELb0ELi512EEEvPfS3_PT_PKS4_PKT0_SA_ifPKiSC_iPKfiiiSE_SE_iiiii: ; @_ZN4vllm25paged_attention_v2_kernelI14__hip_bfloat16S1_Li32ELi32ELi128ELNS_18Fp8KVCacheDataTypeE0ELb0ELi512EEEvPfS3_PT_PKS4_PKT0_SA_ifPKiSC_iPKfiiiSE_SE_iiiii
; %bb.0:
	s_load_dwordx2 s[0:1], s[4:5], 0x40
	s_mov_b32 s24, s7
	s_ashr_i32 s25, s7, 31
	s_lshl_b64 s[2:3], s[24:25], 2
	s_waitcnt lgkmcnt(0)
	s_add_u32 s0, s0, s2
	s_addc_u32 s1, s1, s3
	s_lshl_b32 s30, s8, 9
	s_load_dword s25, s[0:1], 0x0
	s_waitcnt lgkmcnt(0)
	s_cmp_ge_i32 s30, s25
	s_cbranch_scc1 .LBB180_58
; %bb.1:
	s_clause 0x1
	s_load_dword s9, s[4:5], 0x90
	s_load_dwordx2 s[2:3], s[4:5], 0x30
	s_mov_b32 s33, 0
	s_waitcnt lgkmcnt(0)
	s_abs_i32 s10, s9
	s_abs_i32 s0, s2
	s_xor_b32 s2, s9, s2
	v_cvt_f32_u32_e32 v1, s0
	s_sub_i32 s7, 0, s0
	s_ashr_i32 s2, s2, 31
	v_rcp_iflag_f32_e32 v1, v1
	v_mul_f32_e32 v1, 0x4f7ffffe, v1
	v_cvt_u32_f32_e32 v1, v1
	v_readfirstlane_b32 s1, v1
	s_mul_i32 s7, s7, s1
	s_mul_hi_u32 s7, s1, s7
	s_add_i32 s1, s1, s7
	s_mul_hi_u32 s1, s10, s1
	s_mul_i32 s7, s1, s0
	s_sub_i32 s7, s10, s7
	s_add_i32 s10, s1, 1
	s_sub_i32 s11, s7, s0
	s_cmp_ge_u32 s7, s0
	s_cselect_b32 s1, s10, s1
	s_cselect_b32 s7, s11, s7
	s_add_i32 s10, s1, 1
	s_cmp_ge_u32 s7, s0
	s_cselect_b32 s0, s10, s1
	s_abs_i32 s29, s6
	s_xor_b32 s0, s0, s2
	s_sub_i32 s10, s0, s2
	s_load_dwordx2 s[0:1], s[4:5], 0x50
	s_abs_i32 s2, s10
	v_cvt_f32_u32_e32 v1, s2
	s_sub_i32 s11, 0, s2
	v_rcp_iflag_f32_e32 v1, v1
	v_mul_f32_e32 v1, 0x4f7ffffe, v1
	v_cvt_u32_f32_e32 v1, v1
	v_readfirstlane_b32 s7, v1
	s_mul_i32 s11, s11, s7
	s_mul_hi_u32 s11, s7, s11
	s_add_i32 s7, s7, s11
	s_waitcnt lgkmcnt(0)
	s_cmp_eq_u64 s[0:1], 0
	s_mul_hi_u32 s28, s29, s7
	s_cbranch_scc1 .LBB180_3
; %bb.2:
	s_ashr_i32 s7, s6, 31
	s_lshl_b64 s[12:13], s[6:7], 2
	s_add_u32 s0, s0, s12
	s_addc_u32 s1, s1, s13
	s_load_dword s33, s[0:1], 0x0
.LBB180_3:
	s_clause 0x1
	s_load_dwordx2 s[22:23], s[4:5], 0x38
	s_load_dwordx4 s[12:15], s[4:5], 0x58
	v_lshlrev_b32_e32 v3, 4, v0
	s_ashr_i32 s0, s6, 31
	s_ashr_i32 s1, s10, 31
	s_lshl_b32 s10, s6, 5
	s_mov_b32 s7, exec_lo
	v_cmpx_gt_u32_e32 4, v0
	s_cbranch_execz .LBB180_5
; %bb.4:
	s_load_dwordx2 s[16:17], s[4:5], 0x18
	s_waitcnt lgkmcnt(0)
	s_mul_i32 s18, s12, s24
	s_ashr_i32 s19, s18, 31
	s_lshl_b64 s[18:19], s[18:19], 1
	s_add_u32 s12, s16, s18
	s_addc_u32 s15, s17, s19
	s_ashr_i32 s11, s10, 31
	s_lshl_b64 s[16:17], s[10:11], 1
	s_add_u32 s16, s12, s16
	s_addc_u32 s17, s15, s17
	global_load_dwordx4 v[4:7], v3, s[16:17]
	s_waitcnt vmcnt(0)
	ds_write_b128 v3, v[4:7]
.LBB180_5:
	s_or_b32 exec_lo, exec_lo, s7
	s_add_i32 s7, s25, 31
	s_clause 0x1
	s_load_dwordx4 s[16:19], s[4:5], 0x0
	s_load_dwordx2 s[20:21], s[4:5], 0x10
	s_ashr_i32 s11, s7, 31
	s_lshl_b32 s31, s8, 4
	s_lshr_b32 s11, s11, 27
	s_mul_i32 s34, s28, s2
	s_add_i32 s7, s7, s11
	s_add_i32 s11, s31, 16
	s_waitcnt lgkmcnt(0)
	s_ashr_i32 s12, s7, 5
	s_clause 0x2
	s_load_dwordx2 s[26:27], s[4:5], 0x28
	s_load_dword s7, s[4:5], 0x98
	s_load_dword s15, s[4:5], 0x48
	s_xor_b32 s0, s0, s1
	s_sub_i32 s1, s29, s34
	s_min_i32 s11, s11, s12
	s_add_i32 s29, s28, 1
	s_sub_i32 s34, s1, s2
	s_cmp_ge_u32 s1, s2
	v_lshrrev_b32_e32 v28, 5, v0
	s_cselect_b32 s28, s29, s28
	s_cselect_b32 s1, s34, s1
	s_add_i32 s29, s28, 1
	s_cmp_ge_u32 s1, s2
	v_add_nc_u32_e32 v25, s31, v28
	v_and_b32_e32 v29, 31, v0
	s_cselect_b32 s1, s29, s28
	v_mov_b32_e32 v30, 0xff7fffff
	s_xor_b32 s1, s1, s0
	v_ashrrev_i32_e32 v26, 31, v25
	s_sub_i32 s1, s1, s0
	v_cmp_gt_i32_e64 s0, s11, v25
	v_lshlrev_b32_e32 v4, 5, v28
	v_lshlrev_b32_e32 v5, 2, v29
	s_waitcnt lgkmcnt(0)
	s_mul_i32 s28, s15, s24
	s_mul_i32 s14, s1, s14
	s_ashr_i32 s29, s28, 31
	s_barrier
	buffer_gl0_inv
	s_and_saveexec_b32 s34, s0
	s_cbranch_execz .LBB180_9
; %bb.6:
	s_load_dwordx2 s[4:5], s[4:5], 0x20
	v_mov_b32_e32 v1, 0
	s_ashr_i32 s15, s14, 31
	v_lshlrev_b32_e32 v2, 4, v29
	s_lshl_b64 s[36:37], s[14:15], 1
	ds_read_b128 v[30:33], v1
	ds_read_b128 v[34:37], v1 offset:16
	ds_read_b128 v[38:41], v1 offset:32
	;; [unrolled: 1-line block ×3, first 2 shown]
	v_cmp_neq_f32_e64 vcc_lo, s33, 0
	v_mov_b32_e32 v47, v25
	s_mov_b32 s15, s13
	s_waitcnt lgkmcnt(0)
	s_add_u32 s1, s4, s36
	s_addc_u32 s2, s5, s37
	v_add_co_u32 v6, s1, s1, v2
	v_lshlrev_b64 v[1:2], 2, v[25:26]
	s_lshl_b64 s[36:37], s[28:29], 2
	v_and_b32_e32 v8, 0xffff0000, v30
	v_lshlrev_b32_e32 v9, 16, v30
	v_lshl_or_b32 v30, v28, 7, v5
	s_sub_i32 s4, 1, s25
	v_add_co_ci_u32_e64 v7, null, s2, 0, s1
	s_add_u32 s1, s22, s36
	s_addc_u32 s2, s23, s37
	v_add_co_u32 v1, s1, s1, v1
	v_and_b32_e32 v10, 0xffff0000, v34
	v_lshlrev_b32_e32 v11, 16, v34
	v_and_b32_e32 v12, 0xffff0000, v38
	v_lshlrev_b32_e32 v13, 16, v38
	;; [unrolled: 2-line block ×15, first 2 shown]
	v_add3_u32 v45, s30, v4, v29
	v_add_nc_u32_e32 v46, 0x60, v30
	v_add_co_ci_u32_e64 v2, null, s2, v2, s1
	v_mov_b32_e32 v30, 0xff7fffff
	s_mov_b32 s5, 0
.LBB180_7:                              ; =>This Inner Loop Header: Depth=1
	global_load_dword v48, v[1:2], off
	v_add_nc_u32_e32 v64, s4, v45
	v_max_f32_e32 v65, v30, v30
	v_add_nc_u32_e32 v47, 4, v47
	v_cvt_f32_i32_e32 v64, v64
	v_cmp_le_i32_e64 s2, s11, v47
	s_or_b32 s5, s2, s5
	s_waitcnt vmcnt(0)
	v_mad_i64_i32 v[48:49], null, v48, s15, 0
	v_lshlrev_b64 v[48:49], 1, v[48:49]
	v_add_co_u32 v60, s1, v6, v48
	v_add_co_ci_u32_e64 v61, null, v7, v49, s1
	v_add_co_u32 v1, s1, v1, 16
	v_add_co_ci_u32_e64 v2, null, 0, v2, s1
	s_clause 0x3
	global_load_dwordx4 v[48:51], v[60:61], off
	global_load_dwordx4 v[52:55], v[60:61], off offset:512
	global_load_dwordx4 v[56:59], v[60:61], off offset:1024
	;; [unrolled: 1-line block ×3, first 2 shown]
	v_cmp_gt_i32_e64 s1, s25, v45
	v_add_nc_u32_e32 v45, 0x80, v45
	s_waitcnt vmcnt(3)
	v_lshlrev_b32_e32 v66, 16, v48
	s_waitcnt vmcnt(2)
	v_and_b32_e32 v67, 0xffff0000, v52
	v_lshlrev_b32_e32 v52, 16, v52
	v_and_b32_e32 v48, 0xffff0000, v48
	v_and_b32_e32 v69, 0xffff0000, v53
	v_lshlrev_b32_e32 v53, 16, v53
	v_mul_f32_e32 v67, v10, v67
	v_mul_f32_e32 v52, v11, v52
	v_lshlrev_b32_e32 v68, 16, v49
	s_waitcnt vmcnt(1)
	v_and_b32_e32 v74, 0xffff0000, v56
	v_lshlrev_b32_e32 v56, 16, v56
	v_mul_f32_e32 v53, v17, v53
	v_fmac_f32_e32 v67, v8, v48
	v_fmac_f32_e32 v52, v9, v66
	v_and_b32_e32 v49, 0xffff0000, v49
	v_and_b32_e32 v72, 0xffff0000, v54
	v_lshlrev_b32_e32 v54, 16, v54
	v_and_b32_e32 v75, 0xffff0000, v57
	v_lshlrev_b32_e32 v57, 16, v57
	s_waitcnt vmcnt(0)
	v_lshlrev_b32_e32 v78, 16, v60
	v_and_b32_e32 v60, 0xffff0000, v60
	v_mul_f32_e32 v69, v16, v69
	v_fmac_f32_e32 v53, v15, v68
	v_fmac_f32_e32 v67, v12, v74
	;; [unrolled: 1-line block ×3, first 2 shown]
	v_lshlrev_b32_e32 v70, 16, v50
	v_lshlrev_b32_e32 v79, 16, v61
	v_mul_f32_e32 v54, v23, v54
	v_fmac_f32_e32 v69, v14, v49
	v_fmac_f32_e32 v53, v19, v57
	;; [unrolled: 1-line block ×4, first 2 shown]
	v_and_b32_e32 v50, 0xffff0000, v50
	v_and_b32_e32 v73, 0xffff0000, v55
	v_lshlrev_b32_e32 v55, 16, v55
	v_and_b32_e32 v76, 0xffff0000, v58
	v_lshlrev_b32_e32 v58, 16, v58
	v_and_b32_e32 v61, 0xffff0000, v61
	v_mul_f32_e32 v72, v22, v72
	v_fmac_f32_e32 v54, v21, v70
	v_fmac_f32_e32 v69, v18, v75
	v_fmac_f32_e32 v53, v40, v79
	v_add_f32_e32 v48, v52, v67
	v_lshlrev_b32_e32 v71, 16, v51
	v_lshlrev_b32_e32 v80, 16, v62
	v_mul_f32_e32 v55, v34, v55
	v_fmac_f32_e32 v72, v20, v50
	v_fmac_f32_e32 v54, v27, v58
	;; [unrolled: 1-line block ×3, first 2 shown]
	v_add_f32_e32 v48, v48, v53
	v_and_b32_e32 v51, 0xffff0000, v51
	v_and_b32_e32 v77, 0xffff0000, v59
	v_lshlrev_b32_e32 v59, 16, v59
	v_and_b32_e32 v62, 0xffff0000, v62
	v_mul_f32_e32 v73, v33, v73
	v_fmac_f32_e32 v55, v32, v71
	v_fmac_f32_e32 v72, v24, v76
	;; [unrolled: 1-line block ×3, first 2 shown]
	v_add_f32_e32 v48, v69, v48
	v_lshlrev_b32_e32 v81, 16, v63
	v_fmac_f32_e32 v73, v31, v51
	v_fmac_f32_e32 v55, v36, v59
	;; [unrolled: 1-line block ×3, first 2 shown]
	v_add_f32_e32 v48, v54, v48
	v_and_b32_e32 v63, 0xffff0000, v63
	v_fmac_f32_e32 v73, v35, v77
	v_fmac_f32_e32 v55, v44, v81
	v_mul_f32_e32 v49, s33, v64
	v_add_f32_e32 v48, v72, v48
	v_fmac_f32_e32 v73, v43, v63
	v_cndmask_b32_e32 v49, 0, v49, vcc_lo
	v_add_f32_e32 v48, v55, v48
	v_add_f32_e32 v48, v73, v48
	v_fmac_f32_e32 v49, s3, v48
	v_max_f32_e32 v48, v65, v49
	v_cndmask_b32_e64 v49, 0, v49, s1
	v_cndmask_b32_e64 v30, v30, v48, s1
	ds_write_b32 v46, v49
	v_add_nc_u32_e32 v46, 0x200, v46
	s_andn2_b32 exec_lo, exec_lo, s5
	s_cbranch_execnz .LBB180_7
; %bb.8:
	s_or_b32 exec_lo, exec_lo, s5
.LBB180_9:
	s_or_b32 exec_lo, exec_lo, s34
	v_mbcnt_lo_u32_b32 v1, -1, 0
	v_max_f32_e32 v8, v30, v30
	v_xor_b32_e32 v2, 16, v1
	v_xor_b32_e32 v7, 8, v1
	v_cmp_gt_i32_e32 vcc_lo, 32, v2
	v_cndmask_b32_e32 v2, v1, v2, vcc_lo
	v_cmp_gt_i32_e32 vcc_lo, 32, v7
	v_lshlrev_b32_e32 v2, 2, v2
	v_cndmask_b32_e32 v7, v1, v7, vcc_lo
	ds_bpermute_b32 v6, v2, v30
	s_waitcnt lgkmcnt(0)
	v_max_f32_e32 v9, v6, v6
	v_lshlrev_b32_e32 v6, 2, v7
	v_max_f32_e32 v7, v8, v9
	v_xor_b32_e32 v9, 4, v1
	ds_bpermute_b32 v8, v6, v7
	v_cmp_gt_i32_e32 vcc_lo, 32, v9
	v_cndmask_b32_e32 v9, v1, v9, vcc_lo
	s_waitcnt lgkmcnt(0)
	v_max_f32_e32 v10, v8, v8
	v_lshlrev_b32_e32 v8, 2, v9
	v_max_f32_e32 v7, v7, v10
	v_xor_b32_e32 v10, 2, v1
	ds_bpermute_b32 v9, v8, v7
	v_cmp_gt_i32_e32 vcc_lo, 32, v10
	v_cndmask_b32_e32 v10, v1, v10, vcc_lo
	v_lshlrev_b32_e32 v30, 2, v10
	v_xor_b32_e32 v10, 1, v1
	v_cmp_gt_i32_e32 vcc_lo, 32, v10
	s_waitcnt lgkmcnt(0)
	v_max_f32_e32 v9, v9, v9
	v_cndmask_b32_e32 v10, v1, v10, vcc_lo
	v_cmp_eq_u32_e32 vcc_lo, 0, v29
	v_max_f32_e32 v7, v7, v9
	v_lshlrev_b32_e32 v31, 2, v10
	ds_bpermute_b32 v9, v30, v7
	s_waitcnt lgkmcnt(0)
	v_max_f32_e32 v9, v9, v9
	v_max_f32_e32 v1, v7, v9
	v_lshlrev_b32_e32 v9, 2, v28
	ds_bpermute_b32 v7, v31, v1
	s_and_saveexec_b32 s1, vcc_lo
	s_cbranch_execz .LBB180_11
; %bb.10:
	s_waitcnt lgkmcnt(0)
	v_max_f32_e32 v7, v7, v7
	v_max_f32_e32 v1, v1, v1
	;; [unrolled: 1-line block ×3, first 2 shown]
	ds_write_b32 v9, v1 offset:64
.LBB180_11:
	s_or_b32 exec_lo, exec_lo, s1
	v_cmp_gt_u32_e64 s1, 4, v29
	v_mov_b32_e32 v1, 0xff7fffff
	s_waitcnt lgkmcnt(0)
	s_barrier
	buffer_gl0_inv
	s_and_saveexec_b32 s2, s1
; %bb.12:
	ds_read_b32 v1, v5 offset:64
; %bb.13:
	s_or_b32 exec_lo, exec_lo, s2
	s_waitcnt lgkmcnt(0)
	ds_bpermute_b32 v7, v30, v1
	v_max_f32_e32 v1, v1, v1
	v_mov_b32_e32 v10, 0
	s_sub_i32 s2, s11, s31
	s_lshl_b32 s2, s2, 5
	s_add_i32 s2, s2, s30
	s_min_i32 s2, s2, s25
	s_sub_i32 s4, s2, s30
	v_cmp_gt_i32_e64 s2, s4, v0
	s_waitcnt lgkmcnt(0)
	v_max_f32_e32 v7, v7, v7
	v_max_f32_e32 v1, v1, v7
	ds_bpermute_b32 v7, v31, v1
	s_waitcnt lgkmcnt(0)
	v_max_f32_e32 v7, v7, v7
	v_max_f32_e32 v1, v1, v7
	v_lshl_add_u32 v7, v0, 2, 0x60
	ds_bpermute_b32 v1, v10, v1
	s_and_saveexec_b32 s5, s2
	s_cbranch_execz .LBB180_17
; %bb.14:
	v_lshl_add_u32 v11, v0, 2, 0x60
	v_mov_b32_e32 v10, 0
	v_mov_b32_e32 v12, v0
	s_mov_b32 s15, 0
	.p2align	6
.LBB180_15:                             ; =>This Inner Loop Header: Depth=1
	ds_read_b32 v13, v11
	v_add_nc_u32_e32 v12, 0x80, v12
	v_cmp_le_i32_e64 s3, s4, v12
	s_or_b32 s15, s3, s15
	s_waitcnt lgkmcnt(0)
	v_sub_f32_e32 v13, v13, v1
	v_mul_f32_e32 v13, 0x3fb8aa3b, v13
	v_exp_f32_e32 v13, v13
	ds_write_b32 v11, v13
	v_add_f32_e32 v10, v10, v13
	v_add_nc_u32_e32 v11, 0x200, v11
	s_andn2_b32 exec_lo, exec_lo, s15
	s_cbranch_execnz .LBB180_15
; %bb.16:
	s_or_b32 exec_lo, exec_lo, s15
.LBB180_17:
	s_or_b32 exec_lo, exec_lo, s5
	ds_bpermute_b32 v2, v2, v10
	s_waitcnt lgkmcnt(0)
	v_add_f32_e32 v2, v10, v2
	ds_bpermute_b32 v6, v6, v2
	s_waitcnt lgkmcnt(0)
	v_add_f32_e32 v2, v2, v6
	;; [unrolled: 3-line block ×5, first 2 shown]
	s_and_saveexec_b32 s3, vcc_lo
; %bb.18:
	ds_write_b32 v9, v2 offset:80
; %bb.19:
	s_or_b32 exec_lo, exec_lo, s3
	s_waitcnt lgkmcnt(0)
	s_barrier
	buffer_gl0_inv
	s_and_saveexec_b32 s3, s1
; %bb.20:
	ds_read_b32 v2, v5 offset:80
; %bb.21:
	s_or_b32 exec_lo, exec_lo, s3
	s_waitcnt lgkmcnt(0)
	ds_bpermute_b32 v5, v30, v2
	s_waitcnt lgkmcnt(0)
	v_add_f32_e32 v2, v2, v5
	ds_bpermute_b32 v5, v31, v2
	s_waitcnt lgkmcnt(0)
	v_add_f32_e32 v2, v2, v5
	v_mov_b32_e32 v5, 0
	ds_bpermute_b32 v2, v5, v2
	s_and_saveexec_b32 s1, s2
	s_cbranch_execz .LBB180_24
; %bb.22:
	s_waitcnt lgkmcnt(0)
	v_add_f32_e32 v5, 0x358637bd, v2
	s_mov_b32 s2, 0
	v_div_scale_f32 v6, null, v5, v5, 1.0
	v_div_scale_f32 v10, vcc_lo, 1.0, v5, 1.0
	v_rcp_f32_e32 v8, v6
	v_fma_f32 v9, -v6, v8, 1.0
	v_fmac_f32_e32 v8, v9, v8
	v_mul_f32_e32 v9, v10, v8
	v_fma_f32 v11, -v6, v9, v10
	v_fmac_f32_e32 v9, v11, v8
	v_fma_f32 v6, -v6, v9, v10
	v_div_fmas_f32 v6, v6, v8, v9
	v_div_fixup_f32 v5, v6, v5, 1.0
	v_mov_b32_e32 v6, v0
.LBB180_23:                             ; =>This Inner Loop Header: Depth=1
	ds_read_b32 v8, v7
	v_add_nc_u32_e32 v6, 0x80, v6
	v_cmp_le_i32_e32 vcc_lo, s4, v6
	s_or_b32 s2, vcc_lo, s2
	s_waitcnt lgkmcnt(0)
	v_mul_f32_e32 v8, v5, v8
	ds_write_b32 v7, v8
	v_add_nc_u32_e32 v7, 0x200, v7
	s_andn2_b32 exec_lo, exec_lo, s2
	s_cbranch_execnz .LBB180_23
.LBB180_24:
	s_or_b32 exec_lo, exec_lo, s1
	s_mul_i32 s1, s7, s24
	s_waitcnt lgkmcnt(0)
	s_mul_i32 s4, s1, s9
	s_mov_b32 s1, exec_lo
	s_barrier
	buffer_gl0_inv
	v_cmpx_eq_u32_e32 0, v0
	s_cbranch_execz .LBB180_26
; %bb.25:
	s_ashr_i32 s5, s4, 31
	s_mul_i32 s34, s7, s6
	s_lshl_b64 s[2:3], s[4:5], 2
	v_mov_b32_e32 v5, 0
	s_add_u32 s5, s18, s2
	s_addc_u32 s6, s19, s3
	s_ashr_i32 s35, s34, 31
	s_lshl_b64 s[18:19], s[34:35], 2
	s_add_u32 s5, s5, s18
	s_addc_u32 s6, s6, s19
	s_ashr_i32 s9, s8, 31
	s_lshl_b64 s[34:35], s[8:9], 2
	s_add_u32 s36, s5, s34
	s_addc_u32 s37, s6, s35
	s_add_u32 s2, s16, s2
	s_addc_u32 s3, s17, s3
	;; [unrolled: 2-line block ×4, first 2 shown]
	global_store_dword v5, v1, s[36:37]
	global_store_dword v5, v2, s[2:3]
.LBB180_26:
	s_or_b32 exec_lo, exec_lo, s1
	v_mov_b32_e32 v34, 0
	v_and_b32_e32 v32, 3, v0
	v_mov_b32_e32 v36, 0
	v_mov_b32_e32 v35, 0
	;; [unrolled: 1-line block ×3, first 2 shown]
	s_and_saveexec_b32 s3, s0
	s_cbranch_execz .LBB180_38
; %bb.27:
	v_lshlrev_b32_e32 v1, 3, v0
	s_ashr_i32 s15, s14, 31
	v_lshlrev_b32_e32 v2, 5, v32
	v_and_b32_e32 v3, 0x1f0, v3
	s_lshl_b64 s[0:1], s[14:15], 1
	v_and_b32_e32 v1, 24, v1
	s_add_u32 s0, s26, s0
	s_addc_u32 s1, s27, s1
	v_lshl_or_b32 v5, v28, 7, v2
	v_add_co_u32 v38, s0, s0, v3
	v_add3_u32 v40, s30, v4, v1
	v_lshlrev_b64 v[1:2], 2, v[25:26]
	v_add_co_ci_u32_e64 v39, null, s1, 0, s0
	s_lshl_b64 s[0:1], s[28:29], 2
	s_add_i32 s5, s12, -1
	s_add_u32 s0, s22, s0
	s_addc_u32 s1, s23, s1
	v_add_co_u32 v26, vcc_lo, s0, v1
	v_mov_b32_e32 v37, 0
	v_add_nc_u32_e32 v41, 0x60, v5
	v_add_co_ci_u32_e64 v27, null, s1, v2, vcc_lo
	v_mov_b32_e32 v33, 0
	v_mov_b32_e32 v35, 0
	;; [unrolled: 1-line block ×4, first 2 shown]
	s_mov_b32 s6, s13
	s_mov_b32 s12, s25
	;; [unrolled: 1-line block ×3, first 2 shown]
	s_branch .LBB180_29
.LBB180_28:                             ;   in Loop: Header=BB180_29 Depth=1
	s_or_b32 exec_lo, exec_lo, s2
	s_waitcnt lgkmcnt(1)
	v_bfe_u32 v42, v17, 16, 1
	v_bfe_u32 v43, v18, 16, 1
	v_or_b32_e32 v44, 0x400000, v17
	v_cmp_u_f32_e32 vcc_lo, v17, v17
	v_or_b32_e32 v45, 0x400000, v18
	v_add3_u32 v42, v42, v17, 0x7fff
	v_bfe_u32 v46, v19, 16, 1
	v_add3_u32 v43, v43, v18, 0x7fff
	v_bfe_u32 v47, v20, 16, 1
	s_waitcnt vmcnt(1)
	v_and_b32_e32 v49, 0xffff0000, v24
	v_cndmask_b32_e32 v17, v42, v44, vcc_lo
	v_cmp_u_f32_e32 vcc_lo, v18, v18
	v_add3_u32 v42, v46, v19, 0x7fff
	v_add3_u32 v44, v47, v20, 0x7fff
	s_waitcnt lgkmcnt(0)
	v_bfe_u32 v46, v13, 16, 1
	v_and_b32_e32 v17, 0xffff0000, v17
	v_cndmask_b32_e32 v18, v43, v45, vcc_lo
	v_or_b32_e32 v43, 0x400000, v19
	v_cmp_u_f32_e32 vcc_lo, v19, v19
	v_or_b32_e32 v45, 0x400000, v20
	v_lshlrev_b32_e32 v24, 16, v24
	v_add_nc_u32_e32 v25, 4, v25
	v_add_co_u32 v26, s0, v26, 16
	v_cndmask_b32_e32 v19, v42, v43, vcc_lo
	v_cmp_u_f32_e32 vcc_lo, v20, v20
	v_bfe_u32 v42, v14, 16, 1
	v_add3_u32 v43, v46, v13, 0x7fff
	v_bfe_u32 v46, v15, 16, 1
	v_add_nc_u32_e32 v40, 0x80, v40
	v_cndmask_b32_e32 v20, v44, v45, vcc_lo
	v_or_b32_e32 v44, 0x400000, v13
	v_cmp_u_f32_e32 vcc_lo, v13, v13
	v_add3_u32 v42, v42, v14, 0x7fff
	v_or_b32_e32 v45, 0x400000, v14
	v_and_b32_e32 v13, 0xffff0000, v18
	v_and_b32_e32 v18, 0xffff0000, v21
	v_cndmask_b32_e32 v43, v43, v44, vcc_lo
	v_cmp_u_f32_e32 vcc_lo, v14, v14
	v_add3_u32 v14, v46, v15, 0x7fff
	v_bfe_u32 v44, v16, 16, 1
	v_lshlrev_b32_e32 v21, 16, v21
	v_mul_f32_e32 v18, v13, v18
	v_cndmask_b32_e32 v42, v42, v45, vcc_lo
	v_or_b32_e32 v45, 0x400000, v15
	v_cmp_u_f32_e32 vcc_lo, v15, v15
	v_add3_u32 v44, v44, v16, 0x7fff
	v_or_b32_e32 v46, 0x400000, v16
	v_mul_f32_e32 v21, v17, v21
	v_bfe_u32 v15, v18, 16, 1
	v_cndmask_b32_e32 v45, v14, v45, vcc_lo
	v_cmp_u_f32_e32 vcc_lo, v16, v16
	v_and_b32_e32 v14, 0xffff0000, v20
	v_and_b32_e32 v20, 0xffff0000, v22
	v_add3_u32 v15, v15, v18, 0x7fff
	v_or_b32_e32 v47, 0x400000, v21
	v_cndmask_b32_e32 v16, v44, v46, vcc_lo
	v_bfe_u32 v44, v21, 16, 1
	v_or_b32_e32 v46, 0x400000, v18
	v_cmp_u_f32_e32 vcc_lo, v18, v18
	v_mul_f32_e32 v48, v14, v20
	v_and_b32_e32 v20, 0xffff0000, v19
	v_add3_u32 v44, v44, v21, 0x7fff
	v_lshlrev_b32_e32 v19, 16, v22
	v_cndmask_b32_e32 v22, v15, v46, vcc_lo
	v_cmp_u_f32_e32 vcc_lo, v21, v21
	v_and_b32_e32 v15, 0xffff0000, v42
	v_and_b32_e32 v42, 0xffff0000, v23
	v_mul_f32_e32 v19, v20, v19
	v_and_b32_e32 v18, 0xffff0000, v43
	v_cndmask_b32_e32 v21, v44, v47, vcc_lo
	v_bfe_u32 v44, v48, 16, 1
	v_lshlrev_b32_e32 v23, 16, v23
	v_bfe_u32 v46, v19, 16, 1
	v_mul_f32_e32 v42, v15, v42
	v_cmp_u_f32_e32 vcc_lo, v48, v48
	v_add3_u32 v43, v44, v48, 0x7fff
	v_or_b32_e32 v44, 0x400000, v48
	v_mul_f32_e32 v23, v18, v23
	v_bfe_u32 v47, v42, 16, 1
	v_and_b32_e32 v16, 0xffff0000, v16
	v_and_b32_e32 v21, 0xffff0000, v21
	v_cndmask_b32_e32 v43, v43, v44, vcc_lo
	v_add3_u32 v44, v46, v19, 0x7fff
	v_or_b32_e32 v46, 0x400000, v19
	v_cmp_u_f32_e32 vcc_lo, v19, v19
	v_bfe_u32 v48, v23, 16, 1
	v_mul_f32_e32 v49, v16, v49
	v_and_b32_e32 v19, 0xffff0000, v45
	v_or_b32_e32 v45, 0x400000, v23
	v_cndmask_b32_e32 v44, v44, v46, vcc_lo
	v_add3_u32 v46, v47, v42, 0x7fff
	v_or_b32_e32 v47, 0x400000, v42
	v_cmp_u_f32_e32 vcc_lo, v42, v42
	v_add3_u32 v48, v48, v23, 0x7fff
	v_bfe_u32 v50, v49, 16, 1
	v_mul_f32_e32 v24, v19, v24
	v_and_b32_e32 v22, 0xffff0000, v22
	v_cndmask_b32_e32 v42, v46, v47, vcc_lo
	v_cmp_u_f32_e32 vcc_lo, v23, v23
	v_or_b32_e32 v46, 0x400000, v49
	v_bfe_u32 v47, v24, 16, 1
	v_and_b32_e32 v44, 0xffff0000, v44
	v_and_b32_e32 v43, 0xffff0000, v43
	v_cndmask_b32_e32 v23, v48, v45, vcc_lo
	v_add3_u32 v45, v50, v49, 0x7fff
	v_cmp_u_f32_e32 vcc_lo, v49, v49
	v_add_f32_e32 v21, v21, v22
	v_add_f32_e32 v22, v44, v43
	v_and_b32_e32 v23, 0xffff0000, v23
	v_and_b32_e32 v42, 0xffff0000, v42
	v_cndmask_b32_e32 v45, v45, v46, vcc_lo
	v_add3_u32 v46, v47, v24, 0x7fff
	v_or_b32_e32 v47, 0x400000, v24
	v_and_b32_e32 v43, 0xffff0000, v9
	v_cmp_u_f32_e32 vcc_lo, v24, v24
	v_lshlrev_b32_e32 v9, 16, v9
	v_add_f32_e32 v21, v22, v21
	v_add_f32_e32 v22, v23, v42
	v_mul_f32_e32 v23, v13, v43
	v_cndmask_b32_e32 v24, v46, v47, vcc_lo
	v_mul_f32_e32 v42, v17, v9
	v_and_b32_e32 v43, 0xffff0000, v45
	v_and_b32_e32 v44, 0xffff0000, v10
	v_bfe_u32 v45, v23, 16, 1
	v_and_b32_e32 v24, 0xffff0000, v24
	v_add_f32_e32 v9, v22, v21
	v_bfe_u32 v22, v42, 16, 1
	v_cmp_u_f32_e32 vcc_lo, v23, v23
	v_lshlrev_b32_e32 v10, 16, v10
	v_add_f32_e32 v21, v24, v43
	v_mul_f32_e32 v24, v14, v44
	v_add3_u32 v43, v45, v23, 0x7fff
	v_or_b32_e32 v44, 0x400000, v23
	v_add3_u32 v22, v22, v42, 0x7fff
	v_or_b32_e32 v45, 0x400000, v42
	v_bfe_u32 v46, v24, 16, 1
	v_mul_f32_e32 v10, v20, v10
	v_cndmask_b32_e32 v23, v43, v44, vcc_lo
	v_cmp_u_f32_e32 vcc_lo, v42, v42
	v_or_b32_e32 v43, 0x400000, v24
	v_add3_u32 v42, v46, v24, 0x7fff
	v_and_b32_e32 v44, 0xffff0000, v11
	v_lshlrev_b32_e32 v11, 16, v11
	v_cndmask_b32_e32 v22, v22, v45, vcc_lo
	v_cmp_u_f32_e32 vcc_lo, v24, v24
	v_bfe_u32 v45, v10, 16, 1
	v_and_b32_e32 v23, 0xffff0000, v23
	v_mul_f32_e32 v11, v18, v11
	v_and_b32_e32 v22, 0xffff0000, v22
	v_cndmask_b32_e32 v24, v42, v43, vcc_lo
	v_mul_f32_e32 v42, v15, v44
	v_add3_u32 v43, v45, v10, 0x7fff
	v_or_b32_e32 v44, 0x400000, v10
	v_and_b32_e32 v45, 0xffff0000, v12
	v_cmp_u_f32_e32 vcc_lo, v10, v10
	v_bfe_u32 v46, v42, 16, 1
	v_bfe_u32 v47, v11, 16, 1
	v_lshlrev_b32_e32 v12, 16, v12
	v_and_b32_e32 v24, 0xffff0000, v24
	v_cndmask_b32_e32 v10, v43, v44, vcc_lo
	v_mul_f32_e32 v43, v16, v45
	v_add3_u32 v44, v46, v42, 0x7fff
	v_or_b32_e32 v45, 0x400000, v42
	v_cmp_u_f32_e32 vcc_lo, v42, v42
	v_add3_u32 v46, v47, v11, 0x7fff
	v_or_b32_e32 v47, 0x400000, v11
	v_bfe_u32 v48, v43, 16, 1
	v_and_b32_e32 v10, 0xffff0000, v10
	v_cndmask_b32_e32 v42, v44, v45, vcc_lo
	v_cmp_u_f32_e32 vcc_lo, v11, v11
	v_or_b32_e32 v45, 0x400000, v43
	v_add3_u32 v44, v48, v43, 0x7fff
	v_mul_f32_e32 v12, v19, v12
	v_add_f32_e32 v22, v22, v23
	v_cndmask_b32_e32 v11, v46, v47, vcc_lo
	v_cmp_u_f32_e32 vcc_lo, v43, v43
	v_add_f32_e32 v10, v10, v24
	v_and_b32_e32 v23, 0xffff0000, v1
	v_and_b32_e32 v24, 0xffff0000, v42
	;; [unrolled: 1-line block ×3, first 2 shown]
	v_cndmask_b32_e32 v43, v44, v45, vcc_lo
	v_bfe_u32 v44, v12, 16, 1
	v_add_f32_e32 v10, v10, v22
	v_mul_f32_e32 v22, v13, v23
	v_add_f32_e32 v11, v11, v24
	v_lshlrev_b32_e32 v1, 16, v1
	v_add3_u32 v42, v44, v12, 0x7fff
	v_or_b32_e32 v44, 0x400000, v12
	v_cmp_u_f32_e32 vcc_lo, v12, v12
	v_bfe_u32 v23, v22, 16, 1
	v_add_f32_e32 v10, v11, v10
	v_and_b32_e32 v11, 0xffff0000, v2
	v_mul_f32_e32 v1, v17, v1
	v_cndmask_b32_e32 v12, v42, v44, vcc_lo
	v_add3_u32 v23, v23, v22, 0x7fff
	v_or_b32_e32 v24, 0x400000, v22
	v_mul_f32_e32 v11, v14, v11
	v_and_b32_e32 v42, 0xffff0000, v43
	v_bfe_u32 v43, v1, 16, 1
	v_cmp_u_f32_e32 vcc_lo, v22, v22
	v_lshlrev_b32_e32 v2, 16, v2
	v_or_b32_e32 v44, 0x400000, v1
	v_or_b32_e32 v45, 0x400000, v11
	v_and_b32_e32 v12, 0xffff0000, v12
	v_cndmask_b32_e32 v22, v23, v24, vcc_lo
	v_bfe_u32 v23, v11, 16, 1
	v_add3_u32 v24, v43, v1, 0x7fff
	v_and_b32_e32 v43, 0xffff0000, v3
	v_mul_f32_e32 v2, v20, v2
	v_cmp_u_f32_e32 vcc_lo, v1, v1
	v_add3_u32 v23, v23, v11, 0x7fff
	v_lshlrev_b32_e32 v3, 16, v3
	v_mul_f32_e32 v43, v15, v43
	v_and_b32_e32 v22, 0xffff0000, v22
	v_cndmask_b32_e32 v1, v24, v44, vcc_lo
	v_bfe_u32 v24, v2, 16, 1
	v_cmp_u_f32_e32 vcc_lo, v11, v11
	v_and_b32_e32 v44, 0xffff0000, v4
	v_mul_f32_e32 v3, v18, v3
	v_or_b32_e32 v46, 0x400000, v43
	v_add3_u32 v24, v24, v2, 0x7fff
	v_cndmask_b32_e32 v11, v23, v45, vcc_lo
	v_bfe_u32 v23, v43, 16, 1
	v_or_b32_e32 v45, 0x400000, v2
	v_cmp_u_f32_e32 vcc_lo, v2, v2
	v_mul_f32_e32 v44, v16, v44
	v_lshlrev_b32_e32 v4, 16, v4
	v_add3_u32 v23, v23, v43, 0x7fff
	v_and_b32_e32 v1, 0xffff0000, v1
	v_cndmask_b32_e32 v2, v24, v45, vcc_lo
	v_bfe_u32 v24, v3, 16, 1
	v_cmp_u_f32_e32 vcc_lo, v43, v43
	v_bfe_u32 v45, v44, 16, 1
	v_or_b32_e32 v43, 0x400000, v3
	v_mul_f32_e32 v4, v19, v4
	v_add3_u32 v24, v24, v3, 0x7fff
	v_cndmask_b32_e32 v23, v23, v46, vcc_lo
	v_cmp_u_f32_e32 vcc_lo, v3, v3
	v_add3_u32 v45, v45, v44, 0x7fff
	v_or_b32_e32 v46, 0x400000, v44
	v_and_b32_e32 v2, 0xffff0000, v2
	v_and_b32_e32 v11, 0xffff0000, v11
	v_cndmask_b32_e32 v3, v24, v43, vcc_lo
	v_cmp_u_f32_e32 vcc_lo, v44, v44
	v_bfe_u32 v43, v4, 16, 1
	v_add_f32_e32 v1, v1, v22
	v_add_f32_e32 v2, v2, v11
	v_and_b32_e32 v3, 0xffff0000, v3
	v_cndmask_b32_e32 v24, v45, v46, vcc_lo
	s_waitcnt vmcnt(0)
	v_lshlrev_b32_e32 v45, 16, v5
	v_and_b32_e32 v11, 0xffff0000, v23
	v_and_b32_e32 v5, 0xffff0000, v5
	v_add3_u32 v43, v43, v4, 0x7fff
	v_or_b32_e32 v44, 0x400000, v4
	v_mul_f32_e32 v17, v17, v45
	v_cmp_u_f32_e32 vcc_lo, v4, v4
	v_add_f32_e32 v1, v2, v1
	v_add_f32_e32 v3, v3, v11
	v_mul_f32_e32 v5, v13, v5
	v_bfe_u32 v2, v17, 16, 1
	v_lshlrev_b32_e32 v11, 16, v6
	v_cndmask_b32_e32 v4, v43, v44, vcc_lo
	v_or_b32_e32 v13, 0x400000, v17
	v_bfe_u32 v22, v5, 16, 1
	v_add3_u32 v2, v2, v17, 0x7fff
	v_mul_f32_e32 v11, v20, v11
	v_and_b32_e32 v6, 0xffff0000, v6
	v_cmp_u_f32_e32 vcc_lo, v17, v17
	v_or_b32_e32 v17, 0x400000, v5
	v_and_b32_e32 v4, 0xffff0000, v4
	v_bfe_u32 v20, v11, 16, 1
	v_mul_f32_e32 v6, v14, v6
	v_cndmask_b32_e32 v2, v2, v13, vcc_lo
	v_add3_u32 v13, v22, v5, 0x7fff
	v_lshlrev_b32_e32 v14, 16, v7
	v_cmp_u_f32_e32 vcc_lo, v5, v5
	v_and_b32_e32 v7, 0xffff0000, v7
	v_and_b32_e32 v2, 0xffff0000, v2
	v_add_f32_e32 v1, v3, v1
	v_mul_f32_e32 v14, v18, v14
	v_cndmask_b32_e32 v5, v13, v17, vcc_lo
	v_add3_u32 v13, v20, v11, 0x7fff
	v_or_b32_e32 v17, 0x400000, v11
	v_bfe_u32 v20, v6, 16, 1
	v_cmp_u_f32_e32 vcc_lo, v11, v11
	v_bfe_u32 v18, v14, 16, 1
	v_mul_f32_e32 v7, v15, v7
	v_lshlrev_b32_e32 v15, 16, v8
	v_and_b32_e32 v8, 0xffff0000, v8
	v_cndmask_b32_e32 v11, v13, v17, vcc_lo
	v_add3_u32 v13, v20, v6, 0x7fff
	v_or_b32_e32 v17, 0x400000, v6
	v_cmp_u_f32_e32 vcc_lo, v6, v6
	v_mul_f32_e32 v8, v16, v8
	v_or_b32_e32 v16, 0x400000, v14
	v_mul_f32_e32 v15, v19, v15
	v_and_b32_e32 v5, 0xffff0000, v5
	v_cndmask_b32_e32 v6, v13, v17, vcc_lo
	v_bfe_u32 v13, v7, 16, 1
	v_add3_u32 v17, v18, v14, 0x7fff
	v_cmp_u_f32_e32 vcc_lo, v14, v14
	v_or_b32_e32 v18, 0x400000, v7
	v_bfe_u32 v20, v8, 16, 1
	v_add3_u32 v13, v13, v7, 0x7fff
	v_bfe_u32 v19, v15, 16, 1
	v_cndmask_b32_e32 v14, v17, v16, vcc_lo
	v_cmp_u_f32_e32 vcc_lo, v7, v7
	v_add3_u32 v16, v20, v8, 0x7fff
	v_or_b32_e32 v17, 0x400000, v8
	v_and_b32_e32 v6, 0xffff0000, v6
	v_and_b32_e32 v11, 0xffff0000, v11
	v_cndmask_b32_e32 v7, v13, v18, vcc_lo
	v_cmp_u_f32_e32 vcc_lo, v8, v8
	v_add3_u32 v13, v19, v15, 0x7fff
	v_or_b32_e32 v18, 0x400000, v15
	v_add_f32_e32 v2, v2, v5
	v_add_f32_e32 v5, v11, v6
	v_cndmask_b32_e32 v8, v16, v17, vcc_lo
	v_cmp_u_f32_e32 vcc_lo, v15, v15
	v_and_b32_e32 v6, 0xffff0000, v7
	v_and_b32_e32 v7, 0xffff0000, v14
	v_add_f32_e32 v2, v5, v2
	v_add_nc_u32_e32 v41, 0x200, v41
	v_cndmask_b32_e32 v11, v13, v18, vcc_lo
	v_and_b32_e32 v13, 0xffff0000, v24
	v_add_f32_e32 v5, v7, v6
	v_and_b32_e32 v6, 0xffff0000, v8
	v_add_f32_e32 v8, v12, v42
	;; [unrolled: 2-line block ×3, first 2 shown]
	v_add_f32_e32 v2, v5, v2
	v_add_f32_e32 v5, v21, v9
	v_cmp_le_i32_e32 vcc_lo, s11, v25
	v_add_f32_e32 v4, v7, v6
	v_add_f32_e32 v6, v8, v10
	;; [unrolled: 1-line block ×4, first 2 shown]
	v_add_co_ci_u32_e64 v27, null, 0, v27, s0
	v_add_f32_e32 v2, v4, v2
	v_add_f32_e32 v36, v36, v6
	;; [unrolled: 1-line block ×3, first 2 shown]
	s_or_b32 s9, vcc_lo, s9
	v_add_f32_e32 v33, v33, v2
	s_andn2_b32 exec_lo, exec_lo, s9
	s_cbranch_execz .LBB180_37
.LBB180_29:                             ; =>This Inner Loop Header: Depth=1
	global_load_dword v1, v[26:27], off
	v_cmp_eq_u32_e64 s0, s5, v25
	v_add_nc_u32_e32 v48, 1, v40
	v_or_b32_e32 v46, 3, v40
	v_or_b32_e32 v47, 2, v40
	;; [unrolled: 1-line block ×6, first 2 shown]
	s_waitcnt vmcnt(0)
	v_mad_i64_i32 v[1:2], null, v1, s6, 0
	v_lshlrev_b64 v[1:2], 1, v[1:2]
	v_add_co_u32 v5, vcc_lo, v38, v1
	v_add_co_ci_u32_e64 v6, null, v39, v2, vcc_lo
	global_load_dwordx4 v[1:4], v[5:6], off
	ds_read2_b64 v[17:20], v41 offset1:1
	ds_read2_b64 v[13:16], v41 offset0:2 offset1:3
	s_and_saveexec_b32 s13, s0
	s_cbranch_execnz .LBB180_33
; %bb.30:                               ;   in Loop: Header=BB180_29 Depth=1
	s_or_b32 exec_lo, exec_lo, s13
	global_load_dwordx4 v[9:12], v[5:6], off offset:512
	s_and_saveexec_b32 s13, s0
	s_cbranch_execnz .LBB180_34
.LBB180_31:                             ;   in Loop: Header=BB180_29 Depth=1
	s_or_b32 exec_lo, exec_lo, s13
	global_load_dwordx4 v[21:24], v[5:6], off offset:1024
	s_and_saveexec_b32 s13, s0
	s_cbranch_execnz .LBB180_35
.LBB180_32:                             ;   in Loop: Header=BB180_29 Depth=1
	s_or_b32 exec_lo, exec_lo, s13
	global_load_dwordx4 v[5:8], v[5:6], off offset:1536
	s_and_saveexec_b32 s2, s0
	s_cbranch_execz .LBB180_28
	s_branch .LBB180_36
.LBB180_33:                             ;   in Loop: Header=BB180_29 Depth=1
	v_cmp_gt_i32_e64 s1, s25, v40
	v_cmp_gt_i32_e32 vcc_lo, s12, v48
	v_cmp_gt_i32_e64 s2, s25, v47
	s_waitcnt vmcnt(0)
	v_cndmask_b32_e64 v7, 0, v1, s1
	v_cmp_gt_i32_e64 s1, s12, v46
	v_cndmask_b32_sdwa v1, v37, v1, vcc_lo dst_sel:DWORD dst_unused:UNUSED_PAD src0_sel:DWORD src1_sel:WORD_1
	v_cndmask_b32_e64 v8, 0, v2, s2
	v_cmp_gt_i32_e64 s2, s12, v45
	s_mov_b32 vcc_lo, s1
	v_cmp_gt_i32_e64 s1, s12, v43
	v_cndmask_b32_sdwa v2, v37, v2, vcc_lo dst_sel:DWORD dst_unused:UNUSED_PAD src0_sel:DWORD src1_sel:WORD_1
	v_cmp_gt_i32_e32 vcc_lo, s25, v44
	v_perm_b32 v1, v1, v7, 0x5040100
	v_perm_b32 v2, v2, v8, 0x5040100
	v_cndmask_b32_e32 v9, 0, v3, vcc_lo
	s_mov_b32 vcc_lo, s2
	v_cndmask_b32_sdwa v3, v37, v3, vcc_lo dst_sel:DWORD dst_unused:UNUSED_PAD src0_sel:DWORD src1_sel:WORD_1
	v_cmp_gt_i32_e32 vcc_lo, s25, v42
	v_perm_b32 v3, v3, v9, 0x5040100
	v_cndmask_b32_e32 v10, 0, v4, vcc_lo
	s_mov_b32 vcc_lo, s1
	v_cndmask_b32_sdwa v4, v37, v4, vcc_lo dst_sel:DWORD dst_unused:UNUSED_PAD src0_sel:DWORD src1_sel:WORD_1
	v_perm_b32 v4, v4, v10, 0x5040100
	s_or_b32 exec_lo, exec_lo, s13
	global_load_dwordx4 v[9:12], v[5:6], off offset:512
	s_and_saveexec_b32 s13, s0
	s_cbranch_execz .LBB180_31
.LBB180_34:                             ;   in Loop: Header=BB180_29 Depth=1
	v_cmp_gt_i32_e64 s1, s25, v40
	v_cmp_gt_i32_e32 vcc_lo, s12, v48
	v_cmp_gt_i32_e64 s2, s25, v47
	s_waitcnt vmcnt(0)
	v_cndmask_b32_e64 v7, 0, v9, s1
	v_cmp_gt_i32_e64 s1, s12, v46
	v_cndmask_b32_sdwa v9, v37, v9, vcc_lo dst_sel:DWORD dst_unused:UNUSED_PAD src0_sel:DWORD src1_sel:WORD_1
	v_cndmask_b32_e64 v8, 0, v10, s2
	v_cmp_gt_i32_e64 s2, s12, v45
	s_mov_b32 vcc_lo, s1
	v_cmp_gt_i32_e64 s1, s12, v43
	v_cndmask_b32_sdwa v10, v37, v10, vcc_lo dst_sel:DWORD dst_unused:UNUSED_PAD src0_sel:DWORD src1_sel:WORD_1
	v_cmp_gt_i32_e32 vcc_lo, s25, v44
	v_perm_b32 v9, v9, v7, 0x5040100
	v_perm_b32 v10, v10, v8, 0x5040100
	v_cndmask_b32_e32 v21, 0, v11, vcc_lo
	s_mov_b32 vcc_lo, s2
	v_cndmask_b32_sdwa v11, v37, v11, vcc_lo dst_sel:DWORD dst_unused:UNUSED_PAD src0_sel:DWORD src1_sel:WORD_1
	v_cmp_gt_i32_e32 vcc_lo, s25, v42
	v_perm_b32 v11, v11, v21, 0x5040100
	v_cndmask_b32_e32 v22, 0, v12, vcc_lo
	s_mov_b32 vcc_lo, s1
	v_cndmask_b32_sdwa v12, v37, v12, vcc_lo dst_sel:DWORD dst_unused:UNUSED_PAD src0_sel:DWORD src1_sel:WORD_1
	v_perm_b32 v12, v12, v22, 0x5040100
	s_or_b32 exec_lo, exec_lo, s13
	global_load_dwordx4 v[21:24], v[5:6], off offset:1024
	s_and_saveexec_b32 s13, s0
	s_cbranch_execz .LBB180_32
.LBB180_35:                             ;   in Loop: Header=BB180_29 Depth=1
	v_cmp_gt_i32_e64 s1, s25, v40
	v_cmp_gt_i32_e32 vcc_lo, s12, v48
	v_cmp_gt_i32_e64 s2, s25, v47
	s_waitcnt vmcnt(0)
	v_cndmask_b32_e64 v7, 0, v21, s1
	v_cmp_gt_i32_e64 s1, s12, v46
	v_cndmask_b32_sdwa v21, v37, v21, vcc_lo dst_sel:DWORD dst_unused:UNUSED_PAD src0_sel:DWORD src1_sel:WORD_1
	v_cndmask_b32_e64 v8, 0, v22, s2
	v_cmp_gt_i32_e64 s2, s12, v45
	s_mov_b32 vcc_lo, s1
	v_cmp_gt_i32_e64 s1, s12, v43
	v_cndmask_b32_sdwa v22, v37, v22, vcc_lo dst_sel:DWORD dst_unused:UNUSED_PAD src0_sel:DWORD src1_sel:WORD_1
	v_cmp_gt_i32_e32 vcc_lo, s25, v44
	v_perm_b32 v21, v21, v7, 0x5040100
	v_perm_b32 v22, v22, v8, 0x5040100
	v_cndmask_b32_e32 v49, 0, v23, vcc_lo
	s_mov_b32 vcc_lo, s2
	v_cndmask_b32_sdwa v23, v37, v23, vcc_lo dst_sel:DWORD dst_unused:UNUSED_PAD src0_sel:DWORD src1_sel:WORD_1
	v_cmp_gt_i32_e32 vcc_lo, s25, v42
	v_perm_b32 v23, v23, v49, 0x5040100
	v_cndmask_b32_e32 v50, 0, v24, vcc_lo
	s_mov_b32 vcc_lo, s1
	v_cndmask_b32_sdwa v24, v37, v24, vcc_lo dst_sel:DWORD dst_unused:UNUSED_PAD src0_sel:DWORD src1_sel:WORD_1
	v_perm_b32 v24, v24, v50, 0x5040100
	s_or_b32 exec_lo, exec_lo, s13
	global_load_dwordx4 v[5:8], v[5:6], off offset:1536
	s_and_saveexec_b32 s2, s0
	s_cbranch_execz .LBB180_28
.LBB180_36:                             ;   in Loop: Header=BB180_29 Depth=1
	v_cmp_gt_i32_e64 s0, s25, v40
	v_cmp_gt_i32_e32 vcc_lo, s12, v48
	v_cmp_gt_i32_e64 s1, s25, v47
	s_waitcnt vmcnt(0)
	v_cndmask_b32_e64 v48, 0, v5, s0
	v_cmp_gt_i32_e64 s0, s12, v46
	v_cndmask_b32_sdwa v5, v37, v5, vcc_lo dst_sel:DWORD dst_unused:UNUSED_PAD src0_sel:DWORD src1_sel:WORD_1
	v_cndmask_b32_e64 v46, 0, v6, s1
	v_cmp_gt_i32_e64 s1, s12, v45
	s_mov_b32 vcc_lo, s0
	v_cmp_gt_i32_e64 s0, s12, v43
	v_cndmask_b32_sdwa v6, v37, v6, vcc_lo dst_sel:DWORD dst_unused:UNUSED_PAD src0_sel:DWORD src1_sel:WORD_1
	v_cmp_gt_i32_e32 vcc_lo, s25, v44
	v_perm_b32 v5, v5, v48, 0x5040100
	v_perm_b32 v6, v6, v46, 0x5040100
	v_cndmask_b32_e32 v44, 0, v7, vcc_lo
	s_mov_b32 vcc_lo, s1
	v_cndmask_b32_sdwa v7, v37, v7, vcc_lo dst_sel:DWORD dst_unused:UNUSED_PAD src0_sel:DWORD src1_sel:WORD_1
	v_cmp_gt_i32_e32 vcc_lo, s25, v42
	v_perm_b32 v7, v7, v44, 0x5040100
	v_cndmask_b32_e32 v42, 0, v8, vcc_lo
	s_mov_b32 vcc_lo, s0
	v_cndmask_b32_sdwa v8, v37, v8, vcc_lo dst_sel:DWORD dst_unused:UNUSED_PAD src0_sel:DWORD src1_sel:WORD_1
	v_perm_b32 v8, v8, v42, 0x5040100
	s_branch .LBB180_28
.LBB180_37:
	s_or_b32 exec_lo, exec_lo, s9
.LBB180_38:
	s_or_b32 exec_lo, exec_lo, s3
	ds_bpermute_b32 v1, v30, v34
	ds_bpermute_b32 v2, v30, v36
	;; [unrolled: 1-line block ×4, first 2 shown]
	v_lshrrev_b32_e32 v5, 2, v29
	v_and_b32_e32 v12, 0x3c3, v0
	s_mov_b32 s0, exec_lo
	s_waitcnt lgkmcnt(0)
	s_waitcnt_vscnt null, 0x0
	s_barrier
	buffer_gl0_inv
	v_add_f32_e32 v1, v34, v1
	v_add_f32_e32 v2, v36, v2
	;; [unrolled: 1-line block ×4, first 2 shown]
	v_and_b32_e32 v4, 28, v29
	ds_bpermute_b32 v3, v31, v1
	ds_bpermute_b32 v9, v31, v2
	;; [unrolled: 1-line block ×4, first 2 shown]
	v_add_nc_u32_e32 v6, 0x60, v4
	s_waitcnt lgkmcnt(3)
	v_add_f32_e32 v4, v1, v3
	s_waitcnt lgkmcnt(2)
	v_add_f32_e32 v3, v2, v9
	;; [unrolled: 2-line block ×4, first 2 shown]
	v_cmpx_eq_u32_e32 64, v12
	s_cbranch_execz .LBB180_40
; %bb.39:
	v_lshl_add_u32 v7, v28, 7, v6
	v_add_nc_u32_e32 v8, 0xffffff00, v7
	v_add_nc_u32_e32 v9, 0xffffff20, v7
	v_add_nc_u32_e32 v10, 0xffffff40, v7
	v_add_nc_u32_e32 v7, 0xffffff60, v7
	ds_write_b32 v8, v4
	ds_write_b32 v9, v3
	;; [unrolled: 1-line block ×4, first 2 shown]
.LBB180_40:
	s_or_b32 exec_lo, exec_lo, s0
	v_and_b32_e32 v7, 0x3e0, v0
	v_lshlrev_b32_e32 v5, 2, v5
	s_mov_b32 s1, exec_lo
	v_cmp_eq_u32_e32 vcc_lo, 0, v32
	s_waitcnt lgkmcnt(0)
	v_lshlrev_b32_e32 v7, 2, v7
	s_barrier
	buffer_gl0_inv
	v_add3_u32 v5, 0x60, v7, v5
	v_cmpx_gt_u32_e32 64, v0
	s_cbranch_execz .LBB180_47
; %bb.41:
	s_and_saveexec_b32 s0, vcc_lo
	s_cbranch_execnz .LBB180_59
; %bb.42:
	s_or_b32 exec_lo, exec_lo, s0
	s_and_saveexec_b32 s0, vcc_lo
	s_cbranch_execnz .LBB180_60
.LBB180_43:
	s_or_b32 exec_lo, exec_lo, s0
	s_and_saveexec_b32 s0, vcc_lo
	s_cbranch_execnz .LBB180_61
.LBB180_44:
	s_or_b32 exec_lo, exec_lo, s0
	s_and_saveexec_b32 s0, vcc_lo
	s_cbranch_execz .LBB180_46
.LBB180_45:
	ds_read_b32 v7, v5 offset:96
	s_waitcnt lgkmcnt(0)
	v_add_f32_e32 v1, v1, v7
.LBB180_46:
	s_or_b32 exec_lo, exec_lo, s0
.LBB180_47:
	s_or_b32 exec_lo, exec_lo, s1
	v_and_b32_e32 v7, 0x3e3, v0
	s_mov_b32 s1, exec_lo
	s_barrier
	buffer_gl0_inv
	v_cmpx_eq_u32_e32 32, v7
	s_cbranch_execz .LBB180_49
; %bb.48:
	ds_write2_b32 v6, v4, v3 offset1:8
	ds_write2_b32 v6, v2, v1 offset0:16 offset1:24
.LBB180_49:
	s_or_b32 exec_lo, exec_lo, s1
	s_mov_b32 s1, exec_lo
	s_waitcnt lgkmcnt(0)
	s_barrier
	buffer_gl0_inv
	v_cmpx_gt_u32_e32 32, v0
	s_cbranch_execz .LBB180_56
; %bb.50:
	s_and_saveexec_b32 s0, vcc_lo
	s_cbranch_execnz .LBB180_62
; %bb.51:
	s_or_b32 exec_lo, exec_lo, s0
	s_and_saveexec_b32 s0, vcc_lo
	s_cbranch_execnz .LBB180_63
.LBB180_52:
	s_or_b32 exec_lo, exec_lo, s0
	s_and_saveexec_b32 s0, vcc_lo
	s_cbranch_execnz .LBB180_64
.LBB180_53:
	s_or_b32 exec_lo, exec_lo, s0
	s_and_saveexec_b32 s0, vcc_lo
	s_cbranch_execz .LBB180_55
.LBB180_54:
	ds_read_b32 v5, v5 offset:96
	s_waitcnt lgkmcnt(0)
	v_add_f32_e32 v1, v1, v5
.LBB180_55:
	s_or_b32 exec_lo, exec_lo, s0
.LBB180_56:
	s_or_b32 exec_lo, exec_lo, s1
	s_barrier
	buffer_gl0_inv
	s_mov_b32 s0, exec_lo
	v_cmpx_eq_u32_e32 0, v7
	s_cbranch_execz .LBB180_58
; %bb.57:
	v_bfe_u32 v5, v4, 16, 1
	v_or_b32_e32 v6, 0x400000, v4
	v_bfe_u32 v7, v3, 16, 1
	v_cmp_u_f32_e32 vcc_lo, v4, v4
	s_lshl_b32 s0, s4, 5
	v_add3_u32 v5, v5, v4, 0x7fff
	s_ashr_i32 s1, s0, 31
	v_bfe_u32 v8, v2, 16, 1
	s_lshl_b64 s[0:1], s[0:1], 1
	s_mul_i32 s2, s7, s10
	v_cndmask_b32_e32 v4, v5, v6, vcc_lo
	v_add3_u32 v6, v7, v3, 0x7fff
	v_or_b32_e32 v7, 0x400000, v3
	v_cmp_u_f32_e32 vcc_lo, v3, v3
	s_add_u32 s4, s20, s0
	s_addc_u32 s5, s21, s1
	s_ashr_i32 s3, s2, 31
	v_bfe_u32 v5, v1, 16, 1
	s_lshl_b64 s[0:1], s[2:3], 1
	v_add3_u32 v8, v8, v2, 0x7fff
	v_or_b32_e32 v9, 0x400000, v2
	v_cndmask_b32_e32 v3, v6, v7, vcc_lo
	v_cmp_u_f32_e32 vcc_lo, v2, v2
	s_add_u32 s2, s4, s0
	s_addc_u32 s3, s5, s1
	s_lshl_b32 s0, s8, 5
	v_add3_u32 v5, v5, v1, 0x7fff
	s_ashr_i32 s1, s0, 31
	v_or_b32_e32 v10, 0x400000, v1
	v_cndmask_b32_e32 v2, v8, v9, vcc_lo
	v_cmp_u_f32_e32 vcc_lo, v1, v1
	v_lshrrev_b32_e32 v0, 1, v0
	s_lshl_b64 s[0:1], s[0:1], 1
	s_add_u32 s0, s2, s0
	s_addc_u32 s1, s3, s1
	v_cndmask_b32_e32 v1, v5, v10, vcc_lo
	global_store_short_d16_hi v0, v4, s[0:1]
	global_store_short_d16_hi v0, v3, s[0:1] offset:16
	global_store_short_d16_hi v0, v2, s[0:1] offset:32
	;; [unrolled: 1-line block ×3, first 2 shown]
.LBB180_58:
	s_endpgm
.LBB180_59:
	ds_read_b32 v7, v5
	s_waitcnt lgkmcnt(0)
	v_add_f32_e32 v4, v4, v7
	s_or_b32 exec_lo, exec_lo, s0
	s_and_saveexec_b32 s0, vcc_lo
	s_cbranch_execz .LBB180_43
.LBB180_60:
	ds_read_b32 v7, v5 offset:32
	s_waitcnt lgkmcnt(0)
	v_add_f32_e32 v3, v3, v7
	s_or_b32 exec_lo, exec_lo, s0
	s_and_saveexec_b32 s0, vcc_lo
	s_cbranch_execz .LBB180_44
.LBB180_61:
	ds_read_b32 v7, v5 offset:64
	s_waitcnt lgkmcnt(0)
	v_add_f32_e32 v2, v2, v7
	s_or_b32 exec_lo, exec_lo, s0
	s_and_saveexec_b32 s0, vcc_lo
	s_cbranch_execnz .LBB180_45
	s_branch .LBB180_46
.LBB180_62:
	ds_read_b32 v6, v5
	s_waitcnt lgkmcnt(0)
	v_add_f32_e32 v4, v4, v6
	s_or_b32 exec_lo, exec_lo, s0
	s_and_saveexec_b32 s0, vcc_lo
	s_cbranch_execz .LBB180_52
.LBB180_63:
	ds_read_b32 v6, v5 offset:32
	s_waitcnt lgkmcnt(0)
	v_add_f32_e32 v3, v3, v6
	s_or_b32 exec_lo, exec_lo, s0
	s_and_saveexec_b32 s0, vcc_lo
	s_cbranch_execz .LBB180_53
.LBB180_64:
	ds_read_b32 v6, v5 offset:64
	s_waitcnt lgkmcnt(0)
	v_add_f32_e32 v2, v2, v6
	s_or_b32 exec_lo, exec_lo, s0
	s_and_saveexec_b32 s0, vcc_lo
	s_cbranch_execnz .LBB180_54
	s_branch .LBB180_55
	.section	.rodata,"a",@progbits
	.p2align	6, 0x0
	.amdhsa_kernel _ZN4vllm25paged_attention_v2_kernelI14__hip_bfloat16S1_Li32ELi32ELi128ELNS_18Fp8KVCacheDataTypeE0ELb0ELi512EEEvPfS3_PT_PKS4_PKT0_SA_ifPKiSC_iPKfiiiSE_SE_iiiii
		.amdhsa_group_segment_fixed_size 96
		.amdhsa_private_segment_fixed_size 0
		.amdhsa_kernarg_size 400
		.amdhsa_user_sgpr_count 6
		.amdhsa_user_sgpr_private_segment_buffer 1
		.amdhsa_user_sgpr_dispatch_ptr 0
		.amdhsa_user_sgpr_queue_ptr 0
		.amdhsa_user_sgpr_kernarg_segment_ptr 1
		.amdhsa_user_sgpr_dispatch_id 0
		.amdhsa_user_sgpr_flat_scratch_init 0
		.amdhsa_user_sgpr_private_segment_size 0
		.amdhsa_wavefront_size32 1
		.amdhsa_uses_dynamic_stack 0
		.amdhsa_system_sgpr_private_segment_wavefront_offset 0
		.amdhsa_system_sgpr_workgroup_id_x 1
		.amdhsa_system_sgpr_workgroup_id_y 1
		.amdhsa_system_sgpr_workgroup_id_z 1
		.amdhsa_system_sgpr_workgroup_info 0
		.amdhsa_system_vgpr_workitem_id 0
		.amdhsa_next_free_vgpr 82
		.amdhsa_next_free_sgpr 38
		.amdhsa_reserve_vcc 1
		.amdhsa_reserve_flat_scratch 0
		.amdhsa_float_round_mode_32 0
		.amdhsa_float_round_mode_16_64 0
		.amdhsa_float_denorm_mode_32 3
		.amdhsa_float_denorm_mode_16_64 3
		.amdhsa_dx10_clamp 1
		.amdhsa_ieee_mode 1
		.amdhsa_fp16_overflow 0
		.amdhsa_workgroup_processor_mode 1
		.amdhsa_memory_ordered 1
		.amdhsa_forward_progress 1
		.amdhsa_shared_vgpr_count 0
		.amdhsa_exception_fp_ieee_invalid_op 0
		.amdhsa_exception_fp_denorm_src 0
		.amdhsa_exception_fp_ieee_div_zero 0
		.amdhsa_exception_fp_ieee_overflow 0
		.amdhsa_exception_fp_ieee_underflow 0
		.amdhsa_exception_fp_ieee_inexact 0
		.amdhsa_exception_int_div_zero 0
	.end_amdhsa_kernel
	.section	.text._ZN4vllm25paged_attention_v2_kernelI14__hip_bfloat16S1_Li32ELi32ELi128ELNS_18Fp8KVCacheDataTypeE0ELb0ELi512EEEvPfS3_PT_PKS4_PKT0_SA_ifPKiSC_iPKfiiiSE_SE_iiiii,"axG",@progbits,_ZN4vllm25paged_attention_v2_kernelI14__hip_bfloat16S1_Li32ELi32ELi128ELNS_18Fp8KVCacheDataTypeE0ELb0ELi512EEEvPfS3_PT_PKS4_PKT0_SA_ifPKiSC_iPKfiiiSE_SE_iiiii,comdat
.Lfunc_end180:
	.size	_ZN4vllm25paged_attention_v2_kernelI14__hip_bfloat16S1_Li32ELi32ELi128ELNS_18Fp8KVCacheDataTypeE0ELb0ELi512EEEvPfS3_PT_PKS4_PKT0_SA_ifPKiSC_iPKfiiiSE_SE_iiiii, .Lfunc_end180-_ZN4vllm25paged_attention_v2_kernelI14__hip_bfloat16S1_Li32ELi32ELi128ELNS_18Fp8KVCacheDataTypeE0ELb0ELi512EEEvPfS3_PT_PKS4_PKT0_SA_ifPKiSC_iPKfiiiSE_SE_iiiii
                                        ; -- End function
	.set _ZN4vllm25paged_attention_v2_kernelI14__hip_bfloat16S1_Li32ELi32ELi128ELNS_18Fp8KVCacheDataTypeE0ELb0ELi512EEEvPfS3_PT_PKS4_PKT0_SA_ifPKiSC_iPKfiiiSE_SE_iiiii.num_vgpr, 82
	.set _ZN4vllm25paged_attention_v2_kernelI14__hip_bfloat16S1_Li32ELi32ELi128ELNS_18Fp8KVCacheDataTypeE0ELb0ELi512EEEvPfS3_PT_PKS4_PKT0_SA_ifPKiSC_iPKfiiiSE_SE_iiiii.num_agpr, 0
	.set _ZN4vllm25paged_attention_v2_kernelI14__hip_bfloat16S1_Li32ELi32ELi128ELNS_18Fp8KVCacheDataTypeE0ELb0ELi512EEEvPfS3_PT_PKS4_PKT0_SA_ifPKiSC_iPKfiiiSE_SE_iiiii.numbered_sgpr, 38
	.set _ZN4vllm25paged_attention_v2_kernelI14__hip_bfloat16S1_Li32ELi32ELi128ELNS_18Fp8KVCacheDataTypeE0ELb0ELi512EEEvPfS3_PT_PKS4_PKT0_SA_ifPKiSC_iPKfiiiSE_SE_iiiii.num_named_barrier, 0
	.set _ZN4vllm25paged_attention_v2_kernelI14__hip_bfloat16S1_Li32ELi32ELi128ELNS_18Fp8KVCacheDataTypeE0ELb0ELi512EEEvPfS3_PT_PKS4_PKT0_SA_ifPKiSC_iPKfiiiSE_SE_iiiii.private_seg_size, 0
	.set _ZN4vllm25paged_attention_v2_kernelI14__hip_bfloat16S1_Li32ELi32ELi128ELNS_18Fp8KVCacheDataTypeE0ELb0ELi512EEEvPfS3_PT_PKS4_PKT0_SA_ifPKiSC_iPKfiiiSE_SE_iiiii.uses_vcc, 1
	.set _ZN4vllm25paged_attention_v2_kernelI14__hip_bfloat16S1_Li32ELi32ELi128ELNS_18Fp8KVCacheDataTypeE0ELb0ELi512EEEvPfS3_PT_PKS4_PKT0_SA_ifPKiSC_iPKfiiiSE_SE_iiiii.uses_flat_scratch, 0
	.set _ZN4vllm25paged_attention_v2_kernelI14__hip_bfloat16S1_Li32ELi32ELi128ELNS_18Fp8KVCacheDataTypeE0ELb0ELi512EEEvPfS3_PT_PKS4_PKT0_SA_ifPKiSC_iPKfiiiSE_SE_iiiii.has_dyn_sized_stack, 0
	.set _ZN4vllm25paged_attention_v2_kernelI14__hip_bfloat16S1_Li32ELi32ELi128ELNS_18Fp8KVCacheDataTypeE0ELb0ELi512EEEvPfS3_PT_PKS4_PKT0_SA_ifPKiSC_iPKfiiiSE_SE_iiiii.has_recursion, 0
	.set _ZN4vllm25paged_attention_v2_kernelI14__hip_bfloat16S1_Li32ELi32ELi128ELNS_18Fp8KVCacheDataTypeE0ELb0ELi512EEEvPfS3_PT_PKS4_PKT0_SA_ifPKiSC_iPKfiiiSE_SE_iiiii.has_indirect_call, 0
	.section	.AMDGPU.csdata,"",@progbits
; Kernel info:
; codeLenInByte = 6900
; TotalNumSgprs: 40
; NumVgprs: 82
; ScratchSize: 0
; MemoryBound: 0
; FloatMode: 240
; IeeeMode: 1
; LDSByteSize: 96 bytes/workgroup (compile time only)
; SGPRBlocks: 0
; VGPRBlocks: 10
; NumSGPRsForWavesPerEU: 40
; NumVGPRsForWavesPerEU: 82
; Occupancy: 10
; WaveLimiterHint : 1
; COMPUTE_PGM_RSRC2:SCRATCH_EN: 0
; COMPUTE_PGM_RSRC2:USER_SGPR: 6
; COMPUTE_PGM_RSRC2:TRAP_HANDLER: 0
; COMPUTE_PGM_RSRC2:TGID_X_EN: 1
; COMPUTE_PGM_RSRC2:TGID_Y_EN: 1
; COMPUTE_PGM_RSRC2:TGID_Z_EN: 1
; COMPUTE_PGM_RSRC2:TIDIG_COMP_CNT: 0
	.section	.text._ZN4vllm25paged_attention_v2_kernelI14__hip_bfloat16S1_Li64ELi32ELi128ELNS_18Fp8KVCacheDataTypeE0ELb0ELi512EEEvPfS3_PT_PKS4_PKT0_SA_ifPKiSC_iPKfiiiSE_SE_iiiii,"axG",@progbits,_ZN4vllm25paged_attention_v2_kernelI14__hip_bfloat16S1_Li64ELi32ELi128ELNS_18Fp8KVCacheDataTypeE0ELb0ELi512EEEvPfS3_PT_PKS4_PKT0_SA_ifPKiSC_iPKfiiiSE_SE_iiiii,comdat
	.protected	_ZN4vllm25paged_attention_v2_kernelI14__hip_bfloat16S1_Li64ELi32ELi128ELNS_18Fp8KVCacheDataTypeE0ELb0ELi512EEEvPfS3_PT_PKS4_PKT0_SA_ifPKiSC_iPKfiiiSE_SE_iiiii ; -- Begin function _ZN4vllm25paged_attention_v2_kernelI14__hip_bfloat16S1_Li64ELi32ELi128ELNS_18Fp8KVCacheDataTypeE0ELb0ELi512EEEvPfS3_PT_PKS4_PKT0_SA_ifPKiSC_iPKfiiiSE_SE_iiiii
	.globl	_ZN4vllm25paged_attention_v2_kernelI14__hip_bfloat16S1_Li64ELi32ELi128ELNS_18Fp8KVCacheDataTypeE0ELb0ELi512EEEvPfS3_PT_PKS4_PKT0_SA_ifPKiSC_iPKfiiiSE_SE_iiiii
	.p2align	8
	.type	_ZN4vllm25paged_attention_v2_kernelI14__hip_bfloat16S1_Li64ELi32ELi128ELNS_18Fp8KVCacheDataTypeE0ELb0ELi512EEEvPfS3_PT_PKS4_PKT0_SA_ifPKiSC_iPKfiiiSE_SE_iiiii,@function
_ZN4vllm25paged_attention_v2_kernelI14__hip_bfloat16S1_Li64ELi32ELi128ELNS_18Fp8KVCacheDataTypeE0ELb0ELi512EEEvPfS3_PT_PKS4_PKT0_SA_ifPKiSC_iPKfiiiSE_SE_iiiii: ; @_ZN4vllm25paged_attention_v2_kernelI14__hip_bfloat16S1_Li64ELi32ELi128ELNS_18Fp8KVCacheDataTypeE0ELb0ELi512EEEvPfS3_PT_PKS4_PKT0_SA_ifPKiSC_iPKfiiiSE_SE_iiiii
; %bb.0:
	s_load_dwordx2 s[0:1], s[4:5], 0x40
	s_mov_b32 s24, s7
	s_ashr_i32 s25, s7, 31
	s_lshl_b64 s[2:3], s[24:25], 2
	s_waitcnt lgkmcnt(0)
	s_add_u32 s0, s0, s2
	s_addc_u32 s1, s1, s3
	s_lshl_b32 s30, s8, 9
	s_load_dword s25, s[0:1], 0x0
	s_waitcnt lgkmcnt(0)
	s_cmp_ge_i32 s30, s25
	s_cbranch_scc1 .LBB181_74
; %bb.1:
	s_clause 0x1
	s_load_dword s9, s[4:5], 0x90
	s_load_dwordx2 s[2:3], s[4:5], 0x30
	s_mov_b32 s33, 0
	s_waitcnt lgkmcnt(0)
	s_abs_i32 s10, s9
	s_abs_i32 s0, s2
	s_xor_b32 s2, s9, s2
	v_cvt_f32_u32_e32 v1, s0
	s_sub_i32 s7, 0, s0
	s_ashr_i32 s2, s2, 31
	v_rcp_iflag_f32_e32 v1, v1
	v_mul_f32_e32 v1, 0x4f7ffffe, v1
	v_cvt_u32_f32_e32 v1, v1
	v_readfirstlane_b32 s1, v1
	s_mul_i32 s7, s7, s1
	s_mul_hi_u32 s7, s1, s7
	s_add_i32 s1, s1, s7
	s_mul_hi_u32 s1, s10, s1
	s_mul_i32 s7, s1, s0
	s_sub_i32 s7, s10, s7
	s_add_i32 s10, s1, 1
	s_sub_i32 s11, s7, s0
	s_cmp_ge_u32 s7, s0
	s_cselect_b32 s1, s10, s1
	s_cselect_b32 s7, s11, s7
	s_add_i32 s10, s1, 1
	s_cmp_ge_u32 s7, s0
	s_cselect_b32 s0, s10, s1
	s_abs_i32 s29, s6
	s_xor_b32 s0, s0, s2
	s_sub_i32 s10, s0, s2
	s_load_dwordx2 s[0:1], s[4:5], 0x50
	s_abs_i32 s2, s10
	v_cvt_f32_u32_e32 v1, s2
	s_sub_i32 s11, 0, s2
	v_rcp_iflag_f32_e32 v1, v1
	v_mul_f32_e32 v1, 0x4f7ffffe, v1
	v_cvt_u32_f32_e32 v1, v1
	v_readfirstlane_b32 s7, v1
	s_mul_i32 s11, s11, s7
	s_mul_hi_u32 s11, s7, s11
	s_add_i32 s7, s7, s11
	s_waitcnt lgkmcnt(0)
	s_cmp_eq_u64 s[0:1], 0
	s_mul_hi_u32 s28, s29, s7
	s_cbranch_scc1 .LBB181_3
; %bb.2:
	s_ashr_i32 s7, s6, 31
	s_lshl_b64 s[12:13], s[6:7], 2
	s_add_u32 s0, s0, s12
	s_addc_u32 s1, s1, s13
	s_load_dword s33, s[0:1], 0x0
.LBB181_3:
	s_clause 0x1
	s_load_dwordx2 s[22:23], s[4:5], 0x38
	s_load_dwordx4 s[12:15], s[4:5], 0x58
	v_lshlrev_b32_e32 v35, 4, v0
	s_ashr_i32 s0, s6, 31
	s_ashr_i32 s1, s10, 31
	s_lshl_b32 s10, s6, 6
	s_mov_b32 s7, exec_lo
	v_cmpx_gt_u32_e32 8, v0
	s_cbranch_execz .LBB181_5
; %bb.4:
	s_load_dwordx2 s[16:17], s[4:5], 0x18
	s_waitcnt lgkmcnt(0)
	s_mul_i32 s18, s12, s24
	s_ashr_i32 s19, s18, 31
	s_lshl_b64 s[18:19], s[18:19], 1
	s_add_u32 s12, s16, s18
	s_addc_u32 s15, s17, s19
	s_ashr_i32 s11, s10, 31
	s_lshl_b64 s[16:17], s[10:11], 1
	s_add_u32 s16, s12, s16
	s_addc_u32 s17, s15, s17
	global_load_dwordx4 v[1:4], v35, s[16:17]
	s_waitcnt vmcnt(0)
	ds_write_b128 v35, v[1:4]
.LBB181_5:
	s_or_b32 exec_lo, exec_lo, s7
	s_add_i32 s7, s25, 31
	s_clause 0x1
	s_load_dwordx4 s[16:19], s[4:5], 0x0
	s_load_dwordx2 s[20:21], s[4:5], 0x10
	s_ashr_i32 s11, s7, 31
	s_lshl_b32 s31, s8, 4
	s_lshr_b32 s11, s11, 27
	s_mul_i32 s34, s28, s2
	s_add_i32 s7, s7, s11
	s_add_i32 s11, s31, 16
	s_waitcnt lgkmcnt(0)
	s_ashr_i32 s12, s7, 5
	s_clause 0x2
	s_load_dwordx2 s[26:27], s[4:5], 0x28
	s_load_dword s7, s[4:5], 0x98
	s_load_dword s15, s[4:5], 0x48
	s_xor_b32 s0, s0, s1
	s_sub_i32 s1, s29, s34
	s_min_i32 s11, s11, s12
	s_add_i32 s29, s28, 1
	s_sub_i32 s34, s1, s2
	s_cmp_ge_u32 s1, s2
	v_lshrrev_b32_e32 v44, 5, v0
	s_cselect_b32 s28, s29, s28
	s_cselect_b32 s1, s34, s1
	s_add_i32 s29, s28, 1
	s_cmp_ge_u32 s1, s2
	v_add_nc_u32_e32 v41, s31, v44
	v_and_b32_e32 v45, 31, v0
	s_cselect_b32 s1, s29, s28
	v_mov_b32_e32 v106, 0xff7fffff
	s_xor_b32 s1, s1, s0
	v_ashrrev_i32_e32 v42, 31, v41
	s_sub_i32 s1, s1, s0
	v_cmp_gt_i32_e64 s0, s11, v41
	v_lshlrev_b32_e32 v36, 5, v44
	v_lshlrev_b32_e32 v37, 2, v45
	s_waitcnt lgkmcnt(0)
	s_mul_i32 s28, s15, s24
	s_mul_i32 s14, s1, s14
	s_ashr_i32 s29, s28, 31
	s_barrier
	buffer_gl0_inv
	s_and_saveexec_b32 s34, s0
	s_cbranch_execz .LBB181_9
; %bb.6:
	v_mov_b32_e32 v25, 0
	s_load_dwordx2 s[4:5], s[4:5], 0x20
	s_ashr_i32 s15, s14, 31
	v_add3_u32 v110, s30, v36, v45
	s_lshl_b64 s[36:37], s[14:15], 1
	ds_read_b128 v[1:4], v25
	ds_read_b128 v[5:8], v25 offset:16
	ds_read_b128 v[9:12], v25 offset:32
	;; [unrolled: 1-line block ×5, first 2 shown]
	v_mov_b32_e32 v106, 0xff7fffff
	v_mov_b32_e32 v111, v41
	s_waitcnt lgkmcnt(0)
	v_and_b32_e32 v38, 0xffff0000, v1
	v_lshlrev_b32_e32 v39, 16, v1
	v_and_b32_e32 v54, 0xffff0000, v2
	v_lshlrev_b32_e32 v55, 16, v2
	;; [unrolled: 2-line block ×4, first 2 shown]
	ds_read_b128 v[1:4], v25 offset:96
	v_and_b32_e32 v40, 0xffff0000, v5
	v_lshlrev_b32_e32 v43, 16, v5
	v_and_b32_e32 v56, 0xffff0000, v6
	v_lshlrev_b32_e32 v57, 16, v6
	;; [unrolled: 2-line block ×4, first 2 shown]
	ds_read_b128 v[5:8], v25 offset:112
	s_add_u32 s1, s4, s36
	s_addc_u32 s2, s5, s37
	s_lshl_b64 s[36:37], s[28:29], 2
	s_sub_i32 s4, 1, s25
	s_add_u32 s5, s22, s36
	s_addc_u32 s15, s23, s37
	v_and_b32_e32 v46, 0xffff0000, v9
	v_lshlrev_b32_e32 v47, 16, v9
	v_and_b32_e32 v48, 0xffff0000, v13
	v_lshlrev_b32_e32 v49, 16, v13
	s_waitcnt lgkmcnt(1)
	v_and_b32_e32 v90, 0xffff0000, v1
	v_lshlrev_b32_e32 v91, 16, v1
	v_and_b32_e32 v92, 0xffff0000, v2
	v_lshlrev_b32_e32 v93, 16, v2
	v_lshlrev_b64 v[1:2], 2, v[41:42]
	v_and_b32_e32 v96, 0xffff0000, v4
	v_lshlrev_b32_e32 v97, 16, v4
	v_lshlrev_b32_e32 v4, 4, v45
	v_and_b32_e32 v94, 0xffff0000, v3
	v_lshlrev_b32_e32 v95, 16, v3
	v_lshl_or_b32 v3, v44, 7, v37
	v_add_co_u32 v33, vcc_lo, s5, v1
	v_add_co_u32 v108, s1, s1, v4
	v_and_b32_e32 v50, 0xffff0000, v17
	v_lshlrev_b32_e32 v51, 16, v17
	v_and_b32_e32 v52, 0xffff0000, v21
	v_lshlrev_b32_e32 v53, 16, v21
	;; [unrolled: 2-line block ×14, first 2 shown]
	s_waitcnt lgkmcnt(0)
	v_and_b32_e32 v98, 0xffff0000, v5
	v_lshlrev_b32_e32 v99, 16, v5
	v_and_b32_e32 v100, 0xffff0000, v6
	v_lshlrev_b32_e32 v101, 16, v6
	;; [unrolled: 2-line block ×4, first 2 shown]
	v_add_co_ci_u32_e64 v34, null, s15, v2, vcc_lo
	v_cmp_neq_f32_e64 vcc_lo, s33, 0
	v_add_nc_u32_e32 v107, 0xa0, v3
	v_add_co_ci_u32_e64 v109, null, s2, 0, s1
	s_mov_b32 s15, s13
	s_mov_b32 s5, 0
.LBB181_7:                              ; =>This Inner Loop Header: Depth=1
	global_load_dword v1, v[33:34], off
	v_add_nc_u32_e32 v3, s4, v110
	v_add_nc_u32_e32 v111, 4, v111
	v_cvt_f32_i32_e32 v3, v3
	v_mul_f32_e32 v3, s33, v3
	v_cndmask_b32_e32 v112, 0, v3, vcc_lo
	s_waitcnt vmcnt(0)
	v_mad_i64_i32 v[1:2], null, v1, s15, 0
	v_lshlrev_b64 v[1:2], 1, v[1:2]
	v_add_co_u32 v1, s1, v108, v1
	v_add_co_ci_u32_e64 v2, null, v109, v2, s1
	v_cmp_gt_i32_e64 s1, s25, v110
	v_add_nc_u32_e32 v110, 0x80, v110
	s_clause 0x3
	global_load_dwordx4 v[29:32], v[1:2], off
	global_load_dwordx4 v[25:28], v[1:2], off offset:512
	global_load_dwordx4 v[21:24], v[1:2], off offset:1024
	;; [unrolled: 1-line block ×3, first 2 shown]
	v_add_co_u32 v1, s2, 0x800, v1
	v_add_co_ci_u32_e64 v2, null, 0, v2, s2
	s_clause 0x3
	global_load_dwordx4 v[13:16], v[1:2], off
	global_load_dwordx4 v[9:12], v[1:2], off offset:512
	global_load_dwordx4 v[5:8], v[1:2], off offset:1024
	;; [unrolled: 1-line block ×3, first 2 shown]
	s_waitcnt vmcnt(7)
	v_lshlrev_b32_e32 v113, 16, v29
	v_and_b32_e32 v114, 0xffff0000, v29
	s_waitcnt vmcnt(6)
	v_and_b32_e32 v29, 0xffff0000, v25
	v_lshlrev_b32_e32 v25, 16, v25
	v_mul_f32_e32 v29, v40, v29
	v_mul_f32_e32 v25, v43, v25
	v_fmac_f32_e32 v29, v38, v114
	v_fmac_f32_e32 v25, v39, v113
	s_waitcnt vmcnt(5)
	v_and_b32_e32 v113, 0xffff0000, v21
	v_lshlrev_b32_e32 v21, 16, v21
	v_fmac_f32_e32 v29, v46, v113
	v_fmac_f32_e32 v25, v47, v21
	s_waitcnt vmcnt(4)
	v_lshlrev_b32_e32 v21, 16, v17
	v_and_b32_e32 v17, 0xffff0000, v17
	v_fmac_f32_e32 v25, v49, v21
	v_fmac_f32_e32 v29, v48, v17
	s_waitcnt vmcnt(3)
	v_and_b32_e32 v17, 0xffff0000, v13
	v_lshlrev_b32_e32 v13, 16, v13
	v_fmac_f32_e32 v29, v50, v17
	v_fmac_f32_e32 v25, v51, v13
	s_waitcnt vmcnt(2)
	v_lshlrev_b32_e32 v13, 16, v9
	v_and_b32_e32 v9, 0xffff0000, v9
	v_fmac_f32_e32 v25, v53, v13
	v_fmac_f32_e32 v29, v52, v9
	s_waitcnt vmcnt(1)
	v_and_b32_e32 v9, 0xffff0000, v5
	v_lshlrev_b32_e32 v5, 16, v5
	v_and_b32_e32 v13, 0xffff0000, v30
	v_fmac_f32_e32 v29, v90, v9
	v_fmac_f32_e32 v25, v91, v5
	s_waitcnt vmcnt(0)
	v_lshlrev_b32_e32 v5, 16, v1
	v_and_b32_e32 v1, 0xffff0000, v1
	v_lshlrev_b32_e32 v9, 16, v30
	v_fmac_f32_e32 v25, v99, v5
	v_fmac_f32_e32 v29, v98, v1
	v_and_b32_e32 v5, 0xffff0000, v26
	v_lshlrev_b32_e32 v1, 16, v26
	v_mul_f32_e32 v5, v56, v5
	v_mul_f32_e32 v1, v57, v1
	v_fmac_f32_e32 v5, v54, v13
	v_fmac_f32_e32 v1, v55, v9
	v_and_b32_e32 v9, 0xffff0000, v22
	v_lshlrev_b32_e32 v13, 16, v22
	v_fmac_f32_e32 v5, v58, v9
	v_fmac_f32_e32 v1, v59, v13
	v_lshlrev_b32_e32 v9, 16, v18
	v_and_b32_e32 v13, 0xffff0000, v18
	v_fmac_f32_e32 v1, v61, v9
	v_fmac_f32_e32 v5, v60, v13
	v_and_b32_e32 v9, 0xffff0000, v14
	v_lshlrev_b32_e32 v13, 16, v14
	v_fmac_f32_e32 v5, v62, v9
	v_fmac_f32_e32 v1, v63, v13
	v_lshlrev_b32_e32 v9, 16, v10
	v_and_b32_e32 v10, 0xffff0000, v10
	v_fmac_f32_e32 v1, v65, v9
	v_fmac_f32_e32 v5, v64, v10
	v_and_b32_e32 v9, 0xffff0000, v6
	v_lshlrev_b32_e32 v6, 16, v6
	v_and_b32_e32 v10, 0xffff0000, v31
	v_fmac_f32_e32 v5, v92, v9
	v_fmac_f32_e32 v1, v93, v6
	v_lshlrev_b32_e32 v6, 16, v2
	v_and_b32_e32 v2, 0xffff0000, v2
	v_lshlrev_b32_e32 v9, 16, v31
	v_fmac_f32_e32 v1, v101, v6
	v_fmac_f32_e32 v5, v100, v2
	v_and_b32_e32 v6, 0xffff0000, v27
	v_lshlrev_b32_e32 v2, 16, v27
	v_mul_f32_e32 v6, v68, v6
	v_mul_f32_e32 v2, v69, v2
	v_fmac_f32_e32 v6, v66, v10
	v_fmac_f32_e32 v2, v67, v9
	v_and_b32_e32 v9, 0xffff0000, v23
	v_lshlrev_b32_e32 v10, 16, v23
	v_fmac_f32_e32 v6, v72, v9
	v_fmac_f32_e32 v2, v73, v10
	v_lshlrev_b32_e32 v9, 16, v19
	v_and_b32_e32 v10, 0xffff0000, v19
	v_fmac_f32_e32 v2, v77, v9
	v_fmac_f32_e32 v6, v76, v10
	v_and_b32_e32 v9, 0xffff0000, v15
	v_lshlrev_b32_e32 v10, 16, v15
	v_fmac_f32_e32 v6, v80, v9
	v_fmac_f32_e32 v2, v81, v10
	v_lshlrev_b32_e32 v9, 16, v11
	v_and_b32_e32 v10, 0xffff0000, v11
	v_fmac_f32_e32 v2, v85, v9
	v_fmac_f32_e32 v6, v84, v10
	v_and_b32_e32 v9, 0xffff0000, v7
	v_lshlrev_b32_e32 v7, 16, v7
	v_and_b32_e32 v10, 0xffff0000, v32
	v_fmac_f32_e32 v6, v94, v9
	v_fmac_f32_e32 v2, v95, v7
	v_lshlrev_b32_e32 v7, 16, v3
	v_and_b32_e32 v3, 0xffff0000, v3
	v_lshlrev_b32_e32 v9, 16, v32
	v_fmac_f32_e32 v2, v103, v7
	v_fmac_f32_e32 v6, v102, v3
	v_and_b32_e32 v7, 0xffff0000, v28
	v_lshlrev_b32_e32 v3, 16, v28
	v_mul_f32_e32 v7, v74, v7
	v_mul_f32_e32 v3, v75, v3
	v_fmac_f32_e32 v7, v70, v10
	v_fmac_f32_e32 v3, v71, v9
	v_and_b32_e32 v9, 0xffff0000, v24
	v_lshlrev_b32_e32 v10, 16, v24
	v_fmac_f32_e32 v7, v78, v9
	v_fmac_f32_e32 v3, v79, v10
	v_lshlrev_b32_e32 v9, 16, v20
	v_and_b32_e32 v10, 0xffff0000, v20
	v_fmac_f32_e32 v3, v83, v9
	v_fmac_f32_e32 v7, v82, v10
	v_and_b32_e32 v9, 0xffff0000, v16
	v_lshlrev_b32_e32 v10, 16, v16
	v_fmac_f32_e32 v7, v86, v9
	v_fmac_f32_e32 v3, v87, v10
	v_lshlrev_b32_e32 v9, 16, v12
	v_and_b32_e32 v10, 0xffff0000, v12
	;; [unrolled: 8-line block ×3, first 2 shown]
	v_fmac_f32_e32 v3, v105, v8
	v_fmac_f32_e32 v7, v104, v4
	v_add_f32_e32 v4, v25, v29
	v_add_f32_e32 v1, v4, v1
	;; [unrolled: 1-line block ×4, first 2 shown]
	v_max_f32_e32 v2, v106, v106
	v_add_f32_e32 v1, v6, v1
	v_add_f32_e32 v1, v3, v1
	;; [unrolled: 1-line block ×3, first 2 shown]
	v_fmac_f32_e32 v112, s3, v1
	v_max_f32_e32 v2, v2, v112
	v_cndmask_b32_e64 v1, 0, v112, s1
	v_cndmask_b32_e64 v106, v106, v2, s1
	v_add_co_u32 v33, s1, v33, 16
	v_add_co_ci_u32_e64 v34, null, 0, v34, s1
	v_cmp_le_i32_e64 s1, s11, v111
	ds_write_b32 v107, v1
	v_add_nc_u32_e32 v107, 0x200, v107
	s_or_b32 s5, s1, s5
	s_andn2_b32 exec_lo, exec_lo, s5
	s_cbranch_execnz .LBB181_7
; %bb.8:
	s_or_b32 exec_lo, exec_lo, s5
.LBB181_9:
	s_or_b32 exec_lo, exec_lo, s34
	v_mbcnt_lo_u32_b32 v1, -1, 0
	v_max_f32_e32 v5, v106, v106
	v_xor_b32_e32 v2, 16, v1
	v_xor_b32_e32 v4, 8, v1
	v_cmp_gt_i32_e32 vcc_lo, 32, v2
	v_cndmask_b32_e32 v2, v1, v2, vcc_lo
	v_cmp_gt_i32_e32 vcc_lo, 32, v4
	v_lshlrev_b32_e32 v2, 2, v2
	v_cndmask_b32_e32 v4, v1, v4, vcc_lo
	ds_bpermute_b32 v3, v2, v106
	s_waitcnt lgkmcnt(0)
	v_max_f32_e32 v6, v3, v3
	v_lshlrev_b32_e32 v3, 2, v4
	v_max_f32_e32 v4, v5, v6
	v_xor_b32_e32 v6, 4, v1
	ds_bpermute_b32 v5, v3, v4
	v_cmp_gt_i32_e32 vcc_lo, 32, v6
	v_cndmask_b32_e32 v6, v1, v6, vcc_lo
	s_waitcnt lgkmcnt(0)
	v_max_f32_e32 v7, v5, v5
	v_lshlrev_b32_e32 v5, 2, v6
	v_max_f32_e32 v4, v4, v7
	v_xor_b32_e32 v7, 2, v1
	ds_bpermute_b32 v6, v5, v4
	v_cmp_gt_i32_e32 vcc_lo, 32, v7
	v_cndmask_b32_e32 v7, v1, v7, vcc_lo
	v_lshlrev_b32_e32 v47, 2, v7
	v_xor_b32_e32 v7, 1, v1
	v_cmp_gt_i32_e32 vcc_lo, 32, v7
	s_waitcnt lgkmcnt(0)
	v_max_f32_e32 v6, v6, v6
	v_cndmask_b32_e32 v7, v1, v7, vcc_lo
	v_cmp_eq_u32_e32 vcc_lo, 0, v45
	v_max_f32_e32 v4, v4, v6
	v_lshlrev_b32_e32 v46, 2, v7
	ds_bpermute_b32 v6, v47, v4
	s_waitcnt lgkmcnt(0)
	v_max_f32_e32 v6, v6, v6
	v_max_f32_e32 v1, v4, v6
	v_lshlrev_b32_e32 v6, 2, v44
	ds_bpermute_b32 v4, v46, v1
	s_and_saveexec_b32 s1, vcc_lo
	s_cbranch_execz .LBB181_11
; %bb.10:
	s_waitcnt lgkmcnt(0)
	v_max_f32_e32 v4, v4, v4
	v_max_f32_e32 v1, v1, v1
	;; [unrolled: 1-line block ×3, first 2 shown]
	ds_write_b32 v6, v1 offset:128
.LBB181_11:
	s_or_b32 exec_lo, exec_lo, s1
	v_cmp_gt_u32_e64 s1, 4, v45
	v_mov_b32_e32 v1, 0xff7fffff
	s_waitcnt lgkmcnt(0)
	s_barrier
	buffer_gl0_inv
	s_and_saveexec_b32 s2, s1
; %bb.12:
	ds_read_b32 v1, v37 offset:128
; %bb.13:
	s_or_b32 exec_lo, exec_lo, s2
	s_waitcnt lgkmcnt(0)
	ds_bpermute_b32 v4, v47, v1
	v_max_f32_e32 v1, v1, v1
	v_mov_b32_e32 v7, 0
	s_sub_i32 s2, s11, s31
	s_lshl_b32 s2, s2, 5
	s_add_i32 s2, s2, s30
	s_min_i32 s2, s2, s25
	s_sub_i32 s4, s2, s30
	v_cmp_gt_i32_e64 s2, s4, v0
	s_waitcnt lgkmcnt(0)
	v_max_f32_e32 v4, v4, v4
	v_max_f32_e32 v1, v1, v4
	ds_bpermute_b32 v4, v46, v1
	s_waitcnt lgkmcnt(0)
	v_max_f32_e32 v4, v4, v4
	v_max_f32_e32 v1, v1, v4
	v_lshl_add_u32 v4, v0, 2, 0xa0
	ds_bpermute_b32 v1, v7, v1
	s_and_saveexec_b32 s5, s2
	s_cbranch_execz .LBB181_17
; %bb.14:
	v_lshl_add_u32 v8, v0, 2, 0xa0
	v_mov_b32_e32 v7, 0
	v_mov_b32_e32 v9, v0
	s_mov_b32 s15, 0
	.p2align	6
.LBB181_15:                             ; =>This Inner Loop Header: Depth=1
	ds_read_b32 v10, v8
	v_add_nc_u32_e32 v9, 0x80, v9
	v_cmp_le_i32_e64 s3, s4, v9
	s_or_b32 s15, s3, s15
	s_waitcnt lgkmcnt(0)
	v_sub_f32_e32 v10, v10, v1
	v_mul_f32_e32 v10, 0x3fb8aa3b, v10
	v_exp_f32_e32 v10, v10
	ds_write_b32 v8, v10
	v_add_f32_e32 v7, v7, v10
	v_add_nc_u32_e32 v8, 0x200, v8
	s_andn2_b32 exec_lo, exec_lo, s15
	s_cbranch_execnz .LBB181_15
; %bb.16:
	s_or_b32 exec_lo, exec_lo, s15
.LBB181_17:
	s_or_b32 exec_lo, exec_lo, s5
	ds_bpermute_b32 v2, v2, v7
	s_waitcnt lgkmcnt(0)
	v_add_f32_e32 v2, v7, v2
	ds_bpermute_b32 v3, v3, v2
	s_waitcnt lgkmcnt(0)
	v_add_f32_e32 v2, v2, v3
	ds_bpermute_b32 v3, v5, v2
	s_waitcnt lgkmcnt(0)
	v_add_f32_e32 v2, v2, v3
	ds_bpermute_b32 v3, v47, v2
	s_waitcnt lgkmcnt(0)
	v_add_f32_e32 v2, v2, v3
	ds_bpermute_b32 v3, v46, v2
	s_waitcnt lgkmcnt(0)
	v_add_f32_e32 v2, v2, v3
	s_and_saveexec_b32 s3, vcc_lo
; %bb.18:
	ds_write_b32 v6, v2 offset:144
; %bb.19:
	s_or_b32 exec_lo, exec_lo, s3
	s_waitcnt lgkmcnt(0)
	s_barrier
	buffer_gl0_inv
	s_and_saveexec_b32 s3, s1
; %bb.20:
	ds_read_b32 v2, v37 offset:144
; %bb.21:
	s_or_b32 exec_lo, exec_lo, s3
	s_waitcnt lgkmcnt(0)
	ds_bpermute_b32 v3, v47, v2
	s_waitcnt lgkmcnt(0)
	v_add_f32_e32 v2, v2, v3
	ds_bpermute_b32 v3, v46, v2
	s_waitcnt lgkmcnt(0)
	v_add_f32_e32 v2, v2, v3
	v_mov_b32_e32 v3, 0
	ds_bpermute_b32 v2, v3, v2
	s_and_saveexec_b32 s1, s2
	s_cbranch_execz .LBB181_24
; %bb.22:
	s_waitcnt lgkmcnt(0)
	v_add_f32_e32 v3, 0x358637bd, v2
	s_mov_b32 s2, 0
	v_div_scale_f32 v5, null, v3, v3, 1.0
	v_div_scale_f32 v8, vcc_lo, 1.0, v3, 1.0
	v_rcp_f32_e32 v6, v5
	v_fma_f32 v7, -v5, v6, 1.0
	v_fmac_f32_e32 v6, v7, v6
	v_mul_f32_e32 v7, v8, v6
	v_fma_f32 v9, -v5, v7, v8
	v_fmac_f32_e32 v7, v9, v6
	v_fma_f32 v5, -v5, v7, v8
	v_div_fmas_f32 v5, v5, v6, v7
	v_div_fixup_f32 v3, v5, v3, 1.0
	v_mov_b32_e32 v5, v0
.LBB181_23:                             ; =>This Inner Loop Header: Depth=1
	ds_read_b32 v6, v4
	v_add_nc_u32_e32 v5, 0x80, v5
	v_cmp_le_i32_e32 vcc_lo, s4, v5
	s_or_b32 s2, vcc_lo, s2
	s_waitcnt lgkmcnt(0)
	v_mul_f32_e32 v6, v3, v6
	ds_write_b32 v4, v6
	v_add_nc_u32_e32 v4, 0x200, v4
	s_andn2_b32 exec_lo, exec_lo, s2
	s_cbranch_execnz .LBB181_23
.LBB181_24:
	s_or_b32 exec_lo, exec_lo, s1
	s_mul_i32 s1, s7, s24
	s_waitcnt lgkmcnt(0)
	s_mul_i32 s4, s1, s9
	s_mov_b32 s1, exec_lo
	s_barrier
	buffer_gl0_inv
	v_cmpx_eq_u32_e32 0, v0
	s_cbranch_execz .LBB181_26
; %bb.25:
	s_ashr_i32 s5, s4, 31
	s_mul_i32 s34, s7, s6
	s_lshl_b64 s[2:3], s[4:5], 2
	v_mov_b32_e32 v3, 0
	s_add_u32 s5, s18, s2
	s_addc_u32 s6, s19, s3
	s_ashr_i32 s35, s34, 31
	s_lshl_b64 s[18:19], s[34:35], 2
	s_add_u32 s5, s5, s18
	s_addc_u32 s6, s6, s19
	s_ashr_i32 s9, s8, 31
	s_lshl_b64 s[34:35], s[8:9], 2
	s_add_u32 s36, s5, s34
	s_addc_u32 s37, s6, s35
	s_add_u32 s2, s16, s2
	s_addc_u32 s3, s17, s3
	;; [unrolled: 2-line block ×4, first 2 shown]
	global_store_dword v3, v1, s[36:37]
	global_store_dword v3, v2, s[2:3]
.LBB181_26:
	s_or_b32 exec_lo, exec_lo, s1
	v_mov_b32_e32 v54, 0
	v_and_b32_e32 v48, 3, v0
	v_mov_b32_e32 v56, 0
	v_mov_b32_e32 v55, 0
	;; [unrolled: 1-line block ×7, first 2 shown]
	s_and_saveexec_b32 s3, s0
	s_cbranch_execz .LBB181_46
; %bb.27:
	v_lshlrev_b32_e32 v1, 3, v0
	s_ashr_i32 s15, s14, 31
	v_lshlrev_b32_e32 v2, 5, v48
	v_and_b32_e32 v3, 0x1f0, v35
	s_lshl_b64 s[0:1], s[14:15], 1
	v_and_b32_e32 v1, 24, v1
	s_add_u32 s0, s26, s0
	s_addc_u32 s1, s27, s1
	v_lshl_or_b32 v4, v44, 7, v2
	v_add_co_u32 v58, s0, s0, v3
	v_add3_u32 v60, s30, v36, v1
	v_lshlrev_b64 v[1:2], 2, v[41:42]
	v_add_co_ci_u32_e64 v59, null, s1, 0, s0
	s_lshl_b64 s[0:1], s[28:29], 2
	s_add_i32 s5, s12, -1
	s_add_u32 s0, s22, s0
	s_addc_u32 s1, s23, s1
	v_add_co_u32 v42, vcc_lo, s0, v1
	v_mov_b32_e32 v57, 0
	v_add_nc_u32_e32 v61, 0xa0, v4
	v_add_co_ci_u32_e64 v43, null, s1, v2, vcc_lo
	v_mov_b32_e32 v49, 0
	v_mov_b32_e32 v50, 0
	;; [unrolled: 1-line block ×8, first 2 shown]
	s_mov_b32 s6, s13
	s_mov_b32 s12, s25
	;; [unrolled: 1-line block ×3, first 2 shown]
	s_branch .LBB181_29
.LBB181_28:                             ;   in Loop: Header=BB181_29 Depth=1
	s_or_b32 exec_lo, exec_lo, s2
	s_waitcnt lgkmcnt(1)
	v_bfe_u32 v62, v29, 16, 1
	v_bfe_u32 v63, v30, 16, 1
	v_or_b32_e32 v64, 0x400000, v29
	v_cmp_u_f32_e32 vcc_lo, v29, v29
	v_or_b32_e32 v65, 0x400000, v30
	v_add3_u32 v62, v62, v29, 0x7fff
	v_bfe_u32 v66, v31, 16, 1
	v_add3_u32 v63, v63, v30, 0x7fff
	v_bfe_u32 v67, v32, 16, 1
	v_add_nc_u32_e32 v41, 4, v41
	v_cndmask_b32_e32 v29, v62, v64, vcc_lo
	v_cmp_u_f32_e32 vcc_lo, v30, v30
	v_add3_u32 v62, v66, v31, 0x7fff
	s_waitcnt lgkmcnt(0)
	v_bfe_u32 v64, v25, 16, 1
	v_or_b32_e32 v66, 0x400000, v32
	v_and_b32_e32 v29, 0xffff0000, v29
	v_cndmask_b32_e32 v30, v63, v65, vcc_lo
	v_or_b32_e32 v63, 0x400000, v31
	v_cmp_u_f32_e32 vcc_lo, v31, v31
	v_add3_u32 v65, v67, v32, 0x7fff
	v_add_co_u32 v42, s0, v42, 16
	v_add_nc_u32_e32 v60, 0x80, v60
	v_cndmask_b32_e32 v31, v62, v63, vcc_lo
	v_cmp_u_f32_e32 vcc_lo, v32, v32
	v_add3_u32 v62, v64, v25, 0x7fff
	v_or_b32_e32 v63, 0x400000, v25
	v_bfe_u32 v64, v26, 16, 1
	v_add_nc_u32_e32 v61, 0x200, v61
	v_cndmask_b32_e32 v32, v65, v66, vcc_lo
	v_cmp_u_f32_e32 vcc_lo, v25, v25
	v_and_b32_e32 v25, 0xffff0000, v30
	s_waitcnt vmcnt(1)
	v_and_b32_e32 v30, 0xffff0000, v37
	v_add3_u32 v64, v64, v26, 0x7fff
	v_or_b32_e32 v65, 0x400000, v26
	v_cndmask_b32_e32 v62, v62, v63, vcc_lo
	v_bfe_u32 v63, v27, 16, 1
	v_cmp_u_f32_e32 vcc_lo, v26, v26
	v_or_b32_e32 v66, 0x400000, v27
	v_mul_f32_e32 v30, v25, v30
	v_lshlrev_b32_e32 v37, 16, v37
	v_add3_u32 v63, v63, v27, 0x7fff
	v_cndmask_b32_e32 v26, v64, v65, vcc_lo
	v_bfe_u32 v64, v28, 16, 1
	v_cmp_u_f32_e32 vcc_lo, v27, v27
	v_bfe_u32 v27, v30, 16, 1
	v_or_b32_e32 v65, 0x400000, v28
	v_or_b32_e32 v67, 0x400000, v30
	v_add3_u32 v64, v64, v28, 0x7fff
	v_cndmask_b32_e32 v63, v63, v66, vcc_lo
	v_cmp_u_f32_e32 vcc_lo, v28, v28
	v_add3_u32 v66, v27, v30, 0x7fff
	v_mul_f32_e32 v37, v29, v37
	v_and_b32_e32 v27, 0xffff0000, v32
	v_and_b32_e32 v32, 0xffff0000, v38
	v_cndmask_b32_e32 v28, v64, v65, vcc_lo
	v_cmp_u_f32_e32 vcc_lo, v30, v30
	v_bfe_u32 v65, v37, 16, 1
	v_and_b32_e32 v30, 0xffff0000, v31
	v_lshlrev_b32_e32 v31, 16, v38
	v_and_b32_e32 v26, 0xffff0000, v26
	v_cndmask_b32_e32 v64, v66, v67, vcc_lo
	v_mul_f32_e32 v66, v27, v32
	v_and_b32_e32 v32, 0xffff0000, v39
	v_add3_u32 v38, v65, v37, 0x7fff
	v_or_b32_e32 v65, 0x400000, v37
	v_mul_f32_e32 v31, v30, v31
	v_bfe_u32 v67, v66, 16, 1
	v_cmp_u_f32_e32 vcc_lo, v37, v37
	v_mul_f32_e32 v68, v26, v32
	v_and_b32_e32 v32, 0xffff0000, v62
	v_lshlrev_b32_e32 v39, 16, v39
	v_and_b32_e32 v28, 0xffff0000, v28
	v_cndmask_b32_e32 v37, v38, v65, vcc_lo
	v_add3_u32 v38, v67, v66, 0x7fff
	v_or_b32_e32 v65, 0x400000, v66
	v_bfe_u32 v67, v31, 16, 1
	v_cmp_u_f32_e32 vcc_lo, v66, v66
	v_bfe_u32 v69, v68, 16, 1
	v_mul_f32_e32 v39, v32, v39
	v_and_b32_e32 v37, 0xffff0000, v37
	v_add3_u32 v62, v67, v31, 0x7fff
	v_cndmask_b32_e32 v38, v38, v65, vcc_lo
	v_or_b32_e32 v65, 0x400000, v31
	v_cmp_u_f32_e32 vcc_lo, v31, v31
	v_add3_u32 v66, v69, v68, 0x7fff
	v_and_b32_e32 v67, 0xffff0000, v40
	v_or_b32_e32 v69, 0x400000, v68
	v_bfe_u32 v70, v39, 16, 1
	v_cndmask_b32_e32 v62, v62, v65, vcc_lo
	v_cmp_u_f32_e32 vcc_lo, v68, v68
	v_mul_f32_e32 v65, v28, v67
	v_or_b32_e32 v68, 0x400000, v39
	v_add3_u32 v67, v70, v39, 0x7fff
	v_and_b32_e32 v31, 0xffff0000, v63
	v_cndmask_b32_e32 v66, v66, v69, vcc_lo
	v_cmp_u_f32_e32 vcc_lo, v39, v39
	v_lshlrev_b32_e32 v40, 16, v40
	v_and_b32_e32 v64, 0xffff0000, v64
	v_and_b32_e32 v62, 0xffff0000, v62
	v_and_b32_e32 v38, 0xffff0000, v38
	v_cndmask_b32_e32 v39, v67, v68, vcc_lo
	v_bfe_u32 v69, v65, 16, 1
	v_mul_f32_e32 v40, v31, v40
	v_add_f32_e32 v37, v37, v64
	v_add_f32_e32 v38, v62, v38
	v_and_b32_e32 v39, 0xffff0000, v39
	v_and_b32_e32 v62, 0xffff0000, v33
	;; [unrolled: 1-line block ×3, first 2 shown]
	v_add3_u32 v63, v69, v65, 0x7fff
	v_or_b32_e32 v67, 0x400000, v65
	v_cmp_u_f32_e32 vcc_lo, v65, v65
	v_bfe_u32 v65, v40, 16, 1
	v_add_f32_e32 v37, v38, v37
	v_mul_f32_e32 v38, v25, v62
	v_add_f32_e32 v39, v39, v64
	v_lshlrev_b32_e32 v33, 16, v33
	v_cndmask_b32_e32 v63, v63, v67, vcc_lo
	v_add3_u32 v65, v65, v40, 0x7fff
	v_or_b32_e32 v66, 0x400000, v40
	v_cmp_u_f32_e32 vcc_lo, v40, v40
	v_bfe_u32 v62, v38, 16, 1
	v_add_f32_e32 v37, v39, v37
	v_mul_f32_e32 v33, v29, v33
	v_and_b32_e32 v39, 0xffff0000, v34
	v_cndmask_b32_e32 v40, v65, v66, vcc_lo
	v_add3_u32 v62, v62, v38, 0x7fff
	v_or_b32_e32 v64, 0x400000, v38
	v_bfe_u32 v65, v33, 16, 1
	v_mul_f32_e32 v39, v27, v39
	v_lshlrev_b32_e32 v34, 16, v34
	v_cmp_u_f32_e32 vcc_lo, v38, v38
	v_and_b32_e32 v66, 0xffff0000, v35
	v_lshlrev_b32_e32 v35, 16, v35
	v_and_b32_e32 v67, 0xffff0000, v36
	v_mul_f32_e32 v34, v30, v34
	v_cndmask_b32_e32 v38, v62, v64, vcc_lo
	v_add3_u32 v62, v65, v33, 0x7fff
	v_or_b32_e32 v64, 0x400000, v33
	v_bfe_u32 v65, v39, 16, 1
	v_cmp_u_f32_e32 vcc_lo, v33, v33
	v_mul_f32_e32 v66, v26, v66
	v_mul_f32_e32 v35, v32, v35
	v_lshlrev_b32_e32 v36, 16, v36
	v_and_b32_e32 v38, 0xffff0000, v38
	v_cndmask_b32_e32 v33, v62, v64, vcc_lo
	v_add3_u32 v62, v65, v39, 0x7fff
	v_or_b32_e32 v64, 0x400000, v39
	v_bfe_u32 v65, v34, 16, 1
	v_cmp_u_f32_e32 vcc_lo, v39, v39
	v_mul_f32_e32 v36, v31, v36
	v_or_b32_e32 v68, 0x400000, v35
	v_and_b32_e32 v33, 0xffff0000, v33
	v_and_b32_e32 v40, 0xffff0000, v40
	v_cndmask_b32_e32 v39, v62, v64, vcc_lo
	v_add3_u32 v62, v65, v34, 0x7fff
	v_or_b32_e32 v64, 0x400000, v34
	v_bfe_u32 v65, v66, 16, 1
	v_cmp_u_f32_e32 vcc_lo, v34, v34
	v_bfe_u32 v70, v36, 16, 1
	v_and_b32_e32 v39, 0xffff0000, v39
	v_add_f32_e32 v33, v33, v38
	v_add_co_ci_u32_e64 v43, null, 0, v43, s0
	v_cndmask_b32_e32 v34, v62, v64, vcc_lo
	v_bfe_u32 v62, v35, 16, 1
	v_add3_u32 v64, v65, v66, 0x7fff
	v_mul_f32_e32 v65, v28, v67
	v_or_b32_e32 v67, 0x400000, v66
	v_cmp_u_f32_e32 vcc_lo, v66, v66
	v_add3_u32 v62, v62, v35, 0x7fff
	v_add3_u32 v66, v70, v36, 0x7fff
	v_bfe_u32 v69, v65, 16, 1
	v_and_b32_e32 v34, 0xffff0000, v34
	v_cndmask_b32_e32 v64, v64, v67, vcc_lo
	v_cmp_u_f32_e32 vcc_lo, v35, v35
	v_or_b32_e32 v67, 0x400000, v36
	v_add_f32_e32 v34, v34, v39
	v_and_b32_e32 v38, 0xffff0000, v64
	v_cndmask_b32_e32 v35, v62, v68, vcc_lo
	v_cmp_u_f32_e32 vcc_lo, v36, v36
	v_add3_u32 v62, v69, v65, 0x7fff
	v_or_b32_e32 v68, 0x400000, v65
	v_add_f32_e32 v33, v34, v33
	v_and_b32_e32 v35, 0xffff0000, v35
	v_cndmask_b32_e32 v36, v66, v67, vcc_lo
	v_cmp_u_f32_e32 vcc_lo, v65, v65
	v_add_f32_e32 v34, v35, v38
	v_and_b32_e32 v35, 0xffff0000, v36
	v_cndmask_b32_e32 v39, v62, v68, vcc_lo
	v_and_b32_e32 v62, 0xffff0000, v63
	v_and_b32_e32 v38, 0xffff0000, v21
	v_lshlrev_b32_e32 v21, 16, v21
	v_add_f32_e32 v33, v34, v33
	v_and_b32_e32 v36, 0xffff0000, v39
	v_add_f32_e32 v39, v40, v62
	v_mul_f32_e32 v21, v29, v21
	v_add_f32_e32 v34, v35, v36
	v_mul_f32_e32 v35, v25, v38
	v_add_f32_e32 v36, v39, v37
	v_and_b32_e32 v37, 0xffff0000, v22
	v_lshlrev_b32_e32 v22, 16, v22
	v_add_f32_e32 v33, v34, v33
	v_bfe_u32 v34, v35, 16, 1
	v_add_f32_e32 v50, v50, v36
	v_bfe_u32 v36, v21, 16, 1
	v_mul_f32_e32 v37, v27, v37
	v_add_f32_e32 v51, v51, v33
	v_add3_u32 v33, v34, v35, 0x7fff
	v_or_b32_e32 v34, 0x400000, v35
	v_cmp_u_f32_e32 vcc_lo, v35, v35
	v_add3_u32 v36, v36, v21, 0x7fff
	v_or_b32_e32 v38, 0x400000, v21
	v_mul_f32_e32 v22, v30, v22
	v_and_b32_e32 v35, 0xffff0000, v23
	v_cndmask_b32_e32 v33, v33, v34, vcc_lo
	v_bfe_u32 v34, v37, 16, 1
	v_cmp_u_f32_e32 vcc_lo, v21, v21
	v_lshlrev_b32_e32 v23, 16, v23
	v_mul_f32_e32 v35, v26, v35
	v_and_b32_e32 v39, 0xffff0000, v24
	v_add3_u32 v34, v34, v37, 0x7fff
	v_cndmask_b32_e32 v21, v36, v38, vcc_lo
	v_or_b32_e32 v36, 0x400000, v37
	v_bfe_u32 v38, v22, 16, 1
	v_cmp_u_f32_e32 vcc_lo, v37, v37
	v_mul_f32_e32 v23, v32, v23
	v_or_b32_e32 v37, 0x400000, v22
	v_lshlrev_b32_e32 v24, 16, v24
	v_and_b32_e32 v21, 0xffff0000, v21
	v_cndmask_b32_e32 v34, v34, v36, vcc_lo
	v_add3_u32 v36, v38, v22, 0x7fff
	v_bfe_u32 v38, v35, 16, 1
	v_cmp_u_f32_e32 vcc_lo, v22, v22
	v_bfe_u32 v40, v23, 16, 1
	v_mul_f32_e32 v24, v31, v24
	v_and_b32_e32 v33, 0xffff0000, v33
	v_and_b32_e32 v34, 0xffff0000, v34
	v_cndmask_b32_e32 v22, v36, v37, vcc_lo
	v_add3_u32 v36, v38, v35, 0x7fff
	v_mul_f32_e32 v37, v28, v39
	v_or_b32_e32 v38, 0x400000, v35
	v_cmp_u_f32_e32 vcc_lo, v35, v35
	v_add3_u32 v39, v40, v23, 0x7fff
	v_or_b32_e32 v40, 0x400000, v23
	v_bfe_u32 v62, v37, 16, 1
	v_and_b32_e32 v22, 0xffff0000, v22
	v_cndmask_b32_e32 v35, v36, v38, vcc_lo
	v_cmp_u_f32_e32 vcc_lo, v23, v23
	v_or_b32_e32 v38, 0x400000, v37
	v_add3_u32 v36, v62, v37, 0x7fff
	v_add_f32_e32 v21, v21, v33
	v_add_f32_e32 v22, v22, v34
	v_cndmask_b32_e32 v23, v39, v40, vcc_lo
	v_bfe_u32 v39, v24, 16, 1
	v_cmp_u_f32_e32 vcc_lo, v37, v37
	v_and_b32_e32 v34, 0xffff0000, v17
	v_and_b32_e32 v33, 0xffff0000, v35
	;; [unrolled: 1-line block ×3, first 2 shown]
	v_add3_u32 v37, v39, v24, 0x7fff
	v_cndmask_b32_e32 v36, v36, v38, vcc_lo
	v_or_b32_e32 v38, 0x400000, v24
	v_cmp_u_f32_e32 vcc_lo, v24, v24
	v_lshlrev_b32_e32 v17, 16, v17
	v_add_f32_e32 v21, v22, v21
	v_mul_f32_e32 v22, v25, v34
	v_add_f32_e32 v23, v23, v33
	v_cndmask_b32_e32 v24, v37, v38, vcc_lo
	v_mul_f32_e32 v17, v29, v17
	v_and_b32_e32 v33, 0xffff0000, v36
	v_bfe_u32 v34, v22, 16, 1
	v_add_f32_e32 v21, v23, v21
	v_and_b32_e32 v24, 0xffff0000, v24
	v_bfe_u32 v23, v17, 16, 1
	v_and_b32_e32 v35, 0xffff0000, v18
	v_cmp_u_f32_e32 vcc_lo, v22, v22
	v_or_b32_e32 v36, 0x400000, v17
	v_add_f32_e32 v24, v24, v33
	v_add3_u32 v33, v34, v22, 0x7fff
	v_or_b32_e32 v34, 0x400000, v22
	v_add3_u32 v23, v23, v17, 0x7fff
	v_mul_f32_e32 v35, v27, v35
	v_lshlrev_b32_e32 v18, 16, v18
	v_and_b32_e32 v37, 0xffff0000, v20
	v_cndmask_b32_e32 v22, v33, v34, vcc_lo
	v_cmp_u_f32_e32 vcc_lo, v17, v17
	v_bfe_u32 v33, v35, 16, 1
	v_mul_f32_e32 v18, v30, v18
	v_or_b32_e32 v34, 0x400000, v35
	v_lshlrev_b32_e32 v20, 16, v20
	v_cndmask_b32_e32 v17, v23, v36, vcc_lo
	v_and_b32_e32 v23, 0xffff0000, v19
	v_add3_u32 v33, v33, v35, 0x7fff
	v_lshlrev_b32_e32 v19, 16, v19
	v_bfe_u32 v36, v18, 16, 1
	v_cmp_u_f32_e32 vcc_lo, v35, v35
	v_mul_f32_e32 v23, v26, v23
	v_or_b32_e32 v35, 0x400000, v18
	v_mul_f32_e32 v19, v32, v19
	v_mul_f32_e32 v20, v31, v20
	v_cndmask_b32_e32 v33, v33, v34, vcc_lo
	v_add3_u32 v34, v36, v18, 0x7fff
	v_bfe_u32 v36, v23, 16, 1
	v_cmp_u_f32_e32 vcc_lo, v18, v18
	v_bfe_u32 v38, v19, 16, 1
	v_and_b32_e32 v17, 0xffff0000, v17
	v_and_b32_e32 v22, 0xffff0000, v22
	;; [unrolled: 1-line block ×3, first 2 shown]
	v_cndmask_b32_e32 v18, v34, v35, vcc_lo
	v_add3_u32 v34, v36, v23, 0x7fff
	v_mul_f32_e32 v35, v28, v37
	v_or_b32_e32 v36, 0x400000, v23
	v_cmp_u_f32_e32 vcc_lo, v23, v23
	v_add3_u32 v37, v38, v19, 0x7fff
	v_or_b32_e32 v38, 0x400000, v19
	v_bfe_u32 v39, v35, 16, 1
	v_and_b32_e32 v18, 0xffff0000, v18
	v_cndmask_b32_e32 v23, v34, v36, vcc_lo
	v_cmp_u_f32_e32 vcc_lo, v19, v19
	v_or_b32_e32 v36, 0x400000, v35
	v_add3_u32 v34, v39, v35, 0x7fff
	v_add_f32_e32 v17, v17, v22
	v_add_f32_e32 v18, v18, v33
	v_cndmask_b32_e32 v19, v37, v38, vcc_lo
	v_bfe_u32 v37, v20, 16, 1
	v_cmp_u_f32_e32 vcc_lo, v35, v35
	v_and_b32_e32 v22, 0xffff0000, v23
	v_add_f32_e32 v17, v18, v17
	v_and_b32_e32 v19, 0xffff0000, v19
	v_add3_u32 v35, v37, v20, 0x7fff
	v_cndmask_b32_e32 v34, v34, v36, vcc_lo
	v_or_b32_e32 v36, 0x400000, v20
	v_cmp_u_f32_e32 vcc_lo, v20, v20
	v_and_b32_e32 v18, 0xffff0000, v13
	v_add_f32_e32 v19, v19, v22
	v_lshlrev_b32_e32 v13, 16, v13
	v_and_b32_e32 v22, 0xffff0000, v34
	v_cndmask_b32_e32 v20, v35, v36, vcc_lo
	v_mul_f32_e32 v18, v25, v18
	v_add_f32_e32 v21, v24, v21
	v_mul_f32_e32 v23, v29, v13
	v_add_f32_e32 v13, v19, v17
	v_and_b32_e32 v20, 0xffff0000, v20
	v_bfe_u32 v19, v18, 16, 1
	v_add_f32_e32 v52, v52, v21
	v_and_b32_e32 v21, 0xffff0000, v14
	v_cmp_u_f32_e32 vcc_lo, v18, v18
	v_add_f32_e32 v17, v20, v22
	v_bfe_u32 v20, v23, 16, 1
	v_or_b32_e32 v22, 0x400000, v23
	v_mul_f32_e32 v21, v27, v21
	v_lshlrev_b32_e32 v14, 16, v14
	v_add_f32_e32 v13, v17, v13
	v_add3_u32 v17, v19, v18, 0x7fff
	v_or_b32_e32 v19, 0x400000, v18
	v_add3_u32 v20, v20, v23, 0x7fff
	v_bfe_u32 v18, v21, 16, 1
	v_mul_f32_e32 v14, v30, v14
	v_and_b32_e32 v24, 0xffff0000, v16
	v_cndmask_b32_e32 v17, v17, v19, vcc_lo
	v_cmp_u_f32_e32 vcc_lo, v23, v23
	v_add3_u32 v18, v18, v21, 0x7fff
	v_bfe_u32 v23, v14, 16, 1
	v_lshlrev_b32_e32 v16, 16, v16
	v_and_b32_e32 v17, 0xffff0000, v17
	v_cndmask_b32_e32 v19, v20, v22, vcc_lo
	v_and_b32_e32 v20, 0xffff0000, v15
	v_or_b32_e32 v22, 0x400000, v21
	v_lshlrev_b32_e32 v15, 16, v15
	v_cmp_u_f32_e32 vcc_lo, v21, v21
	v_add3_u32 v21, v23, v14, 0x7fff
	v_mul_f32_e32 v20, v26, v20
	v_mul_f32_e32 v16, v31, v16
	;; [unrolled: 1-line block ×3, first 2 shown]
	v_cndmask_b32_e32 v18, v18, v22, vcc_lo
	v_or_b32_e32 v22, 0x400000, v14
	v_bfe_u32 v23, v20, 16, 1
	v_cmp_u_f32_e32 vcc_lo, v14, v14
	v_bfe_u32 v33, v15, 16, 1
	v_and_b32_e32 v19, 0xffff0000, v19
	v_and_b32_e32 v18, 0xffff0000, v18
	v_add_f32_e32 v53, v53, v13
	v_cndmask_b32_e32 v14, v21, v22, vcc_lo
	v_add3_u32 v21, v23, v20, 0x7fff
	v_mul_f32_e32 v22, v28, v24
	v_or_b32_e32 v23, 0x400000, v20
	v_cmp_u_f32_e32 vcc_lo, v20, v20
	v_add3_u32 v24, v33, v15, 0x7fff
	v_or_b32_e32 v33, 0x400000, v15
	v_bfe_u32 v34, v22, 16, 1
	v_and_b32_e32 v14, 0xffff0000, v14
	v_cndmask_b32_e32 v20, v21, v23, vcc_lo
	v_cmp_u_f32_e32 vcc_lo, v15, v15
	v_or_b32_e32 v23, 0x400000, v22
	v_add3_u32 v21, v34, v22, 0x7fff
	v_add_f32_e32 v17, v19, v17
	v_add_f32_e32 v14, v14, v18
	v_cndmask_b32_e32 v15, v24, v33, vcc_lo
	v_bfe_u32 v24, v16, 16, 1
	v_cmp_u_f32_e32 vcc_lo, v22, v22
	v_and_b32_e32 v19, 0xffff0000, v5
	v_and_b32_e32 v18, 0xffff0000, v20
	;; [unrolled: 1-line block ×3, first 2 shown]
	v_add3_u32 v22, v24, v16, 0x7fff
	v_cndmask_b32_e32 v21, v21, v23, vcc_lo
	v_or_b32_e32 v23, 0x400000, v16
	v_cmp_u_f32_e32 vcc_lo, v16, v16
	v_lshlrev_b32_e32 v5, 16, v5
	v_add_f32_e32 v14, v14, v17
	v_mul_f32_e32 v17, v25, v19
	v_add_f32_e32 v15, v15, v18
	v_cndmask_b32_e32 v16, v22, v23, vcc_lo
	v_mul_f32_e32 v18, v29, v5
	v_and_b32_e32 v19, 0xffff0000, v21
	v_and_b32_e32 v20, 0xffff0000, v6
	v_bfe_u32 v21, v17, 16, 1
	v_and_b32_e32 v16, 0xffff0000, v16
	v_add_f32_e32 v5, v15, v14
	v_bfe_u32 v15, v18, 16, 1
	v_cmp_u_f32_e32 vcc_lo, v17, v17
	v_lshlrev_b32_e32 v6, 16, v6
	v_add_f32_e32 v14, v16, v19
	v_mul_f32_e32 v16, v27, v20
	v_add3_u32 v19, v21, v17, 0x7fff
	v_or_b32_e32 v20, 0x400000, v17
	v_add3_u32 v15, v15, v18, 0x7fff
	v_or_b32_e32 v21, 0x400000, v18
	v_bfe_u32 v22, v16, 16, 1
	v_mul_f32_e32 v6, v30, v6
	v_cndmask_b32_e32 v17, v19, v20, vcc_lo
	v_cmp_u_f32_e32 vcc_lo, v18, v18
	v_or_b32_e32 v19, 0x400000, v16
	v_add3_u32 v18, v22, v16, 0x7fff
	v_and_b32_e32 v20, 0xffff0000, v7
	v_lshlrev_b32_e32 v7, 16, v7
	v_cndmask_b32_e32 v15, v15, v21, vcc_lo
	v_cmp_u_f32_e32 vcc_lo, v16, v16
	v_bfe_u32 v21, v6, 16, 1
	v_and_b32_e32 v17, 0xffff0000, v17
	v_mul_f32_e32 v7, v32, v7
	v_and_b32_e32 v15, 0xffff0000, v15
	v_cndmask_b32_e32 v16, v18, v19, vcc_lo
	v_mul_f32_e32 v18, v26, v20
	v_add3_u32 v19, v21, v6, 0x7fff
	v_or_b32_e32 v20, 0x400000, v6
	v_and_b32_e32 v21, 0xffff0000, v8
	v_cmp_u_f32_e32 vcc_lo, v6, v6
	v_bfe_u32 v22, v18, 16, 1
	v_bfe_u32 v23, v7, 16, 1
	v_lshlrev_b32_e32 v8, 16, v8
	v_and_b32_e32 v16, 0xffff0000, v16
	v_cndmask_b32_e32 v6, v19, v20, vcc_lo
	v_mul_f32_e32 v19, v28, v21
	v_add3_u32 v20, v22, v18, 0x7fff
	v_or_b32_e32 v21, 0x400000, v18
	v_cmp_u_f32_e32 vcc_lo, v18, v18
	v_add3_u32 v22, v23, v7, 0x7fff
	v_or_b32_e32 v23, 0x400000, v7
	v_bfe_u32 v24, v19, 16, 1
	v_and_b32_e32 v6, 0xffff0000, v6
	v_cndmask_b32_e32 v18, v20, v21, vcc_lo
	v_cmp_u_f32_e32 vcc_lo, v7, v7
	v_or_b32_e32 v21, 0x400000, v19
	v_add3_u32 v20, v24, v19, 0x7fff
	v_mul_f32_e32 v8, v31, v8
	v_add_f32_e32 v15, v15, v17
	v_cndmask_b32_e32 v7, v22, v23, vcc_lo
	v_cmp_u_f32_e32 vcc_lo, v19, v19
	v_add_f32_e32 v6, v6, v16
	v_and_b32_e32 v16, 0xffff0000, v1
	v_and_b32_e32 v17, 0xffff0000, v18
	;; [unrolled: 1-line block ×3, first 2 shown]
	v_cndmask_b32_e32 v19, v20, v21, vcc_lo
	v_bfe_u32 v20, v8, 16, 1
	v_add_f32_e32 v6, v6, v15
	v_mul_f32_e32 v15, v25, v16
	v_add_f32_e32 v7, v7, v17
	v_lshlrev_b32_e32 v1, 16, v1
	v_add3_u32 v18, v20, v8, 0x7fff
	v_or_b32_e32 v20, 0x400000, v8
	v_cmp_u_f32_e32 vcc_lo, v8, v8
	v_bfe_u32 v16, v15, 16, 1
	v_add_f32_e32 v6, v7, v6
	v_and_b32_e32 v7, 0xffff0000, v2
	v_mul_f32_e32 v1, v29, v1
	v_cndmask_b32_e32 v8, v18, v20, vcc_lo
	v_add3_u32 v16, v16, v15, 0x7fff
	v_or_b32_e32 v17, 0x400000, v15
	v_mul_f32_e32 v7, v27, v7
	v_and_b32_e32 v18, 0xffff0000, v19
	v_bfe_u32 v19, v1, 16, 1
	v_cmp_u_f32_e32 vcc_lo, v15, v15
	v_lshlrev_b32_e32 v2, 16, v2
	v_or_b32_e32 v20, 0x400000, v1
	v_or_b32_e32 v21, 0x400000, v7
	v_and_b32_e32 v8, 0xffff0000, v8
	v_cndmask_b32_e32 v15, v16, v17, vcc_lo
	v_bfe_u32 v16, v7, 16, 1
	v_add3_u32 v17, v19, v1, 0x7fff
	v_and_b32_e32 v19, 0xffff0000, v3
	v_mul_f32_e32 v2, v30, v2
	v_cmp_u_f32_e32 vcc_lo, v1, v1
	v_add3_u32 v16, v16, v7, 0x7fff
	v_lshlrev_b32_e32 v3, 16, v3
	v_mul_f32_e32 v19, v26, v19
	v_and_b32_e32 v15, 0xffff0000, v15
	v_cndmask_b32_e32 v1, v17, v20, vcc_lo
	v_bfe_u32 v17, v2, 16, 1
	v_cmp_u_f32_e32 vcc_lo, v7, v7
	v_and_b32_e32 v20, 0xffff0000, v4
	v_mul_f32_e32 v3, v32, v3
	v_or_b32_e32 v22, 0x400000, v19
	v_add3_u32 v17, v17, v2, 0x7fff
	v_cndmask_b32_e32 v7, v16, v21, vcc_lo
	v_bfe_u32 v16, v19, 16, 1
	v_or_b32_e32 v21, 0x400000, v2
	v_cmp_u_f32_e32 vcc_lo, v2, v2
	v_mul_f32_e32 v20, v28, v20
	v_lshlrev_b32_e32 v4, 16, v4
	v_add3_u32 v16, v16, v19, 0x7fff
	v_and_b32_e32 v1, 0xffff0000, v1
	v_cndmask_b32_e32 v2, v17, v21, vcc_lo
	v_bfe_u32 v17, v3, 16, 1
	v_cmp_u_f32_e32 vcc_lo, v19, v19
	v_bfe_u32 v21, v20, 16, 1
	v_or_b32_e32 v19, 0x400000, v3
	v_mul_f32_e32 v4, v31, v4
	v_add3_u32 v17, v17, v3, 0x7fff
	v_cndmask_b32_e32 v16, v16, v22, vcc_lo
	v_cmp_u_f32_e32 vcc_lo, v3, v3
	v_add3_u32 v21, v21, v20, 0x7fff
	v_or_b32_e32 v22, 0x400000, v20
	v_and_b32_e32 v2, 0xffff0000, v2
	v_and_b32_e32 v7, 0xffff0000, v7
	v_cndmask_b32_e32 v3, v17, v19, vcc_lo
	v_cmp_u_f32_e32 vcc_lo, v20, v20
	v_bfe_u32 v19, v4, 16, 1
	v_add_f32_e32 v1, v1, v15
	v_add_f32_e32 v2, v2, v7
	v_and_b32_e32 v3, 0xffff0000, v3
	v_cndmask_b32_e32 v17, v21, v22, vcc_lo
	s_waitcnt vmcnt(0)
	v_lshlrev_b32_e32 v21, 16, v9
	v_and_b32_e32 v7, 0xffff0000, v16
	v_and_b32_e32 v9, 0xffff0000, v9
	v_add3_u32 v19, v19, v4, 0x7fff
	v_or_b32_e32 v20, 0x400000, v4
	v_mul_f32_e32 v15, v29, v21
	v_cmp_u_f32_e32 vcc_lo, v4, v4
	v_add_f32_e32 v1, v2, v1
	v_add_f32_e32 v3, v3, v7
	v_mul_f32_e32 v7, v25, v9
	v_bfe_u32 v2, v15, 16, 1
	v_lshlrev_b32_e32 v9, 16, v10
	v_cndmask_b32_e32 v4, v19, v20, vcc_lo
	v_or_b32_e32 v16, 0x400000, v15
	v_bfe_u32 v19, v7, 16, 1
	v_add3_u32 v2, v2, v15, 0x7fff
	v_mul_f32_e32 v9, v30, v9
	v_and_b32_e32 v10, 0xffff0000, v10
	v_cmp_u_f32_e32 vcc_lo, v15, v15
	v_add3_u32 v15, v19, v7, 0x7fff
	v_lshlrev_b32_e32 v20, 16, v11
	v_bfe_u32 v19, v9, 16, 1
	v_mul_f32_e32 v10, v27, v10
	v_cndmask_b32_e32 v2, v2, v16, vcc_lo
	v_or_b32_e32 v16, 0x400000, v7
	v_cmp_u_f32_e32 vcc_lo, v7, v7
	v_mul_f32_e32 v20, v32, v20
	v_and_b32_e32 v11, 0xffff0000, v11
	v_lshlrev_b32_e32 v21, 16, v12
	v_and_b32_e32 v12, 0xffff0000, v12
	v_cndmask_b32_e32 v7, v15, v16, vcc_lo
	v_add3_u32 v15, v19, v9, 0x7fff
	v_or_b32_e32 v16, 0x400000, v9
	v_bfe_u32 v19, v10, 16, 1
	v_cmp_u_f32_e32 vcc_lo, v9, v9
	v_mul_f32_e32 v11, v26, v11
	v_mul_f32_e32 v12, v28, v12
	v_and_b32_e32 v7, 0xffff0000, v7
	v_and_b32_e32 v2, 0xffff0000, v2
	v_cndmask_b32_e32 v9, v15, v16, vcc_lo
	v_add3_u32 v15, v19, v10, 0x7fff
	v_or_b32_e32 v16, 0x400000, v10
	v_bfe_u32 v19, v20, 16, 1
	v_cmp_u_f32_e32 vcc_lo, v10, v10
	v_or_b32_e32 v22, 0x400000, v11
	v_bfe_u32 v24, v12, 16, 1
	v_and_b32_e32 v9, 0xffff0000, v9
	v_add_f32_e32 v2, v2, v7
	v_cndmask_b32_e32 v10, v15, v16, vcc_lo
	v_bfe_u32 v15, v11, 16, 1
	v_add3_u32 v16, v19, v20, 0x7fff
	v_mul_f32_e32 v19, v31, v21
	v_or_b32_e32 v21, 0x400000, v20
	v_cmp_u_f32_e32 vcc_lo, v20, v20
	v_add3_u32 v15, v15, v11, 0x7fff
	v_add3_u32 v20, v24, v12, 0x7fff
	v_bfe_u32 v23, v19, 16, 1
	v_and_b32_e32 v10, 0xffff0000, v10
	v_cndmask_b32_e32 v16, v16, v21, vcc_lo
	v_cmp_u_f32_e32 vcc_lo, v11, v11
	v_or_b32_e32 v21, 0x400000, v12
	v_and_b32_e32 v4, 0xffff0000, v4
	v_add_f32_e32 v7, v9, v10
	v_and_b32_e32 v10, 0xffff0000, v16
	v_cndmask_b32_e32 v11, v15, v22, vcc_lo
	v_cmp_u_f32_e32 vcc_lo, v12, v12
	v_add3_u32 v15, v23, v19, 0x7fff
	v_or_b32_e32 v22, 0x400000, v19
	v_add_f32_e32 v2, v7, v2
	v_and_b32_e32 v9, 0xffff0000, v11
	v_cndmask_b32_e32 v12, v20, v21, vcc_lo
	v_cmp_u_f32_e32 vcc_lo, v19, v19
	v_add_f32_e32 v8, v8, v18
	v_add_f32_e32 v1, v3, v1
	;; [unrolled: 1-line block ×3, first 2 shown]
	v_and_b32_e32 v9, 0xffff0000, v12
	v_cndmask_b32_e32 v11, v15, v22, vcc_lo
	v_and_b32_e32 v15, 0xffff0000, v17
	v_add_f32_e32 v5, v14, v5
	v_add_f32_e32 v2, v7, v2
	;; [unrolled: 1-line block ×3, first 2 shown]
	v_and_b32_e32 v10, 0xffff0000, v11
	v_add_f32_e32 v3, v4, v15
	v_cmp_le_i32_e32 vcc_lo, s11, v41
	v_add_f32_e32 v55, v55, v5
	v_add_f32_e32 v56, v56, v6
	;; [unrolled: 1-line block ×4, first 2 shown]
	s_or_b32 s9, vcc_lo, s9
	v_add_f32_e32 v2, v4, v2
	v_add_f32_e32 v54, v54, v1
	;; [unrolled: 1-line block ×3, first 2 shown]
	s_andn2_b32 exec_lo, exec_lo, s9
	s_cbranch_execz .LBB181_45
.LBB181_29:                             ; =>This Inner Loop Header: Depth=1
	global_load_dword v1, v[42:43], off
	v_cmp_eq_u32_e64 s0, s5, v41
	v_add_nc_u32_e32 v68, 1, v60
	v_or_b32_e32 v66, 3, v60
	v_or_b32_e32 v67, 2, v60
	;; [unrolled: 1-line block ×6, first 2 shown]
	s_waitcnt vmcnt(0)
	v_mad_i64_i32 v[1:2], null, v1, s6, 0
	v_lshlrev_b64 v[1:2], 1, v[1:2]
	v_add_co_u32 v9, vcc_lo, v58, v1
	v_add_co_ci_u32_e64 v10, null, v59, v2, vcc_lo
	global_load_dwordx4 v[1:4], v[9:10], off
	ds_read2_b64 v[29:32], v61 offset1:1
	ds_read2_b64 v[25:28], v61 offset0:2 offset1:3
	s_and_saveexec_b32 s13, s0
	s_cbranch_execnz .LBB181_38
; %bb.30:                               ;   in Loop: Header=BB181_29 Depth=1
	s_or_b32 exec_lo, exec_lo, s13
	global_load_dwordx4 v[5:8], v[9:10], off offset:512
	s_and_saveexec_b32 s13, s0
	s_cbranch_execnz .LBB181_39
.LBB181_31:                             ;   in Loop: Header=BB181_29 Depth=1
	s_or_b32 exec_lo, exec_lo, s13
	global_load_dwordx4 v[13:16], v[9:10], off offset:1024
	s_and_saveexec_b32 s13, s0
	s_cbranch_execnz .LBB181_40
.LBB181_32:                             ;   in Loop: Header=BB181_29 Depth=1
	s_or_b32 exec_lo, exec_lo, s13
	global_load_dwordx4 v[17:20], v[9:10], off offset:1536
	s_and_saveexec_b32 s13, s0
	s_cbranch_execz .LBB181_34
.LBB181_33:                             ;   in Loop: Header=BB181_29 Depth=1
	v_cmp_gt_i32_e64 s1, s25, v60
	v_cmp_gt_i32_e32 vcc_lo, s12, v68
	v_cmp_gt_i32_e64 s2, s25, v67
	s_waitcnt vmcnt(0)
	v_cndmask_b32_e64 v11, 0, v17, s1
	v_cmp_gt_i32_e64 s1, s12, v66
	v_cndmask_b32_sdwa v17, v57, v17, vcc_lo dst_sel:DWORD dst_unused:UNUSED_PAD src0_sel:DWORD src1_sel:WORD_1
	v_cndmask_b32_e64 v12, 0, v18, s2
	v_cmp_gt_i32_e64 s2, s12, v65
	s_mov_b32 vcc_lo, s1
	v_cmp_gt_i32_e64 s1, s12, v63
	v_cndmask_b32_sdwa v18, v57, v18, vcc_lo dst_sel:DWORD dst_unused:UNUSED_PAD src0_sel:DWORD src1_sel:WORD_1
	v_cmp_gt_i32_e32 vcc_lo, s25, v64
	v_perm_b32 v17, v17, v11, 0x5040100
	v_perm_b32 v18, v18, v12, 0x5040100
	v_cndmask_b32_e32 v21, 0, v19, vcc_lo
	s_mov_b32 vcc_lo, s2
	v_cndmask_b32_sdwa v19, v57, v19, vcc_lo dst_sel:DWORD dst_unused:UNUSED_PAD src0_sel:DWORD src1_sel:WORD_1
	v_cmp_gt_i32_e32 vcc_lo, s25, v62
	v_perm_b32 v19, v19, v21, 0x5040100
	v_cndmask_b32_e32 v22, 0, v20, vcc_lo
	s_mov_b32 vcc_lo, s1
	v_cndmask_b32_sdwa v20, v57, v20, vcc_lo dst_sel:DWORD dst_unused:UNUSED_PAD src0_sel:DWORD src1_sel:WORD_1
	v_perm_b32 v20, v20, v22, 0x5040100
.LBB181_34:                             ;   in Loop: Header=BB181_29 Depth=1
	s_or_b32 exec_lo, exec_lo, s13
	v_add_co_u32 v9, vcc_lo, 0x800, v9
	v_add_co_ci_u32_e64 v10, null, 0, v10, vcc_lo
	global_load_dwordx4 v[21:24], v[9:10], off
	s_and_saveexec_b32 s13, s0
	s_cbranch_execnz .LBB181_41
; %bb.35:                               ;   in Loop: Header=BB181_29 Depth=1
	s_or_b32 exec_lo, exec_lo, s13
	global_load_dwordx4 v[33:36], v[9:10], off offset:512
	s_and_saveexec_b32 s13, s0
	s_cbranch_execnz .LBB181_42
.LBB181_36:                             ;   in Loop: Header=BB181_29 Depth=1
	s_or_b32 exec_lo, exec_lo, s13
	global_load_dwordx4 v[37:40], v[9:10], off offset:1024
	s_and_saveexec_b32 s13, s0
	s_cbranch_execnz .LBB181_43
.LBB181_37:                             ;   in Loop: Header=BB181_29 Depth=1
	s_or_b32 exec_lo, exec_lo, s13
	global_load_dwordx4 v[9:12], v[9:10], off offset:1536
	s_and_saveexec_b32 s2, s0
	s_cbranch_execz .LBB181_28
	s_branch .LBB181_44
.LBB181_38:                             ;   in Loop: Header=BB181_29 Depth=1
	v_cmp_gt_i32_e64 s1, s25, v60
	v_cmp_gt_i32_e32 vcc_lo, s12, v68
	v_cmp_gt_i32_e64 s2, s25, v67
	s_waitcnt vmcnt(0)
	v_cndmask_b32_e64 v5, 0, v1, s1
	v_cmp_gt_i32_e64 s1, s12, v66
	v_cndmask_b32_sdwa v1, v57, v1, vcc_lo dst_sel:DWORD dst_unused:UNUSED_PAD src0_sel:DWORD src1_sel:WORD_1
	v_cndmask_b32_e64 v6, 0, v2, s2
	v_cmp_gt_i32_e64 s2, s12, v65
	s_mov_b32 vcc_lo, s1
	v_cmp_gt_i32_e64 s1, s12, v63
	v_cndmask_b32_sdwa v2, v57, v2, vcc_lo dst_sel:DWORD dst_unused:UNUSED_PAD src0_sel:DWORD src1_sel:WORD_1
	v_cmp_gt_i32_e32 vcc_lo, s25, v64
	v_perm_b32 v1, v1, v5, 0x5040100
	v_perm_b32 v2, v2, v6, 0x5040100
	v_cndmask_b32_e32 v7, 0, v3, vcc_lo
	s_mov_b32 vcc_lo, s2
	v_cndmask_b32_sdwa v3, v57, v3, vcc_lo dst_sel:DWORD dst_unused:UNUSED_PAD src0_sel:DWORD src1_sel:WORD_1
	v_cmp_gt_i32_e32 vcc_lo, s25, v62
	v_perm_b32 v3, v3, v7, 0x5040100
	v_cndmask_b32_e32 v8, 0, v4, vcc_lo
	s_mov_b32 vcc_lo, s1
	v_cndmask_b32_sdwa v4, v57, v4, vcc_lo dst_sel:DWORD dst_unused:UNUSED_PAD src0_sel:DWORD src1_sel:WORD_1
	v_perm_b32 v4, v4, v8, 0x5040100
	s_or_b32 exec_lo, exec_lo, s13
	global_load_dwordx4 v[5:8], v[9:10], off offset:512
	s_and_saveexec_b32 s13, s0
	s_cbranch_execz .LBB181_31
.LBB181_39:                             ;   in Loop: Header=BB181_29 Depth=1
	v_cmp_gt_i32_e64 s1, s25, v60
	v_cmp_gt_i32_e32 vcc_lo, s12, v68
	v_cmp_gt_i32_e64 s2, s25, v67
	s_waitcnt vmcnt(0)
	v_cndmask_b32_e64 v11, 0, v5, s1
	v_cmp_gt_i32_e64 s1, s12, v66
	v_cndmask_b32_sdwa v5, v57, v5, vcc_lo dst_sel:DWORD dst_unused:UNUSED_PAD src0_sel:DWORD src1_sel:WORD_1
	v_cndmask_b32_e64 v12, 0, v6, s2
	v_cmp_gt_i32_e64 s2, s12, v65
	s_mov_b32 vcc_lo, s1
	v_cmp_gt_i32_e64 s1, s12, v63
	v_cndmask_b32_sdwa v6, v57, v6, vcc_lo dst_sel:DWORD dst_unused:UNUSED_PAD src0_sel:DWORD src1_sel:WORD_1
	v_cmp_gt_i32_e32 vcc_lo, s25, v64
	v_perm_b32 v5, v5, v11, 0x5040100
	v_perm_b32 v6, v6, v12, 0x5040100
	v_cndmask_b32_e32 v13, 0, v7, vcc_lo
	s_mov_b32 vcc_lo, s2
	v_cndmask_b32_sdwa v7, v57, v7, vcc_lo dst_sel:DWORD dst_unused:UNUSED_PAD src0_sel:DWORD src1_sel:WORD_1
	v_cmp_gt_i32_e32 vcc_lo, s25, v62
	v_perm_b32 v7, v7, v13, 0x5040100
	v_cndmask_b32_e32 v14, 0, v8, vcc_lo
	s_mov_b32 vcc_lo, s1
	v_cndmask_b32_sdwa v8, v57, v8, vcc_lo dst_sel:DWORD dst_unused:UNUSED_PAD src0_sel:DWORD src1_sel:WORD_1
	v_perm_b32 v8, v8, v14, 0x5040100
	s_or_b32 exec_lo, exec_lo, s13
	global_load_dwordx4 v[13:16], v[9:10], off offset:1024
	s_and_saveexec_b32 s13, s0
	s_cbranch_execz .LBB181_32
.LBB181_40:                             ;   in Loop: Header=BB181_29 Depth=1
	v_cmp_gt_i32_e64 s1, s25, v60
	v_cmp_gt_i32_e32 vcc_lo, s12, v68
	v_cmp_gt_i32_e64 s2, s25, v67
	s_waitcnt vmcnt(0)
	v_cndmask_b32_e64 v11, 0, v13, s1
	v_cmp_gt_i32_e64 s1, s12, v66
	v_cndmask_b32_sdwa v13, v57, v13, vcc_lo dst_sel:DWORD dst_unused:UNUSED_PAD src0_sel:DWORD src1_sel:WORD_1
	v_cndmask_b32_e64 v12, 0, v14, s2
	v_cmp_gt_i32_e64 s2, s12, v65
	s_mov_b32 vcc_lo, s1
	v_cmp_gt_i32_e64 s1, s12, v63
	v_cndmask_b32_sdwa v14, v57, v14, vcc_lo dst_sel:DWORD dst_unused:UNUSED_PAD src0_sel:DWORD src1_sel:WORD_1
	v_cmp_gt_i32_e32 vcc_lo, s25, v64
	v_perm_b32 v13, v13, v11, 0x5040100
	v_perm_b32 v14, v14, v12, 0x5040100
	v_cndmask_b32_e32 v17, 0, v15, vcc_lo
	s_mov_b32 vcc_lo, s2
	v_cndmask_b32_sdwa v15, v57, v15, vcc_lo dst_sel:DWORD dst_unused:UNUSED_PAD src0_sel:DWORD src1_sel:WORD_1
	v_cmp_gt_i32_e32 vcc_lo, s25, v62
	v_perm_b32 v15, v15, v17, 0x5040100
	v_cndmask_b32_e32 v18, 0, v16, vcc_lo
	s_mov_b32 vcc_lo, s1
	v_cndmask_b32_sdwa v16, v57, v16, vcc_lo dst_sel:DWORD dst_unused:UNUSED_PAD src0_sel:DWORD src1_sel:WORD_1
	v_perm_b32 v16, v16, v18, 0x5040100
	s_or_b32 exec_lo, exec_lo, s13
	global_load_dwordx4 v[17:20], v[9:10], off offset:1536
	s_and_saveexec_b32 s13, s0
	s_cbranch_execnz .LBB181_33
	s_branch .LBB181_34
.LBB181_41:                             ;   in Loop: Header=BB181_29 Depth=1
	v_cmp_gt_i32_e64 s1, s25, v60
	v_cmp_gt_i32_e32 vcc_lo, s12, v68
	v_cmp_gt_i32_e64 s2, s25, v67
	s_waitcnt vmcnt(0)
	v_cndmask_b32_e64 v11, 0, v21, s1
	v_cmp_gt_i32_e64 s1, s12, v66
	v_cndmask_b32_sdwa v21, v57, v21, vcc_lo dst_sel:DWORD dst_unused:UNUSED_PAD src0_sel:DWORD src1_sel:WORD_1
	v_cndmask_b32_e64 v12, 0, v22, s2
	v_cmp_gt_i32_e64 s2, s12, v65
	s_mov_b32 vcc_lo, s1
	v_cmp_gt_i32_e64 s1, s12, v63
	v_cndmask_b32_sdwa v22, v57, v22, vcc_lo dst_sel:DWORD dst_unused:UNUSED_PAD src0_sel:DWORD src1_sel:WORD_1
	v_cmp_gt_i32_e32 vcc_lo, s25, v64
	v_perm_b32 v21, v21, v11, 0x5040100
	v_perm_b32 v22, v22, v12, 0x5040100
	v_cndmask_b32_e32 v33, 0, v23, vcc_lo
	s_mov_b32 vcc_lo, s2
	v_cndmask_b32_sdwa v23, v57, v23, vcc_lo dst_sel:DWORD dst_unused:UNUSED_PAD src0_sel:DWORD src1_sel:WORD_1
	v_cmp_gt_i32_e32 vcc_lo, s25, v62
	v_perm_b32 v23, v23, v33, 0x5040100
	v_cndmask_b32_e32 v34, 0, v24, vcc_lo
	s_mov_b32 vcc_lo, s1
	v_cndmask_b32_sdwa v24, v57, v24, vcc_lo dst_sel:DWORD dst_unused:UNUSED_PAD src0_sel:DWORD src1_sel:WORD_1
	v_perm_b32 v24, v24, v34, 0x5040100
	s_or_b32 exec_lo, exec_lo, s13
	global_load_dwordx4 v[33:36], v[9:10], off offset:512
	s_and_saveexec_b32 s13, s0
	s_cbranch_execz .LBB181_36
.LBB181_42:                             ;   in Loop: Header=BB181_29 Depth=1
	v_cmp_gt_i32_e64 s1, s25, v60
	v_cmp_gt_i32_e32 vcc_lo, s12, v68
	v_cmp_gt_i32_e64 s2, s25, v67
	s_waitcnt vmcnt(0)
	v_cndmask_b32_e64 v11, 0, v33, s1
	v_cmp_gt_i32_e64 s1, s12, v66
	v_cndmask_b32_sdwa v33, v57, v33, vcc_lo dst_sel:DWORD dst_unused:UNUSED_PAD src0_sel:DWORD src1_sel:WORD_1
	v_cndmask_b32_e64 v12, 0, v34, s2
	v_cmp_gt_i32_e64 s2, s12, v65
	s_mov_b32 vcc_lo, s1
	v_cmp_gt_i32_e64 s1, s12, v63
	v_cndmask_b32_sdwa v34, v57, v34, vcc_lo dst_sel:DWORD dst_unused:UNUSED_PAD src0_sel:DWORD src1_sel:WORD_1
	v_cmp_gt_i32_e32 vcc_lo, s25, v64
	v_perm_b32 v33, v33, v11, 0x5040100
	v_perm_b32 v34, v34, v12, 0x5040100
	v_cndmask_b32_e32 v37, 0, v35, vcc_lo
	s_mov_b32 vcc_lo, s2
	v_cndmask_b32_sdwa v35, v57, v35, vcc_lo dst_sel:DWORD dst_unused:UNUSED_PAD src0_sel:DWORD src1_sel:WORD_1
	v_cmp_gt_i32_e32 vcc_lo, s25, v62
	v_perm_b32 v35, v35, v37, 0x5040100
	v_cndmask_b32_e32 v38, 0, v36, vcc_lo
	s_mov_b32 vcc_lo, s1
	v_cndmask_b32_sdwa v36, v57, v36, vcc_lo dst_sel:DWORD dst_unused:UNUSED_PAD src0_sel:DWORD src1_sel:WORD_1
	v_perm_b32 v36, v36, v38, 0x5040100
	s_or_b32 exec_lo, exec_lo, s13
	global_load_dwordx4 v[37:40], v[9:10], off offset:1024
	s_and_saveexec_b32 s13, s0
	s_cbranch_execz .LBB181_37
.LBB181_43:                             ;   in Loop: Header=BB181_29 Depth=1
	v_cmp_gt_i32_e64 s1, s25, v60
	v_cmp_gt_i32_e32 vcc_lo, s12, v68
	v_cmp_gt_i32_e64 s2, s25, v67
	s_waitcnt vmcnt(0)
	v_cndmask_b32_e64 v11, 0, v37, s1
	v_cmp_gt_i32_e64 s1, s12, v66
	v_cndmask_b32_sdwa v37, v57, v37, vcc_lo dst_sel:DWORD dst_unused:UNUSED_PAD src0_sel:DWORD src1_sel:WORD_1
	v_cndmask_b32_e64 v12, 0, v38, s2
	v_cmp_gt_i32_e64 s2, s12, v65
	s_mov_b32 vcc_lo, s1
	v_cmp_gt_i32_e64 s1, s12, v63
	v_cndmask_b32_sdwa v38, v57, v38, vcc_lo dst_sel:DWORD dst_unused:UNUSED_PAD src0_sel:DWORD src1_sel:WORD_1
	v_cmp_gt_i32_e32 vcc_lo, s25, v64
	v_perm_b32 v37, v37, v11, 0x5040100
	v_perm_b32 v38, v38, v12, 0x5040100
	v_cndmask_b32_e32 v69, 0, v39, vcc_lo
	s_mov_b32 vcc_lo, s2
	v_cndmask_b32_sdwa v39, v57, v39, vcc_lo dst_sel:DWORD dst_unused:UNUSED_PAD src0_sel:DWORD src1_sel:WORD_1
	v_cmp_gt_i32_e32 vcc_lo, s25, v62
	v_perm_b32 v39, v39, v69, 0x5040100
	v_cndmask_b32_e32 v70, 0, v40, vcc_lo
	s_mov_b32 vcc_lo, s1
	v_cndmask_b32_sdwa v40, v57, v40, vcc_lo dst_sel:DWORD dst_unused:UNUSED_PAD src0_sel:DWORD src1_sel:WORD_1
	v_perm_b32 v40, v40, v70, 0x5040100
	s_or_b32 exec_lo, exec_lo, s13
	global_load_dwordx4 v[9:12], v[9:10], off offset:1536
	s_and_saveexec_b32 s2, s0
	s_cbranch_execz .LBB181_28
.LBB181_44:                             ;   in Loop: Header=BB181_29 Depth=1
	v_cmp_gt_i32_e64 s0, s25, v60
	v_cmp_gt_i32_e32 vcc_lo, s12, v68
	v_cmp_gt_i32_e64 s1, s25, v67
	s_waitcnt vmcnt(0)
	v_cndmask_b32_e64 v68, 0, v9, s0
	v_cmp_gt_i32_e64 s0, s12, v66
	v_cndmask_b32_sdwa v9, v57, v9, vcc_lo dst_sel:DWORD dst_unused:UNUSED_PAD src0_sel:DWORD src1_sel:WORD_1
	v_cndmask_b32_e64 v66, 0, v10, s1
	v_cmp_gt_i32_e64 s1, s12, v65
	s_mov_b32 vcc_lo, s0
	v_cmp_gt_i32_e64 s0, s12, v63
	v_cndmask_b32_sdwa v10, v57, v10, vcc_lo dst_sel:DWORD dst_unused:UNUSED_PAD src0_sel:DWORD src1_sel:WORD_1
	v_cmp_gt_i32_e32 vcc_lo, s25, v64
	v_perm_b32 v9, v9, v68, 0x5040100
	v_perm_b32 v10, v10, v66, 0x5040100
	v_cndmask_b32_e32 v64, 0, v11, vcc_lo
	s_mov_b32 vcc_lo, s1
	v_cndmask_b32_sdwa v11, v57, v11, vcc_lo dst_sel:DWORD dst_unused:UNUSED_PAD src0_sel:DWORD src1_sel:WORD_1
	v_cmp_gt_i32_e32 vcc_lo, s25, v62
	v_perm_b32 v11, v11, v64, 0x5040100
	v_cndmask_b32_e32 v62, 0, v12, vcc_lo
	s_mov_b32 vcc_lo, s0
	v_cndmask_b32_sdwa v12, v57, v12, vcc_lo dst_sel:DWORD dst_unused:UNUSED_PAD src0_sel:DWORD src1_sel:WORD_1
	v_perm_b32 v12, v12, v62, 0x5040100
	s_branch .LBB181_28
.LBB181_45:
	s_or_b32 exec_lo, exec_lo, s9
.LBB181_46:
	s_or_b32 exec_lo, exec_lo, s3
	ds_bpermute_b32 v1, v47, v54
	ds_bpermute_b32 v2, v47, v56
	;; [unrolled: 1-line block ×8, first 2 shown]
	v_lshrrev_b32_e32 v9, 2, v45
	v_lshlrev_b32_e32 v11, 8, v44
	v_and_b32_e32 v22, 0x3c3, v0
	s_mov_b32 s0, exec_lo
	s_waitcnt lgkmcnt(0)
	s_waitcnt_vscnt null, 0x0
	s_barrier
	buffer_gl0_inv
	v_add_f32_e32 v1, v54, v1
	v_add_f32_e32 v2, v56, v2
	;; [unrolled: 1-line block ×8, first 2 shown]
	ds_bpermute_b32 v5, v46, v1
	ds_bpermute_b32 v6, v46, v2
	;; [unrolled: 1-line block ×8, first 2 shown]
	v_and_b32_e32 v7, 28, v45
	v_add_nc_u32_e32 v10, 0xa0, v7
	s_waitcnt lgkmcnt(7)
	v_add_f32_e32 v8, v1, v5
	s_waitcnt lgkmcnt(6)
	v_add_f32_e32 v7, v2, v6
	s_waitcnt lgkmcnt(5)
	v_add_f32_e32 v6, v3, v16
	s_waitcnt lgkmcnt(4)
	v_add_f32_e32 v5, v4, v17
	s_waitcnt lgkmcnt(3)
	v_add_f32_e32 v4, v12, v18
	s_waitcnt lgkmcnt(2)
	v_add_f32_e32 v3, v13, v19
	s_waitcnt lgkmcnt(1)
	v_add_f32_e32 v2, v14, v20
	s_waitcnt lgkmcnt(0)
	v_add_f32_e32 v1, v15, v21
	v_cmpx_eq_u32_e32 64, v22
	s_cbranch_execz .LBB181_48
; %bb.47:
	v_add_nc_u32_e32 v12, v10, v11
	v_add_nc_u32_e32 v13, 0xfffffe00, v12
	;; [unrolled: 1-line block ×9, first 2 shown]
	ds_write_b32 v13, v8
	ds_write_b32 v14, v7
	;; [unrolled: 1-line block ×8, first 2 shown]
.LBB181_48:
	s_or_b32 exec_lo, exec_lo, s0
	v_lshlrev_b32_e32 v9, 2, v9
	s_mov_b32 s1, exec_lo
	v_cmp_eq_u32_e32 vcc_lo, 0, v48
	s_waitcnt lgkmcnt(0)
	s_barrier
	v_add3_u32 v9, 0xa0, v11, v9
	buffer_gl0_inv
	v_cmpx_gt_u32_e32 64, v0
	s_cbranch_execz .LBB181_59
; %bb.49:
	s_and_saveexec_b32 s0, vcc_lo
	s_cbranch_execnz .LBB181_75
; %bb.50:
	s_or_b32 exec_lo, exec_lo, s0
	s_and_saveexec_b32 s0, vcc_lo
	s_cbranch_execnz .LBB181_76
.LBB181_51:
	s_or_b32 exec_lo, exec_lo, s0
	s_and_saveexec_b32 s0, vcc_lo
	s_cbranch_execnz .LBB181_77
.LBB181_52:
	s_or_b32 exec_lo, exec_lo, s0
	s_and_saveexec_b32 s0, vcc_lo
	s_cbranch_execnz .LBB181_78
.LBB181_53:
	s_or_b32 exec_lo, exec_lo, s0
	s_and_saveexec_b32 s0, vcc_lo
	s_cbranch_execnz .LBB181_79
.LBB181_54:
	s_or_b32 exec_lo, exec_lo, s0
	s_and_saveexec_b32 s0, vcc_lo
	s_cbranch_execnz .LBB181_80
.LBB181_55:
	s_or_b32 exec_lo, exec_lo, s0
	s_and_saveexec_b32 s0, vcc_lo
	s_cbranch_execnz .LBB181_81
.LBB181_56:
	s_or_b32 exec_lo, exec_lo, s0
	s_and_saveexec_b32 s0, vcc_lo
	s_cbranch_execz .LBB181_58
.LBB181_57:
	ds_read_b32 v11, v9 offset:224
	s_waitcnt lgkmcnt(0)
	v_add_f32_e32 v1, v1, v11
.LBB181_58:
	s_or_b32 exec_lo, exec_lo, s0
.LBB181_59:
	s_or_b32 exec_lo, exec_lo, s1
	v_and_b32_e32 v11, 0x3e3, v0
	s_mov_b32 s1, exec_lo
	s_barrier
	buffer_gl0_inv
	v_cmpx_eq_u32_e32 32, v11
	s_cbranch_execz .LBB181_61
; %bb.60:
	ds_write2_b32 v10, v8, v7 offset1:8
	ds_write2_b32 v10, v6, v5 offset0:16 offset1:24
	ds_write2_b32 v10, v4, v3 offset0:32 offset1:40
	;; [unrolled: 1-line block ×3, first 2 shown]
.LBB181_61:
	s_or_b32 exec_lo, exec_lo, s1
	s_mov_b32 s1, exec_lo
	s_waitcnt lgkmcnt(0)
	s_barrier
	buffer_gl0_inv
	v_cmpx_gt_u32_e32 32, v0
	s_cbranch_execz .LBB181_72
; %bb.62:
	s_and_saveexec_b32 s0, vcc_lo
	s_cbranch_execnz .LBB181_82
; %bb.63:
	s_or_b32 exec_lo, exec_lo, s0
	s_and_saveexec_b32 s0, vcc_lo
	s_cbranch_execnz .LBB181_83
.LBB181_64:
	s_or_b32 exec_lo, exec_lo, s0
	s_and_saveexec_b32 s0, vcc_lo
	s_cbranch_execnz .LBB181_84
.LBB181_65:
	s_or_b32 exec_lo, exec_lo, s0
	s_and_saveexec_b32 s0, vcc_lo
	s_cbranch_execnz .LBB181_85
.LBB181_66:
	s_or_b32 exec_lo, exec_lo, s0
	s_and_saveexec_b32 s0, vcc_lo
	s_cbranch_execnz .LBB181_86
.LBB181_67:
	s_or_b32 exec_lo, exec_lo, s0
	s_and_saveexec_b32 s0, vcc_lo
	s_cbranch_execnz .LBB181_87
.LBB181_68:
	s_or_b32 exec_lo, exec_lo, s0
	s_and_saveexec_b32 s0, vcc_lo
	s_cbranch_execnz .LBB181_88
.LBB181_69:
	s_or_b32 exec_lo, exec_lo, s0
	s_and_saveexec_b32 s0, vcc_lo
	s_cbranch_execz .LBB181_71
.LBB181_70:
	ds_read_b32 v9, v9 offset:224
	s_waitcnt lgkmcnt(0)
	v_add_f32_e32 v1, v1, v9
.LBB181_71:
	s_or_b32 exec_lo, exec_lo, s0
.LBB181_72:
	s_or_b32 exec_lo, exec_lo, s1
	s_barrier
	buffer_gl0_inv
	s_mov_b32 s0, exec_lo
	v_cmpx_eq_u32_e32 0, v11
	s_cbranch_execz .LBB181_74
; %bb.73:
	s_lshl_b32 s0, s4, 6
	s_mul_i32 s2, s7, s10
	s_ashr_i32 s1, s0, 31
	v_bfe_u32 v9, v8, 16, 1
	s_lshl_b64 s[0:1], s[0:1], 1
	v_or_b32_e32 v10, 0x400000, v8
	s_add_u32 s4, s20, s0
	s_addc_u32 s5, s21, s1
	s_ashr_i32 s3, s2, 31
	v_add3_u32 v9, v9, v8, 0x7fff
	s_lshl_b64 s[0:1], s[2:3], 1
	v_bfe_u32 v11, v7, 16, 1
	s_add_u32 s2, s4, s0
	v_cmp_u_f32_e32 vcc_lo, v8, v8
	s_addc_u32 s3, s5, s1
	s_lshl_b32 s0, s8, 6
	v_lshrrev_b32_e32 v0, 1, v0
	s_ashr_i32 s1, s0, 31
	v_cndmask_b32_e32 v8, v9, v10, vcc_lo
	s_lshl_b64 s[0:1], s[0:1], 1
	v_bfe_u32 v9, v6, 16, 1
	v_add3_u32 v10, v11, v7, 0x7fff
	v_or_b32_e32 v11, 0x400000, v7
	v_cmp_u_f32_e32 vcc_lo, v7, v7
	s_add_u32 s0, s2, s0
	s_addc_u32 s1, s3, s1
	global_store_short_d16_hi v0, v8, s[0:1]
	v_add3_u32 v8, v9, v6, 0x7fff
	v_or_b32_e32 v9, 0x400000, v6
	v_cndmask_b32_e32 v7, v10, v11, vcc_lo
	v_bfe_u32 v10, v5, 16, 1
	v_cmp_u_f32_e32 vcc_lo, v6, v6
	v_or_b32_e32 v11, 0x400000, v1
	global_store_short_d16_hi v0, v7, s[0:1] offset:16
	v_add3_u32 v7, v10, v5, 0x7fff
	v_cndmask_b32_e32 v6, v8, v9, vcc_lo
	v_bfe_u32 v8, v4, 16, 1
	v_or_b32_e32 v9, 0x400000, v5
	v_cmp_u_f32_e32 vcc_lo, v5, v5
	v_or_b32_e32 v10, 0x400000, v2
	global_store_short_d16_hi v0, v6, s[0:1] offset:32
	v_add3_u32 v6, v8, v4, 0x7fff
	v_or_b32_e32 v8, 0x400000, v4
	v_cndmask_b32_e32 v5, v7, v9, vcc_lo
	v_bfe_u32 v7, v3, 16, 1
	v_cmp_u_f32_e32 vcc_lo, v4, v4
	v_bfe_u32 v9, v2, 16, 1
	v_add3_u32 v7, v7, v3, 0x7fff
	v_cndmask_b32_e32 v4, v6, v8, vcc_lo
	v_or_b32_e32 v8, 0x400000, v3
	v_cmp_u_f32_e32 vcc_lo, v3, v3
	v_bfe_u32 v6, v1, 16, 1
	v_add3_u32 v9, v9, v2, 0x7fff
	v_cndmask_b32_e32 v3, v7, v8, vcc_lo
	v_cmp_u_f32_e32 vcc_lo, v2, v2
	v_add3_u32 v6, v6, v1, 0x7fff
	v_cndmask_b32_e32 v2, v9, v10, vcc_lo
	v_cmp_u_f32_e32 vcc_lo, v1, v1
	v_cndmask_b32_e32 v1, v6, v11, vcc_lo
	global_store_short_d16_hi v0, v5, s[0:1] offset:48
	global_store_short_d16_hi v0, v4, s[0:1] offset:64
	;; [unrolled: 1-line block ×5, first 2 shown]
.LBB181_74:
	s_endpgm
.LBB181_75:
	ds_read_b32 v11, v9
	s_waitcnt lgkmcnt(0)
	v_add_f32_e32 v8, v8, v11
	s_or_b32 exec_lo, exec_lo, s0
	s_and_saveexec_b32 s0, vcc_lo
	s_cbranch_execz .LBB181_51
.LBB181_76:
	ds_read_b32 v11, v9 offset:32
	s_waitcnt lgkmcnt(0)
	v_add_f32_e32 v7, v7, v11
	s_or_b32 exec_lo, exec_lo, s0
	s_and_saveexec_b32 s0, vcc_lo
	s_cbranch_execz .LBB181_52
.LBB181_77:
	ds_read_b32 v11, v9 offset:64
	s_waitcnt lgkmcnt(0)
	v_add_f32_e32 v6, v6, v11
	s_or_b32 exec_lo, exec_lo, s0
	s_and_saveexec_b32 s0, vcc_lo
	s_cbranch_execz .LBB181_53
.LBB181_78:
	ds_read_b32 v11, v9 offset:96
	s_waitcnt lgkmcnt(0)
	v_add_f32_e32 v5, v5, v11
	s_or_b32 exec_lo, exec_lo, s0
	s_and_saveexec_b32 s0, vcc_lo
	s_cbranch_execz .LBB181_54
.LBB181_79:
	ds_read_b32 v11, v9 offset:128
	s_waitcnt lgkmcnt(0)
	v_add_f32_e32 v4, v4, v11
	s_or_b32 exec_lo, exec_lo, s0
	s_and_saveexec_b32 s0, vcc_lo
	s_cbranch_execz .LBB181_55
.LBB181_80:
	ds_read_b32 v11, v9 offset:160
	s_waitcnt lgkmcnt(0)
	v_add_f32_e32 v3, v3, v11
	s_or_b32 exec_lo, exec_lo, s0
	s_and_saveexec_b32 s0, vcc_lo
	s_cbranch_execz .LBB181_56
.LBB181_81:
	ds_read_b32 v11, v9 offset:192
	s_waitcnt lgkmcnt(0)
	v_add_f32_e32 v2, v2, v11
	s_or_b32 exec_lo, exec_lo, s0
	s_and_saveexec_b32 s0, vcc_lo
	s_cbranch_execnz .LBB181_57
	s_branch .LBB181_58
.LBB181_82:
	ds_read_b32 v10, v9
	s_waitcnt lgkmcnt(0)
	v_add_f32_e32 v8, v8, v10
	s_or_b32 exec_lo, exec_lo, s0
	s_and_saveexec_b32 s0, vcc_lo
	s_cbranch_execz .LBB181_64
.LBB181_83:
	ds_read_b32 v10, v9 offset:32
	s_waitcnt lgkmcnt(0)
	v_add_f32_e32 v7, v7, v10
	s_or_b32 exec_lo, exec_lo, s0
	s_and_saveexec_b32 s0, vcc_lo
	s_cbranch_execz .LBB181_65
.LBB181_84:
	ds_read_b32 v10, v9 offset:64
	s_waitcnt lgkmcnt(0)
	v_add_f32_e32 v6, v6, v10
	s_or_b32 exec_lo, exec_lo, s0
	s_and_saveexec_b32 s0, vcc_lo
	s_cbranch_execz .LBB181_66
.LBB181_85:
	ds_read_b32 v10, v9 offset:96
	s_waitcnt lgkmcnt(0)
	v_add_f32_e32 v5, v5, v10
	s_or_b32 exec_lo, exec_lo, s0
	s_and_saveexec_b32 s0, vcc_lo
	s_cbranch_execz .LBB181_67
.LBB181_86:
	ds_read_b32 v10, v9 offset:128
	s_waitcnt lgkmcnt(0)
	v_add_f32_e32 v4, v4, v10
	s_or_b32 exec_lo, exec_lo, s0
	s_and_saveexec_b32 s0, vcc_lo
	s_cbranch_execz .LBB181_68
.LBB181_87:
	ds_read_b32 v10, v9 offset:160
	s_waitcnt lgkmcnt(0)
	v_add_f32_e32 v3, v3, v10
	s_or_b32 exec_lo, exec_lo, s0
	s_and_saveexec_b32 s0, vcc_lo
	s_cbranch_execz .LBB181_69
.LBB181_88:
	ds_read_b32 v10, v9 offset:192
	s_waitcnt lgkmcnt(0)
	v_add_f32_e32 v2, v2, v10
	s_or_b32 exec_lo, exec_lo, s0
	s_and_saveexec_b32 s0, vcc_lo
	s_cbranch_execnz .LBB181_70
	s_branch .LBB181_71
	.section	.rodata,"a",@progbits
	.p2align	6, 0x0
	.amdhsa_kernel _ZN4vllm25paged_attention_v2_kernelI14__hip_bfloat16S1_Li64ELi32ELi128ELNS_18Fp8KVCacheDataTypeE0ELb0ELi512EEEvPfS3_PT_PKS4_PKT0_SA_ifPKiSC_iPKfiiiSE_SE_iiiii
		.amdhsa_group_segment_fixed_size 160
		.amdhsa_private_segment_fixed_size 0
		.amdhsa_kernarg_size 400
		.amdhsa_user_sgpr_count 6
		.amdhsa_user_sgpr_private_segment_buffer 1
		.amdhsa_user_sgpr_dispatch_ptr 0
		.amdhsa_user_sgpr_queue_ptr 0
		.amdhsa_user_sgpr_kernarg_segment_ptr 1
		.amdhsa_user_sgpr_dispatch_id 0
		.amdhsa_user_sgpr_flat_scratch_init 0
		.amdhsa_user_sgpr_private_segment_size 0
		.amdhsa_wavefront_size32 1
		.amdhsa_uses_dynamic_stack 0
		.amdhsa_system_sgpr_private_segment_wavefront_offset 0
		.amdhsa_system_sgpr_workgroup_id_x 1
		.amdhsa_system_sgpr_workgroup_id_y 1
		.amdhsa_system_sgpr_workgroup_id_z 1
		.amdhsa_system_sgpr_workgroup_info 0
		.amdhsa_system_vgpr_workitem_id 0
		.amdhsa_next_free_vgpr 115
		.amdhsa_next_free_sgpr 38
		.amdhsa_reserve_vcc 1
		.amdhsa_reserve_flat_scratch 0
		.amdhsa_float_round_mode_32 0
		.amdhsa_float_round_mode_16_64 0
		.amdhsa_float_denorm_mode_32 3
		.amdhsa_float_denorm_mode_16_64 3
		.amdhsa_dx10_clamp 1
		.amdhsa_ieee_mode 1
		.amdhsa_fp16_overflow 0
		.amdhsa_workgroup_processor_mode 1
		.amdhsa_memory_ordered 1
		.amdhsa_forward_progress 1
		.amdhsa_shared_vgpr_count 0
		.amdhsa_exception_fp_ieee_invalid_op 0
		.amdhsa_exception_fp_denorm_src 0
		.amdhsa_exception_fp_ieee_div_zero 0
		.amdhsa_exception_fp_ieee_overflow 0
		.amdhsa_exception_fp_ieee_underflow 0
		.amdhsa_exception_fp_ieee_inexact 0
		.amdhsa_exception_int_div_zero 0
	.end_amdhsa_kernel
	.section	.text._ZN4vllm25paged_attention_v2_kernelI14__hip_bfloat16S1_Li64ELi32ELi128ELNS_18Fp8KVCacheDataTypeE0ELb0ELi512EEEvPfS3_PT_PKS4_PKT0_SA_ifPKiSC_iPKfiiiSE_SE_iiiii,"axG",@progbits,_ZN4vllm25paged_attention_v2_kernelI14__hip_bfloat16S1_Li64ELi32ELi128ELNS_18Fp8KVCacheDataTypeE0ELb0ELi512EEEvPfS3_PT_PKS4_PKT0_SA_ifPKiSC_iPKfiiiSE_SE_iiiii,comdat
.Lfunc_end181:
	.size	_ZN4vllm25paged_attention_v2_kernelI14__hip_bfloat16S1_Li64ELi32ELi128ELNS_18Fp8KVCacheDataTypeE0ELb0ELi512EEEvPfS3_PT_PKS4_PKT0_SA_ifPKiSC_iPKfiiiSE_SE_iiiii, .Lfunc_end181-_ZN4vllm25paged_attention_v2_kernelI14__hip_bfloat16S1_Li64ELi32ELi128ELNS_18Fp8KVCacheDataTypeE0ELb0ELi512EEEvPfS3_PT_PKS4_PKT0_SA_ifPKiSC_iPKfiiiSE_SE_iiiii
                                        ; -- End function
	.set _ZN4vllm25paged_attention_v2_kernelI14__hip_bfloat16S1_Li64ELi32ELi128ELNS_18Fp8KVCacheDataTypeE0ELb0ELi512EEEvPfS3_PT_PKS4_PKT0_SA_ifPKiSC_iPKfiiiSE_SE_iiiii.num_vgpr, 115
	.set _ZN4vllm25paged_attention_v2_kernelI14__hip_bfloat16S1_Li64ELi32ELi128ELNS_18Fp8KVCacheDataTypeE0ELb0ELi512EEEvPfS3_PT_PKS4_PKT0_SA_ifPKiSC_iPKfiiiSE_SE_iiiii.num_agpr, 0
	.set _ZN4vllm25paged_attention_v2_kernelI14__hip_bfloat16S1_Li64ELi32ELi128ELNS_18Fp8KVCacheDataTypeE0ELb0ELi512EEEvPfS3_PT_PKS4_PKT0_SA_ifPKiSC_iPKfiiiSE_SE_iiiii.numbered_sgpr, 38
	.set _ZN4vllm25paged_attention_v2_kernelI14__hip_bfloat16S1_Li64ELi32ELi128ELNS_18Fp8KVCacheDataTypeE0ELb0ELi512EEEvPfS3_PT_PKS4_PKT0_SA_ifPKiSC_iPKfiiiSE_SE_iiiii.num_named_barrier, 0
	.set _ZN4vllm25paged_attention_v2_kernelI14__hip_bfloat16S1_Li64ELi32ELi128ELNS_18Fp8KVCacheDataTypeE0ELb0ELi512EEEvPfS3_PT_PKS4_PKT0_SA_ifPKiSC_iPKfiiiSE_SE_iiiii.private_seg_size, 0
	.set _ZN4vllm25paged_attention_v2_kernelI14__hip_bfloat16S1_Li64ELi32ELi128ELNS_18Fp8KVCacheDataTypeE0ELb0ELi512EEEvPfS3_PT_PKS4_PKT0_SA_ifPKiSC_iPKfiiiSE_SE_iiiii.uses_vcc, 1
	.set _ZN4vllm25paged_attention_v2_kernelI14__hip_bfloat16S1_Li64ELi32ELi128ELNS_18Fp8KVCacheDataTypeE0ELb0ELi512EEEvPfS3_PT_PKS4_PKT0_SA_ifPKiSC_iPKfiiiSE_SE_iiiii.uses_flat_scratch, 0
	.set _ZN4vllm25paged_attention_v2_kernelI14__hip_bfloat16S1_Li64ELi32ELi128ELNS_18Fp8KVCacheDataTypeE0ELb0ELi512EEEvPfS3_PT_PKS4_PKT0_SA_ifPKiSC_iPKfiiiSE_SE_iiiii.has_dyn_sized_stack, 0
	.set _ZN4vllm25paged_attention_v2_kernelI14__hip_bfloat16S1_Li64ELi32ELi128ELNS_18Fp8KVCacheDataTypeE0ELb0ELi512EEEvPfS3_PT_PKS4_PKT0_SA_ifPKiSC_iPKfiiiSE_SE_iiiii.has_recursion, 0
	.set _ZN4vllm25paged_attention_v2_kernelI14__hip_bfloat16S1_Li64ELi32ELi128ELNS_18Fp8KVCacheDataTypeE0ELb0ELi512EEEvPfS3_PT_PKS4_PKT0_SA_ifPKiSC_iPKfiiiSE_SE_iiiii.has_indirect_call, 0
	.section	.AMDGPU.csdata,"",@progbits
; Kernel info:
; codeLenInByte = 10956
; TotalNumSgprs: 40
; NumVgprs: 115
; ScratchSize: 0
; MemoryBound: 0
; FloatMode: 240
; IeeeMode: 1
; LDSByteSize: 160 bytes/workgroup (compile time only)
; SGPRBlocks: 0
; VGPRBlocks: 14
; NumSGPRsForWavesPerEU: 40
; NumVGPRsForWavesPerEU: 115
; Occupancy: 8
; WaveLimiterHint : 1
; COMPUTE_PGM_RSRC2:SCRATCH_EN: 0
; COMPUTE_PGM_RSRC2:USER_SGPR: 6
; COMPUTE_PGM_RSRC2:TRAP_HANDLER: 0
; COMPUTE_PGM_RSRC2:TGID_X_EN: 1
; COMPUTE_PGM_RSRC2:TGID_Y_EN: 1
; COMPUTE_PGM_RSRC2:TGID_Z_EN: 1
; COMPUTE_PGM_RSRC2:TIDIG_COMP_CNT: 0
	.section	.text._ZN4vllm25paged_attention_v2_kernelI14__hip_bfloat16S1_Li80ELi32ELi128ELNS_18Fp8KVCacheDataTypeE0ELb0ELi512EEEvPfS3_PT_PKS4_PKT0_SA_ifPKiSC_iPKfiiiSE_SE_iiiii,"axG",@progbits,_ZN4vllm25paged_attention_v2_kernelI14__hip_bfloat16S1_Li80ELi32ELi128ELNS_18Fp8KVCacheDataTypeE0ELb0ELi512EEEvPfS3_PT_PKS4_PKT0_SA_ifPKiSC_iPKfiiiSE_SE_iiiii,comdat
	.protected	_ZN4vllm25paged_attention_v2_kernelI14__hip_bfloat16S1_Li80ELi32ELi128ELNS_18Fp8KVCacheDataTypeE0ELb0ELi512EEEvPfS3_PT_PKS4_PKT0_SA_ifPKiSC_iPKfiiiSE_SE_iiiii ; -- Begin function _ZN4vllm25paged_attention_v2_kernelI14__hip_bfloat16S1_Li80ELi32ELi128ELNS_18Fp8KVCacheDataTypeE0ELb0ELi512EEEvPfS3_PT_PKS4_PKT0_SA_ifPKiSC_iPKfiiiSE_SE_iiiii
	.globl	_ZN4vllm25paged_attention_v2_kernelI14__hip_bfloat16S1_Li80ELi32ELi128ELNS_18Fp8KVCacheDataTypeE0ELb0ELi512EEEvPfS3_PT_PKS4_PKT0_SA_ifPKiSC_iPKfiiiSE_SE_iiiii
	.p2align	8
	.type	_ZN4vllm25paged_attention_v2_kernelI14__hip_bfloat16S1_Li80ELi32ELi128ELNS_18Fp8KVCacheDataTypeE0ELb0ELi512EEEvPfS3_PT_PKS4_PKT0_SA_ifPKiSC_iPKfiiiSE_SE_iiiii,@function
_ZN4vllm25paged_attention_v2_kernelI14__hip_bfloat16S1_Li80ELi32ELi128ELNS_18Fp8KVCacheDataTypeE0ELb0ELi512EEEvPfS3_PT_PKS4_PKT0_SA_ifPKiSC_iPKfiiiSE_SE_iiiii: ; @_ZN4vllm25paged_attention_v2_kernelI14__hip_bfloat16S1_Li80ELi32ELi128ELNS_18Fp8KVCacheDataTypeE0ELb0ELi512EEEvPfS3_PT_PKS4_PKT0_SA_ifPKiSC_iPKfiiiSE_SE_iiiii
; %bb.0:
	s_mov_b64 s[42:43], s[2:3]
	s_mov_b64 s[40:41], s[0:1]
	s_load_dwordx2 s[0:1], s[4:5], 0x40
	s_add_u32 s40, s40, s9
	s_addc_u32 s41, s41, 0
	s_mov_b32 s24, s7
	s_ashr_i32 s25, s7, 31
	s_lshl_b64 s[2:3], s[24:25], 2
	s_waitcnt lgkmcnt(0)
	s_add_u32 s0, s0, s2
	s_addc_u32 s1, s1, s3
	s_lshl_b32 s30, s8, 9
	s_load_dword s25, s[0:1], 0x0
	s_waitcnt lgkmcnt(0)
	s_cmp_ge_i32 s30, s25
	s_cbranch_scc1 .LBB182_82
; %bb.1:
	s_clause 0x1
	s_load_dword s9, s[4:5], 0x90
	s_load_dwordx2 s[2:3], s[4:5], 0x30
	v_mov_b32_e32 v78, v0
	s_mov_b32 s33, 0
	s_waitcnt lgkmcnt(0)
	s_abs_i32 s10, s9
	s_abs_i32 s0, s2
	s_xor_b32 s2, s9, s2
	v_cvt_f32_u32_e32 v0, s0
	s_sub_i32 s7, 0, s0
	s_ashr_i32 s2, s2, 31
	v_rcp_iflag_f32_e32 v0, v0
	v_mul_f32_e32 v0, 0x4f7ffffe, v0
	v_cvt_u32_f32_e32 v0, v0
	v_readfirstlane_b32 s1, v0
	s_mul_i32 s7, s7, s1
	s_mul_hi_u32 s7, s1, s7
	s_add_i32 s1, s1, s7
	s_mul_hi_u32 s1, s10, s1
	s_mul_i32 s7, s1, s0
	s_sub_i32 s7, s10, s7
	s_add_i32 s10, s1, 1
	s_sub_i32 s11, s7, s0
	s_cmp_ge_u32 s7, s0
	s_cselect_b32 s1, s10, s1
	s_cselect_b32 s7, s11, s7
	s_add_i32 s10, s1, 1
	s_cmp_ge_u32 s7, s0
	s_cselect_b32 s0, s10, s1
	s_abs_i32 s29, s6
	s_xor_b32 s0, s0, s2
	s_sub_i32 s10, s0, s2
	s_load_dwordx2 s[0:1], s[4:5], 0x50
	s_abs_i32 s2, s10
	v_cvt_f32_u32_e32 v0, s2
	s_sub_i32 s11, 0, s2
	v_rcp_iflag_f32_e32 v0, v0
	v_mul_f32_e32 v0, 0x4f7ffffe, v0
	v_cvt_u32_f32_e32 v0, v0
	v_readfirstlane_b32 s7, v0
	s_mul_i32 s11, s11, s7
	s_mul_hi_u32 s11, s7, s11
	s_add_i32 s7, s7, s11
	s_waitcnt lgkmcnt(0)
	s_cmp_eq_u64 s[0:1], 0
	s_mul_hi_u32 s28, s29, s7
	s_cbranch_scc1 .LBB182_3
; %bb.2:
	s_ashr_i32 s7, s6, 31
	s_lshl_b64 s[12:13], s[6:7], 2
	s_add_u32 s0, s0, s12
	s_addc_u32 s1, s1, s13
	s_load_dword s33, s[0:1], 0x0
.LBB182_3:
	s_clause 0x1
	s_load_dwordx2 s[22:23], s[4:5], 0x38
	s_load_dwordx4 s[12:15], s[4:5], 0x58
	v_lshlrev_b32_e32 v10, 4, v78
	s_ashr_i32 s0, s6, 31
	s_ashr_i32 s1, s10, 31
	s_mul_i32 s10, s6, 0x50
	s_mov_b32 s7, exec_lo
	v_cmpx_gt_u32_e32 10, v78
	s_cbranch_execz .LBB182_5
; %bb.4:
	s_load_dwordx2 s[16:17], s[4:5], 0x18
	s_waitcnt lgkmcnt(0)
	s_mul_i32 s18, s12, s24
	s_ashr_i32 s19, s18, 31
	s_lshl_b64 s[18:19], s[18:19], 1
	s_add_u32 s12, s16, s18
	s_addc_u32 s15, s17, s19
	s_ashr_i32 s11, s10, 31
	s_lshl_b64 s[16:17], s[10:11], 1
	s_add_u32 s16, s12, s16
	s_addc_u32 s17, s15, s17
	global_load_dwordx4 v[0:3], v10, s[16:17]
	s_waitcnt vmcnt(0)
	ds_write_b128 v10, v[0:3]
.LBB182_5:
	s_or_b32 exec_lo, exec_lo, s7
	s_add_i32 s7, s25, 31
	s_clause 0x1
	s_load_dwordx4 s[16:19], s[4:5], 0x0
	s_load_dwordx2 s[20:21], s[4:5], 0x10
	s_ashr_i32 s11, s7, 31
	s_lshl_b32 s31, s8, 4
	s_lshr_b32 s11, s11, 27
	s_mul_i32 s34, s28, s2
	s_add_i32 s7, s7, s11
	s_add_i32 s11, s31, 16
	s_waitcnt lgkmcnt(0)
	s_ashr_i32 s12, s7, 5
	s_clause 0x2
	s_load_dwordx2 s[26:27], s[4:5], 0x28
	s_load_dword s7, s[4:5], 0x98
	s_load_dword s15, s[4:5], 0x48
	s_xor_b32 s0, s0, s1
	s_sub_i32 s1, s29, s34
	s_min_i32 s11, s11, s12
	s_add_i32 s29, s28, 1
	s_sub_i32 s34, s1, s2
	s_cmp_ge_u32 s1, s2
	v_lshrrev_b32_e32 v25, 5, v78
	s_cselect_b32 s28, s29, s28
	s_cselect_b32 s1, s34, s1
	s_add_i32 s29, s28, 1
	s_cmp_ge_u32 s1, s2
	v_add_nc_u32_e32 v49, s31, v25
	v_and_b32_e32 v26, 31, v78
	s_cselect_b32 s1, s29, s28
	v_mov_b32_e32 v45, 0xff7fffff
	s_xor_b32 s1, s1, s0
	v_ashrrev_i32_e32 v50, 31, v49
	s_sub_i32 s1, s1, s0
	v_cmp_gt_i32_e64 s0, s11, v49
	v_lshlrev_b32_e32 v27, 5, v25
	v_lshlrev_b32_e32 v28, 2, v26
	s_waitcnt lgkmcnt(0)
	s_mul_i32 s28, s15, s24
	s_mul_i32 s14, s1, s14
	s_ashr_i32 s29, s28, 31
	s_barrier
	buffer_gl0_inv
	s_and_saveexec_b32 s34, s0
	s_cbranch_execz .LBB182_9
; %bb.6:
	v_mov_b32_e32 v24, 0
	buffer_store_dword v10, off, s[40:43], 0 offset:36 ; 4-byte Folded Spill
	buffer_store_dword v78, off, s[40:43], 0 offset:24 ; 4-byte Folded Spill
	s_load_dwordx2 s[4:5], s[4:5], 0x20
	s_ashr_i32 s15, s14, 31
	v_mov_b32_e32 v45, 0xff7fffff
	ds_read_b128 v[0:3], v24
	ds_read_b128 v[4:7], v24 offset:16
	ds_read_b128 v[8:11], v24 offset:32
	;; [unrolled: 1-line block ×5, first 2 shown]
	s_lshl_b64 s[36:37], s[14:15], 1
	v_mov_b32_e32 v47, v49
	s_waitcnt lgkmcnt(0)
	v_and_b32_e32 v29, 0xffff0000, v0
	v_lshlrev_b32_e32 v0, 16, v0
	v_and_b32_e32 v62, 0xffff0000, v1
	v_lshlrev_b32_e32 v63, 16, v1
	;; [unrolled: 2-line block ×3, first 2 shown]
	buffer_store_dword v0, off, s[40:43], 0 offset:4 ; 4-byte Folded Spill
	v_and_b32_e32 v0, 0xffff0000, v4
	v_and_b32_e32 v78, 0xffff0000, v3
	v_lshlrev_b32_e32 v79, 16, v3
	v_and_b32_e32 v56, 0xffff0000, v12
	v_lshlrev_b32_e32 v57, 16, v12
	buffer_store_dword v0, off, s[40:43], 0 offset:8 ; 4-byte Folded Spill
	v_lshlrev_b32_e32 v0, 16, v4
	v_and_b32_e32 v64, 0xffff0000, v5
	v_lshlrev_b32_e32 v65, 16, v5
	v_and_b32_e32 v66, 0xffff0000, v9
	v_lshlrev_b32_e32 v67, 16, v9
	buffer_store_dword v0, off, s[40:43], 0 offset:12 ; 4-byte Folded Spill
	v_and_b32_e32 v0, 0xffff0000, v8
	v_and_b32_e32 v68, 0xffff0000, v13
	v_lshlrev_b32_e32 v69, 16, v13
	v_and_b32_e32 v76, 0xffff0000, v6
	v_lshlrev_b32_e32 v77, 16, v6
	buffer_store_dword v0, off, s[40:43], 0 offset:16 ; 4-byte Folded Spill
	v_lshlrev_b32_e32 v0, 16, v8
	v_and_b32_e32 v80, 0xffff0000, v10
	v_lshlrev_b32_e32 v81, 16, v10
	v_and_b32_e32 v82, 0xffff0000, v7
	v_lshlrev_b32_e32 v83, 16, v7
	buffer_store_dword v0, off, s[40:43], 0 offset:20 ; 4-byte Folded Spill
	ds_read_b128 v[0:3], v24 offset:96
	ds_read_b128 v[4:7], v24 offset:112
	v_and_b32_e32 v84, 0xffff0000, v14
	v_lshlrev_b32_e32 v85, 16, v14
	v_and_b32_e32 v86, 0xffff0000, v11
	v_lshlrev_b32_e32 v87, 16, v11
	;; [unrolled: 2-line block ×3, first 2 shown]
	ds_read_b128 v[8:11], v24 offset:128
	ds_read_b128 v[12:15], v24 offset:144
	s_add_u32 s1, s4, s36
	s_addc_u32 s2, s5, s37
	s_lshl_b64 s[36:37], s[28:29], 2
	s_sub_i32 s4, 1, s25
	s_add_u32 s5, s22, s36
	s_addc_u32 s15, s23, s37
	v_and_b32_e32 v58, 0xffff0000, v16
	v_lshlrev_b32_e32 v59, 16, v16
	v_and_b32_e32 v60, 0xffff0000, v20
	v_lshlrev_b32_e32 v61, 16, v20
	s_waitcnt lgkmcnt(3)
	v_and_b32_e32 v98, 0xffff0000, v0
	v_lshlrev_b32_e32 v99, 16, v0
	v_and_b32_e32 v100, 0xffff0000, v1
	v_lshlrev_b32_e32 v101, 16, v1
	v_lshlrev_b64 v[0:1], 2, v[49:50]
	v_and_b32_e32 v104, 0xffff0000, v3
	v_lshlrev_b32_e32 v105, 16, v3
	v_lshlrev_b32_e32 v3, 4, v26
	v_and_b32_e32 v102, 0xffff0000, v2
	v_lshlrev_b32_e32 v103, 16, v2
	v_lshl_or_b32 v2, v25, 7, v28
	v_add_co_u32 v41, vcc_lo, s5, v0
	v_add_co_u32 v53, s1, s1, v3
	v_and_b32_e32 v70, 0xffff0000, v17
	v_lshlrev_b32_e32 v71, 16, v17
	v_and_b32_e32 v72, 0xffff0000, v21
	v_lshlrev_b32_e32 v73, 16, v21
	;; [unrolled: 2-line block ×6, first 2 shown]
	s_waitcnt lgkmcnt(2)
	v_and_b32_e32 v106, 0xffff0000, v4
	v_lshlrev_b32_e32 v107, 16, v4
	v_and_b32_e32 v108, 0xffff0000, v5
	v_lshlrev_b32_e32 v109, 16, v5
	v_and_b32_e32 v110, 0xffff0000, v6
	v_lshlrev_b32_e32 v111, 16, v6
	v_and_b32_e32 v112, 0xffff0000, v7
	v_lshlrev_b32_e32 v113, 16, v7
	s_waitcnt lgkmcnt(1)
	v_and_b32_e32 v114, 0xffff0000, v8
	v_lshlrev_b32_e32 v115, 16, v8
	v_and_b32_e32 v116, 0xffff0000, v9
	v_lshlrev_b32_e32 v117, 16, v9
	v_and_b32_e32 v118, 0xffff0000, v10
	v_lshlrev_b32_e32 v119, 16, v10
	v_and_b32_e32 v120, 0xffff0000, v11
	v_lshlrev_b32_e32 v121, 16, v11
	;; [unrolled: 9-line block ×3, first 2 shown]
	v_add_co_ci_u32_e64 v42, null, s15, v1, vcc_lo
	v_cmp_neq_f32_e64 vcc_lo, s33, 0
	v_add_nc_u32_e32 v52, 0xc0, v2
	v_add_co_ci_u32_e64 v46, null, s2, 0, s1
	v_add3_u32 v0, s30, v27, v26
	s_mov_b32 s15, s13
	s_mov_b32 s5, 0
	buffer_store_dword v29, off, s[40:43], 0 ; 4-byte Folded Spill
	buffer_store_dword v25, off, s[40:43], 0 offset:28 ; 4-byte Folded Spill
	buffer_store_dword v28, off, s[40:43], 0 offset:44 ; 4-byte Folded Spill
	;; [unrolled: 1-line block ×4, first 2 shown]
.LBB182_7:                              ; =>This Inner Loop Header: Depth=1
	global_load_dword v1, v[41:42], off
	v_add_nc_u32_e32 v3, s4, v0
	v_add_nc_u32_e32 v47, 4, v47
	v_cvt_f32_i32_e32 v3, v3
	v_mul_f32_e32 v3, s33, v3
	v_cndmask_b32_e32 v48, 0, v3, vcc_lo
	s_waitcnt vmcnt(0)
	v_mad_i64_i32 v[1:2], null, v1, s15, 0
	v_lshlrev_b64 v[1:2], 1, v[1:2]
	v_add_co_u32 v1, s1, v53, v1
	v_add_co_ci_u32_e64 v2, null, v46, v2, s1
	v_cmp_gt_i32_e64 s1, s25, v0
	v_add_co_u32 v3, s2, 0x800, v1
	v_add_co_ci_u32_e64 v4, null, 0, v2, s2
	v_add_co_u32 v5, s2, v1, 0x1000
	s_clause 0x3
	global_load_dwordx4 v[37:40], v[1:2], off
	global_load_dwordx4 v[33:36], v[1:2], off offset:512
	global_load_dwordx4 v[29:32], v[1:2], off offset:1024
	;; [unrolled: 1-line block ×3, first 2 shown]
	v_add_co_ci_u32_e64 v6, null, 0, v2, s2
	v_add_co_u32 v1, s2, 0x1000, v1
	v_add_co_ci_u32_e64 v2, null, 0, v2, s2
	s_clause 0x5
	global_load_dwordx4 v[21:24], v[5:6], off offset:-2048
	global_load_dwordx4 v[17:20], v[3:4], off offset:512
	global_load_dwordx4 v[13:16], v[3:4], off offset:1024
	;; [unrolled: 1-line block ×3, first 2 shown]
	global_load_dwordx4 v[5:8], v[5:6], off
	global_load_dwordx4 v[1:4], v[1:2], off offset:512
	buffer_load_dword v55, off, s[40:43], 0 offset:12 ; 4-byte Folded Reload
	v_add_nc_u32_e32 v0, 0x80, v0
	s_waitcnt vmcnt(10)
	v_lshlrev_b32_e32 v51, 16, v37
	v_and_b32_e32 v54, 0xffff0000, v37
	s_waitcnt vmcnt(9)
	v_and_b32_e32 v37, 0xffff0000, v33
	v_lshlrev_b32_e32 v33, 16, v33
	s_waitcnt vmcnt(0)
	v_mul_f32_e32 v33, v55, v33
	buffer_load_dword v55, off, s[40:43], 0 offset:8 ; 4-byte Folded Reload
	s_waitcnt vmcnt(0)
	v_mul_f32_e32 v37, v55, v37
	buffer_load_dword v55, off, s[40:43], 0 ; 4-byte Folded Reload
	s_waitcnt vmcnt(0)
	v_fmac_f32_e32 v37, v55, v54
	buffer_load_dword v54, off, s[40:43], 0 offset:4 ; 4-byte Folded Reload
	s_waitcnt vmcnt(0)
	v_fmac_f32_e32 v33, v54, v51
	buffer_load_dword v54, off, s[40:43], 0 offset:20 ; 4-byte Folded Reload
	v_and_b32_e32 v51, 0xffff0000, v29
	v_lshlrev_b32_e32 v29, 16, v29
	s_waitcnt vmcnt(0)
	v_fmac_f32_e32 v33, v54, v29
	buffer_load_dword v29, off, s[40:43], 0 offset:16 ; 4-byte Folded Reload
	s_waitcnt vmcnt(0)
	v_fmac_f32_e32 v37, v29, v51
	v_lshlrev_b32_e32 v29, 16, v25
	v_and_b32_e32 v25, 0xffff0000, v25
	v_fmac_f32_e32 v33, v57, v29
	v_fmac_f32_e32 v37, v56, v25
	v_and_b32_e32 v25, 0xffff0000, v21
	v_lshlrev_b32_e32 v21, 16, v21
	v_fmac_f32_e32 v37, v58, v25
	v_fmac_f32_e32 v33, v59, v21
	v_lshlrev_b32_e32 v21, 16, v17
	v_and_b32_e32 v17, 0xffff0000, v17
	v_fmac_f32_e32 v33, v61, v21
	v_fmac_f32_e32 v37, v60, v17
	v_and_b32_e32 v17, 0xffff0000, v13
	v_lshlrev_b32_e32 v13, 16, v13
	v_fmac_f32_e32 v37, v98, v17
	v_fmac_f32_e32 v33, v99, v13
	v_lshlrev_b32_e32 v13, 16, v9
	v_and_b32_e32 v9, 0xffff0000, v9
	v_fmac_f32_e32 v33, v107, v13
	v_fmac_f32_e32 v37, v106, v9
	v_and_b32_e32 v9, 0xffff0000, v5
	v_lshlrev_b32_e32 v5, 16, v5
	v_and_b32_e32 v13, 0xffff0000, v38
	v_fmac_f32_e32 v37, v114, v9
	v_fmac_f32_e32 v33, v115, v5
	v_lshlrev_b32_e32 v5, 16, v1
	v_and_b32_e32 v1, 0xffff0000, v1
	v_lshlrev_b32_e32 v9, 16, v38
	v_fmac_f32_e32 v33, v123, v5
	v_fmac_f32_e32 v37, v122, v1
	v_and_b32_e32 v5, 0xffff0000, v34
	v_lshlrev_b32_e32 v1, 16, v34
	v_mul_f32_e32 v5, v64, v5
	v_mul_f32_e32 v1, v65, v1
	v_fmac_f32_e32 v5, v62, v13
	v_fmac_f32_e32 v1, v63, v9
	v_and_b32_e32 v9, 0xffff0000, v30
	v_lshlrev_b32_e32 v13, 16, v30
	v_fmac_f32_e32 v5, v66, v9
	v_fmac_f32_e32 v1, v67, v13
	v_lshlrev_b32_e32 v9, 16, v26
	v_and_b32_e32 v13, 0xffff0000, v26
	v_fmac_f32_e32 v1, v69, v9
	v_fmac_f32_e32 v5, v68, v13
	v_and_b32_e32 v9, 0xffff0000, v22
	v_lshlrev_b32_e32 v13, 16, v22
	v_fmac_f32_e32 v5, v70, v9
	v_fmac_f32_e32 v1, v71, v13
	v_lshlrev_b32_e32 v9, 16, v18
	v_and_b32_e32 v13, 0xffff0000, v18
	v_fmac_f32_e32 v1, v73, v9
	v_fmac_f32_e32 v5, v72, v13
	v_and_b32_e32 v9, 0xffff0000, v14
	v_lshlrev_b32_e32 v13, 16, v14
	v_fmac_f32_e32 v5, v100, v9
	v_fmac_f32_e32 v1, v101, v13
	v_lshlrev_b32_e32 v9, 16, v10
	v_and_b32_e32 v10, 0xffff0000, v10
	v_fmac_f32_e32 v1, v109, v9
	v_fmac_f32_e32 v5, v108, v10
	v_and_b32_e32 v9, 0xffff0000, v6
	v_lshlrev_b32_e32 v6, 16, v6
	v_and_b32_e32 v10, 0xffff0000, v39
	v_fmac_f32_e32 v5, v116, v9
	v_fmac_f32_e32 v1, v117, v6
	v_lshlrev_b32_e32 v6, 16, v2
	v_and_b32_e32 v2, 0xffff0000, v2
	v_lshlrev_b32_e32 v9, 16, v39
	v_fmac_f32_e32 v1, v125, v6
	v_fmac_f32_e32 v5, v124, v2
	v_and_b32_e32 v6, 0xffff0000, v35
	v_lshlrev_b32_e32 v2, 16, v35
	v_mul_f32_e32 v6, v76, v6
	v_mul_f32_e32 v2, v77, v2
	v_fmac_f32_e32 v6, v74, v10
	v_fmac_f32_e32 v2, v75, v9
	v_and_b32_e32 v9, 0xffff0000, v31
	v_lshlrev_b32_e32 v10, 16, v31
	v_fmac_f32_e32 v6, v80, v9
	;; [unrolled: 40-line block ×3, first 2 shown]
	v_fmac_f32_e32 v3, v87, v10
	v_lshlrev_b32_e32 v9, 16, v28
	v_and_b32_e32 v10, 0xffff0000, v28
	v_fmac_f32_e32 v3, v91, v9
	v_fmac_f32_e32 v7, v90, v10
	v_and_b32_e32 v9, 0xffff0000, v24
	v_lshlrev_b32_e32 v10, 16, v24
	v_fmac_f32_e32 v7, v94, v9
	v_fmac_f32_e32 v3, v95, v10
	v_lshlrev_b32_e32 v9, 16, v20
	v_and_b32_e32 v10, 0xffff0000, v20
	v_fmac_f32_e32 v3, v97, v9
	v_fmac_f32_e32 v7, v96, v10
	v_and_b32_e32 v9, 0xffff0000, v16
	v_lshlrev_b32_e32 v10, 16, v16
	v_fmac_f32_e32 v7, v104, v9
	;; [unrolled: 8-line block ×3, first 2 shown]
	v_fmac_f32_e32 v3, v121, v8
	v_lshlrev_b32_e32 v8, 16, v4
	v_and_b32_e32 v4, 0xffff0000, v4
	v_fmac_f32_e32 v3, v43, v8
	v_fmac_f32_e32 v7, v44, v4
	v_add_f32_e32 v4, v33, v37
	v_add_f32_e32 v1, v4, v1
	;; [unrolled: 1-line block ×4, first 2 shown]
	v_max_f32_e32 v2, v45, v45
	v_add_f32_e32 v1, v6, v1
	v_add_f32_e32 v1, v3, v1
	;; [unrolled: 1-line block ×3, first 2 shown]
	v_fmac_f32_e32 v48, s3, v1
	v_max_f32_e32 v2, v2, v48
	v_cndmask_b32_e64 v1, 0, v48, s1
	v_cndmask_b32_e64 v45, v45, v2, s1
	v_add_co_u32 v41, s1, v41, 16
	v_add_co_ci_u32_e64 v42, null, 0, v42, s1
	v_cmp_le_i32_e64 s1, s11, v47
	ds_write_b32 v52, v1
	v_add_nc_u32_e32 v52, 0x200, v52
	s_or_b32 s5, s1, s5
	s_andn2_b32 exec_lo, exec_lo, s5
	s_cbranch_execnz .LBB182_7
; %bb.8:
	s_or_b32 exec_lo, exec_lo, s5
	s_clause 0x5
	buffer_load_dword v78, off, s[40:43], 0 offset:24
	buffer_load_dword v25, off, s[40:43], 0 offset:28
	;; [unrolled: 1-line block ×6, first 2 shown]
.LBB182_9:
	s_or_b32 exec_lo, exec_lo, s34
	v_mbcnt_lo_u32_b32 v0, -1, 0
	v_max_f32_e32 v4, v45, v45
	v_xor_b32_e32 v1, 16, v0
	v_xor_b32_e32 v3, 8, v0
	v_cmp_gt_i32_e32 vcc_lo, 32, v1
	v_cndmask_b32_e32 v1, v0, v1, vcc_lo
	v_cmp_gt_i32_e32 vcc_lo, 32, v3
	v_lshlrev_b32_e32 v1, 2, v1
	v_cndmask_b32_e32 v3, v0, v3, vcc_lo
	ds_bpermute_b32 v2, v1, v45
	s_waitcnt lgkmcnt(0)
	v_max_f32_e32 v5, v2, v2
	v_lshlrev_b32_e32 v2, 2, v3
	v_max_f32_e32 v3, v4, v5
	v_xor_b32_e32 v5, 4, v0
	ds_bpermute_b32 v4, v2, v3
	v_cmp_gt_i32_e32 vcc_lo, 32, v5
	v_cndmask_b32_e32 v5, v0, v5, vcc_lo
	s_waitcnt lgkmcnt(0)
	v_max_f32_e32 v6, v4, v4
	v_lshlrev_b32_e32 v4, 2, v5
	v_max_f32_e32 v3, v3, v6
	v_xor_b32_e32 v6, 2, v0
	ds_bpermute_b32 v5, v4, v3
	v_cmp_gt_i32_e32 vcc_lo, 32, v6
	v_cndmask_b32_e32 v6, v0, v6, vcc_lo
	v_lshlrev_b32_e32 v55, 2, v6
	v_xor_b32_e32 v6, 1, v0
	v_cmp_gt_i32_e32 vcc_lo, 32, v6
	s_waitcnt lgkmcnt(0)
	v_max_f32_e32 v5, v5, v5
	v_cndmask_b32_e32 v6, v0, v6, vcc_lo
	s_waitcnt vmcnt(3)
	v_cmp_eq_u32_e32 vcc_lo, 0, v26
	v_max_f32_e32 v3, v3, v5
	v_lshlrev_b32_e32 v54, 2, v6
	ds_bpermute_b32 v5, v55, v3
	s_waitcnt lgkmcnt(0)
	v_max_f32_e32 v5, v5, v5
	v_max_f32_e32 v0, v3, v5
	v_lshlrev_b32_e32 v5, 2, v25
	ds_bpermute_b32 v3, v54, v0
	s_and_saveexec_b32 s1, vcc_lo
	s_cbranch_execz .LBB182_11
; %bb.10:
	s_waitcnt lgkmcnt(0)
	v_max_f32_e32 v3, v3, v3
	v_max_f32_e32 v0, v0, v0
	;; [unrolled: 1-line block ×3, first 2 shown]
	ds_write_b32 v5, v0 offset:160
.LBB182_11:
	s_or_b32 exec_lo, exec_lo, s1
	v_cmp_gt_u32_e64 s1, 4, v26
	v_mov_b32_e32 v0, 0xff7fffff
	s_waitcnt vmcnt(0) lgkmcnt(0)
	s_waitcnt_vscnt null, 0x0
	s_barrier
	buffer_gl0_inv
	s_and_saveexec_b32 s2, s1
; %bb.12:
	ds_read_b32 v0, v28 offset:160
; %bb.13:
	s_or_b32 exec_lo, exec_lo, s2
	s_waitcnt lgkmcnt(0)
	ds_bpermute_b32 v3, v55, v0
	v_max_f32_e32 v0, v0, v0
	v_mov_b32_e32 v6, 0
	s_sub_i32 s2, s11, s31
	s_lshl_b32 s2, s2, 5
	s_add_i32 s2, s2, s30
	s_min_i32 s2, s2, s25
	s_sub_i32 s4, s2, s30
	v_cmp_gt_i32_e64 s2, s4, v78
	s_waitcnt lgkmcnt(0)
	v_max_f32_e32 v3, v3, v3
	v_max_f32_e32 v0, v0, v3
	ds_bpermute_b32 v3, v54, v0
	s_waitcnt lgkmcnt(0)
	v_max_f32_e32 v3, v3, v3
	v_max_f32_e32 v0, v0, v3
	v_lshl_add_u32 v3, v78, 2, 0xc0
	ds_bpermute_b32 v0, v6, v0
	s_and_saveexec_b32 s5, s2
	s_cbranch_execz .LBB182_17
; %bb.14:
	v_lshl_add_u32 v7, v78, 2, 0xc0
	v_mov_b32_e32 v6, 0
	v_mov_b32_e32 v8, v78
	s_mov_b32 s15, 0
	.p2align	6
.LBB182_15:                             ; =>This Inner Loop Header: Depth=1
	ds_read_b32 v9, v7
	v_add_nc_u32_e32 v8, 0x80, v8
	v_cmp_le_i32_e64 s3, s4, v8
	s_or_b32 s15, s3, s15
	s_waitcnt lgkmcnt(0)
	v_sub_f32_e32 v9, v9, v0
	v_mul_f32_e32 v9, 0x3fb8aa3b, v9
	v_exp_f32_e32 v9, v9
	ds_write_b32 v7, v9
	v_add_f32_e32 v6, v6, v9
	v_add_nc_u32_e32 v7, 0x200, v7
	s_andn2_b32 exec_lo, exec_lo, s15
	s_cbranch_execnz .LBB182_15
; %bb.16:
	s_or_b32 exec_lo, exec_lo, s15
.LBB182_17:
	s_or_b32 exec_lo, exec_lo, s5
	ds_bpermute_b32 v1, v1, v6
	s_waitcnt lgkmcnt(0)
	v_add_f32_e32 v1, v6, v1
	ds_bpermute_b32 v2, v2, v1
	s_waitcnt lgkmcnt(0)
	v_add_f32_e32 v1, v1, v2
	;; [unrolled: 3-line block ×5, first 2 shown]
	s_and_saveexec_b32 s3, vcc_lo
; %bb.18:
	ds_write_b32 v5, v1 offset:176
; %bb.19:
	s_or_b32 exec_lo, exec_lo, s3
	s_waitcnt lgkmcnt(0)
	s_barrier
	buffer_gl0_inv
	s_and_saveexec_b32 s3, s1
; %bb.20:
	ds_read_b32 v1, v28 offset:176
; %bb.21:
	s_or_b32 exec_lo, exec_lo, s3
	s_waitcnt lgkmcnt(0)
	ds_bpermute_b32 v2, v55, v1
	s_waitcnt lgkmcnt(0)
	v_add_f32_e32 v1, v1, v2
	ds_bpermute_b32 v2, v54, v1
	s_waitcnt lgkmcnt(0)
	v_add_f32_e32 v1, v1, v2
	v_mov_b32_e32 v2, 0
	ds_bpermute_b32 v1, v2, v1
	s_and_saveexec_b32 s1, s2
	s_cbranch_execz .LBB182_24
; %bb.22:
	s_waitcnt lgkmcnt(0)
	v_add_f32_e32 v2, 0x358637bd, v1
	s_mov_b32 s2, 0
	v_div_scale_f32 v4, null, v2, v2, 1.0
	v_div_scale_f32 v7, vcc_lo, 1.0, v2, 1.0
	v_rcp_f32_e32 v5, v4
	v_fma_f32 v6, -v4, v5, 1.0
	v_fmac_f32_e32 v5, v6, v5
	v_mul_f32_e32 v6, v7, v5
	v_fma_f32 v8, -v4, v6, v7
	v_fmac_f32_e32 v6, v8, v5
	v_fma_f32 v4, -v4, v6, v7
	v_div_fmas_f32 v4, v4, v5, v6
	v_div_fixup_f32 v2, v4, v2, 1.0
	v_mov_b32_e32 v4, v78
.LBB182_23:                             ; =>This Inner Loop Header: Depth=1
	ds_read_b32 v5, v3
	v_add_nc_u32_e32 v4, 0x80, v4
	v_cmp_le_i32_e32 vcc_lo, s4, v4
	s_or_b32 s2, vcc_lo, s2
	s_waitcnt lgkmcnt(0)
	v_mul_f32_e32 v5, v2, v5
	ds_write_b32 v3, v5
	v_add_nc_u32_e32 v3, 0x200, v3
	s_andn2_b32 exec_lo, exec_lo, s2
	s_cbranch_execnz .LBB182_23
.LBB182_24:
	s_or_b32 exec_lo, exec_lo, s1
	s_mul_i32 s1, s7, s24
	s_waitcnt lgkmcnt(0)
	s_mul_i32 s4, s1, s9
	s_mov_b32 s1, exec_lo
	s_barrier
	buffer_gl0_inv
	v_cmpx_eq_u32_e32 0, v78
	s_cbranch_execz .LBB182_26
; %bb.25:
	s_ashr_i32 s5, s4, 31
	s_mul_i32 s34, s7, s6
	s_lshl_b64 s[2:3], s[4:5], 2
	v_mov_b32_e32 v2, 0
	s_add_u32 s5, s18, s2
	s_addc_u32 s6, s19, s3
	s_ashr_i32 s35, s34, 31
	s_lshl_b64 s[18:19], s[34:35], 2
	s_add_u32 s5, s5, s18
	s_addc_u32 s6, s6, s19
	s_ashr_i32 s9, s8, 31
	s_lshl_b64 s[34:35], s[8:9], 2
	s_add_u32 s36, s5, s34
	s_addc_u32 s37, s6, s35
	s_add_u32 s2, s16, s2
	s_addc_u32 s3, s17, s3
	;; [unrolled: 2-line block ×4, first 2 shown]
	global_store_dword v2, v0, s[36:37]
	global_store_dword v2, v1, s[2:3]
.LBB182_26:
	s_or_b32 exec_lo, exec_lo, s1
	v_mov_b32_e32 v64, 0
	v_and_b32_e32 v56, 3, v78
	v_mov_b32_e32 v66, 0
	v_mov_b32_e32 v65, 0
	;; [unrolled: 1-line block ×9, first 2 shown]
	s_and_saveexec_b32 s3, s0
	s_cbranch_execz .LBB182_50
; %bb.27:
	v_lshlrev_b32_e32 v0, 3, v78
	s_ashr_i32 s15, s14, 31
	v_lshlrev_b32_e32 v1, 5, v56
	v_and_b32_e32 v2, 0x1f0, v10
	s_lshl_b64 s[0:1], s[14:15], 1
	v_and_b32_e32 v0, 24, v0
	s_add_u32 s0, s26, s0
	s_addc_u32 s1, s27, s1
	v_lshl_or_b32 v3, v25, 7, v1
	v_add_co_u32 v68, s0, s0, v2
	v_add3_u32 v70, s30, v27, v0
	v_lshlrev_b64 v[0:1], 2, v[49:50]
	v_add_co_ci_u32_e64 v69, null, s1, 0, s0
	s_lshl_b64 s[0:1], s[28:29], 2
	s_add_i32 s5, s12, -1
	s_add_u32 s0, s22, s0
	s_addc_u32 s1, s23, s1
	v_add_co_u32 v50, vcc_lo, s0, v0
	v_mov_b32_e32 v80, v26
	v_mov_b32_e32 v67, 0
	v_mov_b32_e32 v79, v25
	v_add_nc_u32_e32 v71, 0xc0, v3
	v_add_co_ci_u32_e64 v51, null, s1, v1, vcc_lo
	v_mov_b32_e32 v57, 0
	v_mov_b32_e32 v58, 0
	;; [unrolled: 1-line block ×10, first 2 shown]
	s_mov_b32 s6, s13
	s_mov_b32 s12, s25
	;; [unrolled: 1-line block ×3, first 2 shown]
	s_branch .LBB182_29
.LBB182_28:                             ;   in Loop: Header=BB182_29 Depth=1
	s_or_b32 exec_lo, exec_lo, s2
	s_waitcnt lgkmcnt(1)
	v_bfe_u32 v0, v33, 16, 1
	v_bfe_u32 v52, v34, 16, 1
	v_or_b32_e32 v53, 0x400000, v33
	v_cmp_u_f32_e32 vcc_lo, v33, v33
	v_or_b32_e32 v72, 0x400000, v34
	v_add3_u32 v0, v0, v33, 0x7fff
	v_bfe_u32 v73, v35, 16, 1
	v_add3_u32 v52, v52, v34, 0x7fff
	v_bfe_u32 v74, v36, 16, 1
	v_add_nc_u32_e32 v49, 4, v49
	v_cndmask_b32_e32 v33, v0, v53, vcc_lo
	v_cmp_u_f32_e32 vcc_lo, v34, v34
	v_add3_u32 v34, v73, v35, 0x7fff
	v_add3_u32 v53, v74, v36, 0x7fff
	s_waitcnt lgkmcnt(0)
	v_bfe_u32 v73, v29, 16, 1
	v_and_b32_e32 v33, 0xffff0000, v33
	v_cndmask_b32_e32 v0, v52, v72, vcc_lo
	v_or_b32_e32 v52, 0x400000, v35
	v_cmp_u_f32_e32 vcc_lo, v35, v35
	v_or_b32_e32 v72, 0x400000, v36
	v_bfe_u32 v35, v30, 16, 1
	v_and_b32_e32 v0, 0xffff0000, v0
	v_add_co_u32 v50, s0, v50, 16
	v_cndmask_b32_e32 v34, v34, v52, vcc_lo
	v_cmp_u_f32_e32 vcc_lo, v36, v36
	v_add3_u32 v52, v73, v29, 0x7fff
	v_add3_u32 v35, v35, v30, 0x7fff
	v_bfe_u32 v73, v31, 16, 1
	v_add_nc_u32_e32 v70, 0x80, v70
	v_cndmask_b32_e32 v36, v53, v72, vcc_lo
	v_or_b32_e32 v53, 0x400000, v29
	v_cmp_u_f32_e32 vcc_lo, v29, v29
	v_or_b32_e32 v72, 0x400000, v30
	v_add3_u32 v29, v73, v31, 0x7fff
	v_or_b32_e32 v73, 0x400000, v32
	v_add_nc_u32_e32 v71, 0x200, v71
	v_cndmask_b32_e32 v52, v52, v53, vcc_lo
	v_cmp_u_f32_e32 vcc_lo, v30, v30
	s_waitcnt vmcnt(1)
	v_and_b32_e32 v53, 0xffff0000, v45
	v_lshlrev_b32_e32 v45, 16, v45
	v_add_co_ci_u32_e64 v51, null, 0, v51, s0
	v_cndmask_b32_e32 v30, v35, v72, vcc_lo
	v_bfe_u32 v35, v32, 16, 1
	v_or_b32_e32 v72, 0x400000, v31
	v_cmp_u_f32_e32 vcc_lo, v31, v31
	v_mul_f32_e32 v53, v0, v53
	v_mul_f32_e32 v45, v33, v45
	v_add3_u32 v35, v35, v32, 0x7fff
	v_and_b32_e32 v30, 0xffff0000, v30
	v_cndmask_b32_e32 v72, v29, v72, vcc_lo
	v_cmp_u_f32_e32 vcc_lo, v32, v32
	v_bfe_u32 v31, v53, 16, 1
	v_and_b32_e32 v29, 0xffff0000, v36
	v_bfe_u32 v32, v45, 16, 1
	v_or_b32_e32 v36, 0x400000, v53
	v_cndmask_b32_e32 v73, v35, v73, vcc_lo
	v_and_b32_e32 v35, 0xffff0000, v46
	v_add3_u32 v31, v31, v53, 0x7fff
	v_cmp_u_f32_e32 vcc_lo, v53, v53
	v_add3_u32 v32, v32, v45, 0x7fff
	v_or_b32_e32 v74, 0x400000, v45
	v_mul_f32_e32 v75, v29, v35
	v_and_b32_e32 v35, 0xffff0000, v34
	v_lshlrev_b32_e32 v34, 16, v46
	v_cndmask_b32_e32 v36, v31, v36, vcc_lo
	v_cmp_u_f32_e32 vcc_lo, v45, v45
	v_bfe_u32 v31, v75, 16, 1
	v_and_b32_e32 v46, 0xffff0000, v47
	v_mul_f32_e32 v34, v35, v34
	v_lshlrev_b32_e32 v47, 16, v47
	v_cndmask_b32_e32 v45, v32, v74, vcc_lo
	v_and_b32_e32 v32, 0xffff0000, v52
	v_add3_u32 v31, v31, v75, 0x7fff
	v_or_b32_e32 v52, 0x400000, v75
	v_bfe_u32 v53, v34, 16, 1
	v_mul_f32_e32 v46, v30, v46
	v_cmp_u_f32_e32 vcc_lo, v75, v75
	v_mul_f32_e32 v47, v32, v47
	v_or_b32_e32 v74, 0x400000, v34
	v_add3_u32 v53, v53, v34, 0x7fff
	v_bfe_u32 v75, v46, 16, 1
	v_cndmask_b32_e32 v52, v31, v52, vcc_lo
	v_and_b32_e32 v31, 0xffff0000, v73
	v_and_b32_e32 v73, 0xffff0000, v48
	v_cmp_u_f32_e32 vcc_lo, v34, v34
	v_bfe_u32 v76, v47, 16, 1
	v_and_b32_e32 v34, 0xffff0000, v72
	v_lshlrev_b32_e32 v48, 16, v48
	v_mul_f32_e32 v73, v31, v73
	v_cndmask_b32_e32 v53, v53, v74, vcc_lo
	v_add3_u32 v74, v75, v46, 0x7fff
	v_or_b32_e32 v75, 0x400000, v46
	v_cmp_u_f32_e32 vcc_lo, v46, v46
	v_add3_u32 v76, v76, v47, 0x7fff
	v_or_b32_e32 v72, 0x400000, v47
	v_bfe_u32 v77, v73, 16, 1
	v_mul_f32_e32 v48, v34, v48
	v_cndmask_b32_e32 v46, v74, v75, vcc_lo
	v_cmp_u_f32_e32 vcc_lo, v47, v47
	v_or_b32_e32 v74, 0x400000, v73
	v_and_b32_e32 v45, 0xffff0000, v45
	v_bfe_u32 v75, v48, 16, 1
	v_and_b32_e32 v36, 0xffff0000, v36
	v_cndmask_b32_e32 v47, v76, v72, vcc_lo
	v_add3_u32 v72, v77, v73, 0x7fff
	v_and_b32_e32 v53, 0xffff0000, v53
	v_and_b32_e32 v52, 0xffff0000, v52
	v_cmp_u_f32_e32 vcc_lo, v73, v73
	v_add3_u32 v73, v75, v48, 0x7fff
	v_add_f32_e32 v36, v45, v36
	v_and_b32_e32 v47, 0xffff0000, v47
	v_add_f32_e32 v45, v53, v52
	v_cndmask_b32_e32 v72, v72, v74, vcc_lo
	v_or_b32_e32 v74, 0x400000, v48
	v_and_b32_e32 v52, 0xffff0000, v41
	v_and_b32_e32 v46, 0xffff0000, v46
	v_cmp_u_f32_e32 vcc_lo, v48, v48
	v_add_f32_e32 v36, v45, v36
	v_lshlrev_b32_e32 v41, 16, v41
	v_mul_f32_e32 v45, v0, v52
	v_add_f32_e32 v46, v47, v46
	v_cndmask_b32_e32 v48, v73, v74, vcc_lo
	v_and_b32_e32 v73, 0xffff0000, v44
	v_mul_f32_e32 v41, v33, v41
	v_bfe_u32 v52, v45, 16, 1
	v_add_f32_e32 v36, v46, v36
	v_and_b32_e32 v47, 0xffff0000, v48
	v_and_b32_e32 v48, 0xffff0000, v72
	;; [unrolled: 1-line block ×3, first 2 shown]
	v_bfe_u32 v53, v41, 16, 1
	v_lshlrev_b32_e32 v42, 16, v42
	v_cmp_u_f32_e32 vcc_lo, v45, v45
	v_add_f32_e32 v47, v47, v48
	v_add3_u32 v48, v52, v45, 0x7fff
	v_or_b32_e32 v52, 0x400000, v45
	v_mul_f32_e32 v46, v29, v46
	v_mul_f32_e32 v42, v35, v42
	v_and_b32_e32 v72, 0xffff0000, v43
	v_lshlrev_b32_e32 v43, 16, v43
	v_cndmask_b32_e32 v45, v48, v52, vcc_lo
	v_add3_u32 v48, v53, v41, 0x7fff
	v_or_b32_e32 v52, 0x400000, v41
	v_bfe_u32 v53, v46, 16, 1
	v_cmp_u_f32_e32 vcc_lo, v41, v41
	v_mul_f32_e32 v72, v30, v72
	v_mul_f32_e32 v43, v32, v43
	v_lshlrev_b32_e32 v44, 16, v44
	v_and_b32_e32 v45, 0xffff0000, v45
	v_cndmask_b32_e32 v41, v48, v52, vcc_lo
	v_add3_u32 v48, v53, v46, 0x7fff
	v_or_b32_e32 v52, 0x400000, v46
	v_bfe_u32 v53, v42, 16, 1
	v_cmp_u_f32_e32 vcc_lo, v46, v46
	v_mul_f32_e32 v44, v34, v44
	v_or_b32_e32 v74, 0x400000, v43
	v_and_b32_e32 v41, 0xffff0000, v41
	v_add_f32_e32 v36, v47, v36
	v_cndmask_b32_e32 v46, v48, v52, vcc_lo
	v_add3_u32 v48, v53, v42, 0x7fff
	v_or_b32_e32 v52, 0x400000, v42
	v_bfe_u32 v53, v72, 16, 1
	v_cmp_u_f32_e32 vcc_lo, v42, v42
	v_and_b32_e32 v46, 0xffff0000, v46
	v_add_f32_e32 v41, v41, v45
	v_add_f32_e32 v58, v58, v36
	v_cndmask_b32_e32 v42, v48, v52, vcc_lo
	v_bfe_u32 v48, v43, 16, 1
	v_add3_u32 v52, v53, v72, 0x7fff
	v_mul_f32_e32 v53, v31, v73
	v_or_b32_e32 v73, 0x400000, v72
	v_cmp_u_f32_e32 vcc_lo, v72, v72
	v_add3_u32 v48, v48, v43, 0x7fff
	v_bfe_u32 v72, v44, 16, 1
	v_bfe_u32 v75, v53, 16, 1
	v_and_b32_e32 v42, 0xffff0000, v42
	v_cndmask_b32_e32 v52, v52, v73, vcc_lo
	v_cmp_u_f32_e32 vcc_lo, v43, v43
	v_add3_u32 v72, v72, v44, 0x7fff
	v_or_b32_e32 v73, 0x400000, v53
	v_add_f32_e32 v42, v42, v46
	v_and_b32_e32 v45, 0xffff0000, v52
	v_cndmask_b32_e32 v43, v48, v74, vcc_lo
	v_or_b32_e32 v74, 0x400000, v44
	v_cmp_u_f32_e32 vcc_lo, v44, v44
	v_add3_u32 v48, v75, v53, 0x7fff
	v_add_f32_e32 v41, v42, v41
	v_and_b32_e32 v43, 0xffff0000, v43
	v_cndmask_b32_e32 v44, v72, v74, vcc_lo
	v_cmp_u_f32_e32 vcc_lo, v53, v53
	v_add_f32_e32 v42, v43, v45
	v_and_b32_e32 v43, 0xffff0000, v37
	v_and_b32_e32 v44, 0xffff0000, v44
	v_cndmask_b32_e32 v46, v48, v73, vcc_lo
	v_lshlrev_b32_e32 v37, 16, v37
	v_add_f32_e32 v41, v42, v41
	v_mul_f32_e32 v43, v0, v43
	v_and_b32_e32 v45, 0xffff0000, v46
	v_mul_f32_e32 v37, v33, v37
	v_cmp_u_f32_e32 vcc_lo, v43, v43
	v_add_f32_e32 v42, v44, v45
	v_and_b32_e32 v44, 0xffff0000, v38
	v_bfe_u32 v45, v43, 16, 1
	v_bfe_u32 v36, v37, 16, 1
	v_lshlrev_b32_e32 v38, 16, v38
	v_add_f32_e32 v41, v42, v41
	v_mul_f32_e32 v42, v29, v44
	v_add3_u32 v44, v45, v43, 0x7fff
	v_or_b32_e32 v45, 0x400000, v43
	v_add3_u32 v36, v36, v37, 0x7fff
	v_or_b32_e32 v46, 0x400000, v37
	v_bfe_u32 v47, v42, 16, 1
	v_add_f32_e32 v59, v59, v41
	v_cndmask_b32_e32 v43, v44, v45, vcc_lo
	v_cmp_u_f32_e32 vcc_lo, v37, v37
	v_mul_f32_e32 v37, v35, v38
	v_and_b32_e32 v45, 0xffff0000, v39
	v_add3_u32 v38, v47, v42, 0x7fff
	v_or_b32_e32 v44, 0x400000, v42
	v_cndmask_b32_e32 v36, v36, v46, vcc_lo
	v_lshlrev_b32_e32 v39, 16, v39
	v_bfe_u32 v46, v37, 16, 1
	v_cmp_u_f32_e32 vcc_lo, v42, v42
	v_mul_f32_e32 v42, v30, v45
	v_or_b32_e32 v45, 0x400000, v37
	v_mul_f32_e32 v39, v32, v39
	v_and_b32_e32 v36, 0xffff0000, v36
	v_cndmask_b32_e32 v38, v38, v44, vcc_lo
	v_add3_u32 v44, v46, v37, 0x7fff
	v_and_b32_e32 v46, 0xffff0000, v40
	v_bfe_u32 v47, v42, 16, 1
	v_cmp_u_f32_e32 vcc_lo, v37, v37
	v_bfe_u32 v48, v39, 16, 1
	v_lshlrev_b32_e32 v40, 16, v40
	v_and_b32_e32 v43, 0xffff0000, v43
	v_and_b32_e32 v38, 0xffff0000, v38
	v_cndmask_b32_e32 v37, v44, v45, vcc_lo
	v_mul_f32_e32 v44, v31, v46
	v_add3_u32 v45, v47, v42, 0x7fff
	v_or_b32_e32 v46, 0x400000, v42
	v_cmp_u_f32_e32 vcc_lo, v42, v42
	v_add3_u32 v47, v48, v39, 0x7fff
	v_or_b32_e32 v48, 0x400000, v39
	v_bfe_u32 v52, v44, 16, 1
	v_and_b32_e32 v37, 0xffff0000, v37
	v_cndmask_b32_e32 v42, v45, v46, vcc_lo
	v_cmp_u_f32_e32 vcc_lo, v39, v39
	v_or_b32_e32 v46, 0x400000, v44
	v_add3_u32 v45, v52, v44, 0x7fff
	v_mul_f32_e32 v40, v34, v40
	v_add_f32_e32 v36, v36, v43
	v_cndmask_b32_e32 v39, v47, v48, vcc_lo
	v_cmp_u_f32_e32 vcc_lo, v44, v44
	v_add_f32_e32 v37, v37, v38
	v_and_b32_e32 v42, 0xffff0000, v42
	v_and_b32_e32 v38, 0xffff0000, v39
	;; [unrolled: 1-line block ×3, first 2 shown]
	v_cndmask_b32_e32 v44, v45, v46, vcc_lo
	v_bfe_u32 v45, v40, 16, 1
	v_add_f32_e32 v36, v37, v36
	v_add_f32_e32 v38, v38, v42
	v_mul_f32_e32 v37, v0, v39
	v_lshlrev_b32_e32 v25, 16, v25
	v_add3_u32 v43, v45, v40, 0x7fff
	v_or_b32_e32 v45, 0x400000, v40
	v_cmp_u_f32_e32 vcc_lo, v40, v40
	v_bfe_u32 v40, v37, 16, 1
	v_add_f32_e32 v36, v38, v36
	v_mul_f32_e32 v25, v33, v25
	v_and_b32_e32 v38, 0xffff0000, v26
	v_cndmask_b32_e32 v39, v43, v45, vcc_lo
	v_add3_u32 v40, v40, v37, 0x7fff
	v_or_b32_e32 v42, 0x400000, v37
	v_bfe_u32 v43, v25, 16, 1
	v_mul_f32_e32 v38, v29, v38
	v_lshlrev_b32_e32 v26, 16, v26
	v_cmp_u_f32_e32 vcc_lo, v37, v37
	v_and_b32_e32 v45, 0xffff0000, v27
	v_lshlrev_b32_e32 v27, 16, v27
	v_and_b32_e32 v46, 0xffff0000, v28
	v_mul_f32_e32 v26, v35, v26
	v_cndmask_b32_e32 v37, v40, v42, vcc_lo
	v_add3_u32 v40, v43, v25, 0x7fff
	v_or_b32_e32 v42, 0x400000, v25
	v_bfe_u32 v43, v38, 16, 1
	v_cmp_u_f32_e32 vcc_lo, v25, v25
	v_mul_f32_e32 v45, v30, v45
	v_mul_f32_e32 v27, v32, v27
	v_lshlrev_b32_e32 v28, 16, v28
	v_and_b32_e32 v37, 0xffff0000, v37
	v_cndmask_b32_e32 v25, v40, v42, vcc_lo
	v_add3_u32 v40, v43, v38, 0x7fff
	v_or_b32_e32 v42, 0x400000, v38
	v_bfe_u32 v43, v26, 16, 1
	v_cmp_u_f32_e32 vcc_lo, v38, v38
	v_mul_f32_e32 v28, v34, v28
	v_or_b32_e32 v47, 0x400000, v27
	v_and_b32_e32 v25, 0xffff0000, v25
	v_and_b32_e32 v39, 0xffff0000, v39
	v_cndmask_b32_e32 v38, v40, v42, vcc_lo
	v_add3_u32 v40, v43, v26, 0x7fff
	v_or_b32_e32 v42, 0x400000, v26
	v_bfe_u32 v43, v45, 16, 1
	v_cmp_u_f32_e32 vcc_lo, v26, v26
	v_bfe_u32 v52, v28, 16, 1
	v_and_b32_e32 v38, 0xffff0000, v38
	v_add_f32_e32 v25, v25, v37
	v_cndmask_b32_e32 v26, v40, v42, vcc_lo
	v_bfe_u32 v40, v27, 16, 1
	v_add3_u32 v42, v43, v45, 0x7fff
	v_mul_f32_e32 v43, v31, v46
	v_or_b32_e32 v46, 0x400000, v45
	v_cmp_u_f32_e32 vcc_lo, v45, v45
	v_add3_u32 v40, v40, v27, 0x7fff
	v_add3_u32 v45, v52, v28, 0x7fff
	v_bfe_u32 v48, v43, 16, 1
	v_and_b32_e32 v26, 0xffff0000, v26
	v_cndmask_b32_e32 v42, v42, v46, vcc_lo
	v_cmp_u_f32_e32 vcc_lo, v27, v27
	v_or_b32_e32 v46, 0x400000, v28
	v_add_f32_e32 v26, v26, v38
	v_and_b32_e32 v37, 0xffff0000, v42
	v_cndmask_b32_e32 v27, v40, v47, vcc_lo
	v_cmp_u_f32_e32 vcc_lo, v28, v28
	v_add3_u32 v40, v48, v43, 0x7fff
	v_or_b32_e32 v47, 0x400000, v43
	v_add_f32_e32 v25, v26, v25
	v_and_b32_e32 v27, 0xffff0000, v27
	v_cndmask_b32_e32 v28, v45, v46, vcc_lo
	v_cmp_u_f32_e32 vcc_lo, v43, v43
	v_add_f32_e32 v26, v27, v37
	v_and_b32_e32 v27, 0xffff0000, v28
	v_cndmask_b32_e32 v38, v40, v47, vcc_lo
	v_and_b32_e32 v40, 0xffff0000, v44
	v_and_b32_e32 v37, 0xffff0000, v21
	v_lshlrev_b32_e32 v21, 16, v21
	v_add_f32_e32 v25, v26, v25
	v_and_b32_e32 v28, 0xffff0000, v38
	v_add_f32_e32 v38, v39, v40
	v_mul_f32_e32 v21, v33, v21
	v_add_f32_e32 v26, v27, v28
	v_mul_f32_e32 v27, v0, v37
	v_add_f32_e32 v28, v38, v36
	v_and_b32_e32 v36, 0xffff0000, v22
	v_lshlrev_b32_e32 v22, 16, v22
	v_add_f32_e32 v25, v26, v25
	v_bfe_u32 v26, v27, 16, 1
	v_add_f32_e32 v60, v60, v28
	v_bfe_u32 v28, v21, 16, 1
	v_mul_f32_e32 v36, v29, v36
	v_add_f32_e32 v61, v61, v25
	v_add3_u32 v25, v26, v27, 0x7fff
	v_or_b32_e32 v26, 0x400000, v27
	v_cmp_u_f32_e32 vcc_lo, v27, v27
	v_add3_u32 v28, v28, v21, 0x7fff
	v_or_b32_e32 v37, 0x400000, v21
	v_mul_f32_e32 v22, v35, v22
	v_and_b32_e32 v27, 0xffff0000, v23
	v_cndmask_b32_e32 v25, v25, v26, vcc_lo
	v_bfe_u32 v26, v36, 16, 1
	v_cmp_u_f32_e32 vcc_lo, v21, v21
	v_lshlrev_b32_e32 v23, 16, v23
	v_mul_f32_e32 v27, v30, v27
	v_and_b32_e32 v38, 0xffff0000, v24
	v_add3_u32 v26, v26, v36, 0x7fff
	v_cndmask_b32_e32 v21, v28, v37, vcc_lo
	v_or_b32_e32 v28, 0x400000, v36
	v_bfe_u32 v37, v22, 16, 1
	v_cmp_u_f32_e32 vcc_lo, v36, v36
	v_mul_f32_e32 v23, v32, v23
	v_or_b32_e32 v36, 0x400000, v22
	v_lshlrev_b32_e32 v24, 16, v24
	v_and_b32_e32 v21, 0xffff0000, v21
	v_cndmask_b32_e32 v26, v26, v28, vcc_lo
	v_add3_u32 v28, v37, v22, 0x7fff
	v_bfe_u32 v37, v27, 16, 1
	v_cmp_u_f32_e32 vcc_lo, v22, v22
	v_bfe_u32 v39, v23, 16, 1
	v_mul_f32_e32 v24, v34, v24
	v_and_b32_e32 v25, 0xffff0000, v25
	v_and_b32_e32 v26, 0xffff0000, v26
	v_cndmask_b32_e32 v22, v28, v36, vcc_lo
	v_add3_u32 v28, v37, v27, 0x7fff
	v_mul_f32_e32 v36, v31, v38
	v_or_b32_e32 v37, 0x400000, v27
	v_cmp_u_f32_e32 vcc_lo, v27, v27
	v_add3_u32 v38, v39, v23, 0x7fff
	v_or_b32_e32 v39, 0x400000, v23
	v_bfe_u32 v40, v36, 16, 1
	v_and_b32_e32 v22, 0xffff0000, v22
	v_cndmask_b32_e32 v27, v28, v37, vcc_lo
	v_cmp_u_f32_e32 vcc_lo, v23, v23
	v_or_b32_e32 v37, 0x400000, v36
	v_add3_u32 v28, v40, v36, 0x7fff
	v_add_f32_e32 v21, v21, v25
	v_add_f32_e32 v22, v22, v26
	v_cndmask_b32_e32 v23, v38, v39, vcc_lo
	v_bfe_u32 v38, v24, 16, 1
	v_cmp_u_f32_e32 vcc_lo, v36, v36
	v_and_b32_e32 v26, 0xffff0000, v17
	v_and_b32_e32 v25, 0xffff0000, v27
	;; [unrolled: 1-line block ×3, first 2 shown]
	v_add3_u32 v36, v38, v24, 0x7fff
	v_cndmask_b32_e32 v28, v28, v37, vcc_lo
	v_or_b32_e32 v37, 0x400000, v24
	v_cmp_u_f32_e32 vcc_lo, v24, v24
	v_lshlrev_b32_e32 v17, 16, v17
	v_add_f32_e32 v21, v22, v21
	v_mul_f32_e32 v22, v0, v26
	v_add_f32_e32 v23, v23, v25
	v_cndmask_b32_e32 v24, v36, v37, vcc_lo
	v_mul_f32_e32 v17, v33, v17
	v_and_b32_e32 v25, 0xffff0000, v28
	v_bfe_u32 v26, v22, 16, 1
	v_add_f32_e32 v21, v23, v21
	v_and_b32_e32 v24, 0xffff0000, v24
	v_bfe_u32 v23, v17, 16, 1
	v_and_b32_e32 v27, 0xffff0000, v18
	v_cmp_u_f32_e32 vcc_lo, v22, v22
	v_or_b32_e32 v28, 0x400000, v17
	v_add_f32_e32 v24, v24, v25
	v_add3_u32 v25, v26, v22, 0x7fff
	v_or_b32_e32 v26, 0x400000, v22
	v_add3_u32 v23, v23, v17, 0x7fff
	v_mul_f32_e32 v27, v29, v27
	v_lshlrev_b32_e32 v18, 16, v18
	v_and_b32_e32 v36, 0xffff0000, v20
	v_cndmask_b32_e32 v22, v25, v26, vcc_lo
	v_cmp_u_f32_e32 vcc_lo, v17, v17
	v_bfe_u32 v25, v27, 16, 1
	v_mul_f32_e32 v18, v35, v18
	v_or_b32_e32 v26, 0x400000, v27
	v_lshlrev_b32_e32 v20, 16, v20
	v_cndmask_b32_e32 v17, v23, v28, vcc_lo
	v_and_b32_e32 v23, 0xffff0000, v19
	v_add3_u32 v25, v25, v27, 0x7fff
	v_lshlrev_b32_e32 v19, 16, v19
	v_bfe_u32 v28, v18, 16, 1
	v_cmp_u_f32_e32 vcc_lo, v27, v27
	v_mul_f32_e32 v23, v30, v23
	v_or_b32_e32 v27, 0x400000, v18
	v_mul_f32_e32 v19, v32, v19
	v_mul_f32_e32 v20, v34, v20
	v_cndmask_b32_e32 v25, v25, v26, vcc_lo
	v_add3_u32 v26, v28, v18, 0x7fff
	v_bfe_u32 v28, v23, 16, 1
	v_cmp_u_f32_e32 vcc_lo, v18, v18
	v_bfe_u32 v37, v19, 16, 1
	v_and_b32_e32 v17, 0xffff0000, v17
	v_and_b32_e32 v22, 0xffff0000, v22
	;; [unrolled: 1-line block ×3, first 2 shown]
	v_cndmask_b32_e32 v18, v26, v27, vcc_lo
	v_add3_u32 v26, v28, v23, 0x7fff
	v_mul_f32_e32 v27, v31, v36
	v_or_b32_e32 v28, 0x400000, v23
	v_cmp_u_f32_e32 vcc_lo, v23, v23
	v_add3_u32 v36, v37, v19, 0x7fff
	v_or_b32_e32 v37, 0x400000, v19
	v_bfe_u32 v38, v27, 16, 1
	v_and_b32_e32 v18, 0xffff0000, v18
	v_cndmask_b32_e32 v23, v26, v28, vcc_lo
	v_cmp_u_f32_e32 vcc_lo, v19, v19
	v_or_b32_e32 v28, 0x400000, v27
	v_add3_u32 v26, v38, v27, 0x7fff
	v_add_f32_e32 v17, v17, v22
	v_add_f32_e32 v18, v18, v25
	v_cndmask_b32_e32 v19, v36, v37, vcc_lo
	v_bfe_u32 v36, v20, 16, 1
	v_cmp_u_f32_e32 vcc_lo, v27, v27
	v_and_b32_e32 v22, 0xffff0000, v23
	v_add_f32_e32 v17, v18, v17
	v_and_b32_e32 v19, 0xffff0000, v19
	v_add3_u32 v27, v36, v20, 0x7fff
	v_cndmask_b32_e32 v26, v26, v28, vcc_lo
	v_or_b32_e32 v28, 0x400000, v20
	v_cmp_u_f32_e32 vcc_lo, v20, v20
	v_and_b32_e32 v18, 0xffff0000, v9
	v_add_f32_e32 v19, v19, v22
	v_lshlrev_b32_e32 v9, 16, v9
	v_and_b32_e32 v22, 0xffff0000, v26
	v_cndmask_b32_e32 v20, v27, v28, vcc_lo
	v_mul_f32_e32 v18, v0, v18
	v_add_f32_e32 v21, v24, v21
	v_mul_f32_e32 v23, v33, v9
	v_add_f32_e32 v9, v19, v17
	v_and_b32_e32 v20, 0xffff0000, v20
	v_bfe_u32 v19, v18, 16, 1
	v_add_f32_e32 v62, v62, v21
	v_and_b32_e32 v21, 0xffff0000, v10
	v_cmp_u_f32_e32 vcc_lo, v18, v18
	v_add_f32_e32 v17, v20, v22
	v_bfe_u32 v20, v23, 16, 1
	v_or_b32_e32 v22, 0x400000, v23
	v_mul_f32_e32 v21, v29, v21
	v_lshlrev_b32_e32 v10, 16, v10
	v_add_f32_e32 v9, v17, v9
	v_add3_u32 v17, v19, v18, 0x7fff
	v_or_b32_e32 v19, 0x400000, v18
	v_add3_u32 v20, v20, v23, 0x7fff
	v_bfe_u32 v18, v21, 16, 1
	v_mul_f32_e32 v10, v35, v10
	v_and_b32_e32 v24, 0xffff0000, v12
	v_cndmask_b32_e32 v17, v17, v19, vcc_lo
	v_cmp_u_f32_e32 vcc_lo, v23, v23
	v_add3_u32 v18, v18, v21, 0x7fff
	v_bfe_u32 v23, v10, 16, 1
	v_lshlrev_b32_e32 v12, 16, v12
	v_and_b32_e32 v17, 0xffff0000, v17
	v_cndmask_b32_e32 v19, v20, v22, vcc_lo
	v_and_b32_e32 v20, 0xffff0000, v11
	v_or_b32_e32 v22, 0x400000, v21
	v_lshlrev_b32_e32 v11, 16, v11
	v_cmp_u_f32_e32 vcc_lo, v21, v21
	v_add3_u32 v21, v23, v10, 0x7fff
	v_mul_f32_e32 v20, v30, v20
	v_mul_f32_e32 v12, v34, v12
	v_mul_f32_e32 v11, v32, v11
	v_cndmask_b32_e32 v18, v18, v22, vcc_lo
	v_or_b32_e32 v22, 0x400000, v10
	v_bfe_u32 v23, v20, 16, 1
	v_cmp_u_f32_e32 vcc_lo, v10, v10
	v_bfe_u32 v25, v11, 16, 1
	v_and_b32_e32 v19, 0xffff0000, v19
	v_and_b32_e32 v18, 0xffff0000, v18
	v_add_f32_e32 v63, v63, v9
	v_cndmask_b32_e32 v10, v21, v22, vcc_lo
	v_add3_u32 v21, v23, v20, 0x7fff
	v_mul_f32_e32 v22, v31, v24
	v_or_b32_e32 v23, 0x400000, v20
	v_cmp_u_f32_e32 vcc_lo, v20, v20
	v_add3_u32 v24, v25, v11, 0x7fff
	v_or_b32_e32 v25, 0x400000, v11
	v_bfe_u32 v26, v22, 16, 1
	v_and_b32_e32 v10, 0xffff0000, v10
	v_cndmask_b32_e32 v20, v21, v23, vcc_lo
	v_cmp_u_f32_e32 vcc_lo, v11, v11
	v_or_b32_e32 v23, 0x400000, v22
	v_add3_u32 v21, v26, v22, 0x7fff
	v_add_f32_e32 v17, v19, v17
	v_add_f32_e32 v10, v10, v18
	v_cndmask_b32_e32 v11, v24, v25, vcc_lo
	v_bfe_u32 v24, v12, 16, 1
	v_cmp_u_f32_e32 vcc_lo, v22, v22
	v_and_b32_e32 v19, 0xffff0000, v5
	v_and_b32_e32 v18, 0xffff0000, v20
	;; [unrolled: 1-line block ×3, first 2 shown]
	v_add3_u32 v22, v24, v12, 0x7fff
	v_cndmask_b32_e32 v21, v21, v23, vcc_lo
	v_or_b32_e32 v23, 0x400000, v12
	v_cmp_u_f32_e32 vcc_lo, v12, v12
	v_lshlrev_b32_e32 v5, 16, v5
	v_add_f32_e32 v10, v10, v17
	v_mul_f32_e32 v17, v0, v19
	v_add_f32_e32 v11, v11, v18
	v_cndmask_b32_e32 v12, v22, v23, vcc_lo
	v_mul_f32_e32 v18, v33, v5
	v_and_b32_e32 v19, 0xffff0000, v21
	v_and_b32_e32 v20, 0xffff0000, v6
	v_bfe_u32 v21, v17, 16, 1
	v_and_b32_e32 v12, 0xffff0000, v12
	v_add_f32_e32 v5, v11, v10
	v_bfe_u32 v11, v18, 16, 1
	v_cmp_u_f32_e32 vcc_lo, v17, v17
	v_lshlrev_b32_e32 v6, 16, v6
	v_add_f32_e32 v10, v12, v19
	v_mul_f32_e32 v12, v29, v20
	v_add3_u32 v19, v21, v17, 0x7fff
	v_or_b32_e32 v20, 0x400000, v17
	v_add3_u32 v11, v11, v18, 0x7fff
	v_or_b32_e32 v21, 0x400000, v18
	v_bfe_u32 v22, v12, 16, 1
	v_mul_f32_e32 v6, v35, v6
	v_cndmask_b32_e32 v17, v19, v20, vcc_lo
	v_cmp_u_f32_e32 vcc_lo, v18, v18
	v_or_b32_e32 v19, 0x400000, v12
	v_add3_u32 v18, v22, v12, 0x7fff
	v_and_b32_e32 v20, 0xffff0000, v7
	v_lshlrev_b32_e32 v7, 16, v7
	v_cndmask_b32_e32 v11, v11, v21, vcc_lo
	v_cmp_u_f32_e32 vcc_lo, v12, v12
	v_bfe_u32 v21, v6, 16, 1
	v_and_b32_e32 v17, 0xffff0000, v17
	v_mul_f32_e32 v7, v32, v7
	v_and_b32_e32 v11, 0xffff0000, v11
	v_cndmask_b32_e32 v12, v18, v19, vcc_lo
	v_mul_f32_e32 v18, v30, v20
	v_add3_u32 v19, v21, v6, 0x7fff
	v_or_b32_e32 v20, 0x400000, v6
	v_and_b32_e32 v21, 0xffff0000, v8
	v_cmp_u_f32_e32 vcc_lo, v6, v6
	v_bfe_u32 v22, v18, 16, 1
	v_bfe_u32 v23, v7, 16, 1
	v_lshlrev_b32_e32 v8, 16, v8
	v_and_b32_e32 v12, 0xffff0000, v12
	v_cndmask_b32_e32 v6, v19, v20, vcc_lo
	v_mul_f32_e32 v19, v31, v21
	v_add3_u32 v20, v22, v18, 0x7fff
	v_or_b32_e32 v21, 0x400000, v18
	v_cmp_u_f32_e32 vcc_lo, v18, v18
	v_add3_u32 v22, v23, v7, 0x7fff
	v_or_b32_e32 v23, 0x400000, v7
	v_bfe_u32 v24, v19, 16, 1
	v_and_b32_e32 v6, 0xffff0000, v6
	v_cndmask_b32_e32 v18, v20, v21, vcc_lo
	v_cmp_u_f32_e32 vcc_lo, v7, v7
	v_or_b32_e32 v21, 0x400000, v19
	v_add3_u32 v20, v24, v19, 0x7fff
	v_mul_f32_e32 v8, v34, v8
	v_add_f32_e32 v11, v11, v17
	v_cndmask_b32_e32 v7, v22, v23, vcc_lo
	v_cmp_u_f32_e32 vcc_lo, v19, v19
	v_add_f32_e32 v6, v6, v12
	v_and_b32_e32 v12, 0xffff0000, v1
	v_and_b32_e32 v17, 0xffff0000, v18
	;; [unrolled: 1-line block ×3, first 2 shown]
	v_cndmask_b32_e32 v19, v20, v21, vcc_lo
	v_bfe_u32 v20, v8, 16, 1
	v_add_f32_e32 v6, v6, v11
	v_mul_f32_e32 v11, v0, v12
	v_add_f32_e32 v7, v7, v17
	v_lshlrev_b32_e32 v1, 16, v1
	v_add3_u32 v18, v20, v8, 0x7fff
	v_or_b32_e32 v20, 0x400000, v8
	v_cmp_u_f32_e32 vcc_lo, v8, v8
	v_bfe_u32 v12, v11, 16, 1
	v_add_f32_e32 v6, v7, v6
	v_and_b32_e32 v7, 0xffff0000, v2
	v_mul_f32_e32 v1, v33, v1
	v_cndmask_b32_e32 v8, v18, v20, vcc_lo
	v_add3_u32 v12, v12, v11, 0x7fff
	v_or_b32_e32 v17, 0x400000, v11
	v_mul_f32_e32 v7, v29, v7
	v_and_b32_e32 v18, 0xffff0000, v19
	v_bfe_u32 v19, v1, 16, 1
	v_cmp_u_f32_e32 vcc_lo, v11, v11
	v_lshlrev_b32_e32 v2, 16, v2
	v_or_b32_e32 v20, 0x400000, v1
	v_or_b32_e32 v21, 0x400000, v7
	v_and_b32_e32 v8, 0xffff0000, v8
	v_cndmask_b32_e32 v11, v12, v17, vcc_lo
	v_bfe_u32 v12, v7, 16, 1
	v_add3_u32 v17, v19, v1, 0x7fff
	v_and_b32_e32 v19, 0xffff0000, v3
	v_mul_f32_e32 v2, v35, v2
	v_cmp_u_f32_e32 vcc_lo, v1, v1
	v_add3_u32 v12, v12, v7, 0x7fff
	v_lshlrev_b32_e32 v3, 16, v3
	v_mul_f32_e32 v19, v30, v19
	v_and_b32_e32 v11, 0xffff0000, v11
	v_cndmask_b32_e32 v1, v17, v20, vcc_lo
	v_bfe_u32 v17, v2, 16, 1
	v_cmp_u_f32_e32 vcc_lo, v7, v7
	v_and_b32_e32 v20, 0xffff0000, v4
	v_mul_f32_e32 v3, v32, v3
	v_or_b32_e32 v22, 0x400000, v19
	v_add3_u32 v17, v17, v2, 0x7fff
	v_cndmask_b32_e32 v7, v12, v21, vcc_lo
	v_bfe_u32 v12, v19, 16, 1
	v_or_b32_e32 v21, 0x400000, v2
	v_cmp_u_f32_e32 vcc_lo, v2, v2
	v_mul_f32_e32 v20, v31, v20
	v_lshlrev_b32_e32 v4, 16, v4
	v_add3_u32 v12, v12, v19, 0x7fff
	v_and_b32_e32 v1, 0xffff0000, v1
	v_cndmask_b32_e32 v2, v17, v21, vcc_lo
	v_bfe_u32 v17, v3, 16, 1
	v_cmp_u_f32_e32 vcc_lo, v19, v19
	v_bfe_u32 v21, v20, 16, 1
	v_or_b32_e32 v19, 0x400000, v3
	v_mul_f32_e32 v4, v34, v4
	v_add3_u32 v17, v17, v3, 0x7fff
	v_cndmask_b32_e32 v12, v12, v22, vcc_lo
	v_cmp_u_f32_e32 vcc_lo, v3, v3
	v_add3_u32 v21, v21, v20, 0x7fff
	v_or_b32_e32 v22, 0x400000, v20
	v_and_b32_e32 v2, 0xffff0000, v2
	v_and_b32_e32 v7, 0xffff0000, v7
	v_cndmask_b32_e32 v3, v17, v19, vcc_lo
	v_cmp_u_f32_e32 vcc_lo, v20, v20
	v_bfe_u32 v19, v4, 16, 1
	v_add_f32_e32 v1, v1, v11
	v_add_f32_e32 v2, v2, v7
	v_and_b32_e32 v3, 0xffff0000, v3
	v_cndmask_b32_e32 v17, v21, v22, vcc_lo
	s_waitcnt vmcnt(0)
	v_lshlrev_b32_e32 v21, 16, v13
	v_and_b32_e32 v7, 0xffff0000, v12
	v_and_b32_e32 v12, 0xffff0000, v13
	v_add3_u32 v19, v19, v4, 0x7fff
	v_or_b32_e32 v20, 0x400000, v4
	v_mul_f32_e32 v11, v33, v21
	v_cmp_u_f32_e32 vcc_lo, v4, v4
	v_add_f32_e32 v1, v2, v1
	v_add_f32_e32 v3, v3, v7
	v_mul_f32_e32 v0, v0, v12
	v_bfe_u32 v2, v11, 16, 1
	v_lshlrev_b32_e32 v7, 16, v14
	v_cndmask_b32_e32 v4, v19, v20, vcc_lo
	v_or_b32_e32 v12, 0x400000, v11
	v_bfe_u32 v13, v0, 16, 1
	v_add3_u32 v2, v2, v11, 0x7fff
	v_mul_f32_e32 v7, v35, v7
	v_and_b32_e32 v14, 0xffff0000, v14
	v_cmp_u_f32_e32 vcc_lo, v11, v11
	v_add3_u32 v11, v13, v0, 0x7fff
	v_lshlrev_b32_e32 v19, 16, v15
	v_bfe_u32 v13, v7, 16, 1
	v_mul_f32_e32 v14, v29, v14
	v_cndmask_b32_e32 v2, v2, v12, vcc_lo
	v_or_b32_e32 v12, 0x400000, v0
	v_cmp_u_f32_e32 vcc_lo, v0, v0
	v_mul_f32_e32 v19, v32, v19
	v_and_b32_e32 v15, 0xffff0000, v15
	v_lshlrev_b32_e32 v20, 16, v16
	v_and_b32_e32 v16, 0xffff0000, v16
	v_cndmask_b32_e32 v0, v11, v12, vcc_lo
	v_add3_u32 v11, v13, v7, 0x7fff
	v_or_b32_e32 v12, 0x400000, v7
	v_bfe_u32 v13, v14, 16, 1
	v_cmp_u_f32_e32 vcc_lo, v7, v7
	v_mul_f32_e32 v15, v30, v15
	v_mul_f32_e32 v16, v31, v16
	v_and_b32_e32 v0, 0xffff0000, v0
	v_and_b32_e32 v2, 0xffff0000, v2
	v_cndmask_b32_e32 v7, v11, v12, vcc_lo
	v_add3_u32 v11, v13, v14, 0x7fff
	v_or_b32_e32 v12, 0x400000, v14
	v_bfe_u32 v13, v19, 16, 1
	v_cmp_u_f32_e32 vcc_lo, v14, v14
	v_mul_f32_e32 v14, v34, v20
	v_or_b32_e32 v20, 0x400000, v19
	v_or_b32_e32 v21, 0x400000, v15
	v_add3_u32 v13, v13, v19, 0x7fff
	v_cndmask_b32_e32 v11, v11, v12, vcc_lo
	v_bfe_u32 v12, v15, 16, 1
	v_cmp_u_f32_e32 vcc_lo, v19, v19
	v_bfe_u32 v23, v16, 16, 1
	v_bfe_u32 v22, v14, 16, 1
	v_and_b32_e32 v11, 0xffff0000, v11
	v_add3_u32 v12, v12, v15, 0x7fff
	v_cndmask_b32_e32 v13, v13, v20, vcc_lo
	v_cmp_u_f32_e32 vcc_lo, v15, v15
	v_add3_u32 v19, v23, v16, 0x7fff
	v_or_b32_e32 v20, 0x400000, v16
	v_add3_u32 v15, v22, v14, 0x7fff
	v_and_b32_e32 v7, 0xffff0000, v7
	v_cndmask_b32_e32 v12, v12, v21, vcc_lo
	v_cmp_u_f32_e32 vcc_lo, v16, v16
	v_or_b32_e32 v21, 0x400000, v14
	v_add_f32_e32 v0, v2, v0
	v_add_f32_e32 v2, v7, v11
	v_and_b32_e32 v7, 0xffff0000, v12
	v_cndmask_b32_e32 v16, v19, v20, vcc_lo
	v_cmp_u_f32_e32 vcc_lo, v14, v14
	v_and_b32_e32 v11, 0xffff0000, v13
	v_and_b32_e32 v4, 0xffff0000, v4
	;; [unrolled: 1-line block ×3, first 2 shown]
	v_add_f32_e32 v0, v2, v0
	v_cndmask_b32_e32 v12, v15, v21, vcc_lo
	v_add_f32_e32 v2, v11, v7
	v_and_b32_e32 v7, 0xffff0000, v16
	v_add_f32_e32 v8, v8, v18
	v_add_f32_e32 v1, v3, v1
	v_and_b32_e32 v11, 0xffff0000, v12
	v_add_f32_e32 v3, v4, v13
	v_add_f32_e32 v0, v2, v0
	;; [unrolled: 1-line block ×6, first 2 shown]
	v_cmp_le_i32_e32 vcc_lo, s11, v49
	v_add_f32_e32 v65, v65, v4
	v_add_f32_e32 v66, v66, v5
	;; [unrolled: 1-line block ×4, first 2 shown]
	s_or_b32 s9, vcc_lo, s9
	v_add_f32_e32 v57, v57, v0
	s_andn2_b32 exec_lo, exec_lo, s9
	s_cbranch_execz .LBB182_49
.LBB182_29:                             ; =>This Inner Loop Header: Depth=1
	global_load_dword v0, v[50:51], off
	v_cmp_eq_u32_e64 s0, s5, v49
	v_add_nc_u32_e32 v75, 1, v70
	v_or_b32_e32 v73, 3, v70
	v_or_b32_e32 v74, 2, v70
	v_or_b32_e32 v72, 5, v70
	v_or_b32_e32 v53, 4, v70
	v_or_b32_e32 v52, 7, v70
	s_waitcnt vmcnt(0)
	v_mad_i64_i32 v[0:1], null, v0, s6, 0
	v_lshlrev_b64 v[0:1], 1, v[0:1]
	v_add_co_u32 v13, vcc_lo, v68, v0
	v_add_co_ci_u32_e64 v14, null, v69, v1, vcc_lo
	v_or_b32_e32 v0, 6, v70
	global_load_dwordx4 v[1:4], v[13:14], off
	ds_read2_b64 v[33:36], v71 offset1:1
	ds_read2_b64 v[29:32], v71 offset0:2 offset1:3
	s_and_saveexec_b32 s13, s0
	s_cbranch_execnz .LBB182_43
; %bb.30:                               ;   in Loop: Header=BB182_29 Depth=1
	s_or_b32 exec_lo, exec_lo, s13
	global_load_dwordx4 v[5:8], v[13:14], off offset:512
	s_and_saveexec_b32 s13, s0
	s_cbranch_execnz .LBB182_44
.LBB182_31:                             ;   in Loop: Header=BB182_29 Depth=1
	s_or_b32 exec_lo, exec_lo, s13
	global_load_dwordx4 v[9:12], v[13:14], off offset:1024
	s_and_saveexec_b32 s13, s0
	s_cbranch_execnz .LBB182_45
.LBB182_32:                             ;   in Loop: Header=BB182_29 Depth=1
	s_or_b32 exec_lo, exec_lo, s13
	global_load_dwordx4 v[17:20], v[13:14], off offset:1536
	s_and_saveexec_b32 s13, s0
	s_cbranch_execz .LBB182_34
.LBB182_33:                             ;   in Loop: Header=BB182_29 Depth=1
	v_cmp_gt_i32_e64 s1, s25, v70
	v_cmp_gt_i32_e32 vcc_lo, s12, v75
	v_cmp_gt_i32_e64 s2, s25, v74
	s_waitcnt vmcnt(0)
	v_cndmask_b32_e64 v15, 0, v17, s1
	v_cmp_gt_i32_e64 s1, s12, v73
	v_cndmask_b32_sdwa v17, v67, v17, vcc_lo dst_sel:DWORD dst_unused:UNUSED_PAD src0_sel:DWORD src1_sel:WORD_1
	v_cndmask_b32_e64 v16, 0, v18, s2
	v_cmp_gt_i32_e64 s2, s12, v72
	s_mov_b32 vcc_lo, s1
	v_cmp_gt_i32_e64 s1, s12, v52
	v_cndmask_b32_sdwa v18, v67, v18, vcc_lo dst_sel:DWORD dst_unused:UNUSED_PAD src0_sel:DWORD src1_sel:WORD_1
	v_cmp_gt_i32_e32 vcc_lo, s25, v53
	v_perm_b32 v17, v17, v15, 0x5040100
	v_perm_b32 v18, v18, v16, 0x5040100
	v_cndmask_b32_e32 v21, 0, v19, vcc_lo
	s_mov_b32 vcc_lo, s2
	v_cndmask_b32_sdwa v19, v67, v19, vcc_lo dst_sel:DWORD dst_unused:UNUSED_PAD src0_sel:DWORD src1_sel:WORD_1
	v_cmp_gt_i32_e32 vcc_lo, s25, v0
	v_perm_b32 v19, v19, v21, 0x5040100
	v_cndmask_b32_e32 v22, 0, v20, vcc_lo
	s_mov_b32 vcc_lo, s1
	v_cndmask_b32_sdwa v20, v67, v20, vcc_lo dst_sel:DWORD dst_unused:UNUSED_PAD src0_sel:DWORD src1_sel:WORD_1
	v_perm_b32 v20, v20, v22, 0x5040100
.LBB182_34:                             ;   in Loop: Header=BB182_29 Depth=1
	s_or_b32 exec_lo, exec_lo, s13
	v_add_co_u32 v15, vcc_lo, 0x800, v13
	v_add_co_ci_u32_e64 v16, null, 0, v14, vcc_lo
	global_load_dwordx4 v[21:24], v[15:16], off
	s_and_saveexec_b32 s13, s0
	s_cbranch_execnz .LBB182_46
; %bb.35:                               ;   in Loop: Header=BB182_29 Depth=1
	s_or_b32 exec_lo, exec_lo, s13
	global_load_dwordx4 v[25:28], v[15:16], off offset:512
	s_and_saveexec_b32 s13, s0
	s_cbranch_execnz .LBB182_47
.LBB182_36:                             ;   in Loop: Header=BB182_29 Depth=1
	s_or_b32 exec_lo, exec_lo, s13
	global_load_dwordx4 v[37:40], v[15:16], off offset:1024
	s_and_saveexec_b32 s13, s0
	s_cbranch_execnz .LBB182_48
.LBB182_37:                             ;   in Loop: Header=BB182_29 Depth=1
	s_or_b32 exec_lo, exec_lo, s13
	global_load_dwordx4 v[41:44], v[15:16], off offset:1536
	s_and_saveexec_b32 s13, s0
	s_cbranch_execz .LBB182_39
.LBB182_38:                             ;   in Loop: Header=BB182_29 Depth=1
	v_cmp_gt_i32_e64 s1, s25, v70
	v_cmp_gt_i32_e32 vcc_lo, s12, v75
	v_cmp_gt_i32_e64 s2, s25, v74
	s_waitcnt vmcnt(0)
	v_cndmask_b32_e64 v15, 0, v41, s1
	v_cmp_gt_i32_e64 s1, s12, v73
	v_cndmask_b32_sdwa v41, v67, v41, vcc_lo dst_sel:DWORD dst_unused:UNUSED_PAD src0_sel:DWORD src1_sel:WORD_1
	v_cndmask_b32_e64 v16, 0, v42, s2
	v_cmp_gt_i32_e64 s2, s12, v72
	s_mov_b32 vcc_lo, s1
	v_cmp_gt_i32_e64 s1, s12, v52
	v_cndmask_b32_sdwa v42, v67, v42, vcc_lo dst_sel:DWORD dst_unused:UNUSED_PAD src0_sel:DWORD src1_sel:WORD_1
	v_cmp_gt_i32_e32 vcc_lo, s25, v53
	v_perm_b32 v41, v41, v15, 0x5040100
	v_perm_b32 v42, v42, v16, 0x5040100
	v_cndmask_b32_e32 v45, 0, v43, vcc_lo
	s_mov_b32 vcc_lo, s2
	v_cndmask_b32_sdwa v43, v67, v43, vcc_lo dst_sel:DWORD dst_unused:UNUSED_PAD src0_sel:DWORD src1_sel:WORD_1
	v_cmp_gt_i32_e32 vcc_lo, s25, v0
	v_perm_b32 v43, v43, v45, 0x5040100
	v_cndmask_b32_e32 v46, 0, v44, vcc_lo
	s_mov_b32 vcc_lo, s1
	v_cndmask_b32_sdwa v44, v67, v44, vcc_lo dst_sel:DWORD dst_unused:UNUSED_PAD src0_sel:DWORD src1_sel:WORD_1
	v_perm_b32 v44, v44, v46, 0x5040100
.LBB182_39:                             ;   in Loop: Header=BB182_29 Depth=1
	s_or_b32 exec_lo, exec_lo, s13
	v_add_co_u32 v13, vcc_lo, 0x1000, v13
	v_add_co_ci_u32_e64 v14, null, 0, v14, vcc_lo
	global_load_dwordx4 v[45:48], v[13:14], off
	s_and_saveexec_b32 s13, s0
	s_cbranch_execz .LBB182_41
; %bb.40:                               ;   in Loop: Header=BB182_29 Depth=1
	v_cmp_gt_i32_e64 s1, s25, v70
	v_cmp_gt_i32_e32 vcc_lo, s12, v75
	v_cmp_gt_i32_e64 s2, s25, v74
	s_waitcnt vmcnt(0)
	v_cndmask_b32_e64 v15, 0, v45, s1
	v_cmp_gt_i32_e64 s1, s12, v73
	v_cndmask_b32_sdwa v45, v67, v45, vcc_lo dst_sel:DWORD dst_unused:UNUSED_PAD src0_sel:DWORD src1_sel:WORD_1
	v_cndmask_b32_e64 v16, 0, v46, s2
	v_cmp_gt_i32_e64 s2, s12, v72
	s_mov_b32 vcc_lo, s1
	v_cmp_gt_i32_e64 s1, s12, v52
	v_cndmask_b32_sdwa v46, v67, v46, vcc_lo dst_sel:DWORD dst_unused:UNUSED_PAD src0_sel:DWORD src1_sel:WORD_1
	v_cmp_gt_i32_e32 vcc_lo, s25, v53
	v_perm_b32 v45, v45, v15, 0x5040100
	v_perm_b32 v46, v46, v16, 0x5040100
	v_cndmask_b32_e32 v76, 0, v47, vcc_lo
	s_mov_b32 vcc_lo, s2
	v_cndmask_b32_sdwa v47, v67, v47, vcc_lo dst_sel:DWORD dst_unused:UNUSED_PAD src0_sel:DWORD src1_sel:WORD_1
	v_cmp_gt_i32_e32 vcc_lo, s25, v0
	v_perm_b32 v47, v47, v76, 0x5040100
	v_cndmask_b32_e32 v77, 0, v48, vcc_lo
	s_mov_b32 vcc_lo, s1
	v_cndmask_b32_sdwa v48, v67, v48, vcc_lo dst_sel:DWORD dst_unused:UNUSED_PAD src0_sel:DWORD src1_sel:WORD_1
	v_perm_b32 v48, v48, v77, 0x5040100
.LBB182_41:                             ;   in Loop: Header=BB182_29 Depth=1
	s_or_b32 exec_lo, exec_lo, s13
	global_load_dwordx4 v[13:16], v[13:14], off offset:512
	s_and_saveexec_b32 s2, s0
	s_cbranch_execz .LBB182_28
; %bb.42:                               ;   in Loop: Header=BB182_29 Depth=1
	v_cmp_gt_i32_e64 s0, s25, v70
	v_cmp_gt_i32_e32 vcc_lo, s12, v75
	v_cmp_gt_i32_e64 s1, s25, v74
	s_waitcnt vmcnt(0)
	v_cndmask_b32_e64 v75, 0, v13, s0
	v_cmp_gt_i32_e64 s0, s12, v73
	v_cndmask_b32_sdwa v13, v67, v13, vcc_lo dst_sel:DWORD dst_unused:UNUSED_PAD src0_sel:DWORD src1_sel:WORD_1
	v_cndmask_b32_e64 v73, 0, v14, s1
	v_cmp_gt_i32_e64 s1, s12, v72
	s_mov_b32 vcc_lo, s0
	v_cmp_gt_i32_e64 s0, s12, v52
	v_cndmask_b32_sdwa v14, v67, v14, vcc_lo dst_sel:DWORD dst_unused:UNUSED_PAD src0_sel:DWORD src1_sel:WORD_1
	v_cmp_gt_i32_e32 vcc_lo, s25, v53
	v_perm_b32 v13, v13, v75, 0x5040100
	v_perm_b32 v14, v14, v73, 0x5040100
	v_cndmask_b32_e32 v53, 0, v15, vcc_lo
	s_mov_b32 vcc_lo, s1
	v_cndmask_b32_sdwa v15, v67, v15, vcc_lo dst_sel:DWORD dst_unused:UNUSED_PAD src0_sel:DWORD src1_sel:WORD_1
	v_cmp_gt_i32_e32 vcc_lo, s25, v0
	v_perm_b32 v15, v15, v53, 0x5040100
	v_cndmask_b32_e32 v0, 0, v16, vcc_lo
	s_mov_b32 vcc_lo, s0
	v_cndmask_b32_sdwa v16, v67, v16, vcc_lo dst_sel:DWORD dst_unused:UNUSED_PAD src0_sel:DWORD src1_sel:WORD_1
	v_perm_b32 v16, v16, v0, 0x5040100
	s_branch .LBB182_28
.LBB182_43:                             ;   in Loop: Header=BB182_29 Depth=1
	v_cmp_gt_i32_e64 s1, s25, v70
	v_cmp_gt_i32_e32 vcc_lo, s12, v75
	v_cmp_gt_i32_e64 s2, s25, v74
	s_waitcnt vmcnt(0)
	v_cndmask_b32_e64 v5, 0, v1, s1
	v_cmp_gt_i32_e64 s1, s12, v73
	v_cndmask_b32_sdwa v1, v67, v1, vcc_lo dst_sel:DWORD dst_unused:UNUSED_PAD src0_sel:DWORD src1_sel:WORD_1
	v_cndmask_b32_e64 v6, 0, v2, s2
	v_cmp_gt_i32_e64 s2, s12, v72
	s_mov_b32 vcc_lo, s1
	v_cmp_gt_i32_e64 s1, s12, v52
	v_cndmask_b32_sdwa v2, v67, v2, vcc_lo dst_sel:DWORD dst_unused:UNUSED_PAD src0_sel:DWORD src1_sel:WORD_1
	v_cmp_gt_i32_e32 vcc_lo, s25, v53
	v_perm_b32 v1, v1, v5, 0x5040100
	v_perm_b32 v2, v2, v6, 0x5040100
	v_cndmask_b32_e32 v7, 0, v3, vcc_lo
	s_mov_b32 vcc_lo, s2
	v_cndmask_b32_sdwa v3, v67, v3, vcc_lo dst_sel:DWORD dst_unused:UNUSED_PAD src0_sel:DWORD src1_sel:WORD_1
	v_cmp_gt_i32_e32 vcc_lo, s25, v0
	v_perm_b32 v3, v3, v7, 0x5040100
	v_cndmask_b32_e32 v8, 0, v4, vcc_lo
	s_mov_b32 vcc_lo, s1
	v_cndmask_b32_sdwa v4, v67, v4, vcc_lo dst_sel:DWORD dst_unused:UNUSED_PAD src0_sel:DWORD src1_sel:WORD_1
	v_perm_b32 v4, v4, v8, 0x5040100
	s_or_b32 exec_lo, exec_lo, s13
	global_load_dwordx4 v[5:8], v[13:14], off offset:512
	s_and_saveexec_b32 s13, s0
	s_cbranch_execz .LBB182_31
.LBB182_44:                             ;   in Loop: Header=BB182_29 Depth=1
	v_cmp_gt_i32_e64 s1, s25, v70
	v_cmp_gt_i32_e32 vcc_lo, s12, v75
	v_cmp_gt_i32_e64 s2, s25, v74
	s_waitcnt vmcnt(0)
	v_cndmask_b32_e64 v9, 0, v5, s1
	v_cmp_gt_i32_e64 s1, s12, v73
	v_cndmask_b32_sdwa v5, v67, v5, vcc_lo dst_sel:DWORD dst_unused:UNUSED_PAD src0_sel:DWORD src1_sel:WORD_1
	v_cndmask_b32_e64 v10, 0, v6, s2
	v_cmp_gt_i32_e64 s2, s12, v72
	s_mov_b32 vcc_lo, s1
	v_cmp_gt_i32_e64 s1, s12, v52
	v_cndmask_b32_sdwa v6, v67, v6, vcc_lo dst_sel:DWORD dst_unused:UNUSED_PAD src0_sel:DWORD src1_sel:WORD_1
	v_cmp_gt_i32_e32 vcc_lo, s25, v53
	v_perm_b32 v5, v5, v9, 0x5040100
	v_perm_b32 v6, v6, v10, 0x5040100
	v_cndmask_b32_e32 v11, 0, v7, vcc_lo
	s_mov_b32 vcc_lo, s2
	v_cndmask_b32_sdwa v7, v67, v7, vcc_lo dst_sel:DWORD dst_unused:UNUSED_PAD src0_sel:DWORD src1_sel:WORD_1
	v_cmp_gt_i32_e32 vcc_lo, s25, v0
	v_perm_b32 v7, v7, v11, 0x5040100
	v_cndmask_b32_e32 v12, 0, v8, vcc_lo
	s_mov_b32 vcc_lo, s1
	v_cndmask_b32_sdwa v8, v67, v8, vcc_lo dst_sel:DWORD dst_unused:UNUSED_PAD src0_sel:DWORD src1_sel:WORD_1
	v_perm_b32 v8, v8, v12, 0x5040100
	s_or_b32 exec_lo, exec_lo, s13
	global_load_dwordx4 v[9:12], v[13:14], off offset:1024
	s_and_saveexec_b32 s13, s0
	s_cbranch_execz .LBB182_32
.LBB182_45:                             ;   in Loop: Header=BB182_29 Depth=1
	v_cmp_gt_i32_e64 s1, s25, v70
	v_cmp_gt_i32_e32 vcc_lo, s12, v75
	v_cmp_gt_i32_e64 s2, s25, v74
	s_waitcnt vmcnt(0)
	v_cndmask_b32_e64 v15, 0, v9, s1
	v_cmp_gt_i32_e64 s1, s12, v73
	v_cndmask_b32_sdwa v9, v67, v9, vcc_lo dst_sel:DWORD dst_unused:UNUSED_PAD src0_sel:DWORD src1_sel:WORD_1
	v_cndmask_b32_e64 v16, 0, v10, s2
	v_cmp_gt_i32_e64 s2, s12, v72
	s_mov_b32 vcc_lo, s1
	v_cmp_gt_i32_e64 s1, s12, v52
	v_cndmask_b32_sdwa v10, v67, v10, vcc_lo dst_sel:DWORD dst_unused:UNUSED_PAD src0_sel:DWORD src1_sel:WORD_1
	v_cmp_gt_i32_e32 vcc_lo, s25, v53
	v_perm_b32 v9, v9, v15, 0x5040100
	v_perm_b32 v10, v10, v16, 0x5040100
	v_cndmask_b32_e32 v17, 0, v11, vcc_lo
	s_mov_b32 vcc_lo, s2
	v_cndmask_b32_sdwa v11, v67, v11, vcc_lo dst_sel:DWORD dst_unused:UNUSED_PAD src0_sel:DWORD src1_sel:WORD_1
	v_cmp_gt_i32_e32 vcc_lo, s25, v0
	v_perm_b32 v11, v11, v17, 0x5040100
	v_cndmask_b32_e32 v18, 0, v12, vcc_lo
	s_mov_b32 vcc_lo, s1
	v_cndmask_b32_sdwa v12, v67, v12, vcc_lo dst_sel:DWORD dst_unused:UNUSED_PAD src0_sel:DWORD src1_sel:WORD_1
	v_perm_b32 v12, v12, v18, 0x5040100
	s_or_b32 exec_lo, exec_lo, s13
	global_load_dwordx4 v[17:20], v[13:14], off offset:1536
	s_and_saveexec_b32 s13, s0
	s_cbranch_execnz .LBB182_33
	s_branch .LBB182_34
.LBB182_46:                             ;   in Loop: Header=BB182_29 Depth=1
	v_cmp_gt_i32_e64 s1, s25, v70
	v_cmp_gt_i32_e32 vcc_lo, s12, v75
	v_cmp_gt_i32_e64 s2, s25, v74
	s_waitcnt vmcnt(0)
	v_cndmask_b32_e64 v25, 0, v21, s1
	v_cmp_gt_i32_e64 s1, s12, v73
	v_cndmask_b32_sdwa v21, v67, v21, vcc_lo dst_sel:DWORD dst_unused:UNUSED_PAD src0_sel:DWORD src1_sel:WORD_1
	v_cndmask_b32_e64 v26, 0, v22, s2
	v_cmp_gt_i32_e64 s2, s12, v72
	s_mov_b32 vcc_lo, s1
	v_cmp_gt_i32_e64 s1, s12, v52
	v_cndmask_b32_sdwa v22, v67, v22, vcc_lo dst_sel:DWORD dst_unused:UNUSED_PAD src0_sel:DWORD src1_sel:WORD_1
	v_cmp_gt_i32_e32 vcc_lo, s25, v53
	v_perm_b32 v21, v21, v25, 0x5040100
	v_perm_b32 v22, v22, v26, 0x5040100
	v_cndmask_b32_e32 v27, 0, v23, vcc_lo
	s_mov_b32 vcc_lo, s2
	v_cndmask_b32_sdwa v23, v67, v23, vcc_lo dst_sel:DWORD dst_unused:UNUSED_PAD src0_sel:DWORD src1_sel:WORD_1
	v_cmp_gt_i32_e32 vcc_lo, s25, v0
	v_perm_b32 v23, v23, v27, 0x5040100
	v_cndmask_b32_e32 v28, 0, v24, vcc_lo
	s_mov_b32 vcc_lo, s1
	v_cndmask_b32_sdwa v24, v67, v24, vcc_lo dst_sel:DWORD dst_unused:UNUSED_PAD src0_sel:DWORD src1_sel:WORD_1
	v_perm_b32 v24, v24, v28, 0x5040100
	s_or_b32 exec_lo, exec_lo, s13
	global_load_dwordx4 v[25:28], v[15:16], off offset:512
	s_and_saveexec_b32 s13, s0
	s_cbranch_execz .LBB182_36
.LBB182_47:                             ;   in Loop: Header=BB182_29 Depth=1
	v_cmp_gt_i32_e64 s1, s25, v70
	v_cmp_gt_i32_e32 vcc_lo, s12, v75
	v_cmp_gt_i32_e64 s2, s25, v74
	s_waitcnt vmcnt(0)
	v_cndmask_b32_e64 v37, 0, v25, s1
	v_cmp_gt_i32_e64 s1, s12, v73
	v_cndmask_b32_sdwa v25, v67, v25, vcc_lo dst_sel:DWORD dst_unused:UNUSED_PAD src0_sel:DWORD src1_sel:WORD_1
	v_cndmask_b32_e64 v38, 0, v26, s2
	v_cmp_gt_i32_e64 s2, s12, v72
	s_mov_b32 vcc_lo, s1
	v_cmp_gt_i32_e64 s1, s12, v52
	v_cndmask_b32_sdwa v26, v67, v26, vcc_lo dst_sel:DWORD dst_unused:UNUSED_PAD src0_sel:DWORD src1_sel:WORD_1
	v_cmp_gt_i32_e32 vcc_lo, s25, v53
	v_perm_b32 v25, v25, v37, 0x5040100
	v_perm_b32 v26, v26, v38, 0x5040100
	v_cndmask_b32_e32 v39, 0, v27, vcc_lo
	s_mov_b32 vcc_lo, s2
	v_cndmask_b32_sdwa v27, v67, v27, vcc_lo dst_sel:DWORD dst_unused:UNUSED_PAD src0_sel:DWORD src1_sel:WORD_1
	v_cmp_gt_i32_e32 vcc_lo, s25, v0
	v_perm_b32 v27, v27, v39, 0x5040100
	v_cndmask_b32_e32 v40, 0, v28, vcc_lo
	s_mov_b32 vcc_lo, s1
	v_cndmask_b32_sdwa v28, v67, v28, vcc_lo dst_sel:DWORD dst_unused:UNUSED_PAD src0_sel:DWORD src1_sel:WORD_1
	v_perm_b32 v28, v28, v40, 0x5040100
	s_or_b32 exec_lo, exec_lo, s13
	global_load_dwordx4 v[37:40], v[15:16], off offset:1024
	s_and_saveexec_b32 s13, s0
	s_cbranch_execz .LBB182_37
.LBB182_48:                             ;   in Loop: Header=BB182_29 Depth=1
	v_cmp_gt_i32_e64 s1, s25, v70
	v_cmp_gt_i32_e32 vcc_lo, s12, v75
	v_cmp_gt_i32_e64 s2, s25, v74
	s_waitcnt vmcnt(0)
	v_cndmask_b32_e64 v41, 0, v37, s1
	v_cmp_gt_i32_e64 s1, s12, v73
	v_cndmask_b32_sdwa v37, v67, v37, vcc_lo dst_sel:DWORD dst_unused:UNUSED_PAD src0_sel:DWORD src1_sel:WORD_1
	v_cndmask_b32_e64 v42, 0, v38, s2
	v_cmp_gt_i32_e64 s2, s12, v72
	s_mov_b32 vcc_lo, s1
	v_cmp_gt_i32_e64 s1, s12, v52
	v_cndmask_b32_sdwa v38, v67, v38, vcc_lo dst_sel:DWORD dst_unused:UNUSED_PAD src0_sel:DWORD src1_sel:WORD_1
	v_cmp_gt_i32_e32 vcc_lo, s25, v53
	v_perm_b32 v37, v37, v41, 0x5040100
	v_perm_b32 v38, v38, v42, 0x5040100
	v_cndmask_b32_e32 v43, 0, v39, vcc_lo
	s_mov_b32 vcc_lo, s2
	v_cndmask_b32_sdwa v39, v67, v39, vcc_lo dst_sel:DWORD dst_unused:UNUSED_PAD src0_sel:DWORD src1_sel:WORD_1
	v_cmp_gt_i32_e32 vcc_lo, s25, v0
	v_perm_b32 v39, v39, v43, 0x5040100
	v_cndmask_b32_e32 v44, 0, v40, vcc_lo
	s_mov_b32 vcc_lo, s1
	v_cndmask_b32_sdwa v40, v67, v40, vcc_lo dst_sel:DWORD dst_unused:UNUSED_PAD src0_sel:DWORD src1_sel:WORD_1
	v_perm_b32 v40, v40, v44, 0x5040100
	s_or_b32 exec_lo, exec_lo, s13
	global_load_dwordx4 v[41:44], v[15:16], off offset:1536
	s_and_saveexec_b32 s13, s0
	s_cbranch_execnz .LBB182_38
	s_branch .LBB182_39
.LBB182_49:
	s_or_b32 exec_lo, exec_lo, s9
	v_mov_b32_e32 v25, v79
	v_mov_b32_e32 v26, v80
.LBB182_50:
	s_or_b32 exec_lo, exec_lo, s3
	ds_bpermute_b32 v0, v55, v64
	ds_bpermute_b32 v1, v55, v66
	;; [unrolled: 1-line block ×10, first 2 shown]
	v_lshrrev_b32_e32 v10, 2, v26
	v_mul_u32_u24_e32 v12, 0x140, v25
	v_and_b32_e32 v25, 0x3c3, v78
	s_mov_b32 s0, exec_lo
	s_waitcnt lgkmcnt(0)
	s_waitcnt_vscnt null, 0x0
	s_barrier
	buffer_gl0_inv
	v_add_f32_e32 v0, v64, v0
	v_add_f32_e32 v1, v66, v1
	;; [unrolled: 1-line block ×10, first 2 shown]
	ds_bpermute_b32 v5, v54, v0
	ds_bpermute_b32 v6, v54, v1
	;; [unrolled: 1-line block ×10, first 2 shown]
	v_and_b32_e32 v8, 28, v26
	v_add_nc_u32_e32 v11, 0xc0, v8
	s_waitcnt lgkmcnt(9)
	v_add_f32_e32 v9, v0, v5
	s_waitcnt lgkmcnt(8)
	v_add_f32_e32 v8, v1, v6
	s_waitcnt lgkmcnt(7)
	v_add_f32_e32 v7, v2, v7
	s_waitcnt lgkmcnt(6)
	v_add_f32_e32 v6, v3, v18
	s_waitcnt lgkmcnt(5)
	v_add_f32_e32 v5, v4, v19
	s_waitcnt lgkmcnt(4)
	v_add_f32_e32 v4, v13, v20
	s_waitcnt lgkmcnt(3)
	v_add_f32_e32 v3, v14, v21
	s_waitcnt lgkmcnt(2)
	v_add_f32_e32 v2, v15, v22
	s_waitcnt lgkmcnt(1)
	v_add_f32_e32 v1, v16, v23
	s_waitcnt lgkmcnt(0)
	v_add_f32_e32 v0, v17, v24
	v_cmpx_eq_u32_e32 64, v25
	s_cbranch_execz .LBB182_52
; %bb.51:
	v_add_nc_u32_e32 v13, v11, v12
	v_add_nc_u32_e32 v14, 0xfffffd80, v13
	;; [unrolled: 1-line block ×6, first 2 shown]
	ds_write_b32 v14, v9
	ds_write_b32 v15, v8
	ds_write_b32 v16, v7
	ds_write_b32 v17, v6
	ds_write_b32 v18, v5
	v_add_nc_u32_e32 v14, 0xfffffe20, v13
	v_add_nc_u32_e32 v15, 0xfffffe40, v13
	;; [unrolled: 1-line block ×5, first 2 shown]
	ds_write_b32 v14, v4
	ds_write_b32 v15, v3
	;; [unrolled: 1-line block ×5, first 2 shown]
.LBB182_52:
	s_or_b32 exec_lo, exec_lo, s0
	v_lshlrev_b32_e32 v10, 2, v10
	s_mov_b32 s1, exec_lo
	v_cmp_eq_u32_e32 vcc_lo, 0, v56
	s_waitcnt lgkmcnt(0)
	s_barrier
	v_add3_u32 v10, 0xc0, v12, v10
	buffer_gl0_inv
	v_cmpx_gt_u32_e32 64, v78
	s_cbranch_execz .LBB182_65
; %bb.53:
	s_and_saveexec_b32 s0, vcc_lo
	s_cbranch_execnz .LBB182_83
; %bb.54:
	s_or_b32 exec_lo, exec_lo, s0
	s_and_saveexec_b32 s0, vcc_lo
	s_cbranch_execnz .LBB182_84
.LBB182_55:
	s_or_b32 exec_lo, exec_lo, s0
	s_and_saveexec_b32 s0, vcc_lo
	s_cbranch_execnz .LBB182_85
.LBB182_56:
	s_or_b32 exec_lo, exec_lo, s0
	s_and_saveexec_b32 s0, vcc_lo
	s_cbranch_execnz .LBB182_86
.LBB182_57:
	s_or_b32 exec_lo, exec_lo, s0
	s_and_saveexec_b32 s0, vcc_lo
	s_cbranch_execnz .LBB182_87
.LBB182_58:
	s_or_b32 exec_lo, exec_lo, s0
	s_and_saveexec_b32 s0, vcc_lo
	s_cbranch_execnz .LBB182_88
.LBB182_59:
	s_or_b32 exec_lo, exec_lo, s0
	s_and_saveexec_b32 s0, vcc_lo
	s_cbranch_execnz .LBB182_89
.LBB182_60:
	s_or_b32 exec_lo, exec_lo, s0
	s_and_saveexec_b32 s0, vcc_lo
	s_cbranch_execnz .LBB182_90
.LBB182_61:
	s_or_b32 exec_lo, exec_lo, s0
	s_and_saveexec_b32 s0, vcc_lo
	s_cbranch_execnz .LBB182_91
.LBB182_62:
	s_or_b32 exec_lo, exec_lo, s0
	s_and_saveexec_b32 s0, vcc_lo
	s_cbranch_execz .LBB182_64
.LBB182_63:
	ds_read_b32 v12, v10 offset:288
	s_waitcnt lgkmcnt(0)
	v_add_f32_e32 v0, v0, v12
.LBB182_64:
	s_or_b32 exec_lo, exec_lo, s0
.LBB182_65:
	s_or_b32 exec_lo, exec_lo, s1
	v_and_b32_e32 v12, 0x3e3, v78
	s_mov_b32 s1, exec_lo
	s_barrier
	buffer_gl0_inv
	v_cmpx_eq_u32_e32 32, v12
	s_cbranch_execz .LBB182_67
; %bb.66:
	ds_write2_b32 v11, v9, v8 offset1:8
	ds_write2_b32 v11, v7, v6 offset0:16 offset1:24
	ds_write2_b32 v11, v5, v4 offset0:32 offset1:40
	;; [unrolled: 1-line block ×4, first 2 shown]
.LBB182_67:
	s_or_b32 exec_lo, exec_lo, s1
	s_mov_b32 s1, exec_lo
	s_waitcnt lgkmcnt(0)
	s_barrier
	buffer_gl0_inv
	v_cmpx_gt_u32_e32 32, v78
	s_cbranch_execz .LBB182_80
; %bb.68:
	s_and_saveexec_b32 s0, vcc_lo
	s_cbranch_execnz .LBB182_92
; %bb.69:
	s_or_b32 exec_lo, exec_lo, s0
	s_and_saveexec_b32 s0, vcc_lo
	s_cbranch_execnz .LBB182_93
.LBB182_70:
	s_or_b32 exec_lo, exec_lo, s0
	s_and_saveexec_b32 s0, vcc_lo
	s_cbranch_execnz .LBB182_94
.LBB182_71:
	s_or_b32 exec_lo, exec_lo, s0
	s_and_saveexec_b32 s0, vcc_lo
	s_cbranch_execnz .LBB182_95
.LBB182_72:
	s_or_b32 exec_lo, exec_lo, s0
	s_and_saveexec_b32 s0, vcc_lo
	s_cbranch_execnz .LBB182_96
.LBB182_73:
	s_or_b32 exec_lo, exec_lo, s0
	s_and_saveexec_b32 s0, vcc_lo
	s_cbranch_execnz .LBB182_97
.LBB182_74:
	s_or_b32 exec_lo, exec_lo, s0
	s_and_saveexec_b32 s0, vcc_lo
	s_cbranch_execnz .LBB182_98
.LBB182_75:
	s_or_b32 exec_lo, exec_lo, s0
	s_and_saveexec_b32 s0, vcc_lo
	s_cbranch_execnz .LBB182_99
.LBB182_76:
	s_or_b32 exec_lo, exec_lo, s0
	s_and_saveexec_b32 s0, vcc_lo
	s_cbranch_execnz .LBB182_100
.LBB182_77:
	s_or_b32 exec_lo, exec_lo, s0
	s_and_saveexec_b32 s0, vcc_lo
	s_cbranch_execz .LBB182_79
.LBB182_78:
	ds_read_b32 v10, v10 offset:288
	s_waitcnt lgkmcnt(0)
	v_add_f32_e32 v0, v0, v10
.LBB182_79:
	s_or_b32 exec_lo, exec_lo, s0
.LBB182_80:
	s_or_b32 exec_lo, exec_lo, s1
	s_barrier
	buffer_gl0_inv
	s_mov_b32 s0, exec_lo
	v_cmpx_eq_u32_e32 0, v12
	s_cbranch_execz .LBB182_82
; %bb.81:
	s_mul_i32 s0, s4, 0x50
	v_bfe_u32 v10, v9, 16, 1
	s_ashr_i32 s1, s0, 31
	s_mul_i32 s2, s7, s10
	s_lshl_b64 s[0:1], s[0:1], 1
	v_or_b32_e32 v11, 0x400000, v9
	s_add_u32 s4, s20, s0
	s_addc_u32 s1, s21, s1
	s_ashr_i32 s3, s2, 31
	v_add3_u32 v10, v10, v9, 0x7fff
	s_lshl_b64 s[2:3], s[2:3], 1
	v_bfe_u32 v13, v8, 16, 1
	v_cmp_u_f32_e32 vcc_lo, v9, v9
	s_mul_i32 s0, s8, 0x50
	s_add_u32 s2, s4, s2
	s_addc_u32 s3, s1, s3
	s_ashr_i32 s1, s0, 31
	v_lshrrev_b32_e32 v12, 1, v78
	s_lshl_b64 s[0:1], s[0:1], 1
	v_cndmask_b32_e32 v9, v10, v11, vcc_lo
	v_bfe_u32 v10, v7, 16, 1
	v_add3_u32 v11, v13, v8, 0x7fff
	v_or_b32_e32 v13, 0x400000, v8
	v_cmp_u_f32_e32 vcc_lo, v8, v8
	s_add_u32 s0, s2, s0
	s_addc_u32 s1, s3, s1
	global_store_short_d16_hi v12, v9, s[0:1]
	v_add3_u32 v9, v10, v7, 0x7fff
	v_or_b32_e32 v10, 0x400000, v7
	v_cndmask_b32_e32 v8, v11, v13, vcc_lo
	v_bfe_u32 v11, v6, 16, 1
	v_cmp_u_f32_e32 vcc_lo, v7, v7
	global_store_short_d16_hi v12, v8, s[0:1] offset:16
	v_add3_u32 v8, v11, v6, 0x7fff
	v_cndmask_b32_e32 v7, v9, v10, vcc_lo
	v_bfe_u32 v9, v5, 16, 1
	v_or_b32_e32 v10, 0x400000, v6
	v_cmp_u_f32_e32 vcc_lo, v6, v6
	global_store_short_d16_hi v12, v7, s[0:1] offset:32
	v_add3_u32 v7, v9, v5, 0x7fff
	v_or_b32_e32 v9, 0x400000, v5
	v_cndmask_b32_e32 v6, v8, v10, vcc_lo
	v_bfe_u32 v8, v4, 16, 1
	v_cmp_u_f32_e32 vcc_lo, v5, v5
	v_or_b32_e32 v10, 0x400000, v0
	global_store_short_d16_hi v12, v6, s[0:1] offset:48
	v_add3_u32 v6, v8, v4, 0x7fff
	v_cndmask_b32_e32 v5, v7, v9, vcc_lo
	v_bfe_u32 v7, v3, 16, 1
	v_or_b32_e32 v8, 0x400000, v4
	v_cmp_u_f32_e32 vcc_lo, v4, v4
	v_or_b32_e32 v9, 0x400000, v1
	global_store_short_d16_hi v12, v5, s[0:1] offset:64
	v_add3_u32 v5, v7, v3, 0x7fff
	v_or_b32_e32 v7, 0x400000, v3
	v_cndmask_b32_e32 v4, v6, v8, vcc_lo
	v_bfe_u32 v6, v2, 16, 1
	v_cmp_u_f32_e32 vcc_lo, v3, v3
	v_bfe_u32 v8, v1, 16, 1
	v_add3_u32 v6, v6, v2, 0x7fff
	v_cndmask_b32_e32 v3, v5, v7, vcc_lo
	v_or_b32_e32 v7, 0x400000, v2
	v_cmp_u_f32_e32 vcc_lo, v2, v2
	v_bfe_u32 v5, v0, 16, 1
	v_add3_u32 v8, v8, v1, 0x7fff
	v_cndmask_b32_e32 v2, v6, v7, vcc_lo
	v_cmp_u_f32_e32 vcc_lo, v1, v1
	v_add3_u32 v5, v5, v0, 0x7fff
	v_cndmask_b32_e32 v1, v8, v9, vcc_lo
	v_cmp_u_f32_e32 vcc_lo, v0, v0
	v_cndmask_b32_e32 v0, v5, v10, vcc_lo
	global_store_short_d16_hi v12, v4, s[0:1] offset:80
	global_store_short_d16_hi v12, v3, s[0:1] offset:96
	;; [unrolled: 1-line block ×5, first 2 shown]
.LBB182_82:
	s_endpgm
.LBB182_83:
	ds_read_b32 v12, v10
	s_waitcnt lgkmcnt(0)
	v_add_f32_e32 v9, v9, v12
	s_or_b32 exec_lo, exec_lo, s0
	s_and_saveexec_b32 s0, vcc_lo
	s_cbranch_execz .LBB182_55
.LBB182_84:
	ds_read_b32 v12, v10 offset:32
	s_waitcnt lgkmcnt(0)
	v_add_f32_e32 v8, v8, v12
	s_or_b32 exec_lo, exec_lo, s0
	s_and_saveexec_b32 s0, vcc_lo
	s_cbranch_execz .LBB182_56
.LBB182_85:
	ds_read_b32 v12, v10 offset:64
	s_waitcnt lgkmcnt(0)
	v_add_f32_e32 v7, v7, v12
	s_or_b32 exec_lo, exec_lo, s0
	s_and_saveexec_b32 s0, vcc_lo
	s_cbranch_execz .LBB182_57
.LBB182_86:
	ds_read_b32 v12, v10 offset:96
	s_waitcnt lgkmcnt(0)
	v_add_f32_e32 v6, v6, v12
	s_or_b32 exec_lo, exec_lo, s0
	s_and_saveexec_b32 s0, vcc_lo
	s_cbranch_execz .LBB182_58
.LBB182_87:
	ds_read_b32 v12, v10 offset:128
	s_waitcnt lgkmcnt(0)
	v_add_f32_e32 v5, v5, v12
	s_or_b32 exec_lo, exec_lo, s0
	s_and_saveexec_b32 s0, vcc_lo
	s_cbranch_execz .LBB182_59
.LBB182_88:
	ds_read_b32 v12, v10 offset:160
	s_waitcnt lgkmcnt(0)
	v_add_f32_e32 v4, v4, v12
	s_or_b32 exec_lo, exec_lo, s0
	s_and_saveexec_b32 s0, vcc_lo
	s_cbranch_execz .LBB182_60
.LBB182_89:
	ds_read_b32 v12, v10 offset:192
	s_waitcnt lgkmcnt(0)
	v_add_f32_e32 v3, v3, v12
	s_or_b32 exec_lo, exec_lo, s0
	s_and_saveexec_b32 s0, vcc_lo
	s_cbranch_execz .LBB182_61
.LBB182_90:
	ds_read_b32 v12, v10 offset:224
	s_waitcnt lgkmcnt(0)
	v_add_f32_e32 v2, v2, v12
	s_or_b32 exec_lo, exec_lo, s0
	s_and_saveexec_b32 s0, vcc_lo
	s_cbranch_execz .LBB182_62
.LBB182_91:
	ds_read_b32 v12, v10 offset:256
	s_waitcnt lgkmcnt(0)
	v_add_f32_e32 v1, v1, v12
	s_or_b32 exec_lo, exec_lo, s0
	s_and_saveexec_b32 s0, vcc_lo
	s_cbranch_execnz .LBB182_63
	s_branch .LBB182_64
.LBB182_92:
	ds_read_b32 v11, v10
	s_waitcnt lgkmcnt(0)
	v_add_f32_e32 v9, v9, v11
	s_or_b32 exec_lo, exec_lo, s0
	s_and_saveexec_b32 s0, vcc_lo
	s_cbranch_execz .LBB182_70
.LBB182_93:
	ds_read_b32 v11, v10 offset:32
	s_waitcnt lgkmcnt(0)
	v_add_f32_e32 v8, v8, v11
	s_or_b32 exec_lo, exec_lo, s0
	s_and_saveexec_b32 s0, vcc_lo
	s_cbranch_execz .LBB182_71
.LBB182_94:
	ds_read_b32 v11, v10 offset:64
	s_waitcnt lgkmcnt(0)
	v_add_f32_e32 v7, v7, v11
	s_or_b32 exec_lo, exec_lo, s0
	s_and_saveexec_b32 s0, vcc_lo
	s_cbranch_execz .LBB182_72
.LBB182_95:
	ds_read_b32 v11, v10 offset:96
	s_waitcnt lgkmcnt(0)
	v_add_f32_e32 v6, v6, v11
	s_or_b32 exec_lo, exec_lo, s0
	s_and_saveexec_b32 s0, vcc_lo
	s_cbranch_execz .LBB182_73
.LBB182_96:
	ds_read_b32 v11, v10 offset:128
	s_waitcnt lgkmcnt(0)
	v_add_f32_e32 v5, v5, v11
	s_or_b32 exec_lo, exec_lo, s0
	s_and_saveexec_b32 s0, vcc_lo
	s_cbranch_execz .LBB182_74
.LBB182_97:
	ds_read_b32 v11, v10 offset:160
	s_waitcnt lgkmcnt(0)
	v_add_f32_e32 v4, v4, v11
	s_or_b32 exec_lo, exec_lo, s0
	s_and_saveexec_b32 s0, vcc_lo
	s_cbranch_execz .LBB182_75
.LBB182_98:
	ds_read_b32 v11, v10 offset:192
	s_waitcnt lgkmcnt(0)
	v_add_f32_e32 v3, v3, v11
	s_or_b32 exec_lo, exec_lo, s0
	s_and_saveexec_b32 s0, vcc_lo
	s_cbranch_execz .LBB182_76
.LBB182_99:
	ds_read_b32 v11, v10 offset:224
	s_waitcnt lgkmcnt(0)
	v_add_f32_e32 v2, v2, v11
	s_or_b32 exec_lo, exec_lo, s0
	s_and_saveexec_b32 s0, vcc_lo
	s_cbranch_execz .LBB182_77
.LBB182_100:
	ds_read_b32 v11, v10 offset:256
	s_waitcnt lgkmcnt(0)
	v_add_f32_e32 v1, v1, v11
	s_or_b32 exec_lo, exec_lo, s0
	s_and_saveexec_b32 s0, vcc_lo
	s_cbranch_execnz .LBB182_78
	s_branch .LBB182_79
	.section	.rodata,"a",@progbits
	.p2align	6, 0x0
	.amdhsa_kernel _ZN4vllm25paged_attention_v2_kernelI14__hip_bfloat16S1_Li80ELi32ELi128ELNS_18Fp8KVCacheDataTypeE0ELb0ELi512EEEvPfS3_PT_PKS4_PKT0_SA_ifPKiSC_iPKfiiiSE_SE_iiiii
		.amdhsa_group_segment_fixed_size 192
		.amdhsa_private_segment_fixed_size 52
		.amdhsa_kernarg_size 400
		.amdhsa_user_sgpr_count 6
		.amdhsa_user_sgpr_private_segment_buffer 1
		.amdhsa_user_sgpr_dispatch_ptr 0
		.amdhsa_user_sgpr_queue_ptr 0
		.amdhsa_user_sgpr_kernarg_segment_ptr 1
		.amdhsa_user_sgpr_dispatch_id 0
		.amdhsa_user_sgpr_flat_scratch_init 0
		.amdhsa_user_sgpr_private_segment_size 0
		.amdhsa_wavefront_size32 1
		.amdhsa_uses_dynamic_stack 0
		.amdhsa_system_sgpr_private_segment_wavefront_offset 1
		.amdhsa_system_sgpr_workgroup_id_x 1
		.amdhsa_system_sgpr_workgroup_id_y 1
		.amdhsa_system_sgpr_workgroup_id_z 1
		.amdhsa_system_sgpr_workgroup_info 0
		.amdhsa_system_vgpr_workitem_id 0
		.amdhsa_next_free_vgpr 128
		.amdhsa_next_free_sgpr 44
		.amdhsa_reserve_vcc 1
		.amdhsa_reserve_flat_scratch 0
		.amdhsa_float_round_mode_32 0
		.amdhsa_float_round_mode_16_64 0
		.amdhsa_float_denorm_mode_32 3
		.amdhsa_float_denorm_mode_16_64 3
		.amdhsa_dx10_clamp 1
		.amdhsa_ieee_mode 1
		.amdhsa_fp16_overflow 0
		.amdhsa_workgroup_processor_mode 1
		.amdhsa_memory_ordered 1
		.amdhsa_forward_progress 1
		.amdhsa_shared_vgpr_count 0
		.amdhsa_exception_fp_ieee_invalid_op 0
		.amdhsa_exception_fp_denorm_src 0
		.amdhsa_exception_fp_ieee_div_zero 0
		.amdhsa_exception_fp_ieee_overflow 0
		.amdhsa_exception_fp_ieee_underflow 0
		.amdhsa_exception_fp_ieee_inexact 0
		.amdhsa_exception_int_div_zero 0
	.end_amdhsa_kernel
	.section	.text._ZN4vllm25paged_attention_v2_kernelI14__hip_bfloat16S1_Li80ELi32ELi128ELNS_18Fp8KVCacheDataTypeE0ELb0ELi512EEEvPfS3_PT_PKS4_PKT0_SA_ifPKiSC_iPKfiiiSE_SE_iiiii,"axG",@progbits,_ZN4vllm25paged_attention_v2_kernelI14__hip_bfloat16S1_Li80ELi32ELi128ELNS_18Fp8KVCacheDataTypeE0ELb0ELi512EEEvPfS3_PT_PKS4_PKT0_SA_ifPKiSC_iPKfiiiSE_SE_iiiii,comdat
.Lfunc_end182:
	.size	_ZN4vllm25paged_attention_v2_kernelI14__hip_bfloat16S1_Li80ELi32ELi128ELNS_18Fp8KVCacheDataTypeE0ELb0ELi512EEEvPfS3_PT_PKS4_PKT0_SA_ifPKiSC_iPKfiiiSE_SE_iiiii, .Lfunc_end182-_ZN4vllm25paged_attention_v2_kernelI14__hip_bfloat16S1_Li80ELi32ELi128ELNS_18Fp8KVCacheDataTypeE0ELb0ELi512EEEvPfS3_PT_PKS4_PKT0_SA_ifPKiSC_iPKfiiiSE_SE_iiiii
                                        ; -- End function
	.set _ZN4vllm25paged_attention_v2_kernelI14__hip_bfloat16S1_Li80ELi32ELi128ELNS_18Fp8KVCacheDataTypeE0ELb0ELi512EEEvPfS3_PT_PKS4_PKT0_SA_ifPKiSC_iPKfiiiSE_SE_iiiii.num_vgpr, 128
	.set _ZN4vllm25paged_attention_v2_kernelI14__hip_bfloat16S1_Li80ELi32ELi128ELNS_18Fp8KVCacheDataTypeE0ELb0ELi512EEEvPfS3_PT_PKS4_PKT0_SA_ifPKiSC_iPKfiiiSE_SE_iiiii.num_agpr, 0
	.set _ZN4vllm25paged_attention_v2_kernelI14__hip_bfloat16S1_Li80ELi32ELi128ELNS_18Fp8KVCacheDataTypeE0ELb0ELi512EEEvPfS3_PT_PKS4_PKT0_SA_ifPKiSC_iPKfiiiSE_SE_iiiii.numbered_sgpr, 44
	.set _ZN4vllm25paged_attention_v2_kernelI14__hip_bfloat16S1_Li80ELi32ELi128ELNS_18Fp8KVCacheDataTypeE0ELb0ELi512EEEvPfS3_PT_PKS4_PKT0_SA_ifPKiSC_iPKfiiiSE_SE_iiiii.num_named_barrier, 0
	.set _ZN4vllm25paged_attention_v2_kernelI14__hip_bfloat16S1_Li80ELi32ELi128ELNS_18Fp8KVCacheDataTypeE0ELb0ELi512EEEvPfS3_PT_PKS4_PKT0_SA_ifPKiSC_iPKfiiiSE_SE_iiiii.private_seg_size, 52
	.set _ZN4vllm25paged_attention_v2_kernelI14__hip_bfloat16S1_Li80ELi32ELi128ELNS_18Fp8KVCacheDataTypeE0ELb0ELi512EEEvPfS3_PT_PKS4_PKT0_SA_ifPKiSC_iPKfiiiSE_SE_iiiii.uses_vcc, 1
	.set _ZN4vllm25paged_attention_v2_kernelI14__hip_bfloat16S1_Li80ELi32ELi128ELNS_18Fp8KVCacheDataTypeE0ELb0ELi512EEEvPfS3_PT_PKS4_PKT0_SA_ifPKiSC_iPKfiiiSE_SE_iiiii.uses_flat_scratch, 0
	.set _ZN4vllm25paged_attention_v2_kernelI14__hip_bfloat16S1_Li80ELi32ELi128ELNS_18Fp8KVCacheDataTypeE0ELb0ELi512EEEvPfS3_PT_PKS4_PKT0_SA_ifPKiSC_iPKfiiiSE_SE_iiiii.has_dyn_sized_stack, 0
	.set _ZN4vllm25paged_attention_v2_kernelI14__hip_bfloat16S1_Li80ELi32ELi128ELNS_18Fp8KVCacheDataTypeE0ELb0ELi512EEEvPfS3_PT_PKS4_PKT0_SA_ifPKiSC_iPKfiiiSE_SE_iiiii.has_recursion, 0
	.set _ZN4vllm25paged_attention_v2_kernelI14__hip_bfloat16S1_Li80ELi32ELi128ELNS_18Fp8KVCacheDataTypeE0ELb0ELi512EEEvPfS3_PT_PKS4_PKT0_SA_ifPKiSC_iPKfiiiSE_SE_iiiii.has_indirect_call, 0
	.section	.AMDGPU.csdata,"",@progbits
; Kernel info:
; codeLenInByte = 13252
; TotalNumSgprs: 46
; NumVgprs: 128
; ScratchSize: 52
; MemoryBound: 0
; FloatMode: 240
; IeeeMode: 1
; LDSByteSize: 192 bytes/workgroup (compile time only)
; SGPRBlocks: 0
; VGPRBlocks: 15
; NumSGPRsForWavesPerEU: 46
; NumVGPRsForWavesPerEU: 128
; Occupancy: 8
; WaveLimiterHint : 1
; COMPUTE_PGM_RSRC2:SCRATCH_EN: 1
; COMPUTE_PGM_RSRC2:USER_SGPR: 6
; COMPUTE_PGM_RSRC2:TRAP_HANDLER: 0
; COMPUTE_PGM_RSRC2:TGID_X_EN: 1
; COMPUTE_PGM_RSRC2:TGID_Y_EN: 1
; COMPUTE_PGM_RSRC2:TGID_Z_EN: 1
; COMPUTE_PGM_RSRC2:TIDIG_COMP_CNT: 0
	.section	.text._ZN4vllm25paged_attention_v2_kernelI14__hip_bfloat16S1_Li96ELi32ELi128ELNS_18Fp8KVCacheDataTypeE0ELb0ELi512EEEvPfS3_PT_PKS4_PKT0_SA_ifPKiSC_iPKfiiiSE_SE_iiiii,"axG",@progbits,_ZN4vllm25paged_attention_v2_kernelI14__hip_bfloat16S1_Li96ELi32ELi128ELNS_18Fp8KVCacheDataTypeE0ELb0ELi512EEEvPfS3_PT_PKS4_PKT0_SA_ifPKiSC_iPKfiiiSE_SE_iiiii,comdat
	.protected	_ZN4vllm25paged_attention_v2_kernelI14__hip_bfloat16S1_Li96ELi32ELi128ELNS_18Fp8KVCacheDataTypeE0ELb0ELi512EEEvPfS3_PT_PKS4_PKT0_SA_ifPKiSC_iPKfiiiSE_SE_iiiii ; -- Begin function _ZN4vllm25paged_attention_v2_kernelI14__hip_bfloat16S1_Li96ELi32ELi128ELNS_18Fp8KVCacheDataTypeE0ELb0ELi512EEEvPfS3_PT_PKS4_PKT0_SA_ifPKiSC_iPKfiiiSE_SE_iiiii
	.globl	_ZN4vllm25paged_attention_v2_kernelI14__hip_bfloat16S1_Li96ELi32ELi128ELNS_18Fp8KVCacheDataTypeE0ELb0ELi512EEEvPfS3_PT_PKS4_PKT0_SA_ifPKiSC_iPKfiiiSE_SE_iiiii
	.p2align	8
	.type	_ZN4vllm25paged_attention_v2_kernelI14__hip_bfloat16S1_Li96ELi32ELi128ELNS_18Fp8KVCacheDataTypeE0ELb0ELi512EEEvPfS3_PT_PKS4_PKT0_SA_ifPKiSC_iPKfiiiSE_SE_iiiii,@function
_ZN4vllm25paged_attention_v2_kernelI14__hip_bfloat16S1_Li96ELi32ELi128ELNS_18Fp8KVCacheDataTypeE0ELb0ELi512EEEvPfS3_PT_PKS4_PKT0_SA_ifPKiSC_iPKfiiiSE_SE_iiiii: ; @_ZN4vllm25paged_attention_v2_kernelI14__hip_bfloat16S1_Li96ELi32ELi128ELNS_18Fp8KVCacheDataTypeE0ELb0ELi512EEEvPfS3_PT_PKS4_PKT0_SA_ifPKiSC_iPKfiiiSE_SE_iiiii
; %bb.0:
	s_mov_b64 s[42:43], s[2:3]
	s_mov_b64 s[40:41], s[0:1]
	s_load_dwordx2 s[0:1], s[4:5], 0x40
	s_add_u32 s40, s40, s9
	s_addc_u32 s41, s41, 0
	s_mov_b32 s24, s7
	s_ashr_i32 s25, s7, 31
	s_lshl_b64 s[2:3], s[24:25], 2
	s_waitcnt lgkmcnt(0)
	s_add_u32 s0, s0, s2
	s_addc_u32 s1, s1, s3
	s_lshl_b32 s30, s8, 9
	s_load_dword s25, s[0:1], 0x0
	s_waitcnt lgkmcnt(0)
	s_cmp_ge_i32 s30, s25
	s_cbranch_scc1 .LBB183_90
; %bb.1:
	s_clause 0x1
	s_load_dword s9, s[4:5], 0x90
	s_load_dwordx2 s[2:3], s[4:5], 0x30
	v_mov_b32_e32 v88, v0
	s_mov_b32 s33, 0
	s_waitcnt lgkmcnt(0)
	s_abs_i32 s10, s9
	s_abs_i32 s0, s2
	s_xor_b32 s2, s9, s2
	v_cvt_f32_u32_e32 v0, s0
	s_sub_i32 s7, 0, s0
	s_ashr_i32 s2, s2, 31
	v_rcp_iflag_f32_e32 v0, v0
	v_mul_f32_e32 v0, 0x4f7ffffe, v0
	v_cvt_u32_f32_e32 v0, v0
	v_readfirstlane_b32 s1, v0
	s_mul_i32 s7, s7, s1
	s_mul_hi_u32 s7, s1, s7
	s_add_i32 s1, s1, s7
	s_mul_hi_u32 s1, s10, s1
	s_mul_i32 s7, s1, s0
	s_sub_i32 s7, s10, s7
	s_add_i32 s10, s1, 1
	s_sub_i32 s11, s7, s0
	s_cmp_ge_u32 s7, s0
	s_cselect_b32 s1, s10, s1
	s_cselect_b32 s7, s11, s7
	s_add_i32 s10, s1, 1
	s_cmp_ge_u32 s7, s0
	s_cselect_b32 s0, s10, s1
	s_abs_i32 s29, s6
	s_xor_b32 s0, s0, s2
	s_sub_i32 s10, s0, s2
	s_load_dwordx2 s[0:1], s[4:5], 0x50
	s_abs_i32 s2, s10
	v_cvt_f32_u32_e32 v0, s2
	s_sub_i32 s11, 0, s2
	v_rcp_iflag_f32_e32 v0, v0
	v_mul_f32_e32 v0, 0x4f7ffffe, v0
	v_cvt_u32_f32_e32 v0, v0
	v_readfirstlane_b32 s7, v0
	s_mul_i32 s11, s11, s7
	s_mul_hi_u32 s11, s7, s11
	s_add_i32 s7, s7, s11
	s_waitcnt lgkmcnt(0)
	s_cmp_eq_u64 s[0:1], 0
	s_mul_hi_u32 s28, s29, s7
	s_cbranch_scc1 .LBB183_3
; %bb.2:
	s_ashr_i32 s7, s6, 31
	s_lshl_b64 s[12:13], s[6:7], 2
	s_add_u32 s0, s0, s12
	s_addc_u32 s1, s1, s13
	s_load_dword s33, s[0:1], 0x0
.LBB183_3:
	s_clause 0x1
	s_load_dwordx2 s[22:23], s[4:5], 0x38
	s_load_dwordx4 s[12:15], s[4:5], 0x58
	v_lshlrev_b32_e32 v10, 4, v88
	s_ashr_i32 s0, s6, 31
	s_ashr_i32 s1, s10, 31
	s_mul_i32 s10, s6, 0x60
	s_mov_b32 s7, exec_lo
	v_cmpx_gt_u32_e32 12, v88
	s_cbranch_execz .LBB183_5
; %bb.4:
	s_load_dwordx2 s[16:17], s[4:5], 0x18
	s_waitcnt lgkmcnt(0)
	s_mul_i32 s18, s12, s24
	s_ashr_i32 s19, s18, 31
	s_lshl_b64 s[18:19], s[18:19], 1
	s_add_u32 s12, s16, s18
	s_addc_u32 s15, s17, s19
	s_ashr_i32 s11, s10, 31
	s_lshl_b64 s[16:17], s[10:11], 1
	s_add_u32 s16, s12, s16
	s_addc_u32 s17, s15, s17
	global_load_dwordx4 v[0:3], v10, s[16:17]
	s_waitcnt vmcnt(0)
	ds_write_b128 v10, v[0:3]
.LBB183_5:
	s_or_b32 exec_lo, exec_lo, s7
	s_add_i32 s7, s25, 31
	s_clause 0x1
	s_load_dwordx4 s[16:19], s[4:5], 0x0
	s_load_dwordx2 s[20:21], s[4:5], 0x10
	s_ashr_i32 s11, s7, 31
	s_lshl_b32 s31, s8, 4
	s_lshr_b32 s11, s11, 27
	s_mul_i32 s34, s28, s2
	s_add_i32 s7, s7, s11
	s_add_i32 s11, s31, 16
	s_waitcnt lgkmcnt(0)
	s_ashr_i32 s12, s7, 5
	s_clause 0x2
	s_load_dwordx2 s[26:27], s[4:5], 0x28
	s_load_dword s7, s[4:5], 0x98
	s_load_dword s15, s[4:5], 0x48
	s_xor_b32 s0, s0, s1
	s_sub_i32 s1, s29, s34
	s_min_i32 s11, s11, s12
	s_add_i32 s29, s28, 1
	s_sub_i32 s34, s1, s2
	s_cmp_ge_u32 s1, s2
	v_lshrrev_b32_e32 v27, 5, v88
	s_cselect_b32 s28, s29, s28
	s_cselect_b32 s1, s34, s1
	s_add_i32 s29, s28, 1
	s_cmp_ge_u32 s1, s2
	v_add_nc_u32_e32 v57, s31, v27
	v_and_b32_e32 v28, 31, v88
	s_cselect_b32 s1, s29, s28
	v_mov_b32_e32 v62, 0xff7fffff
	s_xor_b32 s1, s1, s0
	v_ashrrev_i32_e32 v58, 31, v57
	s_sub_i32 s1, s1, s0
	v_cmp_gt_i32_e64 s0, s11, v57
	v_lshlrev_b32_e32 v25, 5, v27
	v_lshlrev_b32_e32 v26, 2, v28
	s_waitcnt lgkmcnt(0)
	s_mul_i32 s28, s15, s24
	s_mul_i32 s14, s1, s14
	s_ashr_i32 s29, s28, 31
	s_barrier
	buffer_gl0_inv
	s_and_saveexec_b32 s34, s0
	s_cbranch_execz .LBB183_9
; %bb.6:
	v_mov_b32_e32 v24, 0
	buffer_store_dword v10, off, s[40:43], 0 offset:156 ; 4-byte Folded Spill
	buffer_store_dword v88, off, s[40:43], 0 offset:144 ; 4-byte Folded Spill
	s_load_dwordx2 s[4:5], s[4:5], 0x20
	s_ashr_i32 s15, s14, 31
	v_add3_u32 v66, s30, v25, v28
	ds_read_b128 v[0:3], v24
	ds_read_b128 v[4:7], v24 offset:16
	ds_read_b128 v[8:11], v24 offset:32
	;; [unrolled: 1-line block ×5, first 2 shown]
	s_lshl_b64 s[36:37], s[14:15], 1
	v_mov_b32_e32 v62, 0xff7fffff
	v_mov_b32_e32 v67, v57
	s_waitcnt lgkmcnt(0)
	v_and_b32_e32 v29, 0xffff0000, v0
	v_lshlrev_b32_e32 v0, 16, v0
	v_and_b32_e32 v86, 0xffff0000, v11
	v_lshlrev_b32_e32 v87, 16, v11
	;; [unrolled: 2-line block ×3, first 2 shown]
	buffer_store_dword v0, off, s[40:43], 0 offset:4 ; 4-byte Folded Spill
	v_and_b32_e32 v0, 0xffff0000, v1
	s_add_u32 s1, s4, s36
	s_addc_u32 s2, s5, s37
	s_lshl_b64 s[36:37], s[28:29], 2
	s_sub_i32 s4, 1, s25
	buffer_store_dword v0, off, s[40:43], 0 offset:8 ; 4-byte Folded Spill
	v_lshlrev_b32_e32 v0, 16, v1
	s_add_u32 s5, s22, s36
	s_addc_u32 s15, s23, s37
	v_and_b32_e32 v88, 0xffff0000, v18
	v_lshlrev_b32_e32 v89, 16, v18
	buffer_store_dword v0, off, s[40:43], 0 offset:12 ; 4-byte Folded Spill
	v_and_b32_e32 v0, 0xffff0000, v2
	v_and_b32_e32 v92, 0xffff0000, v22
	v_lshlrev_b32_e32 v93, 16, v22
	v_and_b32_e32 v94, 0xffff0000, v19
	v_lshlrev_b32_e32 v95, 16, v19
	buffer_store_dword v0, off, s[40:43], 0 offset:16 ; 4-byte Folded Spill
	v_lshlrev_b32_e32 v0, 16, v2
	v_and_b32_e32 v96, 0xffff0000, v23
	v_lshlrev_b32_e32 v97, 16, v23
	buffer_store_dword v29, off, s[40:43], 0 ; 4-byte Folded Spill
	buffer_store_dword v0, off, s[40:43], 0 offset:20 ; 4-byte Folded Spill
	v_and_b32_e32 v0, 0xffff0000, v3
	buffer_store_dword v0, off, s[40:43], 0 offset:24 ; 4-byte Folded Spill
	v_lshlrev_b32_e32 v0, 16, v3
	buffer_store_dword v0, off, s[40:43], 0 offset:28 ; 4-byte Folded Spill
	v_and_b32_e32 v0, 0xffff0000, v4
	buffer_store_dword v0, off, s[40:43], 0 offset:32 ; 4-byte Folded Spill
	v_lshlrev_b32_e32 v0, 16, v4
	v_lshlrev_b32_e32 v4, 16, v21
	buffer_store_dword v0, off, s[40:43], 0 offset:36 ; 4-byte Folded Spill
	v_and_b32_e32 v0, 0xffff0000, v5
	buffer_store_dword v4, off, s[40:43], 0 offset:124 ; 4-byte Folded Spill
	v_and_b32_e32 v4, 0xffff0000, v10
	buffer_store_dword v0, off, s[40:43], 0 offset:40 ; 4-byte Folded Spill
	v_lshlrev_b32_e32 v0, 16, v5
	buffer_store_dword v4, off, s[40:43], 0 offset:128 ; 4-byte Folded Spill
	v_lshlrev_b32_e32 v4, 16, v10
	buffer_store_dword v0, off, s[40:43], 0 offset:44 ; 4-byte Folded Spill
	v_and_b32_e32 v0, 0xffff0000, v6
	buffer_store_dword v4, off, s[40:43], 0 offset:132 ; 4-byte Folded Spill
	v_and_b32_e32 v4, 0xffff0000, v14
	buffer_store_dword v0, off, s[40:43], 0 offset:48 ; 4-byte Folded Spill
	v_lshlrev_b32_e32 v0, 16, v6
	buffer_store_dword v4, off, s[40:43], 0 offset:136 ; 4-byte Folded Spill
	v_lshlrev_b32_e32 v4, 16, v14
	buffer_store_dword v0, off, s[40:43], 0 offset:52 ; 4-byte Folded Spill
	v_and_b32_e32 v0, 0xffff0000, v7
	buffer_store_dword v4, off, s[40:43], 0 offset:140 ; 4-byte Folded Spill
	buffer_store_dword v0, off, s[40:43], 0 offset:56 ; 4-byte Folded Spill
	v_lshlrev_b32_e32 v0, 16, v7
	ds_read_b128 v[4:7], v24 offset:112
	buffer_store_dword v0, off, s[40:43], 0 offset:60 ; 4-byte Folded Spill
	v_and_b32_e32 v0, 0xffff0000, v8
	buffer_store_dword v0, off, s[40:43], 0 offset:64 ; 4-byte Folded Spill
	v_lshlrev_b32_e32 v0, 16, v8
	buffer_store_dword v0, off, s[40:43], 0 offset:68 ; 4-byte Folded Spill
	v_and_b32_e32 v0, 0xffff0000, v12
	s_waitcnt lgkmcnt(0)
	v_and_b32_e32 v106, 0xffff0000, v4
	v_lshlrev_b32_e32 v107, 16, v4
	buffer_store_dword v0, off, s[40:43], 0 offset:72 ; 4-byte Folded Spill
	v_lshlrev_b32_e32 v0, 16, v12
	v_and_b32_e32 v108, 0xffff0000, v5
	v_lshlrev_b32_e32 v109, 16, v5
	v_and_b32_e32 v110, 0xffff0000, v6
	v_lshlrev_b32_e32 v111, 16, v6
	buffer_store_dword v0, off, s[40:43], 0 offset:76 ; 4-byte Folded Spill
	v_and_b32_e32 v0, 0xffff0000, v16
	v_and_b32_e32 v112, 0xffff0000, v7
	v_lshlrev_b32_e32 v113, 16, v7
	ds_read_b128 v[4:7], v24 offset:176
	buffer_store_dword v0, off, s[40:43], 0 offset:80 ; 4-byte Folded Spill
	v_lshlrev_b32_e32 v0, 16, v16
	buffer_store_dword v0, off, s[40:43], 0 offset:84 ; 4-byte Folded Spill
	v_and_b32_e32 v0, 0xffff0000, v20
	buffer_store_dword v0, off, s[40:43], 0 offset:88 ; 4-byte Folded Spill
	v_lshlrev_b32_e32 v0, 16, v20
	buffer_store_dword v0, off, s[40:43], 0 offset:92 ; 4-byte Folded Spill
	v_and_b32_e32 v0, 0xffff0000, v9
	s_waitcnt lgkmcnt(0)
	v_and_b32_e32 v50, 0xffff0000, v4
	v_lshlrev_b32_e32 v51, 16, v4
	v_lshlrev_b32_e32 v4, 4, v28
	v_and_b32_e32 v52, 0xffff0000, v5
	buffer_store_dword v0, off, s[40:43], 0 offset:96 ; 4-byte Folded Spill
	v_lshlrev_b32_e32 v0, 16, v9
	ds_read_b128 v[8:11], v24 offset:128
	v_lshlrev_b32_e32 v53, 16, v5
	v_and_b32_e32 v54, 0xffff0000, v6
	v_lshlrev_b32_e32 v55, 16, v6
	buffer_store_dword v0, off, s[40:43], 0 offset:100 ; 4-byte Folded Spill
	v_and_b32_e32 v0, 0xffff0000, v13
	v_and_b32_e32 v56, 0xffff0000, v7
	v_lshlrev_b32_e32 v59, 16, v7
	v_add_co_u32 v64, s1, s1, v4
	buffer_store_dword v0, off, s[40:43], 0 offset:104 ; 4-byte Folded Spill
	v_lshlrev_b32_e32 v0, 16, v13
	ds_read_b128 v[12:15], v24 offset:144
	v_add_co_ci_u32_e64 v65, null, s2, 0, s1
	buffer_store_dword v0, off, s[40:43], 0 offset:108 ; 4-byte Folded Spill
	v_and_b32_e32 v0, 0xffff0000, v17
	s_waitcnt lgkmcnt(1)
	v_and_b32_e32 v114, 0xffff0000, v8
	v_lshlrev_b32_e32 v115, 16, v8
	buffer_store_dword v0, off, s[40:43], 0 offset:112 ; 4-byte Folded Spill
	v_lshlrev_b32_e32 v0, 16, v17
	v_and_b32_e32 v116, 0xffff0000, v9
	v_lshlrev_b32_e32 v117, 16, v9
	v_and_b32_e32 v118, 0xffff0000, v10
	v_lshlrev_b32_e32 v119, 16, v10
	buffer_store_dword v0, off, s[40:43], 0 offset:116 ; 4-byte Folded Spill
	v_and_b32_e32 v0, 0xffff0000, v21
	v_and_b32_e32 v120, 0xffff0000, v11
	v_lshlrev_b32_e32 v121, 16, v11
	s_waitcnt lgkmcnt(0)
	v_and_b32_e32 v122, 0xffff0000, v12
	v_lshlrev_b32_e32 v123, 16, v12
	buffer_store_dword v0, off, s[40:43], 0 offset:120 ; 4-byte Folded Spill
	ds_read_b128 v[0:3], v24 offset:96
	v_and_b32_e32 v124, 0xffff0000, v13
	v_lshlrev_b32_e32 v125, 16, v13
	v_and_b32_e32 v126, 0xffff0000, v14
	v_lshlrev_b32_e32 v127, 16, v14
	;; [unrolled: 2-line block ×3, first 2 shown]
	s_waitcnt lgkmcnt(0)
	v_and_b32_e32 v98, 0xffff0000, v0
	v_lshlrev_b32_e32 v99, 16, v0
	v_and_b32_e32 v100, 0xffff0000, v1
	v_lshlrev_b32_e32 v101, 16, v1
	;; [unrolled: 2-line block ×4, first 2 shown]
	ds_read_b128 v[0:3], v24 offset:160
	buffer_store_dword v27, off, s[40:43], 0 offset:148 ; 4-byte Folded Spill
	buffer_store_dword v26, off, s[40:43], 0 offset:164 ; 4-byte Folded Spill
	;; [unrolled: 1-line block ×4, first 2 shown]
	s_waitcnt lgkmcnt(0)
	v_and_b32_e32 v45, 0xffff0000, v0
	v_lshlrev_b32_e32 v60, 16, v0
	v_and_b32_e32 v61, 0xffff0000, v1
	v_lshlrev_b32_e32 v46, 16, v1
	;; [unrolled: 2-line block ×3, first 2 shown]
	v_lshlrev_b64 v[1:2], 2, v[57:58]
	v_and_b32_e32 v48, 0xffff0000, v3
	v_lshlrev_b32_e32 v49, 16, v3
	v_lshl_or_b32 v3, v27, 7, v26
	v_add_co_u32 v41, vcc_lo, s5, v1
	v_add_co_ci_u32_e64 v42, null, s15, v2, vcc_lo
	v_cmp_neq_f32_e64 vcc_lo, s33, 0
	v_add_nc_u32_e32 v63, 0xe0, v3
	s_mov_b32 s15, s13
	s_mov_b32 s5, 0
.LBB183_7:                              ; =>This Inner Loop Header: Depth=1
	global_load_dword v1, v[41:42], off
	v_add_nc_u32_e32 v67, 4, v67
	s_waitcnt vmcnt(0)
	v_mad_i64_i32 v[1:2], null, v1, s15, 0
	v_lshlrev_b64 v[1:2], 1, v[1:2]
	v_add_co_u32 v5, s1, v64, v1
	v_add_nc_u32_e32 v1, s4, v66
	v_add_co_ci_u32_e64 v6, null, v65, v2, s1
	v_cmp_gt_i32_e64 s1, s25, v66
	v_add_nc_u32_e32 v66, 0x80, v66
	v_cvt_f32_i32_e32 v1, v1
	v_mul_f32_e32 v1, s33, v1
	v_cndmask_b32_e32 v68, 0, v1, vcc_lo
	global_load_dwordx4 v[1:4], v[5:6], off
	s_waitcnt vmcnt(0)
	v_lshlrev_b32_e32 v79, 16, v1
	v_and_b32_e32 v80, 0xffff0000, v1
	v_lshlrev_b32_e32 v81, 16, v2
	v_and_b32_e32 v82, 0xffff0000, v2
	;; [unrolled: 2-line block ×4, first 2 shown]
	s_clause 0x2
	global_load_dwordx4 v[1:4], v[5:6], off offset:512
	global_load_dwordx4 v[37:40], v[5:6], off offset:1024
	global_load_dwordx4 v[33:36], v[5:6], off offset:1536
	s_waitcnt vmcnt(2)
	v_and_b32_e32 v70, 0xffff0000, v1
	v_lshlrev_b32_e32 v69, 16, v1
	v_add_co_u32 v1, s2, 0x800, v5
	v_and_b32_e32 v83, 0xffff0000, v2
	v_lshlrev_b32_e32 v84, 16, v2
	v_and_b32_e32 v77, 0xffff0000, v3
	v_lshlrev_b32_e32 v78, 16, v3
	v_add_co_ci_u32_e64 v2, null, 0, v6, s2
	v_add_co_u32 v3, s2, v5, 0x1000
	v_and_b32_e32 v73, 0xffff0000, v4
	v_lshlrev_b32_e32 v74, 16, v4
	v_add_co_ci_u32_e64 v4, null, 0, v6, s2
	s_clause 0x3
	global_load_dwordx4 v[29:32], v[3:4], off offset:-2048
	global_load_dwordx4 v[25:28], v[1:2], off offset:512
	global_load_dwordx4 v[21:24], v[1:2], off offset:1024
	;; [unrolled: 1-line block ×3, first 2 shown]
	v_add_co_u32 v1, s2, 0x1000, v5
	v_add_co_ci_u32_e64 v2, null, 0, v6, s2
	s_clause 0x3
	global_load_dwordx4 v[13:16], v[3:4], off
	global_load_dwordx4 v[9:12], v[1:2], off offset:512
	global_load_dwordx4 v[5:8], v[1:2], off offset:1024
	;; [unrolled: 1-line block ×3, first 2 shown]
	buffer_load_dword v85, off, s[40:43], 0 offset:36 ; 4-byte Folded Reload
	s_waitcnt vmcnt(0)
	v_mul_f32_e32 v69, v85, v69
	buffer_load_dword v85, off, s[40:43], 0 offset:32 ; 4-byte Folded Reload
	s_waitcnt vmcnt(0)
	v_mul_f32_e32 v70, v85, v70
	buffer_load_dword v85, off, s[40:43], 0 ; 4-byte Folded Reload
	s_waitcnt vmcnt(0)
	v_fmac_f32_e32 v70, v85, v80
	buffer_load_dword v80, off, s[40:43], 0 offset:4 ; 4-byte Folded Reload
	s_waitcnt vmcnt(0)
	v_fmac_f32_e32 v69, v80, v79
	buffer_load_dword v80, off, s[40:43], 0 offset:68 ; 4-byte Folded Reload
	v_and_b32_e32 v79, 0xffff0000, v37
	v_lshlrev_b32_e32 v37, 16, v37
	s_waitcnt vmcnt(0)
	v_fmac_f32_e32 v69, v80, v37
	buffer_load_dword v37, off, s[40:43], 0 offset:64 ; 4-byte Folded Reload
	s_waitcnt vmcnt(0)
	v_fmac_f32_e32 v70, v37, v79
	buffer_load_dword v79, off, s[40:43], 0 offset:72 ; 4-byte Folded Reload
	v_lshlrev_b32_e32 v37, 16, v33
	v_and_b32_e32 v33, 0xffff0000, v33
	s_waitcnt vmcnt(0)
	v_fmac_f32_e32 v70, v79, v33
	buffer_load_dword v33, off, s[40:43], 0 offset:76 ; 4-byte Folded Reload
	s_waitcnt vmcnt(0)
	v_fmac_f32_e32 v69, v33, v37
	buffer_load_dword v37, off, s[40:43], 0 offset:84 ; 4-byte Folded Reload
	v_and_b32_e32 v33, 0xffff0000, v29
	v_lshlrev_b32_e32 v29, 16, v29
	s_waitcnt vmcnt(0)
	v_fmac_f32_e32 v69, v37, v29
	buffer_load_dword v29, off, s[40:43], 0 offset:80 ; 4-byte Folded Reload
	s_waitcnt vmcnt(0)
	v_fmac_f32_e32 v70, v29, v33
	buffer_load_dword v33, off, s[40:43], 0 offset:88 ; 4-byte Folded Reload
	v_lshlrev_b32_e32 v29, 16, v25
	v_and_b32_e32 v25, 0xffff0000, v25
	s_waitcnt vmcnt(0)
	v_fmac_f32_e32 v70, v33, v25
	buffer_load_dword v25, off, s[40:43], 0 offset:92 ; 4-byte Folded Reload
	s_waitcnt vmcnt(0)
	v_fmac_f32_e32 v69, v25, v29
	v_and_b32_e32 v25, 0xffff0000, v21
	v_lshlrev_b32_e32 v21, 16, v21
	v_fmac_f32_e32 v70, v98, v25
	v_fmac_f32_e32 v69, v99, v21
	v_lshlrev_b32_e32 v21, 16, v17
	v_and_b32_e32 v17, 0xffff0000, v17
	v_fmac_f32_e32 v69, v107, v21
	v_fmac_f32_e32 v70, v106, v17
	v_and_b32_e32 v17, 0xffff0000, v13
	v_lshlrev_b32_e32 v13, 16, v13
	v_fmac_f32_e32 v70, v114, v17
	v_fmac_f32_e32 v69, v115, v13
	v_lshlrev_b32_e32 v13, 16, v9
	v_and_b32_e32 v9, 0xffff0000, v9
	buffer_load_dword v17, off, s[40:43], 0 offset:100 ; 4-byte Folded Reload
	v_fmac_f32_e32 v69, v123, v13
	v_fmac_f32_e32 v70, v122, v9
	v_and_b32_e32 v9, 0xffff0000, v5
	v_lshlrev_b32_e32 v5, 16, v5
	v_lshlrev_b32_e32 v13, 16, v38
	v_fmac_f32_e32 v70, v45, v9
	v_fmac_f32_e32 v69, v60, v5
	v_lshlrev_b32_e32 v5, 16, v1
	buffer_load_dword v9, off, s[40:43], 0 offset:8 ; 4-byte Folded Reload
	v_and_b32_e32 v1, 0xffff0000, v1
	v_fmac_f32_e32 v69, v51, v5
	buffer_load_dword v5, off, s[40:43], 0 offset:40 ; 4-byte Folded Reload
	v_fmac_f32_e32 v70, v50, v1
	buffer_load_dword v1, off, s[40:43], 0 offset:44 ; 4-byte Folded Reload
	s_waitcnt vmcnt(1)
	v_mul_f32_e32 v5, v5, v83
	v_fmac_f32_e32 v5, v9, v82
	buffer_load_dword v9, off, s[40:43], 0 offset:12 ; 4-byte Folded Reload
	s_waitcnt vmcnt(1)
	v_mul_f32_e32 v1, v1, v84
	s_waitcnt vmcnt(0)
	v_fmac_f32_e32 v1, v9, v81
	v_and_b32_e32 v9, 0xffff0000, v38
	v_fmac_f32_e32 v1, v17, v13
	s_clause 0x1
	buffer_load_dword v13, off, s[40:43], 0 offset:96
	buffer_load_dword v17, off, s[40:43], 0 offset:104
	s_waitcnt vmcnt(1)
	v_fmac_f32_e32 v5, v13, v9
	v_and_b32_e32 v13, 0xffff0000, v34
	v_lshlrev_b32_e32 v9, 16, v34
	s_waitcnt vmcnt(0)
	v_fmac_f32_e32 v5, v17, v13
	s_clause 0x1
	buffer_load_dword v13, off, s[40:43], 0 offset:108
	buffer_load_dword v17, off, s[40:43], 0 offset:116
	s_waitcnt vmcnt(1)
	v_fmac_f32_e32 v1, v13, v9
	v_lshlrev_b32_e32 v13, 16, v30
	v_and_b32_e32 v9, 0xffff0000, v30
	s_waitcnt vmcnt(0)
	v_fmac_f32_e32 v1, v17, v13
	s_clause 0x1
	buffer_load_dword v13, off, s[40:43], 0 offset:112
	buffer_load_dword v17, off, s[40:43], 0 offset:120
	s_waitcnt vmcnt(1)
	v_fmac_f32_e32 v5, v13, v9
	v_and_b32_e32 v13, 0xffff0000, v26
	v_lshlrev_b32_e32 v9, 16, v26
	s_waitcnt vmcnt(0)
	v_fmac_f32_e32 v5, v17, v13
	buffer_load_dword v13, off, s[40:43], 0 offset:124 ; 4-byte Folded Reload
	s_waitcnt vmcnt(0)
	v_fmac_f32_e32 v1, v13, v9
	v_and_b32_e32 v9, 0xffff0000, v22
	v_lshlrev_b32_e32 v13, 16, v22
	v_fmac_f32_e32 v5, v100, v9
	v_fmac_f32_e32 v1, v101, v13
	v_lshlrev_b32_e32 v9, 16, v18
	v_and_b32_e32 v13, 0xffff0000, v18
	v_fmac_f32_e32 v1, v109, v9
	v_fmac_f32_e32 v5, v108, v13
	v_and_b32_e32 v9, 0xffff0000, v14
	v_lshlrev_b32_e32 v13, 16, v14
	v_fmac_f32_e32 v5, v116, v9
	v_fmac_f32_e32 v1, v117, v13
	v_lshlrev_b32_e32 v9, 16, v10
	v_and_b32_e32 v10, 0xffff0000, v10
	buffer_load_dword v13, off, s[40:43], 0 offset:132 ; 4-byte Folded Reload
	v_fmac_f32_e32 v1, v125, v9
	v_and_b32_e32 v9, 0xffff0000, v6
	v_lshlrev_b32_e32 v6, 16, v6
	v_fmac_f32_e32 v5, v124, v10
	v_lshlrev_b32_e32 v10, 16, v39
	v_fmac_f32_e32 v1, v46, v6
	;; [unrolled: 2-line block ×3, first 2 shown]
	buffer_load_dword v9, off, s[40:43], 0 offset:16 ; 4-byte Folded Reload
	v_and_b32_e32 v2, 0xffff0000, v2
	v_fmac_f32_e32 v1, v53, v6
	buffer_load_dword v6, off, s[40:43], 0 offset:48 ; 4-byte Folded Reload
	v_fmac_f32_e32 v5, v52, v2
	buffer_load_dword v2, off, s[40:43], 0 offset:52 ; 4-byte Folded Reload
	s_waitcnt vmcnt(1)
	v_mul_f32_e32 v6, v6, v77
	v_fmac_f32_e32 v6, v9, v76
	buffer_load_dword v9, off, s[40:43], 0 offset:20 ; 4-byte Folded Reload
	s_waitcnt vmcnt(1)
	v_mul_f32_e32 v2, v2, v78
	s_waitcnt vmcnt(0)
	v_fmac_f32_e32 v2, v9, v75
	v_and_b32_e32 v9, 0xffff0000, v39
	v_fmac_f32_e32 v2, v13, v10
	s_clause 0x1
	buffer_load_dword v10, off, s[40:43], 0 offset:128
	buffer_load_dword v13, off, s[40:43], 0 offset:136
	s_waitcnt vmcnt(1)
	v_fmac_f32_e32 v6, v10, v9
	v_and_b32_e32 v10, 0xffff0000, v35
	v_lshlrev_b32_e32 v9, 16, v35
	s_waitcnt vmcnt(0)
	v_fmac_f32_e32 v6, v13, v10
	buffer_load_dword v10, off, s[40:43], 0 offset:140 ; 4-byte Folded Reload
	s_waitcnt vmcnt(0)
	v_fmac_f32_e32 v2, v10, v9
	v_and_b32_e32 v9, 0xffff0000, v31
	v_lshlrev_b32_e32 v10, 16, v31
	v_fmac_f32_e32 v6, v88, v9
	v_fmac_f32_e32 v2, v89, v10
	v_lshlrev_b32_e32 v9, 16, v27
	v_and_b32_e32 v10, 0xffff0000, v27
	v_fmac_f32_e32 v2, v93, v9
	v_fmac_f32_e32 v6, v92, v10
	v_and_b32_e32 v9, 0xffff0000, v23
	v_lshlrev_b32_e32 v10, 16, v23
	v_fmac_f32_e32 v6, v102, v9
	v_fmac_f32_e32 v2, v103, v10
	v_lshlrev_b32_e32 v9, 16, v19
	v_and_b32_e32 v10, 0xffff0000, v19
	v_fmac_f32_e32 v2, v111, v9
	;; [unrolled: 8-line block ×3, first 2 shown]
	v_and_b32_e32 v9, 0xffff0000, v7
	v_lshlrev_b32_e32 v7, 16, v7
	v_fmac_f32_e32 v6, v126, v10
	v_lshlrev_b32_e32 v10, 16, v40
	v_fmac_f32_e32 v2, v47, v7
	;; [unrolled: 2-line block ×3, first 2 shown]
	buffer_load_dword v9, off, s[40:43], 0 offset:24 ; 4-byte Folded Reload
	v_and_b32_e32 v3, 0xffff0000, v3
	v_fmac_f32_e32 v2, v55, v7
	buffer_load_dword v7, off, s[40:43], 0 offset:56 ; 4-byte Folded Reload
	v_fmac_f32_e32 v6, v54, v3
	buffer_load_dword v3, off, s[40:43], 0 offset:60 ; 4-byte Folded Reload
	s_waitcnt vmcnt(1)
	v_mul_f32_e32 v7, v7, v73
	v_fmac_f32_e32 v7, v9, v72
	buffer_load_dword v9, off, s[40:43], 0 offset:28 ; 4-byte Folded Reload
	s_waitcnt vmcnt(1)
	v_mul_f32_e32 v3, v3, v74
	s_waitcnt vmcnt(0)
	v_fmac_f32_e32 v3, v9, v71
	v_and_b32_e32 v9, 0xffff0000, v40
	v_fmac_f32_e32 v3, v87, v10
	v_fmac_f32_e32 v7, v86, v9
	v_lshlrev_b32_e32 v9, 16, v36
	v_and_b32_e32 v10, 0xffff0000, v36
	v_fmac_f32_e32 v3, v91, v9
	v_fmac_f32_e32 v7, v90, v10
	v_and_b32_e32 v9, 0xffff0000, v32
	v_lshlrev_b32_e32 v10, 16, v32
	v_fmac_f32_e32 v7, v94, v9
	v_fmac_f32_e32 v3, v95, v10
	v_lshlrev_b32_e32 v9, 16, v28
	v_and_b32_e32 v10, 0xffff0000, v28
	v_fmac_f32_e32 v3, v97, v9
	v_fmac_f32_e32 v7, v96, v10
	v_and_b32_e32 v9, 0xffff0000, v24
	v_lshlrev_b32_e32 v10, 16, v24
	;; [unrolled: 8-line block ×4, first 2 shown]
	v_fmac_f32_e32 v7, v48, v9
	v_fmac_f32_e32 v3, v49, v8
	v_lshlrev_b32_e32 v8, 16, v4
	v_and_b32_e32 v4, 0xffff0000, v4
	v_fmac_f32_e32 v3, v59, v8
	v_fmac_f32_e32 v7, v56, v4
	v_add_f32_e32 v4, v69, v70
	v_add_f32_e32 v1, v4, v1
	;; [unrolled: 1-line block ×4, first 2 shown]
	v_max_f32_e32 v2, v62, v62
	v_add_f32_e32 v1, v6, v1
	v_add_f32_e32 v1, v3, v1
	;; [unrolled: 1-line block ×3, first 2 shown]
	v_fmac_f32_e32 v68, s3, v1
	v_max_f32_e32 v2, v2, v68
	v_cndmask_b32_e64 v1, 0, v68, s1
	v_cndmask_b32_e64 v62, v62, v2, s1
	v_add_co_u32 v41, s1, v41, 16
	v_add_co_ci_u32_e64 v42, null, 0, v42, s1
	v_cmp_le_i32_e64 s1, s11, v67
	ds_write_b32 v63, v1
	v_add_nc_u32_e32 v63, 0x200, v63
	s_or_b32 s5, s1, s5
	s_andn2_b32 exec_lo, exec_lo, s5
	s_cbranch_execnz .LBB183_7
; %bb.8:
	s_or_b32 exec_lo, exec_lo, s5
	s_clause 0x5
	buffer_load_dword v88, off, s[40:43], 0 offset:144
	buffer_load_dword v27, off, s[40:43], 0 offset:148
	;; [unrolled: 1-line block ×6, first 2 shown]
.LBB183_9:
	s_or_b32 exec_lo, exec_lo, s34
	v_mbcnt_lo_u32_b32 v0, -1, 0
	v_max_f32_e32 v4, v62, v62
	v_xor_b32_e32 v1, 16, v0
	v_xor_b32_e32 v3, 8, v0
	v_cmp_gt_i32_e32 vcc_lo, 32, v1
	v_cndmask_b32_e32 v1, v0, v1, vcc_lo
	v_cmp_gt_i32_e32 vcc_lo, 32, v3
	v_lshlrev_b32_e32 v1, 2, v1
	v_cndmask_b32_e32 v3, v0, v3, vcc_lo
	ds_bpermute_b32 v2, v1, v62
	s_waitcnt lgkmcnt(0)
	v_max_f32_e32 v5, v2, v2
	v_lshlrev_b32_e32 v2, 2, v3
	v_max_f32_e32 v3, v4, v5
	v_xor_b32_e32 v5, 4, v0
	ds_bpermute_b32 v4, v2, v3
	v_cmp_gt_i32_e32 vcc_lo, 32, v5
	v_cndmask_b32_e32 v5, v0, v5, vcc_lo
	s_waitcnt lgkmcnt(0)
	v_max_f32_e32 v6, v4, v4
	v_lshlrev_b32_e32 v4, 2, v5
	v_max_f32_e32 v3, v3, v6
	v_xor_b32_e32 v6, 2, v0
	ds_bpermute_b32 v5, v4, v3
	v_cmp_gt_i32_e32 vcc_lo, 32, v6
	v_cndmask_b32_e32 v6, v0, v6, vcc_lo
	v_lshlrev_b32_e32 v63, 2, v6
	v_xor_b32_e32 v6, 1, v0
	v_cmp_gt_i32_e32 vcc_lo, 32, v6
	s_waitcnt lgkmcnt(0)
	v_max_f32_e32 v5, v5, v5
	v_cndmask_b32_e32 v6, v0, v6, vcc_lo
	s_waitcnt vmcnt(3)
	v_cmp_eq_u32_e32 vcc_lo, 0, v28
	v_max_f32_e32 v3, v3, v5
	v_lshlrev_b32_e32 v62, 2, v6
	ds_bpermute_b32 v5, v63, v3
	s_waitcnt lgkmcnt(0)
	v_max_f32_e32 v5, v5, v5
	v_max_f32_e32 v0, v3, v5
	v_lshlrev_b32_e32 v5, 2, v27
	ds_bpermute_b32 v3, v62, v0
	s_and_saveexec_b32 s1, vcc_lo
	s_cbranch_execz .LBB183_11
; %bb.10:
	s_waitcnt lgkmcnt(0)
	v_max_f32_e32 v3, v3, v3
	v_max_f32_e32 v0, v0, v0
	;; [unrolled: 1-line block ×3, first 2 shown]
	ds_write_b32 v5, v0 offset:192
.LBB183_11:
	s_or_b32 exec_lo, exec_lo, s1
	v_cmp_gt_u32_e64 s1, 4, v28
	v_mov_b32_e32 v0, 0xff7fffff
	s_waitcnt vmcnt(0) lgkmcnt(0)
	s_waitcnt_vscnt null, 0x0
	s_barrier
	buffer_gl0_inv
	s_and_saveexec_b32 s2, s1
; %bb.12:
	ds_read_b32 v0, v26 offset:192
; %bb.13:
	s_or_b32 exec_lo, exec_lo, s2
	s_waitcnt lgkmcnt(0)
	ds_bpermute_b32 v3, v63, v0
	v_max_f32_e32 v0, v0, v0
	v_mov_b32_e32 v6, 0
	s_sub_i32 s2, s11, s31
	s_lshl_b32 s2, s2, 5
	s_add_i32 s2, s2, s30
	s_min_i32 s2, s2, s25
	s_sub_i32 s4, s2, s30
	v_cmp_gt_i32_e64 s2, s4, v88
	s_waitcnt lgkmcnt(0)
	v_max_f32_e32 v3, v3, v3
	v_max_f32_e32 v0, v0, v3
	ds_bpermute_b32 v3, v62, v0
	s_waitcnt lgkmcnt(0)
	v_max_f32_e32 v3, v3, v3
	v_max_f32_e32 v0, v0, v3
	v_lshl_add_u32 v3, v88, 2, 0xe0
	ds_bpermute_b32 v0, v6, v0
	s_and_saveexec_b32 s5, s2
	s_cbranch_execz .LBB183_17
; %bb.14:
	v_lshl_add_u32 v7, v88, 2, 0xe0
	v_mov_b32_e32 v6, 0
	v_mov_b32_e32 v8, v88
	s_mov_b32 s15, 0
	.p2align	6
.LBB183_15:                             ; =>This Inner Loop Header: Depth=1
	ds_read_b32 v9, v7
	v_add_nc_u32_e32 v8, 0x80, v8
	v_cmp_le_i32_e64 s3, s4, v8
	s_or_b32 s15, s3, s15
	s_waitcnt lgkmcnt(0)
	v_sub_f32_e32 v9, v9, v0
	v_mul_f32_e32 v9, 0x3fb8aa3b, v9
	v_exp_f32_e32 v9, v9
	ds_write_b32 v7, v9
	v_add_f32_e32 v6, v6, v9
	v_add_nc_u32_e32 v7, 0x200, v7
	s_andn2_b32 exec_lo, exec_lo, s15
	s_cbranch_execnz .LBB183_15
; %bb.16:
	s_or_b32 exec_lo, exec_lo, s15
.LBB183_17:
	s_or_b32 exec_lo, exec_lo, s5
	ds_bpermute_b32 v1, v1, v6
	s_waitcnt lgkmcnt(0)
	v_add_f32_e32 v1, v6, v1
	ds_bpermute_b32 v2, v2, v1
	s_waitcnt lgkmcnt(0)
	v_add_f32_e32 v1, v1, v2
	;; [unrolled: 3-line block ×5, first 2 shown]
	s_and_saveexec_b32 s3, vcc_lo
; %bb.18:
	ds_write_b32 v5, v1 offset:208
; %bb.19:
	s_or_b32 exec_lo, exec_lo, s3
	s_waitcnt lgkmcnt(0)
	s_barrier
	buffer_gl0_inv
	s_and_saveexec_b32 s3, s1
; %bb.20:
	ds_read_b32 v1, v26 offset:208
; %bb.21:
	s_or_b32 exec_lo, exec_lo, s3
	s_waitcnt lgkmcnt(0)
	ds_bpermute_b32 v2, v63, v1
	s_waitcnt lgkmcnt(0)
	v_add_f32_e32 v1, v1, v2
	ds_bpermute_b32 v2, v62, v1
	s_waitcnt lgkmcnt(0)
	v_add_f32_e32 v1, v1, v2
	v_mov_b32_e32 v2, 0
	ds_bpermute_b32 v1, v2, v1
	s_and_saveexec_b32 s1, s2
	s_cbranch_execz .LBB183_24
; %bb.22:
	s_waitcnt lgkmcnt(0)
	v_add_f32_e32 v2, 0x358637bd, v1
	s_mov_b32 s2, 0
	v_div_scale_f32 v4, null, v2, v2, 1.0
	v_div_scale_f32 v7, vcc_lo, 1.0, v2, 1.0
	v_rcp_f32_e32 v5, v4
	v_fma_f32 v6, -v4, v5, 1.0
	v_fmac_f32_e32 v5, v6, v5
	v_mul_f32_e32 v6, v7, v5
	v_fma_f32 v8, -v4, v6, v7
	v_fmac_f32_e32 v6, v8, v5
	v_fma_f32 v4, -v4, v6, v7
	v_div_fmas_f32 v4, v4, v5, v6
	v_div_fixup_f32 v2, v4, v2, 1.0
	v_mov_b32_e32 v4, v88
.LBB183_23:                             ; =>This Inner Loop Header: Depth=1
	ds_read_b32 v5, v3
	v_add_nc_u32_e32 v4, 0x80, v4
	v_cmp_le_i32_e32 vcc_lo, s4, v4
	s_or_b32 s2, vcc_lo, s2
	s_waitcnt lgkmcnt(0)
	v_mul_f32_e32 v5, v2, v5
	ds_write_b32 v3, v5
	v_add_nc_u32_e32 v3, 0x200, v3
	s_andn2_b32 exec_lo, exec_lo, s2
	s_cbranch_execnz .LBB183_23
.LBB183_24:
	s_or_b32 exec_lo, exec_lo, s1
	s_mul_i32 s1, s7, s24
	s_waitcnt lgkmcnt(0)
	s_mul_i32 s4, s1, s9
	s_mov_b32 s1, exec_lo
	s_barrier
	buffer_gl0_inv
	v_cmpx_eq_u32_e32 0, v88
	s_cbranch_execz .LBB183_26
; %bb.25:
	s_ashr_i32 s5, s4, 31
	s_mul_i32 s34, s7, s6
	s_lshl_b64 s[2:3], s[4:5], 2
	v_mov_b32_e32 v2, 0
	s_add_u32 s5, s18, s2
	s_addc_u32 s6, s19, s3
	s_ashr_i32 s35, s34, 31
	s_lshl_b64 s[18:19], s[34:35], 2
	s_add_u32 s5, s5, s18
	s_addc_u32 s6, s6, s19
	s_ashr_i32 s9, s8, 31
	s_lshl_b64 s[34:35], s[8:9], 2
	s_add_u32 s36, s5, s34
	s_addc_u32 s37, s6, s35
	s_add_u32 s2, s16, s2
	s_addc_u32 s3, s17, s3
	;; [unrolled: 2-line block ×4, first 2 shown]
	global_store_dword v2, v0, s[36:37]
	global_store_dword v2, v1, s[2:3]
.LBB183_26:
	s_or_b32 exec_lo, exec_lo, s1
	v_mov_b32_e32 v74, 0
	v_and_b32_e32 v64, 3, v88
	v_mov_b32_e32 v76, 0
	v_mov_b32_e32 v75, 0
	;; [unrolled: 1-line block ×11, first 2 shown]
	s_and_saveexec_b32 s3, s0
	s_cbranch_execz .LBB183_54
; %bb.27:
	v_lshlrev_b32_e32 v0, 3, v88
	s_ashr_i32 s15, s14, 31
	v_lshlrev_b32_e32 v1, 5, v64
	v_and_b32_e32 v2, 0x1f0, v10
	s_lshl_b64 s[0:1], s[14:15], 1
	v_and_b32_e32 v0, 24, v0
	s_add_u32 s0, s26, s0
	s_addc_u32 s1, s27, s1
	v_lshl_or_b32 v3, v27, 7, v1
	v_add_co_u32 v78, s0, s0, v2
	v_add3_u32 v80, s30, v25, v0
	v_lshlrev_b64 v[0:1], 2, v[57:58]
	v_add_co_ci_u32_e64 v79, null, s1, 0, s0
	s_lshl_b64 s[0:1], s[28:29], 2
	s_add_i32 s5, s12, -1
	s_add_u32 s0, s22, s0
	s_addc_u32 s1, s23, s1
	v_add_co_u32 v58, vcc_lo, s0, v0
	v_mov_b32_e32 v90, v28
	v_mov_b32_e32 v77, 0
	v_mov_b32_e32 v89, v27
	v_add_nc_u32_e32 v81, 0xe0, v3
	v_add_co_ci_u32_e64 v59, null, s1, v1, vcc_lo
	v_mov_b32_e32 v65, 0
	v_mov_b32_e32 v66, 0
	;; [unrolled: 1-line block ×12, first 2 shown]
	s_mov_b32 s6, s13
	s_mov_b32 s12, s25
	;; [unrolled: 1-line block ×3, first 2 shown]
	s_branch .LBB183_29
.LBB183_28:                             ;   in Loop: Header=BB183_29 Depth=1
	s_or_b32 exec_lo, exec_lo, s2
	s_waitcnt lgkmcnt(1)
	v_bfe_u32 v0, v41, 16, 1
	v_bfe_u32 v60, v42, 16, 1
	v_or_b32_e32 v61, 0x400000, v41
	v_cmp_u_f32_e32 vcc_lo, v41, v41
	v_or_b32_e32 v82, 0x400000, v42
	v_add3_u32 v0, v0, v41, 0x7fff
	v_bfe_u32 v83, v43, 16, 1
	v_add3_u32 v60, v60, v42, 0x7fff
	v_bfe_u32 v84, v44, 16, 1
	v_add_nc_u32_e32 v57, 4, v57
	v_cndmask_b32_e32 v41, v0, v61, vcc_lo
	v_cmp_u_f32_e32 vcc_lo, v42, v42
	v_add3_u32 v42, v83, v43, 0x7fff
	s_waitcnt lgkmcnt(0)
	v_bfe_u32 v61, v33, 16, 1
	v_or_b32_e32 v83, 0x400000, v44
	v_and_b32_e32 v41, 0xffff0000, v41
	v_cndmask_b32_e32 v0, v60, v82, vcc_lo
	v_or_b32_e32 v60, 0x400000, v43
	v_cmp_u_f32_e32 vcc_lo, v43, v43
	v_add3_u32 v82, v84, v44, 0x7fff
	v_add3_u32 v43, v61, v33, 0x7fff
	v_bfe_u32 v61, v34, 16, 1
	v_and_b32_e32 v0, 0xffff0000, v0
	v_cndmask_b32_e32 v42, v42, v60, vcc_lo
	v_cmp_u_f32_e32 vcc_lo, v44, v44
	v_or_b32_e32 v60, 0x400000, v33
	v_add3_u32 v61, v61, v34, 0x7fff
	v_add_co_u32 v58, s0, v58, 16
	v_cndmask_b32_e32 v44, v82, v83, vcc_lo
	v_cmp_u_f32_e32 vcc_lo, v33, v33
	v_bfe_u32 v33, v35, 16, 1
	v_or_b32_e32 v82, 0x400000, v34
	v_or_b32_e32 v83, 0x400000, v35
	v_add_nc_u32_e32 v80, 0x80, v80
	v_cndmask_b32_e32 v43, v43, v60, vcc_lo
	s_waitcnt vmcnt(1)
	v_and_b32_e32 v60, 0xffff0000, v53
	v_cmp_u_f32_e32 vcc_lo, v34, v34
	v_add3_u32 v33, v33, v35, 0x7fff
	v_bfe_u32 v34, v36, 16, 1
	v_and_b32_e32 v43, 0xffff0000, v43
	v_mul_f32_e32 v60, v0, v60
	v_cndmask_b32_e32 v61, v61, v82, vcc_lo
	v_cmp_u_f32_e32 vcc_lo, v35, v35
	v_lshlrev_b32_e32 v35, 16, v53
	v_add3_u32 v53, v34, v36, 0x7fff
	v_and_b32_e32 v34, 0xffff0000, v44
	v_and_b32_e32 v44, 0xffff0000, v54
	v_cndmask_b32_e32 v82, v33, v83, vcc_lo
	v_bfe_u32 v33, v60, 16, 1
	v_or_b32_e32 v83, 0x400000, v36
	v_mul_f32_e32 v35, v41, v35
	v_cmp_u_f32_e32 vcc_lo, v36, v36
	v_or_b32_e32 v84, 0x400000, v60
	v_add3_u32 v33, v33, v60, 0x7fff
	v_mul_f32_e32 v44, v34, v44
	v_and_b32_e32 v36, 0xffff0000, v42
	v_cndmask_b32_e32 v53, v53, v83, vcc_lo
	v_cmp_u_f32_e32 vcc_lo, v60, v60
	v_bfe_u32 v83, v35, 16, 1
	v_lshlrev_b32_e32 v42, 16, v54
	v_and_b32_e32 v54, 0xffff0000, v55
	v_lshlrev_b32_e32 v55, 16, v55
	v_cndmask_b32_e32 v60, v33, v84, vcc_lo
	v_and_b32_e32 v33, 0xffff0000, v61
	v_add3_u32 v61, v83, v35, 0x7fff
	v_or_b32_e32 v83, 0x400000, v35
	v_bfe_u32 v84, v44, 16, 1
	v_mul_f32_e32 v42, v36, v42
	v_cmp_u_f32_e32 vcc_lo, v35, v35
	v_mul_f32_e32 v54, v33, v54
	v_mul_f32_e32 v55, v43, v55
	v_add3_u32 v35, v84, v44, 0x7fff
	v_bfe_u32 v84, v42, 16, 1
	v_cndmask_b32_e32 v61, v61, v83, vcc_lo
	v_or_b32_e32 v83, 0x400000, v44
	v_cmp_u_f32_e32 vcc_lo, v44, v44
	v_bfe_u32 v85, v54, 16, 1
	v_or_b32_e32 v86, 0x400000, v54
	v_bfe_u32 v87, v55, 16, 1
	v_and_b32_e32 v61, 0xffff0000, v61
	v_cndmask_b32_e32 v44, v35, v83, vcc_lo
	v_add3_u32 v83, v84, v42, 0x7fff
	v_or_b32_e32 v84, 0x400000, v42
	v_cmp_u_f32_e32 vcc_lo, v42, v42
	v_add3_u32 v85, v85, v54, 0x7fff
	v_and_b32_e32 v35, 0xffff0000, v53
	v_and_b32_e32 v53, 0xffff0000, v56
	;; [unrolled: 1-line block ×3, first 2 shown]
	v_cndmask_b32_e32 v83, v83, v84, vcc_lo
	v_cmp_u_f32_e32 vcc_lo, v54, v54
	v_add3_u32 v84, v87, v55, 0x7fff
	v_mul_f32_e32 v53, v35, v53
	v_lshlrev_b32_e32 v56, 16, v56
	v_and_b32_e32 v60, 0xffff0000, v60
	v_cndmask_b32_e32 v54, v85, v86, vcc_lo
	v_or_b32_e32 v85, 0x400000, v55
	v_cmp_u_f32_e32 vcc_lo, v55, v55
	v_bfe_u32 v86, v53, 16, 1
	v_and_b32_e32 v83, 0xffff0000, v83
	v_and_b32_e32 v44, 0xffff0000, v44
	v_mul_f32_e32 v56, v42, v56
	v_cndmask_b32_e32 v55, v84, v85, vcc_lo
	v_add3_u32 v82, v86, v53, 0x7fff
	v_or_b32_e32 v84, 0x400000, v53
	v_cmp_u_f32_e32 vcc_lo, v53, v53
	v_add_f32_e32 v60, v61, v60
	v_add_f32_e32 v44, v83, v44
	v_and_b32_e32 v55, 0xffff0000, v55
	v_and_b32_e32 v61, 0xffff0000, v49
	;; [unrolled: 1-line block ×3, first 2 shown]
	v_cndmask_b32_e32 v53, v82, v84, vcc_lo
	v_bfe_u32 v82, v56, 16, 1
	v_add_f32_e32 v44, v44, v60
	v_mul_f32_e32 v60, v0, v61
	v_add_f32_e32 v54, v55, v54
	v_lshlrev_b32_e32 v49, 16, v49
	v_add3_u32 v82, v82, v56, 0x7fff
	v_or_b32_e32 v83, 0x400000, v56
	v_cmp_u_f32_e32 vcc_lo, v56, v56
	v_bfe_u32 v56, v60, 16, 1
	v_add_f32_e32 v44, v54, v44
	v_mul_f32_e32 v49, v41, v49
	v_and_b32_e32 v54, 0xffff0000, v50
	v_cndmask_b32_e32 v55, v82, v83, vcc_lo
	v_add3_u32 v56, v56, v60, 0x7fff
	v_or_b32_e32 v61, 0x400000, v60
	v_bfe_u32 v82, v49, 16, 1
	v_mul_f32_e32 v54, v34, v54
	v_lshlrev_b32_e32 v50, 16, v50
	v_cmp_u_f32_e32 vcc_lo, v60, v60
	v_and_b32_e32 v83, 0xffff0000, v51
	v_add3_u32 v60, v82, v49, 0x7fff
	v_bfe_u32 v82, v54, 16, 1
	v_mul_f32_e32 v50, v36, v50
	v_cndmask_b32_e32 v56, v56, v61, vcc_lo
	v_or_b32_e32 v61, 0x400000, v49
	v_cmp_u_f32_e32 vcc_lo, v49, v49
	v_mul_f32_e32 v83, v33, v83
	v_lshlrev_b32_e32 v51, 16, v51
	v_and_b32_e32 v84, 0xffff0000, v52
	v_lshlrev_b32_e32 v52, 16, v52
	v_cndmask_b32_e32 v49, v60, v61, vcc_lo
	v_add3_u32 v60, v82, v54, 0x7fff
	v_or_b32_e32 v61, 0x400000, v54
	v_bfe_u32 v82, v50, 16, 1
	v_cmp_u_f32_e32 vcc_lo, v54, v54
	v_mul_f32_e32 v51, v43, v51
	v_mul_f32_e32 v52, v42, v52
	v_and_b32_e32 v49, 0xffff0000, v49
	v_and_b32_e32 v56, 0xffff0000, v56
	v_cndmask_b32_e32 v54, v60, v61, vcc_lo
	v_add3_u32 v60, v82, v50, 0x7fff
	v_or_b32_e32 v61, 0x400000, v50
	v_bfe_u32 v82, v83, 16, 1
	v_cmp_u_f32_e32 vcc_lo, v50, v50
	v_or_b32_e32 v85, 0x400000, v51
	v_bfe_u32 v87, v52, 16, 1
	v_and_b32_e32 v54, 0xffff0000, v54
	v_add_f32_e32 v49, v49, v56
	v_cndmask_b32_e32 v50, v60, v61, vcc_lo
	v_bfe_u32 v60, v51, 16, 1
	v_add3_u32 v61, v82, v83, 0x7fff
	v_mul_f32_e32 v82, v35, v84
	v_or_b32_e32 v84, 0x400000, v83
	v_cmp_u_f32_e32 vcc_lo, v83, v83
	v_add3_u32 v60, v60, v51, 0x7fff
	v_add3_u32 v83, v87, v52, 0x7fff
	v_bfe_u32 v86, v82, 16, 1
	v_and_b32_e32 v50, 0xffff0000, v50
	v_cndmask_b32_e32 v61, v61, v84, vcc_lo
	v_cmp_u_f32_e32 vcc_lo, v51, v51
	v_or_b32_e32 v84, 0x400000, v52
	v_and_b32_e32 v55, 0xffff0000, v55
	v_add_f32_e32 v50, v50, v54
	v_and_b32_e32 v54, 0xffff0000, v61
	v_cndmask_b32_e32 v51, v60, v85, vcc_lo
	v_cmp_u_f32_e32 vcc_lo, v52, v52
	v_add3_u32 v60, v86, v82, 0x7fff
	v_or_b32_e32 v85, 0x400000, v82
	v_and_b32_e32 v53, 0xffff0000, v53
	v_and_b32_e32 v51, 0xffff0000, v51
	v_cndmask_b32_e32 v52, v83, v84, vcc_lo
	v_cmp_u_f32_e32 vcc_lo, v82, v82
	v_add_f32_e32 v49, v50, v49
	v_add_f32_e32 v53, v55, v53
	;; [unrolled: 1-line block ×3, first 2 shown]
	v_and_b32_e32 v51, 0xffff0000, v52
	v_cndmask_b32_e32 v56, v60, v85, vcc_lo
	v_and_b32_e32 v54, 0xffff0000, v45
	v_lshlrev_b32_e32 v45, 16, v45
	v_add_f32_e32 v49, v50, v49
	v_add_f32_e32 v44, v53, v44
	v_and_b32_e32 v52, 0xffff0000, v56
	v_add_nc_u32_e32 v81, 0x200, v81
	v_mul_f32_e32 v45, v41, v45
	v_add_co_ci_u32_e64 v59, null, 0, v59, s0
	v_add_f32_e32 v50, v51, v52
	v_mul_f32_e32 v51, v0, v54
	v_and_b32_e32 v52, 0xffff0000, v46
	v_add_f32_e32 v66, v66, v44
	v_bfe_u32 v44, v45, 16, 1
	v_add_f32_e32 v49, v50, v49
	v_bfe_u32 v50, v51, 16, 1
	v_mul_f32_e32 v52, v34, v52
	v_lshlrev_b32_e32 v46, 16, v46
	v_cmp_u_f32_e32 vcc_lo, v51, v51
	v_add_f32_e32 v67, v67, v49
	v_add3_u32 v49, v50, v51, 0x7fff
	v_or_b32_e32 v50, 0x400000, v51
	v_add3_u32 v44, v44, v45, 0x7fff
	v_or_b32_e32 v53, 0x400000, v45
	v_or_b32_e32 v51, 0x400000, v52
	v_and_b32_e32 v54, 0xffff0000, v48
	v_cndmask_b32_e32 v49, v49, v50, vcc_lo
	v_bfe_u32 v50, v52, 16, 1
	v_cmp_u_f32_e32 vcc_lo, v45, v45
	v_mul_f32_e32 v45, v36, v46
	v_and_b32_e32 v46, 0xffff0000, v47
	v_lshlrev_b32_e32 v47, 16, v47
	v_add3_u32 v50, v50, v52, 0x7fff
	v_cndmask_b32_e32 v44, v44, v53, vcc_lo
	v_bfe_u32 v53, v45, 16, 1
	v_mul_f32_e32 v46, v33, v46
	v_cmp_u_f32_e32 vcc_lo, v52, v52
	v_mul_f32_e32 v47, v43, v47
	v_or_b32_e32 v52, 0x400000, v45
	v_lshlrev_b32_e32 v48, 16, v48
	v_and_b32_e32 v44, 0xffff0000, v44
	v_cndmask_b32_e32 v50, v50, v51, vcc_lo
	v_add3_u32 v51, v53, v45, 0x7fff
	v_bfe_u32 v53, v46, 16, 1
	v_cmp_u_f32_e32 vcc_lo, v45, v45
	v_bfe_u32 v55, v47, 16, 1
	v_mul_f32_e32 v48, v42, v48
	v_and_b32_e32 v49, 0xffff0000, v49
	v_and_b32_e32 v50, 0xffff0000, v50
	v_cndmask_b32_e32 v45, v51, v52, vcc_lo
	v_add3_u32 v51, v53, v46, 0x7fff
	v_mul_f32_e32 v52, v35, v54
	v_or_b32_e32 v53, 0x400000, v46
	v_cmp_u_f32_e32 vcc_lo, v46, v46
	v_add3_u32 v54, v55, v47, 0x7fff
	v_or_b32_e32 v55, 0x400000, v47
	v_bfe_u32 v56, v52, 16, 1
	v_and_b32_e32 v45, 0xffff0000, v45
	v_cndmask_b32_e32 v46, v51, v53, vcc_lo
	v_cmp_u_f32_e32 vcc_lo, v47, v47
	v_or_b32_e32 v53, 0x400000, v52
	v_add3_u32 v51, v56, v52, 0x7fff
	v_add_f32_e32 v44, v44, v49
	v_add_f32_e32 v45, v45, v50
	v_cndmask_b32_e32 v47, v54, v55, vcc_lo
	v_bfe_u32 v54, v48, 16, 1
	v_cmp_u_f32_e32 vcc_lo, v52, v52
	v_and_b32_e32 v49, 0xffff0000, v37
	v_and_b32_e32 v46, 0xffff0000, v46
	;; [unrolled: 1-line block ×3, first 2 shown]
	v_add3_u32 v52, v54, v48, 0x7fff
	v_cndmask_b32_e32 v51, v51, v53, vcc_lo
	v_or_b32_e32 v53, 0x400000, v48
	v_cmp_u_f32_e32 vcc_lo, v48, v48
	v_add_f32_e32 v44, v45, v44
	v_mul_f32_e32 v45, v0, v49
	v_add_f32_e32 v46, v47, v46
	v_lshlrev_b32_e32 v37, 16, v37
	v_cndmask_b32_e32 v48, v52, v53, vcc_lo
	v_and_b32_e32 v52, 0xffff0000, v40
	v_bfe_u32 v49, v45, 16, 1
	v_add_f32_e32 v44, v46, v44
	v_mul_f32_e32 v37, v41, v37
	v_and_b32_e32 v47, 0xffff0000, v48
	v_and_b32_e32 v48, 0xffff0000, v51
	;; [unrolled: 1-line block ×3, first 2 shown]
	v_lshlrev_b32_e32 v38, 16, v38
	v_bfe_u32 v50, v37, 16, 1
	v_cmp_u_f32_e32 vcc_lo, v45, v45
	v_add_f32_e32 v47, v47, v48
	v_add3_u32 v48, v49, v45, 0x7fff
	v_or_b32_e32 v49, 0x400000, v45
	v_mul_f32_e32 v46, v34, v46
	v_mul_f32_e32 v38, v36, v38
	v_and_b32_e32 v51, 0xffff0000, v39
	v_lshlrev_b32_e32 v39, 16, v39
	v_cndmask_b32_e32 v45, v48, v49, vcc_lo
	v_add3_u32 v48, v50, v37, 0x7fff
	v_or_b32_e32 v49, 0x400000, v37
	v_bfe_u32 v50, v46, 16, 1
	v_cmp_u_f32_e32 vcc_lo, v37, v37
	v_mul_f32_e32 v51, v33, v51
	v_mul_f32_e32 v39, v43, v39
	v_lshlrev_b32_e32 v40, 16, v40
	v_and_b32_e32 v45, 0xffff0000, v45
	v_cndmask_b32_e32 v37, v48, v49, vcc_lo
	v_add3_u32 v48, v50, v46, 0x7fff
	v_or_b32_e32 v49, 0x400000, v46
	v_bfe_u32 v50, v38, 16, 1
	v_cmp_u_f32_e32 vcc_lo, v46, v46
	v_mul_f32_e32 v40, v42, v40
	v_or_b32_e32 v53, 0x400000, v39
	v_and_b32_e32 v37, 0xffff0000, v37
	v_add_f32_e32 v44, v47, v44
	v_cndmask_b32_e32 v46, v48, v49, vcc_lo
	v_add3_u32 v48, v50, v38, 0x7fff
	v_or_b32_e32 v49, 0x400000, v38
	v_bfe_u32 v50, v51, 16, 1
	v_cmp_u_f32_e32 vcc_lo, v38, v38
	v_and_b32_e32 v46, 0xffff0000, v46
	v_add_f32_e32 v37, v37, v45
	v_add_f32_e32 v68, v68, v44
	v_cndmask_b32_e32 v38, v48, v49, vcc_lo
	v_bfe_u32 v48, v39, 16, 1
	v_add3_u32 v49, v50, v51, 0x7fff
	v_mul_f32_e32 v50, v35, v52
	v_or_b32_e32 v52, 0x400000, v51
	v_cmp_u_f32_e32 vcc_lo, v51, v51
	v_add3_u32 v48, v48, v39, 0x7fff
	v_bfe_u32 v51, v40, 16, 1
	v_bfe_u32 v54, v50, 16, 1
	v_and_b32_e32 v38, 0xffff0000, v38
	v_cndmask_b32_e32 v49, v49, v52, vcc_lo
	v_cmp_u_f32_e32 vcc_lo, v39, v39
	v_add3_u32 v51, v51, v40, 0x7fff
	v_or_b32_e32 v52, 0x400000, v50
	v_add_f32_e32 v38, v38, v46
	v_and_b32_e32 v45, 0xffff0000, v49
	v_cndmask_b32_e32 v39, v48, v53, vcc_lo
	v_or_b32_e32 v53, 0x400000, v40
	v_cmp_u_f32_e32 vcc_lo, v40, v40
	v_add3_u32 v48, v54, v50, 0x7fff
	v_add_f32_e32 v37, v38, v37
	v_and_b32_e32 v39, 0xffff0000, v39
	v_cndmask_b32_e32 v40, v51, v53, vcc_lo
	v_cmp_u_f32_e32 vcc_lo, v50, v50
	v_add_f32_e32 v38, v39, v45
	v_and_b32_e32 v39, 0xffff0000, v29
	v_and_b32_e32 v40, 0xffff0000, v40
	v_cndmask_b32_e32 v46, v48, v52, vcc_lo
	v_lshlrev_b32_e32 v29, 16, v29
	v_add_f32_e32 v37, v38, v37
	v_mul_f32_e32 v39, v0, v39
	v_and_b32_e32 v45, 0xffff0000, v46
	v_mul_f32_e32 v29, v41, v29
	v_cmp_u_f32_e32 vcc_lo, v39, v39
	v_add_f32_e32 v38, v40, v45
	v_and_b32_e32 v40, 0xffff0000, v30
	v_bfe_u32 v45, v39, 16, 1
	v_bfe_u32 v44, v29, 16, 1
	v_or_b32_e32 v46, 0x400000, v29
	v_add_f32_e32 v37, v38, v37
	v_mul_f32_e32 v38, v34, v40
	v_add3_u32 v40, v45, v39, 0x7fff
	v_or_b32_e32 v45, 0x400000, v39
	v_add3_u32 v44, v44, v29, 0x7fff
	v_lshlrev_b32_e32 v30, 16, v30
	v_bfe_u32 v47, v38, 16, 1
	v_add_f32_e32 v69, v69, v37
	v_cndmask_b32_e32 v39, v40, v45, vcc_lo
	v_cmp_u_f32_e32 vcc_lo, v29, v29
	v_mul_f32_e32 v30, v36, v30
	v_add3_u32 v40, v47, v38, 0x7fff
	v_and_b32_e32 v45, 0xffff0000, v31
	v_lshlrev_b32_e32 v31, 16, v31
	v_cndmask_b32_e32 v29, v44, v46, vcc_lo
	v_or_b32_e32 v44, 0x400000, v38
	v_cmp_u_f32_e32 vcc_lo, v38, v38
	v_bfe_u32 v46, v30, 16, 1
	v_mul_f32_e32 v31, v43, v31
	v_and_b32_e32 v29, 0xffff0000, v29
	v_and_b32_e32 v39, 0xffff0000, v39
	v_cndmask_b32_e32 v38, v40, v44, vcc_lo
	v_mul_f32_e32 v40, v33, v45
	v_add3_u32 v44, v46, v30, 0x7fff
	v_or_b32_e32 v45, 0x400000, v30
	v_and_b32_e32 v46, 0xffff0000, v32
	v_cmp_u_f32_e32 vcc_lo, v30, v30
	v_bfe_u32 v47, v40, 16, 1
	v_bfe_u32 v48, v31, 16, 1
	v_lshlrev_b32_e32 v32, 16, v32
	v_and_b32_e32 v38, 0xffff0000, v38
	v_cndmask_b32_e32 v30, v44, v45, vcc_lo
	v_mul_f32_e32 v44, v35, v46
	v_add3_u32 v45, v47, v40, 0x7fff
	v_or_b32_e32 v46, 0x400000, v40
	v_cmp_u_f32_e32 vcc_lo, v40, v40
	v_add3_u32 v47, v48, v31, 0x7fff
	v_or_b32_e32 v48, 0x400000, v31
	v_bfe_u32 v49, v44, 16, 1
	v_and_b32_e32 v30, 0xffff0000, v30
	v_cndmask_b32_e32 v40, v45, v46, vcc_lo
	v_cmp_u_f32_e32 vcc_lo, v31, v31
	v_or_b32_e32 v46, 0x400000, v44
	v_add3_u32 v45, v49, v44, 0x7fff
	v_mul_f32_e32 v32, v42, v32
	v_add_f32_e32 v29, v29, v39
	v_cndmask_b32_e32 v31, v47, v48, vcc_lo
	v_cmp_u_f32_e32 vcc_lo, v44, v44
	v_add_f32_e32 v30, v30, v38
	v_and_b32_e32 v38, 0xffff0000, v25
	v_and_b32_e32 v39, 0xffff0000, v40
	;; [unrolled: 1-line block ×3, first 2 shown]
	v_cndmask_b32_e32 v44, v45, v46, vcc_lo
	v_bfe_u32 v45, v32, 16, 1
	v_add_f32_e32 v29, v30, v29
	v_mul_f32_e32 v30, v0, v38
	v_add_f32_e32 v31, v31, v39
	v_lshlrev_b32_e32 v25, 16, v25
	v_add3_u32 v40, v45, v32, 0x7fff
	v_or_b32_e32 v45, 0x400000, v32
	v_cmp_u_f32_e32 vcc_lo, v32, v32
	v_bfe_u32 v38, v30, 16, 1
	v_add_f32_e32 v29, v31, v29
	v_mul_f32_e32 v25, v41, v25
	v_and_b32_e32 v31, 0xffff0000, v26
	v_cndmask_b32_e32 v32, v40, v45, vcc_lo
	v_add3_u32 v38, v38, v30, 0x7fff
	v_or_b32_e32 v39, 0x400000, v30
	v_bfe_u32 v40, v25, 16, 1
	v_mul_f32_e32 v31, v34, v31
	v_lshlrev_b32_e32 v26, 16, v26
	v_cmp_u_f32_e32 vcc_lo, v30, v30
	v_and_b32_e32 v45, 0xffff0000, v27
	v_lshlrev_b32_e32 v27, 16, v27
	v_and_b32_e32 v46, 0xffff0000, v28
	v_mul_f32_e32 v26, v36, v26
	v_cndmask_b32_e32 v30, v38, v39, vcc_lo
	v_add3_u32 v38, v40, v25, 0x7fff
	v_or_b32_e32 v39, 0x400000, v25
	v_bfe_u32 v40, v31, 16, 1
	v_cmp_u_f32_e32 vcc_lo, v25, v25
	v_mul_f32_e32 v45, v33, v45
	v_mul_f32_e32 v27, v43, v27
	v_lshlrev_b32_e32 v28, 16, v28
	v_and_b32_e32 v30, 0xffff0000, v30
	v_cndmask_b32_e32 v25, v38, v39, vcc_lo
	v_add3_u32 v38, v40, v31, 0x7fff
	v_or_b32_e32 v39, 0x400000, v31
	v_bfe_u32 v40, v26, 16, 1
	v_cmp_u_f32_e32 vcc_lo, v31, v31
	v_mul_f32_e32 v28, v42, v28
	v_or_b32_e32 v47, 0x400000, v27
	v_and_b32_e32 v25, 0xffff0000, v25
	v_and_b32_e32 v32, 0xffff0000, v32
	v_cndmask_b32_e32 v31, v38, v39, vcc_lo
	v_add3_u32 v38, v40, v26, 0x7fff
	v_or_b32_e32 v39, 0x400000, v26
	v_bfe_u32 v40, v45, 16, 1
	v_cmp_u_f32_e32 vcc_lo, v26, v26
	v_bfe_u32 v49, v28, 16, 1
	v_and_b32_e32 v31, 0xffff0000, v31
	v_add_f32_e32 v25, v25, v30
	v_cndmask_b32_e32 v26, v38, v39, vcc_lo
	v_bfe_u32 v38, v27, 16, 1
	v_add3_u32 v39, v40, v45, 0x7fff
	v_mul_f32_e32 v40, v35, v46
	v_or_b32_e32 v46, 0x400000, v45
	v_cmp_u_f32_e32 vcc_lo, v45, v45
	v_add3_u32 v38, v38, v27, 0x7fff
	v_add3_u32 v45, v49, v28, 0x7fff
	v_bfe_u32 v48, v40, 16, 1
	v_and_b32_e32 v26, 0xffff0000, v26
	v_cndmask_b32_e32 v39, v39, v46, vcc_lo
	v_cmp_u_f32_e32 vcc_lo, v27, v27
	v_or_b32_e32 v46, 0x400000, v28
	v_add_f32_e32 v26, v26, v31
	v_and_b32_e32 v30, 0xffff0000, v39
	v_cndmask_b32_e32 v27, v38, v47, vcc_lo
	v_cmp_u_f32_e32 vcc_lo, v28, v28
	v_add3_u32 v38, v48, v40, 0x7fff
	v_or_b32_e32 v47, 0x400000, v40
	v_add_f32_e32 v25, v26, v25
	v_and_b32_e32 v27, 0xffff0000, v27
	v_cndmask_b32_e32 v28, v45, v46, vcc_lo
	v_cmp_u_f32_e32 vcc_lo, v40, v40
	v_add_f32_e32 v26, v27, v30
	v_and_b32_e32 v27, 0xffff0000, v28
	v_cndmask_b32_e32 v31, v38, v47, vcc_lo
	v_and_b32_e32 v38, 0xffff0000, v44
	v_and_b32_e32 v30, 0xffff0000, v21
	v_lshlrev_b32_e32 v21, 16, v21
	v_add_f32_e32 v25, v26, v25
	v_and_b32_e32 v28, 0xffff0000, v31
	v_add_f32_e32 v31, v32, v38
	v_mul_f32_e32 v21, v41, v21
	v_add_f32_e32 v26, v27, v28
	v_mul_f32_e32 v27, v0, v30
	v_add_f32_e32 v28, v31, v29
	v_and_b32_e32 v29, 0xffff0000, v22
	v_lshlrev_b32_e32 v22, 16, v22
	v_add_f32_e32 v25, v26, v25
	v_bfe_u32 v26, v27, 16, 1
	v_add_f32_e32 v70, v70, v28
	v_bfe_u32 v28, v21, 16, 1
	v_mul_f32_e32 v29, v34, v29
	v_add_f32_e32 v71, v71, v25
	v_add3_u32 v25, v26, v27, 0x7fff
	v_or_b32_e32 v26, 0x400000, v27
	v_cmp_u_f32_e32 vcc_lo, v27, v27
	v_add3_u32 v28, v28, v21, 0x7fff
	v_or_b32_e32 v30, 0x400000, v21
	v_mul_f32_e32 v22, v36, v22
	v_and_b32_e32 v27, 0xffff0000, v23
	v_cndmask_b32_e32 v25, v25, v26, vcc_lo
	v_bfe_u32 v26, v29, 16, 1
	v_cmp_u_f32_e32 vcc_lo, v21, v21
	v_lshlrev_b32_e32 v23, 16, v23
	v_mul_f32_e32 v27, v33, v27
	v_and_b32_e32 v31, 0xffff0000, v24
	v_add3_u32 v26, v26, v29, 0x7fff
	v_cndmask_b32_e32 v21, v28, v30, vcc_lo
	v_or_b32_e32 v28, 0x400000, v29
	v_bfe_u32 v30, v22, 16, 1
	v_cmp_u_f32_e32 vcc_lo, v29, v29
	v_mul_f32_e32 v23, v43, v23
	v_or_b32_e32 v29, 0x400000, v22
	v_lshlrev_b32_e32 v24, 16, v24
	v_and_b32_e32 v21, 0xffff0000, v21
	v_cndmask_b32_e32 v26, v26, v28, vcc_lo
	v_add3_u32 v28, v30, v22, 0x7fff
	v_bfe_u32 v30, v27, 16, 1
	v_cmp_u_f32_e32 vcc_lo, v22, v22
	v_bfe_u32 v32, v23, 16, 1
	v_mul_f32_e32 v24, v42, v24
	v_and_b32_e32 v25, 0xffff0000, v25
	v_and_b32_e32 v26, 0xffff0000, v26
	v_cndmask_b32_e32 v22, v28, v29, vcc_lo
	v_add3_u32 v28, v30, v27, 0x7fff
	v_mul_f32_e32 v29, v35, v31
	v_or_b32_e32 v30, 0x400000, v27
	v_cmp_u_f32_e32 vcc_lo, v27, v27
	v_add3_u32 v31, v32, v23, 0x7fff
	v_or_b32_e32 v32, 0x400000, v23
	v_bfe_u32 v37, v29, 16, 1
	v_and_b32_e32 v22, 0xffff0000, v22
	v_cndmask_b32_e32 v27, v28, v30, vcc_lo
	v_cmp_u_f32_e32 vcc_lo, v23, v23
	v_or_b32_e32 v30, 0x400000, v29
	v_add3_u32 v28, v37, v29, 0x7fff
	v_add_f32_e32 v21, v21, v25
	v_add_f32_e32 v22, v22, v26
	v_cndmask_b32_e32 v23, v31, v32, vcc_lo
	v_bfe_u32 v31, v24, 16, 1
	v_cmp_u_f32_e32 vcc_lo, v29, v29
	v_and_b32_e32 v26, 0xffff0000, v13
	v_and_b32_e32 v25, 0xffff0000, v27
	v_and_b32_e32 v23, 0xffff0000, v23
	v_add3_u32 v29, v31, v24, 0x7fff
	v_cndmask_b32_e32 v28, v28, v30, vcc_lo
	v_or_b32_e32 v30, 0x400000, v24
	v_cmp_u_f32_e32 vcc_lo, v24, v24
	v_lshlrev_b32_e32 v13, 16, v13
	v_add_f32_e32 v21, v22, v21
	v_mul_f32_e32 v22, v0, v26
	v_add_f32_e32 v23, v23, v25
	v_cndmask_b32_e32 v24, v29, v30, vcc_lo
	v_mul_f32_e32 v13, v41, v13
	v_and_b32_e32 v25, 0xffff0000, v28
	v_bfe_u32 v26, v22, 16, 1
	v_add_f32_e32 v21, v23, v21
	v_and_b32_e32 v24, 0xffff0000, v24
	v_bfe_u32 v23, v13, 16, 1
	v_and_b32_e32 v27, 0xffff0000, v14
	v_cmp_u_f32_e32 vcc_lo, v22, v22
	v_or_b32_e32 v28, 0x400000, v13
	v_add_f32_e32 v24, v24, v25
	v_add3_u32 v25, v26, v22, 0x7fff
	v_or_b32_e32 v26, 0x400000, v22
	v_add3_u32 v23, v23, v13, 0x7fff
	v_mul_f32_e32 v27, v34, v27
	v_lshlrev_b32_e32 v14, 16, v14
	v_and_b32_e32 v29, 0xffff0000, v16
	v_cndmask_b32_e32 v22, v25, v26, vcc_lo
	v_cmp_u_f32_e32 vcc_lo, v13, v13
	v_bfe_u32 v25, v27, 16, 1
	v_mul_f32_e32 v14, v36, v14
	v_or_b32_e32 v26, 0x400000, v27
	v_lshlrev_b32_e32 v16, 16, v16
	v_cndmask_b32_e32 v13, v23, v28, vcc_lo
	v_and_b32_e32 v23, 0xffff0000, v15
	v_add3_u32 v25, v25, v27, 0x7fff
	v_lshlrev_b32_e32 v15, 16, v15
	v_bfe_u32 v28, v14, 16, 1
	v_cmp_u_f32_e32 vcc_lo, v27, v27
	v_mul_f32_e32 v23, v33, v23
	v_or_b32_e32 v27, 0x400000, v14
	v_mul_f32_e32 v15, v43, v15
	v_mul_f32_e32 v16, v42, v16
	v_cndmask_b32_e32 v25, v25, v26, vcc_lo
	v_add3_u32 v26, v28, v14, 0x7fff
	v_bfe_u32 v28, v23, 16, 1
	v_cmp_u_f32_e32 vcc_lo, v14, v14
	v_bfe_u32 v30, v15, 16, 1
	v_and_b32_e32 v13, 0xffff0000, v13
	v_and_b32_e32 v22, 0xffff0000, v22
	;; [unrolled: 1-line block ×3, first 2 shown]
	v_cndmask_b32_e32 v14, v26, v27, vcc_lo
	v_add3_u32 v26, v28, v23, 0x7fff
	v_mul_f32_e32 v27, v35, v29
	v_or_b32_e32 v28, 0x400000, v23
	v_cmp_u_f32_e32 vcc_lo, v23, v23
	v_add3_u32 v29, v30, v15, 0x7fff
	v_or_b32_e32 v30, 0x400000, v15
	v_bfe_u32 v31, v27, 16, 1
	v_and_b32_e32 v14, 0xffff0000, v14
	v_cndmask_b32_e32 v23, v26, v28, vcc_lo
	v_cmp_u_f32_e32 vcc_lo, v15, v15
	v_or_b32_e32 v28, 0x400000, v27
	v_add3_u32 v26, v31, v27, 0x7fff
	v_add_f32_e32 v13, v13, v22
	v_add_f32_e32 v14, v14, v25
	v_cndmask_b32_e32 v15, v29, v30, vcc_lo
	v_bfe_u32 v29, v16, 16, 1
	v_cmp_u_f32_e32 vcc_lo, v27, v27
	v_and_b32_e32 v22, 0xffff0000, v23
	v_add_f32_e32 v13, v14, v13
	v_and_b32_e32 v15, 0xffff0000, v15
	v_add3_u32 v27, v29, v16, 0x7fff
	v_cndmask_b32_e32 v26, v26, v28, vcc_lo
	v_or_b32_e32 v28, 0x400000, v16
	v_cmp_u_f32_e32 vcc_lo, v16, v16
	v_and_b32_e32 v14, 0xffff0000, v9
	v_add_f32_e32 v15, v15, v22
	v_lshlrev_b32_e32 v9, 16, v9
	v_and_b32_e32 v22, 0xffff0000, v26
	v_cndmask_b32_e32 v16, v27, v28, vcc_lo
	v_mul_f32_e32 v14, v0, v14
	v_add_f32_e32 v21, v24, v21
	v_mul_f32_e32 v23, v41, v9
	v_add_f32_e32 v9, v15, v13
	v_and_b32_e32 v16, 0xffff0000, v16
	v_bfe_u32 v15, v14, 16, 1
	v_add_f32_e32 v72, v72, v21
	v_and_b32_e32 v21, 0xffff0000, v10
	v_cmp_u_f32_e32 vcc_lo, v14, v14
	v_add_f32_e32 v13, v16, v22
	v_bfe_u32 v16, v23, 16, 1
	v_or_b32_e32 v22, 0x400000, v23
	v_mul_f32_e32 v21, v34, v21
	v_lshlrev_b32_e32 v10, 16, v10
	v_add_f32_e32 v9, v13, v9
	v_add3_u32 v13, v15, v14, 0x7fff
	v_or_b32_e32 v15, 0x400000, v14
	v_add3_u32 v16, v16, v23, 0x7fff
	v_bfe_u32 v14, v21, 16, 1
	v_mul_f32_e32 v10, v36, v10
	v_and_b32_e32 v24, 0xffff0000, v12
	v_cndmask_b32_e32 v13, v13, v15, vcc_lo
	v_cmp_u_f32_e32 vcc_lo, v23, v23
	v_add3_u32 v14, v14, v21, 0x7fff
	v_bfe_u32 v23, v10, 16, 1
	v_lshlrev_b32_e32 v12, 16, v12
	v_and_b32_e32 v13, 0xffff0000, v13
	v_cndmask_b32_e32 v15, v16, v22, vcc_lo
	v_and_b32_e32 v16, 0xffff0000, v11
	v_or_b32_e32 v22, 0x400000, v21
	v_lshlrev_b32_e32 v11, 16, v11
	v_cmp_u_f32_e32 vcc_lo, v21, v21
	v_add3_u32 v21, v23, v10, 0x7fff
	v_mul_f32_e32 v16, v33, v16
	v_mul_f32_e32 v12, v42, v12
	v_mul_f32_e32 v11, v43, v11
	v_cndmask_b32_e32 v14, v14, v22, vcc_lo
	v_or_b32_e32 v22, 0x400000, v10
	v_bfe_u32 v23, v16, 16, 1
	v_cmp_u_f32_e32 vcc_lo, v10, v10
	v_bfe_u32 v25, v11, 16, 1
	v_and_b32_e32 v15, 0xffff0000, v15
	v_and_b32_e32 v14, 0xffff0000, v14
	v_add_f32_e32 v73, v73, v9
	v_cndmask_b32_e32 v10, v21, v22, vcc_lo
	v_add3_u32 v21, v23, v16, 0x7fff
	v_mul_f32_e32 v22, v35, v24
	v_or_b32_e32 v23, 0x400000, v16
	v_cmp_u_f32_e32 vcc_lo, v16, v16
	v_add3_u32 v24, v25, v11, 0x7fff
	v_or_b32_e32 v25, 0x400000, v11
	v_bfe_u32 v26, v22, 16, 1
	v_and_b32_e32 v10, 0xffff0000, v10
	v_cndmask_b32_e32 v16, v21, v23, vcc_lo
	v_cmp_u_f32_e32 vcc_lo, v11, v11
	v_or_b32_e32 v23, 0x400000, v22
	v_add3_u32 v21, v26, v22, 0x7fff
	v_add_f32_e32 v13, v15, v13
	v_add_f32_e32 v10, v10, v14
	v_cndmask_b32_e32 v11, v24, v25, vcc_lo
	v_bfe_u32 v24, v12, 16, 1
	v_cmp_u_f32_e32 vcc_lo, v22, v22
	v_and_b32_e32 v15, 0xffff0000, v5
	v_and_b32_e32 v14, 0xffff0000, v16
	;; [unrolled: 1-line block ×3, first 2 shown]
	v_add3_u32 v22, v24, v12, 0x7fff
	v_cndmask_b32_e32 v21, v21, v23, vcc_lo
	v_or_b32_e32 v23, 0x400000, v12
	v_cmp_u_f32_e32 vcc_lo, v12, v12
	v_lshlrev_b32_e32 v5, 16, v5
	v_add_f32_e32 v10, v10, v13
	v_mul_f32_e32 v13, v0, v15
	v_add_f32_e32 v11, v11, v14
	v_cndmask_b32_e32 v12, v22, v23, vcc_lo
	v_mul_f32_e32 v14, v41, v5
	v_and_b32_e32 v15, 0xffff0000, v21
	v_and_b32_e32 v16, 0xffff0000, v6
	v_bfe_u32 v21, v13, 16, 1
	v_and_b32_e32 v12, 0xffff0000, v12
	v_add_f32_e32 v5, v11, v10
	v_bfe_u32 v11, v14, 16, 1
	v_cmp_u_f32_e32 vcc_lo, v13, v13
	v_lshlrev_b32_e32 v6, 16, v6
	v_add_f32_e32 v10, v12, v15
	v_mul_f32_e32 v12, v34, v16
	v_add3_u32 v15, v21, v13, 0x7fff
	v_or_b32_e32 v16, 0x400000, v13
	v_add3_u32 v11, v11, v14, 0x7fff
	v_or_b32_e32 v21, 0x400000, v14
	v_bfe_u32 v22, v12, 16, 1
	v_mul_f32_e32 v6, v36, v6
	v_cndmask_b32_e32 v13, v15, v16, vcc_lo
	v_cmp_u_f32_e32 vcc_lo, v14, v14
	v_or_b32_e32 v15, 0x400000, v12
	v_add3_u32 v14, v22, v12, 0x7fff
	v_and_b32_e32 v16, 0xffff0000, v7
	v_lshlrev_b32_e32 v7, 16, v7
	v_cndmask_b32_e32 v11, v11, v21, vcc_lo
	v_cmp_u_f32_e32 vcc_lo, v12, v12
	v_bfe_u32 v21, v6, 16, 1
	v_and_b32_e32 v13, 0xffff0000, v13
	v_mul_f32_e32 v7, v43, v7
	v_and_b32_e32 v11, 0xffff0000, v11
	v_cndmask_b32_e32 v12, v14, v15, vcc_lo
	v_mul_f32_e32 v14, v33, v16
	v_add3_u32 v15, v21, v6, 0x7fff
	v_or_b32_e32 v16, 0x400000, v6
	v_and_b32_e32 v21, 0xffff0000, v8
	v_cmp_u_f32_e32 vcc_lo, v6, v6
	v_bfe_u32 v22, v14, 16, 1
	v_bfe_u32 v23, v7, 16, 1
	v_lshlrev_b32_e32 v8, 16, v8
	v_and_b32_e32 v12, 0xffff0000, v12
	v_cndmask_b32_e32 v6, v15, v16, vcc_lo
	v_mul_f32_e32 v15, v35, v21
	v_add3_u32 v16, v22, v14, 0x7fff
	v_or_b32_e32 v21, 0x400000, v14
	v_cmp_u_f32_e32 vcc_lo, v14, v14
	v_add3_u32 v22, v23, v7, 0x7fff
	v_or_b32_e32 v23, 0x400000, v7
	v_bfe_u32 v24, v15, 16, 1
	v_and_b32_e32 v6, 0xffff0000, v6
	v_cndmask_b32_e32 v14, v16, v21, vcc_lo
	v_cmp_u_f32_e32 vcc_lo, v7, v7
	v_or_b32_e32 v21, 0x400000, v15
	v_add3_u32 v16, v24, v15, 0x7fff
	v_mul_f32_e32 v8, v42, v8
	v_add_f32_e32 v11, v11, v13
	v_cndmask_b32_e32 v7, v22, v23, vcc_lo
	v_cmp_u_f32_e32 vcc_lo, v15, v15
	v_add_f32_e32 v6, v6, v12
	v_and_b32_e32 v12, 0xffff0000, v1
	v_and_b32_e32 v13, 0xffff0000, v14
	;; [unrolled: 1-line block ×3, first 2 shown]
	v_cndmask_b32_e32 v15, v16, v21, vcc_lo
	v_bfe_u32 v16, v8, 16, 1
	v_add_f32_e32 v6, v6, v11
	v_mul_f32_e32 v11, v0, v12
	v_add_f32_e32 v7, v7, v13
	v_lshlrev_b32_e32 v1, 16, v1
	v_add3_u32 v14, v16, v8, 0x7fff
	v_or_b32_e32 v16, 0x400000, v8
	v_cmp_u_f32_e32 vcc_lo, v8, v8
	v_bfe_u32 v12, v11, 16, 1
	v_add_f32_e32 v6, v7, v6
	v_and_b32_e32 v7, 0xffff0000, v2
	v_mul_f32_e32 v1, v41, v1
	v_cndmask_b32_e32 v8, v14, v16, vcc_lo
	v_add3_u32 v12, v12, v11, 0x7fff
	v_or_b32_e32 v13, 0x400000, v11
	v_mul_f32_e32 v7, v34, v7
	v_and_b32_e32 v14, 0xffff0000, v15
	v_bfe_u32 v15, v1, 16, 1
	v_cmp_u_f32_e32 vcc_lo, v11, v11
	v_lshlrev_b32_e32 v2, 16, v2
	v_or_b32_e32 v16, 0x400000, v1
	v_or_b32_e32 v21, 0x400000, v7
	v_and_b32_e32 v8, 0xffff0000, v8
	v_cndmask_b32_e32 v11, v12, v13, vcc_lo
	v_bfe_u32 v12, v7, 16, 1
	v_add3_u32 v13, v15, v1, 0x7fff
	v_and_b32_e32 v15, 0xffff0000, v3
	v_mul_f32_e32 v2, v36, v2
	v_cmp_u_f32_e32 vcc_lo, v1, v1
	v_add3_u32 v12, v12, v7, 0x7fff
	v_lshlrev_b32_e32 v3, 16, v3
	v_mul_f32_e32 v15, v33, v15
	v_and_b32_e32 v11, 0xffff0000, v11
	v_cndmask_b32_e32 v1, v13, v16, vcc_lo
	v_bfe_u32 v13, v2, 16, 1
	v_cmp_u_f32_e32 vcc_lo, v7, v7
	v_and_b32_e32 v16, 0xffff0000, v4
	v_mul_f32_e32 v3, v43, v3
	v_or_b32_e32 v22, 0x400000, v15
	v_add3_u32 v13, v13, v2, 0x7fff
	v_cndmask_b32_e32 v7, v12, v21, vcc_lo
	v_bfe_u32 v12, v15, 16, 1
	v_or_b32_e32 v21, 0x400000, v2
	v_cmp_u_f32_e32 vcc_lo, v2, v2
	v_mul_f32_e32 v16, v35, v16
	v_lshlrev_b32_e32 v4, 16, v4
	v_add3_u32 v12, v12, v15, 0x7fff
	v_and_b32_e32 v1, 0xffff0000, v1
	v_cndmask_b32_e32 v2, v13, v21, vcc_lo
	v_bfe_u32 v13, v3, 16, 1
	v_cmp_u_f32_e32 vcc_lo, v15, v15
	v_bfe_u32 v21, v16, 16, 1
	v_or_b32_e32 v15, 0x400000, v3
	v_mul_f32_e32 v4, v42, v4
	v_add3_u32 v13, v13, v3, 0x7fff
	v_cndmask_b32_e32 v12, v12, v22, vcc_lo
	v_cmp_u_f32_e32 vcc_lo, v3, v3
	v_add3_u32 v21, v21, v16, 0x7fff
	v_or_b32_e32 v22, 0x400000, v16
	v_and_b32_e32 v2, 0xffff0000, v2
	v_and_b32_e32 v7, 0xffff0000, v7
	v_cndmask_b32_e32 v3, v13, v15, vcc_lo
	v_cmp_u_f32_e32 vcc_lo, v16, v16
	v_bfe_u32 v15, v4, 16, 1
	v_add_f32_e32 v1, v1, v11
	v_add_f32_e32 v2, v2, v7
	v_and_b32_e32 v3, 0xffff0000, v3
	v_cndmask_b32_e32 v13, v21, v22, vcc_lo
	s_waitcnt vmcnt(0)
	v_lshlrev_b32_e32 v21, 16, v17
	v_and_b32_e32 v7, 0xffff0000, v12
	v_and_b32_e32 v12, 0xffff0000, v17
	v_add3_u32 v15, v15, v4, 0x7fff
	v_or_b32_e32 v16, 0x400000, v4
	v_mul_f32_e32 v11, v41, v21
	v_cmp_u_f32_e32 vcc_lo, v4, v4
	v_add_f32_e32 v1, v2, v1
	v_add_f32_e32 v3, v3, v7
	v_mul_f32_e32 v0, v0, v12
	v_bfe_u32 v2, v11, 16, 1
	v_lshlrev_b32_e32 v7, 16, v18
	v_cndmask_b32_e32 v4, v15, v16, vcc_lo
	v_or_b32_e32 v12, 0x400000, v11
	v_bfe_u32 v15, v0, 16, 1
	v_add3_u32 v2, v2, v11, 0x7fff
	v_mul_f32_e32 v7, v36, v7
	v_and_b32_e32 v16, 0xffff0000, v18
	v_cmp_u_f32_e32 vcc_lo, v11, v11
	v_add3_u32 v11, v15, v0, 0x7fff
	v_lshlrev_b32_e32 v17, 16, v19
	v_bfe_u32 v15, v7, 16, 1
	v_mul_f32_e32 v16, v34, v16
	v_cndmask_b32_e32 v2, v2, v12, vcc_lo
	v_or_b32_e32 v12, 0x400000, v0
	v_cmp_u_f32_e32 vcc_lo, v0, v0
	v_mul_f32_e32 v17, v43, v17
	v_and_b32_e32 v18, 0xffff0000, v19
	v_lshlrev_b32_e32 v19, 16, v20
	v_and_b32_e32 v20, 0xffff0000, v20
	v_cndmask_b32_e32 v0, v11, v12, vcc_lo
	v_add3_u32 v11, v15, v7, 0x7fff
	v_or_b32_e32 v12, 0x400000, v7
	v_bfe_u32 v15, v16, 16, 1
	v_cmp_u_f32_e32 vcc_lo, v7, v7
	v_mul_f32_e32 v18, v33, v18
	v_and_b32_e32 v0, 0xffff0000, v0
	v_and_b32_e32 v2, 0xffff0000, v2
	;; [unrolled: 1-line block ×3, first 2 shown]
	v_cndmask_b32_e32 v7, v11, v12, vcc_lo
	v_add3_u32 v11, v15, v16, 0x7fff
	v_or_b32_e32 v12, 0x400000, v16
	v_bfe_u32 v15, v17, 16, 1
	v_cmp_u_f32_e32 vcc_lo, v16, v16
	v_mul_f32_e32 v16, v42, v19
	v_mul_f32_e32 v19, v35, v20
	v_or_b32_e32 v20, 0x400000, v17
	v_add3_u32 v15, v15, v17, 0x7fff
	v_cndmask_b32_e32 v11, v11, v12, vcc_lo
	v_bfe_u32 v12, v18, 16, 1
	v_cmp_u_f32_e32 vcc_lo, v17, v17
	v_or_b32_e32 v21, 0x400000, v18
	v_bfe_u32 v23, v19, 16, 1
	v_bfe_u32 v22, v16, 16, 1
	v_add3_u32 v12, v12, v18, 0x7fff
	v_cndmask_b32_e32 v15, v15, v20, vcc_lo
	v_cmp_u_f32_e32 vcc_lo, v18, v18
	v_add3_u32 v18, v23, v19, 0x7fff
	v_or_b32_e32 v20, 0x400000, v19
	v_add3_u32 v17, v22, v16, 0x7fff
	v_and_b32_e32 v11, 0xffff0000, v11
	v_cndmask_b32_e32 v12, v12, v21, vcc_lo
	v_cmp_u_f32_e32 vcc_lo, v19, v19
	v_and_b32_e32 v7, 0xffff0000, v7
	v_or_b32_e32 v21, 0x400000, v16
	v_add_f32_e32 v0, v2, v0
	v_and_b32_e32 v13, 0xffff0000, v13
	v_cndmask_b32_e32 v18, v18, v20, vcc_lo
	v_cmp_u_f32_e32 vcc_lo, v16, v16
	v_add_f32_e32 v2, v7, v11
	v_and_b32_e32 v7, 0xffff0000, v12
	v_and_b32_e32 v11, 0xffff0000, v15
	v_add_f32_e32 v8, v8, v14
	v_cndmask_b32_e32 v12, v17, v21, vcc_lo
	v_add_f32_e32 v0, v2, v0
	v_add_f32_e32 v1, v3, v1
	;; [unrolled: 1-line block ×3, first 2 shown]
	v_and_b32_e32 v7, 0xffff0000, v18
	v_and_b32_e32 v11, 0xffff0000, v12
	v_add_f32_e32 v3, v4, v13
	v_add_f32_e32 v4, v10, v5
	;; [unrolled: 1-line block ×6, first 2 shown]
	v_cmp_le_i32_e32 vcc_lo, s11, v57
	v_add_f32_e32 v75, v75, v4
	v_add_f32_e32 v76, v76, v5
	;; [unrolled: 1-line block ×4, first 2 shown]
	s_or_b32 s9, vcc_lo, s9
	v_add_f32_e32 v65, v65, v0
	s_andn2_b32 exec_lo, exec_lo, s9
	s_cbranch_execz .LBB183_53
.LBB183_29:                             ; =>This Inner Loop Header: Depth=1
	global_load_dword v0, v[58:59], off
	v_cmp_eq_u32_e64 s0, s5, v57
	v_add_nc_u32_e32 v85, 1, v80
	v_or_b32_e32 v83, 3, v80
	v_or_b32_e32 v84, 2, v80
	;; [unrolled: 1-line block ×5, first 2 shown]
	s_waitcnt vmcnt(0)
	v_mad_i64_i32 v[0:1], null, v0, s6, 0
	v_lshlrev_b64 v[0:1], 1, v[0:1]
	v_add_co_u32 v17, vcc_lo, v78, v0
	v_add_co_ci_u32_e64 v18, null, v79, v1, vcc_lo
	v_or_b32_e32 v0, 6, v80
	global_load_dwordx4 v[1:4], v[17:18], off
	ds_read2_b64 v[41:44], v81 offset1:1
	ds_read2_b64 v[33:36], v81 offset0:2 offset1:3
	s_and_saveexec_b32 s13, s0
	s_cbranch_execnz .LBB183_43
; %bb.30:                               ;   in Loop: Header=BB183_29 Depth=1
	s_or_b32 exec_lo, exec_lo, s13
	global_load_dwordx4 v[5:8], v[17:18], off offset:512
	s_and_saveexec_b32 s13, s0
	s_cbranch_execnz .LBB183_44
.LBB183_31:                             ;   in Loop: Header=BB183_29 Depth=1
	s_or_b32 exec_lo, exec_lo, s13
	global_load_dwordx4 v[9:12], v[17:18], off offset:1024
	s_and_saveexec_b32 s13, s0
	s_cbranch_execnz .LBB183_45
.LBB183_32:                             ;   in Loop: Header=BB183_29 Depth=1
	s_or_b32 exec_lo, exec_lo, s13
	global_load_dwordx4 v[13:16], v[17:18], off offset:1536
	s_and_saveexec_b32 s13, s0
	s_cbranch_execz .LBB183_34
.LBB183_33:                             ;   in Loop: Header=BB183_29 Depth=1
	v_cmp_gt_i32_e64 s1, s25, v80
	v_cmp_gt_i32_e32 vcc_lo, s12, v85
	v_cmp_gt_i32_e64 s2, s25, v84
	s_waitcnt vmcnt(0)
	v_cndmask_b32_e64 v19, 0, v13, s1
	v_cmp_gt_i32_e64 s1, s12, v83
	v_cndmask_b32_sdwa v13, v77, v13, vcc_lo dst_sel:DWORD dst_unused:UNUSED_PAD src0_sel:DWORD src1_sel:WORD_1
	v_cndmask_b32_e64 v20, 0, v14, s2
	v_cmp_gt_i32_e64 s2, s12, v82
	s_mov_b32 vcc_lo, s1
	v_cmp_gt_i32_e64 s1, s12, v60
	v_cndmask_b32_sdwa v14, v77, v14, vcc_lo dst_sel:DWORD dst_unused:UNUSED_PAD src0_sel:DWORD src1_sel:WORD_1
	v_cmp_gt_i32_e32 vcc_lo, s25, v61
	v_perm_b32 v13, v13, v19, 0x5040100
	v_perm_b32 v14, v14, v20, 0x5040100
	v_cndmask_b32_e32 v21, 0, v15, vcc_lo
	s_mov_b32 vcc_lo, s2
	v_cndmask_b32_sdwa v15, v77, v15, vcc_lo dst_sel:DWORD dst_unused:UNUSED_PAD src0_sel:DWORD src1_sel:WORD_1
	v_cmp_gt_i32_e32 vcc_lo, s25, v0
	v_perm_b32 v15, v15, v21, 0x5040100
	v_cndmask_b32_e32 v22, 0, v16, vcc_lo
	s_mov_b32 vcc_lo, s1
	v_cndmask_b32_sdwa v16, v77, v16, vcc_lo dst_sel:DWORD dst_unused:UNUSED_PAD src0_sel:DWORD src1_sel:WORD_1
	v_perm_b32 v16, v16, v22, 0x5040100
.LBB183_34:                             ;   in Loop: Header=BB183_29 Depth=1
	s_or_b32 exec_lo, exec_lo, s13
	v_add_co_u32 v19, vcc_lo, 0x800, v17
	v_add_co_ci_u32_e64 v20, null, 0, v18, vcc_lo
	global_load_dwordx4 v[21:24], v[19:20], off
	s_and_saveexec_b32 s13, s0
	s_cbranch_execnz .LBB183_46
; %bb.35:                               ;   in Loop: Header=BB183_29 Depth=1
	s_or_b32 exec_lo, exec_lo, s13
	global_load_dwordx4 v[25:28], v[19:20], off offset:512
	s_and_saveexec_b32 s13, s0
	s_cbranch_execnz .LBB183_47
.LBB183_36:                             ;   in Loop: Header=BB183_29 Depth=1
	s_or_b32 exec_lo, exec_lo, s13
	global_load_dwordx4 v[29:32], v[19:20], off offset:1024
	s_and_saveexec_b32 s13, s0
	s_cbranch_execnz .LBB183_48
.LBB183_37:                             ;   in Loop: Header=BB183_29 Depth=1
	s_or_b32 exec_lo, exec_lo, s13
	global_load_dwordx4 v[37:40], v[19:20], off offset:1536
	s_and_saveexec_b32 s13, s0
	s_cbranch_execz .LBB183_39
.LBB183_38:                             ;   in Loop: Header=BB183_29 Depth=1
	v_cmp_gt_i32_e64 s1, s25, v80
	v_cmp_gt_i32_e32 vcc_lo, s12, v85
	v_cmp_gt_i32_e64 s2, s25, v84
	s_waitcnt vmcnt(0)
	v_cndmask_b32_e64 v19, 0, v37, s1
	v_cmp_gt_i32_e64 s1, s12, v83
	v_cndmask_b32_sdwa v37, v77, v37, vcc_lo dst_sel:DWORD dst_unused:UNUSED_PAD src0_sel:DWORD src1_sel:WORD_1
	v_cndmask_b32_e64 v20, 0, v38, s2
	v_cmp_gt_i32_e64 s2, s12, v82
	s_mov_b32 vcc_lo, s1
	v_cmp_gt_i32_e64 s1, s12, v60
	v_cndmask_b32_sdwa v38, v77, v38, vcc_lo dst_sel:DWORD dst_unused:UNUSED_PAD src0_sel:DWORD src1_sel:WORD_1
	v_cmp_gt_i32_e32 vcc_lo, s25, v61
	v_perm_b32 v37, v37, v19, 0x5040100
	v_perm_b32 v38, v38, v20, 0x5040100
	v_cndmask_b32_e32 v45, 0, v39, vcc_lo
	s_mov_b32 vcc_lo, s2
	v_cndmask_b32_sdwa v39, v77, v39, vcc_lo dst_sel:DWORD dst_unused:UNUSED_PAD src0_sel:DWORD src1_sel:WORD_1
	v_cmp_gt_i32_e32 vcc_lo, s25, v0
	v_perm_b32 v39, v39, v45, 0x5040100
	v_cndmask_b32_e32 v46, 0, v40, vcc_lo
	s_mov_b32 vcc_lo, s1
	v_cndmask_b32_sdwa v40, v77, v40, vcc_lo dst_sel:DWORD dst_unused:UNUSED_PAD src0_sel:DWORD src1_sel:WORD_1
	v_perm_b32 v40, v40, v46, 0x5040100
.LBB183_39:                             ;   in Loop: Header=BB183_29 Depth=1
	s_or_b32 exec_lo, exec_lo, s13
	v_add_co_u32 v17, vcc_lo, 0x1000, v17
	v_add_co_ci_u32_e64 v18, null, 0, v18, vcc_lo
	global_load_dwordx4 v[45:48], v[17:18], off
	s_and_saveexec_b32 s13, s0
	s_cbranch_execnz .LBB183_49
; %bb.40:                               ;   in Loop: Header=BB183_29 Depth=1
	s_or_b32 exec_lo, exec_lo, s13
	global_load_dwordx4 v[49:52], v[17:18], off offset:512
	s_and_saveexec_b32 s13, s0
	s_cbranch_execnz .LBB183_50
.LBB183_41:                             ;   in Loop: Header=BB183_29 Depth=1
	s_or_b32 exec_lo, exec_lo, s13
	global_load_dwordx4 v[53:56], v[17:18], off offset:1024
	s_and_saveexec_b32 s13, s0
	s_cbranch_execnz .LBB183_51
.LBB183_42:                             ;   in Loop: Header=BB183_29 Depth=1
	s_or_b32 exec_lo, exec_lo, s13
	global_load_dwordx4 v[17:20], v[17:18], off offset:1536
	s_and_saveexec_b32 s2, s0
	s_cbranch_execz .LBB183_28
	s_branch .LBB183_52
.LBB183_43:                             ;   in Loop: Header=BB183_29 Depth=1
	v_cmp_gt_i32_e64 s1, s25, v80
	v_cmp_gt_i32_e32 vcc_lo, s12, v85
	v_cmp_gt_i32_e64 s2, s25, v84
	s_waitcnt vmcnt(0)
	v_cndmask_b32_e64 v5, 0, v1, s1
	v_cmp_gt_i32_e64 s1, s12, v83
	v_cndmask_b32_sdwa v1, v77, v1, vcc_lo dst_sel:DWORD dst_unused:UNUSED_PAD src0_sel:DWORD src1_sel:WORD_1
	v_cndmask_b32_e64 v6, 0, v2, s2
	v_cmp_gt_i32_e64 s2, s12, v82
	s_mov_b32 vcc_lo, s1
	v_cmp_gt_i32_e64 s1, s12, v60
	v_cndmask_b32_sdwa v2, v77, v2, vcc_lo dst_sel:DWORD dst_unused:UNUSED_PAD src0_sel:DWORD src1_sel:WORD_1
	v_cmp_gt_i32_e32 vcc_lo, s25, v61
	v_perm_b32 v1, v1, v5, 0x5040100
	v_perm_b32 v2, v2, v6, 0x5040100
	v_cndmask_b32_e32 v7, 0, v3, vcc_lo
	s_mov_b32 vcc_lo, s2
	v_cndmask_b32_sdwa v3, v77, v3, vcc_lo dst_sel:DWORD dst_unused:UNUSED_PAD src0_sel:DWORD src1_sel:WORD_1
	v_cmp_gt_i32_e32 vcc_lo, s25, v0
	v_perm_b32 v3, v3, v7, 0x5040100
	v_cndmask_b32_e32 v8, 0, v4, vcc_lo
	s_mov_b32 vcc_lo, s1
	v_cndmask_b32_sdwa v4, v77, v4, vcc_lo dst_sel:DWORD dst_unused:UNUSED_PAD src0_sel:DWORD src1_sel:WORD_1
	v_perm_b32 v4, v4, v8, 0x5040100
	s_or_b32 exec_lo, exec_lo, s13
	global_load_dwordx4 v[5:8], v[17:18], off offset:512
	s_and_saveexec_b32 s13, s0
	s_cbranch_execz .LBB183_31
.LBB183_44:                             ;   in Loop: Header=BB183_29 Depth=1
	v_cmp_gt_i32_e64 s1, s25, v80
	v_cmp_gt_i32_e32 vcc_lo, s12, v85
	v_cmp_gt_i32_e64 s2, s25, v84
	s_waitcnt vmcnt(0)
	v_cndmask_b32_e64 v9, 0, v5, s1
	v_cmp_gt_i32_e64 s1, s12, v83
	v_cndmask_b32_sdwa v5, v77, v5, vcc_lo dst_sel:DWORD dst_unused:UNUSED_PAD src0_sel:DWORD src1_sel:WORD_1
	v_cndmask_b32_e64 v10, 0, v6, s2
	v_cmp_gt_i32_e64 s2, s12, v82
	s_mov_b32 vcc_lo, s1
	v_cmp_gt_i32_e64 s1, s12, v60
	v_cndmask_b32_sdwa v6, v77, v6, vcc_lo dst_sel:DWORD dst_unused:UNUSED_PAD src0_sel:DWORD src1_sel:WORD_1
	v_cmp_gt_i32_e32 vcc_lo, s25, v61
	v_perm_b32 v5, v5, v9, 0x5040100
	v_perm_b32 v6, v6, v10, 0x5040100
	v_cndmask_b32_e32 v11, 0, v7, vcc_lo
	s_mov_b32 vcc_lo, s2
	v_cndmask_b32_sdwa v7, v77, v7, vcc_lo dst_sel:DWORD dst_unused:UNUSED_PAD src0_sel:DWORD src1_sel:WORD_1
	v_cmp_gt_i32_e32 vcc_lo, s25, v0
	v_perm_b32 v7, v7, v11, 0x5040100
	v_cndmask_b32_e32 v12, 0, v8, vcc_lo
	s_mov_b32 vcc_lo, s1
	v_cndmask_b32_sdwa v8, v77, v8, vcc_lo dst_sel:DWORD dst_unused:UNUSED_PAD src0_sel:DWORD src1_sel:WORD_1
	v_perm_b32 v8, v8, v12, 0x5040100
	s_or_b32 exec_lo, exec_lo, s13
	global_load_dwordx4 v[9:12], v[17:18], off offset:1024
	s_and_saveexec_b32 s13, s0
	s_cbranch_execz .LBB183_32
.LBB183_45:                             ;   in Loop: Header=BB183_29 Depth=1
	v_cmp_gt_i32_e64 s1, s25, v80
	v_cmp_gt_i32_e32 vcc_lo, s12, v85
	v_cmp_gt_i32_e64 s2, s25, v84
	s_waitcnt vmcnt(0)
	v_cndmask_b32_e64 v13, 0, v9, s1
	v_cmp_gt_i32_e64 s1, s12, v83
	v_cndmask_b32_sdwa v9, v77, v9, vcc_lo dst_sel:DWORD dst_unused:UNUSED_PAD src0_sel:DWORD src1_sel:WORD_1
	v_cndmask_b32_e64 v14, 0, v10, s2
	v_cmp_gt_i32_e64 s2, s12, v82
	s_mov_b32 vcc_lo, s1
	v_cmp_gt_i32_e64 s1, s12, v60
	v_cndmask_b32_sdwa v10, v77, v10, vcc_lo dst_sel:DWORD dst_unused:UNUSED_PAD src0_sel:DWORD src1_sel:WORD_1
	v_cmp_gt_i32_e32 vcc_lo, s25, v61
	v_perm_b32 v9, v9, v13, 0x5040100
	v_perm_b32 v10, v10, v14, 0x5040100
	v_cndmask_b32_e32 v15, 0, v11, vcc_lo
	s_mov_b32 vcc_lo, s2
	v_cndmask_b32_sdwa v11, v77, v11, vcc_lo dst_sel:DWORD dst_unused:UNUSED_PAD src0_sel:DWORD src1_sel:WORD_1
	v_cmp_gt_i32_e32 vcc_lo, s25, v0
	v_perm_b32 v11, v11, v15, 0x5040100
	v_cndmask_b32_e32 v16, 0, v12, vcc_lo
	s_mov_b32 vcc_lo, s1
	v_cndmask_b32_sdwa v12, v77, v12, vcc_lo dst_sel:DWORD dst_unused:UNUSED_PAD src0_sel:DWORD src1_sel:WORD_1
	v_perm_b32 v12, v12, v16, 0x5040100
	s_or_b32 exec_lo, exec_lo, s13
	global_load_dwordx4 v[13:16], v[17:18], off offset:1536
	s_and_saveexec_b32 s13, s0
	s_cbranch_execnz .LBB183_33
	s_branch .LBB183_34
.LBB183_46:                             ;   in Loop: Header=BB183_29 Depth=1
	v_cmp_gt_i32_e64 s1, s25, v80
	v_cmp_gt_i32_e32 vcc_lo, s12, v85
	v_cmp_gt_i32_e64 s2, s25, v84
	s_waitcnt vmcnt(0)
	v_cndmask_b32_e64 v25, 0, v21, s1
	v_cmp_gt_i32_e64 s1, s12, v83
	v_cndmask_b32_sdwa v21, v77, v21, vcc_lo dst_sel:DWORD dst_unused:UNUSED_PAD src0_sel:DWORD src1_sel:WORD_1
	v_cndmask_b32_e64 v26, 0, v22, s2
	v_cmp_gt_i32_e64 s2, s12, v82
	s_mov_b32 vcc_lo, s1
	v_cmp_gt_i32_e64 s1, s12, v60
	v_cndmask_b32_sdwa v22, v77, v22, vcc_lo dst_sel:DWORD dst_unused:UNUSED_PAD src0_sel:DWORD src1_sel:WORD_1
	v_cmp_gt_i32_e32 vcc_lo, s25, v61
	v_perm_b32 v21, v21, v25, 0x5040100
	v_perm_b32 v22, v22, v26, 0x5040100
	v_cndmask_b32_e32 v27, 0, v23, vcc_lo
	s_mov_b32 vcc_lo, s2
	v_cndmask_b32_sdwa v23, v77, v23, vcc_lo dst_sel:DWORD dst_unused:UNUSED_PAD src0_sel:DWORD src1_sel:WORD_1
	v_cmp_gt_i32_e32 vcc_lo, s25, v0
	v_perm_b32 v23, v23, v27, 0x5040100
	v_cndmask_b32_e32 v28, 0, v24, vcc_lo
	s_mov_b32 vcc_lo, s1
	v_cndmask_b32_sdwa v24, v77, v24, vcc_lo dst_sel:DWORD dst_unused:UNUSED_PAD src0_sel:DWORD src1_sel:WORD_1
	v_perm_b32 v24, v24, v28, 0x5040100
	s_or_b32 exec_lo, exec_lo, s13
	global_load_dwordx4 v[25:28], v[19:20], off offset:512
	s_and_saveexec_b32 s13, s0
	s_cbranch_execz .LBB183_36
.LBB183_47:                             ;   in Loop: Header=BB183_29 Depth=1
	v_cmp_gt_i32_e64 s1, s25, v80
	v_cmp_gt_i32_e32 vcc_lo, s12, v85
	v_cmp_gt_i32_e64 s2, s25, v84
	s_waitcnt vmcnt(0)
	v_cndmask_b32_e64 v29, 0, v25, s1
	v_cmp_gt_i32_e64 s1, s12, v83
	v_cndmask_b32_sdwa v25, v77, v25, vcc_lo dst_sel:DWORD dst_unused:UNUSED_PAD src0_sel:DWORD src1_sel:WORD_1
	v_cndmask_b32_e64 v30, 0, v26, s2
	v_cmp_gt_i32_e64 s2, s12, v82
	s_mov_b32 vcc_lo, s1
	v_cmp_gt_i32_e64 s1, s12, v60
	v_cndmask_b32_sdwa v26, v77, v26, vcc_lo dst_sel:DWORD dst_unused:UNUSED_PAD src0_sel:DWORD src1_sel:WORD_1
	v_cmp_gt_i32_e32 vcc_lo, s25, v61
	v_perm_b32 v25, v25, v29, 0x5040100
	v_perm_b32 v26, v26, v30, 0x5040100
	v_cndmask_b32_e32 v31, 0, v27, vcc_lo
	s_mov_b32 vcc_lo, s2
	v_cndmask_b32_sdwa v27, v77, v27, vcc_lo dst_sel:DWORD dst_unused:UNUSED_PAD src0_sel:DWORD src1_sel:WORD_1
	v_cmp_gt_i32_e32 vcc_lo, s25, v0
	v_perm_b32 v27, v27, v31, 0x5040100
	v_cndmask_b32_e32 v32, 0, v28, vcc_lo
	s_mov_b32 vcc_lo, s1
	v_cndmask_b32_sdwa v28, v77, v28, vcc_lo dst_sel:DWORD dst_unused:UNUSED_PAD src0_sel:DWORD src1_sel:WORD_1
	v_perm_b32 v28, v28, v32, 0x5040100
	s_or_b32 exec_lo, exec_lo, s13
	global_load_dwordx4 v[29:32], v[19:20], off offset:1024
	s_and_saveexec_b32 s13, s0
	s_cbranch_execz .LBB183_37
.LBB183_48:                             ;   in Loop: Header=BB183_29 Depth=1
	v_cmp_gt_i32_e64 s1, s25, v80
	v_cmp_gt_i32_e32 vcc_lo, s12, v85
	v_cmp_gt_i32_e64 s2, s25, v84
	s_waitcnt vmcnt(0)
	v_cndmask_b32_e64 v37, 0, v29, s1
	v_cmp_gt_i32_e64 s1, s12, v83
	v_cndmask_b32_sdwa v29, v77, v29, vcc_lo dst_sel:DWORD dst_unused:UNUSED_PAD src0_sel:DWORD src1_sel:WORD_1
	v_cndmask_b32_e64 v38, 0, v30, s2
	v_cmp_gt_i32_e64 s2, s12, v82
	s_mov_b32 vcc_lo, s1
	v_cmp_gt_i32_e64 s1, s12, v60
	v_cndmask_b32_sdwa v30, v77, v30, vcc_lo dst_sel:DWORD dst_unused:UNUSED_PAD src0_sel:DWORD src1_sel:WORD_1
	v_cmp_gt_i32_e32 vcc_lo, s25, v61
	v_perm_b32 v29, v29, v37, 0x5040100
	v_perm_b32 v30, v30, v38, 0x5040100
	v_cndmask_b32_e32 v39, 0, v31, vcc_lo
	s_mov_b32 vcc_lo, s2
	v_cndmask_b32_sdwa v31, v77, v31, vcc_lo dst_sel:DWORD dst_unused:UNUSED_PAD src0_sel:DWORD src1_sel:WORD_1
	v_cmp_gt_i32_e32 vcc_lo, s25, v0
	v_perm_b32 v31, v31, v39, 0x5040100
	v_cndmask_b32_e32 v40, 0, v32, vcc_lo
	s_mov_b32 vcc_lo, s1
	v_cndmask_b32_sdwa v32, v77, v32, vcc_lo dst_sel:DWORD dst_unused:UNUSED_PAD src0_sel:DWORD src1_sel:WORD_1
	v_perm_b32 v32, v32, v40, 0x5040100
	s_or_b32 exec_lo, exec_lo, s13
	global_load_dwordx4 v[37:40], v[19:20], off offset:1536
	s_and_saveexec_b32 s13, s0
	s_cbranch_execnz .LBB183_38
	s_branch .LBB183_39
.LBB183_49:                             ;   in Loop: Header=BB183_29 Depth=1
	v_cmp_gt_i32_e64 s1, s25, v80
	v_cmp_gt_i32_e32 vcc_lo, s12, v85
	v_cmp_gt_i32_e64 s2, s25, v84
	s_waitcnt vmcnt(0)
	v_cndmask_b32_e64 v19, 0, v45, s1
	v_cmp_gt_i32_e64 s1, s12, v83
	v_cndmask_b32_sdwa v45, v77, v45, vcc_lo dst_sel:DWORD dst_unused:UNUSED_PAD src0_sel:DWORD src1_sel:WORD_1
	v_cndmask_b32_e64 v20, 0, v46, s2
	v_cmp_gt_i32_e64 s2, s12, v82
	s_mov_b32 vcc_lo, s1
	v_cmp_gt_i32_e64 s1, s12, v60
	v_cndmask_b32_sdwa v46, v77, v46, vcc_lo dst_sel:DWORD dst_unused:UNUSED_PAD src0_sel:DWORD src1_sel:WORD_1
	v_cmp_gt_i32_e32 vcc_lo, s25, v61
	v_perm_b32 v45, v45, v19, 0x5040100
	v_perm_b32 v46, v46, v20, 0x5040100
	v_cndmask_b32_e32 v49, 0, v47, vcc_lo
	s_mov_b32 vcc_lo, s2
	v_cndmask_b32_sdwa v47, v77, v47, vcc_lo dst_sel:DWORD dst_unused:UNUSED_PAD src0_sel:DWORD src1_sel:WORD_1
	v_cmp_gt_i32_e32 vcc_lo, s25, v0
	v_perm_b32 v47, v47, v49, 0x5040100
	v_cndmask_b32_e32 v50, 0, v48, vcc_lo
	s_mov_b32 vcc_lo, s1
	v_cndmask_b32_sdwa v48, v77, v48, vcc_lo dst_sel:DWORD dst_unused:UNUSED_PAD src0_sel:DWORD src1_sel:WORD_1
	v_perm_b32 v48, v48, v50, 0x5040100
	s_or_b32 exec_lo, exec_lo, s13
	global_load_dwordx4 v[49:52], v[17:18], off offset:512
	s_and_saveexec_b32 s13, s0
	s_cbranch_execz .LBB183_41
.LBB183_50:                             ;   in Loop: Header=BB183_29 Depth=1
	v_cmp_gt_i32_e64 s1, s25, v80
	v_cmp_gt_i32_e32 vcc_lo, s12, v85
	v_cmp_gt_i32_e64 s2, s25, v84
	s_waitcnt vmcnt(0)
	v_cndmask_b32_e64 v19, 0, v49, s1
	v_cmp_gt_i32_e64 s1, s12, v83
	v_cndmask_b32_sdwa v49, v77, v49, vcc_lo dst_sel:DWORD dst_unused:UNUSED_PAD src0_sel:DWORD src1_sel:WORD_1
	v_cndmask_b32_e64 v20, 0, v50, s2
	v_cmp_gt_i32_e64 s2, s12, v82
	s_mov_b32 vcc_lo, s1
	v_cmp_gt_i32_e64 s1, s12, v60
	v_cndmask_b32_sdwa v50, v77, v50, vcc_lo dst_sel:DWORD dst_unused:UNUSED_PAD src0_sel:DWORD src1_sel:WORD_1
	v_cmp_gt_i32_e32 vcc_lo, s25, v61
	v_perm_b32 v49, v49, v19, 0x5040100
	v_perm_b32 v50, v50, v20, 0x5040100
	v_cndmask_b32_e32 v53, 0, v51, vcc_lo
	s_mov_b32 vcc_lo, s2
	v_cndmask_b32_sdwa v51, v77, v51, vcc_lo dst_sel:DWORD dst_unused:UNUSED_PAD src0_sel:DWORD src1_sel:WORD_1
	v_cmp_gt_i32_e32 vcc_lo, s25, v0
	v_perm_b32 v51, v51, v53, 0x5040100
	v_cndmask_b32_e32 v54, 0, v52, vcc_lo
	s_mov_b32 vcc_lo, s1
	v_cndmask_b32_sdwa v52, v77, v52, vcc_lo dst_sel:DWORD dst_unused:UNUSED_PAD src0_sel:DWORD src1_sel:WORD_1
	v_perm_b32 v52, v52, v54, 0x5040100
	s_or_b32 exec_lo, exec_lo, s13
	global_load_dwordx4 v[53:56], v[17:18], off offset:1024
	s_and_saveexec_b32 s13, s0
	s_cbranch_execz .LBB183_42
.LBB183_51:                             ;   in Loop: Header=BB183_29 Depth=1
	v_cmp_gt_i32_e64 s1, s25, v80
	v_cmp_gt_i32_e32 vcc_lo, s12, v85
	v_cmp_gt_i32_e64 s2, s25, v84
	s_waitcnt vmcnt(0)
	v_cndmask_b32_e64 v19, 0, v53, s1
	v_cmp_gt_i32_e64 s1, s12, v83
	v_cndmask_b32_sdwa v53, v77, v53, vcc_lo dst_sel:DWORD dst_unused:UNUSED_PAD src0_sel:DWORD src1_sel:WORD_1
	v_cndmask_b32_e64 v20, 0, v54, s2
	v_cmp_gt_i32_e64 s2, s12, v82
	s_mov_b32 vcc_lo, s1
	v_cmp_gt_i32_e64 s1, s12, v60
	v_cndmask_b32_sdwa v54, v77, v54, vcc_lo dst_sel:DWORD dst_unused:UNUSED_PAD src0_sel:DWORD src1_sel:WORD_1
	v_cmp_gt_i32_e32 vcc_lo, s25, v61
	v_perm_b32 v53, v53, v19, 0x5040100
	v_perm_b32 v54, v54, v20, 0x5040100
	v_cndmask_b32_e32 v86, 0, v55, vcc_lo
	s_mov_b32 vcc_lo, s2
	v_cndmask_b32_sdwa v55, v77, v55, vcc_lo dst_sel:DWORD dst_unused:UNUSED_PAD src0_sel:DWORD src1_sel:WORD_1
	v_cmp_gt_i32_e32 vcc_lo, s25, v0
	v_perm_b32 v55, v55, v86, 0x5040100
	v_cndmask_b32_e32 v87, 0, v56, vcc_lo
	s_mov_b32 vcc_lo, s1
	v_cndmask_b32_sdwa v56, v77, v56, vcc_lo dst_sel:DWORD dst_unused:UNUSED_PAD src0_sel:DWORD src1_sel:WORD_1
	v_perm_b32 v56, v56, v87, 0x5040100
	s_or_b32 exec_lo, exec_lo, s13
	global_load_dwordx4 v[17:20], v[17:18], off offset:1536
	s_and_saveexec_b32 s2, s0
	s_cbranch_execz .LBB183_28
.LBB183_52:                             ;   in Loop: Header=BB183_29 Depth=1
	v_cmp_gt_i32_e64 s0, s25, v80
	v_cmp_gt_i32_e32 vcc_lo, s12, v85
	v_cmp_gt_i32_e64 s1, s25, v84
	s_waitcnt vmcnt(0)
	v_cndmask_b32_e64 v85, 0, v17, s0
	v_cmp_gt_i32_e64 s0, s12, v83
	v_cndmask_b32_sdwa v17, v77, v17, vcc_lo dst_sel:DWORD dst_unused:UNUSED_PAD src0_sel:DWORD src1_sel:WORD_1
	v_cndmask_b32_e64 v83, 0, v18, s1
	v_cmp_gt_i32_e64 s1, s12, v82
	s_mov_b32 vcc_lo, s0
	v_cmp_gt_i32_e64 s0, s12, v60
	v_cndmask_b32_sdwa v18, v77, v18, vcc_lo dst_sel:DWORD dst_unused:UNUSED_PAD src0_sel:DWORD src1_sel:WORD_1
	v_cmp_gt_i32_e32 vcc_lo, s25, v61
	v_perm_b32 v17, v17, v85, 0x5040100
	v_perm_b32 v18, v18, v83, 0x5040100
	v_cndmask_b32_e32 v61, 0, v19, vcc_lo
	s_mov_b32 vcc_lo, s1
	v_cndmask_b32_sdwa v19, v77, v19, vcc_lo dst_sel:DWORD dst_unused:UNUSED_PAD src0_sel:DWORD src1_sel:WORD_1
	v_cmp_gt_i32_e32 vcc_lo, s25, v0
	v_perm_b32 v19, v19, v61, 0x5040100
	v_cndmask_b32_e32 v0, 0, v20, vcc_lo
	s_mov_b32 vcc_lo, s0
	v_cndmask_b32_sdwa v20, v77, v20, vcc_lo dst_sel:DWORD dst_unused:UNUSED_PAD src0_sel:DWORD src1_sel:WORD_1
	v_perm_b32 v20, v20, v0, 0x5040100
	s_branch .LBB183_28
.LBB183_53:
	s_or_b32 exec_lo, exec_lo, s9
	v_mov_b32_e32 v27, v89
	v_mov_b32_e32 v28, v90
.LBB183_54:
	s_or_b32 exec_lo, exec_lo, s3
	ds_bpermute_b32 v1, v63, v76
	ds_bpermute_b32 v4, v63, v72
	;; [unrolled: 1-line block ×12, first 2 shown]
	s_mov_b32 s0, exec_lo
	s_waitcnt lgkmcnt(0)
	s_waitcnt_vscnt null, 0x0
	s_barrier
	buffer_gl0_inv
	v_add_f32_e32 v1, v76, v1
	v_add_f32_e32 v4, v72, v4
	v_add_f32_e32 v13, v69, v7
	v_add_f32_e32 v0, v74, v0
	v_add_f32_e32 v2, v75, v2
	v_add_f32_e32 v3, v73, v3
	v_add_f32_e32 v5, v71, v5
	v_add_f32_e32 v12, v70, v6
	v_add_f32_e32 v14, v68, v8
	v_add_f32_e32 v15, v67, v9
	v_add_f32_e32 v16, v66, v10
	v_add_f32_e32 v17, v65, v11
	ds_bpermute_b32 v7, v62, v1
	ds_bpermute_b32 v19, v62, v4
	;; [unrolled: 1-line block ×12, first 2 shown]
	s_waitcnt lgkmcnt(11)
	v_add_f32_e32 v10, v1, v7
	s_waitcnt lgkmcnt(10)
	v_add_f32_e32 v7, v4, v19
	;; [unrolled: 2-line block ×3, first 2 shown]
	v_and_b32_e32 v13, 28, v28
	s_waitcnt lgkmcnt(8)
	v_add_f32_e32 v11, v0, v6
	s_waitcnt lgkmcnt(7)
	v_add_f32_e32 v9, v2, v8
	;; [unrolled: 2-line block ×8, first 2 shown]
	v_and_b32_e32 v15, 0x3c3, v88
	s_waitcnt lgkmcnt(0)
	v_add_f32_e32 v2, v17, v26
	v_lshrrev_b32_e32 v12, 2, v28
	v_add_nc_u32_e32 v13, 0xe0, v13
	v_mul_u32_u24_e32 v14, 0x180, v27
	v_cmpx_eq_u32_e32 64, v15
	s_cbranch_execz .LBB183_56
; %bb.55:
	v_add_nc_u32_e32 v15, v13, v14
	v_add_nc_u32_e32 v16, 0xfffffd00, v15
	;; [unrolled: 1-line block ×8, first 2 shown]
	ds_write_b32 v16, v11
	ds_write_b32 v17, v10
	;; [unrolled: 1-line block ×7, first 2 shown]
	v_add_nc_u32_e32 v16, 0xfffffde0, v15
	v_add_nc_u32_e32 v17, 0xfffffe00, v15
	v_add_nc_u32_e32 v18, 0xfffffe20, v15
	v_add_nc_u32_e32 v19, 0xfffffe40, v15
	v_add_nc_u32_e32 v15, 0xfffffe60, v15
	ds_write_b32 v16, v4
	ds_write_b32 v17, v3
	ds_write_b32 v18, v0
	ds_write_b32 v19, v1
	ds_write_b32 v15, v2
.LBB183_56:
	s_or_b32 exec_lo, exec_lo, s0
	v_lshlrev_b32_e32 v12, 2, v12
	s_mov_b32 s1, exec_lo
	v_cmp_eq_u32_e32 vcc_lo, 0, v64
	s_waitcnt lgkmcnt(0)
	s_barrier
	v_add3_u32 v12, 0xe0, v14, v12
	buffer_gl0_inv
	v_cmpx_gt_u32_e32 64, v88
	s_cbranch_execz .LBB183_71
; %bb.57:
	s_and_saveexec_b32 s0, vcc_lo
	s_cbranch_execnz .LBB183_91
; %bb.58:
	s_or_b32 exec_lo, exec_lo, s0
	s_and_saveexec_b32 s0, vcc_lo
	s_cbranch_execnz .LBB183_92
.LBB183_59:
	s_or_b32 exec_lo, exec_lo, s0
	s_and_saveexec_b32 s0, vcc_lo
	s_cbranch_execnz .LBB183_93
.LBB183_60:
	s_or_b32 exec_lo, exec_lo, s0
	s_and_saveexec_b32 s0, vcc_lo
	s_cbranch_execnz .LBB183_94
.LBB183_61:
	s_or_b32 exec_lo, exec_lo, s0
	s_and_saveexec_b32 s0, vcc_lo
	s_cbranch_execnz .LBB183_95
.LBB183_62:
	s_or_b32 exec_lo, exec_lo, s0
	s_and_saveexec_b32 s0, vcc_lo
	s_cbranch_execnz .LBB183_96
.LBB183_63:
	s_or_b32 exec_lo, exec_lo, s0
	s_and_saveexec_b32 s0, vcc_lo
	s_cbranch_execnz .LBB183_97
.LBB183_64:
	s_or_b32 exec_lo, exec_lo, s0
	s_and_saveexec_b32 s0, vcc_lo
	s_cbranch_execnz .LBB183_98
.LBB183_65:
	s_or_b32 exec_lo, exec_lo, s0
	s_and_saveexec_b32 s0, vcc_lo
	s_cbranch_execnz .LBB183_99
.LBB183_66:
	s_or_b32 exec_lo, exec_lo, s0
	s_and_saveexec_b32 s0, vcc_lo
	s_cbranch_execnz .LBB183_100
.LBB183_67:
	s_or_b32 exec_lo, exec_lo, s0
	s_and_saveexec_b32 s0, vcc_lo
	s_cbranch_execnz .LBB183_101
.LBB183_68:
	s_or_b32 exec_lo, exec_lo, s0
	s_and_saveexec_b32 s0, vcc_lo
	s_cbranch_execz .LBB183_70
.LBB183_69:
	ds_read_b32 v14, v12 offset:352
	s_waitcnt lgkmcnt(0)
	v_add_f32_e32 v2, v2, v14
.LBB183_70:
	s_or_b32 exec_lo, exec_lo, s0
.LBB183_71:
	s_or_b32 exec_lo, exec_lo, s1
	v_and_b32_e32 v14, 0x3e3, v88
	s_mov_b32 s1, exec_lo
	s_barrier
	buffer_gl0_inv
	v_cmpx_eq_u32_e32 32, v14
	s_cbranch_execz .LBB183_73
; %bb.72:
	ds_write2_b32 v13, v11, v10 offset1:8
	ds_write2_b32 v13, v9, v8 offset0:16 offset1:24
	ds_write2_b32 v13, v7, v6 offset0:32 offset1:40
	;; [unrolled: 1-line block ×5, first 2 shown]
.LBB183_73:
	s_or_b32 exec_lo, exec_lo, s1
	s_mov_b32 s1, exec_lo
	s_waitcnt lgkmcnt(0)
	s_barrier
	buffer_gl0_inv
	v_cmpx_gt_u32_e32 32, v88
	s_cbranch_execz .LBB183_88
; %bb.74:
	s_and_saveexec_b32 s0, vcc_lo
	s_cbranch_execnz .LBB183_102
; %bb.75:
	s_or_b32 exec_lo, exec_lo, s0
	s_and_saveexec_b32 s0, vcc_lo
	s_cbranch_execnz .LBB183_103
.LBB183_76:
	s_or_b32 exec_lo, exec_lo, s0
	s_and_saveexec_b32 s0, vcc_lo
	s_cbranch_execnz .LBB183_104
.LBB183_77:
	s_or_b32 exec_lo, exec_lo, s0
	s_and_saveexec_b32 s0, vcc_lo
	s_cbranch_execnz .LBB183_105
.LBB183_78:
	s_or_b32 exec_lo, exec_lo, s0
	s_and_saveexec_b32 s0, vcc_lo
	s_cbranch_execnz .LBB183_106
.LBB183_79:
	s_or_b32 exec_lo, exec_lo, s0
	s_and_saveexec_b32 s0, vcc_lo
	s_cbranch_execnz .LBB183_107
.LBB183_80:
	s_or_b32 exec_lo, exec_lo, s0
	s_and_saveexec_b32 s0, vcc_lo
	s_cbranch_execnz .LBB183_108
.LBB183_81:
	s_or_b32 exec_lo, exec_lo, s0
	s_and_saveexec_b32 s0, vcc_lo
	s_cbranch_execnz .LBB183_109
.LBB183_82:
	s_or_b32 exec_lo, exec_lo, s0
	s_and_saveexec_b32 s0, vcc_lo
	s_cbranch_execnz .LBB183_110
.LBB183_83:
	s_or_b32 exec_lo, exec_lo, s0
	s_and_saveexec_b32 s0, vcc_lo
	s_cbranch_execnz .LBB183_111
.LBB183_84:
	s_or_b32 exec_lo, exec_lo, s0
	s_and_saveexec_b32 s0, vcc_lo
	s_cbranch_execnz .LBB183_112
.LBB183_85:
	s_or_b32 exec_lo, exec_lo, s0
	s_and_saveexec_b32 s0, vcc_lo
	s_cbranch_execz .LBB183_87
.LBB183_86:
	ds_read_b32 v12, v12 offset:352
	s_waitcnt lgkmcnt(0)
	v_add_f32_e32 v2, v2, v12
.LBB183_87:
	s_or_b32 exec_lo, exec_lo, s0
.LBB183_88:
	s_or_b32 exec_lo, exec_lo, s1
	s_barrier
	buffer_gl0_inv
	s_mov_b32 s0, exec_lo
	v_cmpx_eq_u32_e32 0, v14
	s_cbranch_execz .LBB183_90
; %bb.89:
	s_mul_i32 s0, s4, 0x60
	v_bfe_u32 v12, v11, 16, 1
	s_ashr_i32 s1, s0, 31
	s_mul_i32 s2, s7, s10
	s_lshl_b64 s[0:1], s[0:1], 1
	v_or_b32_e32 v13, 0x400000, v11
	s_add_u32 s4, s20, s0
	s_addc_u32 s1, s21, s1
	s_ashr_i32 s3, s2, 31
	v_add3_u32 v12, v12, v11, 0x7fff
	s_lshl_b64 s[2:3], s[2:3], 1
	v_bfe_u32 v15, v10, 16, 1
	v_cmp_u_f32_e32 vcc_lo, v11, v11
	s_mul_i32 s0, s8, 0x60
	s_add_u32 s2, s4, s2
	s_addc_u32 s3, s1, s3
	s_ashr_i32 s1, s0, 31
	v_lshrrev_b32_e32 v14, 1, v88
	s_lshl_b64 s[0:1], s[0:1], 1
	v_cndmask_b32_e32 v11, v12, v13, vcc_lo
	v_bfe_u32 v12, v9, 16, 1
	v_add3_u32 v13, v15, v10, 0x7fff
	v_or_b32_e32 v15, 0x400000, v10
	v_cmp_u_f32_e32 vcc_lo, v10, v10
	s_add_u32 s0, s2, s0
	s_addc_u32 s1, s3, s1
	global_store_short_d16_hi v14, v11, s[0:1]
	v_add3_u32 v11, v12, v9, 0x7fff
	v_or_b32_e32 v12, 0x400000, v9
	v_cndmask_b32_e32 v10, v13, v15, vcc_lo
	v_bfe_u32 v13, v8, 16, 1
	v_cmp_u_f32_e32 vcc_lo, v9, v9
	global_store_short_d16_hi v14, v10, s[0:1] offset:16
	v_add3_u32 v10, v13, v8, 0x7fff
	v_cndmask_b32_e32 v9, v11, v12, vcc_lo
	v_bfe_u32 v11, v7, 16, 1
	v_or_b32_e32 v12, 0x400000, v8
	v_cmp_u_f32_e32 vcc_lo, v8, v8
	global_store_short_d16_hi v14, v9, s[0:1] offset:32
	v_add3_u32 v9, v11, v7, 0x7fff
	v_or_b32_e32 v11, 0x400000, v7
	v_cndmask_b32_e32 v8, v10, v12, vcc_lo
	v_bfe_u32 v10, v6, 16, 1
	v_cmp_u_f32_e32 vcc_lo, v7, v7
	global_store_short_d16_hi v14, v8, s[0:1] offset:48
	v_add3_u32 v8, v10, v6, 0x7fff
	v_cndmask_b32_e32 v7, v9, v11, vcc_lo
	v_bfe_u32 v9, v5, 16, 1
	v_or_b32_e32 v10, 0x400000, v6
	v_cmp_u_f32_e32 vcc_lo, v6, v6
	global_store_short_d16_hi v14, v7, s[0:1] offset:64
	v_add3_u32 v7, v9, v5, 0x7fff
	v_or_b32_e32 v9, 0x400000, v5
	v_cndmask_b32_e32 v6, v8, v10, vcc_lo
	v_bfe_u32 v8, v4, 16, 1
	v_cmp_u_f32_e32 vcc_lo, v5, v5
	v_or_b32_e32 v10, 0x400000, v2
	global_store_short_d16_hi v14, v6, s[0:1] offset:80
	v_add3_u32 v6, v8, v4, 0x7fff
	v_cndmask_b32_e32 v5, v7, v9, vcc_lo
	v_bfe_u32 v7, v3, 16, 1
	v_or_b32_e32 v8, 0x400000, v4
	v_cmp_u_f32_e32 vcc_lo, v4, v4
	v_or_b32_e32 v9, 0x400000, v1
	global_store_short_d16_hi v14, v5, s[0:1] offset:96
	v_add3_u32 v5, v7, v3, 0x7fff
	v_or_b32_e32 v7, 0x400000, v3
	v_cndmask_b32_e32 v4, v6, v8, vcc_lo
	v_bfe_u32 v6, v0, 16, 1
	v_cmp_u_f32_e32 vcc_lo, v3, v3
	v_bfe_u32 v8, v1, 16, 1
	v_add3_u32 v6, v6, v0, 0x7fff
	v_cndmask_b32_e32 v3, v5, v7, vcc_lo
	v_or_b32_e32 v7, 0x400000, v0
	v_cmp_u_f32_e32 vcc_lo, v0, v0
	v_bfe_u32 v5, v2, 16, 1
	v_add3_u32 v8, v8, v1, 0x7fff
	v_cndmask_b32_e32 v0, v6, v7, vcc_lo
	v_cmp_u_f32_e32 vcc_lo, v1, v1
	v_add3_u32 v5, v5, v2, 0x7fff
	v_cndmask_b32_e32 v1, v8, v9, vcc_lo
	v_cmp_u_f32_e32 vcc_lo, v2, v2
	v_cndmask_b32_e32 v2, v5, v10, vcc_lo
	global_store_short_d16_hi v14, v4, s[0:1] offset:112
	global_store_short_d16_hi v14, v3, s[0:1] offset:128
	;; [unrolled: 1-line block ×5, first 2 shown]
.LBB183_90:
	s_endpgm
.LBB183_91:
	ds_read_b32 v14, v12
	s_waitcnt lgkmcnt(0)
	v_add_f32_e32 v11, v11, v14
	s_or_b32 exec_lo, exec_lo, s0
	s_and_saveexec_b32 s0, vcc_lo
	s_cbranch_execz .LBB183_59
.LBB183_92:
	ds_read_b32 v14, v12 offset:32
	s_waitcnt lgkmcnt(0)
	v_add_f32_e32 v10, v10, v14
	s_or_b32 exec_lo, exec_lo, s0
	s_and_saveexec_b32 s0, vcc_lo
	s_cbranch_execz .LBB183_60
.LBB183_93:
	ds_read_b32 v14, v12 offset:64
	s_waitcnt lgkmcnt(0)
	v_add_f32_e32 v9, v9, v14
	s_or_b32 exec_lo, exec_lo, s0
	s_and_saveexec_b32 s0, vcc_lo
	s_cbranch_execz .LBB183_61
.LBB183_94:
	ds_read_b32 v14, v12 offset:96
	s_waitcnt lgkmcnt(0)
	v_add_f32_e32 v8, v8, v14
	s_or_b32 exec_lo, exec_lo, s0
	s_and_saveexec_b32 s0, vcc_lo
	s_cbranch_execz .LBB183_62
.LBB183_95:
	ds_read_b32 v14, v12 offset:128
	s_waitcnt lgkmcnt(0)
	v_add_f32_e32 v7, v7, v14
	s_or_b32 exec_lo, exec_lo, s0
	s_and_saveexec_b32 s0, vcc_lo
	s_cbranch_execz .LBB183_63
.LBB183_96:
	ds_read_b32 v14, v12 offset:160
	s_waitcnt lgkmcnt(0)
	v_add_f32_e32 v6, v6, v14
	s_or_b32 exec_lo, exec_lo, s0
	s_and_saveexec_b32 s0, vcc_lo
	s_cbranch_execz .LBB183_64
.LBB183_97:
	ds_read_b32 v14, v12 offset:192
	s_waitcnt lgkmcnt(0)
	v_add_f32_e32 v5, v5, v14
	s_or_b32 exec_lo, exec_lo, s0
	s_and_saveexec_b32 s0, vcc_lo
	s_cbranch_execz .LBB183_65
.LBB183_98:
	ds_read_b32 v14, v12 offset:224
	s_waitcnt lgkmcnt(0)
	v_add_f32_e32 v4, v4, v14
	s_or_b32 exec_lo, exec_lo, s0
	s_and_saveexec_b32 s0, vcc_lo
	s_cbranch_execz .LBB183_66
.LBB183_99:
	ds_read_b32 v14, v12 offset:256
	s_waitcnt lgkmcnt(0)
	v_add_f32_e32 v3, v3, v14
	s_or_b32 exec_lo, exec_lo, s0
	s_and_saveexec_b32 s0, vcc_lo
	s_cbranch_execz .LBB183_67
.LBB183_100:
	ds_read_b32 v14, v12 offset:288
	s_waitcnt lgkmcnt(0)
	v_add_f32_e32 v0, v0, v14
	s_or_b32 exec_lo, exec_lo, s0
	s_and_saveexec_b32 s0, vcc_lo
	s_cbranch_execz .LBB183_68
.LBB183_101:
	ds_read_b32 v14, v12 offset:320
	s_waitcnt lgkmcnt(0)
	v_add_f32_e32 v1, v1, v14
	s_or_b32 exec_lo, exec_lo, s0
	s_and_saveexec_b32 s0, vcc_lo
	s_cbranch_execnz .LBB183_69
	s_branch .LBB183_70
.LBB183_102:
	ds_read_b32 v13, v12
	s_waitcnt lgkmcnt(0)
	v_add_f32_e32 v11, v11, v13
	s_or_b32 exec_lo, exec_lo, s0
	s_and_saveexec_b32 s0, vcc_lo
	s_cbranch_execz .LBB183_76
.LBB183_103:
	ds_read_b32 v13, v12 offset:32
	s_waitcnt lgkmcnt(0)
	v_add_f32_e32 v10, v10, v13
	s_or_b32 exec_lo, exec_lo, s0
	s_and_saveexec_b32 s0, vcc_lo
	s_cbranch_execz .LBB183_77
.LBB183_104:
	ds_read_b32 v13, v12 offset:64
	s_waitcnt lgkmcnt(0)
	v_add_f32_e32 v9, v9, v13
	s_or_b32 exec_lo, exec_lo, s0
	s_and_saveexec_b32 s0, vcc_lo
	s_cbranch_execz .LBB183_78
.LBB183_105:
	ds_read_b32 v13, v12 offset:96
	s_waitcnt lgkmcnt(0)
	v_add_f32_e32 v8, v8, v13
	s_or_b32 exec_lo, exec_lo, s0
	s_and_saveexec_b32 s0, vcc_lo
	s_cbranch_execz .LBB183_79
.LBB183_106:
	ds_read_b32 v13, v12 offset:128
	s_waitcnt lgkmcnt(0)
	v_add_f32_e32 v7, v7, v13
	s_or_b32 exec_lo, exec_lo, s0
	s_and_saveexec_b32 s0, vcc_lo
	s_cbranch_execz .LBB183_80
.LBB183_107:
	ds_read_b32 v13, v12 offset:160
	s_waitcnt lgkmcnt(0)
	v_add_f32_e32 v6, v6, v13
	s_or_b32 exec_lo, exec_lo, s0
	s_and_saveexec_b32 s0, vcc_lo
	s_cbranch_execz .LBB183_81
.LBB183_108:
	ds_read_b32 v13, v12 offset:192
	s_waitcnt lgkmcnt(0)
	v_add_f32_e32 v5, v5, v13
	s_or_b32 exec_lo, exec_lo, s0
	s_and_saveexec_b32 s0, vcc_lo
	s_cbranch_execz .LBB183_82
.LBB183_109:
	ds_read_b32 v13, v12 offset:224
	s_waitcnt lgkmcnt(0)
	v_add_f32_e32 v4, v4, v13
	s_or_b32 exec_lo, exec_lo, s0
	s_and_saveexec_b32 s0, vcc_lo
	s_cbranch_execz .LBB183_83
.LBB183_110:
	ds_read_b32 v13, v12 offset:256
	s_waitcnt lgkmcnt(0)
	v_add_f32_e32 v3, v3, v13
	s_or_b32 exec_lo, exec_lo, s0
	s_and_saveexec_b32 s0, vcc_lo
	s_cbranch_execz .LBB183_84
.LBB183_111:
	ds_read_b32 v13, v12 offset:288
	s_waitcnt lgkmcnt(0)
	v_add_f32_e32 v0, v0, v13
	s_or_b32 exec_lo, exec_lo, s0
	s_and_saveexec_b32 s0, vcc_lo
	s_cbranch_execz .LBB183_85
.LBB183_112:
	ds_read_b32 v13, v12 offset:320
	s_waitcnt lgkmcnt(0)
	v_add_f32_e32 v1, v1, v13
	s_or_b32 exec_lo, exec_lo, s0
	s_and_saveexec_b32 s0, vcc_lo
	s_cbranch_execnz .LBB183_86
	s_branch .LBB183_87
	.section	.rodata,"a",@progbits
	.p2align	6, 0x0
	.amdhsa_kernel _ZN4vllm25paged_attention_v2_kernelI14__hip_bfloat16S1_Li96ELi32ELi128ELNS_18Fp8KVCacheDataTypeE0ELb0ELi512EEEvPfS3_PT_PKS4_PKT0_SA_ifPKiSC_iPKfiiiSE_SE_iiiii
		.amdhsa_group_segment_fixed_size 224
		.amdhsa_private_segment_fixed_size 172
		.amdhsa_kernarg_size 400
		.amdhsa_user_sgpr_count 6
		.amdhsa_user_sgpr_private_segment_buffer 1
		.amdhsa_user_sgpr_dispatch_ptr 0
		.amdhsa_user_sgpr_queue_ptr 0
		.amdhsa_user_sgpr_kernarg_segment_ptr 1
		.amdhsa_user_sgpr_dispatch_id 0
		.amdhsa_user_sgpr_flat_scratch_init 0
		.amdhsa_user_sgpr_private_segment_size 0
		.amdhsa_wavefront_size32 1
		.amdhsa_uses_dynamic_stack 0
		.amdhsa_system_sgpr_private_segment_wavefront_offset 1
		.amdhsa_system_sgpr_workgroup_id_x 1
		.amdhsa_system_sgpr_workgroup_id_y 1
		.amdhsa_system_sgpr_workgroup_id_z 1
		.amdhsa_system_sgpr_workgroup_info 0
		.amdhsa_system_vgpr_workitem_id 0
		.amdhsa_next_free_vgpr 128
		.amdhsa_next_free_sgpr 44
		.amdhsa_reserve_vcc 1
		.amdhsa_reserve_flat_scratch 0
		.amdhsa_float_round_mode_32 0
		.amdhsa_float_round_mode_16_64 0
		.amdhsa_float_denorm_mode_32 3
		.amdhsa_float_denorm_mode_16_64 3
		.amdhsa_dx10_clamp 1
		.amdhsa_ieee_mode 1
		.amdhsa_fp16_overflow 0
		.amdhsa_workgroup_processor_mode 1
		.amdhsa_memory_ordered 1
		.amdhsa_forward_progress 1
		.amdhsa_shared_vgpr_count 0
		.amdhsa_exception_fp_ieee_invalid_op 0
		.amdhsa_exception_fp_denorm_src 0
		.amdhsa_exception_fp_ieee_div_zero 0
		.amdhsa_exception_fp_ieee_overflow 0
		.amdhsa_exception_fp_ieee_underflow 0
		.amdhsa_exception_fp_ieee_inexact 0
		.amdhsa_exception_int_div_zero 0
	.end_amdhsa_kernel
	.section	.text._ZN4vllm25paged_attention_v2_kernelI14__hip_bfloat16S1_Li96ELi32ELi128ELNS_18Fp8KVCacheDataTypeE0ELb0ELi512EEEvPfS3_PT_PKS4_PKT0_SA_ifPKiSC_iPKfiiiSE_SE_iiiii,"axG",@progbits,_ZN4vllm25paged_attention_v2_kernelI14__hip_bfloat16S1_Li96ELi32ELi128ELNS_18Fp8KVCacheDataTypeE0ELb0ELi512EEEvPfS3_PT_PKS4_PKT0_SA_ifPKiSC_iPKfiiiSE_SE_iiiii,comdat
.Lfunc_end183:
	.size	_ZN4vllm25paged_attention_v2_kernelI14__hip_bfloat16S1_Li96ELi32ELi128ELNS_18Fp8KVCacheDataTypeE0ELb0ELi512EEEvPfS3_PT_PKS4_PKT0_SA_ifPKiSC_iPKfiiiSE_SE_iiiii, .Lfunc_end183-_ZN4vllm25paged_attention_v2_kernelI14__hip_bfloat16S1_Li96ELi32ELi128ELNS_18Fp8KVCacheDataTypeE0ELb0ELi512EEEvPfS3_PT_PKS4_PKT0_SA_ifPKiSC_iPKfiiiSE_SE_iiiii
                                        ; -- End function
	.set _ZN4vllm25paged_attention_v2_kernelI14__hip_bfloat16S1_Li96ELi32ELi128ELNS_18Fp8KVCacheDataTypeE0ELb0ELi512EEEvPfS3_PT_PKS4_PKT0_SA_ifPKiSC_iPKfiiiSE_SE_iiiii.num_vgpr, 128
	.set _ZN4vllm25paged_attention_v2_kernelI14__hip_bfloat16S1_Li96ELi32ELi128ELNS_18Fp8KVCacheDataTypeE0ELb0ELi512EEEvPfS3_PT_PKS4_PKT0_SA_ifPKiSC_iPKfiiiSE_SE_iiiii.num_agpr, 0
	.set _ZN4vllm25paged_attention_v2_kernelI14__hip_bfloat16S1_Li96ELi32ELi128ELNS_18Fp8KVCacheDataTypeE0ELb0ELi512EEEvPfS3_PT_PKS4_PKT0_SA_ifPKiSC_iPKfiiiSE_SE_iiiii.numbered_sgpr, 44
	.set _ZN4vllm25paged_attention_v2_kernelI14__hip_bfloat16S1_Li96ELi32ELi128ELNS_18Fp8KVCacheDataTypeE0ELb0ELi512EEEvPfS3_PT_PKS4_PKT0_SA_ifPKiSC_iPKfiiiSE_SE_iiiii.num_named_barrier, 0
	.set _ZN4vllm25paged_attention_v2_kernelI14__hip_bfloat16S1_Li96ELi32ELi128ELNS_18Fp8KVCacheDataTypeE0ELb0ELi512EEEvPfS3_PT_PKS4_PKT0_SA_ifPKiSC_iPKfiiiSE_SE_iiiii.private_seg_size, 172
	.set _ZN4vllm25paged_attention_v2_kernelI14__hip_bfloat16S1_Li96ELi32ELi128ELNS_18Fp8KVCacheDataTypeE0ELb0ELi512EEEvPfS3_PT_PKS4_PKT0_SA_ifPKiSC_iPKfiiiSE_SE_iiiii.uses_vcc, 1
	.set _ZN4vllm25paged_attention_v2_kernelI14__hip_bfloat16S1_Li96ELi32ELi128ELNS_18Fp8KVCacheDataTypeE0ELb0ELi512EEEvPfS3_PT_PKS4_PKT0_SA_ifPKiSC_iPKfiiiSE_SE_iiiii.uses_flat_scratch, 0
	.set _ZN4vllm25paged_attention_v2_kernelI14__hip_bfloat16S1_Li96ELi32ELi128ELNS_18Fp8KVCacheDataTypeE0ELb0ELi512EEEvPfS3_PT_PKS4_PKT0_SA_ifPKiSC_iPKfiiiSE_SE_iiiii.has_dyn_sized_stack, 0
	.set _ZN4vllm25paged_attention_v2_kernelI14__hip_bfloat16S1_Li96ELi32ELi128ELNS_18Fp8KVCacheDataTypeE0ELb0ELi512EEEvPfS3_PT_PKS4_PKT0_SA_ifPKiSC_iPKfiiiSE_SE_iiiii.has_recursion, 0
	.set _ZN4vllm25paged_attention_v2_kernelI14__hip_bfloat16S1_Li96ELi32ELi128ELNS_18Fp8KVCacheDataTypeE0ELb0ELi512EEEvPfS3_PT_PKS4_PKT0_SA_ifPKiSC_iPKfiiiSE_SE_iiiii.has_indirect_call, 0
	.section	.AMDGPU.csdata,"",@progbits
; Kernel info:
; codeLenInByte = 15884
; TotalNumSgprs: 46
; NumVgprs: 128
; ScratchSize: 172
; MemoryBound: 0
; FloatMode: 240
; IeeeMode: 1
; LDSByteSize: 224 bytes/workgroup (compile time only)
; SGPRBlocks: 0
; VGPRBlocks: 15
; NumSGPRsForWavesPerEU: 46
; NumVGPRsForWavesPerEU: 128
; Occupancy: 8
; WaveLimiterHint : 1
; COMPUTE_PGM_RSRC2:SCRATCH_EN: 1
; COMPUTE_PGM_RSRC2:USER_SGPR: 6
; COMPUTE_PGM_RSRC2:TRAP_HANDLER: 0
; COMPUTE_PGM_RSRC2:TGID_X_EN: 1
; COMPUTE_PGM_RSRC2:TGID_Y_EN: 1
; COMPUTE_PGM_RSRC2:TGID_Z_EN: 1
; COMPUTE_PGM_RSRC2:TIDIG_COMP_CNT: 0
	.section	.text._ZN4vllm25paged_attention_v2_kernelI14__hip_bfloat16S1_Li112ELi32ELi128ELNS_18Fp8KVCacheDataTypeE0ELb0ELi512EEEvPfS3_PT_PKS4_PKT0_SA_ifPKiSC_iPKfiiiSE_SE_iiiii,"axG",@progbits,_ZN4vllm25paged_attention_v2_kernelI14__hip_bfloat16S1_Li112ELi32ELi128ELNS_18Fp8KVCacheDataTypeE0ELb0ELi512EEEvPfS3_PT_PKS4_PKT0_SA_ifPKiSC_iPKfiiiSE_SE_iiiii,comdat
	.protected	_ZN4vllm25paged_attention_v2_kernelI14__hip_bfloat16S1_Li112ELi32ELi128ELNS_18Fp8KVCacheDataTypeE0ELb0ELi512EEEvPfS3_PT_PKS4_PKT0_SA_ifPKiSC_iPKfiiiSE_SE_iiiii ; -- Begin function _ZN4vllm25paged_attention_v2_kernelI14__hip_bfloat16S1_Li112ELi32ELi128ELNS_18Fp8KVCacheDataTypeE0ELb0ELi512EEEvPfS3_PT_PKS4_PKT0_SA_ifPKiSC_iPKfiiiSE_SE_iiiii
	.globl	_ZN4vllm25paged_attention_v2_kernelI14__hip_bfloat16S1_Li112ELi32ELi128ELNS_18Fp8KVCacheDataTypeE0ELb0ELi512EEEvPfS3_PT_PKS4_PKT0_SA_ifPKiSC_iPKfiiiSE_SE_iiiii
	.p2align	8
	.type	_ZN4vllm25paged_attention_v2_kernelI14__hip_bfloat16S1_Li112ELi32ELi128ELNS_18Fp8KVCacheDataTypeE0ELb0ELi512EEEvPfS3_PT_PKS4_PKT0_SA_ifPKiSC_iPKfiiiSE_SE_iiiii,@function
_ZN4vllm25paged_attention_v2_kernelI14__hip_bfloat16S1_Li112ELi32ELi128ELNS_18Fp8KVCacheDataTypeE0ELb0ELi512EEEvPfS3_PT_PKS4_PKT0_SA_ifPKiSC_iPKfiiiSE_SE_iiiii: ; @_ZN4vllm25paged_attention_v2_kernelI14__hip_bfloat16S1_Li112ELi32ELi128ELNS_18Fp8KVCacheDataTypeE0ELb0ELi512EEEvPfS3_PT_PKS4_PKT0_SA_ifPKiSC_iPKfiiiSE_SE_iiiii
; %bb.0:
	s_mov_b64 s[42:43], s[2:3]
	s_mov_b64 s[40:41], s[0:1]
	s_load_dwordx2 s[0:1], s[4:5], 0x40
	s_add_u32 s40, s40, s9
	s_addc_u32 s41, s41, 0
	s_mov_b32 s24, s7
	s_ashr_i32 s25, s7, 31
	s_lshl_b64 s[2:3], s[24:25], 2
	s_waitcnt lgkmcnt(0)
	s_add_u32 s0, s0, s2
	s_addc_u32 s1, s1, s3
	s_lshl_b32 s30, s8, 9
	s_load_dword s25, s[0:1], 0x0
	s_waitcnt lgkmcnt(0)
	s_cmp_ge_i32 s30, s25
	s_cbranch_scc1 .LBB184_98
; %bb.1:
	s_clause 0x1
	s_load_dword s9, s[4:5], 0x90
	s_load_dwordx2 s[2:3], s[4:5], 0x30
	v_mov_b32_e32 v98, v0
	s_mov_b32 s33, 0
	s_waitcnt lgkmcnt(0)
	s_abs_i32 s10, s9
	s_abs_i32 s0, s2
	s_xor_b32 s2, s9, s2
	v_cvt_f32_u32_e32 v0, s0
	s_sub_i32 s7, 0, s0
	s_ashr_i32 s2, s2, 31
	v_rcp_iflag_f32_e32 v0, v0
	v_mul_f32_e32 v0, 0x4f7ffffe, v0
	v_cvt_u32_f32_e32 v0, v0
	v_readfirstlane_b32 s1, v0
	s_mul_i32 s7, s7, s1
	s_mul_hi_u32 s7, s1, s7
	s_add_i32 s1, s1, s7
	s_mul_hi_u32 s1, s10, s1
	s_mul_i32 s7, s1, s0
	s_sub_i32 s7, s10, s7
	s_add_i32 s10, s1, 1
	s_sub_i32 s11, s7, s0
	s_cmp_ge_u32 s7, s0
	s_cselect_b32 s1, s10, s1
	s_cselect_b32 s7, s11, s7
	s_add_i32 s10, s1, 1
	s_cmp_ge_u32 s7, s0
	s_cselect_b32 s0, s10, s1
	s_abs_i32 s29, s6
	s_xor_b32 s0, s0, s2
	s_sub_i32 s10, s0, s2
	s_load_dwordx2 s[0:1], s[4:5], 0x50
	s_abs_i32 s2, s10
	v_cvt_f32_u32_e32 v0, s2
	s_sub_i32 s11, 0, s2
	v_rcp_iflag_f32_e32 v0, v0
	v_mul_f32_e32 v0, 0x4f7ffffe, v0
	v_cvt_u32_f32_e32 v0, v0
	v_readfirstlane_b32 s7, v0
	s_mul_i32 s11, s11, s7
	s_mul_hi_u32 s11, s7, s11
	s_add_i32 s7, s7, s11
	s_waitcnt lgkmcnt(0)
	s_cmp_eq_u64 s[0:1], 0
	s_mul_hi_u32 s28, s29, s7
	s_cbranch_scc1 .LBB184_3
; %bb.2:
	s_ashr_i32 s7, s6, 31
	s_lshl_b64 s[12:13], s[6:7], 2
	s_add_u32 s0, s0, s12
	s_addc_u32 s1, s1, s13
	s_load_dword s33, s[0:1], 0x0
.LBB184_3:
	s_clause 0x1
	s_load_dwordx2 s[22:23], s[4:5], 0x38
	s_load_dwordx4 s[12:15], s[4:5], 0x58
	v_lshlrev_b32_e32 v10, 4, v98
	s_ashr_i32 s0, s6, 31
	s_ashr_i32 s1, s10, 31
	s_mul_i32 s10, s6, 0x70
	s_mov_b32 s7, exec_lo
	v_cmpx_gt_u32_e32 14, v98
	s_cbranch_execz .LBB184_5
; %bb.4:
	s_load_dwordx2 s[16:17], s[4:5], 0x18
	s_waitcnt lgkmcnt(0)
	s_mul_i32 s18, s12, s24
	s_ashr_i32 s19, s18, 31
	s_lshl_b64 s[18:19], s[18:19], 1
	s_add_u32 s12, s16, s18
	s_addc_u32 s15, s17, s19
	s_ashr_i32 s11, s10, 31
	s_lshl_b64 s[16:17], s[10:11], 1
	s_add_u32 s16, s12, s16
	s_addc_u32 s17, s15, s17
	global_load_dwordx4 v[0:3], v10, s[16:17]
	s_waitcnt vmcnt(0)
	ds_write_b128 v10, v[0:3]
.LBB184_5:
	s_or_b32 exec_lo, exec_lo, s7
	s_add_i32 s7, s25, 31
	s_clause 0x1
	s_load_dwordx4 s[16:19], s[4:5], 0x0
	s_load_dwordx2 s[20:21], s[4:5], 0x10
	s_ashr_i32 s11, s7, 31
	s_lshl_b32 s31, s8, 4
	s_lshr_b32 s11, s11, 27
	s_mul_i32 s34, s28, s2
	s_add_i32 s7, s7, s11
	s_add_i32 s11, s31, 16
	s_waitcnt lgkmcnt(0)
	s_ashr_i32 s12, s7, 5
	s_clause 0x2
	s_load_dwordx2 s[26:27], s[4:5], 0x28
	s_load_dword s7, s[4:5], 0x98
	s_load_dword s15, s[4:5], 0x48
	s_xor_b32 s0, s0, s1
	s_sub_i32 s1, s29, s34
	s_min_i32 s11, s11, s12
	s_add_i32 s29, s28, 1
	s_sub_i32 s34, s1, s2
	s_cmp_ge_u32 s1, s2
	v_lshrrev_b32_e32 v99, 5, v98
	s_cselect_b32 s28, s29, s28
	s_cselect_b32 s1, s34, s1
	s_add_i32 s29, s28, 1
	s_cmp_ge_u32 s1, s2
	v_add_nc_u32_e32 v65, s31, v99
	v_and_b32_e32 v100, 31, v98
	s_cselect_b32 s1, s29, s28
	v_mov_b32_e32 v78, 0xff7fffff
	s_xor_b32 s1, s1, s0
	v_ashrrev_i32_e32 v66, 31, v65
	s_sub_i32 s1, s1, s0
	v_cmp_gt_i32_e64 s0, s11, v65
	v_lshlrev_b32_e32 v25, 5, v99
	v_lshlrev_b32_e32 v26, 2, v100
	s_waitcnt lgkmcnt(0)
	s_mul_i32 s28, s15, s24
	s_mul_i32 s14, s1, s14
	s_ashr_i32 s29, s28, 31
	s_barrier
	buffer_gl0_inv
	s_and_saveexec_b32 s34, s0
	s_cbranch_execz .LBB184_9
; %bb.6:
	v_mov_b32_e32 v24, 0
	buffer_store_dword v10, off, s[40:43], 0 offset:256 ; 4-byte Folded Spill
	buffer_store_dword v98, off, s[40:43], 0 offset:244 ; 4-byte Folded Spill
	s_load_dwordx2 s[4:5], s[4:5], 0x20
	s_ashr_i32 s15, s14, 31
	v_add3_u32 v82, s30, v25, v100
	ds_read_b128 v[0:3], v24
	ds_read_b128 v[4:7], v24 offset:16
	ds_read_b128 v[8:11], v24 offset:32
	;; [unrolled: 1-line block ×5, first 2 shown]
	s_lshl_b64 s[36:37], s[14:15], 1
	v_mov_b32_e32 v78, 0xff7fffff
	v_mov_b32_e32 v83, v65
	s_waitcnt lgkmcnt(0)
	v_and_b32_e32 v27, 0xffff0000, v0
	v_lshlrev_b32_e32 v0, 16, v0
	s_add_u32 s1, s4, s36
	s_addc_u32 s2, s5, s37
	s_lshl_b64 s[36:37], s[28:29], 2
	s_sub_i32 s4, 1, s25
	buffer_store_dword v0, off, s[40:43], 0 offset:4 ; 4-byte Folded Spill
	v_and_b32_e32 v0, 0xffff0000, v1
	s_add_u32 s5, s22, s36
	s_addc_u32 s15, s23, s37
	buffer_store_dword v27, off, s[40:43], 0 ; 4-byte Folded Spill
	buffer_store_dword v0, off, s[40:43], 0 offset:8 ; 4-byte Folded Spill
	v_lshlrev_b32_e32 v0, 16, v1
	buffer_store_dword v0, off, s[40:43], 0 offset:12 ; 4-byte Folded Spill
	v_and_b32_e32 v0, 0xffff0000, v2
	buffer_store_dword v0, off, s[40:43], 0 offset:16 ; 4-byte Folded Spill
	v_lshlrev_b32_e32 v0, 16, v2
	buffer_store_dword v0, off, s[40:43], 0 offset:20 ; 4-byte Folded Spill
	v_and_b32_e32 v0, 0xffff0000, v3
	;; [unrolled: 4-line block ×3, first 2 shown]
	buffer_store_dword v0, off, s[40:43], 0 offset:32 ; 4-byte Folded Spill
	v_lshlrev_b32_e32 v0, 16, v4
	v_lshlrev_b32_e32 v4, 16, v15
	buffer_store_dword v0, off, s[40:43], 0 offset:36 ; 4-byte Folded Spill
	v_and_b32_e32 v0, 0xffff0000, v5
	buffer_store_dword v4, off, s[40:43], 0 offset:124 ; 4-byte Folded Spill
	v_and_b32_e32 v4, 0xffff0000, v16
	buffer_store_dword v0, off, s[40:43], 0 offset:40 ; 4-byte Folded Spill
	v_lshlrev_b32_e32 v0, 16, v5
	buffer_store_dword v4, off, s[40:43], 0 offset:128 ; 4-byte Folded Spill
	v_lshlrev_b32_e32 v4, 16, v16
	buffer_store_dword v0, off, s[40:43], 0 offset:44 ; 4-byte Folded Spill
	v_and_b32_e32 v0, 0xffff0000, v6
	buffer_store_dword v4, off, s[40:43], 0 offset:132 ; 4-byte Folded Spill
	v_and_b32_e32 v4, 0xffff0000, v20
	buffer_store_dword v0, off, s[40:43], 0 offset:48 ; 4-byte Folded Spill
	v_lshlrev_b32_e32 v0, 16, v6
	buffer_store_dword v4, off, s[40:43], 0 offset:136 ; 4-byte Folded Spill
	;; [unrolled: 8-line block ×4, first 2 shown]
	v_lshlrev_b32_e32 v8, 16, v21
	ds_read_b128 v[4:7], v24 offset:112
	buffer_store_dword v0, off, s[40:43], 0 offset:68 ; 4-byte Folded Spill
	v_and_b32_e32 v0, 0xffff0000, v9
	buffer_store_dword v8, off, s[40:43], 0 offset:156 ; 4-byte Folded Spill
	v_and_b32_e32 v8, 0xffff0000, v18
	buffer_store_dword v0, off, s[40:43], 0 offset:72 ; 4-byte Folded Spill
	v_lshlrev_b32_e32 v0, 16, v9
	buffer_store_dword v8, off, s[40:43], 0 offset:160 ; 4-byte Folded Spill
	v_lshlrev_b32_e32 v8, 16, v18
	buffer_store_dword v0, off, s[40:43], 0 offset:76 ; 4-byte Folded Spill
	v_and_b32_e32 v0, 0xffff0000, v10
	buffer_store_dword v8, off, s[40:43], 0 offset:164 ; 4-byte Folded Spill
	v_and_b32_e32 v8, 0xffff0000, v22
	buffer_store_dword v0, off, s[40:43], 0 offset:80 ; 4-byte Folded Spill
	v_lshlrev_b32_e32 v0, 16, v10
	buffer_store_dword v8, off, s[40:43], 0 offset:168 ; 4-byte Folded Spill
	v_lshlrev_b32_e32 v8, 16, v22
	s_waitcnt lgkmcnt(0)
	v_lshlrev_b32_e32 v111, 16, v6
	v_and_b32_e32 v112, 0xffff0000, v7
	buffer_store_dword v0, off, s[40:43], 0 offset:84 ; 4-byte Folded Spill
	v_and_b32_e32 v0, 0xffff0000, v11
	buffer_store_dword v8, off, s[40:43], 0 offset:172 ; 4-byte Folded Spill
	v_and_b32_e32 v8, 0xffff0000, v19
	v_lshlrev_b32_e32 v113, 16, v7
	buffer_store_dword v0, off, s[40:43], 0 offset:88 ; 4-byte Folded Spill
	v_lshlrev_b32_e32 v0, 16, v11
	buffer_store_dword v8, off, s[40:43], 0 offset:176 ; 4-byte Folded Spill
	;; [unrolled: 2-line block ×3, first 2 shown]
	v_and_b32_e32 v0, 0xffff0000, v12
	buffer_store_dword v8, off, s[40:43], 0 offset:180 ; 4-byte Folded Spill
	v_and_b32_e32 v8, 0xffff0000, v23
	buffer_store_dword v0, off, s[40:43], 0 offset:96 ; 4-byte Folded Spill
	v_lshlrev_b32_e32 v0, 16, v12
	v_lshlrev_b32_e32 v12, 16, v23
	buffer_store_dword v8, off, s[40:43], 0 offset:184 ; 4-byte Folded Spill
	ds_read_b128 v[8:11], v24 offset:128
	buffer_store_dword v0, off, s[40:43], 0 offset:100 ; 4-byte Folded Spill
	v_and_b32_e32 v0, 0xffff0000, v13
	buffer_store_dword v12, off, s[40:43], 0 offset:188 ; 4-byte Folded Spill
	buffer_store_dword v0, off, s[40:43], 0 offset:104 ; 4-byte Folded Spill
	v_lshlrev_b32_e32 v0, 16, v13
	buffer_store_dword v0, off, s[40:43], 0 offset:108 ; 4-byte Folded Spill
	v_and_b32_e32 v0, 0xffff0000, v14
	buffer_store_dword v0, off, s[40:43], 0 offset:112 ; 4-byte Folded Spill
	v_lshlrev_b32_e32 v0, 16, v14
	buffer_store_dword v0, off, s[40:43], 0 offset:116 ; 4-byte Folded Spill
	v_and_b32_e32 v0, 0xffff0000, v15
	buffer_store_dword v0, off, s[40:43], 0 offset:120 ; 4-byte Folded Spill
	ds_read_b128 v[0:3], v24 offset:96
	s_waitcnt lgkmcnt(0)
	v_and_b32_e32 v12, 0xffff0000, v0
	v_lshlrev_b32_e32 v0, 16, v0
	buffer_store_dword v12, off, s[40:43], 0 offset:192 ; 4-byte Folded Spill
	buffer_store_dword v0, off, s[40:43], 0 offset:196 ; 4-byte Folded Spill
	v_and_b32_e32 v0, 0xffff0000, v1
	ds_read_b128 v[12:15], v24 offset:144
	v_and_b32_e32 v114, 0xffff0000, v8
	v_lshlrev_b32_e32 v115, 16, v8
	v_and_b32_e32 v116, 0xffff0000, v9
	buffer_store_dword v0, off, s[40:43], 0 offset:200 ; 4-byte Folded Spill
	v_lshlrev_b32_e32 v0, 16, v1
	v_lshlrev_b32_e32 v117, 16, v9
	v_and_b32_e32 v118, 0xffff0000, v10
	v_lshlrev_b32_e32 v119, 16, v10
	v_and_b32_e32 v120, 0xffff0000, v11
	buffer_store_dword v0, off, s[40:43], 0 offset:204 ; 4-byte Folded Spill
	v_and_b32_e32 v0, 0xffff0000, v2
	v_lshlrev_b32_e32 v121, 16, v11
	ds_read_b128 v[8:11], v24 offset:192
	buffer_store_dword v0, off, s[40:43], 0 offset:208 ; 4-byte Folded Spill
	v_lshlrev_b32_e32 v0, 16, v2
	s_waitcnt lgkmcnt(1)
	v_and_b32_e32 v122, 0xffff0000, v12
	v_lshlrev_b32_e32 v123, 16, v12
	buffer_store_dword v0, off, s[40:43], 0 offset:212 ; 4-byte Folded Spill
	v_and_b32_e32 v0, 0xffff0000, v3
	v_and_b32_e32 v124, 0xffff0000, v13
	v_lshlrev_b32_e32 v125, 16, v13
	v_and_b32_e32 v126, 0xffff0000, v14
	v_lshlrev_b32_e32 v127, 16, v14
	buffer_store_dword v0, off, s[40:43], 0 offset:216 ; 4-byte Folded Spill
	v_lshlrev_b32_e32 v0, 16, v3
	v_and_b32_e32 v44, 0xffff0000, v15
	v_lshlrev_b32_e32 v43, 16, v15
	ds_read_b128 v[12:15], v24 offset:208
	s_waitcnt lgkmcnt(1)
	v_and_b32_e32 v58, 0xffff0000, v8
	buffer_store_dword v0, off, s[40:43], 0 offset:220 ; 4-byte Folded Spill
	v_and_b32_e32 v0, 0xffff0000, v4
	v_lshlrev_b32_e32 v59, 16, v8
	v_and_b32_e32 v60, 0xffff0000, v9
	v_lshlrev_b32_e32 v61, 16, v9
	v_and_b32_e32 v62, 0xffff0000, v10
	buffer_store_dword v0, off, s[40:43], 0 offset:224 ; 4-byte Folded Spill
	v_lshlrev_b32_e32 v0, 16, v4
	v_lshlrev_b32_e32 v63, 16, v10
	v_and_b32_e32 v64, 0xffff0000, v11
	v_lshlrev_b32_e32 v67, 16, v11
	buffer_store_dword v0, off, s[40:43], 0 offset:228 ; 4-byte Folded Spill
	v_and_b32_e32 v0, 0xffff0000, v5
	buffer_store_dword v0, off, s[40:43], 0 offset:232 ; 4-byte Folded Spill
	v_lshlrev_b32_e32 v0, 16, v5
	s_waitcnt lgkmcnt(0)
	v_and_b32_e32 v70, 0xffff0000, v12
	v_lshlrev_b32_e32 v71, 16, v12
	v_and_b32_e32 v72, 0xffff0000, v13
	v_lshlrev_b32_e32 v73, 16, v13
	buffer_store_dword v0, off, s[40:43], 0 offset:236 ; 4-byte Folded Spill
	v_and_b32_e32 v0, 0xffff0000, v6
	ds_read_b128 v[4:7], v24 offset:176
	v_and_b32_e32 v74, 0xffff0000, v14
	v_lshlrev_b32_e32 v75, 16, v14
	v_and_b32_e32 v76, 0xffff0000, v15
	buffer_store_dword v0, off, s[40:43], 0 offset:240 ; 4-byte Folded Spill
	ds_read_b128 v[0:3], v24 offset:160
	v_lshlrev_b32_e32 v77, 16, v15
	buffer_store_dword v99, off, s[40:43], 0 offset:248 ; 4-byte Folded Spill
	buffer_store_dword v26, off, s[40:43], 0 offset:264 ; 4-byte Folded Spill
	;; [unrolled: 1-line block ×4, first 2 shown]
	s_waitcnt lgkmcnt(1)
	v_and_b32_e32 v50, 0xffff0000, v4
	v_lshlrev_b32_e32 v51, 16, v4
	v_and_b32_e32 v52, 0xffff0000, v5
	v_lshlrev_b32_e32 v53, 16, v5
	v_and_b32_e32 v54, 0xffff0000, v6
	s_waitcnt lgkmcnt(0)
	v_and_b32_e32 v45, 0xffff0000, v0
	v_lshlrev_b32_e32 v68, 16, v0
	v_and_b32_e32 v69, 0xffff0000, v1
	v_lshlrev_b32_e32 v46, 16, v1
	v_and_b32_e32 v0, 0xffff0000, v2
	v_lshlrev_b32_e32 v47, 16, v2
	v_lshlrev_b64 v[1:2], 2, v[65:66]
	v_and_b32_e32 v48, 0xffff0000, v3
	v_lshlrev_b32_e32 v49, 16, v3
	v_lshlrev_b32_e32 v55, 16, v6
	v_and_b32_e32 v56, 0xffff0000, v7
	v_lshlrev_b32_e32 v57, 16, v7
	v_add_co_u32 v41, vcc_lo, s5, v1
	v_add_co_ci_u32_e64 v42, null, s15, v2, vcc_lo
	v_lshlrev_b32_e32 v2, 4, v100
	v_lshl_or_b32 v1, v99, 7, v26
	v_cmp_neq_f32_e64 vcc_lo, s33, 0
	s_mov_b32 s5, s13
	s_mov_b32 s15, 0
	v_add_co_u32 v80, s1, s1, v2
	v_add_nc_u32_e32 v79, 0x100, v1
	v_add_co_ci_u32_e64 v81, null, s2, 0, s1
.LBB184_7:                              ; =>This Inner Loop Header: Depth=1
	global_load_dword v1, v[41:42], off
	v_add_nc_u32_e32 v83, 4, v83
	s_waitcnt vmcnt(0)
	v_mad_i64_i32 v[1:2], null, v1, s5, 0
	v_lshlrev_b64 v[1:2], 1, v[1:2]
	v_add_co_u32 v101, s1, v80, v1
	v_add_nc_u32_e32 v1, s4, v82
	v_add_co_ci_u32_e64 v102, null, v81, v2, s1
	v_cmp_gt_i32_e64 s1, s25, v82
	v_add_nc_u32_e32 v82, 0x80, v82
	v_cvt_f32_i32_e32 v1, v1
	v_mul_f32_e32 v1, s33, v1
	v_cndmask_b32_e32 v84, 0, v1, vcc_lo
	s_clause 0x1
	global_load_dwordx4 v[1:4], v[101:102], off
	global_load_dwordx4 v[5:8], v[101:102], off offset:512
	buffer_load_dword v11, off, s[40:43], 0 offset:36 ; 4-byte Folded Reload
	s_waitcnt vmcnt(2)
	v_lshlrev_b32_e32 v9, 16, v1
	s_waitcnt vmcnt(1)
	v_and_b32_e32 v10, 0xffff0000, v5
	v_lshlrev_b32_e32 v5, 16, v5
	v_and_b32_e32 v1, 0xffff0000, v1
	s_waitcnt vmcnt(0)
	v_mul_f32_e32 v85, v11, v5
	buffer_load_dword v5, off, s[40:43], 0 offset:32 ; 4-byte Folded Reload
	s_waitcnt vmcnt(0)
	v_mul_f32_e32 v86, v5, v10
	buffer_load_dword v5, off, s[40:43], 0  ; 4-byte Folded Reload
	s_waitcnt vmcnt(0)
	v_fmac_f32_e32 v86, v5, v1
	buffer_load_dword v1, off, s[40:43], 0 offset:4 ; 4-byte Folded Reload
	v_and_b32_e32 v5, 0xffff0000, v6
	v_lshlrev_b32_e32 v6, 16, v6
	s_waitcnt vmcnt(0)
	v_fmac_f32_e32 v85, v1, v9
	buffer_load_dword v9, off, s[40:43], 0 offset:44 ; 4-byte Folded Reload
	v_lshlrev_b32_e32 v1, 16, v2
	v_and_b32_e32 v2, 0xffff0000, v2
	s_waitcnt vmcnt(0)
	v_mul_f32_e32 v87, v9, v6
	buffer_load_dword v6, off, s[40:43], 0 offset:40 ; 4-byte Folded Reload
	s_waitcnt vmcnt(0)
	v_mul_f32_e32 v88, v6, v5
	s_clause 0x1
	buffer_load_dword v5, off, s[40:43], 0 offset:8
	buffer_load_dword v6, off, s[40:43], 0 offset:52
	s_waitcnt vmcnt(1)
	v_fmac_f32_e32 v88, v5, v2
	buffer_load_dword v2, off, s[40:43], 0 offset:12 ; 4-byte Folded Reload
	v_lshlrev_b32_e32 v5, 16, v7
	s_waitcnt vmcnt(1)
	v_mul_f32_e32 v89, v6, v5
	buffer_load_dword v5, off, s[40:43], 0 offset:48 ; 4-byte Folded Reload
	s_waitcnt vmcnt(1)
	v_fmac_f32_e32 v87, v2, v1
	v_lshlrev_b32_e32 v1, 16, v3
	v_and_b32_e32 v2, 0xffff0000, v3
	v_and_b32_e32 v3, 0xffff0000, v7
	s_waitcnt vmcnt(0)
	v_mul_f32_e32 v90, v5, v3
	s_clause 0x1
	buffer_load_dword v3, off, s[40:43], 0 offset:16
	buffer_load_dword v5, off, s[40:43], 0 offset:60
	s_waitcnt vmcnt(1)
	v_fmac_f32_e32 v90, v3, v2
	buffer_load_dword v2, off, s[40:43], 0 offset:20 ; 4-byte Folded Reload
	v_and_b32_e32 v3, 0xffff0000, v8
	s_waitcnt vmcnt(0)
	v_fmac_f32_e32 v89, v2, v1
	v_lshlrev_b32_e32 v1, 16, v4
	v_and_b32_e32 v2, 0xffff0000, v4
	v_lshlrev_b32_e32 v4, 16, v8
	v_mul_f32_e32 v91, v5, v4
	buffer_load_dword v4, off, s[40:43], 0 offset:56 ; 4-byte Folded Reload
	s_waitcnt vmcnt(0)
	v_mul_f32_e32 v92, v4, v3
	buffer_load_dword v3, off, s[40:43], 0 offset:24 ; 4-byte Folded Reload
	s_waitcnt vmcnt(0)
	v_fmac_f32_e32 v92, v3, v2
	buffer_load_dword v2, off, s[40:43], 0 offset:28 ; 4-byte Folded Reload
	s_waitcnt vmcnt(0)
	v_fmac_f32_e32 v91, v2, v1
	global_load_dwordx4 v[1:4], v[101:102], off offset:1024
	s_waitcnt vmcnt(0)
	v_and_b32_e32 v103, 0xffff0000, v1
	v_lshlrev_b32_e32 v104, 16, v1
	v_and_b32_e32 v105, 0xffff0000, v2
	v_lshlrev_b32_e32 v106, 16, v2
	;; [unrolled: 2-line block ×4, first 2 shown]
	global_load_dwordx4 v[1:4], v[101:102], off offset:1536
	s_waitcnt vmcnt(0)
	v_lshlrev_b32_e32 v107, 16, v1
	v_and_b32_e32 v108, 0xffff0000, v1
	v_add_co_u32 v1, s2, 0x800, v101
	v_lshlrev_b32_e32 v109, 16, v2
	v_and_b32_e32 v110, 0xffff0000, v2
	v_lshlrev_b32_e32 v99, 16, v3
	v_and_b32_e32 v100, 0xffff0000, v3
	v_add_co_ci_u32_e64 v2, null, 0, v102, s2
	v_add_co_u32 v3, s2, v101, 0x1000
	v_lshlrev_b32_e32 v95, 16, v4
	v_and_b32_e32 v96, 0xffff0000, v4
	v_add_co_ci_u32_e64 v4, null, 0, v102, s2
	s_clause 0x3
	global_load_dwordx4 v[37:40], v[3:4], off offset:-2048
	global_load_dwordx4 v[33:36], v[1:2], off offset:512
	global_load_dwordx4 v[29:32], v[1:2], off offset:1024
	;; [unrolled: 1-line block ×3, first 2 shown]
	v_add_co_u32 v1, s2, 0x1000, v101
	v_add_co_ci_u32_e64 v2, null, 0, v102, s2
	s_clause 0x3
	global_load_dwordx4 v[21:24], v[3:4], off
	global_load_dwordx4 v[17:20], v[1:2], off offset:512
	global_load_dwordx4 v[13:16], v[1:2], off offset:1024
	;; [unrolled: 1-line block ×3, first 2 shown]
	v_add_co_u32 v1, s2, 0x1800, v101
	v_add_co_ci_u32_e64 v2, null, 0, v102, s2
	s_clause 0x1
	global_load_dwordx4 v[5:8], v[1:2], off
	global_load_dwordx4 v[1:4], v[1:2], off offset:512
	s_clause 0x1
	buffer_load_dword v101, off, s[40:43], 0 offset:68
	buffer_load_dword v102, off, s[40:43], 0 offset:132
	s_waitcnt vmcnt(1)
	v_fmac_f32_e32 v85, v101, v104
	buffer_load_dword v101, off, s[40:43], 0 offset:64 ; 4-byte Folded Reload
	s_waitcnt vmcnt(0)
	v_fmac_f32_e32 v86, v101, v103
	buffer_load_dword v101, off, s[40:43], 0 offset:96 ; 4-byte Folded Reload
	;; [unrolled: 3-line block ×3, first 2 shown]
	s_waitcnt vmcnt(0)
	v_fmac_f32_e32 v85, v101, v107
	v_and_b32_e32 v101, 0xffff0000, v37
	v_lshlrev_b32_e32 v37, 16, v37
	v_fmac_f32_e32 v85, v102, v37
	buffer_load_dword v37, off, s[40:43], 0 offset:128 ; 4-byte Folded Reload
	s_waitcnt vmcnt(0)
	v_fmac_f32_e32 v86, v37, v101
	buffer_load_dword v101, off, s[40:43], 0 offset:136 ; 4-byte Folded Reload
	v_lshlrev_b32_e32 v37, 16, v33
	v_and_b32_e32 v33, 0xffff0000, v33
	s_waitcnt vmcnt(0)
	v_fmac_f32_e32 v86, v101, v33
	buffer_load_dword v33, off, s[40:43], 0 offset:140 ; 4-byte Folded Reload
	s_waitcnt vmcnt(0)
	v_fmac_f32_e32 v85, v33, v37
	buffer_load_dword v37, off, s[40:43], 0 offset:196 ; 4-byte Folded Reload
	v_and_b32_e32 v33, 0xffff0000, v29
	v_lshlrev_b32_e32 v29, 16, v29
	s_waitcnt vmcnt(0)
	v_fmac_f32_e32 v85, v37, v29
	buffer_load_dword v29, off, s[40:43], 0 offset:192 ; 4-byte Folded Reload
	s_waitcnt vmcnt(0)
	v_fmac_f32_e32 v86, v29, v33
	buffer_load_dword v33, off, s[40:43], 0 offset:224 ; 4-byte Folded Reload
	v_lshlrev_b32_e32 v29, 16, v25
	v_and_b32_e32 v25, 0xffff0000, v25
	s_waitcnt vmcnt(0)
	v_fmac_f32_e32 v86, v33, v25
	buffer_load_dword v25, off, s[40:43], 0 offset:228 ; 4-byte Folded Reload
	s_waitcnt vmcnt(0)
	v_fmac_f32_e32 v85, v25, v29
	v_and_b32_e32 v25, 0xffff0000, v21
	v_lshlrev_b32_e32 v21, 16, v21
	v_fmac_f32_e32 v86, v114, v25
	v_fmac_f32_e32 v85, v115, v21
	v_lshlrev_b32_e32 v21, 16, v17
	v_and_b32_e32 v17, 0xffff0000, v17
	v_fmac_f32_e32 v85, v123, v21
	v_fmac_f32_e32 v86, v122, v17
	v_and_b32_e32 v17, 0xffff0000, v13
	v_lshlrev_b32_e32 v13, 16, v13
	v_fmac_f32_e32 v86, v45, v17
	v_fmac_f32_e32 v85, v68, v13
	v_lshlrev_b32_e32 v13, 16, v9
	v_and_b32_e32 v9, 0xffff0000, v9
	v_fmac_f32_e32 v85, v51, v13
	v_fmac_f32_e32 v86, v50, v9
	v_and_b32_e32 v9, 0xffff0000, v5
	v_lshlrev_b32_e32 v5, 16, v5
	v_fmac_f32_e32 v86, v58, v9
	v_fmac_f32_e32 v85, v59, v5
	v_lshlrev_b32_e32 v5, 16, v1
	v_and_b32_e32 v1, 0xffff0000, v1
	buffer_load_dword v9, off, s[40:43], 0 offset:148 ; 4-byte Folded Reload
	v_fmac_f32_e32 v85, v71, v5
	v_fmac_f32_e32 v86, v70, v1
	buffer_load_dword v1, off, s[40:43], 0 offset:76 ; 4-byte Folded Reload
	v_lshlrev_b32_e32 v5, 16, v38
	s_waitcnt vmcnt(0)
	v_fmac_f32_e32 v87, v1, v106
	buffer_load_dword v1, off, s[40:43], 0 offset:72 ; 4-byte Folded Reload
	s_waitcnt vmcnt(0)
	v_fmac_f32_e32 v88, v1, v105
	buffer_load_dword v1, off, s[40:43], 0 offset:104 ; 4-byte Folded Reload
	;; [unrolled: 3-line block ×3, first 2 shown]
	s_waitcnt vmcnt(0)
	v_fmac_f32_e32 v87, v1, v109
	v_and_b32_e32 v1, 0xffff0000, v38
	v_fmac_f32_e32 v87, v9, v5
	s_clause 0x1
	buffer_load_dword v5, off, s[40:43], 0 offset:144
	buffer_load_dword v9, off, s[40:43], 0 offset:152
	s_waitcnt vmcnt(1)
	v_fmac_f32_e32 v88, v5, v1
	v_and_b32_e32 v5, 0xffff0000, v34
	v_lshlrev_b32_e32 v1, 16, v34
	s_waitcnt vmcnt(0)
	v_fmac_f32_e32 v88, v9, v5
	s_clause 0x1
	buffer_load_dword v5, off, s[40:43], 0 offset:156
	buffer_load_dword v9, off, s[40:43], 0 offset:204
	s_waitcnt vmcnt(1)
	v_fmac_f32_e32 v87, v5, v1
	v_lshlrev_b32_e32 v5, 16, v30
	v_and_b32_e32 v1, 0xffff0000, v30
	s_waitcnt vmcnt(0)
	v_fmac_f32_e32 v87, v9, v5
	s_clause 0x1
	buffer_load_dword v5, off, s[40:43], 0 offset:200
	buffer_load_dword v9, off, s[40:43], 0 offset:232
	s_waitcnt vmcnt(1)
	v_fmac_f32_e32 v88, v5, v1
	v_and_b32_e32 v5, 0xffff0000, v26
	v_lshlrev_b32_e32 v1, 16, v26
	s_waitcnt vmcnt(0)
	v_fmac_f32_e32 v88, v9, v5
	buffer_load_dword v5, off, s[40:43], 0 offset:236 ; 4-byte Folded Reload
	s_waitcnt vmcnt(0)
	v_fmac_f32_e32 v87, v5, v1
	v_and_b32_e32 v1, 0xffff0000, v22
	v_lshlrev_b32_e32 v5, 16, v22
	v_fmac_f32_e32 v88, v116, v1
	v_fmac_f32_e32 v87, v117, v5
	v_lshlrev_b32_e32 v1, 16, v18
	v_and_b32_e32 v5, 0xffff0000, v18
	v_fmac_f32_e32 v87, v125, v1
	v_fmac_f32_e32 v88, v124, v5
	v_and_b32_e32 v1, 0xffff0000, v14
	v_lshlrev_b32_e32 v5, 16, v14
	v_fmac_f32_e32 v88, v69, v1
	v_fmac_f32_e32 v87, v46, v5
	v_lshlrev_b32_e32 v1, 16, v10
	v_and_b32_e32 v5, 0xffff0000, v10
	v_fmac_f32_e32 v87, v53, v1
	v_fmac_f32_e32 v88, v52, v5
	v_and_b32_e32 v1, 0xffff0000, v6
	v_lshlrev_b32_e32 v5, 16, v6
	v_fmac_f32_e32 v88, v60, v1
	v_fmac_f32_e32 v87, v61, v5
	v_lshlrev_b32_e32 v1, 16, v2
	v_and_b32_e32 v2, 0xffff0000, v2
	buffer_load_dword v5, off, s[40:43], 0 offset:164 ; 4-byte Folded Reload
	v_fmac_f32_e32 v87, v73, v1
	buffer_load_dword v1, off, s[40:43], 0 offset:84 ; 4-byte Folded Reload
	v_fmac_f32_e32 v88, v72, v2
	v_lshlrev_b32_e32 v2, 16, v39
	s_waitcnt vmcnt(0)
	v_fmac_f32_e32 v89, v1, v98
	buffer_load_dword v1, off, s[40:43], 0 offset:80 ; 4-byte Folded Reload
	s_waitcnt vmcnt(0)
	v_fmac_f32_e32 v90, v1, v97
	buffer_load_dword v1, off, s[40:43], 0 offset:112 ; 4-byte Folded Reload
	;; [unrolled: 3-line block ×3, first 2 shown]
	s_waitcnt vmcnt(0)
	v_fmac_f32_e32 v89, v1, v99
	v_and_b32_e32 v1, 0xffff0000, v39
	v_fmac_f32_e32 v89, v5, v2
	s_clause 0x1
	buffer_load_dword v2, off, s[40:43], 0 offset:160
	buffer_load_dword v5, off, s[40:43], 0 offset:168
	s_waitcnt vmcnt(1)
	v_fmac_f32_e32 v90, v2, v1
	v_and_b32_e32 v2, 0xffff0000, v35
	v_lshlrev_b32_e32 v1, 16, v35
	s_waitcnt vmcnt(0)
	v_fmac_f32_e32 v90, v5, v2
	s_clause 0x1
	buffer_load_dword v2, off, s[40:43], 0 offset:172
	buffer_load_dword v5, off, s[40:43], 0 offset:212
	s_waitcnt vmcnt(1)
	v_fmac_f32_e32 v89, v2, v1
	v_lshlrev_b32_e32 v2, 16, v31
	v_and_b32_e32 v1, 0xffff0000, v31
	s_waitcnt vmcnt(0)
	v_fmac_f32_e32 v89, v5, v2
	s_clause 0x1
	buffer_load_dword v2, off, s[40:43], 0 offset:208
	buffer_load_dword v5, off, s[40:43], 0 offset:240
	s_waitcnt vmcnt(1)
	v_fmac_f32_e32 v90, v2, v1
	v_lshlrev_b32_e32 v1, 16, v27
	v_and_b32_e32 v2, 0xffff0000, v27
	v_fmac_f32_e32 v89, v111, v1
	s_waitcnt vmcnt(0)
	v_fmac_f32_e32 v90, v5, v2
	v_and_b32_e32 v1, 0xffff0000, v23
	v_lshlrev_b32_e32 v2, 16, v23
	v_fmac_f32_e32 v90, v118, v1
	v_fmac_f32_e32 v89, v119, v2
	v_lshlrev_b32_e32 v1, 16, v19
	v_and_b32_e32 v2, 0xffff0000, v19
	v_fmac_f32_e32 v89, v127, v1
	v_fmac_f32_e32 v90, v126, v2
	v_and_b32_e32 v1, 0xffff0000, v15
	v_lshlrev_b32_e32 v2, 16, v15
	v_fmac_f32_e32 v90, v0, v1
	v_fmac_f32_e32 v89, v47, v2
	v_lshlrev_b32_e32 v1, 16, v11
	v_and_b32_e32 v2, 0xffff0000, v11
	v_fmac_f32_e32 v89, v55, v1
	v_fmac_f32_e32 v90, v54, v2
	v_and_b32_e32 v1, 0xffff0000, v7
	v_lshlrev_b32_e32 v2, 16, v7
	v_fmac_f32_e32 v90, v62, v1
	v_fmac_f32_e32 v89, v63, v2
	v_lshlrev_b32_e32 v1, 16, v3
	v_and_b32_e32 v2, 0xffff0000, v3
	buffer_load_dword v3, off, s[40:43], 0 offset:180 ; 4-byte Folded Reload
	v_fmac_f32_e32 v89, v75, v1
	buffer_load_dword v1, off, s[40:43], 0 offset:92 ; 4-byte Folded Reload
	v_fmac_f32_e32 v90, v74, v2
	v_lshlrev_b32_e32 v2, 16, v40
	s_waitcnt vmcnt(0)
	v_fmac_f32_e32 v91, v1, v94
	buffer_load_dword v1, off, s[40:43], 0 offset:88 ; 4-byte Folded Reload
	s_waitcnt vmcnt(0)
	v_fmac_f32_e32 v92, v1, v93
	buffer_load_dword v1, off, s[40:43], 0 offset:120 ; 4-byte Folded Reload
	;; [unrolled: 3-line block ×3, first 2 shown]
	s_waitcnt vmcnt(0)
	v_fmac_f32_e32 v91, v1, v95
	v_and_b32_e32 v1, 0xffff0000, v40
	v_fmac_f32_e32 v91, v3, v2
	s_clause 0x1
	buffer_load_dword v2, off, s[40:43], 0 offset:176
	buffer_load_dword v3, off, s[40:43], 0 offset:184
	s_waitcnt vmcnt(1)
	v_fmac_f32_e32 v92, v2, v1
	v_and_b32_e32 v2, 0xffff0000, v36
	v_lshlrev_b32_e32 v1, 16, v36
	s_waitcnt vmcnt(0)
	v_fmac_f32_e32 v92, v3, v2
	s_clause 0x1
	buffer_load_dword v2, off, s[40:43], 0 offset:188
	buffer_load_dword v3, off, s[40:43], 0 offset:220
	s_waitcnt vmcnt(1)
	v_fmac_f32_e32 v91, v2, v1
	v_lshlrev_b32_e32 v2, 16, v32
	v_and_b32_e32 v1, 0xffff0000, v32
	s_waitcnt vmcnt(0)
	v_fmac_f32_e32 v91, v3, v2
	buffer_load_dword v2, off, s[40:43], 0 offset:216 ; 4-byte Folded Reload
	s_waitcnt vmcnt(0)
	v_fmac_f32_e32 v92, v2, v1
	v_lshlrev_b32_e32 v1, 16, v28
	v_and_b32_e32 v2, 0xffff0000, v28
	v_fmac_f32_e32 v91, v113, v1
	v_fmac_f32_e32 v92, v112, v2
	v_and_b32_e32 v1, 0xffff0000, v24
	v_lshlrev_b32_e32 v2, 16, v24
	v_fmac_f32_e32 v92, v120, v1
	v_fmac_f32_e32 v91, v121, v2
	v_lshlrev_b32_e32 v1, 16, v20
	v_and_b32_e32 v2, 0xffff0000, v20
	v_fmac_f32_e32 v91, v43, v1
	v_fmac_f32_e32 v92, v44, v2
	v_and_b32_e32 v1, 0xffff0000, v16
	v_lshlrev_b32_e32 v2, 16, v16
	v_fmac_f32_e32 v92, v48, v1
	;; [unrolled: 8-line block ×3, first 2 shown]
	v_fmac_f32_e32 v91, v67, v2
	v_lshlrev_b32_e32 v1, 16, v4
	v_and_b32_e32 v2, 0xffff0000, v4
	v_fmac_f32_e32 v91, v77, v1
	v_add_f32_e32 v1, v85, v86
	v_fmac_f32_e32 v92, v76, v2
	v_max_f32_e32 v2, v78, v78
	v_add_f32_e32 v1, v1, v87
	v_add_f32_e32 v1, v88, v1
	;; [unrolled: 1-line block ×6, first 2 shown]
	v_fmac_f32_e32 v84, s3, v1
	v_max_f32_e32 v2, v2, v84
	v_cndmask_b32_e64 v1, 0, v84, s1
	v_cndmask_b32_e64 v78, v78, v2, s1
	v_add_co_u32 v41, s1, v41, 16
	v_add_co_ci_u32_e64 v42, null, 0, v42, s1
	v_cmp_le_i32_e64 s1, s11, v83
	ds_write_b32 v79, v1
	v_add_nc_u32_e32 v79, 0x200, v79
	s_or_b32 s15, s1, s15
	s_andn2_b32 exec_lo, exec_lo, s15
	s_cbranch_execnz .LBB184_7
; %bb.8:
	s_or_b32 exec_lo, exec_lo, s15
	s_clause 0x5
	buffer_load_dword v98, off, s[40:43], 0 offset:244
	buffer_load_dword v99, off, s[40:43], 0 offset:248
	;; [unrolled: 1-line block ×6, first 2 shown]
.LBB184_9:
	s_or_b32 exec_lo, exec_lo, s34
	v_mbcnt_lo_u32_b32 v0, -1, 0
	v_max_f32_e32 v4, v78, v78
	v_xor_b32_e32 v1, 16, v0
	v_xor_b32_e32 v3, 8, v0
	v_cmp_gt_i32_e32 vcc_lo, 32, v1
	v_cndmask_b32_e32 v1, v0, v1, vcc_lo
	v_cmp_gt_i32_e32 vcc_lo, 32, v3
	v_lshlrev_b32_e32 v1, 2, v1
	v_cndmask_b32_e32 v3, v0, v3, vcc_lo
	ds_bpermute_b32 v2, v1, v78
	s_waitcnt lgkmcnt(0)
	v_max_f32_e32 v5, v2, v2
	v_lshlrev_b32_e32 v2, 2, v3
	v_max_f32_e32 v3, v4, v5
	v_xor_b32_e32 v5, 4, v0
	ds_bpermute_b32 v4, v2, v3
	v_cmp_gt_i32_e32 vcc_lo, 32, v5
	v_cndmask_b32_e32 v5, v0, v5, vcc_lo
	s_waitcnt lgkmcnt(0)
	v_max_f32_e32 v6, v4, v4
	v_lshlrev_b32_e32 v4, 2, v5
	v_max_f32_e32 v3, v3, v6
	v_xor_b32_e32 v6, 2, v0
	ds_bpermute_b32 v5, v4, v3
	v_cmp_gt_i32_e32 vcc_lo, 32, v6
	v_cndmask_b32_e32 v6, v0, v6, vcc_lo
	v_lshlrev_b32_e32 v71, 2, v6
	v_xor_b32_e32 v6, 1, v0
	v_cmp_gt_i32_e32 vcc_lo, 32, v6
	s_waitcnt lgkmcnt(0)
	v_max_f32_e32 v5, v5, v5
	v_cndmask_b32_e32 v6, v0, v6, vcc_lo
	s_waitcnt vmcnt(3)
	v_cmp_eq_u32_e32 vcc_lo, 0, v100
	v_max_f32_e32 v3, v3, v5
	v_lshlrev_b32_e32 v70, 2, v6
	ds_bpermute_b32 v5, v71, v3
	s_waitcnt lgkmcnt(0)
	v_max_f32_e32 v5, v5, v5
	v_max_f32_e32 v0, v3, v5
	v_lshlrev_b32_e32 v5, 2, v99
	ds_bpermute_b32 v3, v70, v0
	s_and_saveexec_b32 s1, vcc_lo
	s_cbranch_execz .LBB184_11
; %bb.10:
	s_waitcnt lgkmcnt(0)
	v_max_f32_e32 v3, v3, v3
	v_max_f32_e32 v0, v0, v0
	;; [unrolled: 1-line block ×3, first 2 shown]
	ds_write_b32 v5, v0 offset:224
.LBB184_11:
	s_or_b32 exec_lo, exec_lo, s1
	v_cmp_gt_u32_e64 s1, 4, v100
	v_mov_b32_e32 v0, 0xff7fffff
	s_waitcnt vmcnt(0) lgkmcnt(0)
	s_waitcnt_vscnt null, 0x0
	s_barrier
	buffer_gl0_inv
	s_and_saveexec_b32 s2, s1
; %bb.12:
	ds_read_b32 v0, v26 offset:224
; %bb.13:
	s_or_b32 exec_lo, exec_lo, s2
	s_waitcnt lgkmcnt(0)
	ds_bpermute_b32 v3, v71, v0
	v_max_f32_e32 v0, v0, v0
	v_mov_b32_e32 v6, 0
	s_sub_i32 s2, s11, s31
	s_lshl_b32 s2, s2, 5
	s_add_i32 s2, s2, s30
	s_min_i32 s2, s2, s25
	s_sub_i32 s4, s2, s30
	v_cmp_gt_i32_e64 s2, s4, v98
	s_waitcnt lgkmcnt(0)
	v_max_f32_e32 v3, v3, v3
	v_max_f32_e32 v0, v0, v3
	ds_bpermute_b32 v3, v70, v0
	s_waitcnt lgkmcnt(0)
	v_max_f32_e32 v3, v3, v3
	v_max_f32_e32 v0, v0, v3
	v_lshl_add_u32 v3, v98, 2, 0x100
	ds_bpermute_b32 v0, v6, v0
	s_and_saveexec_b32 s5, s2
	s_cbranch_execz .LBB184_17
; %bb.14:
	v_lshl_add_u32 v7, v98, 2, 0x100
	v_mov_b32_e32 v6, 0
	v_mov_b32_e32 v8, v98
	s_mov_b32 s15, 0
	.p2align	6
.LBB184_15:                             ; =>This Inner Loop Header: Depth=1
	ds_read_b32 v9, v7
	v_add_nc_u32_e32 v8, 0x80, v8
	v_cmp_le_i32_e64 s3, s4, v8
	s_or_b32 s15, s3, s15
	s_waitcnt lgkmcnt(0)
	v_sub_f32_e32 v9, v9, v0
	v_mul_f32_e32 v9, 0x3fb8aa3b, v9
	v_exp_f32_e32 v9, v9
	ds_write_b32 v7, v9
	v_add_f32_e32 v6, v6, v9
	v_add_nc_u32_e32 v7, 0x200, v7
	s_andn2_b32 exec_lo, exec_lo, s15
	s_cbranch_execnz .LBB184_15
; %bb.16:
	s_or_b32 exec_lo, exec_lo, s15
.LBB184_17:
	s_or_b32 exec_lo, exec_lo, s5
	ds_bpermute_b32 v1, v1, v6
	s_waitcnt lgkmcnt(0)
	v_add_f32_e32 v1, v6, v1
	ds_bpermute_b32 v2, v2, v1
	s_waitcnt lgkmcnt(0)
	v_add_f32_e32 v1, v1, v2
	;; [unrolled: 3-line block ×5, first 2 shown]
	s_and_saveexec_b32 s3, vcc_lo
; %bb.18:
	ds_write_b32 v5, v1 offset:240
; %bb.19:
	s_or_b32 exec_lo, exec_lo, s3
	s_waitcnt lgkmcnt(0)
	s_barrier
	buffer_gl0_inv
	s_and_saveexec_b32 s3, s1
; %bb.20:
	ds_read_b32 v1, v26 offset:240
; %bb.21:
	s_or_b32 exec_lo, exec_lo, s3
	s_waitcnt lgkmcnt(0)
	ds_bpermute_b32 v2, v71, v1
	s_waitcnt lgkmcnt(0)
	v_add_f32_e32 v1, v1, v2
	ds_bpermute_b32 v2, v70, v1
	s_waitcnt lgkmcnt(0)
	v_add_f32_e32 v1, v1, v2
	v_mov_b32_e32 v2, 0
	ds_bpermute_b32 v1, v2, v1
	s_and_saveexec_b32 s1, s2
	s_cbranch_execz .LBB184_24
; %bb.22:
	s_waitcnt lgkmcnt(0)
	v_add_f32_e32 v2, 0x358637bd, v1
	s_mov_b32 s2, 0
	v_div_scale_f32 v4, null, v2, v2, 1.0
	v_div_scale_f32 v7, vcc_lo, 1.0, v2, 1.0
	v_rcp_f32_e32 v5, v4
	v_fma_f32 v6, -v4, v5, 1.0
	v_fmac_f32_e32 v5, v6, v5
	v_mul_f32_e32 v6, v7, v5
	v_fma_f32 v8, -v4, v6, v7
	v_fmac_f32_e32 v6, v8, v5
	v_fma_f32 v4, -v4, v6, v7
	v_div_fmas_f32 v4, v4, v5, v6
	v_div_fixup_f32 v2, v4, v2, 1.0
	v_mov_b32_e32 v4, v98
.LBB184_23:                             ; =>This Inner Loop Header: Depth=1
	ds_read_b32 v5, v3
	v_add_nc_u32_e32 v4, 0x80, v4
	v_cmp_le_i32_e32 vcc_lo, s4, v4
	s_or_b32 s2, vcc_lo, s2
	s_waitcnt lgkmcnt(0)
	v_mul_f32_e32 v5, v2, v5
	ds_write_b32 v3, v5
	v_add_nc_u32_e32 v3, 0x200, v3
	s_andn2_b32 exec_lo, exec_lo, s2
	s_cbranch_execnz .LBB184_23
.LBB184_24:
	s_or_b32 exec_lo, exec_lo, s1
	s_mul_i32 s1, s7, s24
	s_waitcnt lgkmcnt(0)
	s_mul_i32 s4, s1, s9
	s_mov_b32 s1, exec_lo
	s_barrier
	buffer_gl0_inv
	v_cmpx_eq_u32_e32 0, v98
	s_cbranch_execz .LBB184_26
; %bb.25:
	s_ashr_i32 s5, s4, 31
	s_mul_i32 s34, s7, s6
	s_lshl_b64 s[2:3], s[4:5], 2
	v_mov_b32_e32 v2, 0
	s_add_u32 s5, s18, s2
	s_addc_u32 s6, s19, s3
	s_ashr_i32 s35, s34, 31
	s_lshl_b64 s[18:19], s[34:35], 2
	s_add_u32 s5, s5, s18
	s_addc_u32 s6, s6, s19
	s_ashr_i32 s9, s8, 31
	s_lshl_b64 s[34:35], s[8:9], 2
	s_add_u32 s36, s5, s34
	s_addc_u32 s37, s6, s35
	s_add_u32 s2, s16, s2
	s_addc_u32 s3, s17, s3
	;; [unrolled: 2-line block ×4, first 2 shown]
	global_store_dword v2, v0, s[36:37]
	global_store_dword v2, v1, s[2:3]
.LBB184_26:
	s_or_b32 exec_lo, exec_lo, s1
	v_mov_b32_e32 v84, 0
	v_and_b32_e32 v72, 3, v98
	v_mov_b32_e32 v86, 0
	v_mov_b32_e32 v85, 0
	;; [unrolled: 1-line block ×13, first 2 shown]
	s_and_saveexec_b32 s3, s0
	s_cbranch_execz .LBB184_58
; %bb.27:
	v_lshlrev_b32_e32 v0, 3, v98
	s_ashr_i32 s15, s14, 31
	v_lshlrev_b32_e32 v1, 5, v72
	v_and_b32_e32 v2, 0x1f0, v10
	s_lshl_b64 s[0:1], s[14:15], 1
	v_and_b32_e32 v0, 24, v0
	s_add_u32 s0, s26, s0
	s_addc_u32 s1, s27, s1
	v_lshl_or_b32 v3, v99, 7, v1
	v_add_co_u32 v88, s0, s0, v2
	v_add3_u32 v90, s30, v25, v0
	v_lshlrev_b64 v[0:1], 2, v[65:66]
	v_add_co_ci_u32_e64 v89, null, s1, 0, s0
	s_lshl_b64 s[0:1], s[28:29], 2
	s_add_i32 s5, s12, -1
	s_add_u32 s0, s22, s0
	s_addc_u32 s1, s23, s1
	v_add_co_u32 v66, vcc_lo, s0, v0
	v_mov_b32_e32 v87, 0
	v_add_nc_u32_e32 v91, 0x100, v3
	v_add_co_ci_u32_e64 v67, null, s1, v1, vcc_lo
	v_mov_b32_e32 v73, 0
	v_mov_b32_e32 v74, 0
	v_mov_b32_e32 v75, 0
	v_mov_b32_e32 v76, 0
	v_mov_b32_e32 v77, 0
	v_mov_b32_e32 v78, 0
	v_mov_b32_e32 v79, 0
	v_mov_b32_e32 v80, 0
	v_mov_b32_e32 v81, 0
	v_mov_b32_e32 v82, 0
	v_mov_b32_e32 v83, 0
	v_mov_b32_e32 v85, 0
	v_mov_b32_e32 v86, 0
	v_mov_b32_e32 v84, 0
	s_mov_b32 s6, s13
	s_mov_b32 s12, s25
	;; [unrolled: 1-line block ×3, first 2 shown]
	s_branch .LBB184_29
.LBB184_28:                             ;   in Loop: Header=BB184_29 Depth=1
	s_or_b32 exec_lo, exec_lo, s2
	s_waitcnt lgkmcnt(1)
	v_bfe_u32 v0, v45, 16, 1
	v_bfe_u32 v68, v46, 16, 1
	v_or_b32_e32 v69, 0x400000, v45
	v_cmp_u_f32_e32 vcc_lo, v45, v45
	v_or_b32_e32 v92, 0x400000, v46
	v_add3_u32 v0, v0, v45, 0x7fff
	v_bfe_u32 v93, v47, 16, 1
	v_add3_u32 v68, v68, v46, 0x7fff
	v_bfe_u32 v94, v48, 16, 1
	v_add_nc_u32_e32 v65, 4, v65
	v_cndmask_b32_e32 v45, v0, v69, vcc_lo
	v_cmp_u_f32_e32 vcc_lo, v46, v46
	v_add3_u32 v46, v93, v47, 0x7fff
	v_add3_u32 v69, v94, v48, 0x7fff
	s_waitcnt lgkmcnt(0)
	v_bfe_u32 v93, v41, 16, 1
	v_and_b32_e32 v45, 0xffff0000, v45
	v_cndmask_b32_e32 v0, v68, v92, vcc_lo
	v_or_b32_e32 v68, 0x400000, v47
	v_cmp_u_f32_e32 vcc_lo, v47, v47
	v_or_b32_e32 v92, 0x400000, v48
	v_bfe_u32 v47, v42, 16, 1
	v_and_b32_e32 v0, 0xffff0000, v0
	v_add_co_u32 v66, s0, v66, 16
	v_cndmask_b32_e32 v46, v46, v68, vcc_lo
	v_cmp_u_f32_e32 vcc_lo, v48, v48
	v_add3_u32 v68, v93, v41, 0x7fff
	v_add3_u32 v47, v47, v42, 0x7fff
	v_bfe_u32 v93, v43, 16, 1
	v_add_nc_u32_e32 v90, 0x80, v90
	v_cndmask_b32_e32 v48, v69, v92, vcc_lo
	v_or_b32_e32 v69, 0x400000, v41
	v_cmp_u_f32_e32 vcc_lo, v41, v41
	v_or_b32_e32 v92, 0x400000, v42
	v_add3_u32 v41, v93, v43, 0x7fff
	v_or_b32_e32 v93, 0x400000, v44
	v_add_nc_u32_e32 v91, 0x200, v91
	v_cndmask_b32_e32 v68, v68, v69, vcc_lo
	v_cmp_u_f32_e32 vcc_lo, v42, v42
	s_waitcnt vmcnt(1)
	v_and_b32_e32 v69, 0xffff0000, v61
	v_lshlrev_b32_e32 v61, 16, v61
	v_add_co_ci_u32_e64 v67, null, 0, v67, s0
	v_cndmask_b32_e32 v42, v47, v92, vcc_lo
	v_bfe_u32 v47, v44, 16, 1
	v_or_b32_e32 v92, 0x400000, v43
	v_cmp_u_f32_e32 vcc_lo, v43, v43
	v_mul_f32_e32 v69, v0, v69
	v_mul_f32_e32 v61, v45, v61
	v_add3_u32 v47, v47, v44, 0x7fff
	v_and_b32_e32 v42, 0xffff0000, v42
	v_cndmask_b32_e32 v92, v41, v92, vcc_lo
	v_cmp_u_f32_e32 vcc_lo, v44, v44
	v_bfe_u32 v43, v69, 16, 1
	v_and_b32_e32 v41, 0xffff0000, v48
	v_bfe_u32 v44, v61, 16, 1
	v_or_b32_e32 v48, 0x400000, v69
	v_cndmask_b32_e32 v93, v47, v93, vcc_lo
	v_and_b32_e32 v47, 0xffff0000, v62
	v_add3_u32 v43, v43, v69, 0x7fff
	v_cmp_u_f32_e32 vcc_lo, v69, v69
	v_add3_u32 v44, v44, v61, 0x7fff
	v_or_b32_e32 v94, 0x400000, v61
	v_mul_f32_e32 v95, v41, v47
	v_and_b32_e32 v47, 0xffff0000, v46
	v_lshlrev_b32_e32 v46, 16, v62
	v_cndmask_b32_e32 v48, v43, v48, vcc_lo
	v_cmp_u_f32_e32 vcc_lo, v61, v61
	v_bfe_u32 v43, v95, 16, 1
	v_and_b32_e32 v62, 0xffff0000, v63
	v_mul_f32_e32 v46, v47, v46
	v_lshlrev_b32_e32 v63, 16, v63
	v_cndmask_b32_e32 v61, v44, v94, vcc_lo
	v_and_b32_e32 v44, 0xffff0000, v68
	v_add3_u32 v43, v43, v95, 0x7fff
	v_or_b32_e32 v68, 0x400000, v95
	v_bfe_u32 v69, v46, 16, 1
	v_mul_f32_e32 v62, v42, v62
	v_cmp_u_f32_e32 vcc_lo, v95, v95
	v_mul_f32_e32 v63, v44, v63
	v_or_b32_e32 v94, 0x400000, v46
	v_add3_u32 v69, v69, v46, 0x7fff
	v_bfe_u32 v95, v62, 16, 1
	v_cndmask_b32_e32 v68, v43, v68, vcc_lo
	v_and_b32_e32 v43, 0xffff0000, v93
	v_and_b32_e32 v93, 0xffff0000, v64
	v_cmp_u_f32_e32 vcc_lo, v46, v46
	v_bfe_u32 v96, v63, 16, 1
	v_and_b32_e32 v46, 0xffff0000, v92
	v_lshlrev_b32_e32 v64, 16, v64
	v_mul_f32_e32 v93, v43, v93
	v_cndmask_b32_e32 v69, v69, v94, vcc_lo
	v_add3_u32 v94, v95, v62, 0x7fff
	v_or_b32_e32 v95, 0x400000, v62
	v_cmp_u_f32_e32 vcc_lo, v62, v62
	v_add3_u32 v96, v96, v63, 0x7fff
	v_or_b32_e32 v92, 0x400000, v63
	v_bfe_u32 v97, v93, 16, 1
	v_mul_f32_e32 v64, v46, v64
	v_cndmask_b32_e32 v62, v94, v95, vcc_lo
	v_cmp_u_f32_e32 vcc_lo, v63, v63
	v_or_b32_e32 v94, 0x400000, v93
	v_and_b32_e32 v61, 0xffff0000, v61
	v_bfe_u32 v95, v64, 16, 1
	v_and_b32_e32 v48, 0xffff0000, v48
	v_cndmask_b32_e32 v63, v96, v92, vcc_lo
	v_add3_u32 v92, v97, v93, 0x7fff
	v_and_b32_e32 v69, 0xffff0000, v69
	v_and_b32_e32 v68, 0xffff0000, v68
	v_cmp_u_f32_e32 vcc_lo, v93, v93
	v_add3_u32 v93, v95, v64, 0x7fff
	v_add_f32_e32 v48, v61, v48
	v_and_b32_e32 v63, 0xffff0000, v63
	v_add_f32_e32 v61, v69, v68
	v_cndmask_b32_e32 v92, v92, v94, vcc_lo
	v_or_b32_e32 v94, 0x400000, v64
	v_and_b32_e32 v68, 0xffff0000, v57
	v_and_b32_e32 v62, 0xffff0000, v62
	v_cmp_u_f32_e32 vcc_lo, v64, v64
	v_add_f32_e32 v48, v61, v48
	v_lshlrev_b32_e32 v57, 16, v57
	v_mul_f32_e32 v61, v0, v68
	v_add_f32_e32 v62, v63, v62
	v_cndmask_b32_e32 v64, v93, v94, vcc_lo
	v_and_b32_e32 v93, 0xffff0000, v60
	v_mul_f32_e32 v57, v45, v57
	v_bfe_u32 v68, v61, 16, 1
	v_add_f32_e32 v48, v62, v48
	v_and_b32_e32 v63, 0xffff0000, v64
	v_and_b32_e32 v64, 0xffff0000, v92
	;; [unrolled: 1-line block ×3, first 2 shown]
	v_bfe_u32 v69, v57, 16, 1
	v_lshlrev_b32_e32 v58, 16, v58
	v_cmp_u_f32_e32 vcc_lo, v61, v61
	v_add_f32_e32 v63, v63, v64
	v_add3_u32 v64, v68, v61, 0x7fff
	v_or_b32_e32 v68, 0x400000, v61
	v_mul_f32_e32 v62, v41, v62
	v_mul_f32_e32 v58, v47, v58
	v_and_b32_e32 v92, 0xffff0000, v59
	v_lshlrev_b32_e32 v59, 16, v59
	v_cndmask_b32_e32 v61, v64, v68, vcc_lo
	v_add3_u32 v64, v69, v57, 0x7fff
	v_or_b32_e32 v68, 0x400000, v57
	v_bfe_u32 v69, v62, 16, 1
	v_cmp_u_f32_e32 vcc_lo, v57, v57
	v_mul_f32_e32 v92, v42, v92
	v_mul_f32_e32 v59, v44, v59
	v_lshlrev_b32_e32 v60, 16, v60
	v_and_b32_e32 v61, 0xffff0000, v61
	v_cndmask_b32_e32 v57, v64, v68, vcc_lo
	v_add3_u32 v64, v69, v62, 0x7fff
	v_or_b32_e32 v68, 0x400000, v62
	v_bfe_u32 v69, v58, 16, 1
	v_cmp_u_f32_e32 vcc_lo, v62, v62
	v_mul_f32_e32 v60, v46, v60
	v_or_b32_e32 v94, 0x400000, v59
	v_and_b32_e32 v57, 0xffff0000, v57
	v_add_f32_e32 v48, v63, v48
	v_cndmask_b32_e32 v62, v64, v68, vcc_lo
	v_add3_u32 v64, v69, v58, 0x7fff
	v_or_b32_e32 v68, 0x400000, v58
	v_bfe_u32 v69, v92, 16, 1
	v_cmp_u_f32_e32 vcc_lo, v58, v58
	v_and_b32_e32 v62, 0xffff0000, v62
	v_add_f32_e32 v57, v57, v61
	v_add_f32_e32 v74, v74, v48
	v_cndmask_b32_e32 v58, v64, v68, vcc_lo
	v_bfe_u32 v64, v59, 16, 1
	v_add3_u32 v68, v69, v92, 0x7fff
	v_mul_f32_e32 v69, v43, v93
	v_or_b32_e32 v93, 0x400000, v92
	v_cmp_u_f32_e32 vcc_lo, v92, v92
	v_add3_u32 v64, v64, v59, 0x7fff
	v_bfe_u32 v92, v60, 16, 1
	v_bfe_u32 v95, v69, 16, 1
	v_and_b32_e32 v58, 0xffff0000, v58
	v_cndmask_b32_e32 v68, v68, v93, vcc_lo
	v_cmp_u_f32_e32 vcc_lo, v59, v59
	v_add3_u32 v92, v92, v60, 0x7fff
	v_or_b32_e32 v93, 0x400000, v69
	v_add_f32_e32 v58, v58, v62
	v_and_b32_e32 v61, 0xffff0000, v68
	v_cndmask_b32_e32 v59, v64, v94, vcc_lo
	v_or_b32_e32 v94, 0x400000, v60
	v_cmp_u_f32_e32 vcc_lo, v60, v60
	v_add3_u32 v64, v95, v69, 0x7fff
	v_add_f32_e32 v57, v58, v57
	v_and_b32_e32 v59, 0xffff0000, v59
	v_cndmask_b32_e32 v60, v92, v94, vcc_lo
	v_cmp_u_f32_e32 vcc_lo, v69, v69
	v_add_f32_e32 v58, v59, v61
	v_and_b32_e32 v59, 0xffff0000, v53
	v_and_b32_e32 v60, 0xffff0000, v60
	v_cndmask_b32_e32 v62, v64, v93, vcc_lo
	v_lshlrev_b32_e32 v53, 16, v53
	v_add_f32_e32 v57, v58, v57
	v_mul_f32_e32 v59, v0, v59
	v_and_b32_e32 v61, 0xffff0000, v62
	v_mul_f32_e32 v53, v45, v53
	v_cmp_u_f32_e32 vcc_lo, v59, v59
	v_add_f32_e32 v58, v60, v61
	v_and_b32_e32 v60, 0xffff0000, v54
	v_bfe_u32 v61, v59, 16, 1
	v_bfe_u32 v48, v53, 16, 1
	v_lshlrev_b32_e32 v54, 16, v54
	v_add_f32_e32 v57, v58, v57
	v_mul_f32_e32 v58, v41, v60
	v_add3_u32 v60, v61, v59, 0x7fff
	v_or_b32_e32 v61, 0x400000, v59
	v_add3_u32 v48, v48, v53, 0x7fff
	v_or_b32_e32 v62, 0x400000, v53
	v_bfe_u32 v63, v58, 16, 1
	v_add_f32_e32 v75, v75, v57
	v_cndmask_b32_e32 v59, v60, v61, vcc_lo
	v_cmp_u_f32_e32 vcc_lo, v53, v53
	v_mul_f32_e32 v53, v47, v54
	v_and_b32_e32 v61, 0xffff0000, v55
	v_add3_u32 v54, v63, v58, 0x7fff
	v_or_b32_e32 v60, 0x400000, v58
	v_cndmask_b32_e32 v48, v48, v62, vcc_lo
	v_lshlrev_b32_e32 v55, 16, v55
	v_bfe_u32 v62, v53, 16, 1
	v_cmp_u_f32_e32 vcc_lo, v58, v58
	v_mul_f32_e32 v58, v42, v61
	v_or_b32_e32 v61, 0x400000, v53
	v_mul_f32_e32 v55, v44, v55
	v_and_b32_e32 v48, 0xffff0000, v48
	v_cndmask_b32_e32 v54, v54, v60, vcc_lo
	v_add3_u32 v60, v62, v53, 0x7fff
	v_and_b32_e32 v62, 0xffff0000, v56
	v_bfe_u32 v63, v58, 16, 1
	v_cmp_u_f32_e32 vcc_lo, v53, v53
	v_bfe_u32 v64, v55, 16, 1
	v_lshlrev_b32_e32 v56, 16, v56
	v_and_b32_e32 v59, 0xffff0000, v59
	v_and_b32_e32 v54, 0xffff0000, v54
	v_cndmask_b32_e32 v53, v60, v61, vcc_lo
	v_mul_f32_e32 v60, v43, v62
	v_add3_u32 v61, v63, v58, 0x7fff
	v_or_b32_e32 v62, 0x400000, v58
	v_cmp_u_f32_e32 vcc_lo, v58, v58
	v_add3_u32 v63, v64, v55, 0x7fff
	v_or_b32_e32 v64, 0x400000, v55
	v_bfe_u32 v68, v60, 16, 1
	v_and_b32_e32 v53, 0xffff0000, v53
	v_cndmask_b32_e32 v58, v61, v62, vcc_lo
	v_cmp_u_f32_e32 vcc_lo, v55, v55
	v_or_b32_e32 v62, 0x400000, v60
	v_add3_u32 v61, v68, v60, 0x7fff
	v_mul_f32_e32 v56, v46, v56
	v_add_f32_e32 v48, v48, v59
	v_cndmask_b32_e32 v55, v63, v64, vcc_lo
	v_cmp_u_f32_e32 vcc_lo, v60, v60
	v_add_f32_e32 v53, v53, v54
	v_and_b32_e32 v58, 0xffff0000, v58
	v_and_b32_e32 v54, 0xffff0000, v55
	;; [unrolled: 1-line block ×3, first 2 shown]
	v_cndmask_b32_e32 v60, v61, v62, vcc_lo
	v_bfe_u32 v61, v56, 16, 1
	v_add_f32_e32 v48, v53, v48
	v_add_f32_e32 v54, v54, v58
	v_mul_f32_e32 v53, v0, v55
	v_lshlrev_b32_e32 v49, 16, v49
	v_add3_u32 v59, v61, v56, 0x7fff
	v_or_b32_e32 v61, 0x400000, v56
	v_cmp_u_f32_e32 vcc_lo, v56, v56
	v_bfe_u32 v56, v53, 16, 1
	v_add_f32_e32 v48, v54, v48
	v_mul_f32_e32 v49, v45, v49
	v_and_b32_e32 v54, 0xffff0000, v50
	v_cndmask_b32_e32 v55, v59, v61, vcc_lo
	v_add3_u32 v56, v56, v53, 0x7fff
	v_or_b32_e32 v58, 0x400000, v53
	v_bfe_u32 v59, v49, 16, 1
	v_mul_f32_e32 v54, v41, v54
	v_lshlrev_b32_e32 v50, 16, v50
	v_cmp_u_f32_e32 vcc_lo, v53, v53
	v_and_b32_e32 v61, 0xffff0000, v51
	v_lshlrev_b32_e32 v51, 16, v51
	v_and_b32_e32 v62, 0xffff0000, v52
	v_mul_f32_e32 v50, v47, v50
	v_cndmask_b32_e32 v53, v56, v58, vcc_lo
	v_add3_u32 v56, v59, v49, 0x7fff
	v_or_b32_e32 v58, 0x400000, v49
	v_bfe_u32 v59, v54, 16, 1
	v_cmp_u_f32_e32 vcc_lo, v49, v49
	v_mul_f32_e32 v61, v42, v61
	v_mul_f32_e32 v51, v44, v51
	v_lshlrev_b32_e32 v52, 16, v52
	v_and_b32_e32 v53, 0xffff0000, v53
	v_cndmask_b32_e32 v49, v56, v58, vcc_lo
	v_add3_u32 v56, v59, v54, 0x7fff
	v_or_b32_e32 v58, 0x400000, v54
	v_bfe_u32 v59, v50, 16, 1
	v_cmp_u_f32_e32 vcc_lo, v54, v54
	v_mul_f32_e32 v52, v46, v52
	v_or_b32_e32 v63, 0x400000, v51
	v_and_b32_e32 v49, 0xffff0000, v49
	v_and_b32_e32 v55, 0xffff0000, v55
	v_cndmask_b32_e32 v54, v56, v58, vcc_lo
	v_add3_u32 v56, v59, v50, 0x7fff
	v_or_b32_e32 v58, 0x400000, v50
	v_bfe_u32 v59, v61, 16, 1
	v_cmp_u_f32_e32 vcc_lo, v50, v50
	v_bfe_u32 v68, v52, 16, 1
	v_and_b32_e32 v54, 0xffff0000, v54
	v_add_f32_e32 v49, v49, v53
	v_cndmask_b32_e32 v50, v56, v58, vcc_lo
	v_bfe_u32 v56, v51, 16, 1
	v_add3_u32 v58, v59, v61, 0x7fff
	v_mul_f32_e32 v59, v43, v62
	v_or_b32_e32 v62, 0x400000, v61
	v_cmp_u_f32_e32 vcc_lo, v61, v61
	v_add3_u32 v56, v56, v51, 0x7fff
	v_add3_u32 v61, v68, v52, 0x7fff
	v_bfe_u32 v64, v59, 16, 1
	v_and_b32_e32 v50, 0xffff0000, v50
	v_cndmask_b32_e32 v58, v58, v62, vcc_lo
	v_cmp_u_f32_e32 vcc_lo, v51, v51
	v_or_b32_e32 v62, 0x400000, v52
	v_add_f32_e32 v50, v50, v54
	v_and_b32_e32 v53, 0xffff0000, v58
	v_cndmask_b32_e32 v51, v56, v63, vcc_lo
	v_cmp_u_f32_e32 vcc_lo, v52, v52
	v_add3_u32 v56, v64, v59, 0x7fff
	v_or_b32_e32 v63, 0x400000, v59
	v_add_f32_e32 v49, v50, v49
	v_and_b32_e32 v51, 0xffff0000, v51
	v_cndmask_b32_e32 v52, v61, v62, vcc_lo
	v_cmp_u_f32_e32 vcc_lo, v59, v59
	v_add_f32_e32 v50, v51, v53
	v_and_b32_e32 v51, 0xffff0000, v52
	v_cndmask_b32_e32 v54, v56, v63, vcc_lo
	v_and_b32_e32 v56, 0xffff0000, v60
	v_and_b32_e32 v53, 0xffff0000, v37
	v_lshlrev_b32_e32 v37, 16, v37
	v_add_f32_e32 v49, v50, v49
	v_and_b32_e32 v52, 0xffff0000, v54
	v_add_f32_e32 v54, v55, v56
	v_mul_f32_e32 v37, v45, v37
	v_add_f32_e32 v50, v51, v52
	v_mul_f32_e32 v51, v0, v53
	v_add_f32_e32 v48, v54, v48
	v_and_b32_e32 v52, 0xffff0000, v38
	v_or_b32_e32 v53, 0x400000, v37
	v_add_f32_e32 v49, v50, v49
	v_bfe_u32 v50, v51, 16, 1
	v_add_f32_e32 v76, v76, v48
	v_bfe_u32 v48, v37, 16, 1
	v_cmp_u_f32_e32 vcc_lo, v51, v51
	v_add_f32_e32 v77, v77, v49
	v_add3_u32 v49, v50, v51, 0x7fff
	v_or_b32_e32 v50, 0x400000, v51
	v_add3_u32 v48, v48, v37, 0x7fff
	v_mul_f32_e32 v52, v41, v52
	v_lshlrev_b32_e32 v38, 16, v38
	v_and_b32_e32 v54, 0xffff0000, v40
	v_cndmask_b32_e32 v49, v49, v50, vcc_lo
	v_cmp_u_f32_e32 vcc_lo, v37, v37
	v_bfe_u32 v50, v52, 16, 1
	v_mul_f32_e32 v38, v47, v38
	v_or_b32_e32 v51, 0x400000, v52
	v_lshlrev_b32_e32 v40, 16, v40
	v_cndmask_b32_e32 v37, v48, v53, vcc_lo
	v_and_b32_e32 v48, 0xffff0000, v39
	v_add3_u32 v50, v50, v52, 0x7fff
	v_lshlrev_b32_e32 v39, 16, v39
	v_bfe_u32 v53, v38, 16, 1
	v_cmp_u_f32_e32 vcc_lo, v52, v52
	v_mul_f32_e32 v48, v42, v48
	v_or_b32_e32 v52, 0x400000, v38
	v_mul_f32_e32 v39, v44, v39
	v_mul_f32_e32 v40, v46, v40
	v_cndmask_b32_e32 v50, v50, v51, vcc_lo
	v_add3_u32 v51, v53, v38, 0x7fff
	v_bfe_u32 v53, v48, 16, 1
	v_cmp_u_f32_e32 vcc_lo, v38, v38
	v_bfe_u32 v55, v39, 16, 1
	v_and_b32_e32 v37, 0xffff0000, v37
	v_and_b32_e32 v49, 0xffff0000, v49
	;; [unrolled: 1-line block ×3, first 2 shown]
	v_cndmask_b32_e32 v38, v51, v52, vcc_lo
	v_add3_u32 v51, v53, v48, 0x7fff
	v_mul_f32_e32 v52, v43, v54
	v_or_b32_e32 v53, 0x400000, v48
	v_cmp_u_f32_e32 vcc_lo, v48, v48
	v_add3_u32 v54, v55, v39, 0x7fff
	v_or_b32_e32 v55, 0x400000, v39
	v_bfe_u32 v56, v52, 16, 1
	v_and_b32_e32 v38, 0xffff0000, v38
	v_cndmask_b32_e32 v48, v51, v53, vcc_lo
	v_cmp_u_f32_e32 vcc_lo, v39, v39
	v_or_b32_e32 v53, 0x400000, v52
	v_add3_u32 v51, v56, v52, 0x7fff
	v_add_f32_e32 v37, v37, v49
	v_add_f32_e32 v38, v38, v50
	v_cndmask_b32_e32 v39, v54, v55, vcc_lo
	v_bfe_u32 v54, v40, 16, 1
	v_cmp_u_f32_e32 vcc_lo, v52, v52
	v_and_b32_e32 v49, 0xffff0000, v33
	v_and_b32_e32 v48, 0xffff0000, v48
	;; [unrolled: 1-line block ×3, first 2 shown]
	v_add3_u32 v52, v54, v40, 0x7fff
	v_cndmask_b32_e32 v51, v51, v53, vcc_lo
	v_or_b32_e32 v53, 0x400000, v40
	v_cmp_u_f32_e32 vcc_lo, v40, v40
	v_add_f32_e32 v37, v38, v37
	v_mul_f32_e32 v38, v0, v49
	v_add_f32_e32 v39, v39, v48
	v_lshlrev_b32_e32 v33, 16, v33
	v_cndmask_b32_e32 v40, v52, v53, vcc_lo
	v_and_b32_e32 v48, 0xffff0000, v51
	v_bfe_u32 v49, v38, 16, 1
	v_add_f32_e32 v37, v39, v37
	v_mul_f32_e32 v33, v45, v33
	v_and_b32_e32 v40, 0xffff0000, v40
	v_and_b32_e32 v39, 0xffff0000, v34
	v_lshlrev_b32_e32 v34, 16, v34
	v_cmp_u_f32_e32 vcc_lo, v38, v38
	v_bfe_u32 v50, v33, 16, 1
	v_add_f32_e32 v40, v40, v48
	v_add3_u32 v48, v49, v38, 0x7fff
	v_or_b32_e32 v49, 0x400000, v38
	v_mul_f32_e32 v39, v41, v39
	v_mul_f32_e32 v34, v47, v34
	v_and_b32_e32 v51, 0xffff0000, v35
	v_lshlrev_b32_e32 v35, 16, v35
	v_cndmask_b32_e32 v38, v48, v49, vcc_lo
	v_add3_u32 v48, v50, v33, 0x7fff
	v_or_b32_e32 v49, 0x400000, v33
	v_bfe_u32 v50, v39, 16, 1
	v_cmp_u_f32_e32 vcc_lo, v33, v33
	v_mul_f32_e32 v51, v42, v51
	v_mul_f32_e32 v35, v44, v35
	v_and_b32_e32 v52, 0xffff0000, v36
	v_lshlrev_b32_e32 v36, 16, v36
	v_cndmask_b32_e32 v33, v48, v49, vcc_lo
	v_add3_u32 v48, v50, v39, 0x7fff
	v_or_b32_e32 v49, 0x400000, v39
	v_bfe_u32 v50, v34, 16, 1
	v_cmp_u_f32_e32 vcc_lo, v39, v39
	v_mul_f32_e32 v36, v46, v36
	v_or_b32_e32 v53, 0x400000, v35
	v_and_b32_e32 v33, 0xffff0000, v33
	v_and_b32_e32 v38, 0xffff0000, v38
	v_cndmask_b32_e32 v39, v48, v49, vcc_lo
	v_add3_u32 v48, v50, v34, 0x7fff
	v_or_b32_e32 v49, 0x400000, v34
	v_bfe_u32 v50, v51, 16, 1
	v_cmp_u_f32_e32 vcc_lo, v34, v34
	v_and_b32_e32 v39, 0xffff0000, v39
	v_add_f32_e32 v33, v33, v38
	v_add_f32_e32 v37, v40, v37
	v_cndmask_b32_e32 v34, v48, v49, vcc_lo
	v_bfe_u32 v48, v35, 16, 1
	v_add3_u32 v49, v50, v51, 0x7fff
	v_mul_f32_e32 v50, v43, v52
	v_or_b32_e32 v52, 0x400000, v51
	v_cmp_u_f32_e32 vcc_lo, v51, v51
	v_add3_u32 v48, v48, v35, 0x7fff
	v_bfe_u32 v51, v36, 16, 1
	v_bfe_u32 v54, v50, 16, 1
	v_and_b32_e32 v34, 0xffff0000, v34
	v_cndmask_b32_e32 v49, v49, v52, vcc_lo
	v_cmp_u_f32_e32 vcc_lo, v35, v35
	v_add3_u32 v51, v51, v36, 0x7fff
	v_or_b32_e32 v52, 0x400000, v50
	v_add_f32_e32 v34, v34, v39
	v_and_b32_e32 v38, 0xffff0000, v49
	v_cndmask_b32_e32 v35, v48, v53, vcc_lo
	v_or_b32_e32 v53, 0x400000, v36
	v_cmp_u_f32_e32 vcc_lo, v36, v36
	v_add3_u32 v48, v54, v50, 0x7fff
	v_add_f32_e32 v33, v34, v33
	v_and_b32_e32 v35, 0xffff0000, v35
	v_add_f32_e32 v78, v78, v37
	v_cndmask_b32_e32 v36, v51, v53, vcc_lo
	v_cmp_u_f32_e32 vcc_lo, v50, v50
	v_add_f32_e32 v34, v35, v38
	v_and_b32_e32 v35, 0xffff0000, v29
	v_and_b32_e32 v36, 0xffff0000, v36
	v_cndmask_b32_e32 v39, v48, v52, vcc_lo
	v_lshlrev_b32_e32 v29, 16, v29
	v_add_f32_e32 v33, v34, v33
	v_mul_f32_e32 v35, v0, v35
	v_and_b32_e32 v38, 0xffff0000, v39
	v_mul_f32_e32 v29, v45, v29
	v_cmp_u_f32_e32 vcc_lo, v35, v35
	v_add_f32_e32 v34, v36, v38
	v_and_b32_e32 v36, 0xffff0000, v30
	v_bfe_u32 v38, v35, 16, 1
	v_bfe_u32 v37, v29, 16, 1
	v_or_b32_e32 v39, 0x400000, v29
	v_add_f32_e32 v33, v34, v33
	v_mul_f32_e32 v34, v41, v36
	v_add3_u32 v36, v38, v35, 0x7fff
	v_or_b32_e32 v38, 0x400000, v35
	v_add3_u32 v37, v37, v29, 0x7fff
	v_lshlrev_b32_e32 v30, 16, v30
	v_bfe_u32 v40, v34, 16, 1
	v_add_f32_e32 v79, v79, v33
	v_cndmask_b32_e32 v35, v36, v38, vcc_lo
	v_cmp_u_f32_e32 vcc_lo, v29, v29
	v_mul_f32_e32 v30, v47, v30
	v_add3_u32 v36, v40, v34, 0x7fff
	v_and_b32_e32 v38, 0xffff0000, v31
	v_lshlrev_b32_e32 v31, 16, v31
	v_cndmask_b32_e32 v29, v37, v39, vcc_lo
	v_or_b32_e32 v37, 0x400000, v34
	v_cmp_u_f32_e32 vcc_lo, v34, v34
	v_bfe_u32 v39, v30, 16, 1
	v_mul_f32_e32 v31, v44, v31
	v_and_b32_e32 v29, 0xffff0000, v29
	v_and_b32_e32 v35, 0xffff0000, v35
	v_cndmask_b32_e32 v34, v36, v37, vcc_lo
	v_mul_f32_e32 v36, v42, v38
	v_add3_u32 v37, v39, v30, 0x7fff
	v_or_b32_e32 v38, 0x400000, v30
	v_and_b32_e32 v39, 0xffff0000, v32
	v_cmp_u_f32_e32 vcc_lo, v30, v30
	v_bfe_u32 v40, v36, 16, 1
	v_bfe_u32 v48, v31, 16, 1
	v_lshlrev_b32_e32 v32, 16, v32
	v_and_b32_e32 v34, 0xffff0000, v34
	v_cndmask_b32_e32 v30, v37, v38, vcc_lo
	v_mul_f32_e32 v37, v43, v39
	v_add3_u32 v38, v40, v36, 0x7fff
	v_or_b32_e32 v39, 0x400000, v36
	v_cmp_u_f32_e32 vcc_lo, v36, v36
	v_add3_u32 v40, v48, v31, 0x7fff
	v_or_b32_e32 v48, 0x400000, v31
	v_bfe_u32 v49, v37, 16, 1
	v_and_b32_e32 v30, 0xffff0000, v30
	v_cndmask_b32_e32 v36, v38, v39, vcc_lo
	v_cmp_u_f32_e32 vcc_lo, v31, v31
	v_or_b32_e32 v39, 0x400000, v37
	v_add3_u32 v38, v49, v37, 0x7fff
	v_mul_f32_e32 v32, v46, v32
	v_add_f32_e32 v29, v29, v35
	v_cndmask_b32_e32 v31, v40, v48, vcc_lo
	v_cmp_u_f32_e32 vcc_lo, v37, v37
	v_add_f32_e32 v30, v30, v34
	v_and_b32_e32 v34, 0xffff0000, v25
	v_and_b32_e32 v35, 0xffff0000, v36
	;; [unrolled: 1-line block ×3, first 2 shown]
	v_cndmask_b32_e32 v37, v38, v39, vcc_lo
	v_bfe_u32 v38, v32, 16, 1
	v_add_f32_e32 v29, v30, v29
	v_mul_f32_e32 v30, v0, v34
	v_add_f32_e32 v31, v31, v35
	v_lshlrev_b32_e32 v25, 16, v25
	v_add3_u32 v36, v38, v32, 0x7fff
	v_or_b32_e32 v38, 0x400000, v32
	v_cmp_u_f32_e32 vcc_lo, v32, v32
	v_bfe_u32 v34, v30, 16, 1
	v_add_f32_e32 v29, v31, v29
	v_mul_f32_e32 v25, v45, v25
	v_and_b32_e32 v31, 0xffff0000, v26
	v_cndmask_b32_e32 v32, v36, v38, vcc_lo
	v_add3_u32 v34, v34, v30, 0x7fff
	v_or_b32_e32 v35, 0x400000, v30
	v_bfe_u32 v36, v25, 16, 1
	v_mul_f32_e32 v31, v41, v31
	v_lshlrev_b32_e32 v26, 16, v26
	v_cmp_u_f32_e32 vcc_lo, v30, v30
	v_and_b32_e32 v38, 0xffff0000, v27
	v_lshlrev_b32_e32 v27, 16, v27
	v_and_b32_e32 v39, 0xffff0000, v28
	v_mul_f32_e32 v26, v47, v26
	v_cndmask_b32_e32 v30, v34, v35, vcc_lo
	v_add3_u32 v34, v36, v25, 0x7fff
	v_or_b32_e32 v35, 0x400000, v25
	v_bfe_u32 v36, v31, 16, 1
	v_cmp_u_f32_e32 vcc_lo, v25, v25
	v_mul_f32_e32 v38, v42, v38
	v_mul_f32_e32 v27, v44, v27
	v_lshlrev_b32_e32 v28, 16, v28
	v_and_b32_e32 v30, 0xffff0000, v30
	v_cndmask_b32_e32 v25, v34, v35, vcc_lo
	v_add3_u32 v34, v36, v31, 0x7fff
	v_or_b32_e32 v35, 0x400000, v31
	v_bfe_u32 v36, v26, 16, 1
	v_cmp_u_f32_e32 vcc_lo, v31, v31
	v_mul_f32_e32 v28, v46, v28
	v_or_b32_e32 v40, 0x400000, v27
	v_and_b32_e32 v25, 0xffff0000, v25
	v_and_b32_e32 v32, 0xffff0000, v32
	v_cndmask_b32_e32 v31, v34, v35, vcc_lo
	v_add3_u32 v34, v36, v26, 0x7fff
	v_or_b32_e32 v35, 0x400000, v26
	v_bfe_u32 v36, v38, 16, 1
	v_cmp_u_f32_e32 vcc_lo, v26, v26
	v_bfe_u32 v49, v28, 16, 1
	v_and_b32_e32 v31, 0xffff0000, v31
	v_add_f32_e32 v25, v25, v30
	v_cndmask_b32_e32 v26, v34, v35, vcc_lo
	v_bfe_u32 v34, v27, 16, 1
	v_add3_u32 v35, v36, v38, 0x7fff
	v_mul_f32_e32 v36, v43, v39
	v_or_b32_e32 v39, 0x400000, v38
	v_cmp_u_f32_e32 vcc_lo, v38, v38
	v_add3_u32 v34, v34, v27, 0x7fff
	v_add3_u32 v38, v49, v28, 0x7fff
	v_bfe_u32 v48, v36, 16, 1
	v_and_b32_e32 v26, 0xffff0000, v26
	v_cndmask_b32_e32 v35, v35, v39, vcc_lo
	v_cmp_u_f32_e32 vcc_lo, v27, v27
	v_or_b32_e32 v39, 0x400000, v28
	v_add_f32_e32 v26, v26, v31
	v_and_b32_e32 v30, 0xffff0000, v35
	v_cndmask_b32_e32 v27, v34, v40, vcc_lo
	v_cmp_u_f32_e32 vcc_lo, v28, v28
	v_add3_u32 v34, v48, v36, 0x7fff
	v_or_b32_e32 v40, 0x400000, v36
	v_add_f32_e32 v25, v26, v25
	v_and_b32_e32 v27, 0xffff0000, v27
	v_cndmask_b32_e32 v28, v38, v39, vcc_lo
	v_cmp_u_f32_e32 vcc_lo, v36, v36
	v_add_f32_e32 v26, v27, v30
	v_and_b32_e32 v27, 0xffff0000, v28
	v_cndmask_b32_e32 v31, v34, v40, vcc_lo
	v_and_b32_e32 v34, 0xffff0000, v37
	v_and_b32_e32 v30, 0xffff0000, v21
	v_lshlrev_b32_e32 v21, 16, v21
	v_add_f32_e32 v25, v26, v25
	v_and_b32_e32 v28, 0xffff0000, v31
	v_add_f32_e32 v31, v32, v34
	v_mul_f32_e32 v21, v45, v21
	v_add_f32_e32 v26, v27, v28
	v_mul_f32_e32 v27, v0, v30
	v_add_f32_e32 v28, v31, v29
	v_and_b32_e32 v29, 0xffff0000, v22
	v_lshlrev_b32_e32 v22, 16, v22
	v_add_f32_e32 v25, v26, v25
	v_bfe_u32 v26, v27, 16, 1
	v_add_f32_e32 v80, v80, v28
	v_bfe_u32 v28, v21, 16, 1
	v_mul_f32_e32 v29, v41, v29
	v_add_f32_e32 v81, v81, v25
	v_add3_u32 v25, v26, v27, 0x7fff
	v_or_b32_e32 v26, 0x400000, v27
	v_cmp_u_f32_e32 vcc_lo, v27, v27
	v_add3_u32 v28, v28, v21, 0x7fff
	v_or_b32_e32 v30, 0x400000, v21
	v_mul_f32_e32 v22, v47, v22
	v_and_b32_e32 v27, 0xffff0000, v23
	v_cndmask_b32_e32 v25, v25, v26, vcc_lo
	v_bfe_u32 v26, v29, 16, 1
	v_cmp_u_f32_e32 vcc_lo, v21, v21
	v_lshlrev_b32_e32 v23, 16, v23
	v_mul_f32_e32 v27, v42, v27
	v_and_b32_e32 v31, 0xffff0000, v24
	v_add3_u32 v26, v26, v29, 0x7fff
	v_cndmask_b32_e32 v21, v28, v30, vcc_lo
	v_or_b32_e32 v28, 0x400000, v29
	v_bfe_u32 v30, v22, 16, 1
	v_cmp_u_f32_e32 vcc_lo, v29, v29
	v_mul_f32_e32 v23, v44, v23
	v_or_b32_e32 v29, 0x400000, v22
	v_lshlrev_b32_e32 v24, 16, v24
	v_and_b32_e32 v21, 0xffff0000, v21
	v_cndmask_b32_e32 v26, v26, v28, vcc_lo
	v_add3_u32 v28, v30, v22, 0x7fff
	v_bfe_u32 v30, v27, 16, 1
	v_cmp_u_f32_e32 vcc_lo, v22, v22
	v_bfe_u32 v32, v23, 16, 1
	v_mul_f32_e32 v24, v46, v24
	v_and_b32_e32 v25, 0xffff0000, v25
	v_and_b32_e32 v26, 0xffff0000, v26
	v_cndmask_b32_e32 v22, v28, v29, vcc_lo
	v_add3_u32 v28, v30, v27, 0x7fff
	v_mul_f32_e32 v29, v43, v31
	v_or_b32_e32 v30, 0x400000, v27
	v_cmp_u_f32_e32 vcc_lo, v27, v27
	v_add3_u32 v31, v32, v23, 0x7fff
	v_or_b32_e32 v32, 0x400000, v23
	v_bfe_u32 v33, v29, 16, 1
	v_and_b32_e32 v22, 0xffff0000, v22
	v_cndmask_b32_e32 v27, v28, v30, vcc_lo
	v_cmp_u_f32_e32 vcc_lo, v23, v23
	v_or_b32_e32 v30, 0x400000, v29
	v_add3_u32 v28, v33, v29, 0x7fff
	v_add_f32_e32 v21, v21, v25
	v_add_f32_e32 v22, v22, v26
	v_cndmask_b32_e32 v23, v31, v32, vcc_lo
	v_bfe_u32 v31, v24, 16, 1
	v_cmp_u_f32_e32 vcc_lo, v29, v29
	v_and_b32_e32 v26, 0xffff0000, v13
	v_and_b32_e32 v25, 0xffff0000, v27
	;; [unrolled: 1-line block ×3, first 2 shown]
	v_add3_u32 v29, v31, v24, 0x7fff
	v_cndmask_b32_e32 v28, v28, v30, vcc_lo
	v_or_b32_e32 v30, 0x400000, v24
	v_cmp_u_f32_e32 vcc_lo, v24, v24
	v_lshlrev_b32_e32 v13, 16, v13
	v_add_f32_e32 v21, v22, v21
	v_mul_f32_e32 v22, v0, v26
	v_add_f32_e32 v23, v23, v25
	v_cndmask_b32_e32 v24, v29, v30, vcc_lo
	v_mul_f32_e32 v13, v45, v13
	v_and_b32_e32 v25, 0xffff0000, v28
	v_bfe_u32 v26, v22, 16, 1
	v_add_f32_e32 v21, v23, v21
	v_and_b32_e32 v24, 0xffff0000, v24
	v_bfe_u32 v23, v13, 16, 1
	v_and_b32_e32 v27, 0xffff0000, v14
	v_cmp_u_f32_e32 vcc_lo, v22, v22
	v_or_b32_e32 v28, 0x400000, v13
	v_add_f32_e32 v24, v24, v25
	v_add3_u32 v25, v26, v22, 0x7fff
	v_or_b32_e32 v26, 0x400000, v22
	v_add3_u32 v23, v23, v13, 0x7fff
	v_mul_f32_e32 v27, v41, v27
	v_lshlrev_b32_e32 v14, 16, v14
	v_and_b32_e32 v29, 0xffff0000, v16
	v_cndmask_b32_e32 v22, v25, v26, vcc_lo
	v_cmp_u_f32_e32 vcc_lo, v13, v13
	v_bfe_u32 v25, v27, 16, 1
	v_mul_f32_e32 v14, v47, v14
	v_or_b32_e32 v26, 0x400000, v27
	v_lshlrev_b32_e32 v16, 16, v16
	v_cndmask_b32_e32 v13, v23, v28, vcc_lo
	v_and_b32_e32 v23, 0xffff0000, v15
	v_add3_u32 v25, v25, v27, 0x7fff
	v_lshlrev_b32_e32 v15, 16, v15
	v_bfe_u32 v28, v14, 16, 1
	v_cmp_u_f32_e32 vcc_lo, v27, v27
	v_mul_f32_e32 v23, v42, v23
	v_or_b32_e32 v27, 0x400000, v14
	v_mul_f32_e32 v15, v44, v15
	v_mul_f32_e32 v16, v46, v16
	v_cndmask_b32_e32 v25, v25, v26, vcc_lo
	v_add3_u32 v26, v28, v14, 0x7fff
	v_bfe_u32 v28, v23, 16, 1
	v_cmp_u_f32_e32 vcc_lo, v14, v14
	v_bfe_u32 v30, v15, 16, 1
	v_and_b32_e32 v13, 0xffff0000, v13
	v_and_b32_e32 v22, 0xffff0000, v22
	;; [unrolled: 1-line block ×3, first 2 shown]
	v_cndmask_b32_e32 v14, v26, v27, vcc_lo
	v_add3_u32 v26, v28, v23, 0x7fff
	v_mul_f32_e32 v27, v43, v29
	v_or_b32_e32 v28, 0x400000, v23
	v_cmp_u_f32_e32 vcc_lo, v23, v23
	v_add3_u32 v29, v30, v15, 0x7fff
	v_or_b32_e32 v30, 0x400000, v15
	v_bfe_u32 v31, v27, 16, 1
	v_and_b32_e32 v14, 0xffff0000, v14
	v_cndmask_b32_e32 v23, v26, v28, vcc_lo
	v_cmp_u_f32_e32 vcc_lo, v15, v15
	v_or_b32_e32 v28, 0x400000, v27
	v_add3_u32 v26, v31, v27, 0x7fff
	v_add_f32_e32 v13, v13, v22
	v_add_f32_e32 v14, v14, v25
	v_cndmask_b32_e32 v15, v29, v30, vcc_lo
	v_bfe_u32 v29, v16, 16, 1
	v_cmp_u_f32_e32 vcc_lo, v27, v27
	v_and_b32_e32 v22, 0xffff0000, v23
	v_add_f32_e32 v13, v14, v13
	v_and_b32_e32 v15, 0xffff0000, v15
	v_add3_u32 v27, v29, v16, 0x7fff
	v_cndmask_b32_e32 v26, v26, v28, vcc_lo
	v_or_b32_e32 v28, 0x400000, v16
	v_cmp_u_f32_e32 vcc_lo, v16, v16
	v_and_b32_e32 v14, 0xffff0000, v9
	v_add_f32_e32 v15, v15, v22
	v_lshlrev_b32_e32 v9, 16, v9
	v_and_b32_e32 v22, 0xffff0000, v26
	v_cndmask_b32_e32 v16, v27, v28, vcc_lo
	v_mul_f32_e32 v14, v0, v14
	v_add_f32_e32 v21, v24, v21
	v_mul_f32_e32 v23, v45, v9
	v_add_f32_e32 v9, v15, v13
	v_and_b32_e32 v16, 0xffff0000, v16
	v_bfe_u32 v15, v14, 16, 1
	v_add_f32_e32 v82, v82, v21
	v_and_b32_e32 v21, 0xffff0000, v10
	v_cmp_u_f32_e32 vcc_lo, v14, v14
	v_add_f32_e32 v13, v16, v22
	v_bfe_u32 v16, v23, 16, 1
	v_or_b32_e32 v22, 0x400000, v23
	v_mul_f32_e32 v21, v41, v21
	v_lshlrev_b32_e32 v10, 16, v10
	v_add_f32_e32 v9, v13, v9
	v_add3_u32 v13, v15, v14, 0x7fff
	v_or_b32_e32 v15, 0x400000, v14
	v_add3_u32 v16, v16, v23, 0x7fff
	v_bfe_u32 v14, v21, 16, 1
	v_mul_f32_e32 v10, v47, v10
	v_and_b32_e32 v24, 0xffff0000, v12
	v_cndmask_b32_e32 v13, v13, v15, vcc_lo
	v_cmp_u_f32_e32 vcc_lo, v23, v23
	v_add3_u32 v14, v14, v21, 0x7fff
	v_bfe_u32 v23, v10, 16, 1
	v_lshlrev_b32_e32 v12, 16, v12
	v_and_b32_e32 v13, 0xffff0000, v13
	v_cndmask_b32_e32 v15, v16, v22, vcc_lo
	v_and_b32_e32 v16, 0xffff0000, v11
	v_or_b32_e32 v22, 0x400000, v21
	v_lshlrev_b32_e32 v11, 16, v11
	v_cmp_u_f32_e32 vcc_lo, v21, v21
	v_add3_u32 v21, v23, v10, 0x7fff
	v_mul_f32_e32 v16, v42, v16
	v_mul_f32_e32 v12, v46, v12
	;; [unrolled: 1-line block ×3, first 2 shown]
	v_cndmask_b32_e32 v14, v14, v22, vcc_lo
	v_or_b32_e32 v22, 0x400000, v10
	v_bfe_u32 v23, v16, 16, 1
	v_cmp_u_f32_e32 vcc_lo, v10, v10
	v_bfe_u32 v25, v11, 16, 1
	v_and_b32_e32 v15, 0xffff0000, v15
	v_and_b32_e32 v14, 0xffff0000, v14
	v_add_f32_e32 v83, v83, v9
	v_cndmask_b32_e32 v10, v21, v22, vcc_lo
	v_add3_u32 v21, v23, v16, 0x7fff
	v_mul_f32_e32 v22, v43, v24
	v_or_b32_e32 v23, 0x400000, v16
	v_cmp_u_f32_e32 vcc_lo, v16, v16
	v_add3_u32 v24, v25, v11, 0x7fff
	v_or_b32_e32 v25, 0x400000, v11
	v_bfe_u32 v26, v22, 16, 1
	v_and_b32_e32 v10, 0xffff0000, v10
	v_cndmask_b32_e32 v16, v21, v23, vcc_lo
	v_cmp_u_f32_e32 vcc_lo, v11, v11
	v_or_b32_e32 v23, 0x400000, v22
	v_add3_u32 v21, v26, v22, 0x7fff
	v_add_f32_e32 v13, v15, v13
	v_add_f32_e32 v10, v10, v14
	v_cndmask_b32_e32 v11, v24, v25, vcc_lo
	v_bfe_u32 v24, v12, 16, 1
	v_cmp_u_f32_e32 vcc_lo, v22, v22
	v_and_b32_e32 v15, 0xffff0000, v5
	v_and_b32_e32 v14, 0xffff0000, v16
	;; [unrolled: 1-line block ×3, first 2 shown]
	v_add3_u32 v22, v24, v12, 0x7fff
	v_cndmask_b32_e32 v21, v21, v23, vcc_lo
	v_or_b32_e32 v23, 0x400000, v12
	v_cmp_u_f32_e32 vcc_lo, v12, v12
	v_lshlrev_b32_e32 v5, 16, v5
	v_add_f32_e32 v10, v10, v13
	v_mul_f32_e32 v13, v0, v15
	v_add_f32_e32 v11, v11, v14
	v_cndmask_b32_e32 v12, v22, v23, vcc_lo
	v_mul_f32_e32 v14, v45, v5
	v_and_b32_e32 v15, 0xffff0000, v21
	v_and_b32_e32 v16, 0xffff0000, v6
	v_bfe_u32 v21, v13, 16, 1
	v_and_b32_e32 v12, 0xffff0000, v12
	v_add_f32_e32 v5, v11, v10
	v_bfe_u32 v11, v14, 16, 1
	v_cmp_u_f32_e32 vcc_lo, v13, v13
	v_lshlrev_b32_e32 v6, 16, v6
	v_add_f32_e32 v10, v12, v15
	v_mul_f32_e32 v12, v41, v16
	v_add3_u32 v15, v21, v13, 0x7fff
	v_or_b32_e32 v16, 0x400000, v13
	v_add3_u32 v11, v11, v14, 0x7fff
	v_or_b32_e32 v21, 0x400000, v14
	v_bfe_u32 v22, v12, 16, 1
	v_mul_f32_e32 v6, v47, v6
	v_cndmask_b32_e32 v13, v15, v16, vcc_lo
	v_cmp_u_f32_e32 vcc_lo, v14, v14
	v_or_b32_e32 v15, 0x400000, v12
	v_add3_u32 v14, v22, v12, 0x7fff
	v_and_b32_e32 v16, 0xffff0000, v7
	v_lshlrev_b32_e32 v7, 16, v7
	v_cndmask_b32_e32 v11, v11, v21, vcc_lo
	v_cmp_u_f32_e32 vcc_lo, v12, v12
	v_bfe_u32 v21, v6, 16, 1
	v_and_b32_e32 v13, 0xffff0000, v13
	v_mul_f32_e32 v7, v44, v7
	v_and_b32_e32 v11, 0xffff0000, v11
	v_cndmask_b32_e32 v12, v14, v15, vcc_lo
	v_mul_f32_e32 v14, v42, v16
	v_add3_u32 v15, v21, v6, 0x7fff
	v_or_b32_e32 v16, 0x400000, v6
	v_and_b32_e32 v21, 0xffff0000, v8
	v_cmp_u_f32_e32 vcc_lo, v6, v6
	v_bfe_u32 v22, v14, 16, 1
	v_bfe_u32 v23, v7, 16, 1
	v_lshlrev_b32_e32 v8, 16, v8
	v_and_b32_e32 v12, 0xffff0000, v12
	v_cndmask_b32_e32 v6, v15, v16, vcc_lo
	v_mul_f32_e32 v15, v43, v21
	v_add3_u32 v16, v22, v14, 0x7fff
	v_or_b32_e32 v21, 0x400000, v14
	v_cmp_u_f32_e32 vcc_lo, v14, v14
	v_add3_u32 v22, v23, v7, 0x7fff
	v_or_b32_e32 v23, 0x400000, v7
	v_bfe_u32 v24, v15, 16, 1
	v_and_b32_e32 v6, 0xffff0000, v6
	v_cndmask_b32_e32 v14, v16, v21, vcc_lo
	v_cmp_u_f32_e32 vcc_lo, v7, v7
	v_or_b32_e32 v21, 0x400000, v15
	v_add3_u32 v16, v24, v15, 0x7fff
	v_mul_f32_e32 v8, v46, v8
	v_add_f32_e32 v11, v11, v13
	v_cndmask_b32_e32 v7, v22, v23, vcc_lo
	v_cmp_u_f32_e32 vcc_lo, v15, v15
	v_add_f32_e32 v6, v6, v12
	v_and_b32_e32 v12, 0xffff0000, v1
	v_and_b32_e32 v13, 0xffff0000, v14
	;; [unrolled: 1-line block ×3, first 2 shown]
	v_cndmask_b32_e32 v15, v16, v21, vcc_lo
	v_bfe_u32 v16, v8, 16, 1
	v_add_f32_e32 v6, v6, v11
	v_mul_f32_e32 v11, v0, v12
	v_add_f32_e32 v7, v7, v13
	v_lshlrev_b32_e32 v1, 16, v1
	v_add3_u32 v14, v16, v8, 0x7fff
	v_or_b32_e32 v16, 0x400000, v8
	v_cmp_u_f32_e32 vcc_lo, v8, v8
	v_bfe_u32 v12, v11, 16, 1
	v_add_f32_e32 v6, v7, v6
	v_and_b32_e32 v7, 0xffff0000, v2
	v_mul_f32_e32 v1, v45, v1
	v_cndmask_b32_e32 v8, v14, v16, vcc_lo
	v_add3_u32 v12, v12, v11, 0x7fff
	v_or_b32_e32 v13, 0x400000, v11
	v_mul_f32_e32 v7, v41, v7
	v_and_b32_e32 v14, 0xffff0000, v15
	v_bfe_u32 v15, v1, 16, 1
	v_cmp_u_f32_e32 vcc_lo, v11, v11
	v_lshlrev_b32_e32 v2, 16, v2
	v_or_b32_e32 v16, 0x400000, v1
	v_or_b32_e32 v21, 0x400000, v7
	v_and_b32_e32 v8, 0xffff0000, v8
	v_cndmask_b32_e32 v11, v12, v13, vcc_lo
	v_bfe_u32 v12, v7, 16, 1
	v_add3_u32 v13, v15, v1, 0x7fff
	v_and_b32_e32 v15, 0xffff0000, v3
	v_mul_f32_e32 v2, v47, v2
	v_cmp_u_f32_e32 vcc_lo, v1, v1
	v_add3_u32 v12, v12, v7, 0x7fff
	v_lshlrev_b32_e32 v3, 16, v3
	v_mul_f32_e32 v15, v42, v15
	v_and_b32_e32 v11, 0xffff0000, v11
	v_cndmask_b32_e32 v1, v13, v16, vcc_lo
	v_bfe_u32 v13, v2, 16, 1
	v_cmp_u_f32_e32 vcc_lo, v7, v7
	v_and_b32_e32 v16, 0xffff0000, v4
	v_mul_f32_e32 v3, v44, v3
	v_or_b32_e32 v22, 0x400000, v15
	v_add3_u32 v13, v13, v2, 0x7fff
	v_cndmask_b32_e32 v7, v12, v21, vcc_lo
	v_bfe_u32 v12, v15, 16, 1
	v_or_b32_e32 v21, 0x400000, v2
	v_cmp_u_f32_e32 vcc_lo, v2, v2
	v_mul_f32_e32 v16, v43, v16
	v_lshlrev_b32_e32 v4, 16, v4
	v_add3_u32 v12, v12, v15, 0x7fff
	v_and_b32_e32 v1, 0xffff0000, v1
	v_cndmask_b32_e32 v2, v13, v21, vcc_lo
	v_bfe_u32 v13, v3, 16, 1
	v_cmp_u_f32_e32 vcc_lo, v15, v15
	v_bfe_u32 v21, v16, 16, 1
	v_or_b32_e32 v15, 0x400000, v3
	v_mul_f32_e32 v4, v46, v4
	v_add3_u32 v13, v13, v3, 0x7fff
	v_cndmask_b32_e32 v12, v12, v22, vcc_lo
	v_cmp_u_f32_e32 vcc_lo, v3, v3
	v_add3_u32 v21, v21, v16, 0x7fff
	v_or_b32_e32 v22, 0x400000, v16
	v_and_b32_e32 v2, 0xffff0000, v2
	v_and_b32_e32 v7, 0xffff0000, v7
	v_cndmask_b32_e32 v3, v13, v15, vcc_lo
	v_cmp_u_f32_e32 vcc_lo, v16, v16
	v_bfe_u32 v15, v4, 16, 1
	v_add_f32_e32 v1, v1, v11
	v_add_f32_e32 v2, v2, v7
	v_and_b32_e32 v3, 0xffff0000, v3
	v_cndmask_b32_e32 v13, v21, v22, vcc_lo
	s_waitcnt vmcnt(0)
	v_lshlrev_b32_e32 v21, 16, v17
	v_and_b32_e32 v7, 0xffff0000, v12
	v_and_b32_e32 v12, 0xffff0000, v17
	v_add3_u32 v15, v15, v4, 0x7fff
	v_or_b32_e32 v16, 0x400000, v4
	v_mul_f32_e32 v11, v45, v21
	v_cmp_u_f32_e32 vcc_lo, v4, v4
	v_add_f32_e32 v1, v2, v1
	v_add_f32_e32 v3, v3, v7
	v_mul_f32_e32 v0, v0, v12
	v_bfe_u32 v2, v11, 16, 1
	v_lshlrev_b32_e32 v7, 16, v18
	v_cndmask_b32_e32 v4, v15, v16, vcc_lo
	v_or_b32_e32 v12, 0x400000, v11
	v_bfe_u32 v15, v0, 16, 1
	v_add3_u32 v2, v2, v11, 0x7fff
	v_mul_f32_e32 v7, v47, v7
	v_and_b32_e32 v16, 0xffff0000, v18
	v_cmp_u_f32_e32 vcc_lo, v11, v11
	v_add3_u32 v11, v15, v0, 0x7fff
	v_lshlrev_b32_e32 v17, 16, v19
	v_bfe_u32 v15, v7, 16, 1
	v_mul_f32_e32 v16, v41, v16
	v_cndmask_b32_e32 v2, v2, v12, vcc_lo
	v_or_b32_e32 v12, 0x400000, v0
	v_cmp_u_f32_e32 vcc_lo, v0, v0
	v_mul_f32_e32 v17, v44, v17
	v_and_b32_e32 v18, 0xffff0000, v19
	v_lshlrev_b32_e32 v19, 16, v20
	v_and_b32_e32 v20, 0xffff0000, v20
	v_cndmask_b32_e32 v0, v11, v12, vcc_lo
	v_add3_u32 v11, v15, v7, 0x7fff
	v_or_b32_e32 v12, 0x400000, v7
	v_bfe_u32 v15, v16, 16, 1
	v_cmp_u_f32_e32 vcc_lo, v7, v7
	v_mul_f32_e32 v18, v42, v18
	v_and_b32_e32 v0, 0xffff0000, v0
	v_and_b32_e32 v2, 0xffff0000, v2
	;; [unrolled: 1-line block ×3, first 2 shown]
	v_cndmask_b32_e32 v7, v11, v12, vcc_lo
	v_add3_u32 v11, v15, v16, 0x7fff
	v_or_b32_e32 v12, 0x400000, v16
	v_bfe_u32 v15, v17, 16, 1
	v_cmp_u_f32_e32 vcc_lo, v16, v16
	v_mul_f32_e32 v16, v46, v19
	v_mul_f32_e32 v19, v43, v20
	v_or_b32_e32 v20, 0x400000, v17
	v_add3_u32 v15, v15, v17, 0x7fff
	v_cndmask_b32_e32 v11, v11, v12, vcc_lo
	v_bfe_u32 v12, v18, 16, 1
	v_cmp_u_f32_e32 vcc_lo, v17, v17
	v_or_b32_e32 v21, 0x400000, v18
	v_bfe_u32 v23, v19, 16, 1
	v_bfe_u32 v22, v16, 16, 1
	v_add3_u32 v12, v12, v18, 0x7fff
	v_cndmask_b32_e32 v15, v15, v20, vcc_lo
	v_cmp_u_f32_e32 vcc_lo, v18, v18
	v_add3_u32 v18, v23, v19, 0x7fff
	v_or_b32_e32 v20, 0x400000, v19
	v_add3_u32 v17, v22, v16, 0x7fff
	v_and_b32_e32 v11, 0xffff0000, v11
	v_cndmask_b32_e32 v12, v12, v21, vcc_lo
	v_cmp_u_f32_e32 vcc_lo, v19, v19
	v_and_b32_e32 v7, 0xffff0000, v7
	v_or_b32_e32 v21, 0x400000, v16
	v_add_f32_e32 v0, v2, v0
	v_and_b32_e32 v13, 0xffff0000, v13
	v_cndmask_b32_e32 v18, v18, v20, vcc_lo
	v_cmp_u_f32_e32 vcc_lo, v16, v16
	v_add_f32_e32 v2, v7, v11
	v_and_b32_e32 v7, 0xffff0000, v12
	v_and_b32_e32 v11, 0xffff0000, v15
	v_add_f32_e32 v8, v8, v14
	v_cndmask_b32_e32 v12, v17, v21, vcc_lo
	v_add_f32_e32 v0, v2, v0
	v_add_f32_e32 v1, v3, v1
	;; [unrolled: 1-line block ×3, first 2 shown]
	v_and_b32_e32 v7, 0xffff0000, v18
	v_and_b32_e32 v11, 0xffff0000, v12
	v_add_f32_e32 v3, v4, v13
	v_add_f32_e32 v4, v10, v5
	;; [unrolled: 1-line block ×6, first 2 shown]
	v_cmp_le_i32_e32 vcc_lo, s11, v65
	v_add_f32_e32 v85, v85, v4
	v_add_f32_e32 v86, v86, v5
	;; [unrolled: 1-line block ×4, first 2 shown]
	s_or_b32 s9, vcc_lo, s9
	v_add_f32_e32 v73, v73, v0
	s_andn2_b32 exec_lo, exec_lo, s9
	s_cbranch_execz .LBB184_57
.LBB184_29:                             ; =>This Inner Loop Header: Depth=1
	global_load_dword v0, v[66:67], off
	v_cmp_eq_u32_e64 s0, s5, v65
	v_add_nc_u32_e32 v95, 1, v90
	v_or_b32_e32 v93, 3, v90
	v_or_b32_e32 v94, 2, v90
	;; [unrolled: 1-line block ×5, first 2 shown]
	s_waitcnt vmcnt(0)
	v_mad_i64_i32 v[0:1], null, v0, s6, 0
	v_lshlrev_b64 v[0:1], 1, v[0:1]
	v_add_co_u32 v17, vcc_lo, v88, v0
	v_add_co_ci_u32_e64 v18, null, v89, v1, vcc_lo
	v_or_b32_e32 v0, 6, v90
	global_load_dwordx4 v[1:4], v[17:18], off
	ds_read2_b64 v[45:48], v91 offset1:1
	ds_read2_b64 v[41:44], v91 offset0:2 offset1:3
	s_and_saveexec_b32 s13, s0
	s_cbranch_execnz .LBB184_48
; %bb.30:                               ;   in Loop: Header=BB184_29 Depth=1
	s_or_b32 exec_lo, exec_lo, s13
	global_load_dwordx4 v[5:8], v[17:18], off offset:512
	s_and_saveexec_b32 s13, s0
	s_cbranch_execnz .LBB184_49
.LBB184_31:                             ;   in Loop: Header=BB184_29 Depth=1
	s_or_b32 exec_lo, exec_lo, s13
	global_load_dwordx4 v[9:12], v[17:18], off offset:1024
	s_and_saveexec_b32 s13, s0
	s_cbranch_execnz .LBB184_50
.LBB184_32:                             ;   in Loop: Header=BB184_29 Depth=1
	s_or_b32 exec_lo, exec_lo, s13
	global_load_dwordx4 v[13:16], v[17:18], off offset:1536
	s_and_saveexec_b32 s13, s0
	s_cbranch_execz .LBB184_34
.LBB184_33:                             ;   in Loop: Header=BB184_29 Depth=1
	v_cmp_gt_i32_e64 s1, s25, v90
	v_cmp_gt_i32_e32 vcc_lo, s12, v95
	v_cmp_gt_i32_e64 s2, s25, v94
	s_waitcnt vmcnt(0)
	v_cndmask_b32_e64 v19, 0, v13, s1
	v_cmp_gt_i32_e64 s1, s12, v93
	v_cndmask_b32_sdwa v13, v87, v13, vcc_lo dst_sel:DWORD dst_unused:UNUSED_PAD src0_sel:DWORD src1_sel:WORD_1
	v_cndmask_b32_e64 v20, 0, v14, s2
	v_cmp_gt_i32_e64 s2, s12, v92
	s_mov_b32 vcc_lo, s1
	v_cmp_gt_i32_e64 s1, s12, v68
	v_cndmask_b32_sdwa v14, v87, v14, vcc_lo dst_sel:DWORD dst_unused:UNUSED_PAD src0_sel:DWORD src1_sel:WORD_1
	v_cmp_gt_i32_e32 vcc_lo, s25, v69
	v_perm_b32 v13, v13, v19, 0x5040100
	v_perm_b32 v14, v14, v20, 0x5040100
	v_cndmask_b32_e32 v21, 0, v15, vcc_lo
	s_mov_b32 vcc_lo, s2
	v_cndmask_b32_sdwa v15, v87, v15, vcc_lo dst_sel:DWORD dst_unused:UNUSED_PAD src0_sel:DWORD src1_sel:WORD_1
	v_cmp_gt_i32_e32 vcc_lo, s25, v0
	v_perm_b32 v15, v15, v21, 0x5040100
	v_cndmask_b32_e32 v22, 0, v16, vcc_lo
	s_mov_b32 vcc_lo, s1
	v_cndmask_b32_sdwa v16, v87, v16, vcc_lo dst_sel:DWORD dst_unused:UNUSED_PAD src0_sel:DWORD src1_sel:WORD_1
	v_perm_b32 v16, v16, v22, 0x5040100
.LBB184_34:                             ;   in Loop: Header=BB184_29 Depth=1
	s_or_b32 exec_lo, exec_lo, s13
	v_add_co_u32 v19, vcc_lo, 0x800, v17
	v_add_co_ci_u32_e64 v20, null, 0, v18, vcc_lo
	global_load_dwordx4 v[21:24], v[19:20], off
	s_and_saveexec_b32 s13, s0
	s_cbranch_execnz .LBB184_51
; %bb.35:                               ;   in Loop: Header=BB184_29 Depth=1
	s_or_b32 exec_lo, exec_lo, s13
	global_load_dwordx4 v[25:28], v[19:20], off offset:512
	s_and_saveexec_b32 s13, s0
	s_cbranch_execnz .LBB184_52
.LBB184_36:                             ;   in Loop: Header=BB184_29 Depth=1
	s_or_b32 exec_lo, exec_lo, s13
	global_load_dwordx4 v[29:32], v[19:20], off offset:1024
	s_and_saveexec_b32 s13, s0
	s_cbranch_execnz .LBB184_53
.LBB184_37:                             ;   in Loop: Header=BB184_29 Depth=1
	s_or_b32 exec_lo, exec_lo, s13
	global_load_dwordx4 v[33:36], v[19:20], off offset:1536
	s_and_saveexec_b32 s13, s0
	s_cbranch_execz .LBB184_39
.LBB184_38:                             ;   in Loop: Header=BB184_29 Depth=1
	v_cmp_gt_i32_e64 s1, s25, v90
	v_cmp_gt_i32_e32 vcc_lo, s12, v95
	v_cmp_gt_i32_e64 s2, s25, v94
	s_waitcnt vmcnt(0)
	v_cndmask_b32_e64 v19, 0, v33, s1
	v_cmp_gt_i32_e64 s1, s12, v93
	v_cndmask_b32_sdwa v33, v87, v33, vcc_lo dst_sel:DWORD dst_unused:UNUSED_PAD src0_sel:DWORD src1_sel:WORD_1
	v_cndmask_b32_e64 v20, 0, v34, s2
	v_cmp_gt_i32_e64 s2, s12, v92
	s_mov_b32 vcc_lo, s1
	v_cmp_gt_i32_e64 s1, s12, v68
	v_cndmask_b32_sdwa v34, v87, v34, vcc_lo dst_sel:DWORD dst_unused:UNUSED_PAD src0_sel:DWORD src1_sel:WORD_1
	v_cmp_gt_i32_e32 vcc_lo, s25, v69
	v_perm_b32 v33, v33, v19, 0x5040100
	v_perm_b32 v34, v34, v20, 0x5040100
	v_cndmask_b32_e32 v37, 0, v35, vcc_lo
	s_mov_b32 vcc_lo, s2
	v_cndmask_b32_sdwa v35, v87, v35, vcc_lo dst_sel:DWORD dst_unused:UNUSED_PAD src0_sel:DWORD src1_sel:WORD_1
	v_cmp_gt_i32_e32 vcc_lo, s25, v0
	v_perm_b32 v35, v35, v37, 0x5040100
	v_cndmask_b32_e32 v38, 0, v36, vcc_lo
	s_mov_b32 vcc_lo, s1
	v_cndmask_b32_sdwa v36, v87, v36, vcc_lo dst_sel:DWORD dst_unused:UNUSED_PAD src0_sel:DWORD src1_sel:WORD_1
	v_perm_b32 v36, v36, v38, 0x5040100
.LBB184_39:                             ;   in Loop: Header=BB184_29 Depth=1
	s_or_b32 exec_lo, exec_lo, s13
	v_add_co_u32 v19, vcc_lo, 0x1000, v17
	v_add_co_ci_u32_e64 v20, null, 0, v18, vcc_lo
	global_load_dwordx4 v[37:40], v[19:20], off
	s_and_saveexec_b32 s13, s0
	s_cbranch_execnz .LBB184_54
; %bb.40:                               ;   in Loop: Header=BB184_29 Depth=1
	s_or_b32 exec_lo, exec_lo, s13
	global_load_dwordx4 v[49:52], v[19:20], off offset:512
	s_and_saveexec_b32 s13, s0
	s_cbranch_execnz .LBB184_55
.LBB184_41:                             ;   in Loop: Header=BB184_29 Depth=1
	s_or_b32 exec_lo, exec_lo, s13
	global_load_dwordx4 v[53:56], v[19:20], off offset:1024
	s_and_saveexec_b32 s13, s0
	s_cbranch_execnz .LBB184_56
.LBB184_42:                             ;   in Loop: Header=BB184_29 Depth=1
	s_or_b32 exec_lo, exec_lo, s13
	global_load_dwordx4 v[57:60], v[19:20], off offset:1536
	s_and_saveexec_b32 s13, s0
	s_cbranch_execz .LBB184_44
.LBB184_43:                             ;   in Loop: Header=BB184_29 Depth=1
	v_cmp_gt_i32_e64 s1, s25, v90
	v_cmp_gt_i32_e32 vcc_lo, s12, v95
	v_cmp_gt_i32_e64 s2, s25, v94
	s_waitcnt vmcnt(0)
	v_cndmask_b32_e64 v19, 0, v57, s1
	v_cmp_gt_i32_e64 s1, s12, v93
	v_cndmask_b32_sdwa v57, v87, v57, vcc_lo dst_sel:DWORD dst_unused:UNUSED_PAD src0_sel:DWORD src1_sel:WORD_1
	v_cndmask_b32_e64 v20, 0, v58, s2
	v_cmp_gt_i32_e64 s2, s12, v92
	s_mov_b32 vcc_lo, s1
	v_cmp_gt_i32_e64 s1, s12, v68
	v_cndmask_b32_sdwa v58, v87, v58, vcc_lo dst_sel:DWORD dst_unused:UNUSED_PAD src0_sel:DWORD src1_sel:WORD_1
	v_cmp_gt_i32_e32 vcc_lo, s25, v69
	v_perm_b32 v57, v57, v19, 0x5040100
	v_perm_b32 v58, v58, v20, 0x5040100
	v_cndmask_b32_e32 v61, 0, v59, vcc_lo
	s_mov_b32 vcc_lo, s2
	v_cndmask_b32_sdwa v59, v87, v59, vcc_lo dst_sel:DWORD dst_unused:UNUSED_PAD src0_sel:DWORD src1_sel:WORD_1
	v_cmp_gt_i32_e32 vcc_lo, s25, v0
	v_perm_b32 v59, v59, v61, 0x5040100
	v_cndmask_b32_e32 v62, 0, v60, vcc_lo
	s_mov_b32 vcc_lo, s1
	v_cndmask_b32_sdwa v60, v87, v60, vcc_lo dst_sel:DWORD dst_unused:UNUSED_PAD src0_sel:DWORD src1_sel:WORD_1
	v_perm_b32 v60, v60, v62, 0x5040100
.LBB184_44:                             ;   in Loop: Header=BB184_29 Depth=1
	s_or_b32 exec_lo, exec_lo, s13
	v_add_co_u32 v17, vcc_lo, 0x1800, v17
	v_add_co_ci_u32_e64 v18, null, 0, v18, vcc_lo
	global_load_dwordx4 v[61:64], v[17:18], off
	s_and_saveexec_b32 s13, s0
	s_cbranch_execz .LBB184_46
; %bb.45:                               ;   in Loop: Header=BB184_29 Depth=1
	v_cmp_gt_i32_e64 s1, s25, v90
	v_cmp_gt_i32_e32 vcc_lo, s12, v95
	v_cmp_gt_i32_e64 s2, s25, v94
	s_waitcnt vmcnt(0)
	v_cndmask_b32_e64 v19, 0, v61, s1
	v_cmp_gt_i32_e64 s1, s12, v93
	v_cndmask_b32_sdwa v61, v87, v61, vcc_lo dst_sel:DWORD dst_unused:UNUSED_PAD src0_sel:DWORD src1_sel:WORD_1
	v_cndmask_b32_e64 v20, 0, v62, s2
	v_cmp_gt_i32_e64 s2, s12, v92
	s_mov_b32 vcc_lo, s1
	v_cmp_gt_i32_e64 s1, s12, v68
	v_cndmask_b32_sdwa v62, v87, v62, vcc_lo dst_sel:DWORD dst_unused:UNUSED_PAD src0_sel:DWORD src1_sel:WORD_1
	v_cmp_gt_i32_e32 vcc_lo, s25, v69
	v_perm_b32 v61, v61, v19, 0x5040100
	v_perm_b32 v62, v62, v20, 0x5040100
	v_cndmask_b32_e32 v96, 0, v63, vcc_lo
	s_mov_b32 vcc_lo, s2
	v_cndmask_b32_sdwa v63, v87, v63, vcc_lo dst_sel:DWORD dst_unused:UNUSED_PAD src0_sel:DWORD src1_sel:WORD_1
	v_cmp_gt_i32_e32 vcc_lo, s25, v0
	v_perm_b32 v63, v63, v96, 0x5040100
	v_cndmask_b32_e32 v97, 0, v64, vcc_lo
	s_mov_b32 vcc_lo, s1
	v_cndmask_b32_sdwa v64, v87, v64, vcc_lo dst_sel:DWORD dst_unused:UNUSED_PAD src0_sel:DWORD src1_sel:WORD_1
	v_perm_b32 v64, v64, v97, 0x5040100
.LBB184_46:                             ;   in Loop: Header=BB184_29 Depth=1
	s_or_b32 exec_lo, exec_lo, s13
	global_load_dwordx4 v[17:20], v[17:18], off offset:512
	s_and_saveexec_b32 s2, s0
	s_cbranch_execz .LBB184_28
; %bb.47:                               ;   in Loop: Header=BB184_29 Depth=1
	v_cmp_gt_i32_e64 s0, s25, v90
	v_cmp_gt_i32_e32 vcc_lo, s12, v95
	v_cmp_gt_i32_e64 s1, s25, v94
	s_waitcnt vmcnt(0)
	v_cndmask_b32_e64 v95, 0, v17, s0
	v_cmp_gt_i32_e64 s0, s12, v93
	v_cndmask_b32_sdwa v17, v87, v17, vcc_lo dst_sel:DWORD dst_unused:UNUSED_PAD src0_sel:DWORD src1_sel:WORD_1
	v_cndmask_b32_e64 v93, 0, v18, s1
	v_cmp_gt_i32_e64 s1, s12, v92
	s_mov_b32 vcc_lo, s0
	v_cmp_gt_i32_e64 s0, s12, v68
	v_cndmask_b32_sdwa v18, v87, v18, vcc_lo dst_sel:DWORD dst_unused:UNUSED_PAD src0_sel:DWORD src1_sel:WORD_1
	v_cmp_gt_i32_e32 vcc_lo, s25, v69
	v_perm_b32 v17, v17, v95, 0x5040100
	v_perm_b32 v18, v18, v93, 0x5040100
	v_cndmask_b32_e32 v69, 0, v19, vcc_lo
	s_mov_b32 vcc_lo, s1
	v_cndmask_b32_sdwa v19, v87, v19, vcc_lo dst_sel:DWORD dst_unused:UNUSED_PAD src0_sel:DWORD src1_sel:WORD_1
	v_cmp_gt_i32_e32 vcc_lo, s25, v0
	v_perm_b32 v19, v19, v69, 0x5040100
	v_cndmask_b32_e32 v0, 0, v20, vcc_lo
	s_mov_b32 vcc_lo, s0
	v_cndmask_b32_sdwa v20, v87, v20, vcc_lo dst_sel:DWORD dst_unused:UNUSED_PAD src0_sel:DWORD src1_sel:WORD_1
	v_perm_b32 v20, v20, v0, 0x5040100
	s_branch .LBB184_28
.LBB184_48:                             ;   in Loop: Header=BB184_29 Depth=1
	v_cmp_gt_i32_e64 s1, s25, v90
	v_cmp_gt_i32_e32 vcc_lo, s12, v95
	v_cmp_gt_i32_e64 s2, s25, v94
	s_waitcnt vmcnt(0)
	v_cndmask_b32_e64 v5, 0, v1, s1
	v_cmp_gt_i32_e64 s1, s12, v93
	v_cndmask_b32_sdwa v1, v87, v1, vcc_lo dst_sel:DWORD dst_unused:UNUSED_PAD src0_sel:DWORD src1_sel:WORD_1
	v_cndmask_b32_e64 v6, 0, v2, s2
	v_cmp_gt_i32_e64 s2, s12, v92
	s_mov_b32 vcc_lo, s1
	v_cmp_gt_i32_e64 s1, s12, v68
	v_cndmask_b32_sdwa v2, v87, v2, vcc_lo dst_sel:DWORD dst_unused:UNUSED_PAD src0_sel:DWORD src1_sel:WORD_1
	v_cmp_gt_i32_e32 vcc_lo, s25, v69
	v_perm_b32 v1, v1, v5, 0x5040100
	v_perm_b32 v2, v2, v6, 0x5040100
	v_cndmask_b32_e32 v7, 0, v3, vcc_lo
	s_mov_b32 vcc_lo, s2
	v_cndmask_b32_sdwa v3, v87, v3, vcc_lo dst_sel:DWORD dst_unused:UNUSED_PAD src0_sel:DWORD src1_sel:WORD_1
	v_cmp_gt_i32_e32 vcc_lo, s25, v0
	v_perm_b32 v3, v3, v7, 0x5040100
	v_cndmask_b32_e32 v8, 0, v4, vcc_lo
	s_mov_b32 vcc_lo, s1
	v_cndmask_b32_sdwa v4, v87, v4, vcc_lo dst_sel:DWORD dst_unused:UNUSED_PAD src0_sel:DWORD src1_sel:WORD_1
	v_perm_b32 v4, v4, v8, 0x5040100
	s_or_b32 exec_lo, exec_lo, s13
	global_load_dwordx4 v[5:8], v[17:18], off offset:512
	s_and_saveexec_b32 s13, s0
	s_cbranch_execz .LBB184_31
.LBB184_49:                             ;   in Loop: Header=BB184_29 Depth=1
	v_cmp_gt_i32_e64 s1, s25, v90
	v_cmp_gt_i32_e32 vcc_lo, s12, v95
	v_cmp_gt_i32_e64 s2, s25, v94
	s_waitcnt vmcnt(0)
	v_cndmask_b32_e64 v9, 0, v5, s1
	v_cmp_gt_i32_e64 s1, s12, v93
	v_cndmask_b32_sdwa v5, v87, v5, vcc_lo dst_sel:DWORD dst_unused:UNUSED_PAD src0_sel:DWORD src1_sel:WORD_1
	v_cndmask_b32_e64 v10, 0, v6, s2
	v_cmp_gt_i32_e64 s2, s12, v92
	s_mov_b32 vcc_lo, s1
	v_cmp_gt_i32_e64 s1, s12, v68
	v_cndmask_b32_sdwa v6, v87, v6, vcc_lo dst_sel:DWORD dst_unused:UNUSED_PAD src0_sel:DWORD src1_sel:WORD_1
	v_cmp_gt_i32_e32 vcc_lo, s25, v69
	v_perm_b32 v5, v5, v9, 0x5040100
	v_perm_b32 v6, v6, v10, 0x5040100
	v_cndmask_b32_e32 v11, 0, v7, vcc_lo
	s_mov_b32 vcc_lo, s2
	v_cndmask_b32_sdwa v7, v87, v7, vcc_lo dst_sel:DWORD dst_unused:UNUSED_PAD src0_sel:DWORD src1_sel:WORD_1
	v_cmp_gt_i32_e32 vcc_lo, s25, v0
	v_perm_b32 v7, v7, v11, 0x5040100
	v_cndmask_b32_e32 v12, 0, v8, vcc_lo
	s_mov_b32 vcc_lo, s1
	v_cndmask_b32_sdwa v8, v87, v8, vcc_lo dst_sel:DWORD dst_unused:UNUSED_PAD src0_sel:DWORD src1_sel:WORD_1
	v_perm_b32 v8, v8, v12, 0x5040100
	s_or_b32 exec_lo, exec_lo, s13
	global_load_dwordx4 v[9:12], v[17:18], off offset:1024
	s_and_saveexec_b32 s13, s0
	s_cbranch_execz .LBB184_32
.LBB184_50:                             ;   in Loop: Header=BB184_29 Depth=1
	v_cmp_gt_i32_e64 s1, s25, v90
	v_cmp_gt_i32_e32 vcc_lo, s12, v95
	v_cmp_gt_i32_e64 s2, s25, v94
	s_waitcnt vmcnt(0)
	v_cndmask_b32_e64 v13, 0, v9, s1
	v_cmp_gt_i32_e64 s1, s12, v93
	v_cndmask_b32_sdwa v9, v87, v9, vcc_lo dst_sel:DWORD dst_unused:UNUSED_PAD src0_sel:DWORD src1_sel:WORD_1
	v_cndmask_b32_e64 v14, 0, v10, s2
	v_cmp_gt_i32_e64 s2, s12, v92
	s_mov_b32 vcc_lo, s1
	v_cmp_gt_i32_e64 s1, s12, v68
	v_cndmask_b32_sdwa v10, v87, v10, vcc_lo dst_sel:DWORD dst_unused:UNUSED_PAD src0_sel:DWORD src1_sel:WORD_1
	v_cmp_gt_i32_e32 vcc_lo, s25, v69
	v_perm_b32 v9, v9, v13, 0x5040100
	v_perm_b32 v10, v10, v14, 0x5040100
	v_cndmask_b32_e32 v15, 0, v11, vcc_lo
	s_mov_b32 vcc_lo, s2
	v_cndmask_b32_sdwa v11, v87, v11, vcc_lo dst_sel:DWORD dst_unused:UNUSED_PAD src0_sel:DWORD src1_sel:WORD_1
	v_cmp_gt_i32_e32 vcc_lo, s25, v0
	v_perm_b32 v11, v11, v15, 0x5040100
	v_cndmask_b32_e32 v16, 0, v12, vcc_lo
	s_mov_b32 vcc_lo, s1
	v_cndmask_b32_sdwa v12, v87, v12, vcc_lo dst_sel:DWORD dst_unused:UNUSED_PAD src0_sel:DWORD src1_sel:WORD_1
	v_perm_b32 v12, v12, v16, 0x5040100
	s_or_b32 exec_lo, exec_lo, s13
	global_load_dwordx4 v[13:16], v[17:18], off offset:1536
	s_and_saveexec_b32 s13, s0
	s_cbranch_execnz .LBB184_33
	s_branch .LBB184_34
.LBB184_51:                             ;   in Loop: Header=BB184_29 Depth=1
	v_cmp_gt_i32_e64 s1, s25, v90
	v_cmp_gt_i32_e32 vcc_lo, s12, v95
	v_cmp_gt_i32_e64 s2, s25, v94
	s_waitcnt vmcnt(0)
	v_cndmask_b32_e64 v25, 0, v21, s1
	v_cmp_gt_i32_e64 s1, s12, v93
	v_cndmask_b32_sdwa v21, v87, v21, vcc_lo dst_sel:DWORD dst_unused:UNUSED_PAD src0_sel:DWORD src1_sel:WORD_1
	v_cndmask_b32_e64 v26, 0, v22, s2
	v_cmp_gt_i32_e64 s2, s12, v92
	s_mov_b32 vcc_lo, s1
	v_cmp_gt_i32_e64 s1, s12, v68
	v_cndmask_b32_sdwa v22, v87, v22, vcc_lo dst_sel:DWORD dst_unused:UNUSED_PAD src0_sel:DWORD src1_sel:WORD_1
	v_cmp_gt_i32_e32 vcc_lo, s25, v69
	v_perm_b32 v21, v21, v25, 0x5040100
	v_perm_b32 v22, v22, v26, 0x5040100
	v_cndmask_b32_e32 v27, 0, v23, vcc_lo
	s_mov_b32 vcc_lo, s2
	v_cndmask_b32_sdwa v23, v87, v23, vcc_lo dst_sel:DWORD dst_unused:UNUSED_PAD src0_sel:DWORD src1_sel:WORD_1
	v_cmp_gt_i32_e32 vcc_lo, s25, v0
	v_perm_b32 v23, v23, v27, 0x5040100
	v_cndmask_b32_e32 v28, 0, v24, vcc_lo
	s_mov_b32 vcc_lo, s1
	v_cndmask_b32_sdwa v24, v87, v24, vcc_lo dst_sel:DWORD dst_unused:UNUSED_PAD src0_sel:DWORD src1_sel:WORD_1
	v_perm_b32 v24, v24, v28, 0x5040100
	s_or_b32 exec_lo, exec_lo, s13
	global_load_dwordx4 v[25:28], v[19:20], off offset:512
	s_and_saveexec_b32 s13, s0
	s_cbranch_execz .LBB184_36
.LBB184_52:                             ;   in Loop: Header=BB184_29 Depth=1
	v_cmp_gt_i32_e64 s1, s25, v90
	v_cmp_gt_i32_e32 vcc_lo, s12, v95
	v_cmp_gt_i32_e64 s2, s25, v94
	s_waitcnt vmcnt(0)
	v_cndmask_b32_e64 v29, 0, v25, s1
	v_cmp_gt_i32_e64 s1, s12, v93
	v_cndmask_b32_sdwa v25, v87, v25, vcc_lo dst_sel:DWORD dst_unused:UNUSED_PAD src0_sel:DWORD src1_sel:WORD_1
	v_cndmask_b32_e64 v30, 0, v26, s2
	v_cmp_gt_i32_e64 s2, s12, v92
	s_mov_b32 vcc_lo, s1
	v_cmp_gt_i32_e64 s1, s12, v68
	v_cndmask_b32_sdwa v26, v87, v26, vcc_lo dst_sel:DWORD dst_unused:UNUSED_PAD src0_sel:DWORD src1_sel:WORD_1
	v_cmp_gt_i32_e32 vcc_lo, s25, v69
	v_perm_b32 v25, v25, v29, 0x5040100
	v_perm_b32 v26, v26, v30, 0x5040100
	v_cndmask_b32_e32 v31, 0, v27, vcc_lo
	s_mov_b32 vcc_lo, s2
	v_cndmask_b32_sdwa v27, v87, v27, vcc_lo dst_sel:DWORD dst_unused:UNUSED_PAD src0_sel:DWORD src1_sel:WORD_1
	v_cmp_gt_i32_e32 vcc_lo, s25, v0
	v_perm_b32 v27, v27, v31, 0x5040100
	v_cndmask_b32_e32 v32, 0, v28, vcc_lo
	s_mov_b32 vcc_lo, s1
	v_cndmask_b32_sdwa v28, v87, v28, vcc_lo dst_sel:DWORD dst_unused:UNUSED_PAD src0_sel:DWORD src1_sel:WORD_1
	v_perm_b32 v28, v28, v32, 0x5040100
	s_or_b32 exec_lo, exec_lo, s13
	global_load_dwordx4 v[29:32], v[19:20], off offset:1024
	s_and_saveexec_b32 s13, s0
	s_cbranch_execz .LBB184_37
.LBB184_53:                             ;   in Loop: Header=BB184_29 Depth=1
	v_cmp_gt_i32_e64 s1, s25, v90
	v_cmp_gt_i32_e32 vcc_lo, s12, v95
	v_cmp_gt_i32_e64 s2, s25, v94
	s_waitcnt vmcnt(0)
	v_cndmask_b32_e64 v33, 0, v29, s1
	v_cmp_gt_i32_e64 s1, s12, v93
	v_cndmask_b32_sdwa v29, v87, v29, vcc_lo dst_sel:DWORD dst_unused:UNUSED_PAD src0_sel:DWORD src1_sel:WORD_1
	v_cndmask_b32_e64 v34, 0, v30, s2
	v_cmp_gt_i32_e64 s2, s12, v92
	s_mov_b32 vcc_lo, s1
	v_cmp_gt_i32_e64 s1, s12, v68
	v_cndmask_b32_sdwa v30, v87, v30, vcc_lo dst_sel:DWORD dst_unused:UNUSED_PAD src0_sel:DWORD src1_sel:WORD_1
	v_cmp_gt_i32_e32 vcc_lo, s25, v69
	v_perm_b32 v29, v29, v33, 0x5040100
	v_perm_b32 v30, v30, v34, 0x5040100
	v_cndmask_b32_e32 v35, 0, v31, vcc_lo
	s_mov_b32 vcc_lo, s2
	v_cndmask_b32_sdwa v31, v87, v31, vcc_lo dst_sel:DWORD dst_unused:UNUSED_PAD src0_sel:DWORD src1_sel:WORD_1
	v_cmp_gt_i32_e32 vcc_lo, s25, v0
	v_perm_b32 v31, v31, v35, 0x5040100
	v_cndmask_b32_e32 v36, 0, v32, vcc_lo
	s_mov_b32 vcc_lo, s1
	v_cndmask_b32_sdwa v32, v87, v32, vcc_lo dst_sel:DWORD dst_unused:UNUSED_PAD src0_sel:DWORD src1_sel:WORD_1
	v_perm_b32 v32, v32, v36, 0x5040100
	s_or_b32 exec_lo, exec_lo, s13
	global_load_dwordx4 v[33:36], v[19:20], off offset:1536
	s_and_saveexec_b32 s13, s0
	s_cbranch_execnz .LBB184_38
	s_branch .LBB184_39
.LBB184_54:                             ;   in Loop: Header=BB184_29 Depth=1
	v_cmp_gt_i32_e64 s1, s25, v90
	v_cmp_gt_i32_e32 vcc_lo, s12, v95
	v_cmp_gt_i32_e64 s2, s25, v94
	s_waitcnt vmcnt(0)
	v_cndmask_b32_e64 v49, 0, v37, s1
	v_cmp_gt_i32_e64 s1, s12, v93
	v_cndmask_b32_sdwa v37, v87, v37, vcc_lo dst_sel:DWORD dst_unused:UNUSED_PAD src0_sel:DWORD src1_sel:WORD_1
	v_cndmask_b32_e64 v50, 0, v38, s2
	v_cmp_gt_i32_e64 s2, s12, v92
	s_mov_b32 vcc_lo, s1
	v_cmp_gt_i32_e64 s1, s12, v68
	v_cndmask_b32_sdwa v38, v87, v38, vcc_lo dst_sel:DWORD dst_unused:UNUSED_PAD src0_sel:DWORD src1_sel:WORD_1
	v_cmp_gt_i32_e32 vcc_lo, s25, v69
	v_perm_b32 v37, v37, v49, 0x5040100
	v_perm_b32 v38, v38, v50, 0x5040100
	v_cndmask_b32_e32 v51, 0, v39, vcc_lo
	s_mov_b32 vcc_lo, s2
	v_cndmask_b32_sdwa v39, v87, v39, vcc_lo dst_sel:DWORD dst_unused:UNUSED_PAD src0_sel:DWORD src1_sel:WORD_1
	v_cmp_gt_i32_e32 vcc_lo, s25, v0
	v_perm_b32 v39, v39, v51, 0x5040100
	v_cndmask_b32_e32 v52, 0, v40, vcc_lo
	s_mov_b32 vcc_lo, s1
	v_cndmask_b32_sdwa v40, v87, v40, vcc_lo dst_sel:DWORD dst_unused:UNUSED_PAD src0_sel:DWORD src1_sel:WORD_1
	v_perm_b32 v40, v40, v52, 0x5040100
	s_or_b32 exec_lo, exec_lo, s13
	global_load_dwordx4 v[49:52], v[19:20], off offset:512
	s_and_saveexec_b32 s13, s0
	s_cbranch_execz .LBB184_41
.LBB184_55:                             ;   in Loop: Header=BB184_29 Depth=1
	v_cmp_gt_i32_e64 s1, s25, v90
	v_cmp_gt_i32_e32 vcc_lo, s12, v95
	v_cmp_gt_i32_e64 s2, s25, v94
	s_waitcnt vmcnt(0)
	v_cndmask_b32_e64 v53, 0, v49, s1
	v_cmp_gt_i32_e64 s1, s12, v93
	v_cndmask_b32_sdwa v49, v87, v49, vcc_lo dst_sel:DWORD dst_unused:UNUSED_PAD src0_sel:DWORD src1_sel:WORD_1
	v_cndmask_b32_e64 v54, 0, v50, s2
	v_cmp_gt_i32_e64 s2, s12, v92
	s_mov_b32 vcc_lo, s1
	v_cmp_gt_i32_e64 s1, s12, v68
	v_cndmask_b32_sdwa v50, v87, v50, vcc_lo dst_sel:DWORD dst_unused:UNUSED_PAD src0_sel:DWORD src1_sel:WORD_1
	v_cmp_gt_i32_e32 vcc_lo, s25, v69
	v_perm_b32 v49, v49, v53, 0x5040100
	v_perm_b32 v50, v50, v54, 0x5040100
	v_cndmask_b32_e32 v55, 0, v51, vcc_lo
	s_mov_b32 vcc_lo, s2
	v_cndmask_b32_sdwa v51, v87, v51, vcc_lo dst_sel:DWORD dst_unused:UNUSED_PAD src0_sel:DWORD src1_sel:WORD_1
	v_cmp_gt_i32_e32 vcc_lo, s25, v0
	v_perm_b32 v51, v51, v55, 0x5040100
	v_cndmask_b32_e32 v56, 0, v52, vcc_lo
	s_mov_b32 vcc_lo, s1
	v_cndmask_b32_sdwa v52, v87, v52, vcc_lo dst_sel:DWORD dst_unused:UNUSED_PAD src0_sel:DWORD src1_sel:WORD_1
	v_perm_b32 v52, v52, v56, 0x5040100
	s_or_b32 exec_lo, exec_lo, s13
	global_load_dwordx4 v[53:56], v[19:20], off offset:1024
	s_and_saveexec_b32 s13, s0
	s_cbranch_execz .LBB184_42
.LBB184_56:                             ;   in Loop: Header=BB184_29 Depth=1
	v_cmp_gt_i32_e64 s1, s25, v90
	v_cmp_gt_i32_e32 vcc_lo, s12, v95
	v_cmp_gt_i32_e64 s2, s25, v94
	s_waitcnt vmcnt(0)
	v_cndmask_b32_e64 v57, 0, v53, s1
	v_cmp_gt_i32_e64 s1, s12, v93
	v_cndmask_b32_sdwa v53, v87, v53, vcc_lo dst_sel:DWORD dst_unused:UNUSED_PAD src0_sel:DWORD src1_sel:WORD_1
	v_cndmask_b32_e64 v58, 0, v54, s2
	v_cmp_gt_i32_e64 s2, s12, v92
	s_mov_b32 vcc_lo, s1
	v_cmp_gt_i32_e64 s1, s12, v68
	v_cndmask_b32_sdwa v54, v87, v54, vcc_lo dst_sel:DWORD dst_unused:UNUSED_PAD src0_sel:DWORD src1_sel:WORD_1
	v_cmp_gt_i32_e32 vcc_lo, s25, v69
	v_perm_b32 v53, v53, v57, 0x5040100
	v_perm_b32 v54, v54, v58, 0x5040100
	v_cndmask_b32_e32 v59, 0, v55, vcc_lo
	s_mov_b32 vcc_lo, s2
	v_cndmask_b32_sdwa v55, v87, v55, vcc_lo dst_sel:DWORD dst_unused:UNUSED_PAD src0_sel:DWORD src1_sel:WORD_1
	v_cmp_gt_i32_e32 vcc_lo, s25, v0
	v_perm_b32 v55, v55, v59, 0x5040100
	v_cndmask_b32_e32 v60, 0, v56, vcc_lo
	s_mov_b32 vcc_lo, s1
	v_cndmask_b32_sdwa v56, v87, v56, vcc_lo dst_sel:DWORD dst_unused:UNUSED_PAD src0_sel:DWORD src1_sel:WORD_1
	v_perm_b32 v56, v56, v60, 0x5040100
	s_or_b32 exec_lo, exec_lo, s13
	global_load_dwordx4 v[57:60], v[19:20], off offset:1536
	s_and_saveexec_b32 s13, s0
	s_cbranch_execnz .LBB184_43
	s_branch .LBB184_44
.LBB184_57:
	s_or_b32 exec_lo, exec_lo, s9
.LBB184_58:
	s_or_b32 exec_lo, exec_lo, s3
	ds_bpermute_b32 v1, v71, v86
	ds_bpermute_b32 v0, v71, v84
	;; [unrolled: 1-line block ×14, first 2 shown]
	s_mov_b32 s0, exec_lo
	s_waitcnt lgkmcnt(0)
	s_waitcnt_vscnt null, 0x0
	s_barrier
	buffer_gl0_inv
	v_add_f32_e32 v1, v86, v1
	v_add_f32_e32 v0, v84, v0
	v_add_f32_e32 v2, v85, v2
	v_add_f32_e32 v3, v83, v3
	v_add_f32_e32 v4, v82, v4
	v_add_f32_e32 v5, v81, v5
	v_add_f32_e32 v6, v80, v6
	ds_bpermute_b32 v15, v70, v1
	v_add_f32_e32 v19, v79, v7
	v_add_f32_e32 v20, v78, v8
	;; [unrolled: 1-line block ×7, first 2 shown]
	ds_bpermute_b32 v14, v70, v0
	ds_bpermute_b32 v16, v70, v2
	;; [unrolled: 1-line block ×13, first 2 shown]
	s_waitcnt lgkmcnt(13)
	v_add_f32_e32 v12, v1, v15
	v_and_b32_e32 v15, 28, v100
	v_add_nc_u32_e32 v15, 0x100, v15
	s_waitcnt lgkmcnt(12)
	v_add_f32_e32 v13, v0, v14
	s_waitcnt lgkmcnt(11)
	v_add_f32_e32 v11, v2, v16
	;; [unrolled: 2-line block ×12, first 2 shown]
	v_and_b32_e32 v17, 0x3c3, v98
	s_waitcnt lgkmcnt(0)
	v_add_f32_e32 v2, v30, v33
	v_lshrrev_b32_e32 v14, 2, v100
	v_mul_u32_u24_e32 v16, 0x1c0, v99
	v_cmpx_eq_u32_e32 64, v17
	s_cbranch_execz .LBB184_60
; %bb.59:
	v_add_nc_u32_e32 v17, v15, v16
	v_add_nc_u32_e32 v18, 0xfffffc80, v17
	;; [unrolled: 1-line block ×7, first 2 shown]
	ds_write_b32 v18, v13
	ds_write_b32 v19, v12
	;; [unrolled: 1-line block ×4, first 2 shown]
	v_add_nc_u32_e32 v18, 0xfffffd40, v17
	v_add_nc_u32_e32 v19, 0xfffffd60, v17
	;; [unrolled: 1-line block ×3, first 2 shown]
	ds_write_b32 v22, v9
	ds_write_b32 v23, v8
	;; [unrolled: 1-line block ×5, first 2 shown]
	v_add_nc_u32_e32 v18, 0xfffffda0, v17
	v_add_nc_u32_e32 v19, 0xfffffdc0, v17
	;; [unrolled: 1-line block ×5, first 2 shown]
	ds_write_b32 v18, v4
	ds_write_b32 v19, v3
	;; [unrolled: 1-line block ×5, first 2 shown]
.LBB184_60:
	s_or_b32 exec_lo, exec_lo, s0
	v_lshlrev_b32_e32 v14, 2, v14
	s_mov_b32 s1, exec_lo
	v_cmp_eq_u32_e32 vcc_lo, 0, v72
	s_waitcnt lgkmcnt(0)
	s_barrier
	v_add3_u32 v14, 0x100, v16, v14
	buffer_gl0_inv
	v_cmpx_gt_u32_e32 64, v98
	s_cbranch_execz .LBB184_77
; %bb.61:
	s_and_saveexec_b32 s0, vcc_lo
	s_cbranch_execnz .LBB184_99
; %bb.62:
	s_or_b32 exec_lo, exec_lo, s0
	s_and_saveexec_b32 s0, vcc_lo
	s_cbranch_execnz .LBB184_100
.LBB184_63:
	s_or_b32 exec_lo, exec_lo, s0
	s_and_saveexec_b32 s0, vcc_lo
	s_cbranch_execnz .LBB184_101
.LBB184_64:
	s_or_b32 exec_lo, exec_lo, s0
	s_and_saveexec_b32 s0, vcc_lo
	s_cbranch_execnz .LBB184_102
.LBB184_65:
	s_or_b32 exec_lo, exec_lo, s0
	s_and_saveexec_b32 s0, vcc_lo
	s_cbranch_execnz .LBB184_103
.LBB184_66:
	s_or_b32 exec_lo, exec_lo, s0
	s_and_saveexec_b32 s0, vcc_lo
	s_cbranch_execnz .LBB184_104
.LBB184_67:
	s_or_b32 exec_lo, exec_lo, s0
	s_and_saveexec_b32 s0, vcc_lo
	s_cbranch_execnz .LBB184_105
.LBB184_68:
	s_or_b32 exec_lo, exec_lo, s0
	s_and_saveexec_b32 s0, vcc_lo
	s_cbranch_execnz .LBB184_106
.LBB184_69:
	s_or_b32 exec_lo, exec_lo, s0
	s_and_saveexec_b32 s0, vcc_lo
	s_cbranch_execnz .LBB184_107
.LBB184_70:
	s_or_b32 exec_lo, exec_lo, s0
	s_and_saveexec_b32 s0, vcc_lo
	s_cbranch_execnz .LBB184_108
.LBB184_71:
	s_or_b32 exec_lo, exec_lo, s0
	s_and_saveexec_b32 s0, vcc_lo
	s_cbranch_execnz .LBB184_109
.LBB184_72:
	s_or_b32 exec_lo, exec_lo, s0
	s_and_saveexec_b32 s0, vcc_lo
	s_cbranch_execnz .LBB184_110
.LBB184_73:
	s_or_b32 exec_lo, exec_lo, s0
	s_and_saveexec_b32 s0, vcc_lo
	s_cbranch_execnz .LBB184_111
.LBB184_74:
	s_or_b32 exec_lo, exec_lo, s0
	s_and_saveexec_b32 s0, vcc_lo
	s_cbranch_execz .LBB184_76
.LBB184_75:
	ds_read_b32 v16, v14 offset:416
	s_waitcnt lgkmcnt(0)
	v_add_f32_e32 v2, v2, v16
.LBB184_76:
	s_or_b32 exec_lo, exec_lo, s0
.LBB184_77:
	s_or_b32 exec_lo, exec_lo, s1
	v_and_b32_e32 v16, 0x3e3, v98
	s_mov_b32 s1, exec_lo
	s_barrier
	buffer_gl0_inv
	v_cmpx_eq_u32_e32 32, v16
	s_cbranch_execz .LBB184_79
; %bb.78:
	ds_write2_b32 v15, v13, v12 offset1:8
	ds_write2_b32 v15, v11, v10 offset0:16 offset1:24
	ds_write2_b32 v15, v9, v8 offset0:32 offset1:40
	;; [unrolled: 1-line block ×6, first 2 shown]
.LBB184_79:
	s_or_b32 exec_lo, exec_lo, s1
	s_mov_b32 s1, exec_lo
	s_waitcnt lgkmcnt(0)
	s_barrier
	buffer_gl0_inv
	v_cmpx_gt_u32_e32 32, v98
	s_cbranch_execz .LBB184_96
; %bb.80:
	s_and_saveexec_b32 s0, vcc_lo
	s_cbranch_execnz .LBB184_112
; %bb.81:
	s_or_b32 exec_lo, exec_lo, s0
	s_and_saveexec_b32 s0, vcc_lo
	s_cbranch_execnz .LBB184_113
.LBB184_82:
	s_or_b32 exec_lo, exec_lo, s0
	s_and_saveexec_b32 s0, vcc_lo
	s_cbranch_execnz .LBB184_114
.LBB184_83:
	s_or_b32 exec_lo, exec_lo, s0
	s_and_saveexec_b32 s0, vcc_lo
	s_cbranch_execnz .LBB184_115
.LBB184_84:
	s_or_b32 exec_lo, exec_lo, s0
	s_and_saveexec_b32 s0, vcc_lo
	s_cbranch_execnz .LBB184_116
.LBB184_85:
	s_or_b32 exec_lo, exec_lo, s0
	s_and_saveexec_b32 s0, vcc_lo
	s_cbranch_execnz .LBB184_117
.LBB184_86:
	s_or_b32 exec_lo, exec_lo, s0
	s_and_saveexec_b32 s0, vcc_lo
	s_cbranch_execnz .LBB184_118
.LBB184_87:
	s_or_b32 exec_lo, exec_lo, s0
	s_and_saveexec_b32 s0, vcc_lo
	s_cbranch_execnz .LBB184_119
.LBB184_88:
	s_or_b32 exec_lo, exec_lo, s0
	s_and_saveexec_b32 s0, vcc_lo
	s_cbranch_execnz .LBB184_120
.LBB184_89:
	s_or_b32 exec_lo, exec_lo, s0
	s_and_saveexec_b32 s0, vcc_lo
	s_cbranch_execnz .LBB184_121
.LBB184_90:
	s_or_b32 exec_lo, exec_lo, s0
	s_and_saveexec_b32 s0, vcc_lo
	s_cbranch_execnz .LBB184_122
.LBB184_91:
	s_or_b32 exec_lo, exec_lo, s0
	s_and_saveexec_b32 s0, vcc_lo
	s_cbranch_execnz .LBB184_123
.LBB184_92:
	s_or_b32 exec_lo, exec_lo, s0
	s_and_saveexec_b32 s0, vcc_lo
	s_cbranch_execnz .LBB184_124
.LBB184_93:
	s_or_b32 exec_lo, exec_lo, s0
	s_and_saveexec_b32 s0, vcc_lo
	s_cbranch_execz .LBB184_95
.LBB184_94:
	ds_read_b32 v14, v14 offset:416
	s_waitcnt lgkmcnt(0)
	v_add_f32_e32 v2, v2, v14
.LBB184_95:
	s_or_b32 exec_lo, exec_lo, s0
.LBB184_96:
	s_or_b32 exec_lo, exec_lo, s1
	s_barrier
	buffer_gl0_inv
	s_mov_b32 s0, exec_lo
	v_cmpx_eq_u32_e32 0, v16
	s_cbranch_execz .LBB184_98
; %bb.97:
	s_mul_i32 s0, s4, 0x70
	v_bfe_u32 v14, v13, 16, 1
	s_ashr_i32 s1, s0, 31
	s_mul_i32 s2, s7, s10
	s_lshl_b64 s[0:1], s[0:1], 1
	v_or_b32_e32 v15, 0x400000, v13
	s_add_u32 s4, s20, s0
	s_addc_u32 s1, s21, s1
	s_ashr_i32 s3, s2, 31
	v_add3_u32 v14, v14, v13, 0x7fff
	s_lshl_b64 s[2:3], s[2:3], 1
	v_bfe_u32 v17, v12, 16, 1
	v_cmp_u_f32_e32 vcc_lo, v13, v13
	s_mul_i32 s0, s8, 0x70
	s_add_u32 s2, s4, s2
	s_addc_u32 s3, s1, s3
	s_ashr_i32 s1, s0, 31
	v_lshrrev_b32_e32 v16, 1, v98
	s_lshl_b64 s[0:1], s[0:1], 1
	v_cndmask_b32_e32 v13, v14, v15, vcc_lo
	v_bfe_u32 v14, v11, 16, 1
	v_add3_u32 v15, v17, v12, 0x7fff
	v_or_b32_e32 v17, 0x400000, v12
	v_cmp_u_f32_e32 vcc_lo, v12, v12
	s_add_u32 s0, s2, s0
	s_addc_u32 s1, s3, s1
	global_store_short_d16_hi v16, v13, s[0:1]
	v_add3_u32 v13, v14, v11, 0x7fff
	v_or_b32_e32 v14, 0x400000, v11
	v_cndmask_b32_e32 v12, v15, v17, vcc_lo
	v_bfe_u32 v15, v10, 16, 1
	v_cmp_u_f32_e32 vcc_lo, v11, v11
	global_store_short_d16_hi v16, v12, s[0:1] offset:16
	v_add3_u32 v12, v15, v10, 0x7fff
	v_cndmask_b32_e32 v11, v13, v14, vcc_lo
	v_bfe_u32 v13, v9, 16, 1
	v_or_b32_e32 v14, 0x400000, v10
	v_cmp_u_f32_e32 vcc_lo, v10, v10
	global_store_short_d16_hi v16, v11, s[0:1] offset:32
	v_add3_u32 v11, v13, v9, 0x7fff
	v_or_b32_e32 v13, 0x400000, v9
	v_cndmask_b32_e32 v10, v12, v14, vcc_lo
	v_bfe_u32 v12, v8, 16, 1
	v_cmp_u_f32_e32 vcc_lo, v9, v9
	global_store_short_d16_hi v16, v10, s[0:1] offset:48
	v_add3_u32 v10, v12, v8, 0x7fff
	v_cndmask_b32_e32 v9, v11, v13, vcc_lo
	v_bfe_u32 v11, v7, 16, 1
	v_or_b32_e32 v12, 0x400000, v8
	v_cmp_u_f32_e32 vcc_lo, v8, v8
	global_store_short_d16_hi v16, v9, s[0:1] offset:64
	;; [unrolled: 12-line block ×3, first 2 shown]
	v_add3_u32 v7, v9, v5, 0x7fff
	v_or_b32_e32 v9, 0x400000, v5
	v_cndmask_b32_e32 v6, v8, v10, vcc_lo
	v_bfe_u32 v8, v4, 16, 1
	v_cmp_u_f32_e32 vcc_lo, v5, v5
	v_or_b32_e32 v10, 0x400000, v2
	global_store_short_d16_hi v16, v6, s[0:1] offset:112
	v_add3_u32 v6, v8, v4, 0x7fff
	v_cndmask_b32_e32 v5, v7, v9, vcc_lo
	v_bfe_u32 v7, v3, 16, 1
	v_or_b32_e32 v8, 0x400000, v4
	v_cmp_u_f32_e32 vcc_lo, v4, v4
	v_or_b32_e32 v9, 0x400000, v1
	global_store_short_d16_hi v16, v5, s[0:1] offset:128
	v_add3_u32 v5, v7, v3, 0x7fff
	v_or_b32_e32 v7, 0x400000, v3
	v_cndmask_b32_e32 v4, v6, v8, vcc_lo
	v_bfe_u32 v6, v0, 16, 1
	v_cmp_u_f32_e32 vcc_lo, v3, v3
	v_bfe_u32 v8, v1, 16, 1
	v_add3_u32 v6, v6, v0, 0x7fff
	v_cndmask_b32_e32 v3, v5, v7, vcc_lo
	v_or_b32_e32 v7, 0x400000, v0
	v_cmp_u_f32_e32 vcc_lo, v0, v0
	v_bfe_u32 v5, v2, 16, 1
	v_add3_u32 v8, v8, v1, 0x7fff
	v_cndmask_b32_e32 v0, v6, v7, vcc_lo
	v_cmp_u_f32_e32 vcc_lo, v1, v1
	v_add3_u32 v5, v5, v2, 0x7fff
	v_cndmask_b32_e32 v1, v8, v9, vcc_lo
	v_cmp_u_f32_e32 vcc_lo, v2, v2
	v_cndmask_b32_e32 v2, v5, v10, vcc_lo
	global_store_short_d16_hi v16, v4, s[0:1] offset:144
	global_store_short_d16_hi v16, v3, s[0:1] offset:160
	;; [unrolled: 1-line block ×5, first 2 shown]
.LBB184_98:
	s_endpgm
.LBB184_99:
	ds_read_b32 v16, v14
	s_waitcnt lgkmcnt(0)
	v_add_f32_e32 v13, v13, v16
	s_or_b32 exec_lo, exec_lo, s0
	s_and_saveexec_b32 s0, vcc_lo
	s_cbranch_execz .LBB184_63
.LBB184_100:
	ds_read_b32 v16, v14 offset:32
	s_waitcnt lgkmcnt(0)
	v_add_f32_e32 v12, v12, v16
	s_or_b32 exec_lo, exec_lo, s0
	s_and_saveexec_b32 s0, vcc_lo
	s_cbranch_execz .LBB184_64
.LBB184_101:
	ds_read_b32 v16, v14 offset:64
	s_waitcnt lgkmcnt(0)
	v_add_f32_e32 v11, v11, v16
	s_or_b32 exec_lo, exec_lo, s0
	s_and_saveexec_b32 s0, vcc_lo
	s_cbranch_execz .LBB184_65
.LBB184_102:
	ds_read_b32 v16, v14 offset:96
	s_waitcnt lgkmcnt(0)
	v_add_f32_e32 v10, v10, v16
	s_or_b32 exec_lo, exec_lo, s0
	s_and_saveexec_b32 s0, vcc_lo
	s_cbranch_execz .LBB184_66
.LBB184_103:
	ds_read_b32 v16, v14 offset:128
	s_waitcnt lgkmcnt(0)
	v_add_f32_e32 v9, v9, v16
	s_or_b32 exec_lo, exec_lo, s0
	s_and_saveexec_b32 s0, vcc_lo
	s_cbranch_execz .LBB184_67
.LBB184_104:
	ds_read_b32 v16, v14 offset:160
	s_waitcnt lgkmcnt(0)
	v_add_f32_e32 v8, v8, v16
	s_or_b32 exec_lo, exec_lo, s0
	s_and_saveexec_b32 s0, vcc_lo
	s_cbranch_execz .LBB184_68
.LBB184_105:
	ds_read_b32 v16, v14 offset:192
	s_waitcnt lgkmcnt(0)
	v_add_f32_e32 v7, v7, v16
	s_or_b32 exec_lo, exec_lo, s0
	s_and_saveexec_b32 s0, vcc_lo
	s_cbranch_execz .LBB184_69
.LBB184_106:
	ds_read_b32 v16, v14 offset:224
	s_waitcnt lgkmcnt(0)
	v_add_f32_e32 v6, v6, v16
	s_or_b32 exec_lo, exec_lo, s0
	s_and_saveexec_b32 s0, vcc_lo
	s_cbranch_execz .LBB184_70
.LBB184_107:
	ds_read_b32 v16, v14 offset:256
	s_waitcnt lgkmcnt(0)
	v_add_f32_e32 v5, v5, v16
	s_or_b32 exec_lo, exec_lo, s0
	s_and_saveexec_b32 s0, vcc_lo
	s_cbranch_execz .LBB184_71
.LBB184_108:
	ds_read_b32 v16, v14 offset:288
	s_waitcnt lgkmcnt(0)
	v_add_f32_e32 v4, v4, v16
	s_or_b32 exec_lo, exec_lo, s0
	s_and_saveexec_b32 s0, vcc_lo
	s_cbranch_execz .LBB184_72
.LBB184_109:
	ds_read_b32 v16, v14 offset:320
	s_waitcnt lgkmcnt(0)
	v_add_f32_e32 v3, v3, v16
	s_or_b32 exec_lo, exec_lo, s0
	s_and_saveexec_b32 s0, vcc_lo
	s_cbranch_execz .LBB184_73
.LBB184_110:
	ds_read_b32 v16, v14 offset:352
	s_waitcnt lgkmcnt(0)
	v_add_f32_e32 v0, v0, v16
	s_or_b32 exec_lo, exec_lo, s0
	s_and_saveexec_b32 s0, vcc_lo
	s_cbranch_execz .LBB184_74
.LBB184_111:
	ds_read_b32 v16, v14 offset:384
	s_waitcnt lgkmcnt(0)
	v_add_f32_e32 v1, v1, v16
	s_or_b32 exec_lo, exec_lo, s0
	s_and_saveexec_b32 s0, vcc_lo
	s_cbranch_execnz .LBB184_75
	s_branch .LBB184_76
.LBB184_112:
	ds_read_b32 v15, v14
	s_waitcnt lgkmcnt(0)
	v_add_f32_e32 v13, v13, v15
	s_or_b32 exec_lo, exec_lo, s0
	s_and_saveexec_b32 s0, vcc_lo
	s_cbranch_execz .LBB184_82
.LBB184_113:
	ds_read_b32 v15, v14 offset:32
	s_waitcnt lgkmcnt(0)
	v_add_f32_e32 v12, v12, v15
	s_or_b32 exec_lo, exec_lo, s0
	s_and_saveexec_b32 s0, vcc_lo
	s_cbranch_execz .LBB184_83
.LBB184_114:
	ds_read_b32 v15, v14 offset:64
	s_waitcnt lgkmcnt(0)
	v_add_f32_e32 v11, v11, v15
	s_or_b32 exec_lo, exec_lo, s0
	s_and_saveexec_b32 s0, vcc_lo
	s_cbranch_execz .LBB184_84
.LBB184_115:
	ds_read_b32 v15, v14 offset:96
	s_waitcnt lgkmcnt(0)
	v_add_f32_e32 v10, v10, v15
	s_or_b32 exec_lo, exec_lo, s0
	s_and_saveexec_b32 s0, vcc_lo
	s_cbranch_execz .LBB184_85
.LBB184_116:
	ds_read_b32 v15, v14 offset:128
	s_waitcnt lgkmcnt(0)
	v_add_f32_e32 v9, v9, v15
	s_or_b32 exec_lo, exec_lo, s0
	s_and_saveexec_b32 s0, vcc_lo
	s_cbranch_execz .LBB184_86
.LBB184_117:
	ds_read_b32 v15, v14 offset:160
	s_waitcnt lgkmcnt(0)
	v_add_f32_e32 v8, v8, v15
	s_or_b32 exec_lo, exec_lo, s0
	s_and_saveexec_b32 s0, vcc_lo
	s_cbranch_execz .LBB184_87
.LBB184_118:
	ds_read_b32 v15, v14 offset:192
	s_waitcnt lgkmcnt(0)
	v_add_f32_e32 v7, v7, v15
	s_or_b32 exec_lo, exec_lo, s0
	s_and_saveexec_b32 s0, vcc_lo
	s_cbranch_execz .LBB184_88
.LBB184_119:
	ds_read_b32 v15, v14 offset:224
	s_waitcnt lgkmcnt(0)
	v_add_f32_e32 v6, v6, v15
	s_or_b32 exec_lo, exec_lo, s0
	s_and_saveexec_b32 s0, vcc_lo
	s_cbranch_execz .LBB184_89
.LBB184_120:
	ds_read_b32 v15, v14 offset:256
	s_waitcnt lgkmcnt(0)
	v_add_f32_e32 v5, v5, v15
	s_or_b32 exec_lo, exec_lo, s0
	s_and_saveexec_b32 s0, vcc_lo
	s_cbranch_execz .LBB184_90
.LBB184_121:
	ds_read_b32 v15, v14 offset:288
	s_waitcnt lgkmcnt(0)
	v_add_f32_e32 v4, v4, v15
	s_or_b32 exec_lo, exec_lo, s0
	s_and_saveexec_b32 s0, vcc_lo
	s_cbranch_execz .LBB184_91
.LBB184_122:
	ds_read_b32 v15, v14 offset:320
	s_waitcnt lgkmcnt(0)
	v_add_f32_e32 v3, v3, v15
	s_or_b32 exec_lo, exec_lo, s0
	s_and_saveexec_b32 s0, vcc_lo
	s_cbranch_execz .LBB184_92
.LBB184_123:
	ds_read_b32 v15, v14 offset:352
	s_waitcnt lgkmcnt(0)
	v_add_f32_e32 v0, v0, v15
	s_or_b32 exec_lo, exec_lo, s0
	s_and_saveexec_b32 s0, vcc_lo
	s_cbranch_execz .LBB184_93
.LBB184_124:
	ds_read_b32 v15, v14 offset:384
	s_waitcnt lgkmcnt(0)
	v_add_f32_e32 v1, v1, v15
	s_or_b32 exec_lo, exec_lo, s0
	s_and_saveexec_b32 s0, vcc_lo
	s_cbranch_execnz .LBB184_94
	s_branch .LBB184_95
	.section	.rodata,"a",@progbits
	.p2align	6, 0x0
	.amdhsa_kernel _ZN4vllm25paged_attention_v2_kernelI14__hip_bfloat16S1_Li112ELi32ELi128ELNS_18Fp8KVCacheDataTypeE0ELb0ELi512EEEvPfS3_PT_PKS4_PKT0_SA_ifPKiSC_iPKfiiiSE_SE_iiiii
		.amdhsa_group_segment_fixed_size 256
		.amdhsa_private_segment_fixed_size 272
		.amdhsa_kernarg_size 400
		.amdhsa_user_sgpr_count 6
		.amdhsa_user_sgpr_private_segment_buffer 1
		.amdhsa_user_sgpr_dispatch_ptr 0
		.amdhsa_user_sgpr_queue_ptr 0
		.amdhsa_user_sgpr_kernarg_segment_ptr 1
		.amdhsa_user_sgpr_dispatch_id 0
		.amdhsa_user_sgpr_flat_scratch_init 0
		.amdhsa_user_sgpr_private_segment_size 0
		.amdhsa_wavefront_size32 1
		.amdhsa_uses_dynamic_stack 0
		.amdhsa_system_sgpr_private_segment_wavefront_offset 1
		.amdhsa_system_sgpr_workgroup_id_x 1
		.amdhsa_system_sgpr_workgroup_id_y 1
		.amdhsa_system_sgpr_workgroup_id_z 1
		.amdhsa_system_sgpr_workgroup_info 0
		.amdhsa_system_vgpr_workitem_id 0
		.amdhsa_next_free_vgpr 128
		.amdhsa_next_free_sgpr 44
		.amdhsa_reserve_vcc 1
		.amdhsa_reserve_flat_scratch 0
		.amdhsa_float_round_mode_32 0
		.amdhsa_float_round_mode_16_64 0
		.amdhsa_float_denorm_mode_32 3
		.amdhsa_float_denorm_mode_16_64 3
		.amdhsa_dx10_clamp 1
		.amdhsa_ieee_mode 1
		.amdhsa_fp16_overflow 0
		.amdhsa_workgroup_processor_mode 1
		.amdhsa_memory_ordered 1
		.amdhsa_forward_progress 1
		.amdhsa_shared_vgpr_count 0
		.amdhsa_exception_fp_ieee_invalid_op 0
		.amdhsa_exception_fp_denorm_src 0
		.amdhsa_exception_fp_ieee_div_zero 0
		.amdhsa_exception_fp_ieee_overflow 0
		.amdhsa_exception_fp_ieee_underflow 0
		.amdhsa_exception_fp_ieee_inexact 0
		.amdhsa_exception_int_div_zero 0
	.end_amdhsa_kernel
	.section	.text._ZN4vllm25paged_attention_v2_kernelI14__hip_bfloat16S1_Li112ELi32ELi128ELNS_18Fp8KVCacheDataTypeE0ELb0ELi512EEEvPfS3_PT_PKS4_PKT0_SA_ifPKiSC_iPKfiiiSE_SE_iiiii,"axG",@progbits,_ZN4vllm25paged_attention_v2_kernelI14__hip_bfloat16S1_Li112ELi32ELi128ELNS_18Fp8KVCacheDataTypeE0ELb0ELi512EEEvPfS3_PT_PKS4_PKT0_SA_ifPKiSC_iPKfiiiSE_SE_iiiii,comdat
.Lfunc_end184:
	.size	_ZN4vllm25paged_attention_v2_kernelI14__hip_bfloat16S1_Li112ELi32ELi128ELNS_18Fp8KVCacheDataTypeE0ELb0ELi512EEEvPfS3_PT_PKS4_PKT0_SA_ifPKiSC_iPKfiiiSE_SE_iiiii, .Lfunc_end184-_ZN4vllm25paged_attention_v2_kernelI14__hip_bfloat16S1_Li112ELi32ELi128ELNS_18Fp8KVCacheDataTypeE0ELb0ELi512EEEvPfS3_PT_PKS4_PKT0_SA_ifPKiSC_iPKfiiiSE_SE_iiiii
                                        ; -- End function
	.set _ZN4vllm25paged_attention_v2_kernelI14__hip_bfloat16S1_Li112ELi32ELi128ELNS_18Fp8KVCacheDataTypeE0ELb0ELi512EEEvPfS3_PT_PKS4_PKT0_SA_ifPKiSC_iPKfiiiSE_SE_iiiii.num_vgpr, 128
	.set _ZN4vllm25paged_attention_v2_kernelI14__hip_bfloat16S1_Li112ELi32ELi128ELNS_18Fp8KVCacheDataTypeE0ELb0ELi512EEEvPfS3_PT_PKS4_PKT0_SA_ifPKiSC_iPKfiiiSE_SE_iiiii.num_agpr, 0
	.set _ZN4vllm25paged_attention_v2_kernelI14__hip_bfloat16S1_Li112ELi32ELi128ELNS_18Fp8KVCacheDataTypeE0ELb0ELi512EEEvPfS3_PT_PKS4_PKT0_SA_ifPKiSC_iPKfiiiSE_SE_iiiii.numbered_sgpr, 44
	.set _ZN4vllm25paged_attention_v2_kernelI14__hip_bfloat16S1_Li112ELi32ELi128ELNS_18Fp8KVCacheDataTypeE0ELb0ELi512EEEvPfS3_PT_PKS4_PKT0_SA_ifPKiSC_iPKfiiiSE_SE_iiiii.num_named_barrier, 0
	.set _ZN4vllm25paged_attention_v2_kernelI14__hip_bfloat16S1_Li112ELi32ELi128ELNS_18Fp8KVCacheDataTypeE0ELb0ELi512EEEvPfS3_PT_PKS4_PKT0_SA_ifPKiSC_iPKfiiiSE_SE_iiiii.private_seg_size, 272
	.set _ZN4vllm25paged_attention_v2_kernelI14__hip_bfloat16S1_Li112ELi32ELi128ELNS_18Fp8KVCacheDataTypeE0ELb0ELi512EEEvPfS3_PT_PKS4_PKT0_SA_ifPKiSC_iPKfiiiSE_SE_iiiii.uses_vcc, 1
	.set _ZN4vllm25paged_attention_v2_kernelI14__hip_bfloat16S1_Li112ELi32ELi128ELNS_18Fp8KVCacheDataTypeE0ELb0ELi512EEEvPfS3_PT_PKS4_PKT0_SA_ifPKiSC_iPKfiiiSE_SE_iiiii.uses_flat_scratch, 0
	.set _ZN4vllm25paged_attention_v2_kernelI14__hip_bfloat16S1_Li112ELi32ELi128ELNS_18Fp8KVCacheDataTypeE0ELb0ELi512EEEvPfS3_PT_PKS4_PKT0_SA_ifPKiSC_iPKfiiiSE_SE_iiiii.has_dyn_sized_stack, 0
	.set _ZN4vllm25paged_attention_v2_kernelI14__hip_bfloat16S1_Li112ELi32ELi128ELNS_18Fp8KVCacheDataTypeE0ELb0ELi512EEEvPfS3_PT_PKS4_PKT0_SA_ifPKiSC_iPKfiiiSE_SE_iiiii.has_recursion, 0
	.set _ZN4vllm25paged_attention_v2_kernelI14__hip_bfloat16S1_Li112ELi32ELi128ELNS_18Fp8KVCacheDataTypeE0ELb0ELi512EEEvPfS3_PT_PKS4_PKT0_SA_ifPKiSC_iPKfiiiSE_SE_iiiii.has_indirect_call, 0
	.section	.AMDGPU.csdata,"",@progbits
; Kernel info:
; codeLenInByte = 18392
; TotalNumSgprs: 46
; NumVgprs: 128
; ScratchSize: 272
; MemoryBound: 0
; FloatMode: 240
; IeeeMode: 1
; LDSByteSize: 256 bytes/workgroup (compile time only)
; SGPRBlocks: 0
; VGPRBlocks: 15
; NumSGPRsForWavesPerEU: 46
; NumVGPRsForWavesPerEU: 128
; Occupancy: 8
; WaveLimiterHint : 1
; COMPUTE_PGM_RSRC2:SCRATCH_EN: 1
; COMPUTE_PGM_RSRC2:USER_SGPR: 6
; COMPUTE_PGM_RSRC2:TRAP_HANDLER: 0
; COMPUTE_PGM_RSRC2:TGID_X_EN: 1
; COMPUTE_PGM_RSRC2:TGID_Y_EN: 1
; COMPUTE_PGM_RSRC2:TGID_Z_EN: 1
; COMPUTE_PGM_RSRC2:TIDIG_COMP_CNT: 0
	.section	.text._ZN4vllm25paged_attention_v2_kernelI14__hip_bfloat16S1_Li120ELi32ELi128ELNS_18Fp8KVCacheDataTypeE0ELb0ELi512EEEvPfS3_PT_PKS4_PKT0_SA_ifPKiSC_iPKfiiiSE_SE_iiiii,"axG",@progbits,_ZN4vllm25paged_attention_v2_kernelI14__hip_bfloat16S1_Li120ELi32ELi128ELNS_18Fp8KVCacheDataTypeE0ELb0ELi512EEEvPfS3_PT_PKS4_PKT0_SA_ifPKiSC_iPKfiiiSE_SE_iiiii,comdat
	.protected	_ZN4vllm25paged_attention_v2_kernelI14__hip_bfloat16S1_Li120ELi32ELi128ELNS_18Fp8KVCacheDataTypeE0ELb0ELi512EEEvPfS3_PT_PKS4_PKT0_SA_ifPKiSC_iPKfiiiSE_SE_iiiii ; -- Begin function _ZN4vllm25paged_attention_v2_kernelI14__hip_bfloat16S1_Li120ELi32ELi128ELNS_18Fp8KVCacheDataTypeE0ELb0ELi512EEEvPfS3_PT_PKS4_PKT0_SA_ifPKiSC_iPKfiiiSE_SE_iiiii
	.globl	_ZN4vllm25paged_attention_v2_kernelI14__hip_bfloat16S1_Li120ELi32ELi128ELNS_18Fp8KVCacheDataTypeE0ELb0ELi512EEEvPfS3_PT_PKS4_PKT0_SA_ifPKiSC_iPKfiiiSE_SE_iiiii
	.p2align	8
	.type	_ZN4vllm25paged_attention_v2_kernelI14__hip_bfloat16S1_Li120ELi32ELi128ELNS_18Fp8KVCacheDataTypeE0ELb0ELi512EEEvPfS3_PT_PKS4_PKT0_SA_ifPKiSC_iPKfiiiSE_SE_iiiii,@function
_ZN4vllm25paged_attention_v2_kernelI14__hip_bfloat16S1_Li120ELi32ELi128ELNS_18Fp8KVCacheDataTypeE0ELb0ELi512EEEvPfS3_PT_PKS4_PKT0_SA_ifPKiSC_iPKfiiiSE_SE_iiiii: ; @_ZN4vllm25paged_attention_v2_kernelI14__hip_bfloat16S1_Li120ELi32ELi128ELNS_18Fp8KVCacheDataTypeE0ELb0ELi512EEEvPfS3_PT_PKS4_PKT0_SA_ifPKiSC_iPKfiiiSE_SE_iiiii
; %bb.0:
	s_mov_b64 s[42:43], s[2:3]
	s_mov_b64 s[40:41], s[0:1]
	s_load_dwordx2 s[0:1], s[4:5], 0x40
	s_add_u32 s40, s40, s9
	s_addc_u32 s41, s41, 0
	s_mov_b32 s24, s7
	s_ashr_i32 s25, s7, 31
	s_lshl_b64 s[2:3], s[24:25], 2
	s_waitcnt lgkmcnt(0)
	s_add_u32 s0, s0, s2
	s_addc_u32 s1, s1, s3
	s_lshl_b32 s30, s8, 9
	s_load_dword s25, s[0:1], 0x0
	s_waitcnt lgkmcnt(0)
	s_cmp_ge_i32 s30, s25
	s_cbranch_scc1 .LBB185_102
; %bb.1:
	s_clause 0x1
	s_load_dword s9, s[4:5], 0x90
	s_load_dwordx2 s[2:3], s[4:5], 0x30
	v_mov_b32_e32 v104, v0
	s_mov_b32 s33, 0
	s_waitcnt lgkmcnt(0)
	s_abs_i32 s10, s9
	s_abs_i32 s0, s2
	s_xor_b32 s2, s9, s2
	v_cvt_f32_u32_e32 v0, s0
	s_sub_i32 s7, 0, s0
	s_ashr_i32 s2, s2, 31
	v_rcp_iflag_f32_e32 v0, v0
	v_mul_f32_e32 v0, 0x4f7ffffe, v0
	v_cvt_u32_f32_e32 v0, v0
	v_readfirstlane_b32 s1, v0
	s_mul_i32 s7, s7, s1
	s_mul_hi_u32 s7, s1, s7
	s_add_i32 s1, s1, s7
	s_mul_hi_u32 s1, s10, s1
	s_mul_i32 s7, s1, s0
	s_sub_i32 s7, s10, s7
	s_add_i32 s10, s1, 1
	s_sub_i32 s11, s7, s0
	s_cmp_ge_u32 s7, s0
	s_cselect_b32 s1, s10, s1
	s_cselect_b32 s7, s11, s7
	s_add_i32 s10, s1, 1
	s_cmp_ge_u32 s7, s0
	s_cselect_b32 s0, s10, s1
	s_abs_i32 s29, s6
	s_xor_b32 s0, s0, s2
	s_sub_i32 s10, s0, s2
	s_load_dwordx2 s[0:1], s[4:5], 0x50
	s_abs_i32 s2, s10
	v_cvt_f32_u32_e32 v0, s2
	s_sub_i32 s11, 0, s2
	v_rcp_iflag_f32_e32 v0, v0
	v_mul_f32_e32 v0, 0x4f7ffffe, v0
	v_cvt_u32_f32_e32 v0, v0
	v_readfirstlane_b32 s7, v0
	s_mul_i32 s11, s11, s7
	s_mul_hi_u32 s11, s7, s11
	s_add_i32 s7, s7, s11
	s_waitcnt lgkmcnt(0)
	s_cmp_eq_u64 s[0:1], 0
	s_mul_hi_u32 s28, s29, s7
	s_cbranch_scc1 .LBB185_3
; %bb.2:
	s_ashr_i32 s7, s6, 31
	s_lshl_b64 s[12:13], s[6:7], 2
	s_add_u32 s0, s0, s12
	s_addc_u32 s1, s1, s13
	s_load_dword s33, s[0:1], 0x0
.LBB185_3:
	s_clause 0x1
	s_load_dwordx2 s[22:23], s[4:5], 0x38
	s_load_dwordx4 s[12:15], s[4:5], 0x58
	v_lshlrev_b32_e32 v10, 4, v104
	s_ashr_i32 s0, s6, 31
	s_ashr_i32 s1, s10, 31
	s_mul_i32 s10, s6, 0x78
	s_mov_b32 s7, exec_lo
	v_cmpx_gt_u32_e32 15, v104
	s_cbranch_execz .LBB185_5
; %bb.4:
	s_load_dwordx2 s[16:17], s[4:5], 0x18
	s_waitcnt lgkmcnt(0)
	s_mul_i32 s18, s12, s24
	s_ashr_i32 s19, s18, 31
	s_lshl_b64 s[18:19], s[18:19], 1
	s_add_u32 s12, s16, s18
	s_addc_u32 s15, s17, s19
	s_ashr_i32 s11, s10, 31
	s_lshl_b64 s[16:17], s[10:11], 1
	s_add_u32 s16, s12, s16
	s_addc_u32 s17, s15, s17
	global_load_dwordx4 v[0:3], v10, s[16:17]
	s_waitcnt vmcnt(0)
	ds_write_b128 v10, v[0:3]
.LBB185_5:
	s_or_b32 exec_lo, exec_lo, s7
	s_add_i32 s7, s25, 31
	s_clause 0x1
	s_load_dwordx4 s[16:19], s[4:5], 0x0
	s_load_dwordx2 s[20:21], s[4:5], 0x10
	s_ashr_i32 s11, s7, 31
	s_lshl_b32 s31, s8, 4
	s_lshr_b32 s11, s11, 27
	s_mul_i32 s34, s28, s2
	s_add_i32 s7, s7, s11
	s_add_i32 s11, s31, 16
	s_waitcnt lgkmcnt(0)
	s_ashr_i32 s12, s7, 5
	s_clause 0x2
	s_load_dwordx2 s[26:27], s[4:5], 0x28
	s_load_dword s7, s[4:5], 0x98
	s_load_dword s15, s[4:5], 0x48
	s_xor_b32 s0, s0, s1
	s_sub_i32 s1, s29, s34
	s_min_i32 s11, s11, s12
	s_add_i32 s29, s28, 1
	s_sub_i32 s34, s1, s2
	s_cmp_ge_u32 s1, s2
	v_lshrrev_b32_e32 v105, 5, v104
	s_cselect_b32 s28, s29, s28
	s_cselect_b32 s1, s34, s1
	s_add_i32 s29, s28, 1
	s_cmp_ge_u32 s1, s2
	v_add_nc_u32_e32 v69, s31, v105
	v_and_b32_e32 v106, 31, v104
	s_cselect_b32 s1, s29, s28
	v_mov_b32_e32 v82, 0xff7fffff
	s_xor_b32 s1, s1, s0
	v_ashrrev_i32_e32 v70, 31, v69
	s_sub_i32 s1, s1, s0
	v_cmp_gt_i32_e64 s0, s11, v69
	v_lshlrev_b32_e32 v14, 5, v105
	v_lshlrev_b32_e32 v15, 2, v106
	s_waitcnt lgkmcnt(0)
	s_mul_i32 s28, s15, s24
	s_mul_i32 s14, s1, s14
	s_ashr_i32 s29, s28, 31
	s_barrier
	buffer_gl0_inv
	s_and_saveexec_b32 s34, s0
	s_cbranch_execz .LBB185_9
; %bb.6:
	v_mov_b32_e32 v1, 0
	buffer_store_dword v10, off, s[40:43], 0 offset:284 ; 4-byte Folded Spill
	buffer_store_dword v104, off, s[40:43], 0 offset:272 ; 4-byte Folded Spill
	s_load_dwordx2 s[4:5], s[4:5], 0x20
	s_ashr_i32 s15, s14, 31
	v_add3_u32 v90, s30, v14, v106
	ds_read_b128 v[2:5], v1
	ds_read_b128 v[6:9], v1 offset:16
	ds_read_b128 v[10:13], v1 offset:32
	s_lshl_b64 s[36:37], s[14:15], 1
	v_mov_b32_e32 v82, 0xff7fffff
	v_mov_b32_e32 v91, v69
	s_waitcnt lgkmcnt(0)
	s_add_u32 s1, s4, s36
	v_and_b32_e32 v0, 0xffff0000, v2
	s_addc_u32 s2, s5, s37
	s_lshl_b64 s[36:37], s[28:29], 2
	s_sub_i32 s4, 1, s25
	s_add_u32 s5, s22, s36
	buffer_store_dword v0, off, s[40:43], 0 ; 4-byte Folded Spill
	v_lshlrev_b32_e32 v0, 16, v2
	s_addc_u32 s15, s23, s37
	buffer_store_dword v0, off, s[40:43], 0 offset:4 ; 4-byte Folded Spill
	v_and_b32_e32 v0, 0xffff0000, v6
	buffer_store_dword v0, off, s[40:43], 0 offset:8 ; 4-byte Folded Spill
	v_lshlrev_b32_e32 v0, 16, v6
	buffer_store_dword v0, off, s[40:43], 0 offset:12 ; 4-byte Folded Spill
	v_and_b32_e32 v0, 0xffff0000, v3
	buffer_store_dword v0, off, s[40:43], 0 offset:16 ; 4-byte Folded Spill
	v_lshlrev_b32_e32 v0, 16, v3
	;; [unrolled: 4-line block ×6, first 2 shown]
	ds_read_b128 v[2:5], v1 offset:48
	buffer_store_dword v0, off, s[40:43], 0 offset:52 ; 4-byte Folded Spill
	v_and_b32_e32 v0, 0xffff0000, v9
	buffer_store_dword v0, off, s[40:43], 0 offset:56 ; 4-byte Folded Spill
	v_lshlrev_b32_e32 v0, 16, v9
	buffer_store_dword v0, off, s[40:43], 0 offset:60 ; 4-byte Folded Spill
	v_and_b32_e32 v0, 0xffff0000, v10
	buffer_store_dword v0, off, s[40:43], 0 offset:64 ; 4-byte Folded Spill
	v_lshlrev_b32_e32 v0, 16, v10
	;; [unrolled: 4-line block ×5, first 2 shown]
	buffer_store_dword v0, off, s[40:43], 0 offset:92 ; 4-byte Folded Spill
	s_waitcnt lgkmcnt(0)
	v_and_b32_e32 v0, 0xffff0000, v2
	buffer_store_dword v0, off, s[40:43], 0 offset:96 ; 4-byte Folded Spill
	v_lshlrev_b32_e32 v0, 16, v2
	buffer_store_dword v0, off, s[40:43], 0 offset:100 ; 4-byte Folded Spill
	v_and_b32_e32 v0, 0xffff0000, v3
	buffer_store_dword v0, off, s[40:43], 0 offset:104 ; 4-byte Folded Spill
	v_lshlrev_b32_e32 v0, 16, v3
	buffer_store_dword v0, off, s[40:43], 0 offset:108 ; 4-byte Folded Spill
	v_and_b32_e32 v0, 0xffff0000, v4
	buffer_store_dword v0, off, s[40:43], 0 offset:112 ; 4-byte Folded Spill
	v_lshlrev_b32_e32 v0, 16, v4
	buffer_store_dword v0, off, s[40:43], 0 offset:116 ; 4-byte Folded Spill
	v_and_b32_e32 v0, 0xffff0000, v5
	buffer_store_dword v0, off, s[40:43], 0 offset:120 ; 4-byte Folded Spill
	v_lshlrev_b32_e32 v0, 16, v5
	ds_read_b128 v[2:5], v1 offset:64
	buffer_store_dword v0, off, s[40:43], 0 offset:124 ; 4-byte Folded Spill
	s_waitcnt lgkmcnt(0)
	v_and_b32_e32 v0, 0xffff0000, v2
	buffer_store_dword v0, off, s[40:43], 0 offset:128 ; 4-byte Folded Spill
	v_lshlrev_b32_e32 v0, 16, v2
	buffer_store_dword v0, off, s[40:43], 0 offset:132 ; 4-byte Folded Spill
	v_and_b32_e32 v0, 0xffff0000, v3
	buffer_store_dword v0, off, s[40:43], 0 offset:136 ; 4-byte Folded Spill
	v_lshlrev_b32_e32 v0, 16, v3
	buffer_store_dword v0, off, s[40:43], 0 offset:140 ; 4-byte Folded Spill
	v_and_b32_e32 v0, 0xffff0000, v4
	buffer_store_dword v0, off, s[40:43], 0 offset:144 ; 4-byte Folded Spill
	v_lshlrev_b32_e32 v0, 16, v4
	buffer_store_dword v0, off, s[40:43], 0 offset:148 ; 4-byte Folded Spill
	v_and_b32_e32 v0, 0xffff0000, v5
	buffer_store_dword v0, off, s[40:43], 0 offset:152 ; 4-byte Folded Spill
	v_lshlrev_b32_e32 v0, 16, v5
	ds_read_b128 v[2:5], v1 offset:80
	;; [unrolled: 18-line block ×5, first 2 shown]
	buffer_store_dword v0, off, s[40:43], 0 offset:252 ; 4-byte Folded Spill
	s_waitcnt lgkmcnt(0)
	v_and_b32_e32 v0, 0xffff0000, v2
	v_and_b32_e32 v118, 0xffff0000, v4
	v_lshlrev_b32_e32 v119, 16, v4
	v_and_b32_e32 v120, 0xffff0000, v5
	v_lshlrev_b32_e32 v121, 16, v5
	buffer_store_dword v0, off, s[40:43], 0 offset:256 ; 4-byte Folded Spill
	v_lshlrev_b32_e32 v0, 16, v2
	buffer_store_dword v0, off, s[40:43], 0 offset:260 ; 4-byte Folded Spill
	v_and_b32_e32 v0, 0xffff0000, v3
	buffer_store_dword v0, off, s[40:43], 0 offset:264 ; 4-byte Folded Spill
	v_lshlrev_b32_e32 v0, 16, v3
	ds_read_b128 v[2:5], v1 offset:144
	buffer_store_dword v0, off, s[40:43], 0 offset:268 ; 4-byte Folded Spill
	s_waitcnt lgkmcnt(0)
	v_and_b32_e32 v122, 0xffff0000, v2
	v_lshlrev_b32_e32 v123, 16, v2
	v_and_b32_e32 v124, 0xffff0000, v3
	v_lshlrev_b32_e32 v125, 16, v3
	v_and_b32_e32 v126, 0xffff0000, v4
	v_lshlrev_b32_e32 v127, 16, v4
	v_and_b32_e32 v44, 0xffff0000, v5
	v_lshlrev_b32_e32 v43, 16, v5
	ds_read_b128 v[2:5], v1 offset:160
	s_waitcnt lgkmcnt(0)
	v_and_b32_e32 v45, 0xffff0000, v2
	v_lshlrev_b32_e32 v72, 16, v2
	v_and_b32_e32 v73, 0xffff0000, v3
	v_lshlrev_b32_e32 v46, 16, v3
	v_and_b32_e32 v0, 0xffff0000, v4
	v_lshlrev_b32_e32 v47, 16, v4
	v_and_b32_e32 v48, 0xffff0000, v5
	v_lshlrev_b32_e32 v49, 16, v5
	ds_read_b128 v[2:5], v1 offset:176
	;; [unrolled: 10-line block ×4, first 2 shown]
	s_waitcnt lgkmcnt(0)
	v_and_b32_e32 v66, 0xffff0000, v2
	v_lshlrev_b32_e32 v67, 16, v2
	v_and_b32_e32 v68, 0xffff0000, v3
	v_lshlrev_b32_e32 v71, 16, v3
	;; [unrolled: 2-line block ×3, first 2 shown]
	ds_read_b128 v[1:4], v1 offset:224
	v_and_b32_e32 v76, 0xffff0000, v5
	v_lshlrev_b32_e32 v77, 16, v5
	buffer_store_dword v105, off, s[40:43], 0 offset:276 ; 4-byte Folded Spill
	buffer_store_dword v15, off, s[40:43], 0 offset:292 ; 4-byte Folded Spill
	;; [unrolled: 1-line block ×4, first 2 shown]
	s_waitcnt lgkmcnt(0)
	v_and_b32_e32 v78, 0xffff0000, v1
	v_lshlrev_b32_e32 v79, 16, v1
	v_and_b32_e32 v80, 0xffff0000, v2
	v_lshlrev_b32_e32 v81, 16, v2
	v_lshlrev_b64 v[1:2], 2, v[69:70]
	v_and_b32_e32 v83, 0xffff0000, v3
	v_lshlrev_b32_e32 v84, 16, v3
	v_and_b32_e32 v85, 0xffff0000, v4
	v_lshlrev_b32_e32 v86, 16, v4
	v_add_co_u32 v41, vcc_lo, s5, v1
	v_lshl_or_b32 v1, v105, 7, v15
	v_add_co_ci_u32_e64 v42, null, s15, v2, vcc_lo
	v_cmp_neq_f32_e64 vcc_lo, s33, 0
	s_mov_b32 s15, s13
	v_add_nc_u32_e32 v87, 0x110, v1
	v_lshlrev_b32_e32 v1, 4, v106
	s_mov_b32 s5, 0
	v_add_co_u32 v88, s1, s1, v1
	v_add_co_ci_u32_e64 v89, null, s2, 0, s1
.LBB185_7:                              ; =>This Inner Loop Header: Depth=1
	global_load_dword v1, v[41:42], off
	v_add_nc_u32_e32 v3, s4, v90
	v_add_nc_u32_e32 v91, 4, v91
	v_cvt_f32_i32_e32 v3, v3
	v_mul_f32_e32 v3, s33, v3
	v_cndmask_b32_e32 v92, 0, v3, vcc_lo
	s_waitcnt vmcnt(0)
	v_mad_i64_i32 v[1:2], null, v1, s15, 0
	v_lshlrev_b64 v[1:2], 1, v[1:2]
	v_add_co_u32 v1, s1, v88, v1
	v_add_co_ci_u32_e64 v2, null, v89, v2, s1
	v_cmp_gt_i32_e64 s1, s25, v90
	v_add_nc_u32_e32 v90, 0x80, v90
	s_clause 0x2
	global_load_dwordx4 v[3:6], v[1:2], off
	global_load_dwordx4 v[7:10], v[1:2], off offset:512
	global_load_dwordx4 v[11:14], v[1:2], off offset:1024
	buffer_load_dword v17, off, s[40:43], 0 offset:8 ; 4-byte Folded Reload
	s_waitcnt vmcnt(3)
	v_and_b32_e32 v15, 0xffff0000, v3
	s_waitcnt vmcnt(2)
	v_lshlrev_b32_e32 v16, 16, v7
	v_and_b32_e32 v7, 0xffff0000, v7
	v_lshlrev_b32_e32 v3, 16, v3
	s_waitcnt vmcnt(0)
	v_mul_f32_e32 v93, v17, v7
	buffer_load_dword v7, off, s[40:43], 0 offset:12 ; 4-byte Folded Reload
	s_waitcnt vmcnt(0)
	v_mul_f32_e32 v94, v7, v16
	buffer_load_dword v7, off, s[40:43], 0 offset:4 ; 4-byte Folded Reload
	s_waitcnt vmcnt(0)
	v_fmac_f32_e32 v94, v7, v3
	buffer_load_dword v3, off, s[40:43], 0  ; 4-byte Folded Reload
	v_and_b32_e32 v7, 0xffff0000, v11
	s_waitcnt vmcnt(0)
	v_fmac_f32_e32 v93, v3, v15
	v_lshlrev_b32_e32 v3, 16, v11
	buffer_load_dword v11, off, s[40:43], 0 offset:64 ; 4-byte Folded Reload
	s_waitcnt vmcnt(0)
	v_fmac_f32_e32 v93, v11, v7
	s_clause 0x1
	buffer_load_dword v7, off, s[40:43], 0 offset:68
	buffer_load_dword v11, off, s[40:43], 0 offset:24
	s_waitcnt vmcnt(1)
	v_fmac_f32_e32 v94, v7, v3
	v_lshlrev_b32_e32 v7, 16, v8
	v_and_b32_e32 v8, 0xffff0000, v8
	v_and_b32_e32 v3, 0xffff0000, v4
	v_lshlrev_b32_e32 v4, 16, v4
	s_waitcnt vmcnt(0)
	v_mul_f32_e32 v95, v11, v8
	buffer_load_dword v8, off, s[40:43], 0 offset:28 ; 4-byte Folded Reload
	s_waitcnt vmcnt(0)
	v_mul_f32_e32 v96, v8, v7
	s_clause 0x1
	buffer_load_dword v7, off, s[40:43], 0 offset:20
	buffer_load_dword v8, off, s[40:43], 0 offset:40
	s_waitcnt vmcnt(1)
	v_fmac_f32_e32 v96, v7, v4
	s_clause 0x1
	buffer_load_dword v4, off, s[40:43], 0 offset:16
	buffer_load_dword v7, off, s[40:43], 0 offset:72
	s_waitcnt vmcnt(1)
	v_fmac_f32_e32 v95, v4, v3
	v_and_b32_e32 v4, 0xffff0000, v12
	v_lshlrev_b32_e32 v3, 16, v12
	s_waitcnt vmcnt(0)
	v_fmac_f32_e32 v95, v7, v4
	buffer_load_dword v4, off, s[40:43], 0 offset:76 ; 4-byte Folded Reload
	v_and_b32_e32 v7, 0xffff0000, v9
	v_mul_f32_e32 v97, v8, v7
	buffer_load_dword v7, off, s[40:43], 0 offset:44 ; 4-byte Folded Reload
	s_waitcnt vmcnt(1)
	v_fmac_f32_e32 v96, v4, v3
	v_and_b32_e32 v3, 0xffff0000, v5
	v_lshlrev_b32_e32 v4, 16, v5
	v_lshlrev_b32_e32 v5, 16, v9
	s_waitcnt vmcnt(0)
	v_mul_f32_e32 v98, v7, v5
	s_clause 0x1
	buffer_load_dword v5, off, s[40:43], 0 offset:36
	buffer_load_dword v7, off, s[40:43], 0 offset:56
	s_waitcnt vmcnt(1)
	v_fmac_f32_e32 v98, v5, v4
	s_clause 0x1
	buffer_load_dword v4, off, s[40:43], 0 offset:32
	buffer_load_dword v5, off, s[40:43], 0 offset:80
	s_waitcnt vmcnt(1)
	v_fmac_f32_e32 v97, v4, v3
	v_and_b32_e32 v4, 0xffff0000, v13
	v_lshlrev_b32_e32 v3, 16, v13
	s_waitcnt vmcnt(0)
	v_fmac_f32_e32 v97, v5, v4
	buffer_load_dword v4, off, s[40:43], 0 offset:84 ; 4-byte Folded Reload
	v_lshlrev_b32_e32 v5, 16, v10
	s_waitcnt vmcnt(0)
	v_fmac_f32_e32 v98, v4, v3
	v_and_b32_e32 v3, 0xffff0000, v6
	v_lshlrev_b32_e32 v4, 16, v6
	v_and_b32_e32 v6, 0xffff0000, v10
	v_mul_f32_e32 v99, v7, v6
	buffer_load_dword v6, off, s[40:43], 0 offset:60 ; 4-byte Folded Reload
	v_add_co_u32 v7, s2, 0x800, v1
	v_add_co_ci_u32_e64 v8, null, 0, v2, s2
	v_add_co_u32 v9, s2, v1, 0x1000
	v_add_co_ci_u32_e64 v10, null, 0, v2, s2
	s_waitcnt vmcnt(0)
	v_mul_f32_e32 v100, v6, v5
	buffer_load_dword v5, off, s[40:43], 0 offset:52 ; 4-byte Folded Reload
	s_waitcnt vmcnt(0)
	v_fmac_f32_e32 v100, v5, v4
	s_clause 0x1
	buffer_load_dword v4, off, s[40:43], 0 offset:48
	buffer_load_dword v5, off, s[40:43], 0 offset:88
	s_waitcnt vmcnt(1)
	v_fmac_f32_e32 v99, v4, v3
	v_and_b32_e32 v4, 0xffff0000, v14
	v_lshlrev_b32_e32 v3, 16, v14
	s_waitcnt vmcnt(0)
	v_fmac_f32_e32 v99, v5, v4
	buffer_load_dword v4, off, s[40:43], 0 offset:92 ; 4-byte Folded Reload
	s_waitcnt vmcnt(0)
	v_fmac_f32_e32 v100, v4, v3
	global_load_dwordx4 v[3:6], v[1:2], off offset:1536
	s_waitcnt vmcnt(0)
	v_and_b32_e32 v109, 0xffff0000, v3
	v_lshlrev_b32_e32 v110, 16, v3
	v_and_b32_e32 v111, 0xffff0000, v4
	v_lshlrev_b32_e32 v112, 16, v4
	;; [unrolled: 2-line block ×4, first 2 shown]
	s_clause 0x3
	global_load_dwordx4 v[3:6], v[9:10], off offset:-2048
	global_load_dwordx4 v[37:40], v[7:8], off offset:512
	global_load_dwordx4 v[33:36], v[7:8], off offset:1024
	;; [unrolled: 1-line block ×3, first 2 shown]
	s_waitcnt vmcnt(3)
	v_lshlrev_b32_e32 v113, 16, v3
	v_and_b32_e32 v114, 0xffff0000, v3
	v_add_co_u32 v3, s2, 0x1000, v1
	v_lshlrev_b32_e32 v115, 16, v4
	v_and_b32_e32 v116, 0xffff0000, v4
	v_add_co_ci_u32_e64 v4, null, 0, v2, s2
	v_add_co_u32 v1, s2, 0x1800, v1
	v_add_co_ci_u32_e64 v2, null, 0, v2, s2
	v_lshlrev_b32_e32 v107, 16, v5
	v_and_b32_e32 v108, 0xffff0000, v5
	v_lshlrev_b32_e32 v103, 16, v6
	v_and_b32_e32 v104, 0xffff0000, v6
	s_clause 0x6
	global_load_dwordx4 v[25:28], v[9:10], off
	global_load_dwordx4 v[21:24], v[3:4], off offset:512
	global_load_dwordx4 v[17:20], v[3:4], off offset:1024
	;; [unrolled: 1-line block ×3, first 2 shown]
	global_load_dwordx4 v[9:12], v[1:2], off
	global_load_dwordx4 v[5:8], v[1:2], off offset:512
	global_load_dwordx4 v[1:4], v[1:2], off offset:1024
	buffer_load_dword v117, off, s[40:43], 0 offset:100 ; 4-byte Folded Reload
	s_waitcnt vmcnt(0)
	v_fmac_f32_e32 v94, v117, v110
	buffer_load_dword v110, off, s[40:43], 0 offset:96 ; 4-byte Folded Reload
	s_waitcnt vmcnt(0)
	v_fmac_f32_e32 v93, v110, v109
	s_clause 0x1
	buffer_load_dword v109, off, s[40:43], 0 offset:128
	buffer_load_dword v110, off, s[40:43], 0 offset:164
	s_waitcnt vmcnt(1)
	v_fmac_f32_e32 v93, v109, v114
	buffer_load_dword v109, off, s[40:43], 0 offset:132 ; 4-byte Folded Reload
	s_waitcnt vmcnt(0)
	v_fmac_f32_e32 v94, v109, v113
	v_and_b32_e32 v109, 0xffff0000, v37
	v_lshlrev_b32_e32 v37, 16, v37
	v_fmac_f32_e32 v94, v110, v37
	buffer_load_dword v37, off, s[40:43], 0 offset:160 ; 4-byte Folded Reload
	s_waitcnt vmcnt(0)
	v_fmac_f32_e32 v93, v37, v109
	buffer_load_dword v109, off, s[40:43], 0 offset:192 ; 4-byte Folded Reload
	v_lshlrev_b32_e32 v37, 16, v33
	v_and_b32_e32 v33, 0xffff0000, v33
	s_waitcnt vmcnt(0)
	v_fmac_f32_e32 v93, v109, v33
	buffer_load_dword v33, off, s[40:43], 0 offset:196 ; 4-byte Folded Reload
	s_waitcnt vmcnt(0)
	v_fmac_f32_e32 v94, v33, v37
	buffer_load_dword v37, off, s[40:43], 0 offset:228 ; 4-byte Folded Reload
	v_and_b32_e32 v33, 0xffff0000, v29
	v_lshlrev_b32_e32 v29, 16, v29
	s_waitcnt vmcnt(0)
	v_fmac_f32_e32 v94, v37, v29
	buffer_load_dword v29, off, s[40:43], 0 offset:224 ; 4-byte Folded Reload
	s_waitcnt vmcnt(0)
	v_fmac_f32_e32 v93, v29, v33
	buffer_load_dword v33, off, s[40:43], 0 offset:256 ; 4-byte Folded Reload
	v_lshlrev_b32_e32 v29, 16, v25
	v_and_b32_e32 v25, 0xffff0000, v25
	s_waitcnt vmcnt(0)
	v_fmac_f32_e32 v93, v33, v25
	buffer_load_dword v25, off, s[40:43], 0 offset:260 ; 4-byte Folded Reload
	s_waitcnt vmcnt(0)
	v_fmac_f32_e32 v94, v25, v29
	v_and_b32_e32 v25, 0xffff0000, v21
	v_lshlrev_b32_e32 v21, 16, v21
	v_fmac_f32_e32 v93, v122, v25
	v_fmac_f32_e32 v94, v123, v21
	v_lshlrev_b32_e32 v21, 16, v17
	v_and_b32_e32 v17, 0xffff0000, v17
	v_fmac_f32_e32 v94, v72, v21
	v_fmac_f32_e32 v93, v45, v17
	v_and_b32_e32 v17, 0xffff0000, v13
	v_lshlrev_b32_e32 v13, 16, v13
	v_fmac_f32_e32 v93, v50, v17
	v_fmac_f32_e32 v94, v51, v13
	v_lshlrev_b32_e32 v13, 16, v9
	v_and_b32_e32 v9, 0xffff0000, v9
	v_fmac_f32_e32 v94, v59, v13
	v_fmac_f32_e32 v93, v58, v9
	v_and_b32_e32 v9, 0xffff0000, v5
	v_lshlrev_b32_e32 v5, 16, v5
	v_fmac_f32_e32 v93, v66, v9
	v_fmac_f32_e32 v94, v67, v5
	v_lshlrev_b32_e32 v5, 16, v1
	v_and_b32_e32 v1, 0xffff0000, v1
	buffer_load_dword v9, off, s[40:43], 0 offset:172 ; 4-byte Folded Reload
	v_fmac_f32_e32 v94, v79, v5
	v_fmac_f32_e32 v93, v78, v1
	buffer_load_dword v1, off, s[40:43], 0 offset:108 ; 4-byte Folded Reload
	v_lshlrev_b32_e32 v5, 16, v38
	s_waitcnt vmcnt(0)
	v_fmac_f32_e32 v96, v1, v112
	buffer_load_dword v1, off, s[40:43], 0 offset:104 ; 4-byte Folded Reload
	s_waitcnt vmcnt(0)
	v_fmac_f32_e32 v95, v1, v111
	buffer_load_dword v1, off, s[40:43], 0 offset:136 ; 4-byte Folded Reload
	;; [unrolled: 3-line block ×3, first 2 shown]
	s_waitcnt vmcnt(0)
	v_fmac_f32_e32 v96, v1, v115
	v_and_b32_e32 v1, 0xffff0000, v38
	v_fmac_f32_e32 v96, v9, v5
	s_clause 0x1
	buffer_load_dword v5, off, s[40:43], 0 offset:168
	buffer_load_dword v9, off, s[40:43], 0 offset:200
	s_waitcnt vmcnt(1)
	v_fmac_f32_e32 v95, v5, v1
	v_and_b32_e32 v5, 0xffff0000, v34
	v_lshlrev_b32_e32 v1, 16, v34
	s_waitcnt vmcnt(0)
	v_fmac_f32_e32 v95, v9, v5
	s_clause 0x1
	buffer_load_dword v5, off, s[40:43], 0 offset:204
	buffer_load_dword v9, off, s[40:43], 0 offset:236
	s_waitcnt vmcnt(1)
	v_fmac_f32_e32 v96, v5, v1
	v_lshlrev_b32_e32 v5, 16, v30
	v_and_b32_e32 v1, 0xffff0000, v30
	s_waitcnt vmcnt(0)
	v_fmac_f32_e32 v96, v9, v5
	s_clause 0x1
	buffer_load_dword v5, off, s[40:43], 0 offset:232
	buffer_load_dword v9, off, s[40:43], 0 offset:264
	s_waitcnt vmcnt(1)
	v_fmac_f32_e32 v95, v5, v1
	v_and_b32_e32 v5, 0xffff0000, v26
	v_lshlrev_b32_e32 v1, 16, v26
	s_waitcnt vmcnt(0)
	v_fmac_f32_e32 v95, v9, v5
	buffer_load_dword v5, off, s[40:43], 0 offset:268 ; 4-byte Folded Reload
	s_waitcnt vmcnt(0)
	v_fmac_f32_e32 v96, v5, v1
	v_and_b32_e32 v1, 0xffff0000, v22
	v_lshlrev_b32_e32 v5, 16, v22
	v_fmac_f32_e32 v95, v124, v1
	v_fmac_f32_e32 v96, v125, v5
	v_lshlrev_b32_e32 v1, 16, v18
	v_and_b32_e32 v5, 0xffff0000, v18
	v_fmac_f32_e32 v96, v46, v1
	v_fmac_f32_e32 v95, v73, v5
	v_and_b32_e32 v1, 0xffff0000, v14
	v_lshlrev_b32_e32 v5, 16, v14
	v_fmac_f32_e32 v95, v52, v1
	v_fmac_f32_e32 v96, v53, v5
	v_lshlrev_b32_e32 v1, 16, v10
	v_and_b32_e32 v5, 0xffff0000, v10
	v_fmac_f32_e32 v96, v61, v1
	v_fmac_f32_e32 v95, v60, v5
	v_and_b32_e32 v1, 0xffff0000, v6
	v_lshlrev_b32_e32 v5, 16, v6
	v_fmac_f32_e32 v95, v68, v1
	v_fmac_f32_e32 v96, v71, v5
	v_lshlrev_b32_e32 v1, 16, v2
	v_and_b32_e32 v2, 0xffff0000, v2
	buffer_load_dword v5, off, s[40:43], 0 offset:180 ; 4-byte Folded Reload
	v_fmac_f32_e32 v96, v81, v1
	buffer_load_dword v1, off, s[40:43], 0 offset:116 ; 4-byte Folded Reload
	v_fmac_f32_e32 v95, v80, v2
	v_lshlrev_b32_e32 v2, 16, v39
	s_waitcnt vmcnt(0)
	v_fmac_f32_e32 v98, v1, v106
	buffer_load_dword v1, off, s[40:43], 0 offset:112 ; 4-byte Folded Reload
	s_waitcnt vmcnt(0)
	v_fmac_f32_e32 v97, v1, v105
	buffer_load_dword v1, off, s[40:43], 0 offset:144 ; 4-byte Folded Reload
	;; [unrolled: 3-line block ×3, first 2 shown]
	s_waitcnt vmcnt(0)
	v_fmac_f32_e32 v98, v1, v107
	v_and_b32_e32 v1, 0xffff0000, v39
	v_fmac_f32_e32 v98, v5, v2
	s_clause 0x1
	buffer_load_dword v2, off, s[40:43], 0 offset:176
	buffer_load_dword v5, off, s[40:43], 0 offset:208
	s_waitcnt vmcnt(1)
	v_fmac_f32_e32 v97, v2, v1
	v_and_b32_e32 v2, 0xffff0000, v35
	v_lshlrev_b32_e32 v1, 16, v35
	s_waitcnt vmcnt(0)
	v_fmac_f32_e32 v97, v5, v2
	s_clause 0x1
	buffer_load_dword v2, off, s[40:43], 0 offset:212
	buffer_load_dword v5, off, s[40:43], 0 offset:244
	s_waitcnt vmcnt(1)
	v_fmac_f32_e32 v98, v2, v1
	v_lshlrev_b32_e32 v2, 16, v31
	v_and_b32_e32 v1, 0xffff0000, v31
	s_waitcnt vmcnt(0)
	v_fmac_f32_e32 v98, v5, v2
	buffer_load_dword v2, off, s[40:43], 0 offset:240 ; 4-byte Folded Reload
	s_waitcnt vmcnt(0)
	v_fmac_f32_e32 v97, v2, v1
	v_lshlrev_b32_e32 v1, 16, v27
	v_and_b32_e32 v2, 0xffff0000, v27
	v_fmac_f32_e32 v98, v119, v1
	v_fmac_f32_e32 v97, v118, v2
	v_and_b32_e32 v1, 0xffff0000, v23
	v_lshlrev_b32_e32 v2, 16, v23
	v_fmac_f32_e32 v97, v126, v1
	v_fmac_f32_e32 v98, v127, v2
	v_lshlrev_b32_e32 v1, 16, v19
	v_and_b32_e32 v2, 0xffff0000, v19
	v_fmac_f32_e32 v98, v47, v1
	v_fmac_f32_e32 v97, v0, v2
	v_and_b32_e32 v1, 0xffff0000, v15
	v_lshlrev_b32_e32 v2, 16, v15
	v_fmac_f32_e32 v97, v54, v1
	;; [unrolled: 8-line block ×3, first 2 shown]
	v_fmac_f32_e32 v98, v75, v2
	v_lshlrev_b32_e32 v1, 16, v3
	v_and_b32_e32 v2, 0xffff0000, v3
	buffer_load_dword v3, off, s[40:43], 0 offset:188 ; 4-byte Folded Reload
	v_fmac_f32_e32 v98, v84, v1
	buffer_load_dword v1, off, s[40:43], 0 offset:124 ; 4-byte Folded Reload
	v_fmac_f32_e32 v97, v83, v2
	v_lshlrev_b32_e32 v2, 16, v40
	s_waitcnt vmcnt(0)
	v_fmac_f32_e32 v100, v1, v102
	buffer_load_dword v1, off, s[40:43], 0 offset:120 ; 4-byte Folded Reload
	s_waitcnt vmcnt(0)
	v_fmac_f32_e32 v99, v1, v101
	buffer_load_dword v1, off, s[40:43], 0 offset:152 ; 4-byte Folded Reload
	;; [unrolled: 3-line block ×3, first 2 shown]
	s_waitcnt vmcnt(0)
	v_fmac_f32_e32 v100, v1, v103
	v_and_b32_e32 v1, 0xffff0000, v40
	v_fmac_f32_e32 v100, v3, v2
	s_clause 0x1
	buffer_load_dword v2, off, s[40:43], 0 offset:184
	buffer_load_dword v3, off, s[40:43], 0 offset:216
	s_waitcnt vmcnt(1)
	v_fmac_f32_e32 v99, v2, v1
	v_and_b32_e32 v2, 0xffff0000, v36
	v_lshlrev_b32_e32 v1, 16, v36
	s_waitcnt vmcnt(0)
	v_fmac_f32_e32 v99, v3, v2
	s_clause 0x1
	buffer_load_dword v2, off, s[40:43], 0 offset:220
	buffer_load_dword v3, off, s[40:43], 0 offset:252
	s_waitcnt vmcnt(1)
	v_fmac_f32_e32 v100, v2, v1
	v_lshlrev_b32_e32 v2, 16, v32
	v_and_b32_e32 v1, 0xffff0000, v32
	s_waitcnt vmcnt(0)
	v_fmac_f32_e32 v100, v3, v2
	buffer_load_dword v2, off, s[40:43], 0 offset:248 ; 4-byte Folded Reload
	s_waitcnt vmcnt(0)
	v_fmac_f32_e32 v99, v2, v1
	v_lshlrev_b32_e32 v1, 16, v28
	v_and_b32_e32 v2, 0xffff0000, v28
	v_fmac_f32_e32 v100, v121, v1
	v_fmac_f32_e32 v99, v120, v2
	v_and_b32_e32 v1, 0xffff0000, v24
	v_lshlrev_b32_e32 v2, 16, v24
	v_fmac_f32_e32 v99, v44, v1
	v_fmac_f32_e32 v100, v43, v2
	v_lshlrev_b32_e32 v1, 16, v20
	v_and_b32_e32 v2, 0xffff0000, v20
	v_fmac_f32_e32 v100, v49, v1
	v_fmac_f32_e32 v99, v48, v2
	v_and_b32_e32 v1, 0xffff0000, v16
	v_lshlrev_b32_e32 v2, 16, v16
	v_fmac_f32_e32 v99, v56, v1
	;; [unrolled: 8-line block ×3, first 2 shown]
	v_fmac_f32_e32 v100, v77, v2
	v_lshlrev_b32_e32 v1, 16, v4
	v_and_b32_e32 v2, 0xffff0000, v4
	v_fmac_f32_e32 v100, v86, v1
	v_add_f32_e32 v1, v94, v93
	v_fmac_f32_e32 v99, v85, v2
	v_add_f32_e32 v1, v1, v96
	v_add_f32_e32 v1, v95, v1
	;; [unrolled: 1-line block ×6, first 2 shown]
	v_fmac_f32_e32 v92, s3, v1
	v_cndmask_b32_e64 v1, 0, v92, s1
	ds_write_b32 v87, v1
	v_max_f32_e32 v1, v82, v82
	v_add_nc_u32_e32 v87, 0x200, v87
	v_max_f32_e32 v1, v1, v92
	v_cndmask_b32_e64 v82, v82, v1, s1
	v_add_co_u32 v41, s1, v41, 16
	v_add_co_ci_u32_e64 v42, null, 0, v42, s1
	v_cmp_le_i32_e64 s1, s11, v91
	s_or_b32 s5, s1, s5
	s_andn2_b32 exec_lo, exec_lo, s5
	s_cbranch_execnz .LBB185_7
; %bb.8:
	s_or_b32 exec_lo, exec_lo, s5
	s_clause 0x5
	buffer_load_dword v104, off, s[40:43], 0 offset:272
	buffer_load_dword v105, off, s[40:43], 0 offset:276
	;; [unrolled: 1-line block ×6, first 2 shown]
.LBB185_9:
	s_or_b32 exec_lo, exec_lo, s34
	v_mbcnt_lo_u32_b32 v0, -1, 0
	v_max_f32_e32 v4, v82, v82
	v_xor_b32_e32 v1, 16, v0
	v_xor_b32_e32 v3, 8, v0
	v_cmp_gt_i32_e32 vcc_lo, 32, v1
	v_cndmask_b32_e32 v1, v0, v1, vcc_lo
	v_cmp_gt_i32_e32 vcc_lo, 32, v3
	v_lshlrev_b32_e32 v1, 2, v1
	v_cndmask_b32_e32 v3, v0, v3, vcc_lo
	ds_bpermute_b32 v2, v1, v82
	s_waitcnt lgkmcnt(0)
	v_max_f32_e32 v5, v2, v2
	v_lshlrev_b32_e32 v2, 2, v3
	v_max_f32_e32 v3, v4, v5
	v_xor_b32_e32 v5, 4, v0
	ds_bpermute_b32 v4, v2, v3
	v_cmp_gt_i32_e32 vcc_lo, 32, v5
	v_cndmask_b32_e32 v5, v0, v5, vcc_lo
	s_waitcnt lgkmcnt(0)
	v_max_f32_e32 v6, v4, v4
	v_lshlrev_b32_e32 v4, 2, v5
	v_max_f32_e32 v3, v3, v6
	v_xor_b32_e32 v6, 2, v0
	ds_bpermute_b32 v5, v4, v3
	v_cmp_gt_i32_e32 vcc_lo, 32, v6
	v_cndmask_b32_e32 v6, v0, v6, vcc_lo
	v_lshlrev_b32_e32 v75, 2, v6
	v_xor_b32_e32 v6, 1, v0
	v_cmp_gt_i32_e32 vcc_lo, 32, v6
	s_waitcnt lgkmcnt(0)
	v_max_f32_e32 v5, v5, v5
	v_cndmask_b32_e32 v6, v0, v6, vcc_lo
	s_waitcnt vmcnt(3)
	v_cmp_eq_u32_e32 vcc_lo, 0, v106
	v_max_f32_e32 v3, v3, v5
	v_lshlrev_b32_e32 v74, 2, v6
	ds_bpermute_b32 v5, v75, v3
	s_waitcnt lgkmcnt(0)
	v_max_f32_e32 v5, v5, v5
	v_max_f32_e32 v0, v3, v5
	v_lshlrev_b32_e32 v5, 2, v105
	ds_bpermute_b32 v3, v74, v0
	s_and_saveexec_b32 s1, vcc_lo
	s_cbranch_execz .LBB185_11
; %bb.10:
	s_waitcnt lgkmcnt(0)
	v_max_f32_e32 v3, v3, v3
	v_max_f32_e32 v0, v0, v0
	;; [unrolled: 1-line block ×3, first 2 shown]
	ds_write_b32 v5, v0 offset:240
.LBB185_11:
	s_or_b32 exec_lo, exec_lo, s1
	v_cmp_gt_u32_e64 s1, 4, v106
	v_mov_b32_e32 v0, 0xff7fffff
	s_waitcnt vmcnt(0) lgkmcnt(0)
	s_waitcnt_vscnt null, 0x0
	s_barrier
	buffer_gl0_inv
	s_and_saveexec_b32 s2, s1
; %bb.12:
	ds_read_b32 v0, v15 offset:240
; %bb.13:
	s_or_b32 exec_lo, exec_lo, s2
	s_waitcnt lgkmcnt(0)
	ds_bpermute_b32 v3, v75, v0
	v_max_f32_e32 v0, v0, v0
	v_mov_b32_e32 v6, 0
	s_sub_i32 s2, s11, s31
	s_lshl_b32 s2, s2, 5
	s_add_i32 s2, s2, s30
	s_min_i32 s2, s2, s25
	s_sub_i32 s4, s2, s30
	v_cmp_gt_i32_e64 s2, s4, v104
	s_waitcnt lgkmcnt(0)
	v_max_f32_e32 v3, v3, v3
	v_max_f32_e32 v0, v0, v3
	ds_bpermute_b32 v3, v74, v0
	s_waitcnt lgkmcnt(0)
	v_max_f32_e32 v3, v3, v3
	v_max_f32_e32 v0, v0, v3
	v_lshl_add_u32 v3, v104, 2, 0x110
	ds_bpermute_b32 v0, v6, v0
	s_and_saveexec_b32 s5, s2
	s_cbranch_execz .LBB185_17
; %bb.14:
	v_lshl_add_u32 v7, v104, 2, 0x110
	v_mov_b32_e32 v6, 0
	v_mov_b32_e32 v8, v104
	s_mov_b32 s15, 0
	.p2align	6
.LBB185_15:                             ; =>This Inner Loop Header: Depth=1
	ds_read_b32 v9, v7
	v_add_nc_u32_e32 v8, 0x80, v8
	v_cmp_le_i32_e64 s3, s4, v8
	s_or_b32 s15, s3, s15
	s_waitcnt lgkmcnt(0)
	v_sub_f32_e32 v9, v9, v0
	v_mul_f32_e32 v9, 0x3fb8aa3b, v9
	v_exp_f32_e32 v9, v9
	ds_write_b32 v7, v9
	v_add_f32_e32 v6, v6, v9
	v_add_nc_u32_e32 v7, 0x200, v7
	s_andn2_b32 exec_lo, exec_lo, s15
	s_cbranch_execnz .LBB185_15
; %bb.16:
	s_or_b32 exec_lo, exec_lo, s15
.LBB185_17:
	s_or_b32 exec_lo, exec_lo, s5
	ds_bpermute_b32 v1, v1, v6
	s_waitcnt lgkmcnt(0)
	v_add_f32_e32 v1, v6, v1
	ds_bpermute_b32 v2, v2, v1
	s_waitcnt lgkmcnt(0)
	v_add_f32_e32 v1, v1, v2
	;; [unrolled: 3-line block ×5, first 2 shown]
	s_and_saveexec_b32 s3, vcc_lo
; %bb.18:
	ds_write_b32 v5, v1 offset:256
; %bb.19:
	s_or_b32 exec_lo, exec_lo, s3
	s_waitcnt lgkmcnt(0)
	s_barrier
	buffer_gl0_inv
	s_and_saveexec_b32 s3, s1
; %bb.20:
	ds_read_b32 v1, v15 offset:256
; %bb.21:
	s_or_b32 exec_lo, exec_lo, s3
	s_waitcnt lgkmcnt(0)
	ds_bpermute_b32 v2, v75, v1
	s_waitcnt lgkmcnt(0)
	v_add_f32_e32 v1, v1, v2
	ds_bpermute_b32 v2, v74, v1
	s_waitcnt lgkmcnt(0)
	v_add_f32_e32 v1, v1, v2
	v_mov_b32_e32 v2, 0
	ds_bpermute_b32 v1, v2, v1
	s_and_saveexec_b32 s1, s2
	s_cbranch_execz .LBB185_24
; %bb.22:
	s_waitcnt lgkmcnt(0)
	v_add_f32_e32 v2, 0x358637bd, v1
	s_mov_b32 s2, 0
	v_div_scale_f32 v4, null, v2, v2, 1.0
	v_div_scale_f32 v7, vcc_lo, 1.0, v2, 1.0
	v_rcp_f32_e32 v5, v4
	v_fma_f32 v6, -v4, v5, 1.0
	v_fmac_f32_e32 v5, v6, v5
	v_mul_f32_e32 v6, v7, v5
	v_fma_f32 v8, -v4, v6, v7
	v_fmac_f32_e32 v6, v8, v5
	v_fma_f32 v4, -v4, v6, v7
	v_div_fmas_f32 v4, v4, v5, v6
	v_div_fixup_f32 v2, v4, v2, 1.0
	v_mov_b32_e32 v4, v104
.LBB185_23:                             ; =>This Inner Loop Header: Depth=1
	ds_read_b32 v5, v3
	v_add_nc_u32_e32 v4, 0x80, v4
	v_cmp_le_i32_e32 vcc_lo, s4, v4
	s_or_b32 s2, vcc_lo, s2
	s_waitcnt lgkmcnt(0)
	v_mul_f32_e32 v5, v2, v5
	ds_write_b32 v3, v5
	v_add_nc_u32_e32 v3, 0x200, v3
	s_andn2_b32 exec_lo, exec_lo, s2
	s_cbranch_execnz .LBB185_23
.LBB185_24:
	s_or_b32 exec_lo, exec_lo, s1
	s_mul_i32 s1, s7, s24
	s_waitcnt lgkmcnt(0)
	s_mul_i32 s4, s1, s9
	s_mov_b32 s1, exec_lo
	s_barrier
	buffer_gl0_inv
	v_cmpx_eq_u32_e32 0, v104
	s_cbranch_execz .LBB185_26
; %bb.25:
	s_ashr_i32 s5, s4, 31
	s_mul_i32 s34, s7, s6
	s_lshl_b64 s[2:3], s[4:5], 2
	v_mov_b32_e32 v2, 0
	s_add_u32 s5, s18, s2
	s_addc_u32 s6, s19, s3
	s_ashr_i32 s35, s34, 31
	s_lshl_b64 s[18:19], s[34:35], 2
	s_add_u32 s5, s5, s18
	s_addc_u32 s6, s6, s19
	s_ashr_i32 s9, s8, 31
	s_lshl_b64 s[34:35], s[8:9], 2
	s_add_u32 s36, s5, s34
	s_addc_u32 s37, s6, s35
	s_add_u32 s2, s16, s2
	s_addc_u32 s3, s17, s3
	;; [unrolled: 2-line block ×4, first 2 shown]
	global_store_dword v2, v0, s[36:37]
	global_store_dword v2, v1, s[2:3]
.LBB185_26:
	s_or_b32 exec_lo, exec_lo, s1
	v_mov_b32_e32 v89, 0
	v_and_b32_e32 v76, 3, v104
	v_mov_b32_e32 v91, 0
	v_mov_b32_e32 v90, 0
	;; [unrolled: 1-line block ×14, first 2 shown]
	s_and_saveexec_b32 s3, s0
	s_cbranch_execz .LBB185_60
; %bb.27:
	v_lshlrev_b32_e32 v0, 3, v104
	s_ashr_i32 s15, s14, 31
	v_lshlrev_b32_e32 v1, 5, v76
	v_and_b32_e32 v2, 0x1f0, v10
	s_lshl_b64 s[0:1], s[14:15], 1
	v_and_b32_e32 v0, 24, v0
	s_add_u32 s0, s26, s0
	s_addc_u32 s1, s27, s1
	v_lshl_or_b32 v3, v105, 7, v1
	v_add_co_u32 v93, s0, s0, v2
	v_add3_u32 v95, s30, v14, v0
	v_lshlrev_b64 v[0:1], 2, v[69:70]
	v_add_co_ci_u32_e64 v94, null, s1, 0, s0
	s_lshl_b64 s[0:1], s[28:29], 2
	s_add_i32 s5, s12, -1
	s_add_u32 s0, s22, s0
	s_addc_u32 s1, s23, s1
	v_add_co_u32 v70, vcc_lo, s0, v0
	v_mov_b32_e32 v92, 0
	v_add_nc_u32_e32 v96, 0x110, v3
	v_add_co_ci_u32_e64 v71, null, s1, v1, vcc_lo
	v_mov_b32_e32 v77, 0
	v_mov_b32_e32 v78, 0
	v_mov_b32_e32 v79, 0
	v_mov_b32_e32 v80, 0
	v_mov_b32_e32 v81, 0
	v_mov_b32_e32 v82, 0
	v_mov_b32_e32 v83, 0
	v_mov_b32_e32 v84, 0
	v_mov_b32_e32 v85, 0
	v_mov_b32_e32 v86, 0
	v_mov_b32_e32 v87, 0
	v_mov_b32_e32 v88, 0
	v_mov_b32_e32 v90, 0
	v_mov_b32_e32 v91, 0
	v_mov_b32_e32 v89, 0
	s_mov_b32 s6, s13
	s_mov_b32 s12, s25
	;; [unrolled: 1-line block ×3, first 2 shown]
	s_branch .LBB185_29
.LBB185_28:                             ;   in Loop: Header=BB185_29 Depth=1
	s_or_b32 exec_lo, exec_lo, s2
	s_waitcnt lgkmcnt(1)
	v_bfe_u32 v0, v49, 16, 1
	v_or_b32_e32 v72, 0x400000, v49
	v_bfe_u32 v73, v50, 16, 1
	v_cmp_u_f32_e32 vcc_lo, v49, v49
	v_bfe_u32 v97, v51, 16, 1
	v_add3_u32 v0, v0, v49, 0x7fff
	v_or_b32_e32 v98, 0x400000, v50
	v_add3_u32 v73, v73, v50, 0x7fff
	v_or_b32_e32 v99, 0x400000, v51
	v_add3_u32 v97, v97, v51, 0x7fff
	v_cndmask_b32_e32 v49, v0, v72, vcc_lo
	v_cmp_u_f32_e32 vcc_lo, v50, v50
	v_bfe_u32 v0, v52, 16, 1
	s_waitcnt lgkmcnt(0)
	v_bfe_u32 v72, v41, 16, 1
	s_waitcnt vmcnt(1)
	v_and_b32_e32 v101, 0xffff0000, v68
	v_and_b32_e32 v49, 0xffff0000, v49
	v_cndmask_b32_e32 v50, v73, v98, vcc_lo
	v_cmp_u_f32_e32 vcc_lo, v51, v51
	v_add3_u32 v0, v0, v52, 0x7fff
	v_or_b32_e32 v73, 0x400000, v52
	v_add3_u32 v72, v72, v41, 0x7fff
	v_bfe_u32 v98, v42, 16, 1
	v_cndmask_b32_e32 v51, v97, v99, vcc_lo
	v_cmp_u_f32_e32 vcc_lo, v52, v52
	v_or_b32_e32 v97, 0x400000, v41
	v_add_nc_u32_e32 v69, 4, v69
	v_add_co_u32 v70, s0, v70, 16
	v_cndmask_b32_e32 v52, v0, v73, vcc_lo
	v_cmp_u_f32_e32 vcc_lo, v41, v41
	v_add3_u32 v41, v98, v42, 0x7fff
	v_or_b32_e32 v73, 0x400000, v42
	v_and_b32_e32 v0, 0xffff0000, v50
	v_and_b32_e32 v50, 0xffff0000, v65
	v_cndmask_b32_e32 v72, v72, v97, vcc_lo
	v_bfe_u32 v97, v43, 16, 1
	v_cmp_u_f32_e32 vcc_lo, v42, v42
	v_add_nc_u32_e32 v95, 0x80, v95
	v_mul_f32_e32 v98, v0, v50
	v_lshlrev_b32_e32 v50, 16, v65
	v_add_nc_u32_e32 v96, 0x200, v96
	v_cndmask_b32_e32 v42, v41, v73, vcc_lo
	v_add3_u32 v41, v97, v43, 0x7fff
	v_or_b32_e32 v73, 0x400000, v43
	v_bfe_u32 v97, v44, 16, 1
	v_cmp_u_f32_e32 vcc_lo, v43, v43
	v_mul_f32_e32 v99, v49, v50
	v_and_b32_e32 v50, 0xffff0000, v66
	v_and_b32_e32 v42, 0xffff0000, v42
	v_add3_u32 v43, v97, v44, 0x7fff
	v_cndmask_b32_e32 v65, v41, v73, vcc_lo
	v_or_b32_e32 v73, 0x400000, v44
	v_bfe_u32 v97, v98, 16, 1
	v_and_b32_e32 v41, 0xffff0000, v52
	v_cmp_u_f32_e32 vcc_lo, v44, v44
	v_or_b32_e32 v52, 0x400000, v98
	v_add_co_ci_u32_e64 v71, null, 0, v71, s0
	v_add3_u32 v44, v97, v98, 0x7fff
	v_cndmask_b32_e32 v43, v43, v73, vcc_lo
	v_bfe_u32 v73, v99, 16, 1
	v_mul_f32_e32 v97, v41, v50
	v_and_b32_e32 v50, 0xffff0000, v51
	v_lshlrev_b32_e32 v51, 16, v66
	v_cmp_u_f32_e32 vcc_lo, v98, v98
	v_or_b32_e32 v66, 0x400000, v99
	v_and_b32_e32 v43, 0xffff0000, v43
	v_mul_f32_e32 v98, v50, v51
	v_cndmask_b32_e32 v52, v44, v52, vcc_lo
	v_add3_u32 v44, v73, v99, 0x7fff
	v_bfe_u32 v73, v97, 16, 1
	v_and_b32_e32 v51, 0xffff0000, v67
	v_cmp_u_f32_e32 vcc_lo, v99, v99
	v_bfe_u32 v99, v98, 16, 1
	v_lshlrev_b32_e32 v67, 16, v67
	v_and_b32_e32 v52, 0xffff0000, v52
	v_mul_f32_e32 v100, v42, v51
	v_cndmask_b32_e32 v66, v44, v66, vcc_lo
	v_add3_u32 v44, v73, v97, 0x7fff
	v_or_b32_e32 v73, 0x400000, v97
	v_and_b32_e32 v51, 0xffff0000, v72
	v_cmp_u_f32_e32 vcc_lo, v97, v97
	v_or_b32_e32 v97, 0x400000, v98
	v_and_b32_e32 v66, 0xffff0000, v66
	v_mul_f32_e32 v67, v51, v67
	v_cndmask_b32_e32 v72, v44, v73, vcc_lo
	v_add3_u32 v73, v99, v98, 0x7fff
	v_bfe_u32 v99, v100, 16, 1
	v_and_b32_e32 v44, 0xffff0000, v65
	v_lshlrev_b32_e32 v65, 16, v68
	v_cmp_u_f32_e32 vcc_lo, v98, v98
	v_mul_f32_e32 v98, v43, v101
	v_or_b32_e32 v101, 0x400000, v67
	v_and_b32_e32 v72, 0xffff0000, v72
	v_mul_f32_e32 v65, v44, v65
	v_cndmask_b32_e32 v68, v73, v97, vcc_lo
	v_bfe_u32 v73, v67, 16, 1
	v_add3_u32 v97, v99, v100, 0x7fff
	v_or_b32_e32 v99, 0x400000, v100
	v_cmp_u_f32_e32 vcc_lo, v100, v100
	v_bfe_u32 v103, v65, 16, 1
	v_add3_u32 v73, v73, v67, 0x7fff
	v_bfe_u32 v102, v98, 16, 1
	v_or_b32_e32 v100, 0x400000, v65
	v_cndmask_b32_e32 v97, v97, v99, vcc_lo
	v_cmp_u_f32_e32 vcc_lo, v67, v67
	v_add3_u32 v99, v103, v65, 0x7fff
	v_and_b32_e32 v68, 0xffff0000, v68
	v_add_f32_e32 v52, v66, v52
	v_cndmask_b32_e32 v67, v73, v101, vcc_lo
	v_cmp_u_f32_e32 vcc_lo, v65, v65
	v_add3_u32 v73, v102, v98, 0x7fff
	v_or_b32_e32 v101, 0x400000, v98
	v_add_f32_e32 v66, v68, v72
	v_and_b32_e32 v67, 0xffff0000, v67
	v_cndmask_b32_e32 v65, v99, v100, vcc_lo
	v_cmp_u_f32_e32 vcc_lo, v98, v98
	v_and_b32_e32 v68, 0xffff0000, v97
	v_add_f32_e32 v52, v66, v52
	v_and_b32_e32 v65, 0xffff0000, v65
	v_cndmask_b32_e32 v72, v73, v101, vcc_lo
	v_add_f32_e32 v66, v67, v68
	v_and_b32_e32 v68, 0xffff0000, v61
	v_lshlrev_b32_e32 v61, 16, v61
	v_and_b32_e32 v73, 0xffff0000, v64
	v_and_b32_e32 v67, 0xffff0000, v72
	v_add_f32_e32 v52, v66, v52
	v_mul_f32_e32 v66, v0, v68
	v_mul_f32_e32 v61, v49, v61
	v_and_b32_e32 v68, 0xffff0000, v62
	v_add_f32_e32 v65, v65, v67
	v_lshlrev_b32_e32 v62, 16, v62
	v_cmp_u_f32_e32 vcc_lo, v66, v66
	v_bfe_u32 v67, v61, 16, 1
	v_mul_f32_e32 v68, v41, v68
	v_add_f32_e32 v52, v65, v52
	v_bfe_u32 v65, v66, 16, 1
	v_or_b32_e32 v72, 0x400000, v61
	v_add3_u32 v67, v67, v61, 0x7fff
	v_mul_f32_e32 v62, v50, v62
	v_add_f32_e32 v78, v78, v52
	v_add3_u32 v52, v65, v66, 0x7fff
	v_or_b32_e32 v65, 0x400000, v66
	v_and_b32_e32 v66, 0xffff0000, v63
	v_lshlrev_b32_e32 v63, 16, v63
	v_lshlrev_b32_e32 v64, 16, v64
	v_cndmask_b32_e32 v52, v52, v65, vcc_lo
	v_bfe_u32 v65, v68, 16, 1
	v_cmp_u_f32_e32 vcc_lo, v61, v61
	v_mul_f32_e32 v66, v42, v66
	v_mul_f32_e32 v63, v51, v63
	;; [unrolled: 1-line block ×3, first 2 shown]
	v_add3_u32 v65, v65, v68, 0x7fff
	v_cndmask_b32_e32 v61, v67, v72, vcc_lo
	v_or_b32_e32 v67, 0x400000, v68
	v_bfe_u32 v72, v62, 16, 1
	v_cmp_u_f32_e32 vcc_lo, v68, v68
	v_or_b32_e32 v68, 0x400000, v62
	v_bfe_u32 v97, v63, 16, 1
	v_and_b32_e32 v61, 0xffff0000, v61
	v_and_b32_e32 v52, 0xffff0000, v52
	v_cndmask_b32_e32 v65, v65, v67, vcc_lo
	v_add3_u32 v67, v72, v62, 0x7fff
	v_bfe_u32 v72, v66, 16, 1
	v_cmp_u_f32_e32 vcc_lo, v62, v62
	v_add_f32_e32 v52, v61, v52
	v_and_b32_e32 v65, 0xffff0000, v65
	v_cndmask_b32_e32 v62, v67, v68, vcc_lo
	v_add3_u32 v67, v72, v66, 0x7fff
	v_mul_f32_e32 v68, v43, v73
	v_or_b32_e32 v72, 0x400000, v66
	v_cmp_u_f32_e32 vcc_lo, v66, v66
	v_add3_u32 v73, v97, v63, 0x7fff
	v_or_b32_e32 v97, 0x400000, v63
	v_bfe_u32 v98, v68, 16, 1
	v_and_b32_e32 v62, 0xffff0000, v62
	v_cndmask_b32_e32 v66, v67, v72, vcc_lo
	v_cmp_u_f32_e32 vcc_lo, v63, v63
	v_or_b32_e32 v72, 0x400000, v68
	v_add3_u32 v67, v98, v68, 0x7fff
	v_add_f32_e32 v61, v62, v65
	v_and_b32_e32 v65, 0xffff0000, v66
	v_cndmask_b32_e32 v63, v73, v97, vcc_lo
	v_bfe_u32 v73, v64, 16, 1
	v_cmp_u_f32_e32 vcc_lo, v68, v68
	v_add_f32_e32 v52, v61, v52
	v_and_b32_e32 v62, 0xffff0000, v63
	v_add3_u32 v68, v73, v64, 0x7fff
	v_cndmask_b32_e32 v67, v67, v72, vcc_lo
	v_or_b32_e32 v72, 0x400000, v64
	v_and_b32_e32 v63, 0xffff0000, v57
	v_cmp_u_f32_e32 vcc_lo, v64, v64
	v_add_f32_e32 v62, v62, v65
	v_lshlrev_b32_e32 v57, 16, v57
	v_mul_f32_e32 v61, v0, v63
	v_cndmask_b32_e32 v64, v68, v72, vcc_lo
	v_add_f32_e32 v52, v62, v52
	v_mul_f32_e32 v57, v49, v57
	v_and_b32_e32 v62, 0xffff0000, v58
	v_bfe_u32 v65, v61, 16, 1
	v_and_b32_e32 v63, 0xffff0000, v64
	v_and_b32_e32 v64, 0xffff0000, v67
	v_bfe_u32 v66, v57, 16, 1
	v_mul_f32_e32 v62, v41, v62
	v_lshlrev_b32_e32 v58, 16, v58
	v_cmp_u_f32_e32 vcc_lo, v61, v61
	v_add_f32_e32 v63, v63, v64
	v_add3_u32 v64, v65, v61, 0x7fff
	v_or_b32_e32 v65, 0x400000, v61
	v_mul_f32_e32 v58, v50, v58
	v_and_b32_e32 v67, 0xffff0000, v59
	v_lshlrev_b32_e32 v59, 16, v59
	v_and_b32_e32 v68, 0xffff0000, v60
	v_cndmask_b32_e32 v61, v64, v65, vcc_lo
	v_add3_u32 v64, v66, v57, 0x7fff
	v_or_b32_e32 v65, 0x400000, v57
	v_bfe_u32 v66, v62, 16, 1
	v_cmp_u_f32_e32 vcc_lo, v57, v57
	v_mul_f32_e32 v67, v42, v67
	v_mul_f32_e32 v59, v51, v59
	v_lshlrev_b32_e32 v60, 16, v60
	v_and_b32_e32 v61, 0xffff0000, v61
	v_cndmask_b32_e32 v57, v64, v65, vcc_lo
	v_add3_u32 v64, v66, v62, 0x7fff
	v_or_b32_e32 v65, 0x400000, v62
	v_bfe_u32 v66, v58, 16, 1
	v_cmp_u_f32_e32 vcc_lo, v62, v62
	v_mul_f32_e32 v60, v44, v60
	v_or_b32_e32 v72, 0x400000, v59
	v_and_b32_e32 v57, 0xffff0000, v57
	v_add_f32_e32 v52, v63, v52
	v_cndmask_b32_e32 v62, v64, v65, vcc_lo
	v_add3_u32 v64, v66, v58, 0x7fff
	v_or_b32_e32 v65, 0x400000, v58
	v_bfe_u32 v66, v67, 16, 1
	v_cmp_u_f32_e32 vcc_lo, v58, v58
	v_and_b32_e32 v62, 0xffff0000, v62
	v_add_f32_e32 v57, v57, v61
	v_add_f32_e32 v79, v79, v52
	v_cndmask_b32_e32 v58, v64, v65, vcc_lo
	v_bfe_u32 v64, v59, 16, 1
	v_add3_u32 v65, v66, v67, 0x7fff
	v_mul_f32_e32 v66, v43, v68
	v_or_b32_e32 v68, 0x400000, v67
	v_cmp_u_f32_e32 vcc_lo, v67, v67
	v_add3_u32 v64, v64, v59, 0x7fff
	v_bfe_u32 v67, v60, 16, 1
	v_bfe_u32 v73, v66, 16, 1
	v_and_b32_e32 v58, 0xffff0000, v58
	v_cndmask_b32_e32 v65, v65, v68, vcc_lo
	v_cmp_u_f32_e32 vcc_lo, v59, v59
	v_add3_u32 v67, v67, v60, 0x7fff
	v_or_b32_e32 v68, 0x400000, v66
	v_add_f32_e32 v58, v58, v62
	v_and_b32_e32 v61, 0xffff0000, v65
	v_cndmask_b32_e32 v59, v64, v72, vcc_lo
	v_or_b32_e32 v72, 0x400000, v60
	v_cmp_u_f32_e32 vcc_lo, v60, v60
	v_add3_u32 v64, v73, v66, 0x7fff
	v_add_f32_e32 v57, v58, v57
	v_and_b32_e32 v59, 0xffff0000, v59
	v_cndmask_b32_e32 v60, v67, v72, vcc_lo
	v_cmp_u_f32_e32 vcc_lo, v66, v66
	v_add_f32_e32 v58, v59, v61
	v_and_b32_e32 v59, 0xffff0000, v53
	v_and_b32_e32 v60, 0xffff0000, v60
	v_cndmask_b32_e32 v62, v64, v68, vcc_lo
	v_lshlrev_b32_e32 v53, 16, v53
	v_add_f32_e32 v57, v58, v57
	v_mul_f32_e32 v59, v0, v59
	v_and_b32_e32 v61, 0xffff0000, v62
	v_mul_f32_e32 v53, v49, v53
	v_cmp_u_f32_e32 vcc_lo, v59, v59
	v_add_f32_e32 v58, v60, v61
	v_and_b32_e32 v60, 0xffff0000, v54
	v_bfe_u32 v61, v59, 16, 1
	v_bfe_u32 v52, v53, 16, 1
	v_lshlrev_b32_e32 v54, 16, v54
	v_add_f32_e32 v57, v58, v57
	v_mul_f32_e32 v58, v41, v60
	v_add3_u32 v60, v61, v59, 0x7fff
	v_or_b32_e32 v61, 0x400000, v59
	v_add3_u32 v52, v52, v53, 0x7fff
	v_or_b32_e32 v62, 0x400000, v53
	v_bfe_u32 v63, v58, 16, 1
	v_add_f32_e32 v80, v80, v57
	v_cndmask_b32_e32 v59, v60, v61, vcc_lo
	v_cmp_u_f32_e32 vcc_lo, v53, v53
	v_mul_f32_e32 v53, v50, v54
	v_and_b32_e32 v61, 0xffff0000, v55
	v_add3_u32 v54, v63, v58, 0x7fff
	v_or_b32_e32 v60, 0x400000, v58
	v_cndmask_b32_e32 v52, v52, v62, vcc_lo
	v_lshlrev_b32_e32 v55, 16, v55
	v_bfe_u32 v62, v53, 16, 1
	v_cmp_u_f32_e32 vcc_lo, v58, v58
	v_mul_f32_e32 v58, v42, v61
	v_or_b32_e32 v61, 0x400000, v53
	v_mul_f32_e32 v55, v51, v55
	v_and_b32_e32 v52, 0xffff0000, v52
	v_cndmask_b32_e32 v54, v54, v60, vcc_lo
	v_add3_u32 v60, v62, v53, 0x7fff
	v_and_b32_e32 v62, 0xffff0000, v56
	v_bfe_u32 v63, v58, 16, 1
	v_cmp_u_f32_e32 vcc_lo, v53, v53
	v_bfe_u32 v64, v55, 16, 1
	v_lshlrev_b32_e32 v56, 16, v56
	v_and_b32_e32 v59, 0xffff0000, v59
	v_and_b32_e32 v54, 0xffff0000, v54
	v_cndmask_b32_e32 v53, v60, v61, vcc_lo
	v_mul_f32_e32 v60, v43, v62
	v_add3_u32 v61, v63, v58, 0x7fff
	v_or_b32_e32 v62, 0x400000, v58
	v_cmp_u_f32_e32 vcc_lo, v58, v58
	v_add3_u32 v63, v64, v55, 0x7fff
	v_or_b32_e32 v64, 0x400000, v55
	v_bfe_u32 v65, v60, 16, 1
	v_and_b32_e32 v53, 0xffff0000, v53
	v_cndmask_b32_e32 v58, v61, v62, vcc_lo
	v_cmp_u_f32_e32 vcc_lo, v55, v55
	v_or_b32_e32 v62, 0x400000, v60
	v_add3_u32 v61, v65, v60, 0x7fff
	v_mul_f32_e32 v56, v44, v56
	v_add_f32_e32 v52, v52, v59
	v_cndmask_b32_e32 v55, v63, v64, vcc_lo
	v_cmp_u_f32_e32 vcc_lo, v60, v60
	v_add_f32_e32 v53, v53, v54
	v_and_b32_e32 v58, 0xffff0000, v58
	v_and_b32_e32 v54, 0xffff0000, v55
	;; [unrolled: 1-line block ×3, first 2 shown]
	v_cndmask_b32_e32 v60, v61, v62, vcc_lo
	v_bfe_u32 v61, v56, 16, 1
	v_add_f32_e32 v52, v53, v52
	v_add_f32_e32 v54, v54, v58
	v_mul_f32_e32 v53, v0, v55
	v_lshlrev_b32_e32 v45, 16, v45
	v_add3_u32 v59, v61, v56, 0x7fff
	v_or_b32_e32 v61, 0x400000, v56
	v_cmp_u_f32_e32 vcc_lo, v56, v56
	v_bfe_u32 v56, v53, 16, 1
	v_add_f32_e32 v52, v54, v52
	v_mul_f32_e32 v45, v49, v45
	v_and_b32_e32 v54, 0xffff0000, v46
	v_cndmask_b32_e32 v55, v59, v61, vcc_lo
	v_add3_u32 v56, v56, v53, 0x7fff
	v_or_b32_e32 v58, 0x400000, v53
	v_bfe_u32 v59, v45, 16, 1
	v_mul_f32_e32 v54, v41, v54
	v_lshlrev_b32_e32 v46, 16, v46
	v_cmp_u_f32_e32 vcc_lo, v53, v53
	v_and_b32_e32 v61, 0xffff0000, v47
	v_lshlrev_b32_e32 v47, 16, v47
	v_and_b32_e32 v62, 0xffff0000, v48
	v_mul_f32_e32 v46, v50, v46
	v_cndmask_b32_e32 v53, v56, v58, vcc_lo
	v_add3_u32 v56, v59, v45, 0x7fff
	v_or_b32_e32 v58, 0x400000, v45
	v_bfe_u32 v59, v54, 16, 1
	v_cmp_u_f32_e32 vcc_lo, v45, v45
	v_mul_f32_e32 v61, v42, v61
	v_mul_f32_e32 v47, v51, v47
	v_lshlrev_b32_e32 v48, 16, v48
	v_and_b32_e32 v53, 0xffff0000, v53
	v_cndmask_b32_e32 v45, v56, v58, vcc_lo
	v_add3_u32 v56, v59, v54, 0x7fff
	v_or_b32_e32 v58, 0x400000, v54
	v_bfe_u32 v59, v46, 16, 1
	v_cmp_u_f32_e32 vcc_lo, v54, v54
	v_mul_f32_e32 v48, v44, v48
	v_or_b32_e32 v63, 0x400000, v47
	v_and_b32_e32 v45, 0xffff0000, v45
	v_and_b32_e32 v55, 0xffff0000, v55
	v_cndmask_b32_e32 v54, v56, v58, vcc_lo
	v_add3_u32 v56, v59, v46, 0x7fff
	v_or_b32_e32 v58, 0x400000, v46
	v_bfe_u32 v59, v61, 16, 1
	v_cmp_u_f32_e32 vcc_lo, v46, v46
	v_bfe_u32 v65, v48, 16, 1
	v_and_b32_e32 v54, 0xffff0000, v54
	v_add_f32_e32 v45, v45, v53
	v_cndmask_b32_e32 v46, v56, v58, vcc_lo
	v_bfe_u32 v56, v47, 16, 1
	v_add3_u32 v58, v59, v61, 0x7fff
	v_mul_f32_e32 v59, v43, v62
	v_or_b32_e32 v62, 0x400000, v61
	v_cmp_u_f32_e32 vcc_lo, v61, v61
	v_add3_u32 v56, v56, v47, 0x7fff
	v_add3_u32 v61, v65, v48, 0x7fff
	v_bfe_u32 v64, v59, 16, 1
	v_and_b32_e32 v46, 0xffff0000, v46
	v_cndmask_b32_e32 v58, v58, v62, vcc_lo
	v_cmp_u_f32_e32 vcc_lo, v47, v47
	v_or_b32_e32 v62, 0x400000, v48
	v_add_f32_e32 v46, v46, v54
	v_and_b32_e32 v53, 0xffff0000, v58
	v_cndmask_b32_e32 v47, v56, v63, vcc_lo
	v_cmp_u_f32_e32 vcc_lo, v48, v48
	v_add3_u32 v56, v64, v59, 0x7fff
	v_or_b32_e32 v63, 0x400000, v59
	v_add_f32_e32 v45, v46, v45
	v_and_b32_e32 v47, 0xffff0000, v47
	v_cndmask_b32_e32 v48, v61, v62, vcc_lo
	v_cmp_u_f32_e32 vcc_lo, v59, v59
	v_add_f32_e32 v46, v47, v53
	v_and_b32_e32 v47, 0xffff0000, v48
	v_cndmask_b32_e32 v54, v56, v63, vcc_lo
	v_and_b32_e32 v56, 0xffff0000, v60
	v_and_b32_e32 v53, 0xffff0000, v37
	v_lshlrev_b32_e32 v37, 16, v37
	v_add_f32_e32 v45, v46, v45
	v_and_b32_e32 v48, 0xffff0000, v54
	v_add_f32_e32 v54, v55, v56
	v_mul_f32_e32 v37, v49, v37
	v_add_f32_e32 v46, v47, v48
	v_mul_f32_e32 v47, v0, v53
	v_add_f32_e32 v48, v54, v52
	v_and_b32_e32 v52, 0xffff0000, v38
	v_lshlrev_b32_e32 v38, 16, v38
	v_add_f32_e32 v45, v46, v45
	v_bfe_u32 v46, v47, 16, 1
	v_add_f32_e32 v81, v81, v48
	v_bfe_u32 v48, v37, 16, 1
	v_mul_f32_e32 v52, v41, v52
	v_add_f32_e32 v82, v82, v45
	v_add3_u32 v45, v46, v47, 0x7fff
	v_or_b32_e32 v46, 0x400000, v47
	v_cmp_u_f32_e32 vcc_lo, v47, v47
	v_add3_u32 v48, v48, v37, 0x7fff
	v_or_b32_e32 v53, 0x400000, v37
	v_mul_f32_e32 v38, v50, v38
	v_and_b32_e32 v47, 0xffff0000, v39
	v_cndmask_b32_e32 v45, v45, v46, vcc_lo
	v_bfe_u32 v46, v52, 16, 1
	v_cmp_u_f32_e32 vcc_lo, v37, v37
	v_lshlrev_b32_e32 v39, 16, v39
	v_mul_f32_e32 v47, v42, v47
	v_and_b32_e32 v54, 0xffff0000, v40
	v_add3_u32 v46, v46, v52, 0x7fff
	v_cndmask_b32_e32 v37, v48, v53, vcc_lo
	v_or_b32_e32 v48, 0x400000, v52
	v_bfe_u32 v53, v38, 16, 1
	v_cmp_u_f32_e32 vcc_lo, v52, v52
	v_mul_f32_e32 v39, v51, v39
	v_or_b32_e32 v52, 0x400000, v38
	v_lshlrev_b32_e32 v40, 16, v40
	v_and_b32_e32 v37, 0xffff0000, v37
	v_cndmask_b32_e32 v46, v46, v48, vcc_lo
	v_add3_u32 v48, v53, v38, 0x7fff
	v_bfe_u32 v53, v47, 16, 1
	v_cmp_u_f32_e32 vcc_lo, v38, v38
	v_bfe_u32 v55, v39, 16, 1
	v_mul_f32_e32 v40, v44, v40
	v_and_b32_e32 v45, 0xffff0000, v45
	v_and_b32_e32 v46, 0xffff0000, v46
	v_cndmask_b32_e32 v38, v48, v52, vcc_lo
	v_add3_u32 v48, v53, v47, 0x7fff
	v_mul_f32_e32 v52, v43, v54
	v_or_b32_e32 v53, 0x400000, v47
	v_cmp_u_f32_e32 vcc_lo, v47, v47
	v_add3_u32 v54, v55, v39, 0x7fff
	v_or_b32_e32 v55, 0x400000, v39
	v_bfe_u32 v56, v52, 16, 1
	v_and_b32_e32 v38, 0xffff0000, v38
	v_cndmask_b32_e32 v47, v48, v53, vcc_lo
	v_cmp_u_f32_e32 vcc_lo, v39, v39
	v_or_b32_e32 v53, 0x400000, v52
	v_add3_u32 v48, v56, v52, 0x7fff
	v_add_f32_e32 v37, v37, v45
	v_add_f32_e32 v38, v38, v46
	v_cndmask_b32_e32 v39, v54, v55, vcc_lo
	v_bfe_u32 v54, v40, 16, 1
	v_cmp_u_f32_e32 vcc_lo, v52, v52
	v_and_b32_e32 v45, 0xffff0000, v33
	v_and_b32_e32 v46, 0xffff0000, v47
	;; [unrolled: 1-line block ×3, first 2 shown]
	v_add3_u32 v52, v54, v40, 0x7fff
	v_cndmask_b32_e32 v48, v48, v53, vcc_lo
	v_or_b32_e32 v53, 0x400000, v40
	v_cmp_u_f32_e32 vcc_lo, v40, v40
	v_add_f32_e32 v37, v38, v37
	v_mul_f32_e32 v38, v0, v45
	v_add_f32_e32 v39, v39, v46
	v_lshlrev_b32_e32 v33, 16, v33
	v_cndmask_b32_e32 v40, v52, v53, vcc_lo
	v_and_b32_e32 v45, 0xffff0000, v48
	v_bfe_u32 v46, v38, 16, 1
	v_add_f32_e32 v37, v39, v37
	v_mul_f32_e32 v33, v49, v33
	v_and_b32_e32 v40, 0xffff0000, v40
	v_and_b32_e32 v39, 0xffff0000, v34
	v_lshlrev_b32_e32 v34, 16, v34
	v_cmp_u_f32_e32 vcc_lo, v38, v38
	v_bfe_u32 v47, v33, 16, 1
	v_add_f32_e32 v40, v40, v45
	v_add3_u32 v45, v46, v38, 0x7fff
	v_or_b32_e32 v46, 0x400000, v38
	v_mul_f32_e32 v39, v41, v39
	v_mul_f32_e32 v34, v50, v34
	v_and_b32_e32 v48, 0xffff0000, v35
	v_lshlrev_b32_e32 v35, 16, v35
	v_cndmask_b32_e32 v38, v45, v46, vcc_lo
	v_add3_u32 v45, v47, v33, 0x7fff
	v_or_b32_e32 v46, 0x400000, v33
	v_bfe_u32 v47, v39, 16, 1
	v_cmp_u_f32_e32 vcc_lo, v33, v33
	v_mul_f32_e32 v48, v42, v48
	v_mul_f32_e32 v35, v51, v35
	v_and_b32_e32 v52, 0xffff0000, v36
	v_lshlrev_b32_e32 v36, 16, v36
	v_cndmask_b32_e32 v33, v45, v46, vcc_lo
	v_add3_u32 v45, v47, v39, 0x7fff
	v_or_b32_e32 v46, 0x400000, v39
	v_bfe_u32 v47, v34, 16, 1
	v_cmp_u_f32_e32 vcc_lo, v39, v39
	v_mul_f32_e32 v36, v44, v36
	v_or_b32_e32 v53, 0x400000, v35
	v_and_b32_e32 v33, 0xffff0000, v33
	v_and_b32_e32 v38, 0xffff0000, v38
	v_cndmask_b32_e32 v39, v45, v46, vcc_lo
	v_add3_u32 v45, v47, v34, 0x7fff
	v_or_b32_e32 v46, 0x400000, v34
	v_bfe_u32 v47, v48, 16, 1
	v_cmp_u_f32_e32 vcc_lo, v34, v34
	v_and_b32_e32 v39, 0xffff0000, v39
	v_add_f32_e32 v33, v33, v38
	v_add_f32_e32 v37, v40, v37
	v_cndmask_b32_e32 v34, v45, v46, vcc_lo
	v_bfe_u32 v45, v35, 16, 1
	v_add3_u32 v46, v47, v48, 0x7fff
	v_mul_f32_e32 v47, v43, v52
	v_or_b32_e32 v52, 0x400000, v48
	v_cmp_u_f32_e32 vcc_lo, v48, v48
	v_add3_u32 v45, v45, v35, 0x7fff
	v_bfe_u32 v48, v36, 16, 1
	v_bfe_u32 v54, v47, 16, 1
	v_and_b32_e32 v34, 0xffff0000, v34
	v_cndmask_b32_e32 v46, v46, v52, vcc_lo
	v_cmp_u_f32_e32 vcc_lo, v35, v35
	v_add3_u32 v48, v48, v36, 0x7fff
	v_or_b32_e32 v52, 0x400000, v47
	v_add_f32_e32 v34, v34, v39
	v_and_b32_e32 v38, 0xffff0000, v46
	v_cndmask_b32_e32 v35, v45, v53, vcc_lo
	v_or_b32_e32 v53, 0x400000, v36
	v_cmp_u_f32_e32 vcc_lo, v36, v36
	v_add3_u32 v45, v54, v47, 0x7fff
	v_add_f32_e32 v33, v34, v33
	v_and_b32_e32 v35, 0xffff0000, v35
	v_add_f32_e32 v83, v83, v37
	v_cndmask_b32_e32 v36, v48, v53, vcc_lo
	v_cmp_u_f32_e32 vcc_lo, v47, v47
	v_add_f32_e32 v34, v35, v38
	v_and_b32_e32 v35, 0xffff0000, v29
	v_and_b32_e32 v36, 0xffff0000, v36
	v_cndmask_b32_e32 v39, v45, v52, vcc_lo
	v_lshlrev_b32_e32 v29, 16, v29
	v_add_f32_e32 v33, v34, v33
	v_mul_f32_e32 v35, v0, v35
	v_and_b32_e32 v38, 0xffff0000, v39
	v_mul_f32_e32 v29, v49, v29
	v_cmp_u_f32_e32 vcc_lo, v35, v35
	v_add_f32_e32 v34, v36, v38
	v_and_b32_e32 v36, 0xffff0000, v30
	v_bfe_u32 v38, v35, 16, 1
	v_bfe_u32 v37, v29, 16, 1
	v_or_b32_e32 v39, 0x400000, v29
	v_add_f32_e32 v33, v34, v33
	v_mul_f32_e32 v34, v41, v36
	v_add3_u32 v36, v38, v35, 0x7fff
	v_or_b32_e32 v38, 0x400000, v35
	v_add3_u32 v37, v37, v29, 0x7fff
	v_lshlrev_b32_e32 v30, 16, v30
	v_bfe_u32 v40, v34, 16, 1
	v_add_f32_e32 v84, v84, v33
	v_cndmask_b32_e32 v35, v36, v38, vcc_lo
	v_cmp_u_f32_e32 vcc_lo, v29, v29
	v_mul_f32_e32 v30, v50, v30
	v_add3_u32 v36, v40, v34, 0x7fff
	v_and_b32_e32 v38, 0xffff0000, v31
	v_lshlrev_b32_e32 v31, 16, v31
	v_cndmask_b32_e32 v29, v37, v39, vcc_lo
	v_or_b32_e32 v37, 0x400000, v34
	v_cmp_u_f32_e32 vcc_lo, v34, v34
	v_bfe_u32 v39, v30, 16, 1
	v_mul_f32_e32 v31, v51, v31
	v_and_b32_e32 v29, 0xffff0000, v29
	v_and_b32_e32 v35, 0xffff0000, v35
	v_cndmask_b32_e32 v34, v36, v37, vcc_lo
	v_mul_f32_e32 v36, v42, v38
	v_add3_u32 v37, v39, v30, 0x7fff
	v_or_b32_e32 v38, 0x400000, v30
	v_and_b32_e32 v39, 0xffff0000, v32
	v_cmp_u_f32_e32 vcc_lo, v30, v30
	v_bfe_u32 v40, v36, 16, 1
	v_bfe_u32 v45, v31, 16, 1
	v_lshlrev_b32_e32 v32, 16, v32
	v_and_b32_e32 v34, 0xffff0000, v34
	v_cndmask_b32_e32 v30, v37, v38, vcc_lo
	v_mul_f32_e32 v37, v43, v39
	v_add3_u32 v38, v40, v36, 0x7fff
	v_or_b32_e32 v39, 0x400000, v36
	v_cmp_u_f32_e32 vcc_lo, v36, v36
	v_add3_u32 v40, v45, v31, 0x7fff
	v_or_b32_e32 v45, 0x400000, v31
	v_bfe_u32 v46, v37, 16, 1
	v_and_b32_e32 v30, 0xffff0000, v30
	v_cndmask_b32_e32 v36, v38, v39, vcc_lo
	v_cmp_u_f32_e32 vcc_lo, v31, v31
	v_or_b32_e32 v39, 0x400000, v37
	v_add3_u32 v38, v46, v37, 0x7fff
	v_mul_f32_e32 v32, v44, v32
	v_add_f32_e32 v29, v29, v35
	v_cndmask_b32_e32 v31, v40, v45, vcc_lo
	v_cmp_u_f32_e32 vcc_lo, v37, v37
	v_add_f32_e32 v30, v30, v34
	v_and_b32_e32 v34, 0xffff0000, v25
	v_and_b32_e32 v35, 0xffff0000, v36
	;; [unrolled: 1-line block ×3, first 2 shown]
	v_cndmask_b32_e32 v37, v38, v39, vcc_lo
	v_bfe_u32 v38, v32, 16, 1
	v_add_f32_e32 v29, v30, v29
	v_mul_f32_e32 v30, v0, v34
	v_add_f32_e32 v31, v31, v35
	v_lshlrev_b32_e32 v25, 16, v25
	v_add3_u32 v36, v38, v32, 0x7fff
	v_or_b32_e32 v38, 0x400000, v32
	v_cmp_u_f32_e32 vcc_lo, v32, v32
	v_bfe_u32 v34, v30, 16, 1
	v_add_f32_e32 v29, v31, v29
	v_mul_f32_e32 v25, v49, v25
	v_and_b32_e32 v31, 0xffff0000, v26
	v_cndmask_b32_e32 v32, v36, v38, vcc_lo
	v_add3_u32 v34, v34, v30, 0x7fff
	v_or_b32_e32 v35, 0x400000, v30
	v_bfe_u32 v36, v25, 16, 1
	v_mul_f32_e32 v31, v41, v31
	v_lshlrev_b32_e32 v26, 16, v26
	v_cmp_u_f32_e32 vcc_lo, v30, v30
	v_and_b32_e32 v38, 0xffff0000, v27
	v_lshlrev_b32_e32 v27, 16, v27
	v_and_b32_e32 v39, 0xffff0000, v28
	v_mul_f32_e32 v26, v50, v26
	v_cndmask_b32_e32 v30, v34, v35, vcc_lo
	v_add3_u32 v34, v36, v25, 0x7fff
	v_or_b32_e32 v35, 0x400000, v25
	v_bfe_u32 v36, v31, 16, 1
	v_cmp_u_f32_e32 vcc_lo, v25, v25
	v_mul_f32_e32 v38, v42, v38
	v_mul_f32_e32 v27, v51, v27
	v_lshlrev_b32_e32 v28, 16, v28
	v_and_b32_e32 v30, 0xffff0000, v30
	v_cndmask_b32_e32 v25, v34, v35, vcc_lo
	v_add3_u32 v34, v36, v31, 0x7fff
	v_or_b32_e32 v35, 0x400000, v31
	v_bfe_u32 v36, v26, 16, 1
	v_cmp_u_f32_e32 vcc_lo, v31, v31
	v_mul_f32_e32 v28, v44, v28
	v_or_b32_e32 v40, 0x400000, v27
	v_and_b32_e32 v25, 0xffff0000, v25
	v_and_b32_e32 v32, 0xffff0000, v32
	v_cndmask_b32_e32 v31, v34, v35, vcc_lo
	v_add3_u32 v34, v36, v26, 0x7fff
	v_or_b32_e32 v35, 0x400000, v26
	v_bfe_u32 v36, v38, 16, 1
	v_cmp_u_f32_e32 vcc_lo, v26, v26
	v_bfe_u32 v46, v28, 16, 1
	v_and_b32_e32 v31, 0xffff0000, v31
	v_add_f32_e32 v25, v25, v30
	v_cndmask_b32_e32 v26, v34, v35, vcc_lo
	v_bfe_u32 v34, v27, 16, 1
	v_add3_u32 v35, v36, v38, 0x7fff
	v_mul_f32_e32 v36, v43, v39
	v_or_b32_e32 v39, 0x400000, v38
	v_cmp_u_f32_e32 vcc_lo, v38, v38
	v_add3_u32 v34, v34, v27, 0x7fff
	v_add3_u32 v38, v46, v28, 0x7fff
	v_bfe_u32 v45, v36, 16, 1
	v_and_b32_e32 v26, 0xffff0000, v26
	v_cndmask_b32_e32 v35, v35, v39, vcc_lo
	v_cmp_u_f32_e32 vcc_lo, v27, v27
	v_or_b32_e32 v39, 0x400000, v28
	v_add_f32_e32 v26, v26, v31
	v_and_b32_e32 v30, 0xffff0000, v35
	v_cndmask_b32_e32 v27, v34, v40, vcc_lo
	v_cmp_u_f32_e32 vcc_lo, v28, v28
	v_add3_u32 v34, v45, v36, 0x7fff
	v_or_b32_e32 v40, 0x400000, v36
	v_add_f32_e32 v25, v26, v25
	v_and_b32_e32 v27, 0xffff0000, v27
	v_cndmask_b32_e32 v28, v38, v39, vcc_lo
	v_cmp_u_f32_e32 vcc_lo, v36, v36
	v_add_f32_e32 v26, v27, v30
	v_and_b32_e32 v27, 0xffff0000, v28
	v_cndmask_b32_e32 v31, v34, v40, vcc_lo
	v_and_b32_e32 v34, 0xffff0000, v37
	v_and_b32_e32 v30, 0xffff0000, v17
	v_lshlrev_b32_e32 v17, 16, v17
	v_add_f32_e32 v25, v26, v25
	v_and_b32_e32 v28, 0xffff0000, v31
	v_add_f32_e32 v31, v32, v34
	v_mul_f32_e32 v17, v49, v17
	v_add_f32_e32 v26, v27, v28
	v_mul_f32_e32 v27, v0, v30
	v_add_f32_e32 v28, v31, v29
	v_and_b32_e32 v29, 0xffff0000, v18
	v_lshlrev_b32_e32 v18, 16, v18
	v_add_f32_e32 v25, v26, v25
	v_bfe_u32 v26, v27, 16, 1
	v_add_f32_e32 v85, v85, v28
	v_bfe_u32 v28, v17, 16, 1
	v_mul_f32_e32 v29, v41, v29
	v_add_f32_e32 v86, v86, v25
	v_add3_u32 v25, v26, v27, 0x7fff
	v_or_b32_e32 v26, 0x400000, v27
	v_cmp_u_f32_e32 vcc_lo, v27, v27
	v_add3_u32 v28, v28, v17, 0x7fff
	v_or_b32_e32 v30, 0x400000, v17
	v_mul_f32_e32 v18, v50, v18
	v_and_b32_e32 v27, 0xffff0000, v19
	v_cndmask_b32_e32 v25, v25, v26, vcc_lo
	v_bfe_u32 v26, v29, 16, 1
	v_cmp_u_f32_e32 vcc_lo, v17, v17
	v_lshlrev_b32_e32 v19, 16, v19
	v_mul_f32_e32 v27, v42, v27
	v_and_b32_e32 v31, 0xffff0000, v20
	v_add3_u32 v26, v26, v29, 0x7fff
	v_cndmask_b32_e32 v17, v28, v30, vcc_lo
	v_or_b32_e32 v28, 0x400000, v29
	v_bfe_u32 v30, v18, 16, 1
	v_cmp_u_f32_e32 vcc_lo, v29, v29
	v_mul_f32_e32 v19, v51, v19
	v_or_b32_e32 v29, 0x400000, v18
	v_lshlrev_b32_e32 v20, 16, v20
	v_and_b32_e32 v17, 0xffff0000, v17
	v_cndmask_b32_e32 v26, v26, v28, vcc_lo
	v_add3_u32 v28, v30, v18, 0x7fff
	v_bfe_u32 v30, v27, 16, 1
	v_cmp_u_f32_e32 vcc_lo, v18, v18
	v_bfe_u32 v32, v19, 16, 1
	v_mul_f32_e32 v20, v44, v20
	v_and_b32_e32 v25, 0xffff0000, v25
	v_and_b32_e32 v26, 0xffff0000, v26
	v_cndmask_b32_e32 v18, v28, v29, vcc_lo
	v_add3_u32 v28, v30, v27, 0x7fff
	v_mul_f32_e32 v29, v43, v31
	v_or_b32_e32 v30, 0x400000, v27
	v_cmp_u_f32_e32 vcc_lo, v27, v27
	v_add3_u32 v31, v32, v19, 0x7fff
	v_or_b32_e32 v32, 0x400000, v19
	v_bfe_u32 v33, v29, 16, 1
	v_and_b32_e32 v18, 0xffff0000, v18
	v_cndmask_b32_e32 v27, v28, v30, vcc_lo
	v_cmp_u_f32_e32 vcc_lo, v19, v19
	v_or_b32_e32 v30, 0x400000, v29
	v_add3_u32 v28, v33, v29, 0x7fff
	v_add_f32_e32 v17, v17, v25
	v_add_f32_e32 v18, v18, v26
	v_cndmask_b32_e32 v19, v31, v32, vcc_lo
	v_bfe_u32 v31, v20, 16, 1
	v_cmp_u_f32_e32 vcc_lo, v29, v29
	v_and_b32_e32 v26, 0xffff0000, v13
	v_and_b32_e32 v25, 0xffff0000, v27
	;; [unrolled: 1-line block ×3, first 2 shown]
	v_add3_u32 v29, v31, v20, 0x7fff
	v_cndmask_b32_e32 v28, v28, v30, vcc_lo
	v_or_b32_e32 v30, 0x400000, v20
	v_cmp_u_f32_e32 vcc_lo, v20, v20
	v_lshlrev_b32_e32 v13, 16, v13
	v_add_f32_e32 v17, v18, v17
	v_mul_f32_e32 v18, v0, v26
	v_add_f32_e32 v19, v19, v25
	v_cndmask_b32_e32 v20, v29, v30, vcc_lo
	v_mul_f32_e32 v13, v49, v13
	v_and_b32_e32 v25, 0xffff0000, v28
	v_bfe_u32 v26, v18, 16, 1
	v_add_f32_e32 v17, v19, v17
	v_and_b32_e32 v20, 0xffff0000, v20
	v_bfe_u32 v19, v13, 16, 1
	v_and_b32_e32 v27, 0xffff0000, v14
	v_cmp_u_f32_e32 vcc_lo, v18, v18
	v_or_b32_e32 v28, 0x400000, v13
	v_add_f32_e32 v20, v20, v25
	v_add3_u32 v25, v26, v18, 0x7fff
	v_or_b32_e32 v26, 0x400000, v18
	v_add3_u32 v19, v19, v13, 0x7fff
	v_mul_f32_e32 v27, v41, v27
	v_lshlrev_b32_e32 v14, 16, v14
	v_and_b32_e32 v29, 0xffff0000, v16
	v_cndmask_b32_e32 v18, v25, v26, vcc_lo
	v_cmp_u_f32_e32 vcc_lo, v13, v13
	v_bfe_u32 v25, v27, 16, 1
	v_mul_f32_e32 v14, v50, v14
	v_or_b32_e32 v26, 0x400000, v27
	v_lshlrev_b32_e32 v16, 16, v16
	v_cndmask_b32_e32 v13, v19, v28, vcc_lo
	v_and_b32_e32 v19, 0xffff0000, v15
	v_add3_u32 v25, v25, v27, 0x7fff
	v_lshlrev_b32_e32 v15, 16, v15
	v_bfe_u32 v28, v14, 16, 1
	v_cmp_u_f32_e32 vcc_lo, v27, v27
	v_mul_f32_e32 v19, v42, v19
	v_or_b32_e32 v27, 0x400000, v14
	v_mul_f32_e32 v15, v51, v15
	v_mul_f32_e32 v16, v44, v16
	v_cndmask_b32_e32 v25, v25, v26, vcc_lo
	v_add3_u32 v26, v28, v14, 0x7fff
	v_bfe_u32 v28, v19, 16, 1
	v_cmp_u_f32_e32 vcc_lo, v14, v14
	v_bfe_u32 v30, v15, 16, 1
	v_and_b32_e32 v13, 0xffff0000, v13
	v_and_b32_e32 v18, 0xffff0000, v18
	v_and_b32_e32 v25, 0xffff0000, v25
	v_cndmask_b32_e32 v14, v26, v27, vcc_lo
	v_add3_u32 v26, v28, v19, 0x7fff
	v_mul_f32_e32 v27, v43, v29
	v_or_b32_e32 v28, 0x400000, v19
	v_cmp_u_f32_e32 vcc_lo, v19, v19
	v_add3_u32 v29, v30, v15, 0x7fff
	v_or_b32_e32 v30, 0x400000, v15
	v_bfe_u32 v31, v27, 16, 1
	v_and_b32_e32 v14, 0xffff0000, v14
	v_cndmask_b32_e32 v19, v26, v28, vcc_lo
	v_cmp_u_f32_e32 vcc_lo, v15, v15
	v_or_b32_e32 v28, 0x400000, v27
	v_add3_u32 v26, v31, v27, 0x7fff
	v_add_f32_e32 v13, v13, v18
	v_add_f32_e32 v14, v14, v25
	v_cndmask_b32_e32 v15, v29, v30, vcc_lo
	v_bfe_u32 v29, v16, 16, 1
	v_cmp_u_f32_e32 vcc_lo, v27, v27
	v_and_b32_e32 v18, 0xffff0000, v19
	v_add_f32_e32 v13, v14, v13
	v_and_b32_e32 v15, 0xffff0000, v15
	v_add3_u32 v27, v29, v16, 0x7fff
	v_cndmask_b32_e32 v26, v26, v28, vcc_lo
	v_or_b32_e32 v28, 0x400000, v16
	v_cmp_u_f32_e32 vcc_lo, v16, v16
	v_and_b32_e32 v14, 0xffff0000, v9
	v_add_f32_e32 v15, v15, v18
	v_lshlrev_b32_e32 v9, 16, v9
	v_and_b32_e32 v18, 0xffff0000, v26
	v_cndmask_b32_e32 v16, v27, v28, vcc_lo
	v_mul_f32_e32 v14, v0, v14
	v_add_f32_e32 v17, v20, v17
	v_mul_f32_e32 v19, v49, v9
	v_add_f32_e32 v9, v15, v13
	v_and_b32_e32 v16, 0xffff0000, v16
	v_bfe_u32 v15, v14, 16, 1
	v_add_f32_e32 v87, v87, v17
	v_and_b32_e32 v17, 0xffff0000, v10
	v_cmp_u_f32_e32 vcc_lo, v14, v14
	v_add_f32_e32 v13, v16, v18
	v_bfe_u32 v16, v19, 16, 1
	v_or_b32_e32 v18, 0x400000, v19
	v_mul_f32_e32 v17, v41, v17
	v_lshlrev_b32_e32 v10, 16, v10
	v_add_f32_e32 v9, v13, v9
	v_add3_u32 v13, v15, v14, 0x7fff
	v_or_b32_e32 v15, 0x400000, v14
	v_add3_u32 v16, v16, v19, 0x7fff
	v_bfe_u32 v14, v17, 16, 1
	v_mul_f32_e32 v10, v50, v10
	v_and_b32_e32 v20, 0xffff0000, v12
	v_cndmask_b32_e32 v13, v13, v15, vcc_lo
	v_cmp_u_f32_e32 vcc_lo, v19, v19
	v_add3_u32 v14, v14, v17, 0x7fff
	v_bfe_u32 v19, v10, 16, 1
	v_lshlrev_b32_e32 v12, 16, v12
	v_and_b32_e32 v13, 0xffff0000, v13
	v_cndmask_b32_e32 v15, v16, v18, vcc_lo
	v_and_b32_e32 v16, 0xffff0000, v11
	v_or_b32_e32 v18, 0x400000, v17
	v_lshlrev_b32_e32 v11, 16, v11
	v_cmp_u_f32_e32 vcc_lo, v17, v17
	v_add3_u32 v17, v19, v10, 0x7fff
	v_mul_f32_e32 v16, v42, v16
	v_mul_f32_e32 v12, v44, v12
	;; [unrolled: 1-line block ×3, first 2 shown]
	v_cndmask_b32_e32 v14, v14, v18, vcc_lo
	v_or_b32_e32 v18, 0x400000, v10
	v_bfe_u32 v19, v16, 16, 1
	v_cmp_u_f32_e32 vcc_lo, v10, v10
	v_bfe_u32 v25, v11, 16, 1
	v_and_b32_e32 v15, 0xffff0000, v15
	v_and_b32_e32 v14, 0xffff0000, v14
	v_add_f32_e32 v88, v88, v9
	v_cndmask_b32_e32 v10, v17, v18, vcc_lo
	v_add3_u32 v17, v19, v16, 0x7fff
	v_mul_f32_e32 v18, v43, v20
	v_or_b32_e32 v19, 0x400000, v16
	v_cmp_u_f32_e32 vcc_lo, v16, v16
	v_add3_u32 v20, v25, v11, 0x7fff
	v_or_b32_e32 v25, 0x400000, v11
	v_bfe_u32 v26, v18, 16, 1
	v_and_b32_e32 v10, 0xffff0000, v10
	v_cndmask_b32_e32 v16, v17, v19, vcc_lo
	v_cmp_u_f32_e32 vcc_lo, v11, v11
	v_or_b32_e32 v19, 0x400000, v18
	v_add3_u32 v17, v26, v18, 0x7fff
	v_add_f32_e32 v13, v15, v13
	v_add_f32_e32 v10, v10, v14
	v_cndmask_b32_e32 v11, v20, v25, vcc_lo
	v_bfe_u32 v20, v12, 16, 1
	v_cmp_u_f32_e32 vcc_lo, v18, v18
	v_and_b32_e32 v15, 0xffff0000, v5
	v_and_b32_e32 v14, 0xffff0000, v16
	;; [unrolled: 1-line block ×3, first 2 shown]
	v_add3_u32 v18, v20, v12, 0x7fff
	v_cndmask_b32_e32 v17, v17, v19, vcc_lo
	v_or_b32_e32 v19, 0x400000, v12
	v_cmp_u_f32_e32 vcc_lo, v12, v12
	v_lshlrev_b32_e32 v5, 16, v5
	v_add_f32_e32 v10, v10, v13
	v_mul_f32_e32 v13, v0, v15
	v_add_f32_e32 v11, v11, v14
	v_cndmask_b32_e32 v12, v18, v19, vcc_lo
	v_mul_f32_e32 v14, v49, v5
	v_and_b32_e32 v15, 0xffff0000, v17
	v_and_b32_e32 v16, 0xffff0000, v6
	v_bfe_u32 v17, v13, 16, 1
	v_and_b32_e32 v12, 0xffff0000, v12
	v_add_f32_e32 v5, v11, v10
	v_bfe_u32 v11, v14, 16, 1
	v_cmp_u_f32_e32 vcc_lo, v13, v13
	v_lshlrev_b32_e32 v6, 16, v6
	v_add_f32_e32 v10, v12, v15
	v_mul_f32_e32 v12, v41, v16
	v_add3_u32 v15, v17, v13, 0x7fff
	v_or_b32_e32 v16, 0x400000, v13
	v_add3_u32 v11, v11, v14, 0x7fff
	v_or_b32_e32 v17, 0x400000, v14
	v_bfe_u32 v18, v12, 16, 1
	v_mul_f32_e32 v6, v50, v6
	v_cndmask_b32_e32 v13, v15, v16, vcc_lo
	v_cmp_u_f32_e32 vcc_lo, v14, v14
	v_or_b32_e32 v15, 0x400000, v12
	v_add3_u32 v14, v18, v12, 0x7fff
	v_and_b32_e32 v16, 0xffff0000, v7
	v_lshlrev_b32_e32 v7, 16, v7
	v_cndmask_b32_e32 v11, v11, v17, vcc_lo
	v_cmp_u_f32_e32 vcc_lo, v12, v12
	v_bfe_u32 v17, v6, 16, 1
	v_and_b32_e32 v13, 0xffff0000, v13
	v_mul_f32_e32 v7, v51, v7
	v_and_b32_e32 v11, 0xffff0000, v11
	v_cndmask_b32_e32 v12, v14, v15, vcc_lo
	v_mul_f32_e32 v14, v42, v16
	v_add3_u32 v15, v17, v6, 0x7fff
	v_or_b32_e32 v16, 0x400000, v6
	v_and_b32_e32 v17, 0xffff0000, v8
	v_cmp_u_f32_e32 vcc_lo, v6, v6
	v_bfe_u32 v18, v14, 16, 1
	v_bfe_u32 v19, v7, 16, 1
	v_lshlrev_b32_e32 v8, 16, v8
	v_and_b32_e32 v12, 0xffff0000, v12
	v_cndmask_b32_e32 v6, v15, v16, vcc_lo
	v_mul_f32_e32 v15, v43, v17
	v_add3_u32 v16, v18, v14, 0x7fff
	v_or_b32_e32 v17, 0x400000, v14
	v_cmp_u_f32_e32 vcc_lo, v14, v14
	v_add3_u32 v18, v19, v7, 0x7fff
	v_or_b32_e32 v19, 0x400000, v7
	v_bfe_u32 v20, v15, 16, 1
	v_and_b32_e32 v6, 0xffff0000, v6
	v_cndmask_b32_e32 v14, v16, v17, vcc_lo
	v_cmp_u_f32_e32 vcc_lo, v7, v7
	v_or_b32_e32 v17, 0x400000, v15
	v_add3_u32 v16, v20, v15, 0x7fff
	v_mul_f32_e32 v8, v44, v8
	v_add_f32_e32 v11, v11, v13
	v_cndmask_b32_e32 v7, v18, v19, vcc_lo
	v_cmp_u_f32_e32 vcc_lo, v15, v15
	v_add_f32_e32 v6, v6, v12
	v_and_b32_e32 v12, 0xffff0000, v1
	v_and_b32_e32 v13, 0xffff0000, v14
	;; [unrolled: 1-line block ×3, first 2 shown]
	v_cndmask_b32_e32 v15, v16, v17, vcc_lo
	v_bfe_u32 v16, v8, 16, 1
	v_add_f32_e32 v6, v6, v11
	v_mul_f32_e32 v11, v0, v12
	v_add_f32_e32 v7, v7, v13
	v_lshlrev_b32_e32 v1, 16, v1
	v_add3_u32 v14, v16, v8, 0x7fff
	v_or_b32_e32 v16, 0x400000, v8
	v_cmp_u_f32_e32 vcc_lo, v8, v8
	v_bfe_u32 v12, v11, 16, 1
	v_add_f32_e32 v6, v7, v6
	v_and_b32_e32 v7, 0xffff0000, v2
	v_mul_f32_e32 v1, v49, v1
	v_cndmask_b32_e32 v8, v14, v16, vcc_lo
	v_add3_u32 v12, v12, v11, 0x7fff
	v_or_b32_e32 v13, 0x400000, v11
	v_mul_f32_e32 v7, v41, v7
	v_and_b32_e32 v14, 0xffff0000, v15
	v_bfe_u32 v15, v1, 16, 1
	v_cmp_u_f32_e32 vcc_lo, v11, v11
	v_lshlrev_b32_e32 v2, 16, v2
	v_or_b32_e32 v16, 0x400000, v1
	v_or_b32_e32 v17, 0x400000, v7
	s_waitcnt vmcnt(0)
	v_lshlrev_b32_e32 v19, 16, v24
	v_cndmask_b32_e32 v11, v12, v13, vcc_lo
	v_bfe_u32 v12, v7, 16, 1
	v_add3_u32 v13, v15, v1, 0x7fff
	v_and_b32_e32 v15, 0xffff0000, v3
	v_mul_f32_e32 v2, v50, v2
	v_cmp_u_f32_e32 vcc_lo, v1, v1
	v_add3_u32 v12, v12, v7, 0x7fff
	v_lshlrev_b32_e32 v3, 16, v3
	v_mul_f32_e32 v15, v42, v15
	v_and_b32_e32 v11, 0xffff0000, v11
	v_cndmask_b32_e32 v1, v13, v16, vcc_lo
	v_bfe_u32 v13, v2, 16, 1
	v_cmp_u_f32_e32 vcc_lo, v7, v7
	v_and_b32_e32 v16, 0xffff0000, v4
	v_mul_f32_e32 v3, v51, v3
	v_or_b32_e32 v18, 0x400000, v15
	v_add3_u32 v13, v13, v2, 0x7fff
	v_cndmask_b32_e32 v7, v12, v17, vcc_lo
	v_bfe_u32 v12, v15, 16, 1
	v_or_b32_e32 v17, 0x400000, v2
	v_cmp_u_f32_e32 vcc_lo, v2, v2
	v_mul_f32_e32 v16, v43, v16
	v_lshlrev_b32_e32 v4, 16, v4
	v_add3_u32 v12, v12, v15, 0x7fff
	v_and_b32_e32 v1, 0xffff0000, v1
	v_cndmask_b32_e32 v2, v13, v17, vcc_lo
	v_bfe_u32 v13, v3, 16, 1
	v_cmp_u_f32_e32 vcc_lo, v15, v15
	v_bfe_u32 v17, v16, 16, 1
	v_or_b32_e32 v15, 0x400000, v3
	v_mul_f32_e32 v4, v44, v4
	v_add3_u32 v13, v13, v3, 0x7fff
	v_cndmask_b32_e32 v12, v12, v18, vcc_lo
	v_cmp_u_f32_e32 vcc_lo, v3, v3
	v_add3_u32 v17, v17, v16, 0x7fff
	v_or_b32_e32 v18, 0x400000, v16
	v_and_b32_e32 v2, 0xffff0000, v2
	v_and_b32_e32 v7, 0xffff0000, v7
	v_cndmask_b32_e32 v3, v13, v15, vcc_lo
	v_cmp_u_f32_e32 vcc_lo, v16, v16
	v_bfe_u32 v15, v4, 16, 1
	v_add_f32_e32 v1, v1, v11
	v_add_f32_e32 v2, v2, v7
	v_and_b32_e32 v3, 0xffff0000, v3
	v_cndmask_b32_e32 v13, v17, v18, vcc_lo
	v_lshlrev_b32_e32 v17, 16, v21
	v_and_b32_e32 v7, 0xffff0000, v12
	v_and_b32_e32 v12, 0xffff0000, v21
	v_add3_u32 v15, v15, v4, 0x7fff
	v_or_b32_e32 v16, 0x400000, v4
	v_mul_f32_e32 v11, v49, v17
	v_cmp_u_f32_e32 vcc_lo, v4, v4
	v_add_f32_e32 v1, v2, v1
	v_add_f32_e32 v3, v3, v7
	v_mul_f32_e32 v0, v0, v12
	v_bfe_u32 v2, v11, 16, 1
	v_lshlrev_b32_e32 v7, 16, v22
	v_cndmask_b32_e32 v4, v15, v16, vcc_lo
	v_or_b32_e32 v12, 0x400000, v11
	v_bfe_u32 v15, v0, 16, 1
	v_add3_u32 v2, v2, v11, 0x7fff
	v_mul_f32_e32 v7, v50, v7
	v_and_b32_e32 v16, 0xffff0000, v22
	v_cmp_u_f32_e32 vcc_lo, v11, v11
	v_add3_u32 v11, v15, v0, 0x7fff
	v_lshlrev_b32_e32 v17, 16, v23
	v_bfe_u32 v15, v7, 16, 1
	v_mul_f32_e32 v16, v41, v16
	v_cndmask_b32_e32 v2, v2, v12, vcc_lo
	v_or_b32_e32 v12, 0x400000, v0
	v_cmp_u_f32_e32 vcc_lo, v0, v0
	v_mul_f32_e32 v17, v51, v17
	v_and_b32_e32 v18, 0xffff0000, v23
	v_and_b32_e32 v20, 0xffff0000, v24
	v_and_b32_e32 v2, 0xffff0000, v2
	v_cndmask_b32_e32 v0, v11, v12, vcc_lo
	v_add3_u32 v11, v15, v7, 0x7fff
	v_or_b32_e32 v12, 0x400000, v7
	v_bfe_u32 v15, v16, 16, 1
	v_cmp_u_f32_e32 vcc_lo, v7, v7
	v_mul_f32_e32 v18, v42, v18
	v_and_b32_e32 v0, 0xffff0000, v0
	v_and_b32_e32 v8, 0xffff0000, v8
	;; [unrolled: 1-line block ×3, first 2 shown]
	v_cndmask_b32_e32 v7, v11, v12, vcc_lo
	v_add3_u32 v11, v15, v16, 0x7fff
	v_or_b32_e32 v12, 0x400000, v16
	v_bfe_u32 v15, v17, 16, 1
	v_cmp_u_f32_e32 vcc_lo, v16, v16
	v_mul_f32_e32 v16, v44, v19
	v_mul_f32_e32 v19, v43, v20
	v_or_b32_e32 v20, 0x400000, v17
	v_add3_u32 v15, v15, v17, 0x7fff
	v_cndmask_b32_e32 v11, v11, v12, vcc_lo
	v_bfe_u32 v12, v18, 16, 1
	v_cmp_u_f32_e32 vcc_lo, v17, v17
	v_or_b32_e32 v21, 0x400000, v18
	v_bfe_u32 v23, v19, 16, 1
	v_bfe_u32 v22, v16, 16, 1
	v_add3_u32 v12, v12, v18, 0x7fff
	v_cndmask_b32_e32 v15, v15, v20, vcc_lo
	v_cmp_u_f32_e32 vcc_lo, v18, v18
	v_add3_u32 v18, v23, v19, 0x7fff
	v_or_b32_e32 v20, 0x400000, v19
	v_add3_u32 v17, v22, v16, 0x7fff
	v_and_b32_e32 v11, 0xffff0000, v11
	v_cndmask_b32_e32 v12, v12, v21, vcc_lo
	v_cmp_u_f32_e32 vcc_lo, v19, v19
	v_and_b32_e32 v7, 0xffff0000, v7
	v_or_b32_e32 v21, 0x400000, v16
	v_add_f32_e32 v0, v2, v0
	v_and_b32_e32 v13, 0xffff0000, v13
	v_cndmask_b32_e32 v18, v18, v20, vcc_lo
	v_cmp_u_f32_e32 vcc_lo, v16, v16
	v_add_f32_e32 v2, v7, v11
	v_and_b32_e32 v7, 0xffff0000, v12
	v_and_b32_e32 v11, 0xffff0000, v15
	v_add_f32_e32 v8, v8, v14
	v_cndmask_b32_e32 v12, v17, v21, vcc_lo
	v_add_f32_e32 v0, v2, v0
	v_add_f32_e32 v1, v3, v1
	;; [unrolled: 1-line block ×3, first 2 shown]
	v_and_b32_e32 v7, 0xffff0000, v18
	v_and_b32_e32 v11, 0xffff0000, v12
	v_add_f32_e32 v3, v4, v13
	v_add_f32_e32 v4, v10, v5
	;; [unrolled: 1-line block ×6, first 2 shown]
	v_cmp_le_i32_e32 vcc_lo, s11, v69
	v_add_f32_e32 v90, v90, v4
	v_add_f32_e32 v91, v91, v5
	;; [unrolled: 1-line block ×4, first 2 shown]
	s_or_b32 s9, vcc_lo, s9
	v_add_f32_e32 v77, v77, v0
	s_andn2_b32 exec_lo, exec_lo, s9
	s_cbranch_execz .LBB185_59
.LBB185_29:                             ; =>This Inner Loop Header: Depth=1
	global_load_dword v0, v[70:71], off
	v_cmp_eq_u32_e64 s0, s5, v69
	v_add_nc_u32_e32 v100, 1, v95
	v_or_b32_e32 v98, 3, v95
	v_or_b32_e32 v99, 2, v95
	;; [unrolled: 1-line block ×5, first 2 shown]
	s_waitcnt vmcnt(0)
	v_mad_i64_i32 v[0:1], null, v0, s6, 0
	v_lshlrev_b64 v[0:1], 1, v[0:1]
	v_add_co_u32 v21, vcc_lo, v93, v0
	v_add_co_ci_u32_e64 v22, null, v94, v1, vcc_lo
	v_or_b32_e32 v0, 6, v95
	global_load_dwordx4 v[1:4], v[21:22], off
	ds_read2_b64 v[49:52], v96 offset1:1
	ds_read2_b64 v[41:44], v96 offset0:2 offset1:3
	s_and_saveexec_b32 s13, s0
	s_cbranch_execnz .LBB185_47
; %bb.30:                               ;   in Loop: Header=BB185_29 Depth=1
	s_or_b32 exec_lo, exec_lo, s13
	global_load_dwordx4 v[5:8], v[21:22], off offset:512
	s_and_saveexec_b32 s13, s0
	s_cbranch_execnz .LBB185_48
.LBB185_31:                             ;   in Loop: Header=BB185_29 Depth=1
	s_or_b32 exec_lo, exec_lo, s13
	global_load_dwordx4 v[9:12], v[21:22], off offset:1024
	s_and_saveexec_b32 s13, s0
	s_cbranch_execnz .LBB185_49
.LBB185_32:                             ;   in Loop: Header=BB185_29 Depth=1
	s_or_b32 exec_lo, exec_lo, s13
	global_load_dwordx4 v[13:16], v[21:22], off offset:1536
	s_and_saveexec_b32 s13, s0
	s_cbranch_execz .LBB185_34
.LBB185_33:                             ;   in Loop: Header=BB185_29 Depth=1
	v_cmp_gt_i32_e64 s1, s25, v95
	v_cmp_gt_i32_e32 vcc_lo, s12, v100
	v_cmp_gt_i32_e64 s2, s25, v99
	s_waitcnt vmcnt(0)
	v_cndmask_b32_e64 v17, 0, v13, s1
	v_cmp_gt_i32_e64 s1, s12, v98
	v_cndmask_b32_sdwa v13, v92, v13, vcc_lo dst_sel:DWORD dst_unused:UNUSED_PAD src0_sel:DWORD src1_sel:WORD_1
	v_cndmask_b32_e64 v18, 0, v14, s2
	v_cmp_gt_i32_e64 s2, s12, v97
	s_mov_b32 vcc_lo, s1
	v_cmp_gt_i32_e64 s1, s12, v72
	v_cndmask_b32_sdwa v14, v92, v14, vcc_lo dst_sel:DWORD dst_unused:UNUSED_PAD src0_sel:DWORD src1_sel:WORD_1
	v_cmp_gt_i32_e32 vcc_lo, s25, v73
	v_perm_b32 v13, v13, v17, 0x5040100
	v_perm_b32 v14, v14, v18, 0x5040100
	v_cndmask_b32_e32 v19, 0, v15, vcc_lo
	s_mov_b32 vcc_lo, s2
	v_cndmask_b32_sdwa v15, v92, v15, vcc_lo dst_sel:DWORD dst_unused:UNUSED_PAD src0_sel:DWORD src1_sel:WORD_1
	v_cmp_gt_i32_e32 vcc_lo, s25, v0
	v_perm_b32 v15, v15, v19, 0x5040100
	v_cndmask_b32_e32 v20, 0, v16, vcc_lo
	s_mov_b32 vcc_lo, s1
	v_cndmask_b32_sdwa v16, v92, v16, vcc_lo dst_sel:DWORD dst_unused:UNUSED_PAD src0_sel:DWORD src1_sel:WORD_1
	v_perm_b32 v16, v16, v20, 0x5040100
.LBB185_34:                             ;   in Loop: Header=BB185_29 Depth=1
	s_or_b32 exec_lo, exec_lo, s13
	v_add_co_u32 v23, vcc_lo, 0x800, v21
	v_add_co_ci_u32_e64 v24, null, 0, v22, vcc_lo
	global_load_dwordx4 v[17:20], v[23:24], off
	s_and_saveexec_b32 s13, s0
	s_cbranch_execnz .LBB185_50
; %bb.35:                               ;   in Loop: Header=BB185_29 Depth=1
	s_or_b32 exec_lo, exec_lo, s13
	global_load_dwordx4 v[25:28], v[23:24], off offset:512
	s_and_saveexec_b32 s13, s0
	s_cbranch_execnz .LBB185_51
.LBB185_36:                             ;   in Loop: Header=BB185_29 Depth=1
	s_or_b32 exec_lo, exec_lo, s13
	global_load_dwordx4 v[29:32], v[23:24], off offset:1024
	s_and_saveexec_b32 s13, s0
	s_cbranch_execnz .LBB185_52
.LBB185_37:                             ;   in Loop: Header=BB185_29 Depth=1
	s_or_b32 exec_lo, exec_lo, s13
	global_load_dwordx4 v[33:36], v[23:24], off offset:1536
	s_and_saveexec_b32 s13, s0
	s_cbranch_execz .LBB185_39
.LBB185_38:                             ;   in Loop: Header=BB185_29 Depth=1
	v_cmp_gt_i32_e64 s1, s25, v95
	v_cmp_gt_i32_e32 vcc_lo, s12, v100
	v_cmp_gt_i32_e64 s2, s25, v99
	s_waitcnt vmcnt(0)
	v_cndmask_b32_e64 v23, 0, v33, s1
	v_cmp_gt_i32_e64 s1, s12, v98
	v_cndmask_b32_sdwa v33, v92, v33, vcc_lo dst_sel:DWORD dst_unused:UNUSED_PAD src0_sel:DWORD src1_sel:WORD_1
	v_cndmask_b32_e64 v24, 0, v34, s2
	v_cmp_gt_i32_e64 s2, s12, v97
	s_mov_b32 vcc_lo, s1
	v_cmp_gt_i32_e64 s1, s12, v72
	v_cndmask_b32_sdwa v34, v92, v34, vcc_lo dst_sel:DWORD dst_unused:UNUSED_PAD src0_sel:DWORD src1_sel:WORD_1
	v_cmp_gt_i32_e32 vcc_lo, s25, v73
	v_perm_b32 v33, v33, v23, 0x5040100
	v_perm_b32 v34, v34, v24, 0x5040100
	v_cndmask_b32_e32 v37, 0, v35, vcc_lo
	s_mov_b32 vcc_lo, s2
	v_cndmask_b32_sdwa v35, v92, v35, vcc_lo dst_sel:DWORD dst_unused:UNUSED_PAD src0_sel:DWORD src1_sel:WORD_1
	v_cmp_gt_i32_e32 vcc_lo, s25, v0
	v_perm_b32 v35, v35, v37, 0x5040100
	v_cndmask_b32_e32 v38, 0, v36, vcc_lo
	s_mov_b32 vcc_lo, s1
	v_cndmask_b32_sdwa v36, v92, v36, vcc_lo dst_sel:DWORD dst_unused:UNUSED_PAD src0_sel:DWORD src1_sel:WORD_1
	v_perm_b32 v36, v36, v38, 0x5040100
.LBB185_39:                             ;   in Loop: Header=BB185_29 Depth=1
	s_or_b32 exec_lo, exec_lo, s13
	v_add_co_u32 v23, vcc_lo, 0x1000, v21
	v_add_co_ci_u32_e64 v24, null, 0, v22, vcc_lo
	global_load_dwordx4 v[37:40], v[23:24], off
	s_and_saveexec_b32 s13, s0
	s_cbranch_execnz .LBB185_53
; %bb.40:                               ;   in Loop: Header=BB185_29 Depth=1
	s_or_b32 exec_lo, exec_lo, s13
	global_load_dwordx4 v[45:48], v[23:24], off offset:512
	s_and_saveexec_b32 s13, s0
	s_cbranch_execnz .LBB185_54
.LBB185_41:                             ;   in Loop: Header=BB185_29 Depth=1
	s_or_b32 exec_lo, exec_lo, s13
	global_load_dwordx4 v[53:56], v[23:24], off offset:1024
	s_and_saveexec_b32 s13, s0
	s_cbranch_execnz .LBB185_55
.LBB185_42:                             ;   in Loop: Header=BB185_29 Depth=1
	s_or_b32 exec_lo, exec_lo, s13
	global_load_dwordx4 v[57:60], v[23:24], off offset:1536
	s_and_saveexec_b32 s13, s0
	s_cbranch_execz .LBB185_44
.LBB185_43:                             ;   in Loop: Header=BB185_29 Depth=1
	v_cmp_gt_i32_e64 s1, s25, v95
	v_cmp_gt_i32_e32 vcc_lo, s12, v100
	v_cmp_gt_i32_e64 s2, s25, v99
	s_waitcnt vmcnt(0)
	v_cndmask_b32_e64 v23, 0, v57, s1
	v_cmp_gt_i32_e64 s1, s12, v98
	v_cndmask_b32_sdwa v57, v92, v57, vcc_lo dst_sel:DWORD dst_unused:UNUSED_PAD src0_sel:DWORD src1_sel:WORD_1
	v_cndmask_b32_e64 v24, 0, v58, s2
	v_cmp_gt_i32_e64 s2, s12, v97
	s_mov_b32 vcc_lo, s1
	v_cmp_gt_i32_e64 s1, s12, v72
	v_cndmask_b32_sdwa v58, v92, v58, vcc_lo dst_sel:DWORD dst_unused:UNUSED_PAD src0_sel:DWORD src1_sel:WORD_1
	v_cmp_gt_i32_e32 vcc_lo, s25, v73
	v_perm_b32 v57, v57, v23, 0x5040100
	v_perm_b32 v58, v58, v24, 0x5040100
	v_cndmask_b32_e32 v61, 0, v59, vcc_lo
	s_mov_b32 vcc_lo, s2
	v_cndmask_b32_sdwa v59, v92, v59, vcc_lo dst_sel:DWORD dst_unused:UNUSED_PAD src0_sel:DWORD src1_sel:WORD_1
	v_cmp_gt_i32_e32 vcc_lo, s25, v0
	v_perm_b32 v59, v59, v61, 0x5040100
	v_cndmask_b32_e32 v62, 0, v60, vcc_lo
	s_mov_b32 vcc_lo, s1
	v_cndmask_b32_sdwa v60, v92, v60, vcc_lo dst_sel:DWORD dst_unused:UNUSED_PAD src0_sel:DWORD src1_sel:WORD_1
	v_perm_b32 v60, v60, v62, 0x5040100
.LBB185_44:                             ;   in Loop: Header=BB185_29 Depth=1
	s_or_b32 exec_lo, exec_lo, s13
	v_add_co_u32 v21, vcc_lo, 0x1800, v21
	v_add_co_ci_u32_e64 v22, null, 0, v22, vcc_lo
	global_load_dwordx4 v[61:64], v[21:22], off
	s_and_saveexec_b32 s13, s0
	s_cbranch_execnz .LBB185_56
; %bb.45:                               ;   in Loop: Header=BB185_29 Depth=1
	s_or_b32 exec_lo, exec_lo, s13
	global_load_dwordx4 v[65:68], v[21:22], off offset:512
	s_and_saveexec_b32 s13, s0
	s_cbranch_execnz .LBB185_57
.LBB185_46:                             ;   in Loop: Header=BB185_29 Depth=1
	s_or_b32 exec_lo, exec_lo, s13
	global_load_dwordx4 v[21:24], v[21:22], off offset:1024
	s_and_saveexec_b32 s2, s0
	s_cbranch_execz .LBB185_28
	s_branch .LBB185_58
.LBB185_47:                             ;   in Loop: Header=BB185_29 Depth=1
	v_cmp_gt_i32_e64 s1, s25, v95
	v_cmp_gt_i32_e32 vcc_lo, s12, v100
	v_cmp_gt_i32_e64 s2, s25, v99
	s_waitcnt vmcnt(0)
	v_cndmask_b32_e64 v5, 0, v1, s1
	v_cmp_gt_i32_e64 s1, s12, v98
	v_cndmask_b32_sdwa v1, v92, v1, vcc_lo dst_sel:DWORD dst_unused:UNUSED_PAD src0_sel:DWORD src1_sel:WORD_1
	v_cndmask_b32_e64 v6, 0, v2, s2
	v_cmp_gt_i32_e64 s2, s12, v97
	s_mov_b32 vcc_lo, s1
	v_cmp_gt_i32_e64 s1, s12, v72
	v_cndmask_b32_sdwa v2, v92, v2, vcc_lo dst_sel:DWORD dst_unused:UNUSED_PAD src0_sel:DWORD src1_sel:WORD_1
	v_cmp_gt_i32_e32 vcc_lo, s25, v73
	v_perm_b32 v1, v1, v5, 0x5040100
	v_perm_b32 v2, v2, v6, 0x5040100
	v_cndmask_b32_e32 v7, 0, v3, vcc_lo
	s_mov_b32 vcc_lo, s2
	v_cndmask_b32_sdwa v3, v92, v3, vcc_lo dst_sel:DWORD dst_unused:UNUSED_PAD src0_sel:DWORD src1_sel:WORD_1
	v_cmp_gt_i32_e32 vcc_lo, s25, v0
	v_perm_b32 v3, v3, v7, 0x5040100
	v_cndmask_b32_e32 v8, 0, v4, vcc_lo
	s_mov_b32 vcc_lo, s1
	v_cndmask_b32_sdwa v4, v92, v4, vcc_lo dst_sel:DWORD dst_unused:UNUSED_PAD src0_sel:DWORD src1_sel:WORD_1
	v_perm_b32 v4, v4, v8, 0x5040100
	s_or_b32 exec_lo, exec_lo, s13
	global_load_dwordx4 v[5:8], v[21:22], off offset:512
	s_and_saveexec_b32 s13, s0
	s_cbranch_execz .LBB185_31
.LBB185_48:                             ;   in Loop: Header=BB185_29 Depth=1
	v_cmp_gt_i32_e64 s1, s25, v95
	v_cmp_gt_i32_e32 vcc_lo, s12, v100
	v_cmp_gt_i32_e64 s2, s25, v99
	s_waitcnt vmcnt(0)
	v_cndmask_b32_e64 v9, 0, v5, s1
	v_cmp_gt_i32_e64 s1, s12, v98
	v_cndmask_b32_sdwa v5, v92, v5, vcc_lo dst_sel:DWORD dst_unused:UNUSED_PAD src0_sel:DWORD src1_sel:WORD_1
	v_cndmask_b32_e64 v10, 0, v6, s2
	v_cmp_gt_i32_e64 s2, s12, v97
	s_mov_b32 vcc_lo, s1
	v_cmp_gt_i32_e64 s1, s12, v72
	v_cndmask_b32_sdwa v6, v92, v6, vcc_lo dst_sel:DWORD dst_unused:UNUSED_PAD src0_sel:DWORD src1_sel:WORD_1
	v_cmp_gt_i32_e32 vcc_lo, s25, v73
	v_perm_b32 v5, v5, v9, 0x5040100
	v_perm_b32 v6, v6, v10, 0x5040100
	v_cndmask_b32_e32 v11, 0, v7, vcc_lo
	s_mov_b32 vcc_lo, s2
	v_cndmask_b32_sdwa v7, v92, v7, vcc_lo dst_sel:DWORD dst_unused:UNUSED_PAD src0_sel:DWORD src1_sel:WORD_1
	v_cmp_gt_i32_e32 vcc_lo, s25, v0
	v_perm_b32 v7, v7, v11, 0x5040100
	v_cndmask_b32_e32 v12, 0, v8, vcc_lo
	s_mov_b32 vcc_lo, s1
	v_cndmask_b32_sdwa v8, v92, v8, vcc_lo dst_sel:DWORD dst_unused:UNUSED_PAD src0_sel:DWORD src1_sel:WORD_1
	v_perm_b32 v8, v8, v12, 0x5040100
	s_or_b32 exec_lo, exec_lo, s13
	global_load_dwordx4 v[9:12], v[21:22], off offset:1024
	s_and_saveexec_b32 s13, s0
	s_cbranch_execz .LBB185_32
.LBB185_49:                             ;   in Loop: Header=BB185_29 Depth=1
	v_cmp_gt_i32_e64 s1, s25, v95
	v_cmp_gt_i32_e32 vcc_lo, s12, v100
	v_cmp_gt_i32_e64 s2, s25, v99
	s_waitcnt vmcnt(0)
	v_cndmask_b32_e64 v13, 0, v9, s1
	v_cmp_gt_i32_e64 s1, s12, v98
	v_cndmask_b32_sdwa v9, v92, v9, vcc_lo dst_sel:DWORD dst_unused:UNUSED_PAD src0_sel:DWORD src1_sel:WORD_1
	v_cndmask_b32_e64 v14, 0, v10, s2
	v_cmp_gt_i32_e64 s2, s12, v97
	s_mov_b32 vcc_lo, s1
	v_cmp_gt_i32_e64 s1, s12, v72
	v_cndmask_b32_sdwa v10, v92, v10, vcc_lo dst_sel:DWORD dst_unused:UNUSED_PAD src0_sel:DWORD src1_sel:WORD_1
	v_cmp_gt_i32_e32 vcc_lo, s25, v73
	v_perm_b32 v9, v9, v13, 0x5040100
	v_perm_b32 v10, v10, v14, 0x5040100
	v_cndmask_b32_e32 v15, 0, v11, vcc_lo
	s_mov_b32 vcc_lo, s2
	v_cndmask_b32_sdwa v11, v92, v11, vcc_lo dst_sel:DWORD dst_unused:UNUSED_PAD src0_sel:DWORD src1_sel:WORD_1
	v_cmp_gt_i32_e32 vcc_lo, s25, v0
	v_perm_b32 v11, v11, v15, 0x5040100
	v_cndmask_b32_e32 v16, 0, v12, vcc_lo
	s_mov_b32 vcc_lo, s1
	v_cndmask_b32_sdwa v12, v92, v12, vcc_lo dst_sel:DWORD dst_unused:UNUSED_PAD src0_sel:DWORD src1_sel:WORD_1
	v_perm_b32 v12, v12, v16, 0x5040100
	s_or_b32 exec_lo, exec_lo, s13
	global_load_dwordx4 v[13:16], v[21:22], off offset:1536
	s_and_saveexec_b32 s13, s0
	s_cbranch_execnz .LBB185_33
	s_branch .LBB185_34
.LBB185_50:                             ;   in Loop: Header=BB185_29 Depth=1
	v_cmp_gt_i32_e64 s1, s25, v95
	v_cmp_gt_i32_e32 vcc_lo, s12, v100
	v_cmp_gt_i32_e64 s2, s25, v99
	s_waitcnt vmcnt(0)
	v_cndmask_b32_e64 v25, 0, v17, s1
	v_cmp_gt_i32_e64 s1, s12, v98
	v_cndmask_b32_sdwa v17, v92, v17, vcc_lo dst_sel:DWORD dst_unused:UNUSED_PAD src0_sel:DWORD src1_sel:WORD_1
	v_cndmask_b32_e64 v26, 0, v18, s2
	v_cmp_gt_i32_e64 s2, s12, v97
	s_mov_b32 vcc_lo, s1
	v_cmp_gt_i32_e64 s1, s12, v72
	v_cndmask_b32_sdwa v18, v92, v18, vcc_lo dst_sel:DWORD dst_unused:UNUSED_PAD src0_sel:DWORD src1_sel:WORD_1
	v_cmp_gt_i32_e32 vcc_lo, s25, v73
	v_perm_b32 v17, v17, v25, 0x5040100
	v_perm_b32 v18, v18, v26, 0x5040100
	v_cndmask_b32_e32 v27, 0, v19, vcc_lo
	s_mov_b32 vcc_lo, s2
	v_cndmask_b32_sdwa v19, v92, v19, vcc_lo dst_sel:DWORD dst_unused:UNUSED_PAD src0_sel:DWORD src1_sel:WORD_1
	v_cmp_gt_i32_e32 vcc_lo, s25, v0
	v_perm_b32 v19, v19, v27, 0x5040100
	v_cndmask_b32_e32 v28, 0, v20, vcc_lo
	s_mov_b32 vcc_lo, s1
	v_cndmask_b32_sdwa v20, v92, v20, vcc_lo dst_sel:DWORD dst_unused:UNUSED_PAD src0_sel:DWORD src1_sel:WORD_1
	v_perm_b32 v20, v20, v28, 0x5040100
	s_or_b32 exec_lo, exec_lo, s13
	global_load_dwordx4 v[25:28], v[23:24], off offset:512
	s_and_saveexec_b32 s13, s0
	s_cbranch_execz .LBB185_36
.LBB185_51:                             ;   in Loop: Header=BB185_29 Depth=1
	v_cmp_gt_i32_e64 s1, s25, v95
	v_cmp_gt_i32_e32 vcc_lo, s12, v100
	v_cmp_gt_i32_e64 s2, s25, v99
	s_waitcnt vmcnt(0)
	v_cndmask_b32_e64 v29, 0, v25, s1
	v_cmp_gt_i32_e64 s1, s12, v98
	v_cndmask_b32_sdwa v25, v92, v25, vcc_lo dst_sel:DWORD dst_unused:UNUSED_PAD src0_sel:DWORD src1_sel:WORD_1
	v_cndmask_b32_e64 v30, 0, v26, s2
	v_cmp_gt_i32_e64 s2, s12, v97
	s_mov_b32 vcc_lo, s1
	v_cmp_gt_i32_e64 s1, s12, v72
	v_cndmask_b32_sdwa v26, v92, v26, vcc_lo dst_sel:DWORD dst_unused:UNUSED_PAD src0_sel:DWORD src1_sel:WORD_1
	v_cmp_gt_i32_e32 vcc_lo, s25, v73
	v_perm_b32 v25, v25, v29, 0x5040100
	v_perm_b32 v26, v26, v30, 0x5040100
	v_cndmask_b32_e32 v31, 0, v27, vcc_lo
	s_mov_b32 vcc_lo, s2
	v_cndmask_b32_sdwa v27, v92, v27, vcc_lo dst_sel:DWORD dst_unused:UNUSED_PAD src0_sel:DWORD src1_sel:WORD_1
	v_cmp_gt_i32_e32 vcc_lo, s25, v0
	v_perm_b32 v27, v27, v31, 0x5040100
	v_cndmask_b32_e32 v32, 0, v28, vcc_lo
	s_mov_b32 vcc_lo, s1
	v_cndmask_b32_sdwa v28, v92, v28, vcc_lo dst_sel:DWORD dst_unused:UNUSED_PAD src0_sel:DWORD src1_sel:WORD_1
	v_perm_b32 v28, v28, v32, 0x5040100
	s_or_b32 exec_lo, exec_lo, s13
	global_load_dwordx4 v[29:32], v[23:24], off offset:1024
	s_and_saveexec_b32 s13, s0
	s_cbranch_execz .LBB185_37
.LBB185_52:                             ;   in Loop: Header=BB185_29 Depth=1
	v_cmp_gt_i32_e64 s1, s25, v95
	v_cmp_gt_i32_e32 vcc_lo, s12, v100
	v_cmp_gt_i32_e64 s2, s25, v99
	s_waitcnt vmcnt(0)
	v_cndmask_b32_e64 v33, 0, v29, s1
	v_cmp_gt_i32_e64 s1, s12, v98
	v_cndmask_b32_sdwa v29, v92, v29, vcc_lo dst_sel:DWORD dst_unused:UNUSED_PAD src0_sel:DWORD src1_sel:WORD_1
	v_cndmask_b32_e64 v34, 0, v30, s2
	v_cmp_gt_i32_e64 s2, s12, v97
	s_mov_b32 vcc_lo, s1
	v_cmp_gt_i32_e64 s1, s12, v72
	v_cndmask_b32_sdwa v30, v92, v30, vcc_lo dst_sel:DWORD dst_unused:UNUSED_PAD src0_sel:DWORD src1_sel:WORD_1
	v_cmp_gt_i32_e32 vcc_lo, s25, v73
	v_perm_b32 v29, v29, v33, 0x5040100
	v_perm_b32 v30, v30, v34, 0x5040100
	v_cndmask_b32_e32 v35, 0, v31, vcc_lo
	s_mov_b32 vcc_lo, s2
	v_cndmask_b32_sdwa v31, v92, v31, vcc_lo dst_sel:DWORD dst_unused:UNUSED_PAD src0_sel:DWORD src1_sel:WORD_1
	v_cmp_gt_i32_e32 vcc_lo, s25, v0
	v_perm_b32 v31, v31, v35, 0x5040100
	v_cndmask_b32_e32 v36, 0, v32, vcc_lo
	s_mov_b32 vcc_lo, s1
	v_cndmask_b32_sdwa v32, v92, v32, vcc_lo dst_sel:DWORD dst_unused:UNUSED_PAD src0_sel:DWORD src1_sel:WORD_1
	v_perm_b32 v32, v32, v36, 0x5040100
	s_or_b32 exec_lo, exec_lo, s13
	global_load_dwordx4 v[33:36], v[23:24], off offset:1536
	s_and_saveexec_b32 s13, s0
	s_cbranch_execnz .LBB185_38
	s_branch .LBB185_39
.LBB185_53:                             ;   in Loop: Header=BB185_29 Depth=1
	v_cmp_gt_i32_e64 s1, s25, v95
	v_cmp_gt_i32_e32 vcc_lo, s12, v100
	v_cmp_gt_i32_e64 s2, s25, v99
	s_waitcnt vmcnt(0)
	v_cndmask_b32_e64 v45, 0, v37, s1
	v_cmp_gt_i32_e64 s1, s12, v98
	v_cndmask_b32_sdwa v37, v92, v37, vcc_lo dst_sel:DWORD dst_unused:UNUSED_PAD src0_sel:DWORD src1_sel:WORD_1
	v_cndmask_b32_e64 v46, 0, v38, s2
	v_cmp_gt_i32_e64 s2, s12, v97
	s_mov_b32 vcc_lo, s1
	v_cmp_gt_i32_e64 s1, s12, v72
	v_cndmask_b32_sdwa v38, v92, v38, vcc_lo dst_sel:DWORD dst_unused:UNUSED_PAD src0_sel:DWORD src1_sel:WORD_1
	v_cmp_gt_i32_e32 vcc_lo, s25, v73
	v_perm_b32 v37, v37, v45, 0x5040100
	v_perm_b32 v38, v38, v46, 0x5040100
	v_cndmask_b32_e32 v47, 0, v39, vcc_lo
	s_mov_b32 vcc_lo, s2
	v_cndmask_b32_sdwa v39, v92, v39, vcc_lo dst_sel:DWORD dst_unused:UNUSED_PAD src0_sel:DWORD src1_sel:WORD_1
	v_cmp_gt_i32_e32 vcc_lo, s25, v0
	v_perm_b32 v39, v39, v47, 0x5040100
	v_cndmask_b32_e32 v48, 0, v40, vcc_lo
	s_mov_b32 vcc_lo, s1
	v_cndmask_b32_sdwa v40, v92, v40, vcc_lo dst_sel:DWORD dst_unused:UNUSED_PAD src0_sel:DWORD src1_sel:WORD_1
	v_perm_b32 v40, v40, v48, 0x5040100
	s_or_b32 exec_lo, exec_lo, s13
	global_load_dwordx4 v[45:48], v[23:24], off offset:512
	s_and_saveexec_b32 s13, s0
	s_cbranch_execz .LBB185_41
.LBB185_54:                             ;   in Loop: Header=BB185_29 Depth=1
	v_cmp_gt_i32_e64 s1, s25, v95
	v_cmp_gt_i32_e32 vcc_lo, s12, v100
	v_cmp_gt_i32_e64 s2, s25, v99
	s_waitcnt vmcnt(0)
	v_cndmask_b32_e64 v53, 0, v45, s1
	v_cmp_gt_i32_e64 s1, s12, v98
	v_cndmask_b32_sdwa v45, v92, v45, vcc_lo dst_sel:DWORD dst_unused:UNUSED_PAD src0_sel:DWORD src1_sel:WORD_1
	v_cndmask_b32_e64 v54, 0, v46, s2
	v_cmp_gt_i32_e64 s2, s12, v97
	s_mov_b32 vcc_lo, s1
	v_cmp_gt_i32_e64 s1, s12, v72
	v_cndmask_b32_sdwa v46, v92, v46, vcc_lo dst_sel:DWORD dst_unused:UNUSED_PAD src0_sel:DWORD src1_sel:WORD_1
	v_cmp_gt_i32_e32 vcc_lo, s25, v73
	v_perm_b32 v45, v45, v53, 0x5040100
	v_perm_b32 v46, v46, v54, 0x5040100
	v_cndmask_b32_e32 v55, 0, v47, vcc_lo
	s_mov_b32 vcc_lo, s2
	v_cndmask_b32_sdwa v47, v92, v47, vcc_lo dst_sel:DWORD dst_unused:UNUSED_PAD src0_sel:DWORD src1_sel:WORD_1
	v_cmp_gt_i32_e32 vcc_lo, s25, v0
	v_perm_b32 v47, v47, v55, 0x5040100
	v_cndmask_b32_e32 v56, 0, v48, vcc_lo
	s_mov_b32 vcc_lo, s1
	v_cndmask_b32_sdwa v48, v92, v48, vcc_lo dst_sel:DWORD dst_unused:UNUSED_PAD src0_sel:DWORD src1_sel:WORD_1
	v_perm_b32 v48, v48, v56, 0x5040100
	s_or_b32 exec_lo, exec_lo, s13
	global_load_dwordx4 v[53:56], v[23:24], off offset:1024
	s_and_saveexec_b32 s13, s0
	s_cbranch_execz .LBB185_42
.LBB185_55:                             ;   in Loop: Header=BB185_29 Depth=1
	v_cmp_gt_i32_e64 s1, s25, v95
	v_cmp_gt_i32_e32 vcc_lo, s12, v100
	v_cmp_gt_i32_e64 s2, s25, v99
	s_waitcnt vmcnt(0)
	v_cndmask_b32_e64 v57, 0, v53, s1
	v_cmp_gt_i32_e64 s1, s12, v98
	v_cndmask_b32_sdwa v53, v92, v53, vcc_lo dst_sel:DWORD dst_unused:UNUSED_PAD src0_sel:DWORD src1_sel:WORD_1
	v_cndmask_b32_e64 v58, 0, v54, s2
	v_cmp_gt_i32_e64 s2, s12, v97
	s_mov_b32 vcc_lo, s1
	v_cmp_gt_i32_e64 s1, s12, v72
	v_cndmask_b32_sdwa v54, v92, v54, vcc_lo dst_sel:DWORD dst_unused:UNUSED_PAD src0_sel:DWORD src1_sel:WORD_1
	v_cmp_gt_i32_e32 vcc_lo, s25, v73
	v_perm_b32 v53, v53, v57, 0x5040100
	v_perm_b32 v54, v54, v58, 0x5040100
	v_cndmask_b32_e32 v59, 0, v55, vcc_lo
	s_mov_b32 vcc_lo, s2
	v_cndmask_b32_sdwa v55, v92, v55, vcc_lo dst_sel:DWORD dst_unused:UNUSED_PAD src0_sel:DWORD src1_sel:WORD_1
	v_cmp_gt_i32_e32 vcc_lo, s25, v0
	v_perm_b32 v55, v55, v59, 0x5040100
	v_cndmask_b32_e32 v60, 0, v56, vcc_lo
	s_mov_b32 vcc_lo, s1
	v_cndmask_b32_sdwa v56, v92, v56, vcc_lo dst_sel:DWORD dst_unused:UNUSED_PAD src0_sel:DWORD src1_sel:WORD_1
	v_perm_b32 v56, v56, v60, 0x5040100
	s_or_b32 exec_lo, exec_lo, s13
	global_load_dwordx4 v[57:60], v[23:24], off offset:1536
	s_and_saveexec_b32 s13, s0
	s_cbranch_execnz .LBB185_43
	s_branch .LBB185_44
.LBB185_56:                             ;   in Loop: Header=BB185_29 Depth=1
	v_cmp_gt_i32_e64 s1, s25, v95
	v_cmp_gt_i32_e32 vcc_lo, s12, v100
	v_cmp_gt_i32_e64 s2, s25, v99
	s_waitcnt vmcnt(0)
	v_cndmask_b32_e64 v23, 0, v61, s1
	v_cmp_gt_i32_e64 s1, s12, v98
	v_cndmask_b32_sdwa v61, v92, v61, vcc_lo dst_sel:DWORD dst_unused:UNUSED_PAD src0_sel:DWORD src1_sel:WORD_1
	v_cndmask_b32_e64 v24, 0, v62, s2
	v_cmp_gt_i32_e64 s2, s12, v97
	s_mov_b32 vcc_lo, s1
	v_cmp_gt_i32_e64 s1, s12, v72
	v_cndmask_b32_sdwa v62, v92, v62, vcc_lo dst_sel:DWORD dst_unused:UNUSED_PAD src0_sel:DWORD src1_sel:WORD_1
	v_cmp_gt_i32_e32 vcc_lo, s25, v73
	v_perm_b32 v61, v61, v23, 0x5040100
	v_perm_b32 v62, v62, v24, 0x5040100
	v_cndmask_b32_e32 v65, 0, v63, vcc_lo
	s_mov_b32 vcc_lo, s2
	v_cndmask_b32_sdwa v63, v92, v63, vcc_lo dst_sel:DWORD dst_unused:UNUSED_PAD src0_sel:DWORD src1_sel:WORD_1
	v_cmp_gt_i32_e32 vcc_lo, s25, v0
	v_perm_b32 v63, v63, v65, 0x5040100
	v_cndmask_b32_e32 v66, 0, v64, vcc_lo
	s_mov_b32 vcc_lo, s1
	v_cndmask_b32_sdwa v64, v92, v64, vcc_lo dst_sel:DWORD dst_unused:UNUSED_PAD src0_sel:DWORD src1_sel:WORD_1
	v_perm_b32 v64, v64, v66, 0x5040100
	s_or_b32 exec_lo, exec_lo, s13
	global_load_dwordx4 v[65:68], v[21:22], off offset:512
	s_and_saveexec_b32 s13, s0
	s_cbranch_execz .LBB185_46
.LBB185_57:                             ;   in Loop: Header=BB185_29 Depth=1
	v_cmp_gt_i32_e64 s1, s25, v95
	v_cmp_gt_i32_e32 vcc_lo, s12, v100
	v_cmp_gt_i32_e64 s2, s25, v99
	s_waitcnt vmcnt(0)
	v_cndmask_b32_e64 v23, 0, v65, s1
	v_cmp_gt_i32_e64 s1, s12, v98
	v_cndmask_b32_sdwa v65, v92, v65, vcc_lo dst_sel:DWORD dst_unused:UNUSED_PAD src0_sel:DWORD src1_sel:WORD_1
	v_cndmask_b32_e64 v24, 0, v66, s2
	v_cmp_gt_i32_e64 s2, s12, v97
	s_mov_b32 vcc_lo, s1
	v_cmp_gt_i32_e64 s1, s12, v72
	v_cndmask_b32_sdwa v66, v92, v66, vcc_lo dst_sel:DWORD dst_unused:UNUSED_PAD src0_sel:DWORD src1_sel:WORD_1
	v_cmp_gt_i32_e32 vcc_lo, s25, v73
	v_perm_b32 v65, v65, v23, 0x5040100
	v_perm_b32 v66, v66, v24, 0x5040100
	v_cndmask_b32_e32 v101, 0, v67, vcc_lo
	s_mov_b32 vcc_lo, s2
	v_cndmask_b32_sdwa v67, v92, v67, vcc_lo dst_sel:DWORD dst_unused:UNUSED_PAD src0_sel:DWORD src1_sel:WORD_1
	v_cmp_gt_i32_e32 vcc_lo, s25, v0
	v_perm_b32 v67, v67, v101, 0x5040100
	v_cndmask_b32_e32 v102, 0, v68, vcc_lo
	s_mov_b32 vcc_lo, s1
	v_cndmask_b32_sdwa v68, v92, v68, vcc_lo dst_sel:DWORD dst_unused:UNUSED_PAD src0_sel:DWORD src1_sel:WORD_1
	v_perm_b32 v68, v68, v102, 0x5040100
	s_or_b32 exec_lo, exec_lo, s13
	global_load_dwordx4 v[21:24], v[21:22], off offset:1024
	s_and_saveexec_b32 s2, s0
	s_cbranch_execz .LBB185_28
.LBB185_58:                             ;   in Loop: Header=BB185_29 Depth=1
	v_cmp_gt_i32_e64 s0, s25, v95
	v_cmp_gt_i32_e32 vcc_lo, s12, v100
	v_cmp_gt_i32_e64 s1, s25, v99
	s_waitcnt vmcnt(0)
	v_cndmask_b32_e64 v100, 0, v21, s0
	v_cmp_gt_i32_e64 s0, s12, v98
	v_cndmask_b32_sdwa v21, v92, v21, vcc_lo dst_sel:DWORD dst_unused:UNUSED_PAD src0_sel:DWORD src1_sel:WORD_1
	v_cndmask_b32_e64 v98, 0, v22, s1
	v_cmp_gt_i32_e64 s1, s12, v97
	s_mov_b32 vcc_lo, s0
	v_cmp_gt_i32_e64 s0, s12, v72
	v_cndmask_b32_sdwa v22, v92, v22, vcc_lo dst_sel:DWORD dst_unused:UNUSED_PAD src0_sel:DWORD src1_sel:WORD_1
	v_cmp_gt_i32_e32 vcc_lo, s25, v73
	v_perm_b32 v21, v21, v100, 0x5040100
	v_perm_b32 v22, v22, v98, 0x5040100
	v_cndmask_b32_e32 v73, 0, v23, vcc_lo
	s_mov_b32 vcc_lo, s1
	v_cndmask_b32_sdwa v23, v92, v23, vcc_lo dst_sel:DWORD dst_unused:UNUSED_PAD src0_sel:DWORD src1_sel:WORD_1
	v_cmp_gt_i32_e32 vcc_lo, s25, v0
	v_perm_b32 v23, v23, v73, 0x5040100
	v_cndmask_b32_e32 v0, 0, v24, vcc_lo
	s_mov_b32 vcc_lo, s0
	v_cndmask_b32_sdwa v24, v92, v24, vcc_lo dst_sel:DWORD dst_unused:UNUSED_PAD src0_sel:DWORD src1_sel:WORD_1
	v_perm_b32 v24, v24, v0, 0x5040100
	s_branch .LBB185_28
.LBB185_59:
	s_or_b32 exec_lo, exec_lo, s9
.LBB185_60:
	s_or_b32 exec_lo, exec_lo, s3
	ds_bpermute_b32 v1, v75, v91
	ds_bpermute_b32 v0, v75, v89
	;; [unrolled: 1-line block ×15, first 2 shown]
	s_mov_b32 s0, exec_lo
	s_waitcnt lgkmcnt(0)
	s_waitcnt_vscnt null, 0x0
	s_barrier
	buffer_gl0_inv
	v_add_f32_e32 v1, v91, v1
	v_add_f32_e32 v0, v89, v0
	;; [unrolled: 1-line block ×7, first 2 shown]
	ds_bpermute_b32 v16, v74, v1
	v_add_f32_e32 v7, v84, v7
	v_add_f32_e32 v21, v83, v8
	v_add_f32_e32 v22, v82, v9
	v_add_f32_e32 v24, v81, v10
	v_add_f32_e32 v26, v80, v11
	v_add_f32_e32 v28, v79, v12
	v_add_f32_e32 v30, v78, v13
	v_add_f32_e32 v32, v77, v14
	ds_bpermute_b32 v15, v74, v0
	ds_bpermute_b32 v17, v74, v2
	;; [unrolled: 1-line block ×14, first 2 shown]
	s_waitcnt lgkmcnt(14)
	v_add_f32_e32 v13, v1, v16
	v_and_b32_e32 v16, 28, v106
	s_waitcnt lgkmcnt(13)
	v_add_f32_e32 v14, v0, v15
	s_waitcnt lgkmcnt(12)
	v_add_f32_e32 v12, v2, v17
	;; [unrolled: 2-line block ×13, first 2 shown]
	v_and_b32_e32 v18, 0x3c3, v104
	s_waitcnt lgkmcnt(0)
	v_add_f32_e32 v2, v32, v35
	v_lshrrev_b32_e32 v15, 2, v106
	v_add_nc_u32_e32 v16, 0x110, v16
	v_mul_u32_u24_e32 v17, 0x1e0, v105
	v_cmpx_eq_u32_e32 64, v18
	s_cbranch_execz .LBB185_62
; %bb.61:
	v_add_nc_u32_e32 v18, v16, v17
	v_add_nc_u32_e32 v19, 0xfffffc40, v18
	;; [unrolled: 1-line block ×6, first 2 shown]
	ds_write_b32 v19, v14
	ds_write_b32 v20, v13
	;; [unrolled: 1-line block ×5, first 2 shown]
	v_add_nc_u32_e32 v19, 0xfffffce0, v18
	v_add_nc_u32_e32 v20, 0xfffffd00, v18
	;; [unrolled: 1-line block ×5, first 2 shown]
	ds_write_b32 v19, v9
	ds_write_b32 v20, v8
	;; [unrolled: 1-line block ×5, first 2 shown]
	v_add_nc_u32_e32 v19, 0xfffffd80, v18
	v_add_nc_u32_e32 v20, 0xfffffda0, v18
	;; [unrolled: 1-line block ×5, first 2 shown]
	ds_write_b32 v19, v4
	ds_write_b32 v20, v3
	;; [unrolled: 1-line block ×5, first 2 shown]
.LBB185_62:
	s_or_b32 exec_lo, exec_lo, s0
	v_lshlrev_b32_e32 v15, 2, v15
	s_mov_b32 s1, exec_lo
	v_cmp_eq_u32_e32 vcc_lo, 0, v76
	s_waitcnt lgkmcnt(0)
	s_barrier
	v_add3_u32 v15, 0x110, v17, v15
	buffer_gl0_inv
	v_cmpx_gt_u32_e32 64, v104
	s_cbranch_execz .LBB185_80
; %bb.63:
	s_and_saveexec_b32 s0, vcc_lo
	s_cbranch_execnz .LBB185_103
; %bb.64:
	s_or_b32 exec_lo, exec_lo, s0
	s_and_saveexec_b32 s0, vcc_lo
	s_cbranch_execnz .LBB185_104
.LBB185_65:
	s_or_b32 exec_lo, exec_lo, s0
	s_and_saveexec_b32 s0, vcc_lo
	s_cbranch_execnz .LBB185_105
.LBB185_66:
	s_or_b32 exec_lo, exec_lo, s0
	s_and_saveexec_b32 s0, vcc_lo
	s_cbranch_execnz .LBB185_106
.LBB185_67:
	s_or_b32 exec_lo, exec_lo, s0
	s_and_saveexec_b32 s0, vcc_lo
	s_cbranch_execnz .LBB185_107
.LBB185_68:
	s_or_b32 exec_lo, exec_lo, s0
	s_and_saveexec_b32 s0, vcc_lo
	s_cbranch_execnz .LBB185_108
.LBB185_69:
	s_or_b32 exec_lo, exec_lo, s0
	s_and_saveexec_b32 s0, vcc_lo
	s_cbranch_execnz .LBB185_109
.LBB185_70:
	s_or_b32 exec_lo, exec_lo, s0
	s_and_saveexec_b32 s0, vcc_lo
	s_cbranch_execnz .LBB185_110
.LBB185_71:
	s_or_b32 exec_lo, exec_lo, s0
	s_and_saveexec_b32 s0, vcc_lo
	s_cbranch_execnz .LBB185_111
.LBB185_72:
	s_or_b32 exec_lo, exec_lo, s0
	s_and_saveexec_b32 s0, vcc_lo
	s_cbranch_execnz .LBB185_112
.LBB185_73:
	s_or_b32 exec_lo, exec_lo, s0
	s_and_saveexec_b32 s0, vcc_lo
	s_cbranch_execnz .LBB185_113
.LBB185_74:
	s_or_b32 exec_lo, exec_lo, s0
	s_and_saveexec_b32 s0, vcc_lo
	s_cbranch_execnz .LBB185_114
.LBB185_75:
	s_or_b32 exec_lo, exec_lo, s0
	s_and_saveexec_b32 s0, vcc_lo
	s_cbranch_execnz .LBB185_115
.LBB185_76:
	s_or_b32 exec_lo, exec_lo, s0
	s_and_saveexec_b32 s0, vcc_lo
	s_cbranch_execnz .LBB185_116
.LBB185_77:
	s_or_b32 exec_lo, exec_lo, s0
	s_and_saveexec_b32 s0, vcc_lo
	s_cbranch_execz .LBB185_79
.LBB185_78:
	ds_read_b32 v17, v15 offset:448
	s_waitcnt lgkmcnt(0)
	v_add_f32_e32 v2, v2, v17
.LBB185_79:
	s_or_b32 exec_lo, exec_lo, s0
.LBB185_80:
	s_or_b32 exec_lo, exec_lo, s1
	v_and_b32_e32 v17, 0x3e3, v104
	s_mov_b32 s1, exec_lo
	s_barrier
	buffer_gl0_inv
	v_cmpx_eq_u32_e32 32, v17
	s_cbranch_execz .LBB185_82
; %bb.81:
	ds_write2_b32 v16, v14, v13 offset1:8
	ds_write2_b32 v16, v12, v11 offset0:16 offset1:24
	ds_write2_b32 v16, v10, v9 offset0:32 offset1:40
	;; [unrolled: 1-line block ×6, first 2 shown]
	ds_write_b32 v16, v2 offset:448
.LBB185_82:
	s_or_b32 exec_lo, exec_lo, s1
	s_mov_b32 s1, exec_lo
	s_waitcnt lgkmcnt(0)
	s_barrier
	buffer_gl0_inv
	v_cmpx_gt_u32_e32 32, v104
	s_cbranch_execz .LBB185_100
; %bb.83:
	s_and_saveexec_b32 s0, vcc_lo
	s_cbranch_execnz .LBB185_117
; %bb.84:
	s_or_b32 exec_lo, exec_lo, s0
	s_and_saveexec_b32 s0, vcc_lo
	s_cbranch_execnz .LBB185_118
.LBB185_85:
	s_or_b32 exec_lo, exec_lo, s0
	s_and_saveexec_b32 s0, vcc_lo
	s_cbranch_execnz .LBB185_119
.LBB185_86:
	s_or_b32 exec_lo, exec_lo, s0
	s_and_saveexec_b32 s0, vcc_lo
	s_cbranch_execnz .LBB185_120
.LBB185_87:
	s_or_b32 exec_lo, exec_lo, s0
	s_and_saveexec_b32 s0, vcc_lo
	s_cbranch_execnz .LBB185_121
.LBB185_88:
	s_or_b32 exec_lo, exec_lo, s0
	s_and_saveexec_b32 s0, vcc_lo
	s_cbranch_execnz .LBB185_122
.LBB185_89:
	s_or_b32 exec_lo, exec_lo, s0
	s_and_saveexec_b32 s0, vcc_lo
	s_cbranch_execnz .LBB185_123
.LBB185_90:
	s_or_b32 exec_lo, exec_lo, s0
	s_and_saveexec_b32 s0, vcc_lo
	s_cbranch_execnz .LBB185_124
.LBB185_91:
	s_or_b32 exec_lo, exec_lo, s0
	s_and_saveexec_b32 s0, vcc_lo
	s_cbranch_execnz .LBB185_125
.LBB185_92:
	s_or_b32 exec_lo, exec_lo, s0
	s_and_saveexec_b32 s0, vcc_lo
	s_cbranch_execnz .LBB185_126
.LBB185_93:
	s_or_b32 exec_lo, exec_lo, s0
	s_and_saveexec_b32 s0, vcc_lo
	s_cbranch_execnz .LBB185_127
.LBB185_94:
	s_or_b32 exec_lo, exec_lo, s0
	s_and_saveexec_b32 s0, vcc_lo
	s_cbranch_execnz .LBB185_128
.LBB185_95:
	s_or_b32 exec_lo, exec_lo, s0
	s_and_saveexec_b32 s0, vcc_lo
	s_cbranch_execnz .LBB185_129
.LBB185_96:
	s_or_b32 exec_lo, exec_lo, s0
	s_and_saveexec_b32 s0, vcc_lo
	s_cbranch_execnz .LBB185_130
.LBB185_97:
	s_or_b32 exec_lo, exec_lo, s0
	s_and_saveexec_b32 s0, vcc_lo
	s_cbranch_execz .LBB185_99
.LBB185_98:
	ds_read_b32 v15, v15 offset:448
	s_waitcnt lgkmcnt(0)
	v_add_f32_e32 v2, v2, v15
.LBB185_99:
	s_or_b32 exec_lo, exec_lo, s0
.LBB185_100:
	s_or_b32 exec_lo, exec_lo, s1
	s_barrier
	buffer_gl0_inv
	s_mov_b32 s0, exec_lo
	v_cmpx_eq_u32_e32 0, v17
	s_cbranch_execz .LBB185_102
; %bb.101:
	s_mul_i32 s0, s4, 0x78
	v_bfe_u32 v15, v14, 16, 1
	s_ashr_i32 s1, s0, 31
	s_mul_i32 s2, s7, s10
	s_lshl_b64 s[0:1], s[0:1], 1
	v_bfe_u32 v16, v13, 16, 1
	s_add_u32 s4, s20, s0
	s_addc_u32 s1, s21, s1
	s_ashr_i32 s3, s2, 31
	v_add3_u32 v15, v15, v14, 0x7fff
	s_lshl_b64 s[2:3], s[2:3], 1
	v_or_b32_e32 v17, 0x400000, v14
	v_cmp_u_f32_e32 vcc_lo, v14, v14
	s_mul_i32 s0, s8, 0x78
	s_add_u32 s2, s4, s2
	s_addc_u32 s3, s1, s3
	s_ashr_i32 s1, s0, 31
	v_lshrrev_b32_e32 v18, 1, v104
	s_lshl_b64 s[0:1], s[0:1], 1
	v_add3_u32 v16, v16, v13, 0x7fff
	v_or_b32_e32 v19, 0x400000, v13
	v_cndmask_b32_e32 v14, v15, v17, vcc_lo
	v_bfe_u32 v15, v12, 16, 1
	v_cmp_u_f32_e32 vcc_lo, v13, v13
	s_add_u32 s0, s2, s0
	s_addc_u32 s1, s3, s1
	global_store_short_d16_hi v18, v14, s[0:1]
	v_cndmask_b32_e32 v13, v16, v19, vcc_lo
	v_bfe_u32 v16, v11, 16, 1
	v_add3_u32 v14, v15, v12, 0x7fff
	v_or_b32_e32 v15, 0x400000, v12
	v_cmp_u_f32_e32 vcc_lo, v12, v12
	global_store_short_d16_hi v18, v13, s[0:1] offset:16
	v_add3_u32 v13, v16, v11, 0x7fff
	v_or_b32_e32 v16, 0x400000, v11
	v_cndmask_b32_e32 v12, v14, v15, vcc_lo
	v_bfe_u32 v14, v10, 16, 1
	v_cmp_u_f32_e32 vcc_lo, v11, v11
	global_store_short_d16_hi v18, v12, s[0:1] offset:32
	v_add3_u32 v12, v14, v10, 0x7fff
	v_cndmask_b32_e32 v11, v13, v16, vcc_lo
	v_bfe_u32 v13, v9, 16, 1
	v_or_b32_e32 v14, 0x400000, v10
	v_cmp_u_f32_e32 vcc_lo, v10, v10
	global_store_short_d16_hi v18, v11, s[0:1] offset:48
	v_add3_u32 v11, v13, v9, 0x7fff
	v_or_b32_e32 v13, 0x400000, v9
	v_cndmask_b32_e32 v10, v12, v14, vcc_lo
	v_bfe_u32 v12, v8, 16, 1
	v_cmp_u_f32_e32 vcc_lo, v9, v9
	global_store_short_d16_hi v18, v10, s[0:1] offset:64
	v_add3_u32 v10, v12, v8, 0x7fff
	v_cndmask_b32_e32 v9, v11, v13, vcc_lo
	v_bfe_u32 v11, v7, 16, 1
	;; [unrolled: 12-line block ×3, first 2 shown]
	v_or_b32_e32 v10, 0x400000, v6
	v_cmp_u_f32_e32 vcc_lo, v6, v6
	global_store_short_d16_hi v18, v7, s[0:1] offset:112
	v_add3_u32 v7, v9, v5, 0x7fff
	v_or_b32_e32 v9, 0x400000, v5
	v_cndmask_b32_e32 v6, v8, v10, vcc_lo
	v_bfe_u32 v8, v4, 16, 1
	v_cmp_u_f32_e32 vcc_lo, v5, v5
	v_or_b32_e32 v10, 0x400000, v2
	global_store_short_d16_hi v18, v6, s[0:1] offset:128
	v_add3_u32 v6, v8, v4, 0x7fff
	v_cndmask_b32_e32 v5, v7, v9, vcc_lo
	v_bfe_u32 v7, v3, 16, 1
	v_or_b32_e32 v8, 0x400000, v4
	v_cmp_u_f32_e32 vcc_lo, v4, v4
	v_or_b32_e32 v9, 0x400000, v1
	global_store_short_d16_hi v18, v5, s[0:1] offset:144
	v_add3_u32 v5, v7, v3, 0x7fff
	v_or_b32_e32 v7, 0x400000, v3
	v_cndmask_b32_e32 v4, v6, v8, vcc_lo
	v_bfe_u32 v6, v0, 16, 1
	v_cmp_u_f32_e32 vcc_lo, v3, v3
	v_bfe_u32 v8, v1, 16, 1
	v_add3_u32 v6, v6, v0, 0x7fff
	v_cndmask_b32_e32 v3, v5, v7, vcc_lo
	v_or_b32_e32 v7, 0x400000, v0
	v_cmp_u_f32_e32 vcc_lo, v0, v0
	v_bfe_u32 v5, v2, 16, 1
	v_add3_u32 v8, v8, v1, 0x7fff
	v_cndmask_b32_e32 v0, v6, v7, vcc_lo
	v_cmp_u_f32_e32 vcc_lo, v1, v1
	v_add3_u32 v5, v5, v2, 0x7fff
	v_cndmask_b32_e32 v1, v8, v9, vcc_lo
	v_cmp_u_f32_e32 vcc_lo, v2, v2
	v_cndmask_b32_e32 v2, v5, v10, vcc_lo
	global_store_short_d16_hi v18, v4, s[0:1] offset:160
	global_store_short_d16_hi v18, v3, s[0:1] offset:176
	;; [unrolled: 1-line block ×5, first 2 shown]
.LBB185_102:
	s_endpgm
.LBB185_103:
	ds_read_b32 v17, v15
	s_waitcnt lgkmcnt(0)
	v_add_f32_e32 v14, v14, v17
	s_or_b32 exec_lo, exec_lo, s0
	s_and_saveexec_b32 s0, vcc_lo
	s_cbranch_execz .LBB185_65
.LBB185_104:
	ds_read_b32 v17, v15 offset:32
	s_waitcnt lgkmcnt(0)
	v_add_f32_e32 v13, v13, v17
	s_or_b32 exec_lo, exec_lo, s0
	s_and_saveexec_b32 s0, vcc_lo
	s_cbranch_execz .LBB185_66
.LBB185_105:
	ds_read_b32 v17, v15 offset:64
	s_waitcnt lgkmcnt(0)
	v_add_f32_e32 v12, v12, v17
	s_or_b32 exec_lo, exec_lo, s0
	s_and_saveexec_b32 s0, vcc_lo
	s_cbranch_execz .LBB185_67
.LBB185_106:
	ds_read_b32 v17, v15 offset:96
	s_waitcnt lgkmcnt(0)
	v_add_f32_e32 v11, v11, v17
	s_or_b32 exec_lo, exec_lo, s0
	s_and_saveexec_b32 s0, vcc_lo
	s_cbranch_execz .LBB185_68
.LBB185_107:
	ds_read_b32 v17, v15 offset:128
	s_waitcnt lgkmcnt(0)
	v_add_f32_e32 v10, v10, v17
	s_or_b32 exec_lo, exec_lo, s0
	s_and_saveexec_b32 s0, vcc_lo
	s_cbranch_execz .LBB185_69
.LBB185_108:
	ds_read_b32 v17, v15 offset:160
	s_waitcnt lgkmcnt(0)
	v_add_f32_e32 v9, v9, v17
	s_or_b32 exec_lo, exec_lo, s0
	s_and_saveexec_b32 s0, vcc_lo
	s_cbranch_execz .LBB185_70
.LBB185_109:
	ds_read_b32 v17, v15 offset:192
	s_waitcnt lgkmcnt(0)
	v_add_f32_e32 v8, v8, v17
	s_or_b32 exec_lo, exec_lo, s0
	s_and_saveexec_b32 s0, vcc_lo
	s_cbranch_execz .LBB185_71
.LBB185_110:
	ds_read_b32 v17, v15 offset:224
	s_waitcnt lgkmcnt(0)
	v_add_f32_e32 v7, v7, v17
	s_or_b32 exec_lo, exec_lo, s0
	s_and_saveexec_b32 s0, vcc_lo
	s_cbranch_execz .LBB185_72
.LBB185_111:
	ds_read_b32 v17, v15 offset:256
	s_waitcnt lgkmcnt(0)
	v_add_f32_e32 v6, v6, v17
	s_or_b32 exec_lo, exec_lo, s0
	s_and_saveexec_b32 s0, vcc_lo
	s_cbranch_execz .LBB185_73
.LBB185_112:
	ds_read_b32 v17, v15 offset:288
	s_waitcnt lgkmcnt(0)
	v_add_f32_e32 v5, v5, v17
	s_or_b32 exec_lo, exec_lo, s0
	s_and_saveexec_b32 s0, vcc_lo
	s_cbranch_execz .LBB185_74
.LBB185_113:
	ds_read_b32 v17, v15 offset:320
	s_waitcnt lgkmcnt(0)
	v_add_f32_e32 v4, v4, v17
	s_or_b32 exec_lo, exec_lo, s0
	s_and_saveexec_b32 s0, vcc_lo
	s_cbranch_execz .LBB185_75
.LBB185_114:
	ds_read_b32 v17, v15 offset:352
	s_waitcnt lgkmcnt(0)
	v_add_f32_e32 v3, v3, v17
	s_or_b32 exec_lo, exec_lo, s0
	s_and_saveexec_b32 s0, vcc_lo
	s_cbranch_execz .LBB185_76
.LBB185_115:
	ds_read_b32 v17, v15 offset:384
	s_waitcnt lgkmcnt(0)
	v_add_f32_e32 v0, v0, v17
	s_or_b32 exec_lo, exec_lo, s0
	s_and_saveexec_b32 s0, vcc_lo
	s_cbranch_execz .LBB185_77
.LBB185_116:
	ds_read_b32 v17, v15 offset:416
	s_waitcnt lgkmcnt(0)
	v_add_f32_e32 v1, v1, v17
	s_or_b32 exec_lo, exec_lo, s0
	s_and_saveexec_b32 s0, vcc_lo
	s_cbranch_execnz .LBB185_78
	s_branch .LBB185_79
.LBB185_117:
	ds_read_b32 v16, v15
	s_waitcnt lgkmcnt(0)
	v_add_f32_e32 v14, v14, v16
	s_or_b32 exec_lo, exec_lo, s0
	s_and_saveexec_b32 s0, vcc_lo
	s_cbranch_execz .LBB185_85
.LBB185_118:
	ds_read_b32 v16, v15 offset:32
	s_waitcnt lgkmcnt(0)
	v_add_f32_e32 v13, v13, v16
	s_or_b32 exec_lo, exec_lo, s0
	s_and_saveexec_b32 s0, vcc_lo
	s_cbranch_execz .LBB185_86
.LBB185_119:
	ds_read_b32 v16, v15 offset:64
	s_waitcnt lgkmcnt(0)
	v_add_f32_e32 v12, v12, v16
	s_or_b32 exec_lo, exec_lo, s0
	s_and_saveexec_b32 s0, vcc_lo
	s_cbranch_execz .LBB185_87
.LBB185_120:
	ds_read_b32 v16, v15 offset:96
	s_waitcnt lgkmcnt(0)
	v_add_f32_e32 v11, v11, v16
	s_or_b32 exec_lo, exec_lo, s0
	s_and_saveexec_b32 s0, vcc_lo
	s_cbranch_execz .LBB185_88
.LBB185_121:
	ds_read_b32 v16, v15 offset:128
	s_waitcnt lgkmcnt(0)
	v_add_f32_e32 v10, v10, v16
	s_or_b32 exec_lo, exec_lo, s0
	s_and_saveexec_b32 s0, vcc_lo
	s_cbranch_execz .LBB185_89
.LBB185_122:
	ds_read_b32 v16, v15 offset:160
	s_waitcnt lgkmcnt(0)
	v_add_f32_e32 v9, v9, v16
	s_or_b32 exec_lo, exec_lo, s0
	s_and_saveexec_b32 s0, vcc_lo
	s_cbranch_execz .LBB185_90
.LBB185_123:
	ds_read_b32 v16, v15 offset:192
	s_waitcnt lgkmcnt(0)
	v_add_f32_e32 v8, v8, v16
	s_or_b32 exec_lo, exec_lo, s0
	s_and_saveexec_b32 s0, vcc_lo
	s_cbranch_execz .LBB185_91
.LBB185_124:
	ds_read_b32 v16, v15 offset:224
	s_waitcnt lgkmcnt(0)
	v_add_f32_e32 v7, v7, v16
	s_or_b32 exec_lo, exec_lo, s0
	s_and_saveexec_b32 s0, vcc_lo
	s_cbranch_execz .LBB185_92
.LBB185_125:
	ds_read_b32 v16, v15 offset:256
	s_waitcnt lgkmcnt(0)
	v_add_f32_e32 v6, v6, v16
	s_or_b32 exec_lo, exec_lo, s0
	s_and_saveexec_b32 s0, vcc_lo
	s_cbranch_execz .LBB185_93
.LBB185_126:
	ds_read_b32 v16, v15 offset:288
	s_waitcnt lgkmcnt(0)
	v_add_f32_e32 v5, v5, v16
	s_or_b32 exec_lo, exec_lo, s0
	s_and_saveexec_b32 s0, vcc_lo
	s_cbranch_execz .LBB185_94
.LBB185_127:
	ds_read_b32 v16, v15 offset:320
	s_waitcnt lgkmcnt(0)
	v_add_f32_e32 v4, v4, v16
	s_or_b32 exec_lo, exec_lo, s0
	s_and_saveexec_b32 s0, vcc_lo
	s_cbranch_execz .LBB185_95
.LBB185_128:
	ds_read_b32 v16, v15 offset:352
	s_waitcnt lgkmcnt(0)
	v_add_f32_e32 v3, v3, v16
	s_or_b32 exec_lo, exec_lo, s0
	s_and_saveexec_b32 s0, vcc_lo
	s_cbranch_execz .LBB185_96
.LBB185_129:
	ds_read_b32 v16, v15 offset:384
	s_waitcnt lgkmcnt(0)
	v_add_f32_e32 v0, v0, v16
	s_or_b32 exec_lo, exec_lo, s0
	s_and_saveexec_b32 s0, vcc_lo
	s_cbranch_execz .LBB185_97
.LBB185_130:
	ds_read_b32 v16, v15 offset:416
	s_waitcnt lgkmcnt(0)
	v_add_f32_e32 v1, v1, v16
	s_or_b32 exec_lo, exec_lo, s0
	s_and_saveexec_b32 s0, vcc_lo
	s_cbranch_execnz .LBB185_98
	s_branch .LBB185_99
	.section	.rodata,"a",@progbits
	.p2align	6, 0x0
	.amdhsa_kernel _ZN4vllm25paged_attention_v2_kernelI14__hip_bfloat16S1_Li120ELi32ELi128ELNS_18Fp8KVCacheDataTypeE0ELb0ELi512EEEvPfS3_PT_PKS4_PKT0_SA_ifPKiSC_iPKfiiiSE_SE_iiiii
		.amdhsa_group_segment_fixed_size 272
		.amdhsa_private_segment_fixed_size 300
		.amdhsa_kernarg_size 400
		.amdhsa_user_sgpr_count 6
		.amdhsa_user_sgpr_private_segment_buffer 1
		.amdhsa_user_sgpr_dispatch_ptr 0
		.amdhsa_user_sgpr_queue_ptr 0
		.amdhsa_user_sgpr_kernarg_segment_ptr 1
		.amdhsa_user_sgpr_dispatch_id 0
		.amdhsa_user_sgpr_flat_scratch_init 0
		.amdhsa_user_sgpr_private_segment_size 0
		.amdhsa_wavefront_size32 1
		.amdhsa_uses_dynamic_stack 0
		.amdhsa_system_sgpr_private_segment_wavefront_offset 1
		.amdhsa_system_sgpr_workgroup_id_x 1
		.amdhsa_system_sgpr_workgroup_id_y 1
		.amdhsa_system_sgpr_workgroup_id_z 1
		.amdhsa_system_sgpr_workgroup_info 0
		.amdhsa_system_vgpr_workitem_id 0
		.amdhsa_next_free_vgpr 128
		.amdhsa_next_free_sgpr 44
		.amdhsa_reserve_vcc 1
		.amdhsa_reserve_flat_scratch 0
		.amdhsa_float_round_mode_32 0
		.amdhsa_float_round_mode_16_64 0
		.amdhsa_float_denorm_mode_32 3
		.amdhsa_float_denorm_mode_16_64 3
		.amdhsa_dx10_clamp 1
		.amdhsa_ieee_mode 1
		.amdhsa_fp16_overflow 0
		.amdhsa_workgroup_processor_mode 1
		.amdhsa_memory_ordered 1
		.amdhsa_forward_progress 1
		.amdhsa_shared_vgpr_count 0
		.amdhsa_exception_fp_ieee_invalid_op 0
		.amdhsa_exception_fp_denorm_src 0
		.amdhsa_exception_fp_ieee_div_zero 0
		.amdhsa_exception_fp_ieee_overflow 0
		.amdhsa_exception_fp_ieee_underflow 0
		.amdhsa_exception_fp_ieee_inexact 0
		.amdhsa_exception_int_div_zero 0
	.end_amdhsa_kernel
	.section	.text._ZN4vllm25paged_attention_v2_kernelI14__hip_bfloat16S1_Li120ELi32ELi128ELNS_18Fp8KVCacheDataTypeE0ELb0ELi512EEEvPfS3_PT_PKS4_PKT0_SA_ifPKiSC_iPKfiiiSE_SE_iiiii,"axG",@progbits,_ZN4vllm25paged_attention_v2_kernelI14__hip_bfloat16S1_Li120ELi32ELi128ELNS_18Fp8KVCacheDataTypeE0ELb0ELi512EEEvPfS3_PT_PKS4_PKT0_SA_ifPKiSC_iPKfiiiSE_SE_iiiii,comdat
.Lfunc_end185:
	.size	_ZN4vllm25paged_attention_v2_kernelI14__hip_bfloat16S1_Li120ELi32ELi128ELNS_18Fp8KVCacheDataTypeE0ELb0ELi512EEEvPfS3_PT_PKS4_PKT0_SA_ifPKiSC_iPKfiiiSE_SE_iiiii, .Lfunc_end185-_ZN4vllm25paged_attention_v2_kernelI14__hip_bfloat16S1_Li120ELi32ELi128ELNS_18Fp8KVCacheDataTypeE0ELb0ELi512EEEvPfS3_PT_PKS4_PKT0_SA_ifPKiSC_iPKfiiiSE_SE_iiiii
                                        ; -- End function
	.set _ZN4vllm25paged_attention_v2_kernelI14__hip_bfloat16S1_Li120ELi32ELi128ELNS_18Fp8KVCacheDataTypeE0ELb0ELi512EEEvPfS3_PT_PKS4_PKT0_SA_ifPKiSC_iPKfiiiSE_SE_iiiii.num_vgpr, 128
	.set _ZN4vllm25paged_attention_v2_kernelI14__hip_bfloat16S1_Li120ELi32ELi128ELNS_18Fp8KVCacheDataTypeE0ELb0ELi512EEEvPfS3_PT_PKS4_PKT0_SA_ifPKiSC_iPKfiiiSE_SE_iiiii.num_agpr, 0
	.set _ZN4vllm25paged_attention_v2_kernelI14__hip_bfloat16S1_Li120ELi32ELi128ELNS_18Fp8KVCacheDataTypeE0ELb0ELi512EEEvPfS3_PT_PKS4_PKT0_SA_ifPKiSC_iPKfiiiSE_SE_iiiii.numbered_sgpr, 44
	.set _ZN4vllm25paged_attention_v2_kernelI14__hip_bfloat16S1_Li120ELi32ELi128ELNS_18Fp8KVCacheDataTypeE0ELb0ELi512EEEvPfS3_PT_PKS4_PKT0_SA_ifPKiSC_iPKfiiiSE_SE_iiiii.num_named_barrier, 0
	.set _ZN4vllm25paged_attention_v2_kernelI14__hip_bfloat16S1_Li120ELi32ELi128ELNS_18Fp8KVCacheDataTypeE0ELb0ELi512EEEvPfS3_PT_PKS4_PKT0_SA_ifPKiSC_iPKfiiiSE_SE_iiiii.private_seg_size, 300
	.set _ZN4vllm25paged_attention_v2_kernelI14__hip_bfloat16S1_Li120ELi32ELi128ELNS_18Fp8KVCacheDataTypeE0ELb0ELi512EEEvPfS3_PT_PKS4_PKT0_SA_ifPKiSC_iPKfiiiSE_SE_iiiii.uses_vcc, 1
	.set _ZN4vllm25paged_attention_v2_kernelI14__hip_bfloat16S1_Li120ELi32ELi128ELNS_18Fp8KVCacheDataTypeE0ELb0ELi512EEEvPfS3_PT_PKS4_PKT0_SA_ifPKiSC_iPKfiiiSE_SE_iiiii.uses_flat_scratch, 0
	.set _ZN4vllm25paged_attention_v2_kernelI14__hip_bfloat16S1_Li120ELi32ELi128ELNS_18Fp8KVCacheDataTypeE0ELb0ELi512EEEvPfS3_PT_PKS4_PKT0_SA_ifPKiSC_iPKfiiiSE_SE_iiiii.has_dyn_sized_stack, 0
	.set _ZN4vllm25paged_attention_v2_kernelI14__hip_bfloat16S1_Li120ELi32ELi128ELNS_18Fp8KVCacheDataTypeE0ELb0ELi512EEEvPfS3_PT_PKS4_PKT0_SA_ifPKiSC_iPKfiiiSE_SE_iiiii.has_recursion, 0
	.set _ZN4vllm25paged_attention_v2_kernelI14__hip_bfloat16S1_Li120ELi32ELi128ELNS_18Fp8KVCacheDataTypeE0ELb0ELi512EEEvPfS3_PT_PKS4_PKT0_SA_ifPKiSC_iPKfiiiSE_SE_iiiii.has_indirect_call, 0
	.section	.AMDGPU.csdata,"",@progbits
; Kernel info:
; codeLenInByte = 19596
; TotalNumSgprs: 46
; NumVgprs: 128
; ScratchSize: 300
; MemoryBound: 0
; FloatMode: 240
; IeeeMode: 1
; LDSByteSize: 272 bytes/workgroup (compile time only)
; SGPRBlocks: 0
; VGPRBlocks: 15
; NumSGPRsForWavesPerEU: 46
; NumVGPRsForWavesPerEU: 128
; Occupancy: 8
; WaveLimiterHint : 1
; COMPUTE_PGM_RSRC2:SCRATCH_EN: 1
; COMPUTE_PGM_RSRC2:USER_SGPR: 6
; COMPUTE_PGM_RSRC2:TRAP_HANDLER: 0
; COMPUTE_PGM_RSRC2:TGID_X_EN: 1
; COMPUTE_PGM_RSRC2:TGID_Y_EN: 1
; COMPUTE_PGM_RSRC2:TGID_Z_EN: 1
; COMPUTE_PGM_RSRC2:TIDIG_COMP_CNT: 0
	.section	.text._ZN4vllm25paged_attention_v2_kernelI14__hip_bfloat16S1_Li128ELi32ELi128ELNS_18Fp8KVCacheDataTypeE0ELb0ELi512EEEvPfS3_PT_PKS4_PKT0_SA_ifPKiSC_iPKfiiiSE_SE_iiiii,"axG",@progbits,_ZN4vllm25paged_attention_v2_kernelI14__hip_bfloat16S1_Li128ELi32ELi128ELNS_18Fp8KVCacheDataTypeE0ELb0ELi512EEEvPfS3_PT_PKS4_PKT0_SA_ifPKiSC_iPKfiiiSE_SE_iiiii,comdat
	.protected	_ZN4vllm25paged_attention_v2_kernelI14__hip_bfloat16S1_Li128ELi32ELi128ELNS_18Fp8KVCacheDataTypeE0ELb0ELi512EEEvPfS3_PT_PKS4_PKT0_SA_ifPKiSC_iPKfiiiSE_SE_iiiii ; -- Begin function _ZN4vllm25paged_attention_v2_kernelI14__hip_bfloat16S1_Li128ELi32ELi128ELNS_18Fp8KVCacheDataTypeE0ELb0ELi512EEEvPfS3_PT_PKS4_PKT0_SA_ifPKiSC_iPKfiiiSE_SE_iiiii
	.globl	_ZN4vllm25paged_attention_v2_kernelI14__hip_bfloat16S1_Li128ELi32ELi128ELNS_18Fp8KVCacheDataTypeE0ELb0ELi512EEEvPfS3_PT_PKS4_PKT0_SA_ifPKiSC_iPKfiiiSE_SE_iiiii
	.p2align	8
	.type	_ZN4vllm25paged_attention_v2_kernelI14__hip_bfloat16S1_Li128ELi32ELi128ELNS_18Fp8KVCacheDataTypeE0ELb0ELi512EEEvPfS3_PT_PKS4_PKT0_SA_ifPKiSC_iPKfiiiSE_SE_iiiii,@function
_ZN4vllm25paged_attention_v2_kernelI14__hip_bfloat16S1_Li128ELi32ELi128ELNS_18Fp8KVCacheDataTypeE0ELb0ELi512EEEvPfS3_PT_PKS4_PKT0_SA_ifPKiSC_iPKfiiiSE_SE_iiiii: ; @_ZN4vllm25paged_attention_v2_kernelI14__hip_bfloat16S1_Li128ELi32ELi128ELNS_18Fp8KVCacheDataTypeE0ELb0ELi512EEEvPfS3_PT_PKS4_PKT0_SA_ifPKiSC_iPKfiiiSE_SE_iiiii
; %bb.0:
	s_mov_b64 s[42:43], s[2:3]
	s_mov_b64 s[40:41], s[0:1]
	s_load_dwordx2 s[0:1], s[4:5], 0x40
	s_add_u32 s40, s40, s9
	s_addc_u32 s41, s41, 0
	s_mov_b32 s24, s7
	s_ashr_i32 s25, s7, 31
	s_lshl_b64 s[2:3], s[24:25], 2
	s_waitcnt lgkmcnt(0)
	s_add_u32 s0, s0, s2
	s_addc_u32 s1, s1, s3
	s_lshl_b32 s30, s8, 9
	s_load_dword s25, s[0:1], 0x0
	s_waitcnt lgkmcnt(0)
	s_cmp_ge_i32 s30, s25
	s_cbranch_scc1 .LBB186_106
; %bb.1:
	s_clause 0x1
	s_load_dword s9, s[4:5], 0x90
	s_load_dwordx2 s[2:3], s[4:5], 0x30
	v_mov_b32_e32 v108, v0
	s_mov_b32 s33, 0
	s_waitcnt lgkmcnt(0)
	s_abs_i32 s10, s9
	s_abs_i32 s0, s2
	s_xor_b32 s2, s9, s2
	v_cvt_f32_u32_e32 v0, s0
	s_sub_i32 s7, 0, s0
	s_ashr_i32 s2, s2, 31
	v_rcp_iflag_f32_e32 v0, v0
	v_mul_f32_e32 v0, 0x4f7ffffe, v0
	v_cvt_u32_f32_e32 v0, v0
	v_readfirstlane_b32 s1, v0
	s_mul_i32 s7, s7, s1
	s_mul_hi_u32 s7, s1, s7
	s_add_i32 s1, s1, s7
	s_mul_hi_u32 s1, s10, s1
	s_mul_i32 s7, s1, s0
	s_sub_i32 s7, s10, s7
	s_add_i32 s10, s1, 1
	s_sub_i32 s11, s7, s0
	s_cmp_ge_u32 s7, s0
	s_cselect_b32 s1, s10, s1
	s_cselect_b32 s7, s11, s7
	s_add_i32 s10, s1, 1
	s_cmp_ge_u32 s7, s0
	s_cselect_b32 s0, s10, s1
	s_abs_i32 s29, s6
	s_xor_b32 s0, s0, s2
	s_sub_i32 s10, s0, s2
	s_load_dwordx2 s[0:1], s[4:5], 0x50
	s_abs_i32 s2, s10
	v_cvt_f32_u32_e32 v0, s2
	s_sub_i32 s11, 0, s2
	v_rcp_iflag_f32_e32 v0, v0
	v_mul_f32_e32 v0, 0x4f7ffffe, v0
	v_cvt_u32_f32_e32 v0, v0
	v_readfirstlane_b32 s7, v0
	s_mul_i32 s11, s11, s7
	s_mul_hi_u32 s11, s7, s11
	s_add_i32 s7, s7, s11
	s_waitcnt lgkmcnt(0)
	s_cmp_eq_u64 s[0:1], 0
	s_mul_hi_u32 s28, s29, s7
	s_cbranch_scc1 .LBB186_3
; %bb.2:
	s_ashr_i32 s7, s6, 31
	s_lshl_b64 s[12:13], s[6:7], 2
	s_add_u32 s0, s0, s12
	s_addc_u32 s1, s1, s13
	s_load_dword s33, s[0:1], 0x0
.LBB186_3:
	s_clause 0x1
	s_load_dwordx2 s[22:23], s[4:5], 0x38
	s_load_dwordx4 s[12:15], s[4:5], 0x58
	v_lshlrev_b32_e32 v10, 4, v108
	s_ashr_i32 s0, s6, 31
	s_ashr_i32 s1, s10, 31
	s_lshl_b32 s10, s6, 7
	s_mov_b32 s7, exec_lo
	v_cmpx_gt_u32_e32 16, v108
	s_cbranch_execz .LBB186_5
; %bb.4:
	s_load_dwordx2 s[16:17], s[4:5], 0x18
	s_waitcnt lgkmcnt(0)
	s_mul_i32 s18, s12, s24
	s_ashr_i32 s19, s18, 31
	s_lshl_b64 s[18:19], s[18:19], 1
	s_add_u32 s12, s16, s18
	s_addc_u32 s15, s17, s19
	s_ashr_i32 s11, s10, 31
	s_lshl_b64 s[16:17], s[10:11], 1
	s_add_u32 s16, s12, s16
	s_addc_u32 s17, s15, s17
	global_load_dwordx4 v[0:3], v10, s[16:17]
	s_waitcnt vmcnt(0)
	ds_write_b128 v10, v[0:3]
.LBB186_5:
	s_or_b32 exec_lo, exec_lo, s7
	s_add_i32 s7, s25, 31
	s_clause 0x1
	s_load_dwordx4 s[16:19], s[4:5], 0x0
	s_load_dwordx2 s[20:21], s[4:5], 0x10
	s_ashr_i32 s11, s7, 31
	s_lshl_b32 s31, s8, 4
	s_lshr_b32 s11, s11, 27
	s_mul_i32 s34, s28, s2
	s_add_i32 s7, s7, s11
	s_add_i32 s11, s31, 16
	s_waitcnt lgkmcnt(0)
	s_ashr_i32 s12, s7, 5
	s_clause 0x2
	s_load_dwordx2 s[26:27], s[4:5], 0x28
	s_load_dword s7, s[4:5], 0x98
	s_load_dword s15, s[4:5], 0x48
	s_xor_b32 s0, s0, s1
	s_sub_i32 s1, s29, s34
	s_min_i32 s11, s11, s12
	s_add_i32 s29, s28, 1
	s_sub_i32 s34, s1, s2
	s_cmp_ge_u32 s1, s2
	v_lshrrev_b32_e32 v109, 5, v108
	s_cselect_b32 s28, s29, s28
	s_cselect_b32 s1, s34, s1
	s_add_i32 s29, s28, 1
	s_cmp_ge_u32 s1, s2
	v_add_nc_u32_e32 v73, s31, v109
	v_and_b32_e32 v110, 31, v108
	s_cselect_b32 s1, s29, s28
	v_mov_b32_e32 v90, 0xff7fffff
	s_xor_b32 s1, s1, s0
	v_ashrrev_i32_e32 v74, 31, v73
	s_sub_i32 s1, s1, s0
	v_cmp_gt_i32_e64 s0, s11, v73
	v_lshlrev_b32_e32 v14, 5, v109
	v_lshlrev_b32_e32 v15, 2, v110
	s_waitcnt lgkmcnt(0)
	s_mul_i32 s28, s15, s24
	s_mul_i32 s14, s1, s14
	s_ashr_i32 s29, s28, 31
	s_barrier
	buffer_gl0_inv
	s_and_saveexec_b32 s34, s0
	s_cbranch_execz .LBB186_9
; %bb.6:
	v_mov_b32_e32 v1, 0
	buffer_store_dword v10, off, s[40:43], 0 offset:316 ; 4-byte Folded Spill
	buffer_store_dword v108, off, s[40:43], 0 offset:304 ; 4-byte Folded Spill
	s_load_dwordx2 s[4:5], s[4:5], 0x20
	s_ashr_i32 s15, s14, 31
	v_add3_u32 v98, s30, v14, v110
	ds_read_b128 v[2:5], v1
	ds_read_b128 v[6:9], v1 offset:16
	ds_read_b128 v[10:13], v1 offset:32
	s_lshl_b64 s[36:37], s[14:15], 1
	v_mov_b32_e32 v90, 0xff7fffff
	v_mov_b32_e32 v99, v73
	s_waitcnt lgkmcnt(0)
	s_add_u32 s1, s4, s36
	v_and_b32_e32 v0, 0xffff0000, v2
	s_addc_u32 s2, s5, s37
	s_lshl_b64 s[36:37], s[28:29], 2
	s_sub_i32 s4, 1, s25
	s_add_u32 s5, s22, s36
	buffer_store_dword v0, off, s[40:43], 0 ; 4-byte Folded Spill
	v_lshlrev_b32_e32 v0, 16, v2
	s_addc_u32 s15, s23, s37
	buffer_store_dword v0, off, s[40:43], 0 offset:4 ; 4-byte Folded Spill
	v_and_b32_e32 v0, 0xffff0000, v6
	buffer_store_dword v0, off, s[40:43], 0 offset:8 ; 4-byte Folded Spill
	v_lshlrev_b32_e32 v0, 16, v6
	buffer_store_dword v0, off, s[40:43], 0 offset:12 ; 4-byte Folded Spill
	v_and_b32_e32 v0, 0xffff0000, v10
	buffer_store_dword v0, off, s[40:43], 0 offset:16 ; 4-byte Folded Spill
	v_lshlrev_b32_e32 v0, 16, v10
	;; [unrolled: 4-line block ×7, first 2 shown]
	buffer_store_dword v0, off, s[40:43], 0 offset:60 ; 4-byte Folded Spill
	v_and_b32_e32 v0, 0xffff0000, v12
	buffer_store_dword v0, off, s[40:43], 0 offset:64 ; 4-byte Folded Spill
	v_and_b32_e32 v0, 0xffff0000, v5
	buffer_store_dword v0, off, s[40:43], 0 offset:68 ; 4-byte Folded Spill
	v_lshlrev_b32_e32 v0, 16, v5
	ds_read_b128 v[2:5], v1 offset:48
	buffer_store_dword v0, off, s[40:43], 0 offset:72 ; 4-byte Folded Spill
	v_lshlrev_b32_e32 v0, 16, v12
	buffer_store_dword v0, off, s[40:43], 0 offset:76 ; 4-byte Folded Spill
	v_and_b32_e32 v0, 0xffff0000, v9
	buffer_store_dword v0, off, s[40:43], 0 offset:80 ; 4-byte Folded Spill
	v_lshlrev_b32_e32 v0, 16, v9
	buffer_store_dword v0, off, s[40:43], 0 offset:84 ; 4-byte Folded Spill
	v_and_b32_e32 v0, 0xffff0000, v13
	buffer_store_dword v0, off, s[40:43], 0 offset:88 ; 4-byte Folded Spill
	v_lshlrev_b32_e32 v0, 16, v13
	buffer_store_dword v0, off, s[40:43], 0 offset:92 ; 4-byte Folded Spill
	s_waitcnt lgkmcnt(0)
	v_and_b32_e32 v0, 0xffff0000, v2
	buffer_store_dword v0, off, s[40:43], 0 offset:96 ; 4-byte Folded Spill
	v_lshlrev_b32_e32 v0, 16, v2
	buffer_store_dword v0, off, s[40:43], 0 offset:100 ; 4-byte Folded Spill
	v_and_b32_e32 v0, 0xffff0000, v3
	buffer_store_dword v0, off, s[40:43], 0 offset:104 ; 4-byte Folded Spill
	v_lshlrev_b32_e32 v0, 16, v3
	buffer_store_dword v0, off, s[40:43], 0 offset:108 ; 4-byte Folded Spill
	v_and_b32_e32 v0, 0xffff0000, v4
	buffer_store_dword v0, off, s[40:43], 0 offset:112 ; 4-byte Folded Spill
	v_lshlrev_b32_e32 v0, 16, v4
	buffer_store_dword v0, off, s[40:43], 0 offset:116 ; 4-byte Folded Spill
	v_and_b32_e32 v0, 0xffff0000, v5
	buffer_store_dword v0, off, s[40:43], 0 offset:120 ; 4-byte Folded Spill
	v_lshlrev_b32_e32 v0, 16, v5
	ds_read_b128 v[2:5], v1 offset:64
	buffer_store_dword v0, off, s[40:43], 0 offset:124 ; 4-byte Folded Spill
	s_waitcnt lgkmcnt(0)
	v_and_b32_e32 v0, 0xffff0000, v2
	buffer_store_dword v0, off, s[40:43], 0 offset:128 ; 4-byte Folded Spill
	v_lshlrev_b32_e32 v0, 16, v2
	buffer_store_dword v0, off, s[40:43], 0 offset:132 ; 4-byte Folded Spill
	v_and_b32_e32 v0, 0xffff0000, v3
	buffer_store_dword v0, off, s[40:43], 0 offset:136 ; 4-byte Folded Spill
	v_lshlrev_b32_e32 v0, 16, v3
	buffer_store_dword v0, off, s[40:43], 0 offset:140 ; 4-byte Folded Spill
	v_and_b32_e32 v0, 0xffff0000, v4
	buffer_store_dword v0, off, s[40:43], 0 offset:144 ; 4-byte Folded Spill
	v_lshlrev_b32_e32 v0, 16, v4
	buffer_store_dword v0, off, s[40:43], 0 offset:148 ; 4-byte Folded Spill
	v_and_b32_e32 v0, 0xffff0000, v5
	buffer_store_dword v0, off, s[40:43], 0 offset:152 ; 4-byte Folded Spill
	v_lshlrev_b32_e32 v0, 16, v5
	ds_read_b128 v[2:5], v1 offset:80
	buffer_store_dword v0, off, s[40:43], 0 offset:156 ; 4-byte Folded Spill
	s_waitcnt lgkmcnt(0)
	v_and_b32_e32 v0, 0xffff0000, v2
	buffer_store_dword v0, off, s[40:43], 0 offset:160 ; 4-byte Folded Spill
	v_lshlrev_b32_e32 v0, 16, v2
	buffer_store_dword v0, off, s[40:43], 0 offset:164 ; 4-byte Folded Spill
	v_and_b32_e32 v0, 0xffff0000, v3
	buffer_store_dword v0, off, s[40:43], 0 offset:168 ; 4-byte Folded Spill
	v_lshlrev_b32_e32 v0, 16, v3
	buffer_store_dword v0, off, s[40:43], 0 offset:172 ; 4-byte Folded Spill
	v_and_b32_e32 v0, 0xffff0000, v4
	buffer_store_dword v0, off, s[40:43], 0 offset:176 ; 4-byte Folded Spill
	v_lshlrev_b32_e32 v0, 16, v4
	buffer_store_dword v0, off, s[40:43], 0 offset:180 ; 4-byte Folded Spill
	v_and_b32_e32 v0, 0xffff0000, v5
	buffer_store_dword v0, off, s[40:43], 0 offset:184 ; 4-byte Folded Spill
	v_lshlrev_b32_e32 v0, 16, v5
	ds_read_b128 v[2:5], v1 offset:96
	buffer_store_dword v0, off, s[40:43], 0 offset:188 ; 4-byte Folded Spill
	s_waitcnt lgkmcnt(0)
	v_and_b32_e32 v0, 0xffff0000, v2
	buffer_store_dword v0, off, s[40:43], 0 offset:192 ; 4-byte Folded Spill
	v_lshlrev_b32_e32 v0, 16, v2
	buffer_store_dword v0, off, s[40:43], 0 offset:196 ; 4-byte Folded Spill
	v_and_b32_e32 v0, 0xffff0000, v3
	buffer_store_dword v0, off, s[40:43], 0 offset:200 ; 4-byte Folded Spill
	v_lshlrev_b32_e32 v0, 16, v3
	buffer_store_dword v0, off, s[40:43], 0 offset:204 ; 4-byte Folded Spill
	v_and_b32_e32 v0, 0xffff0000, v4
	buffer_store_dword v0, off, s[40:43], 0 offset:208 ; 4-byte Folded Spill
	v_lshlrev_b32_e32 v0, 16, v4
	buffer_store_dword v0, off, s[40:43], 0 offset:212 ; 4-byte Folded Spill
	v_and_b32_e32 v0, 0xffff0000, v5
	buffer_store_dword v0, off, s[40:43], 0 offset:216 ; 4-byte Folded Spill
	v_lshlrev_b32_e32 v0, 16, v5
	ds_read_b128 v[2:5], v1 offset:112
	buffer_store_dword v0, off, s[40:43], 0 offset:220 ; 4-byte Folded Spill
	s_waitcnt lgkmcnt(0)
	v_and_b32_e32 v0, 0xffff0000, v2
	buffer_store_dword v0, off, s[40:43], 0 offset:224 ; 4-byte Folded Spill
	v_lshlrev_b32_e32 v0, 16, v2
	buffer_store_dword v0, off, s[40:43], 0 offset:228 ; 4-byte Folded Spill
	v_and_b32_e32 v0, 0xffff0000, v3
	buffer_store_dword v0, off, s[40:43], 0 offset:232 ; 4-byte Folded Spill
	v_lshlrev_b32_e32 v0, 16, v3
	buffer_store_dword v0, off, s[40:43], 0 offset:236 ; 4-byte Folded Spill
	v_and_b32_e32 v0, 0xffff0000, v4
	buffer_store_dword v0, off, s[40:43], 0 offset:240 ; 4-byte Folded Spill
	v_lshlrev_b32_e32 v0, 16, v4
	buffer_store_dword v0, off, s[40:43], 0 offset:244 ; 4-byte Folded Spill
	v_and_b32_e32 v0, 0xffff0000, v5
	buffer_store_dword v0, off, s[40:43], 0 offset:248 ; 4-byte Folded Spill
	v_lshlrev_b32_e32 v0, 16, v5
	ds_read_b128 v[2:5], v1 offset:128
	buffer_store_dword v0, off, s[40:43], 0 offset:252 ; 4-byte Folded Spill
	s_waitcnt lgkmcnt(0)
	v_and_b32_e32 v0, 0xffff0000, v2
	buffer_store_dword v0, off, s[40:43], 0 offset:256 ; 4-byte Folded Spill
	v_lshlrev_b32_e32 v0, 16, v2
	buffer_store_dword v0, off, s[40:43], 0 offset:260 ; 4-byte Folded Spill
	v_and_b32_e32 v0, 0xffff0000, v3
	buffer_store_dword v0, off, s[40:43], 0 offset:264 ; 4-byte Folded Spill
	v_lshlrev_b32_e32 v0, 16, v3
	buffer_store_dword v0, off, s[40:43], 0 offset:268 ; 4-byte Folded Spill
	v_and_b32_e32 v0, 0xffff0000, v4
	buffer_store_dword v0, off, s[40:43], 0 offset:272 ; 4-byte Folded Spill
	v_lshlrev_b32_e32 v0, 16, v4
	buffer_store_dword v0, off, s[40:43], 0 offset:276 ; 4-byte Folded Spill
	v_and_b32_e32 v0, 0xffff0000, v5
	buffer_store_dword v0, off, s[40:43], 0 offset:280 ; 4-byte Folded Spill
	v_lshlrev_b32_e32 v0, 16, v5
	ds_read_b128 v[2:5], v1 offset:144
	buffer_store_dword v0, off, s[40:43], 0 offset:284 ; 4-byte Folded Spill
	s_waitcnt lgkmcnt(0)
	v_and_b32_e32 v0, 0xffff0000, v2
	v_and_b32_e32 v126, 0xffff0000, v4
	v_lshlrev_b32_e32 v127, 16, v4
	v_and_b32_e32 v44, 0xffff0000, v5
	v_lshlrev_b32_e32 v43, 16, v5
	buffer_store_dword v0, off, s[40:43], 0 offset:288 ; 4-byte Folded Spill
	v_lshlrev_b32_e32 v0, 16, v2
	buffer_store_dword v0, off, s[40:43], 0 offset:292 ; 4-byte Folded Spill
	v_and_b32_e32 v0, 0xffff0000, v3
	buffer_store_dword v0, off, s[40:43], 0 offset:296 ; 4-byte Folded Spill
	v_lshlrev_b32_e32 v0, 16, v3
	ds_read_b128 v[2:5], v1 offset:160
	buffer_store_dword v0, off, s[40:43], 0 offset:300 ; 4-byte Folded Spill
	s_waitcnt lgkmcnt(0)
	v_and_b32_e32 v45, 0xffff0000, v2
	v_lshlrev_b32_e32 v76, 16, v2
	v_and_b32_e32 v77, 0xffff0000, v3
	v_lshlrev_b32_e32 v46, 16, v3
	v_and_b32_e32 v0, 0xffff0000, v4
	v_lshlrev_b32_e32 v47, 16, v4
	v_and_b32_e32 v48, 0xffff0000, v5
	v_lshlrev_b32_e32 v49, 16, v5
	ds_read_b128 v[2:5], v1 offset:176
	s_waitcnt lgkmcnt(0)
	v_and_b32_e32 v50, 0xffff0000, v2
	v_lshlrev_b32_e32 v51, 16, v2
	v_and_b32_e32 v52, 0xffff0000, v3
	v_lshlrev_b32_e32 v53, 16, v3
	v_and_b32_e32 v54, 0xffff0000, v4
	v_lshlrev_b32_e32 v55, 16, v4
	v_and_b32_e32 v56, 0xffff0000, v5
	v_lshlrev_b32_e32 v57, 16, v5
	ds_read_b128 v[2:5], v1 offset:192
	;; [unrolled: 10-line block ×4, first 2 shown]
	s_waitcnt lgkmcnt(0)
	v_and_b32_e32 v78, 0xffff0000, v2
	v_lshlrev_b32_e32 v79, 16, v2
	v_and_b32_e32 v80, 0xffff0000, v3
	v_lshlrev_b32_e32 v81, 16, v3
	;; [unrolled: 2-line block ×3, first 2 shown]
	ds_read_b128 v[1:4], v1 offset:240
	v_and_b32_e32 v84, 0xffff0000, v5
	v_lshlrev_b32_e32 v85, 16, v5
	buffer_store_dword v109, off, s[40:43], 0 offset:308 ; 4-byte Folded Spill
	buffer_store_dword v15, off, s[40:43], 0 offset:324 ; 4-byte Folded Spill
	;; [unrolled: 1-line block ×4, first 2 shown]
	s_waitcnt lgkmcnt(0)
	v_and_b32_e32 v86, 0xffff0000, v1
	v_lshlrev_b32_e32 v87, 16, v1
	v_and_b32_e32 v88, 0xffff0000, v2
	v_lshlrev_b32_e32 v89, 16, v2
	v_lshlrev_b64 v[1:2], 2, v[73:74]
	v_and_b32_e32 v91, 0xffff0000, v3
	v_lshlrev_b32_e32 v92, 16, v3
	v_and_b32_e32 v93, 0xffff0000, v4
	v_lshlrev_b32_e32 v94, 16, v4
	v_add_co_u32 v41, vcc_lo, s5, v1
	v_lshl_or_b32 v1, v109, 7, v15
	v_add_co_ci_u32_e64 v42, null, s15, v2, vcc_lo
	v_cmp_neq_f32_e64 vcc_lo, s33, 0
	s_mov_b32 s15, s13
	v_add_nc_u32_e32 v95, 0x120, v1
	v_lshlrev_b32_e32 v1, 4, v110
	s_mov_b32 s5, 0
	v_add_co_u32 v96, s1, s1, v1
	v_add_co_ci_u32_e64 v97, null, s2, 0, s1
.LBB186_7:                              ; =>This Inner Loop Header: Depth=1
	global_load_dword v1, v[41:42], off
	v_add_nc_u32_e32 v99, 4, v99
	s_waitcnt vmcnt(0)
	v_mad_i64_i32 v[1:2], null, v1, s15, 0
	v_lshlrev_b64 v[1:2], 1, v[1:2]
	v_add_co_u32 v9, s1, v96, v1
	v_add_nc_u32_e32 v1, s4, v98
	v_add_co_ci_u32_e64 v10, null, v97, v2, s1
	v_cmp_gt_i32_e64 s1, s25, v98
	v_add_nc_u32_e32 v98, 0x80, v98
	v_cvt_f32_i32_e32 v1, v1
	v_mul_f32_e32 v1, s33, v1
	v_cndmask_b32_e32 v100, 0, v1, vcc_lo
	s_clause 0x3
	global_load_dwordx4 v[11:14], v[9:10], off
	global_load_dwordx4 v[15:18], v[9:10], off offset:512
	global_load_dwordx4 v[5:8], v[9:10], off offset:1024
	;; [unrolled: 1-line block ×3, first 2 shown]
	buffer_load_dword v21, off, s[40:43], 0 offset:12 ; 4-byte Folded Reload
	s_waitcnt vmcnt(4)
	v_lshlrev_b32_e32 v19, 16, v11
	s_waitcnt vmcnt(3)
	v_and_b32_e32 v20, 0xffff0000, v15
	v_lshlrev_b32_e32 v15, 16, v15
	v_and_b32_e32 v11, 0xffff0000, v11
	s_waitcnt vmcnt(0)
	v_mul_f32_e32 v101, v21, v15
	buffer_load_dword v15, off, s[40:43], 0 offset:8 ; 4-byte Folded Reload
	s_waitcnt vmcnt(0)
	v_mul_f32_e32 v102, v15, v20
	buffer_load_dword v15, off, s[40:43], 0 ; 4-byte Folded Reload
	s_waitcnt vmcnt(0)
	v_fmac_f32_e32 v102, v15, v11
	s_clause 0x1
	buffer_load_dword v11, off, s[40:43], 0 offset:4
	buffer_load_dword v15, off, s[40:43], 0 offset:20
	s_waitcnt vmcnt(1)
	v_fmac_f32_e32 v101, v11, v19
	v_and_b32_e32 v11, 0xffff0000, v5
	v_lshlrev_b32_e32 v5, 16, v5
	s_waitcnt vmcnt(0)
	v_fmac_f32_e32 v101, v15, v5
	s_clause 0x1
	buffer_load_dword v5, off, s[40:43], 0 offset:16
	buffer_load_dword v15, off, s[40:43], 0 offset:36
	s_waitcnt vmcnt(1)
	v_fmac_f32_e32 v102, v5, v11
	buffer_load_dword v11, off, s[40:43], 0 offset:96 ; 4-byte Folded Reload
	v_lshlrev_b32_e32 v5, 16, v1
	v_and_b32_e32 v1, 0xffff0000, v1
	s_waitcnt vmcnt(0)
	v_fmac_f32_e32 v102, v11, v1
	buffer_load_dword v1, off, s[40:43], 0 offset:100 ; 4-byte Folded Reload
	v_and_b32_e32 v11, 0xffff0000, v16
	s_waitcnt vmcnt(0)
	v_fmac_f32_e32 v101, v1, v5
	v_lshlrev_b32_e32 v1, 16, v12
	v_and_b32_e32 v5, 0xffff0000, v12
	v_lshlrev_b32_e32 v12, 16, v16
	v_mul_f32_e32 v103, v15, v12
	buffer_load_dword v12, off, s[40:43], 0 offset:32 ; 4-byte Folded Reload
	s_waitcnt vmcnt(0)
	v_mul_f32_e32 v104, v12, v11
	buffer_load_dword v11, off, s[40:43], 0 offset:24 ; 4-byte Folded Reload
	s_waitcnt vmcnt(0)
	v_fmac_f32_e32 v104, v11, v5
	s_clause 0x1
	buffer_load_dword v5, off, s[40:43], 0 offset:28
	buffer_load_dword v11, off, s[40:43], 0 offset:60
	s_waitcnt vmcnt(1)
	v_fmac_f32_e32 v103, v5, v1
	v_and_b32_e32 v1, 0xffff0000, v6
	v_lshlrev_b32_e32 v5, 16, v6
	buffer_load_dword v6, off, s[40:43], 0 offset:44 ; 4-byte Folded Reload
	s_waitcnt vmcnt(0)
	v_fmac_f32_e32 v103, v6, v5
	buffer_load_dword v5, off, s[40:43], 0 offset:40 ; 4-byte Folded Reload
	v_lshlrev_b32_e32 v6, 16, v17
	v_mul_f32_e32 v105, v11, v6
	buffer_load_dword v6, off, s[40:43], 0 offset:56 ; 4-byte Folded Reload
	s_waitcnt vmcnt(1)
	v_fmac_f32_e32 v104, v5, v1
	buffer_load_dword v5, off, s[40:43], 0 offset:104 ; 4-byte Folded Reload
	v_lshlrev_b32_e32 v1, 16, v2
	v_and_b32_e32 v2, 0xffff0000, v2
	s_waitcnt vmcnt(0)
	v_fmac_f32_e32 v104, v5, v2
	buffer_load_dword v2, off, s[40:43], 0 offset:108 ; 4-byte Folded Reload
	v_and_b32_e32 v5, 0xffff0000, v17
	v_mul_f32_e32 v106, v6, v5
	s_clause 0x1
	buffer_load_dword v5, off, s[40:43], 0 offset:48
	buffer_load_dword v6, off, s[40:43], 0 offset:84
	s_waitcnt vmcnt(2)
	v_fmac_f32_e32 v103, v2, v1
	v_and_b32_e32 v2, 0xffff0000, v13
	v_lshlrev_b32_e32 v1, 16, v13
	s_waitcnt vmcnt(1)
	v_fmac_f32_e32 v106, v5, v2
	s_clause 0x1
	buffer_load_dword v2, off, s[40:43], 0 offset:52
	buffer_load_dword v5, off, s[40:43], 0 offset:76
	s_waitcnt vmcnt(1)
	v_fmac_f32_e32 v105, v2, v1
	v_lshlrev_b32_e32 v2, 16, v7
	v_and_b32_e32 v1, 0xffff0000, v7
	s_waitcnt vmcnt(0)
	v_fmac_f32_e32 v105, v5, v2
	buffer_load_dword v2, off, s[40:43], 0 offset:64 ; 4-byte Folded Reload
	v_lshlrev_b32_e32 v5, 16, v18
	v_mul_f32_e32 v107, v6, v5
	buffer_load_dword v5, off, s[40:43], 0 offset:80 ; 4-byte Folded Reload
	s_waitcnt vmcnt(1)
	v_fmac_f32_e32 v106, v2, v1
	v_lshlrev_b32_e32 v1, 16, v3
	v_and_b32_e32 v2, 0xffff0000, v3
	buffer_load_dword v3, off, s[40:43], 0 offset:112 ; 4-byte Folded Reload
	s_waitcnt vmcnt(0)
	v_fmac_f32_e32 v106, v3, v2
	buffer_load_dword v2, off, s[40:43], 0 offset:116 ; 4-byte Folded Reload
	v_and_b32_e32 v3, 0xffff0000, v18
	v_mul_f32_e32 v108, v5, v3
	buffer_load_dword v3, off, s[40:43], 0 offset:68 ; 4-byte Folded Reload
	v_add_co_u32 v5, s2, 0x800, v9
	v_add_co_ci_u32_e64 v6, null, 0, v10, s2
	v_add_co_u32 v7, s2, v9, 0x1000
	s_waitcnt vmcnt(1)
	v_fmac_f32_e32 v105, v2, v1
	v_and_b32_e32 v2, 0xffff0000, v14
	v_lshlrev_b32_e32 v1, 16, v14
	s_waitcnt vmcnt(0)
	v_fmac_f32_e32 v108, v3, v2
	s_clause 0x1
	buffer_load_dword v2, off, s[40:43], 0 offset:72
	buffer_load_dword v3, off, s[40:43], 0 offset:92
	s_waitcnt vmcnt(1)
	v_fmac_f32_e32 v107, v2, v1
	v_lshlrev_b32_e32 v2, 16, v8
	v_and_b32_e32 v1, 0xffff0000, v8
	v_add_co_ci_u32_e64 v8, null, 0, v10, s2
	s_waitcnt vmcnt(0)
	v_fmac_f32_e32 v107, v3, v2
	s_clause 0x1
	buffer_load_dword v2, off, s[40:43], 0 offset:88
	buffer_load_dword v3, off, s[40:43], 0 offset:120
	s_waitcnt vmcnt(1)
	v_fmac_f32_e32 v108, v2, v1
	v_and_b32_e32 v2, 0xffff0000, v4
	v_lshlrev_b32_e32 v1, 16, v4
	s_waitcnt vmcnt(0)
	v_fmac_f32_e32 v108, v3, v2
	buffer_load_dword v2, off, s[40:43], 0 offset:124 ; 4-byte Folded Reload
	s_waitcnt vmcnt(0)
	v_fmac_f32_e32 v107, v2, v1
	global_load_dwordx4 v[1:4], v[7:8], off offset:-2048
	s_waitcnt vmcnt(0)
	v_and_b32_e32 v117, 0xffff0000, v1
	v_lshlrev_b32_e32 v118, 16, v1
	v_and_b32_e32 v119, 0xffff0000, v2
	v_lshlrev_b32_e32 v120, 16, v2
	;; [unrolled: 2-line block ×4, first 2 shown]
	s_clause 0x2
	global_load_dwordx4 v[1:4], v[5:6], off offset:512
	global_load_dwordx4 v[37:40], v[5:6], off offset:1024
	;; [unrolled: 1-line block ×3, first 2 shown]
	s_waitcnt vmcnt(2)
	v_lshlrev_b32_e32 v121, 16, v1
	v_and_b32_e32 v122, 0xffff0000, v1
	v_add_co_u32 v1, s2, 0x1000, v9
	v_lshlrev_b32_e32 v123, 16, v2
	v_and_b32_e32 v124, 0xffff0000, v2
	v_add_co_ci_u32_e64 v2, null, 0, v10, s2
	s_clause 0x3
	global_load_dwordx4 v[29:32], v[7:8], off
	global_load_dwordx4 v[25:28], v[1:2], off offset:512
	global_load_dwordx4 v[21:24], v[1:2], off offset:1024
	;; [unrolled: 1-line block ×3, first 2 shown]
	v_add_co_u32 v1, s2, 0x1800, v9
	v_add_co_ci_u32_e64 v2, null, 0, v10, s2
	v_lshlrev_b32_e32 v115, 16, v3
	v_and_b32_e32 v116, 0xffff0000, v3
	v_lshlrev_b32_e32 v111, 16, v4
	v_and_b32_e32 v112, 0xffff0000, v4
	s_clause 0x3
	global_load_dwordx4 v[13:16], v[1:2], off
	global_load_dwordx4 v[9:12], v[1:2], off offset:512
	global_load_dwordx4 v[5:8], v[1:2], off offset:1024
	;; [unrolled: 1-line block ×3, first 2 shown]
	buffer_load_dword v125, off, s[40:43], 0 offset:132 ; 4-byte Folded Reload
	s_waitcnt vmcnt(0)
	v_fmac_f32_e32 v101, v125, v118
	buffer_load_dword v118, off, s[40:43], 0 offset:128 ; 4-byte Folded Reload
	s_waitcnt vmcnt(0)
	v_fmac_f32_e32 v102, v118, v117
	s_clause 0x1
	buffer_load_dword v117, off, s[40:43], 0 offset:160
	buffer_load_dword v118, off, s[40:43], 0 offset:196
	s_waitcnt vmcnt(1)
	v_fmac_f32_e32 v102, v117, v122
	buffer_load_dword v117, off, s[40:43], 0 offset:164 ; 4-byte Folded Reload
	s_waitcnt vmcnt(0)
	v_fmac_f32_e32 v101, v117, v121
	v_and_b32_e32 v117, 0xffff0000, v37
	v_lshlrev_b32_e32 v37, 16, v37
	v_fmac_f32_e32 v101, v118, v37
	buffer_load_dword v37, off, s[40:43], 0 offset:192 ; 4-byte Folded Reload
	s_waitcnt vmcnt(0)
	v_fmac_f32_e32 v102, v37, v117
	buffer_load_dword v117, off, s[40:43], 0 offset:224 ; 4-byte Folded Reload
	v_lshlrev_b32_e32 v37, 16, v33
	v_and_b32_e32 v33, 0xffff0000, v33
	s_waitcnt vmcnt(0)
	v_fmac_f32_e32 v102, v117, v33
	buffer_load_dword v33, off, s[40:43], 0 offset:228 ; 4-byte Folded Reload
	s_waitcnt vmcnt(0)
	v_fmac_f32_e32 v101, v33, v37
	buffer_load_dword v37, off, s[40:43], 0 offset:260 ; 4-byte Folded Reload
	v_and_b32_e32 v33, 0xffff0000, v29
	v_lshlrev_b32_e32 v29, 16, v29
	s_waitcnt vmcnt(0)
	v_fmac_f32_e32 v101, v37, v29
	buffer_load_dword v29, off, s[40:43], 0 offset:256 ; 4-byte Folded Reload
	s_waitcnt vmcnt(0)
	v_fmac_f32_e32 v102, v29, v33
	buffer_load_dword v33, off, s[40:43], 0 offset:288 ; 4-byte Folded Reload
	v_lshlrev_b32_e32 v29, 16, v25
	v_and_b32_e32 v25, 0xffff0000, v25
	s_waitcnt vmcnt(0)
	v_fmac_f32_e32 v102, v33, v25
	buffer_load_dword v25, off, s[40:43], 0 offset:292 ; 4-byte Folded Reload
	s_waitcnt vmcnt(0)
	v_fmac_f32_e32 v101, v25, v29
	v_and_b32_e32 v25, 0xffff0000, v21
	v_lshlrev_b32_e32 v21, 16, v21
	v_fmac_f32_e32 v102, v45, v25
	v_fmac_f32_e32 v101, v76, v21
	v_lshlrev_b32_e32 v21, 16, v17
	v_and_b32_e32 v17, 0xffff0000, v17
	v_fmac_f32_e32 v101, v51, v21
	v_fmac_f32_e32 v102, v50, v17
	v_and_b32_e32 v17, 0xffff0000, v13
	v_lshlrev_b32_e32 v13, 16, v13
	v_fmac_f32_e32 v102, v58, v17
	v_fmac_f32_e32 v101, v59, v13
	v_lshlrev_b32_e32 v13, 16, v9
	v_and_b32_e32 v9, 0xffff0000, v9
	v_fmac_f32_e32 v101, v67, v13
	v_fmac_f32_e32 v102, v66, v9
	v_and_b32_e32 v9, 0xffff0000, v5
	v_lshlrev_b32_e32 v5, 16, v5
	v_fmac_f32_e32 v102, v78, v9
	v_fmac_f32_e32 v101, v79, v5
	v_lshlrev_b32_e32 v5, 16, v1
	v_and_b32_e32 v1, 0xffff0000, v1
	buffer_load_dword v9, off, s[40:43], 0 offset:204 ; 4-byte Folded Reload
	v_fmac_f32_e32 v101, v87, v5
	v_fmac_f32_e32 v102, v86, v1
	buffer_load_dword v1, off, s[40:43], 0 offset:140 ; 4-byte Folded Reload
	v_lshlrev_b32_e32 v5, 16, v38
	s_waitcnt vmcnt(0)
	v_fmac_f32_e32 v103, v1, v120
	buffer_load_dword v1, off, s[40:43], 0 offset:136 ; 4-byte Folded Reload
	s_waitcnt vmcnt(0)
	v_fmac_f32_e32 v104, v1, v119
	buffer_load_dword v1, off, s[40:43], 0 offset:168 ; 4-byte Folded Reload
	;; [unrolled: 3-line block ×3, first 2 shown]
	s_waitcnt vmcnt(0)
	v_fmac_f32_e32 v103, v1, v123
	v_and_b32_e32 v1, 0xffff0000, v38
	v_fmac_f32_e32 v103, v9, v5
	s_clause 0x1
	buffer_load_dword v5, off, s[40:43], 0 offset:200
	buffer_load_dword v9, off, s[40:43], 0 offset:232
	s_waitcnt vmcnt(1)
	v_fmac_f32_e32 v104, v5, v1
	v_and_b32_e32 v5, 0xffff0000, v34
	v_lshlrev_b32_e32 v1, 16, v34
	s_waitcnt vmcnt(0)
	v_fmac_f32_e32 v104, v9, v5
	s_clause 0x1
	buffer_load_dword v5, off, s[40:43], 0 offset:236
	buffer_load_dword v9, off, s[40:43], 0 offset:268
	s_waitcnt vmcnt(1)
	v_fmac_f32_e32 v103, v5, v1
	v_lshlrev_b32_e32 v5, 16, v30
	v_and_b32_e32 v1, 0xffff0000, v30
	s_waitcnt vmcnt(0)
	v_fmac_f32_e32 v103, v9, v5
	s_clause 0x1
	buffer_load_dword v5, off, s[40:43], 0 offset:264
	buffer_load_dword v9, off, s[40:43], 0 offset:296
	s_waitcnt vmcnt(1)
	v_fmac_f32_e32 v104, v5, v1
	v_and_b32_e32 v5, 0xffff0000, v26
	v_lshlrev_b32_e32 v1, 16, v26
	s_waitcnt vmcnt(0)
	v_fmac_f32_e32 v104, v9, v5
	buffer_load_dword v5, off, s[40:43], 0 offset:300 ; 4-byte Folded Reload
	s_waitcnt vmcnt(0)
	v_fmac_f32_e32 v103, v5, v1
	v_and_b32_e32 v1, 0xffff0000, v22
	v_lshlrev_b32_e32 v5, 16, v22
	v_fmac_f32_e32 v104, v77, v1
	v_fmac_f32_e32 v103, v46, v5
	v_lshlrev_b32_e32 v1, 16, v18
	v_and_b32_e32 v5, 0xffff0000, v18
	v_fmac_f32_e32 v103, v53, v1
	v_fmac_f32_e32 v104, v52, v5
	v_and_b32_e32 v1, 0xffff0000, v14
	v_lshlrev_b32_e32 v5, 16, v14
	v_fmac_f32_e32 v104, v60, v1
	v_fmac_f32_e32 v103, v61, v5
	v_lshlrev_b32_e32 v1, 16, v10
	v_and_b32_e32 v5, 0xffff0000, v10
	v_fmac_f32_e32 v103, v69, v1
	v_fmac_f32_e32 v104, v68, v5
	v_and_b32_e32 v1, 0xffff0000, v6
	v_lshlrev_b32_e32 v5, 16, v6
	v_fmac_f32_e32 v104, v80, v1
	v_fmac_f32_e32 v103, v81, v5
	v_lshlrev_b32_e32 v1, 16, v2
	v_and_b32_e32 v2, 0xffff0000, v2
	buffer_load_dword v5, off, s[40:43], 0 offset:212 ; 4-byte Folded Reload
	v_fmac_f32_e32 v103, v89, v1
	buffer_load_dword v1, off, s[40:43], 0 offset:148 ; 4-byte Folded Reload
	v_fmac_f32_e32 v104, v88, v2
	v_lshlrev_b32_e32 v2, 16, v39
	s_waitcnt vmcnt(0)
	v_fmac_f32_e32 v105, v1, v114
	buffer_load_dword v1, off, s[40:43], 0 offset:144 ; 4-byte Folded Reload
	s_waitcnt vmcnt(0)
	v_fmac_f32_e32 v106, v1, v113
	buffer_load_dword v1, off, s[40:43], 0 offset:176 ; 4-byte Folded Reload
	;; [unrolled: 3-line block ×3, first 2 shown]
	s_waitcnt vmcnt(0)
	v_fmac_f32_e32 v105, v1, v115
	v_and_b32_e32 v1, 0xffff0000, v39
	v_fmac_f32_e32 v105, v5, v2
	s_clause 0x1
	buffer_load_dword v2, off, s[40:43], 0 offset:208
	buffer_load_dword v5, off, s[40:43], 0 offset:240
	s_waitcnt vmcnt(1)
	v_fmac_f32_e32 v106, v2, v1
	v_and_b32_e32 v2, 0xffff0000, v35
	v_lshlrev_b32_e32 v1, 16, v35
	s_waitcnt vmcnt(0)
	v_fmac_f32_e32 v106, v5, v2
	s_clause 0x1
	buffer_load_dword v2, off, s[40:43], 0 offset:244
	buffer_load_dword v5, off, s[40:43], 0 offset:276
	s_waitcnt vmcnt(1)
	v_fmac_f32_e32 v105, v2, v1
	v_lshlrev_b32_e32 v2, 16, v31
	v_and_b32_e32 v1, 0xffff0000, v31
	s_waitcnt vmcnt(0)
	v_fmac_f32_e32 v105, v5, v2
	buffer_load_dword v2, off, s[40:43], 0 offset:272 ; 4-byte Folded Reload
	s_waitcnt vmcnt(0)
	v_fmac_f32_e32 v106, v2, v1
	v_lshlrev_b32_e32 v1, 16, v27
	v_and_b32_e32 v2, 0xffff0000, v27
	v_fmac_f32_e32 v105, v127, v1
	v_fmac_f32_e32 v106, v126, v2
	v_and_b32_e32 v1, 0xffff0000, v23
	v_lshlrev_b32_e32 v2, 16, v23
	v_fmac_f32_e32 v106, v0, v1
	v_fmac_f32_e32 v105, v47, v2
	v_lshlrev_b32_e32 v1, 16, v19
	v_and_b32_e32 v2, 0xffff0000, v19
	v_fmac_f32_e32 v105, v55, v1
	v_fmac_f32_e32 v106, v54, v2
	v_and_b32_e32 v1, 0xffff0000, v15
	v_lshlrev_b32_e32 v2, 16, v15
	v_fmac_f32_e32 v106, v62, v1
	;; [unrolled: 8-line block ×3, first 2 shown]
	v_fmac_f32_e32 v105, v83, v2
	v_lshlrev_b32_e32 v1, 16, v3
	v_and_b32_e32 v2, 0xffff0000, v3
	buffer_load_dword v3, off, s[40:43], 0 offset:220 ; 4-byte Folded Reload
	v_fmac_f32_e32 v105, v92, v1
	buffer_load_dword v1, off, s[40:43], 0 offset:156 ; 4-byte Folded Reload
	v_fmac_f32_e32 v106, v91, v2
	v_lshlrev_b32_e32 v2, 16, v40
	s_waitcnt vmcnt(0)
	v_fmac_f32_e32 v107, v1, v110
	buffer_load_dword v1, off, s[40:43], 0 offset:152 ; 4-byte Folded Reload
	s_waitcnt vmcnt(0)
	v_fmac_f32_e32 v108, v1, v109
	buffer_load_dword v1, off, s[40:43], 0 offset:184 ; 4-byte Folded Reload
	;; [unrolled: 3-line block ×3, first 2 shown]
	s_waitcnt vmcnt(0)
	v_fmac_f32_e32 v107, v1, v111
	v_and_b32_e32 v1, 0xffff0000, v40
	v_fmac_f32_e32 v107, v3, v2
	s_clause 0x1
	buffer_load_dword v2, off, s[40:43], 0 offset:216
	buffer_load_dword v3, off, s[40:43], 0 offset:248
	s_waitcnt vmcnt(1)
	v_fmac_f32_e32 v108, v2, v1
	v_and_b32_e32 v2, 0xffff0000, v36
	v_lshlrev_b32_e32 v1, 16, v36
	s_waitcnt vmcnt(0)
	v_fmac_f32_e32 v108, v3, v2
	s_clause 0x1
	buffer_load_dword v2, off, s[40:43], 0 offset:252
	buffer_load_dword v3, off, s[40:43], 0 offset:284
	s_waitcnt vmcnt(1)
	v_fmac_f32_e32 v107, v2, v1
	v_lshlrev_b32_e32 v2, 16, v32
	v_and_b32_e32 v1, 0xffff0000, v32
	s_waitcnt vmcnt(0)
	v_fmac_f32_e32 v107, v3, v2
	buffer_load_dword v2, off, s[40:43], 0 offset:280 ; 4-byte Folded Reload
	s_waitcnt vmcnt(0)
	v_fmac_f32_e32 v108, v2, v1
	v_lshlrev_b32_e32 v1, 16, v28
	v_and_b32_e32 v2, 0xffff0000, v28
	v_fmac_f32_e32 v107, v43, v1
	v_fmac_f32_e32 v108, v44, v2
	v_and_b32_e32 v1, 0xffff0000, v24
	v_lshlrev_b32_e32 v2, 16, v24
	v_fmac_f32_e32 v108, v48, v1
	v_fmac_f32_e32 v107, v49, v2
	v_lshlrev_b32_e32 v1, 16, v20
	v_and_b32_e32 v2, 0xffff0000, v20
	v_fmac_f32_e32 v107, v57, v1
	v_fmac_f32_e32 v108, v56, v2
	v_and_b32_e32 v1, 0xffff0000, v16
	v_lshlrev_b32_e32 v2, 16, v16
	v_fmac_f32_e32 v108, v64, v1
	;; [unrolled: 8-line block ×3, first 2 shown]
	v_fmac_f32_e32 v107, v85, v2
	v_lshlrev_b32_e32 v1, 16, v4
	v_and_b32_e32 v2, 0xffff0000, v4
	v_fmac_f32_e32 v107, v94, v1
	v_add_f32_e32 v1, v101, v102
	v_fmac_f32_e32 v108, v93, v2
	v_add_f32_e32 v1, v1, v103
	v_add_f32_e32 v1, v104, v1
	;; [unrolled: 1-line block ×6, first 2 shown]
	v_fmac_f32_e32 v100, s3, v1
	v_cndmask_b32_e64 v1, 0, v100, s1
	ds_write_b32 v95, v1
	v_max_f32_e32 v1, v90, v90
	v_add_nc_u32_e32 v95, 0x200, v95
	v_max_f32_e32 v1, v1, v100
	v_cndmask_b32_e64 v90, v90, v1, s1
	v_add_co_u32 v41, s1, v41, 16
	v_add_co_ci_u32_e64 v42, null, 0, v42, s1
	v_cmp_le_i32_e64 s1, s11, v99
	s_or_b32 s5, s1, s5
	s_andn2_b32 exec_lo, exec_lo, s5
	s_cbranch_execnz .LBB186_7
; %bb.8:
	s_or_b32 exec_lo, exec_lo, s5
	s_clause 0x5
	buffer_load_dword v108, off, s[40:43], 0 offset:304
	buffer_load_dword v109, off, s[40:43], 0 offset:308
	;; [unrolled: 1-line block ×6, first 2 shown]
.LBB186_9:
	s_or_b32 exec_lo, exec_lo, s34
	v_mbcnt_lo_u32_b32 v0, -1, 0
	v_max_f32_e32 v4, v90, v90
	v_xor_b32_e32 v1, 16, v0
	v_xor_b32_e32 v3, 8, v0
	v_cmp_gt_i32_e32 vcc_lo, 32, v1
	v_cndmask_b32_e32 v1, v0, v1, vcc_lo
	v_cmp_gt_i32_e32 vcc_lo, 32, v3
	v_lshlrev_b32_e32 v1, 2, v1
	v_cndmask_b32_e32 v3, v0, v3, vcc_lo
	ds_bpermute_b32 v2, v1, v90
	s_waitcnt lgkmcnt(0)
	v_max_f32_e32 v5, v2, v2
	v_lshlrev_b32_e32 v2, 2, v3
	v_max_f32_e32 v3, v4, v5
	v_xor_b32_e32 v5, 4, v0
	ds_bpermute_b32 v4, v2, v3
	v_cmp_gt_i32_e32 vcc_lo, 32, v5
	v_cndmask_b32_e32 v5, v0, v5, vcc_lo
	s_waitcnt lgkmcnt(0)
	v_max_f32_e32 v6, v4, v4
	v_lshlrev_b32_e32 v4, 2, v5
	v_max_f32_e32 v3, v3, v6
	v_xor_b32_e32 v6, 2, v0
	ds_bpermute_b32 v5, v4, v3
	v_cmp_gt_i32_e32 vcc_lo, 32, v6
	v_cndmask_b32_e32 v6, v0, v6, vcc_lo
	v_lshlrev_b32_e32 v79, 2, v6
	v_xor_b32_e32 v6, 1, v0
	v_cmp_gt_i32_e32 vcc_lo, 32, v6
	s_waitcnt lgkmcnt(0)
	v_max_f32_e32 v5, v5, v5
	v_cndmask_b32_e32 v6, v0, v6, vcc_lo
	s_waitcnt vmcnt(3)
	v_cmp_eq_u32_e32 vcc_lo, 0, v110
	v_max_f32_e32 v3, v3, v5
	v_lshlrev_b32_e32 v78, 2, v6
	ds_bpermute_b32 v5, v79, v3
	s_waitcnt lgkmcnt(0)
	v_max_f32_e32 v5, v5, v5
	v_max_f32_e32 v0, v3, v5
	v_lshlrev_b32_e32 v5, 2, v109
	ds_bpermute_b32 v3, v78, v0
	s_and_saveexec_b32 s1, vcc_lo
	s_cbranch_execz .LBB186_11
; %bb.10:
	s_waitcnt lgkmcnt(0)
	v_max_f32_e32 v3, v3, v3
	v_max_f32_e32 v0, v0, v0
	;; [unrolled: 1-line block ×3, first 2 shown]
	ds_write_b32 v5, v0 offset:256
.LBB186_11:
	s_or_b32 exec_lo, exec_lo, s1
	v_cmp_gt_u32_e64 s1, 4, v110
	v_mov_b32_e32 v0, 0xff7fffff
	s_waitcnt vmcnt(0) lgkmcnt(0)
	s_waitcnt_vscnt null, 0x0
	s_barrier
	buffer_gl0_inv
	s_and_saveexec_b32 s2, s1
; %bb.12:
	ds_read_b32 v0, v15 offset:256
; %bb.13:
	s_or_b32 exec_lo, exec_lo, s2
	s_waitcnt lgkmcnt(0)
	ds_bpermute_b32 v3, v79, v0
	v_max_f32_e32 v0, v0, v0
	v_mov_b32_e32 v6, 0
	s_sub_i32 s2, s11, s31
	s_lshl_b32 s2, s2, 5
	s_add_i32 s2, s2, s30
	s_min_i32 s2, s2, s25
	s_sub_i32 s4, s2, s30
	v_cmp_gt_i32_e64 s2, s4, v108
	s_waitcnt lgkmcnt(0)
	v_max_f32_e32 v3, v3, v3
	v_max_f32_e32 v0, v0, v3
	ds_bpermute_b32 v3, v78, v0
	s_waitcnt lgkmcnt(0)
	v_max_f32_e32 v3, v3, v3
	v_max_f32_e32 v0, v0, v3
	v_lshl_add_u32 v3, v108, 2, 0x120
	ds_bpermute_b32 v0, v6, v0
	s_and_saveexec_b32 s5, s2
	s_cbranch_execz .LBB186_17
; %bb.14:
	v_lshl_add_u32 v7, v108, 2, 0x120
	v_mov_b32_e32 v6, 0
	v_mov_b32_e32 v8, v108
	s_mov_b32 s15, 0
	.p2align	6
.LBB186_15:                             ; =>This Inner Loop Header: Depth=1
	ds_read_b32 v9, v7
	v_add_nc_u32_e32 v8, 0x80, v8
	v_cmp_le_i32_e64 s3, s4, v8
	s_or_b32 s15, s3, s15
	s_waitcnt lgkmcnt(0)
	v_sub_f32_e32 v9, v9, v0
	v_mul_f32_e32 v9, 0x3fb8aa3b, v9
	v_exp_f32_e32 v9, v9
	ds_write_b32 v7, v9
	v_add_f32_e32 v6, v6, v9
	v_add_nc_u32_e32 v7, 0x200, v7
	s_andn2_b32 exec_lo, exec_lo, s15
	s_cbranch_execnz .LBB186_15
; %bb.16:
	s_or_b32 exec_lo, exec_lo, s15
.LBB186_17:
	s_or_b32 exec_lo, exec_lo, s5
	ds_bpermute_b32 v1, v1, v6
	s_waitcnt lgkmcnt(0)
	v_add_f32_e32 v1, v6, v1
	ds_bpermute_b32 v2, v2, v1
	s_waitcnt lgkmcnt(0)
	v_add_f32_e32 v1, v1, v2
	ds_bpermute_b32 v2, v4, v1
	s_waitcnt lgkmcnt(0)
	v_add_f32_e32 v1, v1, v2
	ds_bpermute_b32 v2, v79, v1
	s_waitcnt lgkmcnt(0)
	v_add_f32_e32 v1, v1, v2
	ds_bpermute_b32 v2, v78, v1
	s_waitcnt lgkmcnt(0)
	v_add_f32_e32 v1, v1, v2
	s_and_saveexec_b32 s3, vcc_lo
; %bb.18:
	ds_write_b32 v5, v1 offset:272
; %bb.19:
	s_or_b32 exec_lo, exec_lo, s3
	s_waitcnt lgkmcnt(0)
	s_barrier
	buffer_gl0_inv
	s_and_saveexec_b32 s3, s1
; %bb.20:
	ds_read_b32 v1, v15 offset:272
; %bb.21:
	s_or_b32 exec_lo, exec_lo, s3
	s_waitcnt lgkmcnt(0)
	ds_bpermute_b32 v2, v79, v1
	s_waitcnt lgkmcnt(0)
	v_add_f32_e32 v1, v1, v2
	ds_bpermute_b32 v2, v78, v1
	s_waitcnt lgkmcnt(0)
	v_add_f32_e32 v1, v1, v2
	v_mov_b32_e32 v2, 0
	ds_bpermute_b32 v1, v2, v1
	s_and_saveexec_b32 s1, s2
	s_cbranch_execz .LBB186_24
; %bb.22:
	s_waitcnt lgkmcnt(0)
	v_add_f32_e32 v2, 0x358637bd, v1
	s_mov_b32 s2, 0
	v_div_scale_f32 v4, null, v2, v2, 1.0
	v_div_scale_f32 v7, vcc_lo, 1.0, v2, 1.0
	v_rcp_f32_e32 v5, v4
	v_fma_f32 v6, -v4, v5, 1.0
	v_fmac_f32_e32 v5, v6, v5
	v_mul_f32_e32 v6, v7, v5
	v_fma_f32 v8, -v4, v6, v7
	v_fmac_f32_e32 v6, v8, v5
	v_fma_f32 v4, -v4, v6, v7
	v_div_fmas_f32 v4, v4, v5, v6
	v_div_fixup_f32 v2, v4, v2, 1.0
	v_mov_b32_e32 v4, v108
.LBB186_23:                             ; =>This Inner Loop Header: Depth=1
	ds_read_b32 v5, v3
	v_add_nc_u32_e32 v4, 0x80, v4
	v_cmp_le_i32_e32 vcc_lo, s4, v4
	s_or_b32 s2, vcc_lo, s2
	s_waitcnt lgkmcnt(0)
	v_mul_f32_e32 v5, v2, v5
	ds_write_b32 v3, v5
	v_add_nc_u32_e32 v3, 0x200, v3
	s_andn2_b32 exec_lo, exec_lo, s2
	s_cbranch_execnz .LBB186_23
.LBB186_24:
	s_or_b32 exec_lo, exec_lo, s1
	s_mul_i32 s1, s7, s24
	s_waitcnt lgkmcnt(0)
	s_mul_i32 s4, s1, s9
	s_mov_b32 s1, exec_lo
	s_barrier
	buffer_gl0_inv
	v_cmpx_eq_u32_e32 0, v108
	s_cbranch_execz .LBB186_26
; %bb.25:
	s_ashr_i32 s5, s4, 31
	s_mul_i32 s34, s7, s6
	s_lshl_b64 s[2:3], s[4:5], 2
	v_mov_b32_e32 v2, 0
	s_add_u32 s5, s18, s2
	s_addc_u32 s6, s19, s3
	s_ashr_i32 s35, s34, 31
	s_lshl_b64 s[18:19], s[34:35], 2
	s_add_u32 s5, s5, s18
	s_addc_u32 s6, s6, s19
	s_ashr_i32 s9, s8, 31
	s_lshl_b64 s[34:35], s[8:9], 2
	s_add_u32 s36, s5, s34
	s_addc_u32 s37, s6, s35
	s_add_u32 s2, s16, s2
	s_addc_u32 s3, s17, s3
	;; [unrolled: 2-line block ×4, first 2 shown]
	global_store_dword v2, v0, s[36:37]
	global_store_dword v2, v1, s[2:3]
.LBB186_26:
	s_or_b32 exec_lo, exec_lo, s1
	v_mov_b32_e32 v94, 0
	v_and_b32_e32 v80, 3, v108
	v_mov_b32_e32 v96, 0
	v_mov_b32_e32 v95, 0
	;; [unrolled: 1-line block ×15, first 2 shown]
	s_and_saveexec_b32 s3, s0
	s_cbranch_execz .LBB186_62
; %bb.27:
	v_lshlrev_b32_e32 v0, 3, v108
	s_ashr_i32 s15, s14, 31
	v_lshlrev_b32_e32 v1, 5, v80
	v_and_b32_e32 v2, 0x1f0, v10
	s_lshl_b64 s[0:1], s[14:15], 1
	v_and_b32_e32 v0, 24, v0
	s_add_u32 s0, s26, s0
	s_addc_u32 s1, s27, s1
	v_lshl_or_b32 v3, v109, 7, v1
	v_add_co_u32 v98, s0, s0, v2
	v_add3_u32 v100, s30, v14, v0
	v_lshlrev_b64 v[0:1], 2, v[73:74]
	v_add_co_ci_u32_e64 v99, null, s1, 0, s0
	s_lshl_b64 s[0:1], s[28:29], 2
	s_add_i32 s5, s12, -1
	s_add_u32 s0, s22, s0
	s_addc_u32 s1, s23, s1
	v_add_co_u32 v74, vcc_lo, s0, v0
	v_mov_b32_e32 v97, 0
	v_add_nc_u32_e32 v101, 0x120, v3
	v_add_co_ci_u32_e64 v75, null, s1, v1, vcc_lo
	v_mov_b32_e32 v81, 0
	v_mov_b32_e32 v82, 0
	;; [unrolled: 1-line block ×16, first 2 shown]
	s_mov_b32 s6, s13
	s_mov_b32 s12, s25
	;; [unrolled: 1-line block ×3, first 2 shown]
	s_branch .LBB186_29
.LBB186_28:                             ;   in Loop: Header=BB186_29 Depth=1
	s_or_b32 exec_lo, exec_lo, s2
	s_waitcnt lgkmcnt(1)
	v_bfe_u32 v0, v49, 16, 1
	v_bfe_u32 v76, v50, 16, 1
	v_or_b32_e32 v77, 0x400000, v49
	v_cmp_u_f32_e32 vcc_lo, v49, v49
	v_or_b32_e32 v102, 0x400000, v50
	v_add3_u32 v0, v0, v49, 0x7fff
	v_bfe_u32 v103, v51, 16, 1
	v_add3_u32 v76, v76, v50, 0x7fff
	v_bfe_u32 v104, v52, 16, 1
	v_add_nc_u32_e32 v73, 4, v73
	v_cndmask_b32_e32 v49, v0, v77, vcc_lo
	v_cmp_u_f32_e32 vcc_lo, v50, v50
	v_add3_u32 v50, v103, v51, 0x7fff
	s_waitcnt lgkmcnt(0)
	v_bfe_u32 v77, v45, 16, 1
	v_or_b32_e32 v103, 0x400000, v52
	v_and_b32_e32 v49, 0xffff0000, v49
	v_cndmask_b32_e32 v0, v76, v102, vcc_lo
	v_or_b32_e32 v76, 0x400000, v51
	v_cmp_u_f32_e32 vcc_lo, v51, v51
	v_add3_u32 v102, v104, v52, 0x7fff
	v_add3_u32 v51, v77, v45, 0x7fff
	v_bfe_u32 v77, v46, 16, 1
	v_and_b32_e32 v0, 0xffff0000, v0
	v_cndmask_b32_e32 v50, v50, v76, vcc_lo
	v_cmp_u_f32_e32 vcc_lo, v52, v52
	v_or_b32_e32 v76, 0x400000, v45
	v_add3_u32 v77, v77, v46, 0x7fff
	v_add_co_u32 v74, s0, v74, 16
	v_cndmask_b32_e32 v52, v102, v103, vcc_lo
	v_cmp_u_f32_e32 vcc_lo, v45, v45
	v_bfe_u32 v45, v47, 16, 1
	v_or_b32_e32 v102, 0x400000, v46
	v_or_b32_e32 v103, 0x400000, v47
	v_add_nc_u32_e32 v100, 0x80, v100
	v_cndmask_b32_e32 v51, v51, v76, vcc_lo
	s_waitcnt vmcnt(1)
	v_and_b32_e32 v76, 0xffff0000, v69
	v_cmp_u_f32_e32 vcc_lo, v46, v46
	v_add3_u32 v45, v45, v47, 0x7fff
	v_bfe_u32 v46, v48, 16, 1
	v_and_b32_e32 v51, 0xffff0000, v51
	v_mul_f32_e32 v76, v0, v76
	v_cndmask_b32_e32 v77, v77, v102, vcc_lo
	v_cmp_u_f32_e32 vcc_lo, v47, v47
	v_lshlrev_b32_e32 v47, 16, v69
	v_add3_u32 v69, v46, v48, 0x7fff
	v_and_b32_e32 v46, 0xffff0000, v52
	v_and_b32_e32 v52, 0xffff0000, v70
	v_cndmask_b32_e32 v102, v45, v103, vcc_lo
	v_bfe_u32 v45, v76, 16, 1
	v_or_b32_e32 v103, 0x400000, v48
	v_mul_f32_e32 v47, v49, v47
	v_cmp_u_f32_e32 vcc_lo, v48, v48
	v_or_b32_e32 v104, 0x400000, v76
	v_add3_u32 v45, v45, v76, 0x7fff
	v_mul_f32_e32 v52, v46, v52
	v_and_b32_e32 v48, 0xffff0000, v50
	v_cndmask_b32_e32 v69, v69, v103, vcc_lo
	v_cmp_u_f32_e32 vcc_lo, v76, v76
	v_bfe_u32 v103, v47, 16, 1
	v_lshlrev_b32_e32 v50, 16, v70
	v_and_b32_e32 v70, 0xffff0000, v71
	v_lshlrev_b32_e32 v71, 16, v71
	v_cndmask_b32_e32 v76, v45, v104, vcc_lo
	v_and_b32_e32 v45, 0xffff0000, v77
	v_add3_u32 v77, v103, v47, 0x7fff
	v_or_b32_e32 v103, 0x400000, v47
	v_bfe_u32 v104, v52, 16, 1
	v_mul_f32_e32 v50, v48, v50
	v_cmp_u_f32_e32 vcc_lo, v47, v47
	v_mul_f32_e32 v70, v45, v70
	v_mul_f32_e32 v71, v51, v71
	v_add3_u32 v47, v104, v52, 0x7fff
	v_bfe_u32 v104, v50, 16, 1
	v_cndmask_b32_e32 v77, v77, v103, vcc_lo
	v_or_b32_e32 v103, 0x400000, v52
	v_cmp_u_f32_e32 vcc_lo, v52, v52
	v_bfe_u32 v105, v70, 16, 1
	v_or_b32_e32 v106, 0x400000, v70
	v_bfe_u32 v107, v71, 16, 1
	v_and_b32_e32 v77, 0xffff0000, v77
	v_cndmask_b32_e32 v52, v47, v103, vcc_lo
	v_add3_u32 v103, v104, v50, 0x7fff
	v_or_b32_e32 v104, 0x400000, v50
	v_cmp_u_f32_e32 vcc_lo, v50, v50
	v_add3_u32 v105, v105, v70, 0x7fff
	v_and_b32_e32 v47, 0xffff0000, v69
	v_and_b32_e32 v69, 0xffff0000, v72
	;; [unrolled: 1-line block ×3, first 2 shown]
	v_cndmask_b32_e32 v103, v103, v104, vcc_lo
	v_cmp_u_f32_e32 vcc_lo, v70, v70
	v_add3_u32 v104, v107, v71, 0x7fff
	v_mul_f32_e32 v69, v47, v69
	v_lshlrev_b32_e32 v72, 16, v72
	v_and_b32_e32 v76, 0xffff0000, v76
	v_cndmask_b32_e32 v70, v105, v106, vcc_lo
	v_or_b32_e32 v105, 0x400000, v71
	v_cmp_u_f32_e32 vcc_lo, v71, v71
	v_bfe_u32 v106, v69, 16, 1
	v_and_b32_e32 v103, 0xffff0000, v103
	v_and_b32_e32 v52, 0xffff0000, v52
	v_mul_f32_e32 v72, v50, v72
	v_cndmask_b32_e32 v71, v104, v105, vcc_lo
	v_add3_u32 v102, v106, v69, 0x7fff
	v_or_b32_e32 v104, 0x400000, v69
	v_cmp_u_f32_e32 vcc_lo, v69, v69
	v_add_f32_e32 v76, v77, v76
	v_add_f32_e32 v52, v103, v52
	v_and_b32_e32 v71, 0xffff0000, v71
	v_and_b32_e32 v77, 0xffff0000, v65
	;; [unrolled: 1-line block ×3, first 2 shown]
	v_cndmask_b32_e32 v69, v102, v104, vcc_lo
	v_bfe_u32 v102, v72, 16, 1
	v_add_f32_e32 v52, v52, v76
	v_mul_f32_e32 v76, v0, v77
	v_add_f32_e32 v70, v71, v70
	v_lshlrev_b32_e32 v65, 16, v65
	v_add3_u32 v102, v102, v72, 0x7fff
	v_or_b32_e32 v103, 0x400000, v72
	v_cmp_u_f32_e32 vcc_lo, v72, v72
	v_bfe_u32 v72, v76, 16, 1
	v_add_f32_e32 v52, v70, v52
	v_mul_f32_e32 v65, v49, v65
	v_and_b32_e32 v70, 0xffff0000, v66
	v_cndmask_b32_e32 v71, v102, v103, vcc_lo
	v_add3_u32 v72, v72, v76, 0x7fff
	v_or_b32_e32 v77, 0x400000, v76
	v_bfe_u32 v102, v65, 16, 1
	v_mul_f32_e32 v70, v46, v70
	v_lshlrev_b32_e32 v66, 16, v66
	v_cmp_u_f32_e32 vcc_lo, v76, v76
	v_and_b32_e32 v103, 0xffff0000, v67
	v_add3_u32 v76, v102, v65, 0x7fff
	v_bfe_u32 v102, v70, 16, 1
	v_mul_f32_e32 v66, v48, v66
	v_cndmask_b32_e32 v72, v72, v77, vcc_lo
	v_or_b32_e32 v77, 0x400000, v65
	v_cmp_u_f32_e32 vcc_lo, v65, v65
	v_mul_f32_e32 v103, v45, v103
	v_lshlrev_b32_e32 v67, 16, v67
	v_and_b32_e32 v104, 0xffff0000, v68
	v_lshlrev_b32_e32 v68, 16, v68
	v_cndmask_b32_e32 v65, v76, v77, vcc_lo
	v_add3_u32 v76, v102, v70, 0x7fff
	v_or_b32_e32 v77, 0x400000, v70
	v_bfe_u32 v102, v66, 16, 1
	v_cmp_u_f32_e32 vcc_lo, v70, v70
	v_mul_f32_e32 v67, v51, v67
	v_mul_f32_e32 v68, v50, v68
	v_and_b32_e32 v65, 0xffff0000, v65
	v_and_b32_e32 v72, 0xffff0000, v72
	v_cndmask_b32_e32 v70, v76, v77, vcc_lo
	v_add3_u32 v76, v102, v66, 0x7fff
	v_or_b32_e32 v77, 0x400000, v66
	v_bfe_u32 v102, v103, 16, 1
	v_cmp_u_f32_e32 vcc_lo, v66, v66
	v_or_b32_e32 v105, 0x400000, v67
	v_bfe_u32 v107, v68, 16, 1
	v_and_b32_e32 v70, 0xffff0000, v70
	v_add_f32_e32 v65, v65, v72
	v_cndmask_b32_e32 v66, v76, v77, vcc_lo
	v_bfe_u32 v76, v67, 16, 1
	v_add3_u32 v77, v102, v103, 0x7fff
	v_mul_f32_e32 v102, v47, v104
	v_or_b32_e32 v104, 0x400000, v103
	v_cmp_u_f32_e32 vcc_lo, v103, v103
	v_add3_u32 v76, v76, v67, 0x7fff
	v_add3_u32 v103, v107, v68, 0x7fff
	v_bfe_u32 v106, v102, 16, 1
	v_and_b32_e32 v66, 0xffff0000, v66
	v_cndmask_b32_e32 v77, v77, v104, vcc_lo
	v_cmp_u_f32_e32 vcc_lo, v67, v67
	v_or_b32_e32 v104, 0x400000, v68
	v_and_b32_e32 v71, 0xffff0000, v71
	v_add_f32_e32 v66, v66, v70
	v_and_b32_e32 v70, 0xffff0000, v77
	v_cndmask_b32_e32 v67, v76, v105, vcc_lo
	v_cmp_u_f32_e32 vcc_lo, v68, v68
	v_add3_u32 v76, v106, v102, 0x7fff
	v_or_b32_e32 v105, 0x400000, v102
	v_and_b32_e32 v69, 0xffff0000, v69
	v_and_b32_e32 v67, 0xffff0000, v67
	v_cndmask_b32_e32 v68, v103, v104, vcc_lo
	v_cmp_u_f32_e32 vcc_lo, v102, v102
	v_add_f32_e32 v65, v66, v65
	v_add_f32_e32 v69, v71, v69
	;; [unrolled: 1-line block ×3, first 2 shown]
	v_and_b32_e32 v67, 0xffff0000, v68
	v_cndmask_b32_e32 v72, v76, v105, vcc_lo
	v_and_b32_e32 v70, 0xffff0000, v61
	v_lshlrev_b32_e32 v61, 16, v61
	v_add_f32_e32 v65, v66, v65
	v_add_f32_e32 v52, v69, v52
	v_and_b32_e32 v68, 0xffff0000, v72
	v_add_nc_u32_e32 v101, 0x200, v101
	v_mul_f32_e32 v61, v49, v61
	v_add_co_ci_u32_e64 v75, null, 0, v75, s0
	v_add_f32_e32 v66, v67, v68
	v_mul_f32_e32 v67, v0, v70
	v_and_b32_e32 v68, 0xffff0000, v62
	v_add_f32_e32 v82, v82, v52
	v_bfe_u32 v52, v61, 16, 1
	v_add_f32_e32 v65, v66, v65
	v_bfe_u32 v66, v67, 16, 1
	v_mul_f32_e32 v68, v46, v68
	v_lshlrev_b32_e32 v62, 16, v62
	v_cmp_u_f32_e32 vcc_lo, v67, v67
	v_add_f32_e32 v83, v83, v65
	v_add3_u32 v65, v66, v67, 0x7fff
	v_or_b32_e32 v66, 0x400000, v67
	v_add3_u32 v52, v52, v61, 0x7fff
	v_or_b32_e32 v69, 0x400000, v61
	v_or_b32_e32 v67, 0x400000, v68
	v_and_b32_e32 v70, 0xffff0000, v64
	v_cndmask_b32_e32 v65, v65, v66, vcc_lo
	v_bfe_u32 v66, v68, 16, 1
	v_cmp_u_f32_e32 vcc_lo, v61, v61
	v_mul_f32_e32 v61, v48, v62
	v_and_b32_e32 v62, 0xffff0000, v63
	v_lshlrev_b32_e32 v63, 16, v63
	v_add3_u32 v66, v66, v68, 0x7fff
	v_cndmask_b32_e32 v52, v52, v69, vcc_lo
	v_bfe_u32 v69, v61, 16, 1
	v_mul_f32_e32 v62, v45, v62
	v_cmp_u_f32_e32 vcc_lo, v68, v68
	v_mul_f32_e32 v63, v51, v63
	v_or_b32_e32 v68, 0x400000, v61
	v_lshlrev_b32_e32 v64, 16, v64
	v_and_b32_e32 v52, 0xffff0000, v52
	v_cndmask_b32_e32 v66, v66, v67, vcc_lo
	v_add3_u32 v67, v69, v61, 0x7fff
	v_bfe_u32 v69, v62, 16, 1
	v_cmp_u_f32_e32 vcc_lo, v61, v61
	v_bfe_u32 v71, v63, 16, 1
	v_mul_f32_e32 v64, v50, v64
	v_and_b32_e32 v65, 0xffff0000, v65
	v_and_b32_e32 v66, 0xffff0000, v66
	v_cndmask_b32_e32 v61, v67, v68, vcc_lo
	v_add3_u32 v67, v69, v62, 0x7fff
	v_mul_f32_e32 v68, v47, v70
	v_or_b32_e32 v69, 0x400000, v62
	v_cmp_u_f32_e32 vcc_lo, v62, v62
	v_add3_u32 v70, v71, v63, 0x7fff
	v_or_b32_e32 v71, 0x400000, v63
	v_bfe_u32 v72, v68, 16, 1
	v_and_b32_e32 v61, 0xffff0000, v61
	v_cndmask_b32_e32 v62, v67, v69, vcc_lo
	v_cmp_u_f32_e32 vcc_lo, v63, v63
	v_or_b32_e32 v69, 0x400000, v68
	v_add3_u32 v67, v72, v68, 0x7fff
	v_add_f32_e32 v52, v52, v65
	v_add_f32_e32 v61, v61, v66
	v_cndmask_b32_e32 v63, v70, v71, vcc_lo
	v_bfe_u32 v70, v64, 16, 1
	v_cmp_u_f32_e32 vcc_lo, v68, v68
	v_and_b32_e32 v65, 0xffff0000, v57
	v_and_b32_e32 v62, 0xffff0000, v62
	;; [unrolled: 1-line block ×3, first 2 shown]
	v_add3_u32 v68, v70, v64, 0x7fff
	v_cndmask_b32_e32 v67, v67, v69, vcc_lo
	v_or_b32_e32 v69, 0x400000, v64
	v_cmp_u_f32_e32 vcc_lo, v64, v64
	v_add_f32_e32 v52, v61, v52
	v_mul_f32_e32 v61, v0, v65
	v_add_f32_e32 v62, v63, v62
	v_lshlrev_b32_e32 v57, 16, v57
	v_cndmask_b32_e32 v64, v68, v69, vcc_lo
	v_and_b32_e32 v68, 0xffff0000, v60
	v_bfe_u32 v65, v61, 16, 1
	v_add_f32_e32 v52, v62, v52
	v_mul_f32_e32 v57, v49, v57
	v_and_b32_e32 v63, 0xffff0000, v64
	v_and_b32_e32 v64, 0xffff0000, v67
	;; [unrolled: 1-line block ×3, first 2 shown]
	v_lshlrev_b32_e32 v58, 16, v58
	v_bfe_u32 v66, v57, 16, 1
	v_cmp_u_f32_e32 vcc_lo, v61, v61
	v_add_f32_e32 v63, v63, v64
	v_add3_u32 v64, v65, v61, 0x7fff
	v_or_b32_e32 v65, 0x400000, v61
	v_mul_f32_e32 v62, v46, v62
	v_mul_f32_e32 v58, v48, v58
	v_and_b32_e32 v67, 0xffff0000, v59
	v_lshlrev_b32_e32 v59, 16, v59
	v_cndmask_b32_e32 v61, v64, v65, vcc_lo
	v_add3_u32 v64, v66, v57, 0x7fff
	v_or_b32_e32 v65, 0x400000, v57
	v_bfe_u32 v66, v62, 16, 1
	v_cmp_u_f32_e32 vcc_lo, v57, v57
	v_mul_f32_e32 v67, v45, v67
	v_mul_f32_e32 v59, v51, v59
	v_lshlrev_b32_e32 v60, 16, v60
	v_and_b32_e32 v61, 0xffff0000, v61
	v_cndmask_b32_e32 v57, v64, v65, vcc_lo
	v_add3_u32 v64, v66, v62, 0x7fff
	v_or_b32_e32 v65, 0x400000, v62
	v_bfe_u32 v66, v58, 16, 1
	v_cmp_u_f32_e32 vcc_lo, v62, v62
	v_mul_f32_e32 v60, v50, v60
	v_or_b32_e32 v69, 0x400000, v59
	v_and_b32_e32 v57, 0xffff0000, v57
	v_add_f32_e32 v52, v63, v52
	v_cndmask_b32_e32 v62, v64, v65, vcc_lo
	v_add3_u32 v64, v66, v58, 0x7fff
	v_or_b32_e32 v65, 0x400000, v58
	v_bfe_u32 v66, v67, 16, 1
	v_cmp_u_f32_e32 vcc_lo, v58, v58
	v_and_b32_e32 v62, 0xffff0000, v62
	v_add_f32_e32 v57, v57, v61
	v_add_f32_e32 v84, v84, v52
	v_cndmask_b32_e32 v58, v64, v65, vcc_lo
	v_bfe_u32 v64, v59, 16, 1
	v_add3_u32 v65, v66, v67, 0x7fff
	v_mul_f32_e32 v66, v47, v68
	v_or_b32_e32 v68, 0x400000, v67
	v_cmp_u_f32_e32 vcc_lo, v67, v67
	v_add3_u32 v64, v64, v59, 0x7fff
	v_bfe_u32 v67, v60, 16, 1
	v_bfe_u32 v70, v66, 16, 1
	v_and_b32_e32 v58, 0xffff0000, v58
	v_cndmask_b32_e32 v65, v65, v68, vcc_lo
	v_cmp_u_f32_e32 vcc_lo, v59, v59
	v_add3_u32 v67, v67, v60, 0x7fff
	v_or_b32_e32 v68, 0x400000, v66
	v_add_f32_e32 v58, v58, v62
	v_and_b32_e32 v61, 0xffff0000, v65
	v_cndmask_b32_e32 v59, v64, v69, vcc_lo
	v_or_b32_e32 v69, 0x400000, v60
	v_cmp_u_f32_e32 vcc_lo, v60, v60
	v_add3_u32 v64, v70, v66, 0x7fff
	v_add_f32_e32 v57, v58, v57
	v_and_b32_e32 v59, 0xffff0000, v59
	v_cndmask_b32_e32 v60, v67, v69, vcc_lo
	v_cmp_u_f32_e32 vcc_lo, v66, v66
	v_add_f32_e32 v58, v59, v61
	v_and_b32_e32 v59, 0xffff0000, v53
	v_and_b32_e32 v60, 0xffff0000, v60
	v_cndmask_b32_e32 v62, v64, v68, vcc_lo
	v_lshlrev_b32_e32 v53, 16, v53
	v_add_f32_e32 v57, v58, v57
	v_mul_f32_e32 v59, v0, v59
	v_and_b32_e32 v61, 0xffff0000, v62
	v_mul_f32_e32 v53, v49, v53
	v_cmp_u_f32_e32 vcc_lo, v59, v59
	v_add_f32_e32 v58, v60, v61
	v_and_b32_e32 v60, 0xffff0000, v54
	v_bfe_u32 v61, v59, 16, 1
	v_bfe_u32 v52, v53, 16, 1
	v_lshlrev_b32_e32 v54, 16, v54
	v_add_f32_e32 v57, v58, v57
	v_mul_f32_e32 v58, v46, v60
	v_add3_u32 v60, v61, v59, 0x7fff
	v_or_b32_e32 v61, 0x400000, v59
	v_add3_u32 v52, v52, v53, 0x7fff
	v_or_b32_e32 v62, 0x400000, v53
	v_bfe_u32 v63, v58, 16, 1
	v_add_f32_e32 v85, v85, v57
	v_cndmask_b32_e32 v59, v60, v61, vcc_lo
	v_cmp_u_f32_e32 vcc_lo, v53, v53
	v_mul_f32_e32 v53, v48, v54
	v_and_b32_e32 v61, 0xffff0000, v55
	v_add3_u32 v54, v63, v58, 0x7fff
	v_or_b32_e32 v60, 0x400000, v58
	v_cndmask_b32_e32 v52, v52, v62, vcc_lo
	v_lshlrev_b32_e32 v55, 16, v55
	v_bfe_u32 v62, v53, 16, 1
	v_cmp_u_f32_e32 vcc_lo, v58, v58
	v_mul_f32_e32 v58, v45, v61
	v_or_b32_e32 v61, 0x400000, v53
	v_mul_f32_e32 v55, v51, v55
	v_and_b32_e32 v52, 0xffff0000, v52
	v_cndmask_b32_e32 v54, v54, v60, vcc_lo
	v_add3_u32 v60, v62, v53, 0x7fff
	v_and_b32_e32 v62, 0xffff0000, v56
	v_bfe_u32 v63, v58, 16, 1
	v_cmp_u_f32_e32 vcc_lo, v53, v53
	v_bfe_u32 v64, v55, 16, 1
	v_lshlrev_b32_e32 v56, 16, v56
	v_and_b32_e32 v59, 0xffff0000, v59
	v_and_b32_e32 v54, 0xffff0000, v54
	v_cndmask_b32_e32 v53, v60, v61, vcc_lo
	v_mul_f32_e32 v60, v47, v62
	v_add3_u32 v61, v63, v58, 0x7fff
	v_or_b32_e32 v62, 0x400000, v58
	v_cmp_u_f32_e32 vcc_lo, v58, v58
	v_add3_u32 v63, v64, v55, 0x7fff
	v_or_b32_e32 v64, 0x400000, v55
	v_bfe_u32 v65, v60, 16, 1
	v_and_b32_e32 v53, 0xffff0000, v53
	v_cndmask_b32_e32 v58, v61, v62, vcc_lo
	v_cmp_u_f32_e32 vcc_lo, v55, v55
	v_or_b32_e32 v62, 0x400000, v60
	v_add3_u32 v61, v65, v60, 0x7fff
	v_mul_f32_e32 v56, v50, v56
	v_add_f32_e32 v52, v52, v59
	v_cndmask_b32_e32 v55, v63, v64, vcc_lo
	v_cmp_u_f32_e32 vcc_lo, v60, v60
	v_add_f32_e32 v53, v53, v54
	v_and_b32_e32 v58, 0xffff0000, v58
	v_and_b32_e32 v54, 0xffff0000, v55
	;; [unrolled: 1-line block ×3, first 2 shown]
	v_cndmask_b32_e32 v60, v61, v62, vcc_lo
	v_bfe_u32 v61, v56, 16, 1
	v_add_f32_e32 v52, v53, v52
	v_add_f32_e32 v54, v54, v58
	v_mul_f32_e32 v53, v0, v55
	v_lshlrev_b32_e32 v41, 16, v41
	v_add3_u32 v59, v61, v56, 0x7fff
	v_or_b32_e32 v61, 0x400000, v56
	v_cmp_u_f32_e32 vcc_lo, v56, v56
	v_bfe_u32 v56, v53, 16, 1
	v_add_f32_e32 v52, v54, v52
	v_mul_f32_e32 v41, v49, v41
	v_and_b32_e32 v54, 0xffff0000, v42
	v_cndmask_b32_e32 v55, v59, v61, vcc_lo
	v_add3_u32 v56, v56, v53, 0x7fff
	v_or_b32_e32 v58, 0x400000, v53
	v_bfe_u32 v59, v41, 16, 1
	v_mul_f32_e32 v54, v46, v54
	v_lshlrev_b32_e32 v42, 16, v42
	v_cmp_u_f32_e32 vcc_lo, v53, v53
	v_and_b32_e32 v61, 0xffff0000, v43
	v_lshlrev_b32_e32 v43, 16, v43
	v_and_b32_e32 v62, 0xffff0000, v44
	v_mul_f32_e32 v42, v48, v42
	v_cndmask_b32_e32 v53, v56, v58, vcc_lo
	v_add3_u32 v56, v59, v41, 0x7fff
	v_or_b32_e32 v58, 0x400000, v41
	v_bfe_u32 v59, v54, 16, 1
	v_cmp_u_f32_e32 vcc_lo, v41, v41
	v_mul_f32_e32 v61, v45, v61
	v_mul_f32_e32 v43, v51, v43
	v_lshlrev_b32_e32 v44, 16, v44
	v_and_b32_e32 v53, 0xffff0000, v53
	v_cndmask_b32_e32 v41, v56, v58, vcc_lo
	v_add3_u32 v56, v59, v54, 0x7fff
	v_or_b32_e32 v58, 0x400000, v54
	v_bfe_u32 v59, v42, 16, 1
	v_cmp_u_f32_e32 vcc_lo, v54, v54
	v_mul_f32_e32 v44, v50, v44
	v_or_b32_e32 v63, 0x400000, v43
	v_and_b32_e32 v41, 0xffff0000, v41
	v_and_b32_e32 v55, 0xffff0000, v55
	v_cndmask_b32_e32 v54, v56, v58, vcc_lo
	v_add3_u32 v56, v59, v42, 0x7fff
	v_or_b32_e32 v58, 0x400000, v42
	v_bfe_u32 v59, v61, 16, 1
	v_cmp_u_f32_e32 vcc_lo, v42, v42
	v_bfe_u32 v65, v44, 16, 1
	v_and_b32_e32 v54, 0xffff0000, v54
	v_add_f32_e32 v41, v41, v53
	v_cndmask_b32_e32 v42, v56, v58, vcc_lo
	v_bfe_u32 v56, v43, 16, 1
	v_add3_u32 v58, v59, v61, 0x7fff
	v_mul_f32_e32 v59, v47, v62
	v_or_b32_e32 v62, 0x400000, v61
	v_cmp_u_f32_e32 vcc_lo, v61, v61
	v_add3_u32 v56, v56, v43, 0x7fff
	v_add3_u32 v61, v65, v44, 0x7fff
	v_bfe_u32 v64, v59, 16, 1
	v_and_b32_e32 v42, 0xffff0000, v42
	v_cndmask_b32_e32 v58, v58, v62, vcc_lo
	v_cmp_u_f32_e32 vcc_lo, v43, v43
	v_or_b32_e32 v62, 0x400000, v44
	v_add_f32_e32 v42, v42, v54
	v_and_b32_e32 v53, 0xffff0000, v58
	v_cndmask_b32_e32 v43, v56, v63, vcc_lo
	v_cmp_u_f32_e32 vcc_lo, v44, v44
	v_add3_u32 v56, v64, v59, 0x7fff
	v_or_b32_e32 v63, 0x400000, v59
	v_add_f32_e32 v41, v42, v41
	v_and_b32_e32 v43, 0xffff0000, v43
	v_cndmask_b32_e32 v44, v61, v62, vcc_lo
	v_cmp_u_f32_e32 vcc_lo, v59, v59
	v_add_f32_e32 v42, v43, v53
	v_and_b32_e32 v43, 0xffff0000, v44
	v_cndmask_b32_e32 v54, v56, v63, vcc_lo
	v_and_b32_e32 v56, 0xffff0000, v60
	v_and_b32_e32 v53, 0xffff0000, v37
	v_lshlrev_b32_e32 v37, 16, v37
	v_add_f32_e32 v41, v42, v41
	v_and_b32_e32 v44, 0xffff0000, v54
	v_add_f32_e32 v54, v55, v56
	v_mul_f32_e32 v37, v49, v37
	v_add_f32_e32 v42, v43, v44
	v_mul_f32_e32 v43, v0, v53
	v_add_f32_e32 v44, v54, v52
	v_and_b32_e32 v52, 0xffff0000, v38
	v_lshlrev_b32_e32 v38, 16, v38
	v_add_f32_e32 v41, v42, v41
	v_bfe_u32 v42, v43, 16, 1
	v_add_f32_e32 v86, v86, v44
	v_bfe_u32 v44, v37, 16, 1
	v_mul_f32_e32 v52, v46, v52
	v_add_f32_e32 v87, v87, v41
	v_add3_u32 v41, v42, v43, 0x7fff
	v_or_b32_e32 v42, 0x400000, v43
	v_cmp_u_f32_e32 vcc_lo, v43, v43
	v_add3_u32 v44, v44, v37, 0x7fff
	v_or_b32_e32 v53, 0x400000, v37
	v_mul_f32_e32 v38, v48, v38
	v_and_b32_e32 v43, 0xffff0000, v39
	v_cndmask_b32_e32 v41, v41, v42, vcc_lo
	v_bfe_u32 v42, v52, 16, 1
	v_cmp_u_f32_e32 vcc_lo, v37, v37
	v_lshlrev_b32_e32 v39, 16, v39
	v_mul_f32_e32 v43, v45, v43
	v_and_b32_e32 v54, 0xffff0000, v40
	v_add3_u32 v42, v42, v52, 0x7fff
	v_cndmask_b32_e32 v37, v44, v53, vcc_lo
	v_or_b32_e32 v44, 0x400000, v52
	v_bfe_u32 v53, v38, 16, 1
	v_cmp_u_f32_e32 vcc_lo, v52, v52
	v_mul_f32_e32 v39, v51, v39
	v_or_b32_e32 v52, 0x400000, v38
	v_lshlrev_b32_e32 v40, 16, v40
	v_and_b32_e32 v37, 0xffff0000, v37
	v_cndmask_b32_e32 v42, v42, v44, vcc_lo
	v_add3_u32 v44, v53, v38, 0x7fff
	v_bfe_u32 v53, v43, 16, 1
	v_cmp_u_f32_e32 vcc_lo, v38, v38
	v_bfe_u32 v55, v39, 16, 1
	v_mul_f32_e32 v40, v50, v40
	v_and_b32_e32 v41, 0xffff0000, v41
	v_and_b32_e32 v42, 0xffff0000, v42
	v_cndmask_b32_e32 v38, v44, v52, vcc_lo
	v_add3_u32 v44, v53, v43, 0x7fff
	v_mul_f32_e32 v52, v47, v54
	v_or_b32_e32 v53, 0x400000, v43
	v_cmp_u_f32_e32 vcc_lo, v43, v43
	v_add3_u32 v54, v55, v39, 0x7fff
	v_or_b32_e32 v55, 0x400000, v39
	v_bfe_u32 v56, v52, 16, 1
	v_and_b32_e32 v38, 0xffff0000, v38
	v_cndmask_b32_e32 v43, v44, v53, vcc_lo
	v_cmp_u_f32_e32 vcc_lo, v39, v39
	v_or_b32_e32 v53, 0x400000, v52
	v_add3_u32 v44, v56, v52, 0x7fff
	v_add_f32_e32 v37, v37, v41
	v_add_f32_e32 v38, v38, v42
	v_cndmask_b32_e32 v39, v54, v55, vcc_lo
	v_bfe_u32 v54, v40, 16, 1
	v_cmp_u_f32_e32 vcc_lo, v52, v52
	v_and_b32_e32 v41, 0xffff0000, v33
	v_and_b32_e32 v42, 0xffff0000, v43
	;; [unrolled: 1-line block ×3, first 2 shown]
	v_add3_u32 v52, v54, v40, 0x7fff
	v_cndmask_b32_e32 v44, v44, v53, vcc_lo
	v_or_b32_e32 v53, 0x400000, v40
	v_cmp_u_f32_e32 vcc_lo, v40, v40
	v_add_f32_e32 v37, v38, v37
	v_mul_f32_e32 v38, v0, v41
	v_add_f32_e32 v39, v39, v42
	v_lshlrev_b32_e32 v33, 16, v33
	v_cndmask_b32_e32 v40, v52, v53, vcc_lo
	v_and_b32_e32 v41, 0xffff0000, v44
	v_bfe_u32 v42, v38, 16, 1
	v_add_f32_e32 v37, v39, v37
	v_mul_f32_e32 v33, v49, v33
	v_and_b32_e32 v40, 0xffff0000, v40
	v_and_b32_e32 v39, 0xffff0000, v34
	v_lshlrev_b32_e32 v34, 16, v34
	v_cmp_u_f32_e32 vcc_lo, v38, v38
	v_bfe_u32 v43, v33, 16, 1
	v_add_f32_e32 v40, v40, v41
	v_add3_u32 v41, v42, v38, 0x7fff
	v_or_b32_e32 v42, 0x400000, v38
	v_mul_f32_e32 v39, v46, v39
	v_mul_f32_e32 v34, v48, v34
	v_and_b32_e32 v44, 0xffff0000, v35
	v_lshlrev_b32_e32 v35, 16, v35
	v_cndmask_b32_e32 v38, v41, v42, vcc_lo
	v_add3_u32 v41, v43, v33, 0x7fff
	v_or_b32_e32 v42, 0x400000, v33
	v_bfe_u32 v43, v39, 16, 1
	v_cmp_u_f32_e32 vcc_lo, v33, v33
	v_mul_f32_e32 v44, v45, v44
	v_mul_f32_e32 v35, v51, v35
	v_and_b32_e32 v52, 0xffff0000, v36
	v_lshlrev_b32_e32 v36, 16, v36
	v_cndmask_b32_e32 v33, v41, v42, vcc_lo
	v_add3_u32 v41, v43, v39, 0x7fff
	v_or_b32_e32 v42, 0x400000, v39
	v_bfe_u32 v43, v34, 16, 1
	v_cmp_u_f32_e32 vcc_lo, v39, v39
	v_mul_f32_e32 v36, v50, v36
	v_or_b32_e32 v53, 0x400000, v35
	v_and_b32_e32 v33, 0xffff0000, v33
	v_and_b32_e32 v38, 0xffff0000, v38
	v_cndmask_b32_e32 v39, v41, v42, vcc_lo
	v_add3_u32 v41, v43, v34, 0x7fff
	v_or_b32_e32 v42, 0x400000, v34
	v_bfe_u32 v43, v44, 16, 1
	v_cmp_u_f32_e32 vcc_lo, v34, v34
	v_and_b32_e32 v39, 0xffff0000, v39
	v_add_f32_e32 v33, v33, v38
	v_add_f32_e32 v37, v40, v37
	v_cndmask_b32_e32 v34, v41, v42, vcc_lo
	v_bfe_u32 v41, v35, 16, 1
	v_add3_u32 v42, v43, v44, 0x7fff
	v_mul_f32_e32 v43, v47, v52
	v_or_b32_e32 v52, 0x400000, v44
	v_cmp_u_f32_e32 vcc_lo, v44, v44
	v_add3_u32 v41, v41, v35, 0x7fff
	v_bfe_u32 v44, v36, 16, 1
	v_bfe_u32 v54, v43, 16, 1
	v_and_b32_e32 v34, 0xffff0000, v34
	v_cndmask_b32_e32 v42, v42, v52, vcc_lo
	v_cmp_u_f32_e32 vcc_lo, v35, v35
	v_add3_u32 v44, v44, v36, 0x7fff
	v_or_b32_e32 v52, 0x400000, v43
	v_add_f32_e32 v34, v34, v39
	v_and_b32_e32 v38, 0xffff0000, v42
	v_cndmask_b32_e32 v35, v41, v53, vcc_lo
	v_or_b32_e32 v53, 0x400000, v36
	v_cmp_u_f32_e32 vcc_lo, v36, v36
	v_add3_u32 v41, v54, v43, 0x7fff
	v_add_f32_e32 v33, v34, v33
	v_and_b32_e32 v35, 0xffff0000, v35
	v_add_f32_e32 v88, v88, v37
	v_cndmask_b32_e32 v36, v44, v53, vcc_lo
	v_cmp_u_f32_e32 vcc_lo, v43, v43
	v_add_f32_e32 v34, v35, v38
	v_and_b32_e32 v35, 0xffff0000, v29
	v_and_b32_e32 v36, 0xffff0000, v36
	v_cndmask_b32_e32 v39, v41, v52, vcc_lo
	v_lshlrev_b32_e32 v29, 16, v29
	v_add_f32_e32 v33, v34, v33
	v_mul_f32_e32 v35, v0, v35
	v_and_b32_e32 v38, 0xffff0000, v39
	v_mul_f32_e32 v29, v49, v29
	v_cmp_u_f32_e32 vcc_lo, v35, v35
	v_add_f32_e32 v34, v36, v38
	v_and_b32_e32 v36, 0xffff0000, v30
	v_bfe_u32 v38, v35, 16, 1
	v_bfe_u32 v37, v29, 16, 1
	v_or_b32_e32 v39, 0x400000, v29
	v_add_f32_e32 v33, v34, v33
	v_mul_f32_e32 v34, v46, v36
	v_add3_u32 v36, v38, v35, 0x7fff
	v_or_b32_e32 v38, 0x400000, v35
	v_add3_u32 v37, v37, v29, 0x7fff
	v_lshlrev_b32_e32 v30, 16, v30
	v_bfe_u32 v40, v34, 16, 1
	v_add_f32_e32 v89, v89, v33
	v_cndmask_b32_e32 v35, v36, v38, vcc_lo
	v_cmp_u_f32_e32 vcc_lo, v29, v29
	v_mul_f32_e32 v30, v48, v30
	v_add3_u32 v36, v40, v34, 0x7fff
	v_and_b32_e32 v38, 0xffff0000, v31
	v_lshlrev_b32_e32 v31, 16, v31
	v_cndmask_b32_e32 v29, v37, v39, vcc_lo
	v_or_b32_e32 v37, 0x400000, v34
	v_cmp_u_f32_e32 vcc_lo, v34, v34
	v_bfe_u32 v39, v30, 16, 1
	v_mul_f32_e32 v31, v51, v31
	v_and_b32_e32 v29, 0xffff0000, v29
	v_and_b32_e32 v35, 0xffff0000, v35
	v_cndmask_b32_e32 v34, v36, v37, vcc_lo
	v_mul_f32_e32 v36, v45, v38
	v_add3_u32 v37, v39, v30, 0x7fff
	v_or_b32_e32 v38, 0x400000, v30
	v_and_b32_e32 v39, 0xffff0000, v32
	v_cmp_u_f32_e32 vcc_lo, v30, v30
	v_bfe_u32 v40, v36, 16, 1
	v_bfe_u32 v41, v31, 16, 1
	v_lshlrev_b32_e32 v32, 16, v32
	v_and_b32_e32 v34, 0xffff0000, v34
	v_cndmask_b32_e32 v30, v37, v38, vcc_lo
	v_mul_f32_e32 v37, v47, v39
	v_add3_u32 v38, v40, v36, 0x7fff
	v_or_b32_e32 v39, 0x400000, v36
	v_cmp_u_f32_e32 vcc_lo, v36, v36
	v_add3_u32 v40, v41, v31, 0x7fff
	v_or_b32_e32 v41, 0x400000, v31
	v_bfe_u32 v42, v37, 16, 1
	v_and_b32_e32 v30, 0xffff0000, v30
	v_cndmask_b32_e32 v36, v38, v39, vcc_lo
	v_cmp_u_f32_e32 vcc_lo, v31, v31
	v_or_b32_e32 v39, 0x400000, v37
	v_add3_u32 v38, v42, v37, 0x7fff
	v_mul_f32_e32 v32, v50, v32
	v_add_f32_e32 v29, v29, v35
	v_cndmask_b32_e32 v31, v40, v41, vcc_lo
	v_cmp_u_f32_e32 vcc_lo, v37, v37
	v_add_f32_e32 v30, v30, v34
	v_and_b32_e32 v34, 0xffff0000, v25
	v_and_b32_e32 v35, 0xffff0000, v36
	;; [unrolled: 1-line block ×3, first 2 shown]
	v_cndmask_b32_e32 v37, v38, v39, vcc_lo
	v_bfe_u32 v38, v32, 16, 1
	v_add_f32_e32 v29, v30, v29
	v_mul_f32_e32 v30, v0, v34
	v_add_f32_e32 v31, v31, v35
	v_lshlrev_b32_e32 v25, 16, v25
	v_add3_u32 v36, v38, v32, 0x7fff
	v_or_b32_e32 v38, 0x400000, v32
	v_cmp_u_f32_e32 vcc_lo, v32, v32
	v_bfe_u32 v34, v30, 16, 1
	v_add_f32_e32 v29, v31, v29
	v_mul_f32_e32 v25, v49, v25
	v_and_b32_e32 v31, 0xffff0000, v26
	v_cndmask_b32_e32 v32, v36, v38, vcc_lo
	v_add3_u32 v34, v34, v30, 0x7fff
	v_or_b32_e32 v35, 0x400000, v30
	v_bfe_u32 v36, v25, 16, 1
	v_mul_f32_e32 v31, v46, v31
	v_lshlrev_b32_e32 v26, 16, v26
	v_cmp_u_f32_e32 vcc_lo, v30, v30
	v_and_b32_e32 v38, 0xffff0000, v27
	v_lshlrev_b32_e32 v27, 16, v27
	v_and_b32_e32 v39, 0xffff0000, v28
	v_mul_f32_e32 v26, v48, v26
	v_cndmask_b32_e32 v30, v34, v35, vcc_lo
	v_add3_u32 v34, v36, v25, 0x7fff
	v_or_b32_e32 v35, 0x400000, v25
	v_bfe_u32 v36, v31, 16, 1
	v_cmp_u_f32_e32 vcc_lo, v25, v25
	v_mul_f32_e32 v38, v45, v38
	v_mul_f32_e32 v27, v51, v27
	v_lshlrev_b32_e32 v28, 16, v28
	v_and_b32_e32 v30, 0xffff0000, v30
	v_cndmask_b32_e32 v25, v34, v35, vcc_lo
	v_add3_u32 v34, v36, v31, 0x7fff
	v_or_b32_e32 v35, 0x400000, v31
	v_bfe_u32 v36, v26, 16, 1
	v_cmp_u_f32_e32 vcc_lo, v31, v31
	v_mul_f32_e32 v28, v50, v28
	v_or_b32_e32 v40, 0x400000, v27
	v_and_b32_e32 v25, 0xffff0000, v25
	v_and_b32_e32 v32, 0xffff0000, v32
	v_cndmask_b32_e32 v31, v34, v35, vcc_lo
	v_add3_u32 v34, v36, v26, 0x7fff
	v_or_b32_e32 v35, 0x400000, v26
	v_bfe_u32 v36, v38, 16, 1
	v_cmp_u_f32_e32 vcc_lo, v26, v26
	v_bfe_u32 v42, v28, 16, 1
	v_and_b32_e32 v31, 0xffff0000, v31
	v_add_f32_e32 v25, v25, v30
	v_cndmask_b32_e32 v26, v34, v35, vcc_lo
	v_bfe_u32 v34, v27, 16, 1
	v_add3_u32 v35, v36, v38, 0x7fff
	v_mul_f32_e32 v36, v47, v39
	v_or_b32_e32 v39, 0x400000, v38
	v_cmp_u_f32_e32 vcc_lo, v38, v38
	v_add3_u32 v34, v34, v27, 0x7fff
	v_add3_u32 v38, v42, v28, 0x7fff
	v_bfe_u32 v41, v36, 16, 1
	v_and_b32_e32 v26, 0xffff0000, v26
	v_cndmask_b32_e32 v35, v35, v39, vcc_lo
	v_cmp_u_f32_e32 vcc_lo, v27, v27
	v_or_b32_e32 v39, 0x400000, v28
	v_add_f32_e32 v26, v26, v31
	v_and_b32_e32 v30, 0xffff0000, v35
	v_cndmask_b32_e32 v27, v34, v40, vcc_lo
	v_cmp_u_f32_e32 vcc_lo, v28, v28
	v_add3_u32 v34, v41, v36, 0x7fff
	v_or_b32_e32 v40, 0x400000, v36
	v_add_f32_e32 v25, v26, v25
	v_and_b32_e32 v27, 0xffff0000, v27
	v_cndmask_b32_e32 v28, v38, v39, vcc_lo
	v_cmp_u_f32_e32 vcc_lo, v36, v36
	v_add_f32_e32 v26, v27, v30
	v_and_b32_e32 v27, 0xffff0000, v28
	v_cndmask_b32_e32 v31, v34, v40, vcc_lo
	v_and_b32_e32 v34, 0xffff0000, v37
	v_and_b32_e32 v30, 0xffff0000, v17
	v_lshlrev_b32_e32 v17, 16, v17
	v_add_f32_e32 v25, v26, v25
	v_and_b32_e32 v28, 0xffff0000, v31
	v_add_f32_e32 v31, v32, v34
	v_mul_f32_e32 v17, v49, v17
	v_add_f32_e32 v26, v27, v28
	v_mul_f32_e32 v27, v0, v30
	v_add_f32_e32 v28, v31, v29
	v_and_b32_e32 v29, 0xffff0000, v18
	v_lshlrev_b32_e32 v18, 16, v18
	v_add_f32_e32 v25, v26, v25
	v_bfe_u32 v26, v27, 16, 1
	v_add_f32_e32 v90, v90, v28
	v_bfe_u32 v28, v17, 16, 1
	v_mul_f32_e32 v29, v46, v29
	v_add_f32_e32 v91, v91, v25
	v_add3_u32 v25, v26, v27, 0x7fff
	v_or_b32_e32 v26, 0x400000, v27
	v_cmp_u_f32_e32 vcc_lo, v27, v27
	v_add3_u32 v28, v28, v17, 0x7fff
	v_or_b32_e32 v30, 0x400000, v17
	v_mul_f32_e32 v18, v48, v18
	v_and_b32_e32 v27, 0xffff0000, v19
	v_cndmask_b32_e32 v25, v25, v26, vcc_lo
	v_bfe_u32 v26, v29, 16, 1
	v_cmp_u_f32_e32 vcc_lo, v17, v17
	v_lshlrev_b32_e32 v19, 16, v19
	v_mul_f32_e32 v27, v45, v27
	v_and_b32_e32 v31, 0xffff0000, v20
	v_add3_u32 v26, v26, v29, 0x7fff
	v_cndmask_b32_e32 v17, v28, v30, vcc_lo
	v_or_b32_e32 v28, 0x400000, v29
	v_bfe_u32 v30, v18, 16, 1
	v_cmp_u_f32_e32 vcc_lo, v29, v29
	v_mul_f32_e32 v19, v51, v19
	v_or_b32_e32 v29, 0x400000, v18
	v_lshlrev_b32_e32 v20, 16, v20
	v_and_b32_e32 v17, 0xffff0000, v17
	v_cndmask_b32_e32 v26, v26, v28, vcc_lo
	v_add3_u32 v28, v30, v18, 0x7fff
	v_bfe_u32 v30, v27, 16, 1
	v_cmp_u_f32_e32 vcc_lo, v18, v18
	v_bfe_u32 v32, v19, 16, 1
	v_mul_f32_e32 v20, v50, v20
	v_and_b32_e32 v25, 0xffff0000, v25
	v_and_b32_e32 v26, 0xffff0000, v26
	v_cndmask_b32_e32 v18, v28, v29, vcc_lo
	v_add3_u32 v28, v30, v27, 0x7fff
	v_mul_f32_e32 v29, v47, v31
	v_or_b32_e32 v30, 0x400000, v27
	v_cmp_u_f32_e32 vcc_lo, v27, v27
	v_add3_u32 v31, v32, v19, 0x7fff
	v_or_b32_e32 v32, 0x400000, v19
	v_bfe_u32 v33, v29, 16, 1
	v_and_b32_e32 v18, 0xffff0000, v18
	v_cndmask_b32_e32 v27, v28, v30, vcc_lo
	v_cmp_u_f32_e32 vcc_lo, v19, v19
	v_or_b32_e32 v30, 0x400000, v29
	v_add3_u32 v28, v33, v29, 0x7fff
	v_add_f32_e32 v17, v17, v25
	v_add_f32_e32 v18, v18, v26
	v_cndmask_b32_e32 v19, v31, v32, vcc_lo
	v_bfe_u32 v31, v20, 16, 1
	v_cmp_u_f32_e32 vcc_lo, v29, v29
	v_and_b32_e32 v26, 0xffff0000, v13
	v_and_b32_e32 v25, 0xffff0000, v27
	v_and_b32_e32 v19, 0xffff0000, v19
	v_add3_u32 v29, v31, v20, 0x7fff
	v_cndmask_b32_e32 v28, v28, v30, vcc_lo
	v_or_b32_e32 v30, 0x400000, v20
	v_cmp_u_f32_e32 vcc_lo, v20, v20
	v_lshlrev_b32_e32 v13, 16, v13
	v_add_f32_e32 v17, v18, v17
	v_mul_f32_e32 v18, v0, v26
	v_add_f32_e32 v19, v19, v25
	v_cndmask_b32_e32 v20, v29, v30, vcc_lo
	v_mul_f32_e32 v13, v49, v13
	v_and_b32_e32 v25, 0xffff0000, v28
	v_bfe_u32 v26, v18, 16, 1
	v_add_f32_e32 v17, v19, v17
	v_and_b32_e32 v20, 0xffff0000, v20
	v_bfe_u32 v19, v13, 16, 1
	v_and_b32_e32 v27, 0xffff0000, v14
	v_cmp_u_f32_e32 vcc_lo, v18, v18
	v_or_b32_e32 v28, 0x400000, v13
	v_add_f32_e32 v20, v20, v25
	v_add3_u32 v25, v26, v18, 0x7fff
	v_or_b32_e32 v26, 0x400000, v18
	v_add3_u32 v19, v19, v13, 0x7fff
	v_mul_f32_e32 v27, v46, v27
	v_lshlrev_b32_e32 v14, 16, v14
	v_and_b32_e32 v29, 0xffff0000, v16
	v_cndmask_b32_e32 v18, v25, v26, vcc_lo
	v_cmp_u_f32_e32 vcc_lo, v13, v13
	v_bfe_u32 v25, v27, 16, 1
	v_mul_f32_e32 v14, v48, v14
	v_or_b32_e32 v26, 0x400000, v27
	v_lshlrev_b32_e32 v16, 16, v16
	v_cndmask_b32_e32 v13, v19, v28, vcc_lo
	v_and_b32_e32 v19, 0xffff0000, v15
	v_add3_u32 v25, v25, v27, 0x7fff
	v_lshlrev_b32_e32 v15, 16, v15
	v_bfe_u32 v28, v14, 16, 1
	v_cmp_u_f32_e32 vcc_lo, v27, v27
	v_mul_f32_e32 v19, v45, v19
	v_or_b32_e32 v27, 0x400000, v14
	v_mul_f32_e32 v15, v51, v15
	v_mul_f32_e32 v16, v50, v16
	v_cndmask_b32_e32 v25, v25, v26, vcc_lo
	v_add3_u32 v26, v28, v14, 0x7fff
	v_bfe_u32 v28, v19, 16, 1
	v_cmp_u_f32_e32 vcc_lo, v14, v14
	v_bfe_u32 v30, v15, 16, 1
	v_and_b32_e32 v13, 0xffff0000, v13
	v_and_b32_e32 v18, 0xffff0000, v18
	;; [unrolled: 1-line block ×3, first 2 shown]
	v_cndmask_b32_e32 v14, v26, v27, vcc_lo
	v_add3_u32 v26, v28, v19, 0x7fff
	v_mul_f32_e32 v27, v47, v29
	v_or_b32_e32 v28, 0x400000, v19
	v_cmp_u_f32_e32 vcc_lo, v19, v19
	v_add3_u32 v29, v30, v15, 0x7fff
	v_or_b32_e32 v30, 0x400000, v15
	v_bfe_u32 v31, v27, 16, 1
	v_and_b32_e32 v14, 0xffff0000, v14
	v_cndmask_b32_e32 v19, v26, v28, vcc_lo
	v_cmp_u_f32_e32 vcc_lo, v15, v15
	v_or_b32_e32 v28, 0x400000, v27
	v_add3_u32 v26, v31, v27, 0x7fff
	v_add_f32_e32 v13, v13, v18
	v_add_f32_e32 v14, v14, v25
	v_cndmask_b32_e32 v15, v29, v30, vcc_lo
	v_bfe_u32 v29, v16, 16, 1
	v_cmp_u_f32_e32 vcc_lo, v27, v27
	v_and_b32_e32 v18, 0xffff0000, v19
	v_add_f32_e32 v13, v14, v13
	v_and_b32_e32 v15, 0xffff0000, v15
	v_add3_u32 v27, v29, v16, 0x7fff
	v_cndmask_b32_e32 v26, v26, v28, vcc_lo
	v_or_b32_e32 v28, 0x400000, v16
	v_cmp_u_f32_e32 vcc_lo, v16, v16
	v_and_b32_e32 v14, 0xffff0000, v9
	v_add_f32_e32 v15, v15, v18
	v_lshlrev_b32_e32 v9, 16, v9
	v_and_b32_e32 v18, 0xffff0000, v26
	v_cndmask_b32_e32 v16, v27, v28, vcc_lo
	v_mul_f32_e32 v14, v0, v14
	v_add_f32_e32 v17, v20, v17
	v_mul_f32_e32 v19, v49, v9
	v_add_f32_e32 v9, v15, v13
	v_and_b32_e32 v16, 0xffff0000, v16
	v_bfe_u32 v15, v14, 16, 1
	v_add_f32_e32 v92, v92, v17
	v_and_b32_e32 v17, 0xffff0000, v10
	v_cmp_u_f32_e32 vcc_lo, v14, v14
	v_add_f32_e32 v13, v16, v18
	v_bfe_u32 v16, v19, 16, 1
	v_or_b32_e32 v18, 0x400000, v19
	v_mul_f32_e32 v17, v46, v17
	v_lshlrev_b32_e32 v10, 16, v10
	v_add_f32_e32 v9, v13, v9
	v_add3_u32 v13, v15, v14, 0x7fff
	v_or_b32_e32 v15, 0x400000, v14
	v_add3_u32 v16, v16, v19, 0x7fff
	v_bfe_u32 v14, v17, 16, 1
	v_mul_f32_e32 v10, v48, v10
	v_and_b32_e32 v20, 0xffff0000, v12
	v_cndmask_b32_e32 v13, v13, v15, vcc_lo
	v_cmp_u_f32_e32 vcc_lo, v19, v19
	v_add3_u32 v14, v14, v17, 0x7fff
	v_bfe_u32 v19, v10, 16, 1
	v_lshlrev_b32_e32 v12, 16, v12
	v_and_b32_e32 v13, 0xffff0000, v13
	v_cndmask_b32_e32 v15, v16, v18, vcc_lo
	v_and_b32_e32 v16, 0xffff0000, v11
	v_or_b32_e32 v18, 0x400000, v17
	v_lshlrev_b32_e32 v11, 16, v11
	v_cmp_u_f32_e32 vcc_lo, v17, v17
	v_add3_u32 v17, v19, v10, 0x7fff
	v_mul_f32_e32 v16, v45, v16
	v_mul_f32_e32 v12, v50, v12
	;; [unrolled: 1-line block ×3, first 2 shown]
	v_cndmask_b32_e32 v14, v14, v18, vcc_lo
	v_or_b32_e32 v18, 0x400000, v10
	v_bfe_u32 v19, v16, 16, 1
	v_cmp_u_f32_e32 vcc_lo, v10, v10
	v_bfe_u32 v25, v11, 16, 1
	v_and_b32_e32 v15, 0xffff0000, v15
	v_and_b32_e32 v14, 0xffff0000, v14
	v_add_f32_e32 v93, v93, v9
	v_cndmask_b32_e32 v10, v17, v18, vcc_lo
	v_add3_u32 v17, v19, v16, 0x7fff
	v_mul_f32_e32 v18, v47, v20
	v_or_b32_e32 v19, 0x400000, v16
	v_cmp_u_f32_e32 vcc_lo, v16, v16
	v_add3_u32 v20, v25, v11, 0x7fff
	v_or_b32_e32 v25, 0x400000, v11
	v_bfe_u32 v26, v18, 16, 1
	v_and_b32_e32 v10, 0xffff0000, v10
	v_cndmask_b32_e32 v16, v17, v19, vcc_lo
	v_cmp_u_f32_e32 vcc_lo, v11, v11
	v_or_b32_e32 v19, 0x400000, v18
	v_add3_u32 v17, v26, v18, 0x7fff
	v_add_f32_e32 v13, v15, v13
	v_add_f32_e32 v10, v10, v14
	v_cndmask_b32_e32 v11, v20, v25, vcc_lo
	v_bfe_u32 v20, v12, 16, 1
	v_cmp_u_f32_e32 vcc_lo, v18, v18
	v_and_b32_e32 v15, 0xffff0000, v5
	v_and_b32_e32 v14, 0xffff0000, v16
	;; [unrolled: 1-line block ×3, first 2 shown]
	v_add3_u32 v18, v20, v12, 0x7fff
	v_cndmask_b32_e32 v17, v17, v19, vcc_lo
	v_or_b32_e32 v19, 0x400000, v12
	v_cmp_u_f32_e32 vcc_lo, v12, v12
	v_lshlrev_b32_e32 v5, 16, v5
	v_add_f32_e32 v10, v10, v13
	v_mul_f32_e32 v13, v0, v15
	v_add_f32_e32 v11, v11, v14
	v_cndmask_b32_e32 v12, v18, v19, vcc_lo
	v_mul_f32_e32 v14, v49, v5
	v_and_b32_e32 v15, 0xffff0000, v17
	v_and_b32_e32 v16, 0xffff0000, v6
	v_bfe_u32 v17, v13, 16, 1
	v_and_b32_e32 v12, 0xffff0000, v12
	v_add_f32_e32 v5, v11, v10
	v_bfe_u32 v11, v14, 16, 1
	v_cmp_u_f32_e32 vcc_lo, v13, v13
	v_lshlrev_b32_e32 v6, 16, v6
	v_add_f32_e32 v10, v12, v15
	v_mul_f32_e32 v12, v46, v16
	v_add3_u32 v15, v17, v13, 0x7fff
	v_or_b32_e32 v16, 0x400000, v13
	v_add3_u32 v11, v11, v14, 0x7fff
	v_or_b32_e32 v17, 0x400000, v14
	v_bfe_u32 v18, v12, 16, 1
	v_mul_f32_e32 v6, v48, v6
	v_cndmask_b32_e32 v13, v15, v16, vcc_lo
	v_cmp_u_f32_e32 vcc_lo, v14, v14
	v_or_b32_e32 v15, 0x400000, v12
	v_add3_u32 v14, v18, v12, 0x7fff
	v_and_b32_e32 v16, 0xffff0000, v7
	v_lshlrev_b32_e32 v7, 16, v7
	v_cndmask_b32_e32 v11, v11, v17, vcc_lo
	v_cmp_u_f32_e32 vcc_lo, v12, v12
	v_bfe_u32 v17, v6, 16, 1
	v_and_b32_e32 v13, 0xffff0000, v13
	v_mul_f32_e32 v7, v51, v7
	v_and_b32_e32 v11, 0xffff0000, v11
	v_cndmask_b32_e32 v12, v14, v15, vcc_lo
	v_mul_f32_e32 v14, v45, v16
	v_add3_u32 v15, v17, v6, 0x7fff
	v_or_b32_e32 v16, 0x400000, v6
	v_and_b32_e32 v17, 0xffff0000, v8
	v_cmp_u_f32_e32 vcc_lo, v6, v6
	v_bfe_u32 v18, v14, 16, 1
	v_bfe_u32 v19, v7, 16, 1
	v_lshlrev_b32_e32 v8, 16, v8
	v_and_b32_e32 v12, 0xffff0000, v12
	v_cndmask_b32_e32 v6, v15, v16, vcc_lo
	v_mul_f32_e32 v15, v47, v17
	v_add3_u32 v16, v18, v14, 0x7fff
	v_or_b32_e32 v17, 0x400000, v14
	v_cmp_u_f32_e32 vcc_lo, v14, v14
	v_add3_u32 v18, v19, v7, 0x7fff
	v_or_b32_e32 v19, 0x400000, v7
	v_bfe_u32 v20, v15, 16, 1
	v_and_b32_e32 v6, 0xffff0000, v6
	v_cndmask_b32_e32 v14, v16, v17, vcc_lo
	v_cmp_u_f32_e32 vcc_lo, v7, v7
	v_or_b32_e32 v17, 0x400000, v15
	v_add3_u32 v16, v20, v15, 0x7fff
	v_mul_f32_e32 v8, v50, v8
	v_add_f32_e32 v11, v11, v13
	v_cndmask_b32_e32 v7, v18, v19, vcc_lo
	v_cmp_u_f32_e32 vcc_lo, v15, v15
	v_add_f32_e32 v6, v6, v12
	v_and_b32_e32 v12, 0xffff0000, v1
	v_and_b32_e32 v13, 0xffff0000, v14
	;; [unrolled: 1-line block ×3, first 2 shown]
	v_cndmask_b32_e32 v15, v16, v17, vcc_lo
	v_bfe_u32 v16, v8, 16, 1
	v_add_f32_e32 v6, v6, v11
	v_mul_f32_e32 v11, v0, v12
	v_add_f32_e32 v7, v7, v13
	v_lshlrev_b32_e32 v1, 16, v1
	v_add3_u32 v14, v16, v8, 0x7fff
	v_or_b32_e32 v16, 0x400000, v8
	v_cmp_u_f32_e32 vcc_lo, v8, v8
	v_bfe_u32 v12, v11, 16, 1
	v_add_f32_e32 v6, v7, v6
	v_and_b32_e32 v7, 0xffff0000, v2
	v_mul_f32_e32 v1, v49, v1
	v_cndmask_b32_e32 v8, v14, v16, vcc_lo
	v_add3_u32 v12, v12, v11, 0x7fff
	v_or_b32_e32 v13, 0x400000, v11
	v_mul_f32_e32 v7, v46, v7
	v_and_b32_e32 v14, 0xffff0000, v15
	v_bfe_u32 v15, v1, 16, 1
	v_cmp_u_f32_e32 vcc_lo, v11, v11
	v_lshlrev_b32_e32 v2, 16, v2
	v_or_b32_e32 v16, 0x400000, v1
	v_or_b32_e32 v17, 0x400000, v7
	s_waitcnt vmcnt(0)
	v_lshlrev_b32_e32 v19, 16, v24
	v_cndmask_b32_e32 v11, v12, v13, vcc_lo
	v_bfe_u32 v12, v7, 16, 1
	v_add3_u32 v13, v15, v1, 0x7fff
	v_and_b32_e32 v15, 0xffff0000, v3
	v_mul_f32_e32 v2, v48, v2
	v_cmp_u_f32_e32 vcc_lo, v1, v1
	v_add3_u32 v12, v12, v7, 0x7fff
	v_lshlrev_b32_e32 v3, 16, v3
	v_mul_f32_e32 v15, v45, v15
	v_and_b32_e32 v11, 0xffff0000, v11
	v_cndmask_b32_e32 v1, v13, v16, vcc_lo
	v_bfe_u32 v13, v2, 16, 1
	v_cmp_u_f32_e32 vcc_lo, v7, v7
	v_and_b32_e32 v16, 0xffff0000, v4
	v_mul_f32_e32 v3, v51, v3
	v_or_b32_e32 v18, 0x400000, v15
	v_add3_u32 v13, v13, v2, 0x7fff
	v_cndmask_b32_e32 v7, v12, v17, vcc_lo
	v_bfe_u32 v12, v15, 16, 1
	v_or_b32_e32 v17, 0x400000, v2
	v_cmp_u_f32_e32 vcc_lo, v2, v2
	v_mul_f32_e32 v16, v47, v16
	v_lshlrev_b32_e32 v4, 16, v4
	v_add3_u32 v12, v12, v15, 0x7fff
	v_and_b32_e32 v1, 0xffff0000, v1
	v_cndmask_b32_e32 v2, v13, v17, vcc_lo
	v_bfe_u32 v13, v3, 16, 1
	v_cmp_u_f32_e32 vcc_lo, v15, v15
	v_bfe_u32 v17, v16, 16, 1
	v_or_b32_e32 v15, 0x400000, v3
	v_mul_f32_e32 v4, v50, v4
	v_add3_u32 v13, v13, v3, 0x7fff
	v_cndmask_b32_e32 v12, v12, v18, vcc_lo
	v_cmp_u_f32_e32 vcc_lo, v3, v3
	v_add3_u32 v17, v17, v16, 0x7fff
	v_or_b32_e32 v18, 0x400000, v16
	v_and_b32_e32 v2, 0xffff0000, v2
	v_and_b32_e32 v7, 0xffff0000, v7
	v_cndmask_b32_e32 v3, v13, v15, vcc_lo
	v_cmp_u_f32_e32 vcc_lo, v16, v16
	v_bfe_u32 v15, v4, 16, 1
	v_add_f32_e32 v1, v1, v11
	v_add_f32_e32 v2, v2, v7
	v_and_b32_e32 v3, 0xffff0000, v3
	v_cndmask_b32_e32 v13, v17, v18, vcc_lo
	v_lshlrev_b32_e32 v17, 16, v21
	v_and_b32_e32 v7, 0xffff0000, v12
	v_and_b32_e32 v12, 0xffff0000, v21
	v_add3_u32 v15, v15, v4, 0x7fff
	v_or_b32_e32 v16, 0x400000, v4
	v_mul_f32_e32 v11, v49, v17
	v_cmp_u_f32_e32 vcc_lo, v4, v4
	v_add_f32_e32 v1, v2, v1
	v_add_f32_e32 v3, v3, v7
	v_mul_f32_e32 v0, v0, v12
	v_bfe_u32 v2, v11, 16, 1
	v_lshlrev_b32_e32 v7, 16, v22
	v_cndmask_b32_e32 v4, v15, v16, vcc_lo
	v_or_b32_e32 v12, 0x400000, v11
	v_bfe_u32 v15, v0, 16, 1
	v_add3_u32 v2, v2, v11, 0x7fff
	v_mul_f32_e32 v7, v48, v7
	v_and_b32_e32 v16, 0xffff0000, v22
	v_cmp_u_f32_e32 vcc_lo, v11, v11
	v_add3_u32 v11, v15, v0, 0x7fff
	v_lshlrev_b32_e32 v17, 16, v23
	v_bfe_u32 v15, v7, 16, 1
	v_mul_f32_e32 v16, v46, v16
	v_cndmask_b32_e32 v2, v2, v12, vcc_lo
	v_or_b32_e32 v12, 0x400000, v0
	v_cmp_u_f32_e32 vcc_lo, v0, v0
	v_mul_f32_e32 v17, v51, v17
	v_and_b32_e32 v18, 0xffff0000, v23
	v_and_b32_e32 v20, 0xffff0000, v24
	;; [unrolled: 1-line block ×3, first 2 shown]
	v_cndmask_b32_e32 v0, v11, v12, vcc_lo
	v_add3_u32 v11, v15, v7, 0x7fff
	v_or_b32_e32 v12, 0x400000, v7
	v_bfe_u32 v15, v16, 16, 1
	v_cmp_u_f32_e32 vcc_lo, v7, v7
	v_mul_f32_e32 v18, v45, v18
	v_and_b32_e32 v0, 0xffff0000, v0
	v_and_b32_e32 v8, 0xffff0000, v8
	;; [unrolled: 1-line block ×3, first 2 shown]
	v_cndmask_b32_e32 v7, v11, v12, vcc_lo
	v_add3_u32 v11, v15, v16, 0x7fff
	v_or_b32_e32 v12, 0x400000, v16
	v_bfe_u32 v15, v17, 16, 1
	v_cmp_u_f32_e32 vcc_lo, v16, v16
	v_mul_f32_e32 v16, v50, v19
	v_mul_f32_e32 v19, v47, v20
	v_or_b32_e32 v20, 0x400000, v17
	v_add3_u32 v15, v15, v17, 0x7fff
	v_cndmask_b32_e32 v11, v11, v12, vcc_lo
	v_bfe_u32 v12, v18, 16, 1
	v_cmp_u_f32_e32 vcc_lo, v17, v17
	v_or_b32_e32 v21, 0x400000, v18
	v_bfe_u32 v23, v19, 16, 1
	v_bfe_u32 v22, v16, 16, 1
	v_add3_u32 v12, v12, v18, 0x7fff
	v_cndmask_b32_e32 v15, v15, v20, vcc_lo
	v_cmp_u_f32_e32 vcc_lo, v18, v18
	v_add3_u32 v18, v23, v19, 0x7fff
	v_or_b32_e32 v20, 0x400000, v19
	v_add3_u32 v17, v22, v16, 0x7fff
	v_and_b32_e32 v11, 0xffff0000, v11
	v_cndmask_b32_e32 v12, v12, v21, vcc_lo
	v_cmp_u_f32_e32 vcc_lo, v19, v19
	v_and_b32_e32 v7, 0xffff0000, v7
	v_or_b32_e32 v21, 0x400000, v16
	v_add_f32_e32 v0, v2, v0
	v_and_b32_e32 v13, 0xffff0000, v13
	v_cndmask_b32_e32 v18, v18, v20, vcc_lo
	v_cmp_u_f32_e32 vcc_lo, v16, v16
	v_add_f32_e32 v2, v7, v11
	v_and_b32_e32 v7, 0xffff0000, v12
	v_and_b32_e32 v11, 0xffff0000, v15
	v_add_f32_e32 v8, v8, v14
	v_cndmask_b32_e32 v12, v17, v21, vcc_lo
	v_add_f32_e32 v0, v2, v0
	v_add_f32_e32 v1, v3, v1
	;; [unrolled: 1-line block ×3, first 2 shown]
	v_and_b32_e32 v7, 0xffff0000, v18
	v_and_b32_e32 v11, 0xffff0000, v12
	v_add_f32_e32 v3, v4, v13
	v_add_f32_e32 v4, v10, v5
	;; [unrolled: 1-line block ×6, first 2 shown]
	v_cmp_le_i32_e32 vcc_lo, s11, v73
	v_add_f32_e32 v95, v95, v4
	v_add_f32_e32 v96, v96, v5
	;; [unrolled: 1-line block ×4, first 2 shown]
	s_or_b32 s9, vcc_lo, s9
	v_add_f32_e32 v81, v81, v0
	s_andn2_b32 exec_lo, exec_lo, s9
	s_cbranch_execz .LBB186_61
.LBB186_29:                             ; =>This Inner Loop Header: Depth=1
	global_load_dword v0, v[74:75], off
	v_cmp_eq_u32_e64 s0, s5, v73
	v_add_nc_u32_e32 v105, 1, v100
	v_or_b32_e32 v103, 3, v100
	v_or_b32_e32 v104, 2, v100
	;; [unrolled: 1-line block ×5, first 2 shown]
	s_waitcnt vmcnt(0)
	v_mad_i64_i32 v[0:1], null, v0, s6, 0
	v_lshlrev_b64 v[0:1], 1, v[0:1]
	v_add_co_u32 v21, vcc_lo, v98, v0
	v_add_co_ci_u32_e64 v22, null, v99, v1, vcc_lo
	v_or_b32_e32 v0, 6, v100
	global_load_dwordx4 v[1:4], v[21:22], off
	ds_read2_b64 v[49:52], v101 offset1:1
	ds_read2_b64 v[45:48], v101 offset0:2 offset1:3
	s_and_saveexec_b32 s13, s0
	s_cbranch_execnz .LBB186_48
; %bb.30:                               ;   in Loop: Header=BB186_29 Depth=1
	s_or_b32 exec_lo, exec_lo, s13
	global_load_dwordx4 v[5:8], v[21:22], off offset:512
	s_and_saveexec_b32 s13, s0
	s_cbranch_execnz .LBB186_49
.LBB186_31:                             ;   in Loop: Header=BB186_29 Depth=1
	s_or_b32 exec_lo, exec_lo, s13
	global_load_dwordx4 v[9:12], v[21:22], off offset:1024
	s_and_saveexec_b32 s13, s0
	s_cbranch_execnz .LBB186_50
.LBB186_32:                             ;   in Loop: Header=BB186_29 Depth=1
	s_or_b32 exec_lo, exec_lo, s13
	global_load_dwordx4 v[13:16], v[21:22], off offset:1536
	s_and_saveexec_b32 s13, s0
	s_cbranch_execz .LBB186_34
.LBB186_33:                             ;   in Loop: Header=BB186_29 Depth=1
	v_cmp_gt_i32_e64 s1, s25, v100
	v_cmp_gt_i32_e32 vcc_lo, s12, v105
	v_cmp_gt_i32_e64 s2, s25, v104
	s_waitcnt vmcnt(0)
	v_cndmask_b32_e64 v17, 0, v13, s1
	v_cmp_gt_i32_e64 s1, s12, v103
	v_cndmask_b32_sdwa v13, v97, v13, vcc_lo dst_sel:DWORD dst_unused:UNUSED_PAD src0_sel:DWORD src1_sel:WORD_1
	v_cndmask_b32_e64 v18, 0, v14, s2
	v_cmp_gt_i32_e64 s2, s12, v102
	s_mov_b32 vcc_lo, s1
	v_cmp_gt_i32_e64 s1, s12, v76
	v_cndmask_b32_sdwa v14, v97, v14, vcc_lo dst_sel:DWORD dst_unused:UNUSED_PAD src0_sel:DWORD src1_sel:WORD_1
	v_cmp_gt_i32_e32 vcc_lo, s25, v77
	v_perm_b32 v13, v13, v17, 0x5040100
	v_perm_b32 v14, v14, v18, 0x5040100
	v_cndmask_b32_e32 v19, 0, v15, vcc_lo
	s_mov_b32 vcc_lo, s2
	v_cndmask_b32_sdwa v15, v97, v15, vcc_lo dst_sel:DWORD dst_unused:UNUSED_PAD src0_sel:DWORD src1_sel:WORD_1
	v_cmp_gt_i32_e32 vcc_lo, s25, v0
	v_perm_b32 v15, v15, v19, 0x5040100
	v_cndmask_b32_e32 v20, 0, v16, vcc_lo
	s_mov_b32 vcc_lo, s1
	v_cndmask_b32_sdwa v16, v97, v16, vcc_lo dst_sel:DWORD dst_unused:UNUSED_PAD src0_sel:DWORD src1_sel:WORD_1
	v_perm_b32 v16, v16, v20, 0x5040100
.LBB186_34:                             ;   in Loop: Header=BB186_29 Depth=1
	s_or_b32 exec_lo, exec_lo, s13
	v_add_co_u32 v23, vcc_lo, 0x800, v21
	v_add_co_ci_u32_e64 v24, null, 0, v22, vcc_lo
	global_load_dwordx4 v[17:20], v[23:24], off
	s_and_saveexec_b32 s13, s0
	s_cbranch_execnz .LBB186_51
; %bb.35:                               ;   in Loop: Header=BB186_29 Depth=1
	s_or_b32 exec_lo, exec_lo, s13
	global_load_dwordx4 v[25:28], v[23:24], off offset:512
	s_and_saveexec_b32 s13, s0
	s_cbranch_execnz .LBB186_52
.LBB186_36:                             ;   in Loop: Header=BB186_29 Depth=1
	s_or_b32 exec_lo, exec_lo, s13
	global_load_dwordx4 v[29:32], v[23:24], off offset:1024
	s_and_saveexec_b32 s13, s0
	s_cbranch_execnz .LBB186_53
.LBB186_37:                             ;   in Loop: Header=BB186_29 Depth=1
	s_or_b32 exec_lo, exec_lo, s13
	global_load_dwordx4 v[33:36], v[23:24], off offset:1536
	s_and_saveexec_b32 s13, s0
	s_cbranch_execz .LBB186_39
.LBB186_38:                             ;   in Loop: Header=BB186_29 Depth=1
	v_cmp_gt_i32_e64 s1, s25, v100
	v_cmp_gt_i32_e32 vcc_lo, s12, v105
	v_cmp_gt_i32_e64 s2, s25, v104
	s_waitcnt vmcnt(0)
	v_cndmask_b32_e64 v23, 0, v33, s1
	v_cmp_gt_i32_e64 s1, s12, v103
	v_cndmask_b32_sdwa v33, v97, v33, vcc_lo dst_sel:DWORD dst_unused:UNUSED_PAD src0_sel:DWORD src1_sel:WORD_1
	v_cndmask_b32_e64 v24, 0, v34, s2
	v_cmp_gt_i32_e64 s2, s12, v102
	s_mov_b32 vcc_lo, s1
	v_cmp_gt_i32_e64 s1, s12, v76
	v_cndmask_b32_sdwa v34, v97, v34, vcc_lo dst_sel:DWORD dst_unused:UNUSED_PAD src0_sel:DWORD src1_sel:WORD_1
	v_cmp_gt_i32_e32 vcc_lo, s25, v77
	v_perm_b32 v33, v33, v23, 0x5040100
	v_perm_b32 v34, v34, v24, 0x5040100
	v_cndmask_b32_e32 v37, 0, v35, vcc_lo
	s_mov_b32 vcc_lo, s2
	v_cndmask_b32_sdwa v35, v97, v35, vcc_lo dst_sel:DWORD dst_unused:UNUSED_PAD src0_sel:DWORD src1_sel:WORD_1
	v_cmp_gt_i32_e32 vcc_lo, s25, v0
	v_perm_b32 v35, v35, v37, 0x5040100
	v_cndmask_b32_e32 v38, 0, v36, vcc_lo
	s_mov_b32 vcc_lo, s1
	v_cndmask_b32_sdwa v36, v97, v36, vcc_lo dst_sel:DWORD dst_unused:UNUSED_PAD src0_sel:DWORD src1_sel:WORD_1
	v_perm_b32 v36, v36, v38, 0x5040100
.LBB186_39:                             ;   in Loop: Header=BB186_29 Depth=1
	s_or_b32 exec_lo, exec_lo, s13
	v_add_co_u32 v23, vcc_lo, 0x1000, v21
	v_add_co_ci_u32_e64 v24, null, 0, v22, vcc_lo
	global_load_dwordx4 v[37:40], v[23:24], off
	s_and_saveexec_b32 s13, s0
	s_cbranch_execnz .LBB186_54
; %bb.40:                               ;   in Loop: Header=BB186_29 Depth=1
	s_or_b32 exec_lo, exec_lo, s13
	global_load_dwordx4 v[41:44], v[23:24], off offset:512
	s_and_saveexec_b32 s13, s0
	s_cbranch_execnz .LBB186_55
.LBB186_41:                             ;   in Loop: Header=BB186_29 Depth=1
	s_or_b32 exec_lo, exec_lo, s13
	global_load_dwordx4 v[53:56], v[23:24], off offset:1024
	s_and_saveexec_b32 s13, s0
	s_cbranch_execnz .LBB186_56
.LBB186_42:                             ;   in Loop: Header=BB186_29 Depth=1
	s_or_b32 exec_lo, exec_lo, s13
	global_load_dwordx4 v[57:60], v[23:24], off offset:1536
	s_and_saveexec_b32 s13, s0
	s_cbranch_execz .LBB186_44
.LBB186_43:                             ;   in Loop: Header=BB186_29 Depth=1
	v_cmp_gt_i32_e64 s1, s25, v100
	v_cmp_gt_i32_e32 vcc_lo, s12, v105
	v_cmp_gt_i32_e64 s2, s25, v104
	s_waitcnt vmcnt(0)
	v_cndmask_b32_e64 v23, 0, v57, s1
	v_cmp_gt_i32_e64 s1, s12, v103
	v_cndmask_b32_sdwa v57, v97, v57, vcc_lo dst_sel:DWORD dst_unused:UNUSED_PAD src0_sel:DWORD src1_sel:WORD_1
	v_cndmask_b32_e64 v24, 0, v58, s2
	v_cmp_gt_i32_e64 s2, s12, v102
	s_mov_b32 vcc_lo, s1
	v_cmp_gt_i32_e64 s1, s12, v76
	v_cndmask_b32_sdwa v58, v97, v58, vcc_lo dst_sel:DWORD dst_unused:UNUSED_PAD src0_sel:DWORD src1_sel:WORD_1
	v_cmp_gt_i32_e32 vcc_lo, s25, v77
	v_perm_b32 v57, v57, v23, 0x5040100
	v_perm_b32 v58, v58, v24, 0x5040100
	v_cndmask_b32_e32 v61, 0, v59, vcc_lo
	s_mov_b32 vcc_lo, s2
	v_cndmask_b32_sdwa v59, v97, v59, vcc_lo dst_sel:DWORD dst_unused:UNUSED_PAD src0_sel:DWORD src1_sel:WORD_1
	v_cmp_gt_i32_e32 vcc_lo, s25, v0
	v_perm_b32 v59, v59, v61, 0x5040100
	v_cndmask_b32_e32 v62, 0, v60, vcc_lo
	s_mov_b32 vcc_lo, s1
	v_cndmask_b32_sdwa v60, v97, v60, vcc_lo dst_sel:DWORD dst_unused:UNUSED_PAD src0_sel:DWORD src1_sel:WORD_1
	v_perm_b32 v60, v60, v62, 0x5040100
.LBB186_44:                             ;   in Loop: Header=BB186_29 Depth=1
	s_or_b32 exec_lo, exec_lo, s13
	v_add_co_u32 v21, vcc_lo, 0x1800, v21
	v_add_co_ci_u32_e64 v22, null, 0, v22, vcc_lo
	global_load_dwordx4 v[61:64], v[21:22], off
	s_and_saveexec_b32 s13, s0
	s_cbranch_execnz .LBB186_57
; %bb.45:                               ;   in Loop: Header=BB186_29 Depth=1
	s_or_b32 exec_lo, exec_lo, s13
	global_load_dwordx4 v[65:68], v[21:22], off offset:512
	s_and_saveexec_b32 s13, s0
	s_cbranch_execnz .LBB186_58
.LBB186_46:                             ;   in Loop: Header=BB186_29 Depth=1
	s_or_b32 exec_lo, exec_lo, s13
	global_load_dwordx4 v[69:72], v[21:22], off offset:1024
	s_and_saveexec_b32 s13, s0
	s_cbranch_execnz .LBB186_59
.LBB186_47:                             ;   in Loop: Header=BB186_29 Depth=1
	s_or_b32 exec_lo, exec_lo, s13
	global_load_dwordx4 v[21:24], v[21:22], off offset:1536
	s_and_saveexec_b32 s2, s0
	s_cbranch_execz .LBB186_28
	s_branch .LBB186_60
.LBB186_48:                             ;   in Loop: Header=BB186_29 Depth=1
	v_cmp_gt_i32_e64 s1, s25, v100
	v_cmp_gt_i32_e32 vcc_lo, s12, v105
	v_cmp_gt_i32_e64 s2, s25, v104
	s_waitcnt vmcnt(0)
	v_cndmask_b32_e64 v5, 0, v1, s1
	v_cmp_gt_i32_e64 s1, s12, v103
	v_cndmask_b32_sdwa v1, v97, v1, vcc_lo dst_sel:DWORD dst_unused:UNUSED_PAD src0_sel:DWORD src1_sel:WORD_1
	v_cndmask_b32_e64 v6, 0, v2, s2
	v_cmp_gt_i32_e64 s2, s12, v102
	s_mov_b32 vcc_lo, s1
	v_cmp_gt_i32_e64 s1, s12, v76
	v_cndmask_b32_sdwa v2, v97, v2, vcc_lo dst_sel:DWORD dst_unused:UNUSED_PAD src0_sel:DWORD src1_sel:WORD_1
	v_cmp_gt_i32_e32 vcc_lo, s25, v77
	v_perm_b32 v1, v1, v5, 0x5040100
	v_perm_b32 v2, v2, v6, 0x5040100
	v_cndmask_b32_e32 v7, 0, v3, vcc_lo
	s_mov_b32 vcc_lo, s2
	v_cndmask_b32_sdwa v3, v97, v3, vcc_lo dst_sel:DWORD dst_unused:UNUSED_PAD src0_sel:DWORD src1_sel:WORD_1
	v_cmp_gt_i32_e32 vcc_lo, s25, v0
	v_perm_b32 v3, v3, v7, 0x5040100
	v_cndmask_b32_e32 v8, 0, v4, vcc_lo
	s_mov_b32 vcc_lo, s1
	v_cndmask_b32_sdwa v4, v97, v4, vcc_lo dst_sel:DWORD dst_unused:UNUSED_PAD src0_sel:DWORD src1_sel:WORD_1
	v_perm_b32 v4, v4, v8, 0x5040100
	s_or_b32 exec_lo, exec_lo, s13
	global_load_dwordx4 v[5:8], v[21:22], off offset:512
	s_and_saveexec_b32 s13, s0
	s_cbranch_execz .LBB186_31
.LBB186_49:                             ;   in Loop: Header=BB186_29 Depth=1
	v_cmp_gt_i32_e64 s1, s25, v100
	v_cmp_gt_i32_e32 vcc_lo, s12, v105
	v_cmp_gt_i32_e64 s2, s25, v104
	s_waitcnt vmcnt(0)
	v_cndmask_b32_e64 v9, 0, v5, s1
	v_cmp_gt_i32_e64 s1, s12, v103
	v_cndmask_b32_sdwa v5, v97, v5, vcc_lo dst_sel:DWORD dst_unused:UNUSED_PAD src0_sel:DWORD src1_sel:WORD_1
	v_cndmask_b32_e64 v10, 0, v6, s2
	v_cmp_gt_i32_e64 s2, s12, v102
	s_mov_b32 vcc_lo, s1
	v_cmp_gt_i32_e64 s1, s12, v76
	v_cndmask_b32_sdwa v6, v97, v6, vcc_lo dst_sel:DWORD dst_unused:UNUSED_PAD src0_sel:DWORD src1_sel:WORD_1
	v_cmp_gt_i32_e32 vcc_lo, s25, v77
	v_perm_b32 v5, v5, v9, 0x5040100
	v_perm_b32 v6, v6, v10, 0x5040100
	v_cndmask_b32_e32 v11, 0, v7, vcc_lo
	s_mov_b32 vcc_lo, s2
	v_cndmask_b32_sdwa v7, v97, v7, vcc_lo dst_sel:DWORD dst_unused:UNUSED_PAD src0_sel:DWORD src1_sel:WORD_1
	v_cmp_gt_i32_e32 vcc_lo, s25, v0
	v_perm_b32 v7, v7, v11, 0x5040100
	v_cndmask_b32_e32 v12, 0, v8, vcc_lo
	s_mov_b32 vcc_lo, s1
	v_cndmask_b32_sdwa v8, v97, v8, vcc_lo dst_sel:DWORD dst_unused:UNUSED_PAD src0_sel:DWORD src1_sel:WORD_1
	v_perm_b32 v8, v8, v12, 0x5040100
	s_or_b32 exec_lo, exec_lo, s13
	global_load_dwordx4 v[9:12], v[21:22], off offset:1024
	s_and_saveexec_b32 s13, s0
	s_cbranch_execz .LBB186_32
.LBB186_50:                             ;   in Loop: Header=BB186_29 Depth=1
	v_cmp_gt_i32_e64 s1, s25, v100
	v_cmp_gt_i32_e32 vcc_lo, s12, v105
	v_cmp_gt_i32_e64 s2, s25, v104
	s_waitcnt vmcnt(0)
	v_cndmask_b32_e64 v13, 0, v9, s1
	v_cmp_gt_i32_e64 s1, s12, v103
	v_cndmask_b32_sdwa v9, v97, v9, vcc_lo dst_sel:DWORD dst_unused:UNUSED_PAD src0_sel:DWORD src1_sel:WORD_1
	v_cndmask_b32_e64 v14, 0, v10, s2
	v_cmp_gt_i32_e64 s2, s12, v102
	s_mov_b32 vcc_lo, s1
	v_cmp_gt_i32_e64 s1, s12, v76
	v_cndmask_b32_sdwa v10, v97, v10, vcc_lo dst_sel:DWORD dst_unused:UNUSED_PAD src0_sel:DWORD src1_sel:WORD_1
	v_cmp_gt_i32_e32 vcc_lo, s25, v77
	v_perm_b32 v9, v9, v13, 0x5040100
	v_perm_b32 v10, v10, v14, 0x5040100
	v_cndmask_b32_e32 v15, 0, v11, vcc_lo
	s_mov_b32 vcc_lo, s2
	v_cndmask_b32_sdwa v11, v97, v11, vcc_lo dst_sel:DWORD dst_unused:UNUSED_PAD src0_sel:DWORD src1_sel:WORD_1
	v_cmp_gt_i32_e32 vcc_lo, s25, v0
	v_perm_b32 v11, v11, v15, 0x5040100
	v_cndmask_b32_e32 v16, 0, v12, vcc_lo
	s_mov_b32 vcc_lo, s1
	v_cndmask_b32_sdwa v12, v97, v12, vcc_lo dst_sel:DWORD dst_unused:UNUSED_PAD src0_sel:DWORD src1_sel:WORD_1
	v_perm_b32 v12, v12, v16, 0x5040100
	s_or_b32 exec_lo, exec_lo, s13
	global_load_dwordx4 v[13:16], v[21:22], off offset:1536
	s_and_saveexec_b32 s13, s0
	s_cbranch_execnz .LBB186_33
	s_branch .LBB186_34
.LBB186_51:                             ;   in Loop: Header=BB186_29 Depth=1
	v_cmp_gt_i32_e64 s1, s25, v100
	v_cmp_gt_i32_e32 vcc_lo, s12, v105
	v_cmp_gt_i32_e64 s2, s25, v104
	s_waitcnt vmcnt(0)
	v_cndmask_b32_e64 v25, 0, v17, s1
	v_cmp_gt_i32_e64 s1, s12, v103
	v_cndmask_b32_sdwa v17, v97, v17, vcc_lo dst_sel:DWORD dst_unused:UNUSED_PAD src0_sel:DWORD src1_sel:WORD_1
	v_cndmask_b32_e64 v26, 0, v18, s2
	v_cmp_gt_i32_e64 s2, s12, v102
	s_mov_b32 vcc_lo, s1
	v_cmp_gt_i32_e64 s1, s12, v76
	v_cndmask_b32_sdwa v18, v97, v18, vcc_lo dst_sel:DWORD dst_unused:UNUSED_PAD src0_sel:DWORD src1_sel:WORD_1
	v_cmp_gt_i32_e32 vcc_lo, s25, v77
	v_perm_b32 v17, v17, v25, 0x5040100
	v_perm_b32 v18, v18, v26, 0x5040100
	v_cndmask_b32_e32 v27, 0, v19, vcc_lo
	s_mov_b32 vcc_lo, s2
	v_cndmask_b32_sdwa v19, v97, v19, vcc_lo dst_sel:DWORD dst_unused:UNUSED_PAD src0_sel:DWORD src1_sel:WORD_1
	v_cmp_gt_i32_e32 vcc_lo, s25, v0
	v_perm_b32 v19, v19, v27, 0x5040100
	v_cndmask_b32_e32 v28, 0, v20, vcc_lo
	s_mov_b32 vcc_lo, s1
	v_cndmask_b32_sdwa v20, v97, v20, vcc_lo dst_sel:DWORD dst_unused:UNUSED_PAD src0_sel:DWORD src1_sel:WORD_1
	v_perm_b32 v20, v20, v28, 0x5040100
	s_or_b32 exec_lo, exec_lo, s13
	global_load_dwordx4 v[25:28], v[23:24], off offset:512
	s_and_saveexec_b32 s13, s0
	s_cbranch_execz .LBB186_36
.LBB186_52:                             ;   in Loop: Header=BB186_29 Depth=1
	v_cmp_gt_i32_e64 s1, s25, v100
	v_cmp_gt_i32_e32 vcc_lo, s12, v105
	v_cmp_gt_i32_e64 s2, s25, v104
	s_waitcnt vmcnt(0)
	v_cndmask_b32_e64 v29, 0, v25, s1
	v_cmp_gt_i32_e64 s1, s12, v103
	v_cndmask_b32_sdwa v25, v97, v25, vcc_lo dst_sel:DWORD dst_unused:UNUSED_PAD src0_sel:DWORD src1_sel:WORD_1
	v_cndmask_b32_e64 v30, 0, v26, s2
	v_cmp_gt_i32_e64 s2, s12, v102
	s_mov_b32 vcc_lo, s1
	v_cmp_gt_i32_e64 s1, s12, v76
	v_cndmask_b32_sdwa v26, v97, v26, vcc_lo dst_sel:DWORD dst_unused:UNUSED_PAD src0_sel:DWORD src1_sel:WORD_1
	v_cmp_gt_i32_e32 vcc_lo, s25, v77
	v_perm_b32 v25, v25, v29, 0x5040100
	v_perm_b32 v26, v26, v30, 0x5040100
	v_cndmask_b32_e32 v31, 0, v27, vcc_lo
	s_mov_b32 vcc_lo, s2
	v_cndmask_b32_sdwa v27, v97, v27, vcc_lo dst_sel:DWORD dst_unused:UNUSED_PAD src0_sel:DWORD src1_sel:WORD_1
	v_cmp_gt_i32_e32 vcc_lo, s25, v0
	v_perm_b32 v27, v27, v31, 0x5040100
	v_cndmask_b32_e32 v32, 0, v28, vcc_lo
	s_mov_b32 vcc_lo, s1
	v_cndmask_b32_sdwa v28, v97, v28, vcc_lo dst_sel:DWORD dst_unused:UNUSED_PAD src0_sel:DWORD src1_sel:WORD_1
	v_perm_b32 v28, v28, v32, 0x5040100
	s_or_b32 exec_lo, exec_lo, s13
	global_load_dwordx4 v[29:32], v[23:24], off offset:1024
	s_and_saveexec_b32 s13, s0
	s_cbranch_execz .LBB186_37
.LBB186_53:                             ;   in Loop: Header=BB186_29 Depth=1
	v_cmp_gt_i32_e64 s1, s25, v100
	v_cmp_gt_i32_e32 vcc_lo, s12, v105
	v_cmp_gt_i32_e64 s2, s25, v104
	s_waitcnt vmcnt(0)
	v_cndmask_b32_e64 v33, 0, v29, s1
	v_cmp_gt_i32_e64 s1, s12, v103
	v_cndmask_b32_sdwa v29, v97, v29, vcc_lo dst_sel:DWORD dst_unused:UNUSED_PAD src0_sel:DWORD src1_sel:WORD_1
	v_cndmask_b32_e64 v34, 0, v30, s2
	v_cmp_gt_i32_e64 s2, s12, v102
	s_mov_b32 vcc_lo, s1
	v_cmp_gt_i32_e64 s1, s12, v76
	v_cndmask_b32_sdwa v30, v97, v30, vcc_lo dst_sel:DWORD dst_unused:UNUSED_PAD src0_sel:DWORD src1_sel:WORD_1
	v_cmp_gt_i32_e32 vcc_lo, s25, v77
	v_perm_b32 v29, v29, v33, 0x5040100
	v_perm_b32 v30, v30, v34, 0x5040100
	v_cndmask_b32_e32 v35, 0, v31, vcc_lo
	s_mov_b32 vcc_lo, s2
	v_cndmask_b32_sdwa v31, v97, v31, vcc_lo dst_sel:DWORD dst_unused:UNUSED_PAD src0_sel:DWORD src1_sel:WORD_1
	v_cmp_gt_i32_e32 vcc_lo, s25, v0
	v_perm_b32 v31, v31, v35, 0x5040100
	v_cndmask_b32_e32 v36, 0, v32, vcc_lo
	s_mov_b32 vcc_lo, s1
	v_cndmask_b32_sdwa v32, v97, v32, vcc_lo dst_sel:DWORD dst_unused:UNUSED_PAD src0_sel:DWORD src1_sel:WORD_1
	v_perm_b32 v32, v32, v36, 0x5040100
	s_or_b32 exec_lo, exec_lo, s13
	global_load_dwordx4 v[33:36], v[23:24], off offset:1536
	s_and_saveexec_b32 s13, s0
	s_cbranch_execnz .LBB186_38
	s_branch .LBB186_39
.LBB186_54:                             ;   in Loop: Header=BB186_29 Depth=1
	v_cmp_gt_i32_e64 s1, s25, v100
	v_cmp_gt_i32_e32 vcc_lo, s12, v105
	v_cmp_gt_i32_e64 s2, s25, v104
	s_waitcnt vmcnt(0)
	v_cndmask_b32_e64 v41, 0, v37, s1
	v_cmp_gt_i32_e64 s1, s12, v103
	v_cndmask_b32_sdwa v37, v97, v37, vcc_lo dst_sel:DWORD dst_unused:UNUSED_PAD src0_sel:DWORD src1_sel:WORD_1
	v_cndmask_b32_e64 v42, 0, v38, s2
	v_cmp_gt_i32_e64 s2, s12, v102
	s_mov_b32 vcc_lo, s1
	v_cmp_gt_i32_e64 s1, s12, v76
	v_cndmask_b32_sdwa v38, v97, v38, vcc_lo dst_sel:DWORD dst_unused:UNUSED_PAD src0_sel:DWORD src1_sel:WORD_1
	v_cmp_gt_i32_e32 vcc_lo, s25, v77
	v_perm_b32 v37, v37, v41, 0x5040100
	v_perm_b32 v38, v38, v42, 0x5040100
	v_cndmask_b32_e32 v43, 0, v39, vcc_lo
	s_mov_b32 vcc_lo, s2
	v_cndmask_b32_sdwa v39, v97, v39, vcc_lo dst_sel:DWORD dst_unused:UNUSED_PAD src0_sel:DWORD src1_sel:WORD_1
	v_cmp_gt_i32_e32 vcc_lo, s25, v0
	v_perm_b32 v39, v39, v43, 0x5040100
	v_cndmask_b32_e32 v44, 0, v40, vcc_lo
	s_mov_b32 vcc_lo, s1
	v_cndmask_b32_sdwa v40, v97, v40, vcc_lo dst_sel:DWORD dst_unused:UNUSED_PAD src0_sel:DWORD src1_sel:WORD_1
	v_perm_b32 v40, v40, v44, 0x5040100
	s_or_b32 exec_lo, exec_lo, s13
	global_load_dwordx4 v[41:44], v[23:24], off offset:512
	s_and_saveexec_b32 s13, s0
	s_cbranch_execz .LBB186_41
.LBB186_55:                             ;   in Loop: Header=BB186_29 Depth=1
	v_cmp_gt_i32_e64 s1, s25, v100
	v_cmp_gt_i32_e32 vcc_lo, s12, v105
	v_cmp_gt_i32_e64 s2, s25, v104
	s_waitcnt vmcnt(0)
	v_cndmask_b32_e64 v53, 0, v41, s1
	v_cmp_gt_i32_e64 s1, s12, v103
	v_cndmask_b32_sdwa v41, v97, v41, vcc_lo dst_sel:DWORD dst_unused:UNUSED_PAD src0_sel:DWORD src1_sel:WORD_1
	v_cndmask_b32_e64 v54, 0, v42, s2
	v_cmp_gt_i32_e64 s2, s12, v102
	s_mov_b32 vcc_lo, s1
	v_cmp_gt_i32_e64 s1, s12, v76
	v_cndmask_b32_sdwa v42, v97, v42, vcc_lo dst_sel:DWORD dst_unused:UNUSED_PAD src0_sel:DWORD src1_sel:WORD_1
	v_cmp_gt_i32_e32 vcc_lo, s25, v77
	v_perm_b32 v41, v41, v53, 0x5040100
	v_perm_b32 v42, v42, v54, 0x5040100
	v_cndmask_b32_e32 v55, 0, v43, vcc_lo
	s_mov_b32 vcc_lo, s2
	v_cndmask_b32_sdwa v43, v97, v43, vcc_lo dst_sel:DWORD dst_unused:UNUSED_PAD src0_sel:DWORD src1_sel:WORD_1
	v_cmp_gt_i32_e32 vcc_lo, s25, v0
	v_perm_b32 v43, v43, v55, 0x5040100
	v_cndmask_b32_e32 v56, 0, v44, vcc_lo
	s_mov_b32 vcc_lo, s1
	v_cndmask_b32_sdwa v44, v97, v44, vcc_lo dst_sel:DWORD dst_unused:UNUSED_PAD src0_sel:DWORD src1_sel:WORD_1
	v_perm_b32 v44, v44, v56, 0x5040100
	s_or_b32 exec_lo, exec_lo, s13
	global_load_dwordx4 v[53:56], v[23:24], off offset:1024
	s_and_saveexec_b32 s13, s0
	s_cbranch_execz .LBB186_42
.LBB186_56:                             ;   in Loop: Header=BB186_29 Depth=1
	v_cmp_gt_i32_e64 s1, s25, v100
	v_cmp_gt_i32_e32 vcc_lo, s12, v105
	v_cmp_gt_i32_e64 s2, s25, v104
	s_waitcnt vmcnt(0)
	v_cndmask_b32_e64 v57, 0, v53, s1
	v_cmp_gt_i32_e64 s1, s12, v103
	v_cndmask_b32_sdwa v53, v97, v53, vcc_lo dst_sel:DWORD dst_unused:UNUSED_PAD src0_sel:DWORD src1_sel:WORD_1
	v_cndmask_b32_e64 v58, 0, v54, s2
	v_cmp_gt_i32_e64 s2, s12, v102
	s_mov_b32 vcc_lo, s1
	v_cmp_gt_i32_e64 s1, s12, v76
	v_cndmask_b32_sdwa v54, v97, v54, vcc_lo dst_sel:DWORD dst_unused:UNUSED_PAD src0_sel:DWORD src1_sel:WORD_1
	v_cmp_gt_i32_e32 vcc_lo, s25, v77
	v_perm_b32 v53, v53, v57, 0x5040100
	v_perm_b32 v54, v54, v58, 0x5040100
	v_cndmask_b32_e32 v59, 0, v55, vcc_lo
	s_mov_b32 vcc_lo, s2
	v_cndmask_b32_sdwa v55, v97, v55, vcc_lo dst_sel:DWORD dst_unused:UNUSED_PAD src0_sel:DWORD src1_sel:WORD_1
	v_cmp_gt_i32_e32 vcc_lo, s25, v0
	v_perm_b32 v55, v55, v59, 0x5040100
	v_cndmask_b32_e32 v60, 0, v56, vcc_lo
	s_mov_b32 vcc_lo, s1
	v_cndmask_b32_sdwa v56, v97, v56, vcc_lo dst_sel:DWORD dst_unused:UNUSED_PAD src0_sel:DWORD src1_sel:WORD_1
	v_perm_b32 v56, v56, v60, 0x5040100
	s_or_b32 exec_lo, exec_lo, s13
	global_load_dwordx4 v[57:60], v[23:24], off offset:1536
	s_and_saveexec_b32 s13, s0
	s_cbranch_execnz .LBB186_43
	s_branch .LBB186_44
.LBB186_57:                             ;   in Loop: Header=BB186_29 Depth=1
	v_cmp_gt_i32_e64 s1, s25, v100
	v_cmp_gt_i32_e32 vcc_lo, s12, v105
	v_cmp_gt_i32_e64 s2, s25, v104
	s_waitcnt vmcnt(0)
	v_cndmask_b32_e64 v23, 0, v61, s1
	v_cmp_gt_i32_e64 s1, s12, v103
	v_cndmask_b32_sdwa v61, v97, v61, vcc_lo dst_sel:DWORD dst_unused:UNUSED_PAD src0_sel:DWORD src1_sel:WORD_1
	v_cndmask_b32_e64 v24, 0, v62, s2
	v_cmp_gt_i32_e64 s2, s12, v102
	s_mov_b32 vcc_lo, s1
	v_cmp_gt_i32_e64 s1, s12, v76
	v_cndmask_b32_sdwa v62, v97, v62, vcc_lo dst_sel:DWORD dst_unused:UNUSED_PAD src0_sel:DWORD src1_sel:WORD_1
	v_cmp_gt_i32_e32 vcc_lo, s25, v77
	v_perm_b32 v61, v61, v23, 0x5040100
	v_perm_b32 v62, v62, v24, 0x5040100
	v_cndmask_b32_e32 v65, 0, v63, vcc_lo
	s_mov_b32 vcc_lo, s2
	v_cndmask_b32_sdwa v63, v97, v63, vcc_lo dst_sel:DWORD dst_unused:UNUSED_PAD src0_sel:DWORD src1_sel:WORD_1
	v_cmp_gt_i32_e32 vcc_lo, s25, v0
	v_perm_b32 v63, v63, v65, 0x5040100
	v_cndmask_b32_e32 v66, 0, v64, vcc_lo
	s_mov_b32 vcc_lo, s1
	v_cndmask_b32_sdwa v64, v97, v64, vcc_lo dst_sel:DWORD dst_unused:UNUSED_PAD src0_sel:DWORD src1_sel:WORD_1
	v_perm_b32 v64, v64, v66, 0x5040100
	s_or_b32 exec_lo, exec_lo, s13
	global_load_dwordx4 v[65:68], v[21:22], off offset:512
	s_and_saveexec_b32 s13, s0
	s_cbranch_execz .LBB186_46
.LBB186_58:                             ;   in Loop: Header=BB186_29 Depth=1
	v_cmp_gt_i32_e64 s1, s25, v100
	v_cmp_gt_i32_e32 vcc_lo, s12, v105
	v_cmp_gt_i32_e64 s2, s25, v104
	s_waitcnt vmcnt(0)
	v_cndmask_b32_e64 v23, 0, v65, s1
	v_cmp_gt_i32_e64 s1, s12, v103
	v_cndmask_b32_sdwa v65, v97, v65, vcc_lo dst_sel:DWORD dst_unused:UNUSED_PAD src0_sel:DWORD src1_sel:WORD_1
	v_cndmask_b32_e64 v24, 0, v66, s2
	v_cmp_gt_i32_e64 s2, s12, v102
	s_mov_b32 vcc_lo, s1
	v_cmp_gt_i32_e64 s1, s12, v76
	v_cndmask_b32_sdwa v66, v97, v66, vcc_lo dst_sel:DWORD dst_unused:UNUSED_PAD src0_sel:DWORD src1_sel:WORD_1
	v_cmp_gt_i32_e32 vcc_lo, s25, v77
	v_perm_b32 v65, v65, v23, 0x5040100
	v_perm_b32 v66, v66, v24, 0x5040100
	v_cndmask_b32_e32 v69, 0, v67, vcc_lo
	s_mov_b32 vcc_lo, s2
	v_cndmask_b32_sdwa v67, v97, v67, vcc_lo dst_sel:DWORD dst_unused:UNUSED_PAD src0_sel:DWORD src1_sel:WORD_1
	v_cmp_gt_i32_e32 vcc_lo, s25, v0
	v_perm_b32 v67, v67, v69, 0x5040100
	v_cndmask_b32_e32 v70, 0, v68, vcc_lo
	s_mov_b32 vcc_lo, s1
	v_cndmask_b32_sdwa v68, v97, v68, vcc_lo dst_sel:DWORD dst_unused:UNUSED_PAD src0_sel:DWORD src1_sel:WORD_1
	v_perm_b32 v68, v68, v70, 0x5040100
	s_or_b32 exec_lo, exec_lo, s13
	global_load_dwordx4 v[69:72], v[21:22], off offset:1024
	s_and_saveexec_b32 s13, s0
	s_cbranch_execz .LBB186_47
.LBB186_59:                             ;   in Loop: Header=BB186_29 Depth=1
	v_cmp_gt_i32_e64 s1, s25, v100
	v_cmp_gt_i32_e32 vcc_lo, s12, v105
	v_cmp_gt_i32_e64 s2, s25, v104
	s_waitcnt vmcnt(0)
	v_cndmask_b32_e64 v23, 0, v69, s1
	v_cmp_gt_i32_e64 s1, s12, v103
	v_cndmask_b32_sdwa v69, v97, v69, vcc_lo dst_sel:DWORD dst_unused:UNUSED_PAD src0_sel:DWORD src1_sel:WORD_1
	v_cndmask_b32_e64 v24, 0, v70, s2
	v_cmp_gt_i32_e64 s2, s12, v102
	s_mov_b32 vcc_lo, s1
	v_cmp_gt_i32_e64 s1, s12, v76
	v_cndmask_b32_sdwa v70, v97, v70, vcc_lo dst_sel:DWORD dst_unused:UNUSED_PAD src0_sel:DWORD src1_sel:WORD_1
	v_cmp_gt_i32_e32 vcc_lo, s25, v77
	v_perm_b32 v69, v69, v23, 0x5040100
	v_perm_b32 v70, v70, v24, 0x5040100
	v_cndmask_b32_e32 v106, 0, v71, vcc_lo
	s_mov_b32 vcc_lo, s2
	v_cndmask_b32_sdwa v71, v97, v71, vcc_lo dst_sel:DWORD dst_unused:UNUSED_PAD src0_sel:DWORD src1_sel:WORD_1
	v_cmp_gt_i32_e32 vcc_lo, s25, v0
	v_perm_b32 v71, v71, v106, 0x5040100
	v_cndmask_b32_e32 v107, 0, v72, vcc_lo
	s_mov_b32 vcc_lo, s1
	v_cndmask_b32_sdwa v72, v97, v72, vcc_lo dst_sel:DWORD dst_unused:UNUSED_PAD src0_sel:DWORD src1_sel:WORD_1
	v_perm_b32 v72, v72, v107, 0x5040100
	s_or_b32 exec_lo, exec_lo, s13
	global_load_dwordx4 v[21:24], v[21:22], off offset:1536
	s_and_saveexec_b32 s2, s0
	s_cbranch_execz .LBB186_28
.LBB186_60:                             ;   in Loop: Header=BB186_29 Depth=1
	v_cmp_gt_i32_e64 s0, s25, v100
	v_cmp_gt_i32_e32 vcc_lo, s12, v105
	v_cmp_gt_i32_e64 s1, s25, v104
	s_waitcnt vmcnt(0)
	v_cndmask_b32_e64 v105, 0, v21, s0
	v_cmp_gt_i32_e64 s0, s12, v103
	v_cndmask_b32_sdwa v21, v97, v21, vcc_lo dst_sel:DWORD dst_unused:UNUSED_PAD src0_sel:DWORD src1_sel:WORD_1
	v_cndmask_b32_e64 v103, 0, v22, s1
	v_cmp_gt_i32_e64 s1, s12, v102
	s_mov_b32 vcc_lo, s0
	v_cmp_gt_i32_e64 s0, s12, v76
	v_cndmask_b32_sdwa v22, v97, v22, vcc_lo dst_sel:DWORD dst_unused:UNUSED_PAD src0_sel:DWORD src1_sel:WORD_1
	v_cmp_gt_i32_e32 vcc_lo, s25, v77
	v_perm_b32 v21, v21, v105, 0x5040100
	v_perm_b32 v22, v22, v103, 0x5040100
	v_cndmask_b32_e32 v77, 0, v23, vcc_lo
	s_mov_b32 vcc_lo, s1
	v_cndmask_b32_sdwa v23, v97, v23, vcc_lo dst_sel:DWORD dst_unused:UNUSED_PAD src0_sel:DWORD src1_sel:WORD_1
	v_cmp_gt_i32_e32 vcc_lo, s25, v0
	v_perm_b32 v23, v23, v77, 0x5040100
	v_cndmask_b32_e32 v0, 0, v24, vcc_lo
	s_mov_b32 vcc_lo, s0
	v_cndmask_b32_sdwa v24, v97, v24, vcc_lo dst_sel:DWORD dst_unused:UNUSED_PAD src0_sel:DWORD src1_sel:WORD_1
	v_perm_b32 v24, v24, v0, 0x5040100
	s_branch .LBB186_28
.LBB186_61:
	s_or_b32 exec_lo, exec_lo, s9
.LBB186_62:
	s_or_b32 exec_lo, exec_lo, s3
	ds_bpermute_b32 v1, v79, v96
	ds_bpermute_b32 v0, v79, v94
	ds_bpermute_b32 v2, v79, v95
	ds_bpermute_b32 v3, v79, v93
	ds_bpermute_b32 v4, v79, v92
	ds_bpermute_b32 v5, v79, v91
	ds_bpermute_b32 v6, v79, v90
	ds_bpermute_b32 v7, v79, v89
	ds_bpermute_b32 v8, v79, v88
	ds_bpermute_b32 v9, v79, v87
	ds_bpermute_b32 v10, v79, v86
	ds_bpermute_b32 v11, v79, v85
	ds_bpermute_b32 v12, v79, v84
	ds_bpermute_b32 v13, v79, v83
	ds_bpermute_b32 v14, v79, v82
	ds_bpermute_b32 v15, v79, v81
	s_mov_b32 s0, exec_lo
	s_waitcnt lgkmcnt(0)
	s_waitcnt_vscnt null, 0x0
	s_barrier
	buffer_gl0_inv
	v_add_f32_e32 v1, v96, v1
	v_add_f32_e32 v0, v94, v0
	;; [unrolled: 1-line block ×6, first 2 shown]
	ds_bpermute_b32 v17, v78, v1
	v_add_f32_e32 v6, v90, v6
	v_add_f32_e32 v7, v89, v7
	;; [unrolled: 1-line block ×10, first 2 shown]
	ds_bpermute_b32 v16, v78, v0
	ds_bpermute_b32 v18, v78, v2
	;; [unrolled: 1-line block ×15, first 2 shown]
	s_waitcnt lgkmcnt(15)
	v_add_f32_e32 v14, v1, v17
	v_and_b32_e32 v17, 28, v110
	s_waitcnt lgkmcnt(14)
	v_add_f32_e32 v15, v0, v16
	s_waitcnt lgkmcnt(13)
	v_add_f32_e32 v13, v2, v18
	;; [unrolled: 2-line block ×14, first 2 shown]
	v_and_b32_e32 v19, 0x3c3, v108
	s_waitcnt lgkmcnt(0)
	v_add_f32_e32 v2, v35, v38
	v_lshrrev_b32_e32 v16, 2, v110
	v_add_nc_u32_e32 v17, 0x120, v17
	v_lshlrev_b32_e32 v18, 9, v109
	v_cmpx_eq_u32_e32 64, v19
	s_cbranch_execz .LBB186_64
; %bb.63:
	v_add_nc_u32_e32 v19, v17, v18
	v_add_nc_u32_e32 v20, 0xfffffc00, v19
	;; [unrolled: 1-line block ×7, first 2 shown]
	ds_write_b32 v20, v15
	ds_write_b32 v21, v14
	ds_write_b32 v22, v13
	ds_write_b32 v23, v12
	ds_write_b32 v24, v11
	ds_write_b32 v25, v10
	v_add_nc_u32_e32 v20, 0xfffffcc0, v19
	v_add_nc_u32_e32 v21, 0xfffffce0, v19
	;; [unrolled: 1-line block ×5, first 2 shown]
	ds_write_b32 v20, v9
	ds_write_b32 v21, v8
	ds_write_b32 v22, v7
	ds_write_b32 v23, v6
	ds_write_b32 v24, v5
	v_add_nc_u32_e32 v20, 0xfffffd60, v19
	v_add_nc_u32_e32 v21, 0xfffffd80, v19
	;; [unrolled: 1-line block ×5, first 2 shown]
	ds_write_b32 v20, v4
	ds_write_b32 v21, v3
	;; [unrolled: 1-line block ×5, first 2 shown]
.LBB186_64:
	s_or_b32 exec_lo, exec_lo, s0
	v_lshlrev_b32_e32 v16, 2, v16
	s_mov_b32 s1, exec_lo
	v_cmp_eq_u32_e32 vcc_lo, 0, v80
	s_waitcnt lgkmcnt(0)
	s_barrier
	v_add3_u32 v16, 0x120, v18, v16
	buffer_gl0_inv
	v_cmpx_gt_u32_e32 64, v108
	s_cbranch_execz .LBB186_83
; %bb.65:
	s_and_saveexec_b32 s0, vcc_lo
	s_cbranch_execnz .LBB186_107
; %bb.66:
	s_or_b32 exec_lo, exec_lo, s0
	s_and_saveexec_b32 s0, vcc_lo
	s_cbranch_execnz .LBB186_108
.LBB186_67:
	s_or_b32 exec_lo, exec_lo, s0
	s_and_saveexec_b32 s0, vcc_lo
	s_cbranch_execnz .LBB186_109
.LBB186_68:
	s_or_b32 exec_lo, exec_lo, s0
	s_and_saveexec_b32 s0, vcc_lo
	s_cbranch_execnz .LBB186_110
.LBB186_69:
	s_or_b32 exec_lo, exec_lo, s0
	s_and_saveexec_b32 s0, vcc_lo
	s_cbranch_execnz .LBB186_111
.LBB186_70:
	s_or_b32 exec_lo, exec_lo, s0
	s_and_saveexec_b32 s0, vcc_lo
	s_cbranch_execnz .LBB186_112
.LBB186_71:
	s_or_b32 exec_lo, exec_lo, s0
	s_and_saveexec_b32 s0, vcc_lo
	s_cbranch_execnz .LBB186_113
.LBB186_72:
	s_or_b32 exec_lo, exec_lo, s0
	s_and_saveexec_b32 s0, vcc_lo
	s_cbranch_execnz .LBB186_114
.LBB186_73:
	s_or_b32 exec_lo, exec_lo, s0
	s_and_saveexec_b32 s0, vcc_lo
	s_cbranch_execnz .LBB186_115
.LBB186_74:
	s_or_b32 exec_lo, exec_lo, s0
	s_and_saveexec_b32 s0, vcc_lo
	s_cbranch_execnz .LBB186_116
.LBB186_75:
	s_or_b32 exec_lo, exec_lo, s0
	s_and_saveexec_b32 s0, vcc_lo
	s_cbranch_execnz .LBB186_117
.LBB186_76:
	s_or_b32 exec_lo, exec_lo, s0
	s_and_saveexec_b32 s0, vcc_lo
	s_cbranch_execnz .LBB186_118
.LBB186_77:
	s_or_b32 exec_lo, exec_lo, s0
	s_and_saveexec_b32 s0, vcc_lo
	s_cbranch_execnz .LBB186_119
.LBB186_78:
	s_or_b32 exec_lo, exec_lo, s0
	s_and_saveexec_b32 s0, vcc_lo
	s_cbranch_execnz .LBB186_120
.LBB186_79:
	s_or_b32 exec_lo, exec_lo, s0
	s_and_saveexec_b32 s0, vcc_lo
	s_cbranch_execnz .LBB186_121
.LBB186_80:
	s_or_b32 exec_lo, exec_lo, s0
	s_and_saveexec_b32 s0, vcc_lo
	s_cbranch_execz .LBB186_82
.LBB186_81:
	ds_read_b32 v18, v16 offset:480
	s_waitcnt lgkmcnt(0)
	v_add_f32_e32 v2, v2, v18
.LBB186_82:
	s_or_b32 exec_lo, exec_lo, s0
.LBB186_83:
	s_or_b32 exec_lo, exec_lo, s1
	v_and_b32_e32 v18, 0x3e3, v108
	s_mov_b32 s1, exec_lo
	s_barrier
	buffer_gl0_inv
	v_cmpx_eq_u32_e32 32, v18
	s_cbranch_execz .LBB186_85
; %bb.84:
	ds_write2_b32 v17, v15, v14 offset1:8
	ds_write2_b32 v17, v13, v12 offset0:16 offset1:24
	ds_write2_b32 v17, v11, v10 offset0:32 offset1:40
	;; [unrolled: 1-line block ×7, first 2 shown]
.LBB186_85:
	s_or_b32 exec_lo, exec_lo, s1
	s_mov_b32 s1, exec_lo
	s_waitcnt lgkmcnt(0)
	s_barrier
	buffer_gl0_inv
	v_cmpx_gt_u32_e32 32, v108
	s_cbranch_execz .LBB186_104
; %bb.86:
	s_and_saveexec_b32 s0, vcc_lo
	s_cbranch_execnz .LBB186_122
; %bb.87:
	s_or_b32 exec_lo, exec_lo, s0
	s_and_saveexec_b32 s0, vcc_lo
	s_cbranch_execnz .LBB186_123
.LBB186_88:
	s_or_b32 exec_lo, exec_lo, s0
	s_and_saveexec_b32 s0, vcc_lo
	s_cbranch_execnz .LBB186_124
.LBB186_89:
	s_or_b32 exec_lo, exec_lo, s0
	s_and_saveexec_b32 s0, vcc_lo
	s_cbranch_execnz .LBB186_125
.LBB186_90:
	s_or_b32 exec_lo, exec_lo, s0
	s_and_saveexec_b32 s0, vcc_lo
	s_cbranch_execnz .LBB186_126
.LBB186_91:
	s_or_b32 exec_lo, exec_lo, s0
	s_and_saveexec_b32 s0, vcc_lo
	s_cbranch_execnz .LBB186_127
.LBB186_92:
	s_or_b32 exec_lo, exec_lo, s0
	s_and_saveexec_b32 s0, vcc_lo
	s_cbranch_execnz .LBB186_128
.LBB186_93:
	s_or_b32 exec_lo, exec_lo, s0
	s_and_saveexec_b32 s0, vcc_lo
	s_cbranch_execnz .LBB186_129
.LBB186_94:
	s_or_b32 exec_lo, exec_lo, s0
	s_and_saveexec_b32 s0, vcc_lo
	s_cbranch_execnz .LBB186_130
.LBB186_95:
	s_or_b32 exec_lo, exec_lo, s0
	s_and_saveexec_b32 s0, vcc_lo
	s_cbranch_execnz .LBB186_131
.LBB186_96:
	s_or_b32 exec_lo, exec_lo, s0
	s_and_saveexec_b32 s0, vcc_lo
	s_cbranch_execnz .LBB186_132
.LBB186_97:
	s_or_b32 exec_lo, exec_lo, s0
	s_and_saveexec_b32 s0, vcc_lo
	s_cbranch_execnz .LBB186_133
.LBB186_98:
	s_or_b32 exec_lo, exec_lo, s0
	s_and_saveexec_b32 s0, vcc_lo
	s_cbranch_execnz .LBB186_134
.LBB186_99:
	s_or_b32 exec_lo, exec_lo, s0
	s_and_saveexec_b32 s0, vcc_lo
	s_cbranch_execnz .LBB186_135
.LBB186_100:
	s_or_b32 exec_lo, exec_lo, s0
	s_and_saveexec_b32 s0, vcc_lo
	s_cbranch_execnz .LBB186_136
.LBB186_101:
	s_or_b32 exec_lo, exec_lo, s0
	s_and_saveexec_b32 s0, vcc_lo
	s_cbranch_execz .LBB186_103
.LBB186_102:
	ds_read_b32 v16, v16 offset:480
	s_waitcnt lgkmcnt(0)
	v_add_f32_e32 v2, v2, v16
.LBB186_103:
	s_or_b32 exec_lo, exec_lo, s0
.LBB186_104:
	s_or_b32 exec_lo, exec_lo, s1
	s_barrier
	buffer_gl0_inv
	s_mov_b32 s0, exec_lo
	v_cmpx_eq_u32_e32 0, v18
	s_cbranch_execz .LBB186_106
; %bb.105:
	s_lshl_b32 s0, s4, 7
	s_mul_i32 s2, s7, s10
	s_ashr_i32 s1, s0, 31
	v_bfe_u32 v17, v15, 16, 1
	s_lshl_b64 s[0:1], s[0:1], 1
	v_or_b32_e32 v18, 0x400000, v15
	s_add_u32 s4, s20, s0
	s_addc_u32 s5, s21, s1
	s_ashr_i32 s3, s2, 31
	v_add3_u32 v17, v17, v15, 0x7fff
	s_lshl_b64 s[0:1], s[2:3], 1
	v_bfe_u32 v19, v14, 16, 1
	s_add_u32 s2, s4, s0
	v_cmp_u_f32_e32 vcc_lo, v15, v15
	s_addc_u32 s3, s5, s1
	s_lshl_b32 s0, s8, 7
	v_lshrrev_b32_e32 v16, 1, v108
	s_ashr_i32 s1, s0, 31
	v_cndmask_b32_e32 v15, v17, v18, vcc_lo
	s_lshl_b64 s[0:1], s[0:1], 1
	v_bfe_u32 v17, v13, 16, 1
	v_add3_u32 v18, v19, v14, 0x7fff
	v_or_b32_e32 v19, 0x400000, v14
	v_cmp_u_f32_e32 vcc_lo, v14, v14
	s_add_u32 s0, s2, s0
	s_addc_u32 s1, s3, s1
	global_store_short_d16_hi v16, v15, s[0:1]
	v_add3_u32 v15, v17, v13, 0x7fff
	v_or_b32_e32 v17, 0x400000, v13
	v_cndmask_b32_e32 v14, v18, v19, vcc_lo
	v_bfe_u32 v18, v12, 16, 1
	v_cmp_u_f32_e32 vcc_lo, v13, v13
	global_store_short_d16_hi v16, v14, s[0:1] offset:16
	v_add3_u32 v14, v18, v12, 0x7fff
	v_cndmask_b32_e32 v13, v15, v17, vcc_lo
	v_bfe_u32 v15, v11, 16, 1
	v_or_b32_e32 v17, 0x400000, v12
	v_cmp_u_f32_e32 vcc_lo, v12, v12
	global_store_short_d16_hi v16, v13, s[0:1] offset:32
	v_add3_u32 v13, v15, v11, 0x7fff
	v_or_b32_e32 v15, 0x400000, v11
	v_cndmask_b32_e32 v12, v14, v17, vcc_lo
	v_bfe_u32 v14, v10, 16, 1
	v_cmp_u_f32_e32 vcc_lo, v11, v11
	global_store_short_d16_hi v16, v12, s[0:1] offset:48
	v_add3_u32 v12, v14, v10, 0x7fff
	v_cndmask_b32_e32 v11, v13, v15, vcc_lo
	v_bfe_u32 v13, v9, 16, 1
	v_or_b32_e32 v14, 0x400000, v10
	v_cmp_u_f32_e32 vcc_lo, v10, v10
	global_store_short_d16_hi v16, v11, s[0:1] offset:64
	v_add3_u32 v11, v13, v9, 0x7fff
	v_or_b32_e32 v13, 0x400000, v9
	v_cndmask_b32_e32 v10, v12, v14, vcc_lo
	v_bfe_u32 v12, v8, 16, 1
	v_cmp_u_f32_e32 vcc_lo, v9, v9
	global_store_short_d16_hi v16, v10, s[0:1] offset:80
	v_add3_u32 v10, v12, v8, 0x7fff
	v_cndmask_b32_e32 v9, v11, v13, vcc_lo
	v_bfe_u32 v11, v7, 16, 1
	v_or_b32_e32 v12, 0x400000, v8
	v_cmp_u_f32_e32 vcc_lo, v8, v8
	global_store_short_d16_hi v16, v9, s[0:1] offset:96
	v_add3_u32 v9, v11, v7, 0x7fff
	v_or_b32_e32 v11, 0x400000, v7
	v_cndmask_b32_e32 v8, v10, v12, vcc_lo
	v_bfe_u32 v10, v6, 16, 1
	v_cmp_u_f32_e32 vcc_lo, v7, v7
	global_store_short_d16_hi v16, v8, s[0:1] offset:112
	v_add3_u32 v8, v10, v6, 0x7fff
	v_cndmask_b32_e32 v7, v9, v11, vcc_lo
	v_bfe_u32 v9, v5, 16, 1
	v_or_b32_e32 v10, 0x400000, v6
	v_cmp_u_f32_e32 vcc_lo, v6, v6
	global_store_short_d16_hi v16, v7, s[0:1] offset:128
	v_add3_u32 v7, v9, v5, 0x7fff
	v_or_b32_e32 v9, 0x400000, v5
	v_cndmask_b32_e32 v6, v8, v10, vcc_lo
	v_bfe_u32 v8, v4, 16, 1
	v_cmp_u_f32_e32 vcc_lo, v5, v5
	v_or_b32_e32 v10, 0x400000, v2
	global_store_short_d16_hi v16, v6, s[0:1] offset:144
	v_add3_u32 v6, v8, v4, 0x7fff
	v_cndmask_b32_e32 v5, v7, v9, vcc_lo
	v_bfe_u32 v7, v3, 16, 1
	v_or_b32_e32 v8, 0x400000, v4
	v_cmp_u_f32_e32 vcc_lo, v4, v4
	v_or_b32_e32 v9, 0x400000, v1
	global_store_short_d16_hi v16, v5, s[0:1] offset:160
	v_add3_u32 v5, v7, v3, 0x7fff
	v_or_b32_e32 v7, 0x400000, v3
	v_cndmask_b32_e32 v4, v6, v8, vcc_lo
	v_bfe_u32 v6, v0, 16, 1
	v_cmp_u_f32_e32 vcc_lo, v3, v3
	v_bfe_u32 v8, v1, 16, 1
	v_add3_u32 v6, v6, v0, 0x7fff
	v_cndmask_b32_e32 v3, v5, v7, vcc_lo
	v_or_b32_e32 v7, 0x400000, v0
	v_cmp_u_f32_e32 vcc_lo, v0, v0
	v_bfe_u32 v5, v2, 16, 1
	v_add3_u32 v8, v8, v1, 0x7fff
	v_cndmask_b32_e32 v0, v6, v7, vcc_lo
	v_cmp_u_f32_e32 vcc_lo, v1, v1
	v_add3_u32 v5, v5, v2, 0x7fff
	v_cndmask_b32_e32 v1, v8, v9, vcc_lo
	v_cmp_u_f32_e32 vcc_lo, v2, v2
	v_cndmask_b32_e32 v2, v5, v10, vcc_lo
	global_store_short_d16_hi v16, v4, s[0:1] offset:176
	global_store_short_d16_hi v16, v3, s[0:1] offset:192
	;; [unrolled: 1-line block ×5, first 2 shown]
.LBB186_106:
	s_endpgm
.LBB186_107:
	ds_read_b32 v18, v16
	s_waitcnt lgkmcnt(0)
	v_add_f32_e32 v15, v15, v18
	s_or_b32 exec_lo, exec_lo, s0
	s_and_saveexec_b32 s0, vcc_lo
	s_cbranch_execz .LBB186_67
.LBB186_108:
	ds_read_b32 v18, v16 offset:32
	s_waitcnt lgkmcnt(0)
	v_add_f32_e32 v14, v14, v18
	s_or_b32 exec_lo, exec_lo, s0
	s_and_saveexec_b32 s0, vcc_lo
	s_cbranch_execz .LBB186_68
.LBB186_109:
	ds_read_b32 v18, v16 offset:64
	s_waitcnt lgkmcnt(0)
	v_add_f32_e32 v13, v13, v18
	s_or_b32 exec_lo, exec_lo, s0
	s_and_saveexec_b32 s0, vcc_lo
	s_cbranch_execz .LBB186_69
.LBB186_110:
	ds_read_b32 v18, v16 offset:96
	s_waitcnt lgkmcnt(0)
	v_add_f32_e32 v12, v12, v18
	s_or_b32 exec_lo, exec_lo, s0
	s_and_saveexec_b32 s0, vcc_lo
	s_cbranch_execz .LBB186_70
.LBB186_111:
	ds_read_b32 v18, v16 offset:128
	s_waitcnt lgkmcnt(0)
	v_add_f32_e32 v11, v11, v18
	s_or_b32 exec_lo, exec_lo, s0
	s_and_saveexec_b32 s0, vcc_lo
	s_cbranch_execz .LBB186_71
.LBB186_112:
	ds_read_b32 v18, v16 offset:160
	s_waitcnt lgkmcnt(0)
	v_add_f32_e32 v10, v10, v18
	s_or_b32 exec_lo, exec_lo, s0
	s_and_saveexec_b32 s0, vcc_lo
	s_cbranch_execz .LBB186_72
.LBB186_113:
	ds_read_b32 v18, v16 offset:192
	s_waitcnt lgkmcnt(0)
	v_add_f32_e32 v9, v9, v18
	s_or_b32 exec_lo, exec_lo, s0
	s_and_saveexec_b32 s0, vcc_lo
	s_cbranch_execz .LBB186_73
.LBB186_114:
	ds_read_b32 v18, v16 offset:224
	s_waitcnt lgkmcnt(0)
	v_add_f32_e32 v8, v8, v18
	s_or_b32 exec_lo, exec_lo, s0
	s_and_saveexec_b32 s0, vcc_lo
	s_cbranch_execz .LBB186_74
.LBB186_115:
	ds_read_b32 v18, v16 offset:256
	s_waitcnt lgkmcnt(0)
	v_add_f32_e32 v7, v7, v18
	s_or_b32 exec_lo, exec_lo, s0
	s_and_saveexec_b32 s0, vcc_lo
	s_cbranch_execz .LBB186_75
.LBB186_116:
	ds_read_b32 v18, v16 offset:288
	s_waitcnt lgkmcnt(0)
	v_add_f32_e32 v6, v6, v18
	s_or_b32 exec_lo, exec_lo, s0
	s_and_saveexec_b32 s0, vcc_lo
	s_cbranch_execz .LBB186_76
.LBB186_117:
	ds_read_b32 v18, v16 offset:320
	s_waitcnt lgkmcnt(0)
	v_add_f32_e32 v5, v5, v18
	s_or_b32 exec_lo, exec_lo, s0
	s_and_saveexec_b32 s0, vcc_lo
	s_cbranch_execz .LBB186_77
.LBB186_118:
	ds_read_b32 v18, v16 offset:352
	s_waitcnt lgkmcnt(0)
	v_add_f32_e32 v4, v4, v18
	s_or_b32 exec_lo, exec_lo, s0
	s_and_saveexec_b32 s0, vcc_lo
	s_cbranch_execz .LBB186_78
.LBB186_119:
	ds_read_b32 v18, v16 offset:384
	s_waitcnt lgkmcnt(0)
	v_add_f32_e32 v3, v3, v18
	s_or_b32 exec_lo, exec_lo, s0
	s_and_saveexec_b32 s0, vcc_lo
	s_cbranch_execz .LBB186_79
.LBB186_120:
	ds_read_b32 v18, v16 offset:416
	s_waitcnt lgkmcnt(0)
	v_add_f32_e32 v0, v0, v18
	s_or_b32 exec_lo, exec_lo, s0
	s_and_saveexec_b32 s0, vcc_lo
	s_cbranch_execz .LBB186_80
.LBB186_121:
	ds_read_b32 v18, v16 offset:448
	s_waitcnt lgkmcnt(0)
	v_add_f32_e32 v1, v1, v18
	s_or_b32 exec_lo, exec_lo, s0
	s_and_saveexec_b32 s0, vcc_lo
	s_cbranch_execnz .LBB186_81
	s_branch .LBB186_82
.LBB186_122:
	ds_read_b32 v17, v16
	s_waitcnt lgkmcnt(0)
	v_add_f32_e32 v15, v15, v17
	s_or_b32 exec_lo, exec_lo, s0
	s_and_saveexec_b32 s0, vcc_lo
	s_cbranch_execz .LBB186_88
.LBB186_123:
	ds_read_b32 v17, v16 offset:32
	s_waitcnt lgkmcnt(0)
	v_add_f32_e32 v14, v14, v17
	s_or_b32 exec_lo, exec_lo, s0
	s_and_saveexec_b32 s0, vcc_lo
	s_cbranch_execz .LBB186_89
.LBB186_124:
	ds_read_b32 v17, v16 offset:64
	s_waitcnt lgkmcnt(0)
	v_add_f32_e32 v13, v13, v17
	s_or_b32 exec_lo, exec_lo, s0
	s_and_saveexec_b32 s0, vcc_lo
	s_cbranch_execz .LBB186_90
.LBB186_125:
	ds_read_b32 v17, v16 offset:96
	s_waitcnt lgkmcnt(0)
	v_add_f32_e32 v12, v12, v17
	s_or_b32 exec_lo, exec_lo, s0
	s_and_saveexec_b32 s0, vcc_lo
	s_cbranch_execz .LBB186_91
.LBB186_126:
	ds_read_b32 v17, v16 offset:128
	s_waitcnt lgkmcnt(0)
	v_add_f32_e32 v11, v11, v17
	s_or_b32 exec_lo, exec_lo, s0
	s_and_saveexec_b32 s0, vcc_lo
	s_cbranch_execz .LBB186_92
.LBB186_127:
	ds_read_b32 v17, v16 offset:160
	s_waitcnt lgkmcnt(0)
	v_add_f32_e32 v10, v10, v17
	s_or_b32 exec_lo, exec_lo, s0
	s_and_saveexec_b32 s0, vcc_lo
	s_cbranch_execz .LBB186_93
.LBB186_128:
	ds_read_b32 v17, v16 offset:192
	s_waitcnt lgkmcnt(0)
	v_add_f32_e32 v9, v9, v17
	s_or_b32 exec_lo, exec_lo, s0
	s_and_saveexec_b32 s0, vcc_lo
	s_cbranch_execz .LBB186_94
.LBB186_129:
	ds_read_b32 v17, v16 offset:224
	s_waitcnt lgkmcnt(0)
	v_add_f32_e32 v8, v8, v17
	s_or_b32 exec_lo, exec_lo, s0
	s_and_saveexec_b32 s0, vcc_lo
	s_cbranch_execz .LBB186_95
.LBB186_130:
	ds_read_b32 v17, v16 offset:256
	s_waitcnt lgkmcnt(0)
	v_add_f32_e32 v7, v7, v17
	s_or_b32 exec_lo, exec_lo, s0
	s_and_saveexec_b32 s0, vcc_lo
	s_cbranch_execz .LBB186_96
.LBB186_131:
	ds_read_b32 v17, v16 offset:288
	s_waitcnt lgkmcnt(0)
	v_add_f32_e32 v6, v6, v17
	s_or_b32 exec_lo, exec_lo, s0
	s_and_saveexec_b32 s0, vcc_lo
	s_cbranch_execz .LBB186_97
.LBB186_132:
	ds_read_b32 v17, v16 offset:320
	s_waitcnt lgkmcnt(0)
	v_add_f32_e32 v5, v5, v17
	s_or_b32 exec_lo, exec_lo, s0
	s_and_saveexec_b32 s0, vcc_lo
	s_cbranch_execz .LBB186_98
.LBB186_133:
	ds_read_b32 v17, v16 offset:352
	s_waitcnt lgkmcnt(0)
	v_add_f32_e32 v4, v4, v17
	s_or_b32 exec_lo, exec_lo, s0
	s_and_saveexec_b32 s0, vcc_lo
	s_cbranch_execz .LBB186_99
.LBB186_134:
	ds_read_b32 v17, v16 offset:384
	s_waitcnt lgkmcnt(0)
	v_add_f32_e32 v3, v3, v17
	s_or_b32 exec_lo, exec_lo, s0
	s_and_saveexec_b32 s0, vcc_lo
	s_cbranch_execz .LBB186_100
.LBB186_135:
	ds_read_b32 v17, v16 offset:416
	s_waitcnt lgkmcnt(0)
	v_add_f32_e32 v0, v0, v17
	s_or_b32 exec_lo, exec_lo, s0
	s_and_saveexec_b32 s0, vcc_lo
	s_cbranch_execz .LBB186_101
.LBB186_136:
	ds_read_b32 v17, v16 offset:448
	s_waitcnt lgkmcnt(0)
	v_add_f32_e32 v1, v1, v17
	s_or_b32 exec_lo, exec_lo, s0
	s_and_saveexec_b32 s0, vcc_lo
	s_cbranch_execnz .LBB186_102
	s_branch .LBB186_103
	.section	.rodata,"a",@progbits
	.p2align	6, 0x0
	.amdhsa_kernel _ZN4vllm25paged_attention_v2_kernelI14__hip_bfloat16S1_Li128ELi32ELi128ELNS_18Fp8KVCacheDataTypeE0ELb0ELi512EEEvPfS3_PT_PKS4_PKT0_SA_ifPKiSC_iPKfiiiSE_SE_iiiii
		.amdhsa_group_segment_fixed_size 288
		.amdhsa_private_segment_fixed_size 332
		.amdhsa_kernarg_size 400
		.amdhsa_user_sgpr_count 6
		.amdhsa_user_sgpr_private_segment_buffer 1
		.amdhsa_user_sgpr_dispatch_ptr 0
		.amdhsa_user_sgpr_queue_ptr 0
		.amdhsa_user_sgpr_kernarg_segment_ptr 1
		.amdhsa_user_sgpr_dispatch_id 0
		.amdhsa_user_sgpr_flat_scratch_init 0
		.amdhsa_user_sgpr_private_segment_size 0
		.amdhsa_wavefront_size32 1
		.amdhsa_uses_dynamic_stack 0
		.amdhsa_system_sgpr_private_segment_wavefront_offset 1
		.amdhsa_system_sgpr_workgroup_id_x 1
		.amdhsa_system_sgpr_workgroup_id_y 1
		.amdhsa_system_sgpr_workgroup_id_z 1
		.amdhsa_system_sgpr_workgroup_info 0
		.amdhsa_system_vgpr_workitem_id 0
		.amdhsa_next_free_vgpr 128
		.amdhsa_next_free_sgpr 44
		.amdhsa_reserve_vcc 1
		.amdhsa_reserve_flat_scratch 0
		.amdhsa_float_round_mode_32 0
		.amdhsa_float_round_mode_16_64 0
		.amdhsa_float_denorm_mode_32 3
		.amdhsa_float_denorm_mode_16_64 3
		.amdhsa_dx10_clamp 1
		.amdhsa_ieee_mode 1
		.amdhsa_fp16_overflow 0
		.amdhsa_workgroup_processor_mode 1
		.amdhsa_memory_ordered 1
		.amdhsa_forward_progress 1
		.amdhsa_shared_vgpr_count 0
		.amdhsa_exception_fp_ieee_invalid_op 0
		.amdhsa_exception_fp_denorm_src 0
		.amdhsa_exception_fp_ieee_div_zero 0
		.amdhsa_exception_fp_ieee_overflow 0
		.amdhsa_exception_fp_ieee_underflow 0
		.amdhsa_exception_fp_ieee_inexact 0
		.amdhsa_exception_int_div_zero 0
	.end_amdhsa_kernel
	.section	.text._ZN4vllm25paged_attention_v2_kernelI14__hip_bfloat16S1_Li128ELi32ELi128ELNS_18Fp8KVCacheDataTypeE0ELb0ELi512EEEvPfS3_PT_PKS4_PKT0_SA_ifPKiSC_iPKfiiiSE_SE_iiiii,"axG",@progbits,_ZN4vllm25paged_attention_v2_kernelI14__hip_bfloat16S1_Li128ELi32ELi128ELNS_18Fp8KVCacheDataTypeE0ELb0ELi512EEEvPfS3_PT_PKS4_PKT0_SA_ifPKiSC_iPKfiiiSE_SE_iiiii,comdat
.Lfunc_end186:
	.size	_ZN4vllm25paged_attention_v2_kernelI14__hip_bfloat16S1_Li128ELi32ELi128ELNS_18Fp8KVCacheDataTypeE0ELb0ELi512EEEvPfS3_PT_PKS4_PKT0_SA_ifPKiSC_iPKfiiiSE_SE_iiiii, .Lfunc_end186-_ZN4vllm25paged_attention_v2_kernelI14__hip_bfloat16S1_Li128ELi32ELi128ELNS_18Fp8KVCacheDataTypeE0ELb0ELi512EEEvPfS3_PT_PKS4_PKT0_SA_ifPKiSC_iPKfiiiSE_SE_iiiii
                                        ; -- End function
	.set _ZN4vllm25paged_attention_v2_kernelI14__hip_bfloat16S1_Li128ELi32ELi128ELNS_18Fp8KVCacheDataTypeE0ELb0ELi512EEEvPfS3_PT_PKS4_PKT0_SA_ifPKiSC_iPKfiiiSE_SE_iiiii.num_vgpr, 128
	.set _ZN4vllm25paged_attention_v2_kernelI14__hip_bfloat16S1_Li128ELi32ELi128ELNS_18Fp8KVCacheDataTypeE0ELb0ELi512EEEvPfS3_PT_PKS4_PKT0_SA_ifPKiSC_iPKfiiiSE_SE_iiiii.num_agpr, 0
	.set _ZN4vllm25paged_attention_v2_kernelI14__hip_bfloat16S1_Li128ELi32ELi128ELNS_18Fp8KVCacheDataTypeE0ELb0ELi512EEEvPfS3_PT_PKS4_PKT0_SA_ifPKiSC_iPKfiiiSE_SE_iiiii.numbered_sgpr, 44
	.set _ZN4vllm25paged_attention_v2_kernelI14__hip_bfloat16S1_Li128ELi32ELi128ELNS_18Fp8KVCacheDataTypeE0ELb0ELi512EEEvPfS3_PT_PKS4_PKT0_SA_ifPKiSC_iPKfiiiSE_SE_iiiii.num_named_barrier, 0
	.set _ZN4vllm25paged_attention_v2_kernelI14__hip_bfloat16S1_Li128ELi32ELi128ELNS_18Fp8KVCacheDataTypeE0ELb0ELi512EEEvPfS3_PT_PKS4_PKT0_SA_ifPKiSC_iPKfiiiSE_SE_iiiii.private_seg_size, 332
	.set _ZN4vllm25paged_attention_v2_kernelI14__hip_bfloat16S1_Li128ELi32ELi128ELNS_18Fp8KVCacheDataTypeE0ELb0ELi512EEEvPfS3_PT_PKS4_PKT0_SA_ifPKiSC_iPKfiiiSE_SE_iiiii.uses_vcc, 1
	.set _ZN4vllm25paged_attention_v2_kernelI14__hip_bfloat16S1_Li128ELi32ELi128ELNS_18Fp8KVCacheDataTypeE0ELb0ELi512EEEvPfS3_PT_PKS4_PKT0_SA_ifPKiSC_iPKfiiiSE_SE_iiiii.uses_flat_scratch, 0
	.set _ZN4vllm25paged_attention_v2_kernelI14__hip_bfloat16S1_Li128ELi32ELi128ELNS_18Fp8KVCacheDataTypeE0ELb0ELi512EEEvPfS3_PT_PKS4_PKT0_SA_ifPKiSC_iPKfiiiSE_SE_iiiii.has_dyn_sized_stack, 0
	.set _ZN4vllm25paged_attention_v2_kernelI14__hip_bfloat16S1_Li128ELi32ELi128ELNS_18Fp8KVCacheDataTypeE0ELb0ELi512EEEvPfS3_PT_PKS4_PKT0_SA_ifPKiSC_iPKfiiiSE_SE_iiiii.has_recursion, 0
	.set _ZN4vllm25paged_attention_v2_kernelI14__hip_bfloat16S1_Li128ELi32ELi128ELNS_18Fp8KVCacheDataTypeE0ELb0ELi512EEEvPfS3_PT_PKS4_PKT0_SA_ifPKiSC_iPKfiiiSE_SE_iiiii.has_indirect_call, 0
	.section	.AMDGPU.csdata,"",@progbits
; Kernel info:
; codeLenInByte = 20692
; TotalNumSgprs: 46
; NumVgprs: 128
; ScratchSize: 332
; MemoryBound: 0
; FloatMode: 240
; IeeeMode: 1
; LDSByteSize: 288 bytes/workgroup (compile time only)
; SGPRBlocks: 0
; VGPRBlocks: 15
; NumSGPRsForWavesPerEU: 46
; NumVGPRsForWavesPerEU: 128
; Occupancy: 8
; WaveLimiterHint : 1
; COMPUTE_PGM_RSRC2:SCRATCH_EN: 1
; COMPUTE_PGM_RSRC2:USER_SGPR: 6
; COMPUTE_PGM_RSRC2:TRAP_HANDLER: 0
; COMPUTE_PGM_RSRC2:TGID_X_EN: 1
; COMPUTE_PGM_RSRC2:TGID_Y_EN: 1
; COMPUTE_PGM_RSRC2:TGID_Z_EN: 1
; COMPUTE_PGM_RSRC2:TIDIG_COMP_CNT: 0
	.section	.text._ZN4vllm25paged_attention_v2_kernelI14__hip_bfloat16S1_Li192ELi32ELi128ELNS_18Fp8KVCacheDataTypeE0ELb0ELi512EEEvPfS3_PT_PKS4_PKT0_SA_ifPKiSC_iPKfiiiSE_SE_iiiii,"axG",@progbits,_ZN4vllm25paged_attention_v2_kernelI14__hip_bfloat16S1_Li192ELi32ELi128ELNS_18Fp8KVCacheDataTypeE0ELb0ELi512EEEvPfS3_PT_PKS4_PKT0_SA_ifPKiSC_iPKfiiiSE_SE_iiiii,comdat
	.protected	_ZN4vllm25paged_attention_v2_kernelI14__hip_bfloat16S1_Li192ELi32ELi128ELNS_18Fp8KVCacheDataTypeE0ELb0ELi512EEEvPfS3_PT_PKS4_PKT0_SA_ifPKiSC_iPKfiiiSE_SE_iiiii ; -- Begin function _ZN4vllm25paged_attention_v2_kernelI14__hip_bfloat16S1_Li192ELi32ELi128ELNS_18Fp8KVCacheDataTypeE0ELb0ELi512EEEvPfS3_PT_PKS4_PKT0_SA_ifPKiSC_iPKfiiiSE_SE_iiiii
	.globl	_ZN4vllm25paged_attention_v2_kernelI14__hip_bfloat16S1_Li192ELi32ELi128ELNS_18Fp8KVCacheDataTypeE0ELb0ELi512EEEvPfS3_PT_PKS4_PKT0_SA_ifPKiSC_iPKfiiiSE_SE_iiiii
	.p2align	8
	.type	_ZN4vllm25paged_attention_v2_kernelI14__hip_bfloat16S1_Li192ELi32ELi128ELNS_18Fp8KVCacheDataTypeE0ELb0ELi512EEEvPfS3_PT_PKS4_PKT0_SA_ifPKiSC_iPKfiiiSE_SE_iiiii,@function
_ZN4vllm25paged_attention_v2_kernelI14__hip_bfloat16S1_Li192ELi32ELi128ELNS_18Fp8KVCacheDataTypeE0ELb0ELi512EEEvPfS3_PT_PKS4_PKT0_SA_ifPKiSC_iPKfiiiSE_SE_iiiii: ; @_ZN4vllm25paged_attention_v2_kernelI14__hip_bfloat16S1_Li192ELi32ELi128ELNS_18Fp8KVCacheDataTypeE0ELb0ELi512EEEvPfS3_PT_PKS4_PKT0_SA_ifPKiSC_iPKfiiiSE_SE_iiiii
; %bb.0:
	s_mov_b64 s[42:43], s[2:3]
	s_mov_b64 s[40:41], s[0:1]
	s_load_dwordx2 s[0:1], s[4:5], 0x40
	s_add_u32 s40, s40, s9
	s_addc_u32 s41, s41, 0
	s_mov_b32 s24, s7
	s_ashr_i32 s25, s7, 31
	s_lshl_b64 s[2:3], s[24:25], 2
	s_waitcnt lgkmcnt(0)
	s_add_u32 s0, s0, s2
	s_addc_u32 s1, s1, s3
	s_lshl_b32 s30, s8, 9
	s_load_dword s25, s[0:1], 0x0
	s_waitcnt lgkmcnt(0)
	s_cmp_ge_i32 s30, s25
	s_cbranch_scc1 .LBB187_138
; %bb.1:
	s_clause 0x1
	s_load_dword s9, s[4:5], 0x90
	s_load_dwordx2 s[2:3], s[4:5], 0x30
	v_mov_b32_e32 v51, v0
	s_mov_b32 s33, 0
	s_waitcnt lgkmcnt(0)
	s_abs_i32 s10, s9
	s_abs_i32 s0, s2
	s_xor_b32 s2, s9, s2
	v_cvt_f32_u32_e32 v0, s0
	s_sub_i32 s7, 0, s0
	s_ashr_i32 s2, s2, 31
	v_rcp_iflag_f32_e32 v0, v0
	v_mul_f32_e32 v0, 0x4f7ffffe, v0
	v_cvt_u32_f32_e32 v0, v0
	v_readfirstlane_b32 s1, v0
	s_mul_i32 s7, s7, s1
	s_mul_hi_u32 s7, s1, s7
	s_add_i32 s1, s1, s7
	s_mul_hi_u32 s1, s10, s1
	s_mul_i32 s7, s1, s0
	s_sub_i32 s7, s10, s7
	s_add_i32 s10, s1, 1
	s_sub_i32 s11, s7, s0
	s_cmp_ge_u32 s7, s0
	s_cselect_b32 s1, s10, s1
	s_cselect_b32 s7, s11, s7
	s_add_i32 s10, s1, 1
	s_cmp_ge_u32 s7, s0
	s_cselect_b32 s0, s10, s1
	s_abs_i32 s29, s6
	s_xor_b32 s0, s0, s2
	s_sub_i32 s10, s0, s2
	s_load_dwordx2 s[0:1], s[4:5], 0x50
	s_abs_i32 s2, s10
	v_cvt_f32_u32_e32 v0, s2
	s_sub_i32 s11, 0, s2
	v_rcp_iflag_f32_e32 v0, v0
	v_mul_f32_e32 v0, 0x4f7ffffe, v0
	v_cvt_u32_f32_e32 v0, v0
	v_readfirstlane_b32 s7, v0
	s_mul_i32 s11, s11, s7
	s_mul_hi_u32 s11, s7, s11
	s_add_i32 s7, s7, s11
	s_waitcnt lgkmcnt(0)
	s_cmp_eq_u64 s[0:1], 0
	s_mul_hi_u32 s28, s29, s7
	s_cbranch_scc1 .LBB187_3
; %bb.2:
	s_ashr_i32 s7, s6, 31
	s_lshl_b64 s[12:13], s[6:7], 2
	s_add_u32 s0, s0, s12
	s_addc_u32 s1, s1, s13
	s_load_dword s33, s[0:1], 0x0
.LBB187_3:
	s_clause 0x1
	s_load_dwordx2 s[22:23], s[4:5], 0x38
	s_load_dwordx4 s[12:15], s[4:5], 0x58
	v_lshlrev_b32_e32 v10, 4, v51
	s_ashr_i32 s0, s6, 31
	s_ashr_i32 s1, s10, 31
	s_mul_i32 s10, s6, 0xc0
	s_mov_b32 s7, exec_lo
	v_cmpx_gt_u32_e32 24, v51
	s_cbranch_execz .LBB187_5
; %bb.4:
	s_load_dwordx2 s[16:17], s[4:5], 0x18
	s_waitcnt lgkmcnt(0)
	s_mul_i32 s18, s12, s24
	s_ashr_i32 s19, s18, 31
	s_lshl_b64 s[18:19], s[18:19], 1
	s_add_u32 s12, s16, s18
	s_addc_u32 s15, s17, s19
	s_ashr_i32 s11, s10, 31
	s_lshl_b64 s[16:17], s[10:11], 1
	s_add_u32 s16, s12, s16
	s_addc_u32 s17, s15, s17
	global_load_dwordx4 v[0:3], v10, s[16:17]
	s_waitcnt vmcnt(0)
	ds_write_b128 v10, v[0:3]
.LBB187_5:
	s_or_b32 exec_lo, exec_lo, s7
	s_add_i32 s7, s25, 31
	s_clause 0x1
	s_load_dwordx4 s[16:19], s[4:5], 0x0
	s_load_dwordx2 s[20:21], s[4:5], 0x10
	s_ashr_i32 s11, s7, 31
	s_lshl_b32 s31, s8, 4
	s_lshr_b32 s11, s11, 27
	s_mul_i32 s34, s28, s2
	s_add_i32 s7, s7, s11
	s_add_i32 s11, s31, 16
	s_waitcnt lgkmcnt(0)
	s_ashr_i32 s12, s7, 5
	s_clause 0x2
	s_load_dwordx2 s[26:27], s[4:5], 0x28
	s_load_dword s7, s[4:5], 0x98
	s_load_dword s15, s[4:5], 0x48
	s_xor_b32 s0, s0, s1
	s_sub_i32 s1, s29, s34
	s_min_i32 s11, s11, s12
	s_add_i32 s29, s28, 1
	s_sub_i32 s34, s1, s2
	s_cmp_ge_u32 s1, s2
	v_lshrrev_b32_e32 v76, 5, v51
	s_cselect_b32 s28, s29, s28
	s_cselect_b32 s1, s34, s1
	s_add_i32 s29, s28, 1
	s_cmp_ge_u32 s1, s2
	v_add_nc_u32_e32 v105, s31, v76
	v_and_b32_e32 v79, 31, v51
	s_cselect_b32 s1, s29, s28
	v_mov_b32_e32 v71, 0xff7fffff
	s_xor_b32 s1, s1, s0
	v_ashrrev_i32_e32 v106, 31, v105
	s_sub_i32 s1, s1, s0
	v_cmp_gt_i32_e64 s0, s11, v105
	v_lshlrev_b32_e32 v22, 5, v76
	v_lshlrev_b32_e32 v23, 2, v79
	s_waitcnt lgkmcnt(0)
	s_mul_i32 s28, s15, s24
	s_mul_i32 s14, s1, s14
	s_ashr_i32 s29, s28, 31
	s_barrier
	buffer_gl0_inv
	s_mov_b32 s34, exec_lo
	s_and_b32 s1, s34, s0
	buffer_store_dword v51, off, s[40:43], 0 offset:564 ; 4-byte Folded Spill
	buffer_store_dword v76, off, s[40:43], 0 offset:568 ; 4-byte Folded Spill
	;; [unrolled: 1-line block ×3, first 2 shown]
	s_mov_b32 exec_lo, s1
	s_cbranch_execz .LBB187_9
; %bb.6:
	v_mov_b32_e32 v1, 0
	buffer_store_dword v10, off, s[40:43], 0 offset:576 ; 4-byte Folded Spill
	s_load_dwordx2 s[4:5], s[4:5], 0x20
	s_ashr_i32 s15, s14, 31
	v_mov_b32_e32 v71, 0xff7fffff
	ds_read_b128 v[2:5], v1
	ds_read_b128 v[6:9], v1 offset:16
	ds_read_b128 v[10:13], v1 offset:32
	;; [unrolled: 1-line block ×4, first 2 shown]
	s_lshl_b64 s[36:37], s[14:15], 1
	v_mov_b32_e32 v80, v105
	s_waitcnt lgkmcnt(0)
	v_and_b32_e32 v0, 0xffff0000, v2
	s_add_u32 s1, s4, s36
	s_addc_u32 s2, s5, s37
	s_lshl_b64 s[36:37], s[28:29], 2
	s_sub_i32 s4, 1, s25
	buffer_store_dword v0, off, s[40:43], 0 ; 4-byte Folded Spill
	v_lshlrev_b32_e32 v0, 16, v2
	s_add_u32 s5, s22, s36
	s_addc_u32 s15, s23, s37
	buffer_store_dword v0, off, s[40:43], 0 offset:4 ; 4-byte Folded Spill
	v_and_b32_e32 v0, 0xffff0000, v3
	buffer_store_dword v0, off, s[40:43], 0 offset:8 ; 4-byte Folded Spill
	v_lshlrev_b32_e32 v0, 16, v3
	buffer_store_dword v0, off, s[40:43], 0 offset:12 ; 4-byte Folded Spill
	v_and_b32_e32 v0, 0xffff0000, v4
	buffer_store_dword v0, off, s[40:43], 0 offset:16 ; 4-byte Folded Spill
	v_lshlrev_b32_e32 v0, 16, v4
	buffer_store_dword v0, off, s[40:43], 0 offset:20 ; 4-byte Folded Spill
	v_and_b32_e32 v0, 0xffff0000, v5
	buffer_store_dword v0, off, s[40:43], 0 offset:24 ; 4-byte Folded Spill
	v_lshlrev_b32_e32 v0, 16, v5
	ds_read_b128 v[2:5], v1 offset:80
	buffer_store_dword v0, off, s[40:43], 0 offset:28 ; 4-byte Folded Spill
	v_and_b32_e32 v0, 0xffff0000, v6
	buffer_store_dword v0, off, s[40:43], 0 offset:32 ; 4-byte Folded Spill
	v_lshlrev_b32_e32 v0, 16, v6
	buffer_store_dword v0, off, s[40:43], 0 offset:36 ; 4-byte Folded Spill
	v_and_b32_e32 v0, 0xffff0000, v7
	buffer_store_dword v0, off, s[40:43], 0 offset:40 ; 4-byte Folded Spill
	v_lshlrev_b32_e32 v0, 16, v7
	buffer_store_dword v0, off, s[40:43], 0 offset:44 ; 4-byte Folded Spill
	v_and_b32_e32 v0, 0xffff0000, v8
	buffer_store_dword v0, off, s[40:43], 0 offset:48 ; 4-byte Folded Spill
	v_lshlrev_b32_e32 v0, 16, v8
	buffer_store_dword v0, off, s[40:43], 0 offset:52 ; 4-byte Folded Spill
	v_and_b32_e32 v0, 0xffff0000, v9
	buffer_store_dword v0, off, s[40:43], 0 offset:56 ; 4-byte Folded Spill
	v_lshlrev_b32_e32 v0, 16, v9
	ds_read_b128 v[6:9], v1 offset:96
	buffer_store_dword v0, off, s[40:43], 0 offset:60 ; 4-byte Folded Spill
	v_and_b32_e32 v0, 0xffff0000, v10
	buffer_store_dword v0, off, s[40:43], 0 offset:64 ; 4-byte Folded Spill
	v_lshlrev_b32_e32 v0, 16, v10
	;; [unrolled: 17-line block ×3, first 2 shown]
	buffer_store_dword v0, off, s[40:43], 0 offset:100 ; 4-byte Folded Spill
	v_and_b32_e32 v0, 0xffff0000, v18
	buffer_store_dword v0, off, s[40:43], 0 offset:104 ; 4-byte Folded Spill
	v_lshlrev_b32_e32 v0, 16, v18
	buffer_store_dword v0, off, s[40:43], 0 offset:108 ; 4-byte Folded Spill
	v_and_b32_e32 v0, 0xffff0000, v15
	buffer_store_dword v0, off, s[40:43], 0 offset:112 ; 4-byte Folded Spill
	v_lshlrev_b32_e32 v0, 16, v15
	buffer_store_dword v0, off, s[40:43], 0 offset:116 ; 4-byte Folded Spill
	v_and_b32_e32 v0, 0xffff0000, v19
	buffer_store_dword v0, off, s[40:43], 0 offset:120 ; 4-byte Folded Spill
	v_lshlrev_b32_e32 v0, 16, v19
	buffer_store_dword v0, off, s[40:43], 0 offset:124 ; 4-byte Folded Spill
	v_and_b32_e32 v0, 0xffff0000, v16
	buffer_store_dword v0, off, s[40:43], 0 offset:128 ; 4-byte Folded Spill
	v_lshlrev_b32_e32 v0, 16, v16
	buffer_store_dword v0, off, s[40:43], 0 offset:132 ; 4-byte Folded Spill
	v_and_b32_e32 v0, 0xffff0000, v20
	buffer_store_dword v0, off, s[40:43], 0 offset:136 ; 4-byte Folded Spill
	v_lshlrev_b32_e32 v0, 16, v20
	buffer_store_dword v0, off, s[40:43], 0 offset:140 ; 4-byte Folded Spill
	v_and_b32_e32 v0, 0xffff0000, v17
	buffer_store_dword v0, off, s[40:43], 0 offset:144 ; 4-byte Folded Spill
	v_lshlrev_b32_e32 v0, 16, v17
	buffer_store_dword v0, off, s[40:43], 0 offset:148 ; 4-byte Folded Spill
	v_and_b32_e32 v0, 0xffff0000, v21
	buffer_store_dword v0, off, s[40:43], 0 offset:152 ; 4-byte Folded Spill
	v_lshlrev_b32_e32 v0, 16, v21
	buffer_store_dword v0, off, s[40:43], 0 offset:156 ; 4-byte Folded Spill
	s_waitcnt lgkmcnt(2)
	v_and_b32_e32 v0, 0xffff0000, v2
	buffer_store_dword v0, off, s[40:43], 0 offset:160 ; 4-byte Folded Spill
	v_lshlrev_b32_e32 v0, 16, v2
	buffer_store_dword v0, off, s[40:43], 0 offset:164 ; 4-byte Folded Spill
	v_and_b32_e32 v0, 0xffff0000, v3
	buffer_store_dword v0, off, s[40:43], 0 offset:168 ; 4-byte Folded Spill
	v_lshlrev_b32_e32 v0, 16, v3
	buffer_store_dword v0, off, s[40:43], 0 offset:172 ; 4-byte Folded Spill
	v_and_b32_e32 v0, 0xffff0000, v4
	buffer_store_dword v0, off, s[40:43], 0 offset:176 ; 4-byte Folded Spill
	v_lshlrev_b32_e32 v0, 16, v4
	buffer_store_dword v0, off, s[40:43], 0 offset:180 ; 4-byte Folded Spill
	v_and_b32_e32 v0, 0xffff0000, v5
	buffer_store_dword v0, off, s[40:43], 0 offset:184 ; 4-byte Folded Spill
	v_lshlrev_b32_e32 v0, 16, v5
	buffer_store_dword v0, off, s[40:43], 0 offset:188 ; 4-byte Folded Spill
	s_waitcnt lgkmcnt(1)
	v_and_b32_e32 v0, 0xffff0000, v6
	buffer_store_dword v0, off, s[40:43], 0 offset:192 ; 4-byte Folded Spill
	v_lshlrev_b32_e32 v0, 16, v6
	buffer_store_dword v0, off, s[40:43], 0 offset:196 ; 4-byte Folded Spill
	v_and_b32_e32 v0, 0xffff0000, v7
	buffer_store_dword v0, off, s[40:43], 0 offset:200 ; 4-byte Folded Spill
	v_lshlrev_b32_e32 v0, 16, v7
	buffer_store_dword v0, off, s[40:43], 0 offset:204 ; 4-byte Folded Spill
	v_and_b32_e32 v0, 0xffff0000, v8
	buffer_store_dword v0, off, s[40:43], 0 offset:208 ; 4-byte Folded Spill
	v_lshlrev_b32_e32 v0, 16, v8
	buffer_store_dword v0, off, s[40:43], 0 offset:212 ; 4-byte Folded Spill
	v_and_b32_e32 v0, 0xffff0000, v9
	buffer_store_dword v0, off, s[40:43], 0 offset:216 ; 4-byte Folded Spill
	v_lshlrev_b32_e32 v0, 16, v9
	;; [unrolled: 17-line block ×3, first 2 shown]
	buffer_store_dword v0, off, s[40:43], 0 offset:252 ; 4-byte Folded Spill
	ds_read_b128 v[2:5], v1 offset:128
	ds_read_b128 v[6:9], v1 offset:144
	s_waitcnt lgkmcnt(1)
	v_and_b32_e32 v0, 0xffff0000, v2
	buffer_store_dword v0, off, s[40:43], 0 offset:256 ; 4-byte Folded Spill
	v_lshlrev_b32_e32 v0, 16, v2
	buffer_store_dword v0, off, s[40:43], 0 offset:260 ; 4-byte Folded Spill
	v_and_b32_e32 v0, 0xffff0000, v3
	buffer_store_dword v0, off, s[40:43], 0 offset:264 ; 4-byte Folded Spill
	v_lshlrev_b32_e32 v0, 16, v3
	buffer_store_dword v0, off, s[40:43], 0 offset:268 ; 4-byte Folded Spill
	v_and_b32_e32 v0, 0xffff0000, v4
	buffer_store_dword v0, off, s[40:43], 0 offset:272 ; 4-byte Folded Spill
	v_lshlrev_b32_e32 v0, 16, v4
	buffer_store_dword v0, off, s[40:43], 0 offset:276 ; 4-byte Folded Spill
	v_and_b32_e32 v0, 0xffff0000, v5
	buffer_store_dword v0, off, s[40:43], 0 offset:280 ; 4-byte Folded Spill
	v_lshlrev_b32_e32 v0, 16, v5
	buffer_store_dword v0, off, s[40:43], 0 offset:284 ; 4-byte Folded Spill
	s_waitcnt lgkmcnt(0)
	v_and_b32_e32 v0, 0xffff0000, v6
	buffer_store_dword v0, off, s[40:43], 0 offset:288 ; 4-byte Folded Spill
	v_lshlrev_b32_e32 v0, 16, v6
	buffer_store_dword v0, off, s[40:43], 0 offset:292 ; 4-byte Folded Spill
	v_and_b32_e32 v0, 0xffff0000, v7
	buffer_store_dword v0, off, s[40:43], 0 offset:296 ; 4-byte Folded Spill
	v_lshlrev_b32_e32 v0, 16, v7
	buffer_store_dword v0, off, s[40:43], 0 offset:300 ; 4-byte Folded Spill
	v_and_b32_e32 v0, 0xffff0000, v8
	buffer_store_dword v0, off, s[40:43], 0 offset:304 ; 4-byte Folded Spill
	v_lshlrev_b32_e32 v0, 16, v8
	buffer_store_dword v0, off, s[40:43], 0 offset:308 ; 4-byte Folded Spill
	v_and_b32_e32 v0, 0xffff0000, v9
	buffer_store_dword v0, off, s[40:43], 0 offset:312 ; 4-byte Folded Spill
	v_lshlrev_b32_e32 v0, 16, v9
	buffer_store_dword v0, off, s[40:43], 0 offset:316 ; 4-byte Folded Spill
	ds_read_b128 v[2:5], v1 offset:160
	ds_read_b128 v[6:9], v1 offset:176
	s_waitcnt lgkmcnt(1)
	v_and_b32_e32 v0, 0xffff0000, v2
	buffer_store_dword v0, off, s[40:43], 0 offset:320 ; 4-byte Folded Spill
	v_lshlrev_b32_e32 v0, 16, v2
	buffer_store_dword v0, off, s[40:43], 0 offset:324 ; 4-byte Folded Spill
	v_and_b32_e32 v0, 0xffff0000, v3
	buffer_store_dword v0, off, s[40:43], 0 offset:328 ; 4-byte Folded Spill
	v_lshlrev_b32_e32 v0, 16, v3
	buffer_store_dword v0, off, s[40:43], 0 offset:332 ; 4-byte Folded Spill
	v_and_b32_e32 v0, 0xffff0000, v4
	buffer_store_dword v0, off, s[40:43], 0 offset:336 ; 4-byte Folded Spill
	v_lshlrev_b32_e32 v0, 16, v4
	buffer_store_dword v0, off, s[40:43], 0 offset:340 ; 4-byte Folded Spill
	v_and_b32_e32 v0, 0xffff0000, v5
	buffer_store_dword v0, off, s[40:43], 0 offset:344 ; 4-byte Folded Spill
	v_lshlrev_b32_e32 v0, 16, v5
	buffer_store_dword v0, off, s[40:43], 0 offset:348 ; 4-byte Folded Spill
	s_waitcnt lgkmcnt(0)
	v_and_b32_e32 v0, 0xffff0000, v6
	buffer_store_dword v0, off, s[40:43], 0 offset:352 ; 4-byte Folded Spill
	v_lshlrev_b32_e32 v0, 16, v6
	buffer_store_dword v0, off, s[40:43], 0 offset:356 ; 4-byte Folded Spill
	v_and_b32_e32 v0, 0xffff0000, v7
	buffer_store_dword v0, off, s[40:43], 0 offset:360 ; 4-byte Folded Spill
	v_lshlrev_b32_e32 v0, 16, v7
	buffer_store_dword v0, off, s[40:43], 0 offset:364 ; 4-byte Folded Spill
	v_and_b32_e32 v0, 0xffff0000, v8
	buffer_store_dword v0, off, s[40:43], 0 offset:368 ; 4-byte Folded Spill
	v_lshlrev_b32_e32 v0, 16, v8
	buffer_store_dword v0, off, s[40:43], 0 offset:372 ; 4-byte Folded Spill
	v_and_b32_e32 v0, 0xffff0000, v9
	buffer_store_dword v0, off, s[40:43], 0 offset:376 ; 4-byte Folded Spill
	v_lshlrev_b32_e32 v0, 16, v9
	;; [unrolled: 36-line block ×4, first 2 shown]
	buffer_store_dword v0, off, s[40:43], 0 offset:508 ; 4-byte Folded Spill
	ds_read_b128 v[2:5], v1 offset:256
	ds_read_b128 v[6:9], v1 offset:272
	s_waitcnt lgkmcnt(1)
	v_and_b32_e32 v0, 0xffff0000, v2
	s_waitcnt lgkmcnt(0)
	v_lshlrev_b32_e32 v108, 16, v8
	v_and_b32_e32 v109, 0xffff0000, v9
	v_lshlrev_b32_e32 v110, 16, v9
	buffer_store_dword v0, off, s[40:43], 0 offset:512 ; 4-byte Folded Spill
	v_lshlrev_b32_e32 v0, 16, v2
	buffer_store_dword v0, off, s[40:43], 0 offset:516 ; 4-byte Folded Spill
	v_and_b32_e32 v0, 0xffff0000, v3
	buffer_store_dword v0, off, s[40:43], 0 offset:520 ; 4-byte Folded Spill
	v_lshlrev_b32_e32 v0, 16, v3
	buffer_store_dword v0, off, s[40:43], 0 offset:524 ; 4-byte Folded Spill
	v_and_b32_e32 v0, 0xffff0000, v4
	;; [unrolled: 4-line block ×6, first 2 shown]
	buffer_store_dword v0, off, s[40:43], 0 offset:560 ; 4-byte Folded Spill
	ds_read_b128 v[2:5], v1 offset:288
	ds_read_b128 v[6:9], v1 offset:304
	s_waitcnt lgkmcnt(1)
	v_and_b32_e32 v111, 0xffff0000, v2
	v_lshlrev_b32_e32 v112, 16, v2
	v_and_b32_e32 v113, 0xffff0000, v3
	v_lshlrev_b32_e32 v114, 16, v3
	;; [unrolled: 2-line block ×4, first 2 shown]
	s_waitcnt lgkmcnt(0)
	v_and_b32_e32 v119, 0xffff0000, v6
	v_lshlrev_b32_e32 v120, 16, v6
	v_and_b32_e32 v121, 0xffff0000, v7
	v_lshlrev_b32_e32 v122, 16, v7
	;; [unrolled: 2-line block ×4, first 2 shown]
	ds_read_b128 v[2:5], v1 offset:320
	ds_read_b128 v[6:9], v1 offset:336
	s_waitcnt lgkmcnt(1)
	v_and_b32_e32 v127, 0xffff0000, v2
	v_lshlrev_b32_e32 v46, 16, v2
	v_and_b32_e32 v45, 0xffff0000, v3
	v_lshlrev_b32_e32 v0, 16, v3
	v_and_b32_e32 v47, 0xffff0000, v4
	v_lshlrev_b32_e32 v48, 16, v4
	v_and_b32_e32 v49, 0xffff0000, v5
	v_lshlrev_b32_e32 v50, 16, v5
	s_waitcnt lgkmcnt(0)
	v_and_b32_e32 v51, 0xffff0000, v6
	v_lshlrev_b32_e32 v52, 16, v6
	v_and_b32_e32 v53, 0xffff0000, v7
	v_lshlrev_b32_e32 v54, 16, v7
	;; [unrolled: 2-line block ×4, first 2 shown]
	ds_read_b128 v[2:5], v1 offset:352
	ds_read_b128 v[6:9], v1 offset:368
	buffer_store_dword v23, off, s[40:43], 0 offset:584 ; 4-byte Folded Spill
	buffer_store_dword v22, off, s[40:43], 0 offset:580 ; 4-byte Folded Spill
	s_waitcnt lgkmcnt(1)
	v_and_b32_e32 v59, 0xffff0000, v2
	v_lshlrev_b32_e32 v60, 16, v2
	v_lshlrev_b64 v[1:2], 2, v[105:106]
	v_and_b32_e32 v61, 0xffff0000, v3
	v_lshlrev_b32_e32 v62, 16, v3
	v_and_b32_e32 v63, 0xffff0000, v4
	v_lshlrev_b32_e32 v64, 16, v4
	v_and_b32_e32 v65, 0xffff0000, v5
	v_add_co_u32 v41, vcc_lo, s5, v1
	v_lshl_or_b32 v1, v76, 7, v23
	v_lshlrev_b32_e32 v66, 16, v5
	s_waitcnt lgkmcnt(0)
	v_and_b32_e32 v67, 0xffff0000, v6
	v_lshlrev_b32_e32 v68, 16, v6
	v_and_b32_e32 v69, 0xffff0000, v7
	v_add_nc_u32_e32 v76, 0x1a0, v1
	v_lshlrev_b32_e32 v1, 4, v79
	v_lshlrev_b32_e32 v70, 16, v7
	v_and_b32_e32 v72, 0xffff0000, v8
	v_lshlrev_b32_e32 v73, 16, v8
	v_and_b32_e32 v74, 0xffff0000, v9
	v_add_co_u32 v77, s1, s1, v1
	v_lshlrev_b32_e32 v75, 16, v9
	v_add_co_ci_u32_e64 v42, null, s15, v2, vcc_lo
	v_cmp_neq_f32_e64 vcc_lo, s33, 0
	v_add_co_ci_u32_e64 v78, null, s2, 0, s1
	v_add3_u32 v79, s30, v22, v79
	s_mov_b32 s15, s13
	s_mov_b32 s5, 0
.LBB187_7:                              ; =>This Inner Loop Header: Depth=1
	global_load_dword v1, v[41:42], off
	buffer_load_dword v6, off, s[40:43], 0 offset:36 ; 4-byte Folded Reload
	v_add_nc_u32_e32 v80, 4, v80
	s_waitcnt vmcnt(1)
	v_mad_i64_i32 v[1:2], null, v1, s15, 0
	v_lshlrev_b64 v[1:2], 1, v[1:2]
	v_add_co_u32 v43, s1, v77, v1
	v_add_nc_u32_e32 v1, s4, v79
	v_add_co_ci_u32_e64 v44, null, v78, v2, s1
	v_cmp_gt_i32_e64 s1, s25, v79
	v_add_nc_u32_e32 v79, 0x80, v79
	v_cvt_f32_i32_e32 v1, v1
	global_load_dwordx4 v[33:36], v[43:44], off offset:1536
	v_mul_f32_e32 v1, s33, v1
	v_cndmask_b32_e32 v81, 0, v1, vcc_lo
	global_load_dwordx4 v[1:4], v[43:44], off
	s_waitcnt vmcnt(0)
	v_lshlrev_b32_e32 v94, 16, v1
	v_and_b32_e32 v95, 0xffff0000, v1
	v_lshlrev_b32_e32 v96, 16, v2
	v_and_b32_e32 v97, 0xffff0000, v2
	;; [unrolled: 2-line block ×4, first 2 shown]
	global_load_dwordx4 v[1:4], v[43:44], off offset:512
	s_waitcnt vmcnt(0)
	v_and_b32_e32 v5, 0xffff0000, v1
	v_lshlrev_b32_e32 v1, 16, v1
	v_mul_f32_e32 v82, v6, v1
	buffer_load_dword v1, off, s[40:43], 0 offset:32 ; 4-byte Folded Reload
	s_waitcnt vmcnt(0)
	v_mul_f32_e32 v83, v1, v5
	buffer_load_dword v5, off, s[40:43], 0 offset:44 ; 4-byte Folded Reload
	v_and_b32_e32 v1, 0xffff0000, v2
	v_lshlrev_b32_e32 v2, 16, v2
	s_waitcnt vmcnt(0)
	v_mul_f32_e32 v84, v5, v2
	buffer_load_dword v2, off, s[40:43], 0 offset:40 ; 4-byte Folded Reload
	s_waitcnt vmcnt(0)
	v_mul_f32_e32 v85, v2, v1
	v_and_b32_e32 v1, 0xffff0000, v3
	v_lshlrev_b32_e32 v2, 16, v3
	buffer_load_dword v3, off, s[40:43], 0 offset:52 ; 4-byte Folded Reload
	s_waitcnt vmcnt(0)
	v_mul_f32_e32 v86, v3, v2
	s_clause 0x1
	buffer_load_dword v2, off, s[40:43], 0 offset:48
	buffer_load_dword v3, off, s[40:43], 0 offset:60
	s_waitcnt vmcnt(1)
	v_mul_f32_e32 v87, v2, v1
	v_lshlrev_b32_e32 v2, 16, v4
	v_and_b32_e32 v1, 0xffff0000, v4
	s_waitcnt vmcnt(0)
	v_mul_f32_e32 v88, v3, v2
	buffer_load_dword v2, off, s[40:43], 0 offset:56 ; 4-byte Folded Reload
	s_waitcnt vmcnt(0)
	v_mul_f32_e32 v89, v2, v1
	global_load_dwordx4 v[1:4], v[43:44], off offset:1024
	s_waitcnt vmcnt(0)
	v_and_b32_e32 v98, 0xffff0000, v1
	v_lshlrev_b32_e32 v99, 16, v1
	v_add_co_u32 v1, s2, 0x800, v43
	v_and_b32_e32 v100, 0xffff0000, v2
	v_lshlrev_b32_e32 v101, 16, v2
	v_and_b32_e32 v92, 0xffff0000, v3
	v_lshlrev_b32_e32 v93, 16, v3
	v_add_co_ci_u32_e64 v2, null, 0, v44, s2
	v_add_co_u32 v3, s2, v43, 0x1000
	v_and_b32_e32 v39, 0xffff0000, v4
	v_lshlrev_b32_e32 v40, 16, v4
	v_add_co_ci_u32_e64 v4, null, 0, v44, s2
	s_clause 0x3
	global_load_dwordx4 v[29:32], v[3:4], off offset:-2048
	global_load_dwordx4 v[25:28], v[1:2], off offset:512
	global_load_dwordx4 v[21:24], v[1:2], off offset:1024
	;; [unrolled: 1-line block ×3, first 2 shown]
	v_add_co_u32 v1, s2, 0x1000, v43
	v_add_co_ci_u32_e64 v2, null, 0, v44, s2
	s_clause 0x3
	global_load_dwordx4 v[13:16], v[3:4], off
	global_load_dwordx4 v[9:12], v[1:2], off offset:512
	global_load_dwordx4 v[5:8], v[1:2], off offset:1024
	;; [unrolled: 1-line block ×3, first 2 shown]
	buffer_load_dword v102, off, s[40:43], 0 ; 4-byte Folded Reload
	s_waitcnt vmcnt(0)
	v_fmac_f32_e32 v83, v102, v95
	buffer_load_dword v95, off, s[40:43], 0 offset:4 ; 4-byte Folded Reload
	s_waitcnt vmcnt(0)
	v_fmac_f32_e32 v82, v95, v94
	s_clause 0x1
	buffer_load_dword v94, off, s[40:43], 0 offset:68
	buffer_load_dword v95, off, s[40:43], 0 offset:96
	s_waitcnt vmcnt(1)
	v_fmac_f32_e32 v82, v94, v99
	buffer_load_dword v94, off, s[40:43], 0 offset:64 ; 4-byte Folded Reload
	s_waitcnt vmcnt(0)
	v_fmac_f32_e32 v83, v94, v98
	v_lshlrev_b32_e32 v94, 16, v33
	v_and_b32_e32 v33, 0xffff0000, v33
	v_fmac_f32_e32 v83, v95, v33
	buffer_load_dword v33, off, s[40:43], 0 offset:100 ; 4-byte Folded Reload
	s_waitcnt vmcnt(0)
	v_fmac_f32_e32 v82, v33, v94
	buffer_load_dword v94, off, s[40:43], 0 offset:108 ; 4-byte Folded Reload
	v_and_b32_e32 v33, 0xffff0000, v29
	v_lshlrev_b32_e32 v29, 16, v29
	s_waitcnt vmcnt(0)
	v_fmac_f32_e32 v82, v94, v29
	buffer_load_dword v29, off, s[40:43], 0 offset:104 ; 4-byte Folded Reload
	s_waitcnt vmcnt(0)
	v_fmac_f32_e32 v83, v29, v33
	buffer_load_dword v33, off, s[40:43], 0 offset:160 ; 4-byte Folded Reload
	v_lshlrev_b32_e32 v29, 16, v25
	v_and_b32_e32 v25, 0xffff0000, v25
	s_waitcnt vmcnt(0)
	v_fmac_f32_e32 v83, v33, v25
	buffer_load_dword v25, off, s[40:43], 0 offset:164 ; 4-byte Folded Reload
	s_waitcnt vmcnt(0)
	v_fmac_f32_e32 v82, v25, v29
	buffer_load_dword v29, off, s[40:43], 0 offset:196 ; 4-byte Folded Reload
	v_and_b32_e32 v25, 0xffff0000, v21
	v_lshlrev_b32_e32 v21, 16, v21
	s_waitcnt vmcnt(0)
	v_fmac_f32_e32 v82, v29, v21
	buffer_load_dword v21, off, s[40:43], 0 offset:192 ; 4-byte Folded Reload
	s_waitcnt vmcnt(0)
	v_fmac_f32_e32 v83, v21, v25
	buffer_load_dword v25, off, s[40:43], 0 offset:224 ; 4-byte Folded Reload
	v_lshlrev_b32_e32 v21, 16, v17
	v_and_b32_e32 v17, 0xffff0000, v17
	s_waitcnt vmcnt(0)
	;; [unrolled: 16-line block ×4, first 2 shown]
	v_fmac_f32_e32 v83, v9, v1
	s_clause 0x1
	buffer_load_dword v1, off, s[40:43], 0 offset:356
	buffer_load_dword v9, off, s[40:43], 0 offset:112
	s_waitcnt vmcnt(1)
	v_fmac_f32_e32 v82, v1, v5
	buffer_load_dword v1, off, s[40:43], 0 offset:8 ; 4-byte Folded Reload
	v_and_b32_e32 v5, 0xffff0000, v34
	s_waitcnt vmcnt(0)
	v_fmac_f32_e32 v85, v1, v97
	buffer_load_dword v1, off, s[40:43], 0 offset:12 ; 4-byte Folded Reload
	s_waitcnt vmcnt(0)
	v_fmac_f32_e32 v84, v1, v96
	buffer_load_dword v1, off, s[40:43], 0 offset:76 ; 4-byte Folded Reload
	;; [unrolled: 3-line block ×3, first 2 shown]
	s_waitcnt vmcnt(0)
	v_fmac_f32_e32 v85, v1, v100
	v_lshlrev_b32_e32 v1, 16, v34
	v_fmac_f32_e32 v85, v9, v5
	s_clause 0x1
	buffer_load_dword v5, off, s[40:43], 0 offset:116
	buffer_load_dword v9, off, s[40:43], 0 offset:124
	s_waitcnt vmcnt(1)
	v_fmac_f32_e32 v84, v5, v1
	v_lshlrev_b32_e32 v5, 16, v30
	v_and_b32_e32 v1, 0xffff0000, v30
	s_waitcnt vmcnt(0)
	v_fmac_f32_e32 v84, v9, v5
	s_clause 0x1
	buffer_load_dword v5, off, s[40:43], 0 offset:120
	buffer_load_dword v9, off, s[40:43], 0 offset:168
	s_waitcnt vmcnt(1)
	v_fmac_f32_e32 v85, v5, v1
	v_and_b32_e32 v5, 0xffff0000, v26
	v_lshlrev_b32_e32 v1, 16, v26
	s_waitcnt vmcnt(0)
	v_fmac_f32_e32 v85, v9, v5
	s_clause 0x1
	buffer_load_dword v5, off, s[40:43], 0 offset:172
	buffer_load_dword v9, off, s[40:43], 0 offset:204
	s_waitcnt vmcnt(1)
	v_fmac_f32_e32 v84, v5, v1
	v_lshlrev_b32_e32 v5, 16, v22
	v_and_b32_e32 v1, 0xffff0000, v22
	s_waitcnt vmcnt(0)
	v_fmac_f32_e32 v84, v9, v5
	s_clause 0x1
	buffer_load_dword v5, off, s[40:43], 0 offset:200
	buffer_load_dword v9, off, s[40:43], 0 offset:232
	s_waitcnt vmcnt(1)
	v_fmac_f32_e32 v85, v5, v1
	v_and_b32_e32 v5, 0xffff0000, v18
	v_lshlrev_b32_e32 v1, 16, v18
	s_waitcnt vmcnt(0)
	;; [unrolled: 18-line block ×3, first 2 shown]
	v_fmac_f32_e32 v85, v9, v5
	buffer_load_dword v5, off, s[40:43], 0 offset:300 ; 4-byte Folded Reload
	s_waitcnt vmcnt(0)
	v_fmac_f32_e32 v84, v5, v1
	v_and_b32_e32 v1, 0xffff0000, v6
	v_lshlrev_b32_e32 v5, 16, v6
	buffer_load_dword v6, off, s[40:43], 0 offset:332 ; 4-byte Folded Reload
	s_waitcnt vmcnt(0)
	v_fmac_f32_e32 v84, v6, v5
	buffer_load_dword v5, off, s[40:43], 0 offset:328 ; 4-byte Folded Reload
	s_waitcnt vmcnt(0)
	v_fmac_f32_e32 v85, v5, v1
	buffer_load_dword v5, off, s[40:43], 0 offset:360 ; 4-byte Folded Reload
	v_lshlrev_b32_e32 v1, 16, v2
	v_and_b32_e32 v2, 0xffff0000, v2
	s_waitcnt vmcnt(0)
	v_fmac_f32_e32 v85, v5, v2
	s_clause 0x1
	buffer_load_dword v2, off, s[40:43], 0 offset:364
	buffer_load_dword v5, off, s[40:43], 0 offset:128
	s_waitcnt vmcnt(1)
	v_fmac_f32_e32 v84, v2, v1
	buffer_load_dword v1, off, s[40:43], 0 offset:16 ; 4-byte Folded Reload
	v_and_b32_e32 v2, 0xffff0000, v35
	s_waitcnt vmcnt(0)
	v_fmac_f32_e32 v87, v1, v91
	buffer_load_dword v1, off, s[40:43], 0 offset:20 ; 4-byte Folded Reload
	s_waitcnt vmcnt(0)
	v_fmac_f32_e32 v86, v1, v90
	buffer_load_dword v1, off, s[40:43], 0 offset:84 ; 4-byte Folded Reload
	;; [unrolled: 3-line block ×3, first 2 shown]
	s_waitcnt vmcnt(0)
	v_fmac_f32_e32 v87, v1, v92
	v_lshlrev_b32_e32 v1, 16, v35
	v_fmac_f32_e32 v87, v5, v2
	s_clause 0x1
	buffer_load_dword v2, off, s[40:43], 0 offset:132
	buffer_load_dword v5, off, s[40:43], 0 offset:140
	s_waitcnt vmcnt(1)
	v_fmac_f32_e32 v86, v2, v1
	v_lshlrev_b32_e32 v2, 16, v31
	v_and_b32_e32 v1, 0xffff0000, v31
	s_waitcnt vmcnt(0)
	v_fmac_f32_e32 v86, v5, v2
	s_clause 0x1
	buffer_load_dword v2, off, s[40:43], 0 offset:136
	buffer_load_dword v5, off, s[40:43], 0 offset:176
	s_waitcnt vmcnt(1)
	v_fmac_f32_e32 v87, v2, v1
	v_and_b32_e32 v2, 0xffff0000, v27
	v_lshlrev_b32_e32 v1, 16, v27
	s_waitcnt vmcnt(0)
	v_fmac_f32_e32 v87, v5, v2
	s_clause 0x1
	buffer_load_dword v2, off, s[40:43], 0 offset:180
	buffer_load_dword v5, off, s[40:43], 0 offset:212
	s_waitcnt vmcnt(1)
	v_fmac_f32_e32 v86, v2, v1
	v_lshlrev_b32_e32 v2, 16, v23
	v_and_b32_e32 v1, 0xffff0000, v23
	s_waitcnt vmcnt(0)
	v_fmac_f32_e32 v86, v5, v2
	s_clause 0x1
	buffer_load_dword v2, off, s[40:43], 0 offset:208
	buffer_load_dword v5, off, s[40:43], 0 offset:240
	s_waitcnt vmcnt(1)
	v_fmac_f32_e32 v87, v2, v1
	v_and_b32_e32 v2, 0xffff0000, v19
	v_lshlrev_b32_e32 v1, 16, v19
	s_waitcnt vmcnt(0)
	;; [unrolled: 18-line block ×3, first 2 shown]
	v_fmac_f32_e32 v87, v5, v2
	s_clause 0x1
	buffer_load_dword v2, off, s[40:43], 0 offset:308
	buffer_load_dword v5, off, s[40:43], 0 offset:340
	s_waitcnt vmcnt(1)
	v_fmac_f32_e32 v86, v2, v1
	v_lshlrev_b32_e32 v2, 16, v7
	v_and_b32_e32 v1, 0xffff0000, v7
	s_waitcnt vmcnt(0)
	v_fmac_f32_e32 v86, v5, v2
	buffer_load_dword v2, off, s[40:43], 0 offset:336 ; 4-byte Folded Reload
	v_add_co_u32 v5, s2, 0x1800, v43
	v_add_co_ci_u32_e64 v6, null, 0, v44, s2
	v_add_co_u32 v7, s2, v43, 0x2000
	s_waitcnt vmcnt(0)
	v_fmac_f32_e32 v87, v2, v1
	v_lshlrev_b32_e32 v1, 16, v3
	v_and_b32_e32 v2, 0xffff0000, v3
	buffer_load_dword v3, off, s[40:43], 0 offset:368 ; 4-byte Folded Reload
	s_waitcnt vmcnt(0)
	v_fmac_f32_e32 v87, v3, v2
	s_clause 0x1
	buffer_load_dword v2, off, s[40:43], 0 offset:372
	buffer_load_dword v3, off, s[40:43], 0 offset:144
	s_waitcnt vmcnt(1)
	v_fmac_f32_e32 v86, v2, v1
	buffer_load_dword v1, off, s[40:43], 0 offset:24 ; 4-byte Folded Reload
	v_and_b32_e32 v2, 0xffff0000, v36
	s_waitcnt vmcnt(0)
	v_fmac_f32_e32 v89, v1, v38
	buffer_load_dword v1, off, s[40:43], 0 offset:28 ; 4-byte Folded Reload
	s_waitcnt vmcnt(0)
	v_fmac_f32_e32 v88, v1, v37
	buffer_load_dword v1, off, s[40:43], 0 offset:92 ; 4-byte Folded Reload
	;; [unrolled: 3-line block ×3, first 2 shown]
	s_waitcnt vmcnt(0)
	v_fmac_f32_e32 v89, v1, v39
	v_lshlrev_b32_e32 v1, 16, v36
	v_fmac_f32_e32 v89, v3, v2
	s_clause 0x1
	buffer_load_dword v2, off, s[40:43], 0 offset:148
	buffer_load_dword v3, off, s[40:43], 0 offset:156
	s_waitcnt vmcnt(1)
	v_fmac_f32_e32 v88, v2, v1
	v_lshlrev_b32_e32 v2, 16, v32
	v_and_b32_e32 v1, 0xffff0000, v32
	s_waitcnt vmcnt(0)
	v_fmac_f32_e32 v88, v3, v2
	s_clause 0x1
	buffer_load_dword v2, off, s[40:43], 0 offset:152
	buffer_load_dword v3, off, s[40:43], 0 offset:184
	s_waitcnt vmcnt(1)
	v_fmac_f32_e32 v89, v2, v1
	v_and_b32_e32 v2, 0xffff0000, v28
	v_lshlrev_b32_e32 v1, 16, v28
	s_waitcnt vmcnt(0)
	v_fmac_f32_e32 v89, v3, v2
	s_clause 0x1
	buffer_load_dword v2, off, s[40:43], 0 offset:188
	buffer_load_dword v3, off, s[40:43], 0 offset:220
	s_waitcnt vmcnt(1)
	v_fmac_f32_e32 v88, v2, v1
	v_lshlrev_b32_e32 v2, 16, v24
	v_and_b32_e32 v1, 0xffff0000, v24
	s_waitcnt vmcnt(0)
	v_fmac_f32_e32 v88, v3, v2
	s_clause 0x1
	buffer_load_dword v2, off, s[40:43], 0 offset:216
	buffer_load_dword v3, off, s[40:43], 0 offset:248
	s_waitcnt vmcnt(1)
	v_fmac_f32_e32 v89, v2, v1
	v_and_b32_e32 v2, 0xffff0000, v20
	v_lshlrev_b32_e32 v1, 16, v20
	s_waitcnt vmcnt(0)
	;; [unrolled: 18-line block ×3, first 2 shown]
	v_fmac_f32_e32 v89, v3, v2
	s_clause 0x1
	buffer_load_dword v2, off, s[40:43], 0 offset:316
	buffer_load_dword v3, off, s[40:43], 0 offset:348
	s_waitcnt vmcnt(1)
	v_fmac_f32_e32 v88, v2, v1
	v_lshlrev_b32_e32 v2, 16, v8
	v_and_b32_e32 v1, 0xffff0000, v8
	v_add_co_ci_u32_e64 v8, null, 0, v44, s2
	s_waitcnt vmcnt(0)
	v_fmac_f32_e32 v88, v3, v2
	s_clause 0x1
	buffer_load_dword v2, off, s[40:43], 0 offset:344
	buffer_load_dword v3, off, s[40:43], 0 offset:376
	s_waitcnt vmcnt(1)
	v_fmac_f32_e32 v89, v2, v1
	v_and_b32_e32 v2, 0xffff0000, v4
	v_lshlrev_b32_e32 v1, 16, v4
	s_waitcnt vmcnt(0)
	v_fmac_f32_e32 v89, v3, v2
	buffer_load_dword v2, off, s[40:43], 0 offset:380 ; 4-byte Folded Reload
	s_waitcnt vmcnt(0)
	v_fmac_f32_e32 v88, v2, v1
	global_load_dwordx4 v[1:4], v[7:8], off offset:-2048
	s_waitcnt vmcnt(0)
	v_and_b32_e32 v98, 0xffff0000, v1
	v_lshlrev_b32_e32 v99, 16, v1
	v_and_b32_e32 v100, 0xffff0000, v2
	v_lshlrev_b32_e32 v101, 16, v2
	;; [unrolled: 2-line block ×4, first 2 shown]
	s_clause 0x2
	global_load_dwordx4 v[1:4], v[5:6], off offset:512
	global_load_dwordx4 v[37:40], v[5:6], off offset:1024
	;; [unrolled: 1-line block ×3, first 2 shown]
	s_waitcnt vmcnt(2)
	v_lshlrev_b32_e32 v102, 16, v1
	v_and_b32_e32 v103, 0xffff0000, v1
	v_add_co_u32 v1, s2, 0x2000, v43
	v_lshlrev_b32_e32 v104, 16, v2
	v_and_b32_e32 v107, 0xffff0000, v2
	v_add_co_ci_u32_e64 v2, null, 0, v44, s2
	s_clause 0x3
	global_load_dwordx4 v[29:32], v[7:8], off
	global_load_dwordx4 v[25:28], v[1:2], off offset:512
	global_load_dwordx4 v[21:24], v[1:2], off offset:1024
	;; [unrolled: 1-line block ×3, first 2 shown]
	v_add_co_u32 v1, s2, 0x2800, v43
	v_add_co_ci_u32_e64 v2, null, 0, v44, s2
	v_lshlrev_b32_e32 v96, 16, v3
	v_and_b32_e32 v97, 0xffff0000, v3
	v_lshlrev_b32_e32 v92, 16, v4
	v_and_b32_e32 v93, 0xffff0000, v4
	s_clause 0x3
	global_load_dwordx4 v[13:16], v[1:2], off
	global_load_dwordx4 v[9:12], v[1:2], off offset:512
	global_load_dwordx4 v[5:8], v[1:2], off offset:1024
	;; [unrolled: 1-line block ×3, first 2 shown]
	s_clause 0x1
	buffer_load_dword v43, off, s[40:43], 0 offset:388
	buffer_load_dword v44, off, s[40:43], 0 offset:452
	s_waitcnt vmcnt(1)
	v_fmac_f32_e32 v82, v43, v99
	buffer_load_dword v43, off, s[40:43], 0 offset:384 ; 4-byte Folded Reload
	s_waitcnt vmcnt(0)
	v_fmac_f32_e32 v83, v43, v98
	buffer_load_dword v43, off, s[40:43], 0 offset:416 ; 4-byte Folded Reload
	;; [unrolled: 3-line block ×3, first 2 shown]
	s_waitcnt vmcnt(0)
	v_fmac_f32_e32 v82, v43, v102
	v_and_b32_e32 v43, 0xffff0000, v37
	v_lshlrev_b32_e32 v37, 16, v37
	v_fmac_f32_e32 v82, v44, v37
	buffer_load_dword v37, off, s[40:43], 0 offset:448 ; 4-byte Folded Reload
	s_waitcnt vmcnt(0)
	v_fmac_f32_e32 v83, v37, v43
	buffer_load_dword v43, off, s[40:43], 0 offset:480 ; 4-byte Folded Reload
	v_lshlrev_b32_e32 v37, 16, v33
	v_and_b32_e32 v33, 0xffff0000, v33
	s_waitcnt vmcnt(0)
	v_fmac_f32_e32 v83, v43, v33
	buffer_load_dword v33, off, s[40:43], 0 offset:484 ; 4-byte Folded Reload
	s_waitcnt vmcnt(0)
	v_fmac_f32_e32 v82, v33, v37
	buffer_load_dword v37, off, s[40:43], 0 offset:516 ; 4-byte Folded Reload
	v_and_b32_e32 v33, 0xffff0000, v29
	v_lshlrev_b32_e32 v29, 16, v29
	s_waitcnt vmcnt(0)
	v_fmac_f32_e32 v82, v37, v29
	buffer_load_dword v29, off, s[40:43], 0 offset:512 ; 4-byte Folded Reload
	s_waitcnt vmcnt(0)
	v_fmac_f32_e32 v83, v29, v33
	buffer_load_dword v33, off, s[40:43], 0 offset:544 ; 4-byte Folded Reload
	v_lshlrev_b32_e32 v29, 16, v25
	v_and_b32_e32 v25, 0xffff0000, v25
	s_waitcnt vmcnt(0)
	v_fmac_f32_e32 v83, v33, v25
	buffer_load_dword v25, off, s[40:43], 0 offset:548 ; 4-byte Folded Reload
	s_waitcnt vmcnt(0)
	v_fmac_f32_e32 v82, v25, v29
	v_and_b32_e32 v25, 0xffff0000, v21
	v_lshlrev_b32_e32 v21, 16, v21
	v_fmac_f32_e32 v83, v111, v25
	v_fmac_f32_e32 v82, v112, v21
	v_lshlrev_b32_e32 v21, 16, v17
	v_and_b32_e32 v17, 0xffff0000, v17
	v_fmac_f32_e32 v82, v120, v21
	v_fmac_f32_e32 v83, v119, v17
	v_and_b32_e32 v17, 0xffff0000, v13
	v_lshlrev_b32_e32 v13, 16, v13
	v_fmac_f32_e32 v83, v127, v17
	v_fmac_f32_e32 v82, v46, v13
	v_lshlrev_b32_e32 v13, 16, v9
	v_and_b32_e32 v9, 0xffff0000, v9
	v_fmac_f32_e32 v82, v52, v13
	v_fmac_f32_e32 v83, v51, v9
	v_and_b32_e32 v9, 0xffff0000, v5
	v_lshlrev_b32_e32 v5, 16, v5
	v_fmac_f32_e32 v83, v59, v9
	v_fmac_f32_e32 v82, v60, v5
	v_lshlrev_b32_e32 v5, 16, v1
	v_and_b32_e32 v1, 0xffff0000, v1
	buffer_load_dword v9, off, s[40:43], 0 offset:460 ; 4-byte Folded Reload
	v_fmac_f32_e32 v82, v68, v5
	v_fmac_f32_e32 v83, v67, v1
	buffer_load_dword v1, off, s[40:43], 0 offset:396 ; 4-byte Folded Reload
	v_lshlrev_b32_e32 v5, 16, v38
	s_waitcnt vmcnt(0)
	v_fmac_f32_e32 v84, v1, v101
	buffer_load_dword v1, off, s[40:43], 0 offset:392 ; 4-byte Folded Reload
	s_waitcnt vmcnt(0)
	v_fmac_f32_e32 v85, v1, v100
	buffer_load_dword v1, off, s[40:43], 0 offset:424 ; 4-byte Folded Reload
	;; [unrolled: 3-line block ×3, first 2 shown]
	s_waitcnt vmcnt(0)
	v_fmac_f32_e32 v84, v1, v104
	v_and_b32_e32 v1, 0xffff0000, v38
	v_fmac_f32_e32 v84, v9, v5
	s_clause 0x1
	buffer_load_dword v5, off, s[40:43], 0 offset:456
	buffer_load_dword v9, off, s[40:43], 0 offset:488
	s_waitcnt vmcnt(1)
	v_fmac_f32_e32 v85, v5, v1
	v_and_b32_e32 v5, 0xffff0000, v34
	v_lshlrev_b32_e32 v1, 16, v34
	s_waitcnt vmcnt(0)
	v_fmac_f32_e32 v85, v9, v5
	s_clause 0x1
	buffer_load_dword v5, off, s[40:43], 0 offset:492
	buffer_load_dword v9, off, s[40:43], 0 offset:524
	s_waitcnt vmcnt(1)
	v_fmac_f32_e32 v84, v5, v1
	v_lshlrev_b32_e32 v5, 16, v30
	v_and_b32_e32 v1, 0xffff0000, v30
	s_waitcnt vmcnt(0)
	v_fmac_f32_e32 v84, v9, v5
	s_clause 0x1
	buffer_load_dword v5, off, s[40:43], 0 offset:520
	buffer_load_dword v9, off, s[40:43], 0 offset:552
	s_waitcnt vmcnt(1)
	v_fmac_f32_e32 v85, v5, v1
	v_and_b32_e32 v5, 0xffff0000, v26
	v_lshlrev_b32_e32 v1, 16, v26
	s_waitcnt vmcnt(0)
	v_fmac_f32_e32 v85, v9, v5
	buffer_load_dword v5, off, s[40:43], 0 offset:556 ; 4-byte Folded Reload
	s_waitcnt vmcnt(0)
	v_fmac_f32_e32 v84, v5, v1
	v_and_b32_e32 v1, 0xffff0000, v22
	v_lshlrev_b32_e32 v5, 16, v22
	v_fmac_f32_e32 v85, v113, v1
	v_fmac_f32_e32 v84, v114, v5
	v_lshlrev_b32_e32 v1, 16, v18
	v_and_b32_e32 v5, 0xffff0000, v18
	v_fmac_f32_e32 v84, v122, v1
	v_fmac_f32_e32 v85, v121, v5
	v_and_b32_e32 v1, 0xffff0000, v14
	v_lshlrev_b32_e32 v5, 16, v14
	v_fmac_f32_e32 v85, v45, v1
	v_fmac_f32_e32 v84, v0, v5
	v_lshlrev_b32_e32 v1, 16, v10
	v_and_b32_e32 v5, 0xffff0000, v10
	v_fmac_f32_e32 v84, v54, v1
	v_fmac_f32_e32 v85, v53, v5
	v_and_b32_e32 v1, 0xffff0000, v6
	v_lshlrev_b32_e32 v5, 16, v6
	v_fmac_f32_e32 v85, v61, v1
	v_fmac_f32_e32 v84, v62, v5
	v_lshlrev_b32_e32 v1, 16, v2
	v_and_b32_e32 v2, 0xffff0000, v2
	buffer_load_dword v5, off, s[40:43], 0 offset:468 ; 4-byte Folded Reload
	v_fmac_f32_e32 v84, v70, v1
	buffer_load_dword v1, off, s[40:43], 0 offset:404 ; 4-byte Folded Reload
	v_fmac_f32_e32 v85, v69, v2
	v_lshlrev_b32_e32 v2, 16, v39
	s_waitcnt vmcnt(0)
	v_fmac_f32_e32 v86, v1, v95
	buffer_load_dword v1, off, s[40:43], 0 offset:400 ; 4-byte Folded Reload
	s_waitcnt vmcnt(0)
	v_fmac_f32_e32 v87, v1, v94
	buffer_load_dword v1, off, s[40:43], 0 offset:432 ; 4-byte Folded Reload
	;; [unrolled: 3-line block ×3, first 2 shown]
	s_waitcnt vmcnt(0)
	v_fmac_f32_e32 v86, v1, v96
	v_and_b32_e32 v1, 0xffff0000, v39
	v_fmac_f32_e32 v86, v5, v2
	s_clause 0x1
	buffer_load_dword v2, off, s[40:43], 0 offset:464
	buffer_load_dword v5, off, s[40:43], 0 offset:496
	s_waitcnt vmcnt(1)
	v_fmac_f32_e32 v87, v2, v1
	v_and_b32_e32 v2, 0xffff0000, v35
	v_lshlrev_b32_e32 v1, 16, v35
	s_waitcnt vmcnt(0)
	v_fmac_f32_e32 v87, v5, v2
	s_clause 0x1
	buffer_load_dword v2, off, s[40:43], 0 offset:500
	buffer_load_dword v5, off, s[40:43], 0 offset:532
	s_waitcnt vmcnt(1)
	v_fmac_f32_e32 v86, v2, v1
	v_lshlrev_b32_e32 v2, 16, v31
	v_and_b32_e32 v1, 0xffff0000, v31
	s_waitcnt vmcnt(0)
	v_fmac_f32_e32 v86, v5, v2
	s_clause 0x1
	buffer_load_dword v2, off, s[40:43], 0 offset:528
	buffer_load_dword v5, off, s[40:43], 0 offset:560
	s_waitcnt vmcnt(1)
	v_fmac_f32_e32 v87, v2, v1
	v_lshlrev_b32_e32 v1, 16, v27
	v_and_b32_e32 v2, 0xffff0000, v27
	v_fmac_f32_e32 v86, v108, v1
	s_waitcnt vmcnt(0)
	v_fmac_f32_e32 v87, v5, v2
	v_and_b32_e32 v1, 0xffff0000, v23
	v_lshlrev_b32_e32 v2, 16, v23
	v_fmac_f32_e32 v87, v115, v1
	v_fmac_f32_e32 v86, v116, v2
	v_lshlrev_b32_e32 v1, 16, v19
	v_and_b32_e32 v2, 0xffff0000, v19
	v_fmac_f32_e32 v86, v124, v1
	v_fmac_f32_e32 v87, v123, v2
	v_and_b32_e32 v1, 0xffff0000, v15
	v_lshlrev_b32_e32 v2, 16, v15
	v_fmac_f32_e32 v87, v47, v1
	v_fmac_f32_e32 v86, v48, v2
	v_lshlrev_b32_e32 v1, 16, v11
	v_and_b32_e32 v2, 0xffff0000, v11
	v_fmac_f32_e32 v86, v56, v1
	v_fmac_f32_e32 v87, v55, v2
	v_and_b32_e32 v1, 0xffff0000, v7
	v_lshlrev_b32_e32 v2, 16, v7
	v_fmac_f32_e32 v87, v63, v1
	v_fmac_f32_e32 v86, v64, v2
	v_lshlrev_b32_e32 v1, 16, v3
	v_and_b32_e32 v2, 0xffff0000, v3
	buffer_load_dword v3, off, s[40:43], 0 offset:476 ; 4-byte Folded Reload
	v_fmac_f32_e32 v86, v73, v1
	buffer_load_dword v1, off, s[40:43], 0 offset:412 ; 4-byte Folded Reload
	v_fmac_f32_e32 v87, v72, v2
	v_lshlrev_b32_e32 v2, 16, v40
	s_waitcnt vmcnt(0)
	v_fmac_f32_e32 v88, v1, v91
	buffer_load_dword v1, off, s[40:43], 0 offset:408 ; 4-byte Folded Reload
	s_waitcnt vmcnt(0)
	v_fmac_f32_e32 v89, v1, v90
	buffer_load_dword v1, off, s[40:43], 0 offset:440 ; 4-byte Folded Reload
	;; [unrolled: 3-line block ×3, first 2 shown]
	s_waitcnt vmcnt(0)
	v_fmac_f32_e32 v88, v1, v92
	v_and_b32_e32 v1, 0xffff0000, v40
	v_fmac_f32_e32 v88, v3, v2
	s_clause 0x1
	buffer_load_dword v2, off, s[40:43], 0 offset:472
	buffer_load_dword v3, off, s[40:43], 0 offset:504
	s_waitcnt vmcnt(1)
	v_fmac_f32_e32 v89, v2, v1
	v_and_b32_e32 v2, 0xffff0000, v36
	v_lshlrev_b32_e32 v1, 16, v36
	s_waitcnt vmcnt(0)
	v_fmac_f32_e32 v89, v3, v2
	s_clause 0x1
	buffer_load_dword v2, off, s[40:43], 0 offset:508
	buffer_load_dword v3, off, s[40:43], 0 offset:540
	s_waitcnt vmcnt(1)
	v_fmac_f32_e32 v88, v2, v1
	v_lshlrev_b32_e32 v2, 16, v32
	v_and_b32_e32 v1, 0xffff0000, v32
	s_waitcnt vmcnt(0)
	v_fmac_f32_e32 v88, v3, v2
	buffer_load_dword v2, off, s[40:43], 0 offset:536 ; 4-byte Folded Reload
	s_waitcnt vmcnt(0)
	v_fmac_f32_e32 v89, v2, v1
	v_lshlrev_b32_e32 v1, 16, v28
	v_and_b32_e32 v2, 0xffff0000, v28
	v_fmac_f32_e32 v88, v110, v1
	v_fmac_f32_e32 v89, v109, v2
	v_and_b32_e32 v1, 0xffff0000, v24
	v_lshlrev_b32_e32 v2, 16, v24
	v_fmac_f32_e32 v89, v117, v1
	v_fmac_f32_e32 v88, v118, v2
	v_lshlrev_b32_e32 v1, 16, v20
	v_and_b32_e32 v2, 0xffff0000, v20
	v_fmac_f32_e32 v88, v126, v1
	v_fmac_f32_e32 v89, v125, v2
	v_and_b32_e32 v1, 0xffff0000, v16
	v_lshlrev_b32_e32 v2, 16, v16
	v_fmac_f32_e32 v89, v49, v1
	;; [unrolled: 8-line block ×3, first 2 shown]
	v_fmac_f32_e32 v88, v66, v2
	v_lshlrev_b32_e32 v1, 16, v4
	v_and_b32_e32 v2, 0xffff0000, v4
	v_fmac_f32_e32 v88, v75, v1
	v_add_f32_e32 v1, v82, v83
	v_fmac_f32_e32 v89, v74, v2
	v_add_f32_e32 v1, v1, v84
	v_add_f32_e32 v1, v85, v1
	;; [unrolled: 1-line block ×6, first 2 shown]
	v_fmac_f32_e32 v81, s3, v1
	v_cndmask_b32_e64 v1, 0, v81, s1
	ds_write_b32 v76, v1
	v_max_f32_e32 v1, v71, v71
	v_add_nc_u32_e32 v76, 0x200, v76
	v_max_f32_e32 v1, v1, v81
	v_cndmask_b32_e64 v71, v71, v1, s1
	v_add_co_u32 v41, s1, v41, 16
	v_add_co_ci_u32_e64 v42, null, 0, v42, s1
	v_cmp_le_i32_e64 s1, s11, v80
	s_or_b32 s5, s1, s5
	s_andn2_b32 exec_lo, exec_lo, s5
	s_cbranch_execnz .LBB187_7
; %bb.8:
	s_or_b32 exec_lo, exec_lo, s5
	s_clause 0x5
	buffer_load_dword v51, off, s[40:43], 0 offset:564
	buffer_load_dword v76, off, s[40:43], 0 offset:568
	;; [unrolled: 1-line block ×6, first 2 shown]
.LBB187_9:
	s_or_b32 exec_lo, exec_lo, s34
	v_mbcnt_lo_u32_b32 v0, -1, 0
	v_max_f32_e32 v4, v71, v71
	v_xor_b32_e32 v1, 16, v0
	v_xor_b32_e32 v3, 8, v0
	v_cmp_gt_i32_e32 vcc_lo, 32, v1
	v_cndmask_b32_e32 v1, v0, v1, vcc_lo
	v_cmp_gt_i32_e32 vcc_lo, 32, v3
	v_lshlrev_b32_e32 v1, 2, v1
	v_cndmask_b32_e32 v3, v0, v3, vcc_lo
	ds_bpermute_b32 v2, v1, v71
	s_waitcnt lgkmcnt(0)
	v_max_f32_e32 v5, v2, v2
	v_lshlrev_b32_e32 v2, 2, v3
	v_max_f32_e32 v3, v4, v5
	v_xor_b32_e32 v5, 4, v0
	ds_bpermute_b32 v4, v2, v3
	v_cmp_gt_i32_e32 vcc_lo, 32, v5
	v_cndmask_b32_e32 v5, v0, v5, vcc_lo
	s_waitcnt lgkmcnt(0)
	v_max_f32_e32 v6, v4, v4
	v_lshlrev_b32_e32 v4, 2, v5
	v_max_f32_e32 v3, v3, v6
	v_xor_b32_e32 v6, 2, v0
	ds_bpermute_b32 v5, v4, v3
	v_cmp_gt_i32_e32 vcc_lo, 32, v6
	v_cndmask_b32_e32 v6, v0, v6, vcc_lo
	v_lshlrev_b32_e32 v33, 2, v6
	v_xor_b32_e32 v6, 1, v0
	v_cmp_gt_i32_e32 vcc_lo, 32, v6
	s_waitcnt lgkmcnt(0)
	v_max_f32_e32 v5, v5, v5
	v_cndmask_b32_e32 v6, v0, v6, vcc_lo
	s_waitcnt vmcnt(3)
	v_cmp_eq_u32_e32 vcc_lo, 0, v79
	v_max_f32_e32 v3, v3, v5
	v_lshlrev_b32_e32 v52, 2, v6
	ds_bpermute_b32 v5, v33, v3
	s_waitcnt lgkmcnt(0)
	v_max_f32_e32 v5, v5, v5
	v_max_f32_e32 v0, v3, v5
	v_lshlrev_b32_e32 v5, 2, v76
	ds_bpermute_b32 v3, v52, v0
	s_and_saveexec_b32 s1, vcc_lo
	s_cbranch_execz .LBB187_11
; %bb.10:
	s_waitcnt lgkmcnt(0)
	v_max_f32_e32 v3, v3, v3
	v_max_f32_e32 v0, v0, v0
	;; [unrolled: 1-line block ×3, first 2 shown]
	ds_write_b32 v5, v0 offset:384
.LBB187_11:
	s_or_b32 exec_lo, exec_lo, s1
	v_cmp_gt_u32_e64 s1, 4, v79
	v_mov_b32_e32 v0, 0xff7fffff
	s_waitcnt vmcnt(0) lgkmcnt(0)
	s_waitcnt_vscnt null, 0x0
	s_barrier
	buffer_gl0_inv
	s_and_saveexec_b32 s2, s1
; %bb.12:
	ds_read_b32 v0, v23 offset:384
; %bb.13:
	s_or_b32 exec_lo, exec_lo, s2
	s_waitcnt lgkmcnt(0)
	ds_bpermute_b32 v3, v33, v0
	v_max_f32_e32 v0, v0, v0
	v_mov_b32_e32 v6, 0
	s_sub_i32 s2, s11, s31
	s_lshl_b32 s2, s2, 5
	s_add_i32 s2, s2, s30
	s_min_i32 s2, s2, s25
	s_sub_i32 s4, s2, s30
	v_cmp_gt_i32_e64 s2, s4, v51
	s_waitcnt lgkmcnt(0)
	v_max_f32_e32 v3, v3, v3
	v_max_f32_e32 v0, v0, v3
	ds_bpermute_b32 v3, v52, v0
	s_waitcnt lgkmcnt(0)
	v_max_f32_e32 v3, v3, v3
	v_max_f32_e32 v0, v0, v3
	v_lshl_add_u32 v3, v51, 2, 0x1a0
	ds_bpermute_b32 v0, v6, v0
	s_and_saveexec_b32 s5, s2
	s_cbranch_execz .LBB187_17
; %bb.14:
	v_lshl_add_u32 v7, v51, 2, 0x1a0
	v_mov_b32_e32 v6, 0
	v_mov_b32_e32 v8, v51
	s_mov_b32 s15, 0
	.p2align	6
.LBB187_15:                             ; =>This Inner Loop Header: Depth=1
	ds_read_b32 v9, v7
	v_add_nc_u32_e32 v8, 0x80, v8
	v_cmp_le_i32_e64 s3, s4, v8
	s_or_b32 s15, s3, s15
	s_waitcnt lgkmcnt(0)
	v_sub_f32_e32 v9, v9, v0
	v_mul_f32_e32 v9, 0x3fb8aa3b, v9
	v_exp_f32_e32 v9, v9
	ds_write_b32 v7, v9
	v_add_f32_e32 v6, v6, v9
	v_add_nc_u32_e32 v7, 0x200, v7
	s_andn2_b32 exec_lo, exec_lo, s15
	s_cbranch_execnz .LBB187_15
; %bb.16:
	s_or_b32 exec_lo, exec_lo, s15
.LBB187_17:
	s_or_b32 exec_lo, exec_lo, s5
	ds_bpermute_b32 v1, v1, v6
	s_waitcnt lgkmcnt(0)
	v_add_f32_e32 v1, v6, v1
	ds_bpermute_b32 v2, v2, v1
	s_waitcnt lgkmcnt(0)
	v_add_f32_e32 v1, v1, v2
	;; [unrolled: 3-line block ×5, first 2 shown]
	s_and_saveexec_b32 s3, vcc_lo
; %bb.18:
	ds_write_b32 v5, v1 offset:400
; %bb.19:
	s_or_b32 exec_lo, exec_lo, s3
	s_waitcnt lgkmcnt(0)
	s_barrier
	buffer_gl0_inv
	s_and_saveexec_b32 s3, s1
; %bb.20:
	ds_read_b32 v1, v23 offset:400
; %bb.21:
	s_or_b32 exec_lo, exec_lo, s3
	s_waitcnt lgkmcnt(0)
	ds_bpermute_b32 v2, v33, v1
	s_waitcnt lgkmcnt(0)
	v_add_f32_e32 v1, v1, v2
	ds_bpermute_b32 v2, v52, v1
	s_waitcnt lgkmcnt(0)
	v_add_f32_e32 v1, v1, v2
	v_mov_b32_e32 v2, 0
	ds_bpermute_b32 v1, v2, v1
	s_and_saveexec_b32 s1, s2
	s_cbranch_execz .LBB187_24
; %bb.22:
	s_waitcnt lgkmcnt(0)
	v_add_f32_e32 v2, 0x358637bd, v1
	s_mov_b32 s2, 0
	v_div_scale_f32 v4, null, v2, v2, 1.0
	v_div_scale_f32 v7, vcc_lo, 1.0, v2, 1.0
	v_rcp_f32_e32 v5, v4
	v_fma_f32 v6, -v4, v5, 1.0
	v_fmac_f32_e32 v5, v6, v5
	v_mul_f32_e32 v6, v7, v5
	v_fma_f32 v8, -v4, v6, v7
	v_fmac_f32_e32 v6, v8, v5
	v_fma_f32 v4, -v4, v6, v7
	v_div_fmas_f32 v4, v4, v5, v6
	v_div_fixup_f32 v2, v4, v2, 1.0
	v_mov_b32_e32 v4, v51
.LBB187_23:                             ; =>This Inner Loop Header: Depth=1
	ds_read_b32 v5, v3
	v_add_nc_u32_e32 v4, 0x80, v4
	v_cmp_le_i32_e32 vcc_lo, s4, v4
	s_or_b32 s2, vcc_lo, s2
	s_waitcnt lgkmcnt(0)
	v_mul_f32_e32 v5, v2, v5
	ds_write_b32 v3, v5
	v_add_nc_u32_e32 v3, 0x200, v3
	s_andn2_b32 exec_lo, exec_lo, s2
	s_cbranch_execnz .LBB187_23
.LBB187_24:
	s_or_b32 exec_lo, exec_lo, s1
	s_mul_i32 s1, s7, s24
	s_waitcnt lgkmcnt(0)
	s_mul_i32 s4, s1, s9
	s_mov_b32 s1, exec_lo
	s_barrier
	buffer_gl0_inv
	v_cmpx_eq_u32_e32 0, v51
	s_cbranch_execz .LBB187_26
; %bb.25:
	s_ashr_i32 s5, s4, 31
	s_mul_i32 s34, s7, s6
	s_lshl_b64 s[2:3], s[4:5], 2
	v_mov_b32_e32 v2, 0
	s_add_u32 s5, s18, s2
	s_addc_u32 s6, s19, s3
	s_ashr_i32 s35, s34, 31
	s_lshl_b64 s[18:19], s[34:35], 2
	s_add_u32 s5, s5, s18
	s_addc_u32 s6, s6, s19
	s_ashr_i32 s9, s8, 31
	s_lshl_b64 s[34:35], s[8:9], 2
	s_add_u32 s36, s5, s34
	s_addc_u32 s37, s6, s35
	s_add_u32 s2, s16, s2
	s_addc_u32 s3, s17, s3
	;; [unrolled: 2-line block ×4, first 2 shown]
	global_store_dword v2, v0, s[36:37]
	global_store_dword v2, v1, s[2:3]
.LBB187_26:
	s_or_b32 exec_lo, exec_lo, s1
	v_mov_b32_e32 v113, 0
	v_and_b32_e32 v53, 3, v51
	v_mov_b32_e32 v115, 0
	v_mov_b32_e32 v114, 0
	;; [unrolled: 1-line block ×23, first 2 shown]
	s_and_saveexec_b32 s3, s0
	s_cbranch_execz .LBB187_78
; %bb.27:
	s_ashr_i32 s15, s14, 31
	v_lshlrev_b32_e32 v1, 5, v53
	v_and_b32_e32 v2, 0x1f0, v10
	s_lshl_b64 s[0:1], s[14:15], 1
	v_lshlrev_b32_e32 v0, 3, v51
	s_add_u32 s0, s26, s0
	v_lshl_or_b32 v3, v76, 7, v1
	v_add_co_u32 v1, s0, s0, v2
	s_addc_u32 s1, s27, s1
	buffer_store_dword v33, off, s[40:43], 0 offset:64 ; 4-byte Folded Spill
	buffer_store_dword v52, off, s[40:43], 0 offset:60 ; 4-byte Folded Spill
	v_and_b32_e32 v0, 24, v0
	buffer_store_dword v1, off, s[40:43], 0 offset:52 ; 4-byte Folded Spill
	v_add_co_ci_u32_e64 v1, null, s1, 0, s0
	s_lshl_b64 s[0:1], s[28:29], 2
	v_add3_u32 v117, s30, v22, v0
	s_add_i32 s5, s12, -1
	buffer_store_dword v1, off, s[40:43], 0 offset:56 ; 4-byte Folded Spill
	v_lshlrev_b64 v[0:1], 2, v[105:106]
	s_add_u32 s0, s22, s0
	s_addc_u32 s1, s23, s1
	v_mov_b32_e32 v116, 0
	v_add_nc_u32_e32 v118, 0x1a0, v3
	v_mov_b32_e32 v48, 0
	v_add_co_u32 v106, vcc_lo, s0, v0
	v_add_co_ci_u32_e64 v107, null, s1, v1, vcc_lo
	v_mov_b32_e32 v126, 0
	v_mov_b32_e32 v127, 0
	;; [unrolled: 1-line block ×23, first 2 shown]
	s_mov_b32 s6, s13
	s_mov_b32 s12, s25
	;; [unrolled: 1-line block ×3, first 2 shown]
	buffer_store_dword v53, off, s[40:43], 0 offset:68 ; 4-byte Folded Spill
	s_branch .LBB187_29
.LBB187_28:                             ;   in Loop: Header=BB187_29 Depth=1
	s_or_b32 exec_lo, exec_lo, s2
	s_waitcnt lgkmcnt(1)
	v_bfe_u32 v119, v85, 16, 1
	v_or_b32_e32 v120, 0x400000, v85
	v_cmp_u_f32_e32 vcc_lo, v85, v85
	v_add_nc_u32_e32 v105, 4, v105
	v_add_nc_u32_e32 v117, 0x80, v117
	v_add3_u32 v119, v119, v85, 0x7fff
	v_add_nc_u32_e32 v118, 0x200, v118
	v_cndmask_b32_e32 v85, v119, v120, vcc_lo
	v_bfe_u32 v119, v86, 16, 1
	v_or_b32_e32 v120, 0x400000, v86
	v_cmp_u_f32_e32 vcc_lo, v86, v86
	v_add3_u32 v119, v119, v86, 0x7fff
	v_cndmask_b32_e32 v86, v119, v120, vcc_lo
	v_bfe_u32 v119, v87, 16, 1
	v_or_b32_e32 v120, 0x400000, v87
	v_cmp_u_f32_e32 vcc_lo, v87, v87
	v_add3_u32 v119, v119, v87, 0x7fff
	v_cndmask_b32_e32 v87, v119, v120, vcc_lo
	v_bfe_u32 v119, v88, 16, 1
	v_or_b32_e32 v120, 0x400000, v88
	v_cmp_u_f32_e32 vcc_lo, v88, v88
	v_and_b32_e32 v87, 0xffff0000, v87
	v_add3_u32 v119, v119, v88, 0x7fff
	s_waitcnt lgkmcnt(0)
	v_bfe_u32 v88, v81, 16, 1
	v_cndmask_b32_e32 v119, v119, v120, vcc_lo
	v_add3_u32 v88, v88, v81, 0x7fff
	v_or_b32_e32 v120, 0x400000, v81
	v_cmp_u_f32_e32 vcc_lo, v81, v81
	v_cndmask_b32_e32 v81, v88, v120, vcc_lo
	v_bfe_u32 v88, v82, 16, 1
	v_or_b32_e32 v120, 0x400000, v82
	v_cmp_u_f32_e32 vcc_lo, v82, v82
	v_add3_u32 v88, v88, v82, 0x7fff
	v_cndmask_b32_e32 v82, v88, v120, vcc_lo
	v_bfe_u32 v88, v83, 16, 1
	v_or_b32_e32 v120, 0x400000, v83
	v_cmp_u_f32_e32 vcc_lo, v83, v83
	v_and_b32_e32 v82, 0xffff0000, v82
	v_add3_u32 v88, v88, v83, 0x7fff
	v_bfe_u32 v83, v84, 16, 1
	v_cndmask_b32_e32 v120, v88, v120, vcc_lo
	v_add3_u32 v83, v83, v84, 0x7fff
	v_or_b32_e32 v88, 0x400000, v84
	v_cmp_u_f32_e32 vcc_lo, v84, v84
	v_and_b32_e32 v84, 0xffff0000, v86
	v_cndmask_b32_e32 v121, v83, v88, vcc_lo
	s_waitcnt vmcnt(1)
	v_and_b32_e32 v83, 0xffff0000, v101
	v_mul_f32_e32 v83, v84, v83
	v_bfe_u32 v86, v83, 16, 1
	v_or_b32_e32 v88, 0x400000, v83
	v_cmp_u_f32_e32 vcc_lo, v83, v83
	v_add3_u32 v86, v86, v83, 0x7fff
	v_lshlrev_b32_e32 v83, 16, v101
	v_cndmask_b32_e32 v122, v86, v88, vcc_lo
	v_and_b32_e32 v88, 0xffff0000, v85
	v_mul_f32_e32 v83, v88, v83
	v_bfe_u32 v85, v83, 16, 1
	v_or_b32_e32 v86, 0x400000, v83
	v_cmp_u_f32_e32 vcc_lo, v83, v83
	v_add3_u32 v85, v85, v83, 0x7fff
	v_and_b32_e32 v83, 0xffff0000, v119
	v_cndmask_b32_e32 v101, v85, v86, vcc_lo
	v_and_b32_e32 v85, 0xffff0000, v102
	v_and_b32_e32 v101, 0xffff0000, v101
	v_mul_f32_e32 v85, v83, v85
	v_bfe_u32 v86, v85, 16, 1
	v_or_b32_e32 v119, 0x400000, v85
	v_cmp_u_f32_e32 vcc_lo, v85, v85
	v_add3_u32 v86, v86, v85, 0x7fff
	v_lshlrev_b32_e32 v85, 16, v102
	v_cndmask_b32_e32 v119, v86, v119, vcc_lo
	v_mul_f32_e32 v85, v87, v85
	v_and_b32_e32 v119, 0xffff0000, v119
	v_bfe_u32 v86, v85, 16, 1
	v_or_b32_e32 v102, 0x400000, v85
	v_cmp_u_f32_e32 vcc_lo, v85, v85
	v_add3_u32 v86, v86, v85, 0x7fff
	v_and_b32_e32 v85, 0xffff0000, v103
	v_cndmask_b32_e32 v102, v86, v102, vcc_lo
	v_mul_f32_e32 v85, v82, v85
	v_and_b32_e32 v102, 0xffff0000, v102
	v_bfe_u32 v86, v85, 16, 1
	v_or_b32_e32 v123, 0x400000, v85
	v_cmp_u_f32_e32 vcc_lo, v85, v85
	v_add_f32_e32 v102, v102, v119
	v_add3_u32 v86, v86, v85, 0x7fff
	v_cndmask_b32_e32 v123, v86, v123, vcc_lo
	v_and_b32_e32 v86, 0xffff0000, v81
	v_lshlrev_b32_e32 v81, 16, v103
	v_mul_f32_e32 v81, v86, v81
	v_bfe_u32 v85, v81, 16, 1
	v_or_b32_e32 v103, 0x400000, v81
	v_cmp_u_f32_e32 vcc_lo, v81, v81
	v_add3_u32 v85, v85, v81, 0x7fff
	v_and_b32_e32 v81, 0xffff0000, v121
	v_cndmask_b32_e32 v103, v85, v103, vcc_lo
	v_and_b32_e32 v85, 0xffff0000, v104
	v_lshlrev_b32_e32 v104, 16, v104
	v_mul_f32_e32 v85, v81, v85
	v_bfe_u32 v121, v85, 16, 1
	v_or_b32_e32 v124, 0x400000, v85
	v_cmp_u_f32_e32 vcc_lo, v85, v85
	v_add3_u32 v121, v121, v85, 0x7fff
	v_and_b32_e32 v85, 0xffff0000, v120
	v_cndmask_b32_e32 v121, v121, v124, vcc_lo
	v_mul_f32_e32 v104, v85, v104
	v_bfe_u32 v120, v104, 16, 1
	v_or_b32_e32 v124, 0x400000, v104
	v_cmp_u_f32_e32 vcc_lo, v104, v104
	v_add3_u32 v120, v120, v104, 0x7fff
	v_cndmask_b32_e32 v104, v120, v124, vcc_lo
	v_and_b32_e32 v120, 0xffff0000, v122
	v_add_f32_e32 v101, v101, v120
	v_add_f32_e32 v101, v102, v101
	v_and_b32_e32 v102, 0xffff0000, v103
	v_and_b32_e32 v103, 0xffff0000, v123
	v_add_f32_e32 v102, v102, v103
	v_and_b32_e32 v103, 0xffff0000, v121
	v_add_f32_e32 v101, v102, v101
	;; [unrolled: 2-line block ×3, first 2 shown]
	v_add_f32_e32 v101, v102, v101
	v_add_f32_e32 v126, v126, v101
	v_and_b32_e32 v101, 0xffff0000, v97
	v_lshlrev_b32_e32 v97, 16, v97
	v_mul_f32_e32 v101, v84, v101
	v_mul_f32_e32 v97, v88, v97
	v_bfe_u32 v102, v101, 16, 1
	v_or_b32_e32 v103, 0x400000, v101
	v_cmp_u_f32_e32 vcc_lo, v101, v101
	v_add3_u32 v102, v102, v101, 0x7fff
	v_cndmask_b32_e32 v101, v102, v103, vcc_lo
	v_bfe_u32 v102, v97, 16, 1
	v_or_b32_e32 v103, 0x400000, v97
	v_cmp_u_f32_e32 vcc_lo, v97, v97
	v_and_b32_e32 v101, 0xffff0000, v101
	v_add3_u32 v102, v102, v97, 0x7fff
	v_cndmask_b32_e32 v97, v102, v103, vcc_lo
	v_and_b32_e32 v102, 0xffff0000, v98
	v_lshlrev_b32_e32 v98, 16, v98
	v_and_b32_e32 v97, 0xffff0000, v97
	v_mul_f32_e32 v102, v83, v102
	v_mul_f32_e32 v98, v87, v98
	v_add_f32_e32 v97, v97, v101
	v_bfe_u32 v103, v102, 16, 1
	v_or_b32_e32 v104, 0x400000, v102
	v_cmp_u_f32_e32 vcc_lo, v102, v102
	v_add3_u32 v103, v103, v102, 0x7fff
	v_cndmask_b32_e32 v102, v103, v104, vcc_lo
	v_bfe_u32 v103, v98, 16, 1
	v_or_b32_e32 v104, 0x400000, v98
	v_cmp_u_f32_e32 vcc_lo, v98, v98
	v_and_b32_e32 v101, 0xffff0000, v102
	v_add3_u32 v103, v103, v98, 0x7fff
	v_cndmask_b32_e32 v98, v103, v104, vcc_lo
	v_and_b32_e32 v103, 0xffff0000, v99
	v_lshlrev_b32_e32 v99, 16, v99
	v_and_b32_e32 v98, 0xffff0000, v98
	v_mul_f32_e32 v103, v82, v103
	v_mul_f32_e32 v99, v86, v99
	v_add_f32_e32 v98, v98, v101
	v_bfe_u32 v104, v103, 16, 1
	v_or_b32_e32 v119, 0x400000, v103
	v_cmp_u_f32_e32 vcc_lo, v103, v103
	v_add_f32_e32 v97, v98, v97
	v_add3_u32 v104, v104, v103, 0x7fff
	v_cndmask_b32_e32 v103, v104, v119, vcc_lo
	v_bfe_u32 v104, v99, 16, 1
	v_or_b32_e32 v119, 0x400000, v99
	v_cmp_u_f32_e32 vcc_lo, v99, v99
	v_add3_u32 v104, v104, v99, 0x7fff
	v_cndmask_b32_e32 v99, v104, v119, vcc_lo
	v_and_b32_e32 v104, 0xffff0000, v100
	v_lshlrev_b32_e32 v100, 16, v100
	v_and_b32_e32 v98, 0xffff0000, v99
	v_mul_f32_e32 v104, v81, v104
	v_mul_f32_e32 v100, v85, v100
	v_and_b32_e32 v99, 0xffff0000, v103
	v_bfe_u32 v119, v104, 16, 1
	v_or_b32_e32 v120, 0x400000, v104
	v_cmp_u_f32_e32 vcc_lo, v104, v104
	v_add_f32_e32 v98, v98, v99
	v_add3_u32 v119, v119, v104, 0x7fff
	v_add_f32_e32 v97, v98, v97
	v_cndmask_b32_e32 v104, v119, v120, vcc_lo
	v_bfe_u32 v119, v100, 16, 1
	v_or_b32_e32 v120, 0x400000, v100
	v_cmp_u_f32_e32 vcc_lo, v100, v100
	v_and_b32_e32 v99, 0xffff0000, v104
	v_add3_u32 v119, v119, v100, 0x7fff
	v_cndmask_b32_e32 v100, v119, v120, vcc_lo
	v_and_b32_e32 v98, 0xffff0000, v100
	v_add_f32_e32 v98, v98, v99
	v_add_f32_e32 v97, v98, v97
	;; [unrolled: 1-line block ×3, first 2 shown]
	v_and_b32_e32 v97, 0xffff0000, v93
	v_lshlrev_b32_e32 v93, 16, v93
	v_mul_f32_e32 v97, v84, v97
	v_mul_f32_e32 v93, v88, v93
	v_bfe_u32 v98, v97, 16, 1
	v_or_b32_e32 v99, 0x400000, v97
	v_cmp_u_f32_e32 vcc_lo, v97, v97
	v_add3_u32 v98, v98, v97, 0x7fff
	v_cndmask_b32_e32 v97, v98, v99, vcc_lo
	v_bfe_u32 v98, v93, 16, 1
	v_or_b32_e32 v99, 0x400000, v93
	v_cmp_u_f32_e32 vcc_lo, v93, v93
	v_and_b32_e32 v97, 0xffff0000, v97
	v_add3_u32 v98, v98, v93, 0x7fff
	v_cndmask_b32_e32 v93, v98, v99, vcc_lo
	v_and_b32_e32 v98, 0xffff0000, v94
	v_lshlrev_b32_e32 v94, 16, v94
	v_and_b32_e32 v93, 0xffff0000, v93
	v_mul_f32_e32 v98, v83, v98
	v_mul_f32_e32 v94, v87, v94
	v_add_f32_e32 v93, v93, v97
	v_bfe_u32 v99, v98, 16, 1
	v_or_b32_e32 v100, 0x400000, v98
	v_cmp_u_f32_e32 vcc_lo, v98, v98
	v_add3_u32 v99, v99, v98, 0x7fff
	v_cndmask_b32_e32 v98, v99, v100, vcc_lo
	v_bfe_u32 v99, v94, 16, 1
	v_or_b32_e32 v100, 0x400000, v94
	v_cmp_u_f32_e32 vcc_lo, v94, v94
	v_and_b32_e32 v97, 0xffff0000, v98
	v_add3_u32 v99, v99, v94, 0x7fff
	v_cndmask_b32_e32 v94, v99, v100, vcc_lo
	v_and_b32_e32 v99, 0xffff0000, v95
	v_lshlrev_b32_e32 v95, 16, v95
	v_and_b32_e32 v94, 0xffff0000, v94
	v_mul_f32_e32 v99, v82, v99
	v_mul_f32_e32 v95, v86, v95
	v_add_f32_e32 v94, v94, v97
	v_bfe_u32 v100, v99, 16, 1
	v_or_b32_e32 v101, 0x400000, v99
	v_cmp_u_f32_e32 vcc_lo, v99, v99
	v_add_f32_e32 v93, v94, v93
	v_add3_u32 v100, v100, v99, 0x7fff
	v_cndmask_b32_e32 v99, v100, v101, vcc_lo
	v_bfe_u32 v100, v95, 16, 1
	v_or_b32_e32 v101, 0x400000, v95
	v_cmp_u_f32_e32 vcc_lo, v95, v95
	v_add3_u32 v100, v100, v95, 0x7fff
	v_cndmask_b32_e32 v95, v100, v101, vcc_lo
	v_and_b32_e32 v100, 0xffff0000, v96
	v_lshlrev_b32_e32 v96, 16, v96
	v_and_b32_e32 v94, 0xffff0000, v95
	v_mul_f32_e32 v100, v81, v100
	v_mul_f32_e32 v96, v85, v96
	v_and_b32_e32 v95, 0xffff0000, v99
	v_bfe_u32 v101, v100, 16, 1
	v_or_b32_e32 v102, 0x400000, v100
	v_cmp_u_f32_e32 vcc_lo, v100, v100
	v_add_f32_e32 v94, v94, v95
	v_add3_u32 v101, v101, v100, 0x7fff
	v_add_f32_e32 v93, v94, v93
	v_cndmask_b32_e32 v100, v101, v102, vcc_lo
	v_bfe_u32 v101, v96, 16, 1
	v_or_b32_e32 v102, 0x400000, v96
	v_cmp_u_f32_e32 vcc_lo, v96, v96
	v_and_b32_e32 v95, 0xffff0000, v100
	v_add3_u32 v101, v101, v96, 0x7fff
	v_cndmask_b32_e32 v96, v101, v102, vcc_lo
	v_and_b32_e32 v94, 0xffff0000, v96
	v_add_f32_e32 v94, v94, v95
	v_add_f32_e32 v93, v94, v93
	;; [unrolled: 1-line block ×3, first 2 shown]
	v_and_b32_e32 v93, 0xffff0000, v89
	v_lshlrev_b32_e32 v89, 16, v89
	v_mul_f32_e32 v93, v84, v93
	v_mul_f32_e32 v89, v88, v89
	v_bfe_u32 v94, v93, 16, 1
	v_or_b32_e32 v95, 0x400000, v93
	v_cmp_u_f32_e32 vcc_lo, v93, v93
	v_add3_u32 v94, v94, v93, 0x7fff
	v_cndmask_b32_e32 v93, v94, v95, vcc_lo
	v_bfe_u32 v94, v89, 16, 1
	v_or_b32_e32 v95, 0x400000, v89
	v_cmp_u_f32_e32 vcc_lo, v89, v89
	v_and_b32_e32 v93, 0xffff0000, v93
	v_add3_u32 v94, v94, v89, 0x7fff
	v_cndmask_b32_e32 v89, v94, v95, vcc_lo
	v_and_b32_e32 v94, 0xffff0000, v90
	v_lshlrev_b32_e32 v90, 16, v90
	v_and_b32_e32 v89, 0xffff0000, v89
	v_mul_f32_e32 v94, v83, v94
	v_mul_f32_e32 v90, v87, v90
	v_add_f32_e32 v89, v89, v93
	v_bfe_u32 v95, v94, 16, 1
	v_or_b32_e32 v96, 0x400000, v94
	v_cmp_u_f32_e32 vcc_lo, v94, v94
	v_add3_u32 v95, v95, v94, 0x7fff
	v_cndmask_b32_e32 v94, v95, v96, vcc_lo
	v_bfe_u32 v95, v90, 16, 1
	v_or_b32_e32 v96, 0x400000, v90
	v_cmp_u_f32_e32 vcc_lo, v90, v90
	v_and_b32_e32 v93, 0xffff0000, v94
	v_add3_u32 v95, v95, v90, 0x7fff
	v_cndmask_b32_e32 v90, v95, v96, vcc_lo
	v_and_b32_e32 v95, 0xffff0000, v91
	v_lshlrev_b32_e32 v91, 16, v91
	v_and_b32_e32 v90, 0xffff0000, v90
	v_mul_f32_e32 v95, v82, v95
	v_mul_f32_e32 v91, v86, v91
	v_add_f32_e32 v90, v90, v93
	v_bfe_u32 v96, v95, 16, 1
	v_or_b32_e32 v97, 0x400000, v95
	v_cmp_u_f32_e32 vcc_lo, v95, v95
	v_add_f32_e32 v89, v90, v89
	v_add3_u32 v96, v96, v95, 0x7fff
	v_cndmask_b32_e32 v95, v96, v97, vcc_lo
	v_bfe_u32 v96, v91, 16, 1
	v_or_b32_e32 v97, 0x400000, v91
	v_cmp_u_f32_e32 vcc_lo, v91, v91
	v_add3_u32 v96, v96, v91, 0x7fff
	v_cndmask_b32_e32 v91, v96, v97, vcc_lo
	v_and_b32_e32 v96, 0xffff0000, v92
	v_lshlrev_b32_e32 v92, 16, v92
	v_and_b32_e32 v90, 0xffff0000, v91
	v_mul_f32_e32 v96, v81, v96
	v_mul_f32_e32 v92, v85, v92
	v_and_b32_e32 v91, 0xffff0000, v95
	v_bfe_u32 v97, v96, 16, 1
	v_or_b32_e32 v98, 0x400000, v96
	v_cmp_u_f32_e32 vcc_lo, v96, v96
	v_add_f32_e32 v90, v90, v91
	v_add3_u32 v97, v97, v96, 0x7fff
	v_add_f32_e32 v89, v90, v89
	v_cndmask_b32_e32 v96, v97, v98, vcc_lo
	v_bfe_u32 v97, v92, 16, 1
	v_or_b32_e32 v98, 0x400000, v92
	v_cmp_u_f32_e32 vcc_lo, v92, v92
	v_and_b32_e32 v91, 0xffff0000, v96
	v_add3_u32 v97, v97, v92, 0x7fff
	v_cndmask_b32_e32 v92, v97, v98, vcc_lo
	v_and_b32_e32 v90, 0xffff0000, v92
	v_add_f32_e32 v90, v90, v91
	v_add_f32_e32 v89, v90, v89
	;; [unrolled: 1-line block ×3, first 2 shown]
	v_and_b32_e32 v89, 0xffff0000, v77
	v_lshlrev_b32_e32 v77, 16, v77
	v_mul_f32_e32 v89, v84, v89
	v_mul_f32_e32 v77, v88, v77
	v_bfe_u32 v90, v89, 16, 1
	v_or_b32_e32 v91, 0x400000, v89
	v_cmp_u_f32_e32 vcc_lo, v89, v89
	v_add3_u32 v90, v90, v89, 0x7fff
	v_cndmask_b32_e32 v89, v90, v91, vcc_lo
	v_bfe_u32 v90, v77, 16, 1
	v_or_b32_e32 v91, 0x400000, v77
	v_cmp_u_f32_e32 vcc_lo, v77, v77
	v_and_b32_e32 v89, 0xffff0000, v89
	v_add3_u32 v90, v90, v77, 0x7fff
	v_cndmask_b32_e32 v77, v90, v91, vcc_lo
	v_and_b32_e32 v90, 0xffff0000, v78
	v_lshlrev_b32_e32 v78, 16, v78
	v_and_b32_e32 v77, 0xffff0000, v77
	v_mul_f32_e32 v90, v83, v90
	v_mul_f32_e32 v78, v87, v78
	v_add_f32_e32 v77, v77, v89
	v_bfe_u32 v91, v90, 16, 1
	v_or_b32_e32 v92, 0x400000, v90
	v_cmp_u_f32_e32 vcc_lo, v90, v90
	v_add3_u32 v91, v91, v90, 0x7fff
	v_cndmask_b32_e32 v90, v91, v92, vcc_lo
	v_bfe_u32 v91, v78, 16, 1
	v_or_b32_e32 v92, 0x400000, v78
	v_cmp_u_f32_e32 vcc_lo, v78, v78
	v_and_b32_e32 v89, 0xffff0000, v90
	v_add3_u32 v91, v91, v78, 0x7fff
	v_cndmask_b32_e32 v78, v91, v92, vcc_lo
	v_and_b32_e32 v91, 0xffff0000, v79
	v_lshlrev_b32_e32 v79, 16, v79
	v_and_b32_e32 v78, 0xffff0000, v78
	v_mul_f32_e32 v91, v82, v91
	v_mul_f32_e32 v79, v86, v79
	v_add_f32_e32 v78, v78, v89
	v_bfe_u32 v92, v91, 16, 1
	v_or_b32_e32 v93, 0x400000, v91
	v_cmp_u_f32_e32 vcc_lo, v91, v91
	v_add_f32_e32 v77, v78, v77
	v_add3_u32 v92, v92, v91, 0x7fff
	v_cndmask_b32_e32 v91, v92, v93, vcc_lo
	v_bfe_u32 v92, v79, 16, 1
	v_or_b32_e32 v93, 0x400000, v79
	v_cmp_u_f32_e32 vcc_lo, v79, v79
	v_add3_u32 v92, v92, v79, 0x7fff
	v_cndmask_b32_e32 v79, v92, v93, vcc_lo
	v_and_b32_e32 v92, 0xffff0000, v80
	v_lshlrev_b32_e32 v80, 16, v80
	v_and_b32_e32 v78, 0xffff0000, v79
	v_mul_f32_e32 v92, v81, v92
	v_mul_f32_e32 v80, v85, v80
	v_and_b32_e32 v79, 0xffff0000, v91
	v_bfe_u32 v93, v92, 16, 1
	v_or_b32_e32 v94, 0x400000, v92
	v_cmp_u_f32_e32 vcc_lo, v92, v92
	v_add_f32_e32 v78, v78, v79
	v_add3_u32 v93, v93, v92, 0x7fff
	v_add_f32_e32 v77, v78, v77
	v_cndmask_b32_e32 v92, v93, v94, vcc_lo
	v_bfe_u32 v93, v80, 16, 1
	v_or_b32_e32 v94, 0x400000, v80
	v_cmp_u_f32_e32 vcc_lo, v80, v80
	v_and_b32_e32 v79, 0xffff0000, v92
	v_add3_u32 v93, v93, v80, 0x7fff
	v_cndmask_b32_e32 v80, v93, v94, vcc_lo
	v_and_b32_e32 v78, 0xffff0000, v80
	v_add_f32_e32 v78, v78, v79
	v_add_f32_e32 v77, v78, v77
	;; [unrolled: 1-line block ×3, first 2 shown]
	v_and_b32_e32 v77, 0xffff0000, v73
	v_lshlrev_b32_e32 v73, 16, v73
	v_mul_f32_e32 v77, v84, v77
	v_mul_f32_e32 v73, v88, v73
	v_bfe_u32 v78, v77, 16, 1
	v_or_b32_e32 v79, 0x400000, v77
	v_cmp_u_f32_e32 vcc_lo, v77, v77
	v_add3_u32 v78, v78, v77, 0x7fff
	v_cndmask_b32_e32 v77, v78, v79, vcc_lo
	v_bfe_u32 v78, v73, 16, 1
	v_or_b32_e32 v79, 0x400000, v73
	v_cmp_u_f32_e32 vcc_lo, v73, v73
	v_and_b32_e32 v77, 0xffff0000, v77
	v_add3_u32 v78, v78, v73, 0x7fff
	v_cndmask_b32_e32 v73, v78, v79, vcc_lo
	v_and_b32_e32 v78, 0xffff0000, v74
	v_lshlrev_b32_e32 v74, 16, v74
	v_and_b32_e32 v73, 0xffff0000, v73
	v_mul_f32_e32 v78, v83, v78
	v_mul_f32_e32 v74, v87, v74
	v_add_f32_e32 v73, v73, v77
	v_bfe_u32 v79, v78, 16, 1
	v_or_b32_e32 v80, 0x400000, v78
	v_cmp_u_f32_e32 vcc_lo, v78, v78
	v_add3_u32 v79, v79, v78, 0x7fff
	v_cndmask_b32_e32 v78, v79, v80, vcc_lo
	v_bfe_u32 v79, v74, 16, 1
	v_or_b32_e32 v80, 0x400000, v74
	v_cmp_u_f32_e32 vcc_lo, v74, v74
	v_and_b32_e32 v77, 0xffff0000, v78
	v_add3_u32 v79, v79, v74, 0x7fff
	v_cndmask_b32_e32 v74, v79, v80, vcc_lo
	v_and_b32_e32 v79, 0xffff0000, v75
	v_lshlrev_b32_e32 v75, 16, v75
	v_and_b32_e32 v74, 0xffff0000, v74
	v_mul_f32_e32 v79, v82, v79
	v_mul_f32_e32 v75, v86, v75
	v_add_f32_e32 v74, v74, v77
	v_bfe_u32 v80, v79, 16, 1
	v_or_b32_e32 v89, 0x400000, v79
	v_cmp_u_f32_e32 vcc_lo, v79, v79
	v_add_f32_e32 v73, v74, v73
	v_add3_u32 v80, v80, v79, 0x7fff
	v_cndmask_b32_e32 v79, v80, v89, vcc_lo
	v_bfe_u32 v80, v75, 16, 1
	v_or_b32_e32 v89, 0x400000, v75
	v_cmp_u_f32_e32 vcc_lo, v75, v75
	v_add3_u32 v80, v80, v75, 0x7fff
	v_cndmask_b32_e32 v75, v80, v89, vcc_lo
	v_and_b32_e32 v80, 0xffff0000, v76
	v_lshlrev_b32_e32 v76, 16, v76
	v_and_b32_e32 v74, 0xffff0000, v75
	v_mul_f32_e32 v80, v81, v80
	v_mul_f32_e32 v76, v85, v76
	v_and_b32_e32 v75, 0xffff0000, v79
	v_bfe_u32 v89, v80, 16, 1
	v_or_b32_e32 v90, 0x400000, v80
	v_cmp_u_f32_e32 vcc_lo, v80, v80
	v_add_f32_e32 v74, v74, v75
	v_add3_u32 v89, v89, v80, 0x7fff
	v_add_f32_e32 v73, v74, v73
	v_cndmask_b32_e32 v80, v89, v90, vcc_lo
	v_bfe_u32 v89, v76, 16, 1
	v_or_b32_e32 v90, 0x400000, v76
	v_cmp_u_f32_e32 vcc_lo, v76, v76
	v_and_b32_e32 v75, 0xffff0000, v80
	v_add3_u32 v89, v89, v76, 0x7fff
	v_cndmask_b32_e32 v76, v89, v90, vcc_lo
	v_and_b32_e32 v74, 0xffff0000, v76
	v_add_f32_e32 v74, v74, v75
	v_add_f32_e32 v73, v74, v73
	;; [unrolled: 1-line block ×3, first 2 shown]
	v_and_b32_e32 v73, 0xffff0000, v69
	v_lshlrev_b32_e32 v69, 16, v69
	v_mul_f32_e32 v73, v84, v73
	v_mul_f32_e32 v69, v88, v69
	v_bfe_u32 v74, v73, 16, 1
	v_or_b32_e32 v75, 0x400000, v73
	v_cmp_u_f32_e32 vcc_lo, v73, v73
	v_add3_u32 v74, v74, v73, 0x7fff
	v_cndmask_b32_e32 v73, v74, v75, vcc_lo
	v_bfe_u32 v74, v69, 16, 1
	v_or_b32_e32 v75, 0x400000, v69
	v_cmp_u_f32_e32 vcc_lo, v69, v69
	v_and_b32_e32 v73, 0xffff0000, v73
	v_add3_u32 v74, v74, v69, 0x7fff
	v_cndmask_b32_e32 v69, v74, v75, vcc_lo
	v_and_b32_e32 v74, 0xffff0000, v70
	v_lshlrev_b32_e32 v70, 16, v70
	v_and_b32_e32 v69, 0xffff0000, v69
	v_mul_f32_e32 v74, v83, v74
	v_mul_f32_e32 v70, v87, v70
	v_add_f32_e32 v69, v69, v73
	v_bfe_u32 v75, v74, 16, 1
	v_or_b32_e32 v76, 0x400000, v74
	v_cmp_u_f32_e32 vcc_lo, v74, v74
	v_add3_u32 v75, v75, v74, 0x7fff
	v_cndmask_b32_e32 v74, v75, v76, vcc_lo
	v_bfe_u32 v75, v70, 16, 1
	v_or_b32_e32 v76, 0x400000, v70
	v_cmp_u_f32_e32 vcc_lo, v70, v70
	v_and_b32_e32 v73, 0xffff0000, v74
	v_add3_u32 v75, v75, v70, 0x7fff
	v_cndmask_b32_e32 v70, v75, v76, vcc_lo
	v_and_b32_e32 v75, 0xffff0000, v71
	v_lshlrev_b32_e32 v71, 16, v71
	v_and_b32_e32 v70, 0xffff0000, v70
	v_mul_f32_e32 v75, v82, v75
	v_mul_f32_e32 v71, v86, v71
	v_add_f32_e32 v70, v70, v73
	v_bfe_u32 v76, v75, 16, 1
	v_or_b32_e32 v77, 0x400000, v75
	v_cmp_u_f32_e32 vcc_lo, v75, v75
	v_add_f32_e32 v69, v70, v69
	v_add3_u32 v76, v76, v75, 0x7fff
	v_cndmask_b32_e32 v75, v76, v77, vcc_lo
	v_bfe_u32 v76, v71, 16, 1
	v_or_b32_e32 v77, 0x400000, v71
	v_cmp_u_f32_e32 vcc_lo, v71, v71
	v_add3_u32 v76, v76, v71, 0x7fff
	v_cndmask_b32_e32 v71, v76, v77, vcc_lo
	v_and_b32_e32 v76, 0xffff0000, v72
	v_lshlrev_b32_e32 v72, 16, v72
	v_and_b32_e32 v70, 0xffff0000, v71
	v_and_b32_e32 v71, 0xffff0000, v75
	buffer_load_dword v75, off, s[40:43], 0 offset:4 ; 4-byte Folded Reload
	v_mul_f32_e32 v76, v81, v76
	v_mul_f32_e32 v72, v85, v72
	v_add_f32_e32 v70, v70, v71
	v_bfe_u32 v77, v76, 16, 1
	v_or_b32_e32 v78, 0x400000, v76
	v_cmp_u_f32_e32 vcc_lo, v76, v76
	v_add_f32_e32 v69, v70, v69
	v_add3_u32 v77, v77, v76, 0x7fff
	v_cndmask_b32_e32 v76, v77, v78, vcc_lo
	v_bfe_u32 v77, v72, 16, 1
	v_or_b32_e32 v78, 0x400000, v72
	v_cmp_u_f32_e32 vcc_lo, v72, v72
	v_and_b32_e32 v71, 0xffff0000, v76
	v_add3_u32 v77, v77, v72, 0x7fff
	v_cndmask_b32_e32 v72, v77, v78, vcc_lo
	v_and_b32_e32 v70, 0xffff0000, v72
	v_add_f32_e32 v70, v70, v71
	v_add_f32_e32 v69, v70, v69
	s_waitcnt vmcnt(0)
	v_add_f32_e32 v75, v75, v69
	v_and_b32_e32 v69, 0xffff0000, v65
	v_lshlrev_b32_e32 v65, 16, v65
	v_mul_f32_e32 v69, v84, v69
	v_mul_f32_e32 v65, v88, v65
	v_bfe_u32 v70, v69, 16, 1
	v_or_b32_e32 v71, 0x400000, v69
	v_cmp_u_f32_e32 vcc_lo, v69, v69
	v_add3_u32 v70, v70, v69, 0x7fff
	v_cndmask_b32_e32 v69, v70, v71, vcc_lo
	v_bfe_u32 v70, v65, 16, 1
	v_or_b32_e32 v71, 0x400000, v65
	v_cmp_u_f32_e32 vcc_lo, v65, v65
	v_and_b32_e32 v69, 0xffff0000, v69
	v_add3_u32 v70, v70, v65, 0x7fff
	v_cndmask_b32_e32 v65, v70, v71, vcc_lo
	v_and_b32_e32 v70, 0xffff0000, v66
	v_lshlrev_b32_e32 v66, 16, v66
	v_and_b32_e32 v65, 0xffff0000, v65
	v_mul_f32_e32 v70, v83, v70
	v_mul_f32_e32 v66, v87, v66
	v_add_f32_e32 v65, v65, v69
	v_bfe_u32 v71, v70, 16, 1
	v_or_b32_e32 v72, 0x400000, v70
	v_cmp_u_f32_e32 vcc_lo, v70, v70
	v_add3_u32 v71, v71, v70, 0x7fff
	v_cndmask_b32_e32 v70, v71, v72, vcc_lo
	v_bfe_u32 v71, v66, 16, 1
	v_or_b32_e32 v72, 0x400000, v66
	v_cmp_u_f32_e32 vcc_lo, v66, v66
	v_and_b32_e32 v69, 0xffff0000, v70
	v_add3_u32 v71, v71, v66, 0x7fff
	v_cndmask_b32_e32 v66, v71, v72, vcc_lo
	v_and_b32_e32 v71, 0xffff0000, v67
	v_lshlrev_b32_e32 v67, 16, v67
	v_and_b32_e32 v66, 0xffff0000, v66
	v_mul_f32_e32 v71, v82, v71
	v_mul_f32_e32 v67, v86, v67
	v_add_f32_e32 v66, v66, v69
	v_bfe_u32 v72, v71, 16, 1
	v_or_b32_e32 v73, 0x400000, v71
	v_cmp_u_f32_e32 vcc_lo, v71, v71
	v_add_f32_e32 v65, v66, v65
	v_add3_u32 v72, v72, v71, 0x7fff
	v_cndmask_b32_e32 v71, v72, v73, vcc_lo
	v_bfe_u32 v72, v67, 16, 1
	v_or_b32_e32 v73, 0x400000, v67
	v_cmp_u_f32_e32 vcc_lo, v67, v67
	v_add3_u32 v72, v72, v67, 0x7fff
	v_cndmask_b32_e32 v67, v72, v73, vcc_lo
	v_and_b32_e32 v72, 0xffff0000, v68
	v_lshlrev_b32_e32 v68, 16, v68
	v_and_b32_e32 v66, 0xffff0000, v67
	v_and_b32_e32 v67, 0xffff0000, v71
	buffer_load_dword v71, off, s[40:43], 0 offset:8 ; 4-byte Folded Reload
	v_mul_f32_e32 v72, v81, v72
	v_mul_f32_e32 v68, v85, v68
	v_add_f32_e32 v66, v66, v67
	v_bfe_u32 v73, v72, 16, 1
	v_or_b32_e32 v74, 0x400000, v72
	v_cmp_u_f32_e32 vcc_lo, v72, v72
	v_add_f32_e32 v65, v66, v65
	v_add3_u32 v73, v73, v72, 0x7fff
	v_cndmask_b32_e32 v72, v73, v74, vcc_lo
	v_bfe_u32 v73, v68, 16, 1
	v_or_b32_e32 v74, 0x400000, v68
	v_cmp_u_f32_e32 vcc_lo, v68, v68
	v_and_b32_e32 v67, 0xffff0000, v72
	v_add3_u32 v73, v73, v68, 0x7fff
	v_cndmask_b32_e32 v68, v73, v74, vcc_lo
	v_and_b32_e32 v66, 0xffff0000, v68
	v_add_f32_e32 v66, v66, v67
	v_add_f32_e32 v65, v66, v65
	s_waitcnt vmcnt(0)
	v_add_f32_e32 v71, v71, v65
	v_and_b32_e32 v65, 0xffff0000, v61
	v_lshlrev_b32_e32 v61, 16, v61
	v_mul_f32_e32 v65, v84, v65
	v_mul_f32_e32 v61, v88, v61
	v_bfe_u32 v66, v65, 16, 1
	v_or_b32_e32 v67, 0x400000, v65
	v_cmp_u_f32_e32 vcc_lo, v65, v65
	v_add3_u32 v66, v66, v65, 0x7fff
	v_cndmask_b32_e32 v65, v66, v67, vcc_lo
	v_bfe_u32 v66, v61, 16, 1
	v_or_b32_e32 v67, 0x400000, v61
	v_cmp_u_f32_e32 vcc_lo, v61, v61
	v_and_b32_e32 v65, 0xffff0000, v65
	v_add3_u32 v66, v66, v61, 0x7fff
	v_cndmask_b32_e32 v61, v66, v67, vcc_lo
	v_and_b32_e32 v66, 0xffff0000, v62
	v_lshlrev_b32_e32 v62, 16, v62
	v_and_b32_e32 v61, 0xffff0000, v61
	v_mul_f32_e32 v66, v83, v66
	v_mul_f32_e32 v62, v87, v62
	v_add_f32_e32 v61, v61, v65
	v_bfe_u32 v67, v66, 16, 1
	v_or_b32_e32 v68, 0x400000, v66
	v_cmp_u_f32_e32 vcc_lo, v66, v66
	v_add3_u32 v67, v67, v66, 0x7fff
	v_cndmask_b32_e32 v66, v67, v68, vcc_lo
	v_bfe_u32 v67, v62, 16, 1
	v_or_b32_e32 v68, 0x400000, v62
	v_cmp_u_f32_e32 vcc_lo, v62, v62
	v_and_b32_e32 v65, 0xffff0000, v66
	v_add3_u32 v67, v67, v62, 0x7fff
	v_cndmask_b32_e32 v62, v67, v68, vcc_lo
	v_and_b32_e32 v67, 0xffff0000, v63
	v_lshlrev_b32_e32 v63, 16, v63
	v_and_b32_e32 v62, 0xffff0000, v62
	v_mul_f32_e32 v67, v82, v67
	v_mul_f32_e32 v63, v86, v63
	v_add_f32_e32 v62, v62, v65
	v_bfe_u32 v68, v67, 16, 1
	v_or_b32_e32 v69, 0x400000, v67
	v_cmp_u_f32_e32 vcc_lo, v67, v67
	v_add_f32_e32 v61, v62, v61
	v_add3_u32 v68, v68, v67, 0x7fff
	v_cndmask_b32_e32 v67, v68, v69, vcc_lo
	v_bfe_u32 v68, v63, 16, 1
	v_or_b32_e32 v69, 0x400000, v63
	v_cmp_u_f32_e32 vcc_lo, v63, v63
	v_add3_u32 v68, v68, v63, 0x7fff
	v_cndmask_b32_e32 v63, v68, v69, vcc_lo
	v_and_b32_e32 v68, 0xffff0000, v64
	v_lshlrev_b32_e32 v64, 16, v64
	v_and_b32_e32 v62, 0xffff0000, v63
	v_and_b32_e32 v63, 0xffff0000, v67
	buffer_load_dword v67, off, s[40:43], 0 offset:12 ; 4-byte Folded Reload
	v_mul_f32_e32 v68, v81, v68
	v_mul_f32_e32 v64, v85, v64
	v_add_f32_e32 v62, v62, v63
	v_bfe_u32 v69, v68, 16, 1
	v_or_b32_e32 v70, 0x400000, v68
	v_cmp_u_f32_e32 vcc_lo, v68, v68
	v_add_f32_e32 v61, v62, v61
	v_add3_u32 v69, v69, v68, 0x7fff
	v_cndmask_b32_e32 v68, v69, v70, vcc_lo
	v_bfe_u32 v69, v64, 16, 1
	v_or_b32_e32 v70, 0x400000, v64
	v_cmp_u_f32_e32 vcc_lo, v64, v64
	v_and_b32_e32 v63, 0xffff0000, v68
	v_add3_u32 v69, v69, v64, 0x7fff
	v_cndmask_b32_e32 v64, v69, v70, vcc_lo
	v_and_b32_e32 v62, 0xffff0000, v64
	v_add_f32_e32 v62, v62, v63
	v_add_f32_e32 v61, v62, v61
	s_waitcnt vmcnt(0)
	v_add_f32_e32 v67, v67, v61
	v_and_b32_e32 v61, 0xffff0000, v57
	v_lshlrev_b32_e32 v57, 16, v57
	v_mul_f32_e32 v61, v84, v61
	v_mul_f32_e32 v57, v88, v57
	v_bfe_u32 v62, v61, 16, 1
	v_or_b32_e32 v63, 0x400000, v61
	v_cmp_u_f32_e32 vcc_lo, v61, v61
	v_add3_u32 v62, v62, v61, 0x7fff
	v_cndmask_b32_e32 v61, v62, v63, vcc_lo
	v_bfe_u32 v62, v57, 16, 1
	v_or_b32_e32 v63, 0x400000, v57
	v_cmp_u_f32_e32 vcc_lo, v57, v57
	v_and_b32_e32 v61, 0xffff0000, v61
	v_add3_u32 v62, v62, v57, 0x7fff
	v_cndmask_b32_e32 v57, v62, v63, vcc_lo
	v_and_b32_e32 v62, 0xffff0000, v58
	v_lshlrev_b32_e32 v58, 16, v58
	v_and_b32_e32 v57, 0xffff0000, v57
	v_mul_f32_e32 v62, v83, v62
	v_mul_f32_e32 v58, v87, v58
	v_add_f32_e32 v57, v57, v61
	v_bfe_u32 v63, v62, 16, 1
	v_or_b32_e32 v64, 0x400000, v62
	v_cmp_u_f32_e32 vcc_lo, v62, v62
	v_add3_u32 v63, v63, v62, 0x7fff
	v_cndmask_b32_e32 v62, v63, v64, vcc_lo
	v_bfe_u32 v63, v58, 16, 1
	v_or_b32_e32 v64, 0x400000, v58
	v_cmp_u_f32_e32 vcc_lo, v58, v58
	v_and_b32_e32 v61, 0xffff0000, v62
	v_add3_u32 v63, v63, v58, 0x7fff
	v_cndmask_b32_e32 v58, v63, v64, vcc_lo
	v_and_b32_e32 v63, 0xffff0000, v59
	v_lshlrev_b32_e32 v59, 16, v59
	v_and_b32_e32 v58, 0xffff0000, v58
	v_mul_f32_e32 v63, v82, v63
	v_mul_f32_e32 v59, v86, v59
	v_add_f32_e32 v58, v58, v61
	v_bfe_u32 v64, v63, 16, 1
	v_or_b32_e32 v65, 0x400000, v63
	v_cmp_u_f32_e32 vcc_lo, v63, v63
	v_add_f32_e32 v57, v58, v57
	v_add3_u32 v64, v64, v63, 0x7fff
	v_cndmask_b32_e32 v63, v64, v65, vcc_lo
	v_bfe_u32 v64, v59, 16, 1
	v_or_b32_e32 v65, 0x400000, v59
	v_cmp_u_f32_e32 vcc_lo, v59, v59
	v_add3_u32 v64, v64, v59, 0x7fff
	v_cndmask_b32_e32 v59, v64, v65, vcc_lo
	v_and_b32_e32 v64, 0xffff0000, v60
	v_lshlrev_b32_e32 v60, 16, v60
	v_and_b32_e32 v58, 0xffff0000, v59
	v_and_b32_e32 v59, 0xffff0000, v63
	buffer_load_dword v63, off, s[40:43], 0 offset:16 ; 4-byte Folded Reload
	v_mul_f32_e32 v64, v81, v64
	v_mul_f32_e32 v60, v85, v60
	v_add_f32_e32 v58, v58, v59
	v_bfe_u32 v65, v64, 16, 1
	v_or_b32_e32 v66, 0x400000, v64
	v_cmp_u_f32_e32 vcc_lo, v64, v64
	v_add_f32_e32 v57, v58, v57
	v_add3_u32 v65, v65, v64, 0x7fff
	v_cndmask_b32_e32 v64, v65, v66, vcc_lo
	v_bfe_u32 v65, v60, 16, 1
	v_or_b32_e32 v66, 0x400000, v60
	v_cmp_u_f32_e32 vcc_lo, v60, v60
	v_and_b32_e32 v59, 0xffff0000, v64
	v_add3_u32 v65, v65, v60, 0x7fff
	v_cndmask_b32_e32 v60, v65, v66, vcc_lo
	v_and_b32_e32 v58, 0xffff0000, v60
	v_add_f32_e32 v58, v58, v59
	v_add_f32_e32 v57, v58, v57
	s_waitcnt vmcnt(0)
	v_add_f32_e32 v63, v63, v57
	v_and_b32_e32 v57, 0xffff0000, v53
	v_lshlrev_b32_e32 v53, 16, v53
	v_mul_f32_e32 v57, v84, v57
	v_mul_f32_e32 v53, v88, v53
	v_bfe_u32 v58, v57, 16, 1
	v_or_b32_e32 v59, 0x400000, v57
	v_cmp_u_f32_e32 vcc_lo, v57, v57
	v_add3_u32 v58, v58, v57, 0x7fff
	v_cndmask_b32_e32 v57, v58, v59, vcc_lo
	v_bfe_u32 v58, v53, 16, 1
	v_or_b32_e32 v59, 0x400000, v53
	v_cmp_u_f32_e32 vcc_lo, v53, v53
	v_and_b32_e32 v57, 0xffff0000, v57
	v_add3_u32 v58, v58, v53, 0x7fff
	v_cndmask_b32_e32 v53, v58, v59, vcc_lo
	v_and_b32_e32 v58, 0xffff0000, v54
	v_lshlrev_b32_e32 v54, 16, v54
	v_and_b32_e32 v53, 0xffff0000, v53
	v_mul_f32_e32 v58, v83, v58
	v_mul_f32_e32 v54, v87, v54
	v_add_f32_e32 v53, v53, v57
	v_bfe_u32 v59, v58, 16, 1
	v_or_b32_e32 v60, 0x400000, v58
	v_cmp_u_f32_e32 vcc_lo, v58, v58
	v_add3_u32 v59, v59, v58, 0x7fff
	v_cndmask_b32_e32 v58, v59, v60, vcc_lo
	v_bfe_u32 v59, v54, 16, 1
	v_or_b32_e32 v60, 0x400000, v54
	v_cmp_u_f32_e32 vcc_lo, v54, v54
	v_and_b32_e32 v57, 0xffff0000, v58
	v_add3_u32 v59, v59, v54, 0x7fff
	v_cndmask_b32_e32 v54, v59, v60, vcc_lo
	v_and_b32_e32 v59, 0xffff0000, v55
	v_lshlrev_b32_e32 v55, 16, v55
	v_and_b32_e32 v54, 0xffff0000, v54
	v_mul_f32_e32 v59, v82, v59
	v_mul_f32_e32 v55, v86, v55
	v_add_f32_e32 v54, v54, v57
	v_bfe_u32 v60, v59, 16, 1
	v_or_b32_e32 v61, 0x400000, v59
	v_cmp_u_f32_e32 vcc_lo, v59, v59
	v_add_f32_e32 v53, v54, v53
	v_add3_u32 v60, v60, v59, 0x7fff
	v_cndmask_b32_e32 v59, v60, v61, vcc_lo
	v_bfe_u32 v60, v55, 16, 1
	v_or_b32_e32 v61, 0x400000, v55
	v_cmp_u_f32_e32 vcc_lo, v55, v55
	v_add3_u32 v60, v60, v55, 0x7fff
	v_cndmask_b32_e32 v55, v60, v61, vcc_lo
	v_and_b32_e32 v60, 0xffff0000, v56
	v_lshlrev_b32_e32 v56, 16, v56
	v_and_b32_e32 v54, 0xffff0000, v55
	v_and_b32_e32 v55, 0xffff0000, v59
	buffer_load_dword v59, off, s[40:43], 0 offset:20 ; 4-byte Folded Reload
	v_mul_f32_e32 v60, v81, v60
	v_mul_f32_e32 v56, v85, v56
	v_add_f32_e32 v54, v54, v55
	v_bfe_u32 v61, v60, 16, 1
	v_or_b32_e32 v62, 0x400000, v60
	v_cmp_u_f32_e32 vcc_lo, v60, v60
	v_add_f32_e32 v53, v54, v53
	v_add3_u32 v61, v61, v60, 0x7fff
	v_cndmask_b32_e32 v60, v61, v62, vcc_lo
	v_bfe_u32 v61, v56, 16, 1
	v_or_b32_e32 v62, 0x400000, v56
	v_cmp_u_f32_e32 vcc_lo, v56, v56
	v_and_b32_e32 v55, 0xffff0000, v60
	v_add3_u32 v61, v61, v56, 0x7fff
	v_cndmask_b32_e32 v56, v61, v62, vcc_lo
	v_and_b32_e32 v54, 0xffff0000, v56
	v_add_f32_e32 v54, v54, v55
	v_add_f32_e32 v53, v54, v53
	s_waitcnt vmcnt(0)
	v_add_f32_e32 v59, v59, v53
	v_and_b32_e32 v53, 0xffff0000, v49
	v_lshlrev_b32_e32 v49, 16, v49
	v_mul_f32_e32 v53, v84, v53
	v_mul_f32_e32 v49, v88, v49
	v_bfe_u32 v54, v53, 16, 1
	v_or_b32_e32 v55, 0x400000, v53
	v_cmp_u_f32_e32 vcc_lo, v53, v53
	v_add3_u32 v54, v54, v53, 0x7fff
	v_cndmask_b32_e32 v53, v54, v55, vcc_lo
	v_bfe_u32 v54, v49, 16, 1
	v_or_b32_e32 v55, 0x400000, v49
	v_cmp_u_f32_e32 vcc_lo, v49, v49
	v_and_b32_e32 v53, 0xffff0000, v53
	v_add3_u32 v54, v54, v49, 0x7fff
	v_cndmask_b32_e32 v49, v54, v55, vcc_lo
	v_and_b32_e32 v54, 0xffff0000, v50
	v_lshlrev_b32_e32 v50, 16, v50
	v_and_b32_e32 v49, 0xffff0000, v49
	v_mul_f32_e32 v54, v83, v54
	v_mul_f32_e32 v50, v87, v50
	v_add_f32_e32 v49, v49, v53
	v_bfe_u32 v55, v54, 16, 1
	v_or_b32_e32 v56, 0x400000, v54
	v_cmp_u_f32_e32 vcc_lo, v54, v54
	v_add3_u32 v55, v55, v54, 0x7fff
	v_cndmask_b32_e32 v54, v55, v56, vcc_lo
	v_bfe_u32 v55, v50, 16, 1
	v_or_b32_e32 v56, 0x400000, v50
	v_cmp_u_f32_e32 vcc_lo, v50, v50
	v_and_b32_e32 v53, 0xffff0000, v54
	v_add3_u32 v55, v55, v50, 0x7fff
	v_cndmask_b32_e32 v50, v55, v56, vcc_lo
	v_and_b32_e32 v55, 0xffff0000, v51
	v_lshlrev_b32_e32 v51, 16, v51
	v_and_b32_e32 v50, 0xffff0000, v50
	v_mul_f32_e32 v55, v82, v55
	v_mul_f32_e32 v51, v86, v51
	v_add_f32_e32 v50, v50, v53
	v_bfe_u32 v56, v55, 16, 1
	v_or_b32_e32 v57, 0x400000, v55
	v_cmp_u_f32_e32 vcc_lo, v55, v55
	v_add_f32_e32 v49, v50, v49
	v_add3_u32 v56, v56, v55, 0x7fff
	v_cndmask_b32_e32 v55, v56, v57, vcc_lo
	v_bfe_u32 v56, v51, 16, 1
	v_or_b32_e32 v57, 0x400000, v51
	v_cmp_u_f32_e32 vcc_lo, v51, v51
	v_add3_u32 v56, v56, v51, 0x7fff
	v_cndmask_b32_e32 v51, v56, v57, vcc_lo
	v_and_b32_e32 v56, 0xffff0000, v52
	v_lshlrev_b32_e32 v52, 16, v52
	v_and_b32_e32 v50, 0xffff0000, v51
	v_and_b32_e32 v51, 0xffff0000, v55
	buffer_load_dword v55, off, s[40:43], 0 offset:24 ; 4-byte Folded Reload
	v_mul_f32_e32 v56, v81, v56
	v_mul_f32_e32 v52, v85, v52
	v_add_f32_e32 v50, v50, v51
	v_bfe_u32 v57, v56, 16, 1
	v_or_b32_e32 v58, 0x400000, v56
	v_cmp_u_f32_e32 vcc_lo, v56, v56
	v_add_f32_e32 v49, v50, v49
	v_add3_u32 v57, v57, v56, 0x7fff
	v_cndmask_b32_e32 v56, v57, v58, vcc_lo
	v_bfe_u32 v57, v52, 16, 1
	v_or_b32_e32 v58, 0x400000, v52
	v_cmp_u_f32_e32 vcc_lo, v52, v52
	v_and_b32_e32 v51, 0xffff0000, v56
	v_add3_u32 v57, v57, v52, 0x7fff
	v_cndmask_b32_e32 v52, v57, v58, vcc_lo
	v_and_b32_e32 v50, 0xffff0000, v52
	v_add_f32_e32 v50, v50, v51
	v_add_f32_e32 v49, v50, v49
	s_waitcnt vmcnt(0)
	v_add_f32_e32 v55, v55, v49
	v_and_b32_e32 v49, 0xffff0000, v45
	v_lshlrev_b32_e32 v45, 16, v45
	v_mul_f32_e32 v49, v84, v49
	v_mul_f32_e32 v45, v88, v45
	v_bfe_u32 v50, v49, 16, 1
	v_or_b32_e32 v51, 0x400000, v49
	v_cmp_u_f32_e32 vcc_lo, v49, v49
	v_add3_u32 v50, v50, v49, 0x7fff
	v_cndmask_b32_e32 v49, v50, v51, vcc_lo
	v_bfe_u32 v50, v45, 16, 1
	v_or_b32_e32 v51, 0x400000, v45
	v_cmp_u_f32_e32 vcc_lo, v45, v45
	v_and_b32_e32 v49, 0xffff0000, v49
	v_add3_u32 v50, v50, v45, 0x7fff
	v_cndmask_b32_e32 v45, v50, v51, vcc_lo
	v_and_b32_e32 v50, 0xffff0000, v46
	v_lshlrev_b32_e32 v46, 16, v46
	v_and_b32_e32 v45, 0xffff0000, v45
	v_mul_f32_e32 v50, v83, v50
	v_mul_f32_e32 v46, v87, v46
	v_add_f32_e32 v45, v45, v49
	v_bfe_u32 v51, v50, 16, 1
	v_or_b32_e32 v52, 0x400000, v50
	v_cmp_u_f32_e32 vcc_lo, v50, v50
	v_add3_u32 v51, v51, v50, 0x7fff
	v_cndmask_b32_e32 v50, v51, v52, vcc_lo
	v_bfe_u32 v51, v46, 16, 1
	v_or_b32_e32 v52, 0x400000, v46
	v_cmp_u_f32_e32 vcc_lo, v46, v46
	v_and_b32_e32 v49, 0xffff0000, v50
	v_add3_u32 v51, v51, v46, 0x7fff
	v_cndmask_b32_e32 v46, v51, v52, vcc_lo
	v_and_b32_e32 v51, 0xffff0000, v47
	v_lshlrev_b32_e32 v47, 16, v47
	v_and_b32_e32 v46, 0xffff0000, v46
	v_mul_f32_e32 v51, v82, v51
	v_mul_f32_e32 v47, v86, v47
	v_add_f32_e32 v46, v46, v49
	v_bfe_u32 v52, v51, 16, 1
	v_or_b32_e32 v53, 0x400000, v51
	v_cmp_u_f32_e32 vcc_lo, v51, v51
	v_add_f32_e32 v45, v46, v45
	v_add3_u32 v52, v52, v51, 0x7fff
	v_cndmask_b32_e32 v51, v52, v53, vcc_lo
	v_bfe_u32 v52, v47, 16, 1
	v_or_b32_e32 v53, 0x400000, v47
	v_cmp_u_f32_e32 vcc_lo, v47, v47
	v_add3_u32 v52, v52, v47, 0x7fff
	v_cndmask_b32_e32 v47, v52, v53, vcc_lo
	v_and_b32_e32 v52, 0xffff0000, v48
	v_lshlrev_b32_e32 v48, 16, v48
	v_and_b32_e32 v46, 0xffff0000, v47
	v_mul_f32_e32 v52, v81, v52
	v_mul_f32_e32 v48, v85, v48
	v_and_b32_e32 v47, 0xffff0000, v51
	v_bfe_u32 v53, v52, 16, 1
	v_or_b32_e32 v54, 0x400000, v52
	v_cmp_u_f32_e32 vcc_lo, v52, v52
	v_add_f32_e32 v46, v46, v47
	v_add3_u32 v53, v53, v52, 0x7fff
	v_add_f32_e32 v45, v46, v45
	v_cndmask_b32_e32 v52, v53, v54, vcc_lo
	v_bfe_u32 v53, v48, 16, 1
	v_or_b32_e32 v54, 0x400000, v48
	v_cmp_u_f32_e32 vcc_lo, v48, v48
	v_and_b32_e32 v47, 0xffff0000, v52
	v_add3_u32 v53, v53, v48, 0x7fff
	v_cndmask_b32_e32 v48, v53, v54, vcc_lo
	buffer_load_dword v54, off, s[40:43], 0 offset:28 ; 4-byte Folded Reload
	v_and_b32_e32 v46, 0xffff0000, v48
	v_add_f32_e32 v46, v46, v47
	v_add_f32_e32 v45, v46, v45
	s_waitcnt vmcnt(0)
	v_add_f32_e32 v54, v54, v45
	v_and_b32_e32 v45, 0xffff0000, v41
	v_lshlrev_b32_e32 v41, 16, v41
	v_mul_f32_e32 v45, v84, v45
	v_mul_f32_e32 v41, v88, v41
	v_bfe_u32 v46, v45, 16, 1
	v_or_b32_e32 v47, 0x400000, v45
	v_cmp_u_f32_e32 vcc_lo, v45, v45
	v_add3_u32 v46, v46, v45, 0x7fff
	v_cndmask_b32_e32 v45, v46, v47, vcc_lo
	v_bfe_u32 v46, v41, 16, 1
	v_or_b32_e32 v47, 0x400000, v41
	v_cmp_u_f32_e32 vcc_lo, v41, v41
	v_and_b32_e32 v45, 0xffff0000, v45
	v_add3_u32 v46, v46, v41, 0x7fff
	v_cndmask_b32_e32 v41, v46, v47, vcc_lo
	v_and_b32_e32 v46, 0xffff0000, v42
	v_lshlrev_b32_e32 v42, 16, v42
	v_and_b32_e32 v41, 0xffff0000, v41
	v_mul_f32_e32 v46, v83, v46
	v_mul_f32_e32 v42, v87, v42
	v_add_f32_e32 v41, v41, v45
	v_bfe_u32 v47, v46, 16, 1
	v_or_b32_e32 v48, 0x400000, v46
	v_cmp_u_f32_e32 vcc_lo, v46, v46
	v_add3_u32 v47, v47, v46, 0x7fff
	v_cndmask_b32_e32 v46, v47, v48, vcc_lo
	v_bfe_u32 v47, v42, 16, 1
	v_or_b32_e32 v48, 0x400000, v42
	v_cmp_u_f32_e32 vcc_lo, v42, v42
	v_and_b32_e32 v45, 0xffff0000, v46
	v_add3_u32 v47, v47, v42, 0x7fff
	v_cndmask_b32_e32 v42, v47, v48, vcc_lo
	v_and_b32_e32 v47, 0xffff0000, v43
	v_lshlrev_b32_e32 v43, 16, v43
	v_and_b32_e32 v42, 0xffff0000, v42
	v_mul_f32_e32 v47, v82, v47
	v_mul_f32_e32 v43, v86, v43
	v_add_f32_e32 v42, v42, v45
	v_bfe_u32 v48, v47, 16, 1
	v_or_b32_e32 v49, 0x400000, v47
	v_cmp_u_f32_e32 vcc_lo, v47, v47
	v_add_f32_e32 v41, v42, v41
	v_add3_u32 v48, v48, v47, 0x7fff
	v_cndmask_b32_e32 v47, v48, v49, vcc_lo
	v_bfe_u32 v48, v43, 16, 1
	v_or_b32_e32 v49, 0x400000, v43
	v_cmp_u_f32_e32 vcc_lo, v43, v43
	v_add3_u32 v48, v48, v43, 0x7fff
	v_cndmask_b32_e32 v43, v48, v49, vcc_lo
	v_and_b32_e32 v48, 0xffff0000, v44
	v_lshlrev_b32_e32 v44, 16, v44
	v_and_b32_e32 v42, 0xffff0000, v43
	v_and_b32_e32 v43, 0xffff0000, v47
	buffer_load_dword v47, off, s[40:43], 0 offset:32 ; 4-byte Folded Reload
	v_mul_f32_e32 v48, v81, v48
	v_mul_f32_e32 v44, v85, v44
	v_add_f32_e32 v42, v42, v43
	v_bfe_u32 v49, v48, 16, 1
	v_or_b32_e32 v50, 0x400000, v48
	v_cmp_u_f32_e32 vcc_lo, v48, v48
	v_add_f32_e32 v41, v42, v41
	v_add3_u32 v49, v49, v48, 0x7fff
	v_cndmask_b32_e32 v48, v49, v50, vcc_lo
	v_bfe_u32 v49, v44, 16, 1
	v_or_b32_e32 v50, 0x400000, v44
	v_cmp_u_f32_e32 vcc_lo, v44, v44
	v_and_b32_e32 v43, 0xffff0000, v48
	v_add3_u32 v49, v49, v44, 0x7fff
	buffer_load_dword v48, off, s[40:43], 0 ; 4-byte Folded Reload
	v_cndmask_b32_e32 v44, v49, v50, vcc_lo
	v_and_b32_e32 v42, 0xffff0000, v44
	v_add_f32_e32 v42, v42, v43
	v_add_f32_e32 v41, v42, v41
	s_waitcnt vmcnt(1)
	v_add_f32_e32 v47, v47, v41
	v_and_b32_e32 v41, 0xffff0000, v37
	v_lshlrev_b32_e32 v37, 16, v37
	v_mul_f32_e32 v41, v84, v41
	v_mul_f32_e32 v37, v88, v37
	v_bfe_u32 v42, v41, 16, 1
	v_or_b32_e32 v43, 0x400000, v41
	v_cmp_u_f32_e32 vcc_lo, v41, v41
	v_add3_u32 v42, v42, v41, 0x7fff
	v_cndmask_b32_e32 v41, v42, v43, vcc_lo
	v_bfe_u32 v42, v37, 16, 1
	v_or_b32_e32 v43, 0x400000, v37
	v_cmp_u_f32_e32 vcc_lo, v37, v37
	v_and_b32_e32 v41, 0xffff0000, v41
	v_add3_u32 v42, v42, v37, 0x7fff
	v_cndmask_b32_e32 v37, v42, v43, vcc_lo
	v_and_b32_e32 v42, 0xffff0000, v38
	v_lshlrev_b32_e32 v38, 16, v38
	v_and_b32_e32 v37, 0xffff0000, v37
	v_mul_f32_e32 v42, v83, v42
	v_mul_f32_e32 v38, v87, v38
	v_add_f32_e32 v37, v37, v41
	v_bfe_u32 v43, v42, 16, 1
	v_or_b32_e32 v44, 0x400000, v42
	v_cmp_u_f32_e32 vcc_lo, v42, v42
	v_add3_u32 v43, v43, v42, 0x7fff
	v_cndmask_b32_e32 v42, v43, v44, vcc_lo
	v_bfe_u32 v43, v38, 16, 1
	v_or_b32_e32 v44, 0x400000, v38
	v_cmp_u_f32_e32 vcc_lo, v38, v38
	v_and_b32_e32 v41, 0xffff0000, v42
	v_add3_u32 v43, v43, v38, 0x7fff
	v_cndmask_b32_e32 v38, v43, v44, vcc_lo
	v_and_b32_e32 v43, 0xffff0000, v39
	v_lshlrev_b32_e32 v39, 16, v39
	v_and_b32_e32 v38, 0xffff0000, v38
	v_mul_f32_e32 v43, v82, v43
	v_mul_f32_e32 v39, v86, v39
	v_add_f32_e32 v38, v38, v41
	v_bfe_u32 v44, v43, 16, 1
	v_or_b32_e32 v45, 0x400000, v43
	v_cmp_u_f32_e32 vcc_lo, v43, v43
	v_add_f32_e32 v37, v38, v37
	v_add3_u32 v44, v44, v43, 0x7fff
	v_cndmask_b32_e32 v43, v44, v45, vcc_lo
	v_bfe_u32 v44, v39, 16, 1
	v_or_b32_e32 v45, 0x400000, v39
	v_cmp_u_f32_e32 vcc_lo, v39, v39
	v_add3_u32 v44, v44, v39, 0x7fff
	v_cndmask_b32_e32 v39, v44, v45, vcc_lo
	v_and_b32_e32 v44, 0xffff0000, v40
	v_lshlrev_b32_e32 v40, 16, v40
	v_and_b32_e32 v38, 0xffff0000, v39
	v_and_b32_e32 v39, 0xffff0000, v43
	buffer_load_dword v43, off, s[40:43], 0 offset:36 ; 4-byte Folded Reload
	v_mul_f32_e32 v44, v81, v44
	v_mul_f32_e32 v40, v85, v40
	v_add_f32_e32 v38, v38, v39
	v_bfe_u32 v45, v44, 16, 1
	v_or_b32_e32 v46, 0x400000, v44
	v_cmp_u_f32_e32 vcc_lo, v44, v44
	v_add_f32_e32 v37, v38, v37
	v_add3_u32 v45, v45, v44, 0x7fff
	v_cndmask_b32_e32 v44, v45, v46, vcc_lo
	v_bfe_u32 v45, v40, 16, 1
	v_or_b32_e32 v46, 0x400000, v40
	v_cmp_u_f32_e32 vcc_lo, v40, v40
	v_and_b32_e32 v39, 0xffff0000, v44
	v_add3_u32 v45, v45, v40, 0x7fff
	v_cndmask_b32_e32 v40, v45, v46, vcc_lo
	v_and_b32_e32 v38, 0xffff0000, v40
	v_add_f32_e32 v38, v38, v39
	v_add_f32_e32 v37, v38, v37
	s_waitcnt vmcnt(0)
	v_add_f32_e32 v43, v43, v37
	v_and_b32_e32 v37, 0xffff0000, v33
	v_lshlrev_b32_e32 v33, 16, v33
	v_mul_f32_e32 v37, v84, v37
	v_mul_f32_e32 v33, v88, v33
	v_bfe_u32 v38, v37, 16, 1
	v_or_b32_e32 v39, 0x400000, v37
	v_cmp_u_f32_e32 vcc_lo, v37, v37
	v_add3_u32 v38, v38, v37, 0x7fff
	v_cndmask_b32_e32 v37, v38, v39, vcc_lo
	v_bfe_u32 v38, v33, 16, 1
	v_or_b32_e32 v39, 0x400000, v33
	v_cmp_u_f32_e32 vcc_lo, v33, v33
	v_and_b32_e32 v37, 0xffff0000, v37
	v_add3_u32 v38, v38, v33, 0x7fff
	v_cndmask_b32_e32 v33, v38, v39, vcc_lo
	v_and_b32_e32 v38, 0xffff0000, v34
	v_lshlrev_b32_e32 v34, 16, v34
	v_and_b32_e32 v33, 0xffff0000, v33
	v_mul_f32_e32 v38, v83, v38
	v_mul_f32_e32 v34, v87, v34
	v_add_f32_e32 v33, v33, v37
	v_bfe_u32 v39, v38, 16, 1
	v_or_b32_e32 v40, 0x400000, v38
	v_cmp_u_f32_e32 vcc_lo, v38, v38
	v_add3_u32 v39, v39, v38, 0x7fff
	v_cndmask_b32_e32 v38, v39, v40, vcc_lo
	v_bfe_u32 v39, v34, 16, 1
	v_or_b32_e32 v40, 0x400000, v34
	v_cmp_u_f32_e32 vcc_lo, v34, v34
	v_and_b32_e32 v37, 0xffff0000, v38
	v_add3_u32 v39, v39, v34, 0x7fff
	v_cndmask_b32_e32 v34, v39, v40, vcc_lo
	v_and_b32_e32 v39, 0xffff0000, v35
	v_lshlrev_b32_e32 v35, 16, v35
	v_and_b32_e32 v34, 0xffff0000, v34
	v_mul_f32_e32 v39, v82, v39
	v_mul_f32_e32 v35, v86, v35
	v_add_f32_e32 v34, v34, v37
	v_bfe_u32 v40, v39, 16, 1
	v_or_b32_e32 v41, 0x400000, v39
	v_cmp_u_f32_e32 vcc_lo, v39, v39
	v_add_f32_e32 v33, v34, v33
	v_add3_u32 v40, v40, v39, 0x7fff
	v_cndmask_b32_e32 v39, v40, v41, vcc_lo
	v_bfe_u32 v40, v35, 16, 1
	v_or_b32_e32 v41, 0x400000, v35
	v_cmp_u_f32_e32 vcc_lo, v35, v35
	v_add3_u32 v40, v40, v35, 0x7fff
	v_cndmask_b32_e32 v35, v40, v41, vcc_lo
	v_and_b32_e32 v40, 0xffff0000, v36
	v_lshlrev_b32_e32 v36, 16, v36
	v_and_b32_e32 v34, 0xffff0000, v35
	v_and_b32_e32 v35, 0xffff0000, v39
	buffer_load_dword v39, off, s[40:43], 0 offset:40 ; 4-byte Folded Reload
	v_mul_f32_e32 v40, v81, v40
	v_mul_f32_e32 v36, v85, v36
	v_add_f32_e32 v34, v34, v35
	v_bfe_u32 v41, v40, 16, 1
	v_or_b32_e32 v42, 0x400000, v40
	v_cmp_u_f32_e32 vcc_lo, v40, v40
	v_add_f32_e32 v33, v34, v33
	v_add3_u32 v41, v41, v40, 0x7fff
	v_cndmask_b32_e32 v40, v41, v42, vcc_lo
	v_bfe_u32 v41, v36, 16, 1
	v_or_b32_e32 v42, 0x400000, v36
	v_cmp_u_f32_e32 vcc_lo, v36, v36
	v_and_b32_e32 v35, 0xffff0000, v40
	v_add3_u32 v41, v41, v36, 0x7fff
	v_cndmask_b32_e32 v36, v41, v42, vcc_lo
	v_and_b32_e32 v34, 0xffff0000, v36
	v_add_f32_e32 v34, v34, v35
	v_add_f32_e32 v33, v34, v33
	s_waitcnt vmcnt(0)
	v_add_f32_e32 v39, v39, v33
	v_and_b32_e32 v33, 0xffff0000, v29
	v_lshlrev_b32_e32 v29, 16, v29
	v_mul_f32_e32 v33, v84, v33
	v_mul_f32_e32 v29, v88, v29
	v_bfe_u32 v34, v33, 16, 1
	v_or_b32_e32 v35, 0x400000, v33
	v_cmp_u_f32_e32 vcc_lo, v33, v33
	v_add3_u32 v34, v34, v33, 0x7fff
	v_cndmask_b32_e32 v33, v34, v35, vcc_lo
	v_bfe_u32 v34, v29, 16, 1
	v_or_b32_e32 v35, 0x400000, v29
	v_cmp_u_f32_e32 vcc_lo, v29, v29
	v_and_b32_e32 v33, 0xffff0000, v33
	v_add3_u32 v34, v34, v29, 0x7fff
	v_cndmask_b32_e32 v29, v34, v35, vcc_lo
	v_and_b32_e32 v34, 0xffff0000, v30
	v_lshlrev_b32_e32 v30, 16, v30
	v_and_b32_e32 v29, 0xffff0000, v29
	v_mul_f32_e32 v34, v83, v34
	v_mul_f32_e32 v30, v87, v30
	v_add_f32_e32 v29, v29, v33
	v_bfe_u32 v35, v34, 16, 1
	v_or_b32_e32 v36, 0x400000, v34
	v_cmp_u_f32_e32 vcc_lo, v34, v34
	v_add3_u32 v35, v35, v34, 0x7fff
	v_cndmask_b32_e32 v34, v35, v36, vcc_lo
	v_bfe_u32 v35, v30, 16, 1
	v_or_b32_e32 v36, 0x400000, v30
	v_cmp_u_f32_e32 vcc_lo, v30, v30
	v_and_b32_e32 v33, 0xffff0000, v34
	v_add3_u32 v35, v35, v30, 0x7fff
	v_cndmask_b32_e32 v30, v35, v36, vcc_lo
	v_and_b32_e32 v35, 0xffff0000, v31
	v_lshlrev_b32_e32 v31, 16, v31
	v_and_b32_e32 v30, 0xffff0000, v30
	v_mul_f32_e32 v35, v82, v35
	v_mul_f32_e32 v31, v86, v31
	v_add_f32_e32 v30, v30, v33
	v_bfe_u32 v36, v35, 16, 1
	v_or_b32_e32 v37, 0x400000, v35
	v_cmp_u_f32_e32 vcc_lo, v35, v35
	v_add_f32_e32 v29, v30, v29
	v_add3_u32 v36, v36, v35, 0x7fff
	v_cndmask_b32_e32 v35, v36, v37, vcc_lo
	v_bfe_u32 v36, v31, 16, 1
	v_or_b32_e32 v37, 0x400000, v31
	v_cmp_u_f32_e32 vcc_lo, v31, v31
	v_add3_u32 v36, v36, v31, 0x7fff
	v_cndmask_b32_e32 v31, v36, v37, vcc_lo
	v_and_b32_e32 v36, 0xffff0000, v32
	v_lshlrev_b32_e32 v32, 16, v32
	v_and_b32_e32 v30, 0xffff0000, v31
	v_and_b32_e32 v31, 0xffff0000, v35
	buffer_load_dword v35, off, s[40:43], 0 offset:44 ; 4-byte Folded Reload
	v_mul_f32_e32 v36, v81, v36
	v_mul_f32_e32 v32, v85, v32
	v_add_f32_e32 v30, v30, v31
	v_bfe_u32 v37, v36, 16, 1
	v_or_b32_e32 v38, 0x400000, v36
	v_cmp_u_f32_e32 vcc_lo, v36, v36
	v_add_f32_e32 v29, v30, v29
	v_add3_u32 v37, v37, v36, 0x7fff
	v_cndmask_b32_e32 v36, v37, v38, vcc_lo
	v_bfe_u32 v37, v32, 16, 1
	v_or_b32_e32 v38, 0x400000, v32
	v_cmp_u_f32_e32 vcc_lo, v32, v32
	v_and_b32_e32 v31, 0xffff0000, v36
	v_add3_u32 v37, v37, v32, 0x7fff
	v_cndmask_b32_e32 v32, v37, v38, vcc_lo
	v_and_b32_e32 v30, 0xffff0000, v32
	v_add_f32_e32 v30, v30, v31
	v_add_f32_e32 v29, v30, v29
	s_waitcnt vmcnt(0)
	v_add_f32_e32 v35, v35, v29
	v_and_b32_e32 v29, 0xffff0000, v25
	v_lshlrev_b32_e32 v25, 16, v25
	v_mul_f32_e32 v29, v84, v29
	v_mul_f32_e32 v25, v88, v25
	v_bfe_u32 v30, v29, 16, 1
	v_or_b32_e32 v31, 0x400000, v29
	v_cmp_u_f32_e32 vcc_lo, v29, v29
	v_add3_u32 v30, v30, v29, 0x7fff
	v_cndmask_b32_e32 v29, v30, v31, vcc_lo
	v_bfe_u32 v30, v25, 16, 1
	v_or_b32_e32 v31, 0x400000, v25
	v_cmp_u_f32_e32 vcc_lo, v25, v25
	v_and_b32_e32 v29, 0xffff0000, v29
	v_add3_u32 v30, v30, v25, 0x7fff
	v_cndmask_b32_e32 v25, v30, v31, vcc_lo
	v_and_b32_e32 v30, 0xffff0000, v26
	v_lshlrev_b32_e32 v26, 16, v26
	v_and_b32_e32 v25, 0xffff0000, v25
	v_mul_f32_e32 v30, v83, v30
	v_mul_f32_e32 v26, v87, v26
	v_add_f32_e32 v25, v25, v29
	v_bfe_u32 v31, v30, 16, 1
	v_or_b32_e32 v32, 0x400000, v30
	v_cmp_u_f32_e32 vcc_lo, v30, v30
	v_add3_u32 v31, v31, v30, 0x7fff
	v_cndmask_b32_e32 v30, v31, v32, vcc_lo
	v_bfe_u32 v31, v26, 16, 1
	v_or_b32_e32 v32, 0x400000, v26
	v_cmp_u_f32_e32 vcc_lo, v26, v26
	v_and_b32_e32 v29, 0xffff0000, v30
	v_add3_u32 v31, v31, v26, 0x7fff
	v_cndmask_b32_e32 v26, v31, v32, vcc_lo
	v_and_b32_e32 v31, 0xffff0000, v27
	v_lshlrev_b32_e32 v27, 16, v27
	v_and_b32_e32 v26, 0xffff0000, v26
	v_mul_f32_e32 v31, v82, v31
	v_mul_f32_e32 v27, v86, v27
	v_add_f32_e32 v26, v26, v29
	v_bfe_u32 v32, v31, 16, 1
	v_or_b32_e32 v33, 0x400000, v31
	v_cmp_u_f32_e32 vcc_lo, v31, v31
	v_add_f32_e32 v25, v26, v25
	v_add3_u32 v32, v32, v31, 0x7fff
	v_cndmask_b32_e32 v31, v32, v33, vcc_lo
	v_bfe_u32 v32, v27, 16, 1
	v_or_b32_e32 v33, 0x400000, v27
	v_cmp_u_f32_e32 vcc_lo, v27, v27
	v_add3_u32 v32, v32, v27, 0x7fff
	v_cndmask_b32_e32 v27, v32, v33, vcc_lo
	v_and_b32_e32 v32, 0xffff0000, v28
	v_lshlrev_b32_e32 v28, 16, v28
	v_and_b32_e32 v26, 0xffff0000, v27
	v_and_b32_e32 v27, 0xffff0000, v31
	buffer_load_dword v31, off, s[40:43], 0 offset:48 ; 4-byte Folded Reload
	v_mul_f32_e32 v32, v81, v32
	v_mul_f32_e32 v28, v85, v28
	v_add_f32_e32 v26, v26, v27
	v_bfe_u32 v33, v32, 16, 1
	v_or_b32_e32 v34, 0x400000, v32
	v_cmp_u_f32_e32 vcc_lo, v32, v32
	v_add_f32_e32 v25, v26, v25
	v_add3_u32 v33, v33, v32, 0x7fff
	v_cndmask_b32_e32 v32, v33, v34, vcc_lo
	v_bfe_u32 v33, v28, 16, 1
	v_or_b32_e32 v34, 0x400000, v28
	v_cmp_u_f32_e32 vcc_lo, v28, v28
	v_and_b32_e32 v27, 0xffff0000, v32
	v_add3_u32 v33, v33, v28, 0x7fff
	v_cndmask_b32_e32 v28, v33, v34, vcc_lo
	v_and_b32_e32 v26, 0xffff0000, v28
	v_add_f32_e32 v26, v26, v27
	v_add_f32_e32 v25, v26, v25
	s_waitcnt vmcnt(0)
	v_add_f32_e32 v31, v31, v25
	v_and_b32_e32 v25, 0xffff0000, v21
	v_lshlrev_b32_e32 v21, 16, v21
	v_mul_f32_e32 v25, v84, v25
	v_mul_f32_e32 v21, v88, v21
	v_bfe_u32 v26, v25, 16, 1
	v_or_b32_e32 v27, 0x400000, v25
	v_cmp_u_f32_e32 vcc_lo, v25, v25
	v_add3_u32 v26, v26, v25, 0x7fff
	v_cndmask_b32_e32 v25, v26, v27, vcc_lo
	v_bfe_u32 v26, v21, 16, 1
	v_or_b32_e32 v27, 0x400000, v21
	v_cmp_u_f32_e32 vcc_lo, v21, v21
	v_and_b32_e32 v25, 0xffff0000, v25
	v_add3_u32 v26, v26, v21, 0x7fff
	v_cndmask_b32_e32 v21, v26, v27, vcc_lo
	v_and_b32_e32 v26, 0xffff0000, v22
	v_lshlrev_b32_e32 v22, 16, v22
	v_and_b32_e32 v21, 0xffff0000, v21
	v_mul_f32_e32 v26, v83, v26
	v_mul_f32_e32 v22, v87, v22
	v_add_f32_e32 v21, v21, v25
	v_bfe_u32 v27, v26, 16, 1
	v_or_b32_e32 v28, 0x400000, v26
	v_cmp_u_f32_e32 vcc_lo, v26, v26
	v_add3_u32 v27, v27, v26, 0x7fff
	v_cndmask_b32_e32 v26, v27, v28, vcc_lo
	v_bfe_u32 v27, v22, 16, 1
	v_or_b32_e32 v28, 0x400000, v22
	v_cmp_u_f32_e32 vcc_lo, v22, v22
	v_and_b32_e32 v25, 0xffff0000, v26
	v_add3_u32 v27, v27, v22, 0x7fff
	v_cndmask_b32_e32 v22, v27, v28, vcc_lo
	v_and_b32_e32 v27, 0xffff0000, v23
	v_lshlrev_b32_e32 v23, 16, v23
	v_and_b32_e32 v22, 0xffff0000, v22
	v_mul_f32_e32 v27, v82, v27
	v_mul_f32_e32 v23, v86, v23
	v_add_f32_e32 v22, v22, v25
	v_bfe_u32 v28, v27, 16, 1
	v_or_b32_e32 v29, 0x400000, v27
	v_cmp_u_f32_e32 vcc_lo, v27, v27
	v_add_f32_e32 v21, v22, v21
	v_add3_u32 v28, v28, v27, 0x7fff
	v_cndmask_b32_e32 v27, v28, v29, vcc_lo
	v_bfe_u32 v28, v23, 16, 1
	v_or_b32_e32 v29, 0x400000, v23
	v_cmp_u_f32_e32 vcc_lo, v23, v23
	v_add3_u32 v28, v28, v23, 0x7fff
	v_cndmask_b32_e32 v23, v28, v29, vcc_lo
	v_and_b32_e32 v28, 0xffff0000, v24
	v_lshlrev_b32_e32 v24, 16, v24
	v_and_b32_e32 v22, 0xffff0000, v23
	v_mul_f32_e32 v28, v81, v28
	v_mul_f32_e32 v24, v85, v24
	v_and_b32_e32 v23, 0xffff0000, v27
	v_bfe_u32 v29, v28, 16, 1
	v_or_b32_e32 v30, 0x400000, v28
	v_cmp_u_f32_e32 vcc_lo, v28, v28
	v_add_f32_e32 v22, v22, v23
	v_add3_u32 v29, v29, v28, 0x7fff
	v_add_f32_e32 v21, v22, v21
	v_cndmask_b32_e32 v28, v29, v30, vcc_lo
	v_bfe_u32 v29, v24, 16, 1
	v_or_b32_e32 v30, 0x400000, v24
	v_cmp_u_f32_e32 vcc_lo, v24, v24
	v_and_b32_e32 v23, 0xffff0000, v28
	v_add3_u32 v29, v29, v24, 0x7fff
	v_cndmask_b32_e32 v24, v29, v30, vcc_lo
	v_and_b32_e32 v22, 0xffff0000, v24
	v_add_f32_e32 v22, v22, v23
	v_add_f32_e32 v21, v22, v21
	;; [unrolled: 1-line block ×3, first 2 shown]
	v_and_b32_e32 v21, 0xffff0000, v13
	v_lshlrev_b32_e32 v13, 16, v13
	v_mul_f32_e32 v21, v84, v21
	v_mul_f32_e32 v13, v88, v13
	v_bfe_u32 v22, v21, 16, 1
	v_or_b32_e32 v23, 0x400000, v21
	v_cmp_u_f32_e32 vcc_lo, v21, v21
	v_add3_u32 v22, v22, v21, 0x7fff
	v_cndmask_b32_e32 v21, v22, v23, vcc_lo
	v_bfe_u32 v22, v13, 16, 1
	v_or_b32_e32 v23, 0x400000, v13
	v_cmp_u_f32_e32 vcc_lo, v13, v13
	v_and_b32_e32 v21, 0xffff0000, v21
	v_add3_u32 v22, v22, v13, 0x7fff
	v_cndmask_b32_e32 v13, v22, v23, vcc_lo
	v_and_b32_e32 v22, 0xffff0000, v14
	v_lshlrev_b32_e32 v14, 16, v14
	v_and_b32_e32 v13, 0xffff0000, v13
	v_mul_f32_e32 v22, v83, v22
	v_mul_f32_e32 v14, v87, v14
	v_add_f32_e32 v13, v13, v21
	v_bfe_u32 v23, v22, 16, 1
	v_or_b32_e32 v24, 0x400000, v22
	v_cmp_u_f32_e32 vcc_lo, v22, v22
	v_add3_u32 v23, v23, v22, 0x7fff
	v_cndmask_b32_e32 v22, v23, v24, vcc_lo
	v_bfe_u32 v23, v14, 16, 1
	v_or_b32_e32 v24, 0x400000, v14
	v_cmp_u_f32_e32 vcc_lo, v14, v14
	v_and_b32_e32 v21, 0xffff0000, v22
	v_add3_u32 v23, v23, v14, 0x7fff
	v_cndmask_b32_e32 v14, v23, v24, vcc_lo
	v_and_b32_e32 v23, 0xffff0000, v15
	v_lshlrev_b32_e32 v15, 16, v15
	v_and_b32_e32 v14, 0xffff0000, v14
	v_mul_f32_e32 v23, v82, v23
	v_mul_f32_e32 v15, v86, v15
	v_add_f32_e32 v14, v14, v21
	v_bfe_u32 v24, v23, 16, 1
	v_or_b32_e32 v25, 0x400000, v23
	v_cmp_u_f32_e32 vcc_lo, v23, v23
	v_add_f32_e32 v13, v14, v13
	v_add3_u32 v24, v24, v23, 0x7fff
	v_cndmask_b32_e32 v23, v24, v25, vcc_lo
	v_bfe_u32 v24, v15, 16, 1
	v_or_b32_e32 v25, 0x400000, v15
	v_cmp_u_f32_e32 vcc_lo, v15, v15
	v_add3_u32 v24, v24, v15, 0x7fff
	v_cndmask_b32_e32 v15, v24, v25, vcc_lo
	v_and_b32_e32 v24, 0xffff0000, v16
	v_lshlrev_b32_e32 v16, 16, v16
	v_and_b32_e32 v14, 0xffff0000, v15
	v_mul_f32_e32 v24, v81, v24
	v_mul_f32_e32 v16, v85, v16
	v_and_b32_e32 v15, 0xffff0000, v23
	v_bfe_u32 v25, v24, 16, 1
	v_or_b32_e32 v26, 0x400000, v24
	v_cmp_u_f32_e32 vcc_lo, v24, v24
	v_add_f32_e32 v14, v14, v15
	v_add3_u32 v25, v25, v24, 0x7fff
	v_add_f32_e32 v13, v14, v13
	v_cndmask_b32_e32 v24, v25, v26, vcc_lo
	v_bfe_u32 v25, v16, 16, 1
	v_or_b32_e32 v26, 0x400000, v16
	v_cmp_u_f32_e32 vcc_lo, v16, v16
	v_and_b32_e32 v15, 0xffff0000, v24
	v_add3_u32 v25, v25, v16, 0x7fff
	v_cndmask_b32_e32 v16, v25, v26, vcc_lo
	v_and_b32_e32 v14, 0xffff0000, v16
	v_add_f32_e32 v14, v14, v15
	v_add_f32_e32 v13, v14, v13
	;; [unrolled: 1-line block ×3, first 2 shown]
	v_and_b32_e32 v13, 0xffff0000, v9
	v_lshlrev_b32_e32 v9, 16, v9
	v_mul_f32_e32 v13, v84, v13
	v_mul_f32_e32 v9, v88, v9
	v_bfe_u32 v14, v13, 16, 1
	v_or_b32_e32 v15, 0x400000, v13
	v_cmp_u_f32_e32 vcc_lo, v13, v13
	v_add3_u32 v14, v14, v13, 0x7fff
	v_cndmask_b32_e32 v13, v14, v15, vcc_lo
	v_bfe_u32 v14, v9, 16, 1
	v_or_b32_e32 v15, 0x400000, v9
	v_cmp_u_f32_e32 vcc_lo, v9, v9
	v_and_b32_e32 v13, 0xffff0000, v13
	v_add3_u32 v14, v14, v9, 0x7fff
	v_cndmask_b32_e32 v9, v14, v15, vcc_lo
	v_and_b32_e32 v14, 0xffff0000, v10
	v_lshlrev_b32_e32 v10, 16, v10
	v_and_b32_e32 v9, 0xffff0000, v9
	v_mul_f32_e32 v14, v83, v14
	v_mul_f32_e32 v10, v87, v10
	v_add_f32_e32 v9, v9, v13
	v_bfe_u32 v15, v14, 16, 1
	v_or_b32_e32 v16, 0x400000, v14
	v_cmp_u_f32_e32 vcc_lo, v14, v14
	v_add3_u32 v15, v15, v14, 0x7fff
	v_cndmask_b32_e32 v14, v15, v16, vcc_lo
	v_bfe_u32 v15, v10, 16, 1
	v_or_b32_e32 v16, 0x400000, v10
	v_cmp_u_f32_e32 vcc_lo, v10, v10
	v_and_b32_e32 v13, 0xffff0000, v14
	v_add3_u32 v15, v15, v10, 0x7fff
	v_cndmask_b32_e32 v10, v15, v16, vcc_lo
	v_and_b32_e32 v15, 0xffff0000, v11
	v_lshlrev_b32_e32 v11, 16, v11
	v_and_b32_e32 v10, 0xffff0000, v10
	v_mul_f32_e32 v15, v82, v15
	v_mul_f32_e32 v11, v86, v11
	v_add_f32_e32 v10, v10, v13
	v_bfe_u32 v16, v15, 16, 1
	v_or_b32_e32 v21, 0x400000, v15
	v_cmp_u_f32_e32 vcc_lo, v15, v15
	v_add_f32_e32 v9, v10, v9
	v_add3_u32 v16, v16, v15, 0x7fff
	v_cndmask_b32_e32 v15, v16, v21, vcc_lo
	v_bfe_u32 v16, v11, 16, 1
	v_or_b32_e32 v21, 0x400000, v11
	v_cmp_u_f32_e32 vcc_lo, v11, v11
	v_add3_u32 v16, v16, v11, 0x7fff
	v_cndmask_b32_e32 v11, v16, v21, vcc_lo
	v_and_b32_e32 v16, 0xffff0000, v12
	v_lshlrev_b32_e32 v12, 16, v12
	v_and_b32_e32 v10, 0xffff0000, v11
	v_mul_f32_e32 v16, v81, v16
	v_mul_f32_e32 v12, v85, v12
	v_and_b32_e32 v11, 0xffff0000, v15
	v_bfe_u32 v21, v16, 16, 1
	v_or_b32_e32 v22, 0x400000, v16
	v_cmp_u_f32_e32 vcc_lo, v16, v16
	v_add_f32_e32 v10, v10, v11
	v_add3_u32 v21, v21, v16, 0x7fff
	v_add_f32_e32 v9, v10, v9
	v_cndmask_b32_e32 v16, v21, v22, vcc_lo
	v_bfe_u32 v21, v12, 16, 1
	v_or_b32_e32 v22, 0x400000, v12
	v_cmp_u_f32_e32 vcc_lo, v12, v12
	v_and_b32_e32 v11, 0xffff0000, v16
	v_add3_u32 v21, v21, v12, 0x7fff
	v_cndmask_b32_e32 v12, v21, v22, vcc_lo
	v_and_b32_e32 v10, 0xffff0000, v12
	v_add_f32_e32 v10, v10, v11
	v_add_f32_e32 v9, v10, v9
	;; [unrolled: 1-line block ×3, first 2 shown]
	v_and_b32_e32 v9, 0xffff0000, v5
	v_lshlrev_b32_e32 v5, 16, v5
	v_mul_f32_e32 v9, v84, v9
	v_mul_f32_e32 v5, v88, v5
	v_bfe_u32 v10, v9, 16, 1
	v_or_b32_e32 v11, 0x400000, v9
	v_cmp_u_f32_e32 vcc_lo, v9, v9
	v_add3_u32 v10, v10, v9, 0x7fff
	v_cndmask_b32_e32 v9, v10, v11, vcc_lo
	v_bfe_u32 v10, v5, 16, 1
	v_or_b32_e32 v11, 0x400000, v5
	v_cmp_u_f32_e32 vcc_lo, v5, v5
	v_and_b32_e32 v9, 0xffff0000, v9
	v_add3_u32 v10, v10, v5, 0x7fff
	v_cndmask_b32_e32 v5, v10, v11, vcc_lo
	v_and_b32_e32 v10, 0xffff0000, v6
	v_lshlrev_b32_e32 v6, 16, v6
	v_and_b32_e32 v5, 0xffff0000, v5
	v_mul_f32_e32 v10, v83, v10
	v_mul_f32_e32 v6, v87, v6
	v_add_f32_e32 v5, v5, v9
	v_bfe_u32 v11, v10, 16, 1
	v_or_b32_e32 v12, 0x400000, v10
	v_cmp_u_f32_e32 vcc_lo, v10, v10
	v_add3_u32 v11, v11, v10, 0x7fff
	v_cndmask_b32_e32 v10, v11, v12, vcc_lo
	v_bfe_u32 v11, v6, 16, 1
	v_or_b32_e32 v12, 0x400000, v6
	v_cmp_u_f32_e32 vcc_lo, v6, v6
	v_and_b32_e32 v9, 0xffff0000, v10
	v_add3_u32 v11, v11, v6, 0x7fff
	v_cndmask_b32_e32 v6, v11, v12, vcc_lo
	v_and_b32_e32 v11, 0xffff0000, v7
	v_lshlrev_b32_e32 v7, 16, v7
	v_and_b32_e32 v6, 0xffff0000, v6
	v_mul_f32_e32 v11, v82, v11
	v_mul_f32_e32 v7, v86, v7
	v_add_f32_e32 v6, v6, v9
	v_bfe_u32 v12, v11, 16, 1
	v_or_b32_e32 v13, 0x400000, v11
	v_cmp_u_f32_e32 vcc_lo, v11, v11
	v_add_f32_e32 v5, v6, v5
	v_add3_u32 v12, v12, v11, 0x7fff
	v_cndmask_b32_e32 v11, v12, v13, vcc_lo
	v_bfe_u32 v12, v7, 16, 1
	v_or_b32_e32 v13, 0x400000, v7
	v_cmp_u_f32_e32 vcc_lo, v7, v7
	v_add3_u32 v12, v12, v7, 0x7fff
	v_cndmask_b32_e32 v7, v12, v13, vcc_lo
	v_and_b32_e32 v12, 0xffff0000, v8
	v_lshlrev_b32_e32 v8, 16, v8
	v_and_b32_e32 v6, 0xffff0000, v7
	v_mul_f32_e32 v12, v81, v12
	v_mul_f32_e32 v8, v85, v8
	v_and_b32_e32 v7, 0xffff0000, v11
	v_bfe_u32 v13, v12, 16, 1
	v_or_b32_e32 v14, 0x400000, v12
	v_cmp_u_f32_e32 vcc_lo, v12, v12
	v_add_f32_e32 v6, v6, v7
	v_add3_u32 v13, v13, v12, 0x7fff
	v_add_f32_e32 v5, v6, v5
	v_cndmask_b32_e32 v12, v13, v14, vcc_lo
	v_bfe_u32 v13, v8, 16, 1
	v_or_b32_e32 v14, 0x400000, v8
	v_cmp_u_f32_e32 vcc_lo, v8, v8
	v_and_b32_e32 v7, 0xffff0000, v12
	v_add3_u32 v13, v13, v8, 0x7fff
	v_cndmask_b32_e32 v8, v13, v14, vcc_lo
	v_and_b32_e32 v6, 0xffff0000, v8
	v_add_f32_e32 v6, v6, v7
	v_add_f32_e32 v5, v6, v5
	;; [unrolled: 1-line block ×3, first 2 shown]
	v_and_b32_e32 v5, 0xffff0000, v1
	v_lshlrev_b32_e32 v1, 16, v1
	v_mul_f32_e32 v5, v84, v5
	v_mul_f32_e32 v1, v88, v1
	v_bfe_u32 v6, v5, 16, 1
	v_or_b32_e32 v7, 0x400000, v5
	v_cmp_u_f32_e32 vcc_lo, v5, v5
	v_add3_u32 v6, v6, v5, 0x7fff
	v_cndmask_b32_e32 v5, v6, v7, vcc_lo
	v_bfe_u32 v6, v1, 16, 1
	v_or_b32_e32 v7, 0x400000, v1
	v_cmp_u_f32_e32 vcc_lo, v1, v1
	v_and_b32_e32 v5, 0xffff0000, v5
	v_add3_u32 v6, v6, v1, 0x7fff
	v_cndmask_b32_e32 v1, v6, v7, vcc_lo
	v_and_b32_e32 v6, 0xffff0000, v2
	v_lshlrev_b32_e32 v2, 16, v2
	v_and_b32_e32 v1, 0xffff0000, v1
	v_mul_f32_e32 v6, v83, v6
	v_mul_f32_e32 v2, v87, v2
	v_add_f32_e32 v1, v1, v5
	v_bfe_u32 v7, v6, 16, 1
	v_or_b32_e32 v8, 0x400000, v6
	v_cmp_u_f32_e32 vcc_lo, v6, v6
	v_add3_u32 v7, v7, v6, 0x7fff
	v_cndmask_b32_e32 v6, v7, v8, vcc_lo
	v_bfe_u32 v7, v2, 16, 1
	v_or_b32_e32 v8, 0x400000, v2
	v_cmp_u_f32_e32 vcc_lo, v2, v2
	v_and_b32_e32 v5, 0xffff0000, v6
	v_add3_u32 v7, v7, v2, 0x7fff
	v_cndmask_b32_e32 v2, v7, v8, vcc_lo
	v_and_b32_e32 v7, 0xffff0000, v3
	v_lshlrev_b32_e32 v3, 16, v3
	v_and_b32_e32 v2, 0xffff0000, v2
	v_mul_f32_e32 v7, v82, v7
	v_mul_f32_e32 v3, v86, v3
	v_add_f32_e32 v2, v2, v5
	v_bfe_u32 v8, v7, 16, 1
	v_or_b32_e32 v9, 0x400000, v7
	v_cmp_u_f32_e32 vcc_lo, v7, v7
	v_add_f32_e32 v1, v2, v1
	v_add3_u32 v8, v8, v7, 0x7fff
	v_cndmask_b32_e32 v7, v8, v9, vcc_lo
	v_bfe_u32 v8, v3, 16, 1
	v_or_b32_e32 v9, 0x400000, v3
	v_cmp_u_f32_e32 vcc_lo, v3, v3
	v_add3_u32 v8, v8, v3, 0x7fff
	v_cndmask_b32_e32 v3, v8, v9, vcc_lo
	v_and_b32_e32 v8, 0xffff0000, v4
	v_lshlrev_b32_e32 v4, 16, v4
	v_and_b32_e32 v2, 0xffff0000, v3
	v_mul_f32_e32 v8, v81, v8
	v_mul_f32_e32 v4, v85, v4
	v_and_b32_e32 v3, 0xffff0000, v7
	v_bfe_u32 v9, v8, 16, 1
	v_or_b32_e32 v10, 0x400000, v8
	v_cmp_u_f32_e32 vcc_lo, v8, v8
	v_add_f32_e32 v2, v2, v3
	v_add3_u32 v9, v9, v8, 0x7fff
	v_add_f32_e32 v1, v2, v1
	v_cndmask_b32_e32 v8, v9, v10, vcc_lo
	v_bfe_u32 v9, v4, 16, 1
	v_or_b32_e32 v10, 0x400000, v4
	v_cmp_u_f32_e32 vcc_lo, v4, v4
	v_and_b32_e32 v3, 0xffff0000, v8
	v_add3_u32 v9, v9, v4, 0x7fff
	v_cndmask_b32_e32 v4, v9, v10, vcc_lo
	v_and_b32_e32 v2, 0xffff0000, v4
	v_add_f32_e32 v2, v2, v3
	v_add_f32_e32 v1, v2, v1
	;; [unrolled: 1-line block ×3, first 2 shown]
	v_lshlrev_b32_e32 v1, 16, v17
	v_mul_f32_e32 v1, v88, v1
	v_bfe_u32 v2, v1, 16, 1
	v_or_b32_e32 v3, 0x400000, v1
	v_cmp_u_f32_e32 vcc_lo, v1, v1
	v_add3_u32 v2, v2, v1, 0x7fff
	v_cndmask_b32_e32 v1, v2, v3, vcc_lo
	v_and_b32_e32 v2, 0xffff0000, v17
	v_and_b32_e32 v1, 0xffff0000, v1
	v_mul_f32_e32 v2, v84, v2
	v_bfe_u32 v3, v2, 16, 1
	v_or_b32_e32 v4, 0x400000, v2
	v_cmp_u_f32_e32 vcc_lo, v2, v2
	v_add3_u32 v3, v3, v2, 0x7fff
	v_cndmask_b32_e32 v2, v3, v4, vcc_lo
	v_lshlrev_b32_e32 v3, 16, v18
	v_and_b32_e32 v2, 0xffff0000, v2
	v_mul_f32_e32 v3, v87, v3
	v_add_f32_e32 v1, v1, v2
	v_bfe_u32 v4, v3, 16, 1
	v_or_b32_e32 v5, 0x400000, v3
	v_cmp_u_f32_e32 vcc_lo, v3, v3
	v_add3_u32 v4, v4, v3, 0x7fff
	v_cndmask_b32_e32 v3, v4, v5, vcc_lo
	v_and_b32_e32 v4, 0xffff0000, v18
	v_and_b32_e32 v3, 0xffff0000, v3
	v_mul_f32_e32 v4, v83, v4
	v_bfe_u32 v5, v4, 16, 1
	v_or_b32_e32 v6, 0x400000, v4
	v_cmp_u_f32_e32 vcc_lo, v4, v4
	v_add3_u32 v5, v5, v4, 0x7fff
	v_cndmask_b32_e32 v4, v5, v6, vcc_lo
	v_lshlrev_b32_e32 v5, 16, v19
	v_and_b32_e32 v2, 0xffff0000, v4
	v_mul_f32_e32 v5, v86, v5
	v_add_f32_e32 v2, v3, v2
	v_bfe_u32 v6, v5, 16, 1
	v_or_b32_e32 v7, 0x400000, v5
	v_cmp_u_f32_e32 vcc_lo, v5, v5
	v_add_f32_e32 v1, v2, v1
	v_add3_u32 v6, v6, v5, 0x7fff
	v_cndmask_b32_e32 v5, v6, v7, vcc_lo
	v_and_b32_e32 v6, 0xffff0000, v19
	v_and_b32_e32 v3, 0xffff0000, v5
	v_mul_f32_e32 v6, v82, v6
	v_bfe_u32 v7, v6, 16, 1
	v_or_b32_e32 v8, 0x400000, v6
	v_cmp_u_f32_e32 vcc_lo, v6, v6
	v_add3_u32 v7, v7, v6, 0x7fff
	v_cndmask_b32_e32 v6, v7, v8, vcc_lo
	v_lshlrev_b32_e32 v7, 16, v20
	v_and_b32_e32 v2, 0xffff0000, v6
	v_mul_f32_e32 v7, v85, v7
	v_add_f32_e32 v2, v3, v2
	v_bfe_u32 v8, v7, 16, 1
	v_or_b32_e32 v9, 0x400000, v7
	v_cmp_u_f32_e32 vcc_lo, v7, v7
	v_add_f32_e32 v1, v2, v1
	v_add3_u32 v8, v8, v7, 0x7fff
	v_cndmask_b32_e32 v7, v8, v9, vcc_lo
	v_and_b32_e32 v8, 0xffff0000, v20
	v_and_b32_e32 v3, 0xffff0000, v7
	v_mul_f32_e32 v8, v81, v8
	v_bfe_u32 v9, v8, 16, 1
	v_or_b32_e32 v10, 0x400000, v8
	v_cmp_u_f32_e32 vcc_lo, v8, v8
	v_add3_u32 v9, v9, v8, 0x7fff
	v_cndmask_b32_e32 v8, v9, v10, vcc_lo
	v_add_co_u32 v106, vcc_lo, v106, 16
	v_add_co_ci_u32_e64 v107, null, 0, v107, vcc_lo
	v_and_b32_e32 v2, 0xffff0000, v8
	v_cmp_le_i32_e32 vcc_lo, s11, v105
	v_add_f32_e32 v2, v3, v2
	s_or_b32 s9, vcc_lo, s9
	v_add_f32_e32 v1, v2, v1
	v_add_f32_e32 v48, v48, v1
	s_andn2_b32 exec_lo, exec_lo, s9
	s_cbranch_execz .LBB187_77
.LBB187_29:                             ; =>This Inner Loop Header: Depth=1
	buffer_store_dword v31, off, s[40:43], 0 offset:48 ; 4-byte Folded Spill
	buffer_store_dword v35, off, s[40:43], 0 offset:44 ; 4-byte Folded Spill
	;; [unrolled: 1-line block ×12, first 2 shown]
	buffer_store_dword v48, off, s[40:43], 0 ; 4-byte Folded Spill
	global_load_dword v1, v[106:107], off
	buffer_load_dword v3, off, s[40:43], 0 offset:52 ; 4-byte Folded Reload
	v_cmp_eq_u32_e64 s0, s5, v105
	v_add_nc_u32_e32 v125, 1, v117
	v_or_b32_e32 v124, 3, v117
	v_or_b32_e32 v123, 2, v117
	;; [unrolled: 1-line block ×6, first 2 shown]
	s_waitcnt vmcnt(1)
	v_mad_i64_i32 v[1:2], null, v1, s6, 0
	v_lshlrev_b64 v[1:2], 1, v[1:2]
	s_waitcnt vmcnt(0)
	v_add_co_u32 v17, vcc_lo, v3, v1
	buffer_load_dword v1, off, s[40:43], 0 offset:56 ; 4-byte Folded Reload
	s_waitcnt vmcnt(0)
	v_add_co_ci_u32_e64 v18, null, v1, v2, vcc_lo
	global_load_dwordx4 v[1:4], v[17:18], off
	ds_read2_b64 v[85:88], v118 offset1:1
	ds_read2_b64 v[81:84], v118 offset0:2 offset1:3
	s_and_saveexec_b32 s13, s0
	s_cbranch_execnz .LBB187_58
; %bb.30:                               ;   in Loop: Header=BB187_29 Depth=1
	s_or_b32 exec_lo, exec_lo, s13
	global_load_dwordx4 v[5:8], v[17:18], off offset:512
	s_and_saveexec_b32 s13, s0
	s_cbranch_execnz .LBB187_59
.LBB187_31:                             ;   in Loop: Header=BB187_29 Depth=1
	s_or_b32 exec_lo, exec_lo, s13
	global_load_dwordx4 v[9:12], v[17:18], off offset:1024
	s_and_saveexec_b32 s13, s0
	s_cbranch_execnz .LBB187_60
.LBB187_32:                             ;   in Loop: Header=BB187_29 Depth=1
	s_or_b32 exec_lo, exec_lo, s13
	global_load_dwordx4 v[13:16], v[17:18], off offset:1536
	s_and_saveexec_b32 s13, s0
	s_cbranch_execz .LBB187_34
.LBB187_33:                             ;   in Loop: Header=BB187_29 Depth=1
	v_cmp_gt_i32_e64 s1, s25, v117
	v_cmp_gt_i32_e32 vcc_lo, s12, v125
	v_cmp_gt_i32_e64 s2, s25, v123
	s_waitcnt vmcnt(0)
	v_cndmask_b32_e64 v19, 0, v13, s1
	v_cmp_gt_i32_e64 s1, s12, v124
	v_cndmask_b32_sdwa v13, v116, v13, vcc_lo dst_sel:DWORD dst_unused:UNUSED_PAD src0_sel:DWORD src1_sel:WORD_1
	v_cndmask_b32_e64 v20, 0, v14, s2
	v_cmp_gt_i32_e64 s2, s12, v122
	s_mov_b32 vcc_lo, s1
	v_cmp_gt_i32_e64 s1, s12, v120
	v_cndmask_b32_sdwa v14, v116, v14, vcc_lo dst_sel:DWORD dst_unused:UNUSED_PAD src0_sel:DWORD src1_sel:WORD_1
	v_cmp_gt_i32_e32 vcc_lo, s25, v121
	v_perm_b32 v13, v13, v19, 0x5040100
	v_perm_b32 v14, v14, v20, 0x5040100
	v_cndmask_b32_e32 v21, 0, v15, vcc_lo
	s_mov_b32 vcc_lo, s2
	v_cndmask_b32_sdwa v15, v116, v15, vcc_lo dst_sel:DWORD dst_unused:UNUSED_PAD src0_sel:DWORD src1_sel:WORD_1
	v_cmp_gt_i32_e32 vcc_lo, s25, v119
	v_perm_b32 v15, v15, v21, 0x5040100
	v_cndmask_b32_e32 v22, 0, v16, vcc_lo
	s_mov_b32 vcc_lo, s1
	v_cndmask_b32_sdwa v16, v116, v16, vcc_lo dst_sel:DWORD dst_unused:UNUSED_PAD src0_sel:DWORD src1_sel:WORD_1
	v_perm_b32 v16, v16, v22, 0x5040100
.LBB187_34:                             ;   in Loop: Header=BB187_29 Depth=1
	s_or_b32 exec_lo, exec_lo, s13
	v_add_co_u32 v19, vcc_lo, 0x800, v17
	v_add_co_ci_u32_e64 v20, null, 0, v18, vcc_lo
	global_load_dwordx4 v[21:24], v[19:20], off
	s_and_saveexec_b32 s13, s0
	s_cbranch_execnz .LBB187_61
; %bb.35:                               ;   in Loop: Header=BB187_29 Depth=1
	s_or_b32 exec_lo, exec_lo, s13
	global_load_dwordx4 v[25:28], v[19:20], off offset:512
	s_and_saveexec_b32 s13, s0
	s_cbranch_execnz .LBB187_62
.LBB187_36:                             ;   in Loop: Header=BB187_29 Depth=1
	s_or_b32 exec_lo, exec_lo, s13
	global_load_dwordx4 v[29:32], v[19:20], off offset:1024
	s_and_saveexec_b32 s13, s0
	s_cbranch_execnz .LBB187_63
.LBB187_37:                             ;   in Loop: Header=BB187_29 Depth=1
	s_or_b32 exec_lo, exec_lo, s13
	global_load_dwordx4 v[33:36], v[19:20], off offset:1536
	s_and_saveexec_b32 s13, s0
	s_cbranch_execz .LBB187_39
.LBB187_38:                             ;   in Loop: Header=BB187_29 Depth=1
	v_cmp_gt_i32_e64 s1, s25, v117
	v_cmp_gt_i32_e32 vcc_lo, s12, v125
	v_cmp_gt_i32_e64 s2, s25, v123
	s_waitcnt vmcnt(0)
	v_cndmask_b32_e64 v19, 0, v33, s1
	v_cmp_gt_i32_e64 s1, s12, v124
	v_cndmask_b32_sdwa v33, v116, v33, vcc_lo dst_sel:DWORD dst_unused:UNUSED_PAD src0_sel:DWORD src1_sel:WORD_1
	v_cndmask_b32_e64 v20, 0, v34, s2
	v_cmp_gt_i32_e64 s2, s12, v122
	s_mov_b32 vcc_lo, s1
	v_cmp_gt_i32_e64 s1, s12, v120
	v_cndmask_b32_sdwa v34, v116, v34, vcc_lo dst_sel:DWORD dst_unused:UNUSED_PAD src0_sel:DWORD src1_sel:WORD_1
	v_cmp_gt_i32_e32 vcc_lo, s25, v121
	v_perm_b32 v33, v33, v19, 0x5040100
	v_perm_b32 v34, v34, v20, 0x5040100
	v_cndmask_b32_e32 v37, 0, v35, vcc_lo
	s_mov_b32 vcc_lo, s2
	v_cndmask_b32_sdwa v35, v116, v35, vcc_lo dst_sel:DWORD dst_unused:UNUSED_PAD src0_sel:DWORD src1_sel:WORD_1
	v_cmp_gt_i32_e32 vcc_lo, s25, v119
	v_perm_b32 v35, v35, v37, 0x5040100
	v_cndmask_b32_e32 v38, 0, v36, vcc_lo
	s_mov_b32 vcc_lo, s1
	v_cndmask_b32_sdwa v36, v116, v36, vcc_lo dst_sel:DWORD dst_unused:UNUSED_PAD src0_sel:DWORD src1_sel:WORD_1
	v_perm_b32 v36, v36, v38, 0x5040100
.LBB187_39:                             ;   in Loop: Header=BB187_29 Depth=1
	s_or_b32 exec_lo, exec_lo, s13
	v_add_co_u32 v19, vcc_lo, 0x1000, v17
	v_add_co_ci_u32_e64 v20, null, 0, v18, vcc_lo
	global_load_dwordx4 v[37:40], v[19:20], off
	s_and_saveexec_b32 s13, s0
	s_cbranch_execnz .LBB187_64
; %bb.40:                               ;   in Loop: Header=BB187_29 Depth=1
	s_or_b32 exec_lo, exec_lo, s13
	global_load_dwordx4 v[41:44], v[19:20], off offset:512
	s_and_saveexec_b32 s13, s0
	s_cbranch_execnz .LBB187_65
.LBB187_41:                             ;   in Loop: Header=BB187_29 Depth=1
	s_or_b32 exec_lo, exec_lo, s13
	global_load_dwordx4 v[45:48], v[19:20], off offset:1024
	s_and_saveexec_b32 s13, s0
	s_cbranch_execnz .LBB187_66
.LBB187_42:                             ;   in Loop: Header=BB187_29 Depth=1
	s_or_b32 exec_lo, exec_lo, s13
	global_load_dwordx4 v[49:52], v[19:20], off offset:1536
	s_and_saveexec_b32 s13, s0
	s_cbranch_execz .LBB187_44
.LBB187_43:                             ;   in Loop: Header=BB187_29 Depth=1
	v_cmp_gt_i32_e64 s1, s25, v117
	v_cmp_gt_i32_e32 vcc_lo, s12, v125
	v_cmp_gt_i32_e64 s2, s25, v123
	s_waitcnt vmcnt(0)
	v_cndmask_b32_e64 v19, 0, v49, s1
	v_cmp_gt_i32_e64 s1, s12, v124
	v_cndmask_b32_sdwa v49, v116, v49, vcc_lo dst_sel:DWORD dst_unused:UNUSED_PAD src0_sel:DWORD src1_sel:WORD_1
	v_cndmask_b32_e64 v20, 0, v50, s2
	v_cmp_gt_i32_e64 s2, s12, v122
	s_mov_b32 vcc_lo, s1
	v_cmp_gt_i32_e64 s1, s12, v120
	v_cndmask_b32_sdwa v50, v116, v50, vcc_lo dst_sel:DWORD dst_unused:UNUSED_PAD src0_sel:DWORD src1_sel:WORD_1
	v_cmp_gt_i32_e32 vcc_lo, s25, v121
	v_perm_b32 v49, v49, v19, 0x5040100
	v_perm_b32 v50, v50, v20, 0x5040100
	v_cndmask_b32_e32 v53, 0, v51, vcc_lo
	s_mov_b32 vcc_lo, s2
	v_cndmask_b32_sdwa v51, v116, v51, vcc_lo dst_sel:DWORD dst_unused:UNUSED_PAD src0_sel:DWORD src1_sel:WORD_1
	v_cmp_gt_i32_e32 vcc_lo, s25, v119
	v_perm_b32 v51, v51, v53, 0x5040100
	v_cndmask_b32_e32 v54, 0, v52, vcc_lo
	s_mov_b32 vcc_lo, s1
	v_cndmask_b32_sdwa v52, v116, v52, vcc_lo dst_sel:DWORD dst_unused:UNUSED_PAD src0_sel:DWORD src1_sel:WORD_1
	v_perm_b32 v52, v52, v54, 0x5040100
.LBB187_44:                             ;   in Loop: Header=BB187_29 Depth=1
	s_or_b32 exec_lo, exec_lo, s13
	v_add_co_u32 v19, vcc_lo, 0x1800, v17
	v_add_co_ci_u32_e64 v20, null, 0, v18, vcc_lo
	global_load_dwordx4 v[53:56], v[19:20], off
	s_and_saveexec_b32 s13, s0
	s_cbranch_execnz .LBB187_67
; %bb.45:                               ;   in Loop: Header=BB187_29 Depth=1
	s_or_b32 exec_lo, exec_lo, s13
	global_load_dwordx4 v[57:60], v[19:20], off offset:512
	s_and_saveexec_b32 s13, s0
	s_cbranch_execnz .LBB187_68
.LBB187_46:                             ;   in Loop: Header=BB187_29 Depth=1
	s_or_b32 exec_lo, exec_lo, s13
	global_load_dwordx4 v[61:64], v[19:20], off offset:1024
	s_and_saveexec_b32 s13, s0
	s_cbranch_execnz .LBB187_69
.LBB187_47:                             ;   in Loop: Header=BB187_29 Depth=1
	s_or_b32 exec_lo, exec_lo, s13
	global_load_dwordx4 v[65:68], v[19:20], off offset:1536
	s_and_saveexec_b32 s13, s0
	s_cbranch_execz .LBB187_49
.LBB187_48:                             ;   in Loop: Header=BB187_29 Depth=1
	v_cmp_gt_i32_e64 s1, s25, v117
	v_cmp_gt_i32_e32 vcc_lo, s12, v125
	v_cmp_gt_i32_e64 s2, s25, v123
	s_waitcnt vmcnt(0)
	v_cndmask_b32_e64 v19, 0, v65, s1
	v_cmp_gt_i32_e64 s1, s12, v124
	v_cndmask_b32_sdwa v65, v116, v65, vcc_lo dst_sel:DWORD dst_unused:UNUSED_PAD src0_sel:DWORD src1_sel:WORD_1
	v_cndmask_b32_e64 v20, 0, v66, s2
	v_cmp_gt_i32_e64 s2, s12, v122
	s_mov_b32 vcc_lo, s1
	v_cmp_gt_i32_e64 s1, s12, v120
	v_cndmask_b32_sdwa v66, v116, v66, vcc_lo dst_sel:DWORD dst_unused:UNUSED_PAD src0_sel:DWORD src1_sel:WORD_1
	v_cmp_gt_i32_e32 vcc_lo, s25, v121
	v_perm_b32 v65, v65, v19, 0x5040100
	v_perm_b32 v66, v66, v20, 0x5040100
	v_cndmask_b32_e32 v69, 0, v67, vcc_lo
	s_mov_b32 vcc_lo, s2
	v_cndmask_b32_sdwa v67, v116, v67, vcc_lo dst_sel:DWORD dst_unused:UNUSED_PAD src0_sel:DWORD src1_sel:WORD_1
	v_cmp_gt_i32_e32 vcc_lo, s25, v119
	v_perm_b32 v67, v67, v69, 0x5040100
	v_cndmask_b32_e32 v70, 0, v68, vcc_lo
	s_mov_b32 vcc_lo, s1
	v_cndmask_b32_sdwa v68, v116, v68, vcc_lo dst_sel:DWORD dst_unused:UNUSED_PAD src0_sel:DWORD src1_sel:WORD_1
	v_perm_b32 v68, v68, v70, 0x5040100
.LBB187_49:                             ;   in Loop: Header=BB187_29 Depth=1
	s_or_b32 exec_lo, exec_lo, s13
	v_add_co_u32 v19, vcc_lo, 0x2000, v17
	v_add_co_ci_u32_e64 v20, null, 0, v18, vcc_lo
	global_load_dwordx4 v[69:72], v[19:20], off
	s_and_saveexec_b32 s2, s0
	s_cbranch_execnz .LBB187_70
; %bb.50:                               ;   in Loop: Header=BB187_29 Depth=1
	s_or_b32 exec_lo, exec_lo, s2
	global_load_dwordx4 v[73:76], v[19:20], off offset:512
	s_and_saveexec_b32 s2, s0
	s_cbranch_execnz .LBB187_71
.LBB187_51:                             ;   in Loop: Header=BB187_29 Depth=1
	s_or_b32 exec_lo, exec_lo, s2
	global_load_dwordx4 v[77:80], v[19:20], off offset:1024
	s_and_saveexec_b32 s2, s0
	s_cbranch_execnz .LBB187_72
.LBB187_52:                             ;   in Loop: Header=BB187_29 Depth=1
	s_or_b32 exec_lo, exec_lo, s2
	global_load_dwordx4 v[89:92], v[19:20], off offset:1536
	s_and_saveexec_b32 s2, s0
	s_cbranch_execz .LBB187_54
.LBB187_53:                             ;   in Loop: Header=BB187_29 Depth=1
	v_cmp_gt_i32_e64 s1, s25, v117
	v_cmp_gt_i32_e32 vcc_lo, s12, v125
	s_waitcnt vmcnt(0)
	v_cndmask_b32_e64 v20, 0, v89, s1
	v_cndmask_b32_sdwa v19, v116, v89, vcc_lo dst_sel:DWORD dst_unused:UNUSED_PAD src0_sel:DWORD src1_sel:WORD_1
	v_cmp_gt_i32_e32 vcc_lo, s12, v124
	v_cmp_gt_i32_e64 s1, s25, v123
	v_perm_b32 v89, v19, v20, 0x5040100
	v_cndmask_b32_sdwa v20, v116, v90, vcc_lo dst_sel:DWORD dst_unused:UNUSED_PAD src0_sel:DWORD src1_sel:WORD_1
	v_cndmask_b32_e64 v19, 0, v90, s1
	v_cmp_gt_i32_e32 vcc_lo, s12, v122
	v_cmp_gt_i32_e64 s1, s25, v121
	v_perm_b32 v90, v20, v19, 0x5040100
	v_cndmask_b32_sdwa v20, v116, v91, vcc_lo dst_sel:DWORD dst_unused:UNUSED_PAD src0_sel:DWORD src1_sel:WORD_1
	v_cndmask_b32_e64 v19, 0, v91, s1
	;; [unrolled: 5-line block ×3, first 2 shown]
	v_perm_b32 v92, v20, v19, 0x5040100
.LBB187_54:                             ;   in Loop: Header=BB187_29 Depth=1
	s_or_b32 exec_lo, exec_lo, s2
	v_add_co_u32 v17, vcc_lo, 0x2800, v17
	v_add_co_ci_u32_e64 v18, null, 0, v18, vcc_lo
	global_load_dwordx4 v[93:96], v[17:18], off
	s_and_saveexec_b32 s2, s0
	s_cbranch_execnz .LBB187_73
; %bb.55:                               ;   in Loop: Header=BB187_29 Depth=1
	s_or_b32 exec_lo, exec_lo, s2
	global_load_dwordx4 v[97:100], v[17:18], off offset:512
	s_and_saveexec_b32 s2, s0
	s_cbranch_execnz .LBB187_74
.LBB187_56:                             ;   in Loop: Header=BB187_29 Depth=1
	s_or_b32 exec_lo, exec_lo, s2
	global_load_dwordx4 v[101:104], v[17:18], off offset:1024
	s_and_saveexec_b32 s2, s0
	s_cbranch_execnz .LBB187_75
.LBB187_57:                             ;   in Loop: Header=BB187_29 Depth=1
	s_or_b32 exec_lo, exec_lo, s2
	global_load_dwordx4 v[17:20], v[17:18], off offset:1536
	s_and_saveexec_b32 s2, s0
	s_cbranch_execz .LBB187_28
	s_branch .LBB187_76
.LBB187_58:                             ;   in Loop: Header=BB187_29 Depth=1
	v_cmp_gt_i32_e64 s1, s25, v117
	v_cmp_gt_i32_e32 vcc_lo, s12, v125
	v_cmp_gt_i32_e64 s2, s25, v123
	s_waitcnt vmcnt(0)
	v_cndmask_b32_e64 v5, 0, v1, s1
	v_cmp_gt_i32_e64 s1, s12, v124
	v_cndmask_b32_sdwa v1, v116, v1, vcc_lo dst_sel:DWORD dst_unused:UNUSED_PAD src0_sel:DWORD src1_sel:WORD_1
	v_cndmask_b32_e64 v6, 0, v2, s2
	v_cmp_gt_i32_e64 s2, s12, v122
	s_mov_b32 vcc_lo, s1
	v_cmp_gt_i32_e64 s1, s12, v120
	v_cndmask_b32_sdwa v2, v116, v2, vcc_lo dst_sel:DWORD dst_unused:UNUSED_PAD src0_sel:DWORD src1_sel:WORD_1
	v_cmp_gt_i32_e32 vcc_lo, s25, v121
	v_perm_b32 v1, v1, v5, 0x5040100
	v_perm_b32 v2, v2, v6, 0x5040100
	v_cndmask_b32_e32 v7, 0, v3, vcc_lo
	s_mov_b32 vcc_lo, s2
	v_cndmask_b32_sdwa v3, v116, v3, vcc_lo dst_sel:DWORD dst_unused:UNUSED_PAD src0_sel:DWORD src1_sel:WORD_1
	v_cmp_gt_i32_e32 vcc_lo, s25, v119
	v_perm_b32 v3, v3, v7, 0x5040100
	v_cndmask_b32_e32 v8, 0, v4, vcc_lo
	s_mov_b32 vcc_lo, s1
	v_cndmask_b32_sdwa v4, v116, v4, vcc_lo dst_sel:DWORD dst_unused:UNUSED_PAD src0_sel:DWORD src1_sel:WORD_1
	v_perm_b32 v4, v4, v8, 0x5040100
	s_or_b32 exec_lo, exec_lo, s13
	global_load_dwordx4 v[5:8], v[17:18], off offset:512
	s_and_saveexec_b32 s13, s0
	s_cbranch_execz .LBB187_31
.LBB187_59:                             ;   in Loop: Header=BB187_29 Depth=1
	v_cmp_gt_i32_e64 s1, s25, v117
	v_cmp_gt_i32_e32 vcc_lo, s12, v125
	v_cmp_gt_i32_e64 s2, s25, v123
	s_waitcnt vmcnt(0)
	v_cndmask_b32_e64 v9, 0, v5, s1
	v_cmp_gt_i32_e64 s1, s12, v124
	v_cndmask_b32_sdwa v5, v116, v5, vcc_lo dst_sel:DWORD dst_unused:UNUSED_PAD src0_sel:DWORD src1_sel:WORD_1
	v_cndmask_b32_e64 v10, 0, v6, s2
	v_cmp_gt_i32_e64 s2, s12, v122
	s_mov_b32 vcc_lo, s1
	v_cmp_gt_i32_e64 s1, s12, v120
	v_cndmask_b32_sdwa v6, v116, v6, vcc_lo dst_sel:DWORD dst_unused:UNUSED_PAD src0_sel:DWORD src1_sel:WORD_1
	v_cmp_gt_i32_e32 vcc_lo, s25, v121
	v_perm_b32 v5, v5, v9, 0x5040100
	v_perm_b32 v6, v6, v10, 0x5040100
	v_cndmask_b32_e32 v11, 0, v7, vcc_lo
	s_mov_b32 vcc_lo, s2
	v_cndmask_b32_sdwa v7, v116, v7, vcc_lo dst_sel:DWORD dst_unused:UNUSED_PAD src0_sel:DWORD src1_sel:WORD_1
	v_cmp_gt_i32_e32 vcc_lo, s25, v119
	v_perm_b32 v7, v7, v11, 0x5040100
	v_cndmask_b32_e32 v12, 0, v8, vcc_lo
	s_mov_b32 vcc_lo, s1
	v_cndmask_b32_sdwa v8, v116, v8, vcc_lo dst_sel:DWORD dst_unused:UNUSED_PAD src0_sel:DWORD src1_sel:WORD_1
	v_perm_b32 v8, v8, v12, 0x5040100
	s_or_b32 exec_lo, exec_lo, s13
	global_load_dwordx4 v[9:12], v[17:18], off offset:1024
	s_and_saveexec_b32 s13, s0
	s_cbranch_execz .LBB187_32
.LBB187_60:                             ;   in Loop: Header=BB187_29 Depth=1
	v_cmp_gt_i32_e64 s1, s25, v117
	v_cmp_gt_i32_e32 vcc_lo, s12, v125
	v_cmp_gt_i32_e64 s2, s25, v123
	s_waitcnt vmcnt(0)
	v_cndmask_b32_e64 v13, 0, v9, s1
	v_cmp_gt_i32_e64 s1, s12, v124
	v_cndmask_b32_sdwa v9, v116, v9, vcc_lo dst_sel:DWORD dst_unused:UNUSED_PAD src0_sel:DWORD src1_sel:WORD_1
	v_cndmask_b32_e64 v14, 0, v10, s2
	v_cmp_gt_i32_e64 s2, s12, v122
	s_mov_b32 vcc_lo, s1
	v_cmp_gt_i32_e64 s1, s12, v120
	v_cndmask_b32_sdwa v10, v116, v10, vcc_lo dst_sel:DWORD dst_unused:UNUSED_PAD src0_sel:DWORD src1_sel:WORD_1
	v_cmp_gt_i32_e32 vcc_lo, s25, v121
	v_perm_b32 v9, v9, v13, 0x5040100
	v_perm_b32 v10, v10, v14, 0x5040100
	v_cndmask_b32_e32 v15, 0, v11, vcc_lo
	s_mov_b32 vcc_lo, s2
	v_cndmask_b32_sdwa v11, v116, v11, vcc_lo dst_sel:DWORD dst_unused:UNUSED_PAD src0_sel:DWORD src1_sel:WORD_1
	v_cmp_gt_i32_e32 vcc_lo, s25, v119
	v_perm_b32 v11, v11, v15, 0x5040100
	v_cndmask_b32_e32 v16, 0, v12, vcc_lo
	s_mov_b32 vcc_lo, s1
	v_cndmask_b32_sdwa v12, v116, v12, vcc_lo dst_sel:DWORD dst_unused:UNUSED_PAD src0_sel:DWORD src1_sel:WORD_1
	v_perm_b32 v12, v12, v16, 0x5040100
	s_or_b32 exec_lo, exec_lo, s13
	global_load_dwordx4 v[13:16], v[17:18], off offset:1536
	s_and_saveexec_b32 s13, s0
	s_cbranch_execnz .LBB187_33
	s_branch .LBB187_34
.LBB187_61:                             ;   in Loop: Header=BB187_29 Depth=1
	v_cmp_gt_i32_e64 s1, s25, v117
	v_cmp_gt_i32_e32 vcc_lo, s12, v125
	v_cmp_gt_i32_e64 s2, s25, v123
	s_waitcnt vmcnt(0)
	v_cndmask_b32_e64 v25, 0, v21, s1
	v_cmp_gt_i32_e64 s1, s12, v124
	v_cndmask_b32_sdwa v21, v116, v21, vcc_lo dst_sel:DWORD dst_unused:UNUSED_PAD src0_sel:DWORD src1_sel:WORD_1
	v_cndmask_b32_e64 v26, 0, v22, s2
	v_cmp_gt_i32_e64 s2, s12, v122
	s_mov_b32 vcc_lo, s1
	v_cmp_gt_i32_e64 s1, s12, v120
	v_cndmask_b32_sdwa v22, v116, v22, vcc_lo dst_sel:DWORD dst_unused:UNUSED_PAD src0_sel:DWORD src1_sel:WORD_1
	v_cmp_gt_i32_e32 vcc_lo, s25, v121
	v_perm_b32 v21, v21, v25, 0x5040100
	v_perm_b32 v22, v22, v26, 0x5040100
	v_cndmask_b32_e32 v27, 0, v23, vcc_lo
	s_mov_b32 vcc_lo, s2
	v_cndmask_b32_sdwa v23, v116, v23, vcc_lo dst_sel:DWORD dst_unused:UNUSED_PAD src0_sel:DWORD src1_sel:WORD_1
	v_cmp_gt_i32_e32 vcc_lo, s25, v119
	v_perm_b32 v23, v23, v27, 0x5040100
	v_cndmask_b32_e32 v28, 0, v24, vcc_lo
	s_mov_b32 vcc_lo, s1
	v_cndmask_b32_sdwa v24, v116, v24, vcc_lo dst_sel:DWORD dst_unused:UNUSED_PAD src0_sel:DWORD src1_sel:WORD_1
	v_perm_b32 v24, v24, v28, 0x5040100
	s_or_b32 exec_lo, exec_lo, s13
	global_load_dwordx4 v[25:28], v[19:20], off offset:512
	s_and_saveexec_b32 s13, s0
	s_cbranch_execz .LBB187_36
.LBB187_62:                             ;   in Loop: Header=BB187_29 Depth=1
	v_cmp_gt_i32_e64 s1, s25, v117
	v_cmp_gt_i32_e32 vcc_lo, s12, v125
	v_cmp_gt_i32_e64 s2, s25, v123
	s_waitcnt vmcnt(0)
	v_cndmask_b32_e64 v29, 0, v25, s1
	v_cmp_gt_i32_e64 s1, s12, v124
	v_cndmask_b32_sdwa v25, v116, v25, vcc_lo dst_sel:DWORD dst_unused:UNUSED_PAD src0_sel:DWORD src1_sel:WORD_1
	v_cndmask_b32_e64 v30, 0, v26, s2
	v_cmp_gt_i32_e64 s2, s12, v122
	s_mov_b32 vcc_lo, s1
	v_cmp_gt_i32_e64 s1, s12, v120
	v_cndmask_b32_sdwa v26, v116, v26, vcc_lo dst_sel:DWORD dst_unused:UNUSED_PAD src0_sel:DWORD src1_sel:WORD_1
	v_cmp_gt_i32_e32 vcc_lo, s25, v121
	v_perm_b32 v25, v25, v29, 0x5040100
	v_perm_b32 v26, v26, v30, 0x5040100
	v_cndmask_b32_e32 v31, 0, v27, vcc_lo
	s_mov_b32 vcc_lo, s2
	v_cndmask_b32_sdwa v27, v116, v27, vcc_lo dst_sel:DWORD dst_unused:UNUSED_PAD src0_sel:DWORD src1_sel:WORD_1
	v_cmp_gt_i32_e32 vcc_lo, s25, v119
	v_perm_b32 v27, v27, v31, 0x5040100
	v_cndmask_b32_e32 v32, 0, v28, vcc_lo
	s_mov_b32 vcc_lo, s1
	v_cndmask_b32_sdwa v28, v116, v28, vcc_lo dst_sel:DWORD dst_unused:UNUSED_PAD src0_sel:DWORD src1_sel:WORD_1
	v_perm_b32 v28, v28, v32, 0x5040100
	s_or_b32 exec_lo, exec_lo, s13
	global_load_dwordx4 v[29:32], v[19:20], off offset:1024
	s_and_saveexec_b32 s13, s0
	s_cbranch_execz .LBB187_37
.LBB187_63:                             ;   in Loop: Header=BB187_29 Depth=1
	v_cmp_gt_i32_e64 s1, s25, v117
	v_cmp_gt_i32_e32 vcc_lo, s12, v125
	v_cmp_gt_i32_e64 s2, s25, v123
	s_waitcnt vmcnt(0)
	v_cndmask_b32_e64 v33, 0, v29, s1
	v_cmp_gt_i32_e64 s1, s12, v124
	v_cndmask_b32_sdwa v29, v116, v29, vcc_lo dst_sel:DWORD dst_unused:UNUSED_PAD src0_sel:DWORD src1_sel:WORD_1
	v_cndmask_b32_e64 v34, 0, v30, s2
	v_cmp_gt_i32_e64 s2, s12, v122
	s_mov_b32 vcc_lo, s1
	v_cmp_gt_i32_e64 s1, s12, v120
	v_cndmask_b32_sdwa v30, v116, v30, vcc_lo dst_sel:DWORD dst_unused:UNUSED_PAD src0_sel:DWORD src1_sel:WORD_1
	v_cmp_gt_i32_e32 vcc_lo, s25, v121
	v_perm_b32 v29, v29, v33, 0x5040100
	v_perm_b32 v30, v30, v34, 0x5040100
	v_cndmask_b32_e32 v35, 0, v31, vcc_lo
	s_mov_b32 vcc_lo, s2
	v_cndmask_b32_sdwa v31, v116, v31, vcc_lo dst_sel:DWORD dst_unused:UNUSED_PAD src0_sel:DWORD src1_sel:WORD_1
	v_cmp_gt_i32_e32 vcc_lo, s25, v119
	v_perm_b32 v31, v31, v35, 0x5040100
	v_cndmask_b32_e32 v36, 0, v32, vcc_lo
	s_mov_b32 vcc_lo, s1
	v_cndmask_b32_sdwa v32, v116, v32, vcc_lo dst_sel:DWORD dst_unused:UNUSED_PAD src0_sel:DWORD src1_sel:WORD_1
	v_perm_b32 v32, v32, v36, 0x5040100
	s_or_b32 exec_lo, exec_lo, s13
	global_load_dwordx4 v[33:36], v[19:20], off offset:1536
	s_and_saveexec_b32 s13, s0
	s_cbranch_execnz .LBB187_38
	s_branch .LBB187_39
.LBB187_64:                             ;   in Loop: Header=BB187_29 Depth=1
	v_cmp_gt_i32_e64 s1, s25, v117
	v_cmp_gt_i32_e32 vcc_lo, s12, v125
	v_cmp_gt_i32_e64 s2, s25, v123
	s_waitcnt vmcnt(0)
	v_cndmask_b32_e64 v41, 0, v37, s1
	v_cmp_gt_i32_e64 s1, s12, v124
	v_cndmask_b32_sdwa v37, v116, v37, vcc_lo dst_sel:DWORD dst_unused:UNUSED_PAD src0_sel:DWORD src1_sel:WORD_1
	v_cndmask_b32_e64 v42, 0, v38, s2
	v_cmp_gt_i32_e64 s2, s12, v122
	s_mov_b32 vcc_lo, s1
	v_cmp_gt_i32_e64 s1, s12, v120
	v_cndmask_b32_sdwa v38, v116, v38, vcc_lo dst_sel:DWORD dst_unused:UNUSED_PAD src0_sel:DWORD src1_sel:WORD_1
	v_cmp_gt_i32_e32 vcc_lo, s25, v121
	v_perm_b32 v37, v37, v41, 0x5040100
	v_perm_b32 v38, v38, v42, 0x5040100
	v_cndmask_b32_e32 v43, 0, v39, vcc_lo
	s_mov_b32 vcc_lo, s2
	v_cndmask_b32_sdwa v39, v116, v39, vcc_lo dst_sel:DWORD dst_unused:UNUSED_PAD src0_sel:DWORD src1_sel:WORD_1
	v_cmp_gt_i32_e32 vcc_lo, s25, v119
	v_perm_b32 v39, v39, v43, 0x5040100
	v_cndmask_b32_e32 v44, 0, v40, vcc_lo
	s_mov_b32 vcc_lo, s1
	v_cndmask_b32_sdwa v40, v116, v40, vcc_lo dst_sel:DWORD dst_unused:UNUSED_PAD src0_sel:DWORD src1_sel:WORD_1
	v_perm_b32 v40, v40, v44, 0x5040100
	s_or_b32 exec_lo, exec_lo, s13
	global_load_dwordx4 v[41:44], v[19:20], off offset:512
	s_and_saveexec_b32 s13, s0
	s_cbranch_execz .LBB187_41
.LBB187_65:                             ;   in Loop: Header=BB187_29 Depth=1
	v_cmp_gt_i32_e64 s1, s25, v117
	v_cmp_gt_i32_e32 vcc_lo, s12, v125
	v_cmp_gt_i32_e64 s2, s25, v123
	s_waitcnt vmcnt(0)
	v_cndmask_b32_e64 v45, 0, v41, s1
	v_cmp_gt_i32_e64 s1, s12, v124
	v_cndmask_b32_sdwa v41, v116, v41, vcc_lo dst_sel:DWORD dst_unused:UNUSED_PAD src0_sel:DWORD src1_sel:WORD_1
	v_cndmask_b32_e64 v46, 0, v42, s2
	v_cmp_gt_i32_e64 s2, s12, v122
	s_mov_b32 vcc_lo, s1
	v_cmp_gt_i32_e64 s1, s12, v120
	v_cndmask_b32_sdwa v42, v116, v42, vcc_lo dst_sel:DWORD dst_unused:UNUSED_PAD src0_sel:DWORD src1_sel:WORD_1
	v_cmp_gt_i32_e32 vcc_lo, s25, v121
	v_perm_b32 v41, v41, v45, 0x5040100
	v_perm_b32 v42, v42, v46, 0x5040100
	v_cndmask_b32_e32 v47, 0, v43, vcc_lo
	s_mov_b32 vcc_lo, s2
	v_cndmask_b32_sdwa v43, v116, v43, vcc_lo dst_sel:DWORD dst_unused:UNUSED_PAD src0_sel:DWORD src1_sel:WORD_1
	v_cmp_gt_i32_e32 vcc_lo, s25, v119
	v_perm_b32 v43, v43, v47, 0x5040100
	v_cndmask_b32_e32 v48, 0, v44, vcc_lo
	s_mov_b32 vcc_lo, s1
	v_cndmask_b32_sdwa v44, v116, v44, vcc_lo dst_sel:DWORD dst_unused:UNUSED_PAD src0_sel:DWORD src1_sel:WORD_1
	v_perm_b32 v44, v44, v48, 0x5040100
	s_or_b32 exec_lo, exec_lo, s13
	global_load_dwordx4 v[45:48], v[19:20], off offset:1024
	s_and_saveexec_b32 s13, s0
	s_cbranch_execz .LBB187_42
.LBB187_66:                             ;   in Loop: Header=BB187_29 Depth=1
	v_cmp_gt_i32_e64 s1, s25, v117
	v_cmp_gt_i32_e32 vcc_lo, s12, v125
	v_cmp_gt_i32_e64 s2, s25, v123
	s_waitcnt vmcnt(0)
	v_cndmask_b32_e64 v49, 0, v45, s1
	v_cmp_gt_i32_e64 s1, s12, v124
	v_cndmask_b32_sdwa v45, v116, v45, vcc_lo dst_sel:DWORD dst_unused:UNUSED_PAD src0_sel:DWORD src1_sel:WORD_1
	v_cndmask_b32_e64 v50, 0, v46, s2
	v_cmp_gt_i32_e64 s2, s12, v122
	s_mov_b32 vcc_lo, s1
	v_cmp_gt_i32_e64 s1, s12, v120
	v_cndmask_b32_sdwa v46, v116, v46, vcc_lo dst_sel:DWORD dst_unused:UNUSED_PAD src0_sel:DWORD src1_sel:WORD_1
	v_cmp_gt_i32_e32 vcc_lo, s25, v121
	v_perm_b32 v45, v45, v49, 0x5040100
	v_perm_b32 v46, v46, v50, 0x5040100
	v_cndmask_b32_e32 v51, 0, v47, vcc_lo
	s_mov_b32 vcc_lo, s2
	v_cndmask_b32_sdwa v47, v116, v47, vcc_lo dst_sel:DWORD dst_unused:UNUSED_PAD src0_sel:DWORD src1_sel:WORD_1
	v_cmp_gt_i32_e32 vcc_lo, s25, v119
	v_perm_b32 v47, v47, v51, 0x5040100
	v_cndmask_b32_e32 v52, 0, v48, vcc_lo
	s_mov_b32 vcc_lo, s1
	v_cndmask_b32_sdwa v48, v116, v48, vcc_lo dst_sel:DWORD dst_unused:UNUSED_PAD src0_sel:DWORD src1_sel:WORD_1
	v_perm_b32 v48, v48, v52, 0x5040100
	s_or_b32 exec_lo, exec_lo, s13
	global_load_dwordx4 v[49:52], v[19:20], off offset:1536
	s_and_saveexec_b32 s13, s0
	s_cbranch_execnz .LBB187_43
	s_branch .LBB187_44
.LBB187_67:                             ;   in Loop: Header=BB187_29 Depth=1
	v_cmp_gt_i32_e64 s1, s25, v117
	v_cmp_gt_i32_e32 vcc_lo, s12, v125
	v_cmp_gt_i32_e64 s2, s25, v123
	s_waitcnt vmcnt(0)
	v_cndmask_b32_e64 v57, 0, v53, s1
	v_cmp_gt_i32_e64 s1, s12, v124
	v_cndmask_b32_sdwa v53, v116, v53, vcc_lo dst_sel:DWORD dst_unused:UNUSED_PAD src0_sel:DWORD src1_sel:WORD_1
	v_cndmask_b32_e64 v58, 0, v54, s2
	v_cmp_gt_i32_e64 s2, s12, v122
	s_mov_b32 vcc_lo, s1
	v_cmp_gt_i32_e64 s1, s12, v120
	v_cndmask_b32_sdwa v54, v116, v54, vcc_lo dst_sel:DWORD dst_unused:UNUSED_PAD src0_sel:DWORD src1_sel:WORD_1
	v_cmp_gt_i32_e32 vcc_lo, s25, v121
	v_perm_b32 v53, v53, v57, 0x5040100
	v_perm_b32 v54, v54, v58, 0x5040100
	v_cndmask_b32_e32 v59, 0, v55, vcc_lo
	s_mov_b32 vcc_lo, s2
	v_cndmask_b32_sdwa v55, v116, v55, vcc_lo dst_sel:DWORD dst_unused:UNUSED_PAD src0_sel:DWORD src1_sel:WORD_1
	v_cmp_gt_i32_e32 vcc_lo, s25, v119
	v_perm_b32 v55, v55, v59, 0x5040100
	v_cndmask_b32_e32 v60, 0, v56, vcc_lo
	s_mov_b32 vcc_lo, s1
	v_cndmask_b32_sdwa v56, v116, v56, vcc_lo dst_sel:DWORD dst_unused:UNUSED_PAD src0_sel:DWORD src1_sel:WORD_1
	v_perm_b32 v56, v56, v60, 0x5040100
	s_or_b32 exec_lo, exec_lo, s13
	global_load_dwordx4 v[57:60], v[19:20], off offset:512
	s_and_saveexec_b32 s13, s0
	s_cbranch_execz .LBB187_46
.LBB187_68:                             ;   in Loop: Header=BB187_29 Depth=1
	v_cmp_gt_i32_e64 s1, s25, v117
	v_cmp_gt_i32_e32 vcc_lo, s12, v125
	v_cmp_gt_i32_e64 s2, s25, v123
	s_waitcnt vmcnt(0)
	v_cndmask_b32_e64 v61, 0, v57, s1
	v_cmp_gt_i32_e64 s1, s12, v124
	v_cndmask_b32_sdwa v57, v116, v57, vcc_lo dst_sel:DWORD dst_unused:UNUSED_PAD src0_sel:DWORD src1_sel:WORD_1
	v_cndmask_b32_e64 v62, 0, v58, s2
	v_cmp_gt_i32_e64 s2, s12, v122
	s_mov_b32 vcc_lo, s1
	v_cmp_gt_i32_e64 s1, s12, v120
	v_cndmask_b32_sdwa v58, v116, v58, vcc_lo dst_sel:DWORD dst_unused:UNUSED_PAD src0_sel:DWORD src1_sel:WORD_1
	v_cmp_gt_i32_e32 vcc_lo, s25, v121
	v_perm_b32 v57, v57, v61, 0x5040100
	v_perm_b32 v58, v58, v62, 0x5040100
	v_cndmask_b32_e32 v63, 0, v59, vcc_lo
	s_mov_b32 vcc_lo, s2
	v_cndmask_b32_sdwa v59, v116, v59, vcc_lo dst_sel:DWORD dst_unused:UNUSED_PAD src0_sel:DWORD src1_sel:WORD_1
	v_cmp_gt_i32_e32 vcc_lo, s25, v119
	v_perm_b32 v59, v59, v63, 0x5040100
	v_cndmask_b32_e32 v64, 0, v60, vcc_lo
	s_mov_b32 vcc_lo, s1
	v_cndmask_b32_sdwa v60, v116, v60, vcc_lo dst_sel:DWORD dst_unused:UNUSED_PAD src0_sel:DWORD src1_sel:WORD_1
	v_perm_b32 v60, v60, v64, 0x5040100
	s_or_b32 exec_lo, exec_lo, s13
	global_load_dwordx4 v[61:64], v[19:20], off offset:1024
	s_and_saveexec_b32 s13, s0
	s_cbranch_execz .LBB187_47
.LBB187_69:                             ;   in Loop: Header=BB187_29 Depth=1
	v_cmp_gt_i32_e64 s1, s25, v117
	v_cmp_gt_i32_e32 vcc_lo, s12, v125
	v_cmp_gt_i32_e64 s2, s25, v123
	s_waitcnt vmcnt(0)
	v_cndmask_b32_e64 v65, 0, v61, s1
	v_cmp_gt_i32_e64 s1, s12, v124
	v_cndmask_b32_sdwa v61, v116, v61, vcc_lo dst_sel:DWORD dst_unused:UNUSED_PAD src0_sel:DWORD src1_sel:WORD_1
	v_cndmask_b32_e64 v66, 0, v62, s2
	v_cmp_gt_i32_e64 s2, s12, v122
	s_mov_b32 vcc_lo, s1
	v_cmp_gt_i32_e64 s1, s12, v120
	v_cndmask_b32_sdwa v62, v116, v62, vcc_lo dst_sel:DWORD dst_unused:UNUSED_PAD src0_sel:DWORD src1_sel:WORD_1
	v_cmp_gt_i32_e32 vcc_lo, s25, v121
	v_perm_b32 v61, v61, v65, 0x5040100
	v_perm_b32 v62, v62, v66, 0x5040100
	v_cndmask_b32_e32 v67, 0, v63, vcc_lo
	s_mov_b32 vcc_lo, s2
	v_cndmask_b32_sdwa v63, v116, v63, vcc_lo dst_sel:DWORD dst_unused:UNUSED_PAD src0_sel:DWORD src1_sel:WORD_1
	v_cmp_gt_i32_e32 vcc_lo, s25, v119
	v_perm_b32 v63, v63, v67, 0x5040100
	v_cndmask_b32_e32 v68, 0, v64, vcc_lo
	s_mov_b32 vcc_lo, s1
	v_cndmask_b32_sdwa v64, v116, v64, vcc_lo dst_sel:DWORD dst_unused:UNUSED_PAD src0_sel:DWORD src1_sel:WORD_1
	v_perm_b32 v64, v64, v68, 0x5040100
	s_or_b32 exec_lo, exec_lo, s13
	global_load_dwordx4 v[65:68], v[19:20], off offset:1536
	s_and_saveexec_b32 s13, s0
	s_cbranch_execnz .LBB187_48
	s_branch .LBB187_49
.LBB187_70:                             ;   in Loop: Header=BB187_29 Depth=1
	v_cmp_gt_i32_e64 s1, s25, v117
	v_cmp_gt_i32_e32 vcc_lo, s12, v125
	s_waitcnt vmcnt(0)
	v_cndmask_b32_sdwa v73, v116, v69, vcc_lo dst_sel:DWORD dst_unused:UNUSED_PAD src0_sel:DWORD src1_sel:WORD_1
	v_cndmask_b32_e64 v69, 0, v69, s1
	v_cmp_gt_i32_e32 vcc_lo, s12, v124
	v_cmp_gt_i32_e64 s1, s25, v123
	v_perm_b32 v69, v73, v69, 0x5040100
	v_cndmask_b32_e64 v73, 0, v70, s1
	v_cndmask_b32_sdwa v70, v116, v70, vcc_lo dst_sel:DWORD dst_unused:UNUSED_PAD src0_sel:DWORD src1_sel:WORD_1
	v_cmp_gt_i32_e32 vcc_lo, s12, v122
	v_cmp_gt_i32_e64 s1, s25, v121
	v_perm_b32 v70, v70, v73, 0x5040100
	v_cndmask_b32_e64 v73, 0, v71, s1
	v_cndmask_b32_sdwa v71, v116, v71, vcc_lo dst_sel:DWORD dst_unused:UNUSED_PAD src0_sel:DWORD src1_sel:WORD_1
	;; [unrolled: 5-line block ×3, first 2 shown]
	v_perm_b32 v72, v72, v73, 0x5040100
	s_or_b32 exec_lo, exec_lo, s2
	global_load_dwordx4 v[73:76], v[19:20], off offset:512
	s_and_saveexec_b32 s2, s0
	s_cbranch_execz .LBB187_51
.LBB187_71:                             ;   in Loop: Header=BB187_29 Depth=1
	v_cmp_gt_i32_e64 s1, s25, v117
	v_cmp_gt_i32_e32 vcc_lo, s12, v125
	s_waitcnt vmcnt(0)
	v_cndmask_b32_sdwa v77, v116, v73, vcc_lo dst_sel:DWORD dst_unused:UNUSED_PAD src0_sel:DWORD src1_sel:WORD_1
	v_cndmask_b32_e64 v73, 0, v73, s1
	v_cmp_gt_i32_e32 vcc_lo, s12, v124
	v_cmp_gt_i32_e64 s1, s25, v123
	v_perm_b32 v73, v77, v73, 0x5040100
	v_cndmask_b32_e64 v77, 0, v74, s1
	v_cndmask_b32_sdwa v74, v116, v74, vcc_lo dst_sel:DWORD dst_unused:UNUSED_PAD src0_sel:DWORD src1_sel:WORD_1
	v_cmp_gt_i32_e32 vcc_lo, s12, v122
	v_cmp_gt_i32_e64 s1, s25, v121
	v_perm_b32 v74, v74, v77, 0x5040100
	v_cndmask_b32_e64 v77, 0, v75, s1
	v_cndmask_b32_sdwa v75, v116, v75, vcc_lo dst_sel:DWORD dst_unused:UNUSED_PAD src0_sel:DWORD src1_sel:WORD_1
	;; [unrolled: 5-line block ×3, first 2 shown]
	v_perm_b32 v76, v76, v77, 0x5040100
	s_or_b32 exec_lo, exec_lo, s2
	global_load_dwordx4 v[77:80], v[19:20], off offset:1024
	s_and_saveexec_b32 s2, s0
	s_cbranch_execz .LBB187_52
.LBB187_72:                             ;   in Loop: Header=BB187_29 Depth=1
	v_cmp_gt_i32_e64 s1, s25, v117
	v_cmp_gt_i32_e32 vcc_lo, s12, v125
	s_waitcnt vmcnt(0)
	v_cndmask_b32_sdwa v89, v116, v77, vcc_lo dst_sel:DWORD dst_unused:UNUSED_PAD src0_sel:DWORD src1_sel:WORD_1
	v_cndmask_b32_e64 v77, 0, v77, s1
	v_cmp_gt_i32_e32 vcc_lo, s12, v124
	v_cmp_gt_i32_e64 s1, s25, v123
	v_perm_b32 v77, v89, v77, 0x5040100
	v_cndmask_b32_e64 v89, 0, v78, s1
	v_cndmask_b32_sdwa v78, v116, v78, vcc_lo dst_sel:DWORD dst_unused:UNUSED_PAD src0_sel:DWORD src1_sel:WORD_1
	v_cmp_gt_i32_e32 vcc_lo, s12, v122
	v_cmp_gt_i32_e64 s1, s25, v121
	v_perm_b32 v78, v78, v89, 0x5040100
	v_cndmask_b32_e64 v89, 0, v79, s1
	v_cndmask_b32_sdwa v79, v116, v79, vcc_lo dst_sel:DWORD dst_unused:UNUSED_PAD src0_sel:DWORD src1_sel:WORD_1
	;; [unrolled: 5-line block ×3, first 2 shown]
	v_perm_b32 v80, v80, v89, 0x5040100
	s_or_b32 exec_lo, exec_lo, s2
	global_load_dwordx4 v[89:92], v[19:20], off offset:1536
	s_and_saveexec_b32 s2, s0
	s_cbranch_execnz .LBB187_53
	s_branch .LBB187_54
.LBB187_73:                             ;   in Loop: Header=BB187_29 Depth=1
	v_cmp_gt_i32_e64 s1, s25, v117
	v_cmp_gt_i32_e32 vcc_lo, s12, v125
	s_waitcnt vmcnt(0)
	v_cndmask_b32_e64 v20, 0, v93, s1
	v_cndmask_b32_sdwa v19, v116, v93, vcc_lo dst_sel:DWORD dst_unused:UNUSED_PAD src0_sel:DWORD src1_sel:WORD_1
	v_cmp_gt_i32_e32 vcc_lo, s12, v124
	v_cmp_gt_i32_e64 s1, s25, v123
	v_perm_b32 v93, v19, v20, 0x5040100
	v_cndmask_b32_sdwa v20, v116, v94, vcc_lo dst_sel:DWORD dst_unused:UNUSED_PAD src0_sel:DWORD src1_sel:WORD_1
	v_cndmask_b32_e64 v19, 0, v94, s1
	v_cmp_gt_i32_e32 vcc_lo, s12, v122
	v_cmp_gt_i32_e64 s1, s25, v121
	v_perm_b32 v94, v20, v19, 0x5040100
	v_cndmask_b32_sdwa v20, v116, v95, vcc_lo dst_sel:DWORD dst_unused:UNUSED_PAD src0_sel:DWORD src1_sel:WORD_1
	v_cndmask_b32_e64 v19, 0, v95, s1
	;; [unrolled: 5-line block ×3, first 2 shown]
	v_perm_b32 v96, v20, v19, 0x5040100
	s_or_b32 exec_lo, exec_lo, s2
	global_load_dwordx4 v[97:100], v[17:18], off offset:512
	s_and_saveexec_b32 s2, s0
	s_cbranch_execz .LBB187_56
.LBB187_74:                             ;   in Loop: Header=BB187_29 Depth=1
	v_cmp_gt_i32_e64 s1, s25, v117
	v_cmp_gt_i32_e32 vcc_lo, s12, v125
	s_waitcnt vmcnt(0)
	v_cndmask_b32_e64 v20, 0, v97, s1
	v_cndmask_b32_sdwa v19, v116, v97, vcc_lo dst_sel:DWORD dst_unused:UNUSED_PAD src0_sel:DWORD src1_sel:WORD_1
	v_cmp_gt_i32_e32 vcc_lo, s12, v124
	v_cmp_gt_i32_e64 s1, s25, v123
	v_perm_b32 v97, v19, v20, 0x5040100
	v_cndmask_b32_sdwa v20, v116, v98, vcc_lo dst_sel:DWORD dst_unused:UNUSED_PAD src0_sel:DWORD src1_sel:WORD_1
	v_cndmask_b32_e64 v19, 0, v98, s1
	v_cmp_gt_i32_e32 vcc_lo, s12, v122
	v_cmp_gt_i32_e64 s1, s25, v121
	v_perm_b32 v98, v20, v19, 0x5040100
	v_cndmask_b32_sdwa v20, v116, v99, vcc_lo dst_sel:DWORD dst_unused:UNUSED_PAD src0_sel:DWORD src1_sel:WORD_1
	v_cndmask_b32_e64 v19, 0, v99, s1
	;; [unrolled: 5-line block ×3, first 2 shown]
	v_perm_b32 v100, v20, v19, 0x5040100
	s_or_b32 exec_lo, exec_lo, s2
	global_load_dwordx4 v[101:104], v[17:18], off offset:1024
	s_and_saveexec_b32 s2, s0
	s_cbranch_execz .LBB187_57
.LBB187_75:                             ;   in Loop: Header=BB187_29 Depth=1
	v_cmp_gt_i32_e64 s1, s25, v117
	v_cmp_gt_i32_e32 vcc_lo, s12, v125
	s_waitcnt vmcnt(0)
	v_cndmask_b32_e64 v20, 0, v101, s1
	v_cndmask_b32_sdwa v19, v116, v101, vcc_lo dst_sel:DWORD dst_unused:UNUSED_PAD src0_sel:DWORD src1_sel:WORD_1
	v_cmp_gt_i32_e32 vcc_lo, s12, v124
	v_cmp_gt_i32_e64 s1, s25, v123
	v_perm_b32 v101, v19, v20, 0x5040100
	v_cndmask_b32_sdwa v20, v116, v102, vcc_lo dst_sel:DWORD dst_unused:UNUSED_PAD src0_sel:DWORD src1_sel:WORD_1
	v_cndmask_b32_e64 v19, 0, v102, s1
	v_cmp_gt_i32_e32 vcc_lo, s12, v122
	v_cmp_gt_i32_e64 s1, s25, v121
	v_perm_b32 v102, v20, v19, 0x5040100
	v_cndmask_b32_sdwa v20, v116, v103, vcc_lo dst_sel:DWORD dst_unused:UNUSED_PAD src0_sel:DWORD src1_sel:WORD_1
	v_cndmask_b32_e64 v19, 0, v103, s1
	;; [unrolled: 5-line block ×3, first 2 shown]
	v_perm_b32 v104, v20, v19, 0x5040100
	s_or_b32 exec_lo, exec_lo, s2
	global_load_dwordx4 v[17:20], v[17:18], off offset:1536
	s_and_saveexec_b32 s2, s0
	s_cbranch_execz .LBB187_28
.LBB187_76:                             ;   in Loop: Header=BB187_29 Depth=1
	v_cmp_gt_i32_e64 s0, s25, v117
	v_cmp_gt_i32_e32 vcc_lo, s12, v125
	v_cmp_gt_i32_e64 s1, s25, v123
	s_waitcnt vmcnt(0)
	v_cndmask_b32_e64 v125, 0, v17, s0
	v_cmp_gt_i32_e64 s0, s12, v124
	v_cndmask_b32_sdwa v17, v116, v17, vcc_lo dst_sel:DWORD dst_unused:UNUSED_PAD src0_sel:DWORD src1_sel:WORD_1
	v_cndmask_b32_e64 v123, 0, v18, s1
	v_cmp_gt_i32_e64 s1, s12, v122
	s_mov_b32 vcc_lo, s0
	v_cmp_gt_i32_e64 s0, s12, v120
	v_cndmask_b32_sdwa v18, v116, v18, vcc_lo dst_sel:DWORD dst_unused:UNUSED_PAD src0_sel:DWORD src1_sel:WORD_1
	v_cmp_gt_i32_e32 vcc_lo, s25, v121
	v_perm_b32 v17, v17, v125, 0x5040100
	v_perm_b32 v18, v18, v123, 0x5040100
	v_cndmask_b32_e32 v121, 0, v19, vcc_lo
	s_mov_b32 vcc_lo, s1
	v_cndmask_b32_sdwa v19, v116, v19, vcc_lo dst_sel:DWORD dst_unused:UNUSED_PAD src0_sel:DWORD src1_sel:WORD_1
	v_cmp_gt_i32_e32 vcc_lo, s25, v119
	v_perm_b32 v19, v19, v121, 0x5040100
	v_cndmask_b32_e32 v119, 0, v20, vcc_lo
	s_mov_b32 vcc_lo, s0
	v_cndmask_b32_sdwa v20, v116, v20, vcc_lo dst_sel:DWORD dst_unused:UNUSED_PAD src0_sel:DWORD src1_sel:WORD_1
	v_perm_b32 v20, v20, v119, 0x5040100
	s_branch .LBB187_28
.LBB187_77:
	s_or_b32 exec_lo, exec_lo, s9
	s_clause 0x5
	buffer_load_dword v51, off, s[40:43], 0 offset:564
	buffer_load_dword v76, off, s[40:43], 0 offset:568
	;; [unrolled: 1-line block ×6, first 2 shown]
.LBB187_78:
	s_or_b32 exec_lo, exec_lo, s3
	s_waitcnt vmcnt(1)
	ds_bpermute_b32 v1, v33, v113
	ds_bpermute_b32 v2, v33, v115
	;; [unrolled: 1-line block ×20, first 2 shown]
	s_waitcnt lgkmcnt(19)
	v_add_f32_e32 v1, v113, v1
	s_waitcnt lgkmcnt(18)
	v_add_f32_e32 v2, v115, v2
	;; [unrolled: 2-line block ×5, first 2 shown]
	ds_bpermute_b32 v15, v52, v1
	ds_bpermute_b32 v18, v52, v2
	;; [unrolled: 1-line block ×4, first 2 shown]
	s_waitcnt lgkmcnt(18)
	v_add_f32_e32 v5, v31, v6
	s_waitcnt lgkmcnt(15)
	v_add_f32_e32 v25, v109, v25
	;; [unrolled: 2-line block ×5, first 2 shown]
	ds_bpermute_b32 v27, v52, v5
	s_waitcnt lgkmcnt(12)
	v_add_f32_e32 v9, v47, v10
	s_waitcnt lgkmcnt(11)
	v_add_f32_e32 v10, v54, v11
	s_waitcnt lgkmcnt(9)
	v_add_f32_e32 v34, v67, v16
	s_waitcnt lgkmcnt(8)
	v_add_f32_e32 v36, v71, v17
	s_waitcnt lgkmcnt(7)
	v_add_f32_e32 v38, v75, v20
	s_waitcnt lgkmcnt(6)
	v_add_f32_e32 v40, v110, v21
	s_waitcnt lgkmcnt(5)
	v_add_f32_e32 v26, v108, v26
	ds_bpermute_b32 v44, v52, v25
	ds_bpermute_b32 v11, v52, v0
	;; [unrolled: 1-line block ×3, first 2 shown]
	s_waitcnt lgkmcnt(7)
	v_add_f32_e32 v22, v1, v15
	s_waitcnt lgkmcnt(6)
	v_add_f32_e32 v19, v2, v18
	;; [unrolled: 2-line block ×4, first 2 shown]
	ds_bpermute_b32 v1, v33, v112
	v_add_f32_e32 v2, v55, v12
	ds_bpermute_b32 v3, v33, v127
	v_add_f32_e32 v4, v59, v13
	ds_bpermute_b32 v12, v33, v126
	ds_bpermute_b32 v13, v33, v48
	v_add_f32_e32 v24, v63, v14
	ds_bpermute_b32 v29, v52, v7
	ds_bpermute_b32 v30, v52, v8
	;; [unrolled: 1-line block ×11, first 2 shown]
	s_waitcnt lgkmcnt(18)
	v_add_f32_e32 v21, v5, v27
	s_waitcnt lgkmcnt(17)
	v_add_f32_e32 v5, v25, v44
	;; [unrolled: 2-line block ×3, first 2 shown]
	v_and_b32_e32 v25, 28, v79
	s_waitcnt lgkmcnt(13)
	v_add_f32_e32 v45, v127, v3
	ds_bpermute_b32 v3, v52, v26
	s_waitcnt lgkmcnt(13)
	v_add_f32_e32 v46, v126, v12
	s_waitcnt lgkmcnt(12)
	v_add_f32_e32 v48, v48, v13
	ds_bpermute_b32 v47, v52, v1
	ds_bpermute_b32 v49, v52, v45
	v_add_f32_e32 v23, v0, v11
	ds_bpermute_b32 v50, v52, v46
	ds_bpermute_b32 v27, v52, v48
	v_add_f32_e32 v20, v6, v28
	s_waitcnt lgkmcnt(15)
	v_add_f32_e32 v17, v7, v29
	s_waitcnt lgkmcnt(14)
	;; [unrolled: 2-line block ×12, first 2 shown]
	v_add_f32_e32 v4, v26, v3
	v_and_b32_e32 v28, 0x3c3, v51
	v_lshrrev_b32_e32 v24, 2, v79
	s_waitcnt lgkmcnt(3)
	v_add_f32_e32 v3, v1, v47
	s_waitcnt lgkmcnt(2)
	v_add_f32_e32 v0, v45, v49
	v_add_nc_u32_e32 v25, 0x1a0, v25
	s_waitcnt lgkmcnt(1)
	v_add_f32_e32 v1, v46, v50
	s_waitcnt lgkmcnt(0)
	v_add_f32_e32 v2, v48, v27
	v_mul_u32_u24_e32 v26, 0x300, v76
	s_mov_b32 s0, exec_lo
	s_waitcnt vmcnt(0)
	s_waitcnt_vscnt null, 0x0
	s_barrier
	buffer_gl0_inv
	v_cmpx_eq_u32_e32 64, v28
	s_cbranch_execz .LBB187_80
; %bb.79:
	v_add_nc_u32_e32 v27, v25, v26
	v_add_nc_u32_e32 v28, 0xfffffa00, v27
	;; [unrolled: 1-line block ×7, first 2 shown]
	ds_write_b32 v28, v22
	ds_write_b32 v29, v19
	;; [unrolled: 1-line block ×4, first 2 shown]
	v_add_nc_u32_e32 v28, 0xfffffac0, v27
	v_add_nc_u32_e32 v29, 0xfffffae0, v27
	v_add_nc_u32_e32 v30, 0xfffffb00, v27
	ds_write_b32 v32, v23
	ds_write_b32 v33, v21
	ds_write_b32 v28, v20
	ds_write_b32 v29, v17
	ds_write_b32 v30, v16
	v_add_nc_u32_e32 v28, 0xfffffb20, v27
	v_add_nc_u32_e32 v29, 0xfffffb40, v27
	v_add_nc_u32_e32 v30, 0xfffffb60, v27
	v_add_nc_u32_e32 v31, 0xfffffb80, v27
	v_add_nc_u32_e32 v32, 0xfffffba0, v27
	ds_write_b32 v28, v14
	ds_write_b32 v29, v13
	ds_write_b32 v30, v12
	ds_write_b32 v31, v11
	ds_write_b32 v32, v10
	v_add_nc_u32_e32 v28, 0xfffffbc0, v27
	v_add_nc_u32_e32 v29, 0xfffffbe0, v27
	;; [unrolled: 10-line block ×3, first 2 shown]
	v_add_nc_u32_e32 v30, 0xfffffca0, v27
	v_add_nc_u32_e32 v31, 0xfffffcc0, v27
	;; [unrolled: 1-line block ×3, first 2 shown]
	ds_write_b32 v28, v4
	ds_write_b32 v29, v3
	;; [unrolled: 1-line block ×5, first 2 shown]
.LBB187_80:
	s_or_b32 exec_lo, exec_lo, s0
	v_lshlrev_b32_e32 v24, 2, v24
	s_mov_b32 s1, exec_lo
	v_cmp_eq_u32_e32 vcc_lo, 0, v53
	s_waitcnt lgkmcnt(0)
	s_barrier
	v_add3_u32 v24, 0x1a0, v26, v24
	buffer_gl0_inv
	v_cmpx_gt_u32_e32 64, v51
	s_cbranch_execz .LBB187_107
; %bb.81:
	s_and_saveexec_b32 s0, vcc_lo
	s_cbranch_execnz .LBB187_139
; %bb.82:
	s_or_b32 exec_lo, exec_lo, s0
	s_and_saveexec_b32 s0, vcc_lo
	s_cbranch_execnz .LBB187_140
.LBB187_83:
	s_or_b32 exec_lo, exec_lo, s0
	s_and_saveexec_b32 s0, vcc_lo
	s_cbranch_execnz .LBB187_141
.LBB187_84:
	s_or_b32 exec_lo, exec_lo, s0
	s_and_saveexec_b32 s0, vcc_lo
	s_cbranch_execnz .LBB187_142
.LBB187_85:
	s_or_b32 exec_lo, exec_lo, s0
	s_and_saveexec_b32 s0, vcc_lo
	s_cbranch_execnz .LBB187_143
.LBB187_86:
	s_or_b32 exec_lo, exec_lo, s0
	s_and_saveexec_b32 s0, vcc_lo
	s_cbranch_execnz .LBB187_144
.LBB187_87:
	s_or_b32 exec_lo, exec_lo, s0
	s_and_saveexec_b32 s0, vcc_lo
	s_cbranch_execnz .LBB187_145
.LBB187_88:
	s_or_b32 exec_lo, exec_lo, s0
	s_and_saveexec_b32 s0, vcc_lo
	s_cbranch_execnz .LBB187_146
.LBB187_89:
	s_or_b32 exec_lo, exec_lo, s0
	s_and_saveexec_b32 s0, vcc_lo
	s_cbranch_execnz .LBB187_147
.LBB187_90:
	s_or_b32 exec_lo, exec_lo, s0
	s_and_saveexec_b32 s0, vcc_lo
	s_cbranch_execnz .LBB187_148
.LBB187_91:
	s_or_b32 exec_lo, exec_lo, s0
	s_and_saveexec_b32 s0, vcc_lo
	s_cbranch_execnz .LBB187_149
.LBB187_92:
	s_or_b32 exec_lo, exec_lo, s0
	s_and_saveexec_b32 s0, vcc_lo
	s_cbranch_execnz .LBB187_150
.LBB187_93:
	s_or_b32 exec_lo, exec_lo, s0
	s_and_saveexec_b32 s0, vcc_lo
	s_cbranch_execnz .LBB187_151
.LBB187_94:
	s_or_b32 exec_lo, exec_lo, s0
	s_and_saveexec_b32 s0, vcc_lo
	s_cbranch_execnz .LBB187_152
.LBB187_95:
	s_or_b32 exec_lo, exec_lo, s0
	s_and_saveexec_b32 s0, vcc_lo
	s_cbranch_execnz .LBB187_153
.LBB187_96:
	s_or_b32 exec_lo, exec_lo, s0
	s_and_saveexec_b32 s0, vcc_lo
	s_cbranch_execnz .LBB187_154
.LBB187_97:
	s_or_b32 exec_lo, exec_lo, s0
	s_and_saveexec_b32 s0, vcc_lo
	s_cbranch_execnz .LBB187_155
.LBB187_98:
	s_or_b32 exec_lo, exec_lo, s0
	s_and_saveexec_b32 s0, vcc_lo
	s_cbranch_execnz .LBB187_156
.LBB187_99:
	s_or_b32 exec_lo, exec_lo, s0
	s_and_saveexec_b32 s0, vcc_lo
	s_cbranch_execnz .LBB187_157
.LBB187_100:
	s_or_b32 exec_lo, exec_lo, s0
	s_and_saveexec_b32 s0, vcc_lo
	s_cbranch_execnz .LBB187_158
.LBB187_101:
	s_or_b32 exec_lo, exec_lo, s0
	s_and_saveexec_b32 s0, vcc_lo
	s_cbranch_execnz .LBB187_159
.LBB187_102:
	s_or_b32 exec_lo, exec_lo, s0
	s_and_saveexec_b32 s0, vcc_lo
	s_cbranch_execnz .LBB187_160
.LBB187_103:
	s_or_b32 exec_lo, exec_lo, s0
	s_and_saveexec_b32 s0, vcc_lo
	s_cbranch_execnz .LBB187_161
.LBB187_104:
	s_or_b32 exec_lo, exec_lo, s0
	s_and_saveexec_b32 s0, vcc_lo
	s_cbranch_execz .LBB187_106
.LBB187_105:
	ds_read_b32 v26, v24 offset:736
	s_waitcnt lgkmcnt(0)
	v_add_f32_e32 v2, v2, v26
.LBB187_106:
	s_or_b32 exec_lo, exec_lo, s0
.LBB187_107:
	s_or_b32 exec_lo, exec_lo, s1
	v_and_b32_e32 v26, 0x3e3, v51
	s_mov_b32 s1, exec_lo
	s_barrier
	buffer_gl0_inv
	v_cmpx_eq_u32_e32 32, v26
	s_cbranch_execz .LBB187_109
; %bb.108:
	ds_write2_b32 v25, v22, v19 offset1:8
	ds_write2_b32 v25, v18, v15 offset0:16 offset1:24
	ds_write2_b32 v25, v23, v21 offset0:32 offset1:40
	;; [unrolled: 1-line block ×11, first 2 shown]
.LBB187_109:
	s_or_b32 exec_lo, exec_lo, s1
	s_mov_b32 s1, exec_lo
	s_waitcnt lgkmcnt(0)
	s_barrier
	buffer_gl0_inv
	v_cmpx_gt_u32_e32 32, v51
	s_cbranch_execz .LBB187_136
; %bb.110:
	s_and_saveexec_b32 s0, vcc_lo
	s_cbranch_execnz .LBB187_162
; %bb.111:
	s_or_b32 exec_lo, exec_lo, s0
	s_and_saveexec_b32 s0, vcc_lo
	s_cbranch_execnz .LBB187_163
.LBB187_112:
	s_or_b32 exec_lo, exec_lo, s0
	s_and_saveexec_b32 s0, vcc_lo
	s_cbranch_execnz .LBB187_164
.LBB187_113:
	s_or_b32 exec_lo, exec_lo, s0
	s_and_saveexec_b32 s0, vcc_lo
	s_cbranch_execnz .LBB187_165
.LBB187_114:
	s_or_b32 exec_lo, exec_lo, s0
	s_and_saveexec_b32 s0, vcc_lo
	s_cbranch_execnz .LBB187_166
.LBB187_115:
	s_or_b32 exec_lo, exec_lo, s0
	s_and_saveexec_b32 s0, vcc_lo
	s_cbranch_execnz .LBB187_167
.LBB187_116:
	s_or_b32 exec_lo, exec_lo, s0
	s_and_saveexec_b32 s0, vcc_lo
	s_cbranch_execnz .LBB187_168
.LBB187_117:
	s_or_b32 exec_lo, exec_lo, s0
	s_and_saveexec_b32 s0, vcc_lo
	s_cbranch_execnz .LBB187_169
.LBB187_118:
	s_or_b32 exec_lo, exec_lo, s0
	s_and_saveexec_b32 s0, vcc_lo
	s_cbranch_execnz .LBB187_170
.LBB187_119:
	s_or_b32 exec_lo, exec_lo, s0
	s_and_saveexec_b32 s0, vcc_lo
	s_cbranch_execnz .LBB187_171
.LBB187_120:
	s_or_b32 exec_lo, exec_lo, s0
	s_and_saveexec_b32 s0, vcc_lo
	s_cbranch_execnz .LBB187_172
.LBB187_121:
	s_or_b32 exec_lo, exec_lo, s0
	s_and_saveexec_b32 s0, vcc_lo
	s_cbranch_execnz .LBB187_173
.LBB187_122:
	s_or_b32 exec_lo, exec_lo, s0
	s_and_saveexec_b32 s0, vcc_lo
	s_cbranch_execnz .LBB187_174
.LBB187_123:
	s_or_b32 exec_lo, exec_lo, s0
	s_and_saveexec_b32 s0, vcc_lo
	s_cbranch_execnz .LBB187_175
.LBB187_124:
	s_or_b32 exec_lo, exec_lo, s0
	s_and_saveexec_b32 s0, vcc_lo
	s_cbranch_execnz .LBB187_176
.LBB187_125:
	s_or_b32 exec_lo, exec_lo, s0
	s_and_saveexec_b32 s0, vcc_lo
	s_cbranch_execnz .LBB187_177
.LBB187_126:
	s_or_b32 exec_lo, exec_lo, s0
	s_and_saveexec_b32 s0, vcc_lo
	s_cbranch_execnz .LBB187_178
.LBB187_127:
	s_or_b32 exec_lo, exec_lo, s0
	s_and_saveexec_b32 s0, vcc_lo
	s_cbranch_execnz .LBB187_179
.LBB187_128:
	s_or_b32 exec_lo, exec_lo, s0
	s_and_saveexec_b32 s0, vcc_lo
	s_cbranch_execnz .LBB187_180
.LBB187_129:
	s_or_b32 exec_lo, exec_lo, s0
	s_and_saveexec_b32 s0, vcc_lo
	s_cbranch_execnz .LBB187_181
.LBB187_130:
	s_or_b32 exec_lo, exec_lo, s0
	s_and_saveexec_b32 s0, vcc_lo
	s_cbranch_execnz .LBB187_182
.LBB187_131:
	s_or_b32 exec_lo, exec_lo, s0
	s_and_saveexec_b32 s0, vcc_lo
	s_cbranch_execnz .LBB187_183
.LBB187_132:
	s_or_b32 exec_lo, exec_lo, s0
	s_and_saveexec_b32 s0, vcc_lo
	s_cbranch_execnz .LBB187_184
.LBB187_133:
	s_or_b32 exec_lo, exec_lo, s0
	s_and_saveexec_b32 s0, vcc_lo
	s_cbranch_execz .LBB187_135
.LBB187_134:
	ds_read_b32 v24, v24 offset:736
	s_waitcnt lgkmcnt(0)
	v_add_f32_e32 v2, v2, v24
.LBB187_135:
	s_or_b32 exec_lo, exec_lo, s0
.LBB187_136:
	s_or_b32 exec_lo, exec_lo, s1
	s_barrier
	buffer_gl0_inv
	s_mov_b32 s0, exec_lo
	v_cmpx_eq_u32_e32 0, v26
	s_cbranch_execz .LBB187_138
; %bb.137:
	s_mul_i32 s0, s4, 0xc0
	v_bfe_u32 v24, v22, 16, 1
	s_ashr_i32 s1, s0, 31
	s_mul_i32 s2, s7, s10
	s_lshl_b64 s[0:1], s[0:1], 1
	v_or_b32_e32 v25, 0x400000, v22
	s_add_u32 s4, s20, s0
	s_addc_u32 s1, s21, s1
	s_ashr_i32 s3, s2, 31
	v_add3_u32 v24, v24, v22, 0x7fff
	s_lshl_b64 s[2:3], s[2:3], 1
	v_bfe_u32 v27, v19, 16, 1
	v_cmp_u_f32_e32 vcc_lo, v22, v22
	s_mul_i32 s0, s8, 0xc0
	s_add_u32 s2, s4, s2
	s_addc_u32 s3, s1, s3
	s_ashr_i32 s1, s0, 31
	v_lshrrev_b32_e32 v26, 1, v51
	s_lshl_b64 s[0:1], s[0:1], 1
	v_cndmask_b32_e32 v22, v24, v25, vcc_lo
	v_bfe_u32 v24, v18, 16, 1
	v_add3_u32 v25, v27, v19, 0x7fff
	v_or_b32_e32 v27, 0x400000, v19
	v_cmp_u_f32_e32 vcc_lo, v19, v19
	s_add_u32 s0, s2, s0
	s_addc_u32 s1, s3, s1
	global_store_short_d16_hi v26, v22, s[0:1]
	v_add3_u32 v22, v24, v18, 0x7fff
	v_or_b32_e32 v24, 0x400000, v18
	v_cndmask_b32_e32 v19, v25, v27, vcc_lo
	v_bfe_u32 v25, v15, 16, 1
	v_cmp_u_f32_e32 vcc_lo, v18, v18
	global_store_short_d16_hi v26, v19, s[0:1] offset:16
	v_add3_u32 v19, v25, v15, 0x7fff
	v_cndmask_b32_e32 v18, v22, v24, vcc_lo
	v_bfe_u32 v22, v23, 16, 1
	v_or_b32_e32 v24, 0x400000, v15
	v_cmp_u_f32_e32 vcc_lo, v15, v15
	global_store_short_d16_hi v26, v18, s[0:1] offset:32
	v_add3_u32 v18, v22, v23, 0x7fff
	v_or_b32_e32 v22, 0x400000, v23
	v_cndmask_b32_e32 v15, v19, v24, vcc_lo
	v_bfe_u32 v19, v21, 16, 1
	v_cmp_u_f32_e32 vcc_lo, v23, v23
	global_store_short_d16_hi v26, v15, s[0:1] offset:48
	v_add3_u32 v15, v19, v21, 0x7fff
	v_cndmask_b32_e32 v18, v18, v22, vcc_lo
	v_bfe_u32 v22, v20, 16, 1
	v_or_b32_e32 v19, 0x400000, v21
	v_cmp_u_f32_e32 vcc_lo, v21, v21
	global_store_short_d16_hi v26, v18, s[0:1] offset:64
	v_add3_u32 v18, v22, v20, 0x7fff
	v_or_b32_e32 v22, 0x400000, v20
	v_cndmask_b32_e32 v15, v15, v19, vcc_lo
	v_bfe_u32 v19, v17, 16, 1
	v_cmp_u_f32_e32 vcc_lo, v20, v20
	v_bfe_u32 v20, v16, 16, 1
	global_store_short_d16_hi v26, v15, s[0:1] offset:80
	v_add3_u32 v15, v19, v17, 0x7fff
	v_cndmask_b32_e32 v18, v18, v22, vcc_lo
	v_or_b32_e32 v19, 0x400000, v17
	v_cmp_u_f32_e32 vcc_lo, v17, v17
	v_bfe_u32 v17, v14, 16, 1
	global_store_short_d16_hi v26, v18, s[0:1] offset:96
	v_add3_u32 v18, v20, v16, 0x7fff
	v_or_b32_e32 v20, 0x400000, v16
	v_cndmask_b32_e32 v15, v15, v19, vcc_lo
	v_cmp_u_f32_e32 vcc_lo, v16, v16
	global_store_short_d16_hi v26, v15, s[0:1] offset:112
	v_cndmask_b32_e32 v16, v18, v20, vcc_lo
	v_bfe_u32 v18, v13, 16, 1
	v_add3_u32 v15, v17, v14, 0x7fff
	v_or_b32_e32 v17, 0x400000, v14
	v_cmp_u_f32_e32 vcc_lo, v14, v14
	global_store_short_d16_hi v26, v16, s[0:1] offset:128
	v_add3_u32 v16, v18, v13, 0x7fff
	v_or_b32_e32 v18, 0x400000, v13
	v_cndmask_b32_e32 v14, v15, v17, vcc_lo
	v_bfe_u32 v15, v12, 16, 1
	v_cmp_u_f32_e32 vcc_lo, v13, v13
	global_store_short_d16_hi v26, v14, s[0:1] offset:144
	v_add3_u32 v14, v15, v12, 0x7fff
	v_cndmask_b32_e32 v13, v16, v18, vcc_lo
	v_bfe_u32 v16, v11, 16, 1
	v_or_b32_e32 v15, 0x400000, v12
	v_cmp_u_f32_e32 vcc_lo, v12, v12
	global_store_short_d16_hi v26, v13, s[0:1] offset:160
	v_add3_u32 v13, v16, v11, 0x7fff
	v_or_b32_e32 v16, 0x400000, v11
	v_cndmask_b32_e32 v12, v14, v15, vcc_lo
	v_bfe_u32 v14, v10, 16, 1
	v_cmp_u_f32_e32 vcc_lo, v11, v11
	global_store_short_d16_hi v26, v12, s[0:1] offset:176
	v_add3_u32 v12, v14, v10, 0x7fff
	v_cndmask_b32_e32 v11, v13, v16, vcc_lo
	v_bfe_u32 v13, v9, 16, 1
	;; [unrolled: 12-line block ×4, first 2 shown]
	v_or_b32_e32 v10, 0x400000, v6
	v_cmp_u_f32_e32 vcc_lo, v6, v6
	global_store_short_d16_hi v26, v7, s[0:1] offset:256
	v_add3_u32 v7, v9, v5, 0x7fff
	v_or_b32_e32 v9, 0x400000, v5
	v_cndmask_b32_e32 v6, v8, v10, vcc_lo
	v_bfe_u32 v8, v4, 16, 1
	v_cmp_u_f32_e32 vcc_lo, v5, v5
	v_or_b32_e32 v10, 0x400000, v2
	global_store_short_d16_hi v26, v6, s[0:1] offset:272
	v_add3_u32 v6, v8, v4, 0x7fff
	v_cndmask_b32_e32 v5, v7, v9, vcc_lo
	v_bfe_u32 v7, v3, 16, 1
	v_or_b32_e32 v8, 0x400000, v4
	v_cmp_u_f32_e32 vcc_lo, v4, v4
	v_or_b32_e32 v9, 0x400000, v1
	global_store_short_d16_hi v26, v5, s[0:1] offset:288
	v_add3_u32 v5, v7, v3, 0x7fff
	v_or_b32_e32 v7, 0x400000, v3
	v_cndmask_b32_e32 v4, v6, v8, vcc_lo
	v_bfe_u32 v6, v0, 16, 1
	v_cmp_u_f32_e32 vcc_lo, v3, v3
	v_bfe_u32 v8, v1, 16, 1
	v_add3_u32 v6, v6, v0, 0x7fff
	v_cndmask_b32_e32 v3, v5, v7, vcc_lo
	v_or_b32_e32 v7, 0x400000, v0
	v_cmp_u_f32_e32 vcc_lo, v0, v0
	v_bfe_u32 v5, v2, 16, 1
	v_add3_u32 v8, v8, v1, 0x7fff
	v_cndmask_b32_e32 v0, v6, v7, vcc_lo
	v_cmp_u_f32_e32 vcc_lo, v1, v1
	v_add3_u32 v5, v5, v2, 0x7fff
	v_cndmask_b32_e32 v1, v8, v9, vcc_lo
	v_cmp_u_f32_e32 vcc_lo, v2, v2
	v_cndmask_b32_e32 v2, v5, v10, vcc_lo
	global_store_short_d16_hi v26, v4, s[0:1] offset:304
	global_store_short_d16_hi v26, v3, s[0:1] offset:320
	;; [unrolled: 1-line block ×5, first 2 shown]
.LBB187_138:
	s_endpgm
.LBB187_139:
	ds_read_b32 v26, v24
	s_waitcnt lgkmcnt(0)
	v_add_f32_e32 v22, v22, v26
	s_or_b32 exec_lo, exec_lo, s0
	s_and_saveexec_b32 s0, vcc_lo
	s_cbranch_execz .LBB187_83
.LBB187_140:
	ds_read_b32 v26, v24 offset:32
	s_waitcnt lgkmcnt(0)
	v_add_f32_e32 v19, v19, v26
	s_or_b32 exec_lo, exec_lo, s0
	s_and_saveexec_b32 s0, vcc_lo
	s_cbranch_execz .LBB187_84
.LBB187_141:
	ds_read_b32 v26, v24 offset:64
	s_waitcnt lgkmcnt(0)
	v_add_f32_e32 v18, v18, v26
	s_or_b32 exec_lo, exec_lo, s0
	s_and_saveexec_b32 s0, vcc_lo
	s_cbranch_execz .LBB187_85
.LBB187_142:
	ds_read_b32 v26, v24 offset:96
	s_waitcnt lgkmcnt(0)
	v_add_f32_e32 v15, v15, v26
	s_or_b32 exec_lo, exec_lo, s0
	s_and_saveexec_b32 s0, vcc_lo
	s_cbranch_execz .LBB187_86
.LBB187_143:
	ds_read_b32 v26, v24 offset:128
	s_waitcnt lgkmcnt(0)
	v_add_f32_e32 v23, v23, v26
	s_or_b32 exec_lo, exec_lo, s0
	s_and_saveexec_b32 s0, vcc_lo
	s_cbranch_execz .LBB187_87
.LBB187_144:
	ds_read_b32 v26, v24 offset:160
	s_waitcnt lgkmcnt(0)
	v_add_f32_e32 v21, v21, v26
	s_or_b32 exec_lo, exec_lo, s0
	s_and_saveexec_b32 s0, vcc_lo
	s_cbranch_execz .LBB187_88
.LBB187_145:
	ds_read_b32 v26, v24 offset:192
	s_waitcnt lgkmcnt(0)
	v_add_f32_e32 v20, v20, v26
	s_or_b32 exec_lo, exec_lo, s0
	s_and_saveexec_b32 s0, vcc_lo
	s_cbranch_execz .LBB187_89
.LBB187_146:
	ds_read_b32 v26, v24 offset:224
	s_waitcnt lgkmcnt(0)
	v_add_f32_e32 v17, v17, v26
	s_or_b32 exec_lo, exec_lo, s0
	s_and_saveexec_b32 s0, vcc_lo
	s_cbranch_execz .LBB187_90
.LBB187_147:
	ds_read_b32 v26, v24 offset:256
	s_waitcnt lgkmcnt(0)
	v_add_f32_e32 v16, v16, v26
	s_or_b32 exec_lo, exec_lo, s0
	s_and_saveexec_b32 s0, vcc_lo
	s_cbranch_execz .LBB187_91
.LBB187_148:
	ds_read_b32 v26, v24 offset:288
	s_waitcnt lgkmcnt(0)
	v_add_f32_e32 v14, v14, v26
	s_or_b32 exec_lo, exec_lo, s0
	s_and_saveexec_b32 s0, vcc_lo
	s_cbranch_execz .LBB187_92
.LBB187_149:
	ds_read_b32 v26, v24 offset:320
	s_waitcnt lgkmcnt(0)
	v_add_f32_e32 v13, v13, v26
	s_or_b32 exec_lo, exec_lo, s0
	s_and_saveexec_b32 s0, vcc_lo
	s_cbranch_execz .LBB187_93
.LBB187_150:
	ds_read_b32 v26, v24 offset:352
	s_waitcnt lgkmcnt(0)
	v_add_f32_e32 v12, v12, v26
	s_or_b32 exec_lo, exec_lo, s0
	s_and_saveexec_b32 s0, vcc_lo
	s_cbranch_execz .LBB187_94
.LBB187_151:
	ds_read_b32 v26, v24 offset:384
	s_waitcnt lgkmcnt(0)
	v_add_f32_e32 v11, v11, v26
	s_or_b32 exec_lo, exec_lo, s0
	s_and_saveexec_b32 s0, vcc_lo
	s_cbranch_execz .LBB187_95
.LBB187_152:
	ds_read_b32 v26, v24 offset:416
	s_waitcnt lgkmcnt(0)
	v_add_f32_e32 v10, v10, v26
	s_or_b32 exec_lo, exec_lo, s0
	s_and_saveexec_b32 s0, vcc_lo
	s_cbranch_execz .LBB187_96
.LBB187_153:
	ds_read_b32 v26, v24 offset:448
	s_waitcnt lgkmcnt(0)
	v_add_f32_e32 v9, v9, v26
	s_or_b32 exec_lo, exec_lo, s0
	s_and_saveexec_b32 s0, vcc_lo
	s_cbranch_execz .LBB187_97
.LBB187_154:
	ds_read_b32 v26, v24 offset:480
	s_waitcnt lgkmcnt(0)
	v_add_f32_e32 v8, v8, v26
	s_or_b32 exec_lo, exec_lo, s0
	s_and_saveexec_b32 s0, vcc_lo
	s_cbranch_execz .LBB187_98
.LBB187_155:
	ds_read_b32 v26, v24 offset:512
	s_waitcnt lgkmcnt(0)
	v_add_f32_e32 v7, v7, v26
	s_or_b32 exec_lo, exec_lo, s0
	s_and_saveexec_b32 s0, vcc_lo
	s_cbranch_execz .LBB187_99
.LBB187_156:
	ds_read_b32 v26, v24 offset:544
	s_waitcnt lgkmcnt(0)
	v_add_f32_e32 v6, v6, v26
	s_or_b32 exec_lo, exec_lo, s0
	s_and_saveexec_b32 s0, vcc_lo
	s_cbranch_execz .LBB187_100
.LBB187_157:
	ds_read_b32 v26, v24 offset:576
	s_waitcnt lgkmcnt(0)
	v_add_f32_e32 v5, v5, v26
	s_or_b32 exec_lo, exec_lo, s0
	s_and_saveexec_b32 s0, vcc_lo
	s_cbranch_execz .LBB187_101
.LBB187_158:
	ds_read_b32 v26, v24 offset:608
	s_waitcnt lgkmcnt(0)
	v_add_f32_e32 v4, v4, v26
	s_or_b32 exec_lo, exec_lo, s0
	s_and_saveexec_b32 s0, vcc_lo
	s_cbranch_execz .LBB187_102
.LBB187_159:
	ds_read_b32 v26, v24 offset:640
	s_waitcnt lgkmcnt(0)
	v_add_f32_e32 v3, v3, v26
	s_or_b32 exec_lo, exec_lo, s0
	s_and_saveexec_b32 s0, vcc_lo
	s_cbranch_execz .LBB187_103
.LBB187_160:
	ds_read_b32 v26, v24 offset:672
	s_waitcnt lgkmcnt(0)
	v_add_f32_e32 v0, v0, v26
	s_or_b32 exec_lo, exec_lo, s0
	s_and_saveexec_b32 s0, vcc_lo
	s_cbranch_execz .LBB187_104
.LBB187_161:
	ds_read_b32 v26, v24 offset:704
	s_waitcnt lgkmcnt(0)
	v_add_f32_e32 v1, v1, v26
	s_or_b32 exec_lo, exec_lo, s0
	s_and_saveexec_b32 s0, vcc_lo
	s_cbranch_execnz .LBB187_105
	s_branch .LBB187_106
.LBB187_162:
	ds_read_b32 v25, v24
	s_waitcnt lgkmcnt(0)
	v_add_f32_e32 v22, v22, v25
	s_or_b32 exec_lo, exec_lo, s0
	s_and_saveexec_b32 s0, vcc_lo
	s_cbranch_execz .LBB187_112
.LBB187_163:
	ds_read_b32 v25, v24 offset:32
	s_waitcnt lgkmcnt(0)
	v_add_f32_e32 v19, v19, v25
	s_or_b32 exec_lo, exec_lo, s0
	s_and_saveexec_b32 s0, vcc_lo
	s_cbranch_execz .LBB187_113
.LBB187_164:
	ds_read_b32 v25, v24 offset:64
	s_waitcnt lgkmcnt(0)
	v_add_f32_e32 v18, v18, v25
	s_or_b32 exec_lo, exec_lo, s0
	s_and_saveexec_b32 s0, vcc_lo
	s_cbranch_execz .LBB187_114
.LBB187_165:
	ds_read_b32 v25, v24 offset:96
	s_waitcnt lgkmcnt(0)
	v_add_f32_e32 v15, v15, v25
	s_or_b32 exec_lo, exec_lo, s0
	s_and_saveexec_b32 s0, vcc_lo
	s_cbranch_execz .LBB187_115
.LBB187_166:
	ds_read_b32 v25, v24 offset:128
	s_waitcnt lgkmcnt(0)
	v_add_f32_e32 v23, v23, v25
	s_or_b32 exec_lo, exec_lo, s0
	s_and_saveexec_b32 s0, vcc_lo
	s_cbranch_execz .LBB187_116
.LBB187_167:
	ds_read_b32 v25, v24 offset:160
	s_waitcnt lgkmcnt(0)
	v_add_f32_e32 v21, v21, v25
	s_or_b32 exec_lo, exec_lo, s0
	s_and_saveexec_b32 s0, vcc_lo
	s_cbranch_execz .LBB187_117
.LBB187_168:
	ds_read_b32 v25, v24 offset:192
	s_waitcnt lgkmcnt(0)
	v_add_f32_e32 v20, v20, v25
	s_or_b32 exec_lo, exec_lo, s0
	s_and_saveexec_b32 s0, vcc_lo
	s_cbranch_execz .LBB187_118
.LBB187_169:
	ds_read_b32 v25, v24 offset:224
	s_waitcnt lgkmcnt(0)
	v_add_f32_e32 v17, v17, v25
	s_or_b32 exec_lo, exec_lo, s0
	s_and_saveexec_b32 s0, vcc_lo
	s_cbranch_execz .LBB187_119
.LBB187_170:
	ds_read_b32 v25, v24 offset:256
	s_waitcnt lgkmcnt(0)
	v_add_f32_e32 v16, v16, v25
	s_or_b32 exec_lo, exec_lo, s0
	s_and_saveexec_b32 s0, vcc_lo
	s_cbranch_execz .LBB187_120
.LBB187_171:
	ds_read_b32 v25, v24 offset:288
	s_waitcnt lgkmcnt(0)
	v_add_f32_e32 v14, v14, v25
	s_or_b32 exec_lo, exec_lo, s0
	s_and_saveexec_b32 s0, vcc_lo
	s_cbranch_execz .LBB187_121
.LBB187_172:
	ds_read_b32 v25, v24 offset:320
	s_waitcnt lgkmcnt(0)
	v_add_f32_e32 v13, v13, v25
	s_or_b32 exec_lo, exec_lo, s0
	s_and_saveexec_b32 s0, vcc_lo
	s_cbranch_execz .LBB187_122
.LBB187_173:
	ds_read_b32 v25, v24 offset:352
	s_waitcnt lgkmcnt(0)
	v_add_f32_e32 v12, v12, v25
	s_or_b32 exec_lo, exec_lo, s0
	s_and_saveexec_b32 s0, vcc_lo
	s_cbranch_execz .LBB187_123
.LBB187_174:
	ds_read_b32 v25, v24 offset:384
	s_waitcnt lgkmcnt(0)
	v_add_f32_e32 v11, v11, v25
	s_or_b32 exec_lo, exec_lo, s0
	s_and_saveexec_b32 s0, vcc_lo
	s_cbranch_execz .LBB187_124
.LBB187_175:
	ds_read_b32 v25, v24 offset:416
	s_waitcnt lgkmcnt(0)
	v_add_f32_e32 v10, v10, v25
	s_or_b32 exec_lo, exec_lo, s0
	s_and_saveexec_b32 s0, vcc_lo
	s_cbranch_execz .LBB187_125
.LBB187_176:
	ds_read_b32 v25, v24 offset:448
	s_waitcnt lgkmcnt(0)
	v_add_f32_e32 v9, v9, v25
	s_or_b32 exec_lo, exec_lo, s0
	s_and_saveexec_b32 s0, vcc_lo
	s_cbranch_execz .LBB187_126
.LBB187_177:
	ds_read_b32 v25, v24 offset:480
	s_waitcnt lgkmcnt(0)
	v_add_f32_e32 v8, v8, v25
	s_or_b32 exec_lo, exec_lo, s0
	s_and_saveexec_b32 s0, vcc_lo
	s_cbranch_execz .LBB187_127
.LBB187_178:
	ds_read_b32 v25, v24 offset:512
	s_waitcnt lgkmcnt(0)
	v_add_f32_e32 v7, v7, v25
	s_or_b32 exec_lo, exec_lo, s0
	s_and_saveexec_b32 s0, vcc_lo
	s_cbranch_execz .LBB187_128
.LBB187_179:
	ds_read_b32 v25, v24 offset:544
	s_waitcnt lgkmcnt(0)
	v_add_f32_e32 v6, v6, v25
	s_or_b32 exec_lo, exec_lo, s0
	s_and_saveexec_b32 s0, vcc_lo
	s_cbranch_execz .LBB187_129
.LBB187_180:
	ds_read_b32 v25, v24 offset:576
	s_waitcnt lgkmcnt(0)
	v_add_f32_e32 v5, v5, v25
	s_or_b32 exec_lo, exec_lo, s0
	s_and_saveexec_b32 s0, vcc_lo
	s_cbranch_execz .LBB187_130
.LBB187_181:
	ds_read_b32 v25, v24 offset:608
	s_waitcnt lgkmcnt(0)
	v_add_f32_e32 v4, v4, v25
	s_or_b32 exec_lo, exec_lo, s0
	s_and_saveexec_b32 s0, vcc_lo
	s_cbranch_execz .LBB187_131
.LBB187_182:
	ds_read_b32 v25, v24 offset:640
	s_waitcnt lgkmcnt(0)
	v_add_f32_e32 v3, v3, v25
	s_or_b32 exec_lo, exec_lo, s0
	s_and_saveexec_b32 s0, vcc_lo
	s_cbranch_execz .LBB187_132
.LBB187_183:
	ds_read_b32 v25, v24 offset:672
	s_waitcnt lgkmcnt(0)
	v_add_f32_e32 v0, v0, v25
	s_or_b32 exec_lo, exec_lo, s0
	s_and_saveexec_b32 s0, vcc_lo
	s_cbranch_execz .LBB187_133
.LBB187_184:
	ds_read_b32 v25, v24 offset:704
	s_waitcnt lgkmcnt(0)
	v_add_f32_e32 v1, v1, v25
	s_or_b32 exec_lo, exec_lo, s0
	s_and_saveexec_b32 s0, vcc_lo
	s_cbranch_execnz .LBB187_134
	s_branch .LBB187_135
	.section	.rodata,"a",@progbits
	.p2align	6, 0x0
	.amdhsa_kernel _ZN4vllm25paged_attention_v2_kernelI14__hip_bfloat16S1_Li192ELi32ELi128ELNS_18Fp8KVCacheDataTypeE0ELb0ELi512EEEvPfS3_PT_PKS4_PKT0_SA_ifPKiSC_iPKfiiiSE_SE_iiiii
		.amdhsa_group_segment_fixed_size 416
		.amdhsa_private_segment_fixed_size 592
		.amdhsa_kernarg_size 400
		.amdhsa_user_sgpr_count 6
		.amdhsa_user_sgpr_private_segment_buffer 1
		.amdhsa_user_sgpr_dispatch_ptr 0
		.amdhsa_user_sgpr_queue_ptr 0
		.amdhsa_user_sgpr_kernarg_segment_ptr 1
		.amdhsa_user_sgpr_dispatch_id 0
		.amdhsa_user_sgpr_flat_scratch_init 0
		.amdhsa_user_sgpr_private_segment_size 0
		.amdhsa_wavefront_size32 1
		.amdhsa_uses_dynamic_stack 0
		.amdhsa_system_sgpr_private_segment_wavefront_offset 1
		.amdhsa_system_sgpr_workgroup_id_x 1
		.amdhsa_system_sgpr_workgroup_id_y 1
		.amdhsa_system_sgpr_workgroup_id_z 1
		.amdhsa_system_sgpr_workgroup_info 0
		.amdhsa_system_vgpr_workitem_id 0
		.amdhsa_next_free_vgpr 128
		.amdhsa_next_free_sgpr 44
		.amdhsa_reserve_vcc 1
		.amdhsa_reserve_flat_scratch 0
		.amdhsa_float_round_mode_32 0
		.amdhsa_float_round_mode_16_64 0
		.amdhsa_float_denorm_mode_32 3
		.amdhsa_float_denorm_mode_16_64 3
		.amdhsa_dx10_clamp 1
		.amdhsa_ieee_mode 1
		.amdhsa_fp16_overflow 0
		.amdhsa_workgroup_processor_mode 1
		.amdhsa_memory_ordered 1
		.amdhsa_forward_progress 1
		.amdhsa_shared_vgpr_count 0
		.amdhsa_exception_fp_ieee_invalid_op 0
		.amdhsa_exception_fp_denorm_src 0
		.amdhsa_exception_fp_ieee_div_zero 0
		.amdhsa_exception_fp_ieee_overflow 0
		.amdhsa_exception_fp_ieee_underflow 0
		.amdhsa_exception_fp_ieee_inexact 0
		.amdhsa_exception_int_div_zero 0
	.end_amdhsa_kernel
	.section	.text._ZN4vllm25paged_attention_v2_kernelI14__hip_bfloat16S1_Li192ELi32ELi128ELNS_18Fp8KVCacheDataTypeE0ELb0ELi512EEEvPfS3_PT_PKS4_PKT0_SA_ifPKiSC_iPKfiiiSE_SE_iiiii,"axG",@progbits,_ZN4vllm25paged_attention_v2_kernelI14__hip_bfloat16S1_Li192ELi32ELi128ELNS_18Fp8KVCacheDataTypeE0ELb0ELi512EEEvPfS3_PT_PKS4_PKT0_SA_ifPKiSC_iPKfiiiSE_SE_iiiii,comdat
.Lfunc_end187:
	.size	_ZN4vllm25paged_attention_v2_kernelI14__hip_bfloat16S1_Li192ELi32ELi128ELNS_18Fp8KVCacheDataTypeE0ELb0ELi512EEEvPfS3_PT_PKS4_PKT0_SA_ifPKiSC_iPKfiiiSE_SE_iiiii, .Lfunc_end187-_ZN4vllm25paged_attention_v2_kernelI14__hip_bfloat16S1_Li192ELi32ELi128ELNS_18Fp8KVCacheDataTypeE0ELb0ELi512EEEvPfS3_PT_PKS4_PKT0_SA_ifPKiSC_iPKfiiiSE_SE_iiiii
                                        ; -- End function
	.set _ZN4vllm25paged_attention_v2_kernelI14__hip_bfloat16S1_Li192ELi32ELi128ELNS_18Fp8KVCacheDataTypeE0ELb0ELi512EEEvPfS3_PT_PKS4_PKT0_SA_ifPKiSC_iPKfiiiSE_SE_iiiii.num_vgpr, 128
	.set _ZN4vllm25paged_attention_v2_kernelI14__hip_bfloat16S1_Li192ELi32ELi128ELNS_18Fp8KVCacheDataTypeE0ELb0ELi512EEEvPfS3_PT_PKS4_PKT0_SA_ifPKiSC_iPKfiiiSE_SE_iiiii.num_agpr, 0
	.set _ZN4vllm25paged_attention_v2_kernelI14__hip_bfloat16S1_Li192ELi32ELi128ELNS_18Fp8KVCacheDataTypeE0ELb0ELi512EEEvPfS3_PT_PKS4_PKT0_SA_ifPKiSC_iPKfiiiSE_SE_iiiii.numbered_sgpr, 44
	.set _ZN4vllm25paged_attention_v2_kernelI14__hip_bfloat16S1_Li192ELi32ELi128ELNS_18Fp8KVCacheDataTypeE0ELb0ELi512EEEvPfS3_PT_PKS4_PKT0_SA_ifPKiSC_iPKfiiiSE_SE_iiiii.num_named_barrier, 0
	.set _ZN4vllm25paged_attention_v2_kernelI14__hip_bfloat16S1_Li192ELi32ELi128ELNS_18Fp8KVCacheDataTypeE0ELb0ELi512EEEvPfS3_PT_PKS4_PKT0_SA_ifPKiSC_iPKfiiiSE_SE_iiiii.private_seg_size, 592
	.set _ZN4vllm25paged_attention_v2_kernelI14__hip_bfloat16S1_Li192ELi32ELi128ELNS_18Fp8KVCacheDataTypeE0ELb0ELi512EEEvPfS3_PT_PKS4_PKT0_SA_ifPKiSC_iPKfiiiSE_SE_iiiii.uses_vcc, 1
	.set _ZN4vllm25paged_attention_v2_kernelI14__hip_bfloat16S1_Li192ELi32ELi128ELNS_18Fp8KVCacheDataTypeE0ELb0ELi512EEEvPfS3_PT_PKS4_PKT0_SA_ifPKiSC_iPKfiiiSE_SE_iiiii.uses_flat_scratch, 0
	.set _ZN4vllm25paged_attention_v2_kernelI14__hip_bfloat16S1_Li192ELi32ELi128ELNS_18Fp8KVCacheDataTypeE0ELb0ELi512EEEvPfS3_PT_PKS4_PKT0_SA_ifPKiSC_iPKfiiiSE_SE_iiiii.has_dyn_sized_stack, 0
	.set _ZN4vllm25paged_attention_v2_kernelI14__hip_bfloat16S1_Li192ELi32ELi128ELNS_18Fp8KVCacheDataTypeE0ELb0ELi512EEEvPfS3_PT_PKS4_PKT0_SA_ifPKiSC_iPKfiiiSE_SE_iiiii.has_recursion, 0
	.set _ZN4vllm25paged_attention_v2_kernelI14__hip_bfloat16S1_Li192ELi32ELi128ELNS_18Fp8KVCacheDataTypeE0ELb0ELi512EEEvPfS3_PT_PKS4_PKT0_SA_ifPKiSC_iPKfiiiSE_SE_iiiii.has_indirect_call, 0
	.section	.AMDGPU.csdata,"",@progbits
; Kernel info:
; codeLenInByte = 30640
; TotalNumSgprs: 46
; NumVgprs: 128
; ScratchSize: 592
; MemoryBound: 0
; FloatMode: 240
; IeeeMode: 1
; LDSByteSize: 416 bytes/workgroup (compile time only)
; SGPRBlocks: 0
; VGPRBlocks: 15
; NumSGPRsForWavesPerEU: 46
; NumVGPRsForWavesPerEU: 128
; Occupancy: 8
; WaveLimiterHint : 1
; COMPUTE_PGM_RSRC2:SCRATCH_EN: 1
; COMPUTE_PGM_RSRC2:USER_SGPR: 6
; COMPUTE_PGM_RSRC2:TRAP_HANDLER: 0
; COMPUTE_PGM_RSRC2:TGID_X_EN: 1
; COMPUTE_PGM_RSRC2:TGID_Y_EN: 1
; COMPUTE_PGM_RSRC2:TGID_Z_EN: 1
; COMPUTE_PGM_RSRC2:TIDIG_COMP_CNT: 0
	.section	.text._ZN4vllm25paged_attention_v2_kernelI14__hip_bfloat16S1_Li256ELi32ELi128ELNS_18Fp8KVCacheDataTypeE0ELb0ELi512EEEvPfS3_PT_PKS4_PKT0_SA_ifPKiSC_iPKfiiiSE_SE_iiiii,"axG",@progbits,_ZN4vllm25paged_attention_v2_kernelI14__hip_bfloat16S1_Li256ELi32ELi128ELNS_18Fp8KVCacheDataTypeE0ELb0ELi512EEEvPfS3_PT_PKS4_PKT0_SA_ifPKiSC_iPKfiiiSE_SE_iiiii,comdat
	.protected	_ZN4vllm25paged_attention_v2_kernelI14__hip_bfloat16S1_Li256ELi32ELi128ELNS_18Fp8KVCacheDataTypeE0ELb0ELi512EEEvPfS3_PT_PKS4_PKT0_SA_ifPKiSC_iPKfiiiSE_SE_iiiii ; -- Begin function _ZN4vllm25paged_attention_v2_kernelI14__hip_bfloat16S1_Li256ELi32ELi128ELNS_18Fp8KVCacheDataTypeE0ELb0ELi512EEEvPfS3_PT_PKS4_PKT0_SA_ifPKiSC_iPKfiiiSE_SE_iiiii
	.globl	_ZN4vllm25paged_attention_v2_kernelI14__hip_bfloat16S1_Li256ELi32ELi128ELNS_18Fp8KVCacheDataTypeE0ELb0ELi512EEEvPfS3_PT_PKS4_PKT0_SA_ifPKiSC_iPKfiiiSE_SE_iiiii
	.p2align	8
	.type	_ZN4vllm25paged_attention_v2_kernelI14__hip_bfloat16S1_Li256ELi32ELi128ELNS_18Fp8KVCacheDataTypeE0ELb0ELi512EEEvPfS3_PT_PKS4_PKT0_SA_ifPKiSC_iPKfiiiSE_SE_iiiii,@function
_ZN4vllm25paged_attention_v2_kernelI14__hip_bfloat16S1_Li256ELi32ELi128ELNS_18Fp8KVCacheDataTypeE0ELb0ELi512EEEvPfS3_PT_PKS4_PKT0_SA_ifPKiSC_iPKfiiiSE_SE_iiiii: ; @_ZN4vllm25paged_attention_v2_kernelI14__hip_bfloat16S1_Li256ELi32ELi128ELNS_18Fp8KVCacheDataTypeE0ELb0ELi512EEEvPfS3_PT_PKS4_PKT0_SA_ifPKiSC_iPKfiiiSE_SE_iiiii
; %bb.0:
	s_mov_b64 s[42:43], s[2:3]
	s_mov_b64 s[40:41], s[0:1]
	s_load_dwordx2 s[0:1], s[4:5], 0x40
	s_add_u32 s40, s40, s9
	s_addc_u32 s41, s41, 0
	s_mov_b32 s24, s7
	s_ashr_i32 s25, s7, 31
	s_lshl_b64 s[2:3], s[24:25], 2
	s_waitcnt lgkmcnt(0)
	s_add_u32 s0, s0, s2
	s_addc_u32 s1, s1, s3
	s_lshl_b32 s33, s8, 9
	s_load_dword s25, s[0:1], 0x0
	s_waitcnt lgkmcnt(0)
	s_cmp_ge_i32 s33, s25
	s_cbranch_scc1 .LBB188_170
; %bb.1:
	s_clause 0x1
	s_load_dword s9, s[4:5], 0x90
	s_load_dwordx2 s[30:31], s[4:5], 0x30
	v_mov_b32_e32 v58, v0
	s_mov_b32 s34, 0
	s_waitcnt lgkmcnt(0)
	s_abs_i32 s3, s9
	s_abs_i32 s0, s30
	v_cvt_f32_u32_e32 v0, s0
	s_sub_i32 s2, 0, s0
	v_rcp_iflag_f32_e32 v0, v0
	v_mul_f32_e32 v0, 0x4f7ffffe, v0
	v_cvt_u32_f32_e32 v0, v0
	v_readfirstlane_b32 s1, v0
	s_mul_i32 s2, s2, s1
	s_mul_hi_u32 s2, s1, s2
	s_add_i32 s1, s1, s2
	s_xor_b32 s2, s9, s30
	s_mul_hi_u32 s1, s3, s1
	s_ashr_i32 s2, s2, 31
	s_mul_i32 s7, s1, s0
	s_sub_i32 s3, s3, s7
	s_add_i32 s7, s1, 1
	s_sub_i32 s10, s3, s0
	s_cmp_ge_u32 s3, s0
	s_cselect_b32 s1, s7, s1
	s_cselect_b32 s3, s10, s3
	s_add_i32 s7, s1, 1
	s_cmp_ge_u32 s3, s0
	s_cselect_b32 s0, s7, s1
	s_abs_i32 s28, s6
	s_xor_b32 s0, s0, s2
	s_sub_i32 s10, s0, s2
	s_load_dwordx2 s[0:1], s[4:5], 0x50
	s_abs_i32 s2, s10
	v_cvt_f32_u32_e32 v0, s2
	s_sub_i32 s7, 0, s2
	v_rcp_iflag_f32_e32 v0, v0
	v_mul_f32_e32 v0, 0x4f7ffffe, v0
	v_cvt_u32_f32_e32 v0, v0
	v_readfirstlane_b32 s3, v0
	s_mul_i32 s7, s7, s3
	s_mul_hi_u32 s7, s3, s7
	s_add_i32 s3, s3, s7
	s_waitcnt lgkmcnt(0)
	s_cmp_eq_u64 s[0:1], 0
	s_mul_hi_u32 s3, s28, s3
	s_cbranch_scc1 .LBB188_3
; %bb.2:
	s_ashr_i32 s7, s6, 31
	s_lshl_b64 s[12:13], s[6:7], 2
	s_add_u32 s0, s0, s12
	s_addc_u32 s1, s1, s13
	s_load_dword s34, s[0:1], 0x0
.LBB188_3:
	s_clause 0x1
	s_load_dwordx2 s[22:23], s[4:5], 0x38
	s_load_dwordx4 s[12:15], s[4:5], 0x58
	v_cmp_gt_u32_e64 s0, 32, v58
	s_ashr_i32 s1, s6, 31
	s_waitcnt lgkmcnt(0)
	s_ashr_i32 s15, s10, 31
	s_lshl_b32 s10, s6, 8
	s_and_saveexec_b32 s7, s0
	s_cbranch_execz .LBB188_5
; %bb.4:
	s_load_dwordx2 s[16:17], s[4:5], 0x18
	s_mul_i32 s18, s12, s24
	v_lshlrev_b32_e32 v4, 4, v58
	s_ashr_i32 s19, s18, 31
	s_lshl_b64 s[18:19], s[18:19], 1
	s_waitcnt lgkmcnt(0)
	s_add_u32 s12, s16, s18
	s_addc_u32 s18, s17, s19
	s_ashr_i32 s11, s10, 31
	s_lshl_b64 s[16:17], s[10:11], 1
	s_add_u32 s16, s12, s16
	s_addc_u32 s17, s18, s17
	global_load_dwordx4 v[0:3], v4, s[16:17]
	s_waitcnt vmcnt(0)
	ds_write_b128 v4, v[0:3]
.LBB188_5:
	s_or_b32 exec_lo, exec_lo, s7
	s_add_i32 s7, s25, 31
	s_clause 0x1
	s_load_dwordx4 s[16:19], s[4:5], 0x0
	s_load_dwordx2 s[20:21], s[4:5], 0x10
	s_ashr_i32 s11, s7, 31
	s_lshl_b32 s30, s8, 4
	s_lshr_b32 s11, s11, 27
	s_mul_i32 s35, s3, s2
	s_add_i32 s7, s7, s11
	s_add_i32 s11, s30, 16
	s_ashr_i32 s12, s7, 5
	s_clause 0x2
	s_load_dwordx2 s[26:27], s[4:5], 0x28
	s_load_dword s7, s[4:5], 0x98
	s_load_dword s29, s[4:5], 0x48
	s_xor_b32 s1, s1, s15
	s_sub_i32 s15, s28, s35
	s_min_i32 s11, s11, s12
	s_add_i32 s28, s3, 1
	s_sub_i32 s35, s15, s2
	s_cmp_ge_u32 s15, s2
	v_lshrrev_b32_e32 v59, 5, v58
	s_cselect_b32 s3, s28, s3
	s_cselect_b32 s15, s35, s15
	s_add_i32 s28, s3, 1
	s_cmp_ge_u32 s15, s2
	v_add_nc_u32_e32 v25, s30, v59
	v_and_b32_e32 v60, 31, v58
	s_cselect_b32 s2, s28, s3
	v_mov_b32_e32 v126, 0xff7fffff
	s_xor_b32 s2, s2, s1
	v_lshlrev_b32_e32 v28, 5, v59
	s_sub_i32 s2, s2, s1
	v_cmp_gt_i32_e64 s1, s11, v25
	v_lshlrev_b32_e32 v27, 2, v60
	v_ashrrev_i32_e32 v26, 31, v25
	s_waitcnt lgkmcnt(0)
	s_mul_i32 s28, s29, s24
	s_mul_i32 s14, s2, s14
	s_ashr_i32 s29, s28, 31
	s_barrier
	buffer_gl0_inv
	s_mov_b32 s35, exec_lo
	s_and_b32 s2, s35, s1
	buffer_store_dword v58, off, s[40:43], 0 offset:884 ; 4-byte Folded Spill
	buffer_store_dword v59, off, s[40:43], 0 offset:888 ; 4-byte Folded Spill
	;; [unrolled: 1-line block ×3, first 2 shown]
	s_mov_b32 exec_lo, s2
	s_cbranch_execz .LBB188_9
; %bb.6:
	v_mov_b32_e32 v0, 0
	s_load_dwordx2 s[2:3], s[4:5], 0x20
	s_ashr_i32 s15, s14, 31
	v_add3_u32 v54, s33, v28, v60
	s_lshl_b64 s[4:5], s[14:15], 1
	ds_read_b128 v[1:4], v0
	ds_read_b128 v[5:8], v0 offset:16
	ds_read_b128 v[9:12], v0 offset:32
	;; [unrolled: 1-line block ×5, first 2 shown]
	v_mov_b32_e32 v126, 0xff7fffff
	s_mov_b32 s15, s13
	s_waitcnt lgkmcnt(0)
	v_and_b32_e32 v29, 0xffff0000, v1
	v_lshlrev_b32_e32 v1, 16, v1
	s_add_u32 s36, s2, s4
	s_addc_u32 s37, s3, s5
	s_lshl_b64 s[2:3], s[28:29], 2
	buffer_store_dword v29, off, s[40:43], 0 ; 4-byte Folded Spill
	buffer_store_dword v1, off, s[40:43], 0 offset:16 ; 4-byte Folded Spill
	v_and_b32_e32 v1, 0xffff0000, v5
	s_sub_i32 s4, 1, s25
	s_add_u32 s2, s22, s2
	s_addc_u32 s3, s23, s3
	s_mov_b32 s5, 0
	buffer_store_dword v1, off, s[40:43], 0 offset:32 ; 4-byte Folded Spill
	v_lshlrev_b32_e32 v1, 16, v5
	v_lshlrev_b32_e32 v5, 16, v11
	buffer_store_dword v1, off, s[40:43], 0 offset:48 ; 4-byte Folded Spill
	v_and_b32_e32 v1, 0xffff0000, v9
	buffer_store_dword v5, off, s[40:43], 0 offset:192 ; 4-byte Folded Spill
	v_and_b32_e32 v5, 0xffff0000, v8
	buffer_store_dword v1, off, s[40:43], 0 offset:64 ; 4-byte Folded Spill
	v_lshlrev_b32_e32 v1, 16, v9
	buffer_store_dword v5, off, s[40:43], 0 offset:196 ; 4-byte Folded Spill
	v_lshlrev_b32_e32 v5, 16, v8
	v_lshlrev_b32_e32 v9, 16, v19
	buffer_store_dword v1, off, s[40:43], 0 offset:88 ; 4-byte Folded Spill
	v_and_b32_e32 v1, 0xffff0000, v13
	buffer_store_dword v5, off, s[40:43], 0 offset:200 ; 4-byte Folded Spill
	v_and_b32_e32 v5, 0xffff0000, v15
	buffer_store_dword v9, off, s[40:43], 0 offset:228 ; 4-byte Folded Spill
	v_and_b32_e32 v9, 0xffff0000, v16
	buffer_store_dword v1, off, s[40:43], 0 offset:92 ; 4-byte Folded Spill
	v_lshlrev_b32_e32 v1, 16, v13
	buffer_store_dword v5, off, s[40:43], 0 offset:204 ; 4-byte Folded Spill
	v_lshlrev_b32_e32 v5, 16, v15
	v_lshlrev_b32_e32 v13, 16, v24
	buffer_store_dword v9, off, s[40:43], 0 offset:232 ; 4-byte Folded Spill
	buffer_store_dword v1, off, s[40:43], 0 offset:96 ; 4-byte Folded Spill
	v_and_b32_e32 v1, 0xffff0000, v17
	buffer_store_dword v5, off, s[40:43], 0 offset:208 ; 4-byte Folded Spill
	v_and_b32_e32 v5, 0xffff0000, v12
	buffer_store_dword v13, off, s[40:43], 0 offset:260 ; 4-byte Folded Spill
	v_lshlrev_b32_e32 v9, 16, v16
	buffer_store_dword v1, off, s[40:43], 0 offset:100 ; 4-byte Folded Spill
	v_lshlrev_b32_e32 v1, 16, v17
	;; [unrolled: 2-line block ×3, first 2 shown]
	buffer_store_dword v9, off, s[40:43], 0 offset:236 ; 4-byte Folded Spill
	v_and_b32_e32 v9, 0xffff0000, v23
	buffer_store_dword v1, off, s[40:43], 0 offset:104 ; 4-byte Folded Spill
	v_and_b32_e32 v1, 0xffff0000, v21
	;; [unrolled: 2-line block ×3, first 2 shown]
	buffer_store_dword v9, off, s[40:43], 0 offset:240 ; 4-byte Folded Spill
	v_lshlrev_b32_e32 v9, 16, v23
	buffer_store_dword v1, off, s[40:43], 0 offset:108 ; 4-byte Folded Spill
	v_lshlrev_b32_e32 v1, 16, v21
	buffer_store_dword v5, off, s[40:43], 0 offset:220 ; 4-byte Folded Spill
	buffer_store_dword v9, off, s[40:43], 0 offset:244 ; 4-byte Folded Spill
	v_and_b32_e32 v9, 0xffff0000, v20
	buffer_store_dword v1, off, s[40:43], 0 offset:112 ; 4-byte Folded Spill
	v_and_b32_e32 v1, 0xffff0000, v2
	buffer_store_dword v9, off, s[40:43], 0 offset:248 ; 4-byte Folded Spill
	v_lshlrev_b32_e32 v9, 16, v20
	buffer_store_dword v1, off, s[40:43], 0 offset:116 ; 4-byte Folded Spill
	v_lshlrev_b32_e32 v1, 16, v2
	buffer_store_dword v9, off, s[40:43], 0 offset:252 ; 4-byte Folded Spill
	v_and_b32_e32 v9, 0xffff0000, v24
	buffer_store_dword v1, off, s[40:43], 0 offset:120 ; 4-byte Folded Spill
	v_and_b32_e32 v1, 0xffff0000, v6
	buffer_store_dword v9, off, s[40:43], 0 offset:256 ; 4-byte Folded Spill
	buffer_store_dword v1, off, s[40:43], 0 offset:124 ; 4-byte Folded Spill
	v_lshlrev_b32_e32 v1, 16, v6
	buffer_store_dword v1, off, s[40:43], 0 offset:128 ; 4-byte Folded Spill
	v_and_b32_e32 v1, 0xffff0000, v10
	buffer_store_dword v1, off, s[40:43], 0 offset:132 ; 4-byte Folded Spill
	v_lshlrev_b32_e32 v1, 16, v10
	buffer_store_dword v1, off, s[40:43], 0 offset:136 ; 4-byte Folded Spill
	v_and_b32_e32 v1, 0xffff0000, v14
	;; [unrolled: 4-line block ×6, first 2 shown]
	buffer_store_dword v1, off, s[40:43], 0 offset:172 ; 4-byte Folded Spill
	v_lshlrev_b32_e32 v1, 16, v7
	ds_read_b128 v[5:8], v0 offset:112
	buffer_store_dword v1, off, s[40:43], 0 offset:176 ; 4-byte Folded Spill
	v_and_b32_e32 v1, 0xffff0000, v4
	buffer_store_dword v1, off, s[40:43], 0 offset:180 ; 4-byte Folded Spill
	v_lshlrev_b32_e32 v1, 16, v4
	buffer_store_dword v1, off, s[40:43], 0 offset:184 ; 4-byte Folded Spill
	v_and_b32_e32 v1, 0xffff0000, v11
	ds_read_b128 v[9:12], v0 offset:128
	buffer_store_dword v1, off, s[40:43], 0 offset:188 ; 4-byte Folded Spill
	ds_read_b128 v[1:4], v0 offset:96
	s_waitcnt lgkmcnt(0)
	v_and_b32_e32 v13, 0xffff0000, v1
	v_lshlrev_b32_e32 v1, 16, v1
	buffer_store_dword v13, off, s[40:43], 0 offset:264 ; 4-byte Folded Spill
	buffer_store_dword v1, off, s[40:43], 0 offset:268 ; 4-byte Folded Spill
	v_and_b32_e32 v1, 0xffff0000, v2
	ds_read_b128 v[13:16], v0 offset:144
	buffer_store_dword v1, off, s[40:43], 0 offset:272 ; 4-byte Folded Spill
	v_lshlrev_b32_e32 v1, 16, v2
	buffer_store_dword v1, off, s[40:43], 0 offset:276 ; 4-byte Folded Spill
	v_and_b32_e32 v1, 0xffff0000, v3
	buffer_store_dword v1, off, s[40:43], 0 offset:280 ; 4-byte Folded Spill
	v_lshlrev_b32_e32 v1, 16, v3
	buffer_store_dword v1, off, s[40:43], 0 offset:284 ; 4-byte Folded Spill
	v_and_b32_e32 v1, 0xffff0000, v4
	;; [unrolled: 4-line block ×3, first 2 shown]
	buffer_store_dword v1, off, s[40:43], 0 offset:296 ; 4-byte Folded Spill
	v_lshlrev_b32_e32 v1, 16, v5
	v_lshlrev_b32_e32 v5, 16, v8
	buffer_store_dword v1, off, s[40:43], 0 offset:300 ; 4-byte Folded Spill
	v_and_b32_e32 v1, 0xffff0000, v6
	buffer_store_dword v5, off, s[40:43], 0 offset:324 ; 4-byte Folded Spill
	v_and_b32_e32 v5, 0xffff0000, v9
	buffer_store_dword v1, off, s[40:43], 0 offset:304 ; 4-byte Folded Spill
	v_lshlrev_b32_e32 v1, 16, v6
	buffer_store_dword v5, off, s[40:43], 0 offset:328 ; 4-byte Folded Spill
	v_lshlrev_b32_e32 v5, 16, v9
	v_lshlrev_b32_e32 v9, 16, v12
	buffer_store_dword v1, off, s[40:43], 0 offset:308 ; 4-byte Folded Spill
	v_and_b32_e32 v1, 0xffff0000, v7
	buffer_store_dword v5, off, s[40:43], 0 offset:332 ; 4-byte Folded Spill
	v_and_b32_e32 v5, 0xffff0000, v10
	buffer_store_dword v9, off, s[40:43], 0 offset:356 ; 4-byte Folded Spill
	s_waitcnt lgkmcnt(0)
	v_and_b32_e32 v9, 0xffff0000, v13
	buffer_store_dword v1, off, s[40:43], 0 offset:312 ; 4-byte Folded Spill
	v_lshlrev_b32_e32 v1, 16, v7
	buffer_store_dword v5, off, s[40:43], 0 offset:336 ; 4-byte Folded Spill
	v_lshlrev_b32_e32 v5, 16, v10
	;; [unrolled: 2-line block ×3, first 2 shown]
	buffer_store_dword v1, off, s[40:43], 0 offset:316 ; 4-byte Folded Spill
	v_and_b32_e32 v1, 0xffff0000, v8
	buffer_store_dword v5, off, s[40:43], 0 offset:340 ; 4-byte Folded Spill
	v_and_b32_e32 v5, 0xffff0000, v11
	v_and_b32_e32 v13, 0xffff0000, v16
	buffer_store_dword v9, off, s[40:43], 0 offset:364 ; 4-byte Folded Spill
	buffer_store_dword v1, off, s[40:43], 0 offset:320 ; 4-byte Folded Spill
	ds_read_b128 v[1:4], v0 offset:160
	buffer_store_dword v5, off, s[40:43], 0 offset:344 ; 4-byte Folded Spill
	v_lshlrev_b32_e32 v5, 16, v11
	buffer_store_dword v13, off, s[40:43], 0 offset:384 ; 4-byte Folded Spill
	v_lshlrev_b32_e32 v13, 16, v16
	v_and_b32_e32 v9, 0xffff0000, v14
	buffer_store_dword v5, off, s[40:43], 0 offset:348 ; 4-byte Folded Spill
	v_and_b32_e32 v5, 0xffff0000, v12
	buffer_store_dword v13, off, s[40:43], 0 offset:388 ; 4-byte Folded Spill
	buffer_store_dword v9, off, s[40:43], 0 offset:368 ; 4-byte Folded Spill
	v_lshlrev_b32_e32 v9, 16, v14
	buffer_store_dword v5, off, s[40:43], 0 offset:352 ; 4-byte Folded Spill
	ds_read_b128 v[5:8], v0 offset:176
	buffer_store_dword v9, off, s[40:43], 0 offset:372 ; 4-byte Folded Spill
	v_and_b32_e32 v9, 0xffff0000, v15
	s_waitcnt lgkmcnt(1)
	v_and_b32_e32 v13, 0xffff0000, v1
	v_lshlrev_b32_e32 v1, 16, v1
	buffer_store_dword v9, off, s[40:43], 0 offset:376 ; 4-byte Folded Spill
	v_lshlrev_b32_e32 v9, 16, v15
	buffer_store_dword v13, off, s[40:43], 0 offset:392 ; 4-byte Folded Spill
	buffer_store_dword v1, off, s[40:43], 0 offset:396 ; 4-byte Folded Spill
	v_and_b32_e32 v1, 0xffff0000, v2
	buffer_store_dword v9, off, s[40:43], 0 offset:380 ; 4-byte Folded Spill
	ds_read_b128 v[9:12], v0 offset:192
	ds_read_b128 v[13:16], v0 offset:208
	buffer_store_dword v1, off, s[40:43], 0 offset:400 ; 4-byte Folded Spill
	v_lshlrev_b32_e32 v1, 16, v2
	buffer_store_dword v1, off, s[40:43], 0 offset:404 ; 4-byte Folded Spill
	v_and_b32_e32 v1, 0xffff0000, v3
	buffer_store_dword v1, off, s[40:43], 0 offset:408 ; 4-byte Folded Spill
	v_lshlrev_b32_e32 v1, 16, v3
	buffer_store_dword v1, off, s[40:43], 0 offset:412 ; 4-byte Folded Spill
	v_and_b32_e32 v1, 0xffff0000, v4
	buffer_store_dword v1, off, s[40:43], 0 offset:416 ; 4-byte Folded Spill
	v_lshlrev_b32_e32 v1, 16, v4
	buffer_store_dword v1, off, s[40:43], 0 offset:420 ; 4-byte Folded Spill
	s_waitcnt lgkmcnt(2)
	v_and_b32_e32 v1, 0xffff0000, v5
	buffer_store_dword v1, off, s[40:43], 0 offset:424 ; 4-byte Folded Spill
	v_lshlrev_b32_e32 v1, 16, v5
	buffer_store_dword v1, off, s[40:43], 0 offset:428 ; 4-byte Folded Spill
	v_and_b32_e32 v1, 0xffff0000, v6
	buffer_store_dword v1, off, s[40:43], 0 offset:432 ; 4-byte Folded Spill
	v_lshlrev_b32_e32 v1, 16, v6
	buffer_store_dword v1, off, s[40:43], 0 offset:436 ; 4-byte Folded Spill
	v_and_b32_e32 v1, 0xffff0000, v7
	buffer_store_dword v1, off, s[40:43], 0 offset:440 ; 4-byte Folded Spill
	v_lshlrev_b32_e32 v1, 16, v7
	buffer_store_dword v1, off, s[40:43], 0 offset:444 ; 4-byte Folded Spill
	v_and_b32_e32 v1, 0xffff0000, v8
	buffer_store_dword v1, off, s[40:43], 0 offset:448 ; 4-byte Folded Spill
	v_lshlrev_b32_e32 v1, 16, v8
	buffer_store_dword v1, off, s[40:43], 0 offset:452 ; 4-byte Folded Spill
	s_waitcnt lgkmcnt(1)
	v_and_b32_e32 v1, 0xffff0000, v9
	buffer_store_dword v1, off, s[40:43], 0 offset:456 ; 4-byte Folded Spill
	v_lshlrev_b32_e32 v1, 16, v9
	buffer_store_dword v1, off, s[40:43], 0 offset:460 ; 4-byte Folded Spill
	v_and_b32_e32 v1, 0xffff0000, v10
	;; [unrolled: 17-line block ×3, first 2 shown]
	buffer_store_dword v1, off, s[40:43], 0 offset:496 ; 4-byte Folded Spill
	v_lshlrev_b32_e32 v1, 16, v14
	buffer_store_dword v1, off, s[40:43], 0 offset:500 ; 4-byte Folded Spill
	v_and_b32_e32 v1, 0xffff0000, v15
	buffer_store_dword v1, off, s[40:43], 0 offset:504 ; 4-byte Folded Spill
	v_lshlrev_b32_e32 v1, 16, v15
	buffer_store_dword v1, off, s[40:43], 0 offset:508 ; 4-byte Folded Spill
	v_and_b32_e32 v1, 0xffff0000, v16
	buffer_store_dword v1, off, s[40:43], 0 offset:512 ; 4-byte Folded Spill
	v_lshlrev_b32_e32 v1, 16, v16
	buffer_store_dword v1, off, s[40:43], 0 offset:516 ; 4-byte Folded Spill
	ds_read_b128 v[1:4], v0 offset:224
	ds_read_b128 v[5:8], v0 offset:240
	s_waitcnt lgkmcnt(1)
	v_and_b32_e32 v9, 0xffff0000, v1
	v_lshlrev_b32_e32 v1, 16, v1
	buffer_store_dword v9, off, s[40:43], 0 offset:520 ; 4-byte Folded Spill
	buffer_store_dword v1, off, s[40:43], 0 offset:524 ; 4-byte Folded Spill
	v_and_b32_e32 v1, 0xffff0000, v2
	buffer_store_dword v1, off, s[40:43], 0 offset:528 ; 4-byte Folded Spill
	v_lshlrev_b32_e32 v1, 16, v2
	buffer_store_dword v1, off, s[40:43], 0 offset:532 ; 4-byte Folded Spill
	v_and_b32_e32 v1, 0xffff0000, v3
	buffer_store_dword v1, off, s[40:43], 0 offset:536 ; 4-byte Folded Spill
	v_lshlrev_b32_e32 v1, 16, v3
	buffer_store_dword v1, off, s[40:43], 0 offset:540 ; 4-byte Folded Spill
	v_and_b32_e32 v1, 0xffff0000, v4
	buffer_store_dword v1, off, s[40:43], 0 offset:544 ; 4-byte Folded Spill
	v_lshlrev_b32_e32 v1, 16, v4
	buffer_store_dword v1, off, s[40:43], 0 offset:548 ; 4-byte Folded Spill
	s_waitcnt lgkmcnt(0)
	v_and_b32_e32 v1, 0xffff0000, v5
	buffer_store_dword v1, off, s[40:43], 0 offset:552 ; 4-byte Folded Spill
	v_lshlrev_b32_e32 v1, 16, v5
	buffer_store_dword v1, off, s[40:43], 0 offset:556 ; 4-byte Folded Spill
	v_and_b32_e32 v1, 0xffff0000, v6
	buffer_store_dword v1, off, s[40:43], 0 offset:560 ; 4-byte Folded Spill
	v_lshlrev_b32_e32 v1, 16, v6
	buffer_store_dword v1, off, s[40:43], 0 offset:564 ; 4-byte Folded Spill
	v_and_b32_e32 v1, 0xffff0000, v7
	buffer_store_dword v1, off, s[40:43], 0 offset:568 ; 4-byte Folded Spill
	v_lshlrev_b32_e32 v1, 16, v7
	buffer_store_dword v1, off, s[40:43], 0 offset:572 ; 4-byte Folded Spill
	v_and_b32_e32 v1, 0xffff0000, v8
	buffer_store_dword v1, off, s[40:43], 0 offset:576 ; 4-byte Folded Spill
	v_lshlrev_b32_e32 v1, 16, v8
	buffer_store_dword v1, off, s[40:43], 0 offset:580 ; 4-byte Folded Spill
	ds_read_b128 v[1:4], v0 offset:256
	ds_read_b128 v[5:8], v0 offset:272
	s_waitcnt lgkmcnt(1)
	v_and_b32_e32 v9, 0xffff0000, v1
	v_lshlrev_b32_e32 v1, 16, v1
	buffer_store_dword v9, off, s[40:43], 0 offset:584 ; 4-byte Folded Spill
	buffer_store_dword v1, off, s[40:43], 0 offset:588 ; 4-byte Folded Spill
	v_and_b32_e32 v1, 0xffff0000, v2
	buffer_store_dword v1, off, s[40:43], 0 offset:592 ; 4-byte Folded Spill
	v_lshlrev_b32_e32 v1, 16, v2
	buffer_store_dword v1, off, s[40:43], 0 offset:596 ; 4-byte Folded Spill
	v_and_b32_e32 v1, 0xffff0000, v3
	buffer_store_dword v1, off, s[40:43], 0 offset:600 ; 4-byte Folded Spill
	v_lshlrev_b32_e32 v1, 16, v3
	buffer_store_dword v1, off, s[40:43], 0 offset:604 ; 4-byte Folded Spill
	v_and_b32_e32 v1, 0xffff0000, v4
	buffer_store_dword v1, off, s[40:43], 0 offset:608 ; 4-byte Folded Spill
	v_lshlrev_b32_e32 v1, 16, v4
	buffer_store_dword v1, off, s[40:43], 0 offset:612 ; 4-byte Folded Spill
	s_waitcnt lgkmcnt(0)
	v_and_b32_e32 v1, 0xffff0000, v5
	buffer_store_dword v1, off, s[40:43], 0 offset:616 ; 4-byte Folded Spill
	v_lshlrev_b32_e32 v1, 16, v5
	buffer_store_dword v1, off, s[40:43], 0 offset:620 ; 4-byte Folded Spill
	v_and_b32_e32 v1, 0xffff0000, v6
	;; [unrolled: 36-line block ×5, first 2 shown]
	buffer_store_dword v1, off, s[40:43], 0 offset:816 ; 4-byte Folded Spill
	v_lshlrev_b32_e32 v1, 16, v6
	buffer_store_dword v1, off, s[40:43], 0 offset:820 ; 4-byte Folded Spill
	v_and_b32_e32 v1, 0xffff0000, v7
	buffer_store_dword v1, off, s[40:43], 0 offset:824 ; 4-byte Folded Spill
	v_lshlrev_b32_e32 v1, 16, v7
	buffer_store_dword v1, off, s[40:43], 0 offset:828 ; 4-byte Folded Spill
	v_and_b32_e32 v1, 0xffff0000, v8
	buffer_store_dword v1, off, s[40:43], 0 offset:832 ; 4-byte Folded Spill
	v_lshlrev_b32_e32 v1, 16, v8
	buffer_store_dword v1, off, s[40:43], 0 offset:836 ; 4-byte Folded Spill
	ds_read_b128 v[1:4], v0 offset:384
	ds_read_b128 v[5:8], v0 offset:400
	s_waitcnt lgkmcnt(1)
	v_and_b32_e32 v9, 0xffff0000, v1
	v_lshlrev_b32_e32 v1, 16, v1
	s_waitcnt lgkmcnt(0)
	v_lshlrev_b32_e32 v81, 16, v6
	v_and_b32_e32 v82, 0xffff0000, v7
	v_lshlrev_b32_e32 v83, 16, v7
	buffer_store_dword v9, off, s[40:43], 0 offset:840 ; 4-byte Folded Spill
	buffer_store_dword v1, off, s[40:43], 0 offset:844 ; 4-byte Folded Spill
	v_and_b32_e32 v1, 0xffff0000, v2
	v_and_b32_e32 v84, 0xffff0000, v8
	v_lshlrev_b32_e32 v85, 16, v8
	buffer_store_dword v1, off, s[40:43], 0 offset:848 ; 4-byte Folded Spill
	v_lshlrev_b32_e32 v1, 16, v2
	buffer_store_dword v1, off, s[40:43], 0 offset:852 ; 4-byte Folded Spill
	v_and_b32_e32 v1, 0xffff0000, v3
	buffer_store_dword v1, off, s[40:43], 0 offset:856 ; 4-byte Folded Spill
	v_lshlrev_b32_e32 v1, 16, v3
	buffer_store_dword v1, off, s[40:43], 0 offset:860 ; 4-byte Folded Spill
	v_and_b32_e32 v1, 0xffff0000, v4
	;; [unrolled: 4-line block ×4, first 2 shown]
	buffer_store_dword v1, off, s[40:43], 0 offset:880 ; 4-byte Folded Spill
	ds_read_b128 v[1:4], v0 offset:416
	ds_read_b128 v[5:8], v0 offset:432
	s_waitcnt lgkmcnt(1)
	v_and_b32_e32 v86, 0xffff0000, v1
	v_lshlrev_b32_e32 v87, 16, v1
	v_and_b32_e32 v88, 0xffff0000, v2
	v_lshlrev_b32_e32 v89, 16, v2
	;; [unrolled: 2-line block ×4, first 2 shown]
	s_waitcnt lgkmcnt(0)
	v_and_b32_e32 v94, 0xffff0000, v5
	v_lshlrev_b32_e32 v95, 16, v5
	v_and_b32_e32 v96, 0xffff0000, v6
	v_lshlrev_b32_e32 v97, 16, v6
	;; [unrolled: 2-line block ×4, first 2 shown]
	ds_read_b128 v[1:4], v0 offset:448
	ds_read_b128 v[5:8], v0 offset:464
	s_waitcnt lgkmcnt(1)
	v_and_b32_e32 v102, 0xffff0000, v1
	v_lshlrev_b32_e32 v103, 16, v1
	v_and_b32_e32 v104, 0xffff0000, v2
	v_lshlrev_b32_e32 v105, 16, v2
	;; [unrolled: 2-line block ×4, first 2 shown]
	s_waitcnt lgkmcnt(0)
	v_and_b32_e32 v110, 0xffff0000, v5
	v_lshlrev_b32_e32 v111, 16, v5
	v_and_b32_e32 v112, 0xffff0000, v6
	v_lshlrev_b32_e32 v113, 16, v6
	;; [unrolled: 2-line block ×4, first 2 shown]
	ds_read_b128 v[1:4], v0 offset:480
	ds_read_b128 v[5:8], v0 offset:496
	buffer_store_dword v27, off, s[40:43], 0 offset:900 ; 4-byte Folded Spill
	buffer_store_dword v28, off, s[40:43], 0 offset:896 ; 4-byte Folded Spill
	s_waitcnt lgkmcnt(1)
	v_and_b32_e32 v118, 0xffff0000, v1
	v_lshlrev_b32_e32 v119, 16, v1
	v_and_b32_e32 v120, 0xffff0000, v2
	v_lshlrev_b32_e32 v121, 16, v2
	v_lshlrev_b64 v[1:2], 2, v[25:26]
	buffer_store_dword v25, off, s[40:43], 0 offset:80 ; 4-byte Folded Spill
	buffer_store_dword v26, off, s[40:43], 0 offset:84 ; 4-byte Folded Spill
	v_and_b32_e32 v122, 0xffff0000, v3
	v_lshlrev_b32_e32 v123, 16, v3
	v_and_b32_e32 v124, 0xffff0000, v4
	v_lshlrev_b32_e32 v125, 16, v4
	v_add_co_u32 v41, vcc_lo, s2, v1
	v_lshl_or_b32 v1, v59, 7, v27
	s_waitcnt lgkmcnt(0)
	v_and_b32_e32 v127, 0xffff0000, v5
	v_lshlrev_b32_e32 v45, 16, v5
	v_and_b32_e32 v0, 0xffff0000, v6
	v_lshlrev_b32_e32 v46, 16, v6
	v_add_nc_u32_e32 v51, 0x220, v1
	v_lshlrev_b32_e32 v1, 4, v60
	v_and_b32_e32 v47, 0xffff0000, v7
	v_lshlrev_b32_e32 v48, 16, v7
	v_and_b32_e32 v49, 0xffff0000, v8
	v_lshlrev_b32_e32 v50, 16, v8
	v_add_co_u32 v52, s2, s36, v1
	v_add_co_ci_u32_e64 v42, null, s3, v2, vcc_lo
	v_cmp_neq_f32_e64 vcc_lo, s34, 0
	v_add_co_ci_u32_e64 v53, null, s37, 0, s2
	v_mov_b32_e32 v55, v25
.LBB188_7:                              ; =>This Inner Loop Header: Depth=1
	global_load_dword v1, v[41:42], off
	v_add_nc_u32_e32 v55, 4, v55
	s_waitcnt vmcnt(0)
	v_mad_i64_i32 v[1:2], null, v1, s15, 0
	v_lshlrev_b64 v[1:2], 1, v[1:2]
	v_add_co_u32 v43, s2, v52, v1
	v_add_nc_u32_e32 v1, s4, v54
	v_add_co_ci_u32_e64 v44, null, v53, v2, s2
	v_cmp_gt_i32_e64 s2, s25, v54
	v_add_nc_u32_e32 v54, 0x80, v54
	v_cvt_f32_i32_e32 v1, v1
	s_clause 0x3
	global_load_dwordx4 v[33:36], v[43:44], off
	global_load_dwordx4 v[29:32], v[43:44], off offset:512
	global_load_dwordx4 v[25:28], v[43:44], off offset:1024
	;; [unrolled: 1-line block ×3, first 2 shown]
	v_mul_f32_e32 v1, s34, v1
	v_cndmask_b32_e32 v56, 0, v1, vcc_lo
	v_add_co_u32 v1, s3, 0x800, v43
	v_add_co_ci_u32_e64 v2, null, 0, v44, s3
	v_add_co_u32 v3, s3, v43, 0x1000
	v_add_co_ci_u32_e64 v4, null, 0, v44, s3
	s_clause 0x3
	global_load_dwordx4 v[17:20], v[3:4], off offset:-2048
	global_load_dwordx4 v[13:16], v[1:2], off offset:512
	global_load_dwordx4 v[9:12], v[1:2], off offset:1024
	;; [unrolled: 1-line block ×3, first 2 shown]
	buffer_load_dword v57, off, s[40:43], 0 offset:48 ; 4-byte Folded Reload
	global_load_dwordx4 v[1:4], v[3:4], off
	v_add_co_u32 v37, s3, 0x1000, v43
	v_add_co_ci_u32_e64 v38, null, 0, v44, s3
	s_waitcnt vmcnt(9)
	v_lshlrev_b32_e32 v39, 16, v33
	s_waitcnt vmcnt(8)
	v_and_b32_e32 v40, 0xffff0000, v29
	v_lshlrev_b32_e32 v29, 16, v29
	v_and_b32_e32 v33, 0xffff0000, v33
	s_waitcnt vmcnt(1)
	v_mul_f32_e32 v57, v57, v29
	buffer_load_dword v29, off, s[40:43], 0 offset:32 ; 4-byte Folded Reload
	s_waitcnt vmcnt(0)
	v_mul_f32_e32 v58, v29, v40
	buffer_load_dword v29, off, s[40:43], 0 ; 4-byte Folded Reload
	s_waitcnt vmcnt(0)
	v_fmac_f32_e32 v58, v29, v33
	s_clause 0x1
	buffer_load_dword v29, off, s[40:43], 0 offset:16
	buffer_load_dword v33, off, s[40:43], 0 offset:88
	s_waitcnt vmcnt(1)
	v_fmac_f32_e32 v57, v29, v39
	v_and_b32_e32 v29, 0xffff0000, v25
	v_lshlrev_b32_e32 v25, 16, v25
	s_waitcnt vmcnt(0)
	v_fmac_f32_e32 v57, v33, v25
	buffer_load_dword v25, off, s[40:43], 0 offset:64 ; 4-byte Folded Reload
	s_waitcnt vmcnt(0)
	v_fmac_f32_e32 v58, v25, v29
	buffer_load_dword v29, off, s[40:43], 0 offset:92 ; 4-byte Folded Reload
	v_lshlrev_b32_e32 v25, 16, v21
	v_and_b32_e32 v21, 0xffff0000, v21
	s_waitcnt vmcnt(0)
	v_fmac_f32_e32 v58, v29, v21
	buffer_load_dword v21, off, s[40:43], 0 offset:96 ; 4-byte Folded Reload
	s_waitcnt vmcnt(0)
	v_fmac_f32_e32 v57, v21, v25
	buffer_load_dword v25, off, s[40:43], 0 offset:104 ; 4-byte Folded Reload
	v_and_b32_e32 v21, 0xffff0000, v17
	v_lshlrev_b32_e32 v17, 16, v17
	s_waitcnt vmcnt(0)
	v_fmac_f32_e32 v57, v25, v17
	buffer_load_dword v17, off, s[40:43], 0 offset:100 ; 4-byte Folded Reload
	s_waitcnt vmcnt(0)
	v_fmac_f32_e32 v58, v17, v21
	buffer_load_dword v21, off, s[40:43], 0 offset:108 ; 4-byte Folded Reload
	v_lshlrev_b32_e32 v17, 16, v13
	v_and_b32_e32 v13, 0xffff0000, v13
	s_waitcnt vmcnt(0)
	v_fmac_f32_e32 v58, v21, v13
	buffer_load_dword v13, off, s[40:43], 0 offset:112 ; 4-byte Folded Reload
	s_waitcnt vmcnt(0)
	v_fmac_f32_e32 v57, v13, v17
	buffer_load_dword v17, off, s[40:43], 0 offset:268 ; 4-byte Folded Reload
	v_and_b32_e32 v13, 0xffff0000, v9
	v_lshlrev_b32_e32 v9, 16, v9
	s_waitcnt vmcnt(0)
	v_fmac_f32_e32 v57, v17, v9
	s_clause 0x1
	buffer_load_dword v9, off, s[40:43], 0 offset:264
	buffer_load_dword v17, off, s[40:43], 0 offset:128
	s_waitcnt vmcnt(1)
	v_fmac_f32_e32 v58, v9, v13
	buffer_load_dword v13, off, s[40:43], 0 offset:296 ; 4-byte Folded Reload
	v_lshlrev_b32_e32 v9, 16, v5
	v_and_b32_e32 v5, 0xffff0000, v5
	s_waitcnt vmcnt(0)
	v_fmac_f32_e32 v58, v13, v5
	buffer_load_dword v5, off, s[40:43], 0 offset:300 ; 4-byte Folded Reload
	v_lshlrev_b32_e32 v13, 16, v30
	v_mul_f32_e32 v59, v17, v13
	buffer_load_dword v13, off, s[40:43], 0 offset:124 ; 4-byte Folded Reload
	s_waitcnt vmcnt(1)
	v_fmac_f32_e32 v57, v5, v9
	buffer_load_dword v9, off, s[40:43], 0 offset:332 ; 4-byte Folded Reload
	v_and_b32_e32 v5, 0xffff0000, v1
	v_lshlrev_b32_e32 v1, 16, v1
	s_waitcnt vmcnt(0)
	v_fmac_f32_e32 v57, v9, v1
	buffer_load_dword v1, off, s[40:43], 0 offset:328 ; 4-byte Folded Reload
	v_and_b32_e32 v9, 0xffff0000, v30
	v_mul_f32_e32 v60, v13, v9
	buffer_load_dword v9, off, s[40:43], 0 offset:116 ; 4-byte Folded Reload
	s_waitcnt vmcnt(1)
	v_fmac_f32_e32 v58, v1, v5
	v_and_b32_e32 v5, 0xffff0000, v34
	v_lshlrev_b32_e32 v1, 16, v34
	s_waitcnt vmcnt(0)
	v_fmac_f32_e32 v60, v9, v5
	s_clause 0x1
	buffer_load_dword v5, off, s[40:43], 0 offset:120
	buffer_load_dword v9, off, s[40:43], 0 offset:136
	s_waitcnt vmcnt(1)
	v_fmac_f32_e32 v59, v5, v1
	v_lshlrev_b32_e32 v5, 16, v26
	v_and_b32_e32 v1, 0xffff0000, v26
	s_waitcnt vmcnt(0)
	v_fmac_f32_e32 v59, v9, v5
	s_clause 0x1
	buffer_load_dword v5, off, s[40:43], 0 offset:132
	buffer_load_dword v9, off, s[40:43], 0 offset:140
	s_waitcnt vmcnt(1)
	v_fmac_f32_e32 v60, v5, v1
	v_and_b32_e32 v5, 0xffff0000, v22
	v_lshlrev_b32_e32 v1, 16, v22
	s_waitcnt vmcnt(0)
	v_fmac_f32_e32 v60, v9, v5
	s_clause 0x1
	buffer_load_dword v5, off, s[40:43], 0 offset:144
	buffer_load_dword v9, off, s[40:43], 0 offset:152
	s_waitcnt vmcnt(1)
	v_fmac_f32_e32 v59, v5, v1
	v_lshlrev_b32_e32 v5, 16, v18
	v_and_b32_e32 v1, 0xffff0000, v18
	s_waitcnt vmcnt(0)
	v_fmac_f32_e32 v59, v9, v5
	s_clause 0x1
	buffer_load_dword v5, off, s[40:43], 0 offset:148
	buffer_load_dword v9, off, s[40:43], 0 offset:156
	;; [unrolled: 18-line block ×3, first 2 shown]
	s_waitcnt vmcnt(1)
	v_fmac_f32_e32 v60, v5, v1
	v_lshlrev_b32_e32 v1, 16, v6
	v_and_b32_e32 v5, 0xffff0000, v6
	buffer_load_dword v6, off, s[40:43], 0 offset:304 ; 4-byte Folded Reload
	s_waitcnt vmcnt(0)
	v_fmac_f32_e32 v60, v6, v5
	buffer_load_dword v5, off, s[40:43], 0 offset:308 ; 4-byte Folded Reload
	v_lshlrev_b32_e32 v6, 16, v31
	v_mul_f32_e32 v61, v9, v6
	buffer_load_dword v6, off, s[40:43], 0 offset:172 ; 4-byte Folded Reload
	s_waitcnt vmcnt(1)
	v_fmac_f32_e32 v59, v5, v1
	buffer_load_dword v5, off, s[40:43], 0 offset:340 ; 4-byte Folded Reload
	v_and_b32_e32 v1, 0xffff0000, v2
	v_lshlrev_b32_e32 v2, 16, v2
	s_waitcnt vmcnt(0)
	v_fmac_f32_e32 v59, v5, v2
	buffer_load_dword v2, off, s[40:43], 0 offset:336 ; 4-byte Folded Reload
	v_and_b32_e32 v5, 0xffff0000, v31
	v_mul_f32_e32 v62, v6, v5
	s_clause 0x1
	buffer_load_dword v5, off, s[40:43], 0 offset:164
	buffer_load_dword v6, off, s[40:43], 0 offset:200
	s_waitcnt vmcnt(2)
	v_fmac_f32_e32 v60, v2, v1
	v_and_b32_e32 v2, 0xffff0000, v35
	v_lshlrev_b32_e32 v1, 16, v35
	s_waitcnt vmcnt(1)
	v_fmac_f32_e32 v62, v5, v2
	s_clause 0x1
	buffer_load_dword v2, off, s[40:43], 0 offset:168
	buffer_load_dword v5, off, s[40:43], 0 offset:192
	s_waitcnt vmcnt(1)
	v_fmac_f32_e32 v61, v2, v1
	v_lshlrev_b32_e32 v2, 16, v27
	v_and_b32_e32 v1, 0xffff0000, v27
	s_waitcnt vmcnt(0)
	v_fmac_f32_e32 v61, v5, v2
	s_clause 0x1
	buffer_load_dword v2, off, s[40:43], 0 offset:188
	buffer_load_dword v5, off, s[40:43], 0 offset:204
	s_waitcnt vmcnt(1)
	v_fmac_f32_e32 v62, v2, v1
	v_and_b32_e32 v2, 0xffff0000, v23
	v_lshlrev_b32_e32 v1, 16, v23
	s_waitcnt vmcnt(0)
	v_fmac_f32_e32 v62, v5, v2
	s_clause 0x1
	buffer_load_dword v2, off, s[40:43], 0 offset:208
	buffer_load_dword v5, off, s[40:43], 0 offset:228
	s_waitcnt vmcnt(1)
	v_fmac_f32_e32 v61, v2, v1
	v_lshlrev_b32_e32 v2, 16, v19
	v_and_b32_e32 v1, 0xffff0000, v19
	s_waitcnt vmcnt(0)
	v_fmac_f32_e32 v61, v5, v2
	;; [unrolled: 18-line block ×3, first 2 shown]
	s_clause 0x1
	buffer_load_dword v2, off, s[40:43], 0 offset:280
	buffer_load_dword v5, off, s[40:43], 0 offset:312
	s_waitcnt vmcnt(1)
	v_fmac_f32_e32 v62, v2, v1
	v_and_b32_e32 v2, 0xffff0000, v7
	v_lshlrev_b32_e32 v1, 16, v7
	s_waitcnt vmcnt(0)
	v_fmac_f32_e32 v62, v5, v2
	buffer_load_dword v2, off, s[40:43], 0 offset:316 ; 4-byte Folded Reload
	v_lshlrev_b32_e32 v5, 16, v32
	v_mul_f32_e32 v63, v6, v5
	buffer_load_dword v5, off, s[40:43], 0 offset:196 ; 4-byte Folded Reload
	s_waitcnt vmcnt(1)
	v_fmac_f32_e32 v61, v2, v1
	v_and_b32_e32 v1, 0xffff0000, v3
	v_lshlrev_b32_e32 v2, 16, v3
	buffer_load_dword v3, off, s[40:43], 0 offset:348 ; 4-byte Folded Reload
	s_waitcnt vmcnt(0)
	v_fmac_f32_e32 v61, v3, v2
	buffer_load_dword v2, off, s[40:43], 0 offset:344 ; 4-byte Folded Reload
	v_and_b32_e32 v3, 0xffff0000, v32
	v_mul_f32_e32 v64, v5, v3
	buffer_load_dword v3, off, s[40:43], 0 offset:180 ; 4-byte Folded Reload
	s_waitcnt vmcnt(1)
	v_fmac_f32_e32 v62, v2, v1
	v_and_b32_e32 v2, 0xffff0000, v36
	v_lshlrev_b32_e32 v1, 16, v36
	global_load_dwordx4 v[33:36], v[37:38], off offset:1536
	s_waitcnt vmcnt(1)
	v_fmac_f32_e32 v64, v3, v2
	s_clause 0x1
	buffer_load_dword v2, off, s[40:43], 0 offset:184
	buffer_load_dword v3, off, s[40:43], 0 offset:216
	s_waitcnt vmcnt(1)
	v_fmac_f32_e32 v63, v2, v1
	v_lshlrev_b32_e32 v2, 16, v28
	v_and_b32_e32 v1, 0xffff0000, v28
	s_waitcnt vmcnt(0)
	v_fmac_f32_e32 v63, v3, v2
	s_clause 0x1
	buffer_load_dword v2, off, s[40:43], 0 offset:212
	buffer_load_dword v3, off, s[40:43], 0 offset:232
	s_waitcnt vmcnt(1)
	v_fmac_f32_e32 v64, v2, v1
	v_and_b32_e32 v2, 0xffff0000, v24
	v_lshlrev_b32_e32 v1, 16, v24
	s_waitcnt vmcnt(0)
	v_fmac_f32_e32 v64, v3, v2
	s_clause 0x1
	buffer_load_dword v2, off, s[40:43], 0 offset:236
	buffer_load_dword v3, off, s[40:43], 0 offset:252
	s_waitcnt vmcnt(1)
	v_fmac_f32_e32 v63, v2, v1
	v_lshlrev_b32_e32 v2, 16, v20
	v_and_b32_e32 v1, 0xffff0000, v20
	s_waitcnt vmcnt(0)
	v_fmac_f32_e32 v63, v3, v2
	s_clause 0x1
	buffer_load_dword v2, off, s[40:43], 0 offset:248
	buffer_load_dword v3, off, s[40:43], 0 offset:256
	s_waitcnt vmcnt(1)
	v_fmac_f32_e32 v64, v2, v1
	v_and_b32_e32 v2, 0xffff0000, v16
	v_lshlrev_b32_e32 v1, 16, v16
	;; [unrolled: 18-line block ×3, first 2 shown]
	s_waitcnt vmcnt(0)
	v_fmac_f32_e32 v64, v3, v2
	s_clause 0x1
	buffer_load_dword v2, off, s[40:43], 0 offset:324
	buffer_load_dword v3, off, s[40:43], 0 offset:356
	s_waitcnt vmcnt(1)
	v_fmac_f32_e32 v63, v2, v1
	v_lshlrev_b32_e32 v2, 16, v4
	v_and_b32_e32 v1, 0xffff0000, v4
	s_waitcnt vmcnt(0)
	v_fmac_f32_e32 v63, v3, v2
	buffer_load_dword v2, off, s[40:43], 0 offset:352 ; 4-byte Folded Reload
	s_waitcnt vmcnt(0)
	v_fmac_f32_e32 v64, v2, v1
	global_load_dwordx4 v[1:4], v[37:38], off offset:512
	s_waitcnt vmcnt(0)
	v_lshlrev_b32_e32 v71, 16, v1
	v_and_b32_e32 v72, 0xffff0000, v1
	v_lshlrev_b32_e32 v73, 16, v2
	v_and_b32_e32 v74, 0xffff0000, v2
	;; [unrolled: 2-line block ×4, first 2 shown]
	global_load_dwordx4 v[1:4], v[37:38], off offset:1024
	s_waitcnt vmcnt(0)
	v_and_b32_e32 v75, 0xffff0000, v1
	v_lshlrev_b32_e32 v76, 16, v1
	v_add_co_u32 v1, s3, 0x1800, v43
	v_and_b32_e32 v77, 0xffff0000, v2
	v_lshlrev_b32_e32 v78, 16, v2
	v_and_b32_e32 v69, 0xffff0000, v3
	v_lshlrev_b32_e32 v70, 16, v3
	v_add_co_ci_u32_e64 v2, null, 0, v44, s3
	v_add_co_u32 v3, s3, v43, 0x2000
	v_and_b32_e32 v65, 0xffff0000, v4
	v_lshlrev_b32_e32 v66, 16, v4
	v_add_co_ci_u32_e64 v4, null, 0, v44, s3
	s_clause 0x3
	global_load_dwordx4 v[29:32], v[3:4], off offset:-2048
	global_load_dwordx4 v[25:28], v[1:2], off offset:512
	global_load_dwordx4 v[21:24], v[1:2], off offset:1024
	;; [unrolled: 1-line block ×3, first 2 shown]
	v_add_co_u32 v1, s3, 0x2000, v43
	v_add_co_ci_u32_e64 v2, null, 0, v44, s3
	s_clause 0x3
	global_load_dwordx4 v[13:16], v[3:4], off
	global_load_dwordx4 v[9:12], v[1:2], off offset:512
	global_load_dwordx4 v[5:8], v[1:2], off offset:1024
	;; [unrolled: 1-line block ×3, first 2 shown]
	s_clause 0x1
	buffer_load_dword v37, off, s[40:43], 0 offset:360
	buffer_load_dword v38, off, s[40:43], 0 offset:424
	s_waitcnt vmcnt(1)
	v_fmac_f32_e32 v58, v37, v72
	buffer_load_dword v37, off, s[40:43], 0 offset:364 ; 4-byte Folded Reload
	s_waitcnt vmcnt(0)
	v_fmac_f32_e32 v57, v37, v71
	buffer_load_dword v37, off, s[40:43], 0 offset:396 ; 4-byte Folded Reload
	;; [unrolled: 3-line block ×3, first 2 shown]
	s_waitcnt vmcnt(0)
	v_fmac_f32_e32 v58, v37, v75
	v_lshlrev_b32_e32 v37, 16, v33
	v_and_b32_e32 v33, 0xffff0000, v33
	v_fmac_f32_e32 v58, v38, v33
	buffer_load_dword v33, off, s[40:43], 0 offset:428 ; 4-byte Folded Reload
	s_waitcnt vmcnt(0)
	v_fmac_f32_e32 v57, v33, v37
	buffer_load_dword v37, off, s[40:43], 0 offset:460 ; 4-byte Folded Reload
	v_and_b32_e32 v33, 0xffff0000, v29
	v_lshlrev_b32_e32 v29, 16, v29
	s_waitcnt vmcnt(0)
	v_fmac_f32_e32 v57, v37, v29
	buffer_load_dword v29, off, s[40:43], 0 offset:456 ; 4-byte Folded Reload
	s_waitcnt vmcnt(0)
	v_fmac_f32_e32 v58, v29, v33
	buffer_load_dword v33, off, s[40:43], 0 offset:488 ; 4-byte Folded Reload
	v_lshlrev_b32_e32 v29, 16, v25
	v_and_b32_e32 v25, 0xffff0000, v25
	s_waitcnt vmcnt(0)
	v_fmac_f32_e32 v58, v33, v25
	buffer_load_dword v25, off, s[40:43], 0 offset:492 ; 4-byte Folded Reload
	s_waitcnt vmcnt(0)
	v_fmac_f32_e32 v57, v25, v29
	buffer_load_dword v29, off, s[40:43], 0 offset:524 ; 4-byte Folded Reload
	v_and_b32_e32 v25, 0xffff0000, v21
	v_lshlrev_b32_e32 v21, 16, v21
	s_waitcnt vmcnt(0)
	v_fmac_f32_e32 v57, v29, v21
	buffer_load_dword v21, off, s[40:43], 0 offset:520 ; 4-byte Folded Reload
	s_waitcnt vmcnt(0)
	v_fmac_f32_e32 v58, v21, v25
	buffer_load_dword v25, off, s[40:43], 0 offset:552 ; 4-byte Folded Reload
	v_lshlrev_b32_e32 v21, 16, v17
	v_and_b32_e32 v17, 0xffff0000, v17
	s_waitcnt vmcnt(0)
	v_fmac_f32_e32 v58, v25, v17
	buffer_load_dword v17, off, s[40:43], 0 offset:556 ; 4-byte Folded Reload
	s_waitcnt vmcnt(0)
	v_fmac_f32_e32 v57, v17, v21
	buffer_load_dword v21, off, s[40:43], 0 offset:588 ; 4-byte Folded Reload
	v_and_b32_e32 v17, 0xffff0000, v13
	v_lshlrev_b32_e32 v13, 16, v13
	s_waitcnt vmcnt(0)
	v_fmac_f32_e32 v57, v21, v13
	buffer_load_dword v13, off, s[40:43], 0 offset:584 ; 4-byte Folded Reload
	s_waitcnt vmcnt(0)
	v_fmac_f32_e32 v58, v13, v17
	buffer_load_dword v17, off, s[40:43], 0 offset:616 ; 4-byte Folded Reload
	v_lshlrev_b32_e32 v13, 16, v9
	v_and_b32_e32 v9, 0xffff0000, v9
	s_waitcnt vmcnt(0)
	v_fmac_f32_e32 v58, v17, v9
	buffer_load_dword v9, off, s[40:43], 0 offset:620 ; 4-byte Folded Reload
	s_waitcnt vmcnt(0)
	v_fmac_f32_e32 v57, v9, v13
	buffer_load_dword v13, off, s[40:43], 0 offset:652 ; 4-byte Folded Reload
	v_and_b32_e32 v9, 0xffff0000, v5
	v_lshlrev_b32_e32 v5, 16, v5
	s_waitcnt vmcnt(0)
	v_fmac_f32_e32 v57, v13, v5
	buffer_load_dword v5, off, s[40:43], 0 offset:648 ; 4-byte Folded Reload
	s_waitcnt vmcnt(0)
	v_fmac_f32_e32 v58, v5, v9
	buffer_load_dword v9, off, s[40:43], 0 offset:680 ; 4-byte Folded Reload
	v_lshlrev_b32_e32 v5, 16, v1
	v_and_b32_e32 v1, 0xffff0000, v1
	s_waitcnt vmcnt(0)
	v_fmac_f32_e32 v58, v9, v1
	s_clause 0x1
	buffer_load_dword v1, off, s[40:43], 0 offset:684
	buffer_load_dword v9, off, s[40:43], 0 offset:432
	s_waitcnt vmcnt(1)
	v_fmac_f32_e32 v57, v1, v5
	buffer_load_dword v1, off, s[40:43], 0 offset:368 ; 4-byte Folded Reload
	v_and_b32_e32 v5, 0xffff0000, v34
	s_waitcnt vmcnt(0)
	v_fmac_f32_e32 v60, v1, v74
	buffer_load_dword v1, off, s[40:43], 0 offset:372 ; 4-byte Folded Reload
	s_waitcnt vmcnt(0)
	v_fmac_f32_e32 v59, v1, v73
	buffer_load_dword v1, off, s[40:43], 0 offset:404 ; 4-byte Folded Reload
	;; [unrolled: 3-line block ×3, first 2 shown]
	s_waitcnt vmcnt(0)
	v_fmac_f32_e32 v60, v1, v77
	v_lshlrev_b32_e32 v1, 16, v34
	v_fmac_f32_e32 v60, v9, v5
	s_clause 0x1
	buffer_load_dword v5, off, s[40:43], 0 offset:436
	buffer_load_dword v9, off, s[40:43], 0 offset:468
	s_waitcnt vmcnt(1)
	v_fmac_f32_e32 v59, v5, v1
	v_lshlrev_b32_e32 v5, 16, v30
	v_and_b32_e32 v1, 0xffff0000, v30
	s_waitcnt vmcnt(0)
	v_fmac_f32_e32 v59, v9, v5
	s_clause 0x1
	buffer_load_dword v5, off, s[40:43], 0 offset:464
	buffer_load_dword v9, off, s[40:43], 0 offset:496
	s_waitcnt vmcnt(1)
	v_fmac_f32_e32 v60, v5, v1
	v_and_b32_e32 v5, 0xffff0000, v26
	v_lshlrev_b32_e32 v1, 16, v26
	s_waitcnt vmcnt(0)
	v_fmac_f32_e32 v60, v9, v5
	s_clause 0x1
	buffer_load_dword v5, off, s[40:43], 0 offset:500
	buffer_load_dword v9, off, s[40:43], 0 offset:532
	s_waitcnt vmcnt(1)
	v_fmac_f32_e32 v59, v5, v1
	v_lshlrev_b32_e32 v5, 16, v22
	v_and_b32_e32 v1, 0xffff0000, v22
	s_waitcnt vmcnt(0)
	v_fmac_f32_e32 v59, v9, v5
	s_clause 0x1
	buffer_load_dword v5, off, s[40:43], 0 offset:528
	buffer_load_dword v9, off, s[40:43], 0 offset:560
	s_waitcnt vmcnt(1)
	v_fmac_f32_e32 v60, v5, v1
	v_and_b32_e32 v5, 0xffff0000, v18
	v_lshlrev_b32_e32 v1, 16, v18
	s_waitcnt vmcnt(0)
	;; [unrolled: 18-line block ×3, first 2 shown]
	v_fmac_f32_e32 v60, v9, v5
	buffer_load_dword v5, off, s[40:43], 0 offset:628 ; 4-byte Folded Reload
	s_waitcnt vmcnt(0)
	v_fmac_f32_e32 v59, v5, v1
	v_and_b32_e32 v1, 0xffff0000, v6
	v_lshlrev_b32_e32 v5, 16, v6
	buffer_load_dword v6, off, s[40:43], 0 offset:660 ; 4-byte Folded Reload
	s_waitcnt vmcnt(0)
	v_fmac_f32_e32 v59, v6, v5
	buffer_load_dword v5, off, s[40:43], 0 offset:656 ; 4-byte Folded Reload
	s_waitcnt vmcnt(0)
	v_fmac_f32_e32 v60, v5, v1
	buffer_load_dword v5, off, s[40:43], 0 offset:688 ; 4-byte Folded Reload
	v_lshlrev_b32_e32 v1, 16, v2
	v_and_b32_e32 v2, 0xffff0000, v2
	s_waitcnt vmcnt(0)
	v_fmac_f32_e32 v60, v5, v2
	s_clause 0x1
	buffer_load_dword v2, off, s[40:43], 0 offset:692
	buffer_load_dword v5, off, s[40:43], 0 offset:440
	s_waitcnt vmcnt(1)
	v_fmac_f32_e32 v59, v2, v1
	buffer_load_dword v1, off, s[40:43], 0 offset:376 ; 4-byte Folded Reload
	v_and_b32_e32 v2, 0xffff0000, v35
	s_waitcnt vmcnt(0)
	v_fmac_f32_e32 v62, v1, v68
	buffer_load_dword v1, off, s[40:43], 0 offset:380 ; 4-byte Folded Reload
	s_waitcnt vmcnt(0)
	v_fmac_f32_e32 v61, v1, v67
	buffer_load_dword v1, off, s[40:43], 0 offset:412 ; 4-byte Folded Reload
	;; [unrolled: 3-line block ×3, first 2 shown]
	s_waitcnt vmcnt(0)
	v_fmac_f32_e32 v62, v1, v69
	v_lshlrev_b32_e32 v1, 16, v35
	v_fmac_f32_e32 v62, v5, v2
	s_clause 0x1
	buffer_load_dword v2, off, s[40:43], 0 offset:444
	buffer_load_dword v5, off, s[40:43], 0 offset:476
	s_waitcnt vmcnt(1)
	v_fmac_f32_e32 v61, v2, v1
	v_lshlrev_b32_e32 v2, 16, v31
	v_and_b32_e32 v1, 0xffff0000, v31
	s_waitcnt vmcnt(0)
	v_fmac_f32_e32 v61, v5, v2
	s_clause 0x1
	buffer_load_dword v2, off, s[40:43], 0 offset:472
	buffer_load_dword v5, off, s[40:43], 0 offset:504
	s_waitcnt vmcnt(1)
	v_fmac_f32_e32 v62, v2, v1
	v_and_b32_e32 v2, 0xffff0000, v27
	v_lshlrev_b32_e32 v1, 16, v27
	s_waitcnt vmcnt(0)
	v_fmac_f32_e32 v62, v5, v2
	s_clause 0x1
	buffer_load_dword v2, off, s[40:43], 0 offset:508
	buffer_load_dword v5, off, s[40:43], 0 offset:540
	s_waitcnt vmcnt(1)
	v_fmac_f32_e32 v61, v2, v1
	v_lshlrev_b32_e32 v2, 16, v23
	v_and_b32_e32 v1, 0xffff0000, v23
	s_waitcnt vmcnt(0)
	v_fmac_f32_e32 v61, v5, v2
	s_clause 0x1
	buffer_load_dword v2, off, s[40:43], 0 offset:536
	buffer_load_dword v5, off, s[40:43], 0 offset:568
	s_waitcnt vmcnt(1)
	v_fmac_f32_e32 v62, v2, v1
	v_and_b32_e32 v2, 0xffff0000, v19
	v_lshlrev_b32_e32 v1, 16, v19
	s_waitcnt vmcnt(0)
	;; [unrolled: 18-line block ×3, first 2 shown]
	v_fmac_f32_e32 v62, v5, v2
	s_clause 0x1
	buffer_load_dword v2, off, s[40:43], 0 offset:636
	buffer_load_dword v5, off, s[40:43], 0 offset:668
	s_waitcnt vmcnt(1)
	v_fmac_f32_e32 v61, v2, v1
	v_lshlrev_b32_e32 v2, 16, v7
	v_and_b32_e32 v1, 0xffff0000, v7
	s_waitcnt vmcnt(0)
	v_fmac_f32_e32 v61, v5, v2
	buffer_load_dword v2, off, s[40:43], 0 offset:664 ; 4-byte Folded Reload
	v_add_co_u32 v5, s3, 0x2800, v43
	v_add_co_ci_u32_e64 v6, null, 0, v44, s3
	v_add_co_u32 v7, s3, v43, 0x3000
	s_waitcnt vmcnt(0)
	v_fmac_f32_e32 v62, v2, v1
	v_lshlrev_b32_e32 v1, 16, v3
	v_and_b32_e32 v2, 0xffff0000, v3
	buffer_load_dword v3, off, s[40:43], 0 offset:696 ; 4-byte Folded Reload
	s_waitcnt vmcnt(0)
	v_fmac_f32_e32 v62, v3, v2
	s_clause 0x1
	buffer_load_dword v2, off, s[40:43], 0 offset:700
	buffer_load_dword v3, off, s[40:43], 0 offset:448
	s_waitcnt vmcnt(1)
	v_fmac_f32_e32 v61, v2, v1
	buffer_load_dword v1, off, s[40:43], 0 offset:384 ; 4-byte Folded Reload
	v_and_b32_e32 v2, 0xffff0000, v36
	s_waitcnt vmcnt(0)
	v_fmac_f32_e32 v64, v1, v40
	buffer_load_dword v1, off, s[40:43], 0 offset:388 ; 4-byte Folded Reload
	s_waitcnt vmcnt(0)
	v_fmac_f32_e32 v63, v1, v39
	buffer_load_dword v1, off, s[40:43], 0 offset:420 ; 4-byte Folded Reload
	;; [unrolled: 3-line block ×3, first 2 shown]
	s_waitcnt vmcnt(0)
	v_fmac_f32_e32 v64, v1, v65
	v_lshlrev_b32_e32 v1, 16, v36
	v_fmac_f32_e32 v64, v3, v2
	s_clause 0x1
	buffer_load_dword v2, off, s[40:43], 0 offset:452
	buffer_load_dword v3, off, s[40:43], 0 offset:484
	s_waitcnt vmcnt(1)
	v_fmac_f32_e32 v63, v2, v1
	v_lshlrev_b32_e32 v2, 16, v32
	v_and_b32_e32 v1, 0xffff0000, v32
	s_waitcnt vmcnt(0)
	v_fmac_f32_e32 v63, v3, v2
	s_clause 0x1
	buffer_load_dword v2, off, s[40:43], 0 offset:480
	buffer_load_dword v3, off, s[40:43], 0 offset:512
	s_waitcnt vmcnt(1)
	v_fmac_f32_e32 v64, v2, v1
	v_and_b32_e32 v2, 0xffff0000, v28
	v_lshlrev_b32_e32 v1, 16, v28
	s_waitcnt vmcnt(0)
	v_fmac_f32_e32 v64, v3, v2
	s_clause 0x1
	buffer_load_dword v2, off, s[40:43], 0 offset:516
	buffer_load_dword v3, off, s[40:43], 0 offset:548
	s_waitcnt vmcnt(1)
	v_fmac_f32_e32 v63, v2, v1
	v_lshlrev_b32_e32 v2, 16, v24
	v_and_b32_e32 v1, 0xffff0000, v24
	s_waitcnt vmcnt(0)
	v_fmac_f32_e32 v63, v3, v2
	s_clause 0x1
	buffer_load_dword v2, off, s[40:43], 0 offset:544
	buffer_load_dword v3, off, s[40:43], 0 offset:576
	s_waitcnt vmcnt(1)
	v_fmac_f32_e32 v64, v2, v1
	v_and_b32_e32 v2, 0xffff0000, v20
	v_lshlrev_b32_e32 v1, 16, v20
	s_waitcnt vmcnt(0)
	;; [unrolled: 18-line block ×3, first 2 shown]
	v_fmac_f32_e32 v64, v3, v2
	s_clause 0x1
	buffer_load_dword v2, off, s[40:43], 0 offset:644
	buffer_load_dword v3, off, s[40:43], 0 offset:676
	s_waitcnt vmcnt(1)
	v_fmac_f32_e32 v63, v2, v1
	v_lshlrev_b32_e32 v2, 16, v8
	v_and_b32_e32 v1, 0xffff0000, v8
	v_add_co_ci_u32_e64 v8, null, 0, v44, s3
	s_waitcnt vmcnt(0)
	v_fmac_f32_e32 v63, v3, v2
	s_clause 0x1
	buffer_load_dword v2, off, s[40:43], 0 offset:672
	buffer_load_dword v3, off, s[40:43], 0 offset:704
	s_waitcnt vmcnt(1)
	v_fmac_f32_e32 v64, v2, v1
	v_and_b32_e32 v2, 0xffff0000, v4
	v_lshlrev_b32_e32 v1, 16, v4
	s_waitcnt vmcnt(0)
	v_fmac_f32_e32 v64, v3, v2
	buffer_load_dword v2, off, s[40:43], 0 offset:708 ; 4-byte Folded Reload
	s_waitcnt vmcnt(0)
	v_fmac_f32_e32 v63, v2, v1
	global_load_dwordx4 v[1:4], v[7:8], off offset:-2048
	s_waitcnt vmcnt(0)
	v_and_b32_e32 v73, 0xffff0000, v1
	v_lshlrev_b32_e32 v74, 16, v1
	v_and_b32_e32 v75, 0xffff0000, v2
	v_lshlrev_b32_e32 v76, 16, v2
	;; [unrolled: 2-line block ×4, first 2 shown]
	s_clause 0x2
	global_load_dwordx4 v[1:4], v[5:6], off offset:512
	global_load_dwordx4 v[37:40], v[5:6], off offset:1024
	;; [unrolled: 1-line block ×3, first 2 shown]
	s_waitcnt vmcnt(2)
	v_lshlrev_b32_e32 v77, 16, v1
	v_and_b32_e32 v78, 0xffff0000, v1
	v_add_co_u32 v1, s3, 0x3000, v43
	v_lshlrev_b32_e32 v79, 16, v2
	v_and_b32_e32 v80, 0xffff0000, v2
	v_add_co_ci_u32_e64 v2, null, 0, v44, s3
	s_clause 0x3
	global_load_dwordx4 v[29:32], v[7:8], off
	global_load_dwordx4 v[25:28], v[1:2], off offset:512
	global_load_dwordx4 v[21:24], v[1:2], off offset:1024
	;; [unrolled: 1-line block ×3, first 2 shown]
	v_add_co_u32 v1, s3, 0x3800, v43
	v_add_co_ci_u32_e64 v2, null, 0, v44, s3
	v_lshlrev_b32_e32 v71, 16, v3
	v_and_b32_e32 v72, 0xffff0000, v3
	v_lshlrev_b32_e32 v67, 16, v4
	v_and_b32_e32 v68, 0xffff0000, v4
	s_clause 0x3
	global_load_dwordx4 v[13:16], v[1:2], off
	global_load_dwordx4 v[9:12], v[1:2], off offset:512
	global_load_dwordx4 v[5:8], v[1:2], off offset:1024
	;; [unrolled: 1-line block ×3, first 2 shown]
	s_clause 0x1
	buffer_load_dword v43, off, s[40:43], 0 offset:716
	buffer_load_dword v44, off, s[40:43], 0 offset:780
	s_waitcnt vmcnt(1)
	v_fmac_f32_e32 v57, v43, v74
	buffer_load_dword v43, off, s[40:43], 0 offset:712 ; 4-byte Folded Reload
	s_waitcnt vmcnt(0)
	v_fmac_f32_e32 v58, v43, v73
	buffer_load_dword v43, off, s[40:43], 0 offset:744 ; 4-byte Folded Reload
	;; [unrolled: 3-line block ×3, first 2 shown]
	s_waitcnt vmcnt(0)
	v_fmac_f32_e32 v57, v43, v77
	v_and_b32_e32 v43, 0xffff0000, v37
	v_lshlrev_b32_e32 v37, 16, v37
	v_fmac_f32_e32 v57, v44, v37
	buffer_load_dword v37, off, s[40:43], 0 offset:776 ; 4-byte Folded Reload
	s_waitcnt vmcnt(0)
	v_fmac_f32_e32 v58, v37, v43
	buffer_load_dword v43, off, s[40:43], 0 offset:808 ; 4-byte Folded Reload
	v_lshlrev_b32_e32 v37, 16, v33
	v_and_b32_e32 v33, 0xffff0000, v33
	s_waitcnt vmcnt(0)
	v_fmac_f32_e32 v58, v43, v33
	buffer_load_dword v33, off, s[40:43], 0 offset:812 ; 4-byte Folded Reload
	s_waitcnt vmcnt(0)
	v_fmac_f32_e32 v57, v33, v37
	buffer_load_dword v37, off, s[40:43], 0 offset:844 ; 4-byte Folded Reload
	v_and_b32_e32 v33, 0xffff0000, v29
	v_lshlrev_b32_e32 v29, 16, v29
	s_waitcnt vmcnt(0)
	v_fmac_f32_e32 v57, v37, v29
	buffer_load_dword v29, off, s[40:43], 0 offset:840 ; 4-byte Folded Reload
	s_waitcnt vmcnt(0)
	v_fmac_f32_e32 v58, v29, v33
	buffer_load_dword v33, off, s[40:43], 0 offset:872 ; 4-byte Folded Reload
	v_lshlrev_b32_e32 v29, 16, v25
	v_and_b32_e32 v25, 0xffff0000, v25
	s_waitcnt vmcnt(0)
	v_fmac_f32_e32 v58, v25, v33
	buffer_load_dword v25, off, s[40:43], 0 offset:876 ; 4-byte Folded Reload
	s_waitcnt vmcnt(0)
	v_fmac_f32_e32 v57, v29, v25
	v_and_b32_e32 v25, 0xffff0000, v21
	v_lshlrev_b32_e32 v21, 16, v21
	v_fmac_f32_e32 v58, v25, v86
	v_fmac_f32_e32 v57, v21, v87
	v_lshlrev_b32_e32 v21, 16, v17
	v_and_b32_e32 v17, 0xffff0000, v17
	v_fmac_f32_e32 v57, v21, v95
	v_fmac_f32_e32 v58, v17, v94
	v_and_b32_e32 v17, 0xffff0000, v13
	v_lshlrev_b32_e32 v13, 16, v13
	v_fmac_f32_e32 v58, v17, v102
	v_fmac_f32_e32 v57, v13, v103
	v_lshlrev_b32_e32 v13, 16, v9
	v_and_b32_e32 v9, 0xffff0000, v9
	v_fmac_f32_e32 v57, v13, v111
	v_fmac_f32_e32 v58, v9, v110
	v_and_b32_e32 v9, 0xffff0000, v5
	v_lshlrev_b32_e32 v5, 16, v5
	v_fmac_f32_e32 v58, v9, v118
	v_fmac_f32_e32 v57, v5, v119
	v_lshlrev_b32_e32 v5, 16, v1
	v_and_b32_e32 v1, 0xffff0000, v1
	buffer_load_dword v9, off, s[40:43], 0 offset:788 ; 4-byte Folded Reload
	v_fmac_f32_e32 v57, v5, v45
	v_fmac_f32_e32 v58, v1, v127
	buffer_load_dword v1, off, s[40:43], 0 offset:724 ; 4-byte Folded Reload
	v_lshlrev_b32_e32 v5, 16, v38
	s_waitcnt vmcnt(0)
	v_fmac_f32_e32 v59, v1, v76
	buffer_load_dword v1, off, s[40:43], 0 offset:720 ; 4-byte Folded Reload
	s_waitcnt vmcnt(0)
	v_fmac_f32_e32 v60, v1, v75
	buffer_load_dword v1, off, s[40:43], 0 offset:752 ; 4-byte Folded Reload
	;; [unrolled: 3-line block ×3, first 2 shown]
	s_waitcnt vmcnt(0)
	v_fmac_f32_e32 v59, v1, v79
	v_and_b32_e32 v1, 0xffff0000, v38
	v_fmac_f32_e32 v59, v9, v5
	s_clause 0x1
	buffer_load_dword v5, off, s[40:43], 0 offset:784
	buffer_load_dword v9, off, s[40:43], 0 offset:816
	s_waitcnt vmcnt(1)
	v_fmac_f32_e32 v60, v5, v1
	v_and_b32_e32 v5, 0xffff0000, v34
	v_lshlrev_b32_e32 v1, 16, v34
	s_waitcnt vmcnt(0)
	v_fmac_f32_e32 v60, v9, v5
	s_clause 0x1
	buffer_load_dword v5, off, s[40:43], 0 offset:820
	buffer_load_dword v9, off, s[40:43], 0 offset:852
	s_waitcnt vmcnt(1)
	v_fmac_f32_e32 v59, v5, v1
	v_lshlrev_b32_e32 v5, 16, v30
	v_and_b32_e32 v1, 0xffff0000, v30
	s_waitcnt vmcnt(0)
	v_fmac_f32_e32 v59, v9, v5
	s_clause 0x1
	buffer_load_dword v5, off, s[40:43], 0 offset:848
	buffer_load_dword v9, off, s[40:43], 0 offset:880
	s_waitcnt vmcnt(1)
	v_fmac_f32_e32 v60, v5, v1
	v_lshlrev_b32_e32 v1, 16, v26
	v_and_b32_e32 v5, 0xffff0000, v26
	v_fmac_f32_e32 v59, v1, v81
	s_waitcnt vmcnt(0)
	v_fmac_f32_e32 v60, v5, v9
	v_and_b32_e32 v1, 0xffff0000, v22
	v_lshlrev_b32_e32 v5, 16, v22
	v_fmac_f32_e32 v60, v1, v88
	v_fmac_f32_e32 v59, v5, v89
	v_lshlrev_b32_e32 v1, 16, v18
	v_and_b32_e32 v5, 0xffff0000, v18
	v_fmac_f32_e32 v59, v1, v97
	v_fmac_f32_e32 v60, v5, v96
	v_and_b32_e32 v1, 0xffff0000, v14
	v_lshlrev_b32_e32 v5, 16, v14
	v_fmac_f32_e32 v60, v1, v104
	v_fmac_f32_e32 v59, v5, v105
	v_lshlrev_b32_e32 v1, 16, v10
	v_and_b32_e32 v5, 0xffff0000, v10
	v_fmac_f32_e32 v59, v1, v113
	v_fmac_f32_e32 v60, v5, v112
	v_and_b32_e32 v1, 0xffff0000, v6
	v_lshlrev_b32_e32 v5, 16, v6
	v_fmac_f32_e32 v60, v1, v120
	v_fmac_f32_e32 v59, v5, v121
	v_lshlrev_b32_e32 v1, 16, v2
	v_and_b32_e32 v2, 0xffff0000, v2
	buffer_load_dword v5, off, s[40:43], 0 offset:796 ; 4-byte Folded Reload
	v_fmac_f32_e32 v59, v1, v46
	buffer_load_dword v1, off, s[40:43], 0 offset:732 ; 4-byte Folded Reload
	v_fmac_f32_e32 v60, v2, v0
	v_lshlrev_b32_e32 v2, 16, v39
	s_waitcnt vmcnt(0)
	v_fmac_f32_e32 v61, v1, v70
	buffer_load_dword v1, off, s[40:43], 0 offset:728 ; 4-byte Folded Reload
	s_waitcnt vmcnt(0)
	v_fmac_f32_e32 v62, v1, v69
	buffer_load_dword v1, off, s[40:43], 0 offset:760 ; 4-byte Folded Reload
	;; [unrolled: 3-line block ×3, first 2 shown]
	s_waitcnt vmcnt(0)
	v_fmac_f32_e32 v61, v1, v71
	v_and_b32_e32 v1, 0xffff0000, v39
	v_fmac_f32_e32 v61, v5, v2
	s_clause 0x1
	buffer_load_dword v2, off, s[40:43], 0 offset:792
	buffer_load_dword v5, off, s[40:43], 0 offset:824
	s_waitcnt vmcnt(1)
	v_fmac_f32_e32 v62, v2, v1
	v_and_b32_e32 v2, 0xffff0000, v35
	v_lshlrev_b32_e32 v1, 16, v35
	s_waitcnt vmcnt(0)
	v_fmac_f32_e32 v62, v5, v2
	s_clause 0x1
	buffer_load_dword v2, off, s[40:43], 0 offset:828
	buffer_load_dword v5, off, s[40:43], 0 offset:860
	s_waitcnt vmcnt(1)
	v_fmac_f32_e32 v61, v2, v1
	v_lshlrev_b32_e32 v2, 16, v31
	v_and_b32_e32 v1, 0xffff0000, v31
	s_waitcnt vmcnt(0)
	v_fmac_f32_e32 v61, v5, v2
	buffer_load_dword v2, off, s[40:43], 0 offset:856 ; 4-byte Folded Reload
	s_waitcnt vmcnt(0)
	v_fmac_f32_e32 v62, v2, v1
	v_lshlrev_b32_e32 v1, 16, v27
	v_and_b32_e32 v2, 0xffff0000, v27
	v_fmac_f32_e32 v61, v1, v83
	v_fmac_f32_e32 v62, v2, v82
	v_and_b32_e32 v1, 0xffff0000, v23
	v_lshlrev_b32_e32 v2, 16, v23
	v_fmac_f32_e32 v62, v1, v90
	v_fmac_f32_e32 v61, v2, v91
	v_lshlrev_b32_e32 v1, 16, v19
	v_and_b32_e32 v2, 0xffff0000, v19
	v_fmac_f32_e32 v61, v1, v99
	v_fmac_f32_e32 v62, v2, v98
	v_and_b32_e32 v1, 0xffff0000, v15
	v_lshlrev_b32_e32 v2, 16, v15
	v_fmac_f32_e32 v62, v1, v106
	;; [unrolled: 8-line block ×3, first 2 shown]
	v_fmac_f32_e32 v61, v2, v123
	v_lshlrev_b32_e32 v1, 16, v3
	v_and_b32_e32 v2, 0xffff0000, v3
	buffer_load_dword v3, off, s[40:43], 0 offset:804 ; 4-byte Folded Reload
	v_fmac_f32_e32 v61, v1, v48
	buffer_load_dword v1, off, s[40:43], 0 offset:740 ; 4-byte Folded Reload
	v_fmac_f32_e32 v62, v2, v47
	v_lshlrev_b32_e32 v2, 16, v40
	s_waitcnt vmcnt(0)
	v_fmac_f32_e32 v63, v1, v66
	buffer_load_dword v1, off, s[40:43], 0 offset:736 ; 4-byte Folded Reload
	s_waitcnt vmcnt(0)
	v_fmac_f32_e32 v64, v1, v65
	buffer_load_dword v1, off, s[40:43], 0 offset:768 ; 4-byte Folded Reload
	;; [unrolled: 3-line block ×3, first 2 shown]
	s_waitcnt vmcnt(0)
	v_fmac_f32_e32 v63, v1, v67
	v_and_b32_e32 v1, 0xffff0000, v40
	v_fmac_f32_e32 v63, v3, v2
	s_clause 0x1
	buffer_load_dword v2, off, s[40:43], 0 offset:800
	buffer_load_dword v3, off, s[40:43], 0 offset:832
	s_waitcnt vmcnt(1)
	v_fmac_f32_e32 v64, v2, v1
	v_and_b32_e32 v2, 0xffff0000, v36
	v_lshlrev_b32_e32 v1, 16, v36
	s_waitcnt vmcnt(0)
	v_fmac_f32_e32 v64, v3, v2
	s_clause 0x1
	buffer_load_dword v2, off, s[40:43], 0 offset:836
	buffer_load_dword v3, off, s[40:43], 0 offset:868
	s_waitcnt vmcnt(1)
	v_fmac_f32_e32 v63, v2, v1
	v_lshlrev_b32_e32 v2, 16, v32
	v_and_b32_e32 v1, 0xffff0000, v32
	s_waitcnt vmcnt(0)
	v_fmac_f32_e32 v63, v3, v2
	buffer_load_dword v2, off, s[40:43], 0 offset:864 ; 4-byte Folded Reload
	s_waitcnt vmcnt(0)
	v_fmac_f32_e32 v64, v2, v1
	v_lshlrev_b32_e32 v1, 16, v28
	v_and_b32_e32 v2, 0xffff0000, v28
	v_fmac_f32_e32 v63, v1, v85
	v_fmac_f32_e32 v64, v2, v84
	v_and_b32_e32 v1, 0xffff0000, v24
	v_lshlrev_b32_e32 v2, 16, v24
	v_fmac_f32_e32 v64, v1, v92
	v_fmac_f32_e32 v63, v2, v93
	v_lshlrev_b32_e32 v1, 16, v20
	v_and_b32_e32 v2, 0xffff0000, v20
	v_fmac_f32_e32 v63, v1, v101
	v_fmac_f32_e32 v64, v2, v100
	v_and_b32_e32 v1, 0xffff0000, v16
	v_lshlrev_b32_e32 v2, 16, v16
	v_fmac_f32_e32 v64, v1, v108
	;; [unrolled: 8-line block ×3, first 2 shown]
	v_fmac_f32_e32 v63, v2, v125
	v_lshlrev_b32_e32 v1, 16, v4
	v_and_b32_e32 v2, 0xffff0000, v4
	v_fmac_f32_e32 v63, v1, v50
	v_add_f32_e32 v1, v57, v58
	v_fmac_f32_e32 v64, v2, v49
	v_add_f32_e32 v1, v1, v59
	v_add_f32_e32 v1, v60, v1
	v_add_f32_e32 v1, v61, v1
	v_add_f32_e32 v1, v62, v1
	v_add_f32_e32 v1, v63, v1
	v_add_f32_e32 v1, v64, v1
	v_fmac_f32_e32 v56, s31, v1
	v_cndmask_b32_e64 v1, 0, v56, s2
	ds_write_b32 v51, v1
	v_max_f32_e32 v1, v126, v126
	v_add_nc_u32_e32 v51, 0x200, v51
	v_max_f32_e32 v1, v1, v56
	v_cndmask_b32_e64 v126, v126, v1, s2
	v_add_co_u32 v41, s2, v41, 16
	v_add_co_ci_u32_e64 v42, null, 0, v42, s2
	v_cmp_le_i32_e64 s2, s11, v55
	s_or_b32 s5, s2, s5
	s_andn2_b32 exec_lo, exec_lo, s5
	s_cbranch_execnz .LBB188_7
; %bb.8:
	s_or_b32 exec_lo, exec_lo, s5
	s_clause 0x6
	buffer_load_dword v58, off, s[40:43], 0 offset:884
	buffer_load_dword v59, off, s[40:43], 0 offset:888
	buffer_load_dword v60, off, s[40:43], 0 offset:892
	buffer_load_dword v25, off, s[40:43], 0 offset:80
	buffer_load_dword v26, off, s[40:43], 0 offset:84
	buffer_load_dword v28, off, s[40:43], 0 offset:896
	buffer_load_dword v27, off, s[40:43], 0 offset:900
.LBB188_9:
	s_or_b32 exec_lo, exec_lo, s35
	v_mbcnt_lo_u32_b32 v0, -1, 0
	v_max_f32_e32 v4, v126, v126
	v_xor_b32_e32 v1, 16, v0
	v_xor_b32_e32 v3, 8, v0
	v_cmp_gt_i32_e32 vcc_lo, 32, v1
	v_cndmask_b32_e32 v1, v0, v1, vcc_lo
	v_cmp_gt_i32_e32 vcc_lo, 32, v3
	v_lshlrev_b32_e32 v1, 2, v1
	v_cndmask_b32_e32 v3, v0, v3, vcc_lo
	ds_bpermute_b32 v2, v1, v126
	s_waitcnt lgkmcnt(0)
	v_max_f32_e32 v5, v2, v2
	v_lshlrev_b32_e32 v2, 2, v3
	v_max_f32_e32 v3, v4, v5
	v_xor_b32_e32 v5, 4, v0
	ds_bpermute_b32 v4, v2, v3
	v_cmp_gt_i32_e32 vcc_lo, 32, v5
	v_cndmask_b32_e32 v5, v0, v5, vcc_lo
	s_waitcnt lgkmcnt(0)
	v_max_f32_e32 v6, v4, v4
	v_lshlrev_b32_e32 v4, 2, v5
	v_max_f32_e32 v3, v3, v6
	v_xor_b32_e32 v6, 2, v0
	ds_bpermute_b32 v5, v4, v3
	v_cmp_gt_i32_e32 vcc_lo, 32, v6
	v_cndmask_b32_e32 v6, v0, v6, vcc_lo
	v_lshlrev_b32_e32 v39, 2, v6
	v_xor_b32_e32 v6, 1, v0
	v_cmp_gt_i32_e32 vcc_lo, 32, v6
	s_waitcnt lgkmcnt(0)
	v_max_f32_e32 v5, v5, v5
	v_cndmask_b32_e32 v6, v0, v6, vcc_lo
	s_waitcnt vmcnt(4)
	v_cmp_eq_u32_e32 vcc_lo, 0, v60
	v_max_f32_e32 v3, v3, v5
	v_lshlrev_b32_e32 v57, 2, v6
	ds_bpermute_b32 v5, v39, v3
	s_waitcnt lgkmcnt(0)
	v_max_f32_e32 v5, v5, v5
	v_max_f32_e32 v0, v3, v5
	v_lshlrev_b32_e32 v5, 2, v59
	ds_bpermute_b32 v3, v57, v0
	s_and_saveexec_b32 s2, vcc_lo
	s_cbranch_execz .LBB188_11
; %bb.10:
	s_waitcnt lgkmcnt(0)
	v_max_f32_e32 v3, v3, v3
	v_max_f32_e32 v0, v0, v0
	;; [unrolled: 1-line block ×3, first 2 shown]
	ds_write_b32 v5, v0 offset:512
.LBB188_11:
	s_or_b32 exec_lo, exec_lo, s2
	v_cmp_gt_u32_e64 s2, 4, v60
	v_mov_b32_e32 v0, 0xff7fffff
	s_waitcnt vmcnt(0) lgkmcnt(0)
	s_waitcnt_vscnt null, 0x0
	s_barrier
	buffer_gl0_inv
	s_and_saveexec_b32 s3, s2
; %bb.12:
	ds_read_b32 v0, v27 offset:512
; %bb.13:
	s_or_b32 exec_lo, exec_lo, s3
	s_waitcnt lgkmcnt(0)
	ds_bpermute_b32 v3, v39, v0
	v_max_f32_e32 v0, v0, v0
	v_mov_b32_e32 v6, 0
	s_sub_i32 s3, s11, s30
	s_lshl_b32 s3, s3, 5
	s_add_i32 s3, s3, s33
	s_min_i32 s3, s3, s25
	s_sub_i32 s5, s3, s33
	v_cmp_gt_i32_e64 s3, s5, v58
	s_waitcnt lgkmcnt(0)
	v_max_f32_e32 v3, v3, v3
	v_max_f32_e32 v0, v0, v3
	ds_bpermute_b32 v3, v57, v0
	s_waitcnt lgkmcnt(0)
	v_max_f32_e32 v3, v3, v3
	v_max_f32_e32 v0, v0, v3
	v_lshl_add_u32 v3, v58, 2, 0x220
	ds_bpermute_b32 v0, v6, v0
	s_and_saveexec_b32 s15, s3
	s_cbranch_execz .LBB188_17
; %bb.14:
	v_lshl_add_u32 v7, v58, 2, 0x220
	v_mov_b32_e32 v6, 0
	v_mov_b32_e32 v8, v58
	s_mov_b32 s30, 0
	.p2align	6
.LBB188_15:                             ; =>This Inner Loop Header: Depth=1
	ds_read_b32 v9, v7
	v_add_nc_u32_e32 v8, 0x80, v8
	v_cmp_le_i32_e64 s4, s5, v8
	s_or_b32 s30, s4, s30
	s_waitcnt lgkmcnt(0)
	v_sub_f32_e32 v9, v9, v0
	v_mul_f32_e32 v9, 0x3fb8aa3b, v9
	v_exp_f32_e32 v9, v9
	ds_write_b32 v7, v9
	v_add_f32_e32 v6, v6, v9
	v_add_nc_u32_e32 v7, 0x200, v7
	s_andn2_b32 exec_lo, exec_lo, s30
	s_cbranch_execnz .LBB188_15
; %bb.16:
	s_or_b32 exec_lo, exec_lo, s30
.LBB188_17:
	s_or_b32 exec_lo, exec_lo, s15
	ds_bpermute_b32 v1, v1, v6
	s_waitcnt lgkmcnt(0)
	v_add_f32_e32 v1, v6, v1
	ds_bpermute_b32 v2, v2, v1
	s_waitcnt lgkmcnt(0)
	v_add_f32_e32 v1, v1, v2
	;; [unrolled: 3-line block ×5, first 2 shown]
	s_and_saveexec_b32 s4, vcc_lo
; %bb.18:
	ds_write_b32 v5, v1 offset:528
; %bb.19:
	s_or_b32 exec_lo, exec_lo, s4
	s_waitcnt lgkmcnt(0)
	s_barrier
	buffer_gl0_inv
	s_and_saveexec_b32 s4, s2
; %bb.20:
	ds_read_b32 v1, v27 offset:528
; %bb.21:
	s_or_b32 exec_lo, exec_lo, s4
	s_waitcnt lgkmcnt(0)
	ds_bpermute_b32 v2, v39, v1
	s_waitcnt lgkmcnt(0)
	v_add_f32_e32 v1, v1, v2
	ds_bpermute_b32 v2, v57, v1
	s_waitcnt lgkmcnt(0)
	v_add_f32_e32 v1, v1, v2
	v_mov_b32_e32 v2, 0
	ds_bpermute_b32 v1, v2, v1
	s_and_saveexec_b32 s2, s3
	s_cbranch_execz .LBB188_24
; %bb.22:
	s_waitcnt lgkmcnt(0)
	v_add_f32_e32 v2, 0x358637bd, v1
	s_mov_b32 s3, 0
	v_div_scale_f32 v4, null, v2, v2, 1.0
	v_div_scale_f32 v7, vcc_lo, 1.0, v2, 1.0
	v_rcp_f32_e32 v5, v4
	v_fma_f32 v6, -v4, v5, 1.0
	v_fmac_f32_e32 v5, v6, v5
	v_mul_f32_e32 v6, v7, v5
	v_fma_f32 v8, -v4, v6, v7
	v_fmac_f32_e32 v6, v8, v5
	v_fma_f32 v4, -v4, v6, v7
	v_div_fmas_f32 v4, v4, v5, v6
	v_div_fixup_f32 v2, v4, v2, 1.0
	v_mov_b32_e32 v4, v58
.LBB188_23:                             ; =>This Inner Loop Header: Depth=1
	ds_read_b32 v5, v3
	v_add_nc_u32_e32 v4, 0x80, v4
	v_cmp_le_i32_e32 vcc_lo, s5, v4
	s_or_b32 s3, vcc_lo, s3
	s_waitcnt lgkmcnt(0)
	v_mul_f32_e32 v5, v2, v5
	ds_write_b32 v3, v5
	v_add_nc_u32_e32 v3, 0x200, v3
	s_andn2_b32 exec_lo, exec_lo, s3
	s_cbranch_execnz .LBB188_23
.LBB188_24:
	s_or_b32 exec_lo, exec_lo, s2
	s_mul_i32 s2, s7, s24
	s_waitcnt lgkmcnt(0)
	s_mul_i32 s4, s2, s9
	s_mov_b32 s2, exec_lo
	s_barrier
	buffer_gl0_inv
	v_cmpx_eq_u32_e32 0, v58
	s_cbranch_execz .LBB188_26
; %bb.25:
	s_ashr_i32 s5, s4, 31
	s_mul_i32 s34, s7, s6
	s_lshl_b64 s[30:31], s[4:5], 2
	v_mov_b32_e32 v2, 0
	s_add_u32 s3, s18, s30
	s_addc_u32 s5, s19, s31
	s_ashr_i32 s35, s34, 31
	s_lshl_b64 s[18:19], s[34:35], 2
	s_add_u32 s3, s3, s18
	s_addc_u32 s5, s5, s19
	s_ashr_i32 s9, s8, 31
	s_lshl_b64 s[34:35], s[8:9], 2
	s_add_u32 s36, s3, s34
	s_addc_u32 s37, s5, s35
	s_add_u32 s3, s16, s30
	s_addc_u32 s5, s17, s31
	;; [unrolled: 2-line block ×4, first 2 shown]
	global_store_dword v2, v0, s[36:37]
	global_store_dword v2, v1, s[16:17]
.LBB188_26:
	s_or_b32 exec_lo, exec_lo, s2
	v_mov_b32_e32 v23, 0
	v_and_b32_e32 v61, 3, v58
	v_mov_b32_e32 v27, 0
	v_mov_b32_e32 v24, 0
	v_mov_b32_e32 v22, 0
	v_mov_b32_e32 v21, 0
	v_mov_b32_e32 v13, 0
	v_mov_b32_e32 v19, 0
	v_mov_b32_e32 v18, 0
	v_mov_b32_e32 v17, 0
	v_mov_b32_e32 v20, 0
	v_mov_b32_e32 v16, 0
	v_mov_b32_e32 v15, 0
	v_mov_b32_e32 v14, 0
	v_mov_b32_e32 v47, 0
	v_mov_b32_e32 v45, 0
	v_mov_b32_e32 v43, 0
	v_mov_b32_e32 v41, 0
	v_mov_b32_e32 v35, 0
	v_mov_b32_e32 v34, 0
	v_mov_b32_e32 v36, 0
	v_mov_b32_e32 v37, 0
	v_mov_b32_e32 v38, 0
	v_mov_b32_e32 v40, 0
	v_mov_b32_e32 v42, 0
	v_mov_b32_e32 v44, 0
	v_mov_b32_e32 v46, 0
	v_mov_b32_e32 v48, 0
	v_mov_b32_e32 v50, 0
	v_mov_b32_e32 v108, 0
	v_mov_b32_e32 v107, 0
	v_mov_b32_e32 v106, 0
	v_mov_b32_e32 v55, 0
	s_and_saveexec_b32 s5, s1
	s_cbranch_execz .LBB188_94
; %bb.27:
	v_lshlrev_b32_e32 v1, 3, v58
	v_lshlrev_b32_e32 v2, 5, v61
	s_ashr_i32 s15, s14, 31
	buffer_store_dword v39, off, s[40:43], 0 offset:240 ; 4-byte Folded Spill
	buffer_store_dword v57, off, s[40:43], 0 offset:236 ; 4-byte Folded Spill
	s_lshl_b64 s[2:3], s[14:15], 1
	v_and_b32_e32 v3, 24, v1
	v_and_b32_e32 v4, 0xf8, v1
	v_lshl_or_b32 v5, v59, 7, v2
	v_or_b32_e32 v6, 0x1f00, v1
	v_lshlrev_b64 v[1:2], 2, v[25:26]
	s_add_u32 s6, s26, s2
	s_addc_u32 s9, s27, s3
	s_lshl_b64 s[2:3], s[28:29], 2
	s_add_i32 s12, s12, -1
	s_add_u32 s1, s22, s2
	s_addc_u32 s2, s23, s3
	v_add_co_u32 v7, vcc_lo, s1, v1
	v_lshlrev_b32_e32 v1, 1, v4
	v_mov_b32_e32 v0, 0
	v_add3_u32 v125, s33, v28, v3
	v_add_nc_u32_e32 v3, 0x220, v5
	v_add_co_ci_u32_e64 v8, null, s2, v2, vcc_lo
	buffer_store_dword v1, off, s[40:43], 0 offset:228 ; 4-byte Folded Spill
	v_lshlrev_b32_e32 v1, 1, v6
	v_mov_b32_e32 v55, 0
	v_mov_b32_e32 v106, 0
	v_mov_b32_e32 v107, 0
	v_mov_b32_e32 v108, 0
	buffer_store_dword v1, off, s[40:43], 0 offset:232 ; 4-byte Folded Spill
	v_mov_b32_e32 v1, 0
	v_mov_b32_e32 v14, 0
	;; [unrolled: 1-line block ×5, first 2 shown]
	buffer_store_dword v1, off, s[40:43], 0 offset:88 ; 4-byte Folded Spill
	v_mov_b32_e32 v1, 0
	v_mov_b32_e32 v17, 0
	;; [unrolled: 1-line block ×4, first 2 shown]
	s_mov_b32 s15, s25
	buffer_store_dword v1, off, s[40:43], 0 offset:92 ; 4-byte Folded Spill
	v_mov_b32_e32 v1, 0
	s_mov_b32 s14, 0
	buffer_store_dword v61, off, s[40:43], 0 offset:244 ; 4-byte Folded Spill
	buffer_store_dword v1, off, s[40:43], 0 offset:96 ; 4-byte Folded Spill
	v_mov_b32_e32 v1, 0
	buffer_store_dword v1, off, s[40:43], 0 offset:100 ; 4-byte Folded Spill
	v_mov_b32_e32 v1, 0
	;; [unrolled: 2-line block ×18, first 2 shown]
	buffer_store_dword v1, off, s[40:43], 0 offset:160 ; 4-byte Folded Spill
	s_branch .LBB188_29
.LBB188_28:                             ;   in Loop: Header=BB188_29 Depth=1
	s_or_b32 exec_lo, exec_lo, s3
	s_waitcnt lgkmcnt(1)
	v_bfe_u32 v13, v105, 16, 1
	v_or_b32_e32 v14, 0x400000, v105
	v_cmp_u_f32_e32 vcc_lo, v105, v105
	v_or_b32_e32 v15, 0x400000, v106
	v_or_b32_e32 v16, 0x400000, v107
	v_add3_u32 v13, v13, v105, 0x7fff
	v_or_b32_e32 v17, 0x400000, v108
	s_waitcnt lgkmcnt(0)
	v_or_b32_e32 v18, 0x400000, v101
	v_or_b32_e32 v19, 0x400000, v102
	;; [unrolled: 1-line block ×3, first 2 shown]
	v_cndmask_b32_e32 v13, v13, v14, vcc_lo
	v_bfe_u32 v14, v106, 16, 1
	v_cmp_u_f32_e32 vcc_lo, v106, v106
	v_add_nc_u32_e32 v125, 0x80, v125
	v_and_b32_e32 v105, 0xffff0000, v13
	v_add3_u32 v14, v14, v106, 0x7fff
	v_cndmask_b32_e32 v14, v14, v15, vcc_lo
	v_bfe_u32 v15, v107, 16, 1
	v_cmp_u_f32_e32 vcc_lo, v107, v107
	v_add3_u32 v15, v15, v107, 0x7fff
	buffer_load_dword v107, off, s[40:43], 0 offset:180 ; 4-byte Folded Reload
	v_cndmask_b32_e32 v15, v15, v16, vcc_lo
	v_bfe_u32 v16, v108, 16, 1
	v_cmp_u_f32_e32 vcc_lo, v108, v108
	v_add3_u32 v16, v16, v108, 0x7fff
	buffer_load_dword v108, off, s[40:43], 0 offset:184 ; 4-byte Folded Reload
	v_cndmask_b32_e32 v16, v16, v17, vcc_lo
	v_bfe_u32 v17, v101, 16, 1
	v_cmp_u_f32_e32 vcc_lo, v101, v101
	v_add3_u32 v17, v17, v101, 0x7fff
	v_or_b32_e32 v101, 0x400000, v104
	v_cndmask_b32_e32 v17, v17, v18, vcc_lo
	v_bfe_u32 v18, v102, 16, 1
	v_cmp_u_f32_e32 vcc_lo, v102, v102
	v_add3_u32 v18, v18, v102, 0x7fff
	v_and_b32_e32 v102, 0xffff0000, v14
	v_and_b32_e32 v14, 0xffff0000, v9
	v_lshlrev_b32_e32 v9, 16, v9
	v_cndmask_b32_e32 v18, v18, v19, vcc_lo
	v_bfe_u32 v19, v103, 16, 1
	v_cmp_u_f32_e32 vcc_lo, v103, v103
	v_mul_f32_e32 v14, v102, v14
	v_mul_f32_e32 v9, v105, v9
	v_add3_u32 v19, v19, v103, 0x7fff
	v_or_b32_e32 v103, 0x400000, v14
	v_bfe_u32 v13, v9, 16, 1
	v_cndmask_b32_e32 v19, v19, v20, vcc_lo
	v_bfe_u32 v20, v104, 16, 1
	v_cmp_u_f32_e32 vcc_lo, v104, v104
	v_add3_u32 v13, v13, v9, 0x7fff
	v_add3_u32 v20, v20, v104, 0x7fff
	v_and_b32_e32 v104, 0xffff0000, v15
	v_cndmask_b32_e32 v20, v20, v101, vcc_lo
	v_bfe_u32 v101, v14, 16, 1
	v_cmp_u_f32_e32 vcc_lo, v14, v14
	v_add3_u32 v101, v101, v14, 0x7fff
	v_cndmask_b32_e32 v14, v101, v103, vcc_lo
	v_or_b32_e32 v101, 0x400000, v9
	v_cmp_u_f32_e32 vcc_lo, v9, v9
	v_and_b32_e32 v9, 0xffff0000, v10
	v_and_b32_e32 v14, 0xffff0000, v14
	v_cndmask_b32_e32 v13, v13, v101, vcc_lo
	v_and_b32_e32 v101, 0xffff0000, v16
	v_and_b32_e32 v13, 0xffff0000, v13
	v_mul_f32_e32 v9, v101, v9
	v_add_f32_e32 v13, v13, v14
	v_bfe_u32 v16, v9, 16, 1
	v_or_b32_e32 v103, 0x400000, v9
	v_cmp_u_f32_e32 vcc_lo, v9, v9
	v_add3_u32 v16, v16, v9, 0x7fff
	v_lshlrev_b32_e32 v9, 16, v10
	v_cndmask_b32_e32 v16, v16, v103, vcc_lo
	v_mul_f32_e32 v9, v104, v9
	v_bfe_u32 v10, v9, 16, 1
	v_or_b32_e32 v15, 0x400000, v9
	v_cmp_u_f32_e32 vcc_lo, v9, v9
	v_add3_u32 v10, v10, v9, 0x7fff
	v_and_b32_e32 v9, 0xffff0000, v11
	v_cndmask_b32_e32 v15, v10, v15, vcc_lo
	v_and_b32_e32 v10, 0xffff0000, v18
	v_and_b32_e32 v14, 0xffff0000, v15
	v_mul_f32_e32 v9, v10, v9
	v_and_b32_e32 v15, 0xffff0000, v16
	v_bfe_u32 v18, v9, 16, 1
	v_or_b32_e32 v103, 0x400000, v9
	v_cmp_u_f32_e32 vcc_lo, v9, v9
	v_add_f32_e32 v14, v14, v15
	v_add3_u32 v18, v18, v9, 0x7fff
	v_lshlrev_b32_e32 v9, 16, v11
	v_add_f32_e32 v13, v14, v13
	v_cndmask_b32_e32 v18, v18, v103, vcc_lo
	v_and_b32_e32 v103, 0xffff0000, v17
	v_and_b32_e32 v15, 0xffff0000, v18
	v_mul_f32_e32 v9, v103, v9
	buffer_load_dword v18, off, s[40:43], 0 offset:208 ; 4-byte Folded Reload
	v_bfe_u32 v11, v9, 16, 1
	v_or_b32_e32 v17, 0x400000, v9
	v_cmp_u_f32_e32 vcc_lo, v9, v9
	v_add3_u32 v11, v11, v9, 0x7fff
	v_and_b32_e32 v9, 0xffff0000, v20
	v_cndmask_b32_e32 v17, v11, v17, vcc_lo
	v_and_b32_e32 v11, 0xffff0000, v12
	v_lshlrev_b32_e32 v12, 16, v12
	v_and_b32_e32 v14, 0xffff0000, v17
	v_mul_f32_e32 v11, v9, v11
	v_add_f32_e32 v14, v14, v15
	v_bfe_u32 v20, v11, 16, 1
	v_or_b32_e32 v106, 0x400000, v11
	v_cmp_u_f32_e32 vcc_lo, v11, v11
	v_add_f32_e32 v13, v14, v13
	v_add3_u32 v20, v20, v11, 0x7fff
	v_and_b32_e32 v11, 0xffff0000, v19
	v_cndmask_b32_e32 v20, v20, v106, vcc_lo
	v_mul_f32_e32 v12, v11, v12
	v_and_b32_e32 v14, 0xffff0000, v20
	v_bfe_u32 v19, v12, 16, 1
	v_or_b32_e32 v106, 0x400000, v12
	v_cmp_u_f32_e32 vcc_lo, v12, v12
	buffer_load_dword v20, off, s[40:43], 0 offset:200 ; 4-byte Folded Reload
	v_add3_u32 v19, v19, v12, 0x7fff
	v_cndmask_b32_e32 v12, v19, v106, vcc_lo
	s_clause 0x1
	buffer_load_dword v106, off, s[40:43], 0 offset:176
	buffer_load_dword v19, off, s[40:43], 0 offset:212
	v_and_b32_e32 v12, 0xffff0000, v12
	v_add_f32_e32 v12, v12, v14
	v_add_f32_e32 v12, v12, v13
	s_waitcnt vmcnt(1)
	v_add_f32_e32 v106, v106, v12
	v_and_b32_e32 v12, 0xffff0000, v5
	v_lshlrev_b32_e32 v5, 16, v5
	v_mul_f32_e32 v12, v102, v12
	v_mul_f32_e32 v5, v105, v5
	v_bfe_u32 v13, v12, 16, 1
	v_or_b32_e32 v14, 0x400000, v12
	v_cmp_u_f32_e32 vcc_lo, v12, v12
	v_add3_u32 v13, v13, v12, 0x7fff
	v_cndmask_b32_e32 v12, v13, v14, vcc_lo
	v_bfe_u32 v13, v5, 16, 1
	v_or_b32_e32 v14, 0x400000, v5
	v_cmp_u_f32_e32 vcc_lo, v5, v5
	v_and_b32_e32 v12, 0xffff0000, v12
	v_add3_u32 v13, v13, v5, 0x7fff
	v_cndmask_b32_e32 v5, v13, v14, vcc_lo
	v_and_b32_e32 v13, 0xffff0000, v6
	v_lshlrev_b32_e32 v6, 16, v6
	v_and_b32_e32 v5, 0xffff0000, v5
	v_mul_f32_e32 v13, v101, v13
	v_mul_f32_e32 v6, v104, v6
	v_add_f32_e32 v5, v5, v12
	v_bfe_u32 v14, v13, 16, 1
	v_or_b32_e32 v15, 0x400000, v13
	v_cmp_u_f32_e32 vcc_lo, v13, v13
	v_add3_u32 v14, v14, v13, 0x7fff
	v_cndmask_b32_e32 v13, v14, v15, vcc_lo
	v_bfe_u32 v14, v6, 16, 1
	v_or_b32_e32 v15, 0x400000, v6
	v_cmp_u_f32_e32 vcc_lo, v6, v6
	v_and_b32_e32 v12, 0xffff0000, v13
	v_add3_u32 v14, v14, v6, 0x7fff
	v_cndmask_b32_e32 v6, v14, v15, vcc_lo
	v_and_b32_e32 v14, 0xffff0000, v7
	v_lshlrev_b32_e32 v7, 16, v7
	v_and_b32_e32 v6, 0xffff0000, v6
	v_mul_f32_e32 v14, v10, v14
	v_mul_f32_e32 v7, v103, v7
	v_add_f32_e32 v6, v6, v12
	v_bfe_u32 v15, v14, 16, 1
	v_or_b32_e32 v16, 0x400000, v14
	v_cmp_u_f32_e32 vcc_lo, v14, v14
	v_add_f32_e32 v5, v6, v5
	v_add3_u32 v15, v15, v14, 0x7fff
	v_cndmask_b32_e32 v14, v15, v16, vcc_lo
	v_bfe_u32 v15, v7, 16, 1
	v_or_b32_e32 v16, 0x400000, v7
	v_cmp_u_f32_e32 vcc_lo, v7, v7
	v_add3_u32 v15, v15, v7, 0x7fff
	v_cndmask_b32_e32 v7, v15, v16, vcc_lo
	v_and_b32_e32 v15, 0xffff0000, v8
	v_lshlrev_b32_e32 v8, 16, v8
	v_and_b32_e32 v6, 0xffff0000, v7
	v_mul_f32_e32 v15, v9, v15
	v_mul_f32_e32 v8, v11, v8
	v_and_b32_e32 v7, 0xffff0000, v14
	buffer_load_dword v14, off, s[40:43], 0 offset:188 ; 4-byte Folded Reload
	v_bfe_u32 v16, v15, 16, 1
	v_or_b32_e32 v17, 0x400000, v15
	v_cmp_u_f32_e32 vcc_lo, v15, v15
	v_add_f32_e32 v6, v6, v7
	v_add3_u32 v16, v16, v15, 0x7fff
	v_add_f32_e32 v5, v6, v5
	v_cndmask_b32_e32 v15, v16, v17, vcc_lo
	v_bfe_u32 v16, v8, 16, 1
	v_or_b32_e32 v17, 0x400000, v8
	v_cmp_u_f32_e32 vcc_lo, v8, v8
	v_and_b32_e32 v7, 0xffff0000, v15
	v_add3_u32 v16, v16, v8, 0x7fff
	buffer_load_dword v15, off, s[40:43], 0 offset:192 ; 4-byte Folded Reload
	v_cndmask_b32_e32 v8, v16, v17, vcc_lo
	s_clause 0x1
	buffer_load_dword v16, off, s[40:43], 0 offset:196
	buffer_load_dword v17, off, s[40:43], 0 offset:204
	v_and_b32_e32 v6, 0xffff0000, v8
	v_add_f32_e32 v6, v6, v7
	v_add_f32_e32 v5, v6, v5
	v_add_f32_e32 v107, v107, v5
	v_and_b32_e32 v5, 0xffff0000, v1
	v_lshlrev_b32_e32 v1, 16, v1
	v_mul_f32_e32 v5, v102, v5
	v_mul_f32_e32 v1, v105, v1
	v_bfe_u32 v6, v5, 16, 1
	v_or_b32_e32 v7, 0x400000, v5
	v_cmp_u_f32_e32 vcc_lo, v5, v5
	v_add3_u32 v6, v6, v5, 0x7fff
	v_cndmask_b32_e32 v5, v6, v7, vcc_lo
	v_bfe_u32 v6, v1, 16, 1
	v_or_b32_e32 v7, 0x400000, v1
	v_cmp_u_f32_e32 vcc_lo, v1, v1
	v_and_b32_e32 v5, 0xffff0000, v5
	v_add3_u32 v6, v6, v1, 0x7fff
	v_cndmask_b32_e32 v1, v6, v7, vcc_lo
	v_and_b32_e32 v6, 0xffff0000, v2
	v_lshlrev_b32_e32 v2, 16, v2
	v_and_b32_e32 v1, 0xffff0000, v1
	v_mul_f32_e32 v6, v101, v6
	v_mul_f32_e32 v2, v104, v2
	v_add_f32_e32 v1, v1, v5
	v_bfe_u32 v7, v6, 16, 1
	v_or_b32_e32 v8, 0x400000, v6
	v_cmp_u_f32_e32 vcc_lo, v6, v6
	v_add3_u32 v7, v7, v6, 0x7fff
	v_cndmask_b32_e32 v6, v7, v8, vcc_lo
	v_bfe_u32 v7, v2, 16, 1
	v_or_b32_e32 v8, 0x400000, v2
	v_cmp_u_f32_e32 vcc_lo, v2, v2
	v_and_b32_e32 v5, 0xffff0000, v6
	v_add3_u32 v7, v7, v2, 0x7fff
	v_cndmask_b32_e32 v2, v7, v8, vcc_lo
	v_and_b32_e32 v7, 0xffff0000, v3
	v_lshlrev_b32_e32 v3, 16, v3
	v_and_b32_e32 v2, 0xffff0000, v2
	v_mul_f32_e32 v7, v10, v7
	v_mul_f32_e32 v3, v103, v3
	v_add_f32_e32 v2, v2, v5
	v_bfe_u32 v8, v7, 16, 1
	v_or_b32_e32 v12, 0x400000, v7
	v_cmp_u_f32_e32 vcc_lo, v7, v7
	v_add_f32_e32 v1, v2, v1
	v_add3_u32 v8, v8, v7, 0x7fff
	v_cndmask_b32_e32 v7, v8, v12, vcc_lo
	v_bfe_u32 v8, v3, 16, 1
	v_or_b32_e32 v12, 0x400000, v3
	v_cmp_u_f32_e32 vcc_lo, v3, v3
	v_add3_u32 v8, v8, v3, 0x7fff
	v_cndmask_b32_e32 v3, v8, v12, vcc_lo
	v_and_b32_e32 v8, 0xffff0000, v4
	v_lshlrev_b32_e32 v4, 16, v4
	v_and_b32_e32 v2, 0xffff0000, v3
	v_mul_f32_e32 v8, v9, v8
	v_mul_f32_e32 v4, v11, v4
	v_and_b32_e32 v3, 0xffff0000, v7
	v_bfe_u32 v12, v8, 16, 1
	v_or_b32_e32 v13, 0x400000, v8
	v_cmp_u_f32_e32 vcc_lo, v8, v8
	v_add_f32_e32 v2, v2, v3
	v_add3_u32 v12, v12, v8, 0x7fff
	v_add_f32_e32 v1, v2, v1
	v_cndmask_b32_e32 v8, v12, v13, vcc_lo
	v_bfe_u32 v12, v4, 16, 1
	v_or_b32_e32 v13, 0x400000, v4
	v_cmp_u_f32_e32 vcc_lo, v4, v4
	v_and_b32_e32 v3, 0xffff0000, v8
	v_add3_u32 v12, v12, v4, 0x7fff
	v_cndmask_b32_e32 v4, v12, v13, vcc_lo
	v_and_b32_e32 v2, 0xffff0000, v4
	v_add_f32_e32 v2, v2, v3
	v_add_f32_e32 v1, v2, v1
	;; [unrolled: 1-line block ×3, first 2 shown]
	v_and_b32_e32 v1, 0xffff0000, v121
	v_mul_f32_e32 v1, v102, v1
	v_bfe_u32 v2, v1, 16, 1
	v_or_b32_e32 v3, 0x400000, v1
	v_cmp_u_f32_e32 vcc_lo, v1, v1
	v_add3_u32 v2, v2, v1, 0x7fff
	v_cndmask_b32_e32 v1, v2, v3, vcc_lo
	v_lshlrev_b32_e32 v2, 16, v121
	v_and_b32_e32 v1, 0xffff0000, v1
	v_mul_f32_e32 v2, v105, v2
	v_bfe_u32 v3, v2, 16, 1
	v_or_b32_e32 v4, 0x400000, v2
	v_cmp_u_f32_e32 vcc_lo, v2, v2
	v_add3_u32 v3, v3, v2, 0x7fff
	v_cndmask_b32_e32 v2, v3, v4, vcc_lo
	v_and_b32_e32 v3, 0xffff0000, v122
	v_and_b32_e32 v2, 0xffff0000, v2
	v_mul_f32_e32 v3, v101, v3
	v_add_f32_e32 v1, v2, v1
	v_bfe_u32 v4, v3, 16, 1
	v_or_b32_e32 v5, 0x400000, v3
	v_cmp_u_f32_e32 vcc_lo, v3, v3
	v_add3_u32 v4, v4, v3, 0x7fff
	v_cndmask_b32_e32 v3, v4, v5, vcc_lo
	v_lshlrev_b32_e32 v4, 16, v122
	v_and_b32_e32 v3, 0xffff0000, v3
	v_mul_f32_e32 v4, v104, v4
	v_bfe_u32 v5, v4, 16, 1
	v_or_b32_e32 v6, 0x400000, v4
	v_cmp_u_f32_e32 vcc_lo, v4, v4
	v_add3_u32 v5, v5, v4, 0x7fff
	v_cndmask_b32_e32 v4, v5, v6, vcc_lo
	v_and_b32_e32 v5, 0xffff0000, v123
	v_and_b32_e32 v2, 0xffff0000, v4
	v_mul_f32_e32 v5, v10, v5
	v_add_f32_e32 v2, v2, v3
	v_bfe_u32 v6, v5, 16, 1
	v_or_b32_e32 v7, 0x400000, v5
	v_cmp_u_f32_e32 vcc_lo, v5, v5
	v_add_f32_e32 v1, v2, v1
	v_add3_u32 v6, v6, v5, 0x7fff
	v_cndmask_b32_e32 v5, v6, v7, vcc_lo
	v_lshlrev_b32_e32 v6, 16, v123
	v_and_b32_e32 v3, 0xffff0000, v5
	v_mul_f32_e32 v6, v103, v6
	v_bfe_u32 v7, v6, 16, 1
	v_or_b32_e32 v8, 0x400000, v6
	v_cmp_u_f32_e32 vcc_lo, v6, v6
	v_add3_u32 v7, v7, v6, 0x7fff
	v_cndmask_b32_e32 v6, v7, v8, vcc_lo
	v_and_b32_e32 v7, 0xffff0000, v124
	v_and_b32_e32 v2, 0xffff0000, v6
	v_mul_f32_e32 v7, v9, v7
	v_add_f32_e32 v2, v2, v3
	v_bfe_u32 v8, v7, 16, 1
	v_or_b32_e32 v12, 0x400000, v7
	v_cmp_u_f32_e32 vcc_lo, v7, v7
	v_add_f32_e32 v1, v2, v1
	v_add3_u32 v8, v8, v7, 0x7fff
	v_cndmask_b32_e32 v7, v8, v12, vcc_lo
	v_lshlrev_b32_e32 v8, 16, v124
	v_and_b32_e32 v3, 0xffff0000, v7
	v_mul_f32_e32 v8, v11, v8
	v_bfe_u32 v12, v8, 16, 1
	v_or_b32_e32 v13, 0x400000, v8
	v_cmp_u_f32_e32 vcc_lo, v8, v8
	v_add3_u32 v12, v12, v8, 0x7fff
	v_cndmask_b32_e32 v8, v12, v13, vcc_lo
	v_and_b32_e32 v2, 0xffff0000, v8
	v_add_f32_e32 v2, v2, v3
	v_add_f32_e32 v1, v2, v1
	buffer_load_dword v2, off, s[40:43], 0 offset:88 ; 4-byte Folded Reload
	s_waitcnt vmcnt(0)
	v_add_f32_e32 v2, v2, v1
	v_and_b32_e32 v1, 0xffff0000, v117
	buffer_store_dword v2, off, s[40:43], 0 offset:88 ; 4-byte Folded Spill
	v_mul_f32_e32 v1, v102, v1
	v_bfe_u32 v2, v1, 16, 1
	v_or_b32_e32 v3, 0x400000, v1
	v_cmp_u_f32_e32 vcc_lo, v1, v1
	v_add3_u32 v2, v2, v1, 0x7fff
	v_cndmask_b32_e32 v1, v2, v3, vcc_lo
	v_lshlrev_b32_e32 v2, 16, v117
	v_and_b32_e32 v1, 0xffff0000, v1
	v_mul_f32_e32 v2, v105, v2
	v_bfe_u32 v3, v2, 16, 1
	v_or_b32_e32 v4, 0x400000, v2
	v_cmp_u_f32_e32 vcc_lo, v2, v2
	v_add3_u32 v3, v3, v2, 0x7fff
	v_cndmask_b32_e32 v2, v3, v4, vcc_lo
	v_and_b32_e32 v3, 0xffff0000, v118
	v_and_b32_e32 v2, 0xffff0000, v2
	v_mul_f32_e32 v3, v101, v3
	v_add_f32_e32 v1, v2, v1
	v_bfe_u32 v4, v3, 16, 1
	v_or_b32_e32 v5, 0x400000, v3
	v_cmp_u_f32_e32 vcc_lo, v3, v3
	v_add3_u32 v4, v4, v3, 0x7fff
	v_cndmask_b32_e32 v3, v4, v5, vcc_lo
	v_lshlrev_b32_e32 v4, 16, v118
	v_and_b32_e32 v3, 0xffff0000, v3
	v_mul_f32_e32 v4, v104, v4
	v_bfe_u32 v5, v4, 16, 1
	v_or_b32_e32 v6, 0x400000, v4
	v_cmp_u_f32_e32 vcc_lo, v4, v4
	v_add3_u32 v5, v5, v4, 0x7fff
	v_cndmask_b32_e32 v4, v5, v6, vcc_lo
	v_and_b32_e32 v5, 0xffff0000, v119
	v_and_b32_e32 v2, 0xffff0000, v4
	v_mul_f32_e32 v5, v10, v5
	v_add_f32_e32 v2, v2, v3
	v_bfe_u32 v6, v5, 16, 1
	v_or_b32_e32 v7, 0x400000, v5
	v_cmp_u_f32_e32 vcc_lo, v5, v5
	v_add_f32_e32 v1, v2, v1
	v_add3_u32 v6, v6, v5, 0x7fff
	v_cndmask_b32_e32 v5, v6, v7, vcc_lo
	v_lshlrev_b32_e32 v6, 16, v119
	v_and_b32_e32 v3, 0xffff0000, v5
	v_mul_f32_e32 v6, v103, v6
	v_bfe_u32 v7, v6, 16, 1
	v_or_b32_e32 v8, 0x400000, v6
	v_cmp_u_f32_e32 vcc_lo, v6, v6
	v_add3_u32 v7, v7, v6, 0x7fff
	v_cndmask_b32_e32 v6, v7, v8, vcc_lo
	v_and_b32_e32 v7, 0xffff0000, v120
	v_and_b32_e32 v2, 0xffff0000, v6
	v_mul_f32_e32 v7, v9, v7
	v_add_f32_e32 v2, v2, v3
	v_bfe_u32 v8, v7, 16, 1
	v_or_b32_e32 v12, 0x400000, v7
	v_cmp_u_f32_e32 vcc_lo, v7, v7
	v_add_f32_e32 v1, v2, v1
	v_add3_u32 v8, v8, v7, 0x7fff
	v_cndmask_b32_e32 v7, v8, v12, vcc_lo
	v_lshlrev_b32_e32 v8, 16, v120
	v_and_b32_e32 v3, 0xffff0000, v7
	v_mul_f32_e32 v8, v11, v8
	v_bfe_u32 v12, v8, 16, 1
	v_or_b32_e32 v13, 0x400000, v8
	v_cmp_u_f32_e32 vcc_lo, v8, v8
	v_add3_u32 v12, v12, v8, 0x7fff
	v_cndmask_b32_e32 v8, v12, v13, vcc_lo
	v_and_b32_e32 v2, 0xffff0000, v8
	v_add_f32_e32 v2, v2, v3
	v_add_f32_e32 v1, v2, v1
	buffer_load_dword v2, off, s[40:43], 0 offset:92 ; 4-byte Folded Reload
	s_waitcnt vmcnt(0)
	v_add_f32_e32 v2, v2, v1
	v_and_b32_e32 v1, 0xffff0000, v113
	buffer_store_dword v2, off, s[40:43], 0 offset:92 ; 4-byte Folded Spill
	v_mul_f32_e32 v1, v102, v1
	v_bfe_u32 v2, v1, 16, 1
	v_or_b32_e32 v3, 0x400000, v1
	v_cmp_u_f32_e32 vcc_lo, v1, v1
	v_add3_u32 v2, v2, v1, 0x7fff
	v_cndmask_b32_e32 v1, v2, v3, vcc_lo
	v_lshlrev_b32_e32 v2, 16, v113
	v_and_b32_e32 v1, 0xffff0000, v1
	v_mul_f32_e32 v2, v105, v2
	v_bfe_u32 v3, v2, 16, 1
	v_or_b32_e32 v4, 0x400000, v2
	v_cmp_u_f32_e32 vcc_lo, v2, v2
	v_add3_u32 v3, v3, v2, 0x7fff
	v_cndmask_b32_e32 v2, v3, v4, vcc_lo
	v_and_b32_e32 v3, 0xffff0000, v114
	v_and_b32_e32 v2, 0xffff0000, v2
	v_mul_f32_e32 v3, v101, v3
	v_add_f32_e32 v1, v2, v1
	v_bfe_u32 v4, v3, 16, 1
	v_or_b32_e32 v5, 0x400000, v3
	v_cmp_u_f32_e32 vcc_lo, v3, v3
	v_add3_u32 v4, v4, v3, 0x7fff
	v_cndmask_b32_e32 v3, v4, v5, vcc_lo
	v_lshlrev_b32_e32 v4, 16, v114
	v_and_b32_e32 v3, 0xffff0000, v3
	v_mul_f32_e32 v4, v104, v4
	v_bfe_u32 v5, v4, 16, 1
	v_or_b32_e32 v6, 0x400000, v4
	v_cmp_u_f32_e32 vcc_lo, v4, v4
	v_add3_u32 v5, v5, v4, 0x7fff
	v_cndmask_b32_e32 v4, v5, v6, vcc_lo
	v_and_b32_e32 v5, 0xffff0000, v115
	v_and_b32_e32 v2, 0xffff0000, v4
	v_mul_f32_e32 v5, v10, v5
	v_add_f32_e32 v2, v2, v3
	v_bfe_u32 v6, v5, 16, 1
	v_or_b32_e32 v7, 0x400000, v5
	v_cmp_u_f32_e32 vcc_lo, v5, v5
	v_add_f32_e32 v1, v2, v1
	v_add3_u32 v6, v6, v5, 0x7fff
	v_cndmask_b32_e32 v5, v6, v7, vcc_lo
	v_lshlrev_b32_e32 v6, 16, v115
	v_and_b32_e32 v3, 0xffff0000, v5
	v_mul_f32_e32 v6, v103, v6
	v_bfe_u32 v7, v6, 16, 1
	v_or_b32_e32 v8, 0x400000, v6
	v_cmp_u_f32_e32 vcc_lo, v6, v6
	v_add3_u32 v7, v7, v6, 0x7fff
	v_cndmask_b32_e32 v6, v7, v8, vcc_lo
	v_and_b32_e32 v7, 0xffff0000, v116
	v_and_b32_e32 v2, 0xffff0000, v6
	v_mul_f32_e32 v7, v9, v7
	v_add_f32_e32 v2, v2, v3
	v_bfe_u32 v8, v7, 16, 1
	v_or_b32_e32 v12, 0x400000, v7
	v_cmp_u_f32_e32 vcc_lo, v7, v7
	v_add_f32_e32 v1, v2, v1
	v_add3_u32 v8, v8, v7, 0x7fff
	v_cndmask_b32_e32 v7, v8, v12, vcc_lo
	v_lshlrev_b32_e32 v8, 16, v116
	v_and_b32_e32 v3, 0xffff0000, v7
	v_mul_f32_e32 v8, v11, v8
	v_bfe_u32 v12, v8, 16, 1
	v_or_b32_e32 v13, 0x400000, v8
	v_cmp_u_f32_e32 vcc_lo, v8, v8
	v_add3_u32 v12, v12, v8, 0x7fff
	v_cndmask_b32_e32 v8, v12, v13, vcc_lo
	v_and_b32_e32 v2, 0xffff0000, v8
	v_add_f32_e32 v2, v2, v3
	v_add_f32_e32 v1, v2, v1
	buffer_load_dword v2, off, s[40:43], 0 offset:96 ; 4-byte Folded Reload
	s_waitcnt vmcnt(0)
	v_add_f32_e32 v2, v2, v1
	v_and_b32_e32 v1, 0xffff0000, v109
	buffer_store_dword v2, off, s[40:43], 0 offset:96 ; 4-byte Folded Spill
	v_mul_f32_e32 v1, v102, v1
	v_bfe_u32 v2, v1, 16, 1
	v_or_b32_e32 v3, 0x400000, v1
	v_cmp_u_f32_e32 vcc_lo, v1, v1
	v_add3_u32 v2, v2, v1, 0x7fff
	v_cndmask_b32_e32 v1, v2, v3, vcc_lo
	v_lshlrev_b32_e32 v2, 16, v109
	v_and_b32_e32 v1, 0xffff0000, v1
	v_mul_f32_e32 v2, v105, v2
	v_bfe_u32 v3, v2, 16, 1
	v_or_b32_e32 v4, 0x400000, v2
	v_cmp_u_f32_e32 vcc_lo, v2, v2
	v_add3_u32 v3, v3, v2, 0x7fff
	v_cndmask_b32_e32 v2, v3, v4, vcc_lo
	v_and_b32_e32 v3, 0xffff0000, v110
	v_and_b32_e32 v2, 0xffff0000, v2
	v_mul_f32_e32 v3, v101, v3
	v_add_f32_e32 v1, v2, v1
	v_bfe_u32 v4, v3, 16, 1
	v_or_b32_e32 v5, 0x400000, v3
	v_cmp_u_f32_e32 vcc_lo, v3, v3
	v_add3_u32 v4, v4, v3, 0x7fff
	v_cndmask_b32_e32 v3, v4, v5, vcc_lo
	v_lshlrev_b32_e32 v4, 16, v110
	v_and_b32_e32 v3, 0xffff0000, v3
	v_mul_f32_e32 v4, v104, v4
	v_bfe_u32 v5, v4, 16, 1
	v_or_b32_e32 v6, 0x400000, v4
	v_cmp_u_f32_e32 vcc_lo, v4, v4
	v_add3_u32 v5, v5, v4, 0x7fff
	v_cndmask_b32_e32 v4, v5, v6, vcc_lo
	v_and_b32_e32 v5, 0xffff0000, v111
	v_and_b32_e32 v2, 0xffff0000, v4
	v_mul_f32_e32 v5, v10, v5
	v_add_f32_e32 v2, v2, v3
	v_bfe_u32 v6, v5, 16, 1
	v_or_b32_e32 v7, 0x400000, v5
	v_cmp_u_f32_e32 vcc_lo, v5, v5
	v_add_f32_e32 v1, v2, v1
	v_add3_u32 v6, v6, v5, 0x7fff
	v_cndmask_b32_e32 v5, v6, v7, vcc_lo
	v_lshlrev_b32_e32 v6, 16, v111
	v_and_b32_e32 v3, 0xffff0000, v5
	v_mul_f32_e32 v6, v103, v6
	v_bfe_u32 v7, v6, 16, 1
	v_or_b32_e32 v8, 0x400000, v6
	v_cmp_u_f32_e32 vcc_lo, v6, v6
	v_add3_u32 v7, v7, v6, 0x7fff
	v_cndmask_b32_e32 v6, v7, v8, vcc_lo
	v_and_b32_e32 v7, 0xffff0000, v112
	v_and_b32_e32 v2, 0xffff0000, v6
	v_mul_f32_e32 v7, v9, v7
	v_add_f32_e32 v2, v2, v3
	v_bfe_u32 v8, v7, 16, 1
	v_or_b32_e32 v12, 0x400000, v7
	v_cmp_u_f32_e32 vcc_lo, v7, v7
	v_add_f32_e32 v1, v2, v1
	v_add3_u32 v8, v8, v7, 0x7fff
	v_cndmask_b32_e32 v7, v8, v12, vcc_lo
	v_lshlrev_b32_e32 v8, 16, v112
	v_and_b32_e32 v3, 0xffff0000, v7
	v_mul_f32_e32 v8, v11, v8
	v_bfe_u32 v12, v8, 16, 1
	v_or_b32_e32 v13, 0x400000, v8
	v_cmp_u_f32_e32 vcc_lo, v8, v8
	v_add3_u32 v12, v12, v8, 0x7fff
	v_cndmask_b32_e32 v8, v12, v13, vcc_lo
	v_and_b32_e32 v2, 0xffff0000, v8
	v_add_f32_e32 v2, v2, v3
	v_add_f32_e32 v1, v2, v1
	buffer_load_dword v2, off, s[40:43], 0 offset:100 ; 4-byte Folded Reload
	s_waitcnt vmcnt(0)
	v_add_f32_e32 v2, v2, v1
	v_and_b32_e32 v1, 0xffff0000, v97
	buffer_store_dword v2, off, s[40:43], 0 offset:100 ; 4-byte Folded Spill
	v_mul_f32_e32 v1, v102, v1
	v_bfe_u32 v2, v1, 16, 1
	v_or_b32_e32 v3, 0x400000, v1
	v_cmp_u_f32_e32 vcc_lo, v1, v1
	v_add3_u32 v2, v2, v1, 0x7fff
	v_cndmask_b32_e32 v1, v2, v3, vcc_lo
	v_lshlrev_b32_e32 v2, 16, v97
	v_and_b32_e32 v1, 0xffff0000, v1
	v_mul_f32_e32 v2, v105, v2
	v_bfe_u32 v3, v2, 16, 1
	v_or_b32_e32 v4, 0x400000, v2
	v_cmp_u_f32_e32 vcc_lo, v2, v2
	v_add3_u32 v3, v3, v2, 0x7fff
	v_cndmask_b32_e32 v2, v3, v4, vcc_lo
	v_and_b32_e32 v3, 0xffff0000, v98
	v_and_b32_e32 v2, 0xffff0000, v2
	v_mul_f32_e32 v3, v101, v3
	v_add_f32_e32 v1, v2, v1
	v_bfe_u32 v4, v3, 16, 1
	v_or_b32_e32 v5, 0x400000, v3
	v_cmp_u_f32_e32 vcc_lo, v3, v3
	v_add3_u32 v4, v4, v3, 0x7fff
	v_cndmask_b32_e32 v3, v4, v5, vcc_lo
	v_lshlrev_b32_e32 v4, 16, v98
	v_and_b32_e32 v3, 0xffff0000, v3
	v_mul_f32_e32 v4, v104, v4
	v_bfe_u32 v5, v4, 16, 1
	v_or_b32_e32 v6, 0x400000, v4
	v_cmp_u_f32_e32 vcc_lo, v4, v4
	v_add3_u32 v5, v5, v4, 0x7fff
	v_cndmask_b32_e32 v4, v5, v6, vcc_lo
	v_and_b32_e32 v5, 0xffff0000, v99
	v_and_b32_e32 v2, 0xffff0000, v4
	v_mul_f32_e32 v5, v10, v5
	v_add_f32_e32 v2, v2, v3
	v_bfe_u32 v6, v5, 16, 1
	v_or_b32_e32 v7, 0x400000, v5
	v_cmp_u_f32_e32 vcc_lo, v5, v5
	v_add_f32_e32 v1, v2, v1
	v_add3_u32 v6, v6, v5, 0x7fff
	v_cndmask_b32_e32 v5, v6, v7, vcc_lo
	v_lshlrev_b32_e32 v6, 16, v99
	v_and_b32_e32 v3, 0xffff0000, v5
	v_mul_f32_e32 v6, v103, v6
	v_bfe_u32 v7, v6, 16, 1
	v_or_b32_e32 v8, 0x400000, v6
	v_cmp_u_f32_e32 vcc_lo, v6, v6
	v_add3_u32 v7, v7, v6, 0x7fff
	v_cndmask_b32_e32 v6, v7, v8, vcc_lo
	v_and_b32_e32 v7, 0xffff0000, v100
	v_and_b32_e32 v2, 0xffff0000, v6
	v_mul_f32_e32 v7, v9, v7
	v_add_f32_e32 v2, v2, v3
	v_bfe_u32 v8, v7, 16, 1
	v_or_b32_e32 v12, 0x400000, v7
	v_cmp_u_f32_e32 vcc_lo, v7, v7
	v_add_f32_e32 v1, v2, v1
	v_add3_u32 v8, v8, v7, 0x7fff
	v_cndmask_b32_e32 v7, v8, v12, vcc_lo
	v_lshlrev_b32_e32 v8, 16, v100
	v_and_b32_e32 v3, 0xffff0000, v7
	v_mul_f32_e32 v8, v11, v8
	v_bfe_u32 v12, v8, 16, 1
	v_or_b32_e32 v13, 0x400000, v8
	v_cmp_u_f32_e32 vcc_lo, v8, v8
	v_add3_u32 v12, v12, v8, 0x7fff
	v_cndmask_b32_e32 v8, v12, v13, vcc_lo
	v_and_b32_e32 v2, 0xffff0000, v8
	v_add_f32_e32 v2, v2, v3
	v_add_f32_e32 v1, v2, v1
	buffer_load_dword v2, off, s[40:43], 0 offset:104 ; 4-byte Folded Reload
	s_waitcnt vmcnt(0)
	v_add_f32_e32 v2, v2, v1
	v_and_b32_e32 v1, 0xffff0000, v93
	buffer_store_dword v2, off, s[40:43], 0 offset:104 ; 4-byte Folded Spill
	v_mul_f32_e32 v1, v102, v1
	v_bfe_u32 v2, v1, 16, 1
	v_or_b32_e32 v3, 0x400000, v1
	v_cmp_u_f32_e32 vcc_lo, v1, v1
	v_add3_u32 v2, v2, v1, 0x7fff
	v_cndmask_b32_e32 v1, v2, v3, vcc_lo
	v_lshlrev_b32_e32 v2, 16, v93
	v_and_b32_e32 v1, 0xffff0000, v1
	v_mul_f32_e32 v2, v105, v2
	v_bfe_u32 v3, v2, 16, 1
	v_or_b32_e32 v4, 0x400000, v2
	v_cmp_u_f32_e32 vcc_lo, v2, v2
	v_add3_u32 v3, v3, v2, 0x7fff
	v_cndmask_b32_e32 v2, v3, v4, vcc_lo
	v_and_b32_e32 v3, 0xffff0000, v94
	v_and_b32_e32 v2, 0xffff0000, v2
	v_mul_f32_e32 v3, v101, v3
	v_add_f32_e32 v1, v2, v1
	v_bfe_u32 v4, v3, 16, 1
	v_or_b32_e32 v5, 0x400000, v3
	v_cmp_u_f32_e32 vcc_lo, v3, v3
	v_add3_u32 v4, v4, v3, 0x7fff
	v_cndmask_b32_e32 v3, v4, v5, vcc_lo
	v_lshlrev_b32_e32 v4, 16, v94
	v_and_b32_e32 v3, 0xffff0000, v3
	v_mul_f32_e32 v4, v104, v4
	v_bfe_u32 v5, v4, 16, 1
	v_or_b32_e32 v6, 0x400000, v4
	v_cmp_u_f32_e32 vcc_lo, v4, v4
	v_add3_u32 v5, v5, v4, 0x7fff
	v_cndmask_b32_e32 v4, v5, v6, vcc_lo
	v_and_b32_e32 v5, 0xffff0000, v95
	v_and_b32_e32 v2, 0xffff0000, v4
	v_mul_f32_e32 v5, v10, v5
	v_add_f32_e32 v2, v2, v3
	v_bfe_u32 v6, v5, 16, 1
	v_or_b32_e32 v7, 0x400000, v5
	v_cmp_u_f32_e32 vcc_lo, v5, v5
	v_add_f32_e32 v1, v2, v1
	v_add3_u32 v6, v6, v5, 0x7fff
	v_cndmask_b32_e32 v5, v6, v7, vcc_lo
	v_lshlrev_b32_e32 v6, 16, v95
	v_and_b32_e32 v3, 0xffff0000, v5
	v_mul_f32_e32 v6, v103, v6
	v_bfe_u32 v7, v6, 16, 1
	v_or_b32_e32 v8, 0x400000, v6
	v_cmp_u_f32_e32 vcc_lo, v6, v6
	v_add3_u32 v7, v7, v6, 0x7fff
	v_cndmask_b32_e32 v6, v7, v8, vcc_lo
	v_and_b32_e32 v7, 0xffff0000, v96
	v_and_b32_e32 v2, 0xffff0000, v6
	v_mul_f32_e32 v7, v9, v7
	v_add_f32_e32 v2, v2, v3
	v_bfe_u32 v8, v7, 16, 1
	v_or_b32_e32 v12, 0x400000, v7
	v_cmp_u_f32_e32 vcc_lo, v7, v7
	v_add_f32_e32 v1, v2, v1
	v_add3_u32 v8, v8, v7, 0x7fff
	v_cndmask_b32_e32 v7, v8, v12, vcc_lo
	v_lshlrev_b32_e32 v8, 16, v96
	v_and_b32_e32 v3, 0xffff0000, v7
	v_mul_f32_e32 v8, v11, v8
	v_bfe_u32 v12, v8, 16, 1
	v_or_b32_e32 v13, 0x400000, v8
	v_cmp_u_f32_e32 vcc_lo, v8, v8
	v_add3_u32 v12, v12, v8, 0x7fff
	v_cndmask_b32_e32 v8, v12, v13, vcc_lo
	v_and_b32_e32 v2, 0xffff0000, v8
	v_add_f32_e32 v2, v2, v3
	v_add_f32_e32 v1, v2, v1
	buffer_load_dword v2, off, s[40:43], 0 offset:108 ; 4-byte Folded Reload
	s_waitcnt vmcnt(0)
	v_add_f32_e32 v2, v2, v1
	v_and_b32_e32 v1, 0xffff0000, v89
	buffer_store_dword v2, off, s[40:43], 0 offset:108 ; 4-byte Folded Spill
	v_mul_f32_e32 v1, v102, v1
	v_bfe_u32 v2, v1, 16, 1
	v_or_b32_e32 v3, 0x400000, v1
	v_cmp_u_f32_e32 vcc_lo, v1, v1
	v_add3_u32 v2, v2, v1, 0x7fff
	v_cndmask_b32_e32 v1, v2, v3, vcc_lo
	v_lshlrev_b32_e32 v2, 16, v89
	v_and_b32_e32 v1, 0xffff0000, v1
	v_mul_f32_e32 v2, v105, v2
	v_bfe_u32 v3, v2, 16, 1
	v_or_b32_e32 v4, 0x400000, v2
	v_cmp_u_f32_e32 vcc_lo, v2, v2
	v_add3_u32 v3, v3, v2, 0x7fff
	v_cndmask_b32_e32 v2, v3, v4, vcc_lo
	v_and_b32_e32 v3, 0xffff0000, v90
	v_and_b32_e32 v2, 0xffff0000, v2
	v_mul_f32_e32 v3, v101, v3
	v_add_f32_e32 v1, v2, v1
	v_bfe_u32 v4, v3, 16, 1
	v_or_b32_e32 v5, 0x400000, v3
	v_cmp_u_f32_e32 vcc_lo, v3, v3
	v_add3_u32 v4, v4, v3, 0x7fff
	v_cndmask_b32_e32 v3, v4, v5, vcc_lo
	v_lshlrev_b32_e32 v4, 16, v90
	v_and_b32_e32 v3, 0xffff0000, v3
	v_mul_f32_e32 v4, v104, v4
	v_bfe_u32 v5, v4, 16, 1
	v_or_b32_e32 v6, 0x400000, v4
	v_cmp_u_f32_e32 vcc_lo, v4, v4
	v_add3_u32 v5, v5, v4, 0x7fff
	v_cndmask_b32_e32 v4, v5, v6, vcc_lo
	v_and_b32_e32 v5, 0xffff0000, v91
	v_and_b32_e32 v2, 0xffff0000, v4
	v_mul_f32_e32 v5, v10, v5
	v_add_f32_e32 v2, v2, v3
	v_bfe_u32 v6, v5, 16, 1
	v_or_b32_e32 v7, 0x400000, v5
	v_cmp_u_f32_e32 vcc_lo, v5, v5
	v_add_f32_e32 v1, v2, v1
	v_add3_u32 v6, v6, v5, 0x7fff
	v_cndmask_b32_e32 v5, v6, v7, vcc_lo
	v_lshlrev_b32_e32 v6, 16, v91
	v_and_b32_e32 v3, 0xffff0000, v5
	v_mul_f32_e32 v6, v103, v6
	v_bfe_u32 v7, v6, 16, 1
	v_or_b32_e32 v8, 0x400000, v6
	v_cmp_u_f32_e32 vcc_lo, v6, v6
	v_add3_u32 v7, v7, v6, 0x7fff
	v_cndmask_b32_e32 v6, v7, v8, vcc_lo
	v_and_b32_e32 v7, 0xffff0000, v92
	v_and_b32_e32 v2, 0xffff0000, v6
	v_mul_f32_e32 v7, v9, v7
	v_add_f32_e32 v2, v2, v3
	v_bfe_u32 v8, v7, 16, 1
	v_or_b32_e32 v12, 0x400000, v7
	v_cmp_u_f32_e32 vcc_lo, v7, v7
	v_add_f32_e32 v1, v2, v1
	v_add3_u32 v8, v8, v7, 0x7fff
	v_cndmask_b32_e32 v7, v8, v12, vcc_lo
	v_lshlrev_b32_e32 v8, 16, v92
	v_and_b32_e32 v3, 0xffff0000, v7
	v_mul_f32_e32 v8, v11, v8
	v_bfe_u32 v12, v8, 16, 1
	v_or_b32_e32 v13, 0x400000, v8
	v_cmp_u_f32_e32 vcc_lo, v8, v8
	v_add3_u32 v12, v12, v8, 0x7fff
	v_cndmask_b32_e32 v8, v12, v13, vcc_lo
	v_and_b32_e32 v2, 0xffff0000, v8
	v_add_f32_e32 v2, v2, v3
	v_add_f32_e32 v1, v2, v1
	buffer_load_dword v2, off, s[40:43], 0 offset:112 ; 4-byte Folded Reload
	s_waitcnt vmcnt(0)
	v_add_f32_e32 v2, v2, v1
	v_and_b32_e32 v1, 0xffff0000, v85
	buffer_store_dword v2, off, s[40:43], 0 offset:112 ; 4-byte Folded Spill
	v_mul_f32_e32 v1, v102, v1
	v_bfe_u32 v2, v1, 16, 1
	v_or_b32_e32 v3, 0x400000, v1
	v_cmp_u_f32_e32 vcc_lo, v1, v1
	v_add3_u32 v2, v2, v1, 0x7fff
	v_cndmask_b32_e32 v1, v2, v3, vcc_lo
	v_lshlrev_b32_e32 v2, 16, v85
	v_and_b32_e32 v1, 0xffff0000, v1
	v_mul_f32_e32 v2, v105, v2
	v_bfe_u32 v3, v2, 16, 1
	v_or_b32_e32 v4, 0x400000, v2
	v_cmp_u_f32_e32 vcc_lo, v2, v2
	v_add3_u32 v3, v3, v2, 0x7fff
	v_cndmask_b32_e32 v2, v3, v4, vcc_lo
	v_and_b32_e32 v3, 0xffff0000, v86
	v_and_b32_e32 v2, 0xffff0000, v2
	v_mul_f32_e32 v3, v101, v3
	v_add_f32_e32 v1, v2, v1
	v_bfe_u32 v4, v3, 16, 1
	v_or_b32_e32 v5, 0x400000, v3
	v_cmp_u_f32_e32 vcc_lo, v3, v3
	v_add3_u32 v4, v4, v3, 0x7fff
	v_cndmask_b32_e32 v3, v4, v5, vcc_lo
	v_lshlrev_b32_e32 v4, 16, v86
	v_and_b32_e32 v3, 0xffff0000, v3
	v_mul_f32_e32 v4, v104, v4
	v_bfe_u32 v5, v4, 16, 1
	v_or_b32_e32 v6, 0x400000, v4
	v_cmp_u_f32_e32 vcc_lo, v4, v4
	v_add3_u32 v5, v5, v4, 0x7fff
	v_cndmask_b32_e32 v4, v5, v6, vcc_lo
	v_and_b32_e32 v5, 0xffff0000, v87
	v_and_b32_e32 v2, 0xffff0000, v4
	v_mul_f32_e32 v5, v10, v5
	v_add_f32_e32 v2, v2, v3
	v_bfe_u32 v6, v5, 16, 1
	v_or_b32_e32 v7, 0x400000, v5
	v_cmp_u_f32_e32 vcc_lo, v5, v5
	v_add_f32_e32 v1, v2, v1
	v_add3_u32 v6, v6, v5, 0x7fff
	v_cndmask_b32_e32 v5, v6, v7, vcc_lo
	v_lshlrev_b32_e32 v6, 16, v87
	v_and_b32_e32 v3, 0xffff0000, v5
	v_mul_f32_e32 v6, v103, v6
	v_bfe_u32 v7, v6, 16, 1
	v_or_b32_e32 v8, 0x400000, v6
	v_cmp_u_f32_e32 vcc_lo, v6, v6
	v_add3_u32 v7, v7, v6, 0x7fff
	v_cndmask_b32_e32 v6, v7, v8, vcc_lo
	v_and_b32_e32 v7, 0xffff0000, v88
	v_and_b32_e32 v2, 0xffff0000, v6
	v_mul_f32_e32 v7, v9, v7
	v_add_f32_e32 v2, v2, v3
	v_bfe_u32 v8, v7, 16, 1
	v_or_b32_e32 v12, 0x400000, v7
	v_cmp_u_f32_e32 vcc_lo, v7, v7
	v_add_f32_e32 v1, v2, v1
	v_add3_u32 v8, v8, v7, 0x7fff
	v_cndmask_b32_e32 v7, v8, v12, vcc_lo
	v_lshlrev_b32_e32 v8, 16, v88
	v_and_b32_e32 v3, 0xffff0000, v7
	v_mul_f32_e32 v8, v11, v8
	v_bfe_u32 v12, v8, 16, 1
	v_or_b32_e32 v13, 0x400000, v8
	v_cmp_u_f32_e32 vcc_lo, v8, v8
	v_add3_u32 v12, v12, v8, 0x7fff
	v_cndmask_b32_e32 v8, v12, v13, vcc_lo
	v_and_b32_e32 v2, 0xffff0000, v8
	v_add_f32_e32 v2, v2, v3
	v_add_f32_e32 v1, v2, v1
	buffer_load_dword v2, off, s[40:43], 0 offset:116 ; 4-byte Folded Reload
	s_waitcnt vmcnt(0)
	v_add_f32_e32 v2, v2, v1
	v_and_b32_e32 v1, 0xffff0000, v81
	buffer_store_dword v2, off, s[40:43], 0 offset:116 ; 4-byte Folded Spill
	v_mul_f32_e32 v1, v102, v1
	v_bfe_u32 v2, v1, 16, 1
	v_or_b32_e32 v3, 0x400000, v1
	v_cmp_u_f32_e32 vcc_lo, v1, v1
	v_add3_u32 v2, v2, v1, 0x7fff
	v_cndmask_b32_e32 v1, v2, v3, vcc_lo
	v_lshlrev_b32_e32 v2, 16, v81
	v_and_b32_e32 v1, 0xffff0000, v1
	v_mul_f32_e32 v2, v105, v2
	v_bfe_u32 v3, v2, 16, 1
	v_or_b32_e32 v4, 0x400000, v2
	v_cmp_u_f32_e32 vcc_lo, v2, v2
	v_add3_u32 v3, v3, v2, 0x7fff
	v_cndmask_b32_e32 v2, v3, v4, vcc_lo
	v_and_b32_e32 v3, 0xffff0000, v82
	v_and_b32_e32 v2, 0xffff0000, v2
	v_mul_f32_e32 v3, v101, v3
	v_add_f32_e32 v1, v2, v1
	v_bfe_u32 v4, v3, 16, 1
	v_or_b32_e32 v5, 0x400000, v3
	v_cmp_u_f32_e32 vcc_lo, v3, v3
	v_add3_u32 v4, v4, v3, 0x7fff
	v_cndmask_b32_e32 v3, v4, v5, vcc_lo
	v_lshlrev_b32_e32 v4, 16, v82
	v_and_b32_e32 v3, 0xffff0000, v3
	v_mul_f32_e32 v4, v104, v4
	v_bfe_u32 v5, v4, 16, 1
	v_or_b32_e32 v6, 0x400000, v4
	v_cmp_u_f32_e32 vcc_lo, v4, v4
	v_add3_u32 v5, v5, v4, 0x7fff
	v_cndmask_b32_e32 v4, v5, v6, vcc_lo
	v_and_b32_e32 v5, 0xffff0000, v83
	v_and_b32_e32 v2, 0xffff0000, v4
	v_mul_f32_e32 v5, v10, v5
	v_add_f32_e32 v2, v2, v3
	v_bfe_u32 v6, v5, 16, 1
	v_or_b32_e32 v7, 0x400000, v5
	v_cmp_u_f32_e32 vcc_lo, v5, v5
	v_add_f32_e32 v1, v2, v1
	v_add3_u32 v6, v6, v5, 0x7fff
	v_cndmask_b32_e32 v5, v6, v7, vcc_lo
	v_lshlrev_b32_e32 v6, 16, v83
	v_and_b32_e32 v3, 0xffff0000, v5
	v_mul_f32_e32 v6, v103, v6
	v_bfe_u32 v7, v6, 16, 1
	v_or_b32_e32 v8, 0x400000, v6
	v_cmp_u_f32_e32 vcc_lo, v6, v6
	v_add3_u32 v7, v7, v6, 0x7fff
	v_cndmask_b32_e32 v6, v7, v8, vcc_lo
	v_and_b32_e32 v7, 0xffff0000, v84
	v_and_b32_e32 v2, 0xffff0000, v6
	v_mul_f32_e32 v7, v9, v7
	v_add_f32_e32 v2, v2, v3
	v_bfe_u32 v8, v7, 16, 1
	v_or_b32_e32 v12, 0x400000, v7
	v_cmp_u_f32_e32 vcc_lo, v7, v7
	v_add_f32_e32 v1, v2, v1
	v_add3_u32 v8, v8, v7, 0x7fff
	v_cndmask_b32_e32 v7, v8, v12, vcc_lo
	v_lshlrev_b32_e32 v8, 16, v84
	v_and_b32_e32 v3, 0xffff0000, v7
	v_mul_f32_e32 v8, v11, v8
	v_bfe_u32 v12, v8, 16, 1
	v_or_b32_e32 v13, 0x400000, v8
	v_cmp_u_f32_e32 vcc_lo, v8, v8
	v_add3_u32 v12, v12, v8, 0x7fff
	v_cndmask_b32_e32 v8, v12, v13, vcc_lo
	v_and_b32_e32 v2, 0xffff0000, v8
	v_add_f32_e32 v2, v2, v3
	v_add_f32_e32 v1, v2, v1
	buffer_load_dword v2, off, s[40:43], 0 offset:120 ; 4-byte Folded Reload
	s_waitcnt vmcnt(0)
	v_add_f32_e32 v2, v2, v1
	v_and_b32_e32 v1, 0xffff0000, v77
	buffer_store_dword v2, off, s[40:43], 0 offset:120 ; 4-byte Folded Spill
	v_mul_f32_e32 v1, v102, v1
	v_bfe_u32 v2, v1, 16, 1
	v_or_b32_e32 v3, 0x400000, v1
	v_cmp_u_f32_e32 vcc_lo, v1, v1
	v_add3_u32 v2, v2, v1, 0x7fff
	v_cndmask_b32_e32 v1, v2, v3, vcc_lo
	v_lshlrev_b32_e32 v2, 16, v77
	v_and_b32_e32 v1, 0xffff0000, v1
	v_mul_f32_e32 v2, v105, v2
	v_bfe_u32 v3, v2, 16, 1
	v_or_b32_e32 v4, 0x400000, v2
	v_cmp_u_f32_e32 vcc_lo, v2, v2
	v_add3_u32 v3, v3, v2, 0x7fff
	v_cndmask_b32_e32 v2, v3, v4, vcc_lo
	v_and_b32_e32 v3, 0xffff0000, v78
	v_and_b32_e32 v2, 0xffff0000, v2
	v_mul_f32_e32 v3, v101, v3
	v_add_f32_e32 v1, v2, v1
	v_bfe_u32 v4, v3, 16, 1
	v_or_b32_e32 v5, 0x400000, v3
	v_cmp_u_f32_e32 vcc_lo, v3, v3
	v_add3_u32 v4, v4, v3, 0x7fff
	v_cndmask_b32_e32 v3, v4, v5, vcc_lo
	v_lshlrev_b32_e32 v4, 16, v78
	v_and_b32_e32 v3, 0xffff0000, v3
	v_mul_f32_e32 v4, v104, v4
	v_bfe_u32 v5, v4, 16, 1
	v_or_b32_e32 v6, 0x400000, v4
	v_cmp_u_f32_e32 vcc_lo, v4, v4
	v_add3_u32 v5, v5, v4, 0x7fff
	v_cndmask_b32_e32 v4, v5, v6, vcc_lo
	v_and_b32_e32 v5, 0xffff0000, v79
	v_and_b32_e32 v2, 0xffff0000, v4
	v_mul_f32_e32 v5, v10, v5
	v_add_f32_e32 v2, v2, v3
	v_bfe_u32 v6, v5, 16, 1
	v_or_b32_e32 v7, 0x400000, v5
	v_cmp_u_f32_e32 vcc_lo, v5, v5
	v_add_f32_e32 v1, v2, v1
	v_add3_u32 v6, v6, v5, 0x7fff
	v_cndmask_b32_e32 v5, v6, v7, vcc_lo
	v_lshlrev_b32_e32 v6, 16, v79
	v_and_b32_e32 v3, 0xffff0000, v5
	v_mul_f32_e32 v6, v103, v6
	v_bfe_u32 v7, v6, 16, 1
	v_or_b32_e32 v8, 0x400000, v6
	v_cmp_u_f32_e32 vcc_lo, v6, v6
	v_add3_u32 v7, v7, v6, 0x7fff
	v_cndmask_b32_e32 v6, v7, v8, vcc_lo
	v_and_b32_e32 v7, 0xffff0000, v80
	v_and_b32_e32 v2, 0xffff0000, v6
	v_mul_f32_e32 v7, v9, v7
	v_add_f32_e32 v2, v2, v3
	v_bfe_u32 v8, v7, 16, 1
	v_or_b32_e32 v12, 0x400000, v7
	v_cmp_u_f32_e32 vcc_lo, v7, v7
	v_add_f32_e32 v1, v2, v1
	v_add3_u32 v8, v8, v7, 0x7fff
	v_cndmask_b32_e32 v7, v8, v12, vcc_lo
	v_lshlrev_b32_e32 v8, 16, v80
	v_and_b32_e32 v3, 0xffff0000, v7
	v_mul_f32_e32 v8, v11, v8
	v_bfe_u32 v12, v8, 16, 1
	v_or_b32_e32 v13, 0x400000, v8
	v_cmp_u_f32_e32 vcc_lo, v8, v8
	v_add3_u32 v12, v12, v8, 0x7fff
	v_cndmask_b32_e32 v8, v12, v13, vcc_lo
	v_and_b32_e32 v2, 0xffff0000, v8
	v_add_f32_e32 v2, v2, v3
	v_add_f32_e32 v1, v2, v1
	buffer_load_dword v2, off, s[40:43], 0 offset:124 ; 4-byte Folded Reload
	s_waitcnt vmcnt(0)
	v_add_f32_e32 v2, v2, v1
	v_and_b32_e32 v1, 0xffff0000, v73
	buffer_store_dword v2, off, s[40:43], 0 offset:124 ; 4-byte Folded Spill
	v_mul_f32_e32 v1, v102, v1
	v_bfe_u32 v2, v1, 16, 1
	v_or_b32_e32 v3, 0x400000, v1
	v_cmp_u_f32_e32 vcc_lo, v1, v1
	v_add3_u32 v2, v2, v1, 0x7fff
	v_cndmask_b32_e32 v1, v2, v3, vcc_lo
	v_lshlrev_b32_e32 v2, 16, v73
	v_and_b32_e32 v1, 0xffff0000, v1
	v_mul_f32_e32 v2, v105, v2
	v_bfe_u32 v3, v2, 16, 1
	v_or_b32_e32 v4, 0x400000, v2
	v_cmp_u_f32_e32 vcc_lo, v2, v2
	v_add3_u32 v3, v3, v2, 0x7fff
	v_cndmask_b32_e32 v2, v3, v4, vcc_lo
	v_and_b32_e32 v3, 0xffff0000, v74
	v_and_b32_e32 v2, 0xffff0000, v2
	v_mul_f32_e32 v3, v101, v3
	v_add_f32_e32 v1, v2, v1
	v_bfe_u32 v4, v3, 16, 1
	v_or_b32_e32 v5, 0x400000, v3
	v_cmp_u_f32_e32 vcc_lo, v3, v3
	v_add3_u32 v4, v4, v3, 0x7fff
	v_cndmask_b32_e32 v3, v4, v5, vcc_lo
	v_lshlrev_b32_e32 v4, 16, v74
	v_and_b32_e32 v3, 0xffff0000, v3
	v_mul_f32_e32 v4, v104, v4
	v_bfe_u32 v5, v4, 16, 1
	v_or_b32_e32 v6, 0x400000, v4
	v_cmp_u_f32_e32 vcc_lo, v4, v4
	v_add3_u32 v5, v5, v4, 0x7fff
	v_cndmask_b32_e32 v4, v5, v6, vcc_lo
	v_and_b32_e32 v5, 0xffff0000, v75
	v_and_b32_e32 v2, 0xffff0000, v4
	v_mul_f32_e32 v5, v10, v5
	v_add_f32_e32 v2, v2, v3
	v_bfe_u32 v6, v5, 16, 1
	v_or_b32_e32 v7, 0x400000, v5
	v_cmp_u_f32_e32 vcc_lo, v5, v5
	v_add_f32_e32 v1, v2, v1
	v_add3_u32 v6, v6, v5, 0x7fff
	v_cndmask_b32_e32 v5, v6, v7, vcc_lo
	v_lshlrev_b32_e32 v6, 16, v75
	v_and_b32_e32 v3, 0xffff0000, v5
	v_mul_f32_e32 v6, v103, v6
	v_bfe_u32 v7, v6, 16, 1
	v_or_b32_e32 v8, 0x400000, v6
	v_cmp_u_f32_e32 vcc_lo, v6, v6
	v_add3_u32 v7, v7, v6, 0x7fff
	v_cndmask_b32_e32 v6, v7, v8, vcc_lo
	v_and_b32_e32 v7, 0xffff0000, v76
	v_and_b32_e32 v2, 0xffff0000, v6
	v_mul_f32_e32 v7, v9, v7
	v_add_f32_e32 v2, v2, v3
	v_bfe_u32 v8, v7, 16, 1
	v_or_b32_e32 v12, 0x400000, v7
	v_cmp_u_f32_e32 vcc_lo, v7, v7
	v_add_f32_e32 v1, v2, v1
	v_add3_u32 v8, v8, v7, 0x7fff
	v_cndmask_b32_e32 v7, v8, v12, vcc_lo
	v_lshlrev_b32_e32 v8, 16, v76
	v_and_b32_e32 v3, 0xffff0000, v7
	v_mul_f32_e32 v8, v11, v8
	v_bfe_u32 v12, v8, 16, 1
	v_or_b32_e32 v13, 0x400000, v8
	v_cmp_u_f32_e32 vcc_lo, v8, v8
	v_add3_u32 v12, v12, v8, 0x7fff
	v_cndmask_b32_e32 v8, v12, v13, vcc_lo
	v_and_b32_e32 v2, 0xffff0000, v8
	v_add_f32_e32 v2, v2, v3
	v_add_f32_e32 v1, v2, v1
	buffer_load_dword v2, off, s[40:43], 0 offset:128 ; 4-byte Folded Reload
	s_waitcnt vmcnt(0)
	v_add_f32_e32 v2, v2, v1
	v_and_b32_e32 v1, 0xffff0000, v69
	buffer_store_dword v2, off, s[40:43], 0 offset:128 ; 4-byte Folded Spill
	v_mul_f32_e32 v1, v102, v1
	v_bfe_u32 v2, v1, 16, 1
	v_or_b32_e32 v3, 0x400000, v1
	v_cmp_u_f32_e32 vcc_lo, v1, v1
	v_add3_u32 v2, v2, v1, 0x7fff
	v_cndmask_b32_e32 v1, v2, v3, vcc_lo
	v_lshlrev_b32_e32 v2, 16, v69
	v_and_b32_e32 v1, 0xffff0000, v1
	v_mul_f32_e32 v2, v105, v2
	v_bfe_u32 v3, v2, 16, 1
	v_or_b32_e32 v4, 0x400000, v2
	v_cmp_u_f32_e32 vcc_lo, v2, v2
	v_add3_u32 v3, v3, v2, 0x7fff
	v_cndmask_b32_e32 v2, v3, v4, vcc_lo
	v_and_b32_e32 v3, 0xffff0000, v70
	v_and_b32_e32 v2, 0xffff0000, v2
	v_mul_f32_e32 v3, v101, v3
	v_add_f32_e32 v1, v2, v1
	v_bfe_u32 v4, v3, 16, 1
	v_or_b32_e32 v5, 0x400000, v3
	v_cmp_u_f32_e32 vcc_lo, v3, v3
	v_add3_u32 v4, v4, v3, 0x7fff
	v_cndmask_b32_e32 v3, v4, v5, vcc_lo
	v_lshlrev_b32_e32 v4, 16, v70
	v_and_b32_e32 v3, 0xffff0000, v3
	v_mul_f32_e32 v4, v104, v4
	v_bfe_u32 v5, v4, 16, 1
	v_or_b32_e32 v6, 0x400000, v4
	v_cmp_u_f32_e32 vcc_lo, v4, v4
	v_add3_u32 v5, v5, v4, 0x7fff
	v_cndmask_b32_e32 v4, v5, v6, vcc_lo
	v_and_b32_e32 v5, 0xffff0000, v71
	v_and_b32_e32 v2, 0xffff0000, v4
	v_mul_f32_e32 v5, v10, v5
	v_add_f32_e32 v2, v2, v3
	v_bfe_u32 v6, v5, 16, 1
	v_or_b32_e32 v7, 0x400000, v5
	v_cmp_u_f32_e32 vcc_lo, v5, v5
	v_add_f32_e32 v1, v2, v1
	v_add3_u32 v6, v6, v5, 0x7fff
	v_cndmask_b32_e32 v5, v6, v7, vcc_lo
	v_lshlrev_b32_e32 v6, 16, v71
	v_and_b32_e32 v3, 0xffff0000, v5
	v_mul_f32_e32 v6, v103, v6
	v_bfe_u32 v7, v6, 16, 1
	v_or_b32_e32 v8, 0x400000, v6
	v_cmp_u_f32_e32 vcc_lo, v6, v6
	v_add3_u32 v7, v7, v6, 0x7fff
	v_cndmask_b32_e32 v6, v7, v8, vcc_lo
	v_and_b32_e32 v7, 0xffff0000, v72
	v_and_b32_e32 v2, 0xffff0000, v6
	v_mul_f32_e32 v7, v9, v7
	v_add_f32_e32 v2, v2, v3
	v_bfe_u32 v8, v7, 16, 1
	v_or_b32_e32 v12, 0x400000, v7
	v_cmp_u_f32_e32 vcc_lo, v7, v7
	v_add_f32_e32 v1, v2, v1
	v_add3_u32 v8, v8, v7, 0x7fff
	v_cndmask_b32_e32 v7, v8, v12, vcc_lo
	v_lshlrev_b32_e32 v8, 16, v72
	v_and_b32_e32 v3, 0xffff0000, v7
	v_mul_f32_e32 v8, v11, v8
	v_bfe_u32 v12, v8, 16, 1
	v_or_b32_e32 v13, 0x400000, v8
	v_cmp_u_f32_e32 vcc_lo, v8, v8
	v_add3_u32 v12, v12, v8, 0x7fff
	v_cndmask_b32_e32 v8, v12, v13, vcc_lo
	v_and_b32_e32 v2, 0xffff0000, v8
	v_add_f32_e32 v2, v2, v3
	v_add_f32_e32 v1, v2, v1
	buffer_load_dword v2, off, s[40:43], 0 offset:132 ; 4-byte Folded Reload
	s_waitcnt vmcnt(0)
	v_add_f32_e32 v2, v2, v1
	v_and_b32_e32 v1, 0xffff0000, v65
	buffer_store_dword v2, off, s[40:43], 0 offset:132 ; 4-byte Folded Spill
	v_mul_f32_e32 v1, v102, v1
	v_bfe_u32 v2, v1, 16, 1
	v_or_b32_e32 v3, 0x400000, v1
	v_cmp_u_f32_e32 vcc_lo, v1, v1
	v_add3_u32 v2, v2, v1, 0x7fff
	v_cndmask_b32_e32 v1, v2, v3, vcc_lo
	v_lshlrev_b32_e32 v2, 16, v65
	v_and_b32_e32 v1, 0xffff0000, v1
	v_mul_f32_e32 v2, v105, v2
	v_bfe_u32 v3, v2, 16, 1
	v_or_b32_e32 v4, 0x400000, v2
	v_cmp_u_f32_e32 vcc_lo, v2, v2
	v_add3_u32 v3, v3, v2, 0x7fff
	v_cndmask_b32_e32 v2, v3, v4, vcc_lo
	v_and_b32_e32 v3, 0xffff0000, v66
	v_and_b32_e32 v2, 0xffff0000, v2
	v_mul_f32_e32 v3, v101, v3
	v_add_f32_e32 v1, v2, v1
	v_bfe_u32 v4, v3, 16, 1
	v_or_b32_e32 v5, 0x400000, v3
	v_cmp_u_f32_e32 vcc_lo, v3, v3
	v_add3_u32 v4, v4, v3, 0x7fff
	v_cndmask_b32_e32 v3, v4, v5, vcc_lo
	v_lshlrev_b32_e32 v4, 16, v66
	v_and_b32_e32 v3, 0xffff0000, v3
	v_mul_f32_e32 v4, v104, v4
	v_bfe_u32 v5, v4, 16, 1
	v_or_b32_e32 v6, 0x400000, v4
	v_cmp_u_f32_e32 vcc_lo, v4, v4
	v_add3_u32 v5, v5, v4, 0x7fff
	v_cndmask_b32_e32 v4, v5, v6, vcc_lo
	v_and_b32_e32 v5, 0xffff0000, v67
	v_and_b32_e32 v2, 0xffff0000, v4
	v_mul_f32_e32 v5, v10, v5
	v_add_f32_e32 v2, v2, v3
	v_bfe_u32 v6, v5, 16, 1
	v_or_b32_e32 v7, 0x400000, v5
	v_cmp_u_f32_e32 vcc_lo, v5, v5
	v_add_f32_e32 v1, v2, v1
	v_add3_u32 v6, v6, v5, 0x7fff
	v_cndmask_b32_e32 v5, v6, v7, vcc_lo
	v_lshlrev_b32_e32 v6, 16, v67
	v_and_b32_e32 v3, 0xffff0000, v5
	v_mul_f32_e32 v6, v103, v6
	v_bfe_u32 v7, v6, 16, 1
	v_or_b32_e32 v8, 0x400000, v6
	v_cmp_u_f32_e32 vcc_lo, v6, v6
	v_add3_u32 v7, v7, v6, 0x7fff
	v_cndmask_b32_e32 v6, v7, v8, vcc_lo
	v_and_b32_e32 v7, 0xffff0000, v68
	v_and_b32_e32 v2, 0xffff0000, v6
	v_mul_f32_e32 v7, v9, v7
	v_add_f32_e32 v2, v2, v3
	v_bfe_u32 v8, v7, 16, 1
	v_or_b32_e32 v12, 0x400000, v7
	v_cmp_u_f32_e32 vcc_lo, v7, v7
	v_add_f32_e32 v1, v2, v1
	v_add3_u32 v8, v8, v7, 0x7fff
	v_cndmask_b32_e32 v7, v8, v12, vcc_lo
	v_lshlrev_b32_e32 v8, 16, v68
	v_and_b32_e32 v3, 0xffff0000, v7
	v_mul_f32_e32 v8, v11, v8
	v_bfe_u32 v12, v8, 16, 1
	v_or_b32_e32 v13, 0x400000, v8
	v_cmp_u_f32_e32 vcc_lo, v8, v8
	v_add3_u32 v12, v12, v8, 0x7fff
	v_cndmask_b32_e32 v8, v12, v13, vcc_lo
	v_and_b32_e32 v2, 0xffff0000, v8
	v_add_f32_e32 v2, v2, v3
	v_add_f32_e32 v1, v2, v1
	buffer_load_dword v2, off, s[40:43], 0 offset:136 ; 4-byte Folded Reload
	s_waitcnt vmcnt(0)
	v_add_f32_e32 v2, v2, v1
	v_and_b32_e32 v1, 0xffff0000, v61
	buffer_store_dword v2, off, s[40:43], 0 offset:136 ; 4-byte Folded Spill
	v_mul_f32_e32 v1, v102, v1
	v_bfe_u32 v2, v1, 16, 1
	v_or_b32_e32 v3, 0x400000, v1
	v_cmp_u_f32_e32 vcc_lo, v1, v1
	v_add3_u32 v2, v2, v1, 0x7fff
	v_cndmask_b32_e32 v1, v2, v3, vcc_lo
	v_lshlrev_b32_e32 v2, 16, v61
	v_and_b32_e32 v1, 0xffff0000, v1
	v_mul_f32_e32 v2, v105, v2
	v_bfe_u32 v3, v2, 16, 1
	v_or_b32_e32 v4, 0x400000, v2
	v_cmp_u_f32_e32 vcc_lo, v2, v2
	v_add3_u32 v3, v3, v2, 0x7fff
	v_cndmask_b32_e32 v2, v3, v4, vcc_lo
	v_and_b32_e32 v3, 0xffff0000, v62
	v_and_b32_e32 v2, 0xffff0000, v2
	v_mul_f32_e32 v3, v101, v3
	v_add_f32_e32 v1, v2, v1
	v_bfe_u32 v4, v3, 16, 1
	v_or_b32_e32 v5, 0x400000, v3
	v_cmp_u_f32_e32 vcc_lo, v3, v3
	v_add3_u32 v4, v4, v3, 0x7fff
	v_cndmask_b32_e32 v3, v4, v5, vcc_lo
	v_lshlrev_b32_e32 v4, 16, v62
	v_and_b32_e32 v3, 0xffff0000, v3
	v_mul_f32_e32 v4, v104, v4
	v_bfe_u32 v5, v4, 16, 1
	v_or_b32_e32 v6, 0x400000, v4
	v_cmp_u_f32_e32 vcc_lo, v4, v4
	v_add3_u32 v5, v5, v4, 0x7fff
	v_cndmask_b32_e32 v4, v5, v6, vcc_lo
	v_and_b32_e32 v5, 0xffff0000, v63
	v_and_b32_e32 v2, 0xffff0000, v4
	v_mul_f32_e32 v5, v10, v5
	v_add_f32_e32 v2, v2, v3
	v_bfe_u32 v6, v5, 16, 1
	v_or_b32_e32 v7, 0x400000, v5
	v_cmp_u_f32_e32 vcc_lo, v5, v5
	v_add_f32_e32 v1, v2, v1
	v_add3_u32 v6, v6, v5, 0x7fff
	v_cndmask_b32_e32 v5, v6, v7, vcc_lo
	v_lshlrev_b32_e32 v6, 16, v63
	v_and_b32_e32 v3, 0xffff0000, v5
	v_mul_f32_e32 v6, v103, v6
	v_bfe_u32 v7, v6, 16, 1
	v_or_b32_e32 v8, 0x400000, v6
	v_cmp_u_f32_e32 vcc_lo, v6, v6
	v_add3_u32 v7, v7, v6, 0x7fff
	v_cndmask_b32_e32 v6, v7, v8, vcc_lo
	v_and_b32_e32 v7, 0xffff0000, v64
	v_and_b32_e32 v2, 0xffff0000, v6
	v_mul_f32_e32 v7, v9, v7
	v_add_f32_e32 v2, v2, v3
	v_bfe_u32 v8, v7, 16, 1
	v_or_b32_e32 v12, 0x400000, v7
	v_cmp_u_f32_e32 vcc_lo, v7, v7
	v_add_f32_e32 v1, v2, v1
	v_add3_u32 v8, v8, v7, 0x7fff
	v_cndmask_b32_e32 v7, v8, v12, vcc_lo
	v_lshlrev_b32_e32 v8, 16, v64
	v_and_b32_e32 v3, 0xffff0000, v7
	v_mul_f32_e32 v8, v11, v8
	v_bfe_u32 v12, v8, 16, 1
	v_or_b32_e32 v13, 0x400000, v8
	v_cmp_u_f32_e32 vcc_lo, v8, v8
	v_add3_u32 v12, v12, v8, 0x7fff
	v_cndmask_b32_e32 v8, v12, v13, vcc_lo
	v_and_b32_e32 v2, 0xffff0000, v8
	v_add_f32_e32 v2, v2, v3
	v_add_f32_e32 v1, v2, v1
	buffer_load_dword v2, off, s[40:43], 0 offset:140 ; 4-byte Folded Reload
	s_waitcnt vmcnt(0)
	v_add_f32_e32 v2, v2, v1
	v_and_b32_e32 v1, 0xffff0000, v57
	buffer_store_dword v2, off, s[40:43], 0 offset:140 ; 4-byte Folded Spill
	v_mul_f32_e32 v1, v102, v1
	v_bfe_u32 v2, v1, 16, 1
	v_or_b32_e32 v3, 0x400000, v1
	v_cmp_u_f32_e32 vcc_lo, v1, v1
	v_add3_u32 v2, v2, v1, 0x7fff
	v_cndmask_b32_e32 v1, v2, v3, vcc_lo
	v_lshlrev_b32_e32 v2, 16, v57
	v_and_b32_e32 v1, 0xffff0000, v1
	v_mul_f32_e32 v2, v105, v2
	v_bfe_u32 v3, v2, 16, 1
	v_or_b32_e32 v4, 0x400000, v2
	v_cmp_u_f32_e32 vcc_lo, v2, v2
	v_add3_u32 v3, v3, v2, 0x7fff
	v_cndmask_b32_e32 v2, v3, v4, vcc_lo
	v_and_b32_e32 v3, 0xffff0000, v58
	v_and_b32_e32 v2, 0xffff0000, v2
	v_mul_f32_e32 v3, v101, v3
	v_add_f32_e32 v1, v2, v1
	v_bfe_u32 v4, v3, 16, 1
	v_or_b32_e32 v5, 0x400000, v3
	v_cmp_u_f32_e32 vcc_lo, v3, v3
	v_add3_u32 v4, v4, v3, 0x7fff
	v_cndmask_b32_e32 v3, v4, v5, vcc_lo
	v_lshlrev_b32_e32 v4, 16, v58
	v_and_b32_e32 v3, 0xffff0000, v3
	v_mul_f32_e32 v4, v104, v4
	v_bfe_u32 v5, v4, 16, 1
	v_or_b32_e32 v6, 0x400000, v4
	v_cmp_u_f32_e32 vcc_lo, v4, v4
	v_add3_u32 v5, v5, v4, 0x7fff
	v_cndmask_b32_e32 v4, v5, v6, vcc_lo
	v_and_b32_e32 v5, 0xffff0000, v59
	v_and_b32_e32 v2, 0xffff0000, v4
	v_mul_f32_e32 v5, v10, v5
	v_add_f32_e32 v2, v2, v3
	v_bfe_u32 v6, v5, 16, 1
	v_or_b32_e32 v7, 0x400000, v5
	v_cmp_u_f32_e32 vcc_lo, v5, v5
	v_add_f32_e32 v1, v2, v1
	v_add3_u32 v6, v6, v5, 0x7fff
	v_cndmask_b32_e32 v5, v6, v7, vcc_lo
	v_lshlrev_b32_e32 v6, 16, v59
	v_and_b32_e32 v3, 0xffff0000, v5
	v_mul_f32_e32 v6, v103, v6
	v_bfe_u32 v7, v6, 16, 1
	v_or_b32_e32 v8, 0x400000, v6
	v_cmp_u_f32_e32 vcc_lo, v6, v6
	v_add3_u32 v7, v7, v6, 0x7fff
	v_cndmask_b32_e32 v6, v7, v8, vcc_lo
	v_and_b32_e32 v7, 0xffff0000, v60
	v_and_b32_e32 v2, 0xffff0000, v6
	v_mul_f32_e32 v7, v9, v7
	v_add_f32_e32 v2, v2, v3
	v_bfe_u32 v8, v7, 16, 1
	v_or_b32_e32 v12, 0x400000, v7
	v_cmp_u_f32_e32 vcc_lo, v7, v7
	v_add_f32_e32 v1, v2, v1
	v_add3_u32 v8, v8, v7, 0x7fff
	v_cndmask_b32_e32 v7, v8, v12, vcc_lo
	v_lshlrev_b32_e32 v8, 16, v60
	v_and_b32_e32 v3, 0xffff0000, v7
	v_mul_f32_e32 v8, v11, v8
	v_bfe_u32 v12, v8, 16, 1
	v_or_b32_e32 v13, 0x400000, v8
	v_cmp_u_f32_e32 vcc_lo, v8, v8
	v_add3_u32 v12, v12, v8, 0x7fff
	v_cndmask_b32_e32 v8, v12, v13, vcc_lo
	v_and_b32_e32 v2, 0xffff0000, v8
	v_add_f32_e32 v2, v2, v3
	v_add_f32_e32 v1, v2, v1
	buffer_load_dword v2, off, s[40:43], 0 offset:144 ; 4-byte Folded Reload
	s_waitcnt vmcnt(0)
	v_add_f32_e32 v2, v2, v1
	v_and_b32_e32 v1, 0xffff0000, v53
	buffer_store_dword v2, off, s[40:43], 0 offset:144 ; 4-byte Folded Spill
	v_mul_f32_e32 v1, v102, v1
	v_bfe_u32 v2, v1, 16, 1
	v_or_b32_e32 v3, 0x400000, v1
	v_cmp_u_f32_e32 vcc_lo, v1, v1
	v_add3_u32 v2, v2, v1, 0x7fff
	v_cndmask_b32_e32 v1, v2, v3, vcc_lo
	v_lshlrev_b32_e32 v2, 16, v53
	v_and_b32_e32 v1, 0xffff0000, v1
	v_mul_f32_e32 v2, v105, v2
	v_bfe_u32 v3, v2, 16, 1
	v_or_b32_e32 v4, 0x400000, v2
	v_cmp_u_f32_e32 vcc_lo, v2, v2
	v_add3_u32 v3, v3, v2, 0x7fff
	v_cndmask_b32_e32 v2, v3, v4, vcc_lo
	v_and_b32_e32 v3, 0xffff0000, v54
	v_and_b32_e32 v2, 0xffff0000, v2
	v_mul_f32_e32 v3, v101, v3
	v_add_f32_e32 v1, v2, v1
	v_bfe_u32 v4, v3, 16, 1
	v_or_b32_e32 v5, 0x400000, v3
	v_cmp_u_f32_e32 vcc_lo, v3, v3
	v_add3_u32 v4, v4, v3, 0x7fff
	v_cndmask_b32_e32 v3, v4, v5, vcc_lo
	v_lshlrev_b32_e32 v4, 16, v54
	v_and_b32_e32 v3, 0xffff0000, v3
	v_mul_f32_e32 v4, v104, v4
	v_bfe_u32 v5, v4, 16, 1
	v_or_b32_e32 v6, 0x400000, v4
	v_cmp_u_f32_e32 vcc_lo, v4, v4
	v_add3_u32 v5, v5, v4, 0x7fff
	v_cndmask_b32_e32 v4, v5, v6, vcc_lo
	v_and_b32_e32 v5, 0xffff0000, v55
	v_and_b32_e32 v2, 0xffff0000, v4
	v_mul_f32_e32 v5, v10, v5
	v_add_f32_e32 v2, v2, v3
	v_bfe_u32 v6, v5, 16, 1
	v_or_b32_e32 v7, 0x400000, v5
	v_cmp_u_f32_e32 vcc_lo, v5, v5
	v_add_f32_e32 v1, v2, v1
	v_add3_u32 v6, v6, v5, 0x7fff
	v_cndmask_b32_e32 v5, v6, v7, vcc_lo
	v_lshlrev_b32_e32 v6, 16, v55
	v_and_b32_e32 v3, 0xffff0000, v5
	v_mul_f32_e32 v6, v103, v6
	v_bfe_u32 v7, v6, 16, 1
	v_or_b32_e32 v8, 0x400000, v6
	v_cmp_u_f32_e32 vcc_lo, v6, v6
	v_add3_u32 v7, v7, v6, 0x7fff
	v_cndmask_b32_e32 v6, v7, v8, vcc_lo
	v_and_b32_e32 v7, 0xffff0000, v56
	v_and_b32_e32 v2, 0xffff0000, v6
	v_mul_f32_e32 v7, v9, v7
	v_add_f32_e32 v2, v2, v3
	v_bfe_u32 v8, v7, 16, 1
	v_or_b32_e32 v12, 0x400000, v7
	v_cmp_u_f32_e32 vcc_lo, v7, v7
	v_add_f32_e32 v1, v2, v1
	v_add3_u32 v8, v8, v7, 0x7fff
	v_cndmask_b32_e32 v7, v8, v12, vcc_lo
	v_lshlrev_b32_e32 v8, 16, v56
	v_and_b32_e32 v3, 0xffff0000, v7
	v_mul_f32_e32 v8, v11, v8
	v_bfe_u32 v12, v8, 16, 1
	v_or_b32_e32 v13, 0x400000, v8
	v_cmp_u_f32_e32 vcc_lo, v8, v8
	v_add3_u32 v12, v12, v8, 0x7fff
	v_cndmask_b32_e32 v8, v12, v13, vcc_lo
	v_and_b32_e32 v2, 0xffff0000, v8
	v_add_f32_e32 v2, v2, v3
	v_add_f32_e32 v1, v2, v1
	;; [unrolled: 1-line block ×3, first 2 shown]
	v_and_b32_e32 v1, 0xffff0000, v49
	v_mul_f32_e32 v1, v102, v1
	v_bfe_u32 v2, v1, 16, 1
	v_or_b32_e32 v3, 0x400000, v1
	v_cmp_u_f32_e32 vcc_lo, v1, v1
	v_add3_u32 v2, v2, v1, 0x7fff
	v_cndmask_b32_e32 v1, v2, v3, vcc_lo
	v_lshlrev_b32_e32 v2, 16, v49
	v_and_b32_e32 v1, 0xffff0000, v1
	v_mul_f32_e32 v2, v105, v2
	v_bfe_u32 v3, v2, 16, 1
	v_or_b32_e32 v4, 0x400000, v2
	v_cmp_u_f32_e32 vcc_lo, v2, v2
	v_add3_u32 v3, v3, v2, 0x7fff
	v_cndmask_b32_e32 v2, v3, v4, vcc_lo
	v_and_b32_e32 v3, 0xffff0000, v50
	v_and_b32_e32 v2, 0xffff0000, v2
	v_mul_f32_e32 v3, v101, v3
	v_add_f32_e32 v1, v2, v1
	v_bfe_u32 v4, v3, 16, 1
	v_or_b32_e32 v5, 0x400000, v3
	v_cmp_u_f32_e32 vcc_lo, v3, v3
	v_add3_u32 v4, v4, v3, 0x7fff
	v_cndmask_b32_e32 v3, v4, v5, vcc_lo
	v_lshlrev_b32_e32 v4, 16, v50
	v_and_b32_e32 v3, 0xffff0000, v3
	v_mul_f32_e32 v4, v104, v4
	v_bfe_u32 v5, v4, 16, 1
	v_or_b32_e32 v6, 0x400000, v4
	v_cmp_u_f32_e32 vcc_lo, v4, v4
	v_add3_u32 v5, v5, v4, 0x7fff
	v_cndmask_b32_e32 v4, v5, v6, vcc_lo
	v_and_b32_e32 v5, 0xffff0000, v51
	v_and_b32_e32 v2, 0xffff0000, v4
	v_mul_f32_e32 v5, v10, v5
	v_add_f32_e32 v2, v2, v3
	v_bfe_u32 v6, v5, 16, 1
	v_or_b32_e32 v7, 0x400000, v5
	v_cmp_u_f32_e32 vcc_lo, v5, v5
	v_add_f32_e32 v1, v2, v1
	v_add3_u32 v6, v6, v5, 0x7fff
	v_cndmask_b32_e32 v5, v6, v7, vcc_lo
	v_lshlrev_b32_e32 v6, 16, v51
	v_and_b32_e32 v3, 0xffff0000, v5
	v_mul_f32_e32 v6, v103, v6
	v_bfe_u32 v7, v6, 16, 1
	v_or_b32_e32 v8, 0x400000, v6
	v_cmp_u_f32_e32 vcc_lo, v6, v6
	v_add3_u32 v7, v7, v6, 0x7fff
	v_cndmask_b32_e32 v6, v7, v8, vcc_lo
	v_and_b32_e32 v7, 0xffff0000, v52
	v_and_b32_e32 v2, 0xffff0000, v6
	v_mul_f32_e32 v7, v9, v7
	v_add_f32_e32 v2, v2, v3
	v_bfe_u32 v8, v7, 16, 1
	v_or_b32_e32 v12, 0x400000, v7
	v_cmp_u_f32_e32 vcc_lo, v7, v7
	v_add_f32_e32 v1, v2, v1
	v_add3_u32 v8, v8, v7, 0x7fff
	v_cndmask_b32_e32 v7, v8, v12, vcc_lo
	v_lshlrev_b32_e32 v8, 16, v52
	v_and_b32_e32 v3, 0xffff0000, v7
	v_mul_f32_e32 v8, v11, v8
	v_bfe_u32 v12, v8, 16, 1
	v_or_b32_e32 v13, 0x400000, v8
	v_cmp_u_f32_e32 vcc_lo, v8, v8
	v_add3_u32 v12, v12, v8, 0x7fff
	v_cndmask_b32_e32 v8, v12, v13, vcc_lo
	v_and_b32_e32 v2, 0xffff0000, v8
	v_add_f32_e32 v2, v2, v3
	v_add_f32_e32 v1, v2, v1
	;; [unrolled: 1-line block ×3, first 2 shown]
	v_and_b32_e32 v1, 0xffff0000, v45
	v_mul_f32_e32 v1, v102, v1
	v_bfe_u32 v2, v1, 16, 1
	v_or_b32_e32 v3, 0x400000, v1
	v_cmp_u_f32_e32 vcc_lo, v1, v1
	v_add3_u32 v2, v2, v1, 0x7fff
	v_cndmask_b32_e32 v1, v2, v3, vcc_lo
	v_lshlrev_b32_e32 v2, 16, v45
	v_and_b32_e32 v1, 0xffff0000, v1
	v_mul_f32_e32 v2, v105, v2
	v_bfe_u32 v3, v2, 16, 1
	v_or_b32_e32 v4, 0x400000, v2
	v_cmp_u_f32_e32 vcc_lo, v2, v2
	v_add3_u32 v3, v3, v2, 0x7fff
	v_cndmask_b32_e32 v2, v3, v4, vcc_lo
	v_and_b32_e32 v3, 0xffff0000, v46
	v_and_b32_e32 v2, 0xffff0000, v2
	v_mul_f32_e32 v3, v101, v3
	v_add_f32_e32 v1, v2, v1
	v_bfe_u32 v4, v3, 16, 1
	v_or_b32_e32 v5, 0x400000, v3
	v_cmp_u_f32_e32 vcc_lo, v3, v3
	v_add3_u32 v4, v4, v3, 0x7fff
	v_cndmask_b32_e32 v3, v4, v5, vcc_lo
	v_lshlrev_b32_e32 v4, 16, v46
	v_and_b32_e32 v3, 0xffff0000, v3
	v_mul_f32_e32 v4, v104, v4
	v_bfe_u32 v5, v4, 16, 1
	v_or_b32_e32 v6, 0x400000, v4
	v_cmp_u_f32_e32 vcc_lo, v4, v4
	v_add3_u32 v5, v5, v4, 0x7fff
	v_cndmask_b32_e32 v4, v5, v6, vcc_lo
	v_and_b32_e32 v5, 0xffff0000, v47
	v_and_b32_e32 v2, 0xffff0000, v4
	v_mul_f32_e32 v5, v10, v5
	v_add_f32_e32 v2, v2, v3
	v_bfe_u32 v6, v5, 16, 1
	v_or_b32_e32 v7, 0x400000, v5
	v_cmp_u_f32_e32 vcc_lo, v5, v5
	v_add_f32_e32 v1, v2, v1
	v_add3_u32 v6, v6, v5, 0x7fff
	v_cndmask_b32_e32 v5, v6, v7, vcc_lo
	v_lshlrev_b32_e32 v6, 16, v47
	v_and_b32_e32 v3, 0xffff0000, v5
	v_mul_f32_e32 v6, v103, v6
	v_bfe_u32 v7, v6, 16, 1
	v_or_b32_e32 v8, 0x400000, v6
	v_cmp_u_f32_e32 vcc_lo, v6, v6
	v_add3_u32 v7, v7, v6, 0x7fff
	v_cndmask_b32_e32 v6, v7, v8, vcc_lo
	v_and_b32_e32 v7, 0xffff0000, v48
	v_and_b32_e32 v2, 0xffff0000, v6
	v_mul_f32_e32 v7, v9, v7
	v_add_f32_e32 v2, v2, v3
	v_bfe_u32 v8, v7, 16, 1
	v_or_b32_e32 v12, 0x400000, v7
	v_cmp_u_f32_e32 vcc_lo, v7, v7
	v_add_f32_e32 v1, v2, v1
	v_add3_u32 v8, v8, v7, 0x7fff
	v_cndmask_b32_e32 v7, v8, v12, vcc_lo
	v_lshlrev_b32_e32 v8, 16, v48
	v_and_b32_e32 v3, 0xffff0000, v7
	v_mul_f32_e32 v8, v11, v8
	v_bfe_u32 v12, v8, 16, 1
	v_or_b32_e32 v13, 0x400000, v8
	v_cmp_u_f32_e32 vcc_lo, v8, v8
	v_add3_u32 v12, v12, v8, 0x7fff
	v_cndmask_b32_e32 v8, v12, v13, vcc_lo
	v_and_b32_e32 v2, 0xffff0000, v8
	v_add_f32_e32 v2, v2, v3
	v_add_f32_e32 v1, v2, v1
	;; [unrolled: 1-line block ×3, first 2 shown]
	v_and_b32_e32 v1, 0xffff0000, v41
	v_mul_f32_e32 v1, v102, v1
	v_bfe_u32 v2, v1, 16, 1
	v_or_b32_e32 v3, 0x400000, v1
	v_cmp_u_f32_e32 vcc_lo, v1, v1
	v_add3_u32 v2, v2, v1, 0x7fff
	v_cndmask_b32_e32 v1, v2, v3, vcc_lo
	v_lshlrev_b32_e32 v2, 16, v41
	v_and_b32_e32 v1, 0xffff0000, v1
	v_mul_f32_e32 v2, v105, v2
	v_bfe_u32 v3, v2, 16, 1
	v_or_b32_e32 v4, 0x400000, v2
	v_cmp_u_f32_e32 vcc_lo, v2, v2
	v_add3_u32 v3, v3, v2, 0x7fff
	v_cndmask_b32_e32 v2, v3, v4, vcc_lo
	v_and_b32_e32 v3, 0xffff0000, v42
	v_and_b32_e32 v2, 0xffff0000, v2
	v_mul_f32_e32 v3, v101, v3
	v_add_f32_e32 v1, v2, v1
	v_bfe_u32 v4, v3, 16, 1
	v_or_b32_e32 v5, 0x400000, v3
	v_cmp_u_f32_e32 vcc_lo, v3, v3
	v_add3_u32 v4, v4, v3, 0x7fff
	v_cndmask_b32_e32 v3, v4, v5, vcc_lo
	v_lshlrev_b32_e32 v4, 16, v42
	v_and_b32_e32 v3, 0xffff0000, v3
	v_mul_f32_e32 v4, v104, v4
	v_bfe_u32 v5, v4, 16, 1
	v_or_b32_e32 v6, 0x400000, v4
	v_cmp_u_f32_e32 vcc_lo, v4, v4
	v_add3_u32 v5, v5, v4, 0x7fff
	v_cndmask_b32_e32 v4, v5, v6, vcc_lo
	v_and_b32_e32 v5, 0xffff0000, v43
	v_and_b32_e32 v2, 0xffff0000, v4
	v_mul_f32_e32 v5, v10, v5
	v_add_f32_e32 v2, v2, v3
	v_bfe_u32 v6, v5, 16, 1
	v_or_b32_e32 v7, 0x400000, v5
	v_cmp_u_f32_e32 vcc_lo, v5, v5
	v_add_f32_e32 v1, v2, v1
	v_add3_u32 v6, v6, v5, 0x7fff
	v_cndmask_b32_e32 v5, v6, v7, vcc_lo
	v_lshlrev_b32_e32 v6, 16, v43
	v_and_b32_e32 v3, 0xffff0000, v5
	v_mul_f32_e32 v6, v103, v6
	v_bfe_u32 v7, v6, 16, 1
	v_or_b32_e32 v8, 0x400000, v6
	v_cmp_u_f32_e32 vcc_lo, v6, v6
	v_add3_u32 v7, v7, v6, 0x7fff
	v_cndmask_b32_e32 v6, v7, v8, vcc_lo
	v_and_b32_e32 v7, 0xffff0000, v44
	v_and_b32_e32 v2, 0xffff0000, v6
	v_mul_f32_e32 v7, v9, v7
	v_add_f32_e32 v2, v2, v3
	v_bfe_u32 v8, v7, 16, 1
	v_or_b32_e32 v12, 0x400000, v7
	v_cmp_u_f32_e32 vcc_lo, v7, v7
	v_add_f32_e32 v1, v2, v1
	v_add3_u32 v8, v8, v7, 0x7fff
	v_cndmask_b32_e32 v7, v8, v12, vcc_lo
	v_lshlrev_b32_e32 v8, 16, v44
	v_and_b32_e32 v3, 0xffff0000, v7
	v_mul_f32_e32 v8, v11, v8
	v_bfe_u32 v12, v8, 16, 1
	v_or_b32_e32 v13, 0x400000, v8
	v_cmp_u_f32_e32 vcc_lo, v8, v8
	v_add3_u32 v12, v12, v8, 0x7fff
	v_cndmask_b32_e32 v8, v12, v13, vcc_lo
	v_and_b32_e32 v2, 0xffff0000, v8
	v_add_f32_e32 v2, v2, v3
	v_add_f32_e32 v1, v2, v1
	;; [unrolled: 1-line block ×3, first 2 shown]
	v_and_b32_e32 v1, 0xffff0000, v37
	v_mul_f32_e32 v1, v102, v1
	v_bfe_u32 v2, v1, 16, 1
	v_or_b32_e32 v3, 0x400000, v1
	v_cmp_u_f32_e32 vcc_lo, v1, v1
	v_add3_u32 v2, v2, v1, 0x7fff
	v_cndmask_b32_e32 v1, v2, v3, vcc_lo
	v_lshlrev_b32_e32 v2, 16, v37
	v_and_b32_e32 v1, 0xffff0000, v1
	v_mul_f32_e32 v2, v105, v2
	v_bfe_u32 v3, v2, 16, 1
	v_or_b32_e32 v4, 0x400000, v2
	v_cmp_u_f32_e32 vcc_lo, v2, v2
	v_add3_u32 v3, v3, v2, 0x7fff
	v_cndmask_b32_e32 v2, v3, v4, vcc_lo
	v_and_b32_e32 v3, 0xffff0000, v38
	v_and_b32_e32 v2, 0xffff0000, v2
	v_mul_f32_e32 v3, v101, v3
	v_add_f32_e32 v1, v2, v1
	v_bfe_u32 v4, v3, 16, 1
	v_or_b32_e32 v5, 0x400000, v3
	v_cmp_u_f32_e32 vcc_lo, v3, v3
	v_add3_u32 v4, v4, v3, 0x7fff
	v_cndmask_b32_e32 v3, v4, v5, vcc_lo
	v_lshlrev_b32_e32 v4, 16, v38
	v_and_b32_e32 v3, 0xffff0000, v3
	v_mul_f32_e32 v4, v104, v4
	v_bfe_u32 v5, v4, 16, 1
	v_or_b32_e32 v6, 0x400000, v4
	v_cmp_u_f32_e32 vcc_lo, v4, v4
	v_add3_u32 v5, v5, v4, 0x7fff
	v_cndmask_b32_e32 v4, v5, v6, vcc_lo
	v_and_b32_e32 v5, 0xffff0000, v39
	v_and_b32_e32 v2, 0xffff0000, v4
	v_mul_f32_e32 v5, v10, v5
	v_add_f32_e32 v2, v2, v3
	v_bfe_u32 v6, v5, 16, 1
	v_or_b32_e32 v7, 0x400000, v5
	v_cmp_u_f32_e32 vcc_lo, v5, v5
	v_add_f32_e32 v1, v2, v1
	v_add3_u32 v6, v6, v5, 0x7fff
	v_cndmask_b32_e32 v5, v6, v7, vcc_lo
	v_lshlrev_b32_e32 v6, 16, v39
	v_and_b32_e32 v3, 0xffff0000, v5
	v_mul_f32_e32 v6, v103, v6
	v_bfe_u32 v7, v6, 16, 1
	v_or_b32_e32 v8, 0x400000, v6
	v_cmp_u_f32_e32 vcc_lo, v6, v6
	v_add3_u32 v7, v7, v6, 0x7fff
	v_cndmask_b32_e32 v6, v7, v8, vcc_lo
	v_and_b32_e32 v7, 0xffff0000, v40
	v_and_b32_e32 v2, 0xffff0000, v6
	v_mul_f32_e32 v7, v9, v7
	v_add_f32_e32 v2, v2, v3
	v_bfe_u32 v8, v7, 16, 1
	v_or_b32_e32 v12, 0x400000, v7
	v_cmp_u_f32_e32 vcc_lo, v7, v7
	v_add_f32_e32 v1, v2, v1
	v_add3_u32 v8, v8, v7, 0x7fff
	v_cndmask_b32_e32 v7, v8, v12, vcc_lo
	v_lshlrev_b32_e32 v8, 16, v40
	v_and_b32_e32 v3, 0xffff0000, v7
	v_mul_f32_e32 v8, v11, v8
	v_bfe_u32 v12, v8, 16, 1
	v_or_b32_e32 v13, 0x400000, v8
	v_cmp_u_f32_e32 vcc_lo, v8, v8
	v_add3_u32 v12, v12, v8, 0x7fff
	v_cndmask_b32_e32 v8, v12, v13, vcc_lo
	v_and_b32_e32 v2, 0xffff0000, v8
	v_add_f32_e32 v2, v2, v3
	v_add_f32_e32 v1, v2, v1
	;; [unrolled: 1-line block ×3, first 2 shown]
	v_and_b32_e32 v1, 0xffff0000, v33
	v_mul_f32_e32 v1, v102, v1
	v_bfe_u32 v2, v1, 16, 1
	v_or_b32_e32 v3, 0x400000, v1
	v_cmp_u_f32_e32 vcc_lo, v1, v1
	v_add3_u32 v2, v2, v1, 0x7fff
	v_cndmask_b32_e32 v1, v2, v3, vcc_lo
	v_lshlrev_b32_e32 v2, 16, v33
	v_and_b32_e32 v1, 0xffff0000, v1
	v_mul_f32_e32 v2, v105, v2
	v_bfe_u32 v3, v2, 16, 1
	v_or_b32_e32 v4, 0x400000, v2
	v_cmp_u_f32_e32 vcc_lo, v2, v2
	v_add3_u32 v3, v3, v2, 0x7fff
	v_cndmask_b32_e32 v2, v3, v4, vcc_lo
	v_and_b32_e32 v3, 0xffff0000, v34
	v_and_b32_e32 v2, 0xffff0000, v2
	v_mul_f32_e32 v3, v101, v3
	v_add_f32_e32 v1, v2, v1
	v_bfe_u32 v4, v3, 16, 1
	v_or_b32_e32 v5, 0x400000, v3
	v_cmp_u_f32_e32 vcc_lo, v3, v3
	v_add3_u32 v4, v4, v3, 0x7fff
	v_cndmask_b32_e32 v3, v4, v5, vcc_lo
	v_lshlrev_b32_e32 v4, 16, v34
	v_and_b32_e32 v3, 0xffff0000, v3
	v_mul_f32_e32 v4, v104, v4
	v_bfe_u32 v5, v4, 16, 1
	v_or_b32_e32 v6, 0x400000, v4
	v_cmp_u_f32_e32 vcc_lo, v4, v4
	v_add3_u32 v5, v5, v4, 0x7fff
	v_cndmask_b32_e32 v4, v5, v6, vcc_lo
	v_and_b32_e32 v5, 0xffff0000, v35
	v_and_b32_e32 v2, 0xffff0000, v4
	v_mul_f32_e32 v5, v10, v5
	v_add_f32_e32 v2, v2, v3
	v_bfe_u32 v6, v5, 16, 1
	v_or_b32_e32 v7, 0x400000, v5
	v_cmp_u_f32_e32 vcc_lo, v5, v5
	v_add_f32_e32 v1, v2, v1
	v_add3_u32 v6, v6, v5, 0x7fff
	v_cndmask_b32_e32 v5, v6, v7, vcc_lo
	v_lshlrev_b32_e32 v6, 16, v35
	v_and_b32_e32 v3, 0xffff0000, v5
	v_mul_f32_e32 v6, v103, v6
	v_bfe_u32 v7, v6, 16, 1
	v_or_b32_e32 v8, 0x400000, v6
	v_cmp_u_f32_e32 vcc_lo, v6, v6
	v_add3_u32 v7, v7, v6, 0x7fff
	v_cndmask_b32_e32 v6, v7, v8, vcc_lo
	v_and_b32_e32 v7, 0xffff0000, v36
	v_and_b32_e32 v2, 0xffff0000, v6
	v_mul_f32_e32 v7, v9, v7
	v_add_f32_e32 v2, v2, v3
	v_bfe_u32 v8, v7, 16, 1
	v_or_b32_e32 v12, 0x400000, v7
	v_cmp_u_f32_e32 vcc_lo, v7, v7
	v_add_f32_e32 v1, v2, v1
	v_add3_u32 v8, v8, v7, 0x7fff
	v_cndmask_b32_e32 v7, v8, v12, vcc_lo
	v_lshlrev_b32_e32 v8, 16, v36
	v_and_b32_e32 v3, 0xffff0000, v7
	v_mul_f32_e32 v8, v11, v8
	v_bfe_u32 v12, v8, 16, 1
	v_or_b32_e32 v13, 0x400000, v8
	v_cmp_u_f32_e32 vcc_lo, v8, v8
	v_add3_u32 v12, v12, v8, 0x7fff
	v_cndmask_b32_e32 v8, v12, v13, vcc_lo
	v_and_b32_e32 v2, 0xffff0000, v8
	v_add_f32_e32 v2, v2, v3
	v_add_f32_e32 v1, v2, v1
	;; [unrolled: 1-line block ×3, first 2 shown]
	v_and_b32_e32 v1, 0xffff0000, v29
	v_mul_f32_e32 v1, v102, v1
	v_bfe_u32 v2, v1, 16, 1
	v_or_b32_e32 v3, 0x400000, v1
	v_cmp_u_f32_e32 vcc_lo, v1, v1
	v_add3_u32 v2, v2, v1, 0x7fff
	v_cndmask_b32_e32 v1, v2, v3, vcc_lo
	v_lshlrev_b32_e32 v2, 16, v29
	v_and_b32_e32 v1, 0xffff0000, v1
	v_mul_f32_e32 v2, v105, v2
	v_bfe_u32 v3, v2, 16, 1
	v_or_b32_e32 v4, 0x400000, v2
	v_cmp_u_f32_e32 vcc_lo, v2, v2
	v_add3_u32 v3, v3, v2, 0x7fff
	v_cndmask_b32_e32 v2, v3, v4, vcc_lo
	v_and_b32_e32 v3, 0xffff0000, v30
	v_and_b32_e32 v2, 0xffff0000, v2
	v_mul_f32_e32 v3, v101, v3
	v_add_f32_e32 v1, v2, v1
	v_bfe_u32 v4, v3, 16, 1
	v_or_b32_e32 v5, 0x400000, v3
	v_cmp_u_f32_e32 vcc_lo, v3, v3
	v_add3_u32 v4, v4, v3, 0x7fff
	v_cndmask_b32_e32 v3, v4, v5, vcc_lo
	v_lshlrev_b32_e32 v4, 16, v30
	v_and_b32_e32 v3, 0xffff0000, v3
	v_mul_f32_e32 v4, v104, v4
	v_bfe_u32 v5, v4, 16, 1
	v_or_b32_e32 v6, 0x400000, v4
	v_cmp_u_f32_e32 vcc_lo, v4, v4
	v_add3_u32 v5, v5, v4, 0x7fff
	v_cndmask_b32_e32 v4, v5, v6, vcc_lo
	v_and_b32_e32 v5, 0xffff0000, v31
	v_and_b32_e32 v2, 0xffff0000, v4
	v_mul_f32_e32 v5, v10, v5
	v_add_f32_e32 v2, v2, v3
	v_bfe_u32 v6, v5, 16, 1
	v_or_b32_e32 v7, 0x400000, v5
	v_cmp_u_f32_e32 vcc_lo, v5, v5
	v_add_f32_e32 v1, v2, v1
	v_add3_u32 v6, v6, v5, 0x7fff
	v_cndmask_b32_e32 v5, v6, v7, vcc_lo
	v_lshlrev_b32_e32 v6, 16, v31
	v_and_b32_e32 v3, 0xffff0000, v5
	v_mul_f32_e32 v6, v103, v6
	v_bfe_u32 v7, v6, 16, 1
	v_or_b32_e32 v8, 0x400000, v6
	v_cmp_u_f32_e32 vcc_lo, v6, v6
	v_add3_u32 v7, v7, v6, 0x7fff
	v_cndmask_b32_e32 v6, v7, v8, vcc_lo
	v_and_b32_e32 v7, 0xffff0000, v32
	v_and_b32_e32 v2, 0xffff0000, v6
	v_mul_f32_e32 v7, v9, v7
	v_add_f32_e32 v2, v2, v3
	v_bfe_u32 v8, v7, 16, 1
	v_or_b32_e32 v12, 0x400000, v7
	v_cmp_u_f32_e32 vcc_lo, v7, v7
	v_add_f32_e32 v1, v2, v1
	v_add3_u32 v8, v8, v7, 0x7fff
	v_cndmask_b32_e32 v7, v8, v12, vcc_lo
	v_lshlrev_b32_e32 v8, 16, v32
	v_and_b32_e32 v3, 0xffff0000, v7
	v_mul_f32_e32 v8, v11, v8
	v_bfe_u32 v12, v8, 16, 1
	v_or_b32_e32 v13, 0x400000, v8
	v_cmp_u_f32_e32 vcc_lo, v8, v8
	v_add3_u32 v12, v12, v8, 0x7fff
	v_cndmask_b32_e32 v8, v12, v13, vcc_lo
	v_and_b32_e32 v2, 0xffff0000, v8
	v_add_f32_e32 v2, v2, v3
	v_add_f32_e32 v1, v2, v1
	;; [unrolled: 1-line block ×3, first 2 shown]
	v_and_b32_e32 v1, 0xffff0000, v21
	v_mul_f32_e32 v1, v102, v1
	v_bfe_u32 v2, v1, 16, 1
	v_or_b32_e32 v3, 0x400000, v1
	v_cmp_u_f32_e32 vcc_lo, v1, v1
	v_add3_u32 v2, v2, v1, 0x7fff
	v_cndmask_b32_e32 v1, v2, v3, vcc_lo
	v_lshlrev_b32_e32 v2, 16, v21
	v_and_b32_e32 v1, 0xffff0000, v1
	v_mul_f32_e32 v2, v105, v2
	v_bfe_u32 v3, v2, 16, 1
	v_or_b32_e32 v4, 0x400000, v2
	v_cmp_u_f32_e32 vcc_lo, v2, v2
	v_add3_u32 v3, v3, v2, 0x7fff
	v_cndmask_b32_e32 v2, v3, v4, vcc_lo
	v_and_b32_e32 v3, 0xffff0000, v22
	v_and_b32_e32 v2, 0xffff0000, v2
	v_mul_f32_e32 v3, v101, v3
	v_add_f32_e32 v1, v2, v1
	v_bfe_u32 v4, v3, 16, 1
	v_or_b32_e32 v5, 0x400000, v3
	v_cmp_u_f32_e32 vcc_lo, v3, v3
	v_add3_u32 v4, v4, v3, 0x7fff
	v_cndmask_b32_e32 v3, v4, v5, vcc_lo
	v_lshlrev_b32_e32 v4, 16, v22
	v_and_b32_e32 v3, 0xffff0000, v3
	v_mul_f32_e32 v4, v104, v4
	v_bfe_u32 v5, v4, 16, 1
	v_or_b32_e32 v6, 0x400000, v4
	v_cmp_u_f32_e32 vcc_lo, v4, v4
	v_add3_u32 v5, v5, v4, 0x7fff
	v_cndmask_b32_e32 v4, v5, v6, vcc_lo
	v_and_b32_e32 v5, 0xffff0000, v23
	v_and_b32_e32 v2, 0xffff0000, v4
	v_mul_f32_e32 v5, v10, v5
	v_add_f32_e32 v2, v2, v3
	v_bfe_u32 v6, v5, 16, 1
	v_or_b32_e32 v7, 0x400000, v5
	v_cmp_u_f32_e32 vcc_lo, v5, v5
	v_add_f32_e32 v1, v2, v1
	v_add3_u32 v6, v6, v5, 0x7fff
	v_cndmask_b32_e32 v5, v6, v7, vcc_lo
	v_lshlrev_b32_e32 v6, 16, v23
	v_and_b32_e32 v3, 0xffff0000, v5
	v_mul_f32_e32 v6, v103, v6
	v_bfe_u32 v7, v6, 16, 1
	v_or_b32_e32 v8, 0x400000, v6
	v_cmp_u_f32_e32 vcc_lo, v6, v6
	v_add3_u32 v7, v7, v6, 0x7fff
	v_cndmask_b32_e32 v6, v7, v8, vcc_lo
	v_and_b32_e32 v7, 0xffff0000, v24
	v_and_b32_e32 v2, 0xffff0000, v6
	v_mul_f32_e32 v7, v9, v7
	v_add_f32_e32 v2, v2, v3
	v_bfe_u32 v8, v7, 16, 1
	v_or_b32_e32 v12, 0x400000, v7
	v_cmp_u_f32_e32 vcc_lo, v7, v7
	v_add_f32_e32 v1, v2, v1
	v_add3_u32 v8, v8, v7, 0x7fff
	v_cndmask_b32_e32 v7, v8, v12, vcc_lo
	v_lshlrev_b32_e32 v8, 16, v24
	v_and_b32_e32 v3, 0xffff0000, v7
	v_mul_f32_e32 v8, v11, v8
	v_bfe_u32 v12, v8, 16, 1
	v_or_b32_e32 v13, 0x400000, v8
	v_cmp_u_f32_e32 vcc_lo, v8, v8
	v_add3_u32 v12, v12, v8, 0x7fff
	v_cndmask_b32_e32 v8, v12, v13, vcc_lo
	v_and_b32_e32 v2, 0xffff0000, v8
	v_add_f32_e32 v2, v2, v3
	v_add_f32_e32 v1, v2, v1
	buffer_load_dword v2, off, s[40:43], 0 offset:148 ; 4-byte Folded Reload
	s_waitcnt vmcnt(0)
	v_add_f32_e32 v2, v2, v1
	buffer_store_dword v2, off, s[40:43], 0 offset:148 ; 4-byte Folded Spill
	s_clause 0x3
	buffer_load_dword v21, off, s[40:43], 0 offset:64
	buffer_load_dword v22, off, s[40:43], 0 offset:68
	;; [unrolled: 1-line block ×4, first 2 shown]
	s_waitcnt vmcnt(3)
	v_and_b32_e32 v1, 0xffff0000, v21
	v_mul_f32_e32 v1, v102, v1
	v_bfe_u32 v2, v1, 16, 1
	v_or_b32_e32 v3, 0x400000, v1
	v_cmp_u_f32_e32 vcc_lo, v1, v1
	v_add3_u32 v2, v2, v1, 0x7fff
	v_cndmask_b32_e32 v1, v2, v3, vcc_lo
	v_lshlrev_b32_e32 v2, 16, v21
	v_and_b32_e32 v1, 0xffff0000, v1
	v_mul_f32_e32 v2, v105, v2
	v_bfe_u32 v3, v2, 16, 1
	v_or_b32_e32 v4, 0x400000, v2
	v_cmp_u_f32_e32 vcc_lo, v2, v2
	v_add3_u32 v3, v3, v2, 0x7fff
	v_cndmask_b32_e32 v2, v3, v4, vcc_lo
	s_waitcnt vmcnt(2)
	v_and_b32_e32 v3, 0xffff0000, v22
	v_and_b32_e32 v2, 0xffff0000, v2
	v_mul_f32_e32 v3, v101, v3
	v_add_f32_e32 v1, v2, v1
	v_bfe_u32 v4, v3, 16, 1
	v_or_b32_e32 v5, 0x400000, v3
	v_cmp_u_f32_e32 vcc_lo, v3, v3
	v_add3_u32 v4, v4, v3, 0x7fff
	v_cndmask_b32_e32 v3, v4, v5, vcc_lo
	v_lshlrev_b32_e32 v4, 16, v22
	v_and_b32_e32 v3, 0xffff0000, v3
	v_mul_f32_e32 v4, v104, v4
	v_bfe_u32 v5, v4, 16, 1
	v_or_b32_e32 v6, 0x400000, v4
	v_cmp_u_f32_e32 vcc_lo, v4, v4
	v_add3_u32 v5, v5, v4, 0x7fff
	v_cndmask_b32_e32 v4, v5, v6, vcc_lo
	s_waitcnt vmcnt(1)
	v_and_b32_e32 v5, 0xffff0000, v23
	v_and_b32_e32 v2, 0xffff0000, v4
	v_mul_f32_e32 v5, v10, v5
	v_add_f32_e32 v2, v2, v3
	v_bfe_u32 v6, v5, 16, 1
	v_or_b32_e32 v7, 0x400000, v5
	v_cmp_u_f32_e32 vcc_lo, v5, v5
	v_add_f32_e32 v1, v2, v1
	v_add3_u32 v6, v6, v5, 0x7fff
	v_cndmask_b32_e32 v5, v6, v7, vcc_lo
	v_lshlrev_b32_e32 v6, 16, v23
	v_and_b32_e32 v3, 0xffff0000, v5
	v_mul_f32_e32 v6, v103, v6
	v_bfe_u32 v7, v6, 16, 1
	v_or_b32_e32 v8, 0x400000, v6
	v_cmp_u_f32_e32 vcc_lo, v6, v6
	v_add3_u32 v7, v7, v6, 0x7fff
	v_cndmask_b32_e32 v6, v7, v8, vcc_lo
	s_waitcnt vmcnt(0)
	v_and_b32_e32 v7, 0xffff0000, v24
	v_and_b32_e32 v2, 0xffff0000, v6
	v_mul_f32_e32 v7, v9, v7
	v_add_f32_e32 v2, v2, v3
	v_bfe_u32 v8, v7, 16, 1
	v_or_b32_e32 v12, 0x400000, v7
	v_cmp_u_f32_e32 vcc_lo, v7, v7
	v_add_f32_e32 v1, v2, v1
	v_add3_u32 v8, v8, v7, 0x7fff
	v_cndmask_b32_e32 v7, v8, v12, vcc_lo
	v_lshlrev_b32_e32 v8, 16, v24
	v_and_b32_e32 v3, 0xffff0000, v7
	v_mul_f32_e32 v8, v11, v8
	v_bfe_u32 v12, v8, 16, 1
	v_or_b32_e32 v13, 0x400000, v8
	v_cmp_u_f32_e32 vcc_lo, v8, v8
	v_add3_u32 v12, v12, v8, 0x7fff
	v_cndmask_b32_e32 v8, v12, v13, vcc_lo
	v_and_b32_e32 v2, 0xffff0000, v8
	v_add_f32_e32 v2, v2, v3
	v_add_f32_e32 v1, v2, v1
	buffer_load_dword v2, off, s[40:43], 0 offset:152 ; 4-byte Folded Reload
	s_waitcnt vmcnt(0)
	v_add_f32_e32 v2, v2, v1
	buffer_store_dword v2, off, s[40:43], 0 offset:152 ; 4-byte Folded Spill
	s_clause 0x3
	buffer_load_dword v21, off, s[40:43], 0 offset:48
	buffer_load_dword v22, off, s[40:43], 0 offset:52
	;; [unrolled: 1-line block ×4, first 2 shown]
	s_waitcnt vmcnt(3)
	v_and_b32_e32 v1, 0xffff0000, v21
	v_mul_f32_e32 v1, v102, v1
	v_bfe_u32 v2, v1, 16, 1
	v_or_b32_e32 v3, 0x400000, v1
	v_cmp_u_f32_e32 vcc_lo, v1, v1
	v_add3_u32 v2, v2, v1, 0x7fff
	v_cndmask_b32_e32 v1, v2, v3, vcc_lo
	v_lshlrev_b32_e32 v2, 16, v21
	v_and_b32_e32 v1, 0xffff0000, v1
	v_mul_f32_e32 v2, v105, v2
	v_bfe_u32 v3, v2, 16, 1
	v_or_b32_e32 v4, 0x400000, v2
	v_cmp_u_f32_e32 vcc_lo, v2, v2
	v_add3_u32 v3, v3, v2, 0x7fff
	v_cndmask_b32_e32 v2, v3, v4, vcc_lo
	s_waitcnt vmcnt(2)
	v_and_b32_e32 v3, 0xffff0000, v22
	v_and_b32_e32 v2, 0xffff0000, v2
	v_mul_f32_e32 v3, v101, v3
	v_add_f32_e32 v1, v2, v1
	v_bfe_u32 v4, v3, 16, 1
	v_or_b32_e32 v5, 0x400000, v3
	v_cmp_u_f32_e32 vcc_lo, v3, v3
	v_add3_u32 v4, v4, v3, 0x7fff
	v_cndmask_b32_e32 v3, v4, v5, vcc_lo
	v_lshlrev_b32_e32 v4, 16, v22
	v_and_b32_e32 v3, 0xffff0000, v3
	v_mul_f32_e32 v4, v104, v4
	v_bfe_u32 v5, v4, 16, 1
	v_or_b32_e32 v6, 0x400000, v4
	v_cmp_u_f32_e32 vcc_lo, v4, v4
	v_add3_u32 v5, v5, v4, 0x7fff
	v_cndmask_b32_e32 v4, v5, v6, vcc_lo
	s_waitcnt vmcnt(1)
	v_and_b32_e32 v5, 0xffff0000, v23
	v_and_b32_e32 v2, 0xffff0000, v4
	v_mul_f32_e32 v5, v10, v5
	v_add_f32_e32 v2, v2, v3
	v_bfe_u32 v6, v5, 16, 1
	v_or_b32_e32 v7, 0x400000, v5
	v_cmp_u_f32_e32 vcc_lo, v5, v5
	v_add_f32_e32 v1, v2, v1
	v_add3_u32 v6, v6, v5, 0x7fff
	v_cndmask_b32_e32 v5, v6, v7, vcc_lo
	v_lshlrev_b32_e32 v6, 16, v23
	v_and_b32_e32 v3, 0xffff0000, v5
	v_mul_f32_e32 v6, v103, v6
	v_bfe_u32 v7, v6, 16, 1
	v_or_b32_e32 v8, 0x400000, v6
	v_cmp_u_f32_e32 vcc_lo, v6, v6
	v_add3_u32 v7, v7, v6, 0x7fff
	v_cndmask_b32_e32 v6, v7, v8, vcc_lo
	s_waitcnt vmcnt(0)
	v_and_b32_e32 v7, 0xffff0000, v24
	v_and_b32_e32 v2, 0xffff0000, v6
	v_mul_f32_e32 v7, v9, v7
	v_add_f32_e32 v2, v2, v3
	v_bfe_u32 v8, v7, 16, 1
	v_or_b32_e32 v12, 0x400000, v7
	v_cmp_u_f32_e32 vcc_lo, v7, v7
	v_add_f32_e32 v1, v2, v1
	v_add3_u32 v8, v8, v7, 0x7fff
	v_cndmask_b32_e32 v7, v8, v12, vcc_lo
	v_lshlrev_b32_e32 v8, 16, v24
	v_and_b32_e32 v3, 0xffff0000, v7
	v_mul_f32_e32 v8, v11, v8
	v_bfe_u32 v12, v8, 16, 1
	v_or_b32_e32 v13, 0x400000, v8
	v_cmp_u_f32_e32 vcc_lo, v8, v8
	v_add3_u32 v12, v12, v8, 0x7fff
	v_cndmask_b32_e32 v8, v12, v13, vcc_lo
	v_and_b32_e32 v2, 0xffff0000, v8
	v_add_f32_e32 v2, v2, v3
	v_add_f32_e32 v1, v2, v1
	buffer_load_dword v2, off, s[40:43], 0 offset:156 ; 4-byte Folded Reload
	s_waitcnt vmcnt(0)
	v_add_f32_e32 v2, v2, v1
	buffer_store_dword v2, off, s[40:43], 0 offset:156 ; 4-byte Folded Spill
	s_clause 0x3
	buffer_load_dword v21, off, s[40:43], 0 offset:32
	buffer_load_dword v22, off, s[40:43], 0 offset:36
	;; [unrolled: 1-line block ×4, first 2 shown]
	s_waitcnt vmcnt(3)
	v_and_b32_e32 v1, 0xffff0000, v21
	v_mul_f32_e32 v1, v102, v1
	v_bfe_u32 v2, v1, 16, 1
	v_or_b32_e32 v3, 0x400000, v1
	v_cmp_u_f32_e32 vcc_lo, v1, v1
	v_add3_u32 v2, v2, v1, 0x7fff
	v_cndmask_b32_e32 v1, v2, v3, vcc_lo
	v_lshlrev_b32_e32 v2, 16, v21
	v_and_b32_e32 v1, 0xffff0000, v1
	v_mul_f32_e32 v2, v105, v2
	v_bfe_u32 v3, v2, 16, 1
	v_or_b32_e32 v4, 0x400000, v2
	v_cmp_u_f32_e32 vcc_lo, v2, v2
	v_add3_u32 v3, v3, v2, 0x7fff
	v_cndmask_b32_e32 v2, v3, v4, vcc_lo
	s_waitcnt vmcnt(2)
	v_and_b32_e32 v3, 0xffff0000, v22
	v_and_b32_e32 v2, 0xffff0000, v2
	v_mul_f32_e32 v3, v101, v3
	v_add_f32_e32 v1, v2, v1
	v_bfe_u32 v4, v3, 16, 1
	v_or_b32_e32 v5, 0x400000, v3
	v_cmp_u_f32_e32 vcc_lo, v3, v3
	v_add3_u32 v4, v4, v3, 0x7fff
	v_cndmask_b32_e32 v3, v4, v5, vcc_lo
	v_lshlrev_b32_e32 v4, 16, v22
	v_and_b32_e32 v3, 0xffff0000, v3
	v_mul_f32_e32 v4, v104, v4
	v_bfe_u32 v5, v4, 16, 1
	v_or_b32_e32 v6, 0x400000, v4
	v_cmp_u_f32_e32 vcc_lo, v4, v4
	v_add3_u32 v5, v5, v4, 0x7fff
	v_cndmask_b32_e32 v4, v5, v6, vcc_lo
	s_waitcnt vmcnt(1)
	v_and_b32_e32 v5, 0xffff0000, v23
	v_and_b32_e32 v2, 0xffff0000, v4
	v_mul_f32_e32 v5, v10, v5
	v_add_f32_e32 v2, v2, v3
	v_bfe_u32 v6, v5, 16, 1
	v_or_b32_e32 v7, 0x400000, v5
	v_cmp_u_f32_e32 vcc_lo, v5, v5
	v_add_f32_e32 v1, v2, v1
	v_add3_u32 v6, v6, v5, 0x7fff
	v_cndmask_b32_e32 v5, v6, v7, vcc_lo
	v_lshlrev_b32_e32 v6, 16, v23
	v_and_b32_e32 v3, 0xffff0000, v5
	v_mul_f32_e32 v6, v103, v6
	v_bfe_u32 v7, v6, 16, 1
	v_or_b32_e32 v8, 0x400000, v6
	v_cmp_u_f32_e32 vcc_lo, v6, v6
	v_add3_u32 v7, v7, v6, 0x7fff
	v_cndmask_b32_e32 v6, v7, v8, vcc_lo
	s_waitcnt vmcnt(0)
	v_and_b32_e32 v7, 0xffff0000, v24
	v_and_b32_e32 v2, 0xffff0000, v6
	v_mul_f32_e32 v7, v9, v7
	v_add_f32_e32 v2, v2, v3
	v_bfe_u32 v8, v7, 16, 1
	v_or_b32_e32 v12, 0x400000, v7
	v_cmp_u_f32_e32 vcc_lo, v7, v7
	v_add_f32_e32 v1, v2, v1
	v_add3_u32 v8, v8, v7, 0x7fff
	v_cndmask_b32_e32 v7, v8, v12, vcc_lo
	v_lshlrev_b32_e32 v8, 16, v24
	v_and_b32_e32 v3, 0xffff0000, v7
	v_mul_f32_e32 v8, v11, v8
	v_bfe_u32 v12, v8, 16, 1
	v_or_b32_e32 v13, 0x400000, v8
	v_cmp_u_f32_e32 vcc_lo, v8, v8
	v_add3_u32 v12, v12, v8, 0x7fff
	v_cndmask_b32_e32 v8, v12, v13, vcc_lo
	v_and_b32_e32 v2, 0xffff0000, v8
	v_add_f32_e32 v2, v2, v3
	v_add_f32_e32 v1, v2, v1
	buffer_load_dword v2, off, s[40:43], 0 offset:164 ; 4-byte Folded Reload
	s_waitcnt vmcnt(0)
	v_add_f32_e32 v2, v2, v1
	buffer_store_dword v2, off, s[40:43], 0 offset:164 ; 4-byte Folded Spill
	s_clause 0x3
	buffer_load_dword v21, off, s[40:43], 0 offset:16
	buffer_load_dword v22, off, s[40:43], 0 offset:20
	;; [unrolled: 1-line block ×4, first 2 shown]
	s_waitcnt vmcnt(3)
	v_and_b32_e32 v1, 0xffff0000, v21
	v_mul_f32_e32 v1, v102, v1
	v_bfe_u32 v2, v1, 16, 1
	v_or_b32_e32 v3, 0x400000, v1
	v_cmp_u_f32_e32 vcc_lo, v1, v1
	v_add3_u32 v2, v2, v1, 0x7fff
	v_cndmask_b32_e32 v1, v2, v3, vcc_lo
	v_lshlrev_b32_e32 v2, 16, v21
	v_and_b32_e32 v1, 0xffff0000, v1
	v_mul_f32_e32 v2, v105, v2
	v_bfe_u32 v3, v2, 16, 1
	v_or_b32_e32 v4, 0x400000, v2
	v_cmp_u_f32_e32 vcc_lo, v2, v2
	v_add3_u32 v3, v3, v2, 0x7fff
	v_cndmask_b32_e32 v2, v3, v4, vcc_lo
	s_waitcnt vmcnt(2)
	v_and_b32_e32 v3, 0xffff0000, v22
	v_and_b32_e32 v2, 0xffff0000, v2
	v_mul_f32_e32 v3, v101, v3
	v_add_f32_e32 v1, v2, v1
	v_bfe_u32 v4, v3, 16, 1
	v_or_b32_e32 v5, 0x400000, v3
	v_cmp_u_f32_e32 vcc_lo, v3, v3
	v_add3_u32 v4, v4, v3, 0x7fff
	v_cndmask_b32_e32 v3, v4, v5, vcc_lo
	v_lshlrev_b32_e32 v4, 16, v22
	v_and_b32_e32 v3, 0xffff0000, v3
	v_mul_f32_e32 v4, v104, v4
	v_bfe_u32 v5, v4, 16, 1
	v_or_b32_e32 v6, 0x400000, v4
	v_cmp_u_f32_e32 vcc_lo, v4, v4
	v_add3_u32 v5, v5, v4, 0x7fff
	v_cndmask_b32_e32 v4, v5, v6, vcc_lo
	s_waitcnt vmcnt(1)
	v_and_b32_e32 v5, 0xffff0000, v23
	v_and_b32_e32 v2, 0xffff0000, v4
	v_mul_f32_e32 v5, v10, v5
	v_add_f32_e32 v2, v2, v3
	v_bfe_u32 v6, v5, 16, 1
	v_or_b32_e32 v7, 0x400000, v5
	v_cmp_u_f32_e32 vcc_lo, v5, v5
	v_add_f32_e32 v1, v2, v1
	v_add3_u32 v6, v6, v5, 0x7fff
	v_cndmask_b32_e32 v5, v6, v7, vcc_lo
	v_lshlrev_b32_e32 v6, 16, v23
	v_and_b32_e32 v3, 0xffff0000, v5
	v_mul_f32_e32 v6, v103, v6
	v_bfe_u32 v7, v6, 16, 1
	v_or_b32_e32 v8, 0x400000, v6
	v_cmp_u_f32_e32 vcc_lo, v6, v6
	v_add3_u32 v7, v7, v6, 0x7fff
	v_cndmask_b32_e32 v6, v7, v8, vcc_lo
	s_waitcnt vmcnt(0)
	v_and_b32_e32 v7, 0xffff0000, v24
	v_and_b32_e32 v2, 0xffff0000, v6
	v_mul_f32_e32 v7, v9, v7
	v_add_f32_e32 v2, v2, v3
	v_bfe_u32 v8, v7, 16, 1
	v_or_b32_e32 v12, 0x400000, v7
	v_cmp_u_f32_e32 vcc_lo, v7, v7
	v_add_f32_e32 v1, v2, v1
	v_add3_u32 v8, v8, v7, 0x7fff
	v_cndmask_b32_e32 v7, v8, v12, vcc_lo
	v_lshlrev_b32_e32 v8, 16, v24
	v_and_b32_e32 v3, 0xffff0000, v7
	v_mul_f32_e32 v8, v11, v8
	v_bfe_u32 v12, v8, 16, 1
	v_or_b32_e32 v13, 0x400000, v8
	v_cmp_u_f32_e32 vcc_lo, v8, v8
	v_add3_u32 v12, v12, v8, 0x7fff
	v_cndmask_b32_e32 v8, v12, v13, vcc_lo
	v_and_b32_e32 v2, 0xffff0000, v8
	v_add_f32_e32 v2, v2, v3
	v_add_f32_e32 v1, v2, v1
	buffer_load_dword v2, off, s[40:43], 0 offset:168 ; 4-byte Folded Reload
	s_waitcnt vmcnt(0)
	v_add_f32_e32 v2, v2, v1
	buffer_store_dword v2, off, s[40:43], 0 offset:168 ; 4-byte Folded Spill
	s_clause 0x4
	buffer_load_dword v21, off, s[40:43], 0
	buffer_load_dword v22, off, s[40:43], 0 offset:4
	buffer_load_dword v23, off, s[40:43], 0 offset:8
	buffer_load_dword v24, off, s[40:43], 0 offset:12
	buffer_load_dword v55, off, s[40:43], 0 offset:172
	s_waitcnt vmcnt(4)
	v_and_b32_e32 v1, 0xffff0000, v21
	v_mul_f32_e32 v1, v102, v1
	v_bfe_u32 v2, v1, 16, 1
	v_or_b32_e32 v3, 0x400000, v1
	v_cmp_u_f32_e32 vcc_lo, v1, v1
	v_add3_u32 v2, v2, v1, 0x7fff
	v_cndmask_b32_e32 v1, v2, v3, vcc_lo
	v_lshlrev_b32_e32 v2, 16, v21
	v_and_b32_e32 v1, 0xffff0000, v1
	v_mul_f32_e32 v2, v105, v2
	v_bfe_u32 v3, v2, 16, 1
	v_or_b32_e32 v4, 0x400000, v2
	v_cmp_u_f32_e32 vcc_lo, v2, v2
	v_add3_u32 v3, v3, v2, 0x7fff
	v_cndmask_b32_e32 v2, v3, v4, vcc_lo
	s_waitcnt vmcnt(3)
	v_and_b32_e32 v3, 0xffff0000, v22
	v_and_b32_e32 v2, 0xffff0000, v2
	v_mul_f32_e32 v3, v101, v3
	v_add_f32_e32 v1, v2, v1
	v_bfe_u32 v4, v3, 16, 1
	v_or_b32_e32 v5, 0x400000, v3
	v_cmp_u_f32_e32 vcc_lo, v3, v3
	v_add3_u32 v4, v4, v3, 0x7fff
	v_cndmask_b32_e32 v3, v4, v5, vcc_lo
	v_lshlrev_b32_e32 v4, 16, v22
	v_and_b32_e32 v3, 0xffff0000, v3
	v_mul_f32_e32 v4, v104, v4
	v_bfe_u32 v5, v4, 16, 1
	v_or_b32_e32 v6, 0x400000, v4
	v_cmp_u_f32_e32 vcc_lo, v4, v4
	v_add3_u32 v5, v5, v4, 0x7fff
	v_cndmask_b32_e32 v4, v5, v6, vcc_lo
	s_waitcnt vmcnt(2)
	v_and_b32_e32 v5, 0xffff0000, v23
	v_and_b32_e32 v2, 0xffff0000, v4
	v_mul_f32_e32 v5, v10, v5
	v_add_f32_e32 v2, v2, v3
	v_bfe_u32 v6, v5, 16, 1
	v_or_b32_e32 v7, 0x400000, v5
	v_cmp_u_f32_e32 vcc_lo, v5, v5
	v_add_f32_e32 v1, v2, v1
	v_add3_u32 v6, v6, v5, 0x7fff
	v_cndmask_b32_e32 v5, v6, v7, vcc_lo
	v_lshlrev_b32_e32 v6, 16, v23
	v_and_b32_e32 v3, 0xffff0000, v5
	v_mul_f32_e32 v6, v103, v6
	v_bfe_u32 v7, v6, 16, 1
	v_or_b32_e32 v8, 0x400000, v6
	v_cmp_u_f32_e32 vcc_lo, v6, v6
	v_add3_u32 v7, v7, v6, 0x7fff
	v_cndmask_b32_e32 v6, v7, v8, vcc_lo
	s_waitcnt vmcnt(1)
	v_and_b32_e32 v7, 0xffff0000, v24
	v_and_b32_e32 v2, 0xffff0000, v6
	v_mul_f32_e32 v7, v9, v7
	v_add_f32_e32 v2, v2, v3
	v_bfe_u32 v8, v7, 16, 1
	v_or_b32_e32 v12, 0x400000, v7
	v_cmp_u_f32_e32 vcc_lo, v7, v7
	v_add_f32_e32 v1, v2, v1
	v_add3_u32 v8, v8, v7, 0x7fff
	v_cndmask_b32_e32 v7, v8, v12, vcc_lo
	v_lshlrev_b32_e32 v8, 16, v24
	v_and_b32_e32 v3, 0xffff0000, v7
	v_mul_f32_e32 v8, v11, v8
	v_bfe_u32 v12, v8, 16, 1
	v_or_b32_e32 v13, 0x400000, v8
	v_cmp_u_f32_e32 vcc_lo, v8, v8
	v_add3_u32 v12, v12, v8, 0x7fff
	v_cndmask_b32_e32 v8, v12, v13, vcc_lo
	v_and_b32_e32 v2, 0xffff0000, v8
	v_add_f32_e32 v2, v2, v3
	v_add_f32_e32 v1, v2, v1
	buffer_load_dword v2, off, s[40:43], 0 offset:160 ; 4-byte Folded Reload
	s_waitcnt vmcnt(0)
	v_add_f32_e32 v2, v2, v1
	v_lshlrev_b32_e32 v1, 16, v25
	buffer_store_dword v2, off, s[40:43], 0 offset:160 ; 4-byte Folded Spill
	v_mul_f32_e32 v1, v105, v1
	v_bfe_u32 v2, v1, 16, 1
	v_or_b32_e32 v3, 0x400000, v1
	v_cmp_u_f32_e32 vcc_lo, v1, v1
	v_add3_u32 v2, v2, v1, 0x7fff
	v_cndmask_b32_e32 v1, v2, v3, vcc_lo
	v_and_b32_e32 v2, 0xffff0000, v25
	v_and_b32_e32 v1, 0xffff0000, v1
	v_mul_f32_e32 v2, v102, v2
	v_bfe_u32 v3, v2, 16, 1
	v_or_b32_e32 v4, 0x400000, v2
	v_cmp_u_f32_e32 vcc_lo, v2, v2
	v_add3_u32 v3, v3, v2, 0x7fff
	v_cndmask_b32_e32 v2, v3, v4, vcc_lo
	v_lshlrev_b32_e32 v3, 16, v26
	v_and_b32_e32 v2, 0xffff0000, v2
	v_mul_f32_e32 v3, v104, v3
	v_add_f32_e32 v1, v1, v2
	v_bfe_u32 v4, v3, 16, 1
	v_or_b32_e32 v5, 0x400000, v3
	v_cmp_u_f32_e32 vcc_lo, v3, v3
	v_add3_u32 v4, v4, v3, 0x7fff
	v_cndmask_b32_e32 v3, v4, v5, vcc_lo
	v_and_b32_e32 v4, 0xffff0000, v26
	s_clause 0x1
	buffer_load_dword v25, off, s[40:43], 0 offset:80
	buffer_load_dword v26, off, s[40:43], 0 offset:84
	v_and_b32_e32 v3, 0xffff0000, v3
	v_mul_f32_e32 v4, v101, v4
	v_bfe_u32 v5, v4, 16, 1
	v_or_b32_e32 v6, 0x400000, v4
	v_cmp_u_f32_e32 vcc_lo, v4, v4
	v_add3_u32 v5, v5, v4, 0x7fff
	v_cndmask_b32_e32 v4, v5, v6, vcc_lo
	v_lshlrev_b32_e32 v5, 16, v27
	v_and_b32_e32 v2, 0xffff0000, v4
	v_mul_f32_e32 v5, v103, v5
	v_add_f32_e32 v2, v3, v2
	v_bfe_u32 v6, v5, 16, 1
	v_or_b32_e32 v7, 0x400000, v5
	v_cmp_u_f32_e32 vcc_lo, v5, v5
	v_add_f32_e32 v1, v2, v1
	v_add3_u32 v6, v6, v5, 0x7fff
	v_cndmask_b32_e32 v5, v6, v7, vcc_lo
	v_and_b32_e32 v6, 0xffff0000, v27
	v_and_b32_e32 v3, 0xffff0000, v5
	v_mul_f32_e32 v6, v10, v6
	v_bfe_u32 v7, v6, 16, 1
	v_or_b32_e32 v8, 0x400000, v6
	v_cmp_u_f32_e32 vcc_lo, v6, v6
	v_add3_u32 v7, v7, v6, 0x7fff
	v_cndmask_b32_e32 v6, v7, v8, vcc_lo
	v_lshlrev_b32_e32 v7, 16, v28
	v_and_b32_e32 v2, 0xffff0000, v6
	v_mul_f32_e32 v7, v11, v7
	v_add_f32_e32 v2, v3, v2
	v_bfe_u32 v8, v7, 16, 1
	v_or_b32_e32 v10, 0x400000, v7
	v_cmp_u_f32_e32 vcc_lo, v7, v7
	v_add_f32_e32 v1, v2, v1
	v_add3_u32 v8, v8, v7, 0x7fff
	v_cndmask_b32_e32 v7, v8, v10, vcc_lo
	v_and_b32_e32 v8, 0xffff0000, v28
	v_and_b32_e32 v3, 0xffff0000, v7
	v_mul_f32_e32 v8, v9, v8
	v_bfe_u32 v9, v8, 16, 1
	v_or_b32_e32 v10, 0x400000, v8
	v_cmp_u_f32_e32 vcc_lo, v8, v8
	v_add3_u32 v9, v9, v8, 0x7fff
	v_cndmask_b32_e32 v8, v9, v10, vcc_lo
	v_and_b32_e32 v2, 0xffff0000, v8
	v_add_f32_e32 v2, v3, v2
	s_clause 0x2
	buffer_load_dword v3, off, s[40:43], 0 offset:216
	buffer_load_dword v7, off, s[40:43], 0 offset:220
	;; [unrolled: 1-line block ×3, first 2 shown]
	v_add_f32_e32 v1, v2, v1
	v_add_f32_e32 v55, v55, v1
	s_waitcnt vmcnt(4)
	v_add_nc_u32_e32 v25, 4, v25
	s_waitcnt vmcnt(1)
	v_add_co_u32 v7, vcc_lo, v7, 16
	s_waitcnt vmcnt(0)
	v_add_co_ci_u32_e64 v8, null, 0, v8, vcc_lo
	v_cmp_le_i32_e32 vcc_lo, s11, v25
	v_add_nc_u32_e32 v3, 0x200, v3
	s_or_b32 s14, vcc_lo, s14
	s_andn2_b32 exec_lo, exec_lo, s14
	s_cbranch_execz .LBB188_93
.LBB188_29:                             ; =>This Inner Loop Header: Depth=1
	buffer_store_dword v19, off, s[40:43], 0 offset:212 ; 4-byte Folded Spill
	buffer_store_dword v18, off, s[40:43], 0 offset:208 ; 4-byte Folded Spill
	;; [unrolled: 1-line block ×12, first 2 shown]
	v_cmp_eq_u32_e64 s1, s12, v25
	v_add_nc_u32_e32 v17, 1, v125
	v_or_b32_e32 v16, 3, v125
	v_or_b32_e32 v15, 2, v125
	v_or_b32_e32 v14, 5, v125
	v_or_b32_e32 v13, 4, v125
	v_or_b32_e32 v127, 7, v125
	v_or_b32_e32 v126, 6, v125
	global_load_dword v1, v[7:8], off
	s_waitcnt vmcnt(0)
	v_mad_i64_i32 v[1:2], null, v1, s13, 0
	v_lshlrev_b64 v[1:2], 1, v[1:2]
	v_add_co_u32 v18, vcc_lo, s6, v1
	buffer_load_dword v1, off, s[40:43], 0 offset:228 ; 4-byte Folded Reload
	v_add_co_ci_u32_e64 v19, null, s9, v2, vcc_lo
	s_waitcnt vmcnt(0)
	v_add_co_u32 v1, vcc_lo, v18, v1
	v_add_co_ci_u32_e64 v2, null, 0, v19, vcc_lo
	global_load_dwordx4 v[4:7], v[1:2], off
	s_waitcnt vmcnt(0)
	buffer_store_dword v4, off, s[40:43], 0 ; 4-byte Folded Spill
	buffer_store_dword v5, off, s[40:43], 0 offset:4 ; 4-byte Folded Spill
	buffer_store_dword v6, off, s[40:43], 0 offset:8 ; 4-byte Folded Spill
	;; [unrolled: 1-line block ×3, first 2 shown]
	ds_read2_b64 v[105:108], v3 offset1:1
	ds_read2_b64 v[101:104], v3 offset0:2 offset1:3
	buffer_store_dword v3, off, s[40:43], 0 offset:216 ; 4-byte Folded Spill
	v_mov_b32_e32 v3, v25
	buffer_store_dword v3, off, s[40:43], 0 offset:80 ; 4-byte Folded Spill
	buffer_store_dword v4, off, s[40:43], 0 offset:84 ; 4-byte Folded Spill
	s_and_saveexec_b32 s16, s1
	s_cbranch_execz .LBB188_31
; %bb.30:                               ;   in Loop: Header=BB188_29 Depth=1
	s_clause 0x3
	buffer_load_dword v7, off, s[40:43], 0
	buffer_load_dword v8, off, s[40:43], 0 offset:4
	buffer_load_dword v9, off, s[40:43], 0 offset:8
	;; [unrolled: 1-line block ×3, first 2 shown]
	v_cmp_gt_i32_e64 s2, s25, v125
	v_cmp_gt_i32_e32 vcc_lo, s15, v17
	v_cmp_gt_i32_e64 s3, s25, v15
	s_waitcnt vmcnt(3)
	v_cndmask_b32_e64 v3, 0, v7, s2
	v_cmp_gt_i32_e64 s2, s15, v16
	v_cndmask_b32_sdwa v5, v0, v7, vcc_lo dst_sel:DWORD dst_unused:UNUSED_PAD src0_sel:DWORD src1_sel:WORD_1
	s_waitcnt vmcnt(2)
	v_cndmask_b32_e64 v4, 0, v8, s3
	v_cmp_gt_i32_e64 s3, s15, v14
	s_mov_b32 vcc_lo, s2
	v_cmp_gt_i32_e64 s2, s15, v127
	v_cndmask_b32_sdwa v6, v0, v8, vcc_lo dst_sel:DWORD dst_unused:UNUSED_PAD src0_sel:DWORD src1_sel:WORD_1
	v_cmp_gt_i32_e32 vcc_lo, s25, v13
	v_perm_b32 v3, v5, v3, 0x5040100
	v_perm_b32 v4, v6, v4, 0x5040100
	s_waitcnt vmcnt(1)
	v_cndmask_b32_e32 v7, 0, v9, vcc_lo
	s_mov_b32 vcc_lo, s3
	v_cndmask_b32_sdwa v8, v0, v9, vcc_lo dst_sel:DWORD dst_unused:UNUSED_PAD src0_sel:DWORD src1_sel:WORD_1
	v_cmp_gt_i32_e32 vcc_lo, s25, v126
	v_perm_b32 v5, v8, v7, 0x5040100
	s_waitcnt vmcnt(0)
	v_cndmask_b32_e32 v9, 0, v10, vcc_lo
	s_mov_b32 vcc_lo, s2
	v_cndmask_b32_sdwa v10, v0, v10, vcc_lo dst_sel:DWORD dst_unused:UNUSED_PAD src0_sel:DWORD src1_sel:WORD_1
	v_perm_b32 v6, v10, v9, 0x5040100
	buffer_store_dword v3, off, s[40:43], 0 ; 4-byte Folded Spill
	buffer_store_dword v4, off, s[40:43], 0 offset:4 ; 4-byte Folded Spill
	buffer_store_dword v5, off, s[40:43], 0 offset:8 ; 4-byte Folded Spill
	;; [unrolled: 1-line block ×3, first 2 shown]
.LBB188_31:                             ;   in Loop: Header=BB188_29 Depth=1
	s_or_b32 exec_lo, exec_lo, s16
	global_load_dwordx4 v[3:6], v[1:2], off offset:512
	s_waitcnt vmcnt(0)
	buffer_store_dword v3, off, s[40:43], 0 offset:16 ; 4-byte Folded Spill
	buffer_store_dword v4, off, s[40:43], 0 offset:20 ; 4-byte Folded Spill
	buffer_store_dword v5, off, s[40:43], 0 offset:24 ; 4-byte Folded Spill
	buffer_store_dword v6, off, s[40:43], 0 offset:28 ; 4-byte Folded Spill
	s_and_saveexec_b32 s16, s1
	s_cbranch_execz .LBB188_33
; %bb.32:                               ;   in Loop: Header=BB188_29 Depth=1
	s_clause 0x3
	buffer_load_dword v7, off, s[40:43], 0 offset:16
	buffer_load_dword v8, off, s[40:43], 0 offset:20
	buffer_load_dword v9, off, s[40:43], 0 offset:24
	buffer_load_dword v10, off, s[40:43], 0 offset:28
	v_cmp_gt_i32_e64 s2, s25, v125
	v_cmp_gt_i32_e32 vcc_lo, s15, v17
	v_cmp_gt_i32_e64 s3, s25, v15
	s_waitcnt vmcnt(3)
	v_cndmask_b32_e64 v3, 0, v7, s2
	v_cmp_gt_i32_e64 s2, s15, v16
	v_cndmask_b32_sdwa v5, v0, v7, vcc_lo dst_sel:DWORD dst_unused:UNUSED_PAD src0_sel:DWORD src1_sel:WORD_1
	s_waitcnt vmcnt(2)
	v_cndmask_b32_e64 v4, 0, v8, s3
	v_cmp_gt_i32_e64 s3, s15, v14
	s_mov_b32 vcc_lo, s2
	v_cmp_gt_i32_e64 s2, s15, v127
	v_cndmask_b32_sdwa v6, v0, v8, vcc_lo dst_sel:DWORD dst_unused:UNUSED_PAD src0_sel:DWORD src1_sel:WORD_1
	v_cmp_gt_i32_e32 vcc_lo, s25, v13
	v_perm_b32 v3, v5, v3, 0x5040100
	v_perm_b32 v4, v6, v4, 0x5040100
	s_waitcnt vmcnt(1)
	v_cndmask_b32_e32 v7, 0, v9, vcc_lo
	s_mov_b32 vcc_lo, s3
	v_cndmask_b32_sdwa v8, v0, v9, vcc_lo dst_sel:DWORD dst_unused:UNUSED_PAD src0_sel:DWORD src1_sel:WORD_1
	v_cmp_gt_i32_e32 vcc_lo, s25, v126
	v_perm_b32 v5, v8, v7, 0x5040100
	s_waitcnt vmcnt(0)
	v_cndmask_b32_e32 v9, 0, v10, vcc_lo
	s_mov_b32 vcc_lo, s2
	v_cndmask_b32_sdwa v10, v0, v10, vcc_lo dst_sel:DWORD dst_unused:UNUSED_PAD src0_sel:DWORD src1_sel:WORD_1
	v_perm_b32 v6, v10, v9, 0x5040100
	buffer_store_dword v3, off, s[40:43], 0 offset:16 ; 4-byte Folded Spill
	buffer_store_dword v4, off, s[40:43], 0 offset:20 ; 4-byte Folded Spill
	buffer_store_dword v5, off, s[40:43], 0 offset:24 ; 4-byte Folded Spill
	buffer_store_dword v6, off, s[40:43], 0 offset:28 ; 4-byte Folded Spill
.LBB188_33:                             ;   in Loop: Header=BB188_29 Depth=1
	s_or_b32 exec_lo, exec_lo, s16
	global_load_dwordx4 v[3:6], v[1:2], off offset:1024
	s_waitcnt vmcnt(0)
	buffer_store_dword v3, off, s[40:43], 0 offset:32 ; 4-byte Folded Spill
	buffer_store_dword v4, off, s[40:43], 0 offset:36 ; 4-byte Folded Spill
	buffer_store_dword v5, off, s[40:43], 0 offset:40 ; 4-byte Folded Spill
	buffer_store_dword v6, off, s[40:43], 0 offset:44 ; 4-byte Folded Spill
	s_and_saveexec_b32 s16, s1
	s_cbranch_execz .LBB188_35
; %bb.34:                               ;   in Loop: Header=BB188_29 Depth=1
	s_clause 0x3
	buffer_load_dword v7, off, s[40:43], 0 offset:32
	buffer_load_dword v8, off, s[40:43], 0 offset:36
	buffer_load_dword v9, off, s[40:43], 0 offset:40
	buffer_load_dword v10, off, s[40:43], 0 offset:44
	v_cmp_gt_i32_e64 s2, s25, v125
	v_cmp_gt_i32_e32 vcc_lo, s15, v17
	v_cmp_gt_i32_e64 s3, s25, v15
	s_waitcnt vmcnt(3)
	v_cndmask_b32_e64 v3, 0, v7, s2
	v_cmp_gt_i32_e64 s2, s15, v16
	v_cndmask_b32_sdwa v5, v0, v7, vcc_lo dst_sel:DWORD dst_unused:UNUSED_PAD src0_sel:DWORD src1_sel:WORD_1
	s_waitcnt vmcnt(2)
	v_cndmask_b32_e64 v4, 0, v8, s3
	v_cmp_gt_i32_e64 s3, s15, v14
	s_mov_b32 vcc_lo, s2
	v_cmp_gt_i32_e64 s2, s15, v127
	v_cndmask_b32_sdwa v6, v0, v8, vcc_lo dst_sel:DWORD dst_unused:UNUSED_PAD src0_sel:DWORD src1_sel:WORD_1
	v_cmp_gt_i32_e32 vcc_lo, s25, v13
	v_perm_b32 v3, v5, v3, 0x5040100
	v_perm_b32 v4, v6, v4, 0x5040100
	s_waitcnt vmcnt(1)
	v_cndmask_b32_e32 v7, 0, v9, vcc_lo
	s_mov_b32 vcc_lo, s3
	v_cndmask_b32_sdwa v8, v0, v9, vcc_lo dst_sel:DWORD dst_unused:UNUSED_PAD src0_sel:DWORD src1_sel:WORD_1
	v_cmp_gt_i32_e32 vcc_lo, s25, v126
	v_perm_b32 v5, v8, v7, 0x5040100
	s_waitcnt vmcnt(0)
	v_cndmask_b32_e32 v9, 0, v10, vcc_lo
	s_mov_b32 vcc_lo, s2
	v_cndmask_b32_sdwa v10, v0, v10, vcc_lo dst_sel:DWORD dst_unused:UNUSED_PAD src0_sel:DWORD src1_sel:WORD_1
	v_perm_b32 v6, v10, v9, 0x5040100
	buffer_store_dword v3, off, s[40:43], 0 offset:32 ; 4-byte Folded Spill
	buffer_store_dword v4, off, s[40:43], 0 offset:36 ; 4-byte Folded Spill
	buffer_store_dword v5, off, s[40:43], 0 offset:40 ; 4-byte Folded Spill
	buffer_store_dword v6, off, s[40:43], 0 offset:44 ; 4-byte Folded Spill
.LBB188_35:                             ;   in Loop: Header=BB188_29 Depth=1
	;; [unrolled: 47-line block ×3, first 2 shown]
	s_or_b32 exec_lo, exec_lo, s16
	v_add_co_u32 v3, vcc_lo, 0x800, v1
	v_add_co_ci_u32_e64 v4, null, 0, v2, vcc_lo
	global_load_dwordx4 v[5:8], v[3:4], off
	s_waitcnt vmcnt(0)
	buffer_store_dword v5, off, s[40:43], 0 offset:64 ; 4-byte Folded Spill
	buffer_store_dword v6, off, s[40:43], 0 offset:68 ; 4-byte Folded Spill
	;; [unrolled: 1-line block ×4, first 2 shown]
	s_and_saveexec_b32 s16, s1
	s_cbranch_execnz .LBB188_75
; %bb.38:                               ;   in Loop: Header=BB188_29 Depth=1
	s_or_b32 exec_lo, exec_lo, s16
	global_load_dwordx4 v[21:24], v[3:4], off offset:512
	s_and_saveexec_b32 s16, s1
	s_cbranch_execnz .LBB188_76
.LBB188_39:                             ;   in Loop: Header=BB188_29 Depth=1
	s_or_b32 exec_lo, exec_lo, s16
	global_load_dwordx4 v[29:32], v[3:4], off offset:1024
	s_and_saveexec_b32 s16, s1
	s_cbranch_execnz .LBB188_77
.LBB188_40:                             ;   in Loop: Header=BB188_29 Depth=1
	s_or_b32 exec_lo, exec_lo, s16
	global_load_dwordx4 v[33:36], v[3:4], off offset:1536
	s_and_saveexec_b32 s16, s1
	s_cbranch_execz .LBB188_42
.LBB188_41:                             ;   in Loop: Header=BB188_29 Depth=1
	v_cmp_gt_i32_e64 s2, s25, v125
	v_cmp_gt_i32_e32 vcc_lo, s15, v17
	v_cmp_gt_i32_e64 s3, s25, v15
	s_waitcnt vmcnt(0)
	v_cndmask_b32_e64 v3, 0, v33, s2
	v_cmp_gt_i32_e64 s2, s15, v16
	v_cndmask_b32_sdwa v5, v0, v33, vcc_lo dst_sel:DWORD dst_unused:UNUSED_PAD src0_sel:DWORD src1_sel:WORD_1
	v_cndmask_b32_e64 v4, 0, v34, s3
	v_cmp_gt_i32_e64 s3, s15, v14
	s_mov_b32 vcc_lo, s2
	v_cmp_gt_i32_e64 s2, s15, v127
	v_cndmask_b32_sdwa v6, v0, v34, vcc_lo dst_sel:DWORD dst_unused:UNUSED_PAD src0_sel:DWORD src1_sel:WORD_1
	v_cmp_gt_i32_e32 vcc_lo, s25, v13
	v_perm_b32 v33, v5, v3, 0x5040100
	v_perm_b32 v34, v6, v4, 0x5040100
	v_cndmask_b32_e32 v7, 0, v35, vcc_lo
	s_mov_b32 vcc_lo, s3
	v_cndmask_b32_sdwa v8, v0, v35, vcc_lo dst_sel:DWORD dst_unused:UNUSED_PAD src0_sel:DWORD src1_sel:WORD_1
	v_cmp_gt_i32_e32 vcc_lo, s25, v126
	v_perm_b32 v35, v8, v7, 0x5040100
	v_cndmask_b32_e32 v9, 0, v36, vcc_lo
	s_mov_b32 vcc_lo, s2
	v_cndmask_b32_sdwa v10, v0, v36, vcc_lo dst_sel:DWORD dst_unused:UNUSED_PAD src0_sel:DWORD src1_sel:WORD_1
	v_perm_b32 v36, v10, v9, 0x5040100
.LBB188_42:                             ;   in Loop: Header=BB188_29 Depth=1
	s_or_b32 exec_lo, exec_lo, s16
	v_add_co_u32 v3, vcc_lo, 0x1000, v1
	v_add_co_ci_u32_e64 v4, null, 0, v2, vcc_lo
	global_load_dwordx4 v[37:40], v[3:4], off
	s_and_saveexec_b32 s16, s1
	s_cbranch_execnz .LBB188_78
; %bb.43:                               ;   in Loop: Header=BB188_29 Depth=1
	s_or_b32 exec_lo, exec_lo, s16
	global_load_dwordx4 v[41:44], v[3:4], off offset:512
	s_and_saveexec_b32 s16, s1
	s_cbranch_execnz .LBB188_79
.LBB188_44:                             ;   in Loop: Header=BB188_29 Depth=1
	s_or_b32 exec_lo, exec_lo, s16
	global_load_dwordx4 v[45:48], v[3:4], off offset:1024
	s_and_saveexec_b32 s16, s1
	s_cbranch_execnz .LBB188_80
.LBB188_45:                             ;   in Loop: Header=BB188_29 Depth=1
	s_or_b32 exec_lo, exec_lo, s16
	global_load_dwordx4 v[49:52], v[3:4], off offset:1536
	s_and_saveexec_b32 s16, s1
	s_cbranch_execz .LBB188_47
.LBB188_46:                             ;   in Loop: Header=BB188_29 Depth=1
	v_cmp_gt_i32_e64 s2, s25, v125
	v_cmp_gt_i32_e32 vcc_lo, s15, v17
	v_cmp_gt_i32_e64 s3, s25, v15
	s_waitcnt vmcnt(0)
	v_cndmask_b32_e64 v3, 0, v49, s2
	v_cmp_gt_i32_e64 s2, s15, v16
	v_cndmask_b32_sdwa v5, v0, v49, vcc_lo dst_sel:DWORD dst_unused:UNUSED_PAD src0_sel:DWORD src1_sel:WORD_1
	v_cndmask_b32_e64 v4, 0, v50, s3
	v_cmp_gt_i32_e64 s3, s15, v14
	s_mov_b32 vcc_lo, s2
	v_cmp_gt_i32_e64 s2, s15, v127
	v_cndmask_b32_sdwa v6, v0, v50, vcc_lo dst_sel:DWORD dst_unused:UNUSED_PAD src0_sel:DWORD src1_sel:WORD_1
	v_cmp_gt_i32_e32 vcc_lo, s25, v13
	v_perm_b32 v49, v5, v3, 0x5040100
	v_perm_b32 v50, v6, v4, 0x5040100
	v_cndmask_b32_e32 v7, 0, v51, vcc_lo
	s_mov_b32 vcc_lo, s3
	v_cndmask_b32_sdwa v8, v0, v51, vcc_lo dst_sel:DWORD dst_unused:UNUSED_PAD src0_sel:DWORD src1_sel:WORD_1
	v_cmp_gt_i32_e32 vcc_lo, s25, v126
	v_perm_b32 v51, v8, v7, 0x5040100
	v_cndmask_b32_e32 v9, 0, v52, vcc_lo
	s_mov_b32 vcc_lo, s2
	v_cndmask_b32_sdwa v10, v0, v52, vcc_lo dst_sel:DWORD dst_unused:UNUSED_PAD src0_sel:DWORD src1_sel:WORD_1
	v_perm_b32 v52, v10, v9, 0x5040100
.LBB188_47:                             ;   in Loop: Header=BB188_29 Depth=1
	s_or_b32 exec_lo, exec_lo, s16
	v_add_co_u32 v3, vcc_lo, 0x1800, v1
	v_add_co_ci_u32_e64 v4, null, 0, v2, vcc_lo
	global_load_dwordx4 v[53:56], v[3:4], off
	s_and_saveexec_b32 s16, s1
	s_cbranch_execnz .LBB188_81
; %bb.48:                               ;   in Loop: Header=BB188_29 Depth=1
	s_or_b32 exec_lo, exec_lo, s16
	global_load_dwordx4 v[57:60], v[3:4], off offset:512
	s_and_saveexec_b32 s16, s1
	s_cbranch_execnz .LBB188_82
.LBB188_49:                             ;   in Loop: Header=BB188_29 Depth=1
	s_or_b32 exec_lo, exec_lo, s16
	global_load_dwordx4 v[61:64], v[3:4], off offset:1024
	s_and_saveexec_b32 s3, s1
	s_cbranch_execnz .LBB188_83
.LBB188_50:                             ;   in Loop: Header=BB188_29 Depth=1
	s_or_b32 exec_lo, exec_lo, s3
	global_load_dwordx4 v[65:68], v[3:4], off offset:1536
	s_and_saveexec_b32 s3, s1
	s_cbranch_execz .LBB188_52
.LBB188_51:                             ;   in Loop: Header=BB188_29 Depth=1
	v_cmp_gt_i32_e64 s2, s25, v125
	v_cmp_gt_i32_e32 vcc_lo, s15, v17
	s_waitcnt vmcnt(0)
	v_cndmask_b32_e64 v4, 0, v65, s2
	v_cndmask_b32_sdwa v3, v0, v65, vcc_lo dst_sel:DWORD dst_unused:UNUSED_PAD src0_sel:DWORD src1_sel:WORD_1
	v_cmp_gt_i32_e32 vcc_lo, s15, v16
	v_cmp_gt_i32_e64 s2, s25, v15
	v_perm_b32 v65, v3, v4, 0x5040100
	v_cndmask_b32_sdwa v4, v0, v66, vcc_lo dst_sel:DWORD dst_unused:UNUSED_PAD src0_sel:DWORD src1_sel:WORD_1
	v_cndmask_b32_e64 v3, 0, v66, s2
	v_cmp_gt_i32_e32 vcc_lo, s15, v14
	v_cmp_gt_i32_e64 s2, s25, v13
	v_perm_b32 v66, v4, v3, 0x5040100
	v_cndmask_b32_sdwa v4, v0, v67, vcc_lo dst_sel:DWORD dst_unused:UNUSED_PAD src0_sel:DWORD src1_sel:WORD_1
	v_cndmask_b32_e64 v3, 0, v67, s2
	;; [unrolled: 5-line block ×3, first 2 shown]
	v_perm_b32 v68, v4, v3, 0x5040100
.LBB188_52:                             ;   in Loop: Header=BB188_29 Depth=1
	s_or_b32 exec_lo, exec_lo, s3
	v_add_co_u32 v3, vcc_lo, 0x2000, v1
	v_add_co_ci_u32_e64 v4, null, 0, v2, vcc_lo
	global_load_dwordx4 v[69:72], v[3:4], off
	s_and_saveexec_b32 s3, s1
	s_cbranch_execnz .LBB188_84
; %bb.53:                               ;   in Loop: Header=BB188_29 Depth=1
	s_or_b32 exec_lo, exec_lo, s3
	global_load_dwordx4 v[73:76], v[3:4], off offset:512
	s_and_saveexec_b32 s3, s1
	s_cbranch_execnz .LBB188_85
.LBB188_54:                             ;   in Loop: Header=BB188_29 Depth=1
	s_or_b32 exec_lo, exec_lo, s3
	global_load_dwordx4 v[77:80], v[3:4], off offset:1024
	s_and_saveexec_b32 s3, s1
	s_cbranch_execnz .LBB188_86
.LBB188_55:                             ;   in Loop: Header=BB188_29 Depth=1
	s_or_b32 exec_lo, exec_lo, s3
	global_load_dwordx4 v[81:84], v[3:4], off offset:1536
	s_and_saveexec_b32 s3, s1
	s_cbranch_execz .LBB188_57
.LBB188_56:                             ;   in Loop: Header=BB188_29 Depth=1
	v_cmp_gt_i32_e64 s2, s25, v125
	v_cmp_gt_i32_e32 vcc_lo, s15, v17
	s_waitcnt vmcnt(0)
	v_cndmask_b32_e64 v4, 0, v81, s2
	v_cndmask_b32_sdwa v3, v0, v81, vcc_lo dst_sel:DWORD dst_unused:UNUSED_PAD src0_sel:DWORD src1_sel:WORD_1
	v_cmp_gt_i32_e32 vcc_lo, s15, v16
	v_cmp_gt_i32_e64 s2, s25, v15
	v_perm_b32 v81, v3, v4, 0x5040100
	v_cndmask_b32_sdwa v4, v0, v82, vcc_lo dst_sel:DWORD dst_unused:UNUSED_PAD src0_sel:DWORD src1_sel:WORD_1
	v_cndmask_b32_e64 v3, 0, v82, s2
	v_cmp_gt_i32_e32 vcc_lo, s15, v14
	v_cmp_gt_i32_e64 s2, s25, v13
	v_perm_b32 v82, v4, v3, 0x5040100
	v_cndmask_b32_sdwa v4, v0, v83, vcc_lo dst_sel:DWORD dst_unused:UNUSED_PAD src0_sel:DWORD src1_sel:WORD_1
	v_cndmask_b32_e64 v3, 0, v83, s2
	;; [unrolled: 5-line block ×3, first 2 shown]
	v_perm_b32 v84, v4, v3, 0x5040100
.LBB188_57:                             ;   in Loop: Header=BB188_29 Depth=1
	s_or_b32 exec_lo, exec_lo, s3
	v_add_co_u32 v3, vcc_lo, 0x2800, v1
	v_add_co_ci_u32_e64 v4, null, 0, v2, vcc_lo
	global_load_dwordx4 v[85:88], v[3:4], off
	s_and_saveexec_b32 s3, s1
	s_cbranch_execnz .LBB188_87
; %bb.58:                               ;   in Loop: Header=BB188_29 Depth=1
	s_or_b32 exec_lo, exec_lo, s3
	global_load_dwordx4 v[89:92], v[3:4], off offset:512
	s_and_saveexec_b32 s3, s1
	s_cbranch_execnz .LBB188_88
.LBB188_59:                             ;   in Loop: Header=BB188_29 Depth=1
	s_or_b32 exec_lo, exec_lo, s3
	global_load_dwordx4 v[93:96], v[3:4], off offset:1024
	s_and_saveexec_b32 s3, s1
	s_cbranch_execnz .LBB188_89
.LBB188_60:                             ;   in Loop: Header=BB188_29 Depth=1
	s_or_b32 exec_lo, exec_lo, s3
	global_load_dwordx4 v[97:100], v[3:4], off offset:1536
	s_and_saveexec_b32 s3, s1
	s_cbranch_execz .LBB188_62
.LBB188_61:                             ;   in Loop: Header=BB188_29 Depth=1
	v_cmp_gt_i32_e64 s2, s25, v125
	v_cmp_gt_i32_e32 vcc_lo, s15, v17
	s_waitcnt vmcnt(0)
	v_cndmask_b32_e64 v4, 0, v97, s2
	v_cndmask_b32_sdwa v3, v0, v97, vcc_lo dst_sel:DWORD dst_unused:UNUSED_PAD src0_sel:DWORD src1_sel:WORD_1
	v_cmp_gt_i32_e32 vcc_lo, s15, v16
	v_cmp_gt_i32_e64 s2, s25, v15
	v_perm_b32 v97, v3, v4, 0x5040100
	v_cndmask_b32_sdwa v4, v0, v98, vcc_lo dst_sel:DWORD dst_unused:UNUSED_PAD src0_sel:DWORD src1_sel:WORD_1
	v_cndmask_b32_e64 v3, 0, v98, s2
	v_cmp_gt_i32_e32 vcc_lo, s15, v14
	v_cmp_gt_i32_e64 s2, s25, v13
	v_perm_b32 v98, v4, v3, 0x5040100
	v_cndmask_b32_sdwa v4, v0, v99, vcc_lo dst_sel:DWORD dst_unused:UNUSED_PAD src0_sel:DWORD src1_sel:WORD_1
	v_cndmask_b32_e64 v3, 0, v99, s2
	;; [unrolled: 5-line block ×3, first 2 shown]
	v_perm_b32 v100, v4, v3, 0x5040100
.LBB188_62:                             ;   in Loop: Header=BB188_29 Depth=1
	s_or_b32 exec_lo, exec_lo, s3
	v_add_co_u32 v3, vcc_lo, 0x3000, v1
	v_add_co_ci_u32_e64 v4, null, 0, v2, vcc_lo
	global_load_dwordx4 v[109:112], v[3:4], off
	s_and_saveexec_b32 s3, s1
	s_cbranch_execnz .LBB188_90
; %bb.63:                               ;   in Loop: Header=BB188_29 Depth=1
	s_or_b32 exec_lo, exec_lo, s3
	global_load_dwordx4 v[113:116], v[3:4], off offset:512
	s_and_saveexec_b32 s3, s1
	s_cbranch_execnz .LBB188_91
.LBB188_64:                             ;   in Loop: Header=BB188_29 Depth=1
	s_or_b32 exec_lo, exec_lo, s3
	global_load_dwordx4 v[117:120], v[3:4], off offset:1024
	s_and_saveexec_b32 s3, s1
	s_cbranch_execnz .LBB188_92
.LBB188_65:                             ;   in Loop: Header=BB188_29 Depth=1
	s_or_b32 exec_lo, exec_lo, s3
	global_load_dwordx4 v[121:124], v[3:4], off offset:1536
	s_and_saveexec_b32 s3, s1
	s_cbranch_execz .LBB188_67
.LBB188_66:                             ;   in Loop: Header=BB188_29 Depth=1
	v_cmp_gt_i32_e64 s2, s25, v125
	v_cmp_gt_i32_e32 vcc_lo, s15, v17
	s_waitcnt vmcnt(0)
	v_cndmask_b32_e64 v4, 0, v121, s2
	v_cndmask_b32_sdwa v3, v0, v121, vcc_lo dst_sel:DWORD dst_unused:UNUSED_PAD src0_sel:DWORD src1_sel:WORD_1
	v_cmp_gt_i32_e32 vcc_lo, s15, v16
	v_cmp_gt_i32_e64 s2, s25, v15
	v_perm_b32 v121, v3, v4, 0x5040100
	v_cndmask_b32_sdwa v4, v0, v122, vcc_lo dst_sel:DWORD dst_unused:UNUSED_PAD src0_sel:DWORD src1_sel:WORD_1
	v_cndmask_b32_e64 v3, 0, v122, s2
	v_cmp_gt_i32_e32 vcc_lo, s15, v14
	v_cmp_gt_i32_e64 s2, s25, v13
	v_perm_b32 v122, v4, v3, 0x5040100
	v_cndmask_b32_sdwa v4, v0, v123, vcc_lo dst_sel:DWORD dst_unused:UNUSED_PAD src0_sel:DWORD src1_sel:WORD_1
	v_cndmask_b32_e64 v3, 0, v123, s2
	;; [unrolled: 5-line block ×3, first 2 shown]
	v_perm_b32 v124, v4, v3, 0x5040100
.LBB188_67:                             ;   in Loop: Header=BB188_29 Depth=1
	s_or_b32 exec_lo, exec_lo, s3
	v_add_co_u32 v9, vcc_lo, 0x3800, v1
	v_add_co_ci_u32_e64 v10, null, 0, v2, vcc_lo
	global_load_dwordx4 v[1:4], v[9:10], off
	s_and_saveexec_b32 s3, s1
	s_cbranch_execz .LBB188_69
; %bb.68:                               ;   in Loop: Header=BB188_29 Depth=1
	v_cmp_gt_i32_e64 s2, s25, v125
	v_cmp_gt_i32_e32 vcc_lo, s15, v17
	s_waitcnt vmcnt(0)
	v_cndmask_b32_sdwa v5, v0, v1, vcc_lo dst_sel:DWORD dst_unused:UNUSED_PAD src0_sel:DWORD src1_sel:WORD_1
	v_cndmask_b32_e64 v1, 0, v1, s2
	v_cmp_gt_i32_e32 vcc_lo, s15, v16
	v_cmp_gt_i32_e64 s2, s25, v15
	v_perm_b32 v1, v5, v1, 0x5040100
	v_cndmask_b32_e64 v5, 0, v2, s2
	v_cndmask_b32_sdwa v2, v0, v2, vcc_lo dst_sel:DWORD dst_unused:UNUSED_PAD src0_sel:DWORD src1_sel:WORD_1
	v_cmp_gt_i32_e32 vcc_lo, s15, v14
	v_cmp_gt_i32_e64 s2, s25, v13
	v_perm_b32 v2, v2, v5, 0x5040100
	v_cndmask_b32_e64 v5, 0, v3, s2
	v_cndmask_b32_sdwa v3, v0, v3, vcc_lo dst_sel:DWORD dst_unused:UNUSED_PAD src0_sel:DWORD src1_sel:WORD_1
	;; [unrolled: 5-line block ×3, first 2 shown]
	v_perm_b32 v4, v4, v5, 0x5040100
.LBB188_69:                             ;   in Loop: Header=BB188_29 Depth=1
	s_or_b32 exec_lo, exec_lo, s3
	global_load_dwordx4 v[5:8], v[9:10], off offset:512
	s_and_saveexec_b32 s3, s1
	s_cbranch_execz .LBB188_71
; %bb.70:                               ;   in Loop: Header=BB188_29 Depth=1
	v_cmp_gt_i32_e64 s2, s25, v125
	v_cmp_gt_i32_e32 vcc_lo, s15, v17
	s_waitcnt vmcnt(0)
	v_cndmask_b32_sdwa v11, v0, v5, vcc_lo dst_sel:DWORD dst_unused:UNUSED_PAD src0_sel:DWORD src1_sel:WORD_1
	v_cndmask_b32_e64 v5, 0, v5, s2
	v_cmp_gt_i32_e32 vcc_lo, s15, v16
	v_cmp_gt_i32_e64 s2, s25, v15
	v_perm_b32 v5, v11, v5, 0x5040100
	v_cndmask_b32_e64 v11, 0, v6, s2
	v_cndmask_b32_sdwa v6, v0, v6, vcc_lo dst_sel:DWORD dst_unused:UNUSED_PAD src0_sel:DWORD src1_sel:WORD_1
	v_cmp_gt_i32_e32 vcc_lo, s15, v14
	v_cmp_gt_i32_e64 s2, s25, v13
	v_perm_b32 v6, v6, v11, 0x5040100
	v_cndmask_b32_e64 v11, 0, v7, s2
	v_cndmask_b32_sdwa v7, v0, v7, vcc_lo dst_sel:DWORD dst_unused:UNUSED_PAD src0_sel:DWORD src1_sel:WORD_1
	v_cmp_gt_i32_e32 vcc_lo, s15, v127
	v_cmp_gt_i32_e64 s2, s25, v126
	v_perm_b32 v7, v7, v11, 0x5040100
	v_cndmask_b32_e64 v11, 0, v8, s2
	v_cndmask_b32_sdwa v8, v0, v8, vcc_lo dst_sel:DWORD dst_unused:UNUSED_PAD src0_sel:DWORD src1_sel:WORD_1
	v_perm_b32 v8, v8, v11, 0x5040100
.LBB188_71:                             ;   in Loop: Header=BB188_29 Depth=1
	s_or_b32 exec_lo, exec_lo, s3
	global_load_dwordx4 v[9:12], v[9:10], off offset:1024
	buffer_store_dword v20, off, s[40:43], 0 offset:200 ; 4-byte Folded Spill
	s_and_saveexec_b32 s3, s1
	s_cbranch_execz .LBB188_73
; %bb.72:                               ;   in Loop: Header=BB188_29 Depth=1
	v_cmp_gt_i32_e64 s2, s25, v125
	v_cmp_gt_i32_e32 vcc_lo, s15, v17
	s_waitcnt vmcnt(0)
	v_cndmask_b32_sdwa v20, v0, v9, vcc_lo dst_sel:DWORD dst_unused:UNUSED_PAD src0_sel:DWORD src1_sel:WORD_1
	v_cndmask_b32_e64 v9, 0, v9, s2
	v_cmp_gt_i32_e32 vcc_lo, s15, v16
	v_cmp_gt_i32_e64 s2, s25, v15
	v_perm_b32 v9, v20, v9, 0x5040100
	v_cndmask_b32_e64 v20, 0, v10, s2
	v_cndmask_b32_sdwa v10, v0, v10, vcc_lo dst_sel:DWORD dst_unused:UNUSED_PAD src0_sel:DWORD src1_sel:WORD_1
	v_cmp_gt_i32_e32 vcc_lo, s15, v14
	v_cmp_gt_i32_e64 s2, s25, v13
	v_perm_b32 v10, v10, v20, 0x5040100
	v_cndmask_b32_e64 v20, 0, v11, s2
	v_cndmask_b32_sdwa v11, v0, v11, vcc_lo dst_sel:DWORD dst_unused:UNUSED_PAD src0_sel:DWORD src1_sel:WORD_1
	;; [unrolled: 5-line block ×3, first 2 shown]
	v_perm_b32 v12, v12, v20, 0x5040100
.LBB188_73:                             ;   in Loop: Header=BB188_29 Depth=1
	s_or_b32 exec_lo, exec_lo, s3
	buffer_load_dword v20, off, s[40:43], 0 offset:232 ; 4-byte Folded Reload
	s_waitcnt vmcnt(0)
	v_add_co_u32 v18, vcc_lo, v18, v20
	v_add_co_ci_u32_e64 v19, null, 0, v19, vcc_lo
	global_load_dwordx4 v[25:28], v[18:19], off
	s_and_saveexec_b32 s3, s1
	s_cbranch_execz .LBB188_28
; %bb.74:                               ;   in Loop: Header=BB188_29 Depth=1
	v_cmp_gt_i32_e64 s1, s25, v125
	v_cmp_gt_i32_e32 vcc_lo, s15, v17
	v_cmp_gt_i32_e64 s2, s25, v15
	s_waitcnt vmcnt(0)
	v_cndmask_b32_e64 v17, 0, v25, s1
	v_cmp_gt_i32_e64 s1, s15, v16
	v_cndmask_b32_sdwa v16, v0, v25, vcc_lo dst_sel:DWORD dst_unused:UNUSED_PAD src0_sel:DWORD src1_sel:WORD_1
	v_cndmask_b32_e64 v15, 0, v26, s2
	v_cmp_gt_i32_e64 s2, s15, v14
	s_mov_b32 vcc_lo, s1
	v_cmp_gt_i32_e64 s1, s15, v127
	v_cndmask_b32_sdwa v14, v0, v26, vcc_lo dst_sel:DWORD dst_unused:UNUSED_PAD src0_sel:DWORD src1_sel:WORD_1
	v_cmp_gt_i32_e32 vcc_lo, s25, v13
	v_perm_b32 v25, v16, v17, 0x5040100
	v_perm_b32 v26, v14, v15, 0x5040100
	v_cndmask_b32_e32 v13, 0, v27, vcc_lo
	s_mov_b32 vcc_lo, s2
	v_cndmask_b32_sdwa v18, v0, v27, vcc_lo dst_sel:DWORD dst_unused:UNUSED_PAD src0_sel:DWORD src1_sel:WORD_1
	v_cmp_gt_i32_e32 vcc_lo, s25, v126
	v_perm_b32 v27, v18, v13, 0x5040100
	v_cndmask_b32_e32 v19, 0, v28, vcc_lo
	s_mov_b32 vcc_lo, s1
	v_cndmask_b32_sdwa v20, v0, v28, vcc_lo dst_sel:DWORD dst_unused:UNUSED_PAD src0_sel:DWORD src1_sel:WORD_1
	v_perm_b32 v28, v20, v19, 0x5040100
	s_branch .LBB188_28
.LBB188_75:                             ;   in Loop: Header=BB188_29 Depth=1
	s_clause 0x3
	buffer_load_dword v9, off, s[40:43], 0 offset:64
	buffer_load_dword v10, off, s[40:43], 0 offset:68
	;; [unrolled: 1-line block ×4, first 2 shown]
	v_cmp_gt_i32_e64 s2, s25, v125
	v_cmp_gt_i32_e32 vcc_lo, s15, v17
	v_cmp_gt_i32_e64 s3, s25, v15
	s_waitcnt vmcnt(3)
	v_cndmask_b32_e64 v5, 0, v9, s2
	v_cmp_gt_i32_e64 s2, s15, v16
	v_cndmask_b32_sdwa v7, v0, v9, vcc_lo dst_sel:DWORD dst_unused:UNUSED_PAD src0_sel:DWORD src1_sel:WORD_1
	s_waitcnt vmcnt(2)
	v_cndmask_b32_e64 v6, 0, v10, s3
	v_cmp_gt_i32_e64 s3, s15, v14
	s_mov_b32 vcc_lo, s2
	v_cmp_gt_i32_e64 s2, s15, v127
	v_cndmask_b32_sdwa v8, v0, v10, vcc_lo dst_sel:DWORD dst_unused:UNUSED_PAD src0_sel:DWORD src1_sel:WORD_1
	v_cmp_gt_i32_e32 vcc_lo, s25, v13
	v_perm_b32 v5, v7, v5, 0x5040100
	v_perm_b32 v6, v8, v6, 0x5040100
	s_waitcnt vmcnt(1)
	v_cndmask_b32_e32 v9, 0, v11, vcc_lo
	s_mov_b32 vcc_lo, s3
	v_cndmask_b32_sdwa v10, v0, v11, vcc_lo dst_sel:DWORD dst_unused:UNUSED_PAD src0_sel:DWORD src1_sel:WORD_1
	v_cmp_gt_i32_e32 vcc_lo, s25, v126
	v_perm_b32 v7, v10, v9, 0x5040100
	s_waitcnt vmcnt(0)
	v_cndmask_b32_e32 v11, 0, v12, vcc_lo
	s_mov_b32 vcc_lo, s2
	v_cndmask_b32_sdwa v12, v0, v12, vcc_lo dst_sel:DWORD dst_unused:UNUSED_PAD src0_sel:DWORD src1_sel:WORD_1
	v_perm_b32 v8, v12, v11, 0x5040100
	buffer_store_dword v5, off, s[40:43], 0 offset:64 ; 4-byte Folded Spill
	buffer_store_dword v6, off, s[40:43], 0 offset:68 ; 4-byte Folded Spill
	;; [unrolled: 1-line block ×4, first 2 shown]
	s_or_b32 exec_lo, exec_lo, s16
	global_load_dwordx4 v[21:24], v[3:4], off offset:512
	s_and_saveexec_b32 s16, s1
	s_cbranch_execz .LBB188_39
.LBB188_76:                             ;   in Loop: Header=BB188_29 Depth=1
	v_cmp_gt_i32_e64 s2, s25, v125
	v_cmp_gt_i32_e32 vcc_lo, s15, v17
	v_cmp_gt_i32_e64 s3, s25, v15
	s_waitcnt vmcnt(0)
	v_cndmask_b32_e64 v5, 0, v21, s2
	v_cmp_gt_i32_e64 s2, s15, v16
	v_cndmask_b32_sdwa v7, v0, v21, vcc_lo dst_sel:DWORD dst_unused:UNUSED_PAD src0_sel:DWORD src1_sel:WORD_1
	v_cndmask_b32_e64 v6, 0, v22, s3
	v_cmp_gt_i32_e64 s3, s15, v14
	s_mov_b32 vcc_lo, s2
	v_cmp_gt_i32_e64 s2, s15, v127
	v_cndmask_b32_sdwa v8, v0, v22, vcc_lo dst_sel:DWORD dst_unused:UNUSED_PAD src0_sel:DWORD src1_sel:WORD_1
	v_cmp_gt_i32_e32 vcc_lo, s25, v13
	v_perm_b32 v21, v7, v5, 0x5040100
	v_perm_b32 v22, v8, v6, 0x5040100
	v_cndmask_b32_e32 v9, 0, v23, vcc_lo
	s_mov_b32 vcc_lo, s3
	v_cndmask_b32_sdwa v10, v0, v23, vcc_lo dst_sel:DWORD dst_unused:UNUSED_PAD src0_sel:DWORD src1_sel:WORD_1
	v_cmp_gt_i32_e32 vcc_lo, s25, v126
	v_perm_b32 v23, v10, v9, 0x5040100
	v_cndmask_b32_e32 v11, 0, v24, vcc_lo
	s_mov_b32 vcc_lo, s2
	v_cndmask_b32_sdwa v12, v0, v24, vcc_lo dst_sel:DWORD dst_unused:UNUSED_PAD src0_sel:DWORD src1_sel:WORD_1
	v_perm_b32 v24, v12, v11, 0x5040100
	s_or_b32 exec_lo, exec_lo, s16
	global_load_dwordx4 v[29:32], v[3:4], off offset:1024
	s_and_saveexec_b32 s16, s1
	s_cbranch_execz .LBB188_40
.LBB188_77:                             ;   in Loop: Header=BB188_29 Depth=1
	v_cmp_gt_i32_e64 s2, s25, v125
	v_cmp_gt_i32_e32 vcc_lo, s15, v17
	v_cmp_gt_i32_e64 s3, s25, v15
	s_waitcnt vmcnt(0)
	v_cndmask_b32_e64 v5, 0, v29, s2
	v_cmp_gt_i32_e64 s2, s15, v16
	v_cndmask_b32_sdwa v7, v0, v29, vcc_lo dst_sel:DWORD dst_unused:UNUSED_PAD src0_sel:DWORD src1_sel:WORD_1
	v_cndmask_b32_e64 v6, 0, v30, s3
	v_cmp_gt_i32_e64 s3, s15, v14
	s_mov_b32 vcc_lo, s2
	v_cmp_gt_i32_e64 s2, s15, v127
	v_cndmask_b32_sdwa v8, v0, v30, vcc_lo dst_sel:DWORD dst_unused:UNUSED_PAD src0_sel:DWORD src1_sel:WORD_1
	v_cmp_gt_i32_e32 vcc_lo, s25, v13
	v_perm_b32 v29, v7, v5, 0x5040100
	v_perm_b32 v30, v8, v6, 0x5040100
	v_cndmask_b32_e32 v9, 0, v31, vcc_lo
	s_mov_b32 vcc_lo, s3
	v_cndmask_b32_sdwa v10, v0, v31, vcc_lo dst_sel:DWORD dst_unused:UNUSED_PAD src0_sel:DWORD src1_sel:WORD_1
	v_cmp_gt_i32_e32 vcc_lo, s25, v126
	v_perm_b32 v31, v10, v9, 0x5040100
	v_cndmask_b32_e32 v11, 0, v32, vcc_lo
	s_mov_b32 vcc_lo, s2
	v_cndmask_b32_sdwa v12, v0, v32, vcc_lo dst_sel:DWORD dst_unused:UNUSED_PAD src0_sel:DWORD src1_sel:WORD_1
	v_perm_b32 v32, v12, v11, 0x5040100
	s_or_b32 exec_lo, exec_lo, s16
	global_load_dwordx4 v[33:36], v[3:4], off offset:1536
	s_and_saveexec_b32 s16, s1
	s_cbranch_execnz .LBB188_41
	s_branch .LBB188_42
.LBB188_78:                             ;   in Loop: Header=BB188_29 Depth=1
	v_cmp_gt_i32_e64 s2, s25, v125
	v_cmp_gt_i32_e32 vcc_lo, s15, v17
	v_cmp_gt_i32_e64 s3, s25, v15
	s_waitcnt vmcnt(0)
	v_cndmask_b32_e64 v5, 0, v37, s2
	v_cmp_gt_i32_e64 s2, s15, v16
	v_cndmask_b32_sdwa v7, v0, v37, vcc_lo dst_sel:DWORD dst_unused:UNUSED_PAD src0_sel:DWORD src1_sel:WORD_1
	v_cndmask_b32_e64 v6, 0, v38, s3
	v_cmp_gt_i32_e64 s3, s15, v14
	s_mov_b32 vcc_lo, s2
	v_cmp_gt_i32_e64 s2, s15, v127
	v_cndmask_b32_sdwa v8, v0, v38, vcc_lo dst_sel:DWORD dst_unused:UNUSED_PAD src0_sel:DWORD src1_sel:WORD_1
	v_cmp_gt_i32_e32 vcc_lo, s25, v13
	v_perm_b32 v37, v7, v5, 0x5040100
	v_perm_b32 v38, v8, v6, 0x5040100
	v_cndmask_b32_e32 v9, 0, v39, vcc_lo
	s_mov_b32 vcc_lo, s3
	v_cndmask_b32_sdwa v10, v0, v39, vcc_lo dst_sel:DWORD dst_unused:UNUSED_PAD src0_sel:DWORD src1_sel:WORD_1
	v_cmp_gt_i32_e32 vcc_lo, s25, v126
	v_perm_b32 v39, v10, v9, 0x5040100
	v_cndmask_b32_e32 v11, 0, v40, vcc_lo
	s_mov_b32 vcc_lo, s2
	v_cndmask_b32_sdwa v12, v0, v40, vcc_lo dst_sel:DWORD dst_unused:UNUSED_PAD src0_sel:DWORD src1_sel:WORD_1
	v_perm_b32 v40, v12, v11, 0x5040100
	s_or_b32 exec_lo, exec_lo, s16
	global_load_dwordx4 v[41:44], v[3:4], off offset:512
	s_and_saveexec_b32 s16, s1
	s_cbranch_execz .LBB188_44
.LBB188_79:                             ;   in Loop: Header=BB188_29 Depth=1
	v_cmp_gt_i32_e64 s2, s25, v125
	v_cmp_gt_i32_e32 vcc_lo, s15, v17
	v_cmp_gt_i32_e64 s3, s25, v15
	s_waitcnt vmcnt(0)
	v_cndmask_b32_e64 v5, 0, v41, s2
	v_cmp_gt_i32_e64 s2, s15, v16
	v_cndmask_b32_sdwa v7, v0, v41, vcc_lo dst_sel:DWORD dst_unused:UNUSED_PAD src0_sel:DWORD src1_sel:WORD_1
	v_cndmask_b32_e64 v6, 0, v42, s3
	v_cmp_gt_i32_e64 s3, s15, v14
	s_mov_b32 vcc_lo, s2
	v_cmp_gt_i32_e64 s2, s15, v127
	v_cndmask_b32_sdwa v8, v0, v42, vcc_lo dst_sel:DWORD dst_unused:UNUSED_PAD src0_sel:DWORD src1_sel:WORD_1
	v_cmp_gt_i32_e32 vcc_lo, s25, v13
	v_perm_b32 v41, v7, v5, 0x5040100
	v_perm_b32 v42, v8, v6, 0x5040100
	v_cndmask_b32_e32 v9, 0, v43, vcc_lo
	s_mov_b32 vcc_lo, s3
	v_cndmask_b32_sdwa v10, v0, v43, vcc_lo dst_sel:DWORD dst_unused:UNUSED_PAD src0_sel:DWORD src1_sel:WORD_1
	v_cmp_gt_i32_e32 vcc_lo, s25, v126
	v_perm_b32 v43, v10, v9, 0x5040100
	v_cndmask_b32_e32 v11, 0, v44, vcc_lo
	s_mov_b32 vcc_lo, s2
	v_cndmask_b32_sdwa v12, v0, v44, vcc_lo dst_sel:DWORD dst_unused:UNUSED_PAD src0_sel:DWORD src1_sel:WORD_1
	v_perm_b32 v44, v12, v11, 0x5040100
	s_or_b32 exec_lo, exec_lo, s16
	global_load_dwordx4 v[45:48], v[3:4], off offset:1024
	s_and_saveexec_b32 s16, s1
	s_cbranch_execz .LBB188_45
.LBB188_80:                             ;   in Loop: Header=BB188_29 Depth=1
	v_cmp_gt_i32_e64 s2, s25, v125
	v_cmp_gt_i32_e32 vcc_lo, s15, v17
	v_cmp_gt_i32_e64 s3, s25, v15
	s_waitcnt vmcnt(0)
	v_cndmask_b32_e64 v5, 0, v45, s2
	v_cmp_gt_i32_e64 s2, s15, v16
	v_cndmask_b32_sdwa v7, v0, v45, vcc_lo dst_sel:DWORD dst_unused:UNUSED_PAD src0_sel:DWORD src1_sel:WORD_1
	v_cndmask_b32_e64 v6, 0, v46, s3
	v_cmp_gt_i32_e64 s3, s15, v14
	s_mov_b32 vcc_lo, s2
	v_cmp_gt_i32_e64 s2, s15, v127
	v_cndmask_b32_sdwa v8, v0, v46, vcc_lo dst_sel:DWORD dst_unused:UNUSED_PAD src0_sel:DWORD src1_sel:WORD_1
	v_cmp_gt_i32_e32 vcc_lo, s25, v13
	v_perm_b32 v45, v7, v5, 0x5040100
	v_perm_b32 v46, v8, v6, 0x5040100
	v_cndmask_b32_e32 v9, 0, v47, vcc_lo
	s_mov_b32 vcc_lo, s3
	v_cndmask_b32_sdwa v10, v0, v47, vcc_lo dst_sel:DWORD dst_unused:UNUSED_PAD src0_sel:DWORD src1_sel:WORD_1
	v_cmp_gt_i32_e32 vcc_lo, s25, v126
	v_perm_b32 v47, v10, v9, 0x5040100
	v_cndmask_b32_e32 v11, 0, v48, vcc_lo
	s_mov_b32 vcc_lo, s2
	v_cndmask_b32_sdwa v12, v0, v48, vcc_lo dst_sel:DWORD dst_unused:UNUSED_PAD src0_sel:DWORD src1_sel:WORD_1
	v_perm_b32 v48, v12, v11, 0x5040100
	s_or_b32 exec_lo, exec_lo, s16
	global_load_dwordx4 v[49:52], v[3:4], off offset:1536
	s_and_saveexec_b32 s16, s1
	s_cbranch_execnz .LBB188_46
	s_branch .LBB188_47
.LBB188_81:                             ;   in Loop: Header=BB188_29 Depth=1
	v_cmp_gt_i32_e64 s2, s25, v125
	v_cmp_gt_i32_e32 vcc_lo, s15, v17
	v_cmp_gt_i32_e64 s3, s25, v15
	s_waitcnt vmcnt(0)
	v_cndmask_b32_e64 v5, 0, v53, s2
	v_cmp_gt_i32_e64 s2, s15, v16
	v_cndmask_b32_sdwa v7, v0, v53, vcc_lo dst_sel:DWORD dst_unused:UNUSED_PAD src0_sel:DWORD src1_sel:WORD_1
	v_cndmask_b32_e64 v6, 0, v54, s3
	v_cmp_gt_i32_e64 s3, s15, v14
	s_mov_b32 vcc_lo, s2
	v_cmp_gt_i32_e64 s2, s15, v127
	v_cndmask_b32_sdwa v8, v0, v54, vcc_lo dst_sel:DWORD dst_unused:UNUSED_PAD src0_sel:DWORD src1_sel:WORD_1
	v_cmp_gt_i32_e32 vcc_lo, s25, v13
	v_perm_b32 v53, v7, v5, 0x5040100
	v_perm_b32 v54, v8, v6, 0x5040100
	v_cndmask_b32_e32 v9, 0, v55, vcc_lo
	s_mov_b32 vcc_lo, s3
	v_cndmask_b32_sdwa v10, v0, v55, vcc_lo dst_sel:DWORD dst_unused:UNUSED_PAD src0_sel:DWORD src1_sel:WORD_1
	v_cmp_gt_i32_e32 vcc_lo, s25, v126
	v_perm_b32 v55, v10, v9, 0x5040100
	v_cndmask_b32_e32 v11, 0, v56, vcc_lo
	s_mov_b32 vcc_lo, s2
	v_cndmask_b32_sdwa v12, v0, v56, vcc_lo dst_sel:DWORD dst_unused:UNUSED_PAD src0_sel:DWORD src1_sel:WORD_1
	v_perm_b32 v56, v12, v11, 0x5040100
	s_or_b32 exec_lo, exec_lo, s16
	global_load_dwordx4 v[57:60], v[3:4], off offset:512
	s_and_saveexec_b32 s16, s1
	s_cbranch_execz .LBB188_49
.LBB188_82:                             ;   in Loop: Header=BB188_29 Depth=1
	v_cmp_gt_i32_e64 s2, s25, v125
	v_cmp_gt_i32_e32 vcc_lo, s15, v17
	v_cmp_gt_i32_e64 s3, s25, v15
	s_waitcnt vmcnt(0)
	v_cndmask_b32_e64 v5, 0, v57, s2
	v_cmp_gt_i32_e64 s2, s15, v16
	v_cndmask_b32_sdwa v7, v0, v57, vcc_lo dst_sel:DWORD dst_unused:UNUSED_PAD src0_sel:DWORD src1_sel:WORD_1
	v_cndmask_b32_e64 v6, 0, v58, s3
	v_cmp_gt_i32_e64 s3, s15, v14
	s_mov_b32 vcc_lo, s2
	v_cmp_gt_i32_e64 s2, s15, v127
	v_cndmask_b32_sdwa v8, v0, v58, vcc_lo dst_sel:DWORD dst_unused:UNUSED_PAD src0_sel:DWORD src1_sel:WORD_1
	v_cmp_gt_i32_e32 vcc_lo, s25, v13
	v_perm_b32 v57, v7, v5, 0x5040100
	v_perm_b32 v58, v8, v6, 0x5040100
	v_cndmask_b32_e32 v9, 0, v59, vcc_lo
	s_mov_b32 vcc_lo, s3
	v_cndmask_b32_sdwa v10, v0, v59, vcc_lo dst_sel:DWORD dst_unused:UNUSED_PAD src0_sel:DWORD src1_sel:WORD_1
	v_cmp_gt_i32_e32 vcc_lo, s25, v126
	v_perm_b32 v59, v10, v9, 0x5040100
	v_cndmask_b32_e32 v11, 0, v60, vcc_lo
	s_mov_b32 vcc_lo, s2
	v_cndmask_b32_sdwa v12, v0, v60, vcc_lo dst_sel:DWORD dst_unused:UNUSED_PAD src0_sel:DWORD src1_sel:WORD_1
	v_perm_b32 v60, v12, v11, 0x5040100
	s_or_b32 exec_lo, exec_lo, s16
	global_load_dwordx4 v[61:64], v[3:4], off offset:1024
	s_and_saveexec_b32 s3, s1
	s_cbranch_execz .LBB188_50
.LBB188_83:                             ;   in Loop: Header=BB188_29 Depth=1
	v_cmp_gt_i32_e64 s2, s25, v125
	v_cmp_gt_i32_e32 vcc_lo, s15, v17
	s_waitcnt vmcnt(0)
	v_cndmask_b32_e64 v6, 0, v61, s2
	v_cndmask_b32_sdwa v5, v0, v61, vcc_lo dst_sel:DWORD dst_unused:UNUSED_PAD src0_sel:DWORD src1_sel:WORD_1
	v_cmp_gt_i32_e32 vcc_lo, s15, v16
	v_cmp_gt_i32_e64 s2, s25, v15
	v_perm_b32 v61, v5, v6, 0x5040100
	v_cndmask_b32_sdwa v6, v0, v62, vcc_lo dst_sel:DWORD dst_unused:UNUSED_PAD src0_sel:DWORD src1_sel:WORD_1
	v_cndmask_b32_e64 v5, 0, v62, s2
	v_cmp_gt_i32_e32 vcc_lo, s15, v14
	v_cmp_gt_i32_e64 s2, s25, v13
	v_perm_b32 v62, v6, v5, 0x5040100
	v_cndmask_b32_sdwa v6, v0, v63, vcc_lo dst_sel:DWORD dst_unused:UNUSED_PAD src0_sel:DWORD src1_sel:WORD_1
	v_cndmask_b32_e64 v5, 0, v63, s2
	;; [unrolled: 5-line block ×3, first 2 shown]
	v_perm_b32 v64, v6, v5, 0x5040100
	s_or_b32 exec_lo, exec_lo, s3
	global_load_dwordx4 v[65:68], v[3:4], off offset:1536
	s_and_saveexec_b32 s3, s1
	s_cbranch_execnz .LBB188_51
	s_branch .LBB188_52
.LBB188_84:                             ;   in Loop: Header=BB188_29 Depth=1
	v_cmp_gt_i32_e64 s2, s25, v125
	v_cmp_gt_i32_e32 vcc_lo, s15, v17
	s_waitcnt vmcnt(0)
	v_cndmask_b32_e64 v6, 0, v69, s2
	v_cndmask_b32_sdwa v5, v0, v69, vcc_lo dst_sel:DWORD dst_unused:UNUSED_PAD src0_sel:DWORD src1_sel:WORD_1
	v_cmp_gt_i32_e32 vcc_lo, s15, v16
	v_cmp_gt_i32_e64 s2, s25, v15
	v_perm_b32 v69, v5, v6, 0x5040100
	v_cndmask_b32_sdwa v6, v0, v70, vcc_lo dst_sel:DWORD dst_unused:UNUSED_PAD src0_sel:DWORD src1_sel:WORD_1
	v_cndmask_b32_e64 v5, 0, v70, s2
	v_cmp_gt_i32_e32 vcc_lo, s15, v14
	v_cmp_gt_i32_e64 s2, s25, v13
	v_perm_b32 v70, v6, v5, 0x5040100
	v_cndmask_b32_sdwa v6, v0, v71, vcc_lo dst_sel:DWORD dst_unused:UNUSED_PAD src0_sel:DWORD src1_sel:WORD_1
	v_cndmask_b32_e64 v5, 0, v71, s2
	;; [unrolled: 5-line block ×3, first 2 shown]
	v_perm_b32 v72, v6, v5, 0x5040100
	s_or_b32 exec_lo, exec_lo, s3
	global_load_dwordx4 v[73:76], v[3:4], off offset:512
	s_and_saveexec_b32 s3, s1
	s_cbranch_execz .LBB188_54
.LBB188_85:                             ;   in Loop: Header=BB188_29 Depth=1
	v_cmp_gt_i32_e64 s2, s25, v125
	v_cmp_gt_i32_e32 vcc_lo, s15, v17
	s_waitcnt vmcnt(0)
	v_cndmask_b32_e64 v6, 0, v73, s2
	v_cndmask_b32_sdwa v5, v0, v73, vcc_lo dst_sel:DWORD dst_unused:UNUSED_PAD src0_sel:DWORD src1_sel:WORD_1
	v_cmp_gt_i32_e32 vcc_lo, s15, v16
	v_cmp_gt_i32_e64 s2, s25, v15
	v_perm_b32 v73, v5, v6, 0x5040100
	v_cndmask_b32_sdwa v6, v0, v74, vcc_lo dst_sel:DWORD dst_unused:UNUSED_PAD src0_sel:DWORD src1_sel:WORD_1
	v_cndmask_b32_e64 v5, 0, v74, s2
	v_cmp_gt_i32_e32 vcc_lo, s15, v14
	v_cmp_gt_i32_e64 s2, s25, v13
	v_perm_b32 v74, v6, v5, 0x5040100
	v_cndmask_b32_sdwa v6, v0, v75, vcc_lo dst_sel:DWORD dst_unused:UNUSED_PAD src0_sel:DWORD src1_sel:WORD_1
	v_cndmask_b32_e64 v5, 0, v75, s2
	;; [unrolled: 5-line block ×3, first 2 shown]
	v_perm_b32 v76, v6, v5, 0x5040100
	s_or_b32 exec_lo, exec_lo, s3
	global_load_dwordx4 v[77:80], v[3:4], off offset:1024
	s_and_saveexec_b32 s3, s1
	s_cbranch_execz .LBB188_55
.LBB188_86:                             ;   in Loop: Header=BB188_29 Depth=1
	v_cmp_gt_i32_e64 s2, s25, v125
	v_cmp_gt_i32_e32 vcc_lo, s15, v17
	s_waitcnt vmcnt(0)
	v_cndmask_b32_e64 v6, 0, v77, s2
	v_cndmask_b32_sdwa v5, v0, v77, vcc_lo dst_sel:DWORD dst_unused:UNUSED_PAD src0_sel:DWORD src1_sel:WORD_1
	v_cmp_gt_i32_e32 vcc_lo, s15, v16
	v_cmp_gt_i32_e64 s2, s25, v15
	v_perm_b32 v77, v5, v6, 0x5040100
	v_cndmask_b32_sdwa v6, v0, v78, vcc_lo dst_sel:DWORD dst_unused:UNUSED_PAD src0_sel:DWORD src1_sel:WORD_1
	v_cndmask_b32_e64 v5, 0, v78, s2
	v_cmp_gt_i32_e32 vcc_lo, s15, v14
	v_cmp_gt_i32_e64 s2, s25, v13
	v_perm_b32 v78, v6, v5, 0x5040100
	v_cndmask_b32_sdwa v6, v0, v79, vcc_lo dst_sel:DWORD dst_unused:UNUSED_PAD src0_sel:DWORD src1_sel:WORD_1
	v_cndmask_b32_e64 v5, 0, v79, s2
	;; [unrolled: 5-line block ×3, first 2 shown]
	v_perm_b32 v80, v6, v5, 0x5040100
	s_or_b32 exec_lo, exec_lo, s3
	global_load_dwordx4 v[81:84], v[3:4], off offset:1536
	s_and_saveexec_b32 s3, s1
	s_cbranch_execnz .LBB188_56
	s_branch .LBB188_57
.LBB188_87:                             ;   in Loop: Header=BB188_29 Depth=1
	v_cmp_gt_i32_e64 s2, s25, v125
	v_cmp_gt_i32_e32 vcc_lo, s15, v17
	s_waitcnt vmcnt(0)
	v_cndmask_b32_e64 v6, 0, v85, s2
	v_cndmask_b32_sdwa v5, v0, v85, vcc_lo dst_sel:DWORD dst_unused:UNUSED_PAD src0_sel:DWORD src1_sel:WORD_1
	v_cmp_gt_i32_e32 vcc_lo, s15, v16
	v_cmp_gt_i32_e64 s2, s25, v15
	v_perm_b32 v85, v5, v6, 0x5040100
	v_cndmask_b32_sdwa v6, v0, v86, vcc_lo dst_sel:DWORD dst_unused:UNUSED_PAD src0_sel:DWORD src1_sel:WORD_1
	v_cndmask_b32_e64 v5, 0, v86, s2
	v_cmp_gt_i32_e32 vcc_lo, s15, v14
	v_cmp_gt_i32_e64 s2, s25, v13
	v_perm_b32 v86, v6, v5, 0x5040100
	v_cndmask_b32_sdwa v6, v0, v87, vcc_lo dst_sel:DWORD dst_unused:UNUSED_PAD src0_sel:DWORD src1_sel:WORD_1
	v_cndmask_b32_e64 v5, 0, v87, s2
	v_cmp_gt_i32_e32 vcc_lo, s15, v127
	v_cmp_gt_i32_e64 s2, s25, v126
	v_perm_b32 v87, v6, v5, 0x5040100
	v_cndmask_b32_sdwa v6, v0, v88, vcc_lo dst_sel:DWORD dst_unused:UNUSED_PAD src0_sel:DWORD src1_sel:WORD_1
	v_cndmask_b32_e64 v5, 0, v88, s2
	v_perm_b32 v88, v6, v5, 0x5040100
	s_or_b32 exec_lo, exec_lo, s3
	global_load_dwordx4 v[89:92], v[3:4], off offset:512
	s_and_saveexec_b32 s3, s1
	s_cbranch_execz .LBB188_59
.LBB188_88:                             ;   in Loop: Header=BB188_29 Depth=1
	v_cmp_gt_i32_e64 s2, s25, v125
	v_cmp_gt_i32_e32 vcc_lo, s15, v17
	s_waitcnt vmcnt(0)
	v_cndmask_b32_e64 v6, 0, v89, s2
	v_cndmask_b32_sdwa v5, v0, v89, vcc_lo dst_sel:DWORD dst_unused:UNUSED_PAD src0_sel:DWORD src1_sel:WORD_1
	v_cmp_gt_i32_e32 vcc_lo, s15, v16
	v_cmp_gt_i32_e64 s2, s25, v15
	v_perm_b32 v89, v5, v6, 0x5040100
	v_cndmask_b32_sdwa v6, v0, v90, vcc_lo dst_sel:DWORD dst_unused:UNUSED_PAD src0_sel:DWORD src1_sel:WORD_1
	v_cndmask_b32_e64 v5, 0, v90, s2
	v_cmp_gt_i32_e32 vcc_lo, s15, v14
	v_cmp_gt_i32_e64 s2, s25, v13
	v_perm_b32 v90, v6, v5, 0x5040100
	v_cndmask_b32_sdwa v6, v0, v91, vcc_lo dst_sel:DWORD dst_unused:UNUSED_PAD src0_sel:DWORD src1_sel:WORD_1
	v_cndmask_b32_e64 v5, 0, v91, s2
	;; [unrolled: 5-line block ×3, first 2 shown]
	v_perm_b32 v92, v6, v5, 0x5040100
	s_or_b32 exec_lo, exec_lo, s3
	global_load_dwordx4 v[93:96], v[3:4], off offset:1024
	s_and_saveexec_b32 s3, s1
	s_cbranch_execz .LBB188_60
.LBB188_89:                             ;   in Loop: Header=BB188_29 Depth=1
	v_cmp_gt_i32_e64 s2, s25, v125
	v_cmp_gt_i32_e32 vcc_lo, s15, v17
	s_waitcnt vmcnt(0)
	v_cndmask_b32_e64 v6, 0, v93, s2
	v_cndmask_b32_sdwa v5, v0, v93, vcc_lo dst_sel:DWORD dst_unused:UNUSED_PAD src0_sel:DWORD src1_sel:WORD_1
	v_cmp_gt_i32_e32 vcc_lo, s15, v16
	v_cmp_gt_i32_e64 s2, s25, v15
	v_perm_b32 v93, v5, v6, 0x5040100
	v_cndmask_b32_sdwa v6, v0, v94, vcc_lo dst_sel:DWORD dst_unused:UNUSED_PAD src0_sel:DWORD src1_sel:WORD_1
	v_cndmask_b32_e64 v5, 0, v94, s2
	v_cmp_gt_i32_e32 vcc_lo, s15, v14
	v_cmp_gt_i32_e64 s2, s25, v13
	v_perm_b32 v94, v6, v5, 0x5040100
	v_cndmask_b32_sdwa v6, v0, v95, vcc_lo dst_sel:DWORD dst_unused:UNUSED_PAD src0_sel:DWORD src1_sel:WORD_1
	v_cndmask_b32_e64 v5, 0, v95, s2
	;; [unrolled: 5-line block ×3, first 2 shown]
	v_perm_b32 v96, v6, v5, 0x5040100
	s_or_b32 exec_lo, exec_lo, s3
	global_load_dwordx4 v[97:100], v[3:4], off offset:1536
	s_and_saveexec_b32 s3, s1
	s_cbranch_execnz .LBB188_61
	s_branch .LBB188_62
.LBB188_90:                             ;   in Loop: Header=BB188_29 Depth=1
	v_cmp_gt_i32_e64 s2, s25, v125
	v_cmp_gt_i32_e32 vcc_lo, s15, v17
	s_waitcnt vmcnt(0)
	v_cndmask_b32_e64 v6, 0, v109, s2
	v_cndmask_b32_sdwa v5, v0, v109, vcc_lo dst_sel:DWORD dst_unused:UNUSED_PAD src0_sel:DWORD src1_sel:WORD_1
	v_cmp_gt_i32_e32 vcc_lo, s15, v16
	v_cmp_gt_i32_e64 s2, s25, v15
	v_perm_b32 v109, v5, v6, 0x5040100
	v_cndmask_b32_sdwa v6, v0, v110, vcc_lo dst_sel:DWORD dst_unused:UNUSED_PAD src0_sel:DWORD src1_sel:WORD_1
	v_cndmask_b32_e64 v5, 0, v110, s2
	v_cmp_gt_i32_e32 vcc_lo, s15, v14
	v_cmp_gt_i32_e64 s2, s25, v13
	v_perm_b32 v110, v6, v5, 0x5040100
	v_cndmask_b32_sdwa v6, v0, v111, vcc_lo dst_sel:DWORD dst_unused:UNUSED_PAD src0_sel:DWORD src1_sel:WORD_1
	v_cndmask_b32_e64 v5, 0, v111, s2
	;; [unrolled: 5-line block ×3, first 2 shown]
	v_perm_b32 v112, v6, v5, 0x5040100
	s_or_b32 exec_lo, exec_lo, s3
	global_load_dwordx4 v[113:116], v[3:4], off offset:512
	s_and_saveexec_b32 s3, s1
	s_cbranch_execz .LBB188_64
.LBB188_91:                             ;   in Loop: Header=BB188_29 Depth=1
	v_cmp_gt_i32_e64 s2, s25, v125
	v_cmp_gt_i32_e32 vcc_lo, s15, v17
	s_waitcnt vmcnt(0)
	v_cndmask_b32_e64 v6, 0, v113, s2
	v_cndmask_b32_sdwa v5, v0, v113, vcc_lo dst_sel:DWORD dst_unused:UNUSED_PAD src0_sel:DWORD src1_sel:WORD_1
	v_cmp_gt_i32_e32 vcc_lo, s15, v16
	v_cmp_gt_i32_e64 s2, s25, v15
	v_perm_b32 v113, v5, v6, 0x5040100
	v_cndmask_b32_sdwa v6, v0, v114, vcc_lo dst_sel:DWORD dst_unused:UNUSED_PAD src0_sel:DWORD src1_sel:WORD_1
	v_cndmask_b32_e64 v5, 0, v114, s2
	v_cmp_gt_i32_e32 vcc_lo, s15, v14
	v_cmp_gt_i32_e64 s2, s25, v13
	v_perm_b32 v114, v6, v5, 0x5040100
	v_cndmask_b32_sdwa v6, v0, v115, vcc_lo dst_sel:DWORD dst_unused:UNUSED_PAD src0_sel:DWORD src1_sel:WORD_1
	v_cndmask_b32_e64 v5, 0, v115, s2
	;; [unrolled: 5-line block ×3, first 2 shown]
	v_perm_b32 v116, v6, v5, 0x5040100
	s_or_b32 exec_lo, exec_lo, s3
	global_load_dwordx4 v[117:120], v[3:4], off offset:1024
	s_and_saveexec_b32 s3, s1
	s_cbranch_execz .LBB188_65
.LBB188_92:                             ;   in Loop: Header=BB188_29 Depth=1
	v_cmp_gt_i32_e64 s2, s25, v125
	v_cmp_gt_i32_e32 vcc_lo, s15, v17
	s_waitcnt vmcnt(0)
	v_cndmask_b32_e64 v6, 0, v117, s2
	v_cndmask_b32_sdwa v5, v0, v117, vcc_lo dst_sel:DWORD dst_unused:UNUSED_PAD src0_sel:DWORD src1_sel:WORD_1
	v_cmp_gt_i32_e32 vcc_lo, s15, v16
	v_cmp_gt_i32_e64 s2, s25, v15
	v_perm_b32 v117, v5, v6, 0x5040100
	v_cndmask_b32_sdwa v6, v0, v118, vcc_lo dst_sel:DWORD dst_unused:UNUSED_PAD src0_sel:DWORD src1_sel:WORD_1
	v_cndmask_b32_e64 v5, 0, v118, s2
	v_cmp_gt_i32_e32 vcc_lo, s15, v14
	v_cmp_gt_i32_e64 s2, s25, v13
	v_perm_b32 v118, v6, v5, 0x5040100
	v_cndmask_b32_sdwa v6, v0, v119, vcc_lo dst_sel:DWORD dst_unused:UNUSED_PAD src0_sel:DWORD src1_sel:WORD_1
	v_cndmask_b32_e64 v5, 0, v119, s2
	;; [unrolled: 5-line block ×3, first 2 shown]
	v_perm_b32 v120, v6, v5, 0x5040100
	s_or_b32 exec_lo, exec_lo, s3
	global_load_dwordx4 v[121:124], v[3:4], off offset:1536
	s_and_saveexec_b32 s3, s1
	s_cbranch_execnz .LBB188_66
	s_branch .LBB188_67
.LBB188_93:
	s_or_b32 exec_lo, exec_lo, s14
	s_clause 0x1a
	buffer_load_dword v58, off, s[40:43], 0 offset:884
	buffer_load_dword v59, off, s[40:43], 0 offset:888
	;; [unrolled: 1-line block ×27, first 2 shown]
.LBB188_94:
	s_or_b32 exec_lo, exec_lo, s5
	s_waitcnt vmcnt(2)
	ds_bpermute_b32 v0, v39, v23
	s_waitcnt vmcnt(0)
	ds_bpermute_b32 v1, v39, v27
	ds_bpermute_b32 v3, v39, v22
	;; [unrolled: 1-line block ×11, first 2 shown]
	v_mov_b32_e32 v49, v14
	ds_bpermute_b32 v6, v39, v19
	ds_bpermute_b32 v30, v39, v47
	;; [unrolled: 1-line block ×4, first 2 shown]
	s_mov_b32 s1, exec_lo
	s_waitcnt lgkmcnt(0)
	s_waitcnt_vscnt null, 0x0
	s_barrier
	v_add_f32_e32 v0, v23, v0
	v_add_f32_e32 v1, v27, v1
	v_add_f32_e32 v3, v22, v3
	v_add_f32_e32 v7, v18, v7
	v_add_f32_e32 v9, v20, v9
	v_add_f32_e32 v2, v24, v2
	v_add_f32_e32 v5, v13, v5
	ds_bpermute_b32 v13, v57, v0
	ds_bpermute_b32 v14, v57, v1
	v_mov_b32_e32 v22, v16
	ds_bpermute_b32 v16, v57, v3
	ds_bpermute_b32 v20, v57, v7
	ds_bpermute_b32 v24, v57, v9
	v_add_f32_e32 v4, v21, v4
	v_mov_b32_e32 v21, v15
	v_add_f32_e32 v8, v17, v8
	v_add_f32_e32 v10, v22, v10
	ds_bpermute_b32 v15, v57, v2
	ds_bpermute_b32 v17, v57, v4
	v_add_f32_e32 v11, v21, v11
	ds_bpermute_b32 v18, v57, v5
	ds_bpermute_b32 v22, v57, v8
	;; [unrolled: 1-line block ×3, first 2 shown]
	v_add_f32_e32 v6, v19, v6
	ds_bpermute_b32 v28, v57, v11
	s_waitcnt lgkmcnt(0)
	buffer_gl0_inv
	v_add_f32_e32 v31, v0, v13
	v_add_f32_e32 v29, v1, v14
	ds_bpermute_b32 v1, v39, v35
	v_add_f32_e32 v25, v3, v16
	v_add_f32_e32 v16, v7, v20
	;; [unrolled: 1-line block ×3, first 2 shown]
	ds_bpermute_b32 v7, v39, v36
	ds_bpermute_b32 v9, v39, v37
	;; [unrolled: 1-line block ×4, first 2 shown]
	v_add_f32_e32 v27, v2, v15
	v_add_f32_e32 v23, v4, v17
	ds_bpermute_b32 v0, v39, v41
	v_add_f32_e32 v21, v5, v18
	v_add_f32_e32 v2, v49, v12
	ds_bpermute_b32 v3, v39, v34
	v_add_f32_e32 v17, v8, v22
	v_add_f32_e32 v12, v10, v26
	;; [unrolled: 1-line block ×4, first 2 shown]
	ds_bpermute_b32 v20, v39, v40
	ds_bpermute_b32 v22, v39, v42
	s_waitcnt lgkmcnt(8)
	v_add_f32_e32 v1, v35, v1
	ds_bpermute_b32 v24, v39, v44
	ds_bpermute_b32 v26, v39, v46
	;; [unrolled: 1-line block ×5, first 2 shown]
	s_waitcnt lgkmcnt(12)
	v_add_f32_e32 v7, v36, v7
	ds_bpermute_b32 v36, v39, v107
	s_waitcnt lgkmcnt(12)
	v_add_f32_e32 v9, v37, v9
	ds_bpermute_b32 v37, v39, v106
	;; [unrolled: 3-line block ×3, first 2 shown]
	ds_bpermute_b32 v4, v57, v2
	s_waitcnt lgkmcnt(13)
	v_add_f32_e32 v19, v6, v19
	v_add_f32_e32 v6, v45, v32
	;; [unrolled: 1-line block ×3, first 2 shown]
	s_waitcnt lgkmcnt(12)
	v_add_f32_e32 v0, v41, v0
	s_waitcnt lgkmcnt(11)
	v_add_f32_e32 v3, v34, v3
	ds_bpermute_b32 v33, v57, v1
	s_waitcnt lgkmcnt(11)
	v_add_f32_e32 v40, v40, v20
	s_waitcnt lgkmcnt(10)
	v_add_f32_e32 v42, v42, v22
	;; [unrolled: 2-line block ×7, first 2 shown]
	ds_bpermute_b32 v11, v57, v5
	s_waitcnt lgkmcnt(5)
	v_add_f32_e32 v36, v107, v36
	ds_bpermute_b32 v15, v57, v6
	s_waitcnt lgkmcnt(5)
	v_add_f32_e32 v37, v106, v37
	;; [unrolled: 3-line block ×3, first 2 shown]
	ds_bpermute_b32 v32, v57, v0
	ds_bpermute_b32 v34, v57, v3
	;; [unrolled: 1-line block ×13, first 2 shown]
	s_waitcnt lgkmcnt(17)
	v_add_f32_e32 v30, v2, v4
	ds_bpermute_b32 v2, v57, v37
	ds_bpermute_b32 v57, v57, v55
	s_waitcnt lgkmcnt(18)
	v_add_f32_e32 v20, v1, v33
	v_and_b32_e32 v33, 28, v60
	s_waitcnt lgkmcnt(17)
	v_add_f32_e32 v28, v5, v11
	s_waitcnt lgkmcnt(16)
	v_add_f32_e32 v26, v6, v15
	;; [unrolled: 2-line block ×17, first 2 shown]
	v_and_b32_e32 v35, 0x3c3, v58
	s_waitcnt lgkmcnt(0)
	v_add_f32_e32 v2, v55, v57
	v_lshrrev_b32_e32 v32, 2, v60
	v_add_nc_u32_e32 v33, 0x220, v33
	v_lshlrev_b32_e32 v34, 10, v59
	v_cmpx_eq_u32_e32 64, v35
	s_cbranch_execz .LBB188_96
; %bb.95:
	v_add_nc_u32_e32 v35, v33, v34
	v_add_nc_u32_e32 v36, 0xfffff800, v35
	;; [unrolled: 1-line block ×8, first 2 shown]
	ds_write_b32 v36, v31
	ds_write_b32 v37, v29
	;; [unrolled: 1-line block ×7, first 2 shown]
	v_add_nc_u32_e32 v36, 0xfffff8e0, v35
	v_add_nc_u32_e32 v37, 0xfffff900, v35
	v_add_nc_u32_e32 v38, 0xfffff920, v35
	v_add_nc_u32_e32 v39, 0xfffff940, v35
	v_add_nc_u32_e32 v40, 0xfffff960, v35
	ds_write_b32 v36, v16
	ds_write_b32 v37, v17
	ds_write_b32 v38, v14
	ds_write_b32 v39, v12
	ds_write_b32 v40, v10
	v_add_nc_u32_e32 v36, 0xfffff980, v35
	v_add_nc_u32_e32 v37, 0xfffff9a0, v35
	v_add_nc_u32_e32 v38, 0xfffff9c0, v35
	v_add_nc_u32_e32 v39, 0xfffff9e0, v35
	v_add_nc_u32_e32 v40, 0xfffffa00, v35
	ds_write_b32 v36, v30
	ds_write_b32 v37, v28
	ds_write_b32 v38, v26
	ds_write_b32 v39, v24
	ds_write_b32 v40, v22
	;; [unrolled: 10-line block ×5, first 2 shown]
.LBB188_96:
	s_or_b32 exec_lo, exec_lo, s1
	v_lshlrev_b32_e32 v32, 2, v32
	s_mov_b32 s2, exec_lo
	v_cmp_eq_u32_e32 vcc_lo, 0, v61
	s_waitcnt lgkmcnt(0)
	s_barrier
	v_add3_u32 v32, 0x220, v34, v32
	buffer_gl0_inv
	v_cmpx_gt_u32_e32 64, v58
	s_cbranch_execz .LBB188_131
; %bb.97:
	s_and_saveexec_b32 s1, vcc_lo
	s_cbranch_execnz .LBB188_171
; %bb.98:
	s_or_b32 exec_lo, exec_lo, s1
	s_and_saveexec_b32 s1, vcc_lo
	s_cbranch_execnz .LBB188_172
.LBB188_99:
	s_or_b32 exec_lo, exec_lo, s1
	s_and_saveexec_b32 s1, vcc_lo
	s_cbranch_execnz .LBB188_173
.LBB188_100:
	s_or_b32 exec_lo, exec_lo, s1
	s_and_saveexec_b32 s1, vcc_lo
	s_cbranch_execnz .LBB188_174
.LBB188_101:
	s_or_b32 exec_lo, exec_lo, s1
	s_and_saveexec_b32 s1, vcc_lo
	s_cbranch_execnz .LBB188_175
.LBB188_102:
	s_or_b32 exec_lo, exec_lo, s1
	s_and_saveexec_b32 s1, vcc_lo
	s_cbranch_execnz .LBB188_176
.LBB188_103:
	s_or_b32 exec_lo, exec_lo, s1
	s_and_saveexec_b32 s1, vcc_lo
	s_cbranch_execnz .LBB188_177
.LBB188_104:
	s_or_b32 exec_lo, exec_lo, s1
	s_and_saveexec_b32 s1, vcc_lo
	s_cbranch_execnz .LBB188_178
.LBB188_105:
	s_or_b32 exec_lo, exec_lo, s1
	s_and_saveexec_b32 s1, vcc_lo
	s_cbranch_execnz .LBB188_179
.LBB188_106:
	s_or_b32 exec_lo, exec_lo, s1
	s_and_saveexec_b32 s1, vcc_lo
	s_cbranch_execnz .LBB188_180
.LBB188_107:
	s_or_b32 exec_lo, exec_lo, s1
	s_and_saveexec_b32 s1, vcc_lo
	s_cbranch_execnz .LBB188_181
.LBB188_108:
	s_or_b32 exec_lo, exec_lo, s1
	s_and_saveexec_b32 s1, vcc_lo
	s_cbranch_execnz .LBB188_182
.LBB188_109:
	s_or_b32 exec_lo, exec_lo, s1
	s_and_saveexec_b32 s1, vcc_lo
	s_cbranch_execnz .LBB188_183
.LBB188_110:
	s_or_b32 exec_lo, exec_lo, s1
	s_and_saveexec_b32 s1, vcc_lo
	s_cbranch_execnz .LBB188_184
.LBB188_111:
	s_or_b32 exec_lo, exec_lo, s1
	s_and_saveexec_b32 s1, vcc_lo
	s_cbranch_execnz .LBB188_185
.LBB188_112:
	s_or_b32 exec_lo, exec_lo, s1
	s_and_saveexec_b32 s1, vcc_lo
	s_cbranch_execnz .LBB188_186
.LBB188_113:
	s_or_b32 exec_lo, exec_lo, s1
	s_and_saveexec_b32 s1, vcc_lo
	s_cbranch_execnz .LBB188_187
.LBB188_114:
	s_or_b32 exec_lo, exec_lo, s1
	s_and_saveexec_b32 s1, vcc_lo
	s_cbranch_execnz .LBB188_188
.LBB188_115:
	s_or_b32 exec_lo, exec_lo, s1
	s_and_saveexec_b32 s1, vcc_lo
	s_cbranch_execnz .LBB188_189
.LBB188_116:
	s_or_b32 exec_lo, exec_lo, s1
	s_and_saveexec_b32 s1, vcc_lo
	s_cbranch_execnz .LBB188_190
.LBB188_117:
	s_or_b32 exec_lo, exec_lo, s1
	s_and_saveexec_b32 s1, vcc_lo
	s_cbranch_execnz .LBB188_191
.LBB188_118:
	s_or_b32 exec_lo, exec_lo, s1
	s_and_saveexec_b32 s1, vcc_lo
	s_cbranch_execnz .LBB188_192
.LBB188_119:
	s_or_b32 exec_lo, exec_lo, s1
	s_and_saveexec_b32 s1, vcc_lo
	s_cbranch_execnz .LBB188_193
.LBB188_120:
	s_or_b32 exec_lo, exec_lo, s1
	s_and_saveexec_b32 s1, vcc_lo
	s_cbranch_execnz .LBB188_194
.LBB188_121:
	s_or_b32 exec_lo, exec_lo, s1
	s_and_saveexec_b32 s1, vcc_lo
	s_cbranch_execnz .LBB188_195
.LBB188_122:
	s_or_b32 exec_lo, exec_lo, s1
	s_and_saveexec_b32 s1, vcc_lo
	s_cbranch_execnz .LBB188_196
.LBB188_123:
	s_or_b32 exec_lo, exec_lo, s1
	s_and_saveexec_b32 s1, vcc_lo
	s_cbranch_execnz .LBB188_197
.LBB188_124:
	s_or_b32 exec_lo, exec_lo, s1
	s_and_saveexec_b32 s1, vcc_lo
	s_cbranch_execnz .LBB188_198
.LBB188_125:
	s_or_b32 exec_lo, exec_lo, s1
	s_and_saveexec_b32 s1, vcc_lo
	s_cbranch_execnz .LBB188_199
.LBB188_126:
	s_or_b32 exec_lo, exec_lo, s1
	s_and_saveexec_b32 s1, vcc_lo
	s_cbranch_execnz .LBB188_200
.LBB188_127:
	s_or_b32 exec_lo, exec_lo, s1
	s_and_saveexec_b32 s1, vcc_lo
	s_cbranch_execnz .LBB188_201
.LBB188_128:
	s_or_b32 exec_lo, exec_lo, s1
	s_and_saveexec_b32 s1, vcc_lo
	s_cbranch_execz .LBB188_130
.LBB188_129:
	ds_read_b32 v34, v32 offset:992
	s_waitcnt lgkmcnt(0)
	v_add_f32_e32 v2, v2, v34
.LBB188_130:
	s_or_b32 exec_lo, exec_lo, s1
.LBB188_131:
	s_or_b32 exec_lo, exec_lo, s2
	v_and_b32_e32 v34, 0x3e3, v58
	s_mov_b32 s2, exec_lo
	s_barrier
	buffer_gl0_inv
	v_cmpx_eq_u32_e32 32, v34
	s_cbranch_execz .LBB188_133
; %bb.132:
	ds_write2_b32 v33, v31, v29 offset1:8
	ds_write2_b32 v33, v27, v25 offset0:16 offset1:24
	ds_write2_b32 v33, v23, v21 offset0:32 offset1:40
	;; [unrolled: 1-line block ×15, first 2 shown]
.LBB188_133:
	s_or_b32 exec_lo, exec_lo, s2
	s_waitcnt lgkmcnt(0)
	s_barrier
	buffer_gl0_inv
	s_and_saveexec_b32 s1, s0
	s_cbranch_execz .LBB188_168
; %bb.134:
	s_and_saveexec_b32 s0, vcc_lo
	s_cbranch_execnz .LBB188_202
; %bb.135:
	s_or_b32 exec_lo, exec_lo, s0
	s_and_saveexec_b32 s0, vcc_lo
	s_cbranch_execnz .LBB188_203
.LBB188_136:
	s_or_b32 exec_lo, exec_lo, s0
	s_and_saveexec_b32 s0, vcc_lo
	s_cbranch_execnz .LBB188_204
.LBB188_137:
	s_or_b32 exec_lo, exec_lo, s0
	s_and_saveexec_b32 s0, vcc_lo
	s_cbranch_execnz .LBB188_205
.LBB188_138:
	s_or_b32 exec_lo, exec_lo, s0
	s_and_saveexec_b32 s0, vcc_lo
	s_cbranch_execnz .LBB188_206
.LBB188_139:
	s_or_b32 exec_lo, exec_lo, s0
	s_and_saveexec_b32 s0, vcc_lo
	s_cbranch_execnz .LBB188_207
.LBB188_140:
	s_or_b32 exec_lo, exec_lo, s0
	s_and_saveexec_b32 s0, vcc_lo
	s_cbranch_execnz .LBB188_208
.LBB188_141:
	s_or_b32 exec_lo, exec_lo, s0
	s_and_saveexec_b32 s0, vcc_lo
	s_cbranch_execnz .LBB188_209
.LBB188_142:
	s_or_b32 exec_lo, exec_lo, s0
	s_and_saveexec_b32 s0, vcc_lo
	s_cbranch_execnz .LBB188_210
.LBB188_143:
	s_or_b32 exec_lo, exec_lo, s0
	s_and_saveexec_b32 s0, vcc_lo
	s_cbranch_execnz .LBB188_211
.LBB188_144:
	s_or_b32 exec_lo, exec_lo, s0
	s_and_saveexec_b32 s0, vcc_lo
	s_cbranch_execnz .LBB188_212
.LBB188_145:
	s_or_b32 exec_lo, exec_lo, s0
	s_and_saveexec_b32 s0, vcc_lo
	s_cbranch_execnz .LBB188_213
.LBB188_146:
	s_or_b32 exec_lo, exec_lo, s0
	s_and_saveexec_b32 s0, vcc_lo
	s_cbranch_execnz .LBB188_214
.LBB188_147:
	s_or_b32 exec_lo, exec_lo, s0
	s_and_saveexec_b32 s0, vcc_lo
	s_cbranch_execnz .LBB188_215
.LBB188_148:
	s_or_b32 exec_lo, exec_lo, s0
	s_and_saveexec_b32 s0, vcc_lo
	s_cbranch_execnz .LBB188_216
.LBB188_149:
	s_or_b32 exec_lo, exec_lo, s0
	s_and_saveexec_b32 s0, vcc_lo
	s_cbranch_execnz .LBB188_217
.LBB188_150:
	s_or_b32 exec_lo, exec_lo, s0
	s_and_saveexec_b32 s0, vcc_lo
	s_cbranch_execnz .LBB188_218
.LBB188_151:
	s_or_b32 exec_lo, exec_lo, s0
	s_and_saveexec_b32 s0, vcc_lo
	s_cbranch_execnz .LBB188_219
.LBB188_152:
	s_or_b32 exec_lo, exec_lo, s0
	s_and_saveexec_b32 s0, vcc_lo
	s_cbranch_execnz .LBB188_220
.LBB188_153:
	s_or_b32 exec_lo, exec_lo, s0
	s_and_saveexec_b32 s0, vcc_lo
	s_cbranch_execnz .LBB188_221
.LBB188_154:
	s_or_b32 exec_lo, exec_lo, s0
	s_and_saveexec_b32 s0, vcc_lo
	s_cbranch_execnz .LBB188_222
.LBB188_155:
	s_or_b32 exec_lo, exec_lo, s0
	s_and_saveexec_b32 s0, vcc_lo
	s_cbranch_execnz .LBB188_223
.LBB188_156:
	s_or_b32 exec_lo, exec_lo, s0
	s_and_saveexec_b32 s0, vcc_lo
	s_cbranch_execnz .LBB188_224
.LBB188_157:
	s_or_b32 exec_lo, exec_lo, s0
	s_and_saveexec_b32 s0, vcc_lo
	s_cbranch_execnz .LBB188_225
.LBB188_158:
	s_or_b32 exec_lo, exec_lo, s0
	s_and_saveexec_b32 s0, vcc_lo
	s_cbranch_execnz .LBB188_226
.LBB188_159:
	s_or_b32 exec_lo, exec_lo, s0
	s_and_saveexec_b32 s0, vcc_lo
	s_cbranch_execnz .LBB188_227
.LBB188_160:
	s_or_b32 exec_lo, exec_lo, s0
	s_and_saveexec_b32 s0, vcc_lo
	s_cbranch_execnz .LBB188_228
.LBB188_161:
	s_or_b32 exec_lo, exec_lo, s0
	s_and_saveexec_b32 s0, vcc_lo
	s_cbranch_execnz .LBB188_229
.LBB188_162:
	s_or_b32 exec_lo, exec_lo, s0
	s_and_saveexec_b32 s0, vcc_lo
	s_cbranch_execnz .LBB188_230
.LBB188_163:
	s_or_b32 exec_lo, exec_lo, s0
	s_and_saveexec_b32 s0, vcc_lo
	s_cbranch_execnz .LBB188_231
.LBB188_164:
	s_or_b32 exec_lo, exec_lo, s0
	s_and_saveexec_b32 s0, vcc_lo
	s_cbranch_execnz .LBB188_232
.LBB188_165:
	s_or_b32 exec_lo, exec_lo, s0
	s_and_saveexec_b32 s0, vcc_lo
	s_cbranch_execz .LBB188_167
.LBB188_166:
	ds_read_b32 v32, v32 offset:992
	s_waitcnt lgkmcnt(0)
	v_add_f32_e32 v2, v2, v32
.LBB188_167:
	s_or_b32 exec_lo, exec_lo, s0
.LBB188_168:
	s_or_b32 exec_lo, exec_lo, s1
	s_barrier
	buffer_gl0_inv
	s_mov_b32 s0, exec_lo
	v_cmpx_eq_u32_e32 0, v34
	s_cbranch_execz .LBB188_170
; %bb.169:
	s_lshl_b32 s0, s4, 8
	s_mul_i32 s2, s7, s10
	s_ashr_i32 s1, s0, 31
	v_bfe_u32 v33, v31, 16, 1
	s_lshl_b64 s[0:1], s[0:1], 1
	v_or_b32_e32 v34, 0x400000, v31
	s_add_u32 s4, s20, s0
	s_addc_u32 s5, s21, s1
	s_ashr_i32 s3, s2, 31
	v_add3_u32 v33, v33, v31, 0x7fff
	s_lshl_b64 s[0:1], s[2:3], 1
	v_bfe_u32 v35, v29, 16, 1
	s_add_u32 s2, s4, s0
	v_cmp_u_f32_e32 vcc_lo, v31, v31
	s_addc_u32 s3, s5, s1
	s_lshl_b32 s0, s8, 8
	v_lshrrev_b32_e32 v32, 1, v58
	s_ashr_i32 s1, s0, 31
	v_cndmask_b32_e32 v31, v33, v34, vcc_lo
	s_lshl_b64 s[0:1], s[0:1], 1
	v_bfe_u32 v33, v27, 16, 1
	v_add3_u32 v34, v35, v29, 0x7fff
	v_or_b32_e32 v35, 0x400000, v29
	v_cmp_u_f32_e32 vcc_lo, v29, v29
	s_add_u32 s0, s2, s0
	s_addc_u32 s1, s3, s1
	global_store_short_d16_hi v32, v31, s[0:1]
	v_add3_u32 v31, v33, v27, 0x7fff
	v_or_b32_e32 v33, 0x400000, v27
	v_cndmask_b32_e32 v29, v34, v35, vcc_lo
	v_bfe_u32 v34, v25, 16, 1
	v_cmp_u_f32_e32 vcc_lo, v27, v27
	global_store_short_d16_hi v32, v29, s[0:1] offset:16
	v_add3_u32 v29, v34, v25, 0x7fff
	v_cndmask_b32_e32 v27, v31, v33, vcc_lo
	v_bfe_u32 v31, v23, 16, 1
	v_or_b32_e32 v33, 0x400000, v25
	v_cmp_u_f32_e32 vcc_lo, v25, v25
	global_store_short_d16_hi v32, v27, s[0:1] offset:32
	v_add3_u32 v27, v31, v23, 0x7fff
	v_or_b32_e32 v31, 0x400000, v23
	v_cndmask_b32_e32 v25, v29, v33, vcc_lo
	v_bfe_u32 v29, v21, 16, 1
	v_cmp_u_f32_e32 vcc_lo, v23, v23
	global_store_short_d16_hi v32, v25, s[0:1] offset:48
	v_add3_u32 v25, v29, v21, 0x7fff
	v_cndmask_b32_e32 v23, v27, v31, vcc_lo
	v_bfe_u32 v27, v19, 16, 1
	v_or_b32_e32 v29, 0x400000, v21
	v_cmp_u_f32_e32 vcc_lo, v21, v21
	global_store_short_d16_hi v32, v23, s[0:1] offset:64
	;; [unrolled: 12-line block ×5, first 2 shown]
	v_add3_u32 v12, v17, v30, 0x7fff
	v_or_b32_e32 v17, 0x400000, v30
	v_cndmask_b32_e32 v10, v14, v16, vcc_lo
	v_bfe_u32 v14, v28, 16, 1
	v_cmp_u_f32_e32 vcc_lo, v30, v30
	v_bfe_u32 v16, v26, 16, 1
	global_store_short_d16_hi v32, v10, s[0:1] offset:176
	v_add3_u32 v10, v14, v28, 0x7fff
	v_cndmask_b32_e32 v12, v12, v17, vcc_lo
	v_or_b32_e32 v14, 0x400000, v28
	v_cmp_u_f32_e32 vcc_lo, v28, v28
	global_store_short_d16_hi v32, v12, s[0:1] offset:192
	v_add3_u32 v12, v16, v26, 0x7fff
	v_or_b32_e32 v16, 0x400000, v26
	v_cndmask_b32_e32 v10, v10, v14, vcc_lo
	v_bfe_u32 v14, v24, 16, 1
	v_cmp_u_f32_e32 vcc_lo, v26, v26
	global_store_short_d16_hi v32, v10, s[0:1] offset:208
	v_add3_u32 v10, v14, v24, 0x7fff
	v_cndmask_b32_e32 v12, v12, v16, vcc_lo
	v_bfe_u32 v16, v22, 16, 1
	v_or_b32_e32 v14, 0x400000, v24
	v_cmp_u_f32_e32 vcc_lo, v24, v24
	global_store_short_d16_hi v32, v12, s[0:1] offset:224
	v_add3_u32 v12, v16, v22, 0x7fff
	v_or_b32_e32 v16, 0x400000, v22
	v_cndmask_b32_e32 v10, v10, v14, vcc_lo
	v_bfe_u32 v14, v20, 16, 1
	v_cmp_u_f32_e32 vcc_lo, v22, v22
	global_store_short_d16_hi v32, v10, s[0:1] offset:240
	v_add3_u32 v10, v14, v20, 0x7fff
	v_cndmask_b32_e32 v12, v12, v16, vcc_lo
	v_bfe_u32 v16, v18, 16, 1
	;; [unrolled: 12-line block ×3, first 2 shown]
	v_or_b32_e32 v14, 0x400000, v15
	v_cmp_u_f32_e32 vcc_lo, v15, v15
	global_store_short_d16_hi v32, v12, s[0:1] offset:288
	v_add3_u32 v12, v16, v13, 0x7fff
	v_or_b32_e32 v16, 0x400000, v13
	v_cndmask_b32_e32 v10, v10, v14, vcc_lo
	v_bfe_u32 v14, v11, 16, 1
	v_cmp_u_f32_e32 vcc_lo, v13, v13
	v_bfe_u32 v13, v9, 16, 1
	global_store_short_d16_hi v32, v10, s[0:1] offset:304
	v_add3_u32 v10, v14, v11, 0x7fff
	v_cndmask_b32_e32 v12, v12, v16, vcc_lo
	v_or_b32_e32 v14, 0x400000, v11
	v_cmp_u_f32_e32 vcc_lo, v11, v11
	v_bfe_u32 v11, v8, 16, 1
	global_store_short_d16_hi v32, v12, s[0:1] offset:320
	v_add3_u32 v12, v13, v9, 0x7fff
	v_or_b32_e32 v13, 0x400000, v9
	v_cndmask_b32_e32 v10, v10, v14, vcc_lo
	v_cmp_u_f32_e32 vcc_lo, v9, v9
	global_store_short_d16_hi v32, v10, s[0:1] offset:336
	v_cndmask_b32_e32 v9, v12, v13, vcc_lo
	v_bfe_u32 v12, v7, 16, 1
	v_add3_u32 v10, v11, v8, 0x7fff
	v_or_b32_e32 v11, 0x400000, v8
	v_cmp_u_f32_e32 vcc_lo, v8, v8
	global_store_short_d16_hi v32, v9, s[0:1] offset:352
	v_add3_u32 v9, v12, v7, 0x7fff
	v_or_b32_e32 v12, 0x400000, v7
	v_cndmask_b32_e32 v8, v10, v11, vcc_lo
	v_bfe_u32 v10, v6, 16, 1
	v_cmp_u_f32_e32 vcc_lo, v7, v7
	global_store_short_d16_hi v32, v8, s[0:1] offset:368
	v_add3_u32 v8, v10, v6, 0x7fff
	v_cndmask_b32_e32 v7, v9, v12, vcc_lo
	v_bfe_u32 v9, v5, 16, 1
	v_or_b32_e32 v10, 0x400000, v6
	v_cmp_u_f32_e32 vcc_lo, v6, v6
	global_store_short_d16_hi v32, v7, s[0:1] offset:384
	v_add3_u32 v7, v9, v5, 0x7fff
	v_or_b32_e32 v9, 0x400000, v5
	v_cndmask_b32_e32 v6, v8, v10, vcc_lo
	v_bfe_u32 v8, v4, 16, 1
	v_cmp_u_f32_e32 vcc_lo, v5, v5
	v_or_b32_e32 v10, 0x400000, v2
	global_store_short_d16_hi v32, v6, s[0:1] offset:400
	v_add3_u32 v6, v8, v4, 0x7fff
	v_cndmask_b32_e32 v5, v7, v9, vcc_lo
	v_bfe_u32 v7, v3, 16, 1
	v_or_b32_e32 v8, 0x400000, v4
	v_cmp_u_f32_e32 vcc_lo, v4, v4
	v_or_b32_e32 v9, 0x400000, v1
	global_store_short_d16_hi v32, v5, s[0:1] offset:416
	v_add3_u32 v5, v7, v3, 0x7fff
	v_or_b32_e32 v7, 0x400000, v3
	v_cndmask_b32_e32 v4, v6, v8, vcc_lo
	v_bfe_u32 v6, v0, 16, 1
	v_cmp_u_f32_e32 vcc_lo, v3, v3
	v_bfe_u32 v8, v1, 16, 1
	v_add3_u32 v6, v6, v0, 0x7fff
	v_cndmask_b32_e32 v3, v5, v7, vcc_lo
	v_or_b32_e32 v7, 0x400000, v0
	v_cmp_u_f32_e32 vcc_lo, v0, v0
	v_bfe_u32 v5, v2, 16, 1
	v_add3_u32 v8, v8, v1, 0x7fff
	v_cndmask_b32_e32 v0, v6, v7, vcc_lo
	v_cmp_u_f32_e32 vcc_lo, v1, v1
	v_add3_u32 v5, v5, v2, 0x7fff
	v_cndmask_b32_e32 v1, v8, v9, vcc_lo
	v_cmp_u_f32_e32 vcc_lo, v2, v2
	v_cndmask_b32_e32 v2, v5, v10, vcc_lo
	global_store_short_d16_hi v32, v4, s[0:1] offset:432
	global_store_short_d16_hi v32, v3, s[0:1] offset:448
	;; [unrolled: 1-line block ×5, first 2 shown]
.LBB188_170:
	s_endpgm
.LBB188_171:
	ds_read_b32 v34, v32
	s_waitcnt lgkmcnt(0)
	v_add_f32_e32 v31, v31, v34
	s_or_b32 exec_lo, exec_lo, s1
	s_and_saveexec_b32 s1, vcc_lo
	s_cbranch_execz .LBB188_99
.LBB188_172:
	ds_read_b32 v34, v32 offset:32
	s_waitcnt lgkmcnt(0)
	v_add_f32_e32 v29, v29, v34
	s_or_b32 exec_lo, exec_lo, s1
	s_and_saveexec_b32 s1, vcc_lo
	s_cbranch_execz .LBB188_100
.LBB188_173:
	ds_read_b32 v34, v32 offset:64
	s_waitcnt lgkmcnt(0)
	v_add_f32_e32 v27, v27, v34
	s_or_b32 exec_lo, exec_lo, s1
	s_and_saveexec_b32 s1, vcc_lo
	s_cbranch_execz .LBB188_101
.LBB188_174:
	ds_read_b32 v34, v32 offset:96
	s_waitcnt lgkmcnt(0)
	v_add_f32_e32 v25, v25, v34
	s_or_b32 exec_lo, exec_lo, s1
	s_and_saveexec_b32 s1, vcc_lo
	s_cbranch_execz .LBB188_102
.LBB188_175:
	ds_read_b32 v34, v32 offset:128
	s_waitcnt lgkmcnt(0)
	v_add_f32_e32 v23, v23, v34
	s_or_b32 exec_lo, exec_lo, s1
	s_and_saveexec_b32 s1, vcc_lo
	s_cbranch_execz .LBB188_103
.LBB188_176:
	ds_read_b32 v34, v32 offset:160
	s_waitcnt lgkmcnt(0)
	v_add_f32_e32 v21, v21, v34
	s_or_b32 exec_lo, exec_lo, s1
	s_and_saveexec_b32 s1, vcc_lo
	s_cbranch_execz .LBB188_104
.LBB188_177:
	ds_read_b32 v34, v32 offset:192
	s_waitcnt lgkmcnt(0)
	v_add_f32_e32 v19, v19, v34
	s_or_b32 exec_lo, exec_lo, s1
	s_and_saveexec_b32 s1, vcc_lo
	s_cbranch_execz .LBB188_105
.LBB188_178:
	ds_read_b32 v34, v32 offset:224
	s_waitcnt lgkmcnt(0)
	v_add_f32_e32 v16, v16, v34
	s_or_b32 exec_lo, exec_lo, s1
	s_and_saveexec_b32 s1, vcc_lo
	s_cbranch_execz .LBB188_106
.LBB188_179:
	ds_read_b32 v34, v32 offset:256
	s_waitcnt lgkmcnt(0)
	v_add_f32_e32 v17, v17, v34
	s_or_b32 exec_lo, exec_lo, s1
	s_and_saveexec_b32 s1, vcc_lo
	s_cbranch_execz .LBB188_107
.LBB188_180:
	ds_read_b32 v34, v32 offset:288
	s_waitcnt lgkmcnt(0)
	v_add_f32_e32 v14, v14, v34
	s_or_b32 exec_lo, exec_lo, s1
	s_and_saveexec_b32 s1, vcc_lo
	s_cbranch_execz .LBB188_108
.LBB188_181:
	ds_read_b32 v34, v32 offset:320
	s_waitcnt lgkmcnt(0)
	v_add_f32_e32 v12, v12, v34
	s_or_b32 exec_lo, exec_lo, s1
	s_and_saveexec_b32 s1, vcc_lo
	s_cbranch_execz .LBB188_109
.LBB188_182:
	ds_read_b32 v34, v32 offset:352
	s_waitcnt lgkmcnt(0)
	v_add_f32_e32 v10, v10, v34
	s_or_b32 exec_lo, exec_lo, s1
	s_and_saveexec_b32 s1, vcc_lo
	s_cbranch_execz .LBB188_110
.LBB188_183:
	ds_read_b32 v34, v32 offset:384
	s_waitcnt lgkmcnt(0)
	v_add_f32_e32 v30, v30, v34
	s_or_b32 exec_lo, exec_lo, s1
	s_and_saveexec_b32 s1, vcc_lo
	s_cbranch_execz .LBB188_111
.LBB188_184:
	ds_read_b32 v34, v32 offset:416
	s_waitcnt lgkmcnt(0)
	v_add_f32_e32 v28, v28, v34
	s_or_b32 exec_lo, exec_lo, s1
	s_and_saveexec_b32 s1, vcc_lo
	s_cbranch_execz .LBB188_112
.LBB188_185:
	ds_read_b32 v34, v32 offset:448
	s_waitcnt lgkmcnt(0)
	v_add_f32_e32 v26, v26, v34
	s_or_b32 exec_lo, exec_lo, s1
	s_and_saveexec_b32 s1, vcc_lo
	s_cbranch_execz .LBB188_113
.LBB188_186:
	ds_read_b32 v34, v32 offset:480
	s_waitcnt lgkmcnt(0)
	v_add_f32_e32 v24, v24, v34
	s_or_b32 exec_lo, exec_lo, s1
	s_and_saveexec_b32 s1, vcc_lo
	s_cbranch_execz .LBB188_114
.LBB188_187:
	ds_read_b32 v34, v32 offset:512
	s_waitcnt lgkmcnt(0)
	v_add_f32_e32 v22, v22, v34
	s_or_b32 exec_lo, exec_lo, s1
	s_and_saveexec_b32 s1, vcc_lo
	s_cbranch_execz .LBB188_115
.LBB188_188:
	ds_read_b32 v34, v32 offset:544
	s_waitcnt lgkmcnt(0)
	v_add_f32_e32 v20, v20, v34
	s_or_b32 exec_lo, exec_lo, s1
	s_and_saveexec_b32 s1, vcc_lo
	s_cbranch_execz .LBB188_116
.LBB188_189:
	ds_read_b32 v34, v32 offset:576
	s_waitcnt lgkmcnt(0)
	v_add_f32_e32 v18, v18, v34
	s_or_b32 exec_lo, exec_lo, s1
	s_and_saveexec_b32 s1, vcc_lo
	s_cbranch_execz .LBB188_117
.LBB188_190:
	ds_read_b32 v34, v32 offset:608
	s_waitcnt lgkmcnt(0)
	v_add_f32_e32 v15, v15, v34
	s_or_b32 exec_lo, exec_lo, s1
	s_and_saveexec_b32 s1, vcc_lo
	s_cbranch_execz .LBB188_118
.LBB188_191:
	ds_read_b32 v34, v32 offset:640
	s_waitcnt lgkmcnt(0)
	v_add_f32_e32 v13, v13, v34
	s_or_b32 exec_lo, exec_lo, s1
	s_and_saveexec_b32 s1, vcc_lo
	s_cbranch_execz .LBB188_119
.LBB188_192:
	ds_read_b32 v34, v32 offset:672
	s_waitcnt lgkmcnt(0)
	v_add_f32_e32 v11, v11, v34
	s_or_b32 exec_lo, exec_lo, s1
	s_and_saveexec_b32 s1, vcc_lo
	s_cbranch_execz .LBB188_120
.LBB188_193:
	ds_read_b32 v34, v32 offset:704
	s_waitcnt lgkmcnt(0)
	v_add_f32_e32 v9, v9, v34
	s_or_b32 exec_lo, exec_lo, s1
	s_and_saveexec_b32 s1, vcc_lo
	s_cbranch_execz .LBB188_121
.LBB188_194:
	ds_read_b32 v34, v32 offset:736
	s_waitcnt lgkmcnt(0)
	v_add_f32_e32 v8, v8, v34
	s_or_b32 exec_lo, exec_lo, s1
	s_and_saveexec_b32 s1, vcc_lo
	s_cbranch_execz .LBB188_122
.LBB188_195:
	ds_read_b32 v34, v32 offset:768
	s_waitcnt lgkmcnt(0)
	v_add_f32_e32 v7, v7, v34
	s_or_b32 exec_lo, exec_lo, s1
	s_and_saveexec_b32 s1, vcc_lo
	s_cbranch_execz .LBB188_123
.LBB188_196:
	ds_read_b32 v34, v32 offset:800
	s_waitcnt lgkmcnt(0)
	v_add_f32_e32 v6, v6, v34
	s_or_b32 exec_lo, exec_lo, s1
	s_and_saveexec_b32 s1, vcc_lo
	s_cbranch_execz .LBB188_124
.LBB188_197:
	ds_read_b32 v34, v32 offset:832
	s_waitcnt lgkmcnt(0)
	v_add_f32_e32 v5, v5, v34
	s_or_b32 exec_lo, exec_lo, s1
	s_and_saveexec_b32 s1, vcc_lo
	s_cbranch_execz .LBB188_125
.LBB188_198:
	ds_read_b32 v34, v32 offset:864
	s_waitcnt lgkmcnt(0)
	v_add_f32_e32 v4, v4, v34
	s_or_b32 exec_lo, exec_lo, s1
	s_and_saveexec_b32 s1, vcc_lo
	s_cbranch_execz .LBB188_126
.LBB188_199:
	ds_read_b32 v34, v32 offset:896
	s_waitcnt lgkmcnt(0)
	v_add_f32_e32 v3, v3, v34
	s_or_b32 exec_lo, exec_lo, s1
	s_and_saveexec_b32 s1, vcc_lo
	s_cbranch_execz .LBB188_127
.LBB188_200:
	ds_read_b32 v34, v32 offset:928
	s_waitcnt lgkmcnt(0)
	v_add_f32_e32 v0, v0, v34
	s_or_b32 exec_lo, exec_lo, s1
	s_and_saveexec_b32 s1, vcc_lo
	s_cbranch_execz .LBB188_128
.LBB188_201:
	ds_read_b32 v34, v32 offset:960
	s_waitcnt lgkmcnt(0)
	v_add_f32_e32 v1, v1, v34
	s_or_b32 exec_lo, exec_lo, s1
	s_and_saveexec_b32 s1, vcc_lo
	s_cbranch_execnz .LBB188_129
	s_branch .LBB188_130
.LBB188_202:
	ds_read_b32 v33, v32
	s_waitcnt lgkmcnt(0)
	v_add_f32_e32 v31, v31, v33
	s_or_b32 exec_lo, exec_lo, s0
	s_and_saveexec_b32 s0, vcc_lo
	s_cbranch_execz .LBB188_136
.LBB188_203:
	ds_read_b32 v33, v32 offset:32
	s_waitcnt lgkmcnt(0)
	v_add_f32_e32 v29, v29, v33
	s_or_b32 exec_lo, exec_lo, s0
	s_and_saveexec_b32 s0, vcc_lo
	s_cbranch_execz .LBB188_137
.LBB188_204:
	ds_read_b32 v33, v32 offset:64
	s_waitcnt lgkmcnt(0)
	v_add_f32_e32 v27, v27, v33
	s_or_b32 exec_lo, exec_lo, s0
	s_and_saveexec_b32 s0, vcc_lo
	s_cbranch_execz .LBB188_138
.LBB188_205:
	ds_read_b32 v33, v32 offset:96
	s_waitcnt lgkmcnt(0)
	v_add_f32_e32 v25, v25, v33
	s_or_b32 exec_lo, exec_lo, s0
	s_and_saveexec_b32 s0, vcc_lo
	s_cbranch_execz .LBB188_139
.LBB188_206:
	ds_read_b32 v33, v32 offset:128
	s_waitcnt lgkmcnt(0)
	v_add_f32_e32 v23, v23, v33
	s_or_b32 exec_lo, exec_lo, s0
	s_and_saveexec_b32 s0, vcc_lo
	s_cbranch_execz .LBB188_140
.LBB188_207:
	ds_read_b32 v33, v32 offset:160
	s_waitcnt lgkmcnt(0)
	v_add_f32_e32 v21, v21, v33
	s_or_b32 exec_lo, exec_lo, s0
	s_and_saveexec_b32 s0, vcc_lo
	s_cbranch_execz .LBB188_141
.LBB188_208:
	ds_read_b32 v33, v32 offset:192
	s_waitcnt lgkmcnt(0)
	v_add_f32_e32 v19, v19, v33
	s_or_b32 exec_lo, exec_lo, s0
	s_and_saveexec_b32 s0, vcc_lo
	s_cbranch_execz .LBB188_142
.LBB188_209:
	ds_read_b32 v33, v32 offset:224
	s_waitcnt lgkmcnt(0)
	v_add_f32_e32 v16, v16, v33
	s_or_b32 exec_lo, exec_lo, s0
	s_and_saveexec_b32 s0, vcc_lo
	s_cbranch_execz .LBB188_143
.LBB188_210:
	ds_read_b32 v33, v32 offset:256
	s_waitcnt lgkmcnt(0)
	v_add_f32_e32 v17, v17, v33
	s_or_b32 exec_lo, exec_lo, s0
	s_and_saveexec_b32 s0, vcc_lo
	s_cbranch_execz .LBB188_144
.LBB188_211:
	ds_read_b32 v33, v32 offset:288
	s_waitcnt lgkmcnt(0)
	v_add_f32_e32 v14, v14, v33
	s_or_b32 exec_lo, exec_lo, s0
	s_and_saveexec_b32 s0, vcc_lo
	s_cbranch_execz .LBB188_145
.LBB188_212:
	ds_read_b32 v33, v32 offset:320
	s_waitcnt lgkmcnt(0)
	v_add_f32_e32 v12, v12, v33
	s_or_b32 exec_lo, exec_lo, s0
	s_and_saveexec_b32 s0, vcc_lo
	s_cbranch_execz .LBB188_146
.LBB188_213:
	ds_read_b32 v33, v32 offset:352
	s_waitcnt lgkmcnt(0)
	v_add_f32_e32 v10, v10, v33
	s_or_b32 exec_lo, exec_lo, s0
	s_and_saveexec_b32 s0, vcc_lo
	s_cbranch_execz .LBB188_147
.LBB188_214:
	ds_read_b32 v33, v32 offset:384
	s_waitcnt lgkmcnt(0)
	v_add_f32_e32 v30, v30, v33
	s_or_b32 exec_lo, exec_lo, s0
	s_and_saveexec_b32 s0, vcc_lo
	s_cbranch_execz .LBB188_148
.LBB188_215:
	ds_read_b32 v33, v32 offset:416
	s_waitcnt lgkmcnt(0)
	v_add_f32_e32 v28, v28, v33
	s_or_b32 exec_lo, exec_lo, s0
	s_and_saveexec_b32 s0, vcc_lo
	s_cbranch_execz .LBB188_149
.LBB188_216:
	ds_read_b32 v33, v32 offset:448
	s_waitcnt lgkmcnt(0)
	v_add_f32_e32 v26, v26, v33
	s_or_b32 exec_lo, exec_lo, s0
	s_and_saveexec_b32 s0, vcc_lo
	s_cbranch_execz .LBB188_150
.LBB188_217:
	ds_read_b32 v33, v32 offset:480
	s_waitcnt lgkmcnt(0)
	v_add_f32_e32 v24, v24, v33
	s_or_b32 exec_lo, exec_lo, s0
	s_and_saveexec_b32 s0, vcc_lo
	s_cbranch_execz .LBB188_151
.LBB188_218:
	ds_read_b32 v33, v32 offset:512
	s_waitcnt lgkmcnt(0)
	v_add_f32_e32 v22, v22, v33
	s_or_b32 exec_lo, exec_lo, s0
	s_and_saveexec_b32 s0, vcc_lo
	s_cbranch_execz .LBB188_152
.LBB188_219:
	ds_read_b32 v33, v32 offset:544
	s_waitcnt lgkmcnt(0)
	v_add_f32_e32 v20, v20, v33
	s_or_b32 exec_lo, exec_lo, s0
	s_and_saveexec_b32 s0, vcc_lo
	s_cbranch_execz .LBB188_153
.LBB188_220:
	ds_read_b32 v33, v32 offset:576
	s_waitcnt lgkmcnt(0)
	v_add_f32_e32 v18, v18, v33
	s_or_b32 exec_lo, exec_lo, s0
	s_and_saveexec_b32 s0, vcc_lo
	s_cbranch_execz .LBB188_154
.LBB188_221:
	ds_read_b32 v33, v32 offset:608
	s_waitcnt lgkmcnt(0)
	v_add_f32_e32 v15, v15, v33
	s_or_b32 exec_lo, exec_lo, s0
	s_and_saveexec_b32 s0, vcc_lo
	s_cbranch_execz .LBB188_155
.LBB188_222:
	ds_read_b32 v33, v32 offset:640
	s_waitcnt lgkmcnt(0)
	v_add_f32_e32 v13, v13, v33
	s_or_b32 exec_lo, exec_lo, s0
	s_and_saveexec_b32 s0, vcc_lo
	s_cbranch_execz .LBB188_156
.LBB188_223:
	ds_read_b32 v33, v32 offset:672
	s_waitcnt lgkmcnt(0)
	v_add_f32_e32 v11, v11, v33
	s_or_b32 exec_lo, exec_lo, s0
	s_and_saveexec_b32 s0, vcc_lo
	s_cbranch_execz .LBB188_157
.LBB188_224:
	ds_read_b32 v33, v32 offset:704
	s_waitcnt lgkmcnt(0)
	v_add_f32_e32 v9, v9, v33
	s_or_b32 exec_lo, exec_lo, s0
	s_and_saveexec_b32 s0, vcc_lo
	s_cbranch_execz .LBB188_158
.LBB188_225:
	ds_read_b32 v33, v32 offset:736
	s_waitcnt lgkmcnt(0)
	v_add_f32_e32 v8, v8, v33
	s_or_b32 exec_lo, exec_lo, s0
	s_and_saveexec_b32 s0, vcc_lo
	s_cbranch_execz .LBB188_159
.LBB188_226:
	ds_read_b32 v33, v32 offset:768
	s_waitcnt lgkmcnt(0)
	v_add_f32_e32 v7, v7, v33
	s_or_b32 exec_lo, exec_lo, s0
	s_and_saveexec_b32 s0, vcc_lo
	s_cbranch_execz .LBB188_160
.LBB188_227:
	ds_read_b32 v33, v32 offset:800
	s_waitcnt lgkmcnt(0)
	v_add_f32_e32 v6, v6, v33
	s_or_b32 exec_lo, exec_lo, s0
	s_and_saveexec_b32 s0, vcc_lo
	s_cbranch_execz .LBB188_161
.LBB188_228:
	ds_read_b32 v33, v32 offset:832
	s_waitcnt lgkmcnt(0)
	v_add_f32_e32 v5, v5, v33
	s_or_b32 exec_lo, exec_lo, s0
	s_and_saveexec_b32 s0, vcc_lo
	s_cbranch_execz .LBB188_162
.LBB188_229:
	ds_read_b32 v33, v32 offset:864
	s_waitcnt lgkmcnt(0)
	v_add_f32_e32 v4, v4, v33
	s_or_b32 exec_lo, exec_lo, s0
	s_and_saveexec_b32 s0, vcc_lo
	s_cbranch_execz .LBB188_163
.LBB188_230:
	ds_read_b32 v33, v32 offset:896
	s_waitcnt lgkmcnt(0)
	v_add_f32_e32 v3, v3, v33
	s_or_b32 exec_lo, exec_lo, s0
	s_and_saveexec_b32 s0, vcc_lo
	s_cbranch_execz .LBB188_164
.LBB188_231:
	ds_read_b32 v33, v32 offset:928
	s_waitcnt lgkmcnt(0)
	v_add_f32_e32 v0, v0, v33
	s_or_b32 exec_lo, exec_lo, s0
	s_and_saveexec_b32 s0, vcc_lo
	s_cbranch_execz .LBB188_165
.LBB188_232:
	ds_read_b32 v33, v32 offset:960
	s_waitcnt lgkmcnt(0)
	v_add_f32_e32 v1, v1, v33
	s_or_b32 exec_lo, exec_lo, s0
	s_and_saveexec_b32 s0, vcc_lo
	s_cbranch_execnz .LBB188_166
	s_branch .LBB188_167
	.section	.rodata,"a",@progbits
	.p2align	6, 0x0
	.amdhsa_kernel _ZN4vllm25paged_attention_v2_kernelI14__hip_bfloat16S1_Li256ELi32ELi128ELNS_18Fp8KVCacheDataTypeE0ELb0ELi512EEEvPfS3_PT_PKS4_PKT0_SA_ifPKiSC_iPKfiiiSE_SE_iiiii
		.amdhsa_group_segment_fixed_size 544
		.amdhsa_private_segment_fixed_size 908
		.amdhsa_kernarg_size 400
		.amdhsa_user_sgpr_count 6
		.amdhsa_user_sgpr_private_segment_buffer 1
		.amdhsa_user_sgpr_dispatch_ptr 0
		.amdhsa_user_sgpr_queue_ptr 0
		.amdhsa_user_sgpr_kernarg_segment_ptr 1
		.amdhsa_user_sgpr_dispatch_id 0
		.amdhsa_user_sgpr_flat_scratch_init 0
		.amdhsa_user_sgpr_private_segment_size 0
		.amdhsa_wavefront_size32 1
		.amdhsa_uses_dynamic_stack 0
		.amdhsa_system_sgpr_private_segment_wavefront_offset 1
		.amdhsa_system_sgpr_workgroup_id_x 1
		.amdhsa_system_sgpr_workgroup_id_y 1
		.amdhsa_system_sgpr_workgroup_id_z 1
		.amdhsa_system_sgpr_workgroup_info 0
		.amdhsa_system_vgpr_workitem_id 0
		.amdhsa_next_free_vgpr 128
		.amdhsa_next_free_sgpr 44
		.amdhsa_reserve_vcc 1
		.amdhsa_reserve_flat_scratch 0
		.amdhsa_float_round_mode_32 0
		.amdhsa_float_round_mode_16_64 0
		.amdhsa_float_denorm_mode_32 3
		.amdhsa_float_denorm_mode_16_64 3
		.amdhsa_dx10_clamp 1
		.amdhsa_ieee_mode 1
		.amdhsa_fp16_overflow 0
		.amdhsa_workgroup_processor_mode 1
		.amdhsa_memory_ordered 1
		.amdhsa_forward_progress 1
		.amdhsa_shared_vgpr_count 0
		.amdhsa_exception_fp_ieee_invalid_op 0
		.amdhsa_exception_fp_denorm_src 0
		.amdhsa_exception_fp_ieee_div_zero 0
		.amdhsa_exception_fp_ieee_overflow 0
		.amdhsa_exception_fp_ieee_underflow 0
		.amdhsa_exception_fp_ieee_inexact 0
		.amdhsa_exception_int_div_zero 0
	.end_amdhsa_kernel
	.section	.text._ZN4vllm25paged_attention_v2_kernelI14__hip_bfloat16S1_Li256ELi32ELi128ELNS_18Fp8KVCacheDataTypeE0ELb0ELi512EEEvPfS3_PT_PKS4_PKT0_SA_ifPKiSC_iPKfiiiSE_SE_iiiii,"axG",@progbits,_ZN4vllm25paged_attention_v2_kernelI14__hip_bfloat16S1_Li256ELi32ELi128ELNS_18Fp8KVCacheDataTypeE0ELb0ELi512EEEvPfS3_PT_PKS4_PKT0_SA_ifPKiSC_iPKfiiiSE_SE_iiiii,comdat
.Lfunc_end188:
	.size	_ZN4vllm25paged_attention_v2_kernelI14__hip_bfloat16S1_Li256ELi32ELi128ELNS_18Fp8KVCacheDataTypeE0ELb0ELi512EEEvPfS3_PT_PKS4_PKT0_SA_ifPKiSC_iPKfiiiSE_SE_iiiii, .Lfunc_end188-_ZN4vllm25paged_attention_v2_kernelI14__hip_bfloat16S1_Li256ELi32ELi128ELNS_18Fp8KVCacheDataTypeE0ELb0ELi512EEEvPfS3_PT_PKS4_PKT0_SA_ifPKiSC_iPKfiiiSE_SE_iiiii
                                        ; -- End function
	.set _ZN4vllm25paged_attention_v2_kernelI14__hip_bfloat16S1_Li256ELi32ELi128ELNS_18Fp8KVCacheDataTypeE0ELb0ELi512EEEvPfS3_PT_PKS4_PKT0_SA_ifPKiSC_iPKfiiiSE_SE_iiiii.num_vgpr, 128
	.set _ZN4vllm25paged_attention_v2_kernelI14__hip_bfloat16S1_Li256ELi32ELi128ELNS_18Fp8KVCacheDataTypeE0ELb0ELi512EEEvPfS3_PT_PKS4_PKT0_SA_ifPKiSC_iPKfiiiSE_SE_iiiii.num_agpr, 0
	.set _ZN4vllm25paged_attention_v2_kernelI14__hip_bfloat16S1_Li256ELi32ELi128ELNS_18Fp8KVCacheDataTypeE0ELb0ELi512EEEvPfS3_PT_PKS4_PKT0_SA_ifPKiSC_iPKfiiiSE_SE_iiiii.numbered_sgpr, 44
	.set _ZN4vllm25paged_attention_v2_kernelI14__hip_bfloat16S1_Li256ELi32ELi128ELNS_18Fp8KVCacheDataTypeE0ELb0ELi512EEEvPfS3_PT_PKS4_PKT0_SA_ifPKiSC_iPKfiiiSE_SE_iiiii.num_named_barrier, 0
	.set _ZN4vllm25paged_attention_v2_kernelI14__hip_bfloat16S1_Li256ELi32ELi128ELNS_18Fp8KVCacheDataTypeE0ELb0ELi512EEEvPfS3_PT_PKS4_PKT0_SA_ifPKiSC_iPKfiiiSE_SE_iiiii.private_seg_size, 908
	.set _ZN4vllm25paged_attention_v2_kernelI14__hip_bfloat16S1_Li256ELi32ELi128ELNS_18Fp8KVCacheDataTypeE0ELb0ELi512EEEvPfS3_PT_PKS4_PKT0_SA_ifPKiSC_iPKfiiiSE_SE_iiiii.uses_vcc, 1
	.set _ZN4vllm25paged_attention_v2_kernelI14__hip_bfloat16S1_Li256ELi32ELi128ELNS_18Fp8KVCacheDataTypeE0ELb0ELi512EEEvPfS3_PT_PKS4_PKT0_SA_ifPKiSC_iPKfiiiSE_SE_iiiii.uses_flat_scratch, 0
	.set _ZN4vllm25paged_attention_v2_kernelI14__hip_bfloat16S1_Li256ELi32ELi128ELNS_18Fp8KVCacheDataTypeE0ELb0ELi512EEEvPfS3_PT_PKS4_PKT0_SA_ifPKiSC_iPKfiiiSE_SE_iiiii.has_dyn_sized_stack, 0
	.set _ZN4vllm25paged_attention_v2_kernelI14__hip_bfloat16S1_Li256ELi32ELi128ELNS_18Fp8KVCacheDataTypeE0ELb0ELi512EEEvPfS3_PT_PKS4_PKT0_SA_ifPKiSC_iPKfiiiSE_SE_iiiii.has_recursion, 0
	.set _ZN4vllm25paged_attention_v2_kernelI14__hip_bfloat16S1_Li256ELi32ELi128ELNS_18Fp8KVCacheDataTypeE0ELb0ELi512EEEvPfS3_PT_PKS4_PKT0_SA_ifPKiSC_iPKfiiiSE_SE_iiiii.has_indirect_call, 0
	.section	.AMDGPU.csdata,"",@progbits
; Kernel info:
; codeLenInByte = 41452
; TotalNumSgprs: 46
; NumVgprs: 128
; ScratchSize: 908
; MemoryBound: 0
; FloatMode: 240
; IeeeMode: 1
; LDSByteSize: 544 bytes/workgroup (compile time only)
; SGPRBlocks: 0
; VGPRBlocks: 15
; NumSGPRsForWavesPerEU: 46
; NumVGPRsForWavesPerEU: 128
; Occupancy: 8
; WaveLimiterHint : 1
; COMPUTE_PGM_RSRC2:SCRATCH_EN: 1
; COMPUTE_PGM_RSRC2:USER_SGPR: 6
; COMPUTE_PGM_RSRC2:TRAP_HANDLER: 0
; COMPUTE_PGM_RSRC2:TGID_X_EN: 1
; COMPUTE_PGM_RSRC2:TGID_Y_EN: 1
; COMPUTE_PGM_RSRC2:TGID_Z_EN: 1
; COMPUTE_PGM_RSRC2:TIDIG_COMP_CNT: 0
	.section	.text._ZN4vllm25paged_attention_v2_kernelIfhLi32ELi8ELi128ELNS_18Fp8KVCacheDataTypeE1ELb1ELi512EEEvPfS2_PT_PKS3_PKT0_S9_ifPKiSB_iPKfiiiSD_SD_iiiii,"axG",@progbits,_ZN4vllm25paged_attention_v2_kernelIfhLi32ELi8ELi128ELNS_18Fp8KVCacheDataTypeE1ELb1ELi512EEEvPfS2_PT_PKS3_PKT0_S9_ifPKiSB_iPKfiiiSD_SD_iiiii,comdat
	.protected	_ZN4vllm25paged_attention_v2_kernelIfhLi32ELi8ELi128ELNS_18Fp8KVCacheDataTypeE1ELb1ELi512EEEvPfS2_PT_PKS3_PKT0_S9_ifPKiSB_iPKfiiiSD_SD_iiiii ; -- Begin function _ZN4vllm25paged_attention_v2_kernelIfhLi32ELi8ELi128ELNS_18Fp8KVCacheDataTypeE1ELb1ELi512EEEvPfS2_PT_PKS3_PKT0_S9_ifPKiSB_iPKfiiiSD_SD_iiiii
	.globl	_ZN4vllm25paged_attention_v2_kernelIfhLi32ELi8ELi128ELNS_18Fp8KVCacheDataTypeE1ELb1ELi512EEEvPfS2_PT_PKS3_PKT0_S9_ifPKiSB_iPKfiiiSD_SD_iiiii
	.p2align	8
	.type	_ZN4vllm25paged_attention_v2_kernelIfhLi32ELi8ELi128ELNS_18Fp8KVCacheDataTypeE1ELb1ELi512EEEvPfS2_PT_PKS3_PKT0_S9_ifPKiSB_iPKfiiiSD_SD_iiiii,@function
_ZN4vllm25paged_attention_v2_kernelIfhLi32ELi8ELi128ELNS_18Fp8KVCacheDataTypeE1ELb1ELi512EEEvPfS2_PT_PKS3_PKT0_S9_ifPKiSB_iPKfiiiSD_SD_iiiii: ; @_ZN4vllm25paged_attention_v2_kernelIfhLi32ELi8ELi128ELNS_18Fp8KVCacheDataTypeE1ELb1ELi512EEEvPfS2_PT_PKS3_PKT0_S9_ifPKiSB_iPKfiiiSD_SD_iiiii
; %bb.0:
	s_load_dwordx2 s[0:1], s[4:5], 0x40
	s_mov_b32 s30, s7
	s_ashr_i32 s31, s7, 31
	s_lshl_b64 s[2:3], s[30:31], 2
	s_waitcnt lgkmcnt(0)
	s_add_u32 s0, s0, s2
	s_addc_u32 s1, s1, s3
	s_lshl_b32 s33, s8, 9
	s_load_dword s31, s[0:1], 0x0
	s_waitcnt lgkmcnt(0)
	s_cmp_ge_i32 s33, s31
	s_cbranch_scc1 .LBB189_194
; %bb.1:
	s_clause 0x1
	s_load_dword s9, s[4:5], 0x90
	s_load_dwordx2 s[40:41], s[4:5], 0x30
	s_mov_b32 s43, 0
	s_waitcnt lgkmcnt(0)
	s_abs_i32 s3, s9
	s_abs_i32 s0, s40
	v_cvt_f32_u32_e32 v1, s0
	s_sub_i32 s2, 0, s0
	v_rcp_iflag_f32_e32 v1, v1
	v_mul_f32_e32 v1, 0x4f7ffffe, v1
	v_cvt_u32_f32_e32 v1, v1
	v_readfirstlane_b32 s1, v1
	s_mul_i32 s2, s2, s1
	s_mul_hi_u32 s2, s1, s2
	s_add_i32 s1, s1, s2
	s_xor_b32 s2, s9, s40
	s_mul_hi_u32 s1, s3, s1
	s_ashr_i32 s2, s2, 31
	s_mul_i32 s7, s1, s0
	s_sub_i32 s3, s3, s7
	s_add_i32 s7, s1, 1
	s_sub_i32 s10, s3, s0
	s_cmp_ge_u32 s3, s0
	s_cselect_b32 s1, s7, s1
	s_cselect_b32 s3, s10, s3
	s_add_i32 s7, s1, 1
	s_cmp_ge_u32 s3, s0
	s_cselect_b32 s0, s7, s1
	s_xor_b32 s0, s0, s2
	s_sub_i32 s10, s0, s2
	s_load_dwordx2 s[0:1], s[4:5], 0x50
	s_abs_i32 s2, s10
	v_cvt_f32_u32_e32 v1, s2
	s_sub_i32 s3, 0, s2
	v_rcp_iflag_f32_e32 v1, v1
	v_mul_f32_e32 v1, 0x4f7ffffe, v1
	v_cvt_u32_f32_e32 v1, v1
	v_readfirstlane_b32 s7, v1
	s_mul_i32 s3, s3, s7
	s_mul_hi_u32 s11, s7, s3
	s_abs_i32 s3, s6
	s_add_i32 s7, s7, s11
	s_waitcnt lgkmcnt(0)
	s_cmp_eq_u64 s[0:1], 0
	s_mul_hi_u32 s12, s3, s7
	s_cbranch_scc1 .LBB189_3
; %bb.2:
	s_ashr_i32 s7, s6, 31
	s_lshl_b64 s[14:15], s[6:7], 2
	s_add_u32 s0, s0, s14
	s_addc_u32 s1, s1, s15
	s_load_dword s43, s[0:1], 0x0
.LBB189_3:
	s_load_dwordx4 s[16:19], s[4:5], 0x58
	v_and_b32_e32 v1, 3, v0
	v_cmp_gt_u32_e64 s0, 32, v0
	v_lshlrev_b32_e32 v19, 2, v0
	s_ashr_i32 s1, s6, 31
	s_ashr_i32 s7, s10, 31
	s_lshl_b32 s10, s6, 5
	s_and_saveexec_b32 s13, s0
	s_cbranch_execz .LBB189_5
; %bb.4:
	s_load_dwordx2 s[14:15], s[4:5], 0x18
	s_waitcnt lgkmcnt(0)
	s_mul_i32 s20, s16, s30
	v_and_b32_e32 v3, 0x3fc, v0
	s_ashr_i32 s21, s20, 31
	s_lshl_b64 s[20:21], s[20:21], 2
	v_lshl_add_u32 v3, v1, 5, v3
	s_add_u32 s16, s14, s20
	s_addc_u32 s19, s15, s21
	s_ashr_i32 s11, s10, 31
	s_lshl_b64 s[14:15], s[10:11], 2
	s_add_u32 s14, s16, s14
	s_addc_u32 s15, s19, s15
	global_load_dword v2, v19, s[14:15]
	s_waitcnt vmcnt(0)
	ds_write_b32 v3, v2
.LBB189_5:
	s_or_b32 exec_lo, exec_lo, s13
	s_load_dwordx4 s[20:23], s[4:5], 0x78
	s_mul_i32 s11, s12, s2
	s_xor_b32 s1, s1, s7
	s_sub_i32 s3, s3, s11
	s_add_i32 s7, s12, 1
	s_sub_i32 s11, s3, s2
	s_cmp_ge_u32 s3, s2
	s_mov_b32 s13, -1
	s_cselect_b32 s7, s7, s12
	s_cselect_b32 s3, s11, s3
	s_add_i32 s11, s7, 1
	s_cmp_ge_u32 s3, s2
                                        ; implicit-def: $sgpr19
	s_cselect_b32 s2, s11, s7
	s_load_dword s7, s[4:5], 0x88
	s_xor_b32 s2, s2, s1
	s_add_i32 s12, s31, -1
	s_sub_i32 s2, s2, s1
	s_abs_i32 s3, s12
	s_waitcnt lgkmcnt(0)
	s_abs_i32 s11, s23
	s_barrier
	v_cvt_f32_u32_e32 v2, s11
	s_sub_i32 s1, 0, s11
	buffer_gl0_inv
	v_rcp_iflag_f32_e32 v2, v2
	v_mul_f32_e32 v2, 0x4f7ffffe, v2
	v_cvt_u32_f32_e32 v2, v2
	v_readfirstlane_b32 s16, v2
	s_mul_i32 s1, s1, s16
	s_mul_hi_u32 s1, s16, s1
	s_add_i32 s16, s16, s1
	s_cmp_lt_i32 s7, 0
	s_mul_hi_u32 s1, s3, s16
	s_cbranch_scc0 .LBB189_7
; %bb.6:
	s_mul_i32 s13, s20, s40
	s_add_i32 s13, s2, s13
	s_mul_i32 s13, s13, s7
	s_sub_i32 s19, 1, s13
	s_mov_b32 s13, 0
.LBB189_7:
	s_load_dwordx2 s[34:35], s[4:5], 0x38
	s_ashr_i32 s36, s12, 31
	s_andn2_b32 vcc_lo, exec_lo, s13
	s_ashr_i32 s23, s23, 31
	s_cbranch_vccnz .LBB189_9
; %bb.8:
	s_mul_i32 s12, s9, s20
	s_add_i32 s12, s12, s6
	s_mul_i32 s7, s12, s7
	s_add_i32 s19, s7, 1
.LBB189_9:
	s_clause 0x5
	s_load_dword s20, s[4:5], 0x48
	s_load_dwordx2 s[38:39], s[4:5], 0x28
	s_load_dwordx4 s[24:27], s[4:5], 0x0
	s_load_dwordx2 s[28:29], s[4:5], 0x10
	s_load_dword s7, s[4:5], 0x98
	s_load_dwordx4 s[12:15], s[4:5], 0x68
	s_xor_b32 s42, s36, s23
	s_mul_i32 s36, s1, s11
	s_add_i32 s40, s1, 1
	s_sub_i32 s3, s3, s36
	v_lshrrev_b32_e32 v26, 5, v0
	v_mov_b32_e32 v21, 0xff7fffff
	v_mbcnt_lo_u32_b32 v20, -1, 0
	s_mul_i32 s18, s2, s18
	v_lshl_add_u32 v27, v26, 3, s33
	s_waitcnt lgkmcnt(0)
	s_mul_i32 s36, s20, s30
	s_sub_i32 s20, s3, s11
	s_ashr_i32 s37, s36, 31
	s_cmp_ge_u32 s3, s11
	s_cselect_b32 s1, s40, s1
	s_cselect_b32 s3, s20, s3
	s_add_i32 s20, s1, 1
	s_cmp_ge_u32 s3, s11
	s_cselect_b32 s1, s20, s1
	s_add_i32 s3, s31, 7
	s_lshl_b32 s44, s8, 6
	s_ashr_i32 s20, s3, 31
	v_or_b32_e32 v9, s44, v26
	s_lshr_b32 s20, s20, 29
	s_add_i32 s3, s3, s20
	s_add_i32 s20, s44, 64
	s_ashr_i32 s40, s3, 3
	s_xor_b32 s3, s1, s42
	s_min_i32 s20, s20, s40
	v_ashrrev_i32_e32 v10, 31, v9
	v_cmp_gt_i32_e64 s1, s20, v9
	s_sub_i32 s42, s3, s42
	s_and_saveexec_b32 s45, s1
	s_cbranch_execz .LBB189_85
; %bb.10:
	s_load_dwordx2 s[2:3], s[4:5], 0x20
	s_sub_i32 s5, s42, s21
	s_ashr_i32 s4, s18, 31
	v_bfe_u32 v22, v0, 2, 3
	v_mov_b32_e32 v12, 0
	v_lshlrev_b32_e32 v23, 5, v1
	v_lshl_add_u32 v24, v26, 3, s33
	v_mov_b32_e32 v25, 0xff7fffff
	v_lshlrev_b32_e32 v5, 2, v22
	v_subrev_nc_u32_e32 v6, s31, v22
	v_lshlrev_b32_e32 v7, 4, v22
	v_mov_b32_e32 v28, 0x7f
	v_mov_b32_e32 v29, 7
	v_lshl_or_b32 v5, v26, 5, v5
	v_add_nc_u32_e32 v30, 1, v6
	v_mov_b32_e32 v21, 0xff7fffff
	v_mov_b32_e32 v33, v9
	v_cmp_eq_u32_e32 vcc_lo, 0, v1
	v_add_nc_u32_e32 v31, 0xa0, v5
	s_waitcnt lgkmcnt(0)
	s_add_u32 s47, s2, s18
	s_addc_u32 s3, s3, s4
	s_abs_i32 s46, s22
	s_lshl_b64 s[48:49], s[36:37], 2
	v_cvt_f32_u32_e32 v2, s46
	s_sub_i32 s4, 0, s46
	v_cmp_neq_f32_e64 s2, s43, 0
	v_rcp_iflag_f32_e32 v4, v2
	v_lshlrev_b64 v[2:3], 2, v[9:10]
	v_mul_f32_e32 v4, 0x4f7ffffe, v4
	v_cvt_u32_f32_e32 v4, v4
	v_mul_lo_u32 v5, s4, v4
	v_add_co_u32 v6, s4, s47, v7
	v_add_co_ci_u32_e64 v7, null, s3, 0, s4
	s_add_u32 s3, s34, s48
	s_addc_u32 s4, s35, s49
	v_add_co_u32 v13, s3, s3, v2
	v_mul_hi_u32 v5, v4, v5
	v_add_co_ci_u32_e64 v14, null, s4, v3, s3
	v_add_co_u32 v15, s3, v6, v1
	v_add_co_ci_u32_e64 v16, null, 0, v7, s3
	s_mov_b32 s47, 0
	v_add_nc_u32_e32 v32, v4, v5
	s_mov_b32 s48, s17
	s_branch .LBB189_13
.LBB189_11:                             ;   in Loop: Header=BB189_13 Depth=1
	s_or_b32 exec_lo, exec_lo, s49
.LBB189_12:                             ;   in Loop: Header=BB189_13 Depth=1
	s_or_b32 exec_lo, exec_lo, s4
	v_add_nc_u32_e32 v33, 4, v33
	v_add_co_u32 v13, s4, v13, 16
	v_add_co_ci_u32_e64 v14, null, 0, v14, s4
	v_cmp_le_i32_e64 s3, s20, v33
	v_add_nc_u32_e32 v24, 32, v24
	v_add_nc_u32_e32 v31, 0x80, v31
	s_or_b32 s47, s3, s47
	s_andn2_b32 exec_lo, exec_lo, s47
	s_cbranch_execz .LBB189_84
.LBB189_13:                             ; =>This Inner Loop Header: Depth=1
	v_sub_nc_u32_e32 v1, 0, v24
	v_max_i32_e32 v1, v24, v1
	s_waitcnt lgkmcnt(0)
	v_mul_hi_u32 v2, v1, s16
	v_mul_lo_u32 v3, v2, s11
	v_sub_nc_u32_e32 v1, v1, v3
	v_add_nc_u32_e32 v3, 1, v2
	v_subrev_nc_u32_e32 v4, s11, v1
	v_cmp_le_u32_e64 s3, s11, v1
	v_cndmask_b32_e64 v2, v2, v3, s3
	v_cndmask_b32_e64 v1, v1, v4, s3
	v_ashrrev_i32_e32 v3, 31, v24
	v_add_nc_u32_e32 v4, 1, v2
	v_cmp_le_u32_e64 s3, s11, v1
	v_xor_b32_e32 v3, s23, v3
	v_cndmask_b32_e64 v1, v2, v4, s3
	v_xor_b32_e32 v1, v1, v3
	v_sub_nc_u32_e32 v1, v1, v3
	v_add_nc_u32_e32 v2, s19, v1
	v_cmp_ge_i32_e64 s4, s5, v1
	v_sub_nc_u32_e32 v3, 0, v2
	v_max_i32_e32 v3, v2, v3
	v_ashrrev_i32_e32 v2, 31, v2
	v_mul_hi_u32 v4, v3, v32
	v_mul_lo_u32 v4, v4, s46
	v_sub_nc_u32_e32 v3, v3, v4
	v_subrev_nc_u32_e32 v4, s46, v3
	v_cmp_le_u32_e64 s3, s46, v3
	v_cndmask_b32_e64 v3, v3, v4, s3
	v_subrev_nc_u32_e32 v4, s46, v3
	v_cmp_le_u32_e64 s3, s46, v3
	v_cndmask_b32_e64 v3, v3, v4, s3
	v_xor_b32_e32 v3, v3, v2
	v_sub_nc_u32_e32 v2, v3, v2
	v_cmp_ne_u32_e64 s3, 0, v2
	s_and_b32 s3, s3, s4
	s_and_saveexec_b32 s4, s3
	s_xor_b32 s3, exec_lo, s4
	s_cbranch_execz .LBB189_17
; %bb.14:                               ;   in Loop: Header=BB189_13 Depth=1
	s_and_saveexec_b32 s4, vcc_lo
; %bb.15:                               ;   in Loop: Header=BB189_13 Depth=1
	ds_write_b32 v31, v25
; %bb.16:                               ;   in Loop: Header=BB189_13 Depth=1
	s_or_b32 exec_lo, exec_lo, s4
.LBB189_17:                             ;   in Loop: Header=BB189_13 Depth=1
	s_andn2_saveexec_b32 s4, s3
	s_cbranch_execz .LBB189_12
; %bb.18:                               ;   in Loop: Header=BB189_13 Depth=1
	global_load_dword v1, v[13:14], off
	v_mov_b32_e32 v34, 0
	v_mov_b32_e32 v35, 0
	s_mov_b32 s50, exec_lo
	s_waitcnt vmcnt(0)
	v_mad_i64_i32 v[17:18], null, v1, s48, v[15:16]
	global_load_ubyte v36, v[17:18], off
	ds_read_b128 v[5:8], v23
	ds_read_b128 v[1:4], v23 offset:16
	s_load_dword s49, s[12:13], 0x0
	s_waitcnt vmcnt(0)
	v_cmpx_ne_u16_e32 0, v36
	s_cbranch_execz .LBB189_26
; %bb.19:                               ;   in Loop: Header=BB189_13 Depth=1
	v_bfrev_b32_e32 v35, 1
	s_mov_b32 s51, exec_lo
	v_cmpx_ne_u16_e32 0x80, v36
	s_cbranch_execz .LBB189_25
; %bb.20:                               ;   in Loop: Header=BB189_13 Depth=1
	v_and_b32_sdwa v37, v36, v28 dst_sel:DWORD dst_unused:UNUSED_PAD src0_sel:WORD_0 src1_sel:DWORD
	v_mov_b32_e32 v35, 0x7f800001
	s_mov_b32 s52, exec_lo
	v_cmpx_ne_u32_e32 0x7f, v37
	s_cbranch_execz .LBB189_24
; %bb.21:                               ;   in Loop: Header=BB189_13 Depth=1
	v_and_b32_sdwa v11, v36, v29 dst_sel:DWORD dst_unused:UNUSED_PAD src0_sel:WORD_0 src1_sel:DWORD
	v_lshrrev_b32_e32 v35, 3, v37
	s_mov_b32 s53, exec_lo
	v_cmpx_gt_u32_e32 8, v37
; %bb.22:                               ;   in Loop: Header=BB189_13 Depth=1
	v_ffbh_u32_e32 v35, v11
	v_min_u32_e32 v35, 32, v35
	v_subrev_nc_u32_e32 v37, 28, v35
	v_sub_nc_u32_e32 v35, 29, v35
	v_lshlrev_b64 v[37:38], v37, v[11:12]
	v_and_b32_e32 v11, 7, v37
; %bb.23:                               ;   in Loop: Header=BB189_13 Depth=1
	s_or_b32 exec_lo, exec_lo, s53
	v_lshlrev_b32_e32 v36, 24, v36
	v_lshlrev_b32_e32 v11, 20, v11
	v_lshl_add_u32 v35, v35, 23, 0x3c000000
	v_and_b32_e32 v36, 0x80000000, v36
	v_or3_b32 v35, v11, v36, v35
.LBB189_24:                             ;   in Loop: Header=BB189_13 Depth=1
	s_or_b32 exec_lo, exec_lo, s52
.LBB189_25:                             ;   in Loop: Header=BB189_13 Depth=1
	s_or_b32 exec_lo, exec_lo, s51
.LBB189_26:                             ;   in Loop: Header=BB189_13 Depth=1
	s_or_b32 exec_lo, exec_lo, s50
	global_load_ubyte v36, v[17:18], off offset:4
	s_mov_b32 s50, exec_lo
	s_waitcnt vmcnt(0)
	v_cmpx_ne_u16_e32 0, v36
	s_cbranch_execz .LBB189_34
; %bb.27:                               ;   in Loop: Header=BB189_13 Depth=1
	v_bfrev_b32_e32 v34, 1
	s_mov_b32 s51, exec_lo
	v_cmpx_ne_u16_e32 0x80, v36
	s_cbranch_execz .LBB189_33
; %bb.28:                               ;   in Loop: Header=BB189_13 Depth=1
	v_and_b32_sdwa v37, v36, v28 dst_sel:DWORD dst_unused:UNUSED_PAD src0_sel:WORD_0 src1_sel:DWORD
	v_mov_b32_e32 v34, 0x7f800001
	s_mov_b32 s52, exec_lo
	v_cmpx_ne_u32_e32 0x7f, v37
	s_cbranch_execz .LBB189_32
; %bb.29:                               ;   in Loop: Header=BB189_13 Depth=1
	v_and_b32_sdwa v11, v36, v29 dst_sel:DWORD dst_unused:UNUSED_PAD src0_sel:WORD_0 src1_sel:DWORD
	v_lshrrev_b32_e32 v34, 3, v37
	s_mov_b32 s53, exec_lo
	v_cmpx_gt_u32_e32 8, v37
; %bb.30:                               ;   in Loop: Header=BB189_13 Depth=1
	v_ffbh_u32_e32 v34, v11
	v_min_u32_e32 v34, 32, v34
	v_subrev_nc_u32_e32 v37, 28, v34
	v_sub_nc_u32_e32 v34, 29, v34
	v_lshlrev_b64 v[37:38], v37, v[11:12]
	v_and_b32_e32 v11, 7, v37
; %bb.31:                               ;   in Loop: Header=BB189_13 Depth=1
	s_or_b32 exec_lo, exec_lo, s53
	v_lshlrev_b32_e32 v36, 24, v36
	v_lshlrev_b32_e32 v11, 20, v11
	v_lshl_add_u32 v34, v34, 23, 0x3c000000
	v_and_b32_e32 v36, 0x80000000, v36
	v_or3_b32 v34, v11, v36, v34
.LBB189_32:                             ;   in Loop: Header=BB189_13 Depth=1
	s_or_b32 exec_lo, exec_lo, s52
.LBB189_33:                             ;   in Loop: Header=BB189_13 Depth=1
	s_or_b32 exec_lo, exec_lo, s51
.LBB189_34:                             ;   in Loop: Header=BB189_13 Depth=1
	s_or_b32 exec_lo, exec_lo, s50
	global_load_ubyte v38, v[17:18], off offset:8
	v_mov_b32_e32 v36, 0
	v_mov_b32_e32 v37, 0
	s_mov_b32 s50, exec_lo
	s_waitcnt vmcnt(0)
	v_cmpx_ne_u16_e32 0, v38
	s_cbranch_execz .LBB189_42
; %bb.35:                               ;   in Loop: Header=BB189_13 Depth=1
	v_bfrev_b32_e32 v37, 1
	s_mov_b32 s51, exec_lo
	v_cmpx_ne_u16_e32 0x80, v38
	s_cbranch_execz .LBB189_41
; %bb.36:                               ;   in Loop: Header=BB189_13 Depth=1
	v_and_b32_sdwa v39, v38, v28 dst_sel:DWORD dst_unused:UNUSED_PAD src0_sel:WORD_0 src1_sel:DWORD
	v_mov_b32_e32 v37, 0x7f800001
	s_mov_b32 s52, exec_lo
	v_cmpx_ne_u32_e32 0x7f, v39
	s_cbranch_execz .LBB189_40
; %bb.37:                               ;   in Loop: Header=BB189_13 Depth=1
	v_and_b32_sdwa v11, v38, v29 dst_sel:DWORD dst_unused:UNUSED_PAD src0_sel:WORD_0 src1_sel:DWORD
	v_lshrrev_b32_e32 v37, 3, v39
	s_mov_b32 s53, exec_lo
	v_cmpx_gt_u32_e32 8, v39
; %bb.38:                               ;   in Loop: Header=BB189_13 Depth=1
	v_ffbh_u32_e32 v37, v11
	v_min_u32_e32 v37, 32, v37
	v_subrev_nc_u32_e32 v39, 28, v37
	v_sub_nc_u32_e32 v37, 29, v37
	v_lshlrev_b64 v[39:40], v39, v[11:12]
	v_and_b32_e32 v11, 7, v39
; %bb.39:                               ;   in Loop: Header=BB189_13 Depth=1
	s_or_b32 exec_lo, exec_lo, s53
	v_lshlrev_b32_e32 v38, 24, v38
	v_lshlrev_b32_e32 v11, 20, v11
	v_lshl_add_u32 v37, v37, 23, 0x3c000000
	v_and_b32_e32 v38, 0x80000000, v38
	v_or3_b32 v37, v11, v38, v37
.LBB189_40:                             ;   in Loop: Header=BB189_13 Depth=1
	s_or_b32 exec_lo, exec_lo, s52
.LBB189_41:                             ;   in Loop: Header=BB189_13 Depth=1
	s_or_b32 exec_lo, exec_lo, s51
.LBB189_42:                             ;   in Loop: Header=BB189_13 Depth=1
	s_or_b32 exec_lo, exec_lo, s50
	global_load_ubyte v38, v[17:18], off offset:12
	s_mov_b32 s50, exec_lo
	s_waitcnt vmcnt(0)
	v_cmpx_ne_u16_e32 0, v38
	s_cbranch_execz .LBB189_50
; %bb.43:                               ;   in Loop: Header=BB189_13 Depth=1
	v_bfrev_b32_e32 v36, 1
	s_mov_b32 s51, exec_lo
	v_cmpx_ne_u16_e32 0x80, v38
	s_cbranch_execz .LBB189_49
; %bb.44:                               ;   in Loop: Header=BB189_13 Depth=1
	v_and_b32_sdwa v39, v38, v28 dst_sel:DWORD dst_unused:UNUSED_PAD src0_sel:WORD_0 src1_sel:DWORD
	v_mov_b32_e32 v36, 0x7f800001
	s_mov_b32 s52, exec_lo
	v_cmpx_ne_u32_e32 0x7f, v39
	s_cbranch_execz .LBB189_48
; %bb.45:                               ;   in Loop: Header=BB189_13 Depth=1
	v_and_b32_sdwa v11, v38, v29 dst_sel:DWORD dst_unused:UNUSED_PAD src0_sel:WORD_0 src1_sel:DWORD
	v_lshrrev_b32_e32 v36, 3, v39
	s_mov_b32 s53, exec_lo
	v_cmpx_gt_u32_e32 8, v39
; %bb.46:                               ;   in Loop: Header=BB189_13 Depth=1
	v_ffbh_u32_e32 v36, v11
	v_min_u32_e32 v36, 32, v36
	v_subrev_nc_u32_e32 v39, 28, v36
	v_sub_nc_u32_e32 v36, 29, v36
	v_lshlrev_b64 v[39:40], v39, v[11:12]
	v_and_b32_e32 v11, 7, v39
; %bb.47:                               ;   in Loop: Header=BB189_13 Depth=1
	s_or_b32 exec_lo, exec_lo, s53
	v_lshlrev_b32_e32 v38, 24, v38
	v_lshlrev_b32_e32 v11, 20, v11
	v_lshl_add_u32 v36, v36, 23, 0x3c000000
	v_and_b32_e32 v38, 0x80000000, v38
	v_or3_b32 v36, v11, v38, v36
.LBB189_48:                             ;   in Loop: Header=BB189_13 Depth=1
	s_or_b32 exec_lo, exec_lo, s52
.LBB189_49:                             ;   in Loop: Header=BB189_13 Depth=1
	s_or_b32 exec_lo, exec_lo, s51
.LBB189_50:                             ;   in Loop: Header=BB189_13 Depth=1
	s_or_b32 exec_lo, exec_lo, s50
	global_load_ubyte v40, v[17:18], off offset:128
	v_mov_b32_e32 v38, 0
	v_mov_b32_e32 v39, 0
	s_mov_b32 s50, exec_lo
	s_waitcnt vmcnt(0)
	v_cmpx_ne_u16_e32 0, v40
	s_cbranch_execz .LBB189_58
; %bb.51:                               ;   in Loop: Header=BB189_13 Depth=1
	v_bfrev_b32_e32 v39, 1
	s_mov_b32 s51, exec_lo
	v_cmpx_ne_u16_e32 0x80, v40
	s_cbranch_execz .LBB189_57
; %bb.52:                               ;   in Loop: Header=BB189_13 Depth=1
	v_and_b32_sdwa v41, v40, v28 dst_sel:DWORD dst_unused:UNUSED_PAD src0_sel:WORD_0 src1_sel:DWORD
	v_mov_b32_e32 v39, 0x7f800001
	s_mov_b32 s52, exec_lo
	v_cmpx_ne_u32_e32 0x7f, v41
	s_cbranch_execz .LBB189_56
; %bb.53:                               ;   in Loop: Header=BB189_13 Depth=1
	v_and_b32_sdwa v11, v40, v29 dst_sel:DWORD dst_unused:UNUSED_PAD src0_sel:WORD_0 src1_sel:DWORD
	v_lshrrev_b32_e32 v39, 3, v41
	s_mov_b32 s53, exec_lo
	v_cmpx_gt_u32_e32 8, v41
; %bb.54:                               ;   in Loop: Header=BB189_13 Depth=1
	v_ffbh_u32_e32 v39, v11
	v_min_u32_e32 v39, 32, v39
	v_subrev_nc_u32_e32 v41, 28, v39
	v_sub_nc_u32_e32 v39, 29, v39
	v_lshlrev_b64 v[41:42], v41, v[11:12]
	v_and_b32_e32 v11, 7, v41
; %bb.55:                               ;   in Loop: Header=BB189_13 Depth=1
	s_or_b32 exec_lo, exec_lo, s53
	v_lshlrev_b32_e32 v40, 24, v40
	v_lshlrev_b32_e32 v11, 20, v11
	v_lshl_add_u32 v39, v39, 23, 0x3c000000
	v_and_b32_e32 v40, 0x80000000, v40
	v_or3_b32 v39, v11, v40, v39
.LBB189_56:                             ;   in Loop: Header=BB189_13 Depth=1
	s_or_b32 exec_lo, exec_lo, s52
.LBB189_57:                             ;   in Loop: Header=BB189_13 Depth=1
	s_or_b32 exec_lo, exec_lo, s51
.LBB189_58:                             ;   in Loop: Header=BB189_13 Depth=1
	s_or_b32 exec_lo, exec_lo, s50
	global_load_ubyte v40, v[17:18], off offset:132
	s_mov_b32 s50, exec_lo
	s_waitcnt vmcnt(0)
	v_cmpx_ne_u16_e32 0, v40
	s_cbranch_execz .LBB189_66
; %bb.59:                               ;   in Loop: Header=BB189_13 Depth=1
	v_bfrev_b32_e32 v38, 1
	s_mov_b32 s51, exec_lo
	v_cmpx_ne_u16_e32 0x80, v40
	s_cbranch_execz .LBB189_65
; %bb.60:                               ;   in Loop: Header=BB189_13 Depth=1
	v_and_b32_sdwa v41, v40, v28 dst_sel:DWORD dst_unused:UNUSED_PAD src0_sel:WORD_0 src1_sel:DWORD
	v_mov_b32_e32 v38, 0x7f800001
	s_mov_b32 s52, exec_lo
	v_cmpx_ne_u32_e32 0x7f, v41
	s_cbranch_execz .LBB189_64
; %bb.61:                               ;   in Loop: Header=BB189_13 Depth=1
	v_and_b32_sdwa v11, v40, v29 dst_sel:DWORD dst_unused:UNUSED_PAD src0_sel:WORD_0 src1_sel:DWORD
	v_lshrrev_b32_e32 v38, 3, v41
	s_mov_b32 s53, exec_lo
	v_cmpx_gt_u32_e32 8, v41
; %bb.62:                               ;   in Loop: Header=BB189_13 Depth=1
	v_ffbh_u32_e32 v38, v11
	v_min_u32_e32 v38, 32, v38
	v_subrev_nc_u32_e32 v41, 28, v38
	v_sub_nc_u32_e32 v38, 29, v38
	v_lshlrev_b64 v[41:42], v41, v[11:12]
	v_and_b32_e32 v11, 7, v41
; %bb.63:                               ;   in Loop: Header=BB189_13 Depth=1
	s_or_b32 exec_lo, exec_lo, s53
	v_lshlrev_b32_e32 v40, 24, v40
	v_lshlrev_b32_e32 v11, 20, v11
	v_lshl_add_u32 v38, v38, 23, 0x3c000000
	v_and_b32_e32 v40, 0x80000000, v40
	v_or3_b32 v38, v11, v40, v38
.LBB189_64:                             ;   in Loop: Header=BB189_13 Depth=1
	s_or_b32 exec_lo, exec_lo, s52
.LBB189_65:                             ;   in Loop: Header=BB189_13 Depth=1
	s_or_b32 exec_lo, exec_lo, s51
.LBB189_66:                             ;   in Loop: Header=BB189_13 Depth=1
	s_or_b32 exec_lo, exec_lo, s50
	global_load_ubyte v42, v[17:18], off offset:136
	v_mov_b32_e32 v40, 0
	v_mov_b32_e32 v41, 0
	s_mov_b32 s50, exec_lo
	s_waitcnt vmcnt(0)
	v_cmpx_ne_u16_e32 0, v42
	s_cbranch_execz .LBB189_74
; %bb.67:                               ;   in Loop: Header=BB189_13 Depth=1
	v_bfrev_b32_e32 v41, 1
	s_mov_b32 s51, exec_lo
	v_cmpx_ne_u16_e32 0x80, v42
	s_cbranch_execz .LBB189_73
; %bb.68:                               ;   in Loop: Header=BB189_13 Depth=1
	v_and_b32_sdwa v43, v42, v28 dst_sel:DWORD dst_unused:UNUSED_PAD src0_sel:WORD_0 src1_sel:DWORD
	v_mov_b32_e32 v41, 0x7f800001
	s_mov_b32 s52, exec_lo
	v_cmpx_ne_u32_e32 0x7f, v43
	s_cbranch_execz .LBB189_72
; %bb.69:                               ;   in Loop: Header=BB189_13 Depth=1
	v_and_b32_sdwa v11, v42, v29 dst_sel:DWORD dst_unused:UNUSED_PAD src0_sel:WORD_0 src1_sel:DWORD
	v_lshrrev_b32_e32 v41, 3, v43
	s_mov_b32 s53, exec_lo
	v_cmpx_gt_u32_e32 8, v43
; %bb.70:                               ;   in Loop: Header=BB189_13 Depth=1
	v_ffbh_u32_e32 v41, v11
	v_min_u32_e32 v41, 32, v41
	v_subrev_nc_u32_e32 v43, 28, v41
	v_sub_nc_u32_e32 v41, 29, v41
	v_lshlrev_b64 v[43:44], v43, v[11:12]
	v_and_b32_e32 v11, 7, v43
; %bb.71:                               ;   in Loop: Header=BB189_13 Depth=1
	s_or_b32 exec_lo, exec_lo, s53
	v_lshlrev_b32_e32 v42, 24, v42
	v_lshlrev_b32_e32 v11, 20, v11
	v_lshl_add_u32 v41, v41, 23, 0x3c000000
	v_and_b32_e32 v42, 0x80000000, v42
	v_or3_b32 v41, v11, v42, v41
.LBB189_72:                             ;   in Loop: Header=BB189_13 Depth=1
	s_or_b32 exec_lo, exec_lo, s52
.LBB189_73:                             ;   in Loop: Header=BB189_13 Depth=1
	s_or_b32 exec_lo, exec_lo, s51
.LBB189_74:                             ;   in Loop: Header=BB189_13 Depth=1
	s_or_b32 exec_lo, exec_lo, s50
	global_load_ubyte v17, v[17:18], off offset:140
	s_mov_b32 s50, exec_lo
	s_waitcnt vmcnt(0)
	v_cmpx_ne_u16_e32 0, v17
	s_cbranch_execz .LBB189_82
; %bb.75:                               ;   in Loop: Header=BB189_13 Depth=1
	v_bfrev_b32_e32 v40, 1
	s_mov_b32 s51, exec_lo
	v_cmpx_ne_u16_e32 0x80, v17
	s_cbranch_execz .LBB189_81
; %bb.76:                               ;   in Loop: Header=BB189_13 Depth=1
	v_and_b32_sdwa v42, v17, v28 dst_sel:DWORD dst_unused:UNUSED_PAD src0_sel:WORD_0 src1_sel:DWORD
	v_mov_b32_e32 v40, 0x7f800001
	s_mov_b32 s52, exec_lo
	v_cmpx_ne_u32_e32 0x7f, v42
	s_cbranch_execz .LBB189_80
; %bb.77:                               ;   in Loop: Header=BB189_13 Depth=1
	v_and_b32_sdwa v11, v17, v29 dst_sel:DWORD dst_unused:UNUSED_PAD src0_sel:WORD_0 src1_sel:DWORD
	v_lshrrev_b32_e32 v18, 3, v42
	s_mov_b32 s53, exec_lo
	v_cmpx_gt_u32_e32 8, v42
; %bb.78:                               ;   in Loop: Header=BB189_13 Depth=1
	v_ffbh_u32_e32 v18, v11
	v_min_u32_e32 v18, 32, v18
	v_subrev_nc_u32_e32 v40, 28, v18
	v_sub_nc_u32_e32 v18, 29, v18
	v_lshlrev_b64 v[42:43], v40, v[11:12]
	v_and_b32_e32 v11, 7, v42
; %bb.79:                               ;   in Loop: Header=BB189_13 Depth=1
	s_or_b32 exec_lo, exec_lo, s53
	v_lshlrev_b32_e32 v17, 24, v17
	v_lshlrev_b32_e32 v11, 20, v11
	v_lshl_add_u32 v18, v18, 23, 0x3c000000
	v_and_b32_e32 v17, 0x80000000, v17
	v_or3_b32 v40, v11, v17, v18
.LBB189_80:                             ;   in Loop: Header=BB189_13 Depth=1
	s_or_b32 exec_lo, exec_lo, s52
.LBB189_81:                             ;   in Loop: Header=BB189_13 Depth=1
	s_or_b32 exec_lo, exec_lo, s51
.LBB189_82:                             ;   in Loop: Header=BB189_13 Depth=1
	s_or_b32 exec_lo, exec_lo, s50
	s_waitcnt lgkmcnt(0)
	v_mul_f32_e32 v11, s49, v34
	v_mul_f32_e32 v17, s49, v35
	;; [unrolled: 1-line block ×4, first 2 shown]
	v_fmac_f32_e32 v6, v5, v17
	v_mul_f32_e32 v5, s49, v36
	v_fmac_f32_e32 v6, v7, v11
	v_mul_f32_e32 v7, s49, v39
	;; [unrolled: 2-line block ×3, first 2 shown]
	v_fmac_f32_e32 v6, v1, v7
	v_xor_b32_e32 v1, 2, v20
	v_mul_f32_e32 v7, s49, v41
	v_fmac_f32_e32 v6, v2, v5
	v_cmp_gt_i32_e64 s3, 32, v1
	v_mul_f32_e32 v2, s49, v40
	v_fmac_f32_e32 v6, v3, v7
	v_cndmask_b32_e64 v1, v20, v1, s3
	v_fmac_f32_e32 v6, v4, v2
	v_lshlrev_b32_e32 v1, 2, v1
	v_xor_b32_e32 v2, 1, v20
	ds_bpermute_b32 v1, v1, v6
	v_cmp_gt_i32_e64 s3, 32, v2
	v_cndmask_b32_e64 v2, v20, v2, s3
	v_lshlrev_b32_e32 v2, 2, v2
	s_waitcnt lgkmcnt(0)
	v_add_f32_e32 v1, v6, v1
	ds_bpermute_b32 v2, v2, v1
	s_and_saveexec_b32 s49, vcc_lo
	s_cbranch_execz .LBB189_11
; %bb.83:                               ;   in Loop: Header=BB189_13 Depth=1
	v_add_nc_u32_e32 v3, v30, v24
	s_waitcnt lgkmcnt(0)
	v_add_f32_e32 v1, v1, v2
	v_cvt_f32_i32_e32 v3, v3
	v_mul_f32_e32 v3, s43, v3
	v_cndmask_b32_e64 v2, 0, v3, s2
	v_max_f32_e32 v3, v21, v21
	v_fmac_f32_e32 v2, s41, v1
	v_add_nc_u32_e32 v1, v22, v24
	v_max_f32_e32 v3, v3, v2
	v_cmp_gt_i32_e64 s3, s31, v1
	v_cndmask_b32_e64 v1, 0, v2, s3
	v_cndmask_b32_e64 v21, v21, v3, s3
	ds_write_b32 v31, v1
	s_branch .LBB189_11
.LBB189_84:
	s_or_b32 exec_lo, exec_lo, s47
.LBB189_85:
	s_or_b32 exec_lo, exec_lo, s45
	v_xor_b32_e32 v1, 16, v20
	v_xor_b32_e32 v3, 8, v20
	v_max_f32_e32 v5, v21, v21
	v_and_b32_e32 v28, 31, v0
	v_cmp_gt_i32_e32 vcc_lo, 32, v1
	v_cndmask_b32_e32 v1, v20, v1, vcc_lo
	v_cmp_gt_i32_e32 vcc_lo, 32, v3
	s_waitcnt lgkmcnt(0)
	v_lshlrev_b32_e32 v2, 2, v1
	v_cndmask_b32_e32 v3, v20, v3, vcc_lo
	ds_bpermute_b32 v1, v2, v21
	v_lshlrev_b32_e32 v4, 2, v3
	s_waitcnt lgkmcnt(0)
	v_max_f32_e32 v1, v1, v1
	v_max_f32_e32 v1, v5, v1
	v_xor_b32_e32 v5, 4, v20
	ds_bpermute_b32 v3, v4, v1
	v_cmp_gt_i32_e32 vcc_lo, 32, v5
	v_cndmask_b32_e32 v5, v20, v5, vcc_lo
	v_cmp_eq_u32_e32 vcc_lo, 0, v28
	v_lshlrev_b32_e32 v7, 2, v5
	v_lshlrev_b32_e32 v5, 2, v26
	s_waitcnt lgkmcnt(0)
	v_max_f32_e32 v3, v3, v3
	v_max_f32_e32 v1, v1, v3
	ds_bpermute_b32 v3, v7, v1
	s_and_saveexec_b32 s2, vcc_lo
	s_cbranch_execz .LBB189_87
; %bb.86:
	s_waitcnt lgkmcnt(0)
	v_max_f32_e32 v3, v3, v3
	v_max_f32_e32 v1, v1, v1
	;; [unrolled: 1-line block ×3, first 2 shown]
	ds_write_b32 v5, v1 offset:128
.LBB189_87:
	s_or_b32 exec_lo, exec_lo, s2
	v_cmp_gt_u32_e64 s2, 4, v28
	v_mov_b32_e32 v1, 0xff7fffff
	v_lshlrev_b32_e32 v6, 2, v28
	s_waitcnt lgkmcnt(0)
	s_barrier
	buffer_gl0_inv
	s_and_saveexec_b32 s3, s2
; %bb.88:
	ds_read_b32 v1, v6 offset:128
; %bb.89:
	s_or_b32 exec_lo, exec_lo, s3
	v_xor_b32_e32 v3, 2, v20
	v_xor_b32_e32 v11, 1, v20
	v_cmp_gt_i32_e64 s3, 32, v3
	v_cndmask_b32_e64 v3, v20, v3, s3
	v_cmp_gt_i32_e64 s3, 32, v11
	v_lshlrev_b32_e32 v8, 2, v3
	v_cndmask_b32_e64 v11, v20, v11, s3
	s_sub_i32 s3, s20, s44
	s_lshl_b32 s3, s3, 3
	s_waitcnt lgkmcnt(0)
	ds_bpermute_b32 v3, v8, v1
	v_max_f32_e32 v1, v1, v1
	v_lshlrev_b32_e32 v29, 2, v11
	v_mov_b32_e32 v11, 0
	s_add_i32 s3, s3, s33
	s_min_i32 s3, s3, s31
	s_sub_i32 s5, s3, s33
	v_cmp_gt_i32_e64 s3, s5, v0
	s_waitcnt lgkmcnt(0)
	v_max_f32_e32 v3, v3, v3
	v_max_f32_e32 v1, v1, v3
	ds_bpermute_b32 v3, v29, v1
	s_waitcnt lgkmcnt(0)
	v_max_f32_e32 v3, v3, v3
	v_max_f32_e32 v1, v1, v3
	v_lshl_add_u32 v3, v0, 2, 0xa0
	ds_bpermute_b32 v1, v11, v1
	s_and_saveexec_b32 s12, s3
	s_cbranch_execz .LBB189_93
; %bb.90:
	v_lshl_add_u32 v12, v0, 2, 0xa0
	v_mov_b32_e32 v11, 0
	v_mov_b32_e32 v13, v0
	s_mov_b32 s13, 0
	.p2align	6
.LBB189_91:                             ; =>This Inner Loop Header: Depth=1
	ds_read_b32 v14, v12
	v_add_nc_u32_e32 v13, 0x80, v13
	v_cmp_le_i32_e64 s4, s5, v13
	s_or_b32 s13, s4, s13
	s_waitcnt lgkmcnt(0)
	v_sub_f32_e32 v14, v14, v1
	v_mul_f32_e32 v14, 0x3fb8aa3b, v14
	v_exp_f32_e32 v14, v14
	ds_write_b32 v12, v14
	v_add_f32_e32 v11, v11, v14
	v_add_nc_u32_e32 v12, 0x200, v12
	s_andn2_b32 exec_lo, exec_lo, s13
	s_cbranch_execnz .LBB189_91
; %bb.92:
	s_or_b32 exec_lo, exec_lo, s13
.LBB189_93:
	s_or_b32 exec_lo, exec_lo, s12
	ds_bpermute_b32 v2, v2, v11
	s_waitcnt lgkmcnt(0)
	v_add_f32_e32 v2, v11, v2
	ds_bpermute_b32 v4, v4, v2
	s_waitcnt lgkmcnt(0)
	v_add_f32_e32 v2, v2, v4
	;; [unrolled: 3-line block ×5, first 2 shown]
	s_and_saveexec_b32 s4, vcc_lo
; %bb.94:
	ds_write_b32 v5, v2 offset:144
; %bb.95:
	s_or_b32 exec_lo, exec_lo, s4
	s_waitcnt lgkmcnt(0)
	s_barrier
	buffer_gl0_inv
	s_and_saveexec_b32 s4, s2
; %bb.96:
	ds_read_b32 v2, v6 offset:144
; %bb.97:
	s_or_b32 exec_lo, exec_lo, s4
	s_waitcnt lgkmcnt(0)
	ds_bpermute_b32 v4, v8, v2
	s_waitcnt lgkmcnt(0)
	v_add_f32_e32 v2, v2, v4
	ds_bpermute_b32 v4, v29, v2
	s_waitcnt lgkmcnt(0)
	v_add_f32_e32 v2, v2, v4
	v_mov_b32_e32 v4, 0
	ds_bpermute_b32 v2, v4, v2
	s_and_saveexec_b32 s2, s3
	s_cbranch_execz .LBB189_100
; %bb.98:
	s_waitcnt lgkmcnt(0)
	v_add_f32_e32 v4, 0x358637bd, v2
	s_mov_b32 s3, 0
	v_div_scale_f32 v5, null, v4, v4, 1.0
	v_div_scale_f32 v8, vcc_lo, 1.0, v4, 1.0
	v_rcp_f32_e32 v6, v5
	v_fma_f32 v7, -v5, v6, 1.0
	v_fmac_f32_e32 v6, v7, v6
	v_mul_f32_e32 v7, v8, v6
	v_fma_f32 v11, -v5, v7, v8
	v_fmac_f32_e32 v7, v11, v6
	v_fma_f32 v5, -v5, v7, v8
	v_div_fmas_f32 v5, v5, v6, v7
	v_div_fixup_f32 v4, v5, v4, 1.0
	v_mov_b32_e32 v5, v0
.LBB189_99:                             ; =>This Inner Loop Header: Depth=1
	ds_read_b32 v6, v3
	v_add_nc_u32_e32 v5, 0x80, v5
	v_cmp_le_i32_e32 vcc_lo, s5, v5
	s_or_b32 s3, vcc_lo, s3
	s_waitcnt lgkmcnt(0)
	v_mul_f32_e32 v6, v4, v6
	ds_write_b32 v3, v6
	v_add_nc_u32_e32 v3, 0x200, v3
	s_andn2_b32 exec_lo, exec_lo, s3
	s_cbranch_execnz .LBB189_99
.LBB189_100:
	s_or_b32 exec_lo, exec_lo, s2
	s_mul_i32 s2, s7, s30
	s_mov_b32 s4, exec_lo
	s_mul_i32 s2, s2, s9
	s_waitcnt lgkmcnt(0)
	s_barrier
	buffer_gl0_inv
	v_cmpx_eq_u32_e32 0, v0
	s_cbranch_execz .LBB189_102
; %bb.101:
	s_ashr_i32 s3, s2, 31
	s_mul_i32 s44, s7, s6
	s_lshl_b64 s[12:13], s[2:3], 2
	v_mov_b32_e32 v3, 0
	s_add_u32 s3, s26, s12
	s_addc_u32 s5, s27, s13
	s_ashr_i32 s45, s44, 31
	s_lshl_b64 s[26:27], s[44:45], 2
	s_add_u32 s3, s3, s26
	s_addc_u32 s5, s5, s27
	s_ashr_i32 s9, s8, 31
	s_lshl_b64 s[44:45], s[8:9], 2
	s_add_u32 s46, s3, s44
	s_addc_u32 s47, s5, s45
	s_add_u32 s3, s24, s12
	s_addc_u32 s5, s25, s13
	;; [unrolled: 2-line block ×4, first 2 shown]
	global_store_dword v3, v1, s[46:47]
	global_store_dword v3, v2, s[12:13]
.LBB189_102:
	s_or_b32 exec_lo, exec_lo, s4
	v_mov_b32_e32 v33, 0
	v_and_b32_e32 v30, 1, v0
	v_mov_b32_e32 v32, 0
	s_and_saveexec_b32 s3, s1
	s_cbranch_execz .LBB189_176
; %bb.103:
	s_sub_i32 s4, s42, s21
	s_ashr_i32 s1, s18, 31
	s_add_u32 s6, s38, s18
	s_addc_u32 s1, s39, s1
	s_abs_i32 s5, s22
	v_and_b32_e32 v4, 0x7c, v19
	v_cvt_f32_u32_e32 v1, s5
	s_sub_i32 s9, 0, s5
	v_lshlrev_b32_e32 v5, 4, v30
	s_lshl_b64 s[12:13], s[36:37], 2
	v_add_co_u32 v12, s6, s6, v4
	v_rcp_iflag_f32_e32 v3, v1
	v_lshlrev_b64 v[1:2], 2, v[9:10]
	s_add_i32 s40, s40, -1
	v_lshl_or_b32 v5, v26, 5, v5
	v_add_co_ci_u32_e64 v13, null, s1, 0, s6
	s_add_u32 s1, s34, s12
	s_addc_u32 s6, s35, s13
	v_add_co_u32 v14, vcc_lo, s1, v1
	v_mul_f32_e32 v3, 0x4f7ffffe, v3
	v_and_b32_e32 v31, 4, v19
	v_mov_b32_e32 v6, 0
	v_mov_b32_e32 v34, 0x80
	v_bfrev_b32_e32 v8, 1
	v_cvt_u32_f32_e32 v3, v3
	v_mov_b32_e32 v35, 0xffff
	v_mov_b32_e32 v11, 0x7f800001
	;; [unrolled: 1-line block ×4, first 2 shown]
	v_mul_lo_u32 v7, s9, v3
	v_mov_b32_e32 v38, 24
	v_mov_b32_e32 v32, 0
	v_add_co_ci_u32_e64 v15, null, s6, v2, vcc_lo
	v_add_nc_u32_e32 v39, 0xa0, v5
	v_mov_b32_e32 v33, 0
	s_mov_b32 s9, s17
	v_mul_hi_u32 v4, v3, v7
	s_mov_b32 s6, 0
	v_add_nc_u32_e32 v40, v3, v4
	s_branch .LBB189_106
.LBB189_104:                            ;   in Loop: Header=BB189_106 Depth=1
	s_or_b32 exec_lo, exec_lo, s1
	v_mul_f32_e32 v17, v1, v42
	v_mul_f32_e32 v1, v1, v16
	v_fmac_f32_e32 v17, v2, v41
	v_fmac_f32_e32 v1, v2, v10
	;; [unrolled: 1-line block ×6, first 2 shown]
	v_add_f32_e32 v33, v33, v17
	v_add_f32_e32 v32, v32, v1
.LBB189_105:                            ;   in Loop: Header=BB189_106 Depth=1
	s_or_b32 exec_lo, exec_lo, s12
	v_add_nc_u32_e32 v9, 4, v9
	v_add_co_u32 v14, s1, v14, 16
	v_add_co_ci_u32_e64 v15, null, 0, v15, s1
	v_cmp_le_i32_e32 vcc_lo, s20, v9
	v_add_nc_u32_e32 v27, 32, v27
	v_add_nc_u32_e32 v39, 0x80, v39
	s_or_b32 s6, vcc_lo, s6
	s_andn2_b32 exec_lo, exec_lo, s6
	s_cbranch_execz .LBB189_175
.LBB189_106:                            ; =>This Inner Loop Header: Depth=1
	v_sub_nc_u32_e32 v1, 0, v27
	v_max_i32_e32 v1, v27, v1
	v_mul_hi_u32 v2, v1, s16
	v_mul_lo_u32 v3, v2, s11
	v_sub_nc_u32_e32 v1, v1, v3
	v_add_nc_u32_e32 v3, 1, v2
	v_subrev_nc_u32_e32 v4, s11, v1
	v_cmp_le_u32_e32 vcc_lo, s11, v1
	v_cndmask_b32_e32 v2, v2, v3, vcc_lo
	v_cndmask_b32_e32 v1, v1, v4, vcc_lo
	v_ashrrev_i32_e32 v3, 31, v27
	v_add_nc_u32_e32 v4, 1, v2
	v_cmp_le_u32_e32 vcc_lo, s11, v1
	v_xor_b32_e32 v3, s23, v3
	v_cndmask_b32_e32 v1, v2, v4, vcc_lo
	v_xor_b32_e32 v1, v1, v3
	v_sub_nc_u32_e32 v1, v1, v3
	v_add_nc_u32_e32 v2, s19, v1
	v_cmp_lt_i32_e64 s1, s4, v1
	v_sub_nc_u32_e32 v3, 0, v2
	v_max_i32_e32 v3, v2, v3
	v_ashrrev_i32_e32 v2, 31, v2
	v_mul_hi_u32 v4, v3, v40
	v_mul_lo_u32 v4, v4, s5
	v_sub_nc_u32_e32 v3, v3, v4
	v_subrev_nc_u32_e32 v4, s5, v3
	v_cmp_le_u32_e32 vcc_lo, s5, v3
	v_cndmask_b32_e32 v3, v3, v4, vcc_lo
	v_subrev_nc_u32_e32 v4, s5, v3
	v_cmp_le_u32_e32 vcc_lo, s5, v3
	v_cndmask_b32_e32 v3, v3, v4, vcc_lo
	v_xor_b32_e32 v3, v3, v2
	v_sub_nc_u32_e32 v2, v3, v2
	v_cmp_eq_u32_e32 vcc_lo, 0, v2
	s_or_b32 s1, vcc_lo, s1
	s_and_saveexec_b32 s12, s1
	s_cbranch_execz .LBB189_105
; %bb.107:                              ;   in Loop: Header=BB189_106 Depth=1
	global_load_dword v1, v[14:15], off
	s_load_dword s13, s[14:15], 0x0
	v_mov_b32_e32 v20, 0
	v_mov_b32_e32 v18, 0
	;; [unrolled: 1-line block ×4, first 2 shown]
	s_waitcnt vmcnt(0)
	v_mad_i64_i32 v[16:17], null, v1, s9, v[12:13]
	ds_read_b128 v[1:4], v39
	global_load_dword v41, v[16:17], off
	s_waitcnt vmcnt(0)
	v_cmp_ne_u16_sdwa s17, v41, v6 src0_sel:BYTE_0 src1_sel:DWORD
	s_and_saveexec_b32 s1, s17
	s_cbranch_execz .LBB189_115
; %bb.108:                              ;   in Loop: Header=BB189_106 Depth=1
	v_bfrev_b32_e32 v18, 1
	v_mov_b32_e32 v19, 0
	v_cmp_ne_u16_sdwa s18, v41, v34 src0_sel:BYTE_0 src1_sel:DWORD
	s_and_saveexec_b32 s17, s18
	s_cbranch_execz .LBB189_114
; %bb.109:                              ;   in Loop: Header=BB189_106 Depth=1
	v_mov_b32_e32 v18, 0x7f800001
	v_and_b32_e32 v10, 0x7f, v41
	v_mov_b32_e32 v19, 0
	s_mov_b32 s18, exec_lo
	v_cmpx_ne_u32_e32 0x7f, v10
	s_cbranch_execz .LBB189_113
; %bb.110:                              ;   in Loop: Header=BB189_106 Depth=1
	v_and_b32_e32 v5, 7, v41
	v_lshrrev_b32_e32 v7, 3, v10
	s_mov_b32 s21, exec_lo
	v_cmpx_gt_u32_e32 8, v10
; %bb.111:                              ;   in Loop: Header=BB189_106 Depth=1
	v_ffbh_u32_e32 v7, v5
	v_min_u32_e32 v7, 32, v7
	v_subrev_nc_u32_e32 v10, 28, v7
	v_sub_nc_u32_e32 v7, 29, v7
	v_lshlrev_b64 v[18:19], v10, v[5:6]
	v_and_b32_e32 v5, 7, v18
; %bb.112:                              ;   in Loop: Header=BB189_106 Depth=1
	s_or_b32 exec_lo, exec_lo, s21
	v_lshlrev_b32_e32 v10, 24, v41
	v_lshlrev_b32_e32 v5, 20, v5
	v_lshl_add_u32 v7, v7, 23, 0x3c000000
	v_and_b32_e32 v10, 0x80000000, v10
	v_or3_b32 v5, v5, v10, v7
	v_mov_b32_e32 v19, v6
	v_mov_b32_e32 v18, v5
.LBB189_113:                            ;   in Loop: Header=BB189_106 Depth=1
	s_or_b32 exec_lo, exec_lo, s18
.LBB189_114:                            ;   in Loop: Header=BB189_106 Depth=1
	s_or_b32 exec_lo, exec_lo, s17
.LBB189_115:                            ;   in Loop: Header=BB189_106 Depth=1
	s_or_b32 exec_lo, exec_lo, s1
	v_cmp_ne_u16_sdwa s17, v41, v6 src0_sel:BYTE_1 src1_sel:DWORD
	s_and_saveexec_b32 s1, s17
	s_cbranch_execz .LBB189_123
; %bb.116:                              ;   in Loop: Header=BB189_106 Depth=1
	v_mov_b32_e32 v7, v6
	v_mov_b32_e32 v21, v8
	v_cmp_ne_u16_sdwa s18, v41, v34 src0_sel:BYTE_1 src1_sel:DWORD
	v_mov_b32_e32 v20, v7
	s_and_saveexec_b32 s17, s18
	s_cbranch_execz .LBB189_122
; %bb.117:                              ;   in Loop: Header=BB189_106 Depth=1
	v_and_b32_sdwa v5, v35, v41 dst_sel:DWORD dst_unused:UNUSED_PAD src0_sel:DWORD src1_sel:BYTE_1
	v_mov_b32_e32 v10, v6
	v_mov_b32_e32 v21, v11
	s_mov_b32 s18, exec_lo
	v_and_b32_e32 v22, 0x7f, v5
	v_mov_b32_e32 v20, v10
	v_cmpx_ne_u32_e32 0x7f, v22
	s_cbranch_execz .LBB189_121
; %bb.118:                              ;   in Loop: Header=BB189_106 Depth=1
	v_and_b32_e32 v5, 7, v5
	v_lshrrev_b32_e32 v7, 3, v22
	s_mov_b32 s21, exec_lo
	v_cmpx_gt_u32_e32 8, v22
; %bb.119:                              ;   in Loop: Header=BB189_106 Depth=1
	v_ffbh_u32_e32 v7, v5
	v_min_u32_e32 v7, 32, v7
	v_subrev_nc_u32_e32 v10, 28, v7
	v_sub_nc_u32_e32 v7, 29, v7
	v_lshlrev_b64 v[20:21], v10, v[5:6]
	v_and_b32_e32 v5, 7, v20
; %bb.120:                              ;   in Loop: Header=BB189_106 Depth=1
	s_or_b32 exec_lo, exec_lo, s21
	v_lshlrev_b32_e32 v10, 16, v41
	v_lshlrev_b32_e32 v5, 20, v5
	v_lshl_add_u32 v7, v7, 23, 0x3c000000
	v_mov_b32_e32 v20, v6
	v_and_b32_e32 v10, 0x80000000, v10
	v_or3_b32 v21, v5, v10, v7
.LBB189_121:                            ;   in Loop: Header=BB189_106 Depth=1
	s_or_b32 exec_lo, exec_lo, s18
.LBB189_122:                            ;   in Loop: Header=BB189_106 Depth=1
	s_or_b32 exec_lo, exec_lo, s17
.LBB189_123:                            ;   in Loop: Header=BB189_106 Depth=1
	s_or_b32 exec_lo, exec_lo, s1
	v_mov_b32_e32 v24, 0
	v_mov_b32_e32 v22, 0
	v_and_b32_sdwa v5, v41, v36 dst_sel:DWORD dst_unused:UNUSED_PAD src0_sel:WORD_1 src1_sel:DWORD
	v_mov_b32_e32 v25, 0
	v_mov_b32_e32 v23, 0
	s_mov_b32 s1, exec_lo
	v_cmpx_ne_u16_e32 0, v5
	s_cbranch_execz .LBB189_131
; %bb.124:                              ;   in Loop: Header=BB189_106 Depth=1
	v_bfrev_b32_e32 v22, 1
	v_mov_b32_e32 v23, 0
	s_mov_b32 s17, exec_lo
	v_cmpx_ne_u16_e32 0x80, v5
	s_cbranch_execz .LBB189_130
; %bb.125:                              ;   in Loop: Header=BB189_106 Depth=1
	v_mov_b32_e32 v22, 0x7f800001
	v_bfe_u32 v10, v41, 16, 7
	v_mov_b32_e32 v23, 0
	s_mov_b32 s18, exec_lo
	v_cmpx_ne_u32_e32 0x7f, v10
	s_cbranch_execz .LBB189_129
; %bb.126:                              ;   in Loop: Header=BB189_106 Depth=1
	v_and_b32_sdwa v5, v41, v37 dst_sel:DWORD dst_unused:UNUSED_PAD src0_sel:WORD_1 src1_sel:DWORD
	v_lshrrev_b32_e32 v7, 3, v10
	s_mov_b32 s21, exec_lo
	v_cmpx_gt_u32_e32 8, v10
; %bb.127:                              ;   in Loop: Header=BB189_106 Depth=1
	v_ffbh_u32_e32 v7, v5
	v_min_u32_e32 v7, 32, v7
	v_subrev_nc_u32_e32 v10, 28, v7
	v_sub_nc_u32_e32 v7, 29, v7
	v_lshlrev_b64 v[22:23], v10, v[5:6]
	v_and_b32_e32 v5, 7, v22
; %bb.128:                              ;   in Loop: Header=BB189_106 Depth=1
	s_or_b32 exec_lo, exec_lo, s21
	v_lshlrev_b32_sdwa v10, v38, v41 dst_sel:DWORD dst_unused:UNUSED_PAD src0_sel:DWORD src1_sel:WORD_1
	v_lshlrev_b32_e32 v5, 20, v5
	v_lshl_add_u32 v7, v7, 23, 0x3c000000
	v_and_b32_e32 v10, 0x80000000, v10
	v_or3_b32 v5, v5, v10, v7
	v_mov_b32_e32 v23, v6
	v_mov_b32_e32 v22, v5
.LBB189_129:                            ;   in Loop: Header=BB189_106 Depth=1
	s_or_b32 exec_lo, exec_lo, s18
.LBB189_130:                            ;   in Loop: Header=BB189_106 Depth=1
	s_or_b32 exec_lo, exec_lo, s17
.LBB189_131:                            ;   in Loop: Header=BB189_106 Depth=1
	s_or_b32 exec_lo, exec_lo, s1
	s_mov_b32 s1, exec_lo
	v_cmpx_lt_u32_e32 0xffffff, v41
	s_cbranch_execz .LBB189_139
; %bb.132:                              ;   in Loop: Header=BB189_106 Depth=1
	v_mov_b32_e32 v7, v6
	v_mov_b32_e32 v25, v8
	v_cmp_ne_u32_sdwa s18, v41, v34 src0_sel:BYTE_3 src1_sel:DWORD
	v_mov_b32_e32 v24, v7
	s_and_saveexec_b32 s17, s18
	s_cbranch_execz .LBB189_138
; %bb.133:                              ;   in Loop: Header=BB189_106 Depth=1
	v_mov_b32_e32 v10, v6
	v_mov_b32_e32 v25, v11
	v_bfe_u32 v42, v41, 24, 7
	s_mov_b32 s18, exec_lo
	v_mov_b32_e32 v24, v10
	v_cmpx_ne_u32_e32 0x7f, v42
	s_cbranch_execz .LBB189_137
; %bb.134:                              ;   in Loop: Header=BB189_106 Depth=1
	v_and_b32_sdwa v5, v41, v37 dst_sel:DWORD dst_unused:UNUSED_PAD src0_sel:BYTE_3 src1_sel:DWORD
	v_lshrrev_b32_e32 v7, 3, v42
	s_mov_b32 s21, exec_lo
	v_cmpx_gt_u32_e32 8, v42
; %bb.135:                              ;   in Loop: Header=BB189_106 Depth=1
	v_ffbh_u32_e32 v7, v5
	v_min_u32_e32 v7, 32, v7
	v_subrev_nc_u32_e32 v10, 28, v7
	v_sub_nc_u32_e32 v7, 29, v7
	v_lshlrev_b64 v[24:25], v10, v[5:6]
	v_and_b32_e32 v5, 7, v24
; %bb.136:                              ;   in Loop: Header=BB189_106 Depth=1
	s_or_b32 exec_lo, exec_lo, s21
	v_lshlrev_b32_sdwa v10, v38, v41 dst_sel:DWORD dst_unused:UNUSED_PAD src0_sel:DWORD src1_sel:BYTE_3
	v_lshlrev_b32_e32 v5, 20, v5
	v_lshl_add_u32 v7, v7, 23, 0x3c000000
	v_mov_b32_e32 v24, v6
	v_and_b32_e32 v10, 0x80000000, v10
	v_or3_b32 v25, v5, v10, v7
.LBB189_137:                            ;   in Loop: Header=BB189_106 Depth=1
	s_or_b32 exec_lo, exec_lo, s18
.LBB189_138:                            ;   in Loop: Header=BB189_106 Depth=1
	s_or_b32 exec_lo, exec_lo, s17
.LBB189_139:                            ;   in Loop: Header=BB189_106 Depth=1
	s_or_b32 exec_lo, exec_lo, s1
	v_add_nc_u32_e32 v43, v31, v27
	v_or_b32_e32 v5, v21, v19
	v_or_b32_e32 v7, v20, v18
	v_or_b32_e32 v10, v24, v22
	v_or_b32_e32 v18, v25, v23
	v_cmp_eq_u32_e32 vcc_lo, s40, v9
	s_waitcnt lgkmcnt(0)
	v_mul_f32_e32 v41, s13, v5
	v_mul_f32_e32 v42, s13, v7
	;; [unrolled: 1-line block ×4, first 2 shown]
	v_add_nc_u32_e32 v46, 1, v43
	v_add_nc_u32_e32 v45, 2, v43
	;; [unrolled: 1-line block ×3, first 2 shown]
	s_and_saveexec_b32 s17, vcc_lo
	s_cbranch_execz .LBB189_141
; %bb.140:                              ;   in Loop: Header=BB189_106 Depth=1
	v_cmp_gt_i32_e64 s1, s31, v43
	v_cndmask_b32_e64 v42, 0, v42, s1
	v_cmp_gt_i32_e64 s1, s31, v46
	v_cndmask_b32_e64 v41, 0, v41, s1
	;; [unrolled: 2-line block ×4, first 2 shown]
.LBB189_141:                            ;   in Loop: Header=BB189_106 Depth=1
	s_or_b32 exec_lo, exec_lo, s17
	global_load_dword v47, v[16:17], off offset:128
	v_mov_b32_e32 v18, 0
	v_mov_b32_e32 v16, 0
	;; [unrolled: 1-line block ×4, first 2 shown]
	s_waitcnt vmcnt(0)
	v_cmp_ne_u16_sdwa s1, v47, v6 src0_sel:BYTE_0 src1_sel:DWORD
	s_and_saveexec_b32 s17, s1
	s_cbranch_execz .LBB189_149
; %bb.142:                              ;   in Loop: Header=BB189_106 Depth=1
	v_bfrev_b32_e32 v16, 1
	v_mov_b32_e32 v17, 0
	v_cmp_ne_u16_sdwa s1, v47, v34 src0_sel:BYTE_0 src1_sel:DWORD
	s_and_saveexec_b32 s18, s1
	s_cbranch_execz .LBB189_148
; %bb.143:                              ;   in Loop: Header=BB189_106 Depth=1
	v_mov_b32_e32 v16, 0x7f800001
	v_and_b32_e32 v10, 0x7f, v47
	v_mov_b32_e32 v17, 0
	s_mov_b32 s21, exec_lo
	v_cmpx_ne_u32_e32 0x7f, v10
	s_cbranch_execz .LBB189_147
; %bb.144:                              ;   in Loop: Header=BB189_106 Depth=1
	v_and_b32_e32 v5, 7, v47
	v_lshrrev_b32_e32 v7, 3, v10
	s_mov_b32 s22, exec_lo
	v_cmpx_gt_u32_e32 8, v10
; %bb.145:                              ;   in Loop: Header=BB189_106 Depth=1
	v_ffbh_u32_e32 v7, v5
	v_min_u32_e32 v7, 32, v7
	v_subrev_nc_u32_e32 v10, 28, v7
	v_sub_nc_u32_e32 v7, 29, v7
	v_lshlrev_b64 v[16:17], v10, v[5:6]
	v_and_b32_e32 v5, 7, v16
; %bb.146:                              ;   in Loop: Header=BB189_106 Depth=1
	s_or_b32 exec_lo, exec_lo, s22
	v_lshlrev_b32_e32 v10, 24, v47
	v_lshlrev_b32_e32 v5, 20, v5
	v_lshl_add_u32 v7, v7, 23, 0x3c000000
	v_and_b32_e32 v10, 0x80000000, v10
	v_or3_b32 v5, v5, v10, v7
	v_mov_b32_e32 v17, v6
	v_mov_b32_e32 v16, v5
.LBB189_147:                            ;   in Loop: Header=BB189_106 Depth=1
	s_or_b32 exec_lo, exec_lo, s21
.LBB189_148:                            ;   in Loop: Header=BB189_106 Depth=1
	s_or_b32 exec_lo, exec_lo, s18
.LBB189_149:                            ;   in Loop: Header=BB189_106 Depth=1
	s_or_b32 exec_lo, exec_lo, s17
	v_cmp_ne_u16_sdwa s1, v47, v6 src0_sel:BYTE_1 src1_sel:DWORD
	s_and_saveexec_b32 s17, s1
	s_cbranch_execz .LBB189_157
; %bb.150:                              ;   in Loop: Header=BB189_106 Depth=1
	v_mov_b32_e32 v7, v6
	v_mov_b32_e32 v19, v8
	v_cmp_ne_u16_sdwa s1, v47, v34 src0_sel:BYTE_1 src1_sel:DWORD
	v_mov_b32_e32 v18, v7
	s_and_saveexec_b32 s18, s1
	s_cbranch_execz .LBB189_156
; %bb.151:                              ;   in Loop: Header=BB189_106 Depth=1
	v_and_b32_sdwa v5, v35, v47 dst_sel:DWORD dst_unused:UNUSED_PAD src0_sel:DWORD src1_sel:BYTE_1
	v_mov_b32_e32 v10, v6
	v_mov_b32_e32 v19, v11
	s_mov_b32 s21, exec_lo
	v_and_b32_e32 v20, 0x7f, v5
	v_mov_b32_e32 v18, v10
	v_cmpx_ne_u32_e32 0x7f, v20
	s_cbranch_execz .LBB189_155
; %bb.152:                              ;   in Loop: Header=BB189_106 Depth=1
	v_and_b32_e32 v5, 7, v5
	v_lshrrev_b32_e32 v7, 3, v20
	s_mov_b32 s22, exec_lo
	v_cmpx_gt_u32_e32 8, v20
; %bb.153:                              ;   in Loop: Header=BB189_106 Depth=1
	v_ffbh_u32_e32 v7, v5
	v_min_u32_e32 v7, 32, v7
	v_subrev_nc_u32_e32 v10, 28, v7
	v_sub_nc_u32_e32 v7, 29, v7
	v_lshlrev_b64 v[18:19], v10, v[5:6]
	v_and_b32_e32 v5, 7, v18
; %bb.154:                              ;   in Loop: Header=BB189_106 Depth=1
	s_or_b32 exec_lo, exec_lo, s22
	v_lshlrev_b32_e32 v10, 16, v47
	v_lshlrev_b32_e32 v5, 20, v5
	v_lshl_add_u32 v7, v7, 23, 0x3c000000
	v_mov_b32_e32 v18, v6
	v_and_b32_e32 v10, 0x80000000, v10
	v_or3_b32 v19, v5, v10, v7
.LBB189_155:                            ;   in Loop: Header=BB189_106 Depth=1
	s_or_b32 exec_lo, exec_lo, s21
.LBB189_156:                            ;   in Loop: Header=BB189_106 Depth=1
	s_or_b32 exec_lo, exec_lo, s18
.LBB189_157:                            ;   in Loop: Header=BB189_106 Depth=1
	s_or_b32 exec_lo, exec_lo, s17
	v_mov_b32_e32 v22, 0
	v_mov_b32_e32 v20, 0
	v_and_b32_sdwa v5, v47, v36 dst_sel:DWORD dst_unused:UNUSED_PAD src0_sel:WORD_1 src1_sel:DWORD
	v_mov_b32_e32 v23, 0
	v_mov_b32_e32 v21, 0
	s_mov_b32 s17, exec_lo
	v_cmpx_ne_u16_e32 0, v5
	s_cbranch_execz .LBB189_165
; %bb.158:                              ;   in Loop: Header=BB189_106 Depth=1
	v_bfrev_b32_e32 v20, 1
	v_mov_b32_e32 v21, 0
	s_mov_b32 s18, exec_lo
	v_cmpx_ne_u16_e32 0x80, v5
	s_cbranch_execz .LBB189_164
; %bb.159:                              ;   in Loop: Header=BB189_106 Depth=1
	v_mov_b32_e32 v20, 0x7f800001
	v_bfe_u32 v10, v47, 16, 7
	v_mov_b32_e32 v21, 0
	s_mov_b32 s21, exec_lo
	v_cmpx_ne_u32_e32 0x7f, v10
	s_cbranch_execz .LBB189_163
; %bb.160:                              ;   in Loop: Header=BB189_106 Depth=1
	v_and_b32_sdwa v5, v47, v37 dst_sel:DWORD dst_unused:UNUSED_PAD src0_sel:WORD_1 src1_sel:DWORD
	v_lshrrev_b32_e32 v7, 3, v10
	s_mov_b32 s22, exec_lo
	v_cmpx_gt_u32_e32 8, v10
; %bb.161:                              ;   in Loop: Header=BB189_106 Depth=1
	v_ffbh_u32_e32 v7, v5
	v_min_u32_e32 v7, 32, v7
	v_subrev_nc_u32_e32 v10, 28, v7
	v_sub_nc_u32_e32 v7, 29, v7
	v_lshlrev_b64 v[20:21], v10, v[5:6]
	v_and_b32_e32 v5, 7, v20
; %bb.162:                              ;   in Loop: Header=BB189_106 Depth=1
	s_or_b32 exec_lo, exec_lo, s22
	v_lshlrev_b32_sdwa v10, v38, v47 dst_sel:DWORD dst_unused:UNUSED_PAD src0_sel:DWORD src1_sel:WORD_1
	v_lshlrev_b32_e32 v5, 20, v5
	v_lshl_add_u32 v7, v7, 23, 0x3c000000
	v_and_b32_e32 v10, 0x80000000, v10
	v_or3_b32 v5, v5, v10, v7
	v_mov_b32_e32 v21, v6
	v_mov_b32_e32 v20, v5
.LBB189_163:                            ;   in Loop: Header=BB189_106 Depth=1
	s_or_b32 exec_lo, exec_lo, s21
.LBB189_164:                            ;   in Loop: Header=BB189_106 Depth=1
	s_or_b32 exec_lo, exec_lo, s18
.LBB189_165:                            ;   in Loop: Header=BB189_106 Depth=1
	s_or_b32 exec_lo, exec_lo, s17
	s_mov_b32 s17, exec_lo
	v_cmpx_lt_u32_e32 0xffffff, v47
	s_cbranch_execz .LBB189_173
; %bb.166:                              ;   in Loop: Header=BB189_106 Depth=1
	v_mov_b32_e32 v7, v6
	v_mov_b32_e32 v23, v8
	v_cmp_ne_u32_sdwa s1, v47, v34 src0_sel:BYTE_3 src1_sel:DWORD
	v_mov_b32_e32 v22, v7
	s_and_saveexec_b32 s18, s1
	s_cbranch_execz .LBB189_172
; %bb.167:                              ;   in Loop: Header=BB189_106 Depth=1
	v_mov_b32_e32 v10, v6
	v_mov_b32_e32 v23, v11
	v_bfe_u32 v48, v47, 24, 7
	s_mov_b32 s21, exec_lo
	v_mov_b32_e32 v22, v10
	v_cmpx_ne_u32_e32 0x7f, v48
	s_cbranch_execz .LBB189_171
; %bb.168:                              ;   in Loop: Header=BB189_106 Depth=1
	v_and_b32_sdwa v5, v47, v37 dst_sel:DWORD dst_unused:UNUSED_PAD src0_sel:BYTE_3 src1_sel:DWORD
	v_lshrrev_b32_e32 v7, 3, v48
	s_mov_b32 s22, exec_lo
	v_cmpx_gt_u32_e32 8, v48
; %bb.169:                              ;   in Loop: Header=BB189_106 Depth=1
	v_ffbh_u32_e32 v7, v5
	v_min_u32_e32 v7, 32, v7
	v_subrev_nc_u32_e32 v10, 28, v7
	v_sub_nc_u32_e32 v7, 29, v7
	v_lshlrev_b64 v[22:23], v10, v[5:6]
	v_and_b32_e32 v5, 7, v22
; %bb.170:                              ;   in Loop: Header=BB189_106 Depth=1
	s_or_b32 exec_lo, exec_lo, s22
	v_lshlrev_b32_sdwa v10, v38, v47 dst_sel:DWORD dst_unused:UNUSED_PAD src0_sel:DWORD src1_sel:BYTE_3
	v_lshlrev_b32_e32 v5, 20, v5
	v_lshl_add_u32 v7, v7, 23, 0x3c000000
	v_mov_b32_e32 v22, v6
	v_and_b32_e32 v10, 0x80000000, v10
	v_or3_b32 v23, v5, v10, v7
.LBB189_171:                            ;   in Loop: Header=BB189_106 Depth=1
	s_or_b32 exec_lo, exec_lo, s21
.LBB189_172:                            ;   in Loop: Header=BB189_106 Depth=1
	s_or_b32 exec_lo, exec_lo, s18
.LBB189_173:                            ;   in Loop: Header=BB189_106 Depth=1
	s_or_b32 exec_lo, exec_lo, s17
	v_or_b32_e32 v5, v19, v17
	v_or_b32_e32 v7, v18, v16
	;; [unrolled: 1-line block ×4, first 2 shown]
	s_mov_b32 s1, s13
	v_mul_f32_e32 v10, s1, v5
	v_mul_f32_e32 v16, s13, v7
	;; [unrolled: 1-line block ×4, first 2 shown]
	s_and_saveexec_b32 s1, vcc_lo
	s_cbranch_execz .LBB189_104
; %bb.174:                              ;   in Loop: Header=BB189_106 Depth=1
	v_cmp_gt_i32_e32 vcc_lo, s31, v43
	v_cndmask_b32_e32 v16, 0, v16, vcc_lo
	v_cmp_gt_i32_e32 vcc_lo, s31, v46
	v_cndmask_b32_e32 v10, 0, v10, vcc_lo
	;; [unrolled: 2-line block ×4, first 2 shown]
	s_branch .LBB189_104
.LBB189_175:
	s_or_b32 exec_lo, exec_lo, s6
.LBB189_176:
	s_or_b32 exec_lo, exec_lo, s3
	ds_bpermute_b32 v1, v29, v33
	ds_bpermute_b32 v2, v29, v32
	v_lshrrev_b32_e32 v3, 1, v28
	v_and_b32_e32 v5, 0x3c1, v0
	s_mov_b32 s1, exec_lo
	s_waitcnt lgkmcnt(0)
	s_waitcnt_vscnt null, 0x0
	s_barrier
	v_lshl_add_u32 v4, v3, 2, 0xa0
	buffer_gl0_inv
	v_add_f32_e32 v1, v33, v1
	v_add_f32_e32 v2, v32, v2
	v_cmpx_eq_u32_e32 64, v5
	s_cbranch_execz .LBB189_178
; %bb.177:
	v_lshl_add_u32 v5, v26, 7, v4
	v_add_nc_u32_e32 v6, 0xffffff00, v5
	v_add_nc_u32_e32 v5, 0xffffff40, v5
	ds_write_b32 v6, v1
	ds_write_b32 v5, v2
.LBB189_178:
	s_or_b32 exec_lo, exec_lo, s1
	v_and_b32_e32 v5, 0x3e0, v0
	v_lshlrev_b32_e32 v3, 2, v3
	s_mov_b32 s3, exec_lo
	v_cmp_eq_u32_e32 vcc_lo, 0, v30
	s_waitcnt lgkmcnt(0)
	v_lshlrev_b32_e32 v5, 2, v5
	s_barrier
	buffer_gl0_inv
	v_add3_u32 v3, 0xa0, v5, v3
	v_cmpx_gt_u32_e32 64, v0
	s_cbranch_execz .LBB189_184
; %bb.179:
	s_and_saveexec_b32 s1, vcc_lo
	s_cbranch_execz .LBB189_181
; %bb.180:
	ds_read_b32 v5, v3
	s_waitcnt lgkmcnt(0)
	v_add_f32_e32 v1, v1, v5
.LBB189_181:
	s_or_b32 exec_lo, exec_lo, s1
	s_and_saveexec_b32 s1, vcc_lo
	s_cbranch_execz .LBB189_183
; %bb.182:
	ds_read_b32 v5, v3 offset:64
	s_waitcnt lgkmcnt(0)
	v_add_f32_e32 v2, v2, v5
.LBB189_183:
	s_or_b32 exec_lo, exec_lo, s1
.LBB189_184:
	s_or_b32 exec_lo, exec_lo, s3
	v_and_b32_e32 v5, 0x3e1, v0
	s_mov_b32 s3, exec_lo
	s_barrier
	buffer_gl0_inv
	v_cmpx_eq_u32_e32 32, v5
; %bb.185:
	ds_write2_b32 v4, v1, v2 offset1:16
; %bb.186:
	s_or_b32 exec_lo, exec_lo, s3
	s_waitcnt lgkmcnt(0)
	s_barrier
	buffer_gl0_inv
	s_and_saveexec_b32 s1, s0
	s_cbranch_execz .LBB189_192
; %bb.187:
	s_and_saveexec_b32 s0, vcc_lo
	s_cbranch_execz .LBB189_189
; %bb.188:
	ds_read_b32 v4, v3
	s_waitcnt lgkmcnt(0)
	v_add_f32_e32 v1, v1, v4
.LBB189_189:
	s_or_b32 exec_lo, exec_lo, s0
	s_and_saveexec_b32 s0, vcc_lo
	s_cbranch_execz .LBB189_191
; %bb.190:
	ds_read_b32 v3, v3 offset:64
	s_waitcnt lgkmcnt(0)
	v_add_f32_e32 v2, v2, v3
.LBB189_191:
	s_or_b32 exec_lo, exec_lo, s0
.LBB189_192:
	s_or_b32 exec_lo, exec_lo, s1
	s_barrier
	buffer_gl0_inv
	s_mov_b32 s0, exec_lo
	v_cmpx_eq_u32_e32 0, v5
	s_cbranch_execz .LBB189_194
; %bb.193:
	s_lshl_b32 s0, s2, 5
	s_mul_i32 s2, s7, s10
	s_ashr_i32 s1, s0, 31
	v_lshlrev_b32_e32 v0, 1, v0
	s_lshl_b64 s[0:1], s[0:1], 2
	s_add_u32 s4, s28, s0
	s_addc_u32 s5, s29, s1
	s_ashr_i32 s3, s2, 31
	s_lshl_b64 s[0:1], s[2:3], 2
	s_add_u32 s2, s4, s0
	s_addc_u32 s3, s5, s1
	s_lshl_b32 s0, s8, 5
	s_ashr_i32 s1, s0, 31
	s_lshl_b64 s[0:1], s[0:1], 2
	s_add_u32 s0, s2, s0
	s_addc_u32 s1, s3, s1
	global_store_dword v0, v1, s[0:1]
	global_store_dword v0, v2, s[0:1] offset:64
.LBB189_194:
	s_endpgm
	.section	.rodata,"a",@progbits
	.p2align	6, 0x0
	.amdhsa_kernel _ZN4vllm25paged_attention_v2_kernelIfhLi32ELi8ELi128ELNS_18Fp8KVCacheDataTypeE1ELb1ELi512EEEvPfS2_PT_PKS3_PKT0_S9_ifPKiSB_iPKfiiiSD_SD_iiiii
		.amdhsa_group_segment_fixed_size 160
		.amdhsa_private_segment_fixed_size 0
		.amdhsa_kernarg_size 400
		.amdhsa_user_sgpr_count 6
		.amdhsa_user_sgpr_private_segment_buffer 1
		.amdhsa_user_sgpr_dispatch_ptr 0
		.amdhsa_user_sgpr_queue_ptr 0
		.amdhsa_user_sgpr_kernarg_segment_ptr 1
		.amdhsa_user_sgpr_dispatch_id 0
		.amdhsa_user_sgpr_flat_scratch_init 0
		.amdhsa_user_sgpr_private_segment_size 0
		.amdhsa_wavefront_size32 1
		.amdhsa_uses_dynamic_stack 0
		.amdhsa_system_sgpr_private_segment_wavefront_offset 0
		.amdhsa_system_sgpr_workgroup_id_x 1
		.amdhsa_system_sgpr_workgroup_id_y 1
		.amdhsa_system_sgpr_workgroup_id_z 1
		.amdhsa_system_sgpr_workgroup_info 0
		.amdhsa_system_vgpr_workitem_id 0
		.amdhsa_next_free_vgpr 49
		.amdhsa_next_free_sgpr 54
		.amdhsa_reserve_vcc 1
		.amdhsa_reserve_flat_scratch 0
		.amdhsa_float_round_mode_32 0
		.amdhsa_float_round_mode_16_64 0
		.amdhsa_float_denorm_mode_32 3
		.amdhsa_float_denorm_mode_16_64 3
		.amdhsa_dx10_clamp 1
		.amdhsa_ieee_mode 1
		.amdhsa_fp16_overflow 0
		.amdhsa_workgroup_processor_mode 1
		.amdhsa_memory_ordered 1
		.amdhsa_forward_progress 1
		.amdhsa_shared_vgpr_count 0
		.amdhsa_exception_fp_ieee_invalid_op 0
		.amdhsa_exception_fp_denorm_src 0
		.amdhsa_exception_fp_ieee_div_zero 0
		.amdhsa_exception_fp_ieee_overflow 0
		.amdhsa_exception_fp_ieee_underflow 0
		.amdhsa_exception_fp_ieee_inexact 0
		.amdhsa_exception_int_div_zero 0
	.end_amdhsa_kernel
	.section	.text._ZN4vllm25paged_attention_v2_kernelIfhLi32ELi8ELi128ELNS_18Fp8KVCacheDataTypeE1ELb1ELi512EEEvPfS2_PT_PKS3_PKT0_S9_ifPKiSB_iPKfiiiSD_SD_iiiii,"axG",@progbits,_ZN4vllm25paged_attention_v2_kernelIfhLi32ELi8ELi128ELNS_18Fp8KVCacheDataTypeE1ELb1ELi512EEEvPfS2_PT_PKS3_PKT0_S9_ifPKiSB_iPKfiiiSD_SD_iiiii,comdat
.Lfunc_end189:
	.size	_ZN4vllm25paged_attention_v2_kernelIfhLi32ELi8ELi128ELNS_18Fp8KVCacheDataTypeE1ELb1ELi512EEEvPfS2_PT_PKS3_PKT0_S9_ifPKiSB_iPKfiiiSD_SD_iiiii, .Lfunc_end189-_ZN4vllm25paged_attention_v2_kernelIfhLi32ELi8ELi128ELNS_18Fp8KVCacheDataTypeE1ELb1ELi512EEEvPfS2_PT_PKS3_PKT0_S9_ifPKiSB_iPKfiiiSD_SD_iiiii
                                        ; -- End function
	.set _ZN4vllm25paged_attention_v2_kernelIfhLi32ELi8ELi128ELNS_18Fp8KVCacheDataTypeE1ELb1ELi512EEEvPfS2_PT_PKS3_PKT0_S9_ifPKiSB_iPKfiiiSD_SD_iiiii.num_vgpr, 49
	.set _ZN4vllm25paged_attention_v2_kernelIfhLi32ELi8ELi128ELNS_18Fp8KVCacheDataTypeE1ELb1ELi512EEEvPfS2_PT_PKS3_PKT0_S9_ifPKiSB_iPKfiiiSD_SD_iiiii.num_agpr, 0
	.set _ZN4vllm25paged_attention_v2_kernelIfhLi32ELi8ELi128ELNS_18Fp8KVCacheDataTypeE1ELb1ELi512EEEvPfS2_PT_PKS3_PKT0_S9_ifPKiSB_iPKfiiiSD_SD_iiiii.numbered_sgpr, 54
	.set _ZN4vllm25paged_attention_v2_kernelIfhLi32ELi8ELi128ELNS_18Fp8KVCacheDataTypeE1ELb1ELi512EEEvPfS2_PT_PKS3_PKT0_S9_ifPKiSB_iPKfiiiSD_SD_iiiii.num_named_barrier, 0
	.set _ZN4vllm25paged_attention_v2_kernelIfhLi32ELi8ELi128ELNS_18Fp8KVCacheDataTypeE1ELb1ELi512EEEvPfS2_PT_PKS3_PKT0_S9_ifPKiSB_iPKfiiiSD_SD_iiiii.private_seg_size, 0
	.set _ZN4vllm25paged_attention_v2_kernelIfhLi32ELi8ELi128ELNS_18Fp8KVCacheDataTypeE1ELb1ELi512EEEvPfS2_PT_PKS3_PKT0_S9_ifPKiSB_iPKfiiiSD_SD_iiiii.uses_vcc, 1
	.set _ZN4vllm25paged_attention_v2_kernelIfhLi32ELi8ELi128ELNS_18Fp8KVCacheDataTypeE1ELb1ELi512EEEvPfS2_PT_PKS3_PKT0_S9_ifPKiSB_iPKfiiiSD_SD_iiiii.uses_flat_scratch, 0
	.set _ZN4vllm25paged_attention_v2_kernelIfhLi32ELi8ELi128ELNS_18Fp8KVCacheDataTypeE1ELb1ELi512EEEvPfS2_PT_PKS3_PKT0_S9_ifPKiSB_iPKfiiiSD_SD_iiiii.has_dyn_sized_stack, 0
	.set _ZN4vllm25paged_attention_v2_kernelIfhLi32ELi8ELi128ELNS_18Fp8KVCacheDataTypeE1ELb1ELi512EEEvPfS2_PT_PKS3_PKT0_S9_ifPKiSB_iPKfiiiSD_SD_iiiii.has_recursion, 0
	.set _ZN4vllm25paged_attention_v2_kernelIfhLi32ELi8ELi128ELNS_18Fp8KVCacheDataTypeE1ELb1ELi512EEEvPfS2_PT_PKS3_PKT0_S9_ifPKiSB_iPKfiiiSD_SD_iiiii.has_indirect_call, 0
	.section	.AMDGPU.csdata,"",@progbits
; Kernel info:
; codeLenInByte = 6896
; TotalNumSgprs: 56
; NumVgprs: 49
; ScratchSize: 0
; MemoryBound: 0
; FloatMode: 240
; IeeeMode: 1
; LDSByteSize: 160 bytes/workgroup (compile time only)
; SGPRBlocks: 0
; VGPRBlocks: 6
; NumSGPRsForWavesPerEU: 56
; NumVGPRsForWavesPerEU: 49
; Occupancy: 16
; WaveLimiterHint : 1
; COMPUTE_PGM_RSRC2:SCRATCH_EN: 0
; COMPUTE_PGM_RSRC2:USER_SGPR: 6
; COMPUTE_PGM_RSRC2:TRAP_HANDLER: 0
; COMPUTE_PGM_RSRC2:TGID_X_EN: 1
; COMPUTE_PGM_RSRC2:TGID_Y_EN: 1
; COMPUTE_PGM_RSRC2:TGID_Z_EN: 1
; COMPUTE_PGM_RSRC2:TIDIG_COMP_CNT: 0
	.section	.text._ZN4vllm25paged_attention_v2_kernelIfhLi64ELi8ELi128ELNS_18Fp8KVCacheDataTypeE1ELb1ELi512EEEvPfS2_PT_PKS3_PKT0_S9_ifPKiSB_iPKfiiiSD_SD_iiiii,"axG",@progbits,_ZN4vllm25paged_attention_v2_kernelIfhLi64ELi8ELi128ELNS_18Fp8KVCacheDataTypeE1ELb1ELi512EEEvPfS2_PT_PKS3_PKT0_S9_ifPKiSB_iPKfiiiSD_SD_iiiii,comdat
	.protected	_ZN4vllm25paged_attention_v2_kernelIfhLi64ELi8ELi128ELNS_18Fp8KVCacheDataTypeE1ELb1ELi512EEEvPfS2_PT_PKS3_PKT0_S9_ifPKiSB_iPKfiiiSD_SD_iiiii ; -- Begin function _ZN4vllm25paged_attention_v2_kernelIfhLi64ELi8ELi128ELNS_18Fp8KVCacheDataTypeE1ELb1ELi512EEEvPfS2_PT_PKS3_PKT0_S9_ifPKiSB_iPKfiiiSD_SD_iiiii
	.globl	_ZN4vllm25paged_attention_v2_kernelIfhLi64ELi8ELi128ELNS_18Fp8KVCacheDataTypeE1ELb1ELi512EEEvPfS2_PT_PKS3_PKT0_S9_ifPKiSB_iPKfiiiSD_SD_iiiii
	.p2align	8
	.type	_ZN4vllm25paged_attention_v2_kernelIfhLi64ELi8ELi128ELNS_18Fp8KVCacheDataTypeE1ELb1ELi512EEEvPfS2_PT_PKS3_PKT0_S9_ifPKiSB_iPKfiiiSD_SD_iiiii,@function
_ZN4vllm25paged_attention_v2_kernelIfhLi64ELi8ELi128ELNS_18Fp8KVCacheDataTypeE1ELb1ELi512EEEvPfS2_PT_PKS3_PKT0_S9_ifPKiSB_iPKfiiiSD_SD_iiiii: ; @_ZN4vllm25paged_attention_v2_kernelIfhLi64ELi8ELi128ELNS_18Fp8KVCacheDataTypeE1ELb1ELi512EEEvPfS2_PT_PKS3_PKT0_S9_ifPKiSB_iPKfiiiSD_SD_iiiii
; %bb.0:
	s_load_dwordx2 s[0:1], s[4:5], 0x40
	s_mov_b32 s30, s7
	s_ashr_i32 s31, s7, 31
	s_lshl_b64 s[2:3], s[30:31], 2
	s_waitcnt lgkmcnt(0)
	s_add_u32 s0, s0, s2
	s_addc_u32 s1, s1, s3
	s_lshl_b32 s42, s8, 9
	s_load_dword s31, s[0:1], 0x0
	s_waitcnt lgkmcnt(0)
	s_cmp_ge_i32 s42, s31
	s_cbranch_scc1 .LBB190_328
; %bb.1:
	s_clause 0x1
	s_load_dword s9, s[4:5], 0x90
	s_load_dwordx2 s[40:41], s[4:5], 0x30
	s_mov_b32 s44, 0
	s_waitcnt lgkmcnt(0)
	s_abs_i32 s3, s9
	s_abs_i32 s0, s40
	v_cvt_f32_u32_e32 v1, s0
	s_sub_i32 s2, 0, s0
	v_rcp_iflag_f32_e32 v1, v1
	v_mul_f32_e32 v1, 0x4f7ffffe, v1
	v_cvt_u32_f32_e32 v1, v1
	v_readfirstlane_b32 s1, v1
	s_mul_i32 s2, s2, s1
	s_mul_hi_u32 s2, s1, s2
	s_add_i32 s1, s1, s2
	s_xor_b32 s2, s9, s40
	s_mul_hi_u32 s1, s3, s1
	s_ashr_i32 s2, s2, 31
	s_mul_i32 s7, s1, s0
	s_sub_i32 s3, s3, s7
	s_add_i32 s7, s1, 1
	s_sub_i32 s10, s3, s0
	s_cmp_ge_u32 s3, s0
	s_cselect_b32 s1, s7, s1
	s_cselect_b32 s3, s10, s3
	s_add_i32 s7, s1, 1
	s_cmp_ge_u32 s3, s0
	s_cselect_b32 s0, s7, s1
	s_xor_b32 s0, s0, s2
	s_sub_i32 s10, s0, s2
	s_load_dwordx2 s[0:1], s[4:5], 0x50
	s_abs_i32 s2, s10
	v_cvt_f32_u32_e32 v1, s2
	s_sub_i32 s3, 0, s2
	v_rcp_iflag_f32_e32 v1, v1
	v_mul_f32_e32 v1, 0x4f7ffffe, v1
	v_cvt_u32_f32_e32 v1, v1
	v_readfirstlane_b32 s7, v1
	s_mul_i32 s3, s3, s7
	s_mul_hi_u32 s11, s7, s3
	s_abs_i32 s3, s6
	s_add_i32 s7, s7, s11
	s_waitcnt lgkmcnt(0)
	s_cmp_eq_u64 s[0:1], 0
	s_mul_hi_u32 s12, s3, s7
	s_cbranch_scc1 .LBB190_3
; %bb.2:
	s_ashr_i32 s7, s6, 31
	s_lshl_b64 s[14:15], s[6:7], 2
	s_add_u32 s0, s0, s14
	s_addc_u32 s1, s1, s15
	s_load_dword s44, s[0:1], 0x0
.LBB190_3:
	s_load_dwordx4 s[16:19], s[4:5], 0x58
	v_and_b32_e32 v1, 3, v0
	v_cmp_gt_u32_e64 s0, 64, v0
	v_lshlrev_b32_e32 v29, 2, v0
	s_ashr_i32 s1, s6, 31
	s_ashr_i32 s7, s10, 31
	s_lshl_b32 s10, s6, 6
	s_and_saveexec_b32 s13, s0
	s_cbranch_execz .LBB190_5
; %bb.4:
	s_load_dwordx2 s[14:15], s[4:5], 0x18
	s_waitcnt lgkmcnt(0)
	s_mul_i32 s20, s16, s30
	v_and_b32_e32 v3, 0x3fc, v0
	s_ashr_i32 s21, s20, 31
	s_lshl_b64 s[20:21], s[20:21], 2
	v_lshl_add_u32 v3, v1, 6, v3
	s_add_u32 s16, s14, s20
	s_addc_u32 s19, s15, s21
	s_ashr_i32 s11, s10, 31
	s_lshl_b64 s[14:15], s[10:11], 2
	s_add_u32 s14, s16, s14
	s_addc_u32 s15, s19, s15
	global_load_dword v2, v29, s[14:15]
	s_waitcnt vmcnt(0)
	ds_write_b32 v3, v2
.LBB190_5:
	s_or_b32 exec_lo, exec_lo, s13
	s_load_dwordx4 s[20:23], s[4:5], 0x78
	s_mul_i32 s11, s12, s2
	s_xor_b32 s1, s1, s7
	s_sub_i32 s3, s3, s11
	s_add_i32 s7, s12, 1
	s_sub_i32 s11, s3, s2
	s_cmp_ge_u32 s3, s2
	s_mov_b32 s13, -1
	s_cselect_b32 s7, s7, s12
	s_cselect_b32 s3, s11, s3
	s_add_i32 s11, s7, 1
	s_cmp_ge_u32 s3, s2
                                        ; implicit-def: $sgpr33
	s_cselect_b32 s2, s11, s7
	s_load_dword s7, s[4:5], 0x88
	s_xor_b32 s2, s2, s1
	s_add_i32 s12, s31, -1
	s_sub_i32 s2, s2, s1
	s_abs_i32 s3, s12
	s_waitcnt lgkmcnt(0)
	s_abs_i32 s11, s23
	s_barrier
	v_cvt_f32_u32_e32 v2, s11
	s_sub_i32 s1, 0, s11
	buffer_gl0_inv
	v_rcp_iflag_f32_e32 v2, v2
	v_mul_f32_e32 v2, 0x4f7ffffe, v2
	v_cvt_u32_f32_e32 v2, v2
	v_readfirstlane_b32 s19, v2
	s_mul_i32 s1, s1, s19
	s_mul_hi_u32 s1, s19, s1
	s_add_i32 s19, s19, s1
	s_cmp_lt_i32 s7, 0
	s_mul_hi_u32 s1, s3, s19
	s_cbranch_scc0 .LBB190_7
; %bb.6:
	s_mul_i32 s13, s20, s40
	s_add_i32 s13, s2, s13
	s_mul_i32 s13, s13, s7
	s_sub_i32 s33, 1, s13
	s_mov_b32 s13, 0
.LBB190_7:
	s_load_dwordx2 s[34:35], s[4:5], 0x38
	s_ashr_i32 s16, s12, 31
	s_andn2_b32 vcc_lo, exec_lo, s13
	s_ashr_i32 s23, s23, 31
	s_cbranch_vccnz .LBB190_9
; %bb.8:
	s_mul_i32 s12, s9, s20
	s_add_i32 s12, s12, s6
	s_mul_i32 s7, s12, s7
	s_add_i32 s33, s7, 1
.LBB190_9:
	s_clause 0x5
	s_load_dword s20, s[4:5], 0x48
	s_load_dwordx2 s[38:39], s[4:5], 0x28
	s_load_dwordx4 s[24:27], s[4:5], 0x0
	s_load_dwordx2 s[28:29], s[4:5], 0x10
	s_load_dword s7, s[4:5], 0x98
	s_load_dwordx4 s[12:15], s[4:5], 0x68
	s_xor_b32 s43, s16, s23
	s_mul_i32 s16, s1, s11
	s_add_i32 s40, s1, 1
	s_sub_i32 s3, s3, s16
	v_lshrrev_b32_e32 v27, 5, v0
	s_sub_i32 s16, s3, s11
	v_mov_b32_e32 v31, 0xff7fffff
	v_mbcnt_lo_u32_b32 v30, -1, 0
	s_mul_i32 s18, s2, s18
	v_lshl_add_u32 v28, v27, 3, s42
	s_waitcnt lgkmcnt(0)
	s_mul_i32 s36, s20, s30
	s_ashr_i32 s37, s36, 31
	s_cmp_ge_u32 s3, s11
	s_cselect_b32 s1, s40, s1
	s_cselect_b32 s3, s16, s3
	s_add_i32 s16, s1, 1
	s_cmp_ge_u32 s3, s11
	s_cselect_b32 s1, s16, s1
	s_add_i32 s3, s31, 7
	s_lshl_b32 s16, s8, 6
	s_ashr_i32 s20, s3, 31
	v_or_b32_e32 v17, s16, v27
	s_lshr_b32 s20, s20, 29
	s_add_i32 s3, s3, s20
	s_add_i32 s20, s16, 64
	s_ashr_i32 s40, s3, 3
	s_xor_b32 s3, s1, s43
	s_min_i32 s20, s20, s40
	v_ashrrev_i32_e32 v18, 31, v17
	v_cmp_gt_i32_e64 s1, s20, v17
	s_sub_i32 s43, s3, s43
	s_and_saveexec_b32 s45, s1
	s_cbranch_execz .LBB190_149
; %bb.10:
	s_load_dwordx2 s[2:3], s[4:5], 0x20
	s_sub_i32 s5, s43, s21
	s_ashr_i32 s4, s18, 31
	v_bfe_u32 v32, v0, 2, 3
	v_mov_b32_e32 v20, 0
	v_lshlrev_b32_e32 v33, 6, v1
	v_lshl_add_u32 v34, v27, 3, s42
	v_mov_b32_e32 v35, 0xff7fffff
	v_lshlrev_b32_e32 v5, 2, v32
	v_subrev_nc_u32_e32 v6, s31, v32
	v_lshlrev_b32_e32 v7, 4, v32
	v_mov_b32_e32 v36, 0x7f
	v_mov_b32_e32 v37, 7
	v_lshl_or_b32 v5, v27, 5, v5
	v_add_nc_u32_e32 v38, 1, v6
	v_mov_b32_e32 v31, 0xff7fffff
	v_mov_b32_e32 v41, v17
	v_cmp_eq_u32_e32 vcc_lo, 0, v1
	v_add_nc_u32_e32 v39, 0x120, v5
	s_waitcnt lgkmcnt(0)
	s_add_u32 s47, s2, s18
	s_addc_u32 s3, s3, s4
	s_abs_i32 s46, s22
	s_lshl_b64 s[48:49], s[36:37], 2
	v_cvt_f32_u32_e32 v2, s46
	s_sub_i32 s4, 0, s46
	v_cmp_neq_f32_e64 s2, s44, 0
	v_rcp_iflag_f32_e32 v4, v2
	v_lshlrev_b64 v[2:3], 2, v[17:18]
	v_mul_f32_e32 v4, 0x4f7ffffe, v4
	v_cvt_u32_f32_e32 v4, v4
	v_mul_lo_u32 v5, s4, v4
	v_add_co_u32 v6, s4, s47, v7
	v_add_co_ci_u32_e64 v7, null, s3, 0, s4
	s_add_u32 s3, s34, s48
	s_addc_u32 s4, s35, s49
	v_add_co_u32 v21, s3, s3, v2
	v_mul_hi_u32 v5, v4, v5
	v_add_co_ci_u32_e64 v22, null, s4, v3, s3
	v_add_co_u32 v23, s3, v6, v1
	v_add_co_ci_u32_e64 v24, null, 0, v7, s3
	s_mov_b32 s47, 0
	v_add_nc_u32_e32 v40, v4, v5
	s_mov_b32 s48, s17
	s_branch .LBB190_13
.LBB190_11:                             ;   in Loop: Header=BB190_13 Depth=1
	s_or_b32 exec_lo, exec_lo, s49
.LBB190_12:                             ;   in Loop: Header=BB190_13 Depth=1
	s_or_b32 exec_lo, exec_lo, s4
	v_add_nc_u32_e32 v41, 4, v41
	v_add_co_u32 v21, s4, v21, 16
	v_add_co_ci_u32_e64 v22, null, 0, v22, s4
	v_cmp_le_i32_e64 s3, s20, v41
	v_add_nc_u32_e32 v34, 32, v34
	v_add_nc_u32_e32 v39, 0x80, v39
	s_or_b32 s47, s3, s47
	s_andn2_b32 exec_lo, exec_lo, s47
	s_cbranch_execz .LBB190_148
.LBB190_13:                             ; =>This Inner Loop Header: Depth=1
	v_sub_nc_u32_e32 v1, 0, v34
	v_max_i32_e32 v1, v34, v1
	s_waitcnt lgkmcnt(0)
	v_mul_hi_u32 v2, v1, s19
	v_mul_lo_u32 v3, v2, s11
	v_sub_nc_u32_e32 v1, v1, v3
	v_add_nc_u32_e32 v3, 1, v2
	v_subrev_nc_u32_e32 v4, s11, v1
	v_cmp_le_u32_e64 s3, s11, v1
	v_cndmask_b32_e64 v2, v2, v3, s3
	v_cndmask_b32_e64 v1, v1, v4, s3
	v_ashrrev_i32_e32 v3, 31, v34
	v_add_nc_u32_e32 v4, 1, v2
	v_cmp_le_u32_e64 s3, s11, v1
	v_xor_b32_e32 v3, s23, v3
	v_cndmask_b32_e64 v1, v2, v4, s3
	v_xor_b32_e32 v1, v1, v3
	v_sub_nc_u32_e32 v1, v1, v3
	v_add_nc_u32_e32 v2, s33, v1
	v_cmp_ge_i32_e64 s4, s5, v1
	v_sub_nc_u32_e32 v3, 0, v2
	v_max_i32_e32 v3, v2, v3
	v_ashrrev_i32_e32 v2, 31, v2
	v_mul_hi_u32 v4, v3, v40
	v_mul_lo_u32 v4, v4, s46
	v_sub_nc_u32_e32 v3, v3, v4
	v_subrev_nc_u32_e32 v4, s46, v3
	v_cmp_le_u32_e64 s3, s46, v3
	v_cndmask_b32_e64 v3, v3, v4, s3
	v_subrev_nc_u32_e32 v4, s46, v3
	v_cmp_le_u32_e64 s3, s46, v3
	v_cndmask_b32_e64 v3, v3, v4, s3
	v_xor_b32_e32 v3, v3, v2
	v_sub_nc_u32_e32 v2, v3, v2
	v_cmp_ne_u32_e64 s3, 0, v2
	s_and_b32 s3, s3, s4
	s_and_saveexec_b32 s4, s3
	s_xor_b32 s3, exec_lo, s4
	s_cbranch_execz .LBB190_17
; %bb.14:                               ;   in Loop: Header=BB190_13 Depth=1
	s_and_saveexec_b32 s4, vcc_lo
; %bb.15:                               ;   in Loop: Header=BB190_13 Depth=1
	ds_write_b32 v39, v35
; %bb.16:                               ;   in Loop: Header=BB190_13 Depth=1
	s_or_b32 exec_lo, exec_lo, s4
.LBB190_17:                             ;   in Loop: Header=BB190_13 Depth=1
	s_andn2_saveexec_b32 s4, s3
	s_cbranch_execz .LBB190_12
; %bb.18:                               ;   in Loop: Header=BB190_13 Depth=1
	global_load_dword v1, v[21:22], off
	v_mov_b32_e32 v42, 0
	v_mov_b32_e32 v43, 0
	s_mov_b32 s50, exec_lo
	s_waitcnt vmcnt(0)
	v_mad_i64_i32 v[25:26], null, v1, s48, v[23:24]
	global_load_ubyte v44, v[25:26], off
	ds_read_b128 v[13:16], v33
	ds_read_b128 v[9:12], v33 offset:16
	ds_read_b128 v[5:8], v33 offset:32
	;; [unrolled: 1-line block ×3, first 2 shown]
	s_load_dword s49, s[12:13], 0x0
	s_waitcnt vmcnt(0)
	v_cmpx_ne_u16_e32 0, v44
	s_cbranch_execz .LBB190_26
; %bb.19:                               ;   in Loop: Header=BB190_13 Depth=1
	v_bfrev_b32_e32 v43, 1
	s_mov_b32 s51, exec_lo
	v_cmpx_ne_u16_e32 0x80, v44
	s_cbranch_execz .LBB190_25
; %bb.20:                               ;   in Loop: Header=BB190_13 Depth=1
	v_and_b32_sdwa v45, v44, v36 dst_sel:DWORD dst_unused:UNUSED_PAD src0_sel:WORD_0 src1_sel:DWORD
	v_mov_b32_e32 v43, 0x7f800001
	s_mov_b32 s52, exec_lo
	v_cmpx_ne_u32_e32 0x7f, v45
	s_cbranch_execz .LBB190_24
; %bb.21:                               ;   in Loop: Header=BB190_13 Depth=1
	v_and_b32_sdwa v19, v44, v37 dst_sel:DWORD dst_unused:UNUSED_PAD src0_sel:WORD_0 src1_sel:DWORD
	v_lshrrev_b32_e32 v43, 3, v45
	s_mov_b32 s53, exec_lo
	v_cmpx_gt_u32_e32 8, v45
; %bb.22:                               ;   in Loop: Header=BB190_13 Depth=1
	v_ffbh_u32_e32 v43, v19
	v_min_u32_e32 v43, 32, v43
	v_subrev_nc_u32_e32 v45, 28, v43
	v_sub_nc_u32_e32 v43, 29, v43
	v_lshlrev_b64 v[45:46], v45, v[19:20]
	v_and_b32_e32 v19, 7, v45
; %bb.23:                               ;   in Loop: Header=BB190_13 Depth=1
	s_or_b32 exec_lo, exec_lo, s53
	v_lshlrev_b32_e32 v44, 24, v44
	v_lshlrev_b32_e32 v19, 20, v19
	v_lshl_add_u32 v43, v43, 23, 0x3c000000
	v_and_b32_e32 v44, 0x80000000, v44
	v_or3_b32 v43, v19, v44, v43
.LBB190_24:                             ;   in Loop: Header=BB190_13 Depth=1
	s_or_b32 exec_lo, exec_lo, s52
.LBB190_25:                             ;   in Loop: Header=BB190_13 Depth=1
	s_or_b32 exec_lo, exec_lo, s51
.LBB190_26:                             ;   in Loop: Header=BB190_13 Depth=1
	s_or_b32 exec_lo, exec_lo, s50
	global_load_ubyte v44, v[25:26], off offset:4
	s_mov_b32 s50, exec_lo
	s_waitcnt vmcnt(0)
	v_cmpx_ne_u16_e32 0, v44
	s_cbranch_execz .LBB190_34
; %bb.27:                               ;   in Loop: Header=BB190_13 Depth=1
	v_bfrev_b32_e32 v42, 1
	s_mov_b32 s51, exec_lo
	v_cmpx_ne_u16_e32 0x80, v44
	s_cbranch_execz .LBB190_33
; %bb.28:                               ;   in Loop: Header=BB190_13 Depth=1
	v_and_b32_sdwa v45, v44, v36 dst_sel:DWORD dst_unused:UNUSED_PAD src0_sel:WORD_0 src1_sel:DWORD
	v_mov_b32_e32 v42, 0x7f800001
	s_mov_b32 s52, exec_lo
	v_cmpx_ne_u32_e32 0x7f, v45
	s_cbranch_execz .LBB190_32
; %bb.29:                               ;   in Loop: Header=BB190_13 Depth=1
	v_and_b32_sdwa v19, v44, v37 dst_sel:DWORD dst_unused:UNUSED_PAD src0_sel:WORD_0 src1_sel:DWORD
	v_lshrrev_b32_e32 v42, 3, v45
	s_mov_b32 s53, exec_lo
	v_cmpx_gt_u32_e32 8, v45
; %bb.30:                               ;   in Loop: Header=BB190_13 Depth=1
	v_ffbh_u32_e32 v42, v19
	v_min_u32_e32 v42, 32, v42
	v_subrev_nc_u32_e32 v45, 28, v42
	v_sub_nc_u32_e32 v42, 29, v42
	v_lshlrev_b64 v[45:46], v45, v[19:20]
	v_and_b32_e32 v19, 7, v45
; %bb.31:                               ;   in Loop: Header=BB190_13 Depth=1
	s_or_b32 exec_lo, exec_lo, s53
	v_lshlrev_b32_e32 v44, 24, v44
	v_lshlrev_b32_e32 v19, 20, v19
	v_lshl_add_u32 v42, v42, 23, 0x3c000000
	v_and_b32_e32 v44, 0x80000000, v44
	v_or3_b32 v42, v19, v44, v42
.LBB190_32:                             ;   in Loop: Header=BB190_13 Depth=1
	s_or_b32 exec_lo, exec_lo, s52
.LBB190_33:                             ;   in Loop: Header=BB190_13 Depth=1
	s_or_b32 exec_lo, exec_lo, s51
.LBB190_34:                             ;   in Loop: Header=BB190_13 Depth=1
	s_or_b32 exec_lo, exec_lo, s50
	global_load_ubyte v46, v[25:26], off offset:8
	v_mov_b32_e32 v44, 0
	v_mov_b32_e32 v45, 0
	s_mov_b32 s50, exec_lo
	s_waitcnt vmcnt(0)
	v_cmpx_ne_u16_e32 0, v46
	s_cbranch_execz .LBB190_42
; %bb.35:                               ;   in Loop: Header=BB190_13 Depth=1
	v_bfrev_b32_e32 v45, 1
	s_mov_b32 s51, exec_lo
	v_cmpx_ne_u16_e32 0x80, v46
	s_cbranch_execz .LBB190_41
; %bb.36:                               ;   in Loop: Header=BB190_13 Depth=1
	v_and_b32_sdwa v47, v46, v36 dst_sel:DWORD dst_unused:UNUSED_PAD src0_sel:WORD_0 src1_sel:DWORD
	v_mov_b32_e32 v45, 0x7f800001
	s_mov_b32 s52, exec_lo
	v_cmpx_ne_u32_e32 0x7f, v47
	s_cbranch_execz .LBB190_40
; %bb.37:                               ;   in Loop: Header=BB190_13 Depth=1
	v_and_b32_sdwa v19, v46, v37 dst_sel:DWORD dst_unused:UNUSED_PAD src0_sel:WORD_0 src1_sel:DWORD
	v_lshrrev_b32_e32 v45, 3, v47
	s_mov_b32 s53, exec_lo
	v_cmpx_gt_u32_e32 8, v47
; %bb.38:                               ;   in Loop: Header=BB190_13 Depth=1
	v_ffbh_u32_e32 v45, v19
	v_min_u32_e32 v45, 32, v45
	v_subrev_nc_u32_e32 v47, 28, v45
	v_sub_nc_u32_e32 v45, 29, v45
	v_lshlrev_b64 v[47:48], v47, v[19:20]
	v_and_b32_e32 v19, 7, v47
; %bb.39:                               ;   in Loop: Header=BB190_13 Depth=1
	s_or_b32 exec_lo, exec_lo, s53
	v_lshlrev_b32_e32 v46, 24, v46
	v_lshlrev_b32_e32 v19, 20, v19
	v_lshl_add_u32 v45, v45, 23, 0x3c000000
	v_and_b32_e32 v46, 0x80000000, v46
	v_or3_b32 v45, v19, v46, v45
.LBB190_40:                             ;   in Loop: Header=BB190_13 Depth=1
	s_or_b32 exec_lo, exec_lo, s52
.LBB190_41:                             ;   in Loop: Header=BB190_13 Depth=1
	s_or_b32 exec_lo, exec_lo, s51
.LBB190_42:                             ;   in Loop: Header=BB190_13 Depth=1
	s_or_b32 exec_lo, exec_lo, s50
	global_load_ubyte v46, v[25:26], off offset:12
	s_mov_b32 s50, exec_lo
	s_waitcnt vmcnt(0)
	v_cmpx_ne_u16_e32 0, v46
	s_cbranch_execz .LBB190_50
; %bb.43:                               ;   in Loop: Header=BB190_13 Depth=1
	v_bfrev_b32_e32 v44, 1
	s_mov_b32 s51, exec_lo
	v_cmpx_ne_u16_e32 0x80, v46
	s_cbranch_execz .LBB190_49
; %bb.44:                               ;   in Loop: Header=BB190_13 Depth=1
	v_and_b32_sdwa v47, v46, v36 dst_sel:DWORD dst_unused:UNUSED_PAD src0_sel:WORD_0 src1_sel:DWORD
	v_mov_b32_e32 v44, 0x7f800001
	s_mov_b32 s52, exec_lo
	v_cmpx_ne_u32_e32 0x7f, v47
	s_cbranch_execz .LBB190_48
; %bb.45:                               ;   in Loop: Header=BB190_13 Depth=1
	v_and_b32_sdwa v19, v46, v37 dst_sel:DWORD dst_unused:UNUSED_PAD src0_sel:WORD_0 src1_sel:DWORD
	v_lshrrev_b32_e32 v44, 3, v47
	s_mov_b32 s53, exec_lo
	v_cmpx_gt_u32_e32 8, v47
; %bb.46:                               ;   in Loop: Header=BB190_13 Depth=1
	v_ffbh_u32_e32 v44, v19
	v_min_u32_e32 v44, 32, v44
	v_subrev_nc_u32_e32 v47, 28, v44
	v_sub_nc_u32_e32 v44, 29, v44
	v_lshlrev_b64 v[47:48], v47, v[19:20]
	v_and_b32_e32 v19, 7, v47
; %bb.47:                               ;   in Loop: Header=BB190_13 Depth=1
	s_or_b32 exec_lo, exec_lo, s53
	v_lshlrev_b32_e32 v46, 24, v46
	v_lshlrev_b32_e32 v19, 20, v19
	v_lshl_add_u32 v44, v44, 23, 0x3c000000
	v_and_b32_e32 v46, 0x80000000, v46
	v_or3_b32 v44, v19, v46, v44
.LBB190_48:                             ;   in Loop: Header=BB190_13 Depth=1
	s_or_b32 exec_lo, exec_lo, s52
.LBB190_49:                             ;   in Loop: Header=BB190_13 Depth=1
	s_or_b32 exec_lo, exec_lo, s51
.LBB190_50:                             ;   in Loop: Header=BB190_13 Depth=1
	s_or_b32 exec_lo, exec_lo, s50
	global_load_ubyte v48, v[25:26], off offset:128
	v_mov_b32_e32 v46, 0
	v_mov_b32_e32 v47, 0
	s_mov_b32 s50, exec_lo
	s_waitcnt vmcnt(0)
	v_cmpx_ne_u16_e32 0, v48
	s_cbranch_execz .LBB190_58
; %bb.51:                               ;   in Loop: Header=BB190_13 Depth=1
	v_bfrev_b32_e32 v47, 1
	s_mov_b32 s51, exec_lo
	v_cmpx_ne_u16_e32 0x80, v48
	s_cbranch_execz .LBB190_57
; %bb.52:                               ;   in Loop: Header=BB190_13 Depth=1
	v_and_b32_sdwa v49, v48, v36 dst_sel:DWORD dst_unused:UNUSED_PAD src0_sel:WORD_0 src1_sel:DWORD
	v_mov_b32_e32 v47, 0x7f800001
	s_mov_b32 s52, exec_lo
	v_cmpx_ne_u32_e32 0x7f, v49
	s_cbranch_execz .LBB190_56
; %bb.53:                               ;   in Loop: Header=BB190_13 Depth=1
	v_and_b32_sdwa v19, v48, v37 dst_sel:DWORD dst_unused:UNUSED_PAD src0_sel:WORD_0 src1_sel:DWORD
	v_lshrrev_b32_e32 v47, 3, v49
	s_mov_b32 s53, exec_lo
	v_cmpx_gt_u32_e32 8, v49
; %bb.54:                               ;   in Loop: Header=BB190_13 Depth=1
	v_ffbh_u32_e32 v47, v19
	v_min_u32_e32 v47, 32, v47
	v_subrev_nc_u32_e32 v49, 28, v47
	v_sub_nc_u32_e32 v47, 29, v47
	v_lshlrev_b64 v[49:50], v49, v[19:20]
	v_and_b32_e32 v19, 7, v49
; %bb.55:                               ;   in Loop: Header=BB190_13 Depth=1
	s_or_b32 exec_lo, exec_lo, s53
	v_lshlrev_b32_e32 v48, 24, v48
	v_lshlrev_b32_e32 v19, 20, v19
	v_lshl_add_u32 v47, v47, 23, 0x3c000000
	v_and_b32_e32 v48, 0x80000000, v48
	v_or3_b32 v47, v19, v48, v47
.LBB190_56:                             ;   in Loop: Header=BB190_13 Depth=1
	s_or_b32 exec_lo, exec_lo, s52
.LBB190_57:                             ;   in Loop: Header=BB190_13 Depth=1
	s_or_b32 exec_lo, exec_lo, s51
.LBB190_58:                             ;   in Loop: Header=BB190_13 Depth=1
	s_or_b32 exec_lo, exec_lo, s50
	global_load_ubyte v48, v[25:26], off offset:132
	s_mov_b32 s50, exec_lo
	s_waitcnt vmcnt(0)
	v_cmpx_ne_u16_e32 0, v48
	s_cbranch_execz .LBB190_66
; %bb.59:                               ;   in Loop: Header=BB190_13 Depth=1
	v_bfrev_b32_e32 v46, 1
	s_mov_b32 s51, exec_lo
	v_cmpx_ne_u16_e32 0x80, v48
	s_cbranch_execz .LBB190_65
; %bb.60:                               ;   in Loop: Header=BB190_13 Depth=1
	v_and_b32_sdwa v49, v48, v36 dst_sel:DWORD dst_unused:UNUSED_PAD src0_sel:WORD_0 src1_sel:DWORD
	v_mov_b32_e32 v46, 0x7f800001
	s_mov_b32 s52, exec_lo
	v_cmpx_ne_u32_e32 0x7f, v49
	s_cbranch_execz .LBB190_64
; %bb.61:                               ;   in Loop: Header=BB190_13 Depth=1
	v_and_b32_sdwa v19, v48, v37 dst_sel:DWORD dst_unused:UNUSED_PAD src0_sel:WORD_0 src1_sel:DWORD
	v_lshrrev_b32_e32 v46, 3, v49
	s_mov_b32 s53, exec_lo
	v_cmpx_gt_u32_e32 8, v49
; %bb.62:                               ;   in Loop: Header=BB190_13 Depth=1
	v_ffbh_u32_e32 v46, v19
	v_min_u32_e32 v46, 32, v46
	v_subrev_nc_u32_e32 v49, 28, v46
	v_sub_nc_u32_e32 v46, 29, v46
	v_lshlrev_b64 v[49:50], v49, v[19:20]
	v_and_b32_e32 v19, 7, v49
; %bb.63:                               ;   in Loop: Header=BB190_13 Depth=1
	s_or_b32 exec_lo, exec_lo, s53
	v_lshlrev_b32_e32 v48, 24, v48
	v_lshlrev_b32_e32 v19, 20, v19
	v_lshl_add_u32 v46, v46, 23, 0x3c000000
	v_and_b32_e32 v48, 0x80000000, v48
	v_or3_b32 v46, v19, v48, v46
.LBB190_64:                             ;   in Loop: Header=BB190_13 Depth=1
	s_or_b32 exec_lo, exec_lo, s52
.LBB190_65:                             ;   in Loop: Header=BB190_13 Depth=1
	s_or_b32 exec_lo, exec_lo, s51
.LBB190_66:                             ;   in Loop: Header=BB190_13 Depth=1
	s_or_b32 exec_lo, exec_lo, s50
	global_load_ubyte v50, v[25:26], off offset:136
	v_mov_b32_e32 v48, 0
	v_mov_b32_e32 v49, 0
	s_mov_b32 s50, exec_lo
	s_waitcnt vmcnt(0)
	v_cmpx_ne_u16_e32 0, v50
	s_cbranch_execz .LBB190_74
; %bb.67:                               ;   in Loop: Header=BB190_13 Depth=1
	v_bfrev_b32_e32 v49, 1
	s_mov_b32 s51, exec_lo
	v_cmpx_ne_u16_e32 0x80, v50
	s_cbranch_execz .LBB190_73
; %bb.68:                               ;   in Loop: Header=BB190_13 Depth=1
	v_and_b32_sdwa v51, v50, v36 dst_sel:DWORD dst_unused:UNUSED_PAD src0_sel:WORD_0 src1_sel:DWORD
	v_mov_b32_e32 v49, 0x7f800001
	s_mov_b32 s52, exec_lo
	v_cmpx_ne_u32_e32 0x7f, v51
	s_cbranch_execz .LBB190_72
; %bb.69:                               ;   in Loop: Header=BB190_13 Depth=1
	v_and_b32_sdwa v19, v50, v37 dst_sel:DWORD dst_unused:UNUSED_PAD src0_sel:WORD_0 src1_sel:DWORD
	v_lshrrev_b32_e32 v49, 3, v51
	s_mov_b32 s53, exec_lo
	v_cmpx_gt_u32_e32 8, v51
; %bb.70:                               ;   in Loop: Header=BB190_13 Depth=1
	v_ffbh_u32_e32 v49, v19
	v_min_u32_e32 v49, 32, v49
	v_subrev_nc_u32_e32 v51, 28, v49
	v_sub_nc_u32_e32 v49, 29, v49
	v_lshlrev_b64 v[51:52], v51, v[19:20]
	v_and_b32_e32 v19, 7, v51
; %bb.71:                               ;   in Loop: Header=BB190_13 Depth=1
	s_or_b32 exec_lo, exec_lo, s53
	v_lshlrev_b32_e32 v50, 24, v50
	v_lshlrev_b32_e32 v19, 20, v19
	v_lshl_add_u32 v49, v49, 23, 0x3c000000
	v_and_b32_e32 v50, 0x80000000, v50
	v_or3_b32 v49, v19, v50, v49
.LBB190_72:                             ;   in Loop: Header=BB190_13 Depth=1
	s_or_b32 exec_lo, exec_lo, s52
.LBB190_73:                             ;   in Loop: Header=BB190_13 Depth=1
	s_or_b32 exec_lo, exec_lo, s51
.LBB190_74:                             ;   in Loop: Header=BB190_13 Depth=1
	s_or_b32 exec_lo, exec_lo, s50
	global_load_ubyte v50, v[25:26], off offset:140
	s_mov_b32 s50, exec_lo
	s_waitcnt vmcnt(0)
	v_cmpx_ne_u16_e32 0, v50
	s_cbranch_execz .LBB190_82
; %bb.75:                               ;   in Loop: Header=BB190_13 Depth=1
	v_bfrev_b32_e32 v48, 1
	s_mov_b32 s51, exec_lo
	v_cmpx_ne_u16_e32 0x80, v50
	s_cbranch_execz .LBB190_81
; %bb.76:                               ;   in Loop: Header=BB190_13 Depth=1
	v_and_b32_sdwa v51, v50, v36 dst_sel:DWORD dst_unused:UNUSED_PAD src0_sel:WORD_0 src1_sel:DWORD
	v_mov_b32_e32 v48, 0x7f800001
	s_mov_b32 s52, exec_lo
	v_cmpx_ne_u32_e32 0x7f, v51
	s_cbranch_execz .LBB190_80
; %bb.77:                               ;   in Loop: Header=BB190_13 Depth=1
	v_and_b32_sdwa v19, v50, v37 dst_sel:DWORD dst_unused:UNUSED_PAD src0_sel:WORD_0 src1_sel:DWORD
	v_lshrrev_b32_e32 v48, 3, v51
	s_mov_b32 s53, exec_lo
	v_cmpx_gt_u32_e32 8, v51
; %bb.78:                               ;   in Loop: Header=BB190_13 Depth=1
	v_ffbh_u32_e32 v48, v19
	v_min_u32_e32 v48, 32, v48
	v_subrev_nc_u32_e32 v51, 28, v48
	v_sub_nc_u32_e32 v48, 29, v48
	v_lshlrev_b64 v[51:52], v51, v[19:20]
	v_and_b32_e32 v19, 7, v51
; %bb.79:                               ;   in Loop: Header=BB190_13 Depth=1
	s_or_b32 exec_lo, exec_lo, s53
	v_lshlrev_b32_e32 v50, 24, v50
	v_lshlrev_b32_e32 v19, 20, v19
	v_lshl_add_u32 v48, v48, 23, 0x3c000000
	v_and_b32_e32 v50, 0x80000000, v50
	v_or3_b32 v48, v19, v50, v48
.LBB190_80:                             ;   in Loop: Header=BB190_13 Depth=1
	s_or_b32 exec_lo, exec_lo, s52
.LBB190_81:                             ;   in Loop: Header=BB190_13 Depth=1
	s_or_b32 exec_lo, exec_lo, s51
.LBB190_82:                             ;   in Loop: Header=BB190_13 Depth=1
	s_or_b32 exec_lo, exec_lo, s50
	global_load_ubyte v52, v[25:26], off offset:256
	v_mov_b32_e32 v50, 0
	v_mov_b32_e32 v51, 0
	s_mov_b32 s50, exec_lo
	s_waitcnt vmcnt(0)
	v_cmpx_ne_u16_e32 0, v52
	s_cbranch_execz .LBB190_90
; %bb.83:                               ;   in Loop: Header=BB190_13 Depth=1
	v_bfrev_b32_e32 v51, 1
	s_mov_b32 s51, exec_lo
	v_cmpx_ne_u16_e32 0x80, v52
	s_cbranch_execz .LBB190_89
; %bb.84:                               ;   in Loop: Header=BB190_13 Depth=1
	v_and_b32_sdwa v53, v52, v36 dst_sel:DWORD dst_unused:UNUSED_PAD src0_sel:WORD_0 src1_sel:DWORD
	v_mov_b32_e32 v51, 0x7f800001
	s_mov_b32 s52, exec_lo
	v_cmpx_ne_u32_e32 0x7f, v53
	s_cbranch_execz .LBB190_88
; %bb.85:                               ;   in Loop: Header=BB190_13 Depth=1
	v_and_b32_sdwa v19, v52, v37 dst_sel:DWORD dst_unused:UNUSED_PAD src0_sel:WORD_0 src1_sel:DWORD
	v_lshrrev_b32_e32 v51, 3, v53
	s_mov_b32 s53, exec_lo
	v_cmpx_gt_u32_e32 8, v53
; %bb.86:                               ;   in Loop: Header=BB190_13 Depth=1
	v_ffbh_u32_e32 v51, v19
	v_min_u32_e32 v51, 32, v51
	v_subrev_nc_u32_e32 v53, 28, v51
	v_sub_nc_u32_e32 v51, 29, v51
	v_lshlrev_b64 v[53:54], v53, v[19:20]
	v_and_b32_e32 v19, 7, v53
; %bb.87:                               ;   in Loop: Header=BB190_13 Depth=1
	s_or_b32 exec_lo, exec_lo, s53
	v_lshlrev_b32_e32 v52, 24, v52
	v_lshlrev_b32_e32 v19, 20, v19
	v_lshl_add_u32 v51, v51, 23, 0x3c000000
	v_and_b32_e32 v52, 0x80000000, v52
	v_or3_b32 v51, v19, v52, v51
.LBB190_88:                             ;   in Loop: Header=BB190_13 Depth=1
	s_or_b32 exec_lo, exec_lo, s52
.LBB190_89:                             ;   in Loop: Header=BB190_13 Depth=1
	s_or_b32 exec_lo, exec_lo, s51
.LBB190_90:                             ;   in Loop: Header=BB190_13 Depth=1
	s_or_b32 exec_lo, exec_lo, s50
	global_load_ubyte v52, v[25:26], off offset:260
	s_mov_b32 s50, exec_lo
	s_waitcnt vmcnt(0)
	v_cmpx_ne_u16_e32 0, v52
	s_cbranch_execz .LBB190_98
; %bb.91:                               ;   in Loop: Header=BB190_13 Depth=1
	v_bfrev_b32_e32 v50, 1
	s_mov_b32 s51, exec_lo
	v_cmpx_ne_u16_e32 0x80, v52
	s_cbranch_execz .LBB190_97
; %bb.92:                               ;   in Loop: Header=BB190_13 Depth=1
	v_and_b32_sdwa v53, v52, v36 dst_sel:DWORD dst_unused:UNUSED_PAD src0_sel:WORD_0 src1_sel:DWORD
	v_mov_b32_e32 v50, 0x7f800001
	s_mov_b32 s52, exec_lo
	v_cmpx_ne_u32_e32 0x7f, v53
	s_cbranch_execz .LBB190_96
; %bb.93:                               ;   in Loop: Header=BB190_13 Depth=1
	v_and_b32_sdwa v19, v52, v37 dst_sel:DWORD dst_unused:UNUSED_PAD src0_sel:WORD_0 src1_sel:DWORD
	v_lshrrev_b32_e32 v50, 3, v53
	s_mov_b32 s53, exec_lo
	v_cmpx_gt_u32_e32 8, v53
; %bb.94:                               ;   in Loop: Header=BB190_13 Depth=1
	v_ffbh_u32_e32 v50, v19
	v_min_u32_e32 v50, 32, v50
	v_subrev_nc_u32_e32 v53, 28, v50
	v_sub_nc_u32_e32 v50, 29, v50
	v_lshlrev_b64 v[53:54], v53, v[19:20]
	v_and_b32_e32 v19, 7, v53
; %bb.95:                               ;   in Loop: Header=BB190_13 Depth=1
	s_or_b32 exec_lo, exec_lo, s53
	v_lshlrev_b32_e32 v52, 24, v52
	v_lshlrev_b32_e32 v19, 20, v19
	v_lshl_add_u32 v50, v50, 23, 0x3c000000
	v_and_b32_e32 v52, 0x80000000, v52
	v_or3_b32 v50, v19, v52, v50
.LBB190_96:                             ;   in Loop: Header=BB190_13 Depth=1
	s_or_b32 exec_lo, exec_lo, s52
.LBB190_97:                             ;   in Loop: Header=BB190_13 Depth=1
	s_or_b32 exec_lo, exec_lo, s51
.LBB190_98:                             ;   in Loop: Header=BB190_13 Depth=1
	s_or_b32 exec_lo, exec_lo, s50
	global_load_ubyte v54, v[25:26], off offset:264
	v_mov_b32_e32 v52, 0
	v_mov_b32_e32 v53, 0
	s_mov_b32 s50, exec_lo
	s_waitcnt vmcnt(0)
	v_cmpx_ne_u16_e32 0, v54
	s_cbranch_execz .LBB190_106
; %bb.99:                               ;   in Loop: Header=BB190_13 Depth=1
	v_bfrev_b32_e32 v53, 1
	s_mov_b32 s51, exec_lo
	v_cmpx_ne_u16_e32 0x80, v54
	s_cbranch_execz .LBB190_105
; %bb.100:                              ;   in Loop: Header=BB190_13 Depth=1
	v_and_b32_sdwa v55, v54, v36 dst_sel:DWORD dst_unused:UNUSED_PAD src0_sel:WORD_0 src1_sel:DWORD
	v_mov_b32_e32 v53, 0x7f800001
	s_mov_b32 s52, exec_lo
	v_cmpx_ne_u32_e32 0x7f, v55
	s_cbranch_execz .LBB190_104
; %bb.101:                              ;   in Loop: Header=BB190_13 Depth=1
	v_and_b32_sdwa v19, v54, v37 dst_sel:DWORD dst_unused:UNUSED_PAD src0_sel:WORD_0 src1_sel:DWORD
	v_lshrrev_b32_e32 v53, 3, v55
	s_mov_b32 s53, exec_lo
	v_cmpx_gt_u32_e32 8, v55
; %bb.102:                              ;   in Loop: Header=BB190_13 Depth=1
	v_ffbh_u32_e32 v53, v19
	v_min_u32_e32 v53, 32, v53
	v_subrev_nc_u32_e32 v55, 28, v53
	v_sub_nc_u32_e32 v53, 29, v53
	v_lshlrev_b64 v[55:56], v55, v[19:20]
	v_and_b32_e32 v19, 7, v55
; %bb.103:                              ;   in Loop: Header=BB190_13 Depth=1
	s_or_b32 exec_lo, exec_lo, s53
	v_lshlrev_b32_e32 v54, 24, v54
	v_lshlrev_b32_e32 v19, 20, v19
	v_lshl_add_u32 v53, v53, 23, 0x3c000000
	v_and_b32_e32 v54, 0x80000000, v54
	v_or3_b32 v53, v19, v54, v53
.LBB190_104:                            ;   in Loop: Header=BB190_13 Depth=1
	s_or_b32 exec_lo, exec_lo, s52
.LBB190_105:                            ;   in Loop: Header=BB190_13 Depth=1
	s_or_b32 exec_lo, exec_lo, s51
.LBB190_106:                            ;   in Loop: Header=BB190_13 Depth=1
	s_or_b32 exec_lo, exec_lo, s50
	global_load_ubyte v54, v[25:26], off offset:268
	s_mov_b32 s50, exec_lo
	s_waitcnt vmcnt(0)
	v_cmpx_ne_u16_e32 0, v54
	s_cbranch_execz .LBB190_114
; %bb.107:                              ;   in Loop: Header=BB190_13 Depth=1
	v_bfrev_b32_e32 v52, 1
	s_mov_b32 s51, exec_lo
	v_cmpx_ne_u16_e32 0x80, v54
	s_cbranch_execz .LBB190_113
; %bb.108:                              ;   in Loop: Header=BB190_13 Depth=1
	v_and_b32_sdwa v55, v54, v36 dst_sel:DWORD dst_unused:UNUSED_PAD src0_sel:WORD_0 src1_sel:DWORD
	v_mov_b32_e32 v52, 0x7f800001
	s_mov_b32 s52, exec_lo
	v_cmpx_ne_u32_e32 0x7f, v55
	s_cbranch_execz .LBB190_112
; %bb.109:                              ;   in Loop: Header=BB190_13 Depth=1
	v_and_b32_sdwa v19, v54, v37 dst_sel:DWORD dst_unused:UNUSED_PAD src0_sel:WORD_0 src1_sel:DWORD
	v_lshrrev_b32_e32 v52, 3, v55
	s_mov_b32 s53, exec_lo
	v_cmpx_gt_u32_e32 8, v55
; %bb.110:                              ;   in Loop: Header=BB190_13 Depth=1
	v_ffbh_u32_e32 v52, v19
	v_min_u32_e32 v52, 32, v52
	v_subrev_nc_u32_e32 v55, 28, v52
	v_sub_nc_u32_e32 v52, 29, v52
	v_lshlrev_b64 v[55:56], v55, v[19:20]
	v_and_b32_e32 v19, 7, v55
; %bb.111:                              ;   in Loop: Header=BB190_13 Depth=1
	s_or_b32 exec_lo, exec_lo, s53
	v_lshlrev_b32_e32 v54, 24, v54
	v_lshlrev_b32_e32 v19, 20, v19
	v_lshl_add_u32 v52, v52, 23, 0x3c000000
	v_and_b32_e32 v54, 0x80000000, v54
	v_or3_b32 v52, v19, v54, v52
.LBB190_112:                            ;   in Loop: Header=BB190_13 Depth=1
	s_or_b32 exec_lo, exec_lo, s52
.LBB190_113:                            ;   in Loop: Header=BB190_13 Depth=1
	s_or_b32 exec_lo, exec_lo, s51
.LBB190_114:                            ;   in Loop: Header=BB190_13 Depth=1
	s_or_b32 exec_lo, exec_lo, s50
	global_load_ubyte v56, v[25:26], off offset:384
	v_mov_b32_e32 v54, 0
	v_mov_b32_e32 v55, 0
	s_mov_b32 s50, exec_lo
	s_waitcnt vmcnt(0)
	v_cmpx_ne_u16_e32 0, v56
	s_cbranch_execz .LBB190_122
; %bb.115:                              ;   in Loop: Header=BB190_13 Depth=1
	v_bfrev_b32_e32 v55, 1
	s_mov_b32 s51, exec_lo
	v_cmpx_ne_u16_e32 0x80, v56
	s_cbranch_execz .LBB190_121
; %bb.116:                              ;   in Loop: Header=BB190_13 Depth=1
	v_and_b32_sdwa v57, v56, v36 dst_sel:DWORD dst_unused:UNUSED_PAD src0_sel:WORD_0 src1_sel:DWORD
	v_mov_b32_e32 v55, 0x7f800001
	s_mov_b32 s52, exec_lo
	v_cmpx_ne_u32_e32 0x7f, v57
	s_cbranch_execz .LBB190_120
; %bb.117:                              ;   in Loop: Header=BB190_13 Depth=1
	v_and_b32_sdwa v19, v56, v37 dst_sel:DWORD dst_unused:UNUSED_PAD src0_sel:WORD_0 src1_sel:DWORD
	v_lshrrev_b32_e32 v55, 3, v57
	s_mov_b32 s53, exec_lo
	v_cmpx_gt_u32_e32 8, v57
; %bb.118:                              ;   in Loop: Header=BB190_13 Depth=1
	v_ffbh_u32_e32 v55, v19
	v_min_u32_e32 v55, 32, v55
	v_subrev_nc_u32_e32 v57, 28, v55
	v_sub_nc_u32_e32 v55, 29, v55
	v_lshlrev_b64 v[57:58], v57, v[19:20]
	v_and_b32_e32 v19, 7, v57
; %bb.119:                              ;   in Loop: Header=BB190_13 Depth=1
	s_or_b32 exec_lo, exec_lo, s53
	v_lshlrev_b32_e32 v56, 24, v56
	v_lshlrev_b32_e32 v19, 20, v19
	v_lshl_add_u32 v55, v55, 23, 0x3c000000
	v_and_b32_e32 v56, 0x80000000, v56
	v_or3_b32 v55, v19, v56, v55
.LBB190_120:                            ;   in Loop: Header=BB190_13 Depth=1
	s_or_b32 exec_lo, exec_lo, s52
.LBB190_121:                            ;   in Loop: Header=BB190_13 Depth=1
	s_or_b32 exec_lo, exec_lo, s51
.LBB190_122:                            ;   in Loop: Header=BB190_13 Depth=1
	s_or_b32 exec_lo, exec_lo, s50
	global_load_ubyte v56, v[25:26], off offset:388
	s_mov_b32 s50, exec_lo
	s_waitcnt vmcnt(0)
	v_cmpx_ne_u16_e32 0, v56
	s_cbranch_execz .LBB190_130
; %bb.123:                              ;   in Loop: Header=BB190_13 Depth=1
	v_bfrev_b32_e32 v54, 1
	s_mov_b32 s51, exec_lo
	v_cmpx_ne_u16_e32 0x80, v56
	s_cbranch_execz .LBB190_129
; %bb.124:                              ;   in Loop: Header=BB190_13 Depth=1
	v_and_b32_sdwa v57, v56, v36 dst_sel:DWORD dst_unused:UNUSED_PAD src0_sel:WORD_0 src1_sel:DWORD
	v_mov_b32_e32 v54, 0x7f800001
	s_mov_b32 s52, exec_lo
	v_cmpx_ne_u32_e32 0x7f, v57
	s_cbranch_execz .LBB190_128
; %bb.125:                              ;   in Loop: Header=BB190_13 Depth=1
	v_and_b32_sdwa v19, v56, v37 dst_sel:DWORD dst_unused:UNUSED_PAD src0_sel:WORD_0 src1_sel:DWORD
	v_lshrrev_b32_e32 v54, 3, v57
	s_mov_b32 s53, exec_lo
	v_cmpx_gt_u32_e32 8, v57
; %bb.126:                              ;   in Loop: Header=BB190_13 Depth=1
	v_ffbh_u32_e32 v54, v19
	v_min_u32_e32 v54, 32, v54
	v_subrev_nc_u32_e32 v57, 28, v54
	v_sub_nc_u32_e32 v54, 29, v54
	v_lshlrev_b64 v[57:58], v57, v[19:20]
	v_and_b32_e32 v19, 7, v57
; %bb.127:                              ;   in Loop: Header=BB190_13 Depth=1
	s_or_b32 exec_lo, exec_lo, s53
	v_lshlrev_b32_e32 v56, 24, v56
	v_lshlrev_b32_e32 v19, 20, v19
	v_lshl_add_u32 v54, v54, 23, 0x3c000000
	v_and_b32_e32 v56, 0x80000000, v56
	v_or3_b32 v54, v19, v56, v54
.LBB190_128:                            ;   in Loop: Header=BB190_13 Depth=1
	s_or_b32 exec_lo, exec_lo, s52
.LBB190_129:                            ;   in Loop: Header=BB190_13 Depth=1
	s_or_b32 exec_lo, exec_lo, s51
.LBB190_130:                            ;   in Loop: Header=BB190_13 Depth=1
	s_or_b32 exec_lo, exec_lo, s50
	global_load_ubyte v58, v[25:26], off offset:392
	v_mov_b32_e32 v56, 0
	v_mov_b32_e32 v57, 0
	s_mov_b32 s50, exec_lo
	s_waitcnt vmcnt(0)
	v_cmpx_ne_u16_e32 0, v58
	s_cbranch_execz .LBB190_138
; %bb.131:                              ;   in Loop: Header=BB190_13 Depth=1
	v_bfrev_b32_e32 v57, 1
	s_mov_b32 s51, exec_lo
	v_cmpx_ne_u16_e32 0x80, v58
	s_cbranch_execz .LBB190_137
; %bb.132:                              ;   in Loop: Header=BB190_13 Depth=1
	v_and_b32_sdwa v59, v58, v36 dst_sel:DWORD dst_unused:UNUSED_PAD src0_sel:WORD_0 src1_sel:DWORD
	v_mov_b32_e32 v57, 0x7f800001
	s_mov_b32 s52, exec_lo
	v_cmpx_ne_u32_e32 0x7f, v59
	s_cbranch_execz .LBB190_136
; %bb.133:                              ;   in Loop: Header=BB190_13 Depth=1
	v_and_b32_sdwa v19, v58, v37 dst_sel:DWORD dst_unused:UNUSED_PAD src0_sel:WORD_0 src1_sel:DWORD
	v_lshrrev_b32_e32 v57, 3, v59
	s_mov_b32 s53, exec_lo
	v_cmpx_gt_u32_e32 8, v59
; %bb.134:                              ;   in Loop: Header=BB190_13 Depth=1
	v_ffbh_u32_e32 v57, v19
	v_min_u32_e32 v57, 32, v57
	v_subrev_nc_u32_e32 v59, 28, v57
	v_sub_nc_u32_e32 v57, 29, v57
	v_lshlrev_b64 v[59:60], v59, v[19:20]
	v_and_b32_e32 v19, 7, v59
; %bb.135:                              ;   in Loop: Header=BB190_13 Depth=1
	s_or_b32 exec_lo, exec_lo, s53
	v_lshlrev_b32_e32 v58, 24, v58
	v_lshlrev_b32_e32 v19, 20, v19
	v_lshl_add_u32 v57, v57, 23, 0x3c000000
	v_and_b32_e32 v58, 0x80000000, v58
	v_or3_b32 v57, v19, v58, v57
.LBB190_136:                            ;   in Loop: Header=BB190_13 Depth=1
	s_or_b32 exec_lo, exec_lo, s52
.LBB190_137:                            ;   in Loop: Header=BB190_13 Depth=1
	s_or_b32 exec_lo, exec_lo, s51
.LBB190_138:                            ;   in Loop: Header=BB190_13 Depth=1
	s_or_b32 exec_lo, exec_lo, s50
	global_load_ubyte v25, v[25:26], off offset:396
	s_mov_b32 s50, exec_lo
	s_waitcnt vmcnt(0)
	v_cmpx_ne_u16_e32 0, v25
	s_cbranch_execz .LBB190_146
; %bb.139:                              ;   in Loop: Header=BB190_13 Depth=1
	v_bfrev_b32_e32 v56, 1
	s_mov_b32 s51, exec_lo
	v_cmpx_ne_u16_e32 0x80, v25
	s_cbranch_execz .LBB190_145
; %bb.140:                              ;   in Loop: Header=BB190_13 Depth=1
	v_and_b32_sdwa v58, v25, v36 dst_sel:DWORD dst_unused:UNUSED_PAD src0_sel:WORD_0 src1_sel:DWORD
	v_mov_b32_e32 v56, 0x7f800001
	s_mov_b32 s52, exec_lo
	v_cmpx_ne_u32_e32 0x7f, v58
	s_cbranch_execz .LBB190_144
; %bb.141:                              ;   in Loop: Header=BB190_13 Depth=1
	v_and_b32_sdwa v19, v25, v37 dst_sel:DWORD dst_unused:UNUSED_PAD src0_sel:WORD_0 src1_sel:DWORD
	v_lshrrev_b32_e32 v26, 3, v58
	s_mov_b32 s53, exec_lo
	v_cmpx_gt_u32_e32 8, v58
; %bb.142:                              ;   in Loop: Header=BB190_13 Depth=1
	v_ffbh_u32_e32 v26, v19
	v_min_u32_e32 v26, 32, v26
	v_subrev_nc_u32_e32 v56, 28, v26
	v_sub_nc_u32_e32 v26, 29, v26
	v_lshlrev_b64 v[58:59], v56, v[19:20]
	v_and_b32_e32 v19, 7, v58
; %bb.143:                              ;   in Loop: Header=BB190_13 Depth=1
	s_or_b32 exec_lo, exec_lo, s53
	v_lshlrev_b32_e32 v25, 24, v25
	v_lshlrev_b32_e32 v19, 20, v19
	v_lshl_add_u32 v26, v26, 23, 0x3c000000
	v_and_b32_e32 v25, 0x80000000, v25
	v_or3_b32 v56, v19, v25, v26
.LBB190_144:                            ;   in Loop: Header=BB190_13 Depth=1
	s_or_b32 exec_lo, exec_lo, s52
.LBB190_145:                            ;   in Loop: Header=BB190_13 Depth=1
	s_or_b32 exec_lo, exec_lo, s51
.LBB190_146:                            ;   in Loop: Header=BB190_13 Depth=1
	s_or_b32 exec_lo, exec_lo, s50
	s_waitcnt lgkmcnt(0)
	v_mul_f32_e32 v19, s49, v42
	v_mul_f32_e32 v25, s49, v43
	;; [unrolled: 1-line block ×4, first 2 shown]
	v_fmac_f32_e32 v14, v13, v25
	v_mul_f32_e32 v13, s49, v44
	v_fmac_f32_e32 v14, v15, v19
	v_mul_f32_e32 v15, s49, v47
	;; [unrolled: 2-line block ×11, first 2 shown]
	v_fmac_f32_e32 v14, v1, v5
	v_xor_b32_e32 v1, 2, v30
	v_mul_f32_e32 v5, s49, v57
	v_fmac_f32_e32 v14, v2, v6
	v_cmp_gt_i32_e64 s3, 32, v1
	v_mul_f32_e32 v2, s49, v56
	v_fmac_f32_e32 v14, v3, v5
	v_cndmask_b32_e64 v1, v30, v1, s3
	v_fmac_f32_e32 v14, v4, v2
	v_lshlrev_b32_e32 v1, 2, v1
	v_xor_b32_e32 v2, 1, v30
	ds_bpermute_b32 v1, v1, v14
	v_cmp_gt_i32_e64 s3, 32, v2
	v_cndmask_b32_e64 v2, v30, v2, s3
	v_lshlrev_b32_e32 v2, 2, v2
	s_waitcnt lgkmcnt(0)
	v_add_f32_e32 v1, v14, v1
	ds_bpermute_b32 v2, v2, v1
	s_and_saveexec_b32 s49, vcc_lo
	s_cbranch_execz .LBB190_11
; %bb.147:                              ;   in Loop: Header=BB190_13 Depth=1
	v_add_nc_u32_e32 v3, v38, v34
	s_waitcnt lgkmcnt(0)
	v_add_f32_e32 v1, v1, v2
	v_cvt_f32_i32_e32 v3, v3
	v_mul_f32_e32 v3, s44, v3
	v_cndmask_b32_e64 v2, 0, v3, s2
	v_max_f32_e32 v3, v31, v31
	v_fmac_f32_e32 v2, s41, v1
	v_add_nc_u32_e32 v1, v32, v34
	v_max_f32_e32 v3, v3, v2
	v_cmp_gt_i32_e64 s3, s31, v1
	v_cndmask_b32_e64 v1, 0, v2, s3
	v_cndmask_b32_e64 v31, v31, v3, s3
	ds_write_b32 v39, v1
	s_branch .LBB190_11
.LBB190_148:
	s_or_b32 exec_lo, exec_lo, s47
.LBB190_149:
	s_or_b32 exec_lo, exec_lo, s45
	v_xor_b32_e32 v1, 16, v30
	v_xor_b32_e32 v3, 8, v30
	v_max_f32_e32 v5, v31, v31
	v_and_b32_e32 v26, 31, v0
	v_cmp_gt_i32_e32 vcc_lo, 32, v1
	v_cndmask_b32_e32 v1, v30, v1, vcc_lo
	v_cmp_gt_i32_e32 vcc_lo, 32, v3
	s_waitcnt lgkmcnt(0)
	v_lshlrev_b32_e32 v2, 2, v1
	v_cndmask_b32_e32 v3, v30, v3, vcc_lo
	ds_bpermute_b32 v1, v2, v31
	v_lshlrev_b32_e32 v4, 2, v3
	s_waitcnt lgkmcnt(0)
	v_max_f32_e32 v1, v1, v1
	v_max_f32_e32 v1, v5, v1
	v_xor_b32_e32 v5, 4, v30
	ds_bpermute_b32 v3, v4, v1
	v_cmp_gt_i32_e32 vcc_lo, 32, v5
	v_cndmask_b32_e32 v5, v30, v5, vcc_lo
	v_cmp_eq_u32_e32 vcc_lo, 0, v26
	v_lshlrev_b32_e32 v7, 2, v5
	v_lshlrev_b32_e32 v5, 2, v27
	s_waitcnt lgkmcnt(0)
	v_max_f32_e32 v3, v3, v3
	v_max_f32_e32 v1, v1, v3
	ds_bpermute_b32 v3, v7, v1
	s_and_saveexec_b32 s2, vcc_lo
	s_cbranch_execz .LBB190_151
; %bb.150:
	s_waitcnt lgkmcnt(0)
	v_max_f32_e32 v3, v3, v3
	v_max_f32_e32 v1, v1, v1
	;; [unrolled: 1-line block ×3, first 2 shown]
	ds_write_b32 v5, v1 offset:256
.LBB190_151:
	s_or_b32 exec_lo, exec_lo, s2
	v_cmp_gt_u32_e64 s2, 4, v26
	v_mov_b32_e32 v1, 0xff7fffff
	v_lshlrev_b32_e32 v6, 2, v26
	s_waitcnt lgkmcnt(0)
	s_barrier
	buffer_gl0_inv
	s_and_saveexec_b32 s3, s2
; %bb.152:
	ds_read_b32 v1, v6 offset:256
; %bb.153:
	s_or_b32 exec_lo, exec_lo, s3
	v_xor_b32_e32 v3, 2, v30
	v_xor_b32_e32 v9, 1, v30
	v_cmp_gt_i32_e64 s3, 32, v3
	v_cndmask_b32_e64 v3, v30, v3, s3
	v_cmp_gt_i32_e64 s3, 32, v9
	v_lshlrev_b32_e32 v8, 2, v3
	v_cndmask_b32_e64 v9, v30, v9, s3
	s_sub_i32 s3, s20, s16
	s_lshl_b32 s3, s3, 3
	s_waitcnt lgkmcnt(0)
	ds_bpermute_b32 v3, v8, v1
	v_max_f32_e32 v1, v1, v1
	v_lshlrev_b32_e32 v30, 2, v9
	v_mov_b32_e32 v9, 0
	s_add_i32 s3, s3, s42
	s_min_i32 s3, s3, s31
	s_sub_i32 s5, s3, s42
	v_cmp_gt_i32_e64 s3, s5, v0
	s_waitcnt lgkmcnt(0)
	v_max_f32_e32 v3, v3, v3
	v_max_f32_e32 v1, v1, v3
	ds_bpermute_b32 v3, v30, v1
	s_waitcnt lgkmcnt(0)
	v_max_f32_e32 v3, v3, v3
	v_max_f32_e32 v1, v1, v3
	v_lshl_add_u32 v3, v0, 2, 0x120
	ds_bpermute_b32 v1, v9, v1
	s_and_saveexec_b32 s12, s3
	s_cbranch_execz .LBB190_157
; %bb.154:
	v_lshl_add_u32 v10, v0, 2, 0x120
	v_mov_b32_e32 v9, 0
	v_mov_b32_e32 v11, v0
	s_mov_b32 s13, 0
	.p2align	6
.LBB190_155:                            ; =>This Inner Loop Header: Depth=1
	ds_read_b32 v12, v10
	v_add_nc_u32_e32 v11, 0x80, v11
	v_cmp_le_i32_e64 s4, s5, v11
	s_or_b32 s13, s4, s13
	s_waitcnt lgkmcnt(0)
	v_sub_f32_e32 v12, v12, v1
	v_mul_f32_e32 v12, 0x3fb8aa3b, v12
	v_exp_f32_e32 v12, v12
	ds_write_b32 v10, v12
	v_add_f32_e32 v9, v9, v12
	v_add_nc_u32_e32 v10, 0x200, v10
	s_andn2_b32 exec_lo, exec_lo, s13
	s_cbranch_execnz .LBB190_155
; %bb.156:
	s_or_b32 exec_lo, exec_lo, s13
.LBB190_157:
	s_or_b32 exec_lo, exec_lo, s12
	ds_bpermute_b32 v2, v2, v9
	s_waitcnt lgkmcnt(0)
	v_add_f32_e32 v2, v9, v2
	ds_bpermute_b32 v4, v4, v2
	s_waitcnt lgkmcnt(0)
	v_add_f32_e32 v2, v2, v4
	;; [unrolled: 3-line block ×5, first 2 shown]
	s_and_saveexec_b32 s4, vcc_lo
; %bb.158:
	ds_write_b32 v5, v2 offset:272
; %bb.159:
	s_or_b32 exec_lo, exec_lo, s4
	s_waitcnt lgkmcnt(0)
	s_barrier
	buffer_gl0_inv
	s_and_saveexec_b32 s4, s2
; %bb.160:
	ds_read_b32 v2, v6 offset:272
; %bb.161:
	s_or_b32 exec_lo, exec_lo, s4
	s_waitcnt lgkmcnt(0)
	ds_bpermute_b32 v4, v8, v2
	s_waitcnt lgkmcnt(0)
	v_add_f32_e32 v2, v2, v4
	ds_bpermute_b32 v4, v30, v2
	s_waitcnt lgkmcnt(0)
	v_add_f32_e32 v2, v2, v4
	v_mov_b32_e32 v4, 0
	ds_bpermute_b32 v2, v4, v2
	s_and_saveexec_b32 s2, s3
	s_cbranch_execz .LBB190_164
; %bb.162:
	s_waitcnt lgkmcnt(0)
	v_add_f32_e32 v4, 0x358637bd, v2
	s_mov_b32 s3, 0
	v_div_scale_f32 v5, null, v4, v4, 1.0
	v_div_scale_f32 v8, vcc_lo, 1.0, v4, 1.0
	v_rcp_f32_e32 v6, v5
	v_fma_f32 v7, -v5, v6, 1.0
	v_fmac_f32_e32 v6, v7, v6
	v_mul_f32_e32 v7, v8, v6
	v_fma_f32 v9, -v5, v7, v8
	v_fmac_f32_e32 v7, v9, v6
	v_fma_f32 v5, -v5, v7, v8
	v_div_fmas_f32 v5, v5, v6, v7
	v_div_fixup_f32 v4, v5, v4, 1.0
	v_mov_b32_e32 v5, v0
.LBB190_163:                            ; =>This Inner Loop Header: Depth=1
	ds_read_b32 v6, v3
	v_add_nc_u32_e32 v5, 0x80, v5
	v_cmp_le_i32_e32 vcc_lo, s5, v5
	s_or_b32 s3, vcc_lo, s3
	s_waitcnt lgkmcnt(0)
	v_mul_f32_e32 v6, v4, v6
	ds_write_b32 v3, v6
	v_add_nc_u32_e32 v3, 0x200, v3
	s_andn2_b32 exec_lo, exec_lo, s3
	s_cbranch_execnz .LBB190_163
.LBB190_164:
	s_or_b32 exec_lo, exec_lo, s2
	s_mul_i32 s2, s7, s30
	s_mov_b32 s4, exec_lo
	s_mul_i32 s2, s2, s9
	s_waitcnt lgkmcnt(0)
	s_barrier
	buffer_gl0_inv
	v_cmpx_eq_u32_e32 0, v0
	s_cbranch_execz .LBB190_166
; %bb.165:
	s_ashr_i32 s3, s2, 31
	s_mul_i32 s44, s7, s6
	s_lshl_b64 s[12:13], s[2:3], 2
	v_mov_b32_e32 v3, 0
	s_add_u32 s3, s26, s12
	s_addc_u32 s5, s27, s13
	s_ashr_i32 s45, s44, 31
	s_lshl_b64 s[26:27], s[44:45], 2
	s_add_u32 s3, s3, s26
	s_addc_u32 s5, s5, s27
	s_ashr_i32 s9, s8, 31
	s_lshl_b64 s[8:9], s[8:9], 2
	s_add_u32 s44, s3, s8
	s_addc_u32 s45, s5, s9
	s_add_u32 s3, s24, s12
	s_addc_u32 s5, s25, s13
	;; [unrolled: 2-line block ×4, first 2 shown]
	global_store_dword v3, v1, s[44:45]
	global_store_dword v3, v2, s[8:9]
.LBB190_166:
	s_or_b32 exec_lo, exec_lo, s4
	v_mov_b32_e32 v36, 0
	v_and_b32_e32 v31, 1, v0
	v_mov_b32_e32 v34, 0
	v_mov_b32_e32 v33, 0
	;; [unrolled: 1-line block ×3, first 2 shown]
	s_and_saveexec_b32 s3, s1
	s_cbranch_execz .LBB190_308
; %bb.167:
	s_sub_i32 s4, s43, s21
	s_ashr_i32 s1, s18, 31
	s_add_u32 s6, s38, s18
	s_addc_u32 s1, s39, s1
	s_abs_i32 s5, s22
	v_and_b32_e32 v4, 0x7c, v29
	v_cvt_f32_u32_e32 v1, s5
	s_sub_i32 s8, 0, s5
	v_lshlrev_b32_e32 v5, 4, v31
	s_add_i32 s40, s40, -1
	v_add_co_u32 v11, s6, s6, v4
	v_rcp_iflag_f32_e32 v3, v1
	v_lshlrev_b64 v[1:2], 2, v[17:18]
	v_lshl_or_b32 v5, v27, 5, v5
	v_add_co_ci_u32_e64 v12, null, s1, 0, s6
	v_and_b32_e32 v35, 4, v29
	v_mov_b32_e32 v6, 0
	v_mov_b32_e32 v29, 0x80
	v_bfrev_b32_e32 v8, 1
	v_mov_b32_e32 v37, 0xffff
	v_mul_f32_e32 v3, 0x4f7ffffe, v3
	v_mov_b32_e32 v10, 0x7f800001
	v_mov_b32_e32 v38, 0xff
	;; [unrolled: 1-line block ×4, first 2 shown]
	v_cvt_u32_f32_e32 v3, v3
	v_mov_b32_e32 v32, 0
	v_mov_b32_e32 v33, 0
	;; [unrolled: 1-line block ×3, first 2 shown]
	v_add_nc_u32_e32 v41, 0x120, v5
	v_mul_lo_u32 v7, s8, v3
	s_lshl_b64 s[8:9], s[36:37], 2
	v_mov_b32_e32 v36, 0
	s_add_u32 s1, s34, s8
	s_addc_u32 s6, s35, s9
	v_add_co_u32 v13, vcc_lo, s1, v1
	v_add_co_ci_u32_e64 v14, null, s6, v2, vcc_lo
	v_mul_hi_u32 v4, v3, v7
	s_mov_b32 s8, s17
	s_mov_b32 s6, 0
	v_add_nc_u32_e32 v42, v3, v4
	s_branch .LBB190_170
.LBB190_168:                            ;   in Loop: Header=BB190_170 Depth=1
	s_or_b32 exec_lo, exec_lo, s1
	v_mul_f32_e32 v16, v1, v56
	v_mul_f32_e32 v18, v1, v54
	;; [unrolled: 1-line block ×4, first 2 shown]
	v_fmac_f32_e32 v16, v2, v55
	v_fmac_f32_e32 v18, v2, v53
	;; [unrolled: 1-line block ×12, first 2 shown]
	v_add_f32_e32 v33, v33, v16
	v_add_f32_e32 v34, v34, v18
	;; [unrolled: 1-line block ×4, first 2 shown]
.LBB190_169:                            ;   in Loop: Header=BB190_170 Depth=1
	s_or_b32 exec_lo, exec_lo, s9
	v_add_nc_u32_e32 v17, 4, v17
	v_add_co_u32 v13, s1, v13, 16
	v_add_co_ci_u32_e64 v14, null, 0, v14, s1
	v_cmp_le_i32_e32 vcc_lo, s20, v17
	v_add_nc_u32_e32 v28, 32, v28
	v_add_nc_u32_e32 v41, 0x80, v41
	s_or_b32 s6, vcc_lo, s6
	s_andn2_b32 exec_lo, exec_lo, s6
	s_cbranch_execz .LBB190_307
.LBB190_170:                            ; =>This Inner Loop Header: Depth=1
	v_sub_nc_u32_e32 v1, 0, v28
	v_max_i32_e32 v1, v28, v1
	v_mul_hi_u32 v2, v1, s19
	v_mul_lo_u32 v3, v2, s11
	v_sub_nc_u32_e32 v1, v1, v3
	v_add_nc_u32_e32 v3, 1, v2
	v_subrev_nc_u32_e32 v4, s11, v1
	v_cmp_le_u32_e32 vcc_lo, s11, v1
	v_cndmask_b32_e32 v2, v2, v3, vcc_lo
	v_cndmask_b32_e32 v1, v1, v4, vcc_lo
	v_ashrrev_i32_e32 v3, 31, v28
	v_add_nc_u32_e32 v4, 1, v2
	v_cmp_le_u32_e32 vcc_lo, s11, v1
	v_xor_b32_e32 v3, s23, v3
	v_cndmask_b32_e32 v1, v2, v4, vcc_lo
	v_xor_b32_e32 v1, v1, v3
	v_sub_nc_u32_e32 v1, v1, v3
	v_add_nc_u32_e32 v2, s33, v1
	v_cmp_lt_i32_e64 s1, s4, v1
	v_sub_nc_u32_e32 v3, 0, v2
	v_max_i32_e32 v3, v2, v3
	v_ashrrev_i32_e32 v2, 31, v2
	v_mul_hi_u32 v4, v3, v42
	v_mul_lo_u32 v4, v4, s5
	v_sub_nc_u32_e32 v3, v3, v4
	v_subrev_nc_u32_e32 v4, s5, v3
	v_cmp_le_u32_e32 vcc_lo, s5, v3
	v_cndmask_b32_e32 v3, v3, v4, vcc_lo
	v_subrev_nc_u32_e32 v4, s5, v3
	v_cmp_le_u32_e32 vcc_lo, s5, v3
	v_cndmask_b32_e32 v3, v3, v4, vcc_lo
	v_xor_b32_e32 v3, v3, v2
	v_sub_nc_u32_e32 v2, v3, v2
	v_cmp_eq_u32_e32 vcc_lo, 0, v2
	s_or_b32 s1, vcc_lo, s1
	s_and_saveexec_b32 s9, s1
	s_cbranch_execz .LBB190_169
; %bb.171:                              ;   in Loop: Header=BB190_170 Depth=1
	global_load_dword v1, v[13:14], off
	s_load_dword s12, s[14:15], 0x0
	v_mov_b32_e32 v20, 0
	v_mov_b32_e32 v18, 0
	;; [unrolled: 1-line block ×4, first 2 shown]
	s_waitcnt vmcnt(0)
	v_mad_i64_i32 v[15:16], null, v1, s8, v[11:12]
	ds_read_b128 v[1:4], v41
	global_load_dword v43, v[15:16], off
	s_waitcnt vmcnt(0)
	v_cmp_ne_u16_sdwa s13, v43, v6 src0_sel:BYTE_0 src1_sel:DWORD
	s_and_saveexec_b32 s1, s13
	s_cbranch_execz .LBB190_179
; %bb.172:                              ;   in Loop: Header=BB190_170 Depth=1
	v_bfrev_b32_e32 v18, 1
	v_mov_b32_e32 v19, 0
	v_cmp_ne_u16_sdwa s17, v43, v29 src0_sel:BYTE_0 src1_sel:DWORD
	s_and_saveexec_b32 s13, s17
	s_cbranch_execz .LBB190_178
; %bb.173:                              ;   in Loop: Header=BB190_170 Depth=1
	v_mov_b32_e32 v18, 0x7f800001
	v_and_b32_e32 v9, 0x7f, v43
	v_mov_b32_e32 v19, 0
	s_mov_b32 s17, exec_lo
	v_cmpx_ne_u32_e32 0x7f, v9
	s_cbranch_execz .LBB190_177
; %bb.174:                              ;   in Loop: Header=BB190_170 Depth=1
	v_and_b32_e32 v5, 7, v43
	v_lshrrev_b32_e32 v7, 3, v9
	s_mov_b32 s18, exec_lo
	v_cmpx_gt_u32_e32 8, v9
; %bb.175:                              ;   in Loop: Header=BB190_170 Depth=1
	v_ffbh_u32_e32 v7, v5
	v_min_u32_e32 v7, 32, v7
	v_subrev_nc_u32_e32 v9, 28, v7
	v_sub_nc_u32_e32 v7, 29, v7
	v_lshlrev_b64 v[18:19], v9, v[5:6]
	v_and_b32_e32 v5, 7, v18
; %bb.176:                              ;   in Loop: Header=BB190_170 Depth=1
	s_or_b32 exec_lo, exec_lo, s18
	v_lshlrev_b32_e32 v9, 24, v43
	v_lshlrev_b32_e32 v5, 20, v5
	v_lshl_add_u32 v7, v7, 23, 0x3c000000
	v_and_b32_e32 v9, 0x80000000, v9
	v_or3_b32 v5, v5, v9, v7
	v_mov_b32_e32 v19, v6
	v_mov_b32_e32 v18, v5
.LBB190_177:                            ;   in Loop: Header=BB190_170 Depth=1
	s_or_b32 exec_lo, exec_lo, s17
.LBB190_178:                            ;   in Loop: Header=BB190_170 Depth=1
	s_or_b32 exec_lo, exec_lo, s13
.LBB190_179:                            ;   in Loop: Header=BB190_170 Depth=1
	s_or_b32 exec_lo, exec_lo, s1
	v_cmp_ne_u16_sdwa s13, v43, v6 src0_sel:BYTE_1 src1_sel:DWORD
	s_and_saveexec_b32 s1, s13
	s_cbranch_execz .LBB190_187
; %bb.180:                              ;   in Loop: Header=BB190_170 Depth=1
	v_mov_b32_e32 v7, v6
	v_mov_b32_e32 v21, v8
	v_cmp_ne_u16_sdwa s17, v43, v29 src0_sel:BYTE_1 src1_sel:DWORD
	v_mov_b32_e32 v20, v7
	s_and_saveexec_b32 s13, s17
	s_cbranch_execz .LBB190_186
; %bb.181:                              ;   in Loop: Header=BB190_170 Depth=1
	v_and_b32_sdwa v5, v37, v43 dst_sel:DWORD dst_unused:UNUSED_PAD src0_sel:DWORD src1_sel:BYTE_1
	v_mov_b32_e32 v9, v6
	v_mov_b32_e32 v21, v10
	s_mov_b32 s17, exec_lo
	v_and_b32_e32 v22, 0x7f, v5
	v_mov_b32_e32 v20, v9
	v_cmpx_ne_u32_e32 0x7f, v22
	s_cbranch_execz .LBB190_185
; %bb.182:                              ;   in Loop: Header=BB190_170 Depth=1
	v_and_b32_e32 v5, 7, v5
	v_lshrrev_b32_e32 v7, 3, v22
	s_mov_b32 s18, exec_lo
	v_cmpx_gt_u32_e32 8, v22
; %bb.183:                              ;   in Loop: Header=BB190_170 Depth=1
	v_ffbh_u32_e32 v7, v5
	v_min_u32_e32 v7, 32, v7
	v_subrev_nc_u32_e32 v9, 28, v7
	v_sub_nc_u32_e32 v7, 29, v7
	v_lshlrev_b64 v[20:21], v9, v[5:6]
	v_and_b32_e32 v5, 7, v20
; %bb.184:                              ;   in Loop: Header=BB190_170 Depth=1
	s_or_b32 exec_lo, exec_lo, s18
	v_lshlrev_b32_e32 v9, 16, v43
	v_lshlrev_b32_e32 v5, 20, v5
	v_lshl_add_u32 v7, v7, 23, 0x3c000000
	v_mov_b32_e32 v20, v6
	v_and_b32_e32 v9, 0x80000000, v9
	v_or3_b32 v21, v5, v9, v7
.LBB190_185:                            ;   in Loop: Header=BB190_170 Depth=1
	s_or_b32 exec_lo, exec_lo, s17
.LBB190_186:                            ;   in Loop: Header=BB190_170 Depth=1
	s_or_b32 exec_lo, exec_lo, s13
.LBB190_187:                            ;   in Loop: Header=BB190_170 Depth=1
	s_or_b32 exec_lo, exec_lo, s1
	v_mov_b32_e32 v24, 0
	v_mov_b32_e32 v22, 0
	v_and_b32_sdwa v5, v43, v38 dst_sel:DWORD dst_unused:UNUSED_PAD src0_sel:WORD_1 src1_sel:DWORD
	v_mov_b32_e32 v25, 0
	v_mov_b32_e32 v23, 0
	s_mov_b32 s1, exec_lo
	v_cmpx_ne_u16_e32 0, v5
	s_cbranch_execz .LBB190_195
; %bb.188:                              ;   in Loop: Header=BB190_170 Depth=1
	v_bfrev_b32_e32 v22, 1
	v_mov_b32_e32 v23, 0
	s_mov_b32 s13, exec_lo
	v_cmpx_ne_u16_e32 0x80, v5
	s_cbranch_execz .LBB190_194
; %bb.189:                              ;   in Loop: Header=BB190_170 Depth=1
	v_mov_b32_e32 v22, 0x7f800001
	v_bfe_u32 v9, v43, 16, 7
	v_mov_b32_e32 v23, 0
	s_mov_b32 s17, exec_lo
	v_cmpx_ne_u32_e32 0x7f, v9
	s_cbranch_execz .LBB190_193
; %bb.190:                              ;   in Loop: Header=BB190_170 Depth=1
	v_and_b32_sdwa v5, v43, v39 dst_sel:DWORD dst_unused:UNUSED_PAD src0_sel:WORD_1 src1_sel:DWORD
	v_lshrrev_b32_e32 v7, 3, v9
	s_mov_b32 s18, exec_lo
	v_cmpx_gt_u32_e32 8, v9
; %bb.191:                              ;   in Loop: Header=BB190_170 Depth=1
	v_ffbh_u32_e32 v7, v5
	v_min_u32_e32 v7, 32, v7
	v_subrev_nc_u32_e32 v9, 28, v7
	v_sub_nc_u32_e32 v7, 29, v7
	v_lshlrev_b64 v[22:23], v9, v[5:6]
	v_and_b32_e32 v5, 7, v22
; %bb.192:                              ;   in Loop: Header=BB190_170 Depth=1
	s_or_b32 exec_lo, exec_lo, s18
	v_lshlrev_b32_sdwa v9, v40, v43 dst_sel:DWORD dst_unused:UNUSED_PAD src0_sel:DWORD src1_sel:WORD_1
	v_lshlrev_b32_e32 v5, 20, v5
	v_lshl_add_u32 v7, v7, 23, 0x3c000000
	v_and_b32_e32 v9, 0x80000000, v9
	v_or3_b32 v5, v5, v9, v7
	v_mov_b32_e32 v23, v6
	v_mov_b32_e32 v22, v5
.LBB190_193:                            ;   in Loop: Header=BB190_170 Depth=1
	s_or_b32 exec_lo, exec_lo, s17
.LBB190_194:                            ;   in Loop: Header=BB190_170 Depth=1
	s_or_b32 exec_lo, exec_lo, s13
.LBB190_195:                            ;   in Loop: Header=BB190_170 Depth=1
	s_or_b32 exec_lo, exec_lo, s1
	s_mov_b32 s1, exec_lo
	v_cmpx_lt_u32_e32 0xffffff, v43
	s_cbranch_execz .LBB190_203
; %bb.196:                              ;   in Loop: Header=BB190_170 Depth=1
	v_mov_b32_e32 v7, v6
	v_mov_b32_e32 v25, v8
	v_cmp_ne_u32_sdwa s17, v43, v29 src0_sel:BYTE_3 src1_sel:DWORD
	v_mov_b32_e32 v24, v7
	s_and_saveexec_b32 s13, s17
	s_cbranch_execz .LBB190_202
; %bb.197:                              ;   in Loop: Header=BB190_170 Depth=1
	v_mov_b32_e32 v9, v6
	v_mov_b32_e32 v25, v10
	v_bfe_u32 v44, v43, 24, 7
	s_mov_b32 s17, exec_lo
	v_mov_b32_e32 v24, v9
	v_cmpx_ne_u32_e32 0x7f, v44
	s_cbranch_execz .LBB190_201
; %bb.198:                              ;   in Loop: Header=BB190_170 Depth=1
	v_and_b32_sdwa v5, v43, v39 dst_sel:DWORD dst_unused:UNUSED_PAD src0_sel:BYTE_3 src1_sel:DWORD
	v_lshrrev_b32_e32 v7, 3, v44
	s_mov_b32 s18, exec_lo
	v_cmpx_gt_u32_e32 8, v44
; %bb.199:                              ;   in Loop: Header=BB190_170 Depth=1
	v_ffbh_u32_e32 v7, v5
	v_min_u32_e32 v7, 32, v7
	v_subrev_nc_u32_e32 v9, 28, v7
	v_sub_nc_u32_e32 v7, 29, v7
	v_lshlrev_b64 v[24:25], v9, v[5:6]
	v_and_b32_e32 v5, 7, v24
; %bb.200:                              ;   in Loop: Header=BB190_170 Depth=1
	s_or_b32 exec_lo, exec_lo, s18
	v_lshlrev_b32_sdwa v9, v40, v43 dst_sel:DWORD dst_unused:UNUSED_PAD src0_sel:DWORD src1_sel:BYTE_3
	v_lshlrev_b32_e32 v5, 20, v5
	v_lshl_add_u32 v7, v7, 23, 0x3c000000
	v_mov_b32_e32 v24, v6
	v_and_b32_e32 v9, 0x80000000, v9
	v_or3_b32 v25, v5, v9, v7
.LBB190_201:                            ;   in Loop: Header=BB190_170 Depth=1
	s_or_b32 exec_lo, exec_lo, s17
.LBB190_202:                            ;   in Loop: Header=BB190_170 Depth=1
	s_or_b32 exec_lo, exec_lo, s13
.LBB190_203:                            ;   in Loop: Header=BB190_170 Depth=1
	s_or_b32 exec_lo, exec_lo, s1
	v_add_nc_u32_e32 v47, v35, v28
	v_or_b32_e32 v5, v21, v19
	v_or_b32_e32 v7, v20, v18
	;; [unrolled: 1-line block ×4, first 2 shown]
	v_cmp_eq_u32_e32 vcc_lo, s40, v17
	s_waitcnt lgkmcnt(0)
	v_mul_f32_e32 v45, s12, v5
	v_mul_f32_e32 v46, s12, v7
	;; [unrolled: 1-line block ×4, first 2 shown]
	v_add_nc_u32_e32 v50, 1, v47
	v_add_nc_u32_e32 v49, 2, v47
	;; [unrolled: 1-line block ×3, first 2 shown]
	s_and_saveexec_b32 s13, vcc_lo
	s_cbranch_execz .LBB190_205
; %bb.204:                              ;   in Loop: Header=BB190_170 Depth=1
	v_cmp_gt_i32_e64 s1, s31, v47
	v_cndmask_b32_e64 v46, 0, v46, s1
	v_cmp_gt_i32_e64 s1, s31, v50
	v_cndmask_b32_e64 v45, 0, v45, s1
	;; [unrolled: 2-line block ×4, first 2 shown]
.LBB190_205:                            ;   in Loop: Header=BB190_170 Depth=1
	s_or_b32 exec_lo, exec_lo, s13
	global_load_dword v51, v[15:16], off offset:128
	v_mov_b32_e32 v20, 0
	v_mov_b32_e32 v18, 0
	;; [unrolled: 1-line block ×4, first 2 shown]
	s_waitcnt vmcnt(0)
	v_cmp_ne_u16_sdwa s1, v51, v6 src0_sel:BYTE_0 src1_sel:DWORD
	s_and_saveexec_b32 s13, s1
	s_cbranch_execz .LBB190_213
; %bb.206:                              ;   in Loop: Header=BB190_170 Depth=1
	v_bfrev_b32_e32 v18, 1
	v_mov_b32_e32 v19, 0
	v_cmp_ne_u16_sdwa s1, v51, v29 src0_sel:BYTE_0 src1_sel:DWORD
	s_and_saveexec_b32 s17, s1
	s_cbranch_execz .LBB190_212
; %bb.207:                              ;   in Loop: Header=BB190_170 Depth=1
	v_mov_b32_e32 v18, 0x7f800001
	v_and_b32_e32 v9, 0x7f, v51
	v_mov_b32_e32 v19, 0
	s_mov_b32 s18, exec_lo
	v_cmpx_ne_u32_e32 0x7f, v9
	s_cbranch_execz .LBB190_211
; %bb.208:                              ;   in Loop: Header=BB190_170 Depth=1
	v_and_b32_e32 v5, 7, v51
	v_lshrrev_b32_e32 v7, 3, v9
	s_mov_b32 s21, exec_lo
	v_cmpx_gt_u32_e32 8, v9
; %bb.209:                              ;   in Loop: Header=BB190_170 Depth=1
	v_ffbh_u32_e32 v7, v5
	v_min_u32_e32 v7, 32, v7
	v_subrev_nc_u32_e32 v9, 28, v7
	v_sub_nc_u32_e32 v7, 29, v7
	v_lshlrev_b64 v[18:19], v9, v[5:6]
	v_and_b32_e32 v5, 7, v18
; %bb.210:                              ;   in Loop: Header=BB190_170 Depth=1
	s_or_b32 exec_lo, exec_lo, s21
	v_lshlrev_b32_e32 v9, 24, v51
	v_lshlrev_b32_e32 v5, 20, v5
	v_lshl_add_u32 v7, v7, 23, 0x3c000000
	v_and_b32_e32 v9, 0x80000000, v9
	v_or3_b32 v5, v5, v9, v7
	v_mov_b32_e32 v19, v6
	v_mov_b32_e32 v18, v5
.LBB190_211:                            ;   in Loop: Header=BB190_170 Depth=1
	s_or_b32 exec_lo, exec_lo, s18
.LBB190_212:                            ;   in Loop: Header=BB190_170 Depth=1
	s_or_b32 exec_lo, exec_lo, s17
.LBB190_213:                            ;   in Loop: Header=BB190_170 Depth=1
	s_or_b32 exec_lo, exec_lo, s13
	v_cmp_ne_u16_sdwa s1, v51, v6 src0_sel:BYTE_1 src1_sel:DWORD
	s_and_saveexec_b32 s13, s1
	s_cbranch_execz .LBB190_221
; %bb.214:                              ;   in Loop: Header=BB190_170 Depth=1
	v_mov_b32_e32 v7, v6
	v_mov_b32_e32 v21, v8
	v_cmp_ne_u16_sdwa s1, v51, v29 src0_sel:BYTE_1 src1_sel:DWORD
	v_mov_b32_e32 v20, v7
	s_and_saveexec_b32 s17, s1
	s_cbranch_execz .LBB190_220
; %bb.215:                              ;   in Loop: Header=BB190_170 Depth=1
	v_and_b32_sdwa v5, v37, v51 dst_sel:DWORD dst_unused:UNUSED_PAD src0_sel:DWORD src1_sel:BYTE_1
	v_mov_b32_e32 v9, v6
	v_mov_b32_e32 v21, v10
	s_mov_b32 s18, exec_lo
	v_and_b32_e32 v22, 0x7f, v5
	v_mov_b32_e32 v20, v9
	v_cmpx_ne_u32_e32 0x7f, v22
	s_cbranch_execz .LBB190_219
; %bb.216:                              ;   in Loop: Header=BB190_170 Depth=1
	v_and_b32_e32 v5, 7, v5
	v_lshrrev_b32_e32 v7, 3, v22
	s_mov_b32 s21, exec_lo
	v_cmpx_gt_u32_e32 8, v22
; %bb.217:                              ;   in Loop: Header=BB190_170 Depth=1
	v_ffbh_u32_e32 v7, v5
	v_min_u32_e32 v7, 32, v7
	v_subrev_nc_u32_e32 v9, 28, v7
	v_sub_nc_u32_e32 v7, 29, v7
	v_lshlrev_b64 v[20:21], v9, v[5:6]
	v_and_b32_e32 v5, 7, v20
; %bb.218:                              ;   in Loop: Header=BB190_170 Depth=1
	s_or_b32 exec_lo, exec_lo, s21
	v_lshlrev_b32_e32 v9, 16, v51
	v_lshlrev_b32_e32 v5, 20, v5
	v_lshl_add_u32 v7, v7, 23, 0x3c000000
	v_mov_b32_e32 v20, v6
	v_and_b32_e32 v9, 0x80000000, v9
	v_or3_b32 v21, v5, v9, v7
.LBB190_219:                            ;   in Loop: Header=BB190_170 Depth=1
	s_or_b32 exec_lo, exec_lo, s18
.LBB190_220:                            ;   in Loop: Header=BB190_170 Depth=1
	s_or_b32 exec_lo, exec_lo, s17
.LBB190_221:                            ;   in Loop: Header=BB190_170 Depth=1
	s_or_b32 exec_lo, exec_lo, s13
	v_mov_b32_e32 v24, 0
	v_mov_b32_e32 v22, 0
	v_and_b32_sdwa v5, v51, v38 dst_sel:DWORD dst_unused:UNUSED_PAD src0_sel:WORD_1 src1_sel:DWORD
	v_mov_b32_e32 v25, 0
	v_mov_b32_e32 v23, 0
	s_mov_b32 s13, exec_lo
	v_cmpx_ne_u16_e32 0, v5
	s_cbranch_execz .LBB190_229
; %bb.222:                              ;   in Loop: Header=BB190_170 Depth=1
	v_bfrev_b32_e32 v22, 1
	v_mov_b32_e32 v23, 0
	s_mov_b32 s17, exec_lo
	v_cmpx_ne_u16_e32 0x80, v5
	s_cbranch_execz .LBB190_228
; %bb.223:                              ;   in Loop: Header=BB190_170 Depth=1
	v_mov_b32_e32 v22, 0x7f800001
	v_bfe_u32 v9, v51, 16, 7
	v_mov_b32_e32 v23, 0
	s_mov_b32 s18, exec_lo
	v_cmpx_ne_u32_e32 0x7f, v9
	s_cbranch_execz .LBB190_227
; %bb.224:                              ;   in Loop: Header=BB190_170 Depth=1
	v_and_b32_sdwa v5, v51, v39 dst_sel:DWORD dst_unused:UNUSED_PAD src0_sel:WORD_1 src1_sel:DWORD
	v_lshrrev_b32_e32 v7, 3, v9
	s_mov_b32 s21, exec_lo
	v_cmpx_gt_u32_e32 8, v9
; %bb.225:                              ;   in Loop: Header=BB190_170 Depth=1
	v_ffbh_u32_e32 v7, v5
	v_min_u32_e32 v7, 32, v7
	v_subrev_nc_u32_e32 v9, 28, v7
	v_sub_nc_u32_e32 v7, 29, v7
	v_lshlrev_b64 v[22:23], v9, v[5:6]
	v_and_b32_e32 v5, 7, v22
; %bb.226:                              ;   in Loop: Header=BB190_170 Depth=1
	s_or_b32 exec_lo, exec_lo, s21
	v_lshlrev_b32_sdwa v9, v40, v51 dst_sel:DWORD dst_unused:UNUSED_PAD src0_sel:DWORD src1_sel:WORD_1
	v_lshlrev_b32_e32 v5, 20, v5
	v_lshl_add_u32 v7, v7, 23, 0x3c000000
	v_and_b32_e32 v9, 0x80000000, v9
	v_or3_b32 v5, v5, v9, v7
	v_mov_b32_e32 v23, v6
	v_mov_b32_e32 v22, v5
.LBB190_227:                            ;   in Loop: Header=BB190_170 Depth=1
	s_or_b32 exec_lo, exec_lo, s18
.LBB190_228:                            ;   in Loop: Header=BB190_170 Depth=1
	s_or_b32 exec_lo, exec_lo, s17
.LBB190_229:                            ;   in Loop: Header=BB190_170 Depth=1
	s_or_b32 exec_lo, exec_lo, s13
	s_mov_b32 s13, exec_lo
	v_cmpx_lt_u32_e32 0xffffff, v51
	s_cbranch_execz .LBB190_237
; %bb.230:                              ;   in Loop: Header=BB190_170 Depth=1
	v_mov_b32_e32 v7, v6
	v_mov_b32_e32 v25, v8
	v_cmp_ne_u32_sdwa s1, v51, v29 src0_sel:BYTE_3 src1_sel:DWORD
	v_mov_b32_e32 v24, v7
	s_and_saveexec_b32 s17, s1
	s_cbranch_execz .LBB190_236
; %bb.231:                              ;   in Loop: Header=BB190_170 Depth=1
	v_mov_b32_e32 v9, v6
	v_mov_b32_e32 v25, v10
	v_bfe_u32 v52, v51, 24, 7
	s_mov_b32 s18, exec_lo
	v_mov_b32_e32 v24, v9
	v_cmpx_ne_u32_e32 0x7f, v52
	s_cbranch_execz .LBB190_235
; %bb.232:                              ;   in Loop: Header=BB190_170 Depth=1
	v_and_b32_sdwa v5, v51, v39 dst_sel:DWORD dst_unused:UNUSED_PAD src0_sel:BYTE_3 src1_sel:DWORD
	v_lshrrev_b32_e32 v7, 3, v52
	s_mov_b32 s21, exec_lo
	v_cmpx_gt_u32_e32 8, v52
; %bb.233:                              ;   in Loop: Header=BB190_170 Depth=1
	v_ffbh_u32_e32 v7, v5
	v_min_u32_e32 v7, 32, v7
	v_subrev_nc_u32_e32 v9, 28, v7
	v_sub_nc_u32_e32 v7, 29, v7
	v_lshlrev_b64 v[24:25], v9, v[5:6]
	v_and_b32_e32 v5, 7, v24
; %bb.234:                              ;   in Loop: Header=BB190_170 Depth=1
	s_or_b32 exec_lo, exec_lo, s21
	v_lshlrev_b32_sdwa v9, v40, v51 dst_sel:DWORD dst_unused:UNUSED_PAD src0_sel:DWORD src1_sel:BYTE_3
	v_lshlrev_b32_e32 v5, 20, v5
	v_lshl_add_u32 v7, v7, 23, 0x3c000000
	v_mov_b32_e32 v24, v6
	v_and_b32_e32 v9, 0x80000000, v9
	v_or3_b32 v25, v5, v9, v7
.LBB190_235:                            ;   in Loop: Header=BB190_170 Depth=1
	s_or_b32 exec_lo, exec_lo, s18
.LBB190_236:                            ;   in Loop: Header=BB190_170 Depth=1
	s_or_b32 exec_lo, exec_lo, s17
.LBB190_237:                            ;   in Loop: Header=BB190_170 Depth=1
	s_or_b32 exec_lo, exec_lo, s13
	v_or_b32_e32 v5, v21, v19
	v_or_b32_e32 v7, v20, v18
	;; [unrolled: 1-line block ×4, first 2 shown]
	s_mov_b32 s13, s12
	v_mul_f32_e32 v53, s13, v5
	v_mul_f32_e32 v54, s12, v7
	;; [unrolled: 1-line block ×4, first 2 shown]
	s_and_saveexec_b32 s17, vcc_lo
	s_cbranch_execz .LBB190_239
; %bb.238:                              ;   in Loop: Header=BB190_170 Depth=1
	v_cmp_gt_i32_e64 s1, s31, v47
	v_cndmask_b32_e64 v54, 0, v54, s1
	v_cmp_gt_i32_e64 s1, s31, v50
	v_cndmask_b32_e64 v53, 0, v53, s1
	;; [unrolled: 2-line block ×4, first 2 shown]
.LBB190_239:                            ;   in Loop: Header=BB190_170 Depth=1
	s_or_b32 exec_lo, exec_lo, s17
	global_load_dword v55, v[15:16], off offset:256
	v_mov_b32_e32 v20, 0
	v_mov_b32_e32 v18, 0
	;; [unrolled: 1-line block ×4, first 2 shown]
	s_waitcnt vmcnt(0)
	v_cmp_ne_u16_sdwa s1, v55, v6 src0_sel:BYTE_0 src1_sel:DWORD
	s_and_saveexec_b32 s17, s1
	s_cbranch_execz .LBB190_247
; %bb.240:                              ;   in Loop: Header=BB190_170 Depth=1
	v_bfrev_b32_e32 v18, 1
	v_mov_b32_e32 v19, 0
	v_cmp_ne_u16_sdwa s1, v55, v29 src0_sel:BYTE_0 src1_sel:DWORD
	s_and_saveexec_b32 s18, s1
	s_cbranch_execz .LBB190_246
; %bb.241:                              ;   in Loop: Header=BB190_170 Depth=1
	v_mov_b32_e32 v18, 0x7f800001
	v_and_b32_e32 v9, 0x7f, v55
	v_mov_b32_e32 v19, 0
	s_mov_b32 s21, exec_lo
	v_cmpx_ne_u32_e32 0x7f, v9
	s_cbranch_execz .LBB190_245
; %bb.242:                              ;   in Loop: Header=BB190_170 Depth=1
	v_and_b32_e32 v5, 7, v55
	v_lshrrev_b32_e32 v7, 3, v9
	s_mov_b32 s22, exec_lo
	v_cmpx_gt_u32_e32 8, v9
; %bb.243:                              ;   in Loop: Header=BB190_170 Depth=1
	v_ffbh_u32_e32 v7, v5
	v_min_u32_e32 v7, 32, v7
	v_subrev_nc_u32_e32 v9, 28, v7
	v_sub_nc_u32_e32 v7, 29, v7
	v_lshlrev_b64 v[18:19], v9, v[5:6]
	v_and_b32_e32 v5, 7, v18
; %bb.244:                              ;   in Loop: Header=BB190_170 Depth=1
	s_or_b32 exec_lo, exec_lo, s22
	v_lshlrev_b32_e32 v9, 24, v55
	v_lshlrev_b32_e32 v5, 20, v5
	v_lshl_add_u32 v7, v7, 23, 0x3c000000
	v_and_b32_e32 v9, 0x80000000, v9
	v_or3_b32 v5, v5, v9, v7
	v_mov_b32_e32 v19, v6
	v_mov_b32_e32 v18, v5
.LBB190_245:                            ;   in Loop: Header=BB190_170 Depth=1
	s_or_b32 exec_lo, exec_lo, s21
.LBB190_246:                            ;   in Loop: Header=BB190_170 Depth=1
	s_or_b32 exec_lo, exec_lo, s18
.LBB190_247:                            ;   in Loop: Header=BB190_170 Depth=1
	s_or_b32 exec_lo, exec_lo, s17
	v_cmp_ne_u16_sdwa s1, v55, v6 src0_sel:BYTE_1 src1_sel:DWORD
	s_and_saveexec_b32 s17, s1
	s_cbranch_execz .LBB190_255
; %bb.248:                              ;   in Loop: Header=BB190_170 Depth=1
	v_mov_b32_e32 v7, v6
	v_mov_b32_e32 v21, v8
	v_cmp_ne_u16_sdwa s1, v55, v29 src0_sel:BYTE_1 src1_sel:DWORD
	v_mov_b32_e32 v20, v7
	s_and_saveexec_b32 s18, s1
	s_cbranch_execz .LBB190_254
; %bb.249:                              ;   in Loop: Header=BB190_170 Depth=1
	v_and_b32_sdwa v5, v37, v55 dst_sel:DWORD dst_unused:UNUSED_PAD src0_sel:DWORD src1_sel:BYTE_1
	v_mov_b32_e32 v9, v6
	v_mov_b32_e32 v21, v10
	s_mov_b32 s21, exec_lo
	v_and_b32_e32 v22, 0x7f, v5
	v_mov_b32_e32 v20, v9
	v_cmpx_ne_u32_e32 0x7f, v22
	s_cbranch_execz .LBB190_253
; %bb.250:                              ;   in Loop: Header=BB190_170 Depth=1
	v_and_b32_e32 v5, 7, v5
	v_lshrrev_b32_e32 v7, 3, v22
	s_mov_b32 s22, exec_lo
	v_cmpx_gt_u32_e32 8, v22
; %bb.251:                              ;   in Loop: Header=BB190_170 Depth=1
	v_ffbh_u32_e32 v7, v5
	v_min_u32_e32 v7, 32, v7
	v_subrev_nc_u32_e32 v9, 28, v7
	v_sub_nc_u32_e32 v7, 29, v7
	v_lshlrev_b64 v[20:21], v9, v[5:6]
	v_and_b32_e32 v5, 7, v20
; %bb.252:                              ;   in Loop: Header=BB190_170 Depth=1
	s_or_b32 exec_lo, exec_lo, s22
	v_lshlrev_b32_e32 v9, 16, v55
	v_lshlrev_b32_e32 v5, 20, v5
	v_lshl_add_u32 v7, v7, 23, 0x3c000000
	v_mov_b32_e32 v20, v6
	v_and_b32_e32 v9, 0x80000000, v9
	v_or3_b32 v21, v5, v9, v7
.LBB190_253:                            ;   in Loop: Header=BB190_170 Depth=1
	s_or_b32 exec_lo, exec_lo, s21
.LBB190_254:                            ;   in Loop: Header=BB190_170 Depth=1
	s_or_b32 exec_lo, exec_lo, s18
.LBB190_255:                            ;   in Loop: Header=BB190_170 Depth=1
	s_or_b32 exec_lo, exec_lo, s17
	v_mov_b32_e32 v24, 0
	v_mov_b32_e32 v22, 0
	v_and_b32_sdwa v5, v55, v38 dst_sel:DWORD dst_unused:UNUSED_PAD src0_sel:WORD_1 src1_sel:DWORD
	v_mov_b32_e32 v25, 0
	v_mov_b32_e32 v23, 0
	s_mov_b32 s17, exec_lo
	v_cmpx_ne_u16_e32 0, v5
	s_cbranch_execz .LBB190_263
; %bb.256:                              ;   in Loop: Header=BB190_170 Depth=1
	v_bfrev_b32_e32 v22, 1
	v_mov_b32_e32 v23, 0
	s_mov_b32 s18, exec_lo
	v_cmpx_ne_u16_e32 0x80, v5
	s_cbranch_execz .LBB190_262
; %bb.257:                              ;   in Loop: Header=BB190_170 Depth=1
	v_mov_b32_e32 v22, 0x7f800001
	v_bfe_u32 v9, v55, 16, 7
	v_mov_b32_e32 v23, 0
	s_mov_b32 s21, exec_lo
	v_cmpx_ne_u32_e32 0x7f, v9
	s_cbranch_execz .LBB190_261
; %bb.258:                              ;   in Loop: Header=BB190_170 Depth=1
	v_and_b32_sdwa v5, v55, v39 dst_sel:DWORD dst_unused:UNUSED_PAD src0_sel:WORD_1 src1_sel:DWORD
	v_lshrrev_b32_e32 v7, 3, v9
	s_mov_b32 s22, exec_lo
	v_cmpx_gt_u32_e32 8, v9
; %bb.259:                              ;   in Loop: Header=BB190_170 Depth=1
	v_ffbh_u32_e32 v7, v5
	v_min_u32_e32 v7, 32, v7
	v_subrev_nc_u32_e32 v9, 28, v7
	v_sub_nc_u32_e32 v7, 29, v7
	v_lshlrev_b64 v[22:23], v9, v[5:6]
	v_and_b32_e32 v5, 7, v22
; %bb.260:                              ;   in Loop: Header=BB190_170 Depth=1
	s_or_b32 exec_lo, exec_lo, s22
	v_lshlrev_b32_sdwa v9, v40, v55 dst_sel:DWORD dst_unused:UNUSED_PAD src0_sel:DWORD src1_sel:WORD_1
	v_lshlrev_b32_e32 v5, 20, v5
	v_lshl_add_u32 v7, v7, 23, 0x3c000000
	v_and_b32_e32 v9, 0x80000000, v9
	v_or3_b32 v5, v5, v9, v7
	v_mov_b32_e32 v23, v6
	v_mov_b32_e32 v22, v5
.LBB190_261:                            ;   in Loop: Header=BB190_170 Depth=1
	s_or_b32 exec_lo, exec_lo, s21
.LBB190_262:                            ;   in Loop: Header=BB190_170 Depth=1
	s_or_b32 exec_lo, exec_lo, s18
.LBB190_263:                            ;   in Loop: Header=BB190_170 Depth=1
	s_or_b32 exec_lo, exec_lo, s17
	s_mov_b32 s17, exec_lo
	v_cmpx_lt_u32_e32 0xffffff, v55
	s_cbranch_execz .LBB190_271
; %bb.264:                              ;   in Loop: Header=BB190_170 Depth=1
	v_mov_b32_e32 v7, v6
	v_mov_b32_e32 v25, v8
	v_cmp_ne_u32_sdwa s1, v55, v29 src0_sel:BYTE_3 src1_sel:DWORD
	v_mov_b32_e32 v24, v7
	s_and_saveexec_b32 s18, s1
	s_cbranch_execz .LBB190_270
; %bb.265:                              ;   in Loop: Header=BB190_170 Depth=1
	v_mov_b32_e32 v9, v6
	v_mov_b32_e32 v25, v10
	v_bfe_u32 v56, v55, 24, 7
	s_mov_b32 s21, exec_lo
	v_mov_b32_e32 v24, v9
	v_cmpx_ne_u32_e32 0x7f, v56
	s_cbranch_execz .LBB190_269
; %bb.266:                              ;   in Loop: Header=BB190_170 Depth=1
	v_and_b32_sdwa v5, v55, v39 dst_sel:DWORD dst_unused:UNUSED_PAD src0_sel:BYTE_3 src1_sel:DWORD
	v_lshrrev_b32_e32 v7, 3, v56
	s_mov_b32 s22, exec_lo
	v_cmpx_gt_u32_e32 8, v56
; %bb.267:                              ;   in Loop: Header=BB190_170 Depth=1
	v_ffbh_u32_e32 v7, v5
	v_min_u32_e32 v7, 32, v7
	v_subrev_nc_u32_e32 v9, 28, v7
	v_sub_nc_u32_e32 v7, 29, v7
	v_lshlrev_b64 v[24:25], v9, v[5:6]
	v_and_b32_e32 v5, 7, v24
; %bb.268:                              ;   in Loop: Header=BB190_170 Depth=1
	s_or_b32 exec_lo, exec_lo, s22
	v_lshlrev_b32_sdwa v9, v40, v55 dst_sel:DWORD dst_unused:UNUSED_PAD src0_sel:DWORD src1_sel:BYTE_3
	v_lshlrev_b32_e32 v5, 20, v5
	v_lshl_add_u32 v7, v7, 23, 0x3c000000
	v_mov_b32_e32 v24, v6
	v_and_b32_e32 v9, 0x80000000, v9
	v_or3_b32 v25, v5, v9, v7
.LBB190_269:                            ;   in Loop: Header=BB190_170 Depth=1
	s_or_b32 exec_lo, exec_lo, s21
.LBB190_270:                            ;   in Loop: Header=BB190_170 Depth=1
	s_or_b32 exec_lo, exec_lo, s18
.LBB190_271:                            ;   in Loop: Header=BB190_170 Depth=1
	s_or_b32 exec_lo, exec_lo, s17
	v_or_b32_e32 v5, v21, v19
	v_or_b32_e32 v7, v20, v18
	;; [unrolled: 1-line block ×4, first 2 shown]
	v_mul_f32_e32 v55, s13, v5
	v_mul_f32_e32 v56, s12, v7
	;; [unrolled: 1-line block ×4, first 2 shown]
	s_and_saveexec_b32 s17, vcc_lo
	s_cbranch_execz .LBB190_273
; %bb.272:                              ;   in Loop: Header=BB190_170 Depth=1
	v_cmp_gt_i32_e64 s1, s31, v47
	v_cndmask_b32_e64 v56, 0, v56, s1
	v_cmp_gt_i32_e64 s1, s31, v50
	v_cndmask_b32_e64 v55, 0, v55, s1
	;; [unrolled: 2-line block ×4, first 2 shown]
.LBB190_273:                            ;   in Loop: Header=BB190_170 Depth=1
	s_or_b32 exec_lo, exec_lo, s17
	global_load_dword v57, v[15:16], off offset:384
	v_mov_b32_e32 v18, 0
	v_mov_b32_e32 v15, 0
	v_mov_b32_e32 v19, 0
	v_mov_b32_e32 v16, 0
	s_waitcnt vmcnt(0)
	v_cmp_ne_u16_sdwa s1, v57, v6 src0_sel:BYTE_0 src1_sel:DWORD
	s_and_saveexec_b32 s17, s1
	s_cbranch_execz .LBB190_281
; %bb.274:                              ;   in Loop: Header=BB190_170 Depth=1
	v_bfrev_b32_e32 v15, 1
	v_mov_b32_e32 v16, 0
	v_cmp_ne_u16_sdwa s1, v57, v29 src0_sel:BYTE_0 src1_sel:DWORD
	s_and_saveexec_b32 s18, s1
	s_cbranch_execz .LBB190_280
; %bb.275:                              ;   in Loop: Header=BB190_170 Depth=1
	v_mov_b32_e32 v15, 0x7f800001
	v_and_b32_e32 v9, 0x7f, v57
	v_mov_b32_e32 v16, 0
	s_mov_b32 s21, exec_lo
	v_cmpx_ne_u32_e32 0x7f, v9
	s_cbranch_execz .LBB190_279
; %bb.276:                              ;   in Loop: Header=BB190_170 Depth=1
	v_and_b32_e32 v5, 7, v57
	v_lshrrev_b32_e32 v7, 3, v9
	s_mov_b32 s22, exec_lo
	v_cmpx_gt_u32_e32 8, v9
; %bb.277:                              ;   in Loop: Header=BB190_170 Depth=1
	v_ffbh_u32_e32 v7, v5
	v_min_u32_e32 v7, 32, v7
	v_subrev_nc_u32_e32 v9, 28, v7
	v_sub_nc_u32_e32 v7, 29, v7
	v_lshlrev_b64 v[15:16], v9, v[5:6]
	v_and_b32_e32 v5, 7, v15
; %bb.278:                              ;   in Loop: Header=BB190_170 Depth=1
	s_or_b32 exec_lo, exec_lo, s22
	v_lshlrev_b32_e32 v9, 24, v57
	v_lshlrev_b32_e32 v5, 20, v5
	v_lshl_add_u32 v7, v7, 23, 0x3c000000
	v_and_b32_e32 v9, 0x80000000, v9
	v_or3_b32 v5, v5, v9, v7
	v_mov_b32_e32 v16, v6
	v_mov_b32_e32 v15, v5
.LBB190_279:                            ;   in Loop: Header=BB190_170 Depth=1
	s_or_b32 exec_lo, exec_lo, s21
.LBB190_280:                            ;   in Loop: Header=BB190_170 Depth=1
	s_or_b32 exec_lo, exec_lo, s18
.LBB190_281:                            ;   in Loop: Header=BB190_170 Depth=1
	s_or_b32 exec_lo, exec_lo, s17
	v_cmp_ne_u16_sdwa s1, v57, v6 src0_sel:BYTE_1 src1_sel:DWORD
	s_and_saveexec_b32 s17, s1
	s_cbranch_execz .LBB190_289
; %bb.282:                              ;   in Loop: Header=BB190_170 Depth=1
	v_mov_b32_e32 v7, v6
	v_mov_b32_e32 v19, v8
	v_cmp_ne_u16_sdwa s1, v57, v29 src0_sel:BYTE_1 src1_sel:DWORD
	v_mov_b32_e32 v18, v7
	s_and_saveexec_b32 s18, s1
	s_cbranch_execz .LBB190_288
; %bb.283:                              ;   in Loop: Header=BB190_170 Depth=1
	v_and_b32_sdwa v5, v37, v57 dst_sel:DWORD dst_unused:UNUSED_PAD src0_sel:DWORD src1_sel:BYTE_1
	v_mov_b32_e32 v9, v6
	v_mov_b32_e32 v19, v10
	s_mov_b32 s21, exec_lo
	v_and_b32_e32 v20, 0x7f, v5
	v_mov_b32_e32 v18, v9
	v_cmpx_ne_u32_e32 0x7f, v20
	s_cbranch_execz .LBB190_287
; %bb.284:                              ;   in Loop: Header=BB190_170 Depth=1
	v_and_b32_e32 v5, 7, v5
	v_lshrrev_b32_e32 v7, 3, v20
	s_mov_b32 s22, exec_lo
	v_cmpx_gt_u32_e32 8, v20
; %bb.285:                              ;   in Loop: Header=BB190_170 Depth=1
	v_ffbh_u32_e32 v7, v5
	v_min_u32_e32 v7, 32, v7
	v_subrev_nc_u32_e32 v9, 28, v7
	v_sub_nc_u32_e32 v7, 29, v7
	v_lshlrev_b64 v[18:19], v9, v[5:6]
	v_and_b32_e32 v5, 7, v18
; %bb.286:                              ;   in Loop: Header=BB190_170 Depth=1
	s_or_b32 exec_lo, exec_lo, s22
	v_lshlrev_b32_e32 v9, 16, v57
	v_lshlrev_b32_e32 v5, 20, v5
	v_lshl_add_u32 v7, v7, 23, 0x3c000000
	v_mov_b32_e32 v18, v6
	v_and_b32_e32 v9, 0x80000000, v9
	v_or3_b32 v19, v5, v9, v7
.LBB190_287:                            ;   in Loop: Header=BB190_170 Depth=1
	s_or_b32 exec_lo, exec_lo, s21
.LBB190_288:                            ;   in Loop: Header=BB190_170 Depth=1
	s_or_b32 exec_lo, exec_lo, s18
.LBB190_289:                            ;   in Loop: Header=BB190_170 Depth=1
	s_or_b32 exec_lo, exec_lo, s17
	v_mov_b32_e32 v22, 0
	v_mov_b32_e32 v20, 0
	v_and_b32_sdwa v5, v57, v38 dst_sel:DWORD dst_unused:UNUSED_PAD src0_sel:WORD_1 src1_sel:DWORD
	v_mov_b32_e32 v23, 0
	v_mov_b32_e32 v21, 0
	s_mov_b32 s17, exec_lo
	v_cmpx_ne_u16_e32 0, v5
	s_cbranch_execz .LBB190_297
; %bb.290:                              ;   in Loop: Header=BB190_170 Depth=1
	v_bfrev_b32_e32 v20, 1
	v_mov_b32_e32 v21, 0
	s_mov_b32 s18, exec_lo
	v_cmpx_ne_u16_e32 0x80, v5
	s_cbranch_execz .LBB190_296
; %bb.291:                              ;   in Loop: Header=BB190_170 Depth=1
	v_mov_b32_e32 v20, 0x7f800001
	v_bfe_u32 v9, v57, 16, 7
	v_mov_b32_e32 v21, 0
	s_mov_b32 s21, exec_lo
	v_cmpx_ne_u32_e32 0x7f, v9
	s_cbranch_execz .LBB190_295
; %bb.292:                              ;   in Loop: Header=BB190_170 Depth=1
	v_and_b32_sdwa v5, v57, v39 dst_sel:DWORD dst_unused:UNUSED_PAD src0_sel:WORD_1 src1_sel:DWORD
	v_lshrrev_b32_e32 v7, 3, v9
	s_mov_b32 s22, exec_lo
	v_cmpx_gt_u32_e32 8, v9
; %bb.293:                              ;   in Loop: Header=BB190_170 Depth=1
	v_ffbh_u32_e32 v7, v5
	v_min_u32_e32 v7, 32, v7
	v_subrev_nc_u32_e32 v9, 28, v7
	v_sub_nc_u32_e32 v7, 29, v7
	v_lshlrev_b64 v[20:21], v9, v[5:6]
	v_and_b32_e32 v5, 7, v20
; %bb.294:                              ;   in Loop: Header=BB190_170 Depth=1
	s_or_b32 exec_lo, exec_lo, s22
	v_lshlrev_b32_sdwa v9, v40, v57 dst_sel:DWORD dst_unused:UNUSED_PAD src0_sel:DWORD src1_sel:WORD_1
	v_lshlrev_b32_e32 v5, 20, v5
	v_lshl_add_u32 v7, v7, 23, 0x3c000000
	v_and_b32_e32 v9, 0x80000000, v9
	v_or3_b32 v5, v5, v9, v7
	v_mov_b32_e32 v21, v6
	v_mov_b32_e32 v20, v5
.LBB190_295:                            ;   in Loop: Header=BB190_170 Depth=1
	s_or_b32 exec_lo, exec_lo, s21
.LBB190_296:                            ;   in Loop: Header=BB190_170 Depth=1
	s_or_b32 exec_lo, exec_lo, s18
.LBB190_297:                            ;   in Loop: Header=BB190_170 Depth=1
	s_or_b32 exec_lo, exec_lo, s17
	s_mov_b32 s17, exec_lo
	v_cmpx_lt_u32_e32 0xffffff, v57
	s_cbranch_execz .LBB190_305
; %bb.298:                              ;   in Loop: Header=BB190_170 Depth=1
	v_mov_b32_e32 v7, v6
	v_mov_b32_e32 v23, v8
	v_cmp_ne_u32_sdwa s1, v57, v29 src0_sel:BYTE_3 src1_sel:DWORD
	v_mov_b32_e32 v22, v7
	s_and_saveexec_b32 s18, s1
	s_cbranch_execz .LBB190_304
; %bb.299:                              ;   in Loop: Header=BB190_170 Depth=1
	v_mov_b32_e32 v9, v6
	v_mov_b32_e32 v23, v10
	v_bfe_u32 v58, v57, 24, 7
	s_mov_b32 s21, exec_lo
	v_mov_b32_e32 v22, v9
	v_cmpx_ne_u32_e32 0x7f, v58
	s_cbranch_execz .LBB190_303
; %bb.300:                              ;   in Loop: Header=BB190_170 Depth=1
	v_and_b32_sdwa v5, v57, v39 dst_sel:DWORD dst_unused:UNUSED_PAD src0_sel:BYTE_3 src1_sel:DWORD
	v_lshrrev_b32_e32 v7, 3, v58
	s_mov_b32 s22, exec_lo
	v_cmpx_gt_u32_e32 8, v58
; %bb.301:                              ;   in Loop: Header=BB190_170 Depth=1
	v_ffbh_u32_e32 v7, v5
	v_min_u32_e32 v7, 32, v7
	v_subrev_nc_u32_e32 v9, 28, v7
	v_sub_nc_u32_e32 v7, 29, v7
	v_lshlrev_b64 v[22:23], v9, v[5:6]
	v_and_b32_e32 v5, 7, v22
; %bb.302:                              ;   in Loop: Header=BB190_170 Depth=1
	s_or_b32 exec_lo, exec_lo, s22
	v_lshlrev_b32_sdwa v9, v40, v57 dst_sel:DWORD dst_unused:UNUSED_PAD src0_sel:DWORD src1_sel:BYTE_3
	v_lshlrev_b32_e32 v5, 20, v5
	v_lshl_add_u32 v7, v7, 23, 0x3c000000
	v_mov_b32_e32 v22, v6
	v_and_b32_e32 v9, 0x80000000, v9
	v_or3_b32 v23, v5, v9, v7
.LBB190_303:                            ;   in Loop: Header=BB190_170 Depth=1
	s_or_b32 exec_lo, exec_lo, s21
.LBB190_304:                            ;   in Loop: Header=BB190_170 Depth=1
	s_or_b32 exec_lo, exec_lo, s18
.LBB190_305:                            ;   in Loop: Header=BB190_170 Depth=1
	s_or_b32 exec_lo, exec_lo, s17
	v_or_b32_e32 v5, v19, v16
	v_or_b32_e32 v7, v18, v15
	v_or_b32_e32 v16, v22, v20
	v_or_b32_e32 v18, v23, v21
	v_mul_f32_e32 v9, s13, v5
	v_mul_f32_e32 v15, s12, v7
	;; [unrolled: 1-line block ×4, first 2 shown]
	s_and_saveexec_b32 s1, vcc_lo
	s_cbranch_execz .LBB190_168
; %bb.306:                              ;   in Loop: Header=BB190_170 Depth=1
	v_cmp_gt_i32_e32 vcc_lo, s31, v47
	v_cndmask_b32_e32 v15, 0, v15, vcc_lo
	v_cmp_gt_i32_e32 vcc_lo, s31, v50
	v_cndmask_b32_e32 v9, 0, v9, vcc_lo
	;; [unrolled: 2-line block ×4, first 2 shown]
	s_branch .LBB190_168
.LBB190_307:
	s_or_b32 exec_lo, exec_lo, s6
.LBB190_308:
	s_or_b32 exec_lo, exec_lo, s3
	ds_bpermute_b32 v1, v30, v36
	ds_bpermute_b32 v2, v30, v34
	;; [unrolled: 1-line block ×4, first 2 shown]
	v_lshrrev_b32_e32 v5, 1, v26
	v_lshlrev_b32_e32 v7, 8, v27
	v_and_b32_e32 v8, 0x3c1, v0
	s_mov_b32 s1, exec_lo
	s_waitcnt lgkmcnt(0)
	s_waitcnt_vscnt null, 0x0
	v_lshl_add_u32 v6, v5, 2, 0x120
	s_barrier
	buffer_gl0_inv
	v_add_f32_e32 v1, v36, v1
	v_add_f32_e32 v2, v34, v2
	;; [unrolled: 1-line block ×4, first 2 shown]
	v_cmpx_eq_u32_e32 64, v8
	s_cbranch_execz .LBB190_310
; %bb.309:
	v_add_nc_u32_e32 v8, v6, v7
	v_add_nc_u32_e32 v9, 0xfffffe00, v8
	;; [unrolled: 1-line block ×5, first 2 shown]
	ds_write_b32 v9, v1
	ds_write_b32 v10, v2
	;; [unrolled: 1-line block ×4, first 2 shown]
.LBB190_310:
	s_or_b32 exec_lo, exec_lo, s1
	v_lshlrev_b32_e32 v5, 2, v5
	v_cmp_eq_u32_e32 vcc_lo, 0, v31
	s_waitcnt lgkmcnt(0)
	s_barrier
	buffer_gl0_inv
	v_add3_u32 v5, 0x120, v7, v5
	s_and_saveexec_b32 s1, s0
	s_cbranch_execz .LBB190_317
; %bb.311:
	s_and_saveexec_b32 s0, vcc_lo
	s_cbranch_execnz .LBB190_329
; %bb.312:
	s_or_b32 exec_lo, exec_lo, s0
	s_and_saveexec_b32 s0, vcc_lo
	s_cbranch_execnz .LBB190_330
.LBB190_313:
	s_or_b32 exec_lo, exec_lo, s0
	s_and_saveexec_b32 s0, vcc_lo
	s_cbranch_execnz .LBB190_331
.LBB190_314:
	s_or_b32 exec_lo, exec_lo, s0
	s_and_saveexec_b32 s0, vcc_lo
	s_cbranch_execz .LBB190_316
.LBB190_315:
	ds_read_b32 v7, v5 offset:192
	s_waitcnt lgkmcnt(0)
	v_add_f32_e32 v4, v4, v7
.LBB190_316:
	s_or_b32 exec_lo, exec_lo, s0
.LBB190_317:
	s_or_b32 exec_lo, exec_lo, s1
	v_and_b32_e32 v7, 0x3e1, v0
	s_mov_b32 s1, exec_lo
	s_barrier
	buffer_gl0_inv
	v_cmpx_eq_u32_e32 32, v7
	s_cbranch_execz .LBB190_319
; %bb.318:
	ds_write2_b32 v6, v1, v2 offset1:16
	ds_write2_b32 v6, v3, v4 offset0:32 offset1:48
.LBB190_319:
	s_or_b32 exec_lo, exec_lo, s1
	s_mov_b32 s1, exec_lo
	s_waitcnt lgkmcnt(0)
	s_barrier
	buffer_gl0_inv
	v_cmpx_gt_u32_e32 32, v0
	s_cbranch_execz .LBB190_326
; %bb.320:
	s_and_saveexec_b32 s0, vcc_lo
	s_cbranch_execnz .LBB190_332
; %bb.321:
	s_or_b32 exec_lo, exec_lo, s0
	s_and_saveexec_b32 s0, vcc_lo
	s_cbranch_execnz .LBB190_333
.LBB190_322:
	s_or_b32 exec_lo, exec_lo, s0
	s_and_saveexec_b32 s0, vcc_lo
	s_cbranch_execnz .LBB190_334
.LBB190_323:
	s_or_b32 exec_lo, exec_lo, s0
	s_and_saveexec_b32 s0, vcc_lo
	s_cbranch_execz .LBB190_325
.LBB190_324:
	ds_read_b32 v5, v5 offset:192
	s_waitcnt lgkmcnt(0)
	v_add_f32_e32 v4, v4, v5
.LBB190_325:
	s_or_b32 exec_lo, exec_lo, s0
.LBB190_326:
	s_or_b32 exec_lo, exec_lo, s1
	s_barrier
	buffer_gl0_inv
	s_mov_b32 s0, exec_lo
	v_cmpx_eq_u32_e32 0, v7
	s_cbranch_execz .LBB190_328
; %bb.327:
	s_lshl_b32 s0, s2, 6
	s_mul_i32 s2, s7, s10
	s_ashr_i32 s1, s0, 31
	v_lshlrev_b32_e32 v0, 1, v0
	s_lshl_b64 s[0:1], s[0:1], 2
	s_add_u32 s4, s28, s0
	s_addc_u32 s5, s29, s1
	s_ashr_i32 s3, s2, 31
	s_lshl_b64 s[0:1], s[2:3], 2
	s_add_u32 s2, s4, s0
	s_addc_u32 s3, s5, s1
	s_ashr_i32 s17, s16, 31
	s_lshl_b64 s[0:1], s[16:17], 2
	s_add_u32 s0, s2, s0
	s_addc_u32 s1, s3, s1
	global_store_dword v0, v1, s[0:1]
	global_store_dword v0, v2, s[0:1] offset:64
	global_store_dword v0, v3, s[0:1] offset:128
	global_store_dword v0, v4, s[0:1] offset:192
.LBB190_328:
	s_endpgm
.LBB190_329:
	ds_read_b32 v7, v5
	s_waitcnt lgkmcnt(0)
	v_add_f32_e32 v1, v1, v7
	s_or_b32 exec_lo, exec_lo, s0
	s_and_saveexec_b32 s0, vcc_lo
	s_cbranch_execz .LBB190_313
.LBB190_330:
	ds_read_b32 v7, v5 offset:64
	s_waitcnt lgkmcnt(0)
	v_add_f32_e32 v2, v2, v7
	s_or_b32 exec_lo, exec_lo, s0
	s_and_saveexec_b32 s0, vcc_lo
	s_cbranch_execz .LBB190_314
.LBB190_331:
	ds_read_b32 v7, v5 offset:128
	s_waitcnt lgkmcnt(0)
	v_add_f32_e32 v3, v3, v7
	s_or_b32 exec_lo, exec_lo, s0
	s_and_saveexec_b32 s0, vcc_lo
	s_cbranch_execnz .LBB190_315
	s_branch .LBB190_316
.LBB190_332:
	ds_read_b32 v6, v5
	s_waitcnt lgkmcnt(0)
	v_add_f32_e32 v1, v1, v6
	s_or_b32 exec_lo, exec_lo, s0
	s_and_saveexec_b32 s0, vcc_lo
	s_cbranch_execz .LBB190_322
.LBB190_333:
	ds_read_b32 v6, v5 offset:64
	s_waitcnt lgkmcnt(0)
	v_add_f32_e32 v2, v2, v6
	s_or_b32 exec_lo, exec_lo, s0
	s_and_saveexec_b32 s0, vcc_lo
	s_cbranch_execz .LBB190_323
.LBB190_334:
	ds_read_b32 v6, v5 offset:128
	s_waitcnt lgkmcnt(0)
	v_add_f32_e32 v3, v3, v6
	s_or_b32 exec_lo, exec_lo, s0
	s_and_saveexec_b32 s0, vcc_lo
	s_cbranch_execnz .LBB190_324
	s_branch .LBB190_325
	.section	.rodata,"a",@progbits
	.p2align	6, 0x0
	.amdhsa_kernel _ZN4vllm25paged_attention_v2_kernelIfhLi64ELi8ELi128ELNS_18Fp8KVCacheDataTypeE1ELb1ELi512EEEvPfS2_PT_PKS3_PKT0_S9_ifPKiSB_iPKfiiiSD_SD_iiiii
		.amdhsa_group_segment_fixed_size 288
		.amdhsa_private_segment_fixed_size 0
		.amdhsa_kernarg_size 400
		.amdhsa_user_sgpr_count 6
		.amdhsa_user_sgpr_private_segment_buffer 1
		.amdhsa_user_sgpr_dispatch_ptr 0
		.amdhsa_user_sgpr_queue_ptr 0
		.amdhsa_user_sgpr_kernarg_segment_ptr 1
		.amdhsa_user_sgpr_dispatch_id 0
		.amdhsa_user_sgpr_flat_scratch_init 0
		.amdhsa_user_sgpr_private_segment_size 0
		.amdhsa_wavefront_size32 1
		.amdhsa_uses_dynamic_stack 0
		.amdhsa_system_sgpr_private_segment_wavefront_offset 0
		.amdhsa_system_sgpr_workgroup_id_x 1
		.amdhsa_system_sgpr_workgroup_id_y 1
		.amdhsa_system_sgpr_workgroup_id_z 1
		.amdhsa_system_sgpr_workgroup_info 0
		.amdhsa_system_vgpr_workitem_id 0
		.amdhsa_next_free_vgpr 61
		.amdhsa_next_free_sgpr 54
		.amdhsa_reserve_vcc 1
		.amdhsa_reserve_flat_scratch 0
		.amdhsa_float_round_mode_32 0
		.amdhsa_float_round_mode_16_64 0
		.amdhsa_float_denorm_mode_32 3
		.amdhsa_float_denorm_mode_16_64 3
		.amdhsa_dx10_clamp 1
		.amdhsa_ieee_mode 1
		.amdhsa_fp16_overflow 0
		.amdhsa_workgroup_processor_mode 1
		.amdhsa_memory_ordered 1
		.amdhsa_forward_progress 1
		.amdhsa_shared_vgpr_count 0
		.amdhsa_exception_fp_ieee_invalid_op 0
		.amdhsa_exception_fp_denorm_src 0
		.amdhsa_exception_fp_ieee_div_zero 0
		.amdhsa_exception_fp_ieee_overflow 0
		.amdhsa_exception_fp_ieee_underflow 0
		.amdhsa_exception_fp_ieee_inexact 0
		.amdhsa_exception_int_div_zero 0
	.end_amdhsa_kernel
	.section	.text._ZN4vllm25paged_attention_v2_kernelIfhLi64ELi8ELi128ELNS_18Fp8KVCacheDataTypeE1ELb1ELi512EEEvPfS2_PT_PKS3_PKT0_S9_ifPKiSB_iPKfiiiSD_SD_iiiii,"axG",@progbits,_ZN4vllm25paged_attention_v2_kernelIfhLi64ELi8ELi128ELNS_18Fp8KVCacheDataTypeE1ELb1ELi512EEEvPfS2_PT_PKS3_PKT0_S9_ifPKiSB_iPKfiiiSD_SD_iiiii,comdat
.Lfunc_end190:
	.size	_ZN4vllm25paged_attention_v2_kernelIfhLi64ELi8ELi128ELNS_18Fp8KVCacheDataTypeE1ELb1ELi512EEEvPfS2_PT_PKS3_PKT0_S9_ifPKiSB_iPKfiiiSD_SD_iiiii, .Lfunc_end190-_ZN4vllm25paged_attention_v2_kernelIfhLi64ELi8ELi128ELNS_18Fp8KVCacheDataTypeE1ELb1ELi512EEEvPfS2_PT_PKS3_PKT0_S9_ifPKiSB_iPKfiiiSD_SD_iiiii
                                        ; -- End function
	.set _ZN4vllm25paged_attention_v2_kernelIfhLi64ELi8ELi128ELNS_18Fp8KVCacheDataTypeE1ELb1ELi512EEEvPfS2_PT_PKS3_PKT0_S9_ifPKiSB_iPKfiiiSD_SD_iiiii.num_vgpr, 61
	.set _ZN4vllm25paged_attention_v2_kernelIfhLi64ELi8ELi128ELNS_18Fp8KVCacheDataTypeE1ELb1ELi512EEEvPfS2_PT_PKS3_PKT0_S9_ifPKiSB_iPKfiiiSD_SD_iiiii.num_agpr, 0
	.set _ZN4vllm25paged_attention_v2_kernelIfhLi64ELi8ELi128ELNS_18Fp8KVCacheDataTypeE1ELb1ELi512EEEvPfS2_PT_PKS3_PKT0_S9_ifPKiSB_iPKfiiiSD_SD_iiiii.numbered_sgpr, 54
	.set _ZN4vllm25paged_attention_v2_kernelIfhLi64ELi8ELi128ELNS_18Fp8KVCacheDataTypeE1ELb1ELi512EEEvPfS2_PT_PKS3_PKT0_S9_ifPKiSB_iPKfiiiSD_SD_iiiii.num_named_barrier, 0
	.set _ZN4vllm25paged_attention_v2_kernelIfhLi64ELi8ELi128ELNS_18Fp8KVCacheDataTypeE1ELb1ELi512EEEvPfS2_PT_PKS3_PKT0_S9_ifPKiSB_iPKfiiiSD_SD_iiiii.private_seg_size, 0
	.set _ZN4vllm25paged_attention_v2_kernelIfhLi64ELi8ELi128ELNS_18Fp8KVCacheDataTypeE1ELb1ELi512EEEvPfS2_PT_PKS3_PKT0_S9_ifPKiSB_iPKfiiiSD_SD_iiiii.uses_vcc, 1
	.set _ZN4vllm25paged_attention_v2_kernelIfhLi64ELi8ELi128ELNS_18Fp8KVCacheDataTypeE1ELb1ELi512EEEvPfS2_PT_PKS3_PKT0_S9_ifPKiSB_iPKfiiiSD_SD_iiiii.uses_flat_scratch, 0
	.set _ZN4vllm25paged_attention_v2_kernelIfhLi64ELi8ELi128ELNS_18Fp8KVCacheDataTypeE1ELb1ELi512EEEvPfS2_PT_PKS3_PKT0_S9_ifPKiSB_iPKfiiiSD_SD_iiiii.has_dyn_sized_stack, 0
	.set _ZN4vllm25paged_attention_v2_kernelIfhLi64ELi8ELi128ELNS_18Fp8KVCacheDataTypeE1ELb1ELi512EEEvPfS2_PT_PKS3_PKT0_S9_ifPKiSB_iPKfiiiSD_SD_iiiii.has_recursion, 0
	.set _ZN4vllm25paged_attention_v2_kernelIfhLi64ELi8ELi128ELNS_18Fp8KVCacheDataTypeE1ELb1ELi512EEEvPfS2_PT_PKS3_PKT0_S9_ifPKiSB_iPKfiiiSD_SD_iiiii.has_indirect_call, 0
	.section	.AMDGPU.csdata,"",@progbits
; Kernel info:
; codeLenInByte = 10548
; TotalNumSgprs: 56
; NumVgprs: 61
; ScratchSize: 0
; MemoryBound: 0
; FloatMode: 240
; IeeeMode: 1
; LDSByteSize: 288 bytes/workgroup (compile time only)
; SGPRBlocks: 0
; VGPRBlocks: 7
; NumSGPRsForWavesPerEU: 56
; NumVGPRsForWavesPerEU: 61
; Occupancy: 16
; WaveLimiterHint : 1
; COMPUTE_PGM_RSRC2:SCRATCH_EN: 0
; COMPUTE_PGM_RSRC2:USER_SGPR: 6
; COMPUTE_PGM_RSRC2:TRAP_HANDLER: 0
; COMPUTE_PGM_RSRC2:TGID_X_EN: 1
; COMPUTE_PGM_RSRC2:TGID_Y_EN: 1
; COMPUTE_PGM_RSRC2:TGID_Z_EN: 1
; COMPUTE_PGM_RSRC2:TIDIG_COMP_CNT: 0
	.section	.text._ZN4vllm25paged_attention_v2_kernelIfhLi80ELi8ELi128ELNS_18Fp8KVCacheDataTypeE1ELb1ELi512EEEvPfS2_PT_PKS3_PKT0_S9_ifPKiSB_iPKfiiiSD_SD_iiiii,"axG",@progbits,_ZN4vllm25paged_attention_v2_kernelIfhLi80ELi8ELi128ELNS_18Fp8KVCacheDataTypeE1ELb1ELi512EEEvPfS2_PT_PKS3_PKT0_S9_ifPKiSB_iPKfiiiSD_SD_iiiii,comdat
	.protected	_ZN4vllm25paged_attention_v2_kernelIfhLi80ELi8ELi128ELNS_18Fp8KVCacheDataTypeE1ELb1ELi512EEEvPfS2_PT_PKS3_PKT0_S9_ifPKiSB_iPKfiiiSD_SD_iiiii ; -- Begin function _ZN4vllm25paged_attention_v2_kernelIfhLi80ELi8ELi128ELNS_18Fp8KVCacheDataTypeE1ELb1ELi512EEEvPfS2_PT_PKS3_PKT0_S9_ifPKiSB_iPKfiiiSD_SD_iiiii
	.globl	_ZN4vllm25paged_attention_v2_kernelIfhLi80ELi8ELi128ELNS_18Fp8KVCacheDataTypeE1ELb1ELi512EEEvPfS2_PT_PKS3_PKT0_S9_ifPKiSB_iPKfiiiSD_SD_iiiii
	.p2align	8
	.type	_ZN4vllm25paged_attention_v2_kernelIfhLi80ELi8ELi128ELNS_18Fp8KVCacheDataTypeE1ELb1ELi512EEEvPfS2_PT_PKS3_PKT0_S9_ifPKiSB_iPKfiiiSD_SD_iiiii,@function
_ZN4vllm25paged_attention_v2_kernelIfhLi80ELi8ELi128ELNS_18Fp8KVCacheDataTypeE1ELb1ELi512EEEvPfS2_PT_PKS3_PKT0_S9_ifPKiSB_iPKfiiiSD_SD_iiiii: ; @_ZN4vllm25paged_attention_v2_kernelIfhLi80ELi8ELi128ELNS_18Fp8KVCacheDataTypeE1ELb1ELi512EEEvPfS2_PT_PKS3_PKT0_S9_ifPKiSB_iPKfiiiSD_SD_iiiii
; %bb.0:
	s_load_dwordx2 s[0:1], s[4:5], 0x40
	s_mov_b32 s30, s7
	s_ashr_i32 s31, s7, 31
	s_lshl_b64 s[2:3], s[30:31], 2
	s_waitcnt lgkmcnt(0)
	s_add_u32 s0, s0, s2
	s_addc_u32 s1, s1, s3
	s_lshl_b32 s42, s8, 9
	s_load_dword s31, s[0:1], 0x0
	s_waitcnt lgkmcnt(0)
	s_cmp_ge_i32 s42, s31
	s_cbranch_scc1 .LBB191_396
; %bb.1:
	s_clause 0x1
	s_load_dword s9, s[4:5], 0x90
	s_load_dwordx2 s[40:41], s[4:5], 0x30
	s_mov_b32 s43, 0
	s_waitcnt lgkmcnt(0)
	s_abs_i32 s3, s9
	s_abs_i32 s0, s40
	v_cvt_f32_u32_e32 v1, s0
	s_sub_i32 s2, 0, s0
	v_rcp_iflag_f32_e32 v1, v1
	v_mul_f32_e32 v1, 0x4f7ffffe, v1
	v_cvt_u32_f32_e32 v1, v1
	v_readfirstlane_b32 s1, v1
	s_mul_i32 s2, s2, s1
	s_mul_hi_u32 s2, s1, s2
	s_add_i32 s1, s1, s2
	s_xor_b32 s2, s9, s40
	s_mul_hi_u32 s1, s3, s1
	s_ashr_i32 s2, s2, 31
	s_mul_i32 s7, s1, s0
	s_sub_i32 s3, s3, s7
	s_add_i32 s7, s1, 1
	s_sub_i32 s10, s3, s0
	s_cmp_ge_u32 s3, s0
	s_cselect_b32 s1, s7, s1
	s_cselect_b32 s3, s10, s3
	s_add_i32 s7, s1, 1
	s_cmp_ge_u32 s3, s0
	s_cselect_b32 s0, s7, s1
	s_xor_b32 s0, s0, s2
	s_sub_i32 s10, s0, s2
	s_load_dwordx2 s[0:1], s[4:5], 0x50
	s_abs_i32 s2, s10
	v_cvt_f32_u32_e32 v1, s2
	s_sub_i32 s3, 0, s2
	v_rcp_iflag_f32_e32 v1, v1
	v_mul_f32_e32 v1, 0x4f7ffffe, v1
	v_cvt_u32_f32_e32 v1, v1
	v_readfirstlane_b32 s7, v1
	s_mul_i32 s3, s3, s7
	s_mul_hi_u32 s11, s7, s3
	s_abs_i32 s3, s6
	s_add_i32 s7, s7, s11
	s_waitcnt lgkmcnt(0)
	s_cmp_eq_u64 s[0:1], 0
	s_mul_hi_u32 s12, s3, s7
	s_cbranch_scc1 .LBB191_3
; %bb.2:
	s_ashr_i32 s7, s6, 31
	s_lshl_b64 s[14:15], s[6:7], 2
	s_add_u32 s0, s0, s14
	s_addc_u32 s1, s1, s15
	s_load_dword s43, s[0:1], 0x0
.LBB191_3:
	s_load_dwordx4 s[16:19], s[4:5], 0x58
	v_and_b32_e32 v1, 3, v0
	v_lshlrev_b32_e32 v33, 2, v0
	s_ashr_i32 s0, s6, 31
	s_ashr_i32 s1, s10, 31
	s_mul_i32 s10, s6, 0x50
	s_mov_b32 s7, exec_lo
	v_cmpx_gt_u32_e32 0x50, v0
	s_cbranch_execz .LBB191_5
; %bb.4:
	s_load_dwordx2 s[14:15], s[4:5], 0x18
	s_waitcnt lgkmcnt(0)
	s_mul_i32 s20, s16, s30
	v_and_b32_e32 v3, 0x3fc, v0
	s_ashr_i32 s21, s20, 31
	s_lshl_b64 s[20:21], s[20:21], 2
	v_mad_u32_u24 v3, 0x50, v1, v3
	s_add_u32 s13, s14, s20
	s_addc_u32 s16, s15, s21
	s_ashr_i32 s11, s10, 31
	s_lshl_b64 s[14:15], s[10:11], 2
	s_add_u32 s14, s13, s14
	s_addc_u32 s15, s16, s15
	global_load_dword v2, v33, s[14:15]
	s_waitcnt vmcnt(0)
	ds_write_b32 v3, v2
.LBB191_5:
	s_or_b32 exec_lo, exec_lo, s7
	s_load_dwordx4 s[20:23], s[4:5], 0x78
	s_mul_i32 s7, s12, s2
	s_xor_b32 s0, s0, s1
	s_sub_i32 s1, s3, s7
	s_add_i32 s3, s12, 1
	s_sub_i32 s7, s1, s2
	s_cmp_ge_u32 s1, s2
                                        ; implicit-def: $sgpr19
	s_cselect_b32 s3, s3, s12
	s_cselect_b32 s1, s7, s1
	s_add_i32 s7, s3, 1
	s_cmp_ge_u32 s1, s2
	s_mov_b32 s12, -1
	s_cselect_b32 s1, s7, s3
	s_load_dword s3, s[4:5], 0x88
	s_xor_b32 s1, s1, s0
	s_add_i32 s7, s31, -1
	s_sub_i32 s1, s1, s0
	s_abs_i32 s2, s7
	s_waitcnt lgkmcnt(0)
	s_abs_i32 s11, s23
	s_barrier
	v_cvt_f32_u32_e32 v2, s11
	s_sub_i32 s0, 0, s11
	buffer_gl0_inv
	v_rcp_iflag_f32_e32 v2, v2
	v_mul_f32_e32 v2, 0x4f7ffffe, v2
	v_cvt_u32_f32_e32 v2, v2
	v_readfirstlane_b32 s16, v2
	s_mul_i32 s0, s0, s16
	s_mul_hi_u32 s0, s16, s0
	s_add_i32 s16, s16, s0
	s_cmp_lt_i32 s3, 0
	s_mul_hi_u32 s0, s2, s16
	s_cbranch_scc0 .LBB191_7
; %bb.6:
	s_mul_i32 s12, s20, s40
	s_add_i32 s12, s1, s12
	s_mul_i32 s12, s12, s3
	s_sub_i32 s19, 1, s12
	s_mov_b32 s12, 0
.LBB191_7:
	s_load_dwordx2 s[34:35], s[4:5], 0x38
	s_ashr_i32 s33, s7, 31
	s_andn2_b32 vcc_lo, exec_lo, s12
	s_ashr_i32 s23, s23, 31
	s_cbranch_vccnz .LBB191_9
; %bb.8:
	s_mul_i32 s7, s9, s20
	s_add_i32 s7, s7, s6
	s_mul_i32 s3, s7, s3
	s_add_i32 s19, s3, 1
.LBB191_9:
	s_clause 0x5
	s_load_dword s3, s[4:5], 0x48
	s_load_dwordx2 s[38:39], s[4:5], 0x28
	s_load_dwordx4 s[24:27], s[4:5], 0x0
	s_load_dwordx2 s[28:29], s[4:5], 0x10
	s_load_dword s7, s[4:5], 0x98
	s_load_dwordx4 s[12:15], s[4:5], 0x68
	s_mul_i32 s20, s0, s11
	s_xor_b32 s40, s33, s23
	s_sub_i32 s2, s2, s20
	s_add_i32 s33, s0, 1
	v_lshrrev_b32_e32 v31, 5, v0
	v_mov_b32_e32 v35, 0xff7fffff
	v_mbcnt_lo_u32_b32 v34, -1, 0
	s_mul_i32 s18, s1, s18
	v_lshl_add_u32 v32, v31, 3, s42
	s_waitcnt lgkmcnt(0)
	s_mul_i32 s36, s3, s30
	s_sub_i32 s3, s2, s11
	s_ashr_i32 s37, s36, 31
	s_cmp_ge_u32 s2, s11
	s_cselect_b32 s0, s33, s0
	s_cselect_b32 s2, s3, s2
	s_add_i32 s3, s0, 1
	s_cmp_ge_u32 s2, s11
	s_cselect_b32 s0, s3, s0
	s_add_i32 s2, s31, 7
	s_lshl_b32 s44, s8, 6
	s_ashr_i32 s3, s2, 31
	v_or_b32_e32 v21, s44, v31
	s_lshr_b32 s3, s3, 29
	s_add_i32 s2, s2, s3
	s_add_i32 s3, s44, 64
	s_ashr_i32 s33, s2, 3
	s_xor_b32 s2, s0, s40
	s_min_i32 s20, s3, s33
	v_ashrrev_i32_e32 v22, 31, v21
	v_cmp_gt_i32_e64 s0, s20, v21
	s_sub_i32 s40, s2, s40
	s_and_saveexec_b32 s45, s0
	s_cbranch_execz .LBB191_181
; %bb.10:
	s_load_dwordx2 s[2:3], s[4:5], 0x20
	s_sub_i32 s4, s40, s21
	s_ashr_i32 s1, s18, 31
	v_bfe_u32 v36, v0, 2, 3
	v_mov_b32_e32 v24, 0
	v_mul_u32_u24_e32 v37, 0x50, v1
	v_lshl_add_u32 v38, v31, 3, s42
	v_mov_b32_e32 v39, 0xff7fffff
	v_lshlrev_b32_e32 v5, 2, v36
	v_subrev_nc_u32_e32 v6, s31, v36
	v_lshlrev_b32_e32 v7, 4, v36
	v_mov_b32_e32 v40, 0x7f
	v_mov_b32_e32 v41, 7
	v_lshl_or_b32 v5, v31, 5, v5
	v_add_nc_u32_e32 v42, 1, v6
	v_mov_b32_e32 v35, 0xff7fffff
	v_mov_b32_e32 v45, v21
	v_cmp_eq_u32_e32 vcc_lo, 0, v1
	v_add_nc_u32_e32 v43, 0x160, v5
	s_waitcnt lgkmcnt(0)
	s_add_u32 s46, s2, s18
	s_addc_u32 s47, s3, s1
	s_abs_i32 s5, s22
	v_add_co_u32 v6, s46, s46, v7
	v_cvt_f32_u32_e32 v2, s5
	s_sub_i32 s2, 0, s5
	v_add_co_ci_u32_e64 v7, null, s47, 0, s46
	v_cmp_neq_f32_e64 s1, s43, 0
	v_rcp_iflag_f32_e32 v4, v2
	v_lshlrev_b64 v[2:3], 2, v[21:22]
	s_mov_b32 s46, 0
	s_mov_b32 s47, s17
	v_mul_f32_e32 v4, 0x4f7ffffe, v4
	v_cvt_u32_f32_e32 v4, v4
	v_mul_lo_u32 v5, s2, v4
	s_lshl_b64 s[2:3], s[36:37], 2
	s_add_u32 s2, s34, s2
	s_addc_u32 s3, s35, s3
	v_add_co_u32 v25, s2, s2, v2
	v_add_co_ci_u32_e64 v26, null, s3, v3, s2
	v_mul_hi_u32 v5, v4, v5
	v_add_co_u32 v27, s2, v6, v1
	v_add_co_ci_u32_e64 v28, null, 0, v7, s2
	v_add_nc_u32_e32 v44, v4, v5
	s_branch .LBB191_13
.LBB191_11:                             ;   in Loop: Header=BB191_13 Depth=1
	s_or_b32 exec_lo, exec_lo, s48
.LBB191_12:                             ;   in Loop: Header=BB191_13 Depth=1
	s_or_b32 exec_lo, exec_lo, s3
	v_add_nc_u32_e32 v45, 4, v45
	v_add_co_u32 v25, s3, v25, 16
	v_add_co_ci_u32_e64 v26, null, 0, v26, s3
	v_cmp_le_i32_e64 s2, s20, v45
	v_add_nc_u32_e32 v38, 32, v38
	v_add_nc_u32_e32 v43, 0x80, v43
	s_or_b32 s46, s2, s46
	s_andn2_b32 exec_lo, exec_lo, s46
	s_cbranch_execz .LBB191_180
.LBB191_13:                             ; =>This Inner Loop Header: Depth=1
	v_sub_nc_u32_e32 v1, 0, v38
	v_max_i32_e32 v1, v38, v1
	s_waitcnt lgkmcnt(0)
	v_mul_hi_u32 v2, v1, s16
	v_mul_lo_u32 v3, v2, s11
	v_sub_nc_u32_e32 v1, v1, v3
	v_add_nc_u32_e32 v3, 1, v2
	v_subrev_nc_u32_e32 v4, s11, v1
	v_cmp_le_u32_e64 s2, s11, v1
	v_cndmask_b32_e64 v2, v2, v3, s2
	v_cndmask_b32_e64 v1, v1, v4, s2
	v_ashrrev_i32_e32 v3, 31, v38
	v_add_nc_u32_e32 v4, 1, v2
	v_cmp_le_u32_e64 s2, s11, v1
	v_xor_b32_e32 v3, s23, v3
	v_cndmask_b32_e64 v1, v2, v4, s2
	v_xor_b32_e32 v1, v1, v3
	v_sub_nc_u32_e32 v1, v1, v3
	v_add_nc_u32_e32 v2, s19, v1
	v_cmp_ge_i32_e64 s3, s4, v1
	v_sub_nc_u32_e32 v3, 0, v2
	v_max_i32_e32 v3, v2, v3
	v_ashrrev_i32_e32 v2, 31, v2
	v_mul_hi_u32 v4, v3, v44
	v_mul_lo_u32 v4, v4, s5
	v_sub_nc_u32_e32 v3, v3, v4
	v_subrev_nc_u32_e32 v4, s5, v3
	v_cmp_le_u32_e64 s2, s5, v3
	v_cndmask_b32_e64 v3, v3, v4, s2
	v_subrev_nc_u32_e32 v4, s5, v3
	v_cmp_le_u32_e64 s2, s5, v3
	v_cndmask_b32_e64 v3, v3, v4, s2
	v_xor_b32_e32 v3, v3, v2
	v_sub_nc_u32_e32 v2, v3, v2
	v_cmp_ne_u32_e64 s2, 0, v2
	s_and_b32 s2, s2, s3
	s_and_saveexec_b32 s3, s2
	s_xor_b32 s2, exec_lo, s3
	s_cbranch_execz .LBB191_17
; %bb.14:                               ;   in Loop: Header=BB191_13 Depth=1
	s_and_saveexec_b32 s3, vcc_lo
; %bb.15:                               ;   in Loop: Header=BB191_13 Depth=1
	ds_write_b32 v43, v39
; %bb.16:                               ;   in Loop: Header=BB191_13 Depth=1
	s_or_b32 exec_lo, exec_lo, s3
.LBB191_17:                             ;   in Loop: Header=BB191_13 Depth=1
	s_andn2_saveexec_b32 s3, s2
	s_cbranch_execz .LBB191_12
; %bb.18:                               ;   in Loop: Header=BB191_13 Depth=1
	global_load_dword v1, v[25:26], off
	v_mov_b32_e32 v46, 0
	v_mov_b32_e32 v47, 0
	s_mov_b32 s49, exec_lo
	s_waitcnt vmcnt(0)
	v_mad_i64_i32 v[29:30], null, v1, s47, v[27:28]
	global_load_ubyte v48, v[29:30], off
	ds_read_b128 v[17:20], v37
	ds_read_b128 v[13:16], v37 offset:16
	ds_read_b128 v[9:12], v37 offset:32
	;; [unrolled: 1-line block ×4, first 2 shown]
	s_load_dword s48, s[12:13], 0x0
	s_waitcnt vmcnt(0)
	v_cmpx_ne_u16_e32 0, v48
	s_cbranch_execz .LBB191_26
; %bb.19:                               ;   in Loop: Header=BB191_13 Depth=1
	v_bfrev_b32_e32 v47, 1
	s_mov_b32 s50, exec_lo
	v_cmpx_ne_u16_e32 0x80, v48
	s_cbranch_execz .LBB191_25
; %bb.20:                               ;   in Loop: Header=BB191_13 Depth=1
	v_and_b32_sdwa v49, v48, v40 dst_sel:DWORD dst_unused:UNUSED_PAD src0_sel:WORD_0 src1_sel:DWORD
	v_mov_b32_e32 v47, 0x7f800001
	s_mov_b32 s51, exec_lo
	v_cmpx_ne_u32_e32 0x7f, v49
	s_cbranch_execz .LBB191_24
; %bb.21:                               ;   in Loop: Header=BB191_13 Depth=1
	v_and_b32_sdwa v23, v48, v41 dst_sel:DWORD dst_unused:UNUSED_PAD src0_sel:WORD_0 src1_sel:DWORD
	v_lshrrev_b32_e32 v47, 3, v49
	s_mov_b32 s52, exec_lo
	v_cmpx_gt_u32_e32 8, v49
; %bb.22:                               ;   in Loop: Header=BB191_13 Depth=1
	v_ffbh_u32_e32 v47, v23
	v_min_u32_e32 v47, 32, v47
	v_subrev_nc_u32_e32 v49, 28, v47
	v_sub_nc_u32_e32 v47, 29, v47
	v_lshlrev_b64 v[49:50], v49, v[23:24]
	v_and_b32_e32 v23, 7, v49
; %bb.23:                               ;   in Loop: Header=BB191_13 Depth=1
	s_or_b32 exec_lo, exec_lo, s52
	v_lshlrev_b32_e32 v48, 24, v48
	v_lshlrev_b32_e32 v23, 20, v23
	v_lshl_add_u32 v47, v47, 23, 0x3c000000
	v_and_b32_e32 v48, 0x80000000, v48
	v_or3_b32 v47, v23, v48, v47
.LBB191_24:                             ;   in Loop: Header=BB191_13 Depth=1
	s_or_b32 exec_lo, exec_lo, s51
.LBB191_25:                             ;   in Loop: Header=BB191_13 Depth=1
	s_or_b32 exec_lo, exec_lo, s50
.LBB191_26:                             ;   in Loop: Header=BB191_13 Depth=1
	s_or_b32 exec_lo, exec_lo, s49
	global_load_ubyte v48, v[29:30], off offset:4
	s_mov_b32 s49, exec_lo
	s_waitcnt vmcnt(0)
	v_cmpx_ne_u16_e32 0, v48
	s_cbranch_execz .LBB191_34
; %bb.27:                               ;   in Loop: Header=BB191_13 Depth=1
	v_bfrev_b32_e32 v46, 1
	s_mov_b32 s50, exec_lo
	v_cmpx_ne_u16_e32 0x80, v48
	s_cbranch_execz .LBB191_33
; %bb.28:                               ;   in Loop: Header=BB191_13 Depth=1
	v_and_b32_sdwa v49, v48, v40 dst_sel:DWORD dst_unused:UNUSED_PAD src0_sel:WORD_0 src1_sel:DWORD
	v_mov_b32_e32 v46, 0x7f800001
	s_mov_b32 s51, exec_lo
	v_cmpx_ne_u32_e32 0x7f, v49
	s_cbranch_execz .LBB191_32
; %bb.29:                               ;   in Loop: Header=BB191_13 Depth=1
	v_and_b32_sdwa v23, v48, v41 dst_sel:DWORD dst_unused:UNUSED_PAD src0_sel:WORD_0 src1_sel:DWORD
	v_lshrrev_b32_e32 v46, 3, v49
	s_mov_b32 s52, exec_lo
	v_cmpx_gt_u32_e32 8, v49
; %bb.30:                               ;   in Loop: Header=BB191_13 Depth=1
	v_ffbh_u32_e32 v46, v23
	v_min_u32_e32 v46, 32, v46
	v_subrev_nc_u32_e32 v49, 28, v46
	v_sub_nc_u32_e32 v46, 29, v46
	v_lshlrev_b64 v[49:50], v49, v[23:24]
	v_and_b32_e32 v23, 7, v49
; %bb.31:                               ;   in Loop: Header=BB191_13 Depth=1
	s_or_b32 exec_lo, exec_lo, s52
	v_lshlrev_b32_e32 v48, 24, v48
	v_lshlrev_b32_e32 v23, 20, v23
	v_lshl_add_u32 v46, v46, 23, 0x3c000000
	v_and_b32_e32 v48, 0x80000000, v48
	v_or3_b32 v46, v23, v48, v46
.LBB191_32:                             ;   in Loop: Header=BB191_13 Depth=1
	s_or_b32 exec_lo, exec_lo, s51
.LBB191_33:                             ;   in Loop: Header=BB191_13 Depth=1
	s_or_b32 exec_lo, exec_lo, s50
.LBB191_34:                             ;   in Loop: Header=BB191_13 Depth=1
	s_or_b32 exec_lo, exec_lo, s49
	global_load_ubyte v50, v[29:30], off offset:8
	v_mov_b32_e32 v48, 0
	v_mov_b32_e32 v49, 0
	s_mov_b32 s49, exec_lo
	s_waitcnt vmcnt(0)
	v_cmpx_ne_u16_e32 0, v50
	s_cbranch_execz .LBB191_42
; %bb.35:                               ;   in Loop: Header=BB191_13 Depth=1
	v_bfrev_b32_e32 v49, 1
	s_mov_b32 s50, exec_lo
	v_cmpx_ne_u16_e32 0x80, v50
	s_cbranch_execz .LBB191_41
; %bb.36:                               ;   in Loop: Header=BB191_13 Depth=1
	v_and_b32_sdwa v51, v50, v40 dst_sel:DWORD dst_unused:UNUSED_PAD src0_sel:WORD_0 src1_sel:DWORD
	v_mov_b32_e32 v49, 0x7f800001
	s_mov_b32 s51, exec_lo
	v_cmpx_ne_u32_e32 0x7f, v51
	s_cbranch_execz .LBB191_40
; %bb.37:                               ;   in Loop: Header=BB191_13 Depth=1
	v_and_b32_sdwa v23, v50, v41 dst_sel:DWORD dst_unused:UNUSED_PAD src0_sel:WORD_0 src1_sel:DWORD
	v_lshrrev_b32_e32 v49, 3, v51
	s_mov_b32 s52, exec_lo
	v_cmpx_gt_u32_e32 8, v51
; %bb.38:                               ;   in Loop: Header=BB191_13 Depth=1
	v_ffbh_u32_e32 v49, v23
	v_min_u32_e32 v49, 32, v49
	v_subrev_nc_u32_e32 v51, 28, v49
	v_sub_nc_u32_e32 v49, 29, v49
	v_lshlrev_b64 v[51:52], v51, v[23:24]
	v_and_b32_e32 v23, 7, v51
; %bb.39:                               ;   in Loop: Header=BB191_13 Depth=1
	s_or_b32 exec_lo, exec_lo, s52
	v_lshlrev_b32_e32 v50, 24, v50
	v_lshlrev_b32_e32 v23, 20, v23
	v_lshl_add_u32 v49, v49, 23, 0x3c000000
	v_and_b32_e32 v50, 0x80000000, v50
	v_or3_b32 v49, v23, v50, v49
.LBB191_40:                             ;   in Loop: Header=BB191_13 Depth=1
	s_or_b32 exec_lo, exec_lo, s51
.LBB191_41:                             ;   in Loop: Header=BB191_13 Depth=1
	s_or_b32 exec_lo, exec_lo, s50
.LBB191_42:                             ;   in Loop: Header=BB191_13 Depth=1
	s_or_b32 exec_lo, exec_lo, s49
	global_load_ubyte v50, v[29:30], off offset:12
	s_mov_b32 s49, exec_lo
	s_waitcnt vmcnt(0)
	v_cmpx_ne_u16_e32 0, v50
	s_cbranch_execz .LBB191_50
; %bb.43:                               ;   in Loop: Header=BB191_13 Depth=1
	v_bfrev_b32_e32 v48, 1
	s_mov_b32 s50, exec_lo
	v_cmpx_ne_u16_e32 0x80, v50
	s_cbranch_execz .LBB191_49
; %bb.44:                               ;   in Loop: Header=BB191_13 Depth=1
	v_and_b32_sdwa v51, v50, v40 dst_sel:DWORD dst_unused:UNUSED_PAD src0_sel:WORD_0 src1_sel:DWORD
	v_mov_b32_e32 v48, 0x7f800001
	s_mov_b32 s51, exec_lo
	v_cmpx_ne_u32_e32 0x7f, v51
	s_cbranch_execz .LBB191_48
; %bb.45:                               ;   in Loop: Header=BB191_13 Depth=1
	v_and_b32_sdwa v23, v50, v41 dst_sel:DWORD dst_unused:UNUSED_PAD src0_sel:WORD_0 src1_sel:DWORD
	v_lshrrev_b32_e32 v48, 3, v51
	s_mov_b32 s52, exec_lo
	v_cmpx_gt_u32_e32 8, v51
; %bb.46:                               ;   in Loop: Header=BB191_13 Depth=1
	v_ffbh_u32_e32 v48, v23
	v_min_u32_e32 v48, 32, v48
	v_subrev_nc_u32_e32 v51, 28, v48
	v_sub_nc_u32_e32 v48, 29, v48
	v_lshlrev_b64 v[51:52], v51, v[23:24]
	v_and_b32_e32 v23, 7, v51
; %bb.47:                               ;   in Loop: Header=BB191_13 Depth=1
	s_or_b32 exec_lo, exec_lo, s52
	v_lshlrev_b32_e32 v50, 24, v50
	v_lshlrev_b32_e32 v23, 20, v23
	v_lshl_add_u32 v48, v48, 23, 0x3c000000
	v_and_b32_e32 v50, 0x80000000, v50
	v_or3_b32 v48, v23, v50, v48
.LBB191_48:                             ;   in Loop: Header=BB191_13 Depth=1
	s_or_b32 exec_lo, exec_lo, s51
.LBB191_49:                             ;   in Loop: Header=BB191_13 Depth=1
	s_or_b32 exec_lo, exec_lo, s50
.LBB191_50:                             ;   in Loop: Header=BB191_13 Depth=1
	s_or_b32 exec_lo, exec_lo, s49
	global_load_ubyte v52, v[29:30], off offset:128
	v_mov_b32_e32 v50, 0
	v_mov_b32_e32 v51, 0
	s_mov_b32 s49, exec_lo
	s_waitcnt vmcnt(0)
	v_cmpx_ne_u16_e32 0, v52
	s_cbranch_execz .LBB191_58
; %bb.51:                               ;   in Loop: Header=BB191_13 Depth=1
	v_bfrev_b32_e32 v51, 1
	s_mov_b32 s50, exec_lo
	v_cmpx_ne_u16_e32 0x80, v52
	s_cbranch_execz .LBB191_57
; %bb.52:                               ;   in Loop: Header=BB191_13 Depth=1
	v_and_b32_sdwa v53, v52, v40 dst_sel:DWORD dst_unused:UNUSED_PAD src0_sel:WORD_0 src1_sel:DWORD
	v_mov_b32_e32 v51, 0x7f800001
	s_mov_b32 s51, exec_lo
	v_cmpx_ne_u32_e32 0x7f, v53
	s_cbranch_execz .LBB191_56
; %bb.53:                               ;   in Loop: Header=BB191_13 Depth=1
	v_and_b32_sdwa v23, v52, v41 dst_sel:DWORD dst_unused:UNUSED_PAD src0_sel:WORD_0 src1_sel:DWORD
	v_lshrrev_b32_e32 v51, 3, v53
	s_mov_b32 s52, exec_lo
	v_cmpx_gt_u32_e32 8, v53
; %bb.54:                               ;   in Loop: Header=BB191_13 Depth=1
	v_ffbh_u32_e32 v51, v23
	v_min_u32_e32 v51, 32, v51
	v_subrev_nc_u32_e32 v53, 28, v51
	v_sub_nc_u32_e32 v51, 29, v51
	v_lshlrev_b64 v[53:54], v53, v[23:24]
	v_and_b32_e32 v23, 7, v53
; %bb.55:                               ;   in Loop: Header=BB191_13 Depth=1
	s_or_b32 exec_lo, exec_lo, s52
	v_lshlrev_b32_e32 v52, 24, v52
	v_lshlrev_b32_e32 v23, 20, v23
	v_lshl_add_u32 v51, v51, 23, 0x3c000000
	v_and_b32_e32 v52, 0x80000000, v52
	v_or3_b32 v51, v23, v52, v51
.LBB191_56:                             ;   in Loop: Header=BB191_13 Depth=1
	s_or_b32 exec_lo, exec_lo, s51
.LBB191_57:                             ;   in Loop: Header=BB191_13 Depth=1
	s_or_b32 exec_lo, exec_lo, s50
.LBB191_58:                             ;   in Loop: Header=BB191_13 Depth=1
	s_or_b32 exec_lo, exec_lo, s49
	global_load_ubyte v52, v[29:30], off offset:132
	s_mov_b32 s49, exec_lo
	s_waitcnt vmcnt(0)
	v_cmpx_ne_u16_e32 0, v52
	s_cbranch_execz .LBB191_66
; %bb.59:                               ;   in Loop: Header=BB191_13 Depth=1
	v_bfrev_b32_e32 v50, 1
	s_mov_b32 s50, exec_lo
	v_cmpx_ne_u16_e32 0x80, v52
	s_cbranch_execz .LBB191_65
; %bb.60:                               ;   in Loop: Header=BB191_13 Depth=1
	v_and_b32_sdwa v53, v52, v40 dst_sel:DWORD dst_unused:UNUSED_PAD src0_sel:WORD_0 src1_sel:DWORD
	v_mov_b32_e32 v50, 0x7f800001
	s_mov_b32 s51, exec_lo
	v_cmpx_ne_u32_e32 0x7f, v53
	s_cbranch_execz .LBB191_64
; %bb.61:                               ;   in Loop: Header=BB191_13 Depth=1
	v_and_b32_sdwa v23, v52, v41 dst_sel:DWORD dst_unused:UNUSED_PAD src0_sel:WORD_0 src1_sel:DWORD
	v_lshrrev_b32_e32 v50, 3, v53
	s_mov_b32 s52, exec_lo
	v_cmpx_gt_u32_e32 8, v53
; %bb.62:                               ;   in Loop: Header=BB191_13 Depth=1
	v_ffbh_u32_e32 v50, v23
	v_min_u32_e32 v50, 32, v50
	v_subrev_nc_u32_e32 v53, 28, v50
	v_sub_nc_u32_e32 v50, 29, v50
	v_lshlrev_b64 v[53:54], v53, v[23:24]
	v_and_b32_e32 v23, 7, v53
; %bb.63:                               ;   in Loop: Header=BB191_13 Depth=1
	s_or_b32 exec_lo, exec_lo, s52
	v_lshlrev_b32_e32 v52, 24, v52
	v_lshlrev_b32_e32 v23, 20, v23
	v_lshl_add_u32 v50, v50, 23, 0x3c000000
	v_and_b32_e32 v52, 0x80000000, v52
	v_or3_b32 v50, v23, v52, v50
.LBB191_64:                             ;   in Loop: Header=BB191_13 Depth=1
	s_or_b32 exec_lo, exec_lo, s51
.LBB191_65:                             ;   in Loop: Header=BB191_13 Depth=1
	s_or_b32 exec_lo, exec_lo, s50
.LBB191_66:                             ;   in Loop: Header=BB191_13 Depth=1
	s_or_b32 exec_lo, exec_lo, s49
	global_load_ubyte v54, v[29:30], off offset:136
	v_mov_b32_e32 v52, 0
	v_mov_b32_e32 v53, 0
	s_mov_b32 s49, exec_lo
	s_waitcnt vmcnt(0)
	v_cmpx_ne_u16_e32 0, v54
	s_cbranch_execz .LBB191_74
; %bb.67:                               ;   in Loop: Header=BB191_13 Depth=1
	v_bfrev_b32_e32 v53, 1
	s_mov_b32 s50, exec_lo
	v_cmpx_ne_u16_e32 0x80, v54
	s_cbranch_execz .LBB191_73
; %bb.68:                               ;   in Loop: Header=BB191_13 Depth=1
	v_and_b32_sdwa v55, v54, v40 dst_sel:DWORD dst_unused:UNUSED_PAD src0_sel:WORD_0 src1_sel:DWORD
	v_mov_b32_e32 v53, 0x7f800001
	s_mov_b32 s51, exec_lo
	v_cmpx_ne_u32_e32 0x7f, v55
	s_cbranch_execz .LBB191_72
; %bb.69:                               ;   in Loop: Header=BB191_13 Depth=1
	v_and_b32_sdwa v23, v54, v41 dst_sel:DWORD dst_unused:UNUSED_PAD src0_sel:WORD_0 src1_sel:DWORD
	v_lshrrev_b32_e32 v53, 3, v55
	s_mov_b32 s52, exec_lo
	v_cmpx_gt_u32_e32 8, v55
; %bb.70:                               ;   in Loop: Header=BB191_13 Depth=1
	v_ffbh_u32_e32 v53, v23
	v_min_u32_e32 v53, 32, v53
	v_subrev_nc_u32_e32 v55, 28, v53
	v_sub_nc_u32_e32 v53, 29, v53
	v_lshlrev_b64 v[55:56], v55, v[23:24]
	v_and_b32_e32 v23, 7, v55
; %bb.71:                               ;   in Loop: Header=BB191_13 Depth=1
	s_or_b32 exec_lo, exec_lo, s52
	v_lshlrev_b32_e32 v54, 24, v54
	v_lshlrev_b32_e32 v23, 20, v23
	v_lshl_add_u32 v53, v53, 23, 0x3c000000
	v_and_b32_e32 v54, 0x80000000, v54
	v_or3_b32 v53, v23, v54, v53
.LBB191_72:                             ;   in Loop: Header=BB191_13 Depth=1
	s_or_b32 exec_lo, exec_lo, s51
.LBB191_73:                             ;   in Loop: Header=BB191_13 Depth=1
	s_or_b32 exec_lo, exec_lo, s50
.LBB191_74:                             ;   in Loop: Header=BB191_13 Depth=1
	s_or_b32 exec_lo, exec_lo, s49
	global_load_ubyte v54, v[29:30], off offset:140
	s_mov_b32 s49, exec_lo
	s_waitcnt vmcnt(0)
	v_cmpx_ne_u16_e32 0, v54
	s_cbranch_execz .LBB191_82
; %bb.75:                               ;   in Loop: Header=BB191_13 Depth=1
	v_bfrev_b32_e32 v52, 1
	s_mov_b32 s50, exec_lo
	v_cmpx_ne_u16_e32 0x80, v54
	s_cbranch_execz .LBB191_81
; %bb.76:                               ;   in Loop: Header=BB191_13 Depth=1
	v_and_b32_sdwa v55, v54, v40 dst_sel:DWORD dst_unused:UNUSED_PAD src0_sel:WORD_0 src1_sel:DWORD
	v_mov_b32_e32 v52, 0x7f800001
	s_mov_b32 s51, exec_lo
	v_cmpx_ne_u32_e32 0x7f, v55
	s_cbranch_execz .LBB191_80
; %bb.77:                               ;   in Loop: Header=BB191_13 Depth=1
	v_and_b32_sdwa v23, v54, v41 dst_sel:DWORD dst_unused:UNUSED_PAD src0_sel:WORD_0 src1_sel:DWORD
	v_lshrrev_b32_e32 v52, 3, v55
	s_mov_b32 s52, exec_lo
	v_cmpx_gt_u32_e32 8, v55
; %bb.78:                               ;   in Loop: Header=BB191_13 Depth=1
	v_ffbh_u32_e32 v52, v23
	v_min_u32_e32 v52, 32, v52
	v_subrev_nc_u32_e32 v55, 28, v52
	v_sub_nc_u32_e32 v52, 29, v52
	v_lshlrev_b64 v[55:56], v55, v[23:24]
	v_and_b32_e32 v23, 7, v55
; %bb.79:                               ;   in Loop: Header=BB191_13 Depth=1
	s_or_b32 exec_lo, exec_lo, s52
	v_lshlrev_b32_e32 v54, 24, v54
	v_lshlrev_b32_e32 v23, 20, v23
	v_lshl_add_u32 v52, v52, 23, 0x3c000000
	v_and_b32_e32 v54, 0x80000000, v54
	v_or3_b32 v52, v23, v54, v52
.LBB191_80:                             ;   in Loop: Header=BB191_13 Depth=1
	s_or_b32 exec_lo, exec_lo, s51
.LBB191_81:                             ;   in Loop: Header=BB191_13 Depth=1
	s_or_b32 exec_lo, exec_lo, s50
.LBB191_82:                             ;   in Loop: Header=BB191_13 Depth=1
	s_or_b32 exec_lo, exec_lo, s49
	global_load_ubyte v56, v[29:30], off offset:256
	v_mov_b32_e32 v54, 0
	v_mov_b32_e32 v55, 0
	s_mov_b32 s49, exec_lo
	s_waitcnt vmcnt(0)
	v_cmpx_ne_u16_e32 0, v56
	s_cbranch_execz .LBB191_90
; %bb.83:                               ;   in Loop: Header=BB191_13 Depth=1
	v_bfrev_b32_e32 v55, 1
	s_mov_b32 s50, exec_lo
	v_cmpx_ne_u16_e32 0x80, v56
	s_cbranch_execz .LBB191_89
; %bb.84:                               ;   in Loop: Header=BB191_13 Depth=1
	v_and_b32_sdwa v57, v56, v40 dst_sel:DWORD dst_unused:UNUSED_PAD src0_sel:WORD_0 src1_sel:DWORD
	v_mov_b32_e32 v55, 0x7f800001
	s_mov_b32 s51, exec_lo
	v_cmpx_ne_u32_e32 0x7f, v57
	s_cbranch_execz .LBB191_88
; %bb.85:                               ;   in Loop: Header=BB191_13 Depth=1
	v_and_b32_sdwa v23, v56, v41 dst_sel:DWORD dst_unused:UNUSED_PAD src0_sel:WORD_0 src1_sel:DWORD
	v_lshrrev_b32_e32 v55, 3, v57
	s_mov_b32 s52, exec_lo
	v_cmpx_gt_u32_e32 8, v57
; %bb.86:                               ;   in Loop: Header=BB191_13 Depth=1
	v_ffbh_u32_e32 v55, v23
	v_min_u32_e32 v55, 32, v55
	v_subrev_nc_u32_e32 v57, 28, v55
	v_sub_nc_u32_e32 v55, 29, v55
	v_lshlrev_b64 v[57:58], v57, v[23:24]
	v_and_b32_e32 v23, 7, v57
; %bb.87:                               ;   in Loop: Header=BB191_13 Depth=1
	s_or_b32 exec_lo, exec_lo, s52
	v_lshlrev_b32_e32 v56, 24, v56
	v_lshlrev_b32_e32 v23, 20, v23
	v_lshl_add_u32 v55, v55, 23, 0x3c000000
	v_and_b32_e32 v56, 0x80000000, v56
	v_or3_b32 v55, v23, v56, v55
.LBB191_88:                             ;   in Loop: Header=BB191_13 Depth=1
	s_or_b32 exec_lo, exec_lo, s51
.LBB191_89:                             ;   in Loop: Header=BB191_13 Depth=1
	s_or_b32 exec_lo, exec_lo, s50
.LBB191_90:                             ;   in Loop: Header=BB191_13 Depth=1
	s_or_b32 exec_lo, exec_lo, s49
	global_load_ubyte v56, v[29:30], off offset:260
	s_mov_b32 s49, exec_lo
	s_waitcnt vmcnt(0)
	v_cmpx_ne_u16_e32 0, v56
	s_cbranch_execz .LBB191_98
; %bb.91:                               ;   in Loop: Header=BB191_13 Depth=1
	v_bfrev_b32_e32 v54, 1
	s_mov_b32 s50, exec_lo
	v_cmpx_ne_u16_e32 0x80, v56
	s_cbranch_execz .LBB191_97
; %bb.92:                               ;   in Loop: Header=BB191_13 Depth=1
	v_and_b32_sdwa v57, v56, v40 dst_sel:DWORD dst_unused:UNUSED_PAD src0_sel:WORD_0 src1_sel:DWORD
	v_mov_b32_e32 v54, 0x7f800001
	s_mov_b32 s51, exec_lo
	v_cmpx_ne_u32_e32 0x7f, v57
	s_cbranch_execz .LBB191_96
; %bb.93:                               ;   in Loop: Header=BB191_13 Depth=1
	v_and_b32_sdwa v23, v56, v41 dst_sel:DWORD dst_unused:UNUSED_PAD src0_sel:WORD_0 src1_sel:DWORD
	v_lshrrev_b32_e32 v54, 3, v57
	s_mov_b32 s52, exec_lo
	v_cmpx_gt_u32_e32 8, v57
; %bb.94:                               ;   in Loop: Header=BB191_13 Depth=1
	v_ffbh_u32_e32 v54, v23
	v_min_u32_e32 v54, 32, v54
	v_subrev_nc_u32_e32 v57, 28, v54
	v_sub_nc_u32_e32 v54, 29, v54
	v_lshlrev_b64 v[57:58], v57, v[23:24]
	v_and_b32_e32 v23, 7, v57
; %bb.95:                               ;   in Loop: Header=BB191_13 Depth=1
	s_or_b32 exec_lo, exec_lo, s52
	v_lshlrev_b32_e32 v56, 24, v56
	v_lshlrev_b32_e32 v23, 20, v23
	v_lshl_add_u32 v54, v54, 23, 0x3c000000
	v_and_b32_e32 v56, 0x80000000, v56
	v_or3_b32 v54, v23, v56, v54
.LBB191_96:                             ;   in Loop: Header=BB191_13 Depth=1
	s_or_b32 exec_lo, exec_lo, s51
.LBB191_97:                             ;   in Loop: Header=BB191_13 Depth=1
	s_or_b32 exec_lo, exec_lo, s50
.LBB191_98:                             ;   in Loop: Header=BB191_13 Depth=1
	s_or_b32 exec_lo, exec_lo, s49
	global_load_ubyte v58, v[29:30], off offset:264
	v_mov_b32_e32 v56, 0
	v_mov_b32_e32 v57, 0
	s_mov_b32 s49, exec_lo
	s_waitcnt vmcnt(0)
	v_cmpx_ne_u16_e32 0, v58
	s_cbranch_execz .LBB191_106
; %bb.99:                               ;   in Loop: Header=BB191_13 Depth=1
	v_bfrev_b32_e32 v57, 1
	s_mov_b32 s50, exec_lo
	v_cmpx_ne_u16_e32 0x80, v58
	s_cbranch_execz .LBB191_105
; %bb.100:                              ;   in Loop: Header=BB191_13 Depth=1
	v_and_b32_sdwa v59, v58, v40 dst_sel:DWORD dst_unused:UNUSED_PAD src0_sel:WORD_0 src1_sel:DWORD
	v_mov_b32_e32 v57, 0x7f800001
	s_mov_b32 s51, exec_lo
	v_cmpx_ne_u32_e32 0x7f, v59
	s_cbranch_execz .LBB191_104
; %bb.101:                              ;   in Loop: Header=BB191_13 Depth=1
	v_and_b32_sdwa v23, v58, v41 dst_sel:DWORD dst_unused:UNUSED_PAD src0_sel:WORD_0 src1_sel:DWORD
	v_lshrrev_b32_e32 v57, 3, v59
	s_mov_b32 s52, exec_lo
	v_cmpx_gt_u32_e32 8, v59
; %bb.102:                              ;   in Loop: Header=BB191_13 Depth=1
	v_ffbh_u32_e32 v57, v23
	v_min_u32_e32 v57, 32, v57
	v_subrev_nc_u32_e32 v59, 28, v57
	v_sub_nc_u32_e32 v57, 29, v57
	v_lshlrev_b64 v[59:60], v59, v[23:24]
	v_and_b32_e32 v23, 7, v59
; %bb.103:                              ;   in Loop: Header=BB191_13 Depth=1
	s_or_b32 exec_lo, exec_lo, s52
	v_lshlrev_b32_e32 v58, 24, v58
	v_lshlrev_b32_e32 v23, 20, v23
	v_lshl_add_u32 v57, v57, 23, 0x3c000000
	v_and_b32_e32 v58, 0x80000000, v58
	v_or3_b32 v57, v23, v58, v57
.LBB191_104:                            ;   in Loop: Header=BB191_13 Depth=1
	s_or_b32 exec_lo, exec_lo, s51
.LBB191_105:                            ;   in Loop: Header=BB191_13 Depth=1
	s_or_b32 exec_lo, exec_lo, s50
.LBB191_106:                            ;   in Loop: Header=BB191_13 Depth=1
	s_or_b32 exec_lo, exec_lo, s49
	global_load_ubyte v58, v[29:30], off offset:268
	s_mov_b32 s49, exec_lo
	s_waitcnt vmcnt(0)
	v_cmpx_ne_u16_e32 0, v58
	s_cbranch_execz .LBB191_114
; %bb.107:                              ;   in Loop: Header=BB191_13 Depth=1
	v_bfrev_b32_e32 v56, 1
	s_mov_b32 s50, exec_lo
	v_cmpx_ne_u16_e32 0x80, v58
	s_cbranch_execz .LBB191_113
; %bb.108:                              ;   in Loop: Header=BB191_13 Depth=1
	v_and_b32_sdwa v59, v58, v40 dst_sel:DWORD dst_unused:UNUSED_PAD src0_sel:WORD_0 src1_sel:DWORD
	v_mov_b32_e32 v56, 0x7f800001
	s_mov_b32 s51, exec_lo
	v_cmpx_ne_u32_e32 0x7f, v59
	s_cbranch_execz .LBB191_112
; %bb.109:                              ;   in Loop: Header=BB191_13 Depth=1
	v_and_b32_sdwa v23, v58, v41 dst_sel:DWORD dst_unused:UNUSED_PAD src0_sel:WORD_0 src1_sel:DWORD
	v_lshrrev_b32_e32 v56, 3, v59
	s_mov_b32 s52, exec_lo
	v_cmpx_gt_u32_e32 8, v59
; %bb.110:                              ;   in Loop: Header=BB191_13 Depth=1
	v_ffbh_u32_e32 v56, v23
	v_min_u32_e32 v56, 32, v56
	v_subrev_nc_u32_e32 v59, 28, v56
	v_sub_nc_u32_e32 v56, 29, v56
	v_lshlrev_b64 v[59:60], v59, v[23:24]
	v_and_b32_e32 v23, 7, v59
; %bb.111:                              ;   in Loop: Header=BB191_13 Depth=1
	s_or_b32 exec_lo, exec_lo, s52
	v_lshlrev_b32_e32 v58, 24, v58
	v_lshlrev_b32_e32 v23, 20, v23
	v_lshl_add_u32 v56, v56, 23, 0x3c000000
	v_and_b32_e32 v58, 0x80000000, v58
	v_or3_b32 v56, v23, v58, v56
.LBB191_112:                            ;   in Loop: Header=BB191_13 Depth=1
	s_or_b32 exec_lo, exec_lo, s51
.LBB191_113:                            ;   in Loop: Header=BB191_13 Depth=1
	s_or_b32 exec_lo, exec_lo, s50
.LBB191_114:                            ;   in Loop: Header=BB191_13 Depth=1
	s_or_b32 exec_lo, exec_lo, s49
	global_load_ubyte v60, v[29:30], off offset:384
	v_mov_b32_e32 v58, 0
	v_mov_b32_e32 v59, 0
	s_mov_b32 s49, exec_lo
	s_waitcnt vmcnt(0)
	v_cmpx_ne_u16_e32 0, v60
	s_cbranch_execz .LBB191_122
; %bb.115:                              ;   in Loop: Header=BB191_13 Depth=1
	v_bfrev_b32_e32 v59, 1
	s_mov_b32 s50, exec_lo
	v_cmpx_ne_u16_e32 0x80, v60
	s_cbranch_execz .LBB191_121
; %bb.116:                              ;   in Loop: Header=BB191_13 Depth=1
	v_and_b32_sdwa v61, v60, v40 dst_sel:DWORD dst_unused:UNUSED_PAD src0_sel:WORD_0 src1_sel:DWORD
	v_mov_b32_e32 v59, 0x7f800001
	s_mov_b32 s51, exec_lo
	v_cmpx_ne_u32_e32 0x7f, v61
	s_cbranch_execz .LBB191_120
; %bb.117:                              ;   in Loop: Header=BB191_13 Depth=1
	v_and_b32_sdwa v23, v60, v41 dst_sel:DWORD dst_unused:UNUSED_PAD src0_sel:WORD_0 src1_sel:DWORD
	v_lshrrev_b32_e32 v59, 3, v61
	s_mov_b32 s52, exec_lo
	v_cmpx_gt_u32_e32 8, v61
; %bb.118:                              ;   in Loop: Header=BB191_13 Depth=1
	v_ffbh_u32_e32 v59, v23
	v_min_u32_e32 v59, 32, v59
	v_subrev_nc_u32_e32 v61, 28, v59
	v_sub_nc_u32_e32 v59, 29, v59
	v_lshlrev_b64 v[61:62], v61, v[23:24]
	v_and_b32_e32 v23, 7, v61
; %bb.119:                              ;   in Loop: Header=BB191_13 Depth=1
	s_or_b32 exec_lo, exec_lo, s52
	v_lshlrev_b32_e32 v60, 24, v60
	v_lshlrev_b32_e32 v23, 20, v23
	v_lshl_add_u32 v59, v59, 23, 0x3c000000
	v_and_b32_e32 v60, 0x80000000, v60
	v_or3_b32 v59, v23, v60, v59
.LBB191_120:                            ;   in Loop: Header=BB191_13 Depth=1
	s_or_b32 exec_lo, exec_lo, s51
.LBB191_121:                            ;   in Loop: Header=BB191_13 Depth=1
	s_or_b32 exec_lo, exec_lo, s50
.LBB191_122:                            ;   in Loop: Header=BB191_13 Depth=1
	s_or_b32 exec_lo, exec_lo, s49
	global_load_ubyte v60, v[29:30], off offset:388
	s_mov_b32 s49, exec_lo
	s_waitcnt vmcnt(0)
	v_cmpx_ne_u16_e32 0, v60
	s_cbranch_execz .LBB191_130
; %bb.123:                              ;   in Loop: Header=BB191_13 Depth=1
	v_bfrev_b32_e32 v58, 1
	s_mov_b32 s50, exec_lo
	v_cmpx_ne_u16_e32 0x80, v60
	s_cbranch_execz .LBB191_129
; %bb.124:                              ;   in Loop: Header=BB191_13 Depth=1
	v_and_b32_sdwa v61, v60, v40 dst_sel:DWORD dst_unused:UNUSED_PAD src0_sel:WORD_0 src1_sel:DWORD
	v_mov_b32_e32 v58, 0x7f800001
	s_mov_b32 s51, exec_lo
	v_cmpx_ne_u32_e32 0x7f, v61
	s_cbranch_execz .LBB191_128
; %bb.125:                              ;   in Loop: Header=BB191_13 Depth=1
	v_and_b32_sdwa v23, v60, v41 dst_sel:DWORD dst_unused:UNUSED_PAD src0_sel:WORD_0 src1_sel:DWORD
	v_lshrrev_b32_e32 v58, 3, v61
	s_mov_b32 s52, exec_lo
	v_cmpx_gt_u32_e32 8, v61
; %bb.126:                              ;   in Loop: Header=BB191_13 Depth=1
	v_ffbh_u32_e32 v58, v23
	v_min_u32_e32 v58, 32, v58
	v_subrev_nc_u32_e32 v61, 28, v58
	v_sub_nc_u32_e32 v58, 29, v58
	v_lshlrev_b64 v[61:62], v61, v[23:24]
	v_and_b32_e32 v23, 7, v61
; %bb.127:                              ;   in Loop: Header=BB191_13 Depth=1
	s_or_b32 exec_lo, exec_lo, s52
	v_lshlrev_b32_e32 v60, 24, v60
	v_lshlrev_b32_e32 v23, 20, v23
	v_lshl_add_u32 v58, v58, 23, 0x3c000000
	v_and_b32_e32 v60, 0x80000000, v60
	v_or3_b32 v58, v23, v60, v58
.LBB191_128:                            ;   in Loop: Header=BB191_13 Depth=1
	s_or_b32 exec_lo, exec_lo, s51
.LBB191_129:                            ;   in Loop: Header=BB191_13 Depth=1
	s_or_b32 exec_lo, exec_lo, s50
.LBB191_130:                            ;   in Loop: Header=BB191_13 Depth=1
	s_or_b32 exec_lo, exec_lo, s49
	global_load_ubyte v62, v[29:30], off offset:392
	v_mov_b32_e32 v60, 0
	v_mov_b32_e32 v61, 0
	s_mov_b32 s49, exec_lo
	s_waitcnt vmcnt(0)
	v_cmpx_ne_u16_e32 0, v62
	s_cbranch_execz .LBB191_138
; %bb.131:                              ;   in Loop: Header=BB191_13 Depth=1
	v_bfrev_b32_e32 v61, 1
	s_mov_b32 s50, exec_lo
	v_cmpx_ne_u16_e32 0x80, v62
	s_cbranch_execz .LBB191_137
; %bb.132:                              ;   in Loop: Header=BB191_13 Depth=1
	v_and_b32_sdwa v63, v62, v40 dst_sel:DWORD dst_unused:UNUSED_PAD src0_sel:WORD_0 src1_sel:DWORD
	v_mov_b32_e32 v61, 0x7f800001
	s_mov_b32 s51, exec_lo
	v_cmpx_ne_u32_e32 0x7f, v63
	s_cbranch_execz .LBB191_136
; %bb.133:                              ;   in Loop: Header=BB191_13 Depth=1
	v_and_b32_sdwa v23, v62, v41 dst_sel:DWORD dst_unused:UNUSED_PAD src0_sel:WORD_0 src1_sel:DWORD
	v_lshrrev_b32_e32 v61, 3, v63
	s_mov_b32 s52, exec_lo
	v_cmpx_gt_u32_e32 8, v63
; %bb.134:                              ;   in Loop: Header=BB191_13 Depth=1
	v_ffbh_u32_e32 v61, v23
	v_min_u32_e32 v61, 32, v61
	v_subrev_nc_u32_e32 v63, 28, v61
	v_sub_nc_u32_e32 v61, 29, v61
	v_lshlrev_b64 v[63:64], v63, v[23:24]
	v_and_b32_e32 v23, 7, v63
; %bb.135:                              ;   in Loop: Header=BB191_13 Depth=1
	s_or_b32 exec_lo, exec_lo, s52
	v_lshlrev_b32_e32 v62, 24, v62
	v_lshlrev_b32_e32 v23, 20, v23
	v_lshl_add_u32 v61, v61, 23, 0x3c000000
	v_and_b32_e32 v62, 0x80000000, v62
	v_or3_b32 v61, v23, v62, v61
.LBB191_136:                            ;   in Loop: Header=BB191_13 Depth=1
	s_or_b32 exec_lo, exec_lo, s51
.LBB191_137:                            ;   in Loop: Header=BB191_13 Depth=1
	s_or_b32 exec_lo, exec_lo, s50
.LBB191_138:                            ;   in Loop: Header=BB191_13 Depth=1
	s_or_b32 exec_lo, exec_lo, s49
	global_load_ubyte v62, v[29:30], off offset:396
	s_mov_b32 s49, exec_lo
	s_waitcnt vmcnt(0)
	v_cmpx_ne_u16_e32 0, v62
	s_cbranch_execz .LBB191_146
; %bb.139:                              ;   in Loop: Header=BB191_13 Depth=1
	v_bfrev_b32_e32 v60, 1
	s_mov_b32 s50, exec_lo
	v_cmpx_ne_u16_e32 0x80, v62
	s_cbranch_execz .LBB191_145
; %bb.140:                              ;   in Loop: Header=BB191_13 Depth=1
	v_and_b32_sdwa v63, v62, v40 dst_sel:DWORD dst_unused:UNUSED_PAD src0_sel:WORD_0 src1_sel:DWORD
	v_mov_b32_e32 v60, 0x7f800001
	s_mov_b32 s51, exec_lo
	v_cmpx_ne_u32_e32 0x7f, v63
	s_cbranch_execz .LBB191_144
; %bb.141:                              ;   in Loop: Header=BB191_13 Depth=1
	v_and_b32_sdwa v23, v62, v41 dst_sel:DWORD dst_unused:UNUSED_PAD src0_sel:WORD_0 src1_sel:DWORD
	v_lshrrev_b32_e32 v60, 3, v63
	s_mov_b32 s52, exec_lo
	v_cmpx_gt_u32_e32 8, v63
; %bb.142:                              ;   in Loop: Header=BB191_13 Depth=1
	v_ffbh_u32_e32 v60, v23
	v_min_u32_e32 v60, 32, v60
	v_subrev_nc_u32_e32 v63, 28, v60
	v_sub_nc_u32_e32 v60, 29, v60
	v_lshlrev_b64 v[63:64], v63, v[23:24]
	v_and_b32_e32 v23, 7, v63
; %bb.143:                              ;   in Loop: Header=BB191_13 Depth=1
	s_or_b32 exec_lo, exec_lo, s52
	v_lshlrev_b32_e32 v62, 24, v62
	v_lshlrev_b32_e32 v23, 20, v23
	v_lshl_add_u32 v60, v60, 23, 0x3c000000
	v_and_b32_e32 v62, 0x80000000, v62
	v_or3_b32 v60, v23, v62, v60
.LBB191_144:                            ;   in Loop: Header=BB191_13 Depth=1
	s_or_b32 exec_lo, exec_lo, s51
.LBB191_145:                            ;   in Loop: Header=BB191_13 Depth=1
	s_or_b32 exec_lo, exec_lo, s50
.LBB191_146:                            ;   in Loop: Header=BB191_13 Depth=1
	s_or_b32 exec_lo, exec_lo, s49
	global_load_ubyte v64, v[29:30], off offset:512
	v_mov_b32_e32 v62, 0
	v_mov_b32_e32 v63, 0
	s_mov_b32 s49, exec_lo
	s_waitcnt vmcnt(0)
	v_cmpx_ne_u16_e32 0, v64
	s_cbranch_execz .LBB191_154
; %bb.147:                              ;   in Loop: Header=BB191_13 Depth=1
	v_bfrev_b32_e32 v63, 1
	s_mov_b32 s50, exec_lo
	v_cmpx_ne_u16_e32 0x80, v64
	s_cbranch_execz .LBB191_153
; %bb.148:                              ;   in Loop: Header=BB191_13 Depth=1
	v_and_b32_sdwa v65, v64, v40 dst_sel:DWORD dst_unused:UNUSED_PAD src0_sel:WORD_0 src1_sel:DWORD
	v_mov_b32_e32 v63, 0x7f800001
	s_mov_b32 s51, exec_lo
	v_cmpx_ne_u32_e32 0x7f, v65
	s_cbranch_execz .LBB191_152
; %bb.149:                              ;   in Loop: Header=BB191_13 Depth=1
	v_and_b32_sdwa v23, v64, v41 dst_sel:DWORD dst_unused:UNUSED_PAD src0_sel:WORD_0 src1_sel:DWORD
	v_lshrrev_b32_e32 v63, 3, v65
	s_mov_b32 s52, exec_lo
	v_cmpx_gt_u32_e32 8, v65
; %bb.150:                              ;   in Loop: Header=BB191_13 Depth=1
	v_ffbh_u32_e32 v63, v23
	v_min_u32_e32 v63, 32, v63
	v_subrev_nc_u32_e32 v65, 28, v63
	v_sub_nc_u32_e32 v63, 29, v63
	v_lshlrev_b64 v[65:66], v65, v[23:24]
	v_and_b32_e32 v23, 7, v65
; %bb.151:                              ;   in Loop: Header=BB191_13 Depth=1
	s_or_b32 exec_lo, exec_lo, s52
	v_lshlrev_b32_e32 v64, 24, v64
	v_lshlrev_b32_e32 v23, 20, v23
	v_lshl_add_u32 v63, v63, 23, 0x3c000000
	v_and_b32_e32 v64, 0x80000000, v64
	v_or3_b32 v63, v23, v64, v63
.LBB191_152:                            ;   in Loop: Header=BB191_13 Depth=1
	s_or_b32 exec_lo, exec_lo, s51
.LBB191_153:                            ;   in Loop: Header=BB191_13 Depth=1
	s_or_b32 exec_lo, exec_lo, s50
.LBB191_154:                            ;   in Loop: Header=BB191_13 Depth=1
	s_or_b32 exec_lo, exec_lo, s49
	global_load_ubyte v64, v[29:30], off offset:516
	s_mov_b32 s49, exec_lo
	s_waitcnt vmcnt(0)
	v_cmpx_ne_u16_e32 0, v64
	s_cbranch_execz .LBB191_162
; %bb.155:                              ;   in Loop: Header=BB191_13 Depth=1
	v_bfrev_b32_e32 v62, 1
	s_mov_b32 s50, exec_lo
	v_cmpx_ne_u16_e32 0x80, v64
	s_cbranch_execz .LBB191_161
; %bb.156:                              ;   in Loop: Header=BB191_13 Depth=1
	v_and_b32_sdwa v65, v64, v40 dst_sel:DWORD dst_unused:UNUSED_PAD src0_sel:WORD_0 src1_sel:DWORD
	v_mov_b32_e32 v62, 0x7f800001
	s_mov_b32 s51, exec_lo
	v_cmpx_ne_u32_e32 0x7f, v65
	s_cbranch_execz .LBB191_160
; %bb.157:                              ;   in Loop: Header=BB191_13 Depth=1
	v_and_b32_sdwa v23, v64, v41 dst_sel:DWORD dst_unused:UNUSED_PAD src0_sel:WORD_0 src1_sel:DWORD
	v_lshrrev_b32_e32 v62, 3, v65
	s_mov_b32 s52, exec_lo
	v_cmpx_gt_u32_e32 8, v65
; %bb.158:                              ;   in Loop: Header=BB191_13 Depth=1
	v_ffbh_u32_e32 v62, v23
	v_min_u32_e32 v62, 32, v62
	v_subrev_nc_u32_e32 v65, 28, v62
	v_sub_nc_u32_e32 v62, 29, v62
	v_lshlrev_b64 v[65:66], v65, v[23:24]
	v_and_b32_e32 v23, 7, v65
; %bb.159:                              ;   in Loop: Header=BB191_13 Depth=1
	s_or_b32 exec_lo, exec_lo, s52
	v_lshlrev_b32_e32 v64, 24, v64
	v_lshlrev_b32_e32 v23, 20, v23
	v_lshl_add_u32 v62, v62, 23, 0x3c000000
	v_and_b32_e32 v64, 0x80000000, v64
	v_or3_b32 v62, v23, v64, v62
.LBB191_160:                            ;   in Loop: Header=BB191_13 Depth=1
	s_or_b32 exec_lo, exec_lo, s51
.LBB191_161:                            ;   in Loop: Header=BB191_13 Depth=1
	s_or_b32 exec_lo, exec_lo, s50
.LBB191_162:                            ;   in Loop: Header=BB191_13 Depth=1
	s_or_b32 exec_lo, exec_lo, s49
	global_load_ubyte v66, v[29:30], off offset:520
	v_mov_b32_e32 v64, 0
	v_mov_b32_e32 v65, 0
	s_mov_b32 s49, exec_lo
	s_waitcnt vmcnt(0)
	v_cmpx_ne_u16_e32 0, v66
	s_cbranch_execz .LBB191_170
; %bb.163:                              ;   in Loop: Header=BB191_13 Depth=1
	v_bfrev_b32_e32 v65, 1
	s_mov_b32 s50, exec_lo
	v_cmpx_ne_u16_e32 0x80, v66
	s_cbranch_execz .LBB191_169
; %bb.164:                              ;   in Loop: Header=BB191_13 Depth=1
	v_and_b32_sdwa v67, v66, v40 dst_sel:DWORD dst_unused:UNUSED_PAD src0_sel:WORD_0 src1_sel:DWORD
	v_mov_b32_e32 v65, 0x7f800001
	s_mov_b32 s51, exec_lo
	v_cmpx_ne_u32_e32 0x7f, v67
	s_cbranch_execz .LBB191_168
; %bb.165:                              ;   in Loop: Header=BB191_13 Depth=1
	v_and_b32_sdwa v23, v66, v41 dst_sel:DWORD dst_unused:UNUSED_PAD src0_sel:WORD_0 src1_sel:DWORD
	v_lshrrev_b32_e32 v65, 3, v67
	s_mov_b32 s52, exec_lo
	v_cmpx_gt_u32_e32 8, v67
; %bb.166:                              ;   in Loop: Header=BB191_13 Depth=1
	v_ffbh_u32_e32 v65, v23
	v_min_u32_e32 v65, 32, v65
	v_subrev_nc_u32_e32 v67, 28, v65
	v_sub_nc_u32_e32 v65, 29, v65
	v_lshlrev_b64 v[67:68], v67, v[23:24]
	v_and_b32_e32 v23, 7, v67
; %bb.167:                              ;   in Loop: Header=BB191_13 Depth=1
	s_or_b32 exec_lo, exec_lo, s52
	v_lshlrev_b32_e32 v66, 24, v66
	v_lshlrev_b32_e32 v23, 20, v23
	v_lshl_add_u32 v65, v65, 23, 0x3c000000
	v_and_b32_e32 v66, 0x80000000, v66
	v_or3_b32 v65, v23, v66, v65
.LBB191_168:                            ;   in Loop: Header=BB191_13 Depth=1
	s_or_b32 exec_lo, exec_lo, s51
.LBB191_169:                            ;   in Loop: Header=BB191_13 Depth=1
	s_or_b32 exec_lo, exec_lo, s50
.LBB191_170:                            ;   in Loop: Header=BB191_13 Depth=1
	s_or_b32 exec_lo, exec_lo, s49
	global_load_ubyte v29, v[29:30], off offset:524
	s_mov_b32 s49, exec_lo
	s_waitcnt vmcnt(0)
	v_cmpx_ne_u16_e32 0, v29
	s_cbranch_execz .LBB191_178
; %bb.171:                              ;   in Loop: Header=BB191_13 Depth=1
	v_bfrev_b32_e32 v64, 1
	s_mov_b32 s50, exec_lo
	v_cmpx_ne_u16_e32 0x80, v29
	s_cbranch_execz .LBB191_177
; %bb.172:                              ;   in Loop: Header=BB191_13 Depth=1
	v_and_b32_sdwa v66, v29, v40 dst_sel:DWORD dst_unused:UNUSED_PAD src0_sel:WORD_0 src1_sel:DWORD
	v_mov_b32_e32 v64, 0x7f800001
	s_mov_b32 s51, exec_lo
	v_cmpx_ne_u32_e32 0x7f, v66
	s_cbranch_execz .LBB191_176
; %bb.173:                              ;   in Loop: Header=BB191_13 Depth=1
	v_and_b32_sdwa v23, v29, v41 dst_sel:DWORD dst_unused:UNUSED_PAD src0_sel:WORD_0 src1_sel:DWORD
	v_lshrrev_b32_e32 v30, 3, v66
	s_mov_b32 s52, exec_lo
	v_cmpx_gt_u32_e32 8, v66
; %bb.174:                              ;   in Loop: Header=BB191_13 Depth=1
	v_ffbh_u32_e32 v30, v23
	v_min_u32_e32 v30, 32, v30
	v_subrev_nc_u32_e32 v64, 28, v30
	v_sub_nc_u32_e32 v30, 29, v30
	v_lshlrev_b64 v[66:67], v64, v[23:24]
	v_and_b32_e32 v23, 7, v66
; %bb.175:                              ;   in Loop: Header=BB191_13 Depth=1
	s_or_b32 exec_lo, exec_lo, s52
	v_lshlrev_b32_e32 v29, 24, v29
	v_lshlrev_b32_e32 v23, 20, v23
	v_lshl_add_u32 v30, v30, 23, 0x3c000000
	v_and_b32_e32 v29, 0x80000000, v29
	v_or3_b32 v64, v23, v29, v30
.LBB191_176:                            ;   in Loop: Header=BB191_13 Depth=1
	s_or_b32 exec_lo, exec_lo, s51
.LBB191_177:                            ;   in Loop: Header=BB191_13 Depth=1
	s_or_b32 exec_lo, exec_lo, s50
.LBB191_178:                            ;   in Loop: Header=BB191_13 Depth=1
	s_or_b32 exec_lo, exec_lo, s49
	s_waitcnt lgkmcnt(0)
	v_mul_f32_e32 v23, s48, v46
	v_mul_f32_e32 v29, s48, v47
	v_mul_f32_e32 v18, v18, v23
	v_mul_f32_e32 v23, s48, v49
	v_fmac_f32_e32 v18, v17, v29
	v_mul_f32_e32 v17, s48, v48
	v_fmac_f32_e32 v18, v19, v23
	v_mul_f32_e32 v19, s48, v51
	;; [unrolled: 2-line block ×15, first 2 shown]
	v_fmac_f32_e32 v18, v1, v5
	v_xor_b32_e32 v1, 2, v34
	v_mul_f32_e32 v5, s48, v65
	v_fmac_f32_e32 v18, v2, v6
	v_cmp_gt_i32_e64 s2, 32, v1
	v_mul_f32_e32 v2, s48, v64
	v_fmac_f32_e32 v18, v3, v5
	v_cndmask_b32_e64 v1, v34, v1, s2
	v_fmac_f32_e32 v18, v4, v2
	v_lshlrev_b32_e32 v1, 2, v1
	v_xor_b32_e32 v2, 1, v34
	ds_bpermute_b32 v1, v1, v18
	v_cmp_gt_i32_e64 s2, 32, v2
	v_cndmask_b32_e64 v2, v34, v2, s2
	v_lshlrev_b32_e32 v2, 2, v2
	s_waitcnt lgkmcnt(0)
	v_add_f32_e32 v1, v18, v1
	ds_bpermute_b32 v2, v2, v1
	s_and_saveexec_b32 s48, vcc_lo
	s_cbranch_execz .LBB191_11
; %bb.179:                              ;   in Loop: Header=BB191_13 Depth=1
	v_add_nc_u32_e32 v3, v42, v38
	s_waitcnt lgkmcnt(0)
	v_add_f32_e32 v1, v1, v2
	v_cvt_f32_i32_e32 v3, v3
	v_mul_f32_e32 v3, s43, v3
	v_cndmask_b32_e64 v2, 0, v3, s1
	v_max_f32_e32 v3, v35, v35
	v_fmac_f32_e32 v2, s41, v1
	v_add_nc_u32_e32 v1, v36, v38
	v_max_f32_e32 v3, v3, v2
	v_cmp_gt_i32_e64 s2, s31, v1
	v_cndmask_b32_e64 v1, 0, v2, s2
	v_cndmask_b32_e64 v35, v35, v3, s2
	ds_write_b32 v43, v1
	s_branch .LBB191_11
.LBB191_180:
	s_or_b32 exec_lo, exec_lo, s46
.LBB191_181:
	s_or_b32 exec_lo, exec_lo, s45
	v_xor_b32_e32 v1, 16, v34
	v_xor_b32_e32 v3, 8, v34
	v_max_f32_e32 v5, v35, v35
	v_and_b32_e32 v26, 31, v0
	v_cmp_gt_i32_e32 vcc_lo, 32, v1
	v_cndmask_b32_e32 v1, v34, v1, vcc_lo
	v_cmp_gt_i32_e32 vcc_lo, 32, v3
	s_waitcnt lgkmcnt(0)
	v_lshlrev_b32_e32 v2, 2, v1
	v_cndmask_b32_e32 v3, v34, v3, vcc_lo
	ds_bpermute_b32 v1, v2, v35
	v_lshlrev_b32_e32 v4, 2, v3
	s_waitcnt lgkmcnt(0)
	v_max_f32_e32 v1, v1, v1
	v_max_f32_e32 v1, v5, v1
	v_xor_b32_e32 v5, 4, v34
	ds_bpermute_b32 v3, v4, v1
	v_cmp_gt_i32_e32 vcc_lo, 32, v5
	v_cndmask_b32_e32 v5, v34, v5, vcc_lo
	v_cmp_eq_u32_e32 vcc_lo, 0, v26
	v_lshlrev_b32_e32 v7, 2, v5
	v_lshlrev_b32_e32 v5, 2, v31
	s_waitcnt lgkmcnt(0)
	v_max_f32_e32 v3, v3, v3
	v_max_f32_e32 v1, v1, v3
	ds_bpermute_b32 v3, v7, v1
	s_and_saveexec_b32 s1, vcc_lo
	s_cbranch_execz .LBB191_183
; %bb.182:
	s_waitcnt lgkmcnt(0)
	v_max_f32_e32 v3, v3, v3
	v_max_f32_e32 v1, v1, v1
	;; [unrolled: 1-line block ×3, first 2 shown]
	ds_write_b32 v5, v1 offset:320
.LBB191_183:
	s_or_b32 exec_lo, exec_lo, s1
	v_cmp_gt_u32_e64 s1, 4, v26
	v_mov_b32_e32 v1, 0xff7fffff
	v_lshlrev_b32_e32 v6, 2, v26
	s_waitcnt lgkmcnt(0)
	s_barrier
	buffer_gl0_inv
	s_and_saveexec_b32 s2, s1
; %bb.184:
	ds_read_b32 v1, v6 offset:320
; %bb.185:
	s_or_b32 exec_lo, exec_lo, s2
	v_xor_b32_e32 v3, 2, v34
	v_xor_b32_e32 v9, 1, v34
	v_cmp_gt_i32_e64 s2, 32, v3
	v_cndmask_b32_e64 v3, v34, v3, s2
	v_cmp_gt_i32_e64 s2, 32, v9
	v_lshlrev_b32_e32 v8, 2, v3
	v_cndmask_b32_e64 v9, v34, v9, s2
	s_sub_i32 s2, s20, s44
	s_lshl_b32 s2, s2, 3
	s_waitcnt lgkmcnt(0)
	ds_bpermute_b32 v3, v8, v1
	v_max_f32_e32 v1, v1, v1
	v_lshlrev_b32_e32 v27, 2, v9
	v_mov_b32_e32 v9, 0
	s_add_i32 s2, s2, s42
	s_min_i32 s2, s2, s31
	s_sub_i32 s4, s2, s42
	v_cmp_gt_i32_e64 s2, s4, v0
	s_waitcnt lgkmcnt(0)
	v_max_f32_e32 v3, v3, v3
	v_max_f32_e32 v1, v1, v3
	ds_bpermute_b32 v3, v27, v1
	s_waitcnt lgkmcnt(0)
	v_max_f32_e32 v3, v3, v3
	v_max_f32_e32 v1, v1, v3
	v_lshl_add_u32 v3, v0, 2, 0x160
	ds_bpermute_b32 v1, v9, v1
	s_and_saveexec_b32 s5, s2
	s_cbranch_execz .LBB191_189
; %bb.186:
	v_lshl_add_u32 v10, v0, 2, 0x160
	v_mov_b32_e32 v9, 0
	v_mov_b32_e32 v11, v0
	s_mov_b32 s12, 0
	.p2align	6
.LBB191_187:                            ; =>This Inner Loop Header: Depth=1
	ds_read_b32 v12, v10
	v_add_nc_u32_e32 v11, 0x80, v11
	v_cmp_le_i32_e64 s3, s4, v11
	s_or_b32 s12, s3, s12
	s_waitcnt lgkmcnt(0)
	v_sub_f32_e32 v12, v12, v1
	v_mul_f32_e32 v12, 0x3fb8aa3b, v12
	v_exp_f32_e32 v12, v12
	ds_write_b32 v10, v12
	v_add_f32_e32 v9, v9, v12
	v_add_nc_u32_e32 v10, 0x200, v10
	s_andn2_b32 exec_lo, exec_lo, s12
	s_cbranch_execnz .LBB191_187
; %bb.188:
	s_or_b32 exec_lo, exec_lo, s12
.LBB191_189:
	s_or_b32 exec_lo, exec_lo, s5
	ds_bpermute_b32 v2, v2, v9
	s_waitcnt lgkmcnt(0)
	v_add_f32_e32 v2, v9, v2
	ds_bpermute_b32 v4, v4, v2
	s_waitcnt lgkmcnt(0)
	v_add_f32_e32 v2, v2, v4
	;; [unrolled: 3-line block ×5, first 2 shown]
	s_and_saveexec_b32 s3, vcc_lo
; %bb.190:
	ds_write_b32 v5, v2 offset:336
; %bb.191:
	s_or_b32 exec_lo, exec_lo, s3
	s_waitcnt lgkmcnt(0)
	s_barrier
	buffer_gl0_inv
	s_and_saveexec_b32 s3, s1
; %bb.192:
	ds_read_b32 v2, v6 offset:336
; %bb.193:
	s_or_b32 exec_lo, exec_lo, s3
	s_waitcnt lgkmcnt(0)
	ds_bpermute_b32 v4, v8, v2
	s_waitcnt lgkmcnt(0)
	v_add_f32_e32 v2, v2, v4
	ds_bpermute_b32 v4, v27, v2
	s_waitcnt lgkmcnt(0)
	v_add_f32_e32 v2, v2, v4
	v_mov_b32_e32 v4, 0
	ds_bpermute_b32 v2, v4, v2
	s_and_saveexec_b32 s1, s2
	s_cbranch_execz .LBB191_196
; %bb.194:
	s_waitcnt lgkmcnt(0)
	v_add_f32_e32 v4, 0x358637bd, v2
	s_mov_b32 s2, 0
	v_div_scale_f32 v5, null, v4, v4, 1.0
	v_div_scale_f32 v8, vcc_lo, 1.0, v4, 1.0
	v_rcp_f32_e32 v6, v5
	v_fma_f32 v7, -v5, v6, 1.0
	v_fmac_f32_e32 v6, v7, v6
	v_mul_f32_e32 v7, v8, v6
	v_fma_f32 v9, -v5, v7, v8
	v_fmac_f32_e32 v7, v9, v6
	v_fma_f32 v5, -v5, v7, v8
	v_div_fmas_f32 v5, v5, v6, v7
	v_div_fixup_f32 v4, v5, v4, 1.0
	v_mov_b32_e32 v5, v0
.LBB191_195:                            ; =>This Inner Loop Header: Depth=1
	ds_read_b32 v6, v3
	v_add_nc_u32_e32 v5, 0x80, v5
	v_cmp_le_i32_e32 vcc_lo, s4, v5
	s_or_b32 s2, vcc_lo, s2
	s_waitcnt lgkmcnt(0)
	v_mul_f32_e32 v6, v4, v6
	ds_write_b32 v3, v6
	v_add_nc_u32_e32 v3, 0x200, v3
	s_andn2_b32 exec_lo, exec_lo, s2
	s_cbranch_execnz .LBB191_195
.LBB191_196:
	s_or_b32 exec_lo, exec_lo, s1
	s_mul_i32 s1, s7, s30
	s_waitcnt lgkmcnt(0)
	s_mul_i32 s2, s1, s9
	s_mov_b32 s1, exec_lo
	s_barrier
	buffer_gl0_inv
	v_cmpx_eq_u32_e32 0, v0
	s_cbranch_execz .LBB191_198
; %bb.197:
	s_ashr_i32 s3, s2, 31
	s_mul_i32 s12, s7, s6
	s_lshl_b64 s[4:5], s[2:3], 2
	v_mov_b32_e32 v3, 0
	s_add_u32 s3, s26, s4
	s_addc_u32 s6, s27, s5
	s_ashr_i32 s13, s12, 31
	s_lshl_b64 s[12:13], s[12:13], 2
	s_add_u32 s3, s3, s12
	s_addc_u32 s6, s6, s13
	s_ashr_i32 s9, s8, 31
	s_lshl_b64 s[26:27], s[8:9], 2
	s_add_u32 s42, s3, s26
	s_addc_u32 s43, s6, s27
	s_add_u32 s3, s24, s4
	s_addc_u32 s4, s25, s5
	;; [unrolled: 2-line block ×4, first 2 shown]
	global_store_dword v3, v1, s[42:43]
	global_store_dword v3, v2, s[4:5]
.LBB191_198:
	s_or_b32 exec_lo, exec_lo, s1
	v_mov_b32_e32 v37, 0
	v_and_b32_e32 v28, 1, v0
	v_mov_b32_e32 v35, 0
	v_mov_b32_e32 v34, 0
	;; [unrolled: 1-line block ×4, first 2 shown]
	s_and_saveexec_b32 s1, s0
	s_cbranch_execz .LBB191_374
; %bb.199:
	s_sub_i32 s3, s40, s21
	s_ashr_i32 s0, s18, 31
	s_add_u32 s5, s38, s18
	s_addc_u32 s0, s39, s0
	s_abs_i32 s4, s22
	v_and_b32_e32 v4, 0x7c, v33
	v_cvt_f32_u32_e32 v1, s4
	s_sub_i32 s6, 0, s4
	v_lshlrev_b32_e32 v5, 4, v28
	s_lshl_b64 s[12:13], s[36:37], 2
	v_add_co_u32 v11, s5, s5, v4
	v_rcp_iflag_f32_e32 v3, v1
	v_lshlrev_b64 v[1:2], 2, v[21:22]
	s_add_i32 s33, s33, -1
	v_lshl_or_b32 v5, v31, 5, v5
	v_add_co_ci_u32_e64 v12, null, s0, 0, s5
	s_add_u32 s0, s34, s12
	s_addc_u32 s5, s35, s13
	v_add_co_u32 v13, vcc_lo, s0, v1
	v_mul_f32_e32 v3, 0x4f7ffffe, v3
	v_and_b32_e32 v36, 4, v33
	v_mov_b32_e32 v6, 0
	v_mov_b32_e32 v33, 0x80
	v_bfrev_b32_e32 v8, 1
	v_cvt_u32_f32_e32 v3, v3
	v_mov_b32_e32 v38, 0xffff
	v_mov_b32_e32 v10, 0x7f800001
	;; [unrolled: 1-line block ×4, first 2 shown]
	v_mul_lo_u32 v7, s6, v3
	v_mov_b32_e32 v41, 24
	v_mov_b32_e32 v29, 0
	;; [unrolled: 1-line block ×5, first 2 shown]
	v_add_co_ci_u32_e64 v14, null, s5, v2, vcc_lo
	v_mul_hi_u32 v4, v3, v7
	v_add_nc_u32_e32 v42, 0x160, v5
	v_mov_b32_e32 v37, 0
	s_mov_b32 s6, s17
	s_mov_b32 s5, 0
	v_add_nc_u32_e32 v43, v3, v4
	s_branch .LBB191_202
.LBB191_200:                            ;   in Loop: Header=BB191_202 Depth=1
	s_or_b32 exec_lo, exec_lo, s0
	v_mul_f32_e32 v16, v1, v61
	v_mul_f32_e32 v17, v1, v59
	;; [unrolled: 1-line block ×5, first 2 shown]
	v_fmac_f32_e32 v16, v2, v60
	v_fmac_f32_e32 v17, v2, v58
	;; [unrolled: 1-line block ×15, first 2 shown]
	v_add_f32_e32 v30, v30, v16
	v_add_f32_e32 v34, v34, v17
	;; [unrolled: 1-line block ×5, first 2 shown]
.LBB191_201:                            ;   in Loop: Header=BB191_202 Depth=1
	s_or_b32 exec_lo, exec_lo, s9
	v_add_nc_u32_e32 v21, 4, v21
	v_add_co_u32 v13, s0, v13, 16
	v_add_co_ci_u32_e64 v14, null, 0, v14, s0
	v_cmp_le_i32_e32 vcc_lo, s20, v21
	v_add_nc_u32_e32 v32, 32, v32
	v_add_nc_u32_e32 v42, 0x80, v42
	s_or_b32 s5, vcc_lo, s5
	s_andn2_b32 exec_lo, exec_lo, s5
	s_cbranch_execz .LBB191_373
.LBB191_202:                            ; =>This Inner Loop Header: Depth=1
	v_sub_nc_u32_e32 v1, 0, v32
	v_max_i32_e32 v1, v32, v1
	v_mul_hi_u32 v2, v1, s16
	v_mul_lo_u32 v3, v2, s11
	v_sub_nc_u32_e32 v1, v1, v3
	v_add_nc_u32_e32 v3, 1, v2
	v_subrev_nc_u32_e32 v4, s11, v1
	v_cmp_le_u32_e32 vcc_lo, s11, v1
	v_cndmask_b32_e32 v2, v2, v3, vcc_lo
	v_cndmask_b32_e32 v1, v1, v4, vcc_lo
	v_ashrrev_i32_e32 v3, 31, v32
	v_add_nc_u32_e32 v4, 1, v2
	v_cmp_le_u32_e32 vcc_lo, s11, v1
	v_xor_b32_e32 v3, s23, v3
	v_cndmask_b32_e32 v1, v2, v4, vcc_lo
	v_xor_b32_e32 v1, v1, v3
	v_sub_nc_u32_e32 v1, v1, v3
	v_add_nc_u32_e32 v2, s19, v1
	v_cmp_lt_i32_e64 s0, s3, v1
	v_sub_nc_u32_e32 v3, 0, v2
	v_max_i32_e32 v3, v2, v3
	v_ashrrev_i32_e32 v2, 31, v2
	v_mul_hi_u32 v4, v3, v43
	v_mul_lo_u32 v4, v4, s4
	v_sub_nc_u32_e32 v3, v3, v4
	v_subrev_nc_u32_e32 v4, s4, v3
	v_cmp_le_u32_e32 vcc_lo, s4, v3
	v_cndmask_b32_e32 v3, v3, v4, vcc_lo
	v_subrev_nc_u32_e32 v4, s4, v3
	v_cmp_le_u32_e32 vcc_lo, s4, v3
	v_cndmask_b32_e32 v3, v3, v4, vcc_lo
	v_xor_b32_e32 v3, v3, v2
	v_sub_nc_u32_e32 v2, v3, v2
	v_cmp_eq_u32_e32 vcc_lo, 0, v2
	s_or_b32 s0, vcc_lo, s0
	s_and_saveexec_b32 s9, s0
	s_cbranch_execz .LBB191_201
; %bb.203:                              ;   in Loop: Header=BB191_202 Depth=1
	global_load_dword v1, v[13:14], off
	s_load_dword s12, s[14:15], 0x0
	v_mov_b32_e32 v19, 0
	v_mov_b32_e32 v17, 0
	;; [unrolled: 1-line block ×4, first 2 shown]
	s_waitcnt vmcnt(0)
	v_mad_i64_i32 v[15:16], null, v1, s6, v[11:12]
	ds_read_b128 v[1:4], v42
	global_load_dword v44, v[15:16], off
	s_waitcnt vmcnt(0)
	v_cmp_ne_u16_sdwa s13, v44, v6 src0_sel:BYTE_0 src1_sel:DWORD
	s_and_saveexec_b32 s0, s13
	s_cbranch_execz .LBB191_211
; %bb.204:                              ;   in Loop: Header=BB191_202 Depth=1
	v_bfrev_b32_e32 v17, 1
	v_mov_b32_e32 v18, 0
	v_cmp_ne_u16_sdwa s17, v44, v33 src0_sel:BYTE_0 src1_sel:DWORD
	s_and_saveexec_b32 s13, s17
	s_cbranch_execz .LBB191_210
; %bb.205:                              ;   in Loop: Header=BB191_202 Depth=1
	v_mov_b32_e32 v17, 0x7f800001
	v_and_b32_e32 v9, 0x7f, v44
	v_mov_b32_e32 v18, 0
	s_mov_b32 s17, exec_lo
	v_cmpx_ne_u32_e32 0x7f, v9
	s_cbranch_execz .LBB191_209
; %bb.206:                              ;   in Loop: Header=BB191_202 Depth=1
	v_and_b32_e32 v5, 7, v44
	v_lshrrev_b32_e32 v7, 3, v9
	s_mov_b32 s18, exec_lo
	v_cmpx_gt_u32_e32 8, v9
; %bb.207:                              ;   in Loop: Header=BB191_202 Depth=1
	v_ffbh_u32_e32 v7, v5
	v_min_u32_e32 v7, 32, v7
	v_subrev_nc_u32_e32 v9, 28, v7
	v_sub_nc_u32_e32 v7, 29, v7
	v_lshlrev_b64 v[17:18], v9, v[5:6]
	v_and_b32_e32 v5, 7, v17
; %bb.208:                              ;   in Loop: Header=BB191_202 Depth=1
	s_or_b32 exec_lo, exec_lo, s18
	v_lshlrev_b32_e32 v9, 24, v44
	v_lshlrev_b32_e32 v5, 20, v5
	v_lshl_add_u32 v7, v7, 23, 0x3c000000
	v_and_b32_e32 v9, 0x80000000, v9
	v_or3_b32 v5, v5, v9, v7
	v_mov_b32_e32 v18, v6
	v_mov_b32_e32 v17, v5
.LBB191_209:                            ;   in Loop: Header=BB191_202 Depth=1
	s_or_b32 exec_lo, exec_lo, s17
.LBB191_210:                            ;   in Loop: Header=BB191_202 Depth=1
	s_or_b32 exec_lo, exec_lo, s13
.LBB191_211:                            ;   in Loop: Header=BB191_202 Depth=1
	s_or_b32 exec_lo, exec_lo, s0
	v_cmp_ne_u16_sdwa s13, v44, v6 src0_sel:BYTE_1 src1_sel:DWORD
	s_and_saveexec_b32 s0, s13
	s_cbranch_execz .LBB191_219
; %bb.212:                              ;   in Loop: Header=BB191_202 Depth=1
	v_mov_b32_e32 v7, v6
	v_mov_b32_e32 v20, v8
	v_cmp_ne_u16_sdwa s17, v44, v33 src0_sel:BYTE_1 src1_sel:DWORD
	v_mov_b32_e32 v19, v7
	s_and_saveexec_b32 s13, s17
	s_cbranch_execz .LBB191_218
; %bb.213:                              ;   in Loop: Header=BB191_202 Depth=1
	v_and_b32_sdwa v5, v38, v44 dst_sel:DWORD dst_unused:UNUSED_PAD src0_sel:DWORD src1_sel:BYTE_1
	v_mov_b32_e32 v9, v6
	v_mov_b32_e32 v20, v10
	s_mov_b32 s17, exec_lo
	v_and_b32_e32 v22, 0x7f, v5
	v_mov_b32_e32 v19, v9
	v_cmpx_ne_u32_e32 0x7f, v22
	s_cbranch_execz .LBB191_217
; %bb.214:                              ;   in Loop: Header=BB191_202 Depth=1
	v_and_b32_e32 v5, 7, v5
	v_lshrrev_b32_e32 v7, 3, v22
	s_mov_b32 s18, exec_lo
	v_cmpx_gt_u32_e32 8, v22
; %bb.215:                              ;   in Loop: Header=BB191_202 Depth=1
	v_ffbh_u32_e32 v7, v5
	v_min_u32_e32 v7, 32, v7
	v_subrev_nc_u32_e32 v9, 28, v7
	v_sub_nc_u32_e32 v7, 29, v7
	v_lshlrev_b64 v[19:20], v9, v[5:6]
	v_and_b32_e32 v5, 7, v19
; %bb.216:                              ;   in Loop: Header=BB191_202 Depth=1
	s_or_b32 exec_lo, exec_lo, s18
	v_lshlrev_b32_e32 v9, 16, v44
	v_lshlrev_b32_e32 v5, 20, v5
	v_lshl_add_u32 v7, v7, 23, 0x3c000000
	v_mov_b32_e32 v19, v6
	v_and_b32_e32 v9, 0x80000000, v9
	v_or3_b32 v20, v5, v9, v7
.LBB191_217:                            ;   in Loop: Header=BB191_202 Depth=1
	s_or_b32 exec_lo, exec_lo, s17
.LBB191_218:                            ;   in Loop: Header=BB191_202 Depth=1
	s_or_b32 exec_lo, exec_lo, s13
.LBB191_219:                            ;   in Loop: Header=BB191_202 Depth=1
	s_or_b32 exec_lo, exec_lo, s0
	v_mov_b32_e32 v24, 0
	v_mov_b32_e32 v22, 0
	v_and_b32_sdwa v5, v44, v39 dst_sel:DWORD dst_unused:UNUSED_PAD src0_sel:WORD_1 src1_sel:DWORD
	v_mov_b32_e32 v25, 0
	v_mov_b32_e32 v23, 0
	s_mov_b32 s0, exec_lo
	v_cmpx_ne_u16_e32 0, v5
	s_cbranch_execz .LBB191_227
; %bb.220:                              ;   in Loop: Header=BB191_202 Depth=1
	v_bfrev_b32_e32 v22, 1
	v_mov_b32_e32 v23, 0
	s_mov_b32 s13, exec_lo
	v_cmpx_ne_u16_e32 0x80, v5
	s_cbranch_execz .LBB191_226
; %bb.221:                              ;   in Loop: Header=BB191_202 Depth=1
	v_mov_b32_e32 v22, 0x7f800001
	v_bfe_u32 v9, v44, 16, 7
	v_mov_b32_e32 v23, 0
	s_mov_b32 s17, exec_lo
	v_cmpx_ne_u32_e32 0x7f, v9
	s_cbranch_execz .LBB191_225
; %bb.222:                              ;   in Loop: Header=BB191_202 Depth=1
	v_and_b32_sdwa v5, v44, v40 dst_sel:DWORD dst_unused:UNUSED_PAD src0_sel:WORD_1 src1_sel:DWORD
	v_lshrrev_b32_e32 v7, 3, v9
	s_mov_b32 s18, exec_lo
	v_cmpx_gt_u32_e32 8, v9
; %bb.223:                              ;   in Loop: Header=BB191_202 Depth=1
	v_ffbh_u32_e32 v7, v5
	v_min_u32_e32 v7, 32, v7
	v_subrev_nc_u32_e32 v9, 28, v7
	v_sub_nc_u32_e32 v7, 29, v7
	v_lshlrev_b64 v[22:23], v9, v[5:6]
	v_and_b32_e32 v5, 7, v22
; %bb.224:                              ;   in Loop: Header=BB191_202 Depth=1
	s_or_b32 exec_lo, exec_lo, s18
	v_lshlrev_b32_sdwa v9, v41, v44 dst_sel:DWORD dst_unused:UNUSED_PAD src0_sel:DWORD src1_sel:WORD_1
	v_lshlrev_b32_e32 v5, 20, v5
	v_lshl_add_u32 v7, v7, 23, 0x3c000000
	v_and_b32_e32 v9, 0x80000000, v9
	v_or3_b32 v5, v5, v9, v7
	v_mov_b32_e32 v23, v6
	v_mov_b32_e32 v22, v5
.LBB191_225:                            ;   in Loop: Header=BB191_202 Depth=1
	s_or_b32 exec_lo, exec_lo, s17
.LBB191_226:                            ;   in Loop: Header=BB191_202 Depth=1
	s_or_b32 exec_lo, exec_lo, s13
.LBB191_227:                            ;   in Loop: Header=BB191_202 Depth=1
	s_or_b32 exec_lo, exec_lo, s0
	s_mov_b32 s0, exec_lo
	v_cmpx_lt_u32_e32 0xffffff, v44
	s_cbranch_execz .LBB191_235
; %bb.228:                              ;   in Loop: Header=BB191_202 Depth=1
	v_mov_b32_e32 v7, v6
	v_mov_b32_e32 v25, v8
	v_cmp_ne_u32_sdwa s17, v44, v33 src0_sel:BYTE_3 src1_sel:DWORD
	v_mov_b32_e32 v24, v7
	s_and_saveexec_b32 s13, s17
	s_cbranch_execz .LBB191_234
; %bb.229:                              ;   in Loop: Header=BB191_202 Depth=1
	v_mov_b32_e32 v9, v6
	v_mov_b32_e32 v25, v10
	v_bfe_u32 v45, v44, 24, 7
	s_mov_b32 s17, exec_lo
	v_mov_b32_e32 v24, v9
	v_cmpx_ne_u32_e32 0x7f, v45
	s_cbranch_execz .LBB191_233
; %bb.230:                              ;   in Loop: Header=BB191_202 Depth=1
	v_and_b32_sdwa v5, v44, v40 dst_sel:DWORD dst_unused:UNUSED_PAD src0_sel:BYTE_3 src1_sel:DWORD
	v_lshrrev_b32_e32 v7, 3, v45
	s_mov_b32 s18, exec_lo
	v_cmpx_gt_u32_e32 8, v45
; %bb.231:                              ;   in Loop: Header=BB191_202 Depth=1
	v_ffbh_u32_e32 v7, v5
	v_min_u32_e32 v7, 32, v7
	v_subrev_nc_u32_e32 v9, 28, v7
	v_sub_nc_u32_e32 v7, 29, v7
	v_lshlrev_b64 v[24:25], v9, v[5:6]
	v_and_b32_e32 v5, 7, v24
; %bb.232:                              ;   in Loop: Header=BB191_202 Depth=1
	s_or_b32 exec_lo, exec_lo, s18
	v_lshlrev_b32_sdwa v9, v41, v44 dst_sel:DWORD dst_unused:UNUSED_PAD src0_sel:DWORD src1_sel:BYTE_3
	v_lshlrev_b32_e32 v5, 20, v5
	v_lshl_add_u32 v7, v7, 23, 0x3c000000
	v_mov_b32_e32 v24, v6
	v_and_b32_e32 v9, 0x80000000, v9
	v_or3_b32 v25, v5, v9, v7
.LBB191_233:                            ;   in Loop: Header=BB191_202 Depth=1
	s_or_b32 exec_lo, exec_lo, s17
.LBB191_234:                            ;   in Loop: Header=BB191_202 Depth=1
	s_or_b32 exec_lo, exec_lo, s13
.LBB191_235:                            ;   in Loop: Header=BB191_202 Depth=1
	s_or_b32 exec_lo, exec_lo, s0
	v_add_nc_u32_e32 v48, v36, v32
	v_or_b32_e32 v5, v20, v18
	v_or_b32_e32 v7, v19, v17
	;; [unrolled: 1-line block ×4, first 2 shown]
	v_cmp_eq_u32_e32 vcc_lo, s33, v21
	s_waitcnt lgkmcnt(0)
	v_mul_f32_e32 v46, s12, v5
	v_mul_f32_e32 v47, s12, v7
	;; [unrolled: 1-line block ×4, first 2 shown]
	v_add_nc_u32_e32 v51, 1, v48
	v_add_nc_u32_e32 v50, 2, v48
	;; [unrolled: 1-line block ×3, first 2 shown]
	s_and_saveexec_b32 s13, vcc_lo
	s_cbranch_execz .LBB191_237
; %bb.236:                              ;   in Loop: Header=BB191_202 Depth=1
	v_cmp_gt_i32_e64 s0, s31, v48
	v_cndmask_b32_e64 v47, 0, v47, s0
	v_cmp_gt_i32_e64 s0, s31, v51
	v_cndmask_b32_e64 v46, 0, v46, s0
	;; [unrolled: 2-line block ×4, first 2 shown]
.LBB191_237:                            ;   in Loop: Header=BB191_202 Depth=1
	s_or_b32 exec_lo, exec_lo, s13
	global_load_dword v52, v[15:16], off offset:128
	v_mov_b32_e32 v19, 0
	v_mov_b32_e32 v17, 0
	;; [unrolled: 1-line block ×4, first 2 shown]
	s_waitcnt vmcnt(0)
	v_cmp_ne_u16_sdwa s0, v52, v6 src0_sel:BYTE_0 src1_sel:DWORD
	s_and_saveexec_b32 s13, s0
	s_cbranch_execz .LBB191_245
; %bb.238:                              ;   in Loop: Header=BB191_202 Depth=1
	v_bfrev_b32_e32 v17, 1
	v_mov_b32_e32 v18, 0
	v_cmp_ne_u16_sdwa s0, v52, v33 src0_sel:BYTE_0 src1_sel:DWORD
	s_and_saveexec_b32 s17, s0
	s_cbranch_execz .LBB191_244
; %bb.239:                              ;   in Loop: Header=BB191_202 Depth=1
	v_mov_b32_e32 v17, 0x7f800001
	v_and_b32_e32 v9, 0x7f, v52
	v_mov_b32_e32 v18, 0
	s_mov_b32 s18, exec_lo
	v_cmpx_ne_u32_e32 0x7f, v9
	s_cbranch_execz .LBB191_243
; %bb.240:                              ;   in Loop: Header=BB191_202 Depth=1
	v_and_b32_e32 v5, 7, v52
	v_lshrrev_b32_e32 v7, 3, v9
	s_mov_b32 s21, exec_lo
	v_cmpx_gt_u32_e32 8, v9
; %bb.241:                              ;   in Loop: Header=BB191_202 Depth=1
	v_ffbh_u32_e32 v7, v5
	v_min_u32_e32 v7, 32, v7
	v_subrev_nc_u32_e32 v9, 28, v7
	v_sub_nc_u32_e32 v7, 29, v7
	v_lshlrev_b64 v[17:18], v9, v[5:6]
	v_and_b32_e32 v5, 7, v17
; %bb.242:                              ;   in Loop: Header=BB191_202 Depth=1
	s_or_b32 exec_lo, exec_lo, s21
	v_lshlrev_b32_e32 v9, 24, v52
	v_lshlrev_b32_e32 v5, 20, v5
	v_lshl_add_u32 v7, v7, 23, 0x3c000000
	v_and_b32_e32 v9, 0x80000000, v9
	v_or3_b32 v5, v5, v9, v7
	v_mov_b32_e32 v18, v6
	v_mov_b32_e32 v17, v5
.LBB191_243:                            ;   in Loop: Header=BB191_202 Depth=1
	s_or_b32 exec_lo, exec_lo, s18
.LBB191_244:                            ;   in Loop: Header=BB191_202 Depth=1
	s_or_b32 exec_lo, exec_lo, s17
.LBB191_245:                            ;   in Loop: Header=BB191_202 Depth=1
	s_or_b32 exec_lo, exec_lo, s13
	v_cmp_ne_u16_sdwa s0, v52, v6 src0_sel:BYTE_1 src1_sel:DWORD
	s_and_saveexec_b32 s13, s0
	s_cbranch_execz .LBB191_253
; %bb.246:                              ;   in Loop: Header=BB191_202 Depth=1
	v_mov_b32_e32 v7, v6
	v_mov_b32_e32 v20, v8
	v_cmp_ne_u16_sdwa s0, v52, v33 src0_sel:BYTE_1 src1_sel:DWORD
	v_mov_b32_e32 v19, v7
	s_and_saveexec_b32 s17, s0
	s_cbranch_execz .LBB191_252
; %bb.247:                              ;   in Loop: Header=BB191_202 Depth=1
	v_and_b32_sdwa v5, v38, v52 dst_sel:DWORD dst_unused:UNUSED_PAD src0_sel:DWORD src1_sel:BYTE_1
	v_mov_b32_e32 v9, v6
	v_mov_b32_e32 v20, v10
	s_mov_b32 s18, exec_lo
	v_and_b32_e32 v22, 0x7f, v5
	v_mov_b32_e32 v19, v9
	v_cmpx_ne_u32_e32 0x7f, v22
	s_cbranch_execz .LBB191_251
; %bb.248:                              ;   in Loop: Header=BB191_202 Depth=1
	v_and_b32_e32 v5, 7, v5
	v_lshrrev_b32_e32 v7, 3, v22
	s_mov_b32 s21, exec_lo
	v_cmpx_gt_u32_e32 8, v22
; %bb.249:                              ;   in Loop: Header=BB191_202 Depth=1
	v_ffbh_u32_e32 v7, v5
	v_min_u32_e32 v7, 32, v7
	v_subrev_nc_u32_e32 v9, 28, v7
	v_sub_nc_u32_e32 v7, 29, v7
	v_lshlrev_b64 v[19:20], v9, v[5:6]
	v_and_b32_e32 v5, 7, v19
; %bb.250:                              ;   in Loop: Header=BB191_202 Depth=1
	s_or_b32 exec_lo, exec_lo, s21
	v_lshlrev_b32_e32 v9, 16, v52
	v_lshlrev_b32_e32 v5, 20, v5
	v_lshl_add_u32 v7, v7, 23, 0x3c000000
	v_mov_b32_e32 v19, v6
	v_and_b32_e32 v9, 0x80000000, v9
	v_or3_b32 v20, v5, v9, v7
.LBB191_251:                            ;   in Loop: Header=BB191_202 Depth=1
	s_or_b32 exec_lo, exec_lo, s18
.LBB191_252:                            ;   in Loop: Header=BB191_202 Depth=1
	s_or_b32 exec_lo, exec_lo, s17
.LBB191_253:                            ;   in Loop: Header=BB191_202 Depth=1
	s_or_b32 exec_lo, exec_lo, s13
	v_mov_b32_e32 v24, 0
	v_mov_b32_e32 v22, 0
	v_and_b32_sdwa v5, v52, v39 dst_sel:DWORD dst_unused:UNUSED_PAD src0_sel:WORD_1 src1_sel:DWORD
	v_mov_b32_e32 v25, 0
	v_mov_b32_e32 v23, 0
	s_mov_b32 s13, exec_lo
	v_cmpx_ne_u16_e32 0, v5
	s_cbranch_execz .LBB191_261
; %bb.254:                              ;   in Loop: Header=BB191_202 Depth=1
	v_bfrev_b32_e32 v22, 1
	v_mov_b32_e32 v23, 0
	s_mov_b32 s17, exec_lo
	v_cmpx_ne_u16_e32 0x80, v5
	s_cbranch_execz .LBB191_260
; %bb.255:                              ;   in Loop: Header=BB191_202 Depth=1
	v_mov_b32_e32 v22, 0x7f800001
	v_bfe_u32 v9, v52, 16, 7
	v_mov_b32_e32 v23, 0
	s_mov_b32 s18, exec_lo
	v_cmpx_ne_u32_e32 0x7f, v9
	s_cbranch_execz .LBB191_259
; %bb.256:                              ;   in Loop: Header=BB191_202 Depth=1
	v_and_b32_sdwa v5, v52, v40 dst_sel:DWORD dst_unused:UNUSED_PAD src0_sel:WORD_1 src1_sel:DWORD
	v_lshrrev_b32_e32 v7, 3, v9
	s_mov_b32 s21, exec_lo
	v_cmpx_gt_u32_e32 8, v9
; %bb.257:                              ;   in Loop: Header=BB191_202 Depth=1
	v_ffbh_u32_e32 v7, v5
	v_min_u32_e32 v7, 32, v7
	v_subrev_nc_u32_e32 v9, 28, v7
	v_sub_nc_u32_e32 v7, 29, v7
	v_lshlrev_b64 v[22:23], v9, v[5:6]
	v_and_b32_e32 v5, 7, v22
; %bb.258:                              ;   in Loop: Header=BB191_202 Depth=1
	s_or_b32 exec_lo, exec_lo, s21
	v_lshlrev_b32_sdwa v9, v41, v52 dst_sel:DWORD dst_unused:UNUSED_PAD src0_sel:DWORD src1_sel:WORD_1
	v_lshlrev_b32_e32 v5, 20, v5
	v_lshl_add_u32 v7, v7, 23, 0x3c000000
	v_and_b32_e32 v9, 0x80000000, v9
	v_or3_b32 v5, v5, v9, v7
	v_mov_b32_e32 v23, v6
	v_mov_b32_e32 v22, v5
.LBB191_259:                            ;   in Loop: Header=BB191_202 Depth=1
	s_or_b32 exec_lo, exec_lo, s18
.LBB191_260:                            ;   in Loop: Header=BB191_202 Depth=1
	s_or_b32 exec_lo, exec_lo, s17
.LBB191_261:                            ;   in Loop: Header=BB191_202 Depth=1
	s_or_b32 exec_lo, exec_lo, s13
	s_mov_b32 s13, exec_lo
	v_cmpx_lt_u32_e32 0xffffff, v52
	s_cbranch_execz .LBB191_269
; %bb.262:                              ;   in Loop: Header=BB191_202 Depth=1
	v_mov_b32_e32 v7, v6
	v_mov_b32_e32 v25, v8
	v_cmp_ne_u32_sdwa s0, v52, v33 src0_sel:BYTE_3 src1_sel:DWORD
	v_mov_b32_e32 v24, v7
	s_and_saveexec_b32 s17, s0
	s_cbranch_execz .LBB191_268
; %bb.263:                              ;   in Loop: Header=BB191_202 Depth=1
	v_mov_b32_e32 v9, v6
	v_mov_b32_e32 v25, v10
	v_bfe_u32 v53, v52, 24, 7
	s_mov_b32 s18, exec_lo
	v_mov_b32_e32 v24, v9
	v_cmpx_ne_u32_e32 0x7f, v53
	s_cbranch_execz .LBB191_267
; %bb.264:                              ;   in Loop: Header=BB191_202 Depth=1
	v_and_b32_sdwa v5, v52, v40 dst_sel:DWORD dst_unused:UNUSED_PAD src0_sel:BYTE_3 src1_sel:DWORD
	v_lshrrev_b32_e32 v7, 3, v53
	s_mov_b32 s21, exec_lo
	v_cmpx_gt_u32_e32 8, v53
; %bb.265:                              ;   in Loop: Header=BB191_202 Depth=1
	v_ffbh_u32_e32 v7, v5
	v_min_u32_e32 v7, 32, v7
	v_subrev_nc_u32_e32 v9, 28, v7
	v_sub_nc_u32_e32 v7, 29, v7
	v_lshlrev_b64 v[24:25], v9, v[5:6]
	v_and_b32_e32 v5, 7, v24
; %bb.266:                              ;   in Loop: Header=BB191_202 Depth=1
	s_or_b32 exec_lo, exec_lo, s21
	v_lshlrev_b32_sdwa v9, v41, v52 dst_sel:DWORD dst_unused:UNUSED_PAD src0_sel:DWORD src1_sel:BYTE_3
	v_lshlrev_b32_e32 v5, 20, v5
	v_lshl_add_u32 v7, v7, 23, 0x3c000000
	v_mov_b32_e32 v24, v6
	v_and_b32_e32 v9, 0x80000000, v9
	v_or3_b32 v25, v5, v9, v7
.LBB191_267:                            ;   in Loop: Header=BB191_202 Depth=1
	s_or_b32 exec_lo, exec_lo, s18
.LBB191_268:                            ;   in Loop: Header=BB191_202 Depth=1
	s_or_b32 exec_lo, exec_lo, s17
.LBB191_269:                            ;   in Loop: Header=BB191_202 Depth=1
	s_or_b32 exec_lo, exec_lo, s13
	v_or_b32_e32 v5, v20, v18
	v_or_b32_e32 v7, v19, v17
	;; [unrolled: 1-line block ×4, first 2 shown]
	s_mov_b32 s13, s12
	v_mul_f32_e32 v54, s13, v5
	v_mul_f32_e32 v55, s12, v7
	;; [unrolled: 1-line block ×4, first 2 shown]
	s_and_saveexec_b32 s17, vcc_lo
	s_cbranch_execz .LBB191_271
; %bb.270:                              ;   in Loop: Header=BB191_202 Depth=1
	v_cmp_gt_i32_e64 s0, s31, v48
	v_cndmask_b32_e64 v55, 0, v55, s0
	v_cmp_gt_i32_e64 s0, s31, v51
	v_cndmask_b32_e64 v54, 0, v54, s0
	;; [unrolled: 2-line block ×4, first 2 shown]
.LBB191_271:                            ;   in Loop: Header=BB191_202 Depth=1
	s_or_b32 exec_lo, exec_lo, s17
	global_load_dword v56, v[15:16], off offset:256
	v_mov_b32_e32 v19, 0
	v_mov_b32_e32 v17, 0
	;; [unrolled: 1-line block ×4, first 2 shown]
	s_waitcnt vmcnt(0)
	v_cmp_ne_u16_sdwa s0, v56, v6 src0_sel:BYTE_0 src1_sel:DWORD
	s_and_saveexec_b32 s17, s0
	s_cbranch_execz .LBB191_279
; %bb.272:                              ;   in Loop: Header=BB191_202 Depth=1
	v_bfrev_b32_e32 v17, 1
	v_mov_b32_e32 v18, 0
	v_cmp_ne_u16_sdwa s0, v56, v33 src0_sel:BYTE_0 src1_sel:DWORD
	s_and_saveexec_b32 s18, s0
	s_cbranch_execz .LBB191_278
; %bb.273:                              ;   in Loop: Header=BB191_202 Depth=1
	v_mov_b32_e32 v17, 0x7f800001
	v_and_b32_e32 v9, 0x7f, v56
	v_mov_b32_e32 v18, 0
	s_mov_b32 s21, exec_lo
	v_cmpx_ne_u32_e32 0x7f, v9
	s_cbranch_execz .LBB191_277
; %bb.274:                              ;   in Loop: Header=BB191_202 Depth=1
	v_and_b32_e32 v5, 7, v56
	v_lshrrev_b32_e32 v7, 3, v9
	s_mov_b32 s22, exec_lo
	v_cmpx_gt_u32_e32 8, v9
; %bb.275:                              ;   in Loop: Header=BB191_202 Depth=1
	v_ffbh_u32_e32 v7, v5
	v_min_u32_e32 v7, 32, v7
	v_subrev_nc_u32_e32 v9, 28, v7
	v_sub_nc_u32_e32 v7, 29, v7
	v_lshlrev_b64 v[17:18], v9, v[5:6]
	v_and_b32_e32 v5, 7, v17
; %bb.276:                              ;   in Loop: Header=BB191_202 Depth=1
	s_or_b32 exec_lo, exec_lo, s22
	v_lshlrev_b32_e32 v9, 24, v56
	v_lshlrev_b32_e32 v5, 20, v5
	v_lshl_add_u32 v7, v7, 23, 0x3c000000
	v_and_b32_e32 v9, 0x80000000, v9
	v_or3_b32 v5, v5, v9, v7
	v_mov_b32_e32 v18, v6
	v_mov_b32_e32 v17, v5
.LBB191_277:                            ;   in Loop: Header=BB191_202 Depth=1
	s_or_b32 exec_lo, exec_lo, s21
.LBB191_278:                            ;   in Loop: Header=BB191_202 Depth=1
	s_or_b32 exec_lo, exec_lo, s18
.LBB191_279:                            ;   in Loop: Header=BB191_202 Depth=1
	s_or_b32 exec_lo, exec_lo, s17
	v_cmp_ne_u16_sdwa s0, v56, v6 src0_sel:BYTE_1 src1_sel:DWORD
	s_and_saveexec_b32 s17, s0
	s_cbranch_execz .LBB191_287
; %bb.280:                              ;   in Loop: Header=BB191_202 Depth=1
	v_mov_b32_e32 v7, v6
	v_mov_b32_e32 v20, v8
	v_cmp_ne_u16_sdwa s0, v56, v33 src0_sel:BYTE_1 src1_sel:DWORD
	v_mov_b32_e32 v19, v7
	s_and_saveexec_b32 s18, s0
	s_cbranch_execz .LBB191_286
; %bb.281:                              ;   in Loop: Header=BB191_202 Depth=1
	v_and_b32_sdwa v5, v38, v56 dst_sel:DWORD dst_unused:UNUSED_PAD src0_sel:DWORD src1_sel:BYTE_1
	v_mov_b32_e32 v9, v6
	v_mov_b32_e32 v20, v10
	s_mov_b32 s21, exec_lo
	v_and_b32_e32 v22, 0x7f, v5
	v_mov_b32_e32 v19, v9
	v_cmpx_ne_u32_e32 0x7f, v22
	s_cbranch_execz .LBB191_285
; %bb.282:                              ;   in Loop: Header=BB191_202 Depth=1
	v_and_b32_e32 v5, 7, v5
	v_lshrrev_b32_e32 v7, 3, v22
	s_mov_b32 s22, exec_lo
	v_cmpx_gt_u32_e32 8, v22
; %bb.283:                              ;   in Loop: Header=BB191_202 Depth=1
	v_ffbh_u32_e32 v7, v5
	v_min_u32_e32 v7, 32, v7
	v_subrev_nc_u32_e32 v9, 28, v7
	v_sub_nc_u32_e32 v7, 29, v7
	v_lshlrev_b64 v[19:20], v9, v[5:6]
	v_and_b32_e32 v5, 7, v19
; %bb.284:                              ;   in Loop: Header=BB191_202 Depth=1
	s_or_b32 exec_lo, exec_lo, s22
	v_lshlrev_b32_e32 v9, 16, v56
	v_lshlrev_b32_e32 v5, 20, v5
	v_lshl_add_u32 v7, v7, 23, 0x3c000000
	v_mov_b32_e32 v19, v6
	v_and_b32_e32 v9, 0x80000000, v9
	v_or3_b32 v20, v5, v9, v7
.LBB191_285:                            ;   in Loop: Header=BB191_202 Depth=1
	s_or_b32 exec_lo, exec_lo, s21
.LBB191_286:                            ;   in Loop: Header=BB191_202 Depth=1
	s_or_b32 exec_lo, exec_lo, s18
.LBB191_287:                            ;   in Loop: Header=BB191_202 Depth=1
	s_or_b32 exec_lo, exec_lo, s17
	v_mov_b32_e32 v24, 0
	v_mov_b32_e32 v22, 0
	v_and_b32_sdwa v5, v56, v39 dst_sel:DWORD dst_unused:UNUSED_PAD src0_sel:WORD_1 src1_sel:DWORD
	v_mov_b32_e32 v25, 0
	v_mov_b32_e32 v23, 0
	s_mov_b32 s17, exec_lo
	v_cmpx_ne_u16_e32 0, v5
	s_cbranch_execz .LBB191_295
; %bb.288:                              ;   in Loop: Header=BB191_202 Depth=1
	v_bfrev_b32_e32 v22, 1
	v_mov_b32_e32 v23, 0
	s_mov_b32 s18, exec_lo
	v_cmpx_ne_u16_e32 0x80, v5
	s_cbranch_execz .LBB191_294
; %bb.289:                              ;   in Loop: Header=BB191_202 Depth=1
	v_mov_b32_e32 v22, 0x7f800001
	v_bfe_u32 v9, v56, 16, 7
	v_mov_b32_e32 v23, 0
	s_mov_b32 s21, exec_lo
	v_cmpx_ne_u32_e32 0x7f, v9
	s_cbranch_execz .LBB191_293
; %bb.290:                              ;   in Loop: Header=BB191_202 Depth=1
	v_and_b32_sdwa v5, v56, v40 dst_sel:DWORD dst_unused:UNUSED_PAD src0_sel:WORD_1 src1_sel:DWORD
	v_lshrrev_b32_e32 v7, 3, v9
	s_mov_b32 s22, exec_lo
	v_cmpx_gt_u32_e32 8, v9
; %bb.291:                              ;   in Loop: Header=BB191_202 Depth=1
	v_ffbh_u32_e32 v7, v5
	v_min_u32_e32 v7, 32, v7
	v_subrev_nc_u32_e32 v9, 28, v7
	v_sub_nc_u32_e32 v7, 29, v7
	v_lshlrev_b64 v[22:23], v9, v[5:6]
	v_and_b32_e32 v5, 7, v22
; %bb.292:                              ;   in Loop: Header=BB191_202 Depth=1
	s_or_b32 exec_lo, exec_lo, s22
	v_lshlrev_b32_sdwa v9, v41, v56 dst_sel:DWORD dst_unused:UNUSED_PAD src0_sel:DWORD src1_sel:WORD_1
	v_lshlrev_b32_e32 v5, 20, v5
	v_lshl_add_u32 v7, v7, 23, 0x3c000000
	v_and_b32_e32 v9, 0x80000000, v9
	v_or3_b32 v5, v5, v9, v7
	v_mov_b32_e32 v23, v6
	v_mov_b32_e32 v22, v5
.LBB191_293:                            ;   in Loop: Header=BB191_202 Depth=1
	s_or_b32 exec_lo, exec_lo, s21
.LBB191_294:                            ;   in Loop: Header=BB191_202 Depth=1
	s_or_b32 exec_lo, exec_lo, s18
.LBB191_295:                            ;   in Loop: Header=BB191_202 Depth=1
	s_or_b32 exec_lo, exec_lo, s17
	s_mov_b32 s17, exec_lo
	v_cmpx_lt_u32_e32 0xffffff, v56
	s_cbranch_execz .LBB191_303
; %bb.296:                              ;   in Loop: Header=BB191_202 Depth=1
	v_mov_b32_e32 v7, v6
	v_mov_b32_e32 v25, v8
	v_cmp_ne_u32_sdwa s0, v56, v33 src0_sel:BYTE_3 src1_sel:DWORD
	v_mov_b32_e32 v24, v7
	s_and_saveexec_b32 s18, s0
	s_cbranch_execz .LBB191_302
; %bb.297:                              ;   in Loop: Header=BB191_202 Depth=1
	v_mov_b32_e32 v9, v6
	v_mov_b32_e32 v25, v10
	v_bfe_u32 v57, v56, 24, 7
	s_mov_b32 s21, exec_lo
	v_mov_b32_e32 v24, v9
	v_cmpx_ne_u32_e32 0x7f, v57
	s_cbranch_execz .LBB191_301
; %bb.298:                              ;   in Loop: Header=BB191_202 Depth=1
	v_and_b32_sdwa v5, v56, v40 dst_sel:DWORD dst_unused:UNUSED_PAD src0_sel:BYTE_3 src1_sel:DWORD
	v_lshrrev_b32_e32 v7, 3, v57
	s_mov_b32 s22, exec_lo
	v_cmpx_gt_u32_e32 8, v57
; %bb.299:                              ;   in Loop: Header=BB191_202 Depth=1
	v_ffbh_u32_e32 v7, v5
	v_min_u32_e32 v7, 32, v7
	v_subrev_nc_u32_e32 v9, 28, v7
	v_sub_nc_u32_e32 v7, 29, v7
	v_lshlrev_b64 v[24:25], v9, v[5:6]
	v_and_b32_e32 v5, 7, v24
; %bb.300:                              ;   in Loop: Header=BB191_202 Depth=1
	s_or_b32 exec_lo, exec_lo, s22
	v_lshlrev_b32_sdwa v9, v41, v56 dst_sel:DWORD dst_unused:UNUSED_PAD src0_sel:DWORD src1_sel:BYTE_3
	v_lshlrev_b32_e32 v5, 20, v5
	v_lshl_add_u32 v7, v7, 23, 0x3c000000
	v_mov_b32_e32 v24, v6
	v_and_b32_e32 v9, 0x80000000, v9
	v_or3_b32 v25, v5, v9, v7
.LBB191_301:                            ;   in Loop: Header=BB191_202 Depth=1
	s_or_b32 exec_lo, exec_lo, s21
.LBB191_302:                            ;   in Loop: Header=BB191_202 Depth=1
	s_or_b32 exec_lo, exec_lo, s18
.LBB191_303:                            ;   in Loop: Header=BB191_202 Depth=1
	s_or_b32 exec_lo, exec_lo, s17
	v_or_b32_e32 v5, v20, v18
	v_or_b32_e32 v7, v19, v17
	;; [unrolled: 1-line block ×4, first 2 shown]
	v_mul_f32_e32 v58, s13, v5
	v_mul_f32_e32 v59, s12, v7
	;; [unrolled: 1-line block ×4, first 2 shown]
	s_and_saveexec_b32 s17, vcc_lo
	s_cbranch_execz .LBB191_305
; %bb.304:                              ;   in Loop: Header=BB191_202 Depth=1
	v_cmp_gt_i32_e64 s0, s31, v48
	v_cndmask_b32_e64 v59, 0, v59, s0
	v_cmp_gt_i32_e64 s0, s31, v51
	v_cndmask_b32_e64 v58, 0, v58, s0
	;; [unrolled: 2-line block ×4, first 2 shown]
.LBB191_305:                            ;   in Loop: Header=BB191_202 Depth=1
	s_or_b32 exec_lo, exec_lo, s17
	global_load_dword v60, v[15:16], off offset:384
	v_mov_b32_e32 v19, 0
	v_mov_b32_e32 v17, 0
	;; [unrolled: 1-line block ×4, first 2 shown]
	s_waitcnt vmcnt(0)
	v_cmp_ne_u16_sdwa s0, v60, v6 src0_sel:BYTE_0 src1_sel:DWORD
	s_and_saveexec_b32 s17, s0
	s_cbranch_execz .LBB191_313
; %bb.306:                              ;   in Loop: Header=BB191_202 Depth=1
	v_bfrev_b32_e32 v17, 1
	v_mov_b32_e32 v18, 0
	v_cmp_ne_u16_sdwa s0, v60, v33 src0_sel:BYTE_0 src1_sel:DWORD
	s_and_saveexec_b32 s18, s0
	s_cbranch_execz .LBB191_312
; %bb.307:                              ;   in Loop: Header=BB191_202 Depth=1
	v_mov_b32_e32 v17, 0x7f800001
	v_and_b32_e32 v9, 0x7f, v60
	v_mov_b32_e32 v18, 0
	s_mov_b32 s21, exec_lo
	v_cmpx_ne_u32_e32 0x7f, v9
	s_cbranch_execz .LBB191_311
; %bb.308:                              ;   in Loop: Header=BB191_202 Depth=1
	v_and_b32_e32 v5, 7, v60
	v_lshrrev_b32_e32 v7, 3, v9
	s_mov_b32 s22, exec_lo
	v_cmpx_gt_u32_e32 8, v9
; %bb.309:                              ;   in Loop: Header=BB191_202 Depth=1
	v_ffbh_u32_e32 v7, v5
	v_min_u32_e32 v7, 32, v7
	v_subrev_nc_u32_e32 v9, 28, v7
	v_sub_nc_u32_e32 v7, 29, v7
	v_lshlrev_b64 v[17:18], v9, v[5:6]
	v_and_b32_e32 v5, 7, v17
; %bb.310:                              ;   in Loop: Header=BB191_202 Depth=1
	s_or_b32 exec_lo, exec_lo, s22
	v_lshlrev_b32_e32 v9, 24, v60
	v_lshlrev_b32_e32 v5, 20, v5
	v_lshl_add_u32 v7, v7, 23, 0x3c000000
	v_and_b32_e32 v9, 0x80000000, v9
	v_or3_b32 v5, v5, v9, v7
	v_mov_b32_e32 v18, v6
	v_mov_b32_e32 v17, v5
.LBB191_311:                            ;   in Loop: Header=BB191_202 Depth=1
	s_or_b32 exec_lo, exec_lo, s21
.LBB191_312:                            ;   in Loop: Header=BB191_202 Depth=1
	s_or_b32 exec_lo, exec_lo, s18
.LBB191_313:                            ;   in Loop: Header=BB191_202 Depth=1
	s_or_b32 exec_lo, exec_lo, s17
	v_cmp_ne_u16_sdwa s0, v60, v6 src0_sel:BYTE_1 src1_sel:DWORD
	s_and_saveexec_b32 s17, s0
	s_cbranch_execz .LBB191_321
; %bb.314:                              ;   in Loop: Header=BB191_202 Depth=1
	v_mov_b32_e32 v7, v6
	v_mov_b32_e32 v20, v8
	v_cmp_ne_u16_sdwa s0, v60, v33 src0_sel:BYTE_1 src1_sel:DWORD
	v_mov_b32_e32 v19, v7
	s_and_saveexec_b32 s18, s0
	s_cbranch_execz .LBB191_320
; %bb.315:                              ;   in Loop: Header=BB191_202 Depth=1
	v_and_b32_sdwa v5, v38, v60 dst_sel:DWORD dst_unused:UNUSED_PAD src0_sel:DWORD src1_sel:BYTE_1
	v_mov_b32_e32 v9, v6
	v_mov_b32_e32 v20, v10
	s_mov_b32 s21, exec_lo
	v_and_b32_e32 v22, 0x7f, v5
	v_mov_b32_e32 v19, v9
	v_cmpx_ne_u32_e32 0x7f, v22
	s_cbranch_execz .LBB191_319
; %bb.316:                              ;   in Loop: Header=BB191_202 Depth=1
	v_and_b32_e32 v5, 7, v5
	v_lshrrev_b32_e32 v7, 3, v22
	s_mov_b32 s22, exec_lo
	v_cmpx_gt_u32_e32 8, v22
; %bb.317:                              ;   in Loop: Header=BB191_202 Depth=1
	v_ffbh_u32_e32 v7, v5
	v_min_u32_e32 v7, 32, v7
	v_subrev_nc_u32_e32 v9, 28, v7
	v_sub_nc_u32_e32 v7, 29, v7
	v_lshlrev_b64 v[19:20], v9, v[5:6]
	v_and_b32_e32 v5, 7, v19
; %bb.318:                              ;   in Loop: Header=BB191_202 Depth=1
	s_or_b32 exec_lo, exec_lo, s22
	v_lshlrev_b32_e32 v9, 16, v60
	v_lshlrev_b32_e32 v5, 20, v5
	v_lshl_add_u32 v7, v7, 23, 0x3c000000
	v_mov_b32_e32 v19, v6
	v_and_b32_e32 v9, 0x80000000, v9
	v_or3_b32 v20, v5, v9, v7
.LBB191_319:                            ;   in Loop: Header=BB191_202 Depth=1
	s_or_b32 exec_lo, exec_lo, s21
.LBB191_320:                            ;   in Loop: Header=BB191_202 Depth=1
	s_or_b32 exec_lo, exec_lo, s18
.LBB191_321:                            ;   in Loop: Header=BB191_202 Depth=1
	s_or_b32 exec_lo, exec_lo, s17
	v_mov_b32_e32 v24, 0
	v_mov_b32_e32 v22, 0
	v_and_b32_sdwa v5, v60, v39 dst_sel:DWORD dst_unused:UNUSED_PAD src0_sel:WORD_1 src1_sel:DWORD
	v_mov_b32_e32 v25, 0
	v_mov_b32_e32 v23, 0
	s_mov_b32 s17, exec_lo
	v_cmpx_ne_u16_e32 0, v5
	s_cbranch_execz .LBB191_329
; %bb.322:                              ;   in Loop: Header=BB191_202 Depth=1
	v_bfrev_b32_e32 v22, 1
	v_mov_b32_e32 v23, 0
	s_mov_b32 s18, exec_lo
	v_cmpx_ne_u16_e32 0x80, v5
	s_cbranch_execz .LBB191_328
; %bb.323:                              ;   in Loop: Header=BB191_202 Depth=1
	v_mov_b32_e32 v22, 0x7f800001
	v_bfe_u32 v9, v60, 16, 7
	v_mov_b32_e32 v23, 0
	s_mov_b32 s21, exec_lo
	v_cmpx_ne_u32_e32 0x7f, v9
	s_cbranch_execz .LBB191_327
; %bb.324:                              ;   in Loop: Header=BB191_202 Depth=1
	v_and_b32_sdwa v5, v60, v40 dst_sel:DWORD dst_unused:UNUSED_PAD src0_sel:WORD_1 src1_sel:DWORD
	v_lshrrev_b32_e32 v7, 3, v9
	s_mov_b32 s22, exec_lo
	v_cmpx_gt_u32_e32 8, v9
; %bb.325:                              ;   in Loop: Header=BB191_202 Depth=1
	v_ffbh_u32_e32 v7, v5
	v_min_u32_e32 v7, 32, v7
	v_subrev_nc_u32_e32 v9, 28, v7
	v_sub_nc_u32_e32 v7, 29, v7
	v_lshlrev_b64 v[22:23], v9, v[5:6]
	v_and_b32_e32 v5, 7, v22
; %bb.326:                              ;   in Loop: Header=BB191_202 Depth=1
	s_or_b32 exec_lo, exec_lo, s22
	v_lshlrev_b32_sdwa v9, v41, v60 dst_sel:DWORD dst_unused:UNUSED_PAD src0_sel:DWORD src1_sel:WORD_1
	v_lshlrev_b32_e32 v5, 20, v5
	v_lshl_add_u32 v7, v7, 23, 0x3c000000
	v_and_b32_e32 v9, 0x80000000, v9
	v_or3_b32 v5, v5, v9, v7
	v_mov_b32_e32 v23, v6
	v_mov_b32_e32 v22, v5
.LBB191_327:                            ;   in Loop: Header=BB191_202 Depth=1
	s_or_b32 exec_lo, exec_lo, s21
.LBB191_328:                            ;   in Loop: Header=BB191_202 Depth=1
	s_or_b32 exec_lo, exec_lo, s18
.LBB191_329:                            ;   in Loop: Header=BB191_202 Depth=1
	s_or_b32 exec_lo, exec_lo, s17
	s_mov_b32 s17, exec_lo
	v_cmpx_lt_u32_e32 0xffffff, v60
	s_cbranch_execz .LBB191_337
; %bb.330:                              ;   in Loop: Header=BB191_202 Depth=1
	v_mov_b32_e32 v7, v6
	v_mov_b32_e32 v25, v8
	v_cmp_ne_u32_sdwa s0, v60, v33 src0_sel:BYTE_3 src1_sel:DWORD
	v_mov_b32_e32 v24, v7
	s_and_saveexec_b32 s18, s0
	s_cbranch_execz .LBB191_336
; %bb.331:                              ;   in Loop: Header=BB191_202 Depth=1
	v_mov_b32_e32 v9, v6
	v_mov_b32_e32 v25, v10
	v_bfe_u32 v61, v60, 24, 7
	s_mov_b32 s21, exec_lo
	v_mov_b32_e32 v24, v9
	v_cmpx_ne_u32_e32 0x7f, v61
	s_cbranch_execz .LBB191_335
; %bb.332:                              ;   in Loop: Header=BB191_202 Depth=1
	v_and_b32_sdwa v5, v60, v40 dst_sel:DWORD dst_unused:UNUSED_PAD src0_sel:BYTE_3 src1_sel:DWORD
	v_lshrrev_b32_e32 v7, 3, v61
	s_mov_b32 s22, exec_lo
	v_cmpx_gt_u32_e32 8, v61
; %bb.333:                              ;   in Loop: Header=BB191_202 Depth=1
	v_ffbh_u32_e32 v7, v5
	v_min_u32_e32 v7, 32, v7
	v_subrev_nc_u32_e32 v9, 28, v7
	v_sub_nc_u32_e32 v7, 29, v7
	v_lshlrev_b64 v[24:25], v9, v[5:6]
	v_and_b32_e32 v5, 7, v24
; %bb.334:                              ;   in Loop: Header=BB191_202 Depth=1
	s_or_b32 exec_lo, exec_lo, s22
	v_lshlrev_b32_sdwa v9, v41, v60 dst_sel:DWORD dst_unused:UNUSED_PAD src0_sel:DWORD src1_sel:BYTE_3
	v_lshlrev_b32_e32 v5, 20, v5
	v_lshl_add_u32 v7, v7, 23, 0x3c000000
	v_mov_b32_e32 v24, v6
	v_and_b32_e32 v9, 0x80000000, v9
	v_or3_b32 v25, v5, v9, v7
.LBB191_335:                            ;   in Loop: Header=BB191_202 Depth=1
	s_or_b32 exec_lo, exec_lo, s21
.LBB191_336:                            ;   in Loop: Header=BB191_202 Depth=1
	s_or_b32 exec_lo, exec_lo, s18
.LBB191_337:                            ;   in Loop: Header=BB191_202 Depth=1
	s_or_b32 exec_lo, exec_lo, s17
	v_or_b32_e32 v5, v20, v18
	v_or_b32_e32 v7, v19, v17
	;; [unrolled: 1-line block ×4, first 2 shown]
	v_mul_f32_e32 v60, s13, v5
	v_mul_f32_e32 v61, s12, v7
	;; [unrolled: 1-line block ×4, first 2 shown]
	s_and_saveexec_b32 s17, vcc_lo
	s_cbranch_execz .LBB191_339
; %bb.338:                              ;   in Loop: Header=BB191_202 Depth=1
	v_cmp_gt_i32_e64 s0, s31, v48
	v_cndmask_b32_e64 v61, 0, v61, s0
	v_cmp_gt_i32_e64 s0, s31, v51
	v_cndmask_b32_e64 v60, 0, v60, s0
	;; [unrolled: 2-line block ×4, first 2 shown]
.LBB191_339:                            ;   in Loop: Header=BB191_202 Depth=1
	s_or_b32 exec_lo, exec_lo, s17
	global_load_dword v62, v[15:16], off offset:512
	v_mov_b32_e32 v17, 0
	v_mov_b32_e32 v15, 0
	;; [unrolled: 1-line block ×4, first 2 shown]
	s_waitcnt vmcnt(0)
	v_cmp_ne_u16_sdwa s0, v62, v6 src0_sel:BYTE_0 src1_sel:DWORD
	s_and_saveexec_b32 s17, s0
	s_cbranch_execz .LBB191_347
; %bb.340:                              ;   in Loop: Header=BB191_202 Depth=1
	v_bfrev_b32_e32 v15, 1
	v_mov_b32_e32 v16, 0
	v_cmp_ne_u16_sdwa s0, v62, v33 src0_sel:BYTE_0 src1_sel:DWORD
	s_and_saveexec_b32 s18, s0
	s_cbranch_execz .LBB191_346
; %bb.341:                              ;   in Loop: Header=BB191_202 Depth=1
	v_mov_b32_e32 v15, 0x7f800001
	v_and_b32_e32 v9, 0x7f, v62
	v_mov_b32_e32 v16, 0
	s_mov_b32 s21, exec_lo
	v_cmpx_ne_u32_e32 0x7f, v9
	s_cbranch_execz .LBB191_345
; %bb.342:                              ;   in Loop: Header=BB191_202 Depth=1
	v_and_b32_e32 v5, 7, v62
	v_lshrrev_b32_e32 v7, 3, v9
	s_mov_b32 s22, exec_lo
	v_cmpx_gt_u32_e32 8, v9
; %bb.343:                              ;   in Loop: Header=BB191_202 Depth=1
	v_ffbh_u32_e32 v7, v5
	v_min_u32_e32 v7, 32, v7
	v_subrev_nc_u32_e32 v9, 28, v7
	v_sub_nc_u32_e32 v7, 29, v7
	v_lshlrev_b64 v[15:16], v9, v[5:6]
	v_and_b32_e32 v5, 7, v15
; %bb.344:                              ;   in Loop: Header=BB191_202 Depth=1
	s_or_b32 exec_lo, exec_lo, s22
	v_lshlrev_b32_e32 v9, 24, v62
	v_lshlrev_b32_e32 v5, 20, v5
	v_lshl_add_u32 v7, v7, 23, 0x3c000000
	v_and_b32_e32 v9, 0x80000000, v9
	v_or3_b32 v5, v5, v9, v7
	v_mov_b32_e32 v16, v6
	v_mov_b32_e32 v15, v5
.LBB191_345:                            ;   in Loop: Header=BB191_202 Depth=1
	s_or_b32 exec_lo, exec_lo, s21
.LBB191_346:                            ;   in Loop: Header=BB191_202 Depth=1
	s_or_b32 exec_lo, exec_lo, s18
.LBB191_347:                            ;   in Loop: Header=BB191_202 Depth=1
	s_or_b32 exec_lo, exec_lo, s17
	v_cmp_ne_u16_sdwa s0, v62, v6 src0_sel:BYTE_1 src1_sel:DWORD
	s_and_saveexec_b32 s17, s0
	s_cbranch_execz .LBB191_355
; %bb.348:                              ;   in Loop: Header=BB191_202 Depth=1
	v_mov_b32_e32 v7, v6
	v_mov_b32_e32 v18, v8
	v_cmp_ne_u16_sdwa s0, v62, v33 src0_sel:BYTE_1 src1_sel:DWORD
	v_mov_b32_e32 v17, v7
	s_and_saveexec_b32 s18, s0
	s_cbranch_execz .LBB191_354
; %bb.349:                              ;   in Loop: Header=BB191_202 Depth=1
	v_and_b32_sdwa v5, v38, v62 dst_sel:DWORD dst_unused:UNUSED_PAD src0_sel:DWORD src1_sel:BYTE_1
	v_mov_b32_e32 v9, v6
	v_mov_b32_e32 v18, v10
	s_mov_b32 s21, exec_lo
	v_and_b32_e32 v19, 0x7f, v5
	v_mov_b32_e32 v17, v9
	v_cmpx_ne_u32_e32 0x7f, v19
	s_cbranch_execz .LBB191_353
; %bb.350:                              ;   in Loop: Header=BB191_202 Depth=1
	v_and_b32_e32 v5, 7, v5
	v_lshrrev_b32_e32 v7, 3, v19
	s_mov_b32 s22, exec_lo
	v_cmpx_gt_u32_e32 8, v19
; %bb.351:                              ;   in Loop: Header=BB191_202 Depth=1
	v_ffbh_u32_e32 v7, v5
	v_min_u32_e32 v7, 32, v7
	v_subrev_nc_u32_e32 v9, 28, v7
	v_sub_nc_u32_e32 v7, 29, v7
	v_lshlrev_b64 v[17:18], v9, v[5:6]
	v_and_b32_e32 v5, 7, v17
; %bb.352:                              ;   in Loop: Header=BB191_202 Depth=1
	s_or_b32 exec_lo, exec_lo, s22
	v_lshlrev_b32_e32 v9, 16, v62
	v_lshlrev_b32_e32 v5, 20, v5
	v_lshl_add_u32 v7, v7, 23, 0x3c000000
	v_mov_b32_e32 v17, v6
	v_and_b32_e32 v9, 0x80000000, v9
	v_or3_b32 v18, v5, v9, v7
.LBB191_353:                            ;   in Loop: Header=BB191_202 Depth=1
	s_or_b32 exec_lo, exec_lo, s21
.LBB191_354:                            ;   in Loop: Header=BB191_202 Depth=1
	s_or_b32 exec_lo, exec_lo, s18
.LBB191_355:                            ;   in Loop: Header=BB191_202 Depth=1
	s_or_b32 exec_lo, exec_lo, s17
	v_mov_b32_e32 v22, 0
	v_mov_b32_e32 v19, 0
	v_and_b32_sdwa v5, v62, v39 dst_sel:DWORD dst_unused:UNUSED_PAD src0_sel:WORD_1 src1_sel:DWORD
	v_mov_b32_e32 v23, 0
	v_mov_b32_e32 v20, 0
	s_mov_b32 s17, exec_lo
	v_cmpx_ne_u16_e32 0, v5
	s_cbranch_execz .LBB191_363
; %bb.356:                              ;   in Loop: Header=BB191_202 Depth=1
	v_bfrev_b32_e32 v19, 1
	v_mov_b32_e32 v20, 0
	s_mov_b32 s18, exec_lo
	v_cmpx_ne_u16_e32 0x80, v5
	s_cbranch_execz .LBB191_362
; %bb.357:                              ;   in Loop: Header=BB191_202 Depth=1
	v_mov_b32_e32 v19, 0x7f800001
	v_bfe_u32 v9, v62, 16, 7
	v_mov_b32_e32 v20, 0
	s_mov_b32 s21, exec_lo
	v_cmpx_ne_u32_e32 0x7f, v9
	s_cbranch_execz .LBB191_361
; %bb.358:                              ;   in Loop: Header=BB191_202 Depth=1
	v_and_b32_sdwa v5, v62, v40 dst_sel:DWORD dst_unused:UNUSED_PAD src0_sel:WORD_1 src1_sel:DWORD
	v_lshrrev_b32_e32 v7, 3, v9
	s_mov_b32 s22, exec_lo
	v_cmpx_gt_u32_e32 8, v9
; %bb.359:                              ;   in Loop: Header=BB191_202 Depth=1
	v_ffbh_u32_e32 v7, v5
	v_min_u32_e32 v7, 32, v7
	v_subrev_nc_u32_e32 v9, 28, v7
	v_sub_nc_u32_e32 v7, 29, v7
	v_lshlrev_b64 v[19:20], v9, v[5:6]
	v_and_b32_e32 v5, 7, v19
; %bb.360:                              ;   in Loop: Header=BB191_202 Depth=1
	s_or_b32 exec_lo, exec_lo, s22
	v_lshlrev_b32_sdwa v9, v41, v62 dst_sel:DWORD dst_unused:UNUSED_PAD src0_sel:DWORD src1_sel:WORD_1
	v_lshlrev_b32_e32 v5, 20, v5
	v_lshl_add_u32 v7, v7, 23, 0x3c000000
	v_and_b32_e32 v9, 0x80000000, v9
	v_or3_b32 v5, v5, v9, v7
	v_mov_b32_e32 v20, v6
	v_mov_b32_e32 v19, v5
.LBB191_361:                            ;   in Loop: Header=BB191_202 Depth=1
	s_or_b32 exec_lo, exec_lo, s21
.LBB191_362:                            ;   in Loop: Header=BB191_202 Depth=1
	s_or_b32 exec_lo, exec_lo, s18
.LBB191_363:                            ;   in Loop: Header=BB191_202 Depth=1
	s_or_b32 exec_lo, exec_lo, s17
	s_mov_b32 s17, exec_lo
	v_cmpx_lt_u32_e32 0xffffff, v62
	s_cbranch_execz .LBB191_371
; %bb.364:                              ;   in Loop: Header=BB191_202 Depth=1
	v_mov_b32_e32 v7, v6
	v_mov_b32_e32 v23, v8
	v_cmp_ne_u32_sdwa s0, v62, v33 src0_sel:BYTE_3 src1_sel:DWORD
	v_mov_b32_e32 v22, v7
	s_and_saveexec_b32 s18, s0
	s_cbranch_execz .LBB191_370
; %bb.365:                              ;   in Loop: Header=BB191_202 Depth=1
	v_mov_b32_e32 v9, v6
	v_mov_b32_e32 v23, v10
	v_bfe_u32 v63, v62, 24, 7
	s_mov_b32 s21, exec_lo
	v_mov_b32_e32 v22, v9
	v_cmpx_ne_u32_e32 0x7f, v63
	s_cbranch_execz .LBB191_369
; %bb.366:                              ;   in Loop: Header=BB191_202 Depth=1
	v_and_b32_sdwa v5, v62, v40 dst_sel:DWORD dst_unused:UNUSED_PAD src0_sel:BYTE_3 src1_sel:DWORD
	v_lshrrev_b32_e32 v7, 3, v63
	s_mov_b32 s22, exec_lo
	v_cmpx_gt_u32_e32 8, v63
; %bb.367:                              ;   in Loop: Header=BB191_202 Depth=1
	v_ffbh_u32_e32 v7, v5
	v_min_u32_e32 v7, 32, v7
	v_subrev_nc_u32_e32 v9, 28, v7
	v_sub_nc_u32_e32 v7, 29, v7
	v_lshlrev_b64 v[22:23], v9, v[5:6]
	v_and_b32_e32 v5, 7, v22
; %bb.368:                              ;   in Loop: Header=BB191_202 Depth=1
	s_or_b32 exec_lo, exec_lo, s22
	v_lshlrev_b32_sdwa v9, v41, v62 dst_sel:DWORD dst_unused:UNUSED_PAD src0_sel:DWORD src1_sel:BYTE_3
	v_lshlrev_b32_e32 v5, 20, v5
	v_lshl_add_u32 v7, v7, 23, 0x3c000000
	v_mov_b32_e32 v22, v6
	v_and_b32_e32 v9, 0x80000000, v9
	v_or3_b32 v23, v5, v9, v7
.LBB191_369:                            ;   in Loop: Header=BB191_202 Depth=1
	s_or_b32 exec_lo, exec_lo, s21
.LBB191_370:                            ;   in Loop: Header=BB191_202 Depth=1
	s_or_b32 exec_lo, exec_lo, s18
.LBB191_371:                            ;   in Loop: Header=BB191_202 Depth=1
	s_or_b32 exec_lo, exec_lo, s17
	v_or_b32_e32 v5, v18, v16
	v_or_b32_e32 v7, v17, v15
	;; [unrolled: 1-line block ×4, first 2 shown]
	v_mul_f32_e32 v9, s13, v5
	v_mul_f32_e32 v15, s12, v7
	;; [unrolled: 1-line block ×4, first 2 shown]
	s_and_saveexec_b32 s0, vcc_lo
	s_cbranch_execz .LBB191_200
; %bb.372:                              ;   in Loop: Header=BB191_202 Depth=1
	v_cmp_gt_i32_e32 vcc_lo, s31, v48
	v_cndmask_b32_e32 v15, 0, v15, vcc_lo
	v_cmp_gt_i32_e32 vcc_lo, s31, v51
	v_cndmask_b32_e32 v9, 0, v9, vcc_lo
	;; [unrolled: 2-line block ×4, first 2 shown]
	s_branch .LBB191_200
.LBB191_373:
	s_or_b32 exec_lo, exec_lo, s5
.LBB191_374:
	s_or_b32 exec_lo, exec_lo, s1
	ds_bpermute_b32 v1, v27, v37
	ds_bpermute_b32 v2, v27, v35
	;; [unrolled: 1-line block ×5, first 2 shown]
	v_lshrrev_b32_e32 v6, 1, v26
	v_mul_u32_u24_e32 v8, 0x140, v31
	v_and_b32_e32 v9, 0x3c1, v0
	s_mov_b32 s0, exec_lo
	s_waitcnt lgkmcnt(0)
	s_waitcnt_vscnt null, 0x0
	v_lshl_add_u32 v7, v6, 2, 0x160
	s_barrier
	buffer_gl0_inv
	v_add_f32_e32 v1, v37, v1
	v_add_f32_e32 v2, v35, v2
	;; [unrolled: 1-line block ×5, first 2 shown]
	v_cmpx_eq_u32_e32 64, v9
	s_cbranch_execz .LBB191_376
; %bb.375:
	v_add_nc_u32_e32 v9, v7, v8
	v_add_nc_u32_e32 v10, 0xfffffd80, v9
	v_add_nc_u32_e32 v11, 0xfffffdc0, v9
	v_add_nc_u32_e32 v12, 0xfffffe00, v9
	v_add_nc_u32_e32 v13, 0xfffffe40, v9
	v_add_nc_u32_e32 v9, 0xfffffe80, v9
	ds_write_b32 v10, v1
	ds_write_b32 v11, v2
	ds_write_b32 v12, v3
	ds_write_b32 v13, v4
	ds_write_b32 v9, v5
.LBB191_376:
	s_or_b32 exec_lo, exec_lo, s0
	v_lshlrev_b32_e32 v6, 2, v6
	s_mov_b32 s1, exec_lo
	v_cmp_eq_u32_e32 vcc_lo, 0, v28
	s_waitcnt lgkmcnt(0)
	s_barrier
	v_add3_u32 v6, 0x160, v8, v6
	buffer_gl0_inv
	v_cmpx_gt_u32_e32 64, v0
	s_cbranch_execz .LBB191_384
; %bb.377:
	s_and_saveexec_b32 s0, vcc_lo
	s_cbranch_execnz .LBB191_397
; %bb.378:
	s_or_b32 exec_lo, exec_lo, s0
	s_and_saveexec_b32 s0, vcc_lo
	s_cbranch_execnz .LBB191_398
.LBB191_379:
	s_or_b32 exec_lo, exec_lo, s0
	s_and_saveexec_b32 s0, vcc_lo
	s_cbranch_execnz .LBB191_399
.LBB191_380:
	s_or_b32 exec_lo, exec_lo, s0
	s_and_saveexec_b32 s0, vcc_lo
	s_cbranch_execnz .LBB191_400
.LBB191_381:
	s_or_b32 exec_lo, exec_lo, s0
	s_and_saveexec_b32 s0, vcc_lo
	s_cbranch_execz .LBB191_383
.LBB191_382:
	ds_read_b32 v8, v6 offset:256
	s_waitcnt lgkmcnt(0)
	v_add_f32_e32 v5, v5, v8
.LBB191_383:
	s_or_b32 exec_lo, exec_lo, s0
.LBB191_384:
	s_or_b32 exec_lo, exec_lo, s1
	v_and_b32_e32 v8, 0x3e1, v0
	s_mov_b32 s1, exec_lo
	s_barrier
	buffer_gl0_inv
	v_cmpx_eq_u32_e32 32, v8
	s_cbranch_execz .LBB191_386
; %bb.385:
	ds_write2_b32 v7, v1, v2 offset1:16
	ds_write2_b32 v7, v3, v4 offset0:32 offset1:48
	ds_write_b32 v7, v5 offset:256
.LBB191_386:
	s_or_b32 exec_lo, exec_lo, s1
	s_mov_b32 s1, exec_lo
	s_waitcnt lgkmcnt(0)
	s_barrier
	buffer_gl0_inv
	v_cmpx_gt_u32_e32 32, v0
	s_cbranch_execz .LBB191_394
; %bb.387:
	s_and_saveexec_b32 s0, vcc_lo
	s_cbranch_execnz .LBB191_401
; %bb.388:
	s_or_b32 exec_lo, exec_lo, s0
	s_and_saveexec_b32 s0, vcc_lo
	s_cbranch_execnz .LBB191_402
.LBB191_389:
	s_or_b32 exec_lo, exec_lo, s0
	s_and_saveexec_b32 s0, vcc_lo
	s_cbranch_execnz .LBB191_403
.LBB191_390:
	s_or_b32 exec_lo, exec_lo, s0
	s_and_saveexec_b32 s0, vcc_lo
	s_cbranch_execnz .LBB191_404
.LBB191_391:
	s_or_b32 exec_lo, exec_lo, s0
	s_and_saveexec_b32 s0, vcc_lo
	s_cbranch_execz .LBB191_393
.LBB191_392:
	ds_read_b32 v6, v6 offset:256
	s_waitcnt lgkmcnt(0)
	v_add_f32_e32 v5, v5, v6
.LBB191_393:
	s_or_b32 exec_lo, exec_lo, s0
.LBB191_394:
	s_or_b32 exec_lo, exec_lo, s1
	s_barrier
	buffer_gl0_inv
	s_mov_b32 s0, exec_lo
	v_cmpx_eq_u32_e32 0, v8
	s_cbranch_execz .LBB191_396
; %bb.395:
	s_mul_i32 s0, s2, 0x50
	s_mul_i32 s2, s7, s10
	s_ashr_i32 s1, s0, 31
	v_lshlrev_b32_e32 v0, 1, v0
	s_lshl_b64 s[0:1], s[0:1], 2
	s_add_u32 s4, s28, s0
	s_addc_u32 s5, s29, s1
	s_ashr_i32 s3, s2, 31
	s_lshl_b64 s[0:1], s[2:3], 2
	s_mul_i32 s2, s8, 0x50
	s_add_u32 s4, s4, s0
	s_addc_u32 s5, s5, s1
	s_ashr_i32 s3, s2, 31
	s_lshl_b64 s[0:1], s[2:3], 2
	s_add_u32 s0, s4, s0
	s_addc_u32 s1, s5, s1
	global_store_dword v0, v1, s[0:1]
	global_store_dword v0, v2, s[0:1] offset:64
	global_store_dword v0, v3, s[0:1] offset:128
	global_store_dword v0, v4, s[0:1] offset:192
	global_store_dword v0, v5, s[0:1] offset:256
.LBB191_396:
	s_endpgm
.LBB191_397:
	ds_read_b32 v8, v6
	s_waitcnt lgkmcnt(0)
	v_add_f32_e32 v1, v1, v8
	s_or_b32 exec_lo, exec_lo, s0
	s_and_saveexec_b32 s0, vcc_lo
	s_cbranch_execz .LBB191_379
.LBB191_398:
	ds_read_b32 v8, v6 offset:64
	s_waitcnt lgkmcnt(0)
	v_add_f32_e32 v2, v2, v8
	s_or_b32 exec_lo, exec_lo, s0
	s_and_saveexec_b32 s0, vcc_lo
	s_cbranch_execz .LBB191_380
.LBB191_399:
	ds_read_b32 v8, v6 offset:128
	s_waitcnt lgkmcnt(0)
	v_add_f32_e32 v3, v3, v8
	s_or_b32 exec_lo, exec_lo, s0
	s_and_saveexec_b32 s0, vcc_lo
	s_cbranch_execz .LBB191_381
.LBB191_400:
	ds_read_b32 v8, v6 offset:192
	s_waitcnt lgkmcnt(0)
	v_add_f32_e32 v4, v4, v8
	s_or_b32 exec_lo, exec_lo, s0
	s_and_saveexec_b32 s0, vcc_lo
	s_cbranch_execnz .LBB191_382
	s_branch .LBB191_383
.LBB191_401:
	ds_read_b32 v7, v6
	s_waitcnt lgkmcnt(0)
	v_add_f32_e32 v1, v1, v7
	s_or_b32 exec_lo, exec_lo, s0
	s_and_saveexec_b32 s0, vcc_lo
	s_cbranch_execz .LBB191_389
.LBB191_402:
	ds_read_b32 v7, v6 offset:64
	s_waitcnt lgkmcnt(0)
	v_add_f32_e32 v2, v2, v7
	s_or_b32 exec_lo, exec_lo, s0
	s_and_saveexec_b32 s0, vcc_lo
	s_cbranch_execz .LBB191_390
.LBB191_403:
	ds_read_b32 v7, v6 offset:128
	s_waitcnt lgkmcnt(0)
	v_add_f32_e32 v3, v3, v7
	s_or_b32 exec_lo, exec_lo, s0
	s_and_saveexec_b32 s0, vcc_lo
	s_cbranch_execz .LBB191_391
.LBB191_404:
	ds_read_b32 v7, v6 offset:192
	s_waitcnt lgkmcnt(0)
	v_add_f32_e32 v4, v4, v7
	s_or_b32 exec_lo, exec_lo, s0
	s_and_saveexec_b32 s0, vcc_lo
	s_cbranch_execnz .LBB191_392
	s_branch .LBB191_393
	.section	.rodata,"a",@progbits
	.p2align	6, 0x0
	.amdhsa_kernel _ZN4vllm25paged_attention_v2_kernelIfhLi80ELi8ELi128ELNS_18Fp8KVCacheDataTypeE1ELb1ELi512EEEvPfS2_PT_PKS3_PKT0_S9_ifPKiSB_iPKfiiiSD_SD_iiiii
		.amdhsa_group_segment_fixed_size 352
		.amdhsa_private_segment_fixed_size 0
		.amdhsa_kernarg_size 400
		.amdhsa_user_sgpr_count 6
		.amdhsa_user_sgpr_private_segment_buffer 1
		.amdhsa_user_sgpr_dispatch_ptr 0
		.amdhsa_user_sgpr_queue_ptr 0
		.amdhsa_user_sgpr_kernarg_segment_ptr 1
		.amdhsa_user_sgpr_dispatch_id 0
		.amdhsa_user_sgpr_flat_scratch_init 0
		.amdhsa_user_sgpr_private_segment_size 0
		.amdhsa_wavefront_size32 1
		.amdhsa_uses_dynamic_stack 0
		.amdhsa_system_sgpr_private_segment_wavefront_offset 0
		.amdhsa_system_sgpr_workgroup_id_x 1
		.amdhsa_system_sgpr_workgroup_id_y 1
		.amdhsa_system_sgpr_workgroup_id_z 1
		.amdhsa_system_sgpr_workgroup_info 0
		.amdhsa_system_vgpr_workitem_id 0
		.amdhsa_next_free_vgpr 69
		.amdhsa_next_free_sgpr 53
		.amdhsa_reserve_vcc 1
		.amdhsa_reserve_flat_scratch 0
		.amdhsa_float_round_mode_32 0
		.amdhsa_float_round_mode_16_64 0
		.amdhsa_float_denorm_mode_32 3
		.amdhsa_float_denorm_mode_16_64 3
		.amdhsa_dx10_clamp 1
		.amdhsa_ieee_mode 1
		.amdhsa_fp16_overflow 0
		.amdhsa_workgroup_processor_mode 1
		.amdhsa_memory_ordered 1
		.amdhsa_forward_progress 1
		.amdhsa_shared_vgpr_count 0
		.amdhsa_exception_fp_ieee_invalid_op 0
		.amdhsa_exception_fp_denorm_src 0
		.amdhsa_exception_fp_ieee_div_zero 0
		.amdhsa_exception_fp_ieee_overflow 0
		.amdhsa_exception_fp_ieee_underflow 0
		.amdhsa_exception_fp_ieee_inexact 0
		.amdhsa_exception_int_div_zero 0
	.end_amdhsa_kernel
	.section	.text._ZN4vllm25paged_attention_v2_kernelIfhLi80ELi8ELi128ELNS_18Fp8KVCacheDataTypeE1ELb1ELi512EEEvPfS2_PT_PKS3_PKT0_S9_ifPKiSB_iPKfiiiSD_SD_iiiii,"axG",@progbits,_ZN4vllm25paged_attention_v2_kernelIfhLi80ELi8ELi128ELNS_18Fp8KVCacheDataTypeE1ELb1ELi512EEEvPfS2_PT_PKS3_PKT0_S9_ifPKiSB_iPKfiiiSD_SD_iiiii,comdat
.Lfunc_end191:
	.size	_ZN4vllm25paged_attention_v2_kernelIfhLi80ELi8ELi128ELNS_18Fp8KVCacheDataTypeE1ELb1ELi512EEEvPfS2_PT_PKS3_PKT0_S9_ifPKiSB_iPKfiiiSD_SD_iiiii, .Lfunc_end191-_ZN4vllm25paged_attention_v2_kernelIfhLi80ELi8ELi128ELNS_18Fp8KVCacheDataTypeE1ELb1ELi512EEEvPfS2_PT_PKS3_PKT0_S9_ifPKiSB_iPKfiiiSD_SD_iiiii
                                        ; -- End function
	.set _ZN4vllm25paged_attention_v2_kernelIfhLi80ELi8ELi128ELNS_18Fp8KVCacheDataTypeE1ELb1ELi512EEEvPfS2_PT_PKS3_PKT0_S9_ifPKiSB_iPKfiiiSD_SD_iiiii.num_vgpr, 69
	.set _ZN4vllm25paged_attention_v2_kernelIfhLi80ELi8ELi128ELNS_18Fp8KVCacheDataTypeE1ELb1ELi512EEEvPfS2_PT_PKS3_PKT0_S9_ifPKiSB_iPKfiiiSD_SD_iiiii.num_agpr, 0
	.set _ZN4vllm25paged_attention_v2_kernelIfhLi80ELi8ELi128ELNS_18Fp8KVCacheDataTypeE1ELb1ELi512EEEvPfS2_PT_PKS3_PKT0_S9_ifPKiSB_iPKfiiiSD_SD_iiiii.numbered_sgpr, 53
	.set _ZN4vllm25paged_attention_v2_kernelIfhLi80ELi8ELi128ELNS_18Fp8KVCacheDataTypeE1ELb1ELi512EEEvPfS2_PT_PKS3_PKT0_S9_ifPKiSB_iPKfiiiSD_SD_iiiii.num_named_barrier, 0
	.set _ZN4vllm25paged_attention_v2_kernelIfhLi80ELi8ELi128ELNS_18Fp8KVCacheDataTypeE1ELb1ELi512EEEvPfS2_PT_PKS3_PKT0_S9_ifPKiSB_iPKfiiiSD_SD_iiiii.private_seg_size, 0
	.set _ZN4vllm25paged_attention_v2_kernelIfhLi80ELi8ELi128ELNS_18Fp8KVCacheDataTypeE1ELb1ELi512EEEvPfS2_PT_PKS3_PKT0_S9_ifPKiSB_iPKfiiiSD_SD_iiiii.uses_vcc, 1
	.set _ZN4vllm25paged_attention_v2_kernelIfhLi80ELi8ELi128ELNS_18Fp8KVCacheDataTypeE1ELb1ELi512EEEvPfS2_PT_PKS3_PKT0_S9_ifPKiSB_iPKfiiiSD_SD_iiiii.uses_flat_scratch, 0
	.set _ZN4vllm25paged_attention_v2_kernelIfhLi80ELi8ELi128ELNS_18Fp8KVCacheDataTypeE1ELb1ELi512EEEvPfS2_PT_PKS3_PKT0_S9_ifPKiSB_iPKfiiiSD_SD_iiiii.has_dyn_sized_stack, 0
	.set _ZN4vllm25paged_attention_v2_kernelIfhLi80ELi8ELi128ELNS_18Fp8KVCacheDataTypeE1ELb1ELi512EEEvPfS2_PT_PKS3_PKT0_S9_ifPKiSB_iPKfiiiSD_SD_iiiii.has_recursion, 0
	.set _ZN4vllm25paged_attention_v2_kernelIfhLi80ELi8ELi128ELNS_18Fp8KVCacheDataTypeE1ELb1ELi512EEEvPfS2_PT_PKS3_PKT0_S9_ifPKiSB_iPKfiiiSD_SD_iiiii.has_indirect_call, 0
	.section	.AMDGPU.csdata,"",@progbits
; Kernel info:
; codeLenInByte = 12388
; TotalNumSgprs: 55
; NumVgprs: 69
; ScratchSize: 0
; MemoryBound: 0
; FloatMode: 240
; IeeeMode: 1
; LDSByteSize: 352 bytes/workgroup (compile time only)
; SGPRBlocks: 0
; VGPRBlocks: 8
; NumSGPRsForWavesPerEU: 55
; NumVGPRsForWavesPerEU: 69
; Occupancy: 12
; WaveLimiterHint : 1
; COMPUTE_PGM_RSRC2:SCRATCH_EN: 0
; COMPUTE_PGM_RSRC2:USER_SGPR: 6
; COMPUTE_PGM_RSRC2:TRAP_HANDLER: 0
; COMPUTE_PGM_RSRC2:TGID_X_EN: 1
; COMPUTE_PGM_RSRC2:TGID_Y_EN: 1
; COMPUTE_PGM_RSRC2:TGID_Z_EN: 1
; COMPUTE_PGM_RSRC2:TIDIG_COMP_CNT: 0
	.section	.text._ZN4vllm25paged_attention_v2_kernelIfhLi96ELi8ELi128ELNS_18Fp8KVCacheDataTypeE1ELb1ELi512EEEvPfS2_PT_PKS3_PKT0_S9_ifPKiSB_iPKfiiiSD_SD_iiiii,"axG",@progbits,_ZN4vllm25paged_attention_v2_kernelIfhLi96ELi8ELi128ELNS_18Fp8KVCacheDataTypeE1ELb1ELi512EEEvPfS2_PT_PKS3_PKT0_S9_ifPKiSB_iPKfiiiSD_SD_iiiii,comdat
	.protected	_ZN4vllm25paged_attention_v2_kernelIfhLi96ELi8ELi128ELNS_18Fp8KVCacheDataTypeE1ELb1ELi512EEEvPfS2_PT_PKS3_PKT0_S9_ifPKiSB_iPKfiiiSD_SD_iiiii ; -- Begin function _ZN4vllm25paged_attention_v2_kernelIfhLi96ELi8ELi128ELNS_18Fp8KVCacheDataTypeE1ELb1ELi512EEEvPfS2_PT_PKS3_PKT0_S9_ifPKiSB_iPKfiiiSD_SD_iiiii
	.globl	_ZN4vllm25paged_attention_v2_kernelIfhLi96ELi8ELi128ELNS_18Fp8KVCacheDataTypeE1ELb1ELi512EEEvPfS2_PT_PKS3_PKT0_S9_ifPKiSB_iPKfiiiSD_SD_iiiii
	.p2align	8
	.type	_ZN4vllm25paged_attention_v2_kernelIfhLi96ELi8ELi128ELNS_18Fp8KVCacheDataTypeE1ELb1ELi512EEEvPfS2_PT_PKS3_PKT0_S9_ifPKiSB_iPKfiiiSD_SD_iiiii,@function
_ZN4vllm25paged_attention_v2_kernelIfhLi96ELi8ELi128ELNS_18Fp8KVCacheDataTypeE1ELb1ELi512EEEvPfS2_PT_PKS3_PKT0_S9_ifPKiSB_iPKfiiiSD_SD_iiiii: ; @_ZN4vllm25paged_attention_v2_kernelIfhLi96ELi8ELi128ELNS_18Fp8KVCacheDataTypeE1ELb1ELi512EEEvPfS2_PT_PKS3_PKT0_S9_ifPKiSB_iPKfiiiSD_SD_iiiii
; %bb.0:
	s_load_dwordx2 s[0:1], s[4:5], 0x40
	s_mov_b32 s30, s7
	s_ashr_i32 s31, s7, 31
	s_lshl_b64 s[2:3], s[30:31], 2
	s_waitcnt lgkmcnt(0)
	s_add_u32 s0, s0, s2
	s_addc_u32 s1, s1, s3
	s_lshl_b32 s42, s8, 9
	s_load_dword s31, s[0:1], 0x0
	s_waitcnt lgkmcnt(0)
	s_cmp_ge_i32 s42, s31
	s_cbranch_scc1 .LBB192_464
; %bb.1:
	s_clause 0x1
	s_load_dword s9, s[4:5], 0x90
	s_load_dwordx2 s[40:41], s[4:5], 0x30
	s_mov_b32 s43, 0
	s_waitcnt lgkmcnt(0)
	s_abs_i32 s3, s9
	s_abs_i32 s0, s40
	v_cvt_f32_u32_e32 v1, s0
	s_sub_i32 s2, 0, s0
	v_rcp_iflag_f32_e32 v1, v1
	v_mul_f32_e32 v1, 0x4f7ffffe, v1
	v_cvt_u32_f32_e32 v1, v1
	v_readfirstlane_b32 s1, v1
	s_mul_i32 s2, s2, s1
	s_mul_hi_u32 s2, s1, s2
	s_add_i32 s1, s1, s2
	s_xor_b32 s2, s9, s40
	s_mul_hi_u32 s1, s3, s1
	s_ashr_i32 s2, s2, 31
	s_mul_i32 s7, s1, s0
	s_sub_i32 s3, s3, s7
	s_add_i32 s7, s1, 1
	s_sub_i32 s10, s3, s0
	s_cmp_ge_u32 s3, s0
	s_cselect_b32 s1, s7, s1
	s_cselect_b32 s3, s10, s3
	s_add_i32 s7, s1, 1
	s_cmp_ge_u32 s3, s0
	s_cselect_b32 s0, s7, s1
	s_xor_b32 s0, s0, s2
	s_sub_i32 s10, s0, s2
	s_load_dwordx2 s[0:1], s[4:5], 0x50
	s_abs_i32 s2, s10
	v_cvt_f32_u32_e32 v1, s2
	s_sub_i32 s3, 0, s2
	v_rcp_iflag_f32_e32 v1, v1
	v_mul_f32_e32 v1, 0x4f7ffffe, v1
	v_cvt_u32_f32_e32 v1, v1
	v_readfirstlane_b32 s7, v1
	s_mul_i32 s3, s3, s7
	s_mul_hi_u32 s11, s7, s3
	s_abs_i32 s3, s6
	s_add_i32 s7, s7, s11
	s_waitcnt lgkmcnt(0)
	s_cmp_eq_u64 s[0:1], 0
	s_mul_hi_u32 s12, s3, s7
	s_cbranch_scc1 .LBB192_3
; %bb.2:
	s_ashr_i32 s7, s6, 31
	s_lshl_b64 s[14:15], s[6:7], 2
	s_add_u32 s0, s0, s14
	s_addc_u32 s1, s1, s15
	s_load_dword s43, s[0:1], 0x0
.LBB192_3:
	s_load_dwordx4 s[16:19], s[4:5], 0x58
	v_and_b32_e32 v1, 3, v0
	v_lshlrev_b32_e32 v37, 2, v0
	s_ashr_i32 s0, s6, 31
	s_ashr_i32 s1, s10, 31
	s_mul_i32 s10, s6, 0x60
	s_mov_b32 s7, exec_lo
	v_cmpx_gt_u32_e32 0x60, v0
	s_cbranch_execz .LBB192_5
; %bb.4:
	s_load_dwordx2 s[14:15], s[4:5], 0x18
	s_waitcnt lgkmcnt(0)
	s_mul_i32 s20, s16, s30
	v_and_b32_e32 v3, 0x3fc, v0
	s_ashr_i32 s21, s20, 31
	s_lshl_b64 s[20:21], s[20:21], 2
	v_mad_u32_u24 v3, 0x60, v1, v3
	s_add_u32 s13, s14, s20
	s_addc_u32 s16, s15, s21
	s_ashr_i32 s11, s10, 31
	s_lshl_b64 s[14:15], s[10:11], 2
	s_add_u32 s14, s13, s14
	s_addc_u32 s15, s16, s15
	global_load_dword v2, v37, s[14:15]
	s_waitcnt vmcnt(0)
	ds_write_b32 v3, v2
.LBB192_5:
	s_or_b32 exec_lo, exec_lo, s7
	s_load_dwordx4 s[20:23], s[4:5], 0x78
	s_mul_i32 s7, s12, s2
	s_xor_b32 s0, s0, s1
	s_sub_i32 s1, s3, s7
	s_add_i32 s3, s12, 1
	s_sub_i32 s7, s1, s2
	s_cmp_ge_u32 s1, s2
                                        ; implicit-def: $sgpr19
	s_cselect_b32 s3, s3, s12
	s_cselect_b32 s1, s7, s1
	s_add_i32 s7, s3, 1
	s_cmp_ge_u32 s1, s2
	s_mov_b32 s12, -1
	s_cselect_b32 s1, s7, s3
	s_load_dword s3, s[4:5], 0x88
	s_xor_b32 s1, s1, s0
	s_add_i32 s7, s31, -1
	s_sub_i32 s1, s1, s0
	s_abs_i32 s2, s7
	s_waitcnt lgkmcnt(0)
	s_abs_i32 s11, s23
	s_barrier
	v_cvt_f32_u32_e32 v2, s11
	s_sub_i32 s0, 0, s11
	buffer_gl0_inv
	v_rcp_iflag_f32_e32 v2, v2
	v_mul_f32_e32 v2, 0x4f7ffffe, v2
	v_cvt_u32_f32_e32 v2, v2
	v_readfirstlane_b32 s16, v2
	s_mul_i32 s0, s0, s16
	s_mul_hi_u32 s0, s16, s0
	s_add_i32 s16, s16, s0
	s_cmp_lt_i32 s3, 0
	s_mul_hi_u32 s0, s2, s16
	s_cbranch_scc0 .LBB192_7
; %bb.6:
	s_mul_i32 s12, s20, s40
	s_add_i32 s12, s1, s12
	s_mul_i32 s12, s12, s3
	s_sub_i32 s19, 1, s12
	s_mov_b32 s12, 0
.LBB192_7:
	s_load_dwordx2 s[34:35], s[4:5], 0x38
	s_ashr_i32 s33, s7, 31
	s_andn2_b32 vcc_lo, exec_lo, s12
	s_ashr_i32 s23, s23, 31
	s_cbranch_vccnz .LBB192_9
; %bb.8:
	s_mul_i32 s7, s9, s20
	s_add_i32 s7, s7, s6
	s_mul_i32 s3, s7, s3
	s_add_i32 s19, s3, 1
.LBB192_9:
	s_clause 0x5
	s_load_dword s3, s[4:5], 0x48
	s_load_dwordx2 s[38:39], s[4:5], 0x28
	s_load_dwordx4 s[24:27], s[4:5], 0x0
	s_load_dwordx2 s[28:29], s[4:5], 0x10
	s_load_dword s7, s[4:5], 0x98
	s_load_dwordx4 s[12:15], s[4:5], 0x68
	s_mul_i32 s20, s0, s11
	s_xor_b32 s40, s33, s23
	s_sub_i32 s2, s2, s20
	s_add_i32 s33, s0, 1
	v_lshrrev_b32_e32 v35, 5, v0
	v_mov_b32_e32 v39, 0xff7fffff
	v_mbcnt_lo_u32_b32 v38, -1, 0
	s_mul_i32 s18, s1, s18
	v_lshl_add_u32 v36, v35, 3, s42
	s_waitcnt lgkmcnt(0)
	s_mul_i32 s36, s3, s30
	s_sub_i32 s3, s2, s11
	s_ashr_i32 s37, s36, 31
	s_cmp_ge_u32 s2, s11
	s_cselect_b32 s0, s33, s0
	s_cselect_b32 s2, s3, s2
	s_add_i32 s3, s0, 1
	s_cmp_ge_u32 s2, s11
	s_cselect_b32 s0, s3, s0
	s_add_i32 s2, s31, 7
	s_lshl_b32 s44, s8, 6
	s_ashr_i32 s3, s2, 31
	v_or_b32_e32 v25, s44, v35
	s_lshr_b32 s3, s3, 29
	s_add_i32 s2, s2, s3
	s_add_i32 s3, s44, 64
	s_ashr_i32 s33, s2, 3
	s_xor_b32 s2, s0, s40
	s_min_i32 s20, s3, s33
	v_ashrrev_i32_e32 v26, 31, v25
	v_cmp_gt_i32_e64 s0, s20, v25
	s_sub_i32 s40, s2, s40
	s_and_saveexec_b32 s45, s0
	s_cbranch_execz .LBB192_213
; %bb.10:
	s_load_dwordx2 s[2:3], s[4:5], 0x20
	s_sub_i32 s4, s40, s21
	s_ashr_i32 s1, s18, 31
	v_bfe_u32 v40, v0, 2, 3
	v_mov_b32_e32 v28, 0
	v_mul_u32_u24_e32 v41, 0x60, v1
	v_lshl_add_u32 v42, v35, 3, s42
	v_mov_b32_e32 v43, 0xff7fffff
	v_lshlrev_b32_e32 v5, 2, v40
	v_subrev_nc_u32_e32 v6, s31, v40
	v_lshlrev_b32_e32 v7, 4, v40
	v_mov_b32_e32 v44, 0x7f
	v_mov_b32_e32 v45, 7
	v_lshl_or_b32 v5, v35, 5, v5
	v_add_nc_u32_e32 v46, 1, v6
	v_mov_b32_e32 v39, 0xff7fffff
	v_mov_b32_e32 v49, v25
	v_cmp_eq_u32_e32 vcc_lo, 0, v1
	v_add_nc_u32_e32 v47, 0x1a0, v5
	s_waitcnt lgkmcnt(0)
	s_add_u32 s46, s2, s18
	s_addc_u32 s47, s3, s1
	s_abs_i32 s5, s22
	v_add_co_u32 v6, s46, s46, v7
	v_cvt_f32_u32_e32 v2, s5
	s_sub_i32 s2, 0, s5
	v_add_co_ci_u32_e64 v7, null, s47, 0, s46
	v_cmp_neq_f32_e64 s1, s43, 0
	v_rcp_iflag_f32_e32 v4, v2
	v_lshlrev_b64 v[2:3], 2, v[25:26]
	s_mov_b32 s46, 0
	s_mov_b32 s47, s17
	v_mul_f32_e32 v4, 0x4f7ffffe, v4
	v_cvt_u32_f32_e32 v4, v4
	v_mul_lo_u32 v5, s2, v4
	s_lshl_b64 s[2:3], s[36:37], 2
	s_add_u32 s2, s34, s2
	s_addc_u32 s3, s35, s3
	v_add_co_u32 v29, s2, s2, v2
	v_add_co_ci_u32_e64 v30, null, s3, v3, s2
	v_mul_hi_u32 v5, v4, v5
	v_add_co_u32 v31, s2, v6, v1
	v_add_co_ci_u32_e64 v32, null, 0, v7, s2
	v_add_nc_u32_e32 v48, v4, v5
	s_branch .LBB192_13
.LBB192_11:                             ;   in Loop: Header=BB192_13 Depth=1
	s_or_b32 exec_lo, exec_lo, s48
.LBB192_12:                             ;   in Loop: Header=BB192_13 Depth=1
	s_or_b32 exec_lo, exec_lo, s3
	v_add_nc_u32_e32 v49, 4, v49
	v_add_co_u32 v29, s3, v29, 16
	v_add_co_ci_u32_e64 v30, null, 0, v30, s3
	v_cmp_le_i32_e64 s2, s20, v49
	v_add_nc_u32_e32 v42, 32, v42
	v_add_nc_u32_e32 v47, 0x80, v47
	s_or_b32 s46, s2, s46
	s_andn2_b32 exec_lo, exec_lo, s46
	s_cbranch_execz .LBB192_212
.LBB192_13:                             ; =>This Inner Loop Header: Depth=1
	v_sub_nc_u32_e32 v1, 0, v42
	v_max_i32_e32 v1, v42, v1
	s_waitcnt lgkmcnt(0)
	v_mul_hi_u32 v2, v1, s16
	v_mul_lo_u32 v3, v2, s11
	v_sub_nc_u32_e32 v1, v1, v3
	v_add_nc_u32_e32 v3, 1, v2
	v_subrev_nc_u32_e32 v4, s11, v1
	v_cmp_le_u32_e64 s2, s11, v1
	v_cndmask_b32_e64 v2, v2, v3, s2
	v_cndmask_b32_e64 v1, v1, v4, s2
	v_ashrrev_i32_e32 v3, 31, v42
	v_add_nc_u32_e32 v4, 1, v2
	v_cmp_le_u32_e64 s2, s11, v1
	v_xor_b32_e32 v3, s23, v3
	v_cndmask_b32_e64 v1, v2, v4, s2
	v_xor_b32_e32 v1, v1, v3
	v_sub_nc_u32_e32 v1, v1, v3
	v_add_nc_u32_e32 v2, s19, v1
	v_cmp_ge_i32_e64 s3, s4, v1
	v_sub_nc_u32_e32 v3, 0, v2
	v_max_i32_e32 v3, v2, v3
	v_ashrrev_i32_e32 v2, 31, v2
	v_mul_hi_u32 v4, v3, v48
	v_mul_lo_u32 v4, v4, s5
	v_sub_nc_u32_e32 v3, v3, v4
	v_subrev_nc_u32_e32 v4, s5, v3
	v_cmp_le_u32_e64 s2, s5, v3
	v_cndmask_b32_e64 v3, v3, v4, s2
	v_subrev_nc_u32_e32 v4, s5, v3
	v_cmp_le_u32_e64 s2, s5, v3
	v_cndmask_b32_e64 v3, v3, v4, s2
	v_xor_b32_e32 v3, v3, v2
	v_sub_nc_u32_e32 v2, v3, v2
	v_cmp_ne_u32_e64 s2, 0, v2
	s_and_b32 s2, s2, s3
	s_and_saveexec_b32 s3, s2
	s_xor_b32 s2, exec_lo, s3
	s_cbranch_execz .LBB192_17
; %bb.14:                               ;   in Loop: Header=BB192_13 Depth=1
	s_and_saveexec_b32 s3, vcc_lo
; %bb.15:                               ;   in Loop: Header=BB192_13 Depth=1
	ds_write_b32 v47, v43
; %bb.16:                               ;   in Loop: Header=BB192_13 Depth=1
	s_or_b32 exec_lo, exec_lo, s3
.LBB192_17:                             ;   in Loop: Header=BB192_13 Depth=1
	s_andn2_saveexec_b32 s3, s2
	s_cbranch_execz .LBB192_12
; %bb.18:                               ;   in Loop: Header=BB192_13 Depth=1
	global_load_dword v1, v[29:30], off
	v_mov_b32_e32 v50, 0
	v_mov_b32_e32 v51, 0
	s_mov_b32 s49, exec_lo
	s_waitcnt vmcnt(0)
	v_mad_i64_i32 v[33:34], null, v1, s47, v[31:32]
	global_load_ubyte v52, v[33:34], off
	ds_read_b128 v[21:24], v41
	ds_read_b128 v[17:20], v41 offset:16
	ds_read_b128 v[13:16], v41 offset:32
	;; [unrolled: 1-line block ×5, first 2 shown]
	s_load_dword s48, s[12:13], 0x0
	s_waitcnt vmcnt(0)
	v_cmpx_ne_u16_e32 0, v52
	s_cbranch_execz .LBB192_26
; %bb.19:                               ;   in Loop: Header=BB192_13 Depth=1
	v_bfrev_b32_e32 v51, 1
	s_mov_b32 s50, exec_lo
	v_cmpx_ne_u16_e32 0x80, v52
	s_cbranch_execz .LBB192_25
; %bb.20:                               ;   in Loop: Header=BB192_13 Depth=1
	v_and_b32_sdwa v53, v52, v44 dst_sel:DWORD dst_unused:UNUSED_PAD src0_sel:WORD_0 src1_sel:DWORD
	v_mov_b32_e32 v51, 0x7f800001
	s_mov_b32 s51, exec_lo
	v_cmpx_ne_u32_e32 0x7f, v53
	s_cbranch_execz .LBB192_24
; %bb.21:                               ;   in Loop: Header=BB192_13 Depth=1
	v_and_b32_sdwa v27, v52, v45 dst_sel:DWORD dst_unused:UNUSED_PAD src0_sel:WORD_0 src1_sel:DWORD
	v_lshrrev_b32_e32 v51, 3, v53
	s_mov_b32 s52, exec_lo
	v_cmpx_gt_u32_e32 8, v53
; %bb.22:                               ;   in Loop: Header=BB192_13 Depth=1
	v_ffbh_u32_e32 v51, v27
	v_min_u32_e32 v51, 32, v51
	v_subrev_nc_u32_e32 v53, 28, v51
	v_sub_nc_u32_e32 v51, 29, v51
	v_lshlrev_b64 v[53:54], v53, v[27:28]
	v_and_b32_e32 v27, 7, v53
; %bb.23:                               ;   in Loop: Header=BB192_13 Depth=1
	s_or_b32 exec_lo, exec_lo, s52
	v_lshlrev_b32_e32 v52, 24, v52
	v_lshlrev_b32_e32 v27, 20, v27
	v_lshl_add_u32 v51, v51, 23, 0x3c000000
	v_and_b32_e32 v52, 0x80000000, v52
	v_or3_b32 v51, v27, v52, v51
.LBB192_24:                             ;   in Loop: Header=BB192_13 Depth=1
	s_or_b32 exec_lo, exec_lo, s51
.LBB192_25:                             ;   in Loop: Header=BB192_13 Depth=1
	s_or_b32 exec_lo, exec_lo, s50
.LBB192_26:                             ;   in Loop: Header=BB192_13 Depth=1
	s_or_b32 exec_lo, exec_lo, s49
	global_load_ubyte v52, v[33:34], off offset:4
	s_mov_b32 s49, exec_lo
	s_waitcnt vmcnt(0)
	v_cmpx_ne_u16_e32 0, v52
	s_cbranch_execz .LBB192_34
; %bb.27:                               ;   in Loop: Header=BB192_13 Depth=1
	v_bfrev_b32_e32 v50, 1
	s_mov_b32 s50, exec_lo
	v_cmpx_ne_u16_e32 0x80, v52
	s_cbranch_execz .LBB192_33
; %bb.28:                               ;   in Loop: Header=BB192_13 Depth=1
	v_and_b32_sdwa v53, v52, v44 dst_sel:DWORD dst_unused:UNUSED_PAD src0_sel:WORD_0 src1_sel:DWORD
	v_mov_b32_e32 v50, 0x7f800001
	s_mov_b32 s51, exec_lo
	v_cmpx_ne_u32_e32 0x7f, v53
	s_cbranch_execz .LBB192_32
; %bb.29:                               ;   in Loop: Header=BB192_13 Depth=1
	v_and_b32_sdwa v27, v52, v45 dst_sel:DWORD dst_unused:UNUSED_PAD src0_sel:WORD_0 src1_sel:DWORD
	v_lshrrev_b32_e32 v50, 3, v53
	s_mov_b32 s52, exec_lo
	v_cmpx_gt_u32_e32 8, v53
; %bb.30:                               ;   in Loop: Header=BB192_13 Depth=1
	v_ffbh_u32_e32 v50, v27
	v_min_u32_e32 v50, 32, v50
	v_subrev_nc_u32_e32 v53, 28, v50
	v_sub_nc_u32_e32 v50, 29, v50
	v_lshlrev_b64 v[53:54], v53, v[27:28]
	v_and_b32_e32 v27, 7, v53
; %bb.31:                               ;   in Loop: Header=BB192_13 Depth=1
	s_or_b32 exec_lo, exec_lo, s52
	v_lshlrev_b32_e32 v52, 24, v52
	v_lshlrev_b32_e32 v27, 20, v27
	v_lshl_add_u32 v50, v50, 23, 0x3c000000
	v_and_b32_e32 v52, 0x80000000, v52
	v_or3_b32 v50, v27, v52, v50
.LBB192_32:                             ;   in Loop: Header=BB192_13 Depth=1
	s_or_b32 exec_lo, exec_lo, s51
.LBB192_33:                             ;   in Loop: Header=BB192_13 Depth=1
	s_or_b32 exec_lo, exec_lo, s50
.LBB192_34:                             ;   in Loop: Header=BB192_13 Depth=1
	s_or_b32 exec_lo, exec_lo, s49
	global_load_ubyte v54, v[33:34], off offset:8
	v_mov_b32_e32 v52, 0
	v_mov_b32_e32 v53, 0
	s_mov_b32 s49, exec_lo
	s_waitcnt vmcnt(0)
	v_cmpx_ne_u16_e32 0, v54
	s_cbranch_execz .LBB192_42
; %bb.35:                               ;   in Loop: Header=BB192_13 Depth=1
	v_bfrev_b32_e32 v53, 1
	s_mov_b32 s50, exec_lo
	v_cmpx_ne_u16_e32 0x80, v54
	s_cbranch_execz .LBB192_41
; %bb.36:                               ;   in Loop: Header=BB192_13 Depth=1
	v_and_b32_sdwa v55, v54, v44 dst_sel:DWORD dst_unused:UNUSED_PAD src0_sel:WORD_0 src1_sel:DWORD
	v_mov_b32_e32 v53, 0x7f800001
	s_mov_b32 s51, exec_lo
	v_cmpx_ne_u32_e32 0x7f, v55
	s_cbranch_execz .LBB192_40
; %bb.37:                               ;   in Loop: Header=BB192_13 Depth=1
	v_and_b32_sdwa v27, v54, v45 dst_sel:DWORD dst_unused:UNUSED_PAD src0_sel:WORD_0 src1_sel:DWORD
	v_lshrrev_b32_e32 v53, 3, v55
	s_mov_b32 s52, exec_lo
	v_cmpx_gt_u32_e32 8, v55
; %bb.38:                               ;   in Loop: Header=BB192_13 Depth=1
	v_ffbh_u32_e32 v53, v27
	v_min_u32_e32 v53, 32, v53
	v_subrev_nc_u32_e32 v55, 28, v53
	v_sub_nc_u32_e32 v53, 29, v53
	v_lshlrev_b64 v[55:56], v55, v[27:28]
	v_and_b32_e32 v27, 7, v55
; %bb.39:                               ;   in Loop: Header=BB192_13 Depth=1
	s_or_b32 exec_lo, exec_lo, s52
	v_lshlrev_b32_e32 v54, 24, v54
	v_lshlrev_b32_e32 v27, 20, v27
	v_lshl_add_u32 v53, v53, 23, 0x3c000000
	v_and_b32_e32 v54, 0x80000000, v54
	v_or3_b32 v53, v27, v54, v53
.LBB192_40:                             ;   in Loop: Header=BB192_13 Depth=1
	s_or_b32 exec_lo, exec_lo, s51
.LBB192_41:                             ;   in Loop: Header=BB192_13 Depth=1
	s_or_b32 exec_lo, exec_lo, s50
.LBB192_42:                             ;   in Loop: Header=BB192_13 Depth=1
	s_or_b32 exec_lo, exec_lo, s49
	global_load_ubyte v54, v[33:34], off offset:12
	s_mov_b32 s49, exec_lo
	s_waitcnt vmcnt(0)
	v_cmpx_ne_u16_e32 0, v54
	s_cbranch_execz .LBB192_50
; %bb.43:                               ;   in Loop: Header=BB192_13 Depth=1
	v_bfrev_b32_e32 v52, 1
	s_mov_b32 s50, exec_lo
	v_cmpx_ne_u16_e32 0x80, v54
	s_cbranch_execz .LBB192_49
; %bb.44:                               ;   in Loop: Header=BB192_13 Depth=1
	v_and_b32_sdwa v55, v54, v44 dst_sel:DWORD dst_unused:UNUSED_PAD src0_sel:WORD_0 src1_sel:DWORD
	v_mov_b32_e32 v52, 0x7f800001
	s_mov_b32 s51, exec_lo
	v_cmpx_ne_u32_e32 0x7f, v55
	s_cbranch_execz .LBB192_48
; %bb.45:                               ;   in Loop: Header=BB192_13 Depth=1
	v_and_b32_sdwa v27, v54, v45 dst_sel:DWORD dst_unused:UNUSED_PAD src0_sel:WORD_0 src1_sel:DWORD
	v_lshrrev_b32_e32 v52, 3, v55
	s_mov_b32 s52, exec_lo
	v_cmpx_gt_u32_e32 8, v55
; %bb.46:                               ;   in Loop: Header=BB192_13 Depth=1
	v_ffbh_u32_e32 v52, v27
	v_min_u32_e32 v52, 32, v52
	v_subrev_nc_u32_e32 v55, 28, v52
	v_sub_nc_u32_e32 v52, 29, v52
	v_lshlrev_b64 v[55:56], v55, v[27:28]
	v_and_b32_e32 v27, 7, v55
; %bb.47:                               ;   in Loop: Header=BB192_13 Depth=1
	s_or_b32 exec_lo, exec_lo, s52
	v_lshlrev_b32_e32 v54, 24, v54
	v_lshlrev_b32_e32 v27, 20, v27
	v_lshl_add_u32 v52, v52, 23, 0x3c000000
	v_and_b32_e32 v54, 0x80000000, v54
	v_or3_b32 v52, v27, v54, v52
.LBB192_48:                             ;   in Loop: Header=BB192_13 Depth=1
	s_or_b32 exec_lo, exec_lo, s51
.LBB192_49:                             ;   in Loop: Header=BB192_13 Depth=1
	s_or_b32 exec_lo, exec_lo, s50
.LBB192_50:                             ;   in Loop: Header=BB192_13 Depth=1
	s_or_b32 exec_lo, exec_lo, s49
	global_load_ubyte v56, v[33:34], off offset:128
	v_mov_b32_e32 v54, 0
	v_mov_b32_e32 v55, 0
	s_mov_b32 s49, exec_lo
	s_waitcnt vmcnt(0)
	v_cmpx_ne_u16_e32 0, v56
	s_cbranch_execz .LBB192_58
; %bb.51:                               ;   in Loop: Header=BB192_13 Depth=1
	v_bfrev_b32_e32 v55, 1
	s_mov_b32 s50, exec_lo
	v_cmpx_ne_u16_e32 0x80, v56
	s_cbranch_execz .LBB192_57
; %bb.52:                               ;   in Loop: Header=BB192_13 Depth=1
	v_and_b32_sdwa v57, v56, v44 dst_sel:DWORD dst_unused:UNUSED_PAD src0_sel:WORD_0 src1_sel:DWORD
	v_mov_b32_e32 v55, 0x7f800001
	s_mov_b32 s51, exec_lo
	v_cmpx_ne_u32_e32 0x7f, v57
	s_cbranch_execz .LBB192_56
; %bb.53:                               ;   in Loop: Header=BB192_13 Depth=1
	v_and_b32_sdwa v27, v56, v45 dst_sel:DWORD dst_unused:UNUSED_PAD src0_sel:WORD_0 src1_sel:DWORD
	v_lshrrev_b32_e32 v55, 3, v57
	s_mov_b32 s52, exec_lo
	v_cmpx_gt_u32_e32 8, v57
; %bb.54:                               ;   in Loop: Header=BB192_13 Depth=1
	v_ffbh_u32_e32 v55, v27
	v_min_u32_e32 v55, 32, v55
	v_subrev_nc_u32_e32 v57, 28, v55
	v_sub_nc_u32_e32 v55, 29, v55
	v_lshlrev_b64 v[57:58], v57, v[27:28]
	v_and_b32_e32 v27, 7, v57
; %bb.55:                               ;   in Loop: Header=BB192_13 Depth=1
	s_or_b32 exec_lo, exec_lo, s52
	v_lshlrev_b32_e32 v56, 24, v56
	v_lshlrev_b32_e32 v27, 20, v27
	v_lshl_add_u32 v55, v55, 23, 0x3c000000
	v_and_b32_e32 v56, 0x80000000, v56
	v_or3_b32 v55, v27, v56, v55
.LBB192_56:                             ;   in Loop: Header=BB192_13 Depth=1
	s_or_b32 exec_lo, exec_lo, s51
.LBB192_57:                             ;   in Loop: Header=BB192_13 Depth=1
	s_or_b32 exec_lo, exec_lo, s50
.LBB192_58:                             ;   in Loop: Header=BB192_13 Depth=1
	s_or_b32 exec_lo, exec_lo, s49
	global_load_ubyte v56, v[33:34], off offset:132
	s_mov_b32 s49, exec_lo
	s_waitcnt vmcnt(0)
	v_cmpx_ne_u16_e32 0, v56
	s_cbranch_execz .LBB192_66
; %bb.59:                               ;   in Loop: Header=BB192_13 Depth=1
	v_bfrev_b32_e32 v54, 1
	s_mov_b32 s50, exec_lo
	v_cmpx_ne_u16_e32 0x80, v56
	s_cbranch_execz .LBB192_65
; %bb.60:                               ;   in Loop: Header=BB192_13 Depth=1
	v_and_b32_sdwa v57, v56, v44 dst_sel:DWORD dst_unused:UNUSED_PAD src0_sel:WORD_0 src1_sel:DWORD
	v_mov_b32_e32 v54, 0x7f800001
	s_mov_b32 s51, exec_lo
	v_cmpx_ne_u32_e32 0x7f, v57
	s_cbranch_execz .LBB192_64
; %bb.61:                               ;   in Loop: Header=BB192_13 Depth=1
	v_and_b32_sdwa v27, v56, v45 dst_sel:DWORD dst_unused:UNUSED_PAD src0_sel:WORD_0 src1_sel:DWORD
	v_lshrrev_b32_e32 v54, 3, v57
	s_mov_b32 s52, exec_lo
	v_cmpx_gt_u32_e32 8, v57
; %bb.62:                               ;   in Loop: Header=BB192_13 Depth=1
	v_ffbh_u32_e32 v54, v27
	v_min_u32_e32 v54, 32, v54
	v_subrev_nc_u32_e32 v57, 28, v54
	v_sub_nc_u32_e32 v54, 29, v54
	v_lshlrev_b64 v[57:58], v57, v[27:28]
	v_and_b32_e32 v27, 7, v57
; %bb.63:                               ;   in Loop: Header=BB192_13 Depth=1
	s_or_b32 exec_lo, exec_lo, s52
	v_lshlrev_b32_e32 v56, 24, v56
	v_lshlrev_b32_e32 v27, 20, v27
	v_lshl_add_u32 v54, v54, 23, 0x3c000000
	v_and_b32_e32 v56, 0x80000000, v56
	v_or3_b32 v54, v27, v56, v54
.LBB192_64:                             ;   in Loop: Header=BB192_13 Depth=1
	s_or_b32 exec_lo, exec_lo, s51
.LBB192_65:                             ;   in Loop: Header=BB192_13 Depth=1
	s_or_b32 exec_lo, exec_lo, s50
.LBB192_66:                             ;   in Loop: Header=BB192_13 Depth=1
	s_or_b32 exec_lo, exec_lo, s49
	global_load_ubyte v58, v[33:34], off offset:136
	v_mov_b32_e32 v56, 0
	v_mov_b32_e32 v57, 0
	s_mov_b32 s49, exec_lo
	s_waitcnt vmcnt(0)
	v_cmpx_ne_u16_e32 0, v58
	s_cbranch_execz .LBB192_74
; %bb.67:                               ;   in Loop: Header=BB192_13 Depth=1
	v_bfrev_b32_e32 v57, 1
	s_mov_b32 s50, exec_lo
	v_cmpx_ne_u16_e32 0x80, v58
	s_cbranch_execz .LBB192_73
; %bb.68:                               ;   in Loop: Header=BB192_13 Depth=1
	v_and_b32_sdwa v59, v58, v44 dst_sel:DWORD dst_unused:UNUSED_PAD src0_sel:WORD_0 src1_sel:DWORD
	v_mov_b32_e32 v57, 0x7f800001
	s_mov_b32 s51, exec_lo
	v_cmpx_ne_u32_e32 0x7f, v59
	s_cbranch_execz .LBB192_72
; %bb.69:                               ;   in Loop: Header=BB192_13 Depth=1
	v_and_b32_sdwa v27, v58, v45 dst_sel:DWORD dst_unused:UNUSED_PAD src0_sel:WORD_0 src1_sel:DWORD
	v_lshrrev_b32_e32 v57, 3, v59
	s_mov_b32 s52, exec_lo
	v_cmpx_gt_u32_e32 8, v59
; %bb.70:                               ;   in Loop: Header=BB192_13 Depth=1
	v_ffbh_u32_e32 v57, v27
	v_min_u32_e32 v57, 32, v57
	v_subrev_nc_u32_e32 v59, 28, v57
	v_sub_nc_u32_e32 v57, 29, v57
	v_lshlrev_b64 v[59:60], v59, v[27:28]
	v_and_b32_e32 v27, 7, v59
; %bb.71:                               ;   in Loop: Header=BB192_13 Depth=1
	s_or_b32 exec_lo, exec_lo, s52
	v_lshlrev_b32_e32 v58, 24, v58
	v_lshlrev_b32_e32 v27, 20, v27
	v_lshl_add_u32 v57, v57, 23, 0x3c000000
	v_and_b32_e32 v58, 0x80000000, v58
	v_or3_b32 v57, v27, v58, v57
.LBB192_72:                             ;   in Loop: Header=BB192_13 Depth=1
	s_or_b32 exec_lo, exec_lo, s51
.LBB192_73:                             ;   in Loop: Header=BB192_13 Depth=1
	s_or_b32 exec_lo, exec_lo, s50
.LBB192_74:                             ;   in Loop: Header=BB192_13 Depth=1
	s_or_b32 exec_lo, exec_lo, s49
	global_load_ubyte v58, v[33:34], off offset:140
	s_mov_b32 s49, exec_lo
	s_waitcnt vmcnt(0)
	v_cmpx_ne_u16_e32 0, v58
	s_cbranch_execz .LBB192_82
; %bb.75:                               ;   in Loop: Header=BB192_13 Depth=1
	v_bfrev_b32_e32 v56, 1
	s_mov_b32 s50, exec_lo
	v_cmpx_ne_u16_e32 0x80, v58
	s_cbranch_execz .LBB192_81
; %bb.76:                               ;   in Loop: Header=BB192_13 Depth=1
	v_and_b32_sdwa v59, v58, v44 dst_sel:DWORD dst_unused:UNUSED_PAD src0_sel:WORD_0 src1_sel:DWORD
	v_mov_b32_e32 v56, 0x7f800001
	s_mov_b32 s51, exec_lo
	v_cmpx_ne_u32_e32 0x7f, v59
	s_cbranch_execz .LBB192_80
; %bb.77:                               ;   in Loop: Header=BB192_13 Depth=1
	v_and_b32_sdwa v27, v58, v45 dst_sel:DWORD dst_unused:UNUSED_PAD src0_sel:WORD_0 src1_sel:DWORD
	v_lshrrev_b32_e32 v56, 3, v59
	s_mov_b32 s52, exec_lo
	v_cmpx_gt_u32_e32 8, v59
; %bb.78:                               ;   in Loop: Header=BB192_13 Depth=1
	v_ffbh_u32_e32 v56, v27
	v_min_u32_e32 v56, 32, v56
	v_subrev_nc_u32_e32 v59, 28, v56
	v_sub_nc_u32_e32 v56, 29, v56
	v_lshlrev_b64 v[59:60], v59, v[27:28]
	v_and_b32_e32 v27, 7, v59
; %bb.79:                               ;   in Loop: Header=BB192_13 Depth=1
	s_or_b32 exec_lo, exec_lo, s52
	v_lshlrev_b32_e32 v58, 24, v58
	v_lshlrev_b32_e32 v27, 20, v27
	v_lshl_add_u32 v56, v56, 23, 0x3c000000
	v_and_b32_e32 v58, 0x80000000, v58
	v_or3_b32 v56, v27, v58, v56
.LBB192_80:                             ;   in Loop: Header=BB192_13 Depth=1
	s_or_b32 exec_lo, exec_lo, s51
.LBB192_81:                             ;   in Loop: Header=BB192_13 Depth=1
	s_or_b32 exec_lo, exec_lo, s50
.LBB192_82:                             ;   in Loop: Header=BB192_13 Depth=1
	s_or_b32 exec_lo, exec_lo, s49
	global_load_ubyte v60, v[33:34], off offset:256
	v_mov_b32_e32 v58, 0
	v_mov_b32_e32 v59, 0
	s_mov_b32 s49, exec_lo
	s_waitcnt vmcnt(0)
	v_cmpx_ne_u16_e32 0, v60
	s_cbranch_execz .LBB192_90
; %bb.83:                               ;   in Loop: Header=BB192_13 Depth=1
	v_bfrev_b32_e32 v59, 1
	s_mov_b32 s50, exec_lo
	v_cmpx_ne_u16_e32 0x80, v60
	s_cbranch_execz .LBB192_89
; %bb.84:                               ;   in Loop: Header=BB192_13 Depth=1
	v_and_b32_sdwa v61, v60, v44 dst_sel:DWORD dst_unused:UNUSED_PAD src0_sel:WORD_0 src1_sel:DWORD
	v_mov_b32_e32 v59, 0x7f800001
	s_mov_b32 s51, exec_lo
	v_cmpx_ne_u32_e32 0x7f, v61
	s_cbranch_execz .LBB192_88
; %bb.85:                               ;   in Loop: Header=BB192_13 Depth=1
	v_and_b32_sdwa v27, v60, v45 dst_sel:DWORD dst_unused:UNUSED_PAD src0_sel:WORD_0 src1_sel:DWORD
	v_lshrrev_b32_e32 v59, 3, v61
	s_mov_b32 s52, exec_lo
	v_cmpx_gt_u32_e32 8, v61
; %bb.86:                               ;   in Loop: Header=BB192_13 Depth=1
	v_ffbh_u32_e32 v59, v27
	v_min_u32_e32 v59, 32, v59
	v_subrev_nc_u32_e32 v61, 28, v59
	v_sub_nc_u32_e32 v59, 29, v59
	v_lshlrev_b64 v[61:62], v61, v[27:28]
	v_and_b32_e32 v27, 7, v61
; %bb.87:                               ;   in Loop: Header=BB192_13 Depth=1
	s_or_b32 exec_lo, exec_lo, s52
	v_lshlrev_b32_e32 v60, 24, v60
	v_lshlrev_b32_e32 v27, 20, v27
	v_lshl_add_u32 v59, v59, 23, 0x3c000000
	v_and_b32_e32 v60, 0x80000000, v60
	v_or3_b32 v59, v27, v60, v59
.LBB192_88:                             ;   in Loop: Header=BB192_13 Depth=1
	s_or_b32 exec_lo, exec_lo, s51
.LBB192_89:                             ;   in Loop: Header=BB192_13 Depth=1
	s_or_b32 exec_lo, exec_lo, s50
.LBB192_90:                             ;   in Loop: Header=BB192_13 Depth=1
	s_or_b32 exec_lo, exec_lo, s49
	global_load_ubyte v60, v[33:34], off offset:260
	s_mov_b32 s49, exec_lo
	s_waitcnt vmcnt(0)
	v_cmpx_ne_u16_e32 0, v60
	s_cbranch_execz .LBB192_98
; %bb.91:                               ;   in Loop: Header=BB192_13 Depth=1
	v_bfrev_b32_e32 v58, 1
	s_mov_b32 s50, exec_lo
	v_cmpx_ne_u16_e32 0x80, v60
	s_cbranch_execz .LBB192_97
; %bb.92:                               ;   in Loop: Header=BB192_13 Depth=1
	v_and_b32_sdwa v61, v60, v44 dst_sel:DWORD dst_unused:UNUSED_PAD src0_sel:WORD_0 src1_sel:DWORD
	v_mov_b32_e32 v58, 0x7f800001
	s_mov_b32 s51, exec_lo
	v_cmpx_ne_u32_e32 0x7f, v61
	s_cbranch_execz .LBB192_96
; %bb.93:                               ;   in Loop: Header=BB192_13 Depth=1
	v_and_b32_sdwa v27, v60, v45 dst_sel:DWORD dst_unused:UNUSED_PAD src0_sel:WORD_0 src1_sel:DWORD
	v_lshrrev_b32_e32 v58, 3, v61
	s_mov_b32 s52, exec_lo
	v_cmpx_gt_u32_e32 8, v61
; %bb.94:                               ;   in Loop: Header=BB192_13 Depth=1
	v_ffbh_u32_e32 v58, v27
	v_min_u32_e32 v58, 32, v58
	v_subrev_nc_u32_e32 v61, 28, v58
	v_sub_nc_u32_e32 v58, 29, v58
	v_lshlrev_b64 v[61:62], v61, v[27:28]
	v_and_b32_e32 v27, 7, v61
; %bb.95:                               ;   in Loop: Header=BB192_13 Depth=1
	s_or_b32 exec_lo, exec_lo, s52
	v_lshlrev_b32_e32 v60, 24, v60
	v_lshlrev_b32_e32 v27, 20, v27
	v_lshl_add_u32 v58, v58, 23, 0x3c000000
	v_and_b32_e32 v60, 0x80000000, v60
	v_or3_b32 v58, v27, v60, v58
.LBB192_96:                             ;   in Loop: Header=BB192_13 Depth=1
	s_or_b32 exec_lo, exec_lo, s51
.LBB192_97:                             ;   in Loop: Header=BB192_13 Depth=1
	s_or_b32 exec_lo, exec_lo, s50
.LBB192_98:                             ;   in Loop: Header=BB192_13 Depth=1
	s_or_b32 exec_lo, exec_lo, s49
	global_load_ubyte v62, v[33:34], off offset:264
	v_mov_b32_e32 v60, 0
	v_mov_b32_e32 v61, 0
	s_mov_b32 s49, exec_lo
	s_waitcnt vmcnt(0)
	v_cmpx_ne_u16_e32 0, v62
	s_cbranch_execz .LBB192_106
; %bb.99:                               ;   in Loop: Header=BB192_13 Depth=1
	v_bfrev_b32_e32 v61, 1
	s_mov_b32 s50, exec_lo
	v_cmpx_ne_u16_e32 0x80, v62
	s_cbranch_execz .LBB192_105
; %bb.100:                              ;   in Loop: Header=BB192_13 Depth=1
	v_and_b32_sdwa v63, v62, v44 dst_sel:DWORD dst_unused:UNUSED_PAD src0_sel:WORD_0 src1_sel:DWORD
	v_mov_b32_e32 v61, 0x7f800001
	s_mov_b32 s51, exec_lo
	v_cmpx_ne_u32_e32 0x7f, v63
	s_cbranch_execz .LBB192_104
; %bb.101:                              ;   in Loop: Header=BB192_13 Depth=1
	v_and_b32_sdwa v27, v62, v45 dst_sel:DWORD dst_unused:UNUSED_PAD src0_sel:WORD_0 src1_sel:DWORD
	v_lshrrev_b32_e32 v61, 3, v63
	s_mov_b32 s52, exec_lo
	v_cmpx_gt_u32_e32 8, v63
; %bb.102:                              ;   in Loop: Header=BB192_13 Depth=1
	v_ffbh_u32_e32 v61, v27
	v_min_u32_e32 v61, 32, v61
	v_subrev_nc_u32_e32 v63, 28, v61
	v_sub_nc_u32_e32 v61, 29, v61
	v_lshlrev_b64 v[63:64], v63, v[27:28]
	v_and_b32_e32 v27, 7, v63
; %bb.103:                              ;   in Loop: Header=BB192_13 Depth=1
	s_or_b32 exec_lo, exec_lo, s52
	v_lshlrev_b32_e32 v62, 24, v62
	v_lshlrev_b32_e32 v27, 20, v27
	v_lshl_add_u32 v61, v61, 23, 0x3c000000
	v_and_b32_e32 v62, 0x80000000, v62
	v_or3_b32 v61, v27, v62, v61
.LBB192_104:                            ;   in Loop: Header=BB192_13 Depth=1
	s_or_b32 exec_lo, exec_lo, s51
.LBB192_105:                            ;   in Loop: Header=BB192_13 Depth=1
	s_or_b32 exec_lo, exec_lo, s50
.LBB192_106:                            ;   in Loop: Header=BB192_13 Depth=1
	s_or_b32 exec_lo, exec_lo, s49
	global_load_ubyte v62, v[33:34], off offset:268
	s_mov_b32 s49, exec_lo
	s_waitcnt vmcnt(0)
	v_cmpx_ne_u16_e32 0, v62
	s_cbranch_execz .LBB192_114
; %bb.107:                              ;   in Loop: Header=BB192_13 Depth=1
	v_bfrev_b32_e32 v60, 1
	s_mov_b32 s50, exec_lo
	v_cmpx_ne_u16_e32 0x80, v62
	s_cbranch_execz .LBB192_113
; %bb.108:                              ;   in Loop: Header=BB192_13 Depth=1
	v_and_b32_sdwa v63, v62, v44 dst_sel:DWORD dst_unused:UNUSED_PAD src0_sel:WORD_0 src1_sel:DWORD
	v_mov_b32_e32 v60, 0x7f800001
	s_mov_b32 s51, exec_lo
	v_cmpx_ne_u32_e32 0x7f, v63
	s_cbranch_execz .LBB192_112
; %bb.109:                              ;   in Loop: Header=BB192_13 Depth=1
	v_and_b32_sdwa v27, v62, v45 dst_sel:DWORD dst_unused:UNUSED_PAD src0_sel:WORD_0 src1_sel:DWORD
	v_lshrrev_b32_e32 v60, 3, v63
	s_mov_b32 s52, exec_lo
	v_cmpx_gt_u32_e32 8, v63
; %bb.110:                              ;   in Loop: Header=BB192_13 Depth=1
	v_ffbh_u32_e32 v60, v27
	v_min_u32_e32 v60, 32, v60
	v_subrev_nc_u32_e32 v63, 28, v60
	v_sub_nc_u32_e32 v60, 29, v60
	v_lshlrev_b64 v[63:64], v63, v[27:28]
	v_and_b32_e32 v27, 7, v63
; %bb.111:                              ;   in Loop: Header=BB192_13 Depth=1
	s_or_b32 exec_lo, exec_lo, s52
	v_lshlrev_b32_e32 v62, 24, v62
	v_lshlrev_b32_e32 v27, 20, v27
	v_lshl_add_u32 v60, v60, 23, 0x3c000000
	v_and_b32_e32 v62, 0x80000000, v62
	v_or3_b32 v60, v27, v62, v60
.LBB192_112:                            ;   in Loop: Header=BB192_13 Depth=1
	s_or_b32 exec_lo, exec_lo, s51
.LBB192_113:                            ;   in Loop: Header=BB192_13 Depth=1
	s_or_b32 exec_lo, exec_lo, s50
.LBB192_114:                            ;   in Loop: Header=BB192_13 Depth=1
	s_or_b32 exec_lo, exec_lo, s49
	global_load_ubyte v64, v[33:34], off offset:384
	v_mov_b32_e32 v62, 0
	v_mov_b32_e32 v63, 0
	s_mov_b32 s49, exec_lo
	s_waitcnt vmcnt(0)
	v_cmpx_ne_u16_e32 0, v64
	s_cbranch_execz .LBB192_122
; %bb.115:                              ;   in Loop: Header=BB192_13 Depth=1
	v_bfrev_b32_e32 v63, 1
	s_mov_b32 s50, exec_lo
	v_cmpx_ne_u16_e32 0x80, v64
	s_cbranch_execz .LBB192_121
; %bb.116:                              ;   in Loop: Header=BB192_13 Depth=1
	v_and_b32_sdwa v65, v64, v44 dst_sel:DWORD dst_unused:UNUSED_PAD src0_sel:WORD_0 src1_sel:DWORD
	v_mov_b32_e32 v63, 0x7f800001
	s_mov_b32 s51, exec_lo
	v_cmpx_ne_u32_e32 0x7f, v65
	s_cbranch_execz .LBB192_120
; %bb.117:                              ;   in Loop: Header=BB192_13 Depth=1
	v_and_b32_sdwa v27, v64, v45 dst_sel:DWORD dst_unused:UNUSED_PAD src0_sel:WORD_0 src1_sel:DWORD
	v_lshrrev_b32_e32 v63, 3, v65
	s_mov_b32 s52, exec_lo
	v_cmpx_gt_u32_e32 8, v65
; %bb.118:                              ;   in Loop: Header=BB192_13 Depth=1
	v_ffbh_u32_e32 v63, v27
	v_min_u32_e32 v63, 32, v63
	v_subrev_nc_u32_e32 v65, 28, v63
	v_sub_nc_u32_e32 v63, 29, v63
	v_lshlrev_b64 v[65:66], v65, v[27:28]
	v_and_b32_e32 v27, 7, v65
; %bb.119:                              ;   in Loop: Header=BB192_13 Depth=1
	s_or_b32 exec_lo, exec_lo, s52
	v_lshlrev_b32_e32 v64, 24, v64
	v_lshlrev_b32_e32 v27, 20, v27
	v_lshl_add_u32 v63, v63, 23, 0x3c000000
	v_and_b32_e32 v64, 0x80000000, v64
	v_or3_b32 v63, v27, v64, v63
.LBB192_120:                            ;   in Loop: Header=BB192_13 Depth=1
	s_or_b32 exec_lo, exec_lo, s51
.LBB192_121:                            ;   in Loop: Header=BB192_13 Depth=1
	s_or_b32 exec_lo, exec_lo, s50
.LBB192_122:                            ;   in Loop: Header=BB192_13 Depth=1
	s_or_b32 exec_lo, exec_lo, s49
	global_load_ubyte v64, v[33:34], off offset:388
	s_mov_b32 s49, exec_lo
	s_waitcnt vmcnt(0)
	v_cmpx_ne_u16_e32 0, v64
	s_cbranch_execz .LBB192_130
; %bb.123:                              ;   in Loop: Header=BB192_13 Depth=1
	v_bfrev_b32_e32 v62, 1
	s_mov_b32 s50, exec_lo
	v_cmpx_ne_u16_e32 0x80, v64
	s_cbranch_execz .LBB192_129
; %bb.124:                              ;   in Loop: Header=BB192_13 Depth=1
	v_and_b32_sdwa v65, v64, v44 dst_sel:DWORD dst_unused:UNUSED_PAD src0_sel:WORD_0 src1_sel:DWORD
	v_mov_b32_e32 v62, 0x7f800001
	s_mov_b32 s51, exec_lo
	v_cmpx_ne_u32_e32 0x7f, v65
	s_cbranch_execz .LBB192_128
; %bb.125:                              ;   in Loop: Header=BB192_13 Depth=1
	v_and_b32_sdwa v27, v64, v45 dst_sel:DWORD dst_unused:UNUSED_PAD src0_sel:WORD_0 src1_sel:DWORD
	v_lshrrev_b32_e32 v62, 3, v65
	s_mov_b32 s52, exec_lo
	v_cmpx_gt_u32_e32 8, v65
; %bb.126:                              ;   in Loop: Header=BB192_13 Depth=1
	v_ffbh_u32_e32 v62, v27
	v_min_u32_e32 v62, 32, v62
	v_subrev_nc_u32_e32 v65, 28, v62
	v_sub_nc_u32_e32 v62, 29, v62
	v_lshlrev_b64 v[65:66], v65, v[27:28]
	v_and_b32_e32 v27, 7, v65
; %bb.127:                              ;   in Loop: Header=BB192_13 Depth=1
	s_or_b32 exec_lo, exec_lo, s52
	v_lshlrev_b32_e32 v64, 24, v64
	v_lshlrev_b32_e32 v27, 20, v27
	v_lshl_add_u32 v62, v62, 23, 0x3c000000
	v_and_b32_e32 v64, 0x80000000, v64
	v_or3_b32 v62, v27, v64, v62
.LBB192_128:                            ;   in Loop: Header=BB192_13 Depth=1
	s_or_b32 exec_lo, exec_lo, s51
.LBB192_129:                            ;   in Loop: Header=BB192_13 Depth=1
	s_or_b32 exec_lo, exec_lo, s50
.LBB192_130:                            ;   in Loop: Header=BB192_13 Depth=1
	s_or_b32 exec_lo, exec_lo, s49
	global_load_ubyte v66, v[33:34], off offset:392
	v_mov_b32_e32 v64, 0
	v_mov_b32_e32 v65, 0
	s_mov_b32 s49, exec_lo
	s_waitcnt vmcnt(0)
	v_cmpx_ne_u16_e32 0, v66
	s_cbranch_execz .LBB192_138
; %bb.131:                              ;   in Loop: Header=BB192_13 Depth=1
	v_bfrev_b32_e32 v65, 1
	s_mov_b32 s50, exec_lo
	v_cmpx_ne_u16_e32 0x80, v66
	s_cbranch_execz .LBB192_137
; %bb.132:                              ;   in Loop: Header=BB192_13 Depth=1
	v_and_b32_sdwa v67, v66, v44 dst_sel:DWORD dst_unused:UNUSED_PAD src0_sel:WORD_0 src1_sel:DWORD
	v_mov_b32_e32 v65, 0x7f800001
	s_mov_b32 s51, exec_lo
	v_cmpx_ne_u32_e32 0x7f, v67
	s_cbranch_execz .LBB192_136
; %bb.133:                              ;   in Loop: Header=BB192_13 Depth=1
	v_and_b32_sdwa v27, v66, v45 dst_sel:DWORD dst_unused:UNUSED_PAD src0_sel:WORD_0 src1_sel:DWORD
	v_lshrrev_b32_e32 v65, 3, v67
	s_mov_b32 s52, exec_lo
	v_cmpx_gt_u32_e32 8, v67
; %bb.134:                              ;   in Loop: Header=BB192_13 Depth=1
	v_ffbh_u32_e32 v65, v27
	v_min_u32_e32 v65, 32, v65
	v_subrev_nc_u32_e32 v67, 28, v65
	v_sub_nc_u32_e32 v65, 29, v65
	v_lshlrev_b64 v[67:68], v67, v[27:28]
	v_and_b32_e32 v27, 7, v67
; %bb.135:                              ;   in Loop: Header=BB192_13 Depth=1
	s_or_b32 exec_lo, exec_lo, s52
	v_lshlrev_b32_e32 v66, 24, v66
	v_lshlrev_b32_e32 v27, 20, v27
	v_lshl_add_u32 v65, v65, 23, 0x3c000000
	v_and_b32_e32 v66, 0x80000000, v66
	v_or3_b32 v65, v27, v66, v65
.LBB192_136:                            ;   in Loop: Header=BB192_13 Depth=1
	s_or_b32 exec_lo, exec_lo, s51
.LBB192_137:                            ;   in Loop: Header=BB192_13 Depth=1
	s_or_b32 exec_lo, exec_lo, s50
.LBB192_138:                            ;   in Loop: Header=BB192_13 Depth=1
	s_or_b32 exec_lo, exec_lo, s49
	global_load_ubyte v66, v[33:34], off offset:396
	s_mov_b32 s49, exec_lo
	s_waitcnt vmcnt(0)
	v_cmpx_ne_u16_e32 0, v66
	s_cbranch_execz .LBB192_146
; %bb.139:                              ;   in Loop: Header=BB192_13 Depth=1
	v_bfrev_b32_e32 v64, 1
	s_mov_b32 s50, exec_lo
	v_cmpx_ne_u16_e32 0x80, v66
	s_cbranch_execz .LBB192_145
; %bb.140:                              ;   in Loop: Header=BB192_13 Depth=1
	v_and_b32_sdwa v67, v66, v44 dst_sel:DWORD dst_unused:UNUSED_PAD src0_sel:WORD_0 src1_sel:DWORD
	v_mov_b32_e32 v64, 0x7f800001
	s_mov_b32 s51, exec_lo
	v_cmpx_ne_u32_e32 0x7f, v67
	s_cbranch_execz .LBB192_144
; %bb.141:                              ;   in Loop: Header=BB192_13 Depth=1
	v_and_b32_sdwa v27, v66, v45 dst_sel:DWORD dst_unused:UNUSED_PAD src0_sel:WORD_0 src1_sel:DWORD
	v_lshrrev_b32_e32 v64, 3, v67
	s_mov_b32 s52, exec_lo
	v_cmpx_gt_u32_e32 8, v67
; %bb.142:                              ;   in Loop: Header=BB192_13 Depth=1
	v_ffbh_u32_e32 v64, v27
	v_min_u32_e32 v64, 32, v64
	v_subrev_nc_u32_e32 v67, 28, v64
	v_sub_nc_u32_e32 v64, 29, v64
	v_lshlrev_b64 v[67:68], v67, v[27:28]
	v_and_b32_e32 v27, 7, v67
; %bb.143:                              ;   in Loop: Header=BB192_13 Depth=1
	s_or_b32 exec_lo, exec_lo, s52
	v_lshlrev_b32_e32 v66, 24, v66
	v_lshlrev_b32_e32 v27, 20, v27
	v_lshl_add_u32 v64, v64, 23, 0x3c000000
	v_and_b32_e32 v66, 0x80000000, v66
	v_or3_b32 v64, v27, v66, v64
.LBB192_144:                            ;   in Loop: Header=BB192_13 Depth=1
	s_or_b32 exec_lo, exec_lo, s51
.LBB192_145:                            ;   in Loop: Header=BB192_13 Depth=1
	s_or_b32 exec_lo, exec_lo, s50
.LBB192_146:                            ;   in Loop: Header=BB192_13 Depth=1
	s_or_b32 exec_lo, exec_lo, s49
	global_load_ubyte v68, v[33:34], off offset:512
	v_mov_b32_e32 v66, 0
	v_mov_b32_e32 v67, 0
	s_mov_b32 s49, exec_lo
	s_waitcnt vmcnt(0)
	v_cmpx_ne_u16_e32 0, v68
	s_cbranch_execz .LBB192_154
; %bb.147:                              ;   in Loop: Header=BB192_13 Depth=1
	v_bfrev_b32_e32 v67, 1
	s_mov_b32 s50, exec_lo
	v_cmpx_ne_u16_e32 0x80, v68
	s_cbranch_execz .LBB192_153
; %bb.148:                              ;   in Loop: Header=BB192_13 Depth=1
	v_and_b32_sdwa v69, v68, v44 dst_sel:DWORD dst_unused:UNUSED_PAD src0_sel:WORD_0 src1_sel:DWORD
	v_mov_b32_e32 v67, 0x7f800001
	s_mov_b32 s51, exec_lo
	v_cmpx_ne_u32_e32 0x7f, v69
	s_cbranch_execz .LBB192_152
; %bb.149:                              ;   in Loop: Header=BB192_13 Depth=1
	v_and_b32_sdwa v27, v68, v45 dst_sel:DWORD dst_unused:UNUSED_PAD src0_sel:WORD_0 src1_sel:DWORD
	v_lshrrev_b32_e32 v67, 3, v69
	s_mov_b32 s52, exec_lo
	v_cmpx_gt_u32_e32 8, v69
; %bb.150:                              ;   in Loop: Header=BB192_13 Depth=1
	v_ffbh_u32_e32 v67, v27
	v_min_u32_e32 v67, 32, v67
	v_subrev_nc_u32_e32 v69, 28, v67
	v_sub_nc_u32_e32 v67, 29, v67
	v_lshlrev_b64 v[69:70], v69, v[27:28]
	v_and_b32_e32 v27, 7, v69
; %bb.151:                              ;   in Loop: Header=BB192_13 Depth=1
	s_or_b32 exec_lo, exec_lo, s52
	v_lshlrev_b32_e32 v68, 24, v68
	v_lshlrev_b32_e32 v27, 20, v27
	v_lshl_add_u32 v67, v67, 23, 0x3c000000
	v_and_b32_e32 v68, 0x80000000, v68
	v_or3_b32 v67, v27, v68, v67
.LBB192_152:                            ;   in Loop: Header=BB192_13 Depth=1
	s_or_b32 exec_lo, exec_lo, s51
.LBB192_153:                            ;   in Loop: Header=BB192_13 Depth=1
	s_or_b32 exec_lo, exec_lo, s50
.LBB192_154:                            ;   in Loop: Header=BB192_13 Depth=1
	s_or_b32 exec_lo, exec_lo, s49
	global_load_ubyte v68, v[33:34], off offset:516
	s_mov_b32 s49, exec_lo
	s_waitcnt vmcnt(0)
	v_cmpx_ne_u16_e32 0, v68
	s_cbranch_execz .LBB192_162
; %bb.155:                              ;   in Loop: Header=BB192_13 Depth=1
	v_bfrev_b32_e32 v66, 1
	s_mov_b32 s50, exec_lo
	v_cmpx_ne_u16_e32 0x80, v68
	s_cbranch_execz .LBB192_161
; %bb.156:                              ;   in Loop: Header=BB192_13 Depth=1
	v_and_b32_sdwa v69, v68, v44 dst_sel:DWORD dst_unused:UNUSED_PAD src0_sel:WORD_0 src1_sel:DWORD
	v_mov_b32_e32 v66, 0x7f800001
	s_mov_b32 s51, exec_lo
	v_cmpx_ne_u32_e32 0x7f, v69
	s_cbranch_execz .LBB192_160
; %bb.157:                              ;   in Loop: Header=BB192_13 Depth=1
	v_and_b32_sdwa v27, v68, v45 dst_sel:DWORD dst_unused:UNUSED_PAD src0_sel:WORD_0 src1_sel:DWORD
	v_lshrrev_b32_e32 v66, 3, v69
	s_mov_b32 s52, exec_lo
	v_cmpx_gt_u32_e32 8, v69
; %bb.158:                              ;   in Loop: Header=BB192_13 Depth=1
	v_ffbh_u32_e32 v66, v27
	v_min_u32_e32 v66, 32, v66
	v_subrev_nc_u32_e32 v69, 28, v66
	v_sub_nc_u32_e32 v66, 29, v66
	v_lshlrev_b64 v[69:70], v69, v[27:28]
	v_and_b32_e32 v27, 7, v69
; %bb.159:                              ;   in Loop: Header=BB192_13 Depth=1
	s_or_b32 exec_lo, exec_lo, s52
	v_lshlrev_b32_e32 v68, 24, v68
	v_lshlrev_b32_e32 v27, 20, v27
	v_lshl_add_u32 v66, v66, 23, 0x3c000000
	v_and_b32_e32 v68, 0x80000000, v68
	v_or3_b32 v66, v27, v68, v66
.LBB192_160:                            ;   in Loop: Header=BB192_13 Depth=1
	s_or_b32 exec_lo, exec_lo, s51
.LBB192_161:                            ;   in Loop: Header=BB192_13 Depth=1
	s_or_b32 exec_lo, exec_lo, s50
.LBB192_162:                            ;   in Loop: Header=BB192_13 Depth=1
	s_or_b32 exec_lo, exec_lo, s49
	global_load_ubyte v70, v[33:34], off offset:520
	v_mov_b32_e32 v68, 0
	v_mov_b32_e32 v69, 0
	s_mov_b32 s49, exec_lo
	s_waitcnt vmcnt(0)
	v_cmpx_ne_u16_e32 0, v70
	s_cbranch_execz .LBB192_170
; %bb.163:                              ;   in Loop: Header=BB192_13 Depth=1
	v_bfrev_b32_e32 v69, 1
	s_mov_b32 s50, exec_lo
	v_cmpx_ne_u16_e32 0x80, v70
	s_cbranch_execz .LBB192_169
; %bb.164:                              ;   in Loop: Header=BB192_13 Depth=1
	v_and_b32_sdwa v71, v70, v44 dst_sel:DWORD dst_unused:UNUSED_PAD src0_sel:WORD_0 src1_sel:DWORD
	v_mov_b32_e32 v69, 0x7f800001
	s_mov_b32 s51, exec_lo
	v_cmpx_ne_u32_e32 0x7f, v71
	s_cbranch_execz .LBB192_168
; %bb.165:                              ;   in Loop: Header=BB192_13 Depth=1
	v_and_b32_sdwa v27, v70, v45 dst_sel:DWORD dst_unused:UNUSED_PAD src0_sel:WORD_0 src1_sel:DWORD
	v_lshrrev_b32_e32 v69, 3, v71
	s_mov_b32 s52, exec_lo
	v_cmpx_gt_u32_e32 8, v71
; %bb.166:                              ;   in Loop: Header=BB192_13 Depth=1
	v_ffbh_u32_e32 v69, v27
	v_min_u32_e32 v69, 32, v69
	v_subrev_nc_u32_e32 v71, 28, v69
	v_sub_nc_u32_e32 v69, 29, v69
	v_lshlrev_b64 v[71:72], v71, v[27:28]
	v_and_b32_e32 v27, 7, v71
; %bb.167:                              ;   in Loop: Header=BB192_13 Depth=1
	s_or_b32 exec_lo, exec_lo, s52
	v_lshlrev_b32_e32 v70, 24, v70
	v_lshlrev_b32_e32 v27, 20, v27
	v_lshl_add_u32 v69, v69, 23, 0x3c000000
	v_and_b32_e32 v70, 0x80000000, v70
	v_or3_b32 v69, v27, v70, v69
.LBB192_168:                            ;   in Loop: Header=BB192_13 Depth=1
	s_or_b32 exec_lo, exec_lo, s51
.LBB192_169:                            ;   in Loop: Header=BB192_13 Depth=1
	s_or_b32 exec_lo, exec_lo, s50
.LBB192_170:                            ;   in Loop: Header=BB192_13 Depth=1
	s_or_b32 exec_lo, exec_lo, s49
	global_load_ubyte v70, v[33:34], off offset:524
	s_mov_b32 s49, exec_lo
	s_waitcnt vmcnt(0)
	v_cmpx_ne_u16_e32 0, v70
	s_cbranch_execz .LBB192_178
; %bb.171:                              ;   in Loop: Header=BB192_13 Depth=1
	v_bfrev_b32_e32 v68, 1
	s_mov_b32 s50, exec_lo
	v_cmpx_ne_u16_e32 0x80, v70
	s_cbranch_execz .LBB192_177
; %bb.172:                              ;   in Loop: Header=BB192_13 Depth=1
	v_and_b32_sdwa v71, v70, v44 dst_sel:DWORD dst_unused:UNUSED_PAD src0_sel:WORD_0 src1_sel:DWORD
	v_mov_b32_e32 v68, 0x7f800001
	s_mov_b32 s51, exec_lo
	v_cmpx_ne_u32_e32 0x7f, v71
	s_cbranch_execz .LBB192_176
; %bb.173:                              ;   in Loop: Header=BB192_13 Depth=1
	v_and_b32_sdwa v27, v70, v45 dst_sel:DWORD dst_unused:UNUSED_PAD src0_sel:WORD_0 src1_sel:DWORD
	v_lshrrev_b32_e32 v68, 3, v71
	s_mov_b32 s52, exec_lo
	v_cmpx_gt_u32_e32 8, v71
; %bb.174:                              ;   in Loop: Header=BB192_13 Depth=1
	v_ffbh_u32_e32 v68, v27
	v_min_u32_e32 v68, 32, v68
	v_subrev_nc_u32_e32 v71, 28, v68
	v_sub_nc_u32_e32 v68, 29, v68
	v_lshlrev_b64 v[71:72], v71, v[27:28]
	v_and_b32_e32 v27, 7, v71
; %bb.175:                              ;   in Loop: Header=BB192_13 Depth=1
	s_or_b32 exec_lo, exec_lo, s52
	v_lshlrev_b32_e32 v70, 24, v70
	v_lshlrev_b32_e32 v27, 20, v27
	v_lshl_add_u32 v68, v68, 23, 0x3c000000
	v_and_b32_e32 v70, 0x80000000, v70
	v_or3_b32 v68, v27, v70, v68
.LBB192_176:                            ;   in Loop: Header=BB192_13 Depth=1
	s_or_b32 exec_lo, exec_lo, s51
.LBB192_177:                            ;   in Loop: Header=BB192_13 Depth=1
	s_or_b32 exec_lo, exec_lo, s50
.LBB192_178:                            ;   in Loop: Header=BB192_13 Depth=1
	s_or_b32 exec_lo, exec_lo, s49
	global_load_ubyte v72, v[33:34], off offset:640
	v_mov_b32_e32 v70, 0
	v_mov_b32_e32 v71, 0
	s_mov_b32 s49, exec_lo
	s_waitcnt vmcnt(0)
	v_cmpx_ne_u16_e32 0, v72
	s_cbranch_execz .LBB192_186
; %bb.179:                              ;   in Loop: Header=BB192_13 Depth=1
	v_bfrev_b32_e32 v71, 1
	s_mov_b32 s50, exec_lo
	v_cmpx_ne_u16_e32 0x80, v72
	s_cbranch_execz .LBB192_185
; %bb.180:                              ;   in Loop: Header=BB192_13 Depth=1
	v_and_b32_sdwa v73, v72, v44 dst_sel:DWORD dst_unused:UNUSED_PAD src0_sel:WORD_0 src1_sel:DWORD
	v_mov_b32_e32 v71, 0x7f800001
	s_mov_b32 s51, exec_lo
	v_cmpx_ne_u32_e32 0x7f, v73
	s_cbranch_execz .LBB192_184
; %bb.181:                              ;   in Loop: Header=BB192_13 Depth=1
	v_and_b32_sdwa v27, v72, v45 dst_sel:DWORD dst_unused:UNUSED_PAD src0_sel:WORD_0 src1_sel:DWORD
	v_lshrrev_b32_e32 v71, 3, v73
	s_mov_b32 s52, exec_lo
	v_cmpx_gt_u32_e32 8, v73
; %bb.182:                              ;   in Loop: Header=BB192_13 Depth=1
	v_ffbh_u32_e32 v71, v27
	v_min_u32_e32 v71, 32, v71
	v_subrev_nc_u32_e32 v73, 28, v71
	v_sub_nc_u32_e32 v71, 29, v71
	v_lshlrev_b64 v[73:74], v73, v[27:28]
	v_and_b32_e32 v27, 7, v73
; %bb.183:                              ;   in Loop: Header=BB192_13 Depth=1
	s_or_b32 exec_lo, exec_lo, s52
	v_lshlrev_b32_e32 v72, 24, v72
	v_lshlrev_b32_e32 v27, 20, v27
	v_lshl_add_u32 v71, v71, 23, 0x3c000000
	v_and_b32_e32 v72, 0x80000000, v72
	v_or3_b32 v71, v27, v72, v71
.LBB192_184:                            ;   in Loop: Header=BB192_13 Depth=1
	s_or_b32 exec_lo, exec_lo, s51
.LBB192_185:                            ;   in Loop: Header=BB192_13 Depth=1
	s_or_b32 exec_lo, exec_lo, s50
.LBB192_186:                            ;   in Loop: Header=BB192_13 Depth=1
	s_or_b32 exec_lo, exec_lo, s49
	global_load_ubyte v72, v[33:34], off offset:644
	s_mov_b32 s49, exec_lo
	s_waitcnt vmcnt(0)
	v_cmpx_ne_u16_e32 0, v72
	s_cbranch_execz .LBB192_194
; %bb.187:                              ;   in Loop: Header=BB192_13 Depth=1
	v_bfrev_b32_e32 v70, 1
	s_mov_b32 s50, exec_lo
	v_cmpx_ne_u16_e32 0x80, v72
	s_cbranch_execz .LBB192_193
; %bb.188:                              ;   in Loop: Header=BB192_13 Depth=1
	v_and_b32_sdwa v73, v72, v44 dst_sel:DWORD dst_unused:UNUSED_PAD src0_sel:WORD_0 src1_sel:DWORD
	v_mov_b32_e32 v70, 0x7f800001
	s_mov_b32 s51, exec_lo
	v_cmpx_ne_u32_e32 0x7f, v73
	s_cbranch_execz .LBB192_192
; %bb.189:                              ;   in Loop: Header=BB192_13 Depth=1
	v_and_b32_sdwa v27, v72, v45 dst_sel:DWORD dst_unused:UNUSED_PAD src0_sel:WORD_0 src1_sel:DWORD
	v_lshrrev_b32_e32 v70, 3, v73
	s_mov_b32 s52, exec_lo
	v_cmpx_gt_u32_e32 8, v73
; %bb.190:                              ;   in Loop: Header=BB192_13 Depth=1
	v_ffbh_u32_e32 v70, v27
	v_min_u32_e32 v70, 32, v70
	v_subrev_nc_u32_e32 v73, 28, v70
	v_sub_nc_u32_e32 v70, 29, v70
	v_lshlrev_b64 v[73:74], v73, v[27:28]
	v_and_b32_e32 v27, 7, v73
; %bb.191:                              ;   in Loop: Header=BB192_13 Depth=1
	s_or_b32 exec_lo, exec_lo, s52
	v_lshlrev_b32_e32 v72, 24, v72
	v_lshlrev_b32_e32 v27, 20, v27
	v_lshl_add_u32 v70, v70, 23, 0x3c000000
	v_and_b32_e32 v72, 0x80000000, v72
	v_or3_b32 v70, v27, v72, v70
.LBB192_192:                            ;   in Loop: Header=BB192_13 Depth=1
	s_or_b32 exec_lo, exec_lo, s51
.LBB192_193:                            ;   in Loop: Header=BB192_13 Depth=1
	s_or_b32 exec_lo, exec_lo, s50
.LBB192_194:                            ;   in Loop: Header=BB192_13 Depth=1
	s_or_b32 exec_lo, exec_lo, s49
	global_load_ubyte v74, v[33:34], off offset:648
	v_mov_b32_e32 v72, 0
	v_mov_b32_e32 v73, 0
	s_mov_b32 s49, exec_lo
	s_waitcnt vmcnt(0)
	v_cmpx_ne_u16_e32 0, v74
	s_cbranch_execz .LBB192_202
; %bb.195:                              ;   in Loop: Header=BB192_13 Depth=1
	v_bfrev_b32_e32 v73, 1
	s_mov_b32 s50, exec_lo
	v_cmpx_ne_u16_e32 0x80, v74
	s_cbranch_execz .LBB192_201
; %bb.196:                              ;   in Loop: Header=BB192_13 Depth=1
	v_and_b32_sdwa v75, v74, v44 dst_sel:DWORD dst_unused:UNUSED_PAD src0_sel:WORD_0 src1_sel:DWORD
	v_mov_b32_e32 v73, 0x7f800001
	s_mov_b32 s51, exec_lo
	v_cmpx_ne_u32_e32 0x7f, v75
	s_cbranch_execz .LBB192_200
; %bb.197:                              ;   in Loop: Header=BB192_13 Depth=1
	v_and_b32_sdwa v27, v74, v45 dst_sel:DWORD dst_unused:UNUSED_PAD src0_sel:WORD_0 src1_sel:DWORD
	v_lshrrev_b32_e32 v73, 3, v75
	s_mov_b32 s52, exec_lo
	v_cmpx_gt_u32_e32 8, v75
; %bb.198:                              ;   in Loop: Header=BB192_13 Depth=1
	v_ffbh_u32_e32 v73, v27
	v_min_u32_e32 v73, 32, v73
	v_subrev_nc_u32_e32 v75, 28, v73
	v_sub_nc_u32_e32 v73, 29, v73
	v_lshlrev_b64 v[75:76], v75, v[27:28]
	v_and_b32_e32 v27, 7, v75
; %bb.199:                              ;   in Loop: Header=BB192_13 Depth=1
	s_or_b32 exec_lo, exec_lo, s52
	v_lshlrev_b32_e32 v74, 24, v74
	v_lshlrev_b32_e32 v27, 20, v27
	v_lshl_add_u32 v73, v73, 23, 0x3c000000
	v_and_b32_e32 v74, 0x80000000, v74
	v_or3_b32 v73, v27, v74, v73
.LBB192_200:                            ;   in Loop: Header=BB192_13 Depth=1
	s_or_b32 exec_lo, exec_lo, s51
.LBB192_201:                            ;   in Loop: Header=BB192_13 Depth=1
	s_or_b32 exec_lo, exec_lo, s50
.LBB192_202:                            ;   in Loop: Header=BB192_13 Depth=1
	s_or_b32 exec_lo, exec_lo, s49
	global_load_ubyte v33, v[33:34], off offset:652
	s_mov_b32 s49, exec_lo
	s_waitcnt vmcnt(0)
	v_cmpx_ne_u16_e32 0, v33
	s_cbranch_execz .LBB192_210
; %bb.203:                              ;   in Loop: Header=BB192_13 Depth=1
	v_bfrev_b32_e32 v72, 1
	s_mov_b32 s50, exec_lo
	v_cmpx_ne_u16_e32 0x80, v33
	s_cbranch_execz .LBB192_209
; %bb.204:                              ;   in Loop: Header=BB192_13 Depth=1
	v_and_b32_sdwa v74, v33, v44 dst_sel:DWORD dst_unused:UNUSED_PAD src0_sel:WORD_0 src1_sel:DWORD
	v_mov_b32_e32 v72, 0x7f800001
	s_mov_b32 s51, exec_lo
	v_cmpx_ne_u32_e32 0x7f, v74
	s_cbranch_execz .LBB192_208
; %bb.205:                              ;   in Loop: Header=BB192_13 Depth=1
	v_and_b32_sdwa v27, v33, v45 dst_sel:DWORD dst_unused:UNUSED_PAD src0_sel:WORD_0 src1_sel:DWORD
	v_lshrrev_b32_e32 v34, 3, v74
	s_mov_b32 s52, exec_lo
	v_cmpx_gt_u32_e32 8, v74
; %bb.206:                              ;   in Loop: Header=BB192_13 Depth=1
	v_ffbh_u32_e32 v34, v27
	v_min_u32_e32 v34, 32, v34
	v_subrev_nc_u32_e32 v72, 28, v34
	v_sub_nc_u32_e32 v34, 29, v34
	v_lshlrev_b64 v[74:75], v72, v[27:28]
	v_and_b32_e32 v27, 7, v74
; %bb.207:                              ;   in Loop: Header=BB192_13 Depth=1
	s_or_b32 exec_lo, exec_lo, s52
	v_lshlrev_b32_e32 v33, 24, v33
	v_lshlrev_b32_e32 v27, 20, v27
	v_lshl_add_u32 v34, v34, 23, 0x3c000000
	v_and_b32_e32 v33, 0x80000000, v33
	v_or3_b32 v72, v27, v33, v34
.LBB192_208:                            ;   in Loop: Header=BB192_13 Depth=1
	s_or_b32 exec_lo, exec_lo, s51
.LBB192_209:                            ;   in Loop: Header=BB192_13 Depth=1
	s_or_b32 exec_lo, exec_lo, s50
.LBB192_210:                            ;   in Loop: Header=BB192_13 Depth=1
	s_or_b32 exec_lo, exec_lo, s49
	s_waitcnt lgkmcnt(0)
	v_mul_f32_e32 v27, s48, v50
	v_mul_f32_e32 v33, s48, v51
	;; [unrolled: 1-line block ×4, first 2 shown]
	v_fmac_f32_e32 v22, v21, v33
	v_mul_f32_e32 v21, s48, v52
	v_fmac_f32_e32 v22, v23, v27
	v_mul_f32_e32 v23, s48, v55
	;; [unrolled: 2-line block ×19, first 2 shown]
	v_fmac_f32_e32 v22, v1, v5
	v_xor_b32_e32 v1, 2, v38
	v_mul_f32_e32 v5, s48, v73
	v_fmac_f32_e32 v22, v2, v6
	v_cmp_gt_i32_e64 s2, 32, v1
	v_mul_f32_e32 v2, s48, v72
	v_fmac_f32_e32 v22, v3, v5
	v_cndmask_b32_e64 v1, v38, v1, s2
	v_fmac_f32_e32 v22, v4, v2
	v_lshlrev_b32_e32 v1, 2, v1
	v_xor_b32_e32 v2, 1, v38
	ds_bpermute_b32 v1, v1, v22
	v_cmp_gt_i32_e64 s2, 32, v2
	v_cndmask_b32_e64 v2, v38, v2, s2
	v_lshlrev_b32_e32 v2, 2, v2
	s_waitcnt lgkmcnt(0)
	v_add_f32_e32 v1, v22, v1
	ds_bpermute_b32 v2, v2, v1
	s_and_saveexec_b32 s48, vcc_lo
	s_cbranch_execz .LBB192_11
; %bb.211:                              ;   in Loop: Header=BB192_13 Depth=1
	v_add_nc_u32_e32 v3, v46, v42
	s_waitcnt lgkmcnt(0)
	v_add_f32_e32 v1, v1, v2
	v_cvt_f32_i32_e32 v3, v3
	v_mul_f32_e32 v3, s43, v3
	v_cndmask_b32_e64 v2, 0, v3, s1
	v_max_f32_e32 v3, v39, v39
	v_fmac_f32_e32 v2, s41, v1
	v_add_nc_u32_e32 v1, v40, v42
	v_max_f32_e32 v3, v3, v2
	v_cmp_gt_i32_e64 s2, s31, v1
	v_cndmask_b32_e64 v1, 0, v2, s2
	v_cndmask_b32_e64 v39, v39, v3, s2
	ds_write_b32 v47, v1
	s_branch .LBB192_11
.LBB192_212:
	s_or_b32 exec_lo, exec_lo, s46
.LBB192_213:
	s_or_b32 exec_lo, exec_lo, s45
	v_xor_b32_e32 v1, 16, v38
	v_xor_b32_e32 v3, 8, v38
	v_max_f32_e32 v5, v39, v39
	v_and_b32_e32 v27, 31, v0
	v_cmp_gt_i32_e32 vcc_lo, 32, v1
	v_cndmask_b32_e32 v1, v38, v1, vcc_lo
	v_cmp_gt_i32_e32 vcc_lo, 32, v3
	s_waitcnt lgkmcnt(0)
	v_lshlrev_b32_e32 v2, 2, v1
	v_cndmask_b32_e32 v3, v38, v3, vcc_lo
	ds_bpermute_b32 v1, v2, v39
	v_lshlrev_b32_e32 v4, 2, v3
	s_waitcnt lgkmcnt(0)
	v_max_f32_e32 v1, v1, v1
	v_max_f32_e32 v1, v5, v1
	v_xor_b32_e32 v5, 4, v38
	ds_bpermute_b32 v3, v4, v1
	v_cmp_gt_i32_e32 vcc_lo, 32, v5
	v_cndmask_b32_e32 v5, v38, v5, vcc_lo
	v_cmp_eq_u32_e32 vcc_lo, 0, v27
	v_lshlrev_b32_e32 v7, 2, v5
	v_lshlrev_b32_e32 v5, 2, v35
	s_waitcnt lgkmcnt(0)
	v_max_f32_e32 v3, v3, v3
	v_max_f32_e32 v1, v1, v3
	ds_bpermute_b32 v3, v7, v1
	s_and_saveexec_b32 s1, vcc_lo
	s_cbranch_execz .LBB192_215
; %bb.214:
	s_waitcnt lgkmcnt(0)
	v_max_f32_e32 v3, v3, v3
	v_max_f32_e32 v1, v1, v1
	v_max_f32_e32 v1, v1, v3
	ds_write_b32 v5, v1 offset:384
.LBB192_215:
	s_or_b32 exec_lo, exec_lo, s1
	v_cmp_gt_u32_e64 s1, 4, v27
	v_mov_b32_e32 v1, 0xff7fffff
	v_lshlrev_b32_e32 v6, 2, v27
	s_waitcnt lgkmcnt(0)
	s_barrier
	buffer_gl0_inv
	s_and_saveexec_b32 s2, s1
; %bb.216:
	ds_read_b32 v1, v6 offset:384
; %bb.217:
	s_or_b32 exec_lo, exec_lo, s2
	v_xor_b32_e32 v3, 2, v38
	v_xor_b32_e32 v9, 1, v38
	v_cmp_gt_i32_e64 s2, 32, v3
	v_cndmask_b32_e64 v3, v38, v3, s2
	v_cmp_gt_i32_e64 s2, 32, v9
	v_lshlrev_b32_e32 v8, 2, v3
	v_cndmask_b32_e64 v9, v38, v9, s2
	s_sub_i32 s2, s20, s44
	s_lshl_b32 s2, s2, 3
	s_waitcnt lgkmcnt(0)
	ds_bpermute_b32 v3, v8, v1
	v_max_f32_e32 v1, v1, v1
	v_lshlrev_b32_e32 v28, 2, v9
	v_mov_b32_e32 v9, 0
	s_add_i32 s2, s2, s42
	s_min_i32 s2, s2, s31
	s_sub_i32 s4, s2, s42
	v_cmp_gt_i32_e64 s2, s4, v0
	s_waitcnt lgkmcnt(0)
	v_max_f32_e32 v3, v3, v3
	v_max_f32_e32 v1, v1, v3
	ds_bpermute_b32 v3, v28, v1
	s_waitcnt lgkmcnt(0)
	v_max_f32_e32 v3, v3, v3
	v_max_f32_e32 v1, v1, v3
	v_lshl_add_u32 v3, v0, 2, 0x1a0
	ds_bpermute_b32 v1, v9, v1
	s_and_saveexec_b32 s5, s2
	s_cbranch_execz .LBB192_221
; %bb.218:
	v_lshl_add_u32 v10, v0, 2, 0x1a0
	v_mov_b32_e32 v9, 0
	v_mov_b32_e32 v11, v0
	s_mov_b32 s12, 0
	.p2align	6
.LBB192_219:                            ; =>This Inner Loop Header: Depth=1
	ds_read_b32 v12, v10
	v_add_nc_u32_e32 v11, 0x80, v11
	v_cmp_le_i32_e64 s3, s4, v11
	s_or_b32 s12, s3, s12
	s_waitcnt lgkmcnt(0)
	v_sub_f32_e32 v12, v12, v1
	v_mul_f32_e32 v12, 0x3fb8aa3b, v12
	v_exp_f32_e32 v12, v12
	ds_write_b32 v10, v12
	v_add_f32_e32 v9, v9, v12
	v_add_nc_u32_e32 v10, 0x200, v10
	s_andn2_b32 exec_lo, exec_lo, s12
	s_cbranch_execnz .LBB192_219
; %bb.220:
	s_or_b32 exec_lo, exec_lo, s12
.LBB192_221:
	s_or_b32 exec_lo, exec_lo, s5
	ds_bpermute_b32 v2, v2, v9
	s_waitcnt lgkmcnt(0)
	v_add_f32_e32 v2, v9, v2
	ds_bpermute_b32 v4, v4, v2
	s_waitcnt lgkmcnt(0)
	v_add_f32_e32 v2, v2, v4
	;; [unrolled: 3-line block ×5, first 2 shown]
	s_and_saveexec_b32 s3, vcc_lo
; %bb.222:
	ds_write_b32 v5, v2 offset:400
; %bb.223:
	s_or_b32 exec_lo, exec_lo, s3
	s_waitcnt lgkmcnt(0)
	s_barrier
	buffer_gl0_inv
	s_and_saveexec_b32 s3, s1
; %bb.224:
	ds_read_b32 v2, v6 offset:400
; %bb.225:
	s_or_b32 exec_lo, exec_lo, s3
	s_waitcnt lgkmcnt(0)
	ds_bpermute_b32 v4, v8, v2
	s_waitcnt lgkmcnt(0)
	v_add_f32_e32 v2, v2, v4
	ds_bpermute_b32 v4, v28, v2
	s_waitcnt lgkmcnt(0)
	v_add_f32_e32 v2, v2, v4
	v_mov_b32_e32 v4, 0
	ds_bpermute_b32 v2, v4, v2
	s_and_saveexec_b32 s1, s2
	s_cbranch_execz .LBB192_228
; %bb.226:
	s_waitcnt lgkmcnt(0)
	v_add_f32_e32 v4, 0x358637bd, v2
	s_mov_b32 s2, 0
	v_div_scale_f32 v5, null, v4, v4, 1.0
	v_div_scale_f32 v8, vcc_lo, 1.0, v4, 1.0
	v_rcp_f32_e32 v6, v5
	v_fma_f32 v7, -v5, v6, 1.0
	v_fmac_f32_e32 v6, v7, v6
	v_mul_f32_e32 v7, v8, v6
	v_fma_f32 v9, -v5, v7, v8
	v_fmac_f32_e32 v7, v9, v6
	v_fma_f32 v5, -v5, v7, v8
	v_div_fmas_f32 v5, v5, v6, v7
	v_div_fixup_f32 v4, v5, v4, 1.0
	v_mov_b32_e32 v5, v0
.LBB192_227:                            ; =>This Inner Loop Header: Depth=1
	ds_read_b32 v6, v3
	v_add_nc_u32_e32 v5, 0x80, v5
	v_cmp_le_i32_e32 vcc_lo, s4, v5
	s_or_b32 s2, vcc_lo, s2
	s_waitcnt lgkmcnt(0)
	v_mul_f32_e32 v6, v4, v6
	ds_write_b32 v3, v6
	v_add_nc_u32_e32 v3, 0x200, v3
	s_andn2_b32 exec_lo, exec_lo, s2
	s_cbranch_execnz .LBB192_227
.LBB192_228:
	s_or_b32 exec_lo, exec_lo, s1
	s_mul_i32 s1, s7, s30
	s_waitcnt lgkmcnt(0)
	s_mul_i32 s2, s1, s9
	s_mov_b32 s1, exec_lo
	s_barrier
	buffer_gl0_inv
	v_cmpx_eq_u32_e32 0, v0
	s_cbranch_execz .LBB192_230
; %bb.229:
	s_ashr_i32 s3, s2, 31
	s_mul_i32 s12, s7, s6
	s_lshl_b64 s[4:5], s[2:3], 2
	v_mov_b32_e32 v3, 0
	s_add_u32 s3, s26, s4
	s_addc_u32 s6, s27, s5
	s_ashr_i32 s13, s12, 31
	s_lshl_b64 s[12:13], s[12:13], 2
	s_add_u32 s3, s3, s12
	s_addc_u32 s6, s6, s13
	s_ashr_i32 s9, s8, 31
	s_lshl_b64 s[26:27], s[8:9], 2
	s_add_u32 s42, s3, s26
	s_addc_u32 s43, s6, s27
	s_add_u32 s3, s24, s4
	s_addc_u32 s4, s25, s5
	;; [unrolled: 2-line block ×4, first 2 shown]
	global_store_dword v3, v1, s[42:43]
	global_store_dword v3, v2, s[4:5]
.LBB192_230:
	s_or_b32 exec_lo, exec_lo, s1
	v_mov_b32_e32 v39, 0
	v_and_b32_e32 v29, 1, v0
	v_mov_b32_e32 v34, 0
	v_mov_b32_e32 v33, 0
	;; [unrolled: 1-line block ×5, first 2 shown]
	s_and_saveexec_b32 s1, s0
	s_cbranch_execz .LBB192_440
; %bb.231:
	s_sub_i32 s3, s40, s21
	s_ashr_i32 s0, s18, 31
	s_add_u32 s5, s38, s18
	s_addc_u32 s0, s39, s0
	s_abs_i32 s4, s22
	v_and_b32_e32 v4, 0x7c, v37
	v_cvt_f32_u32_e32 v1, s4
	s_sub_i32 s6, 0, s4
	v_lshlrev_b32_e32 v5, 4, v29
	s_lshl_b64 s[12:13], s[36:37], 2
	v_add_co_u32 v11, s5, s5, v4
	v_rcp_iflag_f32_e32 v3, v1
	v_lshlrev_b64 v[1:2], 2, v[25:26]
	s_add_i32 s33, s33, -1
	v_lshl_or_b32 v5, v35, 5, v5
	v_add_co_ci_u32_e64 v12, null, s0, 0, s5
	s_add_u32 s0, s34, s12
	s_addc_u32 s5, s35, s13
	v_add_co_u32 v13, vcc_lo, s0, v1
	v_mul_f32_e32 v3, 0x4f7ffffe, v3
	v_and_b32_e32 v38, 4, v37
	v_mov_b32_e32 v6, 0
	v_mov_b32_e32 v26, 0x80
	v_bfrev_b32_e32 v8, 1
	v_cvt_u32_f32_e32 v3, v3
	v_mov_b32_e32 v37, 0xffff
	v_mov_b32_e32 v10, 0x7f800001
	;; [unrolled: 1-line block ×4, first 2 shown]
	v_mul_lo_u32 v7, s6, v3
	v_mov_b32_e32 v42, 24
	v_mov_b32_e32 v30, 0
	;; [unrolled: 1-line block ×6, first 2 shown]
	v_add_co_ci_u32_e64 v14, null, s5, v2, vcc_lo
	v_mul_hi_u32 v4, v3, v7
	v_add_nc_u32_e32 v43, 0x1a0, v5
	v_mov_b32_e32 v39, 0
	s_mov_b32 s6, s17
	s_mov_b32 s5, 0
	v_add_nc_u32_e32 v44, v3, v4
	s_branch .LBB192_234
.LBB192_232:                            ;   in Loop: Header=BB192_234 Depth=1
	s_or_b32 exec_lo, exec_lo, s0
	v_mul_f32_e32 v16, v1, v66
	v_mul_f32_e32 v17, v1, v64
	;; [unrolled: 1-line block ×6, first 2 shown]
	v_fmac_f32_e32 v16, v2, v65
	v_fmac_f32_e32 v17, v2, v63
	;; [unrolled: 1-line block ×18, first 2 shown]
	v_add_f32_e32 v31, v31, v16
	v_add_f32_e32 v32, v32, v17
	;; [unrolled: 1-line block ×6, first 2 shown]
.LBB192_233:                            ;   in Loop: Header=BB192_234 Depth=1
	s_or_b32 exec_lo, exec_lo, s9
	v_add_nc_u32_e32 v25, 4, v25
	v_add_co_u32 v13, s0, v13, 16
	v_add_co_ci_u32_e64 v14, null, 0, v14, s0
	v_cmp_le_i32_e32 vcc_lo, s20, v25
	v_add_nc_u32_e32 v36, 32, v36
	v_add_nc_u32_e32 v43, 0x80, v43
	s_or_b32 s5, vcc_lo, s5
	s_andn2_b32 exec_lo, exec_lo, s5
	s_cbranch_execz .LBB192_439
.LBB192_234:                            ; =>This Inner Loop Header: Depth=1
	v_sub_nc_u32_e32 v1, 0, v36
	v_max_i32_e32 v1, v36, v1
	v_mul_hi_u32 v2, v1, s16
	v_mul_lo_u32 v3, v2, s11
	v_sub_nc_u32_e32 v1, v1, v3
	v_add_nc_u32_e32 v3, 1, v2
	v_subrev_nc_u32_e32 v4, s11, v1
	v_cmp_le_u32_e32 vcc_lo, s11, v1
	v_cndmask_b32_e32 v2, v2, v3, vcc_lo
	v_cndmask_b32_e32 v1, v1, v4, vcc_lo
	v_ashrrev_i32_e32 v3, 31, v36
	v_add_nc_u32_e32 v4, 1, v2
	v_cmp_le_u32_e32 vcc_lo, s11, v1
	v_xor_b32_e32 v3, s23, v3
	v_cndmask_b32_e32 v1, v2, v4, vcc_lo
	v_xor_b32_e32 v1, v1, v3
	v_sub_nc_u32_e32 v1, v1, v3
	v_add_nc_u32_e32 v2, s19, v1
	v_cmp_lt_i32_e64 s0, s3, v1
	v_sub_nc_u32_e32 v3, 0, v2
	v_max_i32_e32 v3, v2, v3
	v_ashrrev_i32_e32 v2, 31, v2
	v_mul_hi_u32 v4, v3, v44
	v_mul_lo_u32 v4, v4, s4
	v_sub_nc_u32_e32 v3, v3, v4
	v_subrev_nc_u32_e32 v4, s4, v3
	v_cmp_le_u32_e32 vcc_lo, s4, v3
	v_cndmask_b32_e32 v3, v3, v4, vcc_lo
	v_subrev_nc_u32_e32 v4, s4, v3
	v_cmp_le_u32_e32 vcc_lo, s4, v3
	v_cndmask_b32_e32 v3, v3, v4, vcc_lo
	v_xor_b32_e32 v3, v3, v2
	v_sub_nc_u32_e32 v2, v3, v2
	v_cmp_eq_u32_e32 vcc_lo, 0, v2
	s_or_b32 s0, vcc_lo, s0
	s_and_saveexec_b32 s9, s0
	s_cbranch_execz .LBB192_233
; %bb.235:                              ;   in Loop: Header=BB192_234 Depth=1
	global_load_dword v1, v[13:14], off
	s_load_dword s12, s[14:15], 0x0
	v_mov_b32_e32 v19, 0
	v_mov_b32_e32 v17, 0
	;; [unrolled: 1-line block ×4, first 2 shown]
	s_waitcnt vmcnt(0)
	v_mad_i64_i32 v[15:16], null, v1, s6, v[11:12]
	ds_read_b128 v[1:4], v43
	global_load_dword v45, v[15:16], off
	s_waitcnt vmcnt(0)
	v_cmp_ne_u16_sdwa s13, v45, v6 src0_sel:BYTE_0 src1_sel:DWORD
	s_and_saveexec_b32 s0, s13
	s_cbranch_execz .LBB192_243
; %bb.236:                              ;   in Loop: Header=BB192_234 Depth=1
	v_bfrev_b32_e32 v17, 1
	v_mov_b32_e32 v18, 0
	v_cmp_ne_u16_sdwa s17, v45, v26 src0_sel:BYTE_0 src1_sel:DWORD
	s_and_saveexec_b32 s13, s17
	s_cbranch_execz .LBB192_242
; %bb.237:                              ;   in Loop: Header=BB192_234 Depth=1
	v_mov_b32_e32 v17, 0x7f800001
	v_and_b32_e32 v9, 0x7f, v45
	v_mov_b32_e32 v18, 0
	s_mov_b32 s17, exec_lo
	v_cmpx_ne_u32_e32 0x7f, v9
	s_cbranch_execz .LBB192_241
; %bb.238:                              ;   in Loop: Header=BB192_234 Depth=1
	v_and_b32_e32 v5, 7, v45
	v_lshrrev_b32_e32 v7, 3, v9
	s_mov_b32 s18, exec_lo
	v_cmpx_gt_u32_e32 8, v9
; %bb.239:                              ;   in Loop: Header=BB192_234 Depth=1
	v_ffbh_u32_e32 v7, v5
	v_min_u32_e32 v7, 32, v7
	v_subrev_nc_u32_e32 v9, 28, v7
	v_sub_nc_u32_e32 v7, 29, v7
	v_lshlrev_b64 v[17:18], v9, v[5:6]
	v_and_b32_e32 v5, 7, v17
; %bb.240:                              ;   in Loop: Header=BB192_234 Depth=1
	s_or_b32 exec_lo, exec_lo, s18
	v_lshlrev_b32_e32 v9, 24, v45
	v_lshlrev_b32_e32 v5, 20, v5
	v_lshl_add_u32 v7, v7, 23, 0x3c000000
	v_and_b32_e32 v9, 0x80000000, v9
	v_or3_b32 v5, v5, v9, v7
	v_mov_b32_e32 v18, v6
	v_mov_b32_e32 v17, v5
.LBB192_241:                            ;   in Loop: Header=BB192_234 Depth=1
	s_or_b32 exec_lo, exec_lo, s17
.LBB192_242:                            ;   in Loop: Header=BB192_234 Depth=1
	s_or_b32 exec_lo, exec_lo, s13
.LBB192_243:                            ;   in Loop: Header=BB192_234 Depth=1
	s_or_b32 exec_lo, exec_lo, s0
	v_cmp_ne_u16_sdwa s13, v45, v6 src0_sel:BYTE_1 src1_sel:DWORD
	s_and_saveexec_b32 s0, s13
	s_cbranch_execz .LBB192_251
; %bb.244:                              ;   in Loop: Header=BB192_234 Depth=1
	v_mov_b32_e32 v7, v6
	v_mov_b32_e32 v20, v8
	v_cmp_ne_u16_sdwa s17, v45, v26 src0_sel:BYTE_1 src1_sel:DWORD
	v_mov_b32_e32 v19, v7
	s_and_saveexec_b32 s13, s17
	s_cbranch_execz .LBB192_250
; %bb.245:                              ;   in Loop: Header=BB192_234 Depth=1
	v_and_b32_sdwa v5, v37, v45 dst_sel:DWORD dst_unused:UNUSED_PAD src0_sel:DWORD src1_sel:BYTE_1
	v_mov_b32_e32 v9, v6
	v_mov_b32_e32 v20, v10
	s_mov_b32 s17, exec_lo
	v_and_b32_e32 v21, 0x7f, v5
	v_mov_b32_e32 v19, v9
	v_cmpx_ne_u32_e32 0x7f, v21
	s_cbranch_execz .LBB192_249
; %bb.246:                              ;   in Loop: Header=BB192_234 Depth=1
	v_and_b32_e32 v5, 7, v5
	v_lshrrev_b32_e32 v7, 3, v21
	s_mov_b32 s18, exec_lo
	v_cmpx_gt_u32_e32 8, v21
; %bb.247:                              ;   in Loop: Header=BB192_234 Depth=1
	v_ffbh_u32_e32 v7, v5
	v_min_u32_e32 v7, 32, v7
	v_subrev_nc_u32_e32 v9, 28, v7
	v_sub_nc_u32_e32 v7, 29, v7
	v_lshlrev_b64 v[19:20], v9, v[5:6]
	v_and_b32_e32 v5, 7, v19
; %bb.248:                              ;   in Loop: Header=BB192_234 Depth=1
	s_or_b32 exec_lo, exec_lo, s18
	v_lshlrev_b32_e32 v9, 16, v45
	v_lshlrev_b32_e32 v5, 20, v5
	v_lshl_add_u32 v7, v7, 23, 0x3c000000
	v_mov_b32_e32 v19, v6
	v_and_b32_e32 v9, 0x80000000, v9
	v_or3_b32 v20, v5, v9, v7
.LBB192_249:                            ;   in Loop: Header=BB192_234 Depth=1
	s_or_b32 exec_lo, exec_lo, s17
.LBB192_250:                            ;   in Loop: Header=BB192_234 Depth=1
	s_or_b32 exec_lo, exec_lo, s13
.LBB192_251:                            ;   in Loop: Header=BB192_234 Depth=1
	s_or_b32 exec_lo, exec_lo, s0
	v_mov_b32_e32 v23, 0
	v_mov_b32_e32 v21, 0
	v_and_b32_sdwa v5, v45, v40 dst_sel:DWORD dst_unused:UNUSED_PAD src0_sel:WORD_1 src1_sel:DWORD
	v_mov_b32_e32 v24, 0
	v_mov_b32_e32 v22, 0
	s_mov_b32 s0, exec_lo
	v_cmpx_ne_u16_e32 0, v5
	s_cbranch_execz .LBB192_259
; %bb.252:                              ;   in Loop: Header=BB192_234 Depth=1
	v_bfrev_b32_e32 v21, 1
	v_mov_b32_e32 v22, 0
	s_mov_b32 s13, exec_lo
	v_cmpx_ne_u16_e32 0x80, v5
	s_cbranch_execz .LBB192_258
; %bb.253:                              ;   in Loop: Header=BB192_234 Depth=1
	v_mov_b32_e32 v21, 0x7f800001
	v_bfe_u32 v9, v45, 16, 7
	v_mov_b32_e32 v22, 0
	s_mov_b32 s17, exec_lo
	v_cmpx_ne_u32_e32 0x7f, v9
	s_cbranch_execz .LBB192_257
; %bb.254:                              ;   in Loop: Header=BB192_234 Depth=1
	v_and_b32_sdwa v5, v45, v41 dst_sel:DWORD dst_unused:UNUSED_PAD src0_sel:WORD_1 src1_sel:DWORD
	v_lshrrev_b32_e32 v7, 3, v9
	s_mov_b32 s18, exec_lo
	v_cmpx_gt_u32_e32 8, v9
; %bb.255:                              ;   in Loop: Header=BB192_234 Depth=1
	v_ffbh_u32_e32 v7, v5
	v_min_u32_e32 v7, 32, v7
	v_subrev_nc_u32_e32 v9, 28, v7
	v_sub_nc_u32_e32 v7, 29, v7
	v_lshlrev_b64 v[21:22], v9, v[5:6]
	v_and_b32_e32 v5, 7, v21
; %bb.256:                              ;   in Loop: Header=BB192_234 Depth=1
	s_or_b32 exec_lo, exec_lo, s18
	v_lshlrev_b32_sdwa v9, v42, v45 dst_sel:DWORD dst_unused:UNUSED_PAD src0_sel:DWORD src1_sel:WORD_1
	v_lshlrev_b32_e32 v5, 20, v5
	v_lshl_add_u32 v7, v7, 23, 0x3c000000
	v_and_b32_e32 v9, 0x80000000, v9
	v_or3_b32 v5, v5, v9, v7
	v_mov_b32_e32 v22, v6
	v_mov_b32_e32 v21, v5
.LBB192_257:                            ;   in Loop: Header=BB192_234 Depth=1
	s_or_b32 exec_lo, exec_lo, s17
.LBB192_258:                            ;   in Loop: Header=BB192_234 Depth=1
	s_or_b32 exec_lo, exec_lo, s13
.LBB192_259:                            ;   in Loop: Header=BB192_234 Depth=1
	s_or_b32 exec_lo, exec_lo, s0
	s_mov_b32 s0, exec_lo
	v_cmpx_lt_u32_e32 0xffffff, v45
	s_cbranch_execz .LBB192_267
; %bb.260:                              ;   in Loop: Header=BB192_234 Depth=1
	v_mov_b32_e32 v7, v6
	v_mov_b32_e32 v24, v8
	v_cmp_ne_u32_sdwa s17, v45, v26 src0_sel:BYTE_3 src1_sel:DWORD
	v_mov_b32_e32 v23, v7
	s_and_saveexec_b32 s13, s17
	s_cbranch_execz .LBB192_266
; %bb.261:                              ;   in Loop: Header=BB192_234 Depth=1
	v_mov_b32_e32 v9, v6
	v_mov_b32_e32 v24, v10
	v_bfe_u32 v46, v45, 24, 7
	s_mov_b32 s17, exec_lo
	v_mov_b32_e32 v23, v9
	v_cmpx_ne_u32_e32 0x7f, v46
	s_cbranch_execz .LBB192_265
; %bb.262:                              ;   in Loop: Header=BB192_234 Depth=1
	v_and_b32_sdwa v5, v45, v41 dst_sel:DWORD dst_unused:UNUSED_PAD src0_sel:BYTE_3 src1_sel:DWORD
	v_lshrrev_b32_e32 v7, 3, v46
	s_mov_b32 s18, exec_lo
	v_cmpx_gt_u32_e32 8, v46
; %bb.263:                              ;   in Loop: Header=BB192_234 Depth=1
	v_ffbh_u32_e32 v7, v5
	v_min_u32_e32 v7, 32, v7
	v_subrev_nc_u32_e32 v9, 28, v7
	v_sub_nc_u32_e32 v7, 29, v7
	v_lshlrev_b64 v[23:24], v9, v[5:6]
	v_and_b32_e32 v5, 7, v23
; %bb.264:                              ;   in Loop: Header=BB192_234 Depth=1
	s_or_b32 exec_lo, exec_lo, s18
	v_lshlrev_b32_sdwa v9, v42, v45 dst_sel:DWORD dst_unused:UNUSED_PAD src0_sel:DWORD src1_sel:BYTE_3
	v_lshlrev_b32_e32 v5, 20, v5
	v_lshl_add_u32 v7, v7, 23, 0x3c000000
	v_mov_b32_e32 v23, v6
	v_and_b32_e32 v9, 0x80000000, v9
	v_or3_b32 v24, v5, v9, v7
.LBB192_265:                            ;   in Loop: Header=BB192_234 Depth=1
	s_or_b32 exec_lo, exec_lo, s17
.LBB192_266:                            ;   in Loop: Header=BB192_234 Depth=1
	s_or_b32 exec_lo, exec_lo, s13
.LBB192_267:                            ;   in Loop: Header=BB192_234 Depth=1
	s_or_b32 exec_lo, exec_lo, s0
	v_add_nc_u32_e32 v49, v38, v36
	v_or_b32_e32 v5, v20, v18
	v_or_b32_e32 v7, v19, v17
	;; [unrolled: 1-line block ×4, first 2 shown]
	v_cmp_eq_u32_e32 vcc_lo, s33, v25
	s_waitcnt lgkmcnt(0)
	v_mul_f32_e32 v47, s12, v5
	v_mul_f32_e32 v48, s12, v7
	;; [unrolled: 1-line block ×4, first 2 shown]
	v_add_nc_u32_e32 v52, 1, v49
	v_add_nc_u32_e32 v51, 2, v49
	;; [unrolled: 1-line block ×3, first 2 shown]
	s_and_saveexec_b32 s13, vcc_lo
	s_cbranch_execz .LBB192_269
; %bb.268:                              ;   in Loop: Header=BB192_234 Depth=1
	v_cmp_gt_i32_e64 s0, s31, v49
	v_cndmask_b32_e64 v48, 0, v48, s0
	v_cmp_gt_i32_e64 s0, s31, v52
	v_cndmask_b32_e64 v47, 0, v47, s0
	;; [unrolled: 2-line block ×4, first 2 shown]
.LBB192_269:                            ;   in Loop: Header=BB192_234 Depth=1
	s_or_b32 exec_lo, exec_lo, s13
	global_load_dword v53, v[15:16], off offset:128
	v_mov_b32_e32 v19, 0
	v_mov_b32_e32 v17, 0
	;; [unrolled: 1-line block ×4, first 2 shown]
	s_waitcnt vmcnt(0)
	v_cmp_ne_u16_sdwa s0, v53, v6 src0_sel:BYTE_0 src1_sel:DWORD
	s_and_saveexec_b32 s13, s0
	s_cbranch_execz .LBB192_277
; %bb.270:                              ;   in Loop: Header=BB192_234 Depth=1
	v_bfrev_b32_e32 v17, 1
	v_mov_b32_e32 v18, 0
	v_cmp_ne_u16_sdwa s0, v53, v26 src0_sel:BYTE_0 src1_sel:DWORD
	s_and_saveexec_b32 s17, s0
	s_cbranch_execz .LBB192_276
; %bb.271:                              ;   in Loop: Header=BB192_234 Depth=1
	v_mov_b32_e32 v17, 0x7f800001
	v_and_b32_e32 v9, 0x7f, v53
	v_mov_b32_e32 v18, 0
	s_mov_b32 s18, exec_lo
	v_cmpx_ne_u32_e32 0x7f, v9
	s_cbranch_execz .LBB192_275
; %bb.272:                              ;   in Loop: Header=BB192_234 Depth=1
	v_and_b32_e32 v5, 7, v53
	v_lshrrev_b32_e32 v7, 3, v9
	s_mov_b32 s21, exec_lo
	v_cmpx_gt_u32_e32 8, v9
; %bb.273:                              ;   in Loop: Header=BB192_234 Depth=1
	v_ffbh_u32_e32 v7, v5
	v_min_u32_e32 v7, 32, v7
	v_subrev_nc_u32_e32 v9, 28, v7
	v_sub_nc_u32_e32 v7, 29, v7
	v_lshlrev_b64 v[17:18], v9, v[5:6]
	v_and_b32_e32 v5, 7, v17
; %bb.274:                              ;   in Loop: Header=BB192_234 Depth=1
	s_or_b32 exec_lo, exec_lo, s21
	v_lshlrev_b32_e32 v9, 24, v53
	v_lshlrev_b32_e32 v5, 20, v5
	v_lshl_add_u32 v7, v7, 23, 0x3c000000
	v_and_b32_e32 v9, 0x80000000, v9
	v_or3_b32 v5, v5, v9, v7
	v_mov_b32_e32 v18, v6
	v_mov_b32_e32 v17, v5
.LBB192_275:                            ;   in Loop: Header=BB192_234 Depth=1
	s_or_b32 exec_lo, exec_lo, s18
.LBB192_276:                            ;   in Loop: Header=BB192_234 Depth=1
	s_or_b32 exec_lo, exec_lo, s17
.LBB192_277:                            ;   in Loop: Header=BB192_234 Depth=1
	s_or_b32 exec_lo, exec_lo, s13
	v_cmp_ne_u16_sdwa s0, v53, v6 src0_sel:BYTE_1 src1_sel:DWORD
	s_and_saveexec_b32 s13, s0
	s_cbranch_execz .LBB192_285
; %bb.278:                              ;   in Loop: Header=BB192_234 Depth=1
	v_mov_b32_e32 v7, v6
	v_mov_b32_e32 v20, v8
	v_cmp_ne_u16_sdwa s0, v53, v26 src0_sel:BYTE_1 src1_sel:DWORD
	v_mov_b32_e32 v19, v7
	s_and_saveexec_b32 s17, s0
	s_cbranch_execz .LBB192_284
; %bb.279:                              ;   in Loop: Header=BB192_234 Depth=1
	v_and_b32_sdwa v5, v37, v53 dst_sel:DWORD dst_unused:UNUSED_PAD src0_sel:DWORD src1_sel:BYTE_1
	v_mov_b32_e32 v9, v6
	v_mov_b32_e32 v20, v10
	s_mov_b32 s18, exec_lo
	v_and_b32_e32 v21, 0x7f, v5
	v_mov_b32_e32 v19, v9
	v_cmpx_ne_u32_e32 0x7f, v21
	s_cbranch_execz .LBB192_283
; %bb.280:                              ;   in Loop: Header=BB192_234 Depth=1
	v_and_b32_e32 v5, 7, v5
	v_lshrrev_b32_e32 v7, 3, v21
	s_mov_b32 s21, exec_lo
	v_cmpx_gt_u32_e32 8, v21
; %bb.281:                              ;   in Loop: Header=BB192_234 Depth=1
	v_ffbh_u32_e32 v7, v5
	v_min_u32_e32 v7, 32, v7
	v_subrev_nc_u32_e32 v9, 28, v7
	v_sub_nc_u32_e32 v7, 29, v7
	v_lshlrev_b64 v[19:20], v9, v[5:6]
	v_and_b32_e32 v5, 7, v19
; %bb.282:                              ;   in Loop: Header=BB192_234 Depth=1
	s_or_b32 exec_lo, exec_lo, s21
	v_lshlrev_b32_e32 v9, 16, v53
	v_lshlrev_b32_e32 v5, 20, v5
	v_lshl_add_u32 v7, v7, 23, 0x3c000000
	v_mov_b32_e32 v19, v6
	v_and_b32_e32 v9, 0x80000000, v9
	v_or3_b32 v20, v5, v9, v7
.LBB192_283:                            ;   in Loop: Header=BB192_234 Depth=1
	s_or_b32 exec_lo, exec_lo, s18
.LBB192_284:                            ;   in Loop: Header=BB192_234 Depth=1
	s_or_b32 exec_lo, exec_lo, s17
.LBB192_285:                            ;   in Loop: Header=BB192_234 Depth=1
	s_or_b32 exec_lo, exec_lo, s13
	v_mov_b32_e32 v23, 0
	v_mov_b32_e32 v21, 0
	v_and_b32_sdwa v5, v53, v40 dst_sel:DWORD dst_unused:UNUSED_PAD src0_sel:WORD_1 src1_sel:DWORD
	v_mov_b32_e32 v24, 0
	v_mov_b32_e32 v22, 0
	s_mov_b32 s13, exec_lo
	v_cmpx_ne_u16_e32 0, v5
	s_cbranch_execz .LBB192_293
; %bb.286:                              ;   in Loop: Header=BB192_234 Depth=1
	v_bfrev_b32_e32 v21, 1
	v_mov_b32_e32 v22, 0
	s_mov_b32 s17, exec_lo
	v_cmpx_ne_u16_e32 0x80, v5
	s_cbranch_execz .LBB192_292
; %bb.287:                              ;   in Loop: Header=BB192_234 Depth=1
	v_mov_b32_e32 v21, 0x7f800001
	v_bfe_u32 v9, v53, 16, 7
	v_mov_b32_e32 v22, 0
	s_mov_b32 s18, exec_lo
	v_cmpx_ne_u32_e32 0x7f, v9
	s_cbranch_execz .LBB192_291
; %bb.288:                              ;   in Loop: Header=BB192_234 Depth=1
	v_and_b32_sdwa v5, v53, v41 dst_sel:DWORD dst_unused:UNUSED_PAD src0_sel:WORD_1 src1_sel:DWORD
	v_lshrrev_b32_e32 v7, 3, v9
	s_mov_b32 s21, exec_lo
	v_cmpx_gt_u32_e32 8, v9
; %bb.289:                              ;   in Loop: Header=BB192_234 Depth=1
	v_ffbh_u32_e32 v7, v5
	v_min_u32_e32 v7, 32, v7
	v_subrev_nc_u32_e32 v9, 28, v7
	v_sub_nc_u32_e32 v7, 29, v7
	v_lshlrev_b64 v[21:22], v9, v[5:6]
	v_and_b32_e32 v5, 7, v21
; %bb.290:                              ;   in Loop: Header=BB192_234 Depth=1
	s_or_b32 exec_lo, exec_lo, s21
	v_lshlrev_b32_sdwa v9, v42, v53 dst_sel:DWORD dst_unused:UNUSED_PAD src0_sel:DWORD src1_sel:WORD_1
	v_lshlrev_b32_e32 v5, 20, v5
	v_lshl_add_u32 v7, v7, 23, 0x3c000000
	v_and_b32_e32 v9, 0x80000000, v9
	v_or3_b32 v5, v5, v9, v7
	v_mov_b32_e32 v22, v6
	v_mov_b32_e32 v21, v5
.LBB192_291:                            ;   in Loop: Header=BB192_234 Depth=1
	s_or_b32 exec_lo, exec_lo, s18
.LBB192_292:                            ;   in Loop: Header=BB192_234 Depth=1
	s_or_b32 exec_lo, exec_lo, s17
.LBB192_293:                            ;   in Loop: Header=BB192_234 Depth=1
	s_or_b32 exec_lo, exec_lo, s13
	s_mov_b32 s13, exec_lo
	v_cmpx_lt_u32_e32 0xffffff, v53
	s_cbranch_execz .LBB192_301
; %bb.294:                              ;   in Loop: Header=BB192_234 Depth=1
	v_mov_b32_e32 v7, v6
	v_mov_b32_e32 v24, v8
	v_cmp_ne_u32_sdwa s0, v53, v26 src0_sel:BYTE_3 src1_sel:DWORD
	v_mov_b32_e32 v23, v7
	s_and_saveexec_b32 s17, s0
	s_cbranch_execz .LBB192_300
; %bb.295:                              ;   in Loop: Header=BB192_234 Depth=1
	v_mov_b32_e32 v9, v6
	v_mov_b32_e32 v24, v10
	v_bfe_u32 v54, v53, 24, 7
	s_mov_b32 s18, exec_lo
	v_mov_b32_e32 v23, v9
	v_cmpx_ne_u32_e32 0x7f, v54
	s_cbranch_execz .LBB192_299
; %bb.296:                              ;   in Loop: Header=BB192_234 Depth=1
	v_and_b32_sdwa v5, v53, v41 dst_sel:DWORD dst_unused:UNUSED_PAD src0_sel:BYTE_3 src1_sel:DWORD
	v_lshrrev_b32_e32 v7, 3, v54
	s_mov_b32 s21, exec_lo
	v_cmpx_gt_u32_e32 8, v54
; %bb.297:                              ;   in Loop: Header=BB192_234 Depth=1
	v_ffbh_u32_e32 v7, v5
	v_min_u32_e32 v7, 32, v7
	v_subrev_nc_u32_e32 v9, 28, v7
	v_sub_nc_u32_e32 v7, 29, v7
	v_lshlrev_b64 v[23:24], v9, v[5:6]
	v_and_b32_e32 v5, 7, v23
; %bb.298:                              ;   in Loop: Header=BB192_234 Depth=1
	s_or_b32 exec_lo, exec_lo, s21
	v_lshlrev_b32_sdwa v9, v42, v53 dst_sel:DWORD dst_unused:UNUSED_PAD src0_sel:DWORD src1_sel:BYTE_3
	v_lshlrev_b32_e32 v5, 20, v5
	v_lshl_add_u32 v7, v7, 23, 0x3c000000
	v_mov_b32_e32 v23, v6
	v_and_b32_e32 v9, 0x80000000, v9
	v_or3_b32 v24, v5, v9, v7
.LBB192_299:                            ;   in Loop: Header=BB192_234 Depth=1
	s_or_b32 exec_lo, exec_lo, s18
.LBB192_300:                            ;   in Loop: Header=BB192_234 Depth=1
	s_or_b32 exec_lo, exec_lo, s17
.LBB192_301:                            ;   in Loop: Header=BB192_234 Depth=1
	s_or_b32 exec_lo, exec_lo, s13
	v_or_b32_e32 v5, v20, v18
	v_or_b32_e32 v7, v19, v17
	;; [unrolled: 1-line block ×4, first 2 shown]
	s_mov_b32 s13, s12
	v_mul_f32_e32 v55, s13, v5
	v_mul_f32_e32 v56, s12, v7
	v_mul_f32_e32 v54, s12, v17
	v_mul_f32_e32 v53, s13, v9
	s_and_saveexec_b32 s17, vcc_lo
	s_cbranch_execz .LBB192_303
; %bb.302:                              ;   in Loop: Header=BB192_234 Depth=1
	v_cmp_gt_i32_e64 s0, s31, v49
	v_cndmask_b32_e64 v56, 0, v56, s0
	v_cmp_gt_i32_e64 s0, s31, v52
	v_cndmask_b32_e64 v55, 0, v55, s0
	;; [unrolled: 2-line block ×4, first 2 shown]
.LBB192_303:                            ;   in Loop: Header=BB192_234 Depth=1
	s_or_b32 exec_lo, exec_lo, s17
	global_load_dword v57, v[15:16], off offset:256
	v_mov_b32_e32 v19, 0
	v_mov_b32_e32 v17, 0
	;; [unrolled: 1-line block ×4, first 2 shown]
	s_waitcnt vmcnt(0)
	v_cmp_ne_u16_sdwa s0, v57, v6 src0_sel:BYTE_0 src1_sel:DWORD
	s_and_saveexec_b32 s17, s0
	s_cbranch_execz .LBB192_311
; %bb.304:                              ;   in Loop: Header=BB192_234 Depth=1
	v_bfrev_b32_e32 v17, 1
	v_mov_b32_e32 v18, 0
	v_cmp_ne_u16_sdwa s0, v57, v26 src0_sel:BYTE_0 src1_sel:DWORD
	s_and_saveexec_b32 s18, s0
	s_cbranch_execz .LBB192_310
; %bb.305:                              ;   in Loop: Header=BB192_234 Depth=1
	v_mov_b32_e32 v17, 0x7f800001
	v_and_b32_e32 v9, 0x7f, v57
	v_mov_b32_e32 v18, 0
	s_mov_b32 s21, exec_lo
	v_cmpx_ne_u32_e32 0x7f, v9
	s_cbranch_execz .LBB192_309
; %bb.306:                              ;   in Loop: Header=BB192_234 Depth=1
	v_and_b32_e32 v5, 7, v57
	v_lshrrev_b32_e32 v7, 3, v9
	s_mov_b32 s22, exec_lo
	v_cmpx_gt_u32_e32 8, v9
; %bb.307:                              ;   in Loop: Header=BB192_234 Depth=1
	v_ffbh_u32_e32 v7, v5
	v_min_u32_e32 v7, 32, v7
	v_subrev_nc_u32_e32 v9, 28, v7
	v_sub_nc_u32_e32 v7, 29, v7
	v_lshlrev_b64 v[17:18], v9, v[5:6]
	v_and_b32_e32 v5, 7, v17
; %bb.308:                              ;   in Loop: Header=BB192_234 Depth=1
	s_or_b32 exec_lo, exec_lo, s22
	v_lshlrev_b32_e32 v9, 24, v57
	v_lshlrev_b32_e32 v5, 20, v5
	v_lshl_add_u32 v7, v7, 23, 0x3c000000
	v_and_b32_e32 v9, 0x80000000, v9
	v_or3_b32 v5, v5, v9, v7
	v_mov_b32_e32 v18, v6
	v_mov_b32_e32 v17, v5
.LBB192_309:                            ;   in Loop: Header=BB192_234 Depth=1
	s_or_b32 exec_lo, exec_lo, s21
.LBB192_310:                            ;   in Loop: Header=BB192_234 Depth=1
	s_or_b32 exec_lo, exec_lo, s18
.LBB192_311:                            ;   in Loop: Header=BB192_234 Depth=1
	s_or_b32 exec_lo, exec_lo, s17
	v_cmp_ne_u16_sdwa s0, v57, v6 src0_sel:BYTE_1 src1_sel:DWORD
	s_and_saveexec_b32 s17, s0
	s_cbranch_execz .LBB192_319
; %bb.312:                              ;   in Loop: Header=BB192_234 Depth=1
	v_mov_b32_e32 v7, v6
	v_mov_b32_e32 v20, v8
	v_cmp_ne_u16_sdwa s0, v57, v26 src0_sel:BYTE_1 src1_sel:DWORD
	v_mov_b32_e32 v19, v7
	s_and_saveexec_b32 s18, s0
	s_cbranch_execz .LBB192_318
; %bb.313:                              ;   in Loop: Header=BB192_234 Depth=1
	v_and_b32_sdwa v5, v37, v57 dst_sel:DWORD dst_unused:UNUSED_PAD src0_sel:DWORD src1_sel:BYTE_1
	v_mov_b32_e32 v9, v6
	v_mov_b32_e32 v20, v10
	s_mov_b32 s21, exec_lo
	v_and_b32_e32 v21, 0x7f, v5
	v_mov_b32_e32 v19, v9
	v_cmpx_ne_u32_e32 0x7f, v21
	s_cbranch_execz .LBB192_317
; %bb.314:                              ;   in Loop: Header=BB192_234 Depth=1
	v_and_b32_e32 v5, 7, v5
	v_lshrrev_b32_e32 v7, 3, v21
	s_mov_b32 s22, exec_lo
	v_cmpx_gt_u32_e32 8, v21
; %bb.315:                              ;   in Loop: Header=BB192_234 Depth=1
	v_ffbh_u32_e32 v7, v5
	v_min_u32_e32 v7, 32, v7
	v_subrev_nc_u32_e32 v9, 28, v7
	v_sub_nc_u32_e32 v7, 29, v7
	v_lshlrev_b64 v[19:20], v9, v[5:6]
	v_and_b32_e32 v5, 7, v19
; %bb.316:                              ;   in Loop: Header=BB192_234 Depth=1
	s_or_b32 exec_lo, exec_lo, s22
	v_lshlrev_b32_e32 v9, 16, v57
	v_lshlrev_b32_e32 v5, 20, v5
	v_lshl_add_u32 v7, v7, 23, 0x3c000000
	v_mov_b32_e32 v19, v6
	v_and_b32_e32 v9, 0x80000000, v9
	v_or3_b32 v20, v5, v9, v7
.LBB192_317:                            ;   in Loop: Header=BB192_234 Depth=1
	s_or_b32 exec_lo, exec_lo, s21
.LBB192_318:                            ;   in Loop: Header=BB192_234 Depth=1
	s_or_b32 exec_lo, exec_lo, s18
.LBB192_319:                            ;   in Loop: Header=BB192_234 Depth=1
	s_or_b32 exec_lo, exec_lo, s17
	v_mov_b32_e32 v23, 0
	v_mov_b32_e32 v21, 0
	v_and_b32_sdwa v5, v57, v40 dst_sel:DWORD dst_unused:UNUSED_PAD src0_sel:WORD_1 src1_sel:DWORD
	v_mov_b32_e32 v24, 0
	v_mov_b32_e32 v22, 0
	s_mov_b32 s17, exec_lo
	v_cmpx_ne_u16_e32 0, v5
	s_cbranch_execz .LBB192_327
; %bb.320:                              ;   in Loop: Header=BB192_234 Depth=1
	v_bfrev_b32_e32 v21, 1
	v_mov_b32_e32 v22, 0
	s_mov_b32 s18, exec_lo
	v_cmpx_ne_u16_e32 0x80, v5
	s_cbranch_execz .LBB192_326
; %bb.321:                              ;   in Loop: Header=BB192_234 Depth=1
	v_mov_b32_e32 v21, 0x7f800001
	v_bfe_u32 v9, v57, 16, 7
	v_mov_b32_e32 v22, 0
	s_mov_b32 s21, exec_lo
	v_cmpx_ne_u32_e32 0x7f, v9
	s_cbranch_execz .LBB192_325
; %bb.322:                              ;   in Loop: Header=BB192_234 Depth=1
	v_and_b32_sdwa v5, v57, v41 dst_sel:DWORD dst_unused:UNUSED_PAD src0_sel:WORD_1 src1_sel:DWORD
	v_lshrrev_b32_e32 v7, 3, v9
	s_mov_b32 s22, exec_lo
	v_cmpx_gt_u32_e32 8, v9
; %bb.323:                              ;   in Loop: Header=BB192_234 Depth=1
	v_ffbh_u32_e32 v7, v5
	v_min_u32_e32 v7, 32, v7
	v_subrev_nc_u32_e32 v9, 28, v7
	v_sub_nc_u32_e32 v7, 29, v7
	v_lshlrev_b64 v[21:22], v9, v[5:6]
	v_and_b32_e32 v5, 7, v21
; %bb.324:                              ;   in Loop: Header=BB192_234 Depth=1
	s_or_b32 exec_lo, exec_lo, s22
	v_lshlrev_b32_sdwa v9, v42, v57 dst_sel:DWORD dst_unused:UNUSED_PAD src0_sel:DWORD src1_sel:WORD_1
	v_lshlrev_b32_e32 v5, 20, v5
	v_lshl_add_u32 v7, v7, 23, 0x3c000000
	v_and_b32_e32 v9, 0x80000000, v9
	v_or3_b32 v5, v5, v9, v7
	v_mov_b32_e32 v22, v6
	v_mov_b32_e32 v21, v5
.LBB192_325:                            ;   in Loop: Header=BB192_234 Depth=1
	s_or_b32 exec_lo, exec_lo, s21
.LBB192_326:                            ;   in Loop: Header=BB192_234 Depth=1
	s_or_b32 exec_lo, exec_lo, s18
.LBB192_327:                            ;   in Loop: Header=BB192_234 Depth=1
	s_or_b32 exec_lo, exec_lo, s17
	s_mov_b32 s17, exec_lo
	v_cmpx_lt_u32_e32 0xffffff, v57
	s_cbranch_execz .LBB192_335
; %bb.328:                              ;   in Loop: Header=BB192_234 Depth=1
	v_mov_b32_e32 v7, v6
	v_mov_b32_e32 v24, v8
	v_cmp_ne_u32_sdwa s0, v57, v26 src0_sel:BYTE_3 src1_sel:DWORD
	v_mov_b32_e32 v23, v7
	s_and_saveexec_b32 s18, s0
	s_cbranch_execz .LBB192_334
; %bb.329:                              ;   in Loop: Header=BB192_234 Depth=1
	v_mov_b32_e32 v9, v6
	v_mov_b32_e32 v24, v10
	v_bfe_u32 v58, v57, 24, 7
	s_mov_b32 s21, exec_lo
	v_mov_b32_e32 v23, v9
	v_cmpx_ne_u32_e32 0x7f, v58
	s_cbranch_execz .LBB192_333
; %bb.330:                              ;   in Loop: Header=BB192_234 Depth=1
	v_and_b32_sdwa v5, v57, v41 dst_sel:DWORD dst_unused:UNUSED_PAD src0_sel:BYTE_3 src1_sel:DWORD
	v_lshrrev_b32_e32 v7, 3, v58
	s_mov_b32 s22, exec_lo
	v_cmpx_gt_u32_e32 8, v58
; %bb.331:                              ;   in Loop: Header=BB192_234 Depth=1
	v_ffbh_u32_e32 v7, v5
	v_min_u32_e32 v7, 32, v7
	v_subrev_nc_u32_e32 v9, 28, v7
	v_sub_nc_u32_e32 v7, 29, v7
	v_lshlrev_b64 v[23:24], v9, v[5:6]
	v_and_b32_e32 v5, 7, v23
; %bb.332:                              ;   in Loop: Header=BB192_234 Depth=1
	s_or_b32 exec_lo, exec_lo, s22
	v_lshlrev_b32_sdwa v9, v42, v57 dst_sel:DWORD dst_unused:UNUSED_PAD src0_sel:DWORD src1_sel:BYTE_3
	v_lshlrev_b32_e32 v5, 20, v5
	v_lshl_add_u32 v7, v7, 23, 0x3c000000
	v_mov_b32_e32 v23, v6
	v_and_b32_e32 v9, 0x80000000, v9
	v_or3_b32 v24, v5, v9, v7
.LBB192_333:                            ;   in Loop: Header=BB192_234 Depth=1
	s_or_b32 exec_lo, exec_lo, s21
.LBB192_334:                            ;   in Loop: Header=BB192_234 Depth=1
	s_or_b32 exec_lo, exec_lo, s18
.LBB192_335:                            ;   in Loop: Header=BB192_234 Depth=1
	s_or_b32 exec_lo, exec_lo, s17
	v_or_b32_e32 v5, v20, v18
	v_or_b32_e32 v7, v19, v17
	;; [unrolled: 1-line block ×4, first 2 shown]
	v_mul_f32_e32 v59, s13, v5
	v_mul_f32_e32 v60, s12, v7
	;; [unrolled: 1-line block ×4, first 2 shown]
	s_and_saveexec_b32 s17, vcc_lo
	s_cbranch_execz .LBB192_337
; %bb.336:                              ;   in Loop: Header=BB192_234 Depth=1
	v_cmp_gt_i32_e64 s0, s31, v49
	v_cndmask_b32_e64 v60, 0, v60, s0
	v_cmp_gt_i32_e64 s0, s31, v52
	v_cndmask_b32_e64 v59, 0, v59, s0
	;; [unrolled: 2-line block ×4, first 2 shown]
.LBB192_337:                            ;   in Loop: Header=BB192_234 Depth=1
	s_or_b32 exec_lo, exec_lo, s17
	global_load_dword v61, v[15:16], off offset:384
	v_mov_b32_e32 v19, 0
	v_mov_b32_e32 v17, 0
	;; [unrolled: 1-line block ×4, first 2 shown]
	s_waitcnt vmcnt(0)
	v_cmp_ne_u16_sdwa s0, v61, v6 src0_sel:BYTE_0 src1_sel:DWORD
	s_and_saveexec_b32 s17, s0
	s_cbranch_execz .LBB192_345
; %bb.338:                              ;   in Loop: Header=BB192_234 Depth=1
	v_bfrev_b32_e32 v17, 1
	v_mov_b32_e32 v18, 0
	v_cmp_ne_u16_sdwa s0, v61, v26 src0_sel:BYTE_0 src1_sel:DWORD
	s_and_saveexec_b32 s18, s0
	s_cbranch_execz .LBB192_344
; %bb.339:                              ;   in Loop: Header=BB192_234 Depth=1
	v_mov_b32_e32 v17, 0x7f800001
	v_and_b32_e32 v9, 0x7f, v61
	v_mov_b32_e32 v18, 0
	s_mov_b32 s21, exec_lo
	v_cmpx_ne_u32_e32 0x7f, v9
	s_cbranch_execz .LBB192_343
; %bb.340:                              ;   in Loop: Header=BB192_234 Depth=1
	v_and_b32_e32 v5, 7, v61
	v_lshrrev_b32_e32 v7, 3, v9
	s_mov_b32 s22, exec_lo
	v_cmpx_gt_u32_e32 8, v9
; %bb.341:                              ;   in Loop: Header=BB192_234 Depth=1
	v_ffbh_u32_e32 v7, v5
	v_min_u32_e32 v7, 32, v7
	v_subrev_nc_u32_e32 v9, 28, v7
	v_sub_nc_u32_e32 v7, 29, v7
	v_lshlrev_b64 v[17:18], v9, v[5:6]
	v_and_b32_e32 v5, 7, v17
; %bb.342:                              ;   in Loop: Header=BB192_234 Depth=1
	s_or_b32 exec_lo, exec_lo, s22
	v_lshlrev_b32_e32 v9, 24, v61
	v_lshlrev_b32_e32 v5, 20, v5
	v_lshl_add_u32 v7, v7, 23, 0x3c000000
	v_and_b32_e32 v9, 0x80000000, v9
	v_or3_b32 v5, v5, v9, v7
	v_mov_b32_e32 v18, v6
	v_mov_b32_e32 v17, v5
.LBB192_343:                            ;   in Loop: Header=BB192_234 Depth=1
	s_or_b32 exec_lo, exec_lo, s21
.LBB192_344:                            ;   in Loop: Header=BB192_234 Depth=1
	s_or_b32 exec_lo, exec_lo, s18
.LBB192_345:                            ;   in Loop: Header=BB192_234 Depth=1
	s_or_b32 exec_lo, exec_lo, s17
	v_cmp_ne_u16_sdwa s0, v61, v6 src0_sel:BYTE_1 src1_sel:DWORD
	s_and_saveexec_b32 s17, s0
	s_cbranch_execz .LBB192_353
; %bb.346:                              ;   in Loop: Header=BB192_234 Depth=1
	v_mov_b32_e32 v7, v6
	v_mov_b32_e32 v20, v8
	v_cmp_ne_u16_sdwa s0, v61, v26 src0_sel:BYTE_1 src1_sel:DWORD
	v_mov_b32_e32 v19, v7
	s_and_saveexec_b32 s18, s0
	s_cbranch_execz .LBB192_352
; %bb.347:                              ;   in Loop: Header=BB192_234 Depth=1
	v_and_b32_sdwa v5, v37, v61 dst_sel:DWORD dst_unused:UNUSED_PAD src0_sel:DWORD src1_sel:BYTE_1
	v_mov_b32_e32 v9, v6
	v_mov_b32_e32 v20, v10
	s_mov_b32 s21, exec_lo
	v_and_b32_e32 v21, 0x7f, v5
	v_mov_b32_e32 v19, v9
	v_cmpx_ne_u32_e32 0x7f, v21
	s_cbranch_execz .LBB192_351
; %bb.348:                              ;   in Loop: Header=BB192_234 Depth=1
	v_and_b32_e32 v5, 7, v5
	v_lshrrev_b32_e32 v7, 3, v21
	s_mov_b32 s22, exec_lo
	v_cmpx_gt_u32_e32 8, v21
; %bb.349:                              ;   in Loop: Header=BB192_234 Depth=1
	v_ffbh_u32_e32 v7, v5
	v_min_u32_e32 v7, 32, v7
	v_subrev_nc_u32_e32 v9, 28, v7
	v_sub_nc_u32_e32 v7, 29, v7
	v_lshlrev_b64 v[19:20], v9, v[5:6]
	v_and_b32_e32 v5, 7, v19
; %bb.350:                              ;   in Loop: Header=BB192_234 Depth=1
	s_or_b32 exec_lo, exec_lo, s22
	v_lshlrev_b32_e32 v9, 16, v61
	v_lshlrev_b32_e32 v5, 20, v5
	v_lshl_add_u32 v7, v7, 23, 0x3c000000
	v_mov_b32_e32 v19, v6
	v_and_b32_e32 v9, 0x80000000, v9
	v_or3_b32 v20, v5, v9, v7
.LBB192_351:                            ;   in Loop: Header=BB192_234 Depth=1
	s_or_b32 exec_lo, exec_lo, s21
.LBB192_352:                            ;   in Loop: Header=BB192_234 Depth=1
	s_or_b32 exec_lo, exec_lo, s18
.LBB192_353:                            ;   in Loop: Header=BB192_234 Depth=1
	s_or_b32 exec_lo, exec_lo, s17
	v_mov_b32_e32 v23, 0
	v_mov_b32_e32 v21, 0
	v_and_b32_sdwa v5, v61, v40 dst_sel:DWORD dst_unused:UNUSED_PAD src0_sel:WORD_1 src1_sel:DWORD
	v_mov_b32_e32 v24, 0
	v_mov_b32_e32 v22, 0
	s_mov_b32 s17, exec_lo
	v_cmpx_ne_u16_e32 0, v5
	s_cbranch_execz .LBB192_361
; %bb.354:                              ;   in Loop: Header=BB192_234 Depth=1
	v_bfrev_b32_e32 v21, 1
	v_mov_b32_e32 v22, 0
	s_mov_b32 s18, exec_lo
	v_cmpx_ne_u16_e32 0x80, v5
	s_cbranch_execz .LBB192_360
; %bb.355:                              ;   in Loop: Header=BB192_234 Depth=1
	v_mov_b32_e32 v21, 0x7f800001
	v_bfe_u32 v9, v61, 16, 7
	v_mov_b32_e32 v22, 0
	s_mov_b32 s21, exec_lo
	v_cmpx_ne_u32_e32 0x7f, v9
	s_cbranch_execz .LBB192_359
; %bb.356:                              ;   in Loop: Header=BB192_234 Depth=1
	v_and_b32_sdwa v5, v61, v41 dst_sel:DWORD dst_unused:UNUSED_PAD src0_sel:WORD_1 src1_sel:DWORD
	v_lshrrev_b32_e32 v7, 3, v9
	s_mov_b32 s22, exec_lo
	v_cmpx_gt_u32_e32 8, v9
; %bb.357:                              ;   in Loop: Header=BB192_234 Depth=1
	v_ffbh_u32_e32 v7, v5
	v_min_u32_e32 v7, 32, v7
	v_subrev_nc_u32_e32 v9, 28, v7
	v_sub_nc_u32_e32 v7, 29, v7
	v_lshlrev_b64 v[21:22], v9, v[5:6]
	v_and_b32_e32 v5, 7, v21
; %bb.358:                              ;   in Loop: Header=BB192_234 Depth=1
	s_or_b32 exec_lo, exec_lo, s22
	v_lshlrev_b32_sdwa v9, v42, v61 dst_sel:DWORD dst_unused:UNUSED_PAD src0_sel:DWORD src1_sel:WORD_1
	v_lshlrev_b32_e32 v5, 20, v5
	v_lshl_add_u32 v7, v7, 23, 0x3c000000
	v_and_b32_e32 v9, 0x80000000, v9
	v_or3_b32 v5, v5, v9, v7
	v_mov_b32_e32 v22, v6
	v_mov_b32_e32 v21, v5
.LBB192_359:                            ;   in Loop: Header=BB192_234 Depth=1
	s_or_b32 exec_lo, exec_lo, s21
.LBB192_360:                            ;   in Loop: Header=BB192_234 Depth=1
	s_or_b32 exec_lo, exec_lo, s18
.LBB192_361:                            ;   in Loop: Header=BB192_234 Depth=1
	s_or_b32 exec_lo, exec_lo, s17
	s_mov_b32 s17, exec_lo
	v_cmpx_lt_u32_e32 0xffffff, v61
	s_cbranch_execz .LBB192_369
; %bb.362:                              ;   in Loop: Header=BB192_234 Depth=1
	v_mov_b32_e32 v7, v6
	v_mov_b32_e32 v24, v8
	v_cmp_ne_u32_sdwa s0, v61, v26 src0_sel:BYTE_3 src1_sel:DWORD
	v_mov_b32_e32 v23, v7
	s_and_saveexec_b32 s18, s0
	s_cbranch_execz .LBB192_368
; %bb.363:                              ;   in Loop: Header=BB192_234 Depth=1
	v_mov_b32_e32 v9, v6
	v_mov_b32_e32 v24, v10
	v_bfe_u32 v62, v61, 24, 7
	s_mov_b32 s21, exec_lo
	v_mov_b32_e32 v23, v9
	v_cmpx_ne_u32_e32 0x7f, v62
	s_cbranch_execz .LBB192_367
; %bb.364:                              ;   in Loop: Header=BB192_234 Depth=1
	v_and_b32_sdwa v5, v61, v41 dst_sel:DWORD dst_unused:UNUSED_PAD src0_sel:BYTE_3 src1_sel:DWORD
	v_lshrrev_b32_e32 v7, 3, v62
	s_mov_b32 s22, exec_lo
	v_cmpx_gt_u32_e32 8, v62
; %bb.365:                              ;   in Loop: Header=BB192_234 Depth=1
	v_ffbh_u32_e32 v7, v5
	v_min_u32_e32 v7, 32, v7
	v_subrev_nc_u32_e32 v9, 28, v7
	v_sub_nc_u32_e32 v7, 29, v7
	v_lshlrev_b64 v[23:24], v9, v[5:6]
	v_and_b32_e32 v5, 7, v23
; %bb.366:                              ;   in Loop: Header=BB192_234 Depth=1
	s_or_b32 exec_lo, exec_lo, s22
	v_lshlrev_b32_sdwa v9, v42, v61 dst_sel:DWORD dst_unused:UNUSED_PAD src0_sel:DWORD src1_sel:BYTE_3
	v_lshlrev_b32_e32 v5, 20, v5
	v_lshl_add_u32 v7, v7, 23, 0x3c000000
	v_mov_b32_e32 v23, v6
	v_and_b32_e32 v9, 0x80000000, v9
	v_or3_b32 v24, v5, v9, v7
.LBB192_367:                            ;   in Loop: Header=BB192_234 Depth=1
	s_or_b32 exec_lo, exec_lo, s21
.LBB192_368:                            ;   in Loop: Header=BB192_234 Depth=1
	s_or_b32 exec_lo, exec_lo, s18
.LBB192_369:                            ;   in Loop: Header=BB192_234 Depth=1
	s_or_b32 exec_lo, exec_lo, s17
	v_or_b32_e32 v5, v20, v18
	v_or_b32_e32 v7, v19, v17
	;; [unrolled: 1-line block ×4, first 2 shown]
	v_mul_f32_e32 v63, s13, v5
	v_mul_f32_e32 v64, s12, v7
	;; [unrolled: 1-line block ×4, first 2 shown]
	s_and_saveexec_b32 s17, vcc_lo
	s_cbranch_execz .LBB192_371
; %bb.370:                              ;   in Loop: Header=BB192_234 Depth=1
	v_cmp_gt_i32_e64 s0, s31, v49
	v_cndmask_b32_e64 v64, 0, v64, s0
	v_cmp_gt_i32_e64 s0, s31, v52
	v_cndmask_b32_e64 v63, 0, v63, s0
	;; [unrolled: 2-line block ×4, first 2 shown]
.LBB192_371:                            ;   in Loop: Header=BB192_234 Depth=1
	s_or_b32 exec_lo, exec_lo, s17
	global_load_dword v65, v[15:16], off offset:512
	v_mov_b32_e32 v19, 0
	v_mov_b32_e32 v17, 0
	;; [unrolled: 1-line block ×4, first 2 shown]
	s_waitcnt vmcnt(0)
	v_cmp_ne_u16_sdwa s0, v65, v6 src0_sel:BYTE_0 src1_sel:DWORD
	s_and_saveexec_b32 s17, s0
	s_cbranch_execz .LBB192_379
; %bb.372:                              ;   in Loop: Header=BB192_234 Depth=1
	v_bfrev_b32_e32 v17, 1
	v_mov_b32_e32 v18, 0
	v_cmp_ne_u16_sdwa s0, v65, v26 src0_sel:BYTE_0 src1_sel:DWORD
	s_and_saveexec_b32 s18, s0
	s_cbranch_execz .LBB192_378
; %bb.373:                              ;   in Loop: Header=BB192_234 Depth=1
	v_mov_b32_e32 v17, 0x7f800001
	v_and_b32_e32 v9, 0x7f, v65
	v_mov_b32_e32 v18, 0
	s_mov_b32 s21, exec_lo
	v_cmpx_ne_u32_e32 0x7f, v9
	s_cbranch_execz .LBB192_377
; %bb.374:                              ;   in Loop: Header=BB192_234 Depth=1
	v_and_b32_e32 v5, 7, v65
	v_lshrrev_b32_e32 v7, 3, v9
	s_mov_b32 s22, exec_lo
	v_cmpx_gt_u32_e32 8, v9
; %bb.375:                              ;   in Loop: Header=BB192_234 Depth=1
	v_ffbh_u32_e32 v7, v5
	v_min_u32_e32 v7, 32, v7
	v_subrev_nc_u32_e32 v9, 28, v7
	v_sub_nc_u32_e32 v7, 29, v7
	v_lshlrev_b64 v[17:18], v9, v[5:6]
	v_and_b32_e32 v5, 7, v17
; %bb.376:                              ;   in Loop: Header=BB192_234 Depth=1
	s_or_b32 exec_lo, exec_lo, s22
	v_lshlrev_b32_e32 v9, 24, v65
	v_lshlrev_b32_e32 v5, 20, v5
	v_lshl_add_u32 v7, v7, 23, 0x3c000000
	v_and_b32_e32 v9, 0x80000000, v9
	v_or3_b32 v5, v5, v9, v7
	v_mov_b32_e32 v18, v6
	v_mov_b32_e32 v17, v5
.LBB192_377:                            ;   in Loop: Header=BB192_234 Depth=1
	s_or_b32 exec_lo, exec_lo, s21
.LBB192_378:                            ;   in Loop: Header=BB192_234 Depth=1
	s_or_b32 exec_lo, exec_lo, s18
.LBB192_379:                            ;   in Loop: Header=BB192_234 Depth=1
	s_or_b32 exec_lo, exec_lo, s17
	v_cmp_ne_u16_sdwa s0, v65, v6 src0_sel:BYTE_1 src1_sel:DWORD
	s_and_saveexec_b32 s17, s0
	s_cbranch_execz .LBB192_387
; %bb.380:                              ;   in Loop: Header=BB192_234 Depth=1
	v_mov_b32_e32 v7, v6
	v_mov_b32_e32 v20, v8
	v_cmp_ne_u16_sdwa s0, v65, v26 src0_sel:BYTE_1 src1_sel:DWORD
	v_mov_b32_e32 v19, v7
	s_and_saveexec_b32 s18, s0
	s_cbranch_execz .LBB192_386
; %bb.381:                              ;   in Loop: Header=BB192_234 Depth=1
	v_and_b32_sdwa v5, v37, v65 dst_sel:DWORD dst_unused:UNUSED_PAD src0_sel:DWORD src1_sel:BYTE_1
	v_mov_b32_e32 v9, v6
	v_mov_b32_e32 v20, v10
	s_mov_b32 s21, exec_lo
	v_and_b32_e32 v21, 0x7f, v5
	v_mov_b32_e32 v19, v9
	v_cmpx_ne_u32_e32 0x7f, v21
	s_cbranch_execz .LBB192_385
; %bb.382:                              ;   in Loop: Header=BB192_234 Depth=1
	v_and_b32_e32 v5, 7, v5
	v_lshrrev_b32_e32 v7, 3, v21
	s_mov_b32 s22, exec_lo
	v_cmpx_gt_u32_e32 8, v21
; %bb.383:                              ;   in Loop: Header=BB192_234 Depth=1
	v_ffbh_u32_e32 v7, v5
	v_min_u32_e32 v7, 32, v7
	v_subrev_nc_u32_e32 v9, 28, v7
	v_sub_nc_u32_e32 v7, 29, v7
	v_lshlrev_b64 v[19:20], v9, v[5:6]
	v_and_b32_e32 v5, 7, v19
; %bb.384:                              ;   in Loop: Header=BB192_234 Depth=1
	s_or_b32 exec_lo, exec_lo, s22
	v_lshlrev_b32_e32 v9, 16, v65
	v_lshlrev_b32_e32 v5, 20, v5
	v_lshl_add_u32 v7, v7, 23, 0x3c000000
	v_mov_b32_e32 v19, v6
	v_and_b32_e32 v9, 0x80000000, v9
	v_or3_b32 v20, v5, v9, v7
.LBB192_385:                            ;   in Loop: Header=BB192_234 Depth=1
	s_or_b32 exec_lo, exec_lo, s21
.LBB192_386:                            ;   in Loop: Header=BB192_234 Depth=1
	s_or_b32 exec_lo, exec_lo, s18
.LBB192_387:                            ;   in Loop: Header=BB192_234 Depth=1
	s_or_b32 exec_lo, exec_lo, s17
	v_mov_b32_e32 v23, 0
	v_mov_b32_e32 v21, 0
	v_and_b32_sdwa v5, v65, v40 dst_sel:DWORD dst_unused:UNUSED_PAD src0_sel:WORD_1 src1_sel:DWORD
	v_mov_b32_e32 v24, 0
	v_mov_b32_e32 v22, 0
	s_mov_b32 s17, exec_lo
	v_cmpx_ne_u16_e32 0, v5
	s_cbranch_execz .LBB192_395
; %bb.388:                              ;   in Loop: Header=BB192_234 Depth=1
	v_bfrev_b32_e32 v21, 1
	v_mov_b32_e32 v22, 0
	s_mov_b32 s18, exec_lo
	v_cmpx_ne_u16_e32 0x80, v5
	s_cbranch_execz .LBB192_394
; %bb.389:                              ;   in Loop: Header=BB192_234 Depth=1
	v_mov_b32_e32 v21, 0x7f800001
	v_bfe_u32 v9, v65, 16, 7
	v_mov_b32_e32 v22, 0
	s_mov_b32 s21, exec_lo
	v_cmpx_ne_u32_e32 0x7f, v9
	s_cbranch_execz .LBB192_393
; %bb.390:                              ;   in Loop: Header=BB192_234 Depth=1
	v_and_b32_sdwa v5, v65, v41 dst_sel:DWORD dst_unused:UNUSED_PAD src0_sel:WORD_1 src1_sel:DWORD
	v_lshrrev_b32_e32 v7, 3, v9
	s_mov_b32 s22, exec_lo
	v_cmpx_gt_u32_e32 8, v9
; %bb.391:                              ;   in Loop: Header=BB192_234 Depth=1
	v_ffbh_u32_e32 v7, v5
	v_min_u32_e32 v7, 32, v7
	v_subrev_nc_u32_e32 v9, 28, v7
	v_sub_nc_u32_e32 v7, 29, v7
	v_lshlrev_b64 v[21:22], v9, v[5:6]
	v_and_b32_e32 v5, 7, v21
; %bb.392:                              ;   in Loop: Header=BB192_234 Depth=1
	s_or_b32 exec_lo, exec_lo, s22
	v_lshlrev_b32_sdwa v9, v42, v65 dst_sel:DWORD dst_unused:UNUSED_PAD src0_sel:DWORD src1_sel:WORD_1
	v_lshlrev_b32_e32 v5, 20, v5
	v_lshl_add_u32 v7, v7, 23, 0x3c000000
	v_and_b32_e32 v9, 0x80000000, v9
	v_or3_b32 v5, v5, v9, v7
	v_mov_b32_e32 v22, v6
	v_mov_b32_e32 v21, v5
.LBB192_393:                            ;   in Loop: Header=BB192_234 Depth=1
	s_or_b32 exec_lo, exec_lo, s21
.LBB192_394:                            ;   in Loop: Header=BB192_234 Depth=1
	s_or_b32 exec_lo, exec_lo, s18
.LBB192_395:                            ;   in Loop: Header=BB192_234 Depth=1
	s_or_b32 exec_lo, exec_lo, s17
	s_mov_b32 s17, exec_lo
	v_cmpx_lt_u32_e32 0xffffff, v65
	s_cbranch_execz .LBB192_403
; %bb.396:                              ;   in Loop: Header=BB192_234 Depth=1
	v_mov_b32_e32 v7, v6
	v_mov_b32_e32 v24, v8
	v_cmp_ne_u32_sdwa s0, v65, v26 src0_sel:BYTE_3 src1_sel:DWORD
	v_mov_b32_e32 v23, v7
	s_and_saveexec_b32 s18, s0
	s_cbranch_execz .LBB192_402
; %bb.397:                              ;   in Loop: Header=BB192_234 Depth=1
	v_mov_b32_e32 v9, v6
	v_mov_b32_e32 v24, v10
	v_bfe_u32 v66, v65, 24, 7
	s_mov_b32 s21, exec_lo
	v_mov_b32_e32 v23, v9
	v_cmpx_ne_u32_e32 0x7f, v66
	s_cbranch_execz .LBB192_401
; %bb.398:                              ;   in Loop: Header=BB192_234 Depth=1
	v_and_b32_sdwa v5, v65, v41 dst_sel:DWORD dst_unused:UNUSED_PAD src0_sel:BYTE_3 src1_sel:DWORD
	v_lshrrev_b32_e32 v7, 3, v66
	s_mov_b32 s22, exec_lo
	v_cmpx_gt_u32_e32 8, v66
; %bb.399:                              ;   in Loop: Header=BB192_234 Depth=1
	v_ffbh_u32_e32 v7, v5
	v_min_u32_e32 v7, 32, v7
	v_subrev_nc_u32_e32 v9, 28, v7
	v_sub_nc_u32_e32 v7, 29, v7
	v_lshlrev_b64 v[23:24], v9, v[5:6]
	v_and_b32_e32 v5, 7, v23
; %bb.400:                              ;   in Loop: Header=BB192_234 Depth=1
	s_or_b32 exec_lo, exec_lo, s22
	v_lshlrev_b32_sdwa v9, v42, v65 dst_sel:DWORD dst_unused:UNUSED_PAD src0_sel:DWORD src1_sel:BYTE_3
	v_lshlrev_b32_e32 v5, 20, v5
	v_lshl_add_u32 v7, v7, 23, 0x3c000000
	v_mov_b32_e32 v23, v6
	v_and_b32_e32 v9, 0x80000000, v9
	v_or3_b32 v24, v5, v9, v7
.LBB192_401:                            ;   in Loop: Header=BB192_234 Depth=1
	s_or_b32 exec_lo, exec_lo, s21
.LBB192_402:                            ;   in Loop: Header=BB192_234 Depth=1
	s_or_b32 exec_lo, exec_lo, s18
.LBB192_403:                            ;   in Loop: Header=BB192_234 Depth=1
	s_or_b32 exec_lo, exec_lo, s17
	v_or_b32_e32 v5, v20, v18
	v_or_b32_e32 v7, v19, v17
	;; [unrolled: 1-line block ×4, first 2 shown]
	v_mul_f32_e32 v65, s13, v5
	v_mul_f32_e32 v66, s12, v7
	;; [unrolled: 1-line block ×4, first 2 shown]
	s_and_saveexec_b32 s17, vcc_lo
	s_cbranch_execz .LBB192_405
; %bb.404:                              ;   in Loop: Header=BB192_234 Depth=1
	v_cmp_gt_i32_e64 s0, s31, v49
	v_cndmask_b32_e64 v66, 0, v66, s0
	v_cmp_gt_i32_e64 s0, s31, v52
	v_cndmask_b32_e64 v65, 0, v65, s0
	;; [unrolled: 2-line block ×4, first 2 shown]
.LBB192_405:                            ;   in Loop: Header=BB192_234 Depth=1
	s_or_b32 exec_lo, exec_lo, s17
	global_load_dword v67, v[15:16], off offset:640
	v_mov_b32_e32 v17, 0
	v_mov_b32_e32 v15, 0
	v_mov_b32_e32 v18, 0
	v_mov_b32_e32 v16, 0
	s_waitcnt vmcnt(0)
	v_cmp_ne_u16_sdwa s0, v67, v6 src0_sel:BYTE_0 src1_sel:DWORD
	s_and_saveexec_b32 s17, s0
	s_cbranch_execz .LBB192_413
; %bb.406:                              ;   in Loop: Header=BB192_234 Depth=1
	v_bfrev_b32_e32 v15, 1
	v_mov_b32_e32 v16, 0
	v_cmp_ne_u16_sdwa s0, v67, v26 src0_sel:BYTE_0 src1_sel:DWORD
	s_and_saveexec_b32 s18, s0
	s_cbranch_execz .LBB192_412
; %bb.407:                              ;   in Loop: Header=BB192_234 Depth=1
	v_mov_b32_e32 v15, 0x7f800001
	v_and_b32_e32 v9, 0x7f, v67
	v_mov_b32_e32 v16, 0
	s_mov_b32 s21, exec_lo
	v_cmpx_ne_u32_e32 0x7f, v9
	s_cbranch_execz .LBB192_411
; %bb.408:                              ;   in Loop: Header=BB192_234 Depth=1
	v_and_b32_e32 v5, 7, v67
	v_lshrrev_b32_e32 v7, 3, v9
	s_mov_b32 s22, exec_lo
	v_cmpx_gt_u32_e32 8, v9
; %bb.409:                              ;   in Loop: Header=BB192_234 Depth=1
	v_ffbh_u32_e32 v7, v5
	v_min_u32_e32 v7, 32, v7
	v_subrev_nc_u32_e32 v9, 28, v7
	v_sub_nc_u32_e32 v7, 29, v7
	v_lshlrev_b64 v[15:16], v9, v[5:6]
	v_and_b32_e32 v5, 7, v15
; %bb.410:                              ;   in Loop: Header=BB192_234 Depth=1
	s_or_b32 exec_lo, exec_lo, s22
	v_lshlrev_b32_e32 v9, 24, v67
	v_lshlrev_b32_e32 v5, 20, v5
	v_lshl_add_u32 v7, v7, 23, 0x3c000000
	v_and_b32_e32 v9, 0x80000000, v9
	v_or3_b32 v5, v5, v9, v7
	v_mov_b32_e32 v16, v6
	v_mov_b32_e32 v15, v5
.LBB192_411:                            ;   in Loop: Header=BB192_234 Depth=1
	s_or_b32 exec_lo, exec_lo, s21
.LBB192_412:                            ;   in Loop: Header=BB192_234 Depth=1
	s_or_b32 exec_lo, exec_lo, s18
.LBB192_413:                            ;   in Loop: Header=BB192_234 Depth=1
	s_or_b32 exec_lo, exec_lo, s17
	v_cmp_ne_u16_sdwa s0, v67, v6 src0_sel:BYTE_1 src1_sel:DWORD
	s_and_saveexec_b32 s17, s0
	s_cbranch_execz .LBB192_421
; %bb.414:                              ;   in Loop: Header=BB192_234 Depth=1
	v_mov_b32_e32 v7, v6
	v_mov_b32_e32 v18, v8
	v_cmp_ne_u16_sdwa s0, v67, v26 src0_sel:BYTE_1 src1_sel:DWORD
	v_mov_b32_e32 v17, v7
	s_and_saveexec_b32 s18, s0
	s_cbranch_execz .LBB192_420
; %bb.415:                              ;   in Loop: Header=BB192_234 Depth=1
	v_and_b32_sdwa v5, v37, v67 dst_sel:DWORD dst_unused:UNUSED_PAD src0_sel:DWORD src1_sel:BYTE_1
	v_mov_b32_e32 v9, v6
	v_mov_b32_e32 v18, v10
	s_mov_b32 s21, exec_lo
	v_and_b32_e32 v19, 0x7f, v5
	v_mov_b32_e32 v17, v9
	v_cmpx_ne_u32_e32 0x7f, v19
	s_cbranch_execz .LBB192_419
; %bb.416:                              ;   in Loop: Header=BB192_234 Depth=1
	v_and_b32_e32 v5, 7, v5
	v_lshrrev_b32_e32 v7, 3, v19
	s_mov_b32 s22, exec_lo
	v_cmpx_gt_u32_e32 8, v19
; %bb.417:                              ;   in Loop: Header=BB192_234 Depth=1
	v_ffbh_u32_e32 v7, v5
	v_min_u32_e32 v7, 32, v7
	v_subrev_nc_u32_e32 v9, 28, v7
	v_sub_nc_u32_e32 v7, 29, v7
	v_lshlrev_b64 v[17:18], v9, v[5:6]
	v_and_b32_e32 v5, 7, v17
; %bb.418:                              ;   in Loop: Header=BB192_234 Depth=1
	s_or_b32 exec_lo, exec_lo, s22
	v_lshlrev_b32_e32 v9, 16, v67
	v_lshlrev_b32_e32 v5, 20, v5
	v_lshl_add_u32 v7, v7, 23, 0x3c000000
	v_mov_b32_e32 v17, v6
	v_and_b32_e32 v9, 0x80000000, v9
	v_or3_b32 v18, v5, v9, v7
.LBB192_419:                            ;   in Loop: Header=BB192_234 Depth=1
	s_or_b32 exec_lo, exec_lo, s21
.LBB192_420:                            ;   in Loop: Header=BB192_234 Depth=1
	s_or_b32 exec_lo, exec_lo, s18
.LBB192_421:                            ;   in Loop: Header=BB192_234 Depth=1
	s_or_b32 exec_lo, exec_lo, s17
	v_mov_b32_e32 v21, 0
	v_mov_b32_e32 v19, 0
	v_and_b32_sdwa v5, v67, v40 dst_sel:DWORD dst_unused:UNUSED_PAD src0_sel:WORD_1 src1_sel:DWORD
	v_mov_b32_e32 v22, 0
	v_mov_b32_e32 v20, 0
	s_mov_b32 s17, exec_lo
	v_cmpx_ne_u16_e32 0, v5
	s_cbranch_execz .LBB192_429
; %bb.422:                              ;   in Loop: Header=BB192_234 Depth=1
	v_bfrev_b32_e32 v19, 1
	v_mov_b32_e32 v20, 0
	s_mov_b32 s18, exec_lo
	v_cmpx_ne_u16_e32 0x80, v5
	s_cbranch_execz .LBB192_428
; %bb.423:                              ;   in Loop: Header=BB192_234 Depth=1
	v_mov_b32_e32 v19, 0x7f800001
	v_bfe_u32 v9, v67, 16, 7
	v_mov_b32_e32 v20, 0
	s_mov_b32 s21, exec_lo
	v_cmpx_ne_u32_e32 0x7f, v9
	s_cbranch_execz .LBB192_427
; %bb.424:                              ;   in Loop: Header=BB192_234 Depth=1
	v_and_b32_sdwa v5, v67, v41 dst_sel:DWORD dst_unused:UNUSED_PAD src0_sel:WORD_1 src1_sel:DWORD
	v_lshrrev_b32_e32 v7, 3, v9
	s_mov_b32 s22, exec_lo
	v_cmpx_gt_u32_e32 8, v9
; %bb.425:                              ;   in Loop: Header=BB192_234 Depth=1
	v_ffbh_u32_e32 v7, v5
	v_min_u32_e32 v7, 32, v7
	v_subrev_nc_u32_e32 v9, 28, v7
	v_sub_nc_u32_e32 v7, 29, v7
	v_lshlrev_b64 v[19:20], v9, v[5:6]
	v_and_b32_e32 v5, 7, v19
; %bb.426:                              ;   in Loop: Header=BB192_234 Depth=1
	s_or_b32 exec_lo, exec_lo, s22
	v_lshlrev_b32_sdwa v9, v42, v67 dst_sel:DWORD dst_unused:UNUSED_PAD src0_sel:DWORD src1_sel:WORD_1
	v_lshlrev_b32_e32 v5, 20, v5
	v_lshl_add_u32 v7, v7, 23, 0x3c000000
	v_and_b32_e32 v9, 0x80000000, v9
	v_or3_b32 v5, v5, v9, v7
	v_mov_b32_e32 v20, v6
	v_mov_b32_e32 v19, v5
.LBB192_427:                            ;   in Loop: Header=BB192_234 Depth=1
	s_or_b32 exec_lo, exec_lo, s21
.LBB192_428:                            ;   in Loop: Header=BB192_234 Depth=1
	s_or_b32 exec_lo, exec_lo, s18
.LBB192_429:                            ;   in Loop: Header=BB192_234 Depth=1
	s_or_b32 exec_lo, exec_lo, s17
	s_mov_b32 s17, exec_lo
	v_cmpx_lt_u32_e32 0xffffff, v67
	s_cbranch_execz .LBB192_437
; %bb.430:                              ;   in Loop: Header=BB192_234 Depth=1
	v_mov_b32_e32 v7, v6
	v_mov_b32_e32 v22, v8
	v_cmp_ne_u32_sdwa s0, v67, v26 src0_sel:BYTE_3 src1_sel:DWORD
	v_mov_b32_e32 v21, v7
	s_and_saveexec_b32 s18, s0
	s_cbranch_execz .LBB192_436
; %bb.431:                              ;   in Loop: Header=BB192_234 Depth=1
	v_mov_b32_e32 v9, v6
	v_mov_b32_e32 v22, v10
	v_bfe_u32 v68, v67, 24, 7
	s_mov_b32 s21, exec_lo
	v_mov_b32_e32 v21, v9
	v_cmpx_ne_u32_e32 0x7f, v68
	s_cbranch_execz .LBB192_435
; %bb.432:                              ;   in Loop: Header=BB192_234 Depth=1
	v_and_b32_sdwa v5, v67, v41 dst_sel:DWORD dst_unused:UNUSED_PAD src0_sel:BYTE_3 src1_sel:DWORD
	v_lshrrev_b32_e32 v7, 3, v68
	s_mov_b32 s22, exec_lo
	v_cmpx_gt_u32_e32 8, v68
; %bb.433:                              ;   in Loop: Header=BB192_234 Depth=1
	v_ffbh_u32_e32 v7, v5
	v_min_u32_e32 v7, 32, v7
	v_subrev_nc_u32_e32 v9, 28, v7
	v_sub_nc_u32_e32 v7, 29, v7
	v_lshlrev_b64 v[21:22], v9, v[5:6]
	v_and_b32_e32 v5, 7, v21
; %bb.434:                              ;   in Loop: Header=BB192_234 Depth=1
	s_or_b32 exec_lo, exec_lo, s22
	v_lshlrev_b32_sdwa v9, v42, v67 dst_sel:DWORD dst_unused:UNUSED_PAD src0_sel:DWORD src1_sel:BYTE_3
	v_lshlrev_b32_e32 v5, 20, v5
	v_lshl_add_u32 v7, v7, 23, 0x3c000000
	v_mov_b32_e32 v21, v6
	v_and_b32_e32 v9, 0x80000000, v9
	v_or3_b32 v22, v5, v9, v7
.LBB192_435:                            ;   in Loop: Header=BB192_234 Depth=1
	s_or_b32 exec_lo, exec_lo, s21
.LBB192_436:                            ;   in Loop: Header=BB192_234 Depth=1
	s_or_b32 exec_lo, exec_lo, s18
.LBB192_437:                            ;   in Loop: Header=BB192_234 Depth=1
	s_or_b32 exec_lo, exec_lo, s17
	v_or_b32_e32 v5, v18, v16
	v_or_b32_e32 v7, v17, v15
	;; [unrolled: 1-line block ×4, first 2 shown]
	v_mul_f32_e32 v9, s13, v5
	v_mul_f32_e32 v15, s12, v7
	;; [unrolled: 1-line block ×4, first 2 shown]
	s_and_saveexec_b32 s0, vcc_lo
	s_cbranch_execz .LBB192_232
; %bb.438:                              ;   in Loop: Header=BB192_234 Depth=1
	v_cmp_gt_i32_e32 vcc_lo, s31, v49
	v_cndmask_b32_e32 v15, 0, v15, vcc_lo
	v_cmp_gt_i32_e32 vcc_lo, s31, v52
	v_cndmask_b32_e32 v9, 0, v9, vcc_lo
	;; [unrolled: 2-line block ×4, first 2 shown]
	s_branch .LBB192_232
.LBB192_439:
	s_or_b32 exec_lo, exec_lo, s5
.LBB192_440:
	s_or_b32 exec_lo, exec_lo, s1
	ds_bpermute_b32 v1, v28, v39
	ds_bpermute_b32 v2, v28, v34
	;; [unrolled: 1-line block ×6, first 2 shown]
	v_lshrrev_b32_e32 v7, 1, v27
	v_mul_u32_u24_e32 v9, 0x180, v35
	v_and_b32_e32 v10, 0x3c1, v0
	s_mov_b32 s0, exec_lo
	s_waitcnt lgkmcnt(0)
	s_waitcnt_vscnt null, 0x0
	v_lshl_add_u32 v8, v7, 2, 0x1a0
	s_barrier
	buffer_gl0_inv
	v_add_f32_e32 v1, v39, v1
	v_add_f32_e32 v2, v34, v2
	;; [unrolled: 1-line block ×6, first 2 shown]
	v_cmpx_eq_u32_e32 64, v10
	s_cbranch_execz .LBB192_442
; %bb.441:
	v_add_nc_u32_e32 v10, v8, v9
	v_add_nc_u32_e32 v11, 0xfffffd00, v10
	;; [unrolled: 1-line block ×7, first 2 shown]
	ds_write_b32 v11, v1
	ds_write_b32 v12, v2
	;; [unrolled: 1-line block ×6, first 2 shown]
.LBB192_442:
	s_or_b32 exec_lo, exec_lo, s0
	v_lshlrev_b32_e32 v7, 2, v7
	s_mov_b32 s1, exec_lo
	v_cmp_eq_u32_e32 vcc_lo, 0, v29
	s_waitcnt lgkmcnt(0)
	s_barrier
	v_add3_u32 v7, 0x1a0, v9, v7
	buffer_gl0_inv
	v_cmpx_gt_u32_e32 64, v0
	s_cbranch_execz .LBB192_451
; %bb.443:
	s_and_saveexec_b32 s0, vcc_lo
	s_cbranch_execnz .LBB192_465
; %bb.444:
	s_or_b32 exec_lo, exec_lo, s0
	s_and_saveexec_b32 s0, vcc_lo
	s_cbranch_execnz .LBB192_466
.LBB192_445:
	s_or_b32 exec_lo, exec_lo, s0
	s_and_saveexec_b32 s0, vcc_lo
	s_cbranch_execnz .LBB192_467
.LBB192_446:
	s_or_b32 exec_lo, exec_lo, s0
	s_and_saveexec_b32 s0, vcc_lo
	s_cbranch_execnz .LBB192_468
.LBB192_447:
	s_or_b32 exec_lo, exec_lo, s0
	s_and_saveexec_b32 s0, vcc_lo
	s_cbranch_execnz .LBB192_469
.LBB192_448:
	s_or_b32 exec_lo, exec_lo, s0
	s_and_saveexec_b32 s0, vcc_lo
	s_cbranch_execz .LBB192_450
.LBB192_449:
	ds_read_b32 v9, v7 offset:320
	s_waitcnt lgkmcnt(0)
	v_add_f32_e32 v6, v6, v9
.LBB192_450:
	s_or_b32 exec_lo, exec_lo, s0
.LBB192_451:
	s_or_b32 exec_lo, exec_lo, s1
	v_and_b32_e32 v9, 0x3e1, v0
	s_mov_b32 s1, exec_lo
	s_barrier
	buffer_gl0_inv
	v_cmpx_eq_u32_e32 32, v9
	s_cbranch_execz .LBB192_453
; %bb.452:
	ds_write2_b32 v8, v1, v2 offset1:16
	ds_write2_b32 v8, v3, v4 offset0:32 offset1:48
	ds_write2_b32 v8, v5, v6 offset0:64 offset1:80
.LBB192_453:
	s_or_b32 exec_lo, exec_lo, s1
	s_mov_b32 s1, exec_lo
	s_waitcnt lgkmcnt(0)
	s_barrier
	buffer_gl0_inv
	v_cmpx_gt_u32_e32 32, v0
	s_cbranch_execz .LBB192_462
; %bb.454:
	s_and_saveexec_b32 s0, vcc_lo
	s_cbranch_execnz .LBB192_470
; %bb.455:
	s_or_b32 exec_lo, exec_lo, s0
	s_and_saveexec_b32 s0, vcc_lo
	s_cbranch_execnz .LBB192_471
.LBB192_456:
	s_or_b32 exec_lo, exec_lo, s0
	s_and_saveexec_b32 s0, vcc_lo
	s_cbranch_execnz .LBB192_472
.LBB192_457:
	s_or_b32 exec_lo, exec_lo, s0
	s_and_saveexec_b32 s0, vcc_lo
	s_cbranch_execnz .LBB192_473
.LBB192_458:
	s_or_b32 exec_lo, exec_lo, s0
	s_and_saveexec_b32 s0, vcc_lo
	s_cbranch_execnz .LBB192_474
.LBB192_459:
	s_or_b32 exec_lo, exec_lo, s0
	s_and_saveexec_b32 s0, vcc_lo
	s_cbranch_execz .LBB192_461
.LBB192_460:
	ds_read_b32 v7, v7 offset:320
	s_waitcnt lgkmcnt(0)
	v_add_f32_e32 v6, v6, v7
.LBB192_461:
	s_or_b32 exec_lo, exec_lo, s0
.LBB192_462:
	s_or_b32 exec_lo, exec_lo, s1
	s_barrier
	buffer_gl0_inv
	s_mov_b32 s0, exec_lo
	v_cmpx_eq_u32_e32 0, v9
	s_cbranch_execz .LBB192_464
; %bb.463:
	s_mul_i32 s0, s2, 0x60
	s_mul_i32 s2, s7, s10
	s_ashr_i32 s1, s0, 31
	v_lshlrev_b32_e32 v0, 1, v0
	s_lshl_b64 s[0:1], s[0:1], 2
	s_add_u32 s4, s28, s0
	s_addc_u32 s5, s29, s1
	s_ashr_i32 s3, s2, 31
	s_lshl_b64 s[0:1], s[2:3], 2
	s_mul_i32 s2, s8, 0x60
	s_add_u32 s4, s4, s0
	s_addc_u32 s5, s5, s1
	s_ashr_i32 s3, s2, 31
	s_lshl_b64 s[0:1], s[2:3], 2
	s_add_u32 s0, s4, s0
	s_addc_u32 s1, s5, s1
	global_store_dword v0, v1, s[0:1]
	global_store_dword v0, v2, s[0:1] offset:64
	global_store_dword v0, v3, s[0:1] offset:128
	;; [unrolled: 1-line block ×5, first 2 shown]
.LBB192_464:
	s_endpgm
.LBB192_465:
	ds_read_b32 v9, v7
	s_waitcnt lgkmcnt(0)
	v_add_f32_e32 v1, v1, v9
	s_or_b32 exec_lo, exec_lo, s0
	s_and_saveexec_b32 s0, vcc_lo
	s_cbranch_execz .LBB192_445
.LBB192_466:
	ds_read_b32 v9, v7 offset:64
	s_waitcnt lgkmcnt(0)
	v_add_f32_e32 v2, v2, v9
	s_or_b32 exec_lo, exec_lo, s0
	s_and_saveexec_b32 s0, vcc_lo
	s_cbranch_execz .LBB192_446
.LBB192_467:
	ds_read_b32 v9, v7 offset:128
	s_waitcnt lgkmcnt(0)
	v_add_f32_e32 v3, v3, v9
	s_or_b32 exec_lo, exec_lo, s0
	s_and_saveexec_b32 s0, vcc_lo
	s_cbranch_execz .LBB192_447
.LBB192_468:
	ds_read_b32 v9, v7 offset:192
	s_waitcnt lgkmcnt(0)
	v_add_f32_e32 v4, v4, v9
	s_or_b32 exec_lo, exec_lo, s0
	s_and_saveexec_b32 s0, vcc_lo
	s_cbranch_execz .LBB192_448
.LBB192_469:
	ds_read_b32 v9, v7 offset:256
	s_waitcnt lgkmcnt(0)
	v_add_f32_e32 v5, v5, v9
	s_or_b32 exec_lo, exec_lo, s0
	s_and_saveexec_b32 s0, vcc_lo
	s_cbranch_execnz .LBB192_449
	s_branch .LBB192_450
.LBB192_470:
	ds_read_b32 v8, v7
	s_waitcnt lgkmcnt(0)
	v_add_f32_e32 v1, v1, v8
	s_or_b32 exec_lo, exec_lo, s0
	s_and_saveexec_b32 s0, vcc_lo
	s_cbranch_execz .LBB192_456
.LBB192_471:
	ds_read_b32 v8, v7 offset:64
	s_waitcnt lgkmcnt(0)
	v_add_f32_e32 v2, v2, v8
	s_or_b32 exec_lo, exec_lo, s0
	s_and_saveexec_b32 s0, vcc_lo
	s_cbranch_execz .LBB192_457
.LBB192_472:
	ds_read_b32 v8, v7 offset:128
	s_waitcnt lgkmcnt(0)
	v_add_f32_e32 v3, v3, v8
	s_or_b32 exec_lo, exec_lo, s0
	s_and_saveexec_b32 s0, vcc_lo
	s_cbranch_execz .LBB192_458
.LBB192_473:
	ds_read_b32 v8, v7 offset:192
	s_waitcnt lgkmcnt(0)
	v_add_f32_e32 v4, v4, v8
	s_or_b32 exec_lo, exec_lo, s0
	s_and_saveexec_b32 s0, vcc_lo
	s_cbranch_execz .LBB192_459
.LBB192_474:
	ds_read_b32 v8, v7 offset:256
	s_waitcnt lgkmcnt(0)
	v_add_f32_e32 v5, v5, v8
	s_or_b32 exec_lo, exec_lo, s0
	s_and_saveexec_b32 s0, vcc_lo
	s_cbranch_execnz .LBB192_460
	s_branch .LBB192_461
	.section	.rodata,"a",@progbits
	.p2align	6, 0x0
	.amdhsa_kernel _ZN4vllm25paged_attention_v2_kernelIfhLi96ELi8ELi128ELNS_18Fp8KVCacheDataTypeE1ELb1ELi512EEEvPfS2_PT_PKS3_PKT0_S9_ifPKiSB_iPKfiiiSD_SD_iiiii
		.amdhsa_group_segment_fixed_size 416
		.amdhsa_private_segment_fixed_size 0
		.amdhsa_kernarg_size 400
		.amdhsa_user_sgpr_count 6
		.amdhsa_user_sgpr_private_segment_buffer 1
		.amdhsa_user_sgpr_dispatch_ptr 0
		.amdhsa_user_sgpr_queue_ptr 0
		.amdhsa_user_sgpr_kernarg_segment_ptr 1
		.amdhsa_user_sgpr_dispatch_id 0
		.amdhsa_user_sgpr_flat_scratch_init 0
		.amdhsa_user_sgpr_private_segment_size 0
		.amdhsa_wavefront_size32 1
		.amdhsa_uses_dynamic_stack 0
		.amdhsa_system_sgpr_private_segment_wavefront_offset 0
		.amdhsa_system_sgpr_workgroup_id_x 1
		.amdhsa_system_sgpr_workgroup_id_y 1
		.amdhsa_system_sgpr_workgroup_id_z 1
		.amdhsa_system_sgpr_workgroup_info 0
		.amdhsa_system_vgpr_workitem_id 0
		.amdhsa_next_free_vgpr 77
		.amdhsa_next_free_sgpr 53
		.amdhsa_reserve_vcc 1
		.amdhsa_reserve_flat_scratch 0
		.amdhsa_float_round_mode_32 0
		.amdhsa_float_round_mode_16_64 0
		.amdhsa_float_denorm_mode_32 3
		.amdhsa_float_denorm_mode_16_64 3
		.amdhsa_dx10_clamp 1
		.amdhsa_ieee_mode 1
		.amdhsa_fp16_overflow 0
		.amdhsa_workgroup_processor_mode 1
		.amdhsa_memory_ordered 1
		.amdhsa_forward_progress 1
		.amdhsa_shared_vgpr_count 0
		.amdhsa_exception_fp_ieee_invalid_op 0
		.amdhsa_exception_fp_denorm_src 0
		.amdhsa_exception_fp_ieee_div_zero 0
		.amdhsa_exception_fp_ieee_overflow 0
		.amdhsa_exception_fp_ieee_underflow 0
		.amdhsa_exception_fp_ieee_inexact 0
		.amdhsa_exception_int_div_zero 0
	.end_amdhsa_kernel
	.section	.text._ZN4vllm25paged_attention_v2_kernelIfhLi96ELi8ELi128ELNS_18Fp8KVCacheDataTypeE1ELb1ELi512EEEvPfS2_PT_PKS3_PKT0_S9_ifPKiSB_iPKfiiiSD_SD_iiiii,"axG",@progbits,_ZN4vllm25paged_attention_v2_kernelIfhLi96ELi8ELi128ELNS_18Fp8KVCacheDataTypeE1ELb1ELi512EEEvPfS2_PT_PKS3_PKT0_S9_ifPKiSB_iPKfiiiSD_SD_iiiii,comdat
.Lfunc_end192:
	.size	_ZN4vllm25paged_attention_v2_kernelIfhLi96ELi8ELi128ELNS_18Fp8KVCacheDataTypeE1ELb1ELi512EEEvPfS2_PT_PKS3_PKT0_S9_ifPKiSB_iPKfiiiSD_SD_iiiii, .Lfunc_end192-_ZN4vllm25paged_attention_v2_kernelIfhLi96ELi8ELi128ELNS_18Fp8KVCacheDataTypeE1ELb1ELi512EEEvPfS2_PT_PKS3_PKT0_S9_ifPKiSB_iPKfiiiSD_SD_iiiii
                                        ; -- End function
	.set _ZN4vllm25paged_attention_v2_kernelIfhLi96ELi8ELi128ELNS_18Fp8KVCacheDataTypeE1ELb1ELi512EEEvPfS2_PT_PKS3_PKT0_S9_ifPKiSB_iPKfiiiSD_SD_iiiii.num_vgpr, 77
	.set _ZN4vllm25paged_attention_v2_kernelIfhLi96ELi8ELi128ELNS_18Fp8KVCacheDataTypeE1ELb1ELi512EEEvPfS2_PT_PKS3_PKT0_S9_ifPKiSB_iPKfiiiSD_SD_iiiii.num_agpr, 0
	.set _ZN4vllm25paged_attention_v2_kernelIfhLi96ELi8ELi128ELNS_18Fp8KVCacheDataTypeE1ELb1ELi512EEEvPfS2_PT_PKS3_PKT0_S9_ifPKiSB_iPKfiiiSD_SD_iiiii.numbered_sgpr, 53
	.set _ZN4vllm25paged_attention_v2_kernelIfhLi96ELi8ELi128ELNS_18Fp8KVCacheDataTypeE1ELb1ELi512EEEvPfS2_PT_PKS3_PKT0_S9_ifPKiSB_iPKfiiiSD_SD_iiiii.num_named_barrier, 0
	.set _ZN4vllm25paged_attention_v2_kernelIfhLi96ELi8ELi128ELNS_18Fp8KVCacheDataTypeE1ELb1ELi512EEEvPfS2_PT_PKS3_PKT0_S9_ifPKiSB_iPKfiiiSD_SD_iiiii.private_seg_size, 0
	.set _ZN4vllm25paged_attention_v2_kernelIfhLi96ELi8ELi128ELNS_18Fp8KVCacheDataTypeE1ELb1ELi512EEEvPfS2_PT_PKS3_PKT0_S9_ifPKiSB_iPKfiiiSD_SD_iiiii.uses_vcc, 1
	.set _ZN4vllm25paged_attention_v2_kernelIfhLi96ELi8ELi128ELNS_18Fp8KVCacheDataTypeE1ELb1ELi512EEEvPfS2_PT_PKS3_PKT0_S9_ifPKiSB_iPKfiiiSD_SD_iiiii.uses_flat_scratch, 0
	.set _ZN4vllm25paged_attention_v2_kernelIfhLi96ELi8ELi128ELNS_18Fp8KVCacheDataTypeE1ELb1ELi512EEEvPfS2_PT_PKS3_PKT0_S9_ifPKiSB_iPKfiiiSD_SD_iiiii.has_dyn_sized_stack, 0
	.set _ZN4vllm25paged_attention_v2_kernelIfhLi96ELi8ELi128ELNS_18Fp8KVCacheDataTypeE1ELb1ELi512EEEvPfS2_PT_PKS3_PKT0_S9_ifPKiSB_iPKfiiiSD_SD_iiiii.has_recursion, 0
	.set _ZN4vllm25paged_attention_v2_kernelIfhLi96ELi8ELi128ELNS_18Fp8KVCacheDataTypeE1ELb1ELi512EEEvPfS2_PT_PKS3_PKT0_S9_ifPKiSB_iPKfiiiSD_SD_iiiii.has_indirect_call, 0
	.section	.AMDGPU.csdata,"",@progbits
; Kernel info:
; codeLenInByte = 14200
; TotalNumSgprs: 55
; NumVgprs: 77
; ScratchSize: 0
; MemoryBound: 0
; FloatMode: 240
; IeeeMode: 1
; LDSByteSize: 416 bytes/workgroup (compile time only)
; SGPRBlocks: 0
; VGPRBlocks: 9
; NumSGPRsForWavesPerEU: 55
; NumVGPRsForWavesPerEU: 77
; Occupancy: 12
; WaveLimiterHint : 1
; COMPUTE_PGM_RSRC2:SCRATCH_EN: 0
; COMPUTE_PGM_RSRC2:USER_SGPR: 6
; COMPUTE_PGM_RSRC2:TRAP_HANDLER: 0
; COMPUTE_PGM_RSRC2:TGID_X_EN: 1
; COMPUTE_PGM_RSRC2:TGID_Y_EN: 1
; COMPUTE_PGM_RSRC2:TGID_Z_EN: 1
; COMPUTE_PGM_RSRC2:TIDIG_COMP_CNT: 0
	.section	.text._ZN4vllm25paged_attention_v2_kernelIfhLi112ELi8ELi128ELNS_18Fp8KVCacheDataTypeE1ELb1ELi512EEEvPfS2_PT_PKS3_PKT0_S9_ifPKiSB_iPKfiiiSD_SD_iiiii,"axG",@progbits,_ZN4vllm25paged_attention_v2_kernelIfhLi112ELi8ELi128ELNS_18Fp8KVCacheDataTypeE1ELb1ELi512EEEvPfS2_PT_PKS3_PKT0_S9_ifPKiSB_iPKfiiiSD_SD_iiiii,comdat
	.protected	_ZN4vllm25paged_attention_v2_kernelIfhLi112ELi8ELi128ELNS_18Fp8KVCacheDataTypeE1ELb1ELi512EEEvPfS2_PT_PKS3_PKT0_S9_ifPKiSB_iPKfiiiSD_SD_iiiii ; -- Begin function _ZN4vllm25paged_attention_v2_kernelIfhLi112ELi8ELi128ELNS_18Fp8KVCacheDataTypeE1ELb1ELi512EEEvPfS2_PT_PKS3_PKT0_S9_ifPKiSB_iPKfiiiSD_SD_iiiii
	.globl	_ZN4vllm25paged_attention_v2_kernelIfhLi112ELi8ELi128ELNS_18Fp8KVCacheDataTypeE1ELb1ELi512EEEvPfS2_PT_PKS3_PKT0_S9_ifPKiSB_iPKfiiiSD_SD_iiiii
	.p2align	8
	.type	_ZN4vllm25paged_attention_v2_kernelIfhLi112ELi8ELi128ELNS_18Fp8KVCacheDataTypeE1ELb1ELi512EEEvPfS2_PT_PKS3_PKT0_S9_ifPKiSB_iPKfiiiSD_SD_iiiii,@function
_ZN4vllm25paged_attention_v2_kernelIfhLi112ELi8ELi128ELNS_18Fp8KVCacheDataTypeE1ELb1ELi512EEEvPfS2_PT_PKS3_PKT0_S9_ifPKiSB_iPKfiiiSD_SD_iiiii: ; @_ZN4vllm25paged_attention_v2_kernelIfhLi112ELi8ELi128ELNS_18Fp8KVCacheDataTypeE1ELb1ELi512EEEvPfS2_PT_PKS3_PKT0_S9_ifPKiSB_iPKfiiiSD_SD_iiiii
; %bb.0:
	s_load_dwordx2 s[0:1], s[4:5], 0x40
	s_mov_b32 s30, s7
	s_ashr_i32 s31, s7, 31
	s_lshl_b64 s[2:3], s[30:31], 2
	s_waitcnt lgkmcnt(0)
	s_add_u32 s0, s0, s2
	s_addc_u32 s1, s1, s3
	s_lshl_b32 s42, s8, 9
	s_load_dword s31, s[0:1], 0x0
	s_waitcnt lgkmcnt(0)
	s_cmp_ge_i32 s42, s31
	s_cbranch_scc1 .LBB193_532
; %bb.1:
	s_clause 0x1
	s_load_dword s9, s[4:5], 0x90
	s_load_dwordx2 s[40:41], s[4:5], 0x30
	s_mov_b32 s43, 0
	s_waitcnt lgkmcnt(0)
	s_abs_i32 s3, s9
	s_abs_i32 s0, s40
	v_cvt_f32_u32_e32 v1, s0
	s_sub_i32 s2, 0, s0
	v_rcp_iflag_f32_e32 v1, v1
	v_mul_f32_e32 v1, 0x4f7ffffe, v1
	v_cvt_u32_f32_e32 v1, v1
	v_readfirstlane_b32 s1, v1
	s_mul_i32 s2, s2, s1
	s_mul_hi_u32 s2, s1, s2
	s_add_i32 s1, s1, s2
	s_xor_b32 s2, s9, s40
	s_mul_hi_u32 s1, s3, s1
	s_ashr_i32 s2, s2, 31
	s_mul_i32 s7, s1, s0
	s_sub_i32 s3, s3, s7
	s_add_i32 s7, s1, 1
	s_sub_i32 s10, s3, s0
	s_cmp_ge_u32 s3, s0
	s_cselect_b32 s1, s7, s1
	s_cselect_b32 s3, s10, s3
	s_add_i32 s7, s1, 1
	s_cmp_ge_u32 s3, s0
	s_cselect_b32 s0, s7, s1
	s_xor_b32 s0, s0, s2
	s_sub_i32 s10, s0, s2
	s_load_dwordx2 s[0:1], s[4:5], 0x50
	s_abs_i32 s2, s10
	v_cvt_f32_u32_e32 v1, s2
	s_sub_i32 s3, 0, s2
	v_rcp_iflag_f32_e32 v1, v1
	v_mul_f32_e32 v1, 0x4f7ffffe, v1
	v_cvt_u32_f32_e32 v1, v1
	v_readfirstlane_b32 s7, v1
	s_mul_i32 s3, s3, s7
	s_mul_hi_u32 s11, s7, s3
	s_abs_i32 s3, s6
	s_add_i32 s7, s7, s11
	s_waitcnt lgkmcnt(0)
	s_cmp_eq_u64 s[0:1], 0
	s_mul_hi_u32 s12, s3, s7
	s_cbranch_scc1 .LBB193_3
; %bb.2:
	s_ashr_i32 s7, s6, 31
	s_lshl_b64 s[14:15], s[6:7], 2
	s_add_u32 s0, s0, s14
	s_addc_u32 s1, s1, s15
	s_load_dword s43, s[0:1], 0x0
.LBB193_3:
	s_load_dwordx4 s[16:19], s[4:5], 0x58
	v_and_b32_e32 v1, 3, v0
	v_lshlrev_b32_e32 v41, 2, v0
	s_ashr_i32 s0, s6, 31
	s_ashr_i32 s1, s10, 31
	s_mul_i32 s10, s6, 0x70
	s_mov_b32 s7, exec_lo
	v_cmpx_gt_u32_e32 0x70, v0
	s_cbranch_execz .LBB193_5
; %bb.4:
	s_load_dwordx2 s[14:15], s[4:5], 0x18
	s_waitcnt lgkmcnt(0)
	s_mul_i32 s20, s16, s30
	v_and_b32_e32 v3, 0x3fc, v0
	s_ashr_i32 s21, s20, 31
	s_lshl_b64 s[20:21], s[20:21], 2
	v_mad_u32_u24 v3, 0x70, v1, v3
	s_add_u32 s13, s14, s20
	s_addc_u32 s16, s15, s21
	s_ashr_i32 s11, s10, 31
	s_lshl_b64 s[14:15], s[10:11], 2
	s_add_u32 s14, s13, s14
	s_addc_u32 s15, s16, s15
	global_load_dword v2, v41, s[14:15]
	s_waitcnt vmcnt(0)
	ds_write_b32 v3, v2
.LBB193_5:
	s_or_b32 exec_lo, exec_lo, s7
	s_load_dwordx4 s[20:23], s[4:5], 0x78
	s_mul_i32 s7, s12, s2
	s_xor_b32 s0, s0, s1
	s_sub_i32 s1, s3, s7
	s_add_i32 s3, s12, 1
	s_sub_i32 s7, s1, s2
	s_cmp_ge_u32 s1, s2
                                        ; implicit-def: $sgpr19
	s_cselect_b32 s3, s3, s12
	s_cselect_b32 s1, s7, s1
	s_add_i32 s7, s3, 1
	s_cmp_ge_u32 s1, s2
	s_mov_b32 s12, -1
	s_cselect_b32 s1, s7, s3
	s_load_dword s3, s[4:5], 0x88
	s_xor_b32 s1, s1, s0
	s_add_i32 s7, s31, -1
	s_sub_i32 s1, s1, s0
	s_abs_i32 s2, s7
	s_waitcnt lgkmcnt(0)
	s_abs_i32 s11, s23
	s_barrier
	v_cvt_f32_u32_e32 v2, s11
	s_sub_i32 s0, 0, s11
	buffer_gl0_inv
	v_rcp_iflag_f32_e32 v2, v2
	v_mul_f32_e32 v2, 0x4f7ffffe, v2
	v_cvt_u32_f32_e32 v2, v2
	v_readfirstlane_b32 s16, v2
	s_mul_i32 s0, s0, s16
	s_mul_hi_u32 s0, s16, s0
	s_add_i32 s16, s16, s0
	s_cmp_lt_i32 s3, 0
	s_mul_hi_u32 s0, s2, s16
	s_cbranch_scc0 .LBB193_7
; %bb.6:
	s_mul_i32 s12, s20, s40
	s_add_i32 s12, s1, s12
	s_mul_i32 s12, s12, s3
	s_sub_i32 s19, 1, s12
	s_mov_b32 s12, 0
.LBB193_7:
	s_load_dwordx2 s[34:35], s[4:5], 0x38
	s_ashr_i32 s33, s7, 31
	s_andn2_b32 vcc_lo, exec_lo, s12
	s_ashr_i32 s23, s23, 31
	s_cbranch_vccnz .LBB193_9
; %bb.8:
	s_mul_i32 s7, s9, s20
	s_add_i32 s7, s7, s6
	s_mul_i32 s3, s7, s3
	s_add_i32 s19, s3, 1
.LBB193_9:
	s_clause 0x5
	s_load_dword s3, s[4:5], 0x48
	s_load_dwordx2 s[38:39], s[4:5], 0x28
	s_load_dwordx4 s[24:27], s[4:5], 0x0
	s_load_dwordx2 s[28:29], s[4:5], 0x10
	s_load_dword s7, s[4:5], 0x98
	s_load_dwordx4 s[12:15], s[4:5], 0x68
	s_mul_i32 s20, s0, s11
	s_xor_b32 s40, s33, s23
	s_sub_i32 s2, s2, s20
	s_add_i32 s33, s0, 1
	v_lshrrev_b32_e32 v39, 5, v0
	v_mov_b32_e32 v43, 0xff7fffff
	v_mbcnt_lo_u32_b32 v42, -1, 0
	s_mul_i32 s18, s1, s18
	v_lshl_add_u32 v40, v39, 3, s42
	s_waitcnt lgkmcnt(0)
	s_mul_i32 s36, s3, s30
	s_sub_i32 s3, s2, s11
	s_ashr_i32 s37, s36, 31
	s_cmp_ge_u32 s2, s11
	s_cselect_b32 s0, s33, s0
	s_cselect_b32 s2, s3, s2
	s_add_i32 s3, s0, 1
	s_cmp_ge_u32 s2, s11
	s_cselect_b32 s0, s3, s0
	s_add_i32 s2, s31, 7
	s_lshl_b32 s44, s8, 6
	s_ashr_i32 s3, s2, 31
	v_or_b32_e32 v29, s44, v39
	s_lshr_b32 s3, s3, 29
	s_add_i32 s2, s2, s3
	s_add_i32 s3, s44, 64
	s_ashr_i32 s33, s2, 3
	s_xor_b32 s2, s0, s40
	s_min_i32 s20, s3, s33
	v_ashrrev_i32_e32 v30, 31, v29
	v_cmp_gt_i32_e64 s0, s20, v29
	s_sub_i32 s40, s2, s40
	s_and_saveexec_b32 s45, s0
	s_cbranch_execz .LBB193_245
; %bb.10:
	s_load_dwordx2 s[2:3], s[4:5], 0x20
	s_sub_i32 s4, s40, s21
	s_ashr_i32 s1, s18, 31
	v_bfe_u32 v44, v0, 2, 3
	v_mov_b32_e32 v32, 0
	v_mul_u32_u24_e32 v45, 0x70, v1
	v_lshl_add_u32 v46, v39, 3, s42
	v_mov_b32_e32 v47, 0xff7fffff
	v_lshlrev_b32_e32 v5, 2, v44
	v_subrev_nc_u32_e32 v6, s31, v44
	v_lshlrev_b32_e32 v7, 4, v44
	v_mov_b32_e32 v48, 0x7f
	v_mov_b32_e32 v49, 7
	v_lshl_or_b32 v5, v39, 5, v5
	v_add_nc_u32_e32 v50, 1, v6
	v_mov_b32_e32 v43, 0xff7fffff
	v_mov_b32_e32 v53, v29
	v_cmp_eq_u32_e32 vcc_lo, 0, v1
	v_add_nc_u32_e32 v51, 0x1e0, v5
	s_waitcnt lgkmcnt(0)
	s_add_u32 s46, s2, s18
	s_addc_u32 s47, s3, s1
	s_abs_i32 s5, s22
	v_add_co_u32 v6, s46, s46, v7
	v_cvt_f32_u32_e32 v2, s5
	s_sub_i32 s2, 0, s5
	v_add_co_ci_u32_e64 v7, null, s47, 0, s46
	v_cmp_neq_f32_e64 s1, s43, 0
	v_rcp_iflag_f32_e32 v4, v2
	v_lshlrev_b64 v[2:3], 2, v[29:30]
	s_mov_b32 s46, 0
	s_mov_b32 s47, s17
	v_mul_f32_e32 v4, 0x4f7ffffe, v4
	v_cvt_u32_f32_e32 v4, v4
	v_mul_lo_u32 v5, s2, v4
	s_lshl_b64 s[2:3], s[36:37], 2
	s_add_u32 s2, s34, s2
	s_addc_u32 s3, s35, s3
	v_add_co_u32 v33, s2, s2, v2
	v_add_co_ci_u32_e64 v34, null, s3, v3, s2
	v_mul_hi_u32 v5, v4, v5
	v_add_co_u32 v35, s2, v6, v1
	v_add_co_ci_u32_e64 v36, null, 0, v7, s2
	v_add_nc_u32_e32 v52, v4, v5
	s_branch .LBB193_13
.LBB193_11:                             ;   in Loop: Header=BB193_13 Depth=1
	s_or_b32 exec_lo, exec_lo, s48
.LBB193_12:                             ;   in Loop: Header=BB193_13 Depth=1
	s_or_b32 exec_lo, exec_lo, s3
	v_add_nc_u32_e32 v53, 4, v53
	v_add_co_u32 v33, s3, v33, 16
	v_add_co_ci_u32_e64 v34, null, 0, v34, s3
	v_cmp_le_i32_e64 s2, s20, v53
	v_add_nc_u32_e32 v46, 32, v46
	v_add_nc_u32_e32 v51, 0x80, v51
	s_or_b32 s46, s2, s46
	s_andn2_b32 exec_lo, exec_lo, s46
	s_cbranch_execz .LBB193_244
.LBB193_13:                             ; =>This Inner Loop Header: Depth=1
	v_sub_nc_u32_e32 v1, 0, v46
	v_max_i32_e32 v1, v46, v1
	s_waitcnt lgkmcnt(0)
	v_mul_hi_u32 v2, v1, s16
	v_mul_lo_u32 v3, v2, s11
	v_sub_nc_u32_e32 v1, v1, v3
	v_add_nc_u32_e32 v3, 1, v2
	v_subrev_nc_u32_e32 v4, s11, v1
	v_cmp_le_u32_e64 s2, s11, v1
	v_cndmask_b32_e64 v2, v2, v3, s2
	v_cndmask_b32_e64 v1, v1, v4, s2
	v_ashrrev_i32_e32 v3, 31, v46
	v_add_nc_u32_e32 v4, 1, v2
	v_cmp_le_u32_e64 s2, s11, v1
	v_xor_b32_e32 v3, s23, v3
	v_cndmask_b32_e64 v1, v2, v4, s2
	v_xor_b32_e32 v1, v1, v3
	v_sub_nc_u32_e32 v1, v1, v3
	v_add_nc_u32_e32 v2, s19, v1
	v_cmp_ge_i32_e64 s3, s4, v1
	v_sub_nc_u32_e32 v3, 0, v2
	v_max_i32_e32 v3, v2, v3
	v_ashrrev_i32_e32 v2, 31, v2
	v_mul_hi_u32 v4, v3, v52
	v_mul_lo_u32 v4, v4, s5
	v_sub_nc_u32_e32 v3, v3, v4
	v_subrev_nc_u32_e32 v4, s5, v3
	v_cmp_le_u32_e64 s2, s5, v3
	v_cndmask_b32_e64 v3, v3, v4, s2
	v_subrev_nc_u32_e32 v4, s5, v3
	v_cmp_le_u32_e64 s2, s5, v3
	v_cndmask_b32_e64 v3, v3, v4, s2
	v_xor_b32_e32 v3, v3, v2
	v_sub_nc_u32_e32 v2, v3, v2
	v_cmp_ne_u32_e64 s2, 0, v2
	s_and_b32 s2, s2, s3
	s_and_saveexec_b32 s3, s2
	s_xor_b32 s2, exec_lo, s3
	s_cbranch_execz .LBB193_17
; %bb.14:                               ;   in Loop: Header=BB193_13 Depth=1
	s_and_saveexec_b32 s3, vcc_lo
; %bb.15:                               ;   in Loop: Header=BB193_13 Depth=1
	ds_write_b32 v51, v47
; %bb.16:                               ;   in Loop: Header=BB193_13 Depth=1
	s_or_b32 exec_lo, exec_lo, s3
.LBB193_17:                             ;   in Loop: Header=BB193_13 Depth=1
	s_andn2_saveexec_b32 s3, s2
	s_cbranch_execz .LBB193_12
; %bb.18:                               ;   in Loop: Header=BB193_13 Depth=1
	global_load_dword v1, v[33:34], off
	v_mov_b32_e32 v54, 0
	v_mov_b32_e32 v55, 0
	s_mov_b32 s49, exec_lo
	s_waitcnt vmcnt(0)
	v_mad_i64_i32 v[37:38], null, v1, s47, v[35:36]
	global_load_ubyte v56, v[37:38], off
	ds_read_b128 v[25:28], v45
	ds_read_b128 v[21:24], v45 offset:16
	ds_read_b128 v[17:20], v45 offset:32
	;; [unrolled: 1-line block ×6, first 2 shown]
	s_load_dword s48, s[12:13], 0x0
	s_waitcnt vmcnt(0)
	v_cmpx_ne_u16_e32 0, v56
	s_cbranch_execz .LBB193_26
; %bb.19:                               ;   in Loop: Header=BB193_13 Depth=1
	v_bfrev_b32_e32 v55, 1
	s_mov_b32 s50, exec_lo
	v_cmpx_ne_u16_e32 0x80, v56
	s_cbranch_execz .LBB193_25
; %bb.20:                               ;   in Loop: Header=BB193_13 Depth=1
	v_and_b32_sdwa v57, v56, v48 dst_sel:DWORD dst_unused:UNUSED_PAD src0_sel:WORD_0 src1_sel:DWORD
	v_mov_b32_e32 v55, 0x7f800001
	s_mov_b32 s51, exec_lo
	v_cmpx_ne_u32_e32 0x7f, v57
	s_cbranch_execz .LBB193_24
; %bb.21:                               ;   in Loop: Header=BB193_13 Depth=1
	v_and_b32_sdwa v31, v56, v49 dst_sel:DWORD dst_unused:UNUSED_PAD src0_sel:WORD_0 src1_sel:DWORD
	v_lshrrev_b32_e32 v55, 3, v57
	s_mov_b32 s52, exec_lo
	v_cmpx_gt_u32_e32 8, v57
; %bb.22:                               ;   in Loop: Header=BB193_13 Depth=1
	v_ffbh_u32_e32 v55, v31
	v_min_u32_e32 v55, 32, v55
	v_subrev_nc_u32_e32 v57, 28, v55
	v_sub_nc_u32_e32 v55, 29, v55
	v_lshlrev_b64 v[57:58], v57, v[31:32]
	v_and_b32_e32 v31, 7, v57
; %bb.23:                               ;   in Loop: Header=BB193_13 Depth=1
	s_or_b32 exec_lo, exec_lo, s52
	v_lshlrev_b32_e32 v56, 24, v56
	v_lshlrev_b32_e32 v31, 20, v31
	v_lshl_add_u32 v55, v55, 23, 0x3c000000
	v_and_b32_e32 v56, 0x80000000, v56
	v_or3_b32 v55, v31, v56, v55
.LBB193_24:                             ;   in Loop: Header=BB193_13 Depth=1
	s_or_b32 exec_lo, exec_lo, s51
.LBB193_25:                             ;   in Loop: Header=BB193_13 Depth=1
	s_or_b32 exec_lo, exec_lo, s50
.LBB193_26:                             ;   in Loop: Header=BB193_13 Depth=1
	s_or_b32 exec_lo, exec_lo, s49
	global_load_ubyte v56, v[37:38], off offset:4
	s_mov_b32 s49, exec_lo
	s_waitcnt vmcnt(0)
	v_cmpx_ne_u16_e32 0, v56
	s_cbranch_execz .LBB193_34
; %bb.27:                               ;   in Loop: Header=BB193_13 Depth=1
	v_bfrev_b32_e32 v54, 1
	s_mov_b32 s50, exec_lo
	v_cmpx_ne_u16_e32 0x80, v56
	s_cbranch_execz .LBB193_33
; %bb.28:                               ;   in Loop: Header=BB193_13 Depth=1
	v_and_b32_sdwa v57, v56, v48 dst_sel:DWORD dst_unused:UNUSED_PAD src0_sel:WORD_0 src1_sel:DWORD
	v_mov_b32_e32 v54, 0x7f800001
	s_mov_b32 s51, exec_lo
	v_cmpx_ne_u32_e32 0x7f, v57
	s_cbranch_execz .LBB193_32
; %bb.29:                               ;   in Loop: Header=BB193_13 Depth=1
	v_and_b32_sdwa v31, v56, v49 dst_sel:DWORD dst_unused:UNUSED_PAD src0_sel:WORD_0 src1_sel:DWORD
	v_lshrrev_b32_e32 v54, 3, v57
	s_mov_b32 s52, exec_lo
	v_cmpx_gt_u32_e32 8, v57
; %bb.30:                               ;   in Loop: Header=BB193_13 Depth=1
	v_ffbh_u32_e32 v54, v31
	v_min_u32_e32 v54, 32, v54
	v_subrev_nc_u32_e32 v57, 28, v54
	v_sub_nc_u32_e32 v54, 29, v54
	v_lshlrev_b64 v[57:58], v57, v[31:32]
	v_and_b32_e32 v31, 7, v57
; %bb.31:                               ;   in Loop: Header=BB193_13 Depth=1
	s_or_b32 exec_lo, exec_lo, s52
	v_lshlrev_b32_e32 v56, 24, v56
	v_lshlrev_b32_e32 v31, 20, v31
	v_lshl_add_u32 v54, v54, 23, 0x3c000000
	v_and_b32_e32 v56, 0x80000000, v56
	v_or3_b32 v54, v31, v56, v54
.LBB193_32:                             ;   in Loop: Header=BB193_13 Depth=1
	s_or_b32 exec_lo, exec_lo, s51
.LBB193_33:                             ;   in Loop: Header=BB193_13 Depth=1
	s_or_b32 exec_lo, exec_lo, s50
.LBB193_34:                             ;   in Loop: Header=BB193_13 Depth=1
	s_or_b32 exec_lo, exec_lo, s49
	global_load_ubyte v58, v[37:38], off offset:8
	v_mov_b32_e32 v56, 0
	v_mov_b32_e32 v57, 0
	s_mov_b32 s49, exec_lo
	s_waitcnt vmcnt(0)
	v_cmpx_ne_u16_e32 0, v58
	s_cbranch_execz .LBB193_42
; %bb.35:                               ;   in Loop: Header=BB193_13 Depth=1
	v_bfrev_b32_e32 v57, 1
	s_mov_b32 s50, exec_lo
	v_cmpx_ne_u16_e32 0x80, v58
	s_cbranch_execz .LBB193_41
; %bb.36:                               ;   in Loop: Header=BB193_13 Depth=1
	v_and_b32_sdwa v59, v58, v48 dst_sel:DWORD dst_unused:UNUSED_PAD src0_sel:WORD_0 src1_sel:DWORD
	v_mov_b32_e32 v57, 0x7f800001
	s_mov_b32 s51, exec_lo
	v_cmpx_ne_u32_e32 0x7f, v59
	s_cbranch_execz .LBB193_40
; %bb.37:                               ;   in Loop: Header=BB193_13 Depth=1
	v_and_b32_sdwa v31, v58, v49 dst_sel:DWORD dst_unused:UNUSED_PAD src0_sel:WORD_0 src1_sel:DWORD
	v_lshrrev_b32_e32 v57, 3, v59
	s_mov_b32 s52, exec_lo
	v_cmpx_gt_u32_e32 8, v59
; %bb.38:                               ;   in Loop: Header=BB193_13 Depth=1
	v_ffbh_u32_e32 v57, v31
	v_min_u32_e32 v57, 32, v57
	v_subrev_nc_u32_e32 v59, 28, v57
	v_sub_nc_u32_e32 v57, 29, v57
	v_lshlrev_b64 v[59:60], v59, v[31:32]
	v_and_b32_e32 v31, 7, v59
; %bb.39:                               ;   in Loop: Header=BB193_13 Depth=1
	s_or_b32 exec_lo, exec_lo, s52
	v_lshlrev_b32_e32 v58, 24, v58
	v_lshlrev_b32_e32 v31, 20, v31
	v_lshl_add_u32 v57, v57, 23, 0x3c000000
	v_and_b32_e32 v58, 0x80000000, v58
	v_or3_b32 v57, v31, v58, v57
.LBB193_40:                             ;   in Loop: Header=BB193_13 Depth=1
	s_or_b32 exec_lo, exec_lo, s51
.LBB193_41:                             ;   in Loop: Header=BB193_13 Depth=1
	s_or_b32 exec_lo, exec_lo, s50
.LBB193_42:                             ;   in Loop: Header=BB193_13 Depth=1
	s_or_b32 exec_lo, exec_lo, s49
	global_load_ubyte v58, v[37:38], off offset:12
	s_mov_b32 s49, exec_lo
	s_waitcnt vmcnt(0)
	v_cmpx_ne_u16_e32 0, v58
	s_cbranch_execz .LBB193_50
; %bb.43:                               ;   in Loop: Header=BB193_13 Depth=1
	v_bfrev_b32_e32 v56, 1
	s_mov_b32 s50, exec_lo
	v_cmpx_ne_u16_e32 0x80, v58
	s_cbranch_execz .LBB193_49
; %bb.44:                               ;   in Loop: Header=BB193_13 Depth=1
	v_and_b32_sdwa v59, v58, v48 dst_sel:DWORD dst_unused:UNUSED_PAD src0_sel:WORD_0 src1_sel:DWORD
	v_mov_b32_e32 v56, 0x7f800001
	s_mov_b32 s51, exec_lo
	v_cmpx_ne_u32_e32 0x7f, v59
	s_cbranch_execz .LBB193_48
; %bb.45:                               ;   in Loop: Header=BB193_13 Depth=1
	v_and_b32_sdwa v31, v58, v49 dst_sel:DWORD dst_unused:UNUSED_PAD src0_sel:WORD_0 src1_sel:DWORD
	v_lshrrev_b32_e32 v56, 3, v59
	s_mov_b32 s52, exec_lo
	v_cmpx_gt_u32_e32 8, v59
; %bb.46:                               ;   in Loop: Header=BB193_13 Depth=1
	v_ffbh_u32_e32 v56, v31
	v_min_u32_e32 v56, 32, v56
	v_subrev_nc_u32_e32 v59, 28, v56
	v_sub_nc_u32_e32 v56, 29, v56
	v_lshlrev_b64 v[59:60], v59, v[31:32]
	v_and_b32_e32 v31, 7, v59
; %bb.47:                               ;   in Loop: Header=BB193_13 Depth=1
	s_or_b32 exec_lo, exec_lo, s52
	v_lshlrev_b32_e32 v58, 24, v58
	v_lshlrev_b32_e32 v31, 20, v31
	v_lshl_add_u32 v56, v56, 23, 0x3c000000
	v_and_b32_e32 v58, 0x80000000, v58
	v_or3_b32 v56, v31, v58, v56
.LBB193_48:                             ;   in Loop: Header=BB193_13 Depth=1
	s_or_b32 exec_lo, exec_lo, s51
.LBB193_49:                             ;   in Loop: Header=BB193_13 Depth=1
	s_or_b32 exec_lo, exec_lo, s50
.LBB193_50:                             ;   in Loop: Header=BB193_13 Depth=1
	s_or_b32 exec_lo, exec_lo, s49
	global_load_ubyte v60, v[37:38], off offset:128
	v_mov_b32_e32 v58, 0
	v_mov_b32_e32 v59, 0
	s_mov_b32 s49, exec_lo
	s_waitcnt vmcnt(0)
	v_cmpx_ne_u16_e32 0, v60
	s_cbranch_execz .LBB193_58
; %bb.51:                               ;   in Loop: Header=BB193_13 Depth=1
	v_bfrev_b32_e32 v59, 1
	s_mov_b32 s50, exec_lo
	v_cmpx_ne_u16_e32 0x80, v60
	s_cbranch_execz .LBB193_57
; %bb.52:                               ;   in Loop: Header=BB193_13 Depth=1
	v_and_b32_sdwa v61, v60, v48 dst_sel:DWORD dst_unused:UNUSED_PAD src0_sel:WORD_0 src1_sel:DWORD
	v_mov_b32_e32 v59, 0x7f800001
	s_mov_b32 s51, exec_lo
	v_cmpx_ne_u32_e32 0x7f, v61
	s_cbranch_execz .LBB193_56
; %bb.53:                               ;   in Loop: Header=BB193_13 Depth=1
	v_and_b32_sdwa v31, v60, v49 dst_sel:DWORD dst_unused:UNUSED_PAD src0_sel:WORD_0 src1_sel:DWORD
	v_lshrrev_b32_e32 v59, 3, v61
	s_mov_b32 s52, exec_lo
	v_cmpx_gt_u32_e32 8, v61
; %bb.54:                               ;   in Loop: Header=BB193_13 Depth=1
	v_ffbh_u32_e32 v59, v31
	v_min_u32_e32 v59, 32, v59
	v_subrev_nc_u32_e32 v61, 28, v59
	v_sub_nc_u32_e32 v59, 29, v59
	v_lshlrev_b64 v[61:62], v61, v[31:32]
	v_and_b32_e32 v31, 7, v61
; %bb.55:                               ;   in Loop: Header=BB193_13 Depth=1
	s_or_b32 exec_lo, exec_lo, s52
	v_lshlrev_b32_e32 v60, 24, v60
	v_lshlrev_b32_e32 v31, 20, v31
	v_lshl_add_u32 v59, v59, 23, 0x3c000000
	v_and_b32_e32 v60, 0x80000000, v60
	v_or3_b32 v59, v31, v60, v59
.LBB193_56:                             ;   in Loop: Header=BB193_13 Depth=1
	s_or_b32 exec_lo, exec_lo, s51
.LBB193_57:                             ;   in Loop: Header=BB193_13 Depth=1
	s_or_b32 exec_lo, exec_lo, s50
.LBB193_58:                             ;   in Loop: Header=BB193_13 Depth=1
	s_or_b32 exec_lo, exec_lo, s49
	global_load_ubyte v60, v[37:38], off offset:132
	s_mov_b32 s49, exec_lo
	s_waitcnt vmcnt(0)
	v_cmpx_ne_u16_e32 0, v60
	s_cbranch_execz .LBB193_66
; %bb.59:                               ;   in Loop: Header=BB193_13 Depth=1
	v_bfrev_b32_e32 v58, 1
	s_mov_b32 s50, exec_lo
	v_cmpx_ne_u16_e32 0x80, v60
	s_cbranch_execz .LBB193_65
; %bb.60:                               ;   in Loop: Header=BB193_13 Depth=1
	v_and_b32_sdwa v61, v60, v48 dst_sel:DWORD dst_unused:UNUSED_PAD src0_sel:WORD_0 src1_sel:DWORD
	v_mov_b32_e32 v58, 0x7f800001
	s_mov_b32 s51, exec_lo
	v_cmpx_ne_u32_e32 0x7f, v61
	s_cbranch_execz .LBB193_64
; %bb.61:                               ;   in Loop: Header=BB193_13 Depth=1
	v_and_b32_sdwa v31, v60, v49 dst_sel:DWORD dst_unused:UNUSED_PAD src0_sel:WORD_0 src1_sel:DWORD
	v_lshrrev_b32_e32 v58, 3, v61
	s_mov_b32 s52, exec_lo
	v_cmpx_gt_u32_e32 8, v61
; %bb.62:                               ;   in Loop: Header=BB193_13 Depth=1
	v_ffbh_u32_e32 v58, v31
	v_min_u32_e32 v58, 32, v58
	v_subrev_nc_u32_e32 v61, 28, v58
	v_sub_nc_u32_e32 v58, 29, v58
	v_lshlrev_b64 v[61:62], v61, v[31:32]
	v_and_b32_e32 v31, 7, v61
; %bb.63:                               ;   in Loop: Header=BB193_13 Depth=1
	s_or_b32 exec_lo, exec_lo, s52
	v_lshlrev_b32_e32 v60, 24, v60
	v_lshlrev_b32_e32 v31, 20, v31
	v_lshl_add_u32 v58, v58, 23, 0x3c000000
	v_and_b32_e32 v60, 0x80000000, v60
	v_or3_b32 v58, v31, v60, v58
.LBB193_64:                             ;   in Loop: Header=BB193_13 Depth=1
	s_or_b32 exec_lo, exec_lo, s51
.LBB193_65:                             ;   in Loop: Header=BB193_13 Depth=1
	s_or_b32 exec_lo, exec_lo, s50
.LBB193_66:                             ;   in Loop: Header=BB193_13 Depth=1
	s_or_b32 exec_lo, exec_lo, s49
	global_load_ubyte v62, v[37:38], off offset:136
	v_mov_b32_e32 v60, 0
	v_mov_b32_e32 v61, 0
	s_mov_b32 s49, exec_lo
	s_waitcnt vmcnt(0)
	v_cmpx_ne_u16_e32 0, v62
	s_cbranch_execz .LBB193_74
; %bb.67:                               ;   in Loop: Header=BB193_13 Depth=1
	v_bfrev_b32_e32 v61, 1
	s_mov_b32 s50, exec_lo
	v_cmpx_ne_u16_e32 0x80, v62
	s_cbranch_execz .LBB193_73
; %bb.68:                               ;   in Loop: Header=BB193_13 Depth=1
	v_and_b32_sdwa v63, v62, v48 dst_sel:DWORD dst_unused:UNUSED_PAD src0_sel:WORD_0 src1_sel:DWORD
	v_mov_b32_e32 v61, 0x7f800001
	s_mov_b32 s51, exec_lo
	v_cmpx_ne_u32_e32 0x7f, v63
	s_cbranch_execz .LBB193_72
; %bb.69:                               ;   in Loop: Header=BB193_13 Depth=1
	v_and_b32_sdwa v31, v62, v49 dst_sel:DWORD dst_unused:UNUSED_PAD src0_sel:WORD_0 src1_sel:DWORD
	v_lshrrev_b32_e32 v61, 3, v63
	s_mov_b32 s52, exec_lo
	v_cmpx_gt_u32_e32 8, v63
; %bb.70:                               ;   in Loop: Header=BB193_13 Depth=1
	v_ffbh_u32_e32 v61, v31
	v_min_u32_e32 v61, 32, v61
	v_subrev_nc_u32_e32 v63, 28, v61
	v_sub_nc_u32_e32 v61, 29, v61
	v_lshlrev_b64 v[63:64], v63, v[31:32]
	v_and_b32_e32 v31, 7, v63
; %bb.71:                               ;   in Loop: Header=BB193_13 Depth=1
	s_or_b32 exec_lo, exec_lo, s52
	v_lshlrev_b32_e32 v62, 24, v62
	v_lshlrev_b32_e32 v31, 20, v31
	v_lshl_add_u32 v61, v61, 23, 0x3c000000
	v_and_b32_e32 v62, 0x80000000, v62
	v_or3_b32 v61, v31, v62, v61
.LBB193_72:                             ;   in Loop: Header=BB193_13 Depth=1
	s_or_b32 exec_lo, exec_lo, s51
.LBB193_73:                             ;   in Loop: Header=BB193_13 Depth=1
	s_or_b32 exec_lo, exec_lo, s50
.LBB193_74:                             ;   in Loop: Header=BB193_13 Depth=1
	s_or_b32 exec_lo, exec_lo, s49
	global_load_ubyte v62, v[37:38], off offset:140
	s_mov_b32 s49, exec_lo
	s_waitcnt vmcnt(0)
	v_cmpx_ne_u16_e32 0, v62
	s_cbranch_execz .LBB193_82
; %bb.75:                               ;   in Loop: Header=BB193_13 Depth=1
	v_bfrev_b32_e32 v60, 1
	s_mov_b32 s50, exec_lo
	v_cmpx_ne_u16_e32 0x80, v62
	s_cbranch_execz .LBB193_81
; %bb.76:                               ;   in Loop: Header=BB193_13 Depth=1
	v_and_b32_sdwa v63, v62, v48 dst_sel:DWORD dst_unused:UNUSED_PAD src0_sel:WORD_0 src1_sel:DWORD
	v_mov_b32_e32 v60, 0x7f800001
	s_mov_b32 s51, exec_lo
	v_cmpx_ne_u32_e32 0x7f, v63
	s_cbranch_execz .LBB193_80
; %bb.77:                               ;   in Loop: Header=BB193_13 Depth=1
	v_and_b32_sdwa v31, v62, v49 dst_sel:DWORD dst_unused:UNUSED_PAD src0_sel:WORD_0 src1_sel:DWORD
	v_lshrrev_b32_e32 v60, 3, v63
	s_mov_b32 s52, exec_lo
	v_cmpx_gt_u32_e32 8, v63
; %bb.78:                               ;   in Loop: Header=BB193_13 Depth=1
	v_ffbh_u32_e32 v60, v31
	v_min_u32_e32 v60, 32, v60
	v_subrev_nc_u32_e32 v63, 28, v60
	v_sub_nc_u32_e32 v60, 29, v60
	v_lshlrev_b64 v[63:64], v63, v[31:32]
	v_and_b32_e32 v31, 7, v63
; %bb.79:                               ;   in Loop: Header=BB193_13 Depth=1
	s_or_b32 exec_lo, exec_lo, s52
	v_lshlrev_b32_e32 v62, 24, v62
	v_lshlrev_b32_e32 v31, 20, v31
	v_lshl_add_u32 v60, v60, 23, 0x3c000000
	v_and_b32_e32 v62, 0x80000000, v62
	v_or3_b32 v60, v31, v62, v60
.LBB193_80:                             ;   in Loop: Header=BB193_13 Depth=1
	s_or_b32 exec_lo, exec_lo, s51
.LBB193_81:                             ;   in Loop: Header=BB193_13 Depth=1
	s_or_b32 exec_lo, exec_lo, s50
.LBB193_82:                             ;   in Loop: Header=BB193_13 Depth=1
	s_or_b32 exec_lo, exec_lo, s49
	global_load_ubyte v64, v[37:38], off offset:256
	v_mov_b32_e32 v62, 0
	v_mov_b32_e32 v63, 0
	s_mov_b32 s49, exec_lo
	s_waitcnt vmcnt(0)
	v_cmpx_ne_u16_e32 0, v64
	s_cbranch_execz .LBB193_90
; %bb.83:                               ;   in Loop: Header=BB193_13 Depth=1
	v_bfrev_b32_e32 v63, 1
	s_mov_b32 s50, exec_lo
	v_cmpx_ne_u16_e32 0x80, v64
	s_cbranch_execz .LBB193_89
; %bb.84:                               ;   in Loop: Header=BB193_13 Depth=1
	v_and_b32_sdwa v65, v64, v48 dst_sel:DWORD dst_unused:UNUSED_PAD src0_sel:WORD_0 src1_sel:DWORD
	v_mov_b32_e32 v63, 0x7f800001
	s_mov_b32 s51, exec_lo
	v_cmpx_ne_u32_e32 0x7f, v65
	s_cbranch_execz .LBB193_88
; %bb.85:                               ;   in Loop: Header=BB193_13 Depth=1
	v_and_b32_sdwa v31, v64, v49 dst_sel:DWORD dst_unused:UNUSED_PAD src0_sel:WORD_0 src1_sel:DWORD
	v_lshrrev_b32_e32 v63, 3, v65
	s_mov_b32 s52, exec_lo
	v_cmpx_gt_u32_e32 8, v65
; %bb.86:                               ;   in Loop: Header=BB193_13 Depth=1
	v_ffbh_u32_e32 v63, v31
	v_min_u32_e32 v63, 32, v63
	v_subrev_nc_u32_e32 v65, 28, v63
	v_sub_nc_u32_e32 v63, 29, v63
	v_lshlrev_b64 v[65:66], v65, v[31:32]
	v_and_b32_e32 v31, 7, v65
; %bb.87:                               ;   in Loop: Header=BB193_13 Depth=1
	s_or_b32 exec_lo, exec_lo, s52
	v_lshlrev_b32_e32 v64, 24, v64
	v_lshlrev_b32_e32 v31, 20, v31
	v_lshl_add_u32 v63, v63, 23, 0x3c000000
	v_and_b32_e32 v64, 0x80000000, v64
	v_or3_b32 v63, v31, v64, v63
.LBB193_88:                             ;   in Loop: Header=BB193_13 Depth=1
	s_or_b32 exec_lo, exec_lo, s51
.LBB193_89:                             ;   in Loop: Header=BB193_13 Depth=1
	s_or_b32 exec_lo, exec_lo, s50
.LBB193_90:                             ;   in Loop: Header=BB193_13 Depth=1
	s_or_b32 exec_lo, exec_lo, s49
	global_load_ubyte v64, v[37:38], off offset:260
	s_mov_b32 s49, exec_lo
	s_waitcnt vmcnt(0)
	v_cmpx_ne_u16_e32 0, v64
	s_cbranch_execz .LBB193_98
; %bb.91:                               ;   in Loop: Header=BB193_13 Depth=1
	v_bfrev_b32_e32 v62, 1
	s_mov_b32 s50, exec_lo
	v_cmpx_ne_u16_e32 0x80, v64
	s_cbranch_execz .LBB193_97
; %bb.92:                               ;   in Loop: Header=BB193_13 Depth=1
	v_and_b32_sdwa v65, v64, v48 dst_sel:DWORD dst_unused:UNUSED_PAD src0_sel:WORD_0 src1_sel:DWORD
	v_mov_b32_e32 v62, 0x7f800001
	s_mov_b32 s51, exec_lo
	v_cmpx_ne_u32_e32 0x7f, v65
	s_cbranch_execz .LBB193_96
; %bb.93:                               ;   in Loop: Header=BB193_13 Depth=1
	v_and_b32_sdwa v31, v64, v49 dst_sel:DWORD dst_unused:UNUSED_PAD src0_sel:WORD_0 src1_sel:DWORD
	v_lshrrev_b32_e32 v62, 3, v65
	s_mov_b32 s52, exec_lo
	v_cmpx_gt_u32_e32 8, v65
; %bb.94:                               ;   in Loop: Header=BB193_13 Depth=1
	v_ffbh_u32_e32 v62, v31
	v_min_u32_e32 v62, 32, v62
	v_subrev_nc_u32_e32 v65, 28, v62
	v_sub_nc_u32_e32 v62, 29, v62
	v_lshlrev_b64 v[65:66], v65, v[31:32]
	v_and_b32_e32 v31, 7, v65
; %bb.95:                               ;   in Loop: Header=BB193_13 Depth=1
	s_or_b32 exec_lo, exec_lo, s52
	v_lshlrev_b32_e32 v64, 24, v64
	v_lshlrev_b32_e32 v31, 20, v31
	v_lshl_add_u32 v62, v62, 23, 0x3c000000
	v_and_b32_e32 v64, 0x80000000, v64
	v_or3_b32 v62, v31, v64, v62
.LBB193_96:                             ;   in Loop: Header=BB193_13 Depth=1
	s_or_b32 exec_lo, exec_lo, s51
.LBB193_97:                             ;   in Loop: Header=BB193_13 Depth=1
	s_or_b32 exec_lo, exec_lo, s50
.LBB193_98:                             ;   in Loop: Header=BB193_13 Depth=1
	s_or_b32 exec_lo, exec_lo, s49
	global_load_ubyte v66, v[37:38], off offset:264
	v_mov_b32_e32 v64, 0
	v_mov_b32_e32 v65, 0
	s_mov_b32 s49, exec_lo
	s_waitcnt vmcnt(0)
	v_cmpx_ne_u16_e32 0, v66
	s_cbranch_execz .LBB193_106
; %bb.99:                               ;   in Loop: Header=BB193_13 Depth=1
	v_bfrev_b32_e32 v65, 1
	s_mov_b32 s50, exec_lo
	v_cmpx_ne_u16_e32 0x80, v66
	s_cbranch_execz .LBB193_105
; %bb.100:                              ;   in Loop: Header=BB193_13 Depth=1
	v_and_b32_sdwa v67, v66, v48 dst_sel:DWORD dst_unused:UNUSED_PAD src0_sel:WORD_0 src1_sel:DWORD
	v_mov_b32_e32 v65, 0x7f800001
	s_mov_b32 s51, exec_lo
	v_cmpx_ne_u32_e32 0x7f, v67
	s_cbranch_execz .LBB193_104
; %bb.101:                              ;   in Loop: Header=BB193_13 Depth=1
	v_and_b32_sdwa v31, v66, v49 dst_sel:DWORD dst_unused:UNUSED_PAD src0_sel:WORD_0 src1_sel:DWORD
	v_lshrrev_b32_e32 v65, 3, v67
	s_mov_b32 s52, exec_lo
	v_cmpx_gt_u32_e32 8, v67
; %bb.102:                              ;   in Loop: Header=BB193_13 Depth=1
	v_ffbh_u32_e32 v65, v31
	v_min_u32_e32 v65, 32, v65
	v_subrev_nc_u32_e32 v67, 28, v65
	v_sub_nc_u32_e32 v65, 29, v65
	v_lshlrev_b64 v[67:68], v67, v[31:32]
	v_and_b32_e32 v31, 7, v67
; %bb.103:                              ;   in Loop: Header=BB193_13 Depth=1
	s_or_b32 exec_lo, exec_lo, s52
	v_lshlrev_b32_e32 v66, 24, v66
	v_lshlrev_b32_e32 v31, 20, v31
	v_lshl_add_u32 v65, v65, 23, 0x3c000000
	v_and_b32_e32 v66, 0x80000000, v66
	v_or3_b32 v65, v31, v66, v65
.LBB193_104:                            ;   in Loop: Header=BB193_13 Depth=1
	s_or_b32 exec_lo, exec_lo, s51
.LBB193_105:                            ;   in Loop: Header=BB193_13 Depth=1
	s_or_b32 exec_lo, exec_lo, s50
.LBB193_106:                            ;   in Loop: Header=BB193_13 Depth=1
	s_or_b32 exec_lo, exec_lo, s49
	global_load_ubyte v66, v[37:38], off offset:268
	s_mov_b32 s49, exec_lo
	s_waitcnt vmcnt(0)
	v_cmpx_ne_u16_e32 0, v66
	s_cbranch_execz .LBB193_114
; %bb.107:                              ;   in Loop: Header=BB193_13 Depth=1
	v_bfrev_b32_e32 v64, 1
	s_mov_b32 s50, exec_lo
	v_cmpx_ne_u16_e32 0x80, v66
	s_cbranch_execz .LBB193_113
; %bb.108:                              ;   in Loop: Header=BB193_13 Depth=1
	v_and_b32_sdwa v67, v66, v48 dst_sel:DWORD dst_unused:UNUSED_PAD src0_sel:WORD_0 src1_sel:DWORD
	v_mov_b32_e32 v64, 0x7f800001
	s_mov_b32 s51, exec_lo
	v_cmpx_ne_u32_e32 0x7f, v67
	s_cbranch_execz .LBB193_112
; %bb.109:                              ;   in Loop: Header=BB193_13 Depth=1
	v_and_b32_sdwa v31, v66, v49 dst_sel:DWORD dst_unused:UNUSED_PAD src0_sel:WORD_0 src1_sel:DWORD
	v_lshrrev_b32_e32 v64, 3, v67
	s_mov_b32 s52, exec_lo
	v_cmpx_gt_u32_e32 8, v67
; %bb.110:                              ;   in Loop: Header=BB193_13 Depth=1
	v_ffbh_u32_e32 v64, v31
	v_min_u32_e32 v64, 32, v64
	v_subrev_nc_u32_e32 v67, 28, v64
	v_sub_nc_u32_e32 v64, 29, v64
	v_lshlrev_b64 v[67:68], v67, v[31:32]
	v_and_b32_e32 v31, 7, v67
; %bb.111:                              ;   in Loop: Header=BB193_13 Depth=1
	s_or_b32 exec_lo, exec_lo, s52
	v_lshlrev_b32_e32 v66, 24, v66
	v_lshlrev_b32_e32 v31, 20, v31
	v_lshl_add_u32 v64, v64, 23, 0x3c000000
	v_and_b32_e32 v66, 0x80000000, v66
	v_or3_b32 v64, v31, v66, v64
.LBB193_112:                            ;   in Loop: Header=BB193_13 Depth=1
	s_or_b32 exec_lo, exec_lo, s51
.LBB193_113:                            ;   in Loop: Header=BB193_13 Depth=1
	s_or_b32 exec_lo, exec_lo, s50
.LBB193_114:                            ;   in Loop: Header=BB193_13 Depth=1
	s_or_b32 exec_lo, exec_lo, s49
	global_load_ubyte v68, v[37:38], off offset:384
	v_mov_b32_e32 v66, 0
	v_mov_b32_e32 v67, 0
	s_mov_b32 s49, exec_lo
	s_waitcnt vmcnt(0)
	v_cmpx_ne_u16_e32 0, v68
	s_cbranch_execz .LBB193_122
; %bb.115:                              ;   in Loop: Header=BB193_13 Depth=1
	v_bfrev_b32_e32 v67, 1
	s_mov_b32 s50, exec_lo
	v_cmpx_ne_u16_e32 0x80, v68
	s_cbranch_execz .LBB193_121
; %bb.116:                              ;   in Loop: Header=BB193_13 Depth=1
	v_and_b32_sdwa v69, v68, v48 dst_sel:DWORD dst_unused:UNUSED_PAD src0_sel:WORD_0 src1_sel:DWORD
	v_mov_b32_e32 v67, 0x7f800001
	s_mov_b32 s51, exec_lo
	v_cmpx_ne_u32_e32 0x7f, v69
	s_cbranch_execz .LBB193_120
; %bb.117:                              ;   in Loop: Header=BB193_13 Depth=1
	v_and_b32_sdwa v31, v68, v49 dst_sel:DWORD dst_unused:UNUSED_PAD src0_sel:WORD_0 src1_sel:DWORD
	v_lshrrev_b32_e32 v67, 3, v69
	s_mov_b32 s52, exec_lo
	v_cmpx_gt_u32_e32 8, v69
; %bb.118:                              ;   in Loop: Header=BB193_13 Depth=1
	v_ffbh_u32_e32 v67, v31
	v_min_u32_e32 v67, 32, v67
	v_subrev_nc_u32_e32 v69, 28, v67
	v_sub_nc_u32_e32 v67, 29, v67
	v_lshlrev_b64 v[69:70], v69, v[31:32]
	v_and_b32_e32 v31, 7, v69
; %bb.119:                              ;   in Loop: Header=BB193_13 Depth=1
	s_or_b32 exec_lo, exec_lo, s52
	v_lshlrev_b32_e32 v68, 24, v68
	v_lshlrev_b32_e32 v31, 20, v31
	v_lshl_add_u32 v67, v67, 23, 0x3c000000
	v_and_b32_e32 v68, 0x80000000, v68
	v_or3_b32 v67, v31, v68, v67
.LBB193_120:                            ;   in Loop: Header=BB193_13 Depth=1
	s_or_b32 exec_lo, exec_lo, s51
.LBB193_121:                            ;   in Loop: Header=BB193_13 Depth=1
	s_or_b32 exec_lo, exec_lo, s50
.LBB193_122:                            ;   in Loop: Header=BB193_13 Depth=1
	s_or_b32 exec_lo, exec_lo, s49
	global_load_ubyte v68, v[37:38], off offset:388
	s_mov_b32 s49, exec_lo
	s_waitcnt vmcnt(0)
	v_cmpx_ne_u16_e32 0, v68
	s_cbranch_execz .LBB193_130
; %bb.123:                              ;   in Loop: Header=BB193_13 Depth=1
	v_bfrev_b32_e32 v66, 1
	s_mov_b32 s50, exec_lo
	v_cmpx_ne_u16_e32 0x80, v68
	s_cbranch_execz .LBB193_129
; %bb.124:                              ;   in Loop: Header=BB193_13 Depth=1
	v_and_b32_sdwa v69, v68, v48 dst_sel:DWORD dst_unused:UNUSED_PAD src0_sel:WORD_0 src1_sel:DWORD
	v_mov_b32_e32 v66, 0x7f800001
	s_mov_b32 s51, exec_lo
	v_cmpx_ne_u32_e32 0x7f, v69
	s_cbranch_execz .LBB193_128
; %bb.125:                              ;   in Loop: Header=BB193_13 Depth=1
	v_and_b32_sdwa v31, v68, v49 dst_sel:DWORD dst_unused:UNUSED_PAD src0_sel:WORD_0 src1_sel:DWORD
	v_lshrrev_b32_e32 v66, 3, v69
	s_mov_b32 s52, exec_lo
	v_cmpx_gt_u32_e32 8, v69
; %bb.126:                              ;   in Loop: Header=BB193_13 Depth=1
	v_ffbh_u32_e32 v66, v31
	v_min_u32_e32 v66, 32, v66
	v_subrev_nc_u32_e32 v69, 28, v66
	v_sub_nc_u32_e32 v66, 29, v66
	v_lshlrev_b64 v[69:70], v69, v[31:32]
	v_and_b32_e32 v31, 7, v69
; %bb.127:                              ;   in Loop: Header=BB193_13 Depth=1
	s_or_b32 exec_lo, exec_lo, s52
	v_lshlrev_b32_e32 v68, 24, v68
	v_lshlrev_b32_e32 v31, 20, v31
	v_lshl_add_u32 v66, v66, 23, 0x3c000000
	v_and_b32_e32 v68, 0x80000000, v68
	v_or3_b32 v66, v31, v68, v66
.LBB193_128:                            ;   in Loop: Header=BB193_13 Depth=1
	s_or_b32 exec_lo, exec_lo, s51
.LBB193_129:                            ;   in Loop: Header=BB193_13 Depth=1
	s_or_b32 exec_lo, exec_lo, s50
.LBB193_130:                            ;   in Loop: Header=BB193_13 Depth=1
	s_or_b32 exec_lo, exec_lo, s49
	global_load_ubyte v70, v[37:38], off offset:392
	v_mov_b32_e32 v68, 0
	v_mov_b32_e32 v69, 0
	s_mov_b32 s49, exec_lo
	s_waitcnt vmcnt(0)
	v_cmpx_ne_u16_e32 0, v70
	s_cbranch_execz .LBB193_138
; %bb.131:                              ;   in Loop: Header=BB193_13 Depth=1
	v_bfrev_b32_e32 v69, 1
	s_mov_b32 s50, exec_lo
	v_cmpx_ne_u16_e32 0x80, v70
	s_cbranch_execz .LBB193_137
; %bb.132:                              ;   in Loop: Header=BB193_13 Depth=1
	v_and_b32_sdwa v71, v70, v48 dst_sel:DWORD dst_unused:UNUSED_PAD src0_sel:WORD_0 src1_sel:DWORD
	v_mov_b32_e32 v69, 0x7f800001
	s_mov_b32 s51, exec_lo
	v_cmpx_ne_u32_e32 0x7f, v71
	s_cbranch_execz .LBB193_136
; %bb.133:                              ;   in Loop: Header=BB193_13 Depth=1
	v_and_b32_sdwa v31, v70, v49 dst_sel:DWORD dst_unused:UNUSED_PAD src0_sel:WORD_0 src1_sel:DWORD
	v_lshrrev_b32_e32 v69, 3, v71
	s_mov_b32 s52, exec_lo
	v_cmpx_gt_u32_e32 8, v71
; %bb.134:                              ;   in Loop: Header=BB193_13 Depth=1
	v_ffbh_u32_e32 v69, v31
	v_min_u32_e32 v69, 32, v69
	v_subrev_nc_u32_e32 v71, 28, v69
	v_sub_nc_u32_e32 v69, 29, v69
	v_lshlrev_b64 v[71:72], v71, v[31:32]
	v_and_b32_e32 v31, 7, v71
; %bb.135:                              ;   in Loop: Header=BB193_13 Depth=1
	s_or_b32 exec_lo, exec_lo, s52
	v_lshlrev_b32_e32 v70, 24, v70
	v_lshlrev_b32_e32 v31, 20, v31
	v_lshl_add_u32 v69, v69, 23, 0x3c000000
	v_and_b32_e32 v70, 0x80000000, v70
	v_or3_b32 v69, v31, v70, v69
.LBB193_136:                            ;   in Loop: Header=BB193_13 Depth=1
	s_or_b32 exec_lo, exec_lo, s51
.LBB193_137:                            ;   in Loop: Header=BB193_13 Depth=1
	s_or_b32 exec_lo, exec_lo, s50
.LBB193_138:                            ;   in Loop: Header=BB193_13 Depth=1
	s_or_b32 exec_lo, exec_lo, s49
	global_load_ubyte v70, v[37:38], off offset:396
	s_mov_b32 s49, exec_lo
	s_waitcnt vmcnt(0)
	v_cmpx_ne_u16_e32 0, v70
	s_cbranch_execz .LBB193_146
; %bb.139:                              ;   in Loop: Header=BB193_13 Depth=1
	v_bfrev_b32_e32 v68, 1
	s_mov_b32 s50, exec_lo
	v_cmpx_ne_u16_e32 0x80, v70
	s_cbranch_execz .LBB193_145
; %bb.140:                              ;   in Loop: Header=BB193_13 Depth=1
	v_and_b32_sdwa v71, v70, v48 dst_sel:DWORD dst_unused:UNUSED_PAD src0_sel:WORD_0 src1_sel:DWORD
	v_mov_b32_e32 v68, 0x7f800001
	s_mov_b32 s51, exec_lo
	v_cmpx_ne_u32_e32 0x7f, v71
	s_cbranch_execz .LBB193_144
; %bb.141:                              ;   in Loop: Header=BB193_13 Depth=1
	v_and_b32_sdwa v31, v70, v49 dst_sel:DWORD dst_unused:UNUSED_PAD src0_sel:WORD_0 src1_sel:DWORD
	v_lshrrev_b32_e32 v68, 3, v71
	s_mov_b32 s52, exec_lo
	v_cmpx_gt_u32_e32 8, v71
; %bb.142:                              ;   in Loop: Header=BB193_13 Depth=1
	v_ffbh_u32_e32 v68, v31
	v_min_u32_e32 v68, 32, v68
	v_subrev_nc_u32_e32 v71, 28, v68
	v_sub_nc_u32_e32 v68, 29, v68
	v_lshlrev_b64 v[71:72], v71, v[31:32]
	v_and_b32_e32 v31, 7, v71
; %bb.143:                              ;   in Loop: Header=BB193_13 Depth=1
	s_or_b32 exec_lo, exec_lo, s52
	v_lshlrev_b32_e32 v70, 24, v70
	v_lshlrev_b32_e32 v31, 20, v31
	v_lshl_add_u32 v68, v68, 23, 0x3c000000
	v_and_b32_e32 v70, 0x80000000, v70
	v_or3_b32 v68, v31, v70, v68
.LBB193_144:                            ;   in Loop: Header=BB193_13 Depth=1
	s_or_b32 exec_lo, exec_lo, s51
.LBB193_145:                            ;   in Loop: Header=BB193_13 Depth=1
	s_or_b32 exec_lo, exec_lo, s50
.LBB193_146:                            ;   in Loop: Header=BB193_13 Depth=1
	s_or_b32 exec_lo, exec_lo, s49
	global_load_ubyte v72, v[37:38], off offset:512
	v_mov_b32_e32 v70, 0
	v_mov_b32_e32 v71, 0
	s_mov_b32 s49, exec_lo
	s_waitcnt vmcnt(0)
	v_cmpx_ne_u16_e32 0, v72
	s_cbranch_execz .LBB193_154
; %bb.147:                              ;   in Loop: Header=BB193_13 Depth=1
	v_bfrev_b32_e32 v71, 1
	s_mov_b32 s50, exec_lo
	v_cmpx_ne_u16_e32 0x80, v72
	s_cbranch_execz .LBB193_153
; %bb.148:                              ;   in Loop: Header=BB193_13 Depth=1
	v_and_b32_sdwa v73, v72, v48 dst_sel:DWORD dst_unused:UNUSED_PAD src0_sel:WORD_0 src1_sel:DWORD
	v_mov_b32_e32 v71, 0x7f800001
	s_mov_b32 s51, exec_lo
	v_cmpx_ne_u32_e32 0x7f, v73
	s_cbranch_execz .LBB193_152
; %bb.149:                              ;   in Loop: Header=BB193_13 Depth=1
	v_and_b32_sdwa v31, v72, v49 dst_sel:DWORD dst_unused:UNUSED_PAD src0_sel:WORD_0 src1_sel:DWORD
	v_lshrrev_b32_e32 v71, 3, v73
	s_mov_b32 s52, exec_lo
	v_cmpx_gt_u32_e32 8, v73
; %bb.150:                              ;   in Loop: Header=BB193_13 Depth=1
	v_ffbh_u32_e32 v71, v31
	v_min_u32_e32 v71, 32, v71
	v_subrev_nc_u32_e32 v73, 28, v71
	v_sub_nc_u32_e32 v71, 29, v71
	v_lshlrev_b64 v[73:74], v73, v[31:32]
	v_and_b32_e32 v31, 7, v73
; %bb.151:                              ;   in Loop: Header=BB193_13 Depth=1
	s_or_b32 exec_lo, exec_lo, s52
	v_lshlrev_b32_e32 v72, 24, v72
	v_lshlrev_b32_e32 v31, 20, v31
	v_lshl_add_u32 v71, v71, 23, 0x3c000000
	v_and_b32_e32 v72, 0x80000000, v72
	v_or3_b32 v71, v31, v72, v71
.LBB193_152:                            ;   in Loop: Header=BB193_13 Depth=1
	s_or_b32 exec_lo, exec_lo, s51
.LBB193_153:                            ;   in Loop: Header=BB193_13 Depth=1
	s_or_b32 exec_lo, exec_lo, s50
.LBB193_154:                            ;   in Loop: Header=BB193_13 Depth=1
	s_or_b32 exec_lo, exec_lo, s49
	global_load_ubyte v72, v[37:38], off offset:516
	s_mov_b32 s49, exec_lo
	s_waitcnt vmcnt(0)
	v_cmpx_ne_u16_e32 0, v72
	s_cbranch_execz .LBB193_162
; %bb.155:                              ;   in Loop: Header=BB193_13 Depth=1
	v_bfrev_b32_e32 v70, 1
	s_mov_b32 s50, exec_lo
	v_cmpx_ne_u16_e32 0x80, v72
	s_cbranch_execz .LBB193_161
; %bb.156:                              ;   in Loop: Header=BB193_13 Depth=1
	v_and_b32_sdwa v73, v72, v48 dst_sel:DWORD dst_unused:UNUSED_PAD src0_sel:WORD_0 src1_sel:DWORD
	v_mov_b32_e32 v70, 0x7f800001
	s_mov_b32 s51, exec_lo
	v_cmpx_ne_u32_e32 0x7f, v73
	s_cbranch_execz .LBB193_160
; %bb.157:                              ;   in Loop: Header=BB193_13 Depth=1
	v_and_b32_sdwa v31, v72, v49 dst_sel:DWORD dst_unused:UNUSED_PAD src0_sel:WORD_0 src1_sel:DWORD
	v_lshrrev_b32_e32 v70, 3, v73
	s_mov_b32 s52, exec_lo
	v_cmpx_gt_u32_e32 8, v73
; %bb.158:                              ;   in Loop: Header=BB193_13 Depth=1
	v_ffbh_u32_e32 v70, v31
	v_min_u32_e32 v70, 32, v70
	v_subrev_nc_u32_e32 v73, 28, v70
	v_sub_nc_u32_e32 v70, 29, v70
	v_lshlrev_b64 v[73:74], v73, v[31:32]
	v_and_b32_e32 v31, 7, v73
; %bb.159:                              ;   in Loop: Header=BB193_13 Depth=1
	s_or_b32 exec_lo, exec_lo, s52
	v_lshlrev_b32_e32 v72, 24, v72
	v_lshlrev_b32_e32 v31, 20, v31
	v_lshl_add_u32 v70, v70, 23, 0x3c000000
	v_and_b32_e32 v72, 0x80000000, v72
	v_or3_b32 v70, v31, v72, v70
.LBB193_160:                            ;   in Loop: Header=BB193_13 Depth=1
	s_or_b32 exec_lo, exec_lo, s51
.LBB193_161:                            ;   in Loop: Header=BB193_13 Depth=1
	s_or_b32 exec_lo, exec_lo, s50
.LBB193_162:                            ;   in Loop: Header=BB193_13 Depth=1
	s_or_b32 exec_lo, exec_lo, s49
	global_load_ubyte v74, v[37:38], off offset:520
	v_mov_b32_e32 v72, 0
	v_mov_b32_e32 v73, 0
	s_mov_b32 s49, exec_lo
	s_waitcnt vmcnt(0)
	v_cmpx_ne_u16_e32 0, v74
	s_cbranch_execz .LBB193_170
; %bb.163:                              ;   in Loop: Header=BB193_13 Depth=1
	v_bfrev_b32_e32 v73, 1
	s_mov_b32 s50, exec_lo
	v_cmpx_ne_u16_e32 0x80, v74
	s_cbranch_execz .LBB193_169
; %bb.164:                              ;   in Loop: Header=BB193_13 Depth=1
	v_and_b32_sdwa v75, v74, v48 dst_sel:DWORD dst_unused:UNUSED_PAD src0_sel:WORD_0 src1_sel:DWORD
	v_mov_b32_e32 v73, 0x7f800001
	s_mov_b32 s51, exec_lo
	v_cmpx_ne_u32_e32 0x7f, v75
	s_cbranch_execz .LBB193_168
; %bb.165:                              ;   in Loop: Header=BB193_13 Depth=1
	v_and_b32_sdwa v31, v74, v49 dst_sel:DWORD dst_unused:UNUSED_PAD src0_sel:WORD_0 src1_sel:DWORD
	v_lshrrev_b32_e32 v73, 3, v75
	s_mov_b32 s52, exec_lo
	v_cmpx_gt_u32_e32 8, v75
; %bb.166:                              ;   in Loop: Header=BB193_13 Depth=1
	v_ffbh_u32_e32 v73, v31
	v_min_u32_e32 v73, 32, v73
	v_subrev_nc_u32_e32 v75, 28, v73
	v_sub_nc_u32_e32 v73, 29, v73
	v_lshlrev_b64 v[75:76], v75, v[31:32]
	v_and_b32_e32 v31, 7, v75
; %bb.167:                              ;   in Loop: Header=BB193_13 Depth=1
	s_or_b32 exec_lo, exec_lo, s52
	v_lshlrev_b32_e32 v74, 24, v74
	v_lshlrev_b32_e32 v31, 20, v31
	v_lshl_add_u32 v73, v73, 23, 0x3c000000
	v_and_b32_e32 v74, 0x80000000, v74
	v_or3_b32 v73, v31, v74, v73
.LBB193_168:                            ;   in Loop: Header=BB193_13 Depth=1
	s_or_b32 exec_lo, exec_lo, s51
.LBB193_169:                            ;   in Loop: Header=BB193_13 Depth=1
	s_or_b32 exec_lo, exec_lo, s50
.LBB193_170:                            ;   in Loop: Header=BB193_13 Depth=1
	s_or_b32 exec_lo, exec_lo, s49
	global_load_ubyte v74, v[37:38], off offset:524
	s_mov_b32 s49, exec_lo
	s_waitcnt vmcnt(0)
	v_cmpx_ne_u16_e32 0, v74
	s_cbranch_execz .LBB193_178
; %bb.171:                              ;   in Loop: Header=BB193_13 Depth=1
	v_bfrev_b32_e32 v72, 1
	s_mov_b32 s50, exec_lo
	v_cmpx_ne_u16_e32 0x80, v74
	s_cbranch_execz .LBB193_177
; %bb.172:                              ;   in Loop: Header=BB193_13 Depth=1
	v_and_b32_sdwa v75, v74, v48 dst_sel:DWORD dst_unused:UNUSED_PAD src0_sel:WORD_0 src1_sel:DWORD
	v_mov_b32_e32 v72, 0x7f800001
	s_mov_b32 s51, exec_lo
	v_cmpx_ne_u32_e32 0x7f, v75
	s_cbranch_execz .LBB193_176
; %bb.173:                              ;   in Loop: Header=BB193_13 Depth=1
	v_and_b32_sdwa v31, v74, v49 dst_sel:DWORD dst_unused:UNUSED_PAD src0_sel:WORD_0 src1_sel:DWORD
	v_lshrrev_b32_e32 v72, 3, v75
	s_mov_b32 s52, exec_lo
	v_cmpx_gt_u32_e32 8, v75
; %bb.174:                              ;   in Loop: Header=BB193_13 Depth=1
	v_ffbh_u32_e32 v72, v31
	v_min_u32_e32 v72, 32, v72
	v_subrev_nc_u32_e32 v75, 28, v72
	v_sub_nc_u32_e32 v72, 29, v72
	v_lshlrev_b64 v[75:76], v75, v[31:32]
	v_and_b32_e32 v31, 7, v75
; %bb.175:                              ;   in Loop: Header=BB193_13 Depth=1
	s_or_b32 exec_lo, exec_lo, s52
	v_lshlrev_b32_e32 v74, 24, v74
	v_lshlrev_b32_e32 v31, 20, v31
	v_lshl_add_u32 v72, v72, 23, 0x3c000000
	v_and_b32_e32 v74, 0x80000000, v74
	v_or3_b32 v72, v31, v74, v72
.LBB193_176:                            ;   in Loop: Header=BB193_13 Depth=1
	s_or_b32 exec_lo, exec_lo, s51
.LBB193_177:                            ;   in Loop: Header=BB193_13 Depth=1
	s_or_b32 exec_lo, exec_lo, s50
.LBB193_178:                            ;   in Loop: Header=BB193_13 Depth=1
	s_or_b32 exec_lo, exec_lo, s49
	global_load_ubyte v76, v[37:38], off offset:640
	v_mov_b32_e32 v74, 0
	v_mov_b32_e32 v75, 0
	s_mov_b32 s49, exec_lo
	s_waitcnt vmcnt(0)
	v_cmpx_ne_u16_e32 0, v76
	s_cbranch_execz .LBB193_186
; %bb.179:                              ;   in Loop: Header=BB193_13 Depth=1
	v_bfrev_b32_e32 v75, 1
	s_mov_b32 s50, exec_lo
	v_cmpx_ne_u16_e32 0x80, v76
	s_cbranch_execz .LBB193_185
; %bb.180:                              ;   in Loop: Header=BB193_13 Depth=1
	v_and_b32_sdwa v77, v76, v48 dst_sel:DWORD dst_unused:UNUSED_PAD src0_sel:WORD_0 src1_sel:DWORD
	v_mov_b32_e32 v75, 0x7f800001
	s_mov_b32 s51, exec_lo
	v_cmpx_ne_u32_e32 0x7f, v77
	s_cbranch_execz .LBB193_184
; %bb.181:                              ;   in Loop: Header=BB193_13 Depth=1
	v_and_b32_sdwa v31, v76, v49 dst_sel:DWORD dst_unused:UNUSED_PAD src0_sel:WORD_0 src1_sel:DWORD
	v_lshrrev_b32_e32 v75, 3, v77
	s_mov_b32 s52, exec_lo
	v_cmpx_gt_u32_e32 8, v77
; %bb.182:                              ;   in Loop: Header=BB193_13 Depth=1
	v_ffbh_u32_e32 v75, v31
	v_min_u32_e32 v75, 32, v75
	v_subrev_nc_u32_e32 v77, 28, v75
	v_sub_nc_u32_e32 v75, 29, v75
	v_lshlrev_b64 v[77:78], v77, v[31:32]
	v_and_b32_e32 v31, 7, v77
; %bb.183:                              ;   in Loop: Header=BB193_13 Depth=1
	s_or_b32 exec_lo, exec_lo, s52
	v_lshlrev_b32_e32 v76, 24, v76
	v_lshlrev_b32_e32 v31, 20, v31
	v_lshl_add_u32 v75, v75, 23, 0x3c000000
	v_and_b32_e32 v76, 0x80000000, v76
	v_or3_b32 v75, v31, v76, v75
.LBB193_184:                            ;   in Loop: Header=BB193_13 Depth=1
	s_or_b32 exec_lo, exec_lo, s51
.LBB193_185:                            ;   in Loop: Header=BB193_13 Depth=1
	s_or_b32 exec_lo, exec_lo, s50
.LBB193_186:                            ;   in Loop: Header=BB193_13 Depth=1
	s_or_b32 exec_lo, exec_lo, s49
	global_load_ubyte v76, v[37:38], off offset:644
	s_mov_b32 s49, exec_lo
	s_waitcnt vmcnt(0)
	v_cmpx_ne_u16_e32 0, v76
	s_cbranch_execz .LBB193_194
; %bb.187:                              ;   in Loop: Header=BB193_13 Depth=1
	v_bfrev_b32_e32 v74, 1
	s_mov_b32 s50, exec_lo
	v_cmpx_ne_u16_e32 0x80, v76
	s_cbranch_execz .LBB193_193
; %bb.188:                              ;   in Loop: Header=BB193_13 Depth=1
	v_and_b32_sdwa v77, v76, v48 dst_sel:DWORD dst_unused:UNUSED_PAD src0_sel:WORD_0 src1_sel:DWORD
	v_mov_b32_e32 v74, 0x7f800001
	s_mov_b32 s51, exec_lo
	v_cmpx_ne_u32_e32 0x7f, v77
	s_cbranch_execz .LBB193_192
; %bb.189:                              ;   in Loop: Header=BB193_13 Depth=1
	v_and_b32_sdwa v31, v76, v49 dst_sel:DWORD dst_unused:UNUSED_PAD src0_sel:WORD_0 src1_sel:DWORD
	v_lshrrev_b32_e32 v74, 3, v77
	s_mov_b32 s52, exec_lo
	v_cmpx_gt_u32_e32 8, v77
; %bb.190:                              ;   in Loop: Header=BB193_13 Depth=1
	v_ffbh_u32_e32 v74, v31
	v_min_u32_e32 v74, 32, v74
	v_subrev_nc_u32_e32 v77, 28, v74
	v_sub_nc_u32_e32 v74, 29, v74
	v_lshlrev_b64 v[77:78], v77, v[31:32]
	v_and_b32_e32 v31, 7, v77
; %bb.191:                              ;   in Loop: Header=BB193_13 Depth=1
	s_or_b32 exec_lo, exec_lo, s52
	v_lshlrev_b32_e32 v76, 24, v76
	v_lshlrev_b32_e32 v31, 20, v31
	v_lshl_add_u32 v74, v74, 23, 0x3c000000
	v_and_b32_e32 v76, 0x80000000, v76
	v_or3_b32 v74, v31, v76, v74
.LBB193_192:                            ;   in Loop: Header=BB193_13 Depth=1
	s_or_b32 exec_lo, exec_lo, s51
.LBB193_193:                            ;   in Loop: Header=BB193_13 Depth=1
	s_or_b32 exec_lo, exec_lo, s50
.LBB193_194:                            ;   in Loop: Header=BB193_13 Depth=1
	s_or_b32 exec_lo, exec_lo, s49
	global_load_ubyte v78, v[37:38], off offset:648
	v_mov_b32_e32 v76, 0
	v_mov_b32_e32 v77, 0
	s_mov_b32 s49, exec_lo
	s_waitcnt vmcnt(0)
	v_cmpx_ne_u16_e32 0, v78
	s_cbranch_execz .LBB193_202
; %bb.195:                              ;   in Loop: Header=BB193_13 Depth=1
	v_bfrev_b32_e32 v77, 1
	s_mov_b32 s50, exec_lo
	v_cmpx_ne_u16_e32 0x80, v78
	s_cbranch_execz .LBB193_201
; %bb.196:                              ;   in Loop: Header=BB193_13 Depth=1
	v_and_b32_sdwa v79, v78, v48 dst_sel:DWORD dst_unused:UNUSED_PAD src0_sel:WORD_0 src1_sel:DWORD
	v_mov_b32_e32 v77, 0x7f800001
	s_mov_b32 s51, exec_lo
	v_cmpx_ne_u32_e32 0x7f, v79
	s_cbranch_execz .LBB193_200
; %bb.197:                              ;   in Loop: Header=BB193_13 Depth=1
	v_and_b32_sdwa v31, v78, v49 dst_sel:DWORD dst_unused:UNUSED_PAD src0_sel:WORD_0 src1_sel:DWORD
	v_lshrrev_b32_e32 v77, 3, v79
	s_mov_b32 s52, exec_lo
	v_cmpx_gt_u32_e32 8, v79
; %bb.198:                              ;   in Loop: Header=BB193_13 Depth=1
	v_ffbh_u32_e32 v77, v31
	v_min_u32_e32 v77, 32, v77
	v_subrev_nc_u32_e32 v79, 28, v77
	v_sub_nc_u32_e32 v77, 29, v77
	v_lshlrev_b64 v[79:80], v79, v[31:32]
	v_and_b32_e32 v31, 7, v79
; %bb.199:                              ;   in Loop: Header=BB193_13 Depth=1
	s_or_b32 exec_lo, exec_lo, s52
	v_lshlrev_b32_e32 v78, 24, v78
	v_lshlrev_b32_e32 v31, 20, v31
	v_lshl_add_u32 v77, v77, 23, 0x3c000000
	v_and_b32_e32 v78, 0x80000000, v78
	v_or3_b32 v77, v31, v78, v77
.LBB193_200:                            ;   in Loop: Header=BB193_13 Depth=1
	s_or_b32 exec_lo, exec_lo, s51
.LBB193_201:                            ;   in Loop: Header=BB193_13 Depth=1
	s_or_b32 exec_lo, exec_lo, s50
.LBB193_202:                            ;   in Loop: Header=BB193_13 Depth=1
	s_or_b32 exec_lo, exec_lo, s49
	global_load_ubyte v78, v[37:38], off offset:652
	s_mov_b32 s49, exec_lo
	s_waitcnt vmcnt(0)
	v_cmpx_ne_u16_e32 0, v78
	s_cbranch_execz .LBB193_210
; %bb.203:                              ;   in Loop: Header=BB193_13 Depth=1
	v_bfrev_b32_e32 v76, 1
	s_mov_b32 s50, exec_lo
	v_cmpx_ne_u16_e32 0x80, v78
	s_cbranch_execz .LBB193_209
; %bb.204:                              ;   in Loop: Header=BB193_13 Depth=1
	v_and_b32_sdwa v79, v78, v48 dst_sel:DWORD dst_unused:UNUSED_PAD src0_sel:WORD_0 src1_sel:DWORD
	v_mov_b32_e32 v76, 0x7f800001
	s_mov_b32 s51, exec_lo
	v_cmpx_ne_u32_e32 0x7f, v79
	s_cbranch_execz .LBB193_208
; %bb.205:                              ;   in Loop: Header=BB193_13 Depth=1
	v_and_b32_sdwa v31, v78, v49 dst_sel:DWORD dst_unused:UNUSED_PAD src0_sel:WORD_0 src1_sel:DWORD
	v_lshrrev_b32_e32 v76, 3, v79
	s_mov_b32 s52, exec_lo
	v_cmpx_gt_u32_e32 8, v79
; %bb.206:                              ;   in Loop: Header=BB193_13 Depth=1
	v_ffbh_u32_e32 v76, v31
	v_min_u32_e32 v76, 32, v76
	v_subrev_nc_u32_e32 v79, 28, v76
	v_sub_nc_u32_e32 v76, 29, v76
	v_lshlrev_b64 v[79:80], v79, v[31:32]
	v_and_b32_e32 v31, 7, v79
; %bb.207:                              ;   in Loop: Header=BB193_13 Depth=1
	s_or_b32 exec_lo, exec_lo, s52
	v_lshlrev_b32_e32 v78, 24, v78
	v_lshlrev_b32_e32 v31, 20, v31
	v_lshl_add_u32 v76, v76, 23, 0x3c000000
	v_and_b32_e32 v78, 0x80000000, v78
	v_or3_b32 v76, v31, v78, v76
.LBB193_208:                            ;   in Loop: Header=BB193_13 Depth=1
	s_or_b32 exec_lo, exec_lo, s51
.LBB193_209:                            ;   in Loop: Header=BB193_13 Depth=1
	s_or_b32 exec_lo, exec_lo, s50
.LBB193_210:                            ;   in Loop: Header=BB193_13 Depth=1
	s_or_b32 exec_lo, exec_lo, s49
	global_load_ubyte v80, v[37:38], off offset:768
	v_mov_b32_e32 v78, 0
	v_mov_b32_e32 v79, 0
	s_mov_b32 s49, exec_lo
	s_waitcnt vmcnt(0)
	v_cmpx_ne_u16_e32 0, v80
	s_cbranch_execz .LBB193_218
; %bb.211:                              ;   in Loop: Header=BB193_13 Depth=1
	v_bfrev_b32_e32 v79, 1
	s_mov_b32 s50, exec_lo
	v_cmpx_ne_u16_e32 0x80, v80
	s_cbranch_execz .LBB193_217
; %bb.212:                              ;   in Loop: Header=BB193_13 Depth=1
	v_and_b32_sdwa v81, v80, v48 dst_sel:DWORD dst_unused:UNUSED_PAD src0_sel:WORD_0 src1_sel:DWORD
	v_mov_b32_e32 v79, 0x7f800001
	s_mov_b32 s51, exec_lo
	v_cmpx_ne_u32_e32 0x7f, v81
	s_cbranch_execz .LBB193_216
; %bb.213:                              ;   in Loop: Header=BB193_13 Depth=1
	v_and_b32_sdwa v31, v80, v49 dst_sel:DWORD dst_unused:UNUSED_PAD src0_sel:WORD_0 src1_sel:DWORD
	v_lshrrev_b32_e32 v79, 3, v81
	s_mov_b32 s52, exec_lo
	v_cmpx_gt_u32_e32 8, v81
; %bb.214:                              ;   in Loop: Header=BB193_13 Depth=1
	v_ffbh_u32_e32 v79, v31
	v_min_u32_e32 v79, 32, v79
	v_subrev_nc_u32_e32 v81, 28, v79
	v_sub_nc_u32_e32 v79, 29, v79
	v_lshlrev_b64 v[81:82], v81, v[31:32]
	v_and_b32_e32 v31, 7, v81
; %bb.215:                              ;   in Loop: Header=BB193_13 Depth=1
	s_or_b32 exec_lo, exec_lo, s52
	v_lshlrev_b32_e32 v80, 24, v80
	v_lshlrev_b32_e32 v31, 20, v31
	v_lshl_add_u32 v79, v79, 23, 0x3c000000
	v_and_b32_e32 v80, 0x80000000, v80
	v_or3_b32 v79, v31, v80, v79
.LBB193_216:                            ;   in Loop: Header=BB193_13 Depth=1
	s_or_b32 exec_lo, exec_lo, s51
.LBB193_217:                            ;   in Loop: Header=BB193_13 Depth=1
	s_or_b32 exec_lo, exec_lo, s50
.LBB193_218:                            ;   in Loop: Header=BB193_13 Depth=1
	s_or_b32 exec_lo, exec_lo, s49
	global_load_ubyte v80, v[37:38], off offset:772
	s_mov_b32 s49, exec_lo
	s_waitcnt vmcnt(0)
	v_cmpx_ne_u16_e32 0, v80
	s_cbranch_execz .LBB193_226
; %bb.219:                              ;   in Loop: Header=BB193_13 Depth=1
	v_bfrev_b32_e32 v78, 1
	s_mov_b32 s50, exec_lo
	v_cmpx_ne_u16_e32 0x80, v80
	s_cbranch_execz .LBB193_225
; %bb.220:                              ;   in Loop: Header=BB193_13 Depth=1
	v_and_b32_sdwa v81, v80, v48 dst_sel:DWORD dst_unused:UNUSED_PAD src0_sel:WORD_0 src1_sel:DWORD
	v_mov_b32_e32 v78, 0x7f800001
	s_mov_b32 s51, exec_lo
	v_cmpx_ne_u32_e32 0x7f, v81
	s_cbranch_execz .LBB193_224
; %bb.221:                              ;   in Loop: Header=BB193_13 Depth=1
	v_and_b32_sdwa v31, v80, v49 dst_sel:DWORD dst_unused:UNUSED_PAD src0_sel:WORD_0 src1_sel:DWORD
	v_lshrrev_b32_e32 v78, 3, v81
	s_mov_b32 s52, exec_lo
	v_cmpx_gt_u32_e32 8, v81
; %bb.222:                              ;   in Loop: Header=BB193_13 Depth=1
	v_ffbh_u32_e32 v78, v31
	v_min_u32_e32 v78, 32, v78
	v_subrev_nc_u32_e32 v81, 28, v78
	v_sub_nc_u32_e32 v78, 29, v78
	v_lshlrev_b64 v[81:82], v81, v[31:32]
	v_and_b32_e32 v31, 7, v81
; %bb.223:                              ;   in Loop: Header=BB193_13 Depth=1
	s_or_b32 exec_lo, exec_lo, s52
	v_lshlrev_b32_e32 v80, 24, v80
	v_lshlrev_b32_e32 v31, 20, v31
	v_lshl_add_u32 v78, v78, 23, 0x3c000000
	v_and_b32_e32 v80, 0x80000000, v80
	v_or3_b32 v78, v31, v80, v78
.LBB193_224:                            ;   in Loop: Header=BB193_13 Depth=1
	s_or_b32 exec_lo, exec_lo, s51
.LBB193_225:                            ;   in Loop: Header=BB193_13 Depth=1
	s_or_b32 exec_lo, exec_lo, s50
.LBB193_226:                            ;   in Loop: Header=BB193_13 Depth=1
	s_or_b32 exec_lo, exec_lo, s49
	global_load_ubyte v82, v[37:38], off offset:776
	v_mov_b32_e32 v80, 0
	v_mov_b32_e32 v81, 0
	s_mov_b32 s49, exec_lo
	s_waitcnt vmcnt(0)
	v_cmpx_ne_u16_e32 0, v82
	s_cbranch_execz .LBB193_234
; %bb.227:                              ;   in Loop: Header=BB193_13 Depth=1
	v_bfrev_b32_e32 v81, 1
	s_mov_b32 s50, exec_lo
	v_cmpx_ne_u16_e32 0x80, v82
	s_cbranch_execz .LBB193_233
; %bb.228:                              ;   in Loop: Header=BB193_13 Depth=1
	v_and_b32_sdwa v83, v82, v48 dst_sel:DWORD dst_unused:UNUSED_PAD src0_sel:WORD_0 src1_sel:DWORD
	v_mov_b32_e32 v81, 0x7f800001
	s_mov_b32 s51, exec_lo
	v_cmpx_ne_u32_e32 0x7f, v83
	s_cbranch_execz .LBB193_232
; %bb.229:                              ;   in Loop: Header=BB193_13 Depth=1
	v_and_b32_sdwa v31, v82, v49 dst_sel:DWORD dst_unused:UNUSED_PAD src0_sel:WORD_0 src1_sel:DWORD
	v_lshrrev_b32_e32 v81, 3, v83
	s_mov_b32 s52, exec_lo
	v_cmpx_gt_u32_e32 8, v83
; %bb.230:                              ;   in Loop: Header=BB193_13 Depth=1
	v_ffbh_u32_e32 v81, v31
	v_min_u32_e32 v81, 32, v81
	v_subrev_nc_u32_e32 v83, 28, v81
	v_sub_nc_u32_e32 v81, 29, v81
	v_lshlrev_b64 v[83:84], v83, v[31:32]
	v_and_b32_e32 v31, 7, v83
; %bb.231:                              ;   in Loop: Header=BB193_13 Depth=1
	s_or_b32 exec_lo, exec_lo, s52
	v_lshlrev_b32_e32 v82, 24, v82
	v_lshlrev_b32_e32 v31, 20, v31
	v_lshl_add_u32 v81, v81, 23, 0x3c000000
	v_and_b32_e32 v82, 0x80000000, v82
	v_or3_b32 v81, v31, v82, v81
.LBB193_232:                            ;   in Loop: Header=BB193_13 Depth=1
	s_or_b32 exec_lo, exec_lo, s51
.LBB193_233:                            ;   in Loop: Header=BB193_13 Depth=1
	s_or_b32 exec_lo, exec_lo, s50
.LBB193_234:                            ;   in Loop: Header=BB193_13 Depth=1
	s_or_b32 exec_lo, exec_lo, s49
	global_load_ubyte v37, v[37:38], off offset:780
	s_mov_b32 s49, exec_lo
	s_waitcnt vmcnt(0)
	v_cmpx_ne_u16_e32 0, v37
	s_cbranch_execz .LBB193_242
; %bb.235:                              ;   in Loop: Header=BB193_13 Depth=1
	v_bfrev_b32_e32 v80, 1
	s_mov_b32 s50, exec_lo
	v_cmpx_ne_u16_e32 0x80, v37
	s_cbranch_execz .LBB193_241
; %bb.236:                              ;   in Loop: Header=BB193_13 Depth=1
	v_and_b32_sdwa v82, v37, v48 dst_sel:DWORD dst_unused:UNUSED_PAD src0_sel:WORD_0 src1_sel:DWORD
	v_mov_b32_e32 v80, 0x7f800001
	s_mov_b32 s51, exec_lo
	v_cmpx_ne_u32_e32 0x7f, v82
	s_cbranch_execz .LBB193_240
; %bb.237:                              ;   in Loop: Header=BB193_13 Depth=1
	v_and_b32_sdwa v31, v37, v49 dst_sel:DWORD dst_unused:UNUSED_PAD src0_sel:WORD_0 src1_sel:DWORD
	v_lshrrev_b32_e32 v38, 3, v82
	s_mov_b32 s52, exec_lo
	v_cmpx_gt_u32_e32 8, v82
; %bb.238:                              ;   in Loop: Header=BB193_13 Depth=1
	v_ffbh_u32_e32 v38, v31
	v_min_u32_e32 v38, 32, v38
	v_subrev_nc_u32_e32 v80, 28, v38
	v_sub_nc_u32_e32 v38, 29, v38
	v_lshlrev_b64 v[82:83], v80, v[31:32]
	v_and_b32_e32 v31, 7, v82
; %bb.239:                              ;   in Loop: Header=BB193_13 Depth=1
	s_or_b32 exec_lo, exec_lo, s52
	v_lshlrev_b32_e32 v37, 24, v37
	v_lshlrev_b32_e32 v31, 20, v31
	v_lshl_add_u32 v38, v38, 23, 0x3c000000
	v_and_b32_e32 v37, 0x80000000, v37
	v_or3_b32 v80, v31, v37, v38
.LBB193_240:                            ;   in Loop: Header=BB193_13 Depth=1
	s_or_b32 exec_lo, exec_lo, s51
.LBB193_241:                            ;   in Loop: Header=BB193_13 Depth=1
	s_or_b32 exec_lo, exec_lo, s50
.LBB193_242:                            ;   in Loop: Header=BB193_13 Depth=1
	s_or_b32 exec_lo, exec_lo, s49
	s_waitcnt lgkmcnt(0)
	v_mul_f32_e32 v31, s48, v54
	v_mul_f32_e32 v37, s48, v55
	;; [unrolled: 1-line block ×4, first 2 shown]
	v_fmac_f32_e32 v26, v25, v37
	v_mul_f32_e32 v25, s48, v56
	v_fmac_f32_e32 v26, v27, v31
	v_mul_f32_e32 v27, s48, v59
	;; [unrolled: 2-line block ×23, first 2 shown]
	v_fmac_f32_e32 v26, v1, v5
	v_xor_b32_e32 v1, 2, v42
	v_mul_f32_e32 v5, s48, v81
	v_fmac_f32_e32 v26, v2, v6
	v_cmp_gt_i32_e64 s2, 32, v1
	v_mul_f32_e32 v2, s48, v80
	v_fmac_f32_e32 v26, v3, v5
	v_cndmask_b32_e64 v1, v42, v1, s2
	v_fmac_f32_e32 v26, v4, v2
	v_lshlrev_b32_e32 v1, 2, v1
	v_xor_b32_e32 v2, 1, v42
	ds_bpermute_b32 v1, v1, v26
	v_cmp_gt_i32_e64 s2, 32, v2
	v_cndmask_b32_e64 v2, v42, v2, s2
	v_lshlrev_b32_e32 v2, 2, v2
	s_waitcnt lgkmcnt(0)
	v_add_f32_e32 v1, v26, v1
	ds_bpermute_b32 v2, v2, v1
	s_and_saveexec_b32 s48, vcc_lo
	s_cbranch_execz .LBB193_11
; %bb.243:                              ;   in Loop: Header=BB193_13 Depth=1
	v_add_nc_u32_e32 v3, v50, v46
	s_waitcnt lgkmcnt(0)
	v_add_f32_e32 v1, v1, v2
	v_cvt_f32_i32_e32 v3, v3
	v_mul_f32_e32 v3, s43, v3
	v_cndmask_b32_e64 v2, 0, v3, s1
	v_max_f32_e32 v3, v43, v43
	v_fmac_f32_e32 v2, s41, v1
	v_add_nc_u32_e32 v1, v44, v46
	v_max_f32_e32 v3, v3, v2
	v_cmp_gt_i32_e64 s2, s31, v1
	v_cndmask_b32_e64 v1, 0, v2, s2
	v_cndmask_b32_e64 v43, v43, v3, s2
	ds_write_b32 v51, v1
	s_branch .LBB193_11
.LBB193_244:
	s_or_b32 exec_lo, exec_lo, s46
.LBB193_245:
	s_or_b32 exec_lo, exec_lo, s45
	v_xor_b32_e32 v1, 16, v42
	v_xor_b32_e32 v3, 8, v42
	v_max_f32_e32 v5, v43, v43
	v_and_b32_e32 v25, 31, v0
	v_cmp_gt_i32_e32 vcc_lo, 32, v1
	v_cndmask_b32_e32 v1, v42, v1, vcc_lo
	v_cmp_gt_i32_e32 vcc_lo, 32, v3
	s_waitcnt lgkmcnt(0)
	v_lshlrev_b32_e32 v2, 2, v1
	v_cndmask_b32_e32 v3, v42, v3, vcc_lo
	ds_bpermute_b32 v1, v2, v43
	v_lshlrev_b32_e32 v4, 2, v3
	s_waitcnt lgkmcnt(0)
	v_max_f32_e32 v1, v1, v1
	v_max_f32_e32 v1, v5, v1
	v_xor_b32_e32 v5, 4, v42
	ds_bpermute_b32 v3, v4, v1
	v_cmp_gt_i32_e32 vcc_lo, 32, v5
	v_cndmask_b32_e32 v5, v42, v5, vcc_lo
	v_cmp_eq_u32_e32 vcc_lo, 0, v25
	v_lshlrev_b32_e32 v7, 2, v5
	v_lshlrev_b32_e32 v5, 2, v39
	s_waitcnt lgkmcnt(0)
	v_max_f32_e32 v3, v3, v3
	v_max_f32_e32 v1, v1, v3
	ds_bpermute_b32 v3, v7, v1
	s_and_saveexec_b32 s1, vcc_lo
	s_cbranch_execz .LBB193_247
; %bb.246:
	s_waitcnt lgkmcnt(0)
	v_max_f32_e32 v3, v3, v3
	v_max_f32_e32 v1, v1, v1
	;; [unrolled: 1-line block ×3, first 2 shown]
	ds_write_b32 v5, v1 offset:448
.LBB193_247:
	s_or_b32 exec_lo, exec_lo, s1
	v_cmp_gt_u32_e64 s1, 4, v25
	v_mov_b32_e32 v1, 0xff7fffff
	v_lshlrev_b32_e32 v6, 2, v25
	s_waitcnt lgkmcnt(0)
	s_barrier
	buffer_gl0_inv
	s_and_saveexec_b32 s2, s1
; %bb.248:
	ds_read_b32 v1, v6 offset:448
; %bb.249:
	s_or_b32 exec_lo, exec_lo, s2
	v_xor_b32_e32 v3, 2, v42
	v_xor_b32_e32 v9, 1, v42
	v_cmp_gt_i32_e64 s2, 32, v3
	v_cndmask_b32_e64 v3, v42, v3, s2
	v_cmp_gt_i32_e64 s2, 32, v9
	v_lshlrev_b32_e32 v8, 2, v3
	v_cndmask_b32_e64 v9, v42, v9, s2
	s_sub_i32 s2, s20, s44
	s_lshl_b32 s2, s2, 3
	s_waitcnt lgkmcnt(0)
	ds_bpermute_b32 v3, v8, v1
	v_max_f32_e32 v1, v1, v1
	v_lshlrev_b32_e32 v26, 2, v9
	v_mov_b32_e32 v9, 0
	s_add_i32 s2, s2, s42
	s_min_i32 s2, s2, s31
	s_sub_i32 s4, s2, s42
	v_cmp_gt_i32_e64 s2, s4, v0
	s_waitcnt lgkmcnt(0)
	v_max_f32_e32 v3, v3, v3
	v_max_f32_e32 v1, v1, v3
	ds_bpermute_b32 v3, v26, v1
	s_waitcnt lgkmcnt(0)
	v_max_f32_e32 v3, v3, v3
	v_max_f32_e32 v1, v1, v3
	v_lshl_add_u32 v3, v0, 2, 0x1e0
	ds_bpermute_b32 v1, v9, v1
	s_and_saveexec_b32 s5, s2
	s_cbranch_execz .LBB193_253
; %bb.250:
	v_lshl_add_u32 v10, v0, 2, 0x1e0
	v_mov_b32_e32 v9, 0
	v_mov_b32_e32 v11, v0
	s_mov_b32 s12, 0
	.p2align	6
.LBB193_251:                            ; =>This Inner Loop Header: Depth=1
	ds_read_b32 v12, v10
	v_add_nc_u32_e32 v11, 0x80, v11
	v_cmp_le_i32_e64 s3, s4, v11
	s_or_b32 s12, s3, s12
	s_waitcnt lgkmcnt(0)
	v_sub_f32_e32 v12, v12, v1
	v_mul_f32_e32 v12, 0x3fb8aa3b, v12
	v_exp_f32_e32 v12, v12
	ds_write_b32 v10, v12
	v_add_f32_e32 v9, v9, v12
	v_add_nc_u32_e32 v10, 0x200, v10
	s_andn2_b32 exec_lo, exec_lo, s12
	s_cbranch_execnz .LBB193_251
; %bb.252:
	s_or_b32 exec_lo, exec_lo, s12
.LBB193_253:
	s_or_b32 exec_lo, exec_lo, s5
	ds_bpermute_b32 v2, v2, v9
	s_waitcnt lgkmcnt(0)
	v_add_f32_e32 v2, v9, v2
	ds_bpermute_b32 v4, v4, v2
	s_waitcnt lgkmcnt(0)
	v_add_f32_e32 v2, v2, v4
	;; [unrolled: 3-line block ×5, first 2 shown]
	s_and_saveexec_b32 s3, vcc_lo
; %bb.254:
	ds_write_b32 v5, v2 offset:464
; %bb.255:
	s_or_b32 exec_lo, exec_lo, s3
	s_waitcnt lgkmcnt(0)
	s_barrier
	buffer_gl0_inv
	s_and_saveexec_b32 s3, s1
; %bb.256:
	ds_read_b32 v2, v6 offset:464
; %bb.257:
	s_or_b32 exec_lo, exec_lo, s3
	s_waitcnt lgkmcnt(0)
	ds_bpermute_b32 v4, v8, v2
	s_waitcnt lgkmcnt(0)
	v_add_f32_e32 v2, v2, v4
	ds_bpermute_b32 v4, v26, v2
	s_waitcnt lgkmcnt(0)
	v_add_f32_e32 v2, v2, v4
	v_mov_b32_e32 v4, 0
	ds_bpermute_b32 v2, v4, v2
	s_and_saveexec_b32 s1, s2
	s_cbranch_execz .LBB193_260
; %bb.258:
	s_waitcnt lgkmcnt(0)
	v_add_f32_e32 v4, 0x358637bd, v2
	s_mov_b32 s2, 0
	v_div_scale_f32 v5, null, v4, v4, 1.0
	v_div_scale_f32 v8, vcc_lo, 1.0, v4, 1.0
	v_rcp_f32_e32 v6, v5
	v_fma_f32 v7, -v5, v6, 1.0
	v_fmac_f32_e32 v6, v7, v6
	v_mul_f32_e32 v7, v8, v6
	v_fma_f32 v9, -v5, v7, v8
	v_fmac_f32_e32 v7, v9, v6
	v_fma_f32 v5, -v5, v7, v8
	v_div_fmas_f32 v5, v5, v6, v7
	v_div_fixup_f32 v4, v5, v4, 1.0
	v_mov_b32_e32 v5, v0
.LBB193_259:                            ; =>This Inner Loop Header: Depth=1
	ds_read_b32 v6, v3
	v_add_nc_u32_e32 v5, 0x80, v5
	v_cmp_le_i32_e32 vcc_lo, s4, v5
	s_or_b32 s2, vcc_lo, s2
	s_waitcnt lgkmcnt(0)
	v_mul_f32_e32 v6, v4, v6
	ds_write_b32 v3, v6
	v_add_nc_u32_e32 v3, 0x200, v3
	s_andn2_b32 exec_lo, exec_lo, s2
	s_cbranch_execnz .LBB193_259
.LBB193_260:
	s_or_b32 exec_lo, exec_lo, s1
	s_mul_i32 s1, s7, s30
	s_waitcnt lgkmcnt(0)
	s_mul_i32 s2, s1, s9
	s_mov_b32 s1, exec_lo
	s_barrier
	buffer_gl0_inv
	v_cmpx_eq_u32_e32 0, v0
	s_cbranch_execz .LBB193_262
; %bb.261:
	s_ashr_i32 s3, s2, 31
	s_mul_i32 s12, s7, s6
	s_lshl_b64 s[4:5], s[2:3], 2
	v_mov_b32_e32 v3, 0
	s_add_u32 s3, s26, s4
	s_addc_u32 s6, s27, s5
	s_ashr_i32 s13, s12, 31
	s_lshl_b64 s[12:13], s[12:13], 2
	s_add_u32 s3, s3, s12
	s_addc_u32 s6, s6, s13
	s_ashr_i32 s9, s8, 31
	s_lshl_b64 s[26:27], s[8:9], 2
	s_add_u32 s42, s3, s26
	s_addc_u32 s43, s6, s27
	s_add_u32 s3, s24, s4
	s_addc_u32 s4, s25, s5
	;; [unrolled: 2-line block ×4, first 2 shown]
	global_store_dword v3, v1, s[42:43]
	global_store_dword v3, v2, s[4:5]
.LBB193_262:
	s_or_b32 exec_lo, exec_lo, s1
	v_mov_b32_e32 v37, 0
	v_and_b32_e32 v27, 1, v0
	v_mov_b32_e32 v35, 0
	v_mov_b32_e32 v34, 0
	;; [unrolled: 1-line block ×6, first 2 shown]
	s_and_saveexec_b32 s1, s0
	s_cbranch_execz .LBB193_506
; %bb.263:
	s_sub_i32 s3, s40, s21
	s_ashr_i32 s0, s18, 31
	s_add_u32 s5, s38, s18
	s_addc_u32 s0, s39, s0
	s_abs_i32 s4, s22
	v_and_b32_e32 v3, 0x7c, v41
	v_cvt_f32_u32_e32 v1, s4
	s_sub_i32 s6, 0, s4
	v_lshlrev_b32_e32 v5, 4, v27
	s_lshl_b64 s[12:13], s[36:37], 2
	v_add_co_u32 v11, s5, s5, v3
	v_rcp_iflag_f32_e32 v4, v1
	v_lshlrev_b64 v[1:2], 2, v[29:30]
	s_add_i32 s33, s33, -1
	v_lshl_or_b32 v5, v39, 5, v5
	v_add_co_ci_u32_e64 v12, null, s0, 0, s5
	s_add_u32 s0, s34, s12
	s_addc_u32 s5, s35, s13
	v_add_co_u32 v13, vcc_lo, s0, v1
	v_mul_f32_e32 v4, 0x4f7ffffe, v4
	v_and_b32_e32 v36, 4, v41
	v_mov_b32_e32 v6, 0
	v_mov_b32_e32 v30, 0x80
	v_bfrev_b32_e32 v8, 1
	v_cvt_u32_f32_e32 v4, v4
	v_mov_b32_e32 v38, 0xffff
	v_mov_b32_e32 v10, 0x7f800001
	;; [unrolled: 1-line block ×4, first 2 shown]
	v_mul_lo_u32 v7, s6, v4
	v_mov_b32_e32 v43, 24
	v_mov_b32_e32 v28, 0
	;; [unrolled: 1-line block ×7, first 2 shown]
	v_mul_hi_u32 v3, v4, v7
	v_add_co_ci_u32_e64 v14, null, s5, v2, vcc_lo
	v_add_nc_u32_e32 v44, 0x1e0, v5
	v_mov_b32_e32 v37, 0
	s_mov_b32 s6, s17
	s_mov_b32 s5, 0
	v_add_nc_u32_e32 v45, v4, v3
	s_branch .LBB193_266
.LBB193_264:                            ;   in Loop: Header=BB193_266 Depth=1
	s_or_b32 exec_lo, exec_lo, s0
	v_mul_f32_e32 v16, v1, v71
	v_mul_f32_e32 v17, v1, v69
	;; [unrolled: 1-line block ×7, first 2 shown]
	v_fmac_f32_e32 v16, v2, v70
	v_fmac_f32_e32 v17, v2, v68
	;; [unrolled: 1-line block ×21, first 2 shown]
	v_add_f32_e32 v31, v31, v16
	v_add_f32_e32 v32, v32, v17
	;; [unrolled: 1-line block ×7, first 2 shown]
.LBB193_265:                            ;   in Loop: Header=BB193_266 Depth=1
	s_or_b32 exec_lo, exec_lo, s9
	v_add_nc_u32_e32 v29, 4, v29
	v_add_co_u32 v13, s0, v13, 16
	v_add_co_ci_u32_e64 v14, null, 0, v14, s0
	v_cmp_le_i32_e32 vcc_lo, s20, v29
	v_add_nc_u32_e32 v40, 32, v40
	v_add_nc_u32_e32 v44, 0x80, v44
	s_or_b32 s5, vcc_lo, s5
	s_andn2_b32 exec_lo, exec_lo, s5
	s_cbranch_execz .LBB193_505
.LBB193_266:                            ; =>This Inner Loop Header: Depth=1
	v_sub_nc_u32_e32 v1, 0, v40
	v_max_i32_e32 v1, v40, v1
	v_mul_hi_u32 v2, v1, s16
	v_mul_lo_u32 v3, v2, s11
	v_sub_nc_u32_e32 v1, v1, v3
	v_add_nc_u32_e32 v3, 1, v2
	v_subrev_nc_u32_e32 v4, s11, v1
	v_cmp_le_u32_e32 vcc_lo, s11, v1
	v_cndmask_b32_e32 v2, v2, v3, vcc_lo
	v_cndmask_b32_e32 v1, v1, v4, vcc_lo
	v_ashrrev_i32_e32 v3, 31, v40
	v_add_nc_u32_e32 v4, 1, v2
	v_cmp_le_u32_e32 vcc_lo, s11, v1
	v_xor_b32_e32 v3, s23, v3
	v_cndmask_b32_e32 v1, v2, v4, vcc_lo
	v_xor_b32_e32 v1, v1, v3
	v_sub_nc_u32_e32 v1, v1, v3
	v_add_nc_u32_e32 v2, s19, v1
	v_cmp_lt_i32_e64 s0, s3, v1
	v_sub_nc_u32_e32 v3, 0, v2
	v_max_i32_e32 v3, v2, v3
	v_ashrrev_i32_e32 v2, 31, v2
	v_mul_hi_u32 v4, v3, v45
	v_mul_lo_u32 v4, v4, s4
	v_sub_nc_u32_e32 v3, v3, v4
	v_subrev_nc_u32_e32 v4, s4, v3
	v_cmp_le_u32_e32 vcc_lo, s4, v3
	v_cndmask_b32_e32 v3, v3, v4, vcc_lo
	v_subrev_nc_u32_e32 v4, s4, v3
	v_cmp_le_u32_e32 vcc_lo, s4, v3
	v_cndmask_b32_e32 v3, v3, v4, vcc_lo
	v_xor_b32_e32 v3, v3, v2
	v_sub_nc_u32_e32 v2, v3, v2
	v_cmp_eq_u32_e32 vcc_lo, 0, v2
	s_or_b32 s0, vcc_lo, s0
	s_and_saveexec_b32 s9, s0
	s_cbranch_execz .LBB193_265
; %bb.267:                              ;   in Loop: Header=BB193_266 Depth=1
	global_load_dword v1, v[13:14], off
	s_load_dword s12, s[14:15], 0x0
	v_mov_b32_e32 v19, 0
	v_mov_b32_e32 v17, 0
	v_mov_b32_e32 v20, 0
	v_mov_b32_e32 v18, 0
	s_waitcnt vmcnt(0)
	v_mad_i64_i32 v[15:16], null, v1, s6, v[11:12]
	ds_read_b128 v[1:4], v44
	global_load_dword v46, v[15:16], off
	s_waitcnt vmcnt(0)
	v_cmp_ne_u16_sdwa s13, v46, v6 src0_sel:BYTE_0 src1_sel:DWORD
	s_and_saveexec_b32 s0, s13
	s_cbranch_execz .LBB193_275
; %bb.268:                              ;   in Loop: Header=BB193_266 Depth=1
	v_bfrev_b32_e32 v17, 1
	v_mov_b32_e32 v18, 0
	v_cmp_ne_u16_sdwa s17, v46, v30 src0_sel:BYTE_0 src1_sel:DWORD
	s_and_saveexec_b32 s13, s17
	s_cbranch_execz .LBB193_274
; %bb.269:                              ;   in Loop: Header=BB193_266 Depth=1
	v_mov_b32_e32 v17, 0x7f800001
	v_and_b32_e32 v9, 0x7f, v46
	v_mov_b32_e32 v18, 0
	s_mov_b32 s17, exec_lo
	v_cmpx_ne_u32_e32 0x7f, v9
	s_cbranch_execz .LBB193_273
; %bb.270:                              ;   in Loop: Header=BB193_266 Depth=1
	v_and_b32_e32 v5, 7, v46
	v_lshrrev_b32_e32 v7, 3, v9
	s_mov_b32 s18, exec_lo
	v_cmpx_gt_u32_e32 8, v9
; %bb.271:                              ;   in Loop: Header=BB193_266 Depth=1
	v_ffbh_u32_e32 v7, v5
	v_min_u32_e32 v7, 32, v7
	v_subrev_nc_u32_e32 v9, 28, v7
	v_sub_nc_u32_e32 v7, 29, v7
	v_lshlrev_b64 v[17:18], v9, v[5:6]
	v_and_b32_e32 v5, 7, v17
; %bb.272:                              ;   in Loop: Header=BB193_266 Depth=1
	s_or_b32 exec_lo, exec_lo, s18
	v_lshlrev_b32_e32 v9, 24, v46
	v_lshlrev_b32_e32 v5, 20, v5
	v_lshl_add_u32 v7, v7, 23, 0x3c000000
	v_and_b32_e32 v9, 0x80000000, v9
	v_or3_b32 v5, v5, v9, v7
	v_mov_b32_e32 v18, v6
	v_mov_b32_e32 v17, v5
.LBB193_273:                            ;   in Loop: Header=BB193_266 Depth=1
	s_or_b32 exec_lo, exec_lo, s17
.LBB193_274:                            ;   in Loop: Header=BB193_266 Depth=1
	s_or_b32 exec_lo, exec_lo, s13
.LBB193_275:                            ;   in Loop: Header=BB193_266 Depth=1
	s_or_b32 exec_lo, exec_lo, s0
	v_cmp_ne_u16_sdwa s13, v46, v6 src0_sel:BYTE_1 src1_sel:DWORD
	s_and_saveexec_b32 s0, s13
	s_cbranch_execz .LBB193_283
; %bb.276:                              ;   in Loop: Header=BB193_266 Depth=1
	v_mov_b32_e32 v7, v6
	v_mov_b32_e32 v20, v8
	v_cmp_ne_u16_sdwa s17, v46, v30 src0_sel:BYTE_1 src1_sel:DWORD
	v_mov_b32_e32 v19, v7
	s_and_saveexec_b32 s13, s17
	s_cbranch_execz .LBB193_282
; %bb.277:                              ;   in Loop: Header=BB193_266 Depth=1
	v_and_b32_sdwa v5, v38, v46 dst_sel:DWORD dst_unused:UNUSED_PAD src0_sel:DWORD src1_sel:BYTE_1
	v_mov_b32_e32 v9, v6
	v_mov_b32_e32 v20, v10
	s_mov_b32 s17, exec_lo
	v_and_b32_e32 v21, 0x7f, v5
	v_mov_b32_e32 v19, v9
	v_cmpx_ne_u32_e32 0x7f, v21
	s_cbranch_execz .LBB193_281
; %bb.278:                              ;   in Loop: Header=BB193_266 Depth=1
	v_and_b32_e32 v5, 7, v5
	v_lshrrev_b32_e32 v7, 3, v21
	s_mov_b32 s18, exec_lo
	v_cmpx_gt_u32_e32 8, v21
; %bb.279:                              ;   in Loop: Header=BB193_266 Depth=1
	v_ffbh_u32_e32 v7, v5
	v_min_u32_e32 v7, 32, v7
	v_subrev_nc_u32_e32 v9, 28, v7
	v_sub_nc_u32_e32 v7, 29, v7
	v_lshlrev_b64 v[19:20], v9, v[5:6]
	v_and_b32_e32 v5, 7, v19
; %bb.280:                              ;   in Loop: Header=BB193_266 Depth=1
	s_or_b32 exec_lo, exec_lo, s18
	v_lshlrev_b32_e32 v9, 16, v46
	v_lshlrev_b32_e32 v5, 20, v5
	v_lshl_add_u32 v7, v7, 23, 0x3c000000
	v_mov_b32_e32 v19, v6
	v_and_b32_e32 v9, 0x80000000, v9
	v_or3_b32 v20, v5, v9, v7
.LBB193_281:                            ;   in Loop: Header=BB193_266 Depth=1
	s_or_b32 exec_lo, exec_lo, s17
.LBB193_282:                            ;   in Loop: Header=BB193_266 Depth=1
	s_or_b32 exec_lo, exec_lo, s13
.LBB193_283:                            ;   in Loop: Header=BB193_266 Depth=1
	s_or_b32 exec_lo, exec_lo, s0
	v_mov_b32_e32 v23, 0
	v_mov_b32_e32 v21, 0
	v_and_b32_sdwa v5, v46, v41 dst_sel:DWORD dst_unused:UNUSED_PAD src0_sel:WORD_1 src1_sel:DWORD
	v_mov_b32_e32 v24, 0
	v_mov_b32_e32 v22, 0
	s_mov_b32 s0, exec_lo
	v_cmpx_ne_u16_e32 0, v5
	s_cbranch_execz .LBB193_291
; %bb.284:                              ;   in Loop: Header=BB193_266 Depth=1
	v_bfrev_b32_e32 v21, 1
	v_mov_b32_e32 v22, 0
	s_mov_b32 s13, exec_lo
	v_cmpx_ne_u16_e32 0x80, v5
	s_cbranch_execz .LBB193_290
; %bb.285:                              ;   in Loop: Header=BB193_266 Depth=1
	v_mov_b32_e32 v21, 0x7f800001
	v_bfe_u32 v9, v46, 16, 7
	v_mov_b32_e32 v22, 0
	s_mov_b32 s17, exec_lo
	v_cmpx_ne_u32_e32 0x7f, v9
	s_cbranch_execz .LBB193_289
; %bb.286:                              ;   in Loop: Header=BB193_266 Depth=1
	v_and_b32_sdwa v5, v46, v42 dst_sel:DWORD dst_unused:UNUSED_PAD src0_sel:WORD_1 src1_sel:DWORD
	v_lshrrev_b32_e32 v7, 3, v9
	s_mov_b32 s18, exec_lo
	v_cmpx_gt_u32_e32 8, v9
; %bb.287:                              ;   in Loop: Header=BB193_266 Depth=1
	v_ffbh_u32_e32 v7, v5
	v_min_u32_e32 v7, 32, v7
	v_subrev_nc_u32_e32 v9, 28, v7
	v_sub_nc_u32_e32 v7, 29, v7
	v_lshlrev_b64 v[21:22], v9, v[5:6]
	v_and_b32_e32 v5, 7, v21
; %bb.288:                              ;   in Loop: Header=BB193_266 Depth=1
	s_or_b32 exec_lo, exec_lo, s18
	v_lshlrev_b32_sdwa v9, v43, v46 dst_sel:DWORD dst_unused:UNUSED_PAD src0_sel:DWORD src1_sel:WORD_1
	v_lshlrev_b32_e32 v5, 20, v5
	v_lshl_add_u32 v7, v7, 23, 0x3c000000
	v_and_b32_e32 v9, 0x80000000, v9
	v_or3_b32 v5, v5, v9, v7
	v_mov_b32_e32 v22, v6
	v_mov_b32_e32 v21, v5
.LBB193_289:                            ;   in Loop: Header=BB193_266 Depth=1
	s_or_b32 exec_lo, exec_lo, s17
.LBB193_290:                            ;   in Loop: Header=BB193_266 Depth=1
	s_or_b32 exec_lo, exec_lo, s13
.LBB193_291:                            ;   in Loop: Header=BB193_266 Depth=1
	s_or_b32 exec_lo, exec_lo, s0
	s_mov_b32 s0, exec_lo
	v_cmpx_lt_u32_e32 0xffffff, v46
	s_cbranch_execz .LBB193_299
; %bb.292:                              ;   in Loop: Header=BB193_266 Depth=1
	v_mov_b32_e32 v7, v6
	v_mov_b32_e32 v24, v8
	v_cmp_ne_u32_sdwa s17, v46, v30 src0_sel:BYTE_3 src1_sel:DWORD
	v_mov_b32_e32 v23, v7
	s_and_saveexec_b32 s13, s17
	s_cbranch_execz .LBB193_298
; %bb.293:                              ;   in Loop: Header=BB193_266 Depth=1
	v_mov_b32_e32 v9, v6
	v_mov_b32_e32 v24, v10
	v_bfe_u32 v47, v46, 24, 7
	s_mov_b32 s17, exec_lo
	v_mov_b32_e32 v23, v9
	v_cmpx_ne_u32_e32 0x7f, v47
	s_cbranch_execz .LBB193_297
; %bb.294:                              ;   in Loop: Header=BB193_266 Depth=1
	v_and_b32_sdwa v5, v46, v42 dst_sel:DWORD dst_unused:UNUSED_PAD src0_sel:BYTE_3 src1_sel:DWORD
	v_lshrrev_b32_e32 v7, 3, v47
	s_mov_b32 s18, exec_lo
	v_cmpx_gt_u32_e32 8, v47
; %bb.295:                              ;   in Loop: Header=BB193_266 Depth=1
	v_ffbh_u32_e32 v7, v5
	v_min_u32_e32 v7, 32, v7
	v_subrev_nc_u32_e32 v9, 28, v7
	v_sub_nc_u32_e32 v7, 29, v7
	v_lshlrev_b64 v[23:24], v9, v[5:6]
	v_and_b32_e32 v5, 7, v23
; %bb.296:                              ;   in Loop: Header=BB193_266 Depth=1
	s_or_b32 exec_lo, exec_lo, s18
	v_lshlrev_b32_sdwa v9, v43, v46 dst_sel:DWORD dst_unused:UNUSED_PAD src0_sel:DWORD src1_sel:BYTE_3
	v_lshlrev_b32_e32 v5, 20, v5
	v_lshl_add_u32 v7, v7, 23, 0x3c000000
	v_mov_b32_e32 v23, v6
	v_and_b32_e32 v9, 0x80000000, v9
	v_or3_b32 v24, v5, v9, v7
.LBB193_297:                            ;   in Loop: Header=BB193_266 Depth=1
	s_or_b32 exec_lo, exec_lo, s17
.LBB193_298:                            ;   in Loop: Header=BB193_266 Depth=1
	s_or_b32 exec_lo, exec_lo, s13
.LBB193_299:                            ;   in Loop: Header=BB193_266 Depth=1
	s_or_b32 exec_lo, exec_lo, s0
	v_add_nc_u32_e32 v50, v36, v40
	v_or_b32_e32 v5, v20, v18
	v_or_b32_e32 v7, v19, v17
	;; [unrolled: 1-line block ×4, first 2 shown]
	v_cmp_eq_u32_e32 vcc_lo, s33, v29
	s_waitcnt lgkmcnt(0)
	v_mul_f32_e32 v48, s12, v5
	v_mul_f32_e32 v49, s12, v7
	;; [unrolled: 1-line block ×4, first 2 shown]
	v_add_nc_u32_e32 v53, 1, v50
	v_add_nc_u32_e32 v52, 2, v50
	;; [unrolled: 1-line block ×3, first 2 shown]
	s_and_saveexec_b32 s13, vcc_lo
	s_cbranch_execz .LBB193_301
; %bb.300:                              ;   in Loop: Header=BB193_266 Depth=1
	v_cmp_gt_i32_e64 s0, s31, v50
	v_cndmask_b32_e64 v49, 0, v49, s0
	v_cmp_gt_i32_e64 s0, s31, v53
	v_cndmask_b32_e64 v48, 0, v48, s0
	;; [unrolled: 2-line block ×4, first 2 shown]
.LBB193_301:                            ;   in Loop: Header=BB193_266 Depth=1
	s_or_b32 exec_lo, exec_lo, s13
	global_load_dword v54, v[15:16], off offset:128
	v_mov_b32_e32 v19, 0
	v_mov_b32_e32 v17, 0
	;; [unrolled: 1-line block ×4, first 2 shown]
	s_waitcnt vmcnt(0)
	v_cmp_ne_u16_sdwa s0, v54, v6 src0_sel:BYTE_0 src1_sel:DWORD
	s_and_saveexec_b32 s13, s0
	s_cbranch_execz .LBB193_309
; %bb.302:                              ;   in Loop: Header=BB193_266 Depth=1
	v_bfrev_b32_e32 v17, 1
	v_mov_b32_e32 v18, 0
	v_cmp_ne_u16_sdwa s0, v54, v30 src0_sel:BYTE_0 src1_sel:DWORD
	s_and_saveexec_b32 s17, s0
	s_cbranch_execz .LBB193_308
; %bb.303:                              ;   in Loop: Header=BB193_266 Depth=1
	v_mov_b32_e32 v17, 0x7f800001
	v_and_b32_e32 v9, 0x7f, v54
	v_mov_b32_e32 v18, 0
	s_mov_b32 s18, exec_lo
	v_cmpx_ne_u32_e32 0x7f, v9
	s_cbranch_execz .LBB193_307
; %bb.304:                              ;   in Loop: Header=BB193_266 Depth=1
	v_and_b32_e32 v5, 7, v54
	v_lshrrev_b32_e32 v7, 3, v9
	s_mov_b32 s21, exec_lo
	v_cmpx_gt_u32_e32 8, v9
; %bb.305:                              ;   in Loop: Header=BB193_266 Depth=1
	v_ffbh_u32_e32 v7, v5
	v_min_u32_e32 v7, 32, v7
	v_subrev_nc_u32_e32 v9, 28, v7
	v_sub_nc_u32_e32 v7, 29, v7
	v_lshlrev_b64 v[17:18], v9, v[5:6]
	v_and_b32_e32 v5, 7, v17
; %bb.306:                              ;   in Loop: Header=BB193_266 Depth=1
	s_or_b32 exec_lo, exec_lo, s21
	v_lshlrev_b32_e32 v9, 24, v54
	v_lshlrev_b32_e32 v5, 20, v5
	v_lshl_add_u32 v7, v7, 23, 0x3c000000
	v_and_b32_e32 v9, 0x80000000, v9
	v_or3_b32 v5, v5, v9, v7
	v_mov_b32_e32 v18, v6
	v_mov_b32_e32 v17, v5
.LBB193_307:                            ;   in Loop: Header=BB193_266 Depth=1
	s_or_b32 exec_lo, exec_lo, s18
.LBB193_308:                            ;   in Loop: Header=BB193_266 Depth=1
	s_or_b32 exec_lo, exec_lo, s17
.LBB193_309:                            ;   in Loop: Header=BB193_266 Depth=1
	s_or_b32 exec_lo, exec_lo, s13
	v_cmp_ne_u16_sdwa s0, v54, v6 src0_sel:BYTE_1 src1_sel:DWORD
	s_and_saveexec_b32 s13, s0
	s_cbranch_execz .LBB193_317
; %bb.310:                              ;   in Loop: Header=BB193_266 Depth=1
	v_mov_b32_e32 v7, v6
	v_mov_b32_e32 v20, v8
	v_cmp_ne_u16_sdwa s0, v54, v30 src0_sel:BYTE_1 src1_sel:DWORD
	v_mov_b32_e32 v19, v7
	s_and_saveexec_b32 s17, s0
	s_cbranch_execz .LBB193_316
; %bb.311:                              ;   in Loop: Header=BB193_266 Depth=1
	v_and_b32_sdwa v5, v38, v54 dst_sel:DWORD dst_unused:UNUSED_PAD src0_sel:DWORD src1_sel:BYTE_1
	v_mov_b32_e32 v9, v6
	v_mov_b32_e32 v20, v10
	s_mov_b32 s18, exec_lo
	v_and_b32_e32 v21, 0x7f, v5
	v_mov_b32_e32 v19, v9
	v_cmpx_ne_u32_e32 0x7f, v21
	s_cbranch_execz .LBB193_315
; %bb.312:                              ;   in Loop: Header=BB193_266 Depth=1
	v_and_b32_e32 v5, 7, v5
	v_lshrrev_b32_e32 v7, 3, v21
	s_mov_b32 s21, exec_lo
	v_cmpx_gt_u32_e32 8, v21
; %bb.313:                              ;   in Loop: Header=BB193_266 Depth=1
	v_ffbh_u32_e32 v7, v5
	v_min_u32_e32 v7, 32, v7
	v_subrev_nc_u32_e32 v9, 28, v7
	v_sub_nc_u32_e32 v7, 29, v7
	v_lshlrev_b64 v[19:20], v9, v[5:6]
	v_and_b32_e32 v5, 7, v19
; %bb.314:                              ;   in Loop: Header=BB193_266 Depth=1
	s_or_b32 exec_lo, exec_lo, s21
	v_lshlrev_b32_e32 v9, 16, v54
	v_lshlrev_b32_e32 v5, 20, v5
	v_lshl_add_u32 v7, v7, 23, 0x3c000000
	v_mov_b32_e32 v19, v6
	v_and_b32_e32 v9, 0x80000000, v9
	v_or3_b32 v20, v5, v9, v7
.LBB193_315:                            ;   in Loop: Header=BB193_266 Depth=1
	s_or_b32 exec_lo, exec_lo, s18
.LBB193_316:                            ;   in Loop: Header=BB193_266 Depth=1
	s_or_b32 exec_lo, exec_lo, s17
.LBB193_317:                            ;   in Loop: Header=BB193_266 Depth=1
	s_or_b32 exec_lo, exec_lo, s13
	v_mov_b32_e32 v23, 0
	v_mov_b32_e32 v21, 0
	v_and_b32_sdwa v5, v54, v41 dst_sel:DWORD dst_unused:UNUSED_PAD src0_sel:WORD_1 src1_sel:DWORD
	v_mov_b32_e32 v24, 0
	v_mov_b32_e32 v22, 0
	s_mov_b32 s13, exec_lo
	v_cmpx_ne_u16_e32 0, v5
	s_cbranch_execz .LBB193_325
; %bb.318:                              ;   in Loop: Header=BB193_266 Depth=1
	v_bfrev_b32_e32 v21, 1
	v_mov_b32_e32 v22, 0
	s_mov_b32 s17, exec_lo
	v_cmpx_ne_u16_e32 0x80, v5
	s_cbranch_execz .LBB193_324
; %bb.319:                              ;   in Loop: Header=BB193_266 Depth=1
	v_mov_b32_e32 v21, 0x7f800001
	v_bfe_u32 v9, v54, 16, 7
	v_mov_b32_e32 v22, 0
	s_mov_b32 s18, exec_lo
	v_cmpx_ne_u32_e32 0x7f, v9
	s_cbranch_execz .LBB193_323
; %bb.320:                              ;   in Loop: Header=BB193_266 Depth=1
	v_and_b32_sdwa v5, v54, v42 dst_sel:DWORD dst_unused:UNUSED_PAD src0_sel:WORD_1 src1_sel:DWORD
	v_lshrrev_b32_e32 v7, 3, v9
	s_mov_b32 s21, exec_lo
	v_cmpx_gt_u32_e32 8, v9
; %bb.321:                              ;   in Loop: Header=BB193_266 Depth=1
	v_ffbh_u32_e32 v7, v5
	v_min_u32_e32 v7, 32, v7
	v_subrev_nc_u32_e32 v9, 28, v7
	v_sub_nc_u32_e32 v7, 29, v7
	v_lshlrev_b64 v[21:22], v9, v[5:6]
	v_and_b32_e32 v5, 7, v21
; %bb.322:                              ;   in Loop: Header=BB193_266 Depth=1
	s_or_b32 exec_lo, exec_lo, s21
	v_lshlrev_b32_sdwa v9, v43, v54 dst_sel:DWORD dst_unused:UNUSED_PAD src0_sel:DWORD src1_sel:WORD_1
	v_lshlrev_b32_e32 v5, 20, v5
	v_lshl_add_u32 v7, v7, 23, 0x3c000000
	v_and_b32_e32 v9, 0x80000000, v9
	v_or3_b32 v5, v5, v9, v7
	v_mov_b32_e32 v22, v6
	v_mov_b32_e32 v21, v5
.LBB193_323:                            ;   in Loop: Header=BB193_266 Depth=1
	s_or_b32 exec_lo, exec_lo, s18
.LBB193_324:                            ;   in Loop: Header=BB193_266 Depth=1
	s_or_b32 exec_lo, exec_lo, s17
.LBB193_325:                            ;   in Loop: Header=BB193_266 Depth=1
	s_or_b32 exec_lo, exec_lo, s13
	s_mov_b32 s13, exec_lo
	v_cmpx_lt_u32_e32 0xffffff, v54
	s_cbranch_execz .LBB193_333
; %bb.326:                              ;   in Loop: Header=BB193_266 Depth=1
	v_mov_b32_e32 v7, v6
	v_mov_b32_e32 v24, v8
	v_cmp_ne_u32_sdwa s0, v54, v30 src0_sel:BYTE_3 src1_sel:DWORD
	v_mov_b32_e32 v23, v7
	s_and_saveexec_b32 s17, s0
	s_cbranch_execz .LBB193_332
; %bb.327:                              ;   in Loop: Header=BB193_266 Depth=1
	v_mov_b32_e32 v9, v6
	v_mov_b32_e32 v24, v10
	v_bfe_u32 v55, v54, 24, 7
	s_mov_b32 s18, exec_lo
	v_mov_b32_e32 v23, v9
	v_cmpx_ne_u32_e32 0x7f, v55
	s_cbranch_execz .LBB193_331
; %bb.328:                              ;   in Loop: Header=BB193_266 Depth=1
	v_and_b32_sdwa v5, v54, v42 dst_sel:DWORD dst_unused:UNUSED_PAD src0_sel:BYTE_3 src1_sel:DWORD
	v_lshrrev_b32_e32 v7, 3, v55
	s_mov_b32 s21, exec_lo
	v_cmpx_gt_u32_e32 8, v55
; %bb.329:                              ;   in Loop: Header=BB193_266 Depth=1
	v_ffbh_u32_e32 v7, v5
	v_min_u32_e32 v7, 32, v7
	v_subrev_nc_u32_e32 v9, 28, v7
	v_sub_nc_u32_e32 v7, 29, v7
	v_lshlrev_b64 v[23:24], v9, v[5:6]
	v_and_b32_e32 v5, 7, v23
; %bb.330:                              ;   in Loop: Header=BB193_266 Depth=1
	s_or_b32 exec_lo, exec_lo, s21
	v_lshlrev_b32_sdwa v9, v43, v54 dst_sel:DWORD dst_unused:UNUSED_PAD src0_sel:DWORD src1_sel:BYTE_3
	v_lshlrev_b32_e32 v5, 20, v5
	v_lshl_add_u32 v7, v7, 23, 0x3c000000
	v_mov_b32_e32 v23, v6
	v_and_b32_e32 v9, 0x80000000, v9
	v_or3_b32 v24, v5, v9, v7
.LBB193_331:                            ;   in Loop: Header=BB193_266 Depth=1
	s_or_b32 exec_lo, exec_lo, s18
.LBB193_332:                            ;   in Loop: Header=BB193_266 Depth=1
	s_or_b32 exec_lo, exec_lo, s17
.LBB193_333:                            ;   in Loop: Header=BB193_266 Depth=1
	s_or_b32 exec_lo, exec_lo, s13
	v_or_b32_e32 v5, v20, v18
	v_or_b32_e32 v7, v19, v17
	;; [unrolled: 1-line block ×4, first 2 shown]
	s_mov_b32 s13, s12
	v_mul_f32_e32 v56, s13, v5
	v_mul_f32_e32 v57, s12, v7
	;; [unrolled: 1-line block ×4, first 2 shown]
	s_and_saveexec_b32 s17, vcc_lo
	s_cbranch_execz .LBB193_335
; %bb.334:                              ;   in Loop: Header=BB193_266 Depth=1
	v_cmp_gt_i32_e64 s0, s31, v50
	v_cndmask_b32_e64 v57, 0, v57, s0
	v_cmp_gt_i32_e64 s0, s31, v53
	v_cndmask_b32_e64 v56, 0, v56, s0
	v_cmp_gt_i32_e64 s0, s31, v52
	v_cndmask_b32_e64 v55, 0, v55, s0
	v_cmp_gt_i32_e64 s0, s31, v51
	v_cndmask_b32_e64 v54, 0, v54, s0
.LBB193_335:                            ;   in Loop: Header=BB193_266 Depth=1
	s_or_b32 exec_lo, exec_lo, s17
	global_load_dword v58, v[15:16], off offset:256
	v_mov_b32_e32 v19, 0
	v_mov_b32_e32 v17, 0
	;; [unrolled: 1-line block ×4, first 2 shown]
	s_waitcnt vmcnt(0)
	v_cmp_ne_u16_sdwa s0, v58, v6 src0_sel:BYTE_0 src1_sel:DWORD
	s_and_saveexec_b32 s17, s0
	s_cbranch_execz .LBB193_343
; %bb.336:                              ;   in Loop: Header=BB193_266 Depth=1
	v_bfrev_b32_e32 v17, 1
	v_mov_b32_e32 v18, 0
	v_cmp_ne_u16_sdwa s0, v58, v30 src0_sel:BYTE_0 src1_sel:DWORD
	s_and_saveexec_b32 s18, s0
	s_cbranch_execz .LBB193_342
; %bb.337:                              ;   in Loop: Header=BB193_266 Depth=1
	v_mov_b32_e32 v17, 0x7f800001
	v_and_b32_e32 v9, 0x7f, v58
	v_mov_b32_e32 v18, 0
	s_mov_b32 s21, exec_lo
	v_cmpx_ne_u32_e32 0x7f, v9
	s_cbranch_execz .LBB193_341
; %bb.338:                              ;   in Loop: Header=BB193_266 Depth=1
	v_and_b32_e32 v5, 7, v58
	v_lshrrev_b32_e32 v7, 3, v9
	s_mov_b32 s22, exec_lo
	v_cmpx_gt_u32_e32 8, v9
; %bb.339:                              ;   in Loop: Header=BB193_266 Depth=1
	v_ffbh_u32_e32 v7, v5
	v_min_u32_e32 v7, 32, v7
	v_subrev_nc_u32_e32 v9, 28, v7
	v_sub_nc_u32_e32 v7, 29, v7
	v_lshlrev_b64 v[17:18], v9, v[5:6]
	v_and_b32_e32 v5, 7, v17
; %bb.340:                              ;   in Loop: Header=BB193_266 Depth=1
	s_or_b32 exec_lo, exec_lo, s22
	v_lshlrev_b32_e32 v9, 24, v58
	v_lshlrev_b32_e32 v5, 20, v5
	v_lshl_add_u32 v7, v7, 23, 0x3c000000
	v_and_b32_e32 v9, 0x80000000, v9
	v_or3_b32 v5, v5, v9, v7
	v_mov_b32_e32 v18, v6
	v_mov_b32_e32 v17, v5
.LBB193_341:                            ;   in Loop: Header=BB193_266 Depth=1
	s_or_b32 exec_lo, exec_lo, s21
.LBB193_342:                            ;   in Loop: Header=BB193_266 Depth=1
	s_or_b32 exec_lo, exec_lo, s18
.LBB193_343:                            ;   in Loop: Header=BB193_266 Depth=1
	s_or_b32 exec_lo, exec_lo, s17
	v_cmp_ne_u16_sdwa s0, v58, v6 src0_sel:BYTE_1 src1_sel:DWORD
	s_and_saveexec_b32 s17, s0
	s_cbranch_execz .LBB193_351
; %bb.344:                              ;   in Loop: Header=BB193_266 Depth=1
	v_mov_b32_e32 v7, v6
	v_mov_b32_e32 v20, v8
	v_cmp_ne_u16_sdwa s0, v58, v30 src0_sel:BYTE_1 src1_sel:DWORD
	v_mov_b32_e32 v19, v7
	s_and_saveexec_b32 s18, s0
	s_cbranch_execz .LBB193_350
; %bb.345:                              ;   in Loop: Header=BB193_266 Depth=1
	v_and_b32_sdwa v5, v38, v58 dst_sel:DWORD dst_unused:UNUSED_PAD src0_sel:DWORD src1_sel:BYTE_1
	v_mov_b32_e32 v9, v6
	v_mov_b32_e32 v20, v10
	s_mov_b32 s21, exec_lo
	v_and_b32_e32 v21, 0x7f, v5
	v_mov_b32_e32 v19, v9
	v_cmpx_ne_u32_e32 0x7f, v21
	s_cbranch_execz .LBB193_349
; %bb.346:                              ;   in Loop: Header=BB193_266 Depth=1
	v_and_b32_e32 v5, 7, v5
	v_lshrrev_b32_e32 v7, 3, v21
	s_mov_b32 s22, exec_lo
	v_cmpx_gt_u32_e32 8, v21
; %bb.347:                              ;   in Loop: Header=BB193_266 Depth=1
	v_ffbh_u32_e32 v7, v5
	v_min_u32_e32 v7, 32, v7
	v_subrev_nc_u32_e32 v9, 28, v7
	v_sub_nc_u32_e32 v7, 29, v7
	v_lshlrev_b64 v[19:20], v9, v[5:6]
	v_and_b32_e32 v5, 7, v19
; %bb.348:                              ;   in Loop: Header=BB193_266 Depth=1
	s_or_b32 exec_lo, exec_lo, s22
	v_lshlrev_b32_e32 v9, 16, v58
	v_lshlrev_b32_e32 v5, 20, v5
	v_lshl_add_u32 v7, v7, 23, 0x3c000000
	v_mov_b32_e32 v19, v6
	v_and_b32_e32 v9, 0x80000000, v9
	v_or3_b32 v20, v5, v9, v7
.LBB193_349:                            ;   in Loop: Header=BB193_266 Depth=1
	s_or_b32 exec_lo, exec_lo, s21
.LBB193_350:                            ;   in Loop: Header=BB193_266 Depth=1
	s_or_b32 exec_lo, exec_lo, s18
.LBB193_351:                            ;   in Loop: Header=BB193_266 Depth=1
	s_or_b32 exec_lo, exec_lo, s17
	v_mov_b32_e32 v23, 0
	v_mov_b32_e32 v21, 0
	v_and_b32_sdwa v5, v58, v41 dst_sel:DWORD dst_unused:UNUSED_PAD src0_sel:WORD_1 src1_sel:DWORD
	v_mov_b32_e32 v24, 0
	v_mov_b32_e32 v22, 0
	s_mov_b32 s17, exec_lo
	v_cmpx_ne_u16_e32 0, v5
	s_cbranch_execz .LBB193_359
; %bb.352:                              ;   in Loop: Header=BB193_266 Depth=1
	v_bfrev_b32_e32 v21, 1
	v_mov_b32_e32 v22, 0
	s_mov_b32 s18, exec_lo
	v_cmpx_ne_u16_e32 0x80, v5
	s_cbranch_execz .LBB193_358
; %bb.353:                              ;   in Loop: Header=BB193_266 Depth=1
	v_mov_b32_e32 v21, 0x7f800001
	v_bfe_u32 v9, v58, 16, 7
	v_mov_b32_e32 v22, 0
	s_mov_b32 s21, exec_lo
	v_cmpx_ne_u32_e32 0x7f, v9
	s_cbranch_execz .LBB193_357
; %bb.354:                              ;   in Loop: Header=BB193_266 Depth=1
	v_and_b32_sdwa v5, v58, v42 dst_sel:DWORD dst_unused:UNUSED_PAD src0_sel:WORD_1 src1_sel:DWORD
	v_lshrrev_b32_e32 v7, 3, v9
	s_mov_b32 s22, exec_lo
	v_cmpx_gt_u32_e32 8, v9
; %bb.355:                              ;   in Loop: Header=BB193_266 Depth=1
	v_ffbh_u32_e32 v7, v5
	v_min_u32_e32 v7, 32, v7
	v_subrev_nc_u32_e32 v9, 28, v7
	v_sub_nc_u32_e32 v7, 29, v7
	v_lshlrev_b64 v[21:22], v9, v[5:6]
	v_and_b32_e32 v5, 7, v21
; %bb.356:                              ;   in Loop: Header=BB193_266 Depth=1
	s_or_b32 exec_lo, exec_lo, s22
	v_lshlrev_b32_sdwa v9, v43, v58 dst_sel:DWORD dst_unused:UNUSED_PAD src0_sel:DWORD src1_sel:WORD_1
	v_lshlrev_b32_e32 v5, 20, v5
	v_lshl_add_u32 v7, v7, 23, 0x3c000000
	v_and_b32_e32 v9, 0x80000000, v9
	v_or3_b32 v5, v5, v9, v7
	v_mov_b32_e32 v22, v6
	v_mov_b32_e32 v21, v5
.LBB193_357:                            ;   in Loop: Header=BB193_266 Depth=1
	s_or_b32 exec_lo, exec_lo, s21
.LBB193_358:                            ;   in Loop: Header=BB193_266 Depth=1
	s_or_b32 exec_lo, exec_lo, s18
.LBB193_359:                            ;   in Loop: Header=BB193_266 Depth=1
	s_or_b32 exec_lo, exec_lo, s17
	s_mov_b32 s17, exec_lo
	v_cmpx_lt_u32_e32 0xffffff, v58
	s_cbranch_execz .LBB193_367
; %bb.360:                              ;   in Loop: Header=BB193_266 Depth=1
	v_mov_b32_e32 v7, v6
	v_mov_b32_e32 v24, v8
	v_cmp_ne_u32_sdwa s0, v58, v30 src0_sel:BYTE_3 src1_sel:DWORD
	v_mov_b32_e32 v23, v7
	s_and_saveexec_b32 s18, s0
	s_cbranch_execz .LBB193_366
; %bb.361:                              ;   in Loop: Header=BB193_266 Depth=1
	v_mov_b32_e32 v9, v6
	v_mov_b32_e32 v24, v10
	v_bfe_u32 v59, v58, 24, 7
	s_mov_b32 s21, exec_lo
	v_mov_b32_e32 v23, v9
	v_cmpx_ne_u32_e32 0x7f, v59
	s_cbranch_execz .LBB193_365
; %bb.362:                              ;   in Loop: Header=BB193_266 Depth=1
	v_and_b32_sdwa v5, v58, v42 dst_sel:DWORD dst_unused:UNUSED_PAD src0_sel:BYTE_3 src1_sel:DWORD
	v_lshrrev_b32_e32 v7, 3, v59
	s_mov_b32 s22, exec_lo
	v_cmpx_gt_u32_e32 8, v59
; %bb.363:                              ;   in Loop: Header=BB193_266 Depth=1
	v_ffbh_u32_e32 v7, v5
	v_min_u32_e32 v7, 32, v7
	v_subrev_nc_u32_e32 v9, 28, v7
	v_sub_nc_u32_e32 v7, 29, v7
	v_lshlrev_b64 v[23:24], v9, v[5:6]
	v_and_b32_e32 v5, 7, v23
; %bb.364:                              ;   in Loop: Header=BB193_266 Depth=1
	s_or_b32 exec_lo, exec_lo, s22
	v_lshlrev_b32_sdwa v9, v43, v58 dst_sel:DWORD dst_unused:UNUSED_PAD src0_sel:DWORD src1_sel:BYTE_3
	v_lshlrev_b32_e32 v5, 20, v5
	v_lshl_add_u32 v7, v7, 23, 0x3c000000
	v_mov_b32_e32 v23, v6
	v_and_b32_e32 v9, 0x80000000, v9
	v_or3_b32 v24, v5, v9, v7
.LBB193_365:                            ;   in Loop: Header=BB193_266 Depth=1
	s_or_b32 exec_lo, exec_lo, s21
.LBB193_366:                            ;   in Loop: Header=BB193_266 Depth=1
	s_or_b32 exec_lo, exec_lo, s18
.LBB193_367:                            ;   in Loop: Header=BB193_266 Depth=1
	s_or_b32 exec_lo, exec_lo, s17
	v_or_b32_e32 v5, v20, v18
	v_or_b32_e32 v7, v19, v17
	;; [unrolled: 1-line block ×4, first 2 shown]
	v_mul_f32_e32 v60, s13, v5
	v_mul_f32_e32 v61, s12, v7
	;; [unrolled: 1-line block ×4, first 2 shown]
	s_and_saveexec_b32 s17, vcc_lo
	s_cbranch_execz .LBB193_369
; %bb.368:                              ;   in Loop: Header=BB193_266 Depth=1
	v_cmp_gt_i32_e64 s0, s31, v50
	v_cndmask_b32_e64 v61, 0, v61, s0
	v_cmp_gt_i32_e64 s0, s31, v53
	v_cndmask_b32_e64 v60, 0, v60, s0
	;; [unrolled: 2-line block ×4, first 2 shown]
.LBB193_369:                            ;   in Loop: Header=BB193_266 Depth=1
	s_or_b32 exec_lo, exec_lo, s17
	global_load_dword v62, v[15:16], off offset:384
	v_mov_b32_e32 v19, 0
	v_mov_b32_e32 v17, 0
	;; [unrolled: 1-line block ×4, first 2 shown]
	s_waitcnt vmcnt(0)
	v_cmp_ne_u16_sdwa s0, v62, v6 src0_sel:BYTE_0 src1_sel:DWORD
	s_and_saveexec_b32 s17, s0
	s_cbranch_execz .LBB193_377
; %bb.370:                              ;   in Loop: Header=BB193_266 Depth=1
	v_bfrev_b32_e32 v17, 1
	v_mov_b32_e32 v18, 0
	v_cmp_ne_u16_sdwa s0, v62, v30 src0_sel:BYTE_0 src1_sel:DWORD
	s_and_saveexec_b32 s18, s0
	s_cbranch_execz .LBB193_376
; %bb.371:                              ;   in Loop: Header=BB193_266 Depth=1
	v_mov_b32_e32 v17, 0x7f800001
	v_and_b32_e32 v9, 0x7f, v62
	v_mov_b32_e32 v18, 0
	s_mov_b32 s21, exec_lo
	v_cmpx_ne_u32_e32 0x7f, v9
	s_cbranch_execz .LBB193_375
; %bb.372:                              ;   in Loop: Header=BB193_266 Depth=1
	v_and_b32_e32 v5, 7, v62
	v_lshrrev_b32_e32 v7, 3, v9
	s_mov_b32 s22, exec_lo
	v_cmpx_gt_u32_e32 8, v9
; %bb.373:                              ;   in Loop: Header=BB193_266 Depth=1
	v_ffbh_u32_e32 v7, v5
	v_min_u32_e32 v7, 32, v7
	v_subrev_nc_u32_e32 v9, 28, v7
	v_sub_nc_u32_e32 v7, 29, v7
	v_lshlrev_b64 v[17:18], v9, v[5:6]
	v_and_b32_e32 v5, 7, v17
; %bb.374:                              ;   in Loop: Header=BB193_266 Depth=1
	s_or_b32 exec_lo, exec_lo, s22
	v_lshlrev_b32_e32 v9, 24, v62
	v_lshlrev_b32_e32 v5, 20, v5
	v_lshl_add_u32 v7, v7, 23, 0x3c000000
	v_and_b32_e32 v9, 0x80000000, v9
	v_or3_b32 v5, v5, v9, v7
	v_mov_b32_e32 v18, v6
	v_mov_b32_e32 v17, v5
.LBB193_375:                            ;   in Loop: Header=BB193_266 Depth=1
	s_or_b32 exec_lo, exec_lo, s21
.LBB193_376:                            ;   in Loop: Header=BB193_266 Depth=1
	s_or_b32 exec_lo, exec_lo, s18
.LBB193_377:                            ;   in Loop: Header=BB193_266 Depth=1
	s_or_b32 exec_lo, exec_lo, s17
	v_cmp_ne_u16_sdwa s0, v62, v6 src0_sel:BYTE_1 src1_sel:DWORD
	s_and_saveexec_b32 s17, s0
	s_cbranch_execz .LBB193_385
; %bb.378:                              ;   in Loop: Header=BB193_266 Depth=1
	v_mov_b32_e32 v7, v6
	v_mov_b32_e32 v20, v8
	v_cmp_ne_u16_sdwa s0, v62, v30 src0_sel:BYTE_1 src1_sel:DWORD
	v_mov_b32_e32 v19, v7
	s_and_saveexec_b32 s18, s0
	s_cbranch_execz .LBB193_384
; %bb.379:                              ;   in Loop: Header=BB193_266 Depth=1
	v_and_b32_sdwa v5, v38, v62 dst_sel:DWORD dst_unused:UNUSED_PAD src0_sel:DWORD src1_sel:BYTE_1
	v_mov_b32_e32 v9, v6
	v_mov_b32_e32 v20, v10
	s_mov_b32 s21, exec_lo
	v_and_b32_e32 v21, 0x7f, v5
	v_mov_b32_e32 v19, v9
	v_cmpx_ne_u32_e32 0x7f, v21
	s_cbranch_execz .LBB193_383
; %bb.380:                              ;   in Loop: Header=BB193_266 Depth=1
	v_and_b32_e32 v5, 7, v5
	v_lshrrev_b32_e32 v7, 3, v21
	s_mov_b32 s22, exec_lo
	v_cmpx_gt_u32_e32 8, v21
; %bb.381:                              ;   in Loop: Header=BB193_266 Depth=1
	v_ffbh_u32_e32 v7, v5
	v_min_u32_e32 v7, 32, v7
	v_subrev_nc_u32_e32 v9, 28, v7
	v_sub_nc_u32_e32 v7, 29, v7
	v_lshlrev_b64 v[19:20], v9, v[5:6]
	v_and_b32_e32 v5, 7, v19
; %bb.382:                              ;   in Loop: Header=BB193_266 Depth=1
	s_or_b32 exec_lo, exec_lo, s22
	v_lshlrev_b32_e32 v9, 16, v62
	v_lshlrev_b32_e32 v5, 20, v5
	v_lshl_add_u32 v7, v7, 23, 0x3c000000
	v_mov_b32_e32 v19, v6
	v_and_b32_e32 v9, 0x80000000, v9
	v_or3_b32 v20, v5, v9, v7
.LBB193_383:                            ;   in Loop: Header=BB193_266 Depth=1
	s_or_b32 exec_lo, exec_lo, s21
.LBB193_384:                            ;   in Loop: Header=BB193_266 Depth=1
	s_or_b32 exec_lo, exec_lo, s18
.LBB193_385:                            ;   in Loop: Header=BB193_266 Depth=1
	s_or_b32 exec_lo, exec_lo, s17
	v_mov_b32_e32 v23, 0
	v_mov_b32_e32 v21, 0
	v_and_b32_sdwa v5, v62, v41 dst_sel:DWORD dst_unused:UNUSED_PAD src0_sel:WORD_1 src1_sel:DWORD
	v_mov_b32_e32 v24, 0
	v_mov_b32_e32 v22, 0
	s_mov_b32 s17, exec_lo
	v_cmpx_ne_u16_e32 0, v5
	s_cbranch_execz .LBB193_393
; %bb.386:                              ;   in Loop: Header=BB193_266 Depth=1
	v_bfrev_b32_e32 v21, 1
	v_mov_b32_e32 v22, 0
	s_mov_b32 s18, exec_lo
	v_cmpx_ne_u16_e32 0x80, v5
	s_cbranch_execz .LBB193_392
; %bb.387:                              ;   in Loop: Header=BB193_266 Depth=1
	v_mov_b32_e32 v21, 0x7f800001
	v_bfe_u32 v9, v62, 16, 7
	v_mov_b32_e32 v22, 0
	s_mov_b32 s21, exec_lo
	v_cmpx_ne_u32_e32 0x7f, v9
	s_cbranch_execz .LBB193_391
; %bb.388:                              ;   in Loop: Header=BB193_266 Depth=1
	v_and_b32_sdwa v5, v62, v42 dst_sel:DWORD dst_unused:UNUSED_PAD src0_sel:WORD_1 src1_sel:DWORD
	v_lshrrev_b32_e32 v7, 3, v9
	s_mov_b32 s22, exec_lo
	v_cmpx_gt_u32_e32 8, v9
; %bb.389:                              ;   in Loop: Header=BB193_266 Depth=1
	v_ffbh_u32_e32 v7, v5
	v_min_u32_e32 v7, 32, v7
	v_subrev_nc_u32_e32 v9, 28, v7
	v_sub_nc_u32_e32 v7, 29, v7
	v_lshlrev_b64 v[21:22], v9, v[5:6]
	v_and_b32_e32 v5, 7, v21
; %bb.390:                              ;   in Loop: Header=BB193_266 Depth=1
	s_or_b32 exec_lo, exec_lo, s22
	v_lshlrev_b32_sdwa v9, v43, v62 dst_sel:DWORD dst_unused:UNUSED_PAD src0_sel:DWORD src1_sel:WORD_1
	v_lshlrev_b32_e32 v5, 20, v5
	v_lshl_add_u32 v7, v7, 23, 0x3c000000
	v_and_b32_e32 v9, 0x80000000, v9
	v_or3_b32 v5, v5, v9, v7
	v_mov_b32_e32 v22, v6
	v_mov_b32_e32 v21, v5
.LBB193_391:                            ;   in Loop: Header=BB193_266 Depth=1
	s_or_b32 exec_lo, exec_lo, s21
.LBB193_392:                            ;   in Loop: Header=BB193_266 Depth=1
	s_or_b32 exec_lo, exec_lo, s18
.LBB193_393:                            ;   in Loop: Header=BB193_266 Depth=1
	s_or_b32 exec_lo, exec_lo, s17
	s_mov_b32 s17, exec_lo
	v_cmpx_lt_u32_e32 0xffffff, v62
	s_cbranch_execz .LBB193_401
; %bb.394:                              ;   in Loop: Header=BB193_266 Depth=1
	v_mov_b32_e32 v7, v6
	v_mov_b32_e32 v24, v8
	v_cmp_ne_u32_sdwa s0, v62, v30 src0_sel:BYTE_3 src1_sel:DWORD
	v_mov_b32_e32 v23, v7
	s_and_saveexec_b32 s18, s0
	s_cbranch_execz .LBB193_400
; %bb.395:                              ;   in Loop: Header=BB193_266 Depth=1
	v_mov_b32_e32 v9, v6
	v_mov_b32_e32 v24, v10
	v_bfe_u32 v63, v62, 24, 7
	s_mov_b32 s21, exec_lo
	v_mov_b32_e32 v23, v9
	v_cmpx_ne_u32_e32 0x7f, v63
	s_cbranch_execz .LBB193_399
; %bb.396:                              ;   in Loop: Header=BB193_266 Depth=1
	v_and_b32_sdwa v5, v62, v42 dst_sel:DWORD dst_unused:UNUSED_PAD src0_sel:BYTE_3 src1_sel:DWORD
	v_lshrrev_b32_e32 v7, 3, v63
	s_mov_b32 s22, exec_lo
	v_cmpx_gt_u32_e32 8, v63
; %bb.397:                              ;   in Loop: Header=BB193_266 Depth=1
	v_ffbh_u32_e32 v7, v5
	v_min_u32_e32 v7, 32, v7
	v_subrev_nc_u32_e32 v9, 28, v7
	v_sub_nc_u32_e32 v7, 29, v7
	v_lshlrev_b64 v[23:24], v9, v[5:6]
	v_and_b32_e32 v5, 7, v23
; %bb.398:                              ;   in Loop: Header=BB193_266 Depth=1
	s_or_b32 exec_lo, exec_lo, s22
	v_lshlrev_b32_sdwa v9, v43, v62 dst_sel:DWORD dst_unused:UNUSED_PAD src0_sel:DWORD src1_sel:BYTE_3
	v_lshlrev_b32_e32 v5, 20, v5
	v_lshl_add_u32 v7, v7, 23, 0x3c000000
	v_mov_b32_e32 v23, v6
	v_and_b32_e32 v9, 0x80000000, v9
	v_or3_b32 v24, v5, v9, v7
.LBB193_399:                            ;   in Loop: Header=BB193_266 Depth=1
	s_or_b32 exec_lo, exec_lo, s21
.LBB193_400:                            ;   in Loop: Header=BB193_266 Depth=1
	s_or_b32 exec_lo, exec_lo, s18
.LBB193_401:                            ;   in Loop: Header=BB193_266 Depth=1
	s_or_b32 exec_lo, exec_lo, s17
	v_or_b32_e32 v5, v20, v18
	v_or_b32_e32 v7, v19, v17
	;; [unrolled: 1-line block ×4, first 2 shown]
	v_mul_f32_e32 v64, s13, v5
	v_mul_f32_e32 v65, s12, v7
	;; [unrolled: 1-line block ×4, first 2 shown]
	s_and_saveexec_b32 s17, vcc_lo
	s_cbranch_execz .LBB193_403
; %bb.402:                              ;   in Loop: Header=BB193_266 Depth=1
	v_cmp_gt_i32_e64 s0, s31, v50
	v_cndmask_b32_e64 v65, 0, v65, s0
	v_cmp_gt_i32_e64 s0, s31, v53
	v_cndmask_b32_e64 v64, 0, v64, s0
	;; [unrolled: 2-line block ×4, first 2 shown]
.LBB193_403:                            ;   in Loop: Header=BB193_266 Depth=1
	s_or_b32 exec_lo, exec_lo, s17
	global_load_dword v66, v[15:16], off offset:512
	v_mov_b32_e32 v19, 0
	v_mov_b32_e32 v17, 0
	;; [unrolled: 1-line block ×4, first 2 shown]
	s_waitcnt vmcnt(0)
	v_cmp_ne_u16_sdwa s0, v66, v6 src0_sel:BYTE_0 src1_sel:DWORD
	s_and_saveexec_b32 s17, s0
	s_cbranch_execz .LBB193_411
; %bb.404:                              ;   in Loop: Header=BB193_266 Depth=1
	v_bfrev_b32_e32 v17, 1
	v_mov_b32_e32 v18, 0
	v_cmp_ne_u16_sdwa s0, v66, v30 src0_sel:BYTE_0 src1_sel:DWORD
	s_and_saveexec_b32 s18, s0
	s_cbranch_execz .LBB193_410
; %bb.405:                              ;   in Loop: Header=BB193_266 Depth=1
	v_mov_b32_e32 v17, 0x7f800001
	v_and_b32_e32 v9, 0x7f, v66
	v_mov_b32_e32 v18, 0
	s_mov_b32 s21, exec_lo
	v_cmpx_ne_u32_e32 0x7f, v9
	s_cbranch_execz .LBB193_409
; %bb.406:                              ;   in Loop: Header=BB193_266 Depth=1
	v_and_b32_e32 v5, 7, v66
	v_lshrrev_b32_e32 v7, 3, v9
	s_mov_b32 s22, exec_lo
	v_cmpx_gt_u32_e32 8, v9
; %bb.407:                              ;   in Loop: Header=BB193_266 Depth=1
	v_ffbh_u32_e32 v7, v5
	v_min_u32_e32 v7, 32, v7
	v_subrev_nc_u32_e32 v9, 28, v7
	v_sub_nc_u32_e32 v7, 29, v7
	v_lshlrev_b64 v[17:18], v9, v[5:6]
	v_and_b32_e32 v5, 7, v17
; %bb.408:                              ;   in Loop: Header=BB193_266 Depth=1
	s_or_b32 exec_lo, exec_lo, s22
	v_lshlrev_b32_e32 v9, 24, v66
	v_lshlrev_b32_e32 v5, 20, v5
	v_lshl_add_u32 v7, v7, 23, 0x3c000000
	v_and_b32_e32 v9, 0x80000000, v9
	v_or3_b32 v5, v5, v9, v7
	v_mov_b32_e32 v18, v6
	v_mov_b32_e32 v17, v5
.LBB193_409:                            ;   in Loop: Header=BB193_266 Depth=1
	s_or_b32 exec_lo, exec_lo, s21
.LBB193_410:                            ;   in Loop: Header=BB193_266 Depth=1
	s_or_b32 exec_lo, exec_lo, s18
.LBB193_411:                            ;   in Loop: Header=BB193_266 Depth=1
	s_or_b32 exec_lo, exec_lo, s17
	v_cmp_ne_u16_sdwa s0, v66, v6 src0_sel:BYTE_1 src1_sel:DWORD
	s_and_saveexec_b32 s17, s0
	s_cbranch_execz .LBB193_419
; %bb.412:                              ;   in Loop: Header=BB193_266 Depth=1
	v_mov_b32_e32 v7, v6
	v_mov_b32_e32 v20, v8
	v_cmp_ne_u16_sdwa s0, v66, v30 src0_sel:BYTE_1 src1_sel:DWORD
	v_mov_b32_e32 v19, v7
	s_and_saveexec_b32 s18, s0
	s_cbranch_execz .LBB193_418
; %bb.413:                              ;   in Loop: Header=BB193_266 Depth=1
	v_and_b32_sdwa v5, v38, v66 dst_sel:DWORD dst_unused:UNUSED_PAD src0_sel:DWORD src1_sel:BYTE_1
	v_mov_b32_e32 v9, v6
	v_mov_b32_e32 v20, v10
	s_mov_b32 s21, exec_lo
	v_and_b32_e32 v21, 0x7f, v5
	v_mov_b32_e32 v19, v9
	v_cmpx_ne_u32_e32 0x7f, v21
	s_cbranch_execz .LBB193_417
; %bb.414:                              ;   in Loop: Header=BB193_266 Depth=1
	v_and_b32_e32 v5, 7, v5
	v_lshrrev_b32_e32 v7, 3, v21
	s_mov_b32 s22, exec_lo
	v_cmpx_gt_u32_e32 8, v21
; %bb.415:                              ;   in Loop: Header=BB193_266 Depth=1
	v_ffbh_u32_e32 v7, v5
	v_min_u32_e32 v7, 32, v7
	v_subrev_nc_u32_e32 v9, 28, v7
	v_sub_nc_u32_e32 v7, 29, v7
	v_lshlrev_b64 v[19:20], v9, v[5:6]
	v_and_b32_e32 v5, 7, v19
; %bb.416:                              ;   in Loop: Header=BB193_266 Depth=1
	s_or_b32 exec_lo, exec_lo, s22
	v_lshlrev_b32_e32 v9, 16, v66
	v_lshlrev_b32_e32 v5, 20, v5
	v_lshl_add_u32 v7, v7, 23, 0x3c000000
	v_mov_b32_e32 v19, v6
	v_and_b32_e32 v9, 0x80000000, v9
	v_or3_b32 v20, v5, v9, v7
.LBB193_417:                            ;   in Loop: Header=BB193_266 Depth=1
	s_or_b32 exec_lo, exec_lo, s21
.LBB193_418:                            ;   in Loop: Header=BB193_266 Depth=1
	s_or_b32 exec_lo, exec_lo, s18
.LBB193_419:                            ;   in Loop: Header=BB193_266 Depth=1
	s_or_b32 exec_lo, exec_lo, s17
	v_mov_b32_e32 v23, 0
	v_mov_b32_e32 v21, 0
	v_and_b32_sdwa v5, v66, v41 dst_sel:DWORD dst_unused:UNUSED_PAD src0_sel:WORD_1 src1_sel:DWORD
	v_mov_b32_e32 v24, 0
	v_mov_b32_e32 v22, 0
	s_mov_b32 s17, exec_lo
	v_cmpx_ne_u16_e32 0, v5
	s_cbranch_execz .LBB193_427
; %bb.420:                              ;   in Loop: Header=BB193_266 Depth=1
	v_bfrev_b32_e32 v21, 1
	v_mov_b32_e32 v22, 0
	s_mov_b32 s18, exec_lo
	v_cmpx_ne_u16_e32 0x80, v5
	s_cbranch_execz .LBB193_426
; %bb.421:                              ;   in Loop: Header=BB193_266 Depth=1
	v_mov_b32_e32 v21, 0x7f800001
	v_bfe_u32 v9, v66, 16, 7
	v_mov_b32_e32 v22, 0
	s_mov_b32 s21, exec_lo
	v_cmpx_ne_u32_e32 0x7f, v9
	s_cbranch_execz .LBB193_425
; %bb.422:                              ;   in Loop: Header=BB193_266 Depth=1
	v_and_b32_sdwa v5, v66, v42 dst_sel:DWORD dst_unused:UNUSED_PAD src0_sel:WORD_1 src1_sel:DWORD
	v_lshrrev_b32_e32 v7, 3, v9
	s_mov_b32 s22, exec_lo
	v_cmpx_gt_u32_e32 8, v9
; %bb.423:                              ;   in Loop: Header=BB193_266 Depth=1
	v_ffbh_u32_e32 v7, v5
	v_min_u32_e32 v7, 32, v7
	v_subrev_nc_u32_e32 v9, 28, v7
	v_sub_nc_u32_e32 v7, 29, v7
	v_lshlrev_b64 v[21:22], v9, v[5:6]
	v_and_b32_e32 v5, 7, v21
; %bb.424:                              ;   in Loop: Header=BB193_266 Depth=1
	s_or_b32 exec_lo, exec_lo, s22
	v_lshlrev_b32_sdwa v9, v43, v66 dst_sel:DWORD dst_unused:UNUSED_PAD src0_sel:DWORD src1_sel:WORD_1
	v_lshlrev_b32_e32 v5, 20, v5
	v_lshl_add_u32 v7, v7, 23, 0x3c000000
	v_and_b32_e32 v9, 0x80000000, v9
	v_or3_b32 v5, v5, v9, v7
	v_mov_b32_e32 v22, v6
	v_mov_b32_e32 v21, v5
.LBB193_425:                            ;   in Loop: Header=BB193_266 Depth=1
	s_or_b32 exec_lo, exec_lo, s21
.LBB193_426:                            ;   in Loop: Header=BB193_266 Depth=1
	s_or_b32 exec_lo, exec_lo, s18
.LBB193_427:                            ;   in Loop: Header=BB193_266 Depth=1
	s_or_b32 exec_lo, exec_lo, s17
	s_mov_b32 s17, exec_lo
	v_cmpx_lt_u32_e32 0xffffff, v66
	s_cbranch_execz .LBB193_435
; %bb.428:                              ;   in Loop: Header=BB193_266 Depth=1
	v_mov_b32_e32 v7, v6
	v_mov_b32_e32 v24, v8
	v_cmp_ne_u32_sdwa s0, v66, v30 src0_sel:BYTE_3 src1_sel:DWORD
	v_mov_b32_e32 v23, v7
	s_and_saveexec_b32 s18, s0
	s_cbranch_execz .LBB193_434
; %bb.429:                              ;   in Loop: Header=BB193_266 Depth=1
	v_mov_b32_e32 v9, v6
	v_mov_b32_e32 v24, v10
	v_bfe_u32 v67, v66, 24, 7
	s_mov_b32 s21, exec_lo
	v_mov_b32_e32 v23, v9
	v_cmpx_ne_u32_e32 0x7f, v67
	s_cbranch_execz .LBB193_433
; %bb.430:                              ;   in Loop: Header=BB193_266 Depth=1
	v_and_b32_sdwa v5, v66, v42 dst_sel:DWORD dst_unused:UNUSED_PAD src0_sel:BYTE_3 src1_sel:DWORD
	v_lshrrev_b32_e32 v7, 3, v67
	s_mov_b32 s22, exec_lo
	v_cmpx_gt_u32_e32 8, v67
; %bb.431:                              ;   in Loop: Header=BB193_266 Depth=1
	v_ffbh_u32_e32 v7, v5
	v_min_u32_e32 v7, 32, v7
	v_subrev_nc_u32_e32 v9, 28, v7
	v_sub_nc_u32_e32 v7, 29, v7
	v_lshlrev_b64 v[23:24], v9, v[5:6]
	v_and_b32_e32 v5, 7, v23
; %bb.432:                              ;   in Loop: Header=BB193_266 Depth=1
	s_or_b32 exec_lo, exec_lo, s22
	v_lshlrev_b32_sdwa v9, v43, v66 dst_sel:DWORD dst_unused:UNUSED_PAD src0_sel:DWORD src1_sel:BYTE_3
	v_lshlrev_b32_e32 v5, 20, v5
	v_lshl_add_u32 v7, v7, 23, 0x3c000000
	v_mov_b32_e32 v23, v6
	v_and_b32_e32 v9, 0x80000000, v9
	v_or3_b32 v24, v5, v9, v7
.LBB193_433:                            ;   in Loop: Header=BB193_266 Depth=1
	s_or_b32 exec_lo, exec_lo, s21
.LBB193_434:                            ;   in Loop: Header=BB193_266 Depth=1
	s_or_b32 exec_lo, exec_lo, s18
.LBB193_435:                            ;   in Loop: Header=BB193_266 Depth=1
	s_or_b32 exec_lo, exec_lo, s17
	v_or_b32_e32 v5, v20, v18
	v_or_b32_e32 v7, v19, v17
	;; [unrolled: 1-line block ×4, first 2 shown]
	v_mul_f32_e32 v68, s13, v5
	v_mul_f32_e32 v69, s12, v7
	;; [unrolled: 1-line block ×4, first 2 shown]
	s_and_saveexec_b32 s17, vcc_lo
	s_cbranch_execz .LBB193_437
; %bb.436:                              ;   in Loop: Header=BB193_266 Depth=1
	v_cmp_gt_i32_e64 s0, s31, v50
	v_cndmask_b32_e64 v69, 0, v69, s0
	v_cmp_gt_i32_e64 s0, s31, v53
	v_cndmask_b32_e64 v68, 0, v68, s0
	;; [unrolled: 2-line block ×4, first 2 shown]
.LBB193_437:                            ;   in Loop: Header=BB193_266 Depth=1
	s_or_b32 exec_lo, exec_lo, s17
	global_load_dword v70, v[15:16], off offset:640
	v_mov_b32_e32 v19, 0
	v_mov_b32_e32 v17, 0
	;; [unrolled: 1-line block ×4, first 2 shown]
	s_waitcnt vmcnt(0)
	v_cmp_ne_u16_sdwa s0, v70, v6 src0_sel:BYTE_0 src1_sel:DWORD
	s_and_saveexec_b32 s17, s0
	s_cbranch_execz .LBB193_445
; %bb.438:                              ;   in Loop: Header=BB193_266 Depth=1
	v_bfrev_b32_e32 v17, 1
	v_mov_b32_e32 v18, 0
	v_cmp_ne_u16_sdwa s0, v70, v30 src0_sel:BYTE_0 src1_sel:DWORD
	s_and_saveexec_b32 s18, s0
	s_cbranch_execz .LBB193_444
; %bb.439:                              ;   in Loop: Header=BB193_266 Depth=1
	v_mov_b32_e32 v17, 0x7f800001
	v_and_b32_e32 v9, 0x7f, v70
	v_mov_b32_e32 v18, 0
	s_mov_b32 s21, exec_lo
	v_cmpx_ne_u32_e32 0x7f, v9
	s_cbranch_execz .LBB193_443
; %bb.440:                              ;   in Loop: Header=BB193_266 Depth=1
	v_and_b32_e32 v5, 7, v70
	v_lshrrev_b32_e32 v7, 3, v9
	s_mov_b32 s22, exec_lo
	v_cmpx_gt_u32_e32 8, v9
; %bb.441:                              ;   in Loop: Header=BB193_266 Depth=1
	v_ffbh_u32_e32 v7, v5
	v_min_u32_e32 v7, 32, v7
	v_subrev_nc_u32_e32 v9, 28, v7
	v_sub_nc_u32_e32 v7, 29, v7
	v_lshlrev_b64 v[17:18], v9, v[5:6]
	v_and_b32_e32 v5, 7, v17
; %bb.442:                              ;   in Loop: Header=BB193_266 Depth=1
	s_or_b32 exec_lo, exec_lo, s22
	v_lshlrev_b32_e32 v9, 24, v70
	v_lshlrev_b32_e32 v5, 20, v5
	v_lshl_add_u32 v7, v7, 23, 0x3c000000
	v_and_b32_e32 v9, 0x80000000, v9
	v_or3_b32 v5, v5, v9, v7
	v_mov_b32_e32 v18, v6
	v_mov_b32_e32 v17, v5
.LBB193_443:                            ;   in Loop: Header=BB193_266 Depth=1
	s_or_b32 exec_lo, exec_lo, s21
.LBB193_444:                            ;   in Loop: Header=BB193_266 Depth=1
	s_or_b32 exec_lo, exec_lo, s18
.LBB193_445:                            ;   in Loop: Header=BB193_266 Depth=1
	s_or_b32 exec_lo, exec_lo, s17
	v_cmp_ne_u16_sdwa s0, v70, v6 src0_sel:BYTE_1 src1_sel:DWORD
	s_and_saveexec_b32 s17, s0
	s_cbranch_execz .LBB193_453
; %bb.446:                              ;   in Loop: Header=BB193_266 Depth=1
	v_mov_b32_e32 v7, v6
	v_mov_b32_e32 v20, v8
	v_cmp_ne_u16_sdwa s0, v70, v30 src0_sel:BYTE_1 src1_sel:DWORD
	v_mov_b32_e32 v19, v7
	s_and_saveexec_b32 s18, s0
	s_cbranch_execz .LBB193_452
; %bb.447:                              ;   in Loop: Header=BB193_266 Depth=1
	v_and_b32_sdwa v5, v38, v70 dst_sel:DWORD dst_unused:UNUSED_PAD src0_sel:DWORD src1_sel:BYTE_1
	v_mov_b32_e32 v9, v6
	v_mov_b32_e32 v20, v10
	s_mov_b32 s21, exec_lo
	v_and_b32_e32 v21, 0x7f, v5
	v_mov_b32_e32 v19, v9
	v_cmpx_ne_u32_e32 0x7f, v21
	s_cbranch_execz .LBB193_451
; %bb.448:                              ;   in Loop: Header=BB193_266 Depth=1
	v_and_b32_e32 v5, 7, v5
	v_lshrrev_b32_e32 v7, 3, v21
	s_mov_b32 s22, exec_lo
	v_cmpx_gt_u32_e32 8, v21
; %bb.449:                              ;   in Loop: Header=BB193_266 Depth=1
	v_ffbh_u32_e32 v7, v5
	v_min_u32_e32 v7, 32, v7
	v_subrev_nc_u32_e32 v9, 28, v7
	v_sub_nc_u32_e32 v7, 29, v7
	v_lshlrev_b64 v[19:20], v9, v[5:6]
	v_and_b32_e32 v5, 7, v19
; %bb.450:                              ;   in Loop: Header=BB193_266 Depth=1
	s_or_b32 exec_lo, exec_lo, s22
	v_lshlrev_b32_e32 v9, 16, v70
	v_lshlrev_b32_e32 v5, 20, v5
	v_lshl_add_u32 v7, v7, 23, 0x3c000000
	v_mov_b32_e32 v19, v6
	v_and_b32_e32 v9, 0x80000000, v9
	v_or3_b32 v20, v5, v9, v7
.LBB193_451:                            ;   in Loop: Header=BB193_266 Depth=1
	s_or_b32 exec_lo, exec_lo, s21
.LBB193_452:                            ;   in Loop: Header=BB193_266 Depth=1
	s_or_b32 exec_lo, exec_lo, s18
.LBB193_453:                            ;   in Loop: Header=BB193_266 Depth=1
	s_or_b32 exec_lo, exec_lo, s17
	v_mov_b32_e32 v23, 0
	v_mov_b32_e32 v21, 0
	v_and_b32_sdwa v5, v70, v41 dst_sel:DWORD dst_unused:UNUSED_PAD src0_sel:WORD_1 src1_sel:DWORD
	v_mov_b32_e32 v24, 0
	v_mov_b32_e32 v22, 0
	s_mov_b32 s17, exec_lo
	v_cmpx_ne_u16_e32 0, v5
	s_cbranch_execz .LBB193_461
; %bb.454:                              ;   in Loop: Header=BB193_266 Depth=1
	v_bfrev_b32_e32 v21, 1
	v_mov_b32_e32 v22, 0
	s_mov_b32 s18, exec_lo
	v_cmpx_ne_u16_e32 0x80, v5
	s_cbranch_execz .LBB193_460
; %bb.455:                              ;   in Loop: Header=BB193_266 Depth=1
	v_mov_b32_e32 v21, 0x7f800001
	v_bfe_u32 v9, v70, 16, 7
	v_mov_b32_e32 v22, 0
	s_mov_b32 s21, exec_lo
	v_cmpx_ne_u32_e32 0x7f, v9
	s_cbranch_execz .LBB193_459
; %bb.456:                              ;   in Loop: Header=BB193_266 Depth=1
	v_and_b32_sdwa v5, v70, v42 dst_sel:DWORD dst_unused:UNUSED_PAD src0_sel:WORD_1 src1_sel:DWORD
	v_lshrrev_b32_e32 v7, 3, v9
	s_mov_b32 s22, exec_lo
	v_cmpx_gt_u32_e32 8, v9
; %bb.457:                              ;   in Loop: Header=BB193_266 Depth=1
	v_ffbh_u32_e32 v7, v5
	v_min_u32_e32 v7, 32, v7
	v_subrev_nc_u32_e32 v9, 28, v7
	v_sub_nc_u32_e32 v7, 29, v7
	v_lshlrev_b64 v[21:22], v9, v[5:6]
	v_and_b32_e32 v5, 7, v21
; %bb.458:                              ;   in Loop: Header=BB193_266 Depth=1
	s_or_b32 exec_lo, exec_lo, s22
	v_lshlrev_b32_sdwa v9, v43, v70 dst_sel:DWORD dst_unused:UNUSED_PAD src0_sel:DWORD src1_sel:WORD_1
	v_lshlrev_b32_e32 v5, 20, v5
	v_lshl_add_u32 v7, v7, 23, 0x3c000000
	v_and_b32_e32 v9, 0x80000000, v9
	v_or3_b32 v5, v5, v9, v7
	v_mov_b32_e32 v22, v6
	v_mov_b32_e32 v21, v5
.LBB193_459:                            ;   in Loop: Header=BB193_266 Depth=1
	s_or_b32 exec_lo, exec_lo, s21
.LBB193_460:                            ;   in Loop: Header=BB193_266 Depth=1
	s_or_b32 exec_lo, exec_lo, s18
.LBB193_461:                            ;   in Loop: Header=BB193_266 Depth=1
	s_or_b32 exec_lo, exec_lo, s17
	s_mov_b32 s17, exec_lo
	v_cmpx_lt_u32_e32 0xffffff, v70
	s_cbranch_execz .LBB193_469
; %bb.462:                              ;   in Loop: Header=BB193_266 Depth=1
	v_mov_b32_e32 v7, v6
	v_mov_b32_e32 v24, v8
	v_cmp_ne_u32_sdwa s0, v70, v30 src0_sel:BYTE_3 src1_sel:DWORD
	v_mov_b32_e32 v23, v7
	s_and_saveexec_b32 s18, s0
	s_cbranch_execz .LBB193_468
; %bb.463:                              ;   in Loop: Header=BB193_266 Depth=1
	v_mov_b32_e32 v9, v6
	v_mov_b32_e32 v24, v10
	v_bfe_u32 v71, v70, 24, 7
	s_mov_b32 s21, exec_lo
	v_mov_b32_e32 v23, v9
	v_cmpx_ne_u32_e32 0x7f, v71
	s_cbranch_execz .LBB193_467
; %bb.464:                              ;   in Loop: Header=BB193_266 Depth=1
	v_and_b32_sdwa v5, v70, v42 dst_sel:DWORD dst_unused:UNUSED_PAD src0_sel:BYTE_3 src1_sel:DWORD
	v_lshrrev_b32_e32 v7, 3, v71
	s_mov_b32 s22, exec_lo
	v_cmpx_gt_u32_e32 8, v71
; %bb.465:                              ;   in Loop: Header=BB193_266 Depth=1
	v_ffbh_u32_e32 v7, v5
	v_min_u32_e32 v7, 32, v7
	v_subrev_nc_u32_e32 v9, 28, v7
	v_sub_nc_u32_e32 v7, 29, v7
	v_lshlrev_b64 v[23:24], v9, v[5:6]
	v_and_b32_e32 v5, 7, v23
; %bb.466:                              ;   in Loop: Header=BB193_266 Depth=1
	s_or_b32 exec_lo, exec_lo, s22
	v_lshlrev_b32_sdwa v9, v43, v70 dst_sel:DWORD dst_unused:UNUSED_PAD src0_sel:DWORD src1_sel:BYTE_3
	v_lshlrev_b32_e32 v5, 20, v5
	v_lshl_add_u32 v7, v7, 23, 0x3c000000
	v_mov_b32_e32 v23, v6
	v_and_b32_e32 v9, 0x80000000, v9
	v_or3_b32 v24, v5, v9, v7
.LBB193_467:                            ;   in Loop: Header=BB193_266 Depth=1
	s_or_b32 exec_lo, exec_lo, s21
.LBB193_468:                            ;   in Loop: Header=BB193_266 Depth=1
	s_or_b32 exec_lo, exec_lo, s18
.LBB193_469:                            ;   in Loop: Header=BB193_266 Depth=1
	s_or_b32 exec_lo, exec_lo, s17
	v_or_b32_e32 v5, v20, v18
	v_or_b32_e32 v7, v19, v17
	;; [unrolled: 1-line block ×4, first 2 shown]
	v_mul_f32_e32 v70, s13, v5
	v_mul_f32_e32 v71, s12, v7
	;; [unrolled: 1-line block ×4, first 2 shown]
	s_and_saveexec_b32 s17, vcc_lo
	s_cbranch_execz .LBB193_471
; %bb.470:                              ;   in Loop: Header=BB193_266 Depth=1
	v_cmp_gt_i32_e64 s0, s31, v50
	v_cndmask_b32_e64 v71, 0, v71, s0
	v_cmp_gt_i32_e64 s0, s31, v53
	v_cndmask_b32_e64 v70, 0, v70, s0
	;; [unrolled: 2-line block ×4, first 2 shown]
.LBB193_471:                            ;   in Loop: Header=BB193_266 Depth=1
	s_or_b32 exec_lo, exec_lo, s17
	global_load_dword v72, v[15:16], off offset:768
	v_mov_b32_e32 v17, 0
	v_mov_b32_e32 v15, 0
	;; [unrolled: 1-line block ×4, first 2 shown]
	s_waitcnt vmcnt(0)
	v_cmp_ne_u16_sdwa s0, v72, v6 src0_sel:BYTE_0 src1_sel:DWORD
	s_and_saveexec_b32 s17, s0
	s_cbranch_execz .LBB193_479
; %bb.472:                              ;   in Loop: Header=BB193_266 Depth=1
	v_bfrev_b32_e32 v15, 1
	v_mov_b32_e32 v16, 0
	v_cmp_ne_u16_sdwa s0, v72, v30 src0_sel:BYTE_0 src1_sel:DWORD
	s_and_saveexec_b32 s18, s0
	s_cbranch_execz .LBB193_478
; %bb.473:                              ;   in Loop: Header=BB193_266 Depth=1
	v_mov_b32_e32 v15, 0x7f800001
	v_and_b32_e32 v9, 0x7f, v72
	v_mov_b32_e32 v16, 0
	s_mov_b32 s21, exec_lo
	v_cmpx_ne_u32_e32 0x7f, v9
	s_cbranch_execz .LBB193_477
; %bb.474:                              ;   in Loop: Header=BB193_266 Depth=1
	v_and_b32_e32 v5, 7, v72
	v_lshrrev_b32_e32 v7, 3, v9
	s_mov_b32 s22, exec_lo
	v_cmpx_gt_u32_e32 8, v9
; %bb.475:                              ;   in Loop: Header=BB193_266 Depth=1
	v_ffbh_u32_e32 v7, v5
	v_min_u32_e32 v7, 32, v7
	v_subrev_nc_u32_e32 v9, 28, v7
	v_sub_nc_u32_e32 v7, 29, v7
	v_lshlrev_b64 v[15:16], v9, v[5:6]
	v_and_b32_e32 v5, 7, v15
; %bb.476:                              ;   in Loop: Header=BB193_266 Depth=1
	s_or_b32 exec_lo, exec_lo, s22
	v_lshlrev_b32_e32 v9, 24, v72
	v_lshlrev_b32_e32 v5, 20, v5
	v_lshl_add_u32 v7, v7, 23, 0x3c000000
	v_and_b32_e32 v9, 0x80000000, v9
	v_or3_b32 v5, v5, v9, v7
	v_mov_b32_e32 v16, v6
	v_mov_b32_e32 v15, v5
.LBB193_477:                            ;   in Loop: Header=BB193_266 Depth=1
	s_or_b32 exec_lo, exec_lo, s21
.LBB193_478:                            ;   in Loop: Header=BB193_266 Depth=1
	s_or_b32 exec_lo, exec_lo, s18
.LBB193_479:                            ;   in Loop: Header=BB193_266 Depth=1
	s_or_b32 exec_lo, exec_lo, s17
	v_cmp_ne_u16_sdwa s0, v72, v6 src0_sel:BYTE_1 src1_sel:DWORD
	s_and_saveexec_b32 s17, s0
	s_cbranch_execz .LBB193_487
; %bb.480:                              ;   in Loop: Header=BB193_266 Depth=1
	v_mov_b32_e32 v7, v6
	v_mov_b32_e32 v18, v8
	v_cmp_ne_u16_sdwa s0, v72, v30 src0_sel:BYTE_1 src1_sel:DWORD
	v_mov_b32_e32 v17, v7
	s_and_saveexec_b32 s18, s0
	s_cbranch_execz .LBB193_486
; %bb.481:                              ;   in Loop: Header=BB193_266 Depth=1
	v_and_b32_sdwa v5, v38, v72 dst_sel:DWORD dst_unused:UNUSED_PAD src0_sel:DWORD src1_sel:BYTE_1
	v_mov_b32_e32 v9, v6
	v_mov_b32_e32 v18, v10
	s_mov_b32 s21, exec_lo
	v_and_b32_e32 v19, 0x7f, v5
	v_mov_b32_e32 v17, v9
	v_cmpx_ne_u32_e32 0x7f, v19
	s_cbranch_execz .LBB193_485
; %bb.482:                              ;   in Loop: Header=BB193_266 Depth=1
	v_and_b32_e32 v5, 7, v5
	v_lshrrev_b32_e32 v7, 3, v19
	s_mov_b32 s22, exec_lo
	v_cmpx_gt_u32_e32 8, v19
; %bb.483:                              ;   in Loop: Header=BB193_266 Depth=1
	v_ffbh_u32_e32 v7, v5
	v_min_u32_e32 v7, 32, v7
	v_subrev_nc_u32_e32 v9, 28, v7
	v_sub_nc_u32_e32 v7, 29, v7
	v_lshlrev_b64 v[17:18], v9, v[5:6]
	v_and_b32_e32 v5, 7, v17
; %bb.484:                              ;   in Loop: Header=BB193_266 Depth=1
	s_or_b32 exec_lo, exec_lo, s22
	v_lshlrev_b32_e32 v9, 16, v72
	v_lshlrev_b32_e32 v5, 20, v5
	v_lshl_add_u32 v7, v7, 23, 0x3c000000
	v_mov_b32_e32 v17, v6
	v_and_b32_e32 v9, 0x80000000, v9
	v_or3_b32 v18, v5, v9, v7
.LBB193_485:                            ;   in Loop: Header=BB193_266 Depth=1
	s_or_b32 exec_lo, exec_lo, s21
.LBB193_486:                            ;   in Loop: Header=BB193_266 Depth=1
	s_or_b32 exec_lo, exec_lo, s18
.LBB193_487:                            ;   in Loop: Header=BB193_266 Depth=1
	s_or_b32 exec_lo, exec_lo, s17
	v_mov_b32_e32 v21, 0
	v_mov_b32_e32 v19, 0
	v_and_b32_sdwa v5, v72, v41 dst_sel:DWORD dst_unused:UNUSED_PAD src0_sel:WORD_1 src1_sel:DWORD
	v_mov_b32_e32 v22, 0
	v_mov_b32_e32 v20, 0
	s_mov_b32 s17, exec_lo
	v_cmpx_ne_u16_e32 0, v5
	s_cbranch_execz .LBB193_495
; %bb.488:                              ;   in Loop: Header=BB193_266 Depth=1
	v_bfrev_b32_e32 v19, 1
	v_mov_b32_e32 v20, 0
	s_mov_b32 s18, exec_lo
	v_cmpx_ne_u16_e32 0x80, v5
	s_cbranch_execz .LBB193_494
; %bb.489:                              ;   in Loop: Header=BB193_266 Depth=1
	v_mov_b32_e32 v19, 0x7f800001
	v_bfe_u32 v9, v72, 16, 7
	v_mov_b32_e32 v20, 0
	s_mov_b32 s21, exec_lo
	v_cmpx_ne_u32_e32 0x7f, v9
	s_cbranch_execz .LBB193_493
; %bb.490:                              ;   in Loop: Header=BB193_266 Depth=1
	v_and_b32_sdwa v5, v72, v42 dst_sel:DWORD dst_unused:UNUSED_PAD src0_sel:WORD_1 src1_sel:DWORD
	v_lshrrev_b32_e32 v7, 3, v9
	s_mov_b32 s22, exec_lo
	v_cmpx_gt_u32_e32 8, v9
; %bb.491:                              ;   in Loop: Header=BB193_266 Depth=1
	v_ffbh_u32_e32 v7, v5
	v_min_u32_e32 v7, 32, v7
	v_subrev_nc_u32_e32 v9, 28, v7
	v_sub_nc_u32_e32 v7, 29, v7
	v_lshlrev_b64 v[19:20], v9, v[5:6]
	v_and_b32_e32 v5, 7, v19
; %bb.492:                              ;   in Loop: Header=BB193_266 Depth=1
	s_or_b32 exec_lo, exec_lo, s22
	v_lshlrev_b32_sdwa v9, v43, v72 dst_sel:DWORD dst_unused:UNUSED_PAD src0_sel:DWORD src1_sel:WORD_1
	v_lshlrev_b32_e32 v5, 20, v5
	v_lshl_add_u32 v7, v7, 23, 0x3c000000
	v_and_b32_e32 v9, 0x80000000, v9
	v_or3_b32 v5, v5, v9, v7
	v_mov_b32_e32 v20, v6
	v_mov_b32_e32 v19, v5
.LBB193_493:                            ;   in Loop: Header=BB193_266 Depth=1
	s_or_b32 exec_lo, exec_lo, s21
.LBB193_494:                            ;   in Loop: Header=BB193_266 Depth=1
	s_or_b32 exec_lo, exec_lo, s18
.LBB193_495:                            ;   in Loop: Header=BB193_266 Depth=1
	s_or_b32 exec_lo, exec_lo, s17
	s_mov_b32 s17, exec_lo
	v_cmpx_lt_u32_e32 0xffffff, v72
	s_cbranch_execz .LBB193_503
; %bb.496:                              ;   in Loop: Header=BB193_266 Depth=1
	v_mov_b32_e32 v7, v6
	v_mov_b32_e32 v22, v8
	v_cmp_ne_u32_sdwa s0, v72, v30 src0_sel:BYTE_3 src1_sel:DWORD
	v_mov_b32_e32 v21, v7
	s_and_saveexec_b32 s18, s0
	s_cbranch_execz .LBB193_502
; %bb.497:                              ;   in Loop: Header=BB193_266 Depth=1
	v_mov_b32_e32 v9, v6
	v_mov_b32_e32 v22, v10
	v_bfe_u32 v73, v72, 24, 7
	s_mov_b32 s21, exec_lo
	v_mov_b32_e32 v21, v9
	v_cmpx_ne_u32_e32 0x7f, v73
	s_cbranch_execz .LBB193_501
; %bb.498:                              ;   in Loop: Header=BB193_266 Depth=1
	v_and_b32_sdwa v5, v72, v42 dst_sel:DWORD dst_unused:UNUSED_PAD src0_sel:BYTE_3 src1_sel:DWORD
	v_lshrrev_b32_e32 v7, 3, v73
	s_mov_b32 s22, exec_lo
	v_cmpx_gt_u32_e32 8, v73
; %bb.499:                              ;   in Loop: Header=BB193_266 Depth=1
	v_ffbh_u32_e32 v7, v5
	v_min_u32_e32 v7, 32, v7
	v_subrev_nc_u32_e32 v9, 28, v7
	v_sub_nc_u32_e32 v7, 29, v7
	v_lshlrev_b64 v[21:22], v9, v[5:6]
	v_and_b32_e32 v5, 7, v21
; %bb.500:                              ;   in Loop: Header=BB193_266 Depth=1
	s_or_b32 exec_lo, exec_lo, s22
	v_lshlrev_b32_sdwa v9, v43, v72 dst_sel:DWORD dst_unused:UNUSED_PAD src0_sel:DWORD src1_sel:BYTE_3
	v_lshlrev_b32_e32 v5, 20, v5
	v_lshl_add_u32 v7, v7, 23, 0x3c000000
	v_mov_b32_e32 v21, v6
	v_and_b32_e32 v9, 0x80000000, v9
	v_or3_b32 v22, v5, v9, v7
.LBB193_501:                            ;   in Loop: Header=BB193_266 Depth=1
	s_or_b32 exec_lo, exec_lo, s21
.LBB193_502:                            ;   in Loop: Header=BB193_266 Depth=1
	s_or_b32 exec_lo, exec_lo, s18
.LBB193_503:                            ;   in Loop: Header=BB193_266 Depth=1
	s_or_b32 exec_lo, exec_lo, s17
	v_or_b32_e32 v5, v18, v16
	v_or_b32_e32 v7, v17, v15
	;; [unrolled: 1-line block ×4, first 2 shown]
	v_mul_f32_e32 v9, s13, v5
	v_mul_f32_e32 v15, s12, v7
	;; [unrolled: 1-line block ×4, first 2 shown]
	s_and_saveexec_b32 s0, vcc_lo
	s_cbranch_execz .LBB193_264
; %bb.504:                              ;   in Loop: Header=BB193_266 Depth=1
	v_cmp_gt_i32_e32 vcc_lo, s31, v50
	v_cndmask_b32_e32 v15, 0, v15, vcc_lo
	v_cmp_gt_i32_e32 vcc_lo, s31, v53
	v_cndmask_b32_e32 v9, 0, v9, vcc_lo
	;; [unrolled: 2-line block ×4, first 2 shown]
	s_branch .LBB193_264
.LBB193_505:
	s_or_b32 exec_lo, exec_lo, s5
.LBB193_506:
	s_or_b32 exec_lo, exec_lo, s1
	ds_bpermute_b32 v1, v26, v37
	ds_bpermute_b32 v2, v26, v35
	ds_bpermute_b32 v3, v26, v34
	ds_bpermute_b32 v4, v26, v33
	ds_bpermute_b32 v5, v26, v32
	ds_bpermute_b32 v6, v26, v31
	ds_bpermute_b32 v7, v26, v28
	v_lshrrev_b32_e32 v8, 1, v25
	v_mul_u32_u24_e32 v10, 0x1c0, v39
	v_and_b32_e32 v11, 0x3c1, v0
	s_mov_b32 s0, exec_lo
	s_waitcnt lgkmcnt(0)
	s_waitcnt_vscnt null, 0x0
	v_lshl_add_u32 v9, v8, 2, 0x1e0
	s_barrier
	buffer_gl0_inv
	v_add_f32_e32 v1, v37, v1
	v_add_f32_e32 v2, v35, v2
	;; [unrolled: 1-line block ×7, first 2 shown]
	v_cmpx_eq_u32_e32 64, v11
	s_cbranch_execz .LBB193_508
; %bb.507:
	v_add_nc_u32_e32 v11, v9, v10
	v_add_nc_u32_e32 v12, 0xfffffc80, v11
	v_add_nc_u32_e32 v13, 0xfffffcc0, v11
	v_add_nc_u32_e32 v14, 0xfffffd00, v11
	v_add_nc_u32_e32 v15, 0xfffffd40, v11
	v_add_nc_u32_e32 v16, 0xfffffd80, v11
	v_add_nc_u32_e32 v17, 0xfffffdc0, v11
	v_add_nc_u32_e32 v11, 0xfffffe00, v11
	ds_write_b32 v12, v1
	ds_write_b32 v13, v2
	ds_write_b32 v14, v3
	ds_write_b32 v15, v4
	ds_write_b32 v16, v5
	ds_write_b32 v17, v6
	ds_write_b32 v11, v7
.LBB193_508:
	s_or_b32 exec_lo, exec_lo, s0
	v_lshlrev_b32_e32 v8, 2, v8
	s_mov_b32 s1, exec_lo
	v_cmp_eq_u32_e32 vcc_lo, 0, v27
	s_waitcnt lgkmcnt(0)
	s_barrier
	v_add3_u32 v8, 0x1e0, v10, v8
	buffer_gl0_inv
	v_cmpx_gt_u32_e32 64, v0
	s_cbranch_execz .LBB193_518
; %bb.509:
	s_and_saveexec_b32 s0, vcc_lo
	s_cbranch_execnz .LBB193_533
; %bb.510:
	s_or_b32 exec_lo, exec_lo, s0
	s_and_saveexec_b32 s0, vcc_lo
	s_cbranch_execnz .LBB193_534
.LBB193_511:
	s_or_b32 exec_lo, exec_lo, s0
	s_and_saveexec_b32 s0, vcc_lo
	s_cbranch_execnz .LBB193_535
.LBB193_512:
	s_or_b32 exec_lo, exec_lo, s0
	s_and_saveexec_b32 s0, vcc_lo
	s_cbranch_execnz .LBB193_536
.LBB193_513:
	s_or_b32 exec_lo, exec_lo, s0
	s_and_saveexec_b32 s0, vcc_lo
	s_cbranch_execnz .LBB193_537
.LBB193_514:
	s_or_b32 exec_lo, exec_lo, s0
	s_and_saveexec_b32 s0, vcc_lo
	s_cbranch_execnz .LBB193_538
.LBB193_515:
	s_or_b32 exec_lo, exec_lo, s0
	s_and_saveexec_b32 s0, vcc_lo
	s_cbranch_execz .LBB193_517
.LBB193_516:
	ds_read_b32 v10, v8 offset:384
	s_waitcnt lgkmcnt(0)
	v_add_f32_e32 v7, v7, v10
.LBB193_517:
	s_or_b32 exec_lo, exec_lo, s0
.LBB193_518:
	s_or_b32 exec_lo, exec_lo, s1
	v_and_b32_e32 v10, 0x3e1, v0
	s_mov_b32 s1, exec_lo
	s_barrier
	buffer_gl0_inv
	v_cmpx_eq_u32_e32 32, v10
	s_cbranch_execz .LBB193_520
; %bb.519:
	ds_write2_b32 v9, v1, v2 offset1:16
	ds_write2_b32 v9, v3, v4 offset0:32 offset1:48
	ds_write2_b32 v9, v5, v6 offset0:64 offset1:80
	ds_write_b32 v9, v7 offset:384
.LBB193_520:
	s_or_b32 exec_lo, exec_lo, s1
	s_mov_b32 s1, exec_lo
	s_waitcnt lgkmcnt(0)
	s_barrier
	buffer_gl0_inv
	v_cmpx_gt_u32_e32 32, v0
	s_cbranch_execz .LBB193_530
; %bb.521:
	s_and_saveexec_b32 s0, vcc_lo
	s_cbranch_execnz .LBB193_539
; %bb.522:
	s_or_b32 exec_lo, exec_lo, s0
	s_and_saveexec_b32 s0, vcc_lo
	s_cbranch_execnz .LBB193_540
.LBB193_523:
	s_or_b32 exec_lo, exec_lo, s0
	s_and_saveexec_b32 s0, vcc_lo
	s_cbranch_execnz .LBB193_541
.LBB193_524:
	s_or_b32 exec_lo, exec_lo, s0
	s_and_saveexec_b32 s0, vcc_lo
	s_cbranch_execnz .LBB193_542
.LBB193_525:
	s_or_b32 exec_lo, exec_lo, s0
	s_and_saveexec_b32 s0, vcc_lo
	s_cbranch_execnz .LBB193_543
.LBB193_526:
	s_or_b32 exec_lo, exec_lo, s0
	s_and_saveexec_b32 s0, vcc_lo
	s_cbranch_execnz .LBB193_544
.LBB193_527:
	s_or_b32 exec_lo, exec_lo, s0
	s_and_saveexec_b32 s0, vcc_lo
	s_cbranch_execz .LBB193_529
.LBB193_528:
	ds_read_b32 v8, v8 offset:384
	s_waitcnt lgkmcnt(0)
	v_add_f32_e32 v7, v7, v8
.LBB193_529:
	s_or_b32 exec_lo, exec_lo, s0
.LBB193_530:
	s_or_b32 exec_lo, exec_lo, s1
	s_barrier
	buffer_gl0_inv
	s_mov_b32 s0, exec_lo
	v_cmpx_eq_u32_e32 0, v10
	s_cbranch_execz .LBB193_532
; %bb.531:
	s_mul_i32 s0, s2, 0x70
	s_mul_i32 s2, s7, s10
	s_ashr_i32 s1, s0, 31
	v_lshlrev_b32_e32 v0, 1, v0
	s_lshl_b64 s[0:1], s[0:1], 2
	s_add_u32 s4, s28, s0
	s_addc_u32 s5, s29, s1
	s_ashr_i32 s3, s2, 31
	s_lshl_b64 s[0:1], s[2:3], 2
	s_mul_i32 s2, s8, 0x70
	s_add_u32 s4, s4, s0
	s_addc_u32 s5, s5, s1
	s_ashr_i32 s3, s2, 31
	s_lshl_b64 s[0:1], s[2:3], 2
	s_add_u32 s0, s4, s0
	s_addc_u32 s1, s5, s1
	global_store_dword v0, v1, s[0:1]
	global_store_dword v0, v2, s[0:1] offset:64
	global_store_dword v0, v3, s[0:1] offset:128
	;; [unrolled: 1-line block ×6, first 2 shown]
.LBB193_532:
	s_endpgm
.LBB193_533:
	ds_read_b32 v10, v8
	s_waitcnt lgkmcnt(0)
	v_add_f32_e32 v1, v1, v10
	s_or_b32 exec_lo, exec_lo, s0
	s_and_saveexec_b32 s0, vcc_lo
	s_cbranch_execz .LBB193_511
.LBB193_534:
	ds_read_b32 v10, v8 offset:64
	s_waitcnt lgkmcnt(0)
	v_add_f32_e32 v2, v2, v10
	s_or_b32 exec_lo, exec_lo, s0
	s_and_saveexec_b32 s0, vcc_lo
	s_cbranch_execz .LBB193_512
.LBB193_535:
	ds_read_b32 v10, v8 offset:128
	s_waitcnt lgkmcnt(0)
	v_add_f32_e32 v3, v3, v10
	s_or_b32 exec_lo, exec_lo, s0
	s_and_saveexec_b32 s0, vcc_lo
	s_cbranch_execz .LBB193_513
.LBB193_536:
	ds_read_b32 v10, v8 offset:192
	s_waitcnt lgkmcnt(0)
	v_add_f32_e32 v4, v4, v10
	s_or_b32 exec_lo, exec_lo, s0
	s_and_saveexec_b32 s0, vcc_lo
	s_cbranch_execz .LBB193_514
.LBB193_537:
	ds_read_b32 v10, v8 offset:256
	s_waitcnt lgkmcnt(0)
	v_add_f32_e32 v5, v5, v10
	s_or_b32 exec_lo, exec_lo, s0
	s_and_saveexec_b32 s0, vcc_lo
	s_cbranch_execz .LBB193_515
.LBB193_538:
	ds_read_b32 v10, v8 offset:320
	s_waitcnt lgkmcnt(0)
	v_add_f32_e32 v6, v6, v10
	s_or_b32 exec_lo, exec_lo, s0
	s_and_saveexec_b32 s0, vcc_lo
	s_cbranch_execnz .LBB193_516
	s_branch .LBB193_517
.LBB193_539:
	ds_read_b32 v9, v8
	s_waitcnt lgkmcnt(0)
	v_add_f32_e32 v1, v1, v9
	s_or_b32 exec_lo, exec_lo, s0
	s_and_saveexec_b32 s0, vcc_lo
	s_cbranch_execz .LBB193_523
.LBB193_540:
	ds_read_b32 v9, v8 offset:64
	s_waitcnt lgkmcnt(0)
	v_add_f32_e32 v2, v2, v9
	s_or_b32 exec_lo, exec_lo, s0
	s_and_saveexec_b32 s0, vcc_lo
	s_cbranch_execz .LBB193_524
.LBB193_541:
	ds_read_b32 v9, v8 offset:128
	s_waitcnt lgkmcnt(0)
	v_add_f32_e32 v3, v3, v9
	s_or_b32 exec_lo, exec_lo, s0
	s_and_saveexec_b32 s0, vcc_lo
	s_cbranch_execz .LBB193_525
.LBB193_542:
	ds_read_b32 v9, v8 offset:192
	s_waitcnt lgkmcnt(0)
	v_add_f32_e32 v4, v4, v9
	s_or_b32 exec_lo, exec_lo, s0
	s_and_saveexec_b32 s0, vcc_lo
	s_cbranch_execz .LBB193_526
.LBB193_543:
	ds_read_b32 v9, v8 offset:256
	s_waitcnt lgkmcnt(0)
	v_add_f32_e32 v5, v5, v9
	s_or_b32 exec_lo, exec_lo, s0
	s_and_saveexec_b32 s0, vcc_lo
	s_cbranch_execz .LBB193_527
.LBB193_544:
	ds_read_b32 v9, v8 offset:320
	s_waitcnt lgkmcnt(0)
	v_add_f32_e32 v6, v6, v9
	s_or_b32 exec_lo, exec_lo, s0
	s_and_saveexec_b32 s0, vcc_lo
	s_cbranch_execnz .LBB193_528
	s_branch .LBB193_529
	.section	.rodata,"a",@progbits
	.p2align	6, 0x0
	.amdhsa_kernel _ZN4vllm25paged_attention_v2_kernelIfhLi112ELi8ELi128ELNS_18Fp8KVCacheDataTypeE1ELb1ELi512EEEvPfS2_PT_PKS3_PKT0_S9_ifPKiSB_iPKfiiiSD_SD_iiiii
		.amdhsa_group_segment_fixed_size 480
		.amdhsa_private_segment_fixed_size 0
		.amdhsa_kernarg_size 400
		.amdhsa_user_sgpr_count 6
		.amdhsa_user_sgpr_private_segment_buffer 1
		.amdhsa_user_sgpr_dispatch_ptr 0
		.amdhsa_user_sgpr_queue_ptr 0
		.amdhsa_user_sgpr_kernarg_segment_ptr 1
		.amdhsa_user_sgpr_dispatch_id 0
		.amdhsa_user_sgpr_flat_scratch_init 0
		.amdhsa_user_sgpr_private_segment_size 0
		.amdhsa_wavefront_size32 1
		.amdhsa_uses_dynamic_stack 0
		.amdhsa_system_sgpr_private_segment_wavefront_offset 0
		.amdhsa_system_sgpr_workgroup_id_x 1
		.amdhsa_system_sgpr_workgroup_id_y 1
		.amdhsa_system_sgpr_workgroup_id_z 1
		.amdhsa_system_sgpr_workgroup_info 0
		.amdhsa_system_vgpr_workitem_id 0
		.amdhsa_next_free_vgpr 85
		.amdhsa_next_free_sgpr 53
		.amdhsa_reserve_vcc 1
		.amdhsa_reserve_flat_scratch 0
		.amdhsa_float_round_mode_32 0
		.amdhsa_float_round_mode_16_64 0
		.amdhsa_float_denorm_mode_32 3
		.amdhsa_float_denorm_mode_16_64 3
		.amdhsa_dx10_clamp 1
		.amdhsa_ieee_mode 1
		.amdhsa_fp16_overflow 0
		.amdhsa_workgroup_processor_mode 1
		.amdhsa_memory_ordered 1
		.amdhsa_forward_progress 1
		.amdhsa_shared_vgpr_count 0
		.amdhsa_exception_fp_ieee_invalid_op 0
		.amdhsa_exception_fp_denorm_src 0
		.amdhsa_exception_fp_ieee_div_zero 0
		.amdhsa_exception_fp_ieee_overflow 0
		.amdhsa_exception_fp_ieee_underflow 0
		.amdhsa_exception_fp_ieee_inexact 0
		.amdhsa_exception_int_div_zero 0
	.end_amdhsa_kernel
	.section	.text._ZN4vllm25paged_attention_v2_kernelIfhLi112ELi8ELi128ELNS_18Fp8KVCacheDataTypeE1ELb1ELi512EEEvPfS2_PT_PKS3_PKT0_S9_ifPKiSB_iPKfiiiSD_SD_iiiii,"axG",@progbits,_ZN4vllm25paged_attention_v2_kernelIfhLi112ELi8ELi128ELNS_18Fp8KVCacheDataTypeE1ELb1ELi512EEEvPfS2_PT_PKS3_PKT0_S9_ifPKiSB_iPKfiiiSD_SD_iiiii,comdat
.Lfunc_end193:
	.size	_ZN4vllm25paged_attention_v2_kernelIfhLi112ELi8ELi128ELNS_18Fp8KVCacheDataTypeE1ELb1ELi512EEEvPfS2_PT_PKS3_PKT0_S9_ifPKiSB_iPKfiiiSD_SD_iiiii, .Lfunc_end193-_ZN4vllm25paged_attention_v2_kernelIfhLi112ELi8ELi128ELNS_18Fp8KVCacheDataTypeE1ELb1ELi512EEEvPfS2_PT_PKS3_PKT0_S9_ifPKiSB_iPKfiiiSD_SD_iiiii
                                        ; -- End function
	.set _ZN4vllm25paged_attention_v2_kernelIfhLi112ELi8ELi128ELNS_18Fp8KVCacheDataTypeE1ELb1ELi512EEEvPfS2_PT_PKS3_PKT0_S9_ifPKiSB_iPKfiiiSD_SD_iiiii.num_vgpr, 85
	.set _ZN4vllm25paged_attention_v2_kernelIfhLi112ELi8ELi128ELNS_18Fp8KVCacheDataTypeE1ELb1ELi512EEEvPfS2_PT_PKS3_PKT0_S9_ifPKiSB_iPKfiiiSD_SD_iiiii.num_agpr, 0
	.set _ZN4vllm25paged_attention_v2_kernelIfhLi112ELi8ELi128ELNS_18Fp8KVCacheDataTypeE1ELb1ELi512EEEvPfS2_PT_PKS3_PKT0_S9_ifPKiSB_iPKfiiiSD_SD_iiiii.numbered_sgpr, 53
	.set _ZN4vllm25paged_attention_v2_kernelIfhLi112ELi8ELi128ELNS_18Fp8KVCacheDataTypeE1ELb1ELi512EEEvPfS2_PT_PKS3_PKT0_S9_ifPKiSB_iPKfiiiSD_SD_iiiii.num_named_barrier, 0
	.set _ZN4vllm25paged_attention_v2_kernelIfhLi112ELi8ELi128ELNS_18Fp8KVCacheDataTypeE1ELb1ELi512EEEvPfS2_PT_PKS3_PKT0_S9_ifPKiSB_iPKfiiiSD_SD_iiiii.private_seg_size, 0
	.set _ZN4vllm25paged_attention_v2_kernelIfhLi112ELi8ELi128ELNS_18Fp8KVCacheDataTypeE1ELb1ELi512EEEvPfS2_PT_PKS3_PKT0_S9_ifPKiSB_iPKfiiiSD_SD_iiiii.uses_vcc, 1
	.set _ZN4vllm25paged_attention_v2_kernelIfhLi112ELi8ELi128ELNS_18Fp8KVCacheDataTypeE1ELb1ELi512EEEvPfS2_PT_PKS3_PKT0_S9_ifPKiSB_iPKfiiiSD_SD_iiiii.uses_flat_scratch, 0
	.set _ZN4vllm25paged_attention_v2_kernelIfhLi112ELi8ELi128ELNS_18Fp8KVCacheDataTypeE1ELb1ELi512EEEvPfS2_PT_PKS3_PKT0_S9_ifPKiSB_iPKfiiiSD_SD_iiiii.has_dyn_sized_stack, 0
	.set _ZN4vllm25paged_attention_v2_kernelIfhLi112ELi8ELi128ELNS_18Fp8KVCacheDataTypeE1ELb1ELi512EEEvPfS2_PT_PKS3_PKT0_S9_ifPKiSB_iPKfiiiSD_SD_iiiii.has_recursion, 0
	.set _ZN4vllm25paged_attention_v2_kernelIfhLi112ELi8ELi128ELNS_18Fp8KVCacheDataTypeE1ELb1ELi512EEEvPfS2_PT_PKS3_PKT0_S9_ifPKiSB_iPKfiiiSD_SD_iiiii.has_indirect_call, 0
	.section	.AMDGPU.csdata,"",@progbits
; Kernel info:
; codeLenInByte = 16020
; TotalNumSgprs: 55
; NumVgprs: 85
; ScratchSize: 0
; MemoryBound: 0
; FloatMode: 240
; IeeeMode: 1
; LDSByteSize: 480 bytes/workgroup (compile time only)
; SGPRBlocks: 0
; VGPRBlocks: 10
; NumSGPRsForWavesPerEU: 55
; NumVGPRsForWavesPerEU: 85
; Occupancy: 10
; WaveLimiterHint : 1
; COMPUTE_PGM_RSRC2:SCRATCH_EN: 0
; COMPUTE_PGM_RSRC2:USER_SGPR: 6
; COMPUTE_PGM_RSRC2:TRAP_HANDLER: 0
; COMPUTE_PGM_RSRC2:TGID_X_EN: 1
; COMPUTE_PGM_RSRC2:TGID_Y_EN: 1
; COMPUTE_PGM_RSRC2:TGID_Z_EN: 1
; COMPUTE_PGM_RSRC2:TIDIG_COMP_CNT: 0
	.section	.text._ZN4vllm25paged_attention_v2_kernelIfhLi120ELi8ELi128ELNS_18Fp8KVCacheDataTypeE1ELb1ELi512EEEvPfS2_PT_PKS3_PKT0_S9_ifPKiSB_iPKfiiiSD_SD_iiiii,"axG",@progbits,_ZN4vllm25paged_attention_v2_kernelIfhLi120ELi8ELi128ELNS_18Fp8KVCacheDataTypeE1ELb1ELi512EEEvPfS2_PT_PKS3_PKT0_S9_ifPKiSB_iPKfiiiSD_SD_iiiii,comdat
	.protected	_ZN4vllm25paged_attention_v2_kernelIfhLi120ELi8ELi128ELNS_18Fp8KVCacheDataTypeE1ELb1ELi512EEEvPfS2_PT_PKS3_PKT0_S9_ifPKiSB_iPKfiiiSD_SD_iiiii ; -- Begin function _ZN4vllm25paged_attention_v2_kernelIfhLi120ELi8ELi128ELNS_18Fp8KVCacheDataTypeE1ELb1ELi512EEEvPfS2_PT_PKS3_PKT0_S9_ifPKiSB_iPKfiiiSD_SD_iiiii
	.globl	_ZN4vllm25paged_attention_v2_kernelIfhLi120ELi8ELi128ELNS_18Fp8KVCacheDataTypeE1ELb1ELi512EEEvPfS2_PT_PKS3_PKT0_S9_ifPKiSB_iPKfiiiSD_SD_iiiii
	.p2align	8
	.type	_ZN4vllm25paged_attention_v2_kernelIfhLi120ELi8ELi128ELNS_18Fp8KVCacheDataTypeE1ELb1ELi512EEEvPfS2_PT_PKS3_PKT0_S9_ifPKiSB_iPKfiiiSD_SD_iiiii,@function
_ZN4vllm25paged_attention_v2_kernelIfhLi120ELi8ELi128ELNS_18Fp8KVCacheDataTypeE1ELb1ELi512EEEvPfS2_PT_PKS3_PKT0_S9_ifPKiSB_iPKfiiiSD_SD_iiiii: ; @_ZN4vllm25paged_attention_v2_kernelIfhLi120ELi8ELi128ELNS_18Fp8KVCacheDataTypeE1ELb1ELi512EEEvPfS2_PT_PKS3_PKT0_S9_ifPKiSB_iPKfiiiSD_SD_iiiii
; %bb.0:
	s_load_dwordx2 s[0:1], s[4:5], 0x40
	s_mov_b32 s30, s7
	s_ashr_i32 s31, s7, 31
	s_lshl_b64 s[2:3], s[30:31], 2
	s_waitcnt lgkmcnt(0)
	s_add_u32 s0, s0, s2
	s_addc_u32 s1, s1, s3
	s_lshl_b32 s42, s8, 9
	s_load_dword s31, s[0:1], 0x0
	s_waitcnt lgkmcnt(0)
	s_cmp_ge_i32 s42, s31
	s_cbranch_scc1 .LBB194_599
; %bb.1:
	s_clause 0x1
	s_load_dword s9, s[4:5], 0x90
	s_load_dwordx2 s[40:41], s[4:5], 0x30
	s_mov_b32 s43, 0
	s_waitcnt lgkmcnt(0)
	s_abs_i32 s3, s9
	s_abs_i32 s0, s40
	v_cvt_f32_u32_e32 v1, s0
	s_sub_i32 s2, 0, s0
	v_rcp_iflag_f32_e32 v1, v1
	v_mul_f32_e32 v1, 0x4f7ffffe, v1
	v_cvt_u32_f32_e32 v1, v1
	v_readfirstlane_b32 s1, v1
	s_mul_i32 s2, s2, s1
	s_mul_hi_u32 s2, s1, s2
	s_add_i32 s1, s1, s2
	s_xor_b32 s2, s9, s40
	s_mul_hi_u32 s1, s3, s1
	s_ashr_i32 s2, s2, 31
	s_mul_i32 s7, s1, s0
	s_sub_i32 s3, s3, s7
	s_add_i32 s7, s1, 1
	s_sub_i32 s10, s3, s0
	s_cmp_ge_u32 s3, s0
	s_cselect_b32 s1, s7, s1
	s_cselect_b32 s3, s10, s3
	s_add_i32 s7, s1, 1
	s_cmp_ge_u32 s3, s0
	s_cselect_b32 s0, s7, s1
	s_xor_b32 s0, s0, s2
	s_sub_i32 s10, s0, s2
	s_load_dwordx2 s[0:1], s[4:5], 0x50
	s_abs_i32 s2, s10
	v_cvt_f32_u32_e32 v1, s2
	s_sub_i32 s3, 0, s2
	v_rcp_iflag_f32_e32 v1, v1
	v_mul_f32_e32 v1, 0x4f7ffffe, v1
	v_cvt_u32_f32_e32 v1, v1
	v_readfirstlane_b32 s7, v1
	s_mul_i32 s3, s3, s7
	s_mul_hi_u32 s11, s7, s3
	s_abs_i32 s3, s6
	s_add_i32 s7, s7, s11
	s_waitcnt lgkmcnt(0)
	s_cmp_eq_u64 s[0:1], 0
	s_mul_hi_u32 s12, s3, s7
	s_cbranch_scc1 .LBB194_3
; %bb.2:
	s_ashr_i32 s7, s6, 31
	s_lshl_b64 s[14:15], s[6:7], 2
	s_add_u32 s0, s0, s14
	s_addc_u32 s1, s1, s15
	s_load_dword s43, s[0:1], 0x0
.LBB194_3:
	s_load_dwordx4 s[16:19], s[4:5], 0x58
	v_and_b32_e32 v1, 3, v0
	v_lshlrev_b32_e32 v43, 2, v0
	s_ashr_i32 s0, s6, 31
	s_ashr_i32 s1, s10, 31
	s_mul_i32 s10, s6, 0x78
	s_mov_b32 s7, exec_lo
	v_cmpx_gt_u32_e32 0x78, v0
	s_cbranch_execz .LBB194_5
; %bb.4:
	s_load_dwordx2 s[14:15], s[4:5], 0x18
	s_waitcnt lgkmcnt(0)
	s_mul_i32 s20, s16, s30
	v_and_b32_e32 v3, 0x3fc, v0
	s_ashr_i32 s21, s20, 31
	s_lshl_b64 s[20:21], s[20:21], 2
	v_mad_u32_u24 v3, 0x78, v1, v3
	s_add_u32 s13, s14, s20
	s_addc_u32 s16, s15, s21
	s_ashr_i32 s11, s10, 31
	s_lshl_b64 s[14:15], s[10:11], 2
	s_add_u32 s14, s13, s14
	s_addc_u32 s15, s16, s15
	global_load_dword v2, v43, s[14:15]
	s_waitcnt vmcnt(0)
	ds_write_b32 v3, v2
.LBB194_5:
	s_or_b32 exec_lo, exec_lo, s7
	s_load_dwordx4 s[20:23], s[4:5], 0x78
	s_mul_i32 s7, s12, s2
	s_xor_b32 s0, s0, s1
	s_sub_i32 s1, s3, s7
	s_add_i32 s3, s12, 1
	s_sub_i32 s7, s1, s2
	s_cmp_ge_u32 s1, s2
                                        ; implicit-def: $sgpr19
	s_cselect_b32 s3, s3, s12
	s_cselect_b32 s1, s7, s1
	s_add_i32 s7, s3, 1
	s_cmp_ge_u32 s1, s2
	s_mov_b32 s12, -1
	s_cselect_b32 s1, s7, s3
	s_load_dword s3, s[4:5], 0x88
	s_xor_b32 s1, s1, s0
	s_add_i32 s7, s31, -1
	s_sub_i32 s1, s1, s0
	s_abs_i32 s2, s7
	s_waitcnt lgkmcnt(0)
	s_abs_i32 s11, s23
	s_barrier
	v_cvt_f32_u32_e32 v2, s11
	s_sub_i32 s0, 0, s11
	buffer_gl0_inv
	v_rcp_iflag_f32_e32 v2, v2
	v_mul_f32_e32 v2, 0x4f7ffffe, v2
	v_cvt_u32_f32_e32 v2, v2
	v_readfirstlane_b32 s16, v2
	s_mul_i32 s0, s0, s16
	s_mul_hi_u32 s0, s16, s0
	s_add_i32 s16, s16, s0
	s_cmp_lt_i32 s3, 0
	s_mul_hi_u32 s0, s2, s16
	s_cbranch_scc0 .LBB194_7
; %bb.6:
	s_mul_i32 s12, s20, s40
	s_add_i32 s12, s1, s12
	s_mul_i32 s12, s12, s3
	s_sub_i32 s19, 1, s12
	s_mov_b32 s12, 0
.LBB194_7:
	s_load_dwordx2 s[34:35], s[4:5], 0x38
	s_ashr_i32 s33, s7, 31
	s_andn2_b32 vcc_lo, exec_lo, s12
	s_ashr_i32 s23, s23, 31
	s_cbranch_vccnz .LBB194_9
; %bb.8:
	s_mul_i32 s7, s9, s20
	s_add_i32 s7, s7, s6
	s_mul_i32 s3, s7, s3
	s_add_i32 s19, s3, 1
.LBB194_9:
	s_clause 0x5
	s_load_dword s3, s[4:5], 0x48
	s_load_dwordx2 s[38:39], s[4:5], 0x28
	s_load_dwordx4 s[24:27], s[4:5], 0x0
	s_load_dwordx2 s[28:29], s[4:5], 0x10
	s_load_dword s7, s[4:5], 0x98
	s_load_dwordx4 s[12:15], s[4:5], 0x68
	s_mul_i32 s20, s0, s11
	s_xor_b32 s40, s33, s23
	s_sub_i32 s2, s2, s20
	s_add_i32 s33, s0, 1
	v_lshrrev_b32_e32 v41, 5, v0
	v_mov_b32_e32 v45, 0xff7fffff
	v_mbcnt_lo_u32_b32 v44, -1, 0
	s_mul_i32 s18, s1, s18
	s_mov_b32 s45, exec_lo
	v_lshl_add_u32 v42, v41, 3, s42
	s_waitcnt lgkmcnt(0)
	s_mul_i32 s36, s3, s30
	s_sub_i32 s3, s2, s11
	s_ashr_i32 s37, s36, 31
	s_cmp_ge_u32 s2, s11
	s_cselect_b32 s0, s33, s0
	s_cselect_b32 s2, s3, s2
	s_add_i32 s3, s0, 1
	s_cmp_ge_u32 s2, s11
	s_cselect_b32 s0, s3, s0
	s_add_i32 s2, s31, 7
	s_lshl_b32 s44, s8, 6
	s_ashr_i32 s3, s2, 31
	v_or_b32_e32 v29, s44, v41
	s_lshr_b32 s3, s3, 29
	s_add_i32 s2, s2, s3
	s_add_i32 s3, s44, 64
	s_ashr_i32 s33, s2, 3
	s_xor_b32 s2, s0, s40
	s_min_i32 s20, s3, s33
	v_ashrrev_i32_e32 v30, 31, v29
	v_cmp_le_i32_e64 s0, s20, v29
	s_sub_i32 s40, s2, s40
	v_cmpx_gt_i32_e64 s20, v29
	s_cbranch_execz .LBB194_261
; %bb.10:
	s_load_dwordx2 s[2:3], s[4:5], 0x20
	s_sub_i32 s4, s40, s21
	s_ashr_i32 s1, s18, 31
	v_bfe_u32 v46, v0, 2, 3
	v_mov_b32_e32 v32, 0
	v_mul_u32_u24_e32 v47, 0x78, v1
	v_lshl_add_u32 v48, v41, 3, s42
	v_mov_b32_e32 v49, 0xff7fffff
	v_lshlrev_b32_e32 v5, 2, v46
	v_subrev_nc_u32_e32 v6, s31, v46
	v_lshlrev_b32_e32 v7, 4, v46
	v_mov_b32_e32 v50, 0x7f
	v_mov_b32_e32 v51, 7
	v_lshl_or_b32 v5, v41, 5, v5
	v_add_nc_u32_e32 v52, 1, v6
	v_mov_b32_e32 v45, 0xff7fffff
	v_mov_b32_e32 v55, v29
	v_cmp_eq_u32_e32 vcc_lo, 0, v1
	v_add_nc_u32_e32 v53, 0x200, v5
	s_waitcnt lgkmcnt(0)
	s_add_u32 s46, s2, s18
	s_addc_u32 s47, s3, s1
	s_abs_i32 s5, s22
	v_add_co_u32 v6, s46, s46, v7
	v_cvt_f32_u32_e32 v2, s5
	s_sub_i32 s2, 0, s5
	v_add_co_ci_u32_e64 v7, null, s47, 0, s46
	v_cmp_neq_f32_e64 s1, s43, 0
	v_rcp_iflag_f32_e32 v4, v2
	v_lshlrev_b64 v[2:3], 2, v[29:30]
	s_mov_b32 s46, 0
	s_mov_b32 s47, s17
	v_mul_f32_e32 v4, 0x4f7ffffe, v4
	v_cvt_u32_f32_e32 v4, v4
	v_mul_lo_u32 v5, s2, v4
	s_lshl_b64 s[2:3], s[36:37], 2
	s_add_u32 s2, s34, s2
	s_addc_u32 s3, s35, s3
	v_add_co_u32 v33, s2, s2, v2
	v_add_co_ci_u32_e64 v34, null, s3, v3, s2
	v_mul_hi_u32 v5, v4, v5
	v_add_co_u32 v35, s2, v6, v1
	v_add_co_ci_u32_e64 v36, null, 0, v7, s2
	v_add_nc_u32_e32 v54, v4, v5
	s_branch .LBB194_13
.LBB194_11:                             ;   in Loop: Header=BB194_13 Depth=1
	s_or_b32 exec_lo, exec_lo, s48
.LBB194_12:                             ;   in Loop: Header=BB194_13 Depth=1
	s_or_b32 exec_lo, exec_lo, s3
	v_add_nc_u32_e32 v55, 4, v55
	v_add_co_u32 v33, s3, v33, 16
	v_add_co_ci_u32_e64 v34, null, 0, v34, s3
	v_cmp_le_i32_e64 s2, s20, v55
	v_add_nc_u32_e32 v48, 32, v48
	v_add_nc_u32_e32 v53, 0x80, v53
	s_or_b32 s46, s2, s46
	s_andn2_b32 exec_lo, exec_lo, s46
	s_cbranch_execz .LBB194_260
.LBB194_13:                             ; =>This Inner Loop Header: Depth=1
	v_sub_nc_u32_e32 v1, 0, v48
	v_max_i32_e32 v1, v48, v1
	s_waitcnt lgkmcnt(0)
	v_mul_hi_u32 v2, v1, s16
	v_mul_lo_u32 v3, v2, s11
	v_sub_nc_u32_e32 v1, v1, v3
	v_add_nc_u32_e32 v3, 1, v2
	v_subrev_nc_u32_e32 v4, s11, v1
	v_cmp_le_u32_e64 s2, s11, v1
	v_cndmask_b32_e64 v2, v2, v3, s2
	v_cndmask_b32_e64 v1, v1, v4, s2
	v_ashrrev_i32_e32 v3, 31, v48
	v_add_nc_u32_e32 v4, 1, v2
	v_cmp_le_u32_e64 s2, s11, v1
	v_xor_b32_e32 v3, s23, v3
	v_cndmask_b32_e64 v1, v2, v4, s2
	v_xor_b32_e32 v1, v1, v3
	v_sub_nc_u32_e32 v1, v1, v3
	v_add_nc_u32_e32 v2, s19, v1
	v_cmp_ge_i32_e64 s3, s4, v1
	v_sub_nc_u32_e32 v3, 0, v2
	v_max_i32_e32 v3, v2, v3
	v_ashrrev_i32_e32 v2, 31, v2
	v_mul_hi_u32 v4, v3, v54
	v_mul_lo_u32 v4, v4, s5
	v_sub_nc_u32_e32 v3, v3, v4
	v_subrev_nc_u32_e32 v4, s5, v3
	v_cmp_le_u32_e64 s2, s5, v3
	v_cndmask_b32_e64 v3, v3, v4, s2
	v_subrev_nc_u32_e32 v4, s5, v3
	v_cmp_le_u32_e64 s2, s5, v3
	v_cndmask_b32_e64 v3, v3, v4, s2
	v_xor_b32_e32 v3, v3, v2
	v_sub_nc_u32_e32 v2, v3, v2
	v_cmp_ne_u32_e64 s2, 0, v2
	s_and_b32 s2, s2, s3
	s_and_saveexec_b32 s3, s2
	s_xor_b32 s2, exec_lo, s3
	s_cbranch_execz .LBB194_17
; %bb.14:                               ;   in Loop: Header=BB194_13 Depth=1
	s_and_saveexec_b32 s3, vcc_lo
; %bb.15:                               ;   in Loop: Header=BB194_13 Depth=1
	ds_write_b32 v53, v49
; %bb.16:                               ;   in Loop: Header=BB194_13 Depth=1
	s_or_b32 exec_lo, exec_lo, s3
.LBB194_17:                             ;   in Loop: Header=BB194_13 Depth=1
	s_andn2_saveexec_b32 s3, s2
	s_cbranch_execz .LBB194_12
; %bb.18:                               ;   in Loop: Header=BB194_13 Depth=1
	global_load_dword v1, v[33:34], off
	v_mov_b32_e32 v56, 0
	v_mov_b32_e32 v57, 0
	s_mov_b32 s49, exec_lo
	s_waitcnt vmcnt(0)
	v_mad_i64_i32 v[39:40], null, v1, s47, v[35:36]
	global_load_ubyte v58, v[39:40], off
	ds_read2_b64 v[25:28], v47 offset1:1
	ds_read2_b64 v[21:24], v47 offset0:2 offset1:3
	ds_read2_b64 v[17:20], v47 offset0:4 offset1:5
	;; [unrolled: 1-line block ×6, first 2 shown]
	ds_read_b64 v[37:38], v47 offset:112
	s_load_dword s48, s[12:13], 0x0
	s_waitcnt vmcnt(0)
	v_cmpx_ne_u16_e32 0, v58
	s_cbranch_execz .LBB194_26
; %bb.19:                               ;   in Loop: Header=BB194_13 Depth=1
	v_bfrev_b32_e32 v57, 1
	s_mov_b32 s50, exec_lo
	v_cmpx_ne_u16_e32 0x80, v58
	s_cbranch_execz .LBB194_25
; %bb.20:                               ;   in Loop: Header=BB194_13 Depth=1
	v_and_b32_sdwa v59, v58, v50 dst_sel:DWORD dst_unused:UNUSED_PAD src0_sel:WORD_0 src1_sel:DWORD
	v_mov_b32_e32 v57, 0x7f800001
	s_mov_b32 s51, exec_lo
	v_cmpx_ne_u32_e32 0x7f, v59
	s_cbranch_execz .LBB194_24
; %bb.21:                               ;   in Loop: Header=BB194_13 Depth=1
	v_and_b32_sdwa v31, v58, v51 dst_sel:DWORD dst_unused:UNUSED_PAD src0_sel:WORD_0 src1_sel:DWORD
	v_lshrrev_b32_e32 v57, 3, v59
	s_mov_b32 s52, exec_lo
	v_cmpx_gt_u32_e32 8, v59
; %bb.22:                               ;   in Loop: Header=BB194_13 Depth=1
	v_ffbh_u32_e32 v57, v31
	v_min_u32_e32 v57, 32, v57
	v_subrev_nc_u32_e32 v59, 28, v57
	v_sub_nc_u32_e32 v57, 29, v57
	v_lshlrev_b64 v[59:60], v59, v[31:32]
	v_and_b32_e32 v31, 7, v59
; %bb.23:                               ;   in Loop: Header=BB194_13 Depth=1
	s_or_b32 exec_lo, exec_lo, s52
	v_lshlrev_b32_e32 v58, 24, v58
	v_lshlrev_b32_e32 v31, 20, v31
	v_lshl_add_u32 v57, v57, 23, 0x3c000000
	v_and_b32_e32 v58, 0x80000000, v58
	v_or3_b32 v57, v31, v58, v57
.LBB194_24:                             ;   in Loop: Header=BB194_13 Depth=1
	s_or_b32 exec_lo, exec_lo, s51
.LBB194_25:                             ;   in Loop: Header=BB194_13 Depth=1
	s_or_b32 exec_lo, exec_lo, s50
.LBB194_26:                             ;   in Loop: Header=BB194_13 Depth=1
	s_or_b32 exec_lo, exec_lo, s49
	global_load_ubyte v58, v[39:40], off offset:4
	s_mov_b32 s49, exec_lo
	s_waitcnt vmcnt(0)
	v_cmpx_ne_u16_e32 0, v58
	s_cbranch_execz .LBB194_34
; %bb.27:                               ;   in Loop: Header=BB194_13 Depth=1
	v_bfrev_b32_e32 v56, 1
	s_mov_b32 s50, exec_lo
	v_cmpx_ne_u16_e32 0x80, v58
	s_cbranch_execz .LBB194_33
; %bb.28:                               ;   in Loop: Header=BB194_13 Depth=1
	v_and_b32_sdwa v59, v58, v50 dst_sel:DWORD dst_unused:UNUSED_PAD src0_sel:WORD_0 src1_sel:DWORD
	v_mov_b32_e32 v56, 0x7f800001
	s_mov_b32 s51, exec_lo
	v_cmpx_ne_u32_e32 0x7f, v59
	s_cbranch_execz .LBB194_32
; %bb.29:                               ;   in Loop: Header=BB194_13 Depth=1
	v_and_b32_sdwa v31, v58, v51 dst_sel:DWORD dst_unused:UNUSED_PAD src0_sel:WORD_0 src1_sel:DWORD
	v_lshrrev_b32_e32 v56, 3, v59
	s_mov_b32 s52, exec_lo
	v_cmpx_gt_u32_e32 8, v59
; %bb.30:                               ;   in Loop: Header=BB194_13 Depth=1
	v_ffbh_u32_e32 v56, v31
	v_min_u32_e32 v56, 32, v56
	v_subrev_nc_u32_e32 v59, 28, v56
	v_sub_nc_u32_e32 v56, 29, v56
	v_lshlrev_b64 v[59:60], v59, v[31:32]
	v_and_b32_e32 v31, 7, v59
; %bb.31:                               ;   in Loop: Header=BB194_13 Depth=1
	s_or_b32 exec_lo, exec_lo, s52
	v_lshlrev_b32_e32 v58, 24, v58
	v_lshlrev_b32_e32 v31, 20, v31
	v_lshl_add_u32 v56, v56, 23, 0x3c000000
	v_and_b32_e32 v58, 0x80000000, v58
	v_or3_b32 v56, v31, v58, v56
.LBB194_32:                             ;   in Loop: Header=BB194_13 Depth=1
	s_or_b32 exec_lo, exec_lo, s51
.LBB194_33:                             ;   in Loop: Header=BB194_13 Depth=1
	s_or_b32 exec_lo, exec_lo, s50
.LBB194_34:                             ;   in Loop: Header=BB194_13 Depth=1
	s_or_b32 exec_lo, exec_lo, s49
	global_load_ubyte v60, v[39:40], off offset:8
	v_mov_b32_e32 v58, 0
	v_mov_b32_e32 v59, 0
	s_mov_b32 s49, exec_lo
	s_waitcnt vmcnt(0)
	v_cmpx_ne_u16_e32 0, v60
	s_cbranch_execz .LBB194_42
; %bb.35:                               ;   in Loop: Header=BB194_13 Depth=1
	v_bfrev_b32_e32 v59, 1
	s_mov_b32 s50, exec_lo
	v_cmpx_ne_u16_e32 0x80, v60
	s_cbranch_execz .LBB194_41
; %bb.36:                               ;   in Loop: Header=BB194_13 Depth=1
	v_and_b32_sdwa v61, v60, v50 dst_sel:DWORD dst_unused:UNUSED_PAD src0_sel:WORD_0 src1_sel:DWORD
	v_mov_b32_e32 v59, 0x7f800001
	s_mov_b32 s51, exec_lo
	v_cmpx_ne_u32_e32 0x7f, v61
	s_cbranch_execz .LBB194_40
; %bb.37:                               ;   in Loop: Header=BB194_13 Depth=1
	v_and_b32_sdwa v31, v60, v51 dst_sel:DWORD dst_unused:UNUSED_PAD src0_sel:WORD_0 src1_sel:DWORD
	v_lshrrev_b32_e32 v59, 3, v61
	s_mov_b32 s52, exec_lo
	v_cmpx_gt_u32_e32 8, v61
; %bb.38:                               ;   in Loop: Header=BB194_13 Depth=1
	v_ffbh_u32_e32 v59, v31
	v_min_u32_e32 v59, 32, v59
	v_subrev_nc_u32_e32 v61, 28, v59
	v_sub_nc_u32_e32 v59, 29, v59
	v_lshlrev_b64 v[61:62], v61, v[31:32]
	v_and_b32_e32 v31, 7, v61
; %bb.39:                               ;   in Loop: Header=BB194_13 Depth=1
	s_or_b32 exec_lo, exec_lo, s52
	v_lshlrev_b32_e32 v60, 24, v60
	v_lshlrev_b32_e32 v31, 20, v31
	v_lshl_add_u32 v59, v59, 23, 0x3c000000
	v_and_b32_e32 v60, 0x80000000, v60
	v_or3_b32 v59, v31, v60, v59
.LBB194_40:                             ;   in Loop: Header=BB194_13 Depth=1
	s_or_b32 exec_lo, exec_lo, s51
.LBB194_41:                             ;   in Loop: Header=BB194_13 Depth=1
	s_or_b32 exec_lo, exec_lo, s50
.LBB194_42:                             ;   in Loop: Header=BB194_13 Depth=1
	s_or_b32 exec_lo, exec_lo, s49
	global_load_ubyte v60, v[39:40], off offset:12
	s_mov_b32 s49, exec_lo
	s_waitcnt vmcnt(0)
	v_cmpx_ne_u16_e32 0, v60
	s_cbranch_execz .LBB194_50
; %bb.43:                               ;   in Loop: Header=BB194_13 Depth=1
	v_bfrev_b32_e32 v58, 1
	s_mov_b32 s50, exec_lo
	v_cmpx_ne_u16_e32 0x80, v60
	s_cbranch_execz .LBB194_49
; %bb.44:                               ;   in Loop: Header=BB194_13 Depth=1
	v_and_b32_sdwa v61, v60, v50 dst_sel:DWORD dst_unused:UNUSED_PAD src0_sel:WORD_0 src1_sel:DWORD
	v_mov_b32_e32 v58, 0x7f800001
	s_mov_b32 s51, exec_lo
	v_cmpx_ne_u32_e32 0x7f, v61
	s_cbranch_execz .LBB194_48
; %bb.45:                               ;   in Loop: Header=BB194_13 Depth=1
	v_and_b32_sdwa v31, v60, v51 dst_sel:DWORD dst_unused:UNUSED_PAD src0_sel:WORD_0 src1_sel:DWORD
	v_lshrrev_b32_e32 v58, 3, v61
	s_mov_b32 s52, exec_lo
	v_cmpx_gt_u32_e32 8, v61
; %bb.46:                               ;   in Loop: Header=BB194_13 Depth=1
	v_ffbh_u32_e32 v58, v31
	v_min_u32_e32 v58, 32, v58
	v_subrev_nc_u32_e32 v61, 28, v58
	v_sub_nc_u32_e32 v58, 29, v58
	v_lshlrev_b64 v[61:62], v61, v[31:32]
	v_and_b32_e32 v31, 7, v61
; %bb.47:                               ;   in Loop: Header=BB194_13 Depth=1
	s_or_b32 exec_lo, exec_lo, s52
	v_lshlrev_b32_e32 v60, 24, v60
	v_lshlrev_b32_e32 v31, 20, v31
	v_lshl_add_u32 v58, v58, 23, 0x3c000000
	v_and_b32_e32 v60, 0x80000000, v60
	v_or3_b32 v58, v31, v60, v58
.LBB194_48:                             ;   in Loop: Header=BB194_13 Depth=1
	s_or_b32 exec_lo, exec_lo, s51
.LBB194_49:                             ;   in Loop: Header=BB194_13 Depth=1
	s_or_b32 exec_lo, exec_lo, s50
.LBB194_50:                             ;   in Loop: Header=BB194_13 Depth=1
	s_or_b32 exec_lo, exec_lo, s49
	global_load_ubyte v62, v[39:40], off offset:128
	v_mov_b32_e32 v60, 0
	v_mov_b32_e32 v61, 0
	s_mov_b32 s49, exec_lo
	s_waitcnt vmcnt(0)
	v_cmpx_ne_u16_e32 0, v62
	s_cbranch_execz .LBB194_58
; %bb.51:                               ;   in Loop: Header=BB194_13 Depth=1
	v_bfrev_b32_e32 v61, 1
	s_mov_b32 s50, exec_lo
	v_cmpx_ne_u16_e32 0x80, v62
	s_cbranch_execz .LBB194_57
; %bb.52:                               ;   in Loop: Header=BB194_13 Depth=1
	v_and_b32_sdwa v63, v62, v50 dst_sel:DWORD dst_unused:UNUSED_PAD src0_sel:WORD_0 src1_sel:DWORD
	v_mov_b32_e32 v61, 0x7f800001
	s_mov_b32 s51, exec_lo
	v_cmpx_ne_u32_e32 0x7f, v63
	s_cbranch_execz .LBB194_56
; %bb.53:                               ;   in Loop: Header=BB194_13 Depth=1
	v_and_b32_sdwa v31, v62, v51 dst_sel:DWORD dst_unused:UNUSED_PAD src0_sel:WORD_0 src1_sel:DWORD
	v_lshrrev_b32_e32 v61, 3, v63
	s_mov_b32 s52, exec_lo
	v_cmpx_gt_u32_e32 8, v63
; %bb.54:                               ;   in Loop: Header=BB194_13 Depth=1
	v_ffbh_u32_e32 v61, v31
	v_min_u32_e32 v61, 32, v61
	v_subrev_nc_u32_e32 v63, 28, v61
	v_sub_nc_u32_e32 v61, 29, v61
	v_lshlrev_b64 v[63:64], v63, v[31:32]
	v_and_b32_e32 v31, 7, v63
; %bb.55:                               ;   in Loop: Header=BB194_13 Depth=1
	s_or_b32 exec_lo, exec_lo, s52
	v_lshlrev_b32_e32 v62, 24, v62
	v_lshlrev_b32_e32 v31, 20, v31
	v_lshl_add_u32 v61, v61, 23, 0x3c000000
	v_and_b32_e32 v62, 0x80000000, v62
	v_or3_b32 v61, v31, v62, v61
.LBB194_56:                             ;   in Loop: Header=BB194_13 Depth=1
	s_or_b32 exec_lo, exec_lo, s51
.LBB194_57:                             ;   in Loop: Header=BB194_13 Depth=1
	s_or_b32 exec_lo, exec_lo, s50
.LBB194_58:                             ;   in Loop: Header=BB194_13 Depth=1
	s_or_b32 exec_lo, exec_lo, s49
	global_load_ubyte v62, v[39:40], off offset:132
	s_mov_b32 s49, exec_lo
	s_waitcnt vmcnt(0)
	v_cmpx_ne_u16_e32 0, v62
	s_cbranch_execz .LBB194_66
; %bb.59:                               ;   in Loop: Header=BB194_13 Depth=1
	v_bfrev_b32_e32 v60, 1
	s_mov_b32 s50, exec_lo
	v_cmpx_ne_u16_e32 0x80, v62
	s_cbranch_execz .LBB194_65
; %bb.60:                               ;   in Loop: Header=BB194_13 Depth=1
	v_and_b32_sdwa v63, v62, v50 dst_sel:DWORD dst_unused:UNUSED_PAD src0_sel:WORD_0 src1_sel:DWORD
	v_mov_b32_e32 v60, 0x7f800001
	s_mov_b32 s51, exec_lo
	v_cmpx_ne_u32_e32 0x7f, v63
	s_cbranch_execz .LBB194_64
; %bb.61:                               ;   in Loop: Header=BB194_13 Depth=1
	v_and_b32_sdwa v31, v62, v51 dst_sel:DWORD dst_unused:UNUSED_PAD src0_sel:WORD_0 src1_sel:DWORD
	v_lshrrev_b32_e32 v60, 3, v63
	s_mov_b32 s52, exec_lo
	v_cmpx_gt_u32_e32 8, v63
; %bb.62:                               ;   in Loop: Header=BB194_13 Depth=1
	v_ffbh_u32_e32 v60, v31
	v_min_u32_e32 v60, 32, v60
	v_subrev_nc_u32_e32 v63, 28, v60
	v_sub_nc_u32_e32 v60, 29, v60
	v_lshlrev_b64 v[63:64], v63, v[31:32]
	v_and_b32_e32 v31, 7, v63
; %bb.63:                               ;   in Loop: Header=BB194_13 Depth=1
	s_or_b32 exec_lo, exec_lo, s52
	v_lshlrev_b32_e32 v62, 24, v62
	v_lshlrev_b32_e32 v31, 20, v31
	v_lshl_add_u32 v60, v60, 23, 0x3c000000
	v_and_b32_e32 v62, 0x80000000, v62
	v_or3_b32 v60, v31, v62, v60
.LBB194_64:                             ;   in Loop: Header=BB194_13 Depth=1
	s_or_b32 exec_lo, exec_lo, s51
.LBB194_65:                             ;   in Loop: Header=BB194_13 Depth=1
	s_or_b32 exec_lo, exec_lo, s50
.LBB194_66:                             ;   in Loop: Header=BB194_13 Depth=1
	s_or_b32 exec_lo, exec_lo, s49
	global_load_ubyte v64, v[39:40], off offset:136
	v_mov_b32_e32 v62, 0
	v_mov_b32_e32 v63, 0
	s_mov_b32 s49, exec_lo
	s_waitcnt vmcnt(0)
	v_cmpx_ne_u16_e32 0, v64
	s_cbranch_execz .LBB194_74
; %bb.67:                               ;   in Loop: Header=BB194_13 Depth=1
	v_bfrev_b32_e32 v63, 1
	s_mov_b32 s50, exec_lo
	v_cmpx_ne_u16_e32 0x80, v64
	s_cbranch_execz .LBB194_73
; %bb.68:                               ;   in Loop: Header=BB194_13 Depth=1
	v_and_b32_sdwa v65, v64, v50 dst_sel:DWORD dst_unused:UNUSED_PAD src0_sel:WORD_0 src1_sel:DWORD
	v_mov_b32_e32 v63, 0x7f800001
	s_mov_b32 s51, exec_lo
	v_cmpx_ne_u32_e32 0x7f, v65
	s_cbranch_execz .LBB194_72
; %bb.69:                               ;   in Loop: Header=BB194_13 Depth=1
	v_and_b32_sdwa v31, v64, v51 dst_sel:DWORD dst_unused:UNUSED_PAD src0_sel:WORD_0 src1_sel:DWORD
	v_lshrrev_b32_e32 v63, 3, v65
	s_mov_b32 s52, exec_lo
	v_cmpx_gt_u32_e32 8, v65
; %bb.70:                               ;   in Loop: Header=BB194_13 Depth=1
	v_ffbh_u32_e32 v63, v31
	v_min_u32_e32 v63, 32, v63
	v_subrev_nc_u32_e32 v65, 28, v63
	v_sub_nc_u32_e32 v63, 29, v63
	v_lshlrev_b64 v[65:66], v65, v[31:32]
	v_and_b32_e32 v31, 7, v65
; %bb.71:                               ;   in Loop: Header=BB194_13 Depth=1
	s_or_b32 exec_lo, exec_lo, s52
	v_lshlrev_b32_e32 v64, 24, v64
	v_lshlrev_b32_e32 v31, 20, v31
	v_lshl_add_u32 v63, v63, 23, 0x3c000000
	v_and_b32_e32 v64, 0x80000000, v64
	v_or3_b32 v63, v31, v64, v63
.LBB194_72:                             ;   in Loop: Header=BB194_13 Depth=1
	s_or_b32 exec_lo, exec_lo, s51
.LBB194_73:                             ;   in Loop: Header=BB194_13 Depth=1
	s_or_b32 exec_lo, exec_lo, s50
.LBB194_74:                             ;   in Loop: Header=BB194_13 Depth=1
	s_or_b32 exec_lo, exec_lo, s49
	global_load_ubyte v64, v[39:40], off offset:140
	s_mov_b32 s49, exec_lo
	s_waitcnt vmcnt(0)
	v_cmpx_ne_u16_e32 0, v64
	s_cbranch_execz .LBB194_82
; %bb.75:                               ;   in Loop: Header=BB194_13 Depth=1
	v_bfrev_b32_e32 v62, 1
	s_mov_b32 s50, exec_lo
	v_cmpx_ne_u16_e32 0x80, v64
	s_cbranch_execz .LBB194_81
; %bb.76:                               ;   in Loop: Header=BB194_13 Depth=1
	v_and_b32_sdwa v65, v64, v50 dst_sel:DWORD dst_unused:UNUSED_PAD src0_sel:WORD_0 src1_sel:DWORD
	v_mov_b32_e32 v62, 0x7f800001
	s_mov_b32 s51, exec_lo
	v_cmpx_ne_u32_e32 0x7f, v65
	s_cbranch_execz .LBB194_80
; %bb.77:                               ;   in Loop: Header=BB194_13 Depth=1
	v_and_b32_sdwa v31, v64, v51 dst_sel:DWORD dst_unused:UNUSED_PAD src0_sel:WORD_0 src1_sel:DWORD
	v_lshrrev_b32_e32 v62, 3, v65
	s_mov_b32 s52, exec_lo
	v_cmpx_gt_u32_e32 8, v65
; %bb.78:                               ;   in Loop: Header=BB194_13 Depth=1
	v_ffbh_u32_e32 v62, v31
	v_min_u32_e32 v62, 32, v62
	v_subrev_nc_u32_e32 v65, 28, v62
	v_sub_nc_u32_e32 v62, 29, v62
	v_lshlrev_b64 v[65:66], v65, v[31:32]
	v_and_b32_e32 v31, 7, v65
; %bb.79:                               ;   in Loop: Header=BB194_13 Depth=1
	s_or_b32 exec_lo, exec_lo, s52
	v_lshlrev_b32_e32 v64, 24, v64
	v_lshlrev_b32_e32 v31, 20, v31
	v_lshl_add_u32 v62, v62, 23, 0x3c000000
	v_and_b32_e32 v64, 0x80000000, v64
	v_or3_b32 v62, v31, v64, v62
.LBB194_80:                             ;   in Loop: Header=BB194_13 Depth=1
	s_or_b32 exec_lo, exec_lo, s51
.LBB194_81:                             ;   in Loop: Header=BB194_13 Depth=1
	s_or_b32 exec_lo, exec_lo, s50
.LBB194_82:                             ;   in Loop: Header=BB194_13 Depth=1
	s_or_b32 exec_lo, exec_lo, s49
	global_load_ubyte v66, v[39:40], off offset:256
	v_mov_b32_e32 v64, 0
	v_mov_b32_e32 v65, 0
	s_mov_b32 s49, exec_lo
	s_waitcnt vmcnt(0)
	v_cmpx_ne_u16_e32 0, v66
	s_cbranch_execz .LBB194_90
; %bb.83:                               ;   in Loop: Header=BB194_13 Depth=1
	v_bfrev_b32_e32 v65, 1
	s_mov_b32 s50, exec_lo
	v_cmpx_ne_u16_e32 0x80, v66
	s_cbranch_execz .LBB194_89
; %bb.84:                               ;   in Loop: Header=BB194_13 Depth=1
	v_and_b32_sdwa v67, v66, v50 dst_sel:DWORD dst_unused:UNUSED_PAD src0_sel:WORD_0 src1_sel:DWORD
	v_mov_b32_e32 v65, 0x7f800001
	s_mov_b32 s51, exec_lo
	v_cmpx_ne_u32_e32 0x7f, v67
	s_cbranch_execz .LBB194_88
; %bb.85:                               ;   in Loop: Header=BB194_13 Depth=1
	v_and_b32_sdwa v31, v66, v51 dst_sel:DWORD dst_unused:UNUSED_PAD src0_sel:WORD_0 src1_sel:DWORD
	v_lshrrev_b32_e32 v65, 3, v67
	s_mov_b32 s52, exec_lo
	v_cmpx_gt_u32_e32 8, v67
; %bb.86:                               ;   in Loop: Header=BB194_13 Depth=1
	v_ffbh_u32_e32 v65, v31
	v_min_u32_e32 v65, 32, v65
	v_subrev_nc_u32_e32 v67, 28, v65
	v_sub_nc_u32_e32 v65, 29, v65
	v_lshlrev_b64 v[67:68], v67, v[31:32]
	v_and_b32_e32 v31, 7, v67
; %bb.87:                               ;   in Loop: Header=BB194_13 Depth=1
	s_or_b32 exec_lo, exec_lo, s52
	v_lshlrev_b32_e32 v66, 24, v66
	v_lshlrev_b32_e32 v31, 20, v31
	v_lshl_add_u32 v65, v65, 23, 0x3c000000
	v_and_b32_e32 v66, 0x80000000, v66
	v_or3_b32 v65, v31, v66, v65
.LBB194_88:                             ;   in Loop: Header=BB194_13 Depth=1
	s_or_b32 exec_lo, exec_lo, s51
.LBB194_89:                             ;   in Loop: Header=BB194_13 Depth=1
	s_or_b32 exec_lo, exec_lo, s50
.LBB194_90:                             ;   in Loop: Header=BB194_13 Depth=1
	s_or_b32 exec_lo, exec_lo, s49
	global_load_ubyte v66, v[39:40], off offset:260
	s_mov_b32 s49, exec_lo
	s_waitcnt vmcnt(0)
	v_cmpx_ne_u16_e32 0, v66
	s_cbranch_execz .LBB194_98
; %bb.91:                               ;   in Loop: Header=BB194_13 Depth=1
	v_bfrev_b32_e32 v64, 1
	s_mov_b32 s50, exec_lo
	v_cmpx_ne_u16_e32 0x80, v66
	s_cbranch_execz .LBB194_97
; %bb.92:                               ;   in Loop: Header=BB194_13 Depth=1
	v_and_b32_sdwa v67, v66, v50 dst_sel:DWORD dst_unused:UNUSED_PAD src0_sel:WORD_0 src1_sel:DWORD
	v_mov_b32_e32 v64, 0x7f800001
	s_mov_b32 s51, exec_lo
	v_cmpx_ne_u32_e32 0x7f, v67
	s_cbranch_execz .LBB194_96
; %bb.93:                               ;   in Loop: Header=BB194_13 Depth=1
	v_and_b32_sdwa v31, v66, v51 dst_sel:DWORD dst_unused:UNUSED_PAD src0_sel:WORD_0 src1_sel:DWORD
	v_lshrrev_b32_e32 v64, 3, v67
	s_mov_b32 s52, exec_lo
	v_cmpx_gt_u32_e32 8, v67
; %bb.94:                               ;   in Loop: Header=BB194_13 Depth=1
	v_ffbh_u32_e32 v64, v31
	v_min_u32_e32 v64, 32, v64
	v_subrev_nc_u32_e32 v67, 28, v64
	v_sub_nc_u32_e32 v64, 29, v64
	v_lshlrev_b64 v[67:68], v67, v[31:32]
	v_and_b32_e32 v31, 7, v67
; %bb.95:                               ;   in Loop: Header=BB194_13 Depth=1
	s_or_b32 exec_lo, exec_lo, s52
	v_lshlrev_b32_e32 v66, 24, v66
	v_lshlrev_b32_e32 v31, 20, v31
	v_lshl_add_u32 v64, v64, 23, 0x3c000000
	v_and_b32_e32 v66, 0x80000000, v66
	v_or3_b32 v64, v31, v66, v64
.LBB194_96:                             ;   in Loop: Header=BB194_13 Depth=1
	s_or_b32 exec_lo, exec_lo, s51
.LBB194_97:                             ;   in Loop: Header=BB194_13 Depth=1
	s_or_b32 exec_lo, exec_lo, s50
.LBB194_98:                             ;   in Loop: Header=BB194_13 Depth=1
	s_or_b32 exec_lo, exec_lo, s49
	global_load_ubyte v68, v[39:40], off offset:264
	v_mov_b32_e32 v66, 0
	v_mov_b32_e32 v67, 0
	s_mov_b32 s49, exec_lo
	s_waitcnt vmcnt(0)
	v_cmpx_ne_u16_e32 0, v68
	s_cbranch_execz .LBB194_106
; %bb.99:                               ;   in Loop: Header=BB194_13 Depth=1
	v_bfrev_b32_e32 v67, 1
	s_mov_b32 s50, exec_lo
	v_cmpx_ne_u16_e32 0x80, v68
	s_cbranch_execz .LBB194_105
; %bb.100:                              ;   in Loop: Header=BB194_13 Depth=1
	v_and_b32_sdwa v69, v68, v50 dst_sel:DWORD dst_unused:UNUSED_PAD src0_sel:WORD_0 src1_sel:DWORD
	v_mov_b32_e32 v67, 0x7f800001
	s_mov_b32 s51, exec_lo
	v_cmpx_ne_u32_e32 0x7f, v69
	s_cbranch_execz .LBB194_104
; %bb.101:                              ;   in Loop: Header=BB194_13 Depth=1
	v_and_b32_sdwa v31, v68, v51 dst_sel:DWORD dst_unused:UNUSED_PAD src0_sel:WORD_0 src1_sel:DWORD
	v_lshrrev_b32_e32 v67, 3, v69
	s_mov_b32 s52, exec_lo
	v_cmpx_gt_u32_e32 8, v69
; %bb.102:                              ;   in Loop: Header=BB194_13 Depth=1
	v_ffbh_u32_e32 v67, v31
	v_min_u32_e32 v67, 32, v67
	v_subrev_nc_u32_e32 v69, 28, v67
	v_sub_nc_u32_e32 v67, 29, v67
	v_lshlrev_b64 v[69:70], v69, v[31:32]
	v_and_b32_e32 v31, 7, v69
; %bb.103:                              ;   in Loop: Header=BB194_13 Depth=1
	s_or_b32 exec_lo, exec_lo, s52
	v_lshlrev_b32_e32 v68, 24, v68
	v_lshlrev_b32_e32 v31, 20, v31
	v_lshl_add_u32 v67, v67, 23, 0x3c000000
	v_and_b32_e32 v68, 0x80000000, v68
	v_or3_b32 v67, v31, v68, v67
.LBB194_104:                            ;   in Loop: Header=BB194_13 Depth=1
	s_or_b32 exec_lo, exec_lo, s51
.LBB194_105:                            ;   in Loop: Header=BB194_13 Depth=1
	s_or_b32 exec_lo, exec_lo, s50
.LBB194_106:                            ;   in Loop: Header=BB194_13 Depth=1
	s_or_b32 exec_lo, exec_lo, s49
	global_load_ubyte v68, v[39:40], off offset:268
	s_mov_b32 s49, exec_lo
	s_waitcnt vmcnt(0)
	v_cmpx_ne_u16_e32 0, v68
	s_cbranch_execz .LBB194_114
; %bb.107:                              ;   in Loop: Header=BB194_13 Depth=1
	v_bfrev_b32_e32 v66, 1
	s_mov_b32 s50, exec_lo
	v_cmpx_ne_u16_e32 0x80, v68
	s_cbranch_execz .LBB194_113
; %bb.108:                              ;   in Loop: Header=BB194_13 Depth=1
	v_and_b32_sdwa v69, v68, v50 dst_sel:DWORD dst_unused:UNUSED_PAD src0_sel:WORD_0 src1_sel:DWORD
	v_mov_b32_e32 v66, 0x7f800001
	s_mov_b32 s51, exec_lo
	v_cmpx_ne_u32_e32 0x7f, v69
	s_cbranch_execz .LBB194_112
; %bb.109:                              ;   in Loop: Header=BB194_13 Depth=1
	v_and_b32_sdwa v31, v68, v51 dst_sel:DWORD dst_unused:UNUSED_PAD src0_sel:WORD_0 src1_sel:DWORD
	v_lshrrev_b32_e32 v66, 3, v69
	s_mov_b32 s52, exec_lo
	v_cmpx_gt_u32_e32 8, v69
; %bb.110:                              ;   in Loop: Header=BB194_13 Depth=1
	v_ffbh_u32_e32 v66, v31
	v_min_u32_e32 v66, 32, v66
	v_subrev_nc_u32_e32 v69, 28, v66
	v_sub_nc_u32_e32 v66, 29, v66
	v_lshlrev_b64 v[69:70], v69, v[31:32]
	v_and_b32_e32 v31, 7, v69
; %bb.111:                              ;   in Loop: Header=BB194_13 Depth=1
	s_or_b32 exec_lo, exec_lo, s52
	v_lshlrev_b32_e32 v68, 24, v68
	v_lshlrev_b32_e32 v31, 20, v31
	v_lshl_add_u32 v66, v66, 23, 0x3c000000
	v_and_b32_e32 v68, 0x80000000, v68
	v_or3_b32 v66, v31, v68, v66
.LBB194_112:                            ;   in Loop: Header=BB194_13 Depth=1
	s_or_b32 exec_lo, exec_lo, s51
.LBB194_113:                            ;   in Loop: Header=BB194_13 Depth=1
	s_or_b32 exec_lo, exec_lo, s50
.LBB194_114:                            ;   in Loop: Header=BB194_13 Depth=1
	s_or_b32 exec_lo, exec_lo, s49
	global_load_ubyte v70, v[39:40], off offset:384
	v_mov_b32_e32 v68, 0
	v_mov_b32_e32 v69, 0
	s_mov_b32 s49, exec_lo
	s_waitcnt vmcnt(0)
	v_cmpx_ne_u16_e32 0, v70
	s_cbranch_execz .LBB194_122
; %bb.115:                              ;   in Loop: Header=BB194_13 Depth=1
	v_bfrev_b32_e32 v69, 1
	s_mov_b32 s50, exec_lo
	v_cmpx_ne_u16_e32 0x80, v70
	s_cbranch_execz .LBB194_121
; %bb.116:                              ;   in Loop: Header=BB194_13 Depth=1
	v_and_b32_sdwa v71, v70, v50 dst_sel:DWORD dst_unused:UNUSED_PAD src0_sel:WORD_0 src1_sel:DWORD
	v_mov_b32_e32 v69, 0x7f800001
	s_mov_b32 s51, exec_lo
	v_cmpx_ne_u32_e32 0x7f, v71
	s_cbranch_execz .LBB194_120
; %bb.117:                              ;   in Loop: Header=BB194_13 Depth=1
	v_and_b32_sdwa v31, v70, v51 dst_sel:DWORD dst_unused:UNUSED_PAD src0_sel:WORD_0 src1_sel:DWORD
	v_lshrrev_b32_e32 v69, 3, v71
	s_mov_b32 s52, exec_lo
	v_cmpx_gt_u32_e32 8, v71
; %bb.118:                              ;   in Loop: Header=BB194_13 Depth=1
	v_ffbh_u32_e32 v69, v31
	v_min_u32_e32 v69, 32, v69
	v_subrev_nc_u32_e32 v71, 28, v69
	v_sub_nc_u32_e32 v69, 29, v69
	v_lshlrev_b64 v[71:72], v71, v[31:32]
	v_and_b32_e32 v31, 7, v71
; %bb.119:                              ;   in Loop: Header=BB194_13 Depth=1
	s_or_b32 exec_lo, exec_lo, s52
	v_lshlrev_b32_e32 v70, 24, v70
	v_lshlrev_b32_e32 v31, 20, v31
	v_lshl_add_u32 v69, v69, 23, 0x3c000000
	v_and_b32_e32 v70, 0x80000000, v70
	v_or3_b32 v69, v31, v70, v69
.LBB194_120:                            ;   in Loop: Header=BB194_13 Depth=1
	s_or_b32 exec_lo, exec_lo, s51
.LBB194_121:                            ;   in Loop: Header=BB194_13 Depth=1
	s_or_b32 exec_lo, exec_lo, s50
.LBB194_122:                            ;   in Loop: Header=BB194_13 Depth=1
	s_or_b32 exec_lo, exec_lo, s49
	global_load_ubyte v70, v[39:40], off offset:388
	s_mov_b32 s49, exec_lo
	s_waitcnt vmcnt(0)
	v_cmpx_ne_u16_e32 0, v70
	s_cbranch_execz .LBB194_130
; %bb.123:                              ;   in Loop: Header=BB194_13 Depth=1
	v_bfrev_b32_e32 v68, 1
	s_mov_b32 s50, exec_lo
	v_cmpx_ne_u16_e32 0x80, v70
	s_cbranch_execz .LBB194_129
; %bb.124:                              ;   in Loop: Header=BB194_13 Depth=1
	v_and_b32_sdwa v71, v70, v50 dst_sel:DWORD dst_unused:UNUSED_PAD src0_sel:WORD_0 src1_sel:DWORD
	v_mov_b32_e32 v68, 0x7f800001
	s_mov_b32 s51, exec_lo
	v_cmpx_ne_u32_e32 0x7f, v71
	s_cbranch_execz .LBB194_128
; %bb.125:                              ;   in Loop: Header=BB194_13 Depth=1
	v_and_b32_sdwa v31, v70, v51 dst_sel:DWORD dst_unused:UNUSED_PAD src0_sel:WORD_0 src1_sel:DWORD
	v_lshrrev_b32_e32 v68, 3, v71
	s_mov_b32 s52, exec_lo
	v_cmpx_gt_u32_e32 8, v71
; %bb.126:                              ;   in Loop: Header=BB194_13 Depth=1
	v_ffbh_u32_e32 v68, v31
	v_min_u32_e32 v68, 32, v68
	v_subrev_nc_u32_e32 v71, 28, v68
	v_sub_nc_u32_e32 v68, 29, v68
	v_lshlrev_b64 v[71:72], v71, v[31:32]
	v_and_b32_e32 v31, 7, v71
; %bb.127:                              ;   in Loop: Header=BB194_13 Depth=1
	s_or_b32 exec_lo, exec_lo, s52
	v_lshlrev_b32_e32 v70, 24, v70
	v_lshlrev_b32_e32 v31, 20, v31
	v_lshl_add_u32 v68, v68, 23, 0x3c000000
	v_and_b32_e32 v70, 0x80000000, v70
	v_or3_b32 v68, v31, v70, v68
.LBB194_128:                            ;   in Loop: Header=BB194_13 Depth=1
	s_or_b32 exec_lo, exec_lo, s51
.LBB194_129:                            ;   in Loop: Header=BB194_13 Depth=1
	s_or_b32 exec_lo, exec_lo, s50
.LBB194_130:                            ;   in Loop: Header=BB194_13 Depth=1
	s_or_b32 exec_lo, exec_lo, s49
	global_load_ubyte v72, v[39:40], off offset:392
	v_mov_b32_e32 v70, 0
	v_mov_b32_e32 v71, 0
	s_mov_b32 s49, exec_lo
	s_waitcnt vmcnt(0)
	v_cmpx_ne_u16_e32 0, v72
	s_cbranch_execz .LBB194_138
; %bb.131:                              ;   in Loop: Header=BB194_13 Depth=1
	v_bfrev_b32_e32 v71, 1
	s_mov_b32 s50, exec_lo
	v_cmpx_ne_u16_e32 0x80, v72
	s_cbranch_execz .LBB194_137
; %bb.132:                              ;   in Loop: Header=BB194_13 Depth=1
	v_and_b32_sdwa v73, v72, v50 dst_sel:DWORD dst_unused:UNUSED_PAD src0_sel:WORD_0 src1_sel:DWORD
	v_mov_b32_e32 v71, 0x7f800001
	s_mov_b32 s51, exec_lo
	v_cmpx_ne_u32_e32 0x7f, v73
	s_cbranch_execz .LBB194_136
; %bb.133:                              ;   in Loop: Header=BB194_13 Depth=1
	v_and_b32_sdwa v31, v72, v51 dst_sel:DWORD dst_unused:UNUSED_PAD src0_sel:WORD_0 src1_sel:DWORD
	v_lshrrev_b32_e32 v71, 3, v73
	s_mov_b32 s52, exec_lo
	v_cmpx_gt_u32_e32 8, v73
; %bb.134:                              ;   in Loop: Header=BB194_13 Depth=1
	v_ffbh_u32_e32 v71, v31
	v_min_u32_e32 v71, 32, v71
	v_subrev_nc_u32_e32 v73, 28, v71
	v_sub_nc_u32_e32 v71, 29, v71
	v_lshlrev_b64 v[73:74], v73, v[31:32]
	v_and_b32_e32 v31, 7, v73
; %bb.135:                              ;   in Loop: Header=BB194_13 Depth=1
	s_or_b32 exec_lo, exec_lo, s52
	v_lshlrev_b32_e32 v72, 24, v72
	v_lshlrev_b32_e32 v31, 20, v31
	v_lshl_add_u32 v71, v71, 23, 0x3c000000
	v_and_b32_e32 v72, 0x80000000, v72
	v_or3_b32 v71, v31, v72, v71
.LBB194_136:                            ;   in Loop: Header=BB194_13 Depth=1
	s_or_b32 exec_lo, exec_lo, s51
.LBB194_137:                            ;   in Loop: Header=BB194_13 Depth=1
	s_or_b32 exec_lo, exec_lo, s50
.LBB194_138:                            ;   in Loop: Header=BB194_13 Depth=1
	s_or_b32 exec_lo, exec_lo, s49
	global_load_ubyte v72, v[39:40], off offset:396
	s_mov_b32 s49, exec_lo
	s_waitcnt vmcnt(0)
	v_cmpx_ne_u16_e32 0, v72
	s_cbranch_execz .LBB194_146
; %bb.139:                              ;   in Loop: Header=BB194_13 Depth=1
	v_bfrev_b32_e32 v70, 1
	s_mov_b32 s50, exec_lo
	v_cmpx_ne_u16_e32 0x80, v72
	s_cbranch_execz .LBB194_145
; %bb.140:                              ;   in Loop: Header=BB194_13 Depth=1
	v_and_b32_sdwa v73, v72, v50 dst_sel:DWORD dst_unused:UNUSED_PAD src0_sel:WORD_0 src1_sel:DWORD
	v_mov_b32_e32 v70, 0x7f800001
	s_mov_b32 s51, exec_lo
	v_cmpx_ne_u32_e32 0x7f, v73
	s_cbranch_execz .LBB194_144
; %bb.141:                              ;   in Loop: Header=BB194_13 Depth=1
	v_and_b32_sdwa v31, v72, v51 dst_sel:DWORD dst_unused:UNUSED_PAD src0_sel:WORD_0 src1_sel:DWORD
	v_lshrrev_b32_e32 v70, 3, v73
	s_mov_b32 s52, exec_lo
	v_cmpx_gt_u32_e32 8, v73
; %bb.142:                              ;   in Loop: Header=BB194_13 Depth=1
	v_ffbh_u32_e32 v70, v31
	v_min_u32_e32 v70, 32, v70
	v_subrev_nc_u32_e32 v73, 28, v70
	v_sub_nc_u32_e32 v70, 29, v70
	v_lshlrev_b64 v[73:74], v73, v[31:32]
	v_and_b32_e32 v31, 7, v73
; %bb.143:                              ;   in Loop: Header=BB194_13 Depth=1
	s_or_b32 exec_lo, exec_lo, s52
	v_lshlrev_b32_e32 v72, 24, v72
	v_lshlrev_b32_e32 v31, 20, v31
	v_lshl_add_u32 v70, v70, 23, 0x3c000000
	v_and_b32_e32 v72, 0x80000000, v72
	v_or3_b32 v70, v31, v72, v70
.LBB194_144:                            ;   in Loop: Header=BB194_13 Depth=1
	s_or_b32 exec_lo, exec_lo, s51
.LBB194_145:                            ;   in Loop: Header=BB194_13 Depth=1
	s_or_b32 exec_lo, exec_lo, s50
.LBB194_146:                            ;   in Loop: Header=BB194_13 Depth=1
	s_or_b32 exec_lo, exec_lo, s49
	global_load_ubyte v74, v[39:40], off offset:512
	v_mov_b32_e32 v72, 0
	v_mov_b32_e32 v73, 0
	s_mov_b32 s49, exec_lo
	s_waitcnt vmcnt(0)
	v_cmpx_ne_u16_e32 0, v74
	s_cbranch_execz .LBB194_154
; %bb.147:                              ;   in Loop: Header=BB194_13 Depth=1
	v_bfrev_b32_e32 v73, 1
	s_mov_b32 s50, exec_lo
	v_cmpx_ne_u16_e32 0x80, v74
	s_cbranch_execz .LBB194_153
; %bb.148:                              ;   in Loop: Header=BB194_13 Depth=1
	v_and_b32_sdwa v75, v74, v50 dst_sel:DWORD dst_unused:UNUSED_PAD src0_sel:WORD_0 src1_sel:DWORD
	v_mov_b32_e32 v73, 0x7f800001
	s_mov_b32 s51, exec_lo
	v_cmpx_ne_u32_e32 0x7f, v75
	s_cbranch_execz .LBB194_152
; %bb.149:                              ;   in Loop: Header=BB194_13 Depth=1
	v_and_b32_sdwa v31, v74, v51 dst_sel:DWORD dst_unused:UNUSED_PAD src0_sel:WORD_0 src1_sel:DWORD
	v_lshrrev_b32_e32 v73, 3, v75
	s_mov_b32 s52, exec_lo
	v_cmpx_gt_u32_e32 8, v75
; %bb.150:                              ;   in Loop: Header=BB194_13 Depth=1
	v_ffbh_u32_e32 v73, v31
	v_min_u32_e32 v73, 32, v73
	v_subrev_nc_u32_e32 v75, 28, v73
	v_sub_nc_u32_e32 v73, 29, v73
	v_lshlrev_b64 v[75:76], v75, v[31:32]
	v_and_b32_e32 v31, 7, v75
; %bb.151:                              ;   in Loop: Header=BB194_13 Depth=1
	s_or_b32 exec_lo, exec_lo, s52
	v_lshlrev_b32_e32 v74, 24, v74
	v_lshlrev_b32_e32 v31, 20, v31
	v_lshl_add_u32 v73, v73, 23, 0x3c000000
	v_and_b32_e32 v74, 0x80000000, v74
	v_or3_b32 v73, v31, v74, v73
.LBB194_152:                            ;   in Loop: Header=BB194_13 Depth=1
	s_or_b32 exec_lo, exec_lo, s51
.LBB194_153:                            ;   in Loop: Header=BB194_13 Depth=1
	s_or_b32 exec_lo, exec_lo, s50
.LBB194_154:                            ;   in Loop: Header=BB194_13 Depth=1
	s_or_b32 exec_lo, exec_lo, s49
	global_load_ubyte v74, v[39:40], off offset:516
	s_mov_b32 s49, exec_lo
	s_waitcnt vmcnt(0)
	v_cmpx_ne_u16_e32 0, v74
	s_cbranch_execz .LBB194_162
; %bb.155:                              ;   in Loop: Header=BB194_13 Depth=1
	v_bfrev_b32_e32 v72, 1
	s_mov_b32 s50, exec_lo
	v_cmpx_ne_u16_e32 0x80, v74
	s_cbranch_execz .LBB194_161
; %bb.156:                              ;   in Loop: Header=BB194_13 Depth=1
	v_and_b32_sdwa v75, v74, v50 dst_sel:DWORD dst_unused:UNUSED_PAD src0_sel:WORD_0 src1_sel:DWORD
	v_mov_b32_e32 v72, 0x7f800001
	s_mov_b32 s51, exec_lo
	v_cmpx_ne_u32_e32 0x7f, v75
	s_cbranch_execz .LBB194_160
; %bb.157:                              ;   in Loop: Header=BB194_13 Depth=1
	v_and_b32_sdwa v31, v74, v51 dst_sel:DWORD dst_unused:UNUSED_PAD src0_sel:WORD_0 src1_sel:DWORD
	v_lshrrev_b32_e32 v72, 3, v75
	s_mov_b32 s52, exec_lo
	v_cmpx_gt_u32_e32 8, v75
; %bb.158:                              ;   in Loop: Header=BB194_13 Depth=1
	v_ffbh_u32_e32 v72, v31
	v_min_u32_e32 v72, 32, v72
	v_subrev_nc_u32_e32 v75, 28, v72
	v_sub_nc_u32_e32 v72, 29, v72
	v_lshlrev_b64 v[75:76], v75, v[31:32]
	v_and_b32_e32 v31, 7, v75
; %bb.159:                              ;   in Loop: Header=BB194_13 Depth=1
	s_or_b32 exec_lo, exec_lo, s52
	v_lshlrev_b32_e32 v74, 24, v74
	v_lshlrev_b32_e32 v31, 20, v31
	v_lshl_add_u32 v72, v72, 23, 0x3c000000
	v_and_b32_e32 v74, 0x80000000, v74
	v_or3_b32 v72, v31, v74, v72
.LBB194_160:                            ;   in Loop: Header=BB194_13 Depth=1
	s_or_b32 exec_lo, exec_lo, s51
.LBB194_161:                            ;   in Loop: Header=BB194_13 Depth=1
	s_or_b32 exec_lo, exec_lo, s50
.LBB194_162:                            ;   in Loop: Header=BB194_13 Depth=1
	s_or_b32 exec_lo, exec_lo, s49
	global_load_ubyte v76, v[39:40], off offset:520
	v_mov_b32_e32 v74, 0
	v_mov_b32_e32 v75, 0
	s_mov_b32 s49, exec_lo
	s_waitcnt vmcnt(0)
	v_cmpx_ne_u16_e32 0, v76
	s_cbranch_execz .LBB194_170
; %bb.163:                              ;   in Loop: Header=BB194_13 Depth=1
	v_bfrev_b32_e32 v75, 1
	s_mov_b32 s50, exec_lo
	v_cmpx_ne_u16_e32 0x80, v76
	s_cbranch_execz .LBB194_169
; %bb.164:                              ;   in Loop: Header=BB194_13 Depth=1
	v_and_b32_sdwa v77, v76, v50 dst_sel:DWORD dst_unused:UNUSED_PAD src0_sel:WORD_0 src1_sel:DWORD
	v_mov_b32_e32 v75, 0x7f800001
	s_mov_b32 s51, exec_lo
	v_cmpx_ne_u32_e32 0x7f, v77
	s_cbranch_execz .LBB194_168
; %bb.165:                              ;   in Loop: Header=BB194_13 Depth=1
	v_and_b32_sdwa v31, v76, v51 dst_sel:DWORD dst_unused:UNUSED_PAD src0_sel:WORD_0 src1_sel:DWORD
	v_lshrrev_b32_e32 v75, 3, v77
	s_mov_b32 s52, exec_lo
	v_cmpx_gt_u32_e32 8, v77
; %bb.166:                              ;   in Loop: Header=BB194_13 Depth=1
	v_ffbh_u32_e32 v75, v31
	v_min_u32_e32 v75, 32, v75
	v_subrev_nc_u32_e32 v77, 28, v75
	v_sub_nc_u32_e32 v75, 29, v75
	v_lshlrev_b64 v[77:78], v77, v[31:32]
	v_and_b32_e32 v31, 7, v77
; %bb.167:                              ;   in Loop: Header=BB194_13 Depth=1
	s_or_b32 exec_lo, exec_lo, s52
	v_lshlrev_b32_e32 v76, 24, v76
	v_lshlrev_b32_e32 v31, 20, v31
	v_lshl_add_u32 v75, v75, 23, 0x3c000000
	v_and_b32_e32 v76, 0x80000000, v76
	v_or3_b32 v75, v31, v76, v75
.LBB194_168:                            ;   in Loop: Header=BB194_13 Depth=1
	s_or_b32 exec_lo, exec_lo, s51
.LBB194_169:                            ;   in Loop: Header=BB194_13 Depth=1
	s_or_b32 exec_lo, exec_lo, s50
.LBB194_170:                            ;   in Loop: Header=BB194_13 Depth=1
	s_or_b32 exec_lo, exec_lo, s49
	global_load_ubyte v76, v[39:40], off offset:524
	s_mov_b32 s49, exec_lo
	s_waitcnt vmcnt(0)
	v_cmpx_ne_u16_e32 0, v76
	s_cbranch_execz .LBB194_178
; %bb.171:                              ;   in Loop: Header=BB194_13 Depth=1
	v_bfrev_b32_e32 v74, 1
	s_mov_b32 s50, exec_lo
	v_cmpx_ne_u16_e32 0x80, v76
	s_cbranch_execz .LBB194_177
; %bb.172:                              ;   in Loop: Header=BB194_13 Depth=1
	v_and_b32_sdwa v77, v76, v50 dst_sel:DWORD dst_unused:UNUSED_PAD src0_sel:WORD_0 src1_sel:DWORD
	v_mov_b32_e32 v74, 0x7f800001
	s_mov_b32 s51, exec_lo
	v_cmpx_ne_u32_e32 0x7f, v77
	s_cbranch_execz .LBB194_176
; %bb.173:                              ;   in Loop: Header=BB194_13 Depth=1
	v_and_b32_sdwa v31, v76, v51 dst_sel:DWORD dst_unused:UNUSED_PAD src0_sel:WORD_0 src1_sel:DWORD
	v_lshrrev_b32_e32 v74, 3, v77
	s_mov_b32 s52, exec_lo
	v_cmpx_gt_u32_e32 8, v77
; %bb.174:                              ;   in Loop: Header=BB194_13 Depth=1
	v_ffbh_u32_e32 v74, v31
	v_min_u32_e32 v74, 32, v74
	v_subrev_nc_u32_e32 v77, 28, v74
	v_sub_nc_u32_e32 v74, 29, v74
	v_lshlrev_b64 v[77:78], v77, v[31:32]
	v_and_b32_e32 v31, 7, v77
; %bb.175:                              ;   in Loop: Header=BB194_13 Depth=1
	s_or_b32 exec_lo, exec_lo, s52
	v_lshlrev_b32_e32 v76, 24, v76
	v_lshlrev_b32_e32 v31, 20, v31
	v_lshl_add_u32 v74, v74, 23, 0x3c000000
	v_and_b32_e32 v76, 0x80000000, v76
	v_or3_b32 v74, v31, v76, v74
.LBB194_176:                            ;   in Loop: Header=BB194_13 Depth=1
	s_or_b32 exec_lo, exec_lo, s51
.LBB194_177:                            ;   in Loop: Header=BB194_13 Depth=1
	s_or_b32 exec_lo, exec_lo, s50
.LBB194_178:                            ;   in Loop: Header=BB194_13 Depth=1
	s_or_b32 exec_lo, exec_lo, s49
	global_load_ubyte v78, v[39:40], off offset:640
	v_mov_b32_e32 v76, 0
	v_mov_b32_e32 v77, 0
	s_mov_b32 s49, exec_lo
	s_waitcnt vmcnt(0)
	v_cmpx_ne_u16_e32 0, v78
	s_cbranch_execz .LBB194_186
; %bb.179:                              ;   in Loop: Header=BB194_13 Depth=1
	v_bfrev_b32_e32 v77, 1
	s_mov_b32 s50, exec_lo
	v_cmpx_ne_u16_e32 0x80, v78
	s_cbranch_execz .LBB194_185
; %bb.180:                              ;   in Loop: Header=BB194_13 Depth=1
	v_and_b32_sdwa v79, v78, v50 dst_sel:DWORD dst_unused:UNUSED_PAD src0_sel:WORD_0 src1_sel:DWORD
	v_mov_b32_e32 v77, 0x7f800001
	s_mov_b32 s51, exec_lo
	v_cmpx_ne_u32_e32 0x7f, v79
	s_cbranch_execz .LBB194_184
; %bb.181:                              ;   in Loop: Header=BB194_13 Depth=1
	v_and_b32_sdwa v31, v78, v51 dst_sel:DWORD dst_unused:UNUSED_PAD src0_sel:WORD_0 src1_sel:DWORD
	v_lshrrev_b32_e32 v77, 3, v79
	s_mov_b32 s52, exec_lo
	v_cmpx_gt_u32_e32 8, v79
; %bb.182:                              ;   in Loop: Header=BB194_13 Depth=1
	v_ffbh_u32_e32 v77, v31
	v_min_u32_e32 v77, 32, v77
	v_subrev_nc_u32_e32 v79, 28, v77
	v_sub_nc_u32_e32 v77, 29, v77
	v_lshlrev_b64 v[79:80], v79, v[31:32]
	v_and_b32_e32 v31, 7, v79
; %bb.183:                              ;   in Loop: Header=BB194_13 Depth=1
	s_or_b32 exec_lo, exec_lo, s52
	v_lshlrev_b32_e32 v78, 24, v78
	v_lshlrev_b32_e32 v31, 20, v31
	v_lshl_add_u32 v77, v77, 23, 0x3c000000
	v_and_b32_e32 v78, 0x80000000, v78
	v_or3_b32 v77, v31, v78, v77
.LBB194_184:                            ;   in Loop: Header=BB194_13 Depth=1
	s_or_b32 exec_lo, exec_lo, s51
.LBB194_185:                            ;   in Loop: Header=BB194_13 Depth=1
	s_or_b32 exec_lo, exec_lo, s50
.LBB194_186:                            ;   in Loop: Header=BB194_13 Depth=1
	s_or_b32 exec_lo, exec_lo, s49
	global_load_ubyte v78, v[39:40], off offset:644
	s_mov_b32 s49, exec_lo
	s_waitcnt vmcnt(0)
	v_cmpx_ne_u16_e32 0, v78
	s_cbranch_execz .LBB194_194
; %bb.187:                              ;   in Loop: Header=BB194_13 Depth=1
	v_bfrev_b32_e32 v76, 1
	s_mov_b32 s50, exec_lo
	v_cmpx_ne_u16_e32 0x80, v78
	s_cbranch_execz .LBB194_193
; %bb.188:                              ;   in Loop: Header=BB194_13 Depth=1
	v_and_b32_sdwa v79, v78, v50 dst_sel:DWORD dst_unused:UNUSED_PAD src0_sel:WORD_0 src1_sel:DWORD
	v_mov_b32_e32 v76, 0x7f800001
	s_mov_b32 s51, exec_lo
	v_cmpx_ne_u32_e32 0x7f, v79
	s_cbranch_execz .LBB194_192
; %bb.189:                              ;   in Loop: Header=BB194_13 Depth=1
	v_and_b32_sdwa v31, v78, v51 dst_sel:DWORD dst_unused:UNUSED_PAD src0_sel:WORD_0 src1_sel:DWORD
	v_lshrrev_b32_e32 v76, 3, v79
	s_mov_b32 s52, exec_lo
	v_cmpx_gt_u32_e32 8, v79
; %bb.190:                              ;   in Loop: Header=BB194_13 Depth=1
	v_ffbh_u32_e32 v76, v31
	v_min_u32_e32 v76, 32, v76
	v_subrev_nc_u32_e32 v79, 28, v76
	v_sub_nc_u32_e32 v76, 29, v76
	v_lshlrev_b64 v[79:80], v79, v[31:32]
	v_and_b32_e32 v31, 7, v79
; %bb.191:                              ;   in Loop: Header=BB194_13 Depth=1
	s_or_b32 exec_lo, exec_lo, s52
	v_lshlrev_b32_e32 v78, 24, v78
	v_lshlrev_b32_e32 v31, 20, v31
	v_lshl_add_u32 v76, v76, 23, 0x3c000000
	v_and_b32_e32 v78, 0x80000000, v78
	v_or3_b32 v76, v31, v78, v76
.LBB194_192:                            ;   in Loop: Header=BB194_13 Depth=1
	s_or_b32 exec_lo, exec_lo, s51
.LBB194_193:                            ;   in Loop: Header=BB194_13 Depth=1
	s_or_b32 exec_lo, exec_lo, s50
.LBB194_194:                            ;   in Loop: Header=BB194_13 Depth=1
	s_or_b32 exec_lo, exec_lo, s49
	global_load_ubyte v80, v[39:40], off offset:648
	v_mov_b32_e32 v78, 0
	v_mov_b32_e32 v79, 0
	s_mov_b32 s49, exec_lo
	s_waitcnt vmcnt(0)
	v_cmpx_ne_u16_e32 0, v80
	s_cbranch_execz .LBB194_202
; %bb.195:                              ;   in Loop: Header=BB194_13 Depth=1
	v_bfrev_b32_e32 v79, 1
	s_mov_b32 s50, exec_lo
	v_cmpx_ne_u16_e32 0x80, v80
	s_cbranch_execz .LBB194_201
; %bb.196:                              ;   in Loop: Header=BB194_13 Depth=1
	v_and_b32_sdwa v81, v80, v50 dst_sel:DWORD dst_unused:UNUSED_PAD src0_sel:WORD_0 src1_sel:DWORD
	v_mov_b32_e32 v79, 0x7f800001
	s_mov_b32 s51, exec_lo
	v_cmpx_ne_u32_e32 0x7f, v81
	s_cbranch_execz .LBB194_200
; %bb.197:                              ;   in Loop: Header=BB194_13 Depth=1
	v_and_b32_sdwa v31, v80, v51 dst_sel:DWORD dst_unused:UNUSED_PAD src0_sel:WORD_0 src1_sel:DWORD
	v_lshrrev_b32_e32 v79, 3, v81
	s_mov_b32 s52, exec_lo
	v_cmpx_gt_u32_e32 8, v81
; %bb.198:                              ;   in Loop: Header=BB194_13 Depth=1
	v_ffbh_u32_e32 v79, v31
	v_min_u32_e32 v79, 32, v79
	v_subrev_nc_u32_e32 v81, 28, v79
	v_sub_nc_u32_e32 v79, 29, v79
	v_lshlrev_b64 v[81:82], v81, v[31:32]
	v_and_b32_e32 v31, 7, v81
; %bb.199:                              ;   in Loop: Header=BB194_13 Depth=1
	s_or_b32 exec_lo, exec_lo, s52
	v_lshlrev_b32_e32 v80, 24, v80
	v_lshlrev_b32_e32 v31, 20, v31
	v_lshl_add_u32 v79, v79, 23, 0x3c000000
	v_and_b32_e32 v80, 0x80000000, v80
	v_or3_b32 v79, v31, v80, v79
.LBB194_200:                            ;   in Loop: Header=BB194_13 Depth=1
	s_or_b32 exec_lo, exec_lo, s51
.LBB194_201:                            ;   in Loop: Header=BB194_13 Depth=1
	s_or_b32 exec_lo, exec_lo, s50
.LBB194_202:                            ;   in Loop: Header=BB194_13 Depth=1
	s_or_b32 exec_lo, exec_lo, s49
	global_load_ubyte v80, v[39:40], off offset:652
	s_mov_b32 s49, exec_lo
	s_waitcnt vmcnt(0)
	v_cmpx_ne_u16_e32 0, v80
	s_cbranch_execz .LBB194_210
; %bb.203:                              ;   in Loop: Header=BB194_13 Depth=1
	v_bfrev_b32_e32 v78, 1
	s_mov_b32 s50, exec_lo
	v_cmpx_ne_u16_e32 0x80, v80
	s_cbranch_execz .LBB194_209
; %bb.204:                              ;   in Loop: Header=BB194_13 Depth=1
	v_and_b32_sdwa v81, v80, v50 dst_sel:DWORD dst_unused:UNUSED_PAD src0_sel:WORD_0 src1_sel:DWORD
	v_mov_b32_e32 v78, 0x7f800001
	s_mov_b32 s51, exec_lo
	v_cmpx_ne_u32_e32 0x7f, v81
	s_cbranch_execz .LBB194_208
; %bb.205:                              ;   in Loop: Header=BB194_13 Depth=1
	v_and_b32_sdwa v31, v80, v51 dst_sel:DWORD dst_unused:UNUSED_PAD src0_sel:WORD_0 src1_sel:DWORD
	v_lshrrev_b32_e32 v78, 3, v81
	s_mov_b32 s52, exec_lo
	v_cmpx_gt_u32_e32 8, v81
; %bb.206:                              ;   in Loop: Header=BB194_13 Depth=1
	v_ffbh_u32_e32 v78, v31
	v_min_u32_e32 v78, 32, v78
	v_subrev_nc_u32_e32 v81, 28, v78
	v_sub_nc_u32_e32 v78, 29, v78
	v_lshlrev_b64 v[81:82], v81, v[31:32]
	v_and_b32_e32 v31, 7, v81
; %bb.207:                              ;   in Loop: Header=BB194_13 Depth=1
	s_or_b32 exec_lo, exec_lo, s52
	v_lshlrev_b32_e32 v80, 24, v80
	v_lshlrev_b32_e32 v31, 20, v31
	v_lshl_add_u32 v78, v78, 23, 0x3c000000
	v_and_b32_e32 v80, 0x80000000, v80
	v_or3_b32 v78, v31, v80, v78
.LBB194_208:                            ;   in Loop: Header=BB194_13 Depth=1
	s_or_b32 exec_lo, exec_lo, s51
.LBB194_209:                            ;   in Loop: Header=BB194_13 Depth=1
	s_or_b32 exec_lo, exec_lo, s50
.LBB194_210:                            ;   in Loop: Header=BB194_13 Depth=1
	s_or_b32 exec_lo, exec_lo, s49
	global_load_ubyte v82, v[39:40], off offset:768
	v_mov_b32_e32 v80, 0
	v_mov_b32_e32 v81, 0
	s_mov_b32 s49, exec_lo
	s_waitcnt vmcnt(0)
	v_cmpx_ne_u16_e32 0, v82
	s_cbranch_execz .LBB194_218
; %bb.211:                              ;   in Loop: Header=BB194_13 Depth=1
	v_bfrev_b32_e32 v81, 1
	s_mov_b32 s50, exec_lo
	v_cmpx_ne_u16_e32 0x80, v82
	s_cbranch_execz .LBB194_217
; %bb.212:                              ;   in Loop: Header=BB194_13 Depth=1
	v_and_b32_sdwa v83, v82, v50 dst_sel:DWORD dst_unused:UNUSED_PAD src0_sel:WORD_0 src1_sel:DWORD
	v_mov_b32_e32 v81, 0x7f800001
	s_mov_b32 s51, exec_lo
	v_cmpx_ne_u32_e32 0x7f, v83
	s_cbranch_execz .LBB194_216
; %bb.213:                              ;   in Loop: Header=BB194_13 Depth=1
	v_and_b32_sdwa v31, v82, v51 dst_sel:DWORD dst_unused:UNUSED_PAD src0_sel:WORD_0 src1_sel:DWORD
	v_lshrrev_b32_e32 v81, 3, v83
	s_mov_b32 s52, exec_lo
	v_cmpx_gt_u32_e32 8, v83
; %bb.214:                              ;   in Loop: Header=BB194_13 Depth=1
	v_ffbh_u32_e32 v81, v31
	v_min_u32_e32 v81, 32, v81
	v_subrev_nc_u32_e32 v83, 28, v81
	v_sub_nc_u32_e32 v81, 29, v81
	v_lshlrev_b64 v[83:84], v83, v[31:32]
	v_and_b32_e32 v31, 7, v83
; %bb.215:                              ;   in Loop: Header=BB194_13 Depth=1
	s_or_b32 exec_lo, exec_lo, s52
	v_lshlrev_b32_e32 v82, 24, v82
	v_lshlrev_b32_e32 v31, 20, v31
	v_lshl_add_u32 v81, v81, 23, 0x3c000000
	v_and_b32_e32 v82, 0x80000000, v82
	v_or3_b32 v81, v31, v82, v81
.LBB194_216:                            ;   in Loop: Header=BB194_13 Depth=1
	s_or_b32 exec_lo, exec_lo, s51
.LBB194_217:                            ;   in Loop: Header=BB194_13 Depth=1
	s_or_b32 exec_lo, exec_lo, s50
.LBB194_218:                            ;   in Loop: Header=BB194_13 Depth=1
	s_or_b32 exec_lo, exec_lo, s49
	global_load_ubyte v82, v[39:40], off offset:772
	s_mov_b32 s49, exec_lo
	s_waitcnt vmcnt(0)
	v_cmpx_ne_u16_e32 0, v82
	s_cbranch_execz .LBB194_226
; %bb.219:                              ;   in Loop: Header=BB194_13 Depth=1
	v_bfrev_b32_e32 v80, 1
	s_mov_b32 s50, exec_lo
	v_cmpx_ne_u16_e32 0x80, v82
	s_cbranch_execz .LBB194_225
; %bb.220:                              ;   in Loop: Header=BB194_13 Depth=1
	v_and_b32_sdwa v83, v82, v50 dst_sel:DWORD dst_unused:UNUSED_PAD src0_sel:WORD_0 src1_sel:DWORD
	v_mov_b32_e32 v80, 0x7f800001
	s_mov_b32 s51, exec_lo
	v_cmpx_ne_u32_e32 0x7f, v83
	s_cbranch_execz .LBB194_224
; %bb.221:                              ;   in Loop: Header=BB194_13 Depth=1
	v_and_b32_sdwa v31, v82, v51 dst_sel:DWORD dst_unused:UNUSED_PAD src0_sel:WORD_0 src1_sel:DWORD
	v_lshrrev_b32_e32 v80, 3, v83
	s_mov_b32 s52, exec_lo
	v_cmpx_gt_u32_e32 8, v83
; %bb.222:                              ;   in Loop: Header=BB194_13 Depth=1
	v_ffbh_u32_e32 v80, v31
	v_min_u32_e32 v80, 32, v80
	v_subrev_nc_u32_e32 v83, 28, v80
	v_sub_nc_u32_e32 v80, 29, v80
	v_lshlrev_b64 v[83:84], v83, v[31:32]
	v_and_b32_e32 v31, 7, v83
; %bb.223:                              ;   in Loop: Header=BB194_13 Depth=1
	s_or_b32 exec_lo, exec_lo, s52
	v_lshlrev_b32_e32 v82, 24, v82
	v_lshlrev_b32_e32 v31, 20, v31
	v_lshl_add_u32 v80, v80, 23, 0x3c000000
	v_and_b32_e32 v82, 0x80000000, v82
	v_or3_b32 v80, v31, v82, v80
.LBB194_224:                            ;   in Loop: Header=BB194_13 Depth=1
	s_or_b32 exec_lo, exec_lo, s51
.LBB194_225:                            ;   in Loop: Header=BB194_13 Depth=1
	s_or_b32 exec_lo, exec_lo, s50
.LBB194_226:                            ;   in Loop: Header=BB194_13 Depth=1
	s_or_b32 exec_lo, exec_lo, s49
	global_load_ubyte v84, v[39:40], off offset:776
	v_mov_b32_e32 v82, 0
	v_mov_b32_e32 v83, 0
	s_mov_b32 s49, exec_lo
	s_waitcnt vmcnt(0)
	v_cmpx_ne_u16_e32 0, v84
	s_cbranch_execz .LBB194_234
; %bb.227:                              ;   in Loop: Header=BB194_13 Depth=1
	v_bfrev_b32_e32 v83, 1
	s_mov_b32 s50, exec_lo
	v_cmpx_ne_u16_e32 0x80, v84
	s_cbranch_execz .LBB194_233
; %bb.228:                              ;   in Loop: Header=BB194_13 Depth=1
	v_and_b32_sdwa v85, v84, v50 dst_sel:DWORD dst_unused:UNUSED_PAD src0_sel:WORD_0 src1_sel:DWORD
	v_mov_b32_e32 v83, 0x7f800001
	s_mov_b32 s51, exec_lo
	v_cmpx_ne_u32_e32 0x7f, v85
	s_cbranch_execz .LBB194_232
; %bb.229:                              ;   in Loop: Header=BB194_13 Depth=1
	v_and_b32_sdwa v31, v84, v51 dst_sel:DWORD dst_unused:UNUSED_PAD src0_sel:WORD_0 src1_sel:DWORD
	v_lshrrev_b32_e32 v83, 3, v85
	s_mov_b32 s52, exec_lo
	v_cmpx_gt_u32_e32 8, v85
; %bb.230:                              ;   in Loop: Header=BB194_13 Depth=1
	v_ffbh_u32_e32 v83, v31
	v_min_u32_e32 v83, 32, v83
	v_subrev_nc_u32_e32 v85, 28, v83
	v_sub_nc_u32_e32 v83, 29, v83
	v_lshlrev_b64 v[85:86], v85, v[31:32]
	v_and_b32_e32 v31, 7, v85
; %bb.231:                              ;   in Loop: Header=BB194_13 Depth=1
	s_or_b32 exec_lo, exec_lo, s52
	v_lshlrev_b32_e32 v84, 24, v84
	v_lshlrev_b32_e32 v31, 20, v31
	v_lshl_add_u32 v83, v83, 23, 0x3c000000
	v_and_b32_e32 v84, 0x80000000, v84
	v_or3_b32 v83, v31, v84, v83
.LBB194_232:                            ;   in Loop: Header=BB194_13 Depth=1
	s_or_b32 exec_lo, exec_lo, s51
.LBB194_233:                            ;   in Loop: Header=BB194_13 Depth=1
	s_or_b32 exec_lo, exec_lo, s50
.LBB194_234:                            ;   in Loop: Header=BB194_13 Depth=1
	s_or_b32 exec_lo, exec_lo, s49
	global_load_ubyte v84, v[39:40], off offset:780
	s_mov_b32 s49, exec_lo
	s_waitcnt vmcnt(0)
	v_cmpx_ne_u16_e32 0, v84
	s_cbranch_execz .LBB194_242
; %bb.235:                              ;   in Loop: Header=BB194_13 Depth=1
	v_bfrev_b32_e32 v82, 1
	s_mov_b32 s50, exec_lo
	v_cmpx_ne_u16_e32 0x80, v84
	s_cbranch_execz .LBB194_241
; %bb.236:                              ;   in Loop: Header=BB194_13 Depth=1
	v_and_b32_sdwa v85, v84, v50 dst_sel:DWORD dst_unused:UNUSED_PAD src0_sel:WORD_0 src1_sel:DWORD
	v_mov_b32_e32 v82, 0x7f800001
	s_mov_b32 s51, exec_lo
	v_cmpx_ne_u32_e32 0x7f, v85
	s_cbranch_execz .LBB194_240
; %bb.237:                              ;   in Loop: Header=BB194_13 Depth=1
	v_and_b32_sdwa v31, v84, v51 dst_sel:DWORD dst_unused:UNUSED_PAD src0_sel:WORD_0 src1_sel:DWORD
	v_lshrrev_b32_e32 v82, 3, v85
	s_mov_b32 s52, exec_lo
	v_cmpx_gt_u32_e32 8, v85
; %bb.238:                              ;   in Loop: Header=BB194_13 Depth=1
	v_ffbh_u32_e32 v82, v31
	v_min_u32_e32 v82, 32, v82
	v_subrev_nc_u32_e32 v85, 28, v82
	v_sub_nc_u32_e32 v82, 29, v82
	v_lshlrev_b64 v[85:86], v85, v[31:32]
	v_and_b32_e32 v31, 7, v85
; %bb.239:                              ;   in Loop: Header=BB194_13 Depth=1
	s_or_b32 exec_lo, exec_lo, s52
	v_lshlrev_b32_e32 v84, 24, v84
	v_lshlrev_b32_e32 v31, 20, v31
	v_lshl_add_u32 v82, v82, 23, 0x3c000000
	v_and_b32_e32 v84, 0x80000000, v84
	v_or3_b32 v82, v31, v84, v82
.LBB194_240:                            ;   in Loop: Header=BB194_13 Depth=1
	s_or_b32 exec_lo, exec_lo, s51
.LBB194_241:                            ;   in Loop: Header=BB194_13 Depth=1
	s_or_b32 exec_lo, exec_lo, s50
.LBB194_242:                            ;   in Loop: Header=BB194_13 Depth=1
	s_or_b32 exec_lo, exec_lo, s49
	global_load_ubyte v86, v[39:40], off offset:896
	v_mov_b32_e32 v84, 0
	v_mov_b32_e32 v85, 0
	s_mov_b32 s49, exec_lo
	s_waitcnt vmcnt(0)
	v_cmpx_ne_u16_e32 0, v86
	s_cbranch_execz .LBB194_250
; %bb.243:                              ;   in Loop: Header=BB194_13 Depth=1
	v_bfrev_b32_e32 v85, 1
	s_mov_b32 s50, exec_lo
	v_cmpx_ne_u16_e32 0x80, v86
	s_cbranch_execz .LBB194_249
; %bb.244:                              ;   in Loop: Header=BB194_13 Depth=1
	v_and_b32_sdwa v87, v86, v50 dst_sel:DWORD dst_unused:UNUSED_PAD src0_sel:WORD_0 src1_sel:DWORD
	v_mov_b32_e32 v85, 0x7f800001
	s_mov_b32 s51, exec_lo
	v_cmpx_ne_u32_e32 0x7f, v87
	s_cbranch_execz .LBB194_248
; %bb.245:                              ;   in Loop: Header=BB194_13 Depth=1
	v_and_b32_sdwa v31, v86, v51 dst_sel:DWORD dst_unused:UNUSED_PAD src0_sel:WORD_0 src1_sel:DWORD
	v_lshrrev_b32_e32 v85, 3, v87
	s_mov_b32 s52, exec_lo
	v_cmpx_gt_u32_e32 8, v87
; %bb.246:                              ;   in Loop: Header=BB194_13 Depth=1
	v_ffbh_u32_e32 v85, v31
	v_min_u32_e32 v85, 32, v85
	v_subrev_nc_u32_e32 v87, 28, v85
	v_sub_nc_u32_e32 v85, 29, v85
	v_lshlrev_b64 v[87:88], v87, v[31:32]
	v_and_b32_e32 v31, 7, v87
; %bb.247:                              ;   in Loop: Header=BB194_13 Depth=1
	s_or_b32 exec_lo, exec_lo, s52
	v_lshlrev_b32_e32 v86, 24, v86
	v_lshlrev_b32_e32 v31, 20, v31
	v_lshl_add_u32 v85, v85, 23, 0x3c000000
	v_and_b32_e32 v86, 0x80000000, v86
	v_or3_b32 v85, v31, v86, v85
.LBB194_248:                            ;   in Loop: Header=BB194_13 Depth=1
	s_or_b32 exec_lo, exec_lo, s51
.LBB194_249:                            ;   in Loop: Header=BB194_13 Depth=1
	s_or_b32 exec_lo, exec_lo, s50
.LBB194_250:                            ;   in Loop: Header=BB194_13 Depth=1
	s_or_b32 exec_lo, exec_lo, s49
	global_load_ubyte v39, v[39:40], off offset:900
	s_mov_b32 s49, exec_lo
	s_waitcnt vmcnt(0)
	v_cmpx_ne_u16_e32 0, v39
	s_cbranch_execz .LBB194_258
; %bb.251:                              ;   in Loop: Header=BB194_13 Depth=1
	v_bfrev_b32_e32 v84, 1
	s_mov_b32 s50, exec_lo
	v_cmpx_ne_u16_e32 0x80, v39
	s_cbranch_execz .LBB194_257
; %bb.252:                              ;   in Loop: Header=BB194_13 Depth=1
	v_and_b32_sdwa v86, v39, v50 dst_sel:DWORD dst_unused:UNUSED_PAD src0_sel:WORD_0 src1_sel:DWORD
	v_mov_b32_e32 v84, 0x7f800001
	s_mov_b32 s51, exec_lo
	v_cmpx_ne_u32_e32 0x7f, v86
	s_cbranch_execz .LBB194_256
; %bb.253:                              ;   in Loop: Header=BB194_13 Depth=1
	v_and_b32_sdwa v31, v39, v51 dst_sel:DWORD dst_unused:UNUSED_PAD src0_sel:WORD_0 src1_sel:DWORD
	v_lshrrev_b32_e32 v40, 3, v86
	s_mov_b32 s52, exec_lo
	v_cmpx_gt_u32_e32 8, v86
; %bb.254:                              ;   in Loop: Header=BB194_13 Depth=1
	v_ffbh_u32_e32 v40, v31
	v_min_u32_e32 v40, 32, v40
	v_subrev_nc_u32_e32 v84, 28, v40
	v_sub_nc_u32_e32 v40, 29, v40
	v_lshlrev_b64 v[86:87], v84, v[31:32]
	v_and_b32_e32 v31, 7, v86
; %bb.255:                              ;   in Loop: Header=BB194_13 Depth=1
	s_or_b32 exec_lo, exec_lo, s52
	v_lshlrev_b32_e32 v39, 24, v39
	v_lshlrev_b32_e32 v31, 20, v31
	v_lshl_add_u32 v40, v40, 23, 0x3c000000
	v_and_b32_e32 v39, 0x80000000, v39
	v_or3_b32 v84, v31, v39, v40
.LBB194_256:                            ;   in Loop: Header=BB194_13 Depth=1
	s_or_b32 exec_lo, exec_lo, s51
.LBB194_257:                            ;   in Loop: Header=BB194_13 Depth=1
	s_or_b32 exec_lo, exec_lo, s50
.LBB194_258:                            ;   in Loop: Header=BB194_13 Depth=1
	s_or_b32 exec_lo, exec_lo, s49
	s_waitcnt lgkmcnt(0)
	v_mul_f32_e32 v31, s48, v56
	v_mul_f32_e32 v39, s48, v57
	v_mul_f32_e32 v26, v26, v31
	v_mul_f32_e32 v31, s48, v59
	v_fmac_f32_e32 v26, v25, v39
	v_mul_f32_e32 v25, s48, v58
	v_fmac_f32_e32 v26, v27, v31
	v_mul_f32_e32 v27, s48, v61
	;; [unrolled: 2-line block ×25, first 2 shown]
	v_fmac_f32_e32 v26, v3, v1
	v_xor_b32_e32 v1, 2, v44
	v_mul_f32_e32 v3, s48, v85
	v_fmac_f32_e32 v26, v4, v2
	v_cmp_gt_i32_e64 s2, 32, v1
	v_mul_f32_e32 v2, s48, v84
	v_fmac_f32_e32 v26, v37, v3
	v_cndmask_b32_e64 v1, v44, v1, s2
	v_fmac_f32_e32 v26, v38, v2
	v_lshlrev_b32_e32 v1, 2, v1
	v_xor_b32_e32 v2, 1, v44
	ds_bpermute_b32 v1, v1, v26
	v_cmp_gt_i32_e64 s2, 32, v2
	v_cndmask_b32_e64 v2, v44, v2, s2
	v_lshlrev_b32_e32 v2, 2, v2
	s_waitcnt lgkmcnt(0)
	v_add_f32_e32 v1, v26, v1
	ds_bpermute_b32 v2, v2, v1
	s_and_saveexec_b32 s48, vcc_lo
	s_cbranch_execz .LBB194_11
; %bb.259:                              ;   in Loop: Header=BB194_13 Depth=1
	v_add_nc_u32_e32 v3, v52, v48
	s_waitcnt lgkmcnt(0)
	v_add_f32_e32 v1, v1, v2
	v_cvt_f32_i32_e32 v3, v3
	v_mul_f32_e32 v3, s43, v3
	v_cndmask_b32_e64 v2, 0, v3, s1
	v_max_f32_e32 v3, v45, v45
	v_fmac_f32_e32 v2, s41, v1
	v_add_nc_u32_e32 v1, v46, v48
	v_max_f32_e32 v3, v3, v2
	v_cmp_gt_i32_e64 s2, s31, v1
	v_cndmask_b32_e64 v1, 0, v2, s2
	v_cndmask_b32_e64 v45, v45, v3, s2
	ds_write_b32 v53, v1
	s_branch .LBB194_11
.LBB194_260:
	s_or_b32 exec_lo, exec_lo, s46
.LBB194_261:
	s_or_b32 exec_lo, exec_lo, s45
	v_xor_b32_e32 v1, 16, v44
	s_waitcnt lgkmcnt(0)
	v_xor_b32_e32 v2, 8, v44
	v_max_f32_e32 v4, v45, v45
	v_lshlrev_b32_e32 v6, 2, v41
	v_cmp_gt_i32_e32 vcc_lo, 32, v1
	v_cndmask_b32_e32 v1, v44, v1, vcc_lo
	v_cmp_gt_i32_e32 vcc_lo, 32, v2
	v_lshlrev_b32_e32 v3, 2, v1
	v_cndmask_b32_e32 v2, v44, v2, vcc_lo
	ds_bpermute_b32 v1, v3, v45
	v_lshlrev_b32_e32 v5, 2, v2
	s_waitcnt lgkmcnt(0)
	v_max_f32_e32 v1, v1, v1
	v_max_f32_e32 v1, v4, v1
	v_xor_b32_e32 v4, 4, v44
	ds_bpermute_b32 v2, v5, v1
	v_cmp_gt_i32_e32 vcc_lo, 32, v4
	v_cndmask_b32_e32 v4, v44, v4, vcc_lo
	v_lshlrev_b32_e32 v8, 2, v4
	s_waitcnt lgkmcnt(0)
	v_max_f32_e32 v2, v2, v2
	v_max_f32_e32 v2, v1, v2
	v_and_b32_e32 v1, 31, v0
	ds_bpermute_b32 v4, v8, v2
	v_cmp_eq_u32_e32 vcc_lo, 0, v1
	s_and_saveexec_b32 s1, vcc_lo
	s_cbranch_execz .LBB194_263
; %bb.262:
	s_waitcnt lgkmcnt(0)
	v_max_f32_e32 v4, v4, v4
	v_max_f32_e32 v2, v2, v2
	;; [unrolled: 1-line block ×3, first 2 shown]
	ds_write_b32 v6, v2 offset:480
.LBB194_263:
	s_or_b32 exec_lo, exec_lo, s1
	v_cmp_gt_u32_e64 s1, 4, v1
	v_mov_b32_e32 v2, 0xff7fffff
	v_lshlrev_b32_e32 v7, 2, v1
	s_waitcnt lgkmcnt(0)
	s_barrier
	buffer_gl0_inv
	s_and_saveexec_b32 s2, s1
; %bb.264:
	ds_read_b32 v2, v7 offset:480
; %bb.265:
	s_or_b32 exec_lo, exec_lo, s2
	v_xor_b32_e32 v4, 2, v44
	v_xor_b32_e32 v10, 1, v44
	v_cmp_gt_i32_e64 s2, 32, v4
	v_cndmask_b32_e64 v4, v44, v4, s2
	v_cmp_gt_i32_e64 s2, 32, v10
	v_lshlrev_b32_e32 v9, 2, v4
	v_cndmask_b32_e64 v10, v44, v10, s2
	s_sub_i32 s2, s20, s44
	s_lshl_b32 s2, s2, 3
	s_waitcnt lgkmcnt(0)
	ds_bpermute_b32 v4, v9, v2
	v_max_f32_e32 v2, v2, v2
	v_lshlrev_b32_e32 v26, 2, v10
	v_mov_b32_e32 v10, 0
	s_add_i32 s2, s2, s42
	s_min_i32 s2, s2, s31
	s_sub_i32 s4, s2, s42
	v_cmp_gt_i32_e64 s2, s4, v0
	s_waitcnt lgkmcnt(0)
	v_max_f32_e32 v4, v4, v4
	v_max_f32_e32 v2, v2, v4
	ds_bpermute_b32 v4, v26, v2
	s_waitcnt lgkmcnt(0)
	v_max_f32_e32 v4, v4, v4
	v_max_f32_e32 v2, v2, v4
	v_lshl_add_u32 v4, v0, 2, 0x200
	ds_bpermute_b32 v2, v10, v2
	s_and_saveexec_b32 s5, s2
	s_cbranch_execz .LBB194_269
; %bb.266:
	v_lshl_add_u32 v11, v0, 2, 0x200
	v_mov_b32_e32 v10, 0
	v_mov_b32_e32 v12, v0
	s_mov_b32 s12, 0
	.p2align	6
.LBB194_267:                            ; =>This Inner Loop Header: Depth=1
	ds_read_b32 v13, v11
	v_add_nc_u32_e32 v12, 0x80, v12
	v_cmp_le_i32_e64 s3, s4, v12
	s_or_b32 s12, s3, s12
	s_waitcnt lgkmcnt(0)
	v_sub_f32_e32 v13, v13, v2
	v_mul_f32_e32 v13, 0x3fb8aa3b, v13
	v_exp_f32_e32 v13, v13
	ds_write_b32 v11, v13
	v_add_f32_e32 v10, v10, v13
	v_add_nc_u32_e32 v11, 0x200, v11
	s_andn2_b32 exec_lo, exec_lo, s12
	s_cbranch_execnz .LBB194_267
; %bb.268:
	s_or_b32 exec_lo, exec_lo, s12
.LBB194_269:
	s_or_b32 exec_lo, exec_lo, s5
	ds_bpermute_b32 v3, v3, v10
	s_waitcnt lgkmcnt(0)
	v_add_f32_e32 v3, v10, v3
	ds_bpermute_b32 v5, v5, v3
	s_waitcnt lgkmcnt(0)
	v_add_f32_e32 v3, v3, v5
	;; [unrolled: 3-line block ×5, first 2 shown]
	s_and_saveexec_b32 s3, vcc_lo
; %bb.270:
	ds_write_b32 v6, v3 offset:496
; %bb.271:
	s_or_b32 exec_lo, exec_lo, s3
	s_waitcnt lgkmcnt(0)
	s_barrier
	buffer_gl0_inv
	s_and_saveexec_b32 s3, s1
; %bb.272:
	ds_read_b32 v3, v7 offset:496
; %bb.273:
	s_or_b32 exec_lo, exec_lo, s3
	s_waitcnt lgkmcnt(0)
	ds_bpermute_b32 v5, v9, v3
	s_waitcnt lgkmcnt(0)
	v_add_f32_e32 v3, v3, v5
	ds_bpermute_b32 v5, v26, v3
	s_waitcnt lgkmcnt(0)
	v_add_f32_e32 v3, v3, v5
	v_mov_b32_e32 v5, 0
	ds_bpermute_b32 v3, v5, v3
	s_and_saveexec_b32 s1, s2
	s_cbranch_execz .LBB194_276
; %bb.274:
	s_waitcnt lgkmcnt(0)
	v_add_f32_e32 v5, 0x358637bd, v3
	s_mov_b32 s2, 0
	v_div_scale_f32 v6, null, v5, v5, 1.0
	v_div_scale_f32 v9, vcc_lo, 1.0, v5, 1.0
	v_rcp_f32_e32 v7, v6
	v_fma_f32 v8, -v6, v7, 1.0
	v_fmac_f32_e32 v7, v8, v7
	v_mul_f32_e32 v8, v9, v7
	v_fma_f32 v10, -v6, v8, v9
	v_fmac_f32_e32 v8, v10, v7
	v_fma_f32 v6, -v6, v8, v9
	v_div_fmas_f32 v6, v6, v7, v8
	v_div_fixup_f32 v5, v6, v5, 1.0
	v_mov_b32_e32 v6, v0
.LBB194_275:                            ; =>This Inner Loop Header: Depth=1
	ds_read_b32 v7, v4
	v_add_nc_u32_e32 v6, 0x80, v6
	v_cmp_le_i32_e32 vcc_lo, s4, v6
	s_or_b32 s2, vcc_lo, s2
	s_waitcnt lgkmcnt(0)
	v_mul_f32_e32 v7, v5, v7
	ds_write_b32 v4, v7
	v_add_nc_u32_e32 v4, 0x200, v4
	s_andn2_b32 exec_lo, exec_lo, s2
	s_cbranch_execnz .LBB194_275
.LBB194_276:
	s_or_b32 exec_lo, exec_lo, s1
	s_mul_i32 s1, s7, s30
	s_waitcnt lgkmcnt(0)
	s_mul_i32 s2, s1, s9
	s_mov_b32 s1, exec_lo
	s_barrier
	buffer_gl0_inv
	v_cmpx_eq_u32_e32 0, v0
	s_cbranch_execz .LBB194_278
; %bb.277:
	s_ashr_i32 s3, s2, 31
	s_mul_i32 s12, s7, s6
	s_lshl_b64 s[4:5], s[2:3], 2
	v_mov_b32_e32 v4, 0
	s_add_u32 s3, s26, s4
	s_addc_u32 s6, s27, s5
	s_ashr_i32 s13, s12, 31
	s_lshl_b64 s[12:13], s[12:13], 2
	s_add_u32 s3, s3, s12
	s_addc_u32 s6, s6, s13
	s_ashr_i32 s9, s8, 31
	s_lshl_b64 s[26:27], s[8:9], 2
	s_add_u32 s42, s3, s26
	s_addc_u32 s43, s6, s27
	s_add_u32 s3, s24, s4
	s_addc_u32 s4, s25, s5
	;; [unrolled: 2-line block ×4, first 2 shown]
	global_store_dword v4, v2, s[42:43]
	global_store_dword v4, v3, s[4:5]
.LBB194_278:
	s_or_b32 exec_lo, exec_lo, s1
	v_lshrrev_b32_e32 v25, 1, v1
	s_and_saveexec_b32 s1, s0
	s_xor_b32 s0, exec_lo, s1
; %bb.279:
	v_lshrrev_b32_e32 v25, 1, v1
                                        ; implicit-def: $vgpr42
                                        ; implicit-def: $vgpr29
                                        ; implicit-def: $vgpr43
; %bb.280:
	s_or_saveexec_b32 s3, s0
	v_mov_b32_e32 v37, 0
	v_and_b32_e32 v27, 1, v0
	v_mov_b32_e32 v36, 0
	v_mov_b32_e32 v35, 0
	;; [unrolled: 1-line block ×7, first 2 shown]
	s_xor_b32 exec_lo, exec_lo, s3
	s_cbranch_execz .LBB194_560
; %bb.281:
	s_sub_i32 s6, s40, s21
	s_ashr_i32 s0, s18, 31
	s_add_u32 s4, s38, s18
	s_addc_u32 s5, s39, s0
	s_abs_i32 s9, s22
	v_and_b32_e32 v38, 4, v43
	v_cvt_f32_u32_e32 v1, s9
	s_sub_i32 s0, 0, s9
	v_or_b32_e32 v4, 0x70, v25
	v_lshlrev_b32_e32 v5, 4, v27
	s_add_i32 s12, s33, -1
	v_rcp_iflag_f32_e32 v3, v1
	v_lshlrev_b64 v[1:2], 2, v[29:30]
	v_cmp_gt_u32_e32 vcc_lo, 0x78, v4
	v_lshl_or_b32 v46, v4, 3, v38
	v_lshl_or_b32 v5, v41, 5, v5
	v_mov_b32_e32 v6, 0
	v_mov_b32_e32 v30, 0x80
	v_bfrev_b32_e32 v8, 1
	v_mov_b32_e32 v39, 0xffff
	v_mov_b32_e32 v10, 0x7f800001
	v_mul_f32_e32 v3, 0x4f7ffffe, v3
	v_mov_b32_e32 v40, 0xff
	v_mov_b32_e32 v43, 7
	;; [unrolled: 1-line block ×4, first 2 shown]
	v_cvt_u32_f32_e32 v3, v3
	v_mov_b32_e32 v31, 0
	v_mov_b32_e32 v32, 0
	;; [unrolled: 1-line block ×4, first 2 shown]
	v_mul_lo_u32 v7, s0, v3
	s_lshl_b64 s[0:1], s[36:37], 2
	v_mov_b32_e32 v35, 0
	s_add_u32 s0, s34, s0
	s_addc_u32 s1, s35, s1
	v_add_co_u32 v11, s0, s0, v1
	v_mov_b32_e32 v36, 0
	v_mul_hi_u32 v4, v3, v7
	v_lshl_or_b32 v45, v25, 3, v38
	v_add_co_ci_u32_e64 v12, null, s1, v2, s0
	v_add_nc_u32_e32 v47, 0x200, v5
	v_mov_b32_e32 v37, 0
	s_mov_b32 s13, 0
	v_add_nc_u32_e32 v48, v3, v4
	s_branch .LBB194_285
.LBB194_282:                            ;   in Loop: Header=BB194_285 Depth=1
	s_or_b32 exec_lo, exec_lo, s1
	v_mul_f32_e32 v13, v1, v13
	v_fmac_f32_e32 v13, v2, v9
	v_fmac_f32_e32 v13, v3, v7
	;; [unrolled: 1-line block ×3, first 2 shown]
	v_add_f32_e32 v28, v28, v13
.LBB194_283:                            ;   in Loop: Header=BB194_285 Depth=1
	s_or_b32 exec_lo, exec_lo, s24
	v_mul_f32_e32 v5, v1, v73
	v_mul_f32_e32 v7, v1, v71
	;; [unrolled: 1-line block ×7, first 2 shown]
	v_fmac_f32_e32 v5, v2, v72
	v_fmac_f32_e32 v7, v2, v70
	;; [unrolled: 1-line block ×21, first 2 shown]
	v_add_f32_e32 v31, v31, v5
	v_add_f32_e32 v32, v32, v7
	v_add_f32_e32 v33, v33, v9
	v_add_f32_e32 v34, v34, v13
	v_add_f32_e32 v35, v35, v14
	v_add_f32_e32 v36, v36, v15
	v_add_f32_e32 v37, v37, v1
.LBB194_284:                            ;   in Loop: Header=BB194_285 Depth=1
	s_or_b32 exec_lo, exec_lo, s18
	v_add_nc_u32_e32 v29, 4, v29
	v_add_co_u32 v11, s1, v11, 16
	v_add_co_ci_u32_e64 v12, null, 0, v12, s1
	v_cmp_le_i32_e64 s0, s20, v29
	v_add_nc_u32_e32 v42, 32, v42
	v_add_nc_u32_e32 v47, 0x80, v47
	s_or_b32 s13, s0, s13
	s_andn2_b32 exec_lo, exec_lo, s13
	s_cbranch_execz .LBB194_559
.LBB194_285:                            ; =>This Inner Loop Header: Depth=1
	v_sub_nc_u32_e32 v1, 0, v42
	v_max_i32_e32 v1, v42, v1
	v_mul_hi_u32 v2, v1, s16
	v_mul_lo_u32 v3, v2, s11
	v_sub_nc_u32_e32 v1, v1, v3
	v_add_nc_u32_e32 v3, 1, v2
	v_subrev_nc_u32_e32 v4, s11, v1
	v_cmp_le_u32_e64 s0, s11, v1
	v_cndmask_b32_e64 v2, v2, v3, s0
	v_cndmask_b32_e64 v1, v1, v4, s0
	v_ashrrev_i32_e32 v3, 31, v42
	v_add_nc_u32_e32 v4, 1, v2
	v_cmp_le_u32_e64 s0, s11, v1
	v_xor_b32_e32 v3, s23, v3
	v_cndmask_b32_e64 v1, v2, v4, s0
	v_xor_b32_e32 v1, v1, v3
	v_sub_nc_u32_e32 v1, v1, v3
	v_add_nc_u32_e32 v2, s19, v1
	v_cmp_lt_i32_e64 s1, s6, v1
	v_sub_nc_u32_e32 v3, 0, v2
	v_max_i32_e32 v3, v2, v3
	v_ashrrev_i32_e32 v2, 31, v2
	v_mul_hi_u32 v4, v3, v48
	v_mul_lo_u32 v4, v4, s9
	v_sub_nc_u32_e32 v3, v3, v4
	v_subrev_nc_u32_e32 v4, s9, v3
	v_cmp_le_u32_e64 s0, s9, v3
	v_cndmask_b32_e64 v3, v3, v4, s0
	v_subrev_nc_u32_e32 v4, s9, v3
	v_cmp_le_u32_e64 s0, s9, v3
	v_cndmask_b32_e64 v3, v3, v4, s0
	v_xor_b32_e32 v3, v3, v2
	v_sub_nc_u32_e32 v2, v3, v2
	v_cmp_eq_u32_e64 s0, 0, v2
	s_or_b32 s0, s0, s1
	s_and_saveexec_b32 s18, s0
	s_cbranch_execz .LBB194_284
; %bb.286:                              ;   in Loop: Header=BB194_285 Depth=1
	global_load_dword v1, v[11:12], off
	s_load_dword s21, s[14:15], 0x0
	v_mov_b32_e32 v19, 0
	v_mov_b32_e32 v17, 0
	;; [unrolled: 1-line block ×4, first 2 shown]
	s_waitcnt vmcnt(0)
	v_mad_i64_i32 v[13:14], null, v1, s17, s[4:5]
	ds_read_b128 v[1:4], v47
	v_add_co_u32 v15, s0, v13, v45
	v_add_co_ci_u32_e64 v16, null, 0, v14, s0
	global_load_dword v49, v[15:16], off
	s_waitcnt vmcnt(0)
	v_cmp_ne_u16_sdwa s0, v49, v6 src0_sel:BYTE_0 src1_sel:DWORD
	s_and_saveexec_b32 s1, s0
	s_cbranch_execz .LBB194_294
; %bb.287:                              ;   in Loop: Header=BB194_285 Depth=1
	v_bfrev_b32_e32 v17, 1
	v_mov_b32_e32 v18, 0
	v_cmp_ne_u16_sdwa s0, v49, v30 src0_sel:BYTE_0 src1_sel:DWORD
	s_and_saveexec_b32 s22, s0
	s_cbranch_execz .LBB194_293
; %bb.288:                              ;   in Loop: Header=BB194_285 Depth=1
	v_mov_b32_e32 v17, 0x7f800001
	v_and_b32_e32 v9, 0x7f, v49
	v_mov_b32_e32 v18, 0
	s_mov_b32 s24, exec_lo
	v_cmpx_ne_u32_e32 0x7f, v9
	s_cbranch_execz .LBB194_292
; %bb.289:                              ;   in Loop: Header=BB194_285 Depth=1
	v_and_b32_e32 v5, 7, v49
	v_lshrrev_b32_e32 v7, 3, v9
	s_mov_b32 s25, exec_lo
	v_cmpx_gt_u32_e32 8, v9
; %bb.290:                              ;   in Loop: Header=BB194_285 Depth=1
	v_ffbh_u32_e32 v7, v5
	v_min_u32_e32 v7, 32, v7
	v_subrev_nc_u32_e32 v9, 28, v7
	v_sub_nc_u32_e32 v7, 29, v7
	v_lshlrev_b64 v[17:18], v9, v[5:6]
	v_and_b32_e32 v5, 7, v17
; %bb.291:                              ;   in Loop: Header=BB194_285 Depth=1
	s_or_b32 exec_lo, exec_lo, s25
	v_lshlrev_b32_e32 v9, 24, v49
	v_lshlrev_b32_e32 v5, 20, v5
	v_lshl_add_u32 v7, v7, 23, 0x3c000000
	v_and_b32_e32 v9, 0x80000000, v9
	v_or3_b32 v5, v5, v9, v7
	v_mov_b32_e32 v18, v6
	v_mov_b32_e32 v17, v5
.LBB194_292:                            ;   in Loop: Header=BB194_285 Depth=1
	s_or_b32 exec_lo, exec_lo, s24
.LBB194_293:                            ;   in Loop: Header=BB194_285 Depth=1
	s_or_b32 exec_lo, exec_lo, s22
.LBB194_294:                            ;   in Loop: Header=BB194_285 Depth=1
	s_or_b32 exec_lo, exec_lo, s1
	v_cmp_ne_u16_sdwa s0, v49, v6 src0_sel:BYTE_1 src1_sel:DWORD
	s_and_saveexec_b32 s1, s0
	s_cbranch_execz .LBB194_302
; %bb.295:                              ;   in Loop: Header=BB194_285 Depth=1
	v_mov_b32_e32 v7, v6
	v_mov_b32_e32 v20, v8
	v_cmp_ne_u16_sdwa s0, v49, v30 src0_sel:BYTE_1 src1_sel:DWORD
	v_mov_b32_e32 v19, v7
	s_and_saveexec_b32 s22, s0
	s_cbranch_execz .LBB194_301
; %bb.296:                              ;   in Loop: Header=BB194_285 Depth=1
	v_and_b32_sdwa v5, v39, v49 dst_sel:DWORD dst_unused:UNUSED_PAD src0_sel:DWORD src1_sel:BYTE_1
	v_mov_b32_e32 v9, v6
	v_mov_b32_e32 v20, v10
	s_mov_b32 s24, exec_lo
	v_and_b32_e32 v21, 0x7f, v5
	v_mov_b32_e32 v19, v9
	v_cmpx_ne_u32_e32 0x7f, v21
	s_cbranch_execz .LBB194_300
; %bb.297:                              ;   in Loop: Header=BB194_285 Depth=1
	v_and_b32_e32 v5, 7, v5
	v_lshrrev_b32_e32 v7, 3, v21
	s_mov_b32 s25, exec_lo
	v_cmpx_gt_u32_e32 8, v21
; %bb.298:                              ;   in Loop: Header=BB194_285 Depth=1
	v_ffbh_u32_e32 v7, v5
	v_min_u32_e32 v7, 32, v7
	v_subrev_nc_u32_e32 v9, 28, v7
	v_sub_nc_u32_e32 v7, 29, v7
	v_lshlrev_b64 v[19:20], v9, v[5:6]
	v_and_b32_e32 v5, 7, v19
; %bb.299:                              ;   in Loop: Header=BB194_285 Depth=1
	s_or_b32 exec_lo, exec_lo, s25
	v_lshlrev_b32_e32 v9, 16, v49
	v_lshlrev_b32_e32 v5, 20, v5
	v_lshl_add_u32 v7, v7, 23, 0x3c000000
	v_mov_b32_e32 v19, v6
	v_and_b32_e32 v9, 0x80000000, v9
	v_or3_b32 v20, v5, v9, v7
.LBB194_300:                            ;   in Loop: Header=BB194_285 Depth=1
	s_or_b32 exec_lo, exec_lo, s24
.LBB194_301:                            ;   in Loop: Header=BB194_285 Depth=1
	s_or_b32 exec_lo, exec_lo, s22
.LBB194_302:                            ;   in Loop: Header=BB194_285 Depth=1
	s_or_b32 exec_lo, exec_lo, s1
	v_mov_b32_e32 v23, 0
	v_mov_b32_e32 v21, 0
	v_and_b32_sdwa v5, v49, v40 dst_sel:DWORD dst_unused:UNUSED_PAD src0_sel:WORD_1 src1_sel:DWORD
	v_mov_b32_e32 v24, 0
	v_mov_b32_e32 v22, 0
	s_mov_b32 s1, exec_lo
	v_cmpx_ne_u16_e32 0, v5
	s_cbranch_execz .LBB194_310
; %bb.303:                              ;   in Loop: Header=BB194_285 Depth=1
	v_bfrev_b32_e32 v21, 1
	v_mov_b32_e32 v22, 0
	s_mov_b32 s22, exec_lo
	v_cmpx_ne_u16_e32 0x80, v5
	s_cbranch_execz .LBB194_309
; %bb.304:                              ;   in Loop: Header=BB194_285 Depth=1
	v_mov_b32_e32 v21, 0x7f800001
	v_bfe_u32 v9, v49, 16, 7
	v_mov_b32_e32 v22, 0
	s_mov_b32 s24, exec_lo
	v_cmpx_ne_u32_e32 0x7f, v9
	s_cbranch_execz .LBB194_308
; %bb.305:                              ;   in Loop: Header=BB194_285 Depth=1
	v_and_b32_sdwa v5, v49, v43 dst_sel:DWORD dst_unused:UNUSED_PAD src0_sel:WORD_1 src1_sel:DWORD
	v_lshrrev_b32_e32 v7, 3, v9
	s_mov_b32 s25, exec_lo
	v_cmpx_gt_u32_e32 8, v9
; %bb.306:                              ;   in Loop: Header=BB194_285 Depth=1
	v_ffbh_u32_e32 v7, v5
	v_min_u32_e32 v7, 32, v7
	v_subrev_nc_u32_e32 v9, 28, v7
	v_sub_nc_u32_e32 v7, 29, v7
	v_lshlrev_b64 v[21:22], v9, v[5:6]
	v_and_b32_e32 v5, 7, v21
; %bb.307:                              ;   in Loop: Header=BB194_285 Depth=1
	s_or_b32 exec_lo, exec_lo, s25
	v_lshlrev_b32_sdwa v9, v44, v49 dst_sel:DWORD dst_unused:UNUSED_PAD src0_sel:DWORD src1_sel:WORD_1
	v_lshlrev_b32_e32 v5, 20, v5
	v_lshl_add_u32 v7, v7, 23, 0x3c000000
	v_and_b32_e32 v9, 0x80000000, v9
	v_or3_b32 v5, v5, v9, v7
	v_mov_b32_e32 v22, v6
	v_mov_b32_e32 v21, v5
.LBB194_308:                            ;   in Loop: Header=BB194_285 Depth=1
	s_or_b32 exec_lo, exec_lo, s24
.LBB194_309:                            ;   in Loop: Header=BB194_285 Depth=1
	s_or_b32 exec_lo, exec_lo, s22
.LBB194_310:                            ;   in Loop: Header=BB194_285 Depth=1
	s_or_b32 exec_lo, exec_lo, s1
	s_mov_b32 s1, exec_lo
	v_cmpx_lt_u32_e32 0xffffff, v49
	s_cbranch_execz .LBB194_318
; %bb.311:                              ;   in Loop: Header=BB194_285 Depth=1
	v_mov_b32_e32 v7, v6
	v_mov_b32_e32 v24, v8
	v_cmp_ne_u32_sdwa s0, v49, v30 src0_sel:BYTE_3 src1_sel:DWORD
	v_mov_b32_e32 v23, v7
	s_and_saveexec_b32 s22, s0
	s_cbranch_execz .LBB194_317
; %bb.312:                              ;   in Loop: Header=BB194_285 Depth=1
	v_mov_b32_e32 v9, v6
	v_mov_b32_e32 v24, v10
	v_bfe_u32 v50, v49, 24, 7
	s_mov_b32 s24, exec_lo
	v_mov_b32_e32 v23, v9
	v_cmpx_ne_u32_e32 0x7f, v50
	s_cbranch_execz .LBB194_316
; %bb.313:                              ;   in Loop: Header=BB194_285 Depth=1
	v_and_b32_sdwa v5, v49, v43 dst_sel:DWORD dst_unused:UNUSED_PAD src0_sel:BYTE_3 src1_sel:DWORD
	v_lshrrev_b32_e32 v7, 3, v50
	s_mov_b32 s25, exec_lo
	v_cmpx_gt_u32_e32 8, v50
; %bb.314:                              ;   in Loop: Header=BB194_285 Depth=1
	v_ffbh_u32_e32 v7, v5
	v_min_u32_e32 v7, 32, v7
	v_subrev_nc_u32_e32 v9, 28, v7
	v_sub_nc_u32_e32 v7, 29, v7
	v_lshlrev_b64 v[23:24], v9, v[5:6]
	v_and_b32_e32 v5, 7, v23
; %bb.315:                              ;   in Loop: Header=BB194_285 Depth=1
	s_or_b32 exec_lo, exec_lo, s25
	v_lshlrev_b32_sdwa v9, v44, v49 dst_sel:DWORD dst_unused:UNUSED_PAD src0_sel:DWORD src1_sel:BYTE_3
	v_lshlrev_b32_e32 v5, 20, v5
	v_lshl_add_u32 v7, v7, 23, 0x3c000000
	v_mov_b32_e32 v23, v6
	v_and_b32_e32 v9, 0x80000000, v9
	v_or3_b32 v24, v5, v9, v7
.LBB194_316:                            ;   in Loop: Header=BB194_285 Depth=1
	s_or_b32 exec_lo, exec_lo, s24
.LBB194_317:                            ;   in Loop: Header=BB194_285 Depth=1
	s_or_b32 exec_lo, exec_lo, s22
.LBB194_318:                            ;   in Loop: Header=BB194_285 Depth=1
	s_or_b32 exec_lo, exec_lo, s1
	v_or_b32_e32 v5, v20, v18
	v_or_b32_e32 v7, v19, v17
	;; [unrolled: 1-line block ×4, first 2 shown]
	v_add_nc_u32_e32 v53, v38, v42
	v_cmp_eq_u32_e64 s0, s12, v29
	s_waitcnt lgkmcnt(0)
	v_mul_f32_e32 v51, s21, v5
	v_mul_f32_e32 v52, s21, v7
	;; [unrolled: 1-line block ×4, first 2 shown]
	s_and_saveexec_b32 s22, s0
	s_cbranch_execz .LBB194_320
; %bb.319:                              ;   in Loop: Header=BB194_285 Depth=1
	v_add_nc_u32_e32 v5, 1, v53
	v_cmp_gt_i32_e64 s1, s31, v53
	v_add_nc_u32_e32 v7, 2, v53
	v_add_nc_u32_e32 v9, 3, v53
	v_cndmask_b32_e64 v52, 0, v52, s1
	v_cmp_gt_i32_e64 s1, s31, v5
	v_cndmask_b32_e64 v51, 0, v51, s1
	v_cmp_gt_i32_e64 s1, s31, v7
	;; [unrolled: 2-line block ×3, first 2 shown]
	v_cndmask_b32_e64 v49, 0, v49, s1
.LBB194_320:                            ;   in Loop: Header=BB194_285 Depth=1
	s_or_b32 exec_lo, exec_lo, s22
	global_load_dword v54, v[15:16], off offset:128
	v_mov_b32_e32 v19, 0
	v_mov_b32_e32 v17, 0
	;; [unrolled: 1-line block ×4, first 2 shown]
	s_waitcnt vmcnt(0)
	v_cmp_ne_u16_sdwa s1, v54, v6 src0_sel:BYTE_0 src1_sel:DWORD
	s_and_saveexec_b32 s22, s1
	s_cbranch_execz .LBB194_328
; %bb.321:                              ;   in Loop: Header=BB194_285 Depth=1
	v_bfrev_b32_e32 v17, 1
	v_mov_b32_e32 v18, 0
	v_cmp_ne_u16_sdwa s1, v54, v30 src0_sel:BYTE_0 src1_sel:DWORD
	s_and_saveexec_b32 s24, s1
	s_cbranch_execz .LBB194_327
; %bb.322:                              ;   in Loop: Header=BB194_285 Depth=1
	v_mov_b32_e32 v17, 0x7f800001
	v_and_b32_e32 v9, 0x7f, v54
	v_mov_b32_e32 v18, 0
	s_mov_b32 s25, exec_lo
	v_cmpx_ne_u32_e32 0x7f, v9
	s_cbranch_execz .LBB194_326
; %bb.323:                              ;   in Loop: Header=BB194_285 Depth=1
	v_and_b32_e32 v5, 7, v54
	v_lshrrev_b32_e32 v7, 3, v9
	s_mov_b32 s26, exec_lo
	v_cmpx_gt_u32_e32 8, v9
; %bb.324:                              ;   in Loop: Header=BB194_285 Depth=1
	v_ffbh_u32_e32 v7, v5
	v_min_u32_e32 v7, 32, v7
	v_subrev_nc_u32_e32 v9, 28, v7
	v_sub_nc_u32_e32 v7, 29, v7
	v_lshlrev_b64 v[17:18], v9, v[5:6]
	v_and_b32_e32 v5, 7, v17
; %bb.325:                              ;   in Loop: Header=BB194_285 Depth=1
	s_or_b32 exec_lo, exec_lo, s26
	v_lshlrev_b32_e32 v9, 24, v54
	v_lshlrev_b32_e32 v5, 20, v5
	v_lshl_add_u32 v7, v7, 23, 0x3c000000
	v_and_b32_e32 v9, 0x80000000, v9
	v_or3_b32 v5, v5, v9, v7
	v_mov_b32_e32 v18, v6
	v_mov_b32_e32 v17, v5
.LBB194_326:                            ;   in Loop: Header=BB194_285 Depth=1
	s_or_b32 exec_lo, exec_lo, s25
.LBB194_327:                            ;   in Loop: Header=BB194_285 Depth=1
	s_or_b32 exec_lo, exec_lo, s24
.LBB194_328:                            ;   in Loop: Header=BB194_285 Depth=1
	s_or_b32 exec_lo, exec_lo, s22
	v_cmp_ne_u16_sdwa s1, v54, v6 src0_sel:BYTE_1 src1_sel:DWORD
	s_and_saveexec_b32 s22, s1
	s_cbranch_execz .LBB194_336
; %bb.329:                              ;   in Loop: Header=BB194_285 Depth=1
	v_mov_b32_e32 v7, v6
	v_mov_b32_e32 v20, v8
	v_cmp_ne_u16_sdwa s1, v54, v30 src0_sel:BYTE_1 src1_sel:DWORD
	v_mov_b32_e32 v19, v7
	s_and_saveexec_b32 s24, s1
	s_cbranch_execz .LBB194_335
; %bb.330:                              ;   in Loop: Header=BB194_285 Depth=1
	v_and_b32_sdwa v5, v39, v54 dst_sel:DWORD dst_unused:UNUSED_PAD src0_sel:DWORD src1_sel:BYTE_1
	v_mov_b32_e32 v9, v6
	v_mov_b32_e32 v20, v10
	s_mov_b32 s25, exec_lo
	v_and_b32_e32 v21, 0x7f, v5
	v_mov_b32_e32 v19, v9
	v_cmpx_ne_u32_e32 0x7f, v21
	s_cbranch_execz .LBB194_334
; %bb.331:                              ;   in Loop: Header=BB194_285 Depth=1
	v_and_b32_e32 v5, 7, v5
	v_lshrrev_b32_e32 v7, 3, v21
	s_mov_b32 s26, exec_lo
	v_cmpx_gt_u32_e32 8, v21
; %bb.332:                              ;   in Loop: Header=BB194_285 Depth=1
	v_ffbh_u32_e32 v7, v5
	v_min_u32_e32 v7, 32, v7
	v_subrev_nc_u32_e32 v9, 28, v7
	v_sub_nc_u32_e32 v7, 29, v7
	v_lshlrev_b64 v[19:20], v9, v[5:6]
	v_and_b32_e32 v5, 7, v19
; %bb.333:                              ;   in Loop: Header=BB194_285 Depth=1
	s_or_b32 exec_lo, exec_lo, s26
	v_lshlrev_b32_e32 v9, 16, v54
	v_lshlrev_b32_e32 v5, 20, v5
	v_lshl_add_u32 v7, v7, 23, 0x3c000000
	v_mov_b32_e32 v19, v6
	v_and_b32_e32 v9, 0x80000000, v9
	v_or3_b32 v20, v5, v9, v7
.LBB194_334:                            ;   in Loop: Header=BB194_285 Depth=1
	s_or_b32 exec_lo, exec_lo, s25
.LBB194_335:                            ;   in Loop: Header=BB194_285 Depth=1
	s_or_b32 exec_lo, exec_lo, s24
.LBB194_336:                            ;   in Loop: Header=BB194_285 Depth=1
	s_or_b32 exec_lo, exec_lo, s22
	v_mov_b32_e32 v23, 0
	v_mov_b32_e32 v21, 0
	v_and_b32_sdwa v5, v54, v40 dst_sel:DWORD dst_unused:UNUSED_PAD src0_sel:WORD_1 src1_sel:DWORD
	v_mov_b32_e32 v24, 0
	v_mov_b32_e32 v22, 0
	s_mov_b32 s22, exec_lo
	v_cmpx_ne_u16_e32 0, v5
	s_cbranch_execz .LBB194_344
; %bb.337:                              ;   in Loop: Header=BB194_285 Depth=1
	v_bfrev_b32_e32 v21, 1
	v_mov_b32_e32 v22, 0
	s_mov_b32 s24, exec_lo
	v_cmpx_ne_u16_e32 0x80, v5
	s_cbranch_execz .LBB194_343
; %bb.338:                              ;   in Loop: Header=BB194_285 Depth=1
	v_mov_b32_e32 v21, 0x7f800001
	v_bfe_u32 v9, v54, 16, 7
	v_mov_b32_e32 v22, 0
	s_mov_b32 s25, exec_lo
	v_cmpx_ne_u32_e32 0x7f, v9
	s_cbranch_execz .LBB194_342
; %bb.339:                              ;   in Loop: Header=BB194_285 Depth=1
	v_and_b32_sdwa v5, v54, v43 dst_sel:DWORD dst_unused:UNUSED_PAD src0_sel:WORD_1 src1_sel:DWORD
	v_lshrrev_b32_e32 v7, 3, v9
	s_mov_b32 s26, exec_lo
	v_cmpx_gt_u32_e32 8, v9
; %bb.340:                              ;   in Loop: Header=BB194_285 Depth=1
	v_ffbh_u32_e32 v7, v5
	v_min_u32_e32 v7, 32, v7
	v_subrev_nc_u32_e32 v9, 28, v7
	v_sub_nc_u32_e32 v7, 29, v7
	v_lshlrev_b64 v[21:22], v9, v[5:6]
	v_and_b32_e32 v5, 7, v21
; %bb.341:                              ;   in Loop: Header=BB194_285 Depth=1
	s_or_b32 exec_lo, exec_lo, s26
	v_lshlrev_b32_sdwa v9, v44, v54 dst_sel:DWORD dst_unused:UNUSED_PAD src0_sel:DWORD src1_sel:WORD_1
	v_lshlrev_b32_e32 v5, 20, v5
	v_lshl_add_u32 v7, v7, 23, 0x3c000000
	v_and_b32_e32 v9, 0x80000000, v9
	v_or3_b32 v5, v5, v9, v7
	v_mov_b32_e32 v22, v6
	v_mov_b32_e32 v21, v5
.LBB194_342:                            ;   in Loop: Header=BB194_285 Depth=1
	s_or_b32 exec_lo, exec_lo, s25
.LBB194_343:                            ;   in Loop: Header=BB194_285 Depth=1
	s_or_b32 exec_lo, exec_lo, s24
.LBB194_344:                            ;   in Loop: Header=BB194_285 Depth=1
	s_or_b32 exec_lo, exec_lo, s22
	s_mov_b32 s22, exec_lo
	v_cmpx_lt_u32_e32 0xffffff, v54
	s_cbranch_execz .LBB194_352
; %bb.345:                              ;   in Loop: Header=BB194_285 Depth=1
	v_mov_b32_e32 v7, v6
	v_mov_b32_e32 v24, v8
	v_cmp_ne_u32_sdwa s1, v54, v30 src0_sel:BYTE_3 src1_sel:DWORD
	v_mov_b32_e32 v23, v7
	s_and_saveexec_b32 s24, s1
	s_cbranch_execz .LBB194_351
; %bb.346:                              ;   in Loop: Header=BB194_285 Depth=1
	v_mov_b32_e32 v9, v6
	v_mov_b32_e32 v24, v10
	v_bfe_u32 v55, v54, 24, 7
	s_mov_b32 s25, exec_lo
	v_mov_b32_e32 v23, v9
	v_cmpx_ne_u32_e32 0x7f, v55
	s_cbranch_execz .LBB194_350
; %bb.347:                              ;   in Loop: Header=BB194_285 Depth=1
	v_and_b32_sdwa v5, v54, v43 dst_sel:DWORD dst_unused:UNUSED_PAD src0_sel:BYTE_3 src1_sel:DWORD
	v_lshrrev_b32_e32 v7, 3, v55
	s_mov_b32 s26, exec_lo
	v_cmpx_gt_u32_e32 8, v55
; %bb.348:                              ;   in Loop: Header=BB194_285 Depth=1
	v_ffbh_u32_e32 v7, v5
	v_min_u32_e32 v7, 32, v7
	v_subrev_nc_u32_e32 v9, 28, v7
	v_sub_nc_u32_e32 v7, 29, v7
	v_lshlrev_b64 v[23:24], v9, v[5:6]
	v_and_b32_e32 v5, 7, v23
; %bb.349:                              ;   in Loop: Header=BB194_285 Depth=1
	s_or_b32 exec_lo, exec_lo, s26
	v_lshlrev_b32_sdwa v9, v44, v54 dst_sel:DWORD dst_unused:UNUSED_PAD src0_sel:DWORD src1_sel:BYTE_3
	v_lshlrev_b32_e32 v5, 20, v5
	v_lshl_add_u32 v7, v7, 23, 0x3c000000
	v_mov_b32_e32 v23, v6
	v_and_b32_e32 v9, 0x80000000, v9
	v_or3_b32 v24, v5, v9, v7
.LBB194_350:                            ;   in Loop: Header=BB194_285 Depth=1
	s_or_b32 exec_lo, exec_lo, s25
.LBB194_351:                            ;   in Loop: Header=BB194_285 Depth=1
	s_or_b32 exec_lo, exec_lo, s24
.LBB194_352:                            ;   in Loop: Header=BB194_285 Depth=1
	s_or_b32 exec_lo, exec_lo, s22
	v_or_b32_e32 v5, v20, v18
	v_or_b32_e32 v7, v19, v17
	;; [unrolled: 1-line block ×4, first 2 shown]
	s_mov_b32 s22, s21
	v_mul_f32_e32 v56, s22, v5
	v_mul_f32_e32 v57, s21, v7
	;; [unrolled: 1-line block ×4, first 2 shown]
	s_and_saveexec_b32 s24, s0
	s_cbranch_execz .LBB194_354
; %bb.353:                              ;   in Loop: Header=BB194_285 Depth=1
	v_add_nc_u32_e32 v5, 1, v53
	v_cmp_gt_i32_e64 s1, s31, v53
	v_add_nc_u32_e32 v7, 2, v53
	v_add_nc_u32_e32 v9, 3, v53
	v_cndmask_b32_e64 v57, 0, v57, s1
	v_cmp_gt_i32_e64 s1, s31, v5
	v_cndmask_b32_e64 v56, 0, v56, s1
	v_cmp_gt_i32_e64 s1, s31, v7
	;; [unrolled: 2-line block ×3, first 2 shown]
	v_cndmask_b32_e64 v54, 0, v54, s1
.LBB194_354:                            ;   in Loop: Header=BB194_285 Depth=1
	s_or_b32 exec_lo, exec_lo, s24
	global_load_dword v58, v[15:16], off offset:256
	v_mov_b32_e32 v19, 0
	v_mov_b32_e32 v17, 0
	;; [unrolled: 1-line block ×4, first 2 shown]
	s_waitcnt vmcnt(0)
	v_cmp_ne_u16_sdwa s1, v58, v6 src0_sel:BYTE_0 src1_sel:DWORD
	s_and_saveexec_b32 s24, s1
	s_cbranch_execz .LBB194_362
; %bb.355:                              ;   in Loop: Header=BB194_285 Depth=1
	v_bfrev_b32_e32 v17, 1
	v_mov_b32_e32 v18, 0
	v_cmp_ne_u16_sdwa s1, v58, v30 src0_sel:BYTE_0 src1_sel:DWORD
	s_and_saveexec_b32 s25, s1
	s_cbranch_execz .LBB194_361
; %bb.356:                              ;   in Loop: Header=BB194_285 Depth=1
	v_mov_b32_e32 v17, 0x7f800001
	v_and_b32_e32 v9, 0x7f, v58
	v_mov_b32_e32 v18, 0
	s_mov_b32 s26, exec_lo
	v_cmpx_ne_u32_e32 0x7f, v9
	s_cbranch_execz .LBB194_360
; %bb.357:                              ;   in Loop: Header=BB194_285 Depth=1
	v_and_b32_e32 v5, 7, v58
	v_lshrrev_b32_e32 v7, 3, v9
	s_mov_b32 s27, exec_lo
	v_cmpx_gt_u32_e32 8, v9
; %bb.358:                              ;   in Loop: Header=BB194_285 Depth=1
	v_ffbh_u32_e32 v7, v5
	v_min_u32_e32 v7, 32, v7
	v_subrev_nc_u32_e32 v9, 28, v7
	v_sub_nc_u32_e32 v7, 29, v7
	v_lshlrev_b64 v[17:18], v9, v[5:6]
	v_and_b32_e32 v5, 7, v17
; %bb.359:                              ;   in Loop: Header=BB194_285 Depth=1
	s_or_b32 exec_lo, exec_lo, s27
	v_lshlrev_b32_e32 v9, 24, v58
	v_lshlrev_b32_e32 v5, 20, v5
	v_lshl_add_u32 v7, v7, 23, 0x3c000000
	v_and_b32_e32 v9, 0x80000000, v9
	v_or3_b32 v5, v5, v9, v7
	v_mov_b32_e32 v18, v6
	v_mov_b32_e32 v17, v5
.LBB194_360:                            ;   in Loop: Header=BB194_285 Depth=1
	s_or_b32 exec_lo, exec_lo, s26
.LBB194_361:                            ;   in Loop: Header=BB194_285 Depth=1
	s_or_b32 exec_lo, exec_lo, s25
.LBB194_362:                            ;   in Loop: Header=BB194_285 Depth=1
	s_or_b32 exec_lo, exec_lo, s24
	v_cmp_ne_u16_sdwa s1, v58, v6 src0_sel:BYTE_1 src1_sel:DWORD
	s_and_saveexec_b32 s24, s1
	s_cbranch_execz .LBB194_370
; %bb.363:                              ;   in Loop: Header=BB194_285 Depth=1
	v_mov_b32_e32 v7, v6
	v_mov_b32_e32 v20, v8
	v_cmp_ne_u16_sdwa s1, v58, v30 src0_sel:BYTE_1 src1_sel:DWORD
	v_mov_b32_e32 v19, v7
	s_and_saveexec_b32 s25, s1
	s_cbranch_execz .LBB194_369
; %bb.364:                              ;   in Loop: Header=BB194_285 Depth=1
	v_and_b32_sdwa v5, v39, v58 dst_sel:DWORD dst_unused:UNUSED_PAD src0_sel:DWORD src1_sel:BYTE_1
	v_mov_b32_e32 v9, v6
	v_mov_b32_e32 v20, v10
	s_mov_b32 s26, exec_lo
	v_and_b32_e32 v21, 0x7f, v5
	v_mov_b32_e32 v19, v9
	v_cmpx_ne_u32_e32 0x7f, v21
	s_cbranch_execz .LBB194_368
; %bb.365:                              ;   in Loop: Header=BB194_285 Depth=1
	v_and_b32_e32 v5, 7, v5
	v_lshrrev_b32_e32 v7, 3, v21
	s_mov_b32 s27, exec_lo
	v_cmpx_gt_u32_e32 8, v21
; %bb.366:                              ;   in Loop: Header=BB194_285 Depth=1
	v_ffbh_u32_e32 v7, v5
	v_min_u32_e32 v7, 32, v7
	v_subrev_nc_u32_e32 v9, 28, v7
	v_sub_nc_u32_e32 v7, 29, v7
	v_lshlrev_b64 v[19:20], v9, v[5:6]
	v_and_b32_e32 v5, 7, v19
; %bb.367:                              ;   in Loop: Header=BB194_285 Depth=1
	s_or_b32 exec_lo, exec_lo, s27
	v_lshlrev_b32_e32 v9, 16, v58
	v_lshlrev_b32_e32 v5, 20, v5
	v_lshl_add_u32 v7, v7, 23, 0x3c000000
	v_mov_b32_e32 v19, v6
	v_and_b32_e32 v9, 0x80000000, v9
	v_or3_b32 v20, v5, v9, v7
.LBB194_368:                            ;   in Loop: Header=BB194_285 Depth=1
	s_or_b32 exec_lo, exec_lo, s26
.LBB194_369:                            ;   in Loop: Header=BB194_285 Depth=1
	s_or_b32 exec_lo, exec_lo, s25
.LBB194_370:                            ;   in Loop: Header=BB194_285 Depth=1
	s_or_b32 exec_lo, exec_lo, s24
	v_mov_b32_e32 v23, 0
	v_mov_b32_e32 v21, 0
	v_and_b32_sdwa v5, v58, v40 dst_sel:DWORD dst_unused:UNUSED_PAD src0_sel:WORD_1 src1_sel:DWORD
	v_mov_b32_e32 v24, 0
	v_mov_b32_e32 v22, 0
	s_mov_b32 s24, exec_lo
	v_cmpx_ne_u16_e32 0, v5
	s_cbranch_execz .LBB194_378
; %bb.371:                              ;   in Loop: Header=BB194_285 Depth=1
	v_bfrev_b32_e32 v21, 1
	v_mov_b32_e32 v22, 0
	s_mov_b32 s25, exec_lo
	v_cmpx_ne_u16_e32 0x80, v5
	s_cbranch_execz .LBB194_377
; %bb.372:                              ;   in Loop: Header=BB194_285 Depth=1
	v_mov_b32_e32 v21, 0x7f800001
	v_bfe_u32 v9, v58, 16, 7
	v_mov_b32_e32 v22, 0
	s_mov_b32 s26, exec_lo
	v_cmpx_ne_u32_e32 0x7f, v9
	s_cbranch_execz .LBB194_376
; %bb.373:                              ;   in Loop: Header=BB194_285 Depth=1
	v_and_b32_sdwa v5, v58, v43 dst_sel:DWORD dst_unused:UNUSED_PAD src0_sel:WORD_1 src1_sel:DWORD
	v_lshrrev_b32_e32 v7, 3, v9
	s_mov_b32 s27, exec_lo
	v_cmpx_gt_u32_e32 8, v9
; %bb.374:                              ;   in Loop: Header=BB194_285 Depth=1
	v_ffbh_u32_e32 v7, v5
	v_min_u32_e32 v7, 32, v7
	v_subrev_nc_u32_e32 v9, 28, v7
	v_sub_nc_u32_e32 v7, 29, v7
	v_lshlrev_b64 v[21:22], v9, v[5:6]
	v_and_b32_e32 v5, 7, v21
; %bb.375:                              ;   in Loop: Header=BB194_285 Depth=1
	s_or_b32 exec_lo, exec_lo, s27
	v_lshlrev_b32_sdwa v9, v44, v58 dst_sel:DWORD dst_unused:UNUSED_PAD src0_sel:DWORD src1_sel:WORD_1
	v_lshlrev_b32_e32 v5, 20, v5
	v_lshl_add_u32 v7, v7, 23, 0x3c000000
	v_and_b32_e32 v9, 0x80000000, v9
	v_or3_b32 v5, v5, v9, v7
	v_mov_b32_e32 v22, v6
	v_mov_b32_e32 v21, v5
.LBB194_376:                            ;   in Loop: Header=BB194_285 Depth=1
	s_or_b32 exec_lo, exec_lo, s26
.LBB194_377:                            ;   in Loop: Header=BB194_285 Depth=1
	s_or_b32 exec_lo, exec_lo, s25
.LBB194_378:                            ;   in Loop: Header=BB194_285 Depth=1
	s_or_b32 exec_lo, exec_lo, s24
	s_mov_b32 s24, exec_lo
	v_cmpx_lt_u32_e32 0xffffff, v58
	s_cbranch_execz .LBB194_386
; %bb.379:                              ;   in Loop: Header=BB194_285 Depth=1
	v_mov_b32_e32 v7, v6
	v_mov_b32_e32 v24, v8
	v_cmp_ne_u32_sdwa s1, v58, v30 src0_sel:BYTE_3 src1_sel:DWORD
	v_mov_b32_e32 v23, v7
	s_and_saveexec_b32 s25, s1
	s_cbranch_execz .LBB194_385
; %bb.380:                              ;   in Loop: Header=BB194_285 Depth=1
	v_mov_b32_e32 v9, v6
	v_mov_b32_e32 v24, v10
	v_bfe_u32 v59, v58, 24, 7
	s_mov_b32 s26, exec_lo
	v_mov_b32_e32 v23, v9
	v_cmpx_ne_u32_e32 0x7f, v59
	s_cbranch_execz .LBB194_384
; %bb.381:                              ;   in Loop: Header=BB194_285 Depth=1
	v_and_b32_sdwa v5, v58, v43 dst_sel:DWORD dst_unused:UNUSED_PAD src0_sel:BYTE_3 src1_sel:DWORD
	v_lshrrev_b32_e32 v7, 3, v59
	s_mov_b32 s27, exec_lo
	v_cmpx_gt_u32_e32 8, v59
; %bb.382:                              ;   in Loop: Header=BB194_285 Depth=1
	v_ffbh_u32_e32 v7, v5
	v_min_u32_e32 v7, 32, v7
	v_subrev_nc_u32_e32 v9, 28, v7
	v_sub_nc_u32_e32 v7, 29, v7
	v_lshlrev_b64 v[23:24], v9, v[5:6]
	v_and_b32_e32 v5, 7, v23
; %bb.383:                              ;   in Loop: Header=BB194_285 Depth=1
	s_or_b32 exec_lo, exec_lo, s27
	v_lshlrev_b32_sdwa v9, v44, v58 dst_sel:DWORD dst_unused:UNUSED_PAD src0_sel:DWORD src1_sel:BYTE_3
	v_lshlrev_b32_e32 v5, 20, v5
	v_lshl_add_u32 v7, v7, 23, 0x3c000000
	v_mov_b32_e32 v23, v6
	v_and_b32_e32 v9, 0x80000000, v9
	v_or3_b32 v24, v5, v9, v7
.LBB194_384:                            ;   in Loop: Header=BB194_285 Depth=1
	s_or_b32 exec_lo, exec_lo, s26
.LBB194_385:                            ;   in Loop: Header=BB194_285 Depth=1
	s_or_b32 exec_lo, exec_lo, s25
.LBB194_386:                            ;   in Loop: Header=BB194_285 Depth=1
	s_or_b32 exec_lo, exec_lo, s24
	v_or_b32_e32 v5, v20, v18
	v_or_b32_e32 v7, v19, v17
	;; [unrolled: 1-line block ×4, first 2 shown]
	v_mul_f32_e32 v60, s22, v5
	v_mul_f32_e32 v61, s21, v7
	;; [unrolled: 1-line block ×4, first 2 shown]
	s_and_saveexec_b32 s24, s0
	s_cbranch_execz .LBB194_388
; %bb.387:                              ;   in Loop: Header=BB194_285 Depth=1
	v_add_nc_u32_e32 v5, 1, v53
	v_cmp_gt_i32_e64 s1, s31, v53
	v_add_nc_u32_e32 v7, 2, v53
	v_add_nc_u32_e32 v9, 3, v53
	v_cndmask_b32_e64 v61, 0, v61, s1
	v_cmp_gt_i32_e64 s1, s31, v5
	v_cndmask_b32_e64 v60, 0, v60, s1
	v_cmp_gt_i32_e64 s1, s31, v7
	v_cndmask_b32_e64 v59, 0, v59, s1
	v_cmp_gt_i32_e64 s1, s31, v9
	v_cndmask_b32_e64 v58, 0, v58, s1
.LBB194_388:                            ;   in Loop: Header=BB194_285 Depth=1
	s_or_b32 exec_lo, exec_lo, s24
	global_load_dword v62, v[15:16], off offset:384
	v_mov_b32_e32 v19, 0
	v_mov_b32_e32 v17, 0
	;; [unrolled: 1-line block ×4, first 2 shown]
	s_waitcnt vmcnt(0)
	v_cmp_ne_u16_sdwa s1, v62, v6 src0_sel:BYTE_0 src1_sel:DWORD
	s_and_saveexec_b32 s24, s1
	s_cbranch_execz .LBB194_396
; %bb.389:                              ;   in Loop: Header=BB194_285 Depth=1
	v_bfrev_b32_e32 v17, 1
	v_mov_b32_e32 v18, 0
	v_cmp_ne_u16_sdwa s1, v62, v30 src0_sel:BYTE_0 src1_sel:DWORD
	s_and_saveexec_b32 s25, s1
	s_cbranch_execz .LBB194_395
; %bb.390:                              ;   in Loop: Header=BB194_285 Depth=1
	v_mov_b32_e32 v17, 0x7f800001
	v_and_b32_e32 v9, 0x7f, v62
	v_mov_b32_e32 v18, 0
	s_mov_b32 s26, exec_lo
	v_cmpx_ne_u32_e32 0x7f, v9
	s_cbranch_execz .LBB194_394
; %bb.391:                              ;   in Loop: Header=BB194_285 Depth=1
	v_and_b32_e32 v5, 7, v62
	v_lshrrev_b32_e32 v7, 3, v9
	s_mov_b32 s27, exec_lo
	v_cmpx_gt_u32_e32 8, v9
; %bb.392:                              ;   in Loop: Header=BB194_285 Depth=1
	v_ffbh_u32_e32 v7, v5
	v_min_u32_e32 v7, 32, v7
	v_subrev_nc_u32_e32 v9, 28, v7
	v_sub_nc_u32_e32 v7, 29, v7
	v_lshlrev_b64 v[17:18], v9, v[5:6]
	v_and_b32_e32 v5, 7, v17
; %bb.393:                              ;   in Loop: Header=BB194_285 Depth=1
	s_or_b32 exec_lo, exec_lo, s27
	v_lshlrev_b32_e32 v9, 24, v62
	v_lshlrev_b32_e32 v5, 20, v5
	v_lshl_add_u32 v7, v7, 23, 0x3c000000
	v_and_b32_e32 v9, 0x80000000, v9
	v_or3_b32 v5, v5, v9, v7
	v_mov_b32_e32 v18, v6
	v_mov_b32_e32 v17, v5
.LBB194_394:                            ;   in Loop: Header=BB194_285 Depth=1
	s_or_b32 exec_lo, exec_lo, s26
.LBB194_395:                            ;   in Loop: Header=BB194_285 Depth=1
	s_or_b32 exec_lo, exec_lo, s25
.LBB194_396:                            ;   in Loop: Header=BB194_285 Depth=1
	s_or_b32 exec_lo, exec_lo, s24
	v_cmp_ne_u16_sdwa s1, v62, v6 src0_sel:BYTE_1 src1_sel:DWORD
	s_and_saveexec_b32 s24, s1
	s_cbranch_execz .LBB194_404
; %bb.397:                              ;   in Loop: Header=BB194_285 Depth=1
	v_mov_b32_e32 v7, v6
	v_mov_b32_e32 v20, v8
	v_cmp_ne_u16_sdwa s1, v62, v30 src0_sel:BYTE_1 src1_sel:DWORD
	v_mov_b32_e32 v19, v7
	s_and_saveexec_b32 s25, s1
	s_cbranch_execz .LBB194_403
; %bb.398:                              ;   in Loop: Header=BB194_285 Depth=1
	v_and_b32_sdwa v5, v39, v62 dst_sel:DWORD dst_unused:UNUSED_PAD src0_sel:DWORD src1_sel:BYTE_1
	v_mov_b32_e32 v9, v6
	v_mov_b32_e32 v20, v10
	s_mov_b32 s26, exec_lo
	v_and_b32_e32 v21, 0x7f, v5
	v_mov_b32_e32 v19, v9
	v_cmpx_ne_u32_e32 0x7f, v21
	s_cbranch_execz .LBB194_402
; %bb.399:                              ;   in Loop: Header=BB194_285 Depth=1
	v_and_b32_e32 v5, 7, v5
	v_lshrrev_b32_e32 v7, 3, v21
	s_mov_b32 s27, exec_lo
	v_cmpx_gt_u32_e32 8, v21
; %bb.400:                              ;   in Loop: Header=BB194_285 Depth=1
	v_ffbh_u32_e32 v7, v5
	v_min_u32_e32 v7, 32, v7
	v_subrev_nc_u32_e32 v9, 28, v7
	v_sub_nc_u32_e32 v7, 29, v7
	v_lshlrev_b64 v[19:20], v9, v[5:6]
	v_and_b32_e32 v5, 7, v19
; %bb.401:                              ;   in Loop: Header=BB194_285 Depth=1
	s_or_b32 exec_lo, exec_lo, s27
	v_lshlrev_b32_e32 v9, 16, v62
	v_lshlrev_b32_e32 v5, 20, v5
	v_lshl_add_u32 v7, v7, 23, 0x3c000000
	v_mov_b32_e32 v19, v6
	v_and_b32_e32 v9, 0x80000000, v9
	v_or3_b32 v20, v5, v9, v7
.LBB194_402:                            ;   in Loop: Header=BB194_285 Depth=1
	s_or_b32 exec_lo, exec_lo, s26
.LBB194_403:                            ;   in Loop: Header=BB194_285 Depth=1
	s_or_b32 exec_lo, exec_lo, s25
.LBB194_404:                            ;   in Loop: Header=BB194_285 Depth=1
	s_or_b32 exec_lo, exec_lo, s24
	v_mov_b32_e32 v23, 0
	v_mov_b32_e32 v21, 0
	v_and_b32_sdwa v5, v62, v40 dst_sel:DWORD dst_unused:UNUSED_PAD src0_sel:WORD_1 src1_sel:DWORD
	v_mov_b32_e32 v24, 0
	v_mov_b32_e32 v22, 0
	s_mov_b32 s24, exec_lo
	v_cmpx_ne_u16_e32 0, v5
	s_cbranch_execz .LBB194_412
; %bb.405:                              ;   in Loop: Header=BB194_285 Depth=1
	v_bfrev_b32_e32 v21, 1
	v_mov_b32_e32 v22, 0
	s_mov_b32 s25, exec_lo
	v_cmpx_ne_u16_e32 0x80, v5
	s_cbranch_execz .LBB194_411
; %bb.406:                              ;   in Loop: Header=BB194_285 Depth=1
	v_mov_b32_e32 v21, 0x7f800001
	v_bfe_u32 v9, v62, 16, 7
	v_mov_b32_e32 v22, 0
	s_mov_b32 s26, exec_lo
	v_cmpx_ne_u32_e32 0x7f, v9
	s_cbranch_execz .LBB194_410
; %bb.407:                              ;   in Loop: Header=BB194_285 Depth=1
	v_and_b32_sdwa v5, v62, v43 dst_sel:DWORD dst_unused:UNUSED_PAD src0_sel:WORD_1 src1_sel:DWORD
	v_lshrrev_b32_e32 v7, 3, v9
	s_mov_b32 s27, exec_lo
	v_cmpx_gt_u32_e32 8, v9
; %bb.408:                              ;   in Loop: Header=BB194_285 Depth=1
	v_ffbh_u32_e32 v7, v5
	v_min_u32_e32 v7, 32, v7
	v_subrev_nc_u32_e32 v9, 28, v7
	v_sub_nc_u32_e32 v7, 29, v7
	v_lshlrev_b64 v[21:22], v9, v[5:6]
	v_and_b32_e32 v5, 7, v21
; %bb.409:                              ;   in Loop: Header=BB194_285 Depth=1
	s_or_b32 exec_lo, exec_lo, s27
	v_lshlrev_b32_sdwa v9, v44, v62 dst_sel:DWORD dst_unused:UNUSED_PAD src0_sel:DWORD src1_sel:WORD_1
	v_lshlrev_b32_e32 v5, 20, v5
	v_lshl_add_u32 v7, v7, 23, 0x3c000000
	v_and_b32_e32 v9, 0x80000000, v9
	v_or3_b32 v5, v5, v9, v7
	v_mov_b32_e32 v22, v6
	v_mov_b32_e32 v21, v5
.LBB194_410:                            ;   in Loop: Header=BB194_285 Depth=1
	s_or_b32 exec_lo, exec_lo, s26
.LBB194_411:                            ;   in Loop: Header=BB194_285 Depth=1
	s_or_b32 exec_lo, exec_lo, s25
.LBB194_412:                            ;   in Loop: Header=BB194_285 Depth=1
	s_or_b32 exec_lo, exec_lo, s24
	s_mov_b32 s24, exec_lo
	v_cmpx_lt_u32_e32 0xffffff, v62
	s_cbranch_execz .LBB194_420
; %bb.413:                              ;   in Loop: Header=BB194_285 Depth=1
	v_mov_b32_e32 v7, v6
	v_mov_b32_e32 v24, v8
	v_cmp_ne_u32_sdwa s1, v62, v30 src0_sel:BYTE_3 src1_sel:DWORD
	v_mov_b32_e32 v23, v7
	s_and_saveexec_b32 s25, s1
	s_cbranch_execz .LBB194_419
; %bb.414:                              ;   in Loop: Header=BB194_285 Depth=1
	v_mov_b32_e32 v9, v6
	v_mov_b32_e32 v24, v10
	v_bfe_u32 v63, v62, 24, 7
	s_mov_b32 s26, exec_lo
	v_mov_b32_e32 v23, v9
	v_cmpx_ne_u32_e32 0x7f, v63
	s_cbranch_execz .LBB194_418
; %bb.415:                              ;   in Loop: Header=BB194_285 Depth=1
	v_and_b32_sdwa v5, v62, v43 dst_sel:DWORD dst_unused:UNUSED_PAD src0_sel:BYTE_3 src1_sel:DWORD
	v_lshrrev_b32_e32 v7, 3, v63
	s_mov_b32 s27, exec_lo
	v_cmpx_gt_u32_e32 8, v63
; %bb.416:                              ;   in Loop: Header=BB194_285 Depth=1
	v_ffbh_u32_e32 v7, v5
	v_min_u32_e32 v7, 32, v7
	v_subrev_nc_u32_e32 v9, 28, v7
	v_sub_nc_u32_e32 v7, 29, v7
	v_lshlrev_b64 v[23:24], v9, v[5:6]
	v_and_b32_e32 v5, 7, v23
; %bb.417:                              ;   in Loop: Header=BB194_285 Depth=1
	s_or_b32 exec_lo, exec_lo, s27
	v_lshlrev_b32_sdwa v9, v44, v62 dst_sel:DWORD dst_unused:UNUSED_PAD src0_sel:DWORD src1_sel:BYTE_3
	v_lshlrev_b32_e32 v5, 20, v5
	v_lshl_add_u32 v7, v7, 23, 0x3c000000
	v_mov_b32_e32 v23, v6
	v_and_b32_e32 v9, 0x80000000, v9
	v_or3_b32 v24, v5, v9, v7
.LBB194_418:                            ;   in Loop: Header=BB194_285 Depth=1
	s_or_b32 exec_lo, exec_lo, s26
.LBB194_419:                            ;   in Loop: Header=BB194_285 Depth=1
	s_or_b32 exec_lo, exec_lo, s25
.LBB194_420:                            ;   in Loop: Header=BB194_285 Depth=1
	s_or_b32 exec_lo, exec_lo, s24
	v_or_b32_e32 v5, v20, v18
	v_or_b32_e32 v7, v19, v17
	v_or_b32_e32 v9, v23, v21
	v_or_b32_e32 v17, v24, v22
	v_mul_f32_e32 v64, s22, v5
	v_mul_f32_e32 v65, s21, v7
	;; [unrolled: 1-line block ×4, first 2 shown]
	s_and_saveexec_b32 s24, s0
	s_cbranch_execz .LBB194_422
; %bb.421:                              ;   in Loop: Header=BB194_285 Depth=1
	v_add_nc_u32_e32 v5, 1, v53
	v_cmp_gt_i32_e64 s1, s31, v53
	v_add_nc_u32_e32 v7, 2, v53
	v_add_nc_u32_e32 v9, 3, v53
	v_cndmask_b32_e64 v65, 0, v65, s1
	v_cmp_gt_i32_e64 s1, s31, v5
	v_cndmask_b32_e64 v64, 0, v64, s1
	v_cmp_gt_i32_e64 s1, s31, v7
	;; [unrolled: 2-line block ×3, first 2 shown]
	v_cndmask_b32_e64 v62, 0, v62, s1
.LBB194_422:                            ;   in Loop: Header=BB194_285 Depth=1
	s_or_b32 exec_lo, exec_lo, s24
	global_load_dword v66, v[15:16], off offset:512
	v_mov_b32_e32 v19, 0
	v_mov_b32_e32 v17, 0
	;; [unrolled: 1-line block ×4, first 2 shown]
	s_waitcnt vmcnt(0)
	v_cmp_ne_u16_sdwa s1, v66, v6 src0_sel:BYTE_0 src1_sel:DWORD
	s_and_saveexec_b32 s24, s1
	s_cbranch_execz .LBB194_430
; %bb.423:                              ;   in Loop: Header=BB194_285 Depth=1
	v_bfrev_b32_e32 v17, 1
	v_mov_b32_e32 v18, 0
	v_cmp_ne_u16_sdwa s1, v66, v30 src0_sel:BYTE_0 src1_sel:DWORD
	s_and_saveexec_b32 s25, s1
	s_cbranch_execz .LBB194_429
; %bb.424:                              ;   in Loop: Header=BB194_285 Depth=1
	v_mov_b32_e32 v17, 0x7f800001
	v_and_b32_e32 v9, 0x7f, v66
	v_mov_b32_e32 v18, 0
	s_mov_b32 s26, exec_lo
	v_cmpx_ne_u32_e32 0x7f, v9
	s_cbranch_execz .LBB194_428
; %bb.425:                              ;   in Loop: Header=BB194_285 Depth=1
	v_and_b32_e32 v5, 7, v66
	v_lshrrev_b32_e32 v7, 3, v9
	s_mov_b32 s27, exec_lo
	v_cmpx_gt_u32_e32 8, v9
; %bb.426:                              ;   in Loop: Header=BB194_285 Depth=1
	v_ffbh_u32_e32 v7, v5
	v_min_u32_e32 v7, 32, v7
	v_subrev_nc_u32_e32 v9, 28, v7
	v_sub_nc_u32_e32 v7, 29, v7
	v_lshlrev_b64 v[17:18], v9, v[5:6]
	v_and_b32_e32 v5, 7, v17
; %bb.427:                              ;   in Loop: Header=BB194_285 Depth=1
	s_or_b32 exec_lo, exec_lo, s27
	v_lshlrev_b32_e32 v9, 24, v66
	v_lshlrev_b32_e32 v5, 20, v5
	v_lshl_add_u32 v7, v7, 23, 0x3c000000
	v_and_b32_e32 v9, 0x80000000, v9
	v_or3_b32 v5, v5, v9, v7
	v_mov_b32_e32 v18, v6
	v_mov_b32_e32 v17, v5
.LBB194_428:                            ;   in Loop: Header=BB194_285 Depth=1
	s_or_b32 exec_lo, exec_lo, s26
.LBB194_429:                            ;   in Loop: Header=BB194_285 Depth=1
	s_or_b32 exec_lo, exec_lo, s25
.LBB194_430:                            ;   in Loop: Header=BB194_285 Depth=1
	s_or_b32 exec_lo, exec_lo, s24
	v_cmp_ne_u16_sdwa s1, v66, v6 src0_sel:BYTE_1 src1_sel:DWORD
	s_and_saveexec_b32 s24, s1
	s_cbranch_execz .LBB194_438
; %bb.431:                              ;   in Loop: Header=BB194_285 Depth=1
	v_mov_b32_e32 v7, v6
	v_mov_b32_e32 v20, v8
	v_cmp_ne_u16_sdwa s1, v66, v30 src0_sel:BYTE_1 src1_sel:DWORD
	v_mov_b32_e32 v19, v7
	s_and_saveexec_b32 s25, s1
	s_cbranch_execz .LBB194_437
; %bb.432:                              ;   in Loop: Header=BB194_285 Depth=1
	v_and_b32_sdwa v5, v39, v66 dst_sel:DWORD dst_unused:UNUSED_PAD src0_sel:DWORD src1_sel:BYTE_1
	v_mov_b32_e32 v9, v6
	v_mov_b32_e32 v20, v10
	s_mov_b32 s26, exec_lo
	v_and_b32_e32 v21, 0x7f, v5
	v_mov_b32_e32 v19, v9
	v_cmpx_ne_u32_e32 0x7f, v21
	s_cbranch_execz .LBB194_436
; %bb.433:                              ;   in Loop: Header=BB194_285 Depth=1
	v_and_b32_e32 v5, 7, v5
	v_lshrrev_b32_e32 v7, 3, v21
	s_mov_b32 s27, exec_lo
	v_cmpx_gt_u32_e32 8, v21
; %bb.434:                              ;   in Loop: Header=BB194_285 Depth=1
	v_ffbh_u32_e32 v7, v5
	v_min_u32_e32 v7, 32, v7
	v_subrev_nc_u32_e32 v9, 28, v7
	v_sub_nc_u32_e32 v7, 29, v7
	v_lshlrev_b64 v[19:20], v9, v[5:6]
	v_and_b32_e32 v5, 7, v19
; %bb.435:                              ;   in Loop: Header=BB194_285 Depth=1
	s_or_b32 exec_lo, exec_lo, s27
	v_lshlrev_b32_e32 v9, 16, v66
	v_lshlrev_b32_e32 v5, 20, v5
	v_lshl_add_u32 v7, v7, 23, 0x3c000000
	v_mov_b32_e32 v19, v6
	v_and_b32_e32 v9, 0x80000000, v9
	v_or3_b32 v20, v5, v9, v7
.LBB194_436:                            ;   in Loop: Header=BB194_285 Depth=1
	s_or_b32 exec_lo, exec_lo, s26
.LBB194_437:                            ;   in Loop: Header=BB194_285 Depth=1
	s_or_b32 exec_lo, exec_lo, s25
.LBB194_438:                            ;   in Loop: Header=BB194_285 Depth=1
	s_or_b32 exec_lo, exec_lo, s24
	v_mov_b32_e32 v23, 0
	v_mov_b32_e32 v21, 0
	v_and_b32_sdwa v5, v66, v40 dst_sel:DWORD dst_unused:UNUSED_PAD src0_sel:WORD_1 src1_sel:DWORD
	v_mov_b32_e32 v24, 0
	v_mov_b32_e32 v22, 0
	s_mov_b32 s24, exec_lo
	v_cmpx_ne_u16_e32 0, v5
	s_cbranch_execz .LBB194_446
; %bb.439:                              ;   in Loop: Header=BB194_285 Depth=1
	v_bfrev_b32_e32 v21, 1
	v_mov_b32_e32 v22, 0
	s_mov_b32 s25, exec_lo
	v_cmpx_ne_u16_e32 0x80, v5
	s_cbranch_execz .LBB194_445
; %bb.440:                              ;   in Loop: Header=BB194_285 Depth=1
	v_mov_b32_e32 v21, 0x7f800001
	v_bfe_u32 v9, v66, 16, 7
	v_mov_b32_e32 v22, 0
	s_mov_b32 s26, exec_lo
	v_cmpx_ne_u32_e32 0x7f, v9
	s_cbranch_execz .LBB194_444
; %bb.441:                              ;   in Loop: Header=BB194_285 Depth=1
	v_and_b32_sdwa v5, v66, v43 dst_sel:DWORD dst_unused:UNUSED_PAD src0_sel:WORD_1 src1_sel:DWORD
	v_lshrrev_b32_e32 v7, 3, v9
	s_mov_b32 s27, exec_lo
	v_cmpx_gt_u32_e32 8, v9
; %bb.442:                              ;   in Loop: Header=BB194_285 Depth=1
	v_ffbh_u32_e32 v7, v5
	v_min_u32_e32 v7, 32, v7
	v_subrev_nc_u32_e32 v9, 28, v7
	v_sub_nc_u32_e32 v7, 29, v7
	v_lshlrev_b64 v[21:22], v9, v[5:6]
	v_and_b32_e32 v5, 7, v21
; %bb.443:                              ;   in Loop: Header=BB194_285 Depth=1
	s_or_b32 exec_lo, exec_lo, s27
	v_lshlrev_b32_sdwa v9, v44, v66 dst_sel:DWORD dst_unused:UNUSED_PAD src0_sel:DWORD src1_sel:WORD_1
	v_lshlrev_b32_e32 v5, 20, v5
	v_lshl_add_u32 v7, v7, 23, 0x3c000000
	v_and_b32_e32 v9, 0x80000000, v9
	v_or3_b32 v5, v5, v9, v7
	v_mov_b32_e32 v22, v6
	v_mov_b32_e32 v21, v5
.LBB194_444:                            ;   in Loop: Header=BB194_285 Depth=1
	s_or_b32 exec_lo, exec_lo, s26
.LBB194_445:                            ;   in Loop: Header=BB194_285 Depth=1
	s_or_b32 exec_lo, exec_lo, s25
.LBB194_446:                            ;   in Loop: Header=BB194_285 Depth=1
	s_or_b32 exec_lo, exec_lo, s24
	s_mov_b32 s24, exec_lo
	v_cmpx_lt_u32_e32 0xffffff, v66
	s_cbranch_execz .LBB194_454
; %bb.447:                              ;   in Loop: Header=BB194_285 Depth=1
	v_mov_b32_e32 v7, v6
	v_mov_b32_e32 v24, v8
	v_cmp_ne_u32_sdwa s1, v66, v30 src0_sel:BYTE_3 src1_sel:DWORD
	v_mov_b32_e32 v23, v7
	s_and_saveexec_b32 s25, s1
	s_cbranch_execz .LBB194_453
; %bb.448:                              ;   in Loop: Header=BB194_285 Depth=1
	v_mov_b32_e32 v9, v6
	v_mov_b32_e32 v24, v10
	v_bfe_u32 v67, v66, 24, 7
	s_mov_b32 s26, exec_lo
	v_mov_b32_e32 v23, v9
	v_cmpx_ne_u32_e32 0x7f, v67
	s_cbranch_execz .LBB194_452
; %bb.449:                              ;   in Loop: Header=BB194_285 Depth=1
	v_and_b32_sdwa v5, v66, v43 dst_sel:DWORD dst_unused:UNUSED_PAD src0_sel:BYTE_3 src1_sel:DWORD
	v_lshrrev_b32_e32 v7, 3, v67
	s_mov_b32 s27, exec_lo
	v_cmpx_gt_u32_e32 8, v67
; %bb.450:                              ;   in Loop: Header=BB194_285 Depth=1
	v_ffbh_u32_e32 v7, v5
	v_min_u32_e32 v7, 32, v7
	v_subrev_nc_u32_e32 v9, 28, v7
	v_sub_nc_u32_e32 v7, 29, v7
	v_lshlrev_b64 v[23:24], v9, v[5:6]
	v_and_b32_e32 v5, 7, v23
; %bb.451:                              ;   in Loop: Header=BB194_285 Depth=1
	s_or_b32 exec_lo, exec_lo, s27
	v_lshlrev_b32_sdwa v9, v44, v66 dst_sel:DWORD dst_unused:UNUSED_PAD src0_sel:DWORD src1_sel:BYTE_3
	v_lshlrev_b32_e32 v5, 20, v5
	v_lshl_add_u32 v7, v7, 23, 0x3c000000
	v_mov_b32_e32 v23, v6
	v_and_b32_e32 v9, 0x80000000, v9
	v_or3_b32 v24, v5, v9, v7
.LBB194_452:                            ;   in Loop: Header=BB194_285 Depth=1
	s_or_b32 exec_lo, exec_lo, s26
.LBB194_453:                            ;   in Loop: Header=BB194_285 Depth=1
	s_or_b32 exec_lo, exec_lo, s25
.LBB194_454:                            ;   in Loop: Header=BB194_285 Depth=1
	s_or_b32 exec_lo, exec_lo, s24
	v_or_b32_e32 v5, v20, v18
	v_or_b32_e32 v7, v19, v17
	;; [unrolled: 1-line block ×4, first 2 shown]
	v_mul_f32_e32 v68, s22, v5
	v_mul_f32_e32 v69, s21, v7
	;; [unrolled: 1-line block ×4, first 2 shown]
	s_and_saveexec_b32 s24, s0
	s_cbranch_execz .LBB194_456
; %bb.455:                              ;   in Loop: Header=BB194_285 Depth=1
	v_add_nc_u32_e32 v5, 1, v53
	v_cmp_gt_i32_e64 s1, s31, v53
	v_add_nc_u32_e32 v7, 2, v53
	v_add_nc_u32_e32 v9, 3, v53
	v_cndmask_b32_e64 v69, 0, v69, s1
	v_cmp_gt_i32_e64 s1, s31, v5
	v_cndmask_b32_e64 v68, 0, v68, s1
	v_cmp_gt_i32_e64 s1, s31, v7
	;; [unrolled: 2-line block ×3, first 2 shown]
	v_cndmask_b32_e64 v66, 0, v66, s1
.LBB194_456:                            ;   in Loop: Header=BB194_285 Depth=1
	s_or_b32 exec_lo, exec_lo, s24
	global_load_dword v70, v[15:16], off offset:640
	v_mov_b32_e32 v19, 0
	v_mov_b32_e32 v17, 0
	;; [unrolled: 1-line block ×4, first 2 shown]
	s_waitcnt vmcnt(0)
	v_cmp_ne_u16_sdwa s1, v70, v6 src0_sel:BYTE_0 src1_sel:DWORD
	s_and_saveexec_b32 s24, s1
	s_cbranch_execz .LBB194_464
; %bb.457:                              ;   in Loop: Header=BB194_285 Depth=1
	v_bfrev_b32_e32 v17, 1
	v_mov_b32_e32 v18, 0
	v_cmp_ne_u16_sdwa s1, v70, v30 src0_sel:BYTE_0 src1_sel:DWORD
	s_and_saveexec_b32 s25, s1
	s_cbranch_execz .LBB194_463
; %bb.458:                              ;   in Loop: Header=BB194_285 Depth=1
	v_mov_b32_e32 v17, 0x7f800001
	v_and_b32_e32 v9, 0x7f, v70
	v_mov_b32_e32 v18, 0
	s_mov_b32 s26, exec_lo
	v_cmpx_ne_u32_e32 0x7f, v9
	s_cbranch_execz .LBB194_462
; %bb.459:                              ;   in Loop: Header=BB194_285 Depth=1
	v_and_b32_e32 v5, 7, v70
	v_lshrrev_b32_e32 v7, 3, v9
	s_mov_b32 s27, exec_lo
	v_cmpx_gt_u32_e32 8, v9
; %bb.460:                              ;   in Loop: Header=BB194_285 Depth=1
	v_ffbh_u32_e32 v7, v5
	v_min_u32_e32 v7, 32, v7
	v_subrev_nc_u32_e32 v9, 28, v7
	v_sub_nc_u32_e32 v7, 29, v7
	v_lshlrev_b64 v[17:18], v9, v[5:6]
	v_and_b32_e32 v5, 7, v17
; %bb.461:                              ;   in Loop: Header=BB194_285 Depth=1
	s_or_b32 exec_lo, exec_lo, s27
	v_lshlrev_b32_e32 v9, 24, v70
	v_lshlrev_b32_e32 v5, 20, v5
	v_lshl_add_u32 v7, v7, 23, 0x3c000000
	v_and_b32_e32 v9, 0x80000000, v9
	v_or3_b32 v5, v5, v9, v7
	v_mov_b32_e32 v18, v6
	v_mov_b32_e32 v17, v5
.LBB194_462:                            ;   in Loop: Header=BB194_285 Depth=1
	s_or_b32 exec_lo, exec_lo, s26
.LBB194_463:                            ;   in Loop: Header=BB194_285 Depth=1
	s_or_b32 exec_lo, exec_lo, s25
.LBB194_464:                            ;   in Loop: Header=BB194_285 Depth=1
	s_or_b32 exec_lo, exec_lo, s24
	v_cmp_ne_u16_sdwa s1, v70, v6 src0_sel:BYTE_1 src1_sel:DWORD
	s_and_saveexec_b32 s24, s1
	s_cbranch_execz .LBB194_472
; %bb.465:                              ;   in Loop: Header=BB194_285 Depth=1
	v_mov_b32_e32 v7, v6
	v_mov_b32_e32 v20, v8
	v_cmp_ne_u16_sdwa s1, v70, v30 src0_sel:BYTE_1 src1_sel:DWORD
	v_mov_b32_e32 v19, v7
	s_and_saveexec_b32 s25, s1
	s_cbranch_execz .LBB194_471
; %bb.466:                              ;   in Loop: Header=BB194_285 Depth=1
	v_and_b32_sdwa v5, v39, v70 dst_sel:DWORD dst_unused:UNUSED_PAD src0_sel:DWORD src1_sel:BYTE_1
	v_mov_b32_e32 v9, v6
	v_mov_b32_e32 v20, v10
	s_mov_b32 s26, exec_lo
	v_and_b32_e32 v21, 0x7f, v5
	v_mov_b32_e32 v19, v9
	v_cmpx_ne_u32_e32 0x7f, v21
	s_cbranch_execz .LBB194_470
; %bb.467:                              ;   in Loop: Header=BB194_285 Depth=1
	v_and_b32_e32 v5, 7, v5
	v_lshrrev_b32_e32 v7, 3, v21
	s_mov_b32 s27, exec_lo
	v_cmpx_gt_u32_e32 8, v21
; %bb.468:                              ;   in Loop: Header=BB194_285 Depth=1
	v_ffbh_u32_e32 v7, v5
	v_min_u32_e32 v7, 32, v7
	v_subrev_nc_u32_e32 v9, 28, v7
	v_sub_nc_u32_e32 v7, 29, v7
	v_lshlrev_b64 v[19:20], v9, v[5:6]
	v_and_b32_e32 v5, 7, v19
; %bb.469:                              ;   in Loop: Header=BB194_285 Depth=1
	s_or_b32 exec_lo, exec_lo, s27
	v_lshlrev_b32_e32 v9, 16, v70
	v_lshlrev_b32_e32 v5, 20, v5
	v_lshl_add_u32 v7, v7, 23, 0x3c000000
	v_mov_b32_e32 v19, v6
	v_and_b32_e32 v9, 0x80000000, v9
	v_or3_b32 v20, v5, v9, v7
.LBB194_470:                            ;   in Loop: Header=BB194_285 Depth=1
	s_or_b32 exec_lo, exec_lo, s26
.LBB194_471:                            ;   in Loop: Header=BB194_285 Depth=1
	s_or_b32 exec_lo, exec_lo, s25
.LBB194_472:                            ;   in Loop: Header=BB194_285 Depth=1
	s_or_b32 exec_lo, exec_lo, s24
	v_mov_b32_e32 v23, 0
	v_mov_b32_e32 v21, 0
	v_and_b32_sdwa v5, v70, v40 dst_sel:DWORD dst_unused:UNUSED_PAD src0_sel:WORD_1 src1_sel:DWORD
	v_mov_b32_e32 v24, 0
	v_mov_b32_e32 v22, 0
	s_mov_b32 s24, exec_lo
	v_cmpx_ne_u16_e32 0, v5
	s_cbranch_execz .LBB194_480
; %bb.473:                              ;   in Loop: Header=BB194_285 Depth=1
	v_bfrev_b32_e32 v21, 1
	v_mov_b32_e32 v22, 0
	s_mov_b32 s25, exec_lo
	v_cmpx_ne_u16_e32 0x80, v5
	s_cbranch_execz .LBB194_479
; %bb.474:                              ;   in Loop: Header=BB194_285 Depth=1
	v_mov_b32_e32 v21, 0x7f800001
	v_bfe_u32 v9, v70, 16, 7
	v_mov_b32_e32 v22, 0
	s_mov_b32 s26, exec_lo
	v_cmpx_ne_u32_e32 0x7f, v9
	s_cbranch_execz .LBB194_478
; %bb.475:                              ;   in Loop: Header=BB194_285 Depth=1
	v_and_b32_sdwa v5, v70, v43 dst_sel:DWORD dst_unused:UNUSED_PAD src0_sel:WORD_1 src1_sel:DWORD
	v_lshrrev_b32_e32 v7, 3, v9
	s_mov_b32 s27, exec_lo
	v_cmpx_gt_u32_e32 8, v9
; %bb.476:                              ;   in Loop: Header=BB194_285 Depth=1
	v_ffbh_u32_e32 v7, v5
	v_min_u32_e32 v7, 32, v7
	v_subrev_nc_u32_e32 v9, 28, v7
	v_sub_nc_u32_e32 v7, 29, v7
	v_lshlrev_b64 v[21:22], v9, v[5:6]
	v_and_b32_e32 v5, 7, v21
; %bb.477:                              ;   in Loop: Header=BB194_285 Depth=1
	s_or_b32 exec_lo, exec_lo, s27
	v_lshlrev_b32_sdwa v9, v44, v70 dst_sel:DWORD dst_unused:UNUSED_PAD src0_sel:DWORD src1_sel:WORD_1
	v_lshlrev_b32_e32 v5, 20, v5
	v_lshl_add_u32 v7, v7, 23, 0x3c000000
	v_and_b32_e32 v9, 0x80000000, v9
	v_or3_b32 v5, v5, v9, v7
	v_mov_b32_e32 v22, v6
	v_mov_b32_e32 v21, v5
.LBB194_478:                            ;   in Loop: Header=BB194_285 Depth=1
	s_or_b32 exec_lo, exec_lo, s26
.LBB194_479:                            ;   in Loop: Header=BB194_285 Depth=1
	s_or_b32 exec_lo, exec_lo, s25
.LBB194_480:                            ;   in Loop: Header=BB194_285 Depth=1
	s_or_b32 exec_lo, exec_lo, s24
	s_mov_b32 s24, exec_lo
	v_cmpx_lt_u32_e32 0xffffff, v70
	s_cbranch_execz .LBB194_488
; %bb.481:                              ;   in Loop: Header=BB194_285 Depth=1
	v_mov_b32_e32 v7, v6
	v_mov_b32_e32 v24, v8
	v_cmp_ne_u32_sdwa s1, v70, v30 src0_sel:BYTE_3 src1_sel:DWORD
	v_mov_b32_e32 v23, v7
	s_and_saveexec_b32 s25, s1
	s_cbranch_execz .LBB194_487
; %bb.482:                              ;   in Loop: Header=BB194_285 Depth=1
	v_mov_b32_e32 v9, v6
	v_mov_b32_e32 v24, v10
	v_bfe_u32 v71, v70, 24, 7
	s_mov_b32 s26, exec_lo
	v_mov_b32_e32 v23, v9
	v_cmpx_ne_u32_e32 0x7f, v71
	s_cbranch_execz .LBB194_486
; %bb.483:                              ;   in Loop: Header=BB194_285 Depth=1
	v_and_b32_sdwa v5, v70, v43 dst_sel:DWORD dst_unused:UNUSED_PAD src0_sel:BYTE_3 src1_sel:DWORD
	v_lshrrev_b32_e32 v7, 3, v71
	s_mov_b32 s27, exec_lo
	v_cmpx_gt_u32_e32 8, v71
; %bb.484:                              ;   in Loop: Header=BB194_285 Depth=1
	v_ffbh_u32_e32 v7, v5
	v_min_u32_e32 v7, 32, v7
	v_subrev_nc_u32_e32 v9, 28, v7
	v_sub_nc_u32_e32 v7, 29, v7
	v_lshlrev_b64 v[23:24], v9, v[5:6]
	v_and_b32_e32 v5, 7, v23
; %bb.485:                              ;   in Loop: Header=BB194_285 Depth=1
	s_or_b32 exec_lo, exec_lo, s27
	v_lshlrev_b32_sdwa v9, v44, v70 dst_sel:DWORD dst_unused:UNUSED_PAD src0_sel:DWORD src1_sel:BYTE_3
	v_lshlrev_b32_e32 v5, 20, v5
	v_lshl_add_u32 v7, v7, 23, 0x3c000000
	v_mov_b32_e32 v23, v6
	v_and_b32_e32 v9, 0x80000000, v9
	v_or3_b32 v24, v5, v9, v7
.LBB194_486:                            ;   in Loop: Header=BB194_285 Depth=1
	s_or_b32 exec_lo, exec_lo, s26
.LBB194_487:                            ;   in Loop: Header=BB194_285 Depth=1
	s_or_b32 exec_lo, exec_lo, s25
.LBB194_488:                            ;   in Loop: Header=BB194_285 Depth=1
	s_or_b32 exec_lo, exec_lo, s24
	v_or_b32_e32 v5, v20, v18
	v_or_b32_e32 v7, v19, v17
	;; [unrolled: 1-line block ×4, first 2 shown]
	v_mul_f32_e32 v70, s22, v5
	v_mul_f32_e32 v71, s21, v7
	;; [unrolled: 1-line block ×4, first 2 shown]
	s_and_saveexec_b32 s24, s0
	s_cbranch_execz .LBB194_490
; %bb.489:                              ;   in Loop: Header=BB194_285 Depth=1
	v_add_nc_u32_e32 v5, 1, v53
	v_cmp_gt_i32_e64 s1, s31, v53
	v_add_nc_u32_e32 v7, 2, v53
	v_add_nc_u32_e32 v9, 3, v53
	v_cndmask_b32_e64 v71, 0, v71, s1
	v_cmp_gt_i32_e64 s1, s31, v5
	v_cndmask_b32_e64 v70, 0, v70, s1
	v_cmp_gt_i32_e64 s1, s31, v7
	;; [unrolled: 2-line block ×3, first 2 shown]
	v_cndmask_b32_e64 v23, 0, v23, s1
.LBB194_490:                            ;   in Loop: Header=BB194_285 Depth=1
	s_or_b32 exec_lo, exec_lo, s24
	global_load_dword v72, v[15:16], off offset:768
	v_mov_b32_e32 v17, 0
	v_mov_b32_e32 v15, 0
	;; [unrolled: 1-line block ×4, first 2 shown]
	s_waitcnt vmcnt(0)
	v_cmp_ne_u16_sdwa s1, v72, v6 src0_sel:BYTE_0 src1_sel:DWORD
	s_and_saveexec_b32 s24, s1
	s_cbranch_execz .LBB194_498
; %bb.491:                              ;   in Loop: Header=BB194_285 Depth=1
	v_bfrev_b32_e32 v15, 1
	v_mov_b32_e32 v16, 0
	v_cmp_ne_u16_sdwa s1, v72, v30 src0_sel:BYTE_0 src1_sel:DWORD
	s_and_saveexec_b32 s25, s1
	s_cbranch_execz .LBB194_497
; %bb.492:                              ;   in Loop: Header=BB194_285 Depth=1
	v_mov_b32_e32 v15, 0x7f800001
	v_and_b32_e32 v9, 0x7f, v72
	v_mov_b32_e32 v16, 0
	s_mov_b32 s26, exec_lo
	v_cmpx_ne_u32_e32 0x7f, v9
	s_cbranch_execz .LBB194_496
; %bb.493:                              ;   in Loop: Header=BB194_285 Depth=1
	v_and_b32_e32 v5, 7, v72
	v_lshrrev_b32_e32 v7, 3, v9
	s_mov_b32 s27, exec_lo
	v_cmpx_gt_u32_e32 8, v9
; %bb.494:                              ;   in Loop: Header=BB194_285 Depth=1
	v_ffbh_u32_e32 v7, v5
	v_min_u32_e32 v7, 32, v7
	v_subrev_nc_u32_e32 v9, 28, v7
	v_sub_nc_u32_e32 v7, 29, v7
	v_lshlrev_b64 v[15:16], v9, v[5:6]
	v_and_b32_e32 v5, 7, v15
; %bb.495:                              ;   in Loop: Header=BB194_285 Depth=1
	s_or_b32 exec_lo, exec_lo, s27
	v_lshlrev_b32_e32 v9, 24, v72
	v_lshlrev_b32_e32 v5, 20, v5
	v_lshl_add_u32 v7, v7, 23, 0x3c000000
	v_and_b32_e32 v9, 0x80000000, v9
	v_or3_b32 v5, v5, v9, v7
	v_mov_b32_e32 v16, v6
	v_mov_b32_e32 v15, v5
.LBB194_496:                            ;   in Loop: Header=BB194_285 Depth=1
	s_or_b32 exec_lo, exec_lo, s26
.LBB194_497:                            ;   in Loop: Header=BB194_285 Depth=1
	s_or_b32 exec_lo, exec_lo, s25
.LBB194_498:                            ;   in Loop: Header=BB194_285 Depth=1
	s_or_b32 exec_lo, exec_lo, s24
	v_cmp_ne_u16_sdwa s1, v72, v6 src0_sel:BYTE_1 src1_sel:DWORD
	s_and_saveexec_b32 s24, s1
	s_cbranch_execz .LBB194_506
; %bb.499:                              ;   in Loop: Header=BB194_285 Depth=1
	v_mov_b32_e32 v7, v6
	v_mov_b32_e32 v18, v8
	v_cmp_ne_u16_sdwa s1, v72, v30 src0_sel:BYTE_1 src1_sel:DWORD
	v_mov_b32_e32 v17, v7
	s_and_saveexec_b32 s25, s1
	s_cbranch_execz .LBB194_505
; %bb.500:                              ;   in Loop: Header=BB194_285 Depth=1
	v_and_b32_sdwa v5, v39, v72 dst_sel:DWORD dst_unused:UNUSED_PAD src0_sel:DWORD src1_sel:BYTE_1
	v_mov_b32_e32 v9, v6
	v_mov_b32_e32 v18, v10
	s_mov_b32 s26, exec_lo
	v_and_b32_e32 v19, 0x7f, v5
	v_mov_b32_e32 v17, v9
	v_cmpx_ne_u32_e32 0x7f, v19
	s_cbranch_execz .LBB194_504
; %bb.501:                              ;   in Loop: Header=BB194_285 Depth=1
	v_and_b32_e32 v5, 7, v5
	v_lshrrev_b32_e32 v7, 3, v19
	s_mov_b32 s27, exec_lo
	v_cmpx_gt_u32_e32 8, v19
; %bb.502:                              ;   in Loop: Header=BB194_285 Depth=1
	v_ffbh_u32_e32 v7, v5
	v_min_u32_e32 v7, 32, v7
	v_subrev_nc_u32_e32 v9, 28, v7
	v_sub_nc_u32_e32 v7, 29, v7
	v_lshlrev_b64 v[17:18], v9, v[5:6]
	v_and_b32_e32 v5, 7, v17
; %bb.503:                              ;   in Loop: Header=BB194_285 Depth=1
	s_or_b32 exec_lo, exec_lo, s27
	v_lshlrev_b32_e32 v9, 16, v72
	v_lshlrev_b32_e32 v5, 20, v5
	v_lshl_add_u32 v7, v7, 23, 0x3c000000
	v_mov_b32_e32 v17, v6
	v_and_b32_e32 v9, 0x80000000, v9
	v_or3_b32 v18, v5, v9, v7
.LBB194_504:                            ;   in Loop: Header=BB194_285 Depth=1
	s_or_b32 exec_lo, exec_lo, s26
.LBB194_505:                            ;   in Loop: Header=BB194_285 Depth=1
	s_or_b32 exec_lo, exec_lo, s25
.LBB194_506:                            ;   in Loop: Header=BB194_285 Depth=1
	s_or_b32 exec_lo, exec_lo, s24
	v_mov_b32_e32 v21, 0
	v_mov_b32_e32 v19, 0
	v_and_b32_sdwa v5, v72, v40 dst_sel:DWORD dst_unused:UNUSED_PAD src0_sel:WORD_1 src1_sel:DWORD
	v_mov_b32_e32 v22, 0
	v_mov_b32_e32 v20, 0
	s_mov_b32 s24, exec_lo
	v_cmpx_ne_u16_e32 0, v5
	s_cbranch_execz .LBB194_514
; %bb.507:                              ;   in Loop: Header=BB194_285 Depth=1
	v_bfrev_b32_e32 v19, 1
	v_mov_b32_e32 v20, 0
	s_mov_b32 s25, exec_lo
	v_cmpx_ne_u16_e32 0x80, v5
	s_cbranch_execz .LBB194_513
; %bb.508:                              ;   in Loop: Header=BB194_285 Depth=1
	v_mov_b32_e32 v19, 0x7f800001
	v_bfe_u32 v9, v72, 16, 7
	v_mov_b32_e32 v20, 0
	s_mov_b32 s26, exec_lo
	v_cmpx_ne_u32_e32 0x7f, v9
	s_cbranch_execz .LBB194_512
; %bb.509:                              ;   in Loop: Header=BB194_285 Depth=1
	v_and_b32_sdwa v5, v72, v43 dst_sel:DWORD dst_unused:UNUSED_PAD src0_sel:WORD_1 src1_sel:DWORD
	v_lshrrev_b32_e32 v7, 3, v9
	s_mov_b32 s27, exec_lo
	v_cmpx_gt_u32_e32 8, v9
; %bb.510:                              ;   in Loop: Header=BB194_285 Depth=1
	v_ffbh_u32_e32 v7, v5
	v_min_u32_e32 v7, 32, v7
	v_subrev_nc_u32_e32 v9, 28, v7
	v_sub_nc_u32_e32 v7, 29, v7
	v_lshlrev_b64 v[19:20], v9, v[5:6]
	v_and_b32_e32 v5, 7, v19
; %bb.511:                              ;   in Loop: Header=BB194_285 Depth=1
	s_or_b32 exec_lo, exec_lo, s27
	v_lshlrev_b32_sdwa v9, v44, v72 dst_sel:DWORD dst_unused:UNUSED_PAD src0_sel:DWORD src1_sel:WORD_1
	v_lshlrev_b32_e32 v5, 20, v5
	v_lshl_add_u32 v7, v7, 23, 0x3c000000
	v_and_b32_e32 v9, 0x80000000, v9
	v_or3_b32 v5, v5, v9, v7
	v_mov_b32_e32 v20, v6
	v_mov_b32_e32 v19, v5
.LBB194_512:                            ;   in Loop: Header=BB194_285 Depth=1
	s_or_b32 exec_lo, exec_lo, s26
.LBB194_513:                            ;   in Loop: Header=BB194_285 Depth=1
	s_or_b32 exec_lo, exec_lo, s25
.LBB194_514:                            ;   in Loop: Header=BB194_285 Depth=1
	s_or_b32 exec_lo, exec_lo, s24
	s_mov_b32 s24, exec_lo
	v_cmpx_lt_u32_e32 0xffffff, v72
	s_cbranch_execz .LBB194_522
; %bb.515:                              ;   in Loop: Header=BB194_285 Depth=1
	v_mov_b32_e32 v7, v6
	v_mov_b32_e32 v22, v8
	v_cmp_ne_u32_sdwa s1, v72, v30 src0_sel:BYTE_3 src1_sel:DWORD
	v_mov_b32_e32 v21, v7
	s_and_saveexec_b32 s25, s1
	s_cbranch_execz .LBB194_521
; %bb.516:                              ;   in Loop: Header=BB194_285 Depth=1
	v_mov_b32_e32 v9, v6
	v_mov_b32_e32 v22, v10
	v_bfe_u32 v73, v72, 24, 7
	s_mov_b32 s26, exec_lo
	v_mov_b32_e32 v21, v9
	v_cmpx_ne_u32_e32 0x7f, v73
	s_cbranch_execz .LBB194_520
; %bb.517:                              ;   in Loop: Header=BB194_285 Depth=1
	v_and_b32_sdwa v5, v72, v43 dst_sel:DWORD dst_unused:UNUSED_PAD src0_sel:BYTE_3 src1_sel:DWORD
	v_lshrrev_b32_e32 v7, 3, v73
	s_mov_b32 s27, exec_lo
	v_cmpx_gt_u32_e32 8, v73
; %bb.518:                              ;   in Loop: Header=BB194_285 Depth=1
	v_ffbh_u32_e32 v7, v5
	v_min_u32_e32 v7, 32, v7
	v_subrev_nc_u32_e32 v9, 28, v7
	v_sub_nc_u32_e32 v7, 29, v7
	v_lshlrev_b64 v[21:22], v9, v[5:6]
	v_and_b32_e32 v5, 7, v21
; %bb.519:                              ;   in Loop: Header=BB194_285 Depth=1
	s_or_b32 exec_lo, exec_lo, s27
	v_lshlrev_b32_sdwa v9, v44, v72 dst_sel:DWORD dst_unused:UNUSED_PAD src0_sel:DWORD src1_sel:BYTE_3
	v_lshlrev_b32_e32 v5, 20, v5
	v_lshl_add_u32 v7, v7, 23, 0x3c000000
	v_mov_b32_e32 v21, v6
	v_and_b32_e32 v9, 0x80000000, v9
	v_or3_b32 v22, v5, v9, v7
.LBB194_520:                            ;   in Loop: Header=BB194_285 Depth=1
	s_or_b32 exec_lo, exec_lo, s26
.LBB194_521:                            ;   in Loop: Header=BB194_285 Depth=1
	s_or_b32 exec_lo, exec_lo, s25
.LBB194_522:                            ;   in Loop: Header=BB194_285 Depth=1
	s_or_b32 exec_lo, exec_lo, s24
	v_or_b32_e32 v5, v18, v16
	v_or_b32_e32 v7, v17, v15
	;; [unrolled: 1-line block ×4, first 2 shown]
	v_mul_f32_e32 v72, s22, v5
	v_mul_f32_e32 v73, s21, v7
	;; [unrolled: 1-line block ×4, first 2 shown]
	s_and_saveexec_b32 s24, s0
	s_cbranch_execz .LBB194_524
; %bb.523:                              ;   in Loop: Header=BB194_285 Depth=1
	v_add_nc_u32_e32 v5, 1, v53
	v_cmp_gt_i32_e64 s1, s31, v53
	v_add_nc_u32_e32 v7, 2, v53
	v_add_nc_u32_e32 v9, 3, v53
	v_cndmask_b32_e64 v73, 0, v73, s1
	v_cmp_gt_i32_e64 s1, s31, v5
	v_cndmask_b32_e64 v72, 0, v72, s1
	v_cmp_gt_i32_e64 s1, s31, v7
	;; [unrolled: 2-line block ×3, first 2 shown]
	v_cndmask_b32_e64 v21, 0, v21, s1
.LBB194_524:                            ;   in Loop: Header=BB194_285 Depth=1
	s_or_b32 exec_lo, exec_lo, s24
	s_and_saveexec_b32 s24, vcc_lo
	s_cbranch_execz .LBB194_283
; %bb.525:                              ;   in Loop: Header=BB194_285 Depth=1
	v_add_co_u32 v13, s1, v13, v46
	v_add_co_ci_u32_e64 v14, null, 0, v14, s1
	v_mov_b32_e32 v15, 0
	v_mov_b32_e32 v16, 0
	global_load_dword v74, v[13:14], off
	v_mov_b32_e32 v13, 0
	v_mov_b32_e32 v14, 0
	s_waitcnt vmcnt(0)
	v_cmp_ne_u16_sdwa s1, v74, v6 src0_sel:BYTE_0 src1_sel:DWORD
	s_and_saveexec_b32 s25, s1
	s_cbranch_execz .LBB194_533
; %bb.526:                              ;   in Loop: Header=BB194_285 Depth=1
	v_bfrev_b32_e32 v13, 1
	v_mov_b32_e32 v14, 0
	v_cmp_ne_u16_sdwa s1, v74, v30 src0_sel:BYTE_0 src1_sel:DWORD
	s_and_saveexec_b32 s26, s1
	s_cbranch_execz .LBB194_532
; %bb.527:                              ;   in Loop: Header=BB194_285 Depth=1
	v_mov_b32_e32 v13, 0x7f800001
	v_and_b32_e32 v9, 0x7f, v74
	v_mov_b32_e32 v14, 0
	s_mov_b32 s27, exec_lo
	v_cmpx_ne_u32_e32 0x7f, v9
	s_cbranch_execz .LBB194_531
; %bb.528:                              ;   in Loop: Header=BB194_285 Depth=1
	v_and_b32_e32 v5, 7, v74
	v_lshrrev_b32_e32 v7, 3, v9
	s_mov_b32 s30, exec_lo
	v_cmpx_gt_u32_e32 8, v9
; %bb.529:                              ;   in Loop: Header=BB194_285 Depth=1
	v_ffbh_u32_e32 v7, v5
	v_min_u32_e32 v7, 32, v7
	v_subrev_nc_u32_e32 v9, 28, v7
	v_sub_nc_u32_e32 v7, 29, v7
	v_lshlrev_b64 v[13:14], v9, v[5:6]
	v_and_b32_e32 v5, 7, v13
; %bb.530:                              ;   in Loop: Header=BB194_285 Depth=1
	s_or_b32 exec_lo, exec_lo, s30
	v_lshlrev_b32_e32 v9, 24, v74
	v_lshlrev_b32_e32 v5, 20, v5
	v_lshl_add_u32 v7, v7, 23, 0x3c000000
	v_and_b32_e32 v9, 0x80000000, v9
	v_or3_b32 v5, v5, v9, v7
	v_mov_b32_e32 v14, v6
	v_mov_b32_e32 v13, v5
.LBB194_531:                            ;   in Loop: Header=BB194_285 Depth=1
	s_or_b32 exec_lo, exec_lo, s27
.LBB194_532:                            ;   in Loop: Header=BB194_285 Depth=1
	s_or_b32 exec_lo, exec_lo, s26
.LBB194_533:                            ;   in Loop: Header=BB194_285 Depth=1
	s_or_b32 exec_lo, exec_lo, s25
	v_cmp_ne_u16_sdwa s1, v74, v6 src0_sel:BYTE_1 src1_sel:DWORD
	s_and_saveexec_b32 s25, s1
	s_cbranch_execz .LBB194_541
; %bb.534:                              ;   in Loop: Header=BB194_285 Depth=1
	v_mov_b32_e32 v7, v6
	v_mov_b32_e32 v16, v8
	v_cmp_ne_u16_sdwa s1, v74, v30 src0_sel:BYTE_1 src1_sel:DWORD
	v_mov_b32_e32 v15, v7
	s_and_saveexec_b32 s26, s1
	s_cbranch_execz .LBB194_540
; %bb.535:                              ;   in Loop: Header=BB194_285 Depth=1
	v_and_b32_sdwa v5, v39, v74 dst_sel:DWORD dst_unused:UNUSED_PAD src0_sel:DWORD src1_sel:BYTE_1
	v_mov_b32_e32 v9, v6
	v_mov_b32_e32 v16, v10
	s_mov_b32 s27, exec_lo
	v_and_b32_e32 v17, 0x7f, v5
	v_mov_b32_e32 v15, v9
	v_cmpx_ne_u32_e32 0x7f, v17
	s_cbranch_execz .LBB194_539
; %bb.536:                              ;   in Loop: Header=BB194_285 Depth=1
	v_and_b32_e32 v5, 7, v5
	v_lshrrev_b32_e32 v7, 3, v17
	s_mov_b32 s30, exec_lo
	v_cmpx_gt_u32_e32 8, v17
; %bb.537:                              ;   in Loop: Header=BB194_285 Depth=1
	v_ffbh_u32_e32 v7, v5
	v_min_u32_e32 v7, 32, v7
	v_subrev_nc_u32_e32 v9, 28, v7
	v_sub_nc_u32_e32 v7, 29, v7
	v_lshlrev_b64 v[15:16], v9, v[5:6]
	v_and_b32_e32 v5, 7, v15
; %bb.538:                              ;   in Loop: Header=BB194_285 Depth=1
	s_or_b32 exec_lo, exec_lo, s30
	v_lshlrev_b32_e32 v9, 16, v74
	v_lshlrev_b32_e32 v5, 20, v5
	v_lshl_add_u32 v7, v7, 23, 0x3c000000
	v_mov_b32_e32 v15, v6
	v_and_b32_e32 v9, 0x80000000, v9
	v_or3_b32 v16, v5, v9, v7
.LBB194_539:                            ;   in Loop: Header=BB194_285 Depth=1
	s_or_b32 exec_lo, exec_lo, s27
.LBB194_540:                            ;   in Loop: Header=BB194_285 Depth=1
	s_or_b32 exec_lo, exec_lo, s26
.LBB194_541:                            ;   in Loop: Header=BB194_285 Depth=1
	s_or_b32 exec_lo, exec_lo, s25
	v_mov_b32_e32 v19, 0
	v_mov_b32_e32 v17, 0
	v_and_b32_sdwa v5, v74, v40 dst_sel:DWORD dst_unused:UNUSED_PAD src0_sel:WORD_1 src1_sel:DWORD
	v_mov_b32_e32 v20, 0
	v_mov_b32_e32 v18, 0
	s_mov_b32 s25, exec_lo
	v_cmpx_ne_u16_e32 0, v5
	s_cbranch_execz .LBB194_549
; %bb.542:                              ;   in Loop: Header=BB194_285 Depth=1
	v_bfrev_b32_e32 v17, 1
	v_mov_b32_e32 v18, 0
	s_mov_b32 s26, exec_lo
	v_cmpx_ne_u16_e32 0x80, v5
	s_cbranch_execz .LBB194_548
; %bb.543:                              ;   in Loop: Header=BB194_285 Depth=1
	v_mov_b32_e32 v17, 0x7f800001
	v_bfe_u32 v9, v74, 16, 7
	v_mov_b32_e32 v18, 0
	s_mov_b32 s27, exec_lo
	v_cmpx_ne_u32_e32 0x7f, v9
	s_cbranch_execz .LBB194_547
; %bb.544:                              ;   in Loop: Header=BB194_285 Depth=1
	v_and_b32_sdwa v5, v74, v43 dst_sel:DWORD dst_unused:UNUSED_PAD src0_sel:WORD_1 src1_sel:DWORD
	v_lshrrev_b32_e32 v7, 3, v9
	s_mov_b32 s30, exec_lo
	v_cmpx_gt_u32_e32 8, v9
; %bb.545:                              ;   in Loop: Header=BB194_285 Depth=1
	v_ffbh_u32_e32 v7, v5
	v_min_u32_e32 v7, 32, v7
	v_subrev_nc_u32_e32 v9, 28, v7
	v_sub_nc_u32_e32 v7, 29, v7
	v_lshlrev_b64 v[17:18], v9, v[5:6]
	v_and_b32_e32 v5, 7, v17
; %bb.546:                              ;   in Loop: Header=BB194_285 Depth=1
	s_or_b32 exec_lo, exec_lo, s30
	v_lshlrev_b32_sdwa v9, v44, v74 dst_sel:DWORD dst_unused:UNUSED_PAD src0_sel:DWORD src1_sel:WORD_1
	v_lshlrev_b32_e32 v5, 20, v5
	v_lshl_add_u32 v7, v7, 23, 0x3c000000
	v_and_b32_e32 v9, 0x80000000, v9
	v_or3_b32 v5, v5, v9, v7
	v_mov_b32_e32 v18, v6
	v_mov_b32_e32 v17, v5
.LBB194_547:                            ;   in Loop: Header=BB194_285 Depth=1
	s_or_b32 exec_lo, exec_lo, s27
.LBB194_548:                            ;   in Loop: Header=BB194_285 Depth=1
	s_or_b32 exec_lo, exec_lo, s26
.LBB194_549:                            ;   in Loop: Header=BB194_285 Depth=1
	s_or_b32 exec_lo, exec_lo, s25
	s_mov_b32 s25, exec_lo
	v_cmpx_lt_u32_e32 0xffffff, v74
	s_cbranch_execz .LBB194_557
; %bb.550:                              ;   in Loop: Header=BB194_285 Depth=1
	v_mov_b32_e32 v7, v6
	v_mov_b32_e32 v20, v8
	v_cmp_ne_u32_sdwa s1, v74, v30 src0_sel:BYTE_3 src1_sel:DWORD
	v_mov_b32_e32 v19, v7
	s_and_saveexec_b32 s26, s1
	s_cbranch_execz .LBB194_556
; %bb.551:                              ;   in Loop: Header=BB194_285 Depth=1
	v_mov_b32_e32 v9, v6
	v_mov_b32_e32 v20, v10
	v_bfe_u32 v75, v74, 24, 7
	s_mov_b32 s27, exec_lo
	v_mov_b32_e32 v19, v9
	v_cmpx_ne_u32_e32 0x7f, v75
	s_cbranch_execz .LBB194_555
; %bb.552:                              ;   in Loop: Header=BB194_285 Depth=1
	v_and_b32_sdwa v5, v74, v43 dst_sel:DWORD dst_unused:UNUSED_PAD src0_sel:BYTE_3 src1_sel:DWORD
	v_lshrrev_b32_e32 v7, 3, v75
	s_mov_b32 s30, exec_lo
	v_cmpx_gt_u32_e32 8, v75
; %bb.553:                              ;   in Loop: Header=BB194_285 Depth=1
	v_ffbh_u32_e32 v7, v5
	v_min_u32_e32 v7, 32, v7
	v_subrev_nc_u32_e32 v9, 28, v7
	v_sub_nc_u32_e32 v7, 29, v7
	v_lshlrev_b64 v[19:20], v9, v[5:6]
	v_and_b32_e32 v5, 7, v19
; %bb.554:                              ;   in Loop: Header=BB194_285 Depth=1
	s_or_b32 exec_lo, exec_lo, s30
	v_lshlrev_b32_sdwa v9, v44, v74 dst_sel:DWORD dst_unused:UNUSED_PAD src0_sel:DWORD src1_sel:BYTE_3
	v_lshlrev_b32_e32 v5, 20, v5
	v_lshl_add_u32 v7, v7, 23, 0x3c000000
	v_mov_b32_e32 v19, v6
	v_and_b32_e32 v9, 0x80000000, v9
	v_or3_b32 v20, v5, v9, v7
.LBB194_555:                            ;   in Loop: Header=BB194_285 Depth=1
	s_or_b32 exec_lo, exec_lo, s27
.LBB194_556:                            ;   in Loop: Header=BB194_285 Depth=1
	s_or_b32 exec_lo, exec_lo, s26
.LBB194_557:                            ;   in Loop: Header=BB194_285 Depth=1
	s_or_b32 exec_lo, exec_lo, s25
	v_or_b32_e32 v5, v16, v14
	v_or_b32_e32 v7, v15, v13
	;; [unrolled: 1-line block ×4, first 2 shown]
	v_mul_f32_e32 v9, s22, v5
	v_mul_f32_e32 v13, s21, v7
	v_mul_f32_e32 v7, s21, v14
	v_mul_f32_e32 v5, s22, v15
	s_and_saveexec_b32 s1, s0
	s_cbranch_execz .LBB194_282
; %bb.558:                              ;   in Loop: Header=BB194_285 Depth=1
	v_add_nc_u32_e32 v14, 1, v53
	v_cmp_gt_i32_e64 s0, s31, v53
	v_add_nc_u32_e32 v15, 2, v53
	v_add_nc_u32_e32 v16, 3, v53
	v_cndmask_b32_e64 v13, 0, v13, s0
	v_cmp_gt_i32_e64 s0, s31, v14
	v_cndmask_b32_e64 v9, 0, v9, s0
	v_cmp_gt_i32_e64 s0, s31, v15
	;; [unrolled: 2-line block ×3, first 2 shown]
	v_cndmask_b32_e64 v5, 0, v5, s0
	s_branch .LBB194_282
.LBB194_559:
	s_or_b32 exec_lo, exec_lo, s13
.LBB194_560:
	s_or_b32 exec_lo, exec_lo, s3
	ds_bpermute_b32 v1, v26, v37
	ds_bpermute_b32 v3, v26, v36
	;; [unrolled: 1-line block ×8, first 2 shown]
	s_movk_i32 s0, 0x1e0
	v_and_b32_e32 v11, 0x3c0, v0
	v_mad_u32_u24 v9, v41, s0, 0x200
	s_mov_b32 s1, exec_lo
	v_cmp_eq_u32_e32 vcc_lo, 0, v27
	s_waitcnt lgkmcnt(0)
	s_waitcnt_vscnt null, 0x0
	s_barrier
	buffer_gl0_inv
	v_add_f32_e32 v2, v37, v1
	v_add_f32_e32 v3, v36, v3
	;; [unrolled: 1-line block ×8, first 2 shown]
	v_cmpx_eq_u32_e32 64, v11
	s_cbranch_execz .LBB194_565
; %bb.561:
	v_add_nc_u32_e32 v10, 0xfffffc40, v9
	s_and_saveexec_b32 s0, vcc_lo
	s_cbranch_execz .LBB194_563
; %bb.562:
	v_lshl_add_u32 v11, v25, 2, v10
	ds_write2_b32 v11, v2, v3 offset1:16
	ds_write2_b32 v11, v4, v5 offset0:32 offset1:48
	ds_write2_b32 v11, v6, v7 offset0:64 offset1:80
	ds_write_b32 v11, v8 offset:384
.LBB194_563:
	s_or_b32 exec_lo, exec_lo, s0
	v_or_b32_e32 v11, 0x70, v25
	v_cmp_gt_u32_e64 s0, 0x78, v11
	s_and_b32 s0, vcc_lo, s0
	s_and_b32 exec_lo, exec_lo, s0
; %bb.564:
	v_lshl_add_u32 v10, v11, 2, v10
	ds_write_b32 v10, v1
.LBB194_565:
	s_or_b32 exec_lo, exec_lo, s1
	s_mov_b32 s1, exec_lo
	s_waitcnt lgkmcnt(0)
	s_barrier
	buffer_gl0_inv
	v_cmpx_gt_u32_e32 64, v0
	s_cbranch_execz .LBB194_577
; %bb.566:
	s_and_saveexec_b32 s0, vcc_lo
	s_cbranch_execnz .LBB194_600
; %bb.567:
	s_or_b32 exec_lo, exec_lo, s0
	s_and_saveexec_b32 s0, vcc_lo
	s_cbranch_execnz .LBB194_601
.LBB194_568:
	s_or_b32 exec_lo, exec_lo, s0
	s_and_saveexec_b32 s0, vcc_lo
	s_cbranch_execnz .LBB194_602
.LBB194_569:
	s_or_b32 exec_lo, exec_lo, s0
	s_and_saveexec_b32 s0, vcc_lo
	s_cbranch_execnz .LBB194_603
.LBB194_570:
	s_or_b32 exec_lo, exec_lo, s0
	s_and_saveexec_b32 s0, vcc_lo
	s_cbranch_execnz .LBB194_604
.LBB194_571:
	s_or_b32 exec_lo, exec_lo, s0
	s_and_saveexec_b32 s0, vcc_lo
	s_cbranch_execnz .LBB194_605
.LBB194_572:
	s_or_b32 exec_lo, exec_lo, s0
	s_and_saveexec_b32 s0, vcc_lo
	s_cbranch_execz .LBB194_574
.LBB194_573:
	v_lshl_add_u32 v10, v25, 2, v9
	ds_read_b32 v10, v10 offset:384
	s_waitcnt lgkmcnt(0)
	v_add_f32_e32 v8, v8, v10
.LBB194_574:
	s_or_b32 exec_lo, exec_lo, s0
	v_or_b32_e32 v10, 0x70, v25
	v_cmp_gt_u32_e64 s0, 0x78, v10
	s_and_b32 s3, vcc_lo, s0
	s_and_saveexec_b32 s0, s3
	s_cbranch_execz .LBB194_576
; %bb.575:
	v_lshl_add_u32 v10, v25, 2, v9
	ds_read_b32 v10, v10 offset:448
	s_waitcnt lgkmcnt(0)
	v_add_f32_e32 v1, v1, v10
.LBB194_576:
	s_or_b32 exec_lo, exec_lo, s0
.LBB194_577:
	s_or_b32 exec_lo, exec_lo, s1
	v_and_b32_e32 v10, 0x3e0, v0
	s_mov_b32 s1, exec_lo
	s_barrier
	buffer_gl0_inv
	v_cmpx_eq_u32_e32 32, v10
	s_cbranch_execz .LBB194_582
; %bb.578:
	v_lshl_add_u32 v10, v25, 2, 0x200
	s_and_saveexec_b32 s0, vcc_lo
	s_cbranch_execz .LBB194_580
; %bb.579:
	ds_write2_b32 v10, v2, v3 offset1:16
	ds_write2_b32 v10, v4, v5 offset0:32 offset1:48
	ds_write2_b32 v10, v6, v7 offset0:64 offset1:80
	ds_write_b32 v10, v8 offset:384
.LBB194_580:
	s_or_b32 exec_lo, exec_lo, s0
	v_or_b32_e32 v11, 0x70, v25
	v_cmp_gt_u32_e64 s0, 0x78, v11
	s_and_b32 s0, vcc_lo, s0
	s_and_b32 exec_lo, exec_lo, s0
; %bb.581:
	ds_write_b32 v10, v1 offset:448
.LBB194_582:
	s_or_b32 exec_lo, exec_lo, s1
	v_cmp_gt_u32_e64 s0, 32, v0
	s_waitcnt lgkmcnt(0)
	s_barrier
	buffer_gl0_inv
	s_and_saveexec_b32 s3, s0
	s_cbranch_execz .LBB194_594
; %bb.583:
	v_lshl_add_u32 v9, v25, 2, v9
	s_and_saveexec_b32 s1, vcc_lo
	s_cbranch_execnz .LBB194_606
; %bb.584:
	s_or_b32 exec_lo, exec_lo, s1
	s_and_saveexec_b32 s1, vcc_lo
	s_cbranch_execnz .LBB194_607
.LBB194_585:
	s_or_b32 exec_lo, exec_lo, s1
	s_and_saveexec_b32 s1, vcc_lo
	s_cbranch_execnz .LBB194_608
.LBB194_586:
	s_or_b32 exec_lo, exec_lo, s1
	s_and_saveexec_b32 s1, vcc_lo
	s_cbranch_execnz .LBB194_609
.LBB194_587:
	s_or_b32 exec_lo, exec_lo, s1
	s_and_saveexec_b32 s1, vcc_lo
	s_cbranch_execnz .LBB194_610
.LBB194_588:
	s_or_b32 exec_lo, exec_lo, s1
	s_and_saveexec_b32 s1, vcc_lo
	s_cbranch_execnz .LBB194_611
.LBB194_589:
	s_or_b32 exec_lo, exec_lo, s1
	s_and_saveexec_b32 s1, vcc_lo
	s_cbranch_execz .LBB194_591
.LBB194_590:
	ds_read_b32 v10, v9 offset:384
	s_waitcnt lgkmcnt(0)
	v_add_f32_e32 v8, v8, v10
.LBB194_591:
	s_or_b32 exec_lo, exec_lo, s1
	v_or_b32_e32 v10, 0x70, v25
	v_cmp_gt_u32_e64 s1, 0x78, v10
	s_and_b32 s4, vcc_lo, s1
	s_and_saveexec_b32 s1, s4
	s_cbranch_execz .LBB194_593
; %bb.592:
	ds_read_b32 v9, v9 offset:448
	s_waitcnt lgkmcnt(0)
	v_add_f32_e32 v1, v1, v9
.LBB194_593:
	s_or_b32 exec_lo, exec_lo, s1
.LBB194_594:
	s_or_b32 exec_lo, exec_lo, s3
	s_barrier
	buffer_gl0_inv
	s_and_saveexec_b32 s1, s0
	s_cbranch_execz .LBB194_599
; %bb.595:
	s_mul_i32 s0, s2, 0x78
	s_mul_i32 s2, s7, s10
	s_ashr_i32 s1, s0, 31
	v_lshrrev_b32_e32 v9, 1, v0
	s_lshl_b64 s[0:1], s[0:1], 2
	s_add_u32 s4, s28, s0
	s_addc_u32 s1, s29, s1
	s_ashr_i32 s3, s2, 31
	s_mul_i32 s0, s8, 0x78
	s_lshl_b64 s[2:3], s[2:3], 2
	v_lshlrev_b32_e32 v0, 2, v9
	s_add_u32 s2, s4, s2
	s_addc_u32 s3, s1, s3
	s_ashr_i32 s1, s0, 31
	s_lshl_b64 s[0:1], s[0:1], 2
	s_add_u32 s2, s2, s0
	s_addc_u32 s3, s3, s1
	s_and_saveexec_b32 s0, vcc_lo
	s_cbranch_execz .LBB194_597
; %bb.596:
	global_store_dword v0, v2, s[2:3]
	global_store_dword v0, v3, s[2:3] offset:64
	global_store_dword v0, v4, s[2:3] offset:128
	;; [unrolled: 1-line block ×6, first 2 shown]
.LBB194_597:
	s_or_b32 exec_lo, exec_lo, s0
	v_or_b32_e32 v2, 0x70, v9
	v_cmp_gt_u32_e64 s0, 0x78, v2
	s_and_b32 s0, vcc_lo, s0
	s_and_b32 exec_lo, exec_lo, s0
	s_cbranch_execz .LBB194_599
; %bb.598:
	global_store_dword v0, v1, s[2:3] offset:448
.LBB194_599:
	s_endpgm
.LBB194_600:
	v_lshl_add_u32 v10, v25, 2, v9
	ds_read_b32 v10, v10
	s_waitcnt lgkmcnt(0)
	v_add_f32_e32 v2, v2, v10
	s_or_b32 exec_lo, exec_lo, s0
	s_and_saveexec_b32 s0, vcc_lo
	s_cbranch_execz .LBB194_568
.LBB194_601:
	v_lshl_add_u32 v10, v25, 2, v9
	ds_read_b32 v10, v10 offset:64
	s_waitcnt lgkmcnt(0)
	v_add_f32_e32 v3, v3, v10
	s_or_b32 exec_lo, exec_lo, s0
	s_and_saveexec_b32 s0, vcc_lo
	s_cbranch_execz .LBB194_569
.LBB194_602:
	v_lshl_add_u32 v10, v25, 2, v9
	ds_read_b32 v10, v10 offset:128
	s_waitcnt lgkmcnt(0)
	v_add_f32_e32 v4, v4, v10
	s_or_b32 exec_lo, exec_lo, s0
	s_and_saveexec_b32 s0, vcc_lo
	s_cbranch_execz .LBB194_570
.LBB194_603:
	v_lshl_add_u32 v10, v25, 2, v9
	ds_read_b32 v10, v10 offset:192
	s_waitcnt lgkmcnt(0)
	v_add_f32_e32 v5, v5, v10
	s_or_b32 exec_lo, exec_lo, s0
	s_and_saveexec_b32 s0, vcc_lo
	s_cbranch_execz .LBB194_571
.LBB194_604:
	v_lshl_add_u32 v10, v25, 2, v9
	ds_read_b32 v10, v10 offset:256
	s_waitcnt lgkmcnt(0)
	v_add_f32_e32 v6, v6, v10
	s_or_b32 exec_lo, exec_lo, s0
	s_and_saveexec_b32 s0, vcc_lo
	s_cbranch_execz .LBB194_572
.LBB194_605:
	v_lshl_add_u32 v10, v25, 2, v9
	ds_read_b32 v10, v10 offset:320
	s_waitcnt lgkmcnt(0)
	v_add_f32_e32 v7, v7, v10
	s_or_b32 exec_lo, exec_lo, s0
	s_and_saveexec_b32 s0, vcc_lo
	s_cbranch_execnz .LBB194_573
	s_branch .LBB194_574
.LBB194_606:
	ds_read_b32 v10, v9
	s_waitcnt lgkmcnt(0)
	v_add_f32_e32 v2, v2, v10
	s_or_b32 exec_lo, exec_lo, s1
	s_and_saveexec_b32 s1, vcc_lo
	s_cbranch_execz .LBB194_585
.LBB194_607:
	ds_read_b32 v10, v9 offset:64
	s_waitcnt lgkmcnt(0)
	v_add_f32_e32 v3, v3, v10
	s_or_b32 exec_lo, exec_lo, s1
	s_and_saveexec_b32 s1, vcc_lo
	s_cbranch_execz .LBB194_586
.LBB194_608:
	ds_read_b32 v10, v9 offset:128
	s_waitcnt lgkmcnt(0)
	v_add_f32_e32 v4, v4, v10
	s_or_b32 exec_lo, exec_lo, s1
	s_and_saveexec_b32 s1, vcc_lo
	s_cbranch_execz .LBB194_587
.LBB194_609:
	ds_read_b32 v10, v9 offset:192
	s_waitcnt lgkmcnt(0)
	v_add_f32_e32 v5, v5, v10
	s_or_b32 exec_lo, exec_lo, s1
	s_and_saveexec_b32 s1, vcc_lo
	s_cbranch_execz .LBB194_588
.LBB194_610:
	ds_read_b32 v10, v9 offset:256
	s_waitcnt lgkmcnt(0)
	v_add_f32_e32 v6, v6, v10
	s_or_b32 exec_lo, exec_lo, s1
	s_and_saveexec_b32 s1, vcc_lo
	s_cbranch_execz .LBB194_589
.LBB194_611:
	ds_read_b32 v10, v9 offset:320
	s_waitcnt lgkmcnt(0)
	v_add_f32_e32 v7, v7, v10
	s_or_b32 exec_lo, exec_lo, s1
	s_and_saveexec_b32 s1, vcc_lo
	s_cbranch_execnz .LBB194_590
	s_branch .LBB194_591
	.section	.rodata,"a",@progbits
	.p2align	6, 0x0
	.amdhsa_kernel _ZN4vllm25paged_attention_v2_kernelIfhLi120ELi8ELi128ELNS_18Fp8KVCacheDataTypeE1ELb1ELi512EEEvPfS2_PT_PKS3_PKT0_S9_ifPKiSB_iPKfiiiSD_SD_iiiii
		.amdhsa_group_segment_fixed_size 512
		.amdhsa_private_segment_fixed_size 0
		.amdhsa_kernarg_size 400
		.amdhsa_user_sgpr_count 6
		.amdhsa_user_sgpr_private_segment_buffer 1
		.amdhsa_user_sgpr_dispatch_ptr 0
		.amdhsa_user_sgpr_queue_ptr 0
		.amdhsa_user_sgpr_kernarg_segment_ptr 1
		.amdhsa_user_sgpr_dispatch_id 0
		.amdhsa_user_sgpr_flat_scratch_init 0
		.amdhsa_user_sgpr_private_segment_size 0
		.amdhsa_wavefront_size32 1
		.amdhsa_uses_dynamic_stack 0
		.amdhsa_system_sgpr_private_segment_wavefront_offset 0
		.amdhsa_system_sgpr_workgroup_id_x 1
		.amdhsa_system_sgpr_workgroup_id_y 1
		.amdhsa_system_sgpr_workgroup_id_z 1
		.amdhsa_system_sgpr_workgroup_info 0
		.amdhsa_system_vgpr_workitem_id 0
		.amdhsa_next_free_vgpr 89
		.amdhsa_next_free_sgpr 53
		.amdhsa_reserve_vcc 1
		.amdhsa_reserve_flat_scratch 0
		.amdhsa_float_round_mode_32 0
		.amdhsa_float_round_mode_16_64 0
		.amdhsa_float_denorm_mode_32 3
		.amdhsa_float_denorm_mode_16_64 3
		.amdhsa_dx10_clamp 1
		.amdhsa_ieee_mode 1
		.amdhsa_fp16_overflow 0
		.amdhsa_workgroup_processor_mode 1
		.amdhsa_memory_ordered 1
		.amdhsa_forward_progress 1
		.amdhsa_shared_vgpr_count 0
		.amdhsa_exception_fp_ieee_invalid_op 0
		.amdhsa_exception_fp_denorm_src 0
		.amdhsa_exception_fp_ieee_div_zero 0
		.amdhsa_exception_fp_ieee_overflow 0
		.amdhsa_exception_fp_ieee_underflow 0
		.amdhsa_exception_fp_ieee_inexact 0
		.amdhsa_exception_int_div_zero 0
	.end_amdhsa_kernel
	.section	.text._ZN4vllm25paged_attention_v2_kernelIfhLi120ELi8ELi128ELNS_18Fp8KVCacheDataTypeE1ELb1ELi512EEEvPfS2_PT_PKS3_PKT0_S9_ifPKiSB_iPKfiiiSD_SD_iiiii,"axG",@progbits,_ZN4vllm25paged_attention_v2_kernelIfhLi120ELi8ELi128ELNS_18Fp8KVCacheDataTypeE1ELb1ELi512EEEvPfS2_PT_PKS3_PKT0_S9_ifPKiSB_iPKfiiiSD_SD_iiiii,comdat
.Lfunc_end194:
	.size	_ZN4vllm25paged_attention_v2_kernelIfhLi120ELi8ELi128ELNS_18Fp8KVCacheDataTypeE1ELb1ELi512EEEvPfS2_PT_PKS3_PKT0_S9_ifPKiSB_iPKfiiiSD_SD_iiiii, .Lfunc_end194-_ZN4vllm25paged_attention_v2_kernelIfhLi120ELi8ELi128ELNS_18Fp8KVCacheDataTypeE1ELb1ELi512EEEvPfS2_PT_PKS3_PKT0_S9_ifPKiSB_iPKfiiiSD_SD_iiiii
                                        ; -- End function
	.set _ZN4vllm25paged_attention_v2_kernelIfhLi120ELi8ELi128ELNS_18Fp8KVCacheDataTypeE1ELb1ELi512EEEvPfS2_PT_PKS3_PKT0_S9_ifPKiSB_iPKfiiiSD_SD_iiiii.num_vgpr, 89
	.set _ZN4vllm25paged_attention_v2_kernelIfhLi120ELi8ELi128ELNS_18Fp8KVCacheDataTypeE1ELb1ELi512EEEvPfS2_PT_PKS3_PKT0_S9_ifPKiSB_iPKfiiiSD_SD_iiiii.num_agpr, 0
	.set _ZN4vllm25paged_attention_v2_kernelIfhLi120ELi8ELi128ELNS_18Fp8KVCacheDataTypeE1ELb1ELi512EEEvPfS2_PT_PKS3_PKT0_S9_ifPKiSB_iPKfiiiSD_SD_iiiii.numbered_sgpr, 53
	.set _ZN4vllm25paged_attention_v2_kernelIfhLi120ELi8ELi128ELNS_18Fp8KVCacheDataTypeE1ELb1ELi512EEEvPfS2_PT_PKS3_PKT0_S9_ifPKiSB_iPKfiiiSD_SD_iiiii.num_named_barrier, 0
	.set _ZN4vllm25paged_attention_v2_kernelIfhLi120ELi8ELi128ELNS_18Fp8KVCacheDataTypeE1ELb1ELi512EEEvPfS2_PT_PKS3_PKT0_S9_ifPKiSB_iPKfiiiSD_SD_iiiii.private_seg_size, 0
	.set _ZN4vllm25paged_attention_v2_kernelIfhLi120ELi8ELi128ELNS_18Fp8KVCacheDataTypeE1ELb1ELi512EEEvPfS2_PT_PKS3_PKT0_S9_ifPKiSB_iPKfiiiSD_SD_iiiii.uses_vcc, 1
	.set _ZN4vllm25paged_attention_v2_kernelIfhLi120ELi8ELi128ELNS_18Fp8KVCacheDataTypeE1ELb1ELi512EEEvPfS2_PT_PKS3_PKT0_S9_ifPKiSB_iPKfiiiSD_SD_iiiii.uses_flat_scratch, 0
	.set _ZN4vllm25paged_attention_v2_kernelIfhLi120ELi8ELi128ELNS_18Fp8KVCacheDataTypeE1ELb1ELi512EEEvPfS2_PT_PKS3_PKT0_S9_ifPKiSB_iPKfiiiSD_SD_iiiii.has_dyn_sized_stack, 0
	.set _ZN4vllm25paged_attention_v2_kernelIfhLi120ELi8ELi128ELNS_18Fp8KVCacheDataTypeE1ELb1ELi512EEEvPfS2_PT_PKS3_PKT0_S9_ifPKiSB_iPKfiiiSD_SD_iiiii.has_recursion, 0
	.set _ZN4vllm25paged_attention_v2_kernelIfhLi120ELi8ELi128ELNS_18Fp8KVCacheDataTypeE1ELb1ELi512EEEvPfS2_PT_PKS3_PKT0_S9_ifPKiSB_iPKfiiiSD_SD_iiiii.has_indirect_call, 0
	.section	.AMDGPU.csdata,"",@progbits
; Kernel info:
; codeLenInByte = 17832
; TotalNumSgprs: 55
; NumVgprs: 89
; ScratchSize: 0
; MemoryBound: 0
; FloatMode: 240
; IeeeMode: 1
; LDSByteSize: 512 bytes/workgroup (compile time only)
; SGPRBlocks: 0
; VGPRBlocks: 11
; NumSGPRsForWavesPerEU: 55
; NumVGPRsForWavesPerEU: 89
; Occupancy: 10
; WaveLimiterHint : 1
; COMPUTE_PGM_RSRC2:SCRATCH_EN: 0
; COMPUTE_PGM_RSRC2:USER_SGPR: 6
; COMPUTE_PGM_RSRC2:TRAP_HANDLER: 0
; COMPUTE_PGM_RSRC2:TGID_X_EN: 1
; COMPUTE_PGM_RSRC2:TGID_Y_EN: 1
; COMPUTE_PGM_RSRC2:TGID_Z_EN: 1
; COMPUTE_PGM_RSRC2:TIDIG_COMP_CNT: 0
	.section	.text._ZN4vllm25paged_attention_v2_kernelIfhLi128ELi8ELi128ELNS_18Fp8KVCacheDataTypeE1ELb1ELi512EEEvPfS2_PT_PKS3_PKT0_S9_ifPKiSB_iPKfiiiSD_SD_iiiii,"axG",@progbits,_ZN4vllm25paged_attention_v2_kernelIfhLi128ELi8ELi128ELNS_18Fp8KVCacheDataTypeE1ELb1ELi512EEEvPfS2_PT_PKS3_PKT0_S9_ifPKiSB_iPKfiiiSD_SD_iiiii,comdat
	.protected	_ZN4vllm25paged_attention_v2_kernelIfhLi128ELi8ELi128ELNS_18Fp8KVCacheDataTypeE1ELb1ELi512EEEvPfS2_PT_PKS3_PKT0_S9_ifPKiSB_iPKfiiiSD_SD_iiiii ; -- Begin function _ZN4vllm25paged_attention_v2_kernelIfhLi128ELi8ELi128ELNS_18Fp8KVCacheDataTypeE1ELb1ELi512EEEvPfS2_PT_PKS3_PKT0_S9_ifPKiSB_iPKfiiiSD_SD_iiiii
	.globl	_ZN4vllm25paged_attention_v2_kernelIfhLi128ELi8ELi128ELNS_18Fp8KVCacheDataTypeE1ELb1ELi512EEEvPfS2_PT_PKS3_PKT0_S9_ifPKiSB_iPKfiiiSD_SD_iiiii
	.p2align	8
	.type	_ZN4vllm25paged_attention_v2_kernelIfhLi128ELi8ELi128ELNS_18Fp8KVCacheDataTypeE1ELb1ELi512EEEvPfS2_PT_PKS3_PKT0_S9_ifPKiSB_iPKfiiiSD_SD_iiiii,@function
_ZN4vllm25paged_attention_v2_kernelIfhLi128ELi8ELi128ELNS_18Fp8KVCacheDataTypeE1ELb1ELi512EEEvPfS2_PT_PKS3_PKT0_S9_ifPKiSB_iPKfiiiSD_SD_iiiii: ; @_ZN4vllm25paged_attention_v2_kernelIfhLi128ELi8ELi128ELNS_18Fp8KVCacheDataTypeE1ELb1ELi512EEEvPfS2_PT_PKS3_PKT0_S9_ifPKiSB_iPKfiiiSD_SD_iiiii
; %bb.0:
	s_load_dwordx2 s[0:1], s[4:5], 0x40
	s_mov_b32 s30, s7
	s_ashr_i32 s31, s7, 31
	s_lshl_b64 s[2:3], s[30:31], 2
	s_waitcnt lgkmcnt(0)
	s_add_u32 s0, s0, s2
	s_addc_u32 s1, s1, s3
	s_lshl_b32 s42, s8, 9
	s_load_dword s31, s[0:1], 0x0
	s_waitcnt lgkmcnt(0)
	s_cmp_ge_i32 s42, s31
	s_cbranch_scc1 .LBB195_600
; %bb.1:
	s_clause 0x1
	s_load_dword s9, s[4:5], 0x90
	s_load_dwordx2 s[40:41], s[4:5], 0x30
	s_mov_b32 s43, 0
	s_waitcnt lgkmcnt(0)
	s_abs_i32 s3, s9
	s_abs_i32 s0, s40
	v_cvt_f32_u32_e32 v1, s0
	s_sub_i32 s2, 0, s0
	v_rcp_iflag_f32_e32 v1, v1
	v_mul_f32_e32 v1, 0x4f7ffffe, v1
	v_cvt_u32_f32_e32 v1, v1
	v_readfirstlane_b32 s1, v1
	s_mul_i32 s2, s2, s1
	s_mul_hi_u32 s2, s1, s2
	s_add_i32 s1, s1, s2
	s_xor_b32 s2, s9, s40
	s_mul_hi_u32 s1, s3, s1
	s_ashr_i32 s2, s2, 31
	s_mul_i32 s7, s1, s0
	s_sub_i32 s3, s3, s7
	s_add_i32 s7, s1, 1
	s_sub_i32 s10, s3, s0
	s_cmp_ge_u32 s3, s0
	s_cselect_b32 s1, s7, s1
	s_cselect_b32 s3, s10, s3
	s_add_i32 s7, s1, 1
	s_cmp_ge_u32 s3, s0
	s_cselect_b32 s0, s7, s1
	s_xor_b32 s0, s0, s2
	s_sub_i32 s10, s0, s2
	s_load_dwordx2 s[0:1], s[4:5], 0x50
	s_abs_i32 s2, s10
	v_cvt_f32_u32_e32 v1, s2
	s_sub_i32 s3, 0, s2
	v_rcp_iflag_f32_e32 v1, v1
	v_mul_f32_e32 v1, 0x4f7ffffe, v1
	v_cvt_u32_f32_e32 v1, v1
	v_readfirstlane_b32 s7, v1
	s_mul_i32 s3, s3, s7
	s_mul_hi_u32 s11, s7, s3
	s_abs_i32 s3, s6
	s_add_i32 s7, s7, s11
	s_waitcnt lgkmcnt(0)
	s_cmp_eq_u64 s[0:1], 0
	s_mul_hi_u32 s12, s3, s7
	s_cbranch_scc1 .LBB195_3
; %bb.2:
	s_ashr_i32 s7, s6, 31
	s_lshl_b64 s[14:15], s[6:7], 2
	s_add_u32 s0, s0, s14
	s_addc_u32 s1, s1, s15
	s_load_dword s43, s[0:1], 0x0
.LBB195_3:
	s_load_dwordx4 s[16:19], s[4:5], 0x58
	v_and_b32_e32 v1, 3, v0
	v_lshlrev_b32_e32 v45, 2, v0
	s_ashr_i32 s0, s6, 31
	s_ashr_i32 s1, s10, 31
	s_lshl_b32 s10, s6, 7
	s_mov_b32 s7, exec_lo
	v_cmpx_gt_u32_e32 0x80, v0
	s_cbranch_execz .LBB195_5
; %bb.4:
	s_load_dwordx2 s[14:15], s[4:5], 0x18
	s_waitcnt lgkmcnt(0)
	s_mul_i32 s20, s16, s30
	v_and_b32_e32 v3, 0x3fc, v0
	s_ashr_i32 s21, s20, 31
	s_lshl_b64 s[20:21], s[20:21], 2
	v_lshl_add_u32 v3, v1, 7, v3
	s_add_u32 s13, s14, s20
	s_addc_u32 s16, s15, s21
	s_ashr_i32 s11, s10, 31
	s_lshl_b64 s[14:15], s[10:11], 2
	s_add_u32 s14, s13, s14
	s_addc_u32 s15, s16, s15
	global_load_dword v2, v45, s[14:15]
	s_waitcnt vmcnt(0)
	ds_write_b32 v3, v2
.LBB195_5:
	s_or_b32 exec_lo, exec_lo, s7
	s_load_dwordx4 s[20:23], s[4:5], 0x78
	s_mul_i32 s7, s12, s2
	s_xor_b32 s0, s0, s1
	s_sub_i32 s1, s3, s7
	s_add_i32 s3, s12, 1
	s_sub_i32 s7, s1, s2
	s_cmp_ge_u32 s1, s2
                                        ; implicit-def: $sgpr19
	s_cselect_b32 s3, s3, s12
	s_cselect_b32 s1, s7, s1
	s_add_i32 s7, s3, 1
	s_cmp_ge_u32 s1, s2
	s_mov_b32 s12, -1
	s_cselect_b32 s1, s7, s3
	s_load_dword s3, s[4:5], 0x88
	s_xor_b32 s1, s1, s0
	s_add_i32 s7, s31, -1
	s_sub_i32 s1, s1, s0
	s_abs_i32 s2, s7
	s_waitcnt lgkmcnt(0)
	s_abs_i32 s11, s23
	s_barrier
	v_cvt_f32_u32_e32 v2, s11
	s_sub_i32 s0, 0, s11
	buffer_gl0_inv
	v_rcp_iflag_f32_e32 v2, v2
	v_mul_f32_e32 v2, 0x4f7ffffe, v2
	v_cvt_u32_f32_e32 v2, v2
	v_readfirstlane_b32 s16, v2
	s_mul_i32 s0, s0, s16
	s_mul_hi_u32 s0, s16, s0
	s_add_i32 s16, s16, s0
	s_cmp_lt_i32 s3, 0
	s_mul_hi_u32 s0, s2, s16
	s_cbranch_scc0 .LBB195_7
; %bb.6:
	s_mul_i32 s12, s20, s40
	s_add_i32 s12, s1, s12
	s_mul_i32 s12, s12, s3
	s_sub_i32 s19, 1, s12
	s_mov_b32 s12, 0
.LBB195_7:
	s_load_dwordx2 s[34:35], s[4:5], 0x38
	s_ashr_i32 s33, s7, 31
	s_andn2_b32 vcc_lo, exec_lo, s12
	s_ashr_i32 s23, s23, 31
	s_cbranch_vccnz .LBB195_9
; %bb.8:
	s_mul_i32 s7, s9, s20
	s_add_i32 s7, s7, s6
	s_mul_i32 s3, s7, s3
	s_add_i32 s19, s3, 1
.LBB195_9:
	s_clause 0x5
	s_load_dword s3, s[4:5], 0x48
	s_load_dwordx2 s[38:39], s[4:5], 0x28
	s_load_dwordx4 s[24:27], s[4:5], 0x0
	s_load_dwordx2 s[28:29], s[4:5], 0x10
	s_load_dword s7, s[4:5], 0x98
	s_load_dwordx4 s[12:15], s[4:5], 0x68
	s_mul_i32 s20, s0, s11
	s_xor_b32 s40, s33, s23
	s_sub_i32 s2, s2, s20
	s_add_i32 s33, s0, 1
	v_lshrrev_b32_e32 v43, 5, v0
	v_mov_b32_e32 v47, 0xff7fffff
	v_mbcnt_lo_u32_b32 v46, -1, 0
	s_mul_i32 s18, s1, s18
	v_lshl_add_u32 v44, v43, 3, s42
	s_waitcnt lgkmcnt(0)
	s_mul_i32 s36, s3, s30
	s_sub_i32 s3, s2, s11
	s_ashr_i32 s37, s36, 31
	s_cmp_ge_u32 s2, s11
	s_cselect_b32 s0, s33, s0
	s_cselect_b32 s2, s3, s2
	s_add_i32 s3, s0, 1
	s_cmp_ge_u32 s2, s11
	s_cselect_b32 s0, s3, s0
	s_add_i32 s2, s31, 7
	s_lshl_b32 s44, s8, 6
	s_ashr_i32 s3, s2, 31
	v_or_b32_e32 v33, s44, v43
	s_lshr_b32 s3, s3, 29
	s_add_i32 s2, s2, s3
	s_add_i32 s3, s44, 64
	s_ashr_i32 s33, s2, 3
	s_xor_b32 s2, s0, s40
	s_min_i32 s20, s3, s33
	v_ashrrev_i32_e32 v34, 31, v33
	v_cmp_gt_i32_e64 s0, s20, v33
	s_sub_i32 s40, s2, s40
	s_and_saveexec_b32 s45, s0
	s_cbranch_execz .LBB195_277
; %bb.10:
	s_load_dwordx2 s[2:3], s[4:5], 0x20
	s_sub_i32 s4, s40, s21
	s_ashr_i32 s1, s18, 31
	v_bfe_u32 v48, v0, 2, 3
	v_mov_b32_e32 v36, 0
	v_lshlrev_b32_e32 v49, 7, v1
	v_lshl_add_u32 v50, v43, 3, s42
	v_mov_b32_e32 v51, 0xff7fffff
	v_lshlrev_b32_e32 v5, 2, v48
	v_subrev_nc_u32_e32 v6, s31, v48
	v_lshlrev_b32_e32 v7, 4, v48
	v_mov_b32_e32 v52, 0x7f
	v_mov_b32_e32 v53, 7
	v_lshl_or_b32 v5, v43, 5, v5
	v_add_nc_u32_e32 v54, 1, v6
	v_mov_b32_e32 v47, 0xff7fffff
	v_mov_b32_e32 v57, v33
	v_cmp_eq_u32_e32 vcc_lo, 0, v1
	v_add_nc_u32_e32 v55, 0x220, v5
	s_waitcnt lgkmcnt(0)
	s_add_u32 s46, s2, s18
	s_addc_u32 s47, s3, s1
	s_abs_i32 s5, s22
	v_add_co_u32 v6, s46, s46, v7
	v_cvt_f32_u32_e32 v2, s5
	s_sub_i32 s2, 0, s5
	v_add_co_ci_u32_e64 v7, null, s47, 0, s46
	v_cmp_neq_f32_e64 s1, s43, 0
	v_rcp_iflag_f32_e32 v4, v2
	v_lshlrev_b64 v[2:3], 2, v[33:34]
	s_mov_b32 s46, 0
	s_mov_b32 s47, s17
	v_mul_f32_e32 v4, 0x4f7ffffe, v4
	v_cvt_u32_f32_e32 v4, v4
	v_mul_lo_u32 v5, s2, v4
	s_lshl_b64 s[2:3], s[36:37], 2
	s_add_u32 s2, s34, s2
	s_addc_u32 s3, s35, s3
	v_add_co_u32 v37, s2, s2, v2
	v_add_co_ci_u32_e64 v38, null, s3, v3, s2
	v_mul_hi_u32 v5, v4, v5
	v_add_co_u32 v39, s2, v6, v1
	v_add_co_ci_u32_e64 v40, null, 0, v7, s2
	v_add_nc_u32_e32 v56, v4, v5
	s_branch .LBB195_13
.LBB195_11:                             ;   in Loop: Header=BB195_13 Depth=1
	s_or_b32 exec_lo, exec_lo, s48
.LBB195_12:                             ;   in Loop: Header=BB195_13 Depth=1
	s_or_b32 exec_lo, exec_lo, s3
	v_add_nc_u32_e32 v57, 4, v57
	v_add_co_u32 v37, s3, v37, 16
	v_add_co_ci_u32_e64 v38, null, 0, v38, s3
	v_cmp_le_i32_e64 s2, s20, v57
	v_add_nc_u32_e32 v50, 32, v50
	v_add_nc_u32_e32 v55, 0x80, v55
	s_or_b32 s46, s2, s46
	s_andn2_b32 exec_lo, exec_lo, s46
	s_cbranch_execz .LBB195_276
.LBB195_13:                             ; =>This Inner Loop Header: Depth=1
	v_sub_nc_u32_e32 v1, 0, v50
	v_max_i32_e32 v1, v50, v1
	s_waitcnt lgkmcnt(0)
	v_mul_hi_u32 v2, v1, s16
	v_mul_lo_u32 v3, v2, s11
	v_sub_nc_u32_e32 v1, v1, v3
	v_add_nc_u32_e32 v3, 1, v2
	v_subrev_nc_u32_e32 v4, s11, v1
	v_cmp_le_u32_e64 s2, s11, v1
	v_cndmask_b32_e64 v2, v2, v3, s2
	v_cndmask_b32_e64 v1, v1, v4, s2
	v_ashrrev_i32_e32 v3, 31, v50
	v_add_nc_u32_e32 v4, 1, v2
	v_cmp_le_u32_e64 s2, s11, v1
	v_xor_b32_e32 v3, s23, v3
	v_cndmask_b32_e64 v1, v2, v4, s2
	v_xor_b32_e32 v1, v1, v3
	v_sub_nc_u32_e32 v1, v1, v3
	v_add_nc_u32_e32 v2, s19, v1
	v_cmp_ge_i32_e64 s3, s4, v1
	v_sub_nc_u32_e32 v3, 0, v2
	v_max_i32_e32 v3, v2, v3
	v_ashrrev_i32_e32 v2, 31, v2
	v_mul_hi_u32 v4, v3, v56
	v_mul_lo_u32 v4, v4, s5
	v_sub_nc_u32_e32 v3, v3, v4
	v_subrev_nc_u32_e32 v4, s5, v3
	v_cmp_le_u32_e64 s2, s5, v3
	v_cndmask_b32_e64 v3, v3, v4, s2
	v_subrev_nc_u32_e32 v4, s5, v3
	v_cmp_le_u32_e64 s2, s5, v3
	v_cndmask_b32_e64 v3, v3, v4, s2
	v_xor_b32_e32 v3, v3, v2
	v_sub_nc_u32_e32 v2, v3, v2
	v_cmp_ne_u32_e64 s2, 0, v2
	s_and_b32 s2, s2, s3
	s_and_saveexec_b32 s3, s2
	s_xor_b32 s2, exec_lo, s3
	s_cbranch_execz .LBB195_17
; %bb.14:                               ;   in Loop: Header=BB195_13 Depth=1
	s_and_saveexec_b32 s3, vcc_lo
; %bb.15:                               ;   in Loop: Header=BB195_13 Depth=1
	ds_write_b32 v55, v51
; %bb.16:                               ;   in Loop: Header=BB195_13 Depth=1
	s_or_b32 exec_lo, exec_lo, s3
.LBB195_17:                             ;   in Loop: Header=BB195_13 Depth=1
	s_andn2_saveexec_b32 s3, s2
	s_cbranch_execz .LBB195_12
; %bb.18:                               ;   in Loop: Header=BB195_13 Depth=1
	global_load_dword v1, v[37:38], off
	v_mov_b32_e32 v58, 0
	v_mov_b32_e32 v59, 0
	s_mov_b32 s49, exec_lo
	s_waitcnt vmcnt(0)
	v_mad_i64_i32 v[41:42], null, v1, s47, v[39:40]
	global_load_ubyte v60, v[41:42], off
	ds_read_b128 v[29:32], v49
	ds_read_b128 v[25:28], v49 offset:16
	ds_read_b128 v[21:24], v49 offset:32
	;; [unrolled: 1-line block ×7, first 2 shown]
	s_load_dword s48, s[12:13], 0x0
	s_waitcnt vmcnt(0)
	v_cmpx_ne_u16_e32 0, v60
	s_cbranch_execz .LBB195_26
; %bb.19:                               ;   in Loop: Header=BB195_13 Depth=1
	v_bfrev_b32_e32 v59, 1
	s_mov_b32 s50, exec_lo
	v_cmpx_ne_u16_e32 0x80, v60
	s_cbranch_execz .LBB195_25
; %bb.20:                               ;   in Loop: Header=BB195_13 Depth=1
	v_and_b32_sdwa v61, v60, v52 dst_sel:DWORD dst_unused:UNUSED_PAD src0_sel:WORD_0 src1_sel:DWORD
	v_mov_b32_e32 v59, 0x7f800001
	s_mov_b32 s51, exec_lo
	v_cmpx_ne_u32_e32 0x7f, v61
	s_cbranch_execz .LBB195_24
; %bb.21:                               ;   in Loop: Header=BB195_13 Depth=1
	v_and_b32_sdwa v35, v60, v53 dst_sel:DWORD dst_unused:UNUSED_PAD src0_sel:WORD_0 src1_sel:DWORD
	v_lshrrev_b32_e32 v59, 3, v61
	s_mov_b32 s52, exec_lo
	v_cmpx_gt_u32_e32 8, v61
; %bb.22:                               ;   in Loop: Header=BB195_13 Depth=1
	v_ffbh_u32_e32 v59, v35
	v_min_u32_e32 v59, 32, v59
	v_subrev_nc_u32_e32 v61, 28, v59
	v_sub_nc_u32_e32 v59, 29, v59
	v_lshlrev_b64 v[61:62], v61, v[35:36]
	v_and_b32_e32 v35, 7, v61
; %bb.23:                               ;   in Loop: Header=BB195_13 Depth=1
	s_or_b32 exec_lo, exec_lo, s52
	v_lshlrev_b32_e32 v60, 24, v60
	v_lshlrev_b32_e32 v35, 20, v35
	v_lshl_add_u32 v59, v59, 23, 0x3c000000
	v_and_b32_e32 v60, 0x80000000, v60
	v_or3_b32 v59, v35, v60, v59
.LBB195_24:                             ;   in Loop: Header=BB195_13 Depth=1
	s_or_b32 exec_lo, exec_lo, s51
.LBB195_25:                             ;   in Loop: Header=BB195_13 Depth=1
	s_or_b32 exec_lo, exec_lo, s50
.LBB195_26:                             ;   in Loop: Header=BB195_13 Depth=1
	s_or_b32 exec_lo, exec_lo, s49
	global_load_ubyte v60, v[41:42], off offset:4
	s_mov_b32 s49, exec_lo
	s_waitcnt vmcnt(0)
	v_cmpx_ne_u16_e32 0, v60
	s_cbranch_execz .LBB195_34
; %bb.27:                               ;   in Loop: Header=BB195_13 Depth=1
	v_bfrev_b32_e32 v58, 1
	s_mov_b32 s50, exec_lo
	v_cmpx_ne_u16_e32 0x80, v60
	s_cbranch_execz .LBB195_33
; %bb.28:                               ;   in Loop: Header=BB195_13 Depth=1
	v_and_b32_sdwa v61, v60, v52 dst_sel:DWORD dst_unused:UNUSED_PAD src0_sel:WORD_0 src1_sel:DWORD
	v_mov_b32_e32 v58, 0x7f800001
	s_mov_b32 s51, exec_lo
	v_cmpx_ne_u32_e32 0x7f, v61
	s_cbranch_execz .LBB195_32
; %bb.29:                               ;   in Loop: Header=BB195_13 Depth=1
	v_and_b32_sdwa v35, v60, v53 dst_sel:DWORD dst_unused:UNUSED_PAD src0_sel:WORD_0 src1_sel:DWORD
	v_lshrrev_b32_e32 v58, 3, v61
	s_mov_b32 s52, exec_lo
	v_cmpx_gt_u32_e32 8, v61
; %bb.30:                               ;   in Loop: Header=BB195_13 Depth=1
	v_ffbh_u32_e32 v58, v35
	v_min_u32_e32 v58, 32, v58
	v_subrev_nc_u32_e32 v61, 28, v58
	v_sub_nc_u32_e32 v58, 29, v58
	v_lshlrev_b64 v[61:62], v61, v[35:36]
	v_and_b32_e32 v35, 7, v61
; %bb.31:                               ;   in Loop: Header=BB195_13 Depth=1
	s_or_b32 exec_lo, exec_lo, s52
	v_lshlrev_b32_e32 v60, 24, v60
	v_lshlrev_b32_e32 v35, 20, v35
	v_lshl_add_u32 v58, v58, 23, 0x3c000000
	v_and_b32_e32 v60, 0x80000000, v60
	v_or3_b32 v58, v35, v60, v58
.LBB195_32:                             ;   in Loop: Header=BB195_13 Depth=1
	s_or_b32 exec_lo, exec_lo, s51
.LBB195_33:                             ;   in Loop: Header=BB195_13 Depth=1
	s_or_b32 exec_lo, exec_lo, s50
.LBB195_34:                             ;   in Loop: Header=BB195_13 Depth=1
	s_or_b32 exec_lo, exec_lo, s49
	global_load_ubyte v62, v[41:42], off offset:8
	v_mov_b32_e32 v60, 0
	v_mov_b32_e32 v61, 0
	s_mov_b32 s49, exec_lo
	s_waitcnt vmcnt(0)
	v_cmpx_ne_u16_e32 0, v62
	s_cbranch_execz .LBB195_42
; %bb.35:                               ;   in Loop: Header=BB195_13 Depth=1
	v_bfrev_b32_e32 v61, 1
	s_mov_b32 s50, exec_lo
	v_cmpx_ne_u16_e32 0x80, v62
	s_cbranch_execz .LBB195_41
; %bb.36:                               ;   in Loop: Header=BB195_13 Depth=1
	v_and_b32_sdwa v63, v62, v52 dst_sel:DWORD dst_unused:UNUSED_PAD src0_sel:WORD_0 src1_sel:DWORD
	v_mov_b32_e32 v61, 0x7f800001
	s_mov_b32 s51, exec_lo
	v_cmpx_ne_u32_e32 0x7f, v63
	s_cbranch_execz .LBB195_40
; %bb.37:                               ;   in Loop: Header=BB195_13 Depth=1
	v_and_b32_sdwa v35, v62, v53 dst_sel:DWORD dst_unused:UNUSED_PAD src0_sel:WORD_0 src1_sel:DWORD
	v_lshrrev_b32_e32 v61, 3, v63
	s_mov_b32 s52, exec_lo
	v_cmpx_gt_u32_e32 8, v63
; %bb.38:                               ;   in Loop: Header=BB195_13 Depth=1
	v_ffbh_u32_e32 v61, v35
	v_min_u32_e32 v61, 32, v61
	v_subrev_nc_u32_e32 v63, 28, v61
	v_sub_nc_u32_e32 v61, 29, v61
	v_lshlrev_b64 v[63:64], v63, v[35:36]
	v_and_b32_e32 v35, 7, v63
; %bb.39:                               ;   in Loop: Header=BB195_13 Depth=1
	s_or_b32 exec_lo, exec_lo, s52
	v_lshlrev_b32_e32 v62, 24, v62
	v_lshlrev_b32_e32 v35, 20, v35
	v_lshl_add_u32 v61, v61, 23, 0x3c000000
	v_and_b32_e32 v62, 0x80000000, v62
	v_or3_b32 v61, v35, v62, v61
.LBB195_40:                             ;   in Loop: Header=BB195_13 Depth=1
	s_or_b32 exec_lo, exec_lo, s51
.LBB195_41:                             ;   in Loop: Header=BB195_13 Depth=1
	s_or_b32 exec_lo, exec_lo, s50
.LBB195_42:                             ;   in Loop: Header=BB195_13 Depth=1
	s_or_b32 exec_lo, exec_lo, s49
	global_load_ubyte v62, v[41:42], off offset:12
	s_mov_b32 s49, exec_lo
	s_waitcnt vmcnt(0)
	v_cmpx_ne_u16_e32 0, v62
	s_cbranch_execz .LBB195_50
; %bb.43:                               ;   in Loop: Header=BB195_13 Depth=1
	v_bfrev_b32_e32 v60, 1
	s_mov_b32 s50, exec_lo
	v_cmpx_ne_u16_e32 0x80, v62
	s_cbranch_execz .LBB195_49
; %bb.44:                               ;   in Loop: Header=BB195_13 Depth=1
	v_and_b32_sdwa v63, v62, v52 dst_sel:DWORD dst_unused:UNUSED_PAD src0_sel:WORD_0 src1_sel:DWORD
	v_mov_b32_e32 v60, 0x7f800001
	s_mov_b32 s51, exec_lo
	v_cmpx_ne_u32_e32 0x7f, v63
	s_cbranch_execz .LBB195_48
; %bb.45:                               ;   in Loop: Header=BB195_13 Depth=1
	v_and_b32_sdwa v35, v62, v53 dst_sel:DWORD dst_unused:UNUSED_PAD src0_sel:WORD_0 src1_sel:DWORD
	v_lshrrev_b32_e32 v60, 3, v63
	s_mov_b32 s52, exec_lo
	v_cmpx_gt_u32_e32 8, v63
; %bb.46:                               ;   in Loop: Header=BB195_13 Depth=1
	v_ffbh_u32_e32 v60, v35
	v_min_u32_e32 v60, 32, v60
	v_subrev_nc_u32_e32 v63, 28, v60
	v_sub_nc_u32_e32 v60, 29, v60
	v_lshlrev_b64 v[63:64], v63, v[35:36]
	v_and_b32_e32 v35, 7, v63
; %bb.47:                               ;   in Loop: Header=BB195_13 Depth=1
	s_or_b32 exec_lo, exec_lo, s52
	v_lshlrev_b32_e32 v62, 24, v62
	v_lshlrev_b32_e32 v35, 20, v35
	v_lshl_add_u32 v60, v60, 23, 0x3c000000
	v_and_b32_e32 v62, 0x80000000, v62
	v_or3_b32 v60, v35, v62, v60
.LBB195_48:                             ;   in Loop: Header=BB195_13 Depth=1
	s_or_b32 exec_lo, exec_lo, s51
.LBB195_49:                             ;   in Loop: Header=BB195_13 Depth=1
	s_or_b32 exec_lo, exec_lo, s50
.LBB195_50:                             ;   in Loop: Header=BB195_13 Depth=1
	s_or_b32 exec_lo, exec_lo, s49
	global_load_ubyte v64, v[41:42], off offset:128
	v_mov_b32_e32 v62, 0
	v_mov_b32_e32 v63, 0
	s_mov_b32 s49, exec_lo
	s_waitcnt vmcnt(0)
	v_cmpx_ne_u16_e32 0, v64
	s_cbranch_execz .LBB195_58
; %bb.51:                               ;   in Loop: Header=BB195_13 Depth=1
	v_bfrev_b32_e32 v63, 1
	s_mov_b32 s50, exec_lo
	v_cmpx_ne_u16_e32 0x80, v64
	s_cbranch_execz .LBB195_57
; %bb.52:                               ;   in Loop: Header=BB195_13 Depth=1
	v_and_b32_sdwa v65, v64, v52 dst_sel:DWORD dst_unused:UNUSED_PAD src0_sel:WORD_0 src1_sel:DWORD
	v_mov_b32_e32 v63, 0x7f800001
	s_mov_b32 s51, exec_lo
	v_cmpx_ne_u32_e32 0x7f, v65
	s_cbranch_execz .LBB195_56
; %bb.53:                               ;   in Loop: Header=BB195_13 Depth=1
	v_and_b32_sdwa v35, v64, v53 dst_sel:DWORD dst_unused:UNUSED_PAD src0_sel:WORD_0 src1_sel:DWORD
	v_lshrrev_b32_e32 v63, 3, v65
	s_mov_b32 s52, exec_lo
	v_cmpx_gt_u32_e32 8, v65
; %bb.54:                               ;   in Loop: Header=BB195_13 Depth=1
	v_ffbh_u32_e32 v63, v35
	v_min_u32_e32 v63, 32, v63
	v_subrev_nc_u32_e32 v65, 28, v63
	v_sub_nc_u32_e32 v63, 29, v63
	v_lshlrev_b64 v[65:66], v65, v[35:36]
	v_and_b32_e32 v35, 7, v65
; %bb.55:                               ;   in Loop: Header=BB195_13 Depth=1
	s_or_b32 exec_lo, exec_lo, s52
	v_lshlrev_b32_e32 v64, 24, v64
	v_lshlrev_b32_e32 v35, 20, v35
	v_lshl_add_u32 v63, v63, 23, 0x3c000000
	v_and_b32_e32 v64, 0x80000000, v64
	v_or3_b32 v63, v35, v64, v63
.LBB195_56:                             ;   in Loop: Header=BB195_13 Depth=1
	s_or_b32 exec_lo, exec_lo, s51
.LBB195_57:                             ;   in Loop: Header=BB195_13 Depth=1
	s_or_b32 exec_lo, exec_lo, s50
.LBB195_58:                             ;   in Loop: Header=BB195_13 Depth=1
	s_or_b32 exec_lo, exec_lo, s49
	global_load_ubyte v64, v[41:42], off offset:132
	s_mov_b32 s49, exec_lo
	s_waitcnt vmcnt(0)
	v_cmpx_ne_u16_e32 0, v64
	s_cbranch_execz .LBB195_66
; %bb.59:                               ;   in Loop: Header=BB195_13 Depth=1
	v_bfrev_b32_e32 v62, 1
	s_mov_b32 s50, exec_lo
	v_cmpx_ne_u16_e32 0x80, v64
	s_cbranch_execz .LBB195_65
; %bb.60:                               ;   in Loop: Header=BB195_13 Depth=1
	v_and_b32_sdwa v65, v64, v52 dst_sel:DWORD dst_unused:UNUSED_PAD src0_sel:WORD_0 src1_sel:DWORD
	v_mov_b32_e32 v62, 0x7f800001
	s_mov_b32 s51, exec_lo
	v_cmpx_ne_u32_e32 0x7f, v65
	s_cbranch_execz .LBB195_64
; %bb.61:                               ;   in Loop: Header=BB195_13 Depth=1
	v_and_b32_sdwa v35, v64, v53 dst_sel:DWORD dst_unused:UNUSED_PAD src0_sel:WORD_0 src1_sel:DWORD
	v_lshrrev_b32_e32 v62, 3, v65
	s_mov_b32 s52, exec_lo
	v_cmpx_gt_u32_e32 8, v65
; %bb.62:                               ;   in Loop: Header=BB195_13 Depth=1
	v_ffbh_u32_e32 v62, v35
	v_min_u32_e32 v62, 32, v62
	v_subrev_nc_u32_e32 v65, 28, v62
	v_sub_nc_u32_e32 v62, 29, v62
	v_lshlrev_b64 v[65:66], v65, v[35:36]
	v_and_b32_e32 v35, 7, v65
; %bb.63:                               ;   in Loop: Header=BB195_13 Depth=1
	s_or_b32 exec_lo, exec_lo, s52
	v_lshlrev_b32_e32 v64, 24, v64
	v_lshlrev_b32_e32 v35, 20, v35
	v_lshl_add_u32 v62, v62, 23, 0x3c000000
	v_and_b32_e32 v64, 0x80000000, v64
	v_or3_b32 v62, v35, v64, v62
.LBB195_64:                             ;   in Loop: Header=BB195_13 Depth=1
	s_or_b32 exec_lo, exec_lo, s51
.LBB195_65:                             ;   in Loop: Header=BB195_13 Depth=1
	s_or_b32 exec_lo, exec_lo, s50
.LBB195_66:                             ;   in Loop: Header=BB195_13 Depth=1
	s_or_b32 exec_lo, exec_lo, s49
	global_load_ubyte v66, v[41:42], off offset:136
	v_mov_b32_e32 v64, 0
	v_mov_b32_e32 v65, 0
	s_mov_b32 s49, exec_lo
	s_waitcnt vmcnt(0)
	v_cmpx_ne_u16_e32 0, v66
	s_cbranch_execz .LBB195_74
; %bb.67:                               ;   in Loop: Header=BB195_13 Depth=1
	v_bfrev_b32_e32 v65, 1
	s_mov_b32 s50, exec_lo
	v_cmpx_ne_u16_e32 0x80, v66
	s_cbranch_execz .LBB195_73
; %bb.68:                               ;   in Loop: Header=BB195_13 Depth=1
	v_and_b32_sdwa v67, v66, v52 dst_sel:DWORD dst_unused:UNUSED_PAD src0_sel:WORD_0 src1_sel:DWORD
	v_mov_b32_e32 v65, 0x7f800001
	s_mov_b32 s51, exec_lo
	v_cmpx_ne_u32_e32 0x7f, v67
	s_cbranch_execz .LBB195_72
; %bb.69:                               ;   in Loop: Header=BB195_13 Depth=1
	v_and_b32_sdwa v35, v66, v53 dst_sel:DWORD dst_unused:UNUSED_PAD src0_sel:WORD_0 src1_sel:DWORD
	v_lshrrev_b32_e32 v65, 3, v67
	s_mov_b32 s52, exec_lo
	v_cmpx_gt_u32_e32 8, v67
; %bb.70:                               ;   in Loop: Header=BB195_13 Depth=1
	v_ffbh_u32_e32 v65, v35
	v_min_u32_e32 v65, 32, v65
	v_subrev_nc_u32_e32 v67, 28, v65
	v_sub_nc_u32_e32 v65, 29, v65
	v_lshlrev_b64 v[67:68], v67, v[35:36]
	v_and_b32_e32 v35, 7, v67
; %bb.71:                               ;   in Loop: Header=BB195_13 Depth=1
	s_or_b32 exec_lo, exec_lo, s52
	v_lshlrev_b32_e32 v66, 24, v66
	v_lshlrev_b32_e32 v35, 20, v35
	v_lshl_add_u32 v65, v65, 23, 0x3c000000
	v_and_b32_e32 v66, 0x80000000, v66
	v_or3_b32 v65, v35, v66, v65
.LBB195_72:                             ;   in Loop: Header=BB195_13 Depth=1
	s_or_b32 exec_lo, exec_lo, s51
.LBB195_73:                             ;   in Loop: Header=BB195_13 Depth=1
	s_or_b32 exec_lo, exec_lo, s50
.LBB195_74:                             ;   in Loop: Header=BB195_13 Depth=1
	s_or_b32 exec_lo, exec_lo, s49
	global_load_ubyte v66, v[41:42], off offset:140
	s_mov_b32 s49, exec_lo
	s_waitcnt vmcnt(0)
	v_cmpx_ne_u16_e32 0, v66
	s_cbranch_execz .LBB195_82
; %bb.75:                               ;   in Loop: Header=BB195_13 Depth=1
	v_bfrev_b32_e32 v64, 1
	s_mov_b32 s50, exec_lo
	v_cmpx_ne_u16_e32 0x80, v66
	s_cbranch_execz .LBB195_81
; %bb.76:                               ;   in Loop: Header=BB195_13 Depth=1
	v_and_b32_sdwa v67, v66, v52 dst_sel:DWORD dst_unused:UNUSED_PAD src0_sel:WORD_0 src1_sel:DWORD
	v_mov_b32_e32 v64, 0x7f800001
	s_mov_b32 s51, exec_lo
	v_cmpx_ne_u32_e32 0x7f, v67
	s_cbranch_execz .LBB195_80
; %bb.77:                               ;   in Loop: Header=BB195_13 Depth=1
	v_and_b32_sdwa v35, v66, v53 dst_sel:DWORD dst_unused:UNUSED_PAD src0_sel:WORD_0 src1_sel:DWORD
	v_lshrrev_b32_e32 v64, 3, v67
	s_mov_b32 s52, exec_lo
	v_cmpx_gt_u32_e32 8, v67
; %bb.78:                               ;   in Loop: Header=BB195_13 Depth=1
	v_ffbh_u32_e32 v64, v35
	v_min_u32_e32 v64, 32, v64
	v_subrev_nc_u32_e32 v67, 28, v64
	v_sub_nc_u32_e32 v64, 29, v64
	v_lshlrev_b64 v[67:68], v67, v[35:36]
	v_and_b32_e32 v35, 7, v67
; %bb.79:                               ;   in Loop: Header=BB195_13 Depth=1
	s_or_b32 exec_lo, exec_lo, s52
	v_lshlrev_b32_e32 v66, 24, v66
	v_lshlrev_b32_e32 v35, 20, v35
	v_lshl_add_u32 v64, v64, 23, 0x3c000000
	v_and_b32_e32 v66, 0x80000000, v66
	v_or3_b32 v64, v35, v66, v64
.LBB195_80:                             ;   in Loop: Header=BB195_13 Depth=1
	s_or_b32 exec_lo, exec_lo, s51
.LBB195_81:                             ;   in Loop: Header=BB195_13 Depth=1
	s_or_b32 exec_lo, exec_lo, s50
.LBB195_82:                             ;   in Loop: Header=BB195_13 Depth=1
	s_or_b32 exec_lo, exec_lo, s49
	global_load_ubyte v68, v[41:42], off offset:256
	v_mov_b32_e32 v66, 0
	v_mov_b32_e32 v67, 0
	s_mov_b32 s49, exec_lo
	s_waitcnt vmcnt(0)
	v_cmpx_ne_u16_e32 0, v68
	s_cbranch_execz .LBB195_90
; %bb.83:                               ;   in Loop: Header=BB195_13 Depth=1
	v_bfrev_b32_e32 v67, 1
	s_mov_b32 s50, exec_lo
	v_cmpx_ne_u16_e32 0x80, v68
	s_cbranch_execz .LBB195_89
; %bb.84:                               ;   in Loop: Header=BB195_13 Depth=1
	v_and_b32_sdwa v69, v68, v52 dst_sel:DWORD dst_unused:UNUSED_PAD src0_sel:WORD_0 src1_sel:DWORD
	v_mov_b32_e32 v67, 0x7f800001
	s_mov_b32 s51, exec_lo
	v_cmpx_ne_u32_e32 0x7f, v69
	s_cbranch_execz .LBB195_88
; %bb.85:                               ;   in Loop: Header=BB195_13 Depth=1
	v_and_b32_sdwa v35, v68, v53 dst_sel:DWORD dst_unused:UNUSED_PAD src0_sel:WORD_0 src1_sel:DWORD
	v_lshrrev_b32_e32 v67, 3, v69
	s_mov_b32 s52, exec_lo
	v_cmpx_gt_u32_e32 8, v69
; %bb.86:                               ;   in Loop: Header=BB195_13 Depth=1
	v_ffbh_u32_e32 v67, v35
	v_min_u32_e32 v67, 32, v67
	v_subrev_nc_u32_e32 v69, 28, v67
	v_sub_nc_u32_e32 v67, 29, v67
	v_lshlrev_b64 v[69:70], v69, v[35:36]
	v_and_b32_e32 v35, 7, v69
; %bb.87:                               ;   in Loop: Header=BB195_13 Depth=1
	s_or_b32 exec_lo, exec_lo, s52
	v_lshlrev_b32_e32 v68, 24, v68
	v_lshlrev_b32_e32 v35, 20, v35
	v_lshl_add_u32 v67, v67, 23, 0x3c000000
	v_and_b32_e32 v68, 0x80000000, v68
	v_or3_b32 v67, v35, v68, v67
.LBB195_88:                             ;   in Loop: Header=BB195_13 Depth=1
	s_or_b32 exec_lo, exec_lo, s51
.LBB195_89:                             ;   in Loop: Header=BB195_13 Depth=1
	s_or_b32 exec_lo, exec_lo, s50
.LBB195_90:                             ;   in Loop: Header=BB195_13 Depth=1
	s_or_b32 exec_lo, exec_lo, s49
	global_load_ubyte v68, v[41:42], off offset:260
	s_mov_b32 s49, exec_lo
	s_waitcnt vmcnt(0)
	v_cmpx_ne_u16_e32 0, v68
	s_cbranch_execz .LBB195_98
; %bb.91:                               ;   in Loop: Header=BB195_13 Depth=1
	v_bfrev_b32_e32 v66, 1
	s_mov_b32 s50, exec_lo
	v_cmpx_ne_u16_e32 0x80, v68
	s_cbranch_execz .LBB195_97
; %bb.92:                               ;   in Loop: Header=BB195_13 Depth=1
	v_and_b32_sdwa v69, v68, v52 dst_sel:DWORD dst_unused:UNUSED_PAD src0_sel:WORD_0 src1_sel:DWORD
	v_mov_b32_e32 v66, 0x7f800001
	s_mov_b32 s51, exec_lo
	v_cmpx_ne_u32_e32 0x7f, v69
	s_cbranch_execz .LBB195_96
; %bb.93:                               ;   in Loop: Header=BB195_13 Depth=1
	v_and_b32_sdwa v35, v68, v53 dst_sel:DWORD dst_unused:UNUSED_PAD src0_sel:WORD_0 src1_sel:DWORD
	v_lshrrev_b32_e32 v66, 3, v69
	s_mov_b32 s52, exec_lo
	v_cmpx_gt_u32_e32 8, v69
; %bb.94:                               ;   in Loop: Header=BB195_13 Depth=1
	v_ffbh_u32_e32 v66, v35
	v_min_u32_e32 v66, 32, v66
	v_subrev_nc_u32_e32 v69, 28, v66
	v_sub_nc_u32_e32 v66, 29, v66
	v_lshlrev_b64 v[69:70], v69, v[35:36]
	v_and_b32_e32 v35, 7, v69
; %bb.95:                               ;   in Loop: Header=BB195_13 Depth=1
	s_or_b32 exec_lo, exec_lo, s52
	v_lshlrev_b32_e32 v68, 24, v68
	v_lshlrev_b32_e32 v35, 20, v35
	v_lshl_add_u32 v66, v66, 23, 0x3c000000
	v_and_b32_e32 v68, 0x80000000, v68
	v_or3_b32 v66, v35, v68, v66
.LBB195_96:                             ;   in Loop: Header=BB195_13 Depth=1
	s_or_b32 exec_lo, exec_lo, s51
.LBB195_97:                             ;   in Loop: Header=BB195_13 Depth=1
	s_or_b32 exec_lo, exec_lo, s50
.LBB195_98:                             ;   in Loop: Header=BB195_13 Depth=1
	s_or_b32 exec_lo, exec_lo, s49
	global_load_ubyte v70, v[41:42], off offset:264
	v_mov_b32_e32 v68, 0
	v_mov_b32_e32 v69, 0
	s_mov_b32 s49, exec_lo
	s_waitcnt vmcnt(0)
	v_cmpx_ne_u16_e32 0, v70
	s_cbranch_execz .LBB195_106
; %bb.99:                               ;   in Loop: Header=BB195_13 Depth=1
	v_bfrev_b32_e32 v69, 1
	s_mov_b32 s50, exec_lo
	v_cmpx_ne_u16_e32 0x80, v70
	s_cbranch_execz .LBB195_105
; %bb.100:                              ;   in Loop: Header=BB195_13 Depth=1
	v_and_b32_sdwa v71, v70, v52 dst_sel:DWORD dst_unused:UNUSED_PAD src0_sel:WORD_0 src1_sel:DWORD
	v_mov_b32_e32 v69, 0x7f800001
	s_mov_b32 s51, exec_lo
	v_cmpx_ne_u32_e32 0x7f, v71
	s_cbranch_execz .LBB195_104
; %bb.101:                              ;   in Loop: Header=BB195_13 Depth=1
	v_and_b32_sdwa v35, v70, v53 dst_sel:DWORD dst_unused:UNUSED_PAD src0_sel:WORD_0 src1_sel:DWORD
	v_lshrrev_b32_e32 v69, 3, v71
	s_mov_b32 s52, exec_lo
	v_cmpx_gt_u32_e32 8, v71
; %bb.102:                              ;   in Loop: Header=BB195_13 Depth=1
	v_ffbh_u32_e32 v69, v35
	v_min_u32_e32 v69, 32, v69
	v_subrev_nc_u32_e32 v71, 28, v69
	v_sub_nc_u32_e32 v69, 29, v69
	v_lshlrev_b64 v[71:72], v71, v[35:36]
	v_and_b32_e32 v35, 7, v71
; %bb.103:                              ;   in Loop: Header=BB195_13 Depth=1
	s_or_b32 exec_lo, exec_lo, s52
	v_lshlrev_b32_e32 v70, 24, v70
	v_lshlrev_b32_e32 v35, 20, v35
	v_lshl_add_u32 v69, v69, 23, 0x3c000000
	v_and_b32_e32 v70, 0x80000000, v70
	v_or3_b32 v69, v35, v70, v69
.LBB195_104:                            ;   in Loop: Header=BB195_13 Depth=1
	s_or_b32 exec_lo, exec_lo, s51
.LBB195_105:                            ;   in Loop: Header=BB195_13 Depth=1
	s_or_b32 exec_lo, exec_lo, s50
.LBB195_106:                            ;   in Loop: Header=BB195_13 Depth=1
	s_or_b32 exec_lo, exec_lo, s49
	global_load_ubyte v70, v[41:42], off offset:268
	s_mov_b32 s49, exec_lo
	s_waitcnt vmcnt(0)
	v_cmpx_ne_u16_e32 0, v70
	s_cbranch_execz .LBB195_114
; %bb.107:                              ;   in Loop: Header=BB195_13 Depth=1
	v_bfrev_b32_e32 v68, 1
	s_mov_b32 s50, exec_lo
	v_cmpx_ne_u16_e32 0x80, v70
	s_cbranch_execz .LBB195_113
; %bb.108:                              ;   in Loop: Header=BB195_13 Depth=1
	v_and_b32_sdwa v71, v70, v52 dst_sel:DWORD dst_unused:UNUSED_PAD src0_sel:WORD_0 src1_sel:DWORD
	v_mov_b32_e32 v68, 0x7f800001
	s_mov_b32 s51, exec_lo
	v_cmpx_ne_u32_e32 0x7f, v71
	s_cbranch_execz .LBB195_112
; %bb.109:                              ;   in Loop: Header=BB195_13 Depth=1
	v_and_b32_sdwa v35, v70, v53 dst_sel:DWORD dst_unused:UNUSED_PAD src0_sel:WORD_0 src1_sel:DWORD
	v_lshrrev_b32_e32 v68, 3, v71
	s_mov_b32 s52, exec_lo
	v_cmpx_gt_u32_e32 8, v71
; %bb.110:                              ;   in Loop: Header=BB195_13 Depth=1
	v_ffbh_u32_e32 v68, v35
	v_min_u32_e32 v68, 32, v68
	v_subrev_nc_u32_e32 v71, 28, v68
	v_sub_nc_u32_e32 v68, 29, v68
	v_lshlrev_b64 v[71:72], v71, v[35:36]
	v_and_b32_e32 v35, 7, v71
; %bb.111:                              ;   in Loop: Header=BB195_13 Depth=1
	s_or_b32 exec_lo, exec_lo, s52
	v_lshlrev_b32_e32 v70, 24, v70
	v_lshlrev_b32_e32 v35, 20, v35
	v_lshl_add_u32 v68, v68, 23, 0x3c000000
	v_and_b32_e32 v70, 0x80000000, v70
	v_or3_b32 v68, v35, v70, v68
.LBB195_112:                            ;   in Loop: Header=BB195_13 Depth=1
	s_or_b32 exec_lo, exec_lo, s51
.LBB195_113:                            ;   in Loop: Header=BB195_13 Depth=1
	s_or_b32 exec_lo, exec_lo, s50
.LBB195_114:                            ;   in Loop: Header=BB195_13 Depth=1
	s_or_b32 exec_lo, exec_lo, s49
	global_load_ubyte v72, v[41:42], off offset:384
	v_mov_b32_e32 v70, 0
	v_mov_b32_e32 v71, 0
	s_mov_b32 s49, exec_lo
	s_waitcnt vmcnt(0)
	v_cmpx_ne_u16_e32 0, v72
	s_cbranch_execz .LBB195_122
; %bb.115:                              ;   in Loop: Header=BB195_13 Depth=1
	v_bfrev_b32_e32 v71, 1
	s_mov_b32 s50, exec_lo
	v_cmpx_ne_u16_e32 0x80, v72
	s_cbranch_execz .LBB195_121
; %bb.116:                              ;   in Loop: Header=BB195_13 Depth=1
	v_and_b32_sdwa v73, v72, v52 dst_sel:DWORD dst_unused:UNUSED_PAD src0_sel:WORD_0 src1_sel:DWORD
	v_mov_b32_e32 v71, 0x7f800001
	s_mov_b32 s51, exec_lo
	v_cmpx_ne_u32_e32 0x7f, v73
	s_cbranch_execz .LBB195_120
; %bb.117:                              ;   in Loop: Header=BB195_13 Depth=1
	v_and_b32_sdwa v35, v72, v53 dst_sel:DWORD dst_unused:UNUSED_PAD src0_sel:WORD_0 src1_sel:DWORD
	v_lshrrev_b32_e32 v71, 3, v73
	s_mov_b32 s52, exec_lo
	v_cmpx_gt_u32_e32 8, v73
; %bb.118:                              ;   in Loop: Header=BB195_13 Depth=1
	v_ffbh_u32_e32 v71, v35
	v_min_u32_e32 v71, 32, v71
	v_subrev_nc_u32_e32 v73, 28, v71
	v_sub_nc_u32_e32 v71, 29, v71
	v_lshlrev_b64 v[73:74], v73, v[35:36]
	v_and_b32_e32 v35, 7, v73
; %bb.119:                              ;   in Loop: Header=BB195_13 Depth=1
	s_or_b32 exec_lo, exec_lo, s52
	v_lshlrev_b32_e32 v72, 24, v72
	v_lshlrev_b32_e32 v35, 20, v35
	v_lshl_add_u32 v71, v71, 23, 0x3c000000
	v_and_b32_e32 v72, 0x80000000, v72
	v_or3_b32 v71, v35, v72, v71
.LBB195_120:                            ;   in Loop: Header=BB195_13 Depth=1
	s_or_b32 exec_lo, exec_lo, s51
.LBB195_121:                            ;   in Loop: Header=BB195_13 Depth=1
	s_or_b32 exec_lo, exec_lo, s50
.LBB195_122:                            ;   in Loop: Header=BB195_13 Depth=1
	s_or_b32 exec_lo, exec_lo, s49
	global_load_ubyte v72, v[41:42], off offset:388
	s_mov_b32 s49, exec_lo
	s_waitcnt vmcnt(0)
	v_cmpx_ne_u16_e32 0, v72
	s_cbranch_execz .LBB195_130
; %bb.123:                              ;   in Loop: Header=BB195_13 Depth=1
	v_bfrev_b32_e32 v70, 1
	s_mov_b32 s50, exec_lo
	v_cmpx_ne_u16_e32 0x80, v72
	s_cbranch_execz .LBB195_129
; %bb.124:                              ;   in Loop: Header=BB195_13 Depth=1
	v_and_b32_sdwa v73, v72, v52 dst_sel:DWORD dst_unused:UNUSED_PAD src0_sel:WORD_0 src1_sel:DWORD
	v_mov_b32_e32 v70, 0x7f800001
	s_mov_b32 s51, exec_lo
	v_cmpx_ne_u32_e32 0x7f, v73
	s_cbranch_execz .LBB195_128
; %bb.125:                              ;   in Loop: Header=BB195_13 Depth=1
	v_and_b32_sdwa v35, v72, v53 dst_sel:DWORD dst_unused:UNUSED_PAD src0_sel:WORD_0 src1_sel:DWORD
	v_lshrrev_b32_e32 v70, 3, v73
	s_mov_b32 s52, exec_lo
	v_cmpx_gt_u32_e32 8, v73
; %bb.126:                              ;   in Loop: Header=BB195_13 Depth=1
	v_ffbh_u32_e32 v70, v35
	v_min_u32_e32 v70, 32, v70
	v_subrev_nc_u32_e32 v73, 28, v70
	v_sub_nc_u32_e32 v70, 29, v70
	v_lshlrev_b64 v[73:74], v73, v[35:36]
	v_and_b32_e32 v35, 7, v73
; %bb.127:                              ;   in Loop: Header=BB195_13 Depth=1
	s_or_b32 exec_lo, exec_lo, s52
	v_lshlrev_b32_e32 v72, 24, v72
	v_lshlrev_b32_e32 v35, 20, v35
	v_lshl_add_u32 v70, v70, 23, 0x3c000000
	v_and_b32_e32 v72, 0x80000000, v72
	v_or3_b32 v70, v35, v72, v70
.LBB195_128:                            ;   in Loop: Header=BB195_13 Depth=1
	s_or_b32 exec_lo, exec_lo, s51
.LBB195_129:                            ;   in Loop: Header=BB195_13 Depth=1
	s_or_b32 exec_lo, exec_lo, s50
.LBB195_130:                            ;   in Loop: Header=BB195_13 Depth=1
	s_or_b32 exec_lo, exec_lo, s49
	global_load_ubyte v74, v[41:42], off offset:392
	v_mov_b32_e32 v72, 0
	v_mov_b32_e32 v73, 0
	s_mov_b32 s49, exec_lo
	s_waitcnt vmcnt(0)
	v_cmpx_ne_u16_e32 0, v74
	s_cbranch_execz .LBB195_138
; %bb.131:                              ;   in Loop: Header=BB195_13 Depth=1
	v_bfrev_b32_e32 v73, 1
	s_mov_b32 s50, exec_lo
	v_cmpx_ne_u16_e32 0x80, v74
	s_cbranch_execz .LBB195_137
; %bb.132:                              ;   in Loop: Header=BB195_13 Depth=1
	v_and_b32_sdwa v75, v74, v52 dst_sel:DWORD dst_unused:UNUSED_PAD src0_sel:WORD_0 src1_sel:DWORD
	v_mov_b32_e32 v73, 0x7f800001
	s_mov_b32 s51, exec_lo
	v_cmpx_ne_u32_e32 0x7f, v75
	s_cbranch_execz .LBB195_136
; %bb.133:                              ;   in Loop: Header=BB195_13 Depth=1
	v_and_b32_sdwa v35, v74, v53 dst_sel:DWORD dst_unused:UNUSED_PAD src0_sel:WORD_0 src1_sel:DWORD
	v_lshrrev_b32_e32 v73, 3, v75
	s_mov_b32 s52, exec_lo
	v_cmpx_gt_u32_e32 8, v75
; %bb.134:                              ;   in Loop: Header=BB195_13 Depth=1
	v_ffbh_u32_e32 v73, v35
	v_min_u32_e32 v73, 32, v73
	v_subrev_nc_u32_e32 v75, 28, v73
	v_sub_nc_u32_e32 v73, 29, v73
	v_lshlrev_b64 v[75:76], v75, v[35:36]
	v_and_b32_e32 v35, 7, v75
; %bb.135:                              ;   in Loop: Header=BB195_13 Depth=1
	s_or_b32 exec_lo, exec_lo, s52
	v_lshlrev_b32_e32 v74, 24, v74
	v_lshlrev_b32_e32 v35, 20, v35
	v_lshl_add_u32 v73, v73, 23, 0x3c000000
	v_and_b32_e32 v74, 0x80000000, v74
	v_or3_b32 v73, v35, v74, v73
.LBB195_136:                            ;   in Loop: Header=BB195_13 Depth=1
	s_or_b32 exec_lo, exec_lo, s51
.LBB195_137:                            ;   in Loop: Header=BB195_13 Depth=1
	s_or_b32 exec_lo, exec_lo, s50
.LBB195_138:                            ;   in Loop: Header=BB195_13 Depth=1
	s_or_b32 exec_lo, exec_lo, s49
	global_load_ubyte v74, v[41:42], off offset:396
	s_mov_b32 s49, exec_lo
	s_waitcnt vmcnt(0)
	v_cmpx_ne_u16_e32 0, v74
	s_cbranch_execz .LBB195_146
; %bb.139:                              ;   in Loop: Header=BB195_13 Depth=1
	v_bfrev_b32_e32 v72, 1
	s_mov_b32 s50, exec_lo
	v_cmpx_ne_u16_e32 0x80, v74
	s_cbranch_execz .LBB195_145
; %bb.140:                              ;   in Loop: Header=BB195_13 Depth=1
	v_and_b32_sdwa v75, v74, v52 dst_sel:DWORD dst_unused:UNUSED_PAD src0_sel:WORD_0 src1_sel:DWORD
	v_mov_b32_e32 v72, 0x7f800001
	s_mov_b32 s51, exec_lo
	v_cmpx_ne_u32_e32 0x7f, v75
	s_cbranch_execz .LBB195_144
; %bb.141:                              ;   in Loop: Header=BB195_13 Depth=1
	v_and_b32_sdwa v35, v74, v53 dst_sel:DWORD dst_unused:UNUSED_PAD src0_sel:WORD_0 src1_sel:DWORD
	v_lshrrev_b32_e32 v72, 3, v75
	s_mov_b32 s52, exec_lo
	v_cmpx_gt_u32_e32 8, v75
; %bb.142:                              ;   in Loop: Header=BB195_13 Depth=1
	v_ffbh_u32_e32 v72, v35
	v_min_u32_e32 v72, 32, v72
	v_subrev_nc_u32_e32 v75, 28, v72
	v_sub_nc_u32_e32 v72, 29, v72
	v_lshlrev_b64 v[75:76], v75, v[35:36]
	v_and_b32_e32 v35, 7, v75
; %bb.143:                              ;   in Loop: Header=BB195_13 Depth=1
	s_or_b32 exec_lo, exec_lo, s52
	v_lshlrev_b32_e32 v74, 24, v74
	v_lshlrev_b32_e32 v35, 20, v35
	v_lshl_add_u32 v72, v72, 23, 0x3c000000
	v_and_b32_e32 v74, 0x80000000, v74
	v_or3_b32 v72, v35, v74, v72
.LBB195_144:                            ;   in Loop: Header=BB195_13 Depth=1
	s_or_b32 exec_lo, exec_lo, s51
.LBB195_145:                            ;   in Loop: Header=BB195_13 Depth=1
	s_or_b32 exec_lo, exec_lo, s50
.LBB195_146:                            ;   in Loop: Header=BB195_13 Depth=1
	s_or_b32 exec_lo, exec_lo, s49
	global_load_ubyte v76, v[41:42], off offset:512
	v_mov_b32_e32 v74, 0
	v_mov_b32_e32 v75, 0
	s_mov_b32 s49, exec_lo
	s_waitcnt vmcnt(0)
	v_cmpx_ne_u16_e32 0, v76
	s_cbranch_execz .LBB195_154
; %bb.147:                              ;   in Loop: Header=BB195_13 Depth=1
	v_bfrev_b32_e32 v75, 1
	s_mov_b32 s50, exec_lo
	v_cmpx_ne_u16_e32 0x80, v76
	s_cbranch_execz .LBB195_153
; %bb.148:                              ;   in Loop: Header=BB195_13 Depth=1
	v_and_b32_sdwa v77, v76, v52 dst_sel:DWORD dst_unused:UNUSED_PAD src0_sel:WORD_0 src1_sel:DWORD
	v_mov_b32_e32 v75, 0x7f800001
	s_mov_b32 s51, exec_lo
	v_cmpx_ne_u32_e32 0x7f, v77
	s_cbranch_execz .LBB195_152
; %bb.149:                              ;   in Loop: Header=BB195_13 Depth=1
	v_and_b32_sdwa v35, v76, v53 dst_sel:DWORD dst_unused:UNUSED_PAD src0_sel:WORD_0 src1_sel:DWORD
	v_lshrrev_b32_e32 v75, 3, v77
	s_mov_b32 s52, exec_lo
	v_cmpx_gt_u32_e32 8, v77
; %bb.150:                              ;   in Loop: Header=BB195_13 Depth=1
	v_ffbh_u32_e32 v75, v35
	v_min_u32_e32 v75, 32, v75
	v_subrev_nc_u32_e32 v77, 28, v75
	v_sub_nc_u32_e32 v75, 29, v75
	v_lshlrev_b64 v[77:78], v77, v[35:36]
	v_and_b32_e32 v35, 7, v77
; %bb.151:                              ;   in Loop: Header=BB195_13 Depth=1
	s_or_b32 exec_lo, exec_lo, s52
	v_lshlrev_b32_e32 v76, 24, v76
	v_lshlrev_b32_e32 v35, 20, v35
	v_lshl_add_u32 v75, v75, 23, 0x3c000000
	v_and_b32_e32 v76, 0x80000000, v76
	v_or3_b32 v75, v35, v76, v75
.LBB195_152:                            ;   in Loop: Header=BB195_13 Depth=1
	s_or_b32 exec_lo, exec_lo, s51
.LBB195_153:                            ;   in Loop: Header=BB195_13 Depth=1
	s_or_b32 exec_lo, exec_lo, s50
.LBB195_154:                            ;   in Loop: Header=BB195_13 Depth=1
	s_or_b32 exec_lo, exec_lo, s49
	global_load_ubyte v76, v[41:42], off offset:516
	s_mov_b32 s49, exec_lo
	s_waitcnt vmcnt(0)
	v_cmpx_ne_u16_e32 0, v76
	s_cbranch_execz .LBB195_162
; %bb.155:                              ;   in Loop: Header=BB195_13 Depth=1
	v_bfrev_b32_e32 v74, 1
	s_mov_b32 s50, exec_lo
	v_cmpx_ne_u16_e32 0x80, v76
	s_cbranch_execz .LBB195_161
; %bb.156:                              ;   in Loop: Header=BB195_13 Depth=1
	v_and_b32_sdwa v77, v76, v52 dst_sel:DWORD dst_unused:UNUSED_PAD src0_sel:WORD_0 src1_sel:DWORD
	v_mov_b32_e32 v74, 0x7f800001
	s_mov_b32 s51, exec_lo
	v_cmpx_ne_u32_e32 0x7f, v77
	s_cbranch_execz .LBB195_160
; %bb.157:                              ;   in Loop: Header=BB195_13 Depth=1
	v_and_b32_sdwa v35, v76, v53 dst_sel:DWORD dst_unused:UNUSED_PAD src0_sel:WORD_0 src1_sel:DWORD
	v_lshrrev_b32_e32 v74, 3, v77
	s_mov_b32 s52, exec_lo
	v_cmpx_gt_u32_e32 8, v77
; %bb.158:                              ;   in Loop: Header=BB195_13 Depth=1
	v_ffbh_u32_e32 v74, v35
	v_min_u32_e32 v74, 32, v74
	v_subrev_nc_u32_e32 v77, 28, v74
	v_sub_nc_u32_e32 v74, 29, v74
	v_lshlrev_b64 v[77:78], v77, v[35:36]
	v_and_b32_e32 v35, 7, v77
; %bb.159:                              ;   in Loop: Header=BB195_13 Depth=1
	s_or_b32 exec_lo, exec_lo, s52
	v_lshlrev_b32_e32 v76, 24, v76
	v_lshlrev_b32_e32 v35, 20, v35
	v_lshl_add_u32 v74, v74, 23, 0x3c000000
	v_and_b32_e32 v76, 0x80000000, v76
	v_or3_b32 v74, v35, v76, v74
.LBB195_160:                            ;   in Loop: Header=BB195_13 Depth=1
	s_or_b32 exec_lo, exec_lo, s51
.LBB195_161:                            ;   in Loop: Header=BB195_13 Depth=1
	s_or_b32 exec_lo, exec_lo, s50
.LBB195_162:                            ;   in Loop: Header=BB195_13 Depth=1
	s_or_b32 exec_lo, exec_lo, s49
	global_load_ubyte v78, v[41:42], off offset:520
	v_mov_b32_e32 v76, 0
	v_mov_b32_e32 v77, 0
	s_mov_b32 s49, exec_lo
	s_waitcnt vmcnt(0)
	v_cmpx_ne_u16_e32 0, v78
	s_cbranch_execz .LBB195_170
; %bb.163:                              ;   in Loop: Header=BB195_13 Depth=1
	v_bfrev_b32_e32 v77, 1
	s_mov_b32 s50, exec_lo
	v_cmpx_ne_u16_e32 0x80, v78
	s_cbranch_execz .LBB195_169
; %bb.164:                              ;   in Loop: Header=BB195_13 Depth=1
	v_and_b32_sdwa v79, v78, v52 dst_sel:DWORD dst_unused:UNUSED_PAD src0_sel:WORD_0 src1_sel:DWORD
	v_mov_b32_e32 v77, 0x7f800001
	s_mov_b32 s51, exec_lo
	v_cmpx_ne_u32_e32 0x7f, v79
	s_cbranch_execz .LBB195_168
; %bb.165:                              ;   in Loop: Header=BB195_13 Depth=1
	v_and_b32_sdwa v35, v78, v53 dst_sel:DWORD dst_unused:UNUSED_PAD src0_sel:WORD_0 src1_sel:DWORD
	v_lshrrev_b32_e32 v77, 3, v79
	s_mov_b32 s52, exec_lo
	v_cmpx_gt_u32_e32 8, v79
; %bb.166:                              ;   in Loop: Header=BB195_13 Depth=1
	v_ffbh_u32_e32 v77, v35
	v_min_u32_e32 v77, 32, v77
	v_subrev_nc_u32_e32 v79, 28, v77
	v_sub_nc_u32_e32 v77, 29, v77
	v_lshlrev_b64 v[79:80], v79, v[35:36]
	v_and_b32_e32 v35, 7, v79
; %bb.167:                              ;   in Loop: Header=BB195_13 Depth=1
	s_or_b32 exec_lo, exec_lo, s52
	v_lshlrev_b32_e32 v78, 24, v78
	v_lshlrev_b32_e32 v35, 20, v35
	v_lshl_add_u32 v77, v77, 23, 0x3c000000
	v_and_b32_e32 v78, 0x80000000, v78
	v_or3_b32 v77, v35, v78, v77
.LBB195_168:                            ;   in Loop: Header=BB195_13 Depth=1
	s_or_b32 exec_lo, exec_lo, s51
.LBB195_169:                            ;   in Loop: Header=BB195_13 Depth=1
	s_or_b32 exec_lo, exec_lo, s50
.LBB195_170:                            ;   in Loop: Header=BB195_13 Depth=1
	s_or_b32 exec_lo, exec_lo, s49
	global_load_ubyte v78, v[41:42], off offset:524
	s_mov_b32 s49, exec_lo
	s_waitcnt vmcnt(0)
	v_cmpx_ne_u16_e32 0, v78
	s_cbranch_execz .LBB195_178
; %bb.171:                              ;   in Loop: Header=BB195_13 Depth=1
	v_bfrev_b32_e32 v76, 1
	s_mov_b32 s50, exec_lo
	v_cmpx_ne_u16_e32 0x80, v78
	s_cbranch_execz .LBB195_177
; %bb.172:                              ;   in Loop: Header=BB195_13 Depth=1
	v_and_b32_sdwa v79, v78, v52 dst_sel:DWORD dst_unused:UNUSED_PAD src0_sel:WORD_0 src1_sel:DWORD
	v_mov_b32_e32 v76, 0x7f800001
	s_mov_b32 s51, exec_lo
	v_cmpx_ne_u32_e32 0x7f, v79
	s_cbranch_execz .LBB195_176
; %bb.173:                              ;   in Loop: Header=BB195_13 Depth=1
	v_and_b32_sdwa v35, v78, v53 dst_sel:DWORD dst_unused:UNUSED_PAD src0_sel:WORD_0 src1_sel:DWORD
	v_lshrrev_b32_e32 v76, 3, v79
	s_mov_b32 s52, exec_lo
	v_cmpx_gt_u32_e32 8, v79
; %bb.174:                              ;   in Loop: Header=BB195_13 Depth=1
	v_ffbh_u32_e32 v76, v35
	v_min_u32_e32 v76, 32, v76
	v_subrev_nc_u32_e32 v79, 28, v76
	v_sub_nc_u32_e32 v76, 29, v76
	v_lshlrev_b64 v[79:80], v79, v[35:36]
	v_and_b32_e32 v35, 7, v79
; %bb.175:                              ;   in Loop: Header=BB195_13 Depth=1
	s_or_b32 exec_lo, exec_lo, s52
	v_lshlrev_b32_e32 v78, 24, v78
	v_lshlrev_b32_e32 v35, 20, v35
	v_lshl_add_u32 v76, v76, 23, 0x3c000000
	v_and_b32_e32 v78, 0x80000000, v78
	v_or3_b32 v76, v35, v78, v76
.LBB195_176:                            ;   in Loop: Header=BB195_13 Depth=1
	s_or_b32 exec_lo, exec_lo, s51
.LBB195_177:                            ;   in Loop: Header=BB195_13 Depth=1
	s_or_b32 exec_lo, exec_lo, s50
.LBB195_178:                            ;   in Loop: Header=BB195_13 Depth=1
	s_or_b32 exec_lo, exec_lo, s49
	global_load_ubyte v80, v[41:42], off offset:640
	v_mov_b32_e32 v78, 0
	v_mov_b32_e32 v79, 0
	s_mov_b32 s49, exec_lo
	s_waitcnt vmcnt(0)
	v_cmpx_ne_u16_e32 0, v80
	s_cbranch_execz .LBB195_186
; %bb.179:                              ;   in Loop: Header=BB195_13 Depth=1
	v_bfrev_b32_e32 v79, 1
	s_mov_b32 s50, exec_lo
	v_cmpx_ne_u16_e32 0x80, v80
	s_cbranch_execz .LBB195_185
; %bb.180:                              ;   in Loop: Header=BB195_13 Depth=1
	v_and_b32_sdwa v81, v80, v52 dst_sel:DWORD dst_unused:UNUSED_PAD src0_sel:WORD_0 src1_sel:DWORD
	v_mov_b32_e32 v79, 0x7f800001
	s_mov_b32 s51, exec_lo
	v_cmpx_ne_u32_e32 0x7f, v81
	s_cbranch_execz .LBB195_184
; %bb.181:                              ;   in Loop: Header=BB195_13 Depth=1
	v_and_b32_sdwa v35, v80, v53 dst_sel:DWORD dst_unused:UNUSED_PAD src0_sel:WORD_0 src1_sel:DWORD
	v_lshrrev_b32_e32 v79, 3, v81
	s_mov_b32 s52, exec_lo
	v_cmpx_gt_u32_e32 8, v81
; %bb.182:                              ;   in Loop: Header=BB195_13 Depth=1
	v_ffbh_u32_e32 v79, v35
	v_min_u32_e32 v79, 32, v79
	v_subrev_nc_u32_e32 v81, 28, v79
	v_sub_nc_u32_e32 v79, 29, v79
	v_lshlrev_b64 v[81:82], v81, v[35:36]
	v_and_b32_e32 v35, 7, v81
; %bb.183:                              ;   in Loop: Header=BB195_13 Depth=1
	s_or_b32 exec_lo, exec_lo, s52
	v_lshlrev_b32_e32 v80, 24, v80
	v_lshlrev_b32_e32 v35, 20, v35
	v_lshl_add_u32 v79, v79, 23, 0x3c000000
	v_and_b32_e32 v80, 0x80000000, v80
	v_or3_b32 v79, v35, v80, v79
.LBB195_184:                            ;   in Loop: Header=BB195_13 Depth=1
	s_or_b32 exec_lo, exec_lo, s51
.LBB195_185:                            ;   in Loop: Header=BB195_13 Depth=1
	s_or_b32 exec_lo, exec_lo, s50
.LBB195_186:                            ;   in Loop: Header=BB195_13 Depth=1
	s_or_b32 exec_lo, exec_lo, s49
	global_load_ubyte v80, v[41:42], off offset:644
	s_mov_b32 s49, exec_lo
	s_waitcnt vmcnt(0)
	v_cmpx_ne_u16_e32 0, v80
	s_cbranch_execz .LBB195_194
; %bb.187:                              ;   in Loop: Header=BB195_13 Depth=1
	v_bfrev_b32_e32 v78, 1
	s_mov_b32 s50, exec_lo
	v_cmpx_ne_u16_e32 0x80, v80
	s_cbranch_execz .LBB195_193
; %bb.188:                              ;   in Loop: Header=BB195_13 Depth=1
	v_and_b32_sdwa v81, v80, v52 dst_sel:DWORD dst_unused:UNUSED_PAD src0_sel:WORD_0 src1_sel:DWORD
	v_mov_b32_e32 v78, 0x7f800001
	s_mov_b32 s51, exec_lo
	v_cmpx_ne_u32_e32 0x7f, v81
	s_cbranch_execz .LBB195_192
; %bb.189:                              ;   in Loop: Header=BB195_13 Depth=1
	v_and_b32_sdwa v35, v80, v53 dst_sel:DWORD dst_unused:UNUSED_PAD src0_sel:WORD_0 src1_sel:DWORD
	v_lshrrev_b32_e32 v78, 3, v81
	s_mov_b32 s52, exec_lo
	v_cmpx_gt_u32_e32 8, v81
; %bb.190:                              ;   in Loop: Header=BB195_13 Depth=1
	v_ffbh_u32_e32 v78, v35
	v_min_u32_e32 v78, 32, v78
	v_subrev_nc_u32_e32 v81, 28, v78
	v_sub_nc_u32_e32 v78, 29, v78
	v_lshlrev_b64 v[81:82], v81, v[35:36]
	v_and_b32_e32 v35, 7, v81
; %bb.191:                              ;   in Loop: Header=BB195_13 Depth=1
	s_or_b32 exec_lo, exec_lo, s52
	v_lshlrev_b32_e32 v80, 24, v80
	v_lshlrev_b32_e32 v35, 20, v35
	v_lshl_add_u32 v78, v78, 23, 0x3c000000
	v_and_b32_e32 v80, 0x80000000, v80
	v_or3_b32 v78, v35, v80, v78
.LBB195_192:                            ;   in Loop: Header=BB195_13 Depth=1
	s_or_b32 exec_lo, exec_lo, s51
.LBB195_193:                            ;   in Loop: Header=BB195_13 Depth=1
	s_or_b32 exec_lo, exec_lo, s50
.LBB195_194:                            ;   in Loop: Header=BB195_13 Depth=1
	s_or_b32 exec_lo, exec_lo, s49
	global_load_ubyte v82, v[41:42], off offset:648
	v_mov_b32_e32 v80, 0
	v_mov_b32_e32 v81, 0
	s_mov_b32 s49, exec_lo
	s_waitcnt vmcnt(0)
	v_cmpx_ne_u16_e32 0, v82
	s_cbranch_execz .LBB195_202
; %bb.195:                              ;   in Loop: Header=BB195_13 Depth=1
	v_bfrev_b32_e32 v81, 1
	s_mov_b32 s50, exec_lo
	v_cmpx_ne_u16_e32 0x80, v82
	s_cbranch_execz .LBB195_201
; %bb.196:                              ;   in Loop: Header=BB195_13 Depth=1
	v_and_b32_sdwa v83, v82, v52 dst_sel:DWORD dst_unused:UNUSED_PAD src0_sel:WORD_0 src1_sel:DWORD
	v_mov_b32_e32 v81, 0x7f800001
	s_mov_b32 s51, exec_lo
	v_cmpx_ne_u32_e32 0x7f, v83
	s_cbranch_execz .LBB195_200
; %bb.197:                              ;   in Loop: Header=BB195_13 Depth=1
	v_and_b32_sdwa v35, v82, v53 dst_sel:DWORD dst_unused:UNUSED_PAD src0_sel:WORD_0 src1_sel:DWORD
	v_lshrrev_b32_e32 v81, 3, v83
	s_mov_b32 s52, exec_lo
	v_cmpx_gt_u32_e32 8, v83
; %bb.198:                              ;   in Loop: Header=BB195_13 Depth=1
	v_ffbh_u32_e32 v81, v35
	v_min_u32_e32 v81, 32, v81
	v_subrev_nc_u32_e32 v83, 28, v81
	v_sub_nc_u32_e32 v81, 29, v81
	v_lshlrev_b64 v[83:84], v83, v[35:36]
	v_and_b32_e32 v35, 7, v83
; %bb.199:                              ;   in Loop: Header=BB195_13 Depth=1
	s_or_b32 exec_lo, exec_lo, s52
	v_lshlrev_b32_e32 v82, 24, v82
	v_lshlrev_b32_e32 v35, 20, v35
	v_lshl_add_u32 v81, v81, 23, 0x3c000000
	v_and_b32_e32 v82, 0x80000000, v82
	v_or3_b32 v81, v35, v82, v81
.LBB195_200:                            ;   in Loop: Header=BB195_13 Depth=1
	s_or_b32 exec_lo, exec_lo, s51
.LBB195_201:                            ;   in Loop: Header=BB195_13 Depth=1
	s_or_b32 exec_lo, exec_lo, s50
.LBB195_202:                            ;   in Loop: Header=BB195_13 Depth=1
	s_or_b32 exec_lo, exec_lo, s49
	global_load_ubyte v82, v[41:42], off offset:652
	s_mov_b32 s49, exec_lo
	s_waitcnt vmcnt(0)
	v_cmpx_ne_u16_e32 0, v82
	s_cbranch_execz .LBB195_210
; %bb.203:                              ;   in Loop: Header=BB195_13 Depth=1
	v_bfrev_b32_e32 v80, 1
	s_mov_b32 s50, exec_lo
	v_cmpx_ne_u16_e32 0x80, v82
	s_cbranch_execz .LBB195_209
; %bb.204:                              ;   in Loop: Header=BB195_13 Depth=1
	v_and_b32_sdwa v83, v82, v52 dst_sel:DWORD dst_unused:UNUSED_PAD src0_sel:WORD_0 src1_sel:DWORD
	v_mov_b32_e32 v80, 0x7f800001
	s_mov_b32 s51, exec_lo
	v_cmpx_ne_u32_e32 0x7f, v83
	s_cbranch_execz .LBB195_208
; %bb.205:                              ;   in Loop: Header=BB195_13 Depth=1
	v_and_b32_sdwa v35, v82, v53 dst_sel:DWORD dst_unused:UNUSED_PAD src0_sel:WORD_0 src1_sel:DWORD
	v_lshrrev_b32_e32 v80, 3, v83
	s_mov_b32 s52, exec_lo
	v_cmpx_gt_u32_e32 8, v83
; %bb.206:                              ;   in Loop: Header=BB195_13 Depth=1
	v_ffbh_u32_e32 v80, v35
	v_min_u32_e32 v80, 32, v80
	v_subrev_nc_u32_e32 v83, 28, v80
	v_sub_nc_u32_e32 v80, 29, v80
	v_lshlrev_b64 v[83:84], v83, v[35:36]
	v_and_b32_e32 v35, 7, v83
; %bb.207:                              ;   in Loop: Header=BB195_13 Depth=1
	s_or_b32 exec_lo, exec_lo, s52
	v_lshlrev_b32_e32 v82, 24, v82
	v_lshlrev_b32_e32 v35, 20, v35
	v_lshl_add_u32 v80, v80, 23, 0x3c000000
	v_and_b32_e32 v82, 0x80000000, v82
	v_or3_b32 v80, v35, v82, v80
.LBB195_208:                            ;   in Loop: Header=BB195_13 Depth=1
	s_or_b32 exec_lo, exec_lo, s51
.LBB195_209:                            ;   in Loop: Header=BB195_13 Depth=1
	s_or_b32 exec_lo, exec_lo, s50
.LBB195_210:                            ;   in Loop: Header=BB195_13 Depth=1
	s_or_b32 exec_lo, exec_lo, s49
	global_load_ubyte v84, v[41:42], off offset:768
	v_mov_b32_e32 v82, 0
	v_mov_b32_e32 v83, 0
	s_mov_b32 s49, exec_lo
	s_waitcnt vmcnt(0)
	v_cmpx_ne_u16_e32 0, v84
	s_cbranch_execz .LBB195_218
; %bb.211:                              ;   in Loop: Header=BB195_13 Depth=1
	v_bfrev_b32_e32 v83, 1
	s_mov_b32 s50, exec_lo
	v_cmpx_ne_u16_e32 0x80, v84
	s_cbranch_execz .LBB195_217
; %bb.212:                              ;   in Loop: Header=BB195_13 Depth=1
	v_and_b32_sdwa v85, v84, v52 dst_sel:DWORD dst_unused:UNUSED_PAD src0_sel:WORD_0 src1_sel:DWORD
	v_mov_b32_e32 v83, 0x7f800001
	s_mov_b32 s51, exec_lo
	v_cmpx_ne_u32_e32 0x7f, v85
	s_cbranch_execz .LBB195_216
; %bb.213:                              ;   in Loop: Header=BB195_13 Depth=1
	v_and_b32_sdwa v35, v84, v53 dst_sel:DWORD dst_unused:UNUSED_PAD src0_sel:WORD_0 src1_sel:DWORD
	v_lshrrev_b32_e32 v83, 3, v85
	s_mov_b32 s52, exec_lo
	v_cmpx_gt_u32_e32 8, v85
; %bb.214:                              ;   in Loop: Header=BB195_13 Depth=1
	v_ffbh_u32_e32 v83, v35
	v_min_u32_e32 v83, 32, v83
	v_subrev_nc_u32_e32 v85, 28, v83
	v_sub_nc_u32_e32 v83, 29, v83
	v_lshlrev_b64 v[85:86], v85, v[35:36]
	v_and_b32_e32 v35, 7, v85
; %bb.215:                              ;   in Loop: Header=BB195_13 Depth=1
	s_or_b32 exec_lo, exec_lo, s52
	v_lshlrev_b32_e32 v84, 24, v84
	v_lshlrev_b32_e32 v35, 20, v35
	v_lshl_add_u32 v83, v83, 23, 0x3c000000
	v_and_b32_e32 v84, 0x80000000, v84
	v_or3_b32 v83, v35, v84, v83
.LBB195_216:                            ;   in Loop: Header=BB195_13 Depth=1
	s_or_b32 exec_lo, exec_lo, s51
.LBB195_217:                            ;   in Loop: Header=BB195_13 Depth=1
	s_or_b32 exec_lo, exec_lo, s50
.LBB195_218:                            ;   in Loop: Header=BB195_13 Depth=1
	s_or_b32 exec_lo, exec_lo, s49
	global_load_ubyte v84, v[41:42], off offset:772
	s_mov_b32 s49, exec_lo
	s_waitcnt vmcnt(0)
	v_cmpx_ne_u16_e32 0, v84
	s_cbranch_execz .LBB195_226
; %bb.219:                              ;   in Loop: Header=BB195_13 Depth=1
	v_bfrev_b32_e32 v82, 1
	s_mov_b32 s50, exec_lo
	v_cmpx_ne_u16_e32 0x80, v84
	s_cbranch_execz .LBB195_225
; %bb.220:                              ;   in Loop: Header=BB195_13 Depth=1
	v_and_b32_sdwa v85, v84, v52 dst_sel:DWORD dst_unused:UNUSED_PAD src0_sel:WORD_0 src1_sel:DWORD
	v_mov_b32_e32 v82, 0x7f800001
	s_mov_b32 s51, exec_lo
	v_cmpx_ne_u32_e32 0x7f, v85
	s_cbranch_execz .LBB195_224
; %bb.221:                              ;   in Loop: Header=BB195_13 Depth=1
	v_and_b32_sdwa v35, v84, v53 dst_sel:DWORD dst_unused:UNUSED_PAD src0_sel:WORD_0 src1_sel:DWORD
	v_lshrrev_b32_e32 v82, 3, v85
	s_mov_b32 s52, exec_lo
	v_cmpx_gt_u32_e32 8, v85
; %bb.222:                              ;   in Loop: Header=BB195_13 Depth=1
	v_ffbh_u32_e32 v82, v35
	v_min_u32_e32 v82, 32, v82
	v_subrev_nc_u32_e32 v85, 28, v82
	v_sub_nc_u32_e32 v82, 29, v82
	v_lshlrev_b64 v[85:86], v85, v[35:36]
	v_and_b32_e32 v35, 7, v85
; %bb.223:                              ;   in Loop: Header=BB195_13 Depth=1
	s_or_b32 exec_lo, exec_lo, s52
	v_lshlrev_b32_e32 v84, 24, v84
	v_lshlrev_b32_e32 v35, 20, v35
	v_lshl_add_u32 v82, v82, 23, 0x3c000000
	v_and_b32_e32 v84, 0x80000000, v84
	v_or3_b32 v82, v35, v84, v82
.LBB195_224:                            ;   in Loop: Header=BB195_13 Depth=1
	s_or_b32 exec_lo, exec_lo, s51
.LBB195_225:                            ;   in Loop: Header=BB195_13 Depth=1
	s_or_b32 exec_lo, exec_lo, s50
.LBB195_226:                            ;   in Loop: Header=BB195_13 Depth=1
	s_or_b32 exec_lo, exec_lo, s49
	global_load_ubyte v86, v[41:42], off offset:776
	v_mov_b32_e32 v84, 0
	v_mov_b32_e32 v85, 0
	s_mov_b32 s49, exec_lo
	s_waitcnt vmcnt(0)
	v_cmpx_ne_u16_e32 0, v86
	s_cbranch_execz .LBB195_234
; %bb.227:                              ;   in Loop: Header=BB195_13 Depth=1
	v_bfrev_b32_e32 v85, 1
	s_mov_b32 s50, exec_lo
	v_cmpx_ne_u16_e32 0x80, v86
	s_cbranch_execz .LBB195_233
; %bb.228:                              ;   in Loop: Header=BB195_13 Depth=1
	v_and_b32_sdwa v87, v86, v52 dst_sel:DWORD dst_unused:UNUSED_PAD src0_sel:WORD_0 src1_sel:DWORD
	v_mov_b32_e32 v85, 0x7f800001
	s_mov_b32 s51, exec_lo
	v_cmpx_ne_u32_e32 0x7f, v87
	s_cbranch_execz .LBB195_232
; %bb.229:                              ;   in Loop: Header=BB195_13 Depth=1
	v_and_b32_sdwa v35, v86, v53 dst_sel:DWORD dst_unused:UNUSED_PAD src0_sel:WORD_0 src1_sel:DWORD
	v_lshrrev_b32_e32 v85, 3, v87
	s_mov_b32 s52, exec_lo
	v_cmpx_gt_u32_e32 8, v87
; %bb.230:                              ;   in Loop: Header=BB195_13 Depth=1
	v_ffbh_u32_e32 v85, v35
	v_min_u32_e32 v85, 32, v85
	v_subrev_nc_u32_e32 v87, 28, v85
	v_sub_nc_u32_e32 v85, 29, v85
	v_lshlrev_b64 v[87:88], v87, v[35:36]
	v_and_b32_e32 v35, 7, v87
; %bb.231:                              ;   in Loop: Header=BB195_13 Depth=1
	s_or_b32 exec_lo, exec_lo, s52
	v_lshlrev_b32_e32 v86, 24, v86
	v_lshlrev_b32_e32 v35, 20, v35
	v_lshl_add_u32 v85, v85, 23, 0x3c000000
	v_and_b32_e32 v86, 0x80000000, v86
	v_or3_b32 v85, v35, v86, v85
.LBB195_232:                            ;   in Loop: Header=BB195_13 Depth=1
	s_or_b32 exec_lo, exec_lo, s51
.LBB195_233:                            ;   in Loop: Header=BB195_13 Depth=1
	s_or_b32 exec_lo, exec_lo, s50
.LBB195_234:                            ;   in Loop: Header=BB195_13 Depth=1
	s_or_b32 exec_lo, exec_lo, s49
	global_load_ubyte v86, v[41:42], off offset:780
	s_mov_b32 s49, exec_lo
	s_waitcnt vmcnt(0)
	v_cmpx_ne_u16_e32 0, v86
	s_cbranch_execz .LBB195_242
; %bb.235:                              ;   in Loop: Header=BB195_13 Depth=1
	v_bfrev_b32_e32 v84, 1
	s_mov_b32 s50, exec_lo
	v_cmpx_ne_u16_e32 0x80, v86
	s_cbranch_execz .LBB195_241
; %bb.236:                              ;   in Loop: Header=BB195_13 Depth=1
	v_and_b32_sdwa v87, v86, v52 dst_sel:DWORD dst_unused:UNUSED_PAD src0_sel:WORD_0 src1_sel:DWORD
	v_mov_b32_e32 v84, 0x7f800001
	s_mov_b32 s51, exec_lo
	v_cmpx_ne_u32_e32 0x7f, v87
	s_cbranch_execz .LBB195_240
; %bb.237:                              ;   in Loop: Header=BB195_13 Depth=1
	v_and_b32_sdwa v35, v86, v53 dst_sel:DWORD dst_unused:UNUSED_PAD src0_sel:WORD_0 src1_sel:DWORD
	v_lshrrev_b32_e32 v84, 3, v87
	s_mov_b32 s52, exec_lo
	v_cmpx_gt_u32_e32 8, v87
; %bb.238:                              ;   in Loop: Header=BB195_13 Depth=1
	v_ffbh_u32_e32 v84, v35
	v_min_u32_e32 v84, 32, v84
	v_subrev_nc_u32_e32 v87, 28, v84
	v_sub_nc_u32_e32 v84, 29, v84
	v_lshlrev_b64 v[87:88], v87, v[35:36]
	v_and_b32_e32 v35, 7, v87
; %bb.239:                              ;   in Loop: Header=BB195_13 Depth=1
	s_or_b32 exec_lo, exec_lo, s52
	v_lshlrev_b32_e32 v86, 24, v86
	v_lshlrev_b32_e32 v35, 20, v35
	v_lshl_add_u32 v84, v84, 23, 0x3c000000
	v_and_b32_e32 v86, 0x80000000, v86
	v_or3_b32 v84, v35, v86, v84
.LBB195_240:                            ;   in Loop: Header=BB195_13 Depth=1
	s_or_b32 exec_lo, exec_lo, s51
.LBB195_241:                            ;   in Loop: Header=BB195_13 Depth=1
	s_or_b32 exec_lo, exec_lo, s50
.LBB195_242:                            ;   in Loop: Header=BB195_13 Depth=1
	s_or_b32 exec_lo, exec_lo, s49
	global_load_ubyte v88, v[41:42], off offset:896
	v_mov_b32_e32 v86, 0
	v_mov_b32_e32 v87, 0
	s_mov_b32 s49, exec_lo
	s_waitcnt vmcnt(0)
	v_cmpx_ne_u16_e32 0, v88
	s_cbranch_execz .LBB195_250
; %bb.243:                              ;   in Loop: Header=BB195_13 Depth=1
	v_bfrev_b32_e32 v87, 1
	s_mov_b32 s50, exec_lo
	v_cmpx_ne_u16_e32 0x80, v88
	s_cbranch_execz .LBB195_249
; %bb.244:                              ;   in Loop: Header=BB195_13 Depth=1
	v_and_b32_sdwa v89, v88, v52 dst_sel:DWORD dst_unused:UNUSED_PAD src0_sel:WORD_0 src1_sel:DWORD
	v_mov_b32_e32 v87, 0x7f800001
	s_mov_b32 s51, exec_lo
	v_cmpx_ne_u32_e32 0x7f, v89
	s_cbranch_execz .LBB195_248
; %bb.245:                              ;   in Loop: Header=BB195_13 Depth=1
	v_and_b32_sdwa v35, v88, v53 dst_sel:DWORD dst_unused:UNUSED_PAD src0_sel:WORD_0 src1_sel:DWORD
	v_lshrrev_b32_e32 v87, 3, v89
	s_mov_b32 s52, exec_lo
	v_cmpx_gt_u32_e32 8, v89
; %bb.246:                              ;   in Loop: Header=BB195_13 Depth=1
	v_ffbh_u32_e32 v87, v35
	v_min_u32_e32 v87, 32, v87
	v_subrev_nc_u32_e32 v89, 28, v87
	v_sub_nc_u32_e32 v87, 29, v87
	v_lshlrev_b64 v[89:90], v89, v[35:36]
	v_and_b32_e32 v35, 7, v89
; %bb.247:                              ;   in Loop: Header=BB195_13 Depth=1
	s_or_b32 exec_lo, exec_lo, s52
	v_lshlrev_b32_e32 v88, 24, v88
	v_lshlrev_b32_e32 v35, 20, v35
	v_lshl_add_u32 v87, v87, 23, 0x3c000000
	v_and_b32_e32 v88, 0x80000000, v88
	v_or3_b32 v87, v35, v88, v87
.LBB195_248:                            ;   in Loop: Header=BB195_13 Depth=1
	s_or_b32 exec_lo, exec_lo, s51
.LBB195_249:                            ;   in Loop: Header=BB195_13 Depth=1
	s_or_b32 exec_lo, exec_lo, s50
.LBB195_250:                            ;   in Loop: Header=BB195_13 Depth=1
	s_or_b32 exec_lo, exec_lo, s49
	global_load_ubyte v88, v[41:42], off offset:900
	s_mov_b32 s49, exec_lo
	s_waitcnt vmcnt(0)
	v_cmpx_ne_u16_e32 0, v88
	s_cbranch_execz .LBB195_258
; %bb.251:                              ;   in Loop: Header=BB195_13 Depth=1
	v_bfrev_b32_e32 v86, 1
	s_mov_b32 s50, exec_lo
	v_cmpx_ne_u16_e32 0x80, v88
	s_cbranch_execz .LBB195_257
; %bb.252:                              ;   in Loop: Header=BB195_13 Depth=1
	v_and_b32_sdwa v89, v88, v52 dst_sel:DWORD dst_unused:UNUSED_PAD src0_sel:WORD_0 src1_sel:DWORD
	v_mov_b32_e32 v86, 0x7f800001
	s_mov_b32 s51, exec_lo
	v_cmpx_ne_u32_e32 0x7f, v89
	s_cbranch_execz .LBB195_256
; %bb.253:                              ;   in Loop: Header=BB195_13 Depth=1
	v_and_b32_sdwa v35, v88, v53 dst_sel:DWORD dst_unused:UNUSED_PAD src0_sel:WORD_0 src1_sel:DWORD
	v_lshrrev_b32_e32 v86, 3, v89
	s_mov_b32 s52, exec_lo
	v_cmpx_gt_u32_e32 8, v89
; %bb.254:                              ;   in Loop: Header=BB195_13 Depth=1
	v_ffbh_u32_e32 v86, v35
	v_min_u32_e32 v86, 32, v86
	v_subrev_nc_u32_e32 v89, 28, v86
	v_sub_nc_u32_e32 v86, 29, v86
	v_lshlrev_b64 v[89:90], v89, v[35:36]
	v_and_b32_e32 v35, 7, v89
; %bb.255:                              ;   in Loop: Header=BB195_13 Depth=1
	s_or_b32 exec_lo, exec_lo, s52
	v_lshlrev_b32_e32 v88, 24, v88
	v_lshlrev_b32_e32 v35, 20, v35
	v_lshl_add_u32 v86, v86, 23, 0x3c000000
	v_and_b32_e32 v88, 0x80000000, v88
	v_or3_b32 v86, v35, v88, v86
.LBB195_256:                            ;   in Loop: Header=BB195_13 Depth=1
	s_or_b32 exec_lo, exec_lo, s51
.LBB195_257:                            ;   in Loop: Header=BB195_13 Depth=1
	s_or_b32 exec_lo, exec_lo, s50
.LBB195_258:                            ;   in Loop: Header=BB195_13 Depth=1
	s_or_b32 exec_lo, exec_lo, s49
	global_load_ubyte v90, v[41:42], off offset:904
	v_mov_b32_e32 v88, 0
	v_mov_b32_e32 v89, 0
	s_mov_b32 s49, exec_lo
	s_waitcnt vmcnt(0)
	v_cmpx_ne_u16_e32 0, v90
	s_cbranch_execz .LBB195_266
; %bb.259:                              ;   in Loop: Header=BB195_13 Depth=1
	v_bfrev_b32_e32 v89, 1
	s_mov_b32 s50, exec_lo
	v_cmpx_ne_u16_e32 0x80, v90
	s_cbranch_execz .LBB195_265
; %bb.260:                              ;   in Loop: Header=BB195_13 Depth=1
	v_and_b32_sdwa v91, v90, v52 dst_sel:DWORD dst_unused:UNUSED_PAD src0_sel:WORD_0 src1_sel:DWORD
	v_mov_b32_e32 v89, 0x7f800001
	s_mov_b32 s51, exec_lo
	v_cmpx_ne_u32_e32 0x7f, v91
	s_cbranch_execz .LBB195_264
; %bb.261:                              ;   in Loop: Header=BB195_13 Depth=1
	v_and_b32_sdwa v35, v90, v53 dst_sel:DWORD dst_unused:UNUSED_PAD src0_sel:WORD_0 src1_sel:DWORD
	v_lshrrev_b32_e32 v89, 3, v91
	s_mov_b32 s52, exec_lo
	v_cmpx_gt_u32_e32 8, v91
; %bb.262:                              ;   in Loop: Header=BB195_13 Depth=1
	v_ffbh_u32_e32 v89, v35
	v_min_u32_e32 v89, 32, v89
	v_subrev_nc_u32_e32 v91, 28, v89
	v_sub_nc_u32_e32 v89, 29, v89
	v_lshlrev_b64 v[91:92], v91, v[35:36]
	v_and_b32_e32 v35, 7, v91
; %bb.263:                              ;   in Loop: Header=BB195_13 Depth=1
	s_or_b32 exec_lo, exec_lo, s52
	v_lshlrev_b32_e32 v90, 24, v90
	v_lshlrev_b32_e32 v35, 20, v35
	v_lshl_add_u32 v89, v89, 23, 0x3c000000
	v_and_b32_e32 v90, 0x80000000, v90
	v_or3_b32 v89, v35, v90, v89
.LBB195_264:                            ;   in Loop: Header=BB195_13 Depth=1
	s_or_b32 exec_lo, exec_lo, s51
.LBB195_265:                            ;   in Loop: Header=BB195_13 Depth=1
	s_or_b32 exec_lo, exec_lo, s50
.LBB195_266:                            ;   in Loop: Header=BB195_13 Depth=1
	s_or_b32 exec_lo, exec_lo, s49
	global_load_ubyte v41, v[41:42], off offset:908
	s_mov_b32 s49, exec_lo
	s_waitcnt vmcnt(0)
	v_cmpx_ne_u16_e32 0, v41
	s_cbranch_execz .LBB195_274
; %bb.267:                              ;   in Loop: Header=BB195_13 Depth=1
	v_bfrev_b32_e32 v88, 1
	s_mov_b32 s50, exec_lo
	v_cmpx_ne_u16_e32 0x80, v41
	s_cbranch_execz .LBB195_273
; %bb.268:                              ;   in Loop: Header=BB195_13 Depth=1
	v_and_b32_sdwa v90, v41, v52 dst_sel:DWORD dst_unused:UNUSED_PAD src0_sel:WORD_0 src1_sel:DWORD
	v_mov_b32_e32 v88, 0x7f800001
	s_mov_b32 s51, exec_lo
	v_cmpx_ne_u32_e32 0x7f, v90
	s_cbranch_execz .LBB195_272
; %bb.269:                              ;   in Loop: Header=BB195_13 Depth=1
	v_and_b32_sdwa v35, v41, v53 dst_sel:DWORD dst_unused:UNUSED_PAD src0_sel:WORD_0 src1_sel:DWORD
	v_lshrrev_b32_e32 v42, 3, v90
	s_mov_b32 s52, exec_lo
	v_cmpx_gt_u32_e32 8, v90
; %bb.270:                              ;   in Loop: Header=BB195_13 Depth=1
	v_ffbh_u32_e32 v42, v35
	v_min_u32_e32 v42, 32, v42
	v_subrev_nc_u32_e32 v88, 28, v42
	v_sub_nc_u32_e32 v42, 29, v42
	v_lshlrev_b64 v[90:91], v88, v[35:36]
	v_and_b32_e32 v35, 7, v90
; %bb.271:                              ;   in Loop: Header=BB195_13 Depth=1
	s_or_b32 exec_lo, exec_lo, s52
	v_lshlrev_b32_e32 v41, 24, v41
	v_lshlrev_b32_e32 v35, 20, v35
	v_lshl_add_u32 v42, v42, 23, 0x3c000000
	v_and_b32_e32 v41, 0x80000000, v41
	v_or3_b32 v88, v35, v41, v42
.LBB195_272:                            ;   in Loop: Header=BB195_13 Depth=1
	s_or_b32 exec_lo, exec_lo, s51
.LBB195_273:                            ;   in Loop: Header=BB195_13 Depth=1
	s_or_b32 exec_lo, exec_lo, s50
.LBB195_274:                            ;   in Loop: Header=BB195_13 Depth=1
	s_or_b32 exec_lo, exec_lo, s49
	s_waitcnt lgkmcnt(0)
	v_mul_f32_e32 v35, s48, v58
	v_mul_f32_e32 v41, s48, v59
	;; [unrolled: 1-line block ×4, first 2 shown]
	v_fmac_f32_e32 v30, v29, v41
	v_mul_f32_e32 v29, s48, v60
	v_fmac_f32_e32 v30, v31, v35
	v_mul_f32_e32 v31, s48, v63
	;; [unrolled: 2-line block ×27, first 2 shown]
	v_fmac_f32_e32 v30, v1, v5
	v_xor_b32_e32 v1, 2, v46
	v_mul_f32_e32 v5, s48, v89
	v_fmac_f32_e32 v30, v2, v6
	v_cmp_gt_i32_e64 s2, 32, v1
	v_mul_f32_e32 v2, s48, v88
	v_fmac_f32_e32 v30, v3, v5
	v_cndmask_b32_e64 v1, v46, v1, s2
	v_fmac_f32_e32 v30, v4, v2
	v_lshlrev_b32_e32 v1, 2, v1
	v_xor_b32_e32 v2, 1, v46
	ds_bpermute_b32 v1, v1, v30
	v_cmp_gt_i32_e64 s2, 32, v2
	v_cndmask_b32_e64 v2, v46, v2, s2
	v_lshlrev_b32_e32 v2, 2, v2
	s_waitcnt lgkmcnt(0)
	v_add_f32_e32 v1, v30, v1
	ds_bpermute_b32 v2, v2, v1
	s_and_saveexec_b32 s48, vcc_lo
	s_cbranch_execz .LBB195_11
; %bb.275:                              ;   in Loop: Header=BB195_13 Depth=1
	v_add_nc_u32_e32 v3, v54, v50
	s_waitcnt lgkmcnt(0)
	v_add_f32_e32 v1, v1, v2
	v_cvt_f32_i32_e32 v3, v3
	v_mul_f32_e32 v3, s43, v3
	v_cndmask_b32_e64 v2, 0, v3, s1
	v_max_f32_e32 v3, v47, v47
	v_fmac_f32_e32 v2, s41, v1
	v_add_nc_u32_e32 v1, v48, v50
	v_max_f32_e32 v3, v3, v2
	v_cmp_gt_i32_e64 s2, s31, v1
	v_cndmask_b32_e64 v1, 0, v2, s2
	v_cndmask_b32_e64 v47, v47, v3, s2
	ds_write_b32 v55, v1
	s_branch .LBB195_11
.LBB195_276:
	s_or_b32 exec_lo, exec_lo, s46
.LBB195_277:
	s_or_b32 exec_lo, exec_lo, s45
	v_xor_b32_e32 v1, 16, v46
	v_xor_b32_e32 v3, 8, v46
	v_max_f32_e32 v5, v47, v47
	v_and_b32_e32 v25, 31, v0
	v_cmp_gt_i32_e32 vcc_lo, 32, v1
	v_cndmask_b32_e32 v1, v46, v1, vcc_lo
	v_cmp_gt_i32_e32 vcc_lo, 32, v3
	s_waitcnt lgkmcnt(0)
	v_lshlrev_b32_e32 v2, 2, v1
	v_cndmask_b32_e32 v3, v46, v3, vcc_lo
	ds_bpermute_b32 v1, v2, v47
	v_lshlrev_b32_e32 v4, 2, v3
	s_waitcnt lgkmcnt(0)
	v_max_f32_e32 v1, v1, v1
	v_max_f32_e32 v1, v5, v1
	v_xor_b32_e32 v5, 4, v46
	ds_bpermute_b32 v3, v4, v1
	v_cmp_gt_i32_e32 vcc_lo, 32, v5
	v_cndmask_b32_e32 v5, v46, v5, vcc_lo
	v_cmp_eq_u32_e32 vcc_lo, 0, v25
	v_lshlrev_b32_e32 v7, 2, v5
	v_lshlrev_b32_e32 v5, 2, v43
	s_waitcnt lgkmcnt(0)
	v_max_f32_e32 v3, v3, v3
	v_max_f32_e32 v1, v1, v3
	ds_bpermute_b32 v3, v7, v1
	s_and_saveexec_b32 s1, vcc_lo
	s_cbranch_execz .LBB195_279
; %bb.278:
	s_waitcnt lgkmcnt(0)
	v_max_f32_e32 v3, v3, v3
	v_max_f32_e32 v1, v1, v1
	;; [unrolled: 1-line block ×3, first 2 shown]
	ds_write_b32 v5, v1 offset:512
.LBB195_279:
	s_or_b32 exec_lo, exec_lo, s1
	v_cmp_gt_u32_e64 s1, 4, v25
	v_mov_b32_e32 v1, 0xff7fffff
	v_lshlrev_b32_e32 v6, 2, v25
	s_waitcnt lgkmcnt(0)
	s_barrier
	buffer_gl0_inv
	s_and_saveexec_b32 s2, s1
; %bb.280:
	ds_read_b32 v1, v6 offset:512
; %bb.281:
	s_or_b32 exec_lo, exec_lo, s2
	v_xor_b32_e32 v3, 2, v46
	v_xor_b32_e32 v9, 1, v46
	v_cmp_gt_i32_e64 s2, 32, v3
	v_cndmask_b32_e64 v3, v46, v3, s2
	v_cmp_gt_i32_e64 s2, 32, v9
	v_lshlrev_b32_e32 v8, 2, v3
	v_cndmask_b32_e64 v9, v46, v9, s2
	s_sub_i32 s2, s20, s44
	s_lshl_b32 s2, s2, 3
	s_waitcnt lgkmcnt(0)
	ds_bpermute_b32 v3, v8, v1
	v_max_f32_e32 v1, v1, v1
	v_lshlrev_b32_e32 v26, 2, v9
	v_mov_b32_e32 v9, 0
	s_add_i32 s2, s2, s42
	s_min_i32 s2, s2, s31
	s_sub_i32 s4, s2, s42
	v_cmp_gt_i32_e64 s2, s4, v0
	s_waitcnt lgkmcnt(0)
	v_max_f32_e32 v3, v3, v3
	v_max_f32_e32 v1, v1, v3
	ds_bpermute_b32 v3, v26, v1
	s_waitcnt lgkmcnt(0)
	v_max_f32_e32 v3, v3, v3
	v_max_f32_e32 v1, v1, v3
	v_lshl_add_u32 v3, v0, 2, 0x220
	ds_bpermute_b32 v1, v9, v1
	s_and_saveexec_b32 s5, s2
	s_cbranch_execz .LBB195_285
; %bb.282:
	v_lshl_add_u32 v10, v0, 2, 0x220
	v_mov_b32_e32 v9, 0
	v_mov_b32_e32 v11, v0
	s_mov_b32 s12, 0
	.p2align	6
.LBB195_283:                            ; =>This Inner Loop Header: Depth=1
	ds_read_b32 v12, v10
	v_add_nc_u32_e32 v11, 0x80, v11
	v_cmp_le_i32_e64 s3, s4, v11
	s_or_b32 s12, s3, s12
	s_waitcnt lgkmcnt(0)
	v_sub_f32_e32 v12, v12, v1
	v_mul_f32_e32 v12, 0x3fb8aa3b, v12
	v_exp_f32_e32 v12, v12
	ds_write_b32 v10, v12
	v_add_f32_e32 v9, v9, v12
	v_add_nc_u32_e32 v10, 0x200, v10
	s_andn2_b32 exec_lo, exec_lo, s12
	s_cbranch_execnz .LBB195_283
; %bb.284:
	s_or_b32 exec_lo, exec_lo, s12
.LBB195_285:
	s_or_b32 exec_lo, exec_lo, s5
	ds_bpermute_b32 v2, v2, v9
	s_waitcnt lgkmcnt(0)
	v_add_f32_e32 v2, v9, v2
	ds_bpermute_b32 v4, v4, v2
	s_waitcnt lgkmcnt(0)
	v_add_f32_e32 v2, v2, v4
	;; [unrolled: 3-line block ×5, first 2 shown]
	s_and_saveexec_b32 s3, vcc_lo
; %bb.286:
	ds_write_b32 v5, v2 offset:528
; %bb.287:
	s_or_b32 exec_lo, exec_lo, s3
	s_waitcnt lgkmcnt(0)
	s_barrier
	buffer_gl0_inv
	s_and_saveexec_b32 s3, s1
; %bb.288:
	ds_read_b32 v2, v6 offset:528
; %bb.289:
	s_or_b32 exec_lo, exec_lo, s3
	s_waitcnt lgkmcnt(0)
	ds_bpermute_b32 v4, v8, v2
	s_waitcnt lgkmcnt(0)
	v_add_f32_e32 v2, v2, v4
	ds_bpermute_b32 v4, v26, v2
	s_waitcnt lgkmcnt(0)
	v_add_f32_e32 v2, v2, v4
	v_mov_b32_e32 v4, 0
	ds_bpermute_b32 v2, v4, v2
	s_and_saveexec_b32 s1, s2
	s_cbranch_execz .LBB195_292
; %bb.290:
	s_waitcnt lgkmcnt(0)
	v_add_f32_e32 v4, 0x358637bd, v2
	s_mov_b32 s2, 0
	v_div_scale_f32 v5, null, v4, v4, 1.0
	v_div_scale_f32 v8, vcc_lo, 1.0, v4, 1.0
	v_rcp_f32_e32 v6, v5
	v_fma_f32 v7, -v5, v6, 1.0
	v_fmac_f32_e32 v6, v7, v6
	v_mul_f32_e32 v7, v8, v6
	v_fma_f32 v9, -v5, v7, v8
	v_fmac_f32_e32 v7, v9, v6
	v_fma_f32 v5, -v5, v7, v8
	v_div_fmas_f32 v5, v5, v6, v7
	v_div_fixup_f32 v4, v5, v4, 1.0
	v_mov_b32_e32 v5, v0
.LBB195_291:                            ; =>This Inner Loop Header: Depth=1
	ds_read_b32 v6, v3
	v_add_nc_u32_e32 v5, 0x80, v5
	v_cmp_le_i32_e32 vcc_lo, s4, v5
	s_or_b32 s2, vcc_lo, s2
	s_waitcnt lgkmcnt(0)
	v_mul_f32_e32 v6, v4, v6
	ds_write_b32 v3, v6
	v_add_nc_u32_e32 v3, 0x200, v3
	s_andn2_b32 exec_lo, exec_lo, s2
	s_cbranch_execnz .LBB195_291
.LBB195_292:
	s_or_b32 exec_lo, exec_lo, s1
	s_mul_i32 s1, s7, s30
	s_waitcnt lgkmcnt(0)
	s_mul_i32 s2, s1, s9
	s_mov_b32 s1, exec_lo
	s_barrier
	buffer_gl0_inv
	v_cmpx_eq_u32_e32 0, v0
	s_cbranch_execz .LBB195_294
; %bb.293:
	s_ashr_i32 s3, s2, 31
	s_mul_i32 s12, s7, s6
	s_lshl_b64 s[4:5], s[2:3], 2
	v_mov_b32_e32 v3, 0
	s_add_u32 s3, s26, s4
	s_addc_u32 s6, s27, s5
	s_ashr_i32 s13, s12, 31
	s_lshl_b64 s[12:13], s[12:13], 2
	s_add_u32 s3, s3, s12
	s_addc_u32 s6, s6, s13
	s_ashr_i32 s9, s8, 31
	s_lshl_b64 s[26:27], s[8:9], 2
	s_add_u32 s42, s3, s26
	s_addc_u32 s43, s6, s27
	s_add_u32 s3, s24, s4
	s_addc_u32 s4, s25, s5
	;; [unrolled: 2-line block ×4, first 2 shown]
	global_store_dword v3, v1, s[42:43]
	global_store_dword v3, v2, s[4:5]
.LBB195_294:
	s_or_b32 exec_lo, exec_lo, s1
	v_mov_b32_e32 v37, 0
	v_and_b32_e32 v27, 1, v0
	v_mov_b32_e32 v36, 0
	v_mov_b32_e32 v35, 0
	;; [unrolled: 1-line block ×7, first 2 shown]
	s_and_saveexec_b32 s1, s0
	s_cbranch_execz .LBB195_572
; %bb.295:
	s_sub_i32 s3, s40, s21
	s_ashr_i32 s0, s18, 31
	s_add_u32 s5, s38, s18
	s_addc_u32 s0, s39, s0
	s_abs_i32 s4, s22
	v_and_b32_e32 v3, 0x7c, v45
	v_cvt_f32_u32_e32 v1, s4
	s_sub_i32 s6, 0, s4
	v_lshlrev_b32_e32 v5, 4, v27
	s_lshl_b64 s[12:13], s[36:37], 2
	v_add_co_u32 v11, s5, s5, v3
	v_rcp_iflag_f32_e32 v4, v1
	v_lshlrev_b64 v[1:2], 2, v[33:34]
	s_add_i32 s33, s33, -1
	v_lshl_or_b32 v5, v43, 5, v5
	v_add_co_ci_u32_e64 v12, null, s0, 0, s5
	s_add_u32 s0, s34, s12
	s_addc_u32 s5, s35, s13
	v_add_co_u32 v13, vcc_lo, s0, v1
	v_mul_f32_e32 v4, 0x4f7ffffe, v4
	v_and_b32_e32 v38, 4, v45
	v_mov_b32_e32 v6, 0
	v_mov_b32_e32 v34, 0x80
	v_bfrev_b32_e32 v8, 1
	v_cvt_u32_f32_e32 v4, v4
	v_mov_b32_e32 v39, 0xffff
	v_mov_b32_e32 v10, 0x7f800001
	;; [unrolled: 1-line block ×4, first 2 shown]
	v_mul_lo_u32 v7, s6, v4
	v_mov_b32_e32 v42, 24
	v_mov_b32_e32 v28, 0
	;; [unrolled: 1-line block ×7, first 2 shown]
	v_mul_hi_u32 v3, v4, v7
	v_mov_b32_e32 v36, 0
	v_add_co_ci_u32_e64 v14, null, s5, v2, vcc_lo
	v_add_nc_u32_e32 v45, 0x220, v5
	v_mov_b32_e32 v37, 0
	s_mov_b32 s6, s17
	s_mov_b32 s5, 0
	v_add_nc_u32_e32 v46, v4, v3
	s_branch .LBB195_298
.LBB195_296:                            ;   in Loop: Header=BB195_298 Depth=1
	s_or_b32 exec_lo, exec_lo, s0
	v_mul_f32_e32 v16, v1, v76
	v_mul_f32_e32 v17, v1, v74
	;; [unrolled: 1-line block ×8, first 2 shown]
	v_fmac_f32_e32 v16, v2, v75
	v_fmac_f32_e32 v17, v2, v73
	;; [unrolled: 1-line block ×24, first 2 shown]
	v_add_f32_e32 v29, v29, v16
	v_add_f32_e32 v30, v30, v17
	;; [unrolled: 1-line block ×8, first 2 shown]
.LBB195_297:                            ;   in Loop: Header=BB195_298 Depth=1
	s_or_b32 exec_lo, exec_lo, s9
	v_add_nc_u32_e32 v33, 4, v33
	v_add_co_u32 v13, s0, v13, 16
	v_add_co_ci_u32_e64 v14, null, 0, v14, s0
	v_cmp_le_i32_e32 vcc_lo, s20, v33
	v_add_nc_u32_e32 v44, 32, v44
	v_add_nc_u32_e32 v45, 0x80, v45
	s_or_b32 s5, vcc_lo, s5
	s_andn2_b32 exec_lo, exec_lo, s5
	s_cbranch_execz .LBB195_571
.LBB195_298:                            ; =>This Inner Loop Header: Depth=1
	v_sub_nc_u32_e32 v1, 0, v44
	v_max_i32_e32 v1, v44, v1
	v_mul_hi_u32 v2, v1, s16
	v_mul_lo_u32 v3, v2, s11
	v_sub_nc_u32_e32 v1, v1, v3
	v_add_nc_u32_e32 v3, 1, v2
	v_subrev_nc_u32_e32 v4, s11, v1
	v_cmp_le_u32_e32 vcc_lo, s11, v1
	v_cndmask_b32_e32 v2, v2, v3, vcc_lo
	v_cndmask_b32_e32 v1, v1, v4, vcc_lo
	v_ashrrev_i32_e32 v3, 31, v44
	v_add_nc_u32_e32 v4, 1, v2
	v_cmp_le_u32_e32 vcc_lo, s11, v1
	v_xor_b32_e32 v3, s23, v3
	v_cndmask_b32_e32 v1, v2, v4, vcc_lo
	v_xor_b32_e32 v1, v1, v3
	v_sub_nc_u32_e32 v1, v1, v3
	v_add_nc_u32_e32 v2, s19, v1
	v_cmp_lt_i32_e64 s0, s3, v1
	v_sub_nc_u32_e32 v3, 0, v2
	v_max_i32_e32 v3, v2, v3
	v_ashrrev_i32_e32 v2, 31, v2
	v_mul_hi_u32 v4, v3, v46
	v_mul_lo_u32 v4, v4, s4
	v_sub_nc_u32_e32 v3, v3, v4
	v_subrev_nc_u32_e32 v4, s4, v3
	v_cmp_le_u32_e32 vcc_lo, s4, v3
	v_cndmask_b32_e32 v3, v3, v4, vcc_lo
	v_subrev_nc_u32_e32 v4, s4, v3
	v_cmp_le_u32_e32 vcc_lo, s4, v3
	v_cndmask_b32_e32 v3, v3, v4, vcc_lo
	v_xor_b32_e32 v3, v3, v2
	v_sub_nc_u32_e32 v2, v3, v2
	v_cmp_eq_u32_e32 vcc_lo, 0, v2
	s_or_b32 s0, vcc_lo, s0
	s_and_saveexec_b32 s9, s0
	s_cbranch_execz .LBB195_297
; %bb.299:                              ;   in Loop: Header=BB195_298 Depth=1
	global_load_dword v1, v[13:14], off
	s_load_dword s12, s[14:15], 0x0
	v_mov_b32_e32 v19, 0
	v_mov_b32_e32 v17, 0
	;; [unrolled: 1-line block ×4, first 2 shown]
	s_waitcnt vmcnt(0)
	v_mad_i64_i32 v[15:16], null, v1, s6, v[11:12]
	ds_read_b128 v[1:4], v45
	global_load_dword v47, v[15:16], off
	s_waitcnt vmcnt(0)
	v_cmp_ne_u16_sdwa s13, v47, v6 src0_sel:BYTE_0 src1_sel:DWORD
	s_and_saveexec_b32 s0, s13
	s_cbranch_execz .LBB195_307
; %bb.300:                              ;   in Loop: Header=BB195_298 Depth=1
	v_bfrev_b32_e32 v17, 1
	v_mov_b32_e32 v18, 0
	v_cmp_ne_u16_sdwa s17, v47, v34 src0_sel:BYTE_0 src1_sel:DWORD
	s_and_saveexec_b32 s13, s17
	s_cbranch_execz .LBB195_306
; %bb.301:                              ;   in Loop: Header=BB195_298 Depth=1
	v_mov_b32_e32 v17, 0x7f800001
	v_and_b32_e32 v9, 0x7f, v47
	v_mov_b32_e32 v18, 0
	s_mov_b32 s17, exec_lo
	v_cmpx_ne_u32_e32 0x7f, v9
	s_cbranch_execz .LBB195_305
; %bb.302:                              ;   in Loop: Header=BB195_298 Depth=1
	v_and_b32_e32 v5, 7, v47
	v_lshrrev_b32_e32 v7, 3, v9
	s_mov_b32 s18, exec_lo
	v_cmpx_gt_u32_e32 8, v9
; %bb.303:                              ;   in Loop: Header=BB195_298 Depth=1
	v_ffbh_u32_e32 v7, v5
	v_min_u32_e32 v7, 32, v7
	v_subrev_nc_u32_e32 v9, 28, v7
	v_sub_nc_u32_e32 v7, 29, v7
	v_lshlrev_b64 v[17:18], v9, v[5:6]
	v_and_b32_e32 v5, 7, v17
; %bb.304:                              ;   in Loop: Header=BB195_298 Depth=1
	s_or_b32 exec_lo, exec_lo, s18
	v_lshlrev_b32_e32 v9, 24, v47
	v_lshlrev_b32_e32 v5, 20, v5
	v_lshl_add_u32 v7, v7, 23, 0x3c000000
	v_and_b32_e32 v9, 0x80000000, v9
	v_or3_b32 v5, v5, v9, v7
	v_mov_b32_e32 v18, v6
	v_mov_b32_e32 v17, v5
.LBB195_305:                            ;   in Loop: Header=BB195_298 Depth=1
	s_or_b32 exec_lo, exec_lo, s17
.LBB195_306:                            ;   in Loop: Header=BB195_298 Depth=1
	s_or_b32 exec_lo, exec_lo, s13
.LBB195_307:                            ;   in Loop: Header=BB195_298 Depth=1
	s_or_b32 exec_lo, exec_lo, s0
	v_cmp_ne_u16_sdwa s13, v47, v6 src0_sel:BYTE_1 src1_sel:DWORD
	s_and_saveexec_b32 s0, s13
	s_cbranch_execz .LBB195_315
; %bb.308:                              ;   in Loop: Header=BB195_298 Depth=1
	v_mov_b32_e32 v7, v6
	v_mov_b32_e32 v20, v8
	v_cmp_ne_u16_sdwa s17, v47, v34 src0_sel:BYTE_1 src1_sel:DWORD
	v_mov_b32_e32 v19, v7
	s_and_saveexec_b32 s13, s17
	s_cbranch_execz .LBB195_314
; %bb.309:                              ;   in Loop: Header=BB195_298 Depth=1
	v_and_b32_sdwa v5, v39, v47 dst_sel:DWORD dst_unused:UNUSED_PAD src0_sel:DWORD src1_sel:BYTE_1
	v_mov_b32_e32 v9, v6
	v_mov_b32_e32 v20, v10
	s_mov_b32 s17, exec_lo
	v_and_b32_e32 v21, 0x7f, v5
	v_mov_b32_e32 v19, v9
	v_cmpx_ne_u32_e32 0x7f, v21
	s_cbranch_execz .LBB195_313
; %bb.310:                              ;   in Loop: Header=BB195_298 Depth=1
	v_and_b32_e32 v5, 7, v5
	v_lshrrev_b32_e32 v7, 3, v21
	s_mov_b32 s18, exec_lo
	v_cmpx_gt_u32_e32 8, v21
; %bb.311:                              ;   in Loop: Header=BB195_298 Depth=1
	v_ffbh_u32_e32 v7, v5
	v_min_u32_e32 v7, 32, v7
	v_subrev_nc_u32_e32 v9, 28, v7
	v_sub_nc_u32_e32 v7, 29, v7
	v_lshlrev_b64 v[19:20], v9, v[5:6]
	v_and_b32_e32 v5, 7, v19
; %bb.312:                              ;   in Loop: Header=BB195_298 Depth=1
	s_or_b32 exec_lo, exec_lo, s18
	v_lshlrev_b32_e32 v9, 16, v47
	v_lshlrev_b32_e32 v5, 20, v5
	v_lshl_add_u32 v7, v7, 23, 0x3c000000
	v_mov_b32_e32 v19, v6
	v_and_b32_e32 v9, 0x80000000, v9
	v_or3_b32 v20, v5, v9, v7
.LBB195_313:                            ;   in Loop: Header=BB195_298 Depth=1
	s_or_b32 exec_lo, exec_lo, s17
.LBB195_314:                            ;   in Loop: Header=BB195_298 Depth=1
	s_or_b32 exec_lo, exec_lo, s13
.LBB195_315:                            ;   in Loop: Header=BB195_298 Depth=1
	s_or_b32 exec_lo, exec_lo, s0
	v_mov_b32_e32 v23, 0
	v_mov_b32_e32 v21, 0
	v_and_b32_sdwa v5, v47, v40 dst_sel:DWORD dst_unused:UNUSED_PAD src0_sel:WORD_1 src1_sel:DWORD
	v_mov_b32_e32 v24, 0
	v_mov_b32_e32 v22, 0
	s_mov_b32 s0, exec_lo
	v_cmpx_ne_u16_e32 0, v5
	s_cbranch_execz .LBB195_323
; %bb.316:                              ;   in Loop: Header=BB195_298 Depth=1
	v_bfrev_b32_e32 v21, 1
	v_mov_b32_e32 v22, 0
	s_mov_b32 s13, exec_lo
	v_cmpx_ne_u16_e32 0x80, v5
	s_cbranch_execz .LBB195_322
; %bb.317:                              ;   in Loop: Header=BB195_298 Depth=1
	v_mov_b32_e32 v21, 0x7f800001
	v_bfe_u32 v9, v47, 16, 7
	v_mov_b32_e32 v22, 0
	s_mov_b32 s17, exec_lo
	v_cmpx_ne_u32_e32 0x7f, v9
	s_cbranch_execz .LBB195_321
; %bb.318:                              ;   in Loop: Header=BB195_298 Depth=1
	v_and_b32_sdwa v5, v47, v41 dst_sel:DWORD dst_unused:UNUSED_PAD src0_sel:WORD_1 src1_sel:DWORD
	v_lshrrev_b32_e32 v7, 3, v9
	s_mov_b32 s18, exec_lo
	v_cmpx_gt_u32_e32 8, v9
; %bb.319:                              ;   in Loop: Header=BB195_298 Depth=1
	v_ffbh_u32_e32 v7, v5
	v_min_u32_e32 v7, 32, v7
	v_subrev_nc_u32_e32 v9, 28, v7
	v_sub_nc_u32_e32 v7, 29, v7
	v_lshlrev_b64 v[21:22], v9, v[5:6]
	v_and_b32_e32 v5, 7, v21
; %bb.320:                              ;   in Loop: Header=BB195_298 Depth=1
	s_or_b32 exec_lo, exec_lo, s18
	v_lshlrev_b32_sdwa v9, v42, v47 dst_sel:DWORD dst_unused:UNUSED_PAD src0_sel:DWORD src1_sel:WORD_1
	v_lshlrev_b32_e32 v5, 20, v5
	v_lshl_add_u32 v7, v7, 23, 0x3c000000
	v_and_b32_e32 v9, 0x80000000, v9
	v_or3_b32 v5, v5, v9, v7
	v_mov_b32_e32 v22, v6
	v_mov_b32_e32 v21, v5
.LBB195_321:                            ;   in Loop: Header=BB195_298 Depth=1
	s_or_b32 exec_lo, exec_lo, s17
.LBB195_322:                            ;   in Loop: Header=BB195_298 Depth=1
	s_or_b32 exec_lo, exec_lo, s13
.LBB195_323:                            ;   in Loop: Header=BB195_298 Depth=1
	s_or_b32 exec_lo, exec_lo, s0
	s_mov_b32 s0, exec_lo
	v_cmpx_lt_u32_e32 0xffffff, v47
	s_cbranch_execz .LBB195_331
; %bb.324:                              ;   in Loop: Header=BB195_298 Depth=1
	v_mov_b32_e32 v7, v6
	v_mov_b32_e32 v24, v8
	v_cmp_ne_u32_sdwa s17, v47, v34 src0_sel:BYTE_3 src1_sel:DWORD
	v_mov_b32_e32 v23, v7
	s_and_saveexec_b32 s13, s17
	s_cbranch_execz .LBB195_330
; %bb.325:                              ;   in Loop: Header=BB195_298 Depth=1
	v_mov_b32_e32 v9, v6
	v_mov_b32_e32 v24, v10
	v_bfe_u32 v48, v47, 24, 7
	s_mov_b32 s17, exec_lo
	v_mov_b32_e32 v23, v9
	v_cmpx_ne_u32_e32 0x7f, v48
	s_cbranch_execz .LBB195_329
; %bb.326:                              ;   in Loop: Header=BB195_298 Depth=1
	v_and_b32_sdwa v5, v47, v41 dst_sel:DWORD dst_unused:UNUSED_PAD src0_sel:BYTE_3 src1_sel:DWORD
	v_lshrrev_b32_e32 v7, 3, v48
	s_mov_b32 s18, exec_lo
	v_cmpx_gt_u32_e32 8, v48
; %bb.327:                              ;   in Loop: Header=BB195_298 Depth=1
	v_ffbh_u32_e32 v7, v5
	v_min_u32_e32 v7, 32, v7
	v_subrev_nc_u32_e32 v9, 28, v7
	v_sub_nc_u32_e32 v7, 29, v7
	v_lshlrev_b64 v[23:24], v9, v[5:6]
	v_and_b32_e32 v5, 7, v23
; %bb.328:                              ;   in Loop: Header=BB195_298 Depth=1
	s_or_b32 exec_lo, exec_lo, s18
	v_lshlrev_b32_sdwa v9, v42, v47 dst_sel:DWORD dst_unused:UNUSED_PAD src0_sel:DWORD src1_sel:BYTE_3
	v_lshlrev_b32_e32 v5, 20, v5
	v_lshl_add_u32 v7, v7, 23, 0x3c000000
	v_mov_b32_e32 v23, v6
	v_and_b32_e32 v9, 0x80000000, v9
	v_or3_b32 v24, v5, v9, v7
.LBB195_329:                            ;   in Loop: Header=BB195_298 Depth=1
	s_or_b32 exec_lo, exec_lo, s17
.LBB195_330:                            ;   in Loop: Header=BB195_298 Depth=1
	s_or_b32 exec_lo, exec_lo, s13
.LBB195_331:                            ;   in Loop: Header=BB195_298 Depth=1
	s_or_b32 exec_lo, exec_lo, s0
	v_add_nc_u32_e32 v51, v38, v44
	v_or_b32_e32 v5, v20, v18
	v_or_b32_e32 v7, v19, v17
	;; [unrolled: 1-line block ×4, first 2 shown]
	v_cmp_eq_u32_e32 vcc_lo, s33, v33
	s_waitcnt lgkmcnt(0)
	v_mul_f32_e32 v49, s12, v5
	v_mul_f32_e32 v50, s12, v7
	;; [unrolled: 1-line block ×4, first 2 shown]
	v_add_nc_u32_e32 v54, 1, v51
	v_add_nc_u32_e32 v53, 2, v51
	;; [unrolled: 1-line block ×3, first 2 shown]
	s_and_saveexec_b32 s13, vcc_lo
	s_cbranch_execz .LBB195_333
; %bb.332:                              ;   in Loop: Header=BB195_298 Depth=1
	v_cmp_gt_i32_e64 s0, s31, v51
	v_cndmask_b32_e64 v50, 0, v50, s0
	v_cmp_gt_i32_e64 s0, s31, v54
	v_cndmask_b32_e64 v49, 0, v49, s0
	;; [unrolled: 2-line block ×4, first 2 shown]
.LBB195_333:                            ;   in Loop: Header=BB195_298 Depth=1
	s_or_b32 exec_lo, exec_lo, s13
	global_load_dword v55, v[15:16], off offset:128
	v_mov_b32_e32 v19, 0
	v_mov_b32_e32 v17, 0
	;; [unrolled: 1-line block ×4, first 2 shown]
	s_waitcnt vmcnt(0)
	v_cmp_ne_u16_sdwa s0, v55, v6 src0_sel:BYTE_0 src1_sel:DWORD
	s_and_saveexec_b32 s13, s0
	s_cbranch_execz .LBB195_341
; %bb.334:                              ;   in Loop: Header=BB195_298 Depth=1
	v_bfrev_b32_e32 v17, 1
	v_mov_b32_e32 v18, 0
	v_cmp_ne_u16_sdwa s0, v55, v34 src0_sel:BYTE_0 src1_sel:DWORD
	s_and_saveexec_b32 s17, s0
	s_cbranch_execz .LBB195_340
; %bb.335:                              ;   in Loop: Header=BB195_298 Depth=1
	v_mov_b32_e32 v17, 0x7f800001
	v_and_b32_e32 v9, 0x7f, v55
	v_mov_b32_e32 v18, 0
	s_mov_b32 s18, exec_lo
	v_cmpx_ne_u32_e32 0x7f, v9
	s_cbranch_execz .LBB195_339
; %bb.336:                              ;   in Loop: Header=BB195_298 Depth=1
	v_and_b32_e32 v5, 7, v55
	v_lshrrev_b32_e32 v7, 3, v9
	s_mov_b32 s21, exec_lo
	v_cmpx_gt_u32_e32 8, v9
; %bb.337:                              ;   in Loop: Header=BB195_298 Depth=1
	v_ffbh_u32_e32 v7, v5
	v_min_u32_e32 v7, 32, v7
	v_subrev_nc_u32_e32 v9, 28, v7
	v_sub_nc_u32_e32 v7, 29, v7
	v_lshlrev_b64 v[17:18], v9, v[5:6]
	v_and_b32_e32 v5, 7, v17
; %bb.338:                              ;   in Loop: Header=BB195_298 Depth=1
	s_or_b32 exec_lo, exec_lo, s21
	v_lshlrev_b32_e32 v9, 24, v55
	v_lshlrev_b32_e32 v5, 20, v5
	v_lshl_add_u32 v7, v7, 23, 0x3c000000
	v_and_b32_e32 v9, 0x80000000, v9
	v_or3_b32 v5, v5, v9, v7
	v_mov_b32_e32 v18, v6
	v_mov_b32_e32 v17, v5
.LBB195_339:                            ;   in Loop: Header=BB195_298 Depth=1
	s_or_b32 exec_lo, exec_lo, s18
.LBB195_340:                            ;   in Loop: Header=BB195_298 Depth=1
	s_or_b32 exec_lo, exec_lo, s17
.LBB195_341:                            ;   in Loop: Header=BB195_298 Depth=1
	s_or_b32 exec_lo, exec_lo, s13
	v_cmp_ne_u16_sdwa s0, v55, v6 src0_sel:BYTE_1 src1_sel:DWORD
	s_and_saveexec_b32 s13, s0
	s_cbranch_execz .LBB195_349
; %bb.342:                              ;   in Loop: Header=BB195_298 Depth=1
	v_mov_b32_e32 v7, v6
	v_mov_b32_e32 v20, v8
	v_cmp_ne_u16_sdwa s0, v55, v34 src0_sel:BYTE_1 src1_sel:DWORD
	v_mov_b32_e32 v19, v7
	s_and_saveexec_b32 s17, s0
	s_cbranch_execz .LBB195_348
; %bb.343:                              ;   in Loop: Header=BB195_298 Depth=1
	v_and_b32_sdwa v5, v39, v55 dst_sel:DWORD dst_unused:UNUSED_PAD src0_sel:DWORD src1_sel:BYTE_1
	v_mov_b32_e32 v9, v6
	v_mov_b32_e32 v20, v10
	s_mov_b32 s18, exec_lo
	v_and_b32_e32 v21, 0x7f, v5
	v_mov_b32_e32 v19, v9
	v_cmpx_ne_u32_e32 0x7f, v21
	s_cbranch_execz .LBB195_347
; %bb.344:                              ;   in Loop: Header=BB195_298 Depth=1
	v_and_b32_e32 v5, 7, v5
	v_lshrrev_b32_e32 v7, 3, v21
	s_mov_b32 s21, exec_lo
	v_cmpx_gt_u32_e32 8, v21
; %bb.345:                              ;   in Loop: Header=BB195_298 Depth=1
	v_ffbh_u32_e32 v7, v5
	v_min_u32_e32 v7, 32, v7
	v_subrev_nc_u32_e32 v9, 28, v7
	v_sub_nc_u32_e32 v7, 29, v7
	v_lshlrev_b64 v[19:20], v9, v[5:6]
	v_and_b32_e32 v5, 7, v19
; %bb.346:                              ;   in Loop: Header=BB195_298 Depth=1
	s_or_b32 exec_lo, exec_lo, s21
	v_lshlrev_b32_e32 v9, 16, v55
	v_lshlrev_b32_e32 v5, 20, v5
	v_lshl_add_u32 v7, v7, 23, 0x3c000000
	v_mov_b32_e32 v19, v6
	v_and_b32_e32 v9, 0x80000000, v9
	v_or3_b32 v20, v5, v9, v7
.LBB195_347:                            ;   in Loop: Header=BB195_298 Depth=1
	s_or_b32 exec_lo, exec_lo, s18
.LBB195_348:                            ;   in Loop: Header=BB195_298 Depth=1
	s_or_b32 exec_lo, exec_lo, s17
.LBB195_349:                            ;   in Loop: Header=BB195_298 Depth=1
	s_or_b32 exec_lo, exec_lo, s13
	v_mov_b32_e32 v23, 0
	v_mov_b32_e32 v21, 0
	v_and_b32_sdwa v5, v55, v40 dst_sel:DWORD dst_unused:UNUSED_PAD src0_sel:WORD_1 src1_sel:DWORD
	v_mov_b32_e32 v24, 0
	v_mov_b32_e32 v22, 0
	s_mov_b32 s13, exec_lo
	v_cmpx_ne_u16_e32 0, v5
	s_cbranch_execz .LBB195_357
; %bb.350:                              ;   in Loop: Header=BB195_298 Depth=1
	v_bfrev_b32_e32 v21, 1
	v_mov_b32_e32 v22, 0
	s_mov_b32 s17, exec_lo
	v_cmpx_ne_u16_e32 0x80, v5
	s_cbranch_execz .LBB195_356
; %bb.351:                              ;   in Loop: Header=BB195_298 Depth=1
	v_mov_b32_e32 v21, 0x7f800001
	v_bfe_u32 v9, v55, 16, 7
	v_mov_b32_e32 v22, 0
	s_mov_b32 s18, exec_lo
	v_cmpx_ne_u32_e32 0x7f, v9
	s_cbranch_execz .LBB195_355
; %bb.352:                              ;   in Loop: Header=BB195_298 Depth=1
	v_and_b32_sdwa v5, v55, v41 dst_sel:DWORD dst_unused:UNUSED_PAD src0_sel:WORD_1 src1_sel:DWORD
	v_lshrrev_b32_e32 v7, 3, v9
	s_mov_b32 s21, exec_lo
	v_cmpx_gt_u32_e32 8, v9
; %bb.353:                              ;   in Loop: Header=BB195_298 Depth=1
	v_ffbh_u32_e32 v7, v5
	v_min_u32_e32 v7, 32, v7
	v_subrev_nc_u32_e32 v9, 28, v7
	v_sub_nc_u32_e32 v7, 29, v7
	v_lshlrev_b64 v[21:22], v9, v[5:6]
	v_and_b32_e32 v5, 7, v21
; %bb.354:                              ;   in Loop: Header=BB195_298 Depth=1
	s_or_b32 exec_lo, exec_lo, s21
	v_lshlrev_b32_sdwa v9, v42, v55 dst_sel:DWORD dst_unused:UNUSED_PAD src0_sel:DWORD src1_sel:WORD_1
	v_lshlrev_b32_e32 v5, 20, v5
	v_lshl_add_u32 v7, v7, 23, 0x3c000000
	v_and_b32_e32 v9, 0x80000000, v9
	v_or3_b32 v5, v5, v9, v7
	v_mov_b32_e32 v22, v6
	v_mov_b32_e32 v21, v5
.LBB195_355:                            ;   in Loop: Header=BB195_298 Depth=1
	s_or_b32 exec_lo, exec_lo, s18
.LBB195_356:                            ;   in Loop: Header=BB195_298 Depth=1
	s_or_b32 exec_lo, exec_lo, s17
.LBB195_357:                            ;   in Loop: Header=BB195_298 Depth=1
	s_or_b32 exec_lo, exec_lo, s13
	s_mov_b32 s13, exec_lo
	v_cmpx_lt_u32_e32 0xffffff, v55
	s_cbranch_execz .LBB195_365
; %bb.358:                              ;   in Loop: Header=BB195_298 Depth=1
	v_mov_b32_e32 v7, v6
	v_mov_b32_e32 v24, v8
	v_cmp_ne_u32_sdwa s0, v55, v34 src0_sel:BYTE_3 src1_sel:DWORD
	v_mov_b32_e32 v23, v7
	s_and_saveexec_b32 s17, s0
	s_cbranch_execz .LBB195_364
; %bb.359:                              ;   in Loop: Header=BB195_298 Depth=1
	v_mov_b32_e32 v9, v6
	v_mov_b32_e32 v24, v10
	v_bfe_u32 v56, v55, 24, 7
	s_mov_b32 s18, exec_lo
	v_mov_b32_e32 v23, v9
	v_cmpx_ne_u32_e32 0x7f, v56
	s_cbranch_execz .LBB195_363
; %bb.360:                              ;   in Loop: Header=BB195_298 Depth=1
	v_and_b32_sdwa v5, v55, v41 dst_sel:DWORD dst_unused:UNUSED_PAD src0_sel:BYTE_3 src1_sel:DWORD
	v_lshrrev_b32_e32 v7, 3, v56
	s_mov_b32 s21, exec_lo
	v_cmpx_gt_u32_e32 8, v56
; %bb.361:                              ;   in Loop: Header=BB195_298 Depth=1
	v_ffbh_u32_e32 v7, v5
	v_min_u32_e32 v7, 32, v7
	v_subrev_nc_u32_e32 v9, 28, v7
	v_sub_nc_u32_e32 v7, 29, v7
	v_lshlrev_b64 v[23:24], v9, v[5:6]
	v_and_b32_e32 v5, 7, v23
; %bb.362:                              ;   in Loop: Header=BB195_298 Depth=1
	s_or_b32 exec_lo, exec_lo, s21
	v_lshlrev_b32_sdwa v9, v42, v55 dst_sel:DWORD dst_unused:UNUSED_PAD src0_sel:DWORD src1_sel:BYTE_3
	v_lshlrev_b32_e32 v5, 20, v5
	v_lshl_add_u32 v7, v7, 23, 0x3c000000
	v_mov_b32_e32 v23, v6
	v_and_b32_e32 v9, 0x80000000, v9
	v_or3_b32 v24, v5, v9, v7
.LBB195_363:                            ;   in Loop: Header=BB195_298 Depth=1
	s_or_b32 exec_lo, exec_lo, s18
.LBB195_364:                            ;   in Loop: Header=BB195_298 Depth=1
	s_or_b32 exec_lo, exec_lo, s17
.LBB195_365:                            ;   in Loop: Header=BB195_298 Depth=1
	s_or_b32 exec_lo, exec_lo, s13
	v_or_b32_e32 v5, v20, v18
	v_or_b32_e32 v7, v19, v17
	;; [unrolled: 1-line block ×4, first 2 shown]
	s_mov_b32 s13, s12
	v_mul_f32_e32 v57, s13, v5
	v_mul_f32_e32 v58, s12, v7
	;; [unrolled: 1-line block ×4, first 2 shown]
	s_and_saveexec_b32 s17, vcc_lo
	s_cbranch_execz .LBB195_367
; %bb.366:                              ;   in Loop: Header=BB195_298 Depth=1
	v_cmp_gt_i32_e64 s0, s31, v51
	v_cndmask_b32_e64 v58, 0, v58, s0
	v_cmp_gt_i32_e64 s0, s31, v54
	v_cndmask_b32_e64 v57, 0, v57, s0
	;; [unrolled: 2-line block ×4, first 2 shown]
.LBB195_367:                            ;   in Loop: Header=BB195_298 Depth=1
	s_or_b32 exec_lo, exec_lo, s17
	global_load_dword v59, v[15:16], off offset:256
	v_mov_b32_e32 v19, 0
	v_mov_b32_e32 v17, 0
	;; [unrolled: 1-line block ×4, first 2 shown]
	s_waitcnt vmcnt(0)
	v_cmp_ne_u16_sdwa s0, v59, v6 src0_sel:BYTE_0 src1_sel:DWORD
	s_and_saveexec_b32 s17, s0
	s_cbranch_execz .LBB195_375
; %bb.368:                              ;   in Loop: Header=BB195_298 Depth=1
	v_bfrev_b32_e32 v17, 1
	v_mov_b32_e32 v18, 0
	v_cmp_ne_u16_sdwa s0, v59, v34 src0_sel:BYTE_0 src1_sel:DWORD
	s_and_saveexec_b32 s18, s0
	s_cbranch_execz .LBB195_374
; %bb.369:                              ;   in Loop: Header=BB195_298 Depth=1
	v_mov_b32_e32 v17, 0x7f800001
	v_and_b32_e32 v9, 0x7f, v59
	v_mov_b32_e32 v18, 0
	s_mov_b32 s21, exec_lo
	v_cmpx_ne_u32_e32 0x7f, v9
	s_cbranch_execz .LBB195_373
; %bb.370:                              ;   in Loop: Header=BB195_298 Depth=1
	v_and_b32_e32 v5, 7, v59
	v_lshrrev_b32_e32 v7, 3, v9
	s_mov_b32 s22, exec_lo
	v_cmpx_gt_u32_e32 8, v9
; %bb.371:                              ;   in Loop: Header=BB195_298 Depth=1
	v_ffbh_u32_e32 v7, v5
	v_min_u32_e32 v7, 32, v7
	v_subrev_nc_u32_e32 v9, 28, v7
	v_sub_nc_u32_e32 v7, 29, v7
	v_lshlrev_b64 v[17:18], v9, v[5:6]
	v_and_b32_e32 v5, 7, v17
; %bb.372:                              ;   in Loop: Header=BB195_298 Depth=1
	s_or_b32 exec_lo, exec_lo, s22
	v_lshlrev_b32_e32 v9, 24, v59
	v_lshlrev_b32_e32 v5, 20, v5
	v_lshl_add_u32 v7, v7, 23, 0x3c000000
	v_and_b32_e32 v9, 0x80000000, v9
	v_or3_b32 v5, v5, v9, v7
	v_mov_b32_e32 v18, v6
	v_mov_b32_e32 v17, v5
.LBB195_373:                            ;   in Loop: Header=BB195_298 Depth=1
	s_or_b32 exec_lo, exec_lo, s21
.LBB195_374:                            ;   in Loop: Header=BB195_298 Depth=1
	s_or_b32 exec_lo, exec_lo, s18
.LBB195_375:                            ;   in Loop: Header=BB195_298 Depth=1
	s_or_b32 exec_lo, exec_lo, s17
	v_cmp_ne_u16_sdwa s0, v59, v6 src0_sel:BYTE_1 src1_sel:DWORD
	s_and_saveexec_b32 s17, s0
	s_cbranch_execz .LBB195_383
; %bb.376:                              ;   in Loop: Header=BB195_298 Depth=1
	v_mov_b32_e32 v7, v6
	v_mov_b32_e32 v20, v8
	v_cmp_ne_u16_sdwa s0, v59, v34 src0_sel:BYTE_1 src1_sel:DWORD
	v_mov_b32_e32 v19, v7
	s_and_saveexec_b32 s18, s0
	s_cbranch_execz .LBB195_382
; %bb.377:                              ;   in Loop: Header=BB195_298 Depth=1
	v_and_b32_sdwa v5, v39, v59 dst_sel:DWORD dst_unused:UNUSED_PAD src0_sel:DWORD src1_sel:BYTE_1
	v_mov_b32_e32 v9, v6
	v_mov_b32_e32 v20, v10
	s_mov_b32 s21, exec_lo
	v_and_b32_e32 v21, 0x7f, v5
	v_mov_b32_e32 v19, v9
	v_cmpx_ne_u32_e32 0x7f, v21
	s_cbranch_execz .LBB195_381
; %bb.378:                              ;   in Loop: Header=BB195_298 Depth=1
	v_and_b32_e32 v5, 7, v5
	v_lshrrev_b32_e32 v7, 3, v21
	s_mov_b32 s22, exec_lo
	v_cmpx_gt_u32_e32 8, v21
; %bb.379:                              ;   in Loop: Header=BB195_298 Depth=1
	v_ffbh_u32_e32 v7, v5
	v_min_u32_e32 v7, 32, v7
	v_subrev_nc_u32_e32 v9, 28, v7
	v_sub_nc_u32_e32 v7, 29, v7
	v_lshlrev_b64 v[19:20], v9, v[5:6]
	v_and_b32_e32 v5, 7, v19
; %bb.380:                              ;   in Loop: Header=BB195_298 Depth=1
	s_or_b32 exec_lo, exec_lo, s22
	v_lshlrev_b32_e32 v9, 16, v59
	v_lshlrev_b32_e32 v5, 20, v5
	v_lshl_add_u32 v7, v7, 23, 0x3c000000
	v_mov_b32_e32 v19, v6
	v_and_b32_e32 v9, 0x80000000, v9
	v_or3_b32 v20, v5, v9, v7
.LBB195_381:                            ;   in Loop: Header=BB195_298 Depth=1
	s_or_b32 exec_lo, exec_lo, s21
.LBB195_382:                            ;   in Loop: Header=BB195_298 Depth=1
	s_or_b32 exec_lo, exec_lo, s18
.LBB195_383:                            ;   in Loop: Header=BB195_298 Depth=1
	s_or_b32 exec_lo, exec_lo, s17
	v_mov_b32_e32 v23, 0
	v_mov_b32_e32 v21, 0
	v_and_b32_sdwa v5, v59, v40 dst_sel:DWORD dst_unused:UNUSED_PAD src0_sel:WORD_1 src1_sel:DWORD
	v_mov_b32_e32 v24, 0
	v_mov_b32_e32 v22, 0
	s_mov_b32 s17, exec_lo
	v_cmpx_ne_u16_e32 0, v5
	s_cbranch_execz .LBB195_391
; %bb.384:                              ;   in Loop: Header=BB195_298 Depth=1
	v_bfrev_b32_e32 v21, 1
	v_mov_b32_e32 v22, 0
	s_mov_b32 s18, exec_lo
	v_cmpx_ne_u16_e32 0x80, v5
	s_cbranch_execz .LBB195_390
; %bb.385:                              ;   in Loop: Header=BB195_298 Depth=1
	v_mov_b32_e32 v21, 0x7f800001
	v_bfe_u32 v9, v59, 16, 7
	v_mov_b32_e32 v22, 0
	s_mov_b32 s21, exec_lo
	v_cmpx_ne_u32_e32 0x7f, v9
	s_cbranch_execz .LBB195_389
; %bb.386:                              ;   in Loop: Header=BB195_298 Depth=1
	v_and_b32_sdwa v5, v59, v41 dst_sel:DWORD dst_unused:UNUSED_PAD src0_sel:WORD_1 src1_sel:DWORD
	v_lshrrev_b32_e32 v7, 3, v9
	s_mov_b32 s22, exec_lo
	v_cmpx_gt_u32_e32 8, v9
; %bb.387:                              ;   in Loop: Header=BB195_298 Depth=1
	v_ffbh_u32_e32 v7, v5
	v_min_u32_e32 v7, 32, v7
	v_subrev_nc_u32_e32 v9, 28, v7
	v_sub_nc_u32_e32 v7, 29, v7
	v_lshlrev_b64 v[21:22], v9, v[5:6]
	v_and_b32_e32 v5, 7, v21
; %bb.388:                              ;   in Loop: Header=BB195_298 Depth=1
	s_or_b32 exec_lo, exec_lo, s22
	v_lshlrev_b32_sdwa v9, v42, v59 dst_sel:DWORD dst_unused:UNUSED_PAD src0_sel:DWORD src1_sel:WORD_1
	v_lshlrev_b32_e32 v5, 20, v5
	v_lshl_add_u32 v7, v7, 23, 0x3c000000
	v_and_b32_e32 v9, 0x80000000, v9
	v_or3_b32 v5, v5, v9, v7
	v_mov_b32_e32 v22, v6
	v_mov_b32_e32 v21, v5
.LBB195_389:                            ;   in Loop: Header=BB195_298 Depth=1
	s_or_b32 exec_lo, exec_lo, s21
.LBB195_390:                            ;   in Loop: Header=BB195_298 Depth=1
	s_or_b32 exec_lo, exec_lo, s18
.LBB195_391:                            ;   in Loop: Header=BB195_298 Depth=1
	s_or_b32 exec_lo, exec_lo, s17
	s_mov_b32 s17, exec_lo
	v_cmpx_lt_u32_e32 0xffffff, v59
	s_cbranch_execz .LBB195_399
; %bb.392:                              ;   in Loop: Header=BB195_298 Depth=1
	v_mov_b32_e32 v7, v6
	v_mov_b32_e32 v24, v8
	v_cmp_ne_u32_sdwa s0, v59, v34 src0_sel:BYTE_3 src1_sel:DWORD
	v_mov_b32_e32 v23, v7
	s_and_saveexec_b32 s18, s0
	s_cbranch_execz .LBB195_398
; %bb.393:                              ;   in Loop: Header=BB195_298 Depth=1
	v_mov_b32_e32 v9, v6
	v_mov_b32_e32 v24, v10
	v_bfe_u32 v60, v59, 24, 7
	s_mov_b32 s21, exec_lo
	v_mov_b32_e32 v23, v9
	v_cmpx_ne_u32_e32 0x7f, v60
	s_cbranch_execz .LBB195_397
; %bb.394:                              ;   in Loop: Header=BB195_298 Depth=1
	v_and_b32_sdwa v5, v59, v41 dst_sel:DWORD dst_unused:UNUSED_PAD src0_sel:BYTE_3 src1_sel:DWORD
	v_lshrrev_b32_e32 v7, 3, v60
	s_mov_b32 s22, exec_lo
	v_cmpx_gt_u32_e32 8, v60
; %bb.395:                              ;   in Loop: Header=BB195_298 Depth=1
	v_ffbh_u32_e32 v7, v5
	v_min_u32_e32 v7, 32, v7
	v_subrev_nc_u32_e32 v9, 28, v7
	v_sub_nc_u32_e32 v7, 29, v7
	v_lshlrev_b64 v[23:24], v9, v[5:6]
	v_and_b32_e32 v5, 7, v23
; %bb.396:                              ;   in Loop: Header=BB195_298 Depth=1
	s_or_b32 exec_lo, exec_lo, s22
	v_lshlrev_b32_sdwa v9, v42, v59 dst_sel:DWORD dst_unused:UNUSED_PAD src0_sel:DWORD src1_sel:BYTE_3
	v_lshlrev_b32_e32 v5, 20, v5
	v_lshl_add_u32 v7, v7, 23, 0x3c000000
	v_mov_b32_e32 v23, v6
	v_and_b32_e32 v9, 0x80000000, v9
	v_or3_b32 v24, v5, v9, v7
.LBB195_397:                            ;   in Loop: Header=BB195_298 Depth=1
	s_or_b32 exec_lo, exec_lo, s21
.LBB195_398:                            ;   in Loop: Header=BB195_298 Depth=1
	s_or_b32 exec_lo, exec_lo, s18
.LBB195_399:                            ;   in Loop: Header=BB195_298 Depth=1
	s_or_b32 exec_lo, exec_lo, s17
	v_or_b32_e32 v5, v20, v18
	v_or_b32_e32 v7, v19, v17
	;; [unrolled: 1-line block ×4, first 2 shown]
	v_mul_f32_e32 v61, s13, v5
	v_mul_f32_e32 v62, s12, v7
	;; [unrolled: 1-line block ×4, first 2 shown]
	s_and_saveexec_b32 s17, vcc_lo
	s_cbranch_execz .LBB195_401
; %bb.400:                              ;   in Loop: Header=BB195_298 Depth=1
	v_cmp_gt_i32_e64 s0, s31, v51
	v_cndmask_b32_e64 v62, 0, v62, s0
	v_cmp_gt_i32_e64 s0, s31, v54
	v_cndmask_b32_e64 v61, 0, v61, s0
	;; [unrolled: 2-line block ×4, first 2 shown]
.LBB195_401:                            ;   in Loop: Header=BB195_298 Depth=1
	s_or_b32 exec_lo, exec_lo, s17
	global_load_dword v63, v[15:16], off offset:384
	v_mov_b32_e32 v19, 0
	v_mov_b32_e32 v17, 0
	;; [unrolled: 1-line block ×4, first 2 shown]
	s_waitcnt vmcnt(0)
	v_cmp_ne_u16_sdwa s0, v63, v6 src0_sel:BYTE_0 src1_sel:DWORD
	s_and_saveexec_b32 s17, s0
	s_cbranch_execz .LBB195_409
; %bb.402:                              ;   in Loop: Header=BB195_298 Depth=1
	v_bfrev_b32_e32 v17, 1
	v_mov_b32_e32 v18, 0
	v_cmp_ne_u16_sdwa s0, v63, v34 src0_sel:BYTE_0 src1_sel:DWORD
	s_and_saveexec_b32 s18, s0
	s_cbranch_execz .LBB195_408
; %bb.403:                              ;   in Loop: Header=BB195_298 Depth=1
	v_mov_b32_e32 v17, 0x7f800001
	v_and_b32_e32 v9, 0x7f, v63
	v_mov_b32_e32 v18, 0
	s_mov_b32 s21, exec_lo
	v_cmpx_ne_u32_e32 0x7f, v9
	s_cbranch_execz .LBB195_407
; %bb.404:                              ;   in Loop: Header=BB195_298 Depth=1
	v_and_b32_e32 v5, 7, v63
	v_lshrrev_b32_e32 v7, 3, v9
	s_mov_b32 s22, exec_lo
	v_cmpx_gt_u32_e32 8, v9
; %bb.405:                              ;   in Loop: Header=BB195_298 Depth=1
	v_ffbh_u32_e32 v7, v5
	v_min_u32_e32 v7, 32, v7
	v_subrev_nc_u32_e32 v9, 28, v7
	v_sub_nc_u32_e32 v7, 29, v7
	v_lshlrev_b64 v[17:18], v9, v[5:6]
	v_and_b32_e32 v5, 7, v17
; %bb.406:                              ;   in Loop: Header=BB195_298 Depth=1
	s_or_b32 exec_lo, exec_lo, s22
	v_lshlrev_b32_e32 v9, 24, v63
	v_lshlrev_b32_e32 v5, 20, v5
	v_lshl_add_u32 v7, v7, 23, 0x3c000000
	v_and_b32_e32 v9, 0x80000000, v9
	v_or3_b32 v5, v5, v9, v7
	v_mov_b32_e32 v18, v6
	v_mov_b32_e32 v17, v5
.LBB195_407:                            ;   in Loop: Header=BB195_298 Depth=1
	s_or_b32 exec_lo, exec_lo, s21
.LBB195_408:                            ;   in Loop: Header=BB195_298 Depth=1
	s_or_b32 exec_lo, exec_lo, s18
.LBB195_409:                            ;   in Loop: Header=BB195_298 Depth=1
	s_or_b32 exec_lo, exec_lo, s17
	v_cmp_ne_u16_sdwa s0, v63, v6 src0_sel:BYTE_1 src1_sel:DWORD
	s_and_saveexec_b32 s17, s0
	s_cbranch_execz .LBB195_417
; %bb.410:                              ;   in Loop: Header=BB195_298 Depth=1
	v_mov_b32_e32 v7, v6
	v_mov_b32_e32 v20, v8
	v_cmp_ne_u16_sdwa s0, v63, v34 src0_sel:BYTE_1 src1_sel:DWORD
	v_mov_b32_e32 v19, v7
	s_and_saveexec_b32 s18, s0
	s_cbranch_execz .LBB195_416
; %bb.411:                              ;   in Loop: Header=BB195_298 Depth=1
	v_and_b32_sdwa v5, v39, v63 dst_sel:DWORD dst_unused:UNUSED_PAD src0_sel:DWORD src1_sel:BYTE_1
	v_mov_b32_e32 v9, v6
	v_mov_b32_e32 v20, v10
	s_mov_b32 s21, exec_lo
	v_and_b32_e32 v21, 0x7f, v5
	v_mov_b32_e32 v19, v9
	v_cmpx_ne_u32_e32 0x7f, v21
	s_cbranch_execz .LBB195_415
; %bb.412:                              ;   in Loop: Header=BB195_298 Depth=1
	v_and_b32_e32 v5, 7, v5
	v_lshrrev_b32_e32 v7, 3, v21
	s_mov_b32 s22, exec_lo
	v_cmpx_gt_u32_e32 8, v21
; %bb.413:                              ;   in Loop: Header=BB195_298 Depth=1
	v_ffbh_u32_e32 v7, v5
	v_min_u32_e32 v7, 32, v7
	v_subrev_nc_u32_e32 v9, 28, v7
	v_sub_nc_u32_e32 v7, 29, v7
	v_lshlrev_b64 v[19:20], v9, v[5:6]
	v_and_b32_e32 v5, 7, v19
; %bb.414:                              ;   in Loop: Header=BB195_298 Depth=1
	s_or_b32 exec_lo, exec_lo, s22
	v_lshlrev_b32_e32 v9, 16, v63
	v_lshlrev_b32_e32 v5, 20, v5
	v_lshl_add_u32 v7, v7, 23, 0x3c000000
	v_mov_b32_e32 v19, v6
	v_and_b32_e32 v9, 0x80000000, v9
	v_or3_b32 v20, v5, v9, v7
.LBB195_415:                            ;   in Loop: Header=BB195_298 Depth=1
	s_or_b32 exec_lo, exec_lo, s21
.LBB195_416:                            ;   in Loop: Header=BB195_298 Depth=1
	s_or_b32 exec_lo, exec_lo, s18
.LBB195_417:                            ;   in Loop: Header=BB195_298 Depth=1
	s_or_b32 exec_lo, exec_lo, s17
	v_mov_b32_e32 v23, 0
	v_mov_b32_e32 v21, 0
	v_and_b32_sdwa v5, v63, v40 dst_sel:DWORD dst_unused:UNUSED_PAD src0_sel:WORD_1 src1_sel:DWORD
	v_mov_b32_e32 v24, 0
	v_mov_b32_e32 v22, 0
	s_mov_b32 s17, exec_lo
	v_cmpx_ne_u16_e32 0, v5
	s_cbranch_execz .LBB195_425
; %bb.418:                              ;   in Loop: Header=BB195_298 Depth=1
	v_bfrev_b32_e32 v21, 1
	v_mov_b32_e32 v22, 0
	s_mov_b32 s18, exec_lo
	v_cmpx_ne_u16_e32 0x80, v5
	s_cbranch_execz .LBB195_424
; %bb.419:                              ;   in Loop: Header=BB195_298 Depth=1
	v_mov_b32_e32 v21, 0x7f800001
	v_bfe_u32 v9, v63, 16, 7
	v_mov_b32_e32 v22, 0
	s_mov_b32 s21, exec_lo
	v_cmpx_ne_u32_e32 0x7f, v9
	s_cbranch_execz .LBB195_423
; %bb.420:                              ;   in Loop: Header=BB195_298 Depth=1
	v_and_b32_sdwa v5, v63, v41 dst_sel:DWORD dst_unused:UNUSED_PAD src0_sel:WORD_1 src1_sel:DWORD
	v_lshrrev_b32_e32 v7, 3, v9
	s_mov_b32 s22, exec_lo
	v_cmpx_gt_u32_e32 8, v9
; %bb.421:                              ;   in Loop: Header=BB195_298 Depth=1
	v_ffbh_u32_e32 v7, v5
	v_min_u32_e32 v7, 32, v7
	v_subrev_nc_u32_e32 v9, 28, v7
	v_sub_nc_u32_e32 v7, 29, v7
	v_lshlrev_b64 v[21:22], v9, v[5:6]
	v_and_b32_e32 v5, 7, v21
; %bb.422:                              ;   in Loop: Header=BB195_298 Depth=1
	s_or_b32 exec_lo, exec_lo, s22
	v_lshlrev_b32_sdwa v9, v42, v63 dst_sel:DWORD dst_unused:UNUSED_PAD src0_sel:DWORD src1_sel:WORD_1
	v_lshlrev_b32_e32 v5, 20, v5
	v_lshl_add_u32 v7, v7, 23, 0x3c000000
	v_and_b32_e32 v9, 0x80000000, v9
	v_or3_b32 v5, v5, v9, v7
	v_mov_b32_e32 v22, v6
	v_mov_b32_e32 v21, v5
.LBB195_423:                            ;   in Loop: Header=BB195_298 Depth=1
	s_or_b32 exec_lo, exec_lo, s21
.LBB195_424:                            ;   in Loop: Header=BB195_298 Depth=1
	s_or_b32 exec_lo, exec_lo, s18
.LBB195_425:                            ;   in Loop: Header=BB195_298 Depth=1
	s_or_b32 exec_lo, exec_lo, s17
	s_mov_b32 s17, exec_lo
	v_cmpx_lt_u32_e32 0xffffff, v63
	s_cbranch_execz .LBB195_433
; %bb.426:                              ;   in Loop: Header=BB195_298 Depth=1
	v_mov_b32_e32 v7, v6
	v_mov_b32_e32 v24, v8
	v_cmp_ne_u32_sdwa s0, v63, v34 src0_sel:BYTE_3 src1_sel:DWORD
	v_mov_b32_e32 v23, v7
	s_and_saveexec_b32 s18, s0
	s_cbranch_execz .LBB195_432
; %bb.427:                              ;   in Loop: Header=BB195_298 Depth=1
	v_mov_b32_e32 v9, v6
	v_mov_b32_e32 v24, v10
	v_bfe_u32 v64, v63, 24, 7
	s_mov_b32 s21, exec_lo
	v_mov_b32_e32 v23, v9
	v_cmpx_ne_u32_e32 0x7f, v64
	s_cbranch_execz .LBB195_431
; %bb.428:                              ;   in Loop: Header=BB195_298 Depth=1
	v_and_b32_sdwa v5, v63, v41 dst_sel:DWORD dst_unused:UNUSED_PAD src0_sel:BYTE_3 src1_sel:DWORD
	v_lshrrev_b32_e32 v7, 3, v64
	s_mov_b32 s22, exec_lo
	v_cmpx_gt_u32_e32 8, v64
; %bb.429:                              ;   in Loop: Header=BB195_298 Depth=1
	v_ffbh_u32_e32 v7, v5
	v_min_u32_e32 v7, 32, v7
	v_subrev_nc_u32_e32 v9, 28, v7
	v_sub_nc_u32_e32 v7, 29, v7
	v_lshlrev_b64 v[23:24], v9, v[5:6]
	v_and_b32_e32 v5, 7, v23
; %bb.430:                              ;   in Loop: Header=BB195_298 Depth=1
	s_or_b32 exec_lo, exec_lo, s22
	v_lshlrev_b32_sdwa v9, v42, v63 dst_sel:DWORD dst_unused:UNUSED_PAD src0_sel:DWORD src1_sel:BYTE_3
	v_lshlrev_b32_e32 v5, 20, v5
	v_lshl_add_u32 v7, v7, 23, 0x3c000000
	v_mov_b32_e32 v23, v6
	v_and_b32_e32 v9, 0x80000000, v9
	v_or3_b32 v24, v5, v9, v7
.LBB195_431:                            ;   in Loop: Header=BB195_298 Depth=1
	s_or_b32 exec_lo, exec_lo, s21
.LBB195_432:                            ;   in Loop: Header=BB195_298 Depth=1
	s_or_b32 exec_lo, exec_lo, s18
.LBB195_433:                            ;   in Loop: Header=BB195_298 Depth=1
	s_or_b32 exec_lo, exec_lo, s17
	v_or_b32_e32 v5, v20, v18
	v_or_b32_e32 v7, v19, v17
	;; [unrolled: 1-line block ×4, first 2 shown]
	v_mul_f32_e32 v65, s13, v5
	v_mul_f32_e32 v66, s12, v7
	;; [unrolled: 1-line block ×4, first 2 shown]
	s_and_saveexec_b32 s17, vcc_lo
	s_cbranch_execz .LBB195_435
; %bb.434:                              ;   in Loop: Header=BB195_298 Depth=1
	v_cmp_gt_i32_e64 s0, s31, v51
	v_cndmask_b32_e64 v66, 0, v66, s0
	v_cmp_gt_i32_e64 s0, s31, v54
	v_cndmask_b32_e64 v65, 0, v65, s0
	;; [unrolled: 2-line block ×4, first 2 shown]
.LBB195_435:                            ;   in Loop: Header=BB195_298 Depth=1
	s_or_b32 exec_lo, exec_lo, s17
	global_load_dword v67, v[15:16], off offset:512
	v_mov_b32_e32 v19, 0
	v_mov_b32_e32 v17, 0
	;; [unrolled: 1-line block ×4, first 2 shown]
	s_waitcnt vmcnt(0)
	v_cmp_ne_u16_sdwa s0, v67, v6 src0_sel:BYTE_0 src1_sel:DWORD
	s_and_saveexec_b32 s17, s0
	s_cbranch_execz .LBB195_443
; %bb.436:                              ;   in Loop: Header=BB195_298 Depth=1
	v_bfrev_b32_e32 v17, 1
	v_mov_b32_e32 v18, 0
	v_cmp_ne_u16_sdwa s0, v67, v34 src0_sel:BYTE_0 src1_sel:DWORD
	s_and_saveexec_b32 s18, s0
	s_cbranch_execz .LBB195_442
; %bb.437:                              ;   in Loop: Header=BB195_298 Depth=1
	v_mov_b32_e32 v17, 0x7f800001
	v_and_b32_e32 v9, 0x7f, v67
	v_mov_b32_e32 v18, 0
	s_mov_b32 s21, exec_lo
	v_cmpx_ne_u32_e32 0x7f, v9
	s_cbranch_execz .LBB195_441
; %bb.438:                              ;   in Loop: Header=BB195_298 Depth=1
	v_and_b32_e32 v5, 7, v67
	v_lshrrev_b32_e32 v7, 3, v9
	s_mov_b32 s22, exec_lo
	v_cmpx_gt_u32_e32 8, v9
; %bb.439:                              ;   in Loop: Header=BB195_298 Depth=1
	v_ffbh_u32_e32 v7, v5
	v_min_u32_e32 v7, 32, v7
	v_subrev_nc_u32_e32 v9, 28, v7
	v_sub_nc_u32_e32 v7, 29, v7
	v_lshlrev_b64 v[17:18], v9, v[5:6]
	v_and_b32_e32 v5, 7, v17
; %bb.440:                              ;   in Loop: Header=BB195_298 Depth=1
	s_or_b32 exec_lo, exec_lo, s22
	v_lshlrev_b32_e32 v9, 24, v67
	v_lshlrev_b32_e32 v5, 20, v5
	v_lshl_add_u32 v7, v7, 23, 0x3c000000
	v_and_b32_e32 v9, 0x80000000, v9
	v_or3_b32 v5, v5, v9, v7
	v_mov_b32_e32 v18, v6
	v_mov_b32_e32 v17, v5
.LBB195_441:                            ;   in Loop: Header=BB195_298 Depth=1
	s_or_b32 exec_lo, exec_lo, s21
.LBB195_442:                            ;   in Loop: Header=BB195_298 Depth=1
	s_or_b32 exec_lo, exec_lo, s18
.LBB195_443:                            ;   in Loop: Header=BB195_298 Depth=1
	s_or_b32 exec_lo, exec_lo, s17
	v_cmp_ne_u16_sdwa s0, v67, v6 src0_sel:BYTE_1 src1_sel:DWORD
	s_and_saveexec_b32 s17, s0
	s_cbranch_execz .LBB195_451
; %bb.444:                              ;   in Loop: Header=BB195_298 Depth=1
	v_mov_b32_e32 v7, v6
	v_mov_b32_e32 v20, v8
	v_cmp_ne_u16_sdwa s0, v67, v34 src0_sel:BYTE_1 src1_sel:DWORD
	v_mov_b32_e32 v19, v7
	s_and_saveexec_b32 s18, s0
	s_cbranch_execz .LBB195_450
; %bb.445:                              ;   in Loop: Header=BB195_298 Depth=1
	v_and_b32_sdwa v5, v39, v67 dst_sel:DWORD dst_unused:UNUSED_PAD src0_sel:DWORD src1_sel:BYTE_1
	v_mov_b32_e32 v9, v6
	v_mov_b32_e32 v20, v10
	s_mov_b32 s21, exec_lo
	v_and_b32_e32 v21, 0x7f, v5
	v_mov_b32_e32 v19, v9
	v_cmpx_ne_u32_e32 0x7f, v21
	s_cbranch_execz .LBB195_449
; %bb.446:                              ;   in Loop: Header=BB195_298 Depth=1
	v_and_b32_e32 v5, 7, v5
	v_lshrrev_b32_e32 v7, 3, v21
	s_mov_b32 s22, exec_lo
	v_cmpx_gt_u32_e32 8, v21
; %bb.447:                              ;   in Loop: Header=BB195_298 Depth=1
	v_ffbh_u32_e32 v7, v5
	v_min_u32_e32 v7, 32, v7
	v_subrev_nc_u32_e32 v9, 28, v7
	v_sub_nc_u32_e32 v7, 29, v7
	v_lshlrev_b64 v[19:20], v9, v[5:6]
	v_and_b32_e32 v5, 7, v19
; %bb.448:                              ;   in Loop: Header=BB195_298 Depth=1
	s_or_b32 exec_lo, exec_lo, s22
	v_lshlrev_b32_e32 v9, 16, v67
	v_lshlrev_b32_e32 v5, 20, v5
	v_lshl_add_u32 v7, v7, 23, 0x3c000000
	v_mov_b32_e32 v19, v6
	v_and_b32_e32 v9, 0x80000000, v9
	v_or3_b32 v20, v5, v9, v7
.LBB195_449:                            ;   in Loop: Header=BB195_298 Depth=1
	s_or_b32 exec_lo, exec_lo, s21
.LBB195_450:                            ;   in Loop: Header=BB195_298 Depth=1
	s_or_b32 exec_lo, exec_lo, s18
.LBB195_451:                            ;   in Loop: Header=BB195_298 Depth=1
	s_or_b32 exec_lo, exec_lo, s17
	v_mov_b32_e32 v23, 0
	v_mov_b32_e32 v21, 0
	v_and_b32_sdwa v5, v67, v40 dst_sel:DWORD dst_unused:UNUSED_PAD src0_sel:WORD_1 src1_sel:DWORD
	v_mov_b32_e32 v24, 0
	v_mov_b32_e32 v22, 0
	s_mov_b32 s17, exec_lo
	v_cmpx_ne_u16_e32 0, v5
	s_cbranch_execz .LBB195_459
; %bb.452:                              ;   in Loop: Header=BB195_298 Depth=1
	v_bfrev_b32_e32 v21, 1
	v_mov_b32_e32 v22, 0
	s_mov_b32 s18, exec_lo
	v_cmpx_ne_u16_e32 0x80, v5
	s_cbranch_execz .LBB195_458
; %bb.453:                              ;   in Loop: Header=BB195_298 Depth=1
	v_mov_b32_e32 v21, 0x7f800001
	v_bfe_u32 v9, v67, 16, 7
	v_mov_b32_e32 v22, 0
	s_mov_b32 s21, exec_lo
	v_cmpx_ne_u32_e32 0x7f, v9
	s_cbranch_execz .LBB195_457
; %bb.454:                              ;   in Loop: Header=BB195_298 Depth=1
	v_and_b32_sdwa v5, v67, v41 dst_sel:DWORD dst_unused:UNUSED_PAD src0_sel:WORD_1 src1_sel:DWORD
	v_lshrrev_b32_e32 v7, 3, v9
	s_mov_b32 s22, exec_lo
	v_cmpx_gt_u32_e32 8, v9
; %bb.455:                              ;   in Loop: Header=BB195_298 Depth=1
	v_ffbh_u32_e32 v7, v5
	v_min_u32_e32 v7, 32, v7
	v_subrev_nc_u32_e32 v9, 28, v7
	v_sub_nc_u32_e32 v7, 29, v7
	v_lshlrev_b64 v[21:22], v9, v[5:6]
	v_and_b32_e32 v5, 7, v21
; %bb.456:                              ;   in Loop: Header=BB195_298 Depth=1
	s_or_b32 exec_lo, exec_lo, s22
	v_lshlrev_b32_sdwa v9, v42, v67 dst_sel:DWORD dst_unused:UNUSED_PAD src0_sel:DWORD src1_sel:WORD_1
	v_lshlrev_b32_e32 v5, 20, v5
	v_lshl_add_u32 v7, v7, 23, 0x3c000000
	v_and_b32_e32 v9, 0x80000000, v9
	v_or3_b32 v5, v5, v9, v7
	v_mov_b32_e32 v22, v6
	v_mov_b32_e32 v21, v5
.LBB195_457:                            ;   in Loop: Header=BB195_298 Depth=1
	s_or_b32 exec_lo, exec_lo, s21
.LBB195_458:                            ;   in Loop: Header=BB195_298 Depth=1
	s_or_b32 exec_lo, exec_lo, s18
.LBB195_459:                            ;   in Loop: Header=BB195_298 Depth=1
	s_or_b32 exec_lo, exec_lo, s17
	s_mov_b32 s17, exec_lo
	v_cmpx_lt_u32_e32 0xffffff, v67
	s_cbranch_execz .LBB195_467
; %bb.460:                              ;   in Loop: Header=BB195_298 Depth=1
	v_mov_b32_e32 v7, v6
	v_mov_b32_e32 v24, v8
	v_cmp_ne_u32_sdwa s0, v67, v34 src0_sel:BYTE_3 src1_sel:DWORD
	v_mov_b32_e32 v23, v7
	s_and_saveexec_b32 s18, s0
	s_cbranch_execz .LBB195_466
; %bb.461:                              ;   in Loop: Header=BB195_298 Depth=1
	v_mov_b32_e32 v9, v6
	v_mov_b32_e32 v24, v10
	v_bfe_u32 v68, v67, 24, 7
	s_mov_b32 s21, exec_lo
	v_mov_b32_e32 v23, v9
	v_cmpx_ne_u32_e32 0x7f, v68
	s_cbranch_execz .LBB195_465
; %bb.462:                              ;   in Loop: Header=BB195_298 Depth=1
	v_and_b32_sdwa v5, v67, v41 dst_sel:DWORD dst_unused:UNUSED_PAD src0_sel:BYTE_3 src1_sel:DWORD
	v_lshrrev_b32_e32 v7, 3, v68
	s_mov_b32 s22, exec_lo
	v_cmpx_gt_u32_e32 8, v68
; %bb.463:                              ;   in Loop: Header=BB195_298 Depth=1
	v_ffbh_u32_e32 v7, v5
	v_min_u32_e32 v7, 32, v7
	v_subrev_nc_u32_e32 v9, 28, v7
	v_sub_nc_u32_e32 v7, 29, v7
	v_lshlrev_b64 v[23:24], v9, v[5:6]
	v_and_b32_e32 v5, 7, v23
; %bb.464:                              ;   in Loop: Header=BB195_298 Depth=1
	s_or_b32 exec_lo, exec_lo, s22
	v_lshlrev_b32_sdwa v9, v42, v67 dst_sel:DWORD dst_unused:UNUSED_PAD src0_sel:DWORD src1_sel:BYTE_3
	v_lshlrev_b32_e32 v5, 20, v5
	v_lshl_add_u32 v7, v7, 23, 0x3c000000
	v_mov_b32_e32 v23, v6
	v_and_b32_e32 v9, 0x80000000, v9
	v_or3_b32 v24, v5, v9, v7
.LBB195_465:                            ;   in Loop: Header=BB195_298 Depth=1
	s_or_b32 exec_lo, exec_lo, s21
.LBB195_466:                            ;   in Loop: Header=BB195_298 Depth=1
	s_or_b32 exec_lo, exec_lo, s18
.LBB195_467:                            ;   in Loop: Header=BB195_298 Depth=1
	s_or_b32 exec_lo, exec_lo, s17
	v_or_b32_e32 v5, v20, v18
	v_or_b32_e32 v7, v19, v17
	;; [unrolled: 1-line block ×4, first 2 shown]
	v_mul_f32_e32 v69, s13, v5
	v_mul_f32_e32 v70, s12, v7
	;; [unrolled: 1-line block ×4, first 2 shown]
	s_and_saveexec_b32 s17, vcc_lo
	s_cbranch_execz .LBB195_469
; %bb.468:                              ;   in Loop: Header=BB195_298 Depth=1
	v_cmp_gt_i32_e64 s0, s31, v51
	v_cndmask_b32_e64 v70, 0, v70, s0
	v_cmp_gt_i32_e64 s0, s31, v54
	v_cndmask_b32_e64 v69, 0, v69, s0
	v_cmp_gt_i32_e64 s0, s31, v53
	v_cndmask_b32_e64 v68, 0, v68, s0
	v_cmp_gt_i32_e64 s0, s31, v52
	v_cndmask_b32_e64 v67, 0, v67, s0
.LBB195_469:                            ;   in Loop: Header=BB195_298 Depth=1
	s_or_b32 exec_lo, exec_lo, s17
	global_load_dword v71, v[15:16], off offset:640
	v_mov_b32_e32 v19, 0
	v_mov_b32_e32 v17, 0
	;; [unrolled: 1-line block ×4, first 2 shown]
	s_waitcnt vmcnt(0)
	v_cmp_ne_u16_sdwa s0, v71, v6 src0_sel:BYTE_0 src1_sel:DWORD
	s_and_saveexec_b32 s17, s0
	s_cbranch_execz .LBB195_477
; %bb.470:                              ;   in Loop: Header=BB195_298 Depth=1
	v_bfrev_b32_e32 v17, 1
	v_mov_b32_e32 v18, 0
	v_cmp_ne_u16_sdwa s0, v71, v34 src0_sel:BYTE_0 src1_sel:DWORD
	s_and_saveexec_b32 s18, s0
	s_cbranch_execz .LBB195_476
; %bb.471:                              ;   in Loop: Header=BB195_298 Depth=1
	v_mov_b32_e32 v17, 0x7f800001
	v_and_b32_e32 v9, 0x7f, v71
	v_mov_b32_e32 v18, 0
	s_mov_b32 s21, exec_lo
	v_cmpx_ne_u32_e32 0x7f, v9
	s_cbranch_execz .LBB195_475
; %bb.472:                              ;   in Loop: Header=BB195_298 Depth=1
	v_and_b32_e32 v5, 7, v71
	v_lshrrev_b32_e32 v7, 3, v9
	s_mov_b32 s22, exec_lo
	v_cmpx_gt_u32_e32 8, v9
; %bb.473:                              ;   in Loop: Header=BB195_298 Depth=1
	v_ffbh_u32_e32 v7, v5
	v_min_u32_e32 v7, 32, v7
	v_subrev_nc_u32_e32 v9, 28, v7
	v_sub_nc_u32_e32 v7, 29, v7
	v_lshlrev_b64 v[17:18], v9, v[5:6]
	v_and_b32_e32 v5, 7, v17
; %bb.474:                              ;   in Loop: Header=BB195_298 Depth=1
	s_or_b32 exec_lo, exec_lo, s22
	v_lshlrev_b32_e32 v9, 24, v71
	v_lshlrev_b32_e32 v5, 20, v5
	v_lshl_add_u32 v7, v7, 23, 0x3c000000
	v_and_b32_e32 v9, 0x80000000, v9
	v_or3_b32 v5, v5, v9, v7
	v_mov_b32_e32 v18, v6
	v_mov_b32_e32 v17, v5
.LBB195_475:                            ;   in Loop: Header=BB195_298 Depth=1
	s_or_b32 exec_lo, exec_lo, s21
.LBB195_476:                            ;   in Loop: Header=BB195_298 Depth=1
	s_or_b32 exec_lo, exec_lo, s18
.LBB195_477:                            ;   in Loop: Header=BB195_298 Depth=1
	s_or_b32 exec_lo, exec_lo, s17
	v_cmp_ne_u16_sdwa s0, v71, v6 src0_sel:BYTE_1 src1_sel:DWORD
	s_and_saveexec_b32 s17, s0
	s_cbranch_execz .LBB195_485
; %bb.478:                              ;   in Loop: Header=BB195_298 Depth=1
	v_mov_b32_e32 v7, v6
	v_mov_b32_e32 v20, v8
	v_cmp_ne_u16_sdwa s0, v71, v34 src0_sel:BYTE_1 src1_sel:DWORD
	v_mov_b32_e32 v19, v7
	s_and_saveexec_b32 s18, s0
	s_cbranch_execz .LBB195_484
; %bb.479:                              ;   in Loop: Header=BB195_298 Depth=1
	v_and_b32_sdwa v5, v39, v71 dst_sel:DWORD dst_unused:UNUSED_PAD src0_sel:DWORD src1_sel:BYTE_1
	v_mov_b32_e32 v9, v6
	v_mov_b32_e32 v20, v10
	s_mov_b32 s21, exec_lo
	v_and_b32_e32 v21, 0x7f, v5
	v_mov_b32_e32 v19, v9
	v_cmpx_ne_u32_e32 0x7f, v21
	s_cbranch_execz .LBB195_483
; %bb.480:                              ;   in Loop: Header=BB195_298 Depth=1
	v_and_b32_e32 v5, 7, v5
	v_lshrrev_b32_e32 v7, 3, v21
	s_mov_b32 s22, exec_lo
	v_cmpx_gt_u32_e32 8, v21
; %bb.481:                              ;   in Loop: Header=BB195_298 Depth=1
	v_ffbh_u32_e32 v7, v5
	v_min_u32_e32 v7, 32, v7
	v_subrev_nc_u32_e32 v9, 28, v7
	v_sub_nc_u32_e32 v7, 29, v7
	v_lshlrev_b64 v[19:20], v9, v[5:6]
	v_and_b32_e32 v5, 7, v19
; %bb.482:                              ;   in Loop: Header=BB195_298 Depth=1
	s_or_b32 exec_lo, exec_lo, s22
	v_lshlrev_b32_e32 v9, 16, v71
	v_lshlrev_b32_e32 v5, 20, v5
	v_lshl_add_u32 v7, v7, 23, 0x3c000000
	v_mov_b32_e32 v19, v6
	v_and_b32_e32 v9, 0x80000000, v9
	v_or3_b32 v20, v5, v9, v7
.LBB195_483:                            ;   in Loop: Header=BB195_298 Depth=1
	s_or_b32 exec_lo, exec_lo, s21
.LBB195_484:                            ;   in Loop: Header=BB195_298 Depth=1
	s_or_b32 exec_lo, exec_lo, s18
.LBB195_485:                            ;   in Loop: Header=BB195_298 Depth=1
	s_or_b32 exec_lo, exec_lo, s17
	v_mov_b32_e32 v23, 0
	v_mov_b32_e32 v21, 0
	v_and_b32_sdwa v5, v71, v40 dst_sel:DWORD dst_unused:UNUSED_PAD src0_sel:WORD_1 src1_sel:DWORD
	v_mov_b32_e32 v24, 0
	v_mov_b32_e32 v22, 0
	s_mov_b32 s17, exec_lo
	v_cmpx_ne_u16_e32 0, v5
	s_cbranch_execz .LBB195_493
; %bb.486:                              ;   in Loop: Header=BB195_298 Depth=1
	v_bfrev_b32_e32 v21, 1
	v_mov_b32_e32 v22, 0
	s_mov_b32 s18, exec_lo
	v_cmpx_ne_u16_e32 0x80, v5
	s_cbranch_execz .LBB195_492
; %bb.487:                              ;   in Loop: Header=BB195_298 Depth=1
	v_mov_b32_e32 v21, 0x7f800001
	v_bfe_u32 v9, v71, 16, 7
	v_mov_b32_e32 v22, 0
	s_mov_b32 s21, exec_lo
	v_cmpx_ne_u32_e32 0x7f, v9
	s_cbranch_execz .LBB195_491
; %bb.488:                              ;   in Loop: Header=BB195_298 Depth=1
	v_and_b32_sdwa v5, v71, v41 dst_sel:DWORD dst_unused:UNUSED_PAD src0_sel:WORD_1 src1_sel:DWORD
	v_lshrrev_b32_e32 v7, 3, v9
	s_mov_b32 s22, exec_lo
	v_cmpx_gt_u32_e32 8, v9
; %bb.489:                              ;   in Loop: Header=BB195_298 Depth=1
	v_ffbh_u32_e32 v7, v5
	v_min_u32_e32 v7, 32, v7
	v_subrev_nc_u32_e32 v9, 28, v7
	v_sub_nc_u32_e32 v7, 29, v7
	v_lshlrev_b64 v[21:22], v9, v[5:6]
	v_and_b32_e32 v5, 7, v21
; %bb.490:                              ;   in Loop: Header=BB195_298 Depth=1
	s_or_b32 exec_lo, exec_lo, s22
	v_lshlrev_b32_sdwa v9, v42, v71 dst_sel:DWORD dst_unused:UNUSED_PAD src0_sel:DWORD src1_sel:WORD_1
	v_lshlrev_b32_e32 v5, 20, v5
	v_lshl_add_u32 v7, v7, 23, 0x3c000000
	v_and_b32_e32 v9, 0x80000000, v9
	v_or3_b32 v5, v5, v9, v7
	v_mov_b32_e32 v22, v6
	v_mov_b32_e32 v21, v5
.LBB195_491:                            ;   in Loop: Header=BB195_298 Depth=1
	s_or_b32 exec_lo, exec_lo, s21
.LBB195_492:                            ;   in Loop: Header=BB195_298 Depth=1
	s_or_b32 exec_lo, exec_lo, s18
.LBB195_493:                            ;   in Loop: Header=BB195_298 Depth=1
	s_or_b32 exec_lo, exec_lo, s17
	s_mov_b32 s17, exec_lo
	v_cmpx_lt_u32_e32 0xffffff, v71
	s_cbranch_execz .LBB195_501
; %bb.494:                              ;   in Loop: Header=BB195_298 Depth=1
	v_mov_b32_e32 v7, v6
	v_mov_b32_e32 v24, v8
	v_cmp_ne_u32_sdwa s0, v71, v34 src0_sel:BYTE_3 src1_sel:DWORD
	v_mov_b32_e32 v23, v7
	s_and_saveexec_b32 s18, s0
	s_cbranch_execz .LBB195_500
; %bb.495:                              ;   in Loop: Header=BB195_298 Depth=1
	v_mov_b32_e32 v9, v6
	v_mov_b32_e32 v24, v10
	v_bfe_u32 v72, v71, 24, 7
	s_mov_b32 s21, exec_lo
	v_mov_b32_e32 v23, v9
	v_cmpx_ne_u32_e32 0x7f, v72
	s_cbranch_execz .LBB195_499
; %bb.496:                              ;   in Loop: Header=BB195_298 Depth=1
	v_and_b32_sdwa v5, v71, v41 dst_sel:DWORD dst_unused:UNUSED_PAD src0_sel:BYTE_3 src1_sel:DWORD
	v_lshrrev_b32_e32 v7, 3, v72
	s_mov_b32 s22, exec_lo
	v_cmpx_gt_u32_e32 8, v72
; %bb.497:                              ;   in Loop: Header=BB195_298 Depth=1
	v_ffbh_u32_e32 v7, v5
	v_min_u32_e32 v7, 32, v7
	v_subrev_nc_u32_e32 v9, 28, v7
	v_sub_nc_u32_e32 v7, 29, v7
	v_lshlrev_b64 v[23:24], v9, v[5:6]
	v_and_b32_e32 v5, 7, v23
; %bb.498:                              ;   in Loop: Header=BB195_298 Depth=1
	s_or_b32 exec_lo, exec_lo, s22
	v_lshlrev_b32_sdwa v9, v42, v71 dst_sel:DWORD dst_unused:UNUSED_PAD src0_sel:DWORD src1_sel:BYTE_3
	v_lshlrev_b32_e32 v5, 20, v5
	v_lshl_add_u32 v7, v7, 23, 0x3c000000
	v_mov_b32_e32 v23, v6
	v_and_b32_e32 v9, 0x80000000, v9
	v_or3_b32 v24, v5, v9, v7
.LBB195_499:                            ;   in Loop: Header=BB195_298 Depth=1
	s_or_b32 exec_lo, exec_lo, s21
.LBB195_500:                            ;   in Loop: Header=BB195_298 Depth=1
	s_or_b32 exec_lo, exec_lo, s18
.LBB195_501:                            ;   in Loop: Header=BB195_298 Depth=1
	s_or_b32 exec_lo, exec_lo, s17
	v_or_b32_e32 v5, v20, v18
	v_or_b32_e32 v7, v19, v17
	;; [unrolled: 1-line block ×4, first 2 shown]
	v_mul_f32_e32 v73, s13, v5
	v_mul_f32_e32 v74, s12, v7
	;; [unrolled: 1-line block ×4, first 2 shown]
	s_and_saveexec_b32 s17, vcc_lo
	s_cbranch_execz .LBB195_503
; %bb.502:                              ;   in Loop: Header=BB195_298 Depth=1
	v_cmp_gt_i32_e64 s0, s31, v51
	v_cndmask_b32_e64 v74, 0, v74, s0
	v_cmp_gt_i32_e64 s0, s31, v54
	v_cndmask_b32_e64 v73, 0, v73, s0
	;; [unrolled: 2-line block ×4, first 2 shown]
.LBB195_503:                            ;   in Loop: Header=BB195_298 Depth=1
	s_or_b32 exec_lo, exec_lo, s17
	global_load_dword v75, v[15:16], off offset:768
	v_mov_b32_e32 v19, 0
	v_mov_b32_e32 v17, 0
	;; [unrolled: 1-line block ×4, first 2 shown]
	s_waitcnt vmcnt(0)
	v_cmp_ne_u16_sdwa s0, v75, v6 src0_sel:BYTE_0 src1_sel:DWORD
	s_and_saveexec_b32 s17, s0
	s_cbranch_execz .LBB195_511
; %bb.504:                              ;   in Loop: Header=BB195_298 Depth=1
	v_bfrev_b32_e32 v17, 1
	v_mov_b32_e32 v18, 0
	v_cmp_ne_u16_sdwa s0, v75, v34 src0_sel:BYTE_0 src1_sel:DWORD
	s_and_saveexec_b32 s18, s0
	s_cbranch_execz .LBB195_510
; %bb.505:                              ;   in Loop: Header=BB195_298 Depth=1
	v_mov_b32_e32 v17, 0x7f800001
	v_and_b32_e32 v9, 0x7f, v75
	v_mov_b32_e32 v18, 0
	s_mov_b32 s21, exec_lo
	v_cmpx_ne_u32_e32 0x7f, v9
	s_cbranch_execz .LBB195_509
; %bb.506:                              ;   in Loop: Header=BB195_298 Depth=1
	v_and_b32_e32 v5, 7, v75
	v_lshrrev_b32_e32 v7, 3, v9
	s_mov_b32 s22, exec_lo
	v_cmpx_gt_u32_e32 8, v9
; %bb.507:                              ;   in Loop: Header=BB195_298 Depth=1
	v_ffbh_u32_e32 v7, v5
	v_min_u32_e32 v7, 32, v7
	v_subrev_nc_u32_e32 v9, 28, v7
	v_sub_nc_u32_e32 v7, 29, v7
	v_lshlrev_b64 v[17:18], v9, v[5:6]
	v_and_b32_e32 v5, 7, v17
; %bb.508:                              ;   in Loop: Header=BB195_298 Depth=1
	s_or_b32 exec_lo, exec_lo, s22
	v_lshlrev_b32_e32 v9, 24, v75
	v_lshlrev_b32_e32 v5, 20, v5
	v_lshl_add_u32 v7, v7, 23, 0x3c000000
	v_and_b32_e32 v9, 0x80000000, v9
	v_or3_b32 v5, v5, v9, v7
	v_mov_b32_e32 v18, v6
	v_mov_b32_e32 v17, v5
.LBB195_509:                            ;   in Loop: Header=BB195_298 Depth=1
	s_or_b32 exec_lo, exec_lo, s21
.LBB195_510:                            ;   in Loop: Header=BB195_298 Depth=1
	s_or_b32 exec_lo, exec_lo, s18
.LBB195_511:                            ;   in Loop: Header=BB195_298 Depth=1
	s_or_b32 exec_lo, exec_lo, s17
	v_cmp_ne_u16_sdwa s0, v75, v6 src0_sel:BYTE_1 src1_sel:DWORD
	s_and_saveexec_b32 s17, s0
	s_cbranch_execz .LBB195_519
; %bb.512:                              ;   in Loop: Header=BB195_298 Depth=1
	v_mov_b32_e32 v7, v6
	v_mov_b32_e32 v20, v8
	v_cmp_ne_u16_sdwa s0, v75, v34 src0_sel:BYTE_1 src1_sel:DWORD
	v_mov_b32_e32 v19, v7
	s_and_saveexec_b32 s18, s0
	s_cbranch_execz .LBB195_518
; %bb.513:                              ;   in Loop: Header=BB195_298 Depth=1
	v_and_b32_sdwa v5, v39, v75 dst_sel:DWORD dst_unused:UNUSED_PAD src0_sel:DWORD src1_sel:BYTE_1
	v_mov_b32_e32 v9, v6
	v_mov_b32_e32 v20, v10
	s_mov_b32 s21, exec_lo
	v_and_b32_e32 v21, 0x7f, v5
	v_mov_b32_e32 v19, v9
	v_cmpx_ne_u32_e32 0x7f, v21
	s_cbranch_execz .LBB195_517
; %bb.514:                              ;   in Loop: Header=BB195_298 Depth=1
	v_and_b32_e32 v5, 7, v5
	v_lshrrev_b32_e32 v7, 3, v21
	s_mov_b32 s22, exec_lo
	v_cmpx_gt_u32_e32 8, v21
; %bb.515:                              ;   in Loop: Header=BB195_298 Depth=1
	v_ffbh_u32_e32 v7, v5
	v_min_u32_e32 v7, 32, v7
	v_subrev_nc_u32_e32 v9, 28, v7
	v_sub_nc_u32_e32 v7, 29, v7
	v_lshlrev_b64 v[19:20], v9, v[5:6]
	v_and_b32_e32 v5, 7, v19
; %bb.516:                              ;   in Loop: Header=BB195_298 Depth=1
	s_or_b32 exec_lo, exec_lo, s22
	v_lshlrev_b32_e32 v9, 16, v75
	v_lshlrev_b32_e32 v5, 20, v5
	v_lshl_add_u32 v7, v7, 23, 0x3c000000
	v_mov_b32_e32 v19, v6
	v_and_b32_e32 v9, 0x80000000, v9
	v_or3_b32 v20, v5, v9, v7
.LBB195_517:                            ;   in Loop: Header=BB195_298 Depth=1
	s_or_b32 exec_lo, exec_lo, s21
.LBB195_518:                            ;   in Loop: Header=BB195_298 Depth=1
	s_or_b32 exec_lo, exec_lo, s18
.LBB195_519:                            ;   in Loop: Header=BB195_298 Depth=1
	s_or_b32 exec_lo, exec_lo, s17
	v_mov_b32_e32 v23, 0
	v_mov_b32_e32 v21, 0
	v_and_b32_sdwa v5, v75, v40 dst_sel:DWORD dst_unused:UNUSED_PAD src0_sel:WORD_1 src1_sel:DWORD
	v_mov_b32_e32 v24, 0
	v_mov_b32_e32 v22, 0
	s_mov_b32 s17, exec_lo
	v_cmpx_ne_u16_e32 0, v5
	s_cbranch_execz .LBB195_527
; %bb.520:                              ;   in Loop: Header=BB195_298 Depth=1
	v_bfrev_b32_e32 v21, 1
	v_mov_b32_e32 v22, 0
	s_mov_b32 s18, exec_lo
	v_cmpx_ne_u16_e32 0x80, v5
	s_cbranch_execz .LBB195_526
; %bb.521:                              ;   in Loop: Header=BB195_298 Depth=1
	v_mov_b32_e32 v21, 0x7f800001
	v_bfe_u32 v9, v75, 16, 7
	v_mov_b32_e32 v22, 0
	s_mov_b32 s21, exec_lo
	v_cmpx_ne_u32_e32 0x7f, v9
	s_cbranch_execz .LBB195_525
; %bb.522:                              ;   in Loop: Header=BB195_298 Depth=1
	v_and_b32_sdwa v5, v75, v41 dst_sel:DWORD dst_unused:UNUSED_PAD src0_sel:WORD_1 src1_sel:DWORD
	v_lshrrev_b32_e32 v7, 3, v9
	s_mov_b32 s22, exec_lo
	v_cmpx_gt_u32_e32 8, v9
; %bb.523:                              ;   in Loop: Header=BB195_298 Depth=1
	v_ffbh_u32_e32 v7, v5
	v_min_u32_e32 v7, 32, v7
	v_subrev_nc_u32_e32 v9, 28, v7
	v_sub_nc_u32_e32 v7, 29, v7
	v_lshlrev_b64 v[21:22], v9, v[5:6]
	v_and_b32_e32 v5, 7, v21
; %bb.524:                              ;   in Loop: Header=BB195_298 Depth=1
	s_or_b32 exec_lo, exec_lo, s22
	v_lshlrev_b32_sdwa v9, v42, v75 dst_sel:DWORD dst_unused:UNUSED_PAD src0_sel:DWORD src1_sel:WORD_1
	v_lshlrev_b32_e32 v5, 20, v5
	v_lshl_add_u32 v7, v7, 23, 0x3c000000
	v_and_b32_e32 v9, 0x80000000, v9
	v_or3_b32 v5, v5, v9, v7
	v_mov_b32_e32 v22, v6
	v_mov_b32_e32 v21, v5
.LBB195_525:                            ;   in Loop: Header=BB195_298 Depth=1
	s_or_b32 exec_lo, exec_lo, s21
.LBB195_526:                            ;   in Loop: Header=BB195_298 Depth=1
	s_or_b32 exec_lo, exec_lo, s18
.LBB195_527:                            ;   in Loop: Header=BB195_298 Depth=1
	s_or_b32 exec_lo, exec_lo, s17
	s_mov_b32 s17, exec_lo
	v_cmpx_lt_u32_e32 0xffffff, v75
	s_cbranch_execz .LBB195_535
; %bb.528:                              ;   in Loop: Header=BB195_298 Depth=1
	v_mov_b32_e32 v7, v6
	v_mov_b32_e32 v24, v8
	v_cmp_ne_u32_sdwa s0, v75, v34 src0_sel:BYTE_3 src1_sel:DWORD
	v_mov_b32_e32 v23, v7
	s_and_saveexec_b32 s18, s0
	s_cbranch_execz .LBB195_534
; %bb.529:                              ;   in Loop: Header=BB195_298 Depth=1
	v_mov_b32_e32 v9, v6
	v_mov_b32_e32 v24, v10
	v_bfe_u32 v76, v75, 24, 7
	s_mov_b32 s21, exec_lo
	v_mov_b32_e32 v23, v9
	v_cmpx_ne_u32_e32 0x7f, v76
	s_cbranch_execz .LBB195_533
; %bb.530:                              ;   in Loop: Header=BB195_298 Depth=1
	v_and_b32_sdwa v5, v75, v41 dst_sel:DWORD dst_unused:UNUSED_PAD src0_sel:BYTE_3 src1_sel:DWORD
	v_lshrrev_b32_e32 v7, 3, v76
	s_mov_b32 s22, exec_lo
	v_cmpx_gt_u32_e32 8, v76
; %bb.531:                              ;   in Loop: Header=BB195_298 Depth=1
	v_ffbh_u32_e32 v7, v5
	v_min_u32_e32 v7, 32, v7
	v_subrev_nc_u32_e32 v9, 28, v7
	v_sub_nc_u32_e32 v7, 29, v7
	v_lshlrev_b64 v[23:24], v9, v[5:6]
	v_and_b32_e32 v5, 7, v23
; %bb.532:                              ;   in Loop: Header=BB195_298 Depth=1
	s_or_b32 exec_lo, exec_lo, s22
	v_lshlrev_b32_sdwa v9, v42, v75 dst_sel:DWORD dst_unused:UNUSED_PAD src0_sel:DWORD src1_sel:BYTE_3
	v_lshlrev_b32_e32 v5, 20, v5
	v_lshl_add_u32 v7, v7, 23, 0x3c000000
	v_mov_b32_e32 v23, v6
	v_and_b32_e32 v9, 0x80000000, v9
	v_or3_b32 v24, v5, v9, v7
.LBB195_533:                            ;   in Loop: Header=BB195_298 Depth=1
	s_or_b32 exec_lo, exec_lo, s21
.LBB195_534:                            ;   in Loop: Header=BB195_298 Depth=1
	s_or_b32 exec_lo, exec_lo, s18
.LBB195_535:                            ;   in Loop: Header=BB195_298 Depth=1
	s_or_b32 exec_lo, exec_lo, s17
	v_or_b32_e32 v5, v20, v18
	v_or_b32_e32 v7, v19, v17
	;; [unrolled: 1-line block ×4, first 2 shown]
	v_mul_f32_e32 v75, s13, v5
	v_mul_f32_e32 v76, s12, v7
	;; [unrolled: 1-line block ×4, first 2 shown]
	s_and_saveexec_b32 s17, vcc_lo
	s_cbranch_execz .LBB195_537
; %bb.536:                              ;   in Loop: Header=BB195_298 Depth=1
	v_cmp_gt_i32_e64 s0, s31, v51
	v_cndmask_b32_e64 v76, 0, v76, s0
	v_cmp_gt_i32_e64 s0, s31, v54
	v_cndmask_b32_e64 v75, 0, v75, s0
	;; [unrolled: 2-line block ×4, first 2 shown]
.LBB195_537:                            ;   in Loop: Header=BB195_298 Depth=1
	s_or_b32 exec_lo, exec_lo, s17
	global_load_dword v77, v[15:16], off offset:896
	v_mov_b32_e32 v17, 0
	v_mov_b32_e32 v15, 0
	v_mov_b32_e32 v18, 0
	v_mov_b32_e32 v16, 0
	s_waitcnt vmcnt(0)
	v_cmp_ne_u16_sdwa s0, v77, v6 src0_sel:BYTE_0 src1_sel:DWORD
	s_and_saveexec_b32 s17, s0
	s_cbranch_execz .LBB195_545
; %bb.538:                              ;   in Loop: Header=BB195_298 Depth=1
	v_bfrev_b32_e32 v15, 1
	v_mov_b32_e32 v16, 0
	v_cmp_ne_u16_sdwa s0, v77, v34 src0_sel:BYTE_0 src1_sel:DWORD
	s_and_saveexec_b32 s18, s0
	s_cbranch_execz .LBB195_544
; %bb.539:                              ;   in Loop: Header=BB195_298 Depth=1
	v_mov_b32_e32 v15, 0x7f800001
	v_and_b32_e32 v9, 0x7f, v77
	v_mov_b32_e32 v16, 0
	s_mov_b32 s21, exec_lo
	v_cmpx_ne_u32_e32 0x7f, v9
	s_cbranch_execz .LBB195_543
; %bb.540:                              ;   in Loop: Header=BB195_298 Depth=1
	v_and_b32_e32 v5, 7, v77
	v_lshrrev_b32_e32 v7, 3, v9
	s_mov_b32 s22, exec_lo
	v_cmpx_gt_u32_e32 8, v9
; %bb.541:                              ;   in Loop: Header=BB195_298 Depth=1
	v_ffbh_u32_e32 v7, v5
	v_min_u32_e32 v7, 32, v7
	v_subrev_nc_u32_e32 v9, 28, v7
	v_sub_nc_u32_e32 v7, 29, v7
	v_lshlrev_b64 v[15:16], v9, v[5:6]
	v_and_b32_e32 v5, 7, v15
; %bb.542:                              ;   in Loop: Header=BB195_298 Depth=1
	s_or_b32 exec_lo, exec_lo, s22
	v_lshlrev_b32_e32 v9, 24, v77
	v_lshlrev_b32_e32 v5, 20, v5
	v_lshl_add_u32 v7, v7, 23, 0x3c000000
	v_and_b32_e32 v9, 0x80000000, v9
	v_or3_b32 v5, v5, v9, v7
	v_mov_b32_e32 v16, v6
	v_mov_b32_e32 v15, v5
.LBB195_543:                            ;   in Loop: Header=BB195_298 Depth=1
	s_or_b32 exec_lo, exec_lo, s21
.LBB195_544:                            ;   in Loop: Header=BB195_298 Depth=1
	s_or_b32 exec_lo, exec_lo, s18
.LBB195_545:                            ;   in Loop: Header=BB195_298 Depth=1
	s_or_b32 exec_lo, exec_lo, s17
	v_cmp_ne_u16_sdwa s0, v77, v6 src0_sel:BYTE_1 src1_sel:DWORD
	s_and_saveexec_b32 s17, s0
	s_cbranch_execz .LBB195_553
; %bb.546:                              ;   in Loop: Header=BB195_298 Depth=1
	v_mov_b32_e32 v7, v6
	v_mov_b32_e32 v18, v8
	v_cmp_ne_u16_sdwa s0, v77, v34 src0_sel:BYTE_1 src1_sel:DWORD
	v_mov_b32_e32 v17, v7
	s_and_saveexec_b32 s18, s0
	s_cbranch_execz .LBB195_552
; %bb.547:                              ;   in Loop: Header=BB195_298 Depth=1
	v_and_b32_sdwa v5, v39, v77 dst_sel:DWORD dst_unused:UNUSED_PAD src0_sel:DWORD src1_sel:BYTE_1
	v_mov_b32_e32 v9, v6
	v_mov_b32_e32 v18, v10
	s_mov_b32 s21, exec_lo
	v_and_b32_e32 v19, 0x7f, v5
	v_mov_b32_e32 v17, v9
	v_cmpx_ne_u32_e32 0x7f, v19
	s_cbranch_execz .LBB195_551
; %bb.548:                              ;   in Loop: Header=BB195_298 Depth=1
	v_and_b32_e32 v5, 7, v5
	v_lshrrev_b32_e32 v7, 3, v19
	s_mov_b32 s22, exec_lo
	v_cmpx_gt_u32_e32 8, v19
; %bb.549:                              ;   in Loop: Header=BB195_298 Depth=1
	v_ffbh_u32_e32 v7, v5
	v_min_u32_e32 v7, 32, v7
	v_subrev_nc_u32_e32 v9, 28, v7
	v_sub_nc_u32_e32 v7, 29, v7
	v_lshlrev_b64 v[17:18], v9, v[5:6]
	v_and_b32_e32 v5, 7, v17
; %bb.550:                              ;   in Loop: Header=BB195_298 Depth=1
	s_or_b32 exec_lo, exec_lo, s22
	v_lshlrev_b32_e32 v9, 16, v77
	v_lshlrev_b32_e32 v5, 20, v5
	v_lshl_add_u32 v7, v7, 23, 0x3c000000
	v_mov_b32_e32 v17, v6
	v_and_b32_e32 v9, 0x80000000, v9
	v_or3_b32 v18, v5, v9, v7
.LBB195_551:                            ;   in Loop: Header=BB195_298 Depth=1
	s_or_b32 exec_lo, exec_lo, s21
.LBB195_552:                            ;   in Loop: Header=BB195_298 Depth=1
	s_or_b32 exec_lo, exec_lo, s18
.LBB195_553:                            ;   in Loop: Header=BB195_298 Depth=1
	s_or_b32 exec_lo, exec_lo, s17
	v_mov_b32_e32 v21, 0
	v_mov_b32_e32 v19, 0
	v_and_b32_sdwa v5, v77, v40 dst_sel:DWORD dst_unused:UNUSED_PAD src0_sel:WORD_1 src1_sel:DWORD
	v_mov_b32_e32 v22, 0
	v_mov_b32_e32 v20, 0
	s_mov_b32 s17, exec_lo
	v_cmpx_ne_u16_e32 0, v5
	s_cbranch_execz .LBB195_561
; %bb.554:                              ;   in Loop: Header=BB195_298 Depth=1
	v_bfrev_b32_e32 v19, 1
	v_mov_b32_e32 v20, 0
	s_mov_b32 s18, exec_lo
	v_cmpx_ne_u16_e32 0x80, v5
	s_cbranch_execz .LBB195_560
; %bb.555:                              ;   in Loop: Header=BB195_298 Depth=1
	v_mov_b32_e32 v19, 0x7f800001
	v_bfe_u32 v9, v77, 16, 7
	v_mov_b32_e32 v20, 0
	s_mov_b32 s21, exec_lo
	v_cmpx_ne_u32_e32 0x7f, v9
	s_cbranch_execz .LBB195_559
; %bb.556:                              ;   in Loop: Header=BB195_298 Depth=1
	v_and_b32_sdwa v5, v77, v41 dst_sel:DWORD dst_unused:UNUSED_PAD src0_sel:WORD_1 src1_sel:DWORD
	v_lshrrev_b32_e32 v7, 3, v9
	s_mov_b32 s22, exec_lo
	v_cmpx_gt_u32_e32 8, v9
; %bb.557:                              ;   in Loop: Header=BB195_298 Depth=1
	v_ffbh_u32_e32 v7, v5
	v_min_u32_e32 v7, 32, v7
	v_subrev_nc_u32_e32 v9, 28, v7
	v_sub_nc_u32_e32 v7, 29, v7
	v_lshlrev_b64 v[19:20], v9, v[5:6]
	v_and_b32_e32 v5, 7, v19
; %bb.558:                              ;   in Loop: Header=BB195_298 Depth=1
	s_or_b32 exec_lo, exec_lo, s22
	v_lshlrev_b32_sdwa v9, v42, v77 dst_sel:DWORD dst_unused:UNUSED_PAD src0_sel:DWORD src1_sel:WORD_1
	v_lshlrev_b32_e32 v5, 20, v5
	v_lshl_add_u32 v7, v7, 23, 0x3c000000
	v_and_b32_e32 v9, 0x80000000, v9
	v_or3_b32 v5, v5, v9, v7
	v_mov_b32_e32 v20, v6
	v_mov_b32_e32 v19, v5
.LBB195_559:                            ;   in Loop: Header=BB195_298 Depth=1
	s_or_b32 exec_lo, exec_lo, s21
.LBB195_560:                            ;   in Loop: Header=BB195_298 Depth=1
	s_or_b32 exec_lo, exec_lo, s18
.LBB195_561:                            ;   in Loop: Header=BB195_298 Depth=1
	s_or_b32 exec_lo, exec_lo, s17
	s_mov_b32 s17, exec_lo
	v_cmpx_lt_u32_e32 0xffffff, v77
	s_cbranch_execz .LBB195_569
; %bb.562:                              ;   in Loop: Header=BB195_298 Depth=1
	v_mov_b32_e32 v7, v6
	v_mov_b32_e32 v22, v8
	v_cmp_ne_u32_sdwa s0, v77, v34 src0_sel:BYTE_3 src1_sel:DWORD
	v_mov_b32_e32 v21, v7
	s_and_saveexec_b32 s18, s0
	s_cbranch_execz .LBB195_568
; %bb.563:                              ;   in Loop: Header=BB195_298 Depth=1
	v_mov_b32_e32 v9, v6
	v_mov_b32_e32 v22, v10
	v_bfe_u32 v78, v77, 24, 7
	s_mov_b32 s21, exec_lo
	v_mov_b32_e32 v21, v9
	v_cmpx_ne_u32_e32 0x7f, v78
	s_cbranch_execz .LBB195_567
; %bb.564:                              ;   in Loop: Header=BB195_298 Depth=1
	v_and_b32_sdwa v5, v77, v41 dst_sel:DWORD dst_unused:UNUSED_PAD src0_sel:BYTE_3 src1_sel:DWORD
	v_lshrrev_b32_e32 v7, 3, v78
	s_mov_b32 s22, exec_lo
	v_cmpx_gt_u32_e32 8, v78
; %bb.565:                              ;   in Loop: Header=BB195_298 Depth=1
	v_ffbh_u32_e32 v7, v5
	v_min_u32_e32 v7, 32, v7
	v_subrev_nc_u32_e32 v9, 28, v7
	v_sub_nc_u32_e32 v7, 29, v7
	v_lshlrev_b64 v[21:22], v9, v[5:6]
	v_and_b32_e32 v5, 7, v21
; %bb.566:                              ;   in Loop: Header=BB195_298 Depth=1
	s_or_b32 exec_lo, exec_lo, s22
	v_lshlrev_b32_sdwa v9, v42, v77 dst_sel:DWORD dst_unused:UNUSED_PAD src0_sel:DWORD src1_sel:BYTE_3
	v_lshlrev_b32_e32 v5, 20, v5
	v_lshl_add_u32 v7, v7, 23, 0x3c000000
	v_mov_b32_e32 v21, v6
	v_and_b32_e32 v9, 0x80000000, v9
	v_or3_b32 v22, v5, v9, v7
.LBB195_567:                            ;   in Loop: Header=BB195_298 Depth=1
	s_or_b32 exec_lo, exec_lo, s21
.LBB195_568:                            ;   in Loop: Header=BB195_298 Depth=1
	s_or_b32 exec_lo, exec_lo, s18
.LBB195_569:                            ;   in Loop: Header=BB195_298 Depth=1
	s_or_b32 exec_lo, exec_lo, s17
	v_or_b32_e32 v5, v18, v16
	v_or_b32_e32 v7, v17, v15
	;; [unrolled: 1-line block ×4, first 2 shown]
	v_mul_f32_e32 v9, s13, v5
	v_mul_f32_e32 v15, s12, v7
	;; [unrolled: 1-line block ×4, first 2 shown]
	s_and_saveexec_b32 s0, vcc_lo
	s_cbranch_execz .LBB195_296
; %bb.570:                              ;   in Loop: Header=BB195_298 Depth=1
	v_cmp_gt_i32_e32 vcc_lo, s31, v51
	v_cndmask_b32_e32 v15, 0, v15, vcc_lo
	v_cmp_gt_i32_e32 vcc_lo, s31, v54
	v_cndmask_b32_e32 v9, 0, v9, vcc_lo
	;; [unrolled: 2-line block ×4, first 2 shown]
	s_branch .LBB195_296
.LBB195_571:
	s_or_b32 exec_lo, exec_lo, s5
.LBB195_572:
	s_or_b32 exec_lo, exec_lo, s1
	ds_bpermute_b32 v1, v26, v37
	ds_bpermute_b32 v2, v26, v36
	;; [unrolled: 1-line block ×8, first 2 shown]
	v_lshrrev_b32_e32 v9, 1, v25
	v_lshlrev_b32_e32 v11, 9, v43
	v_and_b32_e32 v12, 0x3c1, v0
	s_mov_b32 s0, exec_lo
	s_waitcnt lgkmcnt(0)
	s_waitcnt_vscnt null, 0x0
	v_lshl_add_u32 v10, v9, 2, 0x220
	s_barrier
	buffer_gl0_inv
	v_add_f32_e32 v1, v37, v1
	v_add_f32_e32 v2, v36, v2
	;; [unrolled: 1-line block ×8, first 2 shown]
	v_cmpx_eq_u32_e32 64, v12
	s_cbranch_execz .LBB195_574
; %bb.573:
	v_add_nc_u32_e32 v12, v10, v11
	v_add_nc_u32_e32 v13, 0xfffffc00, v12
	;; [unrolled: 1-line block ×9, first 2 shown]
	ds_write_b32 v13, v1
	ds_write_b32 v14, v2
	;; [unrolled: 1-line block ×8, first 2 shown]
.LBB195_574:
	s_or_b32 exec_lo, exec_lo, s0
	v_lshlrev_b32_e32 v9, 2, v9
	s_mov_b32 s1, exec_lo
	v_cmp_eq_u32_e32 vcc_lo, 0, v27
	s_waitcnt lgkmcnt(0)
	s_barrier
	v_add3_u32 v9, 0x220, v11, v9
	buffer_gl0_inv
	v_cmpx_gt_u32_e32 64, v0
	s_cbranch_execz .LBB195_585
; %bb.575:
	s_and_saveexec_b32 s0, vcc_lo
	s_cbranch_execnz .LBB195_601
; %bb.576:
	s_or_b32 exec_lo, exec_lo, s0
	s_and_saveexec_b32 s0, vcc_lo
	s_cbranch_execnz .LBB195_602
.LBB195_577:
	s_or_b32 exec_lo, exec_lo, s0
	s_and_saveexec_b32 s0, vcc_lo
	s_cbranch_execnz .LBB195_603
.LBB195_578:
	s_or_b32 exec_lo, exec_lo, s0
	s_and_saveexec_b32 s0, vcc_lo
	s_cbranch_execnz .LBB195_604
.LBB195_579:
	s_or_b32 exec_lo, exec_lo, s0
	s_and_saveexec_b32 s0, vcc_lo
	s_cbranch_execnz .LBB195_605
.LBB195_580:
	s_or_b32 exec_lo, exec_lo, s0
	s_and_saveexec_b32 s0, vcc_lo
	s_cbranch_execnz .LBB195_606
.LBB195_581:
	s_or_b32 exec_lo, exec_lo, s0
	s_and_saveexec_b32 s0, vcc_lo
	s_cbranch_execnz .LBB195_607
.LBB195_582:
	s_or_b32 exec_lo, exec_lo, s0
	s_and_saveexec_b32 s0, vcc_lo
	s_cbranch_execz .LBB195_584
.LBB195_583:
	ds_read_b32 v11, v9 offset:448
	s_waitcnt lgkmcnt(0)
	v_add_f32_e32 v8, v8, v11
.LBB195_584:
	s_or_b32 exec_lo, exec_lo, s0
.LBB195_585:
	s_or_b32 exec_lo, exec_lo, s1
	v_and_b32_e32 v11, 0x3e1, v0
	s_mov_b32 s1, exec_lo
	s_barrier
	buffer_gl0_inv
	v_cmpx_eq_u32_e32 32, v11
	s_cbranch_execz .LBB195_587
; %bb.586:
	ds_write2_b32 v10, v1, v2 offset1:16
	ds_write2_b32 v10, v3, v4 offset0:32 offset1:48
	ds_write2_b32 v10, v5, v6 offset0:64 offset1:80
	;; [unrolled: 1-line block ×3, first 2 shown]
.LBB195_587:
	s_or_b32 exec_lo, exec_lo, s1
	s_mov_b32 s1, exec_lo
	s_waitcnt lgkmcnt(0)
	s_barrier
	buffer_gl0_inv
	v_cmpx_gt_u32_e32 32, v0
	s_cbranch_execz .LBB195_598
; %bb.588:
	s_and_saveexec_b32 s0, vcc_lo
	s_cbranch_execnz .LBB195_608
; %bb.589:
	s_or_b32 exec_lo, exec_lo, s0
	s_and_saveexec_b32 s0, vcc_lo
	s_cbranch_execnz .LBB195_609
.LBB195_590:
	s_or_b32 exec_lo, exec_lo, s0
	s_and_saveexec_b32 s0, vcc_lo
	s_cbranch_execnz .LBB195_610
.LBB195_591:
	s_or_b32 exec_lo, exec_lo, s0
	s_and_saveexec_b32 s0, vcc_lo
	s_cbranch_execnz .LBB195_611
.LBB195_592:
	s_or_b32 exec_lo, exec_lo, s0
	s_and_saveexec_b32 s0, vcc_lo
	s_cbranch_execnz .LBB195_612
.LBB195_593:
	s_or_b32 exec_lo, exec_lo, s0
	s_and_saveexec_b32 s0, vcc_lo
	s_cbranch_execnz .LBB195_613
.LBB195_594:
	s_or_b32 exec_lo, exec_lo, s0
	s_and_saveexec_b32 s0, vcc_lo
	s_cbranch_execnz .LBB195_614
.LBB195_595:
	s_or_b32 exec_lo, exec_lo, s0
	s_and_saveexec_b32 s0, vcc_lo
	s_cbranch_execz .LBB195_597
.LBB195_596:
	ds_read_b32 v9, v9 offset:448
	s_waitcnt lgkmcnt(0)
	v_add_f32_e32 v8, v8, v9
.LBB195_597:
	s_or_b32 exec_lo, exec_lo, s0
.LBB195_598:
	s_or_b32 exec_lo, exec_lo, s1
	s_barrier
	buffer_gl0_inv
	s_mov_b32 s0, exec_lo
	v_cmpx_eq_u32_e32 0, v11
	s_cbranch_execz .LBB195_600
; %bb.599:
	s_lshl_b32 s0, s2, 7
	s_mul_i32 s2, s7, s10
	s_ashr_i32 s1, s0, 31
	v_lshlrev_b32_e32 v0, 1, v0
	s_lshl_b64 s[0:1], s[0:1], 2
	s_add_u32 s4, s28, s0
	s_addc_u32 s5, s29, s1
	s_ashr_i32 s3, s2, 31
	s_lshl_b64 s[0:1], s[2:3], 2
	s_add_u32 s2, s4, s0
	s_addc_u32 s3, s5, s1
	s_lshl_b32 s0, s8, 7
	s_ashr_i32 s1, s0, 31
	s_lshl_b64 s[0:1], s[0:1], 2
	s_add_u32 s0, s2, s0
	s_addc_u32 s1, s3, s1
	global_store_dword v0, v1, s[0:1]
	global_store_dword v0, v2, s[0:1] offset:64
	global_store_dword v0, v3, s[0:1] offset:128
	;; [unrolled: 1-line block ×7, first 2 shown]
.LBB195_600:
	s_endpgm
.LBB195_601:
	ds_read_b32 v11, v9
	s_waitcnt lgkmcnt(0)
	v_add_f32_e32 v1, v1, v11
	s_or_b32 exec_lo, exec_lo, s0
	s_and_saveexec_b32 s0, vcc_lo
	s_cbranch_execz .LBB195_577
.LBB195_602:
	ds_read_b32 v11, v9 offset:64
	s_waitcnt lgkmcnt(0)
	v_add_f32_e32 v2, v2, v11
	s_or_b32 exec_lo, exec_lo, s0
	s_and_saveexec_b32 s0, vcc_lo
	s_cbranch_execz .LBB195_578
.LBB195_603:
	ds_read_b32 v11, v9 offset:128
	s_waitcnt lgkmcnt(0)
	v_add_f32_e32 v3, v3, v11
	s_or_b32 exec_lo, exec_lo, s0
	s_and_saveexec_b32 s0, vcc_lo
	s_cbranch_execz .LBB195_579
.LBB195_604:
	ds_read_b32 v11, v9 offset:192
	s_waitcnt lgkmcnt(0)
	v_add_f32_e32 v4, v4, v11
	s_or_b32 exec_lo, exec_lo, s0
	s_and_saveexec_b32 s0, vcc_lo
	s_cbranch_execz .LBB195_580
.LBB195_605:
	ds_read_b32 v11, v9 offset:256
	s_waitcnt lgkmcnt(0)
	v_add_f32_e32 v5, v5, v11
	s_or_b32 exec_lo, exec_lo, s0
	s_and_saveexec_b32 s0, vcc_lo
	s_cbranch_execz .LBB195_581
.LBB195_606:
	ds_read_b32 v11, v9 offset:320
	s_waitcnt lgkmcnt(0)
	v_add_f32_e32 v6, v6, v11
	s_or_b32 exec_lo, exec_lo, s0
	s_and_saveexec_b32 s0, vcc_lo
	s_cbranch_execz .LBB195_582
.LBB195_607:
	ds_read_b32 v11, v9 offset:384
	s_waitcnt lgkmcnt(0)
	v_add_f32_e32 v7, v7, v11
	s_or_b32 exec_lo, exec_lo, s0
	s_and_saveexec_b32 s0, vcc_lo
	s_cbranch_execnz .LBB195_583
	s_branch .LBB195_584
.LBB195_608:
	ds_read_b32 v10, v9
	s_waitcnt lgkmcnt(0)
	v_add_f32_e32 v1, v1, v10
	s_or_b32 exec_lo, exec_lo, s0
	s_and_saveexec_b32 s0, vcc_lo
	s_cbranch_execz .LBB195_590
.LBB195_609:
	ds_read_b32 v10, v9 offset:64
	s_waitcnt lgkmcnt(0)
	v_add_f32_e32 v2, v2, v10
	s_or_b32 exec_lo, exec_lo, s0
	s_and_saveexec_b32 s0, vcc_lo
	s_cbranch_execz .LBB195_591
.LBB195_610:
	ds_read_b32 v10, v9 offset:128
	s_waitcnt lgkmcnt(0)
	v_add_f32_e32 v3, v3, v10
	s_or_b32 exec_lo, exec_lo, s0
	s_and_saveexec_b32 s0, vcc_lo
	s_cbranch_execz .LBB195_592
.LBB195_611:
	ds_read_b32 v10, v9 offset:192
	s_waitcnt lgkmcnt(0)
	v_add_f32_e32 v4, v4, v10
	s_or_b32 exec_lo, exec_lo, s0
	s_and_saveexec_b32 s0, vcc_lo
	s_cbranch_execz .LBB195_593
.LBB195_612:
	ds_read_b32 v10, v9 offset:256
	s_waitcnt lgkmcnt(0)
	v_add_f32_e32 v5, v5, v10
	s_or_b32 exec_lo, exec_lo, s0
	s_and_saveexec_b32 s0, vcc_lo
	s_cbranch_execz .LBB195_594
.LBB195_613:
	ds_read_b32 v10, v9 offset:320
	s_waitcnt lgkmcnt(0)
	v_add_f32_e32 v6, v6, v10
	s_or_b32 exec_lo, exec_lo, s0
	s_and_saveexec_b32 s0, vcc_lo
	s_cbranch_execz .LBB195_595
.LBB195_614:
	ds_read_b32 v10, v9 offset:384
	s_waitcnt lgkmcnt(0)
	v_add_f32_e32 v7, v7, v10
	s_or_b32 exec_lo, exec_lo, s0
	s_and_saveexec_b32 s0, vcc_lo
	s_cbranch_execnz .LBB195_596
	s_branch .LBB195_597
	.section	.rodata,"a",@progbits
	.p2align	6, 0x0
	.amdhsa_kernel _ZN4vllm25paged_attention_v2_kernelIfhLi128ELi8ELi128ELNS_18Fp8KVCacheDataTypeE1ELb1ELi512EEEvPfS2_PT_PKS3_PKT0_S9_ifPKiSB_iPKfiiiSD_SD_iiiii
		.amdhsa_group_segment_fixed_size 544
		.amdhsa_private_segment_fixed_size 0
		.amdhsa_kernarg_size 400
		.amdhsa_user_sgpr_count 6
		.amdhsa_user_sgpr_private_segment_buffer 1
		.amdhsa_user_sgpr_dispatch_ptr 0
		.amdhsa_user_sgpr_queue_ptr 0
		.amdhsa_user_sgpr_kernarg_segment_ptr 1
		.amdhsa_user_sgpr_dispatch_id 0
		.amdhsa_user_sgpr_flat_scratch_init 0
		.amdhsa_user_sgpr_private_segment_size 0
		.amdhsa_wavefront_size32 1
		.amdhsa_uses_dynamic_stack 0
		.amdhsa_system_sgpr_private_segment_wavefront_offset 0
		.amdhsa_system_sgpr_workgroup_id_x 1
		.amdhsa_system_sgpr_workgroup_id_y 1
		.amdhsa_system_sgpr_workgroup_id_z 1
		.amdhsa_system_sgpr_workgroup_info 0
		.amdhsa_system_vgpr_workitem_id 0
		.amdhsa_next_free_vgpr 93
		.amdhsa_next_free_sgpr 53
		.amdhsa_reserve_vcc 1
		.amdhsa_reserve_flat_scratch 0
		.amdhsa_float_round_mode_32 0
		.amdhsa_float_round_mode_16_64 0
		.amdhsa_float_denorm_mode_32 3
		.amdhsa_float_denorm_mode_16_64 3
		.amdhsa_dx10_clamp 1
		.amdhsa_ieee_mode 1
		.amdhsa_fp16_overflow 0
		.amdhsa_workgroup_processor_mode 1
		.amdhsa_memory_ordered 1
		.amdhsa_forward_progress 1
		.amdhsa_shared_vgpr_count 0
		.amdhsa_exception_fp_ieee_invalid_op 0
		.amdhsa_exception_fp_denorm_src 0
		.amdhsa_exception_fp_ieee_div_zero 0
		.amdhsa_exception_fp_ieee_overflow 0
		.amdhsa_exception_fp_ieee_underflow 0
		.amdhsa_exception_fp_ieee_inexact 0
		.amdhsa_exception_int_div_zero 0
	.end_amdhsa_kernel
	.section	.text._ZN4vllm25paged_attention_v2_kernelIfhLi128ELi8ELi128ELNS_18Fp8KVCacheDataTypeE1ELb1ELi512EEEvPfS2_PT_PKS3_PKT0_S9_ifPKiSB_iPKfiiiSD_SD_iiiii,"axG",@progbits,_ZN4vllm25paged_attention_v2_kernelIfhLi128ELi8ELi128ELNS_18Fp8KVCacheDataTypeE1ELb1ELi512EEEvPfS2_PT_PKS3_PKT0_S9_ifPKiSB_iPKfiiiSD_SD_iiiii,comdat
.Lfunc_end195:
	.size	_ZN4vllm25paged_attention_v2_kernelIfhLi128ELi8ELi128ELNS_18Fp8KVCacheDataTypeE1ELb1ELi512EEEvPfS2_PT_PKS3_PKT0_S9_ifPKiSB_iPKfiiiSD_SD_iiiii, .Lfunc_end195-_ZN4vllm25paged_attention_v2_kernelIfhLi128ELi8ELi128ELNS_18Fp8KVCacheDataTypeE1ELb1ELi512EEEvPfS2_PT_PKS3_PKT0_S9_ifPKiSB_iPKfiiiSD_SD_iiiii
                                        ; -- End function
	.set _ZN4vllm25paged_attention_v2_kernelIfhLi128ELi8ELi128ELNS_18Fp8KVCacheDataTypeE1ELb1ELi512EEEvPfS2_PT_PKS3_PKT0_S9_ifPKiSB_iPKfiiiSD_SD_iiiii.num_vgpr, 93
	.set _ZN4vllm25paged_attention_v2_kernelIfhLi128ELi8ELi128ELNS_18Fp8KVCacheDataTypeE1ELb1ELi512EEEvPfS2_PT_PKS3_PKT0_S9_ifPKiSB_iPKfiiiSD_SD_iiiii.num_agpr, 0
	.set _ZN4vllm25paged_attention_v2_kernelIfhLi128ELi8ELi128ELNS_18Fp8KVCacheDataTypeE1ELb1ELi512EEEvPfS2_PT_PKS3_PKT0_S9_ifPKiSB_iPKfiiiSD_SD_iiiii.numbered_sgpr, 53
	.set _ZN4vllm25paged_attention_v2_kernelIfhLi128ELi8ELi128ELNS_18Fp8KVCacheDataTypeE1ELb1ELi512EEEvPfS2_PT_PKS3_PKT0_S9_ifPKiSB_iPKfiiiSD_SD_iiiii.num_named_barrier, 0
	.set _ZN4vllm25paged_attention_v2_kernelIfhLi128ELi8ELi128ELNS_18Fp8KVCacheDataTypeE1ELb1ELi512EEEvPfS2_PT_PKS3_PKT0_S9_ifPKiSB_iPKfiiiSD_SD_iiiii.private_seg_size, 0
	.set _ZN4vllm25paged_attention_v2_kernelIfhLi128ELi8ELi128ELNS_18Fp8KVCacheDataTypeE1ELb1ELi512EEEvPfS2_PT_PKS3_PKT0_S9_ifPKiSB_iPKfiiiSD_SD_iiiii.uses_vcc, 1
	.set _ZN4vllm25paged_attention_v2_kernelIfhLi128ELi8ELi128ELNS_18Fp8KVCacheDataTypeE1ELb1ELi512EEEvPfS2_PT_PKS3_PKT0_S9_ifPKiSB_iPKfiiiSD_SD_iiiii.uses_flat_scratch, 0
	.set _ZN4vllm25paged_attention_v2_kernelIfhLi128ELi8ELi128ELNS_18Fp8KVCacheDataTypeE1ELb1ELi512EEEvPfS2_PT_PKS3_PKT0_S9_ifPKiSB_iPKfiiiSD_SD_iiiii.has_dyn_sized_stack, 0
	.set _ZN4vllm25paged_attention_v2_kernelIfhLi128ELi8ELi128ELNS_18Fp8KVCacheDataTypeE1ELb1ELi512EEEvPfS2_PT_PKS3_PKT0_S9_ifPKiSB_iPKfiiiSD_SD_iiiii.has_recursion, 0
	.set _ZN4vllm25paged_attention_v2_kernelIfhLi128ELi8ELi128ELNS_18Fp8KVCacheDataTypeE1ELb1ELi512EEEvPfS2_PT_PKS3_PKT0_S9_ifPKiSB_iPKfiiiSD_SD_iiiii.has_indirect_call, 0
	.section	.AMDGPU.csdata,"",@progbits
; Kernel info:
; codeLenInByte = 17756
; TotalNumSgprs: 55
; NumVgprs: 93
; ScratchSize: 0
; MemoryBound: 0
; FloatMode: 240
; IeeeMode: 1
; LDSByteSize: 544 bytes/workgroup (compile time only)
; SGPRBlocks: 0
; VGPRBlocks: 11
; NumSGPRsForWavesPerEU: 55
; NumVGPRsForWavesPerEU: 93
; Occupancy: 10
; WaveLimiterHint : 1
; COMPUTE_PGM_RSRC2:SCRATCH_EN: 0
; COMPUTE_PGM_RSRC2:USER_SGPR: 6
; COMPUTE_PGM_RSRC2:TRAP_HANDLER: 0
; COMPUTE_PGM_RSRC2:TGID_X_EN: 1
; COMPUTE_PGM_RSRC2:TGID_Y_EN: 1
; COMPUTE_PGM_RSRC2:TGID_Z_EN: 1
; COMPUTE_PGM_RSRC2:TIDIG_COMP_CNT: 0
	.section	.text._ZN4vllm25paged_attention_v2_kernelIfhLi192ELi8ELi128ELNS_18Fp8KVCacheDataTypeE1ELb1ELi512EEEvPfS2_PT_PKS3_PKT0_S9_ifPKiSB_iPKfiiiSD_SD_iiiii,"axG",@progbits,_ZN4vllm25paged_attention_v2_kernelIfhLi192ELi8ELi128ELNS_18Fp8KVCacheDataTypeE1ELb1ELi512EEEvPfS2_PT_PKS3_PKT0_S9_ifPKiSB_iPKfiiiSD_SD_iiiii,comdat
	.protected	_ZN4vllm25paged_attention_v2_kernelIfhLi192ELi8ELi128ELNS_18Fp8KVCacheDataTypeE1ELb1ELi512EEEvPfS2_PT_PKS3_PKT0_S9_ifPKiSB_iPKfiiiSD_SD_iiiii ; -- Begin function _ZN4vllm25paged_attention_v2_kernelIfhLi192ELi8ELi128ELNS_18Fp8KVCacheDataTypeE1ELb1ELi512EEEvPfS2_PT_PKS3_PKT0_S9_ifPKiSB_iPKfiiiSD_SD_iiiii
	.globl	_ZN4vllm25paged_attention_v2_kernelIfhLi192ELi8ELi128ELNS_18Fp8KVCacheDataTypeE1ELb1ELi512EEEvPfS2_PT_PKS3_PKT0_S9_ifPKiSB_iPKfiiiSD_SD_iiiii
	.p2align	8
	.type	_ZN4vllm25paged_attention_v2_kernelIfhLi192ELi8ELi128ELNS_18Fp8KVCacheDataTypeE1ELb1ELi512EEEvPfS2_PT_PKS3_PKT0_S9_ifPKiSB_iPKfiiiSD_SD_iiiii,@function
_ZN4vllm25paged_attention_v2_kernelIfhLi192ELi8ELi128ELNS_18Fp8KVCacheDataTypeE1ELb1ELi512EEEvPfS2_PT_PKS3_PKT0_S9_ifPKiSB_iPKfiiiSD_SD_iiiii: ; @_ZN4vllm25paged_attention_v2_kernelIfhLi192ELi8ELi128ELNS_18Fp8KVCacheDataTypeE1ELb1ELi512EEEvPfS2_PT_PKS3_PKT0_S9_ifPKiSB_iPKfiiiSD_SD_iiiii
; %bb.0:
	s_load_dwordx2 s[0:1], s[4:5], 0x40
	s_mov_b32 s30, s7
	s_ashr_i32 s31, s7, 31
	s_lshl_b64 s[2:3], s[30:31], 2
	s_waitcnt lgkmcnt(0)
	s_add_u32 s0, s0, s2
	s_addc_u32 s1, s1, s3
	s_lshl_b32 s42, s8, 9
	s_load_dword s31, s[0:1], 0x0
	s_waitcnt lgkmcnt(0)
	s_cmp_ge_i32 s42, s31
	s_cbranch_scc1 .LBB196_873
; %bb.1:
	s_clause 0x1
	s_load_dword s9, s[4:5], 0x90
	s_load_dwordx2 s[40:41], s[4:5], 0x30
	s_mov_b32 s43, 0
	s_waitcnt lgkmcnt(0)
	s_abs_i32 s3, s9
	s_abs_i32 s0, s40
	v_cvt_f32_u32_e32 v1, s0
	s_sub_i32 s2, 0, s0
	v_rcp_iflag_f32_e32 v1, v1
	v_mul_f32_e32 v1, 0x4f7ffffe, v1
	v_cvt_u32_f32_e32 v1, v1
	v_readfirstlane_b32 s1, v1
	s_mul_i32 s2, s2, s1
	s_mul_hi_u32 s2, s1, s2
	s_add_i32 s1, s1, s2
	s_xor_b32 s2, s9, s40
	s_mul_hi_u32 s1, s3, s1
	s_ashr_i32 s2, s2, 31
	s_mul_i32 s7, s1, s0
	s_sub_i32 s3, s3, s7
	s_add_i32 s7, s1, 1
	s_sub_i32 s10, s3, s0
	s_cmp_ge_u32 s3, s0
	s_cselect_b32 s1, s7, s1
	s_cselect_b32 s3, s10, s3
	s_add_i32 s7, s1, 1
	s_cmp_ge_u32 s3, s0
	s_cselect_b32 s0, s7, s1
	s_xor_b32 s0, s0, s2
	s_sub_i32 s10, s0, s2
	s_load_dwordx2 s[0:1], s[4:5], 0x50
	s_abs_i32 s2, s10
	v_cvt_f32_u32_e32 v1, s2
	s_sub_i32 s3, 0, s2
	v_rcp_iflag_f32_e32 v1, v1
	v_mul_f32_e32 v1, 0x4f7ffffe, v1
	v_cvt_u32_f32_e32 v1, v1
	v_readfirstlane_b32 s7, v1
	s_mul_i32 s3, s3, s7
	s_mul_hi_u32 s11, s7, s3
	s_abs_i32 s3, s6
	s_add_i32 s7, s7, s11
	s_waitcnt lgkmcnt(0)
	s_cmp_eq_u64 s[0:1], 0
	s_mul_hi_u32 s12, s3, s7
	s_cbranch_scc1 .LBB196_3
; %bb.2:
	s_ashr_i32 s7, s6, 31
	s_lshl_b64 s[14:15], s[6:7], 2
	s_add_u32 s0, s0, s14
	s_addc_u32 s1, s1, s15
	s_load_dword s43, s[0:1], 0x0
.LBB196_3:
	s_clause 0x1
	s_load_dword s7, s[4:5], 0x98
	s_load_dwordx4 s[16:19], s[4:5], 0x58
	v_and_b32_e32 v1, 3, v0
	v_lshlrev_b32_e32 v61, 2, v0
	s_ashr_i32 s13, s6, 31
	s_ashr_i32 s14, s10, 31
	s_mul_i32 s10, s6, 0xc0
	s_mov_b32 s15, exec_lo
	v_cmpx_gt_u32_e32 0xc0, v0
	s_cbranch_execz .LBB196_6
; %bb.4:
	s_load_dwordx2 s[0:1], s[4:5], 0x18
	s_waitcnt lgkmcnt(0)
	s_mul_i32 s20, s16, s30
	v_and_b32_e32 v2, 0x3fc, v0
	s_ashr_i32 s21, s20, 31
	v_cmp_gt_u32_e32 vcc_lo, 64, v0
	s_lshl_b64 s[20:21], s[20:21], 2
	v_mad_u32_u24 v2, 0xc0, v1, v2
	s_add_u32 s16, s0, s20
	s_addc_u32 s19, s1, s21
	s_ashr_i32 s11, s10, 31
	s_lshl_b64 s[0:1], s[10:11], 2
	s_add_u32 s0, s16, s0
	s_addc_u32 s1, s19, s1
	global_load_dword v3, v61, s[0:1]
	s_waitcnt vmcnt(0)
	ds_write_b32 v2, v3
	s_and_b32 exec_lo, exec_lo, vcc_lo
	s_cbranch_execz .LBB196_6
; %bb.5:
	v_lshrrev_b32_e32 v3, 2, v0
	v_lshlrev_b32_e32 v4, 2, v1
	v_lshlrev_b32_e32 v3, 4, v3
	v_or3_b32 v3, v3, v4, 0x200
	global_load_dword v3, v3, s[0:1]
	s_waitcnt vmcnt(0)
	ds_write_b32 v2, v3 offset:128
.LBB196_6:
	s_or_b32 exec_lo, exec_lo, s15
	s_load_dwordx4 s[20:23], s[4:5], 0x78
	s_mul_i32 s0, s12, s2
	s_xor_b32 s1, s13, s14
	s_sub_i32 s0, s3, s0
	s_add_i32 s3, s12, 1
	s_sub_i32 s11, s0, s2
	s_cmp_ge_u32 s0, s2
	s_mov_b32 s13, -1
	s_cselect_b32 s3, s3, s12
	s_cselect_b32 s0, s11, s0
	s_add_i32 s11, s3, 1
	s_cmp_ge_u32 s0, s2
                                        ; implicit-def: $sgpr19
	s_cselect_b32 s0, s11, s3
	s_load_dword s3, s[4:5], 0x88
	s_xor_b32 s0, s0, s1
	s_add_i32 s12, s31, -1
	s_sub_i32 s1, s0, s1
	s_abs_i32 s2, s12
	s_waitcnt lgkmcnt(0)
	s_abs_i32 s11, s23
	s_barrier
	v_cvt_f32_u32_e32 v2, s11
	s_sub_i32 s0, 0, s11
	buffer_gl0_inv
	v_rcp_iflag_f32_e32 v2, v2
	v_mul_f32_e32 v2, 0x4f7ffffe, v2
	v_cvt_u32_f32_e32 v2, v2
	v_readfirstlane_b32 s16, v2
	s_mul_i32 s0, s0, s16
	s_mul_hi_u32 s0, s16, s0
	s_add_i32 s16, s16, s0
	s_cmp_lt_i32 s3, 0
	s_mul_hi_u32 s0, s2, s16
	s_cbranch_scc0 .LBB196_8
; %bb.7:
	s_mul_i32 s13, s20, s40
	s_add_i32 s13, s1, s13
	s_mul_i32 s13, s13, s3
	s_sub_i32 s19, 1, s13
	s_mov_b32 s13, 0
.LBB196_8:
	s_load_dwordx2 s[34:35], s[4:5], 0x38
	s_ashr_i32 s33, s12, 31
	s_andn2_b32 vcc_lo, exec_lo, s13
	s_ashr_i32 s23, s23, 31
	s_cbranch_vccnz .LBB196_10
; %bb.9:
	s_mul_i32 s12, s9, s20
	s_add_i32 s12, s12, s6
	s_mul_i32 s3, s12, s3
	s_add_i32 s19, s3, 1
.LBB196_10:
	s_clause 0x4
	s_load_dword s3, s[4:5], 0x48
	s_load_dwordx2 s[38:39], s[4:5], 0x28
	s_load_dwordx4 s[24:27], s[4:5], 0x0
	s_load_dwordx2 s[28:29], s[4:5], 0x10
	s_load_dwordx4 s[12:15], s[4:5], 0x68
	s_mul_i32 s20, s0, s11
	s_xor_b32 s40, s33, s23
	s_sub_i32 s2, s2, s20
	s_add_i32 s33, s0, 1
	v_lshrrev_b32_e32 v59, 5, v0
	v_mov_b32_e32 v63, 0xff7fffff
	v_mbcnt_lo_u32_b32 v62, -1, 0
	s_mul_i32 s18, s1, s18
	v_lshl_add_u32 v60, v59, 3, s42
	s_waitcnt lgkmcnt(0)
	s_mul_i32 s36, s3, s30
	s_sub_i32 s3, s2, s11
	s_ashr_i32 s37, s36, 31
	s_cmp_ge_u32 s2, s11
	s_cselect_b32 s0, s33, s0
	s_cselect_b32 s2, s3, s2
	s_add_i32 s3, s0, 1
	s_cmp_ge_u32 s2, s11
	s_cselect_b32 s0, s3, s0
	s_add_i32 s2, s31, 7
	s_lshl_b32 s44, s8, 6
	s_ashr_i32 s3, s2, 31
	v_or_b32_e32 v49, s44, v59
	s_lshr_b32 s3, s3, 29
	s_add_i32 s2, s2, s3
	s_add_i32 s3, s44, 64
	s_ashr_i32 s33, s2, 3
	s_xor_b32 s2, s0, s40
	s_min_i32 s20, s3, s33
	v_ashrrev_i32_e32 v50, 31, v49
	v_cmp_gt_i32_e64 s0, s20, v49
	s_sub_i32 s40, s2, s40
	s_and_saveexec_b32 s45, s0
	s_cbranch_execz .LBB196_406
; %bb.11:
	s_load_dwordx2 s[2:3], s[4:5], 0x20
	s_sub_i32 s4, s40, s21
	s_ashr_i32 s1, s18, 31
	v_bfe_u32 v64, v0, 2, 3
	v_mov_b32_e32 v52, 0
	v_mul_u32_u24_e32 v65, 0xc0, v1
	v_lshl_add_u32 v66, v59, 3, s42
	v_mov_b32_e32 v67, 0xff7fffff
	v_lshlrev_b32_e32 v5, 2, v64
	v_subrev_nc_u32_e32 v6, s31, v64
	v_lshlrev_b32_e32 v7, 4, v64
	v_mov_b32_e32 v68, 0x7f
	v_mov_b32_e32 v69, 7
	v_lshl_or_b32 v5, v59, 5, v5
	v_add_nc_u32_e32 v70, 1, v6
	v_mov_b32_e32 v63, 0xff7fffff
	v_mov_b32_e32 v73, v49
	v_cmp_eq_u32_e32 vcc_lo, 0, v1
	v_add_nc_u32_e32 v71, 0x320, v5
	s_waitcnt lgkmcnt(0)
	s_add_u32 s46, s2, s18
	s_addc_u32 s47, s3, s1
	s_abs_i32 s5, s22
	v_add_co_u32 v6, s46, s46, v7
	v_cvt_f32_u32_e32 v2, s5
	s_sub_i32 s2, 0, s5
	v_add_co_ci_u32_e64 v7, null, s47, 0, s46
	v_cmp_neq_f32_e64 s1, s43, 0
	v_rcp_iflag_f32_e32 v4, v2
	v_lshlrev_b64 v[2:3], 2, v[49:50]
	s_mov_b32 s46, 0
	s_mov_b32 s47, s17
	v_mul_f32_e32 v4, 0x4f7ffffe, v4
	v_cvt_u32_f32_e32 v4, v4
	v_mul_lo_u32 v5, s2, v4
	s_lshl_b64 s[2:3], s[36:37], 2
	s_add_u32 s2, s34, s2
	s_addc_u32 s3, s35, s3
	v_add_co_u32 v53, s2, s2, v2
	v_add_co_ci_u32_e64 v54, null, s3, v3, s2
	v_mul_hi_u32 v5, v4, v5
	v_add_co_u32 v55, s2, v6, v1
	v_add_co_ci_u32_e64 v56, null, 0, v7, s2
	v_add_nc_u32_e32 v72, v4, v5
	s_branch .LBB196_14
.LBB196_12:                             ;   in Loop: Header=BB196_14 Depth=1
	s_or_b32 exec_lo, exec_lo, s48
.LBB196_13:                             ;   in Loop: Header=BB196_14 Depth=1
	s_or_b32 exec_lo, exec_lo, s3
	v_add_nc_u32_e32 v73, 4, v73
	v_add_co_u32 v53, s3, v53, 16
	v_add_co_ci_u32_e64 v54, null, 0, v54, s3
	v_cmp_le_i32_e64 s2, s20, v73
	v_add_nc_u32_e32 v66, 32, v66
	v_add_nc_u32_e32 v71, 0x80, v71
	s_or_b32 s46, s2, s46
	s_andn2_b32 exec_lo, exec_lo, s46
	s_cbranch_execz .LBB196_405
.LBB196_14:                             ; =>This Inner Loop Header: Depth=1
	v_sub_nc_u32_e32 v1, 0, v66
	v_max_i32_e32 v1, v66, v1
	s_waitcnt lgkmcnt(0)
	v_mul_hi_u32 v2, v1, s16
	v_mul_lo_u32 v3, v2, s11
	v_sub_nc_u32_e32 v1, v1, v3
	v_add_nc_u32_e32 v3, 1, v2
	v_subrev_nc_u32_e32 v4, s11, v1
	v_cmp_le_u32_e64 s2, s11, v1
	v_cndmask_b32_e64 v2, v2, v3, s2
	v_cndmask_b32_e64 v1, v1, v4, s2
	v_ashrrev_i32_e32 v3, 31, v66
	v_add_nc_u32_e32 v4, 1, v2
	v_cmp_le_u32_e64 s2, s11, v1
	v_xor_b32_e32 v3, s23, v3
	v_cndmask_b32_e64 v1, v2, v4, s2
	v_xor_b32_e32 v1, v1, v3
	v_sub_nc_u32_e32 v1, v1, v3
	v_add_nc_u32_e32 v2, s19, v1
	v_cmp_ge_i32_e64 s3, s4, v1
	v_sub_nc_u32_e32 v3, 0, v2
	v_max_i32_e32 v3, v2, v3
	v_ashrrev_i32_e32 v2, 31, v2
	v_mul_hi_u32 v4, v3, v72
	v_mul_lo_u32 v4, v4, s5
	v_sub_nc_u32_e32 v3, v3, v4
	v_subrev_nc_u32_e32 v4, s5, v3
	v_cmp_le_u32_e64 s2, s5, v3
	v_cndmask_b32_e64 v3, v3, v4, s2
	v_subrev_nc_u32_e32 v4, s5, v3
	v_cmp_le_u32_e64 s2, s5, v3
	v_cndmask_b32_e64 v3, v3, v4, s2
	v_xor_b32_e32 v3, v3, v2
	v_sub_nc_u32_e32 v2, v3, v2
	v_cmp_ne_u32_e64 s2, 0, v2
	s_and_b32 s2, s2, s3
	s_and_saveexec_b32 s3, s2
	s_xor_b32 s2, exec_lo, s3
	s_cbranch_execz .LBB196_18
; %bb.15:                               ;   in Loop: Header=BB196_14 Depth=1
	s_and_saveexec_b32 s3, vcc_lo
; %bb.16:                               ;   in Loop: Header=BB196_14 Depth=1
	ds_write_b32 v71, v67
; %bb.17:                               ;   in Loop: Header=BB196_14 Depth=1
	s_or_b32 exec_lo, exec_lo, s3
.LBB196_18:                             ;   in Loop: Header=BB196_14 Depth=1
	s_andn2_saveexec_b32 s3, s2
	s_cbranch_execz .LBB196_13
; %bb.19:                               ;   in Loop: Header=BB196_14 Depth=1
	global_load_dword v1, v[53:54], off
	v_mov_b32_e32 v74, 0
	v_mov_b32_e32 v75, 0
	s_mov_b32 s49, exec_lo
	s_waitcnt vmcnt(0)
	v_mad_i64_i32 v[57:58], null, v1, s47, v[55:56]
	global_load_ubyte v76, v[57:58], off
	ds_read_b128 v[45:48], v65
	ds_read_b128 v[41:44], v65 offset:16
	ds_read_b128 v[37:40], v65 offset:32
	;; [unrolled: 1-line block ×11, first 2 shown]
	s_load_dword s48, s[12:13], 0x0
	s_waitcnt vmcnt(0)
	v_cmpx_ne_u16_e32 0, v76
	s_cbranch_execz .LBB196_27
; %bb.20:                               ;   in Loop: Header=BB196_14 Depth=1
	v_bfrev_b32_e32 v75, 1
	s_mov_b32 s50, exec_lo
	v_cmpx_ne_u16_e32 0x80, v76
	s_cbranch_execz .LBB196_26
; %bb.21:                               ;   in Loop: Header=BB196_14 Depth=1
	v_and_b32_sdwa v77, v76, v68 dst_sel:DWORD dst_unused:UNUSED_PAD src0_sel:WORD_0 src1_sel:DWORD
	v_mov_b32_e32 v75, 0x7f800001
	s_mov_b32 s51, exec_lo
	v_cmpx_ne_u32_e32 0x7f, v77
	s_cbranch_execz .LBB196_25
; %bb.22:                               ;   in Loop: Header=BB196_14 Depth=1
	v_and_b32_sdwa v51, v76, v69 dst_sel:DWORD dst_unused:UNUSED_PAD src0_sel:WORD_0 src1_sel:DWORD
	v_lshrrev_b32_e32 v75, 3, v77
	s_mov_b32 s52, exec_lo
	v_cmpx_gt_u32_e32 8, v77
; %bb.23:                               ;   in Loop: Header=BB196_14 Depth=1
	v_ffbh_u32_e32 v75, v51
	v_min_u32_e32 v75, 32, v75
	v_subrev_nc_u32_e32 v77, 28, v75
	v_sub_nc_u32_e32 v75, 29, v75
	v_lshlrev_b64 v[77:78], v77, v[51:52]
	v_and_b32_e32 v51, 7, v77
; %bb.24:                               ;   in Loop: Header=BB196_14 Depth=1
	s_or_b32 exec_lo, exec_lo, s52
	v_lshlrev_b32_e32 v76, 24, v76
	v_lshlrev_b32_e32 v51, 20, v51
	v_lshl_add_u32 v75, v75, 23, 0x3c000000
	v_and_b32_e32 v76, 0x80000000, v76
	v_or3_b32 v75, v51, v76, v75
.LBB196_25:                             ;   in Loop: Header=BB196_14 Depth=1
	s_or_b32 exec_lo, exec_lo, s51
.LBB196_26:                             ;   in Loop: Header=BB196_14 Depth=1
	s_or_b32 exec_lo, exec_lo, s50
.LBB196_27:                             ;   in Loop: Header=BB196_14 Depth=1
	s_or_b32 exec_lo, exec_lo, s49
	global_load_ubyte v76, v[57:58], off offset:4
	s_mov_b32 s49, exec_lo
	s_waitcnt vmcnt(0)
	v_cmpx_ne_u16_e32 0, v76
	s_cbranch_execz .LBB196_35
; %bb.28:                               ;   in Loop: Header=BB196_14 Depth=1
	v_bfrev_b32_e32 v74, 1
	s_mov_b32 s50, exec_lo
	v_cmpx_ne_u16_e32 0x80, v76
	s_cbranch_execz .LBB196_34
; %bb.29:                               ;   in Loop: Header=BB196_14 Depth=1
	v_and_b32_sdwa v77, v76, v68 dst_sel:DWORD dst_unused:UNUSED_PAD src0_sel:WORD_0 src1_sel:DWORD
	v_mov_b32_e32 v74, 0x7f800001
	s_mov_b32 s51, exec_lo
	v_cmpx_ne_u32_e32 0x7f, v77
	s_cbranch_execz .LBB196_33
; %bb.30:                               ;   in Loop: Header=BB196_14 Depth=1
	v_and_b32_sdwa v51, v76, v69 dst_sel:DWORD dst_unused:UNUSED_PAD src0_sel:WORD_0 src1_sel:DWORD
	v_lshrrev_b32_e32 v74, 3, v77
	s_mov_b32 s52, exec_lo
	v_cmpx_gt_u32_e32 8, v77
; %bb.31:                               ;   in Loop: Header=BB196_14 Depth=1
	v_ffbh_u32_e32 v74, v51
	v_min_u32_e32 v74, 32, v74
	v_subrev_nc_u32_e32 v77, 28, v74
	v_sub_nc_u32_e32 v74, 29, v74
	v_lshlrev_b64 v[77:78], v77, v[51:52]
	v_and_b32_e32 v51, 7, v77
; %bb.32:                               ;   in Loop: Header=BB196_14 Depth=1
	s_or_b32 exec_lo, exec_lo, s52
	v_lshlrev_b32_e32 v76, 24, v76
	v_lshlrev_b32_e32 v51, 20, v51
	v_lshl_add_u32 v74, v74, 23, 0x3c000000
	v_and_b32_e32 v76, 0x80000000, v76
	v_or3_b32 v74, v51, v76, v74
.LBB196_33:                             ;   in Loop: Header=BB196_14 Depth=1
	s_or_b32 exec_lo, exec_lo, s51
.LBB196_34:                             ;   in Loop: Header=BB196_14 Depth=1
	s_or_b32 exec_lo, exec_lo, s50
.LBB196_35:                             ;   in Loop: Header=BB196_14 Depth=1
	s_or_b32 exec_lo, exec_lo, s49
	global_load_ubyte v78, v[57:58], off offset:8
	v_mov_b32_e32 v76, 0
	v_mov_b32_e32 v77, 0
	s_mov_b32 s49, exec_lo
	s_waitcnt vmcnt(0)
	v_cmpx_ne_u16_e32 0, v78
	s_cbranch_execz .LBB196_43
; %bb.36:                               ;   in Loop: Header=BB196_14 Depth=1
	v_bfrev_b32_e32 v77, 1
	s_mov_b32 s50, exec_lo
	v_cmpx_ne_u16_e32 0x80, v78
	s_cbranch_execz .LBB196_42
; %bb.37:                               ;   in Loop: Header=BB196_14 Depth=1
	v_and_b32_sdwa v79, v78, v68 dst_sel:DWORD dst_unused:UNUSED_PAD src0_sel:WORD_0 src1_sel:DWORD
	v_mov_b32_e32 v77, 0x7f800001
	s_mov_b32 s51, exec_lo
	v_cmpx_ne_u32_e32 0x7f, v79
	s_cbranch_execz .LBB196_41
; %bb.38:                               ;   in Loop: Header=BB196_14 Depth=1
	v_and_b32_sdwa v51, v78, v69 dst_sel:DWORD dst_unused:UNUSED_PAD src0_sel:WORD_0 src1_sel:DWORD
	v_lshrrev_b32_e32 v77, 3, v79
	s_mov_b32 s52, exec_lo
	v_cmpx_gt_u32_e32 8, v79
; %bb.39:                               ;   in Loop: Header=BB196_14 Depth=1
	v_ffbh_u32_e32 v77, v51
	v_min_u32_e32 v77, 32, v77
	v_subrev_nc_u32_e32 v79, 28, v77
	v_sub_nc_u32_e32 v77, 29, v77
	v_lshlrev_b64 v[79:80], v79, v[51:52]
	v_and_b32_e32 v51, 7, v79
; %bb.40:                               ;   in Loop: Header=BB196_14 Depth=1
	s_or_b32 exec_lo, exec_lo, s52
	v_lshlrev_b32_e32 v78, 24, v78
	v_lshlrev_b32_e32 v51, 20, v51
	v_lshl_add_u32 v77, v77, 23, 0x3c000000
	v_and_b32_e32 v78, 0x80000000, v78
	v_or3_b32 v77, v51, v78, v77
.LBB196_41:                             ;   in Loop: Header=BB196_14 Depth=1
	s_or_b32 exec_lo, exec_lo, s51
.LBB196_42:                             ;   in Loop: Header=BB196_14 Depth=1
	s_or_b32 exec_lo, exec_lo, s50
.LBB196_43:                             ;   in Loop: Header=BB196_14 Depth=1
	s_or_b32 exec_lo, exec_lo, s49
	global_load_ubyte v78, v[57:58], off offset:12
	s_mov_b32 s49, exec_lo
	s_waitcnt vmcnt(0)
	v_cmpx_ne_u16_e32 0, v78
	s_cbranch_execz .LBB196_51
; %bb.44:                               ;   in Loop: Header=BB196_14 Depth=1
	v_bfrev_b32_e32 v76, 1
	s_mov_b32 s50, exec_lo
	v_cmpx_ne_u16_e32 0x80, v78
	s_cbranch_execz .LBB196_50
; %bb.45:                               ;   in Loop: Header=BB196_14 Depth=1
	v_and_b32_sdwa v79, v78, v68 dst_sel:DWORD dst_unused:UNUSED_PAD src0_sel:WORD_0 src1_sel:DWORD
	v_mov_b32_e32 v76, 0x7f800001
	s_mov_b32 s51, exec_lo
	v_cmpx_ne_u32_e32 0x7f, v79
	s_cbranch_execz .LBB196_49
; %bb.46:                               ;   in Loop: Header=BB196_14 Depth=1
	v_and_b32_sdwa v51, v78, v69 dst_sel:DWORD dst_unused:UNUSED_PAD src0_sel:WORD_0 src1_sel:DWORD
	v_lshrrev_b32_e32 v76, 3, v79
	s_mov_b32 s52, exec_lo
	v_cmpx_gt_u32_e32 8, v79
; %bb.47:                               ;   in Loop: Header=BB196_14 Depth=1
	v_ffbh_u32_e32 v76, v51
	v_min_u32_e32 v76, 32, v76
	v_subrev_nc_u32_e32 v79, 28, v76
	v_sub_nc_u32_e32 v76, 29, v76
	v_lshlrev_b64 v[79:80], v79, v[51:52]
	v_and_b32_e32 v51, 7, v79
; %bb.48:                               ;   in Loop: Header=BB196_14 Depth=1
	s_or_b32 exec_lo, exec_lo, s52
	v_lshlrev_b32_e32 v78, 24, v78
	v_lshlrev_b32_e32 v51, 20, v51
	v_lshl_add_u32 v76, v76, 23, 0x3c000000
	v_and_b32_e32 v78, 0x80000000, v78
	v_or3_b32 v76, v51, v78, v76
.LBB196_49:                             ;   in Loop: Header=BB196_14 Depth=1
	s_or_b32 exec_lo, exec_lo, s51
.LBB196_50:                             ;   in Loop: Header=BB196_14 Depth=1
	s_or_b32 exec_lo, exec_lo, s50
.LBB196_51:                             ;   in Loop: Header=BB196_14 Depth=1
	s_or_b32 exec_lo, exec_lo, s49
	global_load_ubyte v80, v[57:58], off offset:128
	v_mov_b32_e32 v78, 0
	v_mov_b32_e32 v79, 0
	s_mov_b32 s49, exec_lo
	s_waitcnt vmcnt(0)
	v_cmpx_ne_u16_e32 0, v80
	s_cbranch_execz .LBB196_59
; %bb.52:                               ;   in Loop: Header=BB196_14 Depth=1
	v_bfrev_b32_e32 v79, 1
	s_mov_b32 s50, exec_lo
	v_cmpx_ne_u16_e32 0x80, v80
	s_cbranch_execz .LBB196_58
; %bb.53:                               ;   in Loop: Header=BB196_14 Depth=1
	v_and_b32_sdwa v81, v80, v68 dst_sel:DWORD dst_unused:UNUSED_PAD src0_sel:WORD_0 src1_sel:DWORD
	v_mov_b32_e32 v79, 0x7f800001
	s_mov_b32 s51, exec_lo
	v_cmpx_ne_u32_e32 0x7f, v81
	s_cbranch_execz .LBB196_57
; %bb.54:                               ;   in Loop: Header=BB196_14 Depth=1
	v_and_b32_sdwa v51, v80, v69 dst_sel:DWORD dst_unused:UNUSED_PAD src0_sel:WORD_0 src1_sel:DWORD
	v_lshrrev_b32_e32 v79, 3, v81
	s_mov_b32 s52, exec_lo
	v_cmpx_gt_u32_e32 8, v81
; %bb.55:                               ;   in Loop: Header=BB196_14 Depth=1
	v_ffbh_u32_e32 v79, v51
	v_min_u32_e32 v79, 32, v79
	v_subrev_nc_u32_e32 v81, 28, v79
	v_sub_nc_u32_e32 v79, 29, v79
	v_lshlrev_b64 v[81:82], v81, v[51:52]
	v_and_b32_e32 v51, 7, v81
; %bb.56:                               ;   in Loop: Header=BB196_14 Depth=1
	s_or_b32 exec_lo, exec_lo, s52
	v_lshlrev_b32_e32 v80, 24, v80
	v_lshlrev_b32_e32 v51, 20, v51
	v_lshl_add_u32 v79, v79, 23, 0x3c000000
	v_and_b32_e32 v80, 0x80000000, v80
	v_or3_b32 v79, v51, v80, v79
.LBB196_57:                             ;   in Loop: Header=BB196_14 Depth=1
	s_or_b32 exec_lo, exec_lo, s51
.LBB196_58:                             ;   in Loop: Header=BB196_14 Depth=1
	s_or_b32 exec_lo, exec_lo, s50
.LBB196_59:                             ;   in Loop: Header=BB196_14 Depth=1
	s_or_b32 exec_lo, exec_lo, s49
	global_load_ubyte v80, v[57:58], off offset:132
	s_mov_b32 s49, exec_lo
	s_waitcnt vmcnt(0)
	v_cmpx_ne_u16_e32 0, v80
	s_cbranch_execz .LBB196_67
; %bb.60:                               ;   in Loop: Header=BB196_14 Depth=1
	v_bfrev_b32_e32 v78, 1
	s_mov_b32 s50, exec_lo
	v_cmpx_ne_u16_e32 0x80, v80
	s_cbranch_execz .LBB196_66
; %bb.61:                               ;   in Loop: Header=BB196_14 Depth=1
	v_and_b32_sdwa v81, v80, v68 dst_sel:DWORD dst_unused:UNUSED_PAD src0_sel:WORD_0 src1_sel:DWORD
	v_mov_b32_e32 v78, 0x7f800001
	s_mov_b32 s51, exec_lo
	v_cmpx_ne_u32_e32 0x7f, v81
	s_cbranch_execz .LBB196_65
; %bb.62:                               ;   in Loop: Header=BB196_14 Depth=1
	v_and_b32_sdwa v51, v80, v69 dst_sel:DWORD dst_unused:UNUSED_PAD src0_sel:WORD_0 src1_sel:DWORD
	v_lshrrev_b32_e32 v78, 3, v81
	s_mov_b32 s52, exec_lo
	v_cmpx_gt_u32_e32 8, v81
; %bb.63:                               ;   in Loop: Header=BB196_14 Depth=1
	v_ffbh_u32_e32 v78, v51
	v_min_u32_e32 v78, 32, v78
	v_subrev_nc_u32_e32 v81, 28, v78
	v_sub_nc_u32_e32 v78, 29, v78
	v_lshlrev_b64 v[81:82], v81, v[51:52]
	v_and_b32_e32 v51, 7, v81
; %bb.64:                               ;   in Loop: Header=BB196_14 Depth=1
	s_or_b32 exec_lo, exec_lo, s52
	v_lshlrev_b32_e32 v80, 24, v80
	v_lshlrev_b32_e32 v51, 20, v51
	v_lshl_add_u32 v78, v78, 23, 0x3c000000
	v_and_b32_e32 v80, 0x80000000, v80
	v_or3_b32 v78, v51, v80, v78
.LBB196_65:                             ;   in Loop: Header=BB196_14 Depth=1
	s_or_b32 exec_lo, exec_lo, s51
.LBB196_66:                             ;   in Loop: Header=BB196_14 Depth=1
	s_or_b32 exec_lo, exec_lo, s50
.LBB196_67:                             ;   in Loop: Header=BB196_14 Depth=1
	s_or_b32 exec_lo, exec_lo, s49
	global_load_ubyte v82, v[57:58], off offset:136
	v_mov_b32_e32 v80, 0
	v_mov_b32_e32 v81, 0
	s_mov_b32 s49, exec_lo
	s_waitcnt vmcnt(0)
	v_cmpx_ne_u16_e32 0, v82
	s_cbranch_execz .LBB196_75
; %bb.68:                               ;   in Loop: Header=BB196_14 Depth=1
	v_bfrev_b32_e32 v81, 1
	s_mov_b32 s50, exec_lo
	v_cmpx_ne_u16_e32 0x80, v82
	s_cbranch_execz .LBB196_74
; %bb.69:                               ;   in Loop: Header=BB196_14 Depth=1
	v_and_b32_sdwa v83, v82, v68 dst_sel:DWORD dst_unused:UNUSED_PAD src0_sel:WORD_0 src1_sel:DWORD
	v_mov_b32_e32 v81, 0x7f800001
	s_mov_b32 s51, exec_lo
	v_cmpx_ne_u32_e32 0x7f, v83
	s_cbranch_execz .LBB196_73
; %bb.70:                               ;   in Loop: Header=BB196_14 Depth=1
	v_and_b32_sdwa v51, v82, v69 dst_sel:DWORD dst_unused:UNUSED_PAD src0_sel:WORD_0 src1_sel:DWORD
	v_lshrrev_b32_e32 v81, 3, v83
	s_mov_b32 s52, exec_lo
	v_cmpx_gt_u32_e32 8, v83
; %bb.71:                               ;   in Loop: Header=BB196_14 Depth=1
	v_ffbh_u32_e32 v81, v51
	v_min_u32_e32 v81, 32, v81
	v_subrev_nc_u32_e32 v83, 28, v81
	v_sub_nc_u32_e32 v81, 29, v81
	v_lshlrev_b64 v[83:84], v83, v[51:52]
	v_and_b32_e32 v51, 7, v83
; %bb.72:                               ;   in Loop: Header=BB196_14 Depth=1
	s_or_b32 exec_lo, exec_lo, s52
	v_lshlrev_b32_e32 v82, 24, v82
	v_lshlrev_b32_e32 v51, 20, v51
	v_lshl_add_u32 v81, v81, 23, 0x3c000000
	v_and_b32_e32 v82, 0x80000000, v82
	v_or3_b32 v81, v51, v82, v81
.LBB196_73:                             ;   in Loop: Header=BB196_14 Depth=1
	s_or_b32 exec_lo, exec_lo, s51
.LBB196_74:                             ;   in Loop: Header=BB196_14 Depth=1
	s_or_b32 exec_lo, exec_lo, s50
.LBB196_75:                             ;   in Loop: Header=BB196_14 Depth=1
	s_or_b32 exec_lo, exec_lo, s49
	global_load_ubyte v82, v[57:58], off offset:140
	s_mov_b32 s49, exec_lo
	s_waitcnt vmcnt(0)
	v_cmpx_ne_u16_e32 0, v82
	s_cbranch_execz .LBB196_83
; %bb.76:                               ;   in Loop: Header=BB196_14 Depth=1
	v_bfrev_b32_e32 v80, 1
	s_mov_b32 s50, exec_lo
	v_cmpx_ne_u16_e32 0x80, v82
	s_cbranch_execz .LBB196_82
; %bb.77:                               ;   in Loop: Header=BB196_14 Depth=1
	v_and_b32_sdwa v83, v82, v68 dst_sel:DWORD dst_unused:UNUSED_PAD src0_sel:WORD_0 src1_sel:DWORD
	v_mov_b32_e32 v80, 0x7f800001
	s_mov_b32 s51, exec_lo
	v_cmpx_ne_u32_e32 0x7f, v83
	s_cbranch_execz .LBB196_81
; %bb.78:                               ;   in Loop: Header=BB196_14 Depth=1
	v_and_b32_sdwa v51, v82, v69 dst_sel:DWORD dst_unused:UNUSED_PAD src0_sel:WORD_0 src1_sel:DWORD
	v_lshrrev_b32_e32 v80, 3, v83
	s_mov_b32 s52, exec_lo
	v_cmpx_gt_u32_e32 8, v83
; %bb.79:                               ;   in Loop: Header=BB196_14 Depth=1
	v_ffbh_u32_e32 v80, v51
	v_min_u32_e32 v80, 32, v80
	v_subrev_nc_u32_e32 v83, 28, v80
	v_sub_nc_u32_e32 v80, 29, v80
	v_lshlrev_b64 v[83:84], v83, v[51:52]
	v_and_b32_e32 v51, 7, v83
; %bb.80:                               ;   in Loop: Header=BB196_14 Depth=1
	s_or_b32 exec_lo, exec_lo, s52
	v_lshlrev_b32_e32 v82, 24, v82
	v_lshlrev_b32_e32 v51, 20, v51
	v_lshl_add_u32 v80, v80, 23, 0x3c000000
	v_and_b32_e32 v82, 0x80000000, v82
	v_or3_b32 v80, v51, v82, v80
.LBB196_81:                             ;   in Loop: Header=BB196_14 Depth=1
	s_or_b32 exec_lo, exec_lo, s51
.LBB196_82:                             ;   in Loop: Header=BB196_14 Depth=1
	s_or_b32 exec_lo, exec_lo, s50
.LBB196_83:                             ;   in Loop: Header=BB196_14 Depth=1
	s_or_b32 exec_lo, exec_lo, s49
	global_load_ubyte v84, v[57:58], off offset:256
	v_mov_b32_e32 v82, 0
	v_mov_b32_e32 v83, 0
	s_mov_b32 s49, exec_lo
	s_waitcnt vmcnt(0)
	v_cmpx_ne_u16_e32 0, v84
	s_cbranch_execz .LBB196_91
; %bb.84:                               ;   in Loop: Header=BB196_14 Depth=1
	v_bfrev_b32_e32 v83, 1
	s_mov_b32 s50, exec_lo
	v_cmpx_ne_u16_e32 0x80, v84
	s_cbranch_execz .LBB196_90
; %bb.85:                               ;   in Loop: Header=BB196_14 Depth=1
	v_and_b32_sdwa v85, v84, v68 dst_sel:DWORD dst_unused:UNUSED_PAD src0_sel:WORD_0 src1_sel:DWORD
	v_mov_b32_e32 v83, 0x7f800001
	s_mov_b32 s51, exec_lo
	v_cmpx_ne_u32_e32 0x7f, v85
	s_cbranch_execz .LBB196_89
; %bb.86:                               ;   in Loop: Header=BB196_14 Depth=1
	v_and_b32_sdwa v51, v84, v69 dst_sel:DWORD dst_unused:UNUSED_PAD src0_sel:WORD_0 src1_sel:DWORD
	v_lshrrev_b32_e32 v83, 3, v85
	s_mov_b32 s52, exec_lo
	v_cmpx_gt_u32_e32 8, v85
; %bb.87:                               ;   in Loop: Header=BB196_14 Depth=1
	v_ffbh_u32_e32 v83, v51
	v_min_u32_e32 v83, 32, v83
	v_subrev_nc_u32_e32 v85, 28, v83
	v_sub_nc_u32_e32 v83, 29, v83
	v_lshlrev_b64 v[85:86], v85, v[51:52]
	v_and_b32_e32 v51, 7, v85
; %bb.88:                               ;   in Loop: Header=BB196_14 Depth=1
	s_or_b32 exec_lo, exec_lo, s52
	v_lshlrev_b32_e32 v84, 24, v84
	v_lshlrev_b32_e32 v51, 20, v51
	v_lshl_add_u32 v83, v83, 23, 0x3c000000
	v_and_b32_e32 v84, 0x80000000, v84
	v_or3_b32 v83, v51, v84, v83
.LBB196_89:                             ;   in Loop: Header=BB196_14 Depth=1
	s_or_b32 exec_lo, exec_lo, s51
.LBB196_90:                             ;   in Loop: Header=BB196_14 Depth=1
	s_or_b32 exec_lo, exec_lo, s50
.LBB196_91:                             ;   in Loop: Header=BB196_14 Depth=1
	s_or_b32 exec_lo, exec_lo, s49
	global_load_ubyte v84, v[57:58], off offset:260
	s_mov_b32 s49, exec_lo
	s_waitcnt vmcnt(0)
	v_cmpx_ne_u16_e32 0, v84
	s_cbranch_execz .LBB196_99
; %bb.92:                               ;   in Loop: Header=BB196_14 Depth=1
	v_bfrev_b32_e32 v82, 1
	s_mov_b32 s50, exec_lo
	v_cmpx_ne_u16_e32 0x80, v84
	s_cbranch_execz .LBB196_98
; %bb.93:                               ;   in Loop: Header=BB196_14 Depth=1
	v_and_b32_sdwa v85, v84, v68 dst_sel:DWORD dst_unused:UNUSED_PAD src0_sel:WORD_0 src1_sel:DWORD
	v_mov_b32_e32 v82, 0x7f800001
	s_mov_b32 s51, exec_lo
	v_cmpx_ne_u32_e32 0x7f, v85
	s_cbranch_execz .LBB196_97
; %bb.94:                               ;   in Loop: Header=BB196_14 Depth=1
	v_and_b32_sdwa v51, v84, v69 dst_sel:DWORD dst_unused:UNUSED_PAD src0_sel:WORD_0 src1_sel:DWORD
	v_lshrrev_b32_e32 v82, 3, v85
	s_mov_b32 s52, exec_lo
	v_cmpx_gt_u32_e32 8, v85
; %bb.95:                               ;   in Loop: Header=BB196_14 Depth=1
	v_ffbh_u32_e32 v82, v51
	v_min_u32_e32 v82, 32, v82
	v_subrev_nc_u32_e32 v85, 28, v82
	v_sub_nc_u32_e32 v82, 29, v82
	v_lshlrev_b64 v[85:86], v85, v[51:52]
	v_and_b32_e32 v51, 7, v85
; %bb.96:                               ;   in Loop: Header=BB196_14 Depth=1
	s_or_b32 exec_lo, exec_lo, s52
	v_lshlrev_b32_e32 v84, 24, v84
	v_lshlrev_b32_e32 v51, 20, v51
	v_lshl_add_u32 v82, v82, 23, 0x3c000000
	v_and_b32_e32 v84, 0x80000000, v84
	v_or3_b32 v82, v51, v84, v82
.LBB196_97:                             ;   in Loop: Header=BB196_14 Depth=1
	s_or_b32 exec_lo, exec_lo, s51
.LBB196_98:                             ;   in Loop: Header=BB196_14 Depth=1
	s_or_b32 exec_lo, exec_lo, s50
.LBB196_99:                             ;   in Loop: Header=BB196_14 Depth=1
	s_or_b32 exec_lo, exec_lo, s49
	global_load_ubyte v86, v[57:58], off offset:264
	v_mov_b32_e32 v84, 0
	v_mov_b32_e32 v85, 0
	s_mov_b32 s49, exec_lo
	s_waitcnt vmcnt(0)
	v_cmpx_ne_u16_e32 0, v86
	s_cbranch_execz .LBB196_107
; %bb.100:                              ;   in Loop: Header=BB196_14 Depth=1
	v_bfrev_b32_e32 v85, 1
	s_mov_b32 s50, exec_lo
	v_cmpx_ne_u16_e32 0x80, v86
	s_cbranch_execz .LBB196_106
; %bb.101:                              ;   in Loop: Header=BB196_14 Depth=1
	v_and_b32_sdwa v87, v86, v68 dst_sel:DWORD dst_unused:UNUSED_PAD src0_sel:WORD_0 src1_sel:DWORD
	v_mov_b32_e32 v85, 0x7f800001
	s_mov_b32 s51, exec_lo
	v_cmpx_ne_u32_e32 0x7f, v87
	s_cbranch_execz .LBB196_105
; %bb.102:                              ;   in Loop: Header=BB196_14 Depth=1
	v_and_b32_sdwa v51, v86, v69 dst_sel:DWORD dst_unused:UNUSED_PAD src0_sel:WORD_0 src1_sel:DWORD
	v_lshrrev_b32_e32 v85, 3, v87
	s_mov_b32 s52, exec_lo
	v_cmpx_gt_u32_e32 8, v87
; %bb.103:                              ;   in Loop: Header=BB196_14 Depth=1
	v_ffbh_u32_e32 v85, v51
	v_min_u32_e32 v85, 32, v85
	v_subrev_nc_u32_e32 v87, 28, v85
	v_sub_nc_u32_e32 v85, 29, v85
	v_lshlrev_b64 v[87:88], v87, v[51:52]
	v_and_b32_e32 v51, 7, v87
; %bb.104:                              ;   in Loop: Header=BB196_14 Depth=1
	s_or_b32 exec_lo, exec_lo, s52
	v_lshlrev_b32_e32 v86, 24, v86
	v_lshlrev_b32_e32 v51, 20, v51
	v_lshl_add_u32 v85, v85, 23, 0x3c000000
	v_and_b32_e32 v86, 0x80000000, v86
	v_or3_b32 v85, v51, v86, v85
.LBB196_105:                            ;   in Loop: Header=BB196_14 Depth=1
	s_or_b32 exec_lo, exec_lo, s51
.LBB196_106:                            ;   in Loop: Header=BB196_14 Depth=1
	s_or_b32 exec_lo, exec_lo, s50
.LBB196_107:                            ;   in Loop: Header=BB196_14 Depth=1
	s_or_b32 exec_lo, exec_lo, s49
	global_load_ubyte v86, v[57:58], off offset:268
	s_mov_b32 s49, exec_lo
	s_waitcnt vmcnt(0)
	v_cmpx_ne_u16_e32 0, v86
	s_cbranch_execz .LBB196_115
; %bb.108:                              ;   in Loop: Header=BB196_14 Depth=1
	v_bfrev_b32_e32 v84, 1
	s_mov_b32 s50, exec_lo
	v_cmpx_ne_u16_e32 0x80, v86
	s_cbranch_execz .LBB196_114
; %bb.109:                              ;   in Loop: Header=BB196_14 Depth=1
	v_and_b32_sdwa v87, v86, v68 dst_sel:DWORD dst_unused:UNUSED_PAD src0_sel:WORD_0 src1_sel:DWORD
	v_mov_b32_e32 v84, 0x7f800001
	s_mov_b32 s51, exec_lo
	v_cmpx_ne_u32_e32 0x7f, v87
	s_cbranch_execz .LBB196_113
; %bb.110:                              ;   in Loop: Header=BB196_14 Depth=1
	v_and_b32_sdwa v51, v86, v69 dst_sel:DWORD dst_unused:UNUSED_PAD src0_sel:WORD_0 src1_sel:DWORD
	v_lshrrev_b32_e32 v84, 3, v87
	s_mov_b32 s52, exec_lo
	v_cmpx_gt_u32_e32 8, v87
; %bb.111:                              ;   in Loop: Header=BB196_14 Depth=1
	v_ffbh_u32_e32 v84, v51
	v_min_u32_e32 v84, 32, v84
	v_subrev_nc_u32_e32 v87, 28, v84
	v_sub_nc_u32_e32 v84, 29, v84
	v_lshlrev_b64 v[87:88], v87, v[51:52]
	v_and_b32_e32 v51, 7, v87
; %bb.112:                              ;   in Loop: Header=BB196_14 Depth=1
	s_or_b32 exec_lo, exec_lo, s52
	v_lshlrev_b32_e32 v86, 24, v86
	v_lshlrev_b32_e32 v51, 20, v51
	v_lshl_add_u32 v84, v84, 23, 0x3c000000
	v_and_b32_e32 v86, 0x80000000, v86
	v_or3_b32 v84, v51, v86, v84
.LBB196_113:                            ;   in Loop: Header=BB196_14 Depth=1
	s_or_b32 exec_lo, exec_lo, s51
.LBB196_114:                            ;   in Loop: Header=BB196_14 Depth=1
	s_or_b32 exec_lo, exec_lo, s50
.LBB196_115:                            ;   in Loop: Header=BB196_14 Depth=1
	s_or_b32 exec_lo, exec_lo, s49
	global_load_ubyte v88, v[57:58], off offset:384
	v_mov_b32_e32 v86, 0
	v_mov_b32_e32 v87, 0
	s_mov_b32 s49, exec_lo
	s_waitcnt vmcnt(0)
	v_cmpx_ne_u16_e32 0, v88
	s_cbranch_execz .LBB196_123
; %bb.116:                              ;   in Loop: Header=BB196_14 Depth=1
	v_bfrev_b32_e32 v87, 1
	s_mov_b32 s50, exec_lo
	v_cmpx_ne_u16_e32 0x80, v88
	s_cbranch_execz .LBB196_122
; %bb.117:                              ;   in Loop: Header=BB196_14 Depth=1
	v_and_b32_sdwa v89, v88, v68 dst_sel:DWORD dst_unused:UNUSED_PAD src0_sel:WORD_0 src1_sel:DWORD
	v_mov_b32_e32 v87, 0x7f800001
	s_mov_b32 s51, exec_lo
	v_cmpx_ne_u32_e32 0x7f, v89
	s_cbranch_execz .LBB196_121
; %bb.118:                              ;   in Loop: Header=BB196_14 Depth=1
	v_and_b32_sdwa v51, v88, v69 dst_sel:DWORD dst_unused:UNUSED_PAD src0_sel:WORD_0 src1_sel:DWORD
	v_lshrrev_b32_e32 v87, 3, v89
	s_mov_b32 s52, exec_lo
	v_cmpx_gt_u32_e32 8, v89
; %bb.119:                              ;   in Loop: Header=BB196_14 Depth=1
	v_ffbh_u32_e32 v87, v51
	v_min_u32_e32 v87, 32, v87
	v_subrev_nc_u32_e32 v89, 28, v87
	v_sub_nc_u32_e32 v87, 29, v87
	v_lshlrev_b64 v[89:90], v89, v[51:52]
	v_and_b32_e32 v51, 7, v89
; %bb.120:                              ;   in Loop: Header=BB196_14 Depth=1
	s_or_b32 exec_lo, exec_lo, s52
	v_lshlrev_b32_e32 v88, 24, v88
	v_lshlrev_b32_e32 v51, 20, v51
	v_lshl_add_u32 v87, v87, 23, 0x3c000000
	v_and_b32_e32 v88, 0x80000000, v88
	v_or3_b32 v87, v51, v88, v87
.LBB196_121:                            ;   in Loop: Header=BB196_14 Depth=1
	s_or_b32 exec_lo, exec_lo, s51
.LBB196_122:                            ;   in Loop: Header=BB196_14 Depth=1
	s_or_b32 exec_lo, exec_lo, s50
.LBB196_123:                            ;   in Loop: Header=BB196_14 Depth=1
	s_or_b32 exec_lo, exec_lo, s49
	global_load_ubyte v88, v[57:58], off offset:388
	s_mov_b32 s49, exec_lo
	s_waitcnt vmcnt(0)
	v_cmpx_ne_u16_e32 0, v88
	s_cbranch_execz .LBB196_131
; %bb.124:                              ;   in Loop: Header=BB196_14 Depth=1
	v_bfrev_b32_e32 v86, 1
	s_mov_b32 s50, exec_lo
	v_cmpx_ne_u16_e32 0x80, v88
	s_cbranch_execz .LBB196_130
; %bb.125:                              ;   in Loop: Header=BB196_14 Depth=1
	v_and_b32_sdwa v89, v88, v68 dst_sel:DWORD dst_unused:UNUSED_PAD src0_sel:WORD_0 src1_sel:DWORD
	v_mov_b32_e32 v86, 0x7f800001
	s_mov_b32 s51, exec_lo
	v_cmpx_ne_u32_e32 0x7f, v89
	s_cbranch_execz .LBB196_129
; %bb.126:                              ;   in Loop: Header=BB196_14 Depth=1
	v_and_b32_sdwa v51, v88, v69 dst_sel:DWORD dst_unused:UNUSED_PAD src0_sel:WORD_0 src1_sel:DWORD
	v_lshrrev_b32_e32 v86, 3, v89
	s_mov_b32 s52, exec_lo
	v_cmpx_gt_u32_e32 8, v89
; %bb.127:                              ;   in Loop: Header=BB196_14 Depth=1
	v_ffbh_u32_e32 v86, v51
	v_min_u32_e32 v86, 32, v86
	v_subrev_nc_u32_e32 v89, 28, v86
	v_sub_nc_u32_e32 v86, 29, v86
	v_lshlrev_b64 v[89:90], v89, v[51:52]
	v_and_b32_e32 v51, 7, v89
; %bb.128:                              ;   in Loop: Header=BB196_14 Depth=1
	s_or_b32 exec_lo, exec_lo, s52
	v_lshlrev_b32_e32 v88, 24, v88
	v_lshlrev_b32_e32 v51, 20, v51
	v_lshl_add_u32 v86, v86, 23, 0x3c000000
	v_and_b32_e32 v88, 0x80000000, v88
	v_or3_b32 v86, v51, v88, v86
.LBB196_129:                            ;   in Loop: Header=BB196_14 Depth=1
	s_or_b32 exec_lo, exec_lo, s51
.LBB196_130:                            ;   in Loop: Header=BB196_14 Depth=1
	s_or_b32 exec_lo, exec_lo, s50
.LBB196_131:                            ;   in Loop: Header=BB196_14 Depth=1
	s_or_b32 exec_lo, exec_lo, s49
	global_load_ubyte v90, v[57:58], off offset:392
	v_mov_b32_e32 v88, 0
	v_mov_b32_e32 v89, 0
	s_mov_b32 s49, exec_lo
	s_waitcnt vmcnt(0)
	v_cmpx_ne_u16_e32 0, v90
	s_cbranch_execz .LBB196_139
; %bb.132:                              ;   in Loop: Header=BB196_14 Depth=1
	v_bfrev_b32_e32 v89, 1
	s_mov_b32 s50, exec_lo
	v_cmpx_ne_u16_e32 0x80, v90
	s_cbranch_execz .LBB196_138
; %bb.133:                              ;   in Loop: Header=BB196_14 Depth=1
	v_and_b32_sdwa v91, v90, v68 dst_sel:DWORD dst_unused:UNUSED_PAD src0_sel:WORD_0 src1_sel:DWORD
	v_mov_b32_e32 v89, 0x7f800001
	s_mov_b32 s51, exec_lo
	v_cmpx_ne_u32_e32 0x7f, v91
	s_cbranch_execz .LBB196_137
; %bb.134:                              ;   in Loop: Header=BB196_14 Depth=1
	v_and_b32_sdwa v51, v90, v69 dst_sel:DWORD dst_unused:UNUSED_PAD src0_sel:WORD_0 src1_sel:DWORD
	v_lshrrev_b32_e32 v89, 3, v91
	s_mov_b32 s52, exec_lo
	v_cmpx_gt_u32_e32 8, v91
; %bb.135:                              ;   in Loop: Header=BB196_14 Depth=1
	v_ffbh_u32_e32 v89, v51
	v_min_u32_e32 v89, 32, v89
	v_subrev_nc_u32_e32 v91, 28, v89
	v_sub_nc_u32_e32 v89, 29, v89
	v_lshlrev_b64 v[91:92], v91, v[51:52]
	v_and_b32_e32 v51, 7, v91
; %bb.136:                              ;   in Loop: Header=BB196_14 Depth=1
	s_or_b32 exec_lo, exec_lo, s52
	v_lshlrev_b32_e32 v90, 24, v90
	v_lshlrev_b32_e32 v51, 20, v51
	v_lshl_add_u32 v89, v89, 23, 0x3c000000
	v_and_b32_e32 v90, 0x80000000, v90
	v_or3_b32 v89, v51, v90, v89
.LBB196_137:                            ;   in Loop: Header=BB196_14 Depth=1
	s_or_b32 exec_lo, exec_lo, s51
.LBB196_138:                            ;   in Loop: Header=BB196_14 Depth=1
	s_or_b32 exec_lo, exec_lo, s50
.LBB196_139:                            ;   in Loop: Header=BB196_14 Depth=1
	s_or_b32 exec_lo, exec_lo, s49
	global_load_ubyte v90, v[57:58], off offset:396
	s_mov_b32 s49, exec_lo
	s_waitcnt vmcnt(0)
	v_cmpx_ne_u16_e32 0, v90
	s_cbranch_execz .LBB196_147
; %bb.140:                              ;   in Loop: Header=BB196_14 Depth=1
	v_bfrev_b32_e32 v88, 1
	s_mov_b32 s50, exec_lo
	v_cmpx_ne_u16_e32 0x80, v90
	s_cbranch_execz .LBB196_146
; %bb.141:                              ;   in Loop: Header=BB196_14 Depth=1
	v_and_b32_sdwa v91, v90, v68 dst_sel:DWORD dst_unused:UNUSED_PAD src0_sel:WORD_0 src1_sel:DWORD
	v_mov_b32_e32 v88, 0x7f800001
	s_mov_b32 s51, exec_lo
	v_cmpx_ne_u32_e32 0x7f, v91
	s_cbranch_execz .LBB196_145
; %bb.142:                              ;   in Loop: Header=BB196_14 Depth=1
	v_and_b32_sdwa v51, v90, v69 dst_sel:DWORD dst_unused:UNUSED_PAD src0_sel:WORD_0 src1_sel:DWORD
	v_lshrrev_b32_e32 v88, 3, v91
	s_mov_b32 s52, exec_lo
	v_cmpx_gt_u32_e32 8, v91
; %bb.143:                              ;   in Loop: Header=BB196_14 Depth=1
	v_ffbh_u32_e32 v88, v51
	v_min_u32_e32 v88, 32, v88
	v_subrev_nc_u32_e32 v91, 28, v88
	v_sub_nc_u32_e32 v88, 29, v88
	v_lshlrev_b64 v[91:92], v91, v[51:52]
	v_and_b32_e32 v51, 7, v91
; %bb.144:                              ;   in Loop: Header=BB196_14 Depth=1
	s_or_b32 exec_lo, exec_lo, s52
	v_lshlrev_b32_e32 v90, 24, v90
	v_lshlrev_b32_e32 v51, 20, v51
	v_lshl_add_u32 v88, v88, 23, 0x3c000000
	v_and_b32_e32 v90, 0x80000000, v90
	v_or3_b32 v88, v51, v90, v88
.LBB196_145:                            ;   in Loop: Header=BB196_14 Depth=1
	s_or_b32 exec_lo, exec_lo, s51
.LBB196_146:                            ;   in Loop: Header=BB196_14 Depth=1
	s_or_b32 exec_lo, exec_lo, s50
.LBB196_147:                            ;   in Loop: Header=BB196_14 Depth=1
	s_or_b32 exec_lo, exec_lo, s49
	global_load_ubyte v92, v[57:58], off offset:512
	v_mov_b32_e32 v90, 0
	v_mov_b32_e32 v91, 0
	s_mov_b32 s49, exec_lo
	s_waitcnt vmcnt(0)
	v_cmpx_ne_u16_e32 0, v92
	s_cbranch_execz .LBB196_155
; %bb.148:                              ;   in Loop: Header=BB196_14 Depth=1
	v_bfrev_b32_e32 v91, 1
	s_mov_b32 s50, exec_lo
	v_cmpx_ne_u16_e32 0x80, v92
	s_cbranch_execz .LBB196_154
; %bb.149:                              ;   in Loop: Header=BB196_14 Depth=1
	v_and_b32_sdwa v93, v92, v68 dst_sel:DWORD dst_unused:UNUSED_PAD src0_sel:WORD_0 src1_sel:DWORD
	v_mov_b32_e32 v91, 0x7f800001
	s_mov_b32 s51, exec_lo
	v_cmpx_ne_u32_e32 0x7f, v93
	s_cbranch_execz .LBB196_153
; %bb.150:                              ;   in Loop: Header=BB196_14 Depth=1
	v_and_b32_sdwa v51, v92, v69 dst_sel:DWORD dst_unused:UNUSED_PAD src0_sel:WORD_0 src1_sel:DWORD
	v_lshrrev_b32_e32 v91, 3, v93
	s_mov_b32 s52, exec_lo
	v_cmpx_gt_u32_e32 8, v93
; %bb.151:                              ;   in Loop: Header=BB196_14 Depth=1
	v_ffbh_u32_e32 v91, v51
	v_min_u32_e32 v91, 32, v91
	v_subrev_nc_u32_e32 v93, 28, v91
	v_sub_nc_u32_e32 v91, 29, v91
	v_lshlrev_b64 v[93:94], v93, v[51:52]
	v_and_b32_e32 v51, 7, v93
; %bb.152:                              ;   in Loop: Header=BB196_14 Depth=1
	s_or_b32 exec_lo, exec_lo, s52
	v_lshlrev_b32_e32 v92, 24, v92
	v_lshlrev_b32_e32 v51, 20, v51
	v_lshl_add_u32 v91, v91, 23, 0x3c000000
	v_and_b32_e32 v92, 0x80000000, v92
	v_or3_b32 v91, v51, v92, v91
.LBB196_153:                            ;   in Loop: Header=BB196_14 Depth=1
	s_or_b32 exec_lo, exec_lo, s51
.LBB196_154:                            ;   in Loop: Header=BB196_14 Depth=1
	s_or_b32 exec_lo, exec_lo, s50
.LBB196_155:                            ;   in Loop: Header=BB196_14 Depth=1
	s_or_b32 exec_lo, exec_lo, s49
	global_load_ubyte v92, v[57:58], off offset:516
	s_mov_b32 s49, exec_lo
	s_waitcnt vmcnt(0)
	v_cmpx_ne_u16_e32 0, v92
	s_cbranch_execz .LBB196_163
; %bb.156:                              ;   in Loop: Header=BB196_14 Depth=1
	v_bfrev_b32_e32 v90, 1
	s_mov_b32 s50, exec_lo
	v_cmpx_ne_u16_e32 0x80, v92
	s_cbranch_execz .LBB196_162
; %bb.157:                              ;   in Loop: Header=BB196_14 Depth=1
	v_and_b32_sdwa v93, v92, v68 dst_sel:DWORD dst_unused:UNUSED_PAD src0_sel:WORD_0 src1_sel:DWORD
	v_mov_b32_e32 v90, 0x7f800001
	s_mov_b32 s51, exec_lo
	v_cmpx_ne_u32_e32 0x7f, v93
	s_cbranch_execz .LBB196_161
; %bb.158:                              ;   in Loop: Header=BB196_14 Depth=1
	v_and_b32_sdwa v51, v92, v69 dst_sel:DWORD dst_unused:UNUSED_PAD src0_sel:WORD_0 src1_sel:DWORD
	v_lshrrev_b32_e32 v90, 3, v93
	s_mov_b32 s52, exec_lo
	v_cmpx_gt_u32_e32 8, v93
; %bb.159:                              ;   in Loop: Header=BB196_14 Depth=1
	v_ffbh_u32_e32 v90, v51
	v_min_u32_e32 v90, 32, v90
	v_subrev_nc_u32_e32 v93, 28, v90
	v_sub_nc_u32_e32 v90, 29, v90
	v_lshlrev_b64 v[93:94], v93, v[51:52]
	v_and_b32_e32 v51, 7, v93
; %bb.160:                              ;   in Loop: Header=BB196_14 Depth=1
	s_or_b32 exec_lo, exec_lo, s52
	v_lshlrev_b32_e32 v92, 24, v92
	v_lshlrev_b32_e32 v51, 20, v51
	v_lshl_add_u32 v90, v90, 23, 0x3c000000
	v_and_b32_e32 v92, 0x80000000, v92
	v_or3_b32 v90, v51, v92, v90
.LBB196_161:                            ;   in Loop: Header=BB196_14 Depth=1
	s_or_b32 exec_lo, exec_lo, s51
.LBB196_162:                            ;   in Loop: Header=BB196_14 Depth=1
	s_or_b32 exec_lo, exec_lo, s50
.LBB196_163:                            ;   in Loop: Header=BB196_14 Depth=1
	s_or_b32 exec_lo, exec_lo, s49
	global_load_ubyte v94, v[57:58], off offset:520
	v_mov_b32_e32 v92, 0
	v_mov_b32_e32 v93, 0
	s_mov_b32 s49, exec_lo
	s_waitcnt vmcnt(0)
	v_cmpx_ne_u16_e32 0, v94
	s_cbranch_execz .LBB196_171
; %bb.164:                              ;   in Loop: Header=BB196_14 Depth=1
	v_bfrev_b32_e32 v93, 1
	s_mov_b32 s50, exec_lo
	v_cmpx_ne_u16_e32 0x80, v94
	s_cbranch_execz .LBB196_170
; %bb.165:                              ;   in Loop: Header=BB196_14 Depth=1
	v_and_b32_sdwa v95, v94, v68 dst_sel:DWORD dst_unused:UNUSED_PAD src0_sel:WORD_0 src1_sel:DWORD
	v_mov_b32_e32 v93, 0x7f800001
	s_mov_b32 s51, exec_lo
	v_cmpx_ne_u32_e32 0x7f, v95
	s_cbranch_execz .LBB196_169
; %bb.166:                              ;   in Loop: Header=BB196_14 Depth=1
	v_and_b32_sdwa v51, v94, v69 dst_sel:DWORD dst_unused:UNUSED_PAD src0_sel:WORD_0 src1_sel:DWORD
	v_lshrrev_b32_e32 v93, 3, v95
	s_mov_b32 s52, exec_lo
	v_cmpx_gt_u32_e32 8, v95
; %bb.167:                              ;   in Loop: Header=BB196_14 Depth=1
	v_ffbh_u32_e32 v93, v51
	v_min_u32_e32 v93, 32, v93
	v_subrev_nc_u32_e32 v95, 28, v93
	v_sub_nc_u32_e32 v93, 29, v93
	v_lshlrev_b64 v[95:96], v95, v[51:52]
	v_and_b32_e32 v51, 7, v95
; %bb.168:                              ;   in Loop: Header=BB196_14 Depth=1
	s_or_b32 exec_lo, exec_lo, s52
	v_lshlrev_b32_e32 v94, 24, v94
	v_lshlrev_b32_e32 v51, 20, v51
	v_lshl_add_u32 v93, v93, 23, 0x3c000000
	v_and_b32_e32 v94, 0x80000000, v94
	v_or3_b32 v93, v51, v94, v93
.LBB196_169:                            ;   in Loop: Header=BB196_14 Depth=1
	s_or_b32 exec_lo, exec_lo, s51
.LBB196_170:                            ;   in Loop: Header=BB196_14 Depth=1
	s_or_b32 exec_lo, exec_lo, s50
.LBB196_171:                            ;   in Loop: Header=BB196_14 Depth=1
	s_or_b32 exec_lo, exec_lo, s49
	global_load_ubyte v94, v[57:58], off offset:524
	s_mov_b32 s49, exec_lo
	s_waitcnt vmcnt(0)
	v_cmpx_ne_u16_e32 0, v94
	s_cbranch_execz .LBB196_179
; %bb.172:                              ;   in Loop: Header=BB196_14 Depth=1
	v_bfrev_b32_e32 v92, 1
	s_mov_b32 s50, exec_lo
	v_cmpx_ne_u16_e32 0x80, v94
	s_cbranch_execz .LBB196_178
; %bb.173:                              ;   in Loop: Header=BB196_14 Depth=1
	v_and_b32_sdwa v95, v94, v68 dst_sel:DWORD dst_unused:UNUSED_PAD src0_sel:WORD_0 src1_sel:DWORD
	v_mov_b32_e32 v92, 0x7f800001
	s_mov_b32 s51, exec_lo
	v_cmpx_ne_u32_e32 0x7f, v95
	s_cbranch_execz .LBB196_177
; %bb.174:                              ;   in Loop: Header=BB196_14 Depth=1
	v_and_b32_sdwa v51, v94, v69 dst_sel:DWORD dst_unused:UNUSED_PAD src0_sel:WORD_0 src1_sel:DWORD
	v_lshrrev_b32_e32 v92, 3, v95
	s_mov_b32 s52, exec_lo
	v_cmpx_gt_u32_e32 8, v95
; %bb.175:                              ;   in Loop: Header=BB196_14 Depth=1
	v_ffbh_u32_e32 v92, v51
	v_min_u32_e32 v92, 32, v92
	v_subrev_nc_u32_e32 v95, 28, v92
	v_sub_nc_u32_e32 v92, 29, v92
	v_lshlrev_b64 v[95:96], v95, v[51:52]
	v_and_b32_e32 v51, 7, v95
; %bb.176:                              ;   in Loop: Header=BB196_14 Depth=1
	s_or_b32 exec_lo, exec_lo, s52
	v_lshlrev_b32_e32 v94, 24, v94
	v_lshlrev_b32_e32 v51, 20, v51
	v_lshl_add_u32 v92, v92, 23, 0x3c000000
	v_and_b32_e32 v94, 0x80000000, v94
	v_or3_b32 v92, v51, v94, v92
.LBB196_177:                            ;   in Loop: Header=BB196_14 Depth=1
	s_or_b32 exec_lo, exec_lo, s51
.LBB196_178:                            ;   in Loop: Header=BB196_14 Depth=1
	s_or_b32 exec_lo, exec_lo, s50
.LBB196_179:                            ;   in Loop: Header=BB196_14 Depth=1
	s_or_b32 exec_lo, exec_lo, s49
	global_load_ubyte v96, v[57:58], off offset:640
	v_mov_b32_e32 v94, 0
	v_mov_b32_e32 v95, 0
	s_mov_b32 s49, exec_lo
	s_waitcnt vmcnt(0)
	v_cmpx_ne_u16_e32 0, v96
	s_cbranch_execz .LBB196_187
; %bb.180:                              ;   in Loop: Header=BB196_14 Depth=1
	v_bfrev_b32_e32 v95, 1
	s_mov_b32 s50, exec_lo
	v_cmpx_ne_u16_e32 0x80, v96
	s_cbranch_execz .LBB196_186
; %bb.181:                              ;   in Loop: Header=BB196_14 Depth=1
	v_and_b32_sdwa v97, v96, v68 dst_sel:DWORD dst_unused:UNUSED_PAD src0_sel:WORD_0 src1_sel:DWORD
	v_mov_b32_e32 v95, 0x7f800001
	s_mov_b32 s51, exec_lo
	v_cmpx_ne_u32_e32 0x7f, v97
	s_cbranch_execz .LBB196_185
; %bb.182:                              ;   in Loop: Header=BB196_14 Depth=1
	v_and_b32_sdwa v51, v96, v69 dst_sel:DWORD dst_unused:UNUSED_PAD src0_sel:WORD_0 src1_sel:DWORD
	v_lshrrev_b32_e32 v95, 3, v97
	s_mov_b32 s52, exec_lo
	v_cmpx_gt_u32_e32 8, v97
; %bb.183:                              ;   in Loop: Header=BB196_14 Depth=1
	v_ffbh_u32_e32 v95, v51
	v_min_u32_e32 v95, 32, v95
	v_subrev_nc_u32_e32 v97, 28, v95
	v_sub_nc_u32_e32 v95, 29, v95
	v_lshlrev_b64 v[97:98], v97, v[51:52]
	v_and_b32_e32 v51, 7, v97
; %bb.184:                              ;   in Loop: Header=BB196_14 Depth=1
	s_or_b32 exec_lo, exec_lo, s52
	v_lshlrev_b32_e32 v96, 24, v96
	v_lshlrev_b32_e32 v51, 20, v51
	v_lshl_add_u32 v95, v95, 23, 0x3c000000
	v_and_b32_e32 v96, 0x80000000, v96
	v_or3_b32 v95, v51, v96, v95
.LBB196_185:                            ;   in Loop: Header=BB196_14 Depth=1
	s_or_b32 exec_lo, exec_lo, s51
.LBB196_186:                            ;   in Loop: Header=BB196_14 Depth=1
	s_or_b32 exec_lo, exec_lo, s50
.LBB196_187:                            ;   in Loop: Header=BB196_14 Depth=1
	s_or_b32 exec_lo, exec_lo, s49
	global_load_ubyte v96, v[57:58], off offset:644
	s_mov_b32 s49, exec_lo
	s_waitcnt vmcnt(0)
	v_cmpx_ne_u16_e32 0, v96
	s_cbranch_execz .LBB196_195
; %bb.188:                              ;   in Loop: Header=BB196_14 Depth=1
	v_bfrev_b32_e32 v94, 1
	s_mov_b32 s50, exec_lo
	v_cmpx_ne_u16_e32 0x80, v96
	s_cbranch_execz .LBB196_194
; %bb.189:                              ;   in Loop: Header=BB196_14 Depth=1
	v_and_b32_sdwa v97, v96, v68 dst_sel:DWORD dst_unused:UNUSED_PAD src0_sel:WORD_0 src1_sel:DWORD
	v_mov_b32_e32 v94, 0x7f800001
	s_mov_b32 s51, exec_lo
	v_cmpx_ne_u32_e32 0x7f, v97
	s_cbranch_execz .LBB196_193
; %bb.190:                              ;   in Loop: Header=BB196_14 Depth=1
	v_and_b32_sdwa v51, v96, v69 dst_sel:DWORD dst_unused:UNUSED_PAD src0_sel:WORD_0 src1_sel:DWORD
	v_lshrrev_b32_e32 v94, 3, v97
	s_mov_b32 s52, exec_lo
	v_cmpx_gt_u32_e32 8, v97
; %bb.191:                              ;   in Loop: Header=BB196_14 Depth=1
	v_ffbh_u32_e32 v94, v51
	v_min_u32_e32 v94, 32, v94
	v_subrev_nc_u32_e32 v97, 28, v94
	v_sub_nc_u32_e32 v94, 29, v94
	v_lshlrev_b64 v[97:98], v97, v[51:52]
	v_and_b32_e32 v51, 7, v97
; %bb.192:                              ;   in Loop: Header=BB196_14 Depth=1
	s_or_b32 exec_lo, exec_lo, s52
	v_lshlrev_b32_e32 v96, 24, v96
	v_lshlrev_b32_e32 v51, 20, v51
	v_lshl_add_u32 v94, v94, 23, 0x3c000000
	v_and_b32_e32 v96, 0x80000000, v96
	v_or3_b32 v94, v51, v96, v94
.LBB196_193:                            ;   in Loop: Header=BB196_14 Depth=1
	s_or_b32 exec_lo, exec_lo, s51
.LBB196_194:                            ;   in Loop: Header=BB196_14 Depth=1
	s_or_b32 exec_lo, exec_lo, s50
.LBB196_195:                            ;   in Loop: Header=BB196_14 Depth=1
	s_or_b32 exec_lo, exec_lo, s49
	global_load_ubyte v98, v[57:58], off offset:648
	v_mov_b32_e32 v96, 0
	v_mov_b32_e32 v97, 0
	s_mov_b32 s49, exec_lo
	s_waitcnt vmcnt(0)
	v_cmpx_ne_u16_e32 0, v98
	s_cbranch_execz .LBB196_203
; %bb.196:                              ;   in Loop: Header=BB196_14 Depth=1
	v_bfrev_b32_e32 v97, 1
	s_mov_b32 s50, exec_lo
	v_cmpx_ne_u16_e32 0x80, v98
	s_cbranch_execz .LBB196_202
; %bb.197:                              ;   in Loop: Header=BB196_14 Depth=1
	v_and_b32_sdwa v99, v98, v68 dst_sel:DWORD dst_unused:UNUSED_PAD src0_sel:WORD_0 src1_sel:DWORD
	v_mov_b32_e32 v97, 0x7f800001
	s_mov_b32 s51, exec_lo
	v_cmpx_ne_u32_e32 0x7f, v99
	s_cbranch_execz .LBB196_201
; %bb.198:                              ;   in Loop: Header=BB196_14 Depth=1
	v_and_b32_sdwa v51, v98, v69 dst_sel:DWORD dst_unused:UNUSED_PAD src0_sel:WORD_0 src1_sel:DWORD
	v_lshrrev_b32_e32 v97, 3, v99
	s_mov_b32 s52, exec_lo
	v_cmpx_gt_u32_e32 8, v99
; %bb.199:                              ;   in Loop: Header=BB196_14 Depth=1
	v_ffbh_u32_e32 v97, v51
	v_min_u32_e32 v97, 32, v97
	v_subrev_nc_u32_e32 v99, 28, v97
	v_sub_nc_u32_e32 v97, 29, v97
	v_lshlrev_b64 v[99:100], v99, v[51:52]
	v_and_b32_e32 v51, 7, v99
; %bb.200:                              ;   in Loop: Header=BB196_14 Depth=1
	s_or_b32 exec_lo, exec_lo, s52
	v_lshlrev_b32_e32 v98, 24, v98
	v_lshlrev_b32_e32 v51, 20, v51
	v_lshl_add_u32 v97, v97, 23, 0x3c000000
	v_and_b32_e32 v98, 0x80000000, v98
	v_or3_b32 v97, v51, v98, v97
.LBB196_201:                            ;   in Loop: Header=BB196_14 Depth=1
	s_or_b32 exec_lo, exec_lo, s51
.LBB196_202:                            ;   in Loop: Header=BB196_14 Depth=1
	s_or_b32 exec_lo, exec_lo, s50
.LBB196_203:                            ;   in Loop: Header=BB196_14 Depth=1
	s_or_b32 exec_lo, exec_lo, s49
	global_load_ubyte v98, v[57:58], off offset:652
	s_mov_b32 s49, exec_lo
	s_waitcnt vmcnt(0)
	v_cmpx_ne_u16_e32 0, v98
	s_cbranch_execz .LBB196_211
; %bb.204:                              ;   in Loop: Header=BB196_14 Depth=1
	v_bfrev_b32_e32 v96, 1
	s_mov_b32 s50, exec_lo
	v_cmpx_ne_u16_e32 0x80, v98
	s_cbranch_execz .LBB196_210
; %bb.205:                              ;   in Loop: Header=BB196_14 Depth=1
	v_and_b32_sdwa v99, v98, v68 dst_sel:DWORD dst_unused:UNUSED_PAD src0_sel:WORD_0 src1_sel:DWORD
	v_mov_b32_e32 v96, 0x7f800001
	s_mov_b32 s51, exec_lo
	v_cmpx_ne_u32_e32 0x7f, v99
	s_cbranch_execz .LBB196_209
; %bb.206:                              ;   in Loop: Header=BB196_14 Depth=1
	v_and_b32_sdwa v51, v98, v69 dst_sel:DWORD dst_unused:UNUSED_PAD src0_sel:WORD_0 src1_sel:DWORD
	v_lshrrev_b32_e32 v96, 3, v99
	s_mov_b32 s52, exec_lo
	v_cmpx_gt_u32_e32 8, v99
; %bb.207:                              ;   in Loop: Header=BB196_14 Depth=1
	v_ffbh_u32_e32 v96, v51
	v_min_u32_e32 v96, 32, v96
	v_subrev_nc_u32_e32 v99, 28, v96
	v_sub_nc_u32_e32 v96, 29, v96
	v_lshlrev_b64 v[99:100], v99, v[51:52]
	v_and_b32_e32 v51, 7, v99
; %bb.208:                              ;   in Loop: Header=BB196_14 Depth=1
	s_or_b32 exec_lo, exec_lo, s52
	v_lshlrev_b32_e32 v98, 24, v98
	v_lshlrev_b32_e32 v51, 20, v51
	v_lshl_add_u32 v96, v96, 23, 0x3c000000
	v_and_b32_e32 v98, 0x80000000, v98
	v_or3_b32 v96, v51, v98, v96
.LBB196_209:                            ;   in Loop: Header=BB196_14 Depth=1
	s_or_b32 exec_lo, exec_lo, s51
.LBB196_210:                            ;   in Loop: Header=BB196_14 Depth=1
	s_or_b32 exec_lo, exec_lo, s50
.LBB196_211:                            ;   in Loop: Header=BB196_14 Depth=1
	s_or_b32 exec_lo, exec_lo, s49
	global_load_ubyte v100, v[57:58], off offset:768
	v_mov_b32_e32 v98, 0
	v_mov_b32_e32 v99, 0
	s_mov_b32 s49, exec_lo
	s_waitcnt vmcnt(0)
	v_cmpx_ne_u16_e32 0, v100
	s_cbranch_execz .LBB196_219
; %bb.212:                              ;   in Loop: Header=BB196_14 Depth=1
	v_bfrev_b32_e32 v99, 1
	s_mov_b32 s50, exec_lo
	v_cmpx_ne_u16_e32 0x80, v100
	s_cbranch_execz .LBB196_218
; %bb.213:                              ;   in Loop: Header=BB196_14 Depth=1
	v_and_b32_sdwa v101, v100, v68 dst_sel:DWORD dst_unused:UNUSED_PAD src0_sel:WORD_0 src1_sel:DWORD
	v_mov_b32_e32 v99, 0x7f800001
	s_mov_b32 s51, exec_lo
	v_cmpx_ne_u32_e32 0x7f, v101
	s_cbranch_execz .LBB196_217
; %bb.214:                              ;   in Loop: Header=BB196_14 Depth=1
	v_and_b32_sdwa v51, v100, v69 dst_sel:DWORD dst_unused:UNUSED_PAD src0_sel:WORD_0 src1_sel:DWORD
	v_lshrrev_b32_e32 v99, 3, v101
	s_mov_b32 s52, exec_lo
	v_cmpx_gt_u32_e32 8, v101
; %bb.215:                              ;   in Loop: Header=BB196_14 Depth=1
	v_ffbh_u32_e32 v99, v51
	v_min_u32_e32 v99, 32, v99
	v_subrev_nc_u32_e32 v101, 28, v99
	v_sub_nc_u32_e32 v99, 29, v99
	v_lshlrev_b64 v[101:102], v101, v[51:52]
	v_and_b32_e32 v51, 7, v101
; %bb.216:                              ;   in Loop: Header=BB196_14 Depth=1
	s_or_b32 exec_lo, exec_lo, s52
	v_lshlrev_b32_e32 v100, 24, v100
	v_lshlrev_b32_e32 v51, 20, v51
	v_lshl_add_u32 v99, v99, 23, 0x3c000000
	v_and_b32_e32 v100, 0x80000000, v100
	v_or3_b32 v99, v51, v100, v99
.LBB196_217:                            ;   in Loop: Header=BB196_14 Depth=1
	s_or_b32 exec_lo, exec_lo, s51
.LBB196_218:                            ;   in Loop: Header=BB196_14 Depth=1
	s_or_b32 exec_lo, exec_lo, s50
.LBB196_219:                            ;   in Loop: Header=BB196_14 Depth=1
	s_or_b32 exec_lo, exec_lo, s49
	global_load_ubyte v100, v[57:58], off offset:772
	s_mov_b32 s49, exec_lo
	s_waitcnt vmcnt(0)
	v_cmpx_ne_u16_e32 0, v100
	s_cbranch_execz .LBB196_227
; %bb.220:                              ;   in Loop: Header=BB196_14 Depth=1
	v_bfrev_b32_e32 v98, 1
	s_mov_b32 s50, exec_lo
	v_cmpx_ne_u16_e32 0x80, v100
	s_cbranch_execz .LBB196_226
; %bb.221:                              ;   in Loop: Header=BB196_14 Depth=1
	v_and_b32_sdwa v101, v100, v68 dst_sel:DWORD dst_unused:UNUSED_PAD src0_sel:WORD_0 src1_sel:DWORD
	v_mov_b32_e32 v98, 0x7f800001
	s_mov_b32 s51, exec_lo
	v_cmpx_ne_u32_e32 0x7f, v101
	s_cbranch_execz .LBB196_225
; %bb.222:                              ;   in Loop: Header=BB196_14 Depth=1
	v_and_b32_sdwa v51, v100, v69 dst_sel:DWORD dst_unused:UNUSED_PAD src0_sel:WORD_0 src1_sel:DWORD
	v_lshrrev_b32_e32 v98, 3, v101
	s_mov_b32 s52, exec_lo
	v_cmpx_gt_u32_e32 8, v101
; %bb.223:                              ;   in Loop: Header=BB196_14 Depth=1
	v_ffbh_u32_e32 v98, v51
	v_min_u32_e32 v98, 32, v98
	v_subrev_nc_u32_e32 v101, 28, v98
	v_sub_nc_u32_e32 v98, 29, v98
	v_lshlrev_b64 v[101:102], v101, v[51:52]
	v_and_b32_e32 v51, 7, v101
; %bb.224:                              ;   in Loop: Header=BB196_14 Depth=1
	s_or_b32 exec_lo, exec_lo, s52
	v_lshlrev_b32_e32 v100, 24, v100
	v_lshlrev_b32_e32 v51, 20, v51
	v_lshl_add_u32 v98, v98, 23, 0x3c000000
	v_and_b32_e32 v100, 0x80000000, v100
	v_or3_b32 v98, v51, v100, v98
.LBB196_225:                            ;   in Loop: Header=BB196_14 Depth=1
	s_or_b32 exec_lo, exec_lo, s51
.LBB196_226:                            ;   in Loop: Header=BB196_14 Depth=1
	s_or_b32 exec_lo, exec_lo, s50
.LBB196_227:                            ;   in Loop: Header=BB196_14 Depth=1
	s_or_b32 exec_lo, exec_lo, s49
	global_load_ubyte v102, v[57:58], off offset:776
	v_mov_b32_e32 v100, 0
	v_mov_b32_e32 v101, 0
	s_mov_b32 s49, exec_lo
	s_waitcnt vmcnt(0)
	v_cmpx_ne_u16_e32 0, v102
	s_cbranch_execz .LBB196_235
; %bb.228:                              ;   in Loop: Header=BB196_14 Depth=1
	v_bfrev_b32_e32 v101, 1
	s_mov_b32 s50, exec_lo
	v_cmpx_ne_u16_e32 0x80, v102
	s_cbranch_execz .LBB196_234
; %bb.229:                              ;   in Loop: Header=BB196_14 Depth=1
	v_and_b32_sdwa v103, v102, v68 dst_sel:DWORD dst_unused:UNUSED_PAD src0_sel:WORD_0 src1_sel:DWORD
	v_mov_b32_e32 v101, 0x7f800001
	s_mov_b32 s51, exec_lo
	v_cmpx_ne_u32_e32 0x7f, v103
	s_cbranch_execz .LBB196_233
; %bb.230:                              ;   in Loop: Header=BB196_14 Depth=1
	v_and_b32_sdwa v51, v102, v69 dst_sel:DWORD dst_unused:UNUSED_PAD src0_sel:WORD_0 src1_sel:DWORD
	v_lshrrev_b32_e32 v101, 3, v103
	s_mov_b32 s52, exec_lo
	v_cmpx_gt_u32_e32 8, v103
; %bb.231:                              ;   in Loop: Header=BB196_14 Depth=1
	v_ffbh_u32_e32 v101, v51
	v_min_u32_e32 v101, 32, v101
	v_subrev_nc_u32_e32 v103, 28, v101
	v_sub_nc_u32_e32 v101, 29, v101
	v_lshlrev_b64 v[103:104], v103, v[51:52]
	v_and_b32_e32 v51, 7, v103
; %bb.232:                              ;   in Loop: Header=BB196_14 Depth=1
	s_or_b32 exec_lo, exec_lo, s52
	v_lshlrev_b32_e32 v102, 24, v102
	v_lshlrev_b32_e32 v51, 20, v51
	v_lshl_add_u32 v101, v101, 23, 0x3c000000
	v_and_b32_e32 v102, 0x80000000, v102
	v_or3_b32 v101, v51, v102, v101
.LBB196_233:                            ;   in Loop: Header=BB196_14 Depth=1
	s_or_b32 exec_lo, exec_lo, s51
.LBB196_234:                            ;   in Loop: Header=BB196_14 Depth=1
	s_or_b32 exec_lo, exec_lo, s50
.LBB196_235:                            ;   in Loop: Header=BB196_14 Depth=1
	s_or_b32 exec_lo, exec_lo, s49
	global_load_ubyte v102, v[57:58], off offset:780
	s_mov_b32 s49, exec_lo
	s_waitcnt vmcnt(0)
	v_cmpx_ne_u16_e32 0, v102
	s_cbranch_execz .LBB196_243
; %bb.236:                              ;   in Loop: Header=BB196_14 Depth=1
	v_bfrev_b32_e32 v100, 1
	s_mov_b32 s50, exec_lo
	v_cmpx_ne_u16_e32 0x80, v102
	s_cbranch_execz .LBB196_242
; %bb.237:                              ;   in Loop: Header=BB196_14 Depth=1
	v_and_b32_sdwa v103, v102, v68 dst_sel:DWORD dst_unused:UNUSED_PAD src0_sel:WORD_0 src1_sel:DWORD
	v_mov_b32_e32 v100, 0x7f800001
	s_mov_b32 s51, exec_lo
	v_cmpx_ne_u32_e32 0x7f, v103
	s_cbranch_execz .LBB196_241
; %bb.238:                              ;   in Loop: Header=BB196_14 Depth=1
	v_and_b32_sdwa v51, v102, v69 dst_sel:DWORD dst_unused:UNUSED_PAD src0_sel:WORD_0 src1_sel:DWORD
	v_lshrrev_b32_e32 v100, 3, v103
	s_mov_b32 s52, exec_lo
	v_cmpx_gt_u32_e32 8, v103
; %bb.239:                              ;   in Loop: Header=BB196_14 Depth=1
	v_ffbh_u32_e32 v100, v51
	v_min_u32_e32 v100, 32, v100
	v_subrev_nc_u32_e32 v103, 28, v100
	v_sub_nc_u32_e32 v100, 29, v100
	v_lshlrev_b64 v[103:104], v103, v[51:52]
	v_and_b32_e32 v51, 7, v103
; %bb.240:                              ;   in Loop: Header=BB196_14 Depth=1
	s_or_b32 exec_lo, exec_lo, s52
	v_lshlrev_b32_e32 v102, 24, v102
	v_lshlrev_b32_e32 v51, 20, v51
	v_lshl_add_u32 v100, v100, 23, 0x3c000000
	v_and_b32_e32 v102, 0x80000000, v102
	v_or3_b32 v100, v51, v102, v100
.LBB196_241:                            ;   in Loop: Header=BB196_14 Depth=1
	s_or_b32 exec_lo, exec_lo, s51
.LBB196_242:                            ;   in Loop: Header=BB196_14 Depth=1
	s_or_b32 exec_lo, exec_lo, s50
.LBB196_243:                            ;   in Loop: Header=BB196_14 Depth=1
	s_or_b32 exec_lo, exec_lo, s49
	global_load_ubyte v104, v[57:58], off offset:896
	v_mov_b32_e32 v102, 0
	v_mov_b32_e32 v103, 0
	s_mov_b32 s49, exec_lo
	s_waitcnt vmcnt(0)
	v_cmpx_ne_u16_e32 0, v104
	s_cbranch_execz .LBB196_251
; %bb.244:                              ;   in Loop: Header=BB196_14 Depth=1
	v_bfrev_b32_e32 v103, 1
	s_mov_b32 s50, exec_lo
	v_cmpx_ne_u16_e32 0x80, v104
	s_cbranch_execz .LBB196_250
; %bb.245:                              ;   in Loop: Header=BB196_14 Depth=1
	v_and_b32_sdwa v105, v104, v68 dst_sel:DWORD dst_unused:UNUSED_PAD src0_sel:WORD_0 src1_sel:DWORD
	v_mov_b32_e32 v103, 0x7f800001
	s_mov_b32 s51, exec_lo
	v_cmpx_ne_u32_e32 0x7f, v105
	s_cbranch_execz .LBB196_249
; %bb.246:                              ;   in Loop: Header=BB196_14 Depth=1
	v_and_b32_sdwa v51, v104, v69 dst_sel:DWORD dst_unused:UNUSED_PAD src0_sel:WORD_0 src1_sel:DWORD
	v_lshrrev_b32_e32 v103, 3, v105
	s_mov_b32 s52, exec_lo
	v_cmpx_gt_u32_e32 8, v105
; %bb.247:                              ;   in Loop: Header=BB196_14 Depth=1
	v_ffbh_u32_e32 v103, v51
	v_min_u32_e32 v103, 32, v103
	v_subrev_nc_u32_e32 v105, 28, v103
	v_sub_nc_u32_e32 v103, 29, v103
	v_lshlrev_b64 v[105:106], v105, v[51:52]
	v_and_b32_e32 v51, 7, v105
; %bb.248:                              ;   in Loop: Header=BB196_14 Depth=1
	s_or_b32 exec_lo, exec_lo, s52
	v_lshlrev_b32_e32 v104, 24, v104
	v_lshlrev_b32_e32 v51, 20, v51
	v_lshl_add_u32 v103, v103, 23, 0x3c000000
	v_and_b32_e32 v104, 0x80000000, v104
	v_or3_b32 v103, v51, v104, v103
.LBB196_249:                            ;   in Loop: Header=BB196_14 Depth=1
	s_or_b32 exec_lo, exec_lo, s51
.LBB196_250:                            ;   in Loop: Header=BB196_14 Depth=1
	s_or_b32 exec_lo, exec_lo, s50
.LBB196_251:                            ;   in Loop: Header=BB196_14 Depth=1
	s_or_b32 exec_lo, exec_lo, s49
	global_load_ubyte v104, v[57:58], off offset:900
	s_mov_b32 s49, exec_lo
	s_waitcnt vmcnt(0)
	v_cmpx_ne_u16_e32 0, v104
	s_cbranch_execz .LBB196_259
; %bb.252:                              ;   in Loop: Header=BB196_14 Depth=1
	v_bfrev_b32_e32 v102, 1
	s_mov_b32 s50, exec_lo
	v_cmpx_ne_u16_e32 0x80, v104
	s_cbranch_execz .LBB196_258
; %bb.253:                              ;   in Loop: Header=BB196_14 Depth=1
	v_and_b32_sdwa v105, v104, v68 dst_sel:DWORD dst_unused:UNUSED_PAD src0_sel:WORD_0 src1_sel:DWORD
	v_mov_b32_e32 v102, 0x7f800001
	s_mov_b32 s51, exec_lo
	v_cmpx_ne_u32_e32 0x7f, v105
	s_cbranch_execz .LBB196_257
; %bb.254:                              ;   in Loop: Header=BB196_14 Depth=1
	v_and_b32_sdwa v51, v104, v69 dst_sel:DWORD dst_unused:UNUSED_PAD src0_sel:WORD_0 src1_sel:DWORD
	v_lshrrev_b32_e32 v102, 3, v105
	s_mov_b32 s52, exec_lo
	v_cmpx_gt_u32_e32 8, v105
; %bb.255:                              ;   in Loop: Header=BB196_14 Depth=1
	v_ffbh_u32_e32 v102, v51
	v_min_u32_e32 v102, 32, v102
	v_subrev_nc_u32_e32 v105, 28, v102
	v_sub_nc_u32_e32 v102, 29, v102
	v_lshlrev_b64 v[105:106], v105, v[51:52]
	v_and_b32_e32 v51, 7, v105
; %bb.256:                              ;   in Loop: Header=BB196_14 Depth=1
	s_or_b32 exec_lo, exec_lo, s52
	v_lshlrev_b32_e32 v104, 24, v104
	v_lshlrev_b32_e32 v51, 20, v51
	v_lshl_add_u32 v102, v102, 23, 0x3c000000
	v_and_b32_e32 v104, 0x80000000, v104
	v_or3_b32 v102, v51, v104, v102
.LBB196_257:                            ;   in Loop: Header=BB196_14 Depth=1
	s_or_b32 exec_lo, exec_lo, s51
.LBB196_258:                            ;   in Loop: Header=BB196_14 Depth=1
	s_or_b32 exec_lo, exec_lo, s50
.LBB196_259:                            ;   in Loop: Header=BB196_14 Depth=1
	s_or_b32 exec_lo, exec_lo, s49
	global_load_ubyte v106, v[57:58], off offset:904
	v_mov_b32_e32 v104, 0
	v_mov_b32_e32 v105, 0
	s_mov_b32 s49, exec_lo
	s_waitcnt vmcnt(0)
	v_cmpx_ne_u16_e32 0, v106
	s_cbranch_execz .LBB196_267
; %bb.260:                              ;   in Loop: Header=BB196_14 Depth=1
	v_bfrev_b32_e32 v105, 1
	s_mov_b32 s50, exec_lo
	v_cmpx_ne_u16_e32 0x80, v106
	s_cbranch_execz .LBB196_266
; %bb.261:                              ;   in Loop: Header=BB196_14 Depth=1
	v_and_b32_sdwa v107, v106, v68 dst_sel:DWORD dst_unused:UNUSED_PAD src0_sel:WORD_0 src1_sel:DWORD
	v_mov_b32_e32 v105, 0x7f800001
	s_mov_b32 s51, exec_lo
	v_cmpx_ne_u32_e32 0x7f, v107
	s_cbranch_execz .LBB196_265
; %bb.262:                              ;   in Loop: Header=BB196_14 Depth=1
	v_and_b32_sdwa v51, v106, v69 dst_sel:DWORD dst_unused:UNUSED_PAD src0_sel:WORD_0 src1_sel:DWORD
	v_lshrrev_b32_e32 v105, 3, v107
	s_mov_b32 s52, exec_lo
	v_cmpx_gt_u32_e32 8, v107
; %bb.263:                              ;   in Loop: Header=BB196_14 Depth=1
	v_ffbh_u32_e32 v105, v51
	v_min_u32_e32 v105, 32, v105
	v_subrev_nc_u32_e32 v107, 28, v105
	v_sub_nc_u32_e32 v105, 29, v105
	v_lshlrev_b64 v[107:108], v107, v[51:52]
	v_and_b32_e32 v51, 7, v107
; %bb.264:                              ;   in Loop: Header=BB196_14 Depth=1
	s_or_b32 exec_lo, exec_lo, s52
	v_lshlrev_b32_e32 v106, 24, v106
	v_lshlrev_b32_e32 v51, 20, v51
	v_lshl_add_u32 v105, v105, 23, 0x3c000000
	v_and_b32_e32 v106, 0x80000000, v106
	v_or3_b32 v105, v51, v106, v105
.LBB196_265:                            ;   in Loop: Header=BB196_14 Depth=1
	s_or_b32 exec_lo, exec_lo, s51
.LBB196_266:                            ;   in Loop: Header=BB196_14 Depth=1
	s_or_b32 exec_lo, exec_lo, s50
.LBB196_267:                            ;   in Loop: Header=BB196_14 Depth=1
	s_or_b32 exec_lo, exec_lo, s49
	global_load_ubyte v106, v[57:58], off offset:908
	s_mov_b32 s49, exec_lo
	s_waitcnt vmcnt(0)
	v_cmpx_ne_u16_e32 0, v106
	s_cbranch_execz .LBB196_275
; %bb.268:                              ;   in Loop: Header=BB196_14 Depth=1
	v_bfrev_b32_e32 v104, 1
	s_mov_b32 s50, exec_lo
	v_cmpx_ne_u16_e32 0x80, v106
	s_cbranch_execz .LBB196_274
; %bb.269:                              ;   in Loop: Header=BB196_14 Depth=1
	v_and_b32_sdwa v107, v106, v68 dst_sel:DWORD dst_unused:UNUSED_PAD src0_sel:WORD_0 src1_sel:DWORD
	v_mov_b32_e32 v104, 0x7f800001
	s_mov_b32 s51, exec_lo
	v_cmpx_ne_u32_e32 0x7f, v107
	s_cbranch_execz .LBB196_273
; %bb.270:                              ;   in Loop: Header=BB196_14 Depth=1
	v_and_b32_sdwa v51, v106, v69 dst_sel:DWORD dst_unused:UNUSED_PAD src0_sel:WORD_0 src1_sel:DWORD
	v_lshrrev_b32_e32 v104, 3, v107
	s_mov_b32 s52, exec_lo
	v_cmpx_gt_u32_e32 8, v107
; %bb.271:                              ;   in Loop: Header=BB196_14 Depth=1
	v_ffbh_u32_e32 v104, v51
	v_min_u32_e32 v104, 32, v104
	v_subrev_nc_u32_e32 v107, 28, v104
	v_sub_nc_u32_e32 v104, 29, v104
	v_lshlrev_b64 v[107:108], v107, v[51:52]
	v_and_b32_e32 v51, 7, v107
; %bb.272:                              ;   in Loop: Header=BB196_14 Depth=1
	s_or_b32 exec_lo, exec_lo, s52
	v_lshlrev_b32_e32 v106, 24, v106
	v_lshlrev_b32_e32 v51, 20, v51
	v_lshl_add_u32 v104, v104, 23, 0x3c000000
	v_and_b32_e32 v106, 0x80000000, v106
	v_or3_b32 v104, v51, v106, v104
.LBB196_273:                            ;   in Loop: Header=BB196_14 Depth=1
	s_or_b32 exec_lo, exec_lo, s51
.LBB196_274:                            ;   in Loop: Header=BB196_14 Depth=1
	s_or_b32 exec_lo, exec_lo, s50
.LBB196_275:                            ;   in Loop: Header=BB196_14 Depth=1
	s_or_b32 exec_lo, exec_lo, s49
	global_load_ubyte v108, v[57:58], off offset:1024
	v_mov_b32_e32 v106, 0
	v_mov_b32_e32 v107, 0
	s_mov_b32 s49, exec_lo
	s_waitcnt vmcnt(0)
	v_cmpx_ne_u16_e32 0, v108
	s_cbranch_execz .LBB196_283
; %bb.276:                              ;   in Loop: Header=BB196_14 Depth=1
	v_bfrev_b32_e32 v107, 1
	s_mov_b32 s50, exec_lo
	v_cmpx_ne_u16_e32 0x80, v108
	s_cbranch_execz .LBB196_282
; %bb.277:                              ;   in Loop: Header=BB196_14 Depth=1
	v_and_b32_sdwa v109, v108, v68 dst_sel:DWORD dst_unused:UNUSED_PAD src0_sel:WORD_0 src1_sel:DWORD
	v_mov_b32_e32 v107, 0x7f800001
	s_mov_b32 s51, exec_lo
	v_cmpx_ne_u32_e32 0x7f, v109
	s_cbranch_execz .LBB196_281
; %bb.278:                              ;   in Loop: Header=BB196_14 Depth=1
	v_and_b32_sdwa v51, v108, v69 dst_sel:DWORD dst_unused:UNUSED_PAD src0_sel:WORD_0 src1_sel:DWORD
	v_lshrrev_b32_e32 v107, 3, v109
	s_mov_b32 s52, exec_lo
	v_cmpx_gt_u32_e32 8, v109
; %bb.279:                              ;   in Loop: Header=BB196_14 Depth=1
	v_ffbh_u32_e32 v107, v51
	v_min_u32_e32 v107, 32, v107
	v_subrev_nc_u32_e32 v109, 28, v107
	v_sub_nc_u32_e32 v107, 29, v107
	v_lshlrev_b64 v[109:110], v109, v[51:52]
	v_and_b32_e32 v51, 7, v109
; %bb.280:                              ;   in Loop: Header=BB196_14 Depth=1
	s_or_b32 exec_lo, exec_lo, s52
	v_lshlrev_b32_e32 v108, 24, v108
	v_lshlrev_b32_e32 v51, 20, v51
	v_lshl_add_u32 v107, v107, 23, 0x3c000000
	v_and_b32_e32 v108, 0x80000000, v108
	v_or3_b32 v107, v51, v108, v107
.LBB196_281:                            ;   in Loop: Header=BB196_14 Depth=1
	s_or_b32 exec_lo, exec_lo, s51
.LBB196_282:                            ;   in Loop: Header=BB196_14 Depth=1
	s_or_b32 exec_lo, exec_lo, s50
.LBB196_283:                            ;   in Loop: Header=BB196_14 Depth=1
	s_or_b32 exec_lo, exec_lo, s49
	global_load_ubyte v108, v[57:58], off offset:1028
	s_mov_b32 s49, exec_lo
	s_waitcnt vmcnt(0)
	v_cmpx_ne_u16_e32 0, v108
	s_cbranch_execz .LBB196_291
; %bb.284:                              ;   in Loop: Header=BB196_14 Depth=1
	v_bfrev_b32_e32 v106, 1
	s_mov_b32 s50, exec_lo
	v_cmpx_ne_u16_e32 0x80, v108
	s_cbranch_execz .LBB196_290
; %bb.285:                              ;   in Loop: Header=BB196_14 Depth=1
	v_and_b32_sdwa v109, v108, v68 dst_sel:DWORD dst_unused:UNUSED_PAD src0_sel:WORD_0 src1_sel:DWORD
	v_mov_b32_e32 v106, 0x7f800001
	s_mov_b32 s51, exec_lo
	v_cmpx_ne_u32_e32 0x7f, v109
	s_cbranch_execz .LBB196_289
; %bb.286:                              ;   in Loop: Header=BB196_14 Depth=1
	v_and_b32_sdwa v51, v108, v69 dst_sel:DWORD dst_unused:UNUSED_PAD src0_sel:WORD_0 src1_sel:DWORD
	v_lshrrev_b32_e32 v106, 3, v109
	s_mov_b32 s52, exec_lo
	v_cmpx_gt_u32_e32 8, v109
; %bb.287:                              ;   in Loop: Header=BB196_14 Depth=1
	v_ffbh_u32_e32 v106, v51
	v_min_u32_e32 v106, 32, v106
	v_subrev_nc_u32_e32 v109, 28, v106
	v_sub_nc_u32_e32 v106, 29, v106
	v_lshlrev_b64 v[109:110], v109, v[51:52]
	v_and_b32_e32 v51, 7, v109
; %bb.288:                              ;   in Loop: Header=BB196_14 Depth=1
	s_or_b32 exec_lo, exec_lo, s52
	v_lshlrev_b32_e32 v108, 24, v108
	v_lshlrev_b32_e32 v51, 20, v51
	v_lshl_add_u32 v106, v106, 23, 0x3c000000
	v_and_b32_e32 v108, 0x80000000, v108
	v_or3_b32 v106, v51, v108, v106
.LBB196_289:                            ;   in Loop: Header=BB196_14 Depth=1
	s_or_b32 exec_lo, exec_lo, s51
.LBB196_290:                            ;   in Loop: Header=BB196_14 Depth=1
	s_or_b32 exec_lo, exec_lo, s50
.LBB196_291:                            ;   in Loop: Header=BB196_14 Depth=1
	s_or_b32 exec_lo, exec_lo, s49
	global_load_ubyte v110, v[57:58], off offset:1032
	v_mov_b32_e32 v108, 0
	v_mov_b32_e32 v109, 0
	s_mov_b32 s49, exec_lo
	s_waitcnt vmcnt(0)
	v_cmpx_ne_u16_e32 0, v110
	s_cbranch_execz .LBB196_299
; %bb.292:                              ;   in Loop: Header=BB196_14 Depth=1
	v_bfrev_b32_e32 v109, 1
	s_mov_b32 s50, exec_lo
	v_cmpx_ne_u16_e32 0x80, v110
	s_cbranch_execz .LBB196_298
; %bb.293:                              ;   in Loop: Header=BB196_14 Depth=1
	v_and_b32_sdwa v111, v110, v68 dst_sel:DWORD dst_unused:UNUSED_PAD src0_sel:WORD_0 src1_sel:DWORD
	v_mov_b32_e32 v109, 0x7f800001
	s_mov_b32 s51, exec_lo
	v_cmpx_ne_u32_e32 0x7f, v111
	s_cbranch_execz .LBB196_297
; %bb.294:                              ;   in Loop: Header=BB196_14 Depth=1
	v_and_b32_sdwa v51, v110, v69 dst_sel:DWORD dst_unused:UNUSED_PAD src0_sel:WORD_0 src1_sel:DWORD
	v_lshrrev_b32_e32 v109, 3, v111
	s_mov_b32 s52, exec_lo
	v_cmpx_gt_u32_e32 8, v111
; %bb.295:                              ;   in Loop: Header=BB196_14 Depth=1
	v_ffbh_u32_e32 v109, v51
	v_min_u32_e32 v109, 32, v109
	v_subrev_nc_u32_e32 v111, 28, v109
	v_sub_nc_u32_e32 v109, 29, v109
	v_lshlrev_b64 v[111:112], v111, v[51:52]
	v_and_b32_e32 v51, 7, v111
; %bb.296:                              ;   in Loop: Header=BB196_14 Depth=1
	s_or_b32 exec_lo, exec_lo, s52
	v_lshlrev_b32_e32 v110, 24, v110
	v_lshlrev_b32_e32 v51, 20, v51
	v_lshl_add_u32 v109, v109, 23, 0x3c000000
	v_and_b32_e32 v110, 0x80000000, v110
	v_or3_b32 v109, v51, v110, v109
.LBB196_297:                            ;   in Loop: Header=BB196_14 Depth=1
	s_or_b32 exec_lo, exec_lo, s51
.LBB196_298:                            ;   in Loop: Header=BB196_14 Depth=1
	s_or_b32 exec_lo, exec_lo, s50
.LBB196_299:                            ;   in Loop: Header=BB196_14 Depth=1
	s_or_b32 exec_lo, exec_lo, s49
	global_load_ubyte v110, v[57:58], off offset:1036
	s_mov_b32 s49, exec_lo
	s_waitcnt vmcnt(0)
	v_cmpx_ne_u16_e32 0, v110
	s_cbranch_execz .LBB196_307
; %bb.300:                              ;   in Loop: Header=BB196_14 Depth=1
	v_bfrev_b32_e32 v108, 1
	s_mov_b32 s50, exec_lo
	v_cmpx_ne_u16_e32 0x80, v110
	s_cbranch_execz .LBB196_306
; %bb.301:                              ;   in Loop: Header=BB196_14 Depth=1
	v_and_b32_sdwa v111, v110, v68 dst_sel:DWORD dst_unused:UNUSED_PAD src0_sel:WORD_0 src1_sel:DWORD
	v_mov_b32_e32 v108, 0x7f800001
	s_mov_b32 s51, exec_lo
	v_cmpx_ne_u32_e32 0x7f, v111
	s_cbranch_execz .LBB196_305
; %bb.302:                              ;   in Loop: Header=BB196_14 Depth=1
	v_and_b32_sdwa v51, v110, v69 dst_sel:DWORD dst_unused:UNUSED_PAD src0_sel:WORD_0 src1_sel:DWORD
	v_lshrrev_b32_e32 v108, 3, v111
	s_mov_b32 s52, exec_lo
	v_cmpx_gt_u32_e32 8, v111
; %bb.303:                              ;   in Loop: Header=BB196_14 Depth=1
	v_ffbh_u32_e32 v108, v51
	v_min_u32_e32 v108, 32, v108
	v_subrev_nc_u32_e32 v111, 28, v108
	v_sub_nc_u32_e32 v108, 29, v108
	v_lshlrev_b64 v[111:112], v111, v[51:52]
	v_and_b32_e32 v51, 7, v111
; %bb.304:                              ;   in Loop: Header=BB196_14 Depth=1
	s_or_b32 exec_lo, exec_lo, s52
	v_lshlrev_b32_e32 v110, 24, v110
	v_lshlrev_b32_e32 v51, 20, v51
	v_lshl_add_u32 v108, v108, 23, 0x3c000000
	v_and_b32_e32 v110, 0x80000000, v110
	v_or3_b32 v108, v51, v110, v108
.LBB196_305:                            ;   in Loop: Header=BB196_14 Depth=1
	s_or_b32 exec_lo, exec_lo, s51
.LBB196_306:                            ;   in Loop: Header=BB196_14 Depth=1
	s_or_b32 exec_lo, exec_lo, s50
.LBB196_307:                            ;   in Loop: Header=BB196_14 Depth=1
	s_or_b32 exec_lo, exec_lo, s49
	global_load_ubyte v112, v[57:58], off offset:1152
	v_mov_b32_e32 v110, 0
	v_mov_b32_e32 v111, 0
	s_mov_b32 s49, exec_lo
	s_waitcnt vmcnt(0)
	v_cmpx_ne_u16_e32 0, v112
	s_cbranch_execz .LBB196_315
; %bb.308:                              ;   in Loop: Header=BB196_14 Depth=1
	v_bfrev_b32_e32 v111, 1
	s_mov_b32 s50, exec_lo
	v_cmpx_ne_u16_e32 0x80, v112
	s_cbranch_execz .LBB196_314
; %bb.309:                              ;   in Loop: Header=BB196_14 Depth=1
	v_and_b32_sdwa v113, v112, v68 dst_sel:DWORD dst_unused:UNUSED_PAD src0_sel:WORD_0 src1_sel:DWORD
	v_mov_b32_e32 v111, 0x7f800001
	s_mov_b32 s51, exec_lo
	v_cmpx_ne_u32_e32 0x7f, v113
	s_cbranch_execz .LBB196_313
; %bb.310:                              ;   in Loop: Header=BB196_14 Depth=1
	v_and_b32_sdwa v51, v112, v69 dst_sel:DWORD dst_unused:UNUSED_PAD src0_sel:WORD_0 src1_sel:DWORD
	v_lshrrev_b32_e32 v111, 3, v113
	s_mov_b32 s52, exec_lo
	v_cmpx_gt_u32_e32 8, v113
; %bb.311:                              ;   in Loop: Header=BB196_14 Depth=1
	v_ffbh_u32_e32 v111, v51
	v_min_u32_e32 v111, 32, v111
	v_subrev_nc_u32_e32 v113, 28, v111
	v_sub_nc_u32_e32 v111, 29, v111
	v_lshlrev_b64 v[113:114], v113, v[51:52]
	v_and_b32_e32 v51, 7, v113
; %bb.312:                              ;   in Loop: Header=BB196_14 Depth=1
	s_or_b32 exec_lo, exec_lo, s52
	v_lshlrev_b32_e32 v112, 24, v112
	v_lshlrev_b32_e32 v51, 20, v51
	v_lshl_add_u32 v111, v111, 23, 0x3c000000
	v_and_b32_e32 v112, 0x80000000, v112
	v_or3_b32 v111, v51, v112, v111
.LBB196_313:                            ;   in Loop: Header=BB196_14 Depth=1
	s_or_b32 exec_lo, exec_lo, s51
.LBB196_314:                            ;   in Loop: Header=BB196_14 Depth=1
	s_or_b32 exec_lo, exec_lo, s50
.LBB196_315:                            ;   in Loop: Header=BB196_14 Depth=1
	s_or_b32 exec_lo, exec_lo, s49
	global_load_ubyte v112, v[57:58], off offset:1156
	s_mov_b32 s49, exec_lo
	s_waitcnt vmcnt(0)
	v_cmpx_ne_u16_e32 0, v112
	s_cbranch_execz .LBB196_323
; %bb.316:                              ;   in Loop: Header=BB196_14 Depth=1
	v_bfrev_b32_e32 v110, 1
	s_mov_b32 s50, exec_lo
	v_cmpx_ne_u16_e32 0x80, v112
	s_cbranch_execz .LBB196_322
; %bb.317:                              ;   in Loop: Header=BB196_14 Depth=1
	v_and_b32_sdwa v113, v112, v68 dst_sel:DWORD dst_unused:UNUSED_PAD src0_sel:WORD_0 src1_sel:DWORD
	v_mov_b32_e32 v110, 0x7f800001
	s_mov_b32 s51, exec_lo
	v_cmpx_ne_u32_e32 0x7f, v113
	s_cbranch_execz .LBB196_321
; %bb.318:                              ;   in Loop: Header=BB196_14 Depth=1
	v_and_b32_sdwa v51, v112, v69 dst_sel:DWORD dst_unused:UNUSED_PAD src0_sel:WORD_0 src1_sel:DWORD
	v_lshrrev_b32_e32 v110, 3, v113
	s_mov_b32 s52, exec_lo
	v_cmpx_gt_u32_e32 8, v113
; %bb.319:                              ;   in Loop: Header=BB196_14 Depth=1
	v_ffbh_u32_e32 v110, v51
	v_min_u32_e32 v110, 32, v110
	v_subrev_nc_u32_e32 v113, 28, v110
	v_sub_nc_u32_e32 v110, 29, v110
	v_lshlrev_b64 v[113:114], v113, v[51:52]
	v_and_b32_e32 v51, 7, v113
; %bb.320:                              ;   in Loop: Header=BB196_14 Depth=1
	s_or_b32 exec_lo, exec_lo, s52
	v_lshlrev_b32_e32 v112, 24, v112
	v_lshlrev_b32_e32 v51, 20, v51
	v_lshl_add_u32 v110, v110, 23, 0x3c000000
	v_and_b32_e32 v112, 0x80000000, v112
	v_or3_b32 v110, v51, v112, v110
.LBB196_321:                            ;   in Loop: Header=BB196_14 Depth=1
	s_or_b32 exec_lo, exec_lo, s51
.LBB196_322:                            ;   in Loop: Header=BB196_14 Depth=1
	s_or_b32 exec_lo, exec_lo, s50
.LBB196_323:                            ;   in Loop: Header=BB196_14 Depth=1
	s_or_b32 exec_lo, exec_lo, s49
	global_load_ubyte v114, v[57:58], off offset:1160
	v_mov_b32_e32 v112, 0
	v_mov_b32_e32 v113, 0
	s_mov_b32 s49, exec_lo
	s_waitcnt vmcnt(0)
	v_cmpx_ne_u16_e32 0, v114
	s_cbranch_execz .LBB196_331
; %bb.324:                              ;   in Loop: Header=BB196_14 Depth=1
	v_bfrev_b32_e32 v113, 1
	s_mov_b32 s50, exec_lo
	v_cmpx_ne_u16_e32 0x80, v114
	s_cbranch_execz .LBB196_330
; %bb.325:                              ;   in Loop: Header=BB196_14 Depth=1
	v_and_b32_sdwa v115, v114, v68 dst_sel:DWORD dst_unused:UNUSED_PAD src0_sel:WORD_0 src1_sel:DWORD
	v_mov_b32_e32 v113, 0x7f800001
	s_mov_b32 s51, exec_lo
	v_cmpx_ne_u32_e32 0x7f, v115
	s_cbranch_execz .LBB196_329
; %bb.326:                              ;   in Loop: Header=BB196_14 Depth=1
	v_and_b32_sdwa v51, v114, v69 dst_sel:DWORD dst_unused:UNUSED_PAD src0_sel:WORD_0 src1_sel:DWORD
	v_lshrrev_b32_e32 v113, 3, v115
	s_mov_b32 s52, exec_lo
	v_cmpx_gt_u32_e32 8, v115
; %bb.327:                              ;   in Loop: Header=BB196_14 Depth=1
	v_ffbh_u32_e32 v113, v51
	v_min_u32_e32 v113, 32, v113
	v_subrev_nc_u32_e32 v115, 28, v113
	v_sub_nc_u32_e32 v113, 29, v113
	v_lshlrev_b64 v[115:116], v115, v[51:52]
	v_and_b32_e32 v51, 7, v115
; %bb.328:                              ;   in Loop: Header=BB196_14 Depth=1
	s_or_b32 exec_lo, exec_lo, s52
	v_lshlrev_b32_e32 v114, 24, v114
	v_lshlrev_b32_e32 v51, 20, v51
	v_lshl_add_u32 v113, v113, 23, 0x3c000000
	v_and_b32_e32 v114, 0x80000000, v114
	v_or3_b32 v113, v51, v114, v113
.LBB196_329:                            ;   in Loop: Header=BB196_14 Depth=1
	s_or_b32 exec_lo, exec_lo, s51
.LBB196_330:                            ;   in Loop: Header=BB196_14 Depth=1
	s_or_b32 exec_lo, exec_lo, s50
.LBB196_331:                            ;   in Loop: Header=BB196_14 Depth=1
	s_or_b32 exec_lo, exec_lo, s49
	global_load_ubyte v114, v[57:58], off offset:1164
	s_mov_b32 s49, exec_lo
	s_waitcnt vmcnt(0)
	v_cmpx_ne_u16_e32 0, v114
	s_cbranch_execz .LBB196_339
; %bb.332:                              ;   in Loop: Header=BB196_14 Depth=1
	v_bfrev_b32_e32 v112, 1
	s_mov_b32 s50, exec_lo
	v_cmpx_ne_u16_e32 0x80, v114
	s_cbranch_execz .LBB196_338
; %bb.333:                              ;   in Loop: Header=BB196_14 Depth=1
	v_and_b32_sdwa v115, v114, v68 dst_sel:DWORD dst_unused:UNUSED_PAD src0_sel:WORD_0 src1_sel:DWORD
	v_mov_b32_e32 v112, 0x7f800001
	s_mov_b32 s51, exec_lo
	v_cmpx_ne_u32_e32 0x7f, v115
	s_cbranch_execz .LBB196_337
; %bb.334:                              ;   in Loop: Header=BB196_14 Depth=1
	v_and_b32_sdwa v51, v114, v69 dst_sel:DWORD dst_unused:UNUSED_PAD src0_sel:WORD_0 src1_sel:DWORD
	v_lshrrev_b32_e32 v112, 3, v115
	s_mov_b32 s52, exec_lo
	v_cmpx_gt_u32_e32 8, v115
; %bb.335:                              ;   in Loop: Header=BB196_14 Depth=1
	v_ffbh_u32_e32 v112, v51
	v_min_u32_e32 v112, 32, v112
	v_subrev_nc_u32_e32 v115, 28, v112
	v_sub_nc_u32_e32 v112, 29, v112
	v_lshlrev_b64 v[115:116], v115, v[51:52]
	v_and_b32_e32 v51, 7, v115
; %bb.336:                              ;   in Loop: Header=BB196_14 Depth=1
	s_or_b32 exec_lo, exec_lo, s52
	v_lshlrev_b32_e32 v114, 24, v114
	v_lshlrev_b32_e32 v51, 20, v51
	v_lshl_add_u32 v112, v112, 23, 0x3c000000
	v_and_b32_e32 v114, 0x80000000, v114
	v_or3_b32 v112, v51, v114, v112
.LBB196_337:                            ;   in Loop: Header=BB196_14 Depth=1
	s_or_b32 exec_lo, exec_lo, s51
.LBB196_338:                            ;   in Loop: Header=BB196_14 Depth=1
	s_or_b32 exec_lo, exec_lo, s50
.LBB196_339:                            ;   in Loop: Header=BB196_14 Depth=1
	s_or_b32 exec_lo, exec_lo, s49
	global_load_ubyte v116, v[57:58], off offset:1280
	v_mov_b32_e32 v114, 0
	v_mov_b32_e32 v115, 0
	s_mov_b32 s49, exec_lo
	s_waitcnt vmcnt(0)
	v_cmpx_ne_u16_e32 0, v116
	s_cbranch_execz .LBB196_347
; %bb.340:                              ;   in Loop: Header=BB196_14 Depth=1
	v_bfrev_b32_e32 v115, 1
	s_mov_b32 s50, exec_lo
	v_cmpx_ne_u16_e32 0x80, v116
	s_cbranch_execz .LBB196_346
; %bb.341:                              ;   in Loop: Header=BB196_14 Depth=1
	v_and_b32_sdwa v117, v116, v68 dst_sel:DWORD dst_unused:UNUSED_PAD src0_sel:WORD_0 src1_sel:DWORD
	v_mov_b32_e32 v115, 0x7f800001
	s_mov_b32 s51, exec_lo
	v_cmpx_ne_u32_e32 0x7f, v117
	s_cbranch_execz .LBB196_345
; %bb.342:                              ;   in Loop: Header=BB196_14 Depth=1
	v_and_b32_sdwa v51, v116, v69 dst_sel:DWORD dst_unused:UNUSED_PAD src0_sel:WORD_0 src1_sel:DWORD
	v_lshrrev_b32_e32 v115, 3, v117
	s_mov_b32 s52, exec_lo
	v_cmpx_gt_u32_e32 8, v117
; %bb.343:                              ;   in Loop: Header=BB196_14 Depth=1
	v_ffbh_u32_e32 v115, v51
	v_min_u32_e32 v115, 32, v115
	v_subrev_nc_u32_e32 v117, 28, v115
	v_sub_nc_u32_e32 v115, 29, v115
	v_lshlrev_b64 v[117:118], v117, v[51:52]
	v_and_b32_e32 v51, 7, v117
; %bb.344:                              ;   in Loop: Header=BB196_14 Depth=1
	s_or_b32 exec_lo, exec_lo, s52
	v_lshlrev_b32_e32 v116, 24, v116
	v_lshlrev_b32_e32 v51, 20, v51
	v_lshl_add_u32 v115, v115, 23, 0x3c000000
	v_and_b32_e32 v116, 0x80000000, v116
	v_or3_b32 v115, v51, v116, v115
.LBB196_345:                            ;   in Loop: Header=BB196_14 Depth=1
	s_or_b32 exec_lo, exec_lo, s51
.LBB196_346:                            ;   in Loop: Header=BB196_14 Depth=1
	s_or_b32 exec_lo, exec_lo, s50
.LBB196_347:                            ;   in Loop: Header=BB196_14 Depth=1
	s_or_b32 exec_lo, exec_lo, s49
	global_load_ubyte v116, v[57:58], off offset:1284
	s_mov_b32 s49, exec_lo
	s_waitcnt vmcnt(0)
	v_cmpx_ne_u16_e32 0, v116
	s_cbranch_execz .LBB196_355
; %bb.348:                              ;   in Loop: Header=BB196_14 Depth=1
	v_bfrev_b32_e32 v114, 1
	s_mov_b32 s50, exec_lo
	v_cmpx_ne_u16_e32 0x80, v116
	s_cbranch_execz .LBB196_354
; %bb.349:                              ;   in Loop: Header=BB196_14 Depth=1
	v_and_b32_sdwa v117, v116, v68 dst_sel:DWORD dst_unused:UNUSED_PAD src0_sel:WORD_0 src1_sel:DWORD
	v_mov_b32_e32 v114, 0x7f800001
	s_mov_b32 s51, exec_lo
	v_cmpx_ne_u32_e32 0x7f, v117
	s_cbranch_execz .LBB196_353
; %bb.350:                              ;   in Loop: Header=BB196_14 Depth=1
	v_and_b32_sdwa v51, v116, v69 dst_sel:DWORD dst_unused:UNUSED_PAD src0_sel:WORD_0 src1_sel:DWORD
	v_lshrrev_b32_e32 v114, 3, v117
	s_mov_b32 s52, exec_lo
	v_cmpx_gt_u32_e32 8, v117
; %bb.351:                              ;   in Loop: Header=BB196_14 Depth=1
	v_ffbh_u32_e32 v114, v51
	v_min_u32_e32 v114, 32, v114
	v_subrev_nc_u32_e32 v117, 28, v114
	v_sub_nc_u32_e32 v114, 29, v114
	v_lshlrev_b64 v[117:118], v117, v[51:52]
	v_and_b32_e32 v51, 7, v117
; %bb.352:                              ;   in Loop: Header=BB196_14 Depth=1
	s_or_b32 exec_lo, exec_lo, s52
	v_lshlrev_b32_e32 v116, 24, v116
	v_lshlrev_b32_e32 v51, 20, v51
	v_lshl_add_u32 v114, v114, 23, 0x3c000000
	v_and_b32_e32 v116, 0x80000000, v116
	v_or3_b32 v114, v51, v116, v114
.LBB196_353:                            ;   in Loop: Header=BB196_14 Depth=1
	s_or_b32 exec_lo, exec_lo, s51
.LBB196_354:                            ;   in Loop: Header=BB196_14 Depth=1
	s_or_b32 exec_lo, exec_lo, s50
.LBB196_355:                            ;   in Loop: Header=BB196_14 Depth=1
	s_or_b32 exec_lo, exec_lo, s49
	global_load_ubyte v118, v[57:58], off offset:1288
	v_mov_b32_e32 v116, 0
	v_mov_b32_e32 v117, 0
	s_mov_b32 s49, exec_lo
	s_waitcnt vmcnt(0)
	v_cmpx_ne_u16_e32 0, v118
	s_cbranch_execz .LBB196_363
; %bb.356:                              ;   in Loop: Header=BB196_14 Depth=1
	v_bfrev_b32_e32 v117, 1
	s_mov_b32 s50, exec_lo
	v_cmpx_ne_u16_e32 0x80, v118
	s_cbranch_execz .LBB196_362
; %bb.357:                              ;   in Loop: Header=BB196_14 Depth=1
	v_and_b32_sdwa v119, v118, v68 dst_sel:DWORD dst_unused:UNUSED_PAD src0_sel:WORD_0 src1_sel:DWORD
	v_mov_b32_e32 v117, 0x7f800001
	s_mov_b32 s51, exec_lo
	v_cmpx_ne_u32_e32 0x7f, v119
	s_cbranch_execz .LBB196_361
; %bb.358:                              ;   in Loop: Header=BB196_14 Depth=1
	v_and_b32_sdwa v51, v118, v69 dst_sel:DWORD dst_unused:UNUSED_PAD src0_sel:WORD_0 src1_sel:DWORD
	v_lshrrev_b32_e32 v117, 3, v119
	s_mov_b32 s52, exec_lo
	v_cmpx_gt_u32_e32 8, v119
; %bb.359:                              ;   in Loop: Header=BB196_14 Depth=1
	v_ffbh_u32_e32 v117, v51
	v_min_u32_e32 v117, 32, v117
	v_subrev_nc_u32_e32 v119, 28, v117
	v_sub_nc_u32_e32 v117, 29, v117
	v_lshlrev_b64 v[119:120], v119, v[51:52]
	v_and_b32_e32 v51, 7, v119
; %bb.360:                              ;   in Loop: Header=BB196_14 Depth=1
	s_or_b32 exec_lo, exec_lo, s52
	v_lshlrev_b32_e32 v118, 24, v118
	v_lshlrev_b32_e32 v51, 20, v51
	v_lshl_add_u32 v117, v117, 23, 0x3c000000
	v_and_b32_e32 v118, 0x80000000, v118
	v_or3_b32 v117, v51, v118, v117
.LBB196_361:                            ;   in Loop: Header=BB196_14 Depth=1
	s_or_b32 exec_lo, exec_lo, s51
.LBB196_362:                            ;   in Loop: Header=BB196_14 Depth=1
	s_or_b32 exec_lo, exec_lo, s50
.LBB196_363:                            ;   in Loop: Header=BB196_14 Depth=1
	s_or_b32 exec_lo, exec_lo, s49
	global_load_ubyte v118, v[57:58], off offset:1292
	s_mov_b32 s49, exec_lo
	s_waitcnt vmcnt(0)
	v_cmpx_ne_u16_e32 0, v118
	s_cbranch_execz .LBB196_371
; %bb.364:                              ;   in Loop: Header=BB196_14 Depth=1
	v_bfrev_b32_e32 v116, 1
	s_mov_b32 s50, exec_lo
	v_cmpx_ne_u16_e32 0x80, v118
	s_cbranch_execz .LBB196_370
; %bb.365:                              ;   in Loop: Header=BB196_14 Depth=1
	v_and_b32_sdwa v119, v118, v68 dst_sel:DWORD dst_unused:UNUSED_PAD src0_sel:WORD_0 src1_sel:DWORD
	v_mov_b32_e32 v116, 0x7f800001
	s_mov_b32 s51, exec_lo
	v_cmpx_ne_u32_e32 0x7f, v119
	s_cbranch_execz .LBB196_369
; %bb.366:                              ;   in Loop: Header=BB196_14 Depth=1
	v_and_b32_sdwa v51, v118, v69 dst_sel:DWORD dst_unused:UNUSED_PAD src0_sel:WORD_0 src1_sel:DWORD
	v_lshrrev_b32_e32 v116, 3, v119
	s_mov_b32 s52, exec_lo
	v_cmpx_gt_u32_e32 8, v119
; %bb.367:                              ;   in Loop: Header=BB196_14 Depth=1
	v_ffbh_u32_e32 v116, v51
	v_min_u32_e32 v116, 32, v116
	v_subrev_nc_u32_e32 v119, 28, v116
	v_sub_nc_u32_e32 v116, 29, v116
	v_lshlrev_b64 v[119:120], v119, v[51:52]
	v_and_b32_e32 v51, 7, v119
; %bb.368:                              ;   in Loop: Header=BB196_14 Depth=1
	s_or_b32 exec_lo, exec_lo, s52
	v_lshlrev_b32_e32 v118, 24, v118
	v_lshlrev_b32_e32 v51, 20, v51
	v_lshl_add_u32 v116, v116, 23, 0x3c000000
	v_and_b32_e32 v118, 0x80000000, v118
	v_or3_b32 v116, v51, v118, v116
.LBB196_369:                            ;   in Loop: Header=BB196_14 Depth=1
	s_or_b32 exec_lo, exec_lo, s51
.LBB196_370:                            ;   in Loop: Header=BB196_14 Depth=1
	s_or_b32 exec_lo, exec_lo, s50
.LBB196_371:                            ;   in Loop: Header=BB196_14 Depth=1
	s_or_b32 exec_lo, exec_lo, s49
	global_load_ubyte v120, v[57:58], off offset:1408
	v_mov_b32_e32 v118, 0
	v_mov_b32_e32 v119, 0
	s_mov_b32 s49, exec_lo
	s_waitcnt vmcnt(0)
	v_cmpx_ne_u16_e32 0, v120
	s_cbranch_execz .LBB196_379
; %bb.372:                              ;   in Loop: Header=BB196_14 Depth=1
	v_bfrev_b32_e32 v119, 1
	s_mov_b32 s50, exec_lo
	v_cmpx_ne_u16_e32 0x80, v120
	s_cbranch_execz .LBB196_378
; %bb.373:                              ;   in Loop: Header=BB196_14 Depth=1
	v_and_b32_sdwa v121, v120, v68 dst_sel:DWORD dst_unused:UNUSED_PAD src0_sel:WORD_0 src1_sel:DWORD
	v_mov_b32_e32 v119, 0x7f800001
	s_mov_b32 s51, exec_lo
	v_cmpx_ne_u32_e32 0x7f, v121
	s_cbranch_execz .LBB196_377
; %bb.374:                              ;   in Loop: Header=BB196_14 Depth=1
	v_and_b32_sdwa v51, v120, v69 dst_sel:DWORD dst_unused:UNUSED_PAD src0_sel:WORD_0 src1_sel:DWORD
	v_lshrrev_b32_e32 v119, 3, v121
	s_mov_b32 s52, exec_lo
	v_cmpx_gt_u32_e32 8, v121
; %bb.375:                              ;   in Loop: Header=BB196_14 Depth=1
	v_ffbh_u32_e32 v119, v51
	v_min_u32_e32 v119, 32, v119
	v_subrev_nc_u32_e32 v121, 28, v119
	v_sub_nc_u32_e32 v119, 29, v119
	v_lshlrev_b64 v[121:122], v121, v[51:52]
	v_and_b32_e32 v51, 7, v121
; %bb.376:                              ;   in Loop: Header=BB196_14 Depth=1
	s_or_b32 exec_lo, exec_lo, s52
	v_lshlrev_b32_e32 v120, 24, v120
	v_lshlrev_b32_e32 v51, 20, v51
	v_lshl_add_u32 v119, v119, 23, 0x3c000000
	v_and_b32_e32 v120, 0x80000000, v120
	v_or3_b32 v119, v51, v120, v119
.LBB196_377:                            ;   in Loop: Header=BB196_14 Depth=1
	s_or_b32 exec_lo, exec_lo, s51
.LBB196_378:                            ;   in Loop: Header=BB196_14 Depth=1
	s_or_b32 exec_lo, exec_lo, s50
.LBB196_379:                            ;   in Loop: Header=BB196_14 Depth=1
	s_or_b32 exec_lo, exec_lo, s49
	global_load_ubyte v120, v[57:58], off offset:1412
	s_mov_b32 s49, exec_lo
	s_waitcnt vmcnt(0)
	v_cmpx_ne_u16_e32 0, v120
	s_cbranch_execz .LBB196_387
; %bb.380:                              ;   in Loop: Header=BB196_14 Depth=1
	v_bfrev_b32_e32 v118, 1
	s_mov_b32 s50, exec_lo
	v_cmpx_ne_u16_e32 0x80, v120
	s_cbranch_execz .LBB196_386
; %bb.381:                              ;   in Loop: Header=BB196_14 Depth=1
	v_and_b32_sdwa v121, v120, v68 dst_sel:DWORD dst_unused:UNUSED_PAD src0_sel:WORD_0 src1_sel:DWORD
	v_mov_b32_e32 v118, 0x7f800001
	s_mov_b32 s51, exec_lo
	v_cmpx_ne_u32_e32 0x7f, v121
	s_cbranch_execz .LBB196_385
; %bb.382:                              ;   in Loop: Header=BB196_14 Depth=1
	v_and_b32_sdwa v51, v120, v69 dst_sel:DWORD dst_unused:UNUSED_PAD src0_sel:WORD_0 src1_sel:DWORD
	v_lshrrev_b32_e32 v118, 3, v121
	s_mov_b32 s52, exec_lo
	v_cmpx_gt_u32_e32 8, v121
; %bb.383:                              ;   in Loop: Header=BB196_14 Depth=1
	v_ffbh_u32_e32 v118, v51
	v_min_u32_e32 v118, 32, v118
	v_subrev_nc_u32_e32 v121, 28, v118
	v_sub_nc_u32_e32 v118, 29, v118
	v_lshlrev_b64 v[121:122], v121, v[51:52]
	v_and_b32_e32 v51, 7, v121
; %bb.384:                              ;   in Loop: Header=BB196_14 Depth=1
	s_or_b32 exec_lo, exec_lo, s52
	v_lshlrev_b32_e32 v120, 24, v120
	v_lshlrev_b32_e32 v51, 20, v51
	v_lshl_add_u32 v118, v118, 23, 0x3c000000
	v_and_b32_e32 v120, 0x80000000, v120
	v_or3_b32 v118, v51, v120, v118
.LBB196_385:                            ;   in Loop: Header=BB196_14 Depth=1
	s_or_b32 exec_lo, exec_lo, s51
.LBB196_386:                            ;   in Loop: Header=BB196_14 Depth=1
	s_or_b32 exec_lo, exec_lo, s50
.LBB196_387:                            ;   in Loop: Header=BB196_14 Depth=1
	s_or_b32 exec_lo, exec_lo, s49
	global_load_ubyte v122, v[57:58], off offset:1416
	v_mov_b32_e32 v120, 0
	v_mov_b32_e32 v121, 0
	s_mov_b32 s49, exec_lo
	s_waitcnt vmcnt(0)
	v_cmpx_ne_u16_e32 0, v122
	s_cbranch_execz .LBB196_395
; %bb.388:                              ;   in Loop: Header=BB196_14 Depth=1
	v_bfrev_b32_e32 v121, 1
	s_mov_b32 s50, exec_lo
	v_cmpx_ne_u16_e32 0x80, v122
	s_cbranch_execz .LBB196_394
; %bb.389:                              ;   in Loop: Header=BB196_14 Depth=1
	v_and_b32_sdwa v123, v122, v68 dst_sel:DWORD dst_unused:UNUSED_PAD src0_sel:WORD_0 src1_sel:DWORD
	v_mov_b32_e32 v121, 0x7f800001
	s_mov_b32 s51, exec_lo
	v_cmpx_ne_u32_e32 0x7f, v123
	s_cbranch_execz .LBB196_393
; %bb.390:                              ;   in Loop: Header=BB196_14 Depth=1
	v_and_b32_sdwa v51, v122, v69 dst_sel:DWORD dst_unused:UNUSED_PAD src0_sel:WORD_0 src1_sel:DWORD
	v_lshrrev_b32_e32 v121, 3, v123
	s_mov_b32 s52, exec_lo
	v_cmpx_gt_u32_e32 8, v123
; %bb.391:                              ;   in Loop: Header=BB196_14 Depth=1
	v_ffbh_u32_e32 v121, v51
	v_min_u32_e32 v121, 32, v121
	v_subrev_nc_u32_e32 v123, 28, v121
	v_sub_nc_u32_e32 v121, 29, v121
	v_lshlrev_b64 v[123:124], v123, v[51:52]
	v_and_b32_e32 v51, 7, v123
; %bb.392:                              ;   in Loop: Header=BB196_14 Depth=1
	s_or_b32 exec_lo, exec_lo, s52
	v_lshlrev_b32_e32 v122, 24, v122
	v_lshlrev_b32_e32 v51, 20, v51
	v_lshl_add_u32 v121, v121, 23, 0x3c000000
	v_and_b32_e32 v122, 0x80000000, v122
	v_or3_b32 v121, v51, v122, v121
.LBB196_393:                            ;   in Loop: Header=BB196_14 Depth=1
	s_or_b32 exec_lo, exec_lo, s51
.LBB196_394:                            ;   in Loop: Header=BB196_14 Depth=1
	s_or_b32 exec_lo, exec_lo, s50
.LBB196_395:                            ;   in Loop: Header=BB196_14 Depth=1
	s_or_b32 exec_lo, exec_lo, s49
	global_load_ubyte v57, v[57:58], off offset:1420
	s_mov_b32 s49, exec_lo
	s_waitcnt vmcnt(0)
	v_cmpx_ne_u16_e32 0, v57
	s_cbranch_execz .LBB196_403
; %bb.396:                              ;   in Loop: Header=BB196_14 Depth=1
	v_bfrev_b32_e32 v120, 1
	s_mov_b32 s50, exec_lo
	v_cmpx_ne_u16_e32 0x80, v57
	s_cbranch_execz .LBB196_402
; %bb.397:                              ;   in Loop: Header=BB196_14 Depth=1
	v_and_b32_sdwa v122, v57, v68 dst_sel:DWORD dst_unused:UNUSED_PAD src0_sel:WORD_0 src1_sel:DWORD
	v_mov_b32_e32 v120, 0x7f800001
	s_mov_b32 s51, exec_lo
	v_cmpx_ne_u32_e32 0x7f, v122
	s_cbranch_execz .LBB196_401
; %bb.398:                              ;   in Loop: Header=BB196_14 Depth=1
	v_and_b32_sdwa v51, v57, v69 dst_sel:DWORD dst_unused:UNUSED_PAD src0_sel:WORD_0 src1_sel:DWORD
	v_lshrrev_b32_e32 v58, 3, v122
	s_mov_b32 s52, exec_lo
	v_cmpx_gt_u32_e32 8, v122
; %bb.399:                              ;   in Loop: Header=BB196_14 Depth=1
	v_ffbh_u32_e32 v58, v51
	v_min_u32_e32 v58, 32, v58
	v_subrev_nc_u32_e32 v120, 28, v58
	v_sub_nc_u32_e32 v58, 29, v58
	v_lshlrev_b64 v[122:123], v120, v[51:52]
	v_and_b32_e32 v51, 7, v122
; %bb.400:                              ;   in Loop: Header=BB196_14 Depth=1
	s_or_b32 exec_lo, exec_lo, s52
	v_lshlrev_b32_e32 v57, 24, v57
	v_lshlrev_b32_e32 v51, 20, v51
	v_lshl_add_u32 v58, v58, 23, 0x3c000000
	v_and_b32_e32 v57, 0x80000000, v57
	v_or3_b32 v120, v51, v57, v58
.LBB196_401:                            ;   in Loop: Header=BB196_14 Depth=1
	s_or_b32 exec_lo, exec_lo, s51
.LBB196_402:                            ;   in Loop: Header=BB196_14 Depth=1
	s_or_b32 exec_lo, exec_lo, s50
.LBB196_403:                            ;   in Loop: Header=BB196_14 Depth=1
	s_or_b32 exec_lo, exec_lo, s49
	s_waitcnt lgkmcnt(0)
	v_mul_f32_e32 v51, s48, v74
	v_mul_f32_e32 v57, s48, v75
	;; [unrolled: 1-line block ×4, first 2 shown]
	v_fmac_f32_e32 v46, v45, v57
	v_mul_f32_e32 v45, s48, v76
	v_fmac_f32_e32 v46, v47, v51
	v_mul_f32_e32 v47, s48, v79
	;; [unrolled: 2-line block ×43, first 2 shown]
	v_fmac_f32_e32 v46, v1, v5
	v_xor_b32_e32 v1, 2, v62
	v_mul_f32_e32 v5, s48, v121
	v_fmac_f32_e32 v46, v2, v6
	v_cmp_gt_i32_e64 s2, 32, v1
	v_mul_f32_e32 v2, s48, v120
	v_fmac_f32_e32 v46, v3, v5
	v_cndmask_b32_e64 v1, v62, v1, s2
	v_fmac_f32_e32 v46, v4, v2
	v_lshlrev_b32_e32 v1, 2, v1
	v_xor_b32_e32 v2, 1, v62
	ds_bpermute_b32 v1, v1, v46
	v_cmp_gt_i32_e64 s2, 32, v2
	v_cndmask_b32_e64 v2, v62, v2, s2
	v_lshlrev_b32_e32 v2, 2, v2
	s_waitcnt lgkmcnt(0)
	v_add_f32_e32 v1, v46, v1
	ds_bpermute_b32 v2, v2, v1
	s_and_saveexec_b32 s48, vcc_lo
	s_cbranch_execz .LBB196_12
; %bb.404:                              ;   in Loop: Header=BB196_14 Depth=1
	v_add_nc_u32_e32 v3, v70, v66
	s_waitcnt lgkmcnt(0)
	v_add_f32_e32 v1, v1, v2
	v_cvt_f32_i32_e32 v3, v3
	v_mul_f32_e32 v3, s43, v3
	v_cndmask_b32_e64 v2, 0, v3, s1
	v_max_f32_e32 v3, v63, v63
	v_fmac_f32_e32 v2, s41, v1
	v_add_nc_u32_e32 v1, v64, v66
	v_max_f32_e32 v3, v3, v2
	v_cmp_gt_i32_e64 s2, s31, v1
	v_cndmask_b32_e64 v1, 0, v2, s2
	v_cndmask_b32_e64 v63, v63, v3, s2
	ds_write_b32 v71, v1
	s_branch .LBB196_12
.LBB196_405:
	s_or_b32 exec_lo, exec_lo, s46
.LBB196_406:
	s_or_b32 exec_lo, exec_lo, s45
	v_xor_b32_e32 v1, 16, v62
	v_xor_b32_e32 v3, 8, v62
	v_max_f32_e32 v5, v63, v63
	v_and_b32_e32 v25, 31, v0
	v_cmp_gt_i32_e32 vcc_lo, 32, v1
	v_cndmask_b32_e32 v1, v62, v1, vcc_lo
	v_cmp_gt_i32_e32 vcc_lo, 32, v3
	s_waitcnt lgkmcnt(0)
	v_lshlrev_b32_e32 v2, 2, v1
	v_cndmask_b32_e32 v3, v62, v3, vcc_lo
	ds_bpermute_b32 v1, v2, v63
	v_lshlrev_b32_e32 v4, 2, v3
	s_waitcnt lgkmcnt(0)
	v_max_f32_e32 v1, v1, v1
	v_max_f32_e32 v1, v5, v1
	v_xor_b32_e32 v5, 4, v62
	ds_bpermute_b32 v3, v4, v1
	v_cmp_gt_i32_e32 vcc_lo, 32, v5
	v_cndmask_b32_e32 v5, v62, v5, vcc_lo
	v_cmp_eq_u32_e32 vcc_lo, 0, v25
	v_lshlrev_b32_e32 v7, 2, v5
	v_lshlrev_b32_e32 v5, 2, v59
	s_waitcnt lgkmcnt(0)
	v_max_f32_e32 v3, v3, v3
	v_max_f32_e32 v1, v1, v3
	ds_bpermute_b32 v3, v7, v1
	s_and_saveexec_b32 s1, vcc_lo
	s_cbranch_execz .LBB196_408
; %bb.407:
	s_waitcnt lgkmcnt(0)
	v_max_f32_e32 v3, v3, v3
	v_max_f32_e32 v1, v1, v1
	;; [unrolled: 1-line block ×3, first 2 shown]
	ds_write_b32 v5, v1 offset:768
.LBB196_408:
	s_or_b32 exec_lo, exec_lo, s1
	v_cmp_gt_u32_e64 s1, 4, v25
	v_mov_b32_e32 v1, 0xff7fffff
	v_lshlrev_b32_e32 v6, 2, v25
	s_waitcnt lgkmcnt(0)
	s_barrier
	buffer_gl0_inv
	s_and_saveexec_b32 s2, s1
; %bb.409:
	ds_read_b32 v1, v6 offset:768
; %bb.410:
	s_or_b32 exec_lo, exec_lo, s2
	v_xor_b32_e32 v3, 2, v62
	v_xor_b32_e32 v9, 1, v62
	v_cmp_gt_i32_e64 s2, 32, v3
	v_cndmask_b32_e64 v3, v62, v3, s2
	v_cmp_gt_i32_e64 s2, 32, v9
	v_lshlrev_b32_e32 v8, 2, v3
	v_cndmask_b32_e64 v9, v62, v9, s2
	s_sub_i32 s2, s20, s44
	s_lshl_b32 s2, s2, 3
	s_waitcnt lgkmcnt(0)
	ds_bpermute_b32 v3, v8, v1
	v_max_f32_e32 v1, v1, v1
	v_lshlrev_b32_e32 v26, 2, v9
	v_mov_b32_e32 v9, 0
	s_add_i32 s2, s2, s42
	s_min_i32 s2, s2, s31
	s_sub_i32 s4, s2, s42
	v_cmp_gt_i32_e64 s2, s4, v0
	s_waitcnt lgkmcnt(0)
	v_max_f32_e32 v3, v3, v3
	v_max_f32_e32 v1, v1, v3
	ds_bpermute_b32 v3, v26, v1
	s_waitcnt lgkmcnt(0)
	v_max_f32_e32 v3, v3, v3
	v_max_f32_e32 v1, v1, v3
	v_lshl_add_u32 v3, v0, 2, 0x320
	ds_bpermute_b32 v1, v9, v1
	s_and_saveexec_b32 s5, s2
	s_cbranch_execz .LBB196_414
; %bb.411:
	v_lshl_add_u32 v10, v0, 2, 0x320
	v_mov_b32_e32 v9, 0
	v_mov_b32_e32 v11, v0
	s_mov_b32 s12, 0
	.p2align	6
.LBB196_412:                            ; =>This Inner Loop Header: Depth=1
	ds_read_b32 v12, v10
	v_add_nc_u32_e32 v11, 0x80, v11
	v_cmp_le_i32_e64 s3, s4, v11
	s_or_b32 s12, s3, s12
	s_waitcnt lgkmcnt(0)
	v_sub_f32_e32 v12, v12, v1
	v_mul_f32_e32 v12, 0x3fb8aa3b, v12
	v_exp_f32_e32 v12, v12
	ds_write_b32 v10, v12
	v_add_f32_e32 v9, v9, v12
	v_add_nc_u32_e32 v10, 0x200, v10
	s_andn2_b32 exec_lo, exec_lo, s12
	s_cbranch_execnz .LBB196_412
; %bb.413:
	s_or_b32 exec_lo, exec_lo, s12
.LBB196_414:
	s_or_b32 exec_lo, exec_lo, s5
	ds_bpermute_b32 v2, v2, v9
	s_waitcnt lgkmcnt(0)
	v_add_f32_e32 v2, v9, v2
	ds_bpermute_b32 v4, v4, v2
	s_waitcnt lgkmcnt(0)
	v_add_f32_e32 v2, v2, v4
	;; [unrolled: 3-line block ×5, first 2 shown]
	s_and_saveexec_b32 s3, vcc_lo
; %bb.415:
	ds_write_b32 v5, v2 offset:784
; %bb.416:
	s_or_b32 exec_lo, exec_lo, s3
	s_waitcnt lgkmcnt(0)
	s_barrier
	buffer_gl0_inv
	s_and_saveexec_b32 s3, s1
; %bb.417:
	ds_read_b32 v2, v6 offset:784
; %bb.418:
	s_or_b32 exec_lo, exec_lo, s3
	s_waitcnt lgkmcnt(0)
	ds_bpermute_b32 v4, v8, v2
	s_waitcnt lgkmcnt(0)
	v_add_f32_e32 v2, v2, v4
	ds_bpermute_b32 v4, v26, v2
	s_waitcnt lgkmcnt(0)
	v_add_f32_e32 v2, v2, v4
	v_mov_b32_e32 v4, 0
	ds_bpermute_b32 v2, v4, v2
	s_and_saveexec_b32 s1, s2
	s_cbranch_execz .LBB196_421
; %bb.419:
	s_waitcnt lgkmcnt(0)
	v_add_f32_e32 v4, 0x358637bd, v2
	s_mov_b32 s2, 0
	v_div_scale_f32 v5, null, v4, v4, 1.0
	v_div_scale_f32 v8, vcc_lo, 1.0, v4, 1.0
	v_rcp_f32_e32 v6, v5
	v_fma_f32 v7, -v5, v6, 1.0
	v_fmac_f32_e32 v6, v7, v6
	v_mul_f32_e32 v7, v8, v6
	v_fma_f32 v9, -v5, v7, v8
	v_fmac_f32_e32 v7, v9, v6
	v_fma_f32 v5, -v5, v7, v8
	v_div_fmas_f32 v5, v5, v6, v7
	v_div_fixup_f32 v4, v5, v4, 1.0
	v_mov_b32_e32 v5, v0
.LBB196_420:                            ; =>This Inner Loop Header: Depth=1
	ds_read_b32 v6, v3
	v_add_nc_u32_e32 v5, 0x80, v5
	v_cmp_le_i32_e32 vcc_lo, s4, v5
	s_or_b32 s2, vcc_lo, s2
	s_waitcnt lgkmcnt(0)
	v_mul_f32_e32 v6, v4, v6
	ds_write_b32 v3, v6
	v_add_nc_u32_e32 v3, 0x200, v3
	s_andn2_b32 exec_lo, exec_lo, s2
	s_cbranch_execnz .LBB196_420
.LBB196_421:
	s_or_b32 exec_lo, exec_lo, s1
	s_mul_i32 s1, s7, s30
	s_waitcnt lgkmcnt(0)
	s_mul_i32 s2, s1, s9
	s_mov_b32 s1, exec_lo
	s_barrier
	buffer_gl0_inv
	v_cmpx_eq_u32_e32 0, v0
	s_cbranch_execz .LBB196_423
; %bb.422:
	s_ashr_i32 s3, s2, 31
	s_mul_i32 s12, s7, s6
	s_lshl_b64 s[4:5], s[2:3], 2
	v_mov_b32_e32 v3, 0
	s_add_u32 s3, s26, s4
	s_addc_u32 s6, s27, s5
	s_ashr_i32 s13, s12, 31
	s_lshl_b64 s[12:13], s[12:13], 2
	s_add_u32 s3, s3, s12
	s_addc_u32 s6, s6, s13
	s_ashr_i32 s9, s8, 31
	s_lshl_b64 s[26:27], s[8:9], 2
	s_add_u32 s42, s3, s26
	s_addc_u32 s43, s6, s27
	s_add_u32 s3, s24, s4
	s_addc_u32 s4, s25, s5
	s_add_u32 s3, s3, s12
	s_addc_u32 s5, s4, s13
	s_add_u32 s4, s3, s26
	s_addc_u32 s5, s5, s27
	global_store_dword v3, v1, s[42:43]
	global_store_dword v3, v2, s[4:5]
.LBB196_423:
	s_or_b32 exec_lo, exec_lo, s1
	v_mov_b32_e32 v38, 0
	v_and_b32_e32 v27, 1, v0
	v_mov_b32_e32 v39, 0
	v_mov_b32_e32 v37, 0
	;; [unrolled: 1-line block ×11, first 2 shown]
	s_and_saveexec_b32 s1, s0
	s_cbranch_execz .LBB196_837
; %bb.424:
	s_sub_i32 s3, s40, s21
	s_ashr_i32 s0, s18, 31
	s_add_u32 s6, s38, s18
	s_addc_u32 s0, s39, s0
	s_abs_i32 s4, s22
	v_and_b32_e32 v3, 0x7c, v61
	v_cvt_f32_u32_e32 v1, s4
	s_sub_i32 s5, 0, s4
	v_lshlrev_b32_e32 v5, 4, v27
	s_lshl_b64 s[12:13], s[36:37], 2
	v_add_co_u32 v11, s6, s6, v3
	v_rcp_iflag_f32_e32 v4, v1
	v_lshlrev_b64 v[1:2], 2, v[49:50]
	v_lshl_or_b32 v5, v59, 5, v5
	v_add_co_ci_u32_e64 v12, null, s0, 0, s6
	v_and_b32_e32 v40, 4, v61
	v_mov_b32_e32 v6, 0
	v_mov_b32_e32 v41, 0x80
	v_bfrev_b32_e32 v8, 1
	v_mov_b32_e32 v42, 0xffff
	v_mul_f32_e32 v4, 0x4f7ffffe, v4
	v_mov_b32_e32 v10, 0x7f800001
	v_mov_b32_e32 v43, 0xff
	;; [unrolled: 1-line block ×4, first 2 shown]
	v_cvt_u32_f32_e32 v4, v4
	v_mov_b32_e32 v28, 0
	v_mov_b32_e32 v29, 0
	;; [unrolled: 1-line block ×4, first 2 shown]
	v_mul_lo_u32 v7, s5, v4
	s_add_i32 s5, s33, -1
	s_add_u32 s0, s34, s12
	s_addc_u32 s6, s35, s13
	v_add_co_u32 v13, vcc_lo, s0, v1
	v_mov_b32_e32 v32, 0
	v_mov_b32_e32 v33, 0
	v_mul_hi_u32 v3, v4, v7
	v_mov_b32_e32 v34, 0
	v_add_co_ci_u32_e64 v14, null, s6, v2, vcc_lo
	v_add_nc_u32_e32 v46, 0x320, v5
	v_mov_b32_e32 v35, 0
	v_mov_b32_e32 v36, 0
	;; [unrolled: 1-line block ×3, first 2 shown]
	v_add_nc_u32_e32 v47, v4, v3
	v_mov_b32_e32 v39, 0
	v_mov_b32_e32 v38, 0
	s_mov_b32 s9, s17
	s_mov_b32 s6, 0
	s_branch .LBB196_427
.LBB196_425:                            ;   in Loop: Header=BB196_427 Depth=1
	s_or_b32 exec_lo, exec_lo, s0
	v_mul_f32_e32 v16, v1, v96
	v_mul_f32_e32 v17, v1, v94
	v_mul_f32_e32 v18, v1, v90
	v_mul_f32_e32 v19, v1, v86
	v_mul_f32_e32 v20, v1, v82
	v_fmac_f32_e32 v16, v2, v95
	v_fmac_f32_e32 v17, v2, v93
	v_fmac_f32_e32 v18, v2, v89
	v_fmac_f32_e32 v19, v2, v85
	v_mul_f32_e32 v21, v1, v78
	v_fmac_f32_e32 v16, v3, v24
	v_fmac_f32_e32 v17, v3, v92
	;; [unrolled: 1-line block ×4, first 2 shown]
	v_mul_f32_e32 v22, v1, v74
	v_fmac_f32_e32 v16, v4, v23
	v_fmac_f32_e32 v17, v4, v91
	;; [unrolled: 1-line block ×5, first 2 shown]
	v_add_f32_e32 v29, v29, v16
	v_add_f32_e32 v30, v30, v17
	;; [unrolled: 1-line block ×4, first 2 shown]
	v_mul_f32_e32 v16, v1, v70
	v_mul_f32_e32 v17, v1, v66
	;; [unrolled: 1-line block ×5, first 2 shown]
	v_fmac_f32_e32 v21, v2, v77
	v_fmac_f32_e32 v22, v2, v73
	;; [unrolled: 1-line block ×23, first 2 shown]
	v_add_f32_e32 v33, v33, v20
	v_add_f32_e32 v34, v34, v21
	;; [unrolled: 1-line block ×8, first 2 shown]
.LBB196_426:                            ;   in Loop: Header=BB196_427 Depth=1
	s_or_b32 exec_lo, exec_lo, s12
	v_add_nc_u32_e32 v49, 4, v49
	v_add_co_u32 v13, s0, v13, 16
	v_add_co_ci_u32_e64 v14, null, 0, v14, s0
	v_cmp_le_i32_e32 vcc_lo, s20, v49
	v_add_nc_u32_e32 v60, 32, v60
	v_add_nc_u32_e32 v46, 0x80, v46
	s_or_b32 s6, vcc_lo, s6
	s_andn2_b32 exec_lo, exec_lo, s6
	s_cbranch_execz .LBB196_836
.LBB196_427:                            ; =>This Inner Loop Header: Depth=1
	v_sub_nc_u32_e32 v1, 0, v60
	v_max_i32_e32 v1, v60, v1
	v_mul_hi_u32 v2, v1, s16
	v_mul_lo_u32 v3, v2, s11
	v_sub_nc_u32_e32 v1, v1, v3
	v_add_nc_u32_e32 v3, 1, v2
	v_subrev_nc_u32_e32 v4, s11, v1
	v_cmp_le_u32_e32 vcc_lo, s11, v1
	v_cndmask_b32_e32 v2, v2, v3, vcc_lo
	v_cndmask_b32_e32 v1, v1, v4, vcc_lo
	v_ashrrev_i32_e32 v3, 31, v60
	v_add_nc_u32_e32 v4, 1, v2
	v_cmp_le_u32_e32 vcc_lo, s11, v1
	v_xor_b32_e32 v3, s23, v3
	v_cndmask_b32_e32 v1, v2, v4, vcc_lo
	v_xor_b32_e32 v1, v1, v3
	v_sub_nc_u32_e32 v1, v1, v3
	v_add_nc_u32_e32 v2, s19, v1
	v_cmp_lt_i32_e64 s0, s3, v1
	v_sub_nc_u32_e32 v3, 0, v2
	v_max_i32_e32 v3, v2, v3
	v_ashrrev_i32_e32 v2, 31, v2
	v_mul_hi_u32 v4, v3, v47
	v_mul_lo_u32 v4, v4, s4
	v_sub_nc_u32_e32 v3, v3, v4
	v_subrev_nc_u32_e32 v4, s4, v3
	v_cmp_le_u32_e32 vcc_lo, s4, v3
	v_cndmask_b32_e32 v3, v3, v4, vcc_lo
	v_subrev_nc_u32_e32 v4, s4, v3
	v_cmp_le_u32_e32 vcc_lo, s4, v3
	v_cndmask_b32_e32 v3, v3, v4, vcc_lo
	v_xor_b32_e32 v3, v3, v2
	v_sub_nc_u32_e32 v2, v3, v2
	v_cmp_eq_u32_e32 vcc_lo, 0, v2
	s_or_b32 s0, vcc_lo, s0
	s_and_saveexec_b32 s12, s0
	s_cbranch_execz .LBB196_426
; %bb.428:                              ;   in Loop: Header=BB196_427 Depth=1
	global_load_dword v1, v[13:14], off
	s_load_dword s13, s[14:15], 0x0
	v_mov_b32_e32 v19, 0
	v_mov_b32_e32 v17, 0
	;; [unrolled: 1-line block ×4, first 2 shown]
	s_waitcnt vmcnt(0)
	v_mad_i64_i32 v[15:16], null, v1, s9, v[11:12]
	ds_read_b128 v[1:4], v46
	global_load_dword v48, v[15:16], off
	s_waitcnt vmcnt(0)
	v_cmp_ne_u16_sdwa s17, v48, v6 src0_sel:BYTE_0 src1_sel:DWORD
	s_and_saveexec_b32 s0, s17
	s_cbranch_execz .LBB196_436
; %bb.429:                              ;   in Loop: Header=BB196_427 Depth=1
	v_bfrev_b32_e32 v17, 1
	v_mov_b32_e32 v18, 0
	v_cmp_ne_u16_sdwa s18, v48, v41 src0_sel:BYTE_0 src1_sel:DWORD
	s_and_saveexec_b32 s17, s18
	s_cbranch_execz .LBB196_435
; %bb.430:                              ;   in Loop: Header=BB196_427 Depth=1
	v_mov_b32_e32 v17, 0x7f800001
	v_and_b32_e32 v9, 0x7f, v48
	v_mov_b32_e32 v18, 0
	s_mov_b32 s18, exec_lo
	v_cmpx_ne_u32_e32 0x7f, v9
	s_cbranch_execz .LBB196_434
; %bb.431:                              ;   in Loop: Header=BB196_427 Depth=1
	v_and_b32_e32 v5, 7, v48
	v_lshrrev_b32_e32 v7, 3, v9
	s_mov_b32 s21, exec_lo
	v_cmpx_gt_u32_e32 8, v9
; %bb.432:                              ;   in Loop: Header=BB196_427 Depth=1
	v_ffbh_u32_e32 v7, v5
	v_min_u32_e32 v7, 32, v7
	v_subrev_nc_u32_e32 v9, 28, v7
	v_sub_nc_u32_e32 v7, 29, v7
	v_lshlrev_b64 v[17:18], v9, v[5:6]
	v_and_b32_e32 v5, 7, v17
; %bb.433:                              ;   in Loop: Header=BB196_427 Depth=1
	s_or_b32 exec_lo, exec_lo, s21
	v_lshlrev_b32_e32 v9, 24, v48
	v_lshlrev_b32_e32 v5, 20, v5
	v_lshl_add_u32 v7, v7, 23, 0x3c000000
	v_and_b32_e32 v9, 0x80000000, v9
	v_or3_b32 v5, v5, v9, v7
	v_mov_b32_e32 v18, v6
	v_mov_b32_e32 v17, v5
.LBB196_434:                            ;   in Loop: Header=BB196_427 Depth=1
	s_or_b32 exec_lo, exec_lo, s18
.LBB196_435:                            ;   in Loop: Header=BB196_427 Depth=1
	s_or_b32 exec_lo, exec_lo, s17
.LBB196_436:                            ;   in Loop: Header=BB196_427 Depth=1
	s_or_b32 exec_lo, exec_lo, s0
	v_cmp_ne_u16_sdwa s17, v48, v6 src0_sel:BYTE_1 src1_sel:DWORD
	s_and_saveexec_b32 s0, s17
	s_cbranch_execz .LBB196_444
; %bb.437:                              ;   in Loop: Header=BB196_427 Depth=1
	v_mov_b32_e32 v7, v6
	v_mov_b32_e32 v20, v8
	v_cmp_ne_u16_sdwa s18, v48, v41 src0_sel:BYTE_1 src1_sel:DWORD
	v_mov_b32_e32 v19, v7
	s_and_saveexec_b32 s17, s18
	s_cbranch_execz .LBB196_443
; %bb.438:                              ;   in Loop: Header=BB196_427 Depth=1
	v_and_b32_sdwa v5, v42, v48 dst_sel:DWORD dst_unused:UNUSED_PAD src0_sel:DWORD src1_sel:BYTE_1
	v_mov_b32_e32 v9, v6
	v_mov_b32_e32 v20, v10
	s_mov_b32 s18, exec_lo
	v_and_b32_e32 v21, 0x7f, v5
	v_mov_b32_e32 v19, v9
	v_cmpx_ne_u32_e32 0x7f, v21
	s_cbranch_execz .LBB196_442
; %bb.439:                              ;   in Loop: Header=BB196_427 Depth=1
	v_and_b32_e32 v5, 7, v5
	v_lshrrev_b32_e32 v7, 3, v21
	s_mov_b32 s21, exec_lo
	v_cmpx_gt_u32_e32 8, v21
; %bb.440:                              ;   in Loop: Header=BB196_427 Depth=1
	v_ffbh_u32_e32 v7, v5
	v_min_u32_e32 v7, 32, v7
	v_subrev_nc_u32_e32 v9, 28, v7
	v_sub_nc_u32_e32 v7, 29, v7
	v_lshlrev_b64 v[19:20], v9, v[5:6]
	v_and_b32_e32 v5, 7, v19
; %bb.441:                              ;   in Loop: Header=BB196_427 Depth=1
	s_or_b32 exec_lo, exec_lo, s21
	v_lshlrev_b32_e32 v9, 16, v48
	v_lshlrev_b32_e32 v5, 20, v5
	v_lshl_add_u32 v7, v7, 23, 0x3c000000
	v_mov_b32_e32 v19, v6
	v_and_b32_e32 v9, 0x80000000, v9
	v_or3_b32 v20, v5, v9, v7
.LBB196_442:                            ;   in Loop: Header=BB196_427 Depth=1
	s_or_b32 exec_lo, exec_lo, s18
.LBB196_443:                            ;   in Loop: Header=BB196_427 Depth=1
	s_or_b32 exec_lo, exec_lo, s17
.LBB196_444:                            ;   in Loop: Header=BB196_427 Depth=1
	s_or_b32 exec_lo, exec_lo, s0
	v_mov_b32_e32 v23, 0
	v_mov_b32_e32 v21, 0
	v_and_b32_sdwa v5, v48, v43 dst_sel:DWORD dst_unused:UNUSED_PAD src0_sel:WORD_1 src1_sel:DWORD
	v_mov_b32_e32 v24, 0
	v_mov_b32_e32 v22, 0
	s_mov_b32 s0, exec_lo
	v_cmpx_ne_u16_e32 0, v5
	s_cbranch_execz .LBB196_452
; %bb.445:                              ;   in Loop: Header=BB196_427 Depth=1
	v_bfrev_b32_e32 v21, 1
	v_mov_b32_e32 v22, 0
	s_mov_b32 s17, exec_lo
	v_cmpx_ne_u16_e32 0x80, v5
	s_cbranch_execz .LBB196_451
; %bb.446:                              ;   in Loop: Header=BB196_427 Depth=1
	v_mov_b32_e32 v21, 0x7f800001
	v_bfe_u32 v9, v48, 16, 7
	v_mov_b32_e32 v22, 0
	s_mov_b32 s18, exec_lo
	v_cmpx_ne_u32_e32 0x7f, v9
	s_cbranch_execz .LBB196_450
; %bb.447:                              ;   in Loop: Header=BB196_427 Depth=1
	v_and_b32_sdwa v5, v48, v44 dst_sel:DWORD dst_unused:UNUSED_PAD src0_sel:WORD_1 src1_sel:DWORD
	v_lshrrev_b32_e32 v7, 3, v9
	s_mov_b32 s21, exec_lo
	v_cmpx_gt_u32_e32 8, v9
; %bb.448:                              ;   in Loop: Header=BB196_427 Depth=1
	v_ffbh_u32_e32 v7, v5
	v_min_u32_e32 v7, 32, v7
	v_subrev_nc_u32_e32 v9, 28, v7
	v_sub_nc_u32_e32 v7, 29, v7
	v_lshlrev_b64 v[21:22], v9, v[5:6]
	v_and_b32_e32 v5, 7, v21
; %bb.449:                              ;   in Loop: Header=BB196_427 Depth=1
	s_or_b32 exec_lo, exec_lo, s21
	v_lshlrev_b32_sdwa v9, v45, v48 dst_sel:DWORD dst_unused:UNUSED_PAD src0_sel:DWORD src1_sel:WORD_1
	v_lshlrev_b32_e32 v5, 20, v5
	v_lshl_add_u32 v7, v7, 23, 0x3c000000
	v_and_b32_e32 v9, 0x80000000, v9
	v_or3_b32 v5, v5, v9, v7
	v_mov_b32_e32 v22, v6
	v_mov_b32_e32 v21, v5
.LBB196_450:                            ;   in Loop: Header=BB196_427 Depth=1
	s_or_b32 exec_lo, exec_lo, s18
.LBB196_451:                            ;   in Loop: Header=BB196_427 Depth=1
	s_or_b32 exec_lo, exec_lo, s17
.LBB196_452:                            ;   in Loop: Header=BB196_427 Depth=1
	s_or_b32 exec_lo, exec_lo, s0
	s_mov_b32 s0, exec_lo
	v_cmpx_lt_u32_e32 0xffffff, v48
	s_cbranch_execz .LBB196_460
; %bb.453:                              ;   in Loop: Header=BB196_427 Depth=1
	v_mov_b32_e32 v7, v6
	v_mov_b32_e32 v24, v8
	v_cmp_ne_u32_sdwa s18, v48, v41 src0_sel:BYTE_3 src1_sel:DWORD
	v_mov_b32_e32 v23, v7
	s_and_saveexec_b32 s17, s18
	s_cbranch_execz .LBB196_459
; %bb.454:                              ;   in Loop: Header=BB196_427 Depth=1
	v_mov_b32_e32 v9, v6
	v_mov_b32_e32 v24, v10
	v_bfe_u32 v50, v48, 24, 7
	s_mov_b32 s18, exec_lo
	v_mov_b32_e32 v23, v9
	v_cmpx_ne_u32_e32 0x7f, v50
	s_cbranch_execz .LBB196_458
; %bb.455:                              ;   in Loop: Header=BB196_427 Depth=1
	v_and_b32_sdwa v5, v48, v44 dst_sel:DWORD dst_unused:UNUSED_PAD src0_sel:BYTE_3 src1_sel:DWORD
	v_lshrrev_b32_e32 v7, 3, v50
	s_mov_b32 s21, exec_lo
	v_cmpx_gt_u32_e32 8, v50
; %bb.456:                              ;   in Loop: Header=BB196_427 Depth=1
	v_ffbh_u32_e32 v7, v5
	v_min_u32_e32 v7, 32, v7
	v_subrev_nc_u32_e32 v9, 28, v7
	v_sub_nc_u32_e32 v7, 29, v7
	v_lshlrev_b64 v[23:24], v9, v[5:6]
	v_and_b32_e32 v5, 7, v23
; %bb.457:                              ;   in Loop: Header=BB196_427 Depth=1
	s_or_b32 exec_lo, exec_lo, s21
	v_lshlrev_b32_sdwa v9, v45, v48 dst_sel:DWORD dst_unused:UNUSED_PAD src0_sel:DWORD src1_sel:BYTE_3
	v_lshlrev_b32_e32 v5, 20, v5
	v_lshl_add_u32 v7, v7, 23, 0x3c000000
	v_mov_b32_e32 v23, v6
	v_and_b32_e32 v9, 0x80000000, v9
	v_or3_b32 v24, v5, v9, v7
.LBB196_458:                            ;   in Loop: Header=BB196_427 Depth=1
	s_or_b32 exec_lo, exec_lo, s18
.LBB196_459:                            ;   in Loop: Header=BB196_427 Depth=1
	s_or_b32 exec_lo, exec_lo, s17
.LBB196_460:                            ;   in Loop: Header=BB196_427 Depth=1
	s_or_b32 exec_lo, exec_lo, s0
	v_add_nc_u32_e32 v53, v40, v60
	v_or_b32_e32 v5, v20, v18
	v_or_b32_e32 v7, v19, v17
	;; [unrolled: 1-line block ×4, first 2 shown]
	v_cmp_eq_u32_e32 vcc_lo, s5, v49
	s_waitcnt lgkmcnt(0)
	v_mul_f32_e32 v51, s13, v5
	v_mul_f32_e32 v52, s13, v7
	;; [unrolled: 1-line block ×4, first 2 shown]
	v_add_nc_u32_e32 v56, 1, v53
	v_add_nc_u32_e32 v55, 2, v53
	;; [unrolled: 1-line block ×3, first 2 shown]
	s_and_saveexec_b32 s17, vcc_lo
	s_cbranch_execz .LBB196_462
; %bb.461:                              ;   in Loop: Header=BB196_427 Depth=1
	v_cmp_gt_i32_e64 s0, s31, v53
	v_cndmask_b32_e64 v52, 0, v52, s0
	v_cmp_gt_i32_e64 s0, s31, v56
	v_cndmask_b32_e64 v51, 0, v51, s0
	;; [unrolled: 2-line block ×4, first 2 shown]
.LBB196_462:                            ;   in Loop: Header=BB196_427 Depth=1
	s_or_b32 exec_lo, exec_lo, s17
	global_load_dword v57, v[15:16], off offset:128
	v_mov_b32_e32 v19, 0
	v_mov_b32_e32 v17, 0
	;; [unrolled: 1-line block ×4, first 2 shown]
	s_waitcnt vmcnt(0)
	v_cmp_ne_u16_sdwa s0, v57, v6 src0_sel:BYTE_0 src1_sel:DWORD
	s_and_saveexec_b32 s17, s0
	s_cbranch_execz .LBB196_470
; %bb.463:                              ;   in Loop: Header=BB196_427 Depth=1
	v_bfrev_b32_e32 v17, 1
	v_mov_b32_e32 v18, 0
	v_cmp_ne_u16_sdwa s0, v57, v41 src0_sel:BYTE_0 src1_sel:DWORD
	s_and_saveexec_b32 s18, s0
	s_cbranch_execz .LBB196_469
; %bb.464:                              ;   in Loop: Header=BB196_427 Depth=1
	v_mov_b32_e32 v17, 0x7f800001
	v_and_b32_e32 v9, 0x7f, v57
	v_mov_b32_e32 v18, 0
	s_mov_b32 s21, exec_lo
	v_cmpx_ne_u32_e32 0x7f, v9
	s_cbranch_execz .LBB196_468
; %bb.465:                              ;   in Loop: Header=BB196_427 Depth=1
	v_and_b32_e32 v5, 7, v57
	v_lshrrev_b32_e32 v7, 3, v9
	s_mov_b32 s22, exec_lo
	v_cmpx_gt_u32_e32 8, v9
; %bb.466:                              ;   in Loop: Header=BB196_427 Depth=1
	v_ffbh_u32_e32 v7, v5
	v_min_u32_e32 v7, 32, v7
	v_subrev_nc_u32_e32 v9, 28, v7
	v_sub_nc_u32_e32 v7, 29, v7
	v_lshlrev_b64 v[17:18], v9, v[5:6]
	v_and_b32_e32 v5, 7, v17
; %bb.467:                              ;   in Loop: Header=BB196_427 Depth=1
	s_or_b32 exec_lo, exec_lo, s22
	v_lshlrev_b32_e32 v9, 24, v57
	v_lshlrev_b32_e32 v5, 20, v5
	v_lshl_add_u32 v7, v7, 23, 0x3c000000
	v_and_b32_e32 v9, 0x80000000, v9
	v_or3_b32 v5, v5, v9, v7
	v_mov_b32_e32 v18, v6
	v_mov_b32_e32 v17, v5
.LBB196_468:                            ;   in Loop: Header=BB196_427 Depth=1
	s_or_b32 exec_lo, exec_lo, s21
.LBB196_469:                            ;   in Loop: Header=BB196_427 Depth=1
	s_or_b32 exec_lo, exec_lo, s18
.LBB196_470:                            ;   in Loop: Header=BB196_427 Depth=1
	s_or_b32 exec_lo, exec_lo, s17
	v_cmp_ne_u16_sdwa s0, v57, v6 src0_sel:BYTE_1 src1_sel:DWORD
	s_and_saveexec_b32 s17, s0
	s_cbranch_execz .LBB196_478
; %bb.471:                              ;   in Loop: Header=BB196_427 Depth=1
	v_mov_b32_e32 v7, v6
	v_mov_b32_e32 v20, v8
	v_cmp_ne_u16_sdwa s0, v57, v41 src0_sel:BYTE_1 src1_sel:DWORD
	v_mov_b32_e32 v19, v7
	s_and_saveexec_b32 s18, s0
	s_cbranch_execz .LBB196_477
; %bb.472:                              ;   in Loop: Header=BB196_427 Depth=1
	v_and_b32_sdwa v5, v42, v57 dst_sel:DWORD dst_unused:UNUSED_PAD src0_sel:DWORD src1_sel:BYTE_1
	v_mov_b32_e32 v9, v6
	v_mov_b32_e32 v20, v10
	s_mov_b32 s21, exec_lo
	v_and_b32_e32 v21, 0x7f, v5
	v_mov_b32_e32 v19, v9
	v_cmpx_ne_u32_e32 0x7f, v21
	s_cbranch_execz .LBB196_476
; %bb.473:                              ;   in Loop: Header=BB196_427 Depth=1
	v_and_b32_e32 v5, 7, v5
	v_lshrrev_b32_e32 v7, 3, v21
	s_mov_b32 s22, exec_lo
	v_cmpx_gt_u32_e32 8, v21
; %bb.474:                              ;   in Loop: Header=BB196_427 Depth=1
	v_ffbh_u32_e32 v7, v5
	v_min_u32_e32 v7, 32, v7
	v_subrev_nc_u32_e32 v9, 28, v7
	v_sub_nc_u32_e32 v7, 29, v7
	v_lshlrev_b64 v[19:20], v9, v[5:6]
	v_and_b32_e32 v5, 7, v19
; %bb.475:                              ;   in Loop: Header=BB196_427 Depth=1
	s_or_b32 exec_lo, exec_lo, s22
	v_lshlrev_b32_e32 v9, 16, v57
	v_lshlrev_b32_e32 v5, 20, v5
	v_lshl_add_u32 v7, v7, 23, 0x3c000000
	v_mov_b32_e32 v19, v6
	v_and_b32_e32 v9, 0x80000000, v9
	v_or3_b32 v20, v5, v9, v7
.LBB196_476:                            ;   in Loop: Header=BB196_427 Depth=1
	s_or_b32 exec_lo, exec_lo, s21
.LBB196_477:                            ;   in Loop: Header=BB196_427 Depth=1
	s_or_b32 exec_lo, exec_lo, s18
.LBB196_478:                            ;   in Loop: Header=BB196_427 Depth=1
	s_or_b32 exec_lo, exec_lo, s17
	v_mov_b32_e32 v23, 0
	v_mov_b32_e32 v21, 0
	v_and_b32_sdwa v5, v57, v43 dst_sel:DWORD dst_unused:UNUSED_PAD src0_sel:WORD_1 src1_sel:DWORD
	v_mov_b32_e32 v24, 0
	v_mov_b32_e32 v22, 0
	s_mov_b32 s17, exec_lo
	v_cmpx_ne_u16_e32 0, v5
	s_cbranch_execz .LBB196_486
; %bb.479:                              ;   in Loop: Header=BB196_427 Depth=1
	v_bfrev_b32_e32 v21, 1
	v_mov_b32_e32 v22, 0
	s_mov_b32 s18, exec_lo
	v_cmpx_ne_u16_e32 0x80, v5
	s_cbranch_execz .LBB196_485
; %bb.480:                              ;   in Loop: Header=BB196_427 Depth=1
	v_mov_b32_e32 v21, 0x7f800001
	v_bfe_u32 v9, v57, 16, 7
	v_mov_b32_e32 v22, 0
	s_mov_b32 s21, exec_lo
	v_cmpx_ne_u32_e32 0x7f, v9
	s_cbranch_execz .LBB196_484
; %bb.481:                              ;   in Loop: Header=BB196_427 Depth=1
	v_and_b32_sdwa v5, v57, v44 dst_sel:DWORD dst_unused:UNUSED_PAD src0_sel:WORD_1 src1_sel:DWORD
	v_lshrrev_b32_e32 v7, 3, v9
	s_mov_b32 s22, exec_lo
	v_cmpx_gt_u32_e32 8, v9
; %bb.482:                              ;   in Loop: Header=BB196_427 Depth=1
	v_ffbh_u32_e32 v7, v5
	v_min_u32_e32 v7, 32, v7
	v_subrev_nc_u32_e32 v9, 28, v7
	v_sub_nc_u32_e32 v7, 29, v7
	v_lshlrev_b64 v[21:22], v9, v[5:6]
	v_and_b32_e32 v5, 7, v21
; %bb.483:                              ;   in Loop: Header=BB196_427 Depth=1
	s_or_b32 exec_lo, exec_lo, s22
	v_lshlrev_b32_sdwa v9, v45, v57 dst_sel:DWORD dst_unused:UNUSED_PAD src0_sel:DWORD src1_sel:WORD_1
	v_lshlrev_b32_e32 v5, 20, v5
	v_lshl_add_u32 v7, v7, 23, 0x3c000000
	v_and_b32_e32 v9, 0x80000000, v9
	v_or3_b32 v5, v5, v9, v7
	v_mov_b32_e32 v22, v6
	v_mov_b32_e32 v21, v5
.LBB196_484:                            ;   in Loop: Header=BB196_427 Depth=1
	s_or_b32 exec_lo, exec_lo, s21
.LBB196_485:                            ;   in Loop: Header=BB196_427 Depth=1
	s_or_b32 exec_lo, exec_lo, s18
.LBB196_486:                            ;   in Loop: Header=BB196_427 Depth=1
	s_or_b32 exec_lo, exec_lo, s17
	s_mov_b32 s17, exec_lo
	v_cmpx_lt_u32_e32 0xffffff, v57
	s_cbranch_execz .LBB196_494
; %bb.487:                              ;   in Loop: Header=BB196_427 Depth=1
	v_mov_b32_e32 v7, v6
	v_mov_b32_e32 v24, v8
	v_cmp_ne_u32_sdwa s0, v57, v41 src0_sel:BYTE_3 src1_sel:DWORD
	v_mov_b32_e32 v23, v7
	s_and_saveexec_b32 s18, s0
	s_cbranch_execz .LBB196_493
; %bb.488:                              ;   in Loop: Header=BB196_427 Depth=1
	v_mov_b32_e32 v9, v6
	v_mov_b32_e32 v24, v10
	v_bfe_u32 v58, v57, 24, 7
	s_mov_b32 s21, exec_lo
	v_mov_b32_e32 v23, v9
	v_cmpx_ne_u32_e32 0x7f, v58
	s_cbranch_execz .LBB196_492
; %bb.489:                              ;   in Loop: Header=BB196_427 Depth=1
	v_and_b32_sdwa v5, v57, v44 dst_sel:DWORD dst_unused:UNUSED_PAD src0_sel:BYTE_3 src1_sel:DWORD
	v_lshrrev_b32_e32 v7, 3, v58
	s_mov_b32 s22, exec_lo
	v_cmpx_gt_u32_e32 8, v58
; %bb.490:                              ;   in Loop: Header=BB196_427 Depth=1
	v_ffbh_u32_e32 v7, v5
	v_min_u32_e32 v7, 32, v7
	v_subrev_nc_u32_e32 v9, 28, v7
	v_sub_nc_u32_e32 v7, 29, v7
	v_lshlrev_b64 v[23:24], v9, v[5:6]
	v_and_b32_e32 v5, 7, v23
; %bb.491:                              ;   in Loop: Header=BB196_427 Depth=1
	s_or_b32 exec_lo, exec_lo, s22
	v_lshlrev_b32_sdwa v9, v45, v57 dst_sel:DWORD dst_unused:UNUSED_PAD src0_sel:DWORD src1_sel:BYTE_3
	v_lshlrev_b32_e32 v5, 20, v5
	v_lshl_add_u32 v7, v7, 23, 0x3c000000
	v_mov_b32_e32 v23, v6
	v_and_b32_e32 v9, 0x80000000, v9
	v_or3_b32 v24, v5, v9, v7
.LBB196_492:                            ;   in Loop: Header=BB196_427 Depth=1
	s_or_b32 exec_lo, exec_lo, s21
.LBB196_493:                            ;   in Loop: Header=BB196_427 Depth=1
	s_or_b32 exec_lo, exec_lo, s18
.LBB196_494:                            ;   in Loop: Header=BB196_427 Depth=1
	s_or_b32 exec_lo, exec_lo, s17
	v_or_b32_e32 v5, v20, v18
	v_or_b32_e32 v7, v19, v17
	;; [unrolled: 1-line block ×4, first 2 shown]
	s_mov_b32 s17, s13
	v_mul_f32_e32 v61, s17, v5
	v_mul_f32_e32 v62, s13, v7
	;; [unrolled: 1-line block ×4, first 2 shown]
	s_and_saveexec_b32 s18, vcc_lo
	s_cbranch_execz .LBB196_496
; %bb.495:                              ;   in Loop: Header=BB196_427 Depth=1
	v_cmp_gt_i32_e64 s0, s31, v53
	v_cndmask_b32_e64 v62, 0, v62, s0
	v_cmp_gt_i32_e64 s0, s31, v56
	v_cndmask_b32_e64 v61, 0, v61, s0
	;; [unrolled: 2-line block ×4, first 2 shown]
.LBB196_496:                            ;   in Loop: Header=BB196_427 Depth=1
	s_or_b32 exec_lo, exec_lo, s18
	global_load_dword v63, v[15:16], off offset:256
	v_mov_b32_e32 v19, 0
	v_mov_b32_e32 v17, 0
	;; [unrolled: 1-line block ×4, first 2 shown]
	s_waitcnt vmcnt(0)
	v_cmp_ne_u16_sdwa s0, v63, v6 src0_sel:BYTE_0 src1_sel:DWORD
	s_and_saveexec_b32 s18, s0
	s_cbranch_execz .LBB196_504
; %bb.497:                              ;   in Loop: Header=BB196_427 Depth=1
	v_bfrev_b32_e32 v17, 1
	v_mov_b32_e32 v18, 0
	v_cmp_ne_u16_sdwa s0, v63, v41 src0_sel:BYTE_0 src1_sel:DWORD
	s_and_saveexec_b32 s21, s0
	s_cbranch_execz .LBB196_503
; %bb.498:                              ;   in Loop: Header=BB196_427 Depth=1
	v_mov_b32_e32 v17, 0x7f800001
	v_and_b32_e32 v9, 0x7f, v63
	v_mov_b32_e32 v18, 0
	s_mov_b32 s22, exec_lo
	v_cmpx_ne_u32_e32 0x7f, v9
	s_cbranch_execz .LBB196_502
; %bb.499:                              ;   in Loop: Header=BB196_427 Depth=1
	v_and_b32_e32 v5, 7, v63
	v_lshrrev_b32_e32 v7, 3, v9
	s_mov_b32 s24, exec_lo
	v_cmpx_gt_u32_e32 8, v9
; %bb.500:                              ;   in Loop: Header=BB196_427 Depth=1
	v_ffbh_u32_e32 v7, v5
	v_min_u32_e32 v7, 32, v7
	v_subrev_nc_u32_e32 v9, 28, v7
	v_sub_nc_u32_e32 v7, 29, v7
	v_lshlrev_b64 v[17:18], v9, v[5:6]
	v_and_b32_e32 v5, 7, v17
; %bb.501:                              ;   in Loop: Header=BB196_427 Depth=1
	s_or_b32 exec_lo, exec_lo, s24
	v_lshlrev_b32_e32 v9, 24, v63
	v_lshlrev_b32_e32 v5, 20, v5
	v_lshl_add_u32 v7, v7, 23, 0x3c000000
	v_and_b32_e32 v9, 0x80000000, v9
	v_or3_b32 v5, v5, v9, v7
	v_mov_b32_e32 v18, v6
	v_mov_b32_e32 v17, v5
.LBB196_502:                            ;   in Loop: Header=BB196_427 Depth=1
	s_or_b32 exec_lo, exec_lo, s22
.LBB196_503:                            ;   in Loop: Header=BB196_427 Depth=1
	s_or_b32 exec_lo, exec_lo, s21
.LBB196_504:                            ;   in Loop: Header=BB196_427 Depth=1
	s_or_b32 exec_lo, exec_lo, s18
	v_cmp_ne_u16_sdwa s0, v63, v6 src0_sel:BYTE_1 src1_sel:DWORD
	s_and_saveexec_b32 s18, s0
	s_cbranch_execz .LBB196_512
; %bb.505:                              ;   in Loop: Header=BB196_427 Depth=1
	v_mov_b32_e32 v7, v6
	v_mov_b32_e32 v20, v8
	v_cmp_ne_u16_sdwa s0, v63, v41 src0_sel:BYTE_1 src1_sel:DWORD
	v_mov_b32_e32 v19, v7
	s_and_saveexec_b32 s21, s0
	s_cbranch_execz .LBB196_511
; %bb.506:                              ;   in Loop: Header=BB196_427 Depth=1
	v_and_b32_sdwa v5, v42, v63 dst_sel:DWORD dst_unused:UNUSED_PAD src0_sel:DWORD src1_sel:BYTE_1
	v_mov_b32_e32 v9, v6
	v_mov_b32_e32 v20, v10
	s_mov_b32 s22, exec_lo
	v_and_b32_e32 v21, 0x7f, v5
	v_mov_b32_e32 v19, v9
	v_cmpx_ne_u32_e32 0x7f, v21
	s_cbranch_execz .LBB196_510
; %bb.507:                              ;   in Loop: Header=BB196_427 Depth=1
	v_and_b32_e32 v5, 7, v5
	v_lshrrev_b32_e32 v7, 3, v21
	s_mov_b32 s24, exec_lo
	v_cmpx_gt_u32_e32 8, v21
; %bb.508:                              ;   in Loop: Header=BB196_427 Depth=1
	v_ffbh_u32_e32 v7, v5
	v_min_u32_e32 v7, 32, v7
	v_subrev_nc_u32_e32 v9, 28, v7
	v_sub_nc_u32_e32 v7, 29, v7
	v_lshlrev_b64 v[19:20], v9, v[5:6]
	v_and_b32_e32 v5, 7, v19
; %bb.509:                              ;   in Loop: Header=BB196_427 Depth=1
	s_or_b32 exec_lo, exec_lo, s24
	v_lshlrev_b32_e32 v9, 16, v63
	v_lshlrev_b32_e32 v5, 20, v5
	v_lshl_add_u32 v7, v7, 23, 0x3c000000
	v_mov_b32_e32 v19, v6
	v_and_b32_e32 v9, 0x80000000, v9
	v_or3_b32 v20, v5, v9, v7
.LBB196_510:                            ;   in Loop: Header=BB196_427 Depth=1
	s_or_b32 exec_lo, exec_lo, s22
.LBB196_511:                            ;   in Loop: Header=BB196_427 Depth=1
	s_or_b32 exec_lo, exec_lo, s21
.LBB196_512:                            ;   in Loop: Header=BB196_427 Depth=1
	s_or_b32 exec_lo, exec_lo, s18
	v_mov_b32_e32 v23, 0
	v_mov_b32_e32 v21, 0
	v_and_b32_sdwa v5, v63, v43 dst_sel:DWORD dst_unused:UNUSED_PAD src0_sel:WORD_1 src1_sel:DWORD
	v_mov_b32_e32 v24, 0
	v_mov_b32_e32 v22, 0
	s_mov_b32 s18, exec_lo
	v_cmpx_ne_u16_e32 0, v5
	s_cbranch_execz .LBB196_520
; %bb.513:                              ;   in Loop: Header=BB196_427 Depth=1
	v_bfrev_b32_e32 v21, 1
	v_mov_b32_e32 v22, 0
	s_mov_b32 s21, exec_lo
	v_cmpx_ne_u16_e32 0x80, v5
	s_cbranch_execz .LBB196_519
; %bb.514:                              ;   in Loop: Header=BB196_427 Depth=1
	v_mov_b32_e32 v21, 0x7f800001
	v_bfe_u32 v9, v63, 16, 7
	v_mov_b32_e32 v22, 0
	s_mov_b32 s22, exec_lo
	v_cmpx_ne_u32_e32 0x7f, v9
	s_cbranch_execz .LBB196_518
; %bb.515:                              ;   in Loop: Header=BB196_427 Depth=1
	v_and_b32_sdwa v5, v63, v44 dst_sel:DWORD dst_unused:UNUSED_PAD src0_sel:WORD_1 src1_sel:DWORD
	v_lshrrev_b32_e32 v7, 3, v9
	s_mov_b32 s24, exec_lo
	v_cmpx_gt_u32_e32 8, v9
; %bb.516:                              ;   in Loop: Header=BB196_427 Depth=1
	v_ffbh_u32_e32 v7, v5
	v_min_u32_e32 v7, 32, v7
	v_subrev_nc_u32_e32 v9, 28, v7
	v_sub_nc_u32_e32 v7, 29, v7
	v_lshlrev_b64 v[21:22], v9, v[5:6]
	v_and_b32_e32 v5, 7, v21
; %bb.517:                              ;   in Loop: Header=BB196_427 Depth=1
	s_or_b32 exec_lo, exec_lo, s24
	v_lshlrev_b32_sdwa v9, v45, v63 dst_sel:DWORD dst_unused:UNUSED_PAD src0_sel:DWORD src1_sel:WORD_1
	v_lshlrev_b32_e32 v5, 20, v5
	v_lshl_add_u32 v7, v7, 23, 0x3c000000
	v_and_b32_e32 v9, 0x80000000, v9
	v_or3_b32 v5, v5, v9, v7
	v_mov_b32_e32 v22, v6
	v_mov_b32_e32 v21, v5
.LBB196_518:                            ;   in Loop: Header=BB196_427 Depth=1
	s_or_b32 exec_lo, exec_lo, s22
.LBB196_519:                            ;   in Loop: Header=BB196_427 Depth=1
	s_or_b32 exec_lo, exec_lo, s21
.LBB196_520:                            ;   in Loop: Header=BB196_427 Depth=1
	s_or_b32 exec_lo, exec_lo, s18
	s_mov_b32 s18, exec_lo
	v_cmpx_lt_u32_e32 0xffffff, v63
	s_cbranch_execz .LBB196_528
; %bb.521:                              ;   in Loop: Header=BB196_427 Depth=1
	v_mov_b32_e32 v7, v6
	v_mov_b32_e32 v24, v8
	v_cmp_ne_u32_sdwa s0, v63, v41 src0_sel:BYTE_3 src1_sel:DWORD
	v_mov_b32_e32 v23, v7
	s_and_saveexec_b32 s21, s0
	s_cbranch_execz .LBB196_527
; %bb.522:                              ;   in Loop: Header=BB196_427 Depth=1
	v_mov_b32_e32 v9, v6
	v_mov_b32_e32 v24, v10
	v_bfe_u32 v64, v63, 24, 7
	s_mov_b32 s22, exec_lo
	v_mov_b32_e32 v23, v9
	v_cmpx_ne_u32_e32 0x7f, v64
	s_cbranch_execz .LBB196_526
; %bb.523:                              ;   in Loop: Header=BB196_427 Depth=1
	v_and_b32_sdwa v5, v63, v44 dst_sel:DWORD dst_unused:UNUSED_PAD src0_sel:BYTE_3 src1_sel:DWORD
	v_lshrrev_b32_e32 v7, 3, v64
	s_mov_b32 s24, exec_lo
	v_cmpx_gt_u32_e32 8, v64
; %bb.524:                              ;   in Loop: Header=BB196_427 Depth=1
	v_ffbh_u32_e32 v7, v5
	v_min_u32_e32 v7, 32, v7
	v_subrev_nc_u32_e32 v9, 28, v7
	v_sub_nc_u32_e32 v7, 29, v7
	v_lshlrev_b64 v[23:24], v9, v[5:6]
	v_and_b32_e32 v5, 7, v23
; %bb.525:                              ;   in Loop: Header=BB196_427 Depth=1
	s_or_b32 exec_lo, exec_lo, s24
	v_lshlrev_b32_sdwa v9, v45, v63 dst_sel:DWORD dst_unused:UNUSED_PAD src0_sel:DWORD src1_sel:BYTE_3
	v_lshlrev_b32_e32 v5, 20, v5
	v_lshl_add_u32 v7, v7, 23, 0x3c000000
	v_mov_b32_e32 v23, v6
	v_and_b32_e32 v9, 0x80000000, v9
	v_or3_b32 v24, v5, v9, v7
.LBB196_526:                            ;   in Loop: Header=BB196_427 Depth=1
	s_or_b32 exec_lo, exec_lo, s22
.LBB196_527:                            ;   in Loop: Header=BB196_427 Depth=1
	s_or_b32 exec_lo, exec_lo, s21
.LBB196_528:                            ;   in Loop: Header=BB196_427 Depth=1
	s_or_b32 exec_lo, exec_lo, s18
	v_or_b32_e32 v5, v20, v18
	v_or_b32_e32 v7, v19, v17
	;; [unrolled: 1-line block ×4, first 2 shown]
	v_mul_f32_e32 v65, s17, v5
	v_mul_f32_e32 v66, s13, v7
	;; [unrolled: 1-line block ×4, first 2 shown]
	s_and_saveexec_b32 s18, vcc_lo
	s_cbranch_execz .LBB196_530
; %bb.529:                              ;   in Loop: Header=BB196_427 Depth=1
	v_cmp_gt_i32_e64 s0, s31, v53
	v_cndmask_b32_e64 v66, 0, v66, s0
	v_cmp_gt_i32_e64 s0, s31, v56
	v_cndmask_b32_e64 v65, 0, v65, s0
	;; [unrolled: 2-line block ×4, first 2 shown]
.LBB196_530:                            ;   in Loop: Header=BB196_427 Depth=1
	s_or_b32 exec_lo, exec_lo, s18
	global_load_dword v67, v[15:16], off offset:384
	v_mov_b32_e32 v19, 0
	v_mov_b32_e32 v17, 0
	;; [unrolled: 1-line block ×4, first 2 shown]
	s_waitcnt vmcnt(0)
	v_cmp_ne_u16_sdwa s0, v67, v6 src0_sel:BYTE_0 src1_sel:DWORD
	s_and_saveexec_b32 s18, s0
	s_cbranch_execz .LBB196_538
; %bb.531:                              ;   in Loop: Header=BB196_427 Depth=1
	v_bfrev_b32_e32 v17, 1
	v_mov_b32_e32 v18, 0
	v_cmp_ne_u16_sdwa s0, v67, v41 src0_sel:BYTE_0 src1_sel:DWORD
	s_and_saveexec_b32 s21, s0
	s_cbranch_execz .LBB196_537
; %bb.532:                              ;   in Loop: Header=BB196_427 Depth=1
	v_mov_b32_e32 v17, 0x7f800001
	v_and_b32_e32 v9, 0x7f, v67
	v_mov_b32_e32 v18, 0
	s_mov_b32 s22, exec_lo
	v_cmpx_ne_u32_e32 0x7f, v9
	s_cbranch_execz .LBB196_536
; %bb.533:                              ;   in Loop: Header=BB196_427 Depth=1
	v_and_b32_e32 v5, 7, v67
	v_lshrrev_b32_e32 v7, 3, v9
	s_mov_b32 s24, exec_lo
	v_cmpx_gt_u32_e32 8, v9
; %bb.534:                              ;   in Loop: Header=BB196_427 Depth=1
	v_ffbh_u32_e32 v7, v5
	v_min_u32_e32 v7, 32, v7
	v_subrev_nc_u32_e32 v9, 28, v7
	v_sub_nc_u32_e32 v7, 29, v7
	v_lshlrev_b64 v[17:18], v9, v[5:6]
	v_and_b32_e32 v5, 7, v17
; %bb.535:                              ;   in Loop: Header=BB196_427 Depth=1
	s_or_b32 exec_lo, exec_lo, s24
	v_lshlrev_b32_e32 v9, 24, v67
	v_lshlrev_b32_e32 v5, 20, v5
	v_lshl_add_u32 v7, v7, 23, 0x3c000000
	v_and_b32_e32 v9, 0x80000000, v9
	v_or3_b32 v5, v5, v9, v7
	v_mov_b32_e32 v18, v6
	v_mov_b32_e32 v17, v5
.LBB196_536:                            ;   in Loop: Header=BB196_427 Depth=1
	s_or_b32 exec_lo, exec_lo, s22
.LBB196_537:                            ;   in Loop: Header=BB196_427 Depth=1
	s_or_b32 exec_lo, exec_lo, s21
.LBB196_538:                            ;   in Loop: Header=BB196_427 Depth=1
	s_or_b32 exec_lo, exec_lo, s18
	v_cmp_ne_u16_sdwa s0, v67, v6 src0_sel:BYTE_1 src1_sel:DWORD
	s_and_saveexec_b32 s18, s0
	s_cbranch_execz .LBB196_546
; %bb.539:                              ;   in Loop: Header=BB196_427 Depth=1
	v_mov_b32_e32 v7, v6
	v_mov_b32_e32 v20, v8
	v_cmp_ne_u16_sdwa s0, v67, v41 src0_sel:BYTE_1 src1_sel:DWORD
	v_mov_b32_e32 v19, v7
	s_and_saveexec_b32 s21, s0
	s_cbranch_execz .LBB196_545
; %bb.540:                              ;   in Loop: Header=BB196_427 Depth=1
	v_and_b32_sdwa v5, v42, v67 dst_sel:DWORD dst_unused:UNUSED_PAD src0_sel:DWORD src1_sel:BYTE_1
	v_mov_b32_e32 v9, v6
	v_mov_b32_e32 v20, v10
	s_mov_b32 s22, exec_lo
	v_and_b32_e32 v21, 0x7f, v5
	v_mov_b32_e32 v19, v9
	v_cmpx_ne_u32_e32 0x7f, v21
	s_cbranch_execz .LBB196_544
; %bb.541:                              ;   in Loop: Header=BB196_427 Depth=1
	v_and_b32_e32 v5, 7, v5
	v_lshrrev_b32_e32 v7, 3, v21
	s_mov_b32 s24, exec_lo
	v_cmpx_gt_u32_e32 8, v21
; %bb.542:                              ;   in Loop: Header=BB196_427 Depth=1
	v_ffbh_u32_e32 v7, v5
	v_min_u32_e32 v7, 32, v7
	v_subrev_nc_u32_e32 v9, 28, v7
	v_sub_nc_u32_e32 v7, 29, v7
	v_lshlrev_b64 v[19:20], v9, v[5:6]
	v_and_b32_e32 v5, 7, v19
; %bb.543:                              ;   in Loop: Header=BB196_427 Depth=1
	s_or_b32 exec_lo, exec_lo, s24
	v_lshlrev_b32_e32 v9, 16, v67
	v_lshlrev_b32_e32 v5, 20, v5
	v_lshl_add_u32 v7, v7, 23, 0x3c000000
	v_mov_b32_e32 v19, v6
	v_and_b32_e32 v9, 0x80000000, v9
	v_or3_b32 v20, v5, v9, v7
.LBB196_544:                            ;   in Loop: Header=BB196_427 Depth=1
	s_or_b32 exec_lo, exec_lo, s22
.LBB196_545:                            ;   in Loop: Header=BB196_427 Depth=1
	s_or_b32 exec_lo, exec_lo, s21
.LBB196_546:                            ;   in Loop: Header=BB196_427 Depth=1
	s_or_b32 exec_lo, exec_lo, s18
	v_mov_b32_e32 v23, 0
	v_mov_b32_e32 v21, 0
	v_and_b32_sdwa v5, v67, v43 dst_sel:DWORD dst_unused:UNUSED_PAD src0_sel:WORD_1 src1_sel:DWORD
	v_mov_b32_e32 v24, 0
	v_mov_b32_e32 v22, 0
	s_mov_b32 s18, exec_lo
	v_cmpx_ne_u16_e32 0, v5
	s_cbranch_execz .LBB196_554
; %bb.547:                              ;   in Loop: Header=BB196_427 Depth=1
	v_bfrev_b32_e32 v21, 1
	v_mov_b32_e32 v22, 0
	s_mov_b32 s21, exec_lo
	v_cmpx_ne_u16_e32 0x80, v5
	s_cbranch_execz .LBB196_553
; %bb.548:                              ;   in Loop: Header=BB196_427 Depth=1
	v_mov_b32_e32 v21, 0x7f800001
	v_bfe_u32 v9, v67, 16, 7
	v_mov_b32_e32 v22, 0
	s_mov_b32 s22, exec_lo
	v_cmpx_ne_u32_e32 0x7f, v9
	s_cbranch_execz .LBB196_552
; %bb.549:                              ;   in Loop: Header=BB196_427 Depth=1
	v_and_b32_sdwa v5, v67, v44 dst_sel:DWORD dst_unused:UNUSED_PAD src0_sel:WORD_1 src1_sel:DWORD
	v_lshrrev_b32_e32 v7, 3, v9
	s_mov_b32 s24, exec_lo
	v_cmpx_gt_u32_e32 8, v9
; %bb.550:                              ;   in Loop: Header=BB196_427 Depth=1
	v_ffbh_u32_e32 v7, v5
	v_min_u32_e32 v7, 32, v7
	v_subrev_nc_u32_e32 v9, 28, v7
	v_sub_nc_u32_e32 v7, 29, v7
	v_lshlrev_b64 v[21:22], v9, v[5:6]
	v_and_b32_e32 v5, 7, v21
; %bb.551:                              ;   in Loop: Header=BB196_427 Depth=1
	s_or_b32 exec_lo, exec_lo, s24
	v_lshlrev_b32_sdwa v9, v45, v67 dst_sel:DWORD dst_unused:UNUSED_PAD src0_sel:DWORD src1_sel:WORD_1
	v_lshlrev_b32_e32 v5, 20, v5
	v_lshl_add_u32 v7, v7, 23, 0x3c000000
	v_and_b32_e32 v9, 0x80000000, v9
	v_or3_b32 v5, v5, v9, v7
	v_mov_b32_e32 v22, v6
	v_mov_b32_e32 v21, v5
.LBB196_552:                            ;   in Loop: Header=BB196_427 Depth=1
	s_or_b32 exec_lo, exec_lo, s22
.LBB196_553:                            ;   in Loop: Header=BB196_427 Depth=1
	s_or_b32 exec_lo, exec_lo, s21
.LBB196_554:                            ;   in Loop: Header=BB196_427 Depth=1
	s_or_b32 exec_lo, exec_lo, s18
	s_mov_b32 s18, exec_lo
	v_cmpx_lt_u32_e32 0xffffff, v67
	s_cbranch_execz .LBB196_562
; %bb.555:                              ;   in Loop: Header=BB196_427 Depth=1
	v_mov_b32_e32 v7, v6
	v_mov_b32_e32 v24, v8
	v_cmp_ne_u32_sdwa s0, v67, v41 src0_sel:BYTE_3 src1_sel:DWORD
	v_mov_b32_e32 v23, v7
	s_and_saveexec_b32 s21, s0
	s_cbranch_execz .LBB196_561
; %bb.556:                              ;   in Loop: Header=BB196_427 Depth=1
	v_mov_b32_e32 v9, v6
	v_mov_b32_e32 v24, v10
	v_bfe_u32 v68, v67, 24, 7
	s_mov_b32 s22, exec_lo
	v_mov_b32_e32 v23, v9
	v_cmpx_ne_u32_e32 0x7f, v68
	s_cbranch_execz .LBB196_560
; %bb.557:                              ;   in Loop: Header=BB196_427 Depth=1
	v_and_b32_sdwa v5, v67, v44 dst_sel:DWORD dst_unused:UNUSED_PAD src0_sel:BYTE_3 src1_sel:DWORD
	v_lshrrev_b32_e32 v7, 3, v68
	s_mov_b32 s24, exec_lo
	v_cmpx_gt_u32_e32 8, v68
; %bb.558:                              ;   in Loop: Header=BB196_427 Depth=1
	v_ffbh_u32_e32 v7, v5
	v_min_u32_e32 v7, 32, v7
	v_subrev_nc_u32_e32 v9, 28, v7
	v_sub_nc_u32_e32 v7, 29, v7
	v_lshlrev_b64 v[23:24], v9, v[5:6]
	v_and_b32_e32 v5, 7, v23
; %bb.559:                              ;   in Loop: Header=BB196_427 Depth=1
	s_or_b32 exec_lo, exec_lo, s24
	v_lshlrev_b32_sdwa v9, v45, v67 dst_sel:DWORD dst_unused:UNUSED_PAD src0_sel:DWORD src1_sel:BYTE_3
	v_lshlrev_b32_e32 v5, 20, v5
	v_lshl_add_u32 v7, v7, 23, 0x3c000000
	v_mov_b32_e32 v23, v6
	v_and_b32_e32 v9, 0x80000000, v9
	v_or3_b32 v24, v5, v9, v7
.LBB196_560:                            ;   in Loop: Header=BB196_427 Depth=1
	s_or_b32 exec_lo, exec_lo, s22
.LBB196_561:                            ;   in Loop: Header=BB196_427 Depth=1
	s_or_b32 exec_lo, exec_lo, s21
.LBB196_562:                            ;   in Loop: Header=BB196_427 Depth=1
	s_or_b32 exec_lo, exec_lo, s18
	v_or_b32_e32 v5, v20, v18
	v_or_b32_e32 v7, v19, v17
	;; [unrolled: 1-line block ×4, first 2 shown]
	v_mul_f32_e32 v69, s17, v5
	v_mul_f32_e32 v70, s13, v7
	;; [unrolled: 1-line block ×4, first 2 shown]
	s_and_saveexec_b32 s18, vcc_lo
	s_cbranch_execz .LBB196_564
; %bb.563:                              ;   in Loop: Header=BB196_427 Depth=1
	v_cmp_gt_i32_e64 s0, s31, v53
	v_cndmask_b32_e64 v70, 0, v70, s0
	v_cmp_gt_i32_e64 s0, s31, v56
	v_cndmask_b32_e64 v69, 0, v69, s0
	;; [unrolled: 2-line block ×4, first 2 shown]
.LBB196_564:                            ;   in Loop: Header=BB196_427 Depth=1
	s_or_b32 exec_lo, exec_lo, s18
	global_load_dword v71, v[15:16], off offset:512
	v_mov_b32_e32 v19, 0
	v_mov_b32_e32 v17, 0
	;; [unrolled: 1-line block ×4, first 2 shown]
	s_waitcnt vmcnt(0)
	v_cmp_ne_u16_sdwa s0, v71, v6 src0_sel:BYTE_0 src1_sel:DWORD
	s_and_saveexec_b32 s18, s0
	s_cbranch_execz .LBB196_572
; %bb.565:                              ;   in Loop: Header=BB196_427 Depth=1
	v_bfrev_b32_e32 v17, 1
	v_mov_b32_e32 v18, 0
	v_cmp_ne_u16_sdwa s0, v71, v41 src0_sel:BYTE_0 src1_sel:DWORD
	s_and_saveexec_b32 s21, s0
	s_cbranch_execz .LBB196_571
; %bb.566:                              ;   in Loop: Header=BB196_427 Depth=1
	v_mov_b32_e32 v17, 0x7f800001
	v_and_b32_e32 v9, 0x7f, v71
	v_mov_b32_e32 v18, 0
	s_mov_b32 s22, exec_lo
	v_cmpx_ne_u32_e32 0x7f, v9
	s_cbranch_execz .LBB196_570
; %bb.567:                              ;   in Loop: Header=BB196_427 Depth=1
	v_and_b32_e32 v5, 7, v71
	v_lshrrev_b32_e32 v7, 3, v9
	s_mov_b32 s24, exec_lo
	v_cmpx_gt_u32_e32 8, v9
; %bb.568:                              ;   in Loop: Header=BB196_427 Depth=1
	v_ffbh_u32_e32 v7, v5
	v_min_u32_e32 v7, 32, v7
	v_subrev_nc_u32_e32 v9, 28, v7
	v_sub_nc_u32_e32 v7, 29, v7
	v_lshlrev_b64 v[17:18], v9, v[5:6]
	v_and_b32_e32 v5, 7, v17
; %bb.569:                              ;   in Loop: Header=BB196_427 Depth=1
	s_or_b32 exec_lo, exec_lo, s24
	v_lshlrev_b32_e32 v9, 24, v71
	v_lshlrev_b32_e32 v5, 20, v5
	v_lshl_add_u32 v7, v7, 23, 0x3c000000
	v_and_b32_e32 v9, 0x80000000, v9
	v_or3_b32 v5, v5, v9, v7
	v_mov_b32_e32 v18, v6
	v_mov_b32_e32 v17, v5
.LBB196_570:                            ;   in Loop: Header=BB196_427 Depth=1
	s_or_b32 exec_lo, exec_lo, s22
.LBB196_571:                            ;   in Loop: Header=BB196_427 Depth=1
	s_or_b32 exec_lo, exec_lo, s21
.LBB196_572:                            ;   in Loop: Header=BB196_427 Depth=1
	s_or_b32 exec_lo, exec_lo, s18
	v_cmp_ne_u16_sdwa s0, v71, v6 src0_sel:BYTE_1 src1_sel:DWORD
	s_and_saveexec_b32 s18, s0
	s_cbranch_execz .LBB196_580
; %bb.573:                              ;   in Loop: Header=BB196_427 Depth=1
	v_mov_b32_e32 v7, v6
	v_mov_b32_e32 v20, v8
	v_cmp_ne_u16_sdwa s0, v71, v41 src0_sel:BYTE_1 src1_sel:DWORD
	v_mov_b32_e32 v19, v7
	s_and_saveexec_b32 s21, s0
	s_cbranch_execz .LBB196_579
; %bb.574:                              ;   in Loop: Header=BB196_427 Depth=1
	v_and_b32_sdwa v5, v42, v71 dst_sel:DWORD dst_unused:UNUSED_PAD src0_sel:DWORD src1_sel:BYTE_1
	v_mov_b32_e32 v9, v6
	v_mov_b32_e32 v20, v10
	s_mov_b32 s22, exec_lo
	v_and_b32_e32 v21, 0x7f, v5
	v_mov_b32_e32 v19, v9
	v_cmpx_ne_u32_e32 0x7f, v21
	s_cbranch_execz .LBB196_578
; %bb.575:                              ;   in Loop: Header=BB196_427 Depth=1
	v_and_b32_e32 v5, 7, v5
	v_lshrrev_b32_e32 v7, 3, v21
	s_mov_b32 s24, exec_lo
	v_cmpx_gt_u32_e32 8, v21
; %bb.576:                              ;   in Loop: Header=BB196_427 Depth=1
	v_ffbh_u32_e32 v7, v5
	v_min_u32_e32 v7, 32, v7
	v_subrev_nc_u32_e32 v9, 28, v7
	v_sub_nc_u32_e32 v7, 29, v7
	v_lshlrev_b64 v[19:20], v9, v[5:6]
	v_and_b32_e32 v5, 7, v19
; %bb.577:                              ;   in Loop: Header=BB196_427 Depth=1
	s_or_b32 exec_lo, exec_lo, s24
	v_lshlrev_b32_e32 v9, 16, v71
	v_lshlrev_b32_e32 v5, 20, v5
	v_lshl_add_u32 v7, v7, 23, 0x3c000000
	v_mov_b32_e32 v19, v6
	v_and_b32_e32 v9, 0x80000000, v9
	v_or3_b32 v20, v5, v9, v7
.LBB196_578:                            ;   in Loop: Header=BB196_427 Depth=1
	s_or_b32 exec_lo, exec_lo, s22
.LBB196_579:                            ;   in Loop: Header=BB196_427 Depth=1
	s_or_b32 exec_lo, exec_lo, s21
.LBB196_580:                            ;   in Loop: Header=BB196_427 Depth=1
	s_or_b32 exec_lo, exec_lo, s18
	v_mov_b32_e32 v23, 0
	v_mov_b32_e32 v21, 0
	v_and_b32_sdwa v5, v71, v43 dst_sel:DWORD dst_unused:UNUSED_PAD src0_sel:WORD_1 src1_sel:DWORD
	v_mov_b32_e32 v24, 0
	v_mov_b32_e32 v22, 0
	s_mov_b32 s18, exec_lo
	v_cmpx_ne_u16_e32 0, v5
	s_cbranch_execz .LBB196_588
; %bb.581:                              ;   in Loop: Header=BB196_427 Depth=1
	v_bfrev_b32_e32 v21, 1
	v_mov_b32_e32 v22, 0
	s_mov_b32 s21, exec_lo
	v_cmpx_ne_u16_e32 0x80, v5
	s_cbranch_execz .LBB196_587
; %bb.582:                              ;   in Loop: Header=BB196_427 Depth=1
	v_mov_b32_e32 v21, 0x7f800001
	v_bfe_u32 v9, v71, 16, 7
	v_mov_b32_e32 v22, 0
	s_mov_b32 s22, exec_lo
	v_cmpx_ne_u32_e32 0x7f, v9
	s_cbranch_execz .LBB196_586
; %bb.583:                              ;   in Loop: Header=BB196_427 Depth=1
	v_and_b32_sdwa v5, v71, v44 dst_sel:DWORD dst_unused:UNUSED_PAD src0_sel:WORD_1 src1_sel:DWORD
	v_lshrrev_b32_e32 v7, 3, v9
	s_mov_b32 s24, exec_lo
	v_cmpx_gt_u32_e32 8, v9
; %bb.584:                              ;   in Loop: Header=BB196_427 Depth=1
	v_ffbh_u32_e32 v7, v5
	v_min_u32_e32 v7, 32, v7
	v_subrev_nc_u32_e32 v9, 28, v7
	v_sub_nc_u32_e32 v7, 29, v7
	v_lshlrev_b64 v[21:22], v9, v[5:6]
	v_and_b32_e32 v5, 7, v21
; %bb.585:                              ;   in Loop: Header=BB196_427 Depth=1
	s_or_b32 exec_lo, exec_lo, s24
	v_lshlrev_b32_sdwa v9, v45, v71 dst_sel:DWORD dst_unused:UNUSED_PAD src0_sel:DWORD src1_sel:WORD_1
	v_lshlrev_b32_e32 v5, 20, v5
	v_lshl_add_u32 v7, v7, 23, 0x3c000000
	v_and_b32_e32 v9, 0x80000000, v9
	v_or3_b32 v5, v5, v9, v7
	v_mov_b32_e32 v22, v6
	v_mov_b32_e32 v21, v5
.LBB196_586:                            ;   in Loop: Header=BB196_427 Depth=1
	s_or_b32 exec_lo, exec_lo, s22
.LBB196_587:                            ;   in Loop: Header=BB196_427 Depth=1
	s_or_b32 exec_lo, exec_lo, s21
.LBB196_588:                            ;   in Loop: Header=BB196_427 Depth=1
	s_or_b32 exec_lo, exec_lo, s18
	s_mov_b32 s18, exec_lo
	v_cmpx_lt_u32_e32 0xffffff, v71
	s_cbranch_execz .LBB196_596
; %bb.589:                              ;   in Loop: Header=BB196_427 Depth=1
	v_mov_b32_e32 v7, v6
	v_mov_b32_e32 v24, v8
	v_cmp_ne_u32_sdwa s0, v71, v41 src0_sel:BYTE_3 src1_sel:DWORD
	v_mov_b32_e32 v23, v7
	s_and_saveexec_b32 s21, s0
	s_cbranch_execz .LBB196_595
; %bb.590:                              ;   in Loop: Header=BB196_427 Depth=1
	v_mov_b32_e32 v9, v6
	v_mov_b32_e32 v24, v10
	v_bfe_u32 v72, v71, 24, 7
	s_mov_b32 s22, exec_lo
	v_mov_b32_e32 v23, v9
	v_cmpx_ne_u32_e32 0x7f, v72
	s_cbranch_execz .LBB196_594
; %bb.591:                              ;   in Loop: Header=BB196_427 Depth=1
	v_and_b32_sdwa v5, v71, v44 dst_sel:DWORD dst_unused:UNUSED_PAD src0_sel:BYTE_3 src1_sel:DWORD
	v_lshrrev_b32_e32 v7, 3, v72
	s_mov_b32 s24, exec_lo
	v_cmpx_gt_u32_e32 8, v72
; %bb.592:                              ;   in Loop: Header=BB196_427 Depth=1
	v_ffbh_u32_e32 v7, v5
	v_min_u32_e32 v7, 32, v7
	v_subrev_nc_u32_e32 v9, 28, v7
	v_sub_nc_u32_e32 v7, 29, v7
	v_lshlrev_b64 v[23:24], v9, v[5:6]
	v_and_b32_e32 v5, 7, v23
; %bb.593:                              ;   in Loop: Header=BB196_427 Depth=1
	s_or_b32 exec_lo, exec_lo, s24
	v_lshlrev_b32_sdwa v9, v45, v71 dst_sel:DWORD dst_unused:UNUSED_PAD src0_sel:DWORD src1_sel:BYTE_3
	v_lshlrev_b32_e32 v5, 20, v5
	v_lshl_add_u32 v7, v7, 23, 0x3c000000
	v_mov_b32_e32 v23, v6
	v_and_b32_e32 v9, 0x80000000, v9
	v_or3_b32 v24, v5, v9, v7
.LBB196_594:                            ;   in Loop: Header=BB196_427 Depth=1
	s_or_b32 exec_lo, exec_lo, s22
.LBB196_595:                            ;   in Loop: Header=BB196_427 Depth=1
	s_or_b32 exec_lo, exec_lo, s21
.LBB196_596:                            ;   in Loop: Header=BB196_427 Depth=1
	s_or_b32 exec_lo, exec_lo, s18
	v_or_b32_e32 v5, v20, v18
	v_or_b32_e32 v7, v19, v17
	v_or_b32_e32 v9, v23, v21
	v_or_b32_e32 v17, v24, v22
	v_mul_f32_e32 v73, s17, v5
	v_mul_f32_e32 v74, s13, v7
	;; [unrolled: 1-line block ×4, first 2 shown]
	s_and_saveexec_b32 s18, vcc_lo
	s_cbranch_execz .LBB196_598
; %bb.597:                              ;   in Loop: Header=BB196_427 Depth=1
	v_cmp_gt_i32_e64 s0, s31, v53
	v_cndmask_b32_e64 v74, 0, v74, s0
	v_cmp_gt_i32_e64 s0, s31, v56
	v_cndmask_b32_e64 v73, 0, v73, s0
	;; [unrolled: 2-line block ×4, first 2 shown]
.LBB196_598:                            ;   in Loop: Header=BB196_427 Depth=1
	s_or_b32 exec_lo, exec_lo, s18
	global_load_dword v75, v[15:16], off offset:640
	v_mov_b32_e32 v19, 0
	v_mov_b32_e32 v17, 0
	;; [unrolled: 1-line block ×4, first 2 shown]
	s_waitcnt vmcnt(0)
	v_cmp_ne_u16_sdwa s0, v75, v6 src0_sel:BYTE_0 src1_sel:DWORD
	s_and_saveexec_b32 s18, s0
	s_cbranch_execz .LBB196_606
; %bb.599:                              ;   in Loop: Header=BB196_427 Depth=1
	v_bfrev_b32_e32 v17, 1
	v_mov_b32_e32 v18, 0
	v_cmp_ne_u16_sdwa s0, v75, v41 src0_sel:BYTE_0 src1_sel:DWORD
	s_and_saveexec_b32 s21, s0
	s_cbranch_execz .LBB196_605
; %bb.600:                              ;   in Loop: Header=BB196_427 Depth=1
	v_mov_b32_e32 v17, 0x7f800001
	v_and_b32_e32 v9, 0x7f, v75
	v_mov_b32_e32 v18, 0
	s_mov_b32 s22, exec_lo
	v_cmpx_ne_u32_e32 0x7f, v9
	s_cbranch_execz .LBB196_604
; %bb.601:                              ;   in Loop: Header=BB196_427 Depth=1
	v_and_b32_e32 v5, 7, v75
	v_lshrrev_b32_e32 v7, 3, v9
	s_mov_b32 s24, exec_lo
	v_cmpx_gt_u32_e32 8, v9
; %bb.602:                              ;   in Loop: Header=BB196_427 Depth=1
	v_ffbh_u32_e32 v7, v5
	v_min_u32_e32 v7, 32, v7
	v_subrev_nc_u32_e32 v9, 28, v7
	v_sub_nc_u32_e32 v7, 29, v7
	v_lshlrev_b64 v[17:18], v9, v[5:6]
	v_and_b32_e32 v5, 7, v17
; %bb.603:                              ;   in Loop: Header=BB196_427 Depth=1
	s_or_b32 exec_lo, exec_lo, s24
	v_lshlrev_b32_e32 v9, 24, v75
	v_lshlrev_b32_e32 v5, 20, v5
	v_lshl_add_u32 v7, v7, 23, 0x3c000000
	v_and_b32_e32 v9, 0x80000000, v9
	v_or3_b32 v5, v5, v9, v7
	v_mov_b32_e32 v18, v6
	v_mov_b32_e32 v17, v5
.LBB196_604:                            ;   in Loop: Header=BB196_427 Depth=1
	s_or_b32 exec_lo, exec_lo, s22
.LBB196_605:                            ;   in Loop: Header=BB196_427 Depth=1
	s_or_b32 exec_lo, exec_lo, s21
.LBB196_606:                            ;   in Loop: Header=BB196_427 Depth=1
	s_or_b32 exec_lo, exec_lo, s18
	v_cmp_ne_u16_sdwa s0, v75, v6 src0_sel:BYTE_1 src1_sel:DWORD
	s_and_saveexec_b32 s18, s0
	s_cbranch_execz .LBB196_614
; %bb.607:                              ;   in Loop: Header=BB196_427 Depth=1
	v_mov_b32_e32 v7, v6
	v_mov_b32_e32 v20, v8
	v_cmp_ne_u16_sdwa s0, v75, v41 src0_sel:BYTE_1 src1_sel:DWORD
	v_mov_b32_e32 v19, v7
	s_and_saveexec_b32 s21, s0
	s_cbranch_execz .LBB196_613
; %bb.608:                              ;   in Loop: Header=BB196_427 Depth=1
	v_and_b32_sdwa v5, v42, v75 dst_sel:DWORD dst_unused:UNUSED_PAD src0_sel:DWORD src1_sel:BYTE_1
	v_mov_b32_e32 v9, v6
	v_mov_b32_e32 v20, v10
	s_mov_b32 s22, exec_lo
	v_and_b32_e32 v21, 0x7f, v5
	v_mov_b32_e32 v19, v9
	v_cmpx_ne_u32_e32 0x7f, v21
	s_cbranch_execz .LBB196_612
; %bb.609:                              ;   in Loop: Header=BB196_427 Depth=1
	v_and_b32_e32 v5, 7, v5
	v_lshrrev_b32_e32 v7, 3, v21
	s_mov_b32 s24, exec_lo
	v_cmpx_gt_u32_e32 8, v21
; %bb.610:                              ;   in Loop: Header=BB196_427 Depth=1
	v_ffbh_u32_e32 v7, v5
	v_min_u32_e32 v7, 32, v7
	v_subrev_nc_u32_e32 v9, 28, v7
	v_sub_nc_u32_e32 v7, 29, v7
	v_lshlrev_b64 v[19:20], v9, v[5:6]
	v_and_b32_e32 v5, 7, v19
; %bb.611:                              ;   in Loop: Header=BB196_427 Depth=1
	s_or_b32 exec_lo, exec_lo, s24
	v_lshlrev_b32_e32 v9, 16, v75
	v_lshlrev_b32_e32 v5, 20, v5
	v_lshl_add_u32 v7, v7, 23, 0x3c000000
	v_mov_b32_e32 v19, v6
	v_and_b32_e32 v9, 0x80000000, v9
	v_or3_b32 v20, v5, v9, v7
.LBB196_612:                            ;   in Loop: Header=BB196_427 Depth=1
	s_or_b32 exec_lo, exec_lo, s22
.LBB196_613:                            ;   in Loop: Header=BB196_427 Depth=1
	s_or_b32 exec_lo, exec_lo, s21
.LBB196_614:                            ;   in Loop: Header=BB196_427 Depth=1
	s_or_b32 exec_lo, exec_lo, s18
	v_mov_b32_e32 v23, 0
	v_mov_b32_e32 v21, 0
	v_and_b32_sdwa v5, v75, v43 dst_sel:DWORD dst_unused:UNUSED_PAD src0_sel:WORD_1 src1_sel:DWORD
	v_mov_b32_e32 v24, 0
	v_mov_b32_e32 v22, 0
	s_mov_b32 s18, exec_lo
	v_cmpx_ne_u16_e32 0, v5
	s_cbranch_execz .LBB196_622
; %bb.615:                              ;   in Loop: Header=BB196_427 Depth=1
	v_bfrev_b32_e32 v21, 1
	v_mov_b32_e32 v22, 0
	s_mov_b32 s21, exec_lo
	v_cmpx_ne_u16_e32 0x80, v5
	s_cbranch_execz .LBB196_621
; %bb.616:                              ;   in Loop: Header=BB196_427 Depth=1
	v_mov_b32_e32 v21, 0x7f800001
	v_bfe_u32 v9, v75, 16, 7
	v_mov_b32_e32 v22, 0
	s_mov_b32 s22, exec_lo
	v_cmpx_ne_u32_e32 0x7f, v9
	s_cbranch_execz .LBB196_620
; %bb.617:                              ;   in Loop: Header=BB196_427 Depth=1
	v_and_b32_sdwa v5, v75, v44 dst_sel:DWORD dst_unused:UNUSED_PAD src0_sel:WORD_1 src1_sel:DWORD
	v_lshrrev_b32_e32 v7, 3, v9
	s_mov_b32 s24, exec_lo
	v_cmpx_gt_u32_e32 8, v9
; %bb.618:                              ;   in Loop: Header=BB196_427 Depth=1
	v_ffbh_u32_e32 v7, v5
	v_min_u32_e32 v7, 32, v7
	v_subrev_nc_u32_e32 v9, 28, v7
	v_sub_nc_u32_e32 v7, 29, v7
	v_lshlrev_b64 v[21:22], v9, v[5:6]
	v_and_b32_e32 v5, 7, v21
; %bb.619:                              ;   in Loop: Header=BB196_427 Depth=1
	s_or_b32 exec_lo, exec_lo, s24
	v_lshlrev_b32_sdwa v9, v45, v75 dst_sel:DWORD dst_unused:UNUSED_PAD src0_sel:DWORD src1_sel:WORD_1
	v_lshlrev_b32_e32 v5, 20, v5
	v_lshl_add_u32 v7, v7, 23, 0x3c000000
	v_and_b32_e32 v9, 0x80000000, v9
	v_or3_b32 v5, v5, v9, v7
	v_mov_b32_e32 v22, v6
	v_mov_b32_e32 v21, v5
.LBB196_620:                            ;   in Loop: Header=BB196_427 Depth=1
	s_or_b32 exec_lo, exec_lo, s22
.LBB196_621:                            ;   in Loop: Header=BB196_427 Depth=1
	s_or_b32 exec_lo, exec_lo, s21
.LBB196_622:                            ;   in Loop: Header=BB196_427 Depth=1
	s_or_b32 exec_lo, exec_lo, s18
	s_mov_b32 s18, exec_lo
	v_cmpx_lt_u32_e32 0xffffff, v75
	s_cbranch_execz .LBB196_630
; %bb.623:                              ;   in Loop: Header=BB196_427 Depth=1
	v_mov_b32_e32 v7, v6
	v_mov_b32_e32 v24, v8
	v_cmp_ne_u32_sdwa s0, v75, v41 src0_sel:BYTE_3 src1_sel:DWORD
	v_mov_b32_e32 v23, v7
	s_and_saveexec_b32 s21, s0
	s_cbranch_execz .LBB196_629
; %bb.624:                              ;   in Loop: Header=BB196_427 Depth=1
	v_mov_b32_e32 v9, v6
	v_mov_b32_e32 v24, v10
	v_bfe_u32 v76, v75, 24, 7
	s_mov_b32 s22, exec_lo
	v_mov_b32_e32 v23, v9
	v_cmpx_ne_u32_e32 0x7f, v76
	s_cbranch_execz .LBB196_628
; %bb.625:                              ;   in Loop: Header=BB196_427 Depth=1
	v_and_b32_sdwa v5, v75, v44 dst_sel:DWORD dst_unused:UNUSED_PAD src0_sel:BYTE_3 src1_sel:DWORD
	v_lshrrev_b32_e32 v7, 3, v76
	s_mov_b32 s24, exec_lo
	v_cmpx_gt_u32_e32 8, v76
; %bb.626:                              ;   in Loop: Header=BB196_427 Depth=1
	v_ffbh_u32_e32 v7, v5
	v_min_u32_e32 v7, 32, v7
	v_subrev_nc_u32_e32 v9, 28, v7
	v_sub_nc_u32_e32 v7, 29, v7
	v_lshlrev_b64 v[23:24], v9, v[5:6]
	v_and_b32_e32 v5, 7, v23
; %bb.627:                              ;   in Loop: Header=BB196_427 Depth=1
	s_or_b32 exec_lo, exec_lo, s24
	v_lshlrev_b32_sdwa v9, v45, v75 dst_sel:DWORD dst_unused:UNUSED_PAD src0_sel:DWORD src1_sel:BYTE_3
	v_lshlrev_b32_e32 v5, 20, v5
	v_lshl_add_u32 v7, v7, 23, 0x3c000000
	v_mov_b32_e32 v23, v6
	v_and_b32_e32 v9, 0x80000000, v9
	v_or3_b32 v24, v5, v9, v7
.LBB196_628:                            ;   in Loop: Header=BB196_427 Depth=1
	s_or_b32 exec_lo, exec_lo, s22
.LBB196_629:                            ;   in Loop: Header=BB196_427 Depth=1
	s_or_b32 exec_lo, exec_lo, s21
.LBB196_630:                            ;   in Loop: Header=BB196_427 Depth=1
	s_or_b32 exec_lo, exec_lo, s18
	v_or_b32_e32 v5, v20, v18
	v_or_b32_e32 v7, v19, v17
	;; [unrolled: 1-line block ×4, first 2 shown]
	v_mul_f32_e32 v77, s17, v5
	v_mul_f32_e32 v78, s13, v7
	;; [unrolled: 1-line block ×4, first 2 shown]
	s_and_saveexec_b32 s18, vcc_lo
	s_cbranch_execz .LBB196_632
; %bb.631:                              ;   in Loop: Header=BB196_427 Depth=1
	v_cmp_gt_i32_e64 s0, s31, v53
	v_cndmask_b32_e64 v78, 0, v78, s0
	v_cmp_gt_i32_e64 s0, s31, v56
	v_cndmask_b32_e64 v77, 0, v77, s0
	;; [unrolled: 2-line block ×4, first 2 shown]
.LBB196_632:                            ;   in Loop: Header=BB196_427 Depth=1
	s_or_b32 exec_lo, exec_lo, s18
	global_load_dword v79, v[15:16], off offset:768
	v_mov_b32_e32 v19, 0
	v_mov_b32_e32 v17, 0
	;; [unrolled: 1-line block ×4, first 2 shown]
	s_waitcnt vmcnt(0)
	v_cmp_ne_u16_sdwa s0, v79, v6 src0_sel:BYTE_0 src1_sel:DWORD
	s_and_saveexec_b32 s18, s0
	s_cbranch_execz .LBB196_640
; %bb.633:                              ;   in Loop: Header=BB196_427 Depth=1
	v_bfrev_b32_e32 v17, 1
	v_mov_b32_e32 v18, 0
	v_cmp_ne_u16_sdwa s0, v79, v41 src0_sel:BYTE_0 src1_sel:DWORD
	s_and_saveexec_b32 s21, s0
	s_cbranch_execz .LBB196_639
; %bb.634:                              ;   in Loop: Header=BB196_427 Depth=1
	v_mov_b32_e32 v17, 0x7f800001
	v_and_b32_e32 v9, 0x7f, v79
	v_mov_b32_e32 v18, 0
	s_mov_b32 s22, exec_lo
	v_cmpx_ne_u32_e32 0x7f, v9
	s_cbranch_execz .LBB196_638
; %bb.635:                              ;   in Loop: Header=BB196_427 Depth=1
	v_and_b32_e32 v5, 7, v79
	v_lshrrev_b32_e32 v7, 3, v9
	s_mov_b32 s24, exec_lo
	v_cmpx_gt_u32_e32 8, v9
; %bb.636:                              ;   in Loop: Header=BB196_427 Depth=1
	v_ffbh_u32_e32 v7, v5
	v_min_u32_e32 v7, 32, v7
	v_subrev_nc_u32_e32 v9, 28, v7
	v_sub_nc_u32_e32 v7, 29, v7
	v_lshlrev_b64 v[17:18], v9, v[5:6]
	v_and_b32_e32 v5, 7, v17
; %bb.637:                              ;   in Loop: Header=BB196_427 Depth=1
	s_or_b32 exec_lo, exec_lo, s24
	v_lshlrev_b32_e32 v9, 24, v79
	v_lshlrev_b32_e32 v5, 20, v5
	v_lshl_add_u32 v7, v7, 23, 0x3c000000
	v_and_b32_e32 v9, 0x80000000, v9
	v_or3_b32 v5, v5, v9, v7
	v_mov_b32_e32 v18, v6
	v_mov_b32_e32 v17, v5
.LBB196_638:                            ;   in Loop: Header=BB196_427 Depth=1
	s_or_b32 exec_lo, exec_lo, s22
.LBB196_639:                            ;   in Loop: Header=BB196_427 Depth=1
	s_or_b32 exec_lo, exec_lo, s21
.LBB196_640:                            ;   in Loop: Header=BB196_427 Depth=1
	s_or_b32 exec_lo, exec_lo, s18
	v_cmp_ne_u16_sdwa s0, v79, v6 src0_sel:BYTE_1 src1_sel:DWORD
	s_and_saveexec_b32 s18, s0
	s_cbranch_execz .LBB196_648
; %bb.641:                              ;   in Loop: Header=BB196_427 Depth=1
	v_mov_b32_e32 v7, v6
	v_mov_b32_e32 v20, v8
	v_cmp_ne_u16_sdwa s0, v79, v41 src0_sel:BYTE_1 src1_sel:DWORD
	v_mov_b32_e32 v19, v7
	s_and_saveexec_b32 s21, s0
	s_cbranch_execz .LBB196_647
; %bb.642:                              ;   in Loop: Header=BB196_427 Depth=1
	v_and_b32_sdwa v5, v42, v79 dst_sel:DWORD dst_unused:UNUSED_PAD src0_sel:DWORD src1_sel:BYTE_1
	v_mov_b32_e32 v9, v6
	v_mov_b32_e32 v20, v10
	s_mov_b32 s22, exec_lo
	v_and_b32_e32 v21, 0x7f, v5
	v_mov_b32_e32 v19, v9
	v_cmpx_ne_u32_e32 0x7f, v21
	s_cbranch_execz .LBB196_646
; %bb.643:                              ;   in Loop: Header=BB196_427 Depth=1
	v_and_b32_e32 v5, 7, v5
	v_lshrrev_b32_e32 v7, 3, v21
	s_mov_b32 s24, exec_lo
	v_cmpx_gt_u32_e32 8, v21
; %bb.644:                              ;   in Loop: Header=BB196_427 Depth=1
	v_ffbh_u32_e32 v7, v5
	v_min_u32_e32 v7, 32, v7
	v_subrev_nc_u32_e32 v9, 28, v7
	v_sub_nc_u32_e32 v7, 29, v7
	v_lshlrev_b64 v[19:20], v9, v[5:6]
	v_and_b32_e32 v5, 7, v19
; %bb.645:                              ;   in Loop: Header=BB196_427 Depth=1
	s_or_b32 exec_lo, exec_lo, s24
	v_lshlrev_b32_e32 v9, 16, v79
	v_lshlrev_b32_e32 v5, 20, v5
	v_lshl_add_u32 v7, v7, 23, 0x3c000000
	v_mov_b32_e32 v19, v6
	v_and_b32_e32 v9, 0x80000000, v9
	v_or3_b32 v20, v5, v9, v7
.LBB196_646:                            ;   in Loop: Header=BB196_427 Depth=1
	s_or_b32 exec_lo, exec_lo, s22
.LBB196_647:                            ;   in Loop: Header=BB196_427 Depth=1
	s_or_b32 exec_lo, exec_lo, s21
.LBB196_648:                            ;   in Loop: Header=BB196_427 Depth=1
	s_or_b32 exec_lo, exec_lo, s18
	v_mov_b32_e32 v23, 0
	v_mov_b32_e32 v21, 0
	v_and_b32_sdwa v5, v79, v43 dst_sel:DWORD dst_unused:UNUSED_PAD src0_sel:WORD_1 src1_sel:DWORD
	v_mov_b32_e32 v24, 0
	v_mov_b32_e32 v22, 0
	s_mov_b32 s18, exec_lo
	v_cmpx_ne_u16_e32 0, v5
	s_cbranch_execz .LBB196_656
; %bb.649:                              ;   in Loop: Header=BB196_427 Depth=1
	v_bfrev_b32_e32 v21, 1
	v_mov_b32_e32 v22, 0
	s_mov_b32 s21, exec_lo
	v_cmpx_ne_u16_e32 0x80, v5
	s_cbranch_execz .LBB196_655
; %bb.650:                              ;   in Loop: Header=BB196_427 Depth=1
	v_mov_b32_e32 v21, 0x7f800001
	v_bfe_u32 v9, v79, 16, 7
	v_mov_b32_e32 v22, 0
	s_mov_b32 s22, exec_lo
	v_cmpx_ne_u32_e32 0x7f, v9
	s_cbranch_execz .LBB196_654
; %bb.651:                              ;   in Loop: Header=BB196_427 Depth=1
	v_and_b32_sdwa v5, v79, v44 dst_sel:DWORD dst_unused:UNUSED_PAD src0_sel:WORD_1 src1_sel:DWORD
	v_lshrrev_b32_e32 v7, 3, v9
	s_mov_b32 s24, exec_lo
	v_cmpx_gt_u32_e32 8, v9
; %bb.652:                              ;   in Loop: Header=BB196_427 Depth=1
	v_ffbh_u32_e32 v7, v5
	v_min_u32_e32 v7, 32, v7
	v_subrev_nc_u32_e32 v9, 28, v7
	v_sub_nc_u32_e32 v7, 29, v7
	v_lshlrev_b64 v[21:22], v9, v[5:6]
	v_and_b32_e32 v5, 7, v21
; %bb.653:                              ;   in Loop: Header=BB196_427 Depth=1
	s_or_b32 exec_lo, exec_lo, s24
	v_lshlrev_b32_sdwa v9, v45, v79 dst_sel:DWORD dst_unused:UNUSED_PAD src0_sel:DWORD src1_sel:WORD_1
	v_lshlrev_b32_e32 v5, 20, v5
	v_lshl_add_u32 v7, v7, 23, 0x3c000000
	v_and_b32_e32 v9, 0x80000000, v9
	v_or3_b32 v5, v5, v9, v7
	v_mov_b32_e32 v22, v6
	v_mov_b32_e32 v21, v5
.LBB196_654:                            ;   in Loop: Header=BB196_427 Depth=1
	s_or_b32 exec_lo, exec_lo, s22
.LBB196_655:                            ;   in Loop: Header=BB196_427 Depth=1
	s_or_b32 exec_lo, exec_lo, s21
.LBB196_656:                            ;   in Loop: Header=BB196_427 Depth=1
	s_or_b32 exec_lo, exec_lo, s18
	s_mov_b32 s18, exec_lo
	v_cmpx_lt_u32_e32 0xffffff, v79
	s_cbranch_execz .LBB196_664
; %bb.657:                              ;   in Loop: Header=BB196_427 Depth=1
	v_mov_b32_e32 v7, v6
	v_mov_b32_e32 v24, v8
	v_cmp_ne_u32_sdwa s0, v79, v41 src0_sel:BYTE_3 src1_sel:DWORD
	v_mov_b32_e32 v23, v7
	s_and_saveexec_b32 s21, s0
	s_cbranch_execz .LBB196_663
; %bb.658:                              ;   in Loop: Header=BB196_427 Depth=1
	v_mov_b32_e32 v9, v6
	v_mov_b32_e32 v24, v10
	v_bfe_u32 v80, v79, 24, 7
	s_mov_b32 s22, exec_lo
	v_mov_b32_e32 v23, v9
	v_cmpx_ne_u32_e32 0x7f, v80
	s_cbranch_execz .LBB196_662
; %bb.659:                              ;   in Loop: Header=BB196_427 Depth=1
	v_and_b32_sdwa v5, v79, v44 dst_sel:DWORD dst_unused:UNUSED_PAD src0_sel:BYTE_3 src1_sel:DWORD
	v_lshrrev_b32_e32 v7, 3, v80
	s_mov_b32 s24, exec_lo
	v_cmpx_gt_u32_e32 8, v80
; %bb.660:                              ;   in Loop: Header=BB196_427 Depth=1
	v_ffbh_u32_e32 v7, v5
	v_min_u32_e32 v7, 32, v7
	v_subrev_nc_u32_e32 v9, 28, v7
	v_sub_nc_u32_e32 v7, 29, v7
	v_lshlrev_b64 v[23:24], v9, v[5:6]
	v_and_b32_e32 v5, 7, v23
; %bb.661:                              ;   in Loop: Header=BB196_427 Depth=1
	s_or_b32 exec_lo, exec_lo, s24
	v_lshlrev_b32_sdwa v9, v45, v79 dst_sel:DWORD dst_unused:UNUSED_PAD src0_sel:DWORD src1_sel:BYTE_3
	v_lshlrev_b32_e32 v5, 20, v5
	v_lshl_add_u32 v7, v7, 23, 0x3c000000
	v_mov_b32_e32 v23, v6
	v_and_b32_e32 v9, 0x80000000, v9
	v_or3_b32 v24, v5, v9, v7
.LBB196_662:                            ;   in Loop: Header=BB196_427 Depth=1
	s_or_b32 exec_lo, exec_lo, s22
.LBB196_663:                            ;   in Loop: Header=BB196_427 Depth=1
	s_or_b32 exec_lo, exec_lo, s21
.LBB196_664:                            ;   in Loop: Header=BB196_427 Depth=1
	s_or_b32 exec_lo, exec_lo, s18
	v_or_b32_e32 v5, v20, v18
	v_or_b32_e32 v7, v19, v17
	;; [unrolled: 1-line block ×4, first 2 shown]
	v_mul_f32_e32 v81, s17, v5
	v_mul_f32_e32 v82, s13, v7
	;; [unrolled: 1-line block ×4, first 2 shown]
	s_and_saveexec_b32 s18, vcc_lo
	s_cbranch_execz .LBB196_666
; %bb.665:                              ;   in Loop: Header=BB196_427 Depth=1
	v_cmp_gt_i32_e64 s0, s31, v53
	v_cndmask_b32_e64 v82, 0, v82, s0
	v_cmp_gt_i32_e64 s0, s31, v56
	v_cndmask_b32_e64 v81, 0, v81, s0
	;; [unrolled: 2-line block ×4, first 2 shown]
.LBB196_666:                            ;   in Loop: Header=BB196_427 Depth=1
	s_or_b32 exec_lo, exec_lo, s18
	global_load_dword v83, v[15:16], off offset:896
	v_mov_b32_e32 v19, 0
	v_mov_b32_e32 v17, 0
	;; [unrolled: 1-line block ×4, first 2 shown]
	s_waitcnt vmcnt(0)
	v_cmp_ne_u16_sdwa s0, v83, v6 src0_sel:BYTE_0 src1_sel:DWORD
	s_and_saveexec_b32 s18, s0
	s_cbranch_execz .LBB196_674
; %bb.667:                              ;   in Loop: Header=BB196_427 Depth=1
	v_bfrev_b32_e32 v17, 1
	v_mov_b32_e32 v18, 0
	v_cmp_ne_u16_sdwa s0, v83, v41 src0_sel:BYTE_0 src1_sel:DWORD
	s_and_saveexec_b32 s21, s0
	s_cbranch_execz .LBB196_673
; %bb.668:                              ;   in Loop: Header=BB196_427 Depth=1
	v_mov_b32_e32 v17, 0x7f800001
	v_and_b32_e32 v9, 0x7f, v83
	v_mov_b32_e32 v18, 0
	s_mov_b32 s22, exec_lo
	v_cmpx_ne_u32_e32 0x7f, v9
	s_cbranch_execz .LBB196_672
; %bb.669:                              ;   in Loop: Header=BB196_427 Depth=1
	v_and_b32_e32 v5, 7, v83
	v_lshrrev_b32_e32 v7, 3, v9
	s_mov_b32 s24, exec_lo
	v_cmpx_gt_u32_e32 8, v9
; %bb.670:                              ;   in Loop: Header=BB196_427 Depth=1
	v_ffbh_u32_e32 v7, v5
	v_min_u32_e32 v7, 32, v7
	v_subrev_nc_u32_e32 v9, 28, v7
	v_sub_nc_u32_e32 v7, 29, v7
	v_lshlrev_b64 v[17:18], v9, v[5:6]
	v_and_b32_e32 v5, 7, v17
; %bb.671:                              ;   in Loop: Header=BB196_427 Depth=1
	s_or_b32 exec_lo, exec_lo, s24
	v_lshlrev_b32_e32 v9, 24, v83
	v_lshlrev_b32_e32 v5, 20, v5
	v_lshl_add_u32 v7, v7, 23, 0x3c000000
	v_and_b32_e32 v9, 0x80000000, v9
	v_or3_b32 v5, v5, v9, v7
	v_mov_b32_e32 v18, v6
	v_mov_b32_e32 v17, v5
.LBB196_672:                            ;   in Loop: Header=BB196_427 Depth=1
	s_or_b32 exec_lo, exec_lo, s22
.LBB196_673:                            ;   in Loop: Header=BB196_427 Depth=1
	s_or_b32 exec_lo, exec_lo, s21
.LBB196_674:                            ;   in Loop: Header=BB196_427 Depth=1
	s_or_b32 exec_lo, exec_lo, s18
	v_cmp_ne_u16_sdwa s0, v83, v6 src0_sel:BYTE_1 src1_sel:DWORD
	s_and_saveexec_b32 s18, s0
	s_cbranch_execz .LBB196_682
; %bb.675:                              ;   in Loop: Header=BB196_427 Depth=1
	v_mov_b32_e32 v7, v6
	v_mov_b32_e32 v20, v8
	v_cmp_ne_u16_sdwa s0, v83, v41 src0_sel:BYTE_1 src1_sel:DWORD
	v_mov_b32_e32 v19, v7
	s_and_saveexec_b32 s21, s0
	s_cbranch_execz .LBB196_681
; %bb.676:                              ;   in Loop: Header=BB196_427 Depth=1
	v_and_b32_sdwa v5, v42, v83 dst_sel:DWORD dst_unused:UNUSED_PAD src0_sel:DWORD src1_sel:BYTE_1
	v_mov_b32_e32 v9, v6
	v_mov_b32_e32 v20, v10
	s_mov_b32 s22, exec_lo
	v_and_b32_e32 v21, 0x7f, v5
	v_mov_b32_e32 v19, v9
	v_cmpx_ne_u32_e32 0x7f, v21
	s_cbranch_execz .LBB196_680
; %bb.677:                              ;   in Loop: Header=BB196_427 Depth=1
	v_and_b32_e32 v5, 7, v5
	v_lshrrev_b32_e32 v7, 3, v21
	s_mov_b32 s24, exec_lo
	v_cmpx_gt_u32_e32 8, v21
; %bb.678:                              ;   in Loop: Header=BB196_427 Depth=1
	v_ffbh_u32_e32 v7, v5
	v_min_u32_e32 v7, 32, v7
	v_subrev_nc_u32_e32 v9, 28, v7
	v_sub_nc_u32_e32 v7, 29, v7
	v_lshlrev_b64 v[19:20], v9, v[5:6]
	v_and_b32_e32 v5, 7, v19
; %bb.679:                              ;   in Loop: Header=BB196_427 Depth=1
	s_or_b32 exec_lo, exec_lo, s24
	v_lshlrev_b32_e32 v9, 16, v83
	v_lshlrev_b32_e32 v5, 20, v5
	v_lshl_add_u32 v7, v7, 23, 0x3c000000
	v_mov_b32_e32 v19, v6
	v_and_b32_e32 v9, 0x80000000, v9
	v_or3_b32 v20, v5, v9, v7
.LBB196_680:                            ;   in Loop: Header=BB196_427 Depth=1
	s_or_b32 exec_lo, exec_lo, s22
.LBB196_681:                            ;   in Loop: Header=BB196_427 Depth=1
	s_or_b32 exec_lo, exec_lo, s21
.LBB196_682:                            ;   in Loop: Header=BB196_427 Depth=1
	s_or_b32 exec_lo, exec_lo, s18
	v_mov_b32_e32 v23, 0
	v_mov_b32_e32 v21, 0
	v_and_b32_sdwa v5, v83, v43 dst_sel:DWORD dst_unused:UNUSED_PAD src0_sel:WORD_1 src1_sel:DWORD
	v_mov_b32_e32 v24, 0
	v_mov_b32_e32 v22, 0
	s_mov_b32 s18, exec_lo
	v_cmpx_ne_u16_e32 0, v5
	s_cbranch_execz .LBB196_690
; %bb.683:                              ;   in Loop: Header=BB196_427 Depth=1
	v_bfrev_b32_e32 v21, 1
	v_mov_b32_e32 v22, 0
	s_mov_b32 s21, exec_lo
	v_cmpx_ne_u16_e32 0x80, v5
	s_cbranch_execz .LBB196_689
; %bb.684:                              ;   in Loop: Header=BB196_427 Depth=1
	v_mov_b32_e32 v21, 0x7f800001
	v_bfe_u32 v9, v83, 16, 7
	v_mov_b32_e32 v22, 0
	s_mov_b32 s22, exec_lo
	v_cmpx_ne_u32_e32 0x7f, v9
	s_cbranch_execz .LBB196_688
; %bb.685:                              ;   in Loop: Header=BB196_427 Depth=1
	v_and_b32_sdwa v5, v83, v44 dst_sel:DWORD dst_unused:UNUSED_PAD src0_sel:WORD_1 src1_sel:DWORD
	v_lshrrev_b32_e32 v7, 3, v9
	s_mov_b32 s24, exec_lo
	v_cmpx_gt_u32_e32 8, v9
; %bb.686:                              ;   in Loop: Header=BB196_427 Depth=1
	v_ffbh_u32_e32 v7, v5
	v_min_u32_e32 v7, 32, v7
	v_subrev_nc_u32_e32 v9, 28, v7
	v_sub_nc_u32_e32 v7, 29, v7
	v_lshlrev_b64 v[21:22], v9, v[5:6]
	v_and_b32_e32 v5, 7, v21
; %bb.687:                              ;   in Loop: Header=BB196_427 Depth=1
	s_or_b32 exec_lo, exec_lo, s24
	v_lshlrev_b32_sdwa v9, v45, v83 dst_sel:DWORD dst_unused:UNUSED_PAD src0_sel:DWORD src1_sel:WORD_1
	v_lshlrev_b32_e32 v5, 20, v5
	v_lshl_add_u32 v7, v7, 23, 0x3c000000
	v_and_b32_e32 v9, 0x80000000, v9
	v_or3_b32 v5, v5, v9, v7
	v_mov_b32_e32 v22, v6
	v_mov_b32_e32 v21, v5
.LBB196_688:                            ;   in Loop: Header=BB196_427 Depth=1
	s_or_b32 exec_lo, exec_lo, s22
.LBB196_689:                            ;   in Loop: Header=BB196_427 Depth=1
	s_or_b32 exec_lo, exec_lo, s21
.LBB196_690:                            ;   in Loop: Header=BB196_427 Depth=1
	s_or_b32 exec_lo, exec_lo, s18
	s_mov_b32 s18, exec_lo
	v_cmpx_lt_u32_e32 0xffffff, v83
	s_cbranch_execz .LBB196_698
; %bb.691:                              ;   in Loop: Header=BB196_427 Depth=1
	v_mov_b32_e32 v7, v6
	v_mov_b32_e32 v24, v8
	v_cmp_ne_u32_sdwa s0, v83, v41 src0_sel:BYTE_3 src1_sel:DWORD
	v_mov_b32_e32 v23, v7
	s_and_saveexec_b32 s21, s0
	s_cbranch_execz .LBB196_697
; %bb.692:                              ;   in Loop: Header=BB196_427 Depth=1
	v_mov_b32_e32 v9, v6
	v_mov_b32_e32 v24, v10
	v_bfe_u32 v84, v83, 24, 7
	s_mov_b32 s22, exec_lo
	v_mov_b32_e32 v23, v9
	v_cmpx_ne_u32_e32 0x7f, v84
	s_cbranch_execz .LBB196_696
; %bb.693:                              ;   in Loop: Header=BB196_427 Depth=1
	v_and_b32_sdwa v5, v83, v44 dst_sel:DWORD dst_unused:UNUSED_PAD src0_sel:BYTE_3 src1_sel:DWORD
	v_lshrrev_b32_e32 v7, 3, v84
	s_mov_b32 s24, exec_lo
	v_cmpx_gt_u32_e32 8, v84
; %bb.694:                              ;   in Loop: Header=BB196_427 Depth=1
	v_ffbh_u32_e32 v7, v5
	v_min_u32_e32 v7, 32, v7
	v_subrev_nc_u32_e32 v9, 28, v7
	v_sub_nc_u32_e32 v7, 29, v7
	v_lshlrev_b64 v[23:24], v9, v[5:6]
	v_and_b32_e32 v5, 7, v23
; %bb.695:                              ;   in Loop: Header=BB196_427 Depth=1
	s_or_b32 exec_lo, exec_lo, s24
	v_lshlrev_b32_sdwa v9, v45, v83 dst_sel:DWORD dst_unused:UNUSED_PAD src0_sel:DWORD src1_sel:BYTE_3
	v_lshlrev_b32_e32 v5, 20, v5
	v_lshl_add_u32 v7, v7, 23, 0x3c000000
	v_mov_b32_e32 v23, v6
	v_and_b32_e32 v9, 0x80000000, v9
	v_or3_b32 v24, v5, v9, v7
.LBB196_696:                            ;   in Loop: Header=BB196_427 Depth=1
	s_or_b32 exec_lo, exec_lo, s22
.LBB196_697:                            ;   in Loop: Header=BB196_427 Depth=1
	s_or_b32 exec_lo, exec_lo, s21
.LBB196_698:                            ;   in Loop: Header=BB196_427 Depth=1
	s_or_b32 exec_lo, exec_lo, s18
	v_or_b32_e32 v5, v20, v18
	v_or_b32_e32 v7, v19, v17
	;; [unrolled: 1-line block ×4, first 2 shown]
	v_mul_f32_e32 v85, s17, v5
	v_mul_f32_e32 v86, s13, v7
	;; [unrolled: 1-line block ×4, first 2 shown]
	s_and_saveexec_b32 s18, vcc_lo
	s_cbranch_execz .LBB196_700
; %bb.699:                              ;   in Loop: Header=BB196_427 Depth=1
	v_cmp_gt_i32_e64 s0, s31, v53
	v_cndmask_b32_e64 v86, 0, v86, s0
	v_cmp_gt_i32_e64 s0, s31, v56
	v_cndmask_b32_e64 v85, 0, v85, s0
	;; [unrolled: 2-line block ×4, first 2 shown]
.LBB196_700:                            ;   in Loop: Header=BB196_427 Depth=1
	s_or_b32 exec_lo, exec_lo, s18
	global_load_dword v87, v[15:16], off offset:1024
	v_mov_b32_e32 v19, 0
	v_mov_b32_e32 v17, 0
	;; [unrolled: 1-line block ×4, first 2 shown]
	s_waitcnt vmcnt(0)
	v_cmp_ne_u16_sdwa s0, v87, v6 src0_sel:BYTE_0 src1_sel:DWORD
	s_and_saveexec_b32 s18, s0
	s_cbranch_execz .LBB196_708
; %bb.701:                              ;   in Loop: Header=BB196_427 Depth=1
	v_bfrev_b32_e32 v17, 1
	v_mov_b32_e32 v18, 0
	v_cmp_ne_u16_sdwa s0, v87, v41 src0_sel:BYTE_0 src1_sel:DWORD
	s_and_saveexec_b32 s21, s0
	s_cbranch_execz .LBB196_707
; %bb.702:                              ;   in Loop: Header=BB196_427 Depth=1
	v_mov_b32_e32 v17, 0x7f800001
	v_and_b32_e32 v9, 0x7f, v87
	v_mov_b32_e32 v18, 0
	s_mov_b32 s22, exec_lo
	v_cmpx_ne_u32_e32 0x7f, v9
	s_cbranch_execz .LBB196_706
; %bb.703:                              ;   in Loop: Header=BB196_427 Depth=1
	v_and_b32_e32 v5, 7, v87
	v_lshrrev_b32_e32 v7, 3, v9
	s_mov_b32 s24, exec_lo
	v_cmpx_gt_u32_e32 8, v9
; %bb.704:                              ;   in Loop: Header=BB196_427 Depth=1
	v_ffbh_u32_e32 v7, v5
	v_min_u32_e32 v7, 32, v7
	v_subrev_nc_u32_e32 v9, 28, v7
	v_sub_nc_u32_e32 v7, 29, v7
	v_lshlrev_b64 v[17:18], v9, v[5:6]
	v_and_b32_e32 v5, 7, v17
; %bb.705:                              ;   in Loop: Header=BB196_427 Depth=1
	s_or_b32 exec_lo, exec_lo, s24
	v_lshlrev_b32_e32 v9, 24, v87
	v_lshlrev_b32_e32 v5, 20, v5
	v_lshl_add_u32 v7, v7, 23, 0x3c000000
	v_and_b32_e32 v9, 0x80000000, v9
	v_or3_b32 v5, v5, v9, v7
	v_mov_b32_e32 v18, v6
	v_mov_b32_e32 v17, v5
.LBB196_706:                            ;   in Loop: Header=BB196_427 Depth=1
	s_or_b32 exec_lo, exec_lo, s22
.LBB196_707:                            ;   in Loop: Header=BB196_427 Depth=1
	s_or_b32 exec_lo, exec_lo, s21
.LBB196_708:                            ;   in Loop: Header=BB196_427 Depth=1
	s_or_b32 exec_lo, exec_lo, s18
	v_cmp_ne_u16_sdwa s0, v87, v6 src0_sel:BYTE_1 src1_sel:DWORD
	s_and_saveexec_b32 s18, s0
	s_cbranch_execz .LBB196_716
; %bb.709:                              ;   in Loop: Header=BB196_427 Depth=1
	v_mov_b32_e32 v7, v6
	v_mov_b32_e32 v20, v8
	v_cmp_ne_u16_sdwa s0, v87, v41 src0_sel:BYTE_1 src1_sel:DWORD
	v_mov_b32_e32 v19, v7
	s_and_saveexec_b32 s21, s0
	s_cbranch_execz .LBB196_715
; %bb.710:                              ;   in Loop: Header=BB196_427 Depth=1
	v_and_b32_sdwa v5, v42, v87 dst_sel:DWORD dst_unused:UNUSED_PAD src0_sel:DWORD src1_sel:BYTE_1
	v_mov_b32_e32 v9, v6
	v_mov_b32_e32 v20, v10
	s_mov_b32 s22, exec_lo
	v_and_b32_e32 v21, 0x7f, v5
	v_mov_b32_e32 v19, v9
	v_cmpx_ne_u32_e32 0x7f, v21
	s_cbranch_execz .LBB196_714
; %bb.711:                              ;   in Loop: Header=BB196_427 Depth=1
	v_and_b32_e32 v5, 7, v5
	v_lshrrev_b32_e32 v7, 3, v21
	s_mov_b32 s24, exec_lo
	v_cmpx_gt_u32_e32 8, v21
; %bb.712:                              ;   in Loop: Header=BB196_427 Depth=1
	v_ffbh_u32_e32 v7, v5
	v_min_u32_e32 v7, 32, v7
	v_subrev_nc_u32_e32 v9, 28, v7
	v_sub_nc_u32_e32 v7, 29, v7
	v_lshlrev_b64 v[19:20], v9, v[5:6]
	v_and_b32_e32 v5, 7, v19
; %bb.713:                              ;   in Loop: Header=BB196_427 Depth=1
	s_or_b32 exec_lo, exec_lo, s24
	v_lshlrev_b32_e32 v9, 16, v87
	v_lshlrev_b32_e32 v5, 20, v5
	v_lshl_add_u32 v7, v7, 23, 0x3c000000
	v_mov_b32_e32 v19, v6
	v_and_b32_e32 v9, 0x80000000, v9
	v_or3_b32 v20, v5, v9, v7
.LBB196_714:                            ;   in Loop: Header=BB196_427 Depth=1
	s_or_b32 exec_lo, exec_lo, s22
.LBB196_715:                            ;   in Loop: Header=BB196_427 Depth=1
	s_or_b32 exec_lo, exec_lo, s21
.LBB196_716:                            ;   in Loop: Header=BB196_427 Depth=1
	s_or_b32 exec_lo, exec_lo, s18
	v_mov_b32_e32 v23, 0
	v_mov_b32_e32 v21, 0
	v_and_b32_sdwa v5, v87, v43 dst_sel:DWORD dst_unused:UNUSED_PAD src0_sel:WORD_1 src1_sel:DWORD
	v_mov_b32_e32 v24, 0
	v_mov_b32_e32 v22, 0
	s_mov_b32 s18, exec_lo
	v_cmpx_ne_u16_e32 0, v5
	s_cbranch_execz .LBB196_724
; %bb.717:                              ;   in Loop: Header=BB196_427 Depth=1
	v_bfrev_b32_e32 v21, 1
	v_mov_b32_e32 v22, 0
	s_mov_b32 s21, exec_lo
	v_cmpx_ne_u16_e32 0x80, v5
	s_cbranch_execz .LBB196_723
; %bb.718:                              ;   in Loop: Header=BB196_427 Depth=1
	v_mov_b32_e32 v21, 0x7f800001
	v_bfe_u32 v9, v87, 16, 7
	v_mov_b32_e32 v22, 0
	s_mov_b32 s22, exec_lo
	v_cmpx_ne_u32_e32 0x7f, v9
	s_cbranch_execz .LBB196_722
; %bb.719:                              ;   in Loop: Header=BB196_427 Depth=1
	v_and_b32_sdwa v5, v87, v44 dst_sel:DWORD dst_unused:UNUSED_PAD src0_sel:WORD_1 src1_sel:DWORD
	v_lshrrev_b32_e32 v7, 3, v9
	s_mov_b32 s24, exec_lo
	v_cmpx_gt_u32_e32 8, v9
; %bb.720:                              ;   in Loop: Header=BB196_427 Depth=1
	v_ffbh_u32_e32 v7, v5
	v_min_u32_e32 v7, 32, v7
	v_subrev_nc_u32_e32 v9, 28, v7
	v_sub_nc_u32_e32 v7, 29, v7
	v_lshlrev_b64 v[21:22], v9, v[5:6]
	v_and_b32_e32 v5, 7, v21
; %bb.721:                              ;   in Loop: Header=BB196_427 Depth=1
	s_or_b32 exec_lo, exec_lo, s24
	v_lshlrev_b32_sdwa v9, v45, v87 dst_sel:DWORD dst_unused:UNUSED_PAD src0_sel:DWORD src1_sel:WORD_1
	v_lshlrev_b32_e32 v5, 20, v5
	v_lshl_add_u32 v7, v7, 23, 0x3c000000
	v_and_b32_e32 v9, 0x80000000, v9
	v_or3_b32 v5, v5, v9, v7
	v_mov_b32_e32 v22, v6
	v_mov_b32_e32 v21, v5
.LBB196_722:                            ;   in Loop: Header=BB196_427 Depth=1
	s_or_b32 exec_lo, exec_lo, s22
.LBB196_723:                            ;   in Loop: Header=BB196_427 Depth=1
	s_or_b32 exec_lo, exec_lo, s21
.LBB196_724:                            ;   in Loop: Header=BB196_427 Depth=1
	s_or_b32 exec_lo, exec_lo, s18
	s_mov_b32 s18, exec_lo
	v_cmpx_lt_u32_e32 0xffffff, v87
	s_cbranch_execz .LBB196_732
; %bb.725:                              ;   in Loop: Header=BB196_427 Depth=1
	v_mov_b32_e32 v7, v6
	v_mov_b32_e32 v24, v8
	v_cmp_ne_u32_sdwa s0, v87, v41 src0_sel:BYTE_3 src1_sel:DWORD
	v_mov_b32_e32 v23, v7
	s_and_saveexec_b32 s21, s0
	s_cbranch_execz .LBB196_731
; %bb.726:                              ;   in Loop: Header=BB196_427 Depth=1
	v_mov_b32_e32 v9, v6
	v_mov_b32_e32 v24, v10
	v_bfe_u32 v88, v87, 24, 7
	s_mov_b32 s22, exec_lo
	v_mov_b32_e32 v23, v9
	v_cmpx_ne_u32_e32 0x7f, v88
	s_cbranch_execz .LBB196_730
; %bb.727:                              ;   in Loop: Header=BB196_427 Depth=1
	v_and_b32_sdwa v5, v87, v44 dst_sel:DWORD dst_unused:UNUSED_PAD src0_sel:BYTE_3 src1_sel:DWORD
	v_lshrrev_b32_e32 v7, 3, v88
	s_mov_b32 s24, exec_lo
	v_cmpx_gt_u32_e32 8, v88
; %bb.728:                              ;   in Loop: Header=BB196_427 Depth=1
	v_ffbh_u32_e32 v7, v5
	v_min_u32_e32 v7, 32, v7
	v_subrev_nc_u32_e32 v9, 28, v7
	v_sub_nc_u32_e32 v7, 29, v7
	v_lshlrev_b64 v[23:24], v9, v[5:6]
	v_and_b32_e32 v5, 7, v23
; %bb.729:                              ;   in Loop: Header=BB196_427 Depth=1
	s_or_b32 exec_lo, exec_lo, s24
	v_lshlrev_b32_sdwa v9, v45, v87 dst_sel:DWORD dst_unused:UNUSED_PAD src0_sel:DWORD src1_sel:BYTE_3
	v_lshlrev_b32_e32 v5, 20, v5
	v_lshl_add_u32 v7, v7, 23, 0x3c000000
	v_mov_b32_e32 v23, v6
	v_and_b32_e32 v9, 0x80000000, v9
	v_or3_b32 v24, v5, v9, v7
.LBB196_730:                            ;   in Loop: Header=BB196_427 Depth=1
	s_or_b32 exec_lo, exec_lo, s22
.LBB196_731:                            ;   in Loop: Header=BB196_427 Depth=1
	s_or_b32 exec_lo, exec_lo, s21
.LBB196_732:                            ;   in Loop: Header=BB196_427 Depth=1
	s_or_b32 exec_lo, exec_lo, s18
	v_or_b32_e32 v5, v20, v18
	v_or_b32_e32 v7, v19, v17
	;; [unrolled: 1-line block ×4, first 2 shown]
	v_mul_f32_e32 v89, s17, v5
	v_mul_f32_e32 v90, s13, v7
	;; [unrolled: 1-line block ×4, first 2 shown]
	s_and_saveexec_b32 s18, vcc_lo
	s_cbranch_execz .LBB196_734
; %bb.733:                              ;   in Loop: Header=BB196_427 Depth=1
	v_cmp_gt_i32_e64 s0, s31, v53
	v_cndmask_b32_e64 v90, 0, v90, s0
	v_cmp_gt_i32_e64 s0, s31, v56
	v_cndmask_b32_e64 v89, 0, v89, s0
	;; [unrolled: 2-line block ×4, first 2 shown]
.LBB196_734:                            ;   in Loop: Header=BB196_427 Depth=1
	s_or_b32 exec_lo, exec_lo, s18
	global_load_dword v91, v[15:16], off offset:1152
	v_mov_b32_e32 v19, 0
	v_mov_b32_e32 v17, 0
	;; [unrolled: 1-line block ×4, first 2 shown]
	s_waitcnt vmcnt(0)
	v_cmp_ne_u16_sdwa s0, v91, v6 src0_sel:BYTE_0 src1_sel:DWORD
	s_and_saveexec_b32 s18, s0
	s_cbranch_execz .LBB196_742
; %bb.735:                              ;   in Loop: Header=BB196_427 Depth=1
	v_bfrev_b32_e32 v17, 1
	v_mov_b32_e32 v18, 0
	v_cmp_ne_u16_sdwa s0, v91, v41 src0_sel:BYTE_0 src1_sel:DWORD
	s_and_saveexec_b32 s21, s0
	s_cbranch_execz .LBB196_741
; %bb.736:                              ;   in Loop: Header=BB196_427 Depth=1
	v_mov_b32_e32 v17, 0x7f800001
	v_and_b32_e32 v9, 0x7f, v91
	v_mov_b32_e32 v18, 0
	s_mov_b32 s22, exec_lo
	v_cmpx_ne_u32_e32 0x7f, v9
	s_cbranch_execz .LBB196_740
; %bb.737:                              ;   in Loop: Header=BB196_427 Depth=1
	v_and_b32_e32 v5, 7, v91
	v_lshrrev_b32_e32 v7, 3, v9
	s_mov_b32 s24, exec_lo
	v_cmpx_gt_u32_e32 8, v9
; %bb.738:                              ;   in Loop: Header=BB196_427 Depth=1
	v_ffbh_u32_e32 v7, v5
	v_min_u32_e32 v7, 32, v7
	v_subrev_nc_u32_e32 v9, 28, v7
	v_sub_nc_u32_e32 v7, 29, v7
	v_lshlrev_b64 v[17:18], v9, v[5:6]
	v_and_b32_e32 v5, 7, v17
; %bb.739:                              ;   in Loop: Header=BB196_427 Depth=1
	s_or_b32 exec_lo, exec_lo, s24
	v_lshlrev_b32_e32 v9, 24, v91
	v_lshlrev_b32_e32 v5, 20, v5
	v_lshl_add_u32 v7, v7, 23, 0x3c000000
	v_and_b32_e32 v9, 0x80000000, v9
	v_or3_b32 v5, v5, v9, v7
	v_mov_b32_e32 v18, v6
	v_mov_b32_e32 v17, v5
.LBB196_740:                            ;   in Loop: Header=BB196_427 Depth=1
	s_or_b32 exec_lo, exec_lo, s22
.LBB196_741:                            ;   in Loop: Header=BB196_427 Depth=1
	s_or_b32 exec_lo, exec_lo, s21
.LBB196_742:                            ;   in Loop: Header=BB196_427 Depth=1
	s_or_b32 exec_lo, exec_lo, s18
	v_cmp_ne_u16_sdwa s0, v91, v6 src0_sel:BYTE_1 src1_sel:DWORD
	s_and_saveexec_b32 s18, s0
	s_cbranch_execz .LBB196_750
; %bb.743:                              ;   in Loop: Header=BB196_427 Depth=1
	v_mov_b32_e32 v7, v6
	v_mov_b32_e32 v20, v8
	v_cmp_ne_u16_sdwa s0, v91, v41 src0_sel:BYTE_1 src1_sel:DWORD
	v_mov_b32_e32 v19, v7
	s_and_saveexec_b32 s21, s0
	s_cbranch_execz .LBB196_749
; %bb.744:                              ;   in Loop: Header=BB196_427 Depth=1
	v_and_b32_sdwa v5, v42, v91 dst_sel:DWORD dst_unused:UNUSED_PAD src0_sel:DWORD src1_sel:BYTE_1
	v_mov_b32_e32 v9, v6
	v_mov_b32_e32 v20, v10
	s_mov_b32 s22, exec_lo
	v_and_b32_e32 v21, 0x7f, v5
	v_mov_b32_e32 v19, v9
	v_cmpx_ne_u32_e32 0x7f, v21
	s_cbranch_execz .LBB196_748
; %bb.745:                              ;   in Loop: Header=BB196_427 Depth=1
	v_and_b32_e32 v5, 7, v5
	v_lshrrev_b32_e32 v7, 3, v21
	s_mov_b32 s24, exec_lo
	v_cmpx_gt_u32_e32 8, v21
; %bb.746:                              ;   in Loop: Header=BB196_427 Depth=1
	v_ffbh_u32_e32 v7, v5
	v_min_u32_e32 v7, 32, v7
	v_subrev_nc_u32_e32 v9, 28, v7
	v_sub_nc_u32_e32 v7, 29, v7
	v_lshlrev_b64 v[19:20], v9, v[5:6]
	v_and_b32_e32 v5, 7, v19
; %bb.747:                              ;   in Loop: Header=BB196_427 Depth=1
	s_or_b32 exec_lo, exec_lo, s24
	v_lshlrev_b32_e32 v9, 16, v91
	v_lshlrev_b32_e32 v5, 20, v5
	v_lshl_add_u32 v7, v7, 23, 0x3c000000
	v_mov_b32_e32 v19, v6
	v_and_b32_e32 v9, 0x80000000, v9
	v_or3_b32 v20, v5, v9, v7
.LBB196_748:                            ;   in Loop: Header=BB196_427 Depth=1
	s_or_b32 exec_lo, exec_lo, s22
.LBB196_749:                            ;   in Loop: Header=BB196_427 Depth=1
	s_or_b32 exec_lo, exec_lo, s21
.LBB196_750:                            ;   in Loop: Header=BB196_427 Depth=1
	s_or_b32 exec_lo, exec_lo, s18
	v_mov_b32_e32 v23, 0
	v_mov_b32_e32 v21, 0
	v_and_b32_sdwa v5, v91, v43 dst_sel:DWORD dst_unused:UNUSED_PAD src0_sel:WORD_1 src1_sel:DWORD
	v_mov_b32_e32 v24, 0
	v_mov_b32_e32 v22, 0
	s_mov_b32 s18, exec_lo
	v_cmpx_ne_u16_e32 0, v5
	s_cbranch_execz .LBB196_758
; %bb.751:                              ;   in Loop: Header=BB196_427 Depth=1
	v_bfrev_b32_e32 v21, 1
	v_mov_b32_e32 v22, 0
	s_mov_b32 s21, exec_lo
	v_cmpx_ne_u16_e32 0x80, v5
	s_cbranch_execz .LBB196_757
; %bb.752:                              ;   in Loop: Header=BB196_427 Depth=1
	v_mov_b32_e32 v21, 0x7f800001
	v_bfe_u32 v9, v91, 16, 7
	v_mov_b32_e32 v22, 0
	s_mov_b32 s22, exec_lo
	v_cmpx_ne_u32_e32 0x7f, v9
	s_cbranch_execz .LBB196_756
; %bb.753:                              ;   in Loop: Header=BB196_427 Depth=1
	v_and_b32_sdwa v5, v91, v44 dst_sel:DWORD dst_unused:UNUSED_PAD src0_sel:WORD_1 src1_sel:DWORD
	v_lshrrev_b32_e32 v7, 3, v9
	s_mov_b32 s24, exec_lo
	v_cmpx_gt_u32_e32 8, v9
; %bb.754:                              ;   in Loop: Header=BB196_427 Depth=1
	v_ffbh_u32_e32 v7, v5
	v_min_u32_e32 v7, 32, v7
	v_subrev_nc_u32_e32 v9, 28, v7
	v_sub_nc_u32_e32 v7, 29, v7
	v_lshlrev_b64 v[21:22], v9, v[5:6]
	v_and_b32_e32 v5, 7, v21
; %bb.755:                              ;   in Loop: Header=BB196_427 Depth=1
	s_or_b32 exec_lo, exec_lo, s24
	v_lshlrev_b32_sdwa v9, v45, v91 dst_sel:DWORD dst_unused:UNUSED_PAD src0_sel:DWORD src1_sel:WORD_1
	v_lshlrev_b32_e32 v5, 20, v5
	v_lshl_add_u32 v7, v7, 23, 0x3c000000
	v_and_b32_e32 v9, 0x80000000, v9
	v_or3_b32 v5, v5, v9, v7
	v_mov_b32_e32 v22, v6
	v_mov_b32_e32 v21, v5
.LBB196_756:                            ;   in Loop: Header=BB196_427 Depth=1
	s_or_b32 exec_lo, exec_lo, s22
.LBB196_757:                            ;   in Loop: Header=BB196_427 Depth=1
	s_or_b32 exec_lo, exec_lo, s21
.LBB196_758:                            ;   in Loop: Header=BB196_427 Depth=1
	s_or_b32 exec_lo, exec_lo, s18
	s_mov_b32 s18, exec_lo
	v_cmpx_lt_u32_e32 0xffffff, v91
	s_cbranch_execz .LBB196_766
; %bb.759:                              ;   in Loop: Header=BB196_427 Depth=1
	v_mov_b32_e32 v7, v6
	v_mov_b32_e32 v24, v8
	v_cmp_ne_u32_sdwa s0, v91, v41 src0_sel:BYTE_3 src1_sel:DWORD
	v_mov_b32_e32 v23, v7
	s_and_saveexec_b32 s21, s0
	s_cbranch_execz .LBB196_765
; %bb.760:                              ;   in Loop: Header=BB196_427 Depth=1
	v_mov_b32_e32 v9, v6
	v_mov_b32_e32 v24, v10
	v_bfe_u32 v92, v91, 24, 7
	s_mov_b32 s22, exec_lo
	v_mov_b32_e32 v23, v9
	v_cmpx_ne_u32_e32 0x7f, v92
	s_cbranch_execz .LBB196_764
; %bb.761:                              ;   in Loop: Header=BB196_427 Depth=1
	v_and_b32_sdwa v5, v91, v44 dst_sel:DWORD dst_unused:UNUSED_PAD src0_sel:BYTE_3 src1_sel:DWORD
	v_lshrrev_b32_e32 v7, 3, v92
	s_mov_b32 s24, exec_lo
	v_cmpx_gt_u32_e32 8, v92
; %bb.762:                              ;   in Loop: Header=BB196_427 Depth=1
	v_ffbh_u32_e32 v7, v5
	v_min_u32_e32 v7, 32, v7
	v_subrev_nc_u32_e32 v9, 28, v7
	v_sub_nc_u32_e32 v7, 29, v7
	v_lshlrev_b64 v[23:24], v9, v[5:6]
	v_and_b32_e32 v5, 7, v23
; %bb.763:                              ;   in Loop: Header=BB196_427 Depth=1
	s_or_b32 exec_lo, exec_lo, s24
	v_lshlrev_b32_sdwa v9, v45, v91 dst_sel:DWORD dst_unused:UNUSED_PAD src0_sel:DWORD src1_sel:BYTE_3
	v_lshlrev_b32_e32 v5, 20, v5
	v_lshl_add_u32 v7, v7, 23, 0x3c000000
	v_mov_b32_e32 v23, v6
	v_and_b32_e32 v9, 0x80000000, v9
	v_or3_b32 v24, v5, v9, v7
.LBB196_764:                            ;   in Loop: Header=BB196_427 Depth=1
	s_or_b32 exec_lo, exec_lo, s22
.LBB196_765:                            ;   in Loop: Header=BB196_427 Depth=1
	s_or_b32 exec_lo, exec_lo, s21
.LBB196_766:                            ;   in Loop: Header=BB196_427 Depth=1
	s_or_b32 exec_lo, exec_lo, s18
	v_or_b32_e32 v5, v20, v18
	v_or_b32_e32 v7, v19, v17
	;; [unrolled: 1-line block ×4, first 2 shown]
	v_mul_f32_e32 v93, s17, v5
	v_mul_f32_e32 v94, s13, v7
	;; [unrolled: 1-line block ×4, first 2 shown]
	s_and_saveexec_b32 s18, vcc_lo
	s_cbranch_execz .LBB196_768
; %bb.767:                              ;   in Loop: Header=BB196_427 Depth=1
	v_cmp_gt_i32_e64 s0, s31, v53
	v_cndmask_b32_e64 v94, 0, v94, s0
	v_cmp_gt_i32_e64 s0, s31, v56
	v_cndmask_b32_e64 v93, 0, v93, s0
	;; [unrolled: 2-line block ×4, first 2 shown]
.LBB196_768:                            ;   in Loop: Header=BB196_427 Depth=1
	s_or_b32 exec_lo, exec_lo, s18
	global_load_dword v95, v[15:16], off offset:1280
	v_mov_b32_e32 v19, 0
	v_mov_b32_e32 v17, 0
	;; [unrolled: 1-line block ×4, first 2 shown]
	s_waitcnt vmcnt(0)
	v_cmp_ne_u16_sdwa s0, v95, v6 src0_sel:BYTE_0 src1_sel:DWORD
	s_and_saveexec_b32 s18, s0
	s_cbranch_execz .LBB196_776
; %bb.769:                              ;   in Loop: Header=BB196_427 Depth=1
	v_bfrev_b32_e32 v17, 1
	v_mov_b32_e32 v18, 0
	v_cmp_ne_u16_sdwa s0, v95, v41 src0_sel:BYTE_0 src1_sel:DWORD
	s_and_saveexec_b32 s21, s0
	s_cbranch_execz .LBB196_775
; %bb.770:                              ;   in Loop: Header=BB196_427 Depth=1
	v_mov_b32_e32 v17, 0x7f800001
	v_and_b32_e32 v9, 0x7f, v95
	v_mov_b32_e32 v18, 0
	s_mov_b32 s22, exec_lo
	v_cmpx_ne_u32_e32 0x7f, v9
	s_cbranch_execz .LBB196_774
; %bb.771:                              ;   in Loop: Header=BB196_427 Depth=1
	v_and_b32_e32 v5, 7, v95
	v_lshrrev_b32_e32 v7, 3, v9
	s_mov_b32 s24, exec_lo
	v_cmpx_gt_u32_e32 8, v9
; %bb.772:                              ;   in Loop: Header=BB196_427 Depth=1
	v_ffbh_u32_e32 v7, v5
	v_min_u32_e32 v7, 32, v7
	v_subrev_nc_u32_e32 v9, 28, v7
	v_sub_nc_u32_e32 v7, 29, v7
	v_lshlrev_b64 v[17:18], v9, v[5:6]
	v_and_b32_e32 v5, 7, v17
; %bb.773:                              ;   in Loop: Header=BB196_427 Depth=1
	s_or_b32 exec_lo, exec_lo, s24
	v_lshlrev_b32_e32 v9, 24, v95
	v_lshlrev_b32_e32 v5, 20, v5
	v_lshl_add_u32 v7, v7, 23, 0x3c000000
	v_and_b32_e32 v9, 0x80000000, v9
	v_or3_b32 v5, v5, v9, v7
	v_mov_b32_e32 v18, v6
	v_mov_b32_e32 v17, v5
.LBB196_774:                            ;   in Loop: Header=BB196_427 Depth=1
	s_or_b32 exec_lo, exec_lo, s22
.LBB196_775:                            ;   in Loop: Header=BB196_427 Depth=1
	s_or_b32 exec_lo, exec_lo, s21
.LBB196_776:                            ;   in Loop: Header=BB196_427 Depth=1
	s_or_b32 exec_lo, exec_lo, s18
	v_cmp_ne_u16_sdwa s0, v95, v6 src0_sel:BYTE_1 src1_sel:DWORD
	s_and_saveexec_b32 s18, s0
	s_cbranch_execz .LBB196_784
; %bb.777:                              ;   in Loop: Header=BB196_427 Depth=1
	v_mov_b32_e32 v7, v6
	v_mov_b32_e32 v20, v8
	v_cmp_ne_u16_sdwa s0, v95, v41 src0_sel:BYTE_1 src1_sel:DWORD
	v_mov_b32_e32 v19, v7
	s_and_saveexec_b32 s21, s0
	s_cbranch_execz .LBB196_783
; %bb.778:                              ;   in Loop: Header=BB196_427 Depth=1
	v_and_b32_sdwa v5, v42, v95 dst_sel:DWORD dst_unused:UNUSED_PAD src0_sel:DWORD src1_sel:BYTE_1
	v_mov_b32_e32 v9, v6
	v_mov_b32_e32 v20, v10
	s_mov_b32 s22, exec_lo
	v_and_b32_e32 v21, 0x7f, v5
	v_mov_b32_e32 v19, v9
	v_cmpx_ne_u32_e32 0x7f, v21
	s_cbranch_execz .LBB196_782
; %bb.779:                              ;   in Loop: Header=BB196_427 Depth=1
	v_and_b32_e32 v5, 7, v5
	v_lshrrev_b32_e32 v7, 3, v21
	s_mov_b32 s24, exec_lo
	v_cmpx_gt_u32_e32 8, v21
; %bb.780:                              ;   in Loop: Header=BB196_427 Depth=1
	v_ffbh_u32_e32 v7, v5
	v_min_u32_e32 v7, 32, v7
	v_subrev_nc_u32_e32 v9, 28, v7
	v_sub_nc_u32_e32 v7, 29, v7
	v_lshlrev_b64 v[19:20], v9, v[5:6]
	v_and_b32_e32 v5, 7, v19
; %bb.781:                              ;   in Loop: Header=BB196_427 Depth=1
	s_or_b32 exec_lo, exec_lo, s24
	v_lshlrev_b32_e32 v9, 16, v95
	v_lshlrev_b32_e32 v5, 20, v5
	v_lshl_add_u32 v7, v7, 23, 0x3c000000
	v_mov_b32_e32 v19, v6
	v_and_b32_e32 v9, 0x80000000, v9
	v_or3_b32 v20, v5, v9, v7
.LBB196_782:                            ;   in Loop: Header=BB196_427 Depth=1
	s_or_b32 exec_lo, exec_lo, s22
.LBB196_783:                            ;   in Loop: Header=BB196_427 Depth=1
	s_or_b32 exec_lo, exec_lo, s21
.LBB196_784:                            ;   in Loop: Header=BB196_427 Depth=1
	s_or_b32 exec_lo, exec_lo, s18
	v_mov_b32_e32 v23, 0
	v_mov_b32_e32 v21, 0
	v_and_b32_sdwa v5, v95, v43 dst_sel:DWORD dst_unused:UNUSED_PAD src0_sel:WORD_1 src1_sel:DWORD
	v_mov_b32_e32 v24, 0
	v_mov_b32_e32 v22, 0
	s_mov_b32 s18, exec_lo
	v_cmpx_ne_u16_e32 0, v5
	s_cbranch_execz .LBB196_792
; %bb.785:                              ;   in Loop: Header=BB196_427 Depth=1
	v_bfrev_b32_e32 v21, 1
	v_mov_b32_e32 v22, 0
	s_mov_b32 s21, exec_lo
	v_cmpx_ne_u16_e32 0x80, v5
	s_cbranch_execz .LBB196_791
; %bb.786:                              ;   in Loop: Header=BB196_427 Depth=1
	v_mov_b32_e32 v21, 0x7f800001
	v_bfe_u32 v9, v95, 16, 7
	v_mov_b32_e32 v22, 0
	s_mov_b32 s22, exec_lo
	v_cmpx_ne_u32_e32 0x7f, v9
	s_cbranch_execz .LBB196_790
; %bb.787:                              ;   in Loop: Header=BB196_427 Depth=1
	v_and_b32_sdwa v5, v95, v44 dst_sel:DWORD dst_unused:UNUSED_PAD src0_sel:WORD_1 src1_sel:DWORD
	v_lshrrev_b32_e32 v7, 3, v9
	s_mov_b32 s24, exec_lo
	v_cmpx_gt_u32_e32 8, v9
; %bb.788:                              ;   in Loop: Header=BB196_427 Depth=1
	v_ffbh_u32_e32 v7, v5
	v_min_u32_e32 v7, 32, v7
	v_subrev_nc_u32_e32 v9, 28, v7
	v_sub_nc_u32_e32 v7, 29, v7
	v_lshlrev_b64 v[21:22], v9, v[5:6]
	v_and_b32_e32 v5, 7, v21
; %bb.789:                              ;   in Loop: Header=BB196_427 Depth=1
	s_or_b32 exec_lo, exec_lo, s24
	v_lshlrev_b32_sdwa v9, v45, v95 dst_sel:DWORD dst_unused:UNUSED_PAD src0_sel:DWORD src1_sel:WORD_1
	v_lshlrev_b32_e32 v5, 20, v5
	v_lshl_add_u32 v7, v7, 23, 0x3c000000
	v_and_b32_e32 v9, 0x80000000, v9
	v_or3_b32 v5, v5, v9, v7
	v_mov_b32_e32 v22, v6
	v_mov_b32_e32 v21, v5
.LBB196_790:                            ;   in Loop: Header=BB196_427 Depth=1
	s_or_b32 exec_lo, exec_lo, s22
.LBB196_791:                            ;   in Loop: Header=BB196_427 Depth=1
	s_or_b32 exec_lo, exec_lo, s21
.LBB196_792:                            ;   in Loop: Header=BB196_427 Depth=1
	s_or_b32 exec_lo, exec_lo, s18
	s_mov_b32 s18, exec_lo
	v_cmpx_lt_u32_e32 0xffffff, v95
	s_cbranch_execz .LBB196_800
; %bb.793:                              ;   in Loop: Header=BB196_427 Depth=1
	v_mov_b32_e32 v7, v6
	v_mov_b32_e32 v24, v8
	v_cmp_ne_u32_sdwa s0, v95, v41 src0_sel:BYTE_3 src1_sel:DWORD
	v_mov_b32_e32 v23, v7
	s_and_saveexec_b32 s21, s0
	s_cbranch_execz .LBB196_799
; %bb.794:                              ;   in Loop: Header=BB196_427 Depth=1
	v_mov_b32_e32 v9, v6
	v_mov_b32_e32 v24, v10
	v_bfe_u32 v96, v95, 24, 7
	s_mov_b32 s22, exec_lo
	v_mov_b32_e32 v23, v9
	v_cmpx_ne_u32_e32 0x7f, v96
	s_cbranch_execz .LBB196_798
; %bb.795:                              ;   in Loop: Header=BB196_427 Depth=1
	v_and_b32_sdwa v5, v95, v44 dst_sel:DWORD dst_unused:UNUSED_PAD src0_sel:BYTE_3 src1_sel:DWORD
	v_lshrrev_b32_e32 v7, 3, v96
	s_mov_b32 s24, exec_lo
	v_cmpx_gt_u32_e32 8, v96
; %bb.796:                              ;   in Loop: Header=BB196_427 Depth=1
	v_ffbh_u32_e32 v7, v5
	v_min_u32_e32 v7, 32, v7
	v_subrev_nc_u32_e32 v9, 28, v7
	v_sub_nc_u32_e32 v7, 29, v7
	v_lshlrev_b64 v[23:24], v9, v[5:6]
	v_and_b32_e32 v5, 7, v23
; %bb.797:                              ;   in Loop: Header=BB196_427 Depth=1
	s_or_b32 exec_lo, exec_lo, s24
	v_lshlrev_b32_sdwa v9, v45, v95 dst_sel:DWORD dst_unused:UNUSED_PAD src0_sel:DWORD src1_sel:BYTE_3
	v_lshlrev_b32_e32 v5, 20, v5
	v_lshl_add_u32 v7, v7, 23, 0x3c000000
	v_mov_b32_e32 v23, v6
	v_and_b32_e32 v9, 0x80000000, v9
	v_or3_b32 v24, v5, v9, v7
.LBB196_798:                            ;   in Loop: Header=BB196_427 Depth=1
	s_or_b32 exec_lo, exec_lo, s22
.LBB196_799:                            ;   in Loop: Header=BB196_427 Depth=1
	s_or_b32 exec_lo, exec_lo, s21
.LBB196_800:                            ;   in Loop: Header=BB196_427 Depth=1
	s_or_b32 exec_lo, exec_lo, s18
	v_or_b32_e32 v5, v20, v18
	v_or_b32_e32 v7, v19, v17
	;; [unrolled: 1-line block ×4, first 2 shown]
	v_mul_f32_e32 v95, s17, v5
	v_mul_f32_e32 v96, s13, v7
	v_mul_f32_e32 v24, s13, v9
	v_mul_f32_e32 v23, s17, v17
	s_and_saveexec_b32 s18, vcc_lo
	s_cbranch_execz .LBB196_802
; %bb.801:                              ;   in Loop: Header=BB196_427 Depth=1
	v_cmp_gt_i32_e64 s0, s31, v53
	v_cndmask_b32_e64 v96, 0, v96, s0
	v_cmp_gt_i32_e64 s0, s31, v56
	v_cndmask_b32_e64 v95, 0, v95, s0
	;; [unrolled: 2-line block ×4, first 2 shown]
.LBB196_802:                            ;   in Loop: Header=BB196_427 Depth=1
	s_or_b32 exec_lo, exec_lo, s18
	global_load_dword v97, v[15:16], off offset:1408
	v_mov_b32_e32 v17, 0
	v_mov_b32_e32 v15, 0
	;; [unrolled: 1-line block ×4, first 2 shown]
	s_waitcnt vmcnt(0)
	v_cmp_ne_u16_sdwa s0, v97, v6 src0_sel:BYTE_0 src1_sel:DWORD
	s_and_saveexec_b32 s18, s0
	s_cbranch_execz .LBB196_810
; %bb.803:                              ;   in Loop: Header=BB196_427 Depth=1
	v_bfrev_b32_e32 v15, 1
	v_mov_b32_e32 v16, 0
	v_cmp_ne_u16_sdwa s0, v97, v41 src0_sel:BYTE_0 src1_sel:DWORD
	s_and_saveexec_b32 s21, s0
	s_cbranch_execz .LBB196_809
; %bb.804:                              ;   in Loop: Header=BB196_427 Depth=1
	v_mov_b32_e32 v15, 0x7f800001
	v_and_b32_e32 v9, 0x7f, v97
	v_mov_b32_e32 v16, 0
	s_mov_b32 s22, exec_lo
	v_cmpx_ne_u32_e32 0x7f, v9
	s_cbranch_execz .LBB196_808
; %bb.805:                              ;   in Loop: Header=BB196_427 Depth=1
	v_and_b32_e32 v5, 7, v97
	v_lshrrev_b32_e32 v7, 3, v9
	s_mov_b32 s24, exec_lo
	v_cmpx_gt_u32_e32 8, v9
; %bb.806:                              ;   in Loop: Header=BB196_427 Depth=1
	v_ffbh_u32_e32 v7, v5
	v_min_u32_e32 v7, 32, v7
	v_subrev_nc_u32_e32 v9, 28, v7
	v_sub_nc_u32_e32 v7, 29, v7
	v_lshlrev_b64 v[15:16], v9, v[5:6]
	v_and_b32_e32 v5, 7, v15
; %bb.807:                              ;   in Loop: Header=BB196_427 Depth=1
	s_or_b32 exec_lo, exec_lo, s24
	v_lshlrev_b32_e32 v9, 24, v97
	v_lshlrev_b32_e32 v5, 20, v5
	v_lshl_add_u32 v7, v7, 23, 0x3c000000
	v_and_b32_e32 v9, 0x80000000, v9
	v_or3_b32 v5, v5, v9, v7
	v_mov_b32_e32 v16, v6
	v_mov_b32_e32 v15, v5
.LBB196_808:                            ;   in Loop: Header=BB196_427 Depth=1
	s_or_b32 exec_lo, exec_lo, s22
.LBB196_809:                            ;   in Loop: Header=BB196_427 Depth=1
	s_or_b32 exec_lo, exec_lo, s21
.LBB196_810:                            ;   in Loop: Header=BB196_427 Depth=1
	s_or_b32 exec_lo, exec_lo, s18
	v_cmp_ne_u16_sdwa s0, v97, v6 src0_sel:BYTE_1 src1_sel:DWORD
	s_and_saveexec_b32 s18, s0
	s_cbranch_execz .LBB196_818
; %bb.811:                              ;   in Loop: Header=BB196_427 Depth=1
	v_mov_b32_e32 v7, v6
	v_mov_b32_e32 v18, v8
	v_cmp_ne_u16_sdwa s0, v97, v41 src0_sel:BYTE_1 src1_sel:DWORD
	v_mov_b32_e32 v17, v7
	s_and_saveexec_b32 s21, s0
	s_cbranch_execz .LBB196_817
; %bb.812:                              ;   in Loop: Header=BB196_427 Depth=1
	v_and_b32_sdwa v5, v42, v97 dst_sel:DWORD dst_unused:UNUSED_PAD src0_sel:DWORD src1_sel:BYTE_1
	v_mov_b32_e32 v9, v6
	v_mov_b32_e32 v18, v10
	s_mov_b32 s22, exec_lo
	v_and_b32_e32 v19, 0x7f, v5
	v_mov_b32_e32 v17, v9
	v_cmpx_ne_u32_e32 0x7f, v19
	s_cbranch_execz .LBB196_816
; %bb.813:                              ;   in Loop: Header=BB196_427 Depth=1
	v_and_b32_e32 v5, 7, v5
	v_lshrrev_b32_e32 v7, 3, v19
	s_mov_b32 s24, exec_lo
	v_cmpx_gt_u32_e32 8, v19
; %bb.814:                              ;   in Loop: Header=BB196_427 Depth=1
	v_ffbh_u32_e32 v7, v5
	v_min_u32_e32 v7, 32, v7
	v_subrev_nc_u32_e32 v9, 28, v7
	v_sub_nc_u32_e32 v7, 29, v7
	v_lshlrev_b64 v[17:18], v9, v[5:6]
	v_and_b32_e32 v5, 7, v17
; %bb.815:                              ;   in Loop: Header=BB196_427 Depth=1
	s_or_b32 exec_lo, exec_lo, s24
	v_lshlrev_b32_e32 v9, 16, v97
	v_lshlrev_b32_e32 v5, 20, v5
	v_lshl_add_u32 v7, v7, 23, 0x3c000000
	v_mov_b32_e32 v17, v6
	v_and_b32_e32 v9, 0x80000000, v9
	v_or3_b32 v18, v5, v9, v7
.LBB196_816:                            ;   in Loop: Header=BB196_427 Depth=1
	s_or_b32 exec_lo, exec_lo, s22
.LBB196_817:                            ;   in Loop: Header=BB196_427 Depth=1
	s_or_b32 exec_lo, exec_lo, s21
.LBB196_818:                            ;   in Loop: Header=BB196_427 Depth=1
	s_or_b32 exec_lo, exec_lo, s18
	v_mov_b32_e32 v21, 0
	v_mov_b32_e32 v19, 0
	v_and_b32_sdwa v5, v97, v43 dst_sel:DWORD dst_unused:UNUSED_PAD src0_sel:WORD_1 src1_sel:DWORD
	v_mov_b32_e32 v22, 0
	v_mov_b32_e32 v20, 0
	s_mov_b32 s18, exec_lo
	v_cmpx_ne_u16_e32 0, v5
	s_cbranch_execz .LBB196_826
; %bb.819:                              ;   in Loop: Header=BB196_427 Depth=1
	v_bfrev_b32_e32 v19, 1
	v_mov_b32_e32 v20, 0
	s_mov_b32 s21, exec_lo
	v_cmpx_ne_u16_e32 0x80, v5
	s_cbranch_execz .LBB196_825
; %bb.820:                              ;   in Loop: Header=BB196_427 Depth=1
	v_mov_b32_e32 v19, 0x7f800001
	v_bfe_u32 v9, v97, 16, 7
	v_mov_b32_e32 v20, 0
	s_mov_b32 s22, exec_lo
	v_cmpx_ne_u32_e32 0x7f, v9
	s_cbranch_execz .LBB196_824
; %bb.821:                              ;   in Loop: Header=BB196_427 Depth=1
	v_and_b32_sdwa v5, v97, v44 dst_sel:DWORD dst_unused:UNUSED_PAD src0_sel:WORD_1 src1_sel:DWORD
	v_lshrrev_b32_e32 v7, 3, v9
	s_mov_b32 s24, exec_lo
	v_cmpx_gt_u32_e32 8, v9
; %bb.822:                              ;   in Loop: Header=BB196_427 Depth=1
	v_ffbh_u32_e32 v7, v5
	v_min_u32_e32 v7, 32, v7
	v_subrev_nc_u32_e32 v9, 28, v7
	v_sub_nc_u32_e32 v7, 29, v7
	v_lshlrev_b64 v[19:20], v9, v[5:6]
	v_and_b32_e32 v5, 7, v19
; %bb.823:                              ;   in Loop: Header=BB196_427 Depth=1
	s_or_b32 exec_lo, exec_lo, s24
	v_lshlrev_b32_sdwa v9, v45, v97 dst_sel:DWORD dst_unused:UNUSED_PAD src0_sel:DWORD src1_sel:WORD_1
	v_lshlrev_b32_e32 v5, 20, v5
	v_lshl_add_u32 v7, v7, 23, 0x3c000000
	v_and_b32_e32 v9, 0x80000000, v9
	v_or3_b32 v5, v5, v9, v7
	v_mov_b32_e32 v20, v6
	v_mov_b32_e32 v19, v5
.LBB196_824:                            ;   in Loop: Header=BB196_427 Depth=1
	s_or_b32 exec_lo, exec_lo, s22
.LBB196_825:                            ;   in Loop: Header=BB196_427 Depth=1
	s_or_b32 exec_lo, exec_lo, s21
.LBB196_826:                            ;   in Loop: Header=BB196_427 Depth=1
	s_or_b32 exec_lo, exec_lo, s18
	s_mov_b32 s18, exec_lo
	v_cmpx_lt_u32_e32 0xffffff, v97
	s_cbranch_execz .LBB196_834
; %bb.827:                              ;   in Loop: Header=BB196_427 Depth=1
	v_mov_b32_e32 v7, v6
	v_mov_b32_e32 v22, v8
	v_cmp_ne_u32_sdwa s0, v97, v41 src0_sel:BYTE_3 src1_sel:DWORD
	v_mov_b32_e32 v21, v7
	s_and_saveexec_b32 s21, s0
	s_cbranch_execz .LBB196_833
; %bb.828:                              ;   in Loop: Header=BB196_427 Depth=1
	v_mov_b32_e32 v9, v6
	v_mov_b32_e32 v22, v10
	v_bfe_u32 v98, v97, 24, 7
	s_mov_b32 s22, exec_lo
	v_mov_b32_e32 v21, v9
	v_cmpx_ne_u32_e32 0x7f, v98
	s_cbranch_execz .LBB196_832
; %bb.829:                              ;   in Loop: Header=BB196_427 Depth=1
	v_and_b32_sdwa v5, v97, v44 dst_sel:DWORD dst_unused:UNUSED_PAD src0_sel:BYTE_3 src1_sel:DWORD
	v_lshrrev_b32_e32 v7, 3, v98
	s_mov_b32 s24, exec_lo
	v_cmpx_gt_u32_e32 8, v98
; %bb.830:                              ;   in Loop: Header=BB196_427 Depth=1
	v_ffbh_u32_e32 v7, v5
	v_min_u32_e32 v7, 32, v7
	v_subrev_nc_u32_e32 v9, 28, v7
	v_sub_nc_u32_e32 v7, 29, v7
	v_lshlrev_b64 v[21:22], v9, v[5:6]
	v_and_b32_e32 v5, 7, v21
; %bb.831:                              ;   in Loop: Header=BB196_427 Depth=1
	s_or_b32 exec_lo, exec_lo, s24
	v_lshlrev_b32_sdwa v9, v45, v97 dst_sel:DWORD dst_unused:UNUSED_PAD src0_sel:DWORD src1_sel:BYTE_3
	v_lshlrev_b32_e32 v5, 20, v5
	v_lshl_add_u32 v7, v7, 23, 0x3c000000
	v_mov_b32_e32 v21, v6
	v_and_b32_e32 v9, 0x80000000, v9
	v_or3_b32 v22, v5, v9, v7
.LBB196_832:                            ;   in Loop: Header=BB196_427 Depth=1
	s_or_b32 exec_lo, exec_lo, s22
.LBB196_833:                            ;   in Loop: Header=BB196_427 Depth=1
	s_or_b32 exec_lo, exec_lo, s21
.LBB196_834:                            ;   in Loop: Header=BB196_427 Depth=1
	s_or_b32 exec_lo, exec_lo, s18
	v_or_b32_e32 v5, v18, v16
	v_or_b32_e32 v7, v17, v15
	;; [unrolled: 1-line block ×4, first 2 shown]
	v_mul_f32_e32 v9, s17, v5
	v_mul_f32_e32 v15, s13, v7
	;; [unrolled: 1-line block ×4, first 2 shown]
	s_and_saveexec_b32 s0, vcc_lo
	s_cbranch_execz .LBB196_425
; %bb.835:                              ;   in Loop: Header=BB196_427 Depth=1
	v_cmp_gt_i32_e32 vcc_lo, s31, v53
	v_cndmask_b32_e32 v15, 0, v15, vcc_lo
	v_cmp_gt_i32_e32 vcc_lo, s31, v56
	v_cndmask_b32_e32 v9, 0, v9, vcc_lo
	;; [unrolled: 2-line block ×4, first 2 shown]
	s_branch .LBB196_425
.LBB196_836:
	s_or_b32 exec_lo, exec_lo, s6
.LBB196_837:
	s_or_b32 exec_lo, exec_lo, s1
	ds_bpermute_b32 v1, v26, v38
	ds_bpermute_b32 v2, v26, v39
	;; [unrolled: 1-line block ×12, first 2 shown]
	v_lshrrev_b32_e32 v13, 1, v25
	v_and_b32_e32 v16, 0x3c1, v0
	v_mul_u32_u24_e32 v15, 0x300, v59
	s_mov_b32 s0, exec_lo
	s_waitcnt lgkmcnt(0)
	s_waitcnt_vscnt null, 0x0
	v_lshl_add_u32 v14, v13, 2, 0x320
	s_barrier
	buffer_gl0_inv
	v_add_f32_e32 v1, v38, v1
	v_add_f32_e32 v2, v39, v2
	v_add_f32_e32 v3, v37, v3
	v_add_f32_e32 v4, v36, v4
	v_add_f32_e32 v5, v35, v5
	v_add_f32_e32 v6, v34, v6
	v_add_f32_e32 v7, v33, v7
	v_add_f32_e32 v8, v32, v8
	v_add_f32_e32 v9, v31, v9
	v_add_f32_e32 v10, v30, v10
	v_add_f32_e32 v11, v29, v11
	v_add_f32_e32 v12, v28, v12
	v_cmpx_eq_u32_e32 64, v16
	s_cbranch_execz .LBB196_839
; %bb.838:
	v_add_nc_u32_e32 v16, v14, v15
	v_add_nc_u32_e32 v17, 0xfffffa00, v16
	;; [unrolled: 1-line block ×8, first 2 shown]
	ds_write_b32 v17, v1
	ds_write_b32 v18, v2
	;; [unrolled: 1-line block ×7, first 2 shown]
	v_add_nc_u32_e32 v17, 0xfffffbc0, v16
	v_add_nc_u32_e32 v18, 0xfffffc00, v16
	;; [unrolled: 1-line block ×5, first 2 shown]
	ds_write_b32 v17, v8
	ds_write_b32 v18, v9
	;; [unrolled: 1-line block ×5, first 2 shown]
.LBB196_839:
	s_or_b32 exec_lo, exec_lo, s0
	v_lshlrev_b32_e32 v13, 2, v13
	s_mov_b32 s1, exec_lo
	v_cmp_eq_u32_e32 vcc_lo, 0, v27
	s_waitcnt lgkmcnt(0)
	s_barrier
	v_add3_u32 v13, 0x320, v15, v13
	buffer_gl0_inv
	v_cmpx_gt_u32_e32 64, v0
	s_cbranch_execz .LBB196_854
; %bb.840:
	s_and_saveexec_b32 s0, vcc_lo
	s_cbranch_execnz .LBB196_874
; %bb.841:
	s_or_b32 exec_lo, exec_lo, s0
	s_and_saveexec_b32 s0, vcc_lo
	s_cbranch_execnz .LBB196_875
.LBB196_842:
	s_or_b32 exec_lo, exec_lo, s0
	s_and_saveexec_b32 s0, vcc_lo
	s_cbranch_execnz .LBB196_876
.LBB196_843:
	s_or_b32 exec_lo, exec_lo, s0
	s_and_saveexec_b32 s0, vcc_lo
	s_cbranch_execnz .LBB196_877
.LBB196_844:
	s_or_b32 exec_lo, exec_lo, s0
	s_and_saveexec_b32 s0, vcc_lo
	s_cbranch_execnz .LBB196_878
.LBB196_845:
	s_or_b32 exec_lo, exec_lo, s0
	s_and_saveexec_b32 s0, vcc_lo
	s_cbranch_execnz .LBB196_879
.LBB196_846:
	s_or_b32 exec_lo, exec_lo, s0
	s_and_saveexec_b32 s0, vcc_lo
	s_cbranch_execnz .LBB196_880
.LBB196_847:
	s_or_b32 exec_lo, exec_lo, s0
	s_and_saveexec_b32 s0, vcc_lo
	s_cbranch_execnz .LBB196_881
.LBB196_848:
	s_or_b32 exec_lo, exec_lo, s0
	s_and_saveexec_b32 s0, vcc_lo
	s_cbranch_execnz .LBB196_882
.LBB196_849:
	s_or_b32 exec_lo, exec_lo, s0
	s_and_saveexec_b32 s0, vcc_lo
	s_cbranch_execnz .LBB196_883
.LBB196_850:
	s_or_b32 exec_lo, exec_lo, s0
	s_and_saveexec_b32 s0, vcc_lo
	s_cbranch_execnz .LBB196_884
.LBB196_851:
	s_or_b32 exec_lo, exec_lo, s0
	s_and_saveexec_b32 s0, vcc_lo
	s_cbranch_execz .LBB196_853
.LBB196_852:
	ds_read_b32 v15, v13 offset:704
	s_waitcnt lgkmcnt(0)
	v_add_f32_e32 v12, v12, v15
.LBB196_853:
	s_or_b32 exec_lo, exec_lo, s0
.LBB196_854:
	s_or_b32 exec_lo, exec_lo, s1
	v_and_b32_e32 v15, 0x3e1, v0
	s_mov_b32 s1, exec_lo
	s_barrier
	buffer_gl0_inv
	v_cmpx_eq_u32_e32 32, v15
	s_cbranch_execz .LBB196_856
; %bb.855:
	ds_write2_b32 v14, v1, v2 offset1:16
	ds_write2_b32 v14, v3, v4 offset0:32 offset1:48
	ds_write2_b32 v14, v5, v6 offset0:64 offset1:80
	;; [unrolled: 1-line block ×5, first 2 shown]
.LBB196_856:
	s_or_b32 exec_lo, exec_lo, s1
	s_mov_b32 s1, exec_lo
	s_waitcnt lgkmcnt(0)
	s_barrier
	buffer_gl0_inv
	v_cmpx_gt_u32_e32 32, v0
	s_cbranch_execz .LBB196_871
; %bb.857:
	s_and_saveexec_b32 s0, vcc_lo
	s_cbranch_execnz .LBB196_885
; %bb.858:
	s_or_b32 exec_lo, exec_lo, s0
	s_and_saveexec_b32 s0, vcc_lo
	s_cbranch_execnz .LBB196_886
.LBB196_859:
	s_or_b32 exec_lo, exec_lo, s0
	s_and_saveexec_b32 s0, vcc_lo
	s_cbranch_execnz .LBB196_887
.LBB196_860:
	s_or_b32 exec_lo, exec_lo, s0
	s_and_saveexec_b32 s0, vcc_lo
	s_cbranch_execnz .LBB196_888
.LBB196_861:
	s_or_b32 exec_lo, exec_lo, s0
	s_and_saveexec_b32 s0, vcc_lo
	s_cbranch_execnz .LBB196_889
.LBB196_862:
	s_or_b32 exec_lo, exec_lo, s0
	s_and_saveexec_b32 s0, vcc_lo
	s_cbranch_execnz .LBB196_890
.LBB196_863:
	s_or_b32 exec_lo, exec_lo, s0
	s_and_saveexec_b32 s0, vcc_lo
	s_cbranch_execnz .LBB196_891
.LBB196_864:
	s_or_b32 exec_lo, exec_lo, s0
	s_and_saveexec_b32 s0, vcc_lo
	s_cbranch_execnz .LBB196_892
.LBB196_865:
	s_or_b32 exec_lo, exec_lo, s0
	s_and_saveexec_b32 s0, vcc_lo
	s_cbranch_execnz .LBB196_893
.LBB196_866:
	s_or_b32 exec_lo, exec_lo, s0
	s_and_saveexec_b32 s0, vcc_lo
	s_cbranch_execnz .LBB196_894
.LBB196_867:
	s_or_b32 exec_lo, exec_lo, s0
	s_and_saveexec_b32 s0, vcc_lo
	s_cbranch_execnz .LBB196_895
.LBB196_868:
	s_or_b32 exec_lo, exec_lo, s0
	s_and_saveexec_b32 s0, vcc_lo
	s_cbranch_execz .LBB196_870
.LBB196_869:
	ds_read_b32 v13, v13 offset:704
	s_waitcnt lgkmcnt(0)
	v_add_f32_e32 v12, v12, v13
.LBB196_870:
	s_or_b32 exec_lo, exec_lo, s0
.LBB196_871:
	s_or_b32 exec_lo, exec_lo, s1
	s_barrier
	buffer_gl0_inv
	s_mov_b32 s0, exec_lo
	v_cmpx_eq_u32_e32 0, v15
	s_cbranch_execz .LBB196_873
; %bb.872:
	s_mul_i32 s0, s2, 0xc0
	s_mul_i32 s2, s7, s10
	s_ashr_i32 s1, s0, 31
	v_lshlrev_b32_e32 v0, 1, v0
	s_lshl_b64 s[0:1], s[0:1], 2
	s_add_u32 s4, s28, s0
	s_addc_u32 s5, s29, s1
	s_ashr_i32 s3, s2, 31
	s_lshl_b64 s[0:1], s[2:3], 2
	s_mul_i32 s2, s8, 0xc0
	s_add_u32 s4, s4, s0
	s_addc_u32 s5, s5, s1
	s_ashr_i32 s3, s2, 31
	s_lshl_b64 s[0:1], s[2:3], 2
	s_add_u32 s0, s4, s0
	s_addc_u32 s1, s5, s1
	global_store_dword v0, v1, s[0:1]
	global_store_dword v0, v2, s[0:1] offset:64
	global_store_dword v0, v3, s[0:1] offset:128
	;; [unrolled: 1-line block ×11, first 2 shown]
.LBB196_873:
	s_endpgm
.LBB196_874:
	ds_read_b32 v15, v13
	s_waitcnt lgkmcnt(0)
	v_add_f32_e32 v1, v1, v15
	s_or_b32 exec_lo, exec_lo, s0
	s_and_saveexec_b32 s0, vcc_lo
	s_cbranch_execz .LBB196_842
.LBB196_875:
	ds_read_b32 v15, v13 offset:64
	s_waitcnt lgkmcnt(0)
	v_add_f32_e32 v2, v2, v15
	s_or_b32 exec_lo, exec_lo, s0
	s_and_saveexec_b32 s0, vcc_lo
	s_cbranch_execz .LBB196_843
.LBB196_876:
	ds_read_b32 v15, v13 offset:128
	s_waitcnt lgkmcnt(0)
	v_add_f32_e32 v3, v3, v15
	s_or_b32 exec_lo, exec_lo, s0
	s_and_saveexec_b32 s0, vcc_lo
	s_cbranch_execz .LBB196_844
.LBB196_877:
	ds_read_b32 v15, v13 offset:192
	s_waitcnt lgkmcnt(0)
	v_add_f32_e32 v4, v4, v15
	s_or_b32 exec_lo, exec_lo, s0
	s_and_saveexec_b32 s0, vcc_lo
	s_cbranch_execz .LBB196_845
.LBB196_878:
	ds_read_b32 v15, v13 offset:256
	s_waitcnt lgkmcnt(0)
	v_add_f32_e32 v5, v5, v15
	s_or_b32 exec_lo, exec_lo, s0
	s_and_saveexec_b32 s0, vcc_lo
	s_cbranch_execz .LBB196_846
.LBB196_879:
	ds_read_b32 v15, v13 offset:320
	s_waitcnt lgkmcnt(0)
	v_add_f32_e32 v6, v6, v15
	s_or_b32 exec_lo, exec_lo, s0
	s_and_saveexec_b32 s0, vcc_lo
	s_cbranch_execz .LBB196_847
.LBB196_880:
	ds_read_b32 v15, v13 offset:384
	s_waitcnt lgkmcnt(0)
	v_add_f32_e32 v7, v7, v15
	s_or_b32 exec_lo, exec_lo, s0
	s_and_saveexec_b32 s0, vcc_lo
	s_cbranch_execz .LBB196_848
.LBB196_881:
	ds_read_b32 v15, v13 offset:448
	s_waitcnt lgkmcnt(0)
	v_add_f32_e32 v8, v8, v15
	s_or_b32 exec_lo, exec_lo, s0
	s_and_saveexec_b32 s0, vcc_lo
	s_cbranch_execz .LBB196_849
.LBB196_882:
	ds_read_b32 v15, v13 offset:512
	s_waitcnt lgkmcnt(0)
	v_add_f32_e32 v9, v9, v15
	s_or_b32 exec_lo, exec_lo, s0
	s_and_saveexec_b32 s0, vcc_lo
	s_cbranch_execz .LBB196_850
.LBB196_883:
	ds_read_b32 v15, v13 offset:576
	s_waitcnt lgkmcnt(0)
	v_add_f32_e32 v10, v10, v15
	s_or_b32 exec_lo, exec_lo, s0
	s_and_saveexec_b32 s0, vcc_lo
	s_cbranch_execz .LBB196_851
.LBB196_884:
	ds_read_b32 v15, v13 offset:640
	s_waitcnt lgkmcnt(0)
	v_add_f32_e32 v11, v11, v15
	s_or_b32 exec_lo, exec_lo, s0
	s_and_saveexec_b32 s0, vcc_lo
	s_cbranch_execnz .LBB196_852
	s_branch .LBB196_853
.LBB196_885:
	ds_read_b32 v14, v13
	s_waitcnt lgkmcnt(0)
	v_add_f32_e32 v1, v1, v14
	s_or_b32 exec_lo, exec_lo, s0
	s_and_saveexec_b32 s0, vcc_lo
	s_cbranch_execz .LBB196_859
.LBB196_886:
	ds_read_b32 v14, v13 offset:64
	s_waitcnt lgkmcnt(0)
	v_add_f32_e32 v2, v2, v14
	s_or_b32 exec_lo, exec_lo, s0
	s_and_saveexec_b32 s0, vcc_lo
	s_cbranch_execz .LBB196_860
.LBB196_887:
	ds_read_b32 v14, v13 offset:128
	s_waitcnt lgkmcnt(0)
	v_add_f32_e32 v3, v3, v14
	s_or_b32 exec_lo, exec_lo, s0
	s_and_saveexec_b32 s0, vcc_lo
	s_cbranch_execz .LBB196_861
.LBB196_888:
	ds_read_b32 v14, v13 offset:192
	s_waitcnt lgkmcnt(0)
	v_add_f32_e32 v4, v4, v14
	s_or_b32 exec_lo, exec_lo, s0
	s_and_saveexec_b32 s0, vcc_lo
	s_cbranch_execz .LBB196_862
.LBB196_889:
	ds_read_b32 v14, v13 offset:256
	s_waitcnt lgkmcnt(0)
	v_add_f32_e32 v5, v5, v14
	s_or_b32 exec_lo, exec_lo, s0
	s_and_saveexec_b32 s0, vcc_lo
	s_cbranch_execz .LBB196_863
.LBB196_890:
	ds_read_b32 v14, v13 offset:320
	s_waitcnt lgkmcnt(0)
	v_add_f32_e32 v6, v6, v14
	s_or_b32 exec_lo, exec_lo, s0
	s_and_saveexec_b32 s0, vcc_lo
	s_cbranch_execz .LBB196_864
.LBB196_891:
	ds_read_b32 v14, v13 offset:384
	s_waitcnt lgkmcnt(0)
	v_add_f32_e32 v7, v7, v14
	s_or_b32 exec_lo, exec_lo, s0
	s_and_saveexec_b32 s0, vcc_lo
	s_cbranch_execz .LBB196_865
.LBB196_892:
	ds_read_b32 v14, v13 offset:448
	s_waitcnt lgkmcnt(0)
	v_add_f32_e32 v8, v8, v14
	s_or_b32 exec_lo, exec_lo, s0
	s_and_saveexec_b32 s0, vcc_lo
	s_cbranch_execz .LBB196_866
.LBB196_893:
	ds_read_b32 v14, v13 offset:512
	s_waitcnt lgkmcnt(0)
	v_add_f32_e32 v9, v9, v14
	s_or_b32 exec_lo, exec_lo, s0
	s_and_saveexec_b32 s0, vcc_lo
	s_cbranch_execz .LBB196_867
.LBB196_894:
	ds_read_b32 v14, v13 offset:576
	s_waitcnt lgkmcnt(0)
	v_add_f32_e32 v10, v10, v14
	s_or_b32 exec_lo, exec_lo, s0
	s_and_saveexec_b32 s0, vcc_lo
	s_cbranch_execz .LBB196_868
.LBB196_895:
	ds_read_b32 v14, v13 offset:640
	s_waitcnt lgkmcnt(0)
	v_add_f32_e32 v11, v11, v14
	s_or_b32 exec_lo, exec_lo, s0
	s_and_saveexec_b32 s0, vcc_lo
	s_cbranch_execnz .LBB196_869
	s_branch .LBB196_870
	.section	.rodata,"a",@progbits
	.p2align	6, 0x0
	.amdhsa_kernel _ZN4vllm25paged_attention_v2_kernelIfhLi192ELi8ELi128ELNS_18Fp8KVCacheDataTypeE1ELb1ELi512EEEvPfS2_PT_PKS3_PKT0_S9_ifPKiSB_iPKfiiiSD_SD_iiiii
		.amdhsa_group_segment_fixed_size 800
		.amdhsa_private_segment_fixed_size 0
		.amdhsa_kernarg_size 400
		.amdhsa_user_sgpr_count 6
		.amdhsa_user_sgpr_private_segment_buffer 1
		.amdhsa_user_sgpr_dispatch_ptr 0
		.amdhsa_user_sgpr_queue_ptr 0
		.amdhsa_user_sgpr_kernarg_segment_ptr 1
		.amdhsa_user_sgpr_dispatch_id 0
		.amdhsa_user_sgpr_flat_scratch_init 0
		.amdhsa_user_sgpr_private_segment_size 0
		.amdhsa_wavefront_size32 1
		.amdhsa_uses_dynamic_stack 0
		.amdhsa_system_sgpr_private_segment_wavefront_offset 0
		.amdhsa_system_sgpr_workgroup_id_x 1
		.amdhsa_system_sgpr_workgroup_id_y 1
		.amdhsa_system_sgpr_workgroup_id_z 1
		.amdhsa_system_sgpr_workgroup_info 0
		.amdhsa_system_vgpr_workitem_id 0
		.amdhsa_next_free_vgpr 125
		.amdhsa_next_free_sgpr 53
		.amdhsa_reserve_vcc 1
		.amdhsa_reserve_flat_scratch 0
		.amdhsa_float_round_mode_32 0
		.amdhsa_float_round_mode_16_64 0
		.amdhsa_float_denorm_mode_32 3
		.amdhsa_float_denorm_mode_16_64 3
		.amdhsa_dx10_clamp 1
		.amdhsa_ieee_mode 1
		.amdhsa_fp16_overflow 0
		.amdhsa_workgroup_processor_mode 1
		.amdhsa_memory_ordered 1
		.amdhsa_forward_progress 1
		.amdhsa_shared_vgpr_count 0
		.amdhsa_exception_fp_ieee_invalid_op 0
		.amdhsa_exception_fp_denorm_src 0
		.amdhsa_exception_fp_ieee_div_zero 0
		.amdhsa_exception_fp_ieee_overflow 0
		.amdhsa_exception_fp_ieee_underflow 0
		.amdhsa_exception_fp_ieee_inexact 0
		.amdhsa_exception_int_div_zero 0
	.end_amdhsa_kernel
	.section	.text._ZN4vllm25paged_attention_v2_kernelIfhLi192ELi8ELi128ELNS_18Fp8KVCacheDataTypeE1ELb1ELi512EEEvPfS2_PT_PKS3_PKT0_S9_ifPKiSB_iPKfiiiSD_SD_iiiii,"axG",@progbits,_ZN4vllm25paged_attention_v2_kernelIfhLi192ELi8ELi128ELNS_18Fp8KVCacheDataTypeE1ELb1ELi512EEEvPfS2_PT_PKS3_PKT0_S9_ifPKiSB_iPKfiiiSD_SD_iiiii,comdat
.Lfunc_end196:
	.size	_ZN4vllm25paged_attention_v2_kernelIfhLi192ELi8ELi128ELNS_18Fp8KVCacheDataTypeE1ELb1ELi512EEEvPfS2_PT_PKS3_PKT0_S9_ifPKiSB_iPKfiiiSD_SD_iiiii, .Lfunc_end196-_ZN4vllm25paged_attention_v2_kernelIfhLi192ELi8ELi128ELNS_18Fp8KVCacheDataTypeE1ELb1ELi512EEEvPfS2_PT_PKS3_PKT0_S9_ifPKiSB_iPKfiiiSD_SD_iiiii
                                        ; -- End function
	.set _ZN4vllm25paged_attention_v2_kernelIfhLi192ELi8ELi128ELNS_18Fp8KVCacheDataTypeE1ELb1ELi512EEEvPfS2_PT_PKS3_PKT0_S9_ifPKiSB_iPKfiiiSD_SD_iiiii.num_vgpr, 125
	.set _ZN4vllm25paged_attention_v2_kernelIfhLi192ELi8ELi128ELNS_18Fp8KVCacheDataTypeE1ELb1ELi512EEEvPfS2_PT_PKS3_PKT0_S9_ifPKiSB_iPKfiiiSD_SD_iiiii.num_agpr, 0
	.set _ZN4vllm25paged_attention_v2_kernelIfhLi192ELi8ELi128ELNS_18Fp8KVCacheDataTypeE1ELb1ELi512EEEvPfS2_PT_PKS3_PKT0_S9_ifPKiSB_iPKfiiiSD_SD_iiiii.numbered_sgpr, 53
	.set _ZN4vllm25paged_attention_v2_kernelIfhLi192ELi8ELi128ELNS_18Fp8KVCacheDataTypeE1ELb1ELi512EEEvPfS2_PT_PKS3_PKT0_S9_ifPKiSB_iPKfiiiSD_SD_iiiii.num_named_barrier, 0
	.set _ZN4vllm25paged_attention_v2_kernelIfhLi192ELi8ELi128ELNS_18Fp8KVCacheDataTypeE1ELb1ELi512EEEvPfS2_PT_PKS3_PKT0_S9_ifPKiSB_iPKfiiiSD_SD_iiiii.private_seg_size, 0
	.set _ZN4vllm25paged_attention_v2_kernelIfhLi192ELi8ELi128ELNS_18Fp8KVCacheDataTypeE1ELb1ELi512EEEvPfS2_PT_PKS3_PKT0_S9_ifPKiSB_iPKfiiiSD_SD_iiiii.uses_vcc, 1
	.set _ZN4vllm25paged_attention_v2_kernelIfhLi192ELi8ELi128ELNS_18Fp8KVCacheDataTypeE1ELb1ELi512EEEvPfS2_PT_PKS3_PKT0_S9_ifPKiSB_iPKfiiiSD_SD_iiiii.uses_flat_scratch, 0
	.set _ZN4vllm25paged_attention_v2_kernelIfhLi192ELi8ELi128ELNS_18Fp8KVCacheDataTypeE1ELb1ELi512EEEvPfS2_PT_PKS3_PKT0_S9_ifPKiSB_iPKfiiiSD_SD_iiiii.has_dyn_sized_stack, 0
	.set _ZN4vllm25paged_attention_v2_kernelIfhLi192ELi8ELi128ELNS_18Fp8KVCacheDataTypeE1ELb1ELi512EEEvPfS2_PT_PKS3_PKT0_S9_ifPKiSB_iPKfiiiSD_SD_iiiii.has_recursion, 0
	.set _ZN4vllm25paged_attention_v2_kernelIfhLi192ELi8ELi128ELNS_18Fp8KVCacheDataTypeE1ELb1ELi512EEEvPfS2_PT_PKS3_PKT0_S9_ifPKiSB_iPKfiiiSD_SD_iiiii.has_indirect_call, 0
	.section	.AMDGPU.csdata,"",@progbits
; Kernel info:
; codeLenInByte = 25096
; TotalNumSgprs: 55
; NumVgprs: 125
; ScratchSize: 0
; MemoryBound: 0
; FloatMode: 240
; IeeeMode: 1
; LDSByteSize: 800 bytes/workgroup (compile time only)
; SGPRBlocks: 0
; VGPRBlocks: 15
; NumSGPRsForWavesPerEU: 55
; NumVGPRsForWavesPerEU: 125
; Occupancy: 8
; WaveLimiterHint : 1
; COMPUTE_PGM_RSRC2:SCRATCH_EN: 0
; COMPUTE_PGM_RSRC2:USER_SGPR: 6
; COMPUTE_PGM_RSRC2:TRAP_HANDLER: 0
; COMPUTE_PGM_RSRC2:TGID_X_EN: 1
; COMPUTE_PGM_RSRC2:TGID_Y_EN: 1
; COMPUTE_PGM_RSRC2:TGID_Z_EN: 1
; COMPUTE_PGM_RSRC2:TIDIG_COMP_CNT: 0
	.section	.text._ZN4vllm25paged_attention_v2_kernelIfhLi256ELi8ELi128ELNS_18Fp8KVCacheDataTypeE1ELb1ELi512EEEvPfS2_PT_PKS3_PKT0_S9_ifPKiSB_iPKfiiiSD_SD_iiiii,"axG",@progbits,_ZN4vllm25paged_attention_v2_kernelIfhLi256ELi8ELi128ELNS_18Fp8KVCacheDataTypeE1ELb1ELi512EEEvPfS2_PT_PKS3_PKT0_S9_ifPKiSB_iPKfiiiSD_SD_iiiii,comdat
	.protected	_ZN4vllm25paged_attention_v2_kernelIfhLi256ELi8ELi128ELNS_18Fp8KVCacheDataTypeE1ELb1ELi512EEEvPfS2_PT_PKS3_PKT0_S9_ifPKiSB_iPKfiiiSD_SD_iiiii ; -- Begin function _ZN4vllm25paged_attention_v2_kernelIfhLi256ELi8ELi128ELNS_18Fp8KVCacheDataTypeE1ELb1ELi512EEEvPfS2_PT_PKS3_PKT0_S9_ifPKiSB_iPKfiiiSD_SD_iiiii
	.globl	_ZN4vllm25paged_attention_v2_kernelIfhLi256ELi8ELi128ELNS_18Fp8KVCacheDataTypeE1ELb1ELi512EEEvPfS2_PT_PKS3_PKT0_S9_ifPKiSB_iPKfiiiSD_SD_iiiii
	.p2align	8
	.type	_ZN4vllm25paged_attention_v2_kernelIfhLi256ELi8ELi128ELNS_18Fp8KVCacheDataTypeE1ELb1ELi512EEEvPfS2_PT_PKS3_PKT0_S9_ifPKiSB_iPKfiiiSD_SD_iiiii,@function
_ZN4vllm25paged_attention_v2_kernelIfhLi256ELi8ELi128ELNS_18Fp8KVCacheDataTypeE1ELb1ELi512EEEvPfS2_PT_PKS3_PKT0_S9_ifPKiSB_iPKfiiiSD_SD_iiiii: ; @_ZN4vllm25paged_attention_v2_kernelIfhLi256ELi8ELi128ELNS_18Fp8KVCacheDataTypeE1ELb1ELi512EEEvPfS2_PT_PKS3_PKT0_S9_ifPKiSB_iPKfiiiSD_SD_iiiii
; %bb.0:
	s_mov_b64 s[58:59], s[2:3]
	s_mov_b64 s[56:57], s[0:1]
	s_load_dwordx2 s[0:1], s[4:5], 0x40
	s_add_u32 s56, s56, s9
	s_addc_u32 s57, s57, 0
	s_mov_b32 s30, s7
	s_ashr_i32 s31, s7, 31
	s_lshl_b64 s[2:3], s[30:31], 2
	s_waitcnt lgkmcnt(0)
	s_add_u32 s0, s0, s2
	s_addc_u32 s1, s1, s3
	s_lshl_b32 s42, s8, 9
	s_load_dword s31, s[0:1], 0x0
	s_waitcnt lgkmcnt(0)
	s_cmp_ge_i32 s42, s31
	s_cbranch_scc1 .LBB197_1145
; %bb.1:
	s_clause 0x1
	s_load_dword s9, s[4:5], 0x90
	s_load_dwordx2 s[40:41], s[4:5], 0x30
	v_mov_b32_e32 v44, v0
	s_mov_b32 s43, 0
	s_waitcnt lgkmcnt(0)
	s_abs_i32 s3, s9
	s_abs_i32 s0, s40
	v_cvt_f32_u32_e32 v0, s0
	s_sub_i32 s2, 0, s0
	v_rcp_iflag_f32_e32 v0, v0
	v_mul_f32_e32 v0, 0x4f7ffffe, v0
	v_cvt_u32_f32_e32 v0, v0
	v_readfirstlane_b32 s1, v0
	s_mul_i32 s2, s2, s1
	s_mul_hi_u32 s2, s1, s2
	s_add_i32 s1, s1, s2
	s_xor_b32 s2, s9, s40
	s_mul_hi_u32 s1, s3, s1
	s_ashr_i32 s2, s2, 31
	s_mul_i32 s7, s1, s0
	s_sub_i32 s3, s3, s7
	s_add_i32 s7, s1, 1
	s_sub_i32 s10, s3, s0
	s_cmp_ge_u32 s3, s0
	s_cselect_b32 s1, s7, s1
	s_cselect_b32 s3, s10, s3
	s_add_i32 s7, s1, 1
	s_cmp_ge_u32 s3, s0
	s_cselect_b32 s0, s7, s1
	s_xor_b32 s0, s0, s2
	s_sub_i32 s10, s0, s2
	s_load_dwordx2 s[0:1], s[4:5], 0x50
	s_abs_i32 s2, s10
	v_cvt_f32_u32_e32 v0, s2
	s_sub_i32 s3, 0, s2
	v_rcp_iflag_f32_e32 v0, v0
	v_mul_f32_e32 v0, 0x4f7ffffe, v0
	v_cvt_u32_f32_e32 v0, v0
	v_readfirstlane_b32 s7, v0
	s_mul_i32 s3, s3, s7
	s_mul_hi_u32 s11, s7, s3
	s_abs_i32 s3, s6
	s_add_i32 s7, s7, s11
	s_waitcnt lgkmcnt(0)
	s_cmp_eq_u64 s[0:1], 0
	s_mul_hi_u32 s12, s3, s7
	s_cbranch_scc1 .LBB197_3
; %bb.2:
	s_ashr_i32 s7, s6, 31
	s_lshl_b64 s[14:15], s[6:7], 2
	s_add_u32 s0, s0, s14
	s_addc_u32 s1, s1, s15
	s_load_dword s43, s[0:1], 0x0
.LBB197_3:
	s_clause 0x1
	s_load_dword s7, s[4:5], 0x98
	s_load_dwordx4 s[16:19], s[4:5], 0x58
	v_and_b32_e32 v0, 3, v44
	v_lshlrev_b32_e32 v12, 2, v44
	s_ashr_i32 s13, s6, 31
	s_ashr_i32 s14, s10, 31
	s_lshl_b32 s10, s6, 8
	s_mov_b32 s15, exec_lo
	v_cmpx_gt_u32_e32 0x100, v44
	s_cbranch_execz .LBB197_6
; %bb.4:
	s_load_dwordx2 s[0:1], s[4:5], 0x18
	s_waitcnt lgkmcnt(0)
	s_mul_i32 s20, s16, s30
	v_and_b32_e32 v1, 0x3fc, v44
	s_ashr_i32 s21, s20, 31
	v_cmp_gt_u32_e32 vcc_lo, 0x80, v44
	s_lshl_b64 s[20:21], s[20:21], 2
	v_lshl_add_u32 v1, v0, 8, v1
	s_add_u32 s16, s0, s20
	s_addc_u32 s19, s1, s21
	s_ashr_i32 s11, s10, 31
	s_lshl_b64 s[0:1], s[10:11], 2
	s_add_u32 s0, s16, s0
	s_addc_u32 s1, s19, s1
	global_load_dword v2, v12, s[0:1]
	s_waitcnt vmcnt(0)
	ds_write_b32 v1, v2
	s_and_b32 exec_lo, exec_lo, vcc_lo
	s_cbranch_execz .LBB197_6
; %bb.5:
	v_lshrrev_b32_e32 v2, 2, v44
	v_lshlrev_b32_e32 v3, 2, v0
	v_lshlrev_b32_e32 v2, 4, v2
	v_or3_b32 v2, v2, v3, 0x200
	global_load_dword v2, v2, s[0:1]
	s_waitcnt vmcnt(0)
	ds_write_b32 v1, v2 offset:128
.LBB197_6:
	s_or_b32 exec_lo, exec_lo, s15
	s_load_dwordx4 s[20:23], s[4:5], 0x78
	s_mul_i32 s0, s12, s2
	s_xor_b32 s1, s13, s14
	s_sub_i32 s0, s3, s0
	s_add_i32 s3, s12, 1
	s_sub_i32 s11, s0, s2
	s_cmp_ge_u32 s0, s2
	s_mov_b32 s13, -1
	s_cselect_b32 s3, s3, s12
	s_cselect_b32 s0, s11, s0
	s_add_i32 s11, s3, 1
	s_cmp_ge_u32 s0, s2
                                        ; implicit-def: $sgpr19
	s_cselect_b32 s0, s11, s3
	s_load_dword s3, s[4:5], 0x88
	s_xor_b32 s0, s0, s1
	s_add_i32 s12, s31, -1
	s_sub_i32 s1, s0, s1
	s_abs_i32 s2, s12
	s_waitcnt lgkmcnt(0)
	s_abs_i32 s11, s23
	s_barrier
	v_cvt_f32_u32_e32 v1, s11
	s_sub_i32 s0, 0, s11
	buffer_gl0_inv
	v_rcp_iflag_f32_e32 v1, v1
	v_mul_f32_e32 v1, 0x4f7ffffe, v1
	v_cvt_u32_f32_e32 v1, v1
	v_readfirstlane_b32 s16, v1
	s_mul_i32 s0, s0, s16
	s_mul_hi_u32 s0, s16, s0
	s_add_i32 s16, s16, s0
	s_cmp_lt_i32 s3, 0
	s_mul_hi_u32 s0, s2, s16
	s_cbranch_scc0 .LBB197_8
; %bb.7:
	s_mul_i32 s13, s20, s40
	s_add_i32 s13, s1, s13
	s_mul_i32 s13, s13, s3
	s_sub_i32 s19, 1, s13
	s_mov_b32 s13, 0
.LBB197_8:
	s_load_dwordx2 s[34:35], s[4:5], 0x38
	s_ashr_i32 s33, s12, 31
	s_andn2_b32 vcc_lo, exec_lo, s13
	s_ashr_i32 s23, s23, 31
	s_cbranch_vccnz .LBB197_10
; %bb.9:
	s_mul_i32 s12, s9, s20
	s_add_i32 s12, s12, s6
	s_mul_i32 s3, s12, s3
	s_add_i32 s19, s3, 1
.LBB197_10:
	s_clause 0x4
	s_load_dword s3, s[4:5], 0x48
	s_load_dwordx2 s[38:39], s[4:5], 0x28
	s_load_dwordx4 s[24:27], s[4:5], 0x0
	s_load_dwordx2 s[28:29], s[4:5], 0x10
	s_load_dwordx4 s[12:15], s[4:5], 0x68
	s_mul_i32 s20, s0, s11
	s_xor_b32 s40, s33, s23
	s_sub_i32 s2, s2, s20
	s_add_i32 s33, s0, 1
	v_lshrrev_b32_e32 v18, 5, v44
	v_mov_b32_e32 v77, 0xff7fffff
	v_mbcnt_lo_u32_b32 v76, -1, 0
	s_mul_i32 s18, s1, s18
	v_lshl_add_u32 v62, v18, 3, s42
	s_waitcnt lgkmcnt(0)
	s_mul_i32 s36, s3, s30
	s_sub_i32 s3, s2, s11
	s_ashr_i32 s37, s36, 31
	s_cmp_ge_u32 s2, s11
	s_cselect_b32 s0, s33, s0
	s_cselect_b32 s2, s3, s2
	s_add_i32 s3, s0, 1
	s_cmp_ge_u32 s2, s11
	s_cselect_b32 s0, s3, s0
	s_add_i32 s2, s31, 7
	s_lshl_b32 s44, s8, 6
	s_ashr_i32 s3, s2, 31
	v_or_b32_e32 v49, s44, v18
	s_lshr_b32 s3, s3, 29
	s_add_i32 s2, s2, s3
	s_add_i32 s3, s44, 64
	s_ashr_i32 s33, s2, 3
	s_xor_b32 s2, s0, s40
	s_min_i32 s20, s3, s33
	v_ashrrev_i32_e32 v50, 31, v49
	v_cmp_gt_i32_e64 s0, s20, v49
	s_sub_i32 s40, s2, s40
	s_and_saveexec_b32 s45, s0
	s_cbranch_execz .LBB197_534
; %bb.11:
	s_load_dwordx2 s[2:3], s[4:5], 0x20
	s_sub_i32 s4, s40, s21
	s_ashr_i32 s1, s18, 31
	v_bfe_u32 v6, v44, 2, 3
	v_cmp_eq_u32_e32 vcc_lo, 0, v0
	v_lshlrev_b32_e32 v67, 8, v0
	buffer_store_dword v12, off, s[56:59], 0 offset:48 ; 4-byte Folded Spill
	buffer_store_dword v44, off, s[56:59], 0 offset:40 ; 4-byte Folded Spill
	v_lshlrev_b32_e32 v4, 2, v6
	v_subrev_nc_u32_e32 v5, s31, v6
	buffer_store_dword v6, off, s[56:59], 0 offset:32 ; 4-byte Folded Spill
	v_lshlrev_b32_e32 v6, 4, v6
	buffer_store_dword v18, off, s[56:59], 0 offset:44 ; 4-byte Folded Spill
	v_lshl_or_b32 v4, v18, 5, v4
	v_add_nc_u32_e32 v5, 1, v5
	v_mov_b32_e32 v52, 0
	v_lshl_add_u32 v68, v18, 3, s42
	v_mov_b32_e32 v69, 0x7f
	v_add_nc_u32_e32 v72, 0x420, v4
	buffer_store_dword v5, off, s[56:59], 0 offset:36 ; 4-byte Folded Spill
	s_waitcnt lgkmcnt(0)
	s_add_u32 s46, s2, s18
	s_addc_u32 s47, s3, s1
	s_abs_i32 s5, s22
	v_add_co_u32 v5, s46, s46, v6
	v_cvt_f32_u32_e32 v1, s5
	s_sub_i32 s2, 0, s5
	v_add_co_ci_u32_e64 v6, null, s47, 0, s46
	v_cmp_neq_f32_e64 s1, s43, 0
	v_rcp_iflag_f32_e32 v3, v1
	v_lshlrev_b64 v[1:2], 2, v[49:50]
	v_mov_b32_e32 v70, 7
	v_mov_b32_e32 v77, 0xff7fffff
	v_mov_b32_e32 v74, v49
	s_mov_b32 s46, 0
	s_mov_b32 s47, s17
	v_mul_f32_e32 v3, 0x4f7ffffe, v3
	v_cvt_u32_f32_e32 v3, v3
	v_mul_lo_u32 v4, s2, v3
	s_lshl_b64 s[2:3], s[36:37], 2
	s_add_u32 s2, s34, s2
	s_addc_u32 s3, s35, s3
	v_add_co_u32 v53, s2, s2, v1
	v_add_co_ci_u32_e64 v54, null, s3, v2, s2
	v_mul_hi_u32 v4, v3, v4
	v_add_co_u32 v0, s2, v5, v0
	v_add_co_ci_u32_e64 v1, null, 0, v6, s2
	buffer_store_dword v0, off, s[56:59], 0 offset:24 ; 4-byte Folded Spill
	buffer_store_dword v1, off, s[56:59], 0 offset:28 ; 4-byte Folded Spill
	v_add_nc_u32_e32 v0, v3, v4
	buffer_store_dword v0, off, s[56:59], 0 offset:12 ; 4-byte Folded Spill
	s_branch .LBB197_14
.LBB197_12:                             ;   in Loop: Header=BB197_14 Depth=1
	s_or_b32 exec_lo, exec_lo, s48
.LBB197_13:                             ;   in Loop: Header=BB197_14 Depth=1
	s_or_b32 exec_lo, exec_lo, s3
	v_add_nc_u32_e32 v74, 4, v74
	v_add_co_u32 v53, s3, v53, 16
	v_add_co_ci_u32_e64 v54, null, 0, v54, s3
	v_cmp_le_i32_e64 s2, s20, v74
	v_add_nc_u32_e32 v68, 32, v68
	v_add_nc_u32_e32 v72, 0x80, v72
	s_or_b32 s46, s2, s46
	s_andn2_b32 exec_lo, exec_lo, s46
	s_cbranch_execz .LBB197_533
.LBB197_14:                             ; =>This Inner Loop Header: Depth=1
	v_sub_nc_u32_e32 v0, 0, v68
	v_max_i32_e32 v0, v68, v0
	s_waitcnt lgkmcnt(0)
	v_mul_hi_u32 v1, v0, s16
	v_mul_lo_u32 v2, v1, s11
	v_sub_nc_u32_e32 v0, v0, v2
	v_add_nc_u32_e32 v2, 1, v1
	v_subrev_nc_u32_e32 v3, s11, v0
	v_cmp_le_u32_e64 s2, s11, v0
	v_cndmask_b32_e64 v1, v1, v2, s2
	v_cndmask_b32_e64 v0, v0, v3, s2
	v_ashrrev_i32_e32 v2, 31, v68
	v_add_nc_u32_e32 v3, 1, v1
	v_cmp_le_u32_e64 s2, s11, v0
	v_xor_b32_e32 v2, s23, v2
	v_cndmask_b32_e64 v0, v1, v3, s2
	buffer_load_dword v3, off, s[56:59], 0 offset:12 ; 4-byte Folded Reload
	v_xor_b32_e32 v0, v0, v2
	v_sub_nc_u32_e32 v0, v0, v2
	v_add_nc_u32_e32 v1, s19, v0
	v_cmp_ge_i32_e64 s3, s4, v0
	v_sub_nc_u32_e32 v2, 0, v1
	v_max_i32_e32 v2, v1, v2
	v_ashrrev_i32_e32 v1, 31, v1
	s_waitcnt vmcnt(0)
	v_mul_hi_u32 v3, v2, v3
	v_mul_lo_u32 v3, v3, s5
	v_sub_nc_u32_e32 v2, v2, v3
	v_subrev_nc_u32_e32 v3, s5, v2
	v_cmp_le_u32_e64 s2, s5, v2
	v_cndmask_b32_e64 v2, v2, v3, s2
	v_subrev_nc_u32_e32 v3, s5, v2
	v_cmp_le_u32_e64 s2, s5, v2
	v_cndmask_b32_e64 v2, v2, v3, s2
	v_xor_b32_e32 v2, v2, v1
	v_sub_nc_u32_e32 v1, v2, v1
	v_cmp_ne_u32_e64 s2, 0, v1
	s_and_b32 s2, s2, s3
	s_and_saveexec_b32 s3, s2
	s_xor_b32 s2, exec_lo, s3
	s_cbranch_execz .LBB197_18
; %bb.15:                               ;   in Loop: Header=BB197_14 Depth=1
	s_and_saveexec_b32 s3, vcc_lo
; %bb.16:                               ;   in Loop: Header=BB197_14 Depth=1
	v_mov_b32_e32 v0, 0xff7fffff
	ds_write_b32 v72, v0
; %bb.17:                               ;   in Loop: Header=BB197_14 Depth=1
	s_or_b32 exec_lo, exec_lo, s3
.LBB197_18:                             ;   in Loop: Header=BB197_14 Depth=1
	s_andn2_saveexec_b32 s3, s2
	s_cbranch_execz .LBB197_13
; %bb.19:                               ;   in Loop: Header=BB197_14 Depth=1
	global_load_dword v0, v[53:54], off
	s_clause 0x1
	buffer_load_dword v1, off, s[56:59], 0 offset:24
	buffer_load_dword v2, off, s[56:59], 0 offset:28
	v_mov_b32_e32 v51, 0
	s_mov_b32 s49, exec_lo
	s_waitcnt vmcnt(0)
	v_mad_i64_i32 v[59:60], null, v0, s47, v[1:2]
	global_load_ubyte v0, v[59:60], off
	ds_read_b128 v[45:48], v67
	ds_read_b128 v[41:44], v67 offset:16
	ds_read_b128 v[37:40], v67 offset:32
	;; [unrolled: 1-line block ×11, first 2 shown]
	ds_read_b64 v[55:56], v67 offset:192
	s_waitcnt lgkmcnt(0)
	buffer_store_dword v55, off, s[56:59], 0 offset:16 ; 4-byte Folded Spill
	buffer_store_dword v56, off, s[56:59], 0 offset:20 ; 4-byte Folded Spill
	s_load_dword s48, s[12:13], 0x0
	buffer_store_dword v51, off, s[56:59], 0 ; 4-byte Folded Spill
	v_mov_b32_e32 v51, 0
	buffer_store_dword v51, off, s[56:59], 0 offset:4 ; 4-byte Folded Spill
	s_waitcnt vmcnt(0)
	v_cmpx_ne_u16_e32 0, v0
	s_cbranch_execz .LBB197_27
; %bb.20:                               ;   in Loop: Header=BB197_14 Depth=1
	v_bfrev_b32_e32 v51, 1
	s_mov_b32 s50, exec_lo
	buffer_store_dword v51, off, s[56:59], 0 offset:4 ; 4-byte Folded Spill
	v_cmpx_ne_u16_e32 0x80, v0
	s_cbranch_execz .LBB197_26
; %bb.21:                               ;   in Loop: Header=BB197_14 Depth=1
	v_and_b32_sdwa v56, v0, v69 dst_sel:DWORD dst_unused:UNUSED_PAD src0_sel:WORD_0 src1_sel:DWORD
	v_mov_b32_e32 v51, 0x7f800001
	s_mov_b32 s51, exec_lo
	buffer_store_dword v51, off, s[56:59], 0 offset:4 ; 4-byte Folded Spill
	v_cmpx_ne_u32_e32 0x7f, v56
	s_cbranch_execz .LBB197_25
; %bb.22:                               ;   in Loop: Header=BB197_14 Depth=1
	v_and_b32_sdwa v51, v0, v70 dst_sel:DWORD dst_unused:UNUSED_PAD src0_sel:WORD_0 src1_sel:DWORD
	v_lshrrev_b32_e32 v55, 3, v56
	s_mov_b32 s52, exec_lo
	v_cmpx_gt_u32_e32 8, v56
; %bb.23:                               ;   in Loop: Header=BB197_14 Depth=1
	v_ffbh_u32_e32 v55, v51
	v_min_u32_e32 v55, 32, v55
	v_subrev_nc_u32_e32 v56, 28, v55
	v_sub_nc_u32_e32 v55, 29, v55
	v_lshlrev_b64 v[56:57], v56, v[51:52]
	v_and_b32_e32 v51, 7, v56
; %bb.24:                               ;   in Loop: Header=BB197_14 Depth=1
	s_or_b32 exec_lo, exec_lo, s52
	v_lshlrev_b32_e32 v0, 24, v0
	v_lshlrev_b32_e32 v51, 20, v51
	v_lshl_add_u32 v55, v55, 23, 0x3c000000
	v_and_b32_e32 v0, 0x80000000, v0
	v_or3_b32 v0, v51, v0, v55
	buffer_store_dword v0, off, s[56:59], 0 offset:4 ; 4-byte Folded Spill
.LBB197_25:                             ;   in Loop: Header=BB197_14 Depth=1
	s_or_b32 exec_lo, exec_lo, s51
.LBB197_26:                             ;   in Loop: Header=BB197_14 Depth=1
	s_or_b32 exec_lo, exec_lo, s50
.LBB197_27:                             ;   in Loop: Header=BB197_14 Depth=1
	s_or_b32 exec_lo, exec_lo, s49
	global_load_ubyte v0, v[59:60], off offset:4
	s_mov_b32 s49, exec_lo
	s_waitcnt vmcnt(0)
	v_cmpx_ne_u16_e32 0, v0
	s_cbranch_execz .LBB197_35
; %bb.28:                               ;   in Loop: Header=BB197_14 Depth=1
	v_bfrev_b32_e32 v51, 1
	s_mov_b32 s50, exec_lo
	buffer_store_dword v51, off, s[56:59], 0 ; 4-byte Folded Spill
	v_cmpx_ne_u16_e32 0x80, v0
	s_cbranch_execz .LBB197_34
; %bb.29:                               ;   in Loop: Header=BB197_14 Depth=1
	v_and_b32_sdwa v56, v0, v69 dst_sel:DWORD dst_unused:UNUSED_PAD src0_sel:WORD_0 src1_sel:DWORD
	v_mov_b32_e32 v51, 0x7f800001
	s_mov_b32 s51, exec_lo
	buffer_store_dword v51, off, s[56:59], 0 ; 4-byte Folded Spill
	v_cmpx_ne_u32_e32 0x7f, v56
	s_cbranch_execz .LBB197_33
; %bb.30:                               ;   in Loop: Header=BB197_14 Depth=1
	v_and_b32_sdwa v51, v0, v70 dst_sel:DWORD dst_unused:UNUSED_PAD src0_sel:WORD_0 src1_sel:DWORD
	v_lshrrev_b32_e32 v55, 3, v56
	s_mov_b32 s52, exec_lo
	v_cmpx_gt_u32_e32 8, v56
; %bb.31:                               ;   in Loop: Header=BB197_14 Depth=1
	v_ffbh_u32_e32 v55, v51
	v_min_u32_e32 v55, 32, v55
	v_subrev_nc_u32_e32 v56, 28, v55
	v_sub_nc_u32_e32 v55, 29, v55
	v_lshlrev_b64 v[56:57], v56, v[51:52]
	v_and_b32_e32 v51, 7, v56
; %bb.32:                               ;   in Loop: Header=BB197_14 Depth=1
	s_or_b32 exec_lo, exec_lo, s52
	v_lshlrev_b32_e32 v0, 24, v0
	v_lshlrev_b32_e32 v51, 20, v51
	v_lshl_add_u32 v55, v55, 23, 0x3c000000
	v_and_b32_e32 v0, 0x80000000, v0
	v_or3_b32 v0, v51, v0, v55
	buffer_store_dword v0, off, s[56:59], 0 ; 4-byte Folded Spill
.LBB197_33:                             ;   in Loop: Header=BB197_14 Depth=1
	s_or_b32 exec_lo, exec_lo, s51
.LBB197_34:                             ;   in Loop: Header=BB197_14 Depth=1
	s_or_b32 exec_lo, exec_lo, s50
.LBB197_35:                             ;   in Loop: Header=BB197_14 Depth=1
	s_or_b32 exec_lo, exec_lo, s49
	global_load_ubyte v0, v[59:60], off offset:8
	v_mov_b32_e32 v51, 0
	v_mov_b32_e32 v78, 0
	s_mov_b32 s49, exec_lo
	buffer_store_dword v51, off, s[56:59], 0 offset:8 ; 4-byte Folded Spill
	s_waitcnt vmcnt(0)
	v_cmpx_ne_u16_e32 0, v0
	s_cbranch_execz .LBB197_43
; %bb.36:                               ;   in Loop: Header=BB197_14 Depth=1
	v_bfrev_b32_e32 v78, 1
	s_mov_b32 s50, exec_lo
	v_cmpx_ne_u16_e32 0x80, v0
	s_cbranch_execz .LBB197_42
; %bb.37:                               ;   in Loop: Header=BB197_14 Depth=1
	v_and_b32_sdwa v56, v0, v69 dst_sel:DWORD dst_unused:UNUSED_PAD src0_sel:WORD_0 src1_sel:DWORD
	v_mov_b32_e32 v78, 0x7f800001
	s_mov_b32 s51, exec_lo
	v_cmpx_ne_u32_e32 0x7f, v56
	s_cbranch_execz .LBB197_41
; %bb.38:                               ;   in Loop: Header=BB197_14 Depth=1
	v_and_b32_sdwa v51, v0, v70 dst_sel:DWORD dst_unused:UNUSED_PAD src0_sel:WORD_0 src1_sel:DWORD
	v_lshrrev_b32_e32 v55, 3, v56
	s_mov_b32 s52, exec_lo
	v_cmpx_gt_u32_e32 8, v56
; %bb.39:                               ;   in Loop: Header=BB197_14 Depth=1
	v_ffbh_u32_e32 v55, v51
	v_min_u32_e32 v55, 32, v55
	v_subrev_nc_u32_e32 v56, 28, v55
	v_sub_nc_u32_e32 v55, 29, v55
	v_lshlrev_b64 v[56:57], v56, v[51:52]
	v_and_b32_e32 v51, 7, v56
; %bb.40:                               ;   in Loop: Header=BB197_14 Depth=1
	s_or_b32 exec_lo, exec_lo, s52
	v_lshlrev_b32_e32 v0, 24, v0
	v_lshlrev_b32_e32 v51, 20, v51
	v_lshl_add_u32 v55, v55, 23, 0x3c000000
	v_and_b32_e32 v0, 0x80000000, v0
	v_or3_b32 v78, v51, v0, v55
.LBB197_41:                             ;   in Loop: Header=BB197_14 Depth=1
	s_or_b32 exec_lo, exec_lo, s51
.LBB197_42:                             ;   in Loop: Header=BB197_14 Depth=1
	s_or_b32 exec_lo, exec_lo, s50
.LBB197_43:                             ;   in Loop: Header=BB197_14 Depth=1
	s_or_b32 exec_lo, exec_lo, s49
	global_load_ubyte v0, v[59:60], off offset:12
	s_mov_b32 s49, exec_lo
	s_waitcnt vmcnt(0)
	v_cmpx_ne_u16_e32 0, v0
	s_cbranch_execz .LBB197_51
; %bb.44:                               ;   in Loop: Header=BB197_14 Depth=1
	v_bfrev_b32_e32 v51, 1
	s_mov_b32 s50, exec_lo
	buffer_store_dword v51, off, s[56:59], 0 offset:8 ; 4-byte Folded Spill
	v_cmpx_ne_u16_e32 0x80, v0
	s_cbranch_execz .LBB197_50
; %bb.45:                               ;   in Loop: Header=BB197_14 Depth=1
	v_and_b32_sdwa v56, v0, v69 dst_sel:DWORD dst_unused:UNUSED_PAD src0_sel:WORD_0 src1_sel:DWORD
	v_mov_b32_e32 v51, 0x7f800001
	s_mov_b32 s51, exec_lo
	buffer_store_dword v51, off, s[56:59], 0 offset:8 ; 4-byte Folded Spill
	v_cmpx_ne_u32_e32 0x7f, v56
	s_cbranch_execz .LBB197_49
; %bb.46:                               ;   in Loop: Header=BB197_14 Depth=1
	v_and_b32_sdwa v51, v0, v70 dst_sel:DWORD dst_unused:UNUSED_PAD src0_sel:WORD_0 src1_sel:DWORD
	v_lshrrev_b32_e32 v55, 3, v56
	s_mov_b32 s52, exec_lo
	v_cmpx_gt_u32_e32 8, v56
; %bb.47:                               ;   in Loop: Header=BB197_14 Depth=1
	v_ffbh_u32_e32 v55, v51
	v_min_u32_e32 v55, 32, v55
	v_subrev_nc_u32_e32 v56, 28, v55
	v_sub_nc_u32_e32 v55, 29, v55
	v_lshlrev_b64 v[56:57], v56, v[51:52]
	v_and_b32_e32 v51, 7, v56
; %bb.48:                               ;   in Loop: Header=BB197_14 Depth=1
	s_or_b32 exec_lo, exec_lo, s52
	v_lshlrev_b32_e32 v0, 24, v0
	v_lshlrev_b32_e32 v51, 20, v51
	v_lshl_add_u32 v55, v55, 23, 0x3c000000
	v_and_b32_e32 v0, 0x80000000, v0
	v_or3_b32 v0, v51, v0, v55
	buffer_store_dword v0, off, s[56:59], 0 offset:8 ; 4-byte Folded Spill
.LBB197_49:                             ;   in Loop: Header=BB197_14 Depth=1
	s_or_b32 exec_lo, exec_lo, s51
.LBB197_50:                             ;   in Loop: Header=BB197_14 Depth=1
	s_or_b32 exec_lo, exec_lo, s50
.LBB197_51:                             ;   in Loop: Header=BB197_14 Depth=1
	s_or_b32 exec_lo, exec_lo, s49
	global_load_ubyte v0, v[59:60], off offset:128
	v_mov_b32_e32 v79, 0
	v_mov_b32_e32 v80, 0
	s_mov_b32 s49, exec_lo
	s_waitcnt vmcnt(0)
	v_cmpx_ne_u16_e32 0, v0
	s_cbranch_execz .LBB197_59
; %bb.52:                               ;   in Loop: Header=BB197_14 Depth=1
	v_bfrev_b32_e32 v80, 1
	s_mov_b32 s50, exec_lo
	v_cmpx_ne_u16_e32 0x80, v0
	s_cbranch_execz .LBB197_58
; %bb.53:                               ;   in Loop: Header=BB197_14 Depth=1
	v_and_b32_sdwa v56, v0, v69 dst_sel:DWORD dst_unused:UNUSED_PAD src0_sel:WORD_0 src1_sel:DWORD
	v_mov_b32_e32 v80, 0x7f800001
	s_mov_b32 s51, exec_lo
	v_cmpx_ne_u32_e32 0x7f, v56
	s_cbranch_execz .LBB197_57
; %bb.54:                               ;   in Loop: Header=BB197_14 Depth=1
	v_and_b32_sdwa v51, v0, v70 dst_sel:DWORD dst_unused:UNUSED_PAD src0_sel:WORD_0 src1_sel:DWORD
	v_lshrrev_b32_e32 v55, 3, v56
	s_mov_b32 s52, exec_lo
	v_cmpx_gt_u32_e32 8, v56
; %bb.55:                               ;   in Loop: Header=BB197_14 Depth=1
	v_ffbh_u32_e32 v55, v51
	v_min_u32_e32 v55, 32, v55
	v_subrev_nc_u32_e32 v56, 28, v55
	v_sub_nc_u32_e32 v55, 29, v55
	v_lshlrev_b64 v[56:57], v56, v[51:52]
	v_and_b32_e32 v51, 7, v56
; %bb.56:                               ;   in Loop: Header=BB197_14 Depth=1
	s_or_b32 exec_lo, exec_lo, s52
	v_lshlrev_b32_e32 v0, 24, v0
	v_lshlrev_b32_e32 v51, 20, v51
	v_lshl_add_u32 v55, v55, 23, 0x3c000000
	v_and_b32_e32 v0, 0x80000000, v0
	v_or3_b32 v80, v51, v0, v55
.LBB197_57:                             ;   in Loop: Header=BB197_14 Depth=1
	s_or_b32 exec_lo, exec_lo, s51
.LBB197_58:                             ;   in Loop: Header=BB197_14 Depth=1
	s_or_b32 exec_lo, exec_lo, s50
.LBB197_59:                             ;   in Loop: Header=BB197_14 Depth=1
	s_or_b32 exec_lo, exec_lo, s49
	global_load_ubyte v0, v[59:60], off offset:132
	s_mov_b32 s49, exec_lo
	s_waitcnt vmcnt(0)
	v_cmpx_ne_u16_e32 0, v0
	s_cbranch_execz .LBB197_67
; %bb.60:                               ;   in Loop: Header=BB197_14 Depth=1
	v_bfrev_b32_e32 v79, 1
	s_mov_b32 s50, exec_lo
	v_cmpx_ne_u16_e32 0x80, v0
	s_cbranch_execz .LBB197_66
; %bb.61:                               ;   in Loop: Header=BB197_14 Depth=1
	v_and_b32_sdwa v56, v0, v69 dst_sel:DWORD dst_unused:UNUSED_PAD src0_sel:WORD_0 src1_sel:DWORD
	v_mov_b32_e32 v79, 0x7f800001
	s_mov_b32 s51, exec_lo
	v_cmpx_ne_u32_e32 0x7f, v56
	s_cbranch_execz .LBB197_65
; %bb.62:                               ;   in Loop: Header=BB197_14 Depth=1
	v_and_b32_sdwa v51, v0, v70 dst_sel:DWORD dst_unused:UNUSED_PAD src0_sel:WORD_0 src1_sel:DWORD
	v_lshrrev_b32_e32 v55, 3, v56
	s_mov_b32 s52, exec_lo
	v_cmpx_gt_u32_e32 8, v56
; %bb.63:                               ;   in Loop: Header=BB197_14 Depth=1
	v_ffbh_u32_e32 v55, v51
	v_min_u32_e32 v55, 32, v55
	v_subrev_nc_u32_e32 v56, 28, v55
	v_sub_nc_u32_e32 v55, 29, v55
	v_lshlrev_b64 v[56:57], v56, v[51:52]
	v_and_b32_e32 v51, 7, v56
; %bb.64:                               ;   in Loop: Header=BB197_14 Depth=1
	s_or_b32 exec_lo, exec_lo, s52
	v_lshlrev_b32_e32 v0, 24, v0
	v_lshlrev_b32_e32 v51, 20, v51
	v_lshl_add_u32 v55, v55, 23, 0x3c000000
	v_and_b32_e32 v0, 0x80000000, v0
	v_or3_b32 v79, v51, v0, v55
.LBB197_65:                             ;   in Loop: Header=BB197_14 Depth=1
	s_or_b32 exec_lo, exec_lo, s51
.LBB197_66:                             ;   in Loop: Header=BB197_14 Depth=1
	s_or_b32 exec_lo, exec_lo, s50
.LBB197_67:                             ;   in Loop: Header=BB197_14 Depth=1
	s_or_b32 exec_lo, exec_lo, s49
	global_load_ubyte v0, v[59:60], off offset:136
	v_mov_b32_e32 v81, 0
	v_mov_b32_e32 v82, 0
	s_mov_b32 s49, exec_lo
	s_waitcnt vmcnt(0)
	v_cmpx_ne_u16_e32 0, v0
	s_cbranch_execz .LBB197_75
; %bb.68:                               ;   in Loop: Header=BB197_14 Depth=1
	v_bfrev_b32_e32 v82, 1
	s_mov_b32 s50, exec_lo
	v_cmpx_ne_u16_e32 0x80, v0
	s_cbranch_execz .LBB197_74
; %bb.69:                               ;   in Loop: Header=BB197_14 Depth=1
	v_and_b32_sdwa v56, v0, v69 dst_sel:DWORD dst_unused:UNUSED_PAD src0_sel:WORD_0 src1_sel:DWORD
	v_mov_b32_e32 v82, 0x7f800001
	s_mov_b32 s51, exec_lo
	v_cmpx_ne_u32_e32 0x7f, v56
	s_cbranch_execz .LBB197_73
; %bb.70:                               ;   in Loop: Header=BB197_14 Depth=1
	v_and_b32_sdwa v51, v0, v70 dst_sel:DWORD dst_unused:UNUSED_PAD src0_sel:WORD_0 src1_sel:DWORD
	v_lshrrev_b32_e32 v55, 3, v56
	s_mov_b32 s52, exec_lo
	v_cmpx_gt_u32_e32 8, v56
; %bb.71:                               ;   in Loop: Header=BB197_14 Depth=1
	v_ffbh_u32_e32 v55, v51
	v_min_u32_e32 v55, 32, v55
	v_subrev_nc_u32_e32 v56, 28, v55
	v_sub_nc_u32_e32 v55, 29, v55
	v_lshlrev_b64 v[56:57], v56, v[51:52]
	v_and_b32_e32 v51, 7, v56
; %bb.72:                               ;   in Loop: Header=BB197_14 Depth=1
	s_or_b32 exec_lo, exec_lo, s52
	v_lshlrev_b32_e32 v0, 24, v0
	v_lshlrev_b32_e32 v51, 20, v51
	v_lshl_add_u32 v55, v55, 23, 0x3c000000
	v_and_b32_e32 v0, 0x80000000, v0
	v_or3_b32 v82, v51, v0, v55
.LBB197_73:                             ;   in Loop: Header=BB197_14 Depth=1
	s_or_b32 exec_lo, exec_lo, s51
.LBB197_74:                             ;   in Loop: Header=BB197_14 Depth=1
	s_or_b32 exec_lo, exec_lo, s50
.LBB197_75:                             ;   in Loop: Header=BB197_14 Depth=1
	s_or_b32 exec_lo, exec_lo, s49
	global_load_ubyte v0, v[59:60], off offset:140
	s_mov_b32 s49, exec_lo
	s_waitcnt vmcnt(0)
	v_cmpx_ne_u16_e32 0, v0
	s_cbranch_execz .LBB197_83
; %bb.76:                               ;   in Loop: Header=BB197_14 Depth=1
	v_bfrev_b32_e32 v81, 1
	s_mov_b32 s50, exec_lo
	v_cmpx_ne_u16_e32 0x80, v0
	s_cbranch_execz .LBB197_82
; %bb.77:                               ;   in Loop: Header=BB197_14 Depth=1
	v_and_b32_sdwa v56, v0, v69 dst_sel:DWORD dst_unused:UNUSED_PAD src0_sel:WORD_0 src1_sel:DWORD
	v_mov_b32_e32 v81, 0x7f800001
	s_mov_b32 s51, exec_lo
	v_cmpx_ne_u32_e32 0x7f, v56
	s_cbranch_execz .LBB197_81
; %bb.78:                               ;   in Loop: Header=BB197_14 Depth=1
	v_and_b32_sdwa v51, v0, v70 dst_sel:DWORD dst_unused:UNUSED_PAD src0_sel:WORD_0 src1_sel:DWORD
	v_lshrrev_b32_e32 v55, 3, v56
	s_mov_b32 s52, exec_lo
	v_cmpx_gt_u32_e32 8, v56
; %bb.79:                               ;   in Loop: Header=BB197_14 Depth=1
	v_ffbh_u32_e32 v55, v51
	v_min_u32_e32 v55, 32, v55
	v_subrev_nc_u32_e32 v56, 28, v55
	v_sub_nc_u32_e32 v55, 29, v55
	v_lshlrev_b64 v[56:57], v56, v[51:52]
	v_and_b32_e32 v51, 7, v56
; %bb.80:                               ;   in Loop: Header=BB197_14 Depth=1
	s_or_b32 exec_lo, exec_lo, s52
	v_lshlrev_b32_e32 v0, 24, v0
	v_lshlrev_b32_e32 v51, 20, v51
	v_lshl_add_u32 v55, v55, 23, 0x3c000000
	v_and_b32_e32 v0, 0x80000000, v0
	v_or3_b32 v81, v51, v0, v55
.LBB197_81:                             ;   in Loop: Header=BB197_14 Depth=1
	s_or_b32 exec_lo, exec_lo, s51
.LBB197_82:                             ;   in Loop: Header=BB197_14 Depth=1
	s_or_b32 exec_lo, exec_lo, s50
.LBB197_83:                             ;   in Loop: Header=BB197_14 Depth=1
	s_or_b32 exec_lo, exec_lo, s49
	global_load_ubyte v0, v[59:60], off offset:256
	v_mov_b32_e32 v83, 0
	v_mov_b32_e32 v84, 0
	s_mov_b32 s49, exec_lo
	s_waitcnt vmcnt(0)
	v_cmpx_ne_u16_e32 0, v0
	s_cbranch_execz .LBB197_91
; %bb.84:                               ;   in Loop: Header=BB197_14 Depth=1
	v_bfrev_b32_e32 v84, 1
	s_mov_b32 s50, exec_lo
	v_cmpx_ne_u16_e32 0x80, v0
	s_cbranch_execz .LBB197_90
; %bb.85:                               ;   in Loop: Header=BB197_14 Depth=1
	v_and_b32_sdwa v56, v0, v69 dst_sel:DWORD dst_unused:UNUSED_PAD src0_sel:WORD_0 src1_sel:DWORD
	v_mov_b32_e32 v84, 0x7f800001
	s_mov_b32 s51, exec_lo
	v_cmpx_ne_u32_e32 0x7f, v56
	s_cbranch_execz .LBB197_89
; %bb.86:                               ;   in Loop: Header=BB197_14 Depth=1
	v_and_b32_sdwa v51, v0, v70 dst_sel:DWORD dst_unused:UNUSED_PAD src0_sel:WORD_0 src1_sel:DWORD
	v_lshrrev_b32_e32 v55, 3, v56
	s_mov_b32 s52, exec_lo
	v_cmpx_gt_u32_e32 8, v56
; %bb.87:                               ;   in Loop: Header=BB197_14 Depth=1
	v_ffbh_u32_e32 v55, v51
	v_min_u32_e32 v55, 32, v55
	v_subrev_nc_u32_e32 v56, 28, v55
	v_sub_nc_u32_e32 v55, 29, v55
	v_lshlrev_b64 v[56:57], v56, v[51:52]
	v_and_b32_e32 v51, 7, v56
; %bb.88:                               ;   in Loop: Header=BB197_14 Depth=1
	s_or_b32 exec_lo, exec_lo, s52
	v_lshlrev_b32_e32 v0, 24, v0
	v_lshlrev_b32_e32 v51, 20, v51
	v_lshl_add_u32 v55, v55, 23, 0x3c000000
	v_and_b32_e32 v0, 0x80000000, v0
	v_or3_b32 v84, v51, v0, v55
.LBB197_89:                             ;   in Loop: Header=BB197_14 Depth=1
	s_or_b32 exec_lo, exec_lo, s51
.LBB197_90:                             ;   in Loop: Header=BB197_14 Depth=1
	s_or_b32 exec_lo, exec_lo, s50
.LBB197_91:                             ;   in Loop: Header=BB197_14 Depth=1
	s_or_b32 exec_lo, exec_lo, s49
	global_load_ubyte v0, v[59:60], off offset:260
	s_mov_b32 s49, exec_lo
	s_waitcnt vmcnt(0)
	v_cmpx_ne_u16_e32 0, v0
	s_cbranch_execz .LBB197_99
; %bb.92:                               ;   in Loop: Header=BB197_14 Depth=1
	v_bfrev_b32_e32 v83, 1
	s_mov_b32 s50, exec_lo
	v_cmpx_ne_u16_e32 0x80, v0
	s_cbranch_execz .LBB197_98
; %bb.93:                               ;   in Loop: Header=BB197_14 Depth=1
	v_and_b32_sdwa v56, v0, v69 dst_sel:DWORD dst_unused:UNUSED_PAD src0_sel:WORD_0 src1_sel:DWORD
	v_mov_b32_e32 v83, 0x7f800001
	s_mov_b32 s51, exec_lo
	v_cmpx_ne_u32_e32 0x7f, v56
	s_cbranch_execz .LBB197_97
; %bb.94:                               ;   in Loop: Header=BB197_14 Depth=1
	v_and_b32_sdwa v51, v0, v70 dst_sel:DWORD dst_unused:UNUSED_PAD src0_sel:WORD_0 src1_sel:DWORD
	v_lshrrev_b32_e32 v55, 3, v56
	s_mov_b32 s52, exec_lo
	v_cmpx_gt_u32_e32 8, v56
; %bb.95:                               ;   in Loop: Header=BB197_14 Depth=1
	v_ffbh_u32_e32 v55, v51
	v_min_u32_e32 v55, 32, v55
	v_subrev_nc_u32_e32 v56, 28, v55
	v_sub_nc_u32_e32 v55, 29, v55
	v_lshlrev_b64 v[56:57], v56, v[51:52]
	v_and_b32_e32 v51, 7, v56
; %bb.96:                               ;   in Loop: Header=BB197_14 Depth=1
	s_or_b32 exec_lo, exec_lo, s52
	v_lshlrev_b32_e32 v0, 24, v0
	v_lshlrev_b32_e32 v51, 20, v51
	v_lshl_add_u32 v55, v55, 23, 0x3c000000
	v_and_b32_e32 v0, 0x80000000, v0
	v_or3_b32 v83, v51, v0, v55
.LBB197_97:                             ;   in Loop: Header=BB197_14 Depth=1
	s_or_b32 exec_lo, exec_lo, s51
.LBB197_98:                             ;   in Loop: Header=BB197_14 Depth=1
	s_or_b32 exec_lo, exec_lo, s50
.LBB197_99:                             ;   in Loop: Header=BB197_14 Depth=1
	s_or_b32 exec_lo, exec_lo, s49
	global_load_ubyte v0, v[59:60], off offset:264
	v_mov_b32_e32 v85, 0
	v_mov_b32_e32 v86, 0
	s_mov_b32 s49, exec_lo
	s_waitcnt vmcnt(0)
	v_cmpx_ne_u16_e32 0, v0
	s_cbranch_execz .LBB197_107
; %bb.100:                              ;   in Loop: Header=BB197_14 Depth=1
	v_bfrev_b32_e32 v86, 1
	s_mov_b32 s50, exec_lo
	v_cmpx_ne_u16_e32 0x80, v0
	s_cbranch_execz .LBB197_106
; %bb.101:                              ;   in Loop: Header=BB197_14 Depth=1
	v_and_b32_sdwa v56, v0, v69 dst_sel:DWORD dst_unused:UNUSED_PAD src0_sel:WORD_0 src1_sel:DWORD
	v_mov_b32_e32 v86, 0x7f800001
	s_mov_b32 s51, exec_lo
	v_cmpx_ne_u32_e32 0x7f, v56
	s_cbranch_execz .LBB197_105
; %bb.102:                              ;   in Loop: Header=BB197_14 Depth=1
	v_and_b32_sdwa v51, v0, v70 dst_sel:DWORD dst_unused:UNUSED_PAD src0_sel:WORD_0 src1_sel:DWORD
	v_lshrrev_b32_e32 v55, 3, v56
	s_mov_b32 s52, exec_lo
	v_cmpx_gt_u32_e32 8, v56
; %bb.103:                              ;   in Loop: Header=BB197_14 Depth=1
	v_ffbh_u32_e32 v55, v51
	v_min_u32_e32 v55, 32, v55
	v_subrev_nc_u32_e32 v56, 28, v55
	v_sub_nc_u32_e32 v55, 29, v55
	v_lshlrev_b64 v[56:57], v56, v[51:52]
	v_and_b32_e32 v51, 7, v56
; %bb.104:                              ;   in Loop: Header=BB197_14 Depth=1
	s_or_b32 exec_lo, exec_lo, s52
	v_lshlrev_b32_e32 v0, 24, v0
	v_lshlrev_b32_e32 v51, 20, v51
	v_lshl_add_u32 v55, v55, 23, 0x3c000000
	v_and_b32_e32 v0, 0x80000000, v0
	v_or3_b32 v86, v51, v0, v55
.LBB197_105:                            ;   in Loop: Header=BB197_14 Depth=1
	s_or_b32 exec_lo, exec_lo, s51
.LBB197_106:                            ;   in Loop: Header=BB197_14 Depth=1
	s_or_b32 exec_lo, exec_lo, s50
.LBB197_107:                            ;   in Loop: Header=BB197_14 Depth=1
	s_or_b32 exec_lo, exec_lo, s49
	global_load_ubyte v0, v[59:60], off offset:268
	s_mov_b32 s49, exec_lo
	s_waitcnt vmcnt(0)
	v_cmpx_ne_u16_e32 0, v0
	s_cbranch_execz .LBB197_115
; %bb.108:                              ;   in Loop: Header=BB197_14 Depth=1
	v_bfrev_b32_e32 v85, 1
	s_mov_b32 s50, exec_lo
	v_cmpx_ne_u16_e32 0x80, v0
	s_cbranch_execz .LBB197_114
; %bb.109:                              ;   in Loop: Header=BB197_14 Depth=1
	v_and_b32_sdwa v56, v0, v69 dst_sel:DWORD dst_unused:UNUSED_PAD src0_sel:WORD_0 src1_sel:DWORD
	v_mov_b32_e32 v85, 0x7f800001
	s_mov_b32 s51, exec_lo
	v_cmpx_ne_u32_e32 0x7f, v56
	s_cbranch_execz .LBB197_113
; %bb.110:                              ;   in Loop: Header=BB197_14 Depth=1
	v_and_b32_sdwa v51, v0, v70 dst_sel:DWORD dst_unused:UNUSED_PAD src0_sel:WORD_0 src1_sel:DWORD
	v_lshrrev_b32_e32 v55, 3, v56
	s_mov_b32 s52, exec_lo
	v_cmpx_gt_u32_e32 8, v56
; %bb.111:                              ;   in Loop: Header=BB197_14 Depth=1
	v_ffbh_u32_e32 v55, v51
	v_min_u32_e32 v55, 32, v55
	v_subrev_nc_u32_e32 v56, 28, v55
	v_sub_nc_u32_e32 v55, 29, v55
	v_lshlrev_b64 v[56:57], v56, v[51:52]
	v_and_b32_e32 v51, 7, v56
; %bb.112:                              ;   in Loop: Header=BB197_14 Depth=1
	s_or_b32 exec_lo, exec_lo, s52
	v_lshlrev_b32_e32 v0, 24, v0
	v_lshlrev_b32_e32 v51, 20, v51
	v_lshl_add_u32 v55, v55, 23, 0x3c000000
	v_and_b32_e32 v0, 0x80000000, v0
	v_or3_b32 v85, v51, v0, v55
.LBB197_113:                            ;   in Loop: Header=BB197_14 Depth=1
	s_or_b32 exec_lo, exec_lo, s51
.LBB197_114:                            ;   in Loop: Header=BB197_14 Depth=1
	s_or_b32 exec_lo, exec_lo, s50
.LBB197_115:                            ;   in Loop: Header=BB197_14 Depth=1
	s_or_b32 exec_lo, exec_lo, s49
	global_load_ubyte v0, v[59:60], off offset:384
	v_mov_b32_e32 v87, 0
	v_mov_b32_e32 v88, 0
	s_mov_b32 s49, exec_lo
	s_waitcnt vmcnt(0)
	v_cmpx_ne_u16_e32 0, v0
	s_cbranch_execz .LBB197_123
; %bb.116:                              ;   in Loop: Header=BB197_14 Depth=1
	v_bfrev_b32_e32 v88, 1
	s_mov_b32 s50, exec_lo
	v_cmpx_ne_u16_e32 0x80, v0
	s_cbranch_execz .LBB197_122
; %bb.117:                              ;   in Loop: Header=BB197_14 Depth=1
	v_and_b32_sdwa v56, v0, v69 dst_sel:DWORD dst_unused:UNUSED_PAD src0_sel:WORD_0 src1_sel:DWORD
	v_mov_b32_e32 v88, 0x7f800001
	s_mov_b32 s51, exec_lo
	v_cmpx_ne_u32_e32 0x7f, v56
	s_cbranch_execz .LBB197_121
; %bb.118:                              ;   in Loop: Header=BB197_14 Depth=1
	v_and_b32_sdwa v51, v0, v70 dst_sel:DWORD dst_unused:UNUSED_PAD src0_sel:WORD_0 src1_sel:DWORD
	v_lshrrev_b32_e32 v55, 3, v56
	s_mov_b32 s52, exec_lo
	v_cmpx_gt_u32_e32 8, v56
; %bb.119:                              ;   in Loop: Header=BB197_14 Depth=1
	v_ffbh_u32_e32 v55, v51
	v_min_u32_e32 v55, 32, v55
	v_subrev_nc_u32_e32 v56, 28, v55
	v_sub_nc_u32_e32 v55, 29, v55
	v_lshlrev_b64 v[56:57], v56, v[51:52]
	v_and_b32_e32 v51, 7, v56
; %bb.120:                              ;   in Loop: Header=BB197_14 Depth=1
	s_or_b32 exec_lo, exec_lo, s52
	v_lshlrev_b32_e32 v0, 24, v0
	v_lshlrev_b32_e32 v51, 20, v51
	v_lshl_add_u32 v55, v55, 23, 0x3c000000
	v_and_b32_e32 v0, 0x80000000, v0
	v_or3_b32 v88, v51, v0, v55
.LBB197_121:                            ;   in Loop: Header=BB197_14 Depth=1
	s_or_b32 exec_lo, exec_lo, s51
.LBB197_122:                            ;   in Loop: Header=BB197_14 Depth=1
	s_or_b32 exec_lo, exec_lo, s50
.LBB197_123:                            ;   in Loop: Header=BB197_14 Depth=1
	s_or_b32 exec_lo, exec_lo, s49
	global_load_ubyte v0, v[59:60], off offset:388
	s_mov_b32 s49, exec_lo
	s_waitcnt vmcnt(0)
	v_cmpx_ne_u16_e32 0, v0
	s_cbranch_execz .LBB197_131
; %bb.124:                              ;   in Loop: Header=BB197_14 Depth=1
	v_bfrev_b32_e32 v87, 1
	s_mov_b32 s50, exec_lo
	v_cmpx_ne_u16_e32 0x80, v0
	s_cbranch_execz .LBB197_130
; %bb.125:                              ;   in Loop: Header=BB197_14 Depth=1
	v_and_b32_sdwa v56, v0, v69 dst_sel:DWORD dst_unused:UNUSED_PAD src0_sel:WORD_0 src1_sel:DWORD
	v_mov_b32_e32 v87, 0x7f800001
	s_mov_b32 s51, exec_lo
	v_cmpx_ne_u32_e32 0x7f, v56
	s_cbranch_execz .LBB197_129
; %bb.126:                              ;   in Loop: Header=BB197_14 Depth=1
	v_and_b32_sdwa v51, v0, v70 dst_sel:DWORD dst_unused:UNUSED_PAD src0_sel:WORD_0 src1_sel:DWORD
	v_lshrrev_b32_e32 v55, 3, v56
	s_mov_b32 s52, exec_lo
	v_cmpx_gt_u32_e32 8, v56
; %bb.127:                              ;   in Loop: Header=BB197_14 Depth=1
	v_ffbh_u32_e32 v55, v51
	v_min_u32_e32 v55, 32, v55
	v_subrev_nc_u32_e32 v56, 28, v55
	v_sub_nc_u32_e32 v55, 29, v55
	v_lshlrev_b64 v[56:57], v56, v[51:52]
	v_and_b32_e32 v51, 7, v56
; %bb.128:                              ;   in Loop: Header=BB197_14 Depth=1
	s_or_b32 exec_lo, exec_lo, s52
	v_lshlrev_b32_e32 v0, 24, v0
	v_lshlrev_b32_e32 v51, 20, v51
	v_lshl_add_u32 v55, v55, 23, 0x3c000000
	v_and_b32_e32 v0, 0x80000000, v0
	v_or3_b32 v87, v51, v0, v55
.LBB197_129:                            ;   in Loop: Header=BB197_14 Depth=1
	s_or_b32 exec_lo, exec_lo, s51
.LBB197_130:                            ;   in Loop: Header=BB197_14 Depth=1
	s_or_b32 exec_lo, exec_lo, s50
.LBB197_131:                            ;   in Loop: Header=BB197_14 Depth=1
	s_or_b32 exec_lo, exec_lo, s49
	global_load_ubyte v0, v[59:60], off offset:392
	v_mov_b32_e32 v89, 0
	v_mov_b32_e32 v90, 0
	s_mov_b32 s49, exec_lo
	s_waitcnt vmcnt(0)
	v_cmpx_ne_u16_e32 0, v0
	s_cbranch_execz .LBB197_139
; %bb.132:                              ;   in Loop: Header=BB197_14 Depth=1
	v_bfrev_b32_e32 v90, 1
	s_mov_b32 s50, exec_lo
	v_cmpx_ne_u16_e32 0x80, v0
	s_cbranch_execz .LBB197_138
; %bb.133:                              ;   in Loop: Header=BB197_14 Depth=1
	v_and_b32_sdwa v56, v0, v69 dst_sel:DWORD dst_unused:UNUSED_PAD src0_sel:WORD_0 src1_sel:DWORD
	v_mov_b32_e32 v90, 0x7f800001
	s_mov_b32 s51, exec_lo
	v_cmpx_ne_u32_e32 0x7f, v56
	s_cbranch_execz .LBB197_137
; %bb.134:                              ;   in Loop: Header=BB197_14 Depth=1
	v_and_b32_sdwa v51, v0, v70 dst_sel:DWORD dst_unused:UNUSED_PAD src0_sel:WORD_0 src1_sel:DWORD
	v_lshrrev_b32_e32 v55, 3, v56
	s_mov_b32 s52, exec_lo
	v_cmpx_gt_u32_e32 8, v56
; %bb.135:                              ;   in Loop: Header=BB197_14 Depth=1
	v_ffbh_u32_e32 v55, v51
	v_min_u32_e32 v55, 32, v55
	v_subrev_nc_u32_e32 v56, 28, v55
	v_sub_nc_u32_e32 v55, 29, v55
	v_lshlrev_b64 v[56:57], v56, v[51:52]
	v_and_b32_e32 v51, 7, v56
; %bb.136:                              ;   in Loop: Header=BB197_14 Depth=1
	s_or_b32 exec_lo, exec_lo, s52
	v_lshlrev_b32_e32 v0, 24, v0
	v_lshlrev_b32_e32 v51, 20, v51
	v_lshl_add_u32 v55, v55, 23, 0x3c000000
	v_and_b32_e32 v0, 0x80000000, v0
	v_or3_b32 v90, v51, v0, v55
.LBB197_137:                            ;   in Loop: Header=BB197_14 Depth=1
	s_or_b32 exec_lo, exec_lo, s51
.LBB197_138:                            ;   in Loop: Header=BB197_14 Depth=1
	s_or_b32 exec_lo, exec_lo, s50
.LBB197_139:                            ;   in Loop: Header=BB197_14 Depth=1
	s_or_b32 exec_lo, exec_lo, s49
	global_load_ubyte v0, v[59:60], off offset:396
	s_mov_b32 s49, exec_lo
	s_waitcnt vmcnt(0)
	v_cmpx_ne_u16_e32 0, v0
	s_cbranch_execz .LBB197_147
; %bb.140:                              ;   in Loop: Header=BB197_14 Depth=1
	v_bfrev_b32_e32 v89, 1
	s_mov_b32 s50, exec_lo
	v_cmpx_ne_u16_e32 0x80, v0
	s_cbranch_execz .LBB197_146
; %bb.141:                              ;   in Loop: Header=BB197_14 Depth=1
	v_and_b32_sdwa v56, v0, v69 dst_sel:DWORD dst_unused:UNUSED_PAD src0_sel:WORD_0 src1_sel:DWORD
	v_mov_b32_e32 v89, 0x7f800001
	s_mov_b32 s51, exec_lo
	v_cmpx_ne_u32_e32 0x7f, v56
	s_cbranch_execz .LBB197_145
; %bb.142:                              ;   in Loop: Header=BB197_14 Depth=1
	v_and_b32_sdwa v51, v0, v70 dst_sel:DWORD dst_unused:UNUSED_PAD src0_sel:WORD_0 src1_sel:DWORD
	v_lshrrev_b32_e32 v55, 3, v56
	s_mov_b32 s52, exec_lo
	v_cmpx_gt_u32_e32 8, v56
; %bb.143:                              ;   in Loop: Header=BB197_14 Depth=1
	v_ffbh_u32_e32 v55, v51
	v_min_u32_e32 v55, 32, v55
	v_subrev_nc_u32_e32 v56, 28, v55
	v_sub_nc_u32_e32 v55, 29, v55
	v_lshlrev_b64 v[56:57], v56, v[51:52]
	v_and_b32_e32 v51, 7, v56
; %bb.144:                              ;   in Loop: Header=BB197_14 Depth=1
	s_or_b32 exec_lo, exec_lo, s52
	v_lshlrev_b32_e32 v0, 24, v0
	v_lshlrev_b32_e32 v51, 20, v51
	v_lshl_add_u32 v55, v55, 23, 0x3c000000
	v_and_b32_e32 v0, 0x80000000, v0
	v_or3_b32 v89, v51, v0, v55
.LBB197_145:                            ;   in Loop: Header=BB197_14 Depth=1
	s_or_b32 exec_lo, exec_lo, s51
.LBB197_146:                            ;   in Loop: Header=BB197_14 Depth=1
	s_or_b32 exec_lo, exec_lo, s50
.LBB197_147:                            ;   in Loop: Header=BB197_14 Depth=1
	s_or_b32 exec_lo, exec_lo, s49
	global_load_ubyte v0, v[59:60], off offset:512
	v_mov_b32_e32 v91, 0
	v_mov_b32_e32 v92, 0
	s_mov_b32 s49, exec_lo
	s_waitcnt vmcnt(0)
	v_cmpx_ne_u16_e32 0, v0
	s_cbranch_execz .LBB197_155
; %bb.148:                              ;   in Loop: Header=BB197_14 Depth=1
	v_bfrev_b32_e32 v92, 1
	s_mov_b32 s50, exec_lo
	v_cmpx_ne_u16_e32 0x80, v0
	s_cbranch_execz .LBB197_154
; %bb.149:                              ;   in Loop: Header=BB197_14 Depth=1
	v_and_b32_sdwa v56, v0, v69 dst_sel:DWORD dst_unused:UNUSED_PAD src0_sel:WORD_0 src1_sel:DWORD
	v_mov_b32_e32 v92, 0x7f800001
	s_mov_b32 s51, exec_lo
	v_cmpx_ne_u32_e32 0x7f, v56
	s_cbranch_execz .LBB197_153
; %bb.150:                              ;   in Loop: Header=BB197_14 Depth=1
	v_and_b32_sdwa v51, v0, v70 dst_sel:DWORD dst_unused:UNUSED_PAD src0_sel:WORD_0 src1_sel:DWORD
	v_lshrrev_b32_e32 v55, 3, v56
	s_mov_b32 s52, exec_lo
	v_cmpx_gt_u32_e32 8, v56
; %bb.151:                              ;   in Loop: Header=BB197_14 Depth=1
	v_ffbh_u32_e32 v55, v51
	v_min_u32_e32 v55, 32, v55
	v_subrev_nc_u32_e32 v56, 28, v55
	v_sub_nc_u32_e32 v55, 29, v55
	v_lshlrev_b64 v[56:57], v56, v[51:52]
	v_and_b32_e32 v51, 7, v56
; %bb.152:                              ;   in Loop: Header=BB197_14 Depth=1
	s_or_b32 exec_lo, exec_lo, s52
	v_lshlrev_b32_e32 v0, 24, v0
	v_lshlrev_b32_e32 v51, 20, v51
	v_lshl_add_u32 v55, v55, 23, 0x3c000000
	v_and_b32_e32 v0, 0x80000000, v0
	v_or3_b32 v92, v51, v0, v55
.LBB197_153:                            ;   in Loop: Header=BB197_14 Depth=1
	s_or_b32 exec_lo, exec_lo, s51
.LBB197_154:                            ;   in Loop: Header=BB197_14 Depth=1
	s_or_b32 exec_lo, exec_lo, s50
.LBB197_155:                            ;   in Loop: Header=BB197_14 Depth=1
	s_or_b32 exec_lo, exec_lo, s49
	global_load_ubyte v0, v[59:60], off offset:516
	s_mov_b32 s49, exec_lo
	s_waitcnt vmcnt(0)
	v_cmpx_ne_u16_e32 0, v0
	s_cbranch_execz .LBB197_163
; %bb.156:                              ;   in Loop: Header=BB197_14 Depth=1
	v_bfrev_b32_e32 v91, 1
	s_mov_b32 s50, exec_lo
	v_cmpx_ne_u16_e32 0x80, v0
	s_cbranch_execz .LBB197_162
; %bb.157:                              ;   in Loop: Header=BB197_14 Depth=1
	v_and_b32_sdwa v56, v0, v69 dst_sel:DWORD dst_unused:UNUSED_PAD src0_sel:WORD_0 src1_sel:DWORD
	v_mov_b32_e32 v91, 0x7f800001
	s_mov_b32 s51, exec_lo
	v_cmpx_ne_u32_e32 0x7f, v56
	s_cbranch_execz .LBB197_161
; %bb.158:                              ;   in Loop: Header=BB197_14 Depth=1
	v_and_b32_sdwa v51, v0, v70 dst_sel:DWORD dst_unused:UNUSED_PAD src0_sel:WORD_0 src1_sel:DWORD
	v_lshrrev_b32_e32 v55, 3, v56
	s_mov_b32 s52, exec_lo
	v_cmpx_gt_u32_e32 8, v56
; %bb.159:                              ;   in Loop: Header=BB197_14 Depth=1
	v_ffbh_u32_e32 v55, v51
	v_min_u32_e32 v55, 32, v55
	v_subrev_nc_u32_e32 v56, 28, v55
	v_sub_nc_u32_e32 v55, 29, v55
	v_lshlrev_b64 v[56:57], v56, v[51:52]
	v_and_b32_e32 v51, 7, v56
; %bb.160:                              ;   in Loop: Header=BB197_14 Depth=1
	s_or_b32 exec_lo, exec_lo, s52
	v_lshlrev_b32_e32 v0, 24, v0
	v_lshlrev_b32_e32 v51, 20, v51
	v_lshl_add_u32 v55, v55, 23, 0x3c000000
	v_and_b32_e32 v0, 0x80000000, v0
	v_or3_b32 v91, v51, v0, v55
.LBB197_161:                            ;   in Loop: Header=BB197_14 Depth=1
	s_or_b32 exec_lo, exec_lo, s51
.LBB197_162:                            ;   in Loop: Header=BB197_14 Depth=1
	s_or_b32 exec_lo, exec_lo, s50
.LBB197_163:                            ;   in Loop: Header=BB197_14 Depth=1
	s_or_b32 exec_lo, exec_lo, s49
	global_load_ubyte v0, v[59:60], off offset:520
	v_mov_b32_e32 v93, 0
	v_mov_b32_e32 v94, 0
	s_mov_b32 s49, exec_lo
	s_waitcnt vmcnt(0)
	v_cmpx_ne_u16_e32 0, v0
	s_cbranch_execz .LBB197_171
; %bb.164:                              ;   in Loop: Header=BB197_14 Depth=1
	v_bfrev_b32_e32 v94, 1
	s_mov_b32 s50, exec_lo
	v_cmpx_ne_u16_e32 0x80, v0
	s_cbranch_execz .LBB197_170
; %bb.165:                              ;   in Loop: Header=BB197_14 Depth=1
	v_and_b32_sdwa v56, v0, v69 dst_sel:DWORD dst_unused:UNUSED_PAD src0_sel:WORD_0 src1_sel:DWORD
	v_mov_b32_e32 v94, 0x7f800001
	s_mov_b32 s51, exec_lo
	v_cmpx_ne_u32_e32 0x7f, v56
	s_cbranch_execz .LBB197_169
; %bb.166:                              ;   in Loop: Header=BB197_14 Depth=1
	v_and_b32_sdwa v51, v0, v70 dst_sel:DWORD dst_unused:UNUSED_PAD src0_sel:WORD_0 src1_sel:DWORD
	v_lshrrev_b32_e32 v55, 3, v56
	s_mov_b32 s52, exec_lo
	v_cmpx_gt_u32_e32 8, v56
; %bb.167:                              ;   in Loop: Header=BB197_14 Depth=1
	v_ffbh_u32_e32 v55, v51
	v_min_u32_e32 v55, 32, v55
	v_subrev_nc_u32_e32 v56, 28, v55
	v_sub_nc_u32_e32 v55, 29, v55
	v_lshlrev_b64 v[56:57], v56, v[51:52]
	v_and_b32_e32 v51, 7, v56
; %bb.168:                              ;   in Loop: Header=BB197_14 Depth=1
	s_or_b32 exec_lo, exec_lo, s52
	v_lshlrev_b32_e32 v0, 24, v0
	v_lshlrev_b32_e32 v51, 20, v51
	v_lshl_add_u32 v55, v55, 23, 0x3c000000
	v_and_b32_e32 v0, 0x80000000, v0
	v_or3_b32 v94, v51, v0, v55
.LBB197_169:                            ;   in Loop: Header=BB197_14 Depth=1
	s_or_b32 exec_lo, exec_lo, s51
.LBB197_170:                            ;   in Loop: Header=BB197_14 Depth=1
	s_or_b32 exec_lo, exec_lo, s50
.LBB197_171:                            ;   in Loop: Header=BB197_14 Depth=1
	s_or_b32 exec_lo, exec_lo, s49
	global_load_ubyte v0, v[59:60], off offset:524
	s_mov_b32 s49, exec_lo
	s_waitcnt vmcnt(0)
	v_cmpx_ne_u16_e32 0, v0
	s_cbranch_execz .LBB197_179
; %bb.172:                              ;   in Loop: Header=BB197_14 Depth=1
	v_bfrev_b32_e32 v93, 1
	s_mov_b32 s50, exec_lo
	v_cmpx_ne_u16_e32 0x80, v0
	s_cbranch_execz .LBB197_178
; %bb.173:                              ;   in Loop: Header=BB197_14 Depth=1
	v_and_b32_sdwa v56, v0, v69 dst_sel:DWORD dst_unused:UNUSED_PAD src0_sel:WORD_0 src1_sel:DWORD
	v_mov_b32_e32 v93, 0x7f800001
	s_mov_b32 s51, exec_lo
	v_cmpx_ne_u32_e32 0x7f, v56
	s_cbranch_execz .LBB197_177
; %bb.174:                              ;   in Loop: Header=BB197_14 Depth=1
	v_and_b32_sdwa v51, v0, v70 dst_sel:DWORD dst_unused:UNUSED_PAD src0_sel:WORD_0 src1_sel:DWORD
	v_lshrrev_b32_e32 v55, 3, v56
	s_mov_b32 s52, exec_lo
	v_cmpx_gt_u32_e32 8, v56
; %bb.175:                              ;   in Loop: Header=BB197_14 Depth=1
	v_ffbh_u32_e32 v55, v51
	v_min_u32_e32 v55, 32, v55
	v_subrev_nc_u32_e32 v56, 28, v55
	v_sub_nc_u32_e32 v55, 29, v55
	v_lshlrev_b64 v[56:57], v56, v[51:52]
	v_and_b32_e32 v51, 7, v56
; %bb.176:                              ;   in Loop: Header=BB197_14 Depth=1
	s_or_b32 exec_lo, exec_lo, s52
	v_lshlrev_b32_e32 v0, 24, v0
	v_lshlrev_b32_e32 v51, 20, v51
	v_lshl_add_u32 v55, v55, 23, 0x3c000000
	v_and_b32_e32 v0, 0x80000000, v0
	v_or3_b32 v93, v51, v0, v55
.LBB197_177:                            ;   in Loop: Header=BB197_14 Depth=1
	s_or_b32 exec_lo, exec_lo, s51
.LBB197_178:                            ;   in Loop: Header=BB197_14 Depth=1
	s_or_b32 exec_lo, exec_lo, s50
.LBB197_179:                            ;   in Loop: Header=BB197_14 Depth=1
	s_or_b32 exec_lo, exec_lo, s49
	global_load_ubyte v0, v[59:60], off offset:640
	v_mov_b32_e32 v95, 0
	v_mov_b32_e32 v96, 0
	s_mov_b32 s49, exec_lo
	s_waitcnt vmcnt(0)
	v_cmpx_ne_u16_e32 0, v0
	s_cbranch_execz .LBB197_187
; %bb.180:                              ;   in Loop: Header=BB197_14 Depth=1
	v_bfrev_b32_e32 v96, 1
	s_mov_b32 s50, exec_lo
	v_cmpx_ne_u16_e32 0x80, v0
	s_cbranch_execz .LBB197_186
; %bb.181:                              ;   in Loop: Header=BB197_14 Depth=1
	v_and_b32_sdwa v56, v0, v69 dst_sel:DWORD dst_unused:UNUSED_PAD src0_sel:WORD_0 src1_sel:DWORD
	v_mov_b32_e32 v96, 0x7f800001
	s_mov_b32 s51, exec_lo
	v_cmpx_ne_u32_e32 0x7f, v56
	s_cbranch_execz .LBB197_185
; %bb.182:                              ;   in Loop: Header=BB197_14 Depth=1
	v_and_b32_sdwa v51, v0, v70 dst_sel:DWORD dst_unused:UNUSED_PAD src0_sel:WORD_0 src1_sel:DWORD
	v_lshrrev_b32_e32 v55, 3, v56
	s_mov_b32 s52, exec_lo
	v_cmpx_gt_u32_e32 8, v56
; %bb.183:                              ;   in Loop: Header=BB197_14 Depth=1
	v_ffbh_u32_e32 v55, v51
	v_min_u32_e32 v55, 32, v55
	v_subrev_nc_u32_e32 v56, 28, v55
	v_sub_nc_u32_e32 v55, 29, v55
	v_lshlrev_b64 v[56:57], v56, v[51:52]
	v_and_b32_e32 v51, 7, v56
; %bb.184:                              ;   in Loop: Header=BB197_14 Depth=1
	s_or_b32 exec_lo, exec_lo, s52
	v_lshlrev_b32_e32 v0, 24, v0
	v_lshlrev_b32_e32 v51, 20, v51
	v_lshl_add_u32 v55, v55, 23, 0x3c000000
	v_and_b32_e32 v0, 0x80000000, v0
	v_or3_b32 v96, v51, v0, v55
.LBB197_185:                            ;   in Loop: Header=BB197_14 Depth=1
	s_or_b32 exec_lo, exec_lo, s51
.LBB197_186:                            ;   in Loop: Header=BB197_14 Depth=1
	s_or_b32 exec_lo, exec_lo, s50
.LBB197_187:                            ;   in Loop: Header=BB197_14 Depth=1
	s_or_b32 exec_lo, exec_lo, s49
	global_load_ubyte v0, v[59:60], off offset:644
	s_mov_b32 s49, exec_lo
	s_waitcnt vmcnt(0)
	v_cmpx_ne_u16_e32 0, v0
	s_cbranch_execz .LBB197_195
; %bb.188:                              ;   in Loop: Header=BB197_14 Depth=1
	v_bfrev_b32_e32 v95, 1
	s_mov_b32 s50, exec_lo
	v_cmpx_ne_u16_e32 0x80, v0
	s_cbranch_execz .LBB197_194
; %bb.189:                              ;   in Loop: Header=BB197_14 Depth=1
	v_and_b32_sdwa v56, v0, v69 dst_sel:DWORD dst_unused:UNUSED_PAD src0_sel:WORD_0 src1_sel:DWORD
	v_mov_b32_e32 v95, 0x7f800001
	s_mov_b32 s51, exec_lo
	v_cmpx_ne_u32_e32 0x7f, v56
	s_cbranch_execz .LBB197_193
; %bb.190:                              ;   in Loop: Header=BB197_14 Depth=1
	v_and_b32_sdwa v51, v0, v70 dst_sel:DWORD dst_unused:UNUSED_PAD src0_sel:WORD_0 src1_sel:DWORD
	v_lshrrev_b32_e32 v55, 3, v56
	s_mov_b32 s52, exec_lo
	v_cmpx_gt_u32_e32 8, v56
; %bb.191:                              ;   in Loop: Header=BB197_14 Depth=1
	v_ffbh_u32_e32 v55, v51
	v_min_u32_e32 v55, 32, v55
	v_subrev_nc_u32_e32 v56, 28, v55
	v_sub_nc_u32_e32 v55, 29, v55
	v_lshlrev_b64 v[56:57], v56, v[51:52]
	v_and_b32_e32 v51, 7, v56
; %bb.192:                              ;   in Loop: Header=BB197_14 Depth=1
	s_or_b32 exec_lo, exec_lo, s52
	v_lshlrev_b32_e32 v0, 24, v0
	v_lshlrev_b32_e32 v51, 20, v51
	v_lshl_add_u32 v55, v55, 23, 0x3c000000
	v_and_b32_e32 v0, 0x80000000, v0
	v_or3_b32 v95, v51, v0, v55
.LBB197_193:                            ;   in Loop: Header=BB197_14 Depth=1
	s_or_b32 exec_lo, exec_lo, s51
.LBB197_194:                            ;   in Loop: Header=BB197_14 Depth=1
	s_or_b32 exec_lo, exec_lo, s50
.LBB197_195:                            ;   in Loop: Header=BB197_14 Depth=1
	s_or_b32 exec_lo, exec_lo, s49
	global_load_ubyte v0, v[59:60], off offset:648
	v_mov_b32_e32 v97, 0
	v_mov_b32_e32 v98, 0
	s_mov_b32 s49, exec_lo
	s_waitcnt vmcnt(0)
	v_cmpx_ne_u16_e32 0, v0
	s_cbranch_execz .LBB197_203
; %bb.196:                              ;   in Loop: Header=BB197_14 Depth=1
	v_bfrev_b32_e32 v98, 1
	s_mov_b32 s50, exec_lo
	v_cmpx_ne_u16_e32 0x80, v0
	s_cbranch_execz .LBB197_202
; %bb.197:                              ;   in Loop: Header=BB197_14 Depth=1
	v_and_b32_sdwa v56, v0, v69 dst_sel:DWORD dst_unused:UNUSED_PAD src0_sel:WORD_0 src1_sel:DWORD
	v_mov_b32_e32 v98, 0x7f800001
	s_mov_b32 s51, exec_lo
	v_cmpx_ne_u32_e32 0x7f, v56
	s_cbranch_execz .LBB197_201
; %bb.198:                              ;   in Loop: Header=BB197_14 Depth=1
	v_and_b32_sdwa v51, v0, v70 dst_sel:DWORD dst_unused:UNUSED_PAD src0_sel:WORD_0 src1_sel:DWORD
	v_lshrrev_b32_e32 v55, 3, v56
	s_mov_b32 s52, exec_lo
	v_cmpx_gt_u32_e32 8, v56
; %bb.199:                              ;   in Loop: Header=BB197_14 Depth=1
	v_ffbh_u32_e32 v55, v51
	v_min_u32_e32 v55, 32, v55
	v_subrev_nc_u32_e32 v56, 28, v55
	v_sub_nc_u32_e32 v55, 29, v55
	v_lshlrev_b64 v[56:57], v56, v[51:52]
	v_and_b32_e32 v51, 7, v56
; %bb.200:                              ;   in Loop: Header=BB197_14 Depth=1
	s_or_b32 exec_lo, exec_lo, s52
	v_lshlrev_b32_e32 v0, 24, v0
	v_lshlrev_b32_e32 v51, 20, v51
	v_lshl_add_u32 v55, v55, 23, 0x3c000000
	v_and_b32_e32 v0, 0x80000000, v0
	v_or3_b32 v98, v51, v0, v55
.LBB197_201:                            ;   in Loop: Header=BB197_14 Depth=1
	s_or_b32 exec_lo, exec_lo, s51
.LBB197_202:                            ;   in Loop: Header=BB197_14 Depth=1
	s_or_b32 exec_lo, exec_lo, s50
.LBB197_203:                            ;   in Loop: Header=BB197_14 Depth=1
	s_or_b32 exec_lo, exec_lo, s49
	global_load_ubyte v0, v[59:60], off offset:652
	s_mov_b32 s49, exec_lo
	s_waitcnt vmcnt(0)
	v_cmpx_ne_u16_e32 0, v0
	s_cbranch_execz .LBB197_211
; %bb.204:                              ;   in Loop: Header=BB197_14 Depth=1
	v_bfrev_b32_e32 v97, 1
	s_mov_b32 s50, exec_lo
	v_cmpx_ne_u16_e32 0x80, v0
	s_cbranch_execz .LBB197_210
; %bb.205:                              ;   in Loop: Header=BB197_14 Depth=1
	v_and_b32_sdwa v56, v0, v69 dst_sel:DWORD dst_unused:UNUSED_PAD src0_sel:WORD_0 src1_sel:DWORD
	v_mov_b32_e32 v97, 0x7f800001
	s_mov_b32 s51, exec_lo
	v_cmpx_ne_u32_e32 0x7f, v56
	s_cbranch_execz .LBB197_209
; %bb.206:                              ;   in Loop: Header=BB197_14 Depth=1
	v_and_b32_sdwa v51, v0, v70 dst_sel:DWORD dst_unused:UNUSED_PAD src0_sel:WORD_0 src1_sel:DWORD
	v_lshrrev_b32_e32 v55, 3, v56
	s_mov_b32 s52, exec_lo
	v_cmpx_gt_u32_e32 8, v56
; %bb.207:                              ;   in Loop: Header=BB197_14 Depth=1
	v_ffbh_u32_e32 v55, v51
	v_min_u32_e32 v55, 32, v55
	v_subrev_nc_u32_e32 v56, 28, v55
	v_sub_nc_u32_e32 v55, 29, v55
	v_lshlrev_b64 v[56:57], v56, v[51:52]
	v_and_b32_e32 v51, 7, v56
; %bb.208:                              ;   in Loop: Header=BB197_14 Depth=1
	s_or_b32 exec_lo, exec_lo, s52
	v_lshlrev_b32_e32 v0, 24, v0
	v_lshlrev_b32_e32 v51, 20, v51
	v_lshl_add_u32 v55, v55, 23, 0x3c000000
	v_and_b32_e32 v0, 0x80000000, v0
	v_or3_b32 v97, v51, v0, v55
.LBB197_209:                            ;   in Loop: Header=BB197_14 Depth=1
	s_or_b32 exec_lo, exec_lo, s51
.LBB197_210:                            ;   in Loop: Header=BB197_14 Depth=1
	s_or_b32 exec_lo, exec_lo, s50
.LBB197_211:                            ;   in Loop: Header=BB197_14 Depth=1
	s_or_b32 exec_lo, exec_lo, s49
	global_load_ubyte v0, v[59:60], off offset:768
	v_mov_b32_e32 v99, 0
	v_mov_b32_e32 v100, 0
	s_mov_b32 s49, exec_lo
	s_waitcnt vmcnt(0)
	v_cmpx_ne_u16_e32 0, v0
	s_cbranch_execz .LBB197_219
; %bb.212:                              ;   in Loop: Header=BB197_14 Depth=1
	v_bfrev_b32_e32 v100, 1
	s_mov_b32 s50, exec_lo
	v_cmpx_ne_u16_e32 0x80, v0
	s_cbranch_execz .LBB197_218
; %bb.213:                              ;   in Loop: Header=BB197_14 Depth=1
	v_and_b32_sdwa v56, v0, v69 dst_sel:DWORD dst_unused:UNUSED_PAD src0_sel:WORD_0 src1_sel:DWORD
	v_mov_b32_e32 v100, 0x7f800001
	s_mov_b32 s51, exec_lo
	v_cmpx_ne_u32_e32 0x7f, v56
	s_cbranch_execz .LBB197_217
; %bb.214:                              ;   in Loop: Header=BB197_14 Depth=1
	v_and_b32_sdwa v51, v0, v70 dst_sel:DWORD dst_unused:UNUSED_PAD src0_sel:WORD_0 src1_sel:DWORD
	v_lshrrev_b32_e32 v55, 3, v56
	s_mov_b32 s52, exec_lo
	v_cmpx_gt_u32_e32 8, v56
; %bb.215:                              ;   in Loop: Header=BB197_14 Depth=1
	v_ffbh_u32_e32 v55, v51
	v_min_u32_e32 v55, 32, v55
	v_subrev_nc_u32_e32 v56, 28, v55
	v_sub_nc_u32_e32 v55, 29, v55
	v_lshlrev_b64 v[56:57], v56, v[51:52]
	v_and_b32_e32 v51, 7, v56
; %bb.216:                              ;   in Loop: Header=BB197_14 Depth=1
	s_or_b32 exec_lo, exec_lo, s52
	v_lshlrev_b32_e32 v0, 24, v0
	v_lshlrev_b32_e32 v51, 20, v51
	v_lshl_add_u32 v55, v55, 23, 0x3c000000
	v_and_b32_e32 v0, 0x80000000, v0
	v_or3_b32 v100, v51, v0, v55
.LBB197_217:                            ;   in Loop: Header=BB197_14 Depth=1
	s_or_b32 exec_lo, exec_lo, s51
.LBB197_218:                            ;   in Loop: Header=BB197_14 Depth=1
	s_or_b32 exec_lo, exec_lo, s50
.LBB197_219:                            ;   in Loop: Header=BB197_14 Depth=1
	s_or_b32 exec_lo, exec_lo, s49
	global_load_ubyte v0, v[59:60], off offset:772
	s_mov_b32 s49, exec_lo
	s_waitcnt vmcnt(0)
	v_cmpx_ne_u16_e32 0, v0
	s_cbranch_execz .LBB197_227
; %bb.220:                              ;   in Loop: Header=BB197_14 Depth=1
	v_bfrev_b32_e32 v99, 1
	s_mov_b32 s50, exec_lo
	v_cmpx_ne_u16_e32 0x80, v0
	s_cbranch_execz .LBB197_226
; %bb.221:                              ;   in Loop: Header=BB197_14 Depth=1
	v_and_b32_sdwa v56, v0, v69 dst_sel:DWORD dst_unused:UNUSED_PAD src0_sel:WORD_0 src1_sel:DWORD
	v_mov_b32_e32 v99, 0x7f800001
	s_mov_b32 s51, exec_lo
	v_cmpx_ne_u32_e32 0x7f, v56
	s_cbranch_execz .LBB197_225
; %bb.222:                              ;   in Loop: Header=BB197_14 Depth=1
	v_and_b32_sdwa v51, v0, v70 dst_sel:DWORD dst_unused:UNUSED_PAD src0_sel:WORD_0 src1_sel:DWORD
	v_lshrrev_b32_e32 v55, 3, v56
	s_mov_b32 s52, exec_lo
	v_cmpx_gt_u32_e32 8, v56
; %bb.223:                              ;   in Loop: Header=BB197_14 Depth=1
	v_ffbh_u32_e32 v55, v51
	v_min_u32_e32 v55, 32, v55
	v_subrev_nc_u32_e32 v56, 28, v55
	v_sub_nc_u32_e32 v55, 29, v55
	v_lshlrev_b64 v[56:57], v56, v[51:52]
	v_and_b32_e32 v51, 7, v56
; %bb.224:                              ;   in Loop: Header=BB197_14 Depth=1
	s_or_b32 exec_lo, exec_lo, s52
	v_lshlrev_b32_e32 v0, 24, v0
	v_lshlrev_b32_e32 v51, 20, v51
	v_lshl_add_u32 v55, v55, 23, 0x3c000000
	v_and_b32_e32 v0, 0x80000000, v0
	v_or3_b32 v99, v51, v0, v55
.LBB197_225:                            ;   in Loop: Header=BB197_14 Depth=1
	s_or_b32 exec_lo, exec_lo, s51
.LBB197_226:                            ;   in Loop: Header=BB197_14 Depth=1
	s_or_b32 exec_lo, exec_lo, s50
.LBB197_227:                            ;   in Loop: Header=BB197_14 Depth=1
	s_or_b32 exec_lo, exec_lo, s49
	global_load_ubyte v0, v[59:60], off offset:776
	v_mov_b32_e32 v101, 0
	v_mov_b32_e32 v102, 0
	s_mov_b32 s49, exec_lo
	s_waitcnt vmcnt(0)
	v_cmpx_ne_u16_e32 0, v0
	s_cbranch_execz .LBB197_235
; %bb.228:                              ;   in Loop: Header=BB197_14 Depth=1
	v_bfrev_b32_e32 v102, 1
	s_mov_b32 s50, exec_lo
	v_cmpx_ne_u16_e32 0x80, v0
	s_cbranch_execz .LBB197_234
; %bb.229:                              ;   in Loop: Header=BB197_14 Depth=1
	v_and_b32_sdwa v56, v0, v69 dst_sel:DWORD dst_unused:UNUSED_PAD src0_sel:WORD_0 src1_sel:DWORD
	v_mov_b32_e32 v102, 0x7f800001
	s_mov_b32 s51, exec_lo
	v_cmpx_ne_u32_e32 0x7f, v56
	s_cbranch_execz .LBB197_233
; %bb.230:                              ;   in Loop: Header=BB197_14 Depth=1
	v_and_b32_sdwa v51, v0, v70 dst_sel:DWORD dst_unused:UNUSED_PAD src0_sel:WORD_0 src1_sel:DWORD
	v_lshrrev_b32_e32 v55, 3, v56
	s_mov_b32 s52, exec_lo
	v_cmpx_gt_u32_e32 8, v56
; %bb.231:                              ;   in Loop: Header=BB197_14 Depth=1
	v_ffbh_u32_e32 v55, v51
	v_min_u32_e32 v55, 32, v55
	v_subrev_nc_u32_e32 v56, 28, v55
	v_sub_nc_u32_e32 v55, 29, v55
	v_lshlrev_b64 v[56:57], v56, v[51:52]
	v_and_b32_e32 v51, 7, v56
; %bb.232:                              ;   in Loop: Header=BB197_14 Depth=1
	s_or_b32 exec_lo, exec_lo, s52
	v_lshlrev_b32_e32 v0, 24, v0
	v_lshlrev_b32_e32 v51, 20, v51
	v_lshl_add_u32 v55, v55, 23, 0x3c000000
	v_and_b32_e32 v0, 0x80000000, v0
	v_or3_b32 v102, v51, v0, v55
.LBB197_233:                            ;   in Loop: Header=BB197_14 Depth=1
	s_or_b32 exec_lo, exec_lo, s51
.LBB197_234:                            ;   in Loop: Header=BB197_14 Depth=1
	s_or_b32 exec_lo, exec_lo, s50
.LBB197_235:                            ;   in Loop: Header=BB197_14 Depth=1
	s_or_b32 exec_lo, exec_lo, s49
	global_load_ubyte v0, v[59:60], off offset:780
	s_mov_b32 s49, exec_lo
	s_waitcnt vmcnt(0)
	v_cmpx_ne_u16_e32 0, v0
	s_cbranch_execz .LBB197_243
; %bb.236:                              ;   in Loop: Header=BB197_14 Depth=1
	v_bfrev_b32_e32 v101, 1
	s_mov_b32 s50, exec_lo
	v_cmpx_ne_u16_e32 0x80, v0
	s_cbranch_execz .LBB197_242
; %bb.237:                              ;   in Loop: Header=BB197_14 Depth=1
	v_and_b32_sdwa v56, v0, v69 dst_sel:DWORD dst_unused:UNUSED_PAD src0_sel:WORD_0 src1_sel:DWORD
	v_mov_b32_e32 v101, 0x7f800001
	s_mov_b32 s51, exec_lo
	v_cmpx_ne_u32_e32 0x7f, v56
	s_cbranch_execz .LBB197_241
; %bb.238:                              ;   in Loop: Header=BB197_14 Depth=1
	v_and_b32_sdwa v51, v0, v70 dst_sel:DWORD dst_unused:UNUSED_PAD src0_sel:WORD_0 src1_sel:DWORD
	v_lshrrev_b32_e32 v55, 3, v56
	s_mov_b32 s52, exec_lo
	v_cmpx_gt_u32_e32 8, v56
; %bb.239:                              ;   in Loop: Header=BB197_14 Depth=1
	v_ffbh_u32_e32 v55, v51
	v_min_u32_e32 v55, 32, v55
	v_subrev_nc_u32_e32 v56, 28, v55
	v_sub_nc_u32_e32 v55, 29, v55
	v_lshlrev_b64 v[56:57], v56, v[51:52]
	v_and_b32_e32 v51, 7, v56
; %bb.240:                              ;   in Loop: Header=BB197_14 Depth=1
	s_or_b32 exec_lo, exec_lo, s52
	v_lshlrev_b32_e32 v0, 24, v0
	v_lshlrev_b32_e32 v51, 20, v51
	v_lshl_add_u32 v55, v55, 23, 0x3c000000
	v_and_b32_e32 v0, 0x80000000, v0
	v_or3_b32 v101, v51, v0, v55
.LBB197_241:                            ;   in Loop: Header=BB197_14 Depth=1
	s_or_b32 exec_lo, exec_lo, s51
.LBB197_242:                            ;   in Loop: Header=BB197_14 Depth=1
	s_or_b32 exec_lo, exec_lo, s50
.LBB197_243:                            ;   in Loop: Header=BB197_14 Depth=1
	s_or_b32 exec_lo, exec_lo, s49
	global_load_ubyte v0, v[59:60], off offset:896
	v_mov_b32_e32 v103, 0
	v_mov_b32_e32 v104, 0
	s_mov_b32 s49, exec_lo
	s_waitcnt vmcnt(0)
	v_cmpx_ne_u16_e32 0, v0
	s_cbranch_execz .LBB197_251
; %bb.244:                              ;   in Loop: Header=BB197_14 Depth=1
	v_bfrev_b32_e32 v104, 1
	s_mov_b32 s50, exec_lo
	v_cmpx_ne_u16_e32 0x80, v0
	s_cbranch_execz .LBB197_250
; %bb.245:                              ;   in Loop: Header=BB197_14 Depth=1
	v_and_b32_sdwa v56, v0, v69 dst_sel:DWORD dst_unused:UNUSED_PAD src0_sel:WORD_0 src1_sel:DWORD
	v_mov_b32_e32 v104, 0x7f800001
	s_mov_b32 s51, exec_lo
	v_cmpx_ne_u32_e32 0x7f, v56
	s_cbranch_execz .LBB197_249
; %bb.246:                              ;   in Loop: Header=BB197_14 Depth=1
	v_and_b32_sdwa v51, v0, v70 dst_sel:DWORD dst_unused:UNUSED_PAD src0_sel:WORD_0 src1_sel:DWORD
	v_lshrrev_b32_e32 v55, 3, v56
	s_mov_b32 s52, exec_lo
	v_cmpx_gt_u32_e32 8, v56
; %bb.247:                              ;   in Loop: Header=BB197_14 Depth=1
	v_ffbh_u32_e32 v55, v51
	v_min_u32_e32 v55, 32, v55
	v_subrev_nc_u32_e32 v56, 28, v55
	v_sub_nc_u32_e32 v55, 29, v55
	v_lshlrev_b64 v[56:57], v56, v[51:52]
	v_and_b32_e32 v51, 7, v56
; %bb.248:                              ;   in Loop: Header=BB197_14 Depth=1
	s_or_b32 exec_lo, exec_lo, s52
	v_lshlrev_b32_e32 v0, 24, v0
	v_lshlrev_b32_e32 v51, 20, v51
	v_lshl_add_u32 v55, v55, 23, 0x3c000000
	v_and_b32_e32 v0, 0x80000000, v0
	v_or3_b32 v104, v51, v0, v55
.LBB197_249:                            ;   in Loop: Header=BB197_14 Depth=1
	s_or_b32 exec_lo, exec_lo, s51
.LBB197_250:                            ;   in Loop: Header=BB197_14 Depth=1
	s_or_b32 exec_lo, exec_lo, s50
.LBB197_251:                            ;   in Loop: Header=BB197_14 Depth=1
	s_or_b32 exec_lo, exec_lo, s49
	global_load_ubyte v0, v[59:60], off offset:900
	s_mov_b32 s49, exec_lo
	s_waitcnt vmcnt(0)
	v_cmpx_ne_u16_e32 0, v0
	s_cbranch_execz .LBB197_259
; %bb.252:                              ;   in Loop: Header=BB197_14 Depth=1
	v_bfrev_b32_e32 v103, 1
	s_mov_b32 s50, exec_lo
	v_cmpx_ne_u16_e32 0x80, v0
	s_cbranch_execz .LBB197_258
; %bb.253:                              ;   in Loop: Header=BB197_14 Depth=1
	v_and_b32_sdwa v56, v0, v69 dst_sel:DWORD dst_unused:UNUSED_PAD src0_sel:WORD_0 src1_sel:DWORD
	v_mov_b32_e32 v103, 0x7f800001
	s_mov_b32 s51, exec_lo
	v_cmpx_ne_u32_e32 0x7f, v56
	s_cbranch_execz .LBB197_257
; %bb.254:                              ;   in Loop: Header=BB197_14 Depth=1
	v_and_b32_sdwa v51, v0, v70 dst_sel:DWORD dst_unused:UNUSED_PAD src0_sel:WORD_0 src1_sel:DWORD
	v_lshrrev_b32_e32 v55, 3, v56
	s_mov_b32 s52, exec_lo
	v_cmpx_gt_u32_e32 8, v56
; %bb.255:                              ;   in Loop: Header=BB197_14 Depth=1
	v_ffbh_u32_e32 v55, v51
	v_min_u32_e32 v55, 32, v55
	v_subrev_nc_u32_e32 v56, 28, v55
	v_sub_nc_u32_e32 v55, 29, v55
	v_lshlrev_b64 v[56:57], v56, v[51:52]
	v_and_b32_e32 v51, 7, v56
; %bb.256:                              ;   in Loop: Header=BB197_14 Depth=1
	s_or_b32 exec_lo, exec_lo, s52
	v_lshlrev_b32_e32 v0, 24, v0
	v_lshlrev_b32_e32 v51, 20, v51
	v_lshl_add_u32 v55, v55, 23, 0x3c000000
	v_and_b32_e32 v0, 0x80000000, v0
	v_or3_b32 v103, v51, v0, v55
.LBB197_257:                            ;   in Loop: Header=BB197_14 Depth=1
	s_or_b32 exec_lo, exec_lo, s51
.LBB197_258:                            ;   in Loop: Header=BB197_14 Depth=1
	s_or_b32 exec_lo, exec_lo, s50
.LBB197_259:                            ;   in Loop: Header=BB197_14 Depth=1
	s_or_b32 exec_lo, exec_lo, s49
	global_load_ubyte v0, v[59:60], off offset:904
	v_mov_b32_e32 v105, 0
	v_mov_b32_e32 v106, 0
	s_mov_b32 s49, exec_lo
	s_waitcnt vmcnt(0)
	v_cmpx_ne_u16_e32 0, v0
	s_cbranch_execz .LBB197_267
; %bb.260:                              ;   in Loop: Header=BB197_14 Depth=1
	v_bfrev_b32_e32 v106, 1
	s_mov_b32 s50, exec_lo
	v_cmpx_ne_u16_e32 0x80, v0
	s_cbranch_execz .LBB197_266
; %bb.261:                              ;   in Loop: Header=BB197_14 Depth=1
	v_and_b32_sdwa v56, v0, v69 dst_sel:DWORD dst_unused:UNUSED_PAD src0_sel:WORD_0 src1_sel:DWORD
	v_mov_b32_e32 v106, 0x7f800001
	s_mov_b32 s51, exec_lo
	v_cmpx_ne_u32_e32 0x7f, v56
	s_cbranch_execz .LBB197_265
; %bb.262:                              ;   in Loop: Header=BB197_14 Depth=1
	v_and_b32_sdwa v51, v0, v70 dst_sel:DWORD dst_unused:UNUSED_PAD src0_sel:WORD_0 src1_sel:DWORD
	v_lshrrev_b32_e32 v55, 3, v56
	s_mov_b32 s52, exec_lo
	v_cmpx_gt_u32_e32 8, v56
; %bb.263:                              ;   in Loop: Header=BB197_14 Depth=1
	v_ffbh_u32_e32 v55, v51
	v_min_u32_e32 v55, 32, v55
	v_subrev_nc_u32_e32 v56, 28, v55
	v_sub_nc_u32_e32 v55, 29, v55
	v_lshlrev_b64 v[56:57], v56, v[51:52]
	v_and_b32_e32 v51, 7, v56
; %bb.264:                              ;   in Loop: Header=BB197_14 Depth=1
	s_or_b32 exec_lo, exec_lo, s52
	v_lshlrev_b32_e32 v0, 24, v0
	v_lshlrev_b32_e32 v51, 20, v51
	v_lshl_add_u32 v55, v55, 23, 0x3c000000
	v_and_b32_e32 v0, 0x80000000, v0
	v_or3_b32 v106, v51, v0, v55
.LBB197_265:                            ;   in Loop: Header=BB197_14 Depth=1
	s_or_b32 exec_lo, exec_lo, s51
.LBB197_266:                            ;   in Loop: Header=BB197_14 Depth=1
	s_or_b32 exec_lo, exec_lo, s50
.LBB197_267:                            ;   in Loop: Header=BB197_14 Depth=1
	s_or_b32 exec_lo, exec_lo, s49
	global_load_ubyte v0, v[59:60], off offset:908
	s_mov_b32 s49, exec_lo
	s_waitcnt vmcnt(0)
	v_cmpx_ne_u16_e32 0, v0
	s_cbranch_execz .LBB197_275
; %bb.268:                              ;   in Loop: Header=BB197_14 Depth=1
	v_bfrev_b32_e32 v105, 1
	s_mov_b32 s50, exec_lo
	v_cmpx_ne_u16_e32 0x80, v0
	s_cbranch_execz .LBB197_274
; %bb.269:                              ;   in Loop: Header=BB197_14 Depth=1
	v_and_b32_sdwa v56, v0, v69 dst_sel:DWORD dst_unused:UNUSED_PAD src0_sel:WORD_0 src1_sel:DWORD
	v_mov_b32_e32 v105, 0x7f800001
	s_mov_b32 s51, exec_lo
	v_cmpx_ne_u32_e32 0x7f, v56
	s_cbranch_execz .LBB197_273
; %bb.270:                              ;   in Loop: Header=BB197_14 Depth=1
	v_and_b32_sdwa v51, v0, v70 dst_sel:DWORD dst_unused:UNUSED_PAD src0_sel:WORD_0 src1_sel:DWORD
	v_lshrrev_b32_e32 v55, 3, v56
	s_mov_b32 s52, exec_lo
	v_cmpx_gt_u32_e32 8, v56
; %bb.271:                              ;   in Loop: Header=BB197_14 Depth=1
	v_ffbh_u32_e32 v55, v51
	v_min_u32_e32 v55, 32, v55
	v_subrev_nc_u32_e32 v56, 28, v55
	v_sub_nc_u32_e32 v55, 29, v55
	v_lshlrev_b64 v[56:57], v56, v[51:52]
	v_and_b32_e32 v51, 7, v56
; %bb.272:                              ;   in Loop: Header=BB197_14 Depth=1
	s_or_b32 exec_lo, exec_lo, s52
	v_lshlrev_b32_e32 v0, 24, v0
	v_lshlrev_b32_e32 v51, 20, v51
	v_lshl_add_u32 v55, v55, 23, 0x3c000000
	v_and_b32_e32 v0, 0x80000000, v0
	v_or3_b32 v105, v51, v0, v55
.LBB197_273:                            ;   in Loop: Header=BB197_14 Depth=1
	s_or_b32 exec_lo, exec_lo, s51
.LBB197_274:                            ;   in Loop: Header=BB197_14 Depth=1
	s_or_b32 exec_lo, exec_lo, s50
.LBB197_275:                            ;   in Loop: Header=BB197_14 Depth=1
	s_or_b32 exec_lo, exec_lo, s49
	global_load_ubyte v0, v[59:60], off offset:1024
	v_mov_b32_e32 v107, 0
	v_mov_b32_e32 v108, 0
	s_mov_b32 s49, exec_lo
	s_waitcnt vmcnt(0)
	v_cmpx_ne_u16_e32 0, v0
	s_cbranch_execz .LBB197_283
; %bb.276:                              ;   in Loop: Header=BB197_14 Depth=1
	v_bfrev_b32_e32 v108, 1
	s_mov_b32 s50, exec_lo
	v_cmpx_ne_u16_e32 0x80, v0
	s_cbranch_execz .LBB197_282
; %bb.277:                              ;   in Loop: Header=BB197_14 Depth=1
	v_and_b32_sdwa v56, v0, v69 dst_sel:DWORD dst_unused:UNUSED_PAD src0_sel:WORD_0 src1_sel:DWORD
	v_mov_b32_e32 v108, 0x7f800001
	s_mov_b32 s51, exec_lo
	v_cmpx_ne_u32_e32 0x7f, v56
	s_cbranch_execz .LBB197_281
; %bb.278:                              ;   in Loop: Header=BB197_14 Depth=1
	v_and_b32_sdwa v51, v0, v70 dst_sel:DWORD dst_unused:UNUSED_PAD src0_sel:WORD_0 src1_sel:DWORD
	v_lshrrev_b32_e32 v55, 3, v56
	s_mov_b32 s52, exec_lo
	v_cmpx_gt_u32_e32 8, v56
; %bb.279:                              ;   in Loop: Header=BB197_14 Depth=1
	v_ffbh_u32_e32 v55, v51
	v_min_u32_e32 v55, 32, v55
	v_subrev_nc_u32_e32 v56, 28, v55
	v_sub_nc_u32_e32 v55, 29, v55
	v_lshlrev_b64 v[56:57], v56, v[51:52]
	v_and_b32_e32 v51, 7, v56
; %bb.280:                              ;   in Loop: Header=BB197_14 Depth=1
	s_or_b32 exec_lo, exec_lo, s52
	v_lshlrev_b32_e32 v0, 24, v0
	v_lshlrev_b32_e32 v51, 20, v51
	v_lshl_add_u32 v55, v55, 23, 0x3c000000
	v_and_b32_e32 v0, 0x80000000, v0
	v_or3_b32 v108, v51, v0, v55
.LBB197_281:                            ;   in Loop: Header=BB197_14 Depth=1
	s_or_b32 exec_lo, exec_lo, s51
.LBB197_282:                            ;   in Loop: Header=BB197_14 Depth=1
	s_or_b32 exec_lo, exec_lo, s50
.LBB197_283:                            ;   in Loop: Header=BB197_14 Depth=1
	s_or_b32 exec_lo, exec_lo, s49
	global_load_ubyte v0, v[59:60], off offset:1028
	s_mov_b32 s49, exec_lo
	s_waitcnt vmcnt(0)
	v_cmpx_ne_u16_e32 0, v0
	s_cbranch_execz .LBB197_291
; %bb.284:                              ;   in Loop: Header=BB197_14 Depth=1
	v_bfrev_b32_e32 v107, 1
	s_mov_b32 s50, exec_lo
	v_cmpx_ne_u16_e32 0x80, v0
	s_cbranch_execz .LBB197_290
; %bb.285:                              ;   in Loop: Header=BB197_14 Depth=1
	v_and_b32_sdwa v56, v0, v69 dst_sel:DWORD dst_unused:UNUSED_PAD src0_sel:WORD_0 src1_sel:DWORD
	v_mov_b32_e32 v107, 0x7f800001
	s_mov_b32 s51, exec_lo
	v_cmpx_ne_u32_e32 0x7f, v56
	s_cbranch_execz .LBB197_289
; %bb.286:                              ;   in Loop: Header=BB197_14 Depth=1
	v_and_b32_sdwa v51, v0, v70 dst_sel:DWORD dst_unused:UNUSED_PAD src0_sel:WORD_0 src1_sel:DWORD
	v_lshrrev_b32_e32 v55, 3, v56
	s_mov_b32 s52, exec_lo
	v_cmpx_gt_u32_e32 8, v56
; %bb.287:                              ;   in Loop: Header=BB197_14 Depth=1
	v_ffbh_u32_e32 v55, v51
	v_min_u32_e32 v55, 32, v55
	v_subrev_nc_u32_e32 v56, 28, v55
	v_sub_nc_u32_e32 v55, 29, v55
	v_lshlrev_b64 v[56:57], v56, v[51:52]
	v_and_b32_e32 v51, 7, v56
; %bb.288:                              ;   in Loop: Header=BB197_14 Depth=1
	s_or_b32 exec_lo, exec_lo, s52
	v_lshlrev_b32_e32 v0, 24, v0
	v_lshlrev_b32_e32 v51, 20, v51
	v_lshl_add_u32 v55, v55, 23, 0x3c000000
	v_and_b32_e32 v0, 0x80000000, v0
	v_or3_b32 v107, v51, v0, v55
.LBB197_289:                            ;   in Loop: Header=BB197_14 Depth=1
	s_or_b32 exec_lo, exec_lo, s51
.LBB197_290:                            ;   in Loop: Header=BB197_14 Depth=1
	s_or_b32 exec_lo, exec_lo, s50
.LBB197_291:                            ;   in Loop: Header=BB197_14 Depth=1
	s_or_b32 exec_lo, exec_lo, s49
	global_load_ubyte v0, v[59:60], off offset:1032
	v_mov_b32_e32 v109, 0
	v_mov_b32_e32 v110, 0
	s_mov_b32 s49, exec_lo
	s_waitcnt vmcnt(0)
	v_cmpx_ne_u16_e32 0, v0
	s_cbranch_execz .LBB197_299
; %bb.292:                              ;   in Loop: Header=BB197_14 Depth=1
	v_bfrev_b32_e32 v110, 1
	s_mov_b32 s50, exec_lo
	v_cmpx_ne_u16_e32 0x80, v0
	s_cbranch_execz .LBB197_298
; %bb.293:                              ;   in Loop: Header=BB197_14 Depth=1
	v_and_b32_sdwa v56, v0, v69 dst_sel:DWORD dst_unused:UNUSED_PAD src0_sel:WORD_0 src1_sel:DWORD
	v_mov_b32_e32 v110, 0x7f800001
	s_mov_b32 s51, exec_lo
	v_cmpx_ne_u32_e32 0x7f, v56
	s_cbranch_execz .LBB197_297
; %bb.294:                              ;   in Loop: Header=BB197_14 Depth=1
	v_and_b32_sdwa v51, v0, v70 dst_sel:DWORD dst_unused:UNUSED_PAD src0_sel:WORD_0 src1_sel:DWORD
	v_lshrrev_b32_e32 v55, 3, v56
	s_mov_b32 s52, exec_lo
	v_cmpx_gt_u32_e32 8, v56
; %bb.295:                              ;   in Loop: Header=BB197_14 Depth=1
	v_ffbh_u32_e32 v55, v51
	v_min_u32_e32 v55, 32, v55
	v_subrev_nc_u32_e32 v56, 28, v55
	v_sub_nc_u32_e32 v55, 29, v55
	v_lshlrev_b64 v[56:57], v56, v[51:52]
	v_and_b32_e32 v51, 7, v56
; %bb.296:                              ;   in Loop: Header=BB197_14 Depth=1
	s_or_b32 exec_lo, exec_lo, s52
	v_lshlrev_b32_e32 v0, 24, v0
	v_lshlrev_b32_e32 v51, 20, v51
	v_lshl_add_u32 v55, v55, 23, 0x3c000000
	v_and_b32_e32 v0, 0x80000000, v0
	v_or3_b32 v110, v51, v0, v55
.LBB197_297:                            ;   in Loop: Header=BB197_14 Depth=1
	s_or_b32 exec_lo, exec_lo, s51
.LBB197_298:                            ;   in Loop: Header=BB197_14 Depth=1
	s_or_b32 exec_lo, exec_lo, s50
.LBB197_299:                            ;   in Loop: Header=BB197_14 Depth=1
	s_or_b32 exec_lo, exec_lo, s49
	global_load_ubyte v0, v[59:60], off offset:1036
	s_mov_b32 s49, exec_lo
	s_waitcnt vmcnt(0)
	v_cmpx_ne_u16_e32 0, v0
	s_cbranch_execz .LBB197_307
; %bb.300:                              ;   in Loop: Header=BB197_14 Depth=1
	v_bfrev_b32_e32 v109, 1
	s_mov_b32 s50, exec_lo
	v_cmpx_ne_u16_e32 0x80, v0
	s_cbranch_execz .LBB197_306
; %bb.301:                              ;   in Loop: Header=BB197_14 Depth=1
	v_and_b32_sdwa v56, v0, v69 dst_sel:DWORD dst_unused:UNUSED_PAD src0_sel:WORD_0 src1_sel:DWORD
	v_mov_b32_e32 v109, 0x7f800001
	s_mov_b32 s51, exec_lo
	v_cmpx_ne_u32_e32 0x7f, v56
	s_cbranch_execz .LBB197_305
; %bb.302:                              ;   in Loop: Header=BB197_14 Depth=1
	v_and_b32_sdwa v51, v0, v70 dst_sel:DWORD dst_unused:UNUSED_PAD src0_sel:WORD_0 src1_sel:DWORD
	v_lshrrev_b32_e32 v55, 3, v56
	s_mov_b32 s52, exec_lo
	v_cmpx_gt_u32_e32 8, v56
; %bb.303:                              ;   in Loop: Header=BB197_14 Depth=1
	v_ffbh_u32_e32 v55, v51
	v_min_u32_e32 v55, 32, v55
	v_subrev_nc_u32_e32 v56, 28, v55
	v_sub_nc_u32_e32 v55, 29, v55
	v_lshlrev_b64 v[56:57], v56, v[51:52]
	v_and_b32_e32 v51, 7, v56
; %bb.304:                              ;   in Loop: Header=BB197_14 Depth=1
	s_or_b32 exec_lo, exec_lo, s52
	v_lshlrev_b32_e32 v0, 24, v0
	v_lshlrev_b32_e32 v51, 20, v51
	v_lshl_add_u32 v55, v55, 23, 0x3c000000
	v_and_b32_e32 v0, 0x80000000, v0
	v_or3_b32 v109, v51, v0, v55
.LBB197_305:                            ;   in Loop: Header=BB197_14 Depth=1
	s_or_b32 exec_lo, exec_lo, s51
.LBB197_306:                            ;   in Loop: Header=BB197_14 Depth=1
	s_or_b32 exec_lo, exec_lo, s50
.LBB197_307:                            ;   in Loop: Header=BB197_14 Depth=1
	s_or_b32 exec_lo, exec_lo, s49
	global_load_ubyte v0, v[59:60], off offset:1152
	v_mov_b32_e32 v111, 0
	v_mov_b32_e32 v112, 0
	s_mov_b32 s49, exec_lo
	s_waitcnt vmcnt(0)
	v_cmpx_ne_u16_e32 0, v0
	s_cbranch_execz .LBB197_315
; %bb.308:                              ;   in Loop: Header=BB197_14 Depth=1
	v_bfrev_b32_e32 v112, 1
	s_mov_b32 s50, exec_lo
	v_cmpx_ne_u16_e32 0x80, v0
	s_cbranch_execz .LBB197_314
; %bb.309:                              ;   in Loop: Header=BB197_14 Depth=1
	v_and_b32_sdwa v56, v0, v69 dst_sel:DWORD dst_unused:UNUSED_PAD src0_sel:WORD_0 src1_sel:DWORD
	v_mov_b32_e32 v112, 0x7f800001
	s_mov_b32 s51, exec_lo
	v_cmpx_ne_u32_e32 0x7f, v56
	s_cbranch_execz .LBB197_313
; %bb.310:                              ;   in Loop: Header=BB197_14 Depth=1
	v_and_b32_sdwa v51, v0, v70 dst_sel:DWORD dst_unused:UNUSED_PAD src0_sel:WORD_0 src1_sel:DWORD
	v_lshrrev_b32_e32 v55, 3, v56
	s_mov_b32 s52, exec_lo
	v_cmpx_gt_u32_e32 8, v56
; %bb.311:                              ;   in Loop: Header=BB197_14 Depth=1
	v_ffbh_u32_e32 v55, v51
	v_min_u32_e32 v55, 32, v55
	v_subrev_nc_u32_e32 v56, 28, v55
	v_sub_nc_u32_e32 v55, 29, v55
	v_lshlrev_b64 v[56:57], v56, v[51:52]
	v_and_b32_e32 v51, 7, v56
; %bb.312:                              ;   in Loop: Header=BB197_14 Depth=1
	s_or_b32 exec_lo, exec_lo, s52
	v_lshlrev_b32_e32 v0, 24, v0
	v_lshlrev_b32_e32 v51, 20, v51
	v_lshl_add_u32 v55, v55, 23, 0x3c000000
	v_and_b32_e32 v0, 0x80000000, v0
	v_or3_b32 v112, v51, v0, v55
.LBB197_313:                            ;   in Loop: Header=BB197_14 Depth=1
	s_or_b32 exec_lo, exec_lo, s51
.LBB197_314:                            ;   in Loop: Header=BB197_14 Depth=1
	s_or_b32 exec_lo, exec_lo, s50
.LBB197_315:                            ;   in Loop: Header=BB197_14 Depth=1
	s_or_b32 exec_lo, exec_lo, s49
	global_load_ubyte v0, v[59:60], off offset:1156
	s_mov_b32 s49, exec_lo
	s_waitcnt vmcnt(0)
	v_cmpx_ne_u16_e32 0, v0
	s_cbranch_execz .LBB197_323
; %bb.316:                              ;   in Loop: Header=BB197_14 Depth=1
	v_bfrev_b32_e32 v111, 1
	s_mov_b32 s50, exec_lo
	v_cmpx_ne_u16_e32 0x80, v0
	s_cbranch_execz .LBB197_322
; %bb.317:                              ;   in Loop: Header=BB197_14 Depth=1
	v_and_b32_sdwa v56, v0, v69 dst_sel:DWORD dst_unused:UNUSED_PAD src0_sel:WORD_0 src1_sel:DWORD
	v_mov_b32_e32 v111, 0x7f800001
	s_mov_b32 s51, exec_lo
	v_cmpx_ne_u32_e32 0x7f, v56
	s_cbranch_execz .LBB197_321
; %bb.318:                              ;   in Loop: Header=BB197_14 Depth=1
	v_and_b32_sdwa v51, v0, v70 dst_sel:DWORD dst_unused:UNUSED_PAD src0_sel:WORD_0 src1_sel:DWORD
	v_lshrrev_b32_e32 v55, 3, v56
	s_mov_b32 s52, exec_lo
	v_cmpx_gt_u32_e32 8, v56
; %bb.319:                              ;   in Loop: Header=BB197_14 Depth=1
	v_ffbh_u32_e32 v55, v51
	v_min_u32_e32 v55, 32, v55
	v_subrev_nc_u32_e32 v56, 28, v55
	v_sub_nc_u32_e32 v55, 29, v55
	v_lshlrev_b64 v[56:57], v56, v[51:52]
	v_and_b32_e32 v51, 7, v56
; %bb.320:                              ;   in Loop: Header=BB197_14 Depth=1
	s_or_b32 exec_lo, exec_lo, s52
	v_lshlrev_b32_e32 v0, 24, v0
	v_lshlrev_b32_e32 v51, 20, v51
	v_lshl_add_u32 v55, v55, 23, 0x3c000000
	v_and_b32_e32 v0, 0x80000000, v0
	v_or3_b32 v111, v51, v0, v55
.LBB197_321:                            ;   in Loop: Header=BB197_14 Depth=1
	s_or_b32 exec_lo, exec_lo, s51
.LBB197_322:                            ;   in Loop: Header=BB197_14 Depth=1
	s_or_b32 exec_lo, exec_lo, s50
.LBB197_323:                            ;   in Loop: Header=BB197_14 Depth=1
	s_or_b32 exec_lo, exec_lo, s49
	global_load_ubyte v0, v[59:60], off offset:1160
	v_mov_b32_e32 v113, 0
	v_mov_b32_e32 v114, 0
	s_mov_b32 s49, exec_lo
	s_waitcnt vmcnt(0)
	v_cmpx_ne_u16_e32 0, v0
	s_cbranch_execz .LBB197_331
; %bb.324:                              ;   in Loop: Header=BB197_14 Depth=1
	v_bfrev_b32_e32 v114, 1
	s_mov_b32 s50, exec_lo
	v_cmpx_ne_u16_e32 0x80, v0
	s_cbranch_execz .LBB197_330
; %bb.325:                              ;   in Loop: Header=BB197_14 Depth=1
	v_and_b32_sdwa v56, v0, v69 dst_sel:DWORD dst_unused:UNUSED_PAD src0_sel:WORD_0 src1_sel:DWORD
	v_mov_b32_e32 v114, 0x7f800001
	s_mov_b32 s51, exec_lo
	v_cmpx_ne_u32_e32 0x7f, v56
	s_cbranch_execz .LBB197_329
; %bb.326:                              ;   in Loop: Header=BB197_14 Depth=1
	v_and_b32_sdwa v51, v0, v70 dst_sel:DWORD dst_unused:UNUSED_PAD src0_sel:WORD_0 src1_sel:DWORD
	v_lshrrev_b32_e32 v55, 3, v56
	s_mov_b32 s52, exec_lo
	v_cmpx_gt_u32_e32 8, v56
; %bb.327:                              ;   in Loop: Header=BB197_14 Depth=1
	v_ffbh_u32_e32 v55, v51
	v_min_u32_e32 v55, 32, v55
	v_subrev_nc_u32_e32 v56, 28, v55
	v_sub_nc_u32_e32 v55, 29, v55
	v_lshlrev_b64 v[56:57], v56, v[51:52]
	v_and_b32_e32 v51, 7, v56
; %bb.328:                              ;   in Loop: Header=BB197_14 Depth=1
	s_or_b32 exec_lo, exec_lo, s52
	v_lshlrev_b32_e32 v0, 24, v0
	v_lshlrev_b32_e32 v51, 20, v51
	v_lshl_add_u32 v55, v55, 23, 0x3c000000
	v_and_b32_e32 v0, 0x80000000, v0
	v_or3_b32 v114, v51, v0, v55
.LBB197_329:                            ;   in Loop: Header=BB197_14 Depth=1
	s_or_b32 exec_lo, exec_lo, s51
.LBB197_330:                            ;   in Loop: Header=BB197_14 Depth=1
	s_or_b32 exec_lo, exec_lo, s50
.LBB197_331:                            ;   in Loop: Header=BB197_14 Depth=1
	s_or_b32 exec_lo, exec_lo, s49
	global_load_ubyte v0, v[59:60], off offset:1164
	s_mov_b32 s49, exec_lo
	s_waitcnt vmcnt(0)
	v_cmpx_ne_u16_e32 0, v0
	s_cbranch_execz .LBB197_339
; %bb.332:                              ;   in Loop: Header=BB197_14 Depth=1
	v_bfrev_b32_e32 v113, 1
	s_mov_b32 s50, exec_lo
	v_cmpx_ne_u16_e32 0x80, v0
	s_cbranch_execz .LBB197_338
; %bb.333:                              ;   in Loop: Header=BB197_14 Depth=1
	v_and_b32_sdwa v56, v0, v69 dst_sel:DWORD dst_unused:UNUSED_PAD src0_sel:WORD_0 src1_sel:DWORD
	v_mov_b32_e32 v113, 0x7f800001
	s_mov_b32 s51, exec_lo
	v_cmpx_ne_u32_e32 0x7f, v56
	s_cbranch_execz .LBB197_337
; %bb.334:                              ;   in Loop: Header=BB197_14 Depth=1
	v_and_b32_sdwa v51, v0, v70 dst_sel:DWORD dst_unused:UNUSED_PAD src0_sel:WORD_0 src1_sel:DWORD
	v_lshrrev_b32_e32 v55, 3, v56
	s_mov_b32 s52, exec_lo
	v_cmpx_gt_u32_e32 8, v56
; %bb.335:                              ;   in Loop: Header=BB197_14 Depth=1
	v_ffbh_u32_e32 v55, v51
	v_min_u32_e32 v55, 32, v55
	v_subrev_nc_u32_e32 v56, 28, v55
	v_sub_nc_u32_e32 v55, 29, v55
	v_lshlrev_b64 v[56:57], v56, v[51:52]
	v_and_b32_e32 v51, 7, v56
; %bb.336:                              ;   in Loop: Header=BB197_14 Depth=1
	s_or_b32 exec_lo, exec_lo, s52
	v_lshlrev_b32_e32 v0, 24, v0
	v_lshlrev_b32_e32 v51, 20, v51
	v_lshl_add_u32 v55, v55, 23, 0x3c000000
	v_and_b32_e32 v0, 0x80000000, v0
	v_or3_b32 v113, v51, v0, v55
.LBB197_337:                            ;   in Loop: Header=BB197_14 Depth=1
	s_or_b32 exec_lo, exec_lo, s51
.LBB197_338:                            ;   in Loop: Header=BB197_14 Depth=1
	s_or_b32 exec_lo, exec_lo, s50
.LBB197_339:                            ;   in Loop: Header=BB197_14 Depth=1
	s_or_b32 exec_lo, exec_lo, s49
	global_load_ubyte v0, v[59:60], off offset:1280
	v_mov_b32_e32 v115, 0
	v_mov_b32_e32 v116, 0
	s_mov_b32 s49, exec_lo
	s_waitcnt vmcnt(0)
	v_cmpx_ne_u16_e32 0, v0
	s_cbranch_execz .LBB197_347
; %bb.340:                              ;   in Loop: Header=BB197_14 Depth=1
	v_bfrev_b32_e32 v116, 1
	s_mov_b32 s50, exec_lo
	v_cmpx_ne_u16_e32 0x80, v0
	s_cbranch_execz .LBB197_346
; %bb.341:                              ;   in Loop: Header=BB197_14 Depth=1
	v_and_b32_sdwa v56, v0, v69 dst_sel:DWORD dst_unused:UNUSED_PAD src0_sel:WORD_0 src1_sel:DWORD
	v_mov_b32_e32 v116, 0x7f800001
	s_mov_b32 s51, exec_lo
	v_cmpx_ne_u32_e32 0x7f, v56
	s_cbranch_execz .LBB197_345
; %bb.342:                              ;   in Loop: Header=BB197_14 Depth=1
	v_and_b32_sdwa v51, v0, v70 dst_sel:DWORD dst_unused:UNUSED_PAD src0_sel:WORD_0 src1_sel:DWORD
	v_lshrrev_b32_e32 v55, 3, v56
	s_mov_b32 s52, exec_lo
	v_cmpx_gt_u32_e32 8, v56
; %bb.343:                              ;   in Loop: Header=BB197_14 Depth=1
	v_ffbh_u32_e32 v55, v51
	v_min_u32_e32 v55, 32, v55
	v_subrev_nc_u32_e32 v56, 28, v55
	v_sub_nc_u32_e32 v55, 29, v55
	v_lshlrev_b64 v[56:57], v56, v[51:52]
	v_and_b32_e32 v51, 7, v56
; %bb.344:                              ;   in Loop: Header=BB197_14 Depth=1
	s_or_b32 exec_lo, exec_lo, s52
	v_lshlrev_b32_e32 v0, 24, v0
	v_lshlrev_b32_e32 v51, 20, v51
	v_lshl_add_u32 v55, v55, 23, 0x3c000000
	v_and_b32_e32 v0, 0x80000000, v0
	v_or3_b32 v116, v51, v0, v55
.LBB197_345:                            ;   in Loop: Header=BB197_14 Depth=1
	s_or_b32 exec_lo, exec_lo, s51
.LBB197_346:                            ;   in Loop: Header=BB197_14 Depth=1
	s_or_b32 exec_lo, exec_lo, s50
.LBB197_347:                            ;   in Loop: Header=BB197_14 Depth=1
	s_or_b32 exec_lo, exec_lo, s49
	global_load_ubyte v0, v[59:60], off offset:1284
	s_mov_b32 s49, exec_lo
	s_waitcnt vmcnt(0)
	v_cmpx_ne_u16_e32 0, v0
	s_cbranch_execz .LBB197_355
; %bb.348:                              ;   in Loop: Header=BB197_14 Depth=1
	v_bfrev_b32_e32 v115, 1
	s_mov_b32 s50, exec_lo
	v_cmpx_ne_u16_e32 0x80, v0
	s_cbranch_execz .LBB197_354
; %bb.349:                              ;   in Loop: Header=BB197_14 Depth=1
	v_and_b32_sdwa v56, v0, v69 dst_sel:DWORD dst_unused:UNUSED_PAD src0_sel:WORD_0 src1_sel:DWORD
	v_mov_b32_e32 v115, 0x7f800001
	s_mov_b32 s51, exec_lo
	v_cmpx_ne_u32_e32 0x7f, v56
	s_cbranch_execz .LBB197_353
; %bb.350:                              ;   in Loop: Header=BB197_14 Depth=1
	v_and_b32_sdwa v51, v0, v70 dst_sel:DWORD dst_unused:UNUSED_PAD src0_sel:WORD_0 src1_sel:DWORD
	v_lshrrev_b32_e32 v55, 3, v56
	s_mov_b32 s52, exec_lo
	v_cmpx_gt_u32_e32 8, v56
; %bb.351:                              ;   in Loop: Header=BB197_14 Depth=1
	v_ffbh_u32_e32 v55, v51
	v_min_u32_e32 v55, 32, v55
	v_subrev_nc_u32_e32 v56, 28, v55
	v_sub_nc_u32_e32 v55, 29, v55
	v_lshlrev_b64 v[56:57], v56, v[51:52]
	v_and_b32_e32 v51, 7, v56
; %bb.352:                              ;   in Loop: Header=BB197_14 Depth=1
	s_or_b32 exec_lo, exec_lo, s52
	v_lshlrev_b32_e32 v0, 24, v0
	v_lshlrev_b32_e32 v51, 20, v51
	v_lshl_add_u32 v55, v55, 23, 0x3c000000
	v_and_b32_e32 v0, 0x80000000, v0
	v_or3_b32 v115, v51, v0, v55
.LBB197_353:                            ;   in Loop: Header=BB197_14 Depth=1
	s_or_b32 exec_lo, exec_lo, s51
.LBB197_354:                            ;   in Loop: Header=BB197_14 Depth=1
	s_or_b32 exec_lo, exec_lo, s50
.LBB197_355:                            ;   in Loop: Header=BB197_14 Depth=1
	s_or_b32 exec_lo, exec_lo, s49
	global_load_ubyte v0, v[59:60], off offset:1288
	v_mov_b32_e32 v117, 0
	v_mov_b32_e32 v118, 0
	s_mov_b32 s49, exec_lo
	s_waitcnt vmcnt(0)
	v_cmpx_ne_u16_e32 0, v0
	s_cbranch_execz .LBB197_363
; %bb.356:                              ;   in Loop: Header=BB197_14 Depth=1
	v_bfrev_b32_e32 v118, 1
	s_mov_b32 s50, exec_lo
	v_cmpx_ne_u16_e32 0x80, v0
	s_cbranch_execz .LBB197_362
; %bb.357:                              ;   in Loop: Header=BB197_14 Depth=1
	v_and_b32_sdwa v56, v0, v69 dst_sel:DWORD dst_unused:UNUSED_PAD src0_sel:WORD_0 src1_sel:DWORD
	v_mov_b32_e32 v118, 0x7f800001
	s_mov_b32 s51, exec_lo
	v_cmpx_ne_u32_e32 0x7f, v56
	s_cbranch_execz .LBB197_361
; %bb.358:                              ;   in Loop: Header=BB197_14 Depth=1
	v_and_b32_sdwa v51, v0, v70 dst_sel:DWORD dst_unused:UNUSED_PAD src0_sel:WORD_0 src1_sel:DWORD
	v_lshrrev_b32_e32 v55, 3, v56
	s_mov_b32 s52, exec_lo
	v_cmpx_gt_u32_e32 8, v56
; %bb.359:                              ;   in Loop: Header=BB197_14 Depth=1
	v_ffbh_u32_e32 v55, v51
	v_min_u32_e32 v55, 32, v55
	v_subrev_nc_u32_e32 v56, 28, v55
	v_sub_nc_u32_e32 v55, 29, v55
	v_lshlrev_b64 v[56:57], v56, v[51:52]
	v_and_b32_e32 v51, 7, v56
; %bb.360:                              ;   in Loop: Header=BB197_14 Depth=1
	s_or_b32 exec_lo, exec_lo, s52
	v_lshlrev_b32_e32 v0, 24, v0
	v_lshlrev_b32_e32 v51, 20, v51
	v_lshl_add_u32 v55, v55, 23, 0x3c000000
	v_and_b32_e32 v0, 0x80000000, v0
	v_or3_b32 v118, v51, v0, v55
.LBB197_361:                            ;   in Loop: Header=BB197_14 Depth=1
	s_or_b32 exec_lo, exec_lo, s51
.LBB197_362:                            ;   in Loop: Header=BB197_14 Depth=1
	s_or_b32 exec_lo, exec_lo, s50
.LBB197_363:                            ;   in Loop: Header=BB197_14 Depth=1
	s_or_b32 exec_lo, exec_lo, s49
	global_load_ubyte v0, v[59:60], off offset:1292
	s_mov_b32 s49, exec_lo
	s_waitcnt vmcnt(0)
	v_cmpx_ne_u16_e32 0, v0
	s_cbranch_execz .LBB197_371
; %bb.364:                              ;   in Loop: Header=BB197_14 Depth=1
	v_bfrev_b32_e32 v117, 1
	s_mov_b32 s50, exec_lo
	v_cmpx_ne_u16_e32 0x80, v0
	s_cbranch_execz .LBB197_370
; %bb.365:                              ;   in Loop: Header=BB197_14 Depth=1
	v_and_b32_sdwa v56, v0, v69 dst_sel:DWORD dst_unused:UNUSED_PAD src0_sel:WORD_0 src1_sel:DWORD
	v_mov_b32_e32 v117, 0x7f800001
	s_mov_b32 s51, exec_lo
	v_cmpx_ne_u32_e32 0x7f, v56
	s_cbranch_execz .LBB197_369
; %bb.366:                              ;   in Loop: Header=BB197_14 Depth=1
	v_and_b32_sdwa v51, v0, v70 dst_sel:DWORD dst_unused:UNUSED_PAD src0_sel:WORD_0 src1_sel:DWORD
	v_lshrrev_b32_e32 v55, 3, v56
	s_mov_b32 s52, exec_lo
	v_cmpx_gt_u32_e32 8, v56
; %bb.367:                              ;   in Loop: Header=BB197_14 Depth=1
	v_ffbh_u32_e32 v55, v51
	v_min_u32_e32 v55, 32, v55
	v_subrev_nc_u32_e32 v56, 28, v55
	v_sub_nc_u32_e32 v55, 29, v55
	v_lshlrev_b64 v[56:57], v56, v[51:52]
	v_and_b32_e32 v51, 7, v56
; %bb.368:                              ;   in Loop: Header=BB197_14 Depth=1
	s_or_b32 exec_lo, exec_lo, s52
	v_lshlrev_b32_e32 v0, 24, v0
	v_lshlrev_b32_e32 v51, 20, v51
	v_lshl_add_u32 v55, v55, 23, 0x3c000000
	v_and_b32_e32 v0, 0x80000000, v0
	v_or3_b32 v117, v51, v0, v55
.LBB197_369:                            ;   in Loop: Header=BB197_14 Depth=1
	s_or_b32 exec_lo, exec_lo, s51
.LBB197_370:                            ;   in Loop: Header=BB197_14 Depth=1
	s_or_b32 exec_lo, exec_lo, s50
.LBB197_371:                            ;   in Loop: Header=BB197_14 Depth=1
	s_or_b32 exec_lo, exec_lo, s49
	global_load_ubyte v0, v[59:60], off offset:1408
	v_mov_b32_e32 v119, 0
	v_mov_b32_e32 v120, 0
	s_mov_b32 s49, exec_lo
	s_waitcnt vmcnt(0)
	v_cmpx_ne_u16_e32 0, v0
	s_cbranch_execz .LBB197_379
; %bb.372:                              ;   in Loop: Header=BB197_14 Depth=1
	v_bfrev_b32_e32 v120, 1
	s_mov_b32 s50, exec_lo
	v_cmpx_ne_u16_e32 0x80, v0
	s_cbranch_execz .LBB197_378
; %bb.373:                              ;   in Loop: Header=BB197_14 Depth=1
	v_and_b32_sdwa v56, v0, v69 dst_sel:DWORD dst_unused:UNUSED_PAD src0_sel:WORD_0 src1_sel:DWORD
	v_mov_b32_e32 v120, 0x7f800001
	s_mov_b32 s51, exec_lo
	v_cmpx_ne_u32_e32 0x7f, v56
	s_cbranch_execz .LBB197_377
; %bb.374:                              ;   in Loop: Header=BB197_14 Depth=1
	v_and_b32_sdwa v51, v0, v70 dst_sel:DWORD dst_unused:UNUSED_PAD src0_sel:WORD_0 src1_sel:DWORD
	v_lshrrev_b32_e32 v55, 3, v56
	s_mov_b32 s52, exec_lo
	v_cmpx_gt_u32_e32 8, v56
; %bb.375:                              ;   in Loop: Header=BB197_14 Depth=1
	v_ffbh_u32_e32 v55, v51
	v_min_u32_e32 v55, 32, v55
	v_subrev_nc_u32_e32 v56, 28, v55
	v_sub_nc_u32_e32 v55, 29, v55
	v_lshlrev_b64 v[56:57], v56, v[51:52]
	v_and_b32_e32 v51, 7, v56
; %bb.376:                              ;   in Loop: Header=BB197_14 Depth=1
	s_or_b32 exec_lo, exec_lo, s52
	v_lshlrev_b32_e32 v0, 24, v0
	v_lshlrev_b32_e32 v51, 20, v51
	v_lshl_add_u32 v55, v55, 23, 0x3c000000
	v_and_b32_e32 v0, 0x80000000, v0
	v_or3_b32 v120, v51, v0, v55
.LBB197_377:                            ;   in Loop: Header=BB197_14 Depth=1
	s_or_b32 exec_lo, exec_lo, s51
.LBB197_378:                            ;   in Loop: Header=BB197_14 Depth=1
	s_or_b32 exec_lo, exec_lo, s50
.LBB197_379:                            ;   in Loop: Header=BB197_14 Depth=1
	s_or_b32 exec_lo, exec_lo, s49
	global_load_ubyte v0, v[59:60], off offset:1412
	s_mov_b32 s49, exec_lo
	s_waitcnt vmcnt(0)
	v_cmpx_ne_u16_e32 0, v0
	s_cbranch_execz .LBB197_387
; %bb.380:                              ;   in Loop: Header=BB197_14 Depth=1
	v_bfrev_b32_e32 v119, 1
	s_mov_b32 s50, exec_lo
	v_cmpx_ne_u16_e32 0x80, v0
	s_cbranch_execz .LBB197_386
; %bb.381:                              ;   in Loop: Header=BB197_14 Depth=1
	v_and_b32_sdwa v56, v0, v69 dst_sel:DWORD dst_unused:UNUSED_PAD src0_sel:WORD_0 src1_sel:DWORD
	v_mov_b32_e32 v119, 0x7f800001
	s_mov_b32 s51, exec_lo
	v_cmpx_ne_u32_e32 0x7f, v56
	s_cbranch_execz .LBB197_385
; %bb.382:                              ;   in Loop: Header=BB197_14 Depth=1
	v_and_b32_sdwa v51, v0, v70 dst_sel:DWORD dst_unused:UNUSED_PAD src0_sel:WORD_0 src1_sel:DWORD
	v_lshrrev_b32_e32 v55, 3, v56
	s_mov_b32 s52, exec_lo
	v_cmpx_gt_u32_e32 8, v56
; %bb.383:                              ;   in Loop: Header=BB197_14 Depth=1
	v_ffbh_u32_e32 v55, v51
	v_min_u32_e32 v55, 32, v55
	v_subrev_nc_u32_e32 v56, 28, v55
	v_sub_nc_u32_e32 v55, 29, v55
	v_lshlrev_b64 v[56:57], v56, v[51:52]
	v_and_b32_e32 v51, 7, v56
; %bb.384:                              ;   in Loop: Header=BB197_14 Depth=1
	s_or_b32 exec_lo, exec_lo, s52
	v_lshlrev_b32_e32 v0, 24, v0
	v_lshlrev_b32_e32 v51, 20, v51
	v_lshl_add_u32 v55, v55, 23, 0x3c000000
	v_and_b32_e32 v0, 0x80000000, v0
	v_or3_b32 v119, v51, v0, v55
.LBB197_385:                            ;   in Loop: Header=BB197_14 Depth=1
	s_or_b32 exec_lo, exec_lo, s51
.LBB197_386:                            ;   in Loop: Header=BB197_14 Depth=1
	s_or_b32 exec_lo, exec_lo, s50
.LBB197_387:                            ;   in Loop: Header=BB197_14 Depth=1
	s_or_b32 exec_lo, exec_lo, s49
	global_load_ubyte v0, v[59:60], off offset:1416
	v_mov_b32_e32 v121, 0
	v_mov_b32_e32 v122, 0
	s_mov_b32 s49, exec_lo
	s_waitcnt vmcnt(0)
	v_cmpx_ne_u16_e32 0, v0
	s_cbranch_execz .LBB197_395
; %bb.388:                              ;   in Loop: Header=BB197_14 Depth=1
	v_bfrev_b32_e32 v122, 1
	s_mov_b32 s50, exec_lo
	v_cmpx_ne_u16_e32 0x80, v0
	s_cbranch_execz .LBB197_394
; %bb.389:                              ;   in Loop: Header=BB197_14 Depth=1
	v_and_b32_sdwa v56, v0, v69 dst_sel:DWORD dst_unused:UNUSED_PAD src0_sel:WORD_0 src1_sel:DWORD
	v_mov_b32_e32 v122, 0x7f800001
	s_mov_b32 s51, exec_lo
	v_cmpx_ne_u32_e32 0x7f, v56
	s_cbranch_execz .LBB197_393
; %bb.390:                              ;   in Loop: Header=BB197_14 Depth=1
	v_and_b32_sdwa v51, v0, v70 dst_sel:DWORD dst_unused:UNUSED_PAD src0_sel:WORD_0 src1_sel:DWORD
	v_lshrrev_b32_e32 v55, 3, v56
	s_mov_b32 s52, exec_lo
	v_cmpx_gt_u32_e32 8, v56
; %bb.391:                              ;   in Loop: Header=BB197_14 Depth=1
	v_ffbh_u32_e32 v55, v51
	v_min_u32_e32 v55, 32, v55
	v_subrev_nc_u32_e32 v56, 28, v55
	v_sub_nc_u32_e32 v55, 29, v55
	v_lshlrev_b64 v[56:57], v56, v[51:52]
	v_and_b32_e32 v51, 7, v56
; %bb.392:                              ;   in Loop: Header=BB197_14 Depth=1
	s_or_b32 exec_lo, exec_lo, s52
	v_lshlrev_b32_e32 v0, 24, v0
	v_lshlrev_b32_e32 v51, 20, v51
	v_lshl_add_u32 v55, v55, 23, 0x3c000000
	v_and_b32_e32 v0, 0x80000000, v0
	v_or3_b32 v122, v51, v0, v55
.LBB197_393:                            ;   in Loop: Header=BB197_14 Depth=1
	s_or_b32 exec_lo, exec_lo, s51
.LBB197_394:                            ;   in Loop: Header=BB197_14 Depth=1
	s_or_b32 exec_lo, exec_lo, s50
.LBB197_395:                            ;   in Loop: Header=BB197_14 Depth=1
	s_or_b32 exec_lo, exec_lo, s49
	global_load_ubyte v0, v[59:60], off offset:1420
	s_mov_b32 s49, exec_lo
	s_waitcnt vmcnt(0)
	v_cmpx_ne_u16_e32 0, v0
	s_cbranch_execz .LBB197_403
; %bb.396:                              ;   in Loop: Header=BB197_14 Depth=1
	v_bfrev_b32_e32 v121, 1
	s_mov_b32 s50, exec_lo
	v_cmpx_ne_u16_e32 0x80, v0
	s_cbranch_execz .LBB197_402
; %bb.397:                              ;   in Loop: Header=BB197_14 Depth=1
	v_and_b32_sdwa v56, v0, v69 dst_sel:DWORD dst_unused:UNUSED_PAD src0_sel:WORD_0 src1_sel:DWORD
	v_mov_b32_e32 v121, 0x7f800001
	s_mov_b32 s51, exec_lo
	v_cmpx_ne_u32_e32 0x7f, v56
	s_cbranch_execz .LBB197_401
; %bb.398:                              ;   in Loop: Header=BB197_14 Depth=1
	v_and_b32_sdwa v51, v0, v70 dst_sel:DWORD dst_unused:UNUSED_PAD src0_sel:WORD_0 src1_sel:DWORD
	v_lshrrev_b32_e32 v55, 3, v56
	s_mov_b32 s52, exec_lo
	v_cmpx_gt_u32_e32 8, v56
; %bb.399:                              ;   in Loop: Header=BB197_14 Depth=1
	v_ffbh_u32_e32 v55, v51
	v_min_u32_e32 v55, 32, v55
	v_subrev_nc_u32_e32 v56, 28, v55
	v_sub_nc_u32_e32 v55, 29, v55
	v_lshlrev_b64 v[56:57], v56, v[51:52]
	v_and_b32_e32 v51, 7, v56
; %bb.400:                              ;   in Loop: Header=BB197_14 Depth=1
	s_or_b32 exec_lo, exec_lo, s52
	v_lshlrev_b32_e32 v0, 24, v0
	v_lshlrev_b32_e32 v51, 20, v51
	v_lshl_add_u32 v55, v55, 23, 0x3c000000
	v_and_b32_e32 v0, 0x80000000, v0
	v_or3_b32 v121, v51, v0, v55
.LBB197_401:                            ;   in Loop: Header=BB197_14 Depth=1
	s_or_b32 exec_lo, exec_lo, s51
.LBB197_402:                            ;   in Loop: Header=BB197_14 Depth=1
	s_or_b32 exec_lo, exec_lo, s50
.LBB197_403:                            ;   in Loop: Header=BB197_14 Depth=1
	s_or_b32 exec_lo, exec_lo, s49
	global_load_ubyte v0, v[59:60], off offset:1536
	v_mov_b32_e32 v123, 0
	v_mov_b32_e32 v124, 0
	s_mov_b32 s49, exec_lo
	s_waitcnt vmcnt(0)
	v_cmpx_ne_u16_e32 0, v0
	s_cbranch_execz .LBB197_411
; %bb.404:                              ;   in Loop: Header=BB197_14 Depth=1
	v_bfrev_b32_e32 v124, 1
	s_mov_b32 s50, exec_lo
	v_cmpx_ne_u16_e32 0x80, v0
	s_cbranch_execz .LBB197_410
; %bb.405:                              ;   in Loop: Header=BB197_14 Depth=1
	v_and_b32_sdwa v56, v0, v69 dst_sel:DWORD dst_unused:UNUSED_PAD src0_sel:WORD_0 src1_sel:DWORD
	v_mov_b32_e32 v124, 0x7f800001
	s_mov_b32 s51, exec_lo
	v_cmpx_ne_u32_e32 0x7f, v56
	s_cbranch_execz .LBB197_409
; %bb.406:                              ;   in Loop: Header=BB197_14 Depth=1
	v_and_b32_sdwa v51, v0, v70 dst_sel:DWORD dst_unused:UNUSED_PAD src0_sel:WORD_0 src1_sel:DWORD
	v_lshrrev_b32_e32 v55, 3, v56
	s_mov_b32 s52, exec_lo
	v_cmpx_gt_u32_e32 8, v56
; %bb.407:                              ;   in Loop: Header=BB197_14 Depth=1
	v_ffbh_u32_e32 v55, v51
	v_min_u32_e32 v55, 32, v55
	v_subrev_nc_u32_e32 v56, 28, v55
	v_sub_nc_u32_e32 v55, 29, v55
	v_lshlrev_b64 v[56:57], v56, v[51:52]
	v_and_b32_e32 v51, 7, v56
; %bb.408:                              ;   in Loop: Header=BB197_14 Depth=1
	s_or_b32 exec_lo, exec_lo, s52
	v_lshlrev_b32_e32 v0, 24, v0
	v_lshlrev_b32_e32 v51, 20, v51
	v_lshl_add_u32 v55, v55, 23, 0x3c000000
	v_and_b32_e32 v0, 0x80000000, v0
	v_or3_b32 v124, v51, v0, v55
.LBB197_409:                            ;   in Loop: Header=BB197_14 Depth=1
	s_or_b32 exec_lo, exec_lo, s51
.LBB197_410:                            ;   in Loop: Header=BB197_14 Depth=1
	s_or_b32 exec_lo, exec_lo, s50
.LBB197_411:                            ;   in Loop: Header=BB197_14 Depth=1
	s_or_b32 exec_lo, exec_lo, s49
	global_load_ubyte v0, v[59:60], off offset:1540
	s_mov_b32 s49, exec_lo
	s_waitcnt vmcnt(0)
	v_cmpx_ne_u16_e32 0, v0
	s_cbranch_execz .LBB197_419
; %bb.412:                              ;   in Loop: Header=BB197_14 Depth=1
	v_bfrev_b32_e32 v123, 1
	s_mov_b32 s50, exec_lo
	v_cmpx_ne_u16_e32 0x80, v0
	s_cbranch_execz .LBB197_418
; %bb.413:                              ;   in Loop: Header=BB197_14 Depth=1
	v_and_b32_sdwa v56, v0, v69 dst_sel:DWORD dst_unused:UNUSED_PAD src0_sel:WORD_0 src1_sel:DWORD
	v_mov_b32_e32 v123, 0x7f800001
	s_mov_b32 s51, exec_lo
	v_cmpx_ne_u32_e32 0x7f, v56
	s_cbranch_execz .LBB197_417
; %bb.414:                              ;   in Loop: Header=BB197_14 Depth=1
	v_and_b32_sdwa v51, v0, v70 dst_sel:DWORD dst_unused:UNUSED_PAD src0_sel:WORD_0 src1_sel:DWORD
	v_lshrrev_b32_e32 v55, 3, v56
	s_mov_b32 s52, exec_lo
	v_cmpx_gt_u32_e32 8, v56
; %bb.415:                              ;   in Loop: Header=BB197_14 Depth=1
	v_ffbh_u32_e32 v55, v51
	v_min_u32_e32 v55, 32, v55
	v_subrev_nc_u32_e32 v56, 28, v55
	v_sub_nc_u32_e32 v55, 29, v55
	v_lshlrev_b64 v[56:57], v56, v[51:52]
	v_and_b32_e32 v51, 7, v56
; %bb.416:                              ;   in Loop: Header=BB197_14 Depth=1
	s_or_b32 exec_lo, exec_lo, s52
	v_lshlrev_b32_e32 v0, 24, v0
	v_lshlrev_b32_e32 v51, 20, v51
	v_lshl_add_u32 v55, v55, 23, 0x3c000000
	v_and_b32_e32 v0, 0x80000000, v0
	v_or3_b32 v123, v51, v0, v55
.LBB197_417:                            ;   in Loop: Header=BB197_14 Depth=1
	s_or_b32 exec_lo, exec_lo, s51
.LBB197_418:                            ;   in Loop: Header=BB197_14 Depth=1
	s_or_b32 exec_lo, exec_lo, s50
.LBB197_419:                            ;   in Loop: Header=BB197_14 Depth=1
	s_or_b32 exec_lo, exec_lo, s49
	global_load_ubyte v0, v[59:60], off offset:1544
	v_mov_b32_e32 v125, 0
	v_mov_b32_e32 v126, 0
	s_mov_b32 s49, exec_lo
	s_waitcnt vmcnt(0)
	v_cmpx_ne_u16_e32 0, v0
	s_cbranch_execz .LBB197_427
; %bb.420:                              ;   in Loop: Header=BB197_14 Depth=1
	v_bfrev_b32_e32 v126, 1
	s_mov_b32 s50, exec_lo
	v_cmpx_ne_u16_e32 0x80, v0
	s_cbranch_execz .LBB197_426
; %bb.421:                              ;   in Loop: Header=BB197_14 Depth=1
	v_and_b32_sdwa v56, v0, v69 dst_sel:DWORD dst_unused:UNUSED_PAD src0_sel:WORD_0 src1_sel:DWORD
	v_mov_b32_e32 v126, 0x7f800001
	s_mov_b32 s51, exec_lo
	v_cmpx_ne_u32_e32 0x7f, v56
	s_cbranch_execz .LBB197_425
; %bb.422:                              ;   in Loop: Header=BB197_14 Depth=1
	v_and_b32_sdwa v51, v0, v70 dst_sel:DWORD dst_unused:UNUSED_PAD src0_sel:WORD_0 src1_sel:DWORD
	v_lshrrev_b32_e32 v55, 3, v56
	s_mov_b32 s52, exec_lo
	v_cmpx_gt_u32_e32 8, v56
; %bb.423:                              ;   in Loop: Header=BB197_14 Depth=1
	v_ffbh_u32_e32 v55, v51
	v_min_u32_e32 v55, 32, v55
	v_subrev_nc_u32_e32 v56, 28, v55
	v_sub_nc_u32_e32 v55, 29, v55
	v_lshlrev_b64 v[56:57], v56, v[51:52]
	v_and_b32_e32 v51, 7, v56
; %bb.424:                              ;   in Loop: Header=BB197_14 Depth=1
	s_or_b32 exec_lo, exec_lo, s52
	v_lshlrev_b32_e32 v0, 24, v0
	v_lshlrev_b32_e32 v51, 20, v51
	v_lshl_add_u32 v55, v55, 23, 0x3c000000
	v_and_b32_e32 v0, 0x80000000, v0
	v_or3_b32 v126, v51, v0, v55
.LBB197_425:                            ;   in Loop: Header=BB197_14 Depth=1
	s_or_b32 exec_lo, exec_lo, s51
.LBB197_426:                            ;   in Loop: Header=BB197_14 Depth=1
	s_or_b32 exec_lo, exec_lo, s50
.LBB197_427:                            ;   in Loop: Header=BB197_14 Depth=1
	s_or_b32 exec_lo, exec_lo, s49
	global_load_ubyte v0, v[59:60], off offset:1548
	s_mov_b32 s49, exec_lo
	s_waitcnt vmcnt(0)
	v_cmpx_ne_u16_e32 0, v0
	s_cbranch_execz .LBB197_435
; %bb.428:                              ;   in Loop: Header=BB197_14 Depth=1
	v_bfrev_b32_e32 v125, 1
	s_mov_b32 s50, exec_lo
	v_cmpx_ne_u16_e32 0x80, v0
	s_cbranch_execz .LBB197_434
; %bb.429:                              ;   in Loop: Header=BB197_14 Depth=1
	v_and_b32_sdwa v56, v0, v69 dst_sel:DWORD dst_unused:UNUSED_PAD src0_sel:WORD_0 src1_sel:DWORD
	v_mov_b32_e32 v125, 0x7f800001
	s_mov_b32 s51, exec_lo
	v_cmpx_ne_u32_e32 0x7f, v56
	s_cbranch_execz .LBB197_433
; %bb.430:                              ;   in Loop: Header=BB197_14 Depth=1
	v_and_b32_sdwa v51, v0, v70 dst_sel:DWORD dst_unused:UNUSED_PAD src0_sel:WORD_0 src1_sel:DWORD
	v_lshrrev_b32_e32 v55, 3, v56
	s_mov_b32 s52, exec_lo
	v_cmpx_gt_u32_e32 8, v56
; %bb.431:                              ;   in Loop: Header=BB197_14 Depth=1
	v_ffbh_u32_e32 v55, v51
	v_min_u32_e32 v55, 32, v55
	v_subrev_nc_u32_e32 v56, 28, v55
	v_sub_nc_u32_e32 v55, 29, v55
	v_lshlrev_b64 v[56:57], v56, v[51:52]
	v_and_b32_e32 v51, 7, v56
; %bb.432:                              ;   in Loop: Header=BB197_14 Depth=1
	s_or_b32 exec_lo, exec_lo, s52
	v_lshlrev_b32_e32 v0, 24, v0
	v_lshlrev_b32_e32 v51, 20, v51
	v_lshl_add_u32 v55, v55, 23, 0x3c000000
	v_and_b32_e32 v0, 0x80000000, v0
	v_or3_b32 v125, v51, v0, v55
.LBB197_433:                            ;   in Loop: Header=BB197_14 Depth=1
	s_or_b32 exec_lo, exec_lo, s51
.LBB197_434:                            ;   in Loop: Header=BB197_14 Depth=1
	s_or_b32 exec_lo, exec_lo, s50
.LBB197_435:                            ;   in Loop: Header=BB197_14 Depth=1
	s_or_b32 exec_lo, exec_lo, s49
	global_load_ubyte v0, v[59:60], off offset:1664
	v_mov_b32_e32 v127, 0
	v_mov_b32_e32 v63, 0
	s_mov_b32 s49, exec_lo
	s_waitcnt vmcnt(0)
	v_cmpx_ne_u16_e32 0, v0
	s_cbranch_execz .LBB197_443
; %bb.436:                              ;   in Loop: Header=BB197_14 Depth=1
	v_bfrev_b32_e32 v63, 1
	s_mov_b32 s50, exec_lo
	v_cmpx_ne_u16_e32 0x80, v0
	s_cbranch_execz .LBB197_442
; %bb.437:                              ;   in Loop: Header=BB197_14 Depth=1
	v_and_b32_sdwa v56, v0, v69 dst_sel:DWORD dst_unused:UNUSED_PAD src0_sel:WORD_0 src1_sel:DWORD
	v_mov_b32_e32 v63, 0x7f800001
	s_mov_b32 s51, exec_lo
	v_cmpx_ne_u32_e32 0x7f, v56
	s_cbranch_execz .LBB197_441
; %bb.438:                              ;   in Loop: Header=BB197_14 Depth=1
	v_and_b32_sdwa v51, v0, v70 dst_sel:DWORD dst_unused:UNUSED_PAD src0_sel:WORD_0 src1_sel:DWORD
	v_lshrrev_b32_e32 v55, 3, v56
	s_mov_b32 s52, exec_lo
	v_cmpx_gt_u32_e32 8, v56
; %bb.439:                              ;   in Loop: Header=BB197_14 Depth=1
	v_ffbh_u32_e32 v55, v51
	v_min_u32_e32 v55, 32, v55
	v_subrev_nc_u32_e32 v56, 28, v55
	v_sub_nc_u32_e32 v55, 29, v55
	v_lshlrev_b64 v[56:57], v56, v[51:52]
	v_and_b32_e32 v51, 7, v56
; %bb.440:                              ;   in Loop: Header=BB197_14 Depth=1
	s_or_b32 exec_lo, exec_lo, s52
	v_lshlrev_b32_e32 v0, 24, v0
	v_lshlrev_b32_e32 v51, 20, v51
	v_lshl_add_u32 v55, v55, 23, 0x3c000000
	v_and_b32_e32 v0, 0x80000000, v0
	v_or3_b32 v63, v51, v0, v55
.LBB197_441:                            ;   in Loop: Header=BB197_14 Depth=1
	s_or_b32 exec_lo, exec_lo, s51
.LBB197_442:                            ;   in Loop: Header=BB197_14 Depth=1
	s_or_b32 exec_lo, exec_lo, s50
.LBB197_443:                            ;   in Loop: Header=BB197_14 Depth=1
	s_or_b32 exec_lo, exec_lo, s49
	global_load_ubyte v0, v[59:60], off offset:1668
	s_mov_b32 s49, exec_lo
	s_waitcnt vmcnt(0)
	v_cmpx_ne_u16_e32 0, v0
	s_cbranch_execz .LBB197_451
; %bb.444:                              ;   in Loop: Header=BB197_14 Depth=1
	v_bfrev_b32_e32 v127, 1
	s_mov_b32 s50, exec_lo
	v_cmpx_ne_u16_e32 0x80, v0
	s_cbranch_execz .LBB197_450
; %bb.445:                              ;   in Loop: Header=BB197_14 Depth=1
	v_and_b32_sdwa v56, v0, v69 dst_sel:DWORD dst_unused:UNUSED_PAD src0_sel:WORD_0 src1_sel:DWORD
	v_mov_b32_e32 v127, 0x7f800001
	s_mov_b32 s51, exec_lo
	v_cmpx_ne_u32_e32 0x7f, v56
	s_cbranch_execz .LBB197_449
; %bb.446:                              ;   in Loop: Header=BB197_14 Depth=1
	v_and_b32_sdwa v51, v0, v70 dst_sel:DWORD dst_unused:UNUSED_PAD src0_sel:WORD_0 src1_sel:DWORD
	v_lshrrev_b32_e32 v55, 3, v56
	s_mov_b32 s52, exec_lo
	v_cmpx_gt_u32_e32 8, v56
; %bb.447:                              ;   in Loop: Header=BB197_14 Depth=1
	v_ffbh_u32_e32 v55, v51
	v_min_u32_e32 v55, 32, v55
	v_subrev_nc_u32_e32 v56, 28, v55
	v_sub_nc_u32_e32 v55, 29, v55
	v_lshlrev_b64 v[56:57], v56, v[51:52]
	v_and_b32_e32 v51, 7, v56
; %bb.448:                              ;   in Loop: Header=BB197_14 Depth=1
	s_or_b32 exec_lo, exec_lo, s52
	v_lshlrev_b32_e32 v0, 24, v0
	v_lshlrev_b32_e32 v51, 20, v51
	v_lshl_add_u32 v55, v55, 23, 0x3c000000
	v_and_b32_e32 v0, 0x80000000, v0
	v_or3_b32 v127, v51, v0, v55
.LBB197_449:                            ;   in Loop: Header=BB197_14 Depth=1
	s_or_b32 exec_lo, exec_lo, s51
.LBB197_450:                            ;   in Loop: Header=BB197_14 Depth=1
	s_or_b32 exec_lo, exec_lo, s50
.LBB197_451:                            ;   in Loop: Header=BB197_14 Depth=1
	s_or_b32 exec_lo, exec_lo, s49
	global_load_ubyte v0, v[59:60], off offset:1672
	v_mov_b32_e32 v61, 0
	v_mov_b32_e32 v66, 0
	s_mov_b32 s49, exec_lo
	s_waitcnt vmcnt(0)
	v_cmpx_ne_u16_e32 0, v0
	s_cbranch_execz .LBB197_459
; %bb.452:                              ;   in Loop: Header=BB197_14 Depth=1
	v_bfrev_b32_e32 v66, 1
	s_mov_b32 s50, exec_lo
	v_cmpx_ne_u16_e32 0x80, v0
	s_cbranch_execz .LBB197_458
; %bb.453:                              ;   in Loop: Header=BB197_14 Depth=1
	v_and_b32_sdwa v56, v0, v69 dst_sel:DWORD dst_unused:UNUSED_PAD src0_sel:WORD_0 src1_sel:DWORD
	v_mov_b32_e32 v66, 0x7f800001
	s_mov_b32 s51, exec_lo
	v_cmpx_ne_u32_e32 0x7f, v56
	s_cbranch_execz .LBB197_457
; %bb.454:                              ;   in Loop: Header=BB197_14 Depth=1
	v_and_b32_sdwa v51, v0, v70 dst_sel:DWORD dst_unused:UNUSED_PAD src0_sel:WORD_0 src1_sel:DWORD
	v_lshrrev_b32_e32 v55, 3, v56
	s_mov_b32 s52, exec_lo
	v_cmpx_gt_u32_e32 8, v56
; %bb.455:                              ;   in Loop: Header=BB197_14 Depth=1
	v_ffbh_u32_e32 v55, v51
	v_min_u32_e32 v55, 32, v55
	v_subrev_nc_u32_e32 v56, 28, v55
	v_sub_nc_u32_e32 v55, 29, v55
	v_lshlrev_b64 v[56:57], v56, v[51:52]
	v_and_b32_e32 v51, 7, v56
; %bb.456:                              ;   in Loop: Header=BB197_14 Depth=1
	s_or_b32 exec_lo, exec_lo, s52
	v_lshlrev_b32_e32 v0, 24, v0
	v_lshlrev_b32_e32 v51, 20, v51
	v_lshl_add_u32 v55, v55, 23, 0x3c000000
	v_and_b32_e32 v0, 0x80000000, v0
	v_or3_b32 v66, v51, v0, v55
.LBB197_457:                            ;   in Loop: Header=BB197_14 Depth=1
	s_or_b32 exec_lo, exec_lo, s51
.LBB197_458:                            ;   in Loop: Header=BB197_14 Depth=1
	s_or_b32 exec_lo, exec_lo, s50
.LBB197_459:                            ;   in Loop: Header=BB197_14 Depth=1
	s_or_b32 exec_lo, exec_lo, s49
	global_load_ubyte v0, v[59:60], off offset:1676
	s_mov_b32 s49, exec_lo
	s_waitcnt vmcnt(0)
	v_cmpx_ne_u16_e32 0, v0
	s_cbranch_execz .LBB197_467
; %bb.460:                              ;   in Loop: Header=BB197_14 Depth=1
	v_bfrev_b32_e32 v61, 1
	s_mov_b32 s50, exec_lo
	v_cmpx_ne_u16_e32 0x80, v0
	s_cbranch_execz .LBB197_466
; %bb.461:                              ;   in Loop: Header=BB197_14 Depth=1
	v_and_b32_sdwa v56, v0, v69 dst_sel:DWORD dst_unused:UNUSED_PAD src0_sel:WORD_0 src1_sel:DWORD
	v_mov_b32_e32 v61, 0x7f800001
	s_mov_b32 s51, exec_lo
	v_cmpx_ne_u32_e32 0x7f, v56
	s_cbranch_execz .LBB197_465
; %bb.462:                              ;   in Loop: Header=BB197_14 Depth=1
	v_and_b32_sdwa v51, v0, v70 dst_sel:DWORD dst_unused:UNUSED_PAD src0_sel:WORD_0 src1_sel:DWORD
	v_lshrrev_b32_e32 v55, 3, v56
	s_mov_b32 s52, exec_lo
	v_cmpx_gt_u32_e32 8, v56
; %bb.463:                              ;   in Loop: Header=BB197_14 Depth=1
	v_ffbh_u32_e32 v55, v51
	v_min_u32_e32 v55, 32, v55
	v_subrev_nc_u32_e32 v56, 28, v55
	v_sub_nc_u32_e32 v55, 29, v55
	v_lshlrev_b64 v[56:57], v56, v[51:52]
	v_and_b32_e32 v51, 7, v56
; %bb.464:                              ;   in Loop: Header=BB197_14 Depth=1
	s_or_b32 exec_lo, exec_lo, s52
	v_lshlrev_b32_e32 v0, 24, v0
	v_lshlrev_b32_e32 v51, 20, v51
	v_lshl_add_u32 v55, v55, 23, 0x3c000000
	v_and_b32_e32 v0, 0x80000000, v0
	v_or3_b32 v61, v51, v0, v55
.LBB197_465:                            ;   in Loop: Header=BB197_14 Depth=1
	s_or_b32 exec_lo, exec_lo, s51
.LBB197_466:                            ;   in Loop: Header=BB197_14 Depth=1
	s_or_b32 exec_lo, exec_lo, s50
.LBB197_467:                            ;   in Loop: Header=BB197_14 Depth=1
	s_or_b32 exec_lo, exec_lo, s49
	global_load_ubyte v0, v[59:60], off offset:1792
	v_mov_b32_e32 v71, 0
	v_mov_b32_e32 v55, 0
	s_mov_b32 s49, exec_lo
	s_waitcnt vmcnt(0)
	v_cmpx_ne_u16_e32 0, v0
	s_cbranch_execz .LBB197_475
; %bb.468:                              ;   in Loop: Header=BB197_14 Depth=1
	v_bfrev_b32_e32 v55, 1
	s_mov_b32 s50, exec_lo
	v_cmpx_ne_u16_e32 0x80, v0
	s_cbranch_execz .LBB197_474
; %bb.469:                              ;   in Loop: Header=BB197_14 Depth=1
	v_and_b32_sdwa v56, v0, v69 dst_sel:DWORD dst_unused:UNUSED_PAD src0_sel:WORD_0 src1_sel:DWORD
	v_mov_b32_e32 v55, 0x7f800001
	s_mov_b32 s51, exec_lo
	v_cmpx_ne_u32_e32 0x7f, v56
	s_cbranch_execz .LBB197_473
; %bb.470:                              ;   in Loop: Header=BB197_14 Depth=1
	v_and_b32_sdwa v51, v0, v70 dst_sel:DWORD dst_unused:UNUSED_PAD src0_sel:WORD_0 src1_sel:DWORD
	v_lshrrev_b32_e32 v55, 3, v56
	s_mov_b32 s52, exec_lo
	v_cmpx_gt_u32_e32 8, v56
; %bb.471:                              ;   in Loop: Header=BB197_14 Depth=1
	v_ffbh_u32_e32 v55, v51
	v_min_u32_e32 v55, 32, v55
	v_subrev_nc_u32_e32 v56, 28, v55
	v_sub_nc_u32_e32 v55, 29, v55
	v_lshlrev_b64 v[56:57], v56, v[51:52]
	v_and_b32_e32 v51, 7, v56
; %bb.472:                              ;   in Loop: Header=BB197_14 Depth=1
	s_or_b32 exec_lo, exec_lo, s52
	v_lshlrev_b32_e32 v0, 24, v0
	v_lshlrev_b32_e32 v51, 20, v51
	v_lshl_add_u32 v55, v55, 23, 0x3c000000
	v_and_b32_e32 v0, 0x80000000, v0
	v_or3_b32 v55, v51, v0, v55
.LBB197_473:                            ;   in Loop: Header=BB197_14 Depth=1
	s_or_b32 exec_lo, exec_lo, s51
.LBB197_474:                            ;   in Loop: Header=BB197_14 Depth=1
	s_or_b32 exec_lo, exec_lo, s50
.LBB197_475:                            ;   in Loop: Header=BB197_14 Depth=1
	s_or_b32 exec_lo, exec_lo, s49
	global_load_ubyte v0, v[59:60], off offset:1796
	s_mov_b32 s49, exec_lo
	s_waitcnt vmcnt(0)
	v_cmpx_ne_u16_e32 0, v0
	s_cbranch_execz .LBB197_483
; %bb.476:                              ;   in Loop: Header=BB197_14 Depth=1
	v_bfrev_b32_e32 v71, 1
	s_mov_b32 s50, exec_lo
	v_cmpx_ne_u16_e32 0x80, v0
	s_cbranch_execz .LBB197_482
; %bb.477:                              ;   in Loop: Header=BB197_14 Depth=1
	v_and_b32_sdwa v57, v0, v69 dst_sel:DWORD dst_unused:UNUSED_PAD src0_sel:WORD_0 src1_sel:DWORD
	v_mov_b32_e32 v71, 0x7f800001
	s_mov_b32 s51, exec_lo
	v_cmpx_ne_u32_e32 0x7f, v57
	s_cbranch_execz .LBB197_481
; %bb.478:                              ;   in Loop: Header=BB197_14 Depth=1
	v_and_b32_sdwa v51, v0, v70 dst_sel:DWORD dst_unused:UNUSED_PAD src0_sel:WORD_0 src1_sel:DWORD
	v_lshrrev_b32_e32 v56, 3, v57
	s_mov_b32 s52, exec_lo
	v_cmpx_gt_u32_e32 8, v57
; %bb.479:                              ;   in Loop: Header=BB197_14 Depth=1
	v_ffbh_u32_e32 v56, v51
	v_min_u32_e32 v56, 32, v56
	v_subrev_nc_u32_e32 v57, 28, v56
	v_sub_nc_u32_e32 v56, 29, v56
	v_lshlrev_b64 v[57:58], v57, v[51:52]
	v_and_b32_e32 v51, 7, v57
; %bb.480:                              ;   in Loop: Header=BB197_14 Depth=1
	s_or_b32 exec_lo, exec_lo, s52
	v_lshlrev_b32_e32 v0, 24, v0
	v_lshlrev_b32_e32 v51, 20, v51
	v_lshl_add_u32 v56, v56, 23, 0x3c000000
	v_and_b32_e32 v0, 0x80000000, v0
	v_or3_b32 v71, v51, v0, v56
.LBB197_481:                            ;   in Loop: Header=BB197_14 Depth=1
	s_or_b32 exec_lo, exec_lo, s51
.LBB197_482:                            ;   in Loop: Header=BB197_14 Depth=1
	s_or_b32 exec_lo, exec_lo, s50
.LBB197_483:                            ;   in Loop: Header=BB197_14 Depth=1
	s_or_b32 exec_lo, exec_lo, s49
	global_load_ubyte v0, v[59:60], off offset:1800
	v_mov_b32_e32 v56, 0
	v_mov_b32_e32 v65, 0
	s_mov_b32 s49, exec_lo
	s_waitcnt vmcnt(0)
	v_cmpx_ne_u16_e32 0, v0
	s_cbranch_execz .LBB197_491
; %bb.484:                              ;   in Loop: Header=BB197_14 Depth=1
	v_bfrev_b32_e32 v65, 1
	s_mov_b32 s50, exec_lo
	v_cmpx_ne_u16_e32 0x80, v0
	s_cbranch_execz .LBB197_490
; %bb.485:                              ;   in Loop: Header=BB197_14 Depth=1
	v_and_b32_sdwa v58, v0, v69 dst_sel:DWORD dst_unused:UNUSED_PAD src0_sel:WORD_0 src1_sel:DWORD
	v_mov_b32_e32 v65, 0x7f800001
	s_mov_b32 s51, exec_lo
	v_cmpx_ne_u32_e32 0x7f, v58
	s_cbranch_execz .LBB197_489
; %bb.486:                              ;   in Loop: Header=BB197_14 Depth=1
	v_and_b32_sdwa v51, v0, v70 dst_sel:DWORD dst_unused:UNUSED_PAD src0_sel:WORD_0 src1_sel:DWORD
	v_lshrrev_b32_e32 v57, 3, v58
	s_mov_b32 s52, exec_lo
	v_cmpx_gt_u32_e32 8, v58
; %bb.487:                              ;   in Loop: Header=BB197_14 Depth=1
	v_ffbh_u32_e32 v57, v51
	v_min_u32_e32 v57, 32, v57
	v_subrev_nc_u32_e32 v58, 28, v57
	v_sub_nc_u32_e32 v57, 29, v57
	v_lshlrev_b64 v[64:65], v58, v[51:52]
	v_and_b32_e32 v51, 7, v64
; %bb.488:                              ;   in Loop: Header=BB197_14 Depth=1
	s_or_b32 exec_lo, exec_lo, s52
	v_lshlrev_b32_e32 v0, 24, v0
	v_lshlrev_b32_e32 v51, 20, v51
	v_lshl_add_u32 v57, v57, 23, 0x3c000000
	v_and_b32_e32 v0, 0x80000000, v0
	v_or3_b32 v65, v51, v0, v57
.LBB197_489:                            ;   in Loop: Header=BB197_14 Depth=1
	s_or_b32 exec_lo, exec_lo, s51
.LBB197_490:                            ;   in Loop: Header=BB197_14 Depth=1
	s_or_b32 exec_lo, exec_lo, s50
.LBB197_491:                            ;   in Loop: Header=BB197_14 Depth=1
	s_or_b32 exec_lo, exec_lo, s49
	global_load_ubyte v0, v[59:60], off offset:1804
	s_mov_b32 s49, exec_lo
	s_waitcnt vmcnt(0)
	v_cmpx_ne_u16_e32 0, v0
	s_cbranch_execz .LBB197_499
; %bb.492:                              ;   in Loop: Header=BB197_14 Depth=1
	v_bfrev_b32_e32 v56, 1
	s_mov_b32 s50, exec_lo
	v_cmpx_ne_u16_e32 0x80, v0
	s_cbranch_execz .LBB197_498
; %bb.493:                              ;   in Loop: Header=BB197_14 Depth=1
	v_and_b32_sdwa v57, v0, v69 dst_sel:DWORD dst_unused:UNUSED_PAD src0_sel:WORD_0 src1_sel:DWORD
	v_mov_b32_e32 v56, 0x7f800001
	s_mov_b32 s51, exec_lo
	v_cmpx_ne_u32_e32 0x7f, v57
	s_cbranch_execz .LBB197_497
; %bb.494:                              ;   in Loop: Header=BB197_14 Depth=1
	v_and_b32_sdwa v51, v0, v70 dst_sel:DWORD dst_unused:UNUSED_PAD src0_sel:WORD_0 src1_sel:DWORD
	v_lshrrev_b32_e32 v56, 3, v57
	s_mov_b32 s52, exec_lo
	v_cmpx_gt_u32_e32 8, v57
; %bb.495:                              ;   in Loop: Header=BB197_14 Depth=1
	v_ffbh_u32_e32 v56, v51
	v_min_u32_e32 v56, 32, v56
	v_subrev_nc_u32_e32 v57, 28, v56
	v_sub_nc_u32_e32 v56, 29, v56
	v_lshlrev_b64 v[57:58], v57, v[51:52]
	v_and_b32_e32 v51, 7, v57
; %bb.496:                              ;   in Loop: Header=BB197_14 Depth=1
	s_or_b32 exec_lo, exec_lo, s52
	v_lshlrev_b32_e32 v0, 24, v0
	v_lshlrev_b32_e32 v51, 20, v51
	v_lshl_add_u32 v56, v56, 23, 0x3c000000
	v_and_b32_e32 v0, 0x80000000, v0
	v_or3_b32 v56, v51, v0, v56
.LBB197_497:                            ;   in Loop: Header=BB197_14 Depth=1
	s_or_b32 exec_lo, exec_lo, s51
.LBB197_498:                            ;   in Loop: Header=BB197_14 Depth=1
	s_or_b32 exec_lo, exec_lo, s50
.LBB197_499:                            ;   in Loop: Header=BB197_14 Depth=1
	s_or_b32 exec_lo, exec_lo, s49
	global_load_ubyte v57, v[59:60], off offset:1920
	v_mov_b32_e32 v0, 0
	v_mov_b32_e32 v73, 0
	s_mov_b32 s49, exec_lo
	s_waitcnt vmcnt(0)
	v_cmpx_ne_u16_e32 0, v57
	s_cbranch_execz .LBB197_507
; %bb.500:                              ;   in Loop: Header=BB197_14 Depth=1
	v_bfrev_b32_e32 v73, 1
	s_mov_b32 s50, exec_lo
	v_cmpx_ne_u16_e32 0x80, v57
	s_cbranch_execz .LBB197_506
; %bb.501:                              ;   in Loop: Header=BB197_14 Depth=1
	v_and_b32_sdwa v64, v57, v69 dst_sel:DWORD dst_unused:UNUSED_PAD src0_sel:WORD_0 src1_sel:DWORD
	v_mov_b32_e32 v73, 0x7f800001
	s_mov_b32 s51, exec_lo
	v_cmpx_ne_u32_e32 0x7f, v64
	s_cbranch_execz .LBB197_505
; %bb.502:                              ;   in Loop: Header=BB197_14 Depth=1
	v_and_b32_sdwa v51, v57, v70 dst_sel:DWORD dst_unused:UNUSED_PAD src0_sel:WORD_0 src1_sel:DWORD
	v_lshrrev_b32_e32 v58, 3, v64
	s_mov_b32 s52, exec_lo
	v_cmpx_gt_u32_e32 8, v64
	s_cbranch_execz .LBB197_504
; %bb.503:                              ;   in Loop: Header=BB197_14 Depth=1
	v_ffbh_u32_e32 v58, v51
	v_min_u32_e32 v58, 32, v58
	v_subrev_nc_u32_e32 v64, 28, v58
	v_sub_nc_u32_e32 v58, 29, v58
	v_lshlrev_b64 v[75:76], v64, v[51:52]
	v_mbcnt_lo_u32_b32 v76, -1, 0
	v_and_b32_e32 v51, 7, v75
.LBB197_504:                            ;   in Loop: Header=BB197_14 Depth=1
	s_or_b32 exec_lo, exec_lo, s52
	v_lshlrev_b32_e32 v57, 24, v57
	v_lshlrev_b32_e32 v51, 20, v51
	v_lshl_add_u32 v58, v58, 23, 0x3c000000
	v_and_b32_e32 v57, 0x80000000, v57
	v_or3_b32 v73, v51, v57, v58
.LBB197_505:                            ;   in Loop: Header=BB197_14 Depth=1
	s_or_b32 exec_lo, exec_lo, s51
.LBB197_506:                            ;   in Loop: Header=BB197_14 Depth=1
	s_or_b32 exec_lo, exec_lo, s50
.LBB197_507:                            ;   in Loop: Header=BB197_14 Depth=1
	s_or_b32 exec_lo, exec_lo, s49
	global_load_ubyte v57, v[59:60], off offset:1924
	s_mov_b32 s49, exec_lo
	s_waitcnt vmcnt(0)
	v_cmpx_ne_u16_e32 0, v57
	s_cbranch_execz .LBB197_515
; %bb.508:                              ;   in Loop: Header=BB197_14 Depth=1
	v_bfrev_b32_e32 v0, 1
	s_mov_b32 s50, exec_lo
	v_cmpx_ne_u16_e32 0x80, v57
	s_cbranch_execz .LBB197_514
; %bb.509:                              ;   in Loop: Header=BB197_14 Depth=1
	v_and_b32_sdwa v58, v57, v69 dst_sel:DWORD dst_unused:UNUSED_PAD src0_sel:WORD_0 src1_sel:DWORD
	v_mov_b32_e32 v0, 0x7f800001
	s_mov_b32 s51, exec_lo
	v_cmpx_ne_u32_e32 0x7f, v58
	s_cbranch_execz .LBB197_513
; %bb.510:                              ;   in Loop: Header=BB197_14 Depth=1
	v_and_b32_sdwa v51, v57, v70 dst_sel:DWORD dst_unused:UNUSED_PAD src0_sel:WORD_0 src1_sel:DWORD
	v_lshrrev_b32_e32 v0, 3, v58
	s_mov_b32 s52, exec_lo
	v_cmpx_gt_u32_e32 8, v58
	s_cbranch_execz .LBB197_512
; %bb.511:                              ;   in Loop: Header=BB197_14 Depth=1
	v_ffbh_u32_e32 v0, v51
	v_min_u32_e32 v0, 32, v0
	v_subrev_nc_u32_e32 v58, 28, v0
	v_sub_nc_u32_e32 v0, 29, v0
	v_lshlrev_b64 v[75:76], v58, v[51:52]
	v_mbcnt_lo_u32_b32 v76, -1, 0
	v_and_b32_e32 v51, 7, v75
.LBB197_512:                            ;   in Loop: Header=BB197_14 Depth=1
	s_or_b32 exec_lo, exec_lo, s52
	v_lshlrev_b32_e32 v57, 24, v57
	v_lshlrev_b32_e32 v51, 20, v51
	v_lshl_add_u32 v0, v0, 23, 0x3c000000
	v_and_b32_e32 v57, 0x80000000, v57
	v_or3_b32 v0, v51, v57, v0
.LBB197_513:                            ;   in Loop: Header=BB197_14 Depth=1
	s_or_b32 exec_lo, exec_lo, s51
.LBB197_514:                            ;   in Loop: Header=BB197_14 Depth=1
	s_or_b32 exec_lo, exec_lo, s50
.LBB197_515:                            ;   in Loop: Header=BB197_14 Depth=1
	s_or_b32 exec_lo, exec_lo, s49
	global_load_ubyte v58, v[59:60], off offset:1928
	v_mov_b32_e32 v64, 0
	v_mov_b32_e32 v57, 0
	s_mov_b32 s49, exec_lo
	s_waitcnt vmcnt(0)
	v_cmpx_ne_u16_e32 0, v58
	s_cbranch_execz .LBB197_523
; %bb.516:                              ;   in Loop: Header=BB197_14 Depth=1
	v_bfrev_b32_e32 v57, 1
	s_mov_b32 s50, exec_lo
	v_cmpx_ne_u16_e32 0x80, v58
	s_cbranch_execz .LBB197_522
; %bb.517:                              ;   in Loop: Header=BB197_14 Depth=1
	v_and_b32_sdwa v75, v58, v69 dst_sel:DWORD dst_unused:UNUSED_PAD src0_sel:WORD_0 src1_sel:DWORD
	v_mov_b32_e32 v57, 0x7f800001
	s_mov_b32 s51, exec_lo
	v_cmpx_ne_u32_e32 0x7f, v75
	s_cbranch_execz .LBB197_521
; %bb.518:                              ;   in Loop: Header=BB197_14 Depth=1
	v_and_b32_sdwa v51, v58, v70 dst_sel:DWORD dst_unused:UNUSED_PAD src0_sel:WORD_0 src1_sel:DWORD
	v_lshrrev_b32_e32 v57, 3, v75
	s_mov_b32 s52, exec_lo
	v_cmpx_gt_u32_e32 8, v75
	s_cbranch_execz .LBB197_520
; %bb.519:                              ;   in Loop: Header=BB197_14 Depth=1
	v_ffbh_u32_e32 v57, v51
	v_min_u32_e32 v57, 32, v57
	v_subrev_nc_u32_e32 v75, 28, v57
	v_sub_nc_u32_e32 v57, 29, v57
	v_lshlrev_b64 v[75:76], v75, v[51:52]
	v_mbcnt_lo_u32_b32 v76, -1, 0
	v_and_b32_e32 v51, 7, v75
.LBB197_520:                            ;   in Loop: Header=BB197_14 Depth=1
	s_or_b32 exec_lo, exec_lo, s52
	v_lshlrev_b32_e32 v58, 24, v58
	v_lshlrev_b32_e32 v51, 20, v51
	v_lshl_add_u32 v57, v57, 23, 0x3c000000
	v_and_b32_e32 v58, 0x80000000, v58
	v_or3_b32 v57, v51, v58, v57
.LBB197_521:                            ;   in Loop: Header=BB197_14 Depth=1
	s_or_b32 exec_lo, exec_lo, s51
.LBB197_522:                            ;   in Loop: Header=BB197_14 Depth=1
	s_or_b32 exec_lo, exec_lo, s50
.LBB197_523:                            ;   in Loop: Header=BB197_14 Depth=1
	s_or_b32 exec_lo, exec_lo, s49
	global_load_ubyte v58, v[59:60], off offset:1932
	s_mov_b32 s49, exec_lo
	s_waitcnt vmcnt(0)
	v_cmpx_ne_u16_e32 0, v58
	s_cbranch_execz .LBB197_531
; %bb.524:                              ;   in Loop: Header=BB197_14 Depth=1
	v_bfrev_b32_e32 v64, 1
	s_mov_b32 s50, exec_lo
	v_cmpx_ne_u16_e32 0x80, v58
	s_cbranch_execz .LBB197_530
; %bb.525:                              ;   in Loop: Header=BB197_14 Depth=1
	v_and_b32_sdwa v60, v58, v69 dst_sel:DWORD dst_unused:UNUSED_PAD src0_sel:WORD_0 src1_sel:DWORD
	v_mov_b32_e32 v64, 0x7f800001
	s_mov_b32 s51, exec_lo
	v_cmpx_ne_u32_e32 0x7f, v60
	s_cbranch_execz .LBB197_529
; %bb.526:                              ;   in Loop: Header=BB197_14 Depth=1
	v_and_b32_sdwa v51, v58, v70 dst_sel:DWORD dst_unused:UNUSED_PAD src0_sel:WORD_0 src1_sel:DWORD
	v_lshrrev_b32_e32 v59, 3, v60
	s_mov_b32 s52, exec_lo
	v_cmpx_gt_u32_e32 8, v60
	s_cbranch_execz .LBB197_528
; %bb.527:                              ;   in Loop: Header=BB197_14 Depth=1
	v_ffbh_u32_e32 v59, v51
	v_min_u32_e32 v59, 32, v59
	v_subrev_nc_u32_e32 v60, 28, v59
	v_sub_nc_u32_e32 v59, 29, v59
	v_lshlrev_b64 v[75:76], v60, v[51:52]
	v_mbcnt_lo_u32_b32 v76, -1, 0
	v_and_b32_e32 v51, 7, v75
.LBB197_528:                            ;   in Loop: Header=BB197_14 Depth=1
	s_or_b32 exec_lo, exec_lo, s52
	v_lshlrev_b32_e32 v58, 24, v58
	v_lshlrev_b32_e32 v51, 20, v51
	v_lshl_add_u32 v59, v59, 23, 0x3c000000
	v_and_b32_e32 v58, 0x80000000, v58
	v_or3_b32 v64, v51, v58, v59
.LBB197_529:                            ;   in Loop: Header=BB197_14 Depth=1
	s_or_b32 exec_lo, exec_lo, s51
.LBB197_530:                            ;   in Loop: Header=BB197_14 Depth=1
	s_or_b32 exec_lo, exec_lo, s50
.LBB197_531:                            ;   in Loop: Header=BB197_14 Depth=1
	s_or_b32 exec_lo, exec_lo, s49
	s_clause 0x1
	buffer_load_dword v51, off, s[56:59], 0
	buffer_load_dword v58, off, s[56:59], 0 offset:4
	s_waitcnt lgkmcnt(0)
	v_mul_f32_e32 v0, s48, v0
	s_waitcnt vmcnt(1)
	v_mul_f32_e32 v51, s48, v51
	s_waitcnt vmcnt(0)
	v_mul_f32_e32 v58, s48, v58
	v_mul_f32_e32 v46, v46, v51
	v_fmac_f32_e32 v46, v45, v58
	v_mul_f32_e32 v45, s48, v78
	v_fmac_f32_e32 v46, v47, v45
	buffer_load_dword v45, off, s[56:59], 0 offset:8 ; 4-byte Folded Reload
	s_waitcnt vmcnt(0)
	v_mul_f32_e32 v45, s48, v45
	v_fmac_f32_e32 v46, v48, v45
	v_mul_f32_e32 v45, s48, v80
	v_fmac_f32_e32 v46, v41, v45
	;; [unrolled: 2-line block ×35, first 2 shown]
	v_mul_f32_e32 v9, s48, v114
	v_mul_f32_e32 v10, s48, v125
	v_fmac_f32_e32 v46, v11, v9
	v_mul_f32_e32 v9, s48, v113
	v_fmac_f32_e32 v46, v12, v9
	;; [unrolled: 2-line block ×3, first 2 shown]
	v_mul_f32_e32 v5, s48, v115
	v_mul_f32_e32 v9, s48, v126
	v_fmac_f32_e32 v46, v6, v5
	v_mul_f32_e32 v5, s48, v118
	v_mul_f32_e32 v6, s48, v123
	v_fmac_f32_e32 v46, v7, v5
	v_mul_f32_e32 v5, s48, v117
	v_fmac_f32_e32 v46, v8, v5
	;; [unrolled: 2-line block ×3, first 2 shown]
	v_mul_f32_e32 v1, s48, v119
	v_mul_f32_e32 v5, s48, v122
	v_fmac_f32_e32 v46, v2, v1
	v_mul_f32_e32 v1, s48, v121
	v_fmac_f32_e32 v46, v3, v5
	;; [unrolled: 2-line block ×3, first 2 shown]
	ds_read2_b64 v[1:4], v67 offset0:25 offset1:26
	s_clause 0x1
	buffer_load_dword v7, off, s[56:59], 0 offset:16
	buffer_load_dword v8, off, s[56:59], 0 offset:20
	s_waitcnt vmcnt(1)
	v_fmac_f32_e32 v46, v7, v5
	s_waitcnt vmcnt(0)
	v_fmac_f32_e32 v46, v8, v6
	ds_read2_b64 v[5:8], v67 offset0:27 offset1:28
	s_waitcnt lgkmcnt(1)
	v_fmac_f32_e32 v46, v9, v1
	v_mul_f32_e32 v1, s48, v63
	v_mul_f32_e32 v9, s48, v61
	v_fmac_f32_e32 v46, v10, v2
	v_mul_f32_e32 v2, s48, v127
	v_fmac_f32_e32 v46, v1, v3
	;; [unrolled: 2-line block ×3, first 2 shown]
	s_waitcnt lgkmcnt(0)
	v_fmac_f32_e32 v46, v1, v5
	ds_read2_b64 v[1:4], v67 offset0:29 offset1:30
	v_mul_f32_e32 v5, s48, v55
	v_fmac_f32_e32 v46, v9, v6
	v_mul_f32_e32 v6, s48, v71
	v_fmac_f32_e32 v46, v5, v7
	;; [unrolled: 2-line block ×3, first 2 shown]
	v_mul_f32_e32 v8, s48, v56
	ds_read_b64 v[5:6], v67 offset:248
	s_waitcnt lgkmcnt(1)
	v_fmac_f32_e32 v46, v7, v1
	v_mul_f32_e32 v1, s48, v73
	v_fmac_f32_e32 v46, v8, v2
	v_mul_f32_e32 v2, s48, v57
	v_fmac_f32_e32 v46, v1, v3
	v_xor_b32_e32 v1, 2, v76
	v_fmac_f32_e32 v46, v0, v4
	v_cmp_gt_i32_e64 s2, 32, v1
	s_waitcnt lgkmcnt(0)
	v_fmac_f32_e32 v46, v2, v5
	v_cndmask_b32_e64 v0, v76, v1, s2
	v_mul_f32_e32 v1, s48, v64
	v_lshlrev_b32_e32 v0, 2, v0
	v_fmac_f32_e32 v46, v1, v6
	v_xor_b32_e32 v1, 1, v76
	ds_bpermute_b32 v0, v0, v46
	v_cmp_gt_i32_e64 s2, 32, v1
	v_cndmask_b32_e64 v1, v76, v1, s2
	v_lshlrev_b32_e32 v1, 2, v1
	s_waitcnt lgkmcnt(0)
	v_add_f32_e32 v0, v46, v0
	ds_bpermute_b32 v1, v1, v0
	s_and_saveexec_b32 s48, vcc_lo
	s_cbranch_execz .LBB197_12
; %bb.532:                              ;   in Loop: Header=BB197_14 Depth=1
	buffer_load_dword v2, off, s[56:59], 0 offset:36 ; 4-byte Folded Reload
	s_waitcnt lgkmcnt(0)
	v_add_f32_e32 v0, v0, v1
	s_waitcnt vmcnt(0)
	v_add_nc_u32_e32 v2, v2, v68
	v_cvt_f32_i32_e32 v2, v2
	v_mul_f32_e32 v2, s43, v2
	v_cndmask_b32_e64 v1, 0, v2, s1
	v_max_f32_e32 v2, v77, v77
	v_fmac_f32_e32 v1, s41, v0
	buffer_load_dword v0, off, s[56:59], 0 offset:32 ; 4-byte Folded Reload
	v_max_f32_e32 v2, v2, v1
	s_waitcnt vmcnt(0)
	v_add_nc_u32_e32 v0, v0, v68
	v_cmp_gt_i32_e64 s2, s31, v0
	v_cndmask_b32_e64 v0, 0, v1, s2
	v_cndmask_b32_e64 v77, v77, v2, s2
	ds_write_b32 v72, v0
	s_branch .LBB197_12
.LBB197_533:
	s_or_b32 exec_lo, exec_lo, s46
	s_clause 0x2
	buffer_load_dword v44, off, s[56:59], 0 offset:40
	buffer_load_dword v18, off, s[56:59], 0 offset:44
	;; [unrolled: 1-line block ×3, first 2 shown]
.LBB197_534:
	s_or_b32 exec_lo, exec_lo, s45
	v_xor_b32_e32 v0, 16, v76
	v_xor_b32_e32 v2, 8, v76
	v_max_f32_e32 v4, v77, v77
	s_waitcnt vmcnt(2)
	v_and_b32_e32 v25, 31, v44
	v_cmp_gt_i32_e32 vcc_lo, 32, v0
	v_cndmask_b32_e32 v0, v76, v0, vcc_lo
	v_cmp_gt_i32_e32 vcc_lo, 32, v2
	s_waitcnt lgkmcnt(0)
	v_lshlrev_b32_e32 v1, 2, v0
	v_cndmask_b32_e32 v2, v76, v2, vcc_lo
	ds_bpermute_b32 v0, v1, v77
	v_lshlrev_b32_e32 v3, 2, v2
	s_waitcnt lgkmcnt(0)
	v_max_f32_e32 v0, v0, v0
	v_max_f32_e32 v0, v4, v0
	v_xor_b32_e32 v4, 4, v76
	ds_bpermute_b32 v2, v3, v0
	v_cmp_gt_i32_e32 vcc_lo, 32, v4
	v_cndmask_b32_e32 v4, v76, v4, vcc_lo
	v_cmp_eq_u32_e32 vcc_lo, 0, v25
	v_lshlrev_b32_e32 v6, 2, v4
	s_waitcnt vmcnt(1)
	v_lshlrev_b32_e32 v4, 2, v18
	s_waitcnt lgkmcnt(0)
	v_max_f32_e32 v2, v2, v2
	v_max_f32_e32 v0, v0, v2
	ds_bpermute_b32 v2, v6, v0
	s_and_saveexec_b32 s1, vcc_lo
	s_cbranch_execz .LBB197_536
; %bb.535:
	s_waitcnt lgkmcnt(0)
	v_max_f32_e32 v2, v2, v2
	v_max_f32_e32 v0, v0, v0
	v_max_f32_e32 v0, v0, v2
	ds_write_b32 v4, v0 offset:1024
.LBB197_536:
	s_or_b32 exec_lo, exec_lo, s1
	v_cmp_gt_u32_e64 s1, 4, v25
	v_mov_b32_e32 v0, 0xff7fffff
	v_lshlrev_b32_e32 v5, 2, v25
	s_waitcnt vmcnt(0) lgkmcnt(0)
	s_waitcnt_vscnt null, 0x0
	s_barrier
	buffer_gl0_inv
	s_and_saveexec_b32 s2, s1
; %bb.537:
	ds_read_b32 v0, v5 offset:1024
; %bb.538:
	s_or_b32 exec_lo, exec_lo, s2
	v_xor_b32_e32 v2, 2, v76
	v_xor_b32_e32 v8, 1, v76
	v_cmp_gt_i32_e64 s2, 32, v2
	v_cndmask_b32_e64 v2, v76, v2, s2
	v_cmp_gt_i32_e64 s2, 32, v8
	v_lshlrev_b32_e32 v7, 2, v2
	v_cndmask_b32_e64 v8, v76, v8, s2
	s_sub_i32 s2, s20, s44
	s_lshl_b32 s2, s2, 3
	s_waitcnt lgkmcnt(0)
	ds_bpermute_b32 v2, v7, v0
	v_max_f32_e32 v0, v0, v0
	v_lshlrev_b32_e32 v26, 2, v8
	v_mov_b32_e32 v8, 0
	s_add_i32 s2, s2, s42
	s_min_i32 s2, s2, s31
	s_sub_i32 s4, s2, s42
	v_cmp_gt_i32_e64 s2, s4, v44
	s_waitcnt lgkmcnt(0)
	v_max_f32_e32 v2, v2, v2
	v_max_f32_e32 v0, v0, v2
	ds_bpermute_b32 v2, v26, v0
	s_waitcnt lgkmcnt(0)
	v_max_f32_e32 v2, v2, v2
	v_max_f32_e32 v0, v0, v2
	v_lshl_add_u32 v2, v44, 2, 0x420
	ds_bpermute_b32 v0, v8, v0
	s_and_saveexec_b32 s5, s2
	s_cbranch_execz .LBB197_542
; %bb.539:
	v_lshl_add_u32 v9, v44, 2, 0x420
	v_mov_b32_e32 v8, 0
	v_mov_b32_e32 v10, v44
	s_mov_b32 s12, 0
	.p2align	6
.LBB197_540:                            ; =>This Inner Loop Header: Depth=1
	ds_read_b32 v11, v9
	v_add_nc_u32_e32 v10, 0x80, v10
	v_cmp_le_i32_e64 s3, s4, v10
	s_or_b32 s12, s3, s12
	s_waitcnt lgkmcnt(0)
	v_sub_f32_e32 v11, v11, v0
	v_mul_f32_e32 v11, 0x3fb8aa3b, v11
	v_exp_f32_e32 v11, v11
	ds_write_b32 v9, v11
	v_add_f32_e32 v8, v8, v11
	v_add_nc_u32_e32 v9, 0x200, v9
	s_andn2_b32 exec_lo, exec_lo, s12
	s_cbranch_execnz .LBB197_540
; %bb.541:
	s_or_b32 exec_lo, exec_lo, s12
.LBB197_542:
	s_or_b32 exec_lo, exec_lo, s5
	ds_bpermute_b32 v1, v1, v8
	s_waitcnt lgkmcnt(0)
	v_add_f32_e32 v1, v8, v1
	ds_bpermute_b32 v3, v3, v1
	s_waitcnt lgkmcnt(0)
	v_add_f32_e32 v1, v1, v3
	;; [unrolled: 3-line block ×5, first 2 shown]
	s_and_saveexec_b32 s3, vcc_lo
; %bb.543:
	ds_write_b32 v4, v1 offset:1040
; %bb.544:
	s_or_b32 exec_lo, exec_lo, s3
	s_waitcnt lgkmcnt(0)
	s_barrier
	buffer_gl0_inv
	s_and_saveexec_b32 s3, s1
; %bb.545:
	ds_read_b32 v1, v5 offset:1040
; %bb.546:
	s_or_b32 exec_lo, exec_lo, s3
	s_waitcnt lgkmcnt(0)
	ds_bpermute_b32 v3, v7, v1
	s_waitcnt lgkmcnt(0)
	v_add_f32_e32 v1, v1, v3
	ds_bpermute_b32 v3, v26, v1
	s_waitcnt lgkmcnt(0)
	v_add_f32_e32 v1, v1, v3
	v_mov_b32_e32 v3, 0
	ds_bpermute_b32 v1, v3, v1
	s_and_saveexec_b32 s1, s2
	s_cbranch_execz .LBB197_549
; %bb.547:
	s_waitcnt lgkmcnt(0)
	v_add_f32_e32 v3, 0x358637bd, v1
	s_mov_b32 s2, 0
	v_div_scale_f32 v4, null, v3, v3, 1.0
	v_div_scale_f32 v7, vcc_lo, 1.0, v3, 1.0
	v_rcp_f32_e32 v5, v4
	v_fma_f32 v6, -v4, v5, 1.0
	v_fmac_f32_e32 v5, v6, v5
	v_mul_f32_e32 v6, v7, v5
	v_fma_f32 v8, -v4, v6, v7
	v_fmac_f32_e32 v6, v8, v5
	v_fma_f32 v4, -v4, v6, v7
	v_div_fmas_f32 v4, v4, v5, v6
	v_div_fixup_f32 v3, v4, v3, 1.0
	v_mov_b32_e32 v4, v44
.LBB197_548:                            ; =>This Inner Loop Header: Depth=1
	ds_read_b32 v5, v2
	v_add_nc_u32_e32 v4, 0x80, v4
	v_cmp_le_i32_e32 vcc_lo, s4, v4
	s_or_b32 s2, vcc_lo, s2
	s_waitcnt lgkmcnt(0)
	v_mul_f32_e32 v5, v3, v5
	ds_write_b32 v2, v5
	v_add_nc_u32_e32 v2, 0x200, v2
	s_andn2_b32 exec_lo, exec_lo, s2
	s_cbranch_execnz .LBB197_548
.LBB197_549:
	s_or_b32 exec_lo, exec_lo, s1
	s_mul_i32 s1, s7, s30
	s_waitcnt lgkmcnt(0)
	s_mul_i32 s2, s1, s9
	s_mov_b32 s1, exec_lo
	s_barrier
	buffer_gl0_inv
	v_cmpx_eq_u32_e32 0, v44
	s_cbranch_execz .LBB197_551
; %bb.550:
	s_ashr_i32 s3, s2, 31
	s_mul_i32 s12, s7, s6
	s_lshl_b64 s[4:5], s[2:3], 2
	v_mov_b32_e32 v2, 0
	s_add_u32 s3, s26, s4
	s_addc_u32 s6, s27, s5
	s_ashr_i32 s13, s12, 31
	s_lshl_b64 s[12:13], s[12:13], 2
	s_add_u32 s3, s3, s12
	s_addc_u32 s6, s6, s13
	s_ashr_i32 s9, s8, 31
	s_lshl_b64 s[26:27], s[8:9], 2
	s_add_u32 s42, s3, s26
	s_addc_u32 s43, s6, s27
	s_add_u32 s3, s24, s4
	s_addc_u32 s4, s25, s5
	;; [unrolled: 2-line block ×4, first 2 shown]
	global_store_dword v2, v0, s[42:43]
	global_store_dword v2, v1, s[4:5]
.LBB197_551:
	s_or_b32 exec_lo, exec_lo, s1
	v_mov_b32_e32 v42, 0
	v_and_b32_e32 v27, 1, v44
	v_mov_b32_e32 v43, 0
	v_mov_b32_e32 v41, 0
	;; [unrolled: 1-line block ×15, first 2 shown]
	s_and_saveexec_b32 s1, s0
	s_cbranch_execz .LBB197_1101
; %bb.552:
	s_sub_i32 s3, s40, s21
	s_ashr_i32 s0, s18, 31
	s_add_u32 s6, s38, s18
	s_addc_u32 s0, s39, s0
	s_abs_i32 s4, s22
	v_and_b32_e32 v2, 0x7c, v12
	v_cvt_f32_u32_e32 v0, s4
	s_sub_i32 s5, 0, s4
	v_lshlrev_b32_e32 v4, 4, v27
	s_lshl_b64 s[12:13], s[36:37], 2
	v_add_co_u32 v11, s6, s6, v2
	v_rcp_iflag_f32_e32 v3, v0
	v_lshlrev_b64 v[0:1], 2, v[49:50]
	v_lshl_or_b32 v4, v18, 5, v4
	v_mov_b32_e32 v117, v44
	v_and_b32_e32 v44, 4, v12
	v_add_co_ci_u32_e64 v12, null, s0, 0, s6
	v_mov_b32_e32 v6, 0
	v_mov_b32_e32 v45, 0x80
	v_bfrev_b32_e32 v8, 1
	v_mul_f32_e32 v3, 0x4f7ffffe, v3
	v_mov_b32_e32 v46, 0xffff
	v_mov_b32_e32 v10, 0x7f800001
	;; [unrolled: 1-line block ×4, first 2 shown]
	v_cvt_u32_f32_e32 v3, v3
	v_mov_b32_e32 v50, 24
	v_mov_b32_e32 v28, 0
	;; [unrolled: 1-line block ×4, first 2 shown]
	v_mul_lo_u32 v5, s5, v3
	s_add_i32 s5, s33, -1
	s_add_u32 s0, s34, s12
	s_addc_u32 s6, s35, s13
	v_add_co_u32 v13, vcc_lo, s0, v0
	v_mov_b32_e32 v31, 0
	v_mov_b32_e32 v32, 0
	v_mul_hi_u32 v2, v3, v5
	v_mov_b32_e32 v33, 0
	v_mov_b32_e32 v34, 0
	;; [unrolled: 1-line block ×3, first 2 shown]
	v_add_co_ci_u32_e64 v14, null, s6, v1, vcc_lo
	v_add_nc_u32_e32 v51, 0x420, v4
	v_mov_b32_e32 v35, 0
	v_add_nc_u32_e32 v52, v3, v2
	v_mov_b32_e32 v36, 0
	v_mov_b32_e32 v37, 0
	;; [unrolled: 1-line block ×8, first 2 shown]
	s_mov_b32 s9, s17
	s_mov_b32 s6, 0
	s_branch .LBB197_555
.LBB197_553:                            ;   in Loop: Header=BB197_555 Depth=1
	s_or_b32 exec_lo, exec_lo, s0
	v_mul_f32_e32 v16, v1, v114
	v_mul_f32_e32 v17, v1, v112
	;; [unrolled: 1-line block ×5, first 2 shown]
	v_fmac_f32_e32 v16, v2, v113
	v_fmac_f32_e32 v17, v2, v0
	;; [unrolled: 1-line block ×3, first 2 shown]
	v_mul_f32_e32 v0, v1, v94
	v_fmac_f32_e32 v19, v2, v105
	v_fmac_f32_e32 v16, v3, v24
	v_fmac_f32_e32 v17, v3, v111
	v_fmac_f32_e32 v18, v3, v108
	v_fmac_f32_e32 v0, v2, v93
	v_fmac_f32_e32 v19, v3, v104
	v_fmac_f32_e32 v16, v4, v23
	v_fmac_f32_e32 v17, v4, v61
	v_fmac_f32_e32 v18, v4, v107
	v_fmac_f32_e32 v0, v3, v92
	v_fmac_f32_e32 v19, v4, v103
	v_add_f32_e32 v29, v29, v16
	v_add_f32_e32 v30, v30, v17
	;; [unrolled: 1-line block ×3, first 2 shown]
	v_mul_f32_e32 v16, v1, v90
	v_mul_f32_e32 v17, v1, v86
	;; [unrolled: 1-line block ×3, first 2 shown]
	v_fmac_f32_e32 v0, v4, v91
	v_mul_f32_e32 v21, v1, v98
	v_fmac_f32_e32 v16, v2, v89
	v_fmac_f32_e32 v17, v2, v85
	;; [unrolled: 1-line block ×3, first 2 shown]
	v_add_f32_e32 v32, v32, v19
	v_mul_f32_e32 v19, v1, v78
	v_fmac_f32_e32 v16, v3, v88
	v_fmac_f32_e32 v17, v3, v84
	;; [unrolled: 1-line block ×3, first 2 shown]
	v_add_f32_e32 v35, v35, v0
	v_mul_f32_e32 v0, v1, v74
	v_fmac_f32_e32 v16, v4, v87
	v_fmac_f32_e32 v17, v4, v83
	;; [unrolled: 1-line block ×5, first 2 shown]
	v_add_f32_e32 v36, v36, v16
	v_add_f32_e32 v37, v37, v17
	;; [unrolled: 1-line block ×3, first 2 shown]
	v_mul_f32_e32 v16, v1, v70
	v_mul_f32_e32 v17, v1, v66
	;; [unrolled: 1-line block ×4, first 2 shown]
	v_fmac_f32_e32 v19, v2, v77
	v_fmac_f32_e32 v0, v2, v73
	;; [unrolled: 1-line block ×22, first 2 shown]
	v_add_f32_e32 v33, v33, v20
	v_add_f32_e32 v34, v34, v21
	;; [unrolled: 1-line block ×8, first 2 shown]
.LBB197_554:                            ;   in Loop: Header=BB197_555 Depth=1
	s_or_b32 exec_lo, exec_lo, s12
	v_add_nc_u32_e32 v49, 4, v49
	v_add_co_u32 v13, s0, v13, 16
	v_add_co_ci_u32_e64 v14, null, 0, v14, s0
	v_cmp_le_i32_e32 vcc_lo, s20, v49
	v_add_nc_u32_e32 v62, 32, v62
	v_add_nc_u32_e32 v51, 0x80, v51
	s_or_b32 s6, vcc_lo, s6
	s_andn2_b32 exec_lo, exec_lo, s6
	s_cbranch_execz .LBB197_1100
.LBB197_555:                            ; =>This Inner Loop Header: Depth=1
	v_sub_nc_u32_e32 v0, 0, v62
	v_max_i32_e32 v0, v62, v0
	v_mul_hi_u32 v1, v0, s16
	v_mul_lo_u32 v2, v1, s11
	v_sub_nc_u32_e32 v0, v0, v2
	v_add_nc_u32_e32 v2, 1, v1
	v_subrev_nc_u32_e32 v3, s11, v0
	v_cmp_le_u32_e32 vcc_lo, s11, v0
	v_cndmask_b32_e32 v1, v1, v2, vcc_lo
	v_cndmask_b32_e32 v0, v0, v3, vcc_lo
	v_ashrrev_i32_e32 v2, 31, v62
	v_add_nc_u32_e32 v3, 1, v1
	v_cmp_le_u32_e32 vcc_lo, s11, v0
	v_xor_b32_e32 v2, s23, v2
	v_cndmask_b32_e32 v0, v1, v3, vcc_lo
	v_xor_b32_e32 v0, v0, v2
	v_sub_nc_u32_e32 v0, v0, v2
	v_add_nc_u32_e32 v1, s19, v0
	v_cmp_lt_i32_e64 s0, s3, v0
	v_sub_nc_u32_e32 v2, 0, v1
	v_max_i32_e32 v2, v1, v2
	v_ashrrev_i32_e32 v1, 31, v1
	v_mul_hi_u32 v3, v2, v52
	v_mul_lo_u32 v3, v3, s4
	v_sub_nc_u32_e32 v2, v2, v3
	v_subrev_nc_u32_e32 v3, s4, v2
	v_cmp_le_u32_e32 vcc_lo, s4, v2
	v_cndmask_b32_e32 v2, v2, v3, vcc_lo
	v_subrev_nc_u32_e32 v3, s4, v2
	v_cmp_le_u32_e32 vcc_lo, s4, v2
	v_cndmask_b32_e32 v2, v2, v3, vcc_lo
	v_xor_b32_e32 v2, v2, v1
	v_sub_nc_u32_e32 v1, v2, v1
	v_cmp_eq_u32_e32 vcc_lo, 0, v1
	s_or_b32 s0, vcc_lo, s0
	s_and_saveexec_b32 s12, s0
	s_cbranch_execz .LBB197_554
; %bb.556:                              ;   in Loop: Header=BB197_555 Depth=1
	global_load_dword v0, v[13:14], off
	ds_read_b128 v[1:4], v51
	s_load_dword s13, s[14:15], 0x0
	v_mov_b32_e32 v19, 0
	v_mov_b32_e32 v17, 0
	;; [unrolled: 1-line block ×4, first 2 shown]
	s_waitcnt vmcnt(0)
	v_mad_i64_i32 v[15:16], null, v0, s9, v[11:12]
	global_load_dword v0, v[15:16], off
	s_waitcnt vmcnt(0)
	v_cmp_ne_u16_sdwa s17, v0, v6 src0_sel:BYTE_0 src1_sel:DWORD
	s_and_saveexec_b32 s0, s17
	s_cbranch_execz .LBB197_564
; %bb.557:                              ;   in Loop: Header=BB197_555 Depth=1
	v_bfrev_b32_e32 v17, 1
	v_mov_b32_e32 v18, 0
	v_cmp_ne_u16_sdwa s18, v0, v45 src0_sel:BYTE_0 src1_sel:DWORD
	s_and_saveexec_b32 s17, s18
	s_cbranch_execz .LBB197_563
; %bb.558:                              ;   in Loop: Header=BB197_555 Depth=1
	v_mov_b32_e32 v17, 0x7f800001
	v_and_b32_e32 v9, 0x7f, v0
	v_mov_b32_e32 v18, 0
	s_mov_b32 s18, exec_lo
	v_cmpx_ne_u32_e32 0x7f, v9
	s_cbranch_execz .LBB197_562
; %bb.559:                              ;   in Loop: Header=BB197_555 Depth=1
	v_and_b32_e32 v5, 7, v0
	v_lshrrev_b32_e32 v7, 3, v9
	s_mov_b32 s21, exec_lo
	v_cmpx_gt_u32_e32 8, v9
; %bb.560:                              ;   in Loop: Header=BB197_555 Depth=1
	v_ffbh_u32_e32 v7, v5
	v_min_u32_e32 v7, 32, v7
	v_subrev_nc_u32_e32 v9, 28, v7
	v_sub_nc_u32_e32 v7, 29, v7
	v_lshlrev_b64 v[17:18], v9, v[5:6]
	v_and_b32_e32 v5, 7, v17
; %bb.561:                              ;   in Loop: Header=BB197_555 Depth=1
	s_or_b32 exec_lo, exec_lo, s21
	v_lshlrev_b32_e32 v9, 24, v0
	v_lshlrev_b32_e32 v5, 20, v5
	v_lshl_add_u32 v7, v7, 23, 0x3c000000
	v_and_b32_e32 v9, 0x80000000, v9
	v_or3_b32 v5, v5, v9, v7
	v_mov_b32_e32 v18, v6
	v_mov_b32_e32 v17, v5
.LBB197_562:                            ;   in Loop: Header=BB197_555 Depth=1
	s_or_b32 exec_lo, exec_lo, s18
.LBB197_563:                            ;   in Loop: Header=BB197_555 Depth=1
	s_or_b32 exec_lo, exec_lo, s17
.LBB197_564:                            ;   in Loop: Header=BB197_555 Depth=1
	s_or_b32 exec_lo, exec_lo, s0
	v_cmp_ne_u16_sdwa s17, v0, v6 src0_sel:BYTE_1 src1_sel:DWORD
	s_and_saveexec_b32 s0, s17
	s_cbranch_execz .LBB197_572
; %bb.565:                              ;   in Loop: Header=BB197_555 Depth=1
	v_mov_b32_e32 v7, v6
	v_mov_b32_e32 v20, v8
	v_cmp_ne_u16_sdwa s18, v0, v45 src0_sel:BYTE_1 src1_sel:DWORD
	v_mov_b32_e32 v19, v7
	s_and_saveexec_b32 s17, s18
	s_cbranch_execz .LBB197_571
; %bb.566:                              ;   in Loop: Header=BB197_555 Depth=1
	v_and_b32_sdwa v5, v46, v0 dst_sel:DWORD dst_unused:UNUSED_PAD src0_sel:DWORD src1_sel:BYTE_1
	v_mov_b32_e32 v9, v6
	v_mov_b32_e32 v20, v10
	s_mov_b32 s18, exec_lo
	v_and_b32_e32 v21, 0x7f, v5
	v_mov_b32_e32 v19, v9
	v_cmpx_ne_u32_e32 0x7f, v21
	s_cbranch_execz .LBB197_570
; %bb.567:                              ;   in Loop: Header=BB197_555 Depth=1
	v_and_b32_e32 v5, 7, v5
	v_lshrrev_b32_e32 v7, 3, v21
	s_mov_b32 s21, exec_lo
	v_cmpx_gt_u32_e32 8, v21
; %bb.568:                              ;   in Loop: Header=BB197_555 Depth=1
	v_ffbh_u32_e32 v7, v5
	v_min_u32_e32 v7, 32, v7
	v_subrev_nc_u32_e32 v9, 28, v7
	v_sub_nc_u32_e32 v7, 29, v7
	v_lshlrev_b64 v[19:20], v9, v[5:6]
	v_and_b32_e32 v5, 7, v19
; %bb.569:                              ;   in Loop: Header=BB197_555 Depth=1
	s_or_b32 exec_lo, exec_lo, s21
	v_lshlrev_b32_e32 v9, 16, v0
	v_lshlrev_b32_e32 v5, 20, v5
	v_lshl_add_u32 v7, v7, 23, 0x3c000000
	v_mov_b32_e32 v19, v6
	v_and_b32_e32 v9, 0x80000000, v9
	v_or3_b32 v20, v5, v9, v7
.LBB197_570:                            ;   in Loop: Header=BB197_555 Depth=1
	s_or_b32 exec_lo, exec_lo, s18
.LBB197_571:                            ;   in Loop: Header=BB197_555 Depth=1
	s_or_b32 exec_lo, exec_lo, s17
.LBB197_572:                            ;   in Loop: Header=BB197_555 Depth=1
	s_or_b32 exec_lo, exec_lo, s0
	v_mov_b32_e32 v23, 0
	v_mov_b32_e32 v21, 0
	v_and_b32_sdwa v5, v0, v47 dst_sel:DWORD dst_unused:UNUSED_PAD src0_sel:WORD_1 src1_sel:DWORD
	v_mov_b32_e32 v24, 0
	v_mov_b32_e32 v22, 0
	s_mov_b32 s0, exec_lo
	v_cmpx_ne_u16_e32 0, v5
	s_cbranch_execz .LBB197_580
; %bb.573:                              ;   in Loop: Header=BB197_555 Depth=1
	v_bfrev_b32_e32 v21, 1
	v_mov_b32_e32 v22, 0
	s_mov_b32 s17, exec_lo
	v_cmpx_ne_u16_e32 0x80, v5
	s_cbranch_execz .LBB197_579
; %bb.574:                              ;   in Loop: Header=BB197_555 Depth=1
	v_mov_b32_e32 v21, 0x7f800001
	v_bfe_u32 v9, v0, 16, 7
	v_mov_b32_e32 v22, 0
	s_mov_b32 s18, exec_lo
	v_cmpx_ne_u32_e32 0x7f, v9
	s_cbranch_execz .LBB197_578
; %bb.575:                              ;   in Loop: Header=BB197_555 Depth=1
	v_and_b32_sdwa v5, v0, v48 dst_sel:DWORD dst_unused:UNUSED_PAD src0_sel:WORD_1 src1_sel:DWORD
	v_lshrrev_b32_e32 v7, 3, v9
	s_mov_b32 s21, exec_lo
	v_cmpx_gt_u32_e32 8, v9
; %bb.576:                              ;   in Loop: Header=BB197_555 Depth=1
	v_ffbh_u32_e32 v7, v5
	v_min_u32_e32 v7, 32, v7
	v_subrev_nc_u32_e32 v9, 28, v7
	v_sub_nc_u32_e32 v7, 29, v7
	v_lshlrev_b64 v[21:22], v9, v[5:6]
	v_and_b32_e32 v5, 7, v21
; %bb.577:                              ;   in Loop: Header=BB197_555 Depth=1
	s_or_b32 exec_lo, exec_lo, s21
	v_lshlrev_b32_sdwa v9, v50, v0 dst_sel:DWORD dst_unused:UNUSED_PAD src0_sel:DWORD src1_sel:WORD_1
	v_lshlrev_b32_e32 v5, 20, v5
	v_lshl_add_u32 v7, v7, 23, 0x3c000000
	v_and_b32_e32 v9, 0x80000000, v9
	v_or3_b32 v5, v5, v9, v7
	v_mov_b32_e32 v22, v6
	v_mov_b32_e32 v21, v5
.LBB197_578:                            ;   in Loop: Header=BB197_555 Depth=1
	s_or_b32 exec_lo, exec_lo, s18
.LBB197_579:                            ;   in Loop: Header=BB197_555 Depth=1
	s_or_b32 exec_lo, exec_lo, s17
.LBB197_580:                            ;   in Loop: Header=BB197_555 Depth=1
	s_or_b32 exec_lo, exec_lo, s0
	s_mov_b32 s0, exec_lo
	v_cmpx_lt_u32_e32 0xffffff, v0
	s_cbranch_execz .LBB197_588
; %bb.581:                              ;   in Loop: Header=BB197_555 Depth=1
	v_mov_b32_e32 v7, v6
	v_mov_b32_e32 v24, v8
	v_cmp_ne_u32_sdwa s18, v0, v45 src0_sel:BYTE_3 src1_sel:DWORD
	v_mov_b32_e32 v23, v7
	s_and_saveexec_b32 s17, s18
	s_cbranch_execz .LBB197_587
; %bb.582:                              ;   in Loop: Header=BB197_555 Depth=1
	v_mov_b32_e32 v9, v6
	v_mov_b32_e32 v24, v10
	v_bfe_u32 v53, v0, 24, 7
	s_mov_b32 s18, exec_lo
	v_mov_b32_e32 v23, v9
	v_cmpx_ne_u32_e32 0x7f, v53
	s_cbranch_execz .LBB197_586
; %bb.583:                              ;   in Loop: Header=BB197_555 Depth=1
	v_and_b32_sdwa v5, v0, v48 dst_sel:DWORD dst_unused:UNUSED_PAD src0_sel:BYTE_3 src1_sel:DWORD
	v_lshrrev_b32_e32 v7, 3, v53
	s_mov_b32 s21, exec_lo
	v_cmpx_gt_u32_e32 8, v53
; %bb.584:                              ;   in Loop: Header=BB197_555 Depth=1
	v_ffbh_u32_e32 v7, v5
	v_min_u32_e32 v7, 32, v7
	v_subrev_nc_u32_e32 v9, 28, v7
	v_sub_nc_u32_e32 v7, 29, v7
	v_lshlrev_b64 v[23:24], v9, v[5:6]
	v_and_b32_e32 v5, 7, v23
; %bb.585:                              ;   in Loop: Header=BB197_555 Depth=1
	s_or_b32 exec_lo, exec_lo, s21
	v_lshlrev_b32_sdwa v0, v50, v0 dst_sel:DWORD dst_unused:UNUSED_PAD src0_sel:DWORD src1_sel:BYTE_3
	v_lshlrev_b32_e32 v5, 20, v5
	v_lshl_add_u32 v7, v7, 23, 0x3c000000
	v_mov_b32_e32 v23, v6
	v_and_b32_e32 v0, 0x80000000, v0
	v_or3_b32 v24, v5, v0, v7
.LBB197_586:                            ;   in Loop: Header=BB197_555 Depth=1
	s_or_b32 exec_lo, exec_lo, s18
.LBB197_587:                            ;   in Loop: Header=BB197_555 Depth=1
	s_or_b32 exec_lo, exec_lo, s17
.LBB197_588:                            ;   in Loop: Header=BB197_555 Depth=1
	s_or_b32 exec_lo, exec_lo, s0
	v_add_nc_u32_e32 v57, v44, v62
	v_or_b32_e32 v0, v20, v18
	v_or_b32_e32 v5, v19, v17
	;; [unrolled: 1-line block ×4, first 2 shown]
	v_cmp_eq_u32_e32 vcc_lo, s5, v49
	s_waitcnt lgkmcnt(0)
	v_mul_f32_e32 v55, s13, v0
	v_mul_f32_e32 v56, s13, v5
	;; [unrolled: 1-line block ×4, first 2 shown]
	v_add_nc_u32_e32 v60, 1, v57
	v_add_nc_u32_e32 v59, 2, v57
	;; [unrolled: 1-line block ×3, first 2 shown]
	s_and_saveexec_b32 s17, vcc_lo
	s_cbranch_execz .LBB197_590
; %bb.589:                              ;   in Loop: Header=BB197_555 Depth=1
	v_cmp_gt_i32_e64 s0, s31, v57
	v_cndmask_b32_e64 v56, 0, v56, s0
	v_cmp_gt_i32_e64 s0, s31, v60
	v_cndmask_b32_e64 v55, 0, v55, s0
	;; [unrolled: 2-line block ×4, first 2 shown]
.LBB197_590:                            ;   in Loop: Header=BB197_555 Depth=1
	s_or_b32 exec_lo, exec_lo, s17
	global_load_dword v0, v[15:16], off offset:128
	v_mov_b32_e32 v19, 0
	v_mov_b32_e32 v17, 0
	;; [unrolled: 1-line block ×4, first 2 shown]
	s_waitcnt vmcnt(0)
	v_cmp_ne_u16_sdwa s0, v0, v6 src0_sel:BYTE_0 src1_sel:DWORD
	s_and_saveexec_b32 s17, s0
	s_cbranch_execz .LBB197_598
; %bb.591:                              ;   in Loop: Header=BB197_555 Depth=1
	v_bfrev_b32_e32 v17, 1
	v_mov_b32_e32 v18, 0
	v_cmp_ne_u16_sdwa s0, v0, v45 src0_sel:BYTE_0 src1_sel:DWORD
	s_and_saveexec_b32 s18, s0
	s_cbranch_execz .LBB197_597
; %bb.592:                              ;   in Loop: Header=BB197_555 Depth=1
	v_mov_b32_e32 v17, 0x7f800001
	v_and_b32_e32 v9, 0x7f, v0
	v_mov_b32_e32 v18, 0
	s_mov_b32 s21, exec_lo
	v_cmpx_ne_u32_e32 0x7f, v9
	s_cbranch_execz .LBB197_596
; %bb.593:                              ;   in Loop: Header=BB197_555 Depth=1
	v_and_b32_e32 v5, 7, v0
	v_lshrrev_b32_e32 v7, 3, v9
	s_mov_b32 s22, exec_lo
	v_cmpx_gt_u32_e32 8, v9
; %bb.594:                              ;   in Loop: Header=BB197_555 Depth=1
	v_ffbh_u32_e32 v7, v5
	v_min_u32_e32 v7, 32, v7
	v_subrev_nc_u32_e32 v9, 28, v7
	v_sub_nc_u32_e32 v7, 29, v7
	v_lshlrev_b64 v[17:18], v9, v[5:6]
	v_and_b32_e32 v5, 7, v17
; %bb.595:                              ;   in Loop: Header=BB197_555 Depth=1
	s_or_b32 exec_lo, exec_lo, s22
	v_lshlrev_b32_e32 v9, 24, v0
	v_lshlrev_b32_e32 v5, 20, v5
	v_lshl_add_u32 v7, v7, 23, 0x3c000000
	v_and_b32_e32 v9, 0x80000000, v9
	v_or3_b32 v5, v5, v9, v7
	v_mov_b32_e32 v18, v6
	v_mov_b32_e32 v17, v5
.LBB197_596:                            ;   in Loop: Header=BB197_555 Depth=1
	s_or_b32 exec_lo, exec_lo, s21
.LBB197_597:                            ;   in Loop: Header=BB197_555 Depth=1
	s_or_b32 exec_lo, exec_lo, s18
.LBB197_598:                            ;   in Loop: Header=BB197_555 Depth=1
	s_or_b32 exec_lo, exec_lo, s17
	v_cmp_ne_u16_sdwa s0, v0, v6 src0_sel:BYTE_1 src1_sel:DWORD
	s_and_saveexec_b32 s17, s0
	s_cbranch_execz .LBB197_606
; %bb.599:                              ;   in Loop: Header=BB197_555 Depth=1
	v_mov_b32_e32 v7, v6
	v_mov_b32_e32 v20, v8
	v_cmp_ne_u16_sdwa s0, v0, v45 src0_sel:BYTE_1 src1_sel:DWORD
	v_mov_b32_e32 v19, v7
	s_and_saveexec_b32 s18, s0
	s_cbranch_execz .LBB197_605
; %bb.600:                              ;   in Loop: Header=BB197_555 Depth=1
	v_and_b32_sdwa v5, v46, v0 dst_sel:DWORD dst_unused:UNUSED_PAD src0_sel:DWORD src1_sel:BYTE_1
	v_mov_b32_e32 v9, v6
	v_mov_b32_e32 v20, v10
	s_mov_b32 s21, exec_lo
	v_and_b32_e32 v21, 0x7f, v5
	v_mov_b32_e32 v19, v9
	v_cmpx_ne_u32_e32 0x7f, v21
	s_cbranch_execz .LBB197_604
; %bb.601:                              ;   in Loop: Header=BB197_555 Depth=1
	v_and_b32_e32 v5, 7, v5
	v_lshrrev_b32_e32 v7, 3, v21
	s_mov_b32 s22, exec_lo
	v_cmpx_gt_u32_e32 8, v21
; %bb.602:                              ;   in Loop: Header=BB197_555 Depth=1
	v_ffbh_u32_e32 v7, v5
	v_min_u32_e32 v7, 32, v7
	v_subrev_nc_u32_e32 v9, 28, v7
	v_sub_nc_u32_e32 v7, 29, v7
	v_lshlrev_b64 v[19:20], v9, v[5:6]
	v_and_b32_e32 v5, 7, v19
; %bb.603:                              ;   in Loop: Header=BB197_555 Depth=1
	s_or_b32 exec_lo, exec_lo, s22
	v_lshlrev_b32_e32 v9, 16, v0
	v_lshlrev_b32_e32 v5, 20, v5
	v_lshl_add_u32 v7, v7, 23, 0x3c000000
	v_mov_b32_e32 v19, v6
	v_and_b32_e32 v9, 0x80000000, v9
	v_or3_b32 v20, v5, v9, v7
.LBB197_604:                            ;   in Loop: Header=BB197_555 Depth=1
	s_or_b32 exec_lo, exec_lo, s21
.LBB197_605:                            ;   in Loop: Header=BB197_555 Depth=1
	s_or_b32 exec_lo, exec_lo, s18
.LBB197_606:                            ;   in Loop: Header=BB197_555 Depth=1
	s_or_b32 exec_lo, exec_lo, s17
	v_mov_b32_e32 v23, 0
	v_mov_b32_e32 v21, 0
	v_and_b32_sdwa v5, v0, v47 dst_sel:DWORD dst_unused:UNUSED_PAD src0_sel:WORD_1 src1_sel:DWORD
	v_mov_b32_e32 v24, 0
	v_mov_b32_e32 v22, 0
	s_mov_b32 s17, exec_lo
	v_cmpx_ne_u16_e32 0, v5
	s_cbranch_execz .LBB197_614
; %bb.607:                              ;   in Loop: Header=BB197_555 Depth=1
	v_bfrev_b32_e32 v21, 1
	v_mov_b32_e32 v22, 0
	s_mov_b32 s18, exec_lo
	v_cmpx_ne_u16_e32 0x80, v5
	s_cbranch_execz .LBB197_613
; %bb.608:                              ;   in Loop: Header=BB197_555 Depth=1
	v_mov_b32_e32 v21, 0x7f800001
	v_bfe_u32 v9, v0, 16, 7
	v_mov_b32_e32 v22, 0
	s_mov_b32 s21, exec_lo
	v_cmpx_ne_u32_e32 0x7f, v9
	s_cbranch_execz .LBB197_612
; %bb.609:                              ;   in Loop: Header=BB197_555 Depth=1
	v_and_b32_sdwa v5, v0, v48 dst_sel:DWORD dst_unused:UNUSED_PAD src0_sel:WORD_1 src1_sel:DWORD
	v_lshrrev_b32_e32 v7, 3, v9
	s_mov_b32 s22, exec_lo
	v_cmpx_gt_u32_e32 8, v9
; %bb.610:                              ;   in Loop: Header=BB197_555 Depth=1
	v_ffbh_u32_e32 v7, v5
	v_min_u32_e32 v7, 32, v7
	v_subrev_nc_u32_e32 v9, 28, v7
	v_sub_nc_u32_e32 v7, 29, v7
	v_lshlrev_b64 v[21:22], v9, v[5:6]
	v_and_b32_e32 v5, 7, v21
; %bb.611:                              ;   in Loop: Header=BB197_555 Depth=1
	s_or_b32 exec_lo, exec_lo, s22
	v_lshlrev_b32_sdwa v9, v50, v0 dst_sel:DWORD dst_unused:UNUSED_PAD src0_sel:DWORD src1_sel:WORD_1
	v_lshlrev_b32_e32 v5, 20, v5
	v_lshl_add_u32 v7, v7, 23, 0x3c000000
	v_and_b32_e32 v9, 0x80000000, v9
	v_or3_b32 v5, v5, v9, v7
	v_mov_b32_e32 v22, v6
	v_mov_b32_e32 v21, v5
.LBB197_612:                            ;   in Loop: Header=BB197_555 Depth=1
	s_or_b32 exec_lo, exec_lo, s21
.LBB197_613:                            ;   in Loop: Header=BB197_555 Depth=1
	s_or_b32 exec_lo, exec_lo, s18
.LBB197_614:                            ;   in Loop: Header=BB197_555 Depth=1
	s_or_b32 exec_lo, exec_lo, s17
	s_mov_b32 s17, exec_lo
	v_cmpx_lt_u32_e32 0xffffff, v0
	s_cbranch_execz .LBB197_622
; %bb.615:                              ;   in Loop: Header=BB197_555 Depth=1
	v_mov_b32_e32 v7, v6
	v_mov_b32_e32 v24, v8
	v_cmp_ne_u32_sdwa s0, v0, v45 src0_sel:BYTE_3 src1_sel:DWORD
	v_mov_b32_e32 v23, v7
	s_and_saveexec_b32 s18, s0
	s_cbranch_execz .LBB197_621
; %bb.616:                              ;   in Loop: Header=BB197_555 Depth=1
	v_mov_b32_e32 v9, v6
	v_mov_b32_e32 v24, v10
	v_bfe_u32 v61, v0, 24, 7
	s_mov_b32 s21, exec_lo
	v_mov_b32_e32 v23, v9
	v_cmpx_ne_u32_e32 0x7f, v61
	s_cbranch_execz .LBB197_620
; %bb.617:                              ;   in Loop: Header=BB197_555 Depth=1
	v_and_b32_sdwa v5, v0, v48 dst_sel:DWORD dst_unused:UNUSED_PAD src0_sel:BYTE_3 src1_sel:DWORD
	v_lshrrev_b32_e32 v7, 3, v61
	s_mov_b32 s22, exec_lo
	v_cmpx_gt_u32_e32 8, v61
; %bb.618:                              ;   in Loop: Header=BB197_555 Depth=1
	v_ffbh_u32_e32 v7, v5
	v_min_u32_e32 v7, 32, v7
	v_subrev_nc_u32_e32 v9, 28, v7
	v_sub_nc_u32_e32 v7, 29, v7
	v_lshlrev_b64 v[23:24], v9, v[5:6]
	v_and_b32_e32 v5, 7, v23
; %bb.619:                              ;   in Loop: Header=BB197_555 Depth=1
	s_or_b32 exec_lo, exec_lo, s22
	v_lshlrev_b32_sdwa v0, v50, v0 dst_sel:DWORD dst_unused:UNUSED_PAD src0_sel:DWORD src1_sel:BYTE_3
	v_lshlrev_b32_e32 v5, 20, v5
	v_lshl_add_u32 v7, v7, 23, 0x3c000000
	v_mov_b32_e32 v23, v6
	v_and_b32_e32 v0, 0x80000000, v0
	v_or3_b32 v24, v5, v0, v7
.LBB197_620:                            ;   in Loop: Header=BB197_555 Depth=1
	s_or_b32 exec_lo, exec_lo, s21
.LBB197_621:                            ;   in Loop: Header=BB197_555 Depth=1
	s_or_b32 exec_lo, exec_lo, s18
.LBB197_622:                            ;   in Loop: Header=BB197_555 Depth=1
	s_or_b32 exec_lo, exec_lo, s17
	v_or_b32_e32 v0, v20, v18
	v_or_b32_e32 v5, v19, v17
	;; [unrolled: 1-line block ×4, first 2 shown]
	s_mov_b32 s17, s13
	v_mul_f32_e32 v65, s17, v0
	v_mul_f32_e32 v66, s13, v5
	;; [unrolled: 1-line block ×4, first 2 shown]
	s_and_saveexec_b32 s18, vcc_lo
	s_cbranch_execz .LBB197_624
; %bb.623:                              ;   in Loop: Header=BB197_555 Depth=1
	v_cmp_gt_i32_e64 s0, s31, v57
	v_cndmask_b32_e64 v66, 0, v66, s0
	v_cmp_gt_i32_e64 s0, s31, v60
	v_cndmask_b32_e64 v65, 0, v65, s0
	;; [unrolled: 2-line block ×4, first 2 shown]
.LBB197_624:                            ;   in Loop: Header=BB197_555 Depth=1
	s_or_b32 exec_lo, exec_lo, s18
	global_load_dword v0, v[15:16], off offset:256
	v_mov_b32_e32 v19, 0
	v_mov_b32_e32 v17, 0
	;; [unrolled: 1-line block ×4, first 2 shown]
	s_waitcnt vmcnt(0)
	v_cmp_ne_u16_sdwa s0, v0, v6 src0_sel:BYTE_0 src1_sel:DWORD
	s_and_saveexec_b32 s18, s0
	s_cbranch_execz .LBB197_632
; %bb.625:                              ;   in Loop: Header=BB197_555 Depth=1
	v_bfrev_b32_e32 v17, 1
	v_mov_b32_e32 v18, 0
	v_cmp_ne_u16_sdwa s0, v0, v45 src0_sel:BYTE_0 src1_sel:DWORD
	s_and_saveexec_b32 s21, s0
	s_cbranch_execz .LBB197_631
; %bb.626:                              ;   in Loop: Header=BB197_555 Depth=1
	v_mov_b32_e32 v17, 0x7f800001
	v_and_b32_e32 v9, 0x7f, v0
	v_mov_b32_e32 v18, 0
	s_mov_b32 s22, exec_lo
	v_cmpx_ne_u32_e32 0x7f, v9
	s_cbranch_execz .LBB197_630
; %bb.627:                              ;   in Loop: Header=BB197_555 Depth=1
	v_and_b32_e32 v5, 7, v0
	v_lshrrev_b32_e32 v7, 3, v9
	s_mov_b32 s24, exec_lo
	v_cmpx_gt_u32_e32 8, v9
; %bb.628:                              ;   in Loop: Header=BB197_555 Depth=1
	v_ffbh_u32_e32 v7, v5
	v_min_u32_e32 v7, 32, v7
	v_subrev_nc_u32_e32 v9, 28, v7
	v_sub_nc_u32_e32 v7, 29, v7
	v_lshlrev_b64 v[17:18], v9, v[5:6]
	v_and_b32_e32 v5, 7, v17
; %bb.629:                              ;   in Loop: Header=BB197_555 Depth=1
	s_or_b32 exec_lo, exec_lo, s24
	v_lshlrev_b32_e32 v9, 24, v0
	v_lshlrev_b32_e32 v5, 20, v5
	v_lshl_add_u32 v7, v7, 23, 0x3c000000
	v_and_b32_e32 v9, 0x80000000, v9
	v_or3_b32 v5, v5, v9, v7
	v_mov_b32_e32 v18, v6
	v_mov_b32_e32 v17, v5
.LBB197_630:                            ;   in Loop: Header=BB197_555 Depth=1
	s_or_b32 exec_lo, exec_lo, s22
.LBB197_631:                            ;   in Loop: Header=BB197_555 Depth=1
	s_or_b32 exec_lo, exec_lo, s21
.LBB197_632:                            ;   in Loop: Header=BB197_555 Depth=1
	s_or_b32 exec_lo, exec_lo, s18
	v_cmp_ne_u16_sdwa s0, v0, v6 src0_sel:BYTE_1 src1_sel:DWORD
	s_and_saveexec_b32 s18, s0
	s_cbranch_execz .LBB197_640
; %bb.633:                              ;   in Loop: Header=BB197_555 Depth=1
	v_mov_b32_e32 v7, v6
	v_mov_b32_e32 v20, v8
	v_cmp_ne_u16_sdwa s0, v0, v45 src0_sel:BYTE_1 src1_sel:DWORD
	v_mov_b32_e32 v19, v7
	s_and_saveexec_b32 s21, s0
	s_cbranch_execz .LBB197_639
; %bb.634:                              ;   in Loop: Header=BB197_555 Depth=1
	v_and_b32_sdwa v5, v46, v0 dst_sel:DWORD dst_unused:UNUSED_PAD src0_sel:DWORD src1_sel:BYTE_1
	v_mov_b32_e32 v9, v6
	v_mov_b32_e32 v20, v10
	s_mov_b32 s22, exec_lo
	v_and_b32_e32 v21, 0x7f, v5
	v_mov_b32_e32 v19, v9
	v_cmpx_ne_u32_e32 0x7f, v21
	s_cbranch_execz .LBB197_638
; %bb.635:                              ;   in Loop: Header=BB197_555 Depth=1
	v_and_b32_e32 v5, 7, v5
	v_lshrrev_b32_e32 v7, 3, v21
	s_mov_b32 s24, exec_lo
	v_cmpx_gt_u32_e32 8, v21
; %bb.636:                              ;   in Loop: Header=BB197_555 Depth=1
	v_ffbh_u32_e32 v7, v5
	v_min_u32_e32 v7, 32, v7
	v_subrev_nc_u32_e32 v9, 28, v7
	v_sub_nc_u32_e32 v7, 29, v7
	v_lshlrev_b64 v[19:20], v9, v[5:6]
	v_and_b32_e32 v5, 7, v19
; %bb.637:                              ;   in Loop: Header=BB197_555 Depth=1
	s_or_b32 exec_lo, exec_lo, s24
	v_lshlrev_b32_e32 v9, 16, v0
	v_lshlrev_b32_e32 v5, 20, v5
	v_lshl_add_u32 v7, v7, 23, 0x3c000000
	v_mov_b32_e32 v19, v6
	v_and_b32_e32 v9, 0x80000000, v9
	v_or3_b32 v20, v5, v9, v7
.LBB197_638:                            ;   in Loop: Header=BB197_555 Depth=1
	s_or_b32 exec_lo, exec_lo, s22
.LBB197_639:                            ;   in Loop: Header=BB197_555 Depth=1
	s_or_b32 exec_lo, exec_lo, s21
.LBB197_640:                            ;   in Loop: Header=BB197_555 Depth=1
	s_or_b32 exec_lo, exec_lo, s18
	v_mov_b32_e32 v23, 0
	v_mov_b32_e32 v21, 0
	v_and_b32_sdwa v5, v0, v47 dst_sel:DWORD dst_unused:UNUSED_PAD src0_sel:WORD_1 src1_sel:DWORD
	v_mov_b32_e32 v24, 0
	v_mov_b32_e32 v22, 0
	s_mov_b32 s18, exec_lo
	v_cmpx_ne_u16_e32 0, v5
	s_cbranch_execz .LBB197_648
; %bb.641:                              ;   in Loop: Header=BB197_555 Depth=1
	v_bfrev_b32_e32 v21, 1
	v_mov_b32_e32 v22, 0
	s_mov_b32 s21, exec_lo
	v_cmpx_ne_u16_e32 0x80, v5
	s_cbranch_execz .LBB197_647
; %bb.642:                              ;   in Loop: Header=BB197_555 Depth=1
	v_mov_b32_e32 v21, 0x7f800001
	v_bfe_u32 v9, v0, 16, 7
	v_mov_b32_e32 v22, 0
	s_mov_b32 s22, exec_lo
	v_cmpx_ne_u32_e32 0x7f, v9
	s_cbranch_execz .LBB197_646
; %bb.643:                              ;   in Loop: Header=BB197_555 Depth=1
	v_and_b32_sdwa v5, v0, v48 dst_sel:DWORD dst_unused:UNUSED_PAD src0_sel:WORD_1 src1_sel:DWORD
	v_lshrrev_b32_e32 v7, 3, v9
	s_mov_b32 s24, exec_lo
	v_cmpx_gt_u32_e32 8, v9
; %bb.644:                              ;   in Loop: Header=BB197_555 Depth=1
	v_ffbh_u32_e32 v7, v5
	v_min_u32_e32 v7, 32, v7
	v_subrev_nc_u32_e32 v9, 28, v7
	v_sub_nc_u32_e32 v7, 29, v7
	v_lshlrev_b64 v[21:22], v9, v[5:6]
	v_and_b32_e32 v5, 7, v21
; %bb.645:                              ;   in Loop: Header=BB197_555 Depth=1
	s_or_b32 exec_lo, exec_lo, s24
	v_lshlrev_b32_sdwa v9, v50, v0 dst_sel:DWORD dst_unused:UNUSED_PAD src0_sel:DWORD src1_sel:WORD_1
	v_lshlrev_b32_e32 v5, 20, v5
	v_lshl_add_u32 v7, v7, 23, 0x3c000000
	v_and_b32_e32 v9, 0x80000000, v9
	v_or3_b32 v5, v5, v9, v7
	v_mov_b32_e32 v22, v6
	v_mov_b32_e32 v21, v5
.LBB197_646:                            ;   in Loop: Header=BB197_555 Depth=1
	s_or_b32 exec_lo, exec_lo, s22
.LBB197_647:                            ;   in Loop: Header=BB197_555 Depth=1
	s_or_b32 exec_lo, exec_lo, s21
.LBB197_648:                            ;   in Loop: Header=BB197_555 Depth=1
	s_or_b32 exec_lo, exec_lo, s18
	s_mov_b32 s18, exec_lo
	v_cmpx_lt_u32_e32 0xffffff, v0
	s_cbranch_execz .LBB197_656
; %bb.649:                              ;   in Loop: Header=BB197_555 Depth=1
	v_mov_b32_e32 v7, v6
	v_mov_b32_e32 v24, v8
	v_cmp_ne_u32_sdwa s0, v0, v45 src0_sel:BYTE_3 src1_sel:DWORD
	v_mov_b32_e32 v23, v7
	s_and_saveexec_b32 s21, s0
	s_cbranch_execz .LBB197_655
; %bb.650:                              ;   in Loop: Header=BB197_555 Depth=1
	v_mov_b32_e32 v9, v6
	v_mov_b32_e32 v24, v10
	v_bfe_u32 v61, v0, 24, 7
	s_mov_b32 s22, exec_lo
	v_mov_b32_e32 v23, v9
	v_cmpx_ne_u32_e32 0x7f, v61
	s_cbranch_execz .LBB197_654
; %bb.651:                              ;   in Loop: Header=BB197_555 Depth=1
	v_and_b32_sdwa v5, v0, v48 dst_sel:DWORD dst_unused:UNUSED_PAD src0_sel:BYTE_3 src1_sel:DWORD
	v_lshrrev_b32_e32 v7, 3, v61
	s_mov_b32 s24, exec_lo
	v_cmpx_gt_u32_e32 8, v61
; %bb.652:                              ;   in Loop: Header=BB197_555 Depth=1
	v_ffbh_u32_e32 v7, v5
	v_min_u32_e32 v7, 32, v7
	v_subrev_nc_u32_e32 v9, 28, v7
	v_sub_nc_u32_e32 v7, 29, v7
	v_lshlrev_b64 v[23:24], v9, v[5:6]
	v_and_b32_e32 v5, 7, v23
; %bb.653:                              ;   in Loop: Header=BB197_555 Depth=1
	s_or_b32 exec_lo, exec_lo, s24
	v_lshlrev_b32_sdwa v0, v50, v0 dst_sel:DWORD dst_unused:UNUSED_PAD src0_sel:DWORD src1_sel:BYTE_3
	v_lshlrev_b32_e32 v5, 20, v5
	v_lshl_add_u32 v7, v7, 23, 0x3c000000
	v_mov_b32_e32 v23, v6
	v_and_b32_e32 v0, 0x80000000, v0
	v_or3_b32 v24, v5, v0, v7
.LBB197_654:                            ;   in Loop: Header=BB197_555 Depth=1
	s_or_b32 exec_lo, exec_lo, s22
.LBB197_655:                            ;   in Loop: Header=BB197_555 Depth=1
	s_or_b32 exec_lo, exec_lo, s21
.LBB197_656:                            ;   in Loop: Header=BB197_555 Depth=1
	s_or_b32 exec_lo, exec_lo, s18
	v_or_b32_e32 v0, v20, v18
	v_or_b32_e32 v5, v19, v17
	;; [unrolled: 1-line block ×4, first 2 shown]
	v_mul_f32_e32 v69, s17, v0
	v_mul_f32_e32 v70, s13, v5
	v_mul_f32_e32 v68, s13, v7
	v_mul_f32_e32 v67, s17, v9
	s_and_saveexec_b32 s18, vcc_lo
	s_cbranch_execz .LBB197_658
; %bb.657:                              ;   in Loop: Header=BB197_555 Depth=1
	v_cmp_gt_i32_e64 s0, s31, v57
	v_cndmask_b32_e64 v70, 0, v70, s0
	v_cmp_gt_i32_e64 s0, s31, v60
	v_cndmask_b32_e64 v69, 0, v69, s0
	;; [unrolled: 2-line block ×4, first 2 shown]
.LBB197_658:                            ;   in Loop: Header=BB197_555 Depth=1
	s_or_b32 exec_lo, exec_lo, s18
	global_load_dword v0, v[15:16], off offset:384
	v_mov_b32_e32 v19, 0
	v_mov_b32_e32 v17, 0
	v_mov_b32_e32 v20, 0
	v_mov_b32_e32 v18, 0
	s_waitcnt vmcnt(0)
	v_cmp_ne_u16_sdwa s0, v0, v6 src0_sel:BYTE_0 src1_sel:DWORD
	s_and_saveexec_b32 s18, s0
	s_cbranch_execz .LBB197_666
; %bb.659:                              ;   in Loop: Header=BB197_555 Depth=1
	v_bfrev_b32_e32 v17, 1
	v_mov_b32_e32 v18, 0
	v_cmp_ne_u16_sdwa s0, v0, v45 src0_sel:BYTE_0 src1_sel:DWORD
	s_and_saveexec_b32 s21, s0
	s_cbranch_execz .LBB197_665
; %bb.660:                              ;   in Loop: Header=BB197_555 Depth=1
	v_mov_b32_e32 v17, 0x7f800001
	v_and_b32_e32 v9, 0x7f, v0
	v_mov_b32_e32 v18, 0
	s_mov_b32 s22, exec_lo
	v_cmpx_ne_u32_e32 0x7f, v9
	s_cbranch_execz .LBB197_664
; %bb.661:                              ;   in Loop: Header=BB197_555 Depth=1
	v_and_b32_e32 v5, 7, v0
	v_lshrrev_b32_e32 v7, 3, v9
	s_mov_b32 s24, exec_lo
	v_cmpx_gt_u32_e32 8, v9
; %bb.662:                              ;   in Loop: Header=BB197_555 Depth=1
	v_ffbh_u32_e32 v7, v5
	v_min_u32_e32 v7, 32, v7
	v_subrev_nc_u32_e32 v9, 28, v7
	v_sub_nc_u32_e32 v7, 29, v7
	v_lshlrev_b64 v[17:18], v9, v[5:6]
	v_and_b32_e32 v5, 7, v17
; %bb.663:                              ;   in Loop: Header=BB197_555 Depth=1
	s_or_b32 exec_lo, exec_lo, s24
	v_lshlrev_b32_e32 v9, 24, v0
	v_lshlrev_b32_e32 v5, 20, v5
	v_lshl_add_u32 v7, v7, 23, 0x3c000000
	v_and_b32_e32 v9, 0x80000000, v9
	v_or3_b32 v5, v5, v9, v7
	v_mov_b32_e32 v18, v6
	v_mov_b32_e32 v17, v5
.LBB197_664:                            ;   in Loop: Header=BB197_555 Depth=1
	s_or_b32 exec_lo, exec_lo, s22
.LBB197_665:                            ;   in Loop: Header=BB197_555 Depth=1
	s_or_b32 exec_lo, exec_lo, s21
.LBB197_666:                            ;   in Loop: Header=BB197_555 Depth=1
	s_or_b32 exec_lo, exec_lo, s18
	v_cmp_ne_u16_sdwa s0, v0, v6 src0_sel:BYTE_1 src1_sel:DWORD
	s_and_saveexec_b32 s18, s0
	s_cbranch_execz .LBB197_674
; %bb.667:                              ;   in Loop: Header=BB197_555 Depth=1
	v_mov_b32_e32 v7, v6
	v_mov_b32_e32 v20, v8
	v_cmp_ne_u16_sdwa s0, v0, v45 src0_sel:BYTE_1 src1_sel:DWORD
	v_mov_b32_e32 v19, v7
	s_and_saveexec_b32 s21, s0
	s_cbranch_execz .LBB197_673
; %bb.668:                              ;   in Loop: Header=BB197_555 Depth=1
	v_and_b32_sdwa v5, v46, v0 dst_sel:DWORD dst_unused:UNUSED_PAD src0_sel:DWORD src1_sel:BYTE_1
	v_mov_b32_e32 v9, v6
	v_mov_b32_e32 v20, v10
	s_mov_b32 s22, exec_lo
	v_and_b32_e32 v21, 0x7f, v5
	v_mov_b32_e32 v19, v9
	v_cmpx_ne_u32_e32 0x7f, v21
	s_cbranch_execz .LBB197_672
; %bb.669:                              ;   in Loop: Header=BB197_555 Depth=1
	v_and_b32_e32 v5, 7, v5
	v_lshrrev_b32_e32 v7, 3, v21
	s_mov_b32 s24, exec_lo
	v_cmpx_gt_u32_e32 8, v21
; %bb.670:                              ;   in Loop: Header=BB197_555 Depth=1
	v_ffbh_u32_e32 v7, v5
	v_min_u32_e32 v7, 32, v7
	v_subrev_nc_u32_e32 v9, 28, v7
	v_sub_nc_u32_e32 v7, 29, v7
	v_lshlrev_b64 v[19:20], v9, v[5:6]
	v_and_b32_e32 v5, 7, v19
; %bb.671:                              ;   in Loop: Header=BB197_555 Depth=1
	s_or_b32 exec_lo, exec_lo, s24
	v_lshlrev_b32_e32 v9, 16, v0
	v_lshlrev_b32_e32 v5, 20, v5
	v_lshl_add_u32 v7, v7, 23, 0x3c000000
	v_mov_b32_e32 v19, v6
	v_and_b32_e32 v9, 0x80000000, v9
	v_or3_b32 v20, v5, v9, v7
.LBB197_672:                            ;   in Loop: Header=BB197_555 Depth=1
	s_or_b32 exec_lo, exec_lo, s22
.LBB197_673:                            ;   in Loop: Header=BB197_555 Depth=1
	s_or_b32 exec_lo, exec_lo, s21
.LBB197_674:                            ;   in Loop: Header=BB197_555 Depth=1
	s_or_b32 exec_lo, exec_lo, s18
	v_mov_b32_e32 v23, 0
	v_mov_b32_e32 v21, 0
	v_and_b32_sdwa v5, v0, v47 dst_sel:DWORD dst_unused:UNUSED_PAD src0_sel:WORD_1 src1_sel:DWORD
	v_mov_b32_e32 v24, 0
	v_mov_b32_e32 v22, 0
	s_mov_b32 s18, exec_lo
	v_cmpx_ne_u16_e32 0, v5
	s_cbranch_execz .LBB197_682
; %bb.675:                              ;   in Loop: Header=BB197_555 Depth=1
	v_bfrev_b32_e32 v21, 1
	v_mov_b32_e32 v22, 0
	s_mov_b32 s21, exec_lo
	v_cmpx_ne_u16_e32 0x80, v5
	s_cbranch_execz .LBB197_681
; %bb.676:                              ;   in Loop: Header=BB197_555 Depth=1
	v_mov_b32_e32 v21, 0x7f800001
	v_bfe_u32 v9, v0, 16, 7
	v_mov_b32_e32 v22, 0
	s_mov_b32 s22, exec_lo
	v_cmpx_ne_u32_e32 0x7f, v9
	s_cbranch_execz .LBB197_680
; %bb.677:                              ;   in Loop: Header=BB197_555 Depth=1
	v_and_b32_sdwa v5, v0, v48 dst_sel:DWORD dst_unused:UNUSED_PAD src0_sel:WORD_1 src1_sel:DWORD
	v_lshrrev_b32_e32 v7, 3, v9
	s_mov_b32 s24, exec_lo
	v_cmpx_gt_u32_e32 8, v9
; %bb.678:                              ;   in Loop: Header=BB197_555 Depth=1
	v_ffbh_u32_e32 v7, v5
	v_min_u32_e32 v7, 32, v7
	v_subrev_nc_u32_e32 v9, 28, v7
	v_sub_nc_u32_e32 v7, 29, v7
	v_lshlrev_b64 v[21:22], v9, v[5:6]
	v_and_b32_e32 v5, 7, v21
; %bb.679:                              ;   in Loop: Header=BB197_555 Depth=1
	s_or_b32 exec_lo, exec_lo, s24
	v_lshlrev_b32_sdwa v9, v50, v0 dst_sel:DWORD dst_unused:UNUSED_PAD src0_sel:DWORD src1_sel:WORD_1
	v_lshlrev_b32_e32 v5, 20, v5
	v_lshl_add_u32 v7, v7, 23, 0x3c000000
	v_and_b32_e32 v9, 0x80000000, v9
	v_or3_b32 v5, v5, v9, v7
	v_mov_b32_e32 v22, v6
	v_mov_b32_e32 v21, v5
.LBB197_680:                            ;   in Loop: Header=BB197_555 Depth=1
	s_or_b32 exec_lo, exec_lo, s22
.LBB197_681:                            ;   in Loop: Header=BB197_555 Depth=1
	s_or_b32 exec_lo, exec_lo, s21
.LBB197_682:                            ;   in Loop: Header=BB197_555 Depth=1
	s_or_b32 exec_lo, exec_lo, s18
	s_mov_b32 s18, exec_lo
	v_cmpx_lt_u32_e32 0xffffff, v0
	s_cbranch_execz .LBB197_690
; %bb.683:                              ;   in Loop: Header=BB197_555 Depth=1
	v_mov_b32_e32 v7, v6
	v_mov_b32_e32 v24, v8
	v_cmp_ne_u32_sdwa s0, v0, v45 src0_sel:BYTE_3 src1_sel:DWORD
	v_mov_b32_e32 v23, v7
	s_and_saveexec_b32 s21, s0
	s_cbranch_execz .LBB197_689
; %bb.684:                              ;   in Loop: Header=BB197_555 Depth=1
	v_mov_b32_e32 v9, v6
	v_mov_b32_e32 v24, v10
	v_bfe_u32 v61, v0, 24, 7
	s_mov_b32 s22, exec_lo
	v_mov_b32_e32 v23, v9
	v_cmpx_ne_u32_e32 0x7f, v61
	s_cbranch_execz .LBB197_688
; %bb.685:                              ;   in Loop: Header=BB197_555 Depth=1
	v_and_b32_sdwa v5, v0, v48 dst_sel:DWORD dst_unused:UNUSED_PAD src0_sel:BYTE_3 src1_sel:DWORD
	v_lshrrev_b32_e32 v7, 3, v61
	s_mov_b32 s24, exec_lo
	v_cmpx_gt_u32_e32 8, v61
; %bb.686:                              ;   in Loop: Header=BB197_555 Depth=1
	v_ffbh_u32_e32 v7, v5
	v_min_u32_e32 v7, 32, v7
	v_subrev_nc_u32_e32 v9, 28, v7
	v_sub_nc_u32_e32 v7, 29, v7
	v_lshlrev_b64 v[23:24], v9, v[5:6]
	v_and_b32_e32 v5, 7, v23
; %bb.687:                              ;   in Loop: Header=BB197_555 Depth=1
	s_or_b32 exec_lo, exec_lo, s24
	v_lshlrev_b32_sdwa v0, v50, v0 dst_sel:DWORD dst_unused:UNUSED_PAD src0_sel:DWORD src1_sel:BYTE_3
	v_lshlrev_b32_e32 v5, 20, v5
	v_lshl_add_u32 v7, v7, 23, 0x3c000000
	v_mov_b32_e32 v23, v6
	v_and_b32_e32 v0, 0x80000000, v0
	v_or3_b32 v24, v5, v0, v7
.LBB197_688:                            ;   in Loop: Header=BB197_555 Depth=1
	s_or_b32 exec_lo, exec_lo, s22
.LBB197_689:                            ;   in Loop: Header=BB197_555 Depth=1
	s_or_b32 exec_lo, exec_lo, s21
.LBB197_690:                            ;   in Loop: Header=BB197_555 Depth=1
	s_or_b32 exec_lo, exec_lo, s18
	v_or_b32_e32 v0, v20, v18
	v_or_b32_e32 v5, v19, v17
	;; [unrolled: 1-line block ×4, first 2 shown]
	v_mul_f32_e32 v73, s17, v0
	v_mul_f32_e32 v74, s13, v5
	;; [unrolled: 1-line block ×4, first 2 shown]
	s_and_saveexec_b32 s18, vcc_lo
	s_cbranch_execz .LBB197_692
; %bb.691:                              ;   in Loop: Header=BB197_555 Depth=1
	v_cmp_gt_i32_e64 s0, s31, v57
	v_cndmask_b32_e64 v74, 0, v74, s0
	v_cmp_gt_i32_e64 s0, s31, v60
	v_cndmask_b32_e64 v73, 0, v73, s0
	;; [unrolled: 2-line block ×4, first 2 shown]
.LBB197_692:                            ;   in Loop: Header=BB197_555 Depth=1
	s_or_b32 exec_lo, exec_lo, s18
	global_load_dword v0, v[15:16], off offset:512
	v_mov_b32_e32 v19, 0
	v_mov_b32_e32 v17, 0
	;; [unrolled: 1-line block ×4, first 2 shown]
	s_waitcnt vmcnt(0)
	v_cmp_ne_u16_sdwa s0, v0, v6 src0_sel:BYTE_0 src1_sel:DWORD
	s_and_saveexec_b32 s18, s0
	s_cbranch_execz .LBB197_700
; %bb.693:                              ;   in Loop: Header=BB197_555 Depth=1
	v_bfrev_b32_e32 v17, 1
	v_mov_b32_e32 v18, 0
	v_cmp_ne_u16_sdwa s0, v0, v45 src0_sel:BYTE_0 src1_sel:DWORD
	s_and_saveexec_b32 s21, s0
	s_cbranch_execz .LBB197_699
; %bb.694:                              ;   in Loop: Header=BB197_555 Depth=1
	v_mov_b32_e32 v17, 0x7f800001
	v_and_b32_e32 v9, 0x7f, v0
	v_mov_b32_e32 v18, 0
	s_mov_b32 s22, exec_lo
	v_cmpx_ne_u32_e32 0x7f, v9
	s_cbranch_execz .LBB197_698
; %bb.695:                              ;   in Loop: Header=BB197_555 Depth=1
	v_and_b32_e32 v5, 7, v0
	v_lshrrev_b32_e32 v7, 3, v9
	s_mov_b32 s24, exec_lo
	v_cmpx_gt_u32_e32 8, v9
; %bb.696:                              ;   in Loop: Header=BB197_555 Depth=1
	v_ffbh_u32_e32 v7, v5
	v_min_u32_e32 v7, 32, v7
	v_subrev_nc_u32_e32 v9, 28, v7
	v_sub_nc_u32_e32 v7, 29, v7
	v_lshlrev_b64 v[17:18], v9, v[5:6]
	v_and_b32_e32 v5, 7, v17
; %bb.697:                              ;   in Loop: Header=BB197_555 Depth=1
	s_or_b32 exec_lo, exec_lo, s24
	v_lshlrev_b32_e32 v9, 24, v0
	v_lshlrev_b32_e32 v5, 20, v5
	v_lshl_add_u32 v7, v7, 23, 0x3c000000
	v_and_b32_e32 v9, 0x80000000, v9
	v_or3_b32 v5, v5, v9, v7
	v_mov_b32_e32 v18, v6
	v_mov_b32_e32 v17, v5
.LBB197_698:                            ;   in Loop: Header=BB197_555 Depth=1
	s_or_b32 exec_lo, exec_lo, s22
.LBB197_699:                            ;   in Loop: Header=BB197_555 Depth=1
	s_or_b32 exec_lo, exec_lo, s21
.LBB197_700:                            ;   in Loop: Header=BB197_555 Depth=1
	s_or_b32 exec_lo, exec_lo, s18
	v_cmp_ne_u16_sdwa s0, v0, v6 src0_sel:BYTE_1 src1_sel:DWORD
	s_and_saveexec_b32 s18, s0
	s_cbranch_execz .LBB197_708
; %bb.701:                              ;   in Loop: Header=BB197_555 Depth=1
	v_mov_b32_e32 v7, v6
	v_mov_b32_e32 v20, v8
	v_cmp_ne_u16_sdwa s0, v0, v45 src0_sel:BYTE_1 src1_sel:DWORD
	v_mov_b32_e32 v19, v7
	s_and_saveexec_b32 s21, s0
	s_cbranch_execz .LBB197_707
; %bb.702:                              ;   in Loop: Header=BB197_555 Depth=1
	v_and_b32_sdwa v5, v46, v0 dst_sel:DWORD dst_unused:UNUSED_PAD src0_sel:DWORD src1_sel:BYTE_1
	v_mov_b32_e32 v9, v6
	v_mov_b32_e32 v20, v10
	s_mov_b32 s22, exec_lo
	v_and_b32_e32 v21, 0x7f, v5
	v_mov_b32_e32 v19, v9
	v_cmpx_ne_u32_e32 0x7f, v21
	s_cbranch_execz .LBB197_706
; %bb.703:                              ;   in Loop: Header=BB197_555 Depth=1
	v_and_b32_e32 v5, 7, v5
	v_lshrrev_b32_e32 v7, 3, v21
	s_mov_b32 s24, exec_lo
	v_cmpx_gt_u32_e32 8, v21
; %bb.704:                              ;   in Loop: Header=BB197_555 Depth=1
	v_ffbh_u32_e32 v7, v5
	v_min_u32_e32 v7, 32, v7
	v_subrev_nc_u32_e32 v9, 28, v7
	v_sub_nc_u32_e32 v7, 29, v7
	v_lshlrev_b64 v[19:20], v9, v[5:6]
	v_and_b32_e32 v5, 7, v19
; %bb.705:                              ;   in Loop: Header=BB197_555 Depth=1
	s_or_b32 exec_lo, exec_lo, s24
	v_lshlrev_b32_e32 v9, 16, v0
	v_lshlrev_b32_e32 v5, 20, v5
	v_lshl_add_u32 v7, v7, 23, 0x3c000000
	v_mov_b32_e32 v19, v6
	v_and_b32_e32 v9, 0x80000000, v9
	v_or3_b32 v20, v5, v9, v7
.LBB197_706:                            ;   in Loop: Header=BB197_555 Depth=1
	s_or_b32 exec_lo, exec_lo, s22
.LBB197_707:                            ;   in Loop: Header=BB197_555 Depth=1
	s_or_b32 exec_lo, exec_lo, s21
.LBB197_708:                            ;   in Loop: Header=BB197_555 Depth=1
	s_or_b32 exec_lo, exec_lo, s18
	v_mov_b32_e32 v23, 0
	v_mov_b32_e32 v21, 0
	v_and_b32_sdwa v5, v0, v47 dst_sel:DWORD dst_unused:UNUSED_PAD src0_sel:WORD_1 src1_sel:DWORD
	v_mov_b32_e32 v24, 0
	v_mov_b32_e32 v22, 0
	s_mov_b32 s18, exec_lo
	v_cmpx_ne_u16_e32 0, v5
	s_cbranch_execz .LBB197_716
; %bb.709:                              ;   in Loop: Header=BB197_555 Depth=1
	v_bfrev_b32_e32 v21, 1
	v_mov_b32_e32 v22, 0
	s_mov_b32 s21, exec_lo
	v_cmpx_ne_u16_e32 0x80, v5
	s_cbranch_execz .LBB197_715
; %bb.710:                              ;   in Loop: Header=BB197_555 Depth=1
	v_mov_b32_e32 v21, 0x7f800001
	v_bfe_u32 v9, v0, 16, 7
	v_mov_b32_e32 v22, 0
	s_mov_b32 s22, exec_lo
	v_cmpx_ne_u32_e32 0x7f, v9
	s_cbranch_execz .LBB197_714
; %bb.711:                              ;   in Loop: Header=BB197_555 Depth=1
	v_and_b32_sdwa v5, v0, v48 dst_sel:DWORD dst_unused:UNUSED_PAD src0_sel:WORD_1 src1_sel:DWORD
	v_lshrrev_b32_e32 v7, 3, v9
	s_mov_b32 s24, exec_lo
	v_cmpx_gt_u32_e32 8, v9
; %bb.712:                              ;   in Loop: Header=BB197_555 Depth=1
	v_ffbh_u32_e32 v7, v5
	v_min_u32_e32 v7, 32, v7
	v_subrev_nc_u32_e32 v9, 28, v7
	v_sub_nc_u32_e32 v7, 29, v7
	v_lshlrev_b64 v[21:22], v9, v[5:6]
	v_and_b32_e32 v5, 7, v21
; %bb.713:                              ;   in Loop: Header=BB197_555 Depth=1
	s_or_b32 exec_lo, exec_lo, s24
	v_lshlrev_b32_sdwa v9, v50, v0 dst_sel:DWORD dst_unused:UNUSED_PAD src0_sel:DWORD src1_sel:WORD_1
	v_lshlrev_b32_e32 v5, 20, v5
	v_lshl_add_u32 v7, v7, 23, 0x3c000000
	v_and_b32_e32 v9, 0x80000000, v9
	v_or3_b32 v5, v5, v9, v7
	v_mov_b32_e32 v22, v6
	v_mov_b32_e32 v21, v5
.LBB197_714:                            ;   in Loop: Header=BB197_555 Depth=1
	s_or_b32 exec_lo, exec_lo, s22
.LBB197_715:                            ;   in Loop: Header=BB197_555 Depth=1
	s_or_b32 exec_lo, exec_lo, s21
.LBB197_716:                            ;   in Loop: Header=BB197_555 Depth=1
	s_or_b32 exec_lo, exec_lo, s18
	s_mov_b32 s18, exec_lo
	v_cmpx_lt_u32_e32 0xffffff, v0
	s_cbranch_execz .LBB197_724
; %bb.717:                              ;   in Loop: Header=BB197_555 Depth=1
	v_mov_b32_e32 v7, v6
	v_mov_b32_e32 v24, v8
	v_cmp_ne_u32_sdwa s0, v0, v45 src0_sel:BYTE_3 src1_sel:DWORD
	v_mov_b32_e32 v23, v7
	s_and_saveexec_b32 s21, s0
	s_cbranch_execz .LBB197_723
; %bb.718:                              ;   in Loop: Header=BB197_555 Depth=1
	v_mov_b32_e32 v9, v6
	v_mov_b32_e32 v24, v10
	v_bfe_u32 v61, v0, 24, 7
	s_mov_b32 s22, exec_lo
	v_mov_b32_e32 v23, v9
	v_cmpx_ne_u32_e32 0x7f, v61
	s_cbranch_execz .LBB197_722
; %bb.719:                              ;   in Loop: Header=BB197_555 Depth=1
	v_and_b32_sdwa v5, v0, v48 dst_sel:DWORD dst_unused:UNUSED_PAD src0_sel:BYTE_3 src1_sel:DWORD
	v_lshrrev_b32_e32 v7, 3, v61
	s_mov_b32 s24, exec_lo
	v_cmpx_gt_u32_e32 8, v61
; %bb.720:                              ;   in Loop: Header=BB197_555 Depth=1
	v_ffbh_u32_e32 v7, v5
	v_min_u32_e32 v7, 32, v7
	v_subrev_nc_u32_e32 v9, 28, v7
	v_sub_nc_u32_e32 v7, 29, v7
	v_lshlrev_b64 v[23:24], v9, v[5:6]
	v_and_b32_e32 v5, 7, v23
; %bb.721:                              ;   in Loop: Header=BB197_555 Depth=1
	s_or_b32 exec_lo, exec_lo, s24
	v_lshlrev_b32_sdwa v0, v50, v0 dst_sel:DWORD dst_unused:UNUSED_PAD src0_sel:DWORD src1_sel:BYTE_3
	v_lshlrev_b32_e32 v5, 20, v5
	v_lshl_add_u32 v7, v7, 23, 0x3c000000
	v_mov_b32_e32 v23, v6
	v_and_b32_e32 v0, 0x80000000, v0
	v_or3_b32 v24, v5, v0, v7
.LBB197_722:                            ;   in Loop: Header=BB197_555 Depth=1
	s_or_b32 exec_lo, exec_lo, s22
.LBB197_723:                            ;   in Loop: Header=BB197_555 Depth=1
	s_or_b32 exec_lo, exec_lo, s21
.LBB197_724:                            ;   in Loop: Header=BB197_555 Depth=1
	s_or_b32 exec_lo, exec_lo, s18
	v_or_b32_e32 v0, v20, v18
	v_or_b32_e32 v5, v19, v17
	;; [unrolled: 1-line block ×4, first 2 shown]
	v_mul_f32_e32 v77, s17, v0
	v_mul_f32_e32 v78, s13, v5
	;; [unrolled: 1-line block ×4, first 2 shown]
	s_and_saveexec_b32 s18, vcc_lo
	s_cbranch_execz .LBB197_726
; %bb.725:                              ;   in Loop: Header=BB197_555 Depth=1
	v_cmp_gt_i32_e64 s0, s31, v57
	v_cndmask_b32_e64 v78, 0, v78, s0
	v_cmp_gt_i32_e64 s0, s31, v60
	v_cndmask_b32_e64 v77, 0, v77, s0
	;; [unrolled: 2-line block ×4, first 2 shown]
.LBB197_726:                            ;   in Loop: Header=BB197_555 Depth=1
	s_or_b32 exec_lo, exec_lo, s18
	global_load_dword v0, v[15:16], off offset:640
	v_mov_b32_e32 v19, 0
	v_mov_b32_e32 v17, 0
	;; [unrolled: 1-line block ×4, first 2 shown]
	s_waitcnt vmcnt(0)
	v_cmp_ne_u16_sdwa s0, v0, v6 src0_sel:BYTE_0 src1_sel:DWORD
	s_and_saveexec_b32 s18, s0
	s_cbranch_execz .LBB197_734
; %bb.727:                              ;   in Loop: Header=BB197_555 Depth=1
	v_bfrev_b32_e32 v17, 1
	v_mov_b32_e32 v18, 0
	v_cmp_ne_u16_sdwa s0, v0, v45 src0_sel:BYTE_0 src1_sel:DWORD
	s_and_saveexec_b32 s21, s0
	s_cbranch_execz .LBB197_733
; %bb.728:                              ;   in Loop: Header=BB197_555 Depth=1
	v_mov_b32_e32 v17, 0x7f800001
	v_and_b32_e32 v9, 0x7f, v0
	v_mov_b32_e32 v18, 0
	s_mov_b32 s22, exec_lo
	v_cmpx_ne_u32_e32 0x7f, v9
	s_cbranch_execz .LBB197_732
; %bb.729:                              ;   in Loop: Header=BB197_555 Depth=1
	v_and_b32_e32 v5, 7, v0
	v_lshrrev_b32_e32 v7, 3, v9
	s_mov_b32 s24, exec_lo
	v_cmpx_gt_u32_e32 8, v9
; %bb.730:                              ;   in Loop: Header=BB197_555 Depth=1
	v_ffbh_u32_e32 v7, v5
	v_min_u32_e32 v7, 32, v7
	v_subrev_nc_u32_e32 v9, 28, v7
	v_sub_nc_u32_e32 v7, 29, v7
	v_lshlrev_b64 v[17:18], v9, v[5:6]
	v_and_b32_e32 v5, 7, v17
; %bb.731:                              ;   in Loop: Header=BB197_555 Depth=1
	s_or_b32 exec_lo, exec_lo, s24
	v_lshlrev_b32_e32 v9, 24, v0
	v_lshlrev_b32_e32 v5, 20, v5
	v_lshl_add_u32 v7, v7, 23, 0x3c000000
	v_and_b32_e32 v9, 0x80000000, v9
	v_or3_b32 v5, v5, v9, v7
	v_mov_b32_e32 v18, v6
	v_mov_b32_e32 v17, v5
.LBB197_732:                            ;   in Loop: Header=BB197_555 Depth=1
	s_or_b32 exec_lo, exec_lo, s22
.LBB197_733:                            ;   in Loop: Header=BB197_555 Depth=1
	s_or_b32 exec_lo, exec_lo, s21
.LBB197_734:                            ;   in Loop: Header=BB197_555 Depth=1
	s_or_b32 exec_lo, exec_lo, s18
	v_cmp_ne_u16_sdwa s0, v0, v6 src0_sel:BYTE_1 src1_sel:DWORD
	s_and_saveexec_b32 s18, s0
	s_cbranch_execz .LBB197_742
; %bb.735:                              ;   in Loop: Header=BB197_555 Depth=1
	v_mov_b32_e32 v7, v6
	v_mov_b32_e32 v20, v8
	v_cmp_ne_u16_sdwa s0, v0, v45 src0_sel:BYTE_1 src1_sel:DWORD
	v_mov_b32_e32 v19, v7
	s_and_saveexec_b32 s21, s0
	s_cbranch_execz .LBB197_741
; %bb.736:                              ;   in Loop: Header=BB197_555 Depth=1
	v_and_b32_sdwa v5, v46, v0 dst_sel:DWORD dst_unused:UNUSED_PAD src0_sel:DWORD src1_sel:BYTE_1
	v_mov_b32_e32 v9, v6
	v_mov_b32_e32 v20, v10
	s_mov_b32 s22, exec_lo
	v_and_b32_e32 v21, 0x7f, v5
	v_mov_b32_e32 v19, v9
	v_cmpx_ne_u32_e32 0x7f, v21
	s_cbranch_execz .LBB197_740
; %bb.737:                              ;   in Loop: Header=BB197_555 Depth=1
	v_and_b32_e32 v5, 7, v5
	v_lshrrev_b32_e32 v7, 3, v21
	s_mov_b32 s24, exec_lo
	v_cmpx_gt_u32_e32 8, v21
; %bb.738:                              ;   in Loop: Header=BB197_555 Depth=1
	v_ffbh_u32_e32 v7, v5
	v_min_u32_e32 v7, 32, v7
	v_subrev_nc_u32_e32 v9, 28, v7
	v_sub_nc_u32_e32 v7, 29, v7
	v_lshlrev_b64 v[19:20], v9, v[5:6]
	v_and_b32_e32 v5, 7, v19
; %bb.739:                              ;   in Loop: Header=BB197_555 Depth=1
	s_or_b32 exec_lo, exec_lo, s24
	v_lshlrev_b32_e32 v9, 16, v0
	v_lshlrev_b32_e32 v5, 20, v5
	v_lshl_add_u32 v7, v7, 23, 0x3c000000
	v_mov_b32_e32 v19, v6
	v_and_b32_e32 v9, 0x80000000, v9
	v_or3_b32 v20, v5, v9, v7
.LBB197_740:                            ;   in Loop: Header=BB197_555 Depth=1
	s_or_b32 exec_lo, exec_lo, s22
.LBB197_741:                            ;   in Loop: Header=BB197_555 Depth=1
	s_or_b32 exec_lo, exec_lo, s21
.LBB197_742:                            ;   in Loop: Header=BB197_555 Depth=1
	s_or_b32 exec_lo, exec_lo, s18
	v_mov_b32_e32 v23, 0
	v_mov_b32_e32 v21, 0
	v_and_b32_sdwa v5, v0, v47 dst_sel:DWORD dst_unused:UNUSED_PAD src0_sel:WORD_1 src1_sel:DWORD
	v_mov_b32_e32 v24, 0
	v_mov_b32_e32 v22, 0
	s_mov_b32 s18, exec_lo
	v_cmpx_ne_u16_e32 0, v5
	s_cbranch_execz .LBB197_750
; %bb.743:                              ;   in Loop: Header=BB197_555 Depth=1
	v_bfrev_b32_e32 v21, 1
	v_mov_b32_e32 v22, 0
	s_mov_b32 s21, exec_lo
	v_cmpx_ne_u16_e32 0x80, v5
	s_cbranch_execz .LBB197_749
; %bb.744:                              ;   in Loop: Header=BB197_555 Depth=1
	v_mov_b32_e32 v21, 0x7f800001
	v_bfe_u32 v9, v0, 16, 7
	v_mov_b32_e32 v22, 0
	s_mov_b32 s22, exec_lo
	v_cmpx_ne_u32_e32 0x7f, v9
	s_cbranch_execz .LBB197_748
; %bb.745:                              ;   in Loop: Header=BB197_555 Depth=1
	v_and_b32_sdwa v5, v0, v48 dst_sel:DWORD dst_unused:UNUSED_PAD src0_sel:WORD_1 src1_sel:DWORD
	v_lshrrev_b32_e32 v7, 3, v9
	s_mov_b32 s24, exec_lo
	v_cmpx_gt_u32_e32 8, v9
; %bb.746:                              ;   in Loop: Header=BB197_555 Depth=1
	v_ffbh_u32_e32 v7, v5
	v_min_u32_e32 v7, 32, v7
	v_subrev_nc_u32_e32 v9, 28, v7
	v_sub_nc_u32_e32 v7, 29, v7
	v_lshlrev_b64 v[21:22], v9, v[5:6]
	v_and_b32_e32 v5, 7, v21
; %bb.747:                              ;   in Loop: Header=BB197_555 Depth=1
	s_or_b32 exec_lo, exec_lo, s24
	v_lshlrev_b32_sdwa v9, v50, v0 dst_sel:DWORD dst_unused:UNUSED_PAD src0_sel:DWORD src1_sel:WORD_1
	v_lshlrev_b32_e32 v5, 20, v5
	v_lshl_add_u32 v7, v7, 23, 0x3c000000
	v_and_b32_e32 v9, 0x80000000, v9
	v_or3_b32 v5, v5, v9, v7
	v_mov_b32_e32 v22, v6
	v_mov_b32_e32 v21, v5
.LBB197_748:                            ;   in Loop: Header=BB197_555 Depth=1
	s_or_b32 exec_lo, exec_lo, s22
.LBB197_749:                            ;   in Loop: Header=BB197_555 Depth=1
	s_or_b32 exec_lo, exec_lo, s21
.LBB197_750:                            ;   in Loop: Header=BB197_555 Depth=1
	s_or_b32 exec_lo, exec_lo, s18
	s_mov_b32 s18, exec_lo
	v_cmpx_lt_u32_e32 0xffffff, v0
	s_cbranch_execz .LBB197_758
; %bb.751:                              ;   in Loop: Header=BB197_555 Depth=1
	v_mov_b32_e32 v7, v6
	v_mov_b32_e32 v24, v8
	v_cmp_ne_u32_sdwa s0, v0, v45 src0_sel:BYTE_3 src1_sel:DWORD
	v_mov_b32_e32 v23, v7
	s_and_saveexec_b32 s21, s0
	s_cbranch_execz .LBB197_757
; %bb.752:                              ;   in Loop: Header=BB197_555 Depth=1
	v_mov_b32_e32 v9, v6
	v_mov_b32_e32 v24, v10
	v_bfe_u32 v61, v0, 24, 7
	s_mov_b32 s22, exec_lo
	v_mov_b32_e32 v23, v9
	v_cmpx_ne_u32_e32 0x7f, v61
	s_cbranch_execz .LBB197_756
; %bb.753:                              ;   in Loop: Header=BB197_555 Depth=1
	v_and_b32_sdwa v5, v0, v48 dst_sel:DWORD dst_unused:UNUSED_PAD src0_sel:BYTE_3 src1_sel:DWORD
	v_lshrrev_b32_e32 v7, 3, v61
	s_mov_b32 s24, exec_lo
	v_cmpx_gt_u32_e32 8, v61
; %bb.754:                              ;   in Loop: Header=BB197_555 Depth=1
	v_ffbh_u32_e32 v7, v5
	v_min_u32_e32 v7, 32, v7
	v_subrev_nc_u32_e32 v9, 28, v7
	v_sub_nc_u32_e32 v7, 29, v7
	v_lshlrev_b64 v[23:24], v9, v[5:6]
	v_and_b32_e32 v5, 7, v23
; %bb.755:                              ;   in Loop: Header=BB197_555 Depth=1
	s_or_b32 exec_lo, exec_lo, s24
	v_lshlrev_b32_sdwa v0, v50, v0 dst_sel:DWORD dst_unused:UNUSED_PAD src0_sel:DWORD src1_sel:BYTE_3
	v_lshlrev_b32_e32 v5, 20, v5
	v_lshl_add_u32 v7, v7, 23, 0x3c000000
	v_mov_b32_e32 v23, v6
	v_and_b32_e32 v0, 0x80000000, v0
	v_or3_b32 v24, v5, v0, v7
.LBB197_756:                            ;   in Loop: Header=BB197_555 Depth=1
	s_or_b32 exec_lo, exec_lo, s22
.LBB197_757:                            ;   in Loop: Header=BB197_555 Depth=1
	s_or_b32 exec_lo, exec_lo, s21
.LBB197_758:                            ;   in Loop: Header=BB197_555 Depth=1
	s_or_b32 exec_lo, exec_lo, s18
	v_or_b32_e32 v0, v20, v18
	v_or_b32_e32 v5, v19, v17
	;; [unrolled: 1-line block ×4, first 2 shown]
	v_mul_f32_e32 v81, s17, v0
	v_mul_f32_e32 v82, s13, v5
	;; [unrolled: 1-line block ×4, first 2 shown]
	s_and_saveexec_b32 s18, vcc_lo
	s_cbranch_execz .LBB197_760
; %bb.759:                              ;   in Loop: Header=BB197_555 Depth=1
	v_cmp_gt_i32_e64 s0, s31, v57
	v_cndmask_b32_e64 v82, 0, v82, s0
	v_cmp_gt_i32_e64 s0, s31, v60
	v_cndmask_b32_e64 v81, 0, v81, s0
	;; [unrolled: 2-line block ×4, first 2 shown]
.LBB197_760:                            ;   in Loop: Header=BB197_555 Depth=1
	s_or_b32 exec_lo, exec_lo, s18
	global_load_dword v0, v[15:16], off offset:768
	v_mov_b32_e32 v19, 0
	v_mov_b32_e32 v17, 0
	;; [unrolled: 1-line block ×4, first 2 shown]
	s_waitcnt vmcnt(0)
	v_cmp_ne_u16_sdwa s0, v0, v6 src0_sel:BYTE_0 src1_sel:DWORD
	s_and_saveexec_b32 s18, s0
	s_cbranch_execz .LBB197_768
; %bb.761:                              ;   in Loop: Header=BB197_555 Depth=1
	v_bfrev_b32_e32 v17, 1
	v_mov_b32_e32 v18, 0
	v_cmp_ne_u16_sdwa s0, v0, v45 src0_sel:BYTE_0 src1_sel:DWORD
	s_and_saveexec_b32 s21, s0
	s_cbranch_execz .LBB197_767
; %bb.762:                              ;   in Loop: Header=BB197_555 Depth=1
	v_mov_b32_e32 v17, 0x7f800001
	v_and_b32_e32 v9, 0x7f, v0
	v_mov_b32_e32 v18, 0
	s_mov_b32 s22, exec_lo
	v_cmpx_ne_u32_e32 0x7f, v9
	s_cbranch_execz .LBB197_766
; %bb.763:                              ;   in Loop: Header=BB197_555 Depth=1
	v_and_b32_e32 v5, 7, v0
	v_lshrrev_b32_e32 v7, 3, v9
	s_mov_b32 s24, exec_lo
	v_cmpx_gt_u32_e32 8, v9
; %bb.764:                              ;   in Loop: Header=BB197_555 Depth=1
	v_ffbh_u32_e32 v7, v5
	v_min_u32_e32 v7, 32, v7
	v_subrev_nc_u32_e32 v9, 28, v7
	v_sub_nc_u32_e32 v7, 29, v7
	v_lshlrev_b64 v[17:18], v9, v[5:6]
	v_and_b32_e32 v5, 7, v17
; %bb.765:                              ;   in Loop: Header=BB197_555 Depth=1
	s_or_b32 exec_lo, exec_lo, s24
	v_lshlrev_b32_e32 v9, 24, v0
	v_lshlrev_b32_e32 v5, 20, v5
	v_lshl_add_u32 v7, v7, 23, 0x3c000000
	v_and_b32_e32 v9, 0x80000000, v9
	v_or3_b32 v5, v5, v9, v7
	v_mov_b32_e32 v18, v6
	v_mov_b32_e32 v17, v5
.LBB197_766:                            ;   in Loop: Header=BB197_555 Depth=1
	s_or_b32 exec_lo, exec_lo, s22
.LBB197_767:                            ;   in Loop: Header=BB197_555 Depth=1
	s_or_b32 exec_lo, exec_lo, s21
.LBB197_768:                            ;   in Loop: Header=BB197_555 Depth=1
	s_or_b32 exec_lo, exec_lo, s18
	v_cmp_ne_u16_sdwa s0, v0, v6 src0_sel:BYTE_1 src1_sel:DWORD
	s_and_saveexec_b32 s18, s0
	s_cbranch_execz .LBB197_776
; %bb.769:                              ;   in Loop: Header=BB197_555 Depth=1
	v_mov_b32_e32 v7, v6
	v_mov_b32_e32 v20, v8
	v_cmp_ne_u16_sdwa s0, v0, v45 src0_sel:BYTE_1 src1_sel:DWORD
	v_mov_b32_e32 v19, v7
	s_and_saveexec_b32 s21, s0
	s_cbranch_execz .LBB197_775
; %bb.770:                              ;   in Loop: Header=BB197_555 Depth=1
	v_and_b32_sdwa v5, v46, v0 dst_sel:DWORD dst_unused:UNUSED_PAD src0_sel:DWORD src1_sel:BYTE_1
	v_mov_b32_e32 v9, v6
	v_mov_b32_e32 v20, v10
	s_mov_b32 s22, exec_lo
	v_and_b32_e32 v21, 0x7f, v5
	v_mov_b32_e32 v19, v9
	v_cmpx_ne_u32_e32 0x7f, v21
	s_cbranch_execz .LBB197_774
; %bb.771:                              ;   in Loop: Header=BB197_555 Depth=1
	v_and_b32_e32 v5, 7, v5
	v_lshrrev_b32_e32 v7, 3, v21
	s_mov_b32 s24, exec_lo
	v_cmpx_gt_u32_e32 8, v21
; %bb.772:                              ;   in Loop: Header=BB197_555 Depth=1
	v_ffbh_u32_e32 v7, v5
	v_min_u32_e32 v7, 32, v7
	v_subrev_nc_u32_e32 v9, 28, v7
	v_sub_nc_u32_e32 v7, 29, v7
	v_lshlrev_b64 v[19:20], v9, v[5:6]
	v_and_b32_e32 v5, 7, v19
; %bb.773:                              ;   in Loop: Header=BB197_555 Depth=1
	s_or_b32 exec_lo, exec_lo, s24
	v_lshlrev_b32_e32 v9, 16, v0
	v_lshlrev_b32_e32 v5, 20, v5
	v_lshl_add_u32 v7, v7, 23, 0x3c000000
	v_mov_b32_e32 v19, v6
	v_and_b32_e32 v9, 0x80000000, v9
	v_or3_b32 v20, v5, v9, v7
.LBB197_774:                            ;   in Loop: Header=BB197_555 Depth=1
	s_or_b32 exec_lo, exec_lo, s22
.LBB197_775:                            ;   in Loop: Header=BB197_555 Depth=1
	s_or_b32 exec_lo, exec_lo, s21
.LBB197_776:                            ;   in Loop: Header=BB197_555 Depth=1
	s_or_b32 exec_lo, exec_lo, s18
	v_mov_b32_e32 v23, 0
	v_mov_b32_e32 v21, 0
	v_and_b32_sdwa v5, v0, v47 dst_sel:DWORD dst_unused:UNUSED_PAD src0_sel:WORD_1 src1_sel:DWORD
	v_mov_b32_e32 v24, 0
	v_mov_b32_e32 v22, 0
	s_mov_b32 s18, exec_lo
	v_cmpx_ne_u16_e32 0, v5
	s_cbranch_execz .LBB197_784
; %bb.777:                              ;   in Loop: Header=BB197_555 Depth=1
	v_bfrev_b32_e32 v21, 1
	v_mov_b32_e32 v22, 0
	s_mov_b32 s21, exec_lo
	v_cmpx_ne_u16_e32 0x80, v5
	s_cbranch_execz .LBB197_783
; %bb.778:                              ;   in Loop: Header=BB197_555 Depth=1
	v_mov_b32_e32 v21, 0x7f800001
	v_bfe_u32 v9, v0, 16, 7
	v_mov_b32_e32 v22, 0
	s_mov_b32 s22, exec_lo
	v_cmpx_ne_u32_e32 0x7f, v9
	s_cbranch_execz .LBB197_782
; %bb.779:                              ;   in Loop: Header=BB197_555 Depth=1
	v_and_b32_sdwa v5, v0, v48 dst_sel:DWORD dst_unused:UNUSED_PAD src0_sel:WORD_1 src1_sel:DWORD
	v_lshrrev_b32_e32 v7, 3, v9
	s_mov_b32 s24, exec_lo
	v_cmpx_gt_u32_e32 8, v9
; %bb.780:                              ;   in Loop: Header=BB197_555 Depth=1
	v_ffbh_u32_e32 v7, v5
	v_min_u32_e32 v7, 32, v7
	v_subrev_nc_u32_e32 v9, 28, v7
	v_sub_nc_u32_e32 v7, 29, v7
	v_lshlrev_b64 v[21:22], v9, v[5:6]
	v_and_b32_e32 v5, 7, v21
; %bb.781:                              ;   in Loop: Header=BB197_555 Depth=1
	s_or_b32 exec_lo, exec_lo, s24
	v_lshlrev_b32_sdwa v9, v50, v0 dst_sel:DWORD dst_unused:UNUSED_PAD src0_sel:DWORD src1_sel:WORD_1
	v_lshlrev_b32_e32 v5, 20, v5
	v_lshl_add_u32 v7, v7, 23, 0x3c000000
	v_and_b32_e32 v9, 0x80000000, v9
	v_or3_b32 v5, v5, v9, v7
	v_mov_b32_e32 v22, v6
	v_mov_b32_e32 v21, v5
.LBB197_782:                            ;   in Loop: Header=BB197_555 Depth=1
	s_or_b32 exec_lo, exec_lo, s22
.LBB197_783:                            ;   in Loop: Header=BB197_555 Depth=1
	s_or_b32 exec_lo, exec_lo, s21
.LBB197_784:                            ;   in Loop: Header=BB197_555 Depth=1
	s_or_b32 exec_lo, exec_lo, s18
	s_mov_b32 s18, exec_lo
	v_cmpx_lt_u32_e32 0xffffff, v0
	s_cbranch_execz .LBB197_792
; %bb.785:                              ;   in Loop: Header=BB197_555 Depth=1
	v_mov_b32_e32 v7, v6
	v_mov_b32_e32 v24, v8
	v_cmp_ne_u32_sdwa s0, v0, v45 src0_sel:BYTE_3 src1_sel:DWORD
	v_mov_b32_e32 v23, v7
	s_and_saveexec_b32 s21, s0
	s_cbranch_execz .LBB197_791
; %bb.786:                              ;   in Loop: Header=BB197_555 Depth=1
	v_mov_b32_e32 v9, v6
	v_mov_b32_e32 v24, v10
	v_bfe_u32 v61, v0, 24, 7
	s_mov_b32 s22, exec_lo
	v_mov_b32_e32 v23, v9
	v_cmpx_ne_u32_e32 0x7f, v61
	s_cbranch_execz .LBB197_790
; %bb.787:                              ;   in Loop: Header=BB197_555 Depth=1
	v_and_b32_sdwa v5, v0, v48 dst_sel:DWORD dst_unused:UNUSED_PAD src0_sel:BYTE_3 src1_sel:DWORD
	v_lshrrev_b32_e32 v7, 3, v61
	s_mov_b32 s24, exec_lo
	v_cmpx_gt_u32_e32 8, v61
; %bb.788:                              ;   in Loop: Header=BB197_555 Depth=1
	v_ffbh_u32_e32 v7, v5
	v_min_u32_e32 v7, 32, v7
	v_subrev_nc_u32_e32 v9, 28, v7
	v_sub_nc_u32_e32 v7, 29, v7
	v_lshlrev_b64 v[23:24], v9, v[5:6]
	v_and_b32_e32 v5, 7, v23
; %bb.789:                              ;   in Loop: Header=BB197_555 Depth=1
	s_or_b32 exec_lo, exec_lo, s24
	v_lshlrev_b32_sdwa v0, v50, v0 dst_sel:DWORD dst_unused:UNUSED_PAD src0_sel:DWORD src1_sel:BYTE_3
	v_lshlrev_b32_e32 v5, 20, v5
	v_lshl_add_u32 v7, v7, 23, 0x3c000000
	v_mov_b32_e32 v23, v6
	v_and_b32_e32 v0, 0x80000000, v0
	v_or3_b32 v24, v5, v0, v7
.LBB197_790:                            ;   in Loop: Header=BB197_555 Depth=1
	s_or_b32 exec_lo, exec_lo, s22
.LBB197_791:                            ;   in Loop: Header=BB197_555 Depth=1
	s_or_b32 exec_lo, exec_lo, s21
.LBB197_792:                            ;   in Loop: Header=BB197_555 Depth=1
	s_or_b32 exec_lo, exec_lo, s18
	v_or_b32_e32 v0, v20, v18
	v_or_b32_e32 v5, v19, v17
	;; [unrolled: 1-line block ×4, first 2 shown]
	v_mul_f32_e32 v85, s17, v0
	v_mul_f32_e32 v86, s13, v5
	;; [unrolled: 1-line block ×4, first 2 shown]
	s_and_saveexec_b32 s18, vcc_lo
	s_cbranch_execz .LBB197_794
; %bb.793:                              ;   in Loop: Header=BB197_555 Depth=1
	v_cmp_gt_i32_e64 s0, s31, v57
	v_cndmask_b32_e64 v86, 0, v86, s0
	v_cmp_gt_i32_e64 s0, s31, v60
	v_cndmask_b32_e64 v85, 0, v85, s0
	;; [unrolled: 2-line block ×4, first 2 shown]
.LBB197_794:                            ;   in Loop: Header=BB197_555 Depth=1
	s_or_b32 exec_lo, exec_lo, s18
	global_load_dword v0, v[15:16], off offset:896
	v_mov_b32_e32 v19, 0
	v_mov_b32_e32 v17, 0
	;; [unrolled: 1-line block ×4, first 2 shown]
	s_waitcnt vmcnt(0)
	v_cmp_ne_u16_sdwa s0, v0, v6 src0_sel:BYTE_0 src1_sel:DWORD
	s_and_saveexec_b32 s18, s0
	s_cbranch_execz .LBB197_802
; %bb.795:                              ;   in Loop: Header=BB197_555 Depth=1
	v_bfrev_b32_e32 v17, 1
	v_mov_b32_e32 v18, 0
	v_cmp_ne_u16_sdwa s0, v0, v45 src0_sel:BYTE_0 src1_sel:DWORD
	s_and_saveexec_b32 s21, s0
	s_cbranch_execz .LBB197_801
; %bb.796:                              ;   in Loop: Header=BB197_555 Depth=1
	v_mov_b32_e32 v17, 0x7f800001
	v_and_b32_e32 v9, 0x7f, v0
	v_mov_b32_e32 v18, 0
	s_mov_b32 s22, exec_lo
	v_cmpx_ne_u32_e32 0x7f, v9
	s_cbranch_execz .LBB197_800
; %bb.797:                              ;   in Loop: Header=BB197_555 Depth=1
	v_and_b32_e32 v5, 7, v0
	v_lshrrev_b32_e32 v7, 3, v9
	s_mov_b32 s24, exec_lo
	v_cmpx_gt_u32_e32 8, v9
; %bb.798:                              ;   in Loop: Header=BB197_555 Depth=1
	v_ffbh_u32_e32 v7, v5
	v_min_u32_e32 v7, 32, v7
	v_subrev_nc_u32_e32 v9, 28, v7
	v_sub_nc_u32_e32 v7, 29, v7
	v_lshlrev_b64 v[17:18], v9, v[5:6]
	v_and_b32_e32 v5, 7, v17
; %bb.799:                              ;   in Loop: Header=BB197_555 Depth=1
	s_or_b32 exec_lo, exec_lo, s24
	v_lshlrev_b32_e32 v9, 24, v0
	v_lshlrev_b32_e32 v5, 20, v5
	v_lshl_add_u32 v7, v7, 23, 0x3c000000
	v_and_b32_e32 v9, 0x80000000, v9
	v_or3_b32 v5, v5, v9, v7
	v_mov_b32_e32 v18, v6
	v_mov_b32_e32 v17, v5
.LBB197_800:                            ;   in Loop: Header=BB197_555 Depth=1
	s_or_b32 exec_lo, exec_lo, s22
.LBB197_801:                            ;   in Loop: Header=BB197_555 Depth=1
	s_or_b32 exec_lo, exec_lo, s21
.LBB197_802:                            ;   in Loop: Header=BB197_555 Depth=1
	s_or_b32 exec_lo, exec_lo, s18
	v_cmp_ne_u16_sdwa s0, v0, v6 src0_sel:BYTE_1 src1_sel:DWORD
	s_and_saveexec_b32 s18, s0
	s_cbranch_execz .LBB197_810
; %bb.803:                              ;   in Loop: Header=BB197_555 Depth=1
	v_mov_b32_e32 v7, v6
	v_mov_b32_e32 v20, v8
	v_cmp_ne_u16_sdwa s0, v0, v45 src0_sel:BYTE_1 src1_sel:DWORD
	v_mov_b32_e32 v19, v7
	s_and_saveexec_b32 s21, s0
	s_cbranch_execz .LBB197_809
; %bb.804:                              ;   in Loop: Header=BB197_555 Depth=1
	v_and_b32_sdwa v5, v46, v0 dst_sel:DWORD dst_unused:UNUSED_PAD src0_sel:DWORD src1_sel:BYTE_1
	v_mov_b32_e32 v9, v6
	v_mov_b32_e32 v20, v10
	s_mov_b32 s22, exec_lo
	v_and_b32_e32 v21, 0x7f, v5
	v_mov_b32_e32 v19, v9
	v_cmpx_ne_u32_e32 0x7f, v21
	s_cbranch_execz .LBB197_808
; %bb.805:                              ;   in Loop: Header=BB197_555 Depth=1
	v_and_b32_e32 v5, 7, v5
	v_lshrrev_b32_e32 v7, 3, v21
	s_mov_b32 s24, exec_lo
	v_cmpx_gt_u32_e32 8, v21
; %bb.806:                              ;   in Loop: Header=BB197_555 Depth=1
	v_ffbh_u32_e32 v7, v5
	v_min_u32_e32 v7, 32, v7
	v_subrev_nc_u32_e32 v9, 28, v7
	v_sub_nc_u32_e32 v7, 29, v7
	v_lshlrev_b64 v[19:20], v9, v[5:6]
	v_and_b32_e32 v5, 7, v19
; %bb.807:                              ;   in Loop: Header=BB197_555 Depth=1
	s_or_b32 exec_lo, exec_lo, s24
	v_lshlrev_b32_e32 v9, 16, v0
	v_lshlrev_b32_e32 v5, 20, v5
	v_lshl_add_u32 v7, v7, 23, 0x3c000000
	v_mov_b32_e32 v19, v6
	v_and_b32_e32 v9, 0x80000000, v9
	v_or3_b32 v20, v5, v9, v7
.LBB197_808:                            ;   in Loop: Header=BB197_555 Depth=1
	s_or_b32 exec_lo, exec_lo, s22
.LBB197_809:                            ;   in Loop: Header=BB197_555 Depth=1
	s_or_b32 exec_lo, exec_lo, s21
.LBB197_810:                            ;   in Loop: Header=BB197_555 Depth=1
	s_or_b32 exec_lo, exec_lo, s18
	v_mov_b32_e32 v23, 0
	v_mov_b32_e32 v21, 0
	v_and_b32_sdwa v5, v0, v47 dst_sel:DWORD dst_unused:UNUSED_PAD src0_sel:WORD_1 src1_sel:DWORD
	v_mov_b32_e32 v24, 0
	v_mov_b32_e32 v22, 0
	s_mov_b32 s18, exec_lo
	v_cmpx_ne_u16_e32 0, v5
	s_cbranch_execz .LBB197_818
; %bb.811:                              ;   in Loop: Header=BB197_555 Depth=1
	v_bfrev_b32_e32 v21, 1
	v_mov_b32_e32 v22, 0
	s_mov_b32 s21, exec_lo
	v_cmpx_ne_u16_e32 0x80, v5
	s_cbranch_execz .LBB197_817
; %bb.812:                              ;   in Loop: Header=BB197_555 Depth=1
	v_mov_b32_e32 v21, 0x7f800001
	v_bfe_u32 v9, v0, 16, 7
	v_mov_b32_e32 v22, 0
	s_mov_b32 s22, exec_lo
	v_cmpx_ne_u32_e32 0x7f, v9
	s_cbranch_execz .LBB197_816
; %bb.813:                              ;   in Loop: Header=BB197_555 Depth=1
	v_and_b32_sdwa v5, v0, v48 dst_sel:DWORD dst_unused:UNUSED_PAD src0_sel:WORD_1 src1_sel:DWORD
	v_lshrrev_b32_e32 v7, 3, v9
	s_mov_b32 s24, exec_lo
	v_cmpx_gt_u32_e32 8, v9
; %bb.814:                              ;   in Loop: Header=BB197_555 Depth=1
	v_ffbh_u32_e32 v7, v5
	v_min_u32_e32 v7, 32, v7
	v_subrev_nc_u32_e32 v9, 28, v7
	v_sub_nc_u32_e32 v7, 29, v7
	v_lshlrev_b64 v[21:22], v9, v[5:6]
	v_and_b32_e32 v5, 7, v21
; %bb.815:                              ;   in Loop: Header=BB197_555 Depth=1
	s_or_b32 exec_lo, exec_lo, s24
	v_lshlrev_b32_sdwa v9, v50, v0 dst_sel:DWORD dst_unused:UNUSED_PAD src0_sel:DWORD src1_sel:WORD_1
	v_lshlrev_b32_e32 v5, 20, v5
	v_lshl_add_u32 v7, v7, 23, 0x3c000000
	v_and_b32_e32 v9, 0x80000000, v9
	v_or3_b32 v5, v5, v9, v7
	v_mov_b32_e32 v22, v6
	v_mov_b32_e32 v21, v5
.LBB197_816:                            ;   in Loop: Header=BB197_555 Depth=1
	s_or_b32 exec_lo, exec_lo, s22
.LBB197_817:                            ;   in Loop: Header=BB197_555 Depth=1
	s_or_b32 exec_lo, exec_lo, s21
.LBB197_818:                            ;   in Loop: Header=BB197_555 Depth=1
	s_or_b32 exec_lo, exec_lo, s18
	s_mov_b32 s18, exec_lo
	v_cmpx_lt_u32_e32 0xffffff, v0
	s_cbranch_execz .LBB197_826
; %bb.819:                              ;   in Loop: Header=BB197_555 Depth=1
	v_mov_b32_e32 v7, v6
	v_mov_b32_e32 v24, v8
	v_cmp_ne_u32_sdwa s0, v0, v45 src0_sel:BYTE_3 src1_sel:DWORD
	v_mov_b32_e32 v23, v7
	s_and_saveexec_b32 s21, s0
	s_cbranch_execz .LBB197_825
; %bb.820:                              ;   in Loop: Header=BB197_555 Depth=1
	v_mov_b32_e32 v9, v6
	v_mov_b32_e32 v24, v10
	v_bfe_u32 v61, v0, 24, 7
	s_mov_b32 s22, exec_lo
	v_mov_b32_e32 v23, v9
	v_cmpx_ne_u32_e32 0x7f, v61
	s_cbranch_execz .LBB197_824
; %bb.821:                              ;   in Loop: Header=BB197_555 Depth=1
	v_and_b32_sdwa v5, v0, v48 dst_sel:DWORD dst_unused:UNUSED_PAD src0_sel:BYTE_3 src1_sel:DWORD
	v_lshrrev_b32_e32 v7, 3, v61
	s_mov_b32 s24, exec_lo
	v_cmpx_gt_u32_e32 8, v61
; %bb.822:                              ;   in Loop: Header=BB197_555 Depth=1
	v_ffbh_u32_e32 v7, v5
	v_min_u32_e32 v7, 32, v7
	v_subrev_nc_u32_e32 v9, 28, v7
	v_sub_nc_u32_e32 v7, 29, v7
	v_lshlrev_b64 v[23:24], v9, v[5:6]
	v_and_b32_e32 v5, 7, v23
; %bb.823:                              ;   in Loop: Header=BB197_555 Depth=1
	s_or_b32 exec_lo, exec_lo, s24
	v_lshlrev_b32_sdwa v0, v50, v0 dst_sel:DWORD dst_unused:UNUSED_PAD src0_sel:DWORD src1_sel:BYTE_3
	v_lshlrev_b32_e32 v5, 20, v5
	v_lshl_add_u32 v7, v7, 23, 0x3c000000
	v_mov_b32_e32 v23, v6
	v_and_b32_e32 v0, 0x80000000, v0
	v_or3_b32 v24, v5, v0, v7
.LBB197_824:                            ;   in Loop: Header=BB197_555 Depth=1
	s_or_b32 exec_lo, exec_lo, s22
.LBB197_825:                            ;   in Loop: Header=BB197_555 Depth=1
	s_or_b32 exec_lo, exec_lo, s21
.LBB197_826:                            ;   in Loop: Header=BB197_555 Depth=1
	s_or_b32 exec_lo, exec_lo, s18
	v_or_b32_e32 v0, v20, v18
	v_or_b32_e32 v5, v19, v17
	;; [unrolled: 1-line block ×4, first 2 shown]
	v_mul_f32_e32 v89, s17, v0
	v_mul_f32_e32 v90, s13, v5
	v_mul_f32_e32 v88, s13, v7
	v_mul_f32_e32 v87, s17, v9
	s_and_saveexec_b32 s18, vcc_lo
	s_cbranch_execz .LBB197_828
; %bb.827:                              ;   in Loop: Header=BB197_555 Depth=1
	v_cmp_gt_i32_e64 s0, s31, v57
	v_cndmask_b32_e64 v90, 0, v90, s0
	v_cmp_gt_i32_e64 s0, s31, v60
	v_cndmask_b32_e64 v89, 0, v89, s0
	;; [unrolled: 2-line block ×4, first 2 shown]
.LBB197_828:                            ;   in Loop: Header=BB197_555 Depth=1
	s_or_b32 exec_lo, exec_lo, s18
	global_load_dword v0, v[15:16], off offset:1024
	v_mov_b32_e32 v19, 0
	v_mov_b32_e32 v17, 0
	;; [unrolled: 1-line block ×4, first 2 shown]
	s_waitcnt vmcnt(0)
	v_cmp_ne_u16_sdwa s0, v0, v6 src0_sel:BYTE_0 src1_sel:DWORD
	s_and_saveexec_b32 s18, s0
	s_cbranch_execz .LBB197_836
; %bb.829:                              ;   in Loop: Header=BB197_555 Depth=1
	v_bfrev_b32_e32 v17, 1
	v_mov_b32_e32 v18, 0
	v_cmp_ne_u16_sdwa s0, v0, v45 src0_sel:BYTE_0 src1_sel:DWORD
	s_and_saveexec_b32 s21, s0
	s_cbranch_execz .LBB197_835
; %bb.830:                              ;   in Loop: Header=BB197_555 Depth=1
	v_mov_b32_e32 v17, 0x7f800001
	v_and_b32_e32 v9, 0x7f, v0
	v_mov_b32_e32 v18, 0
	s_mov_b32 s22, exec_lo
	v_cmpx_ne_u32_e32 0x7f, v9
	s_cbranch_execz .LBB197_834
; %bb.831:                              ;   in Loop: Header=BB197_555 Depth=1
	v_and_b32_e32 v5, 7, v0
	v_lshrrev_b32_e32 v7, 3, v9
	s_mov_b32 s24, exec_lo
	v_cmpx_gt_u32_e32 8, v9
; %bb.832:                              ;   in Loop: Header=BB197_555 Depth=1
	v_ffbh_u32_e32 v7, v5
	v_min_u32_e32 v7, 32, v7
	v_subrev_nc_u32_e32 v9, 28, v7
	v_sub_nc_u32_e32 v7, 29, v7
	v_lshlrev_b64 v[17:18], v9, v[5:6]
	v_and_b32_e32 v5, 7, v17
; %bb.833:                              ;   in Loop: Header=BB197_555 Depth=1
	s_or_b32 exec_lo, exec_lo, s24
	v_lshlrev_b32_e32 v9, 24, v0
	v_lshlrev_b32_e32 v5, 20, v5
	v_lshl_add_u32 v7, v7, 23, 0x3c000000
	v_and_b32_e32 v9, 0x80000000, v9
	v_or3_b32 v5, v5, v9, v7
	v_mov_b32_e32 v18, v6
	v_mov_b32_e32 v17, v5
.LBB197_834:                            ;   in Loop: Header=BB197_555 Depth=1
	s_or_b32 exec_lo, exec_lo, s22
.LBB197_835:                            ;   in Loop: Header=BB197_555 Depth=1
	s_or_b32 exec_lo, exec_lo, s21
.LBB197_836:                            ;   in Loop: Header=BB197_555 Depth=1
	s_or_b32 exec_lo, exec_lo, s18
	v_cmp_ne_u16_sdwa s0, v0, v6 src0_sel:BYTE_1 src1_sel:DWORD
	s_and_saveexec_b32 s18, s0
	s_cbranch_execz .LBB197_844
; %bb.837:                              ;   in Loop: Header=BB197_555 Depth=1
	v_mov_b32_e32 v7, v6
	v_mov_b32_e32 v20, v8
	v_cmp_ne_u16_sdwa s0, v0, v45 src0_sel:BYTE_1 src1_sel:DWORD
	v_mov_b32_e32 v19, v7
	s_and_saveexec_b32 s21, s0
	s_cbranch_execz .LBB197_843
; %bb.838:                              ;   in Loop: Header=BB197_555 Depth=1
	v_and_b32_sdwa v5, v46, v0 dst_sel:DWORD dst_unused:UNUSED_PAD src0_sel:DWORD src1_sel:BYTE_1
	v_mov_b32_e32 v9, v6
	v_mov_b32_e32 v20, v10
	s_mov_b32 s22, exec_lo
	v_and_b32_e32 v21, 0x7f, v5
	v_mov_b32_e32 v19, v9
	v_cmpx_ne_u32_e32 0x7f, v21
	s_cbranch_execz .LBB197_842
; %bb.839:                              ;   in Loop: Header=BB197_555 Depth=1
	v_and_b32_e32 v5, 7, v5
	v_lshrrev_b32_e32 v7, 3, v21
	s_mov_b32 s24, exec_lo
	v_cmpx_gt_u32_e32 8, v21
; %bb.840:                              ;   in Loop: Header=BB197_555 Depth=1
	v_ffbh_u32_e32 v7, v5
	v_min_u32_e32 v7, 32, v7
	v_subrev_nc_u32_e32 v9, 28, v7
	v_sub_nc_u32_e32 v7, 29, v7
	v_lshlrev_b64 v[19:20], v9, v[5:6]
	v_and_b32_e32 v5, 7, v19
; %bb.841:                              ;   in Loop: Header=BB197_555 Depth=1
	s_or_b32 exec_lo, exec_lo, s24
	v_lshlrev_b32_e32 v9, 16, v0
	v_lshlrev_b32_e32 v5, 20, v5
	v_lshl_add_u32 v7, v7, 23, 0x3c000000
	v_mov_b32_e32 v19, v6
	v_and_b32_e32 v9, 0x80000000, v9
	v_or3_b32 v20, v5, v9, v7
.LBB197_842:                            ;   in Loop: Header=BB197_555 Depth=1
	s_or_b32 exec_lo, exec_lo, s22
.LBB197_843:                            ;   in Loop: Header=BB197_555 Depth=1
	s_or_b32 exec_lo, exec_lo, s21
.LBB197_844:                            ;   in Loop: Header=BB197_555 Depth=1
	s_or_b32 exec_lo, exec_lo, s18
	v_mov_b32_e32 v23, 0
	v_mov_b32_e32 v21, 0
	v_and_b32_sdwa v5, v0, v47 dst_sel:DWORD dst_unused:UNUSED_PAD src0_sel:WORD_1 src1_sel:DWORD
	v_mov_b32_e32 v24, 0
	v_mov_b32_e32 v22, 0
	s_mov_b32 s18, exec_lo
	v_cmpx_ne_u16_e32 0, v5
	s_cbranch_execz .LBB197_852
; %bb.845:                              ;   in Loop: Header=BB197_555 Depth=1
	v_bfrev_b32_e32 v21, 1
	v_mov_b32_e32 v22, 0
	s_mov_b32 s21, exec_lo
	v_cmpx_ne_u16_e32 0x80, v5
	s_cbranch_execz .LBB197_851
; %bb.846:                              ;   in Loop: Header=BB197_555 Depth=1
	v_mov_b32_e32 v21, 0x7f800001
	v_bfe_u32 v9, v0, 16, 7
	v_mov_b32_e32 v22, 0
	s_mov_b32 s22, exec_lo
	v_cmpx_ne_u32_e32 0x7f, v9
	s_cbranch_execz .LBB197_850
; %bb.847:                              ;   in Loop: Header=BB197_555 Depth=1
	v_and_b32_sdwa v5, v0, v48 dst_sel:DWORD dst_unused:UNUSED_PAD src0_sel:WORD_1 src1_sel:DWORD
	v_lshrrev_b32_e32 v7, 3, v9
	s_mov_b32 s24, exec_lo
	v_cmpx_gt_u32_e32 8, v9
; %bb.848:                              ;   in Loop: Header=BB197_555 Depth=1
	v_ffbh_u32_e32 v7, v5
	v_min_u32_e32 v7, 32, v7
	v_subrev_nc_u32_e32 v9, 28, v7
	v_sub_nc_u32_e32 v7, 29, v7
	v_lshlrev_b64 v[21:22], v9, v[5:6]
	v_and_b32_e32 v5, 7, v21
; %bb.849:                              ;   in Loop: Header=BB197_555 Depth=1
	s_or_b32 exec_lo, exec_lo, s24
	v_lshlrev_b32_sdwa v9, v50, v0 dst_sel:DWORD dst_unused:UNUSED_PAD src0_sel:DWORD src1_sel:WORD_1
	v_lshlrev_b32_e32 v5, 20, v5
	v_lshl_add_u32 v7, v7, 23, 0x3c000000
	v_and_b32_e32 v9, 0x80000000, v9
	v_or3_b32 v5, v5, v9, v7
	v_mov_b32_e32 v22, v6
	v_mov_b32_e32 v21, v5
.LBB197_850:                            ;   in Loop: Header=BB197_555 Depth=1
	s_or_b32 exec_lo, exec_lo, s22
.LBB197_851:                            ;   in Loop: Header=BB197_555 Depth=1
	s_or_b32 exec_lo, exec_lo, s21
.LBB197_852:                            ;   in Loop: Header=BB197_555 Depth=1
	s_or_b32 exec_lo, exec_lo, s18
	s_mov_b32 s18, exec_lo
	v_cmpx_lt_u32_e32 0xffffff, v0
	s_cbranch_execz .LBB197_860
; %bb.853:                              ;   in Loop: Header=BB197_555 Depth=1
	v_mov_b32_e32 v7, v6
	v_mov_b32_e32 v24, v8
	v_cmp_ne_u32_sdwa s0, v0, v45 src0_sel:BYTE_3 src1_sel:DWORD
	v_mov_b32_e32 v23, v7
	s_and_saveexec_b32 s21, s0
	s_cbranch_execz .LBB197_859
; %bb.854:                              ;   in Loop: Header=BB197_555 Depth=1
	v_mov_b32_e32 v9, v6
	v_mov_b32_e32 v24, v10
	v_bfe_u32 v61, v0, 24, 7
	s_mov_b32 s22, exec_lo
	v_mov_b32_e32 v23, v9
	v_cmpx_ne_u32_e32 0x7f, v61
	s_cbranch_execz .LBB197_858
; %bb.855:                              ;   in Loop: Header=BB197_555 Depth=1
	v_and_b32_sdwa v5, v0, v48 dst_sel:DWORD dst_unused:UNUSED_PAD src0_sel:BYTE_3 src1_sel:DWORD
	v_lshrrev_b32_e32 v7, 3, v61
	s_mov_b32 s24, exec_lo
	v_cmpx_gt_u32_e32 8, v61
; %bb.856:                              ;   in Loop: Header=BB197_555 Depth=1
	v_ffbh_u32_e32 v7, v5
	v_min_u32_e32 v7, 32, v7
	v_subrev_nc_u32_e32 v9, 28, v7
	v_sub_nc_u32_e32 v7, 29, v7
	v_lshlrev_b64 v[23:24], v9, v[5:6]
	v_and_b32_e32 v5, 7, v23
; %bb.857:                              ;   in Loop: Header=BB197_555 Depth=1
	s_or_b32 exec_lo, exec_lo, s24
	v_lshlrev_b32_sdwa v0, v50, v0 dst_sel:DWORD dst_unused:UNUSED_PAD src0_sel:DWORD src1_sel:BYTE_3
	v_lshlrev_b32_e32 v5, 20, v5
	v_lshl_add_u32 v7, v7, 23, 0x3c000000
	v_mov_b32_e32 v23, v6
	v_and_b32_e32 v0, 0x80000000, v0
	v_or3_b32 v24, v5, v0, v7
.LBB197_858:                            ;   in Loop: Header=BB197_555 Depth=1
	s_or_b32 exec_lo, exec_lo, s22
.LBB197_859:                            ;   in Loop: Header=BB197_555 Depth=1
	s_or_b32 exec_lo, exec_lo, s21
.LBB197_860:                            ;   in Loop: Header=BB197_555 Depth=1
	s_or_b32 exec_lo, exec_lo, s18
	v_or_b32_e32 v0, v20, v18
	v_or_b32_e32 v5, v19, v17
	;; [unrolled: 1-line block ×4, first 2 shown]
	v_mul_f32_e32 v93, s17, v0
	v_mul_f32_e32 v94, s13, v5
	;; [unrolled: 1-line block ×4, first 2 shown]
	s_and_saveexec_b32 s18, vcc_lo
	s_cbranch_execz .LBB197_862
; %bb.861:                              ;   in Loop: Header=BB197_555 Depth=1
	v_cmp_gt_i32_e64 s0, s31, v57
	v_cndmask_b32_e64 v94, 0, v94, s0
	v_cmp_gt_i32_e64 s0, s31, v60
	v_cndmask_b32_e64 v93, 0, v93, s0
	;; [unrolled: 2-line block ×4, first 2 shown]
.LBB197_862:                            ;   in Loop: Header=BB197_555 Depth=1
	s_or_b32 exec_lo, exec_lo, s18
	global_load_dword v0, v[15:16], off offset:1152
	v_mov_b32_e32 v19, 0
	v_mov_b32_e32 v17, 0
	;; [unrolled: 1-line block ×4, first 2 shown]
	s_waitcnt vmcnt(0)
	v_cmp_ne_u16_sdwa s0, v0, v6 src0_sel:BYTE_0 src1_sel:DWORD
	s_and_saveexec_b32 s18, s0
	s_cbranch_execz .LBB197_870
; %bb.863:                              ;   in Loop: Header=BB197_555 Depth=1
	v_bfrev_b32_e32 v17, 1
	v_mov_b32_e32 v18, 0
	v_cmp_ne_u16_sdwa s0, v0, v45 src0_sel:BYTE_0 src1_sel:DWORD
	s_and_saveexec_b32 s21, s0
	s_cbranch_execz .LBB197_869
; %bb.864:                              ;   in Loop: Header=BB197_555 Depth=1
	v_mov_b32_e32 v17, 0x7f800001
	v_and_b32_e32 v9, 0x7f, v0
	v_mov_b32_e32 v18, 0
	s_mov_b32 s22, exec_lo
	v_cmpx_ne_u32_e32 0x7f, v9
	s_cbranch_execz .LBB197_868
; %bb.865:                              ;   in Loop: Header=BB197_555 Depth=1
	v_and_b32_e32 v5, 7, v0
	v_lshrrev_b32_e32 v7, 3, v9
	s_mov_b32 s24, exec_lo
	v_cmpx_gt_u32_e32 8, v9
; %bb.866:                              ;   in Loop: Header=BB197_555 Depth=1
	v_ffbh_u32_e32 v7, v5
	v_min_u32_e32 v7, 32, v7
	v_subrev_nc_u32_e32 v9, 28, v7
	v_sub_nc_u32_e32 v7, 29, v7
	v_lshlrev_b64 v[17:18], v9, v[5:6]
	v_and_b32_e32 v5, 7, v17
; %bb.867:                              ;   in Loop: Header=BB197_555 Depth=1
	s_or_b32 exec_lo, exec_lo, s24
	v_lshlrev_b32_e32 v9, 24, v0
	v_lshlrev_b32_e32 v5, 20, v5
	v_lshl_add_u32 v7, v7, 23, 0x3c000000
	v_and_b32_e32 v9, 0x80000000, v9
	v_or3_b32 v5, v5, v9, v7
	v_mov_b32_e32 v18, v6
	v_mov_b32_e32 v17, v5
.LBB197_868:                            ;   in Loop: Header=BB197_555 Depth=1
	s_or_b32 exec_lo, exec_lo, s22
.LBB197_869:                            ;   in Loop: Header=BB197_555 Depth=1
	s_or_b32 exec_lo, exec_lo, s21
.LBB197_870:                            ;   in Loop: Header=BB197_555 Depth=1
	s_or_b32 exec_lo, exec_lo, s18
	v_cmp_ne_u16_sdwa s0, v0, v6 src0_sel:BYTE_1 src1_sel:DWORD
	s_and_saveexec_b32 s18, s0
	s_cbranch_execz .LBB197_878
; %bb.871:                              ;   in Loop: Header=BB197_555 Depth=1
	v_mov_b32_e32 v7, v6
	v_mov_b32_e32 v20, v8
	v_cmp_ne_u16_sdwa s0, v0, v45 src0_sel:BYTE_1 src1_sel:DWORD
	v_mov_b32_e32 v19, v7
	s_and_saveexec_b32 s21, s0
	s_cbranch_execz .LBB197_877
; %bb.872:                              ;   in Loop: Header=BB197_555 Depth=1
	v_and_b32_sdwa v5, v46, v0 dst_sel:DWORD dst_unused:UNUSED_PAD src0_sel:DWORD src1_sel:BYTE_1
	v_mov_b32_e32 v9, v6
	v_mov_b32_e32 v20, v10
	s_mov_b32 s22, exec_lo
	v_and_b32_e32 v21, 0x7f, v5
	v_mov_b32_e32 v19, v9
	v_cmpx_ne_u32_e32 0x7f, v21
	s_cbranch_execz .LBB197_876
; %bb.873:                              ;   in Loop: Header=BB197_555 Depth=1
	v_and_b32_e32 v5, 7, v5
	v_lshrrev_b32_e32 v7, 3, v21
	s_mov_b32 s24, exec_lo
	v_cmpx_gt_u32_e32 8, v21
; %bb.874:                              ;   in Loop: Header=BB197_555 Depth=1
	v_ffbh_u32_e32 v7, v5
	v_min_u32_e32 v7, 32, v7
	v_subrev_nc_u32_e32 v9, 28, v7
	v_sub_nc_u32_e32 v7, 29, v7
	v_lshlrev_b64 v[19:20], v9, v[5:6]
	v_and_b32_e32 v5, 7, v19
; %bb.875:                              ;   in Loop: Header=BB197_555 Depth=1
	s_or_b32 exec_lo, exec_lo, s24
	v_lshlrev_b32_e32 v9, 16, v0
	v_lshlrev_b32_e32 v5, 20, v5
	v_lshl_add_u32 v7, v7, 23, 0x3c000000
	v_mov_b32_e32 v19, v6
	v_and_b32_e32 v9, 0x80000000, v9
	v_or3_b32 v20, v5, v9, v7
.LBB197_876:                            ;   in Loop: Header=BB197_555 Depth=1
	s_or_b32 exec_lo, exec_lo, s22
.LBB197_877:                            ;   in Loop: Header=BB197_555 Depth=1
	s_or_b32 exec_lo, exec_lo, s21
.LBB197_878:                            ;   in Loop: Header=BB197_555 Depth=1
	s_or_b32 exec_lo, exec_lo, s18
	v_mov_b32_e32 v23, 0
	v_mov_b32_e32 v21, 0
	v_and_b32_sdwa v5, v0, v47 dst_sel:DWORD dst_unused:UNUSED_PAD src0_sel:WORD_1 src1_sel:DWORD
	v_mov_b32_e32 v24, 0
	v_mov_b32_e32 v22, 0
	s_mov_b32 s18, exec_lo
	v_cmpx_ne_u16_e32 0, v5
	s_cbranch_execz .LBB197_886
; %bb.879:                              ;   in Loop: Header=BB197_555 Depth=1
	v_bfrev_b32_e32 v21, 1
	v_mov_b32_e32 v22, 0
	s_mov_b32 s21, exec_lo
	v_cmpx_ne_u16_e32 0x80, v5
	s_cbranch_execz .LBB197_885
; %bb.880:                              ;   in Loop: Header=BB197_555 Depth=1
	v_mov_b32_e32 v21, 0x7f800001
	v_bfe_u32 v9, v0, 16, 7
	v_mov_b32_e32 v22, 0
	s_mov_b32 s22, exec_lo
	v_cmpx_ne_u32_e32 0x7f, v9
	s_cbranch_execz .LBB197_884
; %bb.881:                              ;   in Loop: Header=BB197_555 Depth=1
	v_and_b32_sdwa v5, v0, v48 dst_sel:DWORD dst_unused:UNUSED_PAD src0_sel:WORD_1 src1_sel:DWORD
	v_lshrrev_b32_e32 v7, 3, v9
	s_mov_b32 s24, exec_lo
	v_cmpx_gt_u32_e32 8, v9
; %bb.882:                              ;   in Loop: Header=BB197_555 Depth=1
	v_ffbh_u32_e32 v7, v5
	v_min_u32_e32 v7, 32, v7
	v_subrev_nc_u32_e32 v9, 28, v7
	v_sub_nc_u32_e32 v7, 29, v7
	v_lshlrev_b64 v[21:22], v9, v[5:6]
	v_and_b32_e32 v5, 7, v21
; %bb.883:                              ;   in Loop: Header=BB197_555 Depth=1
	s_or_b32 exec_lo, exec_lo, s24
	v_lshlrev_b32_sdwa v9, v50, v0 dst_sel:DWORD dst_unused:UNUSED_PAD src0_sel:DWORD src1_sel:WORD_1
	v_lshlrev_b32_e32 v5, 20, v5
	v_lshl_add_u32 v7, v7, 23, 0x3c000000
	v_and_b32_e32 v9, 0x80000000, v9
	v_or3_b32 v5, v5, v9, v7
	v_mov_b32_e32 v22, v6
	v_mov_b32_e32 v21, v5
.LBB197_884:                            ;   in Loop: Header=BB197_555 Depth=1
	s_or_b32 exec_lo, exec_lo, s22
.LBB197_885:                            ;   in Loop: Header=BB197_555 Depth=1
	s_or_b32 exec_lo, exec_lo, s21
.LBB197_886:                            ;   in Loop: Header=BB197_555 Depth=1
	s_or_b32 exec_lo, exec_lo, s18
	s_mov_b32 s18, exec_lo
	v_cmpx_lt_u32_e32 0xffffff, v0
	s_cbranch_execz .LBB197_894
; %bb.887:                              ;   in Loop: Header=BB197_555 Depth=1
	v_mov_b32_e32 v7, v6
	v_mov_b32_e32 v24, v8
	v_cmp_ne_u32_sdwa s0, v0, v45 src0_sel:BYTE_3 src1_sel:DWORD
	v_mov_b32_e32 v23, v7
	s_and_saveexec_b32 s21, s0
	s_cbranch_execz .LBB197_893
; %bb.888:                              ;   in Loop: Header=BB197_555 Depth=1
	v_mov_b32_e32 v9, v6
	v_mov_b32_e32 v24, v10
	v_bfe_u32 v61, v0, 24, 7
	s_mov_b32 s22, exec_lo
	v_mov_b32_e32 v23, v9
	v_cmpx_ne_u32_e32 0x7f, v61
	s_cbranch_execz .LBB197_892
; %bb.889:                              ;   in Loop: Header=BB197_555 Depth=1
	v_and_b32_sdwa v5, v0, v48 dst_sel:DWORD dst_unused:UNUSED_PAD src0_sel:BYTE_3 src1_sel:DWORD
	v_lshrrev_b32_e32 v7, 3, v61
	s_mov_b32 s24, exec_lo
	v_cmpx_gt_u32_e32 8, v61
; %bb.890:                              ;   in Loop: Header=BB197_555 Depth=1
	v_ffbh_u32_e32 v7, v5
	v_min_u32_e32 v7, 32, v7
	v_subrev_nc_u32_e32 v9, 28, v7
	v_sub_nc_u32_e32 v7, 29, v7
	v_lshlrev_b64 v[23:24], v9, v[5:6]
	v_and_b32_e32 v5, 7, v23
; %bb.891:                              ;   in Loop: Header=BB197_555 Depth=1
	s_or_b32 exec_lo, exec_lo, s24
	v_lshlrev_b32_sdwa v0, v50, v0 dst_sel:DWORD dst_unused:UNUSED_PAD src0_sel:DWORD src1_sel:BYTE_3
	v_lshlrev_b32_e32 v5, 20, v5
	v_lshl_add_u32 v7, v7, 23, 0x3c000000
	v_mov_b32_e32 v23, v6
	v_and_b32_e32 v0, 0x80000000, v0
	v_or3_b32 v24, v5, v0, v7
.LBB197_892:                            ;   in Loop: Header=BB197_555 Depth=1
	s_or_b32 exec_lo, exec_lo, s22
.LBB197_893:                            ;   in Loop: Header=BB197_555 Depth=1
	s_or_b32 exec_lo, exec_lo, s21
.LBB197_894:                            ;   in Loop: Header=BB197_555 Depth=1
	s_or_b32 exec_lo, exec_lo, s18
	v_or_b32_e32 v0, v20, v18
	v_or_b32_e32 v5, v19, v17
	;; [unrolled: 1-line block ×4, first 2 shown]
	v_mul_f32_e32 v97, s17, v0
	v_mul_f32_e32 v98, s13, v5
	;; [unrolled: 1-line block ×4, first 2 shown]
	s_and_saveexec_b32 s18, vcc_lo
	s_cbranch_execz .LBB197_896
; %bb.895:                              ;   in Loop: Header=BB197_555 Depth=1
	v_cmp_gt_i32_e64 s0, s31, v57
	v_cndmask_b32_e64 v98, 0, v98, s0
	v_cmp_gt_i32_e64 s0, s31, v60
	v_cndmask_b32_e64 v97, 0, v97, s0
	v_cmp_gt_i32_e64 s0, s31, v59
	v_cndmask_b32_e64 v96, 0, v96, s0
	v_cmp_gt_i32_e64 s0, s31, v58
	v_cndmask_b32_e64 v95, 0, v95, s0
.LBB197_896:                            ;   in Loop: Header=BB197_555 Depth=1
	s_or_b32 exec_lo, exec_lo, s18
	global_load_dword v0, v[15:16], off offset:1280
	v_mov_b32_e32 v19, 0
	v_mov_b32_e32 v17, 0
	;; [unrolled: 1-line block ×4, first 2 shown]
	s_waitcnt vmcnt(0)
	v_cmp_ne_u16_sdwa s0, v0, v6 src0_sel:BYTE_0 src1_sel:DWORD
	s_and_saveexec_b32 s18, s0
	s_cbranch_execz .LBB197_904
; %bb.897:                              ;   in Loop: Header=BB197_555 Depth=1
	v_bfrev_b32_e32 v17, 1
	v_mov_b32_e32 v18, 0
	v_cmp_ne_u16_sdwa s0, v0, v45 src0_sel:BYTE_0 src1_sel:DWORD
	s_and_saveexec_b32 s21, s0
	s_cbranch_execz .LBB197_903
; %bb.898:                              ;   in Loop: Header=BB197_555 Depth=1
	v_mov_b32_e32 v17, 0x7f800001
	v_and_b32_e32 v9, 0x7f, v0
	v_mov_b32_e32 v18, 0
	s_mov_b32 s22, exec_lo
	v_cmpx_ne_u32_e32 0x7f, v9
	s_cbranch_execz .LBB197_902
; %bb.899:                              ;   in Loop: Header=BB197_555 Depth=1
	v_and_b32_e32 v5, 7, v0
	v_lshrrev_b32_e32 v7, 3, v9
	s_mov_b32 s24, exec_lo
	v_cmpx_gt_u32_e32 8, v9
; %bb.900:                              ;   in Loop: Header=BB197_555 Depth=1
	v_ffbh_u32_e32 v7, v5
	v_min_u32_e32 v7, 32, v7
	v_subrev_nc_u32_e32 v9, 28, v7
	v_sub_nc_u32_e32 v7, 29, v7
	v_lshlrev_b64 v[17:18], v9, v[5:6]
	v_and_b32_e32 v5, 7, v17
; %bb.901:                              ;   in Loop: Header=BB197_555 Depth=1
	s_or_b32 exec_lo, exec_lo, s24
	v_lshlrev_b32_e32 v9, 24, v0
	v_lshlrev_b32_e32 v5, 20, v5
	v_lshl_add_u32 v7, v7, 23, 0x3c000000
	v_and_b32_e32 v9, 0x80000000, v9
	v_or3_b32 v5, v5, v9, v7
	v_mov_b32_e32 v18, v6
	v_mov_b32_e32 v17, v5
.LBB197_902:                            ;   in Loop: Header=BB197_555 Depth=1
	s_or_b32 exec_lo, exec_lo, s22
.LBB197_903:                            ;   in Loop: Header=BB197_555 Depth=1
	s_or_b32 exec_lo, exec_lo, s21
.LBB197_904:                            ;   in Loop: Header=BB197_555 Depth=1
	s_or_b32 exec_lo, exec_lo, s18
	v_cmp_ne_u16_sdwa s0, v0, v6 src0_sel:BYTE_1 src1_sel:DWORD
	s_and_saveexec_b32 s18, s0
	s_cbranch_execz .LBB197_912
; %bb.905:                              ;   in Loop: Header=BB197_555 Depth=1
	v_mov_b32_e32 v7, v6
	v_mov_b32_e32 v20, v8
	v_cmp_ne_u16_sdwa s0, v0, v45 src0_sel:BYTE_1 src1_sel:DWORD
	v_mov_b32_e32 v19, v7
	s_and_saveexec_b32 s21, s0
	s_cbranch_execz .LBB197_911
; %bb.906:                              ;   in Loop: Header=BB197_555 Depth=1
	v_and_b32_sdwa v5, v46, v0 dst_sel:DWORD dst_unused:UNUSED_PAD src0_sel:DWORD src1_sel:BYTE_1
	v_mov_b32_e32 v9, v6
	v_mov_b32_e32 v20, v10
	s_mov_b32 s22, exec_lo
	v_and_b32_e32 v21, 0x7f, v5
	v_mov_b32_e32 v19, v9
	v_cmpx_ne_u32_e32 0x7f, v21
	s_cbranch_execz .LBB197_910
; %bb.907:                              ;   in Loop: Header=BB197_555 Depth=1
	v_and_b32_e32 v5, 7, v5
	v_lshrrev_b32_e32 v7, 3, v21
	s_mov_b32 s24, exec_lo
	v_cmpx_gt_u32_e32 8, v21
; %bb.908:                              ;   in Loop: Header=BB197_555 Depth=1
	v_ffbh_u32_e32 v7, v5
	v_min_u32_e32 v7, 32, v7
	v_subrev_nc_u32_e32 v9, 28, v7
	v_sub_nc_u32_e32 v7, 29, v7
	v_lshlrev_b64 v[19:20], v9, v[5:6]
	v_and_b32_e32 v5, 7, v19
; %bb.909:                              ;   in Loop: Header=BB197_555 Depth=1
	s_or_b32 exec_lo, exec_lo, s24
	v_lshlrev_b32_e32 v9, 16, v0
	v_lshlrev_b32_e32 v5, 20, v5
	v_lshl_add_u32 v7, v7, 23, 0x3c000000
	v_mov_b32_e32 v19, v6
	v_and_b32_e32 v9, 0x80000000, v9
	v_or3_b32 v20, v5, v9, v7
.LBB197_910:                            ;   in Loop: Header=BB197_555 Depth=1
	s_or_b32 exec_lo, exec_lo, s22
.LBB197_911:                            ;   in Loop: Header=BB197_555 Depth=1
	s_or_b32 exec_lo, exec_lo, s21
.LBB197_912:                            ;   in Loop: Header=BB197_555 Depth=1
	s_or_b32 exec_lo, exec_lo, s18
	v_mov_b32_e32 v23, 0
	v_mov_b32_e32 v21, 0
	v_and_b32_sdwa v5, v0, v47 dst_sel:DWORD dst_unused:UNUSED_PAD src0_sel:WORD_1 src1_sel:DWORD
	v_mov_b32_e32 v24, 0
	v_mov_b32_e32 v22, 0
	s_mov_b32 s18, exec_lo
	v_cmpx_ne_u16_e32 0, v5
	s_cbranch_execz .LBB197_920
; %bb.913:                              ;   in Loop: Header=BB197_555 Depth=1
	v_bfrev_b32_e32 v21, 1
	v_mov_b32_e32 v22, 0
	s_mov_b32 s21, exec_lo
	v_cmpx_ne_u16_e32 0x80, v5
	s_cbranch_execz .LBB197_919
; %bb.914:                              ;   in Loop: Header=BB197_555 Depth=1
	v_mov_b32_e32 v21, 0x7f800001
	v_bfe_u32 v9, v0, 16, 7
	v_mov_b32_e32 v22, 0
	s_mov_b32 s22, exec_lo
	v_cmpx_ne_u32_e32 0x7f, v9
	s_cbranch_execz .LBB197_918
; %bb.915:                              ;   in Loop: Header=BB197_555 Depth=1
	v_and_b32_sdwa v5, v0, v48 dst_sel:DWORD dst_unused:UNUSED_PAD src0_sel:WORD_1 src1_sel:DWORD
	v_lshrrev_b32_e32 v7, 3, v9
	s_mov_b32 s24, exec_lo
	v_cmpx_gt_u32_e32 8, v9
; %bb.916:                              ;   in Loop: Header=BB197_555 Depth=1
	v_ffbh_u32_e32 v7, v5
	v_min_u32_e32 v7, 32, v7
	v_subrev_nc_u32_e32 v9, 28, v7
	v_sub_nc_u32_e32 v7, 29, v7
	v_lshlrev_b64 v[21:22], v9, v[5:6]
	v_and_b32_e32 v5, 7, v21
; %bb.917:                              ;   in Loop: Header=BB197_555 Depth=1
	s_or_b32 exec_lo, exec_lo, s24
	v_lshlrev_b32_sdwa v9, v50, v0 dst_sel:DWORD dst_unused:UNUSED_PAD src0_sel:DWORD src1_sel:WORD_1
	v_lshlrev_b32_e32 v5, 20, v5
	v_lshl_add_u32 v7, v7, 23, 0x3c000000
	v_and_b32_e32 v9, 0x80000000, v9
	v_or3_b32 v5, v5, v9, v7
	v_mov_b32_e32 v22, v6
	v_mov_b32_e32 v21, v5
.LBB197_918:                            ;   in Loop: Header=BB197_555 Depth=1
	s_or_b32 exec_lo, exec_lo, s22
.LBB197_919:                            ;   in Loop: Header=BB197_555 Depth=1
	s_or_b32 exec_lo, exec_lo, s21
.LBB197_920:                            ;   in Loop: Header=BB197_555 Depth=1
	s_or_b32 exec_lo, exec_lo, s18
	s_mov_b32 s18, exec_lo
	v_cmpx_lt_u32_e32 0xffffff, v0
	s_cbranch_execz .LBB197_928
; %bb.921:                              ;   in Loop: Header=BB197_555 Depth=1
	v_mov_b32_e32 v7, v6
	v_mov_b32_e32 v24, v8
	v_cmp_ne_u32_sdwa s0, v0, v45 src0_sel:BYTE_3 src1_sel:DWORD
	v_mov_b32_e32 v23, v7
	s_and_saveexec_b32 s21, s0
	s_cbranch_execz .LBB197_927
; %bb.922:                              ;   in Loop: Header=BB197_555 Depth=1
	v_mov_b32_e32 v9, v6
	v_mov_b32_e32 v24, v10
	v_bfe_u32 v61, v0, 24, 7
	s_mov_b32 s22, exec_lo
	v_mov_b32_e32 v23, v9
	v_cmpx_ne_u32_e32 0x7f, v61
	s_cbranch_execz .LBB197_926
; %bb.923:                              ;   in Loop: Header=BB197_555 Depth=1
	v_and_b32_sdwa v5, v0, v48 dst_sel:DWORD dst_unused:UNUSED_PAD src0_sel:BYTE_3 src1_sel:DWORD
	v_lshrrev_b32_e32 v7, 3, v61
	s_mov_b32 s24, exec_lo
	v_cmpx_gt_u32_e32 8, v61
; %bb.924:                              ;   in Loop: Header=BB197_555 Depth=1
	v_ffbh_u32_e32 v7, v5
	v_min_u32_e32 v7, 32, v7
	v_subrev_nc_u32_e32 v9, 28, v7
	v_sub_nc_u32_e32 v7, 29, v7
	v_lshlrev_b64 v[23:24], v9, v[5:6]
	v_and_b32_e32 v5, 7, v23
; %bb.925:                              ;   in Loop: Header=BB197_555 Depth=1
	s_or_b32 exec_lo, exec_lo, s24
	v_lshlrev_b32_sdwa v0, v50, v0 dst_sel:DWORD dst_unused:UNUSED_PAD src0_sel:DWORD src1_sel:BYTE_3
	v_lshlrev_b32_e32 v5, 20, v5
	v_lshl_add_u32 v7, v7, 23, 0x3c000000
	v_mov_b32_e32 v23, v6
	v_and_b32_e32 v0, 0x80000000, v0
	v_or3_b32 v24, v5, v0, v7
.LBB197_926:                            ;   in Loop: Header=BB197_555 Depth=1
	s_or_b32 exec_lo, exec_lo, s22
.LBB197_927:                            ;   in Loop: Header=BB197_555 Depth=1
	s_or_b32 exec_lo, exec_lo, s21
.LBB197_928:                            ;   in Loop: Header=BB197_555 Depth=1
	s_or_b32 exec_lo, exec_lo, s18
	v_or_b32_e32 v0, v20, v18
	v_or_b32_e32 v5, v19, v17
	;; [unrolled: 1-line block ×4, first 2 shown]
	v_mul_f32_e32 v101, s17, v0
	v_mul_f32_e32 v102, s13, v5
	;; [unrolled: 1-line block ×4, first 2 shown]
	s_and_saveexec_b32 s18, vcc_lo
	s_cbranch_execz .LBB197_930
; %bb.929:                              ;   in Loop: Header=BB197_555 Depth=1
	v_cmp_gt_i32_e64 s0, s31, v57
	v_cndmask_b32_e64 v102, 0, v102, s0
	v_cmp_gt_i32_e64 s0, s31, v60
	v_cndmask_b32_e64 v101, 0, v101, s0
	;; [unrolled: 2-line block ×4, first 2 shown]
.LBB197_930:                            ;   in Loop: Header=BB197_555 Depth=1
	s_or_b32 exec_lo, exec_lo, s18
	global_load_dword v0, v[15:16], off offset:1408
	v_mov_b32_e32 v19, 0
	v_mov_b32_e32 v17, 0
	;; [unrolled: 1-line block ×4, first 2 shown]
	s_waitcnt vmcnt(0)
	v_cmp_ne_u16_sdwa s0, v0, v6 src0_sel:BYTE_0 src1_sel:DWORD
	s_and_saveexec_b32 s18, s0
	s_cbranch_execz .LBB197_938
; %bb.931:                              ;   in Loop: Header=BB197_555 Depth=1
	v_bfrev_b32_e32 v17, 1
	v_mov_b32_e32 v18, 0
	v_cmp_ne_u16_sdwa s0, v0, v45 src0_sel:BYTE_0 src1_sel:DWORD
	s_and_saveexec_b32 s21, s0
	s_cbranch_execz .LBB197_937
; %bb.932:                              ;   in Loop: Header=BB197_555 Depth=1
	v_mov_b32_e32 v17, 0x7f800001
	v_and_b32_e32 v9, 0x7f, v0
	v_mov_b32_e32 v18, 0
	s_mov_b32 s22, exec_lo
	v_cmpx_ne_u32_e32 0x7f, v9
	s_cbranch_execz .LBB197_936
; %bb.933:                              ;   in Loop: Header=BB197_555 Depth=1
	v_and_b32_e32 v5, 7, v0
	v_lshrrev_b32_e32 v7, 3, v9
	s_mov_b32 s24, exec_lo
	v_cmpx_gt_u32_e32 8, v9
; %bb.934:                              ;   in Loop: Header=BB197_555 Depth=1
	v_ffbh_u32_e32 v7, v5
	v_min_u32_e32 v7, 32, v7
	v_subrev_nc_u32_e32 v9, 28, v7
	v_sub_nc_u32_e32 v7, 29, v7
	v_lshlrev_b64 v[17:18], v9, v[5:6]
	v_and_b32_e32 v5, 7, v17
; %bb.935:                              ;   in Loop: Header=BB197_555 Depth=1
	s_or_b32 exec_lo, exec_lo, s24
	v_lshlrev_b32_e32 v9, 24, v0
	v_lshlrev_b32_e32 v5, 20, v5
	v_lshl_add_u32 v7, v7, 23, 0x3c000000
	v_and_b32_e32 v9, 0x80000000, v9
	v_or3_b32 v5, v5, v9, v7
	v_mov_b32_e32 v18, v6
	v_mov_b32_e32 v17, v5
.LBB197_936:                            ;   in Loop: Header=BB197_555 Depth=1
	s_or_b32 exec_lo, exec_lo, s22
.LBB197_937:                            ;   in Loop: Header=BB197_555 Depth=1
	s_or_b32 exec_lo, exec_lo, s21
.LBB197_938:                            ;   in Loop: Header=BB197_555 Depth=1
	s_or_b32 exec_lo, exec_lo, s18
	v_cmp_ne_u16_sdwa s0, v0, v6 src0_sel:BYTE_1 src1_sel:DWORD
	s_and_saveexec_b32 s18, s0
	s_cbranch_execz .LBB197_946
; %bb.939:                              ;   in Loop: Header=BB197_555 Depth=1
	v_mov_b32_e32 v7, v6
	v_mov_b32_e32 v20, v8
	v_cmp_ne_u16_sdwa s0, v0, v45 src0_sel:BYTE_1 src1_sel:DWORD
	v_mov_b32_e32 v19, v7
	s_and_saveexec_b32 s21, s0
	s_cbranch_execz .LBB197_945
; %bb.940:                              ;   in Loop: Header=BB197_555 Depth=1
	v_and_b32_sdwa v5, v46, v0 dst_sel:DWORD dst_unused:UNUSED_PAD src0_sel:DWORD src1_sel:BYTE_1
	v_mov_b32_e32 v9, v6
	v_mov_b32_e32 v20, v10
	s_mov_b32 s22, exec_lo
	v_and_b32_e32 v21, 0x7f, v5
	v_mov_b32_e32 v19, v9
	v_cmpx_ne_u32_e32 0x7f, v21
	s_cbranch_execz .LBB197_944
; %bb.941:                              ;   in Loop: Header=BB197_555 Depth=1
	v_and_b32_e32 v5, 7, v5
	v_lshrrev_b32_e32 v7, 3, v21
	s_mov_b32 s24, exec_lo
	v_cmpx_gt_u32_e32 8, v21
; %bb.942:                              ;   in Loop: Header=BB197_555 Depth=1
	v_ffbh_u32_e32 v7, v5
	v_min_u32_e32 v7, 32, v7
	v_subrev_nc_u32_e32 v9, 28, v7
	v_sub_nc_u32_e32 v7, 29, v7
	v_lshlrev_b64 v[19:20], v9, v[5:6]
	v_and_b32_e32 v5, 7, v19
; %bb.943:                              ;   in Loop: Header=BB197_555 Depth=1
	s_or_b32 exec_lo, exec_lo, s24
	v_lshlrev_b32_e32 v9, 16, v0
	v_lshlrev_b32_e32 v5, 20, v5
	v_lshl_add_u32 v7, v7, 23, 0x3c000000
	v_mov_b32_e32 v19, v6
	v_and_b32_e32 v9, 0x80000000, v9
	v_or3_b32 v20, v5, v9, v7
.LBB197_944:                            ;   in Loop: Header=BB197_555 Depth=1
	s_or_b32 exec_lo, exec_lo, s22
.LBB197_945:                            ;   in Loop: Header=BB197_555 Depth=1
	s_or_b32 exec_lo, exec_lo, s21
.LBB197_946:                            ;   in Loop: Header=BB197_555 Depth=1
	s_or_b32 exec_lo, exec_lo, s18
	v_mov_b32_e32 v23, 0
	v_mov_b32_e32 v21, 0
	v_and_b32_sdwa v5, v0, v47 dst_sel:DWORD dst_unused:UNUSED_PAD src0_sel:WORD_1 src1_sel:DWORD
	v_mov_b32_e32 v24, 0
	v_mov_b32_e32 v22, 0
	s_mov_b32 s18, exec_lo
	v_cmpx_ne_u16_e32 0, v5
	s_cbranch_execz .LBB197_954
; %bb.947:                              ;   in Loop: Header=BB197_555 Depth=1
	v_bfrev_b32_e32 v21, 1
	v_mov_b32_e32 v22, 0
	s_mov_b32 s21, exec_lo
	v_cmpx_ne_u16_e32 0x80, v5
	s_cbranch_execz .LBB197_953
; %bb.948:                              ;   in Loop: Header=BB197_555 Depth=1
	v_mov_b32_e32 v21, 0x7f800001
	v_bfe_u32 v9, v0, 16, 7
	v_mov_b32_e32 v22, 0
	s_mov_b32 s22, exec_lo
	v_cmpx_ne_u32_e32 0x7f, v9
	s_cbranch_execz .LBB197_952
; %bb.949:                              ;   in Loop: Header=BB197_555 Depth=1
	v_and_b32_sdwa v5, v0, v48 dst_sel:DWORD dst_unused:UNUSED_PAD src0_sel:WORD_1 src1_sel:DWORD
	v_lshrrev_b32_e32 v7, 3, v9
	s_mov_b32 s24, exec_lo
	v_cmpx_gt_u32_e32 8, v9
; %bb.950:                              ;   in Loop: Header=BB197_555 Depth=1
	v_ffbh_u32_e32 v7, v5
	v_min_u32_e32 v7, 32, v7
	v_subrev_nc_u32_e32 v9, 28, v7
	v_sub_nc_u32_e32 v7, 29, v7
	v_lshlrev_b64 v[21:22], v9, v[5:6]
	v_and_b32_e32 v5, 7, v21
; %bb.951:                              ;   in Loop: Header=BB197_555 Depth=1
	s_or_b32 exec_lo, exec_lo, s24
	v_lshlrev_b32_sdwa v9, v50, v0 dst_sel:DWORD dst_unused:UNUSED_PAD src0_sel:DWORD src1_sel:WORD_1
	v_lshlrev_b32_e32 v5, 20, v5
	v_lshl_add_u32 v7, v7, 23, 0x3c000000
	v_and_b32_e32 v9, 0x80000000, v9
	v_or3_b32 v5, v5, v9, v7
	v_mov_b32_e32 v22, v6
	v_mov_b32_e32 v21, v5
.LBB197_952:                            ;   in Loop: Header=BB197_555 Depth=1
	s_or_b32 exec_lo, exec_lo, s22
.LBB197_953:                            ;   in Loop: Header=BB197_555 Depth=1
	s_or_b32 exec_lo, exec_lo, s21
.LBB197_954:                            ;   in Loop: Header=BB197_555 Depth=1
	s_or_b32 exec_lo, exec_lo, s18
	s_mov_b32 s18, exec_lo
	v_cmpx_lt_u32_e32 0xffffff, v0
	s_cbranch_execz .LBB197_962
; %bb.955:                              ;   in Loop: Header=BB197_555 Depth=1
	v_mov_b32_e32 v7, v6
	v_mov_b32_e32 v24, v8
	v_cmp_ne_u32_sdwa s0, v0, v45 src0_sel:BYTE_3 src1_sel:DWORD
	v_mov_b32_e32 v23, v7
	s_and_saveexec_b32 s21, s0
	s_cbranch_execz .LBB197_961
; %bb.956:                              ;   in Loop: Header=BB197_555 Depth=1
	v_mov_b32_e32 v9, v6
	v_mov_b32_e32 v24, v10
	v_bfe_u32 v61, v0, 24, 7
	s_mov_b32 s22, exec_lo
	v_mov_b32_e32 v23, v9
	v_cmpx_ne_u32_e32 0x7f, v61
	s_cbranch_execz .LBB197_960
; %bb.957:                              ;   in Loop: Header=BB197_555 Depth=1
	v_and_b32_sdwa v5, v0, v48 dst_sel:DWORD dst_unused:UNUSED_PAD src0_sel:BYTE_3 src1_sel:DWORD
	v_lshrrev_b32_e32 v7, 3, v61
	s_mov_b32 s24, exec_lo
	v_cmpx_gt_u32_e32 8, v61
; %bb.958:                              ;   in Loop: Header=BB197_555 Depth=1
	v_ffbh_u32_e32 v7, v5
	v_min_u32_e32 v7, 32, v7
	v_subrev_nc_u32_e32 v9, 28, v7
	v_sub_nc_u32_e32 v7, 29, v7
	v_lshlrev_b64 v[23:24], v9, v[5:6]
	v_and_b32_e32 v5, 7, v23
; %bb.959:                              ;   in Loop: Header=BB197_555 Depth=1
	s_or_b32 exec_lo, exec_lo, s24
	v_lshlrev_b32_sdwa v0, v50, v0 dst_sel:DWORD dst_unused:UNUSED_PAD src0_sel:DWORD src1_sel:BYTE_3
	v_lshlrev_b32_e32 v5, 20, v5
	v_lshl_add_u32 v7, v7, 23, 0x3c000000
	v_mov_b32_e32 v23, v6
	v_and_b32_e32 v0, 0x80000000, v0
	v_or3_b32 v24, v5, v0, v7
.LBB197_960:                            ;   in Loop: Header=BB197_555 Depth=1
	s_or_b32 exec_lo, exec_lo, s22
.LBB197_961:                            ;   in Loop: Header=BB197_555 Depth=1
	s_or_b32 exec_lo, exec_lo, s21
.LBB197_962:                            ;   in Loop: Header=BB197_555 Depth=1
	s_or_b32 exec_lo, exec_lo, s18
	v_or_b32_e32 v0, v20, v18
	v_or_b32_e32 v5, v19, v17
	v_or_b32_e32 v7, v23, v21
	v_or_b32_e32 v9, v24, v22
	v_mul_f32_e32 v105, s17, v0
	v_mul_f32_e32 v106, s13, v5
	;; [unrolled: 1-line block ×4, first 2 shown]
	s_and_saveexec_b32 s18, vcc_lo
	s_cbranch_execz .LBB197_964
; %bb.963:                              ;   in Loop: Header=BB197_555 Depth=1
	v_cmp_gt_i32_e64 s0, s31, v57
	v_cndmask_b32_e64 v106, 0, v106, s0
	v_cmp_gt_i32_e64 s0, s31, v60
	v_cndmask_b32_e64 v105, 0, v105, s0
	;; [unrolled: 2-line block ×4, first 2 shown]
.LBB197_964:                            ;   in Loop: Header=BB197_555 Depth=1
	s_or_b32 exec_lo, exec_lo, s18
	global_load_dword v0, v[15:16], off offset:1536
	v_mov_b32_e32 v19, 0
	v_mov_b32_e32 v17, 0
	v_mov_b32_e32 v20, 0
	v_mov_b32_e32 v18, 0
	s_waitcnt vmcnt(0)
	v_cmp_ne_u16_sdwa s0, v0, v6 src0_sel:BYTE_0 src1_sel:DWORD
	s_and_saveexec_b32 s18, s0
	s_cbranch_execz .LBB197_972
; %bb.965:                              ;   in Loop: Header=BB197_555 Depth=1
	v_bfrev_b32_e32 v17, 1
	v_mov_b32_e32 v18, 0
	v_cmp_ne_u16_sdwa s0, v0, v45 src0_sel:BYTE_0 src1_sel:DWORD
	s_and_saveexec_b32 s21, s0
	s_cbranch_execz .LBB197_971
; %bb.966:                              ;   in Loop: Header=BB197_555 Depth=1
	v_mov_b32_e32 v17, 0x7f800001
	v_and_b32_e32 v9, 0x7f, v0
	v_mov_b32_e32 v18, 0
	s_mov_b32 s22, exec_lo
	v_cmpx_ne_u32_e32 0x7f, v9
	s_cbranch_execz .LBB197_970
; %bb.967:                              ;   in Loop: Header=BB197_555 Depth=1
	v_and_b32_e32 v5, 7, v0
	v_lshrrev_b32_e32 v7, 3, v9
	s_mov_b32 s24, exec_lo
	v_cmpx_gt_u32_e32 8, v9
; %bb.968:                              ;   in Loop: Header=BB197_555 Depth=1
	v_ffbh_u32_e32 v7, v5
	v_min_u32_e32 v7, 32, v7
	v_subrev_nc_u32_e32 v9, 28, v7
	v_sub_nc_u32_e32 v7, 29, v7
	v_lshlrev_b64 v[17:18], v9, v[5:6]
	v_and_b32_e32 v5, 7, v17
; %bb.969:                              ;   in Loop: Header=BB197_555 Depth=1
	s_or_b32 exec_lo, exec_lo, s24
	v_lshlrev_b32_e32 v9, 24, v0
	v_lshlrev_b32_e32 v5, 20, v5
	v_lshl_add_u32 v7, v7, 23, 0x3c000000
	v_and_b32_e32 v9, 0x80000000, v9
	v_or3_b32 v5, v5, v9, v7
	v_mov_b32_e32 v18, v6
	v_mov_b32_e32 v17, v5
.LBB197_970:                            ;   in Loop: Header=BB197_555 Depth=1
	s_or_b32 exec_lo, exec_lo, s22
.LBB197_971:                            ;   in Loop: Header=BB197_555 Depth=1
	s_or_b32 exec_lo, exec_lo, s21
.LBB197_972:                            ;   in Loop: Header=BB197_555 Depth=1
	s_or_b32 exec_lo, exec_lo, s18
	v_cmp_ne_u16_sdwa s0, v0, v6 src0_sel:BYTE_1 src1_sel:DWORD
	s_and_saveexec_b32 s18, s0
	s_cbranch_execz .LBB197_980
; %bb.973:                              ;   in Loop: Header=BB197_555 Depth=1
	v_mov_b32_e32 v7, v6
	v_mov_b32_e32 v20, v8
	v_cmp_ne_u16_sdwa s0, v0, v45 src0_sel:BYTE_1 src1_sel:DWORD
	v_mov_b32_e32 v19, v7
	s_and_saveexec_b32 s21, s0
	s_cbranch_execz .LBB197_979
; %bb.974:                              ;   in Loop: Header=BB197_555 Depth=1
	v_and_b32_sdwa v5, v46, v0 dst_sel:DWORD dst_unused:UNUSED_PAD src0_sel:DWORD src1_sel:BYTE_1
	v_mov_b32_e32 v9, v6
	v_mov_b32_e32 v20, v10
	s_mov_b32 s22, exec_lo
	v_and_b32_e32 v21, 0x7f, v5
	v_mov_b32_e32 v19, v9
	v_cmpx_ne_u32_e32 0x7f, v21
	s_cbranch_execz .LBB197_978
; %bb.975:                              ;   in Loop: Header=BB197_555 Depth=1
	v_and_b32_e32 v5, 7, v5
	v_lshrrev_b32_e32 v7, 3, v21
	s_mov_b32 s24, exec_lo
	v_cmpx_gt_u32_e32 8, v21
; %bb.976:                              ;   in Loop: Header=BB197_555 Depth=1
	v_ffbh_u32_e32 v7, v5
	v_min_u32_e32 v7, 32, v7
	v_subrev_nc_u32_e32 v9, 28, v7
	v_sub_nc_u32_e32 v7, 29, v7
	v_lshlrev_b64 v[19:20], v9, v[5:6]
	v_and_b32_e32 v5, 7, v19
; %bb.977:                              ;   in Loop: Header=BB197_555 Depth=1
	s_or_b32 exec_lo, exec_lo, s24
	v_lshlrev_b32_e32 v9, 16, v0
	v_lshlrev_b32_e32 v5, 20, v5
	v_lshl_add_u32 v7, v7, 23, 0x3c000000
	v_mov_b32_e32 v19, v6
	v_and_b32_e32 v9, 0x80000000, v9
	v_or3_b32 v20, v5, v9, v7
.LBB197_978:                            ;   in Loop: Header=BB197_555 Depth=1
	s_or_b32 exec_lo, exec_lo, s22
.LBB197_979:                            ;   in Loop: Header=BB197_555 Depth=1
	s_or_b32 exec_lo, exec_lo, s21
.LBB197_980:                            ;   in Loop: Header=BB197_555 Depth=1
	s_or_b32 exec_lo, exec_lo, s18
	v_mov_b32_e32 v23, 0
	v_mov_b32_e32 v21, 0
	v_and_b32_sdwa v5, v0, v47 dst_sel:DWORD dst_unused:UNUSED_PAD src0_sel:WORD_1 src1_sel:DWORD
	v_mov_b32_e32 v24, 0
	v_mov_b32_e32 v22, 0
	s_mov_b32 s18, exec_lo
	v_cmpx_ne_u16_e32 0, v5
	s_cbranch_execz .LBB197_988
; %bb.981:                              ;   in Loop: Header=BB197_555 Depth=1
	v_bfrev_b32_e32 v21, 1
	v_mov_b32_e32 v22, 0
	s_mov_b32 s21, exec_lo
	v_cmpx_ne_u16_e32 0x80, v5
	s_cbranch_execz .LBB197_987
; %bb.982:                              ;   in Loop: Header=BB197_555 Depth=1
	v_mov_b32_e32 v21, 0x7f800001
	v_bfe_u32 v9, v0, 16, 7
	v_mov_b32_e32 v22, 0
	s_mov_b32 s22, exec_lo
	v_cmpx_ne_u32_e32 0x7f, v9
	s_cbranch_execz .LBB197_986
; %bb.983:                              ;   in Loop: Header=BB197_555 Depth=1
	v_and_b32_sdwa v5, v0, v48 dst_sel:DWORD dst_unused:UNUSED_PAD src0_sel:WORD_1 src1_sel:DWORD
	v_lshrrev_b32_e32 v7, 3, v9
	s_mov_b32 s24, exec_lo
	v_cmpx_gt_u32_e32 8, v9
; %bb.984:                              ;   in Loop: Header=BB197_555 Depth=1
	v_ffbh_u32_e32 v7, v5
	v_min_u32_e32 v7, 32, v7
	v_subrev_nc_u32_e32 v9, 28, v7
	v_sub_nc_u32_e32 v7, 29, v7
	v_lshlrev_b64 v[21:22], v9, v[5:6]
	v_and_b32_e32 v5, 7, v21
; %bb.985:                              ;   in Loop: Header=BB197_555 Depth=1
	s_or_b32 exec_lo, exec_lo, s24
	v_lshlrev_b32_sdwa v9, v50, v0 dst_sel:DWORD dst_unused:UNUSED_PAD src0_sel:DWORD src1_sel:WORD_1
	v_lshlrev_b32_e32 v5, 20, v5
	v_lshl_add_u32 v7, v7, 23, 0x3c000000
	v_and_b32_e32 v9, 0x80000000, v9
	v_or3_b32 v5, v5, v9, v7
	v_mov_b32_e32 v22, v6
	v_mov_b32_e32 v21, v5
.LBB197_986:                            ;   in Loop: Header=BB197_555 Depth=1
	s_or_b32 exec_lo, exec_lo, s22
.LBB197_987:                            ;   in Loop: Header=BB197_555 Depth=1
	s_or_b32 exec_lo, exec_lo, s21
.LBB197_988:                            ;   in Loop: Header=BB197_555 Depth=1
	s_or_b32 exec_lo, exec_lo, s18
	s_mov_b32 s18, exec_lo
	v_cmpx_lt_u32_e32 0xffffff, v0
	s_cbranch_execz .LBB197_996
; %bb.989:                              ;   in Loop: Header=BB197_555 Depth=1
	v_mov_b32_e32 v7, v6
	v_mov_b32_e32 v24, v8
	v_cmp_ne_u32_sdwa s0, v0, v45 src0_sel:BYTE_3 src1_sel:DWORD
	v_mov_b32_e32 v23, v7
	s_and_saveexec_b32 s21, s0
	s_cbranch_execz .LBB197_995
; %bb.990:                              ;   in Loop: Header=BB197_555 Depth=1
	v_mov_b32_e32 v9, v6
	v_mov_b32_e32 v24, v10
	v_bfe_u32 v61, v0, 24, 7
	s_mov_b32 s22, exec_lo
	v_mov_b32_e32 v23, v9
	v_cmpx_ne_u32_e32 0x7f, v61
	s_cbranch_execz .LBB197_994
; %bb.991:                              ;   in Loop: Header=BB197_555 Depth=1
	v_and_b32_sdwa v5, v0, v48 dst_sel:DWORD dst_unused:UNUSED_PAD src0_sel:BYTE_3 src1_sel:DWORD
	v_lshrrev_b32_e32 v7, 3, v61
	s_mov_b32 s24, exec_lo
	v_cmpx_gt_u32_e32 8, v61
; %bb.992:                              ;   in Loop: Header=BB197_555 Depth=1
	v_ffbh_u32_e32 v7, v5
	v_min_u32_e32 v7, 32, v7
	v_subrev_nc_u32_e32 v9, 28, v7
	v_sub_nc_u32_e32 v7, 29, v7
	v_lshlrev_b64 v[23:24], v9, v[5:6]
	v_and_b32_e32 v5, 7, v23
; %bb.993:                              ;   in Loop: Header=BB197_555 Depth=1
	s_or_b32 exec_lo, exec_lo, s24
	v_lshlrev_b32_sdwa v0, v50, v0 dst_sel:DWORD dst_unused:UNUSED_PAD src0_sel:DWORD src1_sel:BYTE_3
	v_lshlrev_b32_e32 v5, 20, v5
	v_lshl_add_u32 v7, v7, 23, 0x3c000000
	v_mov_b32_e32 v23, v6
	v_and_b32_e32 v0, 0x80000000, v0
	v_or3_b32 v24, v5, v0, v7
.LBB197_994:                            ;   in Loop: Header=BB197_555 Depth=1
	s_or_b32 exec_lo, exec_lo, s22
.LBB197_995:                            ;   in Loop: Header=BB197_555 Depth=1
	s_or_b32 exec_lo, exec_lo, s21
.LBB197_996:                            ;   in Loop: Header=BB197_555 Depth=1
	s_or_b32 exec_lo, exec_lo, s18
	v_or_b32_e32 v0, v20, v18
	v_or_b32_e32 v5, v19, v17
	;; [unrolled: 1-line block ×4, first 2 shown]
	v_mul_f32_e32 v109, s17, v0
	v_mul_f32_e32 v110, s13, v5
	v_mul_f32_e32 v108, s13, v7
	v_mul_f32_e32 v107, s17, v9
	s_and_saveexec_b32 s18, vcc_lo
	s_cbranch_execz .LBB197_998
; %bb.997:                              ;   in Loop: Header=BB197_555 Depth=1
	v_cmp_gt_i32_e64 s0, s31, v57
	v_cndmask_b32_e64 v110, 0, v110, s0
	v_cmp_gt_i32_e64 s0, s31, v60
	v_cndmask_b32_e64 v109, 0, v109, s0
	;; [unrolled: 2-line block ×4, first 2 shown]
.LBB197_998:                            ;   in Loop: Header=BB197_555 Depth=1
	s_or_b32 exec_lo, exec_lo, s18
	global_load_dword v0, v[15:16], off offset:1664
	v_mov_b32_e32 v19, 0
	v_mov_b32_e32 v17, 0
	;; [unrolled: 1-line block ×4, first 2 shown]
	s_waitcnt vmcnt(0)
	v_cmp_ne_u16_sdwa s0, v0, v6 src0_sel:BYTE_0 src1_sel:DWORD
	s_and_saveexec_b32 s18, s0
	s_cbranch_execz .LBB197_1006
; %bb.999:                              ;   in Loop: Header=BB197_555 Depth=1
	v_bfrev_b32_e32 v17, 1
	v_mov_b32_e32 v18, 0
	v_cmp_ne_u16_sdwa s0, v0, v45 src0_sel:BYTE_0 src1_sel:DWORD
	s_and_saveexec_b32 s21, s0
	s_cbranch_execz .LBB197_1005
; %bb.1000:                             ;   in Loop: Header=BB197_555 Depth=1
	v_mov_b32_e32 v17, 0x7f800001
	v_and_b32_e32 v9, 0x7f, v0
	v_mov_b32_e32 v18, 0
	s_mov_b32 s22, exec_lo
	v_cmpx_ne_u32_e32 0x7f, v9
	s_cbranch_execz .LBB197_1004
; %bb.1001:                             ;   in Loop: Header=BB197_555 Depth=1
	v_and_b32_e32 v5, 7, v0
	v_lshrrev_b32_e32 v7, 3, v9
	s_mov_b32 s24, exec_lo
	v_cmpx_gt_u32_e32 8, v9
; %bb.1002:                             ;   in Loop: Header=BB197_555 Depth=1
	v_ffbh_u32_e32 v7, v5
	v_min_u32_e32 v7, 32, v7
	v_subrev_nc_u32_e32 v9, 28, v7
	v_sub_nc_u32_e32 v7, 29, v7
	v_lshlrev_b64 v[17:18], v9, v[5:6]
	v_and_b32_e32 v5, 7, v17
; %bb.1003:                             ;   in Loop: Header=BB197_555 Depth=1
	s_or_b32 exec_lo, exec_lo, s24
	v_lshlrev_b32_e32 v9, 24, v0
	v_lshlrev_b32_e32 v5, 20, v5
	v_lshl_add_u32 v7, v7, 23, 0x3c000000
	v_and_b32_e32 v9, 0x80000000, v9
	v_or3_b32 v5, v5, v9, v7
	v_mov_b32_e32 v18, v6
	v_mov_b32_e32 v17, v5
.LBB197_1004:                           ;   in Loop: Header=BB197_555 Depth=1
	s_or_b32 exec_lo, exec_lo, s22
.LBB197_1005:                           ;   in Loop: Header=BB197_555 Depth=1
	s_or_b32 exec_lo, exec_lo, s21
.LBB197_1006:                           ;   in Loop: Header=BB197_555 Depth=1
	s_or_b32 exec_lo, exec_lo, s18
	v_cmp_ne_u16_sdwa s0, v0, v6 src0_sel:BYTE_1 src1_sel:DWORD
	s_and_saveexec_b32 s18, s0
	s_cbranch_execz .LBB197_1014
; %bb.1007:                             ;   in Loop: Header=BB197_555 Depth=1
	v_mov_b32_e32 v7, v6
	v_mov_b32_e32 v20, v8
	v_cmp_ne_u16_sdwa s0, v0, v45 src0_sel:BYTE_1 src1_sel:DWORD
	v_mov_b32_e32 v19, v7
	s_and_saveexec_b32 s21, s0
	s_cbranch_execz .LBB197_1013
; %bb.1008:                             ;   in Loop: Header=BB197_555 Depth=1
	v_and_b32_sdwa v5, v46, v0 dst_sel:DWORD dst_unused:UNUSED_PAD src0_sel:DWORD src1_sel:BYTE_1
	v_mov_b32_e32 v9, v6
	v_mov_b32_e32 v20, v10
	s_mov_b32 s22, exec_lo
	v_and_b32_e32 v21, 0x7f, v5
	v_mov_b32_e32 v19, v9
	v_cmpx_ne_u32_e32 0x7f, v21
	s_cbranch_execz .LBB197_1012
; %bb.1009:                             ;   in Loop: Header=BB197_555 Depth=1
	v_and_b32_e32 v5, 7, v5
	v_lshrrev_b32_e32 v7, 3, v21
	s_mov_b32 s24, exec_lo
	v_cmpx_gt_u32_e32 8, v21
; %bb.1010:                             ;   in Loop: Header=BB197_555 Depth=1
	v_ffbh_u32_e32 v7, v5
	v_min_u32_e32 v7, 32, v7
	v_subrev_nc_u32_e32 v9, 28, v7
	v_sub_nc_u32_e32 v7, 29, v7
	v_lshlrev_b64 v[19:20], v9, v[5:6]
	v_and_b32_e32 v5, 7, v19
; %bb.1011:                             ;   in Loop: Header=BB197_555 Depth=1
	s_or_b32 exec_lo, exec_lo, s24
	v_lshlrev_b32_e32 v9, 16, v0
	v_lshlrev_b32_e32 v5, 20, v5
	v_lshl_add_u32 v7, v7, 23, 0x3c000000
	v_mov_b32_e32 v19, v6
	v_and_b32_e32 v9, 0x80000000, v9
	v_or3_b32 v20, v5, v9, v7
.LBB197_1012:                           ;   in Loop: Header=BB197_555 Depth=1
	s_or_b32 exec_lo, exec_lo, s22
.LBB197_1013:                           ;   in Loop: Header=BB197_555 Depth=1
	s_or_b32 exec_lo, exec_lo, s21
.LBB197_1014:                           ;   in Loop: Header=BB197_555 Depth=1
	s_or_b32 exec_lo, exec_lo, s18
	v_mov_b32_e32 v23, 0
	v_mov_b32_e32 v21, 0
	v_and_b32_sdwa v5, v0, v47 dst_sel:DWORD dst_unused:UNUSED_PAD src0_sel:WORD_1 src1_sel:DWORD
	v_mov_b32_e32 v24, 0
	v_mov_b32_e32 v22, 0
	s_mov_b32 s18, exec_lo
	v_cmpx_ne_u16_e32 0, v5
	s_cbranch_execz .LBB197_1022
; %bb.1015:                             ;   in Loop: Header=BB197_555 Depth=1
	v_bfrev_b32_e32 v21, 1
	v_mov_b32_e32 v22, 0
	s_mov_b32 s21, exec_lo
	v_cmpx_ne_u16_e32 0x80, v5
	s_cbranch_execz .LBB197_1021
; %bb.1016:                             ;   in Loop: Header=BB197_555 Depth=1
	v_mov_b32_e32 v21, 0x7f800001
	v_bfe_u32 v9, v0, 16, 7
	v_mov_b32_e32 v22, 0
	s_mov_b32 s22, exec_lo
	v_cmpx_ne_u32_e32 0x7f, v9
	s_cbranch_execz .LBB197_1020
; %bb.1017:                             ;   in Loop: Header=BB197_555 Depth=1
	v_and_b32_sdwa v5, v0, v48 dst_sel:DWORD dst_unused:UNUSED_PAD src0_sel:WORD_1 src1_sel:DWORD
	v_lshrrev_b32_e32 v7, 3, v9
	s_mov_b32 s24, exec_lo
	v_cmpx_gt_u32_e32 8, v9
; %bb.1018:                             ;   in Loop: Header=BB197_555 Depth=1
	v_ffbh_u32_e32 v7, v5
	v_min_u32_e32 v7, 32, v7
	v_subrev_nc_u32_e32 v9, 28, v7
	v_sub_nc_u32_e32 v7, 29, v7
	v_lshlrev_b64 v[21:22], v9, v[5:6]
	v_and_b32_e32 v5, 7, v21
; %bb.1019:                             ;   in Loop: Header=BB197_555 Depth=1
	s_or_b32 exec_lo, exec_lo, s24
	v_lshlrev_b32_sdwa v9, v50, v0 dst_sel:DWORD dst_unused:UNUSED_PAD src0_sel:DWORD src1_sel:WORD_1
	v_lshlrev_b32_e32 v5, 20, v5
	v_lshl_add_u32 v7, v7, 23, 0x3c000000
	v_and_b32_e32 v9, 0x80000000, v9
	v_or3_b32 v5, v5, v9, v7
	v_mov_b32_e32 v22, v6
	v_mov_b32_e32 v21, v5
.LBB197_1020:                           ;   in Loop: Header=BB197_555 Depth=1
	s_or_b32 exec_lo, exec_lo, s22
.LBB197_1021:                           ;   in Loop: Header=BB197_555 Depth=1
	s_or_b32 exec_lo, exec_lo, s21
.LBB197_1022:                           ;   in Loop: Header=BB197_555 Depth=1
	s_or_b32 exec_lo, exec_lo, s18
	s_mov_b32 s18, exec_lo
	v_cmpx_lt_u32_e32 0xffffff, v0
	s_cbranch_execz .LBB197_1030
; %bb.1023:                             ;   in Loop: Header=BB197_555 Depth=1
	v_mov_b32_e32 v7, v6
	v_mov_b32_e32 v24, v8
	v_cmp_ne_u32_sdwa s0, v0, v45 src0_sel:BYTE_3 src1_sel:DWORD
	v_mov_b32_e32 v23, v7
	s_and_saveexec_b32 s21, s0
	s_cbranch_execz .LBB197_1029
; %bb.1024:                             ;   in Loop: Header=BB197_555 Depth=1
	v_mov_b32_e32 v9, v6
	v_mov_b32_e32 v24, v10
	v_bfe_u32 v61, v0, 24, 7
	s_mov_b32 s22, exec_lo
	v_mov_b32_e32 v23, v9
	v_cmpx_ne_u32_e32 0x7f, v61
	s_cbranch_execz .LBB197_1028
; %bb.1025:                             ;   in Loop: Header=BB197_555 Depth=1
	v_and_b32_sdwa v5, v0, v48 dst_sel:DWORD dst_unused:UNUSED_PAD src0_sel:BYTE_3 src1_sel:DWORD
	v_lshrrev_b32_e32 v7, 3, v61
	s_mov_b32 s24, exec_lo
	v_cmpx_gt_u32_e32 8, v61
; %bb.1026:                             ;   in Loop: Header=BB197_555 Depth=1
	v_ffbh_u32_e32 v7, v5
	v_min_u32_e32 v7, 32, v7
	v_subrev_nc_u32_e32 v9, 28, v7
	v_sub_nc_u32_e32 v7, 29, v7
	v_lshlrev_b64 v[23:24], v9, v[5:6]
	v_and_b32_e32 v5, 7, v23
; %bb.1027:                             ;   in Loop: Header=BB197_555 Depth=1
	s_or_b32 exec_lo, exec_lo, s24
	v_lshlrev_b32_sdwa v0, v50, v0 dst_sel:DWORD dst_unused:UNUSED_PAD src0_sel:DWORD src1_sel:BYTE_3
	v_lshlrev_b32_e32 v5, 20, v5
	v_lshl_add_u32 v7, v7, 23, 0x3c000000
	v_mov_b32_e32 v23, v6
	v_and_b32_e32 v0, 0x80000000, v0
	v_or3_b32 v24, v5, v0, v7
.LBB197_1028:                           ;   in Loop: Header=BB197_555 Depth=1
	s_or_b32 exec_lo, exec_lo, s22
.LBB197_1029:                           ;   in Loop: Header=BB197_555 Depth=1
	s_or_b32 exec_lo, exec_lo, s21
.LBB197_1030:                           ;   in Loop: Header=BB197_555 Depth=1
	s_or_b32 exec_lo, exec_lo, s18
	v_or_b32_e32 v0, v20, v18
	v_or_b32_e32 v5, v19, v17
	;; [unrolled: 1-line block ×4, first 2 shown]
	v_mul_f32_e32 v0, s17, v0
	v_mul_f32_e32 v112, s13, v5
	;; [unrolled: 1-line block ×4, first 2 shown]
	s_and_saveexec_b32 s18, vcc_lo
	s_cbranch_execz .LBB197_1032
; %bb.1031:                             ;   in Loop: Header=BB197_555 Depth=1
	v_cmp_gt_i32_e64 s0, s31, v57
	v_cndmask_b32_e64 v112, 0, v112, s0
	v_cmp_gt_i32_e64 s0, s31, v60
	v_cndmask_b32_e64 v0, 0, v0, s0
	;; [unrolled: 2-line block ×4, first 2 shown]
.LBB197_1032:                           ;   in Loop: Header=BB197_555 Depth=1
	s_or_b32 exec_lo, exec_lo, s18
	global_load_dword v113, v[15:16], off offset:1792
	v_mov_b32_e32 v19, 0
	v_mov_b32_e32 v17, 0
	;; [unrolled: 1-line block ×4, first 2 shown]
	s_waitcnt vmcnt(0)
	v_cmp_ne_u16_sdwa s0, v113, v6 src0_sel:BYTE_0 src1_sel:DWORD
	s_and_saveexec_b32 s18, s0
	s_cbranch_execz .LBB197_1040
; %bb.1033:                             ;   in Loop: Header=BB197_555 Depth=1
	v_bfrev_b32_e32 v17, 1
	v_mov_b32_e32 v18, 0
	v_cmp_ne_u16_sdwa s0, v113, v45 src0_sel:BYTE_0 src1_sel:DWORD
	s_and_saveexec_b32 s21, s0
	s_cbranch_execz .LBB197_1039
; %bb.1034:                             ;   in Loop: Header=BB197_555 Depth=1
	v_mov_b32_e32 v17, 0x7f800001
	v_and_b32_e32 v9, 0x7f, v113
	v_mov_b32_e32 v18, 0
	s_mov_b32 s22, exec_lo
	v_cmpx_ne_u32_e32 0x7f, v9
	s_cbranch_execz .LBB197_1038
; %bb.1035:                             ;   in Loop: Header=BB197_555 Depth=1
	v_and_b32_e32 v5, 7, v113
	v_lshrrev_b32_e32 v7, 3, v9
	s_mov_b32 s24, exec_lo
	v_cmpx_gt_u32_e32 8, v9
; %bb.1036:                             ;   in Loop: Header=BB197_555 Depth=1
	v_ffbh_u32_e32 v7, v5
	v_min_u32_e32 v7, 32, v7
	v_subrev_nc_u32_e32 v9, 28, v7
	v_sub_nc_u32_e32 v7, 29, v7
	v_lshlrev_b64 v[17:18], v9, v[5:6]
	v_and_b32_e32 v5, 7, v17
; %bb.1037:                             ;   in Loop: Header=BB197_555 Depth=1
	s_or_b32 exec_lo, exec_lo, s24
	v_lshlrev_b32_e32 v9, 24, v113
	v_lshlrev_b32_e32 v5, 20, v5
	v_lshl_add_u32 v7, v7, 23, 0x3c000000
	v_and_b32_e32 v9, 0x80000000, v9
	v_or3_b32 v5, v5, v9, v7
	v_mov_b32_e32 v18, v6
	v_mov_b32_e32 v17, v5
.LBB197_1038:                           ;   in Loop: Header=BB197_555 Depth=1
	s_or_b32 exec_lo, exec_lo, s22
.LBB197_1039:                           ;   in Loop: Header=BB197_555 Depth=1
	s_or_b32 exec_lo, exec_lo, s21
.LBB197_1040:                           ;   in Loop: Header=BB197_555 Depth=1
	s_or_b32 exec_lo, exec_lo, s18
	v_cmp_ne_u16_sdwa s0, v113, v6 src0_sel:BYTE_1 src1_sel:DWORD
	s_and_saveexec_b32 s18, s0
	s_cbranch_execz .LBB197_1048
; %bb.1041:                             ;   in Loop: Header=BB197_555 Depth=1
	v_mov_b32_e32 v7, v6
	v_mov_b32_e32 v20, v8
	v_cmp_ne_u16_sdwa s0, v113, v45 src0_sel:BYTE_1 src1_sel:DWORD
	v_mov_b32_e32 v19, v7
	s_and_saveexec_b32 s21, s0
	s_cbranch_execz .LBB197_1047
; %bb.1042:                             ;   in Loop: Header=BB197_555 Depth=1
	v_and_b32_sdwa v5, v46, v113 dst_sel:DWORD dst_unused:UNUSED_PAD src0_sel:DWORD src1_sel:BYTE_1
	v_mov_b32_e32 v9, v6
	v_mov_b32_e32 v20, v10
	s_mov_b32 s22, exec_lo
	v_and_b32_e32 v21, 0x7f, v5
	v_mov_b32_e32 v19, v9
	v_cmpx_ne_u32_e32 0x7f, v21
	s_cbranch_execz .LBB197_1046
; %bb.1043:                             ;   in Loop: Header=BB197_555 Depth=1
	v_and_b32_e32 v5, 7, v5
	v_lshrrev_b32_e32 v7, 3, v21
	s_mov_b32 s24, exec_lo
	v_cmpx_gt_u32_e32 8, v21
; %bb.1044:                             ;   in Loop: Header=BB197_555 Depth=1
	v_ffbh_u32_e32 v7, v5
	v_min_u32_e32 v7, 32, v7
	v_subrev_nc_u32_e32 v9, 28, v7
	v_sub_nc_u32_e32 v7, 29, v7
	v_lshlrev_b64 v[19:20], v9, v[5:6]
	v_and_b32_e32 v5, 7, v19
; %bb.1045:                             ;   in Loop: Header=BB197_555 Depth=1
	s_or_b32 exec_lo, exec_lo, s24
	v_lshlrev_b32_e32 v9, 16, v113
	v_lshlrev_b32_e32 v5, 20, v5
	v_lshl_add_u32 v7, v7, 23, 0x3c000000
	v_mov_b32_e32 v19, v6
	v_and_b32_e32 v9, 0x80000000, v9
	v_or3_b32 v20, v5, v9, v7
.LBB197_1046:                           ;   in Loop: Header=BB197_555 Depth=1
	s_or_b32 exec_lo, exec_lo, s22
.LBB197_1047:                           ;   in Loop: Header=BB197_555 Depth=1
	s_or_b32 exec_lo, exec_lo, s21
.LBB197_1048:                           ;   in Loop: Header=BB197_555 Depth=1
	s_or_b32 exec_lo, exec_lo, s18
	v_mov_b32_e32 v23, 0
	v_mov_b32_e32 v21, 0
	v_and_b32_sdwa v5, v113, v47 dst_sel:DWORD dst_unused:UNUSED_PAD src0_sel:WORD_1 src1_sel:DWORD
	v_mov_b32_e32 v24, 0
	v_mov_b32_e32 v22, 0
	s_mov_b32 s18, exec_lo
	v_cmpx_ne_u16_e32 0, v5
	s_cbranch_execz .LBB197_1056
; %bb.1049:                             ;   in Loop: Header=BB197_555 Depth=1
	v_bfrev_b32_e32 v21, 1
	v_mov_b32_e32 v22, 0
	s_mov_b32 s21, exec_lo
	v_cmpx_ne_u16_e32 0x80, v5
	s_cbranch_execz .LBB197_1055
; %bb.1050:                             ;   in Loop: Header=BB197_555 Depth=1
	v_mov_b32_e32 v21, 0x7f800001
	v_bfe_u32 v9, v113, 16, 7
	v_mov_b32_e32 v22, 0
	s_mov_b32 s22, exec_lo
	v_cmpx_ne_u32_e32 0x7f, v9
	s_cbranch_execz .LBB197_1054
; %bb.1051:                             ;   in Loop: Header=BB197_555 Depth=1
	v_and_b32_sdwa v5, v113, v48 dst_sel:DWORD dst_unused:UNUSED_PAD src0_sel:WORD_1 src1_sel:DWORD
	v_lshrrev_b32_e32 v7, 3, v9
	s_mov_b32 s24, exec_lo
	v_cmpx_gt_u32_e32 8, v9
; %bb.1052:                             ;   in Loop: Header=BB197_555 Depth=1
	v_ffbh_u32_e32 v7, v5
	v_min_u32_e32 v7, 32, v7
	v_subrev_nc_u32_e32 v9, 28, v7
	v_sub_nc_u32_e32 v7, 29, v7
	v_lshlrev_b64 v[21:22], v9, v[5:6]
	v_and_b32_e32 v5, 7, v21
; %bb.1053:                             ;   in Loop: Header=BB197_555 Depth=1
	s_or_b32 exec_lo, exec_lo, s24
	v_lshlrev_b32_sdwa v9, v50, v113 dst_sel:DWORD dst_unused:UNUSED_PAD src0_sel:DWORD src1_sel:WORD_1
	v_lshlrev_b32_e32 v5, 20, v5
	v_lshl_add_u32 v7, v7, 23, 0x3c000000
	v_and_b32_e32 v9, 0x80000000, v9
	v_or3_b32 v5, v5, v9, v7
	v_mov_b32_e32 v22, v6
	v_mov_b32_e32 v21, v5
.LBB197_1054:                           ;   in Loop: Header=BB197_555 Depth=1
	s_or_b32 exec_lo, exec_lo, s22
.LBB197_1055:                           ;   in Loop: Header=BB197_555 Depth=1
	s_or_b32 exec_lo, exec_lo, s21
.LBB197_1056:                           ;   in Loop: Header=BB197_555 Depth=1
	s_or_b32 exec_lo, exec_lo, s18
	s_mov_b32 s18, exec_lo
	v_cmpx_lt_u32_e32 0xffffff, v113
	s_cbranch_execz .LBB197_1064
; %bb.1057:                             ;   in Loop: Header=BB197_555 Depth=1
	v_mov_b32_e32 v7, v6
	v_mov_b32_e32 v24, v8
	v_cmp_ne_u32_sdwa s0, v113, v45 src0_sel:BYTE_3 src1_sel:DWORD
	v_mov_b32_e32 v23, v7
	s_and_saveexec_b32 s21, s0
	s_cbranch_execz .LBB197_1063
; %bb.1058:                             ;   in Loop: Header=BB197_555 Depth=1
	v_mov_b32_e32 v9, v6
	v_mov_b32_e32 v24, v10
	v_bfe_u32 v114, v113, 24, 7
	s_mov_b32 s22, exec_lo
	v_mov_b32_e32 v23, v9
	v_cmpx_ne_u32_e32 0x7f, v114
	s_cbranch_execz .LBB197_1062
; %bb.1059:                             ;   in Loop: Header=BB197_555 Depth=1
	v_and_b32_sdwa v5, v113, v48 dst_sel:DWORD dst_unused:UNUSED_PAD src0_sel:BYTE_3 src1_sel:DWORD
	v_lshrrev_b32_e32 v7, 3, v114
	s_mov_b32 s24, exec_lo
	v_cmpx_gt_u32_e32 8, v114
; %bb.1060:                             ;   in Loop: Header=BB197_555 Depth=1
	v_ffbh_u32_e32 v7, v5
	v_min_u32_e32 v7, 32, v7
	v_subrev_nc_u32_e32 v9, 28, v7
	v_sub_nc_u32_e32 v7, 29, v7
	v_lshlrev_b64 v[23:24], v9, v[5:6]
	v_and_b32_e32 v5, 7, v23
; %bb.1061:                             ;   in Loop: Header=BB197_555 Depth=1
	s_or_b32 exec_lo, exec_lo, s24
	v_lshlrev_b32_sdwa v9, v50, v113 dst_sel:DWORD dst_unused:UNUSED_PAD src0_sel:DWORD src1_sel:BYTE_3
	v_lshlrev_b32_e32 v5, 20, v5
	v_lshl_add_u32 v7, v7, 23, 0x3c000000
	v_mov_b32_e32 v23, v6
	v_and_b32_e32 v9, 0x80000000, v9
	v_or3_b32 v24, v5, v9, v7
.LBB197_1062:                           ;   in Loop: Header=BB197_555 Depth=1
	s_or_b32 exec_lo, exec_lo, s22
.LBB197_1063:                           ;   in Loop: Header=BB197_555 Depth=1
	s_or_b32 exec_lo, exec_lo, s21
.LBB197_1064:                           ;   in Loop: Header=BB197_555 Depth=1
	s_or_b32 exec_lo, exec_lo, s18
	v_or_b32_e32 v5, v20, v18
	v_or_b32_e32 v7, v19, v17
	;; [unrolled: 1-line block ×4, first 2 shown]
	v_mul_f32_e32 v113, s17, v5
	v_mul_f32_e32 v114, s13, v7
	;; [unrolled: 1-line block ×4, first 2 shown]
	s_and_saveexec_b32 s18, vcc_lo
	s_cbranch_execz .LBB197_1066
; %bb.1065:                             ;   in Loop: Header=BB197_555 Depth=1
	v_cmp_gt_i32_e64 s0, s31, v57
	v_cndmask_b32_e64 v114, 0, v114, s0
	v_cmp_gt_i32_e64 s0, s31, v60
	v_cndmask_b32_e64 v113, 0, v113, s0
	;; [unrolled: 2-line block ×4, first 2 shown]
.LBB197_1066:                           ;   in Loop: Header=BB197_555 Depth=1
	s_or_b32 exec_lo, exec_lo, s18
	global_load_dword v115, v[15:16], off offset:1920
	v_mov_b32_e32 v17, 0
	v_mov_b32_e32 v15, 0
	;; [unrolled: 1-line block ×4, first 2 shown]
	s_waitcnt vmcnt(0)
	v_cmp_ne_u16_sdwa s0, v115, v6 src0_sel:BYTE_0 src1_sel:DWORD
	s_and_saveexec_b32 s18, s0
	s_cbranch_execz .LBB197_1074
; %bb.1067:                             ;   in Loop: Header=BB197_555 Depth=1
	v_bfrev_b32_e32 v15, 1
	v_mov_b32_e32 v16, 0
	v_cmp_ne_u16_sdwa s0, v115, v45 src0_sel:BYTE_0 src1_sel:DWORD
	s_and_saveexec_b32 s21, s0
	s_cbranch_execz .LBB197_1073
; %bb.1068:                             ;   in Loop: Header=BB197_555 Depth=1
	v_mov_b32_e32 v15, 0x7f800001
	v_and_b32_e32 v9, 0x7f, v115
	v_mov_b32_e32 v16, 0
	s_mov_b32 s22, exec_lo
	v_cmpx_ne_u32_e32 0x7f, v9
	s_cbranch_execz .LBB197_1072
; %bb.1069:                             ;   in Loop: Header=BB197_555 Depth=1
	v_and_b32_e32 v5, 7, v115
	v_lshrrev_b32_e32 v7, 3, v9
	s_mov_b32 s24, exec_lo
	v_cmpx_gt_u32_e32 8, v9
; %bb.1070:                             ;   in Loop: Header=BB197_555 Depth=1
	v_ffbh_u32_e32 v7, v5
	v_min_u32_e32 v7, 32, v7
	v_subrev_nc_u32_e32 v9, 28, v7
	v_sub_nc_u32_e32 v7, 29, v7
	v_lshlrev_b64 v[15:16], v9, v[5:6]
	v_and_b32_e32 v5, 7, v15
; %bb.1071:                             ;   in Loop: Header=BB197_555 Depth=1
	s_or_b32 exec_lo, exec_lo, s24
	v_lshlrev_b32_e32 v9, 24, v115
	v_lshlrev_b32_e32 v5, 20, v5
	v_lshl_add_u32 v7, v7, 23, 0x3c000000
	v_and_b32_e32 v9, 0x80000000, v9
	v_or3_b32 v5, v5, v9, v7
	v_mov_b32_e32 v16, v6
	v_mov_b32_e32 v15, v5
.LBB197_1072:                           ;   in Loop: Header=BB197_555 Depth=1
	s_or_b32 exec_lo, exec_lo, s22
.LBB197_1073:                           ;   in Loop: Header=BB197_555 Depth=1
	s_or_b32 exec_lo, exec_lo, s21
.LBB197_1074:                           ;   in Loop: Header=BB197_555 Depth=1
	s_or_b32 exec_lo, exec_lo, s18
	v_cmp_ne_u16_sdwa s0, v115, v6 src0_sel:BYTE_1 src1_sel:DWORD
	s_and_saveexec_b32 s18, s0
	s_cbranch_execz .LBB197_1082
; %bb.1075:                             ;   in Loop: Header=BB197_555 Depth=1
	v_mov_b32_e32 v7, v6
	v_mov_b32_e32 v18, v8
	v_cmp_ne_u16_sdwa s0, v115, v45 src0_sel:BYTE_1 src1_sel:DWORD
	v_mov_b32_e32 v17, v7
	s_and_saveexec_b32 s21, s0
	s_cbranch_execz .LBB197_1081
; %bb.1076:                             ;   in Loop: Header=BB197_555 Depth=1
	v_and_b32_sdwa v5, v46, v115 dst_sel:DWORD dst_unused:UNUSED_PAD src0_sel:DWORD src1_sel:BYTE_1
	v_mov_b32_e32 v9, v6
	v_mov_b32_e32 v18, v10
	s_mov_b32 s22, exec_lo
	v_and_b32_e32 v19, 0x7f, v5
	v_mov_b32_e32 v17, v9
	v_cmpx_ne_u32_e32 0x7f, v19
	s_cbranch_execz .LBB197_1080
; %bb.1077:                             ;   in Loop: Header=BB197_555 Depth=1
	v_and_b32_e32 v5, 7, v5
	v_lshrrev_b32_e32 v7, 3, v19
	s_mov_b32 s24, exec_lo
	v_cmpx_gt_u32_e32 8, v19
; %bb.1078:                             ;   in Loop: Header=BB197_555 Depth=1
	v_ffbh_u32_e32 v7, v5
	v_min_u32_e32 v7, 32, v7
	v_subrev_nc_u32_e32 v9, 28, v7
	v_sub_nc_u32_e32 v7, 29, v7
	v_lshlrev_b64 v[17:18], v9, v[5:6]
	v_and_b32_e32 v5, 7, v17
; %bb.1079:                             ;   in Loop: Header=BB197_555 Depth=1
	s_or_b32 exec_lo, exec_lo, s24
	v_lshlrev_b32_e32 v9, 16, v115
	v_lshlrev_b32_e32 v5, 20, v5
	v_lshl_add_u32 v7, v7, 23, 0x3c000000
	v_mov_b32_e32 v17, v6
	v_and_b32_e32 v9, 0x80000000, v9
	v_or3_b32 v18, v5, v9, v7
.LBB197_1080:                           ;   in Loop: Header=BB197_555 Depth=1
	s_or_b32 exec_lo, exec_lo, s22
.LBB197_1081:                           ;   in Loop: Header=BB197_555 Depth=1
	s_or_b32 exec_lo, exec_lo, s21
.LBB197_1082:                           ;   in Loop: Header=BB197_555 Depth=1
	s_or_b32 exec_lo, exec_lo, s18
	v_mov_b32_e32 v21, 0
	v_mov_b32_e32 v19, 0
	v_and_b32_sdwa v5, v115, v47 dst_sel:DWORD dst_unused:UNUSED_PAD src0_sel:WORD_1 src1_sel:DWORD
	v_mov_b32_e32 v22, 0
	v_mov_b32_e32 v20, 0
	s_mov_b32 s18, exec_lo
	v_cmpx_ne_u16_e32 0, v5
	s_cbranch_execz .LBB197_1090
; %bb.1083:                             ;   in Loop: Header=BB197_555 Depth=1
	v_bfrev_b32_e32 v19, 1
	v_mov_b32_e32 v20, 0
	s_mov_b32 s21, exec_lo
	v_cmpx_ne_u16_e32 0x80, v5
	s_cbranch_execz .LBB197_1089
; %bb.1084:                             ;   in Loop: Header=BB197_555 Depth=1
	v_mov_b32_e32 v19, 0x7f800001
	v_bfe_u32 v9, v115, 16, 7
	v_mov_b32_e32 v20, 0
	s_mov_b32 s22, exec_lo
	v_cmpx_ne_u32_e32 0x7f, v9
	s_cbranch_execz .LBB197_1088
; %bb.1085:                             ;   in Loop: Header=BB197_555 Depth=1
	v_and_b32_sdwa v5, v115, v48 dst_sel:DWORD dst_unused:UNUSED_PAD src0_sel:WORD_1 src1_sel:DWORD
	v_lshrrev_b32_e32 v7, 3, v9
	s_mov_b32 s24, exec_lo
	v_cmpx_gt_u32_e32 8, v9
; %bb.1086:                             ;   in Loop: Header=BB197_555 Depth=1
	v_ffbh_u32_e32 v7, v5
	v_min_u32_e32 v7, 32, v7
	v_subrev_nc_u32_e32 v9, 28, v7
	v_sub_nc_u32_e32 v7, 29, v7
	v_lshlrev_b64 v[19:20], v9, v[5:6]
	v_and_b32_e32 v5, 7, v19
; %bb.1087:                             ;   in Loop: Header=BB197_555 Depth=1
	s_or_b32 exec_lo, exec_lo, s24
	v_lshlrev_b32_sdwa v9, v50, v115 dst_sel:DWORD dst_unused:UNUSED_PAD src0_sel:DWORD src1_sel:WORD_1
	v_lshlrev_b32_e32 v5, 20, v5
	v_lshl_add_u32 v7, v7, 23, 0x3c000000
	v_and_b32_e32 v9, 0x80000000, v9
	v_or3_b32 v5, v5, v9, v7
	v_mov_b32_e32 v20, v6
	v_mov_b32_e32 v19, v5
.LBB197_1088:                           ;   in Loop: Header=BB197_555 Depth=1
	s_or_b32 exec_lo, exec_lo, s22
.LBB197_1089:                           ;   in Loop: Header=BB197_555 Depth=1
	s_or_b32 exec_lo, exec_lo, s21
.LBB197_1090:                           ;   in Loop: Header=BB197_555 Depth=1
	s_or_b32 exec_lo, exec_lo, s18
	s_mov_b32 s18, exec_lo
	v_cmpx_lt_u32_e32 0xffffff, v115
	s_cbranch_execz .LBB197_1098
; %bb.1091:                             ;   in Loop: Header=BB197_555 Depth=1
	v_mov_b32_e32 v7, v6
	v_mov_b32_e32 v22, v8
	v_cmp_ne_u32_sdwa s0, v115, v45 src0_sel:BYTE_3 src1_sel:DWORD
	v_mov_b32_e32 v21, v7
	s_and_saveexec_b32 s21, s0
	s_cbranch_execz .LBB197_1097
; %bb.1092:                             ;   in Loop: Header=BB197_555 Depth=1
	v_mov_b32_e32 v9, v6
	v_mov_b32_e32 v22, v10
	v_bfe_u32 v116, v115, 24, 7
	s_mov_b32 s22, exec_lo
	v_mov_b32_e32 v21, v9
	v_cmpx_ne_u32_e32 0x7f, v116
	s_cbranch_execz .LBB197_1096
; %bb.1093:                             ;   in Loop: Header=BB197_555 Depth=1
	v_and_b32_sdwa v5, v115, v48 dst_sel:DWORD dst_unused:UNUSED_PAD src0_sel:BYTE_3 src1_sel:DWORD
	v_lshrrev_b32_e32 v7, 3, v116
	s_mov_b32 s24, exec_lo
	v_cmpx_gt_u32_e32 8, v116
; %bb.1094:                             ;   in Loop: Header=BB197_555 Depth=1
	v_ffbh_u32_e32 v7, v5
	v_min_u32_e32 v7, 32, v7
	v_subrev_nc_u32_e32 v9, 28, v7
	v_sub_nc_u32_e32 v7, 29, v7
	v_lshlrev_b64 v[21:22], v9, v[5:6]
	v_and_b32_e32 v5, 7, v21
; %bb.1095:                             ;   in Loop: Header=BB197_555 Depth=1
	s_or_b32 exec_lo, exec_lo, s24
	v_lshlrev_b32_sdwa v9, v50, v115 dst_sel:DWORD dst_unused:UNUSED_PAD src0_sel:DWORD src1_sel:BYTE_3
	v_lshlrev_b32_e32 v5, 20, v5
	v_lshl_add_u32 v7, v7, 23, 0x3c000000
	v_mov_b32_e32 v21, v6
	v_and_b32_e32 v9, 0x80000000, v9
	v_or3_b32 v22, v5, v9, v7
.LBB197_1096:                           ;   in Loop: Header=BB197_555 Depth=1
	s_or_b32 exec_lo, exec_lo, s22
.LBB197_1097:                           ;   in Loop: Header=BB197_555 Depth=1
	s_or_b32 exec_lo, exec_lo, s21
.LBB197_1098:                           ;   in Loop: Header=BB197_555 Depth=1
	s_or_b32 exec_lo, exec_lo, s18
	v_or_b32_e32 v5, v18, v16
	v_or_b32_e32 v7, v17, v15
	;; [unrolled: 1-line block ×4, first 2 shown]
	v_mul_f32_e32 v9, s17, v5
	v_mul_f32_e32 v15, s13, v7
	;; [unrolled: 1-line block ×4, first 2 shown]
	s_and_saveexec_b32 s0, vcc_lo
	s_cbranch_execz .LBB197_553
; %bb.1099:                             ;   in Loop: Header=BB197_555 Depth=1
	v_cmp_gt_i32_e32 vcc_lo, s31, v57
	v_cndmask_b32_e32 v15, 0, v15, vcc_lo
	v_cmp_gt_i32_e32 vcc_lo, s31, v60
	v_cndmask_b32_e32 v9, 0, v9, vcc_lo
	;; [unrolled: 2-line block ×4, first 2 shown]
	s_branch .LBB197_553
.LBB197_1100:
	s_or_b32 exec_lo, exec_lo, s6
	v_mov_b32_e32 v44, v117
	v_mov_b32_e32 v18, v118
.LBB197_1101:
	s_or_b32 exec_lo, exec_lo, s1
	ds_bpermute_b32 v0, v26, v42
	ds_bpermute_b32 v1, v26, v43
	;; [unrolled: 1-line block ×16, first 2 shown]
	v_lshrrev_b32_e32 v16, 1, v25
	v_and_b32_e32 v19, 0x3c1, v44
	v_lshlrev_b32_e32 v18, 10, v18
	s_mov_b32 s0, exec_lo
	s_waitcnt lgkmcnt(15)
	v_add_f32_e32 v0, v42, v0
	s_waitcnt lgkmcnt(14)
	v_add_f32_e32 v1, v43, v1
	;; [unrolled: 2-line block ×16, first 2 shown]
	v_lshl_add_u32 v17, v16, 2, 0x420
	s_waitcnt_vscnt null, 0x0
	s_barrier
	buffer_gl0_inv
	v_cmpx_eq_u32_e32 64, v19
	s_cbranch_execz .LBB197_1103
; %bb.1102:
	v_add_nc_u32_e32 v19, v17, v18
	v_add_nc_u32_e32 v20, 0xfffff800, v19
	;; [unrolled: 1-line block ×7, first 2 shown]
	ds_write_b32 v20, v0
	ds_write_b32 v21, v1
	;; [unrolled: 1-line block ×6, first 2 shown]
	v_add_nc_u32_e32 v20, 0xfffff980, v19
	v_add_nc_u32_e32 v21, 0xfffff9c0, v19
	;; [unrolled: 1-line block ×5, first 2 shown]
	ds_write_b32 v20, v6
	ds_write_b32 v21, v7
	ds_write_b32 v22, v8
	ds_write_b32 v23, v9
	ds_write_b32 v24, v10
	v_add_nc_u32_e32 v20, 0xfffffac0, v19
	v_add_nc_u32_e32 v21, 0xfffffb00, v19
	;; [unrolled: 1-line block ×5, first 2 shown]
	ds_write_b32 v20, v11
	ds_write_b32 v21, v12
	;; [unrolled: 1-line block ×5, first 2 shown]
.LBB197_1103:
	s_or_b32 exec_lo, exec_lo, s0
	v_lshlrev_b32_e32 v16, 2, v16
	s_mov_b32 s1, exec_lo
	v_cmp_eq_u32_e32 vcc_lo, 0, v27
	s_waitcnt lgkmcnt(0)
	s_barrier
	v_add3_u32 v16, 0x420, v18, v16
	buffer_gl0_inv
	v_cmpx_gt_u32_e32 64, v44
	s_cbranch_execz .LBB197_1122
; %bb.1104:
	s_and_saveexec_b32 s0, vcc_lo
	s_cbranch_execnz .LBB197_1146
; %bb.1105:
	s_or_b32 exec_lo, exec_lo, s0
	s_and_saveexec_b32 s0, vcc_lo
	s_cbranch_execnz .LBB197_1147
.LBB197_1106:
	s_or_b32 exec_lo, exec_lo, s0
	s_and_saveexec_b32 s0, vcc_lo
	s_cbranch_execnz .LBB197_1148
.LBB197_1107:
	s_or_b32 exec_lo, exec_lo, s0
	s_and_saveexec_b32 s0, vcc_lo
	s_cbranch_execnz .LBB197_1149
.LBB197_1108:
	s_or_b32 exec_lo, exec_lo, s0
	s_and_saveexec_b32 s0, vcc_lo
	s_cbranch_execnz .LBB197_1150
.LBB197_1109:
	s_or_b32 exec_lo, exec_lo, s0
	s_and_saveexec_b32 s0, vcc_lo
	s_cbranch_execnz .LBB197_1151
.LBB197_1110:
	s_or_b32 exec_lo, exec_lo, s0
	s_and_saveexec_b32 s0, vcc_lo
	s_cbranch_execnz .LBB197_1152
.LBB197_1111:
	s_or_b32 exec_lo, exec_lo, s0
	s_and_saveexec_b32 s0, vcc_lo
	s_cbranch_execnz .LBB197_1153
.LBB197_1112:
	s_or_b32 exec_lo, exec_lo, s0
	s_and_saveexec_b32 s0, vcc_lo
	s_cbranch_execnz .LBB197_1154
.LBB197_1113:
	s_or_b32 exec_lo, exec_lo, s0
	s_and_saveexec_b32 s0, vcc_lo
	s_cbranch_execnz .LBB197_1155
.LBB197_1114:
	s_or_b32 exec_lo, exec_lo, s0
	s_and_saveexec_b32 s0, vcc_lo
	s_cbranch_execnz .LBB197_1156
.LBB197_1115:
	s_or_b32 exec_lo, exec_lo, s0
	s_and_saveexec_b32 s0, vcc_lo
	s_cbranch_execnz .LBB197_1157
.LBB197_1116:
	s_or_b32 exec_lo, exec_lo, s0
	s_and_saveexec_b32 s0, vcc_lo
	s_cbranch_execnz .LBB197_1158
.LBB197_1117:
	s_or_b32 exec_lo, exec_lo, s0
	s_and_saveexec_b32 s0, vcc_lo
	s_cbranch_execnz .LBB197_1159
.LBB197_1118:
	s_or_b32 exec_lo, exec_lo, s0
	s_and_saveexec_b32 s0, vcc_lo
	s_cbranch_execnz .LBB197_1160
.LBB197_1119:
	s_or_b32 exec_lo, exec_lo, s0
	s_and_saveexec_b32 s0, vcc_lo
	s_cbranch_execz .LBB197_1121
.LBB197_1120:
	ds_read_b32 v18, v16 offset:960
	s_waitcnt lgkmcnt(0)
	v_add_f32_e32 v15, v15, v18
.LBB197_1121:
	s_or_b32 exec_lo, exec_lo, s0
.LBB197_1122:
	s_or_b32 exec_lo, exec_lo, s1
	v_and_b32_e32 v18, 0x3e1, v44
	s_mov_b32 s1, exec_lo
	s_barrier
	buffer_gl0_inv
	v_cmpx_eq_u32_e32 32, v18
	s_cbranch_execz .LBB197_1124
; %bb.1123:
	ds_write2_b32 v17, v0, v1 offset1:16
	ds_write2_b32 v17, v2, v3 offset0:32 offset1:48
	ds_write2_b32 v17, v4, v5 offset0:64 offset1:80
	;; [unrolled: 1-line block ×7, first 2 shown]
.LBB197_1124:
	s_or_b32 exec_lo, exec_lo, s1
	s_mov_b32 s1, exec_lo
	s_waitcnt lgkmcnt(0)
	s_barrier
	buffer_gl0_inv
	v_cmpx_gt_u32_e32 32, v44
	s_cbranch_execz .LBB197_1143
; %bb.1125:
	s_and_saveexec_b32 s0, vcc_lo
	s_cbranch_execnz .LBB197_1161
; %bb.1126:
	s_or_b32 exec_lo, exec_lo, s0
	s_and_saveexec_b32 s0, vcc_lo
	s_cbranch_execnz .LBB197_1162
.LBB197_1127:
	s_or_b32 exec_lo, exec_lo, s0
	s_and_saveexec_b32 s0, vcc_lo
	s_cbranch_execnz .LBB197_1163
.LBB197_1128:
	s_or_b32 exec_lo, exec_lo, s0
	s_and_saveexec_b32 s0, vcc_lo
	s_cbranch_execnz .LBB197_1164
.LBB197_1129:
	s_or_b32 exec_lo, exec_lo, s0
	s_and_saveexec_b32 s0, vcc_lo
	s_cbranch_execnz .LBB197_1165
.LBB197_1130:
	s_or_b32 exec_lo, exec_lo, s0
	s_and_saveexec_b32 s0, vcc_lo
	s_cbranch_execnz .LBB197_1166
.LBB197_1131:
	s_or_b32 exec_lo, exec_lo, s0
	s_and_saveexec_b32 s0, vcc_lo
	s_cbranch_execnz .LBB197_1167
.LBB197_1132:
	s_or_b32 exec_lo, exec_lo, s0
	s_and_saveexec_b32 s0, vcc_lo
	s_cbranch_execnz .LBB197_1168
.LBB197_1133:
	s_or_b32 exec_lo, exec_lo, s0
	s_and_saveexec_b32 s0, vcc_lo
	s_cbranch_execnz .LBB197_1169
.LBB197_1134:
	s_or_b32 exec_lo, exec_lo, s0
	s_and_saveexec_b32 s0, vcc_lo
	s_cbranch_execnz .LBB197_1170
.LBB197_1135:
	s_or_b32 exec_lo, exec_lo, s0
	s_and_saveexec_b32 s0, vcc_lo
	s_cbranch_execnz .LBB197_1171
.LBB197_1136:
	s_or_b32 exec_lo, exec_lo, s0
	s_and_saveexec_b32 s0, vcc_lo
	s_cbranch_execnz .LBB197_1172
.LBB197_1137:
	s_or_b32 exec_lo, exec_lo, s0
	s_and_saveexec_b32 s0, vcc_lo
	s_cbranch_execnz .LBB197_1173
.LBB197_1138:
	s_or_b32 exec_lo, exec_lo, s0
	s_and_saveexec_b32 s0, vcc_lo
	s_cbranch_execnz .LBB197_1174
.LBB197_1139:
	s_or_b32 exec_lo, exec_lo, s0
	s_and_saveexec_b32 s0, vcc_lo
	s_cbranch_execnz .LBB197_1175
.LBB197_1140:
	s_or_b32 exec_lo, exec_lo, s0
	s_and_saveexec_b32 s0, vcc_lo
	s_cbranch_execz .LBB197_1142
.LBB197_1141:
	ds_read_b32 v16, v16 offset:960
	s_waitcnt lgkmcnt(0)
	v_add_f32_e32 v15, v15, v16
.LBB197_1142:
	s_or_b32 exec_lo, exec_lo, s0
.LBB197_1143:
	s_or_b32 exec_lo, exec_lo, s1
	s_barrier
	buffer_gl0_inv
	s_mov_b32 s0, exec_lo
	v_cmpx_eq_u32_e32 0, v18
	s_cbranch_execz .LBB197_1145
; %bb.1144:
	s_lshl_b32 s0, s2, 8
	s_mul_i32 s2, s7, s10
	s_ashr_i32 s1, s0, 31
	v_lshlrev_b32_e32 v16, 1, v44
	s_lshl_b64 s[0:1], s[0:1], 2
	s_add_u32 s4, s28, s0
	s_addc_u32 s5, s29, s1
	s_ashr_i32 s3, s2, 31
	s_lshl_b64 s[0:1], s[2:3], 2
	s_add_u32 s2, s4, s0
	s_addc_u32 s3, s5, s1
	s_lshl_b32 s0, s8, 8
	s_ashr_i32 s1, s0, 31
	s_lshl_b64 s[0:1], s[0:1], 2
	s_add_u32 s0, s2, s0
	s_addc_u32 s1, s3, s1
	global_store_dword v16, v0, s[0:1]
	global_store_dword v16, v1, s[0:1] offset:64
	global_store_dword v16, v2, s[0:1] offset:128
	;; [unrolled: 1-line block ×15, first 2 shown]
.LBB197_1145:
	s_endpgm
.LBB197_1146:
	ds_read_b32 v18, v16
	s_waitcnt lgkmcnt(0)
	v_add_f32_e32 v0, v0, v18
	s_or_b32 exec_lo, exec_lo, s0
	s_and_saveexec_b32 s0, vcc_lo
	s_cbranch_execz .LBB197_1106
.LBB197_1147:
	ds_read_b32 v18, v16 offset:64
	s_waitcnt lgkmcnt(0)
	v_add_f32_e32 v1, v1, v18
	s_or_b32 exec_lo, exec_lo, s0
	s_and_saveexec_b32 s0, vcc_lo
	s_cbranch_execz .LBB197_1107
.LBB197_1148:
	ds_read_b32 v18, v16 offset:128
	s_waitcnt lgkmcnt(0)
	v_add_f32_e32 v2, v2, v18
	s_or_b32 exec_lo, exec_lo, s0
	s_and_saveexec_b32 s0, vcc_lo
	s_cbranch_execz .LBB197_1108
.LBB197_1149:
	ds_read_b32 v18, v16 offset:192
	s_waitcnt lgkmcnt(0)
	v_add_f32_e32 v3, v3, v18
	s_or_b32 exec_lo, exec_lo, s0
	s_and_saveexec_b32 s0, vcc_lo
	s_cbranch_execz .LBB197_1109
.LBB197_1150:
	ds_read_b32 v18, v16 offset:256
	s_waitcnt lgkmcnt(0)
	v_add_f32_e32 v4, v4, v18
	s_or_b32 exec_lo, exec_lo, s0
	s_and_saveexec_b32 s0, vcc_lo
	s_cbranch_execz .LBB197_1110
.LBB197_1151:
	ds_read_b32 v18, v16 offset:320
	s_waitcnt lgkmcnt(0)
	v_add_f32_e32 v5, v5, v18
	s_or_b32 exec_lo, exec_lo, s0
	s_and_saveexec_b32 s0, vcc_lo
	s_cbranch_execz .LBB197_1111
.LBB197_1152:
	ds_read_b32 v18, v16 offset:384
	s_waitcnt lgkmcnt(0)
	v_add_f32_e32 v6, v6, v18
	s_or_b32 exec_lo, exec_lo, s0
	s_and_saveexec_b32 s0, vcc_lo
	s_cbranch_execz .LBB197_1112
.LBB197_1153:
	ds_read_b32 v18, v16 offset:448
	s_waitcnt lgkmcnt(0)
	v_add_f32_e32 v7, v7, v18
	s_or_b32 exec_lo, exec_lo, s0
	s_and_saveexec_b32 s0, vcc_lo
	s_cbranch_execz .LBB197_1113
.LBB197_1154:
	ds_read_b32 v18, v16 offset:512
	s_waitcnt lgkmcnt(0)
	v_add_f32_e32 v8, v8, v18
	s_or_b32 exec_lo, exec_lo, s0
	s_and_saveexec_b32 s0, vcc_lo
	s_cbranch_execz .LBB197_1114
.LBB197_1155:
	ds_read_b32 v18, v16 offset:576
	s_waitcnt lgkmcnt(0)
	v_add_f32_e32 v9, v9, v18
	s_or_b32 exec_lo, exec_lo, s0
	s_and_saveexec_b32 s0, vcc_lo
	s_cbranch_execz .LBB197_1115
.LBB197_1156:
	ds_read_b32 v18, v16 offset:640
	s_waitcnt lgkmcnt(0)
	v_add_f32_e32 v10, v10, v18
	s_or_b32 exec_lo, exec_lo, s0
	s_and_saveexec_b32 s0, vcc_lo
	s_cbranch_execz .LBB197_1116
.LBB197_1157:
	ds_read_b32 v18, v16 offset:704
	s_waitcnt lgkmcnt(0)
	v_add_f32_e32 v11, v11, v18
	s_or_b32 exec_lo, exec_lo, s0
	s_and_saveexec_b32 s0, vcc_lo
	s_cbranch_execz .LBB197_1117
.LBB197_1158:
	ds_read_b32 v18, v16 offset:768
	s_waitcnt lgkmcnt(0)
	v_add_f32_e32 v12, v12, v18
	s_or_b32 exec_lo, exec_lo, s0
	s_and_saveexec_b32 s0, vcc_lo
	s_cbranch_execz .LBB197_1118
.LBB197_1159:
	ds_read_b32 v18, v16 offset:832
	s_waitcnt lgkmcnt(0)
	v_add_f32_e32 v13, v13, v18
	s_or_b32 exec_lo, exec_lo, s0
	s_and_saveexec_b32 s0, vcc_lo
	s_cbranch_execz .LBB197_1119
.LBB197_1160:
	ds_read_b32 v18, v16 offset:896
	s_waitcnt lgkmcnt(0)
	v_add_f32_e32 v14, v14, v18
	s_or_b32 exec_lo, exec_lo, s0
	s_and_saveexec_b32 s0, vcc_lo
	s_cbranch_execnz .LBB197_1120
	s_branch .LBB197_1121
.LBB197_1161:
	ds_read_b32 v17, v16
	s_waitcnt lgkmcnt(0)
	v_add_f32_e32 v0, v0, v17
	s_or_b32 exec_lo, exec_lo, s0
	s_and_saveexec_b32 s0, vcc_lo
	s_cbranch_execz .LBB197_1127
.LBB197_1162:
	ds_read_b32 v17, v16 offset:64
	s_waitcnt lgkmcnt(0)
	v_add_f32_e32 v1, v1, v17
	s_or_b32 exec_lo, exec_lo, s0
	s_and_saveexec_b32 s0, vcc_lo
	s_cbranch_execz .LBB197_1128
.LBB197_1163:
	ds_read_b32 v17, v16 offset:128
	s_waitcnt lgkmcnt(0)
	v_add_f32_e32 v2, v2, v17
	s_or_b32 exec_lo, exec_lo, s0
	s_and_saveexec_b32 s0, vcc_lo
	s_cbranch_execz .LBB197_1129
.LBB197_1164:
	ds_read_b32 v17, v16 offset:192
	s_waitcnt lgkmcnt(0)
	v_add_f32_e32 v3, v3, v17
	s_or_b32 exec_lo, exec_lo, s0
	s_and_saveexec_b32 s0, vcc_lo
	s_cbranch_execz .LBB197_1130
.LBB197_1165:
	ds_read_b32 v17, v16 offset:256
	s_waitcnt lgkmcnt(0)
	v_add_f32_e32 v4, v4, v17
	s_or_b32 exec_lo, exec_lo, s0
	s_and_saveexec_b32 s0, vcc_lo
	s_cbranch_execz .LBB197_1131
.LBB197_1166:
	ds_read_b32 v17, v16 offset:320
	s_waitcnt lgkmcnt(0)
	v_add_f32_e32 v5, v5, v17
	s_or_b32 exec_lo, exec_lo, s0
	s_and_saveexec_b32 s0, vcc_lo
	s_cbranch_execz .LBB197_1132
.LBB197_1167:
	ds_read_b32 v17, v16 offset:384
	s_waitcnt lgkmcnt(0)
	v_add_f32_e32 v6, v6, v17
	s_or_b32 exec_lo, exec_lo, s0
	s_and_saveexec_b32 s0, vcc_lo
	s_cbranch_execz .LBB197_1133
.LBB197_1168:
	ds_read_b32 v17, v16 offset:448
	s_waitcnt lgkmcnt(0)
	v_add_f32_e32 v7, v7, v17
	s_or_b32 exec_lo, exec_lo, s0
	s_and_saveexec_b32 s0, vcc_lo
	s_cbranch_execz .LBB197_1134
.LBB197_1169:
	ds_read_b32 v17, v16 offset:512
	s_waitcnt lgkmcnt(0)
	v_add_f32_e32 v8, v8, v17
	s_or_b32 exec_lo, exec_lo, s0
	s_and_saveexec_b32 s0, vcc_lo
	s_cbranch_execz .LBB197_1135
.LBB197_1170:
	ds_read_b32 v17, v16 offset:576
	s_waitcnt lgkmcnt(0)
	v_add_f32_e32 v9, v9, v17
	s_or_b32 exec_lo, exec_lo, s0
	s_and_saveexec_b32 s0, vcc_lo
	s_cbranch_execz .LBB197_1136
.LBB197_1171:
	ds_read_b32 v17, v16 offset:640
	s_waitcnt lgkmcnt(0)
	v_add_f32_e32 v10, v10, v17
	s_or_b32 exec_lo, exec_lo, s0
	s_and_saveexec_b32 s0, vcc_lo
	s_cbranch_execz .LBB197_1137
.LBB197_1172:
	ds_read_b32 v17, v16 offset:704
	s_waitcnt lgkmcnt(0)
	v_add_f32_e32 v11, v11, v17
	s_or_b32 exec_lo, exec_lo, s0
	s_and_saveexec_b32 s0, vcc_lo
	s_cbranch_execz .LBB197_1138
.LBB197_1173:
	ds_read_b32 v17, v16 offset:768
	s_waitcnt lgkmcnt(0)
	v_add_f32_e32 v12, v12, v17
	s_or_b32 exec_lo, exec_lo, s0
	s_and_saveexec_b32 s0, vcc_lo
	s_cbranch_execz .LBB197_1139
.LBB197_1174:
	ds_read_b32 v17, v16 offset:832
	s_waitcnt lgkmcnt(0)
	v_add_f32_e32 v13, v13, v17
	s_or_b32 exec_lo, exec_lo, s0
	s_and_saveexec_b32 s0, vcc_lo
	s_cbranch_execz .LBB197_1140
.LBB197_1175:
	ds_read_b32 v17, v16 offset:896
	s_waitcnt lgkmcnt(0)
	v_add_f32_e32 v14, v14, v17
	s_or_b32 exec_lo, exec_lo, s0
	s_and_saveexec_b32 s0, vcc_lo
	s_cbranch_execnz .LBB197_1141
	s_branch .LBB197_1142
	.section	.rodata,"a",@progbits
	.p2align	6, 0x0
	.amdhsa_kernel _ZN4vllm25paged_attention_v2_kernelIfhLi256ELi8ELi128ELNS_18Fp8KVCacheDataTypeE1ELb1ELi512EEEvPfS2_PT_PKS3_PKT0_S9_ifPKiSB_iPKfiiiSD_SD_iiiii
		.amdhsa_group_segment_fixed_size 1056
		.amdhsa_private_segment_fixed_size 56
		.amdhsa_kernarg_size 400
		.amdhsa_user_sgpr_count 6
		.amdhsa_user_sgpr_private_segment_buffer 1
		.amdhsa_user_sgpr_dispatch_ptr 0
		.amdhsa_user_sgpr_queue_ptr 0
		.amdhsa_user_sgpr_kernarg_segment_ptr 1
		.amdhsa_user_sgpr_dispatch_id 0
		.amdhsa_user_sgpr_flat_scratch_init 0
		.amdhsa_user_sgpr_private_segment_size 0
		.amdhsa_wavefront_size32 1
		.amdhsa_uses_dynamic_stack 0
		.amdhsa_system_sgpr_private_segment_wavefront_offset 1
		.amdhsa_system_sgpr_workgroup_id_x 1
		.amdhsa_system_sgpr_workgroup_id_y 1
		.amdhsa_system_sgpr_workgroup_id_z 1
		.amdhsa_system_sgpr_workgroup_info 0
		.amdhsa_system_vgpr_workitem_id 0
		.amdhsa_next_free_vgpr 128
		.amdhsa_next_free_sgpr 60
		.amdhsa_reserve_vcc 1
		.amdhsa_reserve_flat_scratch 0
		.amdhsa_float_round_mode_32 0
		.amdhsa_float_round_mode_16_64 0
		.amdhsa_float_denorm_mode_32 3
		.amdhsa_float_denorm_mode_16_64 3
		.amdhsa_dx10_clamp 1
		.amdhsa_ieee_mode 1
		.amdhsa_fp16_overflow 0
		.amdhsa_workgroup_processor_mode 1
		.amdhsa_memory_ordered 1
		.amdhsa_forward_progress 1
		.amdhsa_shared_vgpr_count 0
		.amdhsa_exception_fp_ieee_invalid_op 0
		.amdhsa_exception_fp_denorm_src 0
		.amdhsa_exception_fp_ieee_div_zero 0
		.amdhsa_exception_fp_ieee_overflow 0
		.amdhsa_exception_fp_ieee_underflow 0
		.amdhsa_exception_fp_ieee_inexact 0
		.amdhsa_exception_int_div_zero 0
	.end_amdhsa_kernel
	.section	.text._ZN4vllm25paged_attention_v2_kernelIfhLi256ELi8ELi128ELNS_18Fp8KVCacheDataTypeE1ELb1ELi512EEEvPfS2_PT_PKS3_PKT0_S9_ifPKiSB_iPKfiiiSD_SD_iiiii,"axG",@progbits,_ZN4vllm25paged_attention_v2_kernelIfhLi256ELi8ELi128ELNS_18Fp8KVCacheDataTypeE1ELb1ELi512EEEvPfS2_PT_PKS3_PKT0_S9_ifPKiSB_iPKfiiiSD_SD_iiiii,comdat
.Lfunc_end197:
	.size	_ZN4vllm25paged_attention_v2_kernelIfhLi256ELi8ELi128ELNS_18Fp8KVCacheDataTypeE1ELb1ELi512EEEvPfS2_PT_PKS3_PKT0_S9_ifPKiSB_iPKfiiiSD_SD_iiiii, .Lfunc_end197-_ZN4vllm25paged_attention_v2_kernelIfhLi256ELi8ELi128ELNS_18Fp8KVCacheDataTypeE1ELb1ELi512EEEvPfS2_PT_PKS3_PKT0_S9_ifPKiSB_iPKfiiiSD_SD_iiiii
                                        ; -- End function
	.set _ZN4vllm25paged_attention_v2_kernelIfhLi256ELi8ELi128ELNS_18Fp8KVCacheDataTypeE1ELb1ELi512EEEvPfS2_PT_PKS3_PKT0_S9_ifPKiSB_iPKfiiiSD_SD_iiiii.num_vgpr, 128
	.set _ZN4vllm25paged_attention_v2_kernelIfhLi256ELi8ELi128ELNS_18Fp8KVCacheDataTypeE1ELb1ELi512EEEvPfS2_PT_PKS3_PKT0_S9_ifPKiSB_iPKfiiiSD_SD_iiiii.num_agpr, 0
	.set _ZN4vllm25paged_attention_v2_kernelIfhLi256ELi8ELi128ELNS_18Fp8KVCacheDataTypeE1ELb1ELi512EEEvPfS2_PT_PKS3_PKT0_S9_ifPKiSB_iPKfiiiSD_SD_iiiii.numbered_sgpr, 60
	.set _ZN4vllm25paged_attention_v2_kernelIfhLi256ELi8ELi128ELNS_18Fp8KVCacheDataTypeE1ELb1ELi512EEEvPfS2_PT_PKS3_PKT0_S9_ifPKiSB_iPKfiiiSD_SD_iiiii.num_named_barrier, 0
	.set _ZN4vllm25paged_attention_v2_kernelIfhLi256ELi8ELi128ELNS_18Fp8KVCacheDataTypeE1ELb1ELi512EEEvPfS2_PT_PKS3_PKT0_S9_ifPKiSB_iPKfiiiSD_SD_iiiii.private_seg_size, 56
	.set _ZN4vllm25paged_attention_v2_kernelIfhLi256ELi8ELi128ELNS_18Fp8KVCacheDataTypeE1ELb1ELi512EEEvPfS2_PT_PKS3_PKT0_S9_ifPKiSB_iPKfiiiSD_SD_iiiii.uses_vcc, 1
	.set _ZN4vllm25paged_attention_v2_kernelIfhLi256ELi8ELi128ELNS_18Fp8KVCacheDataTypeE1ELb1ELi512EEEvPfS2_PT_PKS3_PKT0_S9_ifPKiSB_iPKfiiiSD_SD_iiiii.uses_flat_scratch, 0
	.set _ZN4vllm25paged_attention_v2_kernelIfhLi256ELi8ELi128ELNS_18Fp8KVCacheDataTypeE1ELb1ELi512EEEvPfS2_PT_PKS3_PKT0_S9_ifPKiSB_iPKfiiiSD_SD_iiiii.has_dyn_sized_stack, 0
	.set _ZN4vllm25paged_attention_v2_kernelIfhLi256ELi8ELi128ELNS_18Fp8KVCacheDataTypeE1ELb1ELi512EEEvPfS2_PT_PKS3_PKT0_S9_ifPKiSB_iPKfiiiSD_SD_iiiii.has_recursion, 0
	.set _ZN4vllm25paged_attention_v2_kernelIfhLi256ELi8ELi128ELNS_18Fp8KVCacheDataTypeE1ELb1ELi512EEEvPfS2_PT_PKS3_PKT0_S9_ifPKiSB_iPKfiiiSD_SD_iiiii.has_indirect_call, 0
	.section	.AMDGPU.csdata,"",@progbits
; Kernel info:
; codeLenInByte = 32808
; TotalNumSgprs: 62
; NumVgprs: 128
; ScratchSize: 56
; MemoryBound: 0
; FloatMode: 240
; IeeeMode: 1
; LDSByteSize: 1056 bytes/workgroup (compile time only)
; SGPRBlocks: 0
; VGPRBlocks: 15
; NumSGPRsForWavesPerEU: 62
; NumVGPRsForWavesPerEU: 128
; Occupancy: 8
; WaveLimiterHint : 1
; COMPUTE_PGM_RSRC2:SCRATCH_EN: 1
; COMPUTE_PGM_RSRC2:USER_SGPR: 6
; COMPUTE_PGM_RSRC2:TRAP_HANDLER: 0
; COMPUTE_PGM_RSRC2:TGID_X_EN: 1
; COMPUTE_PGM_RSRC2:TGID_Y_EN: 1
; COMPUTE_PGM_RSRC2:TGID_Z_EN: 1
; COMPUTE_PGM_RSRC2:TIDIG_COMP_CNT: 0
	.section	.text._ZN4vllm25paged_attention_v2_kernelIfhLi32ELi8ELi128ELNS_18Fp8KVCacheDataTypeE1ELb0ELi512EEEvPfS2_PT_PKS3_PKT0_S9_ifPKiSB_iPKfiiiSD_SD_iiiii,"axG",@progbits,_ZN4vllm25paged_attention_v2_kernelIfhLi32ELi8ELi128ELNS_18Fp8KVCacheDataTypeE1ELb0ELi512EEEvPfS2_PT_PKS3_PKT0_S9_ifPKiSB_iPKfiiiSD_SD_iiiii,comdat
	.protected	_ZN4vllm25paged_attention_v2_kernelIfhLi32ELi8ELi128ELNS_18Fp8KVCacheDataTypeE1ELb0ELi512EEEvPfS2_PT_PKS3_PKT0_S9_ifPKiSB_iPKfiiiSD_SD_iiiii ; -- Begin function _ZN4vllm25paged_attention_v2_kernelIfhLi32ELi8ELi128ELNS_18Fp8KVCacheDataTypeE1ELb0ELi512EEEvPfS2_PT_PKS3_PKT0_S9_ifPKiSB_iPKfiiiSD_SD_iiiii
	.globl	_ZN4vllm25paged_attention_v2_kernelIfhLi32ELi8ELi128ELNS_18Fp8KVCacheDataTypeE1ELb0ELi512EEEvPfS2_PT_PKS3_PKT0_S9_ifPKiSB_iPKfiiiSD_SD_iiiii
	.p2align	8
	.type	_ZN4vllm25paged_attention_v2_kernelIfhLi32ELi8ELi128ELNS_18Fp8KVCacheDataTypeE1ELb0ELi512EEEvPfS2_PT_PKS3_PKT0_S9_ifPKiSB_iPKfiiiSD_SD_iiiii,@function
_ZN4vllm25paged_attention_v2_kernelIfhLi32ELi8ELi128ELNS_18Fp8KVCacheDataTypeE1ELb0ELi512EEEvPfS2_PT_PKS3_PKT0_S9_ifPKiSB_iPKfiiiSD_SD_iiiii: ; @_ZN4vllm25paged_attention_v2_kernelIfhLi32ELi8ELi128ELNS_18Fp8KVCacheDataTypeE1ELb0ELi512EEEvPfS2_PT_PKS3_PKT0_S9_ifPKiSB_iPKfiiiSD_SD_iiiii
; %bb.0:
	s_load_dwordx2 s[0:1], s[4:5], 0x40
	s_mov_b32 s26, s7
	s_ashr_i32 s27, s7, 31
	s_lshl_b64 s[2:3], s[26:27], 2
	s_waitcnt lgkmcnt(0)
	s_add_u32 s0, s0, s2
	s_addc_u32 s1, s1, s3
	s_lshl_b32 s33, s8, 9
	s_load_dword s27, s[0:1], 0x0
	s_waitcnt lgkmcnt(0)
	s_cmp_ge_i32 s33, s27
	s_cbranch_scc1 .LBB198_184
; %bb.1:
	s_clause 0x1
	s_load_dword s9, s[4:5], 0x90
	s_load_dwordx2 s[36:37], s[4:5], 0x30
	s_waitcnt lgkmcnt(0)
	s_abs_i32 s3, s9
	s_abs_i32 s0, s36
	v_cvt_f32_u32_e32 v1, s0
	s_sub_i32 s2, 0, s0
	v_rcp_iflag_f32_e32 v1, v1
	v_mul_f32_e32 v1, 0x4f7ffffe, v1
	v_cvt_u32_f32_e32 v1, v1
	v_readfirstlane_b32 s1, v1
	s_mul_i32 s2, s2, s1
	s_mul_hi_u32 s2, s1, s2
	s_add_i32 s1, s1, s2
	s_xor_b32 s2, s9, s36
	s_mul_hi_u32 s1, s3, s1
	s_ashr_i32 s2, s2, 31
	s_mul_i32 s7, s1, s0
	s_mov_b32 s36, 0
	s_sub_i32 s3, s3, s7
	s_add_i32 s7, s1, 1
	s_sub_i32 s10, s3, s0
	s_cmp_ge_u32 s3, s0
	s_cselect_b32 s1, s7, s1
	s_cselect_b32 s3, s10, s3
	s_add_i32 s7, s1, 1
	s_cmp_ge_u32 s3, s0
	s_cselect_b32 s0, s7, s1
	s_abs_i32 s16, s6
	s_xor_b32 s0, s0, s2
	s_sub_i32 s10, s0, s2
	s_load_dwordx2 s[0:1], s[4:5], 0x50
	s_abs_i32 s2, s10
	v_cvt_f32_u32_e32 v1, s2
	s_sub_i32 s7, 0, s2
	v_rcp_iflag_f32_e32 v1, v1
	v_mul_f32_e32 v1, 0x4f7ffffe, v1
	v_cvt_u32_f32_e32 v1, v1
	v_readfirstlane_b32 s3, v1
	s_mul_i32 s7, s7, s3
	s_mul_hi_u32 s7, s3, s7
	s_add_i32 s3, s3, s7
	s_waitcnt lgkmcnt(0)
	s_cmp_eq_u64 s[0:1], 0
	s_mul_hi_u32 s3, s16, s3
	s_cbranch_scc1 .LBB198_3
; %bb.2:
	s_ashr_i32 s7, s6, 31
	s_lshl_b64 s[12:13], s[6:7], 2
	s_add_u32 s0, s0, s12
	s_addc_u32 s1, s1, s13
	s_load_dword s36, s[0:1], 0x0
.LBB198_3:
	s_load_dwordx4 s[12:15], s[4:5], 0x58
	v_and_b32_e32 v11, 3, v0
	v_cmp_gt_u32_e64 s0, 32, v0
	v_lshlrev_b32_e32 v19, 2, v0
	s_ashr_i32 s1, s6, 31
	s_ashr_i32 s7, s10, 31
	s_lshl_b32 s10, s6, 5
	s_waitcnt lgkmcnt(0)
	s_and_saveexec_b32 s15, s0
	s_cbranch_execz .LBB198_5
; %bb.4:
	s_load_dwordx2 s[18:19], s[4:5], 0x18
	s_mul_i32 s20, s12, s26
	v_and_b32_e32 v2, 0x3fc, v0
	s_ashr_i32 s21, s20, 31
	s_lshl_b64 s[20:21], s[20:21], 2
	v_lshl_add_u32 v2, v11, 5, v2
	s_waitcnt lgkmcnt(0)
	s_add_u32 s12, s18, s20
	s_addc_u32 s17, s19, s21
	s_ashr_i32 s11, s10, 31
	s_lshl_b64 s[18:19], s[10:11], 2
	s_add_u32 s18, s12, s18
	s_addc_u32 s19, s17, s19
	global_load_dword v1, v19, s[18:19]
	s_waitcnt vmcnt(0)
	ds_write_b32 v2, v1
.LBB198_5:
	s_or_b32 exec_lo, exec_lo, s15
	s_add_i32 s11, s27, 7
	s_lshl_b32 s15, s8, 6
	s_ashr_i32 s12, s11, 31
	s_xor_b32 s1, s1, s7
	s_lshr_b32 s12, s12, 29
	s_add_i32 s7, s15, 64
	s_add_i32 s11, s11, s12
	s_mul_i32 s17, s3, s2
	s_ashr_i32 s12, s11, 3
	s_sub_i32 s16, s16, s17
	s_min_i32 s11, s7, s12
	s_clause 0x1
	s_load_dwordx2 s[28:29], s[4:5], 0x38
	s_load_dword s7, s[4:5], 0x48
	s_add_i32 s17, s3, 1
	s_sub_i32 s18, s16, s2
	s_cmp_ge_u32 s16, s2
	v_lshrrev_b32_e32 v26, 5, v0
	s_cselect_b32 s3, s17, s3
	s_cselect_b32 s16, s18, s16
	s_add_i32 s17, s3, 1
	s_cmp_ge_u32 s16, s2
	v_or_b32_e32 v9, s15, v26
	s_cselect_b32 s2, s17, s3
	v_mbcnt_lo_u32_b32 v20, -1, 0
	s_xor_b32 s2, s2, s1
	s_mov_b32 s3, exec_lo
	s_sub_i32 s2, s2, s1
	v_cmp_gt_i32_e64 s1, s11, v9
	s_waitcnt lgkmcnt(0)
	s_barrier
	buffer_gl0_inv
                                        ; implicit-def: $vgpr12
                                        ; implicit-def: $vgpr21
	s_mul_i32 s30, s7, s26
	s_ashr_i32 s31, s30, 31
	v_cmpx_le_i32_e64 s11, v9
	s_xor_b32 s3, exec_lo, s3
; %bb.6:
	v_mov_b32_e32 v12, 0
	v_mbcnt_lo_u32_b32 v20, -1, 0
	v_mov_b32_e32 v21, 32
                                        ; implicit-def: $vgpr11
; %bb.7:
	s_or_saveexec_b32 s38, s3
	s_clause 0x4
	s_load_dwordx4 s[20:23], s[4:5], 0x0
	s_load_dwordx2 s[24:25], s[4:5], 0x10
	s_load_dword s7, s[4:5], 0x98
	s_load_dwordx2 s[34:35], s[4:5], 0x28
	s_load_dwordx4 s[16:19], s[4:5], 0x68
	v_mov_b32_e32 v22, 0xff7fffff
	v_ashrrev_i32_e32 v10, 31, v9
	s_mul_i32 s14, s2, s14
	s_xor_b32 exec_lo, exec_lo, s38
	s_cbranch_execz .LBB198_77
; %bb.8:
	s_load_dwordx2 s[4:5], s[4:5], 0x20
	v_xor_b32_e32 v1, 2, v20
	v_xor_b32_e32 v2, 1, v20
	v_bfe_u32 v15, v0, 2, 3
	v_lshlrev_b32_e32 v5, 5, v11
	s_ashr_i32 s3, s14, 31
	v_cmp_gt_i32_e64 s2, 32, v1
	v_cmp_eq_u32_e32 vcc_lo, 0, v11
	v_lshlrev_b32_e32 v16, 4, v15
	v_lshlrev_b32_e32 v17, 2, v15
	v_mov_b32_e32 v12, 0
	v_cndmask_b32_e64 v13, v20, v1, s2
	v_cmp_gt_i32_e64 s2, 32, v2
	v_mov_b32_e32 v21, 32
	v_mov_b32_e32 v22, 0xff7fffff
	;; [unrolled: 1-line block ×3, first 2 shown]
	v_lshlrev_b32_e32 v23, 2, v13
	v_cndmask_b32_e64 v14, v20, v2, s2
	ds_read_b128 v[1:4], v5
	ds_read_b128 v[5:8], v5 offset:16
	v_mov_b32_e32 v29, 7
	s_waitcnt lgkmcnt(0)
	s_add_u32 s2, s4, s14
	s_addc_u32 s3, s5, s3
	s_load_dword s5, s[16:17], 0x0
	v_add_co_u32 v13, s2, s2, v16
	v_lshlrev_b32_e32 v16, 3, v26
	v_lshlrev_b32_e32 v24, 2, v14
	v_add_co_ci_u32_e64 v14, null, s3, 0, s2
	v_add_co_u32 v13, s3, v13, v11
	v_add3_u32 v25, s33, v16, v15
	v_lshlrev_b64 v[15:16], 2, v[9:10]
	s_lshl_b64 s[40:41], s[30:31], 2
	v_lshl_or_b32 v11, v26, 5, v17
	s_sub_i32 s16, 1, s27
	v_add_co_ci_u32_e64 v14, null, 0, v14, s3
	s_add_u32 s3, s28, s40
	s_addc_u32 s4, s29, s41
	v_add_co_u32 v15, s3, s3, v15
	v_cmp_neq_f32_e64 s2, s36, 0
	v_add_nc_u32_e32 v27, 0xa0, v11
	v_add_co_ci_u32_e64 v16, null, s4, v16, s3
	v_mov_b32_e32 v30, v9
	s_mov_b32 s39, s13
	s_mov_b32 s17, 0
	s_branch .LBB198_10
.LBB198_9:                              ;   in Loop: Header=BB198_10 Depth=1
	s_or_b32 exec_lo, exec_lo, s4
	v_add_nc_u32_e32 v30, 4, v30
	v_add_co_u32 v15, s4, v15, 16
	v_add_nc_u32_e32 v25, 32, v25
	v_add_nc_u32_e32 v27, 0x80, v27
	v_cmp_le_i32_e64 s3, s11, v30
	v_add_co_ci_u32_e64 v16, null, 0, v16, s4
	s_or_b32 s17, s3, s17
	s_andn2_b32 exec_lo, exec_lo, s17
	s_cbranch_execz .LBB198_76
.LBB198_10:                             ; =>This Inner Loop Header: Depth=1
	global_load_dword v11, v[15:16], off
	v_mov_b32_e32 v31, 0
	v_mov_b32_e32 v32, 0
	s_mov_b32 s4, exec_lo
	s_waitcnt vmcnt(0) lgkmcnt(0)
	v_mad_i64_i32 v[17:18], null, v11, s39, v[13:14]
	global_load_ubyte v33, v[17:18], off
	s_waitcnt vmcnt(0)
	v_cmpx_ne_u16_e32 0, v33
	s_cbranch_execz .LBB198_18
; %bb.11:                               ;   in Loop: Header=BB198_10 Depth=1
	v_bfrev_b32_e32 v32, 1
	s_mov_b32 s40, exec_lo
	v_cmpx_ne_u16_e32 0x80, v33
	s_cbranch_execz .LBB198_17
; %bb.12:                               ;   in Loop: Header=BB198_10 Depth=1
	v_and_b32_sdwa v34, v33, v28 dst_sel:DWORD dst_unused:UNUSED_PAD src0_sel:WORD_0 src1_sel:DWORD
	v_mov_b32_e32 v32, 0x7f800001
	s_mov_b32 s41, exec_lo
	v_cmpx_ne_u32_e32 0x7f, v34
	s_cbranch_execz .LBB198_16
; %bb.13:                               ;   in Loop: Header=BB198_10 Depth=1
	v_and_b32_sdwa v11, v33, v29 dst_sel:DWORD dst_unused:UNUSED_PAD src0_sel:WORD_0 src1_sel:DWORD
	v_lshrrev_b32_e32 v32, 3, v34
	s_mov_b32 s42, exec_lo
	v_cmpx_gt_u32_e32 8, v34
; %bb.14:                               ;   in Loop: Header=BB198_10 Depth=1
	v_ffbh_u32_e32 v32, v11
	v_min_u32_e32 v32, 32, v32
	v_subrev_nc_u32_e32 v34, 28, v32
	v_sub_nc_u32_e32 v32, 29, v32
	v_lshlrev_b64 v[34:35], v34, v[11:12]
	v_and_b32_e32 v11, 7, v34
; %bb.15:                               ;   in Loop: Header=BB198_10 Depth=1
	s_or_b32 exec_lo, exec_lo, s42
	v_lshlrev_b32_e32 v33, 24, v33
	v_lshlrev_b32_e32 v11, 20, v11
	v_lshl_add_u32 v32, v32, 23, 0x3c000000
	v_and_b32_e32 v33, 0x80000000, v33
	v_or3_b32 v32, v11, v33, v32
.LBB198_16:                             ;   in Loop: Header=BB198_10 Depth=1
	s_or_b32 exec_lo, exec_lo, s41
.LBB198_17:                             ;   in Loop: Header=BB198_10 Depth=1
	s_or_b32 exec_lo, exec_lo, s40
.LBB198_18:                             ;   in Loop: Header=BB198_10 Depth=1
	s_or_b32 exec_lo, exec_lo, s4
	global_load_ubyte v33, v[17:18], off offset:4
	s_mov_b32 s4, exec_lo
	s_waitcnt vmcnt(0)
	v_cmpx_ne_u16_e32 0, v33
	s_cbranch_execz .LBB198_26
; %bb.19:                               ;   in Loop: Header=BB198_10 Depth=1
	v_bfrev_b32_e32 v31, 1
	s_mov_b32 s40, exec_lo
	v_cmpx_ne_u16_e32 0x80, v33
	s_cbranch_execz .LBB198_25
; %bb.20:                               ;   in Loop: Header=BB198_10 Depth=1
	v_and_b32_sdwa v34, v33, v28 dst_sel:DWORD dst_unused:UNUSED_PAD src0_sel:WORD_0 src1_sel:DWORD
	v_mov_b32_e32 v31, 0x7f800001
	s_mov_b32 s41, exec_lo
	v_cmpx_ne_u32_e32 0x7f, v34
	s_cbranch_execz .LBB198_24
; %bb.21:                               ;   in Loop: Header=BB198_10 Depth=1
	v_and_b32_sdwa v11, v33, v29 dst_sel:DWORD dst_unused:UNUSED_PAD src0_sel:WORD_0 src1_sel:DWORD
	v_lshrrev_b32_e32 v31, 3, v34
	s_mov_b32 s42, exec_lo
	v_cmpx_gt_u32_e32 8, v34
; %bb.22:                               ;   in Loop: Header=BB198_10 Depth=1
	v_ffbh_u32_e32 v31, v11
	v_min_u32_e32 v31, 32, v31
	v_subrev_nc_u32_e32 v34, 28, v31
	v_sub_nc_u32_e32 v31, 29, v31
	v_lshlrev_b64 v[34:35], v34, v[11:12]
	v_and_b32_e32 v11, 7, v34
; %bb.23:                               ;   in Loop: Header=BB198_10 Depth=1
	s_or_b32 exec_lo, exec_lo, s42
	v_lshlrev_b32_e32 v33, 24, v33
	v_lshlrev_b32_e32 v11, 20, v11
	v_lshl_add_u32 v31, v31, 23, 0x3c000000
	v_and_b32_e32 v33, 0x80000000, v33
	v_or3_b32 v31, v11, v33, v31
.LBB198_24:                             ;   in Loop: Header=BB198_10 Depth=1
	s_or_b32 exec_lo, exec_lo, s41
.LBB198_25:                             ;   in Loop: Header=BB198_10 Depth=1
	s_or_b32 exec_lo, exec_lo, s40
.LBB198_26:                             ;   in Loop: Header=BB198_10 Depth=1
	s_or_b32 exec_lo, exec_lo, s4
	global_load_ubyte v35, v[17:18], off offset:8
	v_mov_b32_e32 v33, 0
	v_mov_b32_e32 v34, 0
	s_mov_b32 s4, exec_lo
	s_waitcnt vmcnt(0)
	v_cmpx_ne_u16_e32 0, v35
	s_cbranch_execz .LBB198_34
; %bb.27:                               ;   in Loop: Header=BB198_10 Depth=1
	v_bfrev_b32_e32 v34, 1
	s_mov_b32 s40, exec_lo
	v_cmpx_ne_u16_e32 0x80, v35
	s_cbranch_execz .LBB198_33
; %bb.28:                               ;   in Loop: Header=BB198_10 Depth=1
	v_and_b32_sdwa v36, v35, v28 dst_sel:DWORD dst_unused:UNUSED_PAD src0_sel:WORD_0 src1_sel:DWORD
	v_mov_b32_e32 v34, 0x7f800001
	s_mov_b32 s41, exec_lo
	v_cmpx_ne_u32_e32 0x7f, v36
	s_cbranch_execz .LBB198_32
; %bb.29:                               ;   in Loop: Header=BB198_10 Depth=1
	v_and_b32_sdwa v11, v35, v29 dst_sel:DWORD dst_unused:UNUSED_PAD src0_sel:WORD_0 src1_sel:DWORD
	v_lshrrev_b32_e32 v34, 3, v36
	s_mov_b32 s42, exec_lo
	v_cmpx_gt_u32_e32 8, v36
; %bb.30:                               ;   in Loop: Header=BB198_10 Depth=1
	v_ffbh_u32_e32 v34, v11
	v_min_u32_e32 v34, 32, v34
	v_subrev_nc_u32_e32 v36, 28, v34
	v_sub_nc_u32_e32 v34, 29, v34
	v_lshlrev_b64 v[36:37], v36, v[11:12]
	v_and_b32_e32 v11, 7, v36
; %bb.31:                               ;   in Loop: Header=BB198_10 Depth=1
	s_or_b32 exec_lo, exec_lo, s42
	v_lshlrev_b32_e32 v35, 24, v35
	v_lshlrev_b32_e32 v11, 20, v11
	v_lshl_add_u32 v34, v34, 23, 0x3c000000
	v_and_b32_e32 v35, 0x80000000, v35
	v_or3_b32 v34, v11, v35, v34
.LBB198_32:                             ;   in Loop: Header=BB198_10 Depth=1
	s_or_b32 exec_lo, exec_lo, s41
.LBB198_33:                             ;   in Loop: Header=BB198_10 Depth=1
	s_or_b32 exec_lo, exec_lo, s40
.LBB198_34:                             ;   in Loop: Header=BB198_10 Depth=1
	s_or_b32 exec_lo, exec_lo, s4
	global_load_ubyte v35, v[17:18], off offset:12
	s_mov_b32 s4, exec_lo
	s_waitcnt vmcnt(0)
	v_cmpx_ne_u16_e32 0, v35
	s_cbranch_execz .LBB198_42
; %bb.35:                               ;   in Loop: Header=BB198_10 Depth=1
	v_bfrev_b32_e32 v33, 1
	s_mov_b32 s40, exec_lo
	v_cmpx_ne_u16_e32 0x80, v35
	s_cbranch_execz .LBB198_41
; %bb.36:                               ;   in Loop: Header=BB198_10 Depth=1
	v_and_b32_sdwa v36, v35, v28 dst_sel:DWORD dst_unused:UNUSED_PAD src0_sel:WORD_0 src1_sel:DWORD
	v_mov_b32_e32 v33, 0x7f800001
	s_mov_b32 s41, exec_lo
	v_cmpx_ne_u32_e32 0x7f, v36
	s_cbranch_execz .LBB198_40
; %bb.37:                               ;   in Loop: Header=BB198_10 Depth=1
	v_and_b32_sdwa v11, v35, v29 dst_sel:DWORD dst_unused:UNUSED_PAD src0_sel:WORD_0 src1_sel:DWORD
	v_lshrrev_b32_e32 v33, 3, v36
	s_mov_b32 s42, exec_lo
	v_cmpx_gt_u32_e32 8, v36
; %bb.38:                               ;   in Loop: Header=BB198_10 Depth=1
	v_ffbh_u32_e32 v33, v11
	v_min_u32_e32 v33, 32, v33
	v_subrev_nc_u32_e32 v36, 28, v33
	v_sub_nc_u32_e32 v33, 29, v33
	v_lshlrev_b64 v[36:37], v36, v[11:12]
	v_and_b32_e32 v11, 7, v36
; %bb.39:                               ;   in Loop: Header=BB198_10 Depth=1
	s_or_b32 exec_lo, exec_lo, s42
	v_lshlrev_b32_e32 v35, 24, v35
	v_lshlrev_b32_e32 v11, 20, v11
	v_lshl_add_u32 v33, v33, 23, 0x3c000000
	v_and_b32_e32 v35, 0x80000000, v35
	v_or3_b32 v33, v11, v35, v33
.LBB198_40:                             ;   in Loop: Header=BB198_10 Depth=1
	s_or_b32 exec_lo, exec_lo, s41
.LBB198_41:                             ;   in Loop: Header=BB198_10 Depth=1
	s_or_b32 exec_lo, exec_lo, s40
.LBB198_42:                             ;   in Loop: Header=BB198_10 Depth=1
	s_or_b32 exec_lo, exec_lo, s4
	global_load_ubyte v37, v[17:18], off offset:128
	v_mov_b32_e32 v35, 0
	v_mov_b32_e32 v36, 0
	s_mov_b32 s4, exec_lo
	s_waitcnt vmcnt(0)
	v_cmpx_ne_u16_e32 0, v37
	s_cbranch_execz .LBB198_50
; %bb.43:                               ;   in Loop: Header=BB198_10 Depth=1
	v_bfrev_b32_e32 v36, 1
	s_mov_b32 s40, exec_lo
	v_cmpx_ne_u16_e32 0x80, v37
	s_cbranch_execz .LBB198_49
; %bb.44:                               ;   in Loop: Header=BB198_10 Depth=1
	v_and_b32_sdwa v38, v37, v28 dst_sel:DWORD dst_unused:UNUSED_PAD src0_sel:WORD_0 src1_sel:DWORD
	v_mov_b32_e32 v36, 0x7f800001
	s_mov_b32 s41, exec_lo
	v_cmpx_ne_u32_e32 0x7f, v38
	s_cbranch_execz .LBB198_48
; %bb.45:                               ;   in Loop: Header=BB198_10 Depth=1
	v_and_b32_sdwa v11, v37, v29 dst_sel:DWORD dst_unused:UNUSED_PAD src0_sel:WORD_0 src1_sel:DWORD
	v_lshrrev_b32_e32 v36, 3, v38
	s_mov_b32 s42, exec_lo
	v_cmpx_gt_u32_e32 8, v38
; %bb.46:                               ;   in Loop: Header=BB198_10 Depth=1
	v_ffbh_u32_e32 v36, v11
	v_min_u32_e32 v36, 32, v36
	v_subrev_nc_u32_e32 v38, 28, v36
	v_sub_nc_u32_e32 v36, 29, v36
	v_lshlrev_b64 v[38:39], v38, v[11:12]
	v_and_b32_e32 v11, 7, v38
; %bb.47:                               ;   in Loop: Header=BB198_10 Depth=1
	s_or_b32 exec_lo, exec_lo, s42
	v_lshlrev_b32_e32 v37, 24, v37
	v_lshlrev_b32_e32 v11, 20, v11
	v_lshl_add_u32 v36, v36, 23, 0x3c000000
	v_and_b32_e32 v37, 0x80000000, v37
	v_or3_b32 v36, v11, v37, v36
.LBB198_48:                             ;   in Loop: Header=BB198_10 Depth=1
	s_or_b32 exec_lo, exec_lo, s41
.LBB198_49:                             ;   in Loop: Header=BB198_10 Depth=1
	s_or_b32 exec_lo, exec_lo, s40
.LBB198_50:                             ;   in Loop: Header=BB198_10 Depth=1
	s_or_b32 exec_lo, exec_lo, s4
	global_load_ubyte v37, v[17:18], off offset:132
	s_mov_b32 s4, exec_lo
	s_waitcnt vmcnt(0)
	v_cmpx_ne_u16_e32 0, v37
	s_cbranch_execz .LBB198_58
; %bb.51:                               ;   in Loop: Header=BB198_10 Depth=1
	v_bfrev_b32_e32 v35, 1
	s_mov_b32 s40, exec_lo
	v_cmpx_ne_u16_e32 0x80, v37
	s_cbranch_execz .LBB198_57
; %bb.52:                               ;   in Loop: Header=BB198_10 Depth=1
	v_and_b32_sdwa v38, v37, v28 dst_sel:DWORD dst_unused:UNUSED_PAD src0_sel:WORD_0 src1_sel:DWORD
	v_mov_b32_e32 v35, 0x7f800001
	s_mov_b32 s41, exec_lo
	v_cmpx_ne_u32_e32 0x7f, v38
	s_cbranch_execz .LBB198_56
; %bb.53:                               ;   in Loop: Header=BB198_10 Depth=1
	v_and_b32_sdwa v11, v37, v29 dst_sel:DWORD dst_unused:UNUSED_PAD src0_sel:WORD_0 src1_sel:DWORD
	v_lshrrev_b32_e32 v35, 3, v38
	s_mov_b32 s42, exec_lo
	v_cmpx_gt_u32_e32 8, v38
; %bb.54:                               ;   in Loop: Header=BB198_10 Depth=1
	v_ffbh_u32_e32 v35, v11
	v_min_u32_e32 v35, 32, v35
	v_subrev_nc_u32_e32 v38, 28, v35
	v_sub_nc_u32_e32 v35, 29, v35
	v_lshlrev_b64 v[38:39], v38, v[11:12]
	v_and_b32_e32 v11, 7, v38
; %bb.55:                               ;   in Loop: Header=BB198_10 Depth=1
	s_or_b32 exec_lo, exec_lo, s42
	v_lshlrev_b32_e32 v37, 24, v37
	v_lshlrev_b32_e32 v11, 20, v11
	v_lshl_add_u32 v35, v35, 23, 0x3c000000
	v_and_b32_e32 v37, 0x80000000, v37
	v_or3_b32 v35, v11, v37, v35
.LBB198_56:                             ;   in Loop: Header=BB198_10 Depth=1
	s_or_b32 exec_lo, exec_lo, s41
.LBB198_57:                             ;   in Loop: Header=BB198_10 Depth=1
	s_or_b32 exec_lo, exec_lo, s40
.LBB198_58:                             ;   in Loop: Header=BB198_10 Depth=1
	s_or_b32 exec_lo, exec_lo, s4
	global_load_ubyte v39, v[17:18], off offset:136
	v_mov_b32_e32 v37, 0
	v_mov_b32_e32 v38, 0
	s_mov_b32 s4, exec_lo
	s_waitcnt vmcnt(0)
	v_cmpx_ne_u16_e32 0, v39
	s_cbranch_execz .LBB198_66
; %bb.59:                               ;   in Loop: Header=BB198_10 Depth=1
	v_bfrev_b32_e32 v38, 1
	s_mov_b32 s40, exec_lo
	v_cmpx_ne_u16_e32 0x80, v39
	s_cbranch_execz .LBB198_65
; %bb.60:                               ;   in Loop: Header=BB198_10 Depth=1
	v_and_b32_sdwa v40, v39, v28 dst_sel:DWORD dst_unused:UNUSED_PAD src0_sel:WORD_0 src1_sel:DWORD
	v_mov_b32_e32 v38, 0x7f800001
	s_mov_b32 s41, exec_lo
	v_cmpx_ne_u32_e32 0x7f, v40
	s_cbranch_execz .LBB198_64
; %bb.61:                               ;   in Loop: Header=BB198_10 Depth=1
	v_and_b32_sdwa v11, v39, v29 dst_sel:DWORD dst_unused:UNUSED_PAD src0_sel:WORD_0 src1_sel:DWORD
	v_lshrrev_b32_e32 v38, 3, v40
	s_mov_b32 s42, exec_lo
	v_cmpx_gt_u32_e32 8, v40
; %bb.62:                               ;   in Loop: Header=BB198_10 Depth=1
	v_ffbh_u32_e32 v38, v11
	v_min_u32_e32 v38, 32, v38
	v_subrev_nc_u32_e32 v40, 28, v38
	v_sub_nc_u32_e32 v38, 29, v38
	v_lshlrev_b64 v[40:41], v40, v[11:12]
	v_and_b32_e32 v11, 7, v40
; %bb.63:                               ;   in Loop: Header=BB198_10 Depth=1
	s_or_b32 exec_lo, exec_lo, s42
	v_lshlrev_b32_e32 v39, 24, v39
	v_lshlrev_b32_e32 v11, 20, v11
	v_lshl_add_u32 v38, v38, 23, 0x3c000000
	v_and_b32_e32 v39, 0x80000000, v39
	v_or3_b32 v38, v11, v39, v38
.LBB198_64:                             ;   in Loop: Header=BB198_10 Depth=1
	s_or_b32 exec_lo, exec_lo, s41
.LBB198_65:                             ;   in Loop: Header=BB198_10 Depth=1
	s_or_b32 exec_lo, exec_lo, s40
.LBB198_66:                             ;   in Loop: Header=BB198_10 Depth=1
	s_or_b32 exec_lo, exec_lo, s4
	global_load_ubyte v17, v[17:18], off offset:140
	s_mov_b32 s4, exec_lo
	s_waitcnt vmcnt(0)
	v_cmpx_ne_u16_e32 0, v17
	s_cbranch_execz .LBB198_74
; %bb.67:                               ;   in Loop: Header=BB198_10 Depth=1
	v_bfrev_b32_e32 v37, 1
	s_mov_b32 s40, exec_lo
	v_cmpx_ne_u16_e32 0x80, v17
	s_cbranch_execz .LBB198_73
; %bb.68:                               ;   in Loop: Header=BB198_10 Depth=1
	v_and_b32_sdwa v39, v17, v28 dst_sel:DWORD dst_unused:UNUSED_PAD src0_sel:WORD_0 src1_sel:DWORD
	v_mov_b32_e32 v37, 0x7f800001
	s_mov_b32 s41, exec_lo
	v_cmpx_ne_u32_e32 0x7f, v39
	s_cbranch_execz .LBB198_72
; %bb.69:                               ;   in Loop: Header=BB198_10 Depth=1
	v_and_b32_sdwa v11, v17, v29 dst_sel:DWORD dst_unused:UNUSED_PAD src0_sel:WORD_0 src1_sel:DWORD
	v_lshrrev_b32_e32 v18, 3, v39
	s_mov_b32 s42, exec_lo
	v_cmpx_gt_u32_e32 8, v39
; %bb.70:                               ;   in Loop: Header=BB198_10 Depth=1
	v_ffbh_u32_e32 v18, v11
	v_min_u32_e32 v18, 32, v18
	v_subrev_nc_u32_e32 v37, 28, v18
	v_sub_nc_u32_e32 v18, 29, v18
	v_lshlrev_b64 v[39:40], v37, v[11:12]
	v_and_b32_e32 v11, 7, v39
; %bb.71:                               ;   in Loop: Header=BB198_10 Depth=1
	s_or_b32 exec_lo, exec_lo, s42
	v_lshlrev_b32_e32 v17, 24, v17
	v_lshlrev_b32_e32 v11, 20, v11
	v_lshl_add_u32 v18, v18, 23, 0x3c000000
	v_and_b32_e32 v17, 0x80000000, v17
	v_or3_b32 v37, v11, v17, v18
.LBB198_72:                             ;   in Loop: Header=BB198_10 Depth=1
	s_or_b32 exec_lo, exec_lo, s41
.LBB198_73:                             ;   in Loop: Header=BB198_10 Depth=1
	s_or_b32 exec_lo, exec_lo, s40
.LBB198_74:                             ;   in Loop: Header=BB198_10 Depth=1
	s_or_b32 exec_lo, exec_lo, s4
	s_waitcnt lgkmcnt(0)
	v_mul_f32_e32 v11, s5, v31
	v_mul_f32_e32 v17, s5, v32
	v_mul_f32_e32 v18, s5, v34
	v_mul_f32_e32 v11, v2, v11
	v_fmac_f32_e32 v11, v1, v17
	v_mul_f32_e32 v17, s5, v33
	v_fmac_f32_e32 v11, v3, v18
	v_mul_f32_e32 v18, s5, v36
	;; [unrolled: 2-line block ×5, first 2 shown]
	v_fmac_f32_e32 v11, v7, v18
	v_fmac_f32_e32 v11, v8, v17
	ds_bpermute_b32 v17, v23, v11
	s_waitcnt lgkmcnt(0)
	v_add_f32_e32 v11, v11, v17
	ds_bpermute_b32 v17, v24, v11
	s_and_saveexec_b32 s4, vcc_lo
	s_cbranch_execz .LBB198_9
; %bb.75:                               ;   in Loop: Header=BB198_10 Depth=1
	v_add_nc_u32_e32 v18, s16, v25
	s_waitcnt lgkmcnt(0)
	v_add_f32_e32 v11, v11, v17
	v_cmp_gt_i32_e64 s3, s27, v25
	v_cvt_f32_i32_e32 v18, v18
	v_mul_f32_e32 v18, s36, v18
	v_cndmask_b32_e64 v17, 0, v18, s2
	v_max_f32_e32 v18, v22, v22
	v_fmac_f32_e32 v17, s37, v11
	v_max_f32_e32 v11, v18, v17
	v_cndmask_b32_e64 v17, 0, v17, s3
	v_cndmask_b32_e64 v22, v22, v11, s3
	ds_write_b32 v27, v17
	s_branch .LBB198_9
.LBB198_76:
	s_or_b32 exec_lo, exec_lo, s17
.LBB198_77:
	s_or_b32 exec_lo, exec_lo, s38
	v_xor_b32_e32 v1, 16, v20
	v_xor_b32_e32 v3, 8, v20
	v_max_f32_e32 v5, v22, v22
	v_and_b32_e32 v27, 31, v0
	v_cmp_lt_i32_e32 vcc_lo, v1, v21
	v_cndmask_b32_e32 v1, v20, v1, vcc_lo
	v_cmp_lt_i32_e32 vcc_lo, v3, v21
	v_lshlrev_b32_e32 v2, 2, v1
	v_cndmask_b32_e32 v3, v20, v3, vcc_lo
	ds_bpermute_b32 v1, v2, v22
	v_lshlrev_b32_e32 v4, 2, v3
	s_waitcnt lgkmcnt(0)
	v_max_f32_e32 v1, v1, v1
	v_max_f32_e32 v1, v5, v1
	v_xor_b32_e32 v5, 4, v20
	ds_bpermute_b32 v3, v4, v1
	v_cmp_lt_i32_e32 vcc_lo, v5, v21
	v_cndmask_b32_e32 v5, v20, v5, vcc_lo
	v_cmp_eq_u32_e32 vcc_lo, 0, v27
	v_lshlrev_b32_e32 v7, 2, v5
	v_lshlrev_b32_e32 v5, 2, v26
	s_waitcnt lgkmcnt(0)
	v_max_f32_e32 v3, v3, v3
	v_max_f32_e32 v1, v1, v3
	ds_bpermute_b32 v3, v7, v1
	s_and_saveexec_b32 s2, vcc_lo
	s_cbranch_execz .LBB198_79
; %bb.78:
	s_waitcnt lgkmcnt(0)
	v_max_f32_e32 v3, v3, v3
	v_max_f32_e32 v1, v1, v1
	;; [unrolled: 1-line block ×3, first 2 shown]
	ds_write_b32 v5, v1 offset:128
.LBB198_79:
	s_or_b32 exec_lo, exec_lo, s2
	v_cmp_gt_u32_e64 s2, 4, v27
	v_mov_b32_e32 v1, 0xff7fffff
	v_lshlrev_b32_e32 v6, 2, v27
	s_waitcnt lgkmcnt(0)
	s_barrier
	buffer_gl0_inv
	s_and_saveexec_b32 s3, s2
; %bb.80:
	ds_read_b32 v1, v6 offset:128
; %bb.81:
	s_or_b32 exec_lo, exec_lo, s3
	v_xor_b32_e32 v3, 2, v20
	v_xor_b32_e32 v11, 1, v20
	v_cmp_lt_i32_e64 s3, v3, v21
	v_cndmask_b32_e64 v3, v20, v3, s3
	v_cmp_lt_i32_e64 s3, v11, v21
	v_lshlrev_b32_e32 v8, 2, v3
	v_cndmask_b32_e64 v11, v20, v11, s3
	s_sub_i32 s3, s11, s15
	s_lshl_b32 s3, s3, 3
	s_waitcnt lgkmcnt(0)
	ds_bpermute_b32 v3, v8, v1
	v_max_f32_e32 v1, v1, v1
	v_lshlrev_b32_e32 v28, 2, v11
	s_add_i32 s3, s3, s33
	v_mov_b32_e32 v11, 0
	s_min_i32 s3, s3, s27
	s_sub_i32 s5, s3, s33
	v_cmp_gt_i32_e64 s3, s5, v0
	s_waitcnt lgkmcnt(0)
	v_max_f32_e32 v3, v3, v3
	v_max_f32_e32 v1, v1, v3
	ds_bpermute_b32 v3, v28, v1
	s_waitcnt lgkmcnt(0)
	v_max_f32_e32 v3, v3, v3
	v_max_f32_e32 v1, v1, v3
	v_lshlrev_b32_e32 v3, 2, v12
	ds_bpermute_b32 v1, v3, v1
	v_lshl_add_u32 v3, v0, 2, 0xa0
	s_and_saveexec_b32 s15, s3
	s_cbranch_execz .LBB198_85
; %bb.82:
	v_lshl_add_u32 v12, v0, 2, 0xa0
	v_mov_b32_e32 v11, 0
	v_mov_b32_e32 v13, v0
	s_mov_b32 s16, 0
	.p2align	6
.LBB198_83:                             ; =>This Inner Loop Header: Depth=1
	ds_read_b32 v14, v12
	v_add_nc_u32_e32 v13, 0x80, v13
	v_cmp_le_i32_e64 s4, s5, v13
	s_or_b32 s16, s4, s16
	s_waitcnt lgkmcnt(0)
	v_sub_f32_e32 v14, v14, v1
	v_mul_f32_e32 v14, 0x3fb8aa3b, v14
	v_exp_f32_e32 v14, v14
	ds_write_b32 v12, v14
	v_add_f32_e32 v11, v11, v14
	v_add_nc_u32_e32 v12, 0x200, v12
	s_andn2_b32 exec_lo, exec_lo, s16
	s_cbranch_execnz .LBB198_83
; %bb.84:
	s_or_b32 exec_lo, exec_lo, s16
.LBB198_85:
	s_or_b32 exec_lo, exec_lo, s15
	ds_bpermute_b32 v2, v2, v11
	s_waitcnt lgkmcnt(0)
	v_add_f32_e32 v2, v11, v2
	ds_bpermute_b32 v4, v4, v2
	s_waitcnt lgkmcnt(0)
	v_add_f32_e32 v2, v2, v4
	;; [unrolled: 3-line block ×5, first 2 shown]
	s_and_saveexec_b32 s4, vcc_lo
; %bb.86:
	ds_write_b32 v5, v2 offset:144
; %bb.87:
	s_or_b32 exec_lo, exec_lo, s4
	s_waitcnt lgkmcnt(0)
	s_barrier
	buffer_gl0_inv
	s_and_saveexec_b32 s4, s2
; %bb.88:
	ds_read_b32 v2, v6 offset:144
; %bb.89:
	s_or_b32 exec_lo, exec_lo, s4
	s_waitcnt lgkmcnt(0)
	ds_bpermute_b32 v4, v8, v2
	v_lshlrev_b32_e32 v5, 2, v20
	s_waitcnt lgkmcnt(0)
	v_add_f32_e32 v2, v2, v4
	ds_bpermute_b32 v4, v28, v2
	s_waitcnt lgkmcnt(0)
	v_add_f32_e32 v2, v2, v4
	v_and_b32_e32 v4, 0xffffff80, v5
	ds_bpermute_b32 v2, v4, v2
	s_and_saveexec_b32 s2, s3
	s_cbranch_execz .LBB198_92
; %bb.90:
	s_waitcnt lgkmcnt(0)
	v_add_f32_e32 v4, 0x358637bd, v2
	s_mov_b32 s3, 0
	v_div_scale_f32 v5, null, v4, v4, 1.0
	v_div_scale_f32 v8, vcc_lo, 1.0, v4, 1.0
	v_rcp_f32_e32 v6, v5
	v_fma_f32 v7, -v5, v6, 1.0
	v_fmac_f32_e32 v6, v7, v6
	v_mul_f32_e32 v7, v8, v6
	v_fma_f32 v11, -v5, v7, v8
	v_fmac_f32_e32 v7, v11, v6
	v_fma_f32 v5, -v5, v7, v8
	v_div_fmas_f32 v5, v5, v6, v7
	v_div_fixup_f32 v4, v5, v4, 1.0
	v_mov_b32_e32 v5, v0
.LBB198_91:                             ; =>This Inner Loop Header: Depth=1
	ds_read_b32 v6, v3
	v_add_nc_u32_e32 v5, 0x80, v5
	v_cmp_le_i32_e32 vcc_lo, s5, v5
	s_or_b32 s3, vcc_lo, s3
	s_waitcnt lgkmcnt(0)
	v_mul_f32_e32 v6, v4, v6
	ds_write_b32 v3, v6
	v_add_nc_u32_e32 v3, 0x200, v3
	s_andn2_b32 exec_lo, exec_lo, s3
	s_cbranch_execnz .LBB198_91
.LBB198_92:
	s_or_b32 exec_lo, exec_lo, s2
	s_mul_i32 s2, s7, s26
	s_mov_b32 s4, exec_lo
	s_mul_i32 s2, s2, s9
	s_waitcnt lgkmcnt(0)
	s_barrier
	buffer_gl0_inv
	v_cmpx_eq_u32_e32 0, v0
	s_cbranch_execz .LBB198_94
; %bb.93:
	s_ashr_i32 s3, s2, 31
	s_mul_i32 s36, s7, s6
	s_lshl_b64 s[16:17], s[2:3], 2
	v_mov_b32_e32 v3, 0
	s_add_u32 s3, s22, s16
	s_addc_u32 s5, s23, s17
	s_ashr_i32 s37, s36, 31
	s_lshl_b64 s[22:23], s[36:37], 2
	s_add_u32 s3, s3, s22
	s_addc_u32 s5, s5, s23
	s_ashr_i32 s9, s8, 31
	s_lshl_b64 s[36:37], s[8:9], 2
	s_add_u32 s38, s3, s36
	s_addc_u32 s39, s5, s37
	s_add_u32 s3, s20, s16
	s_addc_u32 s5, s21, s17
	;; [unrolled: 2-line block ×4, first 2 shown]
	global_store_dword v3, v1, s[38:39]
	global_store_dword v3, v2, s[16:17]
.LBB198_94:
	s_or_b32 exec_lo, exec_lo, s4
	v_mov_b32_e32 v30, 0
	v_and_b32_e32 v29, 1, v0
	v_mov_b32_e32 v31, 0
	s_and_saveexec_b32 s3, s1
	s_cbranch_execz .LBB198_166
; %bb.95:
	s_load_dword s4, s[18:19], 0x0
	v_and_b32_e32 v1, 4, v19
	v_and_b32_e32 v2, 0x7c, v19
	v_lshl_add_u32 v4, v26, 3, s33
	s_ashr_i32 s1, s14, 31
	s_add_u32 s5, s34, s14
	v_lshlrev_b32_e32 v3, 4, v29
	v_add_co_u32 v7, s5, s5, v2
	v_add3_u32 v32, v4, v1, 3
	v_lshlrev_b64 v[1:2], 2, v[9:10]
	s_addc_u32 s1, s35, s1
	s_lshl_b64 s[14:15], s[30:31], 2
	s_add_i32 s12, s12, -1
	v_lshl_or_b32 v3, v26, 5, v3
	v_add_co_ci_u32_e64 v8, null, s1, 0, s5
	s_add_u32 s1, s28, s14
	s_addc_u32 s5, s29, s15
	v_add_co_u32 v10, vcc_lo, s1, v1
	v_mov_b32_e32 v6, 0
	v_add_nc_u32_e32 v33, 0xa0, v3
	v_add_co_ci_u32_e64 v11, null, s5, v2, vcc_lo
	v_mov_b32_e32 v34, 0x80
	v_bfrev_b32_e32 v13, 1
	v_mov_b32_e32 v35, 0xffff
	v_mov_b32_e32 v15, 0x7f800001
	;; [unrolled: 1-line block ×7, first 2 shown]
	s_mov_b32 s5, s13
	s_waitcnt lgkmcnt(0)
	s_mov_b32 s9, s4
	s_mov_b32 s6, 0
	s_branch .LBB198_97
.LBB198_96:                             ;   in Loop: Header=BB198_97 Depth=1
	s_or_b32 exec_lo, exec_lo, s1
	s_waitcnt lgkmcnt(0)
	v_mul_f32_e32 v17, v1, v40
	v_mul_f32_e32 v1, v1, v16
	v_add_nc_u32_e32 v9, 4, v9
	v_add_co_u32 v10, s1, v10, 16
	v_fmac_f32_e32 v17, v2, v39
	v_fmac_f32_e32 v1, v2, v14
	v_cmp_le_i32_e32 vcc_lo, s11, v9
	v_add_nc_u32_e32 v32, 32, v32
	v_add_nc_u32_e32 v33, 0x80, v33
	v_fmac_f32_e32 v17, v3, v25
	v_fmac_f32_e32 v1, v3, v12
	v_add_co_ci_u32_e64 v11, null, 0, v11, s1
	s_or_b32 s6, vcc_lo, s6
	v_fmac_f32_e32 v17, v4, v24
	v_fmac_f32_e32 v1, v4, v5
	v_add_f32_e32 v30, v30, v17
	v_add_f32_e32 v31, v31, v1
	s_andn2_b32 exec_lo, exec_lo, s6
	s_cbranch_execz .LBB198_165
.LBB198_97:                             ; =>This Inner Loop Header: Depth=1
	global_load_dword v1, v[10:11], off
	v_mov_b32_e32 v20, 0
	v_mov_b32_e32 v18, 0
	;; [unrolled: 1-line block ×4, first 2 shown]
	s_waitcnt vmcnt(0)
	v_mad_i64_i32 v[16:17], null, v1, s5, v[7:8]
	ds_read_b128 v[1:4], v33
	global_load_dword v39, v[16:17], off
	s_waitcnt vmcnt(0)
	v_cmp_ne_u16_sdwa s13, v39, v6 src0_sel:BYTE_0 src1_sel:DWORD
	s_and_saveexec_b32 s1, s13
	s_cbranch_execz .LBB198_105
; %bb.98:                               ;   in Loop: Header=BB198_97 Depth=1
	v_bfrev_b32_e32 v18, 1
	v_mov_b32_e32 v19, 0
	v_cmp_ne_u16_sdwa s14, v39, v34 src0_sel:BYTE_0 src1_sel:DWORD
	s_and_saveexec_b32 s13, s14
	s_cbranch_execz .LBB198_104
; %bb.99:                               ;   in Loop: Header=BB198_97 Depth=1
	v_mov_b32_e32 v18, 0x7f800001
	v_and_b32_e32 v14, 0x7f, v39
	v_mov_b32_e32 v19, 0
	s_mov_b32 s14, exec_lo
	v_cmpx_ne_u32_e32 0x7f, v14
	s_cbranch_execz .LBB198_103
; %bb.100:                              ;   in Loop: Header=BB198_97 Depth=1
	v_and_b32_e32 v5, 7, v39
	v_lshrrev_b32_e32 v12, 3, v14
	s_mov_b32 s15, exec_lo
	v_cmpx_gt_u32_e32 8, v14
; %bb.101:                              ;   in Loop: Header=BB198_97 Depth=1
	v_ffbh_u32_e32 v12, v5
	v_min_u32_e32 v12, 32, v12
	v_subrev_nc_u32_e32 v14, 28, v12
	v_sub_nc_u32_e32 v12, 29, v12
	v_lshlrev_b64 v[18:19], v14, v[5:6]
	v_and_b32_e32 v5, 7, v18
; %bb.102:                              ;   in Loop: Header=BB198_97 Depth=1
	s_or_b32 exec_lo, exec_lo, s15
	v_lshlrev_b32_e32 v14, 24, v39
	v_lshlrev_b32_e32 v5, 20, v5
	v_lshl_add_u32 v12, v12, 23, 0x3c000000
	v_and_b32_e32 v14, 0x80000000, v14
	v_or3_b32 v5, v5, v14, v12
	v_mov_b32_e32 v19, v6
	v_mov_b32_e32 v18, v5
.LBB198_103:                            ;   in Loop: Header=BB198_97 Depth=1
	s_or_b32 exec_lo, exec_lo, s14
.LBB198_104:                            ;   in Loop: Header=BB198_97 Depth=1
	s_or_b32 exec_lo, exec_lo, s13
.LBB198_105:                            ;   in Loop: Header=BB198_97 Depth=1
	s_or_b32 exec_lo, exec_lo, s1
	v_cmp_ne_u16_sdwa s13, v39, v6 src0_sel:BYTE_1 src1_sel:DWORD
	s_and_saveexec_b32 s1, s13
	s_cbranch_execz .LBB198_113
; %bb.106:                              ;   in Loop: Header=BB198_97 Depth=1
	v_mov_b32_e32 v12, v6
	v_mov_b32_e32 v21, v13
	v_cmp_ne_u16_sdwa s14, v39, v34 src0_sel:BYTE_1 src1_sel:DWORD
	v_mov_b32_e32 v20, v12
	s_and_saveexec_b32 s13, s14
	s_cbranch_execz .LBB198_112
; %bb.107:                              ;   in Loop: Header=BB198_97 Depth=1
	v_and_b32_sdwa v5, v35, v39 dst_sel:DWORD dst_unused:UNUSED_PAD src0_sel:DWORD src1_sel:BYTE_1
	v_mov_b32_e32 v14, v6
	v_mov_b32_e32 v21, v15
	s_mov_b32 s14, exec_lo
	v_and_b32_e32 v22, 0x7f, v5
	v_mov_b32_e32 v20, v14
	v_cmpx_ne_u32_e32 0x7f, v22
	s_cbranch_execz .LBB198_111
; %bb.108:                              ;   in Loop: Header=BB198_97 Depth=1
	v_and_b32_e32 v5, 7, v5
	v_lshrrev_b32_e32 v12, 3, v22
	s_mov_b32 s15, exec_lo
	v_cmpx_gt_u32_e32 8, v22
; %bb.109:                              ;   in Loop: Header=BB198_97 Depth=1
	v_ffbh_u32_e32 v12, v5
	v_min_u32_e32 v12, 32, v12
	v_subrev_nc_u32_e32 v14, 28, v12
	v_sub_nc_u32_e32 v12, 29, v12
	v_lshlrev_b64 v[20:21], v14, v[5:6]
	v_and_b32_e32 v5, 7, v20
; %bb.110:                              ;   in Loop: Header=BB198_97 Depth=1
	s_or_b32 exec_lo, exec_lo, s15
	v_lshlrev_b32_e32 v14, 16, v39
	v_lshlrev_b32_e32 v5, 20, v5
	v_lshl_add_u32 v12, v12, 23, 0x3c000000
	v_mov_b32_e32 v20, v6
	v_and_b32_e32 v14, 0x80000000, v14
	v_or3_b32 v21, v5, v14, v12
.LBB198_111:                            ;   in Loop: Header=BB198_97 Depth=1
	s_or_b32 exec_lo, exec_lo, s14
.LBB198_112:                            ;   in Loop: Header=BB198_97 Depth=1
	s_or_b32 exec_lo, exec_lo, s13
.LBB198_113:                            ;   in Loop: Header=BB198_97 Depth=1
	s_or_b32 exec_lo, exec_lo, s1
	v_mov_b32_e32 v24, 0
	v_mov_b32_e32 v22, 0
	v_and_b32_sdwa v5, v39, v36 dst_sel:DWORD dst_unused:UNUSED_PAD src0_sel:WORD_1 src1_sel:DWORD
	v_mov_b32_e32 v25, 0
	v_mov_b32_e32 v23, 0
	s_mov_b32 s1, exec_lo
	v_cmpx_ne_u16_e32 0, v5
	s_cbranch_execz .LBB198_121
; %bb.114:                              ;   in Loop: Header=BB198_97 Depth=1
	v_bfrev_b32_e32 v22, 1
	v_mov_b32_e32 v23, 0
	s_mov_b32 s13, exec_lo
	v_cmpx_ne_u16_e32 0x80, v5
	s_cbranch_execz .LBB198_120
; %bb.115:                              ;   in Loop: Header=BB198_97 Depth=1
	v_mov_b32_e32 v22, 0x7f800001
	v_bfe_u32 v14, v39, 16, 7
	v_mov_b32_e32 v23, 0
	s_mov_b32 s14, exec_lo
	v_cmpx_ne_u32_e32 0x7f, v14
	s_cbranch_execz .LBB198_119
; %bb.116:                              ;   in Loop: Header=BB198_97 Depth=1
	v_and_b32_sdwa v5, v39, v37 dst_sel:DWORD dst_unused:UNUSED_PAD src0_sel:WORD_1 src1_sel:DWORD
	v_lshrrev_b32_e32 v12, 3, v14
	s_mov_b32 s15, exec_lo
	v_cmpx_gt_u32_e32 8, v14
; %bb.117:                              ;   in Loop: Header=BB198_97 Depth=1
	v_ffbh_u32_e32 v12, v5
	v_min_u32_e32 v12, 32, v12
	v_subrev_nc_u32_e32 v14, 28, v12
	v_sub_nc_u32_e32 v12, 29, v12
	v_lshlrev_b64 v[22:23], v14, v[5:6]
	v_and_b32_e32 v5, 7, v22
; %bb.118:                              ;   in Loop: Header=BB198_97 Depth=1
	s_or_b32 exec_lo, exec_lo, s15
	v_lshlrev_b32_sdwa v14, v38, v39 dst_sel:DWORD dst_unused:UNUSED_PAD src0_sel:DWORD src1_sel:WORD_1
	v_lshlrev_b32_e32 v5, 20, v5
	v_lshl_add_u32 v12, v12, 23, 0x3c000000
	v_and_b32_e32 v14, 0x80000000, v14
	v_or3_b32 v5, v5, v14, v12
	v_mov_b32_e32 v23, v6
	v_mov_b32_e32 v22, v5
.LBB198_119:                            ;   in Loop: Header=BB198_97 Depth=1
	s_or_b32 exec_lo, exec_lo, s14
.LBB198_120:                            ;   in Loop: Header=BB198_97 Depth=1
	s_or_b32 exec_lo, exec_lo, s13
.LBB198_121:                            ;   in Loop: Header=BB198_97 Depth=1
	s_or_b32 exec_lo, exec_lo, s1
	s_mov_b32 s1, exec_lo
	v_cmpx_lt_u32_e32 0xffffff, v39
	s_cbranch_execz .LBB198_129
; %bb.122:                              ;   in Loop: Header=BB198_97 Depth=1
	v_mov_b32_e32 v12, v6
	v_mov_b32_e32 v25, v13
	v_cmp_ne_u32_sdwa s14, v39, v34 src0_sel:BYTE_3 src1_sel:DWORD
	v_mov_b32_e32 v24, v12
	s_and_saveexec_b32 s13, s14
	s_cbranch_execz .LBB198_128
; %bb.123:                              ;   in Loop: Header=BB198_97 Depth=1
	v_mov_b32_e32 v14, v6
	v_mov_b32_e32 v25, v15
	v_bfe_u32 v40, v39, 24, 7
	s_mov_b32 s14, exec_lo
	v_mov_b32_e32 v24, v14
	v_cmpx_ne_u32_e32 0x7f, v40
	s_cbranch_execz .LBB198_127
; %bb.124:                              ;   in Loop: Header=BB198_97 Depth=1
	v_and_b32_sdwa v5, v39, v37 dst_sel:DWORD dst_unused:UNUSED_PAD src0_sel:BYTE_3 src1_sel:DWORD
	v_lshrrev_b32_e32 v12, 3, v40
	s_mov_b32 s15, exec_lo
	v_cmpx_gt_u32_e32 8, v40
; %bb.125:                              ;   in Loop: Header=BB198_97 Depth=1
	v_ffbh_u32_e32 v12, v5
	v_min_u32_e32 v12, 32, v12
	v_subrev_nc_u32_e32 v14, 28, v12
	v_sub_nc_u32_e32 v12, 29, v12
	v_lshlrev_b64 v[24:25], v14, v[5:6]
	v_and_b32_e32 v5, 7, v24
; %bb.126:                              ;   in Loop: Header=BB198_97 Depth=1
	s_or_b32 exec_lo, exec_lo, s15
	v_lshlrev_b32_sdwa v14, v38, v39 dst_sel:DWORD dst_unused:UNUSED_PAD src0_sel:DWORD src1_sel:BYTE_3
	v_lshlrev_b32_e32 v5, 20, v5
	v_lshl_add_u32 v12, v12, 23, 0x3c000000
	v_mov_b32_e32 v24, v6
	v_and_b32_e32 v14, 0x80000000, v14
	v_or3_b32 v25, v5, v14, v12
.LBB198_127:                            ;   in Loop: Header=BB198_97 Depth=1
	s_or_b32 exec_lo, exec_lo, s14
.LBB198_128:                            ;   in Loop: Header=BB198_97 Depth=1
	s_or_b32 exec_lo, exec_lo, s13
.LBB198_129:                            ;   in Loop: Header=BB198_97 Depth=1
	s_or_b32 exec_lo, exec_lo, s1
	v_or_b32_e32 v5, v21, v19
	v_or_b32_e32 v12, v20, v18
	;; [unrolled: 1-line block ×4, first 2 shown]
	v_add_nc_u32_e32 v41, -3, v32
	v_cmp_eq_u32_e32 vcc_lo, s12, v9
	v_mul_f32_e32 v39, s9, v5
	v_mul_f32_e32 v40, s4, v12
	;; [unrolled: 1-line block ×4, first 2 shown]
	v_add_nc_u32_e32 v43, -2, v32
	v_add_nc_u32_e32 v42, -1, v32
	s_and_saveexec_b32 s13, vcc_lo
	s_cbranch_execz .LBB198_131
; %bb.130:                              ;   in Loop: Header=BB198_97 Depth=1
	v_cmp_gt_i32_e64 s1, s27, v41
	v_cndmask_b32_e64 v40, 0, v40, s1
	v_cmp_gt_i32_e64 s1, s27, v43
	v_cndmask_b32_e64 v39, 0, v39, s1
	;; [unrolled: 2-line block ×4, first 2 shown]
.LBB198_131:                            ;   in Loop: Header=BB198_97 Depth=1
	s_or_b32 exec_lo, exec_lo, s13
	global_load_dword v44, v[16:17], off offset:128
	v_mov_b32_e32 v18, 0
	v_mov_b32_e32 v16, 0
	;; [unrolled: 1-line block ×4, first 2 shown]
	s_waitcnt vmcnt(0)
	v_cmp_ne_u16_sdwa s1, v44, v6 src0_sel:BYTE_0 src1_sel:DWORD
	s_and_saveexec_b32 s13, s1
	s_cbranch_execz .LBB198_139
; %bb.132:                              ;   in Loop: Header=BB198_97 Depth=1
	v_bfrev_b32_e32 v16, 1
	v_mov_b32_e32 v17, 0
	v_cmp_ne_u16_sdwa s1, v44, v34 src0_sel:BYTE_0 src1_sel:DWORD
	s_and_saveexec_b32 s14, s1
	s_cbranch_execz .LBB198_138
; %bb.133:                              ;   in Loop: Header=BB198_97 Depth=1
	v_mov_b32_e32 v16, 0x7f800001
	v_and_b32_e32 v14, 0x7f, v44
	v_mov_b32_e32 v17, 0
	s_mov_b32 s15, exec_lo
	v_cmpx_ne_u32_e32 0x7f, v14
	s_cbranch_execz .LBB198_137
; %bb.134:                              ;   in Loop: Header=BB198_97 Depth=1
	v_and_b32_e32 v5, 7, v44
	v_lshrrev_b32_e32 v12, 3, v14
	s_mov_b32 s16, exec_lo
	v_cmpx_gt_u32_e32 8, v14
; %bb.135:                              ;   in Loop: Header=BB198_97 Depth=1
	v_ffbh_u32_e32 v12, v5
	v_min_u32_e32 v12, 32, v12
	v_subrev_nc_u32_e32 v14, 28, v12
	v_sub_nc_u32_e32 v12, 29, v12
	v_lshlrev_b64 v[16:17], v14, v[5:6]
	v_and_b32_e32 v5, 7, v16
; %bb.136:                              ;   in Loop: Header=BB198_97 Depth=1
	s_or_b32 exec_lo, exec_lo, s16
	v_lshlrev_b32_e32 v14, 24, v44
	v_lshlrev_b32_e32 v5, 20, v5
	v_lshl_add_u32 v12, v12, 23, 0x3c000000
	v_and_b32_e32 v14, 0x80000000, v14
	v_or3_b32 v5, v5, v14, v12
	v_mov_b32_e32 v17, v6
	v_mov_b32_e32 v16, v5
.LBB198_137:                            ;   in Loop: Header=BB198_97 Depth=1
	s_or_b32 exec_lo, exec_lo, s15
.LBB198_138:                            ;   in Loop: Header=BB198_97 Depth=1
	s_or_b32 exec_lo, exec_lo, s14
.LBB198_139:                            ;   in Loop: Header=BB198_97 Depth=1
	s_or_b32 exec_lo, exec_lo, s13
	v_cmp_ne_u16_sdwa s1, v44, v6 src0_sel:BYTE_1 src1_sel:DWORD
	s_and_saveexec_b32 s13, s1
	s_cbranch_execz .LBB198_147
; %bb.140:                              ;   in Loop: Header=BB198_97 Depth=1
	v_mov_b32_e32 v12, v6
	v_mov_b32_e32 v19, v13
	v_cmp_ne_u16_sdwa s1, v44, v34 src0_sel:BYTE_1 src1_sel:DWORD
	v_mov_b32_e32 v18, v12
	s_and_saveexec_b32 s14, s1
	s_cbranch_execz .LBB198_146
; %bb.141:                              ;   in Loop: Header=BB198_97 Depth=1
	v_and_b32_sdwa v5, v35, v44 dst_sel:DWORD dst_unused:UNUSED_PAD src0_sel:DWORD src1_sel:BYTE_1
	v_mov_b32_e32 v14, v6
	v_mov_b32_e32 v19, v15
	s_mov_b32 s15, exec_lo
	v_and_b32_e32 v20, 0x7f, v5
	v_mov_b32_e32 v18, v14
	v_cmpx_ne_u32_e32 0x7f, v20
	s_cbranch_execz .LBB198_145
; %bb.142:                              ;   in Loop: Header=BB198_97 Depth=1
	v_and_b32_e32 v5, 7, v5
	v_lshrrev_b32_e32 v12, 3, v20
	s_mov_b32 s16, exec_lo
	v_cmpx_gt_u32_e32 8, v20
; %bb.143:                              ;   in Loop: Header=BB198_97 Depth=1
	v_ffbh_u32_e32 v12, v5
	v_min_u32_e32 v12, 32, v12
	v_subrev_nc_u32_e32 v14, 28, v12
	v_sub_nc_u32_e32 v12, 29, v12
	v_lshlrev_b64 v[18:19], v14, v[5:6]
	v_and_b32_e32 v5, 7, v18
; %bb.144:                              ;   in Loop: Header=BB198_97 Depth=1
	s_or_b32 exec_lo, exec_lo, s16
	v_lshlrev_b32_e32 v14, 16, v44
	v_lshlrev_b32_e32 v5, 20, v5
	v_lshl_add_u32 v12, v12, 23, 0x3c000000
	v_mov_b32_e32 v18, v6
	v_and_b32_e32 v14, 0x80000000, v14
	v_or3_b32 v19, v5, v14, v12
.LBB198_145:                            ;   in Loop: Header=BB198_97 Depth=1
	s_or_b32 exec_lo, exec_lo, s15
.LBB198_146:                            ;   in Loop: Header=BB198_97 Depth=1
	s_or_b32 exec_lo, exec_lo, s14
.LBB198_147:                            ;   in Loop: Header=BB198_97 Depth=1
	s_or_b32 exec_lo, exec_lo, s13
	v_mov_b32_e32 v22, 0
	v_mov_b32_e32 v20, 0
	v_and_b32_sdwa v5, v44, v36 dst_sel:DWORD dst_unused:UNUSED_PAD src0_sel:WORD_1 src1_sel:DWORD
	v_mov_b32_e32 v23, 0
	v_mov_b32_e32 v21, 0
	s_mov_b32 s13, exec_lo
	v_cmpx_ne_u16_e32 0, v5
	s_cbranch_execz .LBB198_155
; %bb.148:                              ;   in Loop: Header=BB198_97 Depth=1
	v_bfrev_b32_e32 v20, 1
	v_mov_b32_e32 v21, 0
	s_mov_b32 s14, exec_lo
	v_cmpx_ne_u16_e32 0x80, v5
	s_cbranch_execz .LBB198_154
; %bb.149:                              ;   in Loop: Header=BB198_97 Depth=1
	v_mov_b32_e32 v20, 0x7f800001
	v_bfe_u32 v14, v44, 16, 7
	v_mov_b32_e32 v21, 0
	s_mov_b32 s15, exec_lo
	v_cmpx_ne_u32_e32 0x7f, v14
	s_cbranch_execz .LBB198_153
; %bb.150:                              ;   in Loop: Header=BB198_97 Depth=1
	v_and_b32_sdwa v5, v44, v37 dst_sel:DWORD dst_unused:UNUSED_PAD src0_sel:WORD_1 src1_sel:DWORD
	v_lshrrev_b32_e32 v12, 3, v14
	s_mov_b32 s16, exec_lo
	v_cmpx_gt_u32_e32 8, v14
; %bb.151:                              ;   in Loop: Header=BB198_97 Depth=1
	v_ffbh_u32_e32 v12, v5
	v_min_u32_e32 v12, 32, v12
	v_subrev_nc_u32_e32 v14, 28, v12
	v_sub_nc_u32_e32 v12, 29, v12
	v_lshlrev_b64 v[20:21], v14, v[5:6]
	v_and_b32_e32 v5, 7, v20
; %bb.152:                              ;   in Loop: Header=BB198_97 Depth=1
	s_or_b32 exec_lo, exec_lo, s16
	v_lshlrev_b32_sdwa v14, v38, v44 dst_sel:DWORD dst_unused:UNUSED_PAD src0_sel:DWORD src1_sel:WORD_1
	v_lshlrev_b32_e32 v5, 20, v5
	v_lshl_add_u32 v12, v12, 23, 0x3c000000
	v_and_b32_e32 v14, 0x80000000, v14
	v_or3_b32 v5, v5, v14, v12
	v_mov_b32_e32 v21, v6
	v_mov_b32_e32 v20, v5
.LBB198_153:                            ;   in Loop: Header=BB198_97 Depth=1
	s_or_b32 exec_lo, exec_lo, s15
.LBB198_154:                            ;   in Loop: Header=BB198_97 Depth=1
	s_or_b32 exec_lo, exec_lo, s14
.LBB198_155:                            ;   in Loop: Header=BB198_97 Depth=1
	s_or_b32 exec_lo, exec_lo, s13
	s_mov_b32 s13, exec_lo
	v_cmpx_lt_u32_e32 0xffffff, v44
	s_cbranch_execz .LBB198_163
; %bb.156:                              ;   in Loop: Header=BB198_97 Depth=1
	v_mov_b32_e32 v12, v6
	v_mov_b32_e32 v23, v13
	v_cmp_ne_u32_sdwa s1, v44, v34 src0_sel:BYTE_3 src1_sel:DWORD
	v_mov_b32_e32 v22, v12
	s_and_saveexec_b32 s14, s1
	s_cbranch_execz .LBB198_162
; %bb.157:                              ;   in Loop: Header=BB198_97 Depth=1
	v_mov_b32_e32 v14, v6
	v_mov_b32_e32 v23, v15
	v_bfe_u32 v45, v44, 24, 7
	s_mov_b32 s15, exec_lo
	v_mov_b32_e32 v22, v14
	v_cmpx_ne_u32_e32 0x7f, v45
	s_cbranch_execz .LBB198_161
; %bb.158:                              ;   in Loop: Header=BB198_97 Depth=1
	v_and_b32_sdwa v5, v44, v37 dst_sel:DWORD dst_unused:UNUSED_PAD src0_sel:BYTE_3 src1_sel:DWORD
	v_lshrrev_b32_e32 v12, 3, v45
	s_mov_b32 s16, exec_lo
	v_cmpx_gt_u32_e32 8, v45
; %bb.159:                              ;   in Loop: Header=BB198_97 Depth=1
	v_ffbh_u32_e32 v12, v5
	v_min_u32_e32 v12, 32, v12
	v_subrev_nc_u32_e32 v14, 28, v12
	v_sub_nc_u32_e32 v12, 29, v12
	v_lshlrev_b64 v[22:23], v14, v[5:6]
	v_and_b32_e32 v5, 7, v22
; %bb.160:                              ;   in Loop: Header=BB198_97 Depth=1
	s_or_b32 exec_lo, exec_lo, s16
	v_lshlrev_b32_sdwa v14, v38, v44 dst_sel:DWORD dst_unused:UNUSED_PAD src0_sel:DWORD src1_sel:BYTE_3
	v_lshlrev_b32_e32 v5, 20, v5
	v_lshl_add_u32 v12, v12, 23, 0x3c000000
	v_mov_b32_e32 v22, v6
	v_and_b32_e32 v14, 0x80000000, v14
	v_or3_b32 v23, v5, v14, v12
.LBB198_161:                            ;   in Loop: Header=BB198_97 Depth=1
	s_or_b32 exec_lo, exec_lo, s15
.LBB198_162:                            ;   in Loop: Header=BB198_97 Depth=1
	s_or_b32 exec_lo, exec_lo, s14
.LBB198_163:                            ;   in Loop: Header=BB198_97 Depth=1
	s_or_b32 exec_lo, exec_lo, s13
	v_or_b32_e32 v5, v19, v17
	v_or_b32_e32 v12, v18, v16
	;; [unrolled: 1-line block ×4, first 2 shown]
	v_mul_f32_e32 v14, s9, v5
	v_mul_f32_e32 v16, s4, v12
	;; [unrolled: 1-line block ×4, first 2 shown]
	s_and_saveexec_b32 s1, vcc_lo
	s_cbranch_execz .LBB198_96
; %bb.164:                              ;   in Loop: Header=BB198_97 Depth=1
	v_cmp_gt_i32_e32 vcc_lo, s27, v41
	v_cndmask_b32_e32 v16, 0, v16, vcc_lo
	v_cmp_gt_i32_e32 vcc_lo, s27, v43
	v_cndmask_b32_e32 v14, 0, v14, vcc_lo
	;; [unrolled: 2-line block ×4, first 2 shown]
	s_branch .LBB198_96
.LBB198_165:
	s_or_b32 exec_lo, exec_lo, s6
.LBB198_166:
	s_or_b32 exec_lo, exec_lo, s3
	ds_bpermute_b32 v1, v28, v30
	ds_bpermute_b32 v2, v28, v31
	v_lshrrev_b32_e32 v3, 1, v27
	v_and_b32_e32 v5, 0x3c1, v0
	s_mov_b32 s1, exec_lo
	s_waitcnt lgkmcnt(0)
	s_waitcnt_vscnt null, 0x0
	s_barrier
	v_lshl_add_u32 v4, v3, 2, 0xa0
	buffer_gl0_inv
	v_add_f32_e32 v1, v30, v1
	v_add_f32_e32 v2, v31, v2
	v_cmpx_eq_u32_e32 64, v5
	s_cbranch_execz .LBB198_168
; %bb.167:
	v_lshl_add_u32 v5, v26, 7, v4
	v_add_nc_u32_e32 v6, 0xffffff00, v5
	v_add_nc_u32_e32 v5, 0xffffff40, v5
	ds_write_b32 v6, v1
	ds_write_b32 v5, v2
.LBB198_168:
	s_or_b32 exec_lo, exec_lo, s1
	v_and_b32_e32 v5, 0x3e0, v0
	v_lshlrev_b32_e32 v3, 2, v3
	s_mov_b32 s3, exec_lo
	v_cmp_eq_u32_e32 vcc_lo, 0, v29
	s_waitcnt lgkmcnt(0)
	v_lshlrev_b32_e32 v5, 2, v5
	s_barrier
	buffer_gl0_inv
	v_add3_u32 v3, 0xa0, v5, v3
	v_cmpx_gt_u32_e32 64, v0
	s_cbranch_execz .LBB198_174
; %bb.169:
	s_and_saveexec_b32 s1, vcc_lo
	s_cbranch_execz .LBB198_171
; %bb.170:
	ds_read_b32 v5, v3
	s_waitcnt lgkmcnt(0)
	v_add_f32_e32 v1, v1, v5
.LBB198_171:
	s_or_b32 exec_lo, exec_lo, s1
	s_and_saveexec_b32 s1, vcc_lo
	s_cbranch_execz .LBB198_173
; %bb.172:
	ds_read_b32 v5, v3 offset:64
	s_waitcnt lgkmcnt(0)
	v_add_f32_e32 v2, v2, v5
.LBB198_173:
	s_or_b32 exec_lo, exec_lo, s1
.LBB198_174:
	s_or_b32 exec_lo, exec_lo, s3
	v_and_b32_e32 v5, 0x3e1, v0
	s_mov_b32 s3, exec_lo
	s_barrier
	buffer_gl0_inv
	v_cmpx_eq_u32_e32 32, v5
; %bb.175:
	ds_write2_b32 v4, v1, v2 offset1:16
; %bb.176:
	s_or_b32 exec_lo, exec_lo, s3
	s_waitcnt lgkmcnt(0)
	s_barrier
	buffer_gl0_inv
	s_and_saveexec_b32 s1, s0
	s_cbranch_execz .LBB198_182
; %bb.177:
	s_and_saveexec_b32 s0, vcc_lo
	s_cbranch_execz .LBB198_179
; %bb.178:
	ds_read_b32 v4, v3
	s_waitcnt lgkmcnt(0)
	v_add_f32_e32 v1, v1, v4
.LBB198_179:
	s_or_b32 exec_lo, exec_lo, s0
	s_and_saveexec_b32 s0, vcc_lo
	s_cbranch_execz .LBB198_181
; %bb.180:
	ds_read_b32 v3, v3 offset:64
	s_waitcnt lgkmcnt(0)
	v_add_f32_e32 v2, v2, v3
.LBB198_181:
	s_or_b32 exec_lo, exec_lo, s0
.LBB198_182:
	s_or_b32 exec_lo, exec_lo, s1
	s_barrier
	buffer_gl0_inv
	s_mov_b32 s0, exec_lo
	v_cmpx_eq_u32_e32 0, v5
	s_cbranch_execz .LBB198_184
; %bb.183:
	s_lshl_b32 s0, s2, 5
	s_mul_i32 s2, s7, s10
	s_ashr_i32 s1, s0, 31
	v_lshlrev_b32_e32 v0, 1, v0
	s_lshl_b64 s[0:1], s[0:1], 2
	s_add_u32 s4, s24, s0
	s_addc_u32 s5, s25, s1
	s_ashr_i32 s3, s2, 31
	s_lshl_b64 s[0:1], s[2:3], 2
	s_add_u32 s2, s4, s0
	s_addc_u32 s3, s5, s1
	s_lshl_b32 s0, s8, 5
	s_ashr_i32 s1, s0, 31
	s_lshl_b64 s[0:1], s[0:1], 2
	s_add_u32 s0, s2, s0
	s_addc_u32 s1, s3, s1
	global_store_dword v0, v1, s[0:1]
	global_store_dword v0, v2, s[0:1] offset:64
.LBB198_184:
	s_endpgm
	.section	.rodata,"a",@progbits
	.p2align	6, 0x0
	.amdhsa_kernel _ZN4vllm25paged_attention_v2_kernelIfhLi32ELi8ELi128ELNS_18Fp8KVCacheDataTypeE1ELb0ELi512EEEvPfS2_PT_PKS3_PKT0_S9_ifPKiSB_iPKfiiiSD_SD_iiiii
		.amdhsa_group_segment_fixed_size 160
		.amdhsa_private_segment_fixed_size 0
		.amdhsa_kernarg_size 400
		.amdhsa_user_sgpr_count 6
		.amdhsa_user_sgpr_private_segment_buffer 1
		.amdhsa_user_sgpr_dispatch_ptr 0
		.amdhsa_user_sgpr_queue_ptr 0
		.amdhsa_user_sgpr_kernarg_segment_ptr 1
		.amdhsa_user_sgpr_dispatch_id 0
		.amdhsa_user_sgpr_flat_scratch_init 0
		.amdhsa_user_sgpr_private_segment_size 0
		.amdhsa_wavefront_size32 1
		.amdhsa_uses_dynamic_stack 0
		.amdhsa_system_sgpr_private_segment_wavefront_offset 0
		.amdhsa_system_sgpr_workgroup_id_x 1
		.amdhsa_system_sgpr_workgroup_id_y 1
		.amdhsa_system_sgpr_workgroup_id_z 1
		.amdhsa_system_sgpr_workgroup_info 0
		.amdhsa_system_vgpr_workitem_id 0
		.amdhsa_next_free_vgpr 46
		.amdhsa_next_free_sgpr 43
		.amdhsa_reserve_vcc 1
		.amdhsa_reserve_flat_scratch 0
		.amdhsa_float_round_mode_32 0
		.amdhsa_float_round_mode_16_64 0
		.amdhsa_float_denorm_mode_32 3
		.amdhsa_float_denorm_mode_16_64 3
		.amdhsa_dx10_clamp 1
		.amdhsa_ieee_mode 1
		.amdhsa_fp16_overflow 0
		.amdhsa_workgroup_processor_mode 1
		.amdhsa_memory_ordered 1
		.amdhsa_forward_progress 1
		.amdhsa_shared_vgpr_count 0
		.amdhsa_exception_fp_ieee_invalid_op 0
		.amdhsa_exception_fp_denorm_src 0
		.amdhsa_exception_fp_ieee_div_zero 0
		.amdhsa_exception_fp_ieee_overflow 0
		.amdhsa_exception_fp_ieee_underflow 0
		.amdhsa_exception_fp_ieee_inexact 0
		.amdhsa_exception_int_div_zero 0
	.end_amdhsa_kernel
	.section	.text._ZN4vllm25paged_attention_v2_kernelIfhLi32ELi8ELi128ELNS_18Fp8KVCacheDataTypeE1ELb0ELi512EEEvPfS2_PT_PKS3_PKT0_S9_ifPKiSB_iPKfiiiSD_SD_iiiii,"axG",@progbits,_ZN4vllm25paged_attention_v2_kernelIfhLi32ELi8ELi128ELNS_18Fp8KVCacheDataTypeE1ELb0ELi512EEEvPfS2_PT_PKS3_PKT0_S9_ifPKiSB_iPKfiiiSD_SD_iiiii,comdat
.Lfunc_end198:
	.size	_ZN4vllm25paged_attention_v2_kernelIfhLi32ELi8ELi128ELNS_18Fp8KVCacheDataTypeE1ELb0ELi512EEEvPfS2_PT_PKS3_PKT0_S9_ifPKiSB_iPKfiiiSD_SD_iiiii, .Lfunc_end198-_ZN4vllm25paged_attention_v2_kernelIfhLi32ELi8ELi128ELNS_18Fp8KVCacheDataTypeE1ELb0ELi512EEEvPfS2_PT_PKS3_PKT0_S9_ifPKiSB_iPKfiiiSD_SD_iiiii
                                        ; -- End function
	.set _ZN4vllm25paged_attention_v2_kernelIfhLi32ELi8ELi128ELNS_18Fp8KVCacheDataTypeE1ELb0ELi512EEEvPfS2_PT_PKS3_PKT0_S9_ifPKiSB_iPKfiiiSD_SD_iiiii.num_vgpr, 46
	.set _ZN4vllm25paged_attention_v2_kernelIfhLi32ELi8ELi128ELNS_18Fp8KVCacheDataTypeE1ELb0ELi512EEEvPfS2_PT_PKS3_PKT0_S9_ifPKiSB_iPKfiiiSD_SD_iiiii.num_agpr, 0
	.set _ZN4vllm25paged_attention_v2_kernelIfhLi32ELi8ELi128ELNS_18Fp8KVCacheDataTypeE1ELb0ELi512EEEvPfS2_PT_PKS3_PKT0_S9_ifPKiSB_iPKfiiiSD_SD_iiiii.numbered_sgpr, 43
	.set _ZN4vllm25paged_attention_v2_kernelIfhLi32ELi8ELi128ELNS_18Fp8KVCacheDataTypeE1ELb0ELi512EEEvPfS2_PT_PKS3_PKT0_S9_ifPKiSB_iPKfiiiSD_SD_iiiii.num_named_barrier, 0
	.set _ZN4vllm25paged_attention_v2_kernelIfhLi32ELi8ELi128ELNS_18Fp8KVCacheDataTypeE1ELb0ELi512EEEvPfS2_PT_PKS3_PKT0_S9_ifPKiSB_iPKfiiiSD_SD_iiiii.private_seg_size, 0
	.set _ZN4vllm25paged_attention_v2_kernelIfhLi32ELi8ELi128ELNS_18Fp8KVCacheDataTypeE1ELb0ELi512EEEvPfS2_PT_PKS3_PKT0_S9_ifPKiSB_iPKfiiiSD_SD_iiiii.uses_vcc, 1
	.set _ZN4vllm25paged_attention_v2_kernelIfhLi32ELi8ELi128ELNS_18Fp8KVCacheDataTypeE1ELb0ELi512EEEvPfS2_PT_PKS3_PKT0_S9_ifPKiSB_iPKfiiiSD_SD_iiiii.uses_flat_scratch, 0
	.set _ZN4vllm25paged_attention_v2_kernelIfhLi32ELi8ELi128ELNS_18Fp8KVCacheDataTypeE1ELb0ELi512EEEvPfS2_PT_PKS3_PKT0_S9_ifPKiSB_iPKfiiiSD_SD_iiiii.has_dyn_sized_stack, 0
	.set _ZN4vllm25paged_attention_v2_kernelIfhLi32ELi8ELi128ELNS_18Fp8KVCacheDataTypeE1ELb0ELi512EEEvPfS2_PT_PKS3_PKT0_S9_ifPKiSB_iPKfiiiSD_SD_iiiii.has_recursion, 0
	.set _ZN4vllm25paged_attention_v2_kernelIfhLi32ELi8ELi128ELNS_18Fp8KVCacheDataTypeE1ELb0ELi512EEEvPfS2_PT_PKS3_PKT0_S9_ifPKiSB_iPKfiiiSD_SD_iiiii.has_indirect_call, 0
	.section	.AMDGPU.csdata,"",@progbits
; Kernel info:
; codeLenInByte = 6248
; TotalNumSgprs: 45
; NumVgprs: 46
; ScratchSize: 0
; MemoryBound: 0
; FloatMode: 240
; IeeeMode: 1
; LDSByteSize: 160 bytes/workgroup (compile time only)
; SGPRBlocks: 0
; VGPRBlocks: 5
; NumSGPRsForWavesPerEU: 45
; NumVGPRsForWavesPerEU: 46
; Occupancy: 16
; WaveLimiterHint : 1
; COMPUTE_PGM_RSRC2:SCRATCH_EN: 0
; COMPUTE_PGM_RSRC2:USER_SGPR: 6
; COMPUTE_PGM_RSRC2:TRAP_HANDLER: 0
; COMPUTE_PGM_RSRC2:TGID_X_EN: 1
; COMPUTE_PGM_RSRC2:TGID_Y_EN: 1
; COMPUTE_PGM_RSRC2:TGID_Z_EN: 1
; COMPUTE_PGM_RSRC2:TIDIG_COMP_CNT: 0
	.section	.text._ZN4vllm25paged_attention_v2_kernelIfhLi64ELi8ELi128ELNS_18Fp8KVCacheDataTypeE1ELb0ELi512EEEvPfS2_PT_PKS3_PKT0_S9_ifPKiSB_iPKfiiiSD_SD_iiiii,"axG",@progbits,_ZN4vllm25paged_attention_v2_kernelIfhLi64ELi8ELi128ELNS_18Fp8KVCacheDataTypeE1ELb0ELi512EEEvPfS2_PT_PKS3_PKT0_S9_ifPKiSB_iPKfiiiSD_SD_iiiii,comdat
	.protected	_ZN4vllm25paged_attention_v2_kernelIfhLi64ELi8ELi128ELNS_18Fp8KVCacheDataTypeE1ELb0ELi512EEEvPfS2_PT_PKS3_PKT0_S9_ifPKiSB_iPKfiiiSD_SD_iiiii ; -- Begin function _ZN4vllm25paged_attention_v2_kernelIfhLi64ELi8ELi128ELNS_18Fp8KVCacheDataTypeE1ELb0ELi512EEEvPfS2_PT_PKS3_PKT0_S9_ifPKiSB_iPKfiiiSD_SD_iiiii
	.globl	_ZN4vllm25paged_attention_v2_kernelIfhLi64ELi8ELi128ELNS_18Fp8KVCacheDataTypeE1ELb0ELi512EEEvPfS2_PT_PKS3_PKT0_S9_ifPKiSB_iPKfiiiSD_SD_iiiii
	.p2align	8
	.type	_ZN4vllm25paged_attention_v2_kernelIfhLi64ELi8ELi128ELNS_18Fp8KVCacheDataTypeE1ELb0ELi512EEEvPfS2_PT_PKS3_PKT0_S9_ifPKiSB_iPKfiiiSD_SD_iiiii,@function
_ZN4vllm25paged_attention_v2_kernelIfhLi64ELi8ELi128ELNS_18Fp8KVCacheDataTypeE1ELb0ELi512EEEvPfS2_PT_PKS3_PKT0_S9_ifPKiSB_iPKfiiiSD_SD_iiiii: ; @_ZN4vllm25paged_attention_v2_kernelIfhLi64ELi8ELi128ELNS_18Fp8KVCacheDataTypeE1ELb0ELi512EEEvPfS2_PT_PKS3_PKT0_S9_ifPKiSB_iPKfiiiSD_SD_iiiii
; %bb.0:
	s_load_dwordx2 s[0:1], s[4:5], 0x40
	s_mov_b32 s26, s7
	s_ashr_i32 s27, s7, 31
	s_lshl_b64 s[2:3], s[26:27], 2
	s_waitcnt lgkmcnt(0)
	s_add_u32 s0, s0, s2
	s_addc_u32 s1, s1, s3
	s_lshl_b32 s33, s8, 9
	s_load_dword s27, s[0:1], 0x0
	s_waitcnt lgkmcnt(0)
	s_cmp_ge_i32 s33, s27
	s_cbranch_scc1 .LBB199_318
; %bb.1:
	s_clause 0x1
	s_load_dword s9, s[4:5], 0x90
	s_load_dwordx2 s[36:37], s[4:5], 0x30
	s_waitcnt lgkmcnt(0)
	s_abs_i32 s3, s9
	s_abs_i32 s0, s36
	v_cvt_f32_u32_e32 v1, s0
	s_sub_i32 s2, 0, s0
	v_rcp_iflag_f32_e32 v1, v1
	v_mul_f32_e32 v1, 0x4f7ffffe, v1
	v_cvt_u32_f32_e32 v1, v1
	v_readfirstlane_b32 s1, v1
	s_mul_i32 s2, s2, s1
	s_mul_hi_u32 s2, s1, s2
	s_add_i32 s1, s1, s2
	s_xor_b32 s2, s9, s36
	s_mul_hi_u32 s1, s3, s1
	s_ashr_i32 s2, s2, 31
	s_mul_i32 s7, s1, s0
	s_mov_b32 s36, 0
	s_sub_i32 s3, s3, s7
	s_add_i32 s7, s1, 1
	s_sub_i32 s10, s3, s0
	s_cmp_ge_u32 s3, s0
	s_cselect_b32 s1, s7, s1
	s_cselect_b32 s3, s10, s3
	s_add_i32 s7, s1, 1
	s_cmp_ge_u32 s3, s0
	s_cselect_b32 s0, s7, s1
	s_abs_i32 s16, s6
	s_xor_b32 s0, s0, s2
	s_sub_i32 s10, s0, s2
	s_load_dwordx2 s[0:1], s[4:5], 0x50
	s_abs_i32 s2, s10
	v_cvt_f32_u32_e32 v1, s2
	s_sub_i32 s7, 0, s2
	v_rcp_iflag_f32_e32 v1, v1
	v_mul_f32_e32 v1, 0x4f7ffffe, v1
	v_cvt_u32_f32_e32 v1, v1
	v_readfirstlane_b32 s3, v1
	s_mul_i32 s7, s7, s3
	s_mul_hi_u32 s7, s3, s7
	s_add_i32 s3, s3, s7
	s_waitcnt lgkmcnt(0)
	s_cmp_eq_u64 s[0:1], 0
	s_mul_hi_u32 s3, s16, s3
	s_cbranch_scc1 .LBB199_3
; %bb.2:
	s_ashr_i32 s7, s6, 31
	s_lshl_b64 s[12:13], s[6:7], 2
	s_add_u32 s0, s0, s12
	s_addc_u32 s1, s1, s13
	s_load_dword s36, s[0:1], 0x0
.LBB199_3:
	s_load_dwordx4 s[12:15], s[4:5], 0x58
	v_and_b32_e32 v19, 3, v0
	v_cmp_gt_u32_e64 s0, 64, v0
	v_lshlrev_b32_e32 v28, 2, v0
	s_ashr_i32 s1, s6, 31
	s_ashr_i32 s7, s10, 31
	s_lshl_b32 s10, s6, 6
	s_waitcnt lgkmcnt(0)
	s_and_saveexec_b32 s15, s0
	s_cbranch_execz .LBB199_5
; %bb.4:
	s_load_dwordx2 s[18:19], s[4:5], 0x18
	s_mul_i32 s20, s12, s26
	v_and_b32_e32 v2, 0x3fc, v0
	s_ashr_i32 s21, s20, 31
	s_lshl_b64 s[20:21], s[20:21], 2
	v_lshl_add_u32 v2, v19, 6, v2
	s_waitcnt lgkmcnt(0)
	s_add_u32 s12, s18, s20
	s_addc_u32 s17, s19, s21
	s_ashr_i32 s11, s10, 31
	s_lshl_b64 s[18:19], s[10:11], 2
	s_add_u32 s18, s12, s18
	s_addc_u32 s19, s17, s19
	global_load_dword v1, v28, s[18:19]
	s_waitcnt vmcnt(0)
	ds_write_b32 v2, v1
.LBB199_5:
	s_or_b32 exec_lo, exec_lo, s15
	s_add_i32 s11, s27, 7
	s_lshl_b32 s12, s8, 6
	s_ashr_i32 s15, s11, 31
	s_xor_b32 s1, s1, s7
	s_lshr_b32 s15, s15, 29
	s_add_i32 s7, s12, 64
	s_add_i32 s11, s11, s15
	s_mul_i32 s17, s3, s2
	s_ashr_i32 s15, s11, 3
	s_sub_i32 s16, s16, s17
	s_min_i32 s11, s7, s15
	s_clause 0x1
	s_load_dwordx2 s[28:29], s[4:5], 0x38
	s_load_dword s7, s[4:5], 0x48
	s_add_i32 s17, s3, 1
	s_sub_i32 s18, s16, s2
	s_cmp_ge_u32 s16, s2
	v_lshrrev_b32_e32 v27, 5, v0
	s_cselect_b32 s3, s17, s3
	s_cselect_b32 s16, s18, s16
	s_add_i32 s17, s3, 1
	s_cmp_ge_u32 s16, s2
	v_or_b32_e32 v17, s12, v27
	s_cselect_b32 s2, s17, s3
	v_mbcnt_lo_u32_b32 v30, -1, 0
	s_xor_b32 s2, s2, s1
	s_mov_b32 s3, exec_lo
	s_sub_i32 s2, s2, s1
	v_cmp_gt_i32_e64 s1, s11, v17
	s_waitcnt lgkmcnt(0)
	s_barrier
	buffer_gl0_inv
                                        ; implicit-def: $vgpr20
                                        ; implicit-def: $vgpr29
	s_mul_i32 s30, s7, s26
	s_ashr_i32 s31, s30, 31
	v_cmpx_le_i32_e64 s11, v17
	s_xor_b32 s3, exec_lo, s3
; %bb.6:
	v_mov_b32_e32 v20, 0
	v_mbcnt_lo_u32_b32 v30, -1, 0
	v_mov_b32_e32 v29, 32
                                        ; implicit-def: $vgpr19
; %bb.7:
	s_or_saveexec_b32 s38, s3
	s_clause 0x4
	s_load_dwordx4 s[20:23], s[4:5], 0x0
	s_load_dwordx2 s[24:25], s[4:5], 0x10
	s_load_dword s7, s[4:5], 0x98
	s_load_dwordx2 s[34:35], s[4:5], 0x28
	s_load_dwordx4 s[16:19], s[4:5], 0x68
	v_mov_b32_e32 v31, 0xff7fffff
	v_ashrrev_i32_e32 v18, 31, v17
	s_mul_i32 s14, s2, s14
	s_xor_b32 exec_lo, exec_lo, s38
	s_cbranch_execz .LBB199_141
; %bb.8:
	s_load_dwordx2 s[2:3], s[4:5], 0x20
	v_xor_b32_e32 v9, 2, v30
	v_bfe_u32 v23, v0, 2, 3
	v_xor_b32_e32 v21, 1, v30
	v_lshlrev_b32_e32 v13, 6, v19
	s_ashr_i32 s4, s14, 31
	v_cmp_gt_i32_e32 vcc_lo, 32, v9
	v_lshlrev_b32_e32 v22, 4, v23
	ds_read_b128 v[1:4], v13
	ds_read_b128 v[5:8], v13 offset:16
	v_lshlrev_b32_e32 v25, 3, v27
	v_cndmask_b32_e32 v24, v30, v9, vcc_lo
	v_cmp_gt_i32_e32 vcc_lo, 32, v21
	ds_read_b128 v[9:12], v13 offset:32
	ds_read_b128 v[13:16], v13 offset:48
	s_waitcnt lgkmcnt(0)
	s_load_dword s5, s[16:17], 0x0
	v_lshlrev_b32_e32 v26, 2, v23
	v_lshlrev_b32_e32 v32, 2, v24
	v_cndmask_b32_e32 v21, v30, v21, vcc_lo
	v_add3_u32 v34, s33, v25, v23
	v_cmp_eq_u32_e32 vcc_lo, 0, v19
	s_add_u32 s2, s2, s14
	s_addc_u32 s3, s3, s4
	v_add_co_u32 v22, s2, s2, v22
	v_add_co_ci_u32_e64 v24, null, s3, 0, s2
	v_lshlrev_b32_e32 v33, 2, v21
	v_add_co_u32 v21, s3, v22, v19
	v_add_co_ci_u32_e64 v22, null, 0, v24, s3
	v_lshlrev_b64 v[23:24], 2, v[17:18]
	s_lshl_b64 s[40:41], s[30:31], 2
	v_lshl_or_b32 v19, v27, 5, v26
	s_sub_i32 s16, 1, s27
	s_add_u32 s3, s28, s40
	s_addc_u32 s4, s29, s41
	v_add_co_u32 v23, s3, s3, v23
	v_mov_b32_e32 v20, 0
	v_mov_b32_e32 v29, 32
	v_cmp_neq_f32_e64 s2, s36, 0
	v_add_nc_u32_e32 v35, 0x120, v19
	v_add_co_ci_u32_e64 v24, null, s4, v24, s3
	v_mov_b32_e32 v31, 0xff7fffff
	v_mov_b32_e32 v36, 0x7f
	;; [unrolled: 1-line block ×4, first 2 shown]
	s_mov_b32 s39, s13
	s_mov_b32 s17, 0
	s_branch .LBB199_10
.LBB199_9:                              ;   in Loop: Header=BB199_10 Depth=1
	s_or_b32 exec_lo, exec_lo, s4
	v_add_nc_u32_e32 v38, 4, v38
	v_add_co_u32 v23, s4, v23, 16
	v_add_nc_u32_e32 v34, 32, v34
	v_add_nc_u32_e32 v35, 0x80, v35
	v_cmp_le_i32_e64 s3, s11, v38
	v_add_co_ci_u32_e64 v24, null, 0, v24, s4
	s_or_b32 s17, s3, s17
	s_andn2_b32 exec_lo, exec_lo, s17
	s_cbranch_execz .LBB199_140
.LBB199_10:                             ; =>This Inner Loop Header: Depth=1
	global_load_dword v19, v[23:24], off
	v_mov_b32_e32 v39, 0
	v_mov_b32_e32 v40, 0
	s_mov_b32 s4, exec_lo
	s_waitcnt vmcnt(0) lgkmcnt(0)
	v_mad_i64_i32 v[25:26], null, v19, s39, v[21:22]
	global_load_ubyte v41, v[25:26], off
	s_waitcnt vmcnt(0)
	v_cmpx_ne_u16_e32 0, v41
	s_cbranch_execz .LBB199_18
; %bb.11:                               ;   in Loop: Header=BB199_10 Depth=1
	v_bfrev_b32_e32 v40, 1
	s_mov_b32 s40, exec_lo
	v_cmpx_ne_u16_e32 0x80, v41
	s_cbranch_execz .LBB199_17
; %bb.12:                               ;   in Loop: Header=BB199_10 Depth=1
	v_and_b32_sdwa v42, v41, v36 dst_sel:DWORD dst_unused:UNUSED_PAD src0_sel:WORD_0 src1_sel:DWORD
	v_mov_b32_e32 v40, 0x7f800001
	s_mov_b32 s41, exec_lo
	v_cmpx_ne_u32_e32 0x7f, v42
	s_cbranch_execz .LBB199_16
; %bb.13:                               ;   in Loop: Header=BB199_10 Depth=1
	v_and_b32_sdwa v19, v41, v37 dst_sel:DWORD dst_unused:UNUSED_PAD src0_sel:WORD_0 src1_sel:DWORD
	v_lshrrev_b32_e32 v40, 3, v42
	s_mov_b32 s42, exec_lo
	v_cmpx_gt_u32_e32 8, v42
; %bb.14:                               ;   in Loop: Header=BB199_10 Depth=1
	v_ffbh_u32_e32 v40, v19
	v_min_u32_e32 v40, 32, v40
	v_subrev_nc_u32_e32 v42, 28, v40
	v_sub_nc_u32_e32 v40, 29, v40
	v_lshlrev_b64 v[42:43], v42, v[19:20]
	v_and_b32_e32 v19, 7, v42
; %bb.15:                               ;   in Loop: Header=BB199_10 Depth=1
	s_or_b32 exec_lo, exec_lo, s42
	v_lshlrev_b32_e32 v41, 24, v41
	v_lshlrev_b32_e32 v19, 20, v19
	v_lshl_add_u32 v40, v40, 23, 0x3c000000
	v_and_b32_e32 v41, 0x80000000, v41
	v_or3_b32 v40, v19, v41, v40
.LBB199_16:                             ;   in Loop: Header=BB199_10 Depth=1
	s_or_b32 exec_lo, exec_lo, s41
.LBB199_17:                             ;   in Loop: Header=BB199_10 Depth=1
	s_or_b32 exec_lo, exec_lo, s40
.LBB199_18:                             ;   in Loop: Header=BB199_10 Depth=1
	s_or_b32 exec_lo, exec_lo, s4
	global_load_ubyte v41, v[25:26], off offset:4
	s_mov_b32 s4, exec_lo
	s_waitcnt vmcnt(0)
	v_cmpx_ne_u16_e32 0, v41
	s_cbranch_execz .LBB199_26
; %bb.19:                               ;   in Loop: Header=BB199_10 Depth=1
	v_bfrev_b32_e32 v39, 1
	s_mov_b32 s40, exec_lo
	v_cmpx_ne_u16_e32 0x80, v41
	s_cbranch_execz .LBB199_25
; %bb.20:                               ;   in Loop: Header=BB199_10 Depth=1
	v_and_b32_sdwa v42, v41, v36 dst_sel:DWORD dst_unused:UNUSED_PAD src0_sel:WORD_0 src1_sel:DWORD
	v_mov_b32_e32 v39, 0x7f800001
	s_mov_b32 s41, exec_lo
	v_cmpx_ne_u32_e32 0x7f, v42
	s_cbranch_execz .LBB199_24
; %bb.21:                               ;   in Loop: Header=BB199_10 Depth=1
	v_and_b32_sdwa v19, v41, v37 dst_sel:DWORD dst_unused:UNUSED_PAD src0_sel:WORD_0 src1_sel:DWORD
	v_lshrrev_b32_e32 v39, 3, v42
	s_mov_b32 s42, exec_lo
	v_cmpx_gt_u32_e32 8, v42
; %bb.22:                               ;   in Loop: Header=BB199_10 Depth=1
	v_ffbh_u32_e32 v39, v19
	v_min_u32_e32 v39, 32, v39
	v_subrev_nc_u32_e32 v42, 28, v39
	v_sub_nc_u32_e32 v39, 29, v39
	v_lshlrev_b64 v[42:43], v42, v[19:20]
	v_and_b32_e32 v19, 7, v42
; %bb.23:                               ;   in Loop: Header=BB199_10 Depth=1
	s_or_b32 exec_lo, exec_lo, s42
	v_lshlrev_b32_e32 v41, 24, v41
	v_lshlrev_b32_e32 v19, 20, v19
	v_lshl_add_u32 v39, v39, 23, 0x3c000000
	v_and_b32_e32 v41, 0x80000000, v41
	v_or3_b32 v39, v19, v41, v39
.LBB199_24:                             ;   in Loop: Header=BB199_10 Depth=1
	s_or_b32 exec_lo, exec_lo, s41
.LBB199_25:                             ;   in Loop: Header=BB199_10 Depth=1
	s_or_b32 exec_lo, exec_lo, s40
.LBB199_26:                             ;   in Loop: Header=BB199_10 Depth=1
	s_or_b32 exec_lo, exec_lo, s4
	global_load_ubyte v43, v[25:26], off offset:8
	v_mov_b32_e32 v41, 0
	v_mov_b32_e32 v42, 0
	s_mov_b32 s4, exec_lo
	s_waitcnt vmcnt(0)
	v_cmpx_ne_u16_e32 0, v43
	s_cbranch_execz .LBB199_34
; %bb.27:                               ;   in Loop: Header=BB199_10 Depth=1
	v_bfrev_b32_e32 v42, 1
	s_mov_b32 s40, exec_lo
	v_cmpx_ne_u16_e32 0x80, v43
	s_cbranch_execz .LBB199_33
; %bb.28:                               ;   in Loop: Header=BB199_10 Depth=1
	v_and_b32_sdwa v44, v43, v36 dst_sel:DWORD dst_unused:UNUSED_PAD src0_sel:WORD_0 src1_sel:DWORD
	v_mov_b32_e32 v42, 0x7f800001
	s_mov_b32 s41, exec_lo
	v_cmpx_ne_u32_e32 0x7f, v44
	s_cbranch_execz .LBB199_32
; %bb.29:                               ;   in Loop: Header=BB199_10 Depth=1
	v_and_b32_sdwa v19, v43, v37 dst_sel:DWORD dst_unused:UNUSED_PAD src0_sel:WORD_0 src1_sel:DWORD
	v_lshrrev_b32_e32 v42, 3, v44
	s_mov_b32 s42, exec_lo
	v_cmpx_gt_u32_e32 8, v44
; %bb.30:                               ;   in Loop: Header=BB199_10 Depth=1
	v_ffbh_u32_e32 v42, v19
	v_min_u32_e32 v42, 32, v42
	v_subrev_nc_u32_e32 v44, 28, v42
	v_sub_nc_u32_e32 v42, 29, v42
	v_lshlrev_b64 v[44:45], v44, v[19:20]
	v_and_b32_e32 v19, 7, v44
; %bb.31:                               ;   in Loop: Header=BB199_10 Depth=1
	s_or_b32 exec_lo, exec_lo, s42
	v_lshlrev_b32_e32 v43, 24, v43
	v_lshlrev_b32_e32 v19, 20, v19
	v_lshl_add_u32 v42, v42, 23, 0x3c000000
	v_and_b32_e32 v43, 0x80000000, v43
	v_or3_b32 v42, v19, v43, v42
.LBB199_32:                             ;   in Loop: Header=BB199_10 Depth=1
	s_or_b32 exec_lo, exec_lo, s41
.LBB199_33:                             ;   in Loop: Header=BB199_10 Depth=1
	s_or_b32 exec_lo, exec_lo, s40
.LBB199_34:                             ;   in Loop: Header=BB199_10 Depth=1
	s_or_b32 exec_lo, exec_lo, s4
	global_load_ubyte v43, v[25:26], off offset:12
	s_mov_b32 s4, exec_lo
	s_waitcnt vmcnt(0)
	v_cmpx_ne_u16_e32 0, v43
	s_cbranch_execz .LBB199_42
; %bb.35:                               ;   in Loop: Header=BB199_10 Depth=1
	v_bfrev_b32_e32 v41, 1
	s_mov_b32 s40, exec_lo
	v_cmpx_ne_u16_e32 0x80, v43
	s_cbranch_execz .LBB199_41
; %bb.36:                               ;   in Loop: Header=BB199_10 Depth=1
	v_and_b32_sdwa v44, v43, v36 dst_sel:DWORD dst_unused:UNUSED_PAD src0_sel:WORD_0 src1_sel:DWORD
	v_mov_b32_e32 v41, 0x7f800001
	s_mov_b32 s41, exec_lo
	v_cmpx_ne_u32_e32 0x7f, v44
	s_cbranch_execz .LBB199_40
; %bb.37:                               ;   in Loop: Header=BB199_10 Depth=1
	v_and_b32_sdwa v19, v43, v37 dst_sel:DWORD dst_unused:UNUSED_PAD src0_sel:WORD_0 src1_sel:DWORD
	v_lshrrev_b32_e32 v41, 3, v44
	s_mov_b32 s42, exec_lo
	v_cmpx_gt_u32_e32 8, v44
; %bb.38:                               ;   in Loop: Header=BB199_10 Depth=1
	v_ffbh_u32_e32 v41, v19
	v_min_u32_e32 v41, 32, v41
	v_subrev_nc_u32_e32 v44, 28, v41
	v_sub_nc_u32_e32 v41, 29, v41
	v_lshlrev_b64 v[44:45], v44, v[19:20]
	v_and_b32_e32 v19, 7, v44
; %bb.39:                               ;   in Loop: Header=BB199_10 Depth=1
	s_or_b32 exec_lo, exec_lo, s42
	v_lshlrev_b32_e32 v43, 24, v43
	v_lshlrev_b32_e32 v19, 20, v19
	v_lshl_add_u32 v41, v41, 23, 0x3c000000
	v_and_b32_e32 v43, 0x80000000, v43
	v_or3_b32 v41, v19, v43, v41
.LBB199_40:                             ;   in Loop: Header=BB199_10 Depth=1
	s_or_b32 exec_lo, exec_lo, s41
.LBB199_41:                             ;   in Loop: Header=BB199_10 Depth=1
	s_or_b32 exec_lo, exec_lo, s40
.LBB199_42:                             ;   in Loop: Header=BB199_10 Depth=1
	s_or_b32 exec_lo, exec_lo, s4
	global_load_ubyte v45, v[25:26], off offset:128
	v_mov_b32_e32 v43, 0
	v_mov_b32_e32 v44, 0
	s_mov_b32 s4, exec_lo
	s_waitcnt vmcnt(0)
	v_cmpx_ne_u16_e32 0, v45
	s_cbranch_execz .LBB199_50
; %bb.43:                               ;   in Loop: Header=BB199_10 Depth=1
	v_bfrev_b32_e32 v44, 1
	s_mov_b32 s40, exec_lo
	v_cmpx_ne_u16_e32 0x80, v45
	s_cbranch_execz .LBB199_49
; %bb.44:                               ;   in Loop: Header=BB199_10 Depth=1
	v_and_b32_sdwa v46, v45, v36 dst_sel:DWORD dst_unused:UNUSED_PAD src0_sel:WORD_0 src1_sel:DWORD
	v_mov_b32_e32 v44, 0x7f800001
	s_mov_b32 s41, exec_lo
	v_cmpx_ne_u32_e32 0x7f, v46
	s_cbranch_execz .LBB199_48
; %bb.45:                               ;   in Loop: Header=BB199_10 Depth=1
	v_and_b32_sdwa v19, v45, v37 dst_sel:DWORD dst_unused:UNUSED_PAD src0_sel:WORD_0 src1_sel:DWORD
	v_lshrrev_b32_e32 v44, 3, v46
	s_mov_b32 s42, exec_lo
	v_cmpx_gt_u32_e32 8, v46
; %bb.46:                               ;   in Loop: Header=BB199_10 Depth=1
	v_ffbh_u32_e32 v44, v19
	v_min_u32_e32 v44, 32, v44
	v_subrev_nc_u32_e32 v46, 28, v44
	v_sub_nc_u32_e32 v44, 29, v44
	v_lshlrev_b64 v[46:47], v46, v[19:20]
	v_and_b32_e32 v19, 7, v46
; %bb.47:                               ;   in Loop: Header=BB199_10 Depth=1
	s_or_b32 exec_lo, exec_lo, s42
	v_lshlrev_b32_e32 v45, 24, v45
	v_lshlrev_b32_e32 v19, 20, v19
	v_lshl_add_u32 v44, v44, 23, 0x3c000000
	v_and_b32_e32 v45, 0x80000000, v45
	v_or3_b32 v44, v19, v45, v44
.LBB199_48:                             ;   in Loop: Header=BB199_10 Depth=1
	s_or_b32 exec_lo, exec_lo, s41
.LBB199_49:                             ;   in Loop: Header=BB199_10 Depth=1
	s_or_b32 exec_lo, exec_lo, s40
.LBB199_50:                             ;   in Loop: Header=BB199_10 Depth=1
	s_or_b32 exec_lo, exec_lo, s4
	global_load_ubyte v45, v[25:26], off offset:132
	s_mov_b32 s4, exec_lo
	s_waitcnt vmcnt(0)
	v_cmpx_ne_u16_e32 0, v45
	s_cbranch_execz .LBB199_58
; %bb.51:                               ;   in Loop: Header=BB199_10 Depth=1
	v_bfrev_b32_e32 v43, 1
	s_mov_b32 s40, exec_lo
	v_cmpx_ne_u16_e32 0x80, v45
	s_cbranch_execz .LBB199_57
; %bb.52:                               ;   in Loop: Header=BB199_10 Depth=1
	v_and_b32_sdwa v46, v45, v36 dst_sel:DWORD dst_unused:UNUSED_PAD src0_sel:WORD_0 src1_sel:DWORD
	v_mov_b32_e32 v43, 0x7f800001
	s_mov_b32 s41, exec_lo
	v_cmpx_ne_u32_e32 0x7f, v46
	s_cbranch_execz .LBB199_56
; %bb.53:                               ;   in Loop: Header=BB199_10 Depth=1
	v_and_b32_sdwa v19, v45, v37 dst_sel:DWORD dst_unused:UNUSED_PAD src0_sel:WORD_0 src1_sel:DWORD
	v_lshrrev_b32_e32 v43, 3, v46
	s_mov_b32 s42, exec_lo
	v_cmpx_gt_u32_e32 8, v46
; %bb.54:                               ;   in Loop: Header=BB199_10 Depth=1
	v_ffbh_u32_e32 v43, v19
	v_min_u32_e32 v43, 32, v43
	v_subrev_nc_u32_e32 v46, 28, v43
	v_sub_nc_u32_e32 v43, 29, v43
	v_lshlrev_b64 v[46:47], v46, v[19:20]
	v_and_b32_e32 v19, 7, v46
; %bb.55:                               ;   in Loop: Header=BB199_10 Depth=1
	s_or_b32 exec_lo, exec_lo, s42
	v_lshlrev_b32_e32 v45, 24, v45
	v_lshlrev_b32_e32 v19, 20, v19
	v_lshl_add_u32 v43, v43, 23, 0x3c000000
	v_and_b32_e32 v45, 0x80000000, v45
	v_or3_b32 v43, v19, v45, v43
.LBB199_56:                             ;   in Loop: Header=BB199_10 Depth=1
	s_or_b32 exec_lo, exec_lo, s41
.LBB199_57:                             ;   in Loop: Header=BB199_10 Depth=1
	s_or_b32 exec_lo, exec_lo, s40
.LBB199_58:                             ;   in Loop: Header=BB199_10 Depth=1
	s_or_b32 exec_lo, exec_lo, s4
	global_load_ubyte v47, v[25:26], off offset:136
	v_mov_b32_e32 v45, 0
	v_mov_b32_e32 v46, 0
	s_mov_b32 s4, exec_lo
	s_waitcnt vmcnt(0)
	v_cmpx_ne_u16_e32 0, v47
	s_cbranch_execz .LBB199_66
; %bb.59:                               ;   in Loop: Header=BB199_10 Depth=1
	v_bfrev_b32_e32 v46, 1
	s_mov_b32 s40, exec_lo
	v_cmpx_ne_u16_e32 0x80, v47
	s_cbranch_execz .LBB199_65
; %bb.60:                               ;   in Loop: Header=BB199_10 Depth=1
	v_and_b32_sdwa v48, v47, v36 dst_sel:DWORD dst_unused:UNUSED_PAD src0_sel:WORD_0 src1_sel:DWORD
	v_mov_b32_e32 v46, 0x7f800001
	s_mov_b32 s41, exec_lo
	v_cmpx_ne_u32_e32 0x7f, v48
	s_cbranch_execz .LBB199_64
; %bb.61:                               ;   in Loop: Header=BB199_10 Depth=1
	v_and_b32_sdwa v19, v47, v37 dst_sel:DWORD dst_unused:UNUSED_PAD src0_sel:WORD_0 src1_sel:DWORD
	v_lshrrev_b32_e32 v46, 3, v48
	s_mov_b32 s42, exec_lo
	v_cmpx_gt_u32_e32 8, v48
; %bb.62:                               ;   in Loop: Header=BB199_10 Depth=1
	v_ffbh_u32_e32 v46, v19
	v_min_u32_e32 v46, 32, v46
	v_subrev_nc_u32_e32 v48, 28, v46
	v_sub_nc_u32_e32 v46, 29, v46
	v_lshlrev_b64 v[48:49], v48, v[19:20]
	v_and_b32_e32 v19, 7, v48
; %bb.63:                               ;   in Loop: Header=BB199_10 Depth=1
	s_or_b32 exec_lo, exec_lo, s42
	v_lshlrev_b32_e32 v47, 24, v47
	v_lshlrev_b32_e32 v19, 20, v19
	v_lshl_add_u32 v46, v46, 23, 0x3c000000
	v_and_b32_e32 v47, 0x80000000, v47
	v_or3_b32 v46, v19, v47, v46
.LBB199_64:                             ;   in Loop: Header=BB199_10 Depth=1
	s_or_b32 exec_lo, exec_lo, s41
.LBB199_65:                             ;   in Loop: Header=BB199_10 Depth=1
	s_or_b32 exec_lo, exec_lo, s40
.LBB199_66:                             ;   in Loop: Header=BB199_10 Depth=1
	s_or_b32 exec_lo, exec_lo, s4
	global_load_ubyte v47, v[25:26], off offset:140
	s_mov_b32 s4, exec_lo
	s_waitcnt vmcnt(0)
	v_cmpx_ne_u16_e32 0, v47
	s_cbranch_execz .LBB199_74
; %bb.67:                               ;   in Loop: Header=BB199_10 Depth=1
	v_bfrev_b32_e32 v45, 1
	s_mov_b32 s40, exec_lo
	v_cmpx_ne_u16_e32 0x80, v47
	s_cbranch_execz .LBB199_73
; %bb.68:                               ;   in Loop: Header=BB199_10 Depth=1
	v_and_b32_sdwa v48, v47, v36 dst_sel:DWORD dst_unused:UNUSED_PAD src0_sel:WORD_0 src1_sel:DWORD
	v_mov_b32_e32 v45, 0x7f800001
	s_mov_b32 s41, exec_lo
	v_cmpx_ne_u32_e32 0x7f, v48
	s_cbranch_execz .LBB199_72
; %bb.69:                               ;   in Loop: Header=BB199_10 Depth=1
	v_and_b32_sdwa v19, v47, v37 dst_sel:DWORD dst_unused:UNUSED_PAD src0_sel:WORD_0 src1_sel:DWORD
	v_lshrrev_b32_e32 v45, 3, v48
	s_mov_b32 s42, exec_lo
	v_cmpx_gt_u32_e32 8, v48
; %bb.70:                               ;   in Loop: Header=BB199_10 Depth=1
	v_ffbh_u32_e32 v45, v19
	v_min_u32_e32 v45, 32, v45
	v_subrev_nc_u32_e32 v48, 28, v45
	v_sub_nc_u32_e32 v45, 29, v45
	v_lshlrev_b64 v[48:49], v48, v[19:20]
	v_and_b32_e32 v19, 7, v48
; %bb.71:                               ;   in Loop: Header=BB199_10 Depth=1
	s_or_b32 exec_lo, exec_lo, s42
	v_lshlrev_b32_e32 v47, 24, v47
	v_lshlrev_b32_e32 v19, 20, v19
	v_lshl_add_u32 v45, v45, 23, 0x3c000000
	v_and_b32_e32 v47, 0x80000000, v47
	v_or3_b32 v45, v19, v47, v45
.LBB199_72:                             ;   in Loop: Header=BB199_10 Depth=1
	s_or_b32 exec_lo, exec_lo, s41
.LBB199_73:                             ;   in Loop: Header=BB199_10 Depth=1
	s_or_b32 exec_lo, exec_lo, s40
.LBB199_74:                             ;   in Loop: Header=BB199_10 Depth=1
	s_or_b32 exec_lo, exec_lo, s4
	global_load_ubyte v49, v[25:26], off offset:256
	v_mov_b32_e32 v47, 0
	v_mov_b32_e32 v48, 0
	s_mov_b32 s4, exec_lo
	s_waitcnt vmcnt(0)
	v_cmpx_ne_u16_e32 0, v49
	s_cbranch_execz .LBB199_82
; %bb.75:                               ;   in Loop: Header=BB199_10 Depth=1
	v_bfrev_b32_e32 v48, 1
	s_mov_b32 s40, exec_lo
	v_cmpx_ne_u16_e32 0x80, v49
	s_cbranch_execz .LBB199_81
; %bb.76:                               ;   in Loop: Header=BB199_10 Depth=1
	v_and_b32_sdwa v50, v49, v36 dst_sel:DWORD dst_unused:UNUSED_PAD src0_sel:WORD_0 src1_sel:DWORD
	v_mov_b32_e32 v48, 0x7f800001
	s_mov_b32 s41, exec_lo
	v_cmpx_ne_u32_e32 0x7f, v50
	s_cbranch_execz .LBB199_80
; %bb.77:                               ;   in Loop: Header=BB199_10 Depth=1
	v_and_b32_sdwa v19, v49, v37 dst_sel:DWORD dst_unused:UNUSED_PAD src0_sel:WORD_0 src1_sel:DWORD
	v_lshrrev_b32_e32 v48, 3, v50
	s_mov_b32 s42, exec_lo
	v_cmpx_gt_u32_e32 8, v50
; %bb.78:                               ;   in Loop: Header=BB199_10 Depth=1
	v_ffbh_u32_e32 v48, v19
	v_min_u32_e32 v48, 32, v48
	v_subrev_nc_u32_e32 v50, 28, v48
	v_sub_nc_u32_e32 v48, 29, v48
	v_lshlrev_b64 v[50:51], v50, v[19:20]
	v_and_b32_e32 v19, 7, v50
; %bb.79:                               ;   in Loop: Header=BB199_10 Depth=1
	s_or_b32 exec_lo, exec_lo, s42
	v_lshlrev_b32_e32 v49, 24, v49
	v_lshlrev_b32_e32 v19, 20, v19
	v_lshl_add_u32 v48, v48, 23, 0x3c000000
	v_and_b32_e32 v49, 0x80000000, v49
	v_or3_b32 v48, v19, v49, v48
.LBB199_80:                             ;   in Loop: Header=BB199_10 Depth=1
	s_or_b32 exec_lo, exec_lo, s41
.LBB199_81:                             ;   in Loop: Header=BB199_10 Depth=1
	s_or_b32 exec_lo, exec_lo, s40
.LBB199_82:                             ;   in Loop: Header=BB199_10 Depth=1
	s_or_b32 exec_lo, exec_lo, s4
	global_load_ubyte v49, v[25:26], off offset:260
	s_mov_b32 s4, exec_lo
	s_waitcnt vmcnt(0)
	v_cmpx_ne_u16_e32 0, v49
	s_cbranch_execz .LBB199_90
; %bb.83:                               ;   in Loop: Header=BB199_10 Depth=1
	v_bfrev_b32_e32 v47, 1
	s_mov_b32 s40, exec_lo
	v_cmpx_ne_u16_e32 0x80, v49
	s_cbranch_execz .LBB199_89
; %bb.84:                               ;   in Loop: Header=BB199_10 Depth=1
	v_and_b32_sdwa v50, v49, v36 dst_sel:DWORD dst_unused:UNUSED_PAD src0_sel:WORD_0 src1_sel:DWORD
	v_mov_b32_e32 v47, 0x7f800001
	s_mov_b32 s41, exec_lo
	v_cmpx_ne_u32_e32 0x7f, v50
	s_cbranch_execz .LBB199_88
; %bb.85:                               ;   in Loop: Header=BB199_10 Depth=1
	v_and_b32_sdwa v19, v49, v37 dst_sel:DWORD dst_unused:UNUSED_PAD src0_sel:WORD_0 src1_sel:DWORD
	v_lshrrev_b32_e32 v47, 3, v50
	s_mov_b32 s42, exec_lo
	v_cmpx_gt_u32_e32 8, v50
; %bb.86:                               ;   in Loop: Header=BB199_10 Depth=1
	v_ffbh_u32_e32 v47, v19
	v_min_u32_e32 v47, 32, v47
	v_subrev_nc_u32_e32 v50, 28, v47
	v_sub_nc_u32_e32 v47, 29, v47
	v_lshlrev_b64 v[50:51], v50, v[19:20]
	v_and_b32_e32 v19, 7, v50
; %bb.87:                               ;   in Loop: Header=BB199_10 Depth=1
	s_or_b32 exec_lo, exec_lo, s42
	v_lshlrev_b32_e32 v49, 24, v49
	v_lshlrev_b32_e32 v19, 20, v19
	v_lshl_add_u32 v47, v47, 23, 0x3c000000
	v_and_b32_e32 v49, 0x80000000, v49
	v_or3_b32 v47, v19, v49, v47
.LBB199_88:                             ;   in Loop: Header=BB199_10 Depth=1
	s_or_b32 exec_lo, exec_lo, s41
.LBB199_89:                             ;   in Loop: Header=BB199_10 Depth=1
	s_or_b32 exec_lo, exec_lo, s40
.LBB199_90:                             ;   in Loop: Header=BB199_10 Depth=1
	s_or_b32 exec_lo, exec_lo, s4
	global_load_ubyte v51, v[25:26], off offset:264
	v_mov_b32_e32 v49, 0
	v_mov_b32_e32 v50, 0
	s_mov_b32 s4, exec_lo
	s_waitcnt vmcnt(0)
	v_cmpx_ne_u16_e32 0, v51
	s_cbranch_execz .LBB199_98
; %bb.91:                               ;   in Loop: Header=BB199_10 Depth=1
	v_bfrev_b32_e32 v50, 1
	s_mov_b32 s40, exec_lo
	v_cmpx_ne_u16_e32 0x80, v51
	s_cbranch_execz .LBB199_97
; %bb.92:                               ;   in Loop: Header=BB199_10 Depth=1
	v_and_b32_sdwa v52, v51, v36 dst_sel:DWORD dst_unused:UNUSED_PAD src0_sel:WORD_0 src1_sel:DWORD
	v_mov_b32_e32 v50, 0x7f800001
	s_mov_b32 s41, exec_lo
	v_cmpx_ne_u32_e32 0x7f, v52
	s_cbranch_execz .LBB199_96
; %bb.93:                               ;   in Loop: Header=BB199_10 Depth=1
	v_and_b32_sdwa v19, v51, v37 dst_sel:DWORD dst_unused:UNUSED_PAD src0_sel:WORD_0 src1_sel:DWORD
	v_lshrrev_b32_e32 v50, 3, v52
	s_mov_b32 s42, exec_lo
	v_cmpx_gt_u32_e32 8, v52
; %bb.94:                               ;   in Loop: Header=BB199_10 Depth=1
	v_ffbh_u32_e32 v50, v19
	v_min_u32_e32 v50, 32, v50
	v_subrev_nc_u32_e32 v52, 28, v50
	v_sub_nc_u32_e32 v50, 29, v50
	v_lshlrev_b64 v[52:53], v52, v[19:20]
	v_and_b32_e32 v19, 7, v52
; %bb.95:                               ;   in Loop: Header=BB199_10 Depth=1
	s_or_b32 exec_lo, exec_lo, s42
	v_lshlrev_b32_e32 v51, 24, v51
	v_lshlrev_b32_e32 v19, 20, v19
	v_lshl_add_u32 v50, v50, 23, 0x3c000000
	v_and_b32_e32 v51, 0x80000000, v51
	v_or3_b32 v50, v19, v51, v50
.LBB199_96:                             ;   in Loop: Header=BB199_10 Depth=1
	s_or_b32 exec_lo, exec_lo, s41
.LBB199_97:                             ;   in Loop: Header=BB199_10 Depth=1
	s_or_b32 exec_lo, exec_lo, s40
.LBB199_98:                             ;   in Loop: Header=BB199_10 Depth=1
	s_or_b32 exec_lo, exec_lo, s4
	global_load_ubyte v51, v[25:26], off offset:268
	s_mov_b32 s4, exec_lo
	s_waitcnt vmcnt(0)
	v_cmpx_ne_u16_e32 0, v51
	s_cbranch_execz .LBB199_106
; %bb.99:                               ;   in Loop: Header=BB199_10 Depth=1
	v_bfrev_b32_e32 v49, 1
	s_mov_b32 s40, exec_lo
	v_cmpx_ne_u16_e32 0x80, v51
	s_cbranch_execz .LBB199_105
; %bb.100:                              ;   in Loop: Header=BB199_10 Depth=1
	v_and_b32_sdwa v52, v51, v36 dst_sel:DWORD dst_unused:UNUSED_PAD src0_sel:WORD_0 src1_sel:DWORD
	v_mov_b32_e32 v49, 0x7f800001
	s_mov_b32 s41, exec_lo
	v_cmpx_ne_u32_e32 0x7f, v52
	s_cbranch_execz .LBB199_104
; %bb.101:                              ;   in Loop: Header=BB199_10 Depth=1
	v_and_b32_sdwa v19, v51, v37 dst_sel:DWORD dst_unused:UNUSED_PAD src0_sel:WORD_0 src1_sel:DWORD
	v_lshrrev_b32_e32 v49, 3, v52
	s_mov_b32 s42, exec_lo
	v_cmpx_gt_u32_e32 8, v52
; %bb.102:                              ;   in Loop: Header=BB199_10 Depth=1
	v_ffbh_u32_e32 v49, v19
	v_min_u32_e32 v49, 32, v49
	v_subrev_nc_u32_e32 v52, 28, v49
	v_sub_nc_u32_e32 v49, 29, v49
	v_lshlrev_b64 v[52:53], v52, v[19:20]
	v_and_b32_e32 v19, 7, v52
; %bb.103:                              ;   in Loop: Header=BB199_10 Depth=1
	s_or_b32 exec_lo, exec_lo, s42
	v_lshlrev_b32_e32 v51, 24, v51
	v_lshlrev_b32_e32 v19, 20, v19
	v_lshl_add_u32 v49, v49, 23, 0x3c000000
	v_and_b32_e32 v51, 0x80000000, v51
	v_or3_b32 v49, v19, v51, v49
.LBB199_104:                            ;   in Loop: Header=BB199_10 Depth=1
	s_or_b32 exec_lo, exec_lo, s41
.LBB199_105:                            ;   in Loop: Header=BB199_10 Depth=1
	s_or_b32 exec_lo, exec_lo, s40
.LBB199_106:                            ;   in Loop: Header=BB199_10 Depth=1
	s_or_b32 exec_lo, exec_lo, s4
	global_load_ubyte v53, v[25:26], off offset:384
	v_mov_b32_e32 v51, 0
	v_mov_b32_e32 v52, 0
	s_mov_b32 s4, exec_lo
	s_waitcnt vmcnt(0)
	v_cmpx_ne_u16_e32 0, v53
	s_cbranch_execz .LBB199_114
; %bb.107:                              ;   in Loop: Header=BB199_10 Depth=1
	v_bfrev_b32_e32 v52, 1
	s_mov_b32 s40, exec_lo
	v_cmpx_ne_u16_e32 0x80, v53
	s_cbranch_execz .LBB199_113
; %bb.108:                              ;   in Loop: Header=BB199_10 Depth=1
	v_and_b32_sdwa v54, v53, v36 dst_sel:DWORD dst_unused:UNUSED_PAD src0_sel:WORD_0 src1_sel:DWORD
	v_mov_b32_e32 v52, 0x7f800001
	s_mov_b32 s41, exec_lo
	v_cmpx_ne_u32_e32 0x7f, v54
	s_cbranch_execz .LBB199_112
; %bb.109:                              ;   in Loop: Header=BB199_10 Depth=1
	v_and_b32_sdwa v19, v53, v37 dst_sel:DWORD dst_unused:UNUSED_PAD src0_sel:WORD_0 src1_sel:DWORD
	v_lshrrev_b32_e32 v52, 3, v54
	s_mov_b32 s42, exec_lo
	v_cmpx_gt_u32_e32 8, v54
; %bb.110:                              ;   in Loop: Header=BB199_10 Depth=1
	v_ffbh_u32_e32 v52, v19
	v_min_u32_e32 v52, 32, v52
	v_subrev_nc_u32_e32 v54, 28, v52
	v_sub_nc_u32_e32 v52, 29, v52
	v_lshlrev_b64 v[54:55], v54, v[19:20]
	v_and_b32_e32 v19, 7, v54
; %bb.111:                              ;   in Loop: Header=BB199_10 Depth=1
	s_or_b32 exec_lo, exec_lo, s42
	v_lshlrev_b32_e32 v53, 24, v53
	v_lshlrev_b32_e32 v19, 20, v19
	v_lshl_add_u32 v52, v52, 23, 0x3c000000
	v_and_b32_e32 v53, 0x80000000, v53
	v_or3_b32 v52, v19, v53, v52
.LBB199_112:                            ;   in Loop: Header=BB199_10 Depth=1
	s_or_b32 exec_lo, exec_lo, s41
.LBB199_113:                            ;   in Loop: Header=BB199_10 Depth=1
	s_or_b32 exec_lo, exec_lo, s40
.LBB199_114:                            ;   in Loop: Header=BB199_10 Depth=1
	s_or_b32 exec_lo, exec_lo, s4
	global_load_ubyte v53, v[25:26], off offset:388
	s_mov_b32 s4, exec_lo
	s_waitcnt vmcnt(0)
	v_cmpx_ne_u16_e32 0, v53
	s_cbranch_execz .LBB199_122
; %bb.115:                              ;   in Loop: Header=BB199_10 Depth=1
	v_bfrev_b32_e32 v51, 1
	s_mov_b32 s40, exec_lo
	v_cmpx_ne_u16_e32 0x80, v53
	s_cbranch_execz .LBB199_121
; %bb.116:                              ;   in Loop: Header=BB199_10 Depth=1
	v_and_b32_sdwa v54, v53, v36 dst_sel:DWORD dst_unused:UNUSED_PAD src0_sel:WORD_0 src1_sel:DWORD
	v_mov_b32_e32 v51, 0x7f800001
	s_mov_b32 s41, exec_lo
	v_cmpx_ne_u32_e32 0x7f, v54
	s_cbranch_execz .LBB199_120
; %bb.117:                              ;   in Loop: Header=BB199_10 Depth=1
	v_and_b32_sdwa v19, v53, v37 dst_sel:DWORD dst_unused:UNUSED_PAD src0_sel:WORD_0 src1_sel:DWORD
	v_lshrrev_b32_e32 v51, 3, v54
	s_mov_b32 s42, exec_lo
	v_cmpx_gt_u32_e32 8, v54
; %bb.118:                              ;   in Loop: Header=BB199_10 Depth=1
	v_ffbh_u32_e32 v51, v19
	v_min_u32_e32 v51, 32, v51
	v_subrev_nc_u32_e32 v54, 28, v51
	v_sub_nc_u32_e32 v51, 29, v51
	v_lshlrev_b64 v[54:55], v54, v[19:20]
	v_and_b32_e32 v19, 7, v54
; %bb.119:                              ;   in Loop: Header=BB199_10 Depth=1
	s_or_b32 exec_lo, exec_lo, s42
	v_lshlrev_b32_e32 v53, 24, v53
	v_lshlrev_b32_e32 v19, 20, v19
	v_lshl_add_u32 v51, v51, 23, 0x3c000000
	v_and_b32_e32 v53, 0x80000000, v53
	v_or3_b32 v51, v19, v53, v51
.LBB199_120:                            ;   in Loop: Header=BB199_10 Depth=1
	s_or_b32 exec_lo, exec_lo, s41
.LBB199_121:                            ;   in Loop: Header=BB199_10 Depth=1
	s_or_b32 exec_lo, exec_lo, s40
.LBB199_122:                            ;   in Loop: Header=BB199_10 Depth=1
	s_or_b32 exec_lo, exec_lo, s4
	global_load_ubyte v55, v[25:26], off offset:392
	v_mov_b32_e32 v53, 0
	v_mov_b32_e32 v54, 0
	s_mov_b32 s4, exec_lo
	s_waitcnt vmcnt(0)
	v_cmpx_ne_u16_e32 0, v55
	s_cbranch_execz .LBB199_130
; %bb.123:                              ;   in Loop: Header=BB199_10 Depth=1
	v_bfrev_b32_e32 v54, 1
	s_mov_b32 s40, exec_lo
	v_cmpx_ne_u16_e32 0x80, v55
	s_cbranch_execz .LBB199_129
; %bb.124:                              ;   in Loop: Header=BB199_10 Depth=1
	v_and_b32_sdwa v56, v55, v36 dst_sel:DWORD dst_unused:UNUSED_PAD src0_sel:WORD_0 src1_sel:DWORD
	v_mov_b32_e32 v54, 0x7f800001
	s_mov_b32 s41, exec_lo
	v_cmpx_ne_u32_e32 0x7f, v56
	s_cbranch_execz .LBB199_128
; %bb.125:                              ;   in Loop: Header=BB199_10 Depth=1
	v_and_b32_sdwa v19, v55, v37 dst_sel:DWORD dst_unused:UNUSED_PAD src0_sel:WORD_0 src1_sel:DWORD
	v_lshrrev_b32_e32 v54, 3, v56
	s_mov_b32 s42, exec_lo
	v_cmpx_gt_u32_e32 8, v56
; %bb.126:                              ;   in Loop: Header=BB199_10 Depth=1
	v_ffbh_u32_e32 v54, v19
	v_min_u32_e32 v54, 32, v54
	v_subrev_nc_u32_e32 v56, 28, v54
	v_sub_nc_u32_e32 v54, 29, v54
	v_lshlrev_b64 v[56:57], v56, v[19:20]
	v_and_b32_e32 v19, 7, v56
; %bb.127:                              ;   in Loop: Header=BB199_10 Depth=1
	s_or_b32 exec_lo, exec_lo, s42
	v_lshlrev_b32_e32 v55, 24, v55
	v_lshlrev_b32_e32 v19, 20, v19
	v_lshl_add_u32 v54, v54, 23, 0x3c000000
	v_and_b32_e32 v55, 0x80000000, v55
	v_or3_b32 v54, v19, v55, v54
.LBB199_128:                            ;   in Loop: Header=BB199_10 Depth=1
	s_or_b32 exec_lo, exec_lo, s41
.LBB199_129:                            ;   in Loop: Header=BB199_10 Depth=1
	s_or_b32 exec_lo, exec_lo, s40
.LBB199_130:                            ;   in Loop: Header=BB199_10 Depth=1
	s_or_b32 exec_lo, exec_lo, s4
	global_load_ubyte v25, v[25:26], off offset:396
	s_mov_b32 s4, exec_lo
	s_waitcnt vmcnt(0)
	v_cmpx_ne_u16_e32 0, v25
	s_cbranch_execz .LBB199_138
; %bb.131:                              ;   in Loop: Header=BB199_10 Depth=1
	v_bfrev_b32_e32 v53, 1
	s_mov_b32 s40, exec_lo
	v_cmpx_ne_u16_e32 0x80, v25
	s_cbranch_execz .LBB199_137
; %bb.132:                              ;   in Loop: Header=BB199_10 Depth=1
	v_and_b32_sdwa v55, v25, v36 dst_sel:DWORD dst_unused:UNUSED_PAD src0_sel:WORD_0 src1_sel:DWORD
	v_mov_b32_e32 v53, 0x7f800001
	s_mov_b32 s41, exec_lo
	v_cmpx_ne_u32_e32 0x7f, v55
	s_cbranch_execz .LBB199_136
; %bb.133:                              ;   in Loop: Header=BB199_10 Depth=1
	v_and_b32_sdwa v19, v25, v37 dst_sel:DWORD dst_unused:UNUSED_PAD src0_sel:WORD_0 src1_sel:DWORD
	v_lshrrev_b32_e32 v26, 3, v55
	s_mov_b32 s42, exec_lo
	v_cmpx_gt_u32_e32 8, v55
; %bb.134:                              ;   in Loop: Header=BB199_10 Depth=1
	v_ffbh_u32_e32 v26, v19
	v_min_u32_e32 v26, 32, v26
	v_subrev_nc_u32_e32 v53, 28, v26
	v_sub_nc_u32_e32 v26, 29, v26
	v_lshlrev_b64 v[55:56], v53, v[19:20]
	v_and_b32_e32 v19, 7, v55
; %bb.135:                              ;   in Loop: Header=BB199_10 Depth=1
	s_or_b32 exec_lo, exec_lo, s42
	v_lshlrev_b32_e32 v25, 24, v25
	v_lshlrev_b32_e32 v19, 20, v19
	v_lshl_add_u32 v26, v26, 23, 0x3c000000
	v_and_b32_e32 v25, 0x80000000, v25
	v_or3_b32 v53, v19, v25, v26
.LBB199_136:                            ;   in Loop: Header=BB199_10 Depth=1
	s_or_b32 exec_lo, exec_lo, s41
.LBB199_137:                            ;   in Loop: Header=BB199_10 Depth=1
	s_or_b32 exec_lo, exec_lo, s40
.LBB199_138:                            ;   in Loop: Header=BB199_10 Depth=1
	s_or_b32 exec_lo, exec_lo, s4
	s_waitcnt lgkmcnt(0)
	v_mul_f32_e32 v19, s5, v39
	v_mul_f32_e32 v25, s5, v40
	;; [unrolled: 1-line block ×4, first 2 shown]
	v_fmac_f32_e32 v19, v1, v25
	v_mul_f32_e32 v25, s5, v41
	v_fmac_f32_e32 v19, v3, v26
	v_mul_f32_e32 v26, s5, v44
	;; [unrolled: 2-line block ×13, first 2 shown]
	v_fmac_f32_e32 v19, v15, v26
	v_fmac_f32_e32 v19, v16, v25
	ds_bpermute_b32 v25, v32, v19
	s_waitcnt lgkmcnt(0)
	v_add_f32_e32 v19, v19, v25
	ds_bpermute_b32 v25, v33, v19
	s_and_saveexec_b32 s4, vcc_lo
	s_cbranch_execz .LBB199_9
; %bb.139:                              ;   in Loop: Header=BB199_10 Depth=1
	v_add_nc_u32_e32 v26, s16, v34
	s_waitcnt lgkmcnt(0)
	v_add_f32_e32 v19, v19, v25
	v_cmp_gt_i32_e64 s3, s27, v34
	v_cvt_f32_i32_e32 v26, v26
	v_mul_f32_e32 v26, s36, v26
	v_cndmask_b32_e64 v25, 0, v26, s2
	v_max_f32_e32 v26, v31, v31
	v_fmac_f32_e32 v25, s37, v19
	v_max_f32_e32 v19, v26, v25
	v_cndmask_b32_e64 v25, 0, v25, s3
	v_cndmask_b32_e64 v31, v31, v19, s3
	ds_write_b32 v35, v25
	s_branch .LBB199_9
.LBB199_140:
	s_or_b32 exec_lo, exec_lo, s17
.LBB199_141:
	s_or_b32 exec_lo, exec_lo, s38
	v_xor_b32_e32 v1, 16, v30
	v_xor_b32_e32 v3, 8, v30
	v_max_f32_e32 v5, v31, v31
	v_and_b32_e32 v26, 31, v0
	v_cmp_lt_i32_e32 vcc_lo, v1, v29
	v_cndmask_b32_e32 v1, v30, v1, vcc_lo
	v_cmp_lt_i32_e32 vcc_lo, v3, v29
	v_lshlrev_b32_e32 v2, 2, v1
	v_cndmask_b32_e32 v3, v30, v3, vcc_lo
	ds_bpermute_b32 v1, v2, v31
	v_lshlrev_b32_e32 v4, 2, v3
	s_waitcnt lgkmcnt(0)
	v_max_f32_e32 v1, v1, v1
	v_max_f32_e32 v1, v5, v1
	v_xor_b32_e32 v5, 4, v30
	ds_bpermute_b32 v3, v4, v1
	v_cmp_lt_i32_e32 vcc_lo, v5, v29
	v_cndmask_b32_e32 v5, v30, v5, vcc_lo
	v_cmp_eq_u32_e32 vcc_lo, 0, v26
	v_lshlrev_b32_e32 v7, 2, v5
	v_lshlrev_b32_e32 v5, 2, v27
	s_waitcnt lgkmcnt(0)
	v_max_f32_e32 v3, v3, v3
	v_max_f32_e32 v1, v1, v3
	ds_bpermute_b32 v3, v7, v1
	s_and_saveexec_b32 s2, vcc_lo
	s_cbranch_execz .LBB199_143
; %bb.142:
	s_waitcnt lgkmcnt(0)
	v_max_f32_e32 v3, v3, v3
	v_max_f32_e32 v1, v1, v1
	;; [unrolled: 1-line block ×3, first 2 shown]
	ds_write_b32 v5, v1 offset:256
.LBB199_143:
	s_or_b32 exec_lo, exec_lo, s2
	v_cmp_gt_u32_e64 s2, 4, v26
	v_mov_b32_e32 v1, 0xff7fffff
	v_lshlrev_b32_e32 v6, 2, v26
	s_waitcnt lgkmcnt(0)
	s_barrier
	buffer_gl0_inv
	s_and_saveexec_b32 s3, s2
; %bb.144:
	ds_read_b32 v1, v6 offset:256
; %bb.145:
	s_or_b32 exec_lo, exec_lo, s3
	v_xor_b32_e32 v3, 2, v30
	v_xor_b32_e32 v9, 1, v30
	v_cmp_lt_i32_e64 s3, v3, v29
	v_cndmask_b32_e64 v3, v30, v3, s3
	v_cmp_lt_i32_e64 s3, v9, v29
	v_lshlrev_b32_e32 v8, 2, v3
	v_cndmask_b32_e64 v9, v30, v9, s3
	s_sub_i32 s3, s11, s12
	s_lshl_b32 s3, s3, 3
	s_waitcnt lgkmcnt(0)
	ds_bpermute_b32 v3, v8, v1
	v_max_f32_e32 v1, v1, v1
	v_lshlrev_b32_e32 v29, 2, v9
	s_add_i32 s3, s3, s33
	v_mov_b32_e32 v9, 0
	s_min_i32 s3, s3, s27
	s_sub_i32 s5, s3, s33
	v_cmp_gt_i32_e64 s3, s5, v0
	s_waitcnt lgkmcnt(0)
	v_max_f32_e32 v3, v3, v3
	v_max_f32_e32 v1, v1, v3
	ds_bpermute_b32 v3, v29, v1
	s_waitcnt lgkmcnt(0)
	v_max_f32_e32 v3, v3, v3
	v_max_f32_e32 v1, v1, v3
	v_lshlrev_b32_e32 v3, 2, v20
	ds_bpermute_b32 v1, v3, v1
	v_lshl_add_u32 v3, v0, 2, 0x120
	s_and_saveexec_b32 s16, s3
	s_cbranch_execz .LBB199_149
; %bb.146:
	v_lshl_add_u32 v10, v0, 2, 0x120
	v_mov_b32_e32 v9, 0
	v_mov_b32_e32 v11, v0
	s_mov_b32 s17, 0
	.p2align	6
.LBB199_147:                            ; =>This Inner Loop Header: Depth=1
	ds_read_b32 v12, v10
	v_add_nc_u32_e32 v11, 0x80, v11
	v_cmp_le_i32_e64 s4, s5, v11
	s_or_b32 s17, s4, s17
	s_waitcnt lgkmcnt(0)
	v_sub_f32_e32 v12, v12, v1
	v_mul_f32_e32 v12, 0x3fb8aa3b, v12
	v_exp_f32_e32 v12, v12
	ds_write_b32 v10, v12
	v_add_f32_e32 v9, v9, v12
	v_add_nc_u32_e32 v10, 0x200, v10
	s_andn2_b32 exec_lo, exec_lo, s17
	s_cbranch_execnz .LBB199_147
; %bb.148:
	s_or_b32 exec_lo, exec_lo, s17
.LBB199_149:
	s_or_b32 exec_lo, exec_lo, s16
	ds_bpermute_b32 v2, v2, v9
	s_waitcnt lgkmcnt(0)
	v_add_f32_e32 v2, v9, v2
	ds_bpermute_b32 v4, v4, v2
	s_waitcnt lgkmcnt(0)
	v_add_f32_e32 v2, v2, v4
	ds_bpermute_b32 v4, v7, v2
	s_waitcnt lgkmcnt(0)
	v_add_f32_e32 v2, v2, v4
	ds_bpermute_b32 v4, v8, v2
	s_waitcnt lgkmcnt(0)
	v_add_f32_e32 v2, v2, v4
	ds_bpermute_b32 v4, v29, v2
	s_waitcnt lgkmcnt(0)
	v_add_f32_e32 v2, v2, v4
	s_and_saveexec_b32 s4, vcc_lo
; %bb.150:
	ds_write_b32 v5, v2 offset:272
; %bb.151:
	s_or_b32 exec_lo, exec_lo, s4
	s_waitcnt lgkmcnt(0)
	s_barrier
	buffer_gl0_inv
	s_and_saveexec_b32 s4, s2
; %bb.152:
	ds_read_b32 v2, v6 offset:272
; %bb.153:
	s_or_b32 exec_lo, exec_lo, s4
	s_waitcnt lgkmcnt(0)
	ds_bpermute_b32 v4, v8, v2
	v_lshlrev_b32_e32 v5, 2, v30
	s_waitcnt lgkmcnt(0)
	v_add_f32_e32 v2, v2, v4
	ds_bpermute_b32 v4, v29, v2
	s_waitcnt lgkmcnt(0)
	v_add_f32_e32 v2, v2, v4
	v_and_b32_e32 v4, 0xffffff80, v5
	ds_bpermute_b32 v2, v4, v2
	s_and_saveexec_b32 s2, s3
	s_cbranch_execz .LBB199_156
; %bb.154:
	s_waitcnt lgkmcnt(0)
	v_add_f32_e32 v4, 0x358637bd, v2
	s_mov_b32 s3, 0
	v_div_scale_f32 v5, null, v4, v4, 1.0
	v_div_scale_f32 v8, vcc_lo, 1.0, v4, 1.0
	v_rcp_f32_e32 v6, v5
	v_fma_f32 v7, -v5, v6, 1.0
	v_fmac_f32_e32 v6, v7, v6
	v_mul_f32_e32 v7, v8, v6
	v_fma_f32 v9, -v5, v7, v8
	v_fmac_f32_e32 v7, v9, v6
	v_fma_f32 v5, -v5, v7, v8
	v_div_fmas_f32 v5, v5, v6, v7
	v_div_fixup_f32 v4, v5, v4, 1.0
	v_mov_b32_e32 v5, v0
.LBB199_155:                            ; =>This Inner Loop Header: Depth=1
	ds_read_b32 v6, v3
	v_add_nc_u32_e32 v5, 0x80, v5
	v_cmp_le_i32_e32 vcc_lo, s5, v5
	s_or_b32 s3, vcc_lo, s3
	s_waitcnt lgkmcnt(0)
	v_mul_f32_e32 v6, v4, v6
	ds_write_b32 v3, v6
	v_add_nc_u32_e32 v3, 0x200, v3
	s_andn2_b32 exec_lo, exec_lo, s3
	s_cbranch_execnz .LBB199_155
.LBB199_156:
	s_or_b32 exec_lo, exec_lo, s2
	s_mul_i32 s2, s7, s26
	s_mov_b32 s4, exec_lo
	s_mul_i32 s2, s2, s9
	s_waitcnt lgkmcnt(0)
	s_barrier
	buffer_gl0_inv
	v_cmpx_eq_u32_e32 0, v0
	s_cbranch_execz .LBB199_158
; %bb.157:
	s_ashr_i32 s3, s2, 31
	s_mul_i32 s36, s7, s6
	s_lshl_b64 s[16:17], s[2:3], 2
	v_mov_b32_e32 v3, 0
	s_add_u32 s3, s22, s16
	s_addc_u32 s5, s23, s17
	s_ashr_i32 s37, s36, 31
	s_lshl_b64 s[22:23], s[36:37], 2
	s_add_u32 s3, s3, s22
	s_addc_u32 s5, s5, s23
	s_ashr_i32 s9, s8, 31
	s_lshl_b64 s[8:9], s[8:9], 2
	s_add_u32 s36, s3, s8
	s_addc_u32 s37, s5, s9
	s_add_u32 s3, s20, s16
	s_addc_u32 s5, s21, s17
	s_add_u32 s3, s3, s22
	s_addc_u32 s5, s5, s23
	s_add_u32 s8, s3, s8
	s_addc_u32 s9, s5, s9
	global_store_dword v3, v1, s[36:37]
	global_store_dword v3, v2, s[8:9]
.LBB199_158:
	s_or_b32 exec_lo, exec_lo, s4
	v_mov_b32_e32 v32, 0
	v_and_b32_e32 v30, 1, v0
	v_mov_b32_e32 v34, 0
	v_mov_b32_e32 v33, 0
	;; [unrolled: 1-line block ×3, first 2 shown]
	s_and_saveexec_b32 s3, s1
	s_cbranch_execz .LBB199_298
; %bb.159:
	s_load_dword s4, s[18:19], 0x0
	v_and_b32_e32 v1, 4, v28
	v_and_b32_e32 v2, 0x7c, v28
	v_lshl_add_u32 v4, v27, 3, s33
	s_ashr_i32 s1, s14, 31
	s_add_u32 s5, s34, s14
	v_lshlrev_b32_e32 v3, 4, v30
	v_add_co_u32 v7, s5, s5, v2
	v_add3_u32 v28, v4, v1, 3
	v_lshlrev_b64 v[1:2], 2, v[17:18]
	s_addc_u32 s1, s35, s1
	s_lshl_b64 s[8:9], s[30:31], 2
	s_add_i32 s15, s15, -1
	v_lshl_or_b32 v3, v27, 5, v3
	v_add_co_ci_u32_e64 v8, null, s1, 0, s5
	s_add_u32 s1, s28, s8
	s_addc_u32 s5, s29, s9
	v_add_co_u32 v9, vcc_lo, s1, v1
	v_mov_b32_e32 v6, 0
	v_add_nc_u32_e32 v35, 0x120, v3
	v_add_co_ci_u32_e64 v10, null, s5, v2, vcc_lo
	v_mov_b32_e32 v36, 0x80
	v_bfrev_b32_e32 v12, 1
	v_mov_b32_e32 v37, 0xffff
	v_mov_b32_e32 v14, 0x7f800001
	;; [unrolled: 1-line block ×9, first 2 shown]
	s_mov_b32 s5, s13
	s_waitcnt lgkmcnt(0)
	s_mov_b32 s8, s4
	s_mov_b32 s6, 0
	s_branch .LBB199_161
.LBB199_160:                            ;   in Loop: Header=BB199_161 Depth=1
	s_or_b32 exec_lo, exec_lo, s1
	s_waitcnt lgkmcnt(0)
	v_mul_f32_e32 v16, v1, v53
	v_mul_f32_e32 v18, v1, v51
	;; [unrolled: 1-line block ×4, first 2 shown]
	v_add_nc_u32_e32 v17, 4, v17
	v_fmac_f32_e32 v16, v2, v52
	v_fmac_f32_e32 v18, v2, v50
	;; [unrolled: 1-line block ×4, first 2 shown]
	v_cmp_le_i32_e32 vcc_lo, s11, v17
	v_fmac_f32_e32 v16, v3, v25
	v_fmac_f32_e32 v18, v3, v49
	;; [unrolled: 1-line block ×4, first 2 shown]
	v_add_co_u32 v9, s1, v9, 16
	v_fmac_f32_e32 v16, v4, v24
	v_fmac_f32_e32 v18, v4, v48
	;; [unrolled: 1-line block ×4, first 2 shown]
	v_add_nc_u32_e32 v28, 32, v28
	v_add_f32_e32 v33, v33, v16
	v_add_f32_e32 v34, v34, v18
	;; [unrolled: 1-line block ×4, first 2 shown]
	v_add_nc_u32_e32 v35, 0x80, v35
	v_add_co_ci_u32_e64 v10, null, 0, v10, s1
	s_or_b32 s6, vcc_lo, s6
	s_andn2_b32 exec_lo, exec_lo, s6
	s_cbranch_execz .LBB199_297
.LBB199_161:                            ; =>This Inner Loop Header: Depth=1
	global_load_dword v1, v[9:10], off
	v_mov_b32_e32 v20, 0
	v_mov_b32_e32 v18, 0
	;; [unrolled: 1-line block ×4, first 2 shown]
	s_waitcnt vmcnt(0)
	v_mad_i64_i32 v[15:16], null, v1, s5, v[7:8]
	ds_read_b128 v[1:4], v35
	global_load_dword v41, v[15:16], off
	s_waitcnt vmcnt(0)
	v_cmp_ne_u16_sdwa s9, v41, v6 src0_sel:BYTE_0 src1_sel:DWORD
	s_and_saveexec_b32 s1, s9
	s_cbranch_execz .LBB199_169
; %bb.162:                              ;   in Loop: Header=BB199_161 Depth=1
	v_bfrev_b32_e32 v18, 1
	v_mov_b32_e32 v19, 0
	v_cmp_ne_u16_sdwa s13, v41, v36 src0_sel:BYTE_0 src1_sel:DWORD
	s_and_saveexec_b32 s9, s13
	s_cbranch_execz .LBB199_168
; %bb.163:                              ;   in Loop: Header=BB199_161 Depth=1
	v_mov_b32_e32 v18, 0x7f800001
	v_and_b32_e32 v13, 0x7f, v41
	v_mov_b32_e32 v19, 0
	s_mov_b32 s13, exec_lo
	v_cmpx_ne_u32_e32 0x7f, v13
	s_cbranch_execz .LBB199_167
; %bb.164:                              ;   in Loop: Header=BB199_161 Depth=1
	v_and_b32_e32 v5, 7, v41
	v_lshrrev_b32_e32 v11, 3, v13
	s_mov_b32 s14, exec_lo
	v_cmpx_gt_u32_e32 8, v13
; %bb.165:                              ;   in Loop: Header=BB199_161 Depth=1
	v_ffbh_u32_e32 v11, v5
	v_min_u32_e32 v11, 32, v11
	v_subrev_nc_u32_e32 v13, 28, v11
	v_sub_nc_u32_e32 v11, 29, v11
	v_lshlrev_b64 v[18:19], v13, v[5:6]
	v_and_b32_e32 v5, 7, v18
; %bb.166:                              ;   in Loop: Header=BB199_161 Depth=1
	s_or_b32 exec_lo, exec_lo, s14
	v_lshlrev_b32_e32 v13, 24, v41
	v_lshlrev_b32_e32 v5, 20, v5
	v_lshl_add_u32 v11, v11, 23, 0x3c000000
	v_and_b32_e32 v13, 0x80000000, v13
	v_or3_b32 v5, v5, v13, v11
	v_mov_b32_e32 v19, v6
	v_mov_b32_e32 v18, v5
.LBB199_167:                            ;   in Loop: Header=BB199_161 Depth=1
	s_or_b32 exec_lo, exec_lo, s13
.LBB199_168:                            ;   in Loop: Header=BB199_161 Depth=1
	s_or_b32 exec_lo, exec_lo, s9
.LBB199_169:                            ;   in Loop: Header=BB199_161 Depth=1
	s_or_b32 exec_lo, exec_lo, s1
	v_cmp_ne_u16_sdwa s9, v41, v6 src0_sel:BYTE_1 src1_sel:DWORD
	s_and_saveexec_b32 s1, s9
	s_cbranch_execz .LBB199_177
; %bb.170:                              ;   in Loop: Header=BB199_161 Depth=1
	v_mov_b32_e32 v11, v6
	v_mov_b32_e32 v21, v12
	v_cmp_ne_u16_sdwa s13, v41, v36 src0_sel:BYTE_1 src1_sel:DWORD
	v_mov_b32_e32 v20, v11
	s_and_saveexec_b32 s9, s13
	s_cbranch_execz .LBB199_176
; %bb.171:                              ;   in Loop: Header=BB199_161 Depth=1
	v_and_b32_sdwa v5, v37, v41 dst_sel:DWORD dst_unused:UNUSED_PAD src0_sel:DWORD src1_sel:BYTE_1
	v_mov_b32_e32 v13, v6
	v_mov_b32_e32 v21, v14
	s_mov_b32 s13, exec_lo
	v_and_b32_e32 v22, 0x7f, v5
	v_mov_b32_e32 v20, v13
	v_cmpx_ne_u32_e32 0x7f, v22
	s_cbranch_execz .LBB199_175
; %bb.172:                              ;   in Loop: Header=BB199_161 Depth=1
	v_and_b32_e32 v5, 7, v5
	v_lshrrev_b32_e32 v11, 3, v22
	s_mov_b32 s14, exec_lo
	v_cmpx_gt_u32_e32 8, v22
; %bb.173:                              ;   in Loop: Header=BB199_161 Depth=1
	v_ffbh_u32_e32 v11, v5
	v_min_u32_e32 v11, 32, v11
	v_subrev_nc_u32_e32 v13, 28, v11
	v_sub_nc_u32_e32 v11, 29, v11
	v_lshlrev_b64 v[20:21], v13, v[5:6]
	v_and_b32_e32 v5, 7, v20
; %bb.174:                              ;   in Loop: Header=BB199_161 Depth=1
	s_or_b32 exec_lo, exec_lo, s14
	v_lshlrev_b32_e32 v13, 16, v41
	v_lshlrev_b32_e32 v5, 20, v5
	v_lshl_add_u32 v11, v11, 23, 0x3c000000
	v_mov_b32_e32 v20, v6
	v_and_b32_e32 v13, 0x80000000, v13
	v_or3_b32 v21, v5, v13, v11
.LBB199_175:                            ;   in Loop: Header=BB199_161 Depth=1
	s_or_b32 exec_lo, exec_lo, s13
.LBB199_176:                            ;   in Loop: Header=BB199_161 Depth=1
	s_or_b32 exec_lo, exec_lo, s9
.LBB199_177:                            ;   in Loop: Header=BB199_161 Depth=1
	s_or_b32 exec_lo, exec_lo, s1
	v_mov_b32_e32 v24, 0
	v_mov_b32_e32 v22, 0
	v_and_b32_sdwa v5, v41, v38 dst_sel:DWORD dst_unused:UNUSED_PAD src0_sel:WORD_1 src1_sel:DWORD
	v_mov_b32_e32 v25, 0
	v_mov_b32_e32 v23, 0
	s_mov_b32 s1, exec_lo
	v_cmpx_ne_u16_e32 0, v5
	s_cbranch_execz .LBB199_185
; %bb.178:                              ;   in Loop: Header=BB199_161 Depth=1
	v_bfrev_b32_e32 v22, 1
	v_mov_b32_e32 v23, 0
	s_mov_b32 s9, exec_lo
	v_cmpx_ne_u16_e32 0x80, v5
	s_cbranch_execz .LBB199_184
; %bb.179:                              ;   in Loop: Header=BB199_161 Depth=1
	v_mov_b32_e32 v22, 0x7f800001
	v_bfe_u32 v13, v41, 16, 7
	v_mov_b32_e32 v23, 0
	s_mov_b32 s13, exec_lo
	v_cmpx_ne_u32_e32 0x7f, v13
	s_cbranch_execz .LBB199_183
; %bb.180:                              ;   in Loop: Header=BB199_161 Depth=1
	v_and_b32_sdwa v5, v41, v39 dst_sel:DWORD dst_unused:UNUSED_PAD src0_sel:WORD_1 src1_sel:DWORD
	v_lshrrev_b32_e32 v11, 3, v13
	s_mov_b32 s14, exec_lo
	v_cmpx_gt_u32_e32 8, v13
; %bb.181:                              ;   in Loop: Header=BB199_161 Depth=1
	v_ffbh_u32_e32 v11, v5
	v_min_u32_e32 v11, 32, v11
	v_subrev_nc_u32_e32 v13, 28, v11
	v_sub_nc_u32_e32 v11, 29, v11
	v_lshlrev_b64 v[22:23], v13, v[5:6]
	v_and_b32_e32 v5, 7, v22
; %bb.182:                              ;   in Loop: Header=BB199_161 Depth=1
	s_or_b32 exec_lo, exec_lo, s14
	v_lshlrev_b32_sdwa v13, v40, v41 dst_sel:DWORD dst_unused:UNUSED_PAD src0_sel:DWORD src1_sel:WORD_1
	v_lshlrev_b32_e32 v5, 20, v5
	v_lshl_add_u32 v11, v11, 23, 0x3c000000
	v_and_b32_e32 v13, 0x80000000, v13
	v_or3_b32 v5, v5, v13, v11
	v_mov_b32_e32 v23, v6
	v_mov_b32_e32 v22, v5
.LBB199_183:                            ;   in Loop: Header=BB199_161 Depth=1
	s_or_b32 exec_lo, exec_lo, s13
.LBB199_184:                            ;   in Loop: Header=BB199_161 Depth=1
	s_or_b32 exec_lo, exec_lo, s9
.LBB199_185:                            ;   in Loop: Header=BB199_161 Depth=1
	s_or_b32 exec_lo, exec_lo, s1
	s_mov_b32 s1, exec_lo
	v_cmpx_lt_u32_e32 0xffffff, v41
	s_cbranch_execz .LBB199_193
; %bb.186:                              ;   in Loop: Header=BB199_161 Depth=1
	v_mov_b32_e32 v11, v6
	v_mov_b32_e32 v25, v12
	v_cmp_ne_u32_sdwa s13, v41, v36 src0_sel:BYTE_3 src1_sel:DWORD
	v_mov_b32_e32 v24, v11
	s_and_saveexec_b32 s9, s13
	s_cbranch_execz .LBB199_192
; %bb.187:                              ;   in Loop: Header=BB199_161 Depth=1
	v_mov_b32_e32 v13, v6
	v_mov_b32_e32 v25, v14
	v_bfe_u32 v42, v41, 24, 7
	s_mov_b32 s13, exec_lo
	v_mov_b32_e32 v24, v13
	v_cmpx_ne_u32_e32 0x7f, v42
	s_cbranch_execz .LBB199_191
; %bb.188:                              ;   in Loop: Header=BB199_161 Depth=1
	v_and_b32_sdwa v5, v41, v39 dst_sel:DWORD dst_unused:UNUSED_PAD src0_sel:BYTE_3 src1_sel:DWORD
	v_lshrrev_b32_e32 v11, 3, v42
	s_mov_b32 s14, exec_lo
	v_cmpx_gt_u32_e32 8, v42
; %bb.189:                              ;   in Loop: Header=BB199_161 Depth=1
	v_ffbh_u32_e32 v11, v5
	v_min_u32_e32 v11, 32, v11
	v_subrev_nc_u32_e32 v13, 28, v11
	v_sub_nc_u32_e32 v11, 29, v11
	v_lshlrev_b64 v[24:25], v13, v[5:6]
	v_and_b32_e32 v5, 7, v24
; %bb.190:                              ;   in Loop: Header=BB199_161 Depth=1
	s_or_b32 exec_lo, exec_lo, s14
	v_lshlrev_b32_sdwa v13, v40, v41 dst_sel:DWORD dst_unused:UNUSED_PAD src0_sel:DWORD src1_sel:BYTE_3
	v_lshlrev_b32_e32 v5, 20, v5
	v_lshl_add_u32 v11, v11, 23, 0x3c000000
	v_mov_b32_e32 v24, v6
	v_and_b32_e32 v13, 0x80000000, v13
	v_or3_b32 v25, v5, v13, v11
.LBB199_191:                            ;   in Loop: Header=BB199_161 Depth=1
	s_or_b32 exec_lo, exec_lo, s13
.LBB199_192:                            ;   in Loop: Header=BB199_161 Depth=1
	s_or_b32 exec_lo, exec_lo, s9
.LBB199_193:                            ;   in Loop: Header=BB199_161 Depth=1
	s_or_b32 exec_lo, exec_lo, s1
	v_or_b32_e32 v5, v21, v19
	v_or_b32_e32 v11, v20, v18
	;; [unrolled: 1-line block ×4, first 2 shown]
	v_add_nc_u32_e32 v45, -3, v28
	v_cmp_eq_u32_e32 vcc_lo, s15, v17
	v_mul_f32_e32 v43, s8, v5
	v_mul_f32_e32 v44, s4, v11
	;; [unrolled: 1-line block ×4, first 2 shown]
	v_add_nc_u32_e32 v47, -2, v28
	v_add_nc_u32_e32 v46, -1, v28
	s_and_saveexec_b32 s9, vcc_lo
	s_cbranch_execz .LBB199_195
; %bb.194:                              ;   in Loop: Header=BB199_161 Depth=1
	v_cmp_gt_i32_e64 s1, s27, v45
	v_cndmask_b32_e64 v44, 0, v44, s1
	v_cmp_gt_i32_e64 s1, s27, v47
	v_cndmask_b32_e64 v43, 0, v43, s1
	v_cmp_gt_i32_e64 s1, s27, v46
	v_cndmask_b32_e64 v42, 0, v42, s1
	v_cmp_gt_i32_e64 s1, s27, v28
	v_cndmask_b32_e64 v41, 0, v41, s1
.LBB199_195:                            ;   in Loop: Header=BB199_161 Depth=1
	s_or_b32 exec_lo, exec_lo, s9
	global_load_dword v48, v[15:16], off offset:128
	v_mov_b32_e32 v20, 0
	v_mov_b32_e32 v18, 0
	;; [unrolled: 1-line block ×4, first 2 shown]
	s_waitcnt vmcnt(0)
	v_cmp_ne_u16_sdwa s1, v48, v6 src0_sel:BYTE_0 src1_sel:DWORD
	s_and_saveexec_b32 s9, s1
	s_cbranch_execz .LBB199_203
; %bb.196:                              ;   in Loop: Header=BB199_161 Depth=1
	v_bfrev_b32_e32 v18, 1
	v_mov_b32_e32 v19, 0
	v_cmp_ne_u16_sdwa s1, v48, v36 src0_sel:BYTE_0 src1_sel:DWORD
	s_and_saveexec_b32 s13, s1
	s_cbranch_execz .LBB199_202
; %bb.197:                              ;   in Loop: Header=BB199_161 Depth=1
	v_mov_b32_e32 v18, 0x7f800001
	v_and_b32_e32 v13, 0x7f, v48
	v_mov_b32_e32 v19, 0
	s_mov_b32 s14, exec_lo
	v_cmpx_ne_u32_e32 0x7f, v13
	s_cbranch_execz .LBB199_201
; %bb.198:                              ;   in Loop: Header=BB199_161 Depth=1
	v_and_b32_e32 v5, 7, v48
	v_lshrrev_b32_e32 v11, 3, v13
	s_mov_b32 s16, exec_lo
	v_cmpx_gt_u32_e32 8, v13
; %bb.199:                              ;   in Loop: Header=BB199_161 Depth=1
	v_ffbh_u32_e32 v11, v5
	v_min_u32_e32 v11, 32, v11
	v_subrev_nc_u32_e32 v13, 28, v11
	v_sub_nc_u32_e32 v11, 29, v11
	v_lshlrev_b64 v[18:19], v13, v[5:6]
	v_and_b32_e32 v5, 7, v18
; %bb.200:                              ;   in Loop: Header=BB199_161 Depth=1
	s_or_b32 exec_lo, exec_lo, s16
	v_lshlrev_b32_e32 v13, 24, v48
	v_lshlrev_b32_e32 v5, 20, v5
	v_lshl_add_u32 v11, v11, 23, 0x3c000000
	v_and_b32_e32 v13, 0x80000000, v13
	v_or3_b32 v5, v5, v13, v11
	v_mov_b32_e32 v19, v6
	v_mov_b32_e32 v18, v5
.LBB199_201:                            ;   in Loop: Header=BB199_161 Depth=1
	s_or_b32 exec_lo, exec_lo, s14
.LBB199_202:                            ;   in Loop: Header=BB199_161 Depth=1
	s_or_b32 exec_lo, exec_lo, s13
.LBB199_203:                            ;   in Loop: Header=BB199_161 Depth=1
	s_or_b32 exec_lo, exec_lo, s9
	v_cmp_ne_u16_sdwa s1, v48, v6 src0_sel:BYTE_1 src1_sel:DWORD
	s_and_saveexec_b32 s9, s1
	s_cbranch_execz .LBB199_211
; %bb.204:                              ;   in Loop: Header=BB199_161 Depth=1
	v_mov_b32_e32 v11, v6
	v_mov_b32_e32 v21, v12
	v_cmp_ne_u16_sdwa s1, v48, v36 src0_sel:BYTE_1 src1_sel:DWORD
	v_mov_b32_e32 v20, v11
	s_and_saveexec_b32 s13, s1
	s_cbranch_execz .LBB199_210
; %bb.205:                              ;   in Loop: Header=BB199_161 Depth=1
	v_and_b32_sdwa v5, v37, v48 dst_sel:DWORD dst_unused:UNUSED_PAD src0_sel:DWORD src1_sel:BYTE_1
	v_mov_b32_e32 v13, v6
	v_mov_b32_e32 v21, v14
	s_mov_b32 s14, exec_lo
	v_and_b32_e32 v22, 0x7f, v5
	v_mov_b32_e32 v20, v13
	v_cmpx_ne_u32_e32 0x7f, v22
	s_cbranch_execz .LBB199_209
; %bb.206:                              ;   in Loop: Header=BB199_161 Depth=1
	v_and_b32_e32 v5, 7, v5
	v_lshrrev_b32_e32 v11, 3, v22
	s_mov_b32 s16, exec_lo
	v_cmpx_gt_u32_e32 8, v22
; %bb.207:                              ;   in Loop: Header=BB199_161 Depth=1
	v_ffbh_u32_e32 v11, v5
	v_min_u32_e32 v11, 32, v11
	v_subrev_nc_u32_e32 v13, 28, v11
	v_sub_nc_u32_e32 v11, 29, v11
	v_lshlrev_b64 v[20:21], v13, v[5:6]
	v_and_b32_e32 v5, 7, v20
; %bb.208:                              ;   in Loop: Header=BB199_161 Depth=1
	s_or_b32 exec_lo, exec_lo, s16
	v_lshlrev_b32_e32 v13, 16, v48
	v_lshlrev_b32_e32 v5, 20, v5
	v_lshl_add_u32 v11, v11, 23, 0x3c000000
	v_mov_b32_e32 v20, v6
	v_and_b32_e32 v13, 0x80000000, v13
	v_or3_b32 v21, v5, v13, v11
.LBB199_209:                            ;   in Loop: Header=BB199_161 Depth=1
	s_or_b32 exec_lo, exec_lo, s14
.LBB199_210:                            ;   in Loop: Header=BB199_161 Depth=1
	s_or_b32 exec_lo, exec_lo, s13
.LBB199_211:                            ;   in Loop: Header=BB199_161 Depth=1
	s_or_b32 exec_lo, exec_lo, s9
	v_mov_b32_e32 v24, 0
	v_mov_b32_e32 v22, 0
	v_and_b32_sdwa v5, v48, v38 dst_sel:DWORD dst_unused:UNUSED_PAD src0_sel:WORD_1 src1_sel:DWORD
	v_mov_b32_e32 v25, 0
	v_mov_b32_e32 v23, 0
	s_mov_b32 s9, exec_lo
	v_cmpx_ne_u16_e32 0, v5
	s_cbranch_execz .LBB199_219
; %bb.212:                              ;   in Loop: Header=BB199_161 Depth=1
	v_bfrev_b32_e32 v22, 1
	v_mov_b32_e32 v23, 0
	s_mov_b32 s13, exec_lo
	v_cmpx_ne_u16_e32 0x80, v5
	s_cbranch_execz .LBB199_218
; %bb.213:                              ;   in Loop: Header=BB199_161 Depth=1
	v_mov_b32_e32 v22, 0x7f800001
	v_bfe_u32 v13, v48, 16, 7
	v_mov_b32_e32 v23, 0
	s_mov_b32 s14, exec_lo
	v_cmpx_ne_u32_e32 0x7f, v13
	s_cbranch_execz .LBB199_217
; %bb.214:                              ;   in Loop: Header=BB199_161 Depth=1
	v_and_b32_sdwa v5, v48, v39 dst_sel:DWORD dst_unused:UNUSED_PAD src0_sel:WORD_1 src1_sel:DWORD
	v_lshrrev_b32_e32 v11, 3, v13
	s_mov_b32 s16, exec_lo
	v_cmpx_gt_u32_e32 8, v13
; %bb.215:                              ;   in Loop: Header=BB199_161 Depth=1
	v_ffbh_u32_e32 v11, v5
	v_min_u32_e32 v11, 32, v11
	v_subrev_nc_u32_e32 v13, 28, v11
	v_sub_nc_u32_e32 v11, 29, v11
	v_lshlrev_b64 v[22:23], v13, v[5:6]
	v_and_b32_e32 v5, 7, v22
; %bb.216:                              ;   in Loop: Header=BB199_161 Depth=1
	s_or_b32 exec_lo, exec_lo, s16
	v_lshlrev_b32_sdwa v13, v40, v48 dst_sel:DWORD dst_unused:UNUSED_PAD src0_sel:DWORD src1_sel:WORD_1
	v_lshlrev_b32_e32 v5, 20, v5
	v_lshl_add_u32 v11, v11, 23, 0x3c000000
	v_and_b32_e32 v13, 0x80000000, v13
	v_or3_b32 v5, v5, v13, v11
	v_mov_b32_e32 v23, v6
	v_mov_b32_e32 v22, v5
.LBB199_217:                            ;   in Loop: Header=BB199_161 Depth=1
	s_or_b32 exec_lo, exec_lo, s14
.LBB199_218:                            ;   in Loop: Header=BB199_161 Depth=1
	s_or_b32 exec_lo, exec_lo, s13
.LBB199_219:                            ;   in Loop: Header=BB199_161 Depth=1
	s_or_b32 exec_lo, exec_lo, s9
	s_mov_b32 s9, exec_lo
	v_cmpx_lt_u32_e32 0xffffff, v48
	s_cbranch_execz .LBB199_227
; %bb.220:                              ;   in Loop: Header=BB199_161 Depth=1
	v_mov_b32_e32 v11, v6
	v_mov_b32_e32 v25, v12
	v_cmp_ne_u32_sdwa s1, v48, v36 src0_sel:BYTE_3 src1_sel:DWORD
	v_mov_b32_e32 v24, v11
	s_and_saveexec_b32 s13, s1
	s_cbranch_execz .LBB199_226
; %bb.221:                              ;   in Loop: Header=BB199_161 Depth=1
	v_mov_b32_e32 v13, v6
	v_mov_b32_e32 v25, v14
	v_bfe_u32 v49, v48, 24, 7
	s_mov_b32 s14, exec_lo
	v_mov_b32_e32 v24, v13
	v_cmpx_ne_u32_e32 0x7f, v49
	s_cbranch_execz .LBB199_225
; %bb.222:                              ;   in Loop: Header=BB199_161 Depth=1
	v_and_b32_sdwa v5, v48, v39 dst_sel:DWORD dst_unused:UNUSED_PAD src0_sel:BYTE_3 src1_sel:DWORD
	v_lshrrev_b32_e32 v11, 3, v49
	s_mov_b32 s16, exec_lo
	v_cmpx_gt_u32_e32 8, v49
; %bb.223:                              ;   in Loop: Header=BB199_161 Depth=1
	v_ffbh_u32_e32 v11, v5
	v_min_u32_e32 v11, 32, v11
	v_subrev_nc_u32_e32 v13, 28, v11
	v_sub_nc_u32_e32 v11, 29, v11
	v_lshlrev_b64 v[24:25], v13, v[5:6]
	v_and_b32_e32 v5, 7, v24
; %bb.224:                              ;   in Loop: Header=BB199_161 Depth=1
	s_or_b32 exec_lo, exec_lo, s16
	v_lshlrev_b32_sdwa v13, v40, v48 dst_sel:DWORD dst_unused:UNUSED_PAD src0_sel:DWORD src1_sel:BYTE_3
	v_lshlrev_b32_e32 v5, 20, v5
	v_lshl_add_u32 v11, v11, 23, 0x3c000000
	v_mov_b32_e32 v24, v6
	v_and_b32_e32 v13, 0x80000000, v13
	v_or3_b32 v25, v5, v13, v11
.LBB199_225:                            ;   in Loop: Header=BB199_161 Depth=1
	s_or_b32 exec_lo, exec_lo, s14
.LBB199_226:                            ;   in Loop: Header=BB199_161 Depth=1
	s_or_b32 exec_lo, exec_lo, s13
.LBB199_227:                            ;   in Loop: Header=BB199_161 Depth=1
	s_or_b32 exec_lo, exec_lo, s9
	v_or_b32_e32 v5, v21, v19
	v_or_b32_e32 v11, v20, v18
	;; [unrolled: 1-line block ×4, first 2 shown]
	v_mul_f32_e32 v50, s8, v5
	v_mul_f32_e32 v51, s4, v11
	;; [unrolled: 1-line block ×4, first 2 shown]
	s_and_saveexec_b32 s9, vcc_lo
	s_cbranch_execz .LBB199_229
; %bb.228:                              ;   in Loop: Header=BB199_161 Depth=1
	v_cmp_gt_i32_e64 s1, s27, v45
	v_cndmask_b32_e64 v51, 0, v51, s1
	v_cmp_gt_i32_e64 s1, s27, v47
	v_cndmask_b32_e64 v50, 0, v50, s1
	;; [unrolled: 2-line block ×4, first 2 shown]
.LBB199_229:                            ;   in Loop: Header=BB199_161 Depth=1
	s_or_b32 exec_lo, exec_lo, s9
	global_load_dword v52, v[15:16], off offset:256
	v_mov_b32_e32 v20, 0
	v_mov_b32_e32 v18, 0
	;; [unrolled: 1-line block ×4, first 2 shown]
	s_waitcnt vmcnt(0)
	v_cmp_ne_u16_sdwa s1, v52, v6 src0_sel:BYTE_0 src1_sel:DWORD
	s_and_saveexec_b32 s9, s1
	s_cbranch_execz .LBB199_237
; %bb.230:                              ;   in Loop: Header=BB199_161 Depth=1
	v_bfrev_b32_e32 v18, 1
	v_mov_b32_e32 v19, 0
	v_cmp_ne_u16_sdwa s1, v52, v36 src0_sel:BYTE_0 src1_sel:DWORD
	s_and_saveexec_b32 s13, s1
	s_cbranch_execz .LBB199_236
; %bb.231:                              ;   in Loop: Header=BB199_161 Depth=1
	v_mov_b32_e32 v18, 0x7f800001
	v_and_b32_e32 v13, 0x7f, v52
	v_mov_b32_e32 v19, 0
	s_mov_b32 s14, exec_lo
	v_cmpx_ne_u32_e32 0x7f, v13
	s_cbranch_execz .LBB199_235
; %bb.232:                              ;   in Loop: Header=BB199_161 Depth=1
	v_and_b32_e32 v5, 7, v52
	v_lshrrev_b32_e32 v11, 3, v13
	s_mov_b32 s16, exec_lo
	v_cmpx_gt_u32_e32 8, v13
; %bb.233:                              ;   in Loop: Header=BB199_161 Depth=1
	v_ffbh_u32_e32 v11, v5
	v_min_u32_e32 v11, 32, v11
	v_subrev_nc_u32_e32 v13, 28, v11
	v_sub_nc_u32_e32 v11, 29, v11
	v_lshlrev_b64 v[18:19], v13, v[5:6]
	v_and_b32_e32 v5, 7, v18
; %bb.234:                              ;   in Loop: Header=BB199_161 Depth=1
	s_or_b32 exec_lo, exec_lo, s16
	v_lshlrev_b32_e32 v13, 24, v52
	v_lshlrev_b32_e32 v5, 20, v5
	v_lshl_add_u32 v11, v11, 23, 0x3c000000
	v_and_b32_e32 v13, 0x80000000, v13
	v_or3_b32 v5, v5, v13, v11
	v_mov_b32_e32 v19, v6
	v_mov_b32_e32 v18, v5
.LBB199_235:                            ;   in Loop: Header=BB199_161 Depth=1
	s_or_b32 exec_lo, exec_lo, s14
.LBB199_236:                            ;   in Loop: Header=BB199_161 Depth=1
	s_or_b32 exec_lo, exec_lo, s13
.LBB199_237:                            ;   in Loop: Header=BB199_161 Depth=1
	s_or_b32 exec_lo, exec_lo, s9
	v_cmp_ne_u16_sdwa s1, v52, v6 src0_sel:BYTE_1 src1_sel:DWORD
	s_and_saveexec_b32 s9, s1
	s_cbranch_execz .LBB199_245
; %bb.238:                              ;   in Loop: Header=BB199_161 Depth=1
	v_mov_b32_e32 v11, v6
	v_mov_b32_e32 v21, v12
	v_cmp_ne_u16_sdwa s1, v52, v36 src0_sel:BYTE_1 src1_sel:DWORD
	v_mov_b32_e32 v20, v11
	s_and_saveexec_b32 s13, s1
	s_cbranch_execz .LBB199_244
; %bb.239:                              ;   in Loop: Header=BB199_161 Depth=1
	v_and_b32_sdwa v5, v37, v52 dst_sel:DWORD dst_unused:UNUSED_PAD src0_sel:DWORD src1_sel:BYTE_1
	v_mov_b32_e32 v13, v6
	v_mov_b32_e32 v21, v14
	s_mov_b32 s14, exec_lo
	v_and_b32_e32 v22, 0x7f, v5
	v_mov_b32_e32 v20, v13
	v_cmpx_ne_u32_e32 0x7f, v22
	s_cbranch_execz .LBB199_243
; %bb.240:                              ;   in Loop: Header=BB199_161 Depth=1
	v_and_b32_e32 v5, 7, v5
	v_lshrrev_b32_e32 v11, 3, v22
	s_mov_b32 s16, exec_lo
	v_cmpx_gt_u32_e32 8, v22
; %bb.241:                              ;   in Loop: Header=BB199_161 Depth=1
	v_ffbh_u32_e32 v11, v5
	v_min_u32_e32 v11, 32, v11
	v_subrev_nc_u32_e32 v13, 28, v11
	v_sub_nc_u32_e32 v11, 29, v11
	v_lshlrev_b64 v[20:21], v13, v[5:6]
	v_and_b32_e32 v5, 7, v20
; %bb.242:                              ;   in Loop: Header=BB199_161 Depth=1
	s_or_b32 exec_lo, exec_lo, s16
	v_lshlrev_b32_e32 v13, 16, v52
	v_lshlrev_b32_e32 v5, 20, v5
	v_lshl_add_u32 v11, v11, 23, 0x3c000000
	v_mov_b32_e32 v20, v6
	v_and_b32_e32 v13, 0x80000000, v13
	v_or3_b32 v21, v5, v13, v11
.LBB199_243:                            ;   in Loop: Header=BB199_161 Depth=1
	s_or_b32 exec_lo, exec_lo, s14
.LBB199_244:                            ;   in Loop: Header=BB199_161 Depth=1
	s_or_b32 exec_lo, exec_lo, s13
.LBB199_245:                            ;   in Loop: Header=BB199_161 Depth=1
	s_or_b32 exec_lo, exec_lo, s9
	v_mov_b32_e32 v24, 0
	v_mov_b32_e32 v22, 0
	v_and_b32_sdwa v5, v52, v38 dst_sel:DWORD dst_unused:UNUSED_PAD src0_sel:WORD_1 src1_sel:DWORD
	v_mov_b32_e32 v25, 0
	v_mov_b32_e32 v23, 0
	s_mov_b32 s9, exec_lo
	v_cmpx_ne_u16_e32 0, v5
	s_cbranch_execz .LBB199_253
; %bb.246:                              ;   in Loop: Header=BB199_161 Depth=1
	v_bfrev_b32_e32 v22, 1
	v_mov_b32_e32 v23, 0
	s_mov_b32 s13, exec_lo
	v_cmpx_ne_u16_e32 0x80, v5
	s_cbranch_execz .LBB199_252
; %bb.247:                              ;   in Loop: Header=BB199_161 Depth=1
	v_mov_b32_e32 v22, 0x7f800001
	v_bfe_u32 v13, v52, 16, 7
	v_mov_b32_e32 v23, 0
	s_mov_b32 s14, exec_lo
	v_cmpx_ne_u32_e32 0x7f, v13
	s_cbranch_execz .LBB199_251
; %bb.248:                              ;   in Loop: Header=BB199_161 Depth=1
	v_and_b32_sdwa v5, v52, v39 dst_sel:DWORD dst_unused:UNUSED_PAD src0_sel:WORD_1 src1_sel:DWORD
	v_lshrrev_b32_e32 v11, 3, v13
	s_mov_b32 s16, exec_lo
	v_cmpx_gt_u32_e32 8, v13
; %bb.249:                              ;   in Loop: Header=BB199_161 Depth=1
	v_ffbh_u32_e32 v11, v5
	v_min_u32_e32 v11, 32, v11
	v_subrev_nc_u32_e32 v13, 28, v11
	v_sub_nc_u32_e32 v11, 29, v11
	v_lshlrev_b64 v[22:23], v13, v[5:6]
	v_and_b32_e32 v5, 7, v22
; %bb.250:                              ;   in Loop: Header=BB199_161 Depth=1
	s_or_b32 exec_lo, exec_lo, s16
	v_lshlrev_b32_sdwa v13, v40, v52 dst_sel:DWORD dst_unused:UNUSED_PAD src0_sel:DWORD src1_sel:WORD_1
	v_lshlrev_b32_e32 v5, 20, v5
	v_lshl_add_u32 v11, v11, 23, 0x3c000000
	v_and_b32_e32 v13, 0x80000000, v13
	v_or3_b32 v5, v5, v13, v11
	v_mov_b32_e32 v23, v6
	v_mov_b32_e32 v22, v5
.LBB199_251:                            ;   in Loop: Header=BB199_161 Depth=1
	s_or_b32 exec_lo, exec_lo, s14
.LBB199_252:                            ;   in Loop: Header=BB199_161 Depth=1
	s_or_b32 exec_lo, exec_lo, s13
.LBB199_253:                            ;   in Loop: Header=BB199_161 Depth=1
	s_or_b32 exec_lo, exec_lo, s9
	s_mov_b32 s9, exec_lo
	v_cmpx_lt_u32_e32 0xffffff, v52
	s_cbranch_execz .LBB199_261
; %bb.254:                              ;   in Loop: Header=BB199_161 Depth=1
	v_mov_b32_e32 v11, v6
	v_mov_b32_e32 v25, v12
	v_cmp_ne_u32_sdwa s1, v52, v36 src0_sel:BYTE_3 src1_sel:DWORD
	v_mov_b32_e32 v24, v11
	s_and_saveexec_b32 s13, s1
	s_cbranch_execz .LBB199_260
; %bb.255:                              ;   in Loop: Header=BB199_161 Depth=1
	v_mov_b32_e32 v13, v6
	v_mov_b32_e32 v25, v14
	v_bfe_u32 v53, v52, 24, 7
	s_mov_b32 s14, exec_lo
	v_mov_b32_e32 v24, v13
	v_cmpx_ne_u32_e32 0x7f, v53
	s_cbranch_execz .LBB199_259
; %bb.256:                              ;   in Loop: Header=BB199_161 Depth=1
	v_and_b32_sdwa v5, v52, v39 dst_sel:DWORD dst_unused:UNUSED_PAD src0_sel:BYTE_3 src1_sel:DWORD
	v_lshrrev_b32_e32 v11, 3, v53
	s_mov_b32 s16, exec_lo
	v_cmpx_gt_u32_e32 8, v53
; %bb.257:                              ;   in Loop: Header=BB199_161 Depth=1
	v_ffbh_u32_e32 v11, v5
	v_min_u32_e32 v11, 32, v11
	v_subrev_nc_u32_e32 v13, 28, v11
	v_sub_nc_u32_e32 v11, 29, v11
	v_lshlrev_b64 v[24:25], v13, v[5:6]
	v_and_b32_e32 v5, 7, v24
; %bb.258:                              ;   in Loop: Header=BB199_161 Depth=1
	s_or_b32 exec_lo, exec_lo, s16
	v_lshlrev_b32_sdwa v13, v40, v52 dst_sel:DWORD dst_unused:UNUSED_PAD src0_sel:DWORD src1_sel:BYTE_3
	v_lshlrev_b32_e32 v5, 20, v5
	v_lshl_add_u32 v11, v11, 23, 0x3c000000
	v_mov_b32_e32 v24, v6
	v_and_b32_e32 v13, 0x80000000, v13
	v_or3_b32 v25, v5, v13, v11
.LBB199_259:                            ;   in Loop: Header=BB199_161 Depth=1
	s_or_b32 exec_lo, exec_lo, s14
.LBB199_260:                            ;   in Loop: Header=BB199_161 Depth=1
	s_or_b32 exec_lo, exec_lo, s13
.LBB199_261:                            ;   in Loop: Header=BB199_161 Depth=1
	s_or_b32 exec_lo, exec_lo, s9
	v_or_b32_e32 v5, v21, v19
	v_or_b32_e32 v11, v20, v18
	;; [unrolled: 1-line block ×4, first 2 shown]
	v_mul_f32_e32 v52, s8, v5
	v_mul_f32_e32 v53, s4, v11
	;; [unrolled: 1-line block ×4, first 2 shown]
	s_and_saveexec_b32 s9, vcc_lo
	s_cbranch_execz .LBB199_263
; %bb.262:                              ;   in Loop: Header=BB199_161 Depth=1
	v_cmp_gt_i32_e64 s1, s27, v45
	v_cndmask_b32_e64 v53, 0, v53, s1
	v_cmp_gt_i32_e64 s1, s27, v47
	v_cndmask_b32_e64 v52, 0, v52, s1
	;; [unrolled: 2-line block ×4, first 2 shown]
.LBB199_263:                            ;   in Loop: Header=BB199_161 Depth=1
	s_or_b32 exec_lo, exec_lo, s9
	global_load_dword v54, v[15:16], off offset:384
	v_mov_b32_e32 v18, 0
	v_mov_b32_e32 v15, 0
	;; [unrolled: 1-line block ×4, first 2 shown]
	s_waitcnt vmcnt(0)
	v_cmp_ne_u16_sdwa s1, v54, v6 src0_sel:BYTE_0 src1_sel:DWORD
	s_and_saveexec_b32 s9, s1
	s_cbranch_execz .LBB199_271
; %bb.264:                              ;   in Loop: Header=BB199_161 Depth=1
	v_bfrev_b32_e32 v15, 1
	v_mov_b32_e32 v16, 0
	v_cmp_ne_u16_sdwa s1, v54, v36 src0_sel:BYTE_0 src1_sel:DWORD
	s_and_saveexec_b32 s13, s1
	s_cbranch_execz .LBB199_270
; %bb.265:                              ;   in Loop: Header=BB199_161 Depth=1
	v_mov_b32_e32 v15, 0x7f800001
	v_and_b32_e32 v13, 0x7f, v54
	v_mov_b32_e32 v16, 0
	s_mov_b32 s14, exec_lo
	v_cmpx_ne_u32_e32 0x7f, v13
	s_cbranch_execz .LBB199_269
; %bb.266:                              ;   in Loop: Header=BB199_161 Depth=1
	v_and_b32_e32 v5, 7, v54
	v_lshrrev_b32_e32 v11, 3, v13
	s_mov_b32 s16, exec_lo
	v_cmpx_gt_u32_e32 8, v13
; %bb.267:                              ;   in Loop: Header=BB199_161 Depth=1
	v_ffbh_u32_e32 v11, v5
	v_min_u32_e32 v11, 32, v11
	v_subrev_nc_u32_e32 v13, 28, v11
	v_sub_nc_u32_e32 v11, 29, v11
	v_lshlrev_b64 v[15:16], v13, v[5:6]
	v_and_b32_e32 v5, 7, v15
; %bb.268:                              ;   in Loop: Header=BB199_161 Depth=1
	s_or_b32 exec_lo, exec_lo, s16
	v_lshlrev_b32_e32 v13, 24, v54
	v_lshlrev_b32_e32 v5, 20, v5
	v_lshl_add_u32 v11, v11, 23, 0x3c000000
	v_and_b32_e32 v13, 0x80000000, v13
	v_or3_b32 v5, v5, v13, v11
	v_mov_b32_e32 v16, v6
	v_mov_b32_e32 v15, v5
.LBB199_269:                            ;   in Loop: Header=BB199_161 Depth=1
	s_or_b32 exec_lo, exec_lo, s14
.LBB199_270:                            ;   in Loop: Header=BB199_161 Depth=1
	s_or_b32 exec_lo, exec_lo, s13
.LBB199_271:                            ;   in Loop: Header=BB199_161 Depth=1
	s_or_b32 exec_lo, exec_lo, s9
	v_cmp_ne_u16_sdwa s1, v54, v6 src0_sel:BYTE_1 src1_sel:DWORD
	s_and_saveexec_b32 s9, s1
	s_cbranch_execz .LBB199_279
; %bb.272:                              ;   in Loop: Header=BB199_161 Depth=1
	v_mov_b32_e32 v11, v6
	v_mov_b32_e32 v19, v12
	v_cmp_ne_u16_sdwa s1, v54, v36 src0_sel:BYTE_1 src1_sel:DWORD
	v_mov_b32_e32 v18, v11
	s_and_saveexec_b32 s13, s1
	s_cbranch_execz .LBB199_278
; %bb.273:                              ;   in Loop: Header=BB199_161 Depth=1
	v_and_b32_sdwa v5, v37, v54 dst_sel:DWORD dst_unused:UNUSED_PAD src0_sel:DWORD src1_sel:BYTE_1
	v_mov_b32_e32 v13, v6
	v_mov_b32_e32 v19, v14
	s_mov_b32 s14, exec_lo
	v_and_b32_e32 v20, 0x7f, v5
	v_mov_b32_e32 v18, v13
	v_cmpx_ne_u32_e32 0x7f, v20
	s_cbranch_execz .LBB199_277
; %bb.274:                              ;   in Loop: Header=BB199_161 Depth=1
	v_and_b32_e32 v5, 7, v5
	v_lshrrev_b32_e32 v11, 3, v20
	s_mov_b32 s16, exec_lo
	v_cmpx_gt_u32_e32 8, v20
; %bb.275:                              ;   in Loop: Header=BB199_161 Depth=1
	v_ffbh_u32_e32 v11, v5
	v_min_u32_e32 v11, 32, v11
	v_subrev_nc_u32_e32 v13, 28, v11
	v_sub_nc_u32_e32 v11, 29, v11
	v_lshlrev_b64 v[18:19], v13, v[5:6]
	v_and_b32_e32 v5, 7, v18
; %bb.276:                              ;   in Loop: Header=BB199_161 Depth=1
	s_or_b32 exec_lo, exec_lo, s16
	v_lshlrev_b32_e32 v13, 16, v54
	v_lshlrev_b32_e32 v5, 20, v5
	v_lshl_add_u32 v11, v11, 23, 0x3c000000
	v_mov_b32_e32 v18, v6
	v_and_b32_e32 v13, 0x80000000, v13
	v_or3_b32 v19, v5, v13, v11
.LBB199_277:                            ;   in Loop: Header=BB199_161 Depth=1
	s_or_b32 exec_lo, exec_lo, s14
.LBB199_278:                            ;   in Loop: Header=BB199_161 Depth=1
	s_or_b32 exec_lo, exec_lo, s13
.LBB199_279:                            ;   in Loop: Header=BB199_161 Depth=1
	s_or_b32 exec_lo, exec_lo, s9
	v_mov_b32_e32 v22, 0
	v_mov_b32_e32 v20, 0
	v_and_b32_sdwa v5, v54, v38 dst_sel:DWORD dst_unused:UNUSED_PAD src0_sel:WORD_1 src1_sel:DWORD
	v_mov_b32_e32 v23, 0
	v_mov_b32_e32 v21, 0
	s_mov_b32 s9, exec_lo
	v_cmpx_ne_u16_e32 0, v5
	s_cbranch_execz .LBB199_287
; %bb.280:                              ;   in Loop: Header=BB199_161 Depth=1
	v_bfrev_b32_e32 v20, 1
	v_mov_b32_e32 v21, 0
	s_mov_b32 s13, exec_lo
	v_cmpx_ne_u16_e32 0x80, v5
	s_cbranch_execz .LBB199_286
; %bb.281:                              ;   in Loop: Header=BB199_161 Depth=1
	v_mov_b32_e32 v20, 0x7f800001
	v_bfe_u32 v13, v54, 16, 7
	v_mov_b32_e32 v21, 0
	s_mov_b32 s14, exec_lo
	v_cmpx_ne_u32_e32 0x7f, v13
	s_cbranch_execz .LBB199_285
; %bb.282:                              ;   in Loop: Header=BB199_161 Depth=1
	v_and_b32_sdwa v5, v54, v39 dst_sel:DWORD dst_unused:UNUSED_PAD src0_sel:WORD_1 src1_sel:DWORD
	v_lshrrev_b32_e32 v11, 3, v13
	s_mov_b32 s16, exec_lo
	v_cmpx_gt_u32_e32 8, v13
; %bb.283:                              ;   in Loop: Header=BB199_161 Depth=1
	v_ffbh_u32_e32 v11, v5
	v_min_u32_e32 v11, 32, v11
	v_subrev_nc_u32_e32 v13, 28, v11
	v_sub_nc_u32_e32 v11, 29, v11
	v_lshlrev_b64 v[20:21], v13, v[5:6]
	v_and_b32_e32 v5, 7, v20
; %bb.284:                              ;   in Loop: Header=BB199_161 Depth=1
	s_or_b32 exec_lo, exec_lo, s16
	v_lshlrev_b32_sdwa v13, v40, v54 dst_sel:DWORD dst_unused:UNUSED_PAD src0_sel:DWORD src1_sel:WORD_1
	v_lshlrev_b32_e32 v5, 20, v5
	v_lshl_add_u32 v11, v11, 23, 0x3c000000
	v_and_b32_e32 v13, 0x80000000, v13
	v_or3_b32 v5, v5, v13, v11
	v_mov_b32_e32 v21, v6
	v_mov_b32_e32 v20, v5
.LBB199_285:                            ;   in Loop: Header=BB199_161 Depth=1
	s_or_b32 exec_lo, exec_lo, s14
.LBB199_286:                            ;   in Loop: Header=BB199_161 Depth=1
	s_or_b32 exec_lo, exec_lo, s13
.LBB199_287:                            ;   in Loop: Header=BB199_161 Depth=1
	s_or_b32 exec_lo, exec_lo, s9
	s_mov_b32 s9, exec_lo
	v_cmpx_lt_u32_e32 0xffffff, v54
	s_cbranch_execz .LBB199_295
; %bb.288:                              ;   in Loop: Header=BB199_161 Depth=1
	v_mov_b32_e32 v11, v6
	v_mov_b32_e32 v23, v12
	v_cmp_ne_u32_sdwa s1, v54, v36 src0_sel:BYTE_3 src1_sel:DWORD
	v_mov_b32_e32 v22, v11
	s_and_saveexec_b32 s13, s1
	s_cbranch_execz .LBB199_294
; %bb.289:                              ;   in Loop: Header=BB199_161 Depth=1
	v_mov_b32_e32 v13, v6
	v_mov_b32_e32 v23, v14
	v_bfe_u32 v55, v54, 24, 7
	s_mov_b32 s14, exec_lo
	v_mov_b32_e32 v22, v13
	v_cmpx_ne_u32_e32 0x7f, v55
	s_cbranch_execz .LBB199_293
; %bb.290:                              ;   in Loop: Header=BB199_161 Depth=1
	v_and_b32_sdwa v5, v54, v39 dst_sel:DWORD dst_unused:UNUSED_PAD src0_sel:BYTE_3 src1_sel:DWORD
	v_lshrrev_b32_e32 v11, 3, v55
	s_mov_b32 s16, exec_lo
	v_cmpx_gt_u32_e32 8, v55
; %bb.291:                              ;   in Loop: Header=BB199_161 Depth=1
	v_ffbh_u32_e32 v11, v5
	v_min_u32_e32 v11, 32, v11
	v_subrev_nc_u32_e32 v13, 28, v11
	v_sub_nc_u32_e32 v11, 29, v11
	v_lshlrev_b64 v[22:23], v13, v[5:6]
	v_and_b32_e32 v5, 7, v22
; %bb.292:                              ;   in Loop: Header=BB199_161 Depth=1
	s_or_b32 exec_lo, exec_lo, s16
	v_lshlrev_b32_sdwa v13, v40, v54 dst_sel:DWORD dst_unused:UNUSED_PAD src0_sel:DWORD src1_sel:BYTE_3
	v_lshlrev_b32_e32 v5, 20, v5
	v_lshl_add_u32 v11, v11, 23, 0x3c000000
	v_mov_b32_e32 v22, v6
	v_and_b32_e32 v13, 0x80000000, v13
	v_or3_b32 v23, v5, v13, v11
.LBB199_293:                            ;   in Loop: Header=BB199_161 Depth=1
	s_or_b32 exec_lo, exec_lo, s14
.LBB199_294:                            ;   in Loop: Header=BB199_161 Depth=1
	s_or_b32 exec_lo, exec_lo, s13
.LBB199_295:                            ;   in Loop: Header=BB199_161 Depth=1
	s_or_b32 exec_lo, exec_lo, s9
	v_or_b32_e32 v5, v19, v16
	v_or_b32_e32 v11, v18, v15
	;; [unrolled: 1-line block ×4, first 2 shown]
	v_mul_f32_e32 v13, s8, v5
	v_mul_f32_e32 v15, s4, v11
	v_mul_f32_e32 v11, s4, v16
	v_mul_f32_e32 v5, s8, v18
	s_and_saveexec_b32 s1, vcc_lo
	s_cbranch_execz .LBB199_160
; %bb.296:                              ;   in Loop: Header=BB199_161 Depth=1
	v_cmp_gt_i32_e32 vcc_lo, s27, v45
	v_cndmask_b32_e32 v15, 0, v15, vcc_lo
	v_cmp_gt_i32_e32 vcc_lo, s27, v47
	v_cndmask_b32_e32 v13, 0, v13, vcc_lo
	;; [unrolled: 2-line block ×4, first 2 shown]
	s_branch .LBB199_160
.LBB199_297:
	s_or_b32 exec_lo, exec_lo, s6
.LBB199_298:
	s_or_b32 exec_lo, exec_lo, s3
	ds_bpermute_b32 v1, v29, v32
	ds_bpermute_b32 v2, v29, v34
	;; [unrolled: 1-line block ×4, first 2 shown]
	v_lshrrev_b32_e32 v5, 1, v26
	v_lshlrev_b32_e32 v7, 8, v27
	v_and_b32_e32 v8, 0x3c1, v0
	s_mov_b32 s1, exec_lo
	s_waitcnt lgkmcnt(0)
	s_waitcnt_vscnt null, 0x0
	v_lshl_add_u32 v6, v5, 2, 0x120
	s_barrier
	buffer_gl0_inv
	v_add_f32_e32 v1, v32, v1
	v_add_f32_e32 v2, v34, v2
	;; [unrolled: 1-line block ×4, first 2 shown]
	v_cmpx_eq_u32_e32 64, v8
	s_cbranch_execz .LBB199_300
; %bb.299:
	v_add_nc_u32_e32 v8, v6, v7
	v_add_nc_u32_e32 v9, 0xfffffe00, v8
	;; [unrolled: 1-line block ×5, first 2 shown]
	ds_write_b32 v9, v1
	ds_write_b32 v10, v2
	;; [unrolled: 1-line block ×4, first 2 shown]
.LBB199_300:
	s_or_b32 exec_lo, exec_lo, s1
	v_lshlrev_b32_e32 v5, 2, v5
	v_cmp_eq_u32_e32 vcc_lo, 0, v30
	s_waitcnt lgkmcnt(0)
	s_barrier
	buffer_gl0_inv
	v_add3_u32 v5, 0x120, v7, v5
	s_and_saveexec_b32 s1, s0
	s_cbranch_execz .LBB199_307
; %bb.301:
	s_and_saveexec_b32 s0, vcc_lo
	s_cbranch_execnz .LBB199_319
; %bb.302:
	s_or_b32 exec_lo, exec_lo, s0
	s_and_saveexec_b32 s0, vcc_lo
	s_cbranch_execnz .LBB199_320
.LBB199_303:
	s_or_b32 exec_lo, exec_lo, s0
	s_and_saveexec_b32 s0, vcc_lo
	s_cbranch_execnz .LBB199_321
.LBB199_304:
	s_or_b32 exec_lo, exec_lo, s0
	s_and_saveexec_b32 s0, vcc_lo
	s_cbranch_execz .LBB199_306
.LBB199_305:
	ds_read_b32 v7, v5 offset:192
	s_waitcnt lgkmcnt(0)
	v_add_f32_e32 v4, v4, v7
.LBB199_306:
	s_or_b32 exec_lo, exec_lo, s0
.LBB199_307:
	s_or_b32 exec_lo, exec_lo, s1
	v_and_b32_e32 v7, 0x3e1, v0
	s_mov_b32 s1, exec_lo
	s_barrier
	buffer_gl0_inv
	v_cmpx_eq_u32_e32 32, v7
	s_cbranch_execz .LBB199_309
; %bb.308:
	ds_write2_b32 v6, v1, v2 offset1:16
	ds_write2_b32 v6, v3, v4 offset0:32 offset1:48
.LBB199_309:
	s_or_b32 exec_lo, exec_lo, s1
	s_mov_b32 s1, exec_lo
	s_waitcnt lgkmcnt(0)
	s_barrier
	buffer_gl0_inv
	v_cmpx_gt_u32_e32 32, v0
	s_cbranch_execz .LBB199_316
; %bb.310:
	s_and_saveexec_b32 s0, vcc_lo
	s_cbranch_execnz .LBB199_322
; %bb.311:
	s_or_b32 exec_lo, exec_lo, s0
	s_and_saveexec_b32 s0, vcc_lo
	s_cbranch_execnz .LBB199_323
.LBB199_312:
	s_or_b32 exec_lo, exec_lo, s0
	s_and_saveexec_b32 s0, vcc_lo
	s_cbranch_execnz .LBB199_324
.LBB199_313:
	s_or_b32 exec_lo, exec_lo, s0
	s_and_saveexec_b32 s0, vcc_lo
	s_cbranch_execz .LBB199_315
.LBB199_314:
	ds_read_b32 v5, v5 offset:192
	s_waitcnt lgkmcnt(0)
	v_add_f32_e32 v4, v4, v5
.LBB199_315:
	s_or_b32 exec_lo, exec_lo, s0
.LBB199_316:
	s_or_b32 exec_lo, exec_lo, s1
	s_barrier
	buffer_gl0_inv
	s_mov_b32 s0, exec_lo
	v_cmpx_eq_u32_e32 0, v7
	s_cbranch_execz .LBB199_318
; %bb.317:
	s_lshl_b32 s0, s2, 6
	s_mul_i32 s2, s7, s10
	s_ashr_i32 s1, s0, 31
	v_lshlrev_b32_e32 v0, 1, v0
	s_lshl_b64 s[0:1], s[0:1], 2
	s_add_u32 s4, s24, s0
	s_addc_u32 s5, s25, s1
	s_ashr_i32 s3, s2, 31
	s_lshl_b64 s[0:1], s[2:3], 2
	s_add_u32 s2, s4, s0
	s_addc_u32 s3, s5, s1
	s_ashr_i32 s13, s12, 31
	s_lshl_b64 s[0:1], s[12:13], 2
	s_add_u32 s0, s2, s0
	s_addc_u32 s1, s3, s1
	global_store_dword v0, v1, s[0:1]
	global_store_dword v0, v2, s[0:1] offset:64
	global_store_dword v0, v3, s[0:1] offset:128
	;; [unrolled: 1-line block ×3, first 2 shown]
.LBB199_318:
	s_endpgm
.LBB199_319:
	ds_read_b32 v7, v5
	s_waitcnt lgkmcnt(0)
	v_add_f32_e32 v1, v1, v7
	s_or_b32 exec_lo, exec_lo, s0
	s_and_saveexec_b32 s0, vcc_lo
	s_cbranch_execz .LBB199_303
.LBB199_320:
	ds_read_b32 v7, v5 offset:64
	s_waitcnt lgkmcnt(0)
	v_add_f32_e32 v2, v2, v7
	s_or_b32 exec_lo, exec_lo, s0
	s_and_saveexec_b32 s0, vcc_lo
	s_cbranch_execz .LBB199_304
.LBB199_321:
	ds_read_b32 v7, v5 offset:128
	s_waitcnt lgkmcnt(0)
	v_add_f32_e32 v3, v3, v7
	s_or_b32 exec_lo, exec_lo, s0
	s_and_saveexec_b32 s0, vcc_lo
	s_cbranch_execnz .LBB199_305
	s_branch .LBB199_306
.LBB199_322:
	ds_read_b32 v6, v5
	s_waitcnt lgkmcnt(0)
	v_add_f32_e32 v1, v1, v6
	s_or_b32 exec_lo, exec_lo, s0
	s_and_saveexec_b32 s0, vcc_lo
	s_cbranch_execz .LBB199_312
.LBB199_323:
	ds_read_b32 v6, v5 offset:64
	s_waitcnt lgkmcnt(0)
	v_add_f32_e32 v2, v2, v6
	s_or_b32 exec_lo, exec_lo, s0
	s_and_saveexec_b32 s0, vcc_lo
	s_cbranch_execz .LBB199_313
.LBB199_324:
	ds_read_b32 v6, v5 offset:128
	s_waitcnt lgkmcnt(0)
	v_add_f32_e32 v3, v3, v6
	s_or_b32 exec_lo, exec_lo, s0
	s_and_saveexec_b32 s0, vcc_lo
	s_cbranch_execnz .LBB199_314
	s_branch .LBB199_315
	.section	.rodata,"a",@progbits
	.p2align	6, 0x0
	.amdhsa_kernel _ZN4vllm25paged_attention_v2_kernelIfhLi64ELi8ELi128ELNS_18Fp8KVCacheDataTypeE1ELb0ELi512EEEvPfS2_PT_PKS3_PKT0_S9_ifPKiSB_iPKfiiiSD_SD_iiiii
		.amdhsa_group_segment_fixed_size 288
		.amdhsa_private_segment_fixed_size 0
		.amdhsa_kernarg_size 400
		.amdhsa_user_sgpr_count 6
		.amdhsa_user_sgpr_private_segment_buffer 1
		.amdhsa_user_sgpr_dispatch_ptr 0
		.amdhsa_user_sgpr_queue_ptr 0
		.amdhsa_user_sgpr_kernarg_segment_ptr 1
		.amdhsa_user_sgpr_dispatch_id 0
		.amdhsa_user_sgpr_flat_scratch_init 0
		.amdhsa_user_sgpr_private_segment_size 0
		.amdhsa_wavefront_size32 1
		.amdhsa_uses_dynamic_stack 0
		.amdhsa_system_sgpr_private_segment_wavefront_offset 0
		.amdhsa_system_sgpr_workgroup_id_x 1
		.amdhsa_system_sgpr_workgroup_id_y 1
		.amdhsa_system_sgpr_workgroup_id_z 1
		.amdhsa_system_sgpr_workgroup_info 0
		.amdhsa_system_vgpr_workitem_id 0
		.amdhsa_next_free_vgpr 58
		.amdhsa_next_free_sgpr 43
		.amdhsa_reserve_vcc 1
		.amdhsa_reserve_flat_scratch 0
		.amdhsa_float_round_mode_32 0
		.amdhsa_float_round_mode_16_64 0
		.amdhsa_float_denorm_mode_32 3
		.amdhsa_float_denorm_mode_16_64 3
		.amdhsa_dx10_clamp 1
		.amdhsa_ieee_mode 1
		.amdhsa_fp16_overflow 0
		.amdhsa_workgroup_processor_mode 1
		.amdhsa_memory_ordered 1
		.amdhsa_forward_progress 1
		.amdhsa_shared_vgpr_count 0
		.amdhsa_exception_fp_ieee_invalid_op 0
		.amdhsa_exception_fp_denorm_src 0
		.amdhsa_exception_fp_ieee_div_zero 0
		.amdhsa_exception_fp_ieee_overflow 0
		.amdhsa_exception_fp_ieee_underflow 0
		.amdhsa_exception_fp_ieee_inexact 0
		.amdhsa_exception_int_div_zero 0
	.end_amdhsa_kernel
	.section	.text._ZN4vllm25paged_attention_v2_kernelIfhLi64ELi8ELi128ELNS_18Fp8KVCacheDataTypeE1ELb0ELi512EEEvPfS2_PT_PKS3_PKT0_S9_ifPKiSB_iPKfiiiSD_SD_iiiii,"axG",@progbits,_ZN4vllm25paged_attention_v2_kernelIfhLi64ELi8ELi128ELNS_18Fp8KVCacheDataTypeE1ELb0ELi512EEEvPfS2_PT_PKS3_PKT0_S9_ifPKiSB_iPKfiiiSD_SD_iiiii,comdat
.Lfunc_end199:
	.size	_ZN4vllm25paged_attention_v2_kernelIfhLi64ELi8ELi128ELNS_18Fp8KVCacheDataTypeE1ELb0ELi512EEEvPfS2_PT_PKS3_PKT0_S9_ifPKiSB_iPKfiiiSD_SD_iiiii, .Lfunc_end199-_ZN4vllm25paged_attention_v2_kernelIfhLi64ELi8ELi128ELNS_18Fp8KVCacheDataTypeE1ELb0ELi512EEEvPfS2_PT_PKS3_PKT0_S9_ifPKiSB_iPKfiiiSD_SD_iiiii
                                        ; -- End function
	.set _ZN4vllm25paged_attention_v2_kernelIfhLi64ELi8ELi128ELNS_18Fp8KVCacheDataTypeE1ELb0ELi512EEEvPfS2_PT_PKS3_PKT0_S9_ifPKiSB_iPKfiiiSD_SD_iiiii.num_vgpr, 58
	.set _ZN4vllm25paged_attention_v2_kernelIfhLi64ELi8ELi128ELNS_18Fp8KVCacheDataTypeE1ELb0ELi512EEEvPfS2_PT_PKS3_PKT0_S9_ifPKiSB_iPKfiiiSD_SD_iiiii.num_agpr, 0
	.set _ZN4vllm25paged_attention_v2_kernelIfhLi64ELi8ELi128ELNS_18Fp8KVCacheDataTypeE1ELb0ELi512EEEvPfS2_PT_PKS3_PKT0_S9_ifPKiSB_iPKfiiiSD_SD_iiiii.numbered_sgpr, 43
	.set _ZN4vllm25paged_attention_v2_kernelIfhLi64ELi8ELi128ELNS_18Fp8KVCacheDataTypeE1ELb0ELi512EEEvPfS2_PT_PKS3_PKT0_S9_ifPKiSB_iPKfiiiSD_SD_iiiii.num_named_barrier, 0
	.set _ZN4vllm25paged_attention_v2_kernelIfhLi64ELi8ELi128ELNS_18Fp8KVCacheDataTypeE1ELb0ELi512EEEvPfS2_PT_PKS3_PKT0_S9_ifPKiSB_iPKfiiiSD_SD_iiiii.private_seg_size, 0
	.set _ZN4vllm25paged_attention_v2_kernelIfhLi64ELi8ELi128ELNS_18Fp8KVCacheDataTypeE1ELb0ELi512EEEvPfS2_PT_PKS3_PKT0_S9_ifPKiSB_iPKfiiiSD_SD_iiiii.uses_vcc, 1
	.set _ZN4vllm25paged_attention_v2_kernelIfhLi64ELi8ELi128ELNS_18Fp8KVCacheDataTypeE1ELb0ELi512EEEvPfS2_PT_PKS3_PKT0_S9_ifPKiSB_iPKfiiiSD_SD_iiiii.uses_flat_scratch, 0
	.set _ZN4vllm25paged_attention_v2_kernelIfhLi64ELi8ELi128ELNS_18Fp8KVCacheDataTypeE1ELb0ELi512EEEvPfS2_PT_PKS3_PKT0_S9_ifPKiSB_iPKfiiiSD_SD_iiiii.has_dyn_sized_stack, 0
	.set _ZN4vllm25paged_attention_v2_kernelIfhLi64ELi8ELi128ELNS_18Fp8KVCacheDataTypeE1ELb0ELi512EEEvPfS2_PT_PKS3_PKT0_S9_ifPKiSB_iPKfiiiSD_SD_iiiii.has_recursion, 0
	.set _ZN4vllm25paged_attention_v2_kernelIfhLi64ELi8ELi128ELNS_18Fp8KVCacheDataTypeE1ELb0ELi512EEEvPfS2_PT_PKS3_PKT0_S9_ifPKiSB_iPKfiiiSD_SD_iiiii.has_indirect_call, 0
	.section	.AMDGPU.csdata,"",@progbits
; Kernel info:
; codeLenInByte = 9836
; TotalNumSgprs: 45
; NumVgprs: 58
; ScratchSize: 0
; MemoryBound: 0
; FloatMode: 240
; IeeeMode: 1
; LDSByteSize: 288 bytes/workgroup (compile time only)
; SGPRBlocks: 0
; VGPRBlocks: 7
; NumSGPRsForWavesPerEU: 45
; NumVGPRsForWavesPerEU: 58
; Occupancy: 16
; WaveLimiterHint : 1
; COMPUTE_PGM_RSRC2:SCRATCH_EN: 0
; COMPUTE_PGM_RSRC2:USER_SGPR: 6
; COMPUTE_PGM_RSRC2:TRAP_HANDLER: 0
; COMPUTE_PGM_RSRC2:TGID_X_EN: 1
; COMPUTE_PGM_RSRC2:TGID_Y_EN: 1
; COMPUTE_PGM_RSRC2:TGID_Z_EN: 1
; COMPUTE_PGM_RSRC2:TIDIG_COMP_CNT: 0
	.section	.text._ZN4vllm25paged_attention_v2_kernelIfhLi80ELi8ELi128ELNS_18Fp8KVCacheDataTypeE1ELb0ELi512EEEvPfS2_PT_PKS3_PKT0_S9_ifPKiSB_iPKfiiiSD_SD_iiiii,"axG",@progbits,_ZN4vllm25paged_attention_v2_kernelIfhLi80ELi8ELi128ELNS_18Fp8KVCacheDataTypeE1ELb0ELi512EEEvPfS2_PT_PKS3_PKT0_S9_ifPKiSB_iPKfiiiSD_SD_iiiii,comdat
	.protected	_ZN4vllm25paged_attention_v2_kernelIfhLi80ELi8ELi128ELNS_18Fp8KVCacheDataTypeE1ELb0ELi512EEEvPfS2_PT_PKS3_PKT0_S9_ifPKiSB_iPKfiiiSD_SD_iiiii ; -- Begin function _ZN4vllm25paged_attention_v2_kernelIfhLi80ELi8ELi128ELNS_18Fp8KVCacheDataTypeE1ELb0ELi512EEEvPfS2_PT_PKS3_PKT0_S9_ifPKiSB_iPKfiiiSD_SD_iiiii
	.globl	_ZN4vllm25paged_attention_v2_kernelIfhLi80ELi8ELi128ELNS_18Fp8KVCacheDataTypeE1ELb0ELi512EEEvPfS2_PT_PKS3_PKT0_S9_ifPKiSB_iPKfiiiSD_SD_iiiii
	.p2align	8
	.type	_ZN4vllm25paged_attention_v2_kernelIfhLi80ELi8ELi128ELNS_18Fp8KVCacheDataTypeE1ELb0ELi512EEEvPfS2_PT_PKS3_PKT0_S9_ifPKiSB_iPKfiiiSD_SD_iiiii,@function
_ZN4vllm25paged_attention_v2_kernelIfhLi80ELi8ELi128ELNS_18Fp8KVCacheDataTypeE1ELb0ELi512EEEvPfS2_PT_PKS3_PKT0_S9_ifPKiSB_iPKfiiiSD_SD_iiiii: ; @_ZN4vllm25paged_attention_v2_kernelIfhLi80ELi8ELi128ELNS_18Fp8KVCacheDataTypeE1ELb0ELi512EEEvPfS2_PT_PKS3_PKT0_S9_ifPKiSB_iPKfiiiSD_SD_iiiii
; %bb.0:
	s_load_dwordx2 s[0:1], s[4:5], 0x40
	s_mov_b32 s26, s7
	s_ashr_i32 s27, s7, 31
	s_lshl_b64 s[2:3], s[26:27], 2
	s_waitcnt lgkmcnt(0)
	s_add_u32 s0, s0, s2
	s_addc_u32 s1, s1, s3
	s_lshl_b32 s33, s8, 9
	s_load_dword s27, s[0:1], 0x0
	s_waitcnt lgkmcnt(0)
	s_cmp_ge_i32 s33, s27
	s_cbranch_scc1 .LBB200_386
; %bb.1:
	s_clause 0x1
	s_load_dword s9, s[4:5], 0x90
	s_load_dwordx2 s[36:37], s[4:5], 0x30
	s_waitcnt lgkmcnt(0)
	s_abs_i32 s3, s9
	s_abs_i32 s0, s36
	v_cvt_f32_u32_e32 v1, s0
	s_sub_i32 s2, 0, s0
	v_rcp_iflag_f32_e32 v1, v1
	v_mul_f32_e32 v1, 0x4f7ffffe, v1
	v_cvt_u32_f32_e32 v1, v1
	v_readfirstlane_b32 s1, v1
	s_mul_i32 s2, s2, s1
	s_mul_hi_u32 s2, s1, s2
	s_add_i32 s1, s1, s2
	s_xor_b32 s2, s9, s36
	s_mul_hi_u32 s1, s3, s1
	s_ashr_i32 s2, s2, 31
	s_mul_i32 s7, s1, s0
	s_mov_b32 s36, 0
	s_sub_i32 s3, s3, s7
	s_add_i32 s7, s1, 1
	s_sub_i32 s10, s3, s0
	s_cmp_ge_u32 s3, s0
	s_cselect_b32 s1, s7, s1
	s_cselect_b32 s3, s10, s3
	s_add_i32 s7, s1, 1
	s_cmp_ge_u32 s3, s0
	s_cselect_b32 s0, s7, s1
	s_abs_i32 s16, s6
	s_xor_b32 s0, s0, s2
	s_sub_i32 s10, s0, s2
	s_load_dwordx2 s[0:1], s[4:5], 0x50
	s_abs_i32 s2, s10
	v_cvt_f32_u32_e32 v1, s2
	s_sub_i32 s7, 0, s2
	v_rcp_iflag_f32_e32 v1, v1
	v_mul_f32_e32 v1, 0x4f7ffffe, v1
	v_cvt_u32_f32_e32 v1, v1
	v_readfirstlane_b32 s3, v1
	s_mul_i32 s7, s7, s3
	s_mul_hi_u32 s7, s3, s7
	s_add_i32 s3, s3, s7
	s_waitcnt lgkmcnt(0)
	s_cmp_eq_u64 s[0:1], 0
	s_mul_hi_u32 s3, s16, s3
	s_cbranch_scc1 .LBB200_3
; %bb.2:
	s_ashr_i32 s7, s6, 31
	s_lshl_b64 s[12:13], s[6:7], 2
	s_add_u32 s0, s0, s12
	s_addc_u32 s1, s1, s13
	s_load_dword s36, s[0:1], 0x0
.LBB200_3:
	s_load_dwordx4 s[12:15], s[4:5], 0x58
	v_and_b32_e32 v23, 3, v0
	v_lshlrev_b32_e32 v32, 2, v0
	s_ashr_i32 s0, s6, 31
	s_ashr_i32 s1, s10, 31
	s_mul_i32 s10, s6, 0x50
	s_mov_b32 s7, exec_lo
	v_cmpx_gt_u32_e32 0x50, v0
	s_cbranch_execz .LBB200_5
; %bb.4:
	s_load_dwordx2 s[18:19], s[4:5], 0x18
	s_waitcnt lgkmcnt(0)
	s_mul_i32 s20, s12, s26
	v_and_b32_e32 v2, 0x3fc, v0
	s_ashr_i32 s21, s20, 31
	s_lshl_b64 s[20:21], s[20:21], 2
	v_mad_u32_u24 v2, 0x50, v23, v2
	s_add_u32 s12, s18, s20
	s_addc_u32 s15, s19, s21
	s_ashr_i32 s11, s10, 31
	s_lshl_b64 s[18:19], s[10:11], 2
	s_add_u32 s18, s12, s18
	s_addc_u32 s19, s15, s19
	global_load_dword v1, v32, s[18:19]
	s_waitcnt vmcnt(0)
	ds_write_b32 v2, v1
.LBB200_5:
	s_or_b32 exec_lo, exec_lo, s7
	s_add_i32 s7, s27, 7
	s_clause 0x1
	s_load_dwordx2 s[28:29], s[4:5], 0x38
	s_load_dword s17, s[4:5], 0x48
	s_ashr_i32 s11, s7, 31
	s_waitcnt lgkmcnt(0)
	s_lshl_b32 s15, s8, 6
	s_lshr_b32 s11, s11, 29
	s_xor_b32 s0, s0, s1
	s_add_i32 s7, s7, s11
	s_add_i32 s1, s15, 64
	s_ashr_i32 s12, s7, 3
	s_mul_i32 s7, s3, s2
	s_min_i32 s11, s1, s12
	s_sub_i32 s1, s16, s7
	s_add_i32 s7, s3, 1
	s_sub_i32 s16, s1, s2
	s_cmp_ge_u32 s1, s2
	v_lshrrev_b32_e32 v31, 5, v0
	s_cselect_b32 s3, s7, s3
	s_cselect_b32 s1, s16, s1
	s_add_i32 s7, s3, 1
	s_cmp_ge_u32 s1, s2
	v_or_b32_e32 v21, s15, v31
	s_cselect_b32 s1, s7, s3
	v_mbcnt_lo_u32_b32 v33, -1, 0
	s_xor_b32 s1, s1, s0
	s_mul_i32 s30, s17, s26
	s_sub_i32 s1, s1, s0
	v_cmp_gt_i32_e64 s0, s11, v21
	s_ashr_i32 s31, s30, 31
	s_mov_b32 s2, exec_lo
	s_barrier
	buffer_gl0_inv
                                        ; implicit-def: $vgpr24
                                        ; implicit-def: $vgpr34
	v_cmpx_le_i32_e64 s11, v21
	s_xor_b32 s2, exec_lo, s2
; %bb.6:
	v_mov_b32_e32 v24, 0
	v_mbcnt_lo_u32_b32 v33, -1, 0
	v_mov_b32_e32 v34, 32
                                        ; implicit-def: $vgpr23
; %bb.7:
	s_or_saveexec_b32 s38, s2
	s_clause 0x4
	s_load_dwordx4 s[20:23], s[4:5], 0x0
	s_load_dwordx2 s[24:25], s[4:5], 0x10
	s_load_dword s7, s[4:5], 0x98
	s_load_dwordx2 s[34:35], s[4:5], 0x28
	s_load_dwordx4 s[16:19], s[4:5], 0x68
	v_mov_b32_e32 v35, 0xff7fffff
	v_ashrrev_i32_e32 v22, 31, v21
	s_mul_i32 s14, s1, s14
	s_xor_b32 exec_lo, exec_lo, s38
	s_cbranch_execz .LBB200_173
; %bb.8:
	s_load_dwordx2 s[2:3], s[4:5], 0x20
	v_xor_b32_e32 v25, 2, v33
	v_bfe_u32 v27, v0, 2, 3
	v_mul_u32_u24_e32 v17, 0x50, v23
	v_xor_b32_e32 v26, 1, v33
	ds_read_b128 v[1:4], v17
	ds_read_b128 v[5:8], v17 offset:16
	ds_read_b128 v[9:12], v17 offset:32
	;; [unrolled: 1-line block ×4, first 2 shown]
	v_cmp_gt_i32_e32 vcc_lo, 32, v25
	v_lshlrev_b32_e32 v28, 4, v27
	s_ashr_i32 s1, s14, 31
	s_waitcnt lgkmcnt(0)
	s_load_dword s4, s[16:17], 0x0
	v_lshlrev_b32_e32 v30, 3, v31
	v_cndmask_b32_e32 v25, v33, v25, vcc_lo
	v_cmp_gt_i32_e32 vcc_lo, 32, v26
	v_lshlrev_b32_e32 v35, 2, v27
	v_mov_b32_e32 v24, 0
	v_add3_u32 v38, s33, v30, v27
	v_lshlrev_b32_e32 v36, 2, v25
	s_add_u32 s2, s2, s14
	s_addc_u32 s1, s3, s1
	v_add_co_u32 v28, s2, s2, v28
	v_cndmask_b32_e32 v26, v33, v26, vcc_lo
	v_add_co_ci_u32_e64 v29, null, s1, 0, s2
	v_add_co_u32 v25, s2, v28, v23
	v_lshlrev_b64 v[27:28], 2, v[21:22]
	v_lshlrev_b32_e32 v37, 2, v26
	v_add_co_ci_u32_e64 v26, null, 0, v29, s2
	s_lshl_b64 s[2:3], s[30:31], 2
	v_cmp_eq_u32_e32 vcc_lo, 0, v23
	v_lshl_or_b32 v23, v31, 5, v35
	s_sub_i32 s5, 1, s27
	s_add_u32 s2, s28, s2
	s_addc_u32 s3, s29, s3
	v_add_co_u32 v27, s2, s2, v27
	v_mov_b32_e32 v34, 32
	v_cmp_neq_f32_e64 s1, s36, 0
	v_add_nc_u32_e32 v39, 0x160, v23
	v_add_co_ci_u32_e64 v28, null, s3, v28, s2
	v_mov_b32_e32 v35, 0xff7fffff
	v_mov_b32_e32 v40, 0x7f
	;; [unrolled: 1-line block ×4, first 2 shown]
	s_mov_b32 s17, s13
	s_mov_b32 s16, 0
	s_branch .LBB200_10
.LBB200_9:                              ;   in Loop: Header=BB200_10 Depth=1
	s_or_b32 exec_lo, exec_lo, s3
	v_add_nc_u32_e32 v42, 4, v42
	v_add_co_u32 v27, s3, v27, 16
	v_add_nc_u32_e32 v38, 32, v38
	v_add_nc_u32_e32 v39, 0x80, v39
	v_cmp_le_i32_e64 s2, s11, v42
	v_add_co_ci_u32_e64 v28, null, 0, v28, s3
	s_or_b32 s16, s2, s16
	s_andn2_b32 exec_lo, exec_lo, s16
	s_cbranch_execz .LBB200_172
.LBB200_10:                             ; =>This Inner Loop Header: Depth=1
	global_load_dword v23, v[27:28], off
	v_mov_b32_e32 v43, 0
	v_mov_b32_e32 v44, 0
	s_mov_b32 s3, exec_lo
	s_waitcnt vmcnt(0) lgkmcnt(0)
	v_mad_i64_i32 v[29:30], null, v23, s17, v[25:26]
	global_load_ubyte v45, v[29:30], off
	s_waitcnt vmcnt(0)
	v_cmpx_ne_u16_e32 0, v45
	s_cbranch_execz .LBB200_18
; %bb.11:                               ;   in Loop: Header=BB200_10 Depth=1
	v_bfrev_b32_e32 v44, 1
	s_mov_b32 s39, exec_lo
	v_cmpx_ne_u16_e32 0x80, v45
	s_cbranch_execz .LBB200_17
; %bb.12:                               ;   in Loop: Header=BB200_10 Depth=1
	v_and_b32_sdwa v46, v45, v40 dst_sel:DWORD dst_unused:UNUSED_PAD src0_sel:WORD_0 src1_sel:DWORD
	v_mov_b32_e32 v44, 0x7f800001
	s_mov_b32 s40, exec_lo
	v_cmpx_ne_u32_e32 0x7f, v46
	s_cbranch_execz .LBB200_16
; %bb.13:                               ;   in Loop: Header=BB200_10 Depth=1
	v_and_b32_sdwa v23, v45, v41 dst_sel:DWORD dst_unused:UNUSED_PAD src0_sel:WORD_0 src1_sel:DWORD
	v_lshrrev_b32_e32 v44, 3, v46
	s_mov_b32 s41, exec_lo
	v_cmpx_gt_u32_e32 8, v46
; %bb.14:                               ;   in Loop: Header=BB200_10 Depth=1
	v_ffbh_u32_e32 v44, v23
	v_min_u32_e32 v44, 32, v44
	v_subrev_nc_u32_e32 v46, 28, v44
	v_sub_nc_u32_e32 v44, 29, v44
	v_lshlrev_b64 v[46:47], v46, v[23:24]
	v_and_b32_e32 v23, 7, v46
; %bb.15:                               ;   in Loop: Header=BB200_10 Depth=1
	s_or_b32 exec_lo, exec_lo, s41
	v_lshlrev_b32_e32 v45, 24, v45
	v_lshlrev_b32_e32 v23, 20, v23
	v_lshl_add_u32 v44, v44, 23, 0x3c000000
	v_and_b32_e32 v45, 0x80000000, v45
	v_or3_b32 v44, v23, v45, v44
.LBB200_16:                             ;   in Loop: Header=BB200_10 Depth=1
	s_or_b32 exec_lo, exec_lo, s40
.LBB200_17:                             ;   in Loop: Header=BB200_10 Depth=1
	s_or_b32 exec_lo, exec_lo, s39
.LBB200_18:                             ;   in Loop: Header=BB200_10 Depth=1
	s_or_b32 exec_lo, exec_lo, s3
	global_load_ubyte v45, v[29:30], off offset:4
	s_mov_b32 s3, exec_lo
	s_waitcnt vmcnt(0)
	v_cmpx_ne_u16_e32 0, v45
	s_cbranch_execz .LBB200_26
; %bb.19:                               ;   in Loop: Header=BB200_10 Depth=1
	v_bfrev_b32_e32 v43, 1
	s_mov_b32 s39, exec_lo
	v_cmpx_ne_u16_e32 0x80, v45
	s_cbranch_execz .LBB200_25
; %bb.20:                               ;   in Loop: Header=BB200_10 Depth=1
	v_and_b32_sdwa v46, v45, v40 dst_sel:DWORD dst_unused:UNUSED_PAD src0_sel:WORD_0 src1_sel:DWORD
	v_mov_b32_e32 v43, 0x7f800001
	s_mov_b32 s40, exec_lo
	v_cmpx_ne_u32_e32 0x7f, v46
	s_cbranch_execz .LBB200_24
; %bb.21:                               ;   in Loop: Header=BB200_10 Depth=1
	v_and_b32_sdwa v23, v45, v41 dst_sel:DWORD dst_unused:UNUSED_PAD src0_sel:WORD_0 src1_sel:DWORD
	v_lshrrev_b32_e32 v43, 3, v46
	s_mov_b32 s41, exec_lo
	v_cmpx_gt_u32_e32 8, v46
; %bb.22:                               ;   in Loop: Header=BB200_10 Depth=1
	v_ffbh_u32_e32 v43, v23
	v_min_u32_e32 v43, 32, v43
	v_subrev_nc_u32_e32 v46, 28, v43
	v_sub_nc_u32_e32 v43, 29, v43
	v_lshlrev_b64 v[46:47], v46, v[23:24]
	v_and_b32_e32 v23, 7, v46
; %bb.23:                               ;   in Loop: Header=BB200_10 Depth=1
	s_or_b32 exec_lo, exec_lo, s41
	v_lshlrev_b32_e32 v45, 24, v45
	v_lshlrev_b32_e32 v23, 20, v23
	v_lshl_add_u32 v43, v43, 23, 0x3c000000
	v_and_b32_e32 v45, 0x80000000, v45
	v_or3_b32 v43, v23, v45, v43
.LBB200_24:                             ;   in Loop: Header=BB200_10 Depth=1
	s_or_b32 exec_lo, exec_lo, s40
.LBB200_25:                             ;   in Loop: Header=BB200_10 Depth=1
	s_or_b32 exec_lo, exec_lo, s39
.LBB200_26:                             ;   in Loop: Header=BB200_10 Depth=1
	s_or_b32 exec_lo, exec_lo, s3
	global_load_ubyte v47, v[29:30], off offset:8
	v_mov_b32_e32 v45, 0
	v_mov_b32_e32 v46, 0
	s_mov_b32 s3, exec_lo
	s_waitcnt vmcnt(0)
	v_cmpx_ne_u16_e32 0, v47
	s_cbranch_execz .LBB200_34
; %bb.27:                               ;   in Loop: Header=BB200_10 Depth=1
	v_bfrev_b32_e32 v46, 1
	s_mov_b32 s39, exec_lo
	v_cmpx_ne_u16_e32 0x80, v47
	s_cbranch_execz .LBB200_33
; %bb.28:                               ;   in Loop: Header=BB200_10 Depth=1
	v_and_b32_sdwa v48, v47, v40 dst_sel:DWORD dst_unused:UNUSED_PAD src0_sel:WORD_0 src1_sel:DWORD
	v_mov_b32_e32 v46, 0x7f800001
	s_mov_b32 s40, exec_lo
	v_cmpx_ne_u32_e32 0x7f, v48
	s_cbranch_execz .LBB200_32
; %bb.29:                               ;   in Loop: Header=BB200_10 Depth=1
	v_and_b32_sdwa v23, v47, v41 dst_sel:DWORD dst_unused:UNUSED_PAD src0_sel:WORD_0 src1_sel:DWORD
	v_lshrrev_b32_e32 v46, 3, v48
	s_mov_b32 s41, exec_lo
	v_cmpx_gt_u32_e32 8, v48
; %bb.30:                               ;   in Loop: Header=BB200_10 Depth=1
	v_ffbh_u32_e32 v46, v23
	v_min_u32_e32 v46, 32, v46
	v_subrev_nc_u32_e32 v48, 28, v46
	v_sub_nc_u32_e32 v46, 29, v46
	v_lshlrev_b64 v[48:49], v48, v[23:24]
	v_and_b32_e32 v23, 7, v48
; %bb.31:                               ;   in Loop: Header=BB200_10 Depth=1
	s_or_b32 exec_lo, exec_lo, s41
	v_lshlrev_b32_e32 v47, 24, v47
	v_lshlrev_b32_e32 v23, 20, v23
	v_lshl_add_u32 v46, v46, 23, 0x3c000000
	v_and_b32_e32 v47, 0x80000000, v47
	v_or3_b32 v46, v23, v47, v46
.LBB200_32:                             ;   in Loop: Header=BB200_10 Depth=1
	s_or_b32 exec_lo, exec_lo, s40
.LBB200_33:                             ;   in Loop: Header=BB200_10 Depth=1
	s_or_b32 exec_lo, exec_lo, s39
.LBB200_34:                             ;   in Loop: Header=BB200_10 Depth=1
	s_or_b32 exec_lo, exec_lo, s3
	global_load_ubyte v47, v[29:30], off offset:12
	s_mov_b32 s3, exec_lo
	s_waitcnt vmcnt(0)
	v_cmpx_ne_u16_e32 0, v47
	s_cbranch_execz .LBB200_42
; %bb.35:                               ;   in Loop: Header=BB200_10 Depth=1
	v_bfrev_b32_e32 v45, 1
	s_mov_b32 s39, exec_lo
	v_cmpx_ne_u16_e32 0x80, v47
	s_cbranch_execz .LBB200_41
; %bb.36:                               ;   in Loop: Header=BB200_10 Depth=1
	v_and_b32_sdwa v48, v47, v40 dst_sel:DWORD dst_unused:UNUSED_PAD src0_sel:WORD_0 src1_sel:DWORD
	v_mov_b32_e32 v45, 0x7f800001
	s_mov_b32 s40, exec_lo
	v_cmpx_ne_u32_e32 0x7f, v48
	s_cbranch_execz .LBB200_40
; %bb.37:                               ;   in Loop: Header=BB200_10 Depth=1
	v_and_b32_sdwa v23, v47, v41 dst_sel:DWORD dst_unused:UNUSED_PAD src0_sel:WORD_0 src1_sel:DWORD
	v_lshrrev_b32_e32 v45, 3, v48
	s_mov_b32 s41, exec_lo
	v_cmpx_gt_u32_e32 8, v48
; %bb.38:                               ;   in Loop: Header=BB200_10 Depth=1
	v_ffbh_u32_e32 v45, v23
	v_min_u32_e32 v45, 32, v45
	v_subrev_nc_u32_e32 v48, 28, v45
	v_sub_nc_u32_e32 v45, 29, v45
	v_lshlrev_b64 v[48:49], v48, v[23:24]
	v_and_b32_e32 v23, 7, v48
; %bb.39:                               ;   in Loop: Header=BB200_10 Depth=1
	s_or_b32 exec_lo, exec_lo, s41
	v_lshlrev_b32_e32 v47, 24, v47
	v_lshlrev_b32_e32 v23, 20, v23
	v_lshl_add_u32 v45, v45, 23, 0x3c000000
	v_and_b32_e32 v47, 0x80000000, v47
	v_or3_b32 v45, v23, v47, v45
.LBB200_40:                             ;   in Loop: Header=BB200_10 Depth=1
	s_or_b32 exec_lo, exec_lo, s40
.LBB200_41:                             ;   in Loop: Header=BB200_10 Depth=1
	s_or_b32 exec_lo, exec_lo, s39
.LBB200_42:                             ;   in Loop: Header=BB200_10 Depth=1
	s_or_b32 exec_lo, exec_lo, s3
	global_load_ubyte v49, v[29:30], off offset:128
	v_mov_b32_e32 v47, 0
	v_mov_b32_e32 v48, 0
	s_mov_b32 s3, exec_lo
	s_waitcnt vmcnt(0)
	v_cmpx_ne_u16_e32 0, v49
	s_cbranch_execz .LBB200_50
; %bb.43:                               ;   in Loop: Header=BB200_10 Depth=1
	v_bfrev_b32_e32 v48, 1
	s_mov_b32 s39, exec_lo
	v_cmpx_ne_u16_e32 0x80, v49
	s_cbranch_execz .LBB200_49
; %bb.44:                               ;   in Loop: Header=BB200_10 Depth=1
	v_and_b32_sdwa v50, v49, v40 dst_sel:DWORD dst_unused:UNUSED_PAD src0_sel:WORD_0 src1_sel:DWORD
	v_mov_b32_e32 v48, 0x7f800001
	s_mov_b32 s40, exec_lo
	v_cmpx_ne_u32_e32 0x7f, v50
	s_cbranch_execz .LBB200_48
; %bb.45:                               ;   in Loop: Header=BB200_10 Depth=1
	v_and_b32_sdwa v23, v49, v41 dst_sel:DWORD dst_unused:UNUSED_PAD src0_sel:WORD_0 src1_sel:DWORD
	v_lshrrev_b32_e32 v48, 3, v50
	s_mov_b32 s41, exec_lo
	v_cmpx_gt_u32_e32 8, v50
; %bb.46:                               ;   in Loop: Header=BB200_10 Depth=1
	v_ffbh_u32_e32 v48, v23
	v_min_u32_e32 v48, 32, v48
	v_subrev_nc_u32_e32 v50, 28, v48
	v_sub_nc_u32_e32 v48, 29, v48
	v_lshlrev_b64 v[50:51], v50, v[23:24]
	v_and_b32_e32 v23, 7, v50
; %bb.47:                               ;   in Loop: Header=BB200_10 Depth=1
	s_or_b32 exec_lo, exec_lo, s41
	v_lshlrev_b32_e32 v49, 24, v49
	v_lshlrev_b32_e32 v23, 20, v23
	v_lshl_add_u32 v48, v48, 23, 0x3c000000
	v_and_b32_e32 v49, 0x80000000, v49
	v_or3_b32 v48, v23, v49, v48
.LBB200_48:                             ;   in Loop: Header=BB200_10 Depth=1
	s_or_b32 exec_lo, exec_lo, s40
.LBB200_49:                             ;   in Loop: Header=BB200_10 Depth=1
	s_or_b32 exec_lo, exec_lo, s39
.LBB200_50:                             ;   in Loop: Header=BB200_10 Depth=1
	s_or_b32 exec_lo, exec_lo, s3
	global_load_ubyte v49, v[29:30], off offset:132
	s_mov_b32 s3, exec_lo
	s_waitcnt vmcnt(0)
	v_cmpx_ne_u16_e32 0, v49
	s_cbranch_execz .LBB200_58
; %bb.51:                               ;   in Loop: Header=BB200_10 Depth=1
	v_bfrev_b32_e32 v47, 1
	s_mov_b32 s39, exec_lo
	v_cmpx_ne_u16_e32 0x80, v49
	s_cbranch_execz .LBB200_57
; %bb.52:                               ;   in Loop: Header=BB200_10 Depth=1
	v_and_b32_sdwa v50, v49, v40 dst_sel:DWORD dst_unused:UNUSED_PAD src0_sel:WORD_0 src1_sel:DWORD
	v_mov_b32_e32 v47, 0x7f800001
	s_mov_b32 s40, exec_lo
	v_cmpx_ne_u32_e32 0x7f, v50
	s_cbranch_execz .LBB200_56
; %bb.53:                               ;   in Loop: Header=BB200_10 Depth=1
	v_and_b32_sdwa v23, v49, v41 dst_sel:DWORD dst_unused:UNUSED_PAD src0_sel:WORD_0 src1_sel:DWORD
	v_lshrrev_b32_e32 v47, 3, v50
	s_mov_b32 s41, exec_lo
	v_cmpx_gt_u32_e32 8, v50
; %bb.54:                               ;   in Loop: Header=BB200_10 Depth=1
	v_ffbh_u32_e32 v47, v23
	v_min_u32_e32 v47, 32, v47
	v_subrev_nc_u32_e32 v50, 28, v47
	v_sub_nc_u32_e32 v47, 29, v47
	v_lshlrev_b64 v[50:51], v50, v[23:24]
	v_and_b32_e32 v23, 7, v50
; %bb.55:                               ;   in Loop: Header=BB200_10 Depth=1
	s_or_b32 exec_lo, exec_lo, s41
	v_lshlrev_b32_e32 v49, 24, v49
	v_lshlrev_b32_e32 v23, 20, v23
	v_lshl_add_u32 v47, v47, 23, 0x3c000000
	v_and_b32_e32 v49, 0x80000000, v49
	v_or3_b32 v47, v23, v49, v47
.LBB200_56:                             ;   in Loop: Header=BB200_10 Depth=1
	s_or_b32 exec_lo, exec_lo, s40
.LBB200_57:                             ;   in Loop: Header=BB200_10 Depth=1
	s_or_b32 exec_lo, exec_lo, s39
.LBB200_58:                             ;   in Loop: Header=BB200_10 Depth=1
	s_or_b32 exec_lo, exec_lo, s3
	global_load_ubyte v51, v[29:30], off offset:136
	v_mov_b32_e32 v49, 0
	v_mov_b32_e32 v50, 0
	s_mov_b32 s3, exec_lo
	s_waitcnt vmcnt(0)
	v_cmpx_ne_u16_e32 0, v51
	s_cbranch_execz .LBB200_66
; %bb.59:                               ;   in Loop: Header=BB200_10 Depth=1
	v_bfrev_b32_e32 v50, 1
	s_mov_b32 s39, exec_lo
	v_cmpx_ne_u16_e32 0x80, v51
	s_cbranch_execz .LBB200_65
; %bb.60:                               ;   in Loop: Header=BB200_10 Depth=1
	v_and_b32_sdwa v52, v51, v40 dst_sel:DWORD dst_unused:UNUSED_PAD src0_sel:WORD_0 src1_sel:DWORD
	v_mov_b32_e32 v50, 0x7f800001
	s_mov_b32 s40, exec_lo
	v_cmpx_ne_u32_e32 0x7f, v52
	s_cbranch_execz .LBB200_64
; %bb.61:                               ;   in Loop: Header=BB200_10 Depth=1
	v_and_b32_sdwa v23, v51, v41 dst_sel:DWORD dst_unused:UNUSED_PAD src0_sel:WORD_0 src1_sel:DWORD
	v_lshrrev_b32_e32 v50, 3, v52
	s_mov_b32 s41, exec_lo
	v_cmpx_gt_u32_e32 8, v52
; %bb.62:                               ;   in Loop: Header=BB200_10 Depth=1
	v_ffbh_u32_e32 v50, v23
	v_min_u32_e32 v50, 32, v50
	v_subrev_nc_u32_e32 v52, 28, v50
	v_sub_nc_u32_e32 v50, 29, v50
	v_lshlrev_b64 v[52:53], v52, v[23:24]
	v_and_b32_e32 v23, 7, v52
; %bb.63:                               ;   in Loop: Header=BB200_10 Depth=1
	s_or_b32 exec_lo, exec_lo, s41
	v_lshlrev_b32_e32 v51, 24, v51
	v_lshlrev_b32_e32 v23, 20, v23
	v_lshl_add_u32 v50, v50, 23, 0x3c000000
	v_and_b32_e32 v51, 0x80000000, v51
	v_or3_b32 v50, v23, v51, v50
.LBB200_64:                             ;   in Loop: Header=BB200_10 Depth=1
	s_or_b32 exec_lo, exec_lo, s40
.LBB200_65:                             ;   in Loop: Header=BB200_10 Depth=1
	s_or_b32 exec_lo, exec_lo, s39
.LBB200_66:                             ;   in Loop: Header=BB200_10 Depth=1
	s_or_b32 exec_lo, exec_lo, s3
	global_load_ubyte v51, v[29:30], off offset:140
	s_mov_b32 s3, exec_lo
	s_waitcnt vmcnt(0)
	v_cmpx_ne_u16_e32 0, v51
	s_cbranch_execz .LBB200_74
; %bb.67:                               ;   in Loop: Header=BB200_10 Depth=1
	v_bfrev_b32_e32 v49, 1
	s_mov_b32 s39, exec_lo
	v_cmpx_ne_u16_e32 0x80, v51
	s_cbranch_execz .LBB200_73
; %bb.68:                               ;   in Loop: Header=BB200_10 Depth=1
	v_and_b32_sdwa v52, v51, v40 dst_sel:DWORD dst_unused:UNUSED_PAD src0_sel:WORD_0 src1_sel:DWORD
	v_mov_b32_e32 v49, 0x7f800001
	s_mov_b32 s40, exec_lo
	v_cmpx_ne_u32_e32 0x7f, v52
	s_cbranch_execz .LBB200_72
; %bb.69:                               ;   in Loop: Header=BB200_10 Depth=1
	v_and_b32_sdwa v23, v51, v41 dst_sel:DWORD dst_unused:UNUSED_PAD src0_sel:WORD_0 src1_sel:DWORD
	v_lshrrev_b32_e32 v49, 3, v52
	s_mov_b32 s41, exec_lo
	v_cmpx_gt_u32_e32 8, v52
; %bb.70:                               ;   in Loop: Header=BB200_10 Depth=1
	v_ffbh_u32_e32 v49, v23
	v_min_u32_e32 v49, 32, v49
	v_subrev_nc_u32_e32 v52, 28, v49
	v_sub_nc_u32_e32 v49, 29, v49
	v_lshlrev_b64 v[52:53], v52, v[23:24]
	v_and_b32_e32 v23, 7, v52
; %bb.71:                               ;   in Loop: Header=BB200_10 Depth=1
	s_or_b32 exec_lo, exec_lo, s41
	v_lshlrev_b32_e32 v51, 24, v51
	v_lshlrev_b32_e32 v23, 20, v23
	v_lshl_add_u32 v49, v49, 23, 0x3c000000
	v_and_b32_e32 v51, 0x80000000, v51
	v_or3_b32 v49, v23, v51, v49
.LBB200_72:                             ;   in Loop: Header=BB200_10 Depth=1
	s_or_b32 exec_lo, exec_lo, s40
.LBB200_73:                             ;   in Loop: Header=BB200_10 Depth=1
	s_or_b32 exec_lo, exec_lo, s39
.LBB200_74:                             ;   in Loop: Header=BB200_10 Depth=1
	s_or_b32 exec_lo, exec_lo, s3
	global_load_ubyte v53, v[29:30], off offset:256
	v_mov_b32_e32 v51, 0
	v_mov_b32_e32 v52, 0
	s_mov_b32 s3, exec_lo
	s_waitcnt vmcnt(0)
	v_cmpx_ne_u16_e32 0, v53
	s_cbranch_execz .LBB200_82
; %bb.75:                               ;   in Loop: Header=BB200_10 Depth=1
	v_bfrev_b32_e32 v52, 1
	s_mov_b32 s39, exec_lo
	v_cmpx_ne_u16_e32 0x80, v53
	s_cbranch_execz .LBB200_81
; %bb.76:                               ;   in Loop: Header=BB200_10 Depth=1
	v_and_b32_sdwa v54, v53, v40 dst_sel:DWORD dst_unused:UNUSED_PAD src0_sel:WORD_0 src1_sel:DWORD
	v_mov_b32_e32 v52, 0x7f800001
	s_mov_b32 s40, exec_lo
	v_cmpx_ne_u32_e32 0x7f, v54
	s_cbranch_execz .LBB200_80
; %bb.77:                               ;   in Loop: Header=BB200_10 Depth=1
	v_and_b32_sdwa v23, v53, v41 dst_sel:DWORD dst_unused:UNUSED_PAD src0_sel:WORD_0 src1_sel:DWORD
	v_lshrrev_b32_e32 v52, 3, v54
	s_mov_b32 s41, exec_lo
	v_cmpx_gt_u32_e32 8, v54
; %bb.78:                               ;   in Loop: Header=BB200_10 Depth=1
	v_ffbh_u32_e32 v52, v23
	v_min_u32_e32 v52, 32, v52
	v_subrev_nc_u32_e32 v54, 28, v52
	v_sub_nc_u32_e32 v52, 29, v52
	v_lshlrev_b64 v[54:55], v54, v[23:24]
	v_and_b32_e32 v23, 7, v54
; %bb.79:                               ;   in Loop: Header=BB200_10 Depth=1
	s_or_b32 exec_lo, exec_lo, s41
	v_lshlrev_b32_e32 v53, 24, v53
	v_lshlrev_b32_e32 v23, 20, v23
	v_lshl_add_u32 v52, v52, 23, 0x3c000000
	v_and_b32_e32 v53, 0x80000000, v53
	v_or3_b32 v52, v23, v53, v52
.LBB200_80:                             ;   in Loop: Header=BB200_10 Depth=1
	s_or_b32 exec_lo, exec_lo, s40
.LBB200_81:                             ;   in Loop: Header=BB200_10 Depth=1
	s_or_b32 exec_lo, exec_lo, s39
.LBB200_82:                             ;   in Loop: Header=BB200_10 Depth=1
	s_or_b32 exec_lo, exec_lo, s3
	global_load_ubyte v53, v[29:30], off offset:260
	s_mov_b32 s3, exec_lo
	s_waitcnt vmcnt(0)
	v_cmpx_ne_u16_e32 0, v53
	s_cbranch_execz .LBB200_90
; %bb.83:                               ;   in Loop: Header=BB200_10 Depth=1
	v_bfrev_b32_e32 v51, 1
	s_mov_b32 s39, exec_lo
	v_cmpx_ne_u16_e32 0x80, v53
	s_cbranch_execz .LBB200_89
; %bb.84:                               ;   in Loop: Header=BB200_10 Depth=1
	v_and_b32_sdwa v54, v53, v40 dst_sel:DWORD dst_unused:UNUSED_PAD src0_sel:WORD_0 src1_sel:DWORD
	v_mov_b32_e32 v51, 0x7f800001
	s_mov_b32 s40, exec_lo
	v_cmpx_ne_u32_e32 0x7f, v54
	s_cbranch_execz .LBB200_88
; %bb.85:                               ;   in Loop: Header=BB200_10 Depth=1
	v_and_b32_sdwa v23, v53, v41 dst_sel:DWORD dst_unused:UNUSED_PAD src0_sel:WORD_0 src1_sel:DWORD
	v_lshrrev_b32_e32 v51, 3, v54
	s_mov_b32 s41, exec_lo
	v_cmpx_gt_u32_e32 8, v54
; %bb.86:                               ;   in Loop: Header=BB200_10 Depth=1
	v_ffbh_u32_e32 v51, v23
	v_min_u32_e32 v51, 32, v51
	v_subrev_nc_u32_e32 v54, 28, v51
	v_sub_nc_u32_e32 v51, 29, v51
	v_lshlrev_b64 v[54:55], v54, v[23:24]
	v_and_b32_e32 v23, 7, v54
; %bb.87:                               ;   in Loop: Header=BB200_10 Depth=1
	s_or_b32 exec_lo, exec_lo, s41
	v_lshlrev_b32_e32 v53, 24, v53
	v_lshlrev_b32_e32 v23, 20, v23
	v_lshl_add_u32 v51, v51, 23, 0x3c000000
	v_and_b32_e32 v53, 0x80000000, v53
	v_or3_b32 v51, v23, v53, v51
.LBB200_88:                             ;   in Loop: Header=BB200_10 Depth=1
	s_or_b32 exec_lo, exec_lo, s40
.LBB200_89:                             ;   in Loop: Header=BB200_10 Depth=1
	s_or_b32 exec_lo, exec_lo, s39
.LBB200_90:                             ;   in Loop: Header=BB200_10 Depth=1
	s_or_b32 exec_lo, exec_lo, s3
	global_load_ubyte v55, v[29:30], off offset:264
	v_mov_b32_e32 v53, 0
	v_mov_b32_e32 v54, 0
	s_mov_b32 s3, exec_lo
	s_waitcnt vmcnt(0)
	v_cmpx_ne_u16_e32 0, v55
	s_cbranch_execz .LBB200_98
; %bb.91:                               ;   in Loop: Header=BB200_10 Depth=1
	v_bfrev_b32_e32 v54, 1
	s_mov_b32 s39, exec_lo
	v_cmpx_ne_u16_e32 0x80, v55
	s_cbranch_execz .LBB200_97
; %bb.92:                               ;   in Loop: Header=BB200_10 Depth=1
	v_and_b32_sdwa v56, v55, v40 dst_sel:DWORD dst_unused:UNUSED_PAD src0_sel:WORD_0 src1_sel:DWORD
	v_mov_b32_e32 v54, 0x7f800001
	s_mov_b32 s40, exec_lo
	v_cmpx_ne_u32_e32 0x7f, v56
	s_cbranch_execz .LBB200_96
; %bb.93:                               ;   in Loop: Header=BB200_10 Depth=1
	v_and_b32_sdwa v23, v55, v41 dst_sel:DWORD dst_unused:UNUSED_PAD src0_sel:WORD_0 src1_sel:DWORD
	v_lshrrev_b32_e32 v54, 3, v56
	s_mov_b32 s41, exec_lo
	v_cmpx_gt_u32_e32 8, v56
; %bb.94:                               ;   in Loop: Header=BB200_10 Depth=1
	v_ffbh_u32_e32 v54, v23
	v_min_u32_e32 v54, 32, v54
	v_subrev_nc_u32_e32 v56, 28, v54
	v_sub_nc_u32_e32 v54, 29, v54
	v_lshlrev_b64 v[56:57], v56, v[23:24]
	v_and_b32_e32 v23, 7, v56
; %bb.95:                               ;   in Loop: Header=BB200_10 Depth=1
	s_or_b32 exec_lo, exec_lo, s41
	v_lshlrev_b32_e32 v55, 24, v55
	v_lshlrev_b32_e32 v23, 20, v23
	v_lshl_add_u32 v54, v54, 23, 0x3c000000
	v_and_b32_e32 v55, 0x80000000, v55
	v_or3_b32 v54, v23, v55, v54
.LBB200_96:                             ;   in Loop: Header=BB200_10 Depth=1
	s_or_b32 exec_lo, exec_lo, s40
.LBB200_97:                             ;   in Loop: Header=BB200_10 Depth=1
	s_or_b32 exec_lo, exec_lo, s39
.LBB200_98:                             ;   in Loop: Header=BB200_10 Depth=1
	s_or_b32 exec_lo, exec_lo, s3
	global_load_ubyte v55, v[29:30], off offset:268
	s_mov_b32 s3, exec_lo
	s_waitcnt vmcnt(0)
	v_cmpx_ne_u16_e32 0, v55
	s_cbranch_execz .LBB200_106
; %bb.99:                               ;   in Loop: Header=BB200_10 Depth=1
	v_bfrev_b32_e32 v53, 1
	s_mov_b32 s39, exec_lo
	v_cmpx_ne_u16_e32 0x80, v55
	s_cbranch_execz .LBB200_105
; %bb.100:                              ;   in Loop: Header=BB200_10 Depth=1
	v_and_b32_sdwa v56, v55, v40 dst_sel:DWORD dst_unused:UNUSED_PAD src0_sel:WORD_0 src1_sel:DWORD
	v_mov_b32_e32 v53, 0x7f800001
	s_mov_b32 s40, exec_lo
	v_cmpx_ne_u32_e32 0x7f, v56
	s_cbranch_execz .LBB200_104
; %bb.101:                              ;   in Loop: Header=BB200_10 Depth=1
	v_and_b32_sdwa v23, v55, v41 dst_sel:DWORD dst_unused:UNUSED_PAD src0_sel:WORD_0 src1_sel:DWORD
	v_lshrrev_b32_e32 v53, 3, v56
	s_mov_b32 s41, exec_lo
	v_cmpx_gt_u32_e32 8, v56
; %bb.102:                              ;   in Loop: Header=BB200_10 Depth=1
	v_ffbh_u32_e32 v53, v23
	v_min_u32_e32 v53, 32, v53
	v_subrev_nc_u32_e32 v56, 28, v53
	v_sub_nc_u32_e32 v53, 29, v53
	v_lshlrev_b64 v[56:57], v56, v[23:24]
	v_and_b32_e32 v23, 7, v56
; %bb.103:                              ;   in Loop: Header=BB200_10 Depth=1
	s_or_b32 exec_lo, exec_lo, s41
	v_lshlrev_b32_e32 v55, 24, v55
	v_lshlrev_b32_e32 v23, 20, v23
	v_lshl_add_u32 v53, v53, 23, 0x3c000000
	v_and_b32_e32 v55, 0x80000000, v55
	v_or3_b32 v53, v23, v55, v53
.LBB200_104:                            ;   in Loop: Header=BB200_10 Depth=1
	s_or_b32 exec_lo, exec_lo, s40
.LBB200_105:                            ;   in Loop: Header=BB200_10 Depth=1
	s_or_b32 exec_lo, exec_lo, s39
.LBB200_106:                            ;   in Loop: Header=BB200_10 Depth=1
	s_or_b32 exec_lo, exec_lo, s3
	global_load_ubyte v57, v[29:30], off offset:384
	v_mov_b32_e32 v55, 0
	v_mov_b32_e32 v56, 0
	s_mov_b32 s3, exec_lo
	s_waitcnt vmcnt(0)
	v_cmpx_ne_u16_e32 0, v57
	s_cbranch_execz .LBB200_114
; %bb.107:                              ;   in Loop: Header=BB200_10 Depth=1
	v_bfrev_b32_e32 v56, 1
	s_mov_b32 s39, exec_lo
	v_cmpx_ne_u16_e32 0x80, v57
	s_cbranch_execz .LBB200_113
; %bb.108:                              ;   in Loop: Header=BB200_10 Depth=1
	v_and_b32_sdwa v58, v57, v40 dst_sel:DWORD dst_unused:UNUSED_PAD src0_sel:WORD_0 src1_sel:DWORD
	v_mov_b32_e32 v56, 0x7f800001
	s_mov_b32 s40, exec_lo
	v_cmpx_ne_u32_e32 0x7f, v58
	s_cbranch_execz .LBB200_112
; %bb.109:                              ;   in Loop: Header=BB200_10 Depth=1
	v_and_b32_sdwa v23, v57, v41 dst_sel:DWORD dst_unused:UNUSED_PAD src0_sel:WORD_0 src1_sel:DWORD
	v_lshrrev_b32_e32 v56, 3, v58
	s_mov_b32 s41, exec_lo
	v_cmpx_gt_u32_e32 8, v58
; %bb.110:                              ;   in Loop: Header=BB200_10 Depth=1
	v_ffbh_u32_e32 v56, v23
	v_min_u32_e32 v56, 32, v56
	v_subrev_nc_u32_e32 v58, 28, v56
	v_sub_nc_u32_e32 v56, 29, v56
	v_lshlrev_b64 v[58:59], v58, v[23:24]
	v_and_b32_e32 v23, 7, v58
; %bb.111:                              ;   in Loop: Header=BB200_10 Depth=1
	s_or_b32 exec_lo, exec_lo, s41
	v_lshlrev_b32_e32 v57, 24, v57
	v_lshlrev_b32_e32 v23, 20, v23
	v_lshl_add_u32 v56, v56, 23, 0x3c000000
	v_and_b32_e32 v57, 0x80000000, v57
	v_or3_b32 v56, v23, v57, v56
.LBB200_112:                            ;   in Loop: Header=BB200_10 Depth=1
	s_or_b32 exec_lo, exec_lo, s40
.LBB200_113:                            ;   in Loop: Header=BB200_10 Depth=1
	s_or_b32 exec_lo, exec_lo, s39
.LBB200_114:                            ;   in Loop: Header=BB200_10 Depth=1
	s_or_b32 exec_lo, exec_lo, s3
	global_load_ubyte v57, v[29:30], off offset:388
	s_mov_b32 s3, exec_lo
	s_waitcnt vmcnt(0)
	v_cmpx_ne_u16_e32 0, v57
	s_cbranch_execz .LBB200_122
; %bb.115:                              ;   in Loop: Header=BB200_10 Depth=1
	v_bfrev_b32_e32 v55, 1
	s_mov_b32 s39, exec_lo
	v_cmpx_ne_u16_e32 0x80, v57
	s_cbranch_execz .LBB200_121
; %bb.116:                              ;   in Loop: Header=BB200_10 Depth=1
	v_and_b32_sdwa v58, v57, v40 dst_sel:DWORD dst_unused:UNUSED_PAD src0_sel:WORD_0 src1_sel:DWORD
	v_mov_b32_e32 v55, 0x7f800001
	s_mov_b32 s40, exec_lo
	v_cmpx_ne_u32_e32 0x7f, v58
	s_cbranch_execz .LBB200_120
; %bb.117:                              ;   in Loop: Header=BB200_10 Depth=1
	v_and_b32_sdwa v23, v57, v41 dst_sel:DWORD dst_unused:UNUSED_PAD src0_sel:WORD_0 src1_sel:DWORD
	v_lshrrev_b32_e32 v55, 3, v58
	s_mov_b32 s41, exec_lo
	v_cmpx_gt_u32_e32 8, v58
; %bb.118:                              ;   in Loop: Header=BB200_10 Depth=1
	v_ffbh_u32_e32 v55, v23
	v_min_u32_e32 v55, 32, v55
	v_subrev_nc_u32_e32 v58, 28, v55
	v_sub_nc_u32_e32 v55, 29, v55
	v_lshlrev_b64 v[58:59], v58, v[23:24]
	v_and_b32_e32 v23, 7, v58
; %bb.119:                              ;   in Loop: Header=BB200_10 Depth=1
	s_or_b32 exec_lo, exec_lo, s41
	v_lshlrev_b32_e32 v57, 24, v57
	v_lshlrev_b32_e32 v23, 20, v23
	v_lshl_add_u32 v55, v55, 23, 0x3c000000
	v_and_b32_e32 v57, 0x80000000, v57
	v_or3_b32 v55, v23, v57, v55
.LBB200_120:                            ;   in Loop: Header=BB200_10 Depth=1
	s_or_b32 exec_lo, exec_lo, s40
.LBB200_121:                            ;   in Loop: Header=BB200_10 Depth=1
	s_or_b32 exec_lo, exec_lo, s39
.LBB200_122:                            ;   in Loop: Header=BB200_10 Depth=1
	s_or_b32 exec_lo, exec_lo, s3
	global_load_ubyte v59, v[29:30], off offset:392
	v_mov_b32_e32 v57, 0
	v_mov_b32_e32 v58, 0
	s_mov_b32 s3, exec_lo
	s_waitcnt vmcnt(0)
	v_cmpx_ne_u16_e32 0, v59
	s_cbranch_execz .LBB200_130
; %bb.123:                              ;   in Loop: Header=BB200_10 Depth=1
	v_bfrev_b32_e32 v58, 1
	s_mov_b32 s39, exec_lo
	v_cmpx_ne_u16_e32 0x80, v59
	s_cbranch_execz .LBB200_129
; %bb.124:                              ;   in Loop: Header=BB200_10 Depth=1
	v_and_b32_sdwa v60, v59, v40 dst_sel:DWORD dst_unused:UNUSED_PAD src0_sel:WORD_0 src1_sel:DWORD
	v_mov_b32_e32 v58, 0x7f800001
	s_mov_b32 s40, exec_lo
	v_cmpx_ne_u32_e32 0x7f, v60
	s_cbranch_execz .LBB200_128
; %bb.125:                              ;   in Loop: Header=BB200_10 Depth=1
	v_and_b32_sdwa v23, v59, v41 dst_sel:DWORD dst_unused:UNUSED_PAD src0_sel:WORD_0 src1_sel:DWORD
	v_lshrrev_b32_e32 v58, 3, v60
	s_mov_b32 s41, exec_lo
	v_cmpx_gt_u32_e32 8, v60
; %bb.126:                              ;   in Loop: Header=BB200_10 Depth=1
	v_ffbh_u32_e32 v58, v23
	v_min_u32_e32 v58, 32, v58
	v_subrev_nc_u32_e32 v60, 28, v58
	v_sub_nc_u32_e32 v58, 29, v58
	v_lshlrev_b64 v[60:61], v60, v[23:24]
	v_and_b32_e32 v23, 7, v60
; %bb.127:                              ;   in Loop: Header=BB200_10 Depth=1
	s_or_b32 exec_lo, exec_lo, s41
	v_lshlrev_b32_e32 v59, 24, v59
	v_lshlrev_b32_e32 v23, 20, v23
	v_lshl_add_u32 v58, v58, 23, 0x3c000000
	v_and_b32_e32 v59, 0x80000000, v59
	v_or3_b32 v58, v23, v59, v58
.LBB200_128:                            ;   in Loop: Header=BB200_10 Depth=1
	s_or_b32 exec_lo, exec_lo, s40
.LBB200_129:                            ;   in Loop: Header=BB200_10 Depth=1
	s_or_b32 exec_lo, exec_lo, s39
.LBB200_130:                            ;   in Loop: Header=BB200_10 Depth=1
	s_or_b32 exec_lo, exec_lo, s3
	global_load_ubyte v59, v[29:30], off offset:396
	s_mov_b32 s3, exec_lo
	s_waitcnt vmcnt(0)
	v_cmpx_ne_u16_e32 0, v59
	s_cbranch_execz .LBB200_138
; %bb.131:                              ;   in Loop: Header=BB200_10 Depth=1
	v_bfrev_b32_e32 v57, 1
	s_mov_b32 s39, exec_lo
	v_cmpx_ne_u16_e32 0x80, v59
	s_cbranch_execz .LBB200_137
; %bb.132:                              ;   in Loop: Header=BB200_10 Depth=1
	v_and_b32_sdwa v60, v59, v40 dst_sel:DWORD dst_unused:UNUSED_PAD src0_sel:WORD_0 src1_sel:DWORD
	v_mov_b32_e32 v57, 0x7f800001
	s_mov_b32 s40, exec_lo
	v_cmpx_ne_u32_e32 0x7f, v60
	s_cbranch_execz .LBB200_136
; %bb.133:                              ;   in Loop: Header=BB200_10 Depth=1
	v_and_b32_sdwa v23, v59, v41 dst_sel:DWORD dst_unused:UNUSED_PAD src0_sel:WORD_0 src1_sel:DWORD
	v_lshrrev_b32_e32 v57, 3, v60
	s_mov_b32 s41, exec_lo
	v_cmpx_gt_u32_e32 8, v60
; %bb.134:                              ;   in Loop: Header=BB200_10 Depth=1
	v_ffbh_u32_e32 v57, v23
	v_min_u32_e32 v57, 32, v57
	v_subrev_nc_u32_e32 v60, 28, v57
	v_sub_nc_u32_e32 v57, 29, v57
	v_lshlrev_b64 v[60:61], v60, v[23:24]
	v_and_b32_e32 v23, 7, v60
; %bb.135:                              ;   in Loop: Header=BB200_10 Depth=1
	s_or_b32 exec_lo, exec_lo, s41
	v_lshlrev_b32_e32 v59, 24, v59
	v_lshlrev_b32_e32 v23, 20, v23
	v_lshl_add_u32 v57, v57, 23, 0x3c000000
	v_and_b32_e32 v59, 0x80000000, v59
	v_or3_b32 v57, v23, v59, v57
.LBB200_136:                            ;   in Loop: Header=BB200_10 Depth=1
	s_or_b32 exec_lo, exec_lo, s40
.LBB200_137:                            ;   in Loop: Header=BB200_10 Depth=1
	s_or_b32 exec_lo, exec_lo, s39
.LBB200_138:                            ;   in Loop: Header=BB200_10 Depth=1
	s_or_b32 exec_lo, exec_lo, s3
	global_load_ubyte v61, v[29:30], off offset:512
	v_mov_b32_e32 v59, 0
	v_mov_b32_e32 v60, 0
	s_mov_b32 s3, exec_lo
	s_waitcnt vmcnt(0)
	v_cmpx_ne_u16_e32 0, v61
	s_cbranch_execz .LBB200_146
; %bb.139:                              ;   in Loop: Header=BB200_10 Depth=1
	v_bfrev_b32_e32 v60, 1
	s_mov_b32 s39, exec_lo
	v_cmpx_ne_u16_e32 0x80, v61
	s_cbranch_execz .LBB200_145
; %bb.140:                              ;   in Loop: Header=BB200_10 Depth=1
	v_and_b32_sdwa v62, v61, v40 dst_sel:DWORD dst_unused:UNUSED_PAD src0_sel:WORD_0 src1_sel:DWORD
	v_mov_b32_e32 v60, 0x7f800001
	s_mov_b32 s40, exec_lo
	v_cmpx_ne_u32_e32 0x7f, v62
	s_cbranch_execz .LBB200_144
; %bb.141:                              ;   in Loop: Header=BB200_10 Depth=1
	v_and_b32_sdwa v23, v61, v41 dst_sel:DWORD dst_unused:UNUSED_PAD src0_sel:WORD_0 src1_sel:DWORD
	v_lshrrev_b32_e32 v60, 3, v62
	s_mov_b32 s41, exec_lo
	v_cmpx_gt_u32_e32 8, v62
; %bb.142:                              ;   in Loop: Header=BB200_10 Depth=1
	v_ffbh_u32_e32 v60, v23
	v_min_u32_e32 v60, 32, v60
	v_subrev_nc_u32_e32 v62, 28, v60
	v_sub_nc_u32_e32 v60, 29, v60
	v_lshlrev_b64 v[62:63], v62, v[23:24]
	v_and_b32_e32 v23, 7, v62
; %bb.143:                              ;   in Loop: Header=BB200_10 Depth=1
	s_or_b32 exec_lo, exec_lo, s41
	v_lshlrev_b32_e32 v61, 24, v61
	v_lshlrev_b32_e32 v23, 20, v23
	v_lshl_add_u32 v60, v60, 23, 0x3c000000
	v_and_b32_e32 v61, 0x80000000, v61
	v_or3_b32 v60, v23, v61, v60
.LBB200_144:                            ;   in Loop: Header=BB200_10 Depth=1
	s_or_b32 exec_lo, exec_lo, s40
.LBB200_145:                            ;   in Loop: Header=BB200_10 Depth=1
	s_or_b32 exec_lo, exec_lo, s39
.LBB200_146:                            ;   in Loop: Header=BB200_10 Depth=1
	s_or_b32 exec_lo, exec_lo, s3
	global_load_ubyte v61, v[29:30], off offset:516
	s_mov_b32 s3, exec_lo
	s_waitcnt vmcnt(0)
	v_cmpx_ne_u16_e32 0, v61
	s_cbranch_execz .LBB200_154
; %bb.147:                              ;   in Loop: Header=BB200_10 Depth=1
	v_bfrev_b32_e32 v59, 1
	s_mov_b32 s39, exec_lo
	v_cmpx_ne_u16_e32 0x80, v61
	s_cbranch_execz .LBB200_153
; %bb.148:                              ;   in Loop: Header=BB200_10 Depth=1
	v_and_b32_sdwa v62, v61, v40 dst_sel:DWORD dst_unused:UNUSED_PAD src0_sel:WORD_0 src1_sel:DWORD
	v_mov_b32_e32 v59, 0x7f800001
	s_mov_b32 s40, exec_lo
	v_cmpx_ne_u32_e32 0x7f, v62
	s_cbranch_execz .LBB200_152
; %bb.149:                              ;   in Loop: Header=BB200_10 Depth=1
	v_and_b32_sdwa v23, v61, v41 dst_sel:DWORD dst_unused:UNUSED_PAD src0_sel:WORD_0 src1_sel:DWORD
	v_lshrrev_b32_e32 v59, 3, v62
	s_mov_b32 s41, exec_lo
	v_cmpx_gt_u32_e32 8, v62
; %bb.150:                              ;   in Loop: Header=BB200_10 Depth=1
	v_ffbh_u32_e32 v59, v23
	v_min_u32_e32 v59, 32, v59
	v_subrev_nc_u32_e32 v62, 28, v59
	v_sub_nc_u32_e32 v59, 29, v59
	v_lshlrev_b64 v[62:63], v62, v[23:24]
	v_and_b32_e32 v23, 7, v62
; %bb.151:                              ;   in Loop: Header=BB200_10 Depth=1
	s_or_b32 exec_lo, exec_lo, s41
	v_lshlrev_b32_e32 v61, 24, v61
	v_lshlrev_b32_e32 v23, 20, v23
	v_lshl_add_u32 v59, v59, 23, 0x3c000000
	v_and_b32_e32 v61, 0x80000000, v61
	v_or3_b32 v59, v23, v61, v59
.LBB200_152:                            ;   in Loop: Header=BB200_10 Depth=1
	s_or_b32 exec_lo, exec_lo, s40
.LBB200_153:                            ;   in Loop: Header=BB200_10 Depth=1
	s_or_b32 exec_lo, exec_lo, s39
.LBB200_154:                            ;   in Loop: Header=BB200_10 Depth=1
	s_or_b32 exec_lo, exec_lo, s3
	global_load_ubyte v63, v[29:30], off offset:520
	v_mov_b32_e32 v61, 0
	v_mov_b32_e32 v62, 0
	s_mov_b32 s3, exec_lo
	s_waitcnt vmcnt(0)
	v_cmpx_ne_u16_e32 0, v63
	s_cbranch_execz .LBB200_162
; %bb.155:                              ;   in Loop: Header=BB200_10 Depth=1
	v_bfrev_b32_e32 v62, 1
	s_mov_b32 s39, exec_lo
	v_cmpx_ne_u16_e32 0x80, v63
	s_cbranch_execz .LBB200_161
; %bb.156:                              ;   in Loop: Header=BB200_10 Depth=1
	v_and_b32_sdwa v64, v63, v40 dst_sel:DWORD dst_unused:UNUSED_PAD src0_sel:WORD_0 src1_sel:DWORD
	v_mov_b32_e32 v62, 0x7f800001
	s_mov_b32 s40, exec_lo
	v_cmpx_ne_u32_e32 0x7f, v64
	s_cbranch_execz .LBB200_160
; %bb.157:                              ;   in Loop: Header=BB200_10 Depth=1
	v_and_b32_sdwa v23, v63, v41 dst_sel:DWORD dst_unused:UNUSED_PAD src0_sel:WORD_0 src1_sel:DWORD
	v_lshrrev_b32_e32 v62, 3, v64
	s_mov_b32 s41, exec_lo
	v_cmpx_gt_u32_e32 8, v64
; %bb.158:                              ;   in Loop: Header=BB200_10 Depth=1
	v_ffbh_u32_e32 v62, v23
	v_min_u32_e32 v62, 32, v62
	v_subrev_nc_u32_e32 v64, 28, v62
	v_sub_nc_u32_e32 v62, 29, v62
	v_lshlrev_b64 v[64:65], v64, v[23:24]
	v_and_b32_e32 v23, 7, v64
; %bb.159:                              ;   in Loop: Header=BB200_10 Depth=1
	s_or_b32 exec_lo, exec_lo, s41
	v_lshlrev_b32_e32 v63, 24, v63
	v_lshlrev_b32_e32 v23, 20, v23
	v_lshl_add_u32 v62, v62, 23, 0x3c000000
	v_and_b32_e32 v63, 0x80000000, v63
	v_or3_b32 v62, v23, v63, v62
.LBB200_160:                            ;   in Loop: Header=BB200_10 Depth=1
	s_or_b32 exec_lo, exec_lo, s40
.LBB200_161:                            ;   in Loop: Header=BB200_10 Depth=1
	s_or_b32 exec_lo, exec_lo, s39
.LBB200_162:                            ;   in Loop: Header=BB200_10 Depth=1
	s_or_b32 exec_lo, exec_lo, s3
	global_load_ubyte v29, v[29:30], off offset:524
	s_mov_b32 s3, exec_lo
	s_waitcnt vmcnt(0)
	v_cmpx_ne_u16_e32 0, v29
	s_cbranch_execz .LBB200_170
; %bb.163:                              ;   in Loop: Header=BB200_10 Depth=1
	v_bfrev_b32_e32 v61, 1
	s_mov_b32 s39, exec_lo
	v_cmpx_ne_u16_e32 0x80, v29
	s_cbranch_execz .LBB200_169
; %bb.164:                              ;   in Loop: Header=BB200_10 Depth=1
	v_and_b32_sdwa v63, v29, v40 dst_sel:DWORD dst_unused:UNUSED_PAD src0_sel:WORD_0 src1_sel:DWORD
	v_mov_b32_e32 v61, 0x7f800001
	s_mov_b32 s40, exec_lo
	v_cmpx_ne_u32_e32 0x7f, v63
	s_cbranch_execz .LBB200_168
; %bb.165:                              ;   in Loop: Header=BB200_10 Depth=1
	v_and_b32_sdwa v23, v29, v41 dst_sel:DWORD dst_unused:UNUSED_PAD src0_sel:WORD_0 src1_sel:DWORD
	v_lshrrev_b32_e32 v30, 3, v63
	s_mov_b32 s41, exec_lo
	v_cmpx_gt_u32_e32 8, v63
; %bb.166:                              ;   in Loop: Header=BB200_10 Depth=1
	v_ffbh_u32_e32 v30, v23
	v_min_u32_e32 v30, 32, v30
	v_subrev_nc_u32_e32 v61, 28, v30
	v_sub_nc_u32_e32 v30, 29, v30
	v_lshlrev_b64 v[63:64], v61, v[23:24]
	v_and_b32_e32 v23, 7, v63
; %bb.167:                              ;   in Loop: Header=BB200_10 Depth=1
	s_or_b32 exec_lo, exec_lo, s41
	v_lshlrev_b32_e32 v29, 24, v29
	v_lshlrev_b32_e32 v23, 20, v23
	v_lshl_add_u32 v30, v30, 23, 0x3c000000
	v_and_b32_e32 v29, 0x80000000, v29
	v_or3_b32 v61, v23, v29, v30
.LBB200_168:                            ;   in Loop: Header=BB200_10 Depth=1
	s_or_b32 exec_lo, exec_lo, s40
.LBB200_169:                            ;   in Loop: Header=BB200_10 Depth=1
	s_or_b32 exec_lo, exec_lo, s39
.LBB200_170:                            ;   in Loop: Header=BB200_10 Depth=1
	s_or_b32 exec_lo, exec_lo, s3
	s_waitcnt lgkmcnt(0)
	v_mul_f32_e32 v23, s4, v43
	v_mul_f32_e32 v29, s4, v44
	;; [unrolled: 1-line block ×4, first 2 shown]
	v_fmac_f32_e32 v23, v1, v29
	v_mul_f32_e32 v29, s4, v45
	v_fmac_f32_e32 v23, v3, v30
	v_mul_f32_e32 v30, s4, v48
	;; [unrolled: 2-line block ×17, first 2 shown]
	v_fmac_f32_e32 v23, v19, v30
	v_fmac_f32_e32 v23, v20, v29
	ds_bpermute_b32 v29, v36, v23
	s_waitcnt lgkmcnt(0)
	v_add_f32_e32 v23, v23, v29
	ds_bpermute_b32 v29, v37, v23
	s_and_saveexec_b32 s3, vcc_lo
	s_cbranch_execz .LBB200_9
; %bb.171:                              ;   in Loop: Header=BB200_10 Depth=1
	v_add_nc_u32_e32 v30, s5, v38
	s_waitcnt lgkmcnt(0)
	v_add_f32_e32 v23, v23, v29
	v_cmp_gt_i32_e64 s2, s27, v38
	v_cvt_f32_i32_e32 v30, v30
	v_mul_f32_e32 v30, s36, v30
	v_cndmask_b32_e64 v29, 0, v30, s1
	v_max_f32_e32 v30, v35, v35
	v_fmac_f32_e32 v29, s37, v23
	v_max_f32_e32 v23, v30, v29
	v_cndmask_b32_e64 v29, 0, v29, s2
	v_cndmask_b32_e64 v35, v35, v23, s2
	ds_write_b32 v39, v29
	s_branch .LBB200_9
.LBB200_172:
	s_or_b32 exec_lo, exec_lo, s16
.LBB200_173:
	s_or_b32 exec_lo, exec_lo, s38
	v_xor_b32_e32 v1, 16, v33
	v_xor_b32_e32 v3, 8, v33
	v_max_f32_e32 v5, v35, v35
	v_and_b32_e32 v26, 31, v0
	v_cmp_lt_i32_e32 vcc_lo, v1, v34
	v_cndmask_b32_e32 v1, v33, v1, vcc_lo
	v_cmp_lt_i32_e32 vcc_lo, v3, v34
	v_lshlrev_b32_e32 v2, 2, v1
	v_cndmask_b32_e32 v3, v33, v3, vcc_lo
	ds_bpermute_b32 v1, v2, v35
	v_lshlrev_b32_e32 v4, 2, v3
	s_waitcnt lgkmcnt(0)
	v_max_f32_e32 v1, v1, v1
	v_max_f32_e32 v1, v5, v1
	v_xor_b32_e32 v5, 4, v33
	ds_bpermute_b32 v3, v4, v1
	v_cmp_lt_i32_e32 vcc_lo, v5, v34
	v_cndmask_b32_e32 v5, v33, v5, vcc_lo
	v_cmp_eq_u32_e32 vcc_lo, 0, v26
	v_lshlrev_b32_e32 v7, 2, v5
	v_lshlrev_b32_e32 v5, 2, v31
	s_waitcnt lgkmcnt(0)
	v_max_f32_e32 v3, v3, v3
	v_max_f32_e32 v1, v1, v3
	ds_bpermute_b32 v3, v7, v1
	s_and_saveexec_b32 s1, vcc_lo
	s_cbranch_execz .LBB200_175
; %bb.174:
	s_waitcnt lgkmcnt(0)
	v_max_f32_e32 v3, v3, v3
	v_max_f32_e32 v1, v1, v1
	;; [unrolled: 1-line block ×3, first 2 shown]
	ds_write_b32 v5, v1 offset:320
.LBB200_175:
	s_or_b32 exec_lo, exec_lo, s1
	v_cmp_gt_u32_e64 s1, 4, v26
	v_mov_b32_e32 v1, 0xff7fffff
	v_lshlrev_b32_e32 v6, 2, v26
	s_waitcnt lgkmcnt(0)
	s_barrier
	buffer_gl0_inv
	s_and_saveexec_b32 s2, s1
; %bb.176:
	ds_read_b32 v1, v6 offset:320
; %bb.177:
	s_or_b32 exec_lo, exec_lo, s2
	v_xor_b32_e32 v3, 2, v33
	v_xor_b32_e32 v9, 1, v33
	v_cmp_lt_i32_e64 s2, v3, v34
	v_cndmask_b32_e64 v3, v33, v3, s2
	v_cmp_lt_i32_e64 s2, v9, v34
	v_lshlrev_b32_e32 v8, 2, v3
	v_cndmask_b32_e64 v9, v33, v9, s2
	s_sub_i32 s2, s11, s15
	s_lshl_b32 s2, s2, 3
	s_waitcnt lgkmcnt(0)
	ds_bpermute_b32 v3, v8, v1
	v_max_f32_e32 v1, v1, v1
	v_lshlrev_b32_e32 v27, 2, v9
	s_add_i32 s2, s2, s33
	v_mov_b32_e32 v9, 0
	s_min_i32 s2, s2, s27
	s_sub_i32 s4, s2, s33
	v_cmp_gt_i32_e64 s2, s4, v0
	s_waitcnt lgkmcnt(0)
	v_max_f32_e32 v3, v3, v3
	v_max_f32_e32 v1, v1, v3
	ds_bpermute_b32 v3, v27, v1
	s_waitcnt lgkmcnt(0)
	v_max_f32_e32 v3, v3, v3
	v_max_f32_e32 v1, v1, v3
	v_lshlrev_b32_e32 v3, 2, v24
	ds_bpermute_b32 v1, v3, v1
	v_lshl_add_u32 v3, v0, 2, 0x160
	s_and_saveexec_b32 s5, s2
	s_cbranch_execz .LBB200_181
; %bb.178:
	v_lshl_add_u32 v10, v0, 2, 0x160
	v_mov_b32_e32 v9, 0
	v_mov_b32_e32 v11, v0
	s_mov_b32 s15, 0
	.p2align	6
.LBB200_179:                            ; =>This Inner Loop Header: Depth=1
	ds_read_b32 v12, v10
	v_add_nc_u32_e32 v11, 0x80, v11
	v_cmp_le_i32_e64 s3, s4, v11
	s_or_b32 s15, s3, s15
	s_waitcnt lgkmcnt(0)
	v_sub_f32_e32 v12, v12, v1
	v_mul_f32_e32 v12, 0x3fb8aa3b, v12
	v_exp_f32_e32 v12, v12
	ds_write_b32 v10, v12
	v_add_f32_e32 v9, v9, v12
	v_add_nc_u32_e32 v10, 0x200, v10
	s_andn2_b32 exec_lo, exec_lo, s15
	s_cbranch_execnz .LBB200_179
; %bb.180:
	s_or_b32 exec_lo, exec_lo, s15
.LBB200_181:
	s_or_b32 exec_lo, exec_lo, s5
	ds_bpermute_b32 v2, v2, v9
	s_waitcnt lgkmcnt(0)
	v_add_f32_e32 v2, v9, v2
	ds_bpermute_b32 v4, v4, v2
	s_waitcnt lgkmcnt(0)
	v_add_f32_e32 v2, v2, v4
	;; [unrolled: 3-line block ×5, first 2 shown]
	s_and_saveexec_b32 s3, vcc_lo
; %bb.182:
	ds_write_b32 v5, v2 offset:336
; %bb.183:
	s_or_b32 exec_lo, exec_lo, s3
	s_waitcnt lgkmcnt(0)
	s_barrier
	buffer_gl0_inv
	s_and_saveexec_b32 s3, s1
; %bb.184:
	ds_read_b32 v2, v6 offset:336
; %bb.185:
	s_or_b32 exec_lo, exec_lo, s3
	s_waitcnt lgkmcnt(0)
	ds_bpermute_b32 v4, v8, v2
	v_lshlrev_b32_e32 v5, 2, v33
	s_waitcnt lgkmcnt(0)
	v_add_f32_e32 v2, v2, v4
	ds_bpermute_b32 v4, v27, v2
	s_waitcnt lgkmcnt(0)
	v_add_f32_e32 v2, v2, v4
	v_and_b32_e32 v4, 0xffffff80, v5
	ds_bpermute_b32 v2, v4, v2
	s_and_saveexec_b32 s1, s2
	s_cbranch_execz .LBB200_188
; %bb.186:
	s_waitcnt lgkmcnt(0)
	v_add_f32_e32 v4, 0x358637bd, v2
	s_mov_b32 s2, 0
	v_div_scale_f32 v5, null, v4, v4, 1.0
	v_div_scale_f32 v8, vcc_lo, 1.0, v4, 1.0
	v_rcp_f32_e32 v6, v5
	v_fma_f32 v7, -v5, v6, 1.0
	v_fmac_f32_e32 v6, v7, v6
	v_mul_f32_e32 v7, v8, v6
	v_fma_f32 v9, -v5, v7, v8
	v_fmac_f32_e32 v7, v9, v6
	v_fma_f32 v5, -v5, v7, v8
	v_div_fmas_f32 v5, v5, v6, v7
	v_div_fixup_f32 v4, v5, v4, 1.0
	v_mov_b32_e32 v5, v0
.LBB200_187:                            ; =>This Inner Loop Header: Depth=1
	ds_read_b32 v6, v3
	v_add_nc_u32_e32 v5, 0x80, v5
	v_cmp_le_i32_e32 vcc_lo, s4, v5
	s_or_b32 s2, vcc_lo, s2
	s_waitcnt lgkmcnt(0)
	v_mul_f32_e32 v6, v4, v6
	ds_write_b32 v3, v6
	v_add_nc_u32_e32 v3, 0x200, v3
	s_andn2_b32 exec_lo, exec_lo, s2
	s_cbranch_execnz .LBB200_187
.LBB200_188:
	s_or_b32 exec_lo, exec_lo, s1
	s_mul_i32 s1, s7, s26
	s_waitcnt lgkmcnt(0)
	s_mul_i32 s2, s1, s9
	s_mov_b32 s1, exec_lo
	s_barrier
	buffer_gl0_inv
	v_cmpx_eq_u32_e32 0, v0
	s_cbranch_execz .LBB200_190
; %bb.189:
	s_ashr_i32 s3, s2, 31
	s_mul_i32 s16, s7, s6
	s_lshl_b64 s[4:5], s[2:3], 2
	v_mov_b32_e32 v3, 0
	s_add_u32 s3, s22, s4
	s_addc_u32 s6, s23, s5
	s_ashr_i32 s17, s16, 31
	s_lshl_b64 s[16:17], s[16:17], 2
	s_add_u32 s3, s3, s16
	s_addc_u32 s6, s6, s17
	s_ashr_i32 s9, s8, 31
	s_lshl_b64 s[22:23], s[8:9], 2
	s_add_u32 s36, s3, s22
	s_addc_u32 s37, s6, s23
	s_add_u32 s3, s20, s4
	s_addc_u32 s4, s21, s5
	;; [unrolled: 2-line block ×4, first 2 shown]
	global_store_dword v3, v1, s[36:37]
	global_store_dword v3, v2, s[4:5]
.LBB200_190:
	s_or_b32 exec_lo, exec_lo, s1
	v_mov_b32_e32 v33, 0
	v_and_b32_e32 v28, 1, v0
	v_mov_b32_e32 v35, 0
	v_mov_b32_e32 v34, 0
	;; [unrolled: 1-line block ×4, first 2 shown]
	s_and_saveexec_b32 s1, s0
	s_cbranch_execz .LBB200_364
; %bb.191:
	s_load_dword s3, s[18:19], 0x0
	v_and_b32_e32 v1, 4, v32
	v_and_b32_e32 v2, 0x7c, v32
	v_lshl_add_u32 v4, v31, 3, s33
	s_ashr_i32 s0, s14, 31
	s_add_u32 s4, s34, s14
	v_lshlrev_b32_e32 v3, 4, v28
	s_addc_u32 s0, s35, s0
	v_add_co_u32 v7, s4, s4, v2
	v_add3_u32 v32, v4, v1, 3
	v_lshlrev_b64 v[1:2], 2, v[21:22]
	v_add_co_ci_u32_e64 v8, null, s0, 0, s4
	s_lshl_b64 s[4:5], s[30:31], 2
	s_add_i32 s12, s12, -1
	v_lshl_or_b32 v3, v31, 5, v3
	s_add_u32 s0, s28, s4
	s_addc_u32 s4, s29, s5
	v_add_co_u32 v9, vcc_lo, s0, v1
	v_mov_b32_e32 v6, 0
	v_add_nc_u32_e32 v36, 0x160, v3
	v_add_co_ci_u32_e64 v10, null, s4, v2, vcc_lo
	v_mov_b32_e32 v37, 0x80
	v_bfrev_b32_e32 v12, 1
	v_mov_b32_e32 v38, 0xffff
	v_mov_b32_e32 v14, 0x7f800001
	;; [unrolled: 1-line block ×10, first 2 shown]
	s_mov_b32 s4, s13
	s_waitcnt lgkmcnt(0)
	s_mov_b32 s6, s3
	s_mov_b32 s5, 0
	s_branch .LBB200_193
.LBB200_192:                            ;   in Loop: Header=BB200_193 Depth=1
	s_or_b32 exec_lo, exec_lo, s0
	s_waitcnt lgkmcnt(0)
	v_mul_f32_e32 v16, v1, v58
	v_mul_f32_e32 v17, v1, v56
	;; [unrolled: 1-line block ×5, first 2 shown]
	v_fmac_f32_e32 v16, v2, v57
	v_fmac_f32_e32 v17, v2, v55
	;; [unrolled: 1-line block ×10, first 2 shown]
	v_add_nc_u32_e32 v21, 4, v21
	v_fmac_f32_e32 v16, v4, v24
	v_fmac_f32_e32 v17, v4, v53
	;; [unrolled: 1-line block ×5, first 2 shown]
	v_cmp_le_i32_e32 vcc_lo, s11, v21
	v_add_co_u32 v9, s0, v9, 16
	v_add_f32_e32 v30, v30, v16
	v_add_f32_e32 v34, v34, v17
	;; [unrolled: 1-line block ×5, first 2 shown]
	v_add_nc_u32_e32 v32, 32, v32
	v_add_nc_u32_e32 v36, 0x80, v36
	v_add_co_ci_u32_e64 v10, null, 0, v10, s0
	s_or_b32 s5, vcc_lo, s5
	s_andn2_b32 exec_lo, exec_lo, s5
	s_cbranch_execz .LBB200_363
.LBB200_193:                            ; =>This Inner Loop Header: Depth=1
	global_load_dword v1, v[9:10], off
	v_mov_b32_e32 v19, 0
	v_mov_b32_e32 v17, 0
	;; [unrolled: 1-line block ×4, first 2 shown]
	s_waitcnt vmcnt(0)
	v_mad_i64_i32 v[15:16], null, v1, s4, v[7:8]
	ds_read_b128 v[1:4], v36
	global_load_dword v42, v[15:16], off
	s_waitcnt vmcnt(0)
	v_cmp_ne_u16_sdwa s9, v42, v6 src0_sel:BYTE_0 src1_sel:DWORD
	s_and_saveexec_b32 s0, s9
	s_cbranch_execz .LBB200_201
; %bb.194:                              ;   in Loop: Header=BB200_193 Depth=1
	v_bfrev_b32_e32 v17, 1
	v_mov_b32_e32 v18, 0
	v_cmp_ne_u16_sdwa s13, v42, v37 src0_sel:BYTE_0 src1_sel:DWORD
	s_and_saveexec_b32 s9, s13
	s_cbranch_execz .LBB200_200
; %bb.195:                              ;   in Loop: Header=BB200_193 Depth=1
	v_mov_b32_e32 v17, 0x7f800001
	v_and_b32_e32 v13, 0x7f, v42
	v_mov_b32_e32 v18, 0
	s_mov_b32 s13, exec_lo
	v_cmpx_ne_u32_e32 0x7f, v13
	s_cbranch_execz .LBB200_199
; %bb.196:                              ;   in Loop: Header=BB200_193 Depth=1
	v_and_b32_e32 v5, 7, v42
	v_lshrrev_b32_e32 v11, 3, v13
	s_mov_b32 s14, exec_lo
	v_cmpx_gt_u32_e32 8, v13
; %bb.197:                              ;   in Loop: Header=BB200_193 Depth=1
	v_ffbh_u32_e32 v11, v5
	v_min_u32_e32 v11, 32, v11
	v_subrev_nc_u32_e32 v13, 28, v11
	v_sub_nc_u32_e32 v11, 29, v11
	v_lshlrev_b64 v[17:18], v13, v[5:6]
	v_and_b32_e32 v5, 7, v17
; %bb.198:                              ;   in Loop: Header=BB200_193 Depth=1
	s_or_b32 exec_lo, exec_lo, s14
	v_lshlrev_b32_e32 v13, 24, v42
	v_lshlrev_b32_e32 v5, 20, v5
	v_lshl_add_u32 v11, v11, 23, 0x3c000000
	v_and_b32_e32 v13, 0x80000000, v13
	v_or3_b32 v5, v5, v13, v11
	v_mov_b32_e32 v18, v6
	v_mov_b32_e32 v17, v5
.LBB200_199:                            ;   in Loop: Header=BB200_193 Depth=1
	s_or_b32 exec_lo, exec_lo, s13
.LBB200_200:                            ;   in Loop: Header=BB200_193 Depth=1
	s_or_b32 exec_lo, exec_lo, s9
.LBB200_201:                            ;   in Loop: Header=BB200_193 Depth=1
	s_or_b32 exec_lo, exec_lo, s0
	v_cmp_ne_u16_sdwa s9, v42, v6 src0_sel:BYTE_1 src1_sel:DWORD
	s_and_saveexec_b32 s0, s9
	s_cbranch_execz .LBB200_209
; %bb.202:                              ;   in Loop: Header=BB200_193 Depth=1
	v_mov_b32_e32 v11, v6
	v_mov_b32_e32 v20, v12
	v_cmp_ne_u16_sdwa s13, v42, v37 src0_sel:BYTE_1 src1_sel:DWORD
	v_mov_b32_e32 v19, v11
	s_and_saveexec_b32 s9, s13
	s_cbranch_execz .LBB200_208
; %bb.203:                              ;   in Loop: Header=BB200_193 Depth=1
	v_and_b32_sdwa v5, v38, v42 dst_sel:DWORD dst_unused:UNUSED_PAD src0_sel:DWORD src1_sel:BYTE_1
	v_mov_b32_e32 v13, v6
	v_mov_b32_e32 v20, v14
	s_mov_b32 s13, exec_lo
	v_and_b32_e32 v22, 0x7f, v5
	v_mov_b32_e32 v19, v13
	v_cmpx_ne_u32_e32 0x7f, v22
	s_cbranch_execz .LBB200_207
; %bb.204:                              ;   in Loop: Header=BB200_193 Depth=1
	v_and_b32_e32 v5, 7, v5
	v_lshrrev_b32_e32 v11, 3, v22
	s_mov_b32 s14, exec_lo
	v_cmpx_gt_u32_e32 8, v22
; %bb.205:                              ;   in Loop: Header=BB200_193 Depth=1
	v_ffbh_u32_e32 v11, v5
	v_min_u32_e32 v11, 32, v11
	v_subrev_nc_u32_e32 v13, 28, v11
	v_sub_nc_u32_e32 v11, 29, v11
	v_lshlrev_b64 v[19:20], v13, v[5:6]
	v_and_b32_e32 v5, 7, v19
; %bb.206:                              ;   in Loop: Header=BB200_193 Depth=1
	s_or_b32 exec_lo, exec_lo, s14
	v_lshlrev_b32_e32 v13, 16, v42
	v_lshlrev_b32_e32 v5, 20, v5
	v_lshl_add_u32 v11, v11, 23, 0x3c000000
	v_mov_b32_e32 v19, v6
	v_and_b32_e32 v13, 0x80000000, v13
	v_or3_b32 v20, v5, v13, v11
.LBB200_207:                            ;   in Loop: Header=BB200_193 Depth=1
	s_or_b32 exec_lo, exec_lo, s13
.LBB200_208:                            ;   in Loop: Header=BB200_193 Depth=1
	s_or_b32 exec_lo, exec_lo, s9
.LBB200_209:                            ;   in Loop: Header=BB200_193 Depth=1
	s_or_b32 exec_lo, exec_lo, s0
	v_mov_b32_e32 v24, 0
	v_mov_b32_e32 v22, 0
	v_and_b32_sdwa v5, v42, v39 dst_sel:DWORD dst_unused:UNUSED_PAD src0_sel:WORD_1 src1_sel:DWORD
	v_mov_b32_e32 v25, 0
	v_mov_b32_e32 v23, 0
	s_mov_b32 s0, exec_lo
	v_cmpx_ne_u16_e32 0, v5
	s_cbranch_execz .LBB200_217
; %bb.210:                              ;   in Loop: Header=BB200_193 Depth=1
	v_bfrev_b32_e32 v22, 1
	v_mov_b32_e32 v23, 0
	s_mov_b32 s9, exec_lo
	v_cmpx_ne_u16_e32 0x80, v5
	s_cbranch_execz .LBB200_216
; %bb.211:                              ;   in Loop: Header=BB200_193 Depth=1
	v_mov_b32_e32 v22, 0x7f800001
	v_bfe_u32 v13, v42, 16, 7
	v_mov_b32_e32 v23, 0
	s_mov_b32 s13, exec_lo
	v_cmpx_ne_u32_e32 0x7f, v13
	s_cbranch_execz .LBB200_215
; %bb.212:                              ;   in Loop: Header=BB200_193 Depth=1
	v_and_b32_sdwa v5, v42, v40 dst_sel:DWORD dst_unused:UNUSED_PAD src0_sel:WORD_1 src1_sel:DWORD
	v_lshrrev_b32_e32 v11, 3, v13
	s_mov_b32 s14, exec_lo
	v_cmpx_gt_u32_e32 8, v13
; %bb.213:                              ;   in Loop: Header=BB200_193 Depth=1
	v_ffbh_u32_e32 v11, v5
	v_min_u32_e32 v11, 32, v11
	v_subrev_nc_u32_e32 v13, 28, v11
	v_sub_nc_u32_e32 v11, 29, v11
	v_lshlrev_b64 v[22:23], v13, v[5:6]
	v_and_b32_e32 v5, 7, v22
; %bb.214:                              ;   in Loop: Header=BB200_193 Depth=1
	s_or_b32 exec_lo, exec_lo, s14
	v_lshlrev_b32_sdwa v13, v41, v42 dst_sel:DWORD dst_unused:UNUSED_PAD src0_sel:DWORD src1_sel:WORD_1
	v_lshlrev_b32_e32 v5, 20, v5
	v_lshl_add_u32 v11, v11, 23, 0x3c000000
	v_and_b32_e32 v13, 0x80000000, v13
	v_or3_b32 v5, v5, v13, v11
	v_mov_b32_e32 v23, v6
	v_mov_b32_e32 v22, v5
.LBB200_215:                            ;   in Loop: Header=BB200_193 Depth=1
	s_or_b32 exec_lo, exec_lo, s13
.LBB200_216:                            ;   in Loop: Header=BB200_193 Depth=1
	s_or_b32 exec_lo, exec_lo, s9
.LBB200_217:                            ;   in Loop: Header=BB200_193 Depth=1
	s_or_b32 exec_lo, exec_lo, s0
	s_mov_b32 s0, exec_lo
	v_cmpx_lt_u32_e32 0xffffff, v42
	s_cbranch_execz .LBB200_225
; %bb.218:                              ;   in Loop: Header=BB200_193 Depth=1
	v_mov_b32_e32 v11, v6
	v_mov_b32_e32 v25, v12
	v_cmp_ne_u32_sdwa s13, v42, v37 src0_sel:BYTE_3 src1_sel:DWORD
	v_mov_b32_e32 v24, v11
	s_and_saveexec_b32 s9, s13
	s_cbranch_execz .LBB200_224
; %bb.219:                              ;   in Loop: Header=BB200_193 Depth=1
	v_mov_b32_e32 v13, v6
	v_mov_b32_e32 v25, v14
	v_bfe_u32 v43, v42, 24, 7
	s_mov_b32 s13, exec_lo
	v_mov_b32_e32 v24, v13
	v_cmpx_ne_u32_e32 0x7f, v43
	s_cbranch_execz .LBB200_223
; %bb.220:                              ;   in Loop: Header=BB200_193 Depth=1
	v_and_b32_sdwa v5, v42, v40 dst_sel:DWORD dst_unused:UNUSED_PAD src0_sel:BYTE_3 src1_sel:DWORD
	v_lshrrev_b32_e32 v11, 3, v43
	s_mov_b32 s14, exec_lo
	v_cmpx_gt_u32_e32 8, v43
; %bb.221:                              ;   in Loop: Header=BB200_193 Depth=1
	v_ffbh_u32_e32 v11, v5
	v_min_u32_e32 v11, 32, v11
	v_subrev_nc_u32_e32 v13, 28, v11
	v_sub_nc_u32_e32 v11, 29, v11
	v_lshlrev_b64 v[24:25], v13, v[5:6]
	v_and_b32_e32 v5, 7, v24
; %bb.222:                              ;   in Loop: Header=BB200_193 Depth=1
	s_or_b32 exec_lo, exec_lo, s14
	v_lshlrev_b32_sdwa v13, v41, v42 dst_sel:DWORD dst_unused:UNUSED_PAD src0_sel:DWORD src1_sel:BYTE_3
	v_lshlrev_b32_e32 v5, 20, v5
	v_lshl_add_u32 v11, v11, 23, 0x3c000000
	v_mov_b32_e32 v24, v6
	v_and_b32_e32 v13, 0x80000000, v13
	v_or3_b32 v25, v5, v13, v11
.LBB200_223:                            ;   in Loop: Header=BB200_193 Depth=1
	s_or_b32 exec_lo, exec_lo, s13
.LBB200_224:                            ;   in Loop: Header=BB200_193 Depth=1
	s_or_b32 exec_lo, exec_lo, s9
.LBB200_225:                            ;   in Loop: Header=BB200_193 Depth=1
	s_or_b32 exec_lo, exec_lo, s0
	v_or_b32_e32 v5, v20, v18
	v_or_b32_e32 v11, v19, v17
	;; [unrolled: 1-line block ×4, first 2 shown]
	v_add_nc_u32_e32 v46, -3, v32
	v_cmp_eq_u32_e32 vcc_lo, s12, v21
	v_mul_f32_e32 v44, s6, v5
	v_mul_f32_e32 v45, s3, v11
	;; [unrolled: 1-line block ×4, first 2 shown]
	v_add_nc_u32_e32 v48, -2, v32
	v_add_nc_u32_e32 v47, -1, v32
	s_and_saveexec_b32 s9, vcc_lo
	s_cbranch_execz .LBB200_227
; %bb.226:                              ;   in Loop: Header=BB200_193 Depth=1
	v_cmp_gt_i32_e64 s0, s27, v46
	v_cndmask_b32_e64 v45, 0, v45, s0
	v_cmp_gt_i32_e64 s0, s27, v48
	v_cndmask_b32_e64 v44, 0, v44, s0
	;; [unrolled: 2-line block ×4, first 2 shown]
.LBB200_227:                            ;   in Loop: Header=BB200_193 Depth=1
	s_or_b32 exec_lo, exec_lo, s9
	global_load_dword v49, v[15:16], off offset:128
	v_mov_b32_e32 v19, 0
	v_mov_b32_e32 v17, 0
	;; [unrolled: 1-line block ×4, first 2 shown]
	s_waitcnt vmcnt(0)
	v_cmp_ne_u16_sdwa s0, v49, v6 src0_sel:BYTE_0 src1_sel:DWORD
	s_and_saveexec_b32 s9, s0
	s_cbranch_execz .LBB200_235
; %bb.228:                              ;   in Loop: Header=BB200_193 Depth=1
	v_bfrev_b32_e32 v17, 1
	v_mov_b32_e32 v18, 0
	v_cmp_ne_u16_sdwa s0, v49, v37 src0_sel:BYTE_0 src1_sel:DWORD
	s_and_saveexec_b32 s13, s0
	s_cbranch_execz .LBB200_234
; %bb.229:                              ;   in Loop: Header=BB200_193 Depth=1
	v_mov_b32_e32 v17, 0x7f800001
	v_and_b32_e32 v13, 0x7f, v49
	v_mov_b32_e32 v18, 0
	s_mov_b32 s14, exec_lo
	v_cmpx_ne_u32_e32 0x7f, v13
	s_cbranch_execz .LBB200_233
; %bb.230:                              ;   in Loop: Header=BB200_193 Depth=1
	v_and_b32_e32 v5, 7, v49
	v_lshrrev_b32_e32 v11, 3, v13
	s_mov_b32 s15, exec_lo
	v_cmpx_gt_u32_e32 8, v13
; %bb.231:                              ;   in Loop: Header=BB200_193 Depth=1
	v_ffbh_u32_e32 v11, v5
	v_min_u32_e32 v11, 32, v11
	v_subrev_nc_u32_e32 v13, 28, v11
	v_sub_nc_u32_e32 v11, 29, v11
	v_lshlrev_b64 v[17:18], v13, v[5:6]
	v_and_b32_e32 v5, 7, v17
; %bb.232:                              ;   in Loop: Header=BB200_193 Depth=1
	s_or_b32 exec_lo, exec_lo, s15
	v_lshlrev_b32_e32 v13, 24, v49
	v_lshlrev_b32_e32 v5, 20, v5
	v_lshl_add_u32 v11, v11, 23, 0x3c000000
	v_and_b32_e32 v13, 0x80000000, v13
	v_or3_b32 v5, v5, v13, v11
	v_mov_b32_e32 v18, v6
	v_mov_b32_e32 v17, v5
.LBB200_233:                            ;   in Loop: Header=BB200_193 Depth=1
	s_or_b32 exec_lo, exec_lo, s14
.LBB200_234:                            ;   in Loop: Header=BB200_193 Depth=1
	s_or_b32 exec_lo, exec_lo, s13
.LBB200_235:                            ;   in Loop: Header=BB200_193 Depth=1
	s_or_b32 exec_lo, exec_lo, s9
	v_cmp_ne_u16_sdwa s0, v49, v6 src0_sel:BYTE_1 src1_sel:DWORD
	s_and_saveexec_b32 s9, s0
	s_cbranch_execz .LBB200_243
; %bb.236:                              ;   in Loop: Header=BB200_193 Depth=1
	v_mov_b32_e32 v11, v6
	v_mov_b32_e32 v20, v12
	v_cmp_ne_u16_sdwa s0, v49, v37 src0_sel:BYTE_1 src1_sel:DWORD
	v_mov_b32_e32 v19, v11
	s_and_saveexec_b32 s13, s0
	s_cbranch_execz .LBB200_242
; %bb.237:                              ;   in Loop: Header=BB200_193 Depth=1
	v_and_b32_sdwa v5, v38, v49 dst_sel:DWORD dst_unused:UNUSED_PAD src0_sel:DWORD src1_sel:BYTE_1
	v_mov_b32_e32 v13, v6
	v_mov_b32_e32 v20, v14
	s_mov_b32 s14, exec_lo
	v_and_b32_e32 v22, 0x7f, v5
	v_mov_b32_e32 v19, v13
	v_cmpx_ne_u32_e32 0x7f, v22
	s_cbranch_execz .LBB200_241
; %bb.238:                              ;   in Loop: Header=BB200_193 Depth=1
	v_and_b32_e32 v5, 7, v5
	v_lshrrev_b32_e32 v11, 3, v22
	s_mov_b32 s15, exec_lo
	v_cmpx_gt_u32_e32 8, v22
; %bb.239:                              ;   in Loop: Header=BB200_193 Depth=1
	v_ffbh_u32_e32 v11, v5
	v_min_u32_e32 v11, 32, v11
	v_subrev_nc_u32_e32 v13, 28, v11
	v_sub_nc_u32_e32 v11, 29, v11
	v_lshlrev_b64 v[19:20], v13, v[5:6]
	v_and_b32_e32 v5, 7, v19
; %bb.240:                              ;   in Loop: Header=BB200_193 Depth=1
	s_or_b32 exec_lo, exec_lo, s15
	v_lshlrev_b32_e32 v13, 16, v49
	v_lshlrev_b32_e32 v5, 20, v5
	v_lshl_add_u32 v11, v11, 23, 0x3c000000
	v_mov_b32_e32 v19, v6
	v_and_b32_e32 v13, 0x80000000, v13
	v_or3_b32 v20, v5, v13, v11
.LBB200_241:                            ;   in Loop: Header=BB200_193 Depth=1
	s_or_b32 exec_lo, exec_lo, s14
.LBB200_242:                            ;   in Loop: Header=BB200_193 Depth=1
	s_or_b32 exec_lo, exec_lo, s13
.LBB200_243:                            ;   in Loop: Header=BB200_193 Depth=1
	s_or_b32 exec_lo, exec_lo, s9
	v_mov_b32_e32 v24, 0
	v_mov_b32_e32 v22, 0
	v_and_b32_sdwa v5, v49, v39 dst_sel:DWORD dst_unused:UNUSED_PAD src0_sel:WORD_1 src1_sel:DWORD
	v_mov_b32_e32 v25, 0
	v_mov_b32_e32 v23, 0
	s_mov_b32 s9, exec_lo
	v_cmpx_ne_u16_e32 0, v5
	s_cbranch_execz .LBB200_251
; %bb.244:                              ;   in Loop: Header=BB200_193 Depth=1
	v_bfrev_b32_e32 v22, 1
	v_mov_b32_e32 v23, 0
	s_mov_b32 s13, exec_lo
	v_cmpx_ne_u16_e32 0x80, v5
	s_cbranch_execz .LBB200_250
; %bb.245:                              ;   in Loop: Header=BB200_193 Depth=1
	v_mov_b32_e32 v22, 0x7f800001
	v_bfe_u32 v13, v49, 16, 7
	v_mov_b32_e32 v23, 0
	s_mov_b32 s14, exec_lo
	v_cmpx_ne_u32_e32 0x7f, v13
	s_cbranch_execz .LBB200_249
; %bb.246:                              ;   in Loop: Header=BB200_193 Depth=1
	v_and_b32_sdwa v5, v49, v40 dst_sel:DWORD dst_unused:UNUSED_PAD src0_sel:WORD_1 src1_sel:DWORD
	v_lshrrev_b32_e32 v11, 3, v13
	s_mov_b32 s15, exec_lo
	v_cmpx_gt_u32_e32 8, v13
; %bb.247:                              ;   in Loop: Header=BB200_193 Depth=1
	v_ffbh_u32_e32 v11, v5
	v_min_u32_e32 v11, 32, v11
	v_subrev_nc_u32_e32 v13, 28, v11
	v_sub_nc_u32_e32 v11, 29, v11
	v_lshlrev_b64 v[22:23], v13, v[5:6]
	v_and_b32_e32 v5, 7, v22
; %bb.248:                              ;   in Loop: Header=BB200_193 Depth=1
	s_or_b32 exec_lo, exec_lo, s15
	v_lshlrev_b32_sdwa v13, v41, v49 dst_sel:DWORD dst_unused:UNUSED_PAD src0_sel:DWORD src1_sel:WORD_1
	v_lshlrev_b32_e32 v5, 20, v5
	v_lshl_add_u32 v11, v11, 23, 0x3c000000
	v_and_b32_e32 v13, 0x80000000, v13
	v_or3_b32 v5, v5, v13, v11
	v_mov_b32_e32 v23, v6
	v_mov_b32_e32 v22, v5
.LBB200_249:                            ;   in Loop: Header=BB200_193 Depth=1
	s_or_b32 exec_lo, exec_lo, s14
.LBB200_250:                            ;   in Loop: Header=BB200_193 Depth=1
	s_or_b32 exec_lo, exec_lo, s13
.LBB200_251:                            ;   in Loop: Header=BB200_193 Depth=1
	s_or_b32 exec_lo, exec_lo, s9
	s_mov_b32 s9, exec_lo
	v_cmpx_lt_u32_e32 0xffffff, v49
	s_cbranch_execz .LBB200_259
; %bb.252:                              ;   in Loop: Header=BB200_193 Depth=1
	v_mov_b32_e32 v11, v6
	v_mov_b32_e32 v25, v12
	v_cmp_ne_u32_sdwa s0, v49, v37 src0_sel:BYTE_3 src1_sel:DWORD
	v_mov_b32_e32 v24, v11
	s_and_saveexec_b32 s13, s0
	s_cbranch_execz .LBB200_258
; %bb.253:                              ;   in Loop: Header=BB200_193 Depth=1
	v_mov_b32_e32 v13, v6
	v_mov_b32_e32 v25, v14
	v_bfe_u32 v50, v49, 24, 7
	s_mov_b32 s14, exec_lo
	v_mov_b32_e32 v24, v13
	v_cmpx_ne_u32_e32 0x7f, v50
	s_cbranch_execz .LBB200_257
; %bb.254:                              ;   in Loop: Header=BB200_193 Depth=1
	v_and_b32_sdwa v5, v49, v40 dst_sel:DWORD dst_unused:UNUSED_PAD src0_sel:BYTE_3 src1_sel:DWORD
	v_lshrrev_b32_e32 v11, 3, v50
	s_mov_b32 s15, exec_lo
	v_cmpx_gt_u32_e32 8, v50
; %bb.255:                              ;   in Loop: Header=BB200_193 Depth=1
	v_ffbh_u32_e32 v11, v5
	v_min_u32_e32 v11, 32, v11
	v_subrev_nc_u32_e32 v13, 28, v11
	v_sub_nc_u32_e32 v11, 29, v11
	v_lshlrev_b64 v[24:25], v13, v[5:6]
	v_and_b32_e32 v5, 7, v24
; %bb.256:                              ;   in Loop: Header=BB200_193 Depth=1
	s_or_b32 exec_lo, exec_lo, s15
	v_lshlrev_b32_sdwa v13, v41, v49 dst_sel:DWORD dst_unused:UNUSED_PAD src0_sel:DWORD src1_sel:BYTE_3
	v_lshlrev_b32_e32 v5, 20, v5
	v_lshl_add_u32 v11, v11, 23, 0x3c000000
	v_mov_b32_e32 v24, v6
	v_and_b32_e32 v13, 0x80000000, v13
	v_or3_b32 v25, v5, v13, v11
.LBB200_257:                            ;   in Loop: Header=BB200_193 Depth=1
	s_or_b32 exec_lo, exec_lo, s14
.LBB200_258:                            ;   in Loop: Header=BB200_193 Depth=1
	s_or_b32 exec_lo, exec_lo, s13
.LBB200_259:                            ;   in Loop: Header=BB200_193 Depth=1
	s_or_b32 exec_lo, exec_lo, s9
	v_or_b32_e32 v5, v20, v18
	v_or_b32_e32 v11, v19, v17
	;; [unrolled: 1-line block ×4, first 2 shown]
	v_mul_f32_e32 v51, s6, v5
	v_mul_f32_e32 v52, s3, v11
	v_mul_f32_e32 v50, s3, v13
	v_mul_f32_e32 v49, s6, v17
	s_and_saveexec_b32 s9, vcc_lo
	s_cbranch_execz .LBB200_261
; %bb.260:                              ;   in Loop: Header=BB200_193 Depth=1
	v_cmp_gt_i32_e64 s0, s27, v46
	v_cndmask_b32_e64 v52, 0, v52, s0
	v_cmp_gt_i32_e64 s0, s27, v48
	v_cndmask_b32_e64 v51, 0, v51, s0
	;; [unrolled: 2-line block ×4, first 2 shown]
.LBB200_261:                            ;   in Loop: Header=BB200_193 Depth=1
	s_or_b32 exec_lo, exec_lo, s9
	global_load_dword v53, v[15:16], off offset:256
	v_mov_b32_e32 v19, 0
	v_mov_b32_e32 v17, 0
	;; [unrolled: 1-line block ×4, first 2 shown]
	s_waitcnt vmcnt(0)
	v_cmp_ne_u16_sdwa s0, v53, v6 src0_sel:BYTE_0 src1_sel:DWORD
	s_and_saveexec_b32 s9, s0
	s_cbranch_execz .LBB200_269
; %bb.262:                              ;   in Loop: Header=BB200_193 Depth=1
	v_bfrev_b32_e32 v17, 1
	v_mov_b32_e32 v18, 0
	v_cmp_ne_u16_sdwa s0, v53, v37 src0_sel:BYTE_0 src1_sel:DWORD
	s_and_saveexec_b32 s13, s0
	s_cbranch_execz .LBB200_268
; %bb.263:                              ;   in Loop: Header=BB200_193 Depth=1
	v_mov_b32_e32 v17, 0x7f800001
	v_and_b32_e32 v13, 0x7f, v53
	v_mov_b32_e32 v18, 0
	s_mov_b32 s14, exec_lo
	v_cmpx_ne_u32_e32 0x7f, v13
	s_cbranch_execz .LBB200_267
; %bb.264:                              ;   in Loop: Header=BB200_193 Depth=1
	v_and_b32_e32 v5, 7, v53
	v_lshrrev_b32_e32 v11, 3, v13
	s_mov_b32 s15, exec_lo
	v_cmpx_gt_u32_e32 8, v13
; %bb.265:                              ;   in Loop: Header=BB200_193 Depth=1
	v_ffbh_u32_e32 v11, v5
	v_min_u32_e32 v11, 32, v11
	v_subrev_nc_u32_e32 v13, 28, v11
	v_sub_nc_u32_e32 v11, 29, v11
	v_lshlrev_b64 v[17:18], v13, v[5:6]
	v_and_b32_e32 v5, 7, v17
; %bb.266:                              ;   in Loop: Header=BB200_193 Depth=1
	s_or_b32 exec_lo, exec_lo, s15
	v_lshlrev_b32_e32 v13, 24, v53
	v_lshlrev_b32_e32 v5, 20, v5
	v_lshl_add_u32 v11, v11, 23, 0x3c000000
	v_and_b32_e32 v13, 0x80000000, v13
	v_or3_b32 v5, v5, v13, v11
	v_mov_b32_e32 v18, v6
	v_mov_b32_e32 v17, v5
.LBB200_267:                            ;   in Loop: Header=BB200_193 Depth=1
	s_or_b32 exec_lo, exec_lo, s14
.LBB200_268:                            ;   in Loop: Header=BB200_193 Depth=1
	s_or_b32 exec_lo, exec_lo, s13
.LBB200_269:                            ;   in Loop: Header=BB200_193 Depth=1
	s_or_b32 exec_lo, exec_lo, s9
	v_cmp_ne_u16_sdwa s0, v53, v6 src0_sel:BYTE_1 src1_sel:DWORD
	s_and_saveexec_b32 s9, s0
	s_cbranch_execz .LBB200_277
; %bb.270:                              ;   in Loop: Header=BB200_193 Depth=1
	v_mov_b32_e32 v11, v6
	v_mov_b32_e32 v20, v12
	v_cmp_ne_u16_sdwa s0, v53, v37 src0_sel:BYTE_1 src1_sel:DWORD
	v_mov_b32_e32 v19, v11
	s_and_saveexec_b32 s13, s0
	s_cbranch_execz .LBB200_276
; %bb.271:                              ;   in Loop: Header=BB200_193 Depth=1
	v_and_b32_sdwa v5, v38, v53 dst_sel:DWORD dst_unused:UNUSED_PAD src0_sel:DWORD src1_sel:BYTE_1
	v_mov_b32_e32 v13, v6
	v_mov_b32_e32 v20, v14
	s_mov_b32 s14, exec_lo
	v_and_b32_e32 v22, 0x7f, v5
	v_mov_b32_e32 v19, v13
	v_cmpx_ne_u32_e32 0x7f, v22
	s_cbranch_execz .LBB200_275
; %bb.272:                              ;   in Loop: Header=BB200_193 Depth=1
	v_and_b32_e32 v5, 7, v5
	v_lshrrev_b32_e32 v11, 3, v22
	s_mov_b32 s15, exec_lo
	v_cmpx_gt_u32_e32 8, v22
; %bb.273:                              ;   in Loop: Header=BB200_193 Depth=1
	v_ffbh_u32_e32 v11, v5
	v_min_u32_e32 v11, 32, v11
	v_subrev_nc_u32_e32 v13, 28, v11
	v_sub_nc_u32_e32 v11, 29, v11
	v_lshlrev_b64 v[19:20], v13, v[5:6]
	v_and_b32_e32 v5, 7, v19
; %bb.274:                              ;   in Loop: Header=BB200_193 Depth=1
	s_or_b32 exec_lo, exec_lo, s15
	v_lshlrev_b32_e32 v13, 16, v53
	v_lshlrev_b32_e32 v5, 20, v5
	v_lshl_add_u32 v11, v11, 23, 0x3c000000
	v_mov_b32_e32 v19, v6
	v_and_b32_e32 v13, 0x80000000, v13
	v_or3_b32 v20, v5, v13, v11
.LBB200_275:                            ;   in Loop: Header=BB200_193 Depth=1
	s_or_b32 exec_lo, exec_lo, s14
.LBB200_276:                            ;   in Loop: Header=BB200_193 Depth=1
	s_or_b32 exec_lo, exec_lo, s13
.LBB200_277:                            ;   in Loop: Header=BB200_193 Depth=1
	s_or_b32 exec_lo, exec_lo, s9
	v_mov_b32_e32 v24, 0
	v_mov_b32_e32 v22, 0
	v_and_b32_sdwa v5, v53, v39 dst_sel:DWORD dst_unused:UNUSED_PAD src0_sel:WORD_1 src1_sel:DWORD
	v_mov_b32_e32 v25, 0
	v_mov_b32_e32 v23, 0
	s_mov_b32 s9, exec_lo
	v_cmpx_ne_u16_e32 0, v5
	s_cbranch_execz .LBB200_285
; %bb.278:                              ;   in Loop: Header=BB200_193 Depth=1
	v_bfrev_b32_e32 v22, 1
	v_mov_b32_e32 v23, 0
	s_mov_b32 s13, exec_lo
	v_cmpx_ne_u16_e32 0x80, v5
	s_cbranch_execz .LBB200_284
; %bb.279:                              ;   in Loop: Header=BB200_193 Depth=1
	v_mov_b32_e32 v22, 0x7f800001
	v_bfe_u32 v13, v53, 16, 7
	v_mov_b32_e32 v23, 0
	s_mov_b32 s14, exec_lo
	v_cmpx_ne_u32_e32 0x7f, v13
	s_cbranch_execz .LBB200_283
; %bb.280:                              ;   in Loop: Header=BB200_193 Depth=1
	v_and_b32_sdwa v5, v53, v40 dst_sel:DWORD dst_unused:UNUSED_PAD src0_sel:WORD_1 src1_sel:DWORD
	v_lshrrev_b32_e32 v11, 3, v13
	s_mov_b32 s15, exec_lo
	v_cmpx_gt_u32_e32 8, v13
; %bb.281:                              ;   in Loop: Header=BB200_193 Depth=1
	v_ffbh_u32_e32 v11, v5
	v_min_u32_e32 v11, 32, v11
	v_subrev_nc_u32_e32 v13, 28, v11
	v_sub_nc_u32_e32 v11, 29, v11
	v_lshlrev_b64 v[22:23], v13, v[5:6]
	v_and_b32_e32 v5, 7, v22
; %bb.282:                              ;   in Loop: Header=BB200_193 Depth=1
	s_or_b32 exec_lo, exec_lo, s15
	v_lshlrev_b32_sdwa v13, v41, v53 dst_sel:DWORD dst_unused:UNUSED_PAD src0_sel:DWORD src1_sel:WORD_1
	v_lshlrev_b32_e32 v5, 20, v5
	v_lshl_add_u32 v11, v11, 23, 0x3c000000
	v_and_b32_e32 v13, 0x80000000, v13
	v_or3_b32 v5, v5, v13, v11
	v_mov_b32_e32 v23, v6
	v_mov_b32_e32 v22, v5
.LBB200_283:                            ;   in Loop: Header=BB200_193 Depth=1
	s_or_b32 exec_lo, exec_lo, s14
.LBB200_284:                            ;   in Loop: Header=BB200_193 Depth=1
	s_or_b32 exec_lo, exec_lo, s13
.LBB200_285:                            ;   in Loop: Header=BB200_193 Depth=1
	s_or_b32 exec_lo, exec_lo, s9
	s_mov_b32 s9, exec_lo
	v_cmpx_lt_u32_e32 0xffffff, v53
	s_cbranch_execz .LBB200_293
; %bb.286:                              ;   in Loop: Header=BB200_193 Depth=1
	v_mov_b32_e32 v11, v6
	v_mov_b32_e32 v25, v12
	v_cmp_ne_u32_sdwa s0, v53, v37 src0_sel:BYTE_3 src1_sel:DWORD
	v_mov_b32_e32 v24, v11
	s_and_saveexec_b32 s13, s0
	s_cbranch_execz .LBB200_292
; %bb.287:                              ;   in Loop: Header=BB200_193 Depth=1
	v_mov_b32_e32 v13, v6
	v_mov_b32_e32 v25, v14
	v_bfe_u32 v54, v53, 24, 7
	s_mov_b32 s14, exec_lo
	v_mov_b32_e32 v24, v13
	v_cmpx_ne_u32_e32 0x7f, v54
	s_cbranch_execz .LBB200_291
; %bb.288:                              ;   in Loop: Header=BB200_193 Depth=1
	v_and_b32_sdwa v5, v53, v40 dst_sel:DWORD dst_unused:UNUSED_PAD src0_sel:BYTE_3 src1_sel:DWORD
	v_lshrrev_b32_e32 v11, 3, v54
	s_mov_b32 s15, exec_lo
	v_cmpx_gt_u32_e32 8, v54
; %bb.289:                              ;   in Loop: Header=BB200_193 Depth=1
	v_ffbh_u32_e32 v11, v5
	v_min_u32_e32 v11, 32, v11
	v_subrev_nc_u32_e32 v13, 28, v11
	v_sub_nc_u32_e32 v11, 29, v11
	v_lshlrev_b64 v[24:25], v13, v[5:6]
	v_and_b32_e32 v5, 7, v24
; %bb.290:                              ;   in Loop: Header=BB200_193 Depth=1
	s_or_b32 exec_lo, exec_lo, s15
	v_lshlrev_b32_sdwa v13, v41, v53 dst_sel:DWORD dst_unused:UNUSED_PAD src0_sel:DWORD src1_sel:BYTE_3
	v_lshlrev_b32_e32 v5, 20, v5
	v_lshl_add_u32 v11, v11, 23, 0x3c000000
	v_mov_b32_e32 v24, v6
	v_and_b32_e32 v13, 0x80000000, v13
	v_or3_b32 v25, v5, v13, v11
.LBB200_291:                            ;   in Loop: Header=BB200_193 Depth=1
	s_or_b32 exec_lo, exec_lo, s14
.LBB200_292:                            ;   in Loop: Header=BB200_193 Depth=1
	s_or_b32 exec_lo, exec_lo, s13
.LBB200_293:                            ;   in Loop: Header=BB200_193 Depth=1
	s_or_b32 exec_lo, exec_lo, s9
	v_or_b32_e32 v5, v20, v18
	v_or_b32_e32 v11, v19, v17
	;; [unrolled: 1-line block ×4, first 2 shown]
	v_mul_f32_e32 v55, s6, v5
	v_mul_f32_e32 v56, s3, v11
	;; [unrolled: 1-line block ×4, first 2 shown]
	s_and_saveexec_b32 s9, vcc_lo
	s_cbranch_execz .LBB200_295
; %bb.294:                              ;   in Loop: Header=BB200_193 Depth=1
	v_cmp_gt_i32_e64 s0, s27, v46
	v_cndmask_b32_e64 v56, 0, v56, s0
	v_cmp_gt_i32_e64 s0, s27, v48
	v_cndmask_b32_e64 v55, 0, v55, s0
	;; [unrolled: 2-line block ×4, first 2 shown]
.LBB200_295:                            ;   in Loop: Header=BB200_193 Depth=1
	s_or_b32 exec_lo, exec_lo, s9
	global_load_dword v57, v[15:16], off offset:384
	v_mov_b32_e32 v19, 0
	v_mov_b32_e32 v17, 0
	;; [unrolled: 1-line block ×4, first 2 shown]
	s_waitcnt vmcnt(0)
	v_cmp_ne_u16_sdwa s0, v57, v6 src0_sel:BYTE_0 src1_sel:DWORD
	s_and_saveexec_b32 s9, s0
	s_cbranch_execz .LBB200_303
; %bb.296:                              ;   in Loop: Header=BB200_193 Depth=1
	v_bfrev_b32_e32 v17, 1
	v_mov_b32_e32 v18, 0
	v_cmp_ne_u16_sdwa s0, v57, v37 src0_sel:BYTE_0 src1_sel:DWORD
	s_and_saveexec_b32 s13, s0
	s_cbranch_execz .LBB200_302
; %bb.297:                              ;   in Loop: Header=BB200_193 Depth=1
	v_mov_b32_e32 v17, 0x7f800001
	v_and_b32_e32 v13, 0x7f, v57
	v_mov_b32_e32 v18, 0
	s_mov_b32 s14, exec_lo
	v_cmpx_ne_u32_e32 0x7f, v13
	s_cbranch_execz .LBB200_301
; %bb.298:                              ;   in Loop: Header=BB200_193 Depth=1
	v_and_b32_e32 v5, 7, v57
	v_lshrrev_b32_e32 v11, 3, v13
	s_mov_b32 s15, exec_lo
	v_cmpx_gt_u32_e32 8, v13
; %bb.299:                              ;   in Loop: Header=BB200_193 Depth=1
	v_ffbh_u32_e32 v11, v5
	v_min_u32_e32 v11, 32, v11
	v_subrev_nc_u32_e32 v13, 28, v11
	v_sub_nc_u32_e32 v11, 29, v11
	v_lshlrev_b64 v[17:18], v13, v[5:6]
	v_and_b32_e32 v5, 7, v17
; %bb.300:                              ;   in Loop: Header=BB200_193 Depth=1
	s_or_b32 exec_lo, exec_lo, s15
	v_lshlrev_b32_e32 v13, 24, v57
	v_lshlrev_b32_e32 v5, 20, v5
	v_lshl_add_u32 v11, v11, 23, 0x3c000000
	v_and_b32_e32 v13, 0x80000000, v13
	v_or3_b32 v5, v5, v13, v11
	v_mov_b32_e32 v18, v6
	v_mov_b32_e32 v17, v5
.LBB200_301:                            ;   in Loop: Header=BB200_193 Depth=1
	s_or_b32 exec_lo, exec_lo, s14
.LBB200_302:                            ;   in Loop: Header=BB200_193 Depth=1
	s_or_b32 exec_lo, exec_lo, s13
.LBB200_303:                            ;   in Loop: Header=BB200_193 Depth=1
	s_or_b32 exec_lo, exec_lo, s9
	v_cmp_ne_u16_sdwa s0, v57, v6 src0_sel:BYTE_1 src1_sel:DWORD
	s_and_saveexec_b32 s9, s0
	s_cbranch_execz .LBB200_311
; %bb.304:                              ;   in Loop: Header=BB200_193 Depth=1
	v_mov_b32_e32 v11, v6
	v_mov_b32_e32 v20, v12
	v_cmp_ne_u16_sdwa s0, v57, v37 src0_sel:BYTE_1 src1_sel:DWORD
	v_mov_b32_e32 v19, v11
	s_and_saveexec_b32 s13, s0
	s_cbranch_execz .LBB200_310
; %bb.305:                              ;   in Loop: Header=BB200_193 Depth=1
	v_and_b32_sdwa v5, v38, v57 dst_sel:DWORD dst_unused:UNUSED_PAD src0_sel:DWORD src1_sel:BYTE_1
	v_mov_b32_e32 v13, v6
	v_mov_b32_e32 v20, v14
	s_mov_b32 s14, exec_lo
	v_and_b32_e32 v22, 0x7f, v5
	v_mov_b32_e32 v19, v13
	v_cmpx_ne_u32_e32 0x7f, v22
	s_cbranch_execz .LBB200_309
; %bb.306:                              ;   in Loop: Header=BB200_193 Depth=1
	v_and_b32_e32 v5, 7, v5
	v_lshrrev_b32_e32 v11, 3, v22
	s_mov_b32 s15, exec_lo
	v_cmpx_gt_u32_e32 8, v22
; %bb.307:                              ;   in Loop: Header=BB200_193 Depth=1
	v_ffbh_u32_e32 v11, v5
	v_min_u32_e32 v11, 32, v11
	v_subrev_nc_u32_e32 v13, 28, v11
	v_sub_nc_u32_e32 v11, 29, v11
	v_lshlrev_b64 v[19:20], v13, v[5:6]
	v_and_b32_e32 v5, 7, v19
; %bb.308:                              ;   in Loop: Header=BB200_193 Depth=1
	s_or_b32 exec_lo, exec_lo, s15
	v_lshlrev_b32_e32 v13, 16, v57
	v_lshlrev_b32_e32 v5, 20, v5
	v_lshl_add_u32 v11, v11, 23, 0x3c000000
	v_mov_b32_e32 v19, v6
	v_and_b32_e32 v13, 0x80000000, v13
	v_or3_b32 v20, v5, v13, v11
.LBB200_309:                            ;   in Loop: Header=BB200_193 Depth=1
	s_or_b32 exec_lo, exec_lo, s14
.LBB200_310:                            ;   in Loop: Header=BB200_193 Depth=1
	s_or_b32 exec_lo, exec_lo, s13
.LBB200_311:                            ;   in Loop: Header=BB200_193 Depth=1
	s_or_b32 exec_lo, exec_lo, s9
	v_mov_b32_e32 v24, 0
	v_mov_b32_e32 v22, 0
	v_and_b32_sdwa v5, v57, v39 dst_sel:DWORD dst_unused:UNUSED_PAD src0_sel:WORD_1 src1_sel:DWORD
	v_mov_b32_e32 v25, 0
	v_mov_b32_e32 v23, 0
	s_mov_b32 s9, exec_lo
	v_cmpx_ne_u16_e32 0, v5
	s_cbranch_execz .LBB200_319
; %bb.312:                              ;   in Loop: Header=BB200_193 Depth=1
	v_bfrev_b32_e32 v22, 1
	v_mov_b32_e32 v23, 0
	s_mov_b32 s13, exec_lo
	v_cmpx_ne_u16_e32 0x80, v5
	s_cbranch_execz .LBB200_318
; %bb.313:                              ;   in Loop: Header=BB200_193 Depth=1
	v_mov_b32_e32 v22, 0x7f800001
	v_bfe_u32 v13, v57, 16, 7
	v_mov_b32_e32 v23, 0
	s_mov_b32 s14, exec_lo
	v_cmpx_ne_u32_e32 0x7f, v13
	s_cbranch_execz .LBB200_317
; %bb.314:                              ;   in Loop: Header=BB200_193 Depth=1
	v_and_b32_sdwa v5, v57, v40 dst_sel:DWORD dst_unused:UNUSED_PAD src0_sel:WORD_1 src1_sel:DWORD
	v_lshrrev_b32_e32 v11, 3, v13
	s_mov_b32 s15, exec_lo
	v_cmpx_gt_u32_e32 8, v13
; %bb.315:                              ;   in Loop: Header=BB200_193 Depth=1
	v_ffbh_u32_e32 v11, v5
	v_min_u32_e32 v11, 32, v11
	v_subrev_nc_u32_e32 v13, 28, v11
	v_sub_nc_u32_e32 v11, 29, v11
	v_lshlrev_b64 v[22:23], v13, v[5:6]
	v_and_b32_e32 v5, 7, v22
; %bb.316:                              ;   in Loop: Header=BB200_193 Depth=1
	s_or_b32 exec_lo, exec_lo, s15
	v_lshlrev_b32_sdwa v13, v41, v57 dst_sel:DWORD dst_unused:UNUSED_PAD src0_sel:DWORD src1_sel:WORD_1
	v_lshlrev_b32_e32 v5, 20, v5
	v_lshl_add_u32 v11, v11, 23, 0x3c000000
	v_and_b32_e32 v13, 0x80000000, v13
	v_or3_b32 v5, v5, v13, v11
	v_mov_b32_e32 v23, v6
	v_mov_b32_e32 v22, v5
.LBB200_317:                            ;   in Loop: Header=BB200_193 Depth=1
	s_or_b32 exec_lo, exec_lo, s14
.LBB200_318:                            ;   in Loop: Header=BB200_193 Depth=1
	s_or_b32 exec_lo, exec_lo, s13
.LBB200_319:                            ;   in Loop: Header=BB200_193 Depth=1
	s_or_b32 exec_lo, exec_lo, s9
	s_mov_b32 s9, exec_lo
	v_cmpx_lt_u32_e32 0xffffff, v57
	s_cbranch_execz .LBB200_327
; %bb.320:                              ;   in Loop: Header=BB200_193 Depth=1
	v_mov_b32_e32 v11, v6
	v_mov_b32_e32 v25, v12
	v_cmp_ne_u32_sdwa s0, v57, v37 src0_sel:BYTE_3 src1_sel:DWORD
	v_mov_b32_e32 v24, v11
	s_and_saveexec_b32 s13, s0
	s_cbranch_execz .LBB200_326
; %bb.321:                              ;   in Loop: Header=BB200_193 Depth=1
	v_mov_b32_e32 v13, v6
	v_mov_b32_e32 v25, v14
	v_bfe_u32 v58, v57, 24, 7
	s_mov_b32 s14, exec_lo
	v_mov_b32_e32 v24, v13
	v_cmpx_ne_u32_e32 0x7f, v58
	s_cbranch_execz .LBB200_325
; %bb.322:                              ;   in Loop: Header=BB200_193 Depth=1
	v_and_b32_sdwa v5, v57, v40 dst_sel:DWORD dst_unused:UNUSED_PAD src0_sel:BYTE_3 src1_sel:DWORD
	v_lshrrev_b32_e32 v11, 3, v58
	s_mov_b32 s15, exec_lo
	v_cmpx_gt_u32_e32 8, v58
; %bb.323:                              ;   in Loop: Header=BB200_193 Depth=1
	v_ffbh_u32_e32 v11, v5
	v_min_u32_e32 v11, 32, v11
	v_subrev_nc_u32_e32 v13, 28, v11
	v_sub_nc_u32_e32 v11, 29, v11
	v_lshlrev_b64 v[24:25], v13, v[5:6]
	v_and_b32_e32 v5, 7, v24
; %bb.324:                              ;   in Loop: Header=BB200_193 Depth=1
	s_or_b32 exec_lo, exec_lo, s15
	v_lshlrev_b32_sdwa v13, v41, v57 dst_sel:DWORD dst_unused:UNUSED_PAD src0_sel:DWORD src1_sel:BYTE_3
	v_lshlrev_b32_e32 v5, 20, v5
	v_lshl_add_u32 v11, v11, 23, 0x3c000000
	v_mov_b32_e32 v24, v6
	v_and_b32_e32 v13, 0x80000000, v13
	v_or3_b32 v25, v5, v13, v11
.LBB200_325:                            ;   in Loop: Header=BB200_193 Depth=1
	s_or_b32 exec_lo, exec_lo, s14
.LBB200_326:                            ;   in Loop: Header=BB200_193 Depth=1
	s_or_b32 exec_lo, exec_lo, s13
.LBB200_327:                            ;   in Loop: Header=BB200_193 Depth=1
	s_or_b32 exec_lo, exec_lo, s9
	v_or_b32_e32 v5, v20, v18
	v_or_b32_e32 v11, v19, v17
	;; [unrolled: 1-line block ×4, first 2 shown]
	v_mul_f32_e32 v57, s6, v5
	v_mul_f32_e32 v58, s3, v11
	v_mul_f32_e32 v25, s3, v13
	v_mul_f32_e32 v24, s6, v17
	s_and_saveexec_b32 s9, vcc_lo
	s_cbranch_execz .LBB200_329
; %bb.328:                              ;   in Loop: Header=BB200_193 Depth=1
	v_cmp_gt_i32_e64 s0, s27, v46
	v_cndmask_b32_e64 v58, 0, v58, s0
	v_cmp_gt_i32_e64 s0, s27, v48
	v_cndmask_b32_e64 v57, 0, v57, s0
	;; [unrolled: 2-line block ×4, first 2 shown]
.LBB200_329:                            ;   in Loop: Header=BB200_193 Depth=1
	s_or_b32 exec_lo, exec_lo, s9
	global_load_dword v59, v[15:16], off offset:512
	v_mov_b32_e32 v17, 0
	v_mov_b32_e32 v15, 0
	;; [unrolled: 1-line block ×4, first 2 shown]
	s_waitcnt vmcnt(0)
	v_cmp_ne_u16_sdwa s0, v59, v6 src0_sel:BYTE_0 src1_sel:DWORD
	s_and_saveexec_b32 s9, s0
	s_cbranch_execz .LBB200_337
; %bb.330:                              ;   in Loop: Header=BB200_193 Depth=1
	v_bfrev_b32_e32 v15, 1
	v_mov_b32_e32 v16, 0
	v_cmp_ne_u16_sdwa s0, v59, v37 src0_sel:BYTE_0 src1_sel:DWORD
	s_and_saveexec_b32 s13, s0
	s_cbranch_execz .LBB200_336
; %bb.331:                              ;   in Loop: Header=BB200_193 Depth=1
	v_mov_b32_e32 v15, 0x7f800001
	v_and_b32_e32 v13, 0x7f, v59
	v_mov_b32_e32 v16, 0
	s_mov_b32 s14, exec_lo
	v_cmpx_ne_u32_e32 0x7f, v13
	s_cbranch_execz .LBB200_335
; %bb.332:                              ;   in Loop: Header=BB200_193 Depth=1
	v_and_b32_e32 v5, 7, v59
	v_lshrrev_b32_e32 v11, 3, v13
	s_mov_b32 s15, exec_lo
	v_cmpx_gt_u32_e32 8, v13
; %bb.333:                              ;   in Loop: Header=BB200_193 Depth=1
	v_ffbh_u32_e32 v11, v5
	v_min_u32_e32 v11, 32, v11
	v_subrev_nc_u32_e32 v13, 28, v11
	v_sub_nc_u32_e32 v11, 29, v11
	v_lshlrev_b64 v[15:16], v13, v[5:6]
	v_and_b32_e32 v5, 7, v15
; %bb.334:                              ;   in Loop: Header=BB200_193 Depth=1
	s_or_b32 exec_lo, exec_lo, s15
	v_lshlrev_b32_e32 v13, 24, v59
	v_lshlrev_b32_e32 v5, 20, v5
	v_lshl_add_u32 v11, v11, 23, 0x3c000000
	v_and_b32_e32 v13, 0x80000000, v13
	v_or3_b32 v5, v5, v13, v11
	v_mov_b32_e32 v16, v6
	v_mov_b32_e32 v15, v5
.LBB200_335:                            ;   in Loop: Header=BB200_193 Depth=1
	s_or_b32 exec_lo, exec_lo, s14
.LBB200_336:                            ;   in Loop: Header=BB200_193 Depth=1
	s_or_b32 exec_lo, exec_lo, s13
.LBB200_337:                            ;   in Loop: Header=BB200_193 Depth=1
	s_or_b32 exec_lo, exec_lo, s9
	v_cmp_ne_u16_sdwa s0, v59, v6 src0_sel:BYTE_1 src1_sel:DWORD
	s_and_saveexec_b32 s9, s0
	s_cbranch_execz .LBB200_345
; %bb.338:                              ;   in Loop: Header=BB200_193 Depth=1
	v_mov_b32_e32 v11, v6
	v_mov_b32_e32 v18, v12
	v_cmp_ne_u16_sdwa s0, v59, v37 src0_sel:BYTE_1 src1_sel:DWORD
	v_mov_b32_e32 v17, v11
	s_and_saveexec_b32 s13, s0
	s_cbranch_execz .LBB200_344
; %bb.339:                              ;   in Loop: Header=BB200_193 Depth=1
	v_and_b32_sdwa v5, v38, v59 dst_sel:DWORD dst_unused:UNUSED_PAD src0_sel:DWORD src1_sel:BYTE_1
	v_mov_b32_e32 v13, v6
	v_mov_b32_e32 v18, v14
	s_mov_b32 s14, exec_lo
	v_and_b32_e32 v19, 0x7f, v5
	v_mov_b32_e32 v17, v13
	v_cmpx_ne_u32_e32 0x7f, v19
	s_cbranch_execz .LBB200_343
; %bb.340:                              ;   in Loop: Header=BB200_193 Depth=1
	v_and_b32_e32 v5, 7, v5
	v_lshrrev_b32_e32 v11, 3, v19
	s_mov_b32 s15, exec_lo
	v_cmpx_gt_u32_e32 8, v19
; %bb.341:                              ;   in Loop: Header=BB200_193 Depth=1
	v_ffbh_u32_e32 v11, v5
	v_min_u32_e32 v11, 32, v11
	v_subrev_nc_u32_e32 v13, 28, v11
	v_sub_nc_u32_e32 v11, 29, v11
	v_lshlrev_b64 v[17:18], v13, v[5:6]
	v_and_b32_e32 v5, 7, v17
; %bb.342:                              ;   in Loop: Header=BB200_193 Depth=1
	s_or_b32 exec_lo, exec_lo, s15
	v_lshlrev_b32_e32 v13, 16, v59
	v_lshlrev_b32_e32 v5, 20, v5
	v_lshl_add_u32 v11, v11, 23, 0x3c000000
	v_mov_b32_e32 v17, v6
	v_and_b32_e32 v13, 0x80000000, v13
	v_or3_b32 v18, v5, v13, v11
.LBB200_343:                            ;   in Loop: Header=BB200_193 Depth=1
	s_or_b32 exec_lo, exec_lo, s14
.LBB200_344:                            ;   in Loop: Header=BB200_193 Depth=1
	s_or_b32 exec_lo, exec_lo, s13
.LBB200_345:                            ;   in Loop: Header=BB200_193 Depth=1
	s_or_b32 exec_lo, exec_lo, s9
	v_mov_b32_e32 v22, 0
	v_mov_b32_e32 v19, 0
	v_and_b32_sdwa v5, v59, v39 dst_sel:DWORD dst_unused:UNUSED_PAD src0_sel:WORD_1 src1_sel:DWORD
	v_mov_b32_e32 v23, 0
	v_mov_b32_e32 v20, 0
	s_mov_b32 s9, exec_lo
	v_cmpx_ne_u16_e32 0, v5
	s_cbranch_execz .LBB200_353
; %bb.346:                              ;   in Loop: Header=BB200_193 Depth=1
	v_bfrev_b32_e32 v19, 1
	v_mov_b32_e32 v20, 0
	s_mov_b32 s13, exec_lo
	v_cmpx_ne_u16_e32 0x80, v5
	s_cbranch_execz .LBB200_352
; %bb.347:                              ;   in Loop: Header=BB200_193 Depth=1
	v_mov_b32_e32 v19, 0x7f800001
	v_bfe_u32 v13, v59, 16, 7
	v_mov_b32_e32 v20, 0
	s_mov_b32 s14, exec_lo
	v_cmpx_ne_u32_e32 0x7f, v13
	s_cbranch_execz .LBB200_351
; %bb.348:                              ;   in Loop: Header=BB200_193 Depth=1
	v_and_b32_sdwa v5, v59, v40 dst_sel:DWORD dst_unused:UNUSED_PAD src0_sel:WORD_1 src1_sel:DWORD
	v_lshrrev_b32_e32 v11, 3, v13
	s_mov_b32 s15, exec_lo
	v_cmpx_gt_u32_e32 8, v13
; %bb.349:                              ;   in Loop: Header=BB200_193 Depth=1
	v_ffbh_u32_e32 v11, v5
	v_min_u32_e32 v11, 32, v11
	v_subrev_nc_u32_e32 v13, 28, v11
	v_sub_nc_u32_e32 v11, 29, v11
	v_lshlrev_b64 v[19:20], v13, v[5:6]
	v_and_b32_e32 v5, 7, v19
; %bb.350:                              ;   in Loop: Header=BB200_193 Depth=1
	s_or_b32 exec_lo, exec_lo, s15
	v_lshlrev_b32_sdwa v13, v41, v59 dst_sel:DWORD dst_unused:UNUSED_PAD src0_sel:DWORD src1_sel:WORD_1
	v_lshlrev_b32_e32 v5, 20, v5
	v_lshl_add_u32 v11, v11, 23, 0x3c000000
	v_and_b32_e32 v13, 0x80000000, v13
	v_or3_b32 v5, v5, v13, v11
	v_mov_b32_e32 v20, v6
	v_mov_b32_e32 v19, v5
.LBB200_351:                            ;   in Loop: Header=BB200_193 Depth=1
	s_or_b32 exec_lo, exec_lo, s14
.LBB200_352:                            ;   in Loop: Header=BB200_193 Depth=1
	s_or_b32 exec_lo, exec_lo, s13
.LBB200_353:                            ;   in Loop: Header=BB200_193 Depth=1
	s_or_b32 exec_lo, exec_lo, s9
	s_mov_b32 s9, exec_lo
	v_cmpx_lt_u32_e32 0xffffff, v59
	s_cbranch_execz .LBB200_361
; %bb.354:                              ;   in Loop: Header=BB200_193 Depth=1
	v_mov_b32_e32 v11, v6
	v_mov_b32_e32 v23, v12
	v_cmp_ne_u32_sdwa s0, v59, v37 src0_sel:BYTE_3 src1_sel:DWORD
	v_mov_b32_e32 v22, v11
	s_and_saveexec_b32 s13, s0
	s_cbranch_execz .LBB200_360
; %bb.355:                              ;   in Loop: Header=BB200_193 Depth=1
	v_mov_b32_e32 v13, v6
	v_mov_b32_e32 v23, v14
	v_bfe_u32 v60, v59, 24, 7
	s_mov_b32 s14, exec_lo
	v_mov_b32_e32 v22, v13
	v_cmpx_ne_u32_e32 0x7f, v60
	s_cbranch_execz .LBB200_359
; %bb.356:                              ;   in Loop: Header=BB200_193 Depth=1
	v_and_b32_sdwa v5, v59, v40 dst_sel:DWORD dst_unused:UNUSED_PAD src0_sel:BYTE_3 src1_sel:DWORD
	v_lshrrev_b32_e32 v11, 3, v60
	s_mov_b32 s15, exec_lo
	v_cmpx_gt_u32_e32 8, v60
; %bb.357:                              ;   in Loop: Header=BB200_193 Depth=1
	v_ffbh_u32_e32 v11, v5
	v_min_u32_e32 v11, 32, v11
	v_subrev_nc_u32_e32 v13, 28, v11
	v_sub_nc_u32_e32 v11, 29, v11
	v_lshlrev_b64 v[22:23], v13, v[5:6]
	v_and_b32_e32 v5, 7, v22
; %bb.358:                              ;   in Loop: Header=BB200_193 Depth=1
	s_or_b32 exec_lo, exec_lo, s15
	v_lshlrev_b32_sdwa v13, v41, v59 dst_sel:DWORD dst_unused:UNUSED_PAD src0_sel:DWORD src1_sel:BYTE_3
	v_lshlrev_b32_e32 v5, 20, v5
	v_lshl_add_u32 v11, v11, 23, 0x3c000000
	v_mov_b32_e32 v22, v6
	v_and_b32_e32 v13, 0x80000000, v13
	v_or3_b32 v23, v5, v13, v11
.LBB200_359:                            ;   in Loop: Header=BB200_193 Depth=1
	s_or_b32 exec_lo, exec_lo, s14
.LBB200_360:                            ;   in Loop: Header=BB200_193 Depth=1
	s_or_b32 exec_lo, exec_lo, s13
.LBB200_361:                            ;   in Loop: Header=BB200_193 Depth=1
	s_or_b32 exec_lo, exec_lo, s9
	v_or_b32_e32 v5, v18, v16
	v_or_b32_e32 v11, v17, v15
	;; [unrolled: 1-line block ×4, first 2 shown]
	v_mul_f32_e32 v13, s6, v5
	v_mul_f32_e32 v15, s3, v11
	;; [unrolled: 1-line block ×4, first 2 shown]
	s_and_saveexec_b32 s0, vcc_lo
	s_cbranch_execz .LBB200_192
; %bb.362:                              ;   in Loop: Header=BB200_193 Depth=1
	v_cmp_gt_i32_e32 vcc_lo, s27, v46
	v_cndmask_b32_e32 v15, 0, v15, vcc_lo
	v_cmp_gt_i32_e32 vcc_lo, s27, v48
	v_cndmask_b32_e32 v13, 0, v13, vcc_lo
	;; [unrolled: 2-line block ×4, first 2 shown]
	s_branch .LBB200_192
.LBB200_363:
	s_or_b32 exec_lo, exec_lo, s5
.LBB200_364:
	s_or_b32 exec_lo, exec_lo, s1
	ds_bpermute_b32 v1, v27, v33
	ds_bpermute_b32 v2, v27, v35
	;; [unrolled: 1-line block ×5, first 2 shown]
	v_lshrrev_b32_e32 v6, 1, v26
	v_mul_u32_u24_e32 v8, 0x140, v31
	v_and_b32_e32 v9, 0x3c1, v0
	s_mov_b32 s0, exec_lo
	s_waitcnt lgkmcnt(0)
	s_waitcnt_vscnt null, 0x0
	v_lshl_add_u32 v7, v6, 2, 0x160
	s_barrier
	buffer_gl0_inv
	v_add_f32_e32 v1, v33, v1
	v_add_f32_e32 v2, v35, v2
	;; [unrolled: 1-line block ×5, first 2 shown]
	v_cmpx_eq_u32_e32 64, v9
	s_cbranch_execz .LBB200_366
; %bb.365:
	v_add_nc_u32_e32 v9, v7, v8
	v_add_nc_u32_e32 v10, 0xfffffd80, v9
	;; [unrolled: 1-line block ×6, first 2 shown]
	ds_write_b32 v10, v1
	ds_write_b32 v11, v2
	;; [unrolled: 1-line block ×5, first 2 shown]
.LBB200_366:
	s_or_b32 exec_lo, exec_lo, s0
	v_lshlrev_b32_e32 v6, 2, v6
	s_mov_b32 s1, exec_lo
	v_cmp_eq_u32_e32 vcc_lo, 0, v28
	s_waitcnt lgkmcnt(0)
	s_barrier
	v_add3_u32 v6, 0x160, v8, v6
	buffer_gl0_inv
	v_cmpx_gt_u32_e32 64, v0
	s_cbranch_execz .LBB200_374
; %bb.367:
	s_and_saveexec_b32 s0, vcc_lo
	s_cbranch_execnz .LBB200_387
; %bb.368:
	s_or_b32 exec_lo, exec_lo, s0
	s_and_saveexec_b32 s0, vcc_lo
	s_cbranch_execnz .LBB200_388
.LBB200_369:
	s_or_b32 exec_lo, exec_lo, s0
	s_and_saveexec_b32 s0, vcc_lo
	s_cbranch_execnz .LBB200_389
.LBB200_370:
	s_or_b32 exec_lo, exec_lo, s0
	s_and_saveexec_b32 s0, vcc_lo
	s_cbranch_execnz .LBB200_390
.LBB200_371:
	s_or_b32 exec_lo, exec_lo, s0
	s_and_saveexec_b32 s0, vcc_lo
	s_cbranch_execz .LBB200_373
.LBB200_372:
	ds_read_b32 v8, v6 offset:256
	s_waitcnt lgkmcnt(0)
	v_add_f32_e32 v5, v5, v8
.LBB200_373:
	s_or_b32 exec_lo, exec_lo, s0
.LBB200_374:
	s_or_b32 exec_lo, exec_lo, s1
	v_and_b32_e32 v8, 0x3e1, v0
	s_mov_b32 s1, exec_lo
	s_barrier
	buffer_gl0_inv
	v_cmpx_eq_u32_e32 32, v8
	s_cbranch_execz .LBB200_376
; %bb.375:
	ds_write2_b32 v7, v1, v2 offset1:16
	ds_write2_b32 v7, v3, v4 offset0:32 offset1:48
	ds_write_b32 v7, v5 offset:256
.LBB200_376:
	s_or_b32 exec_lo, exec_lo, s1
	s_mov_b32 s1, exec_lo
	s_waitcnt lgkmcnt(0)
	s_barrier
	buffer_gl0_inv
	v_cmpx_gt_u32_e32 32, v0
	s_cbranch_execz .LBB200_384
; %bb.377:
	s_and_saveexec_b32 s0, vcc_lo
	s_cbranch_execnz .LBB200_391
; %bb.378:
	s_or_b32 exec_lo, exec_lo, s0
	s_and_saveexec_b32 s0, vcc_lo
	s_cbranch_execnz .LBB200_392
.LBB200_379:
	s_or_b32 exec_lo, exec_lo, s0
	s_and_saveexec_b32 s0, vcc_lo
	s_cbranch_execnz .LBB200_393
.LBB200_380:
	s_or_b32 exec_lo, exec_lo, s0
	s_and_saveexec_b32 s0, vcc_lo
	s_cbranch_execnz .LBB200_394
.LBB200_381:
	s_or_b32 exec_lo, exec_lo, s0
	s_and_saveexec_b32 s0, vcc_lo
	s_cbranch_execz .LBB200_383
.LBB200_382:
	ds_read_b32 v6, v6 offset:256
	s_waitcnt lgkmcnt(0)
	v_add_f32_e32 v5, v5, v6
.LBB200_383:
	s_or_b32 exec_lo, exec_lo, s0
.LBB200_384:
	s_or_b32 exec_lo, exec_lo, s1
	s_barrier
	buffer_gl0_inv
	s_mov_b32 s0, exec_lo
	v_cmpx_eq_u32_e32 0, v8
	s_cbranch_execz .LBB200_386
; %bb.385:
	s_mul_i32 s0, s2, 0x50
	s_mul_i32 s2, s7, s10
	s_ashr_i32 s1, s0, 31
	v_lshlrev_b32_e32 v0, 1, v0
	s_lshl_b64 s[0:1], s[0:1], 2
	s_add_u32 s4, s24, s0
	s_addc_u32 s5, s25, s1
	s_ashr_i32 s3, s2, 31
	s_lshl_b64 s[0:1], s[2:3], 2
	s_mul_i32 s2, s8, 0x50
	s_add_u32 s4, s4, s0
	s_addc_u32 s5, s5, s1
	s_ashr_i32 s3, s2, 31
	s_lshl_b64 s[0:1], s[2:3], 2
	s_add_u32 s0, s4, s0
	s_addc_u32 s1, s5, s1
	global_store_dword v0, v1, s[0:1]
	global_store_dword v0, v2, s[0:1] offset:64
	global_store_dword v0, v3, s[0:1] offset:128
	;; [unrolled: 1-line block ×4, first 2 shown]
.LBB200_386:
	s_endpgm
.LBB200_387:
	ds_read_b32 v8, v6
	s_waitcnt lgkmcnt(0)
	v_add_f32_e32 v1, v1, v8
	s_or_b32 exec_lo, exec_lo, s0
	s_and_saveexec_b32 s0, vcc_lo
	s_cbranch_execz .LBB200_369
.LBB200_388:
	ds_read_b32 v8, v6 offset:64
	s_waitcnt lgkmcnt(0)
	v_add_f32_e32 v2, v2, v8
	s_or_b32 exec_lo, exec_lo, s0
	s_and_saveexec_b32 s0, vcc_lo
	s_cbranch_execz .LBB200_370
.LBB200_389:
	ds_read_b32 v8, v6 offset:128
	s_waitcnt lgkmcnt(0)
	v_add_f32_e32 v3, v3, v8
	s_or_b32 exec_lo, exec_lo, s0
	s_and_saveexec_b32 s0, vcc_lo
	s_cbranch_execz .LBB200_371
.LBB200_390:
	ds_read_b32 v8, v6 offset:192
	s_waitcnt lgkmcnt(0)
	v_add_f32_e32 v4, v4, v8
	s_or_b32 exec_lo, exec_lo, s0
	s_and_saveexec_b32 s0, vcc_lo
	s_cbranch_execnz .LBB200_372
	s_branch .LBB200_373
.LBB200_391:
	ds_read_b32 v7, v6
	s_waitcnt lgkmcnt(0)
	v_add_f32_e32 v1, v1, v7
	s_or_b32 exec_lo, exec_lo, s0
	s_and_saveexec_b32 s0, vcc_lo
	s_cbranch_execz .LBB200_379
.LBB200_392:
	ds_read_b32 v7, v6 offset:64
	s_waitcnt lgkmcnt(0)
	v_add_f32_e32 v2, v2, v7
	s_or_b32 exec_lo, exec_lo, s0
	s_and_saveexec_b32 s0, vcc_lo
	s_cbranch_execz .LBB200_380
.LBB200_393:
	ds_read_b32 v7, v6 offset:128
	s_waitcnt lgkmcnt(0)
	v_add_f32_e32 v3, v3, v7
	s_or_b32 exec_lo, exec_lo, s0
	s_and_saveexec_b32 s0, vcc_lo
	s_cbranch_execz .LBB200_381
.LBB200_394:
	ds_read_b32 v7, v6 offset:192
	s_waitcnt lgkmcnt(0)
	v_add_f32_e32 v4, v4, v7
	s_or_b32 exec_lo, exec_lo, s0
	s_and_saveexec_b32 s0, vcc_lo
	s_cbranch_execnz .LBB200_382
	s_branch .LBB200_383
	.section	.rodata,"a",@progbits
	.p2align	6, 0x0
	.amdhsa_kernel _ZN4vllm25paged_attention_v2_kernelIfhLi80ELi8ELi128ELNS_18Fp8KVCacheDataTypeE1ELb0ELi512EEEvPfS2_PT_PKS3_PKT0_S9_ifPKiSB_iPKfiiiSD_SD_iiiii
		.amdhsa_group_segment_fixed_size 352
		.amdhsa_private_segment_fixed_size 0
		.amdhsa_kernarg_size 400
		.amdhsa_user_sgpr_count 6
		.amdhsa_user_sgpr_private_segment_buffer 1
		.amdhsa_user_sgpr_dispatch_ptr 0
		.amdhsa_user_sgpr_queue_ptr 0
		.amdhsa_user_sgpr_kernarg_segment_ptr 1
		.amdhsa_user_sgpr_dispatch_id 0
		.amdhsa_user_sgpr_flat_scratch_init 0
		.amdhsa_user_sgpr_private_segment_size 0
		.amdhsa_wavefront_size32 1
		.amdhsa_uses_dynamic_stack 0
		.amdhsa_system_sgpr_private_segment_wavefront_offset 0
		.amdhsa_system_sgpr_workgroup_id_x 1
		.amdhsa_system_sgpr_workgroup_id_y 1
		.amdhsa_system_sgpr_workgroup_id_z 1
		.amdhsa_system_sgpr_workgroup_info 0
		.amdhsa_system_vgpr_workitem_id 0
		.amdhsa_next_free_vgpr 66
		.amdhsa_next_free_sgpr 42
		.amdhsa_reserve_vcc 1
		.amdhsa_reserve_flat_scratch 0
		.amdhsa_float_round_mode_32 0
		.amdhsa_float_round_mode_16_64 0
		.amdhsa_float_denorm_mode_32 3
		.amdhsa_float_denorm_mode_16_64 3
		.amdhsa_dx10_clamp 1
		.amdhsa_ieee_mode 1
		.amdhsa_fp16_overflow 0
		.amdhsa_workgroup_processor_mode 1
		.amdhsa_memory_ordered 1
		.amdhsa_forward_progress 1
		.amdhsa_shared_vgpr_count 0
		.amdhsa_exception_fp_ieee_invalid_op 0
		.amdhsa_exception_fp_denorm_src 0
		.amdhsa_exception_fp_ieee_div_zero 0
		.amdhsa_exception_fp_ieee_overflow 0
		.amdhsa_exception_fp_ieee_underflow 0
		.amdhsa_exception_fp_ieee_inexact 0
		.amdhsa_exception_int_div_zero 0
	.end_amdhsa_kernel
	.section	.text._ZN4vllm25paged_attention_v2_kernelIfhLi80ELi8ELi128ELNS_18Fp8KVCacheDataTypeE1ELb0ELi512EEEvPfS2_PT_PKS3_PKT0_S9_ifPKiSB_iPKfiiiSD_SD_iiiii,"axG",@progbits,_ZN4vllm25paged_attention_v2_kernelIfhLi80ELi8ELi128ELNS_18Fp8KVCacheDataTypeE1ELb0ELi512EEEvPfS2_PT_PKS3_PKT0_S9_ifPKiSB_iPKfiiiSD_SD_iiiii,comdat
.Lfunc_end200:
	.size	_ZN4vllm25paged_attention_v2_kernelIfhLi80ELi8ELi128ELNS_18Fp8KVCacheDataTypeE1ELb0ELi512EEEvPfS2_PT_PKS3_PKT0_S9_ifPKiSB_iPKfiiiSD_SD_iiiii, .Lfunc_end200-_ZN4vllm25paged_attention_v2_kernelIfhLi80ELi8ELi128ELNS_18Fp8KVCacheDataTypeE1ELb0ELi512EEEvPfS2_PT_PKS3_PKT0_S9_ifPKiSB_iPKfiiiSD_SD_iiiii
                                        ; -- End function
	.set _ZN4vllm25paged_attention_v2_kernelIfhLi80ELi8ELi128ELNS_18Fp8KVCacheDataTypeE1ELb0ELi512EEEvPfS2_PT_PKS3_PKT0_S9_ifPKiSB_iPKfiiiSD_SD_iiiii.num_vgpr, 66
	.set _ZN4vllm25paged_attention_v2_kernelIfhLi80ELi8ELi128ELNS_18Fp8KVCacheDataTypeE1ELb0ELi512EEEvPfS2_PT_PKS3_PKT0_S9_ifPKiSB_iPKfiiiSD_SD_iiiii.num_agpr, 0
	.set _ZN4vllm25paged_attention_v2_kernelIfhLi80ELi8ELi128ELNS_18Fp8KVCacheDataTypeE1ELb0ELi512EEEvPfS2_PT_PKS3_PKT0_S9_ifPKiSB_iPKfiiiSD_SD_iiiii.numbered_sgpr, 42
	.set _ZN4vllm25paged_attention_v2_kernelIfhLi80ELi8ELi128ELNS_18Fp8KVCacheDataTypeE1ELb0ELi512EEEvPfS2_PT_PKS3_PKT0_S9_ifPKiSB_iPKfiiiSD_SD_iiiii.num_named_barrier, 0
	.set _ZN4vllm25paged_attention_v2_kernelIfhLi80ELi8ELi128ELNS_18Fp8KVCacheDataTypeE1ELb0ELi512EEEvPfS2_PT_PKS3_PKT0_S9_ifPKiSB_iPKfiiiSD_SD_iiiii.private_seg_size, 0
	.set _ZN4vllm25paged_attention_v2_kernelIfhLi80ELi8ELi128ELNS_18Fp8KVCacheDataTypeE1ELb0ELi512EEEvPfS2_PT_PKS3_PKT0_S9_ifPKiSB_iPKfiiiSD_SD_iiiii.uses_vcc, 1
	.set _ZN4vllm25paged_attention_v2_kernelIfhLi80ELi8ELi128ELNS_18Fp8KVCacheDataTypeE1ELb0ELi512EEEvPfS2_PT_PKS3_PKT0_S9_ifPKiSB_iPKfiiiSD_SD_iiiii.uses_flat_scratch, 0
	.set _ZN4vllm25paged_attention_v2_kernelIfhLi80ELi8ELi128ELNS_18Fp8KVCacheDataTypeE1ELb0ELi512EEEvPfS2_PT_PKS3_PKT0_S9_ifPKiSB_iPKfiiiSD_SD_iiiii.has_dyn_sized_stack, 0
	.set _ZN4vllm25paged_attention_v2_kernelIfhLi80ELi8ELi128ELNS_18Fp8KVCacheDataTypeE1ELb0ELi512EEEvPfS2_PT_PKS3_PKT0_S9_ifPKiSB_iPKfiiiSD_SD_iiiii.has_recursion, 0
	.set _ZN4vllm25paged_attention_v2_kernelIfhLi80ELi8ELi128ELNS_18Fp8KVCacheDataTypeE1ELb0ELi512EEEvPfS2_PT_PKS3_PKT0_S9_ifPKiSB_iPKfiiiSD_SD_iiiii.has_indirect_call, 0
	.section	.AMDGPU.csdata,"",@progbits
; Kernel info:
; codeLenInByte = 11676
; TotalNumSgprs: 44
; NumVgprs: 66
; ScratchSize: 0
; MemoryBound: 0
; FloatMode: 240
; IeeeMode: 1
; LDSByteSize: 352 bytes/workgroup (compile time only)
; SGPRBlocks: 0
; VGPRBlocks: 8
; NumSGPRsForWavesPerEU: 44
; NumVGPRsForWavesPerEU: 66
; Occupancy: 12
; WaveLimiterHint : 1
; COMPUTE_PGM_RSRC2:SCRATCH_EN: 0
; COMPUTE_PGM_RSRC2:USER_SGPR: 6
; COMPUTE_PGM_RSRC2:TRAP_HANDLER: 0
; COMPUTE_PGM_RSRC2:TGID_X_EN: 1
; COMPUTE_PGM_RSRC2:TGID_Y_EN: 1
; COMPUTE_PGM_RSRC2:TGID_Z_EN: 1
; COMPUTE_PGM_RSRC2:TIDIG_COMP_CNT: 0
	.section	.text._ZN4vllm25paged_attention_v2_kernelIfhLi96ELi8ELi128ELNS_18Fp8KVCacheDataTypeE1ELb0ELi512EEEvPfS2_PT_PKS3_PKT0_S9_ifPKiSB_iPKfiiiSD_SD_iiiii,"axG",@progbits,_ZN4vllm25paged_attention_v2_kernelIfhLi96ELi8ELi128ELNS_18Fp8KVCacheDataTypeE1ELb0ELi512EEEvPfS2_PT_PKS3_PKT0_S9_ifPKiSB_iPKfiiiSD_SD_iiiii,comdat
	.protected	_ZN4vllm25paged_attention_v2_kernelIfhLi96ELi8ELi128ELNS_18Fp8KVCacheDataTypeE1ELb0ELi512EEEvPfS2_PT_PKS3_PKT0_S9_ifPKiSB_iPKfiiiSD_SD_iiiii ; -- Begin function _ZN4vllm25paged_attention_v2_kernelIfhLi96ELi8ELi128ELNS_18Fp8KVCacheDataTypeE1ELb0ELi512EEEvPfS2_PT_PKS3_PKT0_S9_ifPKiSB_iPKfiiiSD_SD_iiiii
	.globl	_ZN4vllm25paged_attention_v2_kernelIfhLi96ELi8ELi128ELNS_18Fp8KVCacheDataTypeE1ELb0ELi512EEEvPfS2_PT_PKS3_PKT0_S9_ifPKiSB_iPKfiiiSD_SD_iiiii
	.p2align	8
	.type	_ZN4vllm25paged_attention_v2_kernelIfhLi96ELi8ELi128ELNS_18Fp8KVCacheDataTypeE1ELb0ELi512EEEvPfS2_PT_PKS3_PKT0_S9_ifPKiSB_iPKfiiiSD_SD_iiiii,@function
_ZN4vllm25paged_attention_v2_kernelIfhLi96ELi8ELi128ELNS_18Fp8KVCacheDataTypeE1ELb0ELi512EEEvPfS2_PT_PKS3_PKT0_S9_ifPKiSB_iPKfiiiSD_SD_iiiii: ; @_ZN4vllm25paged_attention_v2_kernelIfhLi96ELi8ELi128ELNS_18Fp8KVCacheDataTypeE1ELb0ELi512EEEvPfS2_PT_PKS3_PKT0_S9_ifPKiSB_iPKfiiiSD_SD_iiiii
; %bb.0:
	s_load_dwordx2 s[0:1], s[4:5], 0x40
	s_mov_b32 s26, s7
	s_ashr_i32 s27, s7, 31
	s_lshl_b64 s[2:3], s[26:27], 2
	s_waitcnt lgkmcnt(0)
	s_add_u32 s0, s0, s2
	s_addc_u32 s1, s1, s3
	s_lshl_b32 s33, s8, 9
	s_load_dword s27, s[0:1], 0x0
	s_waitcnt lgkmcnt(0)
	s_cmp_ge_i32 s33, s27
	s_cbranch_scc1 .LBB201_454
; %bb.1:
	s_clause 0x1
	s_load_dword s9, s[4:5], 0x90
	s_load_dwordx2 s[36:37], s[4:5], 0x30
	s_waitcnt lgkmcnt(0)
	s_abs_i32 s3, s9
	s_abs_i32 s0, s36
	v_cvt_f32_u32_e32 v1, s0
	s_sub_i32 s2, 0, s0
	v_rcp_iflag_f32_e32 v1, v1
	v_mul_f32_e32 v1, 0x4f7ffffe, v1
	v_cvt_u32_f32_e32 v1, v1
	v_readfirstlane_b32 s1, v1
	s_mul_i32 s2, s2, s1
	s_mul_hi_u32 s2, s1, s2
	s_add_i32 s1, s1, s2
	s_xor_b32 s2, s9, s36
	s_mul_hi_u32 s1, s3, s1
	s_ashr_i32 s2, s2, 31
	s_mul_i32 s7, s1, s0
	s_mov_b32 s36, 0
	s_sub_i32 s3, s3, s7
	s_add_i32 s7, s1, 1
	s_sub_i32 s10, s3, s0
	s_cmp_ge_u32 s3, s0
	s_cselect_b32 s1, s7, s1
	s_cselect_b32 s3, s10, s3
	s_add_i32 s7, s1, 1
	s_cmp_ge_u32 s3, s0
	s_cselect_b32 s0, s7, s1
	s_abs_i32 s16, s6
	s_xor_b32 s0, s0, s2
	s_sub_i32 s10, s0, s2
	s_load_dwordx2 s[0:1], s[4:5], 0x50
	s_abs_i32 s2, s10
	v_cvt_f32_u32_e32 v1, s2
	s_sub_i32 s7, 0, s2
	v_rcp_iflag_f32_e32 v1, v1
	v_mul_f32_e32 v1, 0x4f7ffffe, v1
	v_cvt_u32_f32_e32 v1, v1
	v_readfirstlane_b32 s3, v1
	s_mul_i32 s7, s7, s3
	s_mul_hi_u32 s7, s3, s7
	s_add_i32 s3, s3, s7
	s_waitcnt lgkmcnt(0)
	s_cmp_eq_u64 s[0:1], 0
	s_mul_hi_u32 s3, s16, s3
	s_cbranch_scc1 .LBB201_3
; %bb.2:
	s_ashr_i32 s7, s6, 31
	s_lshl_b64 s[12:13], s[6:7], 2
	s_add_u32 s0, s0, s12
	s_addc_u32 s1, s1, s13
	s_load_dword s36, s[0:1], 0x0
.LBB201_3:
	s_load_dwordx4 s[12:15], s[4:5], 0x58
	v_and_b32_e32 v27, 3, v0
	v_lshlrev_b32_e32 v36, 2, v0
	s_ashr_i32 s0, s6, 31
	s_ashr_i32 s1, s10, 31
	s_mul_i32 s10, s6, 0x60
	s_mov_b32 s7, exec_lo
	v_cmpx_gt_u32_e32 0x60, v0
	s_cbranch_execz .LBB201_5
; %bb.4:
	s_load_dwordx2 s[18:19], s[4:5], 0x18
	s_waitcnt lgkmcnt(0)
	s_mul_i32 s20, s12, s26
	v_and_b32_e32 v2, 0x3fc, v0
	s_ashr_i32 s21, s20, 31
	s_lshl_b64 s[20:21], s[20:21], 2
	v_mad_u32_u24 v2, 0x60, v27, v2
	s_add_u32 s12, s18, s20
	s_addc_u32 s15, s19, s21
	s_ashr_i32 s11, s10, 31
	s_lshl_b64 s[18:19], s[10:11], 2
	s_add_u32 s18, s12, s18
	s_addc_u32 s19, s15, s19
	global_load_dword v1, v36, s[18:19]
	s_waitcnt vmcnt(0)
	ds_write_b32 v2, v1
.LBB201_5:
	s_or_b32 exec_lo, exec_lo, s7
	s_add_i32 s7, s27, 7
	s_clause 0x1
	s_load_dwordx2 s[28:29], s[4:5], 0x38
	s_load_dword s17, s[4:5], 0x48
	s_ashr_i32 s11, s7, 31
	s_waitcnt lgkmcnt(0)
	s_lshl_b32 s15, s8, 6
	s_lshr_b32 s11, s11, 29
	s_xor_b32 s0, s0, s1
	s_add_i32 s7, s7, s11
	s_add_i32 s1, s15, 64
	s_ashr_i32 s12, s7, 3
	s_mul_i32 s7, s3, s2
	s_min_i32 s11, s1, s12
	s_sub_i32 s1, s16, s7
	s_add_i32 s7, s3, 1
	s_sub_i32 s16, s1, s2
	s_cmp_ge_u32 s1, s2
	v_lshrrev_b32_e32 v35, 5, v0
	s_cselect_b32 s3, s7, s3
	s_cselect_b32 s1, s16, s1
	s_add_i32 s7, s3, 1
	s_cmp_ge_u32 s1, s2
	v_or_b32_e32 v25, s15, v35
	s_cselect_b32 s1, s7, s3
	v_mbcnt_lo_u32_b32 v37, -1, 0
	s_xor_b32 s1, s1, s0
	s_mul_i32 s30, s17, s26
	s_sub_i32 s1, s1, s0
	v_cmp_gt_i32_e64 s0, s11, v25
	s_ashr_i32 s31, s30, 31
	s_mov_b32 s2, exec_lo
	s_barrier
	buffer_gl0_inv
                                        ; implicit-def: $vgpr28
                                        ; implicit-def: $vgpr38
	v_cmpx_le_i32_e64 s11, v25
	s_xor_b32 s2, exec_lo, s2
; %bb.6:
	v_mov_b32_e32 v28, 0
	v_mbcnt_lo_u32_b32 v37, -1, 0
	v_mov_b32_e32 v38, 32
                                        ; implicit-def: $vgpr27
; %bb.7:
	s_or_saveexec_b32 s38, s2
	s_clause 0x4
	s_load_dwordx4 s[20:23], s[4:5], 0x0
	s_load_dwordx2 s[24:25], s[4:5], 0x10
	s_load_dword s7, s[4:5], 0x98
	s_load_dwordx2 s[34:35], s[4:5], 0x28
	s_load_dwordx4 s[16:19], s[4:5], 0x68
	v_mov_b32_e32 v39, 0xff7fffff
	v_ashrrev_i32_e32 v26, 31, v25
	s_mul_i32 s14, s1, s14
	s_xor_b32 exec_lo, exec_lo, s38
	s_cbranch_execz .LBB201_205
; %bb.8:
	s_load_dwordx2 s[2:3], s[4:5], 0x20
	v_xor_b32_e32 v29, 2, v37
	v_mul_u32_u24_e32 v21, 0x60, v27
	v_bfe_u32 v31, v0, 2, 3
	v_xor_b32_e32 v30, 1, v37
	ds_read_b128 v[1:4], v21
	ds_read_b128 v[5:8], v21 offset:16
	ds_read_b128 v[9:12], v21 offset:32
	;; [unrolled: 1-line block ×5, first 2 shown]
	v_cmp_gt_i32_e32 vcc_lo, 32, v29
	v_lshlrev_b32_e32 v32, 4, v31
	s_ashr_i32 s1, s14, 31
	s_waitcnt lgkmcnt(0)
	s_load_dword s4, s[16:17], 0x0
	v_lshlrev_b32_e32 v34, 3, v35
	v_cndmask_b32_e32 v29, v37, v29, vcc_lo
	v_cmp_gt_i32_e32 vcc_lo, 32, v30
	v_lshlrev_b32_e32 v39, 2, v31
	v_mov_b32_e32 v28, 0
	v_add3_u32 v42, s33, v34, v31
	v_lshlrev_b32_e32 v40, 2, v29
	v_cndmask_b32_e32 v30, v37, v30, vcc_lo
	s_add_u32 s2, s2, s14
	s_addc_u32 s1, s3, s1
	v_add_co_u32 v32, s2, s2, v32
	v_add_co_ci_u32_e64 v33, null, s1, 0, s2
	v_lshlrev_b32_e32 v41, 2, v30
	v_add_co_u32 v29, s2, v32, v27
	v_lshlrev_b64 v[31:32], 2, v[25:26]
	v_add_co_ci_u32_e64 v30, null, 0, v33, s2
	s_lshl_b64 s[2:3], s[30:31], 2
	v_cmp_eq_u32_e32 vcc_lo, 0, v27
	v_lshl_or_b32 v27, v35, 5, v39
	s_sub_i32 s5, 1, s27
	s_add_u32 s2, s28, s2
	s_addc_u32 s3, s29, s3
	v_add_co_u32 v31, s2, s2, v31
	v_mov_b32_e32 v38, 32
	v_cmp_neq_f32_e64 s1, s36, 0
	v_add_nc_u32_e32 v43, 0x1a0, v27
	v_add_co_ci_u32_e64 v32, null, s3, v32, s2
	v_mov_b32_e32 v39, 0xff7fffff
	v_mov_b32_e32 v44, 0x7f
	;; [unrolled: 1-line block ×4, first 2 shown]
	s_mov_b32 s17, s13
	s_mov_b32 s16, 0
	s_branch .LBB201_10
.LBB201_9:                              ;   in Loop: Header=BB201_10 Depth=1
	s_or_b32 exec_lo, exec_lo, s3
	v_add_nc_u32_e32 v46, 4, v46
	v_add_co_u32 v31, s3, v31, 16
	v_add_nc_u32_e32 v42, 32, v42
	v_add_nc_u32_e32 v43, 0x80, v43
	v_cmp_le_i32_e64 s2, s11, v46
	v_add_co_ci_u32_e64 v32, null, 0, v32, s3
	s_or_b32 s16, s2, s16
	s_andn2_b32 exec_lo, exec_lo, s16
	s_cbranch_execz .LBB201_204
.LBB201_10:                             ; =>This Inner Loop Header: Depth=1
	global_load_dword v27, v[31:32], off
	v_mov_b32_e32 v47, 0
	v_mov_b32_e32 v48, 0
	s_mov_b32 s3, exec_lo
	s_waitcnt vmcnt(0) lgkmcnt(0)
	v_mad_i64_i32 v[33:34], null, v27, s17, v[29:30]
	global_load_ubyte v49, v[33:34], off
	s_waitcnt vmcnt(0)
	v_cmpx_ne_u16_e32 0, v49
	s_cbranch_execz .LBB201_18
; %bb.11:                               ;   in Loop: Header=BB201_10 Depth=1
	v_bfrev_b32_e32 v48, 1
	s_mov_b32 s39, exec_lo
	v_cmpx_ne_u16_e32 0x80, v49
	s_cbranch_execz .LBB201_17
; %bb.12:                               ;   in Loop: Header=BB201_10 Depth=1
	v_and_b32_sdwa v50, v49, v44 dst_sel:DWORD dst_unused:UNUSED_PAD src0_sel:WORD_0 src1_sel:DWORD
	v_mov_b32_e32 v48, 0x7f800001
	s_mov_b32 s40, exec_lo
	v_cmpx_ne_u32_e32 0x7f, v50
	s_cbranch_execz .LBB201_16
; %bb.13:                               ;   in Loop: Header=BB201_10 Depth=1
	v_and_b32_sdwa v27, v49, v45 dst_sel:DWORD dst_unused:UNUSED_PAD src0_sel:WORD_0 src1_sel:DWORD
	v_lshrrev_b32_e32 v48, 3, v50
	s_mov_b32 s41, exec_lo
	v_cmpx_gt_u32_e32 8, v50
; %bb.14:                               ;   in Loop: Header=BB201_10 Depth=1
	v_ffbh_u32_e32 v48, v27
	v_min_u32_e32 v48, 32, v48
	v_subrev_nc_u32_e32 v50, 28, v48
	v_sub_nc_u32_e32 v48, 29, v48
	v_lshlrev_b64 v[50:51], v50, v[27:28]
	v_and_b32_e32 v27, 7, v50
; %bb.15:                               ;   in Loop: Header=BB201_10 Depth=1
	s_or_b32 exec_lo, exec_lo, s41
	v_lshlrev_b32_e32 v49, 24, v49
	v_lshlrev_b32_e32 v27, 20, v27
	v_lshl_add_u32 v48, v48, 23, 0x3c000000
	v_and_b32_e32 v49, 0x80000000, v49
	v_or3_b32 v48, v27, v49, v48
.LBB201_16:                             ;   in Loop: Header=BB201_10 Depth=1
	s_or_b32 exec_lo, exec_lo, s40
.LBB201_17:                             ;   in Loop: Header=BB201_10 Depth=1
	s_or_b32 exec_lo, exec_lo, s39
.LBB201_18:                             ;   in Loop: Header=BB201_10 Depth=1
	s_or_b32 exec_lo, exec_lo, s3
	global_load_ubyte v49, v[33:34], off offset:4
	s_mov_b32 s3, exec_lo
	s_waitcnt vmcnt(0)
	v_cmpx_ne_u16_e32 0, v49
	s_cbranch_execz .LBB201_26
; %bb.19:                               ;   in Loop: Header=BB201_10 Depth=1
	v_bfrev_b32_e32 v47, 1
	s_mov_b32 s39, exec_lo
	v_cmpx_ne_u16_e32 0x80, v49
	s_cbranch_execz .LBB201_25
; %bb.20:                               ;   in Loop: Header=BB201_10 Depth=1
	v_and_b32_sdwa v50, v49, v44 dst_sel:DWORD dst_unused:UNUSED_PAD src0_sel:WORD_0 src1_sel:DWORD
	v_mov_b32_e32 v47, 0x7f800001
	s_mov_b32 s40, exec_lo
	v_cmpx_ne_u32_e32 0x7f, v50
	s_cbranch_execz .LBB201_24
; %bb.21:                               ;   in Loop: Header=BB201_10 Depth=1
	v_and_b32_sdwa v27, v49, v45 dst_sel:DWORD dst_unused:UNUSED_PAD src0_sel:WORD_0 src1_sel:DWORD
	v_lshrrev_b32_e32 v47, 3, v50
	s_mov_b32 s41, exec_lo
	v_cmpx_gt_u32_e32 8, v50
; %bb.22:                               ;   in Loop: Header=BB201_10 Depth=1
	v_ffbh_u32_e32 v47, v27
	v_min_u32_e32 v47, 32, v47
	v_subrev_nc_u32_e32 v50, 28, v47
	v_sub_nc_u32_e32 v47, 29, v47
	v_lshlrev_b64 v[50:51], v50, v[27:28]
	v_and_b32_e32 v27, 7, v50
; %bb.23:                               ;   in Loop: Header=BB201_10 Depth=1
	s_or_b32 exec_lo, exec_lo, s41
	v_lshlrev_b32_e32 v49, 24, v49
	v_lshlrev_b32_e32 v27, 20, v27
	v_lshl_add_u32 v47, v47, 23, 0x3c000000
	v_and_b32_e32 v49, 0x80000000, v49
	v_or3_b32 v47, v27, v49, v47
.LBB201_24:                             ;   in Loop: Header=BB201_10 Depth=1
	s_or_b32 exec_lo, exec_lo, s40
.LBB201_25:                             ;   in Loop: Header=BB201_10 Depth=1
	s_or_b32 exec_lo, exec_lo, s39
.LBB201_26:                             ;   in Loop: Header=BB201_10 Depth=1
	s_or_b32 exec_lo, exec_lo, s3
	global_load_ubyte v51, v[33:34], off offset:8
	v_mov_b32_e32 v49, 0
	v_mov_b32_e32 v50, 0
	s_mov_b32 s3, exec_lo
	s_waitcnt vmcnt(0)
	v_cmpx_ne_u16_e32 0, v51
	s_cbranch_execz .LBB201_34
; %bb.27:                               ;   in Loop: Header=BB201_10 Depth=1
	v_bfrev_b32_e32 v50, 1
	s_mov_b32 s39, exec_lo
	v_cmpx_ne_u16_e32 0x80, v51
	s_cbranch_execz .LBB201_33
; %bb.28:                               ;   in Loop: Header=BB201_10 Depth=1
	v_and_b32_sdwa v52, v51, v44 dst_sel:DWORD dst_unused:UNUSED_PAD src0_sel:WORD_0 src1_sel:DWORD
	v_mov_b32_e32 v50, 0x7f800001
	s_mov_b32 s40, exec_lo
	v_cmpx_ne_u32_e32 0x7f, v52
	s_cbranch_execz .LBB201_32
; %bb.29:                               ;   in Loop: Header=BB201_10 Depth=1
	v_and_b32_sdwa v27, v51, v45 dst_sel:DWORD dst_unused:UNUSED_PAD src0_sel:WORD_0 src1_sel:DWORD
	v_lshrrev_b32_e32 v50, 3, v52
	s_mov_b32 s41, exec_lo
	v_cmpx_gt_u32_e32 8, v52
; %bb.30:                               ;   in Loop: Header=BB201_10 Depth=1
	v_ffbh_u32_e32 v50, v27
	v_min_u32_e32 v50, 32, v50
	v_subrev_nc_u32_e32 v52, 28, v50
	v_sub_nc_u32_e32 v50, 29, v50
	v_lshlrev_b64 v[52:53], v52, v[27:28]
	v_and_b32_e32 v27, 7, v52
; %bb.31:                               ;   in Loop: Header=BB201_10 Depth=1
	s_or_b32 exec_lo, exec_lo, s41
	v_lshlrev_b32_e32 v51, 24, v51
	v_lshlrev_b32_e32 v27, 20, v27
	v_lshl_add_u32 v50, v50, 23, 0x3c000000
	v_and_b32_e32 v51, 0x80000000, v51
	v_or3_b32 v50, v27, v51, v50
.LBB201_32:                             ;   in Loop: Header=BB201_10 Depth=1
	s_or_b32 exec_lo, exec_lo, s40
.LBB201_33:                             ;   in Loop: Header=BB201_10 Depth=1
	s_or_b32 exec_lo, exec_lo, s39
.LBB201_34:                             ;   in Loop: Header=BB201_10 Depth=1
	s_or_b32 exec_lo, exec_lo, s3
	global_load_ubyte v51, v[33:34], off offset:12
	s_mov_b32 s3, exec_lo
	s_waitcnt vmcnt(0)
	v_cmpx_ne_u16_e32 0, v51
	s_cbranch_execz .LBB201_42
; %bb.35:                               ;   in Loop: Header=BB201_10 Depth=1
	v_bfrev_b32_e32 v49, 1
	s_mov_b32 s39, exec_lo
	v_cmpx_ne_u16_e32 0x80, v51
	s_cbranch_execz .LBB201_41
; %bb.36:                               ;   in Loop: Header=BB201_10 Depth=1
	v_and_b32_sdwa v52, v51, v44 dst_sel:DWORD dst_unused:UNUSED_PAD src0_sel:WORD_0 src1_sel:DWORD
	v_mov_b32_e32 v49, 0x7f800001
	s_mov_b32 s40, exec_lo
	v_cmpx_ne_u32_e32 0x7f, v52
	s_cbranch_execz .LBB201_40
; %bb.37:                               ;   in Loop: Header=BB201_10 Depth=1
	v_and_b32_sdwa v27, v51, v45 dst_sel:DWORD dst_unused:UNUSED_PAD src0_sel:WORD_0 src1_sel:DWORD
	v_lshrrev_b32_e32 v49, 3, v52
	s_mov_b32 s41, exec_lo
	v_cmpx_gt_u32_e32 8, v52
; %bb.38:                               ;   in Loop: Header=BB201_10 Depth=1
	v_ffbh_u32_e32 v49, v27
	v_min_u32_e32 v49, 32, v49
	v_subrev_nc_u32_e32 v52, 28, v49
	v_sub_nc_u32_e32 v49, 29, v49
	v_lshlrev_b64 v[52:53], v52, v[27:28]
	v_and_b32_e32 v27, 7, v52
; %bb.39:                               ;   in Loop: Header=BB201_10 Depth=1
	s_or_b32 exec_lo, exec_lo, s41
	v_lshlrev_b32_e32 v51, 24, v51
	v_lshlrev_b32_e32 v27, 20, v27
	v_lshl_add_u32 v49, v49, 23, 0x3c000000
	v_and_b32_e32 v51, 0x80000000, v51
	v_or3_b32 v49, v27, v51, v49
.LBB201_40:                             ;   in Loop: Header=BB201_10 Depth=1
	s_or_b32 exec_lo, exec_lo, s40
.LBB201_41:                             ;   in Loop: Header=BB201_10 Depth=1
	s_or_b32 exec_lo, exec_lo, s39
.LBB201_42:                             ;   in Loop: Header=BB201_10 Depth=1
	s_or_b32 exec_lo, exec_lo, s3
	global_load_ubyte v53, v[33:34], off offset:128
	v_mov_b32_e32 v51, 0
	v_mov_b32_e32 v52, 0
	s_mov_b32 s3, exec_lo
	s_waitcnt vmcnt(0)
	v_cmpx_ne_u16_e32 0, v53
	s_cbranch_execz .LBB201_50
; %bb.43:                               ;   in Loop: Header=BB201_10 Depth=1
	v_bfrev_b32_e32 v52, 1
	s_mov_b32 s39, exec_lo
	v_cmpx_ne_u16_e32 0x80, v53
	s_cbranch_execz .LBB201_49
; %bb.44:                               ;   in Loop: Header=BB201_10 Depth=1
	v_and_b32_sdwa v54, v53, v44 dst_sel:DWORD dst_unused:UNUSED_PAD src0_sel:WORD_0 src1_sel:DWORD
	v_mov_b32_e32 v52, 0x7f800001
	s_mov_b32 s40, exec_lo
	v_cmpx_ne_u32_e32 0x7f, v54
	s_cbranch_execz .LBB201_48
; %bb.45:                               ;   in Loop: Header=BB201_10 Depth=1
	v_and_b32_sdwa v27, v53, v45 dst_sel:DWORD dst_unused:UNUSED_PAD src0_sel:WORD_0 src1_sel:DWORD
	v_lshrrev_b32_e32 v52, 3, v54
	s_mov_b32 s41, exec_lo
	v_cmpx_gt_u32_e32 8, v54
; %bb.46:                               ;   in Loop: Header=BB201_10 Depth=1
	v_ffbh_u32_e32 v52, v27
	v_min_u32_e32 v52, 32, v52
	v_subrev_nc_u32_e32 v54, 28, v52
	v_sub_nc_u32_e32 v52, 29, v52
	v_lshlrev_b64 v[54:55], v54, v[27:28]
	v_and_b32_e32 v27, 7, v54
; %bb.47:                               ;   in Loop: Header=BB201_10 Depth=1
	s_or_b32 exec_lo, exec_lo, s41
	v_lshlrev_b32_e32 v53, 24, v53
	v_lshlrev_b32_e32 v27, 20, v27
	v_lshl_add_u32 v52, v52, 23, 0x3c000000
	v_and_b32_e32 v53, 0x80000000, v53
	v_or3_b32 v52, v27, v53, v52
.LBB201_48:                             ;   in Loop: Header=BB201_10 Depth=1
	s_or_b32 exec_lo, exec_lo, s40
.LBB201_49:                             ;   in Loop: Header=BB201_10 Depth=1
	s_or_b32 exec_lo, exec_lo, s39
.LBB201_50:                             ;   in Loop: Header=BB201_10 Depth=1
	s_or_b32 exec_lo, exec_lo, s3
	global_load_ubyte v53, v[33:34], off offset:132
	s_mov_b32 s3, exec_lo
	s_waitcnt vmcnt(0)
	v_cmpx_ne_u16_e32 0, v53
	s_cbranch_execz .LBB201_58
; %bb.51:                               ;   in Loop: Header=BB201_10 Depth=1
	v_bfrev_b32_e32 v51, 1
	s_mov_b32 s39, exec_lo
	v_cmpx_ne_u16_e32 0x80, v53
	s_cbranch_execz .LBB201_57
; %bb.52:                               ;   in Loop: Header=BB201_10 Depth=1
	v_and_b32_sdwa v54, v53, v44 dst_sel:DWORD dst_unused:UNUSED_PAD src0_sel:WORD_0 src1_sel:DWORD
	v_mov_b32_e32 v51, 0x7f800001
	s_mov_b32 s40, exec_lo
	v_cmpx_ne_u32_e32 0x7f, v54
	s_cbranch_execz .LBB201_56
; %bb.53:                               ;   in Loop: Header=BB201_10 Depth=1
	v_and_b32_sdwa v27, v53, v45 dst_sel:DWORD dst_unused:UNUSED_PAD src0_sel:WORD_0 src1_sel:DWORD
	v_lshrrev_b32_e32 v51, 3, v54
	s_mov_b32 s41, exec_lo
	v_cmpx_gt_u32_e32 8, v54
; %bb.54:                               ;   in Loop: Header=BB201_10 Depth=1
	v_ffbh_u32_e32 v51, v27
	v_min_u32_e32 v51, 32, v51
	v_subrev_nc_u32_e32 v54, 28, v51
	v_sub_nc_u32_e32 v51, 29, v51
	v_lshlrev_b64 v[54:55], v54, v[27:28]
	v_and_b32_e32 v27, 7, v54
; %bb.55:                               ;   in Loop: Header=BB201_10 Depth=1
	s_or_b32 exec_lo, exec_lo, s41
	v_lshlrev_b32_e32 v53, 24, v53
	v_lshlrev_b32_e32 v27, 20, v27
	v_lshl_add_u32 v51, v51, 23, 0x3c000000
	v_and_b32_e32 v53, 0x80000000, v53
	v_or3_b32 v51, v27, v53, v51
.LBB201_56:                             ;   in Loop: Header=BB201_10 Depth=1
	s_or_b32 exec_lo, exec_lo, s40
.LBB201_57:                             ;   in Loop: Header=BB201_10 Depth=1
	s_or_b32 exec_lo, exec_lo, s39
.LBB201_58:                             ;   in Loop: Header=BB201_10 Depth=1
	s_or_b32 exec_lo, exec_lo, s3
	global_load_ubyte v55, v[33:34], off offset:136
	v_mov_b32_e32 v53, 0
	v_mov_b32_e32 v54, 0
	s_mov_b32 s3, exec_lo
	s_waitcnt vmcnt(0)
	v_cmpx_ne_u16_e32 0, v55
	s_cbranch_execz .LBB201_66
; %bb.59:                               ;   in Loop: Header=BB201_10 Depth=1
	v_bfrev_b32_e32 v54, 1
	s_mov_b32 s39, exec_lo
	v_cmpx_ne_u16_e32 0x80, v55
	s_cbranch_execz .LBB201_65
; %bb.60:                               ;   in Loop: Header=BB201_10 Depth=1
	v_and_b32_sdwa v56, v55, v44 dst_sel:DWORD dst_unused:UNUSED_PAD src0_sel:WORD_0 src1_sel:DWORD
	v_mov_b32_e32 v54, 0x7f800001
	s_mov_b32 s40, exec_lo
	v_cmpx_ne_u32_e32 0x7f, v56
	s_cbranch_execz .LBB201_64
; %bb.61:                               ;   in Loop: Header=BB201_10 Depth=1
	v_and_b32_sdwa v27, v55, v45 dst_sel:DWORD dst_unused:UNUSED_PAD src0_sel:WORD_0 src1_sel:DWORD
	v_lshrrev_b32_e32 v54, 3, v56
	s_mov_b32 s41, exec_lo
	v_cmpx_gt_u32_e32 8, v56
; %bb.62:                               ;   in Loop: Header=BB201_10 Depth=1
	v_ffbh_u32_e32 v54, v27
	v_min_u32_e32 v54, 32, v54
	v_subrev_nc_u32_e32 v56, 28, v54
	v_sub_nc_u32_e32 v54, 29, v54
	v_lshlrev_b64 v[56:57], v56, v[27:28]
	v_and_b32_e32 v27, 7, v56
; %bb.63:                               ;   in Loop: Header=BB201_10 Depth=1
	s_or_b32 exec_lo, exec_lo, s41
	v_lshlrev_b32_e32 v55, 24, v55
	v_lshlrev_b32_e32 v27, 20, v27
	v_lshl_add_u32 v54, v54, 23, 0x3c000000
	v_and_b32_e32 v55, 0x80000000, v55
	v_or3_b32 v54, v27, v55, v54
.LBB201_64:                             ;   in Loop: Header=BB201_10 Depth=1
	s_or_b32 exec_lo, exec_lo, s40
.LBB201_65:                             ;   in Loop: Header=BB201_10 Depth=1
	s_or_b32 exec_lo, exec_lo, s39
.LBB201_66:                             ;   in Loop: Header=BB201_10 Depth=1
	s_or_b32 exec_lo, exec_lo, s3
	global_load_ubyte v55, v[33:34], off offset:140
	s_mov_b32 s3, exec_lo
	s_waitcnt vmcnt(0)
	v_cmpx_ne_u16_e32 0, v55
	s_cbranch_execz .LBB201_74
; %bb.67:                               ;   in Loop: Header=BB201_10 Depth=1
	v_bfrev_b32_e32 v53, 1
	s_mov_b32 s39, exec_lo
	v_cmpx_ne_u16_e32 0x80, v55
	s_cbranch_execz .LBB201_73
; %bb.68:                               ;   in Loop: Header=BB201_10 Depth=1
	v_and_b32_sdwa v56, v55, v44 dst_sel:DWORD dst_unused:UNUSED_PAD src0_sel:WORD_0 src1_sel:DWORD
	v_mov_b32_e32 v53, 0x7f800001
	s_mov_b32 s40, exec_lo
	v_cmpx_ne_u32_e32 0x7f, v56
	s_cbranch_execz .LBB201_72
; %bb.69:                               ;   in Loop: Header=BB201_10 Depth=1
	v_and_b32_sdwa v27, v55, v45 dst_sel:DWORD dst_unused:UNUSED_PAD src0_sel:WORD_0 src1_sel:DWORD
	v_lshrrev_b32_e32 v53, 3, v56
	s_mov_b32 s41, exec_lo
	v_cmpx_gt_u32_e32 8, v56
; %bb.70:                               ;   in Loop: Header=BB201_10 Depth=1
	v_ffbh_u32_e32 v53, v27
	v_min_u32_e32 v53, 32, v53
	v_subrev_nc_u32_e32 v56, 28, v53
	v_sub_nc_u32_e32 v53, 29, v53
	v_lshlrev_b64 v[56:57], v56, v[27:28]
	v_and_b32_e32 v27, 7, v56
; %bb.71:                               ;   in Loop: Header=BB201_10 Depth=1
	s_or_b32 exec_lo, exec_lo, s41
	v_lshlrev_b32_e32 v55, 24, v55
	v_lshlrev_b32_e32 v27, 20, v27
	v_lshl_add_u32 v53, v53, 23, 0x3c000000
	v_and_b32_e32 v55, 0x80000000, v55
	v_or3_b32 v53, v27, v55, v53
.LBB201_72:                             ;   in Loop: Header=BB201_10 Depth=1
	s_or_b32 exec_lo, exec_lo, s40
.LBB201_73:                             ;   in Loop: Header=BB201_10 Depth=1
	s_or_b32 exec_lo, exec_lo, s39
.LBB201_74:                             ;   in Loop: Header=BB201_10 Depth=1
	s_or_b32 exec_lo, exec_lo, s3
	global_load_ubyte v57, v[33:34], off offset:256
	v_mov_b32_e32 v55, 0
	v_mov_b32_e32 v56, 0
	s_mov_b32 s3, exec_lo
	s_waitcnt vmcnt(0)
	v_cmpx_ne_u16_e32 0, v57
	s_cbranch_execz .LBB201_82
; %bb.75:                               ;   in Loop: Header=BB201_10 Depth=1
	v_bfrev_b32_e32 v56, 1
	s_mov_b32 s39, exec_lo
	v_cmpx_ne_u16_e32 0x80, v57
	s_cbranch_execz .LBB201_81
; %bb.76:                               ;   in Loop: Header=BB201_10 Depth=1
	v_and_b32_sdwa v58, v57, v44 dst_sel:DWORD dst_unused:UNUSED_PAD src0_sel:WORD_0 src1_sel:DWORD
	v_mov_b32_e32 v56, 0x7f800001
	s_mov_b32 s40, exec_lo
	v_cmpx_ne_u32_e32 0x7f, v58
	s_cbranch_execz .LBB201_80
; %bb.77:                               ;   in Loop: Header=BB201_10 Depth=1
	v_and_b32_sdwa v27, v57, v45 dst_sel:DWORD dst_unused:UNUSED_PAD src0_sel:WORD_0 src1_sel:DWORD
	v_lshrrev_b32_e32 v56, 3, v58
	s_mov_b32 s41, exec_lo
	v_cmpx_gt_u32_e32 8, v58
; %bb.78:                               ;   in Loop: Header=BB201_10 Depth=1
	v_ffbh_u32_e32 v56, v27
	v_min_u32_e32 v56, 32, v56
	v_subrev_nc_u32_e32 v58, 28, v56
	v_sub_nc_u32_e32 v56, 29, v56
	v_lshlrev_b64 v[58:59], v58, v[27:28]
	v_and_b32_e32 v27, 7, v58
; %bb.79:                               ;   in Loop: Header=BB201_10 Depth=1
	s_or_b32 exec_lo, exec_lo, s41
	v_lshlrev_b32_e32 v57, 24, v57
	v_lshlrev_b32_e32 v27, 20, v27
	v_lshl_add_u32 v56, v56, 23, 0x3c000000
	v_and_b32_e32 v57, 0x80000000, v57
	v_or3_b32 v56, v27, v57, v56
.LBB201_80:                             ;   in Loop: Header=BB201_10 Depth=1
	s_or_b32 exec_lo, exec_lo, s40
.LBB201_81:                             ;   in Loop: Header=BB201_10 Depth=1
	s_or_b32 exec_lo, exec_lo, s39
.LBB201_82:                             ;   in Loop: Header=BB201_10 Depth=1
	s_or_b32 exec_lo, exec_lo, s3
	global_load_ubyte v57, v[33:34], off offset:260
	s_mov_b32 s3, exec_lo
	s_waitcnt vmcnt(0)
	v_cmpx_ne_u16_e32 0, v57
	s_cbranch_execz .LBB201_90
; %bb.83:                               ;   in Loop: Header=BB201_10 Depth=1
	v_bfrev_b32_e32 v55, 1
	s_mov_b32 s39, exec_lo
	v_cmpx_ne_u16_e32 0x80, v57
	s_cbranch_execz .LBB201_89
; %bb.84:                               ;   in Loop: Header=BB201_10 Depth=1
	v_and_b32_sdwa v58, v57, v44 dst_sel:DWORD dst_unused:UNUSED_PAD src0_sel:WORD_0 src1_sel:DWORD
	v_mov_b32_e32 v55, 0x7f800001
	s_mov_b32 s40, exec_lo
	v_cmpx_ne_u32_e32 0x7f, v58
	s_cbranch_execz .LBB201_88
; %bb.85:                               ;   in Loop: Header=BB201_10 Depth=1
	v_and_b32_sdwa v27, v57, v45 dst_sel:DWORD dst_unused:UNUSED_PAD src0_sel:WORD_0 src1_sel:DWORD
	v_lshrrev_b32_e32 v55, 3, v58
	s_mov_b32 s41, exec_lo
	v_cmpx_gt_u32_e32 8, v58
; %bb.86:                               ;   in Loop: Header=BB201_10 Depth=1
	v_ffbh_u32_e32 v55, v27
	v_min_u32_e32 v55, 32, v55
	v_subrev_nc_u32_e32 v58, 28, v55
	v_sub_nc_u32_e32 v55, 29, v55
	v_lshlrev_b64 v[58:59], v58, v[27:28]
	v_and_b32_e32 v27, 7, v58
; %bb.87:                               ;   in Loop: Header=BB201_10 Depth=1
	s_or_b32 exec_lo, exec_lo, s41
	v_lshlrev_b32_e32 v57, 24, v57
	v_lshlrev_b32_e32 v27, 20, v27
	v_lshl_add_u32 v55, v55, 23, 0x3c000000
	v_and_b32_e32 v57, 0x80000000, v57
	v_or3_b32 v55, v27, v57, v55
.LBB201_88:                             ;   in Loop: Header=BB201_10 Depth=1
	s_or_b32 exec_lo, exec_lo, s40
.LBB201_89:                             ;   in Loop: Header=BB201_10 Depth=1
	s_or_b32 exec_lo, exec_lo, s39
.LBB201_90:                             ;   in Loop: Header=BB201_10 Depth=1
	s_or_b32 exec_lo, exec_lo, s3
	global_load_ubyte v59, v[33:34], off offset:264
	v_mov_b32_e32 v57, 0
	v_mov_b32_e32 v58, 0
	s_mov_b32 s3, exec_lo
	s_waitcnt vmcnt(0)
	v_cmpx_ne_u16_e32 0, v59
	s_cbranch_execz .LBB201_98
; %bb.91:                               ;   in Loop: Header=BB201_10 Depth=1
	v_bfrev_b32_e32 v58, 1
	s_mov_b32 s39, exec_lo
	v_cmpx_ne_u16_e32 0x80, v59
	s_cbranch_execz .LBB201_97
; %bb.92:                               ;   in Loop: Header=BB201_10 Depth=1
	v_and_b32_sdwa v60, v59, v44 dst_sel:DWORD dst_unused:UNUSED_PAD src0_sel:WORD_0 src1_sel:DWORD
	v_mov_b32_e32 v58, 0x7f800001
	s_mov_b32 s40, exec_lo
	v_cmpx_ne_u32_e32 0x7f, v60
	s_cbranch_execz .LBB201_96
; %bb.93:                               ;   in Loop: Header=BB201_10 Depth=1
	v_and_b32_sdwa v27, v59, v45 dst_sel:DWORD dst_unused:UNUSED_PAD src0_sel:WORD_0 src1_sel:DWORD
	v_lshrrev_b32_e32 v58, 3, v60
	s_mov_b32 s41, exec_lo
	v_cmpx_gt_u32_e32 8, v60
; %bb.94:                               ;   in Loop: Header=BB201_10 Depth=1
	v_ffbh_u32_e32 v58, v27
	v_min_u32_e32 v58, 32, v58
	v_subrev_nc_u32_e32 v60, 28, v58
	v_sub_nc_u32_e32 v58, 29, v58
	v_lshlrev_b64 v[60:61], v60, v[27:28]
	v_and_b32_e32 v27, 7, v60
; %bb.95:                               ;   in Loop: Header=BB201_10 Depth=1
	s_or_b32 exec_lo, exec_lo, s41
	v_lshlrev_b32_e32 v59, 24, v59
	v_lshlrev_b32_e32 v27, 20, v27
	v_lshl_add_u32 v58, v58, 23, 0x3c000000
	v_and_b32_e32 v59, 0x80000000, v59
	v_or3_b32 v58, v27, v59, v58
.LBB201_96:                             ;   in Loop: Header=BB201_10 Depth=1
	s_or_b32 exec_lo, exec_lo, s40
.LBB201_97:                             ;   in Loop: Header=BB201_10 Depth=1
	s_or_b32 exec_lo, exec_lo, s39
.LBB201_98:                             ;   in Loop: Header=BB201_10 Depth=1
	s_or_b32 exec_lo, exec_lo, s3
	global_load_ubyte v59, v[33:34], off offset:268
	s_mov_b32 s3, exec_lo
	s_waitcnt vmcnt(0)
	v_cmpx_ne_u16_e32 0, v59
	s_cbranch_execz .LBB201_106
; %bb.99:                               ;   in Loop: Header=BB201_10 Depth=1
	v_bfrev_b32_e32 v57, 1
	s_mov_b32 s39, exec_lo
	v_cmpx_ne_u16_e32 0x80, v59
	s_cbranch_execz .LBB201_105
; %bb.100:                              ;   in Loop: Header=BB201_10 Depth=1
	v_and_b32_sdwa v60, v59, v44 dst_sel:DWORD dst_unused:UNUSED_PAD src0_sel:WORD_0 src1_sel:DWORD
	v_mov_b32_e32 v57, 0x7f800001
	s_mov_b32 s40, exec_lo
	v_cmpx_ne_u32_e32 0x7f, v60
	s_cbranch_execz .LBB201_104
; %bb.101:                              ;   in Loop: Header=BB201_10 Depth=1
	v_and_b32_sdwa v27, v59, v45 dst_sel:DWORD dst_unused:UNUSED_PAD src0_sel:WORD_0 src1_sel:DWORD
	v_lshrrev_b32_e32 v57, 3, v60
	s_mov_b32 s41, exec_lo
	v_cmpx_gt_u32_e32 8, v60
; %bb.102:                              ;   in Loop: Header=BB201_10 Depth=1
	v_ffbh_u32_e32 v57, v27
	v_min_u32_e32 v57, 32, v57
	v_subrev_nc_u32_e32 v60, 28, v57
	v_sub_nc_u32_e32 v57, 29, v57
	v_lshlrev_b64 v[60:61], v60, v[27:28]
	v_and_b32_e32 v27, 7, v60
; %bb.103:                              ;   in Loop: Header=BB201_10 Depth=1
	s_or_b32 exec_lo, exec_lo, s41
	v_lshlrev_b32_e32 v59, 24, v59
	v_lshlrev_b32_e32 v27, 20, v27
	v_lshl_add_u32 v57, v57, 23, 0x3c000000
	v_and_b32_e32 v59, 0x80000000, v59
	v_or3_b32 v57, v27, v59, v57
.LBB201_104:                            ;   in Loop: Header=BB201_10 Depth=1
	s_or_b32 exec_lo, exec_lo, s40
.LBB201_105:                            ;   in Loop: Header=BB201_10 Depth=1
	s_or_b32 exec_lo, exec_lo, s39
.LBB201_106:                            ;   in Loop: Header=BB201_10 Depth=1
	s_or_b32 exec_lo, exec_lo, s3
	global_load_ubyte v61, v[33:34], off offset:384
	v_mov_b32_e32 v59, 0
	v_mov_b32_e32 v60, 0
	s_mov_b32 s3, exec_lo
	s_waitcnt vmcnt(0)
	v_cmpx_ne_u16_e32 0, v61
	s_cbranch_execz .LBB201_114
; %bb.107:                              ;   in Loop: Header=BB201_10 Depth=1
	v_bfrev_b32_e32 v60, 1
	s_mov_b32 s39, exec_lo
	v_cmpx_ne_u16_e32 0x80, v61
	s_cbranch_execz .LBB201_113
; %bb.108:                              ;   in Loop: Header=BB201_10 Depth=1
	v_and_b32_sdwa v62, v61, v44 dst_sel:DWORD dst_unused:UNUSED_PAD src0_sel:WORD_0 src1_sel:DWORD
	v_mov_b32_e32 v60, 0x7f800001
	s_mov_b32 s40, exec_lo
	v_cmpx_ne_u32_e32 0x7f, v62
	s_cbranch_execz .LBB201_112
; %bb.109:                              ;   in Loop: Header=BB201_10 Depth=1
	v_and_b32_sdwa v27, v61, v45 dst_sel:DWORD dst_unused:UNUSED_PAD src0_sel:WORD_0 src1_sel:DWORD
	v_lshrrev_b32_e32 v60, 3, v62
	s_mov_b32 s41, exec_lo
	v_cmpx_gt_u32_e32 8, v62
; %bb.110:                              ;   in Loop: Header=BB201_10 Depth=1
	v_ffbh_u32_e32 v60, v27
	v_min_u32_e32 v60, 32, v60
	v_subrev_nc_u32_e32 v62, 28, v60
	v_sub_nc_u32_e32 v60, 29, v60
	v_lshlrev_b64 v[62:63], v62, v[27:28]
	v_and_b32_e32 v27, 7, v62
; %bb.111:                              ;   in Loop: Header=BB201_10 Depth=1
	s_or_b32 exec_lo, exec_lo, s41
	v_lshlrev_b32_e32 v61, 24, v61
	v_lshlrev_b32_e32 v27, 20, v27
	v_lshl_add_u32 v60, v60, 23, 0x3c000000
	v_and_b32_e32 v61, 0x80000000, v61
	v_or3_b32 v60, v27, v61, v60
.LBB201_112:                            ;   in Loop: Header=BB201_10 Depth=1
	s_or_b32 exec_lo, exec_lo, s40
.LBB201_113:                            ;   in Loop: Header=BB201_10 Depth=1
	s_or_b32 exec_lo, exec_lo, s39
.LBB201_114:                            ;   in Loop: Header=BB201_10 Depth=1
	s_or_b32 exec_lo, exec_lo, s3
	global_load_ubyte v61, v[33:34], off offset:388
	s_mov_b32 s3, exec_lo
	s_waitcnt vmcnt(0)
	v_cmpx_ne_u16_e32 0, v61
	s_cbranch_execz .LBB201_122
; %bb.115:                              ;   in Loop: Header=BB201_10 Depth=1
	v_bfrev_b32_e32 v59, 1
	s_mov_b32 s39, exec_lo
	v_cmpx_ne_u16_e32 0x80, v61
	s_cbranch_execz .LBB201_121
; %bb.116:                              ;   in Loop: Header=BB201_10 Depth=1
	v_and_b32_sdwa v62, v61, v44 dst_sel:DWORD dst_unused:UNUSED_PAD src0_sel:WORD_0 src1_sel:DWORD
	v_mov_b32_e32 v59, 0x7f800001
	s_mov_b32 s40, exec_lo
	v_cmpx_ne_u32_e32 0x7f, v62
	s_cbranch_execz .LBB201_120
; %bb.117:                              ;   in Loop: Header=BB201_10 Depth=1
	v_and_b32_sdwa v27, v61, v45 dst_sel:DWORD dst_unused:UNUSED_PAD src0_sel:WORD_0 src1_sel:DWORD
	v_lshrrev_b32_e32 v59, 3, v62
	s_mov_b32 s41, exec_lo
	v_cmpx_gt_u32_e32 8, v62
; %bb.118:                              ;   in Loop: Header=BB201_10 Depth=1
	v_ffbh_u32_e32 v59, v27
	v_min_u32_e32 v59, 32, v59
	v_subrev_nc_u32_e32 v62, 28, v59
	v_sub_nc_u32_e32 v59, 29, v59
	v_lshlrev_b64 v[62:63], v62, v[27:28]
	v_and_b32_e32 v27, 7, v62
; %bb.119:                              ;   in Loop: Header=BB201_10 Depth=1
	s_or_b32 exec_lo, exec_lo, s41
	v_lshlrev_b32_e32 v61, 24, v61
	v_lshlrev_b32_e32 v27, 20, v27
	v_lshl_add_u32 v59, v59, 23, 0x3c000000
	v_and_b32_e32 v61, 0x80000000, v61
	v_or3_b32 v59, v27, v61, v59
.LBB201_120:                            ;   in Loop: Header=BB201_10 Depth=1
	s_or_b32 exec_lo, exec_lo, s40
.LBB201_121:                            ;   in Loop: Header=BB201_10 Depth=1
	s_or_b32 exec_lo, exec_lo, s39
.LBB201_122:                            ;   in Loop: Header=BB201_10 Depth=1
	s_or_b32 exec_lo, exec_lo, s3
	global_load_ubyte v63, v[33:34], off offset:392
	v_mov_b32_e32 v61, 0
	v_mov_b32_e32 v62, 0
	s_mov_b32 s3, exec_lo
	s_waitcnt vmcnt(0)
	v_cmpx_ne_u16_e32 0, v63
	s_cbranch_execz .LBB201_130
; %bb.123:                              ;   in Loop: Header=BB201_10 Depth=1
	v_bfrev_b32_e32 v62, 1
	s_mov_b32 s39, exec_lo
	v_cmpx_ne_u16_e32 0x80, v63
	s_cbranch_execz .LBB201_129
; %bb.124:                              ;   in Loop: Header=BB201_10 Depth=1
	v_and_b32_sdwa v64, v63, v44 dst_sel:DWORD dst_unused:UNUSED_PAD src0_sel:WORD_0 src1_sel:DWORD
	v_mov_b32_e32 v62, 0x7f800001
	s_mov_b32 s40, exec_lo
	v_cmpx_ne_u32_e32 0x7f, v64
	s_cbranch_execz .LBB201_128
; %bb.125:                              ;   in Loop: Header=BB201_10 Depth=1
	v_and_b32_sdwa v27, v63, v45 dst_sel:DWORD dst_unused:UNUSED_PAD src0_sel:WORD_0 src1_sel:DWORD
	v_lshrrev_b32_e32 v62, 3, v64
	s_mov_b32 s41, exec_lo
	v_cmpx_gt_u32_e32 8, v64
; %bb.126:                              ;   in Loop: Header=BB201_10 Depth=1
	v_ffbh_u32_e32 v62, v27
	v_min_u32_e32 v62, 32, v62
	v_subrev_nc_u32_e32 v64, 28, v62
	v_sub_nc_u32_e32 v62, 29, v62
	v_lshlrev_b64 v[64:65], v64, v[27:28]
	v_and_b32_e32 v27, 7, v64
; %bb.127:                              ;   in Loop: Header=BB201_10 Depth=1
	s_or_b32 exec_lo, exec_lo, s41
	v_lshlrev_b32_e32 v63, 24, v63
	v_lshlrev_b32_e32 v27, 20, v27
	v_lshl_add_u32 v62, v62, 23, 0x3c000000
	v_and_b32_e32 v63, 0x80000000, v63
	v_or3_b32 v62, v27, v63, v62
.LBB201_128:                            ;   in Loop: Header=BB201_10 Depth=1
	s_or_b32 exec_lo, exec_lo, s40
.LBB201_129:                            ;   in Loop: Header=BB201_10 Depth=1
	s_or_b32 exec_lo, exec_lo, s39
.LBB201_130:                            ;   in Loop: Header=BB201_10 Depth=1
	s_or_b32 exec_lo, exec_lo, s3
	global_load_ubyte v63, v[33:34], off offset:396
	s_mov_b32 s3, exec_lo
	s_waitcnt vmcnt(0)
	v_cmpx_ne_u16_e32 0, v63
	s_cbranch_execz .LBB201_138
; %bb.131:                              ;   in Loop: Header=BB201_10 Depth=1
	v_bfrev_b32_e32 v61, 1
	s_mov_b32 s39, exec_lo
	v_cmpx_ne_u16_e32 0x80, v63
	s_cbranch_execz .LBB201_137
; %bb.132:                              ;   in Loop: Header=BB201_10 Depth=1
	v_and_b32_sdwa v64, v63, v44 dst_sel:DWORD dst_unused:UNUSED_PAD src0_sel:WORD_0 src1_sel:DWORD
	v_mov_b32_e32 v61, 0x7f800001
	s_mov_b32 s40, exec_lo
	v_cmpx_ne_u32_e32 0x7f, v64
	s_cbranch_execz .LBB201_136
; %bb.133:                              ;   in Loop: Header=BB201_10 Depth=1
	v_and_b32_sdwa v27, v63, v45 dst_sel:DWORD dst_unused:UNUSED_PAD src0_sel:WORD_0 src1_sel:DWORD
	v_lshrrev_b32_e32 v61, 3, v64
	s_mov_b32 s41, exec_lo
	v_cmpx_gt_u32_e32 8, v64
; %bb.134:                              ;   in Loop: Header=BB201_10 Depth=1
	v_ffbh_u32_e32 v61, v27
	v_min_u32_e32 v61, 32, v61
	v_subrev_nc_u32_e32 v64, 28, v61
	v_sub_nc_u32_e32 v61, 29, v61
	v_lshlrev_b64 v[64:65], v64, v[27:28]
	v_and_b32_e32 v27, 7, v64
; %bb.135:                              ;   in Loop: Header=BB201_10 Depth=1
	s_or_b32 exec_lo, exec_lo, s41
	v_lshlrev_b32_e32 v63, 24, v63
	v_lshlrev_b32_e32 v27, 20, v27
	v_lshl_add_u32 v61, v61, 23, 0x3c000000
	v_and_b32_e32 v63, 0x80000000, v63
	v_or3_b32 v61, v27, v63, v61
.LBB201_136:                            ;   in Loop: Header=BB201_10 Depth=1
	s_or_b32 exec_lo, exec_lo, s40
.LBB201_137:                            ;   in Loop: Header=BB201_10 Depth=1
	s_or_b32 exec_lo, exec_lo, s39
.LBB201_138:                            ;   in Loop: Header=BB201_10 Depth=1
	s_or_b32 exec_lo, exec_lo, s3
	global_load_ubyte v65, v[33:34], off offset:512
	v_mov_b32_e32 v63, 0
	v_mov_b32_e32 v64, 0
	s_mov_b32 s3, exec_lo
	s_waitcnt vmcnt(0)
	v_cmpx_ne_u16_e32 0, v65
	s_cbranch_execz .LBB201_146
; %bb.139:                              ;   in Loop: Header=BB201_10 Depth=1
	v_bfrev_b32_e32 v64, 1
	s_mov_b32 s39, exec_lo
	v_cmpx_ne_u16_e32 0x80, v65
	s_cbranch_execz .LBB201_145
; %bb.140:                              ;   in Loop: Header=BB201_10 Depth=1
	v_and_b32_sdwa v66, v65, v44 dst_sel:DWORD dst_unused:UNUSED_PAD src0_sel:WORD_0 src1_sel:DWORD
	v_mov_b32_e32 v64, 0x7f800001
	s_mov_b32 s40, exec_lo
	v_cmpx_ne_u32_e32 0x7f, v66
	s_cbranch_execz .LBB201_144
; %bb.141:                              ;   in Loop: Header=BB201_10 Depth=1
	v_and_b32_sdwa v27, v65, v45 dst_sel:DWORD dst_unused:UNUSED_PAD src0_sel:WORD_0 src1_sel:DWORD
	v_lshrrev_b32_e32 v64, 3, v66
	s_mov_b32 s41, exec_lo
	v_cmpx_gt_u32_e32 8, v66
; %bb.142:                              ;   in Loop: Header=BB201_10 Depth=1
	v_ffbh_u32_e32 v64, v27
	v_min_u32_e32 v64, 32, v64
	v_subrev_nc_u32_e32 v66, 28, v64
	v_sub_nc_u32_e32 v64, 29, v64
	v_lshlrev_b64 v[66:67], v66, v[27:28]
	v_and_b32_e32 v27, 7, v66
; %bb.143:                              ;   in Loop: Header=BB201_10 Depth=1
	s_or_b32 exec_lo, exec_lo, s41
	v_lshlrev_b32_e32 v65, 24, v65
	v_lshlrev_b32_e32 v27, 20, v27
	v_lshl_add_u32 v64, v64, 23, 0x3c000000
	v_and_b32_e32 v65, 0x80000000, v65
	v_or3_b32 v64, v27, v65, v64
.LBB201_144:                            ;   in Loop: Header=BB201_10 Depth=1
	s_or_b32 exec_lo, exec_lo, s40
.LBB201_145:                            ;   in Loop: Header=BB201_10 Depth=1
	s_or_b32 exec_lo, exec_lo, s39
.LBB201_146:                            ;   in Loop: Header=BB201_10 Depth=1
	s_or_b32 exec_lo, exec_lo, s3
	global_load_ubyte v65, v[33:34], off offset:516
	s_mov_b32 s3, exec_lo
	s_waitcnt vmcnt(0)
	v_cmpx_ne_u16_e32 0, v65
	s_cbranch_execz .LBB201_154
; %bb.147:                              ;   in Loop: Header=BB201_10 Depth=1
	v_bfrev_b32_e32 v63, 1
	s_mov_b32 s39, exec_lo
	v_cmpx_ne_u16_e32 0x80, v65
	s_cbranch_execz .LBB201_153
; %bb.148:                              ;   in Loop: Header=BB201_10 Depth=1
	v_and_b32_sdwa v66, v65, v44 dst_sel:DWORD dst_unused:UNUSED_PAD src0_sel:WORD_0 src1_sel:DWORD
	v_mov_b32_e32 v63, 0x7f800001
	s_mov_b32 s40, exec_lo
	v_cmpx_ne_u32_e32 0x7f, v66
	s_cbranch_execz .LBB201_152
; %bb.149:                              ;   in Loop: Header=BB201_10 Depth=1
	v_and_b32_sdwa v27, v65, v45 dst_sel:DWORD dst_unused:UNUSED_PAD src0_sel:WORD_0 src1_sel:DWORD
	v_lshrrev_b32_e32 v63, 3, v66
	s_mov_b32 s41, exec_lo
	v_cmpx_gt_u32_e32 8, v66
; %bb.150:                              ;   in Loop: Header=BB201_10 Depth=1
	v_ffbh_u32_e32 v63, v27
	v_min_u32_e32 v63, 32, v63
	v_subrev_nc_u32_e32 v66, 28, v63
	v_sub_nc_u32_e32 v63, 29, v63
	v_lshlrev_b64 v[66:67], v66, v[27:28]
	v_and_b32_e32 v27, 7, v66
; %bb.151:                              ;   in Loop: Header=BB201_10 Depth=1
	s_or_b32 exec_lo, exec_lo, s41
	v_lshlrev_b32_e32 v65, 24, v65
	v_lshlrev_b32_e32 v27, 20, v27
	v_lshl_add_u32 v63, v63, 23, 0x3c000000
	v_and_b32_e32 v65, 0x80000000, v65
	v_or3_b32 v63, v27, v65, v63
.LBB201_152:                            ;   in Loop: Header=BB201_10 Depth=1
	s_or_b32 exec_lo, exec_lo, s40
.LBB201_153:                            ;   in Loop: Header=BB201_10 Depth=1
	s_or_b32 exec_lo, exec_lo, s39
.LBB201_154:                            ;   in Loop: Header=BB201_10 Depth=1
	s_or_b32 exec_lo, exec_lo, s3
	global_load_ubyte v67, v[33:34], off offset:520
	v_mov_b32_e32 v65, 0
	v_mov_b32_e32 v66, 0
	s_mov_b32 s3, exec_lo
	s_waitcnt vmcnt(0)
	v_cmpx_ne_u16_e32 0, v67
	s_cbranch_execz .LBB201_162
; %bb.155:                              ;   in Loop: Header=BB201_10 Depth=1
	v_bfrev_b32_e32 v66, 1
	s_mov_b32 s39, exec_lo
	v_cmpx_ne_u16_e32 0x80, v67
	s_cbranch_execz .LBB201_161
; %bb.156:                              ;   in Loop: Header=BB201_10 Depth=1
	v_and_b32_sdwa v68, v67, v44 dst_sel:DWORD dst_unused:UNUSED_PAD src0_sel:WORD_0 src1_sel:DWORD
	v_mov_b32_e32 v66, 0x7f800001
	s_mov_b32 s40, exec_lo
	v_cmpx_ne_u32_e32 0x7f, v68
	s_cbranch_execz .LBB201_160
; %bb.157:                              ;   in Loop: Header=BB201_10 Depth=1
	v_and_b32_sdwa v27, v67, v45 dst_sel:DWORD dst_unused:UNUSED_PAD src0_sel:WORD_0 src1_sel:DWORD
	v_lshrrev_b32_e32 v66, 3, v68
	s_mov_b32 s41, exec_lo
	v_cmpx_gt_u32_e32 8, v68
; %bb.158:                              ;   in Loop: Header=BB201_10 Depth=1
	v_ffbh_u32_e32 v66, v27
	v_min_u32_e32 v66, 32, v66
	v_subrev_nc_u32_e32 v68, 28, v66
	v_sub_nc_u32_e32 v66, 29, v66
	v_lshlrev_b64 v[68:69], v68, v[27:28]
	v_and_b32_e32 v27, 7, v68
; %bb.159:                              ;   in Loop: Header=BB201_10 Depth=1
	s_or_b32 exec_lo, exec_lo, s41
	v_lshlrev_b32_e32 v67, 24, v67
	v_lshlrev_b32_e32 v27, 20, v27
	v_lshl_add_u32 v66, v66, 23, 0x3c000000
	v_and_b32_e32 v67, 0x80000000, v67
	v_or3_b32 v66, v27, v67, v66
.LBB201_160:                            ;   in Loop: Header=BB201_10 Depth=1
	s_or_b32 exec_lo, exec_lo, s40
.LBB201_161:                            ;   in Loop: Header=BB201_10 Depth=1
	s_or_b32 exec_lo, exec_lo, s39
.LBB201_162:                            ;   in Loop: Header=BB201_10 Depth=1
	s_or_b32 exec_lo, exec_lo, s3
	global_load_ubyte v67, v[33:34], off offset:524
	s_mov_b32 s3, exec_lo
	s_waitcnt vmcnt(0)
	v_cmpx_ne_u16_e32 0, v67
	s_cbranch_execz .LBB201_170
; %bb.163:                              ;   in Loop: Header=BB201_10 Depth=1
	v_bfrev_b32_e32 v65, 1
	s_mov_b32 s39, exec_lo
	v_cmpx_ne_u16_e32 0x80, v67
	s_cbranch_execz .LBB201_169
; %bb.164:                              ;   in Loop: Header=BB201_10 Depth=1
	v_and_b32_sdwa v68, v67, v44 dst_sel:DWORD dst_unused:UNUSED_PAD src0_sel:WORD_0 src1_sel:DWORD
	v_mov_b32_e32 v65, 0x7f800001
	s_mov_b32 s40, exec_lo
	v_cmpx_ne_u32_e32 0x7f, v68
	s_cbranch_execz .LBB201_168
; %bb.165:                              ;   in Loop: Header=BB201_10 Depth=1
	v_and_b32_sdwa v27, v67, v45 dst_sel:DWORD dst_unused:UNUSED_PAD src0_sel:WORD_0 src1_sel:DWORD
	v_lshrrev_b32_e32 v65, 3, v68
	s_mov_b32 s41, exec_lo
	v_cmpx_gt_u32_e32 8, v68
; %bb.166:                              ;   in Loop: Header=BB201_10 Depth=1
	v_ffbh_u32_e32 v65, v27
	v_min_u32_e32 v65, 32, v65
	v_subrev_nc_u32_e32 v68, 28, v65
	v_sub_nc_u32_e32 v65, 29, v65
	v_lshlrev_b64 v[68:69], v68, v[27:28]
	v_and_b32_e32 v27, 7, v68
; %bb.167:                              ;   in Loop: Header=BB201_10 Depth=1
	s_or_b32 exec_lo, exec_lo, s41
	v_lshlrev_b32_e32 v67, 24, v67
	v_lshlrev_b32_e32 v27, 20, v27
	v_lshl_add_u32 v65, v65, 23, 0x3c000000
	v_and_b32_e32 v67, 0x80000000, v67
	v_or3_b32 v65, v27, v67, v65
.LBB201_168:                            ;   in Loop: Header=BB201_10 Depth=1
	s_or_b32 exec_lo, exec_lo, s40
.LBB201_169:                            ;   in Loop: Header=BB201_10 Depth=1
	s_or_b32 exec_lo, exec_lo, s39
.LBB201_170:                            ;   in Loop: Header=BB201_10 Depth=1
	s_or_b32 exec_lo, exec_lo, s3
	global_load_ubyte v69, v[33:34], off offset:640
	v_mov_b32_e32 v67, 0
	v_mov_b32_e32 v68, 0
	s_mov_b32 s3, exec_lo
	s_waitcnt vmcnt(0)
	v_cmpx_ne_u16_e32 0, v69
	s_cbranch_execz .LBB201_178
; %bb.171:                              ;   in Loop: Header=BB201_10 Depth=1
	v_bfrev_b32_e32 v68, 1
	s_mov_b32 s39, exec_lo
	v_cmpx_ne_u16_e32 0x80, v69
	s_cbranch_execz .LBB201_177
; %bb.172:                              ;   in Loop: Header=BB201_10 Depth=1
	v_and_b32_sdwa v70, v69, v44 dst_sel:DWORD dst_unused:UNUSED_PAD src0_sel:WORD_0 src1_sel:DWORD
	v_mov_b32_e32 v68, 0x7f800001
	s_mov_b32 s40, exec_lo
	v_cmpx_ne_u32_e32 0x7f, v70
	s_cbranch_execz .LBB201_176
; %bb.173:                              ;   in Loop: Header=BB201_10 Depth=1
	v_and_b32_sdwa v27, v69, v45 dst_sel:DWORD dst_unused:UNUSED_PAD src0_sel:WORD_0 src1_sel:DWORD
	v_lshrrev_b32_e32 v68, 3, v70
	s_mov_b32 s41, exec_lo
	v_cmpx_gt_u32_e32 8, v70
; %bb.174:                              ;   in Loop: Header=BB201_10 Depth=1
	v_ffbh_u32_e32 v68, v27
	v_min_u32_e32 v68, 32, v68
	v_subrev_nc_u32_e32 v70, 28, v68
	v_sub_nc_u32_e32 v68, 29, v68
	v_lshlrev_b64 v[70:71], v70, v[27:28]
	v_and_b32_e32 v27, 7, v70
; %bb.175:                              ;   in Loop: Header=BB201_10 Depth=1
	s_or_b32 exec_lo, exec_lo, s41
	v_lshlrev_b32_e32 v69, 24, v69
	v_lshlrev_b32_e32 v27, 20, v27
	v_lshl_add_u32 v68, v68, 23, 0x3c000000
	v_and_b32_e32 v69, 0x80000000, v69
	v_or3_b32 v68, v27, v69, v68
.LBB201_176:                            ;   in Loop: Header=BB201_10 Depth=1
	s_or_b32 exec_lo, exec_lo, s40
.LBB201_177:                            ;   in Loop: Header=BB201_10 Depth=1
	s_or_b32 exec_lo, exec_lo, s39
.LBB201_178:                            ;   in Loop: Header=BB201_10 Depth=1
	s_or_b32 exec_lo, exec_lo, s3
	global_load_ubyte v69, v[33:34], off offset:644
	s_mov_b32 s3, exec_lo
	s_waitcnt vmcnt(0)
	v_cmpx_ne_u16_e32 0, v69
	s_cbranch_execz .LBB201_186
; %bb.179:                              ;   in Loop: Header=BB201_10 Depth=1
	v_bfrev_b32_e32 v67, 1
	s_mov_b32 s39, exec_lo
	v_cmpx_ne_u16_e32 0x80, v69
	s_cbranch_execz .LBB201_185
; %bb.180:                              ;   in Loop: Header=BB201_10 Depth=1
	v_and_b32_sdwa v70, v69, v44 dst_sel:DWORD dst_unused:UNUSED_PAD src0_sel:WORD_0 src1_sel:DWORD
	v_mov_b32_e32 v67, 0x7f800001
	s_mov_b32 s40, exec_lo
	v_cmpx_ne_u32_e32 0x7f, v70
	s_cbranch_execz .LBB201_184
; %bb.181:                              ;   in Loop: Header=BB201_10 Depth=1
	v_and_b32_sdwa v27, v69, v45 dst_sel:DWORD dst_unused:UNUSED_PAD src0_sel:WORD_0 src1_sel:DWORD
	v_lshrrev_b32_e32 v67, 3, v70
	s_mov_b32 s41, exec_lo
	v_cmpx_gt_u32_e32 8, v70
; %bb.182:                              ;   in Loop: Header=BB201_10 Depth=1
	v_ffbh_u32_e32 v67, v27
	v_min_u32_e32 v67, 32, v67
	v_subrev_nc_u32_e32 v70, 28, v67
	v_sub_nc_u32_e32 v67, 29, v67
	v_lshlrev_b64 v[70:71], v70, v[27:28]
	v_and_b32_e32 v27, 7, v70
; %bb.183:                              ;   in Loop: Header=BB201_10 Depth=1
	s_or_b32 exec_lo, exec_lo, s41
	v_lshlrev_b32_e32 v69, 24, v69
	v_lshlrev_b32_e32 v27, 20, v27
	v_lshl_add_u32 v67, v67, 23, 0x3c000000
	v_and_b32_e32 v69, 0x80000000, v69
	v_or3_b32 v67, v27, v69, v67
.LBB201_184:                            ;   in Loop: Header=BB201_10 Depth=1
	s_or_b32 exec_lo, exec_lo, s40
.LBB201_185:                            ;   in Loop: Header=BB201_10 Depth=1
	s_or_b32 exec_lo, exec_lo, s39
.LBB201_186:                            ;   in Loop: Header=BB201_10 Depth=1
	s_or_b32 exec_lo, exec_lo, s3
	global_load_ubyte v71, v[33:34], off offset:648
	v_mov_b32_e32 v69, 0
	v_mov_b32_e32 v70, 0
	s_mov_b32 s3, exec_lo
	s_waitcnt vmcnt(0)
	v_cmpx_ne_u16_e32 0, v71
	s_cbranch_execz .LBB201_194
; %bb.187:                              ;   in Loop: Header=BB201_10 Depth=1
	v_bfrev_b32_e32 v70, 1
	s_mov_b32 s39, exec_lo
	v_cmpx_ne_u16_e32 0x80, v71
	s_cbranch_execz .LBB201_193
; %bb.188:                              ;   in Loop: Header=BB201_10 Depth=1
	v_and_b32_sdwa v72, v71, v44 dst_sel:DWORD dst_unused:UNUSED_PAD src0_sel:WORD_0 src1_sel:DWORD
	v_mov_b32_e32 v70, 0x7f800001
	s_mov_b32 s40, exec_lo
	v_cmpx_ne_u32_e32 0x7f, v72
	s_cbranch_execz .LBB201_192
; %bb.189:                              ;   in Loop: Header=BB201_10 Depth=1
	v_and_b32_sdwa v27, v71, v45 dst_sel:DWORD dst_unused:UNUSED_PAD src0_sel:WORD_0 src1_sel:DWORD
	v_lshrrev_b32_e32 v70, 3, v72
	s_mov_b32 s41, exec_lo
	v_cmpx_gt_u32_e32 8, v72
; %bb.190:                              ;   in Loop: Header=BB201_10 Depth=1
	v_ffbh_u32_e32 v70, v27
	v_min_u32_e32 v70, 32, v70
	v_subrev_nc_u32_e32 v72, 28, v70
	v_sub_nc_u32_e32 v70, 29, v70
	v_lshlrev_b64 v[72:73], v72, v[27:28]
	v_and_b32_e32 v27, 7, v72
; %bb.191:                              ;   in Loop: Header=BB201_10 Depth=1
	s_or_b32 exec_lo, exec_lo, s41
	v_lshlrev_b32_e32 v71, 24, v71
	v_lshlrev_b32_e32 v27, 20, v27
	v_lshl_add_u32 v70, v70, 23, 0x3c000000
	v_and_b32_e32 v71, 0x80000000, v71
	v_or3_b32 v70, v27, v71, v70
.LBB201_192:                            ;   in Loop: Header=BB201_10 Depth=1
	s_or_b32 exec_lo, exec_lo, s40
.LBB201_193:                            ;   in Loop: Header=BB201_10 Depth=1
	s_or_b32 exec_lo, exec_lo, s39
.LBB201_194:                            ;   in Loop: Header=BB201_10 Depth=1
	s_or_b32 exec_lo, exec_lo, s3
	global_load_ubyte v33, v[33:34], off offset:652
	s_mov_b32 s3, exec_lo
	s_waitcnt vmcnt(0)
	v_cmpx_ne_u16_e32 0, v33
	s_cbranch_execz .LBB201_202
; %bb.195:                              ;   in Loop: Header=BB201_10 Depth=1
	v_bfrev_b32_e32 v69, 1
	s_mov_b32 s39, exec_lo
	v_cmpx_ne_u16_e32 0x80, v33
	s_cbranch_execz .LBB201_201
; %bb.196:                              ;   in Loop: Header=BB201_10 Depth=1
	v_and_b32_sdwa v71, v33, v44 dst_sel:DWORD dst_unused:UNUSED_PAD src0_sel:WORD_0 src1_sel:DWORD
	v_mov_b32_e32 v69, 0x7f800001
	s_mov_b32 s40, exec_lo
	v_cmpx_ne_u32_e32 0x7f, v71
	s_cbranch_execz .LBB201_200
; %bb.197:                              ;   in Loop: Header=BB201_10 Depth=1
	v_and_b32_sdwa v27, v33, v45 dst_sel:DWORD dst_unused:UNUSED_PAD src0_sel:WORD_0 src1_sel:DWORD
	v_lshrrev_b32_e32 v34, 3, v71
	s_mov_b32 s41, exec_lo
	v_cmpx_gt_u32_e32 8, v71
; %bb.198:                              ;   in Loop: Header=BB201_10 Depth=1
	v_ffbh_u32_e32 v34, v27
	v_min_u32_e32 v34, 32, v34
	v_subrev_nc_u32_e32 v69, 28, v34
	v_sub_nc_u32_e32 v34, 29, v34
	v_lshlrev_b64 v[71:72], v69, v[27:28]
	v_and_b32_e32 v27, 7, v71
; %bb.199:                              ;   in Loop: Header=BB201_10 Depth=1
	s_or_b32 exec_lo, exec_lo, s41
	v_lshlrev_b32_e32 v33, 24, v33
	v_lshlrev_b32_e32 v27, 20, v27
	v_lshl_add_u32 v34, v34, 23, 0x3c000000
	v_and_b32_e32 v33, 0x80000000, v33
	v_or3_b32 v69, v27, v33, v34
.LBB201_200:                            ;   in Loop: Header=BB201_10 Depth=1
	s_or_b32 exec_lo, exec_lo, s40
.LBB201_201:                            ;   in Loop: Header=BB201_10 Depth=1
	s_or_b32 exec_lo, exec_lo, s39
.LBB201_202:                            ;   in Loop: Header=BB201_10 Depth=1
	s_or_b32 exec_lo, exec_lo, s3
	s_waitcnt lgkmcnt(0)
	v_mul_f32_e32 v27, s4, v47
	v_mul_f32_e32 v33, s4, v48
	v_mul_f32_e32 v34, s4, v50
	v_mul_f32_e32 v27, v2, v27
	v_fmac_f32_e32 v27, v1, v33
	v_mul_f32_e32 v33, s4, v49
	v_fmac_f32_e32 v27, v3, v34
	v_mul_f32_e32 v34, s4, v52
	;; [unrolled: 2-line block ×21, first 2 shown]
	v_fmac_f32_e32 v27, v23, v34
	v_fmac_f32_e32 v27, v24, v33
	ds_bpermute_b32 v33, v40, v27
	s_waitcnt lgkmcnt(0)
	v_add_f32_e32 v27, v27, v33
	ds_bpermute_b32 v33, v41, v27
	s_and_saveexec_b32 s3, vcc_lo
	s_cbranch_execz .LBB201_9
; %bb.203:                              ;   in Loop: Header=BB201_10 Depth=1
	v_add_nc_u32_e32 v34, s5, v42
	s_waitcnt lgkmcnt(0)
	v_add_f32_e32 v27, v27, v33
	v_cmp_gt_i32_e64 s2, s27, v42
	v_cvt_f32_i32_e32 v34, v34
	v_mul_f32_e32 v34, s36, v34
	v_cndmask_b32_e64 v33, 0, v34, s1
	v_max_f32_e32 v34, v39, v39
	v_fmac_f32_e32 v33, s37, v27
	v_max_f32_e32 v27, v34, v33
	v_cndmask_b32_e64 v33, 0, v33, s2
	v_cndmask_b32_e64 v39, v39, v27, s2
	ds_write_b32 v43, v33
	s_branch .LBB201_9
.LBB201_204:
	s_or_b32 exec_lo, exec_lo, s16
.LBB201_205:
	s_or_b32 exec_lo, exec_lo, s38
	v_xor_b32_e32 v1, 16, v37
	v_xor_b32_e32 v3, 8, v37
	v_max_f32_e32 v5, v39, v39
	v_and_b32_e32 v27, 31, v0
	v_cmp_lt_i32_e32 vcc_lo, v1, v38
	v_cndmask_b32_e32 v1, v37, v1, vcc_lo
	v_cmp_lt_i32_e32 vcc_lo, v3, v38
	v_lshlrev_b32_e32 v2, 2, v1
	v_cndmask_b32_e32 v3, v37, v3, vcc_lo
	ds_bpermute_b32 v1, v2, v39
	v_lshlrev_b32_e32 v4, 2, v3
	s_waitcnt lgkmcnt(0)
	v_max_f32_e32 v1, v1, v1
	v_max_f32_e32 v1, v5, v1
	v_xor_b32_e32 v5, 4, v37
	ds_bpermute_b32 v3, v4, v1
	v_cmp_lt_i32_e32 vcc_lo, v5, v38
	v_cndmask_b32_e32 v5, v37, v5, vcc_lo
	v_cmp_eq_u32_e32 vcc_lo, 0, v27
	v_lshlrev_b32_e32 v7, 2, v5
	v_lshlrev_b32_e32 v5, 2, v35
	s_waitcnt lgkmcnt(0)
	v_max_f32_e32 v3, v3, v3
	v_max_f32_e32 v1, v1, v3
	ds_bpermute_b32 v3, v7, v1
	s_and_saveexec_b32 s1, vcc_lo
	s_cbranch_execz .LBB201_207
; %bb.206:
	s_waitcnt lgkmcnt(0)
	v_max_f32_e32 v3, v3, v3
	v_max_f32_e32 v1, v1, v1
	;; [unrolled: 1-line block ×3, first 2 shown]
	ds_write_b32 v5, v1 offset:384
.LBB201_207:
	s_or_b32 exec_lo, exec_lo, s1
	v_cmp_gt_u32_e64 s1, 4, v27
	v_mov_b32_e32 v1, 0xff7fffff
	v_lshlrev_b32_e32 v6, 2, v27
	s_waitcnt lgkmcnt(0)
	s_barrier
	buffer_gl0_inv
	s_and_saveexec_b32 s2, s1
; %bb.208:
	ds_read_b32 v1, v6 offset:384
; %bb.209:
	s_or_b32 exec_lo, exec_lo, s2
	v_xor_b32_e32 v3, 2, v37
	v_xor_b32_e32 v9, 1, v37
	v_cmp_lt_i32_e64 s2, v3, v38
	v_cndmask_b32_e64 v3, v37, v3, s2
	v_cmp_lt_i32_e64 s2, v9, v38
	v_lshlrev_b32_e32 v8, 2, v3
	v_cndmask_b32_e64 v9, v37, v9, s2
	s_sub_i32 s2, s11, s15
	s_lshl_b32 s2, s2, 3
	s_waitcnt lgkmcnt(0)
	ds_bpermute_b32 v3, v8, v1
	v_max_f32_e32 v1, v1, v1
	v_lshlrev_b32_e32 v29, 2, v9
	s_add_i32 s2, s2, s33
	v_mov_b32_e32 v9, 0
	s_min_i32 s2, s2, s27
	s_sub_i32 s4, s2, s33
	v_cmp_gt_i32_e64 s2, s4, v0
	s_waitcnt lgkmcnt(0)
	v_max_f32_e32 v3, v3, v3
	v_max_f32_e32 v1, v1, v3
	ds_bpermute_b32 v3, v29, v1
	s_waitcnt lgkmcnt(0)
	v_max_f32_e32 v3, v3, v3
	v_max_f32_e32 v1, v1, v3
	v_lshlrev_b32_e32 v3, 2, v28
	ds_bpermute_b32 v1, v3, v1
	v_lshl_add_u32 v3, v0, 2, 0x1a0
	s_and_saveexec_b32 s5, s2
	s_cbranch_execz .LBB201_213
; %bb.210:
	v_lshl_add_u32 v10, v0, 2, 0x1a0
	v_mov_b32_e32 v9, 0
	v_mov_b32_e32 v11, v0
	s_mov_b32 s15, 0
	.p2align	6
.LBB201_211:                            ; =>This Inner Loop Header: Depth=1
	ds_read_b32 v12, v10
	v_add_nc_u32_e32 v11, 0x80, v11
	v_cmp_le_i32_e64 s3, s4, v11
	s_or_b32 s15, s3, s15
	s_waitcnt lgkmcnt(0)
	v_sub_f32_e32 v12, v12, v1
	v_mul_f32_e32 v12, 0x3fb8aa3b, v12
	v_exp_f32_e32 v12, v12
	ds_write_b32 v10, v12
	v_add_f32_e32 v9, v9, v12
	v_add_nc_u32_e32 v10, 0x200, v10
	s_andn2_b32 exec_lo, exec_lo, s15
	s_cbranch_execnz .LBB201_211
; %bb.212:
	s_or_b32 exec_lo, exec_lo, s15
.LBB201_213:
	s_or_b32 exec_lo, exec_lo, s5
	ds_bpermute_b32 v2, v2, v9
	s_waitcnt lgkmcnt(0)
	v_add_f32_e32 v2, v9, v2
	ds_bpermute_b32 v4, v4, v2
	s_waitcnt lgkmcnt(0)
	v_add_f32_e32 v2, v2, v4
	;; [unrolled: 3-line block ×5, first 2 shown]
	s_and_saveexec_b32 s3, vcc_lo
; %bb.214:
	ds_write_b32 v5, v2 offset:400
; %bb.215:
	s_or_b32 exec_lo, exec_lo, s3
	s_waitcnt lgkmcnt(0)
	s_barrier
	buffer_gl0_inv
	s_and_saveexec_b32 s3, s1
; %bb.216:
	ds_read_b32 v2, v6 offset:400
; %bb.217:
	s_or_b32 exec_lo, exec_lo, s3
	s_waitcnt lgkmcnt(0)
	ds_bpermute_b32 v4, v8, v2
	v_lshlrev_b32_e32 v5, 2, v37
	s_waitcnt lgkmcnt(0)
	v_add_f32_e32 v2, v2, v4
	ds_bpermute_b32 v4, v29, v2
	s_waitcnt lgkmcnt(0)
	v_add_f32_e32 v2, v2, v4
	v_and_b32_e32 v4, 0xffffff80, v5
	ds_bpermute_b32 v2, v4, v2
	s_and_saveexec_b32 s1, s2
	s_cbranch_execz .LBB201_220
; %bb.218:
	s_waitcnt lgkmcnt(0)
	v_add_f32_e32 v4, 0x358637bd, v2
	s_mov_b32 s2, 0
	v_div_scale_f32 v5, null, v4, v4, 1.0
	v_div_scale_f32 v8, vcc_lo, 1.0, v4, 1.0
	v_rcp_f32_e32 v6, v5
	v_fma_f32 v7, -v5, v6, 1.0
	v_fmac_f32_e32 v6, v7, v6
	v_mul_f32_e32 v7, v8, v6
	v_fma_f32 v9, -v5, v7, v8
	v_fmac_f32_e32 v7, v9, v6
	v_fma_f32 v5, -v5, v7, v8
	v_div_fmas_f32 v5, v5, v6, v7
	v_div_fixup_f32 v4, v5, v4, 1.0
	v_mov_b32_e32 v5, v0
.LBB201_219:                            ; =>This Inner Loop Header: Depth=1
	ds_read_b32 v6, v3
	v_add_nc_u32_e32 v5, 0x80, v5
	v_cmp_le_i32_e32 vcc_lo, s4, v5
	s_or_b32 s2, vcc_lo, s2
	s_waitcnt lgkmcnt(0)
	v_mul_f32_e32 v6, v4, v6
	ds_write_b32 v3, v6
	v_add_nc_u32_e32 v3, 0x200, v3
	s_andn2_b32 exec_lo, exec_lo, s2
	s_cbranch_execnz .LBB201_219
.LBB201_220:
	s_or_b32 exec_lo, exec_lo, s1
	s_mul_i32 s1, s7, s26
	s_waitcnt lgkmcnt(0)
	s_mul_i32 s2, s1, s9
	s_mov_b32 s1, exec_lo
	s_barrier
	buffer_gl0_inv
	v_cmpx_eq_u32_e32 0, v0
	s_cbranch_execz .LBB201_222
; %bb.221:
	s_ashr_i32 s3, s2, 31
	s_mul_i32 s16, s7, s6
	s_lshl_b64 s[4:5], s[2:3], 2
	v_mov_b32_e32 v3, 0
	s_add_u32 s3, s22, s4
	s_addc_u32 s6, s23, s5
	s_ashr_i32 s17, s16, 31
	s_lshl_b64 s[16:17], s[16:17], 2
	s_add_u32 s3, s3, s16
	s_addc_u32 s6, s6, s17
	s_ashr_i32 s9, s8, 31
	s_lshl_b64 s[22:23], s[8:9], 2
	s_add_u32 s36, s3, s22
	s_addc_u32 s37, s6, s23
	s_add_u32 s3, s20, s4
	s_addc_u32 s4, s21, s5
	;; [unrolled: 2-line block ×4, first 2 shown]
	global_store_dword v3, v1, s[36:37]
	global_store_dword v3, v2, s[4:5]
.LBB201_222:
	s_or_b32 exec_lo, exec_lo, s1
	v_mov_b32_e32 v33, 0
	v_and_b32_e32 v28, 1, v0
	v_mov_b32_e32 v37, 0
	v_mov_b32_e32 v34, 0
	;; [unrolled: 1-line block ×5, first 2 shown]
	s_and_saveexec_b32 s1, s0
	s_cbranch_execz .LBB201_430
; %bb.223:
	s_load_dword s3, s[18:19], 0x0
	v_and_b32_e32 v1, 4, v36
	v_and_b32_e32 v2, 0x7c, v36
	v_lshl_add_u32 v4, v35, 3, s33
	s_ashr_i32 s0, s14, 31
	s_add_u32 s4, s34, s14
	v_lshlrev_b32_e32 v3, 4, v28
	s_addc_u32 s0, s35, s0
	v_add_co_u32 v7, s4, s4, v2
	v_add3_u32 v36, v4, v1, 3
	v_lshlrev_b64 v[1:2], 2, v[25:26]
	v_add_co_ci_u32_e64 v8, null, s0, 0, s4
	s_lshl_b64 s[4:5], s[30:31], 2
	s_add_i32 s12, s12, -1
	v_lshl_or_b32 v3, v35, 5, v3
	s_add_u32 s0, s28, s4
	s_addc_u32 s4, s29, s5
	v_add_co_u32 v9, vcc_lo, s0, v1
	v_mov_b32_e32 v6, 0
	v_add_nc_u32_e32 v26, 0x1a0, v3
	v_add_co_ci_u32_e64 v10, null, s4, v2, vcc_lo
	v_mov_b32_e32 v38, 0x80
	v_bfrev_b32_e32 v12, 1
	v_mov_b32_e32 v39, 0xffff
	v_mov_b32_e32 v14, 0x7f800001
	;; [unrolled: 1-line block ×11, first 2 shown]
	s_mov_b32 s4, s13
	s_waitcnt lgkmcnt(0)
	s_mov_b32 s6, s3
	s_mov_b32 s5, 0
	s_branch .LBB201_225
.LBB201_224:                            ;   in Loop: Header=BB201_225 Depth=1
	s_or_b32 exec_lo, exec_lo, s0
	s_waitcnt lgkmcnt(0)
	v_mul_f32_e32 v16, v1, v63
	v_mul_f32_e32 v17, v1, v61
	;; [unrolled: 1-line block ×6, first 2 shown]
	v_fmac_f32_e32 v16, v2, v62
	v_fmac_f32_e32 v17, v2, v60
	v_fmac_f32_e32 v18, v2, v56
	v_fmac_f32_e32 v19, v2, v52
	v_fmac_f32_e32 v20, v2, v45
	v_fmac_f32_e32 v1, v2, v13
	v_fmac_f32_e32 v16, v3, v24
	v_fmac_f32_e32 v17, v3, v59
	v_fmac_f32_e32 v18, v3, v55
	v_fmac_f32_e32 v19, v3, v51
	v_fmac_f32_e32 v20, v3, v44
	v_fmac_f32_e32 v1, v3, v11
	v_add_nc_u32_e32 v25, 4, v25
	v_fmac_f32_e32 v16, v4, v23
	v_fmac_f32_e32 v17, v4, v58
	v_fmac_f32_e32 v18, v4, v54
	v_fmac_f32_e32 v19, v4, v50
	v_fmac_f32_e32 v20, v4, v43
	v_fmac_f32_e32 v1, v4, v5
	v_cmp_le_i32_e32 vcc_lo, s11, v25
	v_add_co_u32 v9, s0, v9, 16
	v_add_f32_e32 v31, v31, v16
	v_add_f32_e32 v32, v32, v17
	;; [unrolled: 1-line block ×6, first 2 shown]
	v_add_nc_u32_e32 v36, 32, v36
	v_add_nc_u32_e32 v26, 0x80, v26
	v_add_co_ci_u32_e64 v10, null, 0, v10, s0
	s_or_b32 s5, vcc_lo, s5
	s_andn2_b32 exec_lo, exec_lo, s5
	s_cbranch_execz .LBB201_429
.LBB201_225:                            ; =>This Inner Loop Header: Depth=1
	global_load_dword v1, v[9:10], off
	v_mov_b32_e32 v19, 0
	v_mov_b32_e32 v17, 0
	;; [unrolled: 1-line block ×4, first 2 shown]
	s_waitcnt vmcnt(0)
	v_mad_i64_i32 v[15:16], null, v1, s4, v[7:8]
	ds_read_b128 v[1:4], v26
	global_load_dword v43, v[15:16], off
	s_waitcnt vmcnt(0)
	v_cmp_ne_u16_sdwa s9, v43, v6 src0_sel:BYTE_0 src1_sel:DWORD
	s_and_saveexec_b32 s0, s9
	s_cbranch_execz .LBB201_233
; %bb.226:                              ;   in Loop: Header=BB201_225 Depth=1
	v_bfrev_b32_e32 v17, 1
	v_mov_b32_e32 v18, 0
	v_cmp_ne_u16_sdwa s13, v43, v38 src0_sel:BYTE_0 src1_sel:DWORD
	s_and_saveexec_b32 s9, s13
	s_cbranch_execz .LBB201_232
; %bb.227:                              ;   in Loop: Header=BB201_225 Depth=1
	v_mov_b32_e32 v17, 0x7f800001
	v_and_b32_e32 v13, 0x7f, v43
	v_mov_b32_e32 v18, 0
	s_mov_b32 s13, exec_lo
	v_cmpx_ne_u32_e32 0x7f, v13
	s_cbranch_execz .LBB201_231
; %bb.228:                              ;   in Loop: Header=BB201_225 Depth=1
	v_and_b32_e32 v5, 7, v43
	v_lshrrev_b32_e32 v11, 3, v13
	s_mov_b32 s14, exec_lo
	v_cmpx_gt_u32_e32 8, v13
; %bb.229:                              ;   in Loop: Header=BB201_225 Depth=1
	v_ffbh_u32_e32 v11, v5
	v_min_u32_e32 v11, 32, v11
	v_subrev_nc_u32_e32 v13, 28, v11
	v_sub_nc_u32_e32 v11, 29, v11
	v_lshlrev_b64 v[17:18], v13, v[5:6]
	v_and_b32_e32 v5, 7, v17
; %bb.230:                              ;   in Loop: Header=BB201_225 Depth=1
	s_or_b32 exec_lo, exec_lo, s14
	v_lshlrev_b32_e32 v13, 24, v43
	v_lshlrev_b32_e32 v5, 20, v5
	v_lshl_add_u32 v11, v11, 23, 0x3c000000
	v_and_b32_e32 v13, 0x80000000, v13
	v_or3_b32 v5, v5, v13, v11
	v_mov_b32_e32 v18, v6
	v_mov_b32_e32 v17, v5
.LBB201_231:                            ;   in Loop: Header=BB201_225 Depth=1
	s_or_b32 exec_lo, exec_lo, s13
.LBB201_232:                            ;   in Loop: Header=BB201_225 Depth=1
	s_or_b32 exec_lo, exec_lo, s9
.LBB201_233:                            ;   in Loop: Header=BB201_225 Depth=1
	s_or_b32 exec_lo, exec_lo, s0
	v_cmp_ne_u16_sdwa s9, v43, v6 src0_sel:BYTE_1 src1_sel:DWORD
	s_and_saveexec_b32 s0, s9
	s_cbranch_execz .LBB201_241
; %bb.234:                              ;   in Loop: Header=BB201_225 Depth=1
	v_mov_b32_e32 v11, v6
	v_mov_b32_e32 v20, v12
	v_cmp_ne_u16_sdwa s13, v43, v38 src0_sel:BYTE_1 src1_sel:DWORD
	v_mov_b32_e32 v19, v11
	s_and_saveexec_b32 s9, s13
	s_cbranch_execz .LBB201_240
; %bb.235:                              ;   in Loop: Header=BB201_225 Depth=1
	v_and_b32_sdwa v5, v39, v43 dst_sel:DWORD dst_unused:UNUSED_PAD src0_sel:DWORD src1_sel:BYTE_1
	v_mov_b32_e32 v13, v6
	v_mov_b32_e32 v20, v14
	s_mov_b32 s13, exec_lo
	v_and_b32_e32 v21, 0x7f, v5
	v_mov_b32_e32 v19, v13
	v_cmpx_ne_u32_e32 0x7f, v21
	s_cbranch_execz .LBB201_239
; %bb.236:                              ;   in Loop: Header=BB201_225 Depth=1
	v_and_b32_e32 v5, 7, v5
	v_lshrrev_b32_e32 v11, 3, v21
	s_mov_b32 s14, exec_lo
	v_cmpx_gt_u32_e32 8, v21
; %bb.237:                              ;   in Loop: Header=BB201_225 Depth=1
	v_ffbh_u32_e32 v11, v5
	v_min_u32_e32 v11, 32, v11
	v_subrev_nc_u32_e32 v13, 28, v11
	v_sub_nc_u32_e32 v11, 29, v11
	v_lshlrev_b64 v[19:20], v13, v[5:6]
	v_and_b32_e32 v5, 7, v19
; %bb.238:                              ;   in Loop: Header=BB201_225 Depth=1
	s_or_b32 exec_lo, exec_lo, s14
	v_lshlrev_b32_e32 v13, 16, v43
	v_lshlrev_b32_e32 v5, 20, v5
	v_lshl_add_u32 v11, v11, 23, 0x3c000000
	v_mov_b32_e32 v19, v6
	v_and_b32_e32 v13, 0x80000000, v13
	v_or3_b32 v20, v5, v13, v11
.LBB201_239:                            ;   in Loop: Header=BB201_225 Depth=1
	s_or_b32 exec_lo, exec_lo, s13
.LBB201_240:                            ;   in Loop: Header=BB201_225 Depth=1
	s_or_b32 exec_lo, exec_lo, s9
.LBB201_241:                            ;   in Loop: Header=BB201_225 Depth=1
	s_or_b32 exec_lo, exec_lo, s0
	v_mov_b32_e32 v23, 0
	v_mov_b32_e32 v21, 0
	v_and_b32_sdwa v5, v43, v40 dst_sel:DWORD dst_unused:UNUSED_PAD src0_sel:WORD_1 src1_sel:DWORD
	v_mov_b32_e32 v24, 0
	v_mov_b32_e32 v22, 0
	s_mov_b32 s0, exec_lo
	v_cmpx_ne_u16_e32 0, v5
	s_cbranch_execz .LBB201_249
; %bb.242:                              ;   in Loop: Header=BB201_225 Depth=1
	v_bfrev_b32_e32 v21, 1
	v_mov_b32_e32 v22, 0
	s_mov_b32 s9, exec_lo
	v_cmpx_ne_u16_e32 0x80, v5
	s_cbranch_execz .LBB201_248
; %bb.243:                              ;   in Loop: Header=BB201_225 Depth=1
	v_mov_b32_e32 v21, 0x7f800001
	v_bfe_u32 v13, v43, 16, 7
	v_mov_b32_e32 v22, 0
	s_mov_b32 s13, exec_lo
	v_cmpx_ne_u32_e32 0x7f, v13
	s_cbranch_execz .LBB201_247
; %bb.244:                              ;   in Loop: Header=BB201_225 Depth=1
	v_and_b32_sdwa v5, v43, v41 dst_sel:DWORD dst_unused:UNUSED_PAD src0_sel:WORD_1 src1_sel:DWORD
	v_lshrrev_b32_e32 v11, 3, v13
	s_mov_b32 s14, exec_lo
	v_cmpx_gt_u32_e32 8, v13
; %bb.245:                              ;   in Loop: Header=BB201_225 Depth=1
	v_ffbh_u32_e32 v11, v5
	v_min_u32_e32 v11, 32, v11
	v_subrev_nc_u32_e32 v13, 28, v11
	v_sub_nc_u32_e32 v11, 29, v11
	v_lshlrev_b64 v[21:22], v13, v[5:6]
	v_and_b32_e32 v5, 7, v21
; %bb.246:                              ;   in Loop: Header=BB201_225 Depth=1
	s_or_b32 exec_lo, exec_lo, s14
	v_lshlrev_b32_sdwa v13, v42, v43 dst_sel:DWORD dst_unused:UNUSED_PAD src0_sel:DWORD src1_sel:WORD_1
	v_lshlrev_b32_e32 v5, 20, v5
	v_lshl_add_u32 v11, v11, 23, 0x3c000000
	v_and_b32_e32 v13, 0x80000000, v13
	v_or3_b32 v5, v5, v13, v11
	v_mov_b32_e32 v22, v6
	v_mov_b32_e32 v21, v5
.LBB201_247:                            ;   in Loop: Header=BB201_225 Depth=1
	s_or_b32 exec_lo, exec_lo, s13
.LBB201_248:                            ;   in Loop: Header=BB201_225 Depth=1
	s_or_b32 exec_lo, exec_lo, s9
.LBB201_249:                            ;   in Loop: Header=BB201_225 Depth=1
	s_or_b32 exec_lo, exec_lo, s0
	s_mov_b32 s0, exec_lo
	v_cmpx_lt_u32_e32 0xffffff, v43
	s_cbranch_execz .LBB201_257
; %bb.250:                              ;   in Loop: Header=BB201_225 Depth=1
	v_mov_b32_e32 v11, v6
	v_mov_b32_e32 v24, v12
	v_cmp_ne_u32_sdwa s13, v43, v38 src0_sel:BYTE_3 src1_sel:DWORD
	v_mov_b32_e32 v23, v11
	s_and_saveexec_b32 s9, s13
	s_cbranch_execz .LBB201_256
; %bb.251:                              ;   in Loop: Header=BB201_225 Depth=1
	v_mov_b32_e32 v13, v6
	v_mov_b32_e32 v24, v14
	v_bfe_u32 v44, v43, 24, 7
	s_mov_b32 s13, exec_lo
	v_mov_b32_e32 v23, v13
	v_cmpx_ne_u32_e32 0x7f, v44
	s_cbranch_execz .LBB201_255
; %bb.252:                              ;   in Loop: Header=BB201_225 Depth=1
	v_and_b32_sdwa v5, v43, v41 dst_sel:DWORD dst_unused:UNUSED_PAD src0_sel:BYTE_3 src1_sel:DWORD
	v_lshrrev_b32_e32 v11, 3, v44
	s_mov_b32 s14, exec_lo
	v_cmpx_gt_u32_e32 8, v44
; %bb.253:                              ;   in Loop: Header=BB201_225 Depth=1
	v_ffbh_u32_e32 v11, v5
	v_min_u32_e32 v11, 32, v11
	v_subrev_nc_u32_e32 v13, 28, v11
	v_sub_nc_u32_e32 v11, 29, v11
	v_lshlrev_b64 v[23:24], v13, v[5:6]
	v_and_b32_e32 v5, 7, v23
; %bb.254:                              ;   in Loop: Header=BB201_225 Depth=1
	s_or_b32 exec_lo, exec_lo, s14
	v_lshlrev_b32_sdwa v13, v42, v43 dst_sel:DWORD dst_unused:UNUSED_PAD src0_sel:DWORD src1_sel:BYTE_3
	v_lshlrev_b32_e32 v5, 20, v5
	v_lshl_add_u32 v11, v11, 23, 0x3c000000
	v_mov_b32_e32 v23, v6
	v_and_b32_e32 v13, 0x80000000, v13
	v_or3_b32 v24, v5, v13, v11
.LBB201_255:                            ;   in Loop: Header=BB201_225 Depth=1
	s_or_b32 exec_lo, exec_lo, s13
.LBB201_256:                            ;   in Loop: Header=BB201_225 Depth=1
	s_or_b32 exec_lo, exec_lo, s9
.LBB201_257:                            ;   in Loop: Header=BB201_225 Depth=1
	s_or_b32 exec_lo, exec_lo, s0
	v_or_b32_e32 v5, v20, v18
	v_or_b32_e32 v11, v19, v17
	;; [unrolled: 1-line block ×4, first 2 shown]
	v_add_nc_u32_e32 v47, -3, v36
	v_cmp_eq_u32_e32 vcc_lo, s12, v25
	v_mul_f32_e32 v45, s6, v5
	v_mul_f32_e32 v46, s3, v11
	;; [unrolled: 1-line block ×4, first 2 shown]
	v_add_nc_u32_e32 v49, -2, v36
	v_add_nc_u32_e32 v48, -1, v36
	s_and_saveexec_b32 s9, vcc_lo
	s_cbranch_execz .LBB201_259
; %bb.258:                              ;   in Loop: Header=BB201_225 Depth=1
	v_cmp_gt_i32_e64 s0, s27, v47
	v_cndmask_b32_e64 v46, 0, v46, s0
	v_cmp_gt_i32_e64 s0, s27, v49
	v_cndmask_b32_e64 v45, 0, v45, s0
	;; [unrolled: 2-line block ×4, first 2 shown]
.LBB201_259:                            ;   in Loop: Header=BB201_225 Depth=1
	s_or_b32 exec_lo, exec_lo, s9
	global_load_dword v50, v[15:16], off offset:128
	v_mov_b32_e32 v19, 0
	v_mov_b32_e32 v17, 0
	;; [unrolled: 1-line block ×4, first 2 shown]
	s_waitcnt vmcnt(0)
	v_cmp_ne_u16_sdwa s0, v50, v6 src0_sel:BYTE_0 src1_sel:DWORD
	s_and_saveexec_b32 s9, s0
	s_cbranch_execz .LBB201_267
; %bb.260:                              ;   in Loop: Header=BB201_225 Depth=1
	v_bfrev_b32_e32 v17, 1
	v_mov_b32_e32 v18, 0
	v_cmp_ne_u16_sdwa s0, v50, v38 src0_sel:BYTE_0 src1_sel:DWORD
	s_and_saveexec_b32 s13, s0
	s_cbranch_execz .LBB201_266
; %bb.261:                              ;   in Loop: Header=BB201_225 Depth=1
	v_mov_b32_e32 v17, 0x7f800001
	v_and_b32_e32 v13, 0x7f, v50
	v_mov_b32_e32 v18, 0
	s_mov_b32 s14, exec_lo
	v_cmpx_ne_u32_e32 0x7f, v13
	s_cbranch_execz .LBB201_265
; %bb.262:                              ;   in Loop: Header=BB201_225 Depth=1
	v_and_b32_e32 v5, 7, v50
	v_lshrrev_b32_e32 v11, 3, v13
	s_mov_b32 s15, exec_lo
	v_cmpx_gt_u32_e32 8, v13
; %bb.263:                              ;   in Loop: Header=BB201_225 Depth=1
	v_ffbh_u32_e32 v11, v5
	v_min_u32_e32 v11, 32, v11
	v_subrev_nc_u32_e32 v13, 28, v11
	v_sub_nc_u32_e32 v11, 29, v11
	v_lshlrev_b64 v[17:18], v13, v[5:6]
	v_and_b32_e32 v5, 7, v17
; %bb.264:                              ;   in Loop: Header=BB201_225 Depth=1
	s_or_b32 exec_lo, exec_lo, s15
	v_lshlrev_b32_e32 v13, 24, v50
	v_lshlrev_b32_e32 v5, 20, v5
	v_lshl_add_u32 v11, v11, 23, 0x3c000000
	v_and_b32_e32 v13, 0x80000000, v13
	v_or3_b32 v5, v5, v13, v11
	v_mov_b32_e32 v18, v6
	v_mov_b32_e32 v17, v5
.LBB201_265:                            ;   in Loop: Header=BB201_225 Depth=1
	s_or_b32 exec_lo, exec_lo, s14
.LBB201_266:                            ;   in Loop: Header=BB201_225 Depth=1
	s_or_b32 exec_lo, exec_lo, s13
.LBB201_267:                            ;   in Loop: Header=BB201_225 Depth=1
	s_or_b32 exec_lo, exec_lo, s9
	v_cmp_ne_u16_sdwa s0, v50, v6 src0_sel:BYTE_1 src1_sel:DWORD
	s_and_saveexec_b32 s9, s0
	s_cbranch_execz .LBB201_275
; %bb.268:                              ;   in Loop: Header=BB201_225 Depth=1
	v_mov_b32_e32 v11, v6
	v_mov_b32_e32 v20, v12
	v_cmp_ne_u16_sdwa s0, v50, v38 src0_sel:BYTE_1 src1_sel:DWORD
	v_mov_b32_e32 v19, v11
	s_and_saveexec_b32 s13, s0
	s_cbranch_execz .LBB201_274
; %bb.269:                              ;   in Loop: Header=BB201_225 Depth=1
	v_and_b32_sdwa v5, v39, v50 dst_sel:DWORD dst_unused:UNUSED_PAD src0_sel:DWORD src1_sel:BYTE_1
	v_mov_b32_e32 v13, v6
	v_mov_b32_e32 v20, v14
	s_mov_b32 s14, exec_lo
	v_and_b32_e32 v21, 0x7f, v5
	v_mov_b32_e32 v19, v13
	v_cmpx_ne_u32_e32 0x7f, v21
	s_cbranch_execz .LBB201_273
; %bb.270:                              ;   in Loop: Header=BB201_225 Depth=1
	v_and_b32_e32 v5, 7, v5
	v_lshrrev_b32_e32 v11, 3, v21
	s_mov_b32 s15, exec_lo
	v_cmpx_gt_u32_e32 8, v21
; %bb.271:                              ;   in Loop: Header=BB201_225 Depth=1
	v_ffbh_u32_e32 v11, v5
	v_min_u32_e32 v11, 32, v11
	v_subrev_nc_u32_e32 v13, 28, v11
	v_sub_nc_u32_e32 v11, 29, v11
	v_lshlrev_b64 v[19:20], v13, v[5:6]
	v_and_b32_e32 v5, 7, v19
; %bb.272:                              ;   in Loop: Header=BB201_225 Depth=1
	s_or_b32 exec_lo, exec_lo, s15
	v_lshlrev_b32_e32 v13, 16, v50
	v_lshlrev_b32_e32 v5, 20, v5
	v_lshl_add_u32 v11, v11, 23, 0x3c000000
	v_mov_b32_e32 v19, v6
	v_and_b32_e32 v13, 0x80000000, v13
	v_or3_b32 v20, v5, v13, v11
.LBB201_273:                            ;   in Loop: Header=BB201_225 Depth=1
	s_or_b32 exec_lo, exec_lo, s14
.LBB201_274:                            ;   in Loop: Header=BB201_225 Depth=1
	s_or_b32 exec_lo, exec_lo, s13
.LBB201_275:                            ;   in Loop: Header=BB201_225 Depth=1
	s_or_b32 exec_lo, exec_lo, s9
	v_mov_b32_e32 v23, 0
	v_mov_b32_e32 v21, 0
	v_and_b32_sdwa v5, v50, v40 dst_sel:DWORD dst_unused:UNUSED_PAD src0_sel:WORD_1 src1_sel:DWORD
	v_mov_b32_e32 v24, 0
	v_mov_b32_e32 v22, 0
	s_mov_b32 s9, exec_lo
	v_cmpx_ne_u16_e32 0, v5
	s_cbranch_execz .LBB201_283
; %bb.276:                              ;   in Loop: Header=BB201_225 Depth=1
	v_bfrev_b32_e32 v21, 1
	v_mov_b32_e32 v22, 0
	s_mov_b32 s13, exec_lo
	v_cmpx_ne_u16_e32 0x80, v5
	s_cbranch_execz .LBB201_282
; %bb.277:                              ;   in Loop: Header=BB201_225 Depth=1
	v_mov_b32_e32 v21, 0x7f800001
	v_bfe_u32 v13, v50, 16, 7
	v_mov_b32_e32 v22, 0
	s_mov_b32 s14, exec_lo
	v_cmpx_ne_u32_e32 0x7f, v13
	s_cbranch_execz .LBB201_281
; %bb.278:                              ;   in Loop: Header=BB201_225 Depth=1
	v_and_b32_sdwa v5, v50, v41 dst_sel:DWORD dst_unused:UNUSED_PAD src0_sel:WORD_1 src1_sel:DWORD
	v_lshrrev_b32_e32 v11, 3, v13
	s_mov_b32 s15, exec_lo
	v_cmpx_gt_u32_e32 8, v13
; %bb.279:                              ;   in Loop: Header=BB201_225 Depth=1
	v_ffbh_u32_e32 v11, v5
	v_min_u32_e32 v11, 32, v11
	v_subrev_nc_u32_e32 v13, 28, v11
	v_sub_nc_u32_e32 v11, 29, v11
	v_lshlrev_b64 v[21:22], v13, v[5:6]
	v_and_b32_e32 v5, 7, v21
; %bb.280:                              ;   in Loop: Header=BB201_225 Depth=1
	s_or_b32 exec_lo, exec_lo, s15
	v_lshlrev_b32_sdwa v13, v42, v50 dst_sel:DWORD dst_unused:UNUSED_PAD src0_sel:DWORD src1_sel:WORD_1
	v_lshlrev_b32_e32 v5, 20, v5
	v_lshl_add_u32 v11, v11, 23, 0x3c000000
	v_and_b32_e32 v13, 0x80000000, v13
	v_or3_b32 v5, v5, v13, v11
	v_mov_b32_e32 v22, v6
	v_mov_b32_e32 v21, v5
.LBB201_281:                            ;   in Loop: Header=BB201_225 Depth=1
	s_or_b32 exec_lo, exec_lo, s14
.LBB201_282:                            ;   in Loop: Header=BB201_225 Depth=1
	s_or_b32 exec_lo, exec_lo, s13
.LBB201_283:                            ;   in Loop: Header=BB201_225 Depth=1
	s_or_b32 exec_lo, exec_lo, s9
	s_mov_b32 s9, exec_lo
	v_cmpx_lt_u32_e32 0xffffff, v50
	s_cbranch_execz .LBB201_291
; %bb.284:                              ;   in Loop: Header=BB201_225 Depth=1
	v_mov_b32_e32 v11, v6
	v_mov_b32_e32 v24, v12
	v_cmp_ne_u32_sdwa s0, v50, v38 src0_sel:BYTE_3 src1_sel:DWORD
	v_mov_b32_e32 v23, v11
	s_and_saveexec_b32 s13, s0
	s_cbranch_execz .LBB201_290
; %bb.285:                              ;   in Loop: Header=BB201_225 Depth=1
	v_mov_b32_e32 v13, v6
	v_mov_b32_e32 v24, v14
	v_bfe_u32 v51, v50, 24, 7
	s_mov_b32 s14, exec_lo
	v_mov_b32_e32 v23, v13
	v_cmpx_ne_u32_e32 0x7f, v51
	s_cbranch_execz .LBB201_289
; %bb.286:                              ;   in Loop: Header=BB201_225 Depth=1
	v_and_b32_sdwa v5, v50, v41 dst_sel:DWORD dst_unused:UNUSED_PAD src0_sel:BYTE_3 src1_sel:DWORD
	v_lshrrev_b32_e32 v11, 3, v51
	s_mov_b32 s15, exec_lo
	v_cmpx_gt_u32_e32 8, v51
; %bb.287:                              ;   in Loop: Header=BB201_225 Depth=1
	v_ffbh_u32_e32 v11, v5
	v_min_u32_e32 v11, 32, v11
	v_subrev_nc_u32_e32 v13, 28, v11
	v_sub_nc_u32_e32 v11, 29, v11
	v_lshlrev_b64 v[23:24], v13, v[5:6]
	v_and_b32_e32 v5, 7, v23
; %bb.288:                              ;   in Loop: Header=BB201_225 Depth=1
	s_or_b32 exec_lo, exec_lo, s15
	v_lshlrev_b32_sdwa v13, v42, v50 dst_sel:DWORD dst_unused:UNUSED_PAD src0_sel:DWORD src1_sel:BYTE_3
	v_lshlrev_b32_e32 v5, 20, v5
	v_lshl_add_u32 v11, v11, 23, 0x3c000000
	v_mov_b32_e32 v23, v6
	v_and_b32_e32 v13, 0x80000000, v13
	v_or3_b32 v24, v5, v13, v11
.LBB201_289:                            ;   in Loop: Header=BB201_225 Depth=1
	s_or_b32 exec_lo, exec_lo, s14
.LBB201_290:                            ;   in Loop: Header=BB201_225 Depth=1
	s_or_b32 exec_lo, exec_lo, s13
.LBB201_291:                            ;   in Loop: Header=BB201_225 Depth=1
	s_or_b32 exec_lo, exec_lo, s9
	v_or_b32_e32 v5, v20, v18
	v_or_b32_e32 v11, v19, v17
	;; [unrolled: 1-line block ×4, first 2 shown]
	v_mul_f32_e32 v52, s6, v5
	v_mul_f32_e32 v53, s3, v11
	;; [unrolled: 1-line block ×4, first 2 shown]
	s_and_saveexec_b32 s9, vcc_lo
	s_cbranch_execz .LBB201_293
; %bb.292:                              ;   in Loop: Header=BB201_225 Depth=1
	v_cmp_gt_i32_e64 s0, s27, v47
	v_cndmask_b32_e64 v53, 0, v53, s0
	v_cmp_gt_i32_e64 s0, s27, v49
	v_cndmask_b32_e64 v52, 0, v52, s0
	v_cmp_gt_i32_e64 s0, s27, v48
	v_cndmask_b32_e64 v51, 0, v51, s0
	v_cmp_gt_i32_e64 s0, s27, v36
	v_cndmask_b32_e64 v50, 0, v50, s0
.LBB201_293:                            ;   in Loop: Header=BB201_225 Depth=1
	s_or_b32 exec_lo, exec_lo, s9
	global_load_dword v54, v[15:16], off offset:256
	v_mov_b32_e32 v19, 0
	v_mov_b32_e32 v17, 0
	;; [unrolled: 1-line block ×4, first 2 shown]
	s_waitcnt vmcnt(0)
	v_cmp_ne_u16_sdwa s0, v54, v6 src0_sel:BYTE_0 src1_sel:DWORD
	s_and_saveexec_b32 s9, s0
	s_cbranch_execz .LBB201_301
; %bb.294:                              ;   in Loop: Header=BB201_225 Depth=1
	v_bfrev_b32_e32 v17, 1
	v_mov_b32_e32 v18, 0
	v_cmp_ne_u16_sdwa s0, v54, v38 src0_sel:BYTE_0 src1_sel:DWORD
	s_and_saveexec_b32 s13, s0
	s_cbranch_execz .LBB201_300
; %bb.295:                              ;   in Loop: Header=BB201_225 Depth=1
	v_mov_b32_e32 v17, 0x7f800001
	v_and_b32_e32 v13, 0x7f, v54
	v_mov_b32_e32 v18, 0
	s_mov_b32 s14, exec_lo
	v_cmpx_ne_u32_e32 0x7f, v13
	s_cbranch_execz .LBB201_299
; %bb.296:                              ;   in Loop: Header=BB201_225 Depth=1
	v_and_b32_e32 v5, 7, v54
	v_lshrrev_b32_e32 v11, 3, v13
	s_mov_b32 s15, exec_lo
	v_cmpx_gt_u32_e32 8, v13
; %bb.297:                              ;   in Loop: Header=BB201_225 Depth=1
	v_ffbh_u32_e32 v11, v5
	v_min_u32_e32 v11, 32, v11
	v_subrev_nc_u32_e32 v13, 28, v11
	v_sub_nc_u32_e32 v11, 29, v11
	v_lshlrev_b64 v[17:18], v13, v[5:6]
	v_and_b32_e32 v5, 7, v17
; %bb.298:                              ;   in Loop: Header=BB201_225 Depth=1
	s_or_b32 exec_lo, exec_lo, s15
	v_lshlrev_b32_e32 v13, 24, v54
	v_lshlrev_b32_e32 v5, 20, v5
	v_lshl_add_u32 v11, v11, 23, 0x3c000000
	v_and_b32_e32 v13, 0x80000000, v13
	v_or3_b32 v5, v5, v13, v11
	v_mov_b32_e32 v18, v6
	v_mov_b32_e32 v17, v5
.LBB201_299:                            ;   in Loop: Header=BB201_225 Depth=1
	s_or_b32 exec_lo, exec_lo, s14
.LBB201_300:                            ;   in Loop: Header=BB201_225 Depth=1
	s_or_b32 exec_lo, exec_lo, s13
.LBB201_301:                            ;   in Loop: Header=BB201_225 Depth=1
	s_or_b32 exec_lo, exec_lo, s9
	v_cmp_ne_u16_sdwa s0, v54, v6 src0_sel:BYTE_1 src1_sel:DWORD
	s_and_saveexec_b32 s9, s0
	s_cbranch_execz .LBB201_309
; %bb.302:                              ;   in Loop: Header=BB201_225 Depth=1
	v_mov_b32_e32 v11, v6
	v_mov_b32_e32 v20, v12
	v_cmp_ne_u16_sdwa s0, v54, v38 src0_sel:BYTE_1 src1_sel:DWORD
	v_mov_b32_e32 v19, v11
	s_and_saveexec_b32 s13, s0
	s_cbranch_execz .LBB201_308
; %bb.303:                              ;   in Loop: Header=BB201_225 Depth=1
	v_and_b32_sdwa v5, v39, v54 dst_sel:DWORD dst_unused:UNUSED_PAD src0_sel:DWORD src1_sel:BYTE_1
	v_mov_b32_e32 v13, v6
	v_mov_b32_e32 v20, v14
	s_mov_b32 s14, exec_lo
	v_and_b32_e32 v21, 0x7f, v5
	v_mov_b32_e32 v19, v13
	v_cmpx_ne_u32_e32 0x7f, v21
	s_cbranch_execz .LBB201_307
; %bb.304:                              ;   in Loop: Header=BB201_225 Depth=1
	v_and_b32_e32 v5, 7, v5
	v_lshrrev_b32_e32 v11, 3, v21
	s_mov_b32 s15, exec_lo
	v_cmpx_gt_u32_e32 8, v21
; %bb.305:                              ;   in Loop: Header=BB201_225 Depth=1
	v_ffbh_u32_e32 v11, v5
	v_min_u32_e32 v11, 32, v11
	v_subrev_nc_u32_e32 v13, 28, v11
	v_sub_nc_u32_e32 v11, 29, v11
	v_lshlrev_b64 v[19:20], v13, v[5:6]
	v_and_b32_e32 v5, 7, v19
; %bb.306:                              ;   in Loop: Header=BB201_225 Depth=1
	s_or_b32 exec_lo, exec_lo, s15
	v_lshlrev_b32_e32 v13, 16, v54
	v_lshlrev_b32_e32 v5, 20, v5
	v_lshl_add_u32 v11, v11, 23, 0x3c000000
	v_mov_b32_e32 v19, v6
	v_and_b32_e32 v13, 0x80000000, v13
	v_or3_b32 v20, v5, v13, v11
.LBB201_307:                            ;   in Loop: Header=BB201_225 Depth=1
	s_or_b32 exec_lo, exec_lo, s14
.LBB201_308:                            ;   in Loop: Header=BB201_225 Depth=1
	s_or_b32 exec_lo, exec_lo, s13
.LBB201_309:                            ;   in Loop: Header=BB201_225 Depth=1
	s_or_b32 exec_lo, exec_lo, s9
	v_mov_b32_e32 v23, 0
	v_mov_b32_e32 v21, 0
	v_and_b32_sdwa v5, v54, v40 dst_sel:DWORD dst_unused:UNUSED_PAD src0_sel:WORD_1 src1_sel:DWORD
	v_mov_b32_e32 v24, 0
	v_mov_b32_e32 v22, 0
	s_mov_b32 s9, exec_lo
	v_cmpx_ne_u16_e32 0, v5
	s_cbranch_execz .LBB201_317
; %bb.310:                              ;   in Loop: Header=BB201_225 Depth=1
	v_bfrev_b32_e32 v21, 1
	v_mov_b32_e32 v22, 0
	s_mov_b32 s13, exec_lo
	v_cmpx_ne_u16_e32 0x80, v5
	s_cbranch_execz .LBB201_316
; %bb.311:                              ;   in Loop: Header=BB201_225 Depth=1
	v_mov_b32_e32 v21, 0x7f800001
	v_bfe_u32 v13, v54, 16, 7
	v_mov_b32_e32 v22, 0
	s_mov_b32 s14, exec_lo
	v_cmpx_ne_u32_e32 0x7f, v13
	s_cbranch_execz .LBB201_315
; %bb.312:                              ;   in Loop: Header=BB201_225 Depth=1
	v_and_b32_sdwa v5, v54, v41 dst_sel:DWORD dst_unused:UNUSED_PAD src0_sel:WORD_1 src1_sel:DWORD
	v_lshrrev_b32_e32 v11, 3, v13
	s_mov_b32 s15, exec_lo
	v_cmpx_gt_u32_e32 8, v13
; %bb.313:                              ;   in Loop: Header=BB201_225 Depth=1
	v_ffbh_u32_e32 v11, v5
	v_min_u32_e32 v11, 32, v11
	v_subrev_nc_u32_e32 v13, 28, v11
	v_sub_nc_u32_e32 v11, 29, v11
	v_lshlrev_b64 v[21:22], v13, v[5:6]
	v_and_b32_e32 v5, 7, v21
; %bb.314:                              ;   in Loop: Header=BB201_225 Depth=1
	s_or_b32 exec_lo, exec_lo, s15
	v_lshlrev_b32_sdwa v13, v42, v54 dst_sel:DWORD dst_unused:UNUSED_PAD src0_sel:DWORD src1_sel:WORD_1
	v_lshlrev_b32_e32 v5, 20, v5
	v_lshl_add_u32 v11, v11, 23, 0x3c000000
	v_and_b32_e32 v13, 0x80000000, v13
	v_or3_b32 v5, v5, v13, v11
	v_mov_b32_e32 v22, v6
	v_mov_b32_e32 v21, v5
.LBB201_315:                            ;   in Loop: Header=BB201_225 Depth=1
	s_or_b32 exec_lo, exec_lo, s14
.LBB201_316:                            ;   in Loop: Header=BB201_225 Depth=1
	s_or_b32 exec_lo, exec_lo, s13
.LBB201_317:                            ;   in Loop: Header=BB201_225 Depth=1
	s_or_b32 exec_lo, exec_lo, s9
	s_mov_b32 s9, exec_lo
	v_cmpx_lt_u32_e32 0xffffff, v54
	s_cbranch_execz .LBB201_325
; %bb.318:                              ;   in Loop: Header=BB201_225 Depth=1
	v_mov_b32_e32 v11, v6
	v_mov_b32_e32 v24, v12
	v_cmp_ne_u32_sdwa s0, v54, v38 src0_sel:BYTE_3 src1_sel:DWORD
	v_mov_b32_e32 v23, v11
	s_and_saveexec_b32 s13, s0
	s_cbranch_execz .LBB201_324
; %bb.319:                              ;   in Loop: Header=BB201_225 Depth=1
	v_mov_b32_e32 v13, v6
	v_mov_b32_e32 v24, v14
	v_bfe_u32 v55, v54, 24, 7
	s_mov_b32 s14, exec_lo
	v_mov_b32_e32 v23, v13
	v_cmpx_ne_u32_e32 0x7f, v55
	s_cbranch_execz .LBB201_323
; %bb.320:                              ;   in Loop: Header=BB201_225 Depth=1
	v_and_b32_sdwa v5, v54, v41 dst_sel:DWORD dst_unused:UNUSED_PAD src0_sel:BYTE_3 src1_sel:DWORD
	v_lshrrev_b32_e32 v11, 3, v55
	s_mov_b32 s15, exec_lo
	v_cmpx_gt_u32_e32 8, v55
; %bb.321:                              ;   in Loop: Header=BB201_225 Depth=1
	v_ffbh_u32_e32 v11, v5
	v_min_u32_e32 v11, 32, v11
	v_subrev_nc_u32_e32 v13, 28, v11
	v_sub_nc_u32_e32 v11, 29, v11
	v_lshlrev_b64 v[23:24], v13, v[5:6]
	v_and_b32_e32 v5, 7, v23
; %bb.322:                              ;   in Loop: Header=BB201_225 Depth=1
	s_or_b32 exec_lo, exec_lo, s15
	v_lshlrev_b32_sdwa v13, v42, v54 dst_sel:DWORD dst_unused:UNUSED_PAD src0_sel:DWORD src1_sel:BYTE_3
	v_lshlrev_b32_e32 v5, 20, v5
	v_lshl_add_u32 v11, v11, 23, 0x3c000000
	v_mov_b32_e32 v23, v6
	v_and_b32_e32 v13, 0x80000000, v13
	v_or3_b32 v24, v5, v13, v11
.LBB201_323:                            ;   in Loop: Header=BB201_225 Depth=1
	s_or_b32 exec_lo, exec_lo, s14
.LBB201_324:                            ;   in Loop: Header=BB201_225 Depth=1
	s_or_b32 exec_lo, exec_lo, s13
.LBB201_325:                            ;   in Loop: Header=BB201_225 Depth=1
	s_or_b32 exec_lo, exec_lo, s9
	v_or_b32_e32 v5, v20, v18
	v_or_b32_e32 v11, v19, v17
	v_or_b32_e32 v13, v23, v21
	v_or_b32_e32 v17, v24, v22
	v_mul_f32_e32 v56, s6, v5
	v_mul_f32_e32 v57, s3, v11
	;; [unrolled: 1-line block ×4, first 2 shown]
	s_and_saveexec_b32 s9, vcc_lo
	s_cbranch_execz .LBB201_327
; %bb.326:                              ;   in Loop: Header=BB201_225 Depth=1
	v_cmp_gt_i32_e64 s0, s27, v47
	v_cndmask_b32_e64 v57, 0, v57, s0
	v_cmp_gt_i32_e64 s0, s27, v49
	v_cndmask_b32_e64 v56, 0, v56, s0
	v_cmp_gt_i32_e64 s0, s27, v48
	v_cndmask_b32_e64 v55, 0, v55, s0
	v_cmp_gt_i32_e64 s0, s27, v36
	v_cndmask_b32_e64 v54, 0, v54, s0
.LBB201_327:                            ;   in Loop: Header=BB201_225 Depth=1
	s_or_b32 exec_lo, exec_lo, s9
	global_load_dword v58, v[15:16], off offset:384
	v_mov_b32_e32 v19, 0
	v_mov_b32_e32 v17, 0
	;; [unrolled: 1-line block ×4, first 2 shown]
	s_waitcnt vmcnt(0)
	v_cmp_ne_u16_sdwa s0, v58, v6 src0_sel:BYTE_0 src1_sel:DWORD
	s_and_saveexec_b32 s9, s0
	s_cbranch_execz .LBB201_335
; %bb.328:                              ;   in Loop: Header=BB201_225 Depth=1
	v_bfrev_b32_e32 v17, 1
	v_mov_b32_e32 v18, 0
	v_cmp_ne_u16_sdwa s0, v58, v38 src0_sel:BYTE_0 src1_sel:DWORD
	s_and_saveexec_b32 s13, s0
	s_cbranch_execz .LBB201_334
; %bb.329:                              ;   in Loop: Header=BB201_225 Depth=1
	v_mov_b32_e32 v17, 0x7f800001
	v_and_b32_e32 v13, 0x7f, v58
	v_mov_b32_e32 v18, 0
	s_mov_b32 s14, exec_lo
	v_cmpx_ne_u32_e32 0x7f, v13
	s_cbranch_execz .LBB201_333
; %bb.330:                              ;   in Loop: Header=BB201_225 Depth=1
	v_and_b32_e32 v5, 7, v58
	v_lshrrev_b32_e32 v11, 3, v13
	s_mov_b32 s15, exec_lo
	v_cmpx_gt_u32_e32 8, v13
; %bb.331:                              ;   in Loop: Header=BB201_225 Depth=1
	v_ffbh_u32_e32 v11, v5
	v_min_u32_e32 v11, 32, v11
	v_subrev_nc_u32_e32 v13, 28, v11
	v_sub_nc_u32_e32 v11, 29, v11
	v_lshlrev_b64 v[17:18], v13, v[5:6]
	v_and_b32_e32 v5, 7, v17
; %bb.332:                              ;   in Loop: Header=BB201_225 Depth=1
	s_or_b32 exec_lo, exec_lo, s15
	v_lshlrev_b32_e32 v13, 24, v58
	v_lshlrev_b32_e32 v5, 20, v5
	v_lshl_add_u32 v11, v11, 23, 0x3c000000
	v_and_b32_e32 v13, 0x80000000, v13
	v_or3_b32 v5, v5, v13, v11
	v_mov_b32_e32 v18, v6
	v_mov_b32_e32 v17, v5
.LBB201_333:                            ;   in Loop: Header=BB201_225 Depth=1
	s_or_b32 exec_lo, exec_lo, s14
.LBB201_334:                            ;   in Loop: Header=BB201_225 Depth=1
	s_or_b32 exec_lo, exec_lo, s13
.LBB201_335:                            ;   in Loop: Header=BB201_225 Depth=1
	s_or_b32 exec_lo, exec_lo, s9
	v_cmp_ne_u16_sdwa s0, v58, v6 src0_sel:BYTE_1 src1_sel:DWORD
	s_and_saveexec_b32 s9, s0
	s_cbranch_execz .LBB201_343
; %bb.336:                              ;   in Loop: Header=BB201_225 Depth=1
	v_mov_b32_e32 v11, v6
	v_mov_b32_e32 v20, v12
	v_cmp_ne_u16_sdwa s0, v58, v38 src0_sel:BYTE_1 src1_sel:DWORD
	v_mov_b32_e32 v19, v11
	s_and_saveexec_b32 s13, s0
	s_cbranch_execz .LBB201_342
; %bb.337:                              ;   in Loop: Header=BB201_225 Depth=1
	v_and_b32_sdwa v5, v39, v58 dst_sel:DWORD dst_unused:UNUSED_PAD src0_sel:DWORD src1_sel:BYTE_1
	v_mov_b32_e32 v13, v6
	v_mov_b32_e32 v20, v14
	s_mov_b32 s14, exec_lo
	v_and_b32_e32 v21, 0x7f, v5
	v_mov_b32_e32 v19, v13
	v_cmpx_ne_u32_e32 0x7f, v21
	s_cbranch_execz .LBB201_341
; %bb.338:                              ;   in Loop: Header=BB201_225 Depth=1
	v_and_b32_e32 v5, 7, v5
	v_lshrrev_b32_e32 v11, 3, v21
	s_mov_b32 s15, exec_lo
	v_cmpx_gt_u32_e32 8, v21
; %bb.339:                              ;   in Loop: Header=BB201_225 Depth=1
	v_ffbh_u32_e32 v11, v5
	v_min_u32_e32 v11, 32, v11
	v_subrev_nc_u32_e32 v13, 28, v11
	v_sub_nc_u32_e32 v11, 29, v11
	v_lshlrev_b64 v[19:20], v13, v[5:6]
	v_and_b32_e32 v5, 7, v19
; %bb.340:                              ;   in Loop: Header=BB201_225 Depth=1
	s_or_b32 exec_lo, exec_lo, s15
	v_lshlrev_b32_e32 v13, 16, v58
	v_lshlrev_b32_e32 v5, 20, v5
	v_lshl_add_u32 v11, v11, 23, 0x3c000000
	v_mov_b32_e32 v19, v6
	v_and_b32_e32 v13, 0x80000000, v13
	v_or3_b32 v20, v5, v13, v11
.LBB201_341:                            ;   in Loop: Header=BB201_225 Depth=1
	s_or_b32 exec_lo, exec_lo, s14
.LBB201_342:                            ;   in Loop: Header=BB201_225 Depth=1
	s_or_b32 exec_lo, exec_lo, s13
.LBB201_343:                            ;   in Loop: Header=BB201_225 Depth=1
	s_or_b32 exec_lo, exec_lo, s9
	v_mov_b32_e32 v23, 0
	v_mov_b32_e32 v21, 0
	v_and_b32_sdwa v5, v58, v40 dst_sel:DWORD dst_unused:UNUSED_PAD src0_sel:WORD_1 src1_sel:DWORD
	v_mov_b32_e32 v24, 0
	v_mov_b32_e32 v22, 0
	s_mov_b32 s9, exec_lo
	v_cmpx_ne_u16_e32 0, v5
	s_cbranch_execz .LBB201_351
; %bb.344:                              ;   in Loop: Header=BB201_225 Depth=1
	v_bfrev_b32_e32 v21, 1
	v_mov_b32_e32 v22, 0
	s_mov_b32 s13, exec_lo
	v_cmpx_ne_u16_e32 0x80, v5
	s_cbranch_execz .LBB201_350
; %bb.345:                              ;   in Loop: Header=BB201_225 Depth=1
	v_mov_b32_e32 v21, 0x7f800001
	v_bfe_u32 v13, v58, 16, 7
	v_mov_b32_e32 v22, 0
	s_mov_b32 s14, exec_lo
	v_cmpx_ne_u32_e32 0x7f, v13
	s_cbranch_execz .LBB201_349
; %bb.346:                              ;   in Loop: Header=BB201_225 Depth=1
	v_and_b32_sdwa v5, v58, v41 dst_sel:DWORD dst_unused:UNUSED_PAD src0_sel:WORD_1 src1_sel:DWORD
	v_lshrrev_b32_e32 v11, 3, v13
	s_mov_b32 s15, exec_lo
	v_cmpx_gt_u32_e32 8, v13
; %bb.347:                              ;   in Loop: Header=BB201_225 Depth=1
	v_ffbh_u32_e32 v11, v5
	v_min_u32_e32 v11, 32, v11
	v_subrev_nc_u32_e32 v13, 28, v11
	v_sub_nc_u32_e32 v11, 29, v11
	v_lshlrev_b64 v[21:22], v13, v[5:6]
	v_and_b32_e32 v5, 7, v21
; %bb.348:                              ;   in Loop: Header=BB201_225 Depth=1
	s_or_b32 exec_lo, exec_lo, s15
	v_lshlrev_b32_sdwa v13, v42, v58 dst_sel:DWORD dst_unused:UNUSED_PAD src0_sel:DWORD src1_sel:WORD_1
	v_lshlrev_b32_e32 v5, 20, v5
	v_lshl_add_u32 v11, v11, 23, 0x3c000000
	v_and_b32_e32 v13, 0x80000000, v13
	v_or3_b32 v5, v5, v13, v11
	v_mov_b32_e32 v22, v6
	v_mov_b32_e32 v21, v5
.LBB201_349:                            ;   in Loop: Header=BB201_225 Depth=1
	s_or_b32 exec_lo, exec_lo, s14
.LBB201_350:                            ;   in Loop: Header=BB201_225 Depth=1
	s_or_b32 exec_lo, exec_lo, s13
.LBB201_351:                            ;   in Loop: Header=BB201_225 Depth=1
	s_or_b32 exec_lo, exec_lo, s9
	s_mov_b32 s9, exec_lo
	v_cmpx_lt_u32_e32 0xffffff, v58
	s_cbranch_execz .LBB201_359
; %bb.352:                              ;   in Loop: Header=BB201_225 Depth=1
	v_mov_b32_e32 v11, v6
	v_mov_b32_e32 v24, v12
	v_cmp_ne_u32_sdwa s0, v58, v38 src0_sel:BYTE_3 src1_sel:DWORD
	v_mov_b32_e32 v23, v11
	s_and_saveexec_b32 s13, s0
	s_cbranch_execz .LBB201_358
; %bb.353:                              ;   in Loop: Header=BB201_225 Depth=1
	v_mov_b32_e32 v13, v6
	v_mov_b32_e32 v24, v14
	v_bfe_u32 v59, v58, 24, 7
	s_mov_b32 s14, exec_lo
	v_mov_b32_e32 v23, v13
	v_cmpx_ne_u32_e32 0x7f, v59
	s_cbranch_execz .LBB201_357
; %bb.354:                              ;   in Loop: Header=BB201_225 Depth=1
	v_and_b32_sdwa v5, v58, v41 dst_sel:DWORD dst_unused:UNUSED_PAD src0_sel:BYTE_3 src1_sel:DWORD
	v_lshrrev_b32_e32 v11, 3, v59
	s_mov_b32 s15, exec_lo
	v_cmpx_gt_u32_e32 8, v59
; %bb.355:                              ;   in Loop: Header=BB201_225 Depth=1
	v_ffbh_u32_e32 v11, v5
	v_min_u32_e32 v11, 32, v11
	v_subrev_nc_u32_e32 v13, 28, v11
	v_sub_nc_u32_e32 v11, 29, v11
	v_lshlrev_b64 v[23:24], v13, v[5:6]
	v_and_b32_e32 v5, 7, v23
; %bb.356:                              ;   in Loop: Header=BB201_225 Depth=1
	s_or_b32 exec_lo, exec_lo, s15
	v_lshlrev_b32_sdwa v13, v42, v58 dst_sel:DWORD dst_unused:UNUSED_PAD src0_sel:DWORD src1_sel:BYTE_3
	v_lshlrev_b32_e32 v5, 20, v5
	v_lshl_add_u32 v11, v11, 23, 0x3c000000
	v_mov_b32_e32 v23, v6
	v_and_b32_e32 v13, 0x80000000, v13
	v_or3_b32 v24, v5, v13, v11
.LBB201_357:                            ;   in Loop: Header=BB201_225 Depth=1
	s_or_b32 exec_lo, exec_lo, s14
.LBB201_358:                            ;   in Loop: Header=BB201_225 Depth=1
	s_or_b32 exec_lo, exec_lo, s13
.LBB201_359:                            ;   in Loop: Header=BB201_225 Depth=1
	s_or_b32 exec_lo, exec_lo, s9
	v_or_b32_e32 v5, v20, v18
	v_or_b32_e32 v11, v19, v17
	;; [unrolled: 1-line block ×4, first 2 shown]
	v_mul_f32_e32 v60, s6, v5
	v_mul_f32_e32 v61, s3, v11
	;; [unrolled: 1-line block ×4, first 2 shown]
	s_and_saveexec_b32 s9, vcc_lo
	s_cbranch_execz .LBB201_361
; %bb.360:                              ;   in Loop: Header=BB201_225 Depth=1
	v_cmp_gt_i32_e64 s0, s27, v47
	v_cndmask_b32_e64 v61, 0, v61, s0
	v_cmp_gt_i32_e64 s0, s27, v49
	v_cndmask_b32_e64 v60, 0, v60, s0
	;; [unrolled: 2-line block ×4, first 2 shown]
.LBB201_361:                            ;   in Loop: Header=BB201_225 Depth=1
	s_or_b32 exec_lo, exec_lo, s9
	global_load_dword v62, v[15:16], off offset:512
	v_mov_b32_e32 v19, 0
	v_mov_b32_e32 v17, 0
	;; [unrolled: 1-line block ×4, first 2 shown]
	s_waitcnt vmcnt(0)
	v_cmp_ne_u16_sdwa s0, v62, v6 src0_sel:BYTE_0 src1_sel:DWORD
	s_and_saveexec_b32 s9, s0
	s_cbranch_execz .LBB201_369
; %bb.362:                              ;   in Loop: Header=BB201_225 Depth=1
	v_bfrev_b32_e32 v17, 1
	v_mov_b32_e32 v18, 0
	v_cmp_ne_u16_sdwa s0, v62, v38 src0_sel:BYTE_0 src1_sel:DWORD
	s_and_saveexec_b32 s13, s0
	s_cbranch_execz .LBB201_368
; %bb.363:                              ;   in Loop: Header=BB201_225 Depth=1
	v_mov_b32_e32 v17, 0x7f800001
	v_and_b32_e32 v13, 0x7f, v62
	v_mov_b32_e32 v18, 0
	s_mov_b32 s14, exec_lo
	v_cmpx_ne_u32_e32 0x7f, v13
	s_cbranch_execz .LBB201_367
; %bb.364:                              ;   in Loop: Header=BB201_225 Depth=1
	v_and_b32_e32 v5, 7, v62
	v_lshrrev_b32_e32 v11, 3, v13
	s_mov_b32 s15, exec_lo
	v_cmpx_gt_u32_e32 8, v13
; %bb.365:                              ;   in Loop: Header=BB201_225 Depth=1
	v_ffbh_u32_e32 v11, v5
	v_min_u32_e32 v11, 32, v11
	v_subrev_nc_u32_e32 v13, 28, v11
	v_sub_nc_u32_e32 v11, 29, v11
	v_lshlrev_b64 v[17:18], v13, v[5:6]
	v_and_b32_e32 v5, 7, v17
; %bb.366:                              ;   in Loop: Header=BB201_225 Depth=1
	s_or_b32 exec_lo, exec_lo, s15
	v_lshlrev_b32_e32 v13, 24, v62
	v_lshlrev_b32_e32 v5, 20, v5
	v_lshl_add_u32 v11, v11, 23, 0x3c000000
	v_and_b32_e32 v13, 0x80000000, v13
	v_or3_b32 v5, v5, v13, v11
	v_mov_b32_e32 v18, v6
	v_mov_b32_e32 v17, v5
.LBB201_367:                            ;   in Loop: Header=BB201_225 Depth=1
	s_or_b32 exec_lo, exec_lo, s14
.LBB201_368:                            ;   in Loop: Header=BB201_225 Depth=1
	s_or_b32 exec_lo, exec_lo, s13
.LBB201_369:                            ;   in Loop: Header=BB201_225 Depth=1
	s_or_b32 exec_lo, exec_lo, s9
	v_cmp_ne_u16_sdwa s0, v62, v6 src0_sel:BYTE_1 src1_sel:DWORD
	s_and_saveexec_b32 s9, s0
	s_cbranch_execz .LBB201_377
; %bb.370:                              ;   in Loop: Header=BB201_225 Depth=1
	v_mov_b32_e32 v11, v6
	v_mov_b32_e32 v20, v12
	v_cmp_ne_u16_sdwa s0, v62, v38 src0_sel:BYTE_1 src1_sel:DWORD
	v_mov_b32_e32 v19, v11
	s_and_saveexec_b32 s13, s0
	s_cbranch_execz .LBB201_376
; %bb.371:                              ;   in Loop: Header=BB201_225 Depth=1
	v_and_b32_sdwa v5, v39, v62 dst_sel:DWORD dst_unused:UNUSED_PAD src0_sel:DWORD src1_sel:BYTE_1
	v_mov_b32_e32 v13, v6
	v_mov_b32_e32 v20, v14
	s_mov_b32 s14, exec_lo
	v_and_b32_e32 v21, 0x7f, v5
	v_mov_b32_e32 v19, v13
	v_cmpx_ne_u32_e32 0x7f, v21
	s_cbranch_execz .LBB201_375
; %bb.372:                              ;   in Loop: Header=BB201_225 Depth=1
	v_and_b32_e32 v5, 7, v5
	v_lshrrev_b32_e32 v11, 3, v21
	s_mov_b32 s15, exec_lo
	v_cmpx_gt_u32_e32 8, v21
; %bb.373:                              ;   in Loop: Header=BB201_225 Depth=1
	v_ffbh_u32_e32 v11, v5
	v_min_u32_e32 v11, 32, v11
	v_subrev_nc_u32_e32 v13, 28, v11
	v_sub_nc_u32_e32 v11, 29, v11
	v_lshlrev_b64 v[19:20], v13, v[5:6]
	v_and_b32_e32 v5, 7, v19
; %bb.374:                              ;   in Loop: Header=BB201_225 Depth=1
	s_or_b32 exec_lo, exec_lo, s15
	v_lshlrev_b32_e32 v13, 16, v62
	v_lshlrev_b32_e32 v5, 20, v5
	v_lshl_add_u32 v11, v11, 23, 0x3c000000
	v_mov_b32_e32 v19, v6
	v_and_b32_e32 v13, 0x80000000, v13
	v_or3_b32 v20, v5, v13, v11
.LBB201_375:                            ;   in Loop: Header=BB201_225 Depth=1
	s_or_b32 exec_lo, exec_lo, s14
.LBB201_376:                            ;   in Loop: Header=BB201_225 Depth=1
	s_or_b32 exec_lo, exec_lo, s13
.LBB201_377:                            ;   in Loop: Header=BB201_225 Depth=1
	s_or_b32 exec_lo, exec_lo, s9
	v_mov_b32_e32 v23, 0
	v_mov_b32_e32 v21, 0
	v_and_b32_sdwa v5, v62, v40 dst_sel:DWORD dst_unused:UNUSED_PAD src0_sel:WORD_1 src1_sel:DWORD
	v_mov_b32_e32 v24, 0
	v_mov_b32_e32 v22, 0
	s_mov_b32 s9, exec_lo
	v_cmpx_ne_u16_e32 0, v5
	s_cbranch_execz .LBB201_385
; %bb.378:                              ;   in Loop: Header=BB201_225 Depth=1
	v_bfrev_b32_e32 v21, 1
	v_mov_b32_e32 v22, 0
	s_mov_b32 s13, exec_lo
	v_cmpx_ne_u16_e32 0x80, v5
	s_cbranch_execz .LBB201_384
; %bb.379:                              ;   in Loop: Header=BB201_225 Depth=1
	v_mov_b32_e32 v21, 0x7f800001
	v_bfe_u32 v13, v62, 16, 7
	v_mov_b32_e32 v22, 0
	s_mov_b32 s14, exec_lo
	v_cmpx_ne_u32_e32 0x7f, v13
	s_cbranch_execz .LBB201_383
; %bb.380:                              ;   in Loop: Header=BB201_225 Depth=1
	v_and_b32_sdwa v5, v62, v41 dst_sel:DWORD dst_unused:UNUSED_PAD src0_sel:WORD_1 src1_sel:DWORD
	v_lshrrev_b32_e32 v11, 3, v13
	s_mov_b32 s15, exec_lo
	v_cmpx_gt_u32_e32 8, v13
; %bb.381:                              ;   in Loop: Header=BB201_225 Depth=1
	v_ffbh_u32_e32 v11, v5
	v_min_u32_e32 v11, 32, v11
	v_subrev_nc_u32_e32 v13, 28, v11
	v_sub_nc_u32_e32 v11, 29, v11
	v_lshlrev_b64 v[21:22], v13, v[5:6]
	v_and_b32_e32 v5, 7, v21
; %bb.382:                              ;   in Loop: Header=BB201_225 Depth=1
	s_or_b32 exec_lo, exec_lo, s15
	v_lshlrev_b32_sdwa v13, v42, v62 dst_sel:DWORD dst_unused:UNUSED_PAD src0_sel:DWORD src1_sel:WORD_1
	v_lshlrev_b32_e32 v5, 20, v5
	v_lshl_add_u32 v11, v11, 23, 0x3c000000
	v_and_b32_e32 v13, 0x80000000, v13
	v_or3_b32 v5, v5, v13, v11
	v_mov_b32_e32 v22, v6
	v_mov_b32_e32 v21, v5
.LBB201_383:                            ;   in Loop: Header=BB201_225 Depth=1
	s_or_b32 exec_lo, exec_lo, s14
.LBB201_384:                            ;   in Loop: Header=BB201_225 Depth=1
	s_or_b32 exec_lo, exec_lo, s13
.LBB201_385:                            ;   in Loop: Header=BB201_225 Depth=1
	s_or_b32 exec_lo, exec_lo, s9
	s_mov_b32 s9, exec_lo
	v_cmpx_lt_u32_e32 0xffffff, v62
	s_cbranch_execz .LBB201_393
; %bb.386:                              ;   in Loop: Header=BB201_225 Depth=1
	v_mov_b32_e32 v11, v6
	v_mov_b32_e32 v24, v12
	v_cmp_ne_u32_sdwa s0, v62, v38 src0_sel:BYTE_3 src1_sel:DWORD
	v_mov_b32_e32 v23, v11
	s_and_saveexec_b32 s13, s0
	s_cbranch_execz .LBB201_392
; %bb.387:                              ;   in Loop: Header=BB201_225 Depth=1
	v_mov_b32_e32 v13, v6
	v_mov_b32_e32 v24, v14
	v_bfe_u32 v63, v62, 24, 7
	s_mov_b32 s14, exec_lo
	v_mov_b32_e32 v23, v13
	v_cmpx_ne_u32_e32 0x7f, v63
	s_cbranch_execz .LBB201_391
; %bb.388:                              ;   in Loop: Header=BB201_225 Depth=1
	v_and_b32_sdwa v5, v62, v41 dst_sel:DWORD dst_unused:UNUSED_PAD src0_sel:BYTE_3 src1_sel:DWORD
	v_lshrrev_b32_e32 v11, 3, v63
	s_mov_b32 s15, exec_lo
	v_cmpx_gt_u32_e32 8, v63
; %bb.389:                              ;   in Loop: Header=BB201_225 Depth=1
	v_ffbh_u32_e32 v11, v5
	v_min_u32_e32 v11, 32, v11
	v_subrev_nc_u32_e32 v13, 28, v11
	v_sub_nc_u32_e32 v11, 29, v11
	v_lshlrev_b64 v[23:24], v13, v[5:6]
	v_and_b32_e32 v5, 7, v23
; %bb.390:                              ;   in Loop: Header=BB201_225 Depth=1
	s_or_b32 exec_lo, exec_lo, s15
	v_lshlrev_b32_sdwa v13, v42, v62 dst_sel:DWORD dst_unused:UNUSED_PAD src0_sel:DWORD src1_sel:BYTE_3
	v_lshlrev_b32_e32 v5, 20, v5
	v_lshl_add_u32 v11, v11, 23, 0x3c000000
	v_mov_b32_e32 v23, v6
	v_and_b32_e32 v13, 0x80000000, v13
	v_or3_b32 v24, v5, v13, v11
.LBB201_391:                            ;   in Loop: Header=BB201_225 Depth=1
	s_or_b32 exec_lo, exec_lo, s14
.LBB201_392:                            ;   in Loop: Header=BB201_225 Depth=1
	s_or_b32 exec_lo, exec_lo, s13
.LBB201_393:                            ;   in Loop: Header=BB201_225 Depth=1
	s_or_b32 exec_lo, exec_lo, s9
	v_or_b32_e32 v5, v20, v18
	v_or_b32_e32 v11, v19, v17
	;; [unrolled: 1-line block ×4, first 2 shown]
	v_mul_f32_e32 v62, s6, v5
	v_mul_f32_e32 v63, s3, v11
	;; [unrolled: 1-line block ×4, first 2 shown]
	s_and_saveexec_b32 s9, vcc_lo
	s_cbranch_execz .LBB201_395
; %bb.394:                              ;   in Loop: Header=BB201_225 Depth=1
	v_cmp_gt_i32_e64 s0, s27, v47
	v_cndmask_b32_e64 v63, 0, v63, s0
	v_cmp_gt_i32_e64 s0, s27, v49
	v_cndmask_b32_e64 v62, 0, v62, s0
	;; [unrolled: 2-line block ×4, first 2 shown]
.LBB201_395:                            ;   in Loop: Header=BB201_225 Depth=1
	s_or_b32 exec_lo, exec_lo, s9
	global_load_dword v64, v[15:16], off offset:640
	v_mov_b32_e32 v17, 0
	v_mov_b32_e32 v15, 0
	v_mov_b32_e32 v18, 0
	v_mov_b32_e32 v16, 0
	s_waitcnt vmcnt(0)
	v_cmp_ne_u16_sdwa s0, v64, v6 src0_sel:BYTE_0 src1_sel:DWORD
	s_and_saveexec_b32 s9, s0
	s_cbranch_execz .LBB201_403
; %bb.396:                              ;   in Loop: Header=BB201_225 Depth=1
	v_bfrev_b32_e32 v15, 1
	v_mov_b32_e32 v16, 0
	v_cmp_ne_u16_sdwa s0, v64, v38 src0_sel:BYTE_0 src1_sel:DWORD
	s_and_saveexec_b32 s13, s0
	s_cbranch_execz .LBB201_402
; %bb.397:                              ;   in Loop: Header=BB201_225 Depth=1
	v_mov_b32_e32 v15, 0x7f800001
	v_and_b32_e32 v13, 0x7f, v64
	v_mov_b32_e32 v16, 0
	s_mov_b32 s14, exec_lo
	v_cmpx_ne_u32_e32 0x7f, v13
	s_cbranch_execz .LBB201_401
; %bb.398:                              ;   in Loop: Header=BB201_225 Depth=1
	v_and_b32_e32 v5, 7, v64
	v_lshrrev_b32_e32 v11, 3, v13
	s_mov_b32 s15, exec_lo
	v_cmpx_gt_u32_e32 8, v13
; %bb.399:                              ;   in Loop: Header=BB201_225 Depth=1
	v_ffbh_u32_e32 v11, v5
	v_min_u32_e32 v11, 32, v11
	v_subrev_nc_u32_e32 v13, 28, v11
	v_sub_nc_u32_e32 v11, 29, v11
	v_lshlrev_b64 v[15:16], v13, v[5:6]
	v_and_b32_e32 v5, 7, v15
; %bb.400:                              ;   in Loop: Header=BB201_225 Depth=1
	s_or_b32 exec_lo, exec_lo, s15
	v_lshlrev_b32_e32 v13, 24, v64
	v_lshlrev_b32_e32 v5, 20, v5
	v_lshl_add_u32 v11, v11, 23, 0x3c000000
	v_and_b32_e32 v13, 0x80000000, v13
	v_or3_b32 v5, v5, v13, v11
	v_mov_b32_e32 v16, v6
	v_mov_b32_e32 v15, v5
.LBB201_401:                            ;   in Loop: Header=BB201_225 Depth=1
	s_or_b32 exec_lo, exec_lo, s14
.LBB201_402:                            ;   in Loop: Header=BB201_225 Depth=1
	s_or_b32 exec_lo, exec_lo, s13
.LBB201_403:                            ;   in Loop: Header=BB201_225 Depth=1
	s_or_b32 exec_lo, exec_lo, s9
	v_cmp_ne_u16_sdwa s0, v64, v6 src0_sel:BYTE_1 src1_sel:DWORD
	s_and_saveexec_b32 s9, s0
	s_cbranch_execz .LBB201_411
; %bb.404:                              ;   in Loop: Header=BB201_225 Depth=1
	v_mov_b32_e32 v11, v6
	v_mov_b32_e32 v18, v12
	v_cmp_ne_u16_sdwa s0, v64, v38 src0_sel:BYTE_1 src1_sel:DWORD
	v_mov_b32_e32 v17, v11
	s_and_saveexec_b32 s13, s0
	s_cbranch_execz .LBB201_410
; %bb.405:                              ;   in Loop: Header=BB201_225 Depth=1
	v_and_b32_sdwa v5, v39, v64 dst_sel:DWORD dst_unused:UNUSED_PAD src0_sel:DWORD src1_sel:BYTE_1
	v_mov_b32_e32 v13, v6
	v_mov_b32_e32 v18, v14
	s_mov_b32 s14, exec_lo
	v_and_b32_e32 v19, 0x7f, v5
	v_mov_b32_e32 v17, v13
	v_cmpx_ne_u32_e32 0x7f, v19
	s_cbranch_execz .LBB201_409
; %bb.406:                              ;   in Loop: Header=BB201_225 Depth=1
	v_and_b32_e32 v5, 7, v5
	v_lshrrev_b32_e32 v11, 3, v19
	s_mov_b32 s15, exec_lo
	v_cmpx_gt_u32_e32 8, v19
; %bb.407:                              ;   in Loop: Header=BB201_225 Depth=1
	v_ffbh_u32_e32 v11, v5
	v_min_u32_e32 v11, 32, v11
	v_subrev_nc_u32_e32 v13, 28, v11
	v_sub_nc_u32_e32 v11, 29, v11
	v_lshlrev_b64 v[17:18], v13, v[5:6]
	v_and_b32_e32 v5, 7, v17
; %bb.408:                              ;   in Loop: Header=BB201_225 Depth=1
	s_or_b32 exec_lo, exec_lo, s15
	v_lshlrev_b32_e32 v13, 16, v64
	v_lshlrev_b32_e32 v5, 20, v5
	v_lshl_add_u32 v11, v11, 23, 0x3c000000
	v_mov_b32_e32 v17, v6
	v_and_b32_e32 v13, 0x80000000, v13
	v_or3_b32 v18, v5, v13, v11
.LBB201_409:                            ;   in Loop: Header=BB201_225 Depth=1
	s_or_b32 exec_lo, exec_lo, s14
.LBB201_410:                            ;   in Loop: Header=BB201_225 Depth=1
	s_or_b32 exec_lo, exec_lo, s13
.LBB201_411:                            ;   in Loop: Header=BB201_225 Depth=1
	s_or_b32 exec_lo, exec_lo, s9
	v_mov_b32_e32 v21, 0
	v_mov_b32_e32 v19, 0
	v_and_b32_sdwa v5, v64, v40 dst_sel:DWORD dst_unused:UNUSED_PAD src0_sel:WORD_1 src1_sel:DWORD
	v_mov_b32_e32 v22, 0
	v_mov_b32_e32 v20, 0
	s_mov_b32 s9, exec_lo
	v_cmpx_ne_u16_e32 0, v5
	s_cbranch_execz .LBB201_419
; %bb.412:                              ;   in Loop: Header=BB201_225 Depth=1
	v_bfrev_b32_e32 v19, 1
	v_mov_b32_e32 v20, 0
	s_mov_b32 s13, exec_lo
	v_cmpx_ne_u16_e32 0x80, v5
	s_cbranch_execz .LBB201_418
; %bb.413:                              ;   in Loop: Header=BB201_225 Depth=1
	v_mov_b32_e32 v19, 0x7f800001
	v_bfe_u32 v13, v64, 16, 7
	v_mov_b32_e32 v20, 0
	s_mov_b32 s14, exec_lo
	v_cmpx_ne_u32_e32 0x7f, v13
	s_cbranch_execz .LBB201_417
; %bb.414:                              ;   in Loop: Header=BB201_225 Depth=1
	v_and_b32_sdwa v5, v64, v41 dst_sel:DWORD dst_unused:UNUSED_PAD src0_sel:WORD_1 src1_sel:DWORD
	v_lshrrev_b32_e32 v11, 3, v13
	s_mov_b32 s15, exec_lo
	v_cmpx_gt_u32_e32 8, v13
; %bb.415:                              ;   in Loop: Header=BB201_225 Depth=1
	v_ffbh_u32_e32 v11, v5
	v_min_u32_e32 v11, 32, v11
	v_subrev_nc_u32_e32 v13, 28, v11
	v_sub_nc_u32_e32 v11, 29, v11
	v_lshlrev_b64 v[19:20], v13, v[5:6]
	v_and_b32_e32 v5, 7, v19
; %bb.416:                              ;   in Loop: Header=BB201_225 Depth=1
	s_or_b32 exec_lo, exec_lo, s15
	v_lshlrev_b32_sdwa v13, v42, v64 dst_sel:DWORD dst_unused:UNUSED_PAD src0_sel:DWORD src1_sel:WORD_1
	v_lshlrev_b32_e32 v5, 20, v5
	v_lshl_add_u32 v11, v11, 23, 0x3c000000
	v_and_b32_e32 v13, 0x80000000, v13
	v_or3_b32 v5, v5, v13, v11
	v_mov_b32_e32 v20, v6
	v_mov_b32_e32 v19, v5
.LBB201_417:                            ;   in Loop: Header=BB201_225 Depth=1
	s_or_b32 exec_lo, exec_lo, s14
.LBB201_418:                            ;   in Loop: Header=BB201_225 Depth=1
	s_or_b32 exec_lo, exec_lo, s13
.LBB201_419:                            ;   in Loop: Header=BB201_225 Depth=1
	s_or_b32 exec_lo, exec_lo, s9
	s_mov_b32 s9, exec_lo
	v_cmpx_lt_u32_e32 0xffffff, v64
	s_cbranch_execz .LBB201_427
; %bb.420:                              ;   in Loop: Header=BB201_225 Depth=1
	v_mov_b32_e32 v11, v6
	v_mov_b32_e32 v22, v12
	v_cmp_ne_u32_sdwa s0, v64, v38 src0_sel:BYTE_3 src1_sel:DWORD
	v_mov_b32_e32 v21, v11
	s_and_saveexec_b32 s13, s0
	s_cbranch_execz .LBB201_426
; %bb.421:                              ;   in Loop: Header=BB201_225 Depth=1
	v_mov_b32_e32 v13, v6
	v_mov_b32_e32 v22, v14
	v_bfe_u32 v65, v64, 24, 7
	s_mov_b32 s14, exec_lo
	v_mov_b32_e32 v21, v13
	v_cmpx_ne_u32_e32 0x7f, v65
	s_cbranch_execz .LBB201_425
; %bb.422:                              ;   in Loop: Header=BB201_225 Depth=1
	v_and_b32_sdwa v5, v64, v41 dst_sel:DWORD dst_unused:UNUSED_PAD src0_sel:BYTE_3 src1_sel:DWORD
	v_lshrrev_b32_e32 v11, 3, v65
	s_mov_b32 s15, exec_lo
	v_cmpx_gt_u32_e32 8, v65
; %bb.423:                              ;   in Loop: Header=BB201_225 Depth=1
	v_ffbh_u32_e32 v11, v5
	v_min_u32_e32 v11, 32, v11
	v_subrev_nc_u32_e32 v13, 28, v11
	v_sub_nc_u32_e32 v11, 29, v11
	v_lshlrev_b64 v[21:22], v13, v[5:6]
	v_and_b32_e32 v5, 7, v21
; %bb.424:                              ;   in Loop: Header=BB201_225 Depth=1
	s_or_b32 exec_lo, exec_lo, s15
	v_lshlrev_b32_sdwa v13, v42, v64 dst_sel:DWORD dst_unused:UNUSED_PAD src0_sel:DWORD src1_sel:BYTE_3
	v_lshlrev_b32_e32 v5, 20, v5
	v_lshl_add_u32 v11, v11, 23, 0x3c000000
	v_mov_b32_e32 v21, v6
	v_and_b32_e32 v13, 0x80000000, v13
	v_or3_b32 v22, v5, v13, v11
.LBB201_425:                            ;   in Loop: Header=BB201_225 Depth=1
	s_or_b32 exec_lo, exec_lo, s14
.LBB201_426:                            ;   in Loop: Header=BB201_225 Depth=1
	s_or_b32 exec_lo, exec_lo, s13
.LBB201_427:                            ;   in Loop: Header=BB201_225 Depth=1
	s_or_b32 exec_lo, exec_lo, s9
	v_or_b32_e32 v5, v18, v16
	v_or_b32_e32 v11, v17, v15
	;; [unrolled: 1-line block ×4, first 2 shown]
	v_mul_f32_e32 v13, s6, v5
	v_mul_f32_e32 v15, s3, v11
	;; [unrolled: 1-line block ×4, first 2 shown]
	s_and_saveexec_b32 s0, vcc_lo
	s_cbranch_execz .LBB201_224
; %bb.428:                              ;   in Loop: Header=BB201_225 Depth=1
	v_cmp_gt_i32_e32 vcc_lo, s27, v47
	v_cndmask_b32_e32 v15, 0, v15, vcc_lo
	v_cmp_gt_i32_e32 vcc_lo, s27, v49
	v_cndmask_b32_e32 v13, 0, v13, vcc_lo
	;; [unrolled: 2-line block ×4, first 2 shown]
	s_branch .LBB201_224
.LBB201_429:
	s_or_b32 exec_lo, exec_lo, s5
.LBB201_430:
	s_or_b32 exec_lo, exec_lo, s1
	ds_bpermute_b32 v1, v29, v33
	ds_bpermute_b32 v2, v29, v37
	;; [unrolled: 1-line block ×6, first 2 shown]
	v_lshrrev_b32_e32 v7, 1, v27
	v_mul_u32_u24_e32 v9, 0x180, v35
	v_and_b32_e32 v10, 0x3c1, v0
	s_mov_b32 s0, exec_lo
	s_waitcnt lgkmcnt(0)
	s_waitcnt_vscnt null, 0x0
	v_lshl_add_u32 v8, v7, 2, 0x1a0
	s_barrier
	buffer_gl0_inv
	v_add_f32_e32 v1, v33, v1
	v_add_f32_e32 v2, v37, v2
	;; [unrolled: 1-line block ×6, first 2 shown]
	v_cmpx_eq_u32_e32 64, v10
	s_cbranch_execz .LBB201_432
; %bb.431:
	v_add_nc_u32_e32 v10, v8, v9
	v_add_nc_u32_e32 v11, 0xfffffd00, v10
	;; [unrolled: 1-line block ×7, first 2 shown]
	ds_write_b32 v11, v1
	ds_write_b32 v12, v2
	;; [unrolled: 1-line block ×6, first 2 shown]
.LBB201_432:
	s_or_b32 exec_lo, exec_lo, s0
	v_lshlrev_b32_e32 v7, 2, v7
	s_mov_b32 s1, exec_lo
	v_cmp_eq_u32_e32 vcc_lo, 0, v28
	s_waitcnt lgkmcnt(0)
	s_barrier
	v_add3_u32 v7, 0x1a0, v9, v7
	buffer_gl0_inv
	v_cmpx_gt_u32_e32 64, v0
	s_cbranch_execz .LBB201_441
; %bb.433:
	s_and_saveexec_b32 s0, vcc_lo
	s_cbranch_execnz .LBB201_455
; %bb.434:
	s_or_b32 exec_lo, exec_lo, s0
	s_and_saveexec_b32 s0, vcc_lo
	s_cbranch_execnz .LBB201_456
.LBB201_435:
	s_or_b32 exec_lo, exec_lo, s0
	s_and_saveexec_b32 s0, vcc_lo
	s_cbranch_execnz .LBB201_457
.LBB201_436:
	s_or_b32 exec_lo, exec_lo, s0
	s_and_saveexec_b32 s0, vcc_lo
	s_cbranch_execnz .LBB201_458
.LBB201_437:
	s_or_b32 exec_lo, exec_lo, s0
	s_and_saveexec_b32 s0, vcc_lo
	s_cbranch_execnz .LBB201_459
.LBB201_438:
	s_or_b32 exec_lo, exec_lo, s0
	s_and_saveexec_b32 s0, vcc_lo
	s_cbranch_execz .LBB201_440
.LBB201_439:
	ds_read_b32 v9, v7 offset:320
	s_waitcnt lgkmcnt(0)
	v_add_f32_e32 v6, v6, v9
.LBB201_440:
	s_or_b32 exec_lo, exec_lo, s0
.LBB201_441:
	s_or_b32 exec_lo, exec_lo, s1
	v_and_b32_e32 v9, 0x3e1, v0
	s_mov_b32 s1, exec_lo
	s_barrier
	buffer_gl0_inv
	v_cmpx_eq_u32_e32 32, v9
	s_cbranch_execz .LBB201_443
; %bb.442:
	ds_write2_b32 v8, v1, v2 offset1:16
	ds_write2_b32 v8, v3, v4 offset0:32 offset1:48
	ds_write2_b32 v8, v5, v6 offset0:64 offset1:80
.LBB201_443:
	s_or_b32 exec_lo, exec_lo, s1
	s_mov_b32 s1, exec_lo
	s_waitcnt lgkmcnt(0)
	s_barrier
	buffer_gl0_inv
	v_cmpx_gt_u32_e32 32, v0
	s_cbranch_execz .LBB201_452
; %bb.444:
	s_and_saveexec_b32 s0, vcc_lo
	s_cbranch_execnz .LBB201_460
; %bb.445:
	s_or_b32 exec_lo, exec_lo, s0
	s_and_saveexec_b32 s0, vcc_lo
	s_cbranch_execnz .LBB201_461
.LBB201_446:
	s_or_b32 exec_lo, exec_lo, s0
	s_and_saveexec_b32 s0, vcc_lo
	s_cbranch_execnz .LBB201_462
.LBB201_447:
	s_or_b32 exec_lo, exec_lo, s0
	s_and_saveexec_b32 s0, vcc_lo
	s_cbranch_execnz .LBB201_463
.LBB201_448:
	s_or_b32 exec_lo, exec_lo, s0
	s_and_saveexec_b32 s0, vcc_lo
	s_cbranch_execnz .LBB201_464
.LBB201_449:
	s_or_b32 exec_lo, exec_lo, s0
	s_and_saveexec_b32 s0, vcc_lo
	s_cbranch_execz .LBB201_451
.LBB201_450:
	ds_read_b32 v7, v7 offset:320
	s_waitcnt lgkmcnt(0)
	v_add_f32_e32 v6, v6, v7
.LBB201_451:
	s_or_b32 exec_lo, exec_lo, s0
.LBB201_452:
	s_or_b32 exec_lo, exec_lo, s1
	s_barrier
	buffer_gl0_inv
	s_mov_b32 s0, exec_lo
	v_cmpx_eq_u32_e32 0, v9
	s_cbranch_execz .LBB201_454
; %bb.453:
	s_mul_i32 s0, s2, 0x60
	s_mul_i32 s2, s7, s10
	s_ashr_i32 s1, s0, 31
	v_lshlrev_b32_e32 v0, 1, v0
	s_lshl_b64 s[0:1], s[0:1], 2
	s_add_u32 s4, s24, s0
	s_addc_u32 s5, s25, s1
	s_ashr_i32 s3, s2, 31
	s_lshl_b64 s[0:1], s[2:3], 2
	s_mul_i32 s2, s8, 0x60
	s_add_u32 s4, s4, s0
	s_addc_u32 s5, s5, s1
	s_ashr_i32 s3, s2, 31
	s_lshl_b64 s[0:1], s[2:3], 2
	s_add_u32 s0, s4, s0
	s_addc_u32 s1, s5, s1
	global_store_dword v0, v1, s[0:1]
	global_store_dword v0, v2, s[0:1] offset:64
	global_store_dword v0, v3, s[0:1] offset:128
	;; [unrolled: 1-line block ×5, first 2 shown]
.LBB201_454:
	s_endpgm
.LBB201_455:
	ds_read_b32 v9, v7
	s_waitcnt lgkmcnt(0)
	v_add_f32_e32 v1, v1, v9
	s_or_b32 exec_lo, exec_lo, s0
	s_and_saveexec_b32 s0, vcc_lo
	s_cbranch_execz .LBB201_435
.LBB201_456:
	ds_read_b32 v9, v7 offset:64
	s_waitcnt lgkmcnt(0)
	v_add_f32_e32 v2, v2, v9
	s_or_b32 exec_lo, exec_lo, s0
	s_and_saveexec_b32 s0, vcc_lo
	s_cbranch_execz .LBB201_436
.LBB201_457:
	ds_read_b32 v9, v7 offset:128
	s_waitcnt lgkmcnt(0)
	v_add_f32_e32 v3, v3, v9
	s_or_b32 exec_lo, exec_lo, s0
	s_and_saveexec_b32 s0, vcc_lo
	s_cbranch_execz .LBB201_437
.LBB201_458:
	ds_read_b32 v9, v7 offset:192
	s_waitcnt lgkmcnt(0)
	v_add_f32_e32 v4, v4, v9
	s_or_b32 exec_lo, exec_lo, s0
	s_and_saveexec_b32 s0, vcc_lo
	s_cbranch_execz .LBB201_438
.LBB201_459:
	ds_read_b32 v9, v7 offset:256
	s_waitcnt lgkmcnt(0)
	v_add_f32_e32 v5, v5, v9
	s_or_b32 exec_lo, exec_lo, s0
	s_and_saveexec_b32 s0, vcc_lo
	s_cbranch_execnz .LBB201_439
	s_branch .LBB201_440
.LBB201_460:
	ds_read_b32 v8, v7
	s_waitcnt lgkmcnt(0)
	v_add_f32_e32 v1, v1, v8
	s_or_b32 exec_lo, exec_lo, s0
	s_and_saveexec_b32 s0, vcc_lo
	s_cbranch_execz .LBB201_446
.LBB201_461:
	ds_read_b32 v8, v7 offset:64
	s_waitcnt lgkmcnt(0)
	v_add_f32_e32 v2, v2, v8
	s_or_b32 exec_lo, exec_lo, s0
	s_and_saveexec_b32 s0, vcc_lo
	s_cbranch_execz .LBB201_447
.LBB201_462:
	ds_read_b32 v8, v7 offset:128
	s_waitcnt lgkmcnt(0)
	v_add_f32_e32 v3, v3, v8
	s_or_b32 exec_lo, exec_lo, s0
	s_and_saveexec_b32 s0, vcc_lo
	s_cbranch_execz .LBB201_448
.LBB201_463:
	ds_read_b32 v8, v7 offset:192
	s_waitcnt lgkmcnt(0)
	v_add_f32_e32 v4, v4, v8
	s_or_b32 exec_lo, exec_lo, s0
	s_and_saveexec_b32 s0, vcc_lo
	s_cbranch_execz .LBB201_449
.LBB201_464:
	ds_read_b32 v8, v7 offset:256
	s_waitcnt lgkmcnt(0)
	v_add_f32_e32 v5, v5, v8
	s_or_b32 exec_lo, exec_lo, s0
	s_and_saveexec_b32 s0, vcc_lo
	s_cbranch_execnz .LBB201_450
	s_branch .LBB201_451
	.section	.rodata,"a",@progbits
	.p2align	6, 0x0
	.amdhsa_kernel _ZN4vllm25paged_attention_v2_kernelIfhLi96ELi8ELi128ELNS_18Fp8KVCacheDataTypeE1ELb0ELi512EEEvPfS2_PT_PKS3_PKT0_S9_ifPKiSB_iPKfiiiSD_SD_iiiii
		.amdhsa_group_segment_fixed_size 416
		.amdhsa_private_segment_fixed_size 0
		.amdhsa_kernarg_size 400
		.amdhsa_user_sgpr_count 6
		.amdhsa_user_sgpr_private_segment_buffer 1
		.amdhsa_user_sgpr_dispatch_ptr 0
		.amdhsa_user_sgpr_queue_ptr 0
		.amdhsa_user_sgpr_kernarg_segment_ptr 1
		.amdhsa_user_sgpr_dispatch_id 0
		.amdhsa_user_sgpr_flat_scratch_init 0
		.amdhsa_user_sgpr_private_segment_size 0
		.amdhsa_wavefront_size32 1
		.amdhsa_uses_dynamic_stack 0
		.amdhsa_system_sgpr_private_segment_wavefront_offset 0
		.amdhsa_system_sgpr_workgroup_id_x 1
		.amdhsa_system_sgpr_workgroup_id_y 1
		.amdhsa_system_sgpr_workgroup_id_z 1
		.amdhsa_system_sgpr_workgroup_info 0
		.amdhsa_system_vgpr_workitem_id 0
		.amdhsa_next_free_vgpr 74
		.amdhsa_next_free_sgpr 42
		.amdhsa_reserve_vcc 1
		.amdhsa_reserve_flat_scratch 0
		.amdhsa_float_round_mode_32 0
		.amdhsa_float_round_mode_16_64 0
		.amdhsa_float_denorm_mode_32 3
		.amdhsa_float_denorm_mode_16_64 3
		.amdhsa_dx10_clamp 1
		.amdhsa_ieee_mode 1
		.amdhsa_fp16_overflow 0
		.amdhsa_workgroup_processor_mode 1
		.amdhsa_memory_ordered 1
		.amdhsa_forward_progress 1
		.amdhsa_shared_vgpr_count 0
		.amdhsa_exception_fp_ieee_invalid_op 0
		.amdhsa_exception_fp_denorm_src 0
		.amdhsa_exception_fp_ieee_div_zero 0
		.amdhsa_exception_fp_ieee_overflow 0
		.amdhsa_exception_fp_ieee_underflow 0
		.amdhsa_exception_fp_ieee_inexact 0
		.amdhsa_exception_int_div_zero 0
	.end_amdhsa_kernel
	.section	.text._ZN4vllm25paged_attention_v2_kernelIfhLi96ELi8ELi128ELNS_18Fp8KVCacheDataTypeE1ELb0ELi512EEEvPfS2_PT_PKS3_PKT0_S9_ifPKiSB_iPKfiiiSD_SD_iiiii,"axG",@progbits,_ZN4vllm25paged_attention_v2_kernelIfhLi96ELi8ELi128ELNS_18Fp8KVCacheDataTypeE1ELb0ELi512EEEvPfS2_PT_PKS3_PKT0_S9_ifPKiSB_iPKfiiiSD_SD_iiiii,comdat
.Lfunc_end201:
	.size	_ZN4vllm25paged_attention_v2_kernelIfhLi96ELi8ELi128ELNS_18Fp8KVCacheDataTypeE1ELb0ELi512EEEvPfS2_PT_PKS3_PKT0_S9_ifPKiSB_iPKfiiiSD_SD_iiiii, .Lfunc_end201-_ZN4vllm25paged_attention_v2_kernelIfhLi96ELi8ELi128ELNS_18Fp8KVCacheDataTypeE1ELb0ELi512EEEvPfS2_PT_PKS3_PKT0_S9_ifPKiSB_iPKfiiiSD_SD_iiiii
                                        ; -- End function
	.set _ZN4vllm25paged_attention_v2_kernelIfhLi96ELi8ELi128ELNS_18Fp8KVCacheDataTypeE1ELb0ELi512EEEvPfS2_PT_PKS3_PKT0_S9_ifPKiSB_iPKfiiiSD_SD_iiiii.num_vgpr, 74
	.set _ZN4vllm25paged_attention_v2_kernelIfhLi96ELi8ELi128ELNS_18Fp8KVCacheDataTypeE1ELb0ELi512EEEvPfS2_PT_PKS3_PKT0_S9_ifPKiSB_iPKfiiiSD_SD_iiiii.num_agpr, 0
	.set _ZN4vllm25paged_attention_v2_kernelIfhLi96ELi8ELi128ELNS_18Fp8KVCacheDataTypeE1ELb0ELi512EEEvPfS2_PT_PKS3_PKT0_S9_ifPKiSB_iPKfiiiSD_SD_iiiii.numbered_sgpr, 42
	.set _ZN4vllm25paged_attention_v2_kernelIfhLi96ELi8ELi128ELNS_18Fp8KVCacheDataTypeE1ELb0ELi512EEEvPfS2_PT_PKS3_PKT0_S9_ifPKiSB_iPKfiiiSD_SD_iiiii.num_named_barrier, 0
	.set _ZN4vllm25paged_attention_v2_kernelIfhLi96ELi8ELi128ELNS_18Fp8KVCacheDataTypeE1ELb0ELi512EEEvPfS2_PT_PKS3_PKT0_S9_ifPKiSB_iPKfiiiSD_SD_iiiii.private_seg_size, 0
	.set _ZN4vllm25paged_attention_v2_kernelIfhLi96ELi8ELi128ELNS_18Fp8KVCacheDataTypeE1ELb0ELi512EEEvPfS2_PT_PKS3_PKT0_S9_ifPKiSB_iPKfiiiSD_SD_iiiii.uses_vcc, 1
	.set _ZN4vllm25paged_attention_v2_kernelIfhLi96ELi8ELi128ELNS_18Fp8KVCacheDataTypeE1ELb0ELi512EEEvPfS2_PT_PKS3_PKT0_S9_ifPKiSB_iPKfiiiSD_SD_iiiii.uses_flat_scratch, 0
	.set _ZN4vllm25paged_attention_v2_kernelIfhLi96ELi8ELi128ELNS_18Fp8KVCacheDataTypeE1ELb0ELi512EEEvPfS2_PT_PKS3_PKT0_S9_ifPKiSB_iPKfiiiSD_SD_iiiii.has_dyn_sized_stack, 0
	.set _ZN4vllm25paged_attention_v2_kernelIfhLi96ELi8ELi128ELNS_18Fp8KVCacheDataTypeE1ELb0ELi512EEEvPfS2_PT_PKS3_PKT0_S9_ifPKiSB_iPKfiiiSD_SD_iiiii.has_recursion, 0
	.set _ZN4vllm25paged_attention_v2_kernelIfhLi96ELi8ELi128ELNS_18Fp8KVCacheDataTypeE1ELb0ELi512EEEvPfS2_PT_PKS3_PKT0_S9_ifPKiSB_iPKfiiiSD_SD_iiiii.has_indirect_call, 0
	.section	.AMDGPU.csdata,"",@progbits
; Kernel info:
; codeLenInByte = 13488
; TotalNumSgprs: 44
; NumVgprs: 74
; ScratchSize: 0
; MemoryBound: 0
; FloatMode: 240
; IeeeMode: 1
; LDSByteSize: 416 bytes/workgroup (compile time only)
; SGPRBlocks: 0
; VGPRBlocks: 9
; NumSGPRsForWavesPerEU: 44
; NumVGPRsForWavesPerEU: 74
; Occupancy: 12
; WaveLimiterHint : 1
; COMPUTE_PGM_RSRC2:SCRATCH_EN: 0
; COMPUTE_PGM_RSRC2:USER_SGPR: 6
; COMPUTE_PGM_RSRC2:TRAP_HANDLER: 0
; COMPUTE_PGM_RSRC2:TGID_X_EN: 1
; COMPUTE_PGM_RSRC2:TGID_Y_EN: 1
; COMPUTE_PGM_RSRC2:TGID_Z_EN: 1
; COMPUTE_PGM_RSRC2:TIDIG_COMP_CNT: 0
	.section	.text._ZN4vllm25paged_attention_v2_kernelIfhLi112ELi8ELi128ELNS_18Fp8KVCacheDataTypeE1ELb0ELi512EEEvPfS2_PT_PKS3_PKT0_S9_ifPKiSB_iPKfiiiSD_SD_iiiii,"axG",@progbits,_ZN4vllm25paged_attention_v2_kernelIfhLi112ELi8ELi128ELNS_18Fp8KVCacheDataTypeE1ELb0ELi512EEEvPfS2_PT_PKS3_PKT0_S9_ifPKiSB_iPKfiiiSD_SD_iiiii,comdat
	.protected	_ZN4vllm25paged_attention_v2_kernelIfhLi112ELi8ELi128ELNS_18Fp8KVCacheDataTypeE1ELb0ELi512EEEvPfS2_PT_PKS3_PKT0_S9_ifPKiSB_iPKfiiiSD_SD_iiiii ; -- Begin function _ZN4vllm25paged_attention_v2_kernelIfhLi112ELi8ELi128ELNS_18Fp8KVCacheDataTypeE1ELb0ELi512EEEvPfS2_PT_PKS3_PKT0_S9_ifPKiSB_iPKfiiiSD_SD_iiiii
	.globl	_ZN4vllm25paged_attention_v2_kernelIfhLi112ELi8ELi128ELNS_18Fp8KVCacheDataTypeE1ELb0ELi512EEEvPfS2_PT_PKS3_PKT0_S9_ifPKiSB_iPKfiiiSD_SD_iiiii
	.p2align	8
	.type	_ZN4vllm25paged_attention_v2_kernelIfhLi112ELi8ELi128ELNS_18Fp8KVCacheDataTypeE1ELb0ELi512EEEvPfS2_PT_PKS3_PKT0_S9_ifPKiSB_iPKfiiiSD_SD_iiiii,@function
_ZN4vllm25paged_attention_v2_kernelIfhLi112ELi8ELi128ELNS_18Fp8KVCacheDataTypeE1ELb0ELi512EEEvPfS2_PT_PKS3_PKT0_S9_ifPKiSB_iPKfiiiSD_SD_iiiii: ; @_ZN4vllm25paged_attention_v2_kernelIfhLi112ELi8ELi128ELNS_18Fp8KVCacheDataTypeE1ELb0ELi512EEEvPfS2_PT_PKS3_PKT0_S9_ifPKiSB_iPKfiiiSD_SD_iiiii
; %bb.0:
	s_load_dwordx2 s[0:1], s[4:5], 0x40
	s_mov_b32 s26, s7
	s_ashr_i32 s27, s7, 31
	s_lshl_b64 s[2:3], s[26:27], 2
	s_waitcnt lgkmcnt(0)
	s_add_u32 s0, s0, s2
	s_addc_u32 s1, s1, s3
	s_lshl_b32 s33, s8, 9
	s_load_dword s27, s[0:1], 0x0
	s_waitcnt lgkmcnt(0)
	s_cmp_ge_i32 s33, s27
	s_cbranch_scc1 .LBB202_522
; %bb.1:
	s_clause 0x1
	s_load_dword s9, s[4:5], 0x90
	s_load_dwordx2 s[36:37], s[4:5], 0x30
	s_waitcnt lgkmcnt(0)
	s_abs_i32 s3, s9
	s_abs_i32 s0, s36
	v_cvt_f32_u32_e32 v1, s0
	s_sub_i32 s2, 0, s0
	v_rcp_iflag_f32_e32 v1, v1
	v_mul_f32_e32 v1, 0x4f7ffffe, v1
	v_cvt_u32_f32_e32 v1, v1
	v_readfirstlane_b32 s1, v1
	s_mul_i32 s2, s2, s1
	s_mul_hi_u32 s2, s1, s2
	s_add_i32 s1, s1, s2
	s_xor_b32 s2, s9, s36
	s_mul_hi_u32 s1, s3, s1
	s_ashr_i32 s2, s2, 31
	s_mul_i32 s7, s1, s0
	s_mov_b32 s36, 0
	s_sub_i32 s3, s3, s7
	s_add_i32 s7, s1, 1
	s_sub_i32 s10, s3, s0
	s_cmp_ge_u32 s3, s0
	s_cselect_b32 s1, s7, s1
	s_cselect_b32 s3, s10, s3
	s_add_i32 s7, s1, 1
	s_cmp_ge_u32 s3, s0
	s_cselect_b32 s0, s7, s1
	s_abs_i32 s16, s6
	s_xor_b32 s0, s0, s2
	s_sub_i32 s10, s0, s2
	s_load_dwordx2 s[0:1], s[4:5], 0x50
	s_abs_i32 s2, s10
	v_cvt_f32_u32_e32 v1, s2
	s_sub_i32 s7, 0, s2
	v_rcp_iflag_f32_e32 v1, v1
	v_mul_f32_e32 v1, 0x4f7ffffe, v1
	v_cvt_u32_f32_e32 v1, v1
	v_readfirstlane_b32 s3, v1
	s_mul_i32 s7, s7, s3
	s_mul_hi_u32 s7, s3, s7
	s_add_i32 s3, s3, s7
	s_waitcnt lgkmcnt(0)
	s_cmp_eq_u64 s[0:1], 0
	s_mul_hi_u32 s3, s16, s3
	s_cbranch_scc1 .LBB202_3
; %bb.2:
	s_ashr_i32 s7, s6, 31
	s_lshl_b64 s[12:13], s[6:7], 2
	s_add_u32 s0, s0, s12
	s_addc_u32 s1, s1, s13
	s_load_dword s36, s[0:1], 0x0
.LBB202_3:
	s_load_dwordx4 s[12:15], s[4:5], 0x58
	v_and_b32_e32 v31, 3, v0
	v_lshlrev_b32_e32 v40, 2, v0
	s_ashr_i32 s0, s6, 31
	s_ashr_i32 s1, s10, 31
	s_mul_i32 s10, s6, 0x70
	s_mov_b32 s7, exec_lo
	v_cmpx_gt_u32_e32 0x70, v0
	s_cbranch_execz .LBB202_5
; %bb.4:
	s_load_dwordx2 s[18:19], s[4:5], 0x18
	s_waitcnt lgkmcnt(0)
	s_mul_i32 s20, s12, s26
	v_and_b32_e32 v2, 0x3fc, v0
	s_ashr_i32 s21, s20, 31
	s_lshl_b64 s[20:21], s[20:21], 2
	v_mad_u32_u24 v2, 0x70, v31, v2
	s_add_u32 s12, s18, s20
	s_addc_u32 s15, s19, s21
	s_ashr_i32 s11, s10, 31
	s_lshl_b64 s[18:19], s[10:11], 2
	s_add_u32 s18, s12, s18
	s_addc_u32 s19, s15, s19
	global_load_dword v1, v40, s[18:19]
	s_waitcnt vmcnt(0)
	ds_write_b32 v2, v1
.LBB202_5:
	s_or_b32 exec_lo, exec_lo, s7
	s_add_i32 s7, s27, 7
	s_clause 0x1
	s_load_dwordx2 s[28:29], s[4:5], 0x38
	s_load_dword s17, s[4:5], 0x48
	s_ashr_i32 s11, s7, 31
	s_waitcnt lgkmcnt(0)
	s_lshl_b32 s15, s8, 6
	s_lshr_b32 s11, s11, 29
	s_xor_b32 s0, s0, s1
	s_add_i32 s7, s7, s11
	s_add_i32 s1, s15, 64
	s_ashr_i32 s12, s7, 3
	s_mul_i32 s7, s3, s2
	s_min_i32 s11, s1, s12
	s_sub_i32 s1, s16, s7
	s_add_i32 s7, s3, 1
	s_sub_i32 s16, s1, s2
	s_cmp_ge_u32 s1, s2
	v_lshrrev_b32_e32 v39, 5, v0
	s_cselect_b32 s3, s7, s3
	s_cselect_b32 s1, s16, s1
	s_add_i32 s7, s3, 1
	s_cmp_ge_u32 s1, s2
	v_or_b32_e32 v29, s15, v39
	s_cselect_b32 s1, s7, s3
	v_mbcnt_lo_u32_b32 v41, -1, 0
	s_xor_b32 s1, s1, s0
	s_mul_i32 s30, s17, s26
	s_sub_i32 s1, s1, s0
	v_cmp_gt_i32_e64 s0, s11, v29
	s_ashr_i32 s31, s30, 31
	s_mov_b32 s2, exec_lo
	s_barrier
	buffer_gl0_inv
                                        ; implicit-def: $vgpr32
                                        ; implicit-def: $vgpr42
	v_cmpx_le_i32_e64 s11, v29
	s_xor_b32 s2, exec_lo, s2
; %bb.6:
	v_mov_b32_e32 v32, 0
	v_mbcnt_lo_u32_b32 v41, -1, 0
	v_mov_b32_e32 v42, 32
                                        ; implicit-def: $vgpr31
; %bb.7:
	s_or_saveexec_b32 s38, s2
	s_clause 0x4
	s_load_dwordx4 s[20:23], s[4:5], 0x0
	s_load_dwordx2 s[24:25], s[4:5], 0x10
	s_load_dword s7, s[4:5], 0x98
	s_load_dwordx2 s[34:35], s[4:5], 0x28
	s_load_dwordx4 s[16:19], s[4:5], 0x68
	v_mov_b32_e32 v43, 0xff7fffff
	v_ashrrev_i32_e32 v30, 31, v29
	s_mul_i32 s14, s1, s14
	s_xor_b32 exec_lo, exec_lo, s38
	s_cbranch_execz .LBB202_237
; %bb.8:
	s_load_dwordx2 s[2:3], s[4:5], 0x20
	v_xor_b32_e32 v26, 2, v41
	v_bfe_u32 v35, v0, 2, 3
	v_xor_b32_e32 v27, 1, v41
	v_mul_u32_u24_e32 v25, 0x70, v31
	ds_read_b128 v[1:4], v25
	ds_read_b128 v[5:8], v25 offset:16
	ds_read_b128 v[9:12], v25 offset:32
	;; [unrolled: 1-line block ×5, first 2 shown]
	v_cmp_gt_i32_e32 vcc_lo, 32, v26
	v_lshlrev_b32_e32 v28, 4, v35
	s_ashr_i32 s1, s14, 31
	s_waitcnt lgkmcnt(0)
	s_load_dword s4, s[16:17], 0x0
	v_lshlrev_b32_e32 v38, 3, v39
	v_cndmask_b32_e32 v33, v41, v26, vcc_lo
	v_cmp_gt_i32_e32 vcc_lo, 32, v27
	v_lshlrev_b32_e32 v43, 2, v35
	v_mov_b32_e32 v32, 0
	v_add3_u32 v46, s33, v38, v35
	s_add_u32 s2, s2, s14
	v_cndmask_b32_e32 v34, v41, v27, vcc_lo
	v_add_co_u32 v36, s2, s2, v28
	ds_read_b128 v[25:28], v25 offset:96
	s_addc_u32 s1, s3, s1
	v_lshlrev_b32_e32 v44, 2, v33
	v_add_co_ci_u32_e64 v37, null, s1, 0, s2
	v_add_co_u32 v33, s2, v36, v31
	v_lshlrev_b64 v[35:36], 2, v[29:30]
	v_lshlrev_b32_e32 v45, 2, v34
	v_add_co_ci_u32_e64 v34, null, 0, v37, s2
	s_lshl_b64 s[2:3], s[30:31], 2
	v_cmp_eq_u32_e32 vcc_lo, 0, v31
	v_lshl_or_b32 v31, v39, 5, v43
	s_sub_i32 s5, 1, s27
	s_add_u32 s2, s28, s2
	s_addc_u32 s3, s29, s3
	v_add_co_u32 v35, s2, s2, v35
	v_mov_b32_e32 v42, 32
	v_cmp_neq_f32_e64 s1, s36, 0
	v_add_nc_u32_e32 v47, 0x1e0, v31
	v_add_co_ci_u32_e64 v36, null, s3, v36, s2
	v_mov_b32_e32 v43, 0xff7fffff
	v_mov_b32_e32 v48, 0x7f
	;; [unrolled: 1-line block ×4, first 2 shown]
	s_mov_b32 s17, s13
	s_mov_b32 s16, 0
	s_branch .LBB202_10
.LBB202_9:                              ;   in Loop: Header=BB202_10 Depth=1
	s_or_b32 exec_lo, exec_lo, s3
	v_add_nc_u32_e32 v50, 4, v50
	v_add_co_u32 v35, s3, v35, 16
	v_add_nc_u32_e32 v46, 32, v46
	v_add_nc_u32_e32 v47, 0x80, v47
	v_cmp_le_i32_e64 s2, s11, v50
	v_add_co_ci_u32_e64 v36, null, 0, v36, s3
	s_or_b32 s16, s2, s16
	s_andn2_b32 exec_lo, exec_lo, s16
	s_cbranch_execz .LBB202_236
.LBB202_10:                             ; =>This Inner Loop Header: Depth=1
	global_load_dword v31, v[35:36], off
	v_mov_b32_e32 v51, 0
	v_mov_b32_e32 v52, 0
	s_mov_b32 s3, exec_lo
	s_waitcnt vmcnt(0) lgkmcnt(0)
	v_mad_i64_i32 v[37:38], null, v31, s17, v[33:34]
	global_load_ubyte v53, v[37:38], off
	s_waitcnt vmcnt(0)
	v_cmpx_ne_u16_e32 0, v53
	s_cbranch_execz .LBB202_18
; %bb.11:                               ;   in Loop: Header=BB202_10 Depth=1
	v_bfrev_b32_e32 v52, 1
	s_mov_b32 s39, exec_lo
	v_cmpx_ne_u16_e32 0x80, v53
	s_cbranch_execz .LBB202_17
; %bb.12:                               ;   in Loop: Header=BB202_10 Depth=1
	v_and_b32_sdwa v54, v53, v48 dst_sel:DWORD dst_unused:UNUSED_PAD src0_sel:WORD_0 src1_sel:DWORD
	v_mov_b32_e32 v52, 0x7f800001
	s_mov_b32 s40, exec_lo
	v_cmpx_ne_u32_e32 0x7f, v54
	s_cbranch_execz .LBB202_16
; %bb.13:                               ;   in Loop: Header=BB202_10 Depth=1
	v_and_b32_sdwa v31, v53, v49 dst_sel:DWORD dst_unused:UNUSED_PAD src0_sel:WORD_0 src1_sel:DWORD
	v_lshrrev_b32_e32 v52, 3, v54
	s_mov_b32 s41, exec_lo
	v_cmpx_gt_u32_e32 8, v54
; %bb.14:                               ;   in Loop: Header=BB202_10 Depth=1
	v_ffbh_u32_e32 v52, v31
	v_min_u32_e32 v52, 32, v52
	v_subrev_nc_u32_e32 v54, 28, v52
	v_sub_nc_u32_e32 v52, 29, v52
	v_lshlrev_b64 v[54:55], v54, v[31:32]
	v_and_b32_e32 v31, 7, v54
; %bb.15:                               ;   in Loop: Header=BB202_10 Depth=1
	s_or_b32 exec_lo, exec_lo, s41
	v_lshlrev_b32_e32 v53, 24, v53
	v_lshlrev_b32_e32 v31, 20, v31
	v_lshl_add_u32 v52, v52, 23, 0x3c000000
	v_and_b32_e32 v53, 0x80000000, v53
	v_or3_b32 v52, v31, v53, v52
.LBB202_16:                             ;   in Loop: Header=BB202_10 Depth=1
	s_or_b32 exec_lo, exec_lo, s40
.LBB202_17:                             ;   in Loop: Header=BB202_10 Depth=1
	s_or_b32 exec_lo, exec_lo, s39
.LBB202_18:                             ;   in Loop: Header=BB202_10 Depth=1
	s_or_b32 exec_lo, exec_lo, s3
	global_load_ubyte v53, v[37:38], off offset:4
	s_mov_b32 s3, exec_lo
	s_waitcnt vmcnt(0)
	v_cmpx_ne_u16_e32 0, v53
	s_cbranch_execz .LBB202_26
; %bb.19:                               ;   in Loop: Header=BB202_10 Depth=1
	v_bfrev_b32_e32 v51, 1
	s_mov_b32 s39, exec_lo
	v_cmpx_ne_u16_e32 0x80, v53
	s_cbranch_execz .LBB202_25
; %bb.20:                               ;   in Loop: Header=BB202_10 Depth=1
	v_and_b32_sdwa v54, v53, v48 dst_sel:DWORD dst_unused:UNUSED_PAD src0_sel:WORD_0 src1_sel:DWORD
	v_mov_b32_e32 v51, 0x7f800001
	s_mov_b32 s40, exec_lo
	v_cmpx_ne_u32_e32 0x7f, v54
	s_cbranch_execz .LBB202_24
; %bb.21:                               ;   in Loop: Header=BB202_10 Depth=1
	v_and_b32_sdwa v31, v53, v49 dst_sel:DWORD dst_unused:UNUSED_PAD src0_sel:WORD_0 src1_sel:DWORD
	v_lshrrev_b32_e32 v51, 3, v54
	s_mov_b32 s41, exec_lo
	v_cmpx_gt_u32_e32 8, v54
; %bb.22:                               ;   in Loop: Header=BB202_10 Depth=1
	v_ffbh_u32_e32 v51, v31
	v_min_u32_e32 v51, 32, v51
	v_subrev_nc_u32_e32 v54, 28, v51
	v_sub_nc_u32_e32 v51, 29, v51
	v_lshlrev_b64 v[54:55], v54, v[31:32]
	v_and_b32_e32 v31, 7, v54
; %bb.23:                               ;   in Loop: Header=BB202_10 Depth=1
	s_or_b32 exec_lo, exec_lo, s41
	v_lshlrev_b32_e32 v53, 24, v53
	v_lshlrev_b32_e32 v31, 20, v31
	v_lshl_add_u32 v51, v51, 23, 0x3c000000
	v_and_b32_e32 v53, 0x80000000, v53
	v_or3_b32 v51, v31, v53, v51
.LBB202_24:                             ;   in Loop: Header=BB202_10 Depth=1
	s_or_b32 exec_lo, exec_lo, s40
.LBB202_25:                             ;   in Loop: Header=BB202_10 Depth=1
	s_or_b32 exec_lo, exec_lo, s39
.LBB202_26:                             ;   in Loop: Header=BB202_10 Depth=1
	s_or_b32 exec_lo, exec_lo, s3
	global_load_ubyte v55, v[37:38], off offset:8
	v_mov_b32_e32 v53, 0
	v_mov_b32_e32 v54, 0
	s_mov_b32 s3, exec_lo
	s_waitcnt vmcnt(0)
	v_cmpx_ne_u16_e32 0, v55
	s_cbranch_execz .LBB202_34
; %bb.27:                               ;   in Loop: Header=BB202_10 Depth=1
	v_bfrev_b32_e32 v54, 1
	s_mov_b32 s39, exec_lo
	v_cmpx_ne_u16_e32 0x80, v55
	s_cbranch_execz .LBB202_33
; %bb.28:                               ;   in Loop: Header=BB202_10 Depth=1
	v_and_b32_sdwa v56, v55, v48 dst_sel:DWORD dst_unused:UNUSED_PAD src0_sel:WORD_0 src1_sel:DWORD
	v_mov_b32_e32 v54, 0x7f800001
	s_mov_b32 s40, exec_lo
	v_cmpx_ne_u32_e32 0x7f, v56
	s_cbranch_execz .LBB202_32
; %bb.29:                               ;   in Loop: Header=BB202_10 Depth=1
	v_and_b32_sdwa v31, v55, v49 dst_sel:DWORD dst_unused:UNUSED_PAD src0_sel:WORD_0 src1_sel:DWORD
	v_lshrrev_b32_e32 v54, 3, v56
	s_mov_b32 s41, exec_lo
	v_cmpx_gt_u32_e32 8, v56
; %bb.30:                               ;   in Loop: Header=BB202_10 Depth=1
	v_ffbh_u32_e32 v54, v31
	v_min_u32_e32 v54, 32, v54
	v_subrev_nc_u32_e32 v56, 28, v54
	v_sub_nc_u32_e32 v54, 29, v54
	v_lshlrev_b64 v[56:57], v56, v[31:32]
	v_and_b32_e32 v31, 7, v56
; %bb.31:                               ;   in Loop: Header=BB202_10 Depth=1
	s_or_b32 exec_lo, exec_lo, s41
	v_lshlrev_b32_e32 v55, 24, v55
	v_lshlrev_b32_e32 v31, 20, v31
	v_lshl_add_u32 v54, v54, 23, 0x3c000000
	v_and_b32_e32 v55, 0x80000000, v55
	v_or3_b32 v54, v31, v55, v54
.LBB202_32:                             ;   in Loop: Header=BB202_10 Depth=1
	s_or_b32 exec_lo, exec_lo, s40
.LBB202_33:                             ;   in Loop: Header=BB202_10 Depth=1
	s_or_b32 exec_lo, exec_lo, s39
.LBB202_34:                             ;   in Loop: Header=BB202_10 Depth=1
	s_or_b32 exec_lo, exec_lo, s3
	global_load_ubyte v55, v[37:38], off offset:12
	s_mov_b32 s3, exec_lo
	s_waitcnt vmcnt(0)
	v_cmpx_ne_u16_e32 0, v55
	s_cbranch_execz .LBB202_42
; %bb.35:                               ;   in Loop: Header=BB202_10 Depth=1
	v_bfrev_b32_e32 v53, 1
	s_mov_b32 s39, exec_lo
	v_cmpx_ne_u16_e32 0x80, v55
	s_cbranch_execz .LBB202_41
; %bb.36:                               ;   in Loop: Header=BB202_10 Depth=1
	v_and_b32_sdwa v56, v55, v48 dst_sel:DWORD dst_unused:UNUSED_PAD src0_sel:WORD_0 src1_sel:DWORD
	v_mov_b32_e32 v53, 0x7f800001
	s_mov_b32 s40, exec_lo
	v_cmpx_ne_u32_e32 0x7f, v56
	s_cbranch_execz .LBB202_40
; %bb.37:                               ;   in Loop: Header=BB202_10 Depth=1
	v_and_b32_sdwa v31, v55, v49 dst_sel:DWORD dst_unused:UNUSED_PAD src0_sel:WORD_0 src1_sel:DWORD
	v_lshrrev_b32_e32 v53, 3, v56
	s_mov_b32 s41, exec_lo
	v_cmpx_gt_u32_e32 8, v56
; %bb.38:                               ;   in Loop: Header=BB202_10 Depth=1
	v_ffbh_u32_e32 v53, v31
	v_min_u32_e32 v53, 32, v53
	v_subrev_nc_u32_e32 v56, 28, v53
	v_sub_nc_u32_e32 v53, 29, v53
	v_lshlrev_b64 v[56:57], v56, v[31:32]
	v_and_b32_e32 v31, 7, v56
; %bb.39:                               ;   in Loop: Header=BB202_10 Depth=1
	s_or_b32 exec_lo, exec_lo, s41
	v_lshlrev_b32_e32 v55, 24, v55
	v_lshlrev_b32_e32 v31, 20, v31
	v_lshl_add_u32 v53, v53, 23, 0x3c000000
	v_and_b32_e32 v55, 0x80000000, v55
	v_or3_b32 v53, v31, v55, v53
.LBB202_40:                             ;   in Loop: Header=BB202_10 Depth=1
	s_or_b32 exec_lo, exec_lo, s40
.LBB202_41:                             ;   in Loop: Header=BB202_10 Depth=1
	s_or_b32 exec_lo, exec_lo, s39
.LBB202_42:                             ;   in Loop: Header=BB202_10 Depth=1
	s_or_b32 exec_lo, exec_lo, s3
	global_load_ubyte v57, v[37:38], off offset:128
	v_mov_b32_e32 v55, 0
	v_mov_b32_e32 v56, 0
	s_mov_b32 s3, exec_lo
	s_waitcnt vmcnt(0)
	v_cmpx_ne_u16_e32 0, v57
	s_cbranch_execz .LBB202_50
; %bb.43:                               ;   in Loop: Header=BB202_10 Depth=1
	v_bfrev_b32_e32 v56, 1
	s_mov_b32 s39, exec_lo
	v_cmpx_ne_u16_e32 0x80, v57
	s_cbranch_execz .LBB202_49
; %bb.44:                               ;   in Loop: Header=BB202_10 Depth=1
	v_and_b32_sdwa v58, v57, v48 dst_sel:DWORD dst_unused:UNUSED_PAD src0_sel:WORD_0 src1_sel:DWORD
	v_mov_b32_e32 v56, 0x7f800001
	s_mov_b32 s40, exec_lo
	v_cmpx_ne_u32_e32 0x7f, v58
	s_cbranch_execz .LBB202_48
; %bb.45:                               ;   in Loop: Header=BB202_10 Depth=1
	v_and_b32_sdwa v31, v57, v49 dst_sel:DWORD dst_unused:UNUSED_PAD src0_sel:WORD_0 src1_sel:DWORD
	v_lshrrev_b32_e32 v56, 3, v58
	s_mov_b32 s41, exec_lo
	v_cmpx_gt_u32_e32 8, v58
; %bb.46:                               ;   in Loop: Header=BB202_10 Depth=1
	v_ffbh_u32_e32 v56, v31
	v_min_u32_e32 v56, 32, v56
	v_subrev_nc_u32_e32 v58, 28, v56
	v_sub_nc_u32_e32 v56, 29, v56
	v_lshlrev_b64 v[58:59], v58, v[31:32]
	v_and_b32_e32 v31, 7, v58
; %bb.47:                               ;   in Loop: Header=BB202_10 Depth=1
	s_or_b32 exec_lo, exec_lo, s41
	v_lshlrev_b32_e32 v57, 24, v57
	v_lshlrev_b32_e32 v31, 20, v31
	v_lshl_add_u32 v56, v56, 23, 0x3c000000
	v_and_b32_e32 v57, 0x80000000, v57
	v_or3_b32 v56, v31, v57, v56
.LBB202_48:                             ;   in Loop: Header=BB202_10 Depth=1
	s_or_b32 exec_lo, exec_lo, s40
.LBB202_49:                             ;   in Loop: Header=BB202_10 Depth=1
	s_or_b32 exec_lo, exec_lo, s39
.LBB202_50:                             ;   in Loop: Header=BB202_10 Depth=1
	s_or_b32 exec_lo, exec_lo, s3
	global_load_ubyte v57, v[37:38], off offset:132
	s_mov_b32 s3, exec_lo
	s_waitcnt vmcnt(0)
	v_cmpx_ne_u16_e32 0, v57
	s_cbranch_execz .LBB202_58
; %bb.51:                               ;   in Loop: Header=BB202_10 Depth=1
	v_bfrev_b32_e32 v55, 1
	s_mov_b32 s39, exec_lo
	v_cmpx_ne_u16_e32 0x80, v57
	s_cbranch_execz .LBB202_57
; %bb.52:                               ;   in Loop: Header=BB202_10 Depth=1
	v_and_b32_sdwa v58, v57, v48 dst_sel:DWORD dst_unused:UNUSED_PAD src0_sel:WORD_0 src1_sel:DWORD
	v_mov_b32_e32 v55, 0x7f800001
	s_mov_b32 s40, exec_lo
	v_cmpx_ne_u32_e32 0x7f, v58
	s_cbranch_execz .LBB202_56
; %bb.53:                               ;   in Loop: Header=BB202_10 Depth=1
	v_and_b32_sdwa v31, v57, v49 dst_sel:DWORD dst_unused:UNUSED_PAD src0_sel:WORD_0 src1_sel:DWORD
	v_lshrrev_b32_e32 v55, 3, v58
	s_mov_b32 s41, exec_lo
	v_cmpx_gt_u32_e32 8, v58
; %bb.54:                               ;   in Loop: Header=BB202_10 Depth=1
	v_ffbh_u32_e32 v55, v31
	v_min_u32_e32 v55, 32, v55
	v_subrev_nc_u32_e32 v58, 28, v55
	v_sub_nc_u32_e32 v55, 29, v55
	v_lshlrev_b64 v[58:59], v58, v[31:32]
	v_and_b32_e32 v31, 7, v58
; %bb.55:                               ;   in Loop: Header=BB202_10 Depth=1
	s_or_b32 exec_lo, exec_lo, s41
	v_lshlrev_b32_e32 v57, 24, v57
	v_lshlrev_b32_e32 v31, 20, v31
	v_lshl_add_u32 v55, v55, 23, 0x3c000000
	v_and_b32_e32 v57, 0x80000000, v57
	v_or3_b32 v55, v31, v57, v55
.LBB202_56:                             ;   in Loop: Header=BB202_10 Depth=1
	s_or_b32 exec_lo, exec_lo, s40
.LBB202_57:                             ;   in Loop: Header=BB202_10 Depth=1
	s_or_b32 exec_lo, exec_lo, s39
.LBB202_58:                             ;   in Loop: Header=BB202_10 Depth=1
	s_or_b32 exec_lo, exec_lo, s3
	global_load_ubyte v59, v[37:38], off offset:136
	v_mov_b32_e32 v57, 0
	v_mov_b32_e32 v58, 0
	s_mov_b32 s3, exec_lo
	s_waitcnt vmcnt(0)
	v_cmpx_ne_u16_e32 0, v59
	s_cbranch_execz .LBB202_66
; %bb.59:                               ;   in Loop: Header=BB202_10 Depth=1
	v_bfrev_b32_e32 v58, 1
	s_mov_b32 s39, exec_lo
	v_cmpx_ne_u16_e32 0x80, v59
	s_cbranch_execz .LBB202_65
; %bb.60:                               ;   in Loop: Header=BB202_10 Depth=1
	v_and_b32_sdwa v60, v59, v48 dst_sel:DWORD dst_unused:UNUSED_PAD src0_sel:WORD_0 src1_sel:DWORD
	v_mov_b32_e32 v58, 0x7f800001
	s_mov_b32 s40, exec_lo
	v_cmpx_ne_u32_e32 0x7f, v60
	s_cbranch_execz .LBB202_64
; %bb.61:                               ;   in Loop: Header=BB202_10 Depth=1
	v_and_b32_sdwa v31, v59, v49 dst_sel:DWORD dst_unused:UNUSED_PAD src0_sel:WORD_0 src1_sel:DWORD
	v_lshrrev_b32_e32 v58, 3, v60
	s_mov_b32 s41, exec_lo
	v_cmpx_gt_u32_e32 8, v60
; %bb.62:                               ;   in Loop: Header=BB202_10 Depth=1
	v_ffbh_u32_e32 v58, v31
	v_min_u32_e32 v58, 32, v58
	v_subrev_nc_u32_e32 v60, 28, v58
	v_sub_nc_u32_e32 v58, 29, v58
	v_lshlrev_b64 v[60:61], v60, v[31:32]
	v_and_b32_e32 v31, 7, v60
; %bb.63:                               ;   in Loop: Header=BB202_10 Depth=1
	s_or_b32 exec_lo, exec_lo, s41
	v_lshlrev_b32_e32 v59, 24, v59
	v_lshlrev_b32_e32 v31, 20, v31
	v_lshl_add_u32 v58, v58, 23, 0x3c000000
	v_and_b32_e32 v59, 0x80000000, v59
	v_or3_b32 v58, v31, v59, v58
.LBB202_64:                             ;   in Loop: Header=BB202_10 Depth=1
	s_or_b32 exec_lo, exec_lo, s40
.LBB202_65:                             ;   in Loop: Header=BB202_10 Depth=1
	s_or_b32 exec_lo, exec_lo, s39
.LBB202_66:                             ;   in Loop: Header=BB202_10 Depth=1
	s_or_b32 exec_lo, exec_lo, s3
	global_load_ubyte v59, v[37:38], off offset:140
	s_mov_b32 s3, exec_lo
	s_waitcnt vmcnt(0)
	v_cmpx_ne_u16_e32 0, v59
	s_cbranch_execz .LBB202_74
; %bb.67:                               ;   in Loop: Header=BB202_10 Depth=1
	v_bfrev_b32_e32 v57, 1
	s_mov_b32 s39, exec_lo
	v_cmpx_ne_u16_e32 0x80, v59
	s_cbranch_execz .LBB202_73
; %bb.68:                               ;   in Loop: Header=BB202_10 Depth=1
	v_and_b32_sdwa v60, v59, v48 dst_sel:DWORD dst_unused:UNUSED_PAD src0_sel:WORD_0 src1_sel:DWORD
	v_mov_b32_e32 v57, 0x7f800001
	s_mov_b32 s40, exec_lo
	v_cmpx_ne_u32_e32 0x7f, v60
	s_cbranch_execz .LBB202_72
; %bb.69:                               ;   in Loop: Header=BB202_10 Depth=1
	v_and_b32_sdwa v31, v59, v49 dst_sel:DWORD dst_unused:UNUSED_PAD src0_sel:WORD_0 src1_sel:DWORD
	v_lshrrev_b32_e32 v57, 3, v60
	s_mov_b32 s41, exec_lo
	v_cmpx_gt_u32_e32 8, v60
; %bb.70:                               ;   in Loop: Header=BB202_10 Depth=1
	v_ffbh_u32_e32 v57, v31
	v_min_u32_e32 v57, 32, v57
	v_subrev_nc_u32_e32 v60, 28, v57
	v_sub_nc_u32_e32 v57, 29, v57
	v_lshlrev_b64 v[60:61], v60, v[31:32]
	v_and_b32_e32 v31, 7, v60
; %bb.71:                               ;   in Loop: Header=BB202_10 Depth=1
	s_or_b32 exec_lo, exec_lo, s41
	v_lshlrev_b32_e32 v59, 24, v59
	v_lshlrev_b32_e32 v31, 20, v31
	v_lshl_add_u32 v57, v57, 23, 0x3c000000
	v_and_b32_e32 v59, 0x80000000, v59
	v_or3_b32 v57, v31, v59, v57
.LBB202_72:                             ;   in Loop: Header=BB202_10 Depth=1
	s_or_b32 exec_lo, exec_lo, s40
.LBB202_73:                             ;   in Loop: Header=BB202_10 Depth=1
	s_or_b32 exec_lo, exec_lo, s39
.LBB202_74:                             ;   in Loop: Header=BB202_10 Depth=1
	s_or_b32 exec_lo, exec_lo, s3
	global_load_ubyte v61, v[37:38], off offset:256
	v_mov_b32_e32 v59, 0
	v_mov_b32_e32 v60, 0
	s_mov_b32 s3, exec_lo
	s_waitcnt vmcnt(0)
	v_cmpx_ne_u16_e32 0, v61
	s_cbranch_execz .LBB202_82
; %bb.75:                               ;   in Loop: Header=BB202_10 Depth=1
	v_bfrev_b32_e32 v60, 1
	s_mov_b32 s39, exec_lo
	v_cmpx_ne_u16_e32 0x80, v61
	s_cbranch_execz .LBB202_81
; %bb.76:                               ;   in Loop: Header=BB202_10 Depth=1
	v_and_b32_sdwa v62, v61, v48 dst_sel:DWORD dst_unused:UNUSED_PAD src0_sel:WORD_0 src1_sel:DWORD
	v_mov_b32_e32 v60, 0x7f800001
	s_mov_b32 s40, exec_lo
	v_cmpx_ne_u32_e32 0x7f, v62
	s_cbranch_execz .LBB202_80
; %bb.77:                               ;   in Loop: Header=BB202_10 Depth=1
	v_and_b32_sdwa v31, v61, v49 dst_sel:DWORD dst_unused:UNUSED_PAD src0_sel:WORD_0 src1_sel:DWORD
	v_lshrrev_b32_e32 v60, 3, v62
	s_mov_b32 s41, exec_lo
	v_cmpx_gt_u32_e32 8, v62
; %bb.78:                               ;   in Loop: Header=BB202_10 Depth=1
	v_ffbh_u32_e32 v60, v31
	v_min_u32_e32 v60, 32, v60
	v_subrev_nc_u32_e32 v62, 28, v60
	v_sub_nc_u32_e32 v60, 29, v60
	v_lshlrev_b64 v[62:63], v62, v[31:32]
	v_and_b32_e32 v31, 7, v62
; %bb.79:                               ;   in Loop: Header=BB202_10 Depth=1
	s_or_b32 exec_lo, exec_lo, s41
	v_lshlrev_b32_e32 v61, 24, v61
	v_lshlrev_b32_e32 v31, 20, v31
	v_lshl_add_u32 v60, v60, 23, 0x3c000000
	v_and_b32_e32 v61, 0x80000000, v61
	v_or3_b32 v60, v31, v61, v60
.LBB202_80:                             ;   in Loop: Header=BB202_10 Depth=1
	s_or_b32 exec_lo, exec_lo, s40
.LBB202_81:                             ;   in Loop: Header=BB202_10 Depth=1
	s_or_b32 exec_lo, exec_lo, s39
.LBB202_82:                             ;   in Loop: Header=BB202_10 Depth=1
	s_or_b32 exec_lo, exec_lo, s3
	global_load_ubyte v61, v[37:38], off offset:260
	s_mov_b32 s3, exec_lo
	s_waitcnt vmcnt(0)
	v_cmpx_ne_u16_e32 0, v61
	s_cbranch_execz .LBB202_90
; %bb.83:                               ;   in Loop: Header=BB202_10 Depth=1
	v_bfrev_b32_e32 v59, 1
	s_mov_b32 s39, exec_lo
	v_cmpx_ne_u16_e32 0x80, v61
	s_cbranch_execz .LBB202_89
; %bb.84:                               ;   in Loop: Header=BB202_10 Depth=1
	v_and_b32_sdwa v62, v61, v48 dst_sel:DWORD dst_unused:UNUSED_PAD src0_sel:WORD_0 src1_sel:DWORD
	v_mov_b32_e32 v59, 0x7f800001
	s_mov_b32 s40, exec_lo
	v_cmpx_ne_u32_e32 0x7f, v62
	s_cbranch_execz .LBB202_88
; %bb.85:                               ;   in Loop: Header=BB202_10 Depth=1
	v_and_b32_sdwa v31, v61, v49 dst_sel:DWORD dst_unused:UNUSED_PAD src0_sel:WORD_0 src1_sel:DWORD
	v_lshrrev_b32_e32 v59, 3, v62
	s_mov_b32 s41, exec_lo
	v_cmpx_gt_u32_e32 8, v62
; %bb.86:                               ;   in Loop: Header=BB202_10 Depth=1
	v_ffbh_u32_e32 v59, v31
	v_min_u32_e32 v59, 32, v59
	v_subrev_nc_u32_e32 v62, 28, v59
	v_sub_nc_u32_e32 v59, 29, v59
	v_lshlrev_b64 v[62:63], v62, v[31:32]
	v_and_b32_e32 v31, 7, v62
; %bb.87:                               ;   in Loop: Header=BB202_10 Depth=1
	s_or_b32 exec_lo, exec_lo, s41
	v_lshlrev_b32_e32 v61, 24, v61
	v_lshlrev_b32_e32 v31, 20, v31
	v_lshl_add_u32 v59, v59, 23, 0x3c000000
	v_and_b32_e32 v61, 0x80000000, v61
	v_or3_b32 v59, v31, v61, v59
.LBB202_88:                             ;   in Loop: Header=BB202_10 Depth=1
	s_or_b32 exec_lo, exec_lo, s40
.LBB202_89:                             ;   in Loop: Header=BB202_10 Depth=1
	s_or_b32 exec_lo, exec_lo, s39
.LBB202_90:                             ;   in Loop: Header=BB202_10 Depth=1
	s_or_b32 exec_lo, exec_lo, s3
	global_load_ubyte v63, v[37:38], off offset:264
	v_mov_b32_e32 v61, 0
	v_mov_b32_e32 v62, 0
	s_mov_b32 s3, exec_lo
	s_waitcnt vmcnt(0)
	v_cmpx_ne_u16_e32 0, v63
	s_cbranch_execz .LBB202_98
; %bb.91:                               ;   in Loop: Header=BB202_10 Depth=1
	v_bfrev_b32_e32 v62, 1
	s_mov_b32 s39, exec_lo
	v_cmpx_ne_u16_e32 0x80, v63
	s_cbranch_execz .LBB202_97
; %bb.92:                               ;   in Loop: Header=BB202_10 Depth=1
	v_and_b32_sdwa v64, v63, v48 dst_sel:DWORD dst_unused:UNUSED_PAD src0_sel:WORD_0 src1_sel:DWORD
	v_mov_b32_e32 v62, 0x7f800001
	s_mov_b32 s40, exec_lo
	v_cmpx_ne_u32_e32 0x7f, v64
	s_cbranch_execz .LBB202_96
; %bb.93:                               ;   in Loop: Header=BB202_10 Depth=1
	v_and_b32_sdwa v31, v63, v49 dst_sel:DWORD dst_unused:UNUSED_PAD src0_sel:WORD_0 src1_sel:DWORD
	v_lshrrev_b32_e32 v62, 3, v64
	s_mov_b32 s41, exec_lo
	v_cmpx_gt_u32_e32 8, v64
; %bb.94:                               ;   in Loop: Header=BB202_10 Depth=1
	v_ffbh_u32_e32 v62, v31
	v_min_u32_e32 v62, 32, v62
	v_subrev_nc_u32_e32 v64, 28, v62
	v_sub_nc_u32_e32 v62, 29, v62
	v_lshlrev_b64 v[64:65], v64, v[31:32]
	v_and_b32_e32 v31, 7, v64
; %bb.95:                               ;   in Loop: Header=BB202_10 Depth=1
	s_or_b32 exec_lo, exec_lo, s41
	v_lshlrev_b32_e32 v63, 24, v63
	v_lshlrev_b32_e32 v31, 20, v31
	v_lshl_add_u32 v62, v62, 23, 0x3c000000
	v_and_b32_e32 v63, 0x80000000, v63
	v_or3_b32 v62, v31, v63, v62
.LBB202_96:                             ;   in Loop: Header=BB202_10 Depth=1
	s_or_b32 exec_lo, exec_lo, s40
.LBB202_97:                             ;   in Loop: Header=BB202_10 Depth=1
	s_or_b32 exec_lo, exec_lo, s39
.LBB202_98:                             ;   in Loop: Header=BB202_10 Depth=1
	s_or_b32 exec_lo, exec_lo, s3
	global_load_ubyte v63, v[37:38], off offset:268
	s_mov_b32 s3, exec_lo
	s_waitcnt vmcnt(0)
	v_cmpx_ne_u16_e32 0, v63
	s_cbranch_execz .LBB202_106
; %bb.99:                               ;   in Loop: Header=BB202_10 Depth=1
	v_bfrev_b32_e32 v61, 1
	s_mov_b32 s39, exec_lo
	v_cmpx_ne_u16_e32 0x80, v63
	s_cbranch_execz .LBB202_105
; %bb.100:                              ;   in Loop: Header=BB202_10 Depth=1
	v_and_b32_sdwa v64, v63, v48 dst_sel:DWORD dst_unused:UNUSED_PAD src0_sel:WORD_0 src1_sel:DWORD
	v_mov_b32_e32 v61, 0x7f800001
	s_mov_b32 s40, exec_lo
	v_cmpx_ne_u32_e32 0x7f, v64
	s_cbranch_execz .LBB202_104
; %bb.101:                              ;   in Loop: Header=BB202_10 Depth=1
	v_and_b32_sdwa v31, v63, v49 dst_sel:DWORD dst_unused:UNUSED_PAD src0_sel:WORD_0 src1_sel:DWORD
	v_lshrrev_b32_e32 v61, 3, v64
	s_mov_b32 s41, exec_lo
	v_cmpx_gt_u32_e32 8, v64
; %bb.102:                              ;   in Loop: Header=BB202_10 Depth=1
	v_ffbh_u32_e32 v61, v31
	v_min_u32_e32 v61, 32, v61
	v_subrev_nc_u32_e32 v64, 28, v61
	v_sub_nc_u32_e32 v61, 29, v61
	v_lshlrev_b64 v[64:65], v64, v[31:32]
	v_and_b32_e32 v31, 7, v64
; %bb.103:                              ;   in Loop: Header=BB202_10 Depth=1
	s_or_b32 exec_lo, exec_lo, s41
	v_lshlrev_b32_e32 v63, 24, v63
	v_lshlrev_b32_e32 v31, 20, v31
	v_lshl_add_u32 v61, v61, 23, 0x3c000000
	v_and_b32_e32 v63, 0x80000000, v63
	v_or3_b32 v61, v31, v63, v61
.LBB202_104:                            ;   in Loop: Header=BB202_10 Depth=1
	s_or_b32 exec_lo, exec_lo, s40
.LBB202_105:                            ;   in Loop: Header=BB202_10 Depth=1
	s_or_b32 exec_lo, exec_lo, s39
.LBB202_106:                            ;   in Loop: Header=BB202_10 Depth=1
	s_or_b32 exec_lo, exec_lo, s3
	global_load_ubyte v65, v[37:38], off offset:384
	v_mov_b32_e32 v63, 0
	v_mov_b32_e32 v64, 0
	s_mov_b32 s3, exec_lo
	s_waitcnt vmcnt(0)
	v_cmpx_ne_u16_e32 0, v65
	s_cbranch_execz .LBB202_114
; %bb.107:                              ;   in Loop: Header=BB202_10 Depth=1
	v_bfrev_b32_e32 v64, 1
	s_mov_b32 s39, exec_lo
	v_cmpx_ne_u16_e32 0x80, v65
	s_cbranch_execz .LBB202_113
; %bb.108:                              ;   in Loop: Header=BB202_10 Depth=1
	v_and_b32_sdwa v66, v65, v48 dst_sel:DWORD dst_unused:UNUSED_PAD src0_sel:WORD_0 src1_sel:DWORD
	v_mov_b32_e32 v64, 0x7f800001
	s_mov_b32 s40, exec_lo
	v_cmpx_ne_u32_e32 0x7f, v66
	s_cbranch_execz .LBB202_112
; %bb.109:                              ;   in Loop: Header=BB202_10 Depth=1
	v_and_b32_sdwa v31, v65, v49 dst_sel:DWORD dst_unused:UNUSED_PAD src0_sel:WORD_0 src1_sel:DWORD
	v_lshrrev_b32_e32 v64, 3, v66
	s_mov_b32 s41, exec_lo
	v_cmpx_gt_u32_e32 8, v66
; %bb.110:                              ;   in Loop: Header=BB202_10 Depth=1
	v_ffbh_u32_e32 v64, v31
	v_min_u32_e32 v64, 32, v64
	v_subrev_nc_u32_e32 v66, 28, v64
	v_sub_nc_u32_e32 v64, 29, v64
	v_lshlrev_b64 v[66:67], v66, v[31:32]
	v_and_b32_e32 v31, 7, v66
; %bb.111:                              ;   in Loop: Header=BB202_10 Depth=1
	s_or_b32 exec_lo, exec_lo, s41
	v_lshlrev_b32_e32 v65, 24, v65
	v_lshlrev_b32_e32 v31, 20, v31
	v_lshl_add_u32 v64, v64, 23, 0x3c000000
	v_and_b32_e32 v65, 0x80000000, v65
	v_or3_b32 v64, v31, v65, v64
.LBB202_112:                            ;   in Loop: Header=BB202_10 Depth=1
	s_or_b32 exec_lo, exec_lo, s40
.LBB202_113:                            ;   in Loop: Header=BB202_10 Depth=1
	s_or_b32 exec_lo, exec_lo, s39
.LBB202_114:                            ;   in Loop: Header=BB202_10 Depth=1
	s_or_b32 exec_lo, exec_lo, s3
	global_load_ubyte v65, v[37:38], off offset:388
	s_mov_b32 s3, exec_lo
	s_waitcnt vmcnt(0)
	v_cmpx_ne_u16_e32 0, v65
	s_cbranch_execz .LBB202_122
; %bb.115:                              ;   in Loop: Header=BB202_10 Depth=1
	v_bfrev_b32_e32 v63, 1
	s_mov_b32 s39, exec_lo
	v_cmpx_ne_u16_e32 0x80, v65
	s_cbranch_execz .LBB202_121
; %bb.116:                              ;   in Loop: Header=BB202_10 Depth=1
	v_and_b32_sdwa v66, v65, v48 dst_sel:DWORD dst_unused:UNUSED_PAD src0_sel:WORD_0 src1_sel:DWORD
	v_mov_b32_e32 v63, 0x7f800001
	s_mov_b32 s40, exec_lo
	v_cmpx_ne_u32_e32 0x7f, v66
	s_cbranch_execz .LBB202_120
; %bb.117:                              ;   in Loop: Header=BB202_10 Depth=1
	v_and_b32_sdwa v31, v65, v49 dst_sel:DWORD dst_unused:UNUSED_PAD src0_sel:WORD_0 src1_sel:DWORD
	v_lshrrev_b32_e32 v63, 3, v66
	s_mov_b32 s41, exec_lo
	v_cmpx_gt_u32_e32 8, v66
; %bb.118:                              ;   in Loop: Header=BB202_10 Depth=1
	v_ffbh_u32_e32 v63, v31
	v_min_u32_e32 v63, 32, v63
	v_subrev_nc_u32_e32 v66, 28, v63
	v_sub_nc_u32_e32 v63, 29, v63
	v_lshlrev_b64 v[66:67], v66, v[31:32]
	v_and_b32_e32 v31, 7, v66
; %bb.119:                              ;   in Loop: Header=BB202_10 Depth=1
	s_or_b32 exec_lo, exec_lo, s41
	v_lshlrev_b32_e32 v65, 24, v65
	v_lshlrev_b32_e32 v31, 20, v31
	v_lshl_add_u32 v63, v63, 23, 0x3c000000
	v_and_b32_e32 v65, 0x80000000, v65
	v_or3_b32 v63, v31, v65, v63
.LBB202_120:                            ;   in Loop: Header=BB202_10 Depth=1
	s_or_b32 exec_lo, exec_lo, s40
.LBB202_121:                            ;   in Loop: Header=BB202_10 Depth=1
	s_or_b32 exec_lo, exec_lo, s39
.LBB202_122:                            ;   in Loop: Header=BB202_10 Depth=1
	s_or_b32 exec_lo, exec_lo, s3
	global_load_ubyte v67, v[37:38], off offset:392
	v_mov_b32_e32 v65, 0
	v_mov_b32_e32 v66, 0
	s_mov_b32 s3, exec_lo
	s_waitcnt vmcnt(0)
	v_cmpx_ne_u16_e32 0, v67
	s_cbranch_execz .LBB202_130
; %bb.123:                              ;   in Loop: Header=BB202_10 Depth=1
	v_bfrev_b32_e32 v66, 1
	s_mov_b32 s39, exec_lo
	v_cmpx_ne_u16_e32 0x80, v67
	s_cbranch_execz .LBB202_129
; %bb.124:                              ;   in Loop: Header=BB202_10 Depth=1
	v_and_b32_sdwa v68, v67, v48 dst_sel:DWORD dst_unused:UNUSED_PAD src0_sel:WORD_0 src1_sel:DWORD
	v_mov_b32_e32 v66, 0x7f800001
	s_mov_b32 s40, exec_lo
	v_cmpx_ne_u32_e32 0x7f, v68
	s_cbranch_execz .LBB202_128
; %bb.125:                              ;   in Loop: Header=BB202_10 Depth=1
	v_and_b32_sdwa v31, v67, v49 dst_sel:DWORD dst_unused:UNUSED_PAD src0_sel:WORD_0 src1_sel:DWORD
	v_lshrrev_b32_e32 v66, 3, v68
	s_mov_b32 s41, exec_lo
	v_cmpx_gt_u32_e32 8, v68
; %bb.126:                              ;   in Loop: Header=BB202_10 Depth=1
	v_ffbh_u32_e32 v66, v31
	v_min_u32_e32 v66, 32, v66
	v_subrev_nc_u32_e32 v68, 28, v66
	v_sub_nc_u32_e32 v66, 29, v66
	v_lshlrev_b64 v[68:69], v68, v[31:32]
	v_and_b32_e32 v31, 7, v68
; %bb.127:                              ;   in Loop: Header=BB202_10 Depth=1
	s_or_b32 exec_lo, exec_lo, s41
	v_lshlrev_b32_e32 v67, 24, v67
	v_lshlrev_b32_e32 v31, 20, v31
	v_lshl_add_u32 v66, v66, 23, 0x3c000000
	v_and_b32_e32 v67, 0x80000000, v67
	v_or3_b32 v66, v31, v67, v66
.LBB202_128:                            ;   in Loop: Header=BB202_10 Depth=1
	s_or_b32 exec_lo, exec_lo, s40
.LBB202_129:                            ;   in Loop: Header=BB202_10 Depth=1
	s_or_b32 exec_lo, exec_lo, s39
.LBB202_130:                            ;   in Loop: Header=BB202_10 Depth=1
	s_or_b32 exec_lo, exec_lo, s3
	global_load_ubyte v67, v[37:38], off offset:396
	s_mov_b32 s3, exec_lo
	s_waitcnt vmcnt(0)
	v_cmpx_ne_u16_e32 0, v67
	s_cbranch_execz .LBB202_138
; %bb.131:                              ;   in Loop: Header=BB202_10 Depth=1
	v_bfrev_b32_e32 v65, 1
	s_mov_b32 s39, exec_lo
	v_cmpx_ne_u16_e32 0x80, v67
	s_cbranch_execz .LBB202_137
; %bb.132:                              ;   in Loop: Header=BB202_10 Depth=1
	v_and_b32_sdwa v68, v67, v48 dst_sel:DWORD dst_unused:UNUSED_PAD src0_sel:WORD_0 src1_sel:DWORD
	v_mov_b32_e32 v65, 0x7f800001
	s_mov_b32 s40, exec_lo
	v_cmpx_ne_u32_e32 0x7f, v68
	s_cbranch_execz .LBB202_136
; %bb.133:                              ;   in Loop: Header=BB202_10 Depth=1
	v_and_b32_sdwa v31, v67, v49 dst_sel:DWORD dst_unused:UNUSED_PAD src0_sel:WORD_0 src1_sel:DWORD
	v_lshrrev_b32_e32 v65, 3, v68
	s_mov_b32 s41, exec_lo
	v_cmpx_gt_u32_e32 8, v68
; %bb.134:                              ;   in Loop: Header=BB202_10 Depth=1
	v_ffbh_u32_e32 v65, v31
	v_min_u32_e32 v65, 32, v65
	v_subrev_nc_u32_e32 v68, 28, v65
	v_sub_nc_u32_e32 v65, 29, v65
	v_lshlrev_b64 v[68:69], v68, v[31:32]
	v_and_b32_e32 v31, 7, v68
; %bb.135:                              ;   in Loop: Header=BB202_10 Depth=1
	s_or_b32 exec_lo, exec_lo, s41
	v_lshlrev_b32_e32 v67, 24, v67
	v_lshlrev_b32_e32 v31, 20, v31
	v_lshl_add_u32 v65, v65, 23, 0x3c000000
	v_and_b32_e32 v67, 0x80000000, v67
	v_or3_b32 v65, v31, v67, v65
.LBB202_136:                            ;   in Loop: Header=BB202_10 Depth=1
	s_or_b32 exec_lo, exec_lo, s40
.LBB202_137:                            ;   in Loop: Header=BB202_10 Depth=1
	s_or_b32 exec_lo, exec_lo, s39
.LBB202_138:                            ;   in Loop: Header=BB202_10 Depth=1
	s_or_b32 exec_lo, exec_lo, s3
	global_load_ubyte v69, v[37:38], off offset:512
	v_mov_b32_e32 v67, 0
	v_mov_b32_e32 v68, 0
	s_mov_b32 s3, exec_lo
	s_waitcnt vmcnt(0)
	v_cmpx_ne_u16_e32 0, v69
	s_cbranch_execz .LBB202_146
; %bb.139:                              ;   in Loop: Header=BB202_10 Depth=1
	v_bfrev_b32_e32 v68, 1
	s_mov_b32 s39, exec_lo
	v_cmpx_ne_u16_e32 0x80, v69
	s_cbranch_execz .LBB202_145
; %bb.140:                              ;   in Loop: Header=BB202_10 Depth=1
	v_and_b32_sdwa v70, v69, v48 dst_sel:DWORD dst_unused:UNUSED_PAD src0_sel:WORD_0 src1_sel:DWORD
	v_mov_b32_e32 v68, 0x7f800001
	s_mov_b32 s40, exec_lo
	v_cmpx_ne_u32_e32 0x7f, v70
	s_cbranch_execz .LBB202_144
; %bb.141:                              ;   in Loop: Header=BB202_10 Depth=1
	v_and_b32_sdwa v31, v69, v49 dst_sel:DWORD dst_unused:UNUSED_PAD src0_sel:WORD_0 src1_sel:DWORD
	v_lshrrev_b32_e32 v68, 3, v70
	s_mov_b32 s41, exec_lo
	v_cmpx_gt_u32_e32 8, v70
; %bb.142:                              ;   in Loop: Header=BB202_10 Depth=1
	v_ffbh_u32_e32 v68, v31
	v_min_u32_e32 v68, 32, v68
	v_subrev_nc_u32_e32 v70, 28, v68
	v_sub_nc_u32_e32 v68, 29, v68
	v_lshlrev_b64 v[70:71], v70, v[31:32]
	v_and_b32_e32 v31, 7, v70
; %bb.143:                              ;   in Loop: Header=BB202_10 Depth=1
	s_or_b32 exec_lo, exec_lo, s41
	v_lshlrev_b32_e32 v69, 24, v69
	v_lshlrev_b32_e32 v31, 20, v31
	v_lshl_add_u32 v68, v68, 23, 0x3c000000
	v_and_b32_e32 v69, 0x80000000, v69
	v_or3_b32 v68, v31, v69, v68
.LBB202_144:                            ;   in Loop: Header=BB202_10 Depth=1
	s_or_b32 exec_lo, exec_lo, s40
.LBB202_145:                            ;   in Loop: Header=BB202_10 Depth=1
	s_or_b32 exec_lo, exec_lo, s39
.LBB202_146:                            ;   in Loop: Header=BB202_10 Depth=1
	s_or_b32 exec_lo, exec_lo, s3
	global_load_ubyte v69, v[37:38], off offset:516
	s_mov_b32 s3, exec_lo
	s_waitcnt vmcnt(0)
	v_cmpx_ne_u16_e32 0, v69
	s_cbranch_execz .LBB202_154
; %bb.147:                              ;   in Loop: Header=BB202_10 Depth=1
	v_bfrev_b32_e32 v67, 1
	s_mov_b32 s39, exec_lo
	v_cmpx_ne_u16_e32 0x80, v69
	s_cbranch_execz .LBB202_153
; %bb.148:                              ;   in Loop: Header=BB202_10 Depth=1
	v_and_b32_sdwa v70, v69, v48 dst_sel:DWORD dst_unused:UNUSED_PAD src0_sel:WORD_0 src1_sel:DWORD
	v_mov_b32_e32 v67, 0x7f800001
	s_mov_b32 s40, exec_lo
	v_cmpx_ne_u32_e32 0x7f, v70
	s_cbranch_execz .LBB202_152
; %bb.149:                              ;   in Loop: Header=BB202_10 Depth=1
	v_and_b32_sdwa v31, v69, v49 dst_sel:DWORD dst_unused:UNUSED_PAD src0_sel:WORD_0 src1_sel:DWORD
	v_lshrrev_b32_e32 v67, 3, v70
	s_mov_b32 s41, exec_lo
	v_cmpx_gt_u32_e32 8, v70
; %bb.150:                              ;   in Loop: Header=BB202_10 Depth=1
	v_ffbh_u32_e32 v67, v31
	v_min_u32_e32 v67, 32, v67
	v_subrev_nc_u32_e32 v70, 28, v67
	v_sub_nc_u32_e32 v67, 29, v67
	v_lshlrev_b64 v[70:71], v70, v[31:32]
	v_and_b32_e32 v31, 7, v70
; %bb.151:                              ;   in Loop: Header=BB202_10 Depth=1
	s_or_b32 exec_lo, exec_lo, s41
	v_lshlrev_b32_e32 v69, 24, v69
	v_lshlrev_b32_e32 v31, 20, v31
	v_lshl_add_u32 v67, v67, 23, 0x3c000000
	v_and_b32_e32 v69, 0x80000000, v69
	v_or3_b32 v67, v31, v69, v67
.LBB202_152:                            ;   in Loop: Header=BB202_10 Depth=1
	s_or_b32 exec_lo, exec_lo, s40
.LBB202_153:                            ;   in Loop: Header=BB202_10 Depth=1
	s_or_b32 exec_lo, exec_lo, s39
.LBB202_154:                            ;   in Loop: Header=BB202_10 Depth=1
	s_or_b32 exec_lo, exec_lo, s3
	global_load_ubyte v71, v[37:38], off offset:520
	v_mov_b32_e32 v69, 0
	v_mov_b32_e32 v70, 0
	s_mov_b32 s3, exec_lo
	s_waitcnt vmcnt(0)
	v_cmpx_ne_u16_e32 0, v71
	s_cbranch_execz .LBB202_162
; %bb.155:                              ;   in Loop: Header=BB202_10 Depth=1
	v_bfrev_b32_e32 v70, 1
	s_mov_b32 s39, exec_lo
	v_cmpx_ne_u16_e32 0x80, v71
	s_cbranch_execz .LBB202_161
; %bb.156:                              ;   in Loop: Header=BB202_10 Depth=1
	v_and_b32_sdwa v72, v71, v48 dst_sel:DWORD dst_unused:UNUSED_PAD src0_sel:WORD_0 src1_sel:DWORD
	v_mov_b32_e32 v70, 0x7f800001
	s_mov_b32 s40, exec_lo
	v_cmpx_ne_u32_e32 0x7f, v72
	s_cbranch_execz .LBB202_160
; %bb.157:                              ;   in Loop: Header=BB202_10 Depth=1
	v_and_b32_sdwa v31, v71, v49 dst_sel:DWORD dst_unused:UNUSED_PAD src0_sel:WORD_0 src1_sel:DWORD
	v_lshrrev_b32_e32 v70, 3, v72
	s_mov_b32 s41, exec_lo
	v_cmpx_gt_u32_e32 8, v72
; %bb.158:                              ;   in Loop: Header=BB202_10 Depth=1
	v_ffbh_u32_e32 v70, v31
	v_min_u32_e32 v70, 32, v70
	v_subrev_nc_u32_e32 v72, 28, v70
	v_sub_nc_u32_e32 v70, 29, v70
	v_lshlrev_b64 v[72:73], v72, v[31:32]
	v_and_b32_e32 v31, 7, v72
; %bb.159:                              ;   in Loop: Header=BB202_10 Depth=1
	s_or_b32 exec_lo, exec_lo, s41
	v_lshlrev_b32_e32 v71, 24, v71
	v_lshlrev_b32_e32 v31, 20, v31
	v_lshl_add_u32 v70, v70, 23, 0x3c000000
	v_and_b32_e32 v71, 0x80000000, v71
	v_or3_b32 v70, v31, v71, v70
.LBB202_160:                            ;   in Loop: Header=BB202_10 Depth=1
	s_or_b32 exec_lo, exec_lo, s40
.LBB202_161:                            ;   in Loop: Header=BB202_10 Depth=1
	s_or_b32 exec_lo, exec_lo, s39
.LBB202_162:                            ;   in Loop: Header=BB202_10 Depth=1
	s_or_b32 exec_lo, exec_lo, s3
	global_load_ubyte v71, v[37:38], off offset:524
	s_mov_b32 s3, exec_lo
	s_waitcnt vmcnt(0)
	v_cmpx_ne_u16_e32 0, v71
	s_cbranch_execz .LBB202_170
; %bb.163:                              ;   in Loop: Header=BB202_10 Depth=1
	v_bfrev_b32_e32 v69, 1
	s_mov_b32 s39, exec_lo
	v_cmpx_ne_u16_e32 0x80, v71
	s_cbranch_execz .LBB202_169
; %bb.164:                              ;   in Loop: Header=BB202_10 Depth=1
	v_and_b32_sdwa v72, v71, v48 dst_sel:DWORD dst_unused:UNUSED_PAD src0_sel:WORD_0 src1_sel:DWORD
	v_mov_b32_e32 v69, 0x7f800001
	s_mov_b32 s40, exec_lo
	v_cmpx_ne_u32_e32 0x7f, v72
	s_cbranch_execz .LBB202_168
; %bb.165:                              ;   in Loop: Header=BB202_10 Depth=1
	v_and_b32_sdwa v31, v71, v49 dst_sel:DWORD dst_unused:UNUSED_PAD src0_sel:WORD_0 src1_sel:DWORD
	v_lshrrev_b32_e32 v69, 3, v72
	s_mov_b32 s41, exec_lo
	v_cmpx_gt_u32_e32 8, v72
; %bb.166:                              ;   in Loop: Header=BB202_10 Depth=1
	v_ffbh_u32_e32 v69, v31
	v_min_u32_e32 v69, 32, v69
	v_subrev_nc_u32_e32 v72, 28, v69
	v_sub_nc_u32_e32 v69, 29, v69
	v_lshlrev_b64 v[72:73], v72, v[31:32]
	v_and_b32_e32 v31, 7, v72
; %bb.167:                              ;   in Loop: Header=BB202_10 Depth=1
	s_or_b32 exec_lo, exec_lo, s41
	v_lshlrev_b32_e32 v71, 24, v71
	v_lshlrev_b32_e32 v31, 20, v31
	v_lshl_add_u32 v69, v69, 23, 0x3c000000
	v_and_b32_e32 v71, 0x80000000, v71
	v_or3_b32 v69, v31, v71, v69
.LBB202_168:                            ;   in Loop: Header=BB202_10 Depth=1
	s_or_b32 exec_lo, exec_lo, s40
.LBB202_169:                            ;   in Loop: Header=BB202_10 Depth=1
	s_or_b32 exec_lo, exec_lo, s39
.LBB202_170:                            ;   in Loop: Header=BB202_10 Depth=1
	s_or_b32 exec_lo, exec_lo, s3
	global_load_ubyte v73, v[37:38], off offset:640
	v_mov_b32_e32 v71, 0
	v_mov_b32_e32 v72, 0
	s_mov_b32 s3, exec_lo
	s_waitcnt vmcnt(0)
	v_cmpx_ne_u16_e32 0, v73
	s_cbranch_execz .LBB202_178
; %bb.171:                              ;   in Loop: Header=BB202_10 Depth=1
	v_bfrev_b32_e32 v72, 1
	s_mov_b32 s39, exec_lo
	v_cmpx_ne_u16_e32 0x80, v73
	s_cbranch_execz .LBB202_177
; %bb.172:                              ;   in Loop: Header=BB202_10 Depth=1
	v_and_b32_sdwa v74, v73, v48 dst_sel:DWORD dst_unused:UNUSED_PAD src0_sel:WORD_0 src1_sel:DWORD
	v_mov_b32_e32 v72, 0x7f800001
	s_mov_b32 s40, exec_lo
	v_cmpx_ne_u32_e32 0x7f, v74
	s_cbranch_execz .LBB202_176
; %bb.173:                              ;   in Loop: Header=BB202_10 Depth=1
	v_and_b32_sdwa v31, v73, v49 dst_sel:DWORD dst_unused:UNUSED_PAD src0_sel:WORD_0 src1_sel:DWORD
	v_lshrrev_b32_e32 v72, 3, v74
	s_mov_b32 s41, exec_lo
	v_cmpx_gt_u32_e32 8, v74
; %bb.174:                              ;   in Loop: Header=BB202_10 Depth=1
	v_ffbh_u32_e32 v72, v31
	v_min_u32_e32 v72, 32, v72
	v_subrev_nc_u32_e32 v74, 28, v72
	v_sub_nc_u32_e32 v72, 29, v72
	v_lshlrev_b64 v[74:75], v74, v[31:32]
	v_and_b32_e32 v31, 7, v74
; %bb.175:                              ;   in Loop: Header=BB202_10 Depth=1
	s_or_b32 exec_lo, exec_lo, s41
	v_lshlrev_b32_e32 v73, 24, v73
	v_lshlrev_b32_e32 v31, 20, v31
	v_lshl_add_u32 v72, v72, 23, 0x3c000000
	v_and_b32_e32 v73, 0x80000000, v73
	v_or3_b32 v72, v31, v73, v72
.LBB202_176:                            ;   in Loop: Header=BB202_10 Depth=1
	s_or_b32 exec_lo, exec_lo, s40
.LBB202_177:                            ;   in Loop: Header=BB202_10 Depth=1
	s_or_b32 exec_lo, exec_lo, s39
.LBB202_178:                            ;   in Loop: Header=BB202_10 Depth=1
	s_or_b32 exec_lo, exec_lo, s3
	global_load_ubyte v73, v[37:38], off offset:644
	s_mov_b32 s3, exec_lo
	s_waitcnt vmcnt(0)
	v_cmpx_ne_u16_e32 0, v73
	s_cbranch_execz .LBB202_186
; %bb.179:                              ;   in Loop: Header=BB202_10 Depth=1
	v_bfrev_b32_e32 v71, 1
	s_mov_b32 s39, exec_lo
	v_cmpx_ne_u16_e32 0x80, v73
	s_cbranch_execz .LBB202_185
; %bb.180:                              ;   in Loop: Header=BB202_10 Depth=1
	v_and_b32_sdwa v74, v73, v48 dst_sel:DWORD dst_unused:UNUSED_PAD src0_sel:WORD_0 src1_sel:DWORD
	v_mov_b32_e32 v71, 0x7f800001
	s_mov_b32 s40, exec_lo
	v_cmpx_ne_u32_e32 0x7f, v74
	s_cbranch_execz .LBB202_184
; %bb.181:                              ;   in Loop: Header=BB202_10 Depth=1
	v_and_b32_sdwa v31, v73, v49 dst_sel:DWORD dst_unused:UNUSED_PAD src0_sel:WORD_0 src1_sel:DWORD
	v_lshrrev_b32_e32 v71, 3, v74
	s_mov_b32 s41, exec_lo
	v_cmpx_gt_u32_e32 8, v74
; %bb.182:                              ;   in Loop: Header=BB202_10 Depth=1
	v_ffbh_u32_e32 v71, v31
	v_min_u32_e32 v71, 32, v71
	v_subrev_nc_u32_e32 v74, 28, v71
	v_sub_nc_u32_e32 v71, 29, v71
	v_lshlrev_b64 v[74:75], v74, v[31:32]
	v_and_b32_e32 v31, 7, v74
; %bb.183:                              ;   in Loop: Header=BB202_10 Depth=1
	s_or_b32 exec_lo, exec_lo, s41
	v_lshlrev_b32_e32 v73, 24, v73
	v_lshlrev_b32_e32 v31, 20, v31
	v_lshl_add_u32 v71, v71, 23, 0x3c000000
	v_and_b32_e32 v73, 0x80000000, v73
	v_or3_b32 v71, v31, v73, v71
.LBB202_184:                            ;   in Loop: Header=BB202_10 Depth=1
	s_or_b32 exec_lo, exec_lo, s40
.LBB202_185:                            ;   in Loop: Header=BB202_10 Depth=1
	s_or_b32 exec_lo, exec_lo, s39
.LBB202_186:                            ;   in Loop: Header=BB202_10 Depth=1
	s_or_b32 exec_lo, exec_lo, s3
	global_load_ubyte v75, v[37:38], off offset:648
	v_mov_b32_e32 v73, 0
	v_mov_b32_e32 v74, 0
	s_mov_b32 s3, exec_lo
	s_waitcnt vmcnt(0)
	v_cmpx_ne_u16_e32 0, v75
	s_cbranch_execz .LBB202_194
; %bb.187:                              ;   in Loop: Header=BB202_10 Depth=1
	v_bfrev_b32_e32 v74, 1
	s_mov_b32 s39, exec_lo
	v_cmpx_ne_u16_e32 0x80, v75
	s_cbranch_execz .LBB202_193
; %bb.188:                              ;   in Loop: Header=BB202_10 Depth=1
	v_and_b32_sdwa v76, v75, v48 dst_sel:DWORD dst_unused:UNUSED_PAD src0_sel:WORD_0 src1_sel:DWORD
	v_mov_b32_e32 v74, 0x7f800001
	s_mov_b32 s40, exec_lo
	v_cmpx_ne_u32_e32 0x7f, v76
	s_cbranch_execz .LBB202_192
; %bb.189:                              ;   in Loop: Header=BB202_10 Depth=1
	v_and_b32_sdwa v31, v75, v49 dst_sel:DWORD dst_unused:UNUSED_PAD src0_sel:WORD_0 src1_sel:DWORD
	v_lshrrev_b32_e32 v74, 3, v76
	s_mov_b32 s41, exec_lo
	v_cmpx_gt_u32_e32 8, v76
; %bb.190:                              ;   in Loop: Header=BB202_10 Depth=1
	v_ffbh_u32_e32 v74, v31
	v_min_u32_e32 v74, 32, v74
	v_subrev_nc_u32_e32 v76, 28, v74
	v_sub_nc_u32_e32 v74, 29, v74
	v_lshlrev_b64 v[76:77], v76, v[31:32]
	v_and_b32_e32 v31, 7, v76
; %bb.191:                              ;   in Loop: Header=BB202_10 Depth=1
	s_or_b32 exec_lo, exec_lo, s41
	v_lshlrev_b32_e32 v75, 24, v75
	v_lshlrev_b32_e32 v31, 20, v31
	v_lshl_add_u32 v74, v74, 23, 0x3c000000
	v_and_b32_e32 v75, 0x80000000, v75
	v_or3_b32 v74, v31, v75, v74
.LBB202_192:                            ;   in Loop: Header=BB202_10 Depth=1
	s_or_b32 exec_lo, exec_lo, s40
.LBB202_193:                            ;   in Loop: Header=BB202_10 Depth=1
	s_or_b32 exec_lo, exec_lo, s39
.LBB202_194:                            ;   in Loop: Header=BB202_10 Depth=1
	s_or_b32 exec_lo, exec_lo, s3
	global_load_ubyte v75, v[37:38], off offset:652
	s_mov_b32 s3, exec_lo
	s_waitcnt vmcnt(0)
	v_cmpx_ne_u16_e32 0, v75
	s_cbranch_execz .LBB202_202
; %bb.195:                              ;   in Loop: Header=BB202_10 Depth=1
	v_bfrev_b32_e32 v73, 1
	s_mov_b32 s39, exec_lo
	v_cmpx_ne_u16_e32 0x80, v75
	s_cbranch_execz .LBB202_201
; %bb.196:                              ;   in Loop: Header=BB202_10 Depth=1
	v_and_b32_sdwa v76, v75, v48 dst_sel:DWORD dst_unused:UNUSED_PAD src0_sel:WORD_0 src1_sel:DWORD
	v_mov_b32_e32 v73, 0x7f800001
	s_mov_b32 s40, exec_lo
	v_cmpx_ne_u32_e32 0x7f, v76
	s_cbranch_execz .LBB202_200
; %bb.197:                              ;   in Loop: Header=BB202_10 Depth=1
	v_and_b32_sdwa v31, v75, v49 dst_sel:DWORD dst_unused:UNUSED_PAD src0_sel:WORD_0 src1_sel:DWORD
	v_lshrrev_b32_e32 v73, 3, v76
	s_mov_b32 s41, exec_lo
	v_cmpx_gt_u32_e32 8, v76
; %bb.198:                              ;   in Loop: Header=BB202_10 Depth=1
	v_ffbh_u32_e32 v73, v31
	v_min_u32_e32 v73, 32, v73
	v_subrev_nc_u32_e32 v76, 28, v73
	v_sub_nc_u32_e32 v73, 29, v73
	v_lshlrev_b64 v[76:77], v76, v[31:32]
	v_and_b32_e32 v31, 7, v76
; %bb.199:                              ;   in Loop: Header=BB202_10 Depth=1
	s_or_b32 exec_lo, exec_lo, s41
	v_lshlrev_b32_e32 v75, 24, v75
	v_lshlrev_b32_e32 v31, 20, v31
	v_lshl_add_u32 v73, v73, 23, 0x3c000000
	v_and_b32_e32 v75, 0x80000000, v75
	v_or3_b32 v73, v31, v75, v73
.LBB202_200:                            ;   in Loop: Header=BB202_10 Depth=1
	s_or_b32 exec_lo, exec_lo, s40
.LBB202_201:                            ;   in Loop: Header=BB202_10 Depth=1
	s_or_b32 exec_lo, exec_lo, s39
.LBB202_202:                            ;   in Loop: Header=BB202_10 Depth=1
	s_or_b32 exec_lo, exec_lo, s3
	global_load_ubyte v77, v[37:38], off offset:768
	v_mov_b32_e32 v75, 0
	v_mov_b32_e32 v76, 0
	s_mov_b32 s3, exec_lo
	s_waitcnt vmcnt(0)
	v_cmpx_ne_u16_e32 0, v77
	s_cbranch_execz .LBB202_210
; %bb.203:                              ;   in Loop: Header=BB202_10 Depth=1
	v_bfrev_b32_e32 v76, 1
	s_mov_b32 s39, exec_lo
	v_cmpx_ne_u16_e32 0x80, v77
	s_cbranch_execz .LBB202_209
; %bb.204:                              ;   in Loop: Header=BB202_10 Depth=1
	v_and_b32_sdwa v78, v77, v48 dst_sel:DWORD dst_unused:UNUSED_PAD src0_sel:WORD_0 src1_sel:DWORD
	v_mov_b32_e32 v76, 0x7f800001
	s_mov_b32 s40, exec_lo
	v_cmpx_ne_u32_e32 0x7f, v78
	s_cbranch_execz .LBB202_208
; %bb.205:                              ;   in Loop: Header=BB202_10 Depth=1
	v_and_b32_sdwa v31, v77, v49 dst_sel:DWORD dst_unused:UNUSED_PAD src0_sel:WORD_0 src1_sel:DWORD
	v_lshrrev_b32_e32 v76, 3, v78
	s_mov_b32 s41, exec_lo
	v_cmpx_gt_u32_e32 8, v78
; %bb.206:                              ;   in Loop: Header=BB202_10 Depth=1
	v_ffbh_u32_e32 v76, v31
	v_min_u32_e32 v76, 32, v76
	v_subrev_nc_u32_e32 v78, 28, v76
	v_sub_nc_u32_e32 v76, 29, v76
	v_lshlrev_b64 v[78:79], v78, v[31:32]
	v_and_b32_e32 v31, 7, v78
; %bb.207:                              ;   in Loop: Header=BB202_10 Depth=1
	s_or_b32 exec_lo, exec_lo, s41
	v_lshlrev_b32_e32 v77, 24, v77
	v_lshlrev_b32_e32 v31, 20, v31
	v_lshl_add_u32 v76, v76, 23, 0x3c000000
	v_and_b32_e32 v77, 0x80000000, v77
	v_or3_b32 v76, v31, v77, v76
.LBB202_208:                            ;   in Loop: Header=BB202_10 Depth=1
	s_or_b32 exec_lo, exec_lo, s40
.LBB202_209:                            ;   in Loop: Header=BB202_10 Depth=1
	s_or_b32 exec_lo, exec_lo, s39
.LBB202_210:                            ;   in Loop: Header=BB202_10 Depth=1
	s_or_b32 exec_lo, exec_lo, s3
	global_load_ubyte v77, v[37:38], off offset:772
	s_mov_b32 s3, exec_lo
	s_waitcnt vmcnt(0)
	v_cmpx_ne_u16_e32 0, v77
	s_cbranch_execz .LBB202_218
; %bb.211:                              ;   in Loop: Header=BB202_10 Depth=1
	v_bfrev_b32_e32 v75, 1
	s_mov_b32 s39, exec_lo
	v_cmpx_ne_u16_e32 0x80, v77
	s_cbranch_execz .LBB202_217
; %bb.212:                              ;   in Loop: Header=BB202_10 Depth=1
	v_and_b32_sdwa v78, v77, v48 dst_sel:DWORD dst_unused:UNUSED_PAD src0_sel:WORD_0 src1_sel:DWORD
	v_mov_b32_e32 v75, 0x7f800001
	s_mov_b32 s40, exec_lo
	v_cmpx_ne_u32_e32 0x7f, v78
	s_cbranch_execz .LBB202_216
; %bb.213:                              ;   in Loop: Header=BB202_10 Depth=1
	v_and_b32_sdwa v31, v77, v49 dst_sel:DWORD dst_unused:UNUSED_PAD src0_sel:WORD_0 src1_sel:DWORD
	v_lshrrev_b32_e32 v75, 3, v78
	s_mov_b32 s41, exec_lo
	v_cmpx_gt_u32_e32 8, v78
; %bb.214:                              ;   in Loop: Header=BB202_10 Depth=1
	v_ffbh_u32_e32 v75, v31
	v_min_u32_e32 v75, 32, v75
	v_subrev_nc_u32_e32 v78, 28, v75
	v_sub_nc_u32_e32 v75, 29, v75
	v_lshlrev_b64 v[78:79], v78, v[31:32]
	v_and_b32_e32 v31, 7, v78
; %bb.215:                              ;   in Loop: Header=BB202_10 Depth=1
	s_or_b32 exec_lo, exec_lo, s41
	v_lshlrev_b32_e32 v77, 24, v77
	v_lshlrev_b32_e32 v31, 20, v31
	v_lshl_add_u32 v75, v75, 23, 0x3c000000
	v_and_b32_e32 v77, 0x80000000, v77
	v_or3_b32 v75, v31, v77, v75
.LBB202_216:                            ;   in Loop: Header=BB202_10 Depth=1
	s_or_b32 exec_lo, exec_lo, s40
.LBB202_217:                            ;   in Loop: Header=BB202_10 Depth=1
	s_or_b32 exec_lo, exec_lo, s39
.LBB202_218:                            ;   in Loop: Header=BB202_10 Depth=1
	s_or_b32 exec_lo, exec_lo, s3
	global_load_ubyte v79, v[37:38], off offset:776
	v_mov_b32_e32 v77, 0
	v_mov_b32_e32 v78, 0
	s_mov_b32 s3, exec_lo
	s_waitcnt vmcnt(0)
	v_cmpx_ne_u16_e32 0, v79
	s_cbranch_execz .LBB202_226
; %bb.219:                              ;   in Loop: Header=BB202_10 Depth=1
	v_bfrev_b32_e32 v78, 1
	s_mov_b32 s39, exec_lo
	v_cmpx_ne_u16_e32 0x80, v79
	s_cbranch_execz .LBB202_225
; %bb.220:                              ;   in Loop: Header=BB202_10 Depth=1
	v_and_b32_sdwa v80, v79, v48 dst_sel:DWORD dst_unused:UNUSED_PAD src0_sel:WORD_0 src1_sel:DWORD
	v_mov_b32_e32 v78, 0x7f800001
	s_mov_b32 s40, exec_lo
	v_cmpx_ne_u32_e32 0x7f, v80
	s_cbranch_execz .LBB202_224
; %bb.221:                              ;   in Loop: Header=BB202_10 Depth=1
	v_and_b32_sdwa v31, v79, v49 dst_sel:DWORD dst_unused:UNUSED_PAD src0_sel:WORD_0 src1_sel:DWORD
	v_lshrrev_b32_e32 v78, 3, v80
	s_mov_b32 s41, exec_lo
	v_cmpx_gt_u32_e32 8, v80
; %bb.222:                              ;   in Loop: Header=BB202_10 Depth=1
	v_ffbh_u32_e32 v78, v31
	v_min_u32_e32 v78, 32, v78
	v_subrev_nc_u32_e32 v80, 28, v78
	v_sub_nc_u32_e32 v78, 29, v78
	v_lshlrev_b64 v[80:81], v80, v[31:32]
	v_and_b32_e32 v31, 7, v80
; %bb.223:                              ;   in Loop: Header=BB202_10 Depth=1
	s_or_b32 exec_lo, exec_lo, s41
	v_lshlrev_b32_e32 v79, 24, v79
	v_lshlrev_b32_e32 v31, 20, v31
	v_lshl_add_u32 v78, v78, 23, 0x3c000000
	v_and_b32_e32 v79, 0x80000000, v79
	v_or3_b32 v78, v31, v79, v78
.LBB202_224:                            ;   in Loop: Header=BB202_10 Depth=1
	s_or_b32 exec_lo, exec_lo, s40
.LBB202_225:                            ;   in Loop: Header=BB202_10 Depth=1
	s_or_b32 exec_lo, exec_lo, s39
.LBB202_226:                            ;   in Loop: Header=BB202_10 Depth=1
	s_or_b32 exec_lo, exec_lo, s3
	global_load_ubyte v37, v[37:38], off offset:780
	s_mov_b32 s3, exec_lo
	s_waitcnt vmcnt(0)
	v_cmpx_ne_u16_e32 0, v37
	s_cbranch_execz .LBB202_234
; %bb.227:                              ;   in Loop: Header=BB202_10 Depth=1
	v_bfrev_b32_e32 v77, 1
	s_mov_b32 s39, exec_lo
	v_cmpx_ne_u16_e32 0x80, v37
	s_cbranch_execz .LBB202_233
; %bb.228:                              ;   in Loop: Header=BB202_10 Depth=1
	v_and_b32_sdwa v79, v37, v48 dst_sel:DWORD dst_unused:UNUSED_PAD src0_sel:WORD_0 src1_sel:DWORD
	v_mov_b32_e32 v77, 0x7f800001
	s_mov_b32 s40, exec_lo
	v_cmpx_ne_u32_e32 0x7f, v79
	s_cbranch_execz .LBB202_232
; %bb.229:                              ;   in Loop: Header=BB202_10 Depth=1
	v_and_b32_sdwa v31, v37, v49 dst_sel:DWORD dst_unused:UNUSED_PAD src0_sel:WORD_0 src1_sel:DWORD
	v_lshrrev_b32_e32 v38, 3, v79
	s_mov_b32 s41, exec_lo
	v_cmpx_gt_u32_e32 8, v79
; %bb.230:                              ;   in Loop: Header=BB202_10 Depth=1
	v_ffbh_u32_e32 v38, v31
	v_min_u32_e32 v38, 32, v38
	v_subrev_nc_u32_e32 v77, 28, v38
	v_sub_nc_u32_e32 v38, 29, v38
	v_lshlrev_b64 v[79:80], v77, v[31:32]
	v_and_b32_e32 v31, 7, v79
; %bb.231:                              ;   in Loop: Header=BB202_10 Depth=1
	s_or_b32 exec_lo, exec_lo, s41
	v_lshlrev_b32_e32 v37, 24, v37
	v_lshlrev_b32_e32 v31, 20, v31
	v_lshl_add_u32 v38, v38, 23, 0x3c000000
	v_and_b32_e32 v37, 0x80000000, v37
	v_or3_b32 v77, v31, v37, v38
.LBB202_232:                            ;   in Loop: Header=BB202_10 Depth=1
	s_or_b32 exec_lo, exec_lo, s40
.LBB202_233:                            ;   in Loop: Header=BB202_10 Depth=1
	s_or_b32 exec_lo, exec_lo, s39
.LBB202_234:                            ;   in Loop: Header=BB202_10 Depth=1
	s_or_b32 exec_lo, exec_lo, s3
	s_waitcnt lgkmcnt(0)
	v_mul_f32_e32 v31, s4, v51
	v_mul_f32_e32 v37, s4, v52
	;; [unrolled: 1-line block ×4, first 2 shown]
	v_fmac_f32_e32 v31, v1, v37
	v_mul_f32_e32 v37, s4, v53
	v_fmac_f32_e32 v31, v3, v38
	v_mul_f32_e32 v38, s4, v56
	;; [unrolled: 2-line block ×25, first 2 shown]
	v_fmac_f32_e32 v31, v27, v38
	v_fmac_f32_e32 v31, v28, v37
	ds_bpermute_b32 v37, v44, v31
	s_waitcnt lgkmcnt(0)
	v_add_f32_e32 v31, v31, v37
	ds_bpermute_b32 v37, v45, v31
	s_and_saveexec_b32 s3, vcc_lo
	s_cbranch_execz .LBB202_9
; %bb.235:                              ;   in Loop: Header=BB202_10 Depth=1
	v_add_nc_u32_e32 v38, s5, v46
	s_waitcnt lgkmcnt(0)
	v_add_f32_e32 v31, v31, v37
	v_cmp_gt_i32_e64 s2, s27, v46
	v_cvt_f32_i32_e32 v38, v38
	v_mul_f32_e32 v38, s36, v38
	v_cndmask_b32_e64 v37, 0, v38, s1
	v_max_f32_e32 v38, v43, v43
	v_fmac_f32_e32 v37, s37, v31
	v_max_f32_e32 v31, v38, v37
	v_cndmask_b32_e64 v37, 0, v37, s2
	v_cndmask_b32_e64 v43, v43, v31, s2
	ds_write_b32 v47, v37
	s_branch .LBB202_9
.LBB202_236:
	s_or_b32 exec_lo, exec_lo, s16
.LBB202_237:
	s_or_b32 exec_lo, exec_lo, s38
	v_xor_b32_e32 v1, 16, v41
	v_xor_b32_e32 v3, 8, v41
	v_max_f32_e32 v5, v43, v43
	v_and_b32_e32 v25, 31, v0
	v_cmp_lt_i32_e32 vcc_lo, v1, v42
	v_cndmask_b32_e32 v1, v41, v1, vcc_lo
	v_cmp_lt_i32_e32 vcc_lo, v3, v42
	v_lshlrev_b32_e32 v2, 2, v1
	v_cndmask_b32_e32 v3, v41, v3, vcc_lo
	ds_bpermute_b32 v1, v2, v43
	v_lshlrev_b32_e32 v4, 2, v3
	s_waitcnt lgkmcnt(0)
	v_max_f32_e32 v1, v1, v1
	v_max_f32_e32 v1, v5, v1
	v_xor_b32_e32 v5, 4, v41
	ds_bpermute_b32 v3, v4, v1
	v_cmp_lt_i32_e32 vcc_lo, v5, v42
	v_cndmask_b32_e32 v5, v41, v5, vcc_lo
	v_cmp_eq_u32_e32 vcc_lo, 0, v25
	v_lshlrev_b32_e32 v7, 2, v5
	v_lshlrev_b32_e32 v5, 2, v39
	s_waitcnt lgkmcnt(0)
	v_max_f32_e32 v3, v3, v3
	v_max_f32_e32 v1, v1, v3
	ds_bpermute_b32 v3, v7, v1
	s_and_saveexec_b32 s1, vcc_lo
	s_cbranch_execz .LBB202_239
; %bb.238:
	s_waitcnt lgkmcnt(0)
	v_max_f32_e32 v3, v3, v3
	v_max_f32_e32 v1, v1, v1
	;; [unrolled: 1-line block ×3, first 2 shown]
	ds_write_b32 v5, v1 offset:448
.LBB202_239:
	s_or_b32 exec_lo, exec_lo, s1
	v_cmp_gt_u32_e64 s1, 4, v25
	v_mov_b32_e32 v1, 0xff7fffff
	v_lshlrev_b32_e32 v6, 2, v25
	s_waitcnt lgkmcnt(0)
	s_barrier
	buffer_gl0_inv
	s_and_saveexec_b32 s2, s1
; %bb.240:
	ds_read_b32 v1, v6 offset:448
; %bb.241:
	s_or_b32 exec_lo, exec_lo, s2
	v_xor_b32_e32 v3, 2, v41
	v_xor_b32_e32 v9, 1, v41
	v_cmp_lt_i32_e64 s2, v3, v42
	v_cndmask_b32_e64 v3, v41, v3, s2
	v_cmp_lt_i32_e64 s2, v9, v42
	v_lshlrev_b32_e32 v8, 2, v3
	v_cndmask_b32_e64 v9, v41, v9, s2
	s_sub_i32 s2, s11, s15
	s_lshl_b32 s2, s2, 3
	s_waitcnt lgkmcnt(0)
	ds_bpermute_b32 v3, v8, v1
	v_max_f32_e32 v1, v1, v1
	v_lshlrev_b32_e32 v26, 2, v9
	s_add_i32 s2, s2, s33
	v_mov_b32_e32 v9, 0
	s_min_i32 s2, s2, s27
	s_sub_i32 s4, s2, s33
	v_cmp_gt_i32_e64 s2, s4, v0
	s_waitcnt lgkmcnt(0)
	v_max_f32_e32 v3, v3, v3
	v_max_f32_e32 v1, v1, v3
	ds_bpermute_b32 v3, v26, v1
	s_waitcnt lgkmcnt(0)
	v_max_f32_e32 v3, v3, v3
	v_max_f32_e32 v1, v1, v3
	v_lshlrev_b32_e32 v3, 2, v32
	ds_bpermute_b32 v1, v3, v1
	v_lshl_add_u32 v3, v0, 2, 0x1e0
	s_and_saveexec_b32 s5, s2
	s_cbranch_execz .LBB202_245
; %bb.242:
	v_lshl_add_u32 v10, v0, 2, 0x1e0
	v_mov_b32_e32 v9, 0
	v_mov_b32_e32 v11, v0
	s_mov_b32 s15, 0
	.p2align	6
.LBB202_243:                            ; =>This Inner Loop Header: Depth=1
	ds_read_b32 v12, v10
	v_add_nc_u32_e32 v11, 0x80, v11
	v_cmp_le_i32_e64 s3, s4, v11
	s_or_b32 s15, s3, s15
	s_waitcnt lgkmcnt(0)
	v_sub_f32_e32 v12, v12, v1
	v_mul_f32_e32 v12, 0x3fb8aa3b, v12
	v_exp_f32_e32 v12, v12
	ds_write_b32 v10, v12
	v_add_f32_e32 v9, v9, v12
	v_add_nc_u32_e32 v10, 0x200, v10
	s_andn2_b32 exec_lo, exec_lo, s15
	s_cbranch_execnz .LBB202_243
; %bb.244:
	s_or_b32 exec_lo, exec_lo, s15
.LBB202_245:
	s_or_b32 exec_lo, exec_lo, s5
	ds_bpermute_b32 v2, v2, v9
	s_waitcnt lgkmcnt(0)
	v_add_f32_e32 v2, v9, v2
	ds_bpermute_b32 v4, v4, v2
	s_waitcnt lgkmcnt(0)
	v_add_f32_e32 v2, v2, v4
	;; [unrolled: 3-line block ×5, first 2 shown]
	s_and_saveexec_b32 s3, vcc_lo
; %bb.246:
	ds_write_b32 v5, v2 offset:464
; %bb.247:
	s_or_b32 exec_lo, exec_lo, s3
	s_waitcnt lgkmcnt(0)
	s_barrier
	buffer_gl0_inv
	s_and_saveexec_b32 s3, s1
; %bb.248:
	ds_read_b32 v2, v6 offset:464
; %bb.249:
	s_or_b32 exec_lo, exec_lo, s3
	s_waitcnt lgkmcnt(0)
	ds_bpermute_b32 v4, v8, v2
	v_lshlrev_b32_e32 v5, 2, v41
	s_waitcnt lgkmcnt(0)
	v_add_f32_e32 v2, v2, v4
	ds_bpermute_b32 v4, v26, v2
	s_waitcnt lgkmcnt(0)
	v_add_f32_e32 v2, v2, v4
	v_and_b32_e32 v4, 0xffffff80, v5
	ds_bpermute_b32 v2, v4, v2
	s_and_saveexec_b32 s1, s2
	s_cbranch_execz .LBB202_252
; %bb.250:
	s_waitcnt lgkmcnt(0)
	v_add_f32_e32 v4, 0x358637bd, v2
	s_mov_b32 s2, 0
	v_div_scale_f32 v5, null, v4, v4, 1.0
	v_div_scale_f32 v8, vcc_lo, 1.0, v4, 1.0
	v_rcp_f32_e32 v6, v5
	v_fma_f32 v7, -v5, v6, 1.0
	v_fmac_f32_e32 v6, v7, v6
	v_mul_f32_e32 v7, v8, v6
	v_fma_f32 v9, -v5, v7, v8
	v_fmac_f32_e32 v7, v9, v6
	v_fma_f32 v5, -v5, v7, v8
	v_div_fmas_f32 v5, v5, v6, v7
	v_div_fixup_f32 v4, v5, v4, 1.0
	v_mov_b32_e32 v5, v0
.LBB202_251:                            ; =>This Inner Loop Header: Depth=1
	ds_read_b32 v6, v3
	v_add_nc_u32_e32 v5, 0x80, v5
	v_cmp_le_i32_e32 vcc_lo, s4, v5
	s_or_b32 s2, vcc_lo, s2
	s_waitcnt lgkmcnt(0)
	v_mul_f32_e32 v6, v4, v6
	ds_write_b32 v3, v6
	v_add_nc_u32_e32 v3, 0x200, v3
	s_andn2_b32 exec_lo, exec_lo, s2
	s_cbranch_execnz .LBB202_251
.LBB202_252:
	s_or_b32 exec_lo, exec_lo, s1
	s_mul_i32 s1, s7, s26
	s_waitcnt lgkmcnt(0)
	s_mul_i32 s2, s1, s9
	s_mov_b32 s1, exec_lo
	s_barrier
	buffer_gl0_inv
	v_cmpx_eq_u32_e32 0, v0
	s_cbranch_execz .LBB202_254
; %bb.253:
	s_ashr_i32 s3, s2, 31
	s_mul_i32 s16, s7, s6
	s_lshl_b64 s[4:5], s[2:3], 2
	v_mov_b32_e32 v3, 0
	s_add_u32 s3, s22, s4
	s_addc_u32 s6, s23, s5
	s_ashr_i32 s17, s16, 31
	s_lshl_b64 s[16:17], s[16:17], 2
	s_add_u32 s3, s3, s16
	s_addc_u32 s6, s6, s17
	s_ashr_i32 s9, s8, 31
	s_lshl_b64 s[22:23], s[8:9], 2
	s_add_u32 s36, s3, s22
	s_addc_u32 s37, s6, s23
	s_add_u32 s3, s20, s4
	s_addc_u32 s4, s21, s5
	;; [unrolled: 2-line block ×4, first 2 shown]
	global_store_dword v3, v1, s[36:37]
	global_store_dword v3, v2, s[4:5]
.LBB202_254:
	s_or_b32 exec_lo, exec_lo, s1
	v_mov_b32_e32 v34, 0
	v_and_b32_e32 v27, 1, v0
	v_mov_b32_e32 v36, 0
	v_mov_b32_e32 v35, 0
	;; [unrolled: 1-line block ×6, first 2 shown]
	s_and_saveexec_b32 s1, s0
	s_cbranch_execz .LBB202_496
; %bb.255:
	s_load_dword s3, s[18:19], 0x0
	v_and_b32_e32 v1, 4, v40
	v_and_b32_e32 v2, 0x7c, v40
	v_lshl_add_u32 v4, v39, 3, s33
	s_ashr_i32 s0, s14, 31
	s_add_u32 s4, s34, s14
	v_lshlrev_b32_e32 v3, 4, v27
	s_addc_u32 s0, s35, s0
	v_add_co_u32 v7, s4, s4, v2
	v_add3_u32 v37, v4, v1, 3
	v_lshlrev_b64 v[1:2], 2, v[29:30]
	v_add_co_ci_u32_e64 v8, null, s0, 0, s4
	s_lshl_b64 s[4:5], s[30:31], 2
	s_add_i32 s12, s12, -1
	v_lshl_or_b32 v3, v39, 5, v3
	s_add_u32 s0, s28, s4
	s_addc_u32 s4, s29, s5
	v_add_co_u32 v9, vcc_lo, s0, v1
	v_mov_b32_e32 v6, 0
	v_add_nc_u32_e32 v30, 0x1e0, v3
	v_add_co_ci_u32_e64 v10, null, s4, v2, vcc_lo
	v_mov_b32_e32 v38, 0x80
	v_bfrev_b32_e32 v12, 1
	v_mov_b32_e32 v40, 0xffff
	v_mov_b32_e32 v14, 0x7f800001
	;; [unrolled: 1-line block ×12, first 2 shown]
	s_mov_b32 s4, s13
	s_waitcnt lgkmcnt(0)
	s_mov_b32 s6, s3
	s_mov_b32 s5, 0
	s_branch .LBB202_257
.LBB202_256:                            ;   in Loop: Header=BB202_257 Depth=1
	s_or_b32 exec_lo, exec_lo, s0
	s_waitcnt lgkmcnt(0)
	v_mul_f32_e32 v16, v1, v68
	v_mul_f32_e32 v17, v1, v66
	;; [unrolled: 1-line block ×7, first 2 shown]
	v_fmac_f32_e32 v16, v2, v67
	v_fmac_f32_e32 v17, v2, v65
	;; [unrolled: 1-line block ×14, first 2 shown]
	v_add_nc_u32_e32 v29, 4, v29
	v_fmac_f32_e32 v16, v4, v23
	v_fmac_f32_e32 v17, v4, v63
	;; [unrolled: 1-line block ×7, first 2 shown]
	v_cmp_le_i32_e32 vcc_lo, s11, v29
	v_add_co_u32 v9, s0, v9, 16
	v_add_f32_e32 v31, v31, v16
	v_add_f32_e32 v32, v32, v17
	;; [unrolled: 1-line block ×7, first 2 shown]
	v_add_nc_u32_e32 v37, 32, v37
	v_add_nc_u32_e32 v30, 0x80, v30
	v_add_co_ci_u32_e64 v10, null, 0, v10, s0
	s_or_b32 s5, vcc_lo, s5
	s_andn2_b32 exec_lo, exec_lo, s5
	s_cbranch_execz .LBB202_495
.LBB202_257:                            ; =>This Inner Loop Header: Depth=1
	global_load_dword v1, v[9:10], off
	v_mov_b32_e32 v19, 0
	v_mov_b32_e32 v17, 0
	;; [unrolled: 1-line block ×4, first 2 shown]
	s_waitcnt vmcnt(0)
	v_mad_i64_i32 v[15:16], null, v1, s4, v[7:8]
	ds_read_b128 v[1:4], v30
	global_load_dword v44, v[15:16], off
	s_waitcnt vmcnt(0)
	v_cmp_ne_u16_sdwa s9, v44, v6 src0_sel:BYTE_0 src1_sel:DWORD
	s_and_saveexec_b32 s0, s9
	s_cbranch_execz .LBB202_265
; %bb.258:                              ;   in Loop: Header=BB202_257 Depth=1
	v_bfrev_b32_e32 v17, 1
	v_mov_b32_e32 v18, 0
	v_cmp_ne_u16_sdwa s13, v44, v38 src0_sel:BYTE_0 src1_sel:DWORD
	s_and_saveexec_b32 s9, s13
	s_cbranch_execz .LBB202_264
; %bb.259:                              ;   in Loop: Header=BB202_257 Depth=1
	v_mov_b32_e32 v17, 0x7f800001
	v_and_b32_e32 v13, 0x7f, v44
	v_mov_b32_e32 v18, 0
	s_mov_b32 s13, exec_lo
	v_cmpx_ne_u32_e32 0x7f, v13
	s_cbranch_execz .LBB202_263
; %bb.260:                              ;   in Loop: Header=BB202_257 Depth=1
	v_and_b32_e32 v5, 7, v44
	v_lshrrev_b32_e32 v11, 3, v13
	s_mov_b32 s14, exec_lo
	v_cmpx_gt_u32_e32 8, v13
; %bb.261:                              ;   in Loop: Header=BB202_257 Depth=1
	v_ffbh_u32_e32 v11, v5
	v_min_u32_e32 v11, 32, v11
	v_subrev_nc_u32_e32 v13, 28, v11
	v_sub_nc_u32_e32 v11, 29, v11
	v_lshlrev_b64 v[17:18], v13, v[5:6]
	v_and_b32_e32 v5, 7, v17
; %bb.262:                              ;   in Loop: Header=BB202_257 Depth=1
	s_or_b32 exec_lo, exec_lo, s14
	v_lshlrev_b32_e32 v13, 24, v44
	v_lshlrev_b32_e32 v5, 20, v5
	v_lshl_add_u32 v11, v11, 23, 0x3c000000
	v_and_b32_e32 v13, 0x80000000, v13
	v_or3_b32 v5, v5, v13, v11
	v_mov_b32_e32 v18, v6
	v_mov_b32_e32 v17, v5
.LBB202_263:                            ;   in Loop: Header=BB202_257 Depth=1
	s_or_b32 exec_lo, exec_lo, s13
.LBB202_264:                            ;   in Loop: Header=BB202_257 Depth=1
	s_or_b32 exec_lo, exec_lo, s9
.LBB202_265:                            ;   in Loop: Header=BB202_257 Depth=1
	s_or_b32 exec_lo, exec_lo, s0
	v_cmp_ne_u16_sdwa s9, v44, v6 src0_sel:BYTE_1 src1_sel:DWORD
	s_and_saveexec_b32 s0, s9
	s_cbranch_execz .LBB202_273
; %bb.266:                              ;   in Loop: Header=BB202_257 Depth=1
	v_mov_b32_e32 v11, v6
	v_mov_b32_e32 v20, v12
	v_cmp_ne_u16_sdwa s13, v44, v38 src0_sel:BYTE_1 src1_sel:DWORD
	v_mov_b32_e32 v19, v11
	s_and_saveexec_b32 s9, s13
	s_cbranch_execz .LBB202_272
; %bb.267:                              ;   in Loop: Header=BB202_257 Depth=1
	v_and_b32_sdwa v5, v40, v44 dst_sel:DWORD dst_unused:UNUSED_PAD src0_sel:DWORD src1_sel:BYTE_1
	v_mov_b32_e32 v13, v6
	v_mov_b32_e32 v20, v14
	s_mov_b32 s13, exec_lo
	v_and_b32_e32 v21, 0x7f, v5
	v_mov_b32_e32 v19, v13
	v_cmpx_ne_u32_e32 0x7f, v21
	s_cbranch_execz .LBB202_271
; %bb.268:                              ;   in Loop: Header=BB202_257 Depth=1
	v_and_b32_e32 v5, 7, v5
	v_lshrrev_b32_e32 v11, 3, v21
	s_mov_b32 s14, exec_lo
	v_cmpx_gt_u32_e32 8, v21
; %bb.269:                              ;   in Loop: Header=BB202_257 Depth=1
	v_ffbh_u32_e32 v11, v5
	v_min_u32_e32 v11, 32, v11
	v_subrev_nc_u32_e32 v13, 28, v11
	v_sub_nc_u32_e32 v11, 29, v11
	v_lshlrev_b64 v[19:20], v13, v[5:6]
	v_and_b32_e32 v5, 7, v19
; %bb.270:                              ;   in Loop: Header=BB202_257 Depth=1
	s_or_b32 exec_lo, exec_lo, s14
	v_lshlrev_b32_e32 v13, 16, v44
	v_lshlrev_b32_e32 v5, 20, v5
	v_lshl_add_u32 v11, v11, 23, 0x3c000000
	v_mov_b32_e32 v19, v6
	v_and_b32_e32 v13, 0x80000000, v13
	v_or3_b32 v20, v5, v13, v11
.LBB202_271:                            ;   in Loop: Header=BB202_257 Depth=1
	s_or_b32 exec_lo, exec_lo, s13
.LBB202_272:                            ;   in Loop: Header=BB202_257 Depth=1
	s_or_b32 exec_lo, exec_lo, s9
.LBB202_273:                            ;   in Loop: Header=BB202_257 Depth=1
	s_or_b32 exec_lo, exec_lo, s0
	v_mov_b32_e32 v23, 0
	v_mov_b32_e32 v21, 0
	v_and_b32_sdwa v5, v44, v41 dst_sel:DWORD dst_unused:UNUSED_PAD src0_sel:WORD_1 src1_sel:DWORD
	v_mov_b32_e32 v24, 0
	v_mov_b32_e32 v22, 0
	s_mov_b32 s0, exec_lo
	v_cmpx_ne_u16_e32 0, v5
	s_cbranch_execz .LBB202_281
; %bb.274:                              ;   in Loop: Header=BB202_257 Depth=1
	v_bfrev_b32_e32 v21, 1
	v_mov_b32_e32 v22, 0
	s_mov_b32 s9, exec_lo
	v_cmpx_ne_u16_e32 0x80, v5
	s_cbranch_execz .LBB202_280
; %bb.275:                              ;   in Loop: Header=BB202_257 Depth=1
	v_mov_b32_e32 v21, 0x7f800001
	v_bfe_u32 v13, v44, 16, 7
	v_mov_b32_e32 v22, 0
	s_mov_b32 s13, exec_lo
	v_cmpx_ne_u32_e32 0x7f, v13
	s_cbranch_execz .LBB202_279
; %bb.276:                              ;   in Loop: Header=BB202_257 Depth=1
	v_and_b32_sdwa v5, v44, v42 dst_sel:DWORD dst_unused:UNUSED_PAD src0_sel:WORD_1 src1_sel:DWORD
	v_lshrrev_b32_e32 v11, 3, v13
	s_mov_b32 s14, exec_lo
	v_cmpx_gt_u32_e32 8, v13
; %bb.277:                              ;   in Loop: Header=BB202_257 Depth=1
	v_ffbh_u32_e32 v11, v5
	v_min_u32_e32 v11, 32, v11
	v_subrev_nc_u32_e32 v13, 28, v11
	v_sub_nc_u32_e32 v11, 29, v11
	v_lshlrev_b64 v[21:22], v13, v[5:6]
	v_and_b32_e32 v5, 7, v21
; %bb.278:                              ;   in Loop: Header=BB202_257 Depth=1
	s_or_b32 exec_lo, exec_lo, s14
	v_lshlrev_b32_sdwa v13, v43, v44 dst_sel:DWORD dst_unused:UNUSED_PAD src0_sel:DWORD src1_sel:WORD_1
	v_lshlrev_b32_e32 v5, 20, v5
	v_lshl_add_u32 v11, v11, 23, 0x3c000000
	v_and_b32_e32 v13, 0x80000000, v13
	v_or3_b32 v5, v5, v13, v11
	v_mov_b32_e32 v22, v6
	v_mov_b32_e32 v21, v5
.LBB202_279:                            ;   in Loop: Header=BB202_257 Depth=1
	s_or_b32 exec_lo, exec_lo, s13
.LBB202_280:                            ;   in Loop: Header=BB202_257 Depth=1
	s_or_b32 exec_lo, exec_lo, s9
.LBB202_281:                            ;   in Loop: Header=BB202_257 Depth=1
	s_or_b32 exec_lo, exec_lo, s0
	s_mov_b32 s0, exec_lo
	v_cmpx_lt_u32_e32 0xffffff, v44
	s_cbranch_execz .LBB202_289
; %bb.282:                              ;   in Loop: Header=BB202_257 Depth=1
	v_mov_b32_e32 v11, v6
	v_mov_b32_e32 v24, v12
	v_cmp_ne_u32_sdwa s13, v44, v38 src0_sel:BYTE_3 src1_sel:DWORD
	v_mov_b32_e32 v23, v11
	s_and_saveexec_b32 s9, s13
	s_cbranch_execz .LBB202_288
; %bb.283:                              ;   in Loop: Header=BB202_257 Depth=1
	v_mov_b32_e32 v13, v6
	v_mov_b32_e32 v24, v14
	v_bfe_u32 v45, v44, 24, 7
	s_mov_b32 s13, exec_lo
	v_mov_b32_e32 v23, v13
	v_cmpx_ne_u32_e32 0x7f, v45
	s_cbranch_execz .LBB202_287
; %bb.284:                              ;   in Loop: Header=BB202_257 Depth=1
	v_and_b32_sdwa v5, v44, v42 dst_sel:DWORD dst_unused:UNUSED_PAD src0_sel:BYTE_3 src1_sel:DWORD
	v_lshrrev_b32_e32 v11, 3, v45
	s_mov_b32 s14, exec_lo
	v_cmpx_gt_u32_e32 8, v45
; %bb.285:                              ;   in Loop: Header=BB202_257 Depth=1
	v_ffbh_u32_e32 v11, v5
	v_min_u32_e32 v11, 32, v11
	v_subrev_nc_u32_e32 v13, 28, v11
	v_sub_nc_u32_e32 v11, 29, v11
	v_lshlrev_b64 v[23:24], v13, v[5:6]
	v_and_b32_e32 v5, 7, v23
; %bb.286:                              ;   in Loop: Header=BB202_257 Depth=1
	s_or_b32 exec_lo, exec_lo, s14
	v_lshlrev_b32_sdwa v13, v43, v44 dst_sel:DWORD dst_unused:UNUSED_PAD src0_sel:DWORD src1_sel:BYTE_3
	v_lshlrev_b32_e32 v5, 20, v5
	v_lshl_add_u32 v11, v11, 23, 0x3c000000
	v_mov_b32_e32 v23, v6
	v_and_b32_e32 v13, 0x80000000, v13
	v_or3_b32 v24, v5, v13, v11
.LBB202_287:                            ;   in Loop: Header=BB202_257 Depth=1
	s_or_b32 exec_lo, exec_lo, s13
.LBB202_288:                            ;   in Loop: Header=BB202_257 Depth=1
	s_or_b32 exec_lo, exec_lo, s9
.LBB202_289:                            ;   in Loop: Header=BB202_257 Depth=1
	s_or_b32 exec_lo, exec_lo, s0
	v_or_b32_e32 v5, v20, v18
	v_or_b32_e32 v11, v19, v17
	;; [unrolled: 1-line block ×4, first 2 shown]
	v_add_nc_u32_e32 v48, -3, v37
	v_cmp_eq_u32_e32 vcc_lo, s12, v29
	v_mul_f32_e32 v46, s6, v5
	v_mul_f32_e32 v47, s3, v11
	;; [unrolled: 1-line block ×4, first 2 shown]
	v_add_nc_u32_e32 v50, -2, v37
	v_add_nc_u32_e32 v49, -1, v37
	s_and_saveexec_b32 s9, vcc_lo
	s_cbranch_execz .LBB202_291
; %bb.290:                              ;   in Loop: Header=BB202_257 Depth=1
	v_cmp_gt_i32_e64 s0, s27, v48
	v_cndmask_b32_e64 v47, 0, v47, s0
	v_cmp_gt_i32_e64 s0, s27, v50
	v_cndmask_b32_e64 v46, 0, v46, s0
	;; [unrolled: 2-line block ×4, first 2 shown]
.LBB202_291:                            ;   in Loop: Header=BB202_257 Depth=1
	s_or_b32 exec_lo, exec_lo, s9
	global_load_dword v51, v[15:16], off offset:128
	v_mov_b32_e32 v19, 0
	v_mov_b32_e32 v17, 0
	;; [unrolled: 1-line block ×4, first 2 shown]
	s_waitcnt vmcnt(0)
	v_cmp_ne_u16_sdwa s0, v51, v6 src0_sel:BYTE_0 src1_sel:DWORD
	s_and_saveexec_b32 s9, s0
	s_cbranch_execz .LBB202_299
; %bb.292:                              ;   in Loop: Header=BB202_257 Depth=1
	v_bfrev_b32_e32 v17, 1
	v_mov_b32_e32 v18, 0
	v_cmp_ne_u16_sdwa s0, v51, v38 src0_sel:BYTE_0 src1_sel:DWORD
	s_and_saveexec_b32 s13, s0
	s_cbranch_execz .LBB202_298
; %bb.293:                              ;   in Loop: Header=BB202_257 Depth=1
	v_mov_b32_e32 v17, 0x7f800001
	v_and_b32_e32 v13, 0x7f, v51
	v_mov_b32_e32 v18, 0
	s_mov_b32 s14, exec_lo
	v_cmpx_ne_u32_e32 0x7f, v13
	s_cbranch_execz .LBB202_297
; %bb.294:                              ;   in Loop: Header=BB202_257 Depth=1
	v_and_b32_e32 v5, 7, v51
	v_lshrrev_b32_e32 v11, 3, v13
	s_mov_b32 s15, exec_lo
	v_cmpx_gt_u32_e32 8, v13
; %bb.295:                              ;   in Loop: Header=BB202_257 Depth=1
	v_ffbh_u32_e32 v11, v5
	v_min_u32_e32 v11, 32, v11
	v_subrev_nc_u32_e32 v13, 28, v11
	v_sub_nc_u32_e32 v11, 29, v11
	v_lshlrev_b64 v[17:18], v13, v[5:6]
	v_and_b32_e32 v5, 7, v17
; %bb.296:                              ;   in Loop: Header=BB202_257 Depth=1
	s_or_b32 exec_lo, exec_lo, s15
	v_lshlrev_b32_e32 v13, 24, v51
	v_lshlrev_b32_e32 v5, 20, v5
	v_lshl_add_u32 v11, v11, 23, 0x3c000000
	v_and_b32_e32 v13, 0x80000000, v13
	v_or3_b32 v5, v5, v13, v11
	v_mov_b32_e32 v18, v6
	v_mov_b32_e32 v17, v5
.LBB202_297:                            ;   in Loop: Header=BB202_257 Depth=1
	s_or_b32 exec_lo, exec_lo, s14
.LBB202_298:                            ;   in Loop: Header=BB202_257 Depth=1
	s_or_b32 exec_lo, exec_lo, s13
.LBB202_299:                            ;   in Loop: Header=BB202_257 Depth=1
	s_or_b32 exec_lo, exec_lo, s9
	v_cmp_ne_u16_sdwa s0, v51, v6 src0_sel:BYTE_1 src1_sel:DWORD
	s_and_saveexec_b32 s9, s0
	s_cbranch_execz .LBB202_307
; %bb.300:                              ;   in Loop: Header=BB202_257 Depth=1
	v_mov_b32_e32 v11, v6
	v_mov_b32_e32 v20, v12
	v_cmp_ne_u16_sdwa s0, v51, v38 src0_sel:BYTE_1 src1_sel:DWORD
	v_mov_b32_e32 v19, v11
	s_and_saveexec_b32 s13, s0
	s_cbranch_execz .LBB202_306
; %bb.301:                              ;   in Loop: Header=BB202_257 Depth=1
	v_and_b32_sdwa v5, v40, v51 dst_sel:DWORD dst_unused:UNUSED_PAD src0_sel:DWORD src1_sel:BYTE_1
	v_mov_b32_e32 v13, v6
	v_mov_b32_e32 v20, v14
	s_mov_b32 s14, exec_lo
	v_and_b32_e32 v21, 0x7f, v5
	v_mov_b32_e32 v19, v13
	v_cmpx_ne_u32_e32 0x7f, v21
	s_cbranch_execz .LBB202_305
; %bb.302:                              ;   in Loop: Header=BB202_257 Depth=1
	v_and_b32_e32 v5, 7, v5
	v_lshrrev_b32_e32 v11, 3, v21
	s_mov_b32 s15, exec_lo
	v_cmpx_gt_u32_e32 8, v21
; %bb.303:                              ;   in Loop: Header=BB202_257 Depth=1
	v_ffbh_u32_e32 v11, v5
	v_min_u32_e32 v11, 32, v11
	v_subrev_nc_u32_e32 v13, 28, v11
	v_sub_nc_u32_e32 v11, 29, v11
	v_lshlrev_b64 v[19:20], v13, v[5:6]
	v_and_b32_e32 v5, 7, v19
; %bb.304:                              ;   in Loop: Header=BB202_257 Depth=1
	s_or_b32 exec_lo, exec_lo, s15
	v_lshlrev_b32_e32 v13, 16, v51
	v_lshlrev_b32_e32 v5, 20, v5
	v_lshl_add_u32 v11, v11, 23, 0x3c000000
	v_mov_b32_e32 v19, v6
	v_and_b32_e32 v13, 0x80000000, v13
	v_or3_b32 v20, v5, v13, v11
.LBB202_305:                            ;   in Loop: Header=BB202_257 Depth=1
	s_or_b32 exec_lo, exec_lo, s14
.LBB202_306:                            ;   in Loop: Header=BB202_257 Depth=1
	s_or_b32 exec_lo, exec_lo, s13
.LBB202_307:                            ;   in Loop: Header=BB202_257 Depth=1
	s_or_b32 exec_lo, exec_lo, s9
	v_mov_b32_e32 v23, 0
	v_mov_b32_e32 v21, 0
	v_and_b32_sdwa v5, v51, v41 dst_sel:DWORD dst_unused:UNUSED_PAD src0_sel:WORD_1 src1_sel:DWORD
	v_mov_b32_e32 v24, 0
	v_mov_b32_e32 v22, 0
	s_mov_b32 s9, exec_lo
	v_cmpx_ne_u16_e32 0, v5
	s_cbranch_execz .LBB202_315
; %bb.308:                              ;   in Loop: Header=BB202_257 Depth=1
	v_bfrev_b32_e32 v21, 1
	v_mov_b32_e32 v22, 0
	s_mov_b32 s13, exec_lo
	v_cmpx_ne_u16_e32 0x80, v5
	s_cbranch_execz .LBB202_314
; %bb.309:                              ;   in Loop: Header=BB202_257 Depth=1
	v_mov_b32_e32 v21, 0x7f800001
	v_bfe_u32 v13, v51, 16, 7
	v_mov_b32_e32 v22, 0
	s_mov_b32 s14, exec_lo
	v_cmpx_ne_u32_e32 0x7f, v13
	s_cbranch_execz .LBB202_313
; %bb.310:                              ;   in Loop: Header=BB202_257 Depth=1
	v_and_b32_sdwa v5, v51, v42 dst_sel:DWORD dst_unused:UNUSED_PAD src0_sel:WORD_1 src1_sel:DWORD
	v_lshrrev_b32_e32 v11, 3, v13
	s_mov_b32 s15, exec_lo
	v_cmpx_gt_u32_e32 8, v13
; %bb.311:                              ;   in Loop: Header=BB202_257 Depth=1
	v_ffbh_u32_e32 v11, v5
	v_min_u32_e32 v11, 32, v11
	v_subrev_nc_u32_e32 v13, 28, v11
	v_sub_nc_u32_e32 v11, 29, v11
	v_lshlrev_b64 v[21:22], v13, v[5:6]
	v_and_b32_e32 v5, 7, v21
; %bb.312:                              ;   in Loop: Header=BB202_257 Depth=1
	s_or_b32 exec_lo, exec_lo, s15
	v_lshlrev_b32_sdwa v13, v43, v51 dst_sel:DWORD dst_unused:UNUSED_PAD src0_sel:DWORD src1_sel:WORD_1
	v_lshlrev_b32_e32 v5, 20, v5
	v_lshl_add_u32 v11, v11, 23, 0x3c000000
	v_and_b32_e32 v13, 0x80000000, v13
	v_or3_b32 v5, v5, v13, v11
	v_mov_b32_e32 v22, v6
	v_mov_b32_e32 v21, v5
.LBB202_313:                            ;   in Loop: Header=BB202_257 Depth=1
	s_or_b32 exec_lo, exec_lo, s14
.LBB202_314:                            ;   in Loop: Header=BB202_257 Depth=1
	s_or_b32 exec_lo, exec_lo, s13
.LBB202_315:                            ;   in Loop: Header=BB202_257 Depth=1
	s_or_b32 exec_lo, exec_lo, s9
	s_mov_b32 s9, exec_lo
	v_cmpx_lt_u32_e32 0xffffff, v51
	s_cbranch_execz .LBB202_323
; %bb.316:                              ;   in Loop: Header=BB202_257 Depth=1
	v_mov_b32_e32 v11, v6
	v_mov_b32_e32 v24, v12
	v_cmp_ne_u32_sdwa s0, v51, v38 src0_sel:BYTE_3 src1_sel:DWORD
	v_mov_b32_e32 v23, v11
	s_and_saveexec_b32 s13, s0
	s_cbranch_execz .LBB202_322
; %bb.317:                              ;   in Loop: Header=BB202_257 Depth=1
	v_mov_b32_e32 v13, v6
	v_mov_b32_e32 v24, v14
	v_bfe_u32 v52, v51, 24, 7
	s_mov_b32 s14, exec_lo
	v_mov_b32_e32 v23, v13
	v_cmpx_ne_u32_e32 0x7f, v52
	s_cbranch_execz .LBB202_321
; %bb.318:                              ;   in Loop: Header=BB202_257 Depth=1
	v_and_b32_sdwa v5, v51, v42 dst_sel:DWORD dst_unused:UNUSED_PAD src0_sel:BYTE_3 src1_sel:DWORD
	v_lshrrev_b32_e32 v11, 3, v52
	s_mov_b32 s15, exec_lo
	v_cmpx_gt_u32_e32 8, v52
; %bb.319:                              ;   in Loop: Header=BB202_257 Depth=1
	v_ffbh_u32_e32 v11, v5
	v_min_u32_e32 v11, 32, v11
	v_subrev_nc_u32_e32 v13, 28, v11
	v_sub_nc_u32_e32 v11, 29, v11
	v_lshlrev_b64 v[23:24], v13, v[5:6]
	v_and_b32_e32 v5, 7, v23
; %bb.320:                              ;   in Loop: Header=BB202_257 Depth=1
	s_or_b32 exec_lo, exec_lo, s15
	v_lshlrev_b32_sdwa v13, v43, v51 dst_sel:DWORD dst_unused:UNUSED_PAD src0_sel:DWORD src1_sel:BYTE_3
	v_lshlrev_b32_e32 v5, 20, v5
	v_lshl_add_u32 v11, v11, 23, 0x3c000000
	v_mov_b32_e32 v23, v6
	v_and_b32_e32 v13, 0x80000000, v13
	v_or3_b32 v24, v5, v13, v11
.LBB202_321:                            ;   in Loop: Header=BB202_257 Depth=1
	s_or_b32 exec_lo, exec_lo, s14
.LBB202_322:                            ;   in Loop: Header=BB202_257 Depth=1
	s_or_b32 exec_lo, exec_lo, s13
.LBB202_323:                            ;   in Loop: Header=BB202_257 Depth=1
	s_or_b32 exec_lo, exec_lo, s9
	v_or_b32_e32 v5, v20, v18
	v_or_b32_e32 v11, v19, v17
	;; [unrolled: 1-line block ×4, first 2 shown]
	v_mul_f32_e32 v53, s6, v5
	v_mul_f32_e32 v54, s3, v11
	;; [unrolled: 1-line block ×4, first 2 shown]
	s_and_saveexec_b32 s9, vcc_lo
	s_cbranch_execz .LBB202_325
; %bb.324:                              ;   in Loop: Header=BB202_257 Depth=1
	v_cmp_gt_i32_e64 s0, s27, v48
	v_cndmask_b32_e64 v54, 0, v54, s0
	v_cmp_gt_i32_e64 s0, s27, v50
	v_cndmask_b32_e64 v53, 0, v53, s0
	;; [unrolled: 2-line block ×4, first 2 shown]
.LBB202_325:                            ;   in Loop: Header=BB202_257 Depth=1
	s_or_b32 exec_lo, exec_lo, s9
	global_load_dword v55, v[15:16], off offset:256
	v_mov_b32_e32 v19, 0
	v_mov_b32_e32 v17, 0
	;; [unrolled: 1-line block ×4, first 2 shown]
	s_waitcnt vmcnt(0)
	v_cmp_ne_u16_sdwa s0, v55, v6 src0_sel:BYTE_0 src1_sel:DWORD
	s_and_saveexec_b32 s9, s0
	s_cbranch_execz .LBB202_333
; %bb.326:                              ;   in Loop: Header=BB202_257 Depth=1
	v_bfrev_b32_e32 v17, 1
	v_mov_b32_e32 v18, 0
	v_cmp_ne_u16_sdwa s0, v55, v38 src0_sel:BYTE_0 src1_sel:DWORD
	s_and_saveexec_b32 s13, s0
	s_cbranch_execz .LBB202_332
; %bb.327:                              ;   in Loop: Header=BB202_257 Depth=1
	v_mov_b32_e32 v17, 0x7f800001
	v_and_b32_e32 v13, 0x7f, v55
	v_mov_b32_e32 v18, 0
	s_mov_b32 s14, exec_lo
	v_cmpx_ne_u32_e32 0x7f, v13
	s_cbranch_execz .LBB202_331
; %bb.328:                              ;   in Loop: Header=BB202_257 Depth=1
	v_and_b32_e32 v5, 7, v55
	v_lshrrev_b32_e32 v11, 3, v13
	s_mov_b32 s15, exec_lo
	v_cmpx_gt_u32_e32 8, v13
; %bb.329:                              ;   in Loop: Header=BB202_257 Depth=1
	v_ffbh_u32_e32 v11, v5
	v_min_u32_e32 v11, 32, v11
	v_subrev_nc_u32_e32 v13, 28, v11
	v_sub_nc_u32_e32 v11, 29, v11
	v_lshlrev_b64 v[17:18], v13, v[5:6]
	v_and_b32_e32 v5, 7, v17
; %bb.330:                              ;   in Loop: Header=BB202_257 Depth=1
	s_or_b32 exec_lo, exec_lo, s15
	v_lshlrev_b32_e32 v13, 24, v55
	v_lshlrev_b32_e32 v5, 20, v5
	v_lshl_add_u32 v11, v11, 23, 0x3c000000
	v_and_b32_e32 v13, 0x80000000, v13
	v_or3_b32 v5, v5, v13, v11
	v_mov_b32_e32 v18, v6
	v_mov_b32_e32 v17, v5
.LBB202_331:                            ;   in Loop: Header=BB202_257 Depth=1
	s_or_b32 exec_lo, exec_lo, s14
.LBB202_332:                            ;   in Loop: Header=BB202_257 Depth=1
	s_or_b32 exec_lo, exec_lo, s13
.LBB202_333:                            ;   in Loop: Header=BB202_257 Depth=1
	s_or_b32 exec_lo, exec_lo, s9
	v_cmp_ne_u16_sdwa s0, v55, v6 src0_sel:BYTE_1 src1_sel:DWORD
	s_and_saveexec_b32 s9, s0
	s_cbranch_execz .LBB202_341
; %bb.334:                              ;   in Loop: Header=BB202_257 Depth=1
	v_mov_b32_e32 v11, v6
	v_mov_b32_e32 v20, v12
	v_cmp_ne_u16_sdwa s0, v55, v38 src0_sel:BYTE_1 src1_sel:DWORD
	v_mov_b32_e32 v19, v11
	s_and_saveexec_b32 s13, s0
	s_cbranch_execz .LBB202_340
; %bb.335:                              ;   in Loop: Header=BB202_257 Depth=1
	v_and_b32_sdwa v5, v40, v55 dst_sel:DWORD dst_unused:UNUSED_PAD src0_sel:DWORD src1_sel:BYTE_1
	v_mov_b32_e32 v13, v6
	v_mov_b32_e32 v20, v14
	s_mov_b32 s14, exec_lo
	v_and_b32_e32 v21, 0x7f, v5
	v_mov_b32_e32 v19, v13
	v_cmpx_ne_u32_e32 0x7f, v21
	s_cbranch_execz .LBB202_339
; %bb.336:                              ;   in Loop: Header=BB202_257 Depth=1
	v_and_b32_e32 v5, 7, v5
	v_lshrrev_b32_e32 v11, 3, v21
	s_mov_b32 s15, exec_lo
	v_cmpx_gt_u32_e32 8, v21
; %bb.337:                              ;   in Loop: Header=BB202_257 Depth=1
	v_ffbh_u32_e32 v11, v5
	v_min_u32_e32 v11, 32, v11
	v_subrev_nc_u32_e32 v13, 28, v11
	v_sub_nc_u32_e32 v11, 29, v11
	v_lshlrev_b64 v[19:20], v13, v[5:6]
	v_and_b32_e32 v5, 7, v19
; %bb.338:                              ;   in Loop: Header=BB202_257 Depth=1
	s_or_b32 exec_lo, exec_lo, s15
	v_lshlrev_b32_e32 v13, 16, v55
	v_lshlrev_b32_e32 v5, 20, v5
	v_lshl_add_u32 v11, v11, 23, 0x3c000000
	v_mov_b32_e32 v19, v6
	v_and_b32_e32 v13, 0x80000000, v13
	v_or3_b32 v20, v5, v13, v11
.LBB202_339:                            ;   in Loop: Header=BB202_257 Depth=1
	s_or_b32 exec_lo, exec_lo, s14
.LBB202_340:                            ;   in Loop: Header=BB202_257 Depth=1
	s_or_b32 exec_lo, exec_lo, s13
.LBB202_341:                            ;   in Loop: Header=BB202_257 Depth=1
	s_or_b32 exec_lo, exec_lo, s9
	v_mov_b32_e32 v23, 0
	v_mov_b32_e32 v21, 0
	v_and_b32_sdwa v5, v55, v41 dst_sel:DWORD dst_unused:UNUSED_PAD src0_sel:WORD_1 src1_sel:DWORD
	v_mov_b32_e32 v24, 0
	v_mov_b32_e32 v22, 0
	s_mov_b32 s9, exec_lo
	v_cmpx_ne_u16_e32 0, v5
	s_cbranch_execz .LBB202_349
; %bb.342:                              ;   in Loop: Header=BB202_257 Depth=1
	v_bfrev_b32_e32 v21, 1
	v_mov_b32_e32 v22, 0
	s_mov_b32 s13, exec_lo
	v_cmpx_ne_u16_e32 0x80, v5
	s_cbranch_execz .LBB202_348
; %bb.343:                              ;   in Loop: Header=BB202_257 Depth=1
	v_mov_b32_e32 v21, 0x7f800001
	v_bfe_u32 v13, v55, 16, 7
	v_mov_b32_e32 v22, 0
	s_mov_b32 s14, exec_lo
	v_cmpx_ne_u32_e32 0x7f, v13
	s_cbranch_execz .LBB202_347
; %bb.344:                              ;   in Loop: Header=BB202_257 Depth=1
	v_and_b32_sdwa v5, v55, v42 dst_sel:DWORD dst_unused:UNUSED_PAD src0_sel:WORD_1 src1_sel:DWORD
	v_lshrrev_b32_e32 v11, 3, v13
	s_mov_b32 s15, exec_lo
	v_cmpx_gt_u32_e32 8, v13
; %bb.345:                              ;   in Loop: Header=BB202_257 Depth=1
	v_ffbh_u32_e32 v11, v5
	v_min_u32_e32 v11, 32, v11
	v_subrev_nc_u32_e32 v13, 28, v11
	v_sub_nc_u32_e32 v11, 29, v11
	v_lshlrev_b64 v[21:22], v13, v[5:6]
	v_and_b32_e32 v5, 7, v21
; %bb.346:                              ;   in Loop: Header=BB202_257 Depth=1
	s_or_b32 exec_lo, exec_lo, s15
	v_lshlrev_b32_sdwa v13, v43, v55 dst_sel:DWORD dst_unused:UNUSED_PAD src0_sel:DWORD src1_sel:WORD_1
	v_lshlrev_b32_e32 v5, 20, v5
	v_lshl_add_u32 v11, v11, 23, 0x3c000000
	v_and_b32_e32 v13, 0x80000000, v13
	v_or3_b32 v5, v5, v13, v11
	v_mov_b32_e32 v22, v6
	v_mov_b32_e32 v21, v5
.LBB202_347:                            ;   in Loop: Header=BB202_257 Depth=1
	s_or_b32 exec_lo, exec_lo, s14
.LBB202_348:                            ;   in Loop: Header=BB202_257 Depth=1
	s_or_b32 exec_lo, exec_lo, s13
.LBB202_349:                            ;   in Loop: Header=BB202_257 Depth=1
	s_or_b32 exec_lo, exec_lo, s9
	s_mov_b32 s9, exec_lo
	v_cmpx_lt_u32_e32 0xffffff, v55
	s_cbranch_execz .LBB202_357
; %bb.350:                              ;   in Loop: Header=BB202_257 Depth=1
	v_mov_b32_e32 v11, v6
	v_mov_b32_e32 v24, v12
	v_cmp_ne_u32_sdwa s0, v55, v38 src0_sel:BYTE_3 src1_sel:DWORD
	v_mov_b32_e32 v23, v11
	s_and_saveexec_b32 s13, s0
	s_cbranch_execz .LBB202_356
; %bb.351:                              ;   in Loop: Header=BB202_257 Depth=1
	v_mov_b32_e32 v13, v6
	v_mov_b32_e32 v24, v14
	v_bfe_u32 v56, v55, 24, 7
	s_mov_b32 s14, exec_lo
	v_mov_b32_e32 v23, v13
	v_cmpx_ne_u32_e32 0x7f, v56
	s_cbranch_execz .LBB202_355
; %bb.352:                              ;   in Loop: Header=BB202_257 Depth=1
	v_and_b32_sdwa v5, v55, v42 dst_sel:DWORD dst_unused:UNUSED_PAD src0_sel:BYTE_3 src1_sel:DWORD
	v_lshrrev_b32_e32 v11, 3, v56
	s_mov_b32 s15, exec_lo
	v_cmpx_gt_u32_e32 8, v56
; %bb.353:                              ;   in Loop: Header=BB202_257 Depth=1
	v_ffbh_u32_e32 v11, v5
	v_min_u32_e32 v11, 32, v11
	v_subrev_nc_u32_e32 v13, 28, v11
	v_sub_nc_u32_e32 v11, 29, v11
	v_lshlrev_b64 v[23:24], v13, v[5:6]
	v_and_b32_e32 v5, 7, v23
; %bb.354:                              ;   in Loop: Header=BB202_257 Depth=1
	s_or_b32 exec_lo, exec_lo, s15
	v_lshlrev_b32_sdwa v13, v43, v55 dst_sel:DWORD dst_unused:UNUSED_PAD src0_sel:DWORD src1_sel:BYTE_3
	v_lshlrev_b32_e32 v5, 20, v5
	v_lshl_add_u32 v11, v11, 23, 0x3c000000
	v_mov_b32_e32 v23, v6
	v_and_b32_e32 v13, 0x80000000, v13
	v_or3_b32 v24, v5, v13, v11
.LBB202_355:                            ;   in Loop: Header=BB202_257 Depth=1
	s_or_b32 exec_lo, exec_lo, s14
.LBB202_356:                            ;   in Loop: Header=BB202_257 Depth=1
	s_or_b32 exec_lo, exec_lo, s13
.LBB202_357:                            ;   in Loop: Header=BB202_257 Depth=1
	s_or_b32 exec_lo, exec_lo, s9
	v_or_b32_e32 v5, v20, v18
	v_or_b32_e32 v11, v19, v17
	;; [unrolled: 1-line block ×4, first 2 shown]
	v_mul_f32_e32 v57, s6, v5
	v_mul_f32_e32 v58, s3, v11
	;; [unrolled: 1-line block ×4, first 2 shown]
	s_and_saveexec_b32 s9, vcc_lo
	s_cbranch_execz .LBB202_359
; %bb.358:                              ;   in Loop: Header=BB202_257 Depth=1
	v_cmp_gt_i32_e64 s0, s27, v48
	v_cndmask_b32_e64 v58, 0, v58, s0
	v_cmp_gt_i32_e64 s0, s27, v50
	v_cndmask_b32_e64 v57, 0, v57, s0
	;; [unrolled: 2-line block ×4, first 2 shown]
.LBB202_359:                            ;   in Loop: Header=BB202_257 Depth=1
	s_or_b32 exec_lo, exec_lo, s9
	global_load_dword v59, v[15:16], off offset:384
	v_mov_b32_e32 v19, 0
	v_mov_b32_e32 v17, 0
	;; [unrolled: 1-line block ×4, first 2 shown]
	s_waitcnt vmcnt(0)
	v_cmp_ne_u16_sdwa s0, v59, v6 src0_sel:BYTE_0 src1_sel:DWORD
	s_and_saveexec_b32 s9, s0
	s_cbranch_execz .LBB202_367
; %bb.360:                              ;   in Loop: Header=BB202_257 Depth=1
	v_bfrev_b32_e32 v17, 1
	v_mov_b32_e32 v18, 0
	v_cmp_ne_u16_sdwa s0, v59, v38 src0_sel:BYTE_0 src1_sel:DWORD
	s_and_saveexec_b32 s13, s0
	s_cbranch_execz .LBB202_366
; %bb.361:                              ;   in Loop: Header=BB202_257 Depth=1
	v_mov_b32_e32 v17, 0x7f800001
	v_and_b32_e32 v13, 0x7f, v59
	v_mov_b32_e32 v18, 0
	s_mov_b32 s14, exec_lo
	v_cmpx_ne_u32_e32 0x7f, v13
	s_cbranch_execz .LBB202_365
; %bb.362:                              ;   in Loop: Header=BB202_257 Depth=1
	v_and_b32_e32 v5, 7, v59
	v_lshrrev_b32_e32 v11, 3, v13
	s_mov_b32 s15, exec_lo
	v_cmpx_gt_u32_e32 8, v13
; %bb.363:                              ;   in Loop: Header=BB202_257 Depth=1
	v_ffbh_u32_e32 v11, v5
	v_min_u32_e32 v11, 32, v11
	v_subrev_nc_u32_e32 v13, 28, v11
	v_sub_nc_u32_e32 v11, 29, v11
	v_lshlrev_b64 v[17:18], v13, v[5:6]
	v_and_b32_e32 v5, 7, v17
; %bb.364:                              ;   in Loop: Header=BB202_257 Depth=1
	s_or_b32 exec_lo, exec_lo, s15
	v_lshlrev_b32_e32 v13, 24, v59
	v_lshlrev_b32_e32 v5, 20, v5
	v_lshl_add_u32 v11, v11, 23, 0x3c000000
	v_and_b32_e32 v13, 0x80000000, v13
	v_or3_b32 v5, v5, v13, v11
	v_mov_b32_e32 v18, v6
	v_mov_b32_e32 v17, v5
.LBB202_365:                            ;   in Loop: Header=BB202_257 Depth=1
	s_or_b32 exec_lo, exec_lo, s14
.LBB202_366:                            ;   in Loop: Header=BB202_257 Depth=1
	s_or_b32 exec_lo, exec_lo, s13
.LBB202_367:                            ;   in Loop: Header=BB202_257 Depth=1
	s_or_b32 exec_lo, exec_lo, s9
	v_cmp_ne_u16_sdwa s0, v59, v6 src0_sel:BYTE_1 src1_sel:DWORD
	s_and_saveexec_b32 s9, s0
	s_cbranch_execz .LBB202_375
; %bb.368:                              ;   in Loop: Header=BB202_257 Depth=1
	v_mov_b32_e32 v11, v6
	v_mov_b32_e32 v20, v12
	v_cmp_ne_u16_sdwa s0, v59, v38 src0_sel:BYTE_1 src1_sel:DWORD
	v_mov_b32_e32 v19, v11
	s_and_saveexec_b32 s13, s0
	s_cbranch_execz .LBB202_374
; %bb.369:                              ;   in Loop: Header=BB202_257 Depth=1
	v_and_b32_sdwa v5, v40, v59 dst_sel:DWORD dst_unused:UNUSED_PAD src0_sel:DWORD src1_sel:BYTE_1
	v_mov_b32_e32 v13, v6
	v_mov_b32_e32 v20, v14
	s_mov_b32 s14, exec_lo
	v_and_b32_e32 v21, 0x7f, v5
	v_mov_b32_e32 v19, v13
	v_cmpx_ne_u32_e32 0x7f, v21
	s_cbranch_execz .LBB202_373
; %bb.370:                              ;   in Loop: Header=BB202_257 Depth=1
	v_and_b32_e32 v5, 7, v5
	v_lshrrev_b32_e32 v11, 3, v21
	s_mov_b32 s15, exec_lo
	v_cmpx_gt_u32_e32 8, v21
; %bb.371:                              ;   in Loop: Header=BB202_257 Depth=1
	v_ffbh_u32_e32 v11, v5
	v_min_u32_e32 v11, 32, v11
	v_subrev_nc_u32_e32 v13, 28, v11
	v_sub_nc_u32_e32 v11, 29, v11
	v_lshlrev_b64 v[19:20], v13, v[5:6]
	v_and_b32_e32 v5, 7, v19
; %bb.372:                              ;   in Loop: Header=BB202_257 Depth=1
	s_or_b32 exec_lo, exec_lo, s15
	v_lshlrev_b32_e32 v13, 16, v59
	v_lshlrev_b32_e32 v5, 20, v5
	v_lshl_add_u32 v11, v11, 23, 0x3c000000
	v_mov_b32_e32 v19, v6
	v_and_b32_e32 v13, 0x80000000, v13
	v_or3_b32 v20, v5, v13, v11
.LBB202_373:                            ;   in Loop: Header=BB202_257 Depth=1
	s_or_b32 exec_lo, exec_lo, s14
.LBB202_374:                            ;   in Loop: Header=BB202_257 Depth=1
	s_or_b32 exec_lo, exec_lo, s13
.LBB202_375:                            ;   in Loop: Header=BB202_257 Depth=1
	s_or_b32 exec_lo, exec_lo, s9
	v_mov_b32_e32 v23, 0
	v_mov_b32_e32 v21, 0
	v_and_b32_sdwa v5, v59, v41 dst_sel:DWORD dst_unused:UNUSED_PAD src0_sel:WORD_1 src1_sel:DWORD
	v_mov_b32_e32 v24, 0
	v_mov_b32_e32 v22, 0
	s_mov_b32 s9, exec_lo
	v_cmpx_ne_u16_e32 0, v5
	s_cbranch_execz .LBB202_383
; %bb.376:                              ;   in Loop: Header=BB202_257 Depth=1
	v_bfrev_b32_e32 v21, 1
	v_mov_b32_e32 v22, 0
	s_mov_b32 s13, exec_lo
	v_cmpx_ne_u16_e32 0x80, v5
	s_cbranch_execz .LBB202_382
; %bb.377:                              ;   in Loop: Header=BB202_257 Depth=1
	v_mov_b32_e32 v21, 0x7f800001
	v_bfe_u32 v13, v59, 16, 7
	v_mov_b32_e32 v22, 0
	s_mov_b32 s14, exec_lo
	v_cmpx_ne_u32_e32 0x7f, v13
	s_cbranch_execz .LBB202_381
; %bb.378:                              ;   in Loop: Header=BB202_257 Depth=1
	v_and_b32_sdwa v5, v59, v42 dst_sel:DWORD dst_unused:UNUSED_PAD src0_sel:WORD_1 src1_sel:DWORD
	v_lshrrev_b32_e32 v11, 3, v13
	s_mov_b32 s15, exec_lo
	v_cmpx_gt_u32_e32 8, v13
; %bb.379:                              ;   in Loop: Header=BB202_257 Depth=1
	v_ffbh_u32_e32 v11, v5
	v_min_u32_e32 v11, 32, v11
	v_subrev_nc_u32_e32 v13, 28, v11
	v_sub_nc_u32_e32 v11, 29, v11
	v_lshlrev_b64 v[21:22], v13, v[5:6]
	v_and_b32_e32 v5, 7, v21
; %bb.380:                              ;   in Loop: Header=BB202_257 Depth=1
	s_or_b32 exec_lo, exec_lo, s15
	v_lshlrev_b32_sdwa v13, v43, v59 dst_sel:DWORD dst_unused:UNUSED_PAD src0_sel:DWORD src1_sel:WORD_1
	v_lshlrev_b32_e32 v5, 20, v5
	v_lshl_add_u32 v11, v11, 23, 0x3c000000
	v_and_b32_e32 v13, 0x80000000, v13
	v_or3_b32 v5, v5, v13, v11
	v_mov_b32_e32 v22, v6
	v_mov_b32_e32 v21, v5
.LBB202_381:                            ;   in Loop: Header=BB202_257 Depth=1
	s_or_b32 exec_lo, exec_lo, s14
.LBB202_382:                            ;   in Loop: Header=BB202_257 Depth=1
	s_or_b32 exec_lo, exec_lo, s13
.LBB202_383:                            ;   in Loop: Header=BB202_257 Depth=1
	s_or_b32 exec_lo, exec_lo, s9
	s_mov_b32 s9, exec_lo
	v_cmpx_lt_u32_e32 0xffffff, v59
	s_cbranch_execz .LBB202_391
; %bb.384:                              ;   in Loop: Header=BB202_257 Depth=1
	v_mov_b32_e32 v11, v6
	v_mov_b32_e32 v24, v12
	v_cmp_ne_u32_sdwa s0, v59, v38 src0_sel:BYTE_3 src1_sel:DWORD
	v_mov_b32_e32 v23, v11
	s_and_saveexec_b32 s13, s0
	s_cbranch_execz .LBB202_390
; %bb.385:                              ;   in Loop: Header=BB202_257 Depth=1
	v_mov_b32_e32 v13, v6
	v_mov_b32_e32 v24, v14
	v_bfe_u32 v60, v59, 24, 7
	s_mov_b32 s14, exec_lo
	v_mov_b32_e32 v23, v13
	v_cmpx_ne_u32_e32 0x7f, v60
	s_cbranch_execz .LBB202_389
; %bb.386:                              ;   in Loop: Header=BB202_257 Depth=1
	v_and_b32_sdwa v5, v59, v42 dst_sel:DWORD dst_unused:UNUSED_PAD src0_sel:BYTE_3 src1_sel:DWORD
	v_lshrrev_b32_e32 v11, 3, v60
	s_mov_b32 s15, exec_lo
	v_cmpx_gt_u32_e32 8, v60
; %bb.387:                              ;   in Loop: Header=BB202_257 Depth=1
	v_ffbh_u32_e32 v11, v5
	v_min_u32_e32 v11, 32, v11
	v_subrev_nc_u32_e32 v13, 28, v11
	v_sub_nc_u32_e32 v11, 29, v11
	v_lshlrev_b64 v[23:24], v13, v[5:6]
	v_and_b32_e32 v5, 7, v23
; %bb.388:                              ;   in Loop: Header=BB202_257 Depth=1
	s_or_b32 exec_lo, exec_lo, s15
	v_lshlrev_b32_sdwa v13, v43, v59 dst_sel:DWORD dst_unused:UNUSED_PAD src0_sel:DWORD src1_sel:BYTE_3
	v_lshlrev_b32_e32 v5, 20, v5
	v_lshl_add_u32 v11, v11, 23, 0x3c000000
	v_mov_b32_e32 v23, v6
	v_and_b32_e32 v13, 0x80000000, v13
	v_or3_b32 v24, v5, v13, v11
.LBB202_389:                            ;   in Loop: Header=BB202_257 Depth=1
	s_or_b32 exec_lo, exec_lo, s14
.LBB202_390:                            ;   in Loop: Header=BB202_257 Depth=1
	s_or_b32 exec_lo, exec_lo, s13
.LBB202_391:                            ;   in Loop: Header=BB202_257 Depth=1
	s_or_b32 exec_lo, exec_lo, s9
	v_or_b32_e32 v5, v20, v18
	v_or_b32_e32 v11, v19, v17
	;; [unrolled: 1-line block ×4, first 2 shown]
	v_mul_f32_e32 v61, s6, v5
	v_mul_f32_e32 v62, s3, v11
	;; [unrolled: 1-line block ×4, first 2 shown]
	s_and_saveexec_b32 s9, vcc_lo
	s_cbranch_execz .LBB202_393
; %bb.392:                              ;   in Loop: Header=BB202_257 Depth=1
	v_cmp_gt_i32_e64 s0, s27, v48
	v_cndmask_b32_e64 v62, 0, v62, s0
	v_cmp_gt_i32_e64 s0, s27, v50
	v_cndmask_b32_e64 v61, 0, v61, s0
	;; [unrolled: 2-line block ×4, first 2 shown]
.LBB202_393:                            ;   in Loop: Header=BB202_257 Depth=1
	s_or_b32 exec_lo, exec_lo, s9
	global_load_dword v63, v[15:16], off offset:512
	v_mov_b32_e32 v19, 0
	v_mov_b32_e32 v17, 0
	;; [unrolled: 1-line block ×4, first 2 shown]
	s_waitcnt vmcnt(0)
	v_cmp_ne_u16_sdwa s0, v63, v6 src0_sel:BYTE_0 src1_sel:DWORD
	s_and_saveexec_b32 s9, s0
	s_cbranch_execz .LBB202_401
; %bb.394:                              ;   in Loop: Header=BB202_257 Depth=1
	v_bfrev_b32_e32 v17, 1
	v_mov_b32_e32 v18, 0
	v_cmp_ne_u16_sdwa s0, v63, v38 src0_sel:BYTE_0 src1_sel:DWORD
	s_and_saveexec_b32 s13, s0
	s_cbranch_execz .LBB202_400
; %bb.395:                              ;   in Loop: Header=BB202_257 Depth=1
	v_mov_b32_e32 v17, 0x7f800001
	v_and_b32_e32 v13, 0x7f, v63
	v_mov_b32_e32 v18, 0
	s_mov_b32 s14, exec_lo
	v_cmpx_ne_u32_e32 0x7f, v13
	s_cbranch_execz .LBB202_399
; %bb.396:                              ;   in Loop: Header=BB202_257 Depth=1
	v_and_b32_e32 v5, 7, v63
	v_lshrrev_b32_e32 v11, 3, v13
	s_mov_b32 s15, exec_lo
	v_cmpx_gt_u32_e32 8, v13
; %bb.397:                              ;   in Loop: Header=BB202_257 Depth=1
	v_ffbh_u32_e32 v11, v5
	v_min_u32_e32 v11, 32, v11
	v_subrev_nc_u32_e32 v13, 28, v11
	v_sub_nc_u32_e32 v11, 29, v11
	v_lshlrev_b64 v[17:18], v13, v[5:6]
	v_and_b32_e32 v5, 7, v17
; %bb.398:                              ;   in Loop: Header=BB202_257 Depth=1
	s_or_b32 exec_lo, exec_lo, s15
	v_lshlrev_b32_e32 v13, 24, v63
	v_lshlrev_b32_e32 v5, 20, v5
	v_lshl_add_u32 v11, v11, 23, 0x3c000000
	v_and_b32_e32 v13, 0x80000000, v13
	v_or3_b32 v5, v5, v13, v11
	v_mov_b32_e32 v18, v6
	v_mov_b32_e32 v17, v5
.LBB202_399:                            ;   in Loop: Header=BB202_257 Depth=1
	s_or_b32 exec_lo, exec_lo, s14
.LBB202_400:                            ;   in Loop: Header=BB202_257 Depth=1
	s_or_b32 exec_lo, exec_lo, s13
.LBB202_401:                            ;   in Loop: Header=BB202_257 Depth=1
	s_or_b32 exec_lo, exec_lo, s9
	v_cmp_ne_u16_sdwa s0, v63, v6 src0_sel:BYTE_1 src1_sel:DWORD
	s_and_saveexec_b32 s9, s0
	s_cbranch_execz .LBB202_409
; %bb.402:                              ;   in Loop: Header=BB202_257 Depth=1
	v_mov_b32_e32 v11, v6
	v_mov_b32_e32 v20, v12
	v_cmp_ne_u16_sdwa s0, v63, v38 src0_sel:BYTE_1 src1_sel:DWORD
	v_mov_b32_e32 v19, v11
	s_and_saveexec_b32 s13, s0
	s_cbranch_execz .LBB202_408
; %bb.403:                              ;   in Loop: Header=BB202_257 Depth=1
	v_and_b32_sdwa v5, v40, v63 dst_sel:DWORD dst_unused:UNUSED_PAD src0_sel:DWORD src1_sel:BYTE_1
	v_mov_b32_e32 v13, v6
	v_mov_b32_e32 v20, v14
	s_mov_b32 s14, exec_lo
	v_and_b32_e32 v21, 0x7f, v5
	v_mov_b32_e32 v19, v13
	v_cmpx_ne_u32_e32 0x7f, v21
	s_cbranch_execz .LBB202_407
; %bb.404:                              ;   in Loop: Header=BB202_257 Depth=1
	v_and_b32_e32 v5, 7, v5
	v_lshrrev_b32_e32 v11, 3, v21
	s_mov_b32 s15, exec_lo
	v_cmpx_gt_u32_e32 8, v21
; %bb.405:                              ;   in Loop: Header=BB202_257 Depth=1
	v_ffbh_u32_e32 v11, v5
	v_min_u32_e32 v11, 32, v11
	v_subrev_nc_u32_e32 v13, 28, v11
	v_sub_nc_u32_e32 v11, 29, v11
	v_lshlrev_b64 v[19:20], v13, v[5:6]
	v_and_b32_e32 v5, 7, v19
; %bb.406:                              ;   in Loop: Header=BB202_257 Depth=1
	s_or_b32 exec_lo, exec_lo, s15
	v_lshlrev_b32_e32 v13, 16, v63
	v_lshlrev_b32_e32 v5, 20, v5
	v_lshl_add_u32 v11, v11, 23, 0x3c000000
	v_mov_b32_e32 v19, v6
	v_and_b32_e32 v13, 0x80000000, v13
	v_or3_b32 v20, v5, v13, v11
.LBB202_407:                            ;   in Loop: Header=BB202_257 Depth=1
	s_or_b32 exec_lo, exec_lo, s14
.LBB202_408:                            ;   in Loop: Header=BB202_257 Depth=1
	s_or_b32 exec_lo, exec_lo, s13
.LBB202_409:                            ;   in Loop: Header=BB202_257 Depth=1
	s_or_b32 exec_lo, exec_lo, s9
	v_mov_b32_e32 v23, 0
	v_mov_b32_e32 v21, 0
	v_and_b32_sdwa v5, v63, v41 dst_sel:DWORD dst_unused:UNUSED_PAD src0_sel:WORD_1 src1_sel:DWORD
	v_mov_b32_e32 v24, 0
	v_mov_b32_e32 v22, 0
	s_mov_b32 s9, exec_lo
	v_cmpx_ne_u16_e32 0, v5
	s_cbranch_execz .LBB202_417
; %bb.410:                              ;   in Loop: Header=BB202_257 Depth=1
	v_bfrev_b32_e32 v21, 1
	v_mov_b32_e32 v22, 0
	s_mov_b32 s13, exec_lo
	v_cmpx_ne_u16_e32 0x80, v5
	s_cbranch_execz .LBB202_416
; %bb.411:                              ;   in Loop: Header=BB202_257 Depth=1
	v_mov_b32_e32 v21, 0x7f800001
	v_bfe_u32 v13, v63, 16, 7
	v_mov_b32_e32 v22, 0
	s_mov_b32 s14, exec_lo
	v_cmpx_ne_u32_e32 0x7f, v13
	s_cbranch_execz .LBB202_415
; %bb.412:                              ;   in Loop: Header=BB202_257 Depth=1
	v_and_b32_sdwa v5, v63, v42 dst_sel:DWORD dst_unused:UNUSED_PAD src0_sel:WORD_1 src1_sel:DWORD
	v_lshrrev_b32_e32 v11, 3, v13
	s_mov_b32 s15, exec_lo
	v_cmpx_gt_u32_e32 8, v13
; %bb.413:                              ;   in Loop: Header=BB202_257 Depth=1
	v_ffbh_u32_e32 v11, v5
	v_min_u32_e32 v11, 32, v11
	v_subrev_nc_u32_e32 v13, 28, v11
	v_sub_nc_u32_e32 v11, 29, v11
	v_lshlrev_b64 v[21:22], v13, v[5:6]
	v_and_b32_e32 v5, 7, v21
; %bb.414:                              ;   in Loop: Header=BB202_257 Depth=1
	s_or_b32 exec_lo, exec_lo, s15
	v_lshlrev_b32_sdwa v13, v43, v63 dst_sel:DWORD dst_unused:UNUSED_PAD src0_sel:DWORD src1_sel:WORD_1
	v_lshlrev_b32_e32 v5, 20, v5
	v_lshl_add_u32 v11, v11, 23, 0x3c000000
	v_and_b32_e32 v13, 0x80000000, v13
	v_or3_b32 v5, v5, v13, v11
	v_mov_b32_e32 v22, v6
	v_mov_b32_e32 v21, v5
.LBB202_415:                            ;   in Loop: Header=BB202_257 Depth=1
	s_or_b32 exec_lo, exec_lo, s14
.LBB202_416:                            ;   in Loop: Header=BB202_257 Depth=1
	s_or_b32 exec_lo, exec_lo, s13
.LBB202_417:                            ;   in Loop: Header=BB202_257 Depth=1
	s_or_b32 exec_lo, exec_lo, s9
	s_mov_b32 s9, exec_lo
	v_cmpx_lt_u32_e32 0xffffff, v63
	s_cbranch_execz .LBB202_425
; %bb.418:                              ;   in Loop: Header=BB202_257 Depth=1
	v_mov_b32_e32 v11, v6
	v_mov_b32_e32 v24, v12
	v_cmp_ne_u32_sdwa s0, v63, v38 src0_sel:BYTE_3 src1_sel:DWORD
	v_mov_b32_e32 v23, v11
	s_and_saveexec_b32 s13, s0
	s_cbranch_execz .LBB202_424
; %bb.419:                              ;   in Loop: Header=BB202_257 Depth=1
	v_mov_b32_e32 v13, v6
	v_mov_b32_e32 v24, v14
	v_bfe_u32 v64, v63, 24, 7
	s_mov_b32 s14, exec_lo
	v_mov_b32_e32 v23, v13
	v_cmpx_ne_u32_e32 0x7f, v64
	s_cbranch_execz .LBB202_423
; %bb.420:                              ;   in Loop: Header=BB202_257 Depth=1
	v_and_b32_sdwa v5, v63, v42 dst_sel:DWORD dst_unused:UNUSED_PAD src0_sel:BYTE_3 src1_sel:DWORD
	v_lshrrev_b32_e32 v11, 3, v64
	s_mov_b32 s15, exec_lo
	v_cmpx_gt_u32_e32 8, v64
; %bb.421:                              ;   in Loop: Header=BB202_257 Depth=1
	v_ffbh_u32_e32 v11, v5
	v_min_u32_e32 v11, 32, v11
	v_subrev_nc_u32_e32 v13, 28, v11
	v_sub_nc_u32_e32 v11, 29, v11
	v_lshlrev_b64 v[23:24], v13, v[5:6]
	v_and_b32_e32 v5, 7, v23
; %bb.422:                              ;   in Loop: Header=BB202_257 Depth=1
	s_or_b32 exec_lo, exec_lo, s15
	v_lshlrev_b32_sdwa v13, v43, v63 dst_sel:DWORD dst_unused:UNUSED_PAD src0_sel:DWORD src1_sel:BYTE_3
	v_lshlrev_b32_e32 v5, 20, v5
	v_lshl_add_u32 v11, v11, 23, 0x3c000000
	v_mov_b32_e32 v23, v6
	v_and_b32_e32 v13, 0x80000000, v13
	v_or3_b32 v24, v5, v13, v11
.LBB202_423:                            ;   in Loop: Header=BB202_257 Depth=1
	s_or_b32 exec_lo, exec_lo, s14
.LBB202_424:                            ;   in Loop: Header=BB202_257 Depth=1
	s_or_b32 exec_lo, exec_lo, s13
.LBB202_425:                            ;   in Loop: Header=BB202_257 Depth=1
	s_or_b32 exec_lo, exec_lo, s9
	v_or_b32_e32 v5, v20, v18
	v_or_b32_e32 v11, v19, v17
	;; [unrolled: 1-line block ×4, first 2 shown]
	v_mul_f32_e32 v65, s6, v5
	v_mul_f32_e32 v66, s3, v11
	;; [unrolled: 1-line block ×4, first 2 shown]
	s_and_saveexec_b32 s9, vcc_lo
	s_cbranch_execz .LBB202_427
; %bb.426:                              ;   in Loop: Header=BB202_257 Depth=1
	v_cmp_gt_i32_e64 s0, s27, v48
	v_cndmask_b32_e64 v66, 0, v66, s0
	v_cmp_gt_i32_e64 s0, s27, v50
	v_cndmask_b32_e64 v65, 0, v65, s0
	;; [unrolled: 2-line block ×4, first 2 shown]
.LBB202_427:                            ;   in Loop: Header=BB202_257 Depth=1
	s_or_b32 exec_lo, exec_lo, s9
	global_load_dword v67, v[15:16], off offset:640
	v_mov_b32_e32 v19, 0
	v_mov_b32_e32 v17, 0
	;; [unrolled: 1-line block ×4, first 2 shown]
	s_waitcnt vmcnt(0)
	v_cmp_ne_u16_sdwa s0, v67, v6 src0_sel:BYTE_0 src1_sel:DWORD
	s_and_saveexec_b32 s9, s0
	s_cbranch_execz .LBB202_435
; %bb.428:                              ;   in Loop: Header=BB202_257 Depth=1
	v_bfrev_b32_e32 v17, 1
	v_mov_b32_e32 v18, 0
	v_cmp_ne_u16_sdwa s0, v67, v38 src0_sel:BYTE_0 src1_sel:DWORD
	s_and_saveexec_b32 s13, s0
	s_cbranch_execz .LBB202_434
; %bb.429:                              ;   in Loop: Header=BB202_257 Depth=1
	v_mov_b32_e32 v17, 0x7f800001
	v_and_b32_e32 v13, 0x7f, v67
	v_mov_b32_e32 v18, 0
	s_mov_b32 s14, exec_lo
	v_cmpx_ne_u32_e32 0x7f, v13
	s_cbranch_execz .LBB202_433
; %bb.430:                              ;   in Loop: Header=BB202_257 Depth=1
	v_and_b32_e32 v5, 7, v67
	v_lshrrev_b32_e32 v11, 3, v13
	s_mov_b32 s15, exec_lo
	v_cmpx_gt_u32_e32 8, v13
; %bb.431:                              ;   in Loop: Header=BB202_257 Depth=1
	v_ffbh_u32_e32 v11, v5
	v_min_u32_e32 v11, 32, v11
	v_subrev_nc_u32_e32 v13, 28, v11
	v_sub_nc_u32_e32 v11, 29, v11
	v_lshlrev_b64 v[17:18], v13, v[5:6]
	v_and_b32_e32 v5, 7, v17
; %bb.432:                              ;   in Loop: Header=BB202_257 Depth=1
	s_or_b32 exec_lo, exec_lo, s15
	v_lshlrev_b32_e32 v13, 24, v67
	v_lshlrev_b32_e32 v5, 20, v5
	v_lshl_add_u32 v11, v11, 23, 0x3c000000
	v_and_b32_e32 v13, 0x80000000, v13
	v_or3_b32 v5, v5, v13, v11
	v_mov_b32_e32 v18, v6
	v_mov_b32_e32 v17, v5
.LBB202_433:                            ;   in Loop: Header=BB202_257 Depth=1
	s_or_b32 exec_lo, exec_lo, s14
.LBB202_434:                            ;   in Loop: Header=BB202_257 Depth=1
	s_or_b32 exec_lo, exec_lo, s13
.LBB202_435:                            ;   in Loop: Header=BB202_257 Depth=1
	s_or_b32 exec_lo, exec_lo, s9
	v_cmp_ne_u16_sdwa s0, v67, v6 src0_sel:BYTE_1 src1_sel:DWORD
	s_and_saveexec_b32 s9, s0
	s_cbranch_execz .LBB202_443
; %bb.436:                              ;   in Loop: Header=BB202_257 Depth=1
	v_mov_b32_e32 v11, v6
	v_mov_b32_e32 v20, v12
	v_cmp_ne_u16_sdwa s0, v67, v38 src0_sel:BYTE_1 src1_sel:DWORD
	v_mov_b32_e32 v19, v11
	s_and_saveexec_b32 s13, s0
	s_cbranch_execz .LBB202_442
; %bb.437:                              ;   in Loop: Header=BB202_257 Depth=1
	v_and_b32_sdwa v5, v40, v67 dst_sel:DWORD dst_unused:UNUSED_PAD src0_sel:DWORD src1_sel:BYTE_1
	v_mov_b32_e32 v13, v6
	v_mov_b32_e32 v20, v14
	s_mov_b32 s14, exec_lo
	v_and_b32_e32 v21, 0x7f, v5
	v_mov_b32_e32 v19, v13
	v_cmpx_ne_u32_e32 0x7f, v21
	s_cbranch_execz .LBB202_441
; %bb.438:                              ;   in Loop: Header=BB202_257 Depth=1
	v_and_b32_e32 v5, 7, v5
	v_lshrrev_b32_e32 v11, 3, v21
	s_mov_b32 s15, exec_lo
	v_cmpx_gt_u32_e32 8, v21
; %bb.439:                              ;   in Loop: Header=BB202_257 Depth=1
	v_ffbh_u32_e32 v11, v5
	v_min_u32_e32 v11, 32, v11
	v_subrev_nc_u32_e32 v13, 28, v11
	v_sub_nc_u32_e32 v11, 29, v11
	v_lshlrev_b64 v[19:20], v13, v[5:6]
	v_and_b32_e32 v5, 7, v19
; %bb.440:                              ;   in Loop: Header=BB202_257 Depth=1
	s_or_b32 exec_lo, exec_lo, s15
	v_lshlrev_b32_e32 v13, 16, v67
	v_lshlrev_b32_e32 v5, 20, v5
	v_lshl_add_u32 v11, v11, 23, 0x3c000000
	v_mov_b32_e32 v19, v6
	v_and_b32_e32 v13, 0x80000000, v13
	v_or3_b32 v20, v5, v13, v11
.LBB202_441:                            ;   in Loop: Header=BB202_257 Depth=1
	s_or_b32 exec_lo, exec_lo, s14
.LBB202_442:                            ;   in Loop: Header=BB202_257 Depth=1
	s_or_b32 exec_lo, exec_lo, s13
.LBB202_443:                            ;   in Loop: Header=BB202_257 Depth=1
	s_or_b32 exec_lo, exec_lo, s9
	v_mov_b32_e32 v23, 0
	v_mov_b32_e32 v21, 0
	v_and_b32_sdwa v5, v67, v41 dst_sel:DWORD dst_unused:UNUSED_PAD src0_sel:WORD_1 src1_sel:DWORD
	v_mov_b32_e32 v24, 0
	v_mov_b32_e32 v22, 0
	s_mov_b32 s9, exec_lo
	v_cmpx_ne_u16_e32 0, v5
	s_cbranch_execz .LBB202_451
; %bb.444:                              ;   in Loop: Header=BB202_257 Depth=1
	v_bfrev_b32_e32 v21, 1
	v_mov_b32_e32 v22, 0
	s_mov_b32 s13, exec_lo
	v_cmpx_ne_u16_e32 0x80, v5
	s_cbranch_execz .LBB202_450
; %bb.445:                              ;   in Loop: Header=BB202_257 Depth=1
	v_mov_b32_e32 v21, 0x7f800001
	v_bfe_u32 v13, v67, 16, 7
	v_mov_b32_e32 v22, 0
	s_mov_b32 s14, exec_lo
	v_cmpx_ne_u32_e32 0x7f, v13
	s_cbranch_execz .LBB202_449
; %bb.446:                              ;   in Loop: Header=BB202_257 Depth=1
	v_and_b32_sdwa v5, v67, v42 dst_sel:DWORD dst_unused:UNUSED_PAD src0_sel:WORD_1 src1_sel:DWORD
	v_lshrrev_b32_e32 v11, 3, v13
	s_mov_b32 s15, exec_lo
	v_cmpx_gt_u32_e32 8, v13
; %bb.447:                              ;   in Loop: Header=BB202_257 Depth=1
	v_ffbh_u32_e32 v11, v5
	v_min_u32_e32 v11, 32, v11
	v_subrev_nc_u32_e32 v13, 28, v11
	v_sub_nc_u32_e32 v11, 29, v11
	v_lshlrev_b64 v[21:22], v13, v[5:6]
	v_and_b32_e32 v5, 7, v21
; %bb.448:                              ;   in Loop: Header=BB202_257 Depth=1
	s_or_b32 exec_lo, exec_lo, s15
	v_lshlrev_b32_sdwa v13, v43, v67 dst_sel:DWORD dst_unused:UNUSED_PAD src0_sel:DWORD src1_sel:WORD_1
	v_lshlrev_b32_e32 v5, 20, v5
	v_lshl_add_u32 v11, v11, 23, 0x3c000000
	v_and_b32_e32 v13, 0x80000000, v13
	v_or3_b32 v5, v5, v13, v11
	v_mov_b32_e32 v22, v6
	v_mov_b32_e32 v21, v5
.LBB202_449:                            ;   in Loop: Header=BB202_257 Depth=1
	s_or_b32 exec_lo, exec_lo, s14
.LBB202_450:                            ;   in Loop: Header=BB202_257 Depth=1
	s_or_b32 exec_lo, exec_lo, s13
.LBB202_451:                            ;   in Loop: Header=BB202_257 Depth=1
	s_or_b32 exec_lo, exec_lo, s9
	s_mov_b32 s9, exec_lo
	v_cmpx_lt_u32_e32 0xffffff, v67
	s_cbranch_execz .LBB202_459
; %bb.452:                              ;   in Loop: Header=BB202_257 Depth=1
	v_mov_b32_e32 v11, v6
	v_mov_b32_e32 v24, v12
	v_cmp_ne_u32_sdwa s0, v67, v38 src0_sel:BYTE_3 src1_sel:DWORD
	v_mov_b32_e32 v23, v11
	s_and_saveexec_b32 s13, s0
	s_cbranch_execz .LBB202_458
; %bb.453:                              ;   in Loop: Header=BB202_257 Depth=1
	v_mov_b32_e32 v13, v6
	v_mov_b32_e32 v24, v14
	v_bfe_u32 v68, v67, 24, 7
	s_mov_b32 s14, exec_lo
	v_mov_b32_e32 v23, v13
	v_cmpx_ne_u32_e32 0x7f, v68
	s_cbranch_execz .LBB202_457
; %bb.454:                              ;   in Loop: Header=BB202_257 Depth=1
	v_and_b32_sdwa v5, v67, v42 dst_sel:DWORD dst_unused:UNUSED_PAD src0_sel:BYTE_3 src1_sel:DWORD
	v_lshrrev_b32_e32 v11, 3, v68
	s_mov_b32 s15, exec_lo
	v_cmpx_gt_u32_e32 8, v68
; %bb.455:                              ;   in Loop: Header=BB202_257 Depth=1
	v_ffbh_u32_e32 v11, v5
	v_min_u32_e32 v11, 32, v11
	v_subrev_nc_u32_e32 v13, 28, v11
	v_sub_nc_u32_e32 v11, 29, v11
	v_lshlrev_b64 v[23:24], v13, v[5:6]
	v_and_b32_e32 v5, 7, v23
; %bb.456:                              ;   in Loop: Header=BB202_257 Depth=1
	s_or_b32 exec_lo, exec_lo, s15
	v_lshlrev_b32_sdwa v13, v43, v67 dst_sel:DWORD dst_unused:UNUSED_PAD src0_sel:DWORD src1_sel:BYTE_3
	v_lshlrev_b32_e32 v5, 20, v5
	v_lshl_add_u32 v11, v11, 23, 0x3c000000
	v_mov_b32_e32 v23, v6
	v_and_b32_e32 v13, 0x80000000, v13
	v_or3_b32 v24, v5, v13, v11
.LBB202_457:                            ;   in Loop: Header=BB202_257 Depth=1
	s_or_b32 exec_lo, exec_lo, s14
.LBB202_458:                            ;   in Loop: Header=BB202_257 Depth=1
	s_or_b32 exec_lo, exec_lo, s13
.LBB202_459:                            ;   in Loop: Header=BB202_257 Depth=1
	s_or_b32 exec_lo, exec_lo, s9
	v_or_b32_e32 v5, v20, v18
	v_or_b32_e32 v11, v19, v17
	;; [unrolled: 1-line block ×4, first 2 shown]
	v_mul_f32_e32 v67, s6, v5
	v_mul_f32_e32 v68, s3, v11
	;; [unrolled: 1-line block ×4, first 2 shown]
	s_and_saveexec_b32 s9, vcc_lo
	s_cbranch_execz .LBB202_461
; %bb.460:                              ;   in Loop: Header=BB202_257 Depth=1
	v_cmp_gt_i32_e64 s0, s27, v48
	v_cndmask_b32_e64 v68, 0, v68, s0
	v_cmp_gt_i32_e64 s0, s27, v50
	v_cndmask_b32_e64 v67, 0, v67, s0
	;; [unrolled: 2-line block ×4, first 2 shown]
.LBB202_461:                            ;   in Loop: Header=BB202_257 Depth=1
	s_or_b32 exec_lo, exec_lo, s9
	global_load_dword v69, v[15:16], off offset:768
	v_mov_b32_e32 v17, 0
	v_mov_b32_e32 v15, 0
	;; [unrolled: 1-line block ×4, first 2 shown]
	s_waitcnt vmcnt(0)
	v_cmp_ne_u16_sdwa s0, v69, v6 src0_sel:BYTE_0 src1_sel:DWORD
	s_and_saveexec_b32 s9, s0
	s_cbranch_execz .LBB202_469
; %bb.462:                              ;   in Loop: Header=BB202_257 Depth=1
	v_bfrev_b32_e32 v15, 1
	v_mov_b32_e32 v16, 0
	v_cmp_ne_u16_sdwa s0, v69, v38 src0_sel:BYTE_0 src1_sel:DWORD
	s_and_saveexec_b32 s13, s0
	s_cbranch_execz .LBB202_468
; %bb.463:                              ;   in Loop: Header=BB202_257 Depth=1
	v_mov_b32_e32 v15, 0x7f800001
	v_and_b32_e32 v13, 0x7f, v69
	v_mov_b32_e32 v16, 0
	s_mov_b32 s14, exec_lo
	v_cmpx_ne_u32_e32 0x7f, v13
	s_cbranch_execz .LBB202_467
; %bb.464:                              ;   in Loop: Header=BB202_257 Depth=1
	v_and_b32_e32 v5, 7, v69
	v_lshrrev_b32_e32 v11, 3, v13
	s_mov_b32 s15, exec_lo
	v_cmpx_gt_u32_e32 8, v13
; %bb.465:                              ;   in Loop: Header=BB202_257 Depth=1
	v_ffbh_u32_e32 v11, v5
	v_min_u32_e32 v11, 32, v11
	v_subrev_nc_u32_e32 v13, 28, v11
	v_sub_nc_u32_e32 v11, 29, v11
	v_lshlrev_b64 v[15:16], v13, v[5:6]
	v_and_b32_e32 v5, 7, v15
; %bb.466:                              ;   in Loop: Header=BB202_257 Depth=1
	s_or_b32 exec_lo, exec_lo, s15
	v_lshlrev_b32_e32 v13, 24, v69
	v_lshlrev_b32_e32 v5, 20, v5
	v_lshl_add_u32 v11, v11, 23, 0x3c000000
	v_and_b32_e32 v13, 0x80000000, v13
	v_or3_b32 v5, v5, v13, v11
	v_mov_b32_e32 v16, v6
	v_mov_b32_e32 v15, v5
.LBB202_467:                            ;   in Loop: Header=BB202_257 Depth=1
	s_or_b32 exec_lo, exec_lo, s14
.LBB202_468:                            ;   in Loop: Header=BB202_257 Depth=1
	s_or_b32 exec_lo, exec_lo, s13
.LBB202_469:                            ;   in Loop: Header=BB202_257 Depth=1
	s_or_b32 exec_lo, exec_lo, s9
	v_cmp_ne_u16_sdwa s0, v69, v6 src0_sel:BYTE_1 src1_sel:DWORD
	s_and_saveexec_b32 s9, s0
	s_cbranch_execz .LBB202_477
; %bb.470:                              ;   in Loop: Header=BB202_257 Depth=1
	v_mov_b32_e32 v11, v6
	v_mov_b32_e32 v18, v12
	v_cmp_ne_u16_sdwa s0, v69, v38 src0_sel:BYTE_1 src1_sel:DWORD
	v_mov_b32_e32 v17, v11
	s_and_saveexec_b32 s13, s0
	s_cbranch_execz .LBB202_476
; %bb.471:                              ;   in Loop: Header=BB202_257 Depth=1
	v_and_b32_sdwa v5, v40, v69 dst_sel:DWORD dst_unused:UNUSED_PAD src0_sel:DWORD src1_sel:BYTE_1
	v_mov_b32_e32 v13, v6
	v_mov_b32_e32 v18, v14
	s_mov_b32 s14, exec_lo
	v_and_b32_e32 v19, 0x7f, v5
	v_mov_b32_e32 v17, v13
	v_cmpx_ne_u32_e32 0x7f, v19
	s_cbranch_execz .LBB202_475
; %bb.472:                              ;   in Loop: Header=BB202_257 Depth=1
	v_and_b32_e32 v5, 7, v5
	v_lshrrev_b32_e32 v11, 3, v19
	s_mov_b32 s15, exec_lo
	v_cmpx_gt_u32_e32 8, v19
; %bb.473:                              ;   in Loop: Header=BB202_257 Depth=1
	v_ffbh_u32_e32 v11, v5
	v_min_u32_e32 v11, 32, v11
	v_subrev_nc_u32_e32 v13, 28, v11
	v_sub_nc_u32_e32 v11, 29, v11
	v_lshlrev_b64 v[17:18], v13, v[5:6]
	v_and_b32_e32 v5, 7, v17
; %bb.474:                              ;   in Loop: Header=BB202_257 Depth=1
	s_or_b32 exec_lo, exec_lo, s15
	v_lshlrev_b32_e32 v13, 16, v69
	v_lshlrev_b32_e32 v5, 20, v5
	v_lshl_add_u32 v11, v11, 23, 0x3c000000
	v_mov_b32_e32 v17, v6
	v_and_b32_e32 v13, 0x80000000, v13
	v_or3_b32 v18, v5, v13, v11
.LBB202_475:                            ;   in Loop: Header=BB202_257 Depth=1
	s_or_b32 exec_lo, exec_lo, s14
.LBB202_476:                            ;   in Loop: Header=BB202_257 Depth=1
	s_or_b32 exec_lo, exec_lo, s13
.LBB202_477:                            ;   in Loop: Header=BB202_257 Depth=1
	s_or_b32 exec_lo, exec_lo, s9
	v_mov_b32_e32 v21, 0
	v_mov_b32_e32 v19, 0
	v_and_b32_sdwa v5, v69, v41 dst_sel:DWORD dst_unused:UNUSED_PAD src0_sel:WORD_1 src1_sel:DWORD
	v_mov_b32_e32 v22, 0
	v_mov_b32_e32 v20, 0
	s_mov_b32 s9, exec_lo
	v_cmpx_ne_u16_e32 0, v5
	s_cbranch_execz .LBB202_485
; %bb.478:                              ;   in Loop: Header=BB202_257 Depth=1
	v_bfrev_b32_e32 v19, 1
	v_mov_b32_e32 v20, 0
	s_mov_b32 s13, exec_lo
	v_cmpx_ne_u16_e32 0x80, v5
	s_cbranch_execz .LBB202_484
; %bb.479:                              ;   in Loop: Header=BB202_257 Depth=1
	v_mov_b32_e32 v19, 0x7f800001
	v_bfe_u32 v13, v69, 16, 7
	v_mov_b32_e32 v20, 0
	s_mov_b32 s14, exec_lo
	v_cmpx_ne_u32_e32 0x7f, v13
	s_cbranch_execz .LBB202_483
; %bb.480:                              ;   in Loop: Header=BB202_257 Depth=1
	v_and_b32_sdwa v5, v69, v42 dst_sel:DWORD dst_unused:UNUSED_PAD src0_sel:WORD_1 src1_sel:DWORD
	v_lshrrev_b32_e32 v11, 3, v13
	s_mov_b32 s15, exec_lo
	v_cmpx_gt_u32_e32 8, v13
; %bb.481:                              ;   in Loop: Header=BB202_257 Depth=1
	v_ffbh_u32_e32 v11, v5
	v_min_u32_e32 v11, 32, v11
	v_subrev_nc_u32_e32 v13, 28, v11
	v_sub_nc_u32_e32 v11, 29, v11
	v_lshlrev_b64 v[19:20], v13, v[5:6]
	v_and_b32_e32 v5, 7, v19
; %bb.482:                              ;   in Loop: Header=BB202_257 Depth=1
	s_or_b32 exec_lo, exec_lo, s15
	v_lshlrev_b32_sdwa v13, v43, v69 dst_sel:DWORD dst_unused:UNUSED_PAD src0_sel:DWORD src1_sel:WORD_1
	v_lshlrev_b32_e32 v5, 20, v5
	v_lshl_add_u32 v11, v11, 23, 0x3c000000
	v_and_b32_e32 v13, 0x80000000, v13
	v_or3_b32 v5, v5, v13, v11
	v_mov_b32_e32 v20, v6
	v_mov_b32_e32 v19, v5
.LBB202_483:                            ;   in Loop: Header=BB202_257 Depth=1
	s_or_b32 exec_lo, exec_lo, s14
.LBB202_484:                            ;   in Loop: Header=BB202_257 Depth=1
	s_or_b32 exec_lo, exec_lo, s13
.LBB202_485:                            ;   in Loop: Header=BB202_257 Depth=1
	s_or_b32 exec_lo, exec_lo, s9
	s_mov_b32 s9, exec_lo
	v_cmpx_lt_u32_e32 0xffffff, v69
	s_cbranch_execz .LBB202_493
; %bb.486:                              ;   in Loop: Header=BB202_257 Depth=1
	v_mov_b32_e32 v11, v6
	v_mov_b32_e32 v22, v12
	v_cmp_ne_u32_sdwa s0, v69, v38 src0_sel:BYTE_3 src1_sel:DWORD
	v_mov_b32_e32 v21, v11
	s_and_saveexec_b32 s13, s0
	s_cbranch_execz .LBB202_492
; %bb.487:                              ;   in Loop: Header=BB202_257 Depth=1
	v_mov_b32_e32 v13, v6
	v_mov_b32_e32 v22, v14
	v_bfe_u32 v70, v69, 24, 7
	s_mov_b32 s14, exec_lo
	v_mov_b32_e32 v21, v13
	v_cmpx_ne_u32_e32 0x7f, v70
	s_cbranch_execz .LBB202_491
; %bb.488:                              ;   in Loop: Header=BB202_257 Depth=1
	v_and_b32_sdwa v5, v69, v42 dst_sel:DWORD dst_unused:UNUSED_PAD src0_sel:BYTE_3 src1_sel:DWORD
	v_lshrrev_b32_e32 v11, 3, v70
	s_mov_b32 s15, exec_lo
	v_cmpx_gt_u32_e32 8, v70
; %bb.489:                              ;   in Loop: Header=BB202_257 Depth=1
	v_ffbh_u32_e32 v11, v5
	v_min_u32_e32 v11, 32, v11
	v_subrev_nc_u32_e32 v13, 28, v11
	v_sub_nc_u32_e32 v11, 29, v11
	v_lshlrev_b64 v[21:22], v13, v[5:6]
	v_and_b32_e32 v5, 7, v21
; %bb.490:                              ;   in Loop: Header=BB202_257 Depth=1
	s_or_b32 exec_lo, exec_lo, s15
	v_lshlrev_b32_sdwa v13, v43, v69 dst_sel:DWORD dst_unused:UNUSED_PAD src0_sel:DWORD src1_sel:BYTE_3
	v_lshlrev_b32_e32 v5, 20, v5
	v_lshl_add_u32 v11, v11, 23, 0x3c000000
	v_mov_b32_e32 v21, v6
	v_and_b32_e32 v13, 0x80000000, v13
	v_or3_b32 v22, v5, v13, v11
.LBB202_491:                            ;   in Loop: Header=BB202_257 Depth=1
	s_or_b32 exec_lo, exec_lo, s14
.LBB202_492:                            ;   in Loop: Header=BB202_257 Depth=1
	s_or_b32 exec_lo, exec_lo, s13
.LBB202_493:                            ;   in Loop: Header=BB202_257 Depth=1
	s_or_b32 exec_lo, exec_lo, s9
	v_or_b32_e32 v5, v18, v16
	v_or_b32_e32 v11, v17, v15
	v_or_b32_e32 v16, v21, v19
	v_or_b32_e32 v17, v22, v20
	v_mul_f32_e32 v13, s6, v5
	v_mul_f32_e32 v15, s3, v11
	;; [unrolled: 1-line block ×4, first 2 shown]
	s_and_saveexec_b32 s0, vcc_lo
	s_cbranch_execz .LBB202_256
; %bb.494:                              ;   in Loop: Header=BB202_257 Depth=1
	v_cmp_gt_i32_e32 vcc_lo, s27, v48
	v_cndmask_b32_e32 v15, 0, v15, vcc_lo
	v_cmp_gt_i32_e32 vcc_lo, s27, v50
	v_cndmask_b32_e32 v13, 0, v13, vcc_lo
	;; [unrolled: 2-line block ×4, first 2 shown]
	s_branch .LBB202_256
.LBB202_495:
	s_or_b32 exec_lo, exec_lo, s5
.LBB202_496:
	s_or_b32 exec_lo, exec_lo, s1
	ds_bpermute_b32 v1, v26, v34
	ds_bpermute_b32 v2, v26, v36
	;; [unrolled: 1-line block ×7, first 2 shown]
	v_lshrrev_b32_e32 v8, 1, v25
	v_mul_u32_u24_e32 v10, 0x1c0, v39
	v_and_b32_e32 v11, 0x3c1, v0
	s_mov_b32 s0, exec_lo
	s_waitcnt lgkmcnt(0)
	s_waitcnt_vscnt null, 0x0
	v_lshl_add_u32 v9, v8, 2, 0x1e0
	s_barrier
	buffer_gl0_inv
	v_add_f32_e32 v1, v34, v1
	v_add_f32_e32 v2, v36, v2
	;; [unrolled: 1-line block ×7, first 2 shown]
	v_cmpx_eq_u32_e32 64, v11
	s_cbranch_execz .LBB202_498
; %bb.497:
	v_add_nc_u32_e32 v11, v9, v10
	v_add_nc_u32_e32 v12, 0xfffffc80, v11
	;; [unrolled: 1-line block ×8, first 2 shown]
	ds_write_b32 v12, v1
	ds_write_b32 v13, v2
	;; [unrolled: 1-line block ×7, first 2 shown]
.LBB202_498:
	s_or_b32 exec_lo, exec_lo, s0
	v_lshlrev_b32_e32 v8, 2, v8
	s_mov_b32 s1, exec_lo
	v_cmp_eq_u32_e32 vcc_lo, 0, v27
	s_waitcnt lgkmcnt(0)
	s_barrier
	v_add3_u32 v8, 0x1e0, v10, v8
	buffer_gl0_inv
	v_cmpx_gt_u32_e32 64, v0
	s_cbranch_execz .LBB202_508
; %bb.499:
	s_and_saveexec_b32 s0, vcc_lo
	s_cbranch_execnz .LBB202_523
; %bb.500:
	s_or_b32 exec_lo, exec_lo, s0
	s_and_saveexec_b32 s0, vcc_lo
	s_cbranch_execnz .LBB202_524
.LBB202_501:
	s_or_b32 exec_lo, exec_lo, s0
	s_and_saveexec_b32 s0, vcc_lo
	s_cbranch_execnz .LBB202_525
.LBB202_502:
	s_or_b32 exec_lo, exec_lo, s0
	s_and_saveexec_b32 s0, vcc_lo
	s_cbranch_execnz .LBB202_526
.LBB202_503:
	s_or_b32 exec_lo, exec_lo, s0
	s_and_saveexec_b32 s0, vcc_lo
	s_cbranch_execnz .LBB202_527
.LBB202_504:
	s_or_b32 exec_lo, exec_lo, s0
	s_and_saveexec_b32 s0, vcc_lo
	s_cbranch_execnz .LBB202_528
.LBB202_505:
	s_or_b32 exec_lo, exec_lo, s0
	s_and_saveexec_b32 s0, vcc_lo
	s_cbranch_execz .LBB202_507
.LBB202_506:
	ds_read_b32 v10, v8 offset:384
	s_waitcnt lgkmcnt(0)
	v_add_f32_e32 v7, v7, v10
.LBB202_507:
	s_or_b32 exec_lo, exec_lo, s0
.LBB202_508:
	s_or_b32 exec_lo, exec_lo, s1
	v_and_b32_e32 v10, 0x3e1, v0
	s_mov_b32 s1, exec_lo
	s_barrier
	buffer_gl0_inv
	v_cmpx_eq_u32_e32 32, v10
	s_cbranch_execz .LBB202_510
; %bb.509:
	ds_write2_b32 v9, v1, v2 offset1:16
	ds_write2_b32 v9, v3, v4 offset0:32 offset1:48
	ds_write2_b32 v9, v5, v6 offset0:64 offset1:80
	ds_write_b32 v9, v7 offset:384
.LBB202_510:
	s_or_b32 exec_lo, exec_lo, s1
	s_mov_b32 s1, exec_lo
	s_waitcnt lgkmcnt(0)
	s_barrier
	buffer_gl0_inv
	v_cmpx_gt_u32_e32 32, v0
	s_cbranch_execz .LBB202_520
; %bb.511:
	s_and_saveexec_b32 s0, vcc_lo
	s_cbranch_execnz .LBB202_529
; %bb.512:
	s_or_b32 exec_lo, exec_lo, s0
	s_and_saveexec_b32 s0, vcc_lo
	s_cbranch_execnz .LBB202_530
.LBB202_513:
	s_or_b32 exec_lo, exec_lo, s0
	s_and_saveexec_b32 s0, vcc_lo
	s_cbranch_execnz .LBB202_531
.LBB202_514:
	s_or_b32 exec_lo, exec_lo, s0
	s_and_saveexec_b32 s0, vcc_lo
	s_cbranch_execnz .LBB202_532
.LBB202_515:
	s_or_b32 exec_lo, exec_lo, s0
	s_and_saveexec_b32 s0, vcc_lo
	s_cbranch_execnz .LBB202_533
.LBB202_516:
	s_or_b32 exec_lo, exec_lo, s0
	s_and_saveexec_b32 s0, vcc_lo
	s_cbranch_execnz .LBB202_534
.LBB202_517:
	s_or_b32 exec_lo, exec_lo, s0
	s_and_saveexec_b32 s0, vcc_lo
	s_cbranch_execz .LBB202_519
.LBB202_518:
	ds_read_b32 v8, v8 offset:384
	s_waitcnt lgkmcnt(0)
	v_add_f32_e32 v7, v7, v8
.LBB202_519:
	s_or_b32 exec_lo, exec_lo, s0
.LBB202_520:
	s_or_b32 exec_lo, exec_lo, s1
	s_barrier
	buffer_gl0_inv
	s_mov_b32 s0, exec_lo
	v_cmpx_eq_u32_e32 0, v10
	s_cbranch_execz .LBB202_522
; %bb.521:
	s_mul_i32 s0, s2, 0x70
	s_mul_i32 s2, s7, s10
	s_ashr_i32 s1, s0, 31
	v_lshlrev_b32_e32 v0, 1, v0
	s_lshl_b64 s[0:1], s[0:1], 2
	s_add_u32 s4, s24, s0
	s_addc_u32 s5, s25, s1
	s_ashr_i32 s3, s2, 31
	s_lshl_b64 s[0:1], s[2:3], 2
	s_mul_i32 s2, s8, 0x70
	s_add_u32 s4, s4, s0
	s_addc_u32 s5, s5, s1
	s_ashr_i32 s3, s2, 31
	s_lshl_b64 s[0:1], s[2:3], 2
	s_add_u32 s0, s4, s0
	s_addc_u32 s1, s5, s1
	global_store_dword v0, v1, s[0:1]
	global_store_dword v0, v2, s[0:1] offset:64
	global_store_dword v0, v3, s[0:1] offset:128
	;; [unrolled: 1-line block ×6, first 2 shown]
.LBB202_522:
	s_endpgm
.LBB202_523:
	ds_read_b32 v10, v8
	s_waitcnt lgkmcnt(0)
	v_add_f32_e32 v1, v1, v10
	s_or_b32 exec_lo, exec_lo, s0
	s_and_saveexec_b32 s0, vcc_lo
	s_cbranch_execz .LBB202_501
.LBB202_524:
	ds_read_b32 v10, v8 offset:64
	s_waitcnt lgkmcnt(0)
	v_add_f32_e32 v2, v2, v10
	s_or_b32 exec_lo, exec_lo, s0
	s_and_saveexec_b32 s0, vcc_lo
	s_cbranch_execz .LBB202_502
.LBB202_525:
	ds_read_b32 v10, v8 offset:128
	s_waitcnt lgkmcnt(0)
	v_add_f32_e32 v3, v3, v10
	s_or_b32 exec_lo, exec_lo, s0
	s_and_saveexec_b32 s0, vcc_lo
	s_cbranch_execz .LBB202_503
.LBB202_526:
	ds_read_b32 v10, v8 offset:192
	s_waitcnt lgkmcnt(0)
	v_add_f32_e32 v4, v4, v10
	s_or_b32 exec_lo, exec_lo, s0
	s_and_saveexec_b32 s0, vcc_lo
	s_cbranch_execz .LBB202_504
.LBB202_527:
	ds_read_b32 v10, v8 offset:256
	s_waitcnt lgkmcnt(0)
	v_add_f32_e32 v5, v5, v10
	s_or_b32 exec_lo, exec_lo, s0
	s_and_saveexec_b32 s0, vcc_lo
	s_cbranch_execz .LBB202_505
.LBB202_528:
	ds_read_b32 v10, v8 offset:320
	s_waitcnt lgkmcnt(0)
	v_add_f32_e32 v6, v6, v10
	s_or_b32 exec_lo, exec_lo, s0
	s_and_saveexec_b32 s0, vcc_lo
	s_cbranch_execnz .LBB202_506
	s_branch .LBB202_507
.LBB202_529:
	ds_read_b32 v9, v8
	s_waitcnt lgkmcnt(0)
	v_add_f32_e32 v1, v1, v9
	s_or_b32 exec_lo, exec_lo, s0
	s_and_saveexec_b32 s0, vcc_lo
	s_cbranch_execz .LBB202_513
.LBB202_530:
	ds_read_b32 v9, v8 offset:64
	s_waitcnt lgkmcnt(0)
	v_add_f32_e32 v2, v2, v9
	s_or_b32 exec_lo, exec_lo, s0
	s_and_saveexec_b32 s0, vcc_lo
	s_cbranch_execz .LBB202_514
.LBB202_531:
	ds_read_b32 v9, v8 offset:128
	s_waitcnt lgkmcnt(0)
	v_add_f32_e32 v3, v3, v9
	s_or_b32 exec_lo, exec_lo, s0
	s_and_saveexec_b32 s0, vcc_lo
	s_cbranch_execz .LBB202_515
.LBB202_532:
	ds_read_b32 v9, v8 offset:192
	s_waitcnt lgkmcnt(0)
	v_add_f32_e32 v4, v4, v9
	s_or_b32 exec_lo, exec_lo, s0
	s_and_saveexec_b32 s0, vcc_lo
	s_cbranch_execz .LBB202_516
.LBB202_533:
	ds_read_b32 v9, v8 offset:256
	s_waitcnt lgkmcnt(0)
	v_add_f32_e32 v5, v5, v9
	s_or_b32 exec_lo, exec_lo, s0
	s_and_saveexec_b32 s0, vcc_lo
	s_cbranch_execz .LBB202_517
.LBB202_534:
	ds_read_b32 v9, v8 offset:320
	s_waitcnt lgkmcnt(0)
	v_add_f32_e32 v6, v6, v9
	s_or_b32 exec_lo, exec_lo, s0
	s_and_saveexec_b32 s0, vcc_lo
	s_cbranch_execnz .LBB202_518
	s_branch .LBB202_519
	.section	.rodata,"a",@progbits
	.p2align	6, 0x0
	.amdhsa_kernel _ZN4vllm25paged_attention_v2_kernelIfhLi112ELi8ELi128ELNS_18Fp8KVCacheDataTypeE1ELb0ELi512EEEvPfS2_PT_PKS3_PKT0_S9_ifPKiSB_iPKfiiiSD_SD_iiiii
		.amdhsa_group_segment_fixed_size 480
		.amdhsa_private_segment_fixed_size 0
		.amdhsa_kernarg_size 400
		.amdhsa_user_sgpr_count 6
		.amdhsa_user_sgpr_private_segment_buffer 1
		.amdhsa_user_sgpr_dispatch_ptr 0
		.amdhsa_user_sgpr_queue_ptr 0
		.amdhsa_user_sgpr_kernarg_segment_ptr 1
		.amdhsa_user_sgpr_dispatch_id 0
		.amdhsa_user_sgpr_flat_scratch_init 0
		.amdhsa_user_sgpr_private_segment_size 0
		.amdhsa_wavefront_size32 1
		.amdhsa_uses_dynamic_stack 0
		.amdhsa_system_sgpr_private_segment_wavefront_offset 0
		.amdhsa_system_sgpr_workgroup_id_x 1
		.amdhsa_system_sgpr_workgroup_id_y 1
		.amdhsa_system_sgpr_workgroup_id_z 1
		.amdhsa_system_sgpr_workgroup_info 0
		.amdhsa_system_vgpr_workitem_id 0
		.amdhsa_next_free_vgpr 82
		.amdhsa_next_free_sgpr 42
		.amdhsa_reserve_vcc 1
		.amdhsa_reserve_flat_scratch 0
		.amdhsa_float_round_mode_32 0
		.amdhsa_float_round_mode_16_64 0
		.amdhsa_float_denorm_mode_32 3
		.amdhsa_float_denorm_mode_16_64 3
		.amdhsa_dx10_clamp 1
		.amdhsa_ieee_mode 1
		.amdhsa_fp16_overflow 0
		.amdhsa_workgroup_processor_mode 1
		.amdhsa_memory_ordered 1
		.amdhsa_forward_progress 1
		.amdhsa_shared_vgpr_count 0
		.amdhsa_exception_fp_ieee_invalid_op 0
		.amdhsa_exception_fp_denorm_src 0
		.amdhsa_exception_fp_ieee_div_zero 0
		.amdhsa_exception_fp_ieee_overflow 0
		.amdhsa_exception_fp_ieee_underflow 0
		.amdhsa_exception_fp_ieee_inexact 0
		.amdhsa_exception_int_div_zero 0
	.end_amdhsa_kernel
	.section	.text._ZN4vllm25paged_attention_v2_kernelIfhLi112ELi8ELi128ELNS_18Fp8KVCacheDataTypeE1ELb0ELi512EEEvPfS2_PT_PKS3_PKT0_S9_ifPKiSB_iPKfiiiSD_SD_iiiii,"axG",@progbits,_ZN4vllm25paged_attention_v2_kernelIfhLi112ELi8ELi128ELNS_18Fp8KVCacheDataTypeE1ELb0ELi512EEEvPfS2_PT_PKS3_PKT0_S9_ifPKiSB_iPKfiiiSD_SD_iiiii,comdat
.Lfunc_end202:
	.size	_ZN4vllm25paged_attention_v2_kernelIfhLi112ELi8ELi128ELNS_18Fp8KVCacheDataTypeE1ELb0ELi512EEEvPfS2_PT_PKS3_PKT0_S9_ifPKiSB_iPKfiiiSD_SD_iiiii, .Lfunc_end202-_ZN4vllm25paged_attention_v2_kernelIfhLi112ELi8ELi128ELNS_18Fp8KVCacheDataTypeE1ELb0ELi512EEEvPfS2_PT_PKS3_PKT0_S9_ifPKiSB_iPKfiiiSD_SD_iiiii
                                        ; -- End function
	.set _ZN4vllm25paged_attention_v2_kernelIfhLi112ELi8ELi128ELNS_18Fp8KVCacheDataTypeE1ELb0ELi512EEEvPfS2_PT_PKS3_PKT0_S9_ifPKiSB_iPKfiiiSD_SD_iiiii.num_vgpr, 82
	.set _ZN4vllm25paged_attention_v2_kernelIfhLi112ELi8ELi128ELNS_18Fp8KVCacheDataTypeE1ELb0ELi512EEEvPfS2_PT_PKS3_PKT0_S9_ifPKiSB_iPKfiiiSD_SD_iiiii.num_agpr, 0
	.set _ZN4vllm25paged_attention_v2_kernelIfhLi112ELi8ELi128ELNS_18Fp8KVCacheDataTypeE1ELb0ELi512EEEvPfS2_PT_PKS3_PKT0_S9_ifPKiSB_iPKfiiiSD_SD_iiiii.numbered_sgpr, 42
	.set _ZN4vllm25paged_attention_v2_kernelIfhLi112ELi8ELi128ELNS_18Fp8KVCacheDataTypeE1ELb0ELi512EEEvPfS2_PT_PKS3_PKT0_S9_ifPKiSB_iPKfiiiSD_SD_iiiii.num_named_barrier, 0
	.set _ZN4vllm25paged_attention_v2_kernelIfhLi112ELi8ELi128ELNS_18Fp8KVCacheDataTypeE1ELb0ELi512EEEvPfS2_PT_PKS3_PKT0_S9_ifPKiSB_iPKfiiiSD_SD_iiiii.private_seg_size, 0
	.set _ZN4vllm25paged_attention_v2_kernelIfhLi112ELi8ELi128ELNS_18Fp8KVCacheDataTypeE1ELb0ELi512EEEvPfS2_PT_PKS3_PKT0_S9_ifPKiSB_iPKfiiiSD_SD_iiiii.uses_vcc, 1
	.set _ZN4vllm25paged_attention_v2_kernelIfhLi112ELi8ELi128ELNS_18Fp8KVCacheDataTypeE1ELb0ELi512EEEvPfS2_PT_PKS3_PKT0_S9_ifPKiSB_iPKfiiiSD_SD_iiiii.uses_flat_scratch, 0
	.set _ZN4vllm25paged_attention_v2_kernelIfhLi112ELi8ELi128ELNS_18Fp8KVCacheDataTypeE1ELb0ELi512EEEvPfS2_PT_PKS3_PKT0_S9_ifPKiSB_iPKfiiiSD_SD_iiiii.has_dyn_sized_stack, 0
	.set _ZN4vllm25paged_attention_v2_kernelIfhLi112ELi8ELi128ELNS_18Fp8KVCacheDataTypeE1ELb0ELi512EEEvPfS2_PT_PKS3_PKT0_S9_ifPKiSB_iPKfiiiSD_SD_iiiii.has_recursion, 0
	.set _ZN4vllm25paged_attention_v2_kernelIfhLi112ELi8ELi128ELNS_18Fp8KVCacheDataTypeE1ELb0ELi512EEEvPfS2_PT_PKS3_PKT0_S9_ifPKiSB_iPKfiiiSD_SD_iiiii.has_indirect_call, 0
	.section	.AMDGPU.csdata,"",@progbits
; Kernel info:
; codeLenInByte = 15308
; TotalNumSgprs: 44
; NumVgprs: 82
; ScratchSize: 0
; MemoryBound: 0
; FloatMode: 240
; IeeeMode: 1
; LDSByteSize: 480 bytes/workgroup (compile time only)
; SGPRBlocks: 0
; VGPRBlocks: 10
; NumSGPRsForWavesPerEU: 44
; NumVGPRsForWavesPerEU: 82
; Occupancy: 10
; WaveLimiterHint : 1
; COMPUTE_PGM_RSRC2:SCRATCH_EN: 0
; COMPUTE_PGM_RSRC2:USER_SGPR: 6
; COMPUTE_PGM_RSRC2:TRAP_HANDLER: 0
; COMPUTE_PGM_RSRC2:TGID_X_EN: 1
; COMPUTE_PGM_RSRC2:TGID_Y_EN: 1
; COMPUTE_PGM_RSRC2:TGID_Z_EN: 1
; COMPUTE_PGM_RSRC2:TIDIG_COMP_CNT: 0
	.section	.text._ZN4vllm25paged_attention_v2_kernelIfhLi120ELi8ELi128ELNS_18Fp8KVCacheDataTypeE1ELb0ELi512EEEvPfS2_PT_PKS3_PKT0_S9_ifPKiSB_iPKfiiiSD_SD_iiiii,"axG",@progbits,_ZN4vllm25paged_attention_v2_kernelIfhLi120ELi8ELi128ELNS_18Fp8KVCacheDataTypeE1ELb0ELi512EEEvPfS2_PT_PKS3_PKT0_S9_ifPKiSB_iPKfiiiSD_SD_iiiii,comdat
	.protected	_ZN4vllm25paged_attention_v2_kernelIfhLi120ELi8ELi128ELNS_18Fp8KVCacheDataTypeE1ELb0ELi512EEEvPfS2_PT_PKS3_PKT0_S9_ifPKiSB_iPKfiiiSD_SD_iiiii ; -- Begin function _ZN4vllm25paged_attention_v2_kernelIfhLi120ELi8ELi128ELNS_18Fp8KVCacheDataTypeE1ELb0ELi512EEEvPfS2_PT_PKS3_PKT0_S9_ifPKiSB_iPKfiiiSD_SD_iiiii
	.globl	_ZN4vllm25paged_attention_v2_kernelIfhLi120ELi8ELi128ELNS_18Fp8KVCacheDataTypeE1ELb0ELi512EEEvPfS2_PT_PKS3_PKT0_S9_ifPKiSB_iPKfiiiSD_SD_iiiii
	.p2align	8
	.type	_ZN4vllm25paged_attention_v2_kernelIfhLi120ELi8ELi128ELNS_18Fp8KVCacheDataTypeE1ELb0ELi512EEEvPfS2_PT_PKS3_PKT0_S9_ifPKiSB_iPKfiiiSD_SD_iiiii,@function
_ZN4vllm25paged_attention_v2_kernelIfhLi120ELi8ELi128ELNS_18Fp8KVCacheDataTypeE1ELb0ELi512EEEvPfS2_PT_PKS3_PKT0_S9_ifPKiSB_iPKfiiiSD_SD_iiiii: ; @_ZN4vllm25paged_attention_v2_kernelIfhLi120ELi8ELi128ELNS_18Fp8KVCacheDataTypeE1ELb0ELi512EEEvPfS2_PT_PKS3_PKT0_S9_ifPKiSB_iPKfiiiSD_SD_iiiii
; %bb.0:
	s_load_dwordx2 s[0:1], s[4:5], 0x40
	s_mov_b32 s26, s7
	s_ashr_i32 s27, s7, 31
	s_lshl_b64 s[2:3], s[26:27], 2
	s_waitcnt lgkmcnt(0)
	s_add_u32 s0, s0, s2
	s_addc_u32 s1, s1, s3
	s_lshl_b32 s33, s8, 9
	s_load_dword s27, s[0:1], 0x0
	s_waitcnt lgkmcnt(0)
	s_cmp_ge_i32 s33, s27
	s_cbranch_scc1 .LBB203_589
; %bb.1:
	s_clause 0x1
	s_load_dword s9, s[4:5], 0x90
	s_load_dwordx2 s[36:37], s[4:5], 0x30
	s_waitcnt lgkmcnt(0)
	s_abs_i32 s3, s9
	s_abs_i32 s0, s36
	v_cvt_f32_u32_e32 v1, s0
	s_sub_i32 s2, 0, s0
	v_rcp_iflag_f32_e32 v1, v1
	v_mul_f32_e32 v1, 0x4f7ffffe, v1
	v_cvt_u32_f32_e32 v1, v1
	v_readfirstlane_b32 s1, v1
	s_mul_i32 s2, s2, s1
	s_mul_hi_u32 s2, s1, s2
	s_add_i32 s1, s1, s2
	s_xor_b32 s2, s9, s36
	s_mul_hi_u32 s1, s3, s1
	s_ashr_i32 s2, s2, 31
	s_mul_i32 s7, s1, s0
	s_mov_b32 s36, 0
	s_sub_i32 s3, s3, s7
	s_add_i32 s7, s1, 1
	s_sub_i32 s10, s3, s0
	s_cmp_ge_u32 s3, s0
	s_cselect_b32 s1, s7, s1
	s_cselect_b32 s3, s10, s3
	s_add_i32 s7, s1, 1
	s_cmp_ge_u32 s3, s0
	s_cselect_b32 s0, s7, s1
	s_abs_i32 s16, s6
	s_xor_b32 s0, s0, s2
	s_sub_i32 s10, s0, s2
	s_load_dwordx2 s[0:1], s[4:5], 0x50
	s_abs_i32 s2, s10
	v_cvt_f32_u32_e32 v1, s2
	s_sub_i32 s7, 0, s2
	v_rcp_iflag_f32_e32 v1, v1
	v_mul_f32_e32 v1, 0x4f7ffffe, v1
	v_cvt_u32_f32_e32 v1, v1
	v_readfirstlane_b32 s3, v1
	s_mul_i32 s7, s7, s3
	s_mul_hi_u32 s7, s3, s7
	s_add_i32 s3, s3, s7
	s_waitcnt lgkmcnt(0)
	s_cmp_eq_u64 s[0:1], 0
	s_mul_hi_u32 s3, s16, s3
	s_cbranch_scc1 .LBB203_3
; %bb.2:
	s_ashr_i32 s7, s6, 31
	s_lshl_b64 s[12:13], s[6:7], 2
	s_add_u32 s0, s0, s12
	s_addc_u32 s1, s1, s13
	s_load_dword s36, s[0:1], 0x0
.LBB203_3:
	s_load_dwordx4 s[12:15], s[4:5], 0x58
	v_and_b32_e32 v31, 3, v0
	v_lshlrev_b32_e32 v42, 2, v0
	s_ashr_i32 s0, s6, 31
	s_ashr_i32 s1, s10, 31
	s_mul_i32 s10, s6, 0x78
	s_mov_b32 s7, exec_lo
	v_cmpx_gt_u32_e32 0x78, v0
	s_cbranch_execz .LBB203_5
; %bb.4:
	s_load_dwordx2 s[18:19], s[4:5], 0x18
	s_waitcnt lgkmcnt(0)
	s_mul_i32 s20, s12, s26
	v_and_b32_e32 v2, 0x3fc, v0
	s_ashr_i32 s21, s20, 31
	s_lshl_b64 s[20:21], s[20:21], 2
	v_mad_u32_u24 v2, 0x78, v31, v2
	s_add_u32 s12, s18, s20
	s_addc_u32 s15, s19, s21
	s_ashr_i32 s11, s10, 31
	s_lshl_b64 s[18:19], s[10:11], 2
	s_add_u32 s18, s12, s18
	s_addc_u32 s19, s15, s19
	global_load_dword v1, v42, s[18:19]
	s_waitcnt vmcnt(0)
	ds_write_b32 v2, v1
.LBB203_5:
	s_or_b32 exec_lo, exec_lo, s7
	s_add_i32 s7, s27, 7
	s_waitcnt lgkmcnt(0)
	s_lshl_b32 s15, s8, 6
	s_ashr_i32 s11, s7, 31
	s_mul_i32 s17, s3, s2
	s_lshr_b32 s11, s11, 29
	s_xor_b32 s0, s0, s1
	s_add_i32 s7, s7, s11
	s_add_i32 s11, s15, 64
	s_ashr_i32 s12, s7, 3
	s_clause 0x1
	s_load_dwordx2 s[28:29], s[4:5], 0x38
	s_load_dword s7, s[4:5], 0x48
	s_sub_i32 s1, s16, s17
	s_min_i32 s11, s11, s12
	s_add_i32 s16, s3, 1
	s_sub_i32 s17, s1, s2
	s_cmp_ge_u32 s1, s2
	v_lshrrev_b32_e32 v41, 5, v0
	s_cselect_b32 s3, s16, s3
	s_cselect_b32 s1, s17, s1
	s_add_i32 s16, s3, 1
	s_cmp_ge_u32 s1, s2
	v_or_b32_e32 v29, s15, v41
	s_cselect_b32 s1, s16, s3
	v_mbcnt_lo_u32_b32 v43, -1, 0
	s_xor_b32 s1, s1, s0
	s_waitcnt lgkmcnt(0)
	s_sub_i32 s1, s1, s0
	v_cmp_le_i32_e64 s0, s11, v29
	s_barrier
	buffer_gl0_inv
	s_mul_i32 s30, s7, s26
                                        ; implicit-def: $vgpr32
                                        ; implicit-def: $vgpr44
	s_ashr_i32 s31, s30, 31
	s_and_saveexec_b32 s2, s0
	s_xor_b32 s2, exec_lo, s2
; %bb.6:
	v_mov_b32_e32 v32, 0
	v_mbcnt_lo_u32_b32 v43, -1, 0
	v_mov_b32_e32 v44, 32
                                        ; implicit-def: $vgpr31
; %bb.7:
	s_or_saveexec_b32 s38, s2
	s_clause 0x4
	s_load_dwordx4 s[20:23], s[4:5], 0x0
	s_load_dwordx2 s[24:25], s[4:5], 0x10
	s_load_dword s7, s[4:5], 0x98
	s_load_dwordx2 s[34:35], s[4:5], 0x28
	s_load_dwordx4 s[16:19], s[4:5], 0x68
	v_mov_b32_e32 v45, 0xff7fffff
	v_ashrrev_i32_e32 v30, 31, v29
	s_mul_i32 s14, s1, s14
	s_xor_b32 exec_lo, exec_lo, s38
	s_cbranch_execz .LBB203_253
; %bb.8:
	s_load_dwordx2 s[2:3], s[4:5], 0x20
	v_xor_b32_e32 v25, 2, v43
	v_bfe_u32 v37, v0, 2, 3
	v_xor_b32_e32 v26, 1, v43
	v_mul_u32_u24_e32 v33, 0x78, v31
	ds_read2_b64 v[1:4], v33 offset1:1
	ds_read2_b64 v[5:8], v33 offset0:2 offset1:3
	ds_read2_b64 v[9:12], v33 offset0:4 offset1:5
	;; [unrolled: 1-line block ×5, first 2 shown]
	v_cmp_gt_i32_e32 vcc_lo, 32, v25
	v_lshlrev_b32_e32 v27, 4, v37
	s_ashr_i32 s1, s14, 31
	v_lshlrev_b32_e32 v40, 3, v41
	v_lshlrev_b32_e32 v45, 2, v37
	v_cndmask_b32_e32 v35, v43, v25, vcc_lo
	v_cmp_gt_i32_e32 vcc_lo, 32, v26
	v_mov_b32_e32 v32, 0
	v_add3_u32 v48, s33, v40, v37
	v_mov_b32_e32 v44, 32
	s_waitcnt lgkmcnt(0)
	s_add_u32 s2, s2, s14
	v_cndmask_b32_e32 v36, v43, v26, vcc_lo
	v_add_co_u32 v38, s2, s2, v27
	ds_read2_b64 v[25:28], v33 offset0:12 offset1:13
	ds_read_b64 v[33:34], v33 offset:112
	s_load_dword s4, s[16:17], 0x0
	s_addc_u32 s1, s3, s1
	v_lshlrev_b32_e32 v46, 2, v35
	v_add_co_ci_u32_e64 v39, null, s1, 0, s2
	v_add_co_u32 v35, s2, v38, v31
	v_lshlrev_b64 v[37:38], 2, v[29:30]
	v_lshlrev_b32_e32 v47, 2, v36
	v_add_co_ci_u32_e64 v36, null, 0, v39, s2
	s_lshl_b64 s[2:3], s[30:31], 2
	v_cmp_eq_u32_e32 vcc_lo, 0, v31
	v_lshl_or_b32 v31, v41, 5, v45
	s_sub_i32 s5, 1, s27
	s_add_u32 s2, s28, s2
	s_addc_u32 s3, s29, s3
	v_add_co_u32 v37, s2, s2, v37
	v_cmp_neq_f32_e64 s1, s36, 0
	v_add_nc_u32_e32 v49, 0x200, v31
	v_add_co_ci_u32_e64 v38, null, s3, v38, s2
	v_mov_b32_e32 v45, 0xff7fffff
	v_mov_b32_e32 v50, 0x7f
	;; [unrolled: 1-line block ×4, first 2 shown]
	s_mov_b32 s17, s13
	s_mov_b32 s16, 0
	s_branch .LBB203_10
.LBB203_9:                              ;   in Loop: Header=BB203_10 Depth=1
	s_or_b32 exec_lo, exec_lo, s3
	v_add_nc_u32_e32 v52, 4, v52
	v_add_co_u32 v37, s3, v37, 16
	v_add_nc_u32_e32 v48, 32, v48
	v_add_nc_u32_e32 v49, 0x80, v49
	v_cmp_le_i32_e64 s2, s11, v52
	v_add_co_ci_u32_e64 v38, null, 0, v38, s3
	s_or_b32 s16, s2, s16
	s_andn2_b32 exec_lo, exec_lo, s16
	s_cbranch_execz .LBB203_252
.LBB203_10:                             ; =>This Inner Loop Header: Depth=1
	global_load_dword v31, v[37:38], off
	v_mov_b32_e32 v53, 0
	v_mov_b32_e32 v54, 0
	s_mov_b32 s3, exec_lo
	s_waitcnt vmcnt(0) lgkmcnt(0)
	v_mad_i64_i32 v[39:40], null, v31, s17, v[35:36]
	global_load_ubyte v55, v[39:40], off
	s_waitcnt vmcnt(0)
	v_cmpx_ne_u16_e32 0, v55
	s_cbranch_execz .LBB203_18
; %bb.11:                               ;   in Loop: Header=BB203_10 Depth=1
	v_bfrev_b32_e32 v54, 1
	s_mov_b32 s39, exec_lo
	v_cmpx_ne_u16_e32 0x80, v55
	s_cbranch_execz .LBB203_17
; %bb.12:                               ;   in Loop: Header=BB203_10 Depth=1
	v_and_b32_sdwa v56, v55, v50 dst_sel:DWORD dst_unused:UNUSED_PAD src0_sel:WORD_0 src1_sel:DWORD
	v_mov_b32_e32 v54, 0x7f800001
	s_mov_b32 s40, exec_lo
	v_cmpx_ne_u32_e32 0x7f, v56
	s_cbranch_execz .LBB203_16
; %bb.13:                               ;   in Loop: Header=BB203_10 Depth=1
	v_and_b32_sdwa v31, v55, v51 dst_sel:DWORD dst_unused:UNUSED_PAD src0_sel:WORD_0 src1_sel:DWORD
	v_lshrrev_b32_e32 v54, 3, v56
	s_mov_b32 s41, exec_lo
	v_cmpx_gt_u32_e32 8, v56
; %bb.14:                               ;   in Loop: Header=BB203_10 Depth=1
	v_ffbh_u32_e32 v54, v31
	v_min_u32_e32 v54, 32, v54
	v_subrev_nc_u32_e32 v56, 28, v54
	v_sub_nc_u32_e32 v54, 29, v54
	v_lshlrev_b64 v[56:57], v56, v[31:32]
	v_and_b32_e32 v31, 7, v56
; %bb.15:                               ;   in Loop: Header=BB203_10 Depth=1
	s_or_b32 exec_lo, exec_lo, s41
	v_lshlrev_b32_e32 v55, 24, v55
	v_lshlrev_b32_e32 v31, 20, v31
	v_lshl_add_u32 v54, v54, 23, 0x3c000000
	v_and_b32_e32 v55, 0x80000000, v55
	v_or3_b32 v54, v31, v55, v54
.LBB203_16:                             ;   in Loop: Header=BB203_10 Depth=1
	s_or_b32 exec_lo, exec_lo, s40
.LBB203_17:                             ;   in Loop: Header=BB203_10 Depth=1
	s_or_b32 exec_lo, exec_lo, s39
.LBB203_18:                             ;   in Loop: Header=BB203_10 Depth=1
	s_or_b32 exec_lo, exec_lo, s3
	global_load_ubyte v55, v[39:40], off offset:4
	s_mov_b32 s3, exec_lo
	s_waitcnt vmcnt(0)
	v_cmpx_ne_u16_e32 0, v55
	s_cbranch_execz .LBB203_26
; %bb.19:                               ;   in Loop: Header=BB203_10 Depth=1
	v_bfrev_b32_e32 v53, 1
	s_mov_b32 s39, exec_lo
	v_cmpx_ne_u16_e32 0x80, v55
	s_cbranch_execz .LBB203_25
; %bb.20:                               ;   in Loop: Header=BB203_10 Depth=1
	v_and_b32_sdwa v56, v55, v50 dst_sel:DWORD dst_unused:UNUSED_PAD src0_sel:WORD_0 src1_sel:DWORD
	v_mov_b32_e32 v53, 0x7f800001
	s_mov_b32 s40, exec_lo
	v_cmpx_ne_u32_e32 0x7f, v56
	s_cbranch_execz .LBB203_24
; %bb.21:                               ;   in Loop: Header=BB203_10 Depth=1
	v_and_b32_sdwa v31, v55, v51 dst_sel:DWORD dst_unused:UNUSED_PAD src0_sel:WORD_0 src1_sel:DWORD
	v_lshrrev_b32_e32 v53, 3, v56
	s_mov_b32 s41, exec_lo
	v_cmpx_gt_u32_e32 8, v56
; %bb.22:                               ;   in Loop: Header=BB203_10 Depth=1
	v_ffbh_u32_e32 v53, v31
	v_min_u32_e32 v53, 32, v53
	v_subrev_nc_u32_e32 v56, 28, v53
	v_sub_nc_u32_e32 v53, 29, v53
	v_lshlrev_b64 v[56:57], v56, v[31:32]
	v_and_b32_e32 v31, 7, v56
; %bb.23:                               ;   in Loop: Header=BB203_10 Depth=1
	s_or_b32 exec_lo, exec_lo, s41
	v_lshlrev_b32_e32 v55, 24, v55
	v_lshlrev_b32_e32 v31, 20, v31
	v_lshl_add_u32 v53, v53, 23, 0x3c000000
	v_and_b32_e32 v55, 0x80000000, v55
	v_or3_b32 v53, v31, v55, v53
.LBB203_24:                             ;   in Loop: Header=BB203_10 Depth=1
	s_or_b32 exec_lo, exec_lo, s40
.LBB203_25:                             ;   in Loop: Header=BB203_10 Depth=1
	s_or_b32 exec_lo, exec_lo, s39
.LBB203_26:                             ;   in Loop: Header=BB203_10 Depth=1
	s_or_b32 exec_lo, exec_lo, s3
	global_load_ubyte v57, v[39:40], off offset:8
	v_mov_b32_e32 v55, 0
	v_mov_b32_e32 v56, 0
	s_mov_b32 s3, exec_lo
	s_waitcnt vmcnt(0)
	v_cmpx_ne_u16_e32 0, v57
	s_cbranch_execz .LBB203_34
; %bb.27:                               ;   in Loop: Header=BB203_10 Depth=1
	v_bfrev_b32_e32 v56, 1
	s_mov_b32 s39, exec_lo
	v_cmpx_ne_u16_e32 0x80, v57
	s_cbranch_execz .LBB203_33
; %bb.28:                               ;   in Loop: Header=BB203_10 Depth=1
	v_and_b32_sdwa v58, v57, v50 dst_sel:DWORD dst_unused:UNUSED_PAD src0_sel:WORD_0 src1_sel:DWORD
	v_mov_b32_e32 v56, 0x7f800001
	s_mov_b32 s40, exec_lo
	v_cmpx_ne_u32_e32 0x7f, v58
	s_cbranch_execz .LBB203_32
; %bb.29:                               ;   in Loop: Header=BB203_10 Depth=1
	v_and_b32_sdwa v31, v57, v51 dst_sel:DWORD dst_unused:UNUSED_PAD src0_sel:WORD_0 src1_sel:DWORD
	v_lshrrev_b32_e32 v56, 3, v58
	s_mov_b32 s41, exec_lo
	v_cmpx_gt_u32_e32 8, v58
; %bb.30:                               ;   in Loop: Header=BB203_10 Depth=1
	v_ffbh_u32_e32 v56, v31
	v_min_u32_e32 v56, 32, v56
	v_subrev_nc_u32_e32 v58, 28, v56
	v_sub_nc_u32_e32 v56, 29, v56
	v_lshlrev_b64 v[58:59], v58, v[31:32]
	v_and_b32_e32 v31, 7, v58
; %bb.31:                               ;   in Loop: Header=BB203_10 Depth=1
	s_or_b32 exec_lo, exec_lo, s41
	v_lshlrev_b32_e32 v57, 24, v57
	v_lshlrev_b32_e32 v31, 20, v31
	v_lshl_add_u32 v56, v56, 23, 0x3c000000
	v_and_b32_e32 v57, 0x80000000, v57
	v_or3_b32 v56, v31, v57, v56
.LBB203_32:                             ;   in Loop: Header=BB203_10 Depth=1
	s_or_b32 exec_lo, exec_lo, s40
.LBB203_33:                             ;   in Loop: Header=BB203_10 Depth=1
	s_or_b32 exec_lo, exec_lo, s39
.LBB203_34:                             ;   in Loop: Header=BB203_10 Depth=1
	s_or_b32 exec_lo, exec_lo, s3
	global_load_ubyte v57, v[39:40], off offset:12
	s_mov_b32 s3, exec_lo
	s_waitcnt vmcnt(0)
	v_cmpx_ne_u16_e32 0, v57
	s_cbranch_execz .LBB203_42
; %bb.35:                               ;   in Loop: Header=BB203_10 Depth=1
	v_bfrev_b32_e32 v55, 1
	s_mov_b32 s39, exec_lo
	v_cmpx_ne_u16_e32 0x80, v57
	s_cbranch_execz .LBB203_41
; %bb.36:                               ;   in Loop: Header=BB203_10 Depth=1
	v_and_b32_sdwa v58, v57, v50 dst_sel:DWORD dst_unused:UNUSED_PAD src0_sel:WORD_0 src1_sel:DWORD
	v_mov_b32_e32 v55, 0x7f800001
	s_mov_b32 s40, exec_lo
	v_cmpx_ne_u32_e32 0x7f, v58
	s_cbranch_execz .LBB203_40
; %bb.37:                               ;   in Loop: Header=BB203_10 Depth=1
	v_and_b32_sdwa v31, v57, v51 dst_sel:DWORD dst_unused:UNUSED_PAD src0_sel:WORD_0 src1_sel:DWORD
	v_lshrrev_b32_e32 v55, 3, v58
	s_mov_b32 s41, exec_lo
	v_cmpx_gt_u32_e32 8, v58
; %bb.38:                               ;   in Loop: Header=BB203_10 Depth=1
	v_ffbh_u32_e32 v55, v31
	v_min_u32_e32 v55, 32, v55
	v_subrev_nc_u32_e32 v58, 28, v55
	v_sub_nc_u32_e32 v55, 29, v55
	v_lshlrev_b64 v[58:59], v58, v[31:32]
	v_and_b32_e32 v31, 7, v58
; %bb.39:                               ;   in Loop: Header=BB203_10 Depth=1
	s_or_b32 exec_lo, exec_lo, s41
	v_lshlrev_b32_e32 v57, 24, v57
	v_lshlrev_b32_e32 v31, 20, v31
	v_lshl_add_u32 v55, v55, 23, 0x3c000000
	v_and_b32_e32 v57, 0x80000000, v57
	v_or3_b32 v55, v31, v57, v55
.LBB203_40:                             ;   in Loop: Header=BB203_10 Depth=1
	s_or_b32 exec_lo, exec_lo, s40
.LBB203_41:                             ;   in Loop: Header=BB203_10 Depth=1
	s_or_b32 exec_lo, exec_lo, s39
.LBB203_42:                             ;   in Loop: Header=BB203_10 Depth=1
	s_or_b32 exec_lo, exec_lo, s3
	global_load_ubyte v59, v[39:40], off offset:128
	v_mov_b32_e32 v57, 0
	v_mov_b32_e32 v58, 0
	s_mov_b32 s3, exec_lo
	s_waitcnt vmcnt(0)
	v_cmpx_ne_u16_e32 0, v59
	s_cbranch_execz .LBB203_50
; %bb.43:                               ;   in Loop: Header=BB203_10 Depth=1
	v_bfrev_b32_e32 v58, 1
	s_mov_b32 s39, exec_lo
	v_cmpx_ne_u16_e32 0x80, v59
	s_cbranch_execz .LBB203_49
; %bb.44:                               ;   in Loop: Header=BB203_10 Depth=1
	v_and_b32_sdwa v60, v59, v50 dst_sel:DWORD dst_unused:UNUSED_PAD src0_sel:WORD_0 src1_sel:DWORD
	v_mov_b32_e32 v58, 0x7f800001
	s_mov_b32 s40, exec_lo
	v_cmpx_ne_u32_e32 0x7f, v60
	s_cbranch_execz .LBB203_48
; %bb.45:                               ;   in Loop: Header=BB203_10 Depth=1
	v_and_b32_sdwa v31, v59, v51 dst_sel:DWORD dst_unused:UNUSED_PAD src0_sel:WORD_0 src1_sel:DWORD
	v_lshrrev_b32_e32 v58, 3, v60
	s_mov_b32 s41, exec_lo
	v_cmpx_gt_u32_e32 8, v60
; %bb.46:                               ;   in Loop: Header=BB203_10 Depth=1
	v_ffbh_u32_e32 v58, v31
	v_min_u32_e32 v58, 32, v58
	v_subrev_nc_u32_e32 v60, 28, v58
	v_sub_nc_u32_e32 v58, 29, v58
	v_lshlrev_b64 v[60:61], v60, v[31:32]
	v_and_b32_e32 v31, 7, v60
; %bb.47:                               ;   in Loop: Header=BB203_10 Depth=1
	s_or_b32 exec_lo, exec_lo, s41
	v_lshlrev_b32_e32 v59, 24, v59
	v_lshlrev_b32_e32 v31, 20, v31
	v_lshl_add_u32 v58, v58, 23, 0x3c000000
	v_and_b32_e32 v59, 0x80000000, v59
	v_or3_b32 v58, v31, v59, v58
.LBB203_48:                             ;   in Loop: Header=BB203_10 Depth=1
	s_or_b32 exec_lo, exec_lo, s40
.LBB203_49:                             ;   in Loop: Header=BB203_10 Depth=1
	s_or_b32 exec_lo, exec_lo, s39
.LBB203_50:                             ;   in Loop: Header=BB203_10 Depth=1
	s_or_b32 exec_lo, exec_lo, s3
	global_load_ubyte v59, v[39:40], off offset:132
	s_mov_b32 s3, exec_lo
	s_waitcnt vmcnt(0)
	v_cmpx_ne_u16_e32 0, v59
	s_cbranch_execz .LBB203_58
; %bb.51:                               ;   in Loop: Header=BB203_10 Depth=1
	v_bfrev_b32_e32 v57, 1
	s_mov_b32 s39, exec_lo
	v_cmpx_ne_u16_e32 0x80, v59
	s_cbranch_execz .LBB203_57
; %bb.52:                               ;   in Loop: Header=BB203_10 Depth=1
	v_and_b32_sdwa v60, v59, v50 dst_sel:DWORD dst_unused:UNUSED_PAD src0_sel:WORD_0 src1_sel:DWORD
	v_mov_b32_e32 v57, 0x7f800001
	s_mov_b32 s40, exec_lo
	v_cmpx_ne_u32_e32 0x7f, v60
	s_cbranch_execz .LBB203_56
; %bb.53:                               ;   in Loop: Header=BB203_10 Depth=1
	v_and_b32_sdwa v31, v59, v51 dst_sel:DWORD dst_unused:UNUSED_PAD src0_sel:WORD_0 src1_sel:DWORD
	v_lshrrev_b32_e32 v57, 3, v60
	s_mov_b32 s41, exec_lo
	v_cmpx_gt_u32_e32 8, v60
; %bb.54:                               ;   in Loop: Header=BB203_10 Depth=1
	v_ffbh_u32_e32 v57, v31
	v_min_u32_e32 v57, 32, v57
	v_subrev_nc_u32_e32 v60, 28, v57
	v_sub_nc_u32_e32 v57, 29, v57
	v_lshlrev_b64 v[60:61], v60, v[31:32]
	v_and_b32_e32 v31, 7, v60
; %bb.55:                               ;   in Loop: Header=BB203_10 Depth=1
	s_or_b32 exec_lo, exec_lo, s41
	v_lshlrev_b32_e32 v59, 24, v59
	v_lshlrev_b32_e32 v31, 20, v31
	v_lshl_add_u32 v57, v57, 23, 0x3c000000
	v_and_b32_e32 v59, 0x80000000, v59
	v_or3_b32 v57, v31, v59, v57
.LBB203_56:                             ;   in Loop: Header=BB203_10 Depth=1
	s_or_b32 exec_lo, exec_lo, s40
.LBB203_57:                             ;   in Loop: Header=BB203_10 Depth=1
	s_or_b32 exec_lo, exec_lo, s39
.LBB203_58:                             ;   in Loop: Header=BB203_10 Depth=1
	s_or_b32 exec_lo, exec_lo, s3
	global_load_ubyte v61, v[39:40], off offset:136
	v_mov_b32_e32 v59, 0
	v_mov_b32_e32 v60, 0
	s_mov_b32 s3, exec_lo
	s_waitcnt vmcnt(0)
	v_cmpx_ne_u16_e32 0, v61
	s_cbranch_execz .LBB203_66
; %bb.59:                               ;   in Loop: Header=BB203_10 Depth=1
	v_bfrev_b32_e32 v60, 1
	s_mov_b32 s39, exec_lo
	v_cmpx_ne_u16_e32 0x80, v61
	s_cbranch_execz .LBB203_65
; %bb.60:                               ;   in Loop: Header=BB203_10 Depth=1
	v_and_b32_sdwa v62, v61, v50 dst_sel:DWORD dst_unused:UNUSED_PAD src0_sel:WORD_0 src1_sel:DWORD
	v_mov_b32_e32 v60, 0x7f800001
	s_mov_b32 s40, exec_lo
	v_cmpx_ne_u32_e32 0x7f, v62
	s_cbranch_execz .LBB203_64
; %bb.61:                               ;   in Loop: Header=BB203_10 Depth=1
	v_and_b32_sdwa v31, v61, v51 dst_sel:DWORD dst_unused:UNUSED_PAD src0_sel:WORD_0 src1_sel:DWORD
	v_lshrrev_b32_e32 v60, 3, v62
	s_mov_b32 s41, exec_lo
	v_cmpx_gt_u32_e32 8, v62
; %bb.62:                               ;   in Loop: Header=BB203_10 Depth=1
	v_ffbh_u32_e32 v60, v31
	v_min_u32_e32 v60, 32, v60
	v_subrev_nc_u32_e32 v62, 28, v60
	v_sub_nc_u32_e32 v60, 29, v60
	v_lshlrev_b64 v[62:63], v62, v[31:32]
	v_and_b32_e32 v31, 7, v62
; %bb.63:                               ;   in Loop: Header=BB203_10 Depth=1
	s_or_b32 exec_lo, exec_lo, s41
	v_lshlrev_b32_e32 v61, 24, v61
	v_lshlrev_b32_e32 v31, 20, v31
	v_lshl_add_u32 v60, v60, 23, 0x3c000000
	v_and_b32_e32 v61, 0x80000000, v61
	v_or3_b32 v60, v31, v61, v60
.LBB203_64:                             ;   in Loop: Header=BB203_10 Depth=1
	s_or_b32 exec_lo, exec_lo, s40
.LBB203_65:                             ;   in Loop: Header=BB203_10 Depth=1
	s_or_b32 exec_lo, exec_lo, s39
.LBB203_66:                             ;   in Loop: Header=BB203_10 Depth=1
	s_or_b32 exec_lo, exec_lo, s3
	global_load_ubyte v61, v[39:40], off offset:140
	s_mov_b32 s3, exec_lo
	s_waitcnt vmcnt(0)
	v_cmpx_ne_u16_e32 0, v61
	s_cbranch_execz .LBB203_74
; %bb.67:                               ;   in Loop: Header=BB203_10 Depth=1
	v_bfrev_b32_e32 v59, 1
	s_mov_b32 s39, exec_lo
	v_cmpx_ne_u16_e32 0x80, v61
	s_cbranch_execz .LBB203_73
; %bb.68:                               ;   in Loop: Header=BB203_10 Depth=1
	v_and_b32_sdwa v62, v61, v50 dst_sel:DWORD dst_unused:UNUSED_PAD src0_sel:WORD_0 src1_sel:DWORD
	v_mov_b32_e32 v59, 0x7f800001
	s_mov_b32 s40, exec_lo
	v_cmpx_ne_u32_e32 0x7f, v62
	s_cbranch_execz .LBB203_72
; %bb.69:                               ;   in Loop: Header=BB203_10 Depth=1
	v_and_b32_sdwa v31, v61, v51 dst_sel:DWORD dst_unused:UNUSED_PAD src0_sel:WORD_0 src1_sel:DWORD
	v_lshrrev_b32_e32 v59, 3, v62
	s_mov_b32 s41, exec_lo
	v_cmpx_gt_u32_e32 8, v62
; %bb.70:                               ;   in Loop: Header=BB203_10 Depth=1
	v_ffbh_u32_e32 v59, v31
	v_min_u32_e32 v59, 32, v59
	v_subrev_nc_u32_e32 v62, 28, v59
	v_sub_nc_u32_e32 v59, 29, v59
	v_lshlrev_b64 v[62:63], v62, v[31:32]
	v_and_b32_e32 v31, 7, v62
; %bb.71:                               ;   in Loop: Header=BB203_10 Depth=1
	s_or_b32 exec_lo, exec_lo, s41
	v_lshlrev_b32_e32 v61, 24, v61
	v_lshlrev_b32_e32 v31, 20, v31
	v_lshl_add_u32 v59, v59, 23, 0x3c000000
	v_and_b32_e32 v61, 0x80000000, v61
	v_or3_b32 v59, v31, v61, v59
.LBB203_72:                             ;   in Loop: Header=BB203_10 Depth=1
	s_or_b32 exec_lo, exec_lo, s40
.LBB203_73:                             ;   in Loop: Header=BB203_10 Depth=1
	s_or_b32 exec_lo, exec_lo, s39
.LBB203_74:                             ;   in Loop: Header=BB203_10 Depth=1
	s_or_b32 exec_lo, exec_lo, s3
	global_load_ubyte v63, v[39:40], off offset:256
	v_mov_b32_e32 v61, 0
	v_mov_b32_e32 v62, 0
	s_mov_b32 s3, exec_lo
	s_waitcnt vmcnt(0)
	v_cmpx_ne_u16_e32 0, v63
	s_cbranch_execz .LBB203_82
; %bb.75:                               ;   in Loop: Header=BB203_10 Depth=1
	v_bfrev_b32_e32 v62, 1
	s_mov_b32 s39, exec_lo
	v_cmpx_ne_u16_e32 0x80, v63
	s_cbranch_execz .LBB203_81
; %bb.76:                               ;   in Loop: Header=BB203_10 Depth=1
	v_and_b32_sdwa v64, v63, v50 dst_sel:DWORD dst_unused:UNUSED_PAD src0_sel:WORD_0 src1_sel:DWORD
	v_mov_b32_e32 v62, 0x7f800001
	s_mov_b32 s40, exec_lo
	v_cmpx_ne_u32_e32 0x7f, v64
	s_cbranch_execz .LBB203_80
; %bb.77:                               ;   in Loop: Header=BB203_10 Depth=1
	v_and_b32_sdwa v31, v63, v51 dst_sel:DWORD dst_unused:UNUSED_PAD src0_sel:WORD_0 src1_sel:DWORD
	v_lshrrev_b32_e32 v62, 3, v64
	s_mov_b32 s41, exec_lo
	v_cmpx_gt_u32_e32 8, v64
; %bb.78:                               ;   in Loop: Header=BB203_10 Depth=1
	v_ffbh_u32_e32 v62, v31
	v_min_u32_e32 v62, 32, v62
	v_subrev_nc_u32_e32 v64, 28, v62
	v_sub_nc_u32_e32 v62, 29, v62
	v_lshlrev_b64 v[64:65], v64, v[31:32]
	v_and_b32_e32 v31, 7, v64
; %bb.79:                               ;   in Loop: Header=BB203_10 Depth=1
	s_or_b32 exec_lo, exec_lo, s41
	v_lshlrev_b32_e32 v63, 24, v63
	v_lshlrev_b32_e32 v31, 20, v31
	v_lshl_add_u32 v62, v62, 23, 0x3c000000
	v_and_b32_e32 v63, 0x80000000, v63
	v_or3_b32 v62, v31, v63, v62
.LBB203_80:                             ;   in Loop: Header=BB203_10 Depth=1
	s_or_b32 exec_lo, exec_lo, s40
.LBB203_81:                             ;   in Loop: Header=BB203_10 Depth=1
	s_or_b32 exec_lo, exec_lo, s39
.LBB203_82:                             ;   in Loop: Header=BB203_10 Depth=1
	s_or_b32 exec_lo, exec_lo, s3
	global_load_ubyte v63, v[39:40], off offset:260
	s_mov_b32 s3, exec_lo
	s_waitcnt vmcnt(0)
	v_cmpx_ne_u16_e32 0, v63
	s_cbranch_execz .LBB203_90
; %bb.83:                               ;   in Loop: Header=BB203_10 Depth=1
	v_bfrev_b32_e32 v61, 1
	s_mov_b32 s39, exec_lo
	v_cmpx_ne_u16_e32 0x80, v63
	s_cbranch_execz .LBB203_89
; %bb.84:                               ;   in Loop: Header=BB203_10 Depth=1
	v_and_b32_sdwa v64, v63, v50 dst_sel:DWORD dst_unused:UNUSED_PAD src0_sel:WORD_0 src1_sel:DWORD
	v_mov_b32_e32 v61, 0x7f800001
	s_mov_b32 s40, exec_lo
	v_cmpx_ne_u32_e32 0x7f, v64
	s_cbranch_execz .LBB203_88
; %bb.85:                               ;   in Loop: Header=BB203_10 Depth=1
	v_and_b32_sdwa v31, v63, v51 dst_sel:DWORD dst_unused:UNUSED_PAD src0_sel:WORD_0 src1_sel:DWORD
	v_lshrrev_b32_e32 v61, 3, v64
	s_mov_b32 s41, exec_lo
	v_cmpx_gt_u32_e32 8, v64
; %bb.86:                               ;   in Loop: Header=BB203_10 Depth=1
	v_ffbh_u32_e32 v61, v31
	v_min_u32_e32 v61, 32, v61
	v_subrev_nc_u32_e32 v64, 28, v61
	v_sub_nc_u32_e32 v61, 29, v61
	v_lshlrev_b64 v[64:65], v64, v[31:32]
	v_and_b32_e32 v31, 7, v64
; %bb.87:                               ;   in Loop: Header=BB203_10 Depth=1
	s_or_b32 exec_lo, exec_lo, s41
	v_lshlrev_b32_e32 v63, 24, v63
	v_lshlrev_b32_e32 v31, 20, v31
	v_lshl_add_u32 v61, v61, 23, 0x3c000000
	v_and_b32_e32 v63, 0x80000000, v63
	v_or3_b32 v61, v31, v63, v61
.LBB203_88:                             ;   in Loop: Header=BB203_10 Depth=1
	s_or_b32 exec_lo, exec_lo, s40
.LBB203_89:                             ;   in Loop: Header=BB203_10 Depth=1
	s_or_b32 exec_lo, exec_lo, s39
.LBB203_90:                             ;   in Loop: Header=BB203_10 Depth=1
	s_or_b32 exec_lo, exec_lo, s3
	global_load_ubyte v65, v[39:40], off offset:264
	v_mov_b32_e32 v63, 0
	v_mov_b32_e32 v64, 0
	s_mov_b32 s3, exec_lo
	s_waitcnt vmcnt(0)
	v_cmpx_ne_u16_e32 0, v65
	s_cbranch_execz .LBB203_98
; %bb.91:                               ;   in Loop: Header=BB203_10 Depth=1
	v_bfrev_b32_e32 v64, 1
	s_mov_b32 s39, exec_lo
	v_cmpx_ne_u16_e32 0x80, v65
	s_cbranch_execz .LBB203_97
; %bb.92:                               ;   in Loop: Header=BB203_10 Depth=1
	v_and_b32_sdwa v66, v65, v50 dst_sel:DWORD dst_unused:UNUSED_PAD src0_sel:WORD_0 src1_sel:DWORD
	v_mov_b32_e32 v64, 0x7f800001
	s_mov_b32 s40, exec_lo
	v_cmpx_ne_u32_e32 0x7f, v66
	s_cbranch_execz .LBB203_96
; %bb.93:                               ;   in Loop: Header=BB203_10 Depth=1
	v_and_b32_sdwa v31, v65, v51 dst_sel:DWORD dst_unused:UNUSED_PAD src0_sel:WORD_0 src1_sel:DWORD
	v_lshrrev_b32_e32 v64, 3, v66
	s_mov_b32 s41, exec_lo
	v_cmpx_gt_u32_e32 8, v66
; %bb.94:                               ;   in Loop: Header=BB203_10 Depth=1
	v_ffbh_u32_e32 v64, v31
	v_min_u32_e32 v64, 32, v64
	v_subrev_nc_u32_e32 v66, 28, v64
	v_sub_nc_u32_e32 v64, 29, v64
	v_lshlrev_b64 v[66:67], v66, v[31:32]
	v_and_b32_e32 v31, 7, v66
; %bb.95:                               ;   in Loop: Header=BB203_10 Depth=1
	s_or_b32 exec_lo, exec_lo, s41
	v_lshlrev_b32_e32 v65, 24, v65
	v_lshlrev_b32_e32 v31, 20, v31
	v_lshl_add_u32 v64, v64, 23, 0x3c000000
	v_and_b32_e32 v65, 0x80000000, v65
	v_or3_b32 v64, v31, v65, v64
.LBB203_96:                             ;   in Loop: Header=BB203_10 Depth=1
	s_or_b32 exec_lo, exec_lo, s40
.LBB203_97:                             ;   in Loop: Header=BB203_10 Depth=1
	s_or_b32 exec_lo, exec_lo, s39
.LBB203_98:                             ;   in Loop: Header=BB203_10 Depth=1
	s_or_b32 exec_lo, exec_lo, s3
	global_load_ubyte v65, v[39:40], off offset:268
	s_mov_b32 s3, exec_lo
	s_waitcnt vmcnt(0)
	v_cmpx_ne_u16_e32 0, v65
	s_cbranch_execz .LBB203_106
; %bb.99:                               ;   in Loop: Header=BB203_10 Depth=1
	v_bfrev_b32_e32 v63, 1
	s_mov_b32 s39, exec_lo
	v_cmpx_ne_u16_e32 0x80, v65
	s_cbranch_execz .LBB203_105
; %bb.100:                              ;   in Loop: Header=BB203_10 Depth=1
	v_and_b32_sdwa v66, v65, v50 dst_sel:DWORD dst_unused:UNUSED_PAD src0_sel:WORD_0 src1_sel:DWORD
	v_mov_b32_e32 v63, 0x7f800001
	s_mov_b32 s40, exec_lo
	v_cmpx_ne_u32_e32 0x7f, v66
	s_cbranch_execz .LBB203_104
; %bb.101:                              ;   in Loop: Header=BB203_10 Depth=1
	v_and_b32_sdwa v31, v65, v51 dst_sel:DWORD dst_unused:UNUSED_PAD src0_sel:WORD_0 src1_sel:DWORD
	v_lshrrev_b32_e32 v63, 3, v66
	s_mov_b32 s41, exec_lo
	v_cmpx_gt_u32_e32 8, v66
; %bb.102:                              ;   in Loop: Header=BB203_10 Depth=1
	v_ffbh_u32_e32 v63, v31
	v_min_u32_e32 v63, 32, v63
	v_subrev_nc_u32_e32 v66, 28, v63
	v_sub_nc_u32_e32 v63, 29, v63
	v_lshlrev_b64 v[66:67], v66, v[31:32]
	v_and_b32_e32 v31, 7, v66
; %bb.103:                              ;   in Loop: Header=BB203_10 Depth=1
	s_or_b32 exec_lo, exec_lo, s41
	v_lshlrev_b32_e32 v65, 24, v65
	v_lshlrev_b32_e32 v31, 20, v31
	v_lshl_add_u32 v63, v63, 23, 0x3c000000
	v_and_b32_e32 v65, 0x80000000, v65
	v_or3_b32 v63, v31, v65, v63
.LBB203_104:                            ;   in Loop: Header=BB203_10 Depth=1
	s_or_b32 exec_lo, exec_lo, s40
.LBB203_105:                            ;   in Loop: Header=BB203_10 Depth=1
	s_or_b32 exec_lo, exec_lo, s39
.LBB203_106:                            ;   in Loop: Header=BB203_10 Depth=1
	s_or_b32 exec_lo, exec_lo, s3
	global_load_ubyte v67, v[39:40], off offset:384
	v_mov_b32_e32 v65, 0
	v_mov_b32_e32 v66, 0
	s_mov_b32 s3, exec_lo
	s_waitcnt vmcnt(0)
	v_cmpx_ne_u16_e32 0, v67
	s_cbranch_execz .LBB203_114
; %bb.107:                              ;   in Loop: Header=BB203_10 Depth=1
	v_bfrev_b32_e32 v66, 1
	s_mov_b32 s39, exec_lo
	v_cmpx_ne_u16_e32 0x80, v67
	s_cbranch_execz .LBB203_113
; %bb.108:                              ;   in Loop: Header=BB203_10 Depth=1
	v_and_b32_sdwa v68, v67, v50 dst_sel:DWORD dst_unused:UNUSED_PAD src0_sel:WORD_0 src1_sel:DWORD
	v_mov_b32_e32 v66, 0x7f800001
	s_mov_b32 s40, exec_lo
	v_cmpx_ne_u32_e32 0x7f, v68
	s_cbranch_execz .LBB203_112
; %bb.109:                              ;   in Loop: Header=BB203_10 Depth=1
	v_and_b32_sdwa v31, v67, v51 dst_sel:DWORD dst_unused:UNUSED_PAD src0_sel:WORD_0 src1_sel:DWORD
	v_lshrrev_b32_e32 v66, 3, v68
	s_mov_b32 s41, exec_lo
	v_cmpx_gt_u32_e32 8, v68
; %bb.110:                              ;   in Loop: Header=BB203_10 Depth=1
	v_ffbh_u32_e32 v66, v31
	v_min_u32_e32 v66, 32, v66
	v_subrev_nc_u32_e32 v68, 28, v66
	v_sub_nc_u32_e32 v66, 29, v66
	v_lshlrev_b64 v[68:69], v68, v[31:32]
	v_and_b32_e32 v31, 7, v68
; %bb.111:                              ;   in Loop: Header=BB203_10 Depth=1
	s_or_b32 exec_lo, exec_lo, s41
	v_lshlrev_b32_e32 v67, 24, v67
	v_lshlrev_b32_e32 v31, 20, v31
	v_lshl_add_u32 v66, v66, 23, 0x3c000000
	v_and_b32_e32 v67, 0x80000000, v67
	v_or3_b32 v66, v31, v67, v66
.LBB203_112:                            ;   in Loop: Header=BB203_10 Depth=1
	s_or_b32 exec_lo, exec_lo, s40
.LBB203_113:                            ;   in Loop: Header=BB203_10 Depth=1
	s_or_b32 exec_lo, exec_lo, s39
.LBB203_114:                            ;   in Loop: Header=BB203_10 Depth=1
	s_or_b32 exec_lo, exec_lo, s3
	global_load_ubyte v67, v[39:40], off offset:388
	s_mov_b32 s3, exec_lo
	s_waitcnt vmcnt(0)
	v_cmpx_ne_u16_e32 0, v67
	s_cbranch_execz .LBB203_122
; %bb.115:                              ;   in Loop: Header=BB203_10 Depth=1
	v_bfrev_b32_e32 v65, 1
	s_mov_b32 s39, exec_lo
	v_cmpx_ne_u16_e32 0x80, v67
	s_cbranch_execz .LBB203_121
; %bb.116:                              ;   in Loop: Header=BB203_10 Depth=1
	v_and_b32_sdwa v68, v67, v50 dst_sel:DWORD dst_unused:UNUSED_PAD src0_sel:WORD_0 src1_sel:DWORD
	v_mov_b32_e32 v65, 0x7f800001
	s_mov_b32 s40, exec_lo
	v_cmpx_ne_u32_e32 0x7f, v68
	s_cbranch_execz .LBB203_120
; %bb.117:                              ;   in Loop: Header=BB203_10 Depth=1
	v_and_b32_sdwa v31, v67, v51 dst_sel:DWORD dst_unused:UNUSED_PAD src0_sel:WORD_0 src1_sel:DWORD
	v_lshrrev_b32_e32 v65, 3, v68
	s_mov_b32 s41, exec_lo
	v_cmpx_gt_u32_e32 8, v68
; %bb.118:                              ;   in Loop: Header=BB203_10 Depth=1
	v_ffbh_u32_e32 v65, v31
	v_min_u32_e32 v65, 32, v65
	v_subrev_nc_u32_e32 v68, 28, v65
	v_sub_nc_u32_e32 v65, 29, v65
	v_lshlrev_b64 v[68:69], v68, v[31:32]
	v_and_b32_e32 v31, 7, v68
; %bb.119:                              ;   in Loop: Header=BB203_10 Depth=1
	s_or_b32 exec_lo, exec_lo, s41
	v_lshlrev_b32_e32 v67, 24, v67
	v_lshlrev_b32_e32 v31, 20, v31
	v_lshl_add_u32 v65, v65, 23, 0x3c000000
	v_and_b32_e32 v67, 0x80000000, v67
	v_or3_b32 v65, v31, v67, v65
.LBB203_120:                            ;   in Loop: Header=BB203_10 Depth=1
	s_or_b32 exec_lo, exec_lo, s40
.LBB203_121:                            ;   in Loop: Header=BB203_10 Depth=1
	s_or_b32 exec_lo, exec_lo, s39
.LBB203_122:                            ;   in Loop: Header=BB203_10 Depth=1
	s_or_b32 exec_lo, exec_lo, s3
	global_load_ubyte v69, v[39:40], off offset:392
	v_mov_b32_e32 v67, 0
	v_mov_b32_e32 v68, 0
	s_mov_b32 s3, exec_lo
	s_waitcnt vmcnt(0)
	v_cmpx_ne_u16_e32 0, v69
	s_cbranch_execz .LBB203_130
; %bb.123:                              ;   in Loop: Header=BB203_10 Depth=1
	v_bfrev_b32_e32 v68, 1
	s_mov_b32 s39, exec_lo
	v_cmpx_ne_u16_e32 0x80, v69
	s_cbranch_execz .LBB203_129
; %bb.124:                              ;   in Loop: Header=BB203_10 Depth=1
	v_and_b32_sdwa v70, v69, v50 dst_sel:DWORD dst_unused:UNUSED_PAD src0_sel:WORD_0 src1_sel:DWORD
	v_mov_b32_e32 v68, 0x7f800001
	s_mov_b32 s40, exec_lo
	v_cmpx_ne_u32_e32 0x7f, v70
	s_cbranch_execz .LBB203_128
; %bb.125:                              ;   in Loop: Header=BB203_10 Depth=1
	v_and_b32_sdwa v31, v69, v51 dst_sel:DWORD dst_unused:UNUSED_PAD src0_sel:WORD_0 src1_sel:DWORD
	v_lshrrev_b32_e32 v68, 3, v70
	s_mov_b32 s41, exec_lo
	v_cmpx_gt_u32_e32 8, v70
; %bb.126:                              ;   in Loop: Header=BB203_10 Depth=1
	v_ffbh_u32_e32 v68, v31
	v_min_u32_e32 v68, 32, v68
	v_subrev_nc_u32_e32 v70, 28, v68
	v_sub_nc_u32_e32 v68, 29, v68
	v_lshlrev_b64 v[70:71], v70, v[31:32]
	v_and_b32_e32 v31, 7, v70
; %bb.127:                              ;   in Loop: Header=BB203_10 Depth=1
	s_or_b32 exec_lo, exec_lo, s41
	v_lshlrev_b32_e32 v69, 24, v69
	v_lshlrev_b32_e32 v31, 20, v31
	v_lshl_add_u32 v68, v68, 23, 0x3c000000
	v_and_b32_e32 v69, 0x80000000, v69
	v_or3_b32 v68, v31, v69, v68
.LBB203_128:                            ;   in Loop: Header=BB203_10 Depth=1
	s_or_b32 exec_lo, exec_lo, s40
.LBB203_129:                            ;   in Loop: Header=BB203_10 Depth=1
	s_or_b32 exec_lo, exec_lo, s39
.LBB203_130:                            ;   in Loop: Header=BB203_10 Depth=1
	s_or_b32 exec_lo, exec_lo, s3
	global_load_ubyte v69, v[39:40], off offset:396
	s_mov_b32 s3, exec_lo
	s_waitcnt vmcnt(0)
	v_cmpx_ne_u16_e32 0, v69
	s_cbranch_execz .LBB203_138
; %bb.131:                              ;   in Loop: Header=BB203_10 Depth=1
	v_bfrev_b32_e32 v67, 1
	s_mov_b32 s39, exec_lo
	v_cmpx_ne_u16_e32 0x80, v69
	s_cbranch_execz .LBB203_137
; %bb.132:                              ;   in Loop: Header=BB203_10 Depth=1
	v_and_b32_sdwa v70, v69, v50 dst_sel:DWORD dst_unused:UNUSED_PAD src0_sel:WORD_0 src1_sel:DWORD
	v_mov_b32_e32 v67, 0x7f800001
	s_mov_b32 s40, exec_lo
	v_cmpx_ne_u32_e32 0x7f, v70
	s_cbranch_execz .LBB203_136
; %bb.133:                              ;   in Loop: Header=BB203_10 Depth=1
	v_and_b32_sdwa v31, v69, v51 dst_sel:DWORD dst_unused:UNUSED_PAD src0_sel:WORD_0 src1_sel:DWORD
	v_lshrrev_b32_e32 v67, 3, v70
	s_mov_b32 s41, exec_lo
	v_cmpx_gt_u32_e32 8, v70
; %bb.134:                              ;   in Loop: Header=BB203_10 Depth=1
	v_ffbh_u32_e32 v67, v31
	v_min_u32_e32 v67, 32, v67
	v_subrev_nc_u32_e32 v70, 28, v67
	v_sub_nc_u32_e32 v67, 29, v67
	v_lshlrev_b64 v[70:71], v70, v[31:32]
	v_and_b32_e32 v31, 7, v70
; %bb.135:                              ;   in Loop: Header=BB203_10 Depth=1
	s_or_b32 exec_lo, exec_lo, s41
	v_lshlrev_b32_e32 v69, 24, v69
	v_lshlrev_b32_e32 v31, 20, v31
	v_lshl_add_u32 v67, v67, 23, 0x3c000000
	v_and_b32_e32 v69, 0x80000000, v69
	v_or3_b32 v67, v31, v69, v67
.LBB203_136:                            ;   in Loop: Header=BB203_10 Depth=1
	s_or_b32 exec_lo, exec_lo, s40
.LBB203_137:                            ;   in Loop: Header=BB203_10 Depth=1
	s_or_b32 exec_lo, exec_lo, s39
.LBB203_138:                            ;   in Loop: Header=BB203_10 Depth=1
	s_or_b32 exec_lo, exec_lo, s3
	global_load_ubyte v71, v[39:40], off offset:512
	v_mov_b32_e32 v69, 0
	v_mov_b32_e32 v70, 0
	s_mov_b32 s3, exec_lo
	s_waitcnt vmcnt(0)
	v_cmpx_ne_u16_e32 0, v71
	s_cbranch_execz .LBB203_146
; %bb.139:                              ;   in Loop: Header=BB203_10 Depth=1
	v_bfrev_b32_e32 v70, 1
	s_mov_b32 s39, exec_lo
	v_cmpx_ne_u16_e32 0x80, v71
	s_cbranch_execz .LBB203_145
; %bb.140:                              ;   in Loop: Header=BB203_10 Depth=1
	v_and_b32_sdwa v72, v71, v50 dst_sel:DWORD dst_unused:UNUSED_PAD src0_sel:WORD_0 src1_sel:DWORD
	v_mov_b32_e32 v70, 0x7f800001
	s_mov_b32 s40, exec_lo
	v_cmpx_ne_u32_e32 0x7f, v72
	s_cbranch_execz .LBB203_144
; %bb.141:                              ;   in Loop: Header=BB203_10 Depth=1
	v_and_b32_sdwa v31, v71, v51 dst_sel:DWORD dst_unused:UNUSED_PAD src0_sel:WORD_0 src1_sel:DWORD
	v_lshrrev_b32_e32 v70, 3, v72
	s_mov_b32 s41, exec_lo
	v_cmpx_gt_u32_e32 8, v72
; %bb.142:                              ;   in Loop: Header=BB203_10 Depth=1
	v_ffbh_u32_e32 v70, v31
	v_min_u32_e32 v70, 32, v70
	v_subrev_nc_u32_e32 v72, 28, v70
	v_sub_nc_u32_e32 v70, 29, v70
	v_lshlrev_b64 v[72:73], v72, v[31:32]
	v_and_b32_e32 v31, 7, v72
; %bb.143:                              ;   in Loop: Header=BB203_10 Depth=1
	s_or_b32 exec_lo, exec_lo, s41
	v_lshlrev_b32_e32 v71, 24, v71
	v_lshlrev_b32_e32 v31, 20, v31
	v_lshl_add_u32 v70, v70, 23, 0x3c000000
	v_and_b32_e32 v71, 0x80000000, v71
	v_or3_b32 v70, v31, v71, v70
.LBB203_144:                            ;   in Loop: Header=BB203_10 Depth=1
	s_or_b32 exec_lo, exec_lo, s40
.LBB203_145:                            ;   in Loop: Header=BB203_10 Depth=1
	s_or_b32 exec_lo, exec_lo, s39
.LBB203_146:                            ;   in Loop: Header=BB203_10 Depth=1
	s_or_b32 exec_lo, exec_lo, s3
	global_load_ubyte v71, v[39:40], off offset:516
	s_mov_b32 s3, exec_lo
	s_waitcnt vmcnt(0)
	v_cmpx_ne_u16_e32 0, v71
	s_cbranch_execz .LBB203_154
; %bb.147:                              ;   in Loop: Header=BB203_10 Depth=1
	v_bfrev_b32_e32 v69, 1
	s_mov_b32 s39, exec_lo
	v_cmpx_ne_u16_e32 0x80, v71
	s_cbranch_execz .LBB203_153
; %bb.148:                              ;   in Loop: Header=BB203_10 Depth=1
	v_and_b32_sdwa v72, v71, v50 dst_sel:DWORD dst_unused:UNUSED_PAD src0_sel:WORD_0 src1_sel:DWORD
	v_mov_b32_e32 v69, 0x7f800001
	s_mov_b32 s40, exec_lo
	v_cmpx_ne_u32_e32 0x7f, v72
	s_cbranch_execz .LBB203_152
; %bb.149:                              ;   in Loop: Header=BB203_10 Depth=1
	v_and_b32_sdwa v31, v71, v51 dst_sel:DWORD dst_unused:UNUSED_PAD src0_sel:WORD_0 src1_sel:DWORD
	v_lshrrev_b32_e32 v69, 3, v72
	s_mov_b32 s41, exec_lo
	v_cmpx_gt_u32_e32 8, v72
; %bb.150:                              ;   in Loop: Header=BB203_10 Depth=1
	v_ffbh_u32_e32 v69, v31
	v_min_u32_e32 v69, 32, v69
	v_subrev_nc_u32_e32 v72, 28, v69
	v_sub_nc_u32_e32 v69, 29, v69
	v_lshlrev_b64 v[72:73], v72, v[31:32]
	v_and_b32_e32 v31, 7, v72
; %bb.151:                              ;   in Loop: Header=BB203_10 Depth=1
	s_or_b32 exec_lo, exec_lo, s41
	v_lshlrev_b32_e32 v71, 24, v71
	v_lshlrev_b32_e32 v31, 20, v31
	v_lshl_add_u32 v69, v69, 23, 0x3c000000
	v_and_b32_e32 v71, 0x80000000, v71
	v_or3_b32 v69, v31, v71, v69
.LBB203_152:                            ;   in Loop: Header=BB203_10 Depth=1
	s_or_b32 exec_lo, exec_lo, s40
.LBB203_153:                            ;   in Loop: Header=BB203_10 Depth=1
	s_or_b32 exec_lo, exec_lo, s39
.LBB203_154:                            ;   in Loop: Header=BB203_10 Depth=1
	s_or_b32 exec_lo, exec_lo, s3
	global_load_ubyte v73, v[39:40], off offset:520
	v_mov_b32_e32 v71, 0
	v_mov_b32_e32 v72, 0
	s_mov_b32 s3, exec_lo
	s_waitcnt vmcnt(0)
	v_cmpx_ne_u16_e32 0, v73
	s_cbranch_execz .LBB203_162
; %bb.155:                              ;   in Loop: Header=BB203_10 Depth=1
	v_bfrev_b32_e32 v72, 1
	s_mov_b32 s39, exec_lo
	v_cmpx_ne_u16_e32 0x80, v73
	s_cbranch_execz .LBB203_161
; %bb.156:                              ;   in Loop: Header=BB203_10 Depth=1
	v_and_b32_sdwa v74, v73, v50 dst_sel:DWORD dst_unused:UNUSED_PAD src0_sel:WORD_0 src1_sel:DWORD
	v_mov_b32_e32 v72, 0x7f800001
	s_mov_b32 s40, exec_lo
	v_cmpx_ne_u32_e32 0x7f, v74
	s_cbranch_execz .LBB203_160
; %bb.157:                              ;   in Loop: Header=BB203_10 Depth=1
	v_and_b32_sdwa v31, v73, v51 dst_sel:DWORD dst_unused:UNUSED_PAD src0_sel:WORD_0 src1_sel:DWORD
	v_lshrrev_b32_e32 v72, 3, v74
	s_mov_b32 s41, exec_lo
	v_cmpx_gt_u32_e32 8, v74
; %bb.158:                              ;   in Loop: Header=BB203_10 Depth=1
	v_ffbh_u32_e32 v72, v31
	v_min_u32_e32 v72, 32, v72
	v_subrev_nc_u32_e32 v74, 28, v72
	v_sub_nc_u32_e32 v72, 29, v72
	v_lshlrev_b64 v[74:75], v74, v[31:32]
	v_and_b32_e32 v31, 7, v74
; %bb.159:                              ;   in Loop: Header=BB203_10 Depth=1
	s_or_b32 exec_lo, exec_lo, s41
	v_lshlrev_b32_e32 v73, 24, v73
	v_lshlrev_b32_e32 v31, 20, v31
	v_lshl_add_u32 v72, v72, 23, 0x3c000000
	v_and_b32_e32 v73, 0x80000000, v73
	v_or3_b32 v72, v31, v73, v72
.LBB203_160:                            ;   in Loop: Header=BB203_10 Depth=1
	s_or_b32 exec_lo, exec_lo, s40
.LBB203_161:                            ;   in Loop: Header=BB203_10 Depth=1
	s_or_b32 exec_lo, exec_lo, s39
.LBB203_162:                            ;   in Loop: Header=BB203_10 Depth=1
	s_or_b32 exec_lo, exec_lo, s3
	global_load_ubyte v73, v[39:40], off offset:524
	s_mov_b32 s3, exec_lo
	s_waitcnt vmcnt(0)
	v_cmpx_ne_u16_e32 0, v73
	s_cbranch_execz .LBB203_170
; %bb.163:                              ;   in Loop: Header=BB203_10 Depth=1
	v_bfrev_b32_e32 v71, 1
	s_mov_b32 s39, exec_lo
	v_cmpx_ne_u16_e32 0x80, v73
	s_cbranch_execz .LBB203_169
; %bb.164:                              ;   in Loop: Header=BB203_10 Depth=1
	v_and_b32_sdwa v74, v73, v50 dst_sel:DWORD dst_unused:UNUSED_PAD src0_sel:WORD_0 src1_sel:DWORD
	v_mov_b32_e32 v71, 0x7f800001
	s_mov_b32 s40, exec_lo
	v_cmpx_ne_u32_e32 0x7f, v74
	s_cbranch_execz .LBB203_168
; %bb.165:                              ;   in Loop: Header=BB203_10 Depth=1
	v_and_b32_sdwa v31, v73, v51 dst_sel:DWORD dst_unused:UNUSED_PAD src0_sel:WORD_0 src1_sel:DWORD
	v_lshrrev_b32_e32 v71, 3, v74
	s_mov_b32 s41, exec_lo
	v_cmpx_gt_u32_e32 8, v74
; %bb.166:                              ;   in Loop: Header=BB203_10 Depth=1
	v_ffbh_u32_e32 v71, v31
	v_min_u32_e32 v71, 32, v71
	v_subrev_nc_u32_e32 v74, 28, v71
	v_sub_nc_u32_e32 v71, 29, v71
	v_lshlrev_b64 v[74:75], v74, v[31:32]
	v_and_b32_e32 v31, 7, v74
; %bb.167:                              ;   in Loop: Header=BB203_10 Depth=1
	s_or_b32 exec_lo, exec_lo, s41
	v_lshlrev_b32_e32 v73, 24, v73
	v_lshlrev_b32_e32 v31, 20, v31
	v_lshl_add_u32 v71, v71, 23, 0x3c000000
	v_and_b32_e32 v73, 0x80000000, v73
	v_or3_b32 v71, v31, v73, v71
.LBB203_168:                            ;   in Loop: Header=BB203_10 Depth=1
	s_or_b32 exec_lo, exec_lo, s40
.LBB203_169:                            ;   in Loop: Header=BB203_10 Depth=1
	s_or_b32 exec_lo, exec_lo, s39
.LBB203_170:                            ;   in Loop: Header=BB203_10 Depth=1
	s_or_b32 exec_lo, exec_lo, s3
	global_load_ubyte v75, v[39:40], off offset:640
	v_mov_b32_e32 v73, 0
	v_mov_b32_e32 v74, 0
	s_mov_b32 s3, exec_lo
	s_waitcnt vmcnt(0)
	v_cmpx_ne_u16_e32 0, v75
	s_cbranch_execz .LBB203_178
; %bb.171:                              ;   in Loop: Header=BB203_10 Depth=1
	v_bfrev_b32_e32 v74, 1
	s_mov_b32 s39, exec_lo
	v_cmpx_ne_u16_e32 0x80, v75
	s_cbranch_execz .LBB203_177
; %bb.172:                              ;   in Loop: Header=BB203_10 Depth=1
	v_and_b32_sdwa v76, v75, v50 dst_sel:DWORD dst_unused:UNUSED_PAD src0_sel:WORD_0 src1_sel:DWORD
	v_mov_b32_e32 v74, 0x7f800001
	s_mov_b32 s40, exec_lo
	v_cmpx_ne_u32_e32 0x7f, v76
	s_cbranch_execz .LBB203_176
; %bb.173:                              ;   in Loop: Header=BB203_10 Depth=1
	v_and_b32_sdwa v31, v75, v51 dst_sel:DWORD dst_unused:UNUSED_PAD src0_sel:WORD_0 src1_sel:DWORD
	v_lshrrev_b32_e32 v74, 3, v76
	s_mov_b32 s41, exec_lo
	v_cmpx_gt_u32_e32 8, v76
; %bb.174:                              ;   in Loop: Header=BB203_10 Depth=1
	v_ffbh_u32_e32 v74, v31
	v_min_u32_e32 v74, 32, v74
	v_subrev_nc_u32_e32 v76, 28, v74
	v_sub_nc_u32_e32 v74, 29, v74
	v_lshlrev_b64 v[76:77], v76, v[31:32]
	v_and_b32_e32 v31, 7, v76
; %bb.175:                              ;   in Loop: Header=BB203_10 Depth=1
	s_or_b32 exec_lo, exec_lo, s41
	v_lshlrev_b32_e32 v75, 24, v75
	v_lshlrev_b32_e32 v31, 20, v31
	v_lshl_add_u32 v74, v74, 23, 0x3c000000
	v_and_b32_e32 v75, 0x80000000, v75
	v_or3_b32 v74, v31, v75, v74
.LBB203_176:                            ;   in Loop: Header=BB203_10 Depth=1
	s_or_b32 exec_lo, exec_lo, s40
.LBB203_177:                            ;   in Loop: Header=BB203_10 Depth=1
	s_or_b32 exec_lo, exec_lo, s39
.LBB203_178:                            ;   in Loop: Header=BB203_10 Depth=1
	s_or_b32 exec_lo, exec_lo, s3
	global_load_ubyte v75, v[39:40], off offset:644
	s_mov_b32 s3, exec_lo
	s_waitcnt vmcnt(0)
	v_cmpx_ne_u16_e32 0, v75
	s_cbranch_execz .LBB203_186
; %bb.179:                              ;   in Loop: Header=BB203_10 Depth=1
	v_bfrev_b32_e32 v73, 1
	s_mov_b32 s39, exec_lo
	v_cmpx_ne_u16_e32 0x80, v75
	s_cbranch_execz .LBB203_185
; %bb.180:                              ;   in Loop: Header=BB203_10 Depth=1
	v_and_b32_sdwa v76, v75, v50 dst_sel:DWORD dst_unused:UNUSED_PAD src0_sel:WORD_0 src1_sel:DWORD
	v_mov_b32_e32 v73, 0x7f800001
	s_mov_b32 s40, exec_lo
	v_cmpx_ne_u32_e32 0x7f, v76
	s_cbranch_execz .LBB203_184
; %bb.181:                              ;   in Loop: Header=BB203_10 Depth=1
	v_and_b32_sdwa v31, v75, v51 dst_sel:DWORD dst_unused:UNUSED_PAD src0_sel:WORD_0 src1_sel:DWORD
	v_lshrrev_b32_e32 v73, 3, v76
	s_mov_b32 s41, exec_lo
	v_cmpx_gt_u32_e32 8, v76
; %bb.182:                              ;   in Loop: Header=BB203_10 Depth=1
	v_ffbh_u32_e32 v73, v31
	v_min_u32_e32 v73, 32, v73
	v_subrev_nc_u32_e32 v76, 28, v73
	v_sub_nc_u32_e32 v73, 29, v73
	v_lshlrev_b64 v[76:77], v76, v[31:32]
	v_and_b32_e32 v31, 7, v76
; %bb.183:                              ;   in Loop: Header=BB203_10 Depth=1
	s_or_b32 exec_lo, exec_lo, s41
	v_lshlrev_b32_e32 v75, 24, v75
	v_lshlrev_b32_e32 v31, 20, v31
	v_lshl_add_u32 v73, v73, 23, 0x3c000000
	v_and_b32_e32 v75, 0x80000000, v75
	v_or3_b32 v73, v31, v75, v73
.LBB203_184:                            ;   in Loop: Header=BB203_10 Depth=1
	s_or_b32 exec_lo, exec_lo, s40
.LBB203_185:                            ;   in Loop: Header=BB203_10 Depth=1
	s_or_b32 exec_lo, exec_lo, s39
.LBB203_186:                            ;   in Loop: Header=BB203_10 Depth=1
	s_or_b32 exec_lo, exec_lo, s3
	global_load_ubyte v77, v[39:40], off offset:648
	v_mov_b32_e32 v75, 0
	v_mov_b32_e32 v76, 0
	s_mov_b32 s3, exec_lo
	s_waitcnt vmcnt(0)
	v_cmpx_ne_u16_e32 0, v77
	s_cbranch_execz .LBB203_194
; %bb.187:                              ;   in Loop: Header=BB203_10 Depth=1
	v_bfrev_b32_e32 v76, 1
	s_mov_b32 s39, exec_lo
	v_cmpx_ne_u16_e32 0x80, v77
	s_cbranch_execz .LBB203_193
; %bb.188:                              ;   in Loop: Header=BB203_10 Depth=1
	v_and_b32_sdwa v78, v77, v50 dst_sel:DWORD dst_unused:UNUSED_PAD src0_sel:WORD_0 src1_sel:DWORD
	v_mov_b32_e32 v76, 0x7f800001
	s_mov_b32 s40, exec_lo
	v_cmpx_ne_u32_e32 0x7f, v78
	s_cbranch_execz .LBB203_192
; %bb.189:                              ;   in Loop: Header=BB203_10 Depth=1
	v_and_b32_sdwa v31, v77, v51 dst_sel:DWORD dst_unused:UNUSED_PAD src0_sel:WORD_0 src1_sel:DWORD
	v_lshrrev_b32_e32 v76, 3, v78
	s_mov_b32 s41, exec_lo
	v_cmpx_gt_u32_e32 8, v78
; %bb.190:                              ;   in Loop: Header=BB203_10 Depth=1
	v_ffbh_u32_e32 v76, v31
	v_min_u32_e32 v76, 32, v76
	v_subrev_nc_u32_e32 v78, 28, v76
	v_sub_nc_u32_e32 v76, 29, v76
	v_lshlrev_b64 v[78:79], v78, v[31:32]
	v_and_b32_e32 v31, 7, v78
; %bb.191:                              ;   in Loop: Header=BB203_10 Depth=1
	s_or_b32 exec_lo, exec_lo, s41
	v_lshlrev_b32_e32 v77, 24, v77
	v_lshlrev_b32_e32 v31, 20, v31
	v_lshl_add_u32 v76, v76, 23, 0x3c000000
	v_and_b32_e32 v77, 0x80000000, v77
	v_or3_b32 v76, v31, v77, v76
.LBB203_192:                            ;   in Loop: Header=BB203_10 Depth=1
	s_or_b32 exec_lo, exec_lo, s40
.LBB203_193:                            ;   in Loop: Header=BB203_10 Depth=1
	s_or_b32 exec_lo, exec_lo, s39
.LBB203_194:                            ;   in Loop: Header=BB203_10 Depth=1
	s_or_b32 exec_lo, exec_lo, s3
	global_load_ubyte v77, v[39:40], off offset:652
	s_mov_b32 s3, exec_lo
	s_waitcnt vmcnt(0)
	v_cmpx_ne_u16_e32 0, v77
	s_cbranch_execz .LBB203_202
; %bb.195:                              ;   in Loop: Header=BB203_10 Depth=1
	v_bfrev_b32_e32 v75, 1
	s_mov_b32 s39, exec_lo
	v_cmpx_ne_u16_e32 0x80, v77
	s_cbranch_execz .LBB203_201
; %bb.196:                              ;   in Loop: Header=BB203_10 Depth=1
	v_and_b32_sdwa v78, v77, v50 dst_sel:DWORD dst_unused:UNUSED_PAD src0_sel:WORD_0 src1_sel:DWORD
	v_mov_b32_e32 v75, 0x7f800001
	s_mov_b32 s40, exec_lo
	v_cmpx_ne_u32_e32 0x7f, v78
	s_cbranch_execz .LBB203_200
; %bb.197:                              ;   in Loop: Header=BB203_10 Depth=1
	v_and_b32_sdwa v31, v77, v51 dst_sel:DWORD dst_unused:UNUSED_PAD src0_sel:WORD_0 src1_sel:DWORD
	v_lshrrev_b32_e32 v75, 3, v78
	s_mov_b32 s41, exec_lo
	v_cmpx_gt_u32_e32 8, v78
; %bb.198:                              ;   in Loop: Header=BB203_10 Depth=1
	v_ffbh_u32_e32 v75, v31
	v_min_u32_e32 v75, 32, v75
	v_subrev_nc_u32_e32 v78, 28, v75
	v_sub_nc_u32_e32 v75, 29, v75
	v_lshlrev_b64 v[78:79], v78, v[31:32]
	v_and_b32_e32 v31, 7, v78
; %bb.199:                              ;   in Loop: Header=BB203_10 Depth=1
	s_or_b32 exec_lo, exec_lo, s41
	v_lshlrev_b32_e32 v77, 24, v77
	v_lshlrev_b32_e32 v31, 20, v31
	v_lshl_add_u32 v75, v75, 23, 0x3c000000
	v_and_b32_e32 v77, 0x80000000, v77
	v_or3_b32 v75, v31, v77, v75
.LBB203_200:                            ;   in Loop: Header=BB203_10 Depth=1
	s_or_b32 exec_lo, exec_lo, s40
.LBB203_201:                            ;   in Loop: Header=BB203_10 Depth=1
	s_or_b32 exec_lo, exec_lo, s39
.LBB203_202:                            ;   in Loop: Header=BB203_10 Depth=1
	s_or_b32 exec_lo, exec_lo, s3
	global_load_ubyte v79, v[39:40], off offset:768
	v_mov_b32_e32 v77, 0
	v_mov_b32_e32 v78, 0
	s_mov_b32 s3, exec_lo
	s_waitcnt vmcnt(0)
	v_cmpx_ne_u16_e32 0, v79
	s_cbranch_execz .LBB203_210
; %bb.203:                              ;   in Loop: Header=BB203_10 Depth=1
	v_bfrev_b32_e32 v78, 1
	s_mov_b32 s39, exec_lo
	v_cmpx_ne_u16_e32 0x80, v79
	s_cbranch_execz .LBB203_209
; %bb.204:                              ;   in Loop: Header=BB203_10 Depth=1
	v_and_b32_sdwa v80, v79, v50 dst_sel:DWORD dst_unused:UNUSED_PAD src0_sel:WORD_0 src1_sel:DWORD
	v_mov_b32_e32 v78, 0x7f800001
	s_mov_b32 s40, exec_lo
	v_cmpx_ne_u32_e32 0x7f, v80
	s_cbranch_execz .LBB203_208
; %bb.205:                              ;   in Loop: Header=BB203_10 Depth=1
	v_and_b32_sdwa v31, v79, v51 dst_sel:DWORD dst_unused:UNUSED_PAD src0_sel:WORD_0 src1_sel:DWORD
	v_lshrrev_b32_e32 v78, 3, v80
	s_mov_b32 s41, exec_lo
	v_cmpx_gt_u32_e32 8, v80
; %bb.206:                              ;   in Loop: Header=BB203_10 Depth=1
	v_ffbh_u32_e32 v78, v31
	v_min_u32_e32 v78, 32, v78
	v_subrev_nc_u32_e32 v80, 28, v78
	v_sub_nc_u32_e32 v78, 29, v78
	v_lshlrev_b64 v[80:81], v80, v[31:32]
	v_and_b32_e32 v31, 7, v80
; %bb.207:                              ;   in Loop: Header=BB203_10 Depth=1
	s_or_b32 exec_lo, exec_lo, s41
	v_lshlrev_b32_e32 v79, 24, v79
	v_lshlrev_b32_e32 v31, 20, v31
	v_lshl_add_u32 v78, v78, 23, 0x3c000000
	v_and_b32_e32 v79, 0x80000000, v79
	v_or3_b32 v78, v31, v79, v78
.LBB203_208:                            ;   in Loop: Header=BB203_10 Depth=1
	s_or_b32 exec_lo, exec_lo, s40
.LBB203_209:                            ;   in Loop: Header=BB203_10 Depth=1
	s_or_b32 exec_lo, exec_lo, s39
.LBB203_210:                            ;   in Loop: Header=BB203_10 Depth=1
	s_or_b32 exec_lo, exec_lo, s3
	global_load_ubyte v79, v[39:40], off offset:772
	s_mov_b32 s3, exec_lo
	s_waitcnt vmcnt(0)
	v_cmpx_ne_u16_e32 0, v79
	s_cbranch_execz .LBB203_218
; %bb.211:                              ;   in Loop: Header=BB203_10 Depth=1
	v_bfrev_b32_e32 v77, 1
	s_mov_b32 s39, exec_lo
	v_cmpx_ne_u16_e32 0x80, v79
	s_cbranch_execz .LBB203_217
; %bb.212:                              ;   in Loop: Header=BB203_10 Depth=1
	v_and_b32_sdwa v80, v79, v50 dst_sel:DWORD dst_unused:UNUSED_PAD src0_sel:WORD_0 src1_sel:DWORD
	v_mov_b32_e32 v77, 0x7f800001
	s_mov_b32 s40, exec_lo
	v_cmpx_ne_u32_e32 0x7f, v80
	s_cbranch_execz .LBB203_216
; %bb.213:                              ;   in Loop: Header=BB203_10 Depth=1
	v_and_b32_sdwa v31, v79, v51 dst_sel:DWORD dst_unused:UNUSED_PAD src0_sel:WORD_0 src1_sel:DWORD
	v_lshrrev_b32_e32 v77, 3, v80
	s_mov_b32 s41, exec_lo
	v_cmpx_gt_u32_e32 8, v80
; %bb.214:                              ;   in Loop: Header=BB203_10 Depth=1
	v_ffbh_u32_e32 v77, v31
	v_min_u32_e32 v77, 32, v77
	v_subrev_nc_u32_e32 v80, 28, v77
	v_sub_nc_u32_e32 v77, 29, v77
	v_lshlrev_b64 v[80:81], v80, v[31:32]
	v_and_b32_e32 v31, 7, v80
; %bb.215:                              ;   in Loop: Header=BB203_10 Depth=1
	s_or_b32 exec_lo, exec_lo, s41
	v_lshlrev_b32_e32 v79, 24, v79
	v_lshlrev_b32_e32 v31, 20, v31
	v_lshl_add_u32 v77, v77, 23, 0x3c000000
	v_and_b32_e32 v79, 0x80000000, v79
	v_or3_b32 v77, v31, v79, v77
.LBB203_216:                            ;   in Loop: Header=BB203_10 Depth=1
	s_or_b32 exec_lo, exec_lo, s40
.LBB203_217:                            ;   in Loop: Header=BB203_10 Depth=1
	s_or_b32 exec_lo, exec_lo, s39
.LBB203_218:                            ;   in Loop: Header=BB203_10 Depth=1
	s_or_b32 exec_lo, exec_lo, s3
	global_load_ubyte v81, v[39:40], off offset:776
	v_mov_b32_e32 v79, 0
	v_mov_b32_e32 v80, 0
	s_mov_b32 s3, exec_lo
	s_waitcnt vmcnt(0)
	v_cmpx_ne_u16_e32 0, v81
	s_cbranch_execz .LBB203_226
; %bb.219:                              ;   in Loop: Header=BB203_10 Depth=1
	v_bfrev_b32_e32 v80, 1
	s_mov_b32 s39, exec_lo
	v_cmpx_ne_u16_e32 0x80, v81
	s_cbranch_execz .LBB203_225
; %bb.220:                              ;   in Loop: Header=BB203_10 Depth=1
	v_and_b32_sdwa v82, v81, v50 dst_sel:DWORD dst_unused:UNUSED_PAD src0_sel:WORD_0 src1_sel:DWORD
	v_mov_b32_e32 v80, 0x7f800001
	s_mov_b32 s40, exec_lo
	v_cmpx_ne_u32_e32 0x7f, v82
	s_cbranch_execz .LBB203_224
; %bb.221:                              ;   in Loop: Header=BB203_10 Depth=1
	v_and_b32_sdwa v31, v81, v51 dst_sel:DWORD dst_unused:UNUSED_PAD src0_sel:WORD_0 src1_sel:DWORD
	v_lshrrev_b32_e32 v80, 3, v82
	s_mov_b32 s41, exec_lo
	v_cmpx_gt_u32_e32 8, v82
; %bb.222:                              ;   in Loop: Header=BB203_10 Depth=1
	v_ffbh_u32_e32 v80, v31
	v_min_u32_e32 v80, 32, v80
	v_subrev_nc_u32_e32 v82, 28, v80
	v_sub_nc_u32_e32 v80, 29, v80
	v_lshlrev_b64 v[82:83], v82, v[31:32]
	v_and_b32_e32 v31, 7, v82
; %bb.223:                              ;   in Loop: Header=BB203_10 Depth=1
	s_or_b32 exec_lo, exec_lo, s41
	v_lshlrev_b32_e32 v81, 24, v81
	v_lshlrev_b32_e32 v31, 20, v31
	v_lshl_add_u32 v80, v80, 23, 0x3c000000
	v_and_b32_e32 v81, 0x80000000, v81
	v_or3_b32 v80, v31, v81, v80
.LBB203_224:                            ;   in Loop: Header=BB203_10 Depth=1
	s_or_b32 exec_lo, exec_lo, s40
.LBB203_225:                            ;   in Loop: Header=BB203_10 Depth=1
	s_or_b32 exec_lo, exec_lo, s39
.LBB203_226:                            ;   in Loop: Header=BB203_10 Depth=1
	s_or_b32 exec_lo, exec_lo, s3
	global_load_ubyte v81, v[39:40], off offset:780
	s_mov_b32 s3, exec_lo
	s_waitcnt vmcnt(0)
	v_cmpx_ne_u16_e32 0, v81
	s_cbranch_execz .LBB203_234
; %bb.227:                              ;   in Loop: Header=BB203_10 Depth=1
	v_bfrev_b32_e32 v79, 1
	s_mov_b32 s39, exec_lo
	v_cmpx_ne_u16_e32 0x80, v81
	s_cbranch_execz .LBB203_233
; %bb.228:                              ;   in Loop: Header=BB203_10 Depth=1
	v_and_b32_sdwa v82, v81, v50 dst_sel:DWORD dst_unused:UNUSED_PAD src0_sel:WORD_0 src1_sel:DWORD
	v_mov_b32_e32 v79, 0x7f800001
	s_mov_b32 s40, exec_lo
	v_cmpx_ne_u32_e32 0x7f, v82
	s_cbranch_execz .LBB203_232
; %bb.229:                              ;   in Loop: Header=BB203_10 Depth=1
	v_and_b32_sdwa v31, v81, v51 dst_sel:DWORD dst_unused:UNUSED_PAD src0_sel:WORD_0 src1_sel:DWORD
	v_lshrrev_b32_e32 v79, 3, v82
	s_mov_b32 s41, exec_lo
	v_cmpx_gt_u32_e32 8, v82
; %bb.230:                              ;   in Loop: Header=BB203_10 Depth=1
	v_ffbh_u32_e32 v79, v31
	v_min_u32_e32 v79, 32, v79
	v_subrev_nc_u32_e32 v82, 28, v79
	v_sub_nc_u32_e32 v79, 29, v79
	v_lshlrev_b64 v[82:83], v82, v[31:32]
	v_and_b32_e32 v31, 7, v82
; %bb.231:                              ;   in Loop: Header=BB203_10 Depth=1
	s_or_b32 exec_lo, exec_lo, s41
	v_lshlrev_b32_e32 v81, 24, v81
	v_lshlrev_b32_e32 v31, 20, v31
	v_lshl_add_u32 v79, v79, 23, 0x3c000000
	v_and_b32_e32 v81, 0x80000000, v81
	v_or3_b32 v79, v31, v81, v79
.LBB203_232:                            ;   in Loop: Header=BB203_10 Depth=1
	s_or_b32 exec_lo, exec_lo, s40
.LBB203_233:                            ;   in Loop: Header=BB203_10 Depth=1
	s_or_b32 exec_lo, exec_lo, s39
.LBB203_234:                            ;   in Loop: Header=BB203_10 Depth=1
	s_or_b32 exec_lo, exec_lo, s3
	global_load_ubyte v83, v[39:40], off offset:896
	v_mov_b32_e32 v81, 0
	v_mov_b32_e32 v82, 0
	s_mov_b32 s3, exec_lo
	s_waitcnt vmcnt(0)
	v_cmpx_ne_u16_e32 0, v83
	s_cbranch_execz .LBB203_242
; %bb.235:                              ;   in Loop: Header=BB203_10 Depth=1
	v_bfrev_b32_e32 v82, 1
	s_mov_b32 s39, exec_lo
	v_cmpx_ne_u16_e32 0x80, v83
	s_cbranch_execz .LBB203_241
; %bb.236:                              ;   in Loop: Header=BB203_10 Depth=1
	v_and_b32_sdwa v84, v83, v50 dst_sel:DWORD dst_unused:UNUSED_PAD src0_sel:WORD_0 src1_sel:DWORD
	v_mov_b32_e32 v82, 0x7f800001
	s_mov_b32 s40, exec_lo
	v_cmpx_ne_u32_e32 0x7f, v84
	s_cbranch_execz .LBB203_240
; %bb.237:                              ;   in Loop: Header=BB203_10 Depth=1
	v_and_b32_sdwa v31, v83, v51 dst_sel:DWORD dst_unused:UNUSED_PAD src0_sel:WORD_0 src1_sel:DWORD
	v_lshrrev_b32_e32 v82, 3, v84
	s_mov_b32 s41, exec_lo
	v_cmpx_gt_u32_e32 8, v84
; %bb.238:                              ;   in Loop: Header=BB203_10 Depth=1
	v_ffbh_u32_e32 v82, v31
	v_min_u32_e32 v82, 32, v82
	v_subrev_nc_u32_e32 v84, 28, v82
	v_sub_nc_u32_e32 v82, 29, v82
	v_lshlrev_b64 v[84:85], v84, v[31:32]
	v_and_b32_e32 v31, 7, v84
; %bb.239:                              ;   in Loop: Header=BB203_10 Depth=1
	s_or_b32 exec_lo, exec_lo, s41
	v_lshlrev_b32_e32 v83, 24, v83
	v_lshlrev_b32_e32 v31, 20, v31
	v_lshl_add_u32 v82, v82, 23, 0x3c000000
	v_and_b32_e32 v83, 0x80000000, v83
	v_or3_b32 v82, v31, v83, v82
.LBB203_240:                            ;   in Loop: Header=BB203_10 Depth=1
	s_or_b32 exec_lo, exec_lo, s40
.LBB203_241:                            ;   in Loop: Header=BB203_10 Depth=1
	s_or_b32 exec_lo, exec_lo, s39
.LBB203_242:                            ;   in Loop: Header=BB203_10 Depth=1
	s_or_b32 exec_lo, exec_lo, s3
	global_load_ubyte v39, v[39:40], off offset:900
	s_mov_b32 s3, exec_lo
	s_waitcnt vmcnt(0)
	v_cmpx_ne_u16_e32 0, v39
	s_cbranch_execz .LBB203_250
; %bb.243:                              ;   in Loop: Header=BB203_10 Depth=1
	v_bfrev_b32_e32 v81, 1
	s_mov_b32 s39, exec_lo
	v_cmpx_ne_u16_e32 0x80, v39
	s_cbranch_execz .LBB203_249
; %bb.244:                              ;   in Loop: Header=BB203_10 Depth=1
	v_and_b32_sdwa v83, v39, v50 dst_sel:DWORD dst_unused:UNUSED_PAD src0_sel:WORD_0 src1_sel:DWORD
	v_mov_b32_e32 v81, 0x7f800001
	s_mov_b32 s40, exec_lo
	v_cmpx_ne_u32_e32 0x7f, v83
	s_cbranch_execz .LBB203_248
; %bb.245:                              ;   in Loop: Header=BB203_10 Depth=1
	v_and_b32_sdwa v31, v39, v51 dst_sel:DWORD dst_unused:UNUSED_PAD src0_sel:WORD_0 src1_sel:DWORD
	v_lshrrev_b32_e32 v40, 3, v83
	s_mov_b32 s41, exec_lo
	v_cmpx_gt_u32_e32 8, v83
; %bb.246:                              ;   in Loop: Header=BB203_10 Depth=1
	v_ffbh_u32_e32 v40, v31
	v_min_u32_e32 v40, 32, v40
	v_subrev_nc_u32_e32 v81, 28, v40
	v_sub_nc_u32_e32 v40, 29, v40
	v_lshlrev_b64 v[83:84], v81, v[31:32]
	v_and_b32_e32 v31, 7, v83
; %bb.247:                              ;   in Loop: Header=BB203_10 Depth=1
	s_or_b32 exec_lo, exec_lo, s41
	v_lshlrev_b32_e32 v39, 24, v39
	v_lshlrev_b32_e32 v31, 20, v31
	v_lshl_add_u32 v40, v40, 23, 0x3c000000
	v_and_b32_e32 v39, 0x80000000, v39
	v_or3_b32 v81, v31, v39, v40
.LBB203_248:                            ;   in Loop: Header=BB203_10 Depth=1
	s_or_b32 exec_lo, exec_lo, s40
.LBB203_249:                            ;   in Loop: Header=BB203_10 Depth=1
	s_or_b32 exec_lo, exec_lo, s39
.LBB203_250:                            ;   in Loop: Header=BB203_10 Depth=1
	s_or_b32 exec_lo, exec_lo, s3
	s_waitcnt lgkmcnt(0)
	v_mul_f32_e32 v31, s4, v53
	v_mul_f32_e32 v39, s4, v54
	;; [unrolled: 1-line block ×4, first 2 shown]
	v_fmac_f32_e32 v31, v1, v39
	v_mul_f32_e32 v39, s4, v55
	v_fmac_f32_e32 v31, v3, v40
	v_mul_f32_e32 v40, s4, v58
	;; [unrolled: 2-line block ×27, first 2 shown]
	v_fmac_f32_e32 v31, v33, v40
	v_fmac_f32_e32 v31, v34, v39
	ds_bpermute_b32 v39, v46, v31
	s_waitcnt lgkmcnt(0)
	v_add_f32_e32 v31, v31, v39
	ds_bpermute_b32 v39, v47, v31
	s_and_saveexec_b32 s3, vcc_lo
	s_cbranch_execz .LBB203_9
; %bb.251:                              ;   in Loop: Header=BB203_10 Depth=1
	v_add_nc_u32_e32 v40, s5, v48
	s_waitcnt lgkmcnt(0)
	v_add_f32_e32 v31, v31, v39
	v_cmp_gt_i32_e64 s2, s27, v48
	v_cvt_f32_i32_e32 v40, v40
	v_mul_f32_e32 v40, s36, v40
	v_cndmask_b32_e64 v39, 0, v40, s1
	v_max_f32_e32 v40, v45, v45
	v_fmac_f32_e32 v39, s37, v31
	v_max_f32_e32 v31, v40, v39
	v_cndmask_b32_e64 v39, 0, v39, s2
	v_cndmask_b32_e64 v45, v45, v31, s2
	ds_write_b32 v49, v39
	s_branch .LBB203_9
.LBB203_252:
	s_or_b32 exec_lo, exec_lo, s16
.LBB203_253:
	s_or_b32 exec_lo, exec_lo, s38
	v_xor_b32_e32 v1, 16, v43
	v_xor_b32_e32 v2, 8, v43
	v_max_f32_e32 v4, v45, v45
	v_lshlrev_b32_e32 v6, 2, v41
	v_cmp_lt_i32_e32 vcc_lo, v1, v44
	v_cndmask_b32_e32 v1, v43, v1, vcc_lo
	v_cmp_lt_i32_e32 vcc_lo, v2, v44
	v_lshlrev_b32_e32 v3, 2, v1
	v_cndmask_b32_e32 v2, v43, v2, vcc_lo
	ds_bpermute_b32 v1, v3, v45
	v_lshlrev_b32_e32 v5, 2, v2
	s_waitcnt lgkmcnt(0)
	v_max_f32_e32 v1, v1, v1
	v_max_f32_e32 v1, v4, v1
	v_xor_b32_e32 v4, 4, v43
	ds_bpermute_b32 v2, v5, v1
	v_cmp_lt_i32_e32 vcc_lo, v4, v44
	v_cndmask_b32_e32 v4, v43, v4, vcc_lo
	v_lshlrev_b32_e32 v8, 2, v4
	s_waitcnt lgkmcnt(0)
	v_max_f32_e32 v2, v2, v2
	v_max_f32_e32 v2, v1, v2
	v_and_b32_e32 v1, 31, v0
	ds_bpermute_b32 v4, v8, v2
	v_cmp_eq_u32_e32 vcc_lo, 0, v1
	s_and_saveexec_b32 s1, vcc_lo
	s_cbranch_execz .LBB203_255
; %bb.254:
	s_waitcnt lgkmcnt(0)
	v_max_f32_e32 v4, v4, v4
	v_max_f32_e32 v2, v2, v2
	;; [unrolled: 1-line block ×3, first 2 shown]
	ds_write_b32 v6, v2 offset:480
.LBB203_255:
	s_or_b32 exec_lo, exec_lo, s1
	v_cmp_gt_u32_e64 s1, 4, v1
	v_mov_b32_e32 v2, 0xff7fffff
	v_lshlrev_b32_e32 v7, 2, v1
	s_waitcnt lgkmcnt(0)
	s_barrier
	buffer_gl0_inv
	s_and_saveexec_b32 s2, s1
; %bb.256:
	ds_read_b32 v2, v7 offset:480
; %bb.257:
	s_or_b32 exec_lo, exec_lo, s2
	v_xor_b32_e32 v4, 2, v43
	v_xor_b32_e32 v10, 1, v43
	v_cmp_lt_i32_e64 s2, v4, v44
	v_cndmask_b32_e64 v4, v43, v4, s2
	v_cmp_lt_i32_e64 s2, v10, v44
	v_lshlrev_b32_e32 v9, 2, v4
	v_cndmask_b32_e64 v10, v43, v10, s2
	s_sub_i32 s2, s11, s15
	s_lshl_b32 s2, s2, 3
	s_waitcnt lgkmcnt(0)
	ds_bpermute_b32 v4, v9, v2
	v_max_f32_e32 v2, v2, v2
	v_lshlrev_b32_e32 v26, 2, v10
	s_add_i32 s2, s2, s33
	v_mov_b32_e32 v10, 0
	s_min_i32 s2, s2, s27
	s_sub_i32 s4, s2, s33
	v_cmp_gt_i32_e64 s2, s4, v0
	s_waitcnt lgkmcnt(0)
	v_max_f32_e32 v4, v4, v4
	v_max_f32_e32 v2, v2, v4
	ds_bpermute_b32 v4, v26, v2
	s_waitcnt lgkmcnt(0)
	v_max_f32_e32 v4, v4, v4
	v_max_f32_e32 v2, v2, v4
	v_lshlrev_b32_e32 v4, 2, v32
	ds_bpermute_b32 v2, v4, v2
	v_lshl_add_u32 v4, v0, 2, 0x200
	s_and_saveexec_b32 s5, s2
	s_cbranch_execz .LBB203_261
; %bb.258:
	v_lshl_add_u32 v11, v0, 2, 0x200
	v_mov_b32_e32 v10, 0
	v_mov_b32_e32 v12, v0
	s_mov_b32 s15, 0
	.p2align	6
.LBB203_259:                            ; =>This Inner Loop Header: Depth=1
	ds_read_b32 v13, v11
	v_add_nc_u32_e32 v12, 0x80, v12
	v_cmp_le_i32_e64 s3, s4, v12
	s_or_b32 s15, s3, s15
	s_waitcnt lgkmcnt(0)
	v_sub_f32_e32 v13, v13, v2
	v_mul_f32_e32 v13, 0x3fb8aa3b, v13
	v_exp_f32_e32 v13, v13
	ds_write_b32 v11, v13
	v_add_f32_e32 v10, v10, v13
	v_add_nc_u32_e32 v11, 0x200, v11
	s_andn2_b32 exec_lo, exec_lo, s15
	s_cbranch_execnz .LBB203_259
; %bb.260:
	s_or_b32 exec_lo, exec_lo, s15
.LBB203_261:
	s_or_b32 exec_lo, exec_lo, s5
	ds_bpermute_b32 v3, v3, v10
	s_waitcnt lgkmcnt(0)
	v_add_f32_e32 v3, v10, v3
	ds_bpermute_b32 v5, v5, v3
	s_waitcnt lgkmcnt(0)
	v_add_f32_e32 v3, v3, v5
	ds_bpermute_b32 v5, v8, v3
	s_waitcnt lgkmcnt(0)
	v_add_f32_e32 v3, v3, v5
	ds_bpermute_b32 v5, v9, v3
	s_waitcnt lgkmcnt(0)
	v_add_f32_e32 v3, v3, v5
	ds_bpermute_b32 v5, v26, v3
	s_waitcnt lgkmcnt(0)
	v_add_f32_e32 v3, v3, v5
	s_and_saveexec_b32 s3, vcc_lo
; %bb.262:
	ds_write_b32 v6, v3 offset:496
; %bb.263:
	s_or_b32 exec_lo, exec_lo, s3
	s_waitcnt lgkmcnt(0)
	s_barrier
	buffer_gl0_inv
	s_and_saveexec_b32 s3, s1
; %bb.264:
	ds_read_b32 v3, v7 offset:496
; %bb.265:
	s_or_b32 exec_lo, exec_lo, s3
	s_waitcnt lgkmcnt(0)
	ds_bpermute_b32 v5, v9, v3
	v_lshlrev_b32_e32 v6, 2, v43
	s_waitcnt lgkmcnt(0)
	v_add_f32_e32 v3, v3, v5
	ds_bpermute_b32 v5, v26, v3
	s_waitcnt lgkmcnt(0)
	v_add_f32_e32 v3, v3, v5
	v_and_b32_e32 v5, 0xffffff80, v6
	ds_bpermute_b32 v3, v5, v3
	s_and_saveexec_b32 s1, s2
	s_cbranch_execz .LBB203_268
; %bb.266:
	s_waitcnt lgkmcnt(0)
	v_add_f32_e32 v5, 0x358637bd, v3
	s_mov_b32 s2, 0
	v_div_scale_f32 v6, null, v5, v5, 1.0
	v_div_scale_f32 v9, vcc_lo, 1.0, v5, 1.0
	v_rcp_f32_e32 v7, v6
	v_fma_f32 v8, -v6, v7, 1.0
	v_fmac_f32_e32 v7, v8, v7
	v_mul_f32_e32 v8, v9, v7
	v_fma_f32 v10, -v6, v8, v9
	v_fmac_f32_e32 v8, v10, v7
	v_fma_f32 v6, -v6, v8, v9
	v_div_fmas_f32 v6, v6, v7, v8
	v_div_fixup_f32 v5, v6, v5, 1.0
	v_mov_b32_e32 v6, v0
.LBB203_267:                            ; =>This Inner Loop Header: Depth=1
	ds_read_b32 v7, v4
	v_add_nc_u32_e32 v6, 0x80, v6
	v_cmp_le_i32_e32 vcc_lo, s4, v6
	s_or_b32 s2, vcc_lo, s2
	s_waitcnt lgkmcnt(0)
	v_mul_f32_e32 v7, v5, v7
	ds_write_b32 v4, v7
	v_add_nc_u32_e32 v4, 0x200, v4
	s_andn2_b32 exec_lo, exec_lo, s2
	s_cbranch_execnz .LBB203_267
.LBB203_268:
	s_or_b32 exec_lo, exec_lo, s1
	s_mul_i32 s1, s7, s26
	s_waitcnt lgkmcnt(0)
	s_mul_i32 s2, s1, s9
	s_mov_b32 s1, exec_lo
	s_barrier
	buffer_gl0_inv
	v_cmpx_eq_u32_e32 0, v0
	s_cbranch_execz .LBB203_270
; %bb.269:
	s_ashr_i32 s3, s2, 31
	s_mul_i32 s16, s7, s6
	s_lshl_b64 s[4:5], s[2:3], 2
	v_mov_b32_e32 v4, 0
	s_add_u32 s3, s22, s4
	s_addc_u32 s6, s23, s5
	s_ashr_i32 s17, s16, 31
	s_lshl_b64 s[16:17], s[16:17], 2
	s_add_u32 s3, s3, s16
	s_addc_u32 s6, s6, s17
	s_ashr_i32 s9, s8, 31
	s_lshl_b64 s[22:23], s[8:9], 2
	s_add_u32 s36, s3, s22
	s_addc_u32 s37, s6, s23
	s_add_u32 s3, s20, s4
	s_addc_u32 s4, s21, s5
	s_add_u32 s3, s3, s16
	s_addc_u32 s5, s4, s17
	s_add_u32 s4, s3, s22
	s_addc_u32 s5, s5, s23
	global_store_dword v4, v2, s[36:37]
	global_store_dword v4, v3, s[4:5]
.LBB203_270:
	s_or_b32 exec_lo, exec_lo, s1
	v_lshrrev_b32_e32 v25, 1, v1
	s_and_saveexec_b32 s1, s0
	s_xor_b32 s0, exec_lo, s1
; %bb.271:
	v_lshrrev_b32_e32 v25, 1, v1
                                        ; implicit-def: $vgpr29
                                        ; implicit-def: $vgpr42
; %bb.272:
	s_or_saveexec_b32 s3, s0
	v_mov_b32_e32 v35, 0
	v_and_b32_e32 v27, 1, v0
	v_mov_b32_e32 v37, 0
	v_mov_b32_e32 v36, 0
	;; [unrolled: 1-line block ×7, first 2 shown]
	s_xor_b32 exec_lo, exec_lo, s3
	s_cbranch_execz .LBB203_550
; %bb.273:
	s_load_dword s9, s[18:19], 0x0
	v_and_b32_e32 v1, 4, v42
	v_or_b32_e32 v2, 0x70, v25
	v_lshl_add_u32 v4, v41, 3, s33
	v_lshlrev_b32_e32 v3, 4, v27
	s_ashr_i32 s0, s14, 31
	v_lshl_or_b32 v38, v25, 3, v1
	v_cmp_gt_u32_e32 vcc_lo, 0x78, v2
	v_lshl_or_b32 v39, v2, 3, v1
	v_add3_u32 v40, v4, v1, 3
	v_lshlrev_b64 v[1:2], 2, v[29:30]
	s_add_u32 s4, s34, s14
	s_addc_u32 s5, s35, s0
	s_lshl_b64 s[0:1], s[30:31], 2
	s_add_i32 s6, s12, -1
	v_lshl_or_b32 v3, v41, 5, v3
	s_add_u32 s0, s28, s0
	s_addc_u32 s1, s29, s1
	v_add_co_u32 v7, s0, s0, v1
	v_mov_b32_e32 v6, 0
	v_add_nc_u32_e32 v30, 0x200, v3
	v_add_co_ci_u32_e64 v8, null, s1, v2, s0
	v_mov_b32_e32 v42, 0x80
	v_bfrev_b32_e32 v10, 1
	v_mov_b32_e32 v43, 0xffff
	v_mov_b32_e32 v12, 0x7f800001
	;; [unrolled: 1-line block ×13, first 2 shown]
	s_mov_b32 s12, s13
	s_waitcnt lgkmcnt(0)
	s_mov_b32 s14, s9
	s_mov_b32 s13, 0
	s_branch .LBB203_276
.LBB203_274:                            ;   in Loop: Header=BB203_276 Depth=1
	s_or_b32 exec_lo, exec_lo, s1
	s_waitcnt lgkmcnt(0)
	v_mul_f32_e32 v13, v1, v13
	v_fmac_f32_e32 v13, v2, v11
	v_fmac_f32_e32 v13, v3, v9
	;; [unrolled: 1-line block ×3, first 2 shown]
	v_add_f32_e32 v28, v28, v13
.LBB203_275:                            ;   in Loop: Header=BB203_276 Depth=1
	s_or_b32 exec_lo, exec_lo, s15
	s_waitcnt lgkmcnt(0)
	v_mul_f32_e32 v5, v1, v71
	v_mul_f32_e32 v9, v1, v69
	v_mul_f32_e32 v11, v1, v67
	v_mul_f32_e32 v13, v1, v63
	v_mul_f32_e32 v14, v1, v59
	v_mul_f32_e32 v15, v1, v55
	v_mul_f32_e32 v1, v1, v50
	v_fmac_f32_e32 v5, v2, v70
	v_fmac_f32_e32 v9, v2, v68
	;; [unrolled: 1-line block ×14, first 2 shown]
	v_add_nc_u32_e32 v29, 4, v29
	v_fmac_f32_e32 v5, v4, v21
	v_fmac_f32_e32 v9, v4, v23
	;; [unrolled: 1-line block ×7, first 2 shown]
	v_cmp_le_i32_e64 s0, s11, v29
	v_add_co_u32 v7, s1, v7, 16
	v_add_f32_e32 v31, v31, v5
	v_add_f32_e32 v32, v32, v9
	;; [unrolled: 1-line block ×7, first 2 shown]
	v_add_nc_u32_e32 v40, 32, v40
	v_add_nc_u32_e32 v30, 0x80, v30
	v_add_co_ci_u32_e64 v8, null, 0, v8, s1
	s_or_b32 s13, s0, s13
	s_andn2_b32 exec_lo, exec_lo, s13
	s_cbranch_execz .LBB203_549
.LBB203_276:                            ; =>This Inner Loop Header: Depth=1
	global_load_dword v1, v[7:8], off
	v_mov_b32_e32 v19, 0
	v_mov_b32_e32 v17, 0
	;; [unrolled: 1-line block ×4, first 2 shown]
	s_waitcnt vmcnt(0)
	v_mad_i64_i32 v[13:14], null, v1, s12, s[4:5]
	ds_read_b128 v[1:4], v30
	v_add_co_u32 v15, s0, v13, v38
	v_add_co_ci_u32_e64 v16, null, 0, v14, s0
	global_load_dword v47, v[15:16], off
	s_waitcnt vmcnt(0)
	v_cmp_ne_u16_sdwa s0, v47, v6 src0_sel:BYTE_0 src1_sel:DWORD
	s_and_saveexec_b32 s1, s0
	s_cbranch_execz .LBB203_284
; %bb.277:                              ;   in Loop: Header=BB203_276 Depth=1
	v_bfrev_b32_e32 v17, 1
	v_mov_b32_e32 v18, 0
	v_cmp_ne_u16_sdwa s0, v47, v42 src0_sel:BYTE_0 src1_sel:DWORD
	s_and_saveexec_b32 s15, s0
	s_cbranch_execz .LBB203_283
; %bb.278:                              ;   in Loop: Header=BB203_276 Depth=1
	v_mov_b32_e32 v17, 0x7f800001
	v_and_b32_e32 v11, 0x7f, v47
	v_mov_b32_e32 v18, 0
	s_mov_b32 s16, exec_lo
	v_cmpx_ne_u32_e32 0x7f, v11
	s_cbranch_execz .LBB203_282
; %bb.279:                              ;   in Loop: Header=BB203_276 Depth=1
	v_and_b32_e32 v5, 7, v47
	v_lshrrev_b32_e32 v9, 3, v11
	s_mov_b32 s17, exec_lo
	v_cmpx_gt_u32_e32 8, v11
; %bb.280:                              ;   in Loop: Header=BB203_276 Depth=1
	v_ffbh_u32_e32 v9, v5
	v_min_u32_e32 v9, 32, v9
	v_subrev_nc_u32_e32 v11, 28, v9
	v_sub_nc_u32_e32 v9, 29, v9
	v_lshlrev_b64 v[17:18], v11, v[5:6]
	v_and_b32_e32 v5, 7, v17
; %bb.281:                              ;   in Loop: Header=BB203_276 Depth=1
	s_or_b32 exec_lo, exec_lo, s17
	v_lshlrev_b32_e32 v11, 24, v47
	v_lshlrev_b32_e32 v5, 20, v5
	v_lshl_add_u32 v9, v9, 23, 0x3c000000
	v_and_b32_e32 v11, 0x80000000, v11
	v_or3_b32 v5, v5, v11, v9
	v_mov_b32_e32 v18, v6
	v_mov_b32_e32 v17, v5
.LBB203_282:                            ;   in Loop: Header=BB203_276 Depth=1
	s_or_b32 exec_lo, exec_lo, s16
.LBB203_283:                            ;   in Loop: Header=BB203_276 Depth=1
	s_or_b32 exec_lo, exec_lo, s15
.LBB203_284:                            ;   in Loop: Header=BB203_276 Depth=1
	s_or_b32 exec_lo, exec_lo, s1
	v_cmp_ne_u16_sdwa s0, v47, v6 src0_sel:BYTE_1 src1_sel:DWORD
	s_and_saveexec_b32 s1, s0
	s_cbranch_execz .LBB203_292
; %bb.285:                              ;   in Loop: Header=BB203_276 Depth=1
	v_mov_b32_e32 v9, v6
	v_mov_b32_e32 v20, v10
	v_cmp_ne_u16_sdwa s0, v47, v42 src0_sel:BYTE_1 src1_sel:DWORD
	v_mov_b32_e32 v19, v9
	s_and_saveexec_b32 s15, s0
	s_cbranch_execz .LBB203_291
; %bb.286:                              ;   in Loop: Header=BB203_276 Depth=1
	v_and_b32_sdwa v5, v43, v47 dst_sel:DWORD dst_unused:UNUSED_PAD src0_sel:DWORD src1_sel:BYTE_1
	v_mov_b32_e32 v11, v6
	v_mov_b32_e32 v20, v12
	s_mov_b32 s16, exec_lo
	v_and_b32_e32 v21, 0x7f, v5
	v_mov_b32_e32 v19, v11
	v_cmpx_ne_u32_e32 0x7f, v21
	s_cbranch_execz .LBB203_290
; %bb.287:                              ;   in Loop: Header=BB203_276 Depth=1
	v_and_b32_e32 v5, 7, v5
	v_lshrrev_b32_e32 v9, 3, v21
	s_mov_b32 s17, exec_lo
	v_cmpx_gt_u32_e32 8, v21
; %bb.288:                              ;   in Loop: Header=BB203_276 Depth=1
	v_ffbh_u32_e32 v9, v5
	v_min_u32_e32 v9, 32, v9
	v_subrev_nc_u32_e32 v11, 28, v9
	v_sub_nc_u32_e32 v9, 29, v9
	v_lshlrev_b64 v[19:20], v11, v[5:6]
	v_and_b32_e32 v5, 7, v19
; %bb.289:                              ;   in Loop: Header=BB203_276 Depth=1
	s_or_b32 exec_lo, exec_lo, s17
	v_lshlrev_b32_e32 v11, 16, v47
	v_lshlrev_b32_e32 v5, 20, v5
	v_lshl_add_u32 v9, v9, 23, 0x3c000000
	v_mov_b32_e32 v19, v6
	v_and_b32_e32 v11, 0x80000000, v11
	v_or3_b32 v20, v5, v11, v9
.LBB203_290:                            ;   in Loop: Header=BB203_276 Depth=1
	s_or_b32 exec_lo, exec_lo, s16
.LBB203_291:                            ;   in Loop: Header=BB203_276 Depth=1
	s_or_b32 exec_lo, exec_lo, s15
.LBB203_292:                            ;   in Loop: Header=BB203_276 Depth=1
	s_or_b32 exec_lo, exec_lo, s1
	v_mov_b32_e32 v23, 0
	v_mov_b32_e32 v21, 0
	v_and_b32_sdwa v5, v47, v44 dst_sel:DWORD dst_unused:UNUSED_PAD src0_sel:WORD_1 src1_sel:DWORD
	v_mov_b32_e32 v24, 0
	v_mov_b32_e32 v22, 0
	s_mov_b32 s1, exec_lo
	v_cmpx_ne_u16_e32 0, v5
	s_cbranch_execz .LBB203_300
; %bb.293:                              ;   in Loop: Header=BB203_276 Depth=1
	v_bfrev_b32_e32 v21, 1
	v_mov_b32_e32 v22, 0
	s_mov_b32 s15, exec_lo
	v_cmpx_ne_u16_e32 0x80, v5
	s_cbranch_execz .LBB203_299
; %bb.294:                              ;   in Loop: Header=BB203_276 Depth=1
	v_mov_b32_e32 v21, 0x7f800001
	v_bfe_u32 v11, v47, 16, 7
	v_mov_b32_e32 v22, 0
	s_mov_b32 s16, exec_lo
	v_cmpx_ne_u32_e32 0x7f, v11
	s_cbranch_execz .LBB203_298
; %bb.295:                              ;   in Loop: Header=BB203_276 Depth=1
	v_and_b32_sdwa v5, v47, v45 dst_sel:DWORD dst_unused:UNUSED_PAD src0_sel:WORD_1 src1_sel:DWORD
	v_lshrrev_b32_e32 v9, 3, v11
	s_mov_b32 s17, exec_lo
	v_cmpx_gt_u32_e32 8, v11
; %bb.296:                              ;   in Loop: Header=BB203_276 Depth=1
	v_ffbh_u32_e32 v9, v5
	v_min_u32_e32 v9, 32, v9
	v_subrev_nc_u32_e32 v11, 28, v9
	v_sub_nc_u32_e32 v9, 29, v9
	v_lshlrev_b64 v[21:22], v11, v[5:6]
	v_and_b32_e32 v5, 7, v21
; %bb.297:                              ;   in Loop: Header=BB203_276 Depth=1
	s_or_b32 exec_lo, exec_lo, s17
	v_lshlrev_b32_sdwa v11, v46, v47 dst_sel:DWORD dst_unused:UNUSED_PAD src0_sel:DWORD src1_sel:WORD_1
	v_lshlrev_b32_e32 v5, 20, v5
	v_lshl_add_u32 v9, v9, 23, 0x3c000000
	v_and_b32_e32 v11, 0x80000000, v11
	v_or3_b32 v5, v5, v11, v9
	v_mov_b32_e32 v22, v6
	v_mov_b32_e32 v21, v5
.LBB203_298:                            ;   in Loop: Header=BB203_276 Depth=1
	s_or_b32 exec_lo, exec_lo, s16
.LBB203_299:                            ;   in Loop: Header=BB203_276 Depth=1
	s_or_b32 exec_lo, exec_lo, s15
.LBB203_300:                            ;   in Loop: Header=BB203_276 Depth=1
	s_or_b32 exec_lo, exec_lo, s1
	s_mov_b32 s1, exec_lo
	v_cmpx_lt_u32_e32 0xffffff, v47
	s_cbranch_execz .LBB203_308
; %bb.301:                              ;   in Loop: Header=BB203_276 Depth=1
	v_mov_b32_e32 v9, v6
	v_mov_b32_e32 v24, v10
	v_cmp_ne_u32_sdwa s0, v47, v42 src0_sel:BYTE_3 src1_sel:DWORD
	v_mov_b32_e32 v23, v9
	s_and_saveexec_b32 s15, s0
	s_cbranch_execz .LBB203_307
; %bb.302:                              ;   in Loop: Header=BB203_276 Depth=1
	v_mov_b32_e32 v11, v6
	v_mov_b32_e32 v24, v12
	v_bfe_u32 v48, v47, 24, 7
	s_mov_b32 s16, exec_lo
	v_mov_b32_e32 v23, v11
	v_cmpx_ne_u32_e32 0x7f, v48
	s_cbranch_execz .LBB203_306
; %bb.303:                              ;   in Loop: Header=BB203_276 Depth=1
	v_and_b32_sdwa v5, v47, v45 dst_sel:DWORD dst_unused:UNUSED_PAD src0_sel:BYTE_3 src1_sel:DWORD
	v_lshrrev_b32_e32 v9, 3, v48
	s_mov_b32 s17, exec_lo
	v_cmpx_gt_u32_e32 8, v48
; %bb.304:                              ;   in Loop: Header=BB203_276 Depth=1
	v_ffbh_u32_e32 v9, v5
	v_min_u32_e32 v9, 32, v9
	v_subrev_nc_u32_e32 v11, 28, v9
	v_sub_nc_u32_e32 v9, 29, v9
	v_lshlrev_b64 v[23:24], v11, v[5:6]
	v_and_b32_e32 v5, 7, v23
; %bb.305:                              ;   in Loop: Header=BB203_276 Depth=1
	s_or_b32 exec_lo, exec_lo, s17
	v_lshlrev_b32_sdwa v11, v46, v47 dst_sel:DWORD dst_unused:UNUSED_PAD src0_sel:DWORD src1_sel:BYTE_3
	v_lshlrev_b32_e32 v5, 20, v5
	v_lshl_add_u32 v9, v9, 23, 0x3c000000
	v_mov_b32_e32 v23, v6
	v_and_b32_e32 v11, 0x80000000, v11
	v_or3_b32 v24, v5, v11, v9
.LBB203_306:                            ;   in Loop: Header=BB203_276 Depth=1
	s_or_b32 exec_lo, exec_lo, s16
.LBB203_307:                            ;   in Loop: Header=BB203_276 Depth=1
	s_or_b32 exec_lo, exec_lo, s15
.LBB203_308:                            ;   in Loop: Header=BB203_276 Depth=1
	s_or_b32 exec_lo, exec_lo, s1
	v_or_b32_e32 v5, v20, v18
	v_or_b32_e32 v9, v19, v17
	;; [unrolled: 1-line block ×4, first 2 shown]
	v_add_nc_u32_e32 v51, -3, v40
	v_cmp_eq_u32_e64 s0, s6, v29
	v_mul_f32_e32 v49, s14, v5
	v_mul_f32_e32 v50, s9, v9
	;; [unrolled: 1-line block ×4, first 2 shown]
	s_and_saveexec_b32 s15, s0
	s_cbranch_execz .LBB203_310
; %bb.309:                              ;   in Loop: Header=BB203_276 Depth=1
	v_add_nc_u32_e32 v5, -2, v40
	v_cmp_gt_i32_e64 s1, s27, v51
	v_add_nc_u32_e32 v9, -1, v40
	v_cndmask_b32_e64 v50, 0, v50, s1
	v_cmp_gt_i32_e64 s1, s27, v5
	v_cndmask_b32_e64 v49, 0, v49, s1
	v_cmp_gt_i32_e64 s1, s27, v9
	;; [unrolled: 2-line block ×3, first 2 shown]
	v_cndmask_b32_e64 v47, 0, v47, s1
.LBB203_310:                            ;   in Loop: Header=BB203_276 Depth=1
	s_or_b32 exec_lo, exec_lo, s15
	global_load_dword v52, v[15:16], off offset:128
	v_mov_b32_e32 v19, 0
	v_mov_b32_e32 v17, 0
	;; [unrolled: 1-line block ×4, first 2 shown]
	s_waitcnt vmcnt(0)
	v_cmp_ne_u16_sdwa s1, v52, v6 src0_sel:BYTE_0 src1_sel:DWORD
	s_and_saveexec_b32 s15, s1
	s_cbranch_execz .LBB203_318
; %bb.311:                              ;   in Loop: Header=BB203_276 Depth=1
	v_bfrev_b32_e32 v17, 1
	v_mov_b32_e32 v18, 0
	v_cmp_ne_u16_sdwa s1, v52, v42 src0_sel:BYTE_0 src1_sel:DWORD
	s_and_saveexec_b32 s16, s1
	s_cbranch_execz .LBB203_317
; %bb.312:                              ;   in Loop: Header=BB203_276 Depth=1
	v_mov_b32_e32 v17, 0x7f800001
	v_and_b32_e32 v11, 0x7f, v52
	v_mov_b32_e32 v18, 0
	s_mov_b32 s17, exec_lo
	v_cmpx_ne_u32_e32 0x7f, v11
	s_cbranch_execz .LBB203_316
; %bb.313:                              ;   in Loop: Header=BB203_276 Depth=1
	v_and_b32_e32 v5, 7, v52
	v_lshrrev_b32_e32 v9, 3, v11
	s_mov_b32 s18, exec_lo
	v_cmpx_gt_u32_e32 8, v11
; %bb.314:                              ;   in Loop: Header=BB203_276 Depth=1
	v_ffbh_u32_e32 v9, v5
	v_min_u32_e32 v9, 32, v9
	v_subrev_nc_u32_e32 v11, 28, v9
	v_sub_nc_u32_e32 v9, 29, v9
	v_lshlrev_b64 v[17:18], v11, v[5:6]
	v_and_b32_e32 v5, 7, v17
; %bb.315:                              ;   in Loop: Header=BB203_276 Depth=1
	s_or_b32 exec_lo, exec_lo, s18
	v_lshlrev_b32_e32 v11, 24, v52
	v_lshlrev_b32_e32 v5, 20, v5
	v_lshl_add_u32 v9, v9, 23, 0x3c000000
	v_and_b32_e32 v11, 0x80000000, v11
	v_or3_b32 v5, v5, v11, v9
	v_mov_b32_e32 v18, v6
	v_mov_b32_e32 v17, v5
.LBB203_316:                            ;   in Loop: Header=BB203_276 Depth=1
	s_or_b32 exec_lo, exec_lo, s17
.LBB203_317:                            ;   in Loop: Header=BB203_276 Depth=1
	s_or_b32 exec_lo, exec_lo, s16
.LBB203_318:                            ;   in Loop: Header=BB203_276 Depth=1
	s_or_b32 exec_lo, exec_lo, s15
	v_cmp_ne_u16_sdwa s1, v52, v6 src0_sel:BYTE_1 src1_sel:DWORD
	s_and_saveexec_b32 s15, s1
	s_cbranch_execz .LBB203_326
; %bb.319:                              ;   in Loop: Header=BB203_276 Depth=1
	v_mov_b32_e32 v9, v6
	v_mov_b32_e32 v20, v10
	v_cmp_ne_u16_sdwa s1, v52, v42 src0_sel:BYTE_1 src1_sel:DWORD
	v_mov_b32_e32 v19, v9
	s_and_saveexec_b32 s16, s1
	s_cbranch_execz .LBB203_325
; %bb.320:                              ;   in Loop: Header=BB203_276 Depth=1
	v_and_b32_sdwa v5, v43, v52 dst_sel:DWORD dst_unused:UNUSED_PAD src0_sel:DWORD src1_sel:BYTE_1
	v_mov_b32_e32 v11, v6
	v_mov_b32_e32 v20, v12
	s_mov_b32 s17, exec_lo
	v_and_b32_e32 v21, 0x7f, v5
	v_mov_b32_e32 v19, v11
	v_cmpx_ne_u32_e32 0x7f, v21
	s_cbranch_execz .LBB203_324
; %bb.321:                              ;   in Loop: Header=BB203_276 Depth=1
	v_and_b32_e32 v5, 7, v5
	v_lshrrev_b32_e32 v9, 3, v21
	s_mov_b32 s18, exec_lo
	v_cmpx_gt_u32_e32 8, v21
; %bb.322:                              ;   in Loop: Header=BB203_276 Depth=1
	v_ffbh_u32_e32 v9, v5
	v_min_u32_e32 v9, 32, v9
	v_subrev_nc_u32_e32 v11, 28, v9
	v_sub_nc_u32_e32 v9, 29, v9
	v_lshlrev_b64 v[19:20], v11, v[5:6]
	v_and_b32_e32 v5, 7, v19
; %bb.323:                              ;   in Loop: Header=BB203_276 Depth=1
	s_or_b32 exec_lo, exec_lo, s18
	v_lshlrev_b32_e32 v11, 16, v52
	v_lshlrev_b32_e32 v5, 20, v5
	v_lshl_add_u32 v9, v9, 23, 0x3c000000
	v_mov_b32_e32 v19, v6
	v_and_b32_e32 v11, 0x80000000, v11
	v_or3_b32 v20, v5, v11, v9
.LBB203_324:                            ;   in Loop: Header=BB203_276 Depth=1
	s_or_b32 exec_lo, exec_lo, s17
.LBB203_325:                            ;   in Loop: Header=BB203_276 Depth=1
	s_or_b32 exec_lo, exec_lo, s16
.LBB203_326:                            ;   in Loop: Header=BB203_276 Depth=1
	s_or_b32 exec_lo, exec_lo, s15
	v_mov_b32_e32 v23, 0
	v_mov_b32_e32 v21, 0
	v_and_b32_sdwa v5, v52, v44 dst_sel:DWORD dst_unused:UNUSED_PAD src0_sel:WORD_1 src1_sel:DWORD
	v_mov_b32_e32 v24, 0
	v_mov_b32_e32 v22, 0
	s_mov_b32 s15, exec_lo
	v_cmpx_ne_u16_e32 0, v5
	s_cbranch_execz .LBB203_334
; %bb.327:                              ;   in Loop: Header=BB203_276 Depth=1
	v_bfrev_b32_e32 v21, 1
	v_mov_b32_e32 v22, 0
	s_mov_b32 s16, exec_lo
	v_cmpx_ne_u16_e32 0x80, v5
	s_cbranch_execz .LBB203_333
; %bb.328:                              ;   in Loop: Header=BB203_276 Depth=1
	v_mov_b32_e32 v21, 0x7f800001
	v_bfe_u32 v11, v52, 16, 7
	v_mov_b32_e32 v22, 0
	s_mov_b32 s17, exec_lo
	v_cmpx_ne_u32_e32 0x7f, v11
	s_cbranch_execz .LBB203_332
; %bb.329:                              ;   in Loop: Header=BB203_276 Depth=1
	v_and_b32_sdwa v5, v52, v45 dst_sel:DWORD dst_unused:UNUSED_PAD src0_sel:WORD_1 src1_sel:DWORD
	v_lshrrev_b32_e32 v9, 3, v11
	s_mov_b32 s18, exec_lo
	v_cmpx_gt_u32_e32 8, v11
; %bb.330:                              ;   in Loop: Header=BB203_276 Depth=1
	v_ffbh_u32_e32 v9, v5
	v_min_u32_e32 v9, 32, v9
	v_subrev_nc_u32_e32 v11, 28, v9
	v_sub_nc_u32_e32 v9, 29, v9
	v_lshlrev_b64 v[21:22], v11, v[5:6]
	v_and_b32_e32 v5, 7, v21
; %bb.331:                              ;   in Loop: Header=BB203_276 Depth=1
	s_or_b32 exec_lo, exec_lo, s18
	v_lshlrev_b32_sdwa v11, v46, v52 dst_sel:DWORD dst_unused:UNUSED_PAD src0_sel:DWORD src1_sel:WORD_1
	v_lshlrev_b32_e32 v5, 20, v5
	v_lshl_add_u32 v9, v9, 23, 0x3c000000
	v_and_b32_e32 v11, 0x80000000, v11
	v_or3_b32 v5, v5, v11, v9
	v_mov_b32_e32 v22, v6
	v_mov_b32_e32 v21, v5
.LBB203_332:                            ;   in Loop: Header=BB203_276 Depth=1
	s_or_b32 exec_lo, exec_lo, s17
.LBB203_333:                            ;   in Loop: Header=BB203_276 Depth=1
	s_or_b32 exec_lo, exec_lo, s16
.LBB203_334:                            ;   in Loop: Header=BB203_276 Depth=1
	s_or_b32 exec_lo, exec_lo, s15
	s_mov_b32 s15, exec_lo
	v_cmpx_lt_u32_e32 0xffffff, v52
	s_cbranch_execz .LBB203_342
; %bb.335:                              ;   in Loop: Header=BB203_276 Depth=1
	v_mov_b32_e32 v9, v6
	v_mov_b32_e32 v24, v10
	v_cmp_ne_u32_sdwa s1, v52, v42 src0_sel:BYTE_3 src1_sel:DWORD
	v_mov_b32_e32 v23, v9
	s_and_saveexec_b32 s16, s1
	s_cbranch_execz .LBB203_341
; %bb.336:                              ;   in Loop: Header=BB203_276 Depth=1
	v_mov_b32_e32 v11, v6
	v_mov_b32_e32 v24, v12
	v_bfe_u32 v53, v52, 24, 7
	s_mov_b32 s17, exec_lo
	v_mov_b32_e32 v23, v11
	v_cmpx_ne_u32_e32 0x7f, v53
	s_cbranch_execz .LBB203_340
; %bb.337:                              ;   in Loop: Header=BB203_276 Depth=1
	v_and_b32_sdwa v5, v52, v45 dst_sel:DWORD dst_unused:UNUSED_PAD src0_sel:BYTE_3 src1_sel:DWORD
	v_lshrrev_b32_e32 v9, 3, v53
	s_mov_b32 s18, exec_lo
	v_cmpx_gt_u32_e32 8, v53
; %bb.338:                              ;   in Loop: Header=BB203_276 Depth=1
	v_ffbh_u32_e32 v9, v5
	v_min_u32_e32 v9, 32, v9
	v_subrev_nc_u32_e32 v11, 28, v9
	v_sub_nc_u32_e32 v9, 29, v9
	v_lshlrev_b64 v[23:24], v11, v[5:6]
	v_and_b32_e32 v5, 7, v23
; %bb.339:                              ;   in Loop: Header=BB203_276 Depth=1
	s_or_b32 exec_lo, exec_lo, s18
	v_lshlrev_b32_sdwa v11, v46, v52 dst_sel:DWORD dst_unused:UNUSED_PAD src0_sel:DWORD src1_sel:BYTE_3
	v_lshlrev_b32_e32 v5, 20, v5
	v_lshl_add_u32 v9, v9, 23, 0x3c000000
	v_mov_b32_e32 v23, v6
	v_and_b32_e32 v11, 0x80000000, v11
	v_or3_b32 v24, v5, v11, v9
.LBB203_340:                            ;   in Loop: Header=BB203_276 Depth=1
	s_or_b32 exec_lo, exec_lo, s17
.LBB203_341:                            ;   in Loop: Header=BB203_276 Depth=1
	s_or_b32 exec_lo, exec_lo, s16
.LBB203_342:                            ;   in Loop: Header=BB203_276 Depth=1
	s_or_b32 exec_lo, exec_lo, s15
	v_or_b32_e32 v5, v20, v18
	v_or_b32_e32 v9, v19, v17
	;; [unrolled: 1-line block ×4, first 2 shown]
	v_mul_f32_e32 v54, s14, v5
	v_mul_f32_e32 v55, s9, v9
	;; [unrolled: 1-line block ×4, first 2 shown]
	s_and_saveexec_b32 s15, s0
	s_cbranch_execz .LBB203_344
; %bb.343:                              ;   in Loop: Header=BB203_276 Depth=1
	v_add_nc_u32_e32 v5, -2, v40
	v_cmp_gt_i32_e64 s1, s27, v51
	v_add_nc_u32_e32 v9, -1, v40
	v_cndmask_b32_e64 v55, 0, v55, s1
	v_cmp_gt_i32_e64 s1, s27, v5
	v_cndmask_b32_e64 v54, 0, v54, s1
	v_cmp_gt_i32_e64 s1, s27, v9
	;; [unrolled: 2-line block ×3, first 2 shown]
	v_cndmask_b32_e64 v52, 0, v52, s1
.LBB203_344:                            ;   in Loop: Header=BB203_276 Depth=1
	s_or_b32 exec_lo, exec_lo, s15
	global_load_dword v56, v[15:16], off offset:256
	v_mov_b32_e32 v19, 0
	v_mov_b32_e32 v17, 0
	;; [unrolled: 1-line block ×4, first 2 shown]
	s_waitcnt vmcnt(0)
	v_cmp_ne_u16_sdwa s1, v56, v6 src0_sel:BYTE_0 src1_sel:DWORD
	s_and_saveexec_b32 s15, s1
	s_cbranch_execz .LBB203_352
; %bb.345:                              ;   in Loop: Header=BB203_276 Depth=1
	v_bfrev_b32_e32 v17, 1
	v_mov_b32_e32 v18, 0
	v_cmp_ne_u16_sdwa s1, v56, v42 src0_sel:BYTE_0 src1_sel:DWORD
	s_and_saveexec_b32 s16, s1
	s_cbranch_execz .LBB203_351
; %bb.346:                              ;   in Loop: Header=BB203_276 Depth=1
	v_mov_b32_e32 v17, 0x7f800001
	v_and_b32_e32 v11, 0x7f, v56
	v_mov_b32_e32 v18, 0
	s_mov_b32 s17, exec_lo
	v_cmpx_ne_u32_e32 0x7f, v11
	s_cbranch_execz .LBB203_350
; %bb.347:                              ;   in Loop: Header=BB203_276 Depth=1
	v_and_b32_e32 v5, 7, v56
	v_lshrrev_b32_e32 v9, 3, v11
	s_mov_b32 s18, exec_lo
	v_cmpx_gt_u32_e32 8, v11
; %bb.348:                              ;   in Loop: Header=BB203_276 Depth=1
	v_ffbh_u32_e32 v9, v5
	v_min_u32_e32 v9, 32, v9
	v_subrev_nc_u32_e32 v11, 28, v9
	v_sub_nc_u32_e32 v9, 29, v9
	v_lshlrev_b64 v[17:18], v11, v[5:6]
	v_and_b32_e32 v5, 7, v17
; %bb.349:                              ;   in Loop: Header=BB203_276 Depth=1
	s_or_b32 exec_lo, exec_lo, s18
	v_lshlrev_b32_e32 v11, 24, v56
	v_lshlrev_b32_e32 v5, 20, v5
	v_lshl_add_u32 v9, v9, 23, 0x3c000000
	v_and_b32_e32 v11, 0x80000000, v11
	v_or3_b32 v5, v5, v11, v9
	v_mov_b32_e32 v18, v6
	v_mov_b32_e32 v17, v5
.LBB203_350:                            ;   in Loop: Header=BB203_276 Depth=1
	s_or_b32 exec_lo, exec_lo, s17
.LBB203_351:                            ;   in Loop: Header=BB203_276 Depth=1
	s_or_b32 exec_lo, exec_lo, s16
.LBB203_352:                            ;   in Loop: Header=BB203_276 Depth=1
	s_or_b32 exec_lo, exec_lo, s15
	v_cmp_ne_u16_sdwa s1, v56, v6 src0_sel:BYTE_1 src1_sel:DWORD
	s_and_saveexec_b32 s15, s1
	s_cbranch_execz .LBB203_360
; %bb.353:                              ;   in Loop: Header=BB203_276 Depth=1
	v_mov_b32_e32 v9, v6
	v_mov_b32_e32 v20, v10
	v_cmp_ne_u16_sdwa s1, v56, v42 src0_sel:BYTE_1 src1_sel:DWORD
	v_mov_b32_e32 v19, v9
	s_and_saveexec_b32 s16, s1
	s_cbranch_execz .LBB203_359
; %bb.354:                              ;   in Loop: Header=BB203_276 Depth=1
	v_and_b32_sdwa v5, v43, v56 dst_sel:DWORD dst_unused:UNUSED_PAD src0_sel:DWORD src1_sel:BYTE_1
	v_mov_b32_e32 v11, v6
	v_mov_b32_e32 v20, v12
	s_mov_b32 s17, exec_lo
	v_and_b32_e32 v21, 0x7f, v5
	v_mov_b32_e32 v19, v11
	v_cmpx_ne_u32_e32 0x7f, v21
	s_cbranch_execz .LBB203_358
; %bb.355:                              ;   in Loop: Header=BB203_276 Depth=1
	v_and_b32_e32 v5, 7, v5
	v_lshrrev_b32_e32 v9, 3, v21
	s_mov_b32 s18, exec_lo
	v_cmpx_gt_u32_e32 8, v21
; %bb.356:                              ;   in Loop: Header=BB203_276 Depth=1
	v_ffbh_u32_e32 v9, v5
	v_min_u32_e32 v9, 32, v9
	v_subrev_nc_u32_e32 v11, 28, v9
	v_sub_nc_u32_e32 v9, 29, v9
	v_lshlrev_b64 v[19:20], v11, v[5:6]
	v_and_b32_e32 v5, 7, v19
; %bb.357:                              ;   in Loop: Header=BB203_276 Depth=1
	s_or_b32 exec_lo, exec_lo, s18
	v_lshlrev_b32_e32 v11, 16, v56
	v_lshlrev_b32_e32 v5, 20, v5
	v_lshl_add_u32 v9, v9, 23, 0x3c000000
	v_mov_b32_e32 v19, v6
	v_and_b32_e32 v11, 0x80000000, v11
	v_or3_b32 v20, v5, v11, v9
.LBB203_358:                            ;   in Loop: Header=BB203_276 Depth=1
	s_or_b32 exec_lo, exec_lo, s17
.LBB203_359:                            ;   in Loop: Header=BB203_276 Depth=1
	s_or_b32 exec_lo, exec_lo, s16
.LBB203_360:                            ;   in Loop: Header=BB203_276 Depth=1
	s_or_b32 exec_lo, exec_lo, s15
	v_mov_b32_e32 v23, 0
	v_mov_b32_e32 v21, 0
	v_and_b32_sdwa v5, v56, v44 dst_sel:DWORD dst_unused:UNUSED_PAD src0_sel:WORD_1 src1_sel:DWORD
	v_mov_b32_e32 v24, 0
	v_mov_b32_e32 v22, 0
	s_mov_b32 s15, exec_lo
	v_cmpx_ne_u16_e32 0, v5
	s_cbranch_execz .LBB203_368
; %bb.361:                              ;   in Loop: Header=BB203_276 Depth=1
	v_bfrev_b32_e32 v21, 1
	v_mov_b32_e32 v22, 0
	s_mov_b32 s16, exec_lo
	v_cmpx_ne_u16_e32 0x80, v5
	s_cbranch_execz .LBB203_367
; %bb.362:                              ;   in Loop: Header=BB203_276 Depth=1
	v_mov_b32_e32 v21, 0x7f800001
	v_bfe_u32 v11, v56, 16, 7
	v_mov_b32_e32 v22, 0
	s_mov_b32 s17, exec_lo
	v_cmpx_ne_u32_e32 0x7f, v11
	s_cbranch_execz .LBB203_366
; %bb.363:                              ;   in Loop: Header=BB203_276 Depth=1
	v_and_b32_sdwa v5, v56, v45 dst_sel:DWORD dst_unused:UNUSED_PAD src0_sel:WORD_1 src1_sel:DWORD
	v_lshrrev_b32_e32 v9, 3, v11
	s_mov_b32 s18, exec_lo
	v_cmpx_gt_u32_e32 8, v11
; %bb.364:                              ;   in Loop: Header=BB203_276 Depth=1
	v_ffbh_u32_e32 v9, v5
	v_min_u32_e32 v9, 32, v9
	v_subrev_nc_u32_e32 v11, 28, v9
	v_sub_nc_u32_e32 v9, 29, v9
	v_lshlrev_b64 v[21:22], v11, v[5:6]
	v_and_b32_e32 v5, 7, v21
; %bb.365:                              ;   in Loop: Header=BB203_276 Depth=1
	s_or_b32 exec_lo, exec_lo, s18
	v_lshlrev_b32_sdwa v11, v46, v56 dst_sel:DWORD dst_unused:UNUSED_PAD src0_sel:DWORD src1_sel:WORD_1
	v_lshlrev_b32_e32 v5, 20, v5
	v_lshl_add_u32 v9, v9, 23, 0x3c000000
	v_and_b32_e32 v11, 0x80000000, v11
	v_or3_b32 v5, v5, v11, v9
	v_mov_b32_e32 v22, v6
	v_mov_b32_e32 v21, v5
.LBB203_366:                            ;   in Loop: Header=BB203_276 Depth=1
	s_or_b32 exec_lo, exec_lo, s17
.LBB203_367:                            ;   in Loop: Header=BB203_276 Depth=1
	s_or_b32 exec_lo, exec_lo, s16
.LBB203_368:                            ;   in Loop: Header=BB203_276 Depth=1
	s_or_b32 exec_lo, exec_lo, s15
	s_mov_b32 s15, exec_lo
	v_cmpx_lt_u32_e32 0xffffff, v56
	s_cbranch_execz .LBB203_376
; %bb.369:                              ;   in Loop: Header=BB203_276 Depth=1
	v_mov_b32_e32 v9, v6
	v_mov_b32_e32 v24, v10
	v_cmp_ne_u32_sdwa s1, v56, v42 src0_sel:BYTE_3 src1_sel:DWORD
	v_mov_b32_e32 v23, v9
	s_and_saveexec_b32 s16, s1
	s_cbranch_execz .LBB203_375
; %bb.370:                              ;   in Loop: Header=BB203_276 Depth=1
	v_mov_b32_e32 v11, v6
	v_mov_b32_e32 v24, v12
	v_bfe_u32 v57, v56, 24, 7
	s_mov_b32 s17, exec_lo
	v_mov_b32_e32 v23, v11
	v_cmpx_ne_u32_e32 0x7f, v57
	s_cbranch_execz .LBB203_374
; %bb.371:                              ;   in Loop: Header=BB203_276 Depth=1
	v_and_b32_sdwa v5, v56, v45 dst_sel:DWORD dst_unused:UNUSED_PAD src0_sel:BYTE_3 src1_sel:DWORD
	v_lshrrev_b32_e32 v9, 3, v57
	s_mov_b32 s18, exec_lo
	v_cmpx_gt_u32_e32 8, v57
; %bb.372:                              ;   in Loop: Header=BB203_276 Depth=1
	v_ffbh_u32_e32 v9, v5
	v_min_u32_e32 v9, 32, v9
	v_subrev_nc_u32_e32 v11, 28, v9
	v_sub_nc_u32_e32 v9, 29, v9
	v_lshlrev_b64 v[23:24], v11, v[5:6]
	v_and_b32_e32 v5, 7, v23
; %bb.373:                              ;   in Loop: Header=BB203_276 Depth=1
	s_or_b32 exec_lo, exec_lo, s18
	v_lshlrev_b32_sdwa v11, v46, v56 dst_sel:DWORD dst_unused:UNUSED_PAD src0_sel:DWORD src1_sel:BYTE_3
	v_lshlrev_b32_e32 v5, 20, v5
	v_lshl_add_u32 v9, v9, 23, 0x3c000000
	v_mov_b32_e32 v23, v6
	v_and_b32_e32 v11, 0x80000000, v11
	v_or3_b32 v24, v5, v11, v9
.LBB203_374:                            ;   in Loop: Header=BB203_276 Depth=1
	s_or_b32 exec_lo, exec_lo, s17
.LBB203_375:                            ;   in Loop: Header=BB203_276 Depth=1
	s_or_b32 exec_lo, exec_lo, s16
.LBB203_376:                            ;   in Loop: Header=BB203_276 Depth=1
	s_or_b32 exec_lo, exec_lo, s15
	v_or_b32_e32 v5, v20, v18
	v_or_b32_e32 v9, v19, v17
	;; [unrolled: 1-line block ×4, first 2 shown]
	v_mul_f32_e32 v58, s14, v5
	v_mul_f32_e32 v59, s9, v9
	;; [unrolled: 1-line block ×4, first 2 shown]
	s_and_saveexec_b32 s15, s0
	s_cbranch_execz .LBB203_378
; %bb.377:                              ;   in Loop: Header=BB203_276 Depth=1
	v_add_nc_u32_e32 v5, -2, v40
	v_cmp_gt_i32_e64 s1, s27, v51
	v_add_nc_u32_e32 v9, -1, v40
	v_cndmask_b32_e64 v59, 0, v59, s1
	v_cmp_gt_i32_e64 s1, s27, v5
	v_cndmask_b32_e64 v58, 0, v58, s1
	v_cmp_gt_i32_e64 s1, s27, v9
	;; [unrolled: 2-line block ×3, first 2 shown]
	v_cndmask_b32_e64 v56, 0, v56, s1
.LBB203_378:                            ;   in Loop: Header=BB203_276 Depth=1
	s_or_b32 exec_lo, exec_lo, s15
	global_load_dword v60, v[15:16], off offset:384
	v_mov_b32_e32 v19, 0
	v_mov_b32_e32 v17, 0
	;; [unrolled: 1-line block ×4, first 2 shown]
	s_waitcnt vmcnt(0)
	v_cmp_ne_u16_sdwa s1, v60, v6 src0_sel:BYTE_0 src1_sel:DWORD
	s_and_saveexec_b32 s15, s1
	s_cbranch_execz .LBB203_386
; %bb.379:                              ;   in Loop: Header=BB203_276 Depth=1
	v_bfrev_b32_e32 v17, 1
	v_mov_b32_e32 v18, 0
	v_cmp_ne_u16_sdwa s1, v60, v42 src0_sel:BYTE_0 src1_sel:DWORD
	s_and_saveexec_b32 s16, s1
	s_cbranch_execz .LBB203_385
; %bb.380:                              ;   in Loop: Header=BB203_276 Depth=1
	v_mov_b32_e32 v17, 0x7f800001
	v_and_b32_e32 v11, 0x7f, v60
	v_mov_b32_e32 v18, 0
	s_mov_b32 s17, exec_lo
	v_cmpx_ne_u32_e32 0x7f, v11
	s_cbranch_execz .LBB203_384
; %bb.381:                              ;   in Loop: Header=BB203_276 Depth=1
	v_and_b32_e32 v5, 7, v60
	v_lshrrev_b32_e32 v9, 3, v11
	s_mov_b32 s18, exec_lo
	v_cmpx_gt_u32_e32 8, v11
; %bb.382:                              ;   in Loop: Header=BB203_276 Depth=1
	v_ffbh_u32_e32 v9, v5
	v_min_u32_e32 v9, 32, v9
	v_subrev_nc_u32_e32 v11, 28, v9
	v_sub_nc_u32_e32 v9, 29, v9
	v_lshlrev_b64 v[17:18], v11, v[5:6]
	v_and_b32_e32 v5, 7, v17
; %bb.383:                              ;   in Loop: Header=BB203_276 Depth=1
	s_or_b32 exec_lo, exec_lo, s18
	v_lshlrev_b32_e32 v11, 24, v60
	v_lshlrev_b32_e32 v5, 20, v5
	v_lshl_add_u32 v9, v9, 23, 0x3c000000
	v_and_b32_e32 v11, 0x80000000, v11
	v_or3_b32 v5, v5, v11, v9
	v_mov_b32_e32 v18, v6
	v_mov_b32_e32 v17, v5
.LBB203_384:                            ;   in Loop: Header=BB203_276 Depth=1
	s_or_b32 exec_lo, exec_lo, s17
.LBB203_385:                            ;   in Loop: Header=BB203_276 Depth=1
	s_or_b32 exec_lo, exec_lo, s16
.LBB203_386:                            ;   in Loop: Header=BB203_276 Depth=1
	s_or_b32 exec_lo, exec_lo, s15
	v_cmp_ne_u16_sdwa s1, v60, v6 src0_sel:BYTE_1 src1_sel:DWORD
	s_and_saveexec_b32 s15, s1
	s_cbranch_execz .LBB203_394
; %bb.387:                              ;   in Loop: Header=BB203_276 Depth=1
	v_mov_b32_e32 v9, v6
	v_mov_b32_e32 v20, v10
	v_cmp_ne_u16_sdwa s1, v60, v42 src0_sel:BYTE_1 src1_sel:DWORD
	v_mov_b32_e32 v19, v9
	s_and_saveexec_b32 s16, s1
	s_cbranch_execz .LBB203_393
; %bb.388:                              ;   in Loop: Header=BB203_276 Depth=1
	v_and_b32_sdwa v5, v43, v60 dst_sel:DWORD dst_unused:UNUSED_PAD src0_sel:DWORD src1_sel:BYTE_1
	v_mov_b32_e32 v11, v6
	v_mov_b32_e32 v20, v12
	s_mov_b32 s17, exec_lo
	v_and_b32_e32 v21, 0x7f, v5
	v_mov_b32_e32 v19, v11
	v_cmpx_ne_u32_e32 0x7f, v21
	s_cbranch_execz .LBB203_392
; %bb.389:                              ;   in Loop: Header=BB203_276 Depth=1
	v_and_b32_e32 v5, 7, v5
	v_lshrrev_b32_e32 v9, 3, v21
	s_mov_b32 s18, exec_lo
	v_cmpx_gt_u32_e32 8, v21
; %bb.390:                              ;   in Loop: Header=BB203_276 Depth=1
	v_ffbh_u32_e32 v9, v5
	v_min_u32_e32 v9, 32, v9
	v_subrev_nc_u32_e32 v11, 28, v9
	v_sub_nc_u32_e32 v9, 29, v9
	v_lshlrev_b64 v[19:20], v11, v[5:6]
	v_and_b32_e32 v5, 7, v19
; %bb.391:                              ;   in Loop: Header=BB203_276 Depth=1
	s_or_b32 exec_lo, exec_lo, s18
	v_lshlrev_b32_e32 v11, 16, v60
	v_lshlrev_b32_e32 v5, 20, v5
	v_lshl_add_u32 v9, v9, 23, 0x3c000000
	v_mov_b32_e32 v19, v6
	v_and_b32_e32 v11, 0x80000000, v11
	v_or3_b32 v20, v5, v11, v9
.LBB203_392:                            ;   in Loop: Header=BB203_276 Depth=1
	s_or_b32 exec_lo, exec_lo, s17
.LBB203_393:                            ;   in Loop: Header=BB203_276 Depth=1
	s_or_b32 exec_lo, exec_lo, s16
.LBB203_394:                            ;   in Loop: Header=BB203_276 Depth=1
	s_or_b32 exec_lo, exec_lo, s15
	v_mov_b32_e32 v23, 0
	v_mov_b32_e32 v21, 0
	v_and_b32_sdwa v5, v60, v44 dst_sel:DWORD dst_unused:UNUSED_PAD src0_sel:WORD_1 src1_sel:DWORD
	v_mov_b32_e32 v24, 0
	v_mov_b32_e32 v22, 0
	s_mov_b32 s15, exec_lo
	v_cmpx_ne_u16_e32 0, v5
	s_cbranch_execz .LBB203_402
; %bb.395:                              ;   in Loop: Header=BB203_276 Depth=1
	v_bfrev_b32_e32 v21, 1
	v_mov_b32_e32 v22, 0
	s_mov_b32 s16, exec_lo
	v_cmpx_ne_u16_e32 0x80, v5
	s_cbranch_execz .LBB203_401
; %bb.396:                              ;   in Loop: Header=BB203_276 Depth=1
	v_mov_b32_e32 v21, 0x7f800001
	v_bfe_u32 v11, v60, 16, 7
	v_mov_b32_e32 v22, 0
	s_mov_b32 s17, exec_lo
	v_cmpx_ne_u32_e32 0x7f, v11
	s_cbranch_execz .LBB203_400
; %bb.397:                              ;   in Loop: Header=BB203_276 Depth=1
	v_and_b32_sdwa v5, v60, v45 dst_sel:DWORD dst_unused:UNUSED_PAD src0_sel:WORD_1 src1_sel:DWORD
	v_lshrrev_b32_e32 v9, 3, v11
	s_mov_b32 s18, exec_lo
	v_cmpx_gt_u32_e32 8, v11
; %bb.398:                              ;   in Loop: Header=BB203_276 Depth=1
	v_ffbh_u32_e32 v9, v5
	v_min_u32_e32 v9, 32, v9
	v_subrev_nc_u32_e32 v11, 28, v9
	v_sub_nc_u32_e32 v9, 29, v9
	v_lshlrev_b64 v[21:22], v11, v[5:6]
	v_and_b32_e32 v5, 7, v21
; %bb.399:                              ;   in Loop: Header=BB203_276 Depth=1
	s_or_b32 exec_lo, exec_lo, s18
	v_lshlrev_b32_sdwa v11, v46, v60 dst_sel:DWORD dst_unused:UNUSED_PAD src0_sel:DWORD src1_sel:WORD_1
	v_lshlrev_b32_e32 v5, 20, v5
	v_lshl_add_u32 v9, v9, 23, 0x3c000000
	v_and_b32_e32 v11, 0x80000000, v11
	v_or3_b32 v5, v5, v11, v9
	v_mov_b32_e32 v22, v6
	v_mov_b32_e32 v21, v5
.LBB203_400:                            ;   in Loop: Header=BB203_276 Depth=1
	s_or_b32 exec_lo, exec_lo, s17
.LBB203_401:                            ;   in Loop: Header=BB203_276 Depth=1
	s_or_b32 exec_lo, exec_lo, s16
.LBB203_402:                            ;   in Loop: Header=BB203_276 Depth=1
	s_or_b32 exec_lo, exec_lo, s15
	s_mov_b32 s15, exec_lo
	v_cmpx_lt_u32_e32 0xffffff, v60
	s_cbranch_execz .LBB203_410
; %bb.403:                              ;   in Loop: Header=BB203_276 Depth=1
	v_mov_b32_e32 v9, v6
	v_mov_b32_e32 v24, v10
	v_cmp_ne_u32_sdwa s1, v60, v42 src0_sel:BYTE_3 src1_sel:DWORD
	v_mov_b32_e32 v23, v9
	s_and_saveexec_b32 s16, s1
	s_cbranch_execz .LBB203_409
; %bb.404:                              ;   in Loop: Header=BB203_276 Depth=1
	v_mov_b32_e32 v11, v6
	v_mov_b32_e32 v24, v12
	v_bfe_u32 v61, v60, 24, 7
	s_mov_b32 s17, exec_lo
	v_mov_b32_e32 v23, v11
	v_cmpx_ne_u32_e32 0x7f, v61
	s_cbranch_execz .LBB203_408
; %bb.405:                              ;   in Loop: Header=BB203_276 Depth=1
	v_and_b32_sdwa v5, v60, v45 dst_sel:DWORD dst_unused:UNUSED_PAD src0_sel:BYTE_3 src1_sel:DWORD
	v_lshrrev_b32_e32 v9, 3, v61
	s_mov_b32 s18, exec_lo
	v_cmpx_gt_u32_e32 8, v61
; %bb.406:                              ;   in Loop: Header=BB203_276 Depth=1
	v_ffbh_u32_e32 v9, v5
	v_min_u32_e32 v9, 32, v9
	v_subrev_nc_u32_e32 v11, 28, v9
	v_sub_nc_u32_e32 v9, 29, v9
	v_lshlrev_b64 v[23:24], v11, v[5:6]
	v_and_b32_e32 v5, 7, v23
; %bb.407:                              ;   in Loop: Header=BB203_276 Depth=1
	s_or_b32 exec_lo, exec_lo, s18
	v_lshlrev_b32_sdwa v11, v46, v60 dst_sel:DWORD dst_unused:UNUSED_PAD src0_sel:DWORD src1_sel:BYTE_3
	v_lshlrev_b32_e32 v5, 20, v5
	v_lshl_add_u32 v9, v9, 23, 0x3c000000
	v_mov_b32_e32 v23, v6
	v_and_b32_e32 v11, 0x80000000, v11
	v_or3_b32 v24, v5, v11, v9
.LBB203_408:                            ;   in Loop: Header=BB203_276 Depth=1
	s_or_b32 exec_lo, exec_lo, s17
.LBB203_409:                            ;   in Loop: Header=BB203_276 Depth=1
	s_or_b32 exec_lo, exec_lo, s16
.LBB203_410:                            ;   in Loop: Header=BB203_276 Depth=1
	s_or_b32 exec_lo, exec_lo, s15
	v_or_b32_e32 v5, v20, v18
	v_or_b32_e32 v9, v19, v17
	;; [unrolled: 1-line block ×4, first 2 shown]
	v_mul_f32_e32 v62, s14, v5
	v_mul_f32_e32 v63, s9, v9
	;; [unrolled: 1-line block ×4, first 2 shown]
	s_and_saveexec_b32 s15, s0
	s_cbranch_execz .LBB203_412
; %bb.411:                              ;   in Loop: Header=BB203_276 Depth=1
	v_add_nc_u32_e32 v5, -2, v40
	v_cmp_gt_i32_e64 s1, s27, v51
	v_add_nc_u32_e32 v9, -1, v40
	v_cndmask_b32_e64 v63, 0, v63, s1
	v_cmp_gt_i32_e64 s1, s27, v5
	v_cndmask_b32_e64 v62, 0, v62, s1
	v_cmp_gt_i32_e64 s1, s27, v9
	;; [unrolled: 2-line block ×3, first 2 shown]
	v_cndmask_b32_e64 v60, 0, v60, s1
.LBB203_412:                            ;   in Loop: Header=BB203_276 Depth=1
	s_or_b32 exec_lo, exec_lo, s15
	global_load_dword v64, v[15:16], off offset:512
	v_mov_b32_e32 v19, 0
	v_mov_b32_e32 v17, 0
	;; [unrolled: 1-line block ×4, first 2 shown]
	s_waitcnt vmcnt(0)
	v_cmp_ne_u16_sdwa s1, v64, v6 src0_sel:BYTE_0 src1_sel:DWORD
	s_and_saveexec_b32 s15, s1
	s_cbranch_execz .LBB203_420
; %bb.413:                              ;   in Loop: Header=BB203_276 Depth=1
	v_bfrev_b32_e32 v17, 1
	v_mov_b32_e32 v18, 0
	v_cmp_ne_u16_sdwa s1, v64, v42 src0_sel:BYTE_0 src1_sel:DWORD
	s_and_saveexec_b32 s16, s1
	s_cbranch_execz .LBB203_419
; %bb.414:                              ;   in Loop: Header=BB203_276 Depth=1
	v_mov_b32_e32 v17, 0x7f800001
	v_and_b32_e32 v11, 0x7f, v64
	v_mov_b32_e32 v18, 0
	s_mov_b32 s17, exec_lo
	v_cmpx_ne_u32_e32 0x7f, v11
	s_cbranch_execz .LBB203_418
; %bb.415:                              ;   in Loop: Header=BB203_276 Depth=1
	v_and_b32_e32 v5, 7, v64
	v_lshrrev_b32_e32 v9, 3, v11
	s_mov_b32 s18, exec_lo
	v_cmpx_gt_u32_e32 8, v11
; %bb.416:                              ;   in Loop: Header=BB203_276 Depth=1
	v_ffbh_u32_e32 v9, v5
	v_min_u32_e32 v9, 32, v9
	v_subrev_nc_u32_e32 v11, 28, v9
	v_sub_nc_u32_e32 v9, 29, v9
	v_lshlrev_b64 v[17:18], v11, v[5:6]
	v_and_b32_e32 v5, 7, v17
; %bb.417:                              ;   in Loop: Header=BB203_276 Depth=1
	s_or_b32 exec_lo, exec_lo, s18
	v_lshlrev_b32_e32 v11, 24, v64
	v_lshlrev_b32_e32 v5, 20, v5
	v_lshl_add_u32 v9, v9, 23, 0x3c000000
	v_and_b32_e32 v11, 0x80000000, v11
	v_or3_b32 v5, v5, v11, v9
	v_mov_b32_e32 v18, v6
	v_mov_b32_e32 v17, v5
.LBB203_418:                            ;   in Loop: Header=BB203_276 Depth=1
	s_or_b32 exec_lo, exec_lo, s17
.LBB203_419:                            ;   in Loop: Header=BB203_276 Depth=1
	s_or_b32 exec_lo, exec_lo, s16
.LBB203_420:                            ;   in Loop: Header=BB203_276 Depth=1
	s_or_b32 exec_lo, exec_lo, s15
	v_cmp_ne_u16_sdwa s1, v64, v6 src0_sel:BYTE_1 src1_sel:DWORD
	s_and_saveexec_b32 s15, s1
	s_cbranch_execz .LBB203_428
; %bb.421:                              ;   in Loop: Header=BB203_276 Depth=1
	v_mov_b32_e32 v9, v6
	v_mov_b32_e32 v20, v10
	v_cmp_ne_u16_sdwa s1, v64, v42 src0_sel:BYTE_1 src1_sel:DWORD
	v_mov_b32_e32 v19, v9
	s_and_saveexec_b32 s16, s1
	s_cbranch_execz .LBB203_427
; %bb.422:                              ;   in Loop: Header=BB203_276 Depth=1
	v_and_b32_sdwa v5, v43, v64 dst_sel:DWORD dst_unused:UNUSED_PAD src0_sel:DWORD src1_sel:BYTE_1
	v_mov_b32_e32 v11, v6
	v_mov_b32_e32 v20, v12
	s_mov_b32 s17, exec_lo
	v_and_b32_e32 v21, 0x7f, v5
	v_mov_b32_e32 v19, v11
	v_cmpx_ne_u32_e32 0x7f, v21
	s_cbranch_execz .LBB203_426
; %bb.423:                              ;   in Loop: Header=BB203_276 Depth=1
	v_and_b32_e32 v5, 7, v5
	v_lshrrev_b32_e32 v9, 3, v21
	s_mov_b32 s18, exec_lo
	v_cmpx_gt_u32_e32 8, v21
; %bb.424:                              ;   in Loop: Header=BB203_276 Depth=1
	v_ffbh_u32_e32 v9, v5
	v_min_u32_e32 v9, 32, v9
	v_subrev_nc_u32_e32 v11, 28, v9
	v_sub_nc_u32_e32 v9, 29, v9
	v_lshlrev_b64 v[19:20], v11, v[5:6]
	v_and_b32_e32 v5, 7, v19
; %bb.425:                              ;   in Loop: Header=BB203_276 Depth=1
	s_or_b32 exec_lo, exec_lo, s18
	v_lshlrev_b32_e32 v11, 16, v64
	v_lshlrev_b32_e32 v5, 20, v5
	v_lshl_add_u32 v9, v9, 23, 0x3c000000
	v_mov_b32_e32 v19, v6
	v_and_b32_e32 v11, 0x80000000, v11
	v_or3_b32 v20, v5, v11, v9
.LBB203_426:                            ;   in Loop: Header=BB203_276 Depth=1
	s_or_b32 exec_lo, exec_lo, s17
.LBB203_427:                            ;   in Loop: Header=BB203_276 Depth=1
	s_or_b32 exec_lo, exec_lo, s16
.LBB203_428:                            ;   in Loop: Header=BB203_276 Depth=1
	s_or_b32 exec_lo, exec_lo, s15
	v_mov_b32_e32 v23, 0
	v_mov_b32_e32 v21, 0
	v_and_b32_sdwa v5, v64, v44 dst_sel:DWORD dst_unused:UNUSED_PAD src0_sel:WORD_1 src1_sel:DWORD
	v_mov_b32_e32 v24, 0
	v_mov_b32_e32 v22, 0
	s_mov_b32 s15, exec_lo
	v_cmpx_ne_u16_e32 0, v5
	s_cbranch_execz .LBB203_436
; %bb.429:                              ;   in Loop: Header=BB203_276 Depth=1
	v_bfrev_b32_e32 v21, 1
	v_mov_b32_e32 v22, 0
	s_mov_b32 s16, exec_lo
	v_cmpx_ne_u16_e32 0x80, v5
	s_cbranch_execz .LBB203_435
; %bb.430:                              ;   in Loop: Header=BB203_276 Depth=1
	v_mov_b32_e32 v21, 0x7f800001
	v_bfe_u32 v11, v64, 16, 7
	v_mov_b32_e32 v22, 0
	s_mov_b32 s17, exec_lo
	v_cmpx_ne_u32_e32 0x7f, v11
	s_cbranch_execz .LBB203_434
; %bb.431:                              ;   in Loop: Header=BB203_276 Depth=1
	v_and_b32_sdwa v5, v64, v45 dst_sel:DWORD dst_unused:UNUSED_PAD src0_sel:WORD_1 src1_sel:DWORD
	v_lshrrev_b32_e32 v9, 3, v11
	s_mov_b32 s18, exec_lo
	v_cmpx_gt_u32_e32 8, v11
; %bb.432:                              ;   in Loop: Header=BB203_276 Depth=1
	v_ffbh_u32_e32 v9, v5
	v_min_u32_e32 v9, 32, v9
	v_subrev_nc_u32_e32 v11, 28, v9
	v_sub_nc_u32_e32 v9, 29, v9
	v_lshlrev_b64 v[21:22], v11, v[5:6]
	v_and_b32_e32 v5, 7, v21
; %bb.433:                              ;   in Loop: Header=BB203_276 Depth=1
	s_or_b32 exec_lo, exec_lo, s18
	v_lshlrev_b32_sdwa v11, v46, v64 dst_sel:DWORD dst_unused:UNUSED_PAD src0_sel:DWORD src1_sel:WORD_1
	v_lshlrev_b32_e32 v5, 20, v5
	v_lshl_add_u32 v9, v9, 23, 0x3c000000
	v_and_b32_e32 v11, 0x80000000, v11
	v_or3_b32 v5, v5, v11, v9
	v_mov_b32_e32 v22, v6
	v_mov_b32_e32 v21, v5
.LBB203_434:                            ;   in Loop: Header=BB203_276 Depth=1
	s_or_b32 exec_lo, exec_lo, s17
.LBB203_435:                            ;   in Loop: Header=BB203_276 Depth=1
	s_or_b32 exec_lo, exec_lo, s16
.LBB203_436:                            ;   in Loop: Header=BB203_276 Depth=1
	s_or_b32 exec_lo, exec_lo, s15
	s_mov_b32 s15, exec_lo
	v_cmpx_lt_u32_e32 0xffffff, v64
	s_cbranch_execz .LBB203_444
; %bb.437:                              ;   in Loop: Header=BB203_276 Depth=1
	v_mov_b32_e32 v9, v6
	v_mov_b32_e32 v24, v10
	v_cmp_ne_u32_sdwa s1, v64, v42 src0_sel:BYTE_3 src1_sel:DWORD
	v_mov_b32_e32 v23, v9
	s_and_saveexec_b32 s16, s1
	s_cbranch_execz .LBB203_443
; %bb.438:                              ;   in Loop: Header=BB203_276 Depth=1
	v_mov_b32_e32 v11, v6
	v_mov_b32_e32 v24, v12
	v_bfe_u32 v65, v64, 24, 7
	s_mov_b32 s17, exec_lo
	v_mov_b32_e32 v23, v11
	v_cmpx_ne_u32_e32 0x7f, v65
	s_cbranch_execz .LBB203_442
; %bb.439:                              ;   in Loop: Header=BB203_276 Depth=1
	v_and_b32_sdwa v5, v64, v45 dst_sel:DWORD dst_unused:UNUSED_PAD src0_sel:BYTE_3 src1_sel:DWORD
	v_lshrrev_b32_e32 v9, 3, v65
	s_mov_b32 s18, exec_lo
	v_cmpx_gt_u32_e32 8, v65
; %bb.440:                              ;   in Loop: Header=BB203_276 Depth=1
	v_ffbh_u32_e32 v9, v5
	v_min_u32_e32 v9, 32, v9
	v_subrev_nc_u32_e32 v11, 28, v9
	v_sub_nc_u32_e32 v9, 29, v9
	v_lshlrev_b64 v[23:24], v11, v[5:6]
	v_and_b32_e32 v5, 7, v23
; %bb.441:                              ;   in Loop: Header=BB203_276 Depth=1
	s_or_b32 exec_lo, exec_lo, s18
	v_lshlrev_b32_sdwa v11, v46, v64 dst_sel:DWORD dst_unused:UNUSED_PAD src0_sel:DWORD src1_sel:BYTE_3
	v_lshlrev_b32_e32 v5, 20, v5
	v_lshl_add_u32 v9, v9, 23, 0x3c000000
	v_mov_b32_e32 v23, v6
	v_and_b32_e32 v11, 0x80000000, v11
	v_or3_b32 v24, v5, v11, v9
.LBB203_442:                            ;   in Loop: Header=BB203_276 Depth=1
	s_or_b32 exec_lo, exec_lo, s17
.LBB203_443:                            ;   in Loop: Header=BB203_276 Depth=1
	s_or_b32 exec_lo, exec_lo, s16
.LBB203_444:                            ;   in Loop: Header=BB203_276 Depth=1
	s_or_b32 exec_lo, exec_lo, s15
	v_or_b32_e32 v5, v20, v18
	v_or_b32_e32 v9, v19, v17
	;; [unrolled: 1-line block ×4, first 2 shown]
	v_mul_f32_e32 v66, s14, v5
	v_mul_f32_e32 v67, s9, v9
	;; [unrolled: 1-line block ×4, first 2 shown]
	s_and_saveexec_b32 s15, s0
	s_cbranch_execz .LBB203_446
; %bb.445:                              ;   in Loop: Header=BB203_276 Depth=1
	v_add_nc_u32_e32 v5, -2, v40
	v_cmp_gt_i32_e64 s1, s27, v51
	v_add_nc_u32_e32 v9, -1, v40
	v_cndmask_b32_e64 v67, 0, v67, s1
	v_cmp_gt_i32_e64 s1, s27, v5
	v_cndmask_b32_e64 v66, 0, v66, s1
	v_cmp_gt_i32_e64 s1, s27, v9
	;; [unrolled: 2-line block ×3, first 2 shown]
	v_cndmask_b32_e64 v64, 0, v64, s1
.LBB203_446:                            ;   in Loop: Header=BB203_276 Depth=1
	s_or_b32 exec_lo, exec_lo, s15
	global_load_dword v68, v[15:16], off offset:640
	v_mov_b32_e32 v19, 0
	v_mov_b32_e32 v17, 0
	;; [unrolled: 1-line block ×4, first 2 shown]
	s_waitcnt vmcnt(0)
	v_cmp_ne_u16_sdwa s1, v68, v6 src0_sel:BYTE_0 src1_sel:DWORD
	s_and_saveexec_b32 s15, s1
	s_cbranch_execz .LBB203_454
; %bb.447:                              ;   in Loop: Header=BB203_276 Depth=1
	v_bfrev_b32_e32 v17, 1
	v_mov_b32_e32 v18, 0
	v_cmp_ne_u16_sdwa s1, v68, v42 src0_sel:BYTE_0 src1_sel:DWORD
	s_and_saveexec_b32 s16, s1
	s_cbranch_execz .LBB203_453
; %bb.448:                              ;   in Loop: Header=BB203_276 Depth=1
	v_mov_b32_e32 v17, 0x7f800001
	v_and_b32_e32 v11, 0x7f, v68
	v_mov_b32_e32 v18, 0
	s_mov_b32 s17, exec_lo
	v_cmpx_ne_u32_e32 0x7f, v11
	s_cbranch_execz .LBB203_452
; %bb.449:                              ;   in Loop: Header=BB203_276 Depth=1
	v_and_b32_e32 v5, 7, v68
	v_lshrrev_b32_e32 v9, 3, v11
	s_mov_b32 s18, exec_lo
	v_cmpx_gt_u32_e32 8, v11
; %bb.450:                              ;   in Loop: Header=BB203_276 Depth=1
	v_ffbh_u32_e32 v9, v5
	v_min_u32_e32 v9, 32, v9
	v_subrev_nc_u32_e32 v11, 28, v9
	v_sub_nc_u32_e32 v9, 29, v9
	v_lshlrev_b64 v[17:18], v11, v[5:6]
	v_and_b32_e32 v5, 7, v17
; %bb.451:                              ;   in Loop: Header=BB203_276 Depth=1
	s_or_b32 exec_lo, exec_lo, s18
	v_lshlrev_b32_e32 v11, 24, v68
	v_lshlrev_b32_e32 v5, 20, v5
	v_lshl_add_u32 v9, v9, 23, 0x3c000000
	v_and_b32_e32 v11, 0x80000000, v11
	v_or3_b32 v5, v5, v11, v9
	v_mov_b32_e32 v18, v6
	v_mov_b32_e32 v17, v5
.LBB203_452:                            ;   in Loop: Header=BB203_276 Depth=1
	s_or_b32 exec_lo, exec_lo, s17
.LBB203_453:                            ;   in Loop: Header=BB203_276 Depth=1
	s_or_b32 exec_lo, exec_lo, s16
.LBB203_454:                            ;   in Loop: Header=BB203_276 Depth=1
	s_or_b32 exec_lo, exec_lo, s15
	v_cmp_ne_u16_sdwa s1, v68, v6 src0_sel:BYTE_1 src1_sel:DWORD
	s_and_saveexec_b32 s15, s1
	s_cbranch_execz .LBB203_462
; %bb.455:                              ;   in Loop: Header=BB203_276 Depth=1
	v_mov_b32_e32 v9, v6
	v_mov_b32_e32 v20, v10
	v_cmp_ne_u16_sdwa s1, v68, v42 src0_sel:BYTE_1 src1_sel:DWORD
	v_mov_b32_e32 v19, v9
	s_and_saveexec_b32 s16, s1
	s_cbranch_execz .LBB203_461
; %bb.456:                              ;   in Loop: Header=BB203_276 Depth=1
	v_and_b32_sdwa v5, v43, v68 dst_sel:DWORD dst_unused:UNUSED_PAD src0_sel:DWORD src1_sel:BYTE_1
	v_mov_b32_e32 v11, v6
	v_mov_b32_e32 v20, v12
	s_mov_b32 s17, exec_lo
	v_and_b32_e32 v21, 0x7f, v5
	v_mov_b32_e32 v19, v11
	v_cmpx_ne_u32_e32 0x7f, v21
	s_cbranch_execz .LBB203_460
; %bb.457:                              ;   in Loop: Header=BB203_276 Depth=1
	v_and_b32_e32 v5, 7, v5
	v_lshrrev_b32_e32 v9, 3, v21
	s_mov_b32 s18, exec_lo
	v_cmpx_gt_u32_e32 8, v21
; %bb.458:                              ;   in Loop: Header=BB203_276 Depth=1
	v_ffbh_u32_e32 v9, v5
	v_min_u32_e32 v9, 32, v9
	v_subrev_nc_u32_e32 v11, 28, v9
	v_sub_nc_u32_e32 v9, 29, v9
	v_lshlrev_b64 v[19:20], v11, v[5:6]
	v_and_b32_e32 v5, 7, v19
; %bb.459:                              ;   in Loop: Header=BB203_276 Depth=1
	s_or_b32 exec_lo, exec_lo, s18
	v_lshlrev_b32_e32 v11, 16, v68
	v_lshlrev_b32_e32 v5, 20, v5
	v_lshl_add_u32 v9, v9, 23, 0x3c000000
	v_mov_b32_e32 v19, v6
	v_and_b32_e32 v11, 0x80000000, v11
	v_or3_b32 v20, v5, v11, v9
.LBB203_460:                            ;   in Loop: Header=BB203_276 Depth=1
	s_or_b32 exec_lo, exec_lo, s17
.LBB203_461:                            ;   in Loop: Header=BB203_276 Depth=1
	s_or_b32 exec_lo, exec_lo, s16
.LBB203_462:                            ;   in Loop: Header=BB203_276 Depth=1
	s_or_b32 exec_lo, exec_lo, s15
	v_mov_b32_e32 v23, 0
	v_mov_b32_e32 v21, 0
	v_and_b32_sdwa v5, v68, v44 dst_sel:DWORD dst_unused:UNUSED_PAD src0_sel:WORD_1 src1_sel:DWORD
	v_mov_b32_e32 v24, 0
	v_mov_b32_e32 v22, 0
	s_mov_b32 s15, exec_lo
	v_cmpx_ne_u16_e32 0, v5
	s_cbranch_execz .LBB203_470
; %bb.463:                              ;   in Loop: Header=BB203_276 Depth=1
	v_bfrev_b32_e32 v21, 1
	v_mov_b32_e32 v22, 0
	s_mov_b32 s16, exec_lo
	v_cmpx_ne_u16_e32 0x80, v5
	s_cbranch_execz .LBB203_469
; %bb.464:                              ;   in Loop: Header=BB203_276 Depth=1
	v_mov_b32_e32 v21, 0x7f800001
	v_bfe_u32 v11, v68, 16, 7
	v_mov_b32_e32 v22, 0
	s_mov_b32 s17, exec_lo
	v_cmpx_ne_u32_e32 0x7f, v11
	s_cbranch_execz .LBB203_468
; %bb.465:                              ;   in Loop: Header=BB203_276 Depth=1
	v_and_b32_sdwa v5, v68, v45 dst_sel:DWORD dst_unused:UNUSED_PAD src0_sel:WORD_1 src1_sel:DWORD
	v_lshrrev_b32_e32 v9, 3, v11
	s_mov_b32 s18, exec_lo
	v_cmpx_gt_u32_e32 8, v11
; %bb.466:                              ;   in Loop: Header=BB203_276 Depth=1
	v_ffbh_u32_e32 v9, v5
	v_min_u32_e32 v9, 32, v9
	v_subrev_nc_u32_e32 v11, 28, v9
	v_sub_nc_u32_e32 v9, 29, v9
	v_lshlrev_b64 v[21:22], v11, v[5:6]
	v_and_b32_e32 v5, 7, v21
; %bb.467:                              ;   in Loop: Header=BB203_276 Depth=1
	s_or_b32 exec_lo, exec_lo, s18
	v_lshlrev_b32_sdwa v11, v46, v68 dst_sel:DWORD dst_unused:UNUSED_PAD src0_sel:DWORD src1_sel:WORD_1
	v_lshlrev_b32_e32 v5, 20, v5
	v_lshl_add_u32 v9, v9, 23, 0x3c000000
	v_and_b32_e32 v11, 0x80000000, v11
	v_or3_b32 v5, v5, v11, v9
	v_mov_b32_e32 v22, v6
	v_mov_b32_e32 v21, v5
.LBB203_468:                            ;   in Loop: Header=BB203_276 Depth=1
	s_or_b32 exec_lo, exec_lo, s17
.LBB203_469:                            ;   in Loop: Header=BB203_276 Depth=1
	s_or_b32 exec_lo, exec_lo, s16
.LBB203_470:                            ;   in Loop: Header=BB203_276 Depth=1
	s_or_b32 exec_lo, exec_lo, s15
	s_mov_b32 s15, exec_lo
	v_cmpx_lt_u32_e32 0xffffff, v68
	s_cbranch_execz .LBB203_478
; %bb.471:                              ;   in Loop: Header=BB203_276 Depth=1
	v_mov_b32_e32 v9, v6
	v_mov_b32_e32 v24, v10
	v_cmp_ne_u32_sdwa s1, v68, v42 src0_sel:BYTE_3 src1_sel:DWORD
	v_mov_b32_e32 v23, v9
	s_and_saveexec_b32 s16, s1
	s_cbranch_execz .LBB203_477
; %bb.472:                              ;   in Loop: Header=BB203_276 Depth=1
	v_mov_b32_e32 v11, v6
	v_mov_b32_e32 v24, v12
	v_bfe_u32 v69, v68, 24, 7
	s_mov_b32 s17, exec_lo
	v_mov_b32_e32 v23, v11
	v_cmpx_ne_u32_e32 0x7f, v69
	s_cbranch_execz .LBB203_476
; %bb.473:                              ;   in Loop: Header=BB203_276 Depth=1
	v_and_b32_sdwa v5, v68, v45 dst_sel:DWORD dst_unused:UNUSED_PAD src0_sel:BYTE_3 src1_sel:DWORD
	v_lshrrev_b32_e32 v9, 3, v69
	s_mov_b32 s18, exec_lo
	v_cmpx_gt_u32_e32 8, v69
; %bb.474:                              ;   in Loop: Header=BB203_276 Depth=1
	v_ffbh_u32_e32 v9, v5
	v_min_u32_e32 v9, 32, v9
	v_subrev_nc_u32_e32 v11, 28, v9
	v_sub_nc_u32_e32 v9, 29, v9
	v_lshlrev_b64 v[23:24], v11, v[5:6]
	v_and_b32_e32 v5, 7, v23
; %bb.475:                              ;   in Loop: Header=BB203_276 Depth=1
	s_or_b32 exec_lo, exec_lo, s18
	v_lshlrev_b32_sdwa v11, v46, v68 dst_sel:DWORD dst_unused:UNUSED_PAD src0_sel:DWORD src1_sel:BYTE_3
	v_lshlrev_b32_e32 v5, 20, v5
	v_lshl_add_u32 v9, v9, 23, 0x3c000000
	v_mov_b32_e32 v23, v6
	v_and_b32_e32 v11, 0x80000000, v11
	v_or3_b32 v24, v5, v11, v9
.LBB203_476:                            ;   in Loop: Header=BB203_276 Depth=1
	s_or_b32 exec_lo, exec_lo, s17
.LBB203_477:                            ;   in Loop: Header=BB203_276 Depth=1
	s_or_b32 exec_lo, exec_lo, s16
.LBB203_478:                            ;   in Loop: Header=BB203_276 Depth=1
	s_or_b32 exec_lo, exec_lo, s15
	v_or_b32_e32 v5, v20, v18
	v_or_b32_e32 v9, v19, v17
	;; [unrolled: 1-line block ×4, first 2 shown]
	v_mul_f32_e32 v68, s14, v5
	v_mul_f32_e32 v69, s9, v9
	;; [unrolled: 1-line block ×4, first 2 shown]
	s_and_saveexec_b32 s15, s0
	s_cbranch_execz .LBB203_480
; %bb.479:                              ;   in Loop: Header=BB203_276 Depth=1
	v_add_nc_u32_e32 v5, -2, v40
	v_cmp_gt_i32_e64 s1, s27, v51
	v_add_nc_u32_e32 v9, -1, v40
	v_cndmask_b32_e64 v69, 0, v69, s1
	v_cmp_gt_i32_e64 s1, s27, v5
	v_cndmask_b32_e64 v68, 0, v68, s1
	v_cmp_gt_i32_e64 s1, s27, v9
	;; [unrolled: 2-line block ×3, first 2 shown]
	v_cndmask_b32_e64 v23, 0, v23, s1
.LBB203_480:                            ;   in Loop: Header=BB203_276 Depth=1
	s_or_b32 exec_lo, exec_lo, s15
	global_load_dword v70, v[15:16], off offset:768
	v_mov_b32_e32 v17, 0
	v_mov_b32_e32 v15, 0
	;; [unrolled: 1-line block ×4, first 2 shown]
	s_waitcnt vmcnt(0)
	v_cmp_ne_u16_sdwa s1, v70, v6 src0_sel:BYTE_0 src1_sel:DWORD
	s_and_saveexec_b32 s15, s1
	s_cbranch_execz .LBB203_488
; %bb.481:                              ;   in Loop: Header=BB203_276 Depth=1
	v_bfrev_b32_e32 v15, 1
	v_mov_b32_e32 v16, 0
	v_cmp_ne_u16_sdwa s1, v70, v42 src0_sel:BYTE_0 src1_sel:DWORD
	s_and_saveexec_b32 s16, s1
	s_cbranch_execz .LBB203_487
; %bb.482:                              ;   in Loop: Header=BB203_276 Depth=1
	v_mov_b32_e32 v15, 0x7f800001
	v_and_b32_e32 v11, 0x7f, v70
	v_mov_b32_e32 v16, 0
	s_mov_b32 s17, exec_lo
	v_cmpx_ne_u32_e32 0x7f, v11
	s_cbranch_execz .LBB203_486
; %bb.483:                              ;   in Loop: Header=BB203_276 Depth=1
	v_and_b32_e32 v5, 7, v70
	v_lshrrev_b32_e32 v9, 3, v11
	s_mov_b32 s18, exec_lo
	v_cmpx_gt_u32_e32 8, v11
; %bb.484:                              ;   in Loop: Header=BB203_276 Depth=1
	v_ffbh_u32_e32 v9, v5
	v_min_u32_e32 v9, 32, v9
	v_subrev_nc_u32_e32 v11, 28, v9
	v_sub_nc_u32_e32 v9, 29, v9
	v_lshlrev_b64 v[15:16], v11, v[5:6]
	v_and_b32_e32 v5, 7, v15
; %bb.485:                              ;   in Loop: Header=BB203_276 Depth=1
	s_or_b32 exec_lo, exec_lo, s18
	v_lshlrev_b32_e32 v11, 24, v70
	v_lshlrev_b32_e32 v5, 20, v5
	v_lshl_add_u32 v9, v9, 23, 0x3c000000
	v_and_b32_e32 v11, 0x80000000, v11
	v_or3_b32 v5, v5, v11, v9
	v_mov_b32_e32 v16, v6
	v_mov_b32_e32 v15, v5
.LBB203_486:                            ;   in Loop: Header=BB203_276 Depth=1
	s_or_b32 exec_lo, exec_lo, s17
.LBB203_487:                            ;   in Loop: Header=BB203_276 Depth=1
	s_or_b32 exec_lo, exec_lo, s16
.LBB203_488:                            ;   in Loop: Header=BB203_276 Depth=1
	s_or_b32 exec_lo, exec_lo, s15
	v_cmp_ne_u16_sdwa s1, v70, v6 src0_sel:BYTE_1 src1_sel:DWORD
	s_and_saveexec_b32 s15, s1
	s_cbranch_execz .LBB203_496
; %bb.489:                              ;   in Loop: Header=BB203_276 Depth=1
	v_mov_b32_e32 v9, v6
	v_mov_b32_e32 v18, v10
	v_cmp_ne_u16_sdwa s1, v70, v42 src0_sel:BYTE_1 src1_sel:DWORD
	v_mov_b32_e32 v17, v9
	s_and_saveexec_b32 s16, s1
	s_cbranch_execz .LBB203_495
; %bb.490:                              ;   in Loop: Header=BB203_276 Depth=1
	v_and_b32_sdwa v5, v43, v70 dst_sel:DWORD dst_unused:UNUSED_PAD src0_sel:DWORD src1_sel:BYTE_1
	v_mov_b32_e32 v11, v6
	v_mov_b32_e32 v18, v12
	s_mov_b32 s17, exec_lo
	v_and_b32_e32 v19, 0x7f, v5
	v_mov_b32_e32 v17, v11
	v_cmpx_ne_u32_e32 0x7f, v19
	s_cbranch_execz .LBB203_494
; %bb.491:                              ;   in Loop: Header=BB203_276 Depth=1
	v_and_b32_e32 v5, 7, v5
	v_lshrrev_b32_e32 v9, 3, v19
	s_mov_b32 s18, exec_lo
	v_cmpx_gt_u32_e32 8, v19
; %bb.492:                              ;   in Loop: Header=BB203_276 Depth=1
	v_ffbh_u32_e32 v9, v5
	v_min_u32_e32 v9, 32, v9
	v_subrev_nc_u32_e32 v11, 28, v9
	v_sub_nc_u32_e32 v9, 29, v9
	v_lshlrev_b64 v[17:18], v11, v[5:6]
	v_and_b32_e32 v5, 7, v17
; %bb.493:                              ;   in Loop: Header=BB203_276 Depth=1
	s_or_b32 exec_lo, exec_lo, s18
	v_lshlrev_b32_e32 v11, 16, v70
	v_lshlrev_b32_e32 v5, 20, v5
	v_lshl_add_u32 v9, v9, 23, 0x3c000000
	v_mov_b32_e32 v17, v6
	v_and_b32_e32 v11, 0x80000000, v11
	v_or3_b32 v18, v5, v11, v9
.LBB203_494:                            ;   in Loop: Header=BB203_276 Depth=1
	s_or_b32 exec_lo, exec_lo, s17
.LBB203_495:                            ;   in Loop: Header=BB203_276 Depth=1
	s_or_b32 exec_lo, exec_lo, s16
.LBB203_496:                            ;   in Loop: Header=BB203_276 Depth=1
	s_or_b32 exec_lo, exec_lo, s15
	v_mov_b32_e32 v21, 0
	v_mov_b32_e32 v19, 0
	v_and_b32_sdwa v5, v70, v44 dst_sel:DWORD dst_unused:UNUSED_PAD src0_sel:WORD_1 src1_sel:DWORD
	v_mov_b32_e32 v22, 0
	v_mov_b32_e32 v20, 0
	s_mov_b32 s15, exec_lo
	v_cmpx_ne_u16_e32 0, v5
	s_cbranch_execz .LBB203_504
; %bb.497:                              ;   in Loop: Header=BB203_276 Depth=1
	v_bfrev_b32_e32 v19, 1
	v_mov_b32_e32 v20, 0
	s_mov_b32 s16, exec_lo
	v_cmpx_ne_u16_e32 0x80, v5
	s_cbranch_execz .LBB203_503
; %bb.498:                              ;   in Loop: Header=BB203_276 Depth=1
	v_mov_b32_e32 v19, 0x7f800001
	v_bfe_u32 v11, v70, 16, 7
	v_mov_b32_e32 v20, 0
	s_mov_b32 s17, exec_lo
	v_cmpx_ne_u32_e32 0x7f, v11
	s_cbranch_execz .LBB203_502
; %bb.499:                              ;   in Loop: Header=BB203_276 Depth=1
	v_and_b32_sdwa v5, v70, v45 dst_sel:DWORD dst_unused:UNUSED_PAD src0_sel:WORD_1 src1_sel:DWORD
	v_lshrrev_b32_e32 v9, 3, v11
	s_mov_b32 s18, exec_lo
	v_cmpx_gt_u32_e32 8, v11
; %bb.500:                              ;   in Loop: Header=BB203_276 Depth=1
	v_ffbh_u32_e32 v9, v5
	v_min_u32_e32 v9, 32, v9
	v_subrev_nc_u32_e32 v11, 28, v9
	v_sub_nc_u32_e32 v9, 29, v9
	v_lshlrev_b64 v[19:20], v11, v[5:6]
	v_and_b32_e32 v5, 7, v19
; %bb.501:                              ;   in Loop: Header=BB203_276 Depth=1
	s_or_b32 exec_lo, exec_lo, s18
	v_lshlrev_b32_sdwa v11, v46, v70 dst_sel:DWORD dst_unused:UNUSED_PAD src0_sel:DWORD src1_sel:WORD_1
	v_lshlrev_b32_e32 v5, 20, v5
	v_lshl_add_u32 v9, v9, 23, 0x3c000000
	v_and_b32_e32 v11, 0x80000000, v11
	v_or3_b32 v5, v5, v11, v9
	v_mov_b32_e32 v20, v6
	v_mov_b32_e32 v19, v5
.LBB203_502:                            ;   in Loop: Header=BB203_276 Depth=1
	s_or_b32 exec_lo, exec_lo, s17
.LBB203_503:                            ;   in Loop: Header=BB203_276 Depth=1
	s_or_b32 exec_lo, exec_lo, s16
.LBB203_504:                            ;   in Loop: Header=BB203_276 Depth=1
	s_or_b32 exec_lo, exec_lo, s15
	s_mov_b32 s15, exec_lo
	v_cmpx_lt_u32_e32 0xffffff, v70
	s_cbranch_execz .LBB203_512
; %bb.505:                              ;   in Loop: Header=BB203_276 Depth=1
	v_mov_b32_e32 v9, v6
	v_mov_b32_e32 v22, v10
	v_cmp_ne_u32_sdwa s1, v70, v42 src0_sel:BYTE_3 src1_sel:DWORD
	v_mov_b32_e32 v21, v9
	s_and_saveexec_b32 s16, s1
	s_cbranch_execz .LBB203_511
; %bb.506:                              ;   in Loop: Header=BB203_276 Depth=1
	v_mov_b32_e32 v11, v6
	v_mov_b32_e32 v22, v12
	v_bfe_u32 v71, v70, 24, 7
	s_mov_b32 s17, exec_lo
	v_mov_b32_e32 v21, v11
	v_cmpx_ne_u32_e32 0x7f, v71
	s_cbranch_execz .LBB203_510
; %bb.507:                              ;   in Loop: Header=BB203_276 Depth=1
	v_and_b32_sdwa v5, v70, v45 dst_sel:DWORD dst_unused:UNUSED_PAD src0_sel:BYTE_3 src1_sel:DWORD
	v_lshrrev_b32_e32 v9, 3, v71
	s_mov_b32 s18, exec_lo
	v_cmpx_gt_u32_e32 8, v71
; %bb.508:                              ;   in Loop: Header=BB203_276 Depth=1
	v_ffbh_u32_e32 v9, v5
	v_min_u32_e32 v9, 32, v9
	v_subrev_nc_u32_e32 v11, 28, v9
	v_sub_nc_u32_e32 v9, 29, v9
	v_lshlrev_b64 v[21:22], v11, v[5:6]
	v_and_b32_e32 v5, 7, v21
; %bb.509:                              ;   in Loop: Header=BB203_276 Depth=1
	s_or_b32 exec_lo, exec_lo, s18
	v_lshlrev_b32_sdwa v11, v46, v70 dst_sel:DWORD dst_unused:UNUSED_PAD src0_sel:DWORD src1_sel:BYTE_3
	v_lshlrev_b32_e32 v5, 20, v5
	v_lshl_add_u32 v9, v9, 23, 0x3c000000
	v_mov_b32_e32 v21, v6
	v_and_b32_e32 v11, 0x80000000, v11
	v_or3_b32 v22, v5, v11, v9
.LBB203_510:                            ;   in Loop: Header=BB203_276 Depth=1
	s_or_b32 exec_lo, exec_lo, s17
.LBB203_511:                            ;   in Loop: Header=BB203_276 Depth=1
	s_or_b32 exec_lo, exec_lo, s16
.LBB203_512:                            ;   in Loop: Header=BB203_276 Depth=1
	s_or_b32 exec_lo, exec_lo, s15
	v_or_b32_e32 v5, v18, v16
	v_or_b32_e32 v9, v17, v15
	v_or_b32_e32 v11, v21, v19
	v_or_b32_e32 v15, v22, v20
	v_mul_f32_e32 v70, s14, v5
	v_mul_f32_e32 v71, s9, v9
	;; [unrolled: 1-line block ×4, first 2 shown]
	s_and_saveexec_b32 s15, s0
	s_cbranch_execz .LBB203_514
; %bb.513:                              ;   in Loop: Header=BB203_276 Depth=1
	v_add_nc_u32_e32 v5, -2, v40
	v_cmp_gt_i32_e64 s1, s27, v51
	v_add_nc_u32_e32 v9, -1, v40
	v_cndmask_b32_e64 v71, 0, v71, s1
	v_cmp_gt_i32_e64 s1, s27, v5
	v_cndmask_b32_e64 v70, 0, v70, s1
	v_cmp_gt_i32_e64 s1, s27, v9
	;; [unrolled: 2-line block ×3, first 2 shown]
	v_cndmask_b32_e64 v21, 0, v21, s1
.LBB203_514:                            ;   in Loop: Header=BB203_276 Depth=1
	s_or_b32 exec_lo, exec_lo, s15
	s_and_saveexec_b32 s15, vcc_lo
	s_cbranch_execz .LBB203_275
; %bb.515:                              ;   in Loop: Header=BB203_276 Depth=1
	v_add_co_u32 v13, s1, v13, v39
	v_add_co_ci_u32_e64 v14, null, 0, v14, s1
	v_mov_b32_e32 v15, 0
	v_mov_b32_e32 v16, 0
	global_load_dword v72, v[13:14], off
	v_mov_b32_e32 v13, 0
	v_mov_b32_e32 v14, 0
	s_waitcnt vmcnt(0)
	v_cmp_ne_u16_sdwa s1, v72, v6 src0_sel:BYTE_0 src1_sel:DWORD
	s_and_saveexec_b32 s16, s1
	s_cbranch_execz .LBB203_523
; %bb.516:                              ;   in Loop: Header=BB203_276 Depth=1
	v_bfrev_b32_e32 v13, 1
	v_mov_b32_e32 v14, 0
	v_cmp_ne_u16_sdwa s1, v72, v42 src0_sel:BYTE_0 src1_sel:DWORD
	s_and_saveexec_b32 s17, s1
	s_cbranch_execz .LBB203_522
; %bb.517:                              ;   in Loop: Header=BB203_276 Depth=1
	v_mov_b32_e32 v13, 0x7f800001
	v_and_b32_e32 v11, 0x7f, v72
	v_mov_b32_e32 v14, 0
	s_mov_b32 s18, exec_lo
	v_cmpx_ne_u32_e32 0x7f, v11
	s_cbranch_execz .LBB203_521
; %bb.518:                              ;   in Loop: Header=BB203_276 Depth=1
	v_and_b32_e32 v5, 7, v72
	v_lshrrev_b32_e32 v9, 3, v11
	s_mov_b32 s19, exec_lo
	v_cmpx_gt_u32_e32 8, v11
; %bb.519:                              ;   in Loop: Header=BB203_276 Depth=1
	v_ffbh_u32_e32 v9, v5
	v_min_u32_e32 v9, 32, v9
	v_subrev_nc_u32_e32 v11, 28, v9
	v_sub_nc_u32_e32 v9, 29, v9
	v_lshlrev_b64 v[13:14], v11, v[5:6]
	v_and_b32_e32 v5, 7, v13
; %bb.520:                              ;   in Loop: Header=BB203_276 Depth=1
	s_or_b32 exec_lo, exec_lo, s19
	v_lshlrev_b32_e32 v11, 24, v72
	v_lshlrev_b32_e32 v5, 20, v5
	v_lshl_add_u32 v9, v9, 23, 0x3c000000
	v_and_b32_e32 v11, 0x80000000, v11
	v_or3_b32 v5, v5, v11, v9
	v_mov_b32_e32 v14, v6
	v_mov_b32_e32 v13, v5
.LBB203_521:                            ;   in Loop: Header=BB203_276 Depth=1
	s_or_b32 exec_lo, exec_lo, s18
.LBB203_522:                            ;   in Loop: Header=BB203_276 Depth=1
	s_or_b32 exec_lo, exec_lo, s17
.LBB203_523:                            ;   in Loop: Header=BB203_276 Depth=1
	s_or_b32 exec_lo, exec_lo, s16
	v_cmp_ne_u16_sdwa s1, v72, v6 src0_sel:BYTE_1 src1_sel:DWORD
	s_and_saveexec_b32 s16, s1
	s_cbranch_execz .LBB203_531
; %bb.524:                              ;   in Loop: Header=BB203_276 Depth=1
	v_mov_b32_e32 v9, v6
	v_mov_b32_e32 v16, v10
	v_cmp_ne_u16_sdwa s1, v72, v42 src0_sel:BYTE_1 src1_sel:DWORD
	v_mov_b32_e32 v15, v9
	s_and_saveexec_b32 s17, s1
	s_cbranch_execz .LBB203_530
; %bb.525:                              ;   in Loop: Header=BB203_276 Depth=1
	v_and_b32_sdwa v5, v43, v72 dst_sel:DWORD dst_unused:UNUSED_PAD src0_sel:DWORD src1_sel:BYTE_1
	v_mov_b32_e32 v11, v6
	v_mov_b32_e32 v16, v12
	s_mov_b32 s18, exec_lo
	v_and_b32_e32 v17, 0x7f, v5
	v_mov_b32_e32 v15, v11
	v_cmpx_ne_u32_e32 0x7f, v17
	s_cbranch_execz .LBB203_529
; %bb.526:                              ;   in Loop: Header=BB203_276 Depth=1
	v_and_b32_e32 v5, 7, v5
	v_lshrrev_b32_e32 v9, 3, v17
	s_mov_b32 s19, exec_lo
	v_cmpx_gt_u32_e32 8, v17
; %bb.527:                              ;   in Loop: Header=BB203_276 Depth=1
	v_ffbh_u32_e32 v9, v5
	v_min_u32_e32 v9, 32, v9
	v_subrev_nc_u32_e32 v11, 28, v9
	v_sub_nc_u32_e32 v9, 29, v9
	v_lshlrev_b64 v[15:16], v11, v[5:6]
	v_and_b32_e32 v5, 7, v15
; %bb.528:                              ;   in Loop: Header=BB203_276 Depth=1
	s_or_b32 exec_lo, exec_lo, s19
	v_lshlrev_b32_e32 v11, 16, v72
	v_lshlrev_b32_e32 v5, 20, v5
	v_lshl_add_u32 v9, v9, 23, 0x3c000000
	v_mov_b32_e32 v15, v6
	v_and_b32_e32 v11, 0x80000000, v11
	v_or3_b32 v16, v5, v11, v9
.LBB203_529:                            ;   in Loop: Header=BB203_276 Depth=1
	s_or_b32 exec_lo, exec_lo, s18
.LBB203_530:                            ;   in Loop: Header=BB203_276 Depth=1
	s_or_b32 exec_lo, exec_lo, s17
.LBB203_531:                            ;   in Loop: Header=BB203_276 Depth=1
	s_or_b32 exec_lo, exec_lo, s16
	v_mov_b32_e32 v19, 0
	v_mov_b32_e32 v17, 0
	v_and_b32_sdwa v5, v72, v44 dst_sel:DWORD dst_unused:UNUSED_PAD src0_sel:WORD_1 src1_sel:DWORD
	v_mov_b32_e32 v20, 0
	v_mov_b32_e32 v18, 0
	s_mov_b32 s16, exec_lo
	v_cmpx_ne_u16_e32 0, v5
	s_cbranch_execz .LBB203_539
; %bb.532:                              ;   in Loop: Header=BB203_276 Depth=1
	v_bfrev_b32_e32 v17, 1
	v_mov_b32_e32 v18, 0
	s_mov_b32 s17, exec_lo
	v_cmpx_ne_u16_e32 0x80, v5
	s_cbranch_execz .LBB203_538
; %bb.533:                              ;   in Loop: Header=BB203_276 Depth=1
	v_mov_b32_e32 v17, 0x7f800001
	v_bfe_u32 v11, v72, 16, 7
	v_mov_b32_e32 v18, 0
	s_mov_b32 s18, exec_lo
	v_cmpx_ne_u32_e32 0x7f, v11
	s_cbranch_execz .LBB203_537
; %bb.534:                              ;   in Loop: Header=BB203_276 Depth=1
	v_and_b32_sdwa v5, v72, v45 dst_sel:DWORD dst_unused:UNUSED_PAD src0_sel:WORD_1 src1_sel:DWORD
	v_lshrrev_b32_e32 v9, 3, v11
	s_mov_b32 s19, exec_lo
	v_cmpx_gt_u32_e32 8, v11
; %bb.535:                              ;   in Loop: Header=BB203_276 Depth=1
	v_ffbh_u32_e32 v9, v5
	v_min_u32_e32 v9, 32, v9
	v_subrev_nc_u32_e32 v11, 28, v9
	v_sub_nc_u32_e32 v9, 29, v9
	v_lshlrev_b64 v[17:18], v11, v[5:6]
	v_and_b32_e32 v5, 7, v17
; %bb.536:                              ;   in Loop: Header=BB203_276 Depth=1
	s_or_b32 exec_lo, exec_lo, s19
	v_lshlrev_b32_sdwa v11, v46, v72 dst_sel:DWORD dst_unused:UNUSED_PAD src0_sel:DWORD src1_sel:WORD_1
	v_lshlrev_b32_e32 v5, 20, v5
	v_lshl_add_u32 v9, v9, 23, 0x3c000000
	v_and_b32_e32 v11, 0x80000000, v11
	v_or3_b32 v5, v5, v11, v9
	v_mov_b32_e32 v18, v6
	v_mov_b32_e32 v17, v5
.LBB203_537:                            ;   in Loop: Header=BB203_276 Depth=1
	s_or_b32 exec_lo, exec_lo, s18
.LBB203_538:                            ;   in Loop: Header=BB203_276 Depth=1
	s_or_b32 exec_lo, exec_lo, s17
.LBB203_539:                            ;   in Loop: Header=BB203_276 Depth=1
	s_or_b32 exec_lo, exec_lo, s16
	s_mov_b32 s16, exec_lo
	v_cmpx_lt_u32_e32 0xffffff, v72
	s_cbranch_execz .LBB203_547
; %bb.540:                              ;   in Loop: Header=BB203_276 Depth=1
	v_mov_b32_e32 v9, v6
	v_mov_b32_e32 v20, v10
	v_cmp_ne_u32_sdwa s1, v72, v42 src0_sel:BYTE_3 src1_sel:DWORD
	v_mov_b32_e32 v19, v9
	s_and_saveexec_b32 s17, s1
	s_cbranch_execz .LBB203_546
; %bb.541:                              ;   in Loop: Header=BB203_276 Depth=1
	v_mov_b32_e32 v11, v6
	v_mov_b32_e32 v20, v12
	v_bfe_u32 v73, v72, 24, 7
	s_mov_b32 s18, exec_lo
	v_mov_b32_e32 v19, v11
	v_cmpx_ne_u32_e32 0x7f, v73
	s_cbranch_execz .LBB203_545
; %bb.542:                              ;   in Loop: Header=BB203_276 Depth=1
	v_and_b32_sdwa v5, v72, v45 dst_sel:DWORD dst_unused:UNUSED_PAD src0_sel:BYTE_3 src1_sel:DWORD
	v_lshrrev_b32_e32 v9, 3, v73
	s_mov_b32 s19, exec_lo
	v_cmpx_gt_u32_e32 8, v73
; %bb.543:                              ;   in Loop: Header=BB203_276 Depth=1
	v_ffbh_u32_e32 v9, v5
	v_min_u32_e32 v9, 32, v9
	v_subrev_nc_u32_e32 v11, 28, v9
	v_sub_nc_u32_e32 v9, 29, v9
	v_lshlrev_b64 v[19:20], v11, v[5:6]
	v_and_b32_e32 v5, 7, v19
; %bb.544:                              ;   in Loop: Header=BB203_276 Depth=1
	s_or_b32 exec_lo, exec_lo, s19
	v_lshlrev_b32_sdwa v11, v46, v72 dst_sel:DWORD dst_unused:UNUSED_PAD src0_sel:DWORD src1_sel:BYTE_3
	v_lshlrev_b32_e32 v5, 20, v5
	v_lshl_add_u32 v9, v9, 23, 0x3c000000
	v_mov_b32_e32 v19, v6
	v_and_b32_e32 v11, 0x80000000, v11
	v_or3_b32 v20, v5, v11, v9
.LBB203_545:                            ;   in Loop: Header=BB203_276 Depth=1
	s_or_b32 exec_lo, exec_lo, s18
.LBB203_546:                            ;   in Loop: Header=BB203_276 Depth=1
	s_or_b32 exec_lo, exec_lo, s17
.LBB203_547:                            ;   in Loop: Header=BB203_276 Depth=1
	s_or_b32 exec_lo, exec_lo, s16
	v_or_b32_e32 v5, v16, v14
	v_or_b32_e32 v9, v15, v13
	v_or_b32_e32 v14, v19, v17
	v_or_b32_e32 v15, v20, v18
	v_mul_f32_e32 v11, s14, v5
	v_mul_f32_e32 v13, s9, v9
	;; [unrolled: 1-line block ×4, first 2 shown]
	s_and_saveexec_b32 s1, s0
	s_cbranch_execz .LBB203_274
; %bb.548:                              ;   in Loop: Header=BB203_276 Depth=1
	v_add_nc_u32_e32 v14, -2, v40
	v_cmp_gt_i32_e64 s0, s27, v51
	v_add_nc_u32_e32 v15, -1, v40
	v_cndmask_b32_e64 v13, 0, v13, s0
	v_cmp_gt_i32_e64 s0, s27, v14
	v_cndmask_b32_e64 v11, 0, v11, s0
	v_cmp_gt_i32_e64 s0, s27, v15
	;; [unrolled: 2-line block ×3, first 2 shown]
	v_cndmask_b32_e64 v5, 0, v5, s0
	s_branch .LBB203_274
.LBB203_549:
	s_or_b32 exec_lo, exec_lo, s13
.LBB203_550:
	s_or_b32 exec_lo, exec_lo, s3
	ds_bpermute_b32 v1, v26, v35
	ds_bpermute_b32 v3, v26, v37
	;; [unrolled: 1-line block ×8, first 2 shown]
	s_movk_i32 s0, 0x1e0
	v_and_b32_e32 v11, 0x3c0, v0
	v_mad_u32_u24 v9, v41, s0, 0x200
	s_mov_b32 s1, exec_lo
	v_cmp_eq_u32_e32 vcc_lo, 0, v27
	s_waitcnt lgkmcnt(0)
	s_waitcnt_vscnt null, 0x0
	s_barrier
	buffer_gl0_inv
	v_add_f32_e32 v2, v35, v1
	v_add_f32_e32 v3, v37, v3
	;; [unrolled: 1-line block ×8, first 2 shown]
	v_cmpx_eq_u32_e32 64, v11
	s_cbranch_execz .LBB203_555
; %bb.551:
	v_add_nc_u32_e32 v10, 0xfffffc40, v9
	s_and_saveexec_b32 s0, vcc_lo
	s_cbranch_execz .LBB203_553
; %bb.552:
	v_lshl_add_u32 v11, v25, 2, v10
	ds_write2_b32 v11, v2, v3 offset1:16
	ds_write2_b32 v11, v4, v5 offset0:32 offset1:48
	ds_write2_b32 v11, v6, v7 offset0:64 offset1:80
	ds_write_b32 v11, v8 offset:384
.LBB203_553:
	s_or_b32 exec_lo, exec_lo, s0
	v_or_b32_e32 v11, 0x70, v25
	v_cmp_gt_u32_e64 s0, 0x78, v11
	s_and_b32 s0, vcc_lo, s0
	s_and_b32 exec_lo, exec_lo, s0
; %bb.554:
	v_lshl_add_u32 v10, v11, 2, v10
	ds_write_b32 v10, v1
.LBB203_555:
	s_or_b32 exec_lo, exec_lo, s1
	s_mov_b32 s1, exec_lo
	s_waitcnt lgkmcnt(0)
	s_barrier
	buffer_gl0_inv
	v_cmpx_gt_u32_e32 64, v0
	s_cbranch_execz .LBB203_567
; %bb.556:
	s_and_saveexec_b32 s0, vcc_lo
	s_cbranch_execnz .LBB203_590
; %bb.557:
	s_or_b32 exec_lo, exec_lo, s0
	s_and_saveexec_b32 s0, vcc_lo
	s_cbranch_execnz .LBB203_591
.LBB203_558:
	s_or_b32 exec_lo, exec_lo, s0
	s_and_saveexec_b32 s0, vcc_lo
	s_cbranch_execnz .LBB203_592
.LBB203_559:
	s_or_b32 exec_lo, exec_lo, s0
	s_and_saveexec_b32 s0, vcc_lo
	s_cbranch_execnz .LBB203_593
.LBB203_560:
	s_or_b32 exec_lo, exec_lo, s0
	s_and_saveexec_b32 s0, vcc_lo
	s_cbranch_execnz .LBB203_594
.LBB203_561:
	s_or_b32 exec_lo, exec_lo, s0
	s_and_saveexec_b32 s0, vcc_lo
	s_cbranch_execnz .LBB203_595
.LBB203_562:
	s_or_b32 exec_lo, exec_lo, s0
	s_and_saveexec_b32 s0, vcc_lo
	s_cbranch_execz .LBB203_564
.LBB203_563:
	v_lshl_add_u32 v10, v25, 2, v9
	ds_read_b32 v10, v10 offset:384
	s_waitcnt lgkmcnt(0)
	v_add_f32_e32 v8, v8, v10
.LBB203_564:
	s_or_b32 exec_lo, exec_lo, s0
	v_or_b32_e32 v10, 0x70, v25
	v_cmp_gt_u32_e64 s0, 0x78, v10
	s_and_b32 s3, vcc_lo, s0
	s_and_saveexec_b32 s0, s3
	s_cbranch_execz .LBB203_566
; %bb.565:
	v_lshl_add_u32 v10, v25, 2, v9
	ds_read_b32 v10, v10 offset:448
	s_waitcnt lgkmcnt(0)
	v_add_f32_e32 v1, v1, v10
.LBB203_566:
	s_or_b32 exec_lo, exec_lo, s0
.LBB203_567:
	s_or_b32 exec_lo, exec_lo, s1
	v_and_b32_e32 v10, 0x3e0, v0
	s_mov_b32 s1, exec_lo
	s_barrier
	buffer_gl0_inv
	v_cmpx_eq_u32_e32 32, v10
	s_cbranch_execz .LBB203_572
; %bb.568:
	v_lshl_add_u32 v10, v25, 2, 0x200
	s_and_saveexec_b32 s0, vcc_lo
	s_cbranch_execz .LBB203_570
; %bb.569:
	ds_write2_b32 v10, v2, v3 offset1:16
	ds_write2_b32 v10, v4, v5 offset0:32 offset1:48
	ds_write2_b32 v10, v6, v7 offset0:64 offset1:80
	ds_write_b32 v10, v8 offset:384
.LBB203_570:
	s_or_b32 exec_lo, exec_lo, s0
	v_or_b32_e32 v11, 0x70, v25
	v_cmp_gt_u32_e64 s0, 0x78, v11
	s_and_b32 s0, vcc_lo, s0
	s_and_b32 exec_lo, exec_lo, s0
; %bb.571:
	ds_write_b32 v10, v1 offset:448
.LBB203_572:
	s_or_b32 exec_lo, exec_lo, s1
	v_cmp_gt_u32_e64 s0, 32, v0
	s_waitcnt lgkmcnt(0)
	s_barrier
	buffer_gl0_inv
	s_and_saveexec_b32 s3, s0
	s_cbranch_execz .LBB203_584
; %bb.573:
	v_lshl_add_u32 v9, v25, 2, v9
	s_and_saveexec_b32 s1, vcc_lo
	s_cbranch_execnz .LBB203_596
; %bb.574:
	s_or_b32 exec_lo, exec_lo, s1
	s_and_saveexec_b32 s1, vcc_lo
	s_cbranch_execnz .LBB203_597
.LBB203_575:
	s_or_b32 exec_lo, exec_lo, s1
	s_and_saveexec_b32 s1, vcc_lo
	s_cbranch_execnz .LBB203_598
.LBB203_576:
	s_or_b32 exec_lo, exec_lo, s1
	s_and_saveexec_b32 s1, vcc_lo
	s_cbranch_execnz .LBB203_599
.LBB203_577:
	s_or_b32 exec_lo, exec_lo, s1
	s_and_saveexec_b32 s1, vcc_lo
	s_cbranch_execnz .LBB203_600
.LBB203_578:
	s_or_b32 exec_lo, exec_lo, s1
	s_and_saveexec_b32 s1, vcc_lo
	s_cbranch_execnz .LBB203_601
.LBB203_579:
	s_or_b32 exec_lo, exec_lo, s1
	s_and_saveexec_b32 s1, vcc_lo
	s_cbranch_execz .LBB203_581
.LBB203_580:
	ds_read_b32 v10, v9 offset:384
	s_waitcnt lgkmcnt(0)
	v_add_f32_e32 v8, v8, v10
.LBB203_581:
	s_or_b32 exec_lo, exec_lo, s1
	v_or_b32_e32 v10, 0x70, v25
	v_cmp_gt_u32_e64 s1, 0x78, v10
	s_and_b32 s4, vcc_lo, s1
	s_and_saveexec_b32 s1, s4
	s_cbranch_execz .LBB203_583
; %bb.582:
	ds_read_b32 v9, v9 offset:448
	s_waitcnt lgkmcnt(0)
	v_add_f32_e32 v1, v1, v9
.LBB203_583:
	s_or_b32 exec_lo, exec_lo, s1
.LBB203_584:
	s_or_b32 exec_lo, exec_lo, s3
	s_barrier
	buffer_gl0_inv
	s_and_saveexec_b32 s1, s0
	s_cbranch_execz .LBB203_589
; %bb.585:
	s_mul_i32 s0, s2, 0x78
	s_mul_i32 s2, s7, s10
	s_ashr_i32 s1, s0, 31
	v_lshrrev_b32_e32 v9, 1, v0
	s_lshl_b64 s[0:1], s[0:1], 2
	s_add_u32 s4, s24, s0
	s_addc_u32 s1, s25, s1
	s_ashr_i32 s3, s2, 31
	s_mul_i32 s0, s8, 0x78
	s_lshl_b64 s[2:3], s[2:3], 2
	v_lshlrev_b32_e32 v0, 2, v9
	s_add_u32 s2, s4, s2
	s_addc_u32 s3, s1, s3
	s_ashr_i32 s1, s0, 31
	s_lshl_b64 s[0:1], s[0:1], 2
	s_add_u32 s2, s2, s0
	s_addc_u32 s3, s3, s1
	s_and_saveexec_b32 s0, vcc_lo
	s_cbranch_execz .LBB203_587
; %bb.586:
	global_store_dword v0, v2, s[2:3]
	global_store_dword v0, v3, s[2:3] offset:64
	global_store_dword v0, v4, s[2:3] offset:128
	;; [unrolled: 1-line block ×6, first 2 shown]
.LBB203_587:
	s_or_b32 exec_lo, exec_lo, s0
	v_or_b32_e32 v2, 0x70, v9
	v_cmp_gt_u32_e64 s0, 0x78, v2
	s_and_b32 s0, vcc_lo, s0
	s_and_b32 exec_lo, exec_lo, s0
	s_cbranch_execz .LBB203_589
; %bb.588:
	global_store_dword v0, v1, s[2:3] offset:448
.LBB203_589:
	s_endpgm
.LBB203_590:
	v_lshl_add_u32 v10, v25, 2, v9
	ds_read_b32 v10, v10
	s_waitcnt lgkmcnt(0)
	v_add_f32_e32 v2, v2, v10
	s_or_b32 exec_lo, exec_lo, s0
	s_and_saveexec_b32 s0, vcc_lo
	s_cbranch_execz .LBB203_558
.LBB203_591:
	v_lshl_add_u32 v10, v25, 2, v9
	ds_read_b32 v10, v10 offset:64
	s_waitcnt lgkmcnt(0)
	v_add_f32_e32 v3, v3, v10
	s_or_b32 exec_lo, exec_lo, s0
	s_and_saveexec_b32 s0, vcc_lo
	s_cbranch_execz .LBB203_559
.LBB203_592:
	v_lshl_add_u32 v10, v25, 2, v9
	ds_read_b32 v10, v10 offset:128
	s_waitcnt lgkmcnt(0)
	v_add_f32_e32 v4, v4, v10
	s_or_b32 exec_lo, exec_lo, s0
	s_and_saveexec_b32 s0, vcc_lo
	s_cbranch_execz .LBB203_560
.LBB203_593:
	v_lshl_add_u32 v10, v25, 2, v9
	ds_read_b32 v10, v10 offset:192
	s_waitcnt lgkmcnt(0)
	v_add_f32_e32 v5, v5, v10
	s_or_b32 exec_lo, exec_lo, s0
	s_and_saveexec_b32 s0, vcc_lo
	s_cbranch_execz .LBB203_561
.LBB203_594:
	v_lshl_add_u32 v10, v25, 2, v9
	ds_read_b32 v10, v10 offset:256
	s_waitcnt lgkmcnt(0)
	v_add_f32_e32 v6, v6, v10
	s_or_b32 exec_lo, exec_lo, s0
	s_and_saveexec_b32 s0, vcc_lo
	s_cbranch_execz .LBB203_562
.LBB203_595:
	v_lshl_add_u32 v10, v25, 2, v9
	ds_read_b32 v10, v10 offset:320
	s_waitcnt lgkmcnt(0)
	v_add_f32_e32 v7, v7, v10
	s_or_b32 exec_lo, exec_lo, s0
	s_and_saveexec_b32 s0, vcc_lo
	s_cbranch_execnz .LBB203_563
	s_branch .LBB203_564
.LBB203_596:
	ds_read_b32 v10, v9
	s_waitcnt lgkmcnt(0)
	v_add_f32_e32 v2, v2, v10
	s_or_b32 exec_lo, exec_lo, s1
	s_and_saveexec_b32 s1, vcc_lo
	s_cbranch_execz .LBB203_575
.LBB203_597:
	ds_read_b32 v10, v9 offset:64
	s_waitcnt lgkmcnt(0)
	v_add_f32_e32 v3, v3, v10
	s_or_b32 exec_lo, exec_lo, s1
	s_and_saveexec_b32 s1, vcc_lo
	s_cbranch_execz .LBB203_576
.LBB203_598:
	ds_read_b32 v10, v9 offset:128
	s_waitcnt lgkmcnt(0)
	v_add_f32_e32 v4, v4, v10
	s_or_b32 exec_lo, exec_lo, s1
	s_and_saveexec_b32 s1, vcc_lo
	s_cbranch_execz .LBB203_577
.LBB203_599:
	ds_read_b32 v10, v9 offset:192
	s_waitcnt lgkmcnt(0)
	v_add_f32_e32 v5, v5, v10
	s_or_b32 exec_lo, exec_lo, s1
	s_and_saveexec_b32 s1, vcc_lo
	s_cbranch_execz .LBB203_578
.LBB203_600:
	ds_read_b32 v10, v9 offset:256
	s_waitcnt lgkmcnt(0)
	v_add_f32_e32 v6, v6, v10
	s_or_b32 exec_lo, exec_lo, s1
	s_and_saveexec_b32 s1, vcc_lo
	s_cbranch_execz .LBB203_579
.LBB203_601:
	ds_read_b32 v10, v9 offset:320
	s_waitcnt lgkmcnt(0)
	v_add_f32_e32 v7, v7, v10
	s_or_b32 exec_lo, exec_lo, s1
	s_and_saveexec_b32 s1, vcc_lo
	s_cbranch_execnz .LBB203_580
	s_branch .LBB203_581
	.section	.rodata,"a",@progbits
	.p2align	6, 0x0
	.amdhsa_kernel _ZN4vllm25paged_attention_v2_kernelIfhLi120ELi8ELi128ELNS_18Fp8KVCacheDataTypeE1ELb0ELi512EEEvPfS2_PT_PKS3_PKT0_S9_ifPKiSB_iPKfiiiSD_SD_iiiii
		.amdhsa_group_segment_fixed_size 512
		.amdhsa_private_segment_fixed_size 0
		.amdhsa_kernarg_size 400
		.amdhsa_user_sgpr_count 6
		.amdhsa_user_sgpr_private_segment_buffer 1
		.amdhsa_user_sgpr_dispatch_ptr 0
		.amdhsa_user_sgpr_queue_ptr 0
		.amdhsa_user_sgpr_kernarg_segment_ptr 1
		.amdhsa_user_sgpr_dispatch_id 0
		.amdhsa_user_sgpr_flat_scratch_init 0
		.amdhsa_user_sgpr_private_segment_size 0
		.amdhsa_wavefront_size32 1
		.amdhsa_uses_dynamic_stack 0
		.amdhsa_system_sgpr_private_segment_wavefront_offset 0
		.amdhsa_system_sgpr_workgroup_id_x 1
		.amdhsa_system_sgpr_workgroup_id_y 1
		.amdhsa_system_sgpr_workgroup_id_z 1
		.amdhsa_system_sgpr_workgroup_info 0
		.amdhsa_system_vgpr_workitem_id 0
		.amdhsa_next_free_vgpr 86
		.amdhsa_next_free_sgpr 42
		.amdhsa_reserve_vcc 1
		.amdhsa_reserve_flat_scratch 0
		.amdhsa_float_round_mode_32 0
		.amdhsa_float_round_mode_16_64 0
		.amdhsa_float_denorm_mode_32 3
		.amdhsa_float_denorm_mode_16_64 3
		.amdhsa_dx10_clamp 1
		.amdhsa_ieee_mode 1
		.amdhsa_fp16_overflow 0
		.amdhsa_workgroup_processor_mode 1
		.amdhsa_memory_ordered 1
		.amdhsa_forward_progress 1
		.amdhsa_shared_vgpr_count 0
		.amdhsa_exception_fp_ieee_invalid_op 0
		.amdhsa_exception_fp_denorm_src 0
		.amdhsa_exception_fp_ieee_div_zero 0
		.amdhsa_exception_fp_ieee_overflow 0
		.amdhsa_exception_fp_ieee_underflow 0
		.amdhsa_exception_fp_ieee_inexact 0
		.amdhsa_exception_int_div_zero 0
	.end_amdhsa_kernel
	.section	.text._ZN4vllm25paged_attention_v2_kernelIfhLi120ELi8ELi128ELNS_18Fp8KVCacheDataTypeE1ELb0ELi512EEEvPfS2_PT_PKS3_PKT0_S9_ifPKiSB_iPKfiiiSD_SD_iiiii,"axG",@progbits,_ZN4vllm25paged_attention_v2_kernelIfhLi120ELi8ELi128ELNS_18Fp8KVCacheDataTypeE1ELb0ELi512EEEvPfS2_PT_PKS3_PKT0_S9_ifPKiSB_iPKfiiiSD_SD_iiiii,comdat
.Lfunc_end203:
	.size	_ZN4vllm25paged_attention_v2_kernelIfhLi120ELi8ELi128ELNS_18Fp8KVCacheDataTypeE1ELb0ELi512EEEvPfS2_PT_PKS3_PKT0_S9_ifPKiSB_iPKfiiiSD_SD_iiiii, .Lfunc_end203-_ZN4vllm25paged_attention_v2_kernelIfhLi120ELi8ELi128ELNS_18Fp8KVCacheDataTypeE1ELb0ELi512EEEvPfS2_PT_PKS3_PKT0_S9_ifPKiSB_iPKfiiiSD_SD_iiiii
                                        ; -- End function
	.set _ZN4vllm25paged_attention_v2_kernelIfhLi120ELi8ELi128ELNS_18Fp8KVCacheDataTypeE1ELb0ELi512EEEvPfS2_PT_PKS3_PKT0_S9_ifPKiSB_iPKfiiiSD_SD_iiiii.num_vgpr, 86
	.set _ZN4vllm25paged_attention_v2_kernelIfhLi120ELi8ELi128ELNS_18Fp8KVCacheDataTypeE1ELb0ELi512EEEvPfS2_PT_PKS3_PKT0_S9_ifPKiSB_iPKfiiiSD_SD_iiiii.num_agpr, 0
	.set _ZN4vllm25paged_attention_v2_kernelIfhLi120ELi8ELi128ELNS_18Fp8KVCacheDataTypeE1ELb0ELi512EEEvPfS2_PT_PKS3_PKT0_S9_ifPKiSB_iPKfiiiSD_SD_iiiii.numbered_sgpr, 42
	.set _ZN4vllm25paged_attention_v2_kernelIfhLi120ELi8ELi128ELNS_18Fp8KVCacheDataTypeE1ELb0ELi512EEEvPfS2_PT_PKS3_PKT0_S9_ifPKiSB_iPKfiiiSD_SD_iiiii.num_named_barrier, 0
	.set _ZN4vllm25paged_attention_v2_kernelIfhLi120ELi8ELi128ELNS_18Fp8KVCacheDataTypeE1ELb0ELi512EEEvPfS2_PT_PKS3_PKT0_S9_ifPKiSB_iPKfiiiSD_SD_iiiii.private_seg_size, 0
	.set _ZN4vllm25paged_attention_v2_kernelIfhLi120ELi8ELi128ELNS_18Fp8KVCacheDataTypeE1ELb0ELi512EEEvPfS2_PT_PKS3_PKT0_S9_ifPKiSB_iPKfiiiSD_SD_iiiii.uses_vcc, 1
	.set _ZN4vllm25paged_attention_v2_kernelIfhLi120ELi8ELi128ELNS_18Fp8KVCacheDataTypeE1ELb0ELi512EEEvPfS2_PT_PKS3_PKT0_S9_ifPKiSB_iPKfiiiSD_SD_iiiii.uses_flat_scratch, 0
	.set _ZN4vllm25paged_attention_v2_kernelIfhLi120ELi8ELi128ELNS_18Fp8KVCacheDataTypeE1ELb0ELi512EEEvPfS2_PT_PKS3_PKT0_S9_ifPKiSB_iPKfiiiSD_SD_iiiii.has_dyn_sized_stack, 0
	.set _ZN4vllm25paged_attention_v2_kernelIfhLi120ELi8ELi128ELNS_18Fp8KVCacheDataTypeE1ELb0ELi512EEEvPfS2_PT_PKS3_PKT0_S9_ifPKiSB_iPKfiiiSD_SD_iiiii.has_recursion, 0
	.set _ZN4vllm25paged_attention_v2_kernelIfhLi120ELi8ELi128ELNS_18Fp8KVCacheDataTypeE1ELb0ELi512EEEvPfS2_PT_PKS3_PKT0_S9_ifPKiSB_iPKfiiiSD_SD_iiiii.has_indirect_call, 0
	.section	.AMDGPU.csdata,"",@progbits
; Kernel info:
; codeLenInByte = 17060
; TotalNumSgprs: 44
; NumVgprs: 86
; ScratchSize: 0
; MemoryBound: 0
; FloatMode: 240
; IeeeMode: 1
; LDSByteSize: 512 bytes/workgroup (compile time only)
; SGPRBlocks: 0
; VGPRBlocks: 10
; NumSGPRsForWavesPerEU: 44
; NumVGPRsForWavesPerEU: 86
; Occupancy: 10
; WaveLimiterHint : 1
; COMPUTE_PGM_RSRC2:SCRATCH_EN: 0
; COMPUTE_PGM_RSRC2:USER_SGPR: 6
; COMPUTE_PGM_RSRC2:TRAP_HANDLER: 0
; COMPUTE_PGM_RSRC2:TGID_X_EN: 1
; COMPUTE_PGM_RSRC2:TGID_Y_EN: 1
; COMPUTE_PGM_RSRC2:TGID_Z_EN: 1
; COMPUTE_PGM_RSRC2:TIDIG_COMP_CNT: 0
	.section	.text._ZN4vllm25paged_attention_v2_kernelIfhLi128ELi8ELi128ELNS_18Fp8KVCacheDataTypeE1ELb0ELi512EEEvPfS2_PT_PKS3_PKT0_S9_ifPKiSB_iPKfiiiSD_SD_iiiii,"axG",@progbits,_ZN4vllm25paged_attention_v2_kernelIfhLi128ELi8ELi128ELNS_18Fp8KVCacheDataTypeE1ELb0ELi512EEEvPfS2_PT_PKS3_PKT0_S9_ifPKiSB_iPKfiiiSD_SD_iiiii,comdat
	.protected	_ZN4vllm25paged_attention_v2_kernelIfhLi128ELi8ELi128ELNS_18Fp8KVCacheDataTypeE1ELb0ELi512EEEvPfS2_PT_PKS3_PKT0_S9_ifPKiSB_iPKfiiiSD_SD_iiiii ; -- Begin function _ZN4vllm25paged_attention_v2_kernelIfhLi128ELi8ELi128ELNS_18Fp8KVCacheDataTypeE1ELb0ELi512EEEvPfS2_PT_PKS3_PKT0_S9_ifPKiSB_iPKfiiiSD_SD_iiiii
	.globl	_ZN4vllm25paged_attention_v2_kernelIfhLi128ELi8ELi128ELNS_18Fp8KVCacheDataTypeE1ELb0ELi512EEEvPfS2_PT_PKS3_PKT0_S9_ifPKiSB_iPKfiiiSD_SD_iiiii
	.p2align	8
	.type	_ZN4vllm25paged_attention_v2_kernelIfhLi128ELi8ELi128ELNS_18Fp8KVCacheDataTypeE1ELb0ELi512EEEvPfS2_PT_PKS3_PKT0_S9_ifPKiSB_iPKfiiiSD_SD_iiiii,@function
_ZN4vllm25paged_attention_v2_kernelIfhLi128ELi8ELi128ELNS_18Fp8KVCacheDataTypeE1ELb0ELi512EEEvPfS2_PT_PKS3_PKT0_S9_ifPKiSB_iPKfiiiSD_SD_iiiii: ; @_ZN4vllm25paged_attention_v2_kernelIfhLi128ELi8ELi128ELNS_18Fp8KVCacheDataTypeE1ELb0ELi512EEEvPfS2_PT_PKS3_PKT0_S9_ifPKiSB_iPKfiiiSD_SD_iiiii
; %bb.0:
	s_load_dwordx2 s[0:1], s[4:5], 0x40
	s_mov_b32 s26, s7
	s_ashr_i32 s27, s7, 31
	s_lshl_b64 s[2:3], s[26:27], 2
	s_waitcnt lgkmcnt(0)
	s_add_u32 s0, s0, s2
	s_addc_u32 s1, s1, s3
	s_lshl_b32 s33, s8, 9
	s_load_dword s27, s[0:1], 0x0
	s_waitcnt lgkmcnt(0)
	s_cmp_ge_i32 s33, s27
	s_cbranch_scc1 .LBB204_590
; %bb.1:
	s_clause 0x1
	s_load_dword s9, s[4:5], 0x90
	s_load_dwordx2 s[36:37], s[4:5], 0x30
	s_waitcnt lgkmcnt(0)
	s_abs_i32 s3, s9
	s_abs_i32 s0, s36
	v_cvt_f32_u32_e32 v1, s0
	s_sub_i32 s2, 0, s0
	v_rcp_iflag_f32_e32 v1, v1
	v_mul_f32_e32 v1, 0x4f7ffffe, v1
	v_cvt_u32_f32_e32 v1, v1
	v_readfirstlane_b32 s1, v1
	s_mul_i32 s2, s2, s1
	s_mul_hi_u32 s2, s1, s2
	s_add_i32 s1, s1, s2
	s_xor_b32 s2, s9, s36
	s_mul_hi_u32 s1, s3, s1
	s_ashr_i32 s2, s2, 31
	s_mul_i32 s7, s1, s0
	s_mov_b32 s36, 0
	s_sub_i32 s3, s3, s7
	s_add_i32 s7, s1, 1
	s_sub_i32 s10, s3, s0
	s_cmp_ge_u32 s3, s0
	s_cselect_b32 s1, s7, s1
	s_cselect_b32 s3, s10, s3
	s_add_i32 s7, s1, 1
	s_cmp_ge_u32 s3, s0
	s_cselect_b32 s0, s7, s1
	s_abs_i32 s16, s6
	s_xor_b32 s0, s0, s2
	s_sub_i32 s10, s0, s2
	s_load_dwordx2 s[0:1], s[4:5], 0x50
	s_abs_i32 s2, s10
	v_cvt_f32_u32_e32 v1, s2
	s_sub_i32 s7, 0, s2
	v_rcp_iflag_f32_e32 v1, v1
	v_mul_f32_e32 v1, 0x4f7ffffe, v1
	v_cvt_u32_f32_e32 v1, v1
	v_readfirstlane_b32 s3, v1
	s_mul_i32 s7, s7, s3
	s_mul_hi_u32 s7, s3, s7
	s_add_i32 s3, s3, s7
	s_waitcnt lgkmcnt(0)
	s_cmp_eq_u64 s[0:1], 0
	s_mul_hi_u32 s3, s16, s3
	s_cbranch_scc1 .LBB204_3
; %bb.2:
	s_ashr_i32 s7, s6, 31
	s_lshl_b64 s[12:13], s[6:7], 2
	s_add_u32 s0, s0, s12
	s_addc_u32 s1, s1, s13
	s_load_dword s36, s[0:1], 0x0
.LBB204_3:
	s_load_dwordx4 s[12:15], s[4:5], 0x58
	v_and_b32_e32 v35, 3, v0
	v_lshlrev_b32_e32 v44, 2, v0
	s_ashr_i32 s0, s6, 31
	s_ashr_i32 s1, s10, 31
	s_lshl_b32 s10, s6, 7
	s_mov_b32 s7, exec_lo
	v_cmpx_gt_u32_e32 0x80, v0
	s_cbranch_execz .LBB204_5
; %bb.4:
	s_load_dwordx2 s[18:19], s[4:5], 0x18
	s_waitcnt lgkmcnt(0)
	s_mul_i32 s20, s12, s26
	v_and_b32_e32 v2, 0x3fc, v0
	s_ashr_i32 s21, s20, 31
	s_lshl_b64 s[20:21], s[20:21], 2
	v_lshl_add_u32 v2, v35, 7, v2
	s_add_u32 s12, s18, s20
	s_addc_u32 s15, s19, s21
	s_ashr_i32 s11, s10, 31
	s_lshl_b64 s[18:19], s[10:11], 2
	s_add_u32 s18, s12, s18
	s_addc_u32 s19, s15, s19
	global_load_dword v1, v44, s[18:19]
	s_waitcnt vmcnt(0)
	ds_write_b32 v2, v1
.LBB204_5:
	s_or_b32 exec_lo, exec_lo, s7
	s_add_i32 s7, s27, 7
	s_clause 0x1
	s_load_dwordx2 s[28:29], s[4:5], 0x38
	s_load_dword s17, s[4:5], 0x48
	s_ashr_i32 s11, s7, 31
	s_waitcnt lgkmcnt(0)
	s_lshl_b32 s15, s8, 6
	s_lshr_b32 s11, s11, 29
	s_xor_b32 s0, s0, s1
	s_add_i32 s7, s7, s11
	s_add_i32 s1, s15, 64
	s_ashr_i32 s12, s7, 3
	s_mul_i32 s7, s3, s2
	s_min_i32 s11, s1, s12
	s_sub_i32 s1, s16, s7
	s_add_i32 s7, s3, 1
	s_sub_i32 s16, s1, s2
	s_cmp_ge_u32 s1, s2
	v_lshrrev_b32_e32 v43, 5, v0
	s_cselect_b32 s3, s7, s3
	s_cselect_b32 s1, s16, s1
	s_add_i32 s7, s3, 1
	s_cmp_ge_u32 s1, s2
	v_or_b32_e32 v33, s15, v43
	s_cselect_b32 s1, s7, s3
	v_mbcnt_lo_u32_b32 v45, -1, 0
	s_xor_b32 s1, s1, s0
	s_mul_i32 s30, s17, s26
	s_sub_i32 s1, s1, s0
	v_cmp_gt_i32_e64 s0, s11, v33
	s_ashr_i32 s31, s30, 31
	s_mov_b32 s2, exec_lo
	s_barrier
	buffer_gl0_inv
                                        ; implicit-def: $vgpr36
                                        ; implicit-def: $vgpr46
	v_cmpx_le_i32_e64 s11, v33
	s_xor_b32 s2, exec_lo, s2
; %bb.6:
	v_mov_b32_e32 v36, 0
	v_mbcnt_lo_u32_b32 v45, -1, 0
	v_mov_b32_e32 v46, 32
                                        ; implicit-def: $vgpr35
; %bb.7:
	s_or_saveexec_b32 s38, s2
	s_clause 0x4
	s_load_dwordx4 s[20:23], s[4:5], 0x0
	s_load_dwordx2 s[24:25], s[4:5], 0x10
	s_load_dword s7, s[4:5], 0x98
	s_load_dwordx2 s[34:35], s[4:5], 0x28
	s_load_dwordx4 s[16:19], s[4:5], 0x68
	v_mov_b32_e32 v47, 0xff7fffff
	v_ashrrev_i32_e32 v34, 31, v33
	s_mul_i32 s14, s1, s14
	s_xor_b32 exec_lo, exec_lo, s38
	s_cbranch_execz .LBB204_269
; %bb.8:
	s_load_dwordx2 s[2:3], s[4:5], 0x20
	v_xor_b32_e32 v25, 2, v45
	v_bfe_u32 v39, v0, 2, 3
	v_xor_b32_e32 v26, 1, v45
	v_lshlrev_b32_e32 v29, 7, v35
	ds_read_b128 v[1:4], v29
	ds_read_b128 v[5:8], v29 offset:16
	ds_read_b128 v[9:12], v29 offset:32
	;; [unrolled: 1-line block ×5, first 2 shown]
	v_cmp_gt_i32_e32 vcc_lo, 32, v25
	v_lshlrev_b32_e32 v27, 4, v39
	s_ashr_i32 s1, s14, 31
	v_lshlrev_b32_e32 v42, 3, v43
	v_lshlrev_b32_e32 v47, 2, v39
	v_cndmask_b32_e32 v37, v45, v25, vcc_lo
	v_cmp_gt_i32_e32 vcc_lo, 32, v26
	v_mov_b32_e32 v36, 0
	v_add3_u32 v50, s33, v42, v39
	v_mov_b32_e32 v46, 32
	s_waitcnt lgkmcnt(0)
	s_add_u32 s2, s2, s14
	v_cndmask_b32_e32 v38, v45, v26, vcc_lo
	v_add_co_u32 v40, s2, s2, v27
	ds_read_b128 v[25:28], v29 offset:96
	ds_read_b128 v[29:32], v29 offset:112
	s_load_dword s4, s[16:17], 0x0
	s_addc_u32 s1, s3, s1
	v_lshlrev_b32_e32 v48, 2, v37
	v_add_co_ci_u32_e64 v41, null, s1, 0, s2
	v_add_co_u32 v37, s2, v40, v35
	v_lshlrev_b64 v[39:40], 2, v[33:34]
	v_lshlrev_b32_e32 v49, 2, v38
	v_add_co_ci_u32_e64 v38, null, 0, v41, s2
	s_lshl_b64 s[2:3], s[30:31], 2
	v_cmp_eq_u32_e32 vcc_lo, 0, v35
	v_lshl_or_b32 v35, v43, 5, v47
	s_sub_i32 s5, 1, s27
	s_add_u32 s2, s28, s2
	s_addc_u32 s3, s29, s3
	v_add_co_u32 v39, s2, s2, v39
	v_cmp_neq_f32_e64 s1, s36, 0
	v_add_nc_u32_e32 v51, 0x220, v35
	v_add_co_ci_u32_e64 v40, null, s3, v40, s2
	v_mov_b32_e32 v47, 0xff7fffff
	v_mov_b32_e32 v52, 0x7f
	;; [unrolled: 1-line block ×4, first 2 shown]
	s_mov_b32 s17, s13
	s_mov_b32 s16, 0
	s_branch .LBB204_10
.LBB204_9:                              ;   in Loop: Header=BB204_10 Depth=1
	s_or_b32 exec_lo, exec_lo, s3
	v_add_nc_u32_e32 v54, 4, v54
	v_add_co_u32 v39, s3, v39, 16
	v_add_nc_u32_e32 v50, 32, v50
	v_add_nc_u32_e32 v51, 0x80, v51
	v_cmp_le_i32_e64 s2, s11, v54
	v_add_co_ci_u32_e64 v40, null, 0, v40, s3
	s_or_b32 s16, s2, s16
	s_andn2_b32 exec_lo, exec_lo, s16
	s_cbranch_execz .LBB204_268
.LBB204_10:                             ; =>This Inner Loop Header: Depth=1
	global_load_dword v35, v[39:40], off
	v_mov_b32_e32 v55, 0
	v_mov_b32_e32 v56, 0
	s_mov_b32 s3, exec_lo
	s_waitcnt vmcnt(0) lgkmcnt(0)
	v_mad_i64_i32 v[41:42], null, v35, s17, v[37:38]
	global_load_ubyte v57, v[41:42], off
	s_waitcnt vmcnt(0)
	v_cmpx_ne_u16_e32 0, v57
	s_cbranch_execz .LBB204_18
; %bb.11:                               ;   in Loop: Header=BB204_10 Depth=1
	v_bfrev_b32_e32 v56, 1
	s_mov_b32 s39, exec_lo
	v_cmpx_ne_u16_e32 0x80, v57
	s_cbranch_execz .LBB204_17
; %bb.12:                               ;   in Loop: Header=BB204_10 Depth=1
	v_and_b32_sdwa v58, v57, v52 dst_sel:DWORD dst_unused:UNUSED_PAD src0_sel:WORD_0 src1_sel:DWORD
	v_mov_b32_e32 v56, 0x7f800001
	s_mov_b32 s40, exec_lo
	v_cmpx_ne_u32_e32 0x7f, v58
	s_cbranch_execz .LBB204_16
; %bb.13:                               ;   in Loop: Header=BB204_10 Depth=1
	v_and_b32_sdwa v35, v57, v53 dst_sel:DWORD dst_unused:UNUSED_PAD src0_sel:WORD_0 src1_sel:DWORD
	v_lshrrev_b32_e32 v56, 3, v58
	s_mov_b32 s41, exec_lo
	v_cmpx_gt_u32_e32 8, v58
; %bb.14:                               ;   in Loop: Header=BB204_10 Depth=1
	v_ffbh_u32_e32 v56, v35
	v_min_u32_e32 v56, 32, v56
	v_subrev_nc_u32_e32 v58, 28, v56
	v_sub_nc_u32_e32 v56, 29, v56
	v_lshlrev_b64 v[58:59], v58, v[35:36]
	v_and_b32_e32 v35, 7, v58
; %bb.15:                               ;   in Loop: Header=BB204_10 Depth=1
	s_or_b32 exec_lo, exec_lo, s41
	v_lshlrev_b32_e32 v57, 24, v57
	v_lshlrev_b32_e32 v35, 20, v35
	v_lshl_add_u32 v56, v56, 23, 0x3c000000
	v_and_b32_e32 v57, 0x80000000, v57
	v_or3_b32 v56, v35, v57, v56
.LBB204_16:                             ;   in Loop: Header=BB204_10 Depth=1
	s_or_b32 exec_lo, exec_lo, s40
.LBB204_17:                             ;   in Loop: Header=BB204_10 Depth=1
	s_or_b32 exec_lo, exec_lo, s39
.LBB204_18:                             ;   in Loop: Header=BB204_10 Depth=1
	s_or_b32 exec_lo, exec_lo, s3
	global_load_ubyte v57, v[41:42], off offset:4
	s_mov_b32 s3, exec_lo
	s_waitcnt vmcnt(0)
	v_cmpx_ne_u16_e32 0, v57
	s_cbranch_execz .LBB204_26
; %bb.19:                               ;   in Loop: Header=BB204_10 Depth=1
	v_bfrev_b32_e32 v55, 1
	s_mov_b32 s39, exec_lo
	v_cmpx_ne_u16_e32 0x80, v57
	s_cbranch_execz .LBB204_25
; %bb.20:                               ;   in Loop: Header=BB204_10 Depth=1
	v_and_b32_sdwa v58, v57, v52 dst_sel:DWORD dst_unused:UNUSED_PAD src0_sel:WORD_0 src1_sel:DWORD
	v_mov_b32_e32 v55, 0x7f800001
	s_mov_b32 s40, exec_lo
	v_cmpx_ne_u32_e32 0x7f, v58
	s_cbranch_execz .LBB204_24
; %bb.21:                               ;   in Loop: Header=BB204_10 Depth=1
	v_and_b32_sdwa v35, v57, v53 dst_sel:DWORD dst_unused:UNUSED_PAD src0_sel:WORD_0 src1_sel:DWORD
	v_lshrrev_b32_e32 v55, 3, v58
	s_mov_b32 s41, exec_lo
	v_cmpx_gt_u32_e32 8, v58
; %bb.22:                               ;   in Loop: Header=BB204_10 Depth=1
	v_ffbh_u32_e32 v55, v35
	v_min_u32_e32 v55, 32, v55
	v_subrev_nc_u32_e32 v58, 28, v55
	v_sub_nc_u32_e32 v55, 29, v55
	v_lshlrev_b64 v[58:59], v58, v[35:36]
	v_and_b32_e32 v35, 7, v58
; %bb.23:                               ;   in Loop: Header=BB204_10 Depth=1
	s_or_b32 exec_lo, exec_lo, s41
	v_lshlrev_b32_e32 v57, 24, v57
	v_lshlrev_b32_e32 v35, 20, v35
	v_lshl_add_u32 v55, v55, 23, 0x3c000000
	v_and_b32_e32 v57, 0x80000000, v57
	v_or3_b32 v55, v35, v57, v55
.LBB204_24:                             ;   in Loop: Header=BB204_10 Depth=1
	s_or_b32 exec_lo, exec_lo, s40
.LBB204_25:                             ;   in Loop: Header=BB204_10 Depth=1
	s_or_b32 exec_lo, exec_lo, s39
.LBB204_26:                             ;   in Loop: Header=BB204_10 Depth=1
	s_or_b32 exec_lo, exec_lo, s3
	global_load_ubyte v59, v[41:42], off offset:8
	v_mov_b32_e32 v57, 0
	v_mov_b32_e32 v58, 0
	s_mov_b32 s3, exec_lo
	s_waitcnt vmcnt(0)
	v_cmpx_ne_u16_e32 0, v59
	s_cbranch_execz .LBB204_34
; %bb.27:                               ;   in Loop: Header=BB204_10 Depth=1
	v_bfrev_b32_e32 v58, 1
	s_mov_b32 s39, exec_lo
	v_cmpx_ne_u16_e32 0x80, v59
	s_cbranch_execz .LBB204_33
; %bb.28:                               ;   in Loop: Header=BB204_10 Depth=1
	v_and_b32_sdwa v60, v59, v52 dst_sel:DWORD dst_unused:UNUSED_PAD src0_sel:WORD_0 src1_sel:DWORD
	v_mov_b32_e32 v58, 0x7f800001
	s_mov_b32 s40, exec_lo
	v_cmpx_ne_u32_e32 0x7f, v60
	s_cbranch_execz .LBB204_32
; %bb.29:                               ;   in Loop: Header=BB204_10 Depth=1
	v_and_b32_sdwa v35, v59, v53 dst_sel:DWORD dst_unused:UNUSED_PAD src0_sel:WORD_0 src1_sel:DWORD
	v_lshrrev_b32_e32 v58, 3, v60
	s_mov_b32 s41, exec_lo
	v_cmpx_gt_u32_e32 8, v60
; %bb.30:                               ;   in Loop: Header=BB204_10 Depth=1
	v_ffbh_u32_e32 v58, v35
	v_min_u32_e32 v58, 32, v58
	v_subrev_nc_u32_e32 v60, 28, v58
	v_sub_nc_u32_e32 v58, 29, v58
	v_lshlrev_b64 v[60:61], v60, v[35:36]
	v_and_b32_e32 v35, 7, v60
; %bb.31:                               ;   in Loop: Header=BB204_10 Depth=1
	s_or_b32 exec_lo, exec_lo, s41
	v_lshlrev_b32_e32 v59, 24, v59
	v_lshlrev_b32_e32 v35, 20, v35
	v_lshl_add_u32 v58, v58, 23, 0x3c000000
	v_and_b32_e32 v59, 0x80000000, v59
	v_or3_b32 v58, v35, v59, v58
.LBB204_32:                             ;   in Loop: Header=BB204_10 Depth=1
	s_or_b32 exec_lo, exec_lo, s40
.LBB204_33:                             ;   in Loop: Header=BB204_10 Depth=1
	s_or_b32 exec_lo, exec_lo, s39
.LBB204_34:                             ;   in Loop: Header=BB204_10 Depth=1
	s_or_b32 exec_lo, exec_lo, s3
	global_load_ubyte v59, v[41:42], off offset:12
	s_mov_b32 s3, exec_lo
	s_waitcnt vmcnt(0)
	v_cmpx_ne_u16_e32 0, v59
	s_cbranch_execz .LBB204_42
; %bb.35:                               ;   in Loop: Header=BB204_10 Depth=1
	v_bfrev_b32_e32 v57, 1
	s_mov_b32 s39, exec_lo
	v_cmpx_ne_u16_e32 0x80, v59
	s_cbranch_execz .LBB204_41
; %bb.36:                               ;   in Loop: Header=BB204_10 Depth=1
	v_and_b32_sdwa v60, v59, v52 dst_sel:DWORD dst_unused:UNUSED_PAD src0_sel:WORD_0 src1_sel:DWORD
	v_mov_b32_e32 v57, 0x7f800001
	s_mov_b32 s40, exec_lo
	v_cmpx_ne_u32_e32 0x7f, v60
	s_cbranch_execz .LBB204_40
; %bb.37:                               ;   in Loop: Header=BB204_10 Depth=1
	v_and_b32_sdwa v35, v59, v53 dst_sel:DWORD dst_unused:UNUSED_PAD src0_sel:WORD_0 src1_sel:DWORD
	v_lshrrev_b32_e32 v57, 3, v60
	s_mov_b32 s41, exec_lo
	v_cmpx_gt_u32_e32 8, v60
; %bb.38:                               ;   in Loop: Header=BB204_10 Depth=1
	v_ffbh_u32_e32 v57, v35
	v_min_u32_e32 v57, 32, v57
	v_subrev_nc_u32_e32 v60, 28, v57
	v_sub_nc_u32_e32 v57, 29, v57
	v_lshlrev_b64 v[60:61], v60, v[35:36]
	v_and_b32_e32 v35, 7, v60
; %bb.39:                               ;   in Loop: Header=BB204_10 Depth=1
	s_or_b32 exec_lo, exec_lo, s41
	v_lshlrev_b32_e32 v59, 24, v59
	v_lshlrev_b32_e32 v35, 20, v35
	v_lshl_add_u32 v57, v57, 23, 0x3c000000
	v_and_b32_e32 v59, 0x80000000, v59
	v_or3_b32 v57, v35, v59, v57
.LBB204_40:                             ;   in Loop: Header=BB204_10 Depth=1
	s_or_b32 exec_lo, exec_lo, s40
.LBB204_41:                             ;   in Loop: Header=BB204_10 Depth=1
	s_or_b32 exec_lo, exec_lo, s39
.LBB204_42:                             ;   in Loop: Header=BB204_10 Depth=1
	s_or_b32 exec_lo, exec_lo, s3
	global_load_ubyte v61, v[41:42], off offset:128
	v_mov_b32_e32 v59, 0
	v_mov_b32_e32 v60, 0
	s_mov_b32 s3, exec_lo
	s_waitcnt vmcnt(0)
	v_cmpx_ne_u16_e32 0, v61
	s_cbranch_execz .LBB204_50
; %bb.43:                               ;   in Loop: Header=BB204_10 Depth=1
	v_bfrev_b32_e32 v60, 1
	s_mov_b32 s39, exec_lo
	v_cmpx_ne_u16_e32 0x80, v61
	s_cbranch_execz .LBB204_49
; %bb.44:                               ;   in Loop: Header=BB204_10 Depth=1
	v_and_b32_sdwa v62, v61, v52 dst_sel:DWORD dst_unused:UNUSED_PAD src0_sel:WORD_0 src1_sel:DWORD
	v_mov_b32_e32 v60, 0x7f800001
	s_mov_b32 s40, exec_lo
	v_cmpx_ne_u32_e32 0x7f, v62
	s_cbranch_execz .LBB204_48
; %bb.45:                               ;   in Loop: Header=BB204_10 Depth=1
	v_and_b32_sdwa v35, v61, v53 dst_sel:DWORD dst_unused:UNUSED_PAD src0_sel:WORD_0 src1_sel:DWORD
	v_lshrrev_b32_e32 v60, 3, v62
	s_mov_b32 s41, exec_lo
	v_cmpx_gt_u32_e32 8, v62
; %bb.46:                               ;   in Loop: Header=BB204_10 Depth=1
	v_ffbh_u32_e32 v60, v35
	v_min_u32_e32 v60, 32, v60
	v_subrev_nc_u32_e32 v62, 28, v60
	v_sub_nc_u32_e32 v60, 29, v60
	v_lshlrev_b64 v[62:63], v62, v[35:36]
	v_and_b32_e32 v35, 7, v62
; %bb.47:                               ;   in Loop: Header=BB204_10 Depth=1
	s_or_b32 exec_lo, exec_lo, s41
	v_lshlrev_b32_e32 v61, 24, v61
	v_lshlrev_b32_e32 v35, 20, v35
	v_lshl_add_u32 v60, v60, 23, 0x3c000000
	v_and_b32_e32 v61, 0x80000000, v61
	v_or3_b32 v60, v35, v61, v60
.LBB204_48:                             ;   in Loop: Header=BB204_10 Depth=1
	s_or_b32 exec_lo, exec_lo, s40
.LBB204_49:                             ;   in Loop: Header=BB204_10 Depth=1
	s_or_b32 exec_lo, exec_lo, s39
.LBB204_50:                             ;   in Loop: Header=BB204_10 Depth=1
	s_or_b32 exec_lo, exec_lo, s3
	global_load_ubyte v61, v[41:42], off offset:132
	s_mov_b32 s3, exec_lo
	s_waitcnt vmcnt(0)
	v_cmpx_ne_u16_e32 0, v61
	s_cbranch_execz .LBB204_58
; %bb.51:                               ;   in Loop: Header=BB204_10 Depth=1
	v_bfrev_b32_e32 v59, 1
	s_mov_b32 s39, exec_lo
	v_cmpx_ne_u16_e32 0x80, v61
	s_cbranch_execz .LBB204_57
; %bb.52:                               ;   in Loop: Header=BB204_10 Depth=1
	v_and_b32_sdwa v62, v61, v52 dst_sel:DWORD dst_unused:UNUSED_PAD src0_sel:WORD_0 src1_sel:DWORD
	v_mov_b32_e32 v59, 0x7f800001
	s_mov_b32 s40, exec_lo
	v_cmpx_ne_u32_e32 0x7f, v62
	s_cbranch_execz .LBB204_56
; %bb.53:                               ;   in Loop: Header=BB204_10 Depth=1
	v_and_b32_sdwa v35, v61, v53 dst_sel:DWORD dst_unused:UNUSED_PAD src0_sel:WORD_0 src1_sel:DWORD
	v_lshrrev_b32_e32 v59, 3, v62
	s_mov_b32 s41, exec_lo
	v_cmpx_gt_u32_e32 8, v62
; %bb.54:                               ;   in Loop: Header=BB204_10 Depth=1
	v_ffbh_u32_e32 v59, v35
	v_min_u32_e32 v59, 32, v59
	v_subrev_nc_u32_e32 v62, 28, v59
	v_sub_nc_u32_e32 v59, 29, v59
	v_lshlrev_b64 v[62:63], v62, v[35:36]
	v_and_b32_e32 v35, 7, v62
; %bb.55:                               ;   in Loop: Header=BB204_10 Depth=1
	s_or_b32 exec_lo, exec_lo, s41
	v_lshlrev_b32_e32 v61, 24, v61
	v_lshlrev_b32_e32 v35, 20, v35
	v_lshl_add_u32 v59, v59, 23, 0x3c000000
	v_and_b32_e32 v61, 0x80000000, v61
	v_or3_b32 v59, v35, v61, v59
.LBB204_56:                             ;   in Loop: Header=BB204_10 Depth=1
	s_or_b32 exec_lo, exec_lo, s40
.LBB204_57:                             ;   in Loop: Header=BB204_10 Depth=1
	s_or_b32 exec_lo, exec_lo, s39
.LBB204_58:                             ;   in Loop: Header=BB204_10 Depth=1
	s_or_b32 exec_lo, exec_lo, s3
	global_load_ubyte v63, v[41:42], off offset:136
	v_mov_b32_e32 v61, 0
	v_mov_b32_e32 v62, 0
	s_mov_b32 s3, exec_lo
	s_waitcnt vmcnt(0)
	v_cmpx_ne_u16_e32 0, v63
	s_cbranch_execz .LBB204_66
; %bb.59:                               ;   in Loop: Header=BB204_10 Depth=1
	v_bfrev_b32_e32 v62, 1
	s_mov_b32 s39, exec_lo
	v_cmpx_ne_u16_e32 0x80, v63
	s_cbranch_execz .LBB204_65
; %bb.60:                               ;   in Loop: Header=BB204_10 Depth=1
	v_and_b32_sdwa v64, v63, v52 dst_sel:DWORD dst_unused:UNUSED_PAD src0_sel:WORD_0 src1_sel:DWORD
	v_mov_b32_e32 v62, 0x7f800001
	s_mov_b32 s40, exec_lo
	v_cmpx_ne_u32_e32 0x7f, v64
	s_cbranch_execz .LBB204_64
; %bb.61:                               ;   in Loop: Header=BB204_10 Depth=1
	v_and_b32_sdwa v35, v63, v53 dst_sel:DWORD dst_unused:UNUSED_PAD src0_sel:WORD_0 src1_sel:DWORD
	v_lshrrev_b32_e32 v62, 3, v64
	s_mov_b32 s41, exec_lo
	v_cmpx_gt_u32_e32 8, v64
; %bb.62:                               ;   in Loop: Header=BB204_10 Depth=1
	v_ffbh_u32_e32 v62, v35
	v_min_u32_e32 v62, 32, v62
	v_subrev_nc_u32_e32 v64, 28, v62
	v_sub_nc_u32_e32 v62, 29, v62
	v_lshlrev_b64 v[64:65], v64, v[35:36]
	v_and_b32_e32 v35, 7, v64
; %bb.63:                               ;   in Loop: Header=BB204_10 Depth=1
	s_or_b32 exec_lo, exec_lo, s41
	v_lshlrev_b32_e32 v63, 24, v63
	v_lshlrev_b32_e32 v35, 20, v35
	v_lshl_add_u32 v62, v62, 23, 0x3c000000
	v_and_b32_e32 v63, 0x80000000, v63
	v_or3_b32 v62, v35, v63, v62
.LBB204_64:                             ;   in Loop: Header=BB204_10 Depth=1
	s_or_b32 exec_lo, exec_lo, s40
.LBB204_65:                             ;   in Loop: Header=BB204_10 Depth=1
	s_or_b32 exec_lo, exec_lo, s39
.LBB204_66:                             ;   in Loop: Header=BB204_10 Depth=1
	s_or_b32 exec_lo, exec_lo, s3
	global_load_ubyte v63, v[41:42], off offset:140
	s_mov_b32 s3, exec_lo
	s_waitcnt vmcnt(0)
	v_cmpx_ne_u16_e32 0, v63
	s_cbranch_execz .LBB204_74
; %bb.67:                               ;   in Loop: Header=BB204_10 Depth=1
	v_bfrev_b32_e32 v61, 1
	s_mov_b32 s39, exec_lo
	v_cmpx_ne_u16_e32 0x80, v63
	s_cbranch_execz .LBB204_73
; %bb.68:                               ;   in Loop: Header=BB204_10 Depth=1
	v_and_b32_sdwa v64, v63, v52 dst_sel:DWORD dst_unused:UNUSED_PAD src0_sel:WORD_0 src1_sel:DWORD
	v_mov_b32_e32 v61, 0x7f800001
	s_mov_b32 s40, exec_lo
	v_cmpx_ne_u32_e32 0x7f, v64
	s_cbranch_execz .LBB204_72
; %bb.69:                               ;   in Loop: Header=BB204_10 Depth=1
	v_and_b32_sdwa v35, v63, v53 dst_sel:DWORD dst_unused:UNUSED_PAD src0_sel:WORD_0 src1_sel:DWORD
	v_lshrrev_b32_e32 v61, 3, v64
	s_mov_b32 s41, exec_lo
	v_cmpx_gt_u32_e32 8, v64
; %bb.70:                               ;   in Loop: Header=BB204_10 Depth=1
	v_ffbh_u32_e32 v61, v35
	v_min_u32_e32 v61, 32, v61
	v_subrev_nc_u32_e32 v64, 28, v61
	v_sub_nc_u32_e32 v61, 29, v61
	v_lshlrev_b64 v[64:65], v64, v[35:36]
	v_and_b32_e32 v35, 7, v64
; %bb.71:                               ;   in Loop: Header=BB204_10 Depth=1
	s_or_b32 exec_lo, exec_lo, s41
	v_lshlrev_b32_e32 v63, 24, v63
	v_lshlrev_b32_e32 v35, 20, v35
	v_lshl_add_u32 v61, v61, 23, 0x3c000000
	v_and_b32_e32 v63, 0x80000000, v63
	v_or3_b32 v61, v35, v63, v61
.LBB204_72:                             ;   in Loop: Header=BB204_10 Depth=1
	s_or_b32 exec_lo, exec_lo, s40
.LBB204_73:                             ;   in Loop: Header=BB204_10 Depth=1
	s_or_b32 exec_lo, exec_lo, s39
.LBB204_74:                             ;   in Loop: Header=BB204_10 Depth=1
	s_or_b32 exec_lo, exec_lo, s3
	global_load_ubyte v65, v[41:42], off offset:256
	v_mov_b32_e32 v63, 0
	v_mov_b32_e32 v64, 0
	s_mov_b32 s3, exec_lo
	s_waitcnt vmcnt(0)
	v_cmpx_ne_u16_e32 0, v65
	s_cbranch_execz .LBB204_82
; %bb.75:                               ;   in Loop: Header=BB204_10 Depth=1
	v_bfrev_b32_e32 v64, 1
	s_mov_b32 s39, exec_lo
	v_cmpx_ne_u16_e32 0x80, v65
	s_cbranch_execz .LBB204_81
; %bb.76:                               ;   in Loop: Header=BB204_10 Depth=1
	v_and_b32_sdwa v66, v65, v52 dst_sel:DWORD dst_unused:UNUSED_PAD src0_sel:WORD_0 src1_sel:DWORD
	v_mov_b32_e32 v64, 0x7f800001
	s_mov_b32 s40, exec_lo
	v_cmpx_ne_u32_e32 0x7f, v66
	s_cbranch_execz .LBB204_80
; %bb.77:                               ;   in Loop: Header=BB204_10 Depth=1
	v_and_b32_sdwa v35, v65, v53 dst_sel:DWORD dst_unused:UNUSED_PAD src0_sel:WORD_0 src1_sel:DWORD
	v_lshrrev_b32_e32 v64, 3, v66
	s_mov_b32 s41, exec_lo
	v_cmpx_gt_u32_e32 8, v66
; %bb.78:                               ;   in Loop: Header=BB204_10 Depth=1
	v_ffbh_u32_e32 v64, v35
	v_min_u32_e32 v64, 32, v64
	v_subrev_nc_u32_e32 v66, 28, v64
	v_sub_nc_u32_e32 v64, 29, v64
	v_lshlrev_b64 v[66:67], v66, v[35:36]
	v_and_b32_e32 v35, 7, v66
; %bb.79:                               ;   in Loop: Header=BB204_10 Depth=1
	s_or_b32 exec_lo, exec_lo, s41
	v_lshlrev_b32_e32 v65, 24, v65
	v_lshlrev_b32_e32 v35, 20, v35
	v_lshl_add_u32 v64, v64, 23, 0x3c000000
	v_and_b32_e32 v65, 0x80000000, v65
	v_or3_b32 v64, v35, v65, v64
.LBB204_80:                             ;   in Loop: Header=BB204_10 Depth=1
	s_or_b32 exec_lo, exec_lo, s40
.LBB204_81:                             ;   in Loop: Header=BB204_10 Depth=1
	s_or_b32 exec_lo, exec_lo, s39
.LBB204_82:                             ;   in Loop: Header=BB204_10 Depth=1
	s_or_b32 exec_lo, exec_lo, s3
	global_load_ubyte v65, v[41:42], off offset:260
	s_mov_b32 s3, exec_lo
	s_waitcnt vmcnt(0)
	v_cmpx_ne_u16_e32 0, v65
	s_cbranch_execz .LBB204_90
; %bb.83:                               ;   in Loop: Header=BB204_10 Depth=1
	v_bfrev_b32_e32 v63, 1
	s_mov_b32 s39, exec_lo
	v_cmpx_ne_u16_e32 0x80, v65
	s_cbranch_execz .LBB204_89
; %bb.84:                               ;   in Loop: Header=BB204_10 Depth=1
	v_and_b32_sdwa v66, v65, v52 dst_sel:DWORD dst_unused:UNUSED_PAD src0_sel:WORD_0 src1_sel:DWORD
	v_mov_b32_e32 v63, 0x7f800001
	s_mov_b32 s40, exec_lo
	v_cmpx_ne_u32_e32 0x7f, v66
	s_cbranch_execz .LBB204_88
; %bb.85:                               ;   in Loop: Header=BB204_10 Depth=1
	v_and_b32_sdwa v35, v65, v53 dst_sel:DWORD dst_unused:UNUSED_PAD src0_sel:WORD_0 src1_sel:DWORD
	v_lshrrev_b32_e32 v63, 3, v66
	s_mov_b32 s41, exec_lo
	v_cmpx_gt_u32_e32 8, v66
; %bb.86:                               ;   in Loop: Header=BB204_10 Depth=1
	v_ffbh_u32_e32 v63, v35
	v_min_u32_e32 v63, 32, v63
	v_subrev_nc_u32_e32 v66, 28, v63
	v_sub_nc_u32_e32 v63, 29, v63
	v_lshlrev_b64 v[66:67], v66, v[35:36]
	v_and_b32_e32 v35, 7, v66
; %bb.87:                               ;   in Loop: Header=BB204_10 Depth=1
	s_or_b32 exec_lo, exec_lo, s41
	v_lshlrev_b32_e32 v65, 24, v65
	v_lshlrev_b32_e32 v35, 20, v35
	v_lshl_add_u32 v63, v63, 23, 0x3c000000
	v_and_b32_e32 v65, 0x80000000, v65
	v_or3_b32 v63, v35, v65, v63
.LBB204_88:                             ;   in Loop: Header=BB204_10 Depth=1
	s_or_b32 exec_lo, exec_lo, s40
.LBB204_89:                             ;   in Loop: Header=BB204_10 Depth=1
	s_or_b32 exec_lo, exec_lo, s39
.LBB204_90:                             ;   in Loop: Header=BB204_10 Depth=1
	s_or_b32 exec_lo, exec_lo, s3
	global_load_ubyte v67, v[41:42], off offset:264
	v_mov_b32_e32 v65, 0
	v_mov_b32_e32 v66, 0
	s_mov_b32 s3, exec_lo
	s_waitcnt vmcnt(0)
	v_cmpx_ne_u16_e32 0, v67
	s_cbranch_execz .LBB204_98
; %bb.91:                               ;   in Loop: Header=BB204_10 Depth=1
	v_bfrev_b32_e32 v66, 1
	s_mov_b32 s39, exec_lo
	v_cmpx_ne_u16_e32 0x80, v67
	s_cbranch_execz .LBB204_97
; %bb.92:                               ;   in Loop: Header=BB204_10 Depth=1
	v_and_b32_sdwa v68, v67, v52 dst_sel:DWORD dst_unused:UNUSED_PAD src0_sel:WORD_0 src1_sel:DWORD
	v_mov_b32_e32 v66, 0x7f800001
	s_mov_b32 s40, exec_lo
	v_cmpx_ne_u32_e32 0x7f, v68
	s_cbranch_execz .LBB204_96
; %bb.93:                               ;   in Loop: Header=BB204_10 Depth=1
	v_and_b32_sdwa v35, v67, v53 dst_sel:DWORD dst_unused:UNUSED_PAD src0_sel:WORD_0 src1_sel:DWORD
	v_lshrrev_b32_e32 v66, 3, v68
	s_mov_b32 s41, exec_lo
	v_cmpx_gt_u32_e32 8, v68
; %bb.94:                               ;   in Loop: Header=BB204_10 Depth=1
	v_ffbh_u32_e32 v66, v35
	v_min_u32_e32 v66, 32, v66
	v_subrev_nc_u32_e32 v68, 28, v66
	v_sub_nc_u32_e32 v66, 29, v66
	v_lshlrev_b64 v[68:69], v68, v[35:36]
	v_and_b32_e32 v35, 7, v68
; %bb.95:                               ;   in Loop: Header=BB204_10 Depth=1
	s_or_b32 exec_lo, exec_lo, s41
	v_lshlrev_b32_e32 v67, 24, v67
	v_lshlrev_b32_e32 v35, 20, v35
	v_lshl_add_u32 v66, v66, 23, 0x3c000000
	v_and_b32_e32 v67, 0x80000000, v67
	v_or3_b32 v66, v35, v67, v66
.LBB204_96:                             ;   in Loop: Header=BB204_10 Depth=1
	s_or_b32 exec_lo, exec_lo, s40
.LBB204_97:                             ;   in Loop: Header=BB204_10 Depth=1
	s_or_b32 exec_lo, exec_lo, s39
.LBB204_98:                             ;   in Loop: Header=BB204_10 Depth=1
	s_or_b32 exec_lo, exec_lo, s3
	global_load_ubyte v67, v[41:42], off offset:268
	s_mov_b32 s3, exec_lo
	s_waitcnt vmcnt(0)
	v_cmpx_ne_u16_e32 0, v67
	s_cbranch_execz .LBB204_106
; %bb.99:                               ;   in Loop: Header=BB204_10 Depth=1
	v_bfrev_b32_e32 v65, 1
	s_mov_b32 s39, exec_lo
	v_cmpx_ne_u16_e32 0x80, v67
	s_cbranch_execz .LBB204_105
; %bb.100:                              ;   in Loop: Header=BB204_10 Depth=1
	v_and_b32_sdwa v68, v67, v52 dst_sel:DWORD dst_unused:UNUSED_PAD src0_sel:WORD_0 src1_sel:DWORD
	v_mov_b32_e32 v65, 0x7f800001
	s_mov_b32 s40, exec_lo
	v_cmpx_ne_u32_e32 0x7f, v68
	s_cbranch_execz .LBB204_104
; %bb.101:                              ;   in Loop: Header=BB204_10 Depth=1
	v_and_b32_sdwa v35, v67, v53 dst_sel:DWORD dst_unused:UNUSED_PAD src0_sel:WORD_0 src1_sel:DWORD
	v_lshrrev_b32_e32 v65, 3, v68
	s_mov_b32 s41, exec_lo
	v_cmpx_gt_u32_e32 8, v68
; %bb.102:                              ;   in Loop: Header=BB204_10 Depth=1
	v_ffbh_u32_e32 v65, v35
	v_min_u32_e32 v65, 32, v65
	v_subrev_nc_u32_e32 v68, 28, v65
	v_sub_nc_u32_e32 v65, 29, v65
	v_lshlrev_b64 v[68:69], v68, v[35:36]
	v_and_b32_e32 v35, 7, v68
; %bb.103:                              ;   in Loop: Header=BB204_10 Depth=1
	s_or_b32 exec_lo, exec_lo, s41
	v_lshlrev_b32_e32 v67, 24, v67
	v_lshlrev_b32_e32 v35, 20, v35
	v_lshl_add_u32 v65, v65, 23, 0x3c000000
	v_and_b32_e32 v67, 0x80000000, v67
	v_or3_b32 v65, v35, v67, v65
.LBB204_104:                            ;   in Loop: Header=BB204_10 Depth=1
	s_or_b32 exec_lo, exec_lo, s40
.LBB204_105:                            ;   in Loop: Header=BB204_10 Depth=1
	s_or_b32 exec_lo, exec_lo, s39
.LBB204_106:                            ;   in Loop: Header=BB204_10 Depth=1
	s_or_b32 exec_lo, exec_lo, s3
	global_load_ubyte v69, v[41:42], off offset:384
	v_mov_b32_e32 v67, 0
	v_mov_b32_e32 v68, 0
	s_mov_b32 s3, exec_lo
	s_waitcnt vmcnt(0)
	v_cmpx_ne_u16_e32 0, v69
	s_cbranch_execz .LBB204_114
; %bb.107:                              ;   in Loop: Header=BB204_10 Depth=1
	v_bfrev_b32_e32 v68, 1
	s_mov_b32 s39, exec_lo
	v_cmpx_ne_u16_e32 0x80, v69
	s_cbranch_execz .LBB204_113
; %bb.108:                              ;   in Loop: Header=BB204_10 Depth=1
	v_and_b32_sdwa v70, v69, v52 dst_sel:DWORD dst_unused:UNUSED_PAD src0_sel:WORD_0 src1_sel:DWORD
	v_mov_b32_e32 v68, 0x7f800001
	s_mov_b32 s40, exec_lo
	v_cmpx_ne_u32_e32 0x7f, v70
	s_cbranch_execz .LBB204_112
; %bb.109:                              ;   in Loop: Header=BB204_10 Depth=1
	v_and_b32_sdwa v35, v69, v53 dst_sel:DWORD dst_unused:UNUSED_PAD src0_sel:WORD_0 src1_sel:DWORD
	v_lshrrev_b32_e32 v68, 3, v70
	s_mov_b32 s41, exec_lo
	v_cmpx_gt_u32_e32 8, v70
; %bb.110:                              ;   in Loop: Header=BB204_10 Depth=1
	v_ffbh_u32_e32 v68, v35
	v_min_u32_e32 v68, 32, v68
	v_subrev_nc_u32_e32 v70, 28, v68
	v_sub_nc_u32_e32 v68, 29, v68
	v_lshlrev_b64 v[70:71], v70, v[35:36]
	v_and_b32_e32 v35, 7, v70
; %bb.111:                              ;   in Loop: Header=BB204_10 Depth=1
	s_or_b32 exec_lo, exec_lo, s41
	v_lshlrev_b32_e32 v69, 24, v69
	v_lshlrev_b32_e32 v35, 20, v35
	v_lshl_add_u32 v68, v68, 23, 0x3c000000
	v_and_b32_e32 v69, 0x80000000, v69
	v_or3_b32 v68, v35, v69, v68
.LBB204_112:                            ;   in Loop: Header=BB204_10 Depth=1
	s_or_b32 exec_lo, exec_lo, s40
.LBB204_113:                            ;   in Loop: Header=BB204_10 Depth=1
	s_or_b32 exec_lo, exec_lo, s39
.LBB204_114:                            ;   in Loop: Header=BB204_10 Depth=1
	s_or_b32 exec_lo, exec_lo, s3
	global_load_ubyte v69, v[41:42], off offset:388
	s_mov_b32 s3, exec_lo
	s_waitcnt vmcnt(0)
	v_cmpx_ne_u16_e32 0, v69
	s_cbranch_execz .LBB204_122
; %bb.115:                              ;   in Loop: Header=BB204_10 Depth=1
	v_bfrev_b32_e32 v67, 1
	s_mov_b32 s39, exec_lo
	v_cmpx_ne_u16_e32 0x80, v69
	s_cbranch_execz .LBB204_121
; %bb.116:                              ;   in Loop: Header=BB204_10 Depth=1
	v_and_b32_sdwa v70, v69, v52 dst_sel:DWORD dst_unused:UNUSED_PAD src0_sel:WORD_0 src1_sel:DWORD
	v_mov_b32_e32 v67, 0x7f800001
	s_mov_b32 s40, exec_lo
	v_cmpx_ne_u32_e32 0x7f, v70
	s_cbranch_execz .LBB204_120
; %bb.117:                              ;   in Loop: Header=BB204_10 Depth=1
	v_and_b32_sdwa v35, v69, v53 dst_sel:DWORD dst_unused:UNUSED_PAD src0_sel:WORD_0 src1_sel:DWORD
	v_lshrrev_b32_e32 v67, 3, v70
	s_mov_b32 s41, exec_lo
	v_cmpx_gt_u32_e32 8, v70
; %bb.118:                              ;   in Loop: Header=BB204_10 Depth=1
	v_ffbh_u32_e32 v67, v35
	v_min_u32_e32 v67, 32, v67
	v_subrev_nc_u32_e32 v70, 28, v67
	v_sub_nc_u32_e32 v67, 29, v67
	v_lshlrev_b64 v[70:71], v70, v[35:36]
	v_and_b32_e32 v35, 7, v70
; %bb.119:                              ;   in Loop: Header=BB204_10 Depth=1
	s_or_b32 exec_lo, exec_lo, s41
	v_lshlrev_b32_e32 v69, 24, v69
	v_lshlrev_b32_e32 v35, 20, v35
	v_lshl_add_u32 v67, v67, 23, 0x3c000000
	v_and_b32_e32 v69, 0x80000000, v69
	v_or3_b32 v67, v35, v69, v67
.LBB204_120:                            ;   in Loop: Header=BB204_10 Depth=1
	s_or_b32 exec_lo, exec_lo, s40
.LBB204_121:                            ;   in Loop: Header=BB204_10 Depth=1
	s_or_b32 exec_lo, exec_lo, s39
.LBB204_122:                            ;   in Loop: Header=BB204_10 Depth=1
	s_or_b32 exec_lo, exec_lo, s3
	global_load_ubyte v71, v[41:42], off offset:392
	v_mov_b32_e32 v69, 0
	v_mov_b32_e32 v70, 0
	s_mov_b32 s3, exec_lo
	s_waitcnt vmcnt(0)
	v_cmpx_ne_u16_e32 0, v71
	s_cbranch_execz .LBB204_130
; %bb.123:                              ;   in Loop: Header=BB204_10 Depth=1
	v_bfrev_b32_e32 v70, 1
	s_mov_b32 s39, exec_lo
	v_cmpx_ne_u16_e32 0x80, v71
	s_cbranch_execz .LBB204_129
; %bb.124:                              ;   in Loop: Header=BB204_10 Depth=1
	v_and_b32_sdwa v72, v71, v52 dst_sel:DWORD dst_unused:UNUSED_PAD src0_sel:WORD_0 src1_sel:DWORD
	v_mov_b32_e32 v70, 0x7f800001
	s_mov_b32 s40, exec_lo
	v_cmpx_ne_u32_e32 0x7f, v72
	s_cbranch_execz .LBB204_128
; %bb.125:                              ;   in Loop: Header=BB204_10 Depth=1
	v_and_b32_sdwa v35, v71, v53 dst_sel:DWORD dst_unused:UNUSED_PAD src0_sel:WORD_0 src1_sel:DWORD
	v_lshrrev_b32_e32 v70, 3, v72
	s_mov_b32 s41, exec_lo
	v_cmpx_gt_u32_e32 8, v72
; %bb.126:                              ;   in Loop: Header=BB204_10 Depth=1
	v_ffbh_u32_e32 v70, v35
	v_min_u32_e32 v70, 32, v70
	v_subrev_nc_u32_e32 v72, 28, v70
	v_sub_nc_u32_e32 v70, 29, v70
	v_lshlrev_b64 v[72:73], v72, v[35:36]
	v_and_b32_e32 v35, 7, v72
; %bb.127:                              ;   in Loop: Header=BB204_10 Depth=1
	s_or_b32 exec_lo, exec_lo, s41
	v_lshlrev_b32_e32 v71, 24, v71
	v_lshlrev_b32_e32 v35, 20, v35
	v_lshl_add_u32 v70, v70, 23, 0x3c000000
	v_and_b32_e32 v71, 0x80000000, v71
	v_or3_b32 v70, v35, v71, v70
.LBB204_128:                            ;   in Loop: Header=BB204_10 Depth=1
	s_or_b32 exec_lo, exec_lo, s40
.LBB204_129:                            ;   in Loop: Header=BB204_10 Depth=1
	s_or_b32 exec_lo, exec_lo, s39
.LBB204_130:                            ;   in Loop: Header=BB204_10 Depth=1
	s_or_b32 exec_lo, exec_lo, s3
	global_load_ubyte v71, v[41:42], off offset:396
	s_mov_b32 s3, exec_lo
	s_waitcnt vmcnt(0)
	v_cmpx_ne_u16_e32 0, v71
	s_cbranch_execz .LBB204_138
; %bb.131:                              ;   in Loop: Header=BB204_10 Depth=1
	v_bfrev_b32_e32 v69, 1
	s_mov_b32 s39, exec_lo
	v_cmpx_ne_u16_e32 0x80, v71
	s_cbranch_execz .LBB204_137
; %bb.132:                              ;   in Loop: Header=BB204_10 Depth=1
	v_and_b32_sdwa v72, v71, v52 dst_sel:DWORD dst_unused:UNUSED_PAD src0_sel:WORD_0 src1_sel:DWORD
	v_mov_b32_e32 v69, 0x7f800001
	s_mov_b32 s40, exec_lo
	v_cmpx_ne_u32_e32 0x7f, v72
	s_cbranch_execz .LBB204_136
; %bb.133:                              ;   in Loop: Header=BB204_10 Depth=1
	v_and_b32_sdwa v35, v71, v53 dst_sel:DWORD dst_unused:UNUSED_PAD src0_sel:WORD_0 src1_sel:DWORD
	v_lshrrev_b32_e32 v69, 3, v72
	s_mov_b32 s41, exec_lo
	v_cmpx_gt_u32_e32 8, v72
; %bb.134:                              ;   in Loop: Header=BB204_10 Depth=1
	v_ffbh_u32_e32 v69, v35
	v_min_u32_e32 v69, 32, v69
	v_subrev_nc_u32_e32 v72, 28, v69
	v_sub_nc_u32_e32 v69, 29, v69
	v_lshlrev_b64 v[72:73], v72, v[35:36]
	v_and_b32_e32 v35, 7, v72
; %bb.135:                              ;   in Loop: Header=BB204_10 Depth=1
	s_or_b32 exec_lo, exec_lo, s41
	v_lshlrev_b32_e32 v71, 24, v71
	v_lshlrev_b32_e32 v35, 20, v35
	v_lshl_add_u32 v69, v69, 23, 0x3c000000
	v_and_b32_e32 v71, 0x80000000, v71
	v_or3_b32 v69, v35, v71, v69
.LBB204_136:                            ;   in Loop: Header=BB204_10 Depth=1
	s_or_b32 exec_lo, exec_lo, s40
.LBB204_137:                            ;   in Loop: Header=BB204_10 Depth=1
	s_or_b32 exec_lo, exec_lo, s39
.LBB204_138:                            ;   in Loop: Header=BB204_10 Depth=1
	s_or_b32 exec_lo, exec_lo, s3
	global_load_ubyte v73, v[41:42], off offset:512
	v_mov_b32_e32 v71, 0
	v_mov_b32_e32 v72, 0
	s_mov_b32 s3, exec_lo
	s_waitcnt vmcnt(0)
	v_cmpx_ne_u16_e32 0, v73
	s_cbranch_execz .LBB204_146
; %bb.139:                              ;   in Loop: Header=BB204_10 Depth=1
	v_bfrev_b32_e32 v72, 1
	s_mov_b32 s39, exec_lo
	v_cmpx_ne_u16_e32 0x80, v73
	s_cbranch_execz .LBB204_145
; %bb.140:                              ;   in Loop: Header=BB204_10 Depth=1
	v_and_b32_sdwa v74, v73, v52 dst_sel:DWORD dst_unused:UNUSED_PAD src0_sel:WORD_0 src1_sel:DWORD
	v_mov_b32_e32 v72, 0x7f800001
	s_mov_b32 s40, exec_lo
	v_cmpx_ne_u32_e32 0x7f, v74
	s_cbranch_execz .LBB204_144
; %bb.141:                              ;   in Loop: Header=BB204_10 Depth=1
	v_and_b32_sdwa v35, v73, v53 dst_sel:DWORD dst_unused:UNUSED_PAD src0_sel:WORD_0 src1_sel:DWORD
	v_lshrrev_b32_e32 v72, 3, v74
	s_mov_b32 s41, exec_lo
	v_cmpx_gt_u32_e32 8, v74
; %bb.142:                              ;   in Loop: Header=BB204_10 Depth=1
	v_ffbh_u32_e32 v72, v35
	v_min_u32_e32 v72, 32, v72
	v_subrev_nc_u32_e32 v74, 28, v72
	v_sub_nc_u32_e32 v72, 29, v72
	v_lshlrev_b64 v[74:75], v74, v[35:36]
	v_and_b32_e32 v35, 7, v74
; %bb.143:                              ;   in Loop: Header=BB204_10 Depth=1
	s_or_b32 exec_lo, exec_lo, s41
	v_lshlrev_b32_e32 v73, 24, v73
	v_lshlrev_b32_e32 v35, 20, v35
	v_lshl_add_u32 v72, v72, 23, 0x3c000000
	v_and_b32_e32 v73, 0x80000000, v73
	v_or3_b32 v72, v35, v73, v72
.LBB204_144:                            ;   in Loop: Header=BB204_10 Depth=1
	s_or_b32 exec_lo, exec_lo, s40
.LBB204_145:                            ;   in Loop: Header=BB204_10 Depth=1
	s_or_b32 exec_lo, exec_lo, s39
.LBB204_146:                            ;   in Loop: Header=BB204_10 Depth=1
	s_or_b32 exec_lo, exec_lo, s3
	global_load_ubyte v73, v[41:42], off offset:516
	s_mov_b32 s3, exec_lo
	s_waitcnt vmcnt(0)
	v_cmpx_ne_u16_e32 0, v73
	s_cbranch_execz .LBB204_154
; %bb.147:                              ;   in Loop: Header=BB204_10 Depth=1
	v_bfrev_b32_e32 v71, 1
	s_mov_b32 s39, exec_lo
	v_cmpx_ne_u16_e32 0x80, v73
	s_cbranch_execz .LBB204_153
; %bb.148:                              ;   in Loop: Header=BB204_10 Depth=1
	v_and_b32_sdwa v74, v73, v52 dst_sel:DWORD dst_unused:UNUSED_PAD src0_sel:WORD_0 src1_sel:DWORD
	v_mov_b32_e32 v71, 0x7f800001
	s_mov_b32 s40, exec_lo
	v_cmpx_ne_u32_e32 0x7f, v74
	s_cbranch_execz .LBB204_152
; %bb.149:                              ;   in Loop: Header=BB204_10 Depth=1
	v_and_b32_sdwa v35, v73, v53 dst_sel:DWORD dst_unused:UNUSED_PAD src0_sel:WORD_0 src1_sel:DWORD
	v_lshrrev_b32_e32 v71, 3, v74
	s_mov_b32 s41, exec_lo
	v_cmpx_gt_u32_e32 8, v74
; %bb.150:                              ;   in Loop: Header=BB204_10 Depth=1
	v_ffbh_u32_e32 v71, v35
	v_min_u32_e32 v71, 32, v71
	v_subrev_nc_u32_e32 v74, 28, v71
	v_sub_nc_u32_e32 v71, 29, v71
	v_lshlrev_b64 v[74:75], v74, v[35:36]
	v_and_b32_e32 v35, 7, v74
; %bb.151:                              ;   in Loop: Header=BB204_10 Depth=1
	s_or_b32 exec_lo, exec_lo, s41
	v_lshlrev_b32_e32 v73, 24, v73
	v_lshlrev_b32_e32 v35, 20, v35
	v_lshl_add_u32 v71, v71, 23, 0x3c000000
	v_and_b32_e32 v73, 0x80000000, v73
	v_or3_b32 v71, v35, v73, v71
.LBB204_152:                            ;   in Loop: Header=BB204_10 Depth=1
	s_or_b32 exec_lo, exec_lo, s40
.LBB204_153:                            ;   in Loop: Header=BB204_10 Depth=1
	s_or_b32 exec_lo, exec_lo, s39
.LBB204_154:                            ;   in Loop: Header=BB204_10 Depth=1
	s_or_b32 exec_lo, exec_lo, s3
	global_load_ubyte v75, v[41:42], off offset:520
	v_mov_b32_e32 v73, 0
	v_mov_b32_e32 v74, 0
	s_mov_b32 s3, exec_lo
	s_waitcnt vmcnt(0)
	v_cmpx_ne_u16_e32 0, v75
	s_cbranch_execz .LBB204_162
; %bb.155:                              ;   in Loop: Header=BB204_10 Depth=1
	v_bfrev_b32_e32 v74, 1
	s_mov_b32 s39, exec_lo
	v_cmpx_ne_u16_e32 0x80, v75
	s_cbranch_execz .LBB204_161
; %bb.156:                              ;   in Loop: Header=BB204_10 Depth=1
	v_and_b32_sdwa v76, v75, v52 dst_sel:DWORD dst_unused:UNUSED_PAD src0_sel:WORD_0 src1_sel:DWORD
	v_mov_b32_e32 v74, 0x7f800001
	s_mov_b32 s40, exec_lo
	v_cmpx_ne_u32_e32 0x7f, v76
	s_cbranch_execz .LBB204_160
; %bb.157:                              ;   in Loop: Header=BB204_10 Depth=1
	v_and_b32_sdwa v35, v75, v53 dst_sel:DWORD dst_unused:UNUSED_PAD src0_sel:WORD_0 src1_sel:DWORD
	v_lshrrev_b32_e32 v74, 3, v76
	s_mov_b32 s41, exec_lo
	v_cmpx_gt_u32_e32 8, v76
; %bb.158:                              ;   in Loop: Header=BB204_10 Depth=1
	v_ffbh_u32_e32 v74, v35
	v_min_u32_e32 v74, 32, v74
	v_subrev_nc_u32_e32 v76, 28, v74
	v_sub_nc_u32_e32 v74, 29, v74
	v_lshlrev_b64 v[76:77], v76, v[35:36]
	v_and_b32_e32 v35, 7, v76
; %bb.159:                              ;   in Loop: Header=BB204_10 Depth=1
	s_or_b32 exec_lo, exec_lo, s41
	v_lshlrev_b32_e32 v75, 24, v75
	v_lshlrev_b32_e32 v35, 20, v35
	v_lshl_add_u32 v74, v74, 23, 0x3c000000
	v_and_b32_e32 v75, 0x80000000, v75
	v_or3_b32 v74, v35, v75, v74
.LBB204_160:                            ;   in Loop: Header=BB204_10 Depth=1
	s_or_b32 exec_lo, exec_lo, s40
.LBB204_161:                            ;   in Loop: Header=BB204_10 Depth=1
	s_or_b32 exec_lo, exec_lo, s39
.LBB204_162:                            ;   in Loop: Header=BB204_10 Depth=1
	s_or_b32 exec_lo, exec_lo, s3
	global_load_ubyte v75, v[41:42], off offset:524
	s_mov_b32 s3, exec_lo
	s_waitcnt vmcnt(0)
	v_cmpx_ne_u16_e32 0, v75
	s_cbranch_execz .LBB204_170
; %bb.163:                              ;   in Loop: Header=BB204_10 Depth=1
	v_bfrev_b32_e32 v73, 1
	s_mov_b32 s39, exec_lo
	v_cmpx_ne_u16_e32 0x80, v75
	s_cbranch_execz .LBB204_169
; %bb.164:                              ;   in Loop: Header=BB204_10 Depth=1
	v_and_b32_sdwa v76, v75, v52 dst_sel:DWORD dst_unused:UNUSED_PAD src0_sel:WORD_0 src1_sel:DWORD
	v_mov_b32_e32 v73, 0x7f800001
	s_mov_b32 s40, exec_lo
	v_cmpx_ne_u32_e32 0x7f, v76
	s_cbranch_execz .LBB204_168
; %bb.165:                              ;   in Loop: Header=BB204_10 Depth=1
	v_and_b32_sdwa v35, v75, v53 dst_sel:DWORD dst_unused:UNUSED_PAD src0_sel:WORD_0 src1_sel:DWORD
	v_lshrrev_b32_e32 v73, 3, v76
	s_mov_b32 s41, exec_lo
	v_cmpx_gt_u32_e32 8, v76
; %bb.166:                              ;   in Loop: Header=BB204_10 Depth=1
	v_ffbh_u32_e32 v73, v35
	v_min_u32_e32 v73, 32, v73
	v_subrev_nc_u32_e32 v76, 28, v73
	v_sub_nc_u32_e32 v73, 29, v73
	v_lshlrev_b64 v[76:77], v76, v[35:36]
	v_and_b32_e32 v35, 7, v76
; %bb.167:                              ;   in Loop: Header=BB204_10 Depth=1
	s_or_b32 exec_lo, exec_lo, s41
	v_lshlrev_b32_e32 v75, 24, v75
	v_lshlrev_b32_e32 v35, 20, v35
	v_lshl_add_u32 v73, v73, 23, 0x3c000000
	v_and_b32_e32 v75, 0x80000000, v75
	v_or3_b32 v73, v35, v75, v73
.LBB204_168:                            ;   in Loop: Header=BB204_10 Depth=1
	s_or_b32 exec_lo, exec_lo, s40
.LBB204_169:                            ;   in Loop: Header=BB204_10 Depth=1
	s_or_b32 exec_lo, exec_lo, s39
.LBB204_170:                            ;   in Loop: Header=BB204_10 Depth=1
	s_or_b32 exec_lo, exec_lo, s3
	global_load_ubyte v77, v[41:42], off offset:640
	v_mov_b32_e32 v75, 0
	v_mov_b32_e32 v76, 0
	s_mov_b32 s3, exec_lo
	s_waitcnt vmcnt(0)
	v_cmpx_ne_u16_e32 0, v77
	s_cbranch_execz .LBB204_178
; %bb.171:                              ;   in Loop: Header=BB204_10 Depth=1
	v_bfrev_b32_e32 v76, 1
	s_mov_b32 s39, exec_lo
	v_cmpx_ne_u16_e32 0x80, v77
	s_cbranch_execz .LBB204_177
; %bb.172:                              ;   in Loop: Header=BB204_10 Depth=1
	v_and_b32_sdwa v78, v77, v52 dst_sel:DWORD dst_unused:UNUSED_PAD src0_sel:WORD_0 src1_sel:DWORD
	v_mov_b32_e32 v76, 0x7f800001
	s_mov_b32 s40, exec_lo
	v_cmpx_ne_u32_e32 0x7f, v78
	s_cbranch_execz .LBB204_176
; %bb.173:                              ;   in Loop: Header=BB204_10 Depth=1
	v_and_b32_sdwa v35, v77, v53 dst_sel:DWORD dst_unused:UNUSED_PAD src0_sel:WORD_0 src1_sel:DWORD
	v_lshrrev_b32_e32 v76, 3, v78
	s_mov_b32 s41, exec_lo
	v_cmpx_gt_u32_e32 8, v78
; %bb.174:                              ;   in Loop: Header=BB204_10 Depth=1
	v_ffbh_u32_e32 v76, v35
	v_min_u32_e32 v76, 32, v76
	v_subrev_nc_u32_e32 v78, 28, v76
	v_sub_nc_u32_e32 v76, 29, v76
	v_lshlrev_b64 v[78:79], v78, v[35:36]
	v_and_b32_e32 v35, 7, v78
; %bb.175:                              ;   in Loop: Header=BB204_10 Depth=1
	s_or_b32 exec_lo, exec_lo, s41
	v_lshlrev_b32_e32 v77, 24, v77
	v_lshlrev_b32_e32 v35, 20, v35
	v_lshl_add_u32 v76, v76, 23, 0x3c000000
	v_and_b32_e32 v77, 0x80000000, v77
	v_or3_b32 v76, v35, v77, v76
.LBB204_176:                            ;   in Loop: Header=BB204_10 Depth=1
	s_or_b32 exec_lo, exec_lo, s40
.LBB204_177:                            ;   in Loop: Header=BB204_10 Depth=1
	s_or_b32 exec_lo, exec_lo, s39
.LBB204_178:                            ;   in Loop: Header=BB204_10 Depth=1
	s_or_b32 exec_lo, exec_lo, s3
	global_load_ubyte v77, v[41:42], off offset:644
	s_mov_b32 s3, exec_lo
	s_waitcnt vmcnt(0)
	v_cmpx_ne_u16_e32 0, v77
	s_cbranch_execz .LBB204_186
; %bb.179:                              ;   in Loop: Header=BB204_10 Depth=1
	v_bfrev_b32_e32 v75, 1
	s_mov_b32 s39, exec_lo
	v_cmpx_ne_u16_e32 0x80, v77
	s_cbranch_execz .LBB204_185
; %bb.180:                              ;   in Loop: Header=BB204_10 Depth=1
	v_and_b32_sdwa v78, v77, v52 dst_sel:DWORD dst_unused:UNUSED_PAD src0_sel:WORD_0 src1_sel:DWORD
	v_mov_b32_e32 v75, 0x7f800001
	s_mov_b32 s40, exec_lo
	v_cmpx_ne_u32_e32 0x7f, v78
	s_cbranch_execz .LBB204_184
; %bb.181:                              ;   in Loop: Header=BB204_10 Depth=1
	v_and_b32_sdwa v35, v77, v53 dst_sel:DWORD dst_unused:UNUSED_PAD src0_sel:WORD_0 src1_sel:DWORD
	v_lshrrev_b32_e32 v75, 3, v78
	s_mov_b32 s41, exec_lo
	v_cmpx_gt_u32_e32 8, v78
; %bb.182:                              ;   in Loop: Header=BB204_10 Depth=1
	v_ffbh_u32_e32 v75, v35
	v_min_u32_e32 v75, 32, v75
	v_subrev_nc_u32_e32 v78, 28, v75
	v_sub_nc_u32_e32 v75, 29, v75
	v_lshlrev_b64 v[78:79], v78, v[35:36]
	v_and_b32_e32 v35, 7, v78
; %bb.183:                              ;   in Loop: Header=BB204_10 Depth=1
	s_or_b32 exec_lo, exec_lo, s41
	v_lshlrev_b32_e32 v77, 24, v77
	v_lshlrev_b32_e32 v35, 20, v35
	v_lshl_add_u32 v75, v75, 23, 0x3c000000
	v_and_b32_e32 v77, 0x80000000, v77
	v_or3_b32 v75, v35, v77, v75
.LBB204_184:                            ;   in Loop: Header=BB204_10 Depth=1
	s_or_b32 exec_lo, exec_lo, s40
.LBB204_185:                            ;   in Loop: Header=BB204_10 Depth=1
	s_or_b32 exec_lo, exec_lo, s39
.LBB204_186:                            ;   in Loop: Header=BB204_10 Depth=1
	s_or_b32 exec_lo, exec_lo, s3
	global_load_ubyte v79, v[41:42], off offset:648
	v_mov_b32_e32 v77, 0
	v_mov_b32_e32 v78, 0
	s_mov_b32 s3, exec_lo
	s_waitcnt vmcnt(0)
	v_cmpx_ne_u16_e32 0, v79
	s_cbranch_execz .LBB204_194
; %bb.187:                              ;   in Loop: Header=BB204_10 Depth=1
	v_bfrev_b32_e32 v78, 1
	s_mov_b32 s39, exec_lo
	v_cmpx_ne_u16_e32 0x80, v79
	s_cbranch_execz .LBB204_193
; %bb.188:                              ;   in Loop: Header=BB204_10 Depth=1
	v_and_b32_sdwa v80, v79, v52 dst_sel:DWORD dst_unused:UNUSED_PAD src0_sel:WORD_0 src1_sel:DWORD
	v_mov_b32_e32 v78, 0x7f800001
	s_mov_b32 s40, exec_lo
	v_cmpx_ne_u32_e32 0x7f, v80
	s_cbranch_execz .LBB204_192
; %bb.189:                              ;   in Loop: Header=BB204_10 Depth=1
	v_and_b32_sdwa v35, v79, v53 dst_sel:DWORD dst_unused:UNUSED_PAD src0_sel:WORD_0 src1_sel:DWORD
	v_lshrrev_b32_e32 v78, 3, v80
	s_mov_b32 s41, exec_lo
	v_cmpx_gt_u32_e32 8, v80
; %bb.190:                              ;   in Loop: Header=BB204_10 Depth=1
	v_ffbh_u32_e32 v78, v35
	v_min_u32_e32 v78, 32, v78
	v_subrev_nc_u32_e32 v80, 28, v78
	v_sub_nc_u32_e32 v78, 29, v78
	v_lshlrev_b64 v[80:81], v80, v[35:36]
	v_and_b32_e32 v35, 7, v80
; %bb.191:                              ;   in Loop: Header=BB204_10 Depth=1
	s_or_b32 exec_lo, exec_lo, s41
	v_lshlrev_b32_e32 v79, 24, v79
	v_lshlrev_b32_e32 v35, 20, v35
	v_lshl_add_u32 v78, v78, 23, 0x3c000000
	v_and_b32_e32 v79, 0x80000000, v79
	v_or3_b32 v78, v35, v79, v78
.LBB204_192:                            ;   in Loop: Header=BB204_10 Depth=1
	s_or_b32 exec_lo, exec_lo, s40
.LBB204_193:                            ;   in Loop: Header=BB204_10 Depth=1
	s_or_b32 exec_lo, exec_lo, s39
.LBB204_194:                            ;   in Loop: Header=BB204_10 Depth=1
	s_or_b32 exec_lo, exec_lo, s3
	global_load_ubyte v79, v[41:42], off offset:652
	s_mov_b32 s3, exec_lo
	s_waitcnt vmcnt(0)
	v_cmpx_ne_u16_e32 0, v79
	s_cbranch_execz .LBB204_202
; %bb.195:                              ;   in Loop: Header=BB204_10 Depth=1
	v_bfrev_b32_e32 v77, 1
	s_mov_b32 s39, exec_lo
	v_cmpx_ne_u16_e32 0x80, v79
	s_cbranch_execz .LBB204_201
; %bb.196:                              ;   in Loop: Header=BB204_10 Depth=1
	v_and_b32_sdwa v80, v79, v52 dst_sel:DWORD dst_unused:UNUSED_PAD src0_sel:WORD_0 src1_sel:DWORD
	v_mov_b32_e32 v77, 0x7f800001
	s_mov_b32 s40, exec_lo
	v_cmpx_ne_u32_e32 0x7f, v80
	s_cbranch_execz .LBB204_200
; %bb.197:                              ;   in Loop: Header=BB204_10 Depth=1
	v_and_b32_sdwa v35, v79, v53 dst_sel:DWORD dst_unused:UNUSED_PAD src0_sel:WORD_0 src1_sel:DWORD
	v_lshrrev_b32_e32 v77, 3, v80
	s_mov_b32 s41, exec_lo
	v_cmpx_gt_u32_e32 8, v80
; %bb.198:                              ;   in Loop: Header=BB204_10 Depth=1
	v_ffbh_u32_e32 v77, v35
	v_min_u32_e32 v77, 32, v77
	v_subrev_nc_u32_e32 v80, 28, v77
	v_sub_nc_u32_e32 v77, 29, v77
	v_lshlrev_b64 v[80:81], v80, v[35:36]
	v_and_b32_e32 v35, 7, v80
; %bb.199:                              ;   in Loop: Header=BB204_10 Depth=1
	s_or_b32 exec_lo, exec_lo, s41
	v_lshlrev_b32_e32 v79, 24, v79
	v_lshlrev_b32_e32 v35, 20, v35
	v_lshl_add_u32 v77, v77, 23, 0x3c000000
	v_and_b32_e32 v79, 0x80000000, v79
	v_or3_b32 v77, v35, v79, v77
.LBB204_200:                            ;   in Loop: Header=BB204_10 Depth=1
	s_or_b32 exec_lo, exec_lo, s40
.LBB204_201:                            ;   in Loop: Header=BB204_10 Depth=1
	s_or_b32 exec_lo, exec_lo, s39
.LBB204_202:                            ;   in Loop: Header=BB204_10 Depth=1
	s_or_b32 exec_lo, exec_lo, s3
	global_load_ubyte v81, v[41:42], off offset:768
	v_mov_b32_e32 v79, 0
	v_mov_b32_e32 v80, 0
	s_mov_b32 s3, exec_lo
	s_waitcnt vmcnt(0)
	v_cmpx_ne_u16_e32 0, v81
	s_cbranch_execz .LBB204_210
; %bb.203:                              ;   in Loop: Header=BB204_10 Depth=1
	v_bfrev_b32_e32 v80, 1
	s_mov_b32 s39, exec_lo
	v_cmpx_ne_u16_e32 0x80, v81
	s_cbranch_execz .LBB204_209
; %bb.204:                              ;   in Loop: Header=BB204_10 Depth=1
	v_and_b32_sdwa v82, v81, v52 dst_sel:DWORD dst_unused:UNUSED_PAD src0_sel:WORD_0 src1_sel:DWORD
	v_mov_b32_e32 v80, 0x7f800001
	s_mov_b32 s40, exec_lo
	v_cmpx_ne_u32_e32 0x7f, v82
	s_cbranch_execz .LBB204_208
; %bb.205:                              ;   in Loop: Header=BB204_10 Depth=1
	v_and_b32_sdwa v35, v81, v53 dst_sel:DWORD dst_unused:UNUSED_PAD src0_sel:WORD_0 src1_sel:DWORD
	v_lshrrev_b32_e32 v80, 3, v82
	s_mov_b32 s41, exec_lo
	v_cmpx_gt_u32_e32 8, v82
; %bb.206:                              ;   in Loop: Header=BB204_10 Depth=1
	v_ffbh_u32_e32 v80, v35
	v_min_u32_e32 v80, 32, v80
	v_subrev_nc_u32_e32 v82, 28, v80
	v_sub_nc_u32_e32 v80, 29, v80
	v_lshlrev_b64 v[82:83], v82, v[35:36]
	v_and_b32_e32 v35, 7, v82
; %bb.207:                              ;   in Loop: Header=BB204_10 Depth=1
	s_or_b32 exec_lo, exec_lo, s41
	v_lshlrev_b32_e32 v81, 24, v81
	v_lshlrev_b32_e32 v35, 20, v35
	v_lshl_add_u32 v80, v80, 23, 0x3c000000
	v_and_b32_e32 v81, 0x80000000, v81
	v_or3_b32 v80, v35, v81, v80
.LBB204_208:                            ;   in Loop: Header=BB204_10 Depth=1
	s_or_b32 exec_lo, exec_lo, s40
.LBB204_209:                            ;   in Loop: Header=BB204_10 Depth=1
	s_or_b32 exec_lo, exec_lo, s39
.LBB204_210:                            ;   in Loop: Header=BB204_10 Depth=1
	s_or_b32 exec_lo, exec_lo, s3
	global_load_ubyte v81, v[41:42], off offset:772
	s_mov_b32 s3, exec_lo
	s_waitcnt vmcnt(0)
	v_cmpx_ne_u16_e32 0, v81
	s_cbranch_execz .LBB204_218
; %bb.211:                              ;   in Loop: Header=BB204_10 Depth=1
	v_bfrev_b32_e32 v79, 1
	s_mov_b32 s39, exec_lo
	v_cmpx_ne_u16_e32 0x80, v81
	s_cbranch_execz .LBB204_217
; %bb.212:                              ;   in Loop: Header=BB204_10 Depth=1
	v_and_b32_sdwa v82, v81, v52 dst_sel:DWORD dst_unused:UNUSED_PAD src0_sel:WORD_0 src1_sel:DWORD
	v_mov_b32_e32 v79, 0x7f800001
	s_mov_b32 s40, exec_lo
	v_cmpx_ne_u32_e32 0x7f, v82
	s_cbranch_execz .LBB204_216
; %bb.213:                              ;   in Loop: Header=BB204_10 Depth=1
	v_and_b32_sdwa v35, v81, v53 dst_sel:DWORD dst_unused:UNUSED_PAD src0_sel:WORD_0 src1_sel:DWORD
	v_lshrrev_b32_e32 v79, 3, v82
	s_mov_b32 s41, exec_lo
	v_cmpx_gt_u32_e32 8, v82
; %bb.214:                              ;   in Loop: Header=BB204_10 Depth=1
	v_ffbh_u32_e32 v79, v35
	v_min_u32_e32 v79, 32, v79
	v_subrev_nc_u32_e32 v82, 28, v79
	v_sub_nc_u32_e32 v79, 29, v79
	v_lshlrev_b64 v[82:83], v82, v[35:36]
	v_and_b32_e32 v35, 7, v82
; %bb.215:                              ;   in Loop: Header=BB204_10 Depth=1
	s_or_b32 exec_lo, exec_lo, s41
	v_lshlrev_b32_e32 v81, 24, v81
	v_lshlrev_b32_e32 v35, 20, v35
	v_lshl_add_u32 v79, v79, 23, 0x3c000000
	v_and_b32_e32 v81, 0x80000000, v81
	v_or3_b32 v79, v35, v81, v79
.LBB204_216:                            ;   in Loop: Header=BB204_10 Depth=1
	s_or_b32 exec_lo, exec_lo, s40
.LBB204_217:                            ;   in Loop: Header=BB204_10 Depth=1
	s_or_b32 exec_lo, exec_lo, s39
.LBB204_218:                            ;   in Loop: Header=BB204_10 Depth=1
	s_or_b32 exec_lo, exec_lo, s3
	global_load_ubyte v83, v[41:42], off offset:776
	v_mov_b32_e32 v81, 0
	v_mov_b32_e32 v82, 0
	s_mov_b32 s3, exec_lo
	s_waitcnt vmcnt(0)
	v_cmpx_ne_u16_e32 0, v83
	s_cbranch_execz .LBB204_226
; %bb.219:                              ;   in Loop: Header=BB204_10 Depth=1
	v_bfrev_b32_e32 v82, 1
	s_mov_b32 s39, exec_lo
	v_cmpx_ne_u16_e32 0x80, v83
	s_cbranch_execz .LBB204_225
; %bb.220:                              ;   in Loop: Header=BB204_10 Depth=1
	v_and_b32_sdwa v84, v83, v52 dst_sel:DWORD dst_unused:UNUSED_PAD src0_sel:WORD_0 src1_sel:DWORD
	v_mov_b32_e32 v82, 0x7f800001
	s_mov_b32 s40, exec_lo
	v_cmpx_ne_u32_e32 0x7f, v84
	s_cbranch_execz .LBB204_224
; %bb.221:                              ;   in Loop: Header=BB204_10 Depth=1
	v_and_b32_sdwa v35, v83, v53 dst_sel:DWORD dst_unused:UNUSED_PAD src0_sel:WORD_0 src1_sel:DWORD
	v_lshrrev_b32_e32 v82, 3, v84
	s_mov_b32 s41, exec_lo
	v_cmpx_gt_u32_e32 8, v84
; %bb.222:                              ;   in Loop: Header=BB204_10 Depth=1
	v_ffbh_u32_e32 v82, v35
	v_min_u32_e32 v82, 32, v82
	v_subrev_nc_u32_e32 v84, 28, v82
	v_sub_nc_u32_e32 v82, 29, v82
	v_lshlrev_b64 v[84:85], v84, v[35:36]
	v_and_b32_e32 v35, 7, v84
; %bb.223:                              ;   in Loop: Header=BB204_10 Depth=1
	s_or_b32 exec_lo, exec_lo, s41
	v_lshlrev_b32_e32 v83, 24, v83
	v_lshlrev_b32_e32 v35, 20, v35
	v_lshl_add_u32 v82, v82, 23, 0x3c000000
	v_and_b32_e32 v83, 0x80000000, v83
	v_or3_b32 v82, v35, v83, v82
.LBB204_224:                            ;   in Loop: Header=BB204_10 Depth=1
	s_or_b32 exec_lo, exec_lo, s40
.LBB204_225:                            ;   in Loop: Header=BB204_10 Depth=1
	s_or_b32 exec_lo, exec_lo, s39
.LBB204_226:                            ;   in Loop: Header=BB204_10 Depth=1
	s_or_b32 exec_lo, exec_lo, s3
	global_load_ubyte v83, v[41:42], off offset:780
	s_mov_b32 s3, exec_lo
	s_waitcnt vmcnt(0)
	v_cmpx_ne_u16_e32 0, v83
	s_cbranch_execz .LBB204_234
; %bb.227:                              ;   in Loop: Header=BB204_10 Depth=1
	v_bfrev_b32_e32 v81, 1
	s_mov_b32 s39, exec_lo
	v_cmpx_ne_u16_e32 0x80, v83
	s_cbranch_execz .LBB204_233
; %bb.228:                              ;   in Loop: Header=BB204_10 Depth=1
	v_and_b32_sdwa v84, v83, v52 dst_sel:DWORD dst_unused:UNUSED_PAD src0_sel:WORD_0 src1_sel:DWORD
	v_mov_b32_e32 v81, 0x7f800001
	s_mov_b32 s40, exec_lo
	v_cmpx_ne_u32_e32 0x7f, v84
	s_cbranch_execz .LBB204_232
; %bb.229:                              ;   in Loop: Header=BB204_10 Depth=1
	v_and_b32_sdwa v35, v83, v53 dst_sel:DWORD dst_unused:UNUSED_PAD src0_sel:WORD_0 src1_sel:DWORD
	v_lshrrev_b32_e32 v81, 3, v84
	s_mov_b32 s41, exec_lo
	v_cmpx_gt_u32_e32 8, v84
; %bb.230:                              ;   in Loop: Header=BB204_10 Depth=1
	v_ffbh_u32_e32 v81, v35
	v_min_u32_e32 v81, 32, v81
	v_subrev_nc_u32_e32 v84, 28, v81
	v_sub_nc_u32_e32 v81, 29, v81
	v_lshlrev_b64 v[84:85], v84, v[35:36]
	v_and_b32_e32 v35, 7, v84
; %bb.231:                              ;   in Loop: Header=BB204_10 Depth=1
	s_or_b32 exec_lo, exec_lo, s41
	v_lshlrev_b32_e32 v83, 24, v83
	v_lshlrev_b32_e32 v35, 20, v35
	v_lshl_add_u32 v81, v81, 23, 0x3c000000
	v_and_b32_e32 v83, 0x80000000, v83
	v_or3_b32 v81, v35, v83, v81
.LBB204_232:                            ;   in Loop: Header=BB204_10 Depth=1
	s_or_b32 exec_lo, exec_lo, s40
.LBB204_233:                            ;   in Loop: Header=BB204_10 Depth=1
	s_or_b32 exec_lo, exec_lo, s39
.LBB204_234:                            ;   in Loop: Header=BB204_10 Depth=1
	s_or_b32 exec_lo, exec_lo, s3
	global_load_ubyte v85, v[41:42], off offset:896
	v_mov_b32_e32 v83, 0
	v_mov_b32_e32 v84, 0
	s_mov_b32 s3, exec_lo
	s_waitcnt vmcnt(0)
	v_cmpx_ne_u16_e32 0, v85
	s_cbranch_execz .LBB204_242
; %bb.235:                              ;   in Loop: Header=BB204_10 Depth=1
	v_bfrev_b32_e32 v84, 1
	s_mov_b32 s39, exec_lo
	v_cmpx_ne_u16_e32 0x80, v85
	s_cbranch_execz .LBB204_241
; %bb.236:                              ;   in Loop: Header=BB204_10 Depth=1
	v_and_b32_sdwa v86, v85, v52 dst_sel:DWORD dst_unused:UNUSED_PAD src0_sel:WORD_0 src1_sel:DWORD
	v_mov_b32_e32 v84, 0x7f800001
	s_mov_b32 s40, exec_lo
	v_cmpx_ne_u32_e32 0x7f, v86
	s_cbranch_execz .LBB204_240
; %bb.237:                              ;   in Loop: Header=BB204_10 Depth=1
	v_and_b32_sdwa v35, v85, v53 dst_sel:DWORD dst_unused:UNUSED_PAD src0_sel:WORD_0 src1_sel:DWORD
	v_lshrrev_b32_e32 v84, 3, v86
	s_mov_b32 s41, exec_lo
	v_cmpx_gt_u32_e32 8, v86
; %bb.238:                              ;   in Loop: Header=BB204_10 Depth=1
	v_ffbh_u32_e32 v84, v35
	v_min_u32_e32 v84, 32, v84
	v_subrev_nc_u32_e32 v86, 28, v84
	v_sub_nc_u32_e32 v84, 29, v84
	v_lshlrev_b64 v[86:87], v86, v[35:36]
	v_and_b32_e32 v35, 7, v86
; %bb.239:                              ;   in Loop: Header=BB204_10 Depth=1
	s_or_b32 exec_lo, exec_lo, s41
	v_lshlrev_b32_e32 v85, 24, v85
	v_lshlrev_b32_e32 v35, 20, v35
	v_lshl_add_u32 v84, v84, 23, 0x3c000000
	v_and_b32_e32 v85, 0x80000000, v85
	v_or3_b32 v84, v35, v85, v84
.LBB204_240:                            ;   in Loop: Header=BB204_10 Depth=1
	s_or_b32 exec_lo, exec_lo, s40
.LBB204_241:                            ;   in Loop: Header=BB204_10 Depth=1
	s_or_b32 exec_lo, exec_lo, s39
.LBB204_242:                            ;   in Loop: Header=BB204_10 Depth=1
	s_or_b32 exec_lo, exec_lo, s3
	global_load_ubyte v85, v[41:42], off offset:900
	s_mov_b32 s3, exec_lo
	s_waitcnt vmcnt(0)
	v_cmpx_ne_u16_e32 0, v85
	s_cbranch_execz .LBB204_250
; %bb.243:                              ;   in Loop: Header=BB204_10 Depth=1
	v_bfrev_b32_e32 v83, 1
	s_mov_b32 s39, exec_lo
	v_cmpx_ne_u16_e32 0x80, v85
	s_cbranch_execz .LBB204_249
; %bb.244:                              ;   in Loop: Header=BB204_10 Depth=1
	v_and_b32_sdwa v86, v85, v52 dst_sel:DWORD dst_unused:UNUSED_PAD src0_sel:WORD_0 src1_sel:DWORD
	v_mov_b32_e32 v83, 0x7f800001
	s_mov_b32 s40, exec_lo
	v_cmpx_ne_u32_e32 0x7f, v86
	s_cbranch_execz .LBB204_248
; %bb.245:                              ;   in Loop: Header=BB204_10 Depth=1
	v_and_b32_sdwa v35, v85, v53 dst_sel:DWORD dst_unused:UNUSED_PAD src0_sel:WORD_0 src1_sel:DWORD
	v_lshrrev_b32_e32 v83, 3, v86
	s_mov_b32 s41, exec_lo
	v_cmpx_gt_u32_e32 8, v86
; %bb.246:                              ;   in Loop: Header=BB204_10 Depth=1
	v_ffbh_u32_e32 v83, v35
	v_min_u32_e32 v83, 32, v83
	v_subrev_nc_u32_e32 v86, 28, v83
	v_sub_nc_u32_e32 v83, 29, v83
	v_lshlrev_b64 v[86:87], v86, v[35:36]
	v_and_b32_e32 v35, 7, v86
; %bb.247:                              ;   in Loop: Header=BB204_10 Depth=1
	s_or_b32 exec_lo, exec_lo, s41
	v_lshlrev_b32_e32 v85, 24, v85
	v_lshlrev_b32_e32 v35, 20, v35
	v_lshl_add_u32 v83, v83, 23, 0x3c000000
	v_and_b32_e32 v85, 0x80000000, v85
	v_or3_b32 v83, v35, v85, v83
.LBB204_248:                            ;   in Loop: Header=BB204_10 Depth=1
	s_or_b32 exec_lo, exec_lo, s40
.LBB204_249:                            ;   in Loop: Header=BB204_10 Depth=1
	s_or_b32 exec_lo, exec_lo, s39
.LBB204_250:                            ;   in Loop: Header=BB204_10 Depth=1
	s_or_b32 exec_lo, exec_lo, s3
	global_load_ubyte v87, v[41:42], off offset:904
	v_mov_b32_e32 v85, 0
	v_mov_b32_e32 v86, 0
	s_mov_b32 s3, exec_lo
	s_waitcnt vmcnt(0)
	v_cmpx_ne_u16_e32 0, v87
	s_cbranch_execz .LBB204_258
; %bb.251:                              ;   in Loop: Header=BB204_10 Depth=1
	v_bfrev_b32_e32 v86, 1
	s_mov_b32 s39, exec_lo
	v_cmpx_ne_u16_e32 0x80, v87
	s_cbranch_execz .LBB204_257
; %bb.252:                              ;   in Loop: Header=BB204_10 Depth=1
	v_and_b32_sdwa v88, v87, v52 dst_sel:DWORD dst_unused:UNUSED_PAD src0_sel:WORD_0 src1_sel:DWORD
	v_mov_b32_e32 v86, 0x7f800001
	s_mov_b32 s40, exec_lo
	v_cmpx_ne_u32_e32 0x7f, v88
	s_cbranch_execz .LBB204_256
; %bb.253:                              ;   in Loop: Header=BB204_10 Depth=1
	v_and_b32_sdwa v35, v87, v53 dst_sel:DWORD dst_unused:UNUSED_PAD src0_sel:WORD_0 src1_sel:DWORD
	v_lshrrev_b32_e32 v86, 3, v88
	s_mov_b32 s41, exec_lo
	v_cmpx_gt_u32_e32 8, v88
; %bb.254:                              ;   in Loop: Header=BB204_10 Depth=1
	v_ffbh_u32_e32 v86, v35
	v_min_u32_e32 v86, 32, v86
	v_subrev_nc_u32_e32 v88, 28, v86
	v_sub_nc_u32_e32 v86, 29, v86
	v_lshlrev_b64 v[88:89], v88, v[35:36]
	v_and_b32_e32 v35, 7, v88
; %bb.255:                              ;   in Loop: Header=BB204_10 Depth=1
	s_or_b32 exec_lo, exec_lo, s41
	v_lshlrev_b32_e32 v87, 24, v87
	v_lshlrev_b32_e32 v35, 20, v35
	v_lshl_add_u32 v86, v86, 23, 0x3c000000
	v_and_b32_e32 v87, 0x80000000, v87
	v_or3_b32 v86, v35, v87, v86
.LBB204_256:                            ;   in Loop: Header=BB204_10 Depth=1
	s_or_b32 exec_lo, exec_lo, s40
.LBB204_257:                            ;   in Loop: Header=BB204_10 Depth=1
	s_or_b32 exec_lo, exec_lo, s39
.LBB204_258:                            ;   in Loop: Header=BB204_10 Depth=1
	s_or_b32 exec_lo, exec_lo, s3
	global_load_ubyte v41, v[41:42], off offset:908
	s_mov_b32 s3, exec_lo
	s_waitcnt vmcnt(0)
	v_cmpx_ne_u16_e32 0, v41
	s_cbranch_execz .LBB204_266
; %bb.259:                              ;   in Loop: Header=BB204_10 Depth=1
	v_bfrev_b32_e32 v85, 1
	s_mov_b32 s39, exec_lo
	v_cmpx_ne_u16_e32 0x80, v41
	s_cbranch_execz .LBB204_265
; %bb.260:                              ;   in Loop: Header=BB204_10 Depth=1
	v_and_b32_sdwa v87, v41, v52 dst_sel:DWORD dst_unused:UNUSED_PAD src0_sel:WORD_0 src1_sel:DWORD
	v_mov_b32_e32 v85, 0x7f800001
	s_mov_b32 s40, exec_lo
	v_cmpx_ne_u32_e32 0x7f, v87
	s_cbranch_execz .LBB204_264
; %bb.261:                              ;   in Loop: Header=BB204_10 Depth=1
	v_and_b32_sdwa v35, v41, v53 dst_sel:DWORD dst_unused:UNUSED_PAD src0_sel:WORD_0 src1_sel:DWORD
	v_lshrrev_b32_e32 v42, 3, v87
	s_mov_b32 s41, exec_lo
	v_cmpx_gt_u32_e32 8, v87
; %bb.262:                              ;   in Loop: Header=BB204_10 Depth=1
	v_ffbh_u32_e32 v42, v35
	v_min_u32_e32 v42, 32, v42
	v_subrev_nc_u32_e32 v85, 28, v42
	v_sub_nc_u32_e32 v42, 29, v42
	v_lshlrev_b64 v[87:88], v85, v[35:36]
	v_and_b32_e32 v35, 7, v87
; %bb.263:                              ;   in Loop: Header=BB204_10 Depth=1
	s_or_b32 exec_lo, exec_lo, s41
	v_lshlrev_b32_e32 v41, 24, v41
	v_lshlrev_b32_e32 v35, 20, v35
	v_lshl_add_u32 v42, v42, 23, 0x3c000000
	v_and_b32_e32 v41, 0x80000000, v41
	v_or3_b32 v85, v35, v41, v42
.LBB204_264:                            ;   in Loop: Header=BB204_10 Depth=1
	s_or_b32 exec_lo, exec_lo, s40
.LBB204_265:                            ;   in Loop: Header=BB204_10 Depth=1
	s_or_b32 exec_lo, exec_lo, s39
.LBB204_266:                            ;   in Loop: Header=BB204_10 Depth=1
	s_or_b32 exec_lo, exec_lo, s3
	s_waitcnt lgkmcnt(0)
	v_mul_f32_e32 v35, s4, v55
	v_mul_f32_e32 v41, s4, v56
	;; [unrolled: 1-line block ×4, first 2 shown]
	v_fmac_f32_e32 v35, v1, v41
	v_mul_f32_e32 v41, s4, v57
	v_fmac_f32_e32 v35, v3, v42
	v_mul_f32_e32 v42, s4, v60
	;; [unrolled: 2-line block ×29, first 2 shown]
	v_fmac_f32_e32 v35, v31, v42
	v_fmac_f32_e32 v35, v32, v41
	ds_bpermute_b32 v41, v48, v35
	s_waitcnt lgkmcnt(0)
	v_add_f32_e32 v35, v35, v41
	ds_bpermute_b32 v41, v49, v35
	s_and_saveexec_b32 s3, vcc_lo
	s_cbranch_execz .LBB204_9
; %bb.267:                              ;   in Loop: Header=BB204_10 Depth=1
	v_add_nc_u32_e32 v42, s5, v50
	s_waitcnt lgkmcnt(0)
	v_add_f32_e32 v35, v35, v41
	v_cmp_gt_i32_e64 s2, s27, v50
	v_cvt_f32_i32_e32 v42, v42
	v_mul_f32_e32 v42, s36, v42
	v_cndmask_b32_e64 v41, 0, v42, s1
	v_max_f32_e32 v42, v47, v47
	v_fmac_f32_e32 v41, s37, v35
	v_max_f32_e32 v35, v42, v41
	v_cndmask_b32_e64 v41, 0, v41, s2
	v_cndmask_b32_e64 v47, v47, v35, s2
	ds_write_b32 v51, v41
	s_branch .LBB204_9
.LBB204_268:
	s_or_b32 exec_lo, exec_lo, s16
.LBB204_269:
	s_or_b32 exec_lo, exec_lo, s38
	v_xor_b32_e32 v1, 16, v45
	v_xor_b32_e32 v3, 8, v45
	v_max_f32_e32 v5, v47, v47
	v_and_b32_e32 v25, 31, v0
	v_cmp_lt_i32_e32 vcc_lo, v1, v46
	v_cndmask_b32_e32 v1, v45, v1, vcc_lo
	v_cmp_lt_i32_e32 vcc_lo, v3, v46
	v_lshlrev_b32_e32 v2, 2, v1
	v_cndmask_b32_e32 v3, v45, v3, vcc_lo
	ds_bpermute_b32 v1, v2, v47
	v_lshlrev_b32_e32 v4, 2, v3
	s_waitcnt lgkmcnt(0)
	v_max_f32_e32 v1, v1, v1
	v_max_f32_e32 v1, v5, v1
	v_xor_b32_e32 v5, 4, v45
	ds_bpermute_b32 v3, v4, v1
	v_cmp_lt_i32_e32 vcc_lo, v5, v46
	v_cndmask_b32_e32 v5, v45, v5, vcc_lo
	v_cmp_eq_u32_e32 vcc_lo, 0, v25
	v_lshlrev_b32_e32 v7, 2, v5
	v_lshlrev_b32_e32 v5, 2, v43
	s_waitcnt lgkmcnt(0)
	v_max_f32_e32 v3, v3, v3
	v_max_f32_e32 v1, v1, v3
	ds_bpermute_b32 v3, v7, v1
	s_and_saveexec_b32 s1, vcc_lo
	s_cbranch_execz .LBB204_271
; %bb.270:
	s_waitcnt lgkmcnt(0)
	v_max_f32_e32 v3, v3, v3
	v_max_f32_e32 v1, v1, v1
	;; [unrolled: 1-line block ×3, first 2 shown]
	ds_write_b32 v5, v1 offset:512
.LBB204_271:
	s_or_b32 exec_lo, exec_lo, s1
	v_cmp_gt_u32_e64 s1, 4, v25
	v_mov_b32_e32 v1, 0xff7fffff
	v_lshlrev_b32_e32 v6, 2, v25
	s_waitcnt lgkmcnt(0)
	s_barrier
	buffer_gl0_inv
	s_and_saveexec_b32 s2, s1
; %bb.272:
	ds_read_b32 v1, v6 offset:512
; %bb.273:
	s_or_b32 exec_lo, exec_lo, s2
	v_xor_b32_e32 v3, 2, v45
	v_xor_b32_e32 v9, 1, v45
	v_cmp_lt_i32_e64 s2, v3, v46
	v_cndmask_b32_e64 v3, v45, v3, s2
	v_cmp_lt_i32_e64 s2, v9, v46
	v_lshlrev_b32_e32 v8, 2, v3
	v_cndmask_b32_e64 v9, v45, v9, s2
	s_sub_i32 s2, s11, s15
	s_lshl_b32 s2, s2, 3
	s_waitcnt lgkmcnt(0)
	ds_bpermute_b32 v3, v8, v1
	v_max_f32_e32 v1, v1, v1
	v_lshlrev_b32_e32 v26, 2, v9
	s_add_i32 s2, s2, s33
	v_mov_b32_e32 v9, 0
	s_min_i32 s2, s2, s27
	s_sub_i32 s4, s2, s33
	v_cmp_gt_i32_e64 s2, s4, v0
	s_waitcnt lgkmcnt(0)
	v_max_f32_e32 v3, v3, v3
	v_max_f32_e32 v1, v1, v3
	ds_bpermute_b32 v3, v26, v1
	s_waitcnt lgkmcnt(0)
	v_max_f32_e32 v3, v3, v3
	v_max_f32_e32 v1, v1, v3
	v_lshlrev_b32_e32 v3, 2, v36
	ds_bpermute_b32 v1, v3, v1
	v_lshl_add_u32 v3, v0, 2, 0x220
	s_and_saveexec_b32 s5, s2
	s_cbranch_execz .LBB204_277
; %bb.274:
	v_lshl_add_u32 v10, v0, 2, 0x220
	v_mov_b32_e32 v9, 0
	v_mov_b32_e32 v11, v0
	s_mov_b32 s15, 0
	.p2align	6
.LBB204_275:                            ; =>This Inner Loop Header: Depth=1
	ds_read_b32 v12, v10
	v_add_nc_u32_e32 v11, 0x80, v11
	v_cmp_le_i32_e64 s3, s4, v11
	s_or_b32 s15, s3, s15
	s_waitcnt lgkmcnt(0)
	v_sub_f32_e32 v12, v12, v1
	v_mul_f32_e32 v12, 0x3fb8aa3b, v12
	v_exp_f32_e32 v12, v12
	ds_write_b32 v10, v12
	v_add_f32_e32 v9, v9, v12
	v_add_nc_u32_e32 v10, 0x200, v10
	s_andn2_b32 exec_lo, exec_lo, s15
	s_cbranch_execnz .LBB204_275
; %bb.276:
	s_or_b32 exec_lo, exec_lo, s15
.LBB204_277:
	s_or_b32 exec_lo, exec_lo, s5
	ds_bpermute_b32 v2, v2, v9
	s_waitcnt lgkmcnt(0)
	v_add_f32_e32 v2, v9, v2
	ds_bpermute_b32 v4, v4, v2
	s_waitcnt lgkmcnt(0)
	v_add_f32_e32 v2, v2, v4
	;; [unrolled: 3-line block ×5, first 2 shown]
	s_and_saveexec_b32 s3, vcc_lo
; %bb.278:
	ds_write_b32 v5, v2 offset:528
; %bb.279:
	s_or_b32 exec_lo, exec_lo, s3
	s_waitcnt lgkmcnt(0)
	s_barrier
	buffer_gl0_inv
	s_and_saveexec_b32 s3, s1
; %bb.280:
	ds_read_b32 v2, v6 offset:528
; %bb.281:
	s_or_b32 exec_lo, exec_lo, s3
	s_waitcnt lgkmcnt(0)
	ds_bpermute_b32 v4, v8, v2
	v_lshlrev_b32_e32 v5, 2, v45
	s_waitcnt lgkmcnt(0)
	v_add_f32_e32 v2, v2, v4
	ds_bpermute_b32 v4, v26, v2
	s_waitcnt lgkmcnt(0)
	v_add_f32_e32 v2, v2, v4
	v_and_b32_e32 v4, 0xffffff80, v5
	ds_bpermute_b32 v2, v4, v2
	s_and_saveexec_b32 s1, s2
	s_cbranch_execz .LBB204_284
; %bb.282:
	s_waitcnt lgkmcnt(0)
	v_add_f32_e32 v4, 0x358637bd, v2
	s_mov_b32 s2, 0
	v_div_scale_f32 v5, null, v4, v4, 1.0
	v_div_scale_f32 v8, vcc_lo, 1.0, v4, 1.0
	v_rcp_f32_e32 v6, v5
	v_fma_f32 v7, -v5, v6, 1.0
	v_fmac_f32_e32 v6, v7, v6
	v_mul_f32_e32 v7, v8, v6
	v_fma_f32 v9, -v5, v7, v8
	v_fmac_f32_e32 v7, v9, v6
	v_fma_f32 v5, -v5, v7, v8
	v_div_fmas_f32 v5, v5, v6, v7
	v_div_fixup_f32 v4, v5, v4, 1.0
	v_mov_b32_e32 v5, v0
.LBB204_283:                            ; =>This Inner Loop Header: Depth=1
	ds_read_b32 v6, v3
	v_add_nc_u32_e32 v5, 0x80, v5
	v_cmp_le_i32_e32 vcc_lo, s4, v5
	s_or_b32 s2, vcc_lo, s2
	s_waitcnt lgkmcnt(0)
	v_mul_f32_e32 v6, v4, v6
	ds_write_b32 v3, v6
	v_add_nc_u32_e32 v3, 0x200, v3
	s_andn2_b32 exec_lo, exec_lo, s2
	s_cbranch_execnz .LBB204_283
.LBB204_284:
	s_or_b32 exec_lo, exec_lo, s1
	s_mul_i32 s1, s7, s26
	s_waitcnt lgkmcnt(0)
	s_mul_i32 s2, s1, s9
	s_mov_b32 s1, exec_lo
	s_barrier
	buffer_gl0_inv
	v_cmpx_eq_u32_e32 0, v0
	s_cbranch_execz .LBB204_286
; %bb.285:
	s_ashr_i32 s3, s2, 31
	s_mul_i32 s16, s7, s6
	s_lshl_b64 s[4:5], s[2:3], 2
	v_mov_b32_e32 v3, 0
	s_add_u32 s3, s22, s4
	s_addc_u32 s6, s23, s5
	s_ashr_i32 s17, s16, 31
	s_lshl_b64 s[16:17], s[16:17], 2
	s_add_u32 s3, s3, s16
	s_addc_u32 s6, s6, s17
	s_ashr_i32 s9, s8, 31
	s_lshl_b64 s[22:23], s[8:9], 2
	s_add_u32 s36, s3, s22
	s_addc_u32 s37, s6, s23
	s_add_u32 s3, s20, s4
	s_addc_u32 s4, s21, s5
	;; [unrolled: 2-line block ×4, first 2 shown]
	global_store_dword v3, v1, s[36:37]
	global_store_dword v3, v2, s[4:5]
.LBB204_286:
	s_or_b32 exec_lo, exec_lo, s1
	v_mov_b32_e32 v35, 0
	v_and_b32_e32 v27, 1, v0
	v_mov_b32_e32 v37, 0
	v_mov_b32_e32 v36, 0
	;; [unrolled: 1-line block ×7, first 2 shown]
	s_and_saveexec_b32 s1, s0
	s_cbranch_execz .LBB204_562
; %bb.287:
	s_load_dword s3, s[18:19], 0x0
	v_and_b32_e32 v1, 4, v44
	v_and_b32_e32 v2, 0x7c, v44
	v_lshl_add_u32 v4, v43, 3, s33
	s_ashr_i32 s0, s14, 31
	s_add_u32 s4, s34, s14
	v_lshlrev_b32_e32 v3, 4, v27
	s_addc_u32 s0, s35, s0
	v_add_co_u32 v7, s4, s4, v2
	v_add3_u32 v38, v4, v1, 3
	v_lshlrev_b64 v[1:2], 2, v[33:34]
	v_add_co_ci_u32_e64 v8, null, s0, 0, s4
	s_lshl_b64 s[4:5], s[30:31], 2
	s_add_i32 s12, s12, -1
	v_lshl_or_b32 v3, v43, 5, v3
	s_add_u32 s0, s28, s4
	s_addc_u32 s4, s29, s5
	v_add_co_u32 v9, vcc_lo, s0, v1
	v_mov_b32_e32 v6, 0
	v_add_nc_u32_e32 v34, 0x220, v3
	v_add_co_ci_u32_e64 v10, null, s4, v2, vcc_lo
	v_mov_b32_e32 v39, 0x80
	v_bfrev_b32_e32 v12, 1
	v_mov_b32_e32 v40, 0xffff
	v_mov_b32_e32 v14, 0x7f800001
	v_mov_b32_e32 v41, 0xff
	v_mov_b32_e32 v42, 7
	v_mov_b32_e32 v44, 24
	v_mov_b32_e32 v28, 0
	v_mov_b32_e32 v29, 0
	v_mov_b32_e32 v30, 0
	v_mov_b32_e32 v31, 0
	v_mov_b32_e32 v32, 0
	v_mov_b32_e32 v36, 0
	v_mov_b32_e32 v37, 0
	v_mov_b32_e32 v35, 0
	s_mov_b32 s4, s13
	s_waitcnt lgkmcnt(0)
	s_mov_b32 s6, s3
	s_mov_b32 s5, 0
	s_branch .LBB204_289
.LBB204_288:                            ;   in Loop: Header=BB204_289 Depth=1
	s_or_b32 exec_lo, exec_lo, s0
	s_waitcnt lgkmcnt(0)
	v_mul_f32_e32 v16, v1, v73
	v_mul_f32_e32 v17, v1, v71
	;; [unrolled: 1-line block ×8, first 2 shown]
	v_fmac_f32_e32 v16, v2, v72
	v_fmac_f32_e32 v17, v2, v70
	;; [unrolled: 1-line block ×16, first 2 shown]
	v_add_nc_u32_e32 v33, 4, v33
	v_fmac_f32_e32 v16, v4, v23
	v_fmac_f32_e32 v17, v4, v68
	;; [unrolled: 1-line block ×8, first 2 shown]
	v_cmp_le_i32_e32 vcc_lo, s11, v33
	v_add_co_u32 v9, s0, v9, 16
	v_add_f32_e32 v29, v29, v16
	v_add_f32_e32 v30, v30, v17
	;; [unrolled: 1-line block ×8, first 2 shown]
	v_add_nc_u32_e32 v38, 32, v38
	v_add_nc_u32_e32 v34, 0x80, v34
	v_add_co_ci_u32_e64 v10, null, 0, v10, s0
	s_or_b32 s5, vcc_lo, s5
	s_andn2_b32 exec_lo, exec_lo, s5
	s_cbranch_execz .LBB204_561
.LBB204_289:                            ; =>This Inner Loop Header: Depth=1
	global_load_dword v1, v[9:10], off
	v_mov_b32_e32 v19, 0
	v_mov_b32_e32 v17, 0
	;; [unrolled: 1-line block ×4, first 2 shown]
	s_waitcnt vmcnt(0)
	v_mad_i64_i32 v[15:16], null, v1, s4, v[7:8]
	ds_read_b128 v[1:4], v34
	global_load_dword v45, v[15:16], off
	s_waitcnt vmcnt(0)
	v_cmp_ne_u16_sdwa s9, v45, v6 src0_sel:BYTE_0 src1_sel:DWORD
	s_and_saveexec_b32 s0, s9
	s_cbranch_execz .LBB204_297
; %bb.290:                              ;   in Loop: Header=BB204_289 Depth=1
	v_bfrev_b32_e32 v17, 1
	v_mov_b32_e32 v18, 0
	v_cmp_ne_u16_sdwa s13, v45, v39 src0_sel:BYTE_0 src1_sel:DWORD
	s_and_saveexec_b32 s9, s13
	s_cbranch_execz .LBB204_296
; %bb.291:                              ;   in Loop: Header=BB204_289 Depth=1
	v_mov_b32_e32 v17, 0x7f800001
	v_and_b32_e32 v13, 0x7f, v45
	v_mov_b32_e32 v18, 0
	s_mov_b32 s13, exec_lo
	v_cmpx_ne_u32_e32 0x7f, v13
	s_cbranch_execz .LBB204_295
; %bb.292:                              ;   in Loop: Header=BB204_289 Depth=1
	v_and_b32_e32 v5, 7, v45
	v_lshrrev_b32_e32 v11, 3, v13
	s_mov_b32 s14, exec_lo
	v_cmpx_gt_u32_e32 8, v13
; %bb.293:                              ;   in Loop: Header=BB204_289 Depth=1
	v_ffbh_u32_e32 v11, v5
	v_min_u32_e32 v11, 32, v11
	v_subrev_nc_u32_e32 v13, 28, v11
	v_sub_nc_u32_e32 v11, 29, v11
	v_lshlrev_b64 v[17:18], v13, v[5:6]
	v_and_b32_e32 v5, 7, v17
; %bb.294:                              ;   in Loop: Header=BB204_289 Depth=1
	s_or_b32 exec_lo, exec_lo, s14
	v_lshlrev_b32_e32 v13, 24, v45
	v_lshlrev_b32_e32 v5, 20, v5
	v_lshl_add_u32 v11, v11, 23, 0x3c000000
	v_and_b32_e32 v13, 0x80000000, v13
	v_or3_b32 v5, v5, v13, v11
	v_mov_b32_e32 v18, v6
	v_mov_b32_e32 v17, v5
.LBB204_295:                            ;   in Loop: Header=BB204_289 Depth=1
	s_or_b32 exec_lo, exec_lo, s13
.LBB204_296:                            ;   in Loop: Header=BB204_289 Depth=1
	s_or_b32 exec_lo, exec_lo, s9
.LBB204_297:                            ;   in Loop: Header=BB204_289 Depth=1
	s_or_b32 exec_lo, exec_lo, s0
	v_cmp_ne_u16_sdwa s9, v45, v6 src0_sel:BYTE_1 src1_sel:DWORD
	s_and_saveexec_b32 s0, s9
	s_cbranch_execz .LBB204_305
; %bb.298:                              ;   in Loop: Header=BB204_289 Depth=1
	v_mov_b32_e32 v11, v6
	v_mov_b32_e32 v20, v12
	v_cmp_ne_u16_sdwa s13, v45, v39 src0_sel:BYTE_1 src1_sel:DWORD
	v_mov_b32_e32 v19, v11
	s_and_saveexec_b32 s9, s13
	s_cbranch_execz .LBB204_304
; %bb.299:                              ;   in Loop: Header=BB204_289 Depth=1
	v_and_b32_sdwa v5, v40, v45 dst_sel:DWORD dst_unused:UNUSED_PAD src0_sel:DWORD src1_sel:BYTE_1
	v_mov_b32_e32 v13, v6
	v_mov_b32_e32 v20, v14
	s_mov_b32 s13, exec_lo
	v_and_b32_e32 v21, 0x7f, v5
	v_mov_b32_e32 v19, v13
	v_cmpx_ne_u32_e32 0x7f, v21
	s_cbranch_execz .LBB204_303
; %bb.300:                              ;   in Loop: Header=BB204_289 Depth=1
	v_and_b32_e32 v5, 7, v5
	v_lshrrev_b32_e32 v11, 3, v21
	s_mov_b32 s14, exec_lo
	v_cmpx_gt_u32_e32 8, v21
; %bb.301:                              ;   in Loop: Header=BB204_289 Depth=1
	v_ffbh_u32_e32 v11, v5
	v_min_u32_e32 v11, 32, v11
	v_subrev_nc_u32_e32 v13, 28, v11
	v_sub_nc_u32_e32 v11, 29, v11
	v_lshlrev_b64 v[19:20], v13, v[5:6]
	v_and_b32_e32 v5, 7, v19
; %bb.302:                              ;   in Loop: Header=BB204_289 Depth=1
	s_or_b32 exec_lo, exec_lo, s14
	v_lshlrev_b32_e32 v13, 16, v45
	v_lshlrev_b32_e32 v5, 20, v5
	v_lshl_add_u32 v11, v11, 23, 0x3c000000
	v_mov_b32_e32 v19, v6
	v_and_b32_e32 v13, 0x80000000, v13
	v_or3_b32 v20, v5, v13, v11
.LBB204_303:                            ;   in Loop: Header=BB204_289 Depth=1
	s_or_b32 exec_lo, exec_lo, s13
.LBB204_304:                            ;   in Loop: Header=BB204_289 Depth=1
	s_or_b32 exec_lo, exec_lo, s9
.LBB204_305:                            ;   in Loop: Header=BB204_289 Depth=1
	s_or_b32 exec_lo, exec_lo, s0
	v_mov_b32_e32 v23, 0
	v_mov_b32_e32 v21, 0
	v_and_b32_sdwa v5, v45, v41 dst_sel:DWORD dst_unused:UNUSED_PAD src0_sel:WORD_1 src1_sel:DWORD
	v_mov_b32_e32 v24, 0
	v_mov_b32_e32 v22, 0
	s_mov_b32 s0, exec_lo
	v_cmpx_ne_u16_e32 0, v5
	s_cbranch_execz .LBB204_313
; %bb.306:                              ;   in Loop: Header=BB204_289 Depth=1
	v_bfrev_b32_e32 v21, 1
	v_mov_b32_e32 v22, 0
	s_mov_b32 s9, exec_lo
	v_cmpx_ne_u16_e32 0x80, v5
	s_cbranch_execz .LBB204_312
; %bb.307:                              ;   in Loop: Header=BB204_289 Depth=1
	v_mov_b32_e32 v21, 0x7f800001
	v_bfe_u32 v13, v45, 16, 7
	v_mov_b32_e32 v22, 0
	s_mov_b32 s13, exec_lo
	v_cmpx_ne_u32_e32 0x7f, v13
	s_cbranch_execz .LBB204_311
; %bb.308:                              ;   in Loop: Header=BB204_289 Depth=1
	v_and_b32_sdwa v5, v45, v42 dst_sel:DWORD dst_unused:UNUSED_PAD src0_sel:WORD_1 src1_sel:DWORD
	v_lshrrev_b32_e32 v11, 3, v13
	s_mov_b32 s14, exec_lo
	v_cmpx_gt_u32_e32 8, v13
; %bb.309:                              ;   in Loop: Header=BB204_289 Depth=1
	v_ffbh_u32_e32 v11, v5
	v_min_u32_e32 v11, 32, v11
	v_subrev_nc_u32_e32 v13, 28, v11
	v_sub_nc_u32_e32 v11, 29, v11
	v_lshlrev_b64 v[21:22], v13, v[5:6]
	v_and_b32_e32 v5, 7, v21
; %bb.310:                              ;   in Loop: Header=BB204_289 Depth=1
	s_or_b32 exec_lo, exec_lo, s14
	v_lshlrev_b32_sdwa v13, v44, v45 dst_sel:DWORD dst_unused:UNUSED_PAD src0_sel:DWORD src1_sel:WORD_1
	v_lshlrev_b32_e32 v5, 20, v5
	v_lshl_add_u32 v11, v11, 23, 0x3c000000
	v_and_b32_e32 v13, 0x80000000, v13
	v_or3_b32 v5, v5, v13, v11
	v_mov_b32_e32 v22, v6
	v_mov_b32_e32 v21, v5
.LBB204_311:                            ;   in Loop: Header=BB204_289 Depth=1
	s_or_b32 exec_lo, exec_lo, s13
.LBB204_312:                            ;   in Loop: Header=BB204_289 Depth=1
	s_or_b32 exec_lo, exec_lo, s9
.LBB204_313:                            ;   in Loop: Header=BB204_289 Depth=1
	s_or_b32 exec_lo, exec_lo, s0
	s_mov_b32 s0, exec_lo
	v_cmpx_lt_u32_e32 0xffffff, v45
	s_cbranch_execz .LBB204_321
; %bb.314:                              ;   in Loop: Header=BB204_289 Depth=1
	v_mov_b32_e32 v11, v6
	v_mov_b32_e32 v24, v12
	v_cmp_ne_u32_sdwa s13, v45, v39 src0_sel:BYTE_3 src1_sel:DWORD
	v_mov_b32_e32 v23, v11
	s_and_saveexec_b32 s9, s13
	s_cbranch_execz .LBB204_320
; %bb.315:                              ;   in Loop: Header=BB204_289 Depth=1
	v_mov_b32_e32 v13, v6
	v_mov_b32_e32 v24, v14
	v_bfe_u32 v46, v45, 24, 7
	s_mov_b32 s13, exec_lo
	v_mov_b32_e32 v23, v13
	v_cmpx_ne_u32_e32 0x7f, v46
	s_cbranch_execz .LBB204_319
; %bb.316:                              ;   in Loop: Header=BB204_289 Depth=1
	v_and_b32_sdwa v5, v45, v42 dst_sel:DWORD dst_unused:UNUSED_PAD src0_sel:BYTE_3 src1_sel:DWORD
	v_lshrrev_b32_e32 v11, 3, v46
	s_mov_b32 s14, exec_lo
	v_cmpx_gt_u32_e32 8, v46
; %bb.317:                              ;   in Loop: Header=BB204_289 Depth=1
	v_ffbh_u32_e32 v11, v5
	v_min_u32_e32 v11, 32, v11
	v_subrev_nc_u32_e32 v13, 28, v11
	v_sub_nc_u32_e32 v11, 29, v11
	v_lshlrev_b64 v[23:24], v13, v[5:6]
	v_and_b32_e32 v5, 7, v23
; %bb.318:                              ;   in Loop: Header=BB204_289 Depth=1
	s_or_b32 exec_lo, exec_lo, s14
	v_lshlrev_b32_sdwa v13, v44, v45 dst_sel:DWORD dst_unused:UNUSED_PAD src0_sel:DWORD src1_sel:BYTE_3
	v_lshlrev_b32_e32 v5, 20, v5
	v_lshl_add_u32 v11, v11, 23, 0x3c000000
	v_mov_b32_e32 v23, v6
	v_and_b32_e32 v13, 0x80000000, v13
	v_or3_b32 v24, v5, v13, v11
.LBB204_319:                            ;   in Loop: Header=BB204_289 Depth=1
	s_or_b32 exec_lo, exec_lo, s13
.LBB204_320:                            ;   in Loop: Header=BB204_289 Depth=1
	s_or_b32 exec_lo, exec_lo, s9
.LBB204_321:                            ;   in Loop: Header=BB204_289 Depth=1
	s_or_b32 exec_lo, exec_lo, s0
	v_or_b32_e32 v5, v20, v18
	v_or_b32_e32 v11, v19, v17
	;; [unrolled: 1-line block ×4, first 2 shown]
	v_add_nc_u32_e32 v49, -3, v38
	v_cmp_eq_u32_e32 vcc_lo, s12, v33
	v_mul_f32_e32 v47, s6, v5
	v_mul_f32_e32 v48, s3, v11
	;; [unrolled: 1-line block ×4, first 2 shown]
	v_add_nc_u32_e32 v51, -2, v38
	v_add_nc_u32_e32 v50, -1, v38
	s_and_saveexec_b32 s9, vcc_lo
	s_cbranch_execz .LBB204_323
; %bb.322:                              ;   in Loop: Header=BB204_289 Depth=1
	v_cmp_gt_i32_e64 s0, s27, v49
	v_cndmask_b32_e64 v48, 0, v48, s0
	v_cmp_gt_i32_e64 s0, s27, v51
	v_cndmask_b32_e64 v47, 0, v47, s0
	;; [unrolled: 2-line block ×4, first 2 shown]
.LBB204_323:                            ;   in Loop: Header=BB204_289 Depth=1
	s_or_b32 exec_lo, exec_lo, s9
	global_load_dword v52, v[15:16], off offset:128
	v_mov_b32_e32 v19, 0
	v_mov_b32_e32 v17, 0
	;; [unrolled: 1-line block ×4, first 2 shown]
	s_waitcnt vmcnt(0)
	v_cmp_ne_u16_sdwa s0, v52, v6 src0_sel:BYTE_0 src1_sel:DWORD
	s_and_saveexec_b32 s9, s0
	s_cbranch_execz .LBB204_331
; %bb.324:                              ;   in Loop: Header=BB204_289 Depth=1
	v_bfrev_b32_e32 v17, 1
	v_mov_b32_e32 v18, 0
	v_cmp_ne_u16_sdwa s0, v52, v39 src0_sel:BYTE_0 src1_sel:DWORD
	s_and_saveexec_b32 s13, s0
	s_cbranch_execz .LBB204_330
; %bb.325:                              ;   in Loop: Header=BB204_289 Depth=1
	v_mov_b32_e32 v17, 0x7f800001
	v_and_b32_e32 v13, 0x7f, v52
	v_mov_b32_e32 v18, 0
	s_mov_b32 s14, exec_lo
	v_cmpx_ne_u32_e32 0x7f, v13
	s_cbranch_execz .LBB204_329
; %bb.326:                              ;   in Loop: Header=BB204_289 Depth=1
	v_and_b32_e32 v5, 7, v52
	v_lshrrev_b32_e32 v11, 3, v13
	s_mov_b32 s15, exec_lo
	v_cmpx_gt_u32_e32 8, v13
; %bb.327:                              ;   in Loop: Header=BB204_289 Depth=1
	v_ffbh_u32_e32 v11, v5
	v_min_u32_e32 v11, 32, v11
	v_subrev_nc_u32_e32 v13, 28, v11
	v_sub_nc_u32_e32 v11, 29, v11
	v_lshlrev_b64 v[17:18], v13, v[5:6]
	v_and_b32_e32 v5, 7, v17
; %bb.328:                              ;   in Loop: Header=BB204_289 Depth=1
	s_or_b32 exec_lo, exec_lo, s15
	v_lshlrev_b32_e32 v13, 24, v52
	v_lshlrev_b32_e32 v5, 20, v5
	v_lshl_add_u32 v11, v11, 23, 0x3c000000
	v_and_b32_e32 v13, 0x80000000, v13
	v_or3_b32 v5, v5, v13, v11
	v_mov_b32_e32 v18, v6
	v_mov_b32_e32 v17, v5
.LBB204_329:                            ;   in Loop: Header=BB204_289 Depth=1
	s_or_b32 exec_lo, exec_lo, s14
.LBB204_330:                            ;   in Loop: Header=BB204_289 Depth=1
	s_or_b32 exec_lo, exec_lo, s13
.LBB204_331:                            ;   in Loop: Header=BB204_289 Depth=1
	s_or_b32 exec_lo, exec_lo, s9
	v_cmp_ne_u16_sdwa s0, v52, v6 src0_sel:BYTE_1 src1_sel:DWORD
	s_and_saveexec_b32 s9, s0
	s_cbranch_execz .LBB204_339
; %bb.332:                              ;   in Loop: Header=BB204_289 Depth=1
	v_mov_b32_e32 v11, v6
	v_mov_b32_e32 v20, v12
	v_cmp_ne_u16_sdwa s0, v52, v39 src0_sel:BYTE_1 src1_sel:DWORD
	v_mov_b32_e32 v19, v11
	s_and_saveexec_b32 s13, s0
	s_cbranch_execz .LBB204_338
; %bb.333:                              ;   in Loop: Header=BB204_289 Depth=1
	v_and_b32_sdwa v5, v40, v52 dst_sel:DWORD dst_unused:UNUSED_PAD src0_sel:DWORD src1_sel:BYTE_1
	v_mov_b32_e32 v13, v6
	v_mov_b32_e32 v20, v14
	s_mov_b32 s14, exec_lo
	v_and_b32_e32 v21, 0x7f, v5
	v_mov_b32_e32 v19, v13
	v_cmpx_ne_u32_e32 0x7f, v21
	s_cbranch_execz .LBB204_337
; %bb.334:                              ;   in Loop: Header=BB204_289 Depth=1
	v_and_b32_e32 v5, 7, v5
	v_lshrrev_b32_e32 v11, 3, v21
	s_mov_b32 s15, exec_lo
	v_cmpx_gt_u32_e32 8, v21
; %bb.335:                              ;   in Loop: Header=BB204_289 Depth=1
	v_ffbh_u32_e32 v11, v5
	v_min_u32_e32 v11, 32, v11
	v_subrev_nc_u32_e32 v13, 28, v11
	v_sub_nc_u32_e32 v11, 29, v11
	v_lshlrev_b64 v[19:20], v13, v[5:6]
	v_and_b32_e32 v5, 7, v19
; %bb.336:                              ;   in Loop: Header=BB204_289 Depth=1
	s_or_b32 exec_lo, exec_lo, s15
	v_lshlrev_b32_e32 v13, 16, v52
	v_lshlrev_b32_e32 v5, 20, v5
	v_lshl_add_u32 v11, v11, 23, 0x3c000000
	v_mov_b32_e32 v19, v6
	v_and_b32_e32 v13, 0x80000000, v13
	v_or3_b32 v20, v5, v13, v11
.LBB204_337:                            ;   in Loop: Header=BB204_289 Depth=1
	s_or_b32 exec_lo, exec_lo, s14
.LBB204_338:                            ;   in Loop: Header=BB204_289 Depth=1
	s_or_b32 exec_lo, exec_lo, s13
.LBB204_339:                            ;   in Loop: Header=BB204_289 Depth=1
	s_or_b32 exec_lo, exec_lo, s9
	v_mov_b32_e32 v23, 0
	v_mov_b32_e32 v21, 0
	v_and_b32_sdwa v5, v52, v41 dst_sel:DWORD dst_unused:UNUSED_PAD src0_sel:WORD_1 src1_sel:DWORD
	v_mov_b32_e32 v24, 0
	v_mov_b32_e32 v22, 0
	s_mov_b32 s9, exec_lo
	v_cmpx_ne_u16_e32 0, v5
	s_cbranch_execz .LBB204_347
; %bb.340:                              ;   in Loop: Header=BB204_289 Depth=1
	v_bfrev_b32_e32 v21, 1
	v_mov_b32_e32 v22, 0
	s_mov_b32 s13, exec_lo
	v_cmpx_ne_u16_e32 0x80, v5
	s_cbranch_execz .LBB204_346
; %bb.341:                              ;   in Loop: Header=BB204_289 Depth=1
	v_mov_b32_e32 v21, 0x7f800001
	v_bfe_u32 v13, v52, 16, 7
	v_mov_b32_e32 v22, 0
	s_mov_b32 s14, exec_lo
	v_cmpx_ne_u32_e32 0x7f, v13
	s_cbranch_execz .LBB204_345
; %bb.342:                              ;   in Loop: Header=BB204_289 Depth=1
	v_and_b32_sdwa v5, v52, v42 dst_sel:DWORD dst_unused:UNUSED_PAD src0_sel:WORD_1 src1_sel:DWORD
	v_lshrrev_b32_e32 v11, 3, v13
	s_mov_b32 s15, exec_lo
	v_cmpx_gt_u32_e32 8, v13
; %bb.343:                              ;   in Loop: Header=BB204_289 Depth=1
	v_ffbh_u32_e32 v11, v5
	v_min_u32_e32 v11, 32, v11
	v_subrev_nc_u32_e32 v13, 28, v11
	v_sub_nc_u32_e32 v11, 29, v11
	v_lshlrev_b64 v[21:22], v13, v[5:6]
	v_and_b32_e32 v5, 7, v21
; %bb.344:                              ;   in Loop: Header=BB204_289 Depth=1
	s_or_b32 exec_lo, exec_lo, s15
	v_lshlrev_b32_sdwa v13, v44, v52 dst_sel:DWORD dst_unused:UNUSED_PAD src0_sel:DWORD src1_sel:WORD_1
	v_lshlrev_b32_e32 v5, 20, v5
	v_lshl_add_u32 v11, v11, 23, 0x3c000000
	v_and_b32_e32 v13, 0x80000000, v13
	v_or3_b32 v5, v5, v13, v11
	v_mov_b32_e32 v22, v6
	v_mov_b32_e32 v21, v5
.LBB204_345:                            ;   in Loop: Header=BB204_289 Depth=1
	s_or_b32 exec_lo, exec_lo, s14
.LBB204_346:                            ;   in Loop: Header=BB204_289 Depth=1
	s_or_b32 exec_lo, exec_lo, s13
.LBB204_347:                            ;   in Loop: Header=BB204_289 Depth=1
	s_or_b32 exec_lo, exec_lo, s9
	s_mov_b32 s9, exec_lo
	v_cmpx_lt_u32_e32 0xffffff, v52
	s_cbranch_execz .LBB204_355
; %bb.348:                              ;   in Loop: Header=BB204_289 Depth=1
	v_mov_b32_e32 v11, v6
	v_mov_b32_e32 v24, v12
	v_cmp_ne_u32_sdwa s0, v52, v39 src0_sel:BYTE_3 src1_sel:DWORD
	v_mov_b32_e32 v23, v11
	s_and_saveexec_b32 s13, s0
	s_cbranch_execz .LBB204_354
; %bb.349:                              ;   in Loop: Header=BB204_289 Depth=1
	v_mov_b32_e32 v13, v6
	v_mov_b32_e32 v24, v14
	v_bfe_u32 v53, v52, 24, 7
	s_mov_b32 s14, exec_lo
	v_mov_b32_e32 v23, v13
	v_cmpx_ne_u32_e32 0x7f, v53
	s_cbranch_execz .LBB204_353
; %bb.350:                              ;   in Loop: Header=BB204_289 Depth=1
	v_and_b32_sdwa v5, v52, v42 dst_sel:DWORD dst_unused:UNUSED_PAD src0_sel:BYTE_3 src1_sel:DWORD
	v_lshrrev_b32_e32 v11, 3, v53
	s_mov_b32 s15, exec_lo
	v_cmpx_gt_u32_e32 8, v53
; %bb.351:                              ;   in Loop: Header=BB204_289 Depth=1
	v_ffbh_u32_e32 v11, v5
	v_min_u32_e32 v11, 32, v11
	v_subrev_nc_u32_e32 v13, 28, v11
	v_sub_nc_u32_e32 v11, 29, v11
	v_lshlrev_b64 v[23:24], v13, v[5:6]
	v_and_b32_e32 v5, 7, v23
; %bb.352:                              ;   in Loop: Header=BB204_289 Depth=1
	s_or_b32 exec_lo, exec_lo, s15
	v_lshlrev_b32_sdwa v13, v44, v52 dst_sel:DWORD dst_unused:UNUSED_PAD src0_sel:DWORD src1_sel:BYTE_3
	v_lshlrev_b32_e32 v5, 20, v5
	v_lshl_add_u32 v11, v11, 23, 0x3c000000
	v_mov_b32_e32 v23, v6
	v_and_b32_e32 v13, 0x80000000, v13
	v_or3_b32 v24, v5, v13, v11
.LBB204_353:                            ;   in Loop: Header=BB204_289 Depth=1
	s_or_b32 exec_lo, exec_lo, s14
.LBB204_354:                            ;   in Loop: Header=BB204_289 Depth=1
	s_or_b32 exec_lo, exec_lo, s13
.LBB204_355:                            ;   in Loop: Header=BB204_289 Depth=1
	s_or_b32 exec_lo, exec_lo, s9
	v_or_b32_e32 v5, v20, v18
	v_or_b32_e32 v11, v19, v17
	;; [unrolled: 1-line block ×4, first 2 shown]
	v_mul_f32_e32 v54, s6, v5
	v_mul_f32_e32 v55, s3, v11
	;; [unrolled: 1-line block ×4, first 2 shown]
	s_and_saveexec_b32 s9, vcc_lo
	s_cbranch_execz .LBB204_357
; %bb.356:                              ;   in Loop: Header=BB204_289 Depth=1
	v_cmp_gt_i32_e64 s0, s27, v49
	v_cndmask_b32_e64 v55, 0, v55, s0
	v_cmp_gt_i32_e64 s0, s27, v51
	v_cndmask_b32_e64 v54, 0, v54, s0
	;; [unrolled: 2-line block ×4, first 2 shown]
.LBB204_357:                            ;   in Loop: Header=BB204_289 Depth=1
	s_or_b32 exec_lo, exec_lo, s9
	global_load_dword v56, v[15:16], off offset:256
	v_mov_b32_e32 v19, 0
	v_mov_b32_e32 v17, 0
	;; [unrolled: 1-line block ×4, first 2 shown]
	s_waitcnt vmcnt(0)
	v_cmp_ne_u16_sdwa s0, v56, v6 src0_sel:BYTE_0 src1_sel:DWORD
	s_and_saveexec_b32 s9, s0
	s_cbranch_execz .LBB204_365
; %bb.358:                              ;   in Loop: Header=BB204_289 Depth=1
	v_bfrev_b32_e32 v17, 1
	v_mov_b32_e32 v18, 0
	v_cmp_ne_u16_sdwa s0, v56, v39 src0_sel:BYTE_0 src1_sel:DWORD
	s_and_saveexec_b32 s13, s0
	s_cbranch_execz .LBB204_364
; %bb.359:                              ;   in Loop: Header=BB204_289 Depth=1
	v_mov_b32_e32 v17, 0x7f800001
	v_and_b32_e32 v13, 0x7f, v56
	v_mov_b32_e32 v18, 0
	s_mov_b32 s14, exec_lo
	v_cmpx_ne_u32_e32 0x7f, v13
	s_cbranch_execz .LBB204_363
; %bb.360:                              ;   in Loop: Header=BB204_289 Depth=1
	v_and_b32_e32 v5, 7, v56
	v_lshrrev_b32_e32 v11, 3, v13
	s_mov_b32 s15, exec_lo
	v_cmpx_gt_u32_e32 8, v13
; %bb.361:                              ;   in Loop: Header=BB204_289 Depth=1
	v_ffbh_u32_e32 v11, v5
	v_min_u32_e32 v11, 32, v11
	v_subrev_nc_u32_e32 v13, 28, v11
	v_sub_nc_u32_e32 v11, 29, v11
	v_lshlrev_b64 v[17:18], v13, v[5:6]
	v_and_b32_e32 v5, 7, v17
; %bb.362:                              ;   in Loop: Header=BB204_289 Depth=1
	s_or_b32 exec_lo, exec_lo, s15
	v_lshlrev_b32_e32 v13, 24, v56
	v_lshlrev_b32_e32 v5, 20, v5
	v_lshl_add_u32 v11, v11, 23, 0x3c000000
	v_and_b32_e32 v13, 0x80000000, v13
	v_or3_b32 v5, v5, v13, v11
	v_mov_b32_e32 v18, v6
	v_mov_b32_e32 v17, v5
.LBB204_363:                            ;   in Loop: Header=BB204_289 Depth=1
	s_or_b32 exec_lo, exec_lo, s14
.LBB204_364:                            ;   in Loop: Header=BB204_289 Depth=1
	s_or_b32 exec_lo, exec_lo, s13
.LBB204_365:                            ;   in Loop: Header=BB204_289 Depth=1
	s_or_b32 exec_lo, exec_lo, s9
	v_cmp_ne_u16_sdwa s0, v56, v6 src0_sel:BYTE_1 src1_sel:DWORD
	s_and_saveexec_b32 s9, s0
	s_cbranch_execz .LBB204_373
; %bb.366:                              ;   in Loop: Header=BB204_289 Depth=1
	v_mov_b32_e32 v11, v6
	v_mov_b32_e32 v20, v12
	v_cmp_ne_u16_sdwa s0, v56, v39 src0_sel:BYTE_1 src1_sel:DWORD
	v_mov_b32_e32 v19, v11
	s_and_saveexec_b32 s13, s0
	s_cbranch_execz .LBB204_372
; %bb.367:                              ;   in Loop: Header=BB204_289 Depth=1
	v_and_b32_sdwa v5, v40, v56 dst_sel:DWORD dst_unused:UNUSED_PAD src0_sel:DWORD src1_sel:BYTE_1
	v_mov_b32_e32 v13, v6
	v_mov_b32_e32 v20, v14
	s_mov_b32 s14, exec_lo
	v_and_b32_e32 v21, 0x7f, v5
	v_mov_b32_e32 v19, v13
	v_cmpx_ne_u32_e32 0x7f, v21
	s_cbranch_execz .LBB204_371
; %bb.368:                              ;   in Loop: Header=BB204_289 Depth=1
	v_and_b32_e32 v5, 7, v5
	v_lshrrev_b32_e32 v11, 3, v21
	s_mov_b32 s15, exec_lo
	v_cmpx_gt_u32_e32 8, v21
; %bb.369:                              ;   in Loop: Header=BB204_289 Depth=1
	v_ffbh_u32_e32 v11, v5
	v_min_u32_e32 v11, 32, v11
	v_subrev_nc_u32_e32 v13, 28, v11
	v_sub_nc_u32_e32 v11, 29, v11
	v_lshlrev_b64 v[19:20], v13, v[5:6]
	v_and_b32_e32 v5, 7, v19
; %bb.370:                              ;   in Loop: Header=BB204_289 Depth=1
	s_or_b32 exec_lo, exec_lo, s15
	v_lshlrev_b32_e32 v13, 16, v56
	v_lshlrev_b32_e32 v5, 20, v5
	v_lshl_add_u32 v11, v11, 23, 0x3c000000
	v_mov_b32_e32 v19, v6
	v_and_b32_e32 v13, 0x80000000, v13
	v_or3_b32 v20, v5, v13, v11
.LBB204_371:                            ;   in Loop: Header=BB204_289 Depth=1
	s_or_b32 exec_lo, exec_lo, s14
.LBB204_372:                            ;   in Loop: Header=BB204_289 Depth=1
	s_or_b32 exec_lo, exec_lo, s13
.LBB204_373:                            ;   in Loop: Header=BB204_289 Depth=1
	s_or_b32 exec_lo, exec_lo, s9
	v_mov_b32_e32 v23, 0
	v_mov_b32_e32 v21, 0
	v_and_b32_sdwa v5, v56, v41 dst_sel:DWORD dst_unused:UNUSED_PAD src0_sel:WORD_1 src1_sel:DWORD
	v_mov_b32_e32 v24, 0
	v_mov_b32_e32 v22, 0
	s_mov_b32 s9, exec_lo
	v_cmpx_ne_u16_e32 0, v5
	s_cbranch_execz .LBB204_381
; %bb.374:                              ;   in Loop: Header=BB204_289 Depth=1
	v_bfrev_b32_e32 v21, 1
	v_mov_b32_e32 v22, 0
	s_mov_b32 s13, exec_lo
	v_cmpx_ne_u16_e32 0x80, v5
	s_cbranch_execz .LBB204_380
; %bb.375:                              ;   in Loop: Header=BB204_289 Depth=1
	v_mov_b32_e32 v21, 0x7f800001
	v_bfe_u32 v13, v56, 16, 7
	v_mov_b32_e32 v22, 0
	s_mov_b32 s14, exec_lo
	v_cmpx_ne_u32_e32 0x7f, v13
	s_cbranch_execz .LBB204_379
; %bb.376:                              ;   in Loop: Header=BB204_289 Depth=1
	v_and_b32_sdwa v5, v56, v42 dst_sel:DWORD dst_unused:UNUSED_PAD src0_sel:WORD_1 src1_sel:DWORD
	v_lshrrev_b32_e32 v11, 3, v13
	s_mov_b32 s15, exec_lo
	v_cmpx_gt_u32_e32 8, v13
; %bb.377:                              ;   in Loop: Header=BB204_289 Depth=1
	v_ffbh_u32_e32 v11, v5
	v_min_u32_e32 v11, 32, v11
	v_subrev_nc_u32_e32 v13, 28, v11
	v_sub_nc_u32_e32 v11, 29, v11
	v_lshlrev_b64 v[21:22], v13, v[5:6]
	v_and_b32_e32 v5, 7, v21
; %bb.378:                              ;   in Loop: Header=BB204_289 Depth=1
	s_or_b32 exec_lo, exec_lo, s15
	v_lshlrev_b32_sdwa v13, v44, v56 dst_sel:DWORD dst_unused:UNUSED_PAD src0_sel:DWORD src1_sel:WORD_1
	v_lshlrev_b32_e32 v5, 20, v5
	v_lshl_add_u32 v11, v11, 23, 0x3c000000
	v_and_b32_e32 v13, 0x80000000, v13
	v_or3_b32 v5, v5, v13, v11
	v_mov_b32_e32 v22, v6
	v_mov_b32_e32 v21, v5
.LBB204_379:                            ;   in Loop: Header=BB204_289 Depth=1
	s_or_b32 exec_lo, exec_lo, s14
.LBB204_380:                            ;   in Loop: Header=BB204_289 Depth=1
	s_or_b32 exec_lo, exec_lo, s13
.LBB204_381:                            ;   in Loop: Header=BB204_289 Depth=1
	s_or_b32 exec_lo, exec_lo, s9
	s_mov_b32 s9, exec_lo
	v_cmpx_lt_u32_e32 0xffffff, v56
	s_cbranch_execz .LBB204_389
; %bb.382:                              ;   in Loop: Header=BB204_289 Depth=1
	v_mov_b32_e32 v11, v6
	v_mov_b32_e32 v24, v12
	v_cmp_ne_u32_sdwa s0, v56, v39 src0_sel:BYTE_3 src1_sel:DWORD
	v_mov_b32_e32 v23, v11
	s_and_saveexec_b32 s13, s0
	s_cbranch_execz .LBB204_388
; %bb.383:                              ;   in Loop: Header=BB204_289 Depth=1
	v_mov_b32_e32 v13, v6
	v_mov_b32_e32 v24, v14
	v_bfe_u32 v57, v56, 24, 7
	s_mov_b32 s14, exec_lo
	v_mov_b32_e32 v23, v13
	v_cmpx_ne_u32_e32 0x7f, v57
	s_cbranch_execz .LBB204_387
; %bb.384:                              ;   in Loop: Header=BB204_289 Depth=1
	v_and_b32_sdwa v5, v56, v42 dst_sel:DWORD dst_unused:UNUSED_PAD src0_sel:BYTE_3 src1_sel:DWORD
	v_lshrrev_b32_e32 v11, 3, v57
	s_mov_b32 s15, exec_lo
	v_cmpx_gt_u32_e32 8, v57
; %bb.385:                              ;   in Loop: Header=BB204_289 Depth=1
	v_ffbh_u32_e32 v11, v5
	v_min_u32_e32 v11, 32, v11
	v_subrev_nc_u32_e32 v13, 28, v11
	v_sub_nc_u32_e32 v11, 29, v11
	v_lshlrev_b64 v[23:24], v13, v[5:6]
	v_and_b32_e32 v5, 7, v23
; %bb.386:                              ;   in Loop: Header=BB204_289 Depth=1
	s_or_b32 exec_lo, exec_lo, s15
	v_lshlrev_b32_sdwa v13, v44, v56 dst_sel:DWORD dst_unused:UNUSED_PAD src0_sel:DWORD src1_sel:BYTE_3
	v_lshlrev_b32_e32 v5, 20, v5
	v_lshl_add_u32 v11, v11, 23, 0x3c000000
	v_mov_b32_e32 v23, v6
	v_and_b32_e32 v13, 0x80000000, v13
	v_or3_b32 v24, v5, v13, v11
.LBB204_387:                            ;   in Loop: Header=BB204_289 Depth=1
	s_or_b32 exec_lo, exec_lo, s14
.LBB204_388:                            ;   in Loop: Header=BB204_289 Depth=1
	s_or_b32 exec_lo, exec_lo, s13
.LBB204_389:                            ;   in Loop: Header=BB204_289 Depth=1
	s_or_b32 exec_lo, exec_lo, s9
	v_or_b32_e32 v5, v20, v18
	v_or_b32_e32 v11, v19, v17
	;; [unrolled: 1-line block ×4, first 2 shown]
	v_mul_f32_e32 v58, s6, v5
	v_mul_f32_e32 v59, s3, v11
	;; [unrolled: 1-line block ×4, first 2 shown]
	s_and_saveexec_b32 s9, vcc_lo
	s_cbranch_execz .LBB204_391
; %bb.390:                              ;   in Loop: Header=BB204_289 Depth=1
	v_cmp_gt_i32_e64 s0, s27, v49
	v_cndmask_b32_e64 v59, 0, v59, s0
	v_cmp_gt_i32_e64 s0, s27, v51
	v_cndmask_b32_e64 v58, 0, v58, s0
	;; [unrolled: 2-line block ×4, first 2 shown]
.LBB204_391:                            ;   in Loop: Header=BB204_289 Depth=1
	s_or_b32 exec_lo, exec_lo, s9
	global_load_dword v60, v[15:16], off offset:384
	v_mov_b32_e32 v19, 0
	v_mov_b32_e32 v17, 0
	;; [unrolled: 1-line block ×4, first 2 shown]
	s_waitcnt vmcnt(0)
	v_cmp_ne_u16_sdwa s0, v60, v6 src0_sel:BYTE_0 src1_sel:DWORD
	s_and_saveexec_b32 s9, s0
	s_cbranch_execz .LBB204_399
; %bb.392:                              ;   in Loop: Header=BB204_289 Depth=1
	v_bfrev_b32_e32 v17, 1
	v_mov_b32_e32 v18, 0
	v_cmp_ne_u16_sdwa s0, v60, v39 src0_sel:BYTE_0 src1_sel:DWORD
	s_and_saveexec_b32 s13, s0
	s_cbranch_execz .LBB204_398
; %bb.393:                              ;   in Loop: Header=BB204_289 Depth=1
	v_mov_b32_e32 v17, 0x7f800001
	v_and_b32_e32 v13, 0x7f, v60
	v_mov_b32_e32 v18, 0
	s_mov_b32 s14, exec_lo
	v_cmpx_ne_u32_e32 0x7f, v13
	s_cbranch_execz .LBB204_397
; %bb.394:                              ;   in Loop: Header=BB204_289 Depth=1
	v_and_b32_e32 v5, 7, v60
	v_lshrrev_b32_e32 v11, 3, v13
	s_mov_b32 s15, exec_lo
	v_cmpx_gt_u32_e32 8, v13
; %bb.395:                              ;   in Loop: Header=BB204_289 Depth=1
	v_ffbh_u32_e32 v11, v5
	v_min_u32_e32 v11, 32, v11
	v_subrev_nc_u32_e32 v13, 28, v11
	v_sub_nc_u32_e32 v11, 29, v11
	v_lshlrev_b64 v[17:18], v13, v[5:6]
	v_and_b32_e32 v5, 7, v17
; %bb.396:                              ;   in Loop: Header=BB204_289 Depth=1
	s_or_b32 exec_lo, exec_lo, s15
	v_lshlrev_b32_e32 v13, 24, v60
	v_lshlrev_b32_e32 v5, 20, v5
	v_lshl_add_u32 v11, v11, 23, 0x3c000000
	v_and_b32_e32 v13, 0x80000000, v13
	v_or3_b32 v5, v5, v13, v11
	v_mov_b32_e32 v18, v6
	v_mov_b32_e32 v17, v5
.LBB204_397:                            ;   in Loop: Header=BB204_289 Depth=1
	s_or_b32 exec_lo, exec_lo, s14
.LBB204_398:                            ;   in Loop: Header=BB204_289 Depth=1
	s_or_b32 exec_lo, exec_lo, s13
.LBB204_399:                            ;   in Loop: Header=BB204_289 Depth=1
	s_or_b32 exec_lo, exec_lo, s9
	v_cmp_ne_u16_sdwa s0, v60, v6 src0_sel:BYTE_1 src1_sel:DWORD
	s_and_saveexec_b32 s9, s0
	s_cbranch_execz .LBB204_407
; %bb.400:                              ;   in Loop: Header=BB204_289 Depth=1
	v_mov_b32_e32 v11, v6
	v_mov_b32_e32 v20, v12
	v_cmp_ne_u16_sdwa s0, v60, v39 src0_sel:BYTE_1 src1_sel:DWORD
	v_mov_b32_e32 v19, v11
	s_and_saveexec_b32 s13, s0
	s_cbranch_execz .LBB204_406
; %bb.401:                              ;   in Loop: Header=BB204_289 Depth=1
	v_and_b32_sdwa v5, v40, v60 dst_sel:DWORD dst_unused:UNUSED_PAD src0_sel:DWORD src1_sel:BYTE_1
	v_mov_b32_e32 v13, v6
	v_mov_b32_e32 v20, v14
	s_mov_b32 s14, exec_lo
	v_and_b32_e32 v21, 0x7f, v5
	v_mov_b32_e32 v19, v13
	v_cmpx_ne_u32_e32 0x7f, v21
	s_cbranch_execz .LBB204_405
; %bb.402:                              ;   in Loop: Header=BB204_289 Depth=1
	v_and_b32_e32 v5, 7, v5
	v_lshrrev_b32_e32 v11, 3, v21
	s_mov_b32 s15, exec_lo
	v_cmpx_gt_u32_e32 8, v21
; %bb.403:                              ;   in Loop: Header=BB204_289 Depth=1
	v_ffbh_u32_e32 v11, v5
	v_min_u32_e32 v11, 32, v11
	v_subrev_nc_u32_e32 v13, 28, v11
	v_sub_nc_u32_e32 v11, 29, v11
	v_lshlrev_b64 v[19:20], v13, v[5:6]
	v_and_b32_e32 v5, 7, v19
; %bb.404:                              ;   in Loop: Header=BB204_289 Depth=1
	s_or_b32 exec_lo, exec_lo, s15
	v_lshlrev_b32_e32 v13, 16, v60
	v_lshlrev_b32_e32 v5, 20, v5
	v_lshl_add_u32 v11, v11, 23, 0x3c000000
	v_mov_b32_e32 v19, v6
	v_and_b32_e32 v13, 0x80000000, v13
	v_or3_b32 v20, v5, v13, v11
.LBB204_405:                            ;   in Loop: Header=BB204_289 Depth=1
	s_or_b32 exec_lo, exec_lo, s14
.LBB204_406:                            ;   in Loop: Header=BB204_289 Depth=1
	s_or_b32 exec_lo, exec_lo, s13
.LBB204_407:                            ;   in Loop: Header=BB204_289 Depth=1
	s_or_b32 exec_lo, exec_lo, s9
	v_mov_b32_e32 v23, 0
	v_mov_b32_e32 v21, 0
	v_and_b32_sdwa v5, v60, v41 dst_sel:DWORD dst_unused:UNUSED_PAD src0_sel:WORD_1 src1_sel:DWORD
	v_mov_b32_e32 v24, 0
	v_mov_b32_e32 v22, 0
	s_mov_b32 s9, exec_lo
	v_cmpx_ne_u16_e32 0, v5
	s_cbranch_execz .LBB204_415
; %bb.408:                              ;   in Loop: Header=BB204_289 Depth=1
	v_bfrev_b32_e32 v21, 1
	v_mov_b32_e32 v22, 0
	s_mov_b32 s13, exec_lo
	v_cmpx_ne_u16_e32 0x80, v5
	s_cbranch_execz .LBB204_414
; %bb.409:                              ;   in Loop: Header=BB204_289 Depth=1
	v_mov_b32_e32 v21, 0x7f800001
	v_bfe_u32 v13, v60, 16, 7
	v_mov_b32_e32 v22, 0
	s_mov_b32 s14, exec_lo
	v_cmpx_ne_u32_e32 0x7f, v13
	s_cbranch_execz .LBB204_413
; %bb.410:                              ;   in Loop: Header=BB204_289 Depth=1
	v_and_b32_sdwa v5, v60, v42 dst_sel:DWORD dst_unused:UNUSED_PAD src0_sel:WORD_1 src1_sel:DWORD
	v_lshrrev_b32_e32 v11, 3, v13
	s_mov_b32 s15, exec_lo
	v_cmpx_gt_u32_e32 8, v13
; %bb.411:                              ;   in Loop: Header=BB204_289 Depth=1
	v_ffbh_u32_e32 v11, v5
	v_min_u32_e32 v11, 32, v11
	v_subrev_nc_u32_e32 v13, 28, v11
	v_sub_nc_u32_e32 v11, 29, v11
	v_lshlrev_b64 v[21:22], v13, v[5:6]
	v_and_b32_e32 v5, 7, v21
; %bb.412:                              ;   in Loop: Header=BB204_289 Depth=1
	s_or_b32 exec_lo, exec_lo, s15
	v_lshlrev_b32_sdwa v13, v44, v60 dst_sel:DWORD dst_unused:UNUSED_PAD src0_sel:DWORD src1_sel:WORD_1
	v_lshlrev_b32_e32 v5, 20, v5
	v_lshl_add_u32 v11, v11, 23, 0x3c000000
	v_and_b32_e32 v13, 0x80000000, v13
	v_or3_b32 v5, v5, v13, v11
	v_mov_b32_e32 v22, v6
	v_mov_b32_e32 v21, v5
.LBB204_413:                            ;   in Loop: Header=BB204_289 Depth=1
	s_or_b32 exec_lo, exec_lo, s14
.LBB204_414:                            ;   in Loop: Header=BB204_289 Depth=1
	s_or_b32 exec_lo, exec_lo, s13
.LBB204_415:                            ;   in Loop: Header=BB204_289 Depth=1
	s_or_b32 exec_lo, exec_lo, s9
	s_mov_b32 s9, exec_lo
	v_cmpx_lt_u32_e32 0xffffff, v60
	s_cbranch_execz .LBB204_423
; %bb.416:                              ;   in Loop: Header=BB204_289 Depth=1
	v_mov_b32_e32 v11, v6
	v_mov_b32_e32 v24, v12
	v_cmp_ne_u32_sdwa s0, v60, v39 src0_sel:BYTE_3 src1_sel:DWORD
	v_mov_b32_e32 v23, v11
	s_and_saveexec_b32 s13, s0
	s_cbranch_execz .LBB204_422
; %bb.417:                              ;   in Loop: Header=BB204_289 Depth=1
	v_mov_b32_e32 v13, v6
	v_mov_b32_e32 v24, v14
	v_bfe_u32 v61, v60, 24, 7
	s_mov_b32 s14, exec_lo
	v_mov_b32_e32 v23, v13
	v_cmpx_ne_u32_e32 0x7f, v61
	s_cbranch_execz .LBB204_421
; %bb.418:                              ;   in Loop: Header=BB204_289 Depth=1
	v_and_b32_sdwa v5, v60, v42 dst_sel:DWORD dst_unused:UNUSED_PAD src0_sel:BYTE_3 src1_sel:DWORD
	v_lshrrev_b32_e32 v11, 3, v61
	s_mov_b32 s15, exec_lo
	v_cmpx_gt_u32_e32 8, v61
; %bb.419:                              ;   in Loop: Header=BB204_289 Depth=1
	v_ffbh_u32_e32 v11, v5
	v_min_u32_e32 v11, 32, v11
	v_subrev_nc_u32_e32 v13, 28, v11
	v_sub_nc_u32_e32 v11, 29, v11
	v_lshlrev_b64 v[23:24], v13, v[5:6]
	v_and_b32_e32 v5, 7, v23
; %bb.420:                              ;   in Loop: Header=BB204_289 Depth=1
	s_or_b32 exec_lo, exec_lo, s15
	v_lshlrev_b32_sdwa v13, v44, v60 dst_sel:DWORD dst_unused:UNUSED_PAD src0_sel:DWORD src1_sel:BYTE_3
	v_lshlrev_b32_e32 v5, 20, v5
	v_lshl_add_u32 v11, v11, 23, 0x3c000000
	v_mov_b32_e32 v23, v6
	v_and_b32_e32 v13, 0x80000000, v13
	v_or3_b32 v24, v5, v13, v11
.LBB204_421:                            ;   in Loop: Header=BB204_289 Depth=1
	s_or_b32 exec_lo, exec_lo, s14
.LBB204_422:                            ;   in Loop: Header=BB204_289 Depth=1
	s_or_b32 exec_lo, exec_lo, s13
.LBB204_423:                            ;   in Loop: Header=BB204_289 Depth=1
	s_or_b32 exec_lo, exec_lo, s9
	v_or_b32_e32 v5, v20, v18
	v_or_b32_e32 v11, v19, v17
	;; [unrolled: 1-line block ×4, first 2 shown]
	v_mul_f32_e32 v62, s6, v5
	v_mul_f32_e32 v63, s3, v11
	;; [unrolled: 1-line block ×4, first 2 shown]
	s_and_saveexec_b32 s9, vcc_lo
	s_cbranch_execz .LBB204_425
; %bb.424:                              ;   in Loop: Header=BB204_289 Depth=1
	v_cmp_gt_i32_e64 s0, s27, v49
	v_cndmask_b32_e64 v63, 0, v63, s0
	v_cmp_gt_i32_e64 s0, s27, v51
	v_cndmask_b32_e64 v62, 0, v62, s0
	;; [unrolled: 2-line block ×4, first 2 shown]
.LBB204_425:                            ;   in Loop: Header=BB204_289 Depth=1
	s_or_b32 exec_lo, exec_lo, s9
	global_load_dword v64, v[15:16], off offset:512
	v_mov_b32_e32 v19, 0
	v_mov_b32_e32 v17, 0
	;; [unrolled: 1-line block ×4, first 2 shown]
	s_waitcnt vmcnt(0)
	v_cmp_ne_u16_sdwa s0, v64, v6 src0_sel:BYTE_0 src1_sel:DWORD
	s_and_saveexec_b32 s9, s0
	s_cbranch_execz .LBB204_433
; %bb.426:                              ;   in Loop: Header=BB204_289 Depth=1
	v_bfrev_b32_e32 v17, 1
	v_mov_b32_e32 v18, 0
	v_cmp_ne_u16_sdwa s0, v64, v39 src0_sel:BYTE_0 src1_sel:DWORD
	s_and_saveexec_b32 s13, s0
	s_cbranch_execz .LBB204_432
; %bb.427:                              ;   in Loop: Header=BB204_289 Depth=1
	v_mov_b32_e32 v17, 0x7f800001
	v_and_b32_e32 v13, 0x7f, v64
	v_mov_b32_e32 v18, 0
	s_mov_b32 s14, exec_lo
	v_cmpx_ne_u32_e32 0x7f, v13
	s_cbranch_execz .LBB204_431
; %bb.428:                              ;   in Loop: Header=BB204_289 Depth=1
	v_and_b32_e32 v5, 7, v64
	v_lshrrev_b32_e32 v11, 3, v13
	s_mov_b32 s15, exec_lo
	v_cmpx_gt_u32_e32 8, v13
; %bb.429:                              ;   in Loop: Header=BB204_289 Depth=1
	v_ffbh_u32_e32 v11, v5
	v_min_u32_e32 v11, 32, v11
	v_subrev_nc_u32_e32 v13, 28, v11
	v_sub_nc_u32_e32 v11, 29, v11
	v_lshlrev_b64 v[17:18], v13, v[5:6]
	v_and_b32_e32 v5, 7, v17
; %bb.430:                              ;   in Loop: Header=BB204_289 Depth=1
	s_or_b32 exec_lo, exec_lo, s15
	v_lshlrev_b32_e32 v13, 24, v64
	v_lshlrev_b32_e32 v5, 20, v5
	v_lshl_add_u32 v11, v11, 23, 0x3c000000
	v_and_b32_e32 v13, 0x80000000, v13
	v_or3_b32 v5, v5, v13, v11
	v_mov_b32_e32 v18, v6
	v_mov_b32_e32 v17, v5
.LBB204_431:                            ;   in Loop: Header=BB204_289 Depth=1
	s_or_b32 exec_lo, exec_lo, s14
.LBB204_432:                            ;   in Loop: Header=BB204_289 Depth=1
	s_or_b32 exec_lo, exec_lo, s13
.LBB204_433:                            ;   in Loop: Header=BB204_289 Depth=1
	s_or_b32 exec_lo, exec_lo, s9
	v_cmp_ne_u16_sdwa s0, v64, v6 src0_sel:BYTE_1 src1_sel:DWORD
	s_and_saveexec_b32 s9, s0
	s_cbranch_execz .LBB204_441
; %bb.434:                              ;   in Loop: Header=BB204_289 Depth=1
	v_mov_b32_e32 v11, v6
	v_mov_b32_e32 v20, v12
	v_cmp_ne_u16_sdwa s0, v64, v39 src0_sel:BYTE_1 src1_sel:DWORD
	v_mov_b32_e32 v19, v11
	s_and_saveexec_b32 s13, s0
	s_cbranch_execz .LBB204_440
; %bb.435:                              ;   in Loop: Header=BB204_289 Depth=1
	v_and_b32_sdwa v5, v40, v64 dst_sel:DWORD dst_unused:UNUSED_PAD src0_sel:DWORD src1_sel:BYTE_1
	v_mov_b32_e32 v13, v6
	v_mov_b32_e32 v20, v14
	s_mov_b32 s14, exec_lo
	v_and_b32_e32 v21, 0x7f, v5
	v_mov_b32_e32 v19, v13
	v_cmpx_ne_u32_e32 0x7f, v21
	s_cbranch_execz .LBB204_439
; %bb.436:                              ;   in Loop: Header=BB204_289 Depth=1
	v_and_b32_e32 v5, 7, v5
	v_lshrrev_b32_e32 v11, 3, v21
	s_mov_b32 s15, exec_lo
	v_cmpx_gt_u32_e32 8, v21
; %bb.437:                              ;   in Loop: Header=BB204_289 Depth=1
	v_ffbh_u32_e32 v11, v5
	v_min_u32_e32 v11, 32, v11
	v_subrev_nc_u32_e32 v13, 28, v11
	v_sub_nc_u32_e32 v11, 29, v11
	v_lshlrev_b64 v[19:20], v13, v[5:6]
	v_and_b32_e32 v5, 7, v19
; %bb.438:                              ;   in Loop: Header=BB204_289 Depth=1
	s_or_b32 exec_lo, exec_lo, s15
	v_lshlrev_b32_e32 v13, 16, v64
	v_lshlrev_b32_e32 v5, 20, v5
	v_lshl_add_u32 v11, v11, 23, 0x3c000000
	v_mov_b32_e32 v19, v6
	v_and_b32_e32 v13, 0x80000000, v13
	v_or3_b32 v20, v5, v13, v11
.LBB204_439:                            ;   in Loop: Header=BB204_289 Depth=1
	s_or_b32 exec_lo, exec_lo, s14
.LBB204_440:                            ;   in Loop: Header=BB204_289 Depth=1
	s_or_b32 exec_lo, exec_lo, s13
.LBB204_441:                            ;   in Loop: Header=BB204_289 Depth=1
	s_or_b32 exec_lo, exec_lo, s9
	v_mov_b32_e32 v23, 0
	v_mov_b32_e32 v21, 0
	v_and_b32_sdwa v5, v64, v41 dst_sel:DWORD dst_unused:UNUSED_PAD src0_sel:WORD_1 src1_sel:DWORD
	v_mov_b32_e32 v24, 0
	v_mov_b32_e32 v22, 0
	s_mov_b32 s9, exec_lo
	v_cmpx_ne_u16_e32 0, v5
	s_cbranch_execz .LBB204_449
; %bb.442:                              ;   in Loop: Header=BB204_289 Depth=1
	v_bfrev_b32_e32 v21, 1
	v_mov_b32_e32 v22, 0
	s_mov_b32 s13, exec_lo
	v_cmpx_ne_u16_e32 0x80, v5
	s_cbranch_execz .LBB204_448
; %bb.443:                              ;   in Loop: Header=BB204_289 Depth=1
	v_mov_b32_e32 v21, 0x7f800001
	v_bfe_u32 v13, v64, 16, 7
	v_mov_b32_e32 v22, 0
	s_mov_b32 s14, exec_lo
	v_cmpx_ne_u32_e32 0x7f, v13
	s_cbranch_execz .LBB204_447
; %bb.444:                              ;   in Loop: Header=BB204_289 Depth=1
	v_and_b32_sdwa v5, v64, v42 dst_sel:DWORD dst_unused:UNUSED_PAD src0_sel:WORD_1 src1_sel:DWORD
	v_lshrrev_b32_e32 v11, 3, v13
	s_mov_b32 s15, exec_lo
	v_cmpx_gt_u32_e32 8, v13
; %bb.445:                              ;   in Loop: Header=BB204_289 Depth=1
	v_ffbh_u32_e32 v11, v5
	v_min_u32_e32 v11, 32, v11
	v_subrev_nc_u32_e32 v13, 28, v11
	v_sub_nc_u32_e32 v11, 29, v11
	v_lshlrev_b64 v[21:22], v13, v[5:6]
	v_and_b32_e32 v5, 7, v21
; %bb.446:                              ;   in Loop: Header=BB204_289 Depth=1
	s_or_b32 exec_lo, exec_lo, s15
	v_lshlrev_b32_sdwa v13, v44, v64 dst_sel:DWORD dst_unused:UNUSED_PAD src0_sel:DWORD src1_sel:WORD_1
	v_lshlrev_b32_e32 v5, 20, v5
	v_lshl_add_u32 v11, v11, 23, 0x3c000000
	v_and_b32_e32 v13, 0x80000000, v13
	v_or3_b32 v5, v5, v13, v11
	v_mov_b32_e32 v22, v6
	v_mov_b32_e32 v21, v5
.LBB204_447:                            ;   in Loop: Header=BB204_289 Depth=1
	s_or_b32 exec_lo, exec_lo, s14
.LBB204_448:                            ;   in Loop: Header=BB204_289 Depth=1
	s_or_b32 exec_lo, exec_lo, s13
.LBB204_449:                            ;   in Loop: Header=BB204_289 Depth=1
	s_or_b32 exec_lo, exec_lo, s9
	s_mov_b32 s9, exec_lo
	v_cmpx_lt_u32_e32 0xffffff, v64
	s_cbranch_execz .LBB204_457
; %bb.450:                              ;   in Loop: Header=BB204_289 Depth=1
	v_mov_b32_e32 v11, v6
	v_mov_b32_e32 v24, v12
	v_cmp_ne_u32_sdwa s0, v64, v39 src0_sel:BYTE_3 src1_sel:DWORD
	v_mov_b32_e32 v23, v11
	s_and_saveexec_b32 s13, s0
	s_cbranch_execz .LBB204_456
; %bb.451:                              ;   in Loop: Header=BB204_289 Depth=1
	v_mov_b32_e32 v13, v6
	v_mov_b32_e32 v24, v14
	v_bfe_u32 v65, v64, 24, 7
	s_mov_b32 s14, exec_lo
	v_mov_b32_e32 v23, v13
	v_cmpx_ne_u32_e32 0x7f, v65
	s_cbranch_execz .LBB204_455
; %bb.452:                              ;   in Loop: Header=BB204_289 Depth=1
	v_and_b32_sdwa v5, v64, v42 dst_sel:DWORD dst_unused:UNUSED_PAD src0_sel:BYTE_3 src1_sel:DWORD
	v_lshrrev_b32_e32 v11, 3, v65
	s_mov_b32 s15, exec_lo
	v_cmpx_gt_u32_e32 8, v65
; %bb.453:                              ;   in Loop: Header=BB204_289 Depth=1
	v_ffbh_u32_e32 v11, v5
	v_min_u32_e32 v11, 32, v11
	v_subrev_nc_u32_e32 v13, 28, v11
	v_sub_nc_u32_e32 v11, 29, v11
	v_lshlrev_b64 v[23:24], v13, v[5:6]
	v_and_b32_e32 v5, 7, v23
; %bb.454:                              ;   in Loop: Header=BB204_289 Depth=1
	s_or_b32 exec_lo, exec_lo, s15
	v_lshlrev_b32_sdwa v13, v44, v64 dst_sel:DWORD dst_unused:UNUSED_PAD src0_sel:DWORD src1_sel:BYTE_3
	v_lshlrev_b32_e32 v5, 20, v5
	v_lshl_add_u32 v11, v11, 23, 0x3c000000
	v_mov_b32_e32 v23, v6
	v_and_b32_e32 v13, 0x80000000, v13
	v_or3_b32 v24, v5, v13, v11
.LBB204_455:                            ;   in Loop: Header=BB204_289 Depth=1
	s_or_b32 exec_lo, exec_lo, s14
.LBB204_456:                            ;   in Loop: Header=BB204_289 Depth=1
	s_or_b32 exec_lo, exec_lo, s13
.LBB204_457:                            ;   in Loop: Header=BB204_289 Depth=1
	s_or_b32 exec_lo, exec_lo, s9
	v_or_b32_e32 v5, v20, v18
	v_or_b32_e32 v11, v19, v17
	;; [unrolled: 1-line block ×4, first 2 shown]
	v_mul_f32_e32 v66, s6, v5
	v_mul_f32_e32 v67, s3, v11
	;; [unrolled: 1-line block ×4, first 2 shown]
	s_and_saveexec_b32 s9, vcc_lo
	s_cbranch_execz .LBB204_459
; %bb.458:                              ;   in Loop: Header=BB204_289 Depth=1
	v_cmp_gt_i32_e64 s0, s27, v49
	v_cndmask_b32_e64 v67, 0, v67, s0
	v_cmp_gt_i32_e64 s0, s27, v51
	v_cndmask_b32_e64 v66, 0, v66, s0
	;; [unrolled: 2-line block ×4, first 2 shown]
.LBB204_459:                            ;   in Loop: Header=BB204_289 Depth=1
	s_or_b32 exec_lo, exec_lo, s9
	global_load_dword v68, v[15:16], off offset:640
	v_mov_b32_e32 v19, 0
	v_mov_b32_e32 v17, 0
	v_mov_b32_e32 v20, 0
	v_mov_b32_e32 v18, 0
	s_waitcnt vmcnt(0)
	v_cmp_ne_u16_sdwa s0, v68, v6 src0_sel:BYTE_0 src1_sel:DWORD
	s_and_saveexec_b32 s9, s0
	s_cbranch_execz .LBB204_467
; %bb.460:                              ;   in Loop: Header=BB204_289 Depth=1
	v_bfrev_b32_e32 v17, 1
	v_mov_b32_e32 v18, 0
	v_cmp_ne_u16_sdwa s0, v68, v39 src0_sel:BYTE_0 src1_sel:DWORD
	s_and_saveexec_b32 s13, s0
	s_cbranch_execz .LBB204_466
; %bb.461:                              ;   in Loop: Header=BB204_289 Depth=1
	v_mov_b32_e32 v17, 0x7f800001
	v_and_b32_e32 v13, 0x7f, v68
	v_mov_b32_e32 v18, 0
	s_mov_b32 s14, exec_lo
	v_cmpx_ne_u32_e32 0x7f, v13
	s_cbranch_execz .LBB204_465
; %bb.462:                              ;   in Loop: Header=BB204_289 Depth=1
	v_and_b32_e32 v5, 7, v68
	v_lshrrev_b32_e32 v11, 3, v13
	s_mov_b32 s15, exec_lo
	v_cmpx_gt_u32_e32 8, v13
; %bb.463:                              ;   in Loop: Header=BB204_289 Depth=1
	v_ffbh_u32_e32 v11, v5
	v_min_u32_e32 v11, 32, v11
	v_subrev_nc_u32_e32 v13, 28, v11
	v_sub_nc_u32_e32 v11, 29, v11
	v_lshlrev_b64 v[17:18], v13, v[5:6]
	v_and_b32_e32 v5, 7, v17
; %bb.464:                              ;   in Loop: Header=BB204_289 Depth=1
	s_or_b32 exec_lo, exec_lo, s15
	v_lshlrev_b32_e32 v13, 24, v68
	v_lshlrev_b32_e32 v5, 20, v5
	v_lshl_add_u32 v11, v11, 23, 0x3c000000
	v_and_b32_e32 v13, 0x80000000, v13
	v_or3_b32 v5, v5, v13, v11
	v_mov_b32_e32 v18, v6
	v_mov_b32_e32 v17, v5
.LBB204_465:                            ;   in Loop: Header=BB204_289 Depth=1
	s_or_b32 exec_lo, exec_lo, s14
.LBB204_466:                            ;   in Loop: Header=BB204_289 Depth=1
	s_or_b32 exec_lo, exec_lo, s13
.LBB204_467:                            ;   in Loop: Header=BB204_289 Depth=1
	s_or_b32 exec_lo, exec_lo, s9
	v_cmp_ne_u16_sdwa s0, v68, v6 src0_sel:BYTE_1 src1_sel:DWORD
	s_and_saveexec_b32 s9, s0
	s_cbranch_execz .LBB204_475
; %bb.468:                              ;   in Loop: Header=BB204_289 Depth=1
	v_mov_b32_e32 v11, v6
	v_mov_b32_e32 v20, v12
	v_cmp_ne_u16_sdwa s0, v68, v39 src0_sel:BYTE_1 src1_sel:DWORD
	v_mov_b32_e32 v19, v11
	s_and_saveexec_b32 s13, s0
	s_cbranch_execz .LBB204_474
; %bb.469:                              ;   in Loop: Header=BB204_289 Depth=1
	v_and_b32_sdwa v5, v40, v68 dst_sel:DWORD dst_unused:UNUSED_PAD src0_sel:DWORD src1_sel:BYTE_1
	v_mov_b32_e32 v13, v6
	v_mov_b32_e32 v20, v14
	s_mov_b32 s14, exec_lo
	v_and_b32_e32 v21, 0x7f, v5
	v_mov_b32_e32 v19, v13
	v_cmpx_ne_u32_e32 0x7f, v21
	s_cbranch_execz .LBB204_473
; %bb.470:                              ;   in Loop: Header=BB204_289 Depth=1
	v_and_b32_e32 v5, 7, v5
	v_lshrrev_b32_e32 v11, 3, v21
	s_mov_b32 s15, exec_lo
	v_cmpx_gt_u32_e32 8, v21
; %bb.471:                              ;   in Loop: Header=BB204_289 Depth=1
	v_ffbh_u32_e32 v11, v5
	v_min_u32_e32 v11, 32, v11
	v_subrev_nc_u32_e32 v13, 28, v11
	v_sub_nc_u32_e32 v11, 29, v11
	v_lshlrev_b64 v[19:20], v13, v[5:6]
	v_and_b32_e32 v5, 7, v19
; %bb.472:                              ;   in Loop: Header=BB204_289 Depth=1
	s_or_b32 exec_lo, exec_lo, s15
	v_lshlrev_b32_e32 v13, 16, v68
	v_lshlrev_b32_e32 v5, 20, v5
	v_lshl_add_u32 v11, v11, 23, 0x3c000000
	v_mov_b32_e32 v19, v6
	v_and_b32_e32 v13, 0x80000000, v13
	v_or3_b32 v20, v5, v13, v11
.LBB204_473:                            ;   in Loop: Header=BB204_289 Depth=1
	s_or_b32 exec_lo, exec_lo, s14
.LBB204_474:                            ;   in Loop: Header=BB204_289 Depth=1
	s_or_b32 exec_lo, exec_lo, s13
.LBB204_475:                            ;   in Loop: Header=BB204_289 Depth=1
	s_or_b32 exec_lo, exec_lo, s9
	v_mov_b32_e32 v23, 0
	v_mov_b32_e32 v21, 0
	v_and_b32_sdwa v5, v68, v41 dst_sel:DWORD dst_unused:UNUSED_PAD src0_sel:WORD_1 src1_sel:DWORD
	v_mov_b32_e32 v24, 0
	v_mov_b32_e32 v22, 0
	s_mov_b32 s9, exec_lo
	v_cmpx_ne_u16_e32 0, v5
	s_cbranch_execz .LBB204_483
; %bb.476:                              ;   in Loop: Header=BB204_289 Depth=1
	v_bfrev_b32_e32 v21, 1
	v_mov_b32_e32 v22, 0
	s_mov_b32 s13, exec_lo
	v_cmpx_ne_u16_e32 0x80, v5
	s_cbranch_execz .LBB204_482
; %bb.477:                              ;   in Loop: Header=BB204_289 Depth=1
	v_mov_b32_e32 v21, 0x7f800001
	v_bfe_u32 v13, v68, 16, 7
	v_mov_b32_e32 v22, 0
	s_mov_b32 s14, exec_lo
	v_cmpx_ne_u32_e32 0x7f, v13
	s_cbranch_execz .LBB204_481
; %bb.478:                              ;   in Loop: Header=BB204_289 Depth=1
	v_and_b32_sdwa v5, v68, v42 dst_sel:DWORD dst_unused:UNUSED_PAD src0_sel:WORD_1 src1_sel:DWORD
	v_lshrrev_b32_e32 v11, 3, v13
	s_mov_b32 s15, exec_lo
	v_cmpx_gt_u32_e32 8, v13
; %bb.479:                              ;   in Loop: Header=BB204_289 Depth=1
	v_ffbh_u32_e32 v11, v5
	v_min_u32_e32 v11, 32, v11
	v_subrev_nc_u32_e32 v13, 28, v11
	v_sub_nc_u32_e32 v11, 29, v11
	v_lshlrev_b64 v[21:22], v13, v[5:6]
	v_and_b32_e32 v5, 7, v21
; %bb.480:                              ;   in Loop: Header=BB204_289 Depth=1
	s_or_b32 exec_lo, exec_lo, s15
	v_lshlrev_b32_sdwa v13, v44, v68 dst_sel:DWORD dst_unused:UNUSED_PAD src0_sel:DWORD src1_sel:WORD_1
	v_lshlrev_b32_e32 v5, 20, v5
	v_lshl_add_u32 v11, v11, 23, 0x3c000000
	v_and_b32_e32 v13, 0x80000000, v13
	v_or3_b32 v5, v5, v13, v11
	v_mov_b32_e32 v22, v6
	v_mov_b32_e32 v21, v5
.LBB204_481:                            ;   in Loop: Header=BB204_289 Depth=1
	s_or_b32 exec_lo, exec_lo, s14
.LBB204_482:                            ;   in Loop: Header=BB204_289 Depth=1
	s_or_b32 exec_lo, exec_lo, s13
.LBB204_483:                            ;   in Loop: Header=BB204_289 Depth=1
	s_or_b32 exec_lo, exec_lo, s9
	s_mov_b32 s9, exec_lo
	v_cmpx_lt_u32_e32 0xffffff, v68
	s_cbranch_execz .LBB204_491
; %bb.484:                              ;   in Loop: Header=BB204_289 Depth=1
	v_mov_b32_e32 v11, v6
	v_mov_b32_e32 v24, v12
	v_cmp_ne_u32_sdwa s0, v68, v39 src0_sel:BYTE_3 src1_sel:DWORD
	v_mov_b32_e32 v23, v11
	s_and_saveexec_b32 s13, s0
	s_cbranch_execz .LBB204_490
; %bb.485:                              ;   in Loop: Header=BB204_289 Depth=1
	v_mov_b32_e32 v13, v6
	v_mov_b32_e32 v24, v14
	v_bfe_u32 v69, v68, 24, 7
	s_mov_b32 s14, exec_lo
	v_mov_b32_e32 v23, v13
	v_cmpx_ne_u32_e32 0x7f, v69
	s_cbranch_execz .LBB204_489
; %bb.486:                              ;   in Loop: Header=BB204_289 Depth=1
	v_and_b32_sdwa v5, v68, v42 dst_sel:DWORD dst_unused:UNUSED_PAD src0_sel:BYTE_3 src1_sel:DWORD
	v_lshrrev_b32_e32 v11, 3, v69
	s_mov_b32 s15, exec_lo
	v_cmpx_gt_u32_e32 8, v69
; %bb.487:                              ;   in Loop: Header=BB204_289 Depth=1
	v_ffbh_u32_e32 v11, v5
	v_min_u32_e32 v11, 32, v11
	v_subrev_nc_u32_e32 v13, 28, v11
	v_sub_nc_u32_e32 v11, 29, v11
	v_lshlrev_b64 v[23:24], v13, v[5:6]
	v_and_b32_e32 v5, 7, v23
; %bb.488:                              ;   in Loop: Header=BB204_289 Depth=1
	s_or_b32 exec_lo, exec_lo, s15
	v_lshlrev_b32_sdwa v13, v44, v68 dst_sel:DWORD dst_unused:UNUSED_PAD src0_sel:DWORD src1_sel:BYTE_3
	v_lshlrev_b32_e32 v5, 20, v5
	v_lshl_add_u32 v11, v11, 23, 0x3c000000
	v_mov_b32_e32 v23, v6
	v_and_b32_e32 v13, 0x80000000, v13
	v_or3_b32 v24, v5, v13, v11
.LBB204_489:                            ;   in Loop: Header=BB204_289 Depth=1
	s_or_b32 exec_lo, exec_lo, s14
.LBB204_490:                            ;   in Loop: Header=BB204_289 Depth=1
	s_or_b32 exec_lo, exec_lo, s13
.LBB204_491:                            ;   in Loop: Header=BB204_289 Depth=1
	s_or_b32 exec_lo, exec_lo, s9
	v_or_b32_e32 v5, v20, v18
	v_or_b32_e32 v11, v19, v17
	;; [unrolled: 1-line block ×4, first 2 shown]
	v_mul_f32_e32 v70, s6, v5
	v_mul_f32_e32 v71, s3, v11
	;; [unrolled: 1-line block ×4, first 2 shown]
	s_and_saveexec_b32 s9, vcc_lo
	s_cbranch_execz .LBB204_493
; %bb.492:                              ;   in Loop: Header=BB204_289 Depth=1
	v_cmp_gt_i32_e64 s0, s27, v49
	v_cndmask_b32_e64 v71, 0, v71, s0
	v_cmp_gt_i32_e64 s0, s27, v51
	v_cndmask_b32_e64 v70, 0, v70, s0
	;; [unrolled: 2-line block ×4, first 2 shown]
.LBB204_493:                            ;   in Loop: Header=BB204_289 Depth=1
	s_or_b32 exec_lo, exec_lo, s9
	global_load_dword v72, v[15:16], off offset:768
	v_mov_b32_e32 v19, 0
	v_mov_b32_e32 v17, 0
	;; [unrolled: 1-line block ×4, first 2 shown]
	s_waitcnt vmcnt(0)
	v_cmp_ne_u16_sdwa s0, v72, v6 src0_sel:BYTE_0 src1_sel:DWORD
	s_and_saveexec_b32 s9, s0
	s_cbranch_execz .LBB204_501
; %bb.494:                              ;   in Loop: Header=BB204_289 Depth=1
	v_bfrev_b32_e32 v17, 1
	v_mov_b32_e32 v18, 0
	v_cmp_ne_u16_sdwa s0, v72, v39 src0_sel:BYTE_0 src1_sel:DWORD
	s_and_saveexec_b32 s13, s0
	s_cbranch_execz .LBB204_500
; %bb.495:                              ;   in Loop: Header=BB204_289 Depth=1
	v_mov_b32_e32 v17, 0x7f800001
	v_and_b32_e32 v13, 0x7f, v72
	v_mov_b32_e32 v18, 0
	s_mov_b32 s14, exec_lo
	v_cmpx_ne_u32_e32 0x7f, v13
	s_cbranch_execz .LBB204_499
; %bb.496:                              ;   in Loop: Header=BB204_289 Depth=1
	v_and_b32_e32 v5, 7, v72
	v_lshrrev_b32_e32 v11, 3, v13
	s_mov_b32 s15, exec_lo
	v_cmpx_gt_u32_e32 8, v13
; %bb.497:                              ;   in Loop: Header=BB204_289 Depth=1
	v_ffbh_u32_e32 v11, v5
	v_min_u32_e32 v11, 32, v11
	v_subrev_nc_u32_e32 v13, 28, v11
	v_sub_nc_u32_e32 v11, 29, v11
	v_lshlrev_b64 v[17:18], v13, v[5:6]
	v_and_b32_e32 v5, 7, v17
; %bb.498:                              ;   in Loop: Header=BB204_289 Depth=1
	s_or_b32 exec_lo, exec_lo, s15
	v_lshlrev_b32_e32 v13, 24, v72
	v_lshlrev_b32_e32 v5, 20, v5
	v_lshl_add_u32 v11, v11, 23, 0x3c000000
	v_and_b32_e32 v13, 0x80000000, v13
	v_or3_b32 v5, v5, v13, v11
	v_mov_b32_e32 v18, v6
	v_mov_b32_e32 v17, v5
.LBB204_499:                            ;   in Loop: Header=BB204_289 Depth=1
	s_or_b32 exec_lo, exec_lo, s14
.LBB204_500:                            ;   in Loop: Header=BB204_289 Depth=1
	s_or_b32 exec_lo, exec_lo, s13
.LBB204_501:                            ;   in Loop: Header=BB204_289 Depth=1
	s_or_b32 exec_lo, exec_lo, s9
	v_cmp_ne_u16_sdwa s0, v72, v6 src0_sel:BYTE_1 src1_sel:DWORD
	s_and_saveexec_b32 s9, s0
	s_cbranch_execz .LBB204_509
; %bb.502:                              ;   in Loop: Header=BB204_289 Depth=1
	v_mov_b32_e32 v11, v6
	v_mov_b32_e32 v20, v12
	v_cmp_ne_u16_sdwa s0, v72, v39 src0_sel:BYTE_1 src1_sel:DWORD
	v_mov_b32_e32 v19, v11
	s_and_saveexec_b32 s13, s0
	s_cbranch_execz .LBB204_508
; %bb.503:                              ;   in Loop: Header=BB204_289 Depth=1
	v_and_b32_sdwa v5, v40, v72 dst_sel:DWORD dst_unused:UNUSED_PAD src0_sel:DWORD src1_sel:BYTE_1
	v_mov_b32_e32 v13, v6
	v_mov_b32_e32 v20, v14
	s_mov_b32 s14, exec_lo
	v_and_b32_e32 v21, 0x7f, v5
	v_mov_b32_e32 v19, v13
	v_cmpx_ne_u32_e32 0x7f, v21
	s_cbranch_execz .LBB204_507
; %bb.504:                              ;   in Loop: Header=BB204_289 Depth=1
	v_and_b32_e32 v5, 7, v5
	v_lshrrev_b32_e32 v11, 3, v21
	s_mov_b32 s15, exec_lo
	v_cmpx_gt_u32_e32 8, v21
; %bb.505:                              ;   in Loop: Header=BB204_289 Depth=1
	v_ffbh_u32_e32 v11, v5
	v_min_u32_e32 v11, 32, v11
	v_subrev_nc_u32_e32 v13, 28, v11
	v_sub_nc_u32_e32 v11, 29, v11
	v_lshlrev_b64 v[19:20], v13, v[5:6]
	v_and_b32_e32 v5, 7, v19
; %bb.506:                              ;   in Loop: Header=BB204_289 Depth=1
	s_or_b32 exec_lo, exec_lo, s15
	v_lshlrev_b32_e32 v13, 16, v72
	v_lshlrev_b32_e32 v5, 20, v5
	v_lshl_add_u32 v11, v11, 23, 0x3c000000
	v_mov_b32_e32 v19, v6
	v_and_b32_e32 v13, 0x80000000, v13
	v_or3_b32 v20, v5, v13, v11
.LBB204_507:                            ;   in Loop: Header=BB204_289 Depth=1
	s_or_b32 exec_lo, exec_lo, s14
.LBB204_508:                            ;   in Loop: Header=BB204_289 Depth=1
	s_or_b32 exec_lo, exec_lo, s13
.LBB204_509:                            ;   in Loop: Header=BB204_289 Depth=1
	s_or_b32 exec_lo, exec_lo, s9
	v_mov_b32_e32 v23, 0
	v_mov_b32_e32 v21, 0
	v_and_b32_sdwa v5, v72, v41 dst_sel:DWORD dst_unused:UNUSED_PAD src0_sel:WORD_1 src1_sel:DWORD
	v_mov_b32_e32 v24, 0
	v_mov_b32_e32 v22, 0
	s_mov_b32 s9, exec_lo
	v_cmpx_ne_u16_e32 0, v5
	s_cbranch_execz .LBB204_517
; %bb.510:                              ;   in Loop: Header=BB204_289 Depth=1
	v_bfrev_b32_e32 v21, 1
	v_mov_b32_e32 v22, 0
	s_mov_b32 s13, exec_lo
	v_cmpx_ne_u16_e32 0x80, v5
	s_cbranch_execz .LBB204_516
; %bb.511:                              ;   in Loop: Header=BB204_289 Depth=1
	v_mov_b32_e32 v21, 0x7f800001
	v_bfe_u32 v13, v72, 16, 7
	v_mov_b32_e32 v22, 0
	s_mov_b32 s14, exec_lo
	v_cmpx_ne_u32_e32 0x7f, v13
	s_cbranch_execz .LBB204_515
; %bb.512:                              ;   in Loop: Header=BB204_289 Depth=1
	v_and_b32_sdwa v5, v72, v42 dst_sel:DWORD dst_unused:UNUSED_PAD src0_sel:WORD_1 src1_sel:DWORD
	v_lshrrev_b32_e32 v11, 3, v13
	s_mov_b32 s15, exec_lo
	v_cmpx_gt_u32_e32 8, v13
; %bb.513:                              ;   in Loop: Header=BB204_289 Depth=1
	v_ffbh_u32_e32 v11, v5
	v_min_u32_e32 v11, 32, v11
	v_subrev_nc_u32_e32 v13, 28, v11
	v_sub_nc_u32_e32 v11, 29, v11
	v_lshlrev_b64 v[21:22], v13, v[5:6]
	v_and_b32_e32 v5, 7, v21
; %bb.514:                              ;   in Loop: Header=BB204_289 Depth=1
	s_or_b32 exec_lo, exec_lo, s15
	v_lshlrev_b32_sdwa v13, v44, v72 dst_sel:DWORD dst_unused:UNUSED_PAD src0_sel:DWORD src1_sel:WORD_1
	v_lshlrev_b32_e32 v5, 20, v5
	v_lshl_add_u32 v11, v11, 23, 0x3c000000
	v_and_b32_e32 v13, 0x80000000, v13
	v_or3_b32 v5, v5, v13, v11
	v_mov_b32_e32 v22, v6
	v_mov_b32_e32 v21, v5
.LBB204_515:                            ;   in Loop: Header=BB204_289 Depth=1
	s_or_b32 exec_lo, exec_lo, s14
.LBB204_516:                            ;   in Loop: Header=BB204_289 Depth=1
	s_or_b32 exec_lo, exec_lo, s13
.LBB204_517:                            ;   in Loop: Header=BB204_289 Depth=1
	s_or_b32 exec_lo, exec_lo, s9
	s_mov_b32 s9, exec_lo
	v_cmpx_lt_u32_e32 0xffffff, v72
	s_cbranch_execz .LBB204_525
; %bb.518:                              ;   in Loop: Header=BB204_289 Depth=1
	v_mov_b32_e32 v11, v6
	v_mov_b32_e32 v24, v12
	v_cmp_ne_u32_sdwa s0, v72, v39 src0_sel:BYTE_3 src1_sel:DWORD
	v_mov_b32_e32 v23, v11
	s_and_saveexec_b32 s13, s0
	s_cbranch_execz .LBB204_524
; %bb.519:                              ;   in Loop: Header=BB204_289 Depth=1
	v_mov_b32_e32 v13, v6
	v_mov_b32_e32 v24, v14
	v_bfe_u32 v73, v72, 24, 7
	s_mov_b32 s14, exec_lo
	v_mov_b32_e32 v23, v13
	v_cmpx_ne_u32_e32 0x7f, v73
	s_cbranch_execz .LBB204_523
; %bb.520:                              ;   in Loop: Header=BB204_289 Depth=1
	v_and_b32_sdwa v5, v72, v42 dst_sel:DWORD dst_unused:UNUSED_PAD src0_sel:BYTE_3 src1_sel:DWORD
	v_lshrrev_b32_e32 v11, 3, v73
	s_mov_b32 s15, exec_lo
	v_cmpx_gt_u32_e32 8, v73
; %bb.521:                              ;   in Loop: Header=BB204_289 Depth=1
	v_ffbh_u32_e32 v11, v5
	v_min_u32_e32 v11, 32, v11
	v_subrev_nc_u32_e32 v13, 28, v11
	v_sub_nc_u32_e32 v11, 29, v11
	v_lshlrev_b64 v[23:24], v13, v[5:6]
	v_and_b32_e32 v5, 7, v23
; %bb.522:                              ;   in Loop: Header=BB204_289 Depth=1
	s_or_b32 exec_lo, exec_lo, s15
	v_lshlrev_b32_sdwa v13, v44, v72 dst_sel:DWORD dst_unused:UNUSED_PAD src0_sel:DWORD src1_sel:BYTE_3
	v_lshlrev_b32_e32 v5, 20, v5
	v_lshl_add_u32 v11, v11, 23, 0x3c000000
	v_mov_b32_e32 v23, v6
	v_and_b32_e32 v13, 0x80000000, v13
	v_or3_b32 v24, v5, v13, v11
.LBB204_523:                            ;   in Loop: Header=BB204_289 Depth=1
	s_or_b32 exec_lo, exec_lo, s14
.LBB204_524:                            ;   in Loop: Header=BB204_289 Depth=1
	s_or_b32 exec_lo, exec_lo, s13
.LBB204_525:                            ;   in Loop: Header=BB204_289 Depth=1
	s_or_b32 exec_lo, exec_lo, s9
	v_or_b32_e32 v5, v20, v18
	v_or_b32_e32 v11, v19, v17
	;; [unrolled: 1-line block ×4, first 2 shown]
	v_mul_f32_e32 v72, s6, v5
	v_mul_f32_e32 v73, s3, v11
	;; [unrolled: 1-line block ×4, first 2 shown]
	s_and_saveexec_b32 s9, vcc_lo
	s_cbranch_execz .LBB204_527
; %bb.526:                              ;   in Loop: Header=BB204_289 Depth=1
	v_cmp_gt_i32_e64 s0, s27, v49
	v_cndmask_b32_e64 v73, 0, v73, s0
	v_cmp_gt_i32_e64 s0, s27, v51
	v_cndmask_b32_e64 v72, 0, v72, s0
	;; [unrolled: 2-line block ×4, first 2 shown]
.LBB204_527:                            ;   in Loop: Header=BB204_289 Depth=1
	s_or_b32 exec_lo, exec_lo, s9
	global_load_dword v74, v[15:16], off offset:896
	v_mov_b32_e32 v17, 0
	v_mov_b32_e32 v15, 0
	;; [unrolled: 1-line block ×4, first 2 shown]
	s_waitcnt vmcnt(0)
	v_cmp_ne_u16_sdwa s0, v74, v6 src0_sel:BYTE_0 src1_sel:DWORD
	s_and_saveexec_b32 s9, s0
	s_cbranch_execz .LBB204_535
; %bb.528:                              ;   in Loop: Header=BB204_289 Depth=1
	v_bfrev_b32_e32 v15, 1
	v_mov_b32_e32 v16, 0
	v_cmp_ne_u16_sdwa s0, v74, v39 src0_sel:BYTE_0 src1_sel:DWORD
	s_and_saveexec_b32 s13, s0
	s_cbranch_execz .LBB204_534
; %bb.529:                              ;   in Loop: Header=BB204_289 Depth=1
	v_mov_b32_e32 v15, 0x7f800001
	v_and_b32_e32 v13, 0x7f, v74
	v_mov_b32_e32 v16, 0
	s_mov_b32 s14, exec_lo
	v_cmpx_ne_u32_e32 0x7f, v13
	s_cbranch_execz .LBB204_533
; %bb.530:                              ;   in Loop: Header=BB204_289 Depth=1
	v_and_b32_e32 v5, 7, v74
	v_lshrrev_b32_e32 v11, 3, v13
	s_mov_b32 s15, exec_lo
	v_cmpx_gt_u32_e32 8, v13
; %bb.531:                              ;   in Loop: Header=BB204_289 Depth=1
	v_ffbh_u32_e32 v11, v5
	v_min_u32_e32 v11, 32, v11
	v_subrev_nc_u32_e32 v13, 28, v11
	v_sub_nc_u32_e32 v11, 29, v11
	v_lshlrev_b64 v[15:16], v13, v[5:6]
	v_and_b32_e32 v5, 7, v15
; %bb.532:                              ;   in Loop: Header=BB204_289 Depth=1
	s_or_b32 exec_lo, exec_lo, s15
	v_lshlrev_b32_e32 v13, 24, v74
	v_lshlrev_b32_e32 v5, 20, v5
	v_lshl_add_u32 v11, v11, 23, 0x3c000000
	v_and_b32_e32 v13, 0x80000000, v13
	v_or3_b32 v5, v5, v13, v11
	v_mov_b32_e32 v16, v6
	v_mov_b32_e32 v15, v5
.LBB204_533:                            ;   in Loop: Header=BB204_289 Depth=1
	s_or_b32 exec_lo, exec_lo, s14
.LBB204_534:                            ;   in Loop: Header=BB204_289 Depth=1
	s_or_b32 exec_lo, exec_lo, s13
.LBB204_535:                            ;   in Loop: Header=BB204_289 Depth=1
	s_or_b32 exec_lo, exec_lo, s9
	v_cmp_ne_u16_sdwa s0, v74, v6 src0_sel:BYTE_1 src1_sel:DWORD
	s_and_saveexec_b32 s9, s0
	s_cbranch_execz .LBB204_543
; %bb.536:                              ;   in Loop: Header=BB204_289 Depth=1
	v_mov_b32_e32 v11, v6
	v_mov_b32_e32 v18, v12
	v_cmp_ne_u16_sdwa s0, v74, v39 src0_sel:BYTE_1 src1_sel:DWORD
	v_mov_b32_e32 v17, v11
	s_and_saveexec_b32 s13, s0
	s_cbranch_execz .LBB204_542
; %bb.537:                              ;   in Loop: Header=BB204_289 Depth=1
	v_and_b32_sdwa v5, v40, v74 dst_sel:DWORD dst_unused:UNUSED_PAD src0_sel:DWORD src1_sel:BYTE_1
	v_mov_b32_e32 v13, v6
	v_mov_b32_e32 v18, v14
	s_mov_b32 s14, exec_lo
	v_and_b32_e32 v19, 0x7f, v5
	v_mov_b32_e32 v17, v13
	v_cmpx_ne_u32_e32 0x7f, v19
	s_cbranch_execz .LBB204_541
; %bb.538:                              ;   in Loop: Header=BB204_289 Depth=1
	v_and_b32_e32 v5, 7, v5
	v_lshrrev_b32_e32 v11, 3, v19
	s_mov_b32 s15, exec_lo
	v_cmpx_gt_u32_e32 8, v19
; %bb.539:                              ;   in Loop: Header=BB204_289 Depth=1
	v_ffbh_u32_e32 v11, v5
	v_min_u32_e32 v11, 32, v11
	v_subrev_nc_u32_e32 v13, 28, v11
	v_sub_nc_u32_e32 v11, 29, v11
	v_lshlrev_b64 v[17:18], v13, v[5:6]
	v_and_b32_e32 v5, 7, v17
; %bb.540:                              ;   in Loop: Header=BB204_289 Depth=1
	s_or_b32 exec_lo, exec_lo, s15
	v_lshlrev_b32_e32 v13, 16, v74
	v_lshlrev_b32_e32 v5, 20, v5
	v_lshl_add_u32 v11, v11, 23, 0x3c000000
	v_mov_b32_e32 v17, v6
	v_and_b32_e32 v13, 0x80000000, v13
	v_or3_b32 v18, v5, v13, v11
.LBB204_541:                            ;   in Loop: Header=BB204_289 Depth=1
	s_or_b32 exec_lo, exec_lo, s14
.LBB204_542:                            ;   in Loop: Header=BB204_289 Depth=1
	s_or_b32 exec_lo, exec_lo, s13
.LBB204_543:                            ;   in Loop: Header=BB204_289 Depth=1
	s_or_b32 exec_lo, exec_lo, s9
	v_mov_b32_e32 v21, 0
	v_mov_b32_e32 v19, 0
	v_and_b32_sdwa v5, v74, v41 dst_sel:DWORD dst_unused:UNUSED_PAD src0_sel:WORD_1 src1_sel:DWORD
	v_mov_b32_e32 v22, 0
	v_mov_b32_e32 v20, 0
	s_mov_b32 s9, exec_lo
	v_cmpx_ne_u16_e32 0, v5
	s_cbranch_execz .LBB204_551
; %bb.544:                              ;   in Loop: Header=BB204_289 Depth=1
	v_bfrev_b32_e32 v19, 1
	v_mov_b32_e32 v20, 0
	s_mov_b32 s13, exec_lo
	v_cmpx_ne_u16_e32 0x80, v5
	s_cbranch_execz .LBB204_550
; %bb.545:                              ;   in Loop: Header=BB204_289 Depth=1
	v_mov_b32_e32 v19, 0x7f800001
	v_bfe_u32 v13, v74, 16, 7
	v_mov_b32_e32 v20, 0
	s_mov_b32 s14, exec_lo
	v_cmpx_ne_u32_e32 0x7f, v13
	s_cbranch_execz .LBB204_549
; %bb.546:                              ;   in Loop: Header=BB204_289 Depth=1
	v_and_b32_sdwa v5, v74, v42 dst_sel:DWORD dst_unused:UNUSED_PAD src0_sel:WORD_1 src1_sel:DWORD
	v_lshrrev_b32_e32 v11, 3, v13
	s_mov_b32 s15, exec_lo
	v_cmpx_gt_u32_e32 8, v13
; %bb.547:                              ;   in Loop: Header=BB204_289 Depth=1
	v_ffbh_u32_e32 v11, v5
	v_min_u32_e32 v11, 32, v11
	v_subrev_nc_u32_e32 v13, 28, v11
	v_sub_nc_u32_e32 v11, 29, v11
	v_lshlrev_b64 v[19:20], v13, v[5:6]
	v_and_b32_e32 v5, 7, v19
; %bb.548:                              ;   in Loop: Header=BB204_289 Depth=1
	s_or_b32 exec_lo, exec_lo, s15
	v_lshlrev_b32_sdwa v13, v44, v74 dst_sel:DWORD dst_unused:UNUSED_PAD src0_sel:DWORD src1_sel:WORD_1
	v_lshlrev_b32_e32 v5, 20, v5
	v_lshl_add_u32 v11, v11, 23, 0x3c000000
	v_and_b32_e32 v13, 0x80000000, v13
	v_or3_b32 v5, v5, v13, v11
	v_mov_b32_e32 v20, v6
	v_mov_b32_e32 v19, v5
.LBB204_549:                            ;   in Loop: Header=BB204_289 Depth=1
	s_or_b32 exec_lo, exec_lo, s14
.LBB204_550:                            ;   in Loop: Header=BB204_289 Depth=1
	s_or_b32 exec_lo, exec_lo, s13
.LBB204_551:                            ;   in Loop: Header=BB204_289 Depth=1
	s_or_b32 exec_lo, exec_lo, s9
	s_mov_b32 s9, exec_lo
	v_cmpx_lt_u32_e32 0xffffff, v74
	s_cbranch_execz .LBB204_559
; %bb.552:                              ;   in Loop: Header=BB204_289 Depth=1
	v_mov_b32_e32 v11, v6
	v_mov_b32_e32 v22, v12
	v_cmp_ne_u32_sdwa s0, v74, v39 src0_sel:BYTE_3 src1_sel:DWORD
	v_mov_b32_e32 v21, v11
	s_and_saveexec_b32 s13, s0
	s_cbranch_execz .LBB204_558
; %bb.553:                              ;   in Loop: Header=BB204_289 Depth=1
	v_mov_b32_e32 v13, v6
	v_mov_b32_e32 v22, v14
	v_bfe_u32 v75, v74, 24, 7
	s_mov_b32 s14, exec_lo
	v_mov_b32_e32 v21, v13
	v_cmpx_ne_u32_e32 0x7f, v75
	s_cbranch_execz .LBB204_557
; %bb.554:                              ;   in Loop: Header=BB204_289 Depth=1
	v_and_b32_sdwa v5, v74, v42 dst_sel:DWORD dst_unused:UNUSED_PAD src0_sel:BYTE_3 src1_sel:DWORD
	v_lshrrev_b32_e32 v11, 3, v75
	s_mov_b32 s15, exec_lo
	v_cmpx_gt_u32_e32 8, v75
; %bb.555:                              ;   in Loop: Header=BB204_289 Depth=1
	v_ffbh_u32_e32 v11, v5
	v_min_u32_e32 v11, 32, v11
	v_subrev_nc_u32_e32 v13, 28, v11
	v_sub_nc_u32_e32 v11, 29, v11
	v_lshlrev_b64 v[21:22], v13, v[5:6]
	v_and_b32_e32 v5, 7, v21
; %bb.556:                              ;   in Loop: Header=BB204_289 Depth=1
	s_or_b32 exec_lo, exec_lo, s15
	v_lshlrev_b32_sdwa v13, v44, v74 dst_sel:DWORD dst_unused:UNUSED_PAD src0_sel:DWORD src1_sel:BYTE_3
	v_lshlrev_b32_e32 v5, 20, v5
	v_lshl_add_u32 v11, v11, 23, 0x3c000000
	v_mov_b32_e32 v21, v6
	v_and_b32_e32 v13, 0x80000000, v13
	v_or3_b32 v22, v5, v13, v11
.LBB204_557:                            ;   in Loop: Header=BB204_289 Depth=1
	s_or_b32 exec_lo, exec_lo, s14
.LBB204_558:                            ;   in Loop: Header=BB204_289 Depth=1
	s_or_b32 exec_lo, exec_lo, s13
.LBB204_559:                            ;   in Loop: Header=BB204_289 Depth=1
	s_or_b32 exec_lo, exec_lo, s9
	v_or_b32_e32 v5, v18, v16
	v_or_b32_e32 v11, v17, v15
	;; [unrolled: 1-line block ×4, first 2 shown]
	v_mul_f32_e32 v13, s6, v5
	v_mul_f32_e32 v15, s3, v11
	;; [unrolled: 1-line block ×4, first 2 shown]
	s_and_saveexec_b32 s0, vcc_lo
	s_cbranch_execz .LBB204_288
; %bb.560:                              ;   in Loop: Header=BB204_289 Depth=1
	v_cmp_gt_i32_e32 vcc_lo, s27, v49
	v_cndmask_b32_e32 v15, 0, v15, vcc_lo
	v_cmp_gt_i32_e32 vcc_lo, s27, v51
	v_cndmask_b32_e32 v13, 0, v13, vcc_lo
	;; [unrolled: 2-line block ×4, first 2 shown]
	s_branch .LBB204_288
.LBB204_561:
	s_or_b32 exec_lo, exec_lo, s5
.LBB204_562:
	s_or_b32 exec_lo, exec_lo, s1
	ds_bpermute_b32 v1, v26, v35
	ds_bpermute_b32 v2, v26, v37
	;; [unrolled: 1-line block ×8, first 2 shown]
	v_lshrrev_b32_e32 v9, 1, v25
	v_lshlrev_b32_e32 v11, 9, v43
	v_and_b32_e32 v12, 0x3c1, v0
	s_mov_b32 s0, exec_lo
	s_waitcnt lgkmcnt(0)
	s_waitcnt_vscnt null, 0x0
	v_lshl_add_u32 v10, v9, 2, 0x220
	s_barrier
	buffer_gl0_inv
	v_add_f32_e32 v1, v35, v1
	v_add_f32_e32 v2, v37, v2
	;; [unrolled: 1-line block ×8, first 2 shown]
	v_cmpx_eq_u32_e32 64, v12
	s_cbranch_execz .LBB204_564
; %bb.563:
	v_add_nc_u32_e32 v12, v10, v11
	v_add_nc_u32_e32 v13, 0xfffffc00, v12
	;; [unrolled: 1-line block ×9, first 2 shown]
	ds_write_b32 v13, v1
	ds_write_b32 v14, v2
	;; [unrolled: 1-line block ×8, first 2 shown]
.LBB204_564:
	s_or_b32 exec_lo, exec_lo, s0
	v_lshlrev_b32_e32 v9, 2, v9
	s_mov_b32 s1, exec_lo
	v_cmp_eq_u32_e32 vcc_lo, 0, v27
	s_waitcnt lgkmcnt(0)
	s_barrier
	v_add3_u32 v9, 0x220, v11, v9
	buffer_gl0_inv
	v_cmpx_gt_u32_e32 64, v0
	s_cbranch_execz .LBB204_575
; %bb.565:
	s_and_saveexec_b32 s0, vcc_lo
	s_cbranch_execnz .LBB204_591
; %bb.566:
	s_or_b32 exec_lo, exec_lo, s0
	s_and_saveexec_b32 s0, vcc_lo
	s_cbranch_execnz .LBB204_592
.LBB204_567:
	s_or_b32 exec_lo, exec_lo, s0
	s_and_saveexec_b32 s0, vcc_lo
	s_cbranch_execnz .LBB204_593
.LBB204_568:
	s_or_b32 exec_lo, exec_lo, s0
	s_and_saveexec_b32 s0, vcc_lo
	s_cbranch_execnz .LBB204_594
.LBB204_569:
	s_or_b32 exec_lo, exec_lo, s0
	s_and_saveexec_b32 s0, vcc_lo
	s_cbranch_execnz .LBB204_595
.LBB204_570:
	s_or_b32 exec_lo, exec_lo, s0
	s_and_saveexec_b32 s0, vcc_lo
	s_cbranch_execnz .LBB204_596
.LBB204_571:
	s_or_b32 exec_lo, exec_lo, s0
	s_and_saveexec_b32 s0, vcc_lo
	s_cbranch_execnz .LBB204_597
.LBB204_572:
	s_or_b32 exec_lo, exec_lo, s0
	s_and_saveexec_b32 s0, vcc_lo
	s_cbranch_execz .LBB204_574
.LBB204_573:
	ds_read_b32 v11, v9 offset:448
	s_waitcnt lgkmcnt(0)
	v_add_f32_e32 v8, v8, v11
.LBB204_574:
	s_or_b32 exec_lo, exec_lo, s0
.LBB204_575:
	s_or_b32 exec_lo, exec_lo, s1
	v_and_b32_e32 v11, 0x3e1, v0
	s_mov_b32 s1, exec_lo
	s_barrier
	buffer_gl0_inv
	v_cmpx_eq_u32_e32 32, v11
	s_cbranch_execz .LBB204_577
; %bb.576:
	ds_write2_b32 v10, v1, v2 offset1:16
	ds_write2_b32 v10, v3, v4 offset0:32 offset1:48
	ds_write2_b32 v10, v5, v6 offset0:64 offset1:80
	;; [unrolled: 1-line block ×3, first 2 shown]
.LBB204_577:
	s_or_b32 exec_lo, exec_lo, s1
	s_mov_b32 s1, exec_lo
	s_waitcnt lgkmcnt(0)
	s_barrier
	buffer_gl0_inv
	v_cmpx_gt_u32_e32 32, v0
	s_cbranch_execz .LBB204_588
; %bb.578:
	s_and_saveexec_b32 s0, vcc_lo
	s_cbranch_execnz .LBB204_598
; %bb.579:
	s_or_b32 exec_lo, exec_lo, s0
	s_and_saveexec_b32 s0, vcc_lo
	s_cbranch_execnz .LBB204_599
.LBB204_580:
	s_or_b32 exec_lo, exec_lo, s0
	s_and_saveexec_b32 s0, vcc_lo
	s_cbranch_execnz .LBB204_600
.LBB204_581:
	s_or_b32 exec_lo, exec_lo, s0
	s_and_saveexec_b32 s0, vcc_lo
	s_cbranch_execnz .LBB204_601
.LBB204_582:
	s_or_b32 exec_lo, exec_lo, s0
	s_and_saveexec_b32 s0, vcc_lo
	s_cbranch_execnz .LBB204_602
.LBB204_583:
	s_or_b32 exec_lo, exec_lo, s0
	s_and_saveexec_b32 s0, vcc_lo
	s_cbranch_execnz .LBB204_603
.LBB204_584:
	s_or_b32 exec_lo, exec_lo, s0
	s_and_saveexec_b32 s0, vcc_lo
	s_cbranch_execnz .LBB204_604
.LBB204_585:
	s_or_b32 exec_lo, exec_lo, s0
	s_and_saveexec_b32 s0, vcc_lo
	s_cbranch_execz .LBB204_587
.LBB204_586:
	ds_read_b32 v9, v9 offset:448
	s_waitcnt lgkmcnt(0)
	v_add_f32_e32 v8, v8, v9
.LBB204_587:
	s_or_b32 exec_lo, exec_lo, s0
.LBB204_588:
	s_or_b32 exec_lo, exec_lo, s1
	s_barrier
	buffer_gl0_inv
	s_mov_b32 s0, exec_lo
	v_cmpx_eq_u32_e32 0, v11
	s_cbranch_execz .LBB204_590
; %bb.589:
	s_lshl_b32 s0, s2, 7
	s_mul_i32 s2, s7, s10
	s_ashr_i32 s1, s0, 31
	v_lshlrev_b32_e32 v0, 1, v0
	s_lshl_b64 s[0:1], s[0:1], 2
	s_add_u32 s4, s24, s0
	s_addc_u32 s5, s25, s1
	s_ashr_i32 s3, s2, 31
	s_lshl_b64 s[0:1], s[2:3], 2
	s_add_u32 s2, s4, s0
	s_addc_u32 s3, s5, s1
	s_lshl_b32 s0, s8, 7
	s_ashr_i32 s1, s0, 31
	s_lshl_b64 s[0:1], s[0:1], 2
	s_add_u32 s0, s2, s0
	s_addc_u32 s1, s3, s1
	global_store_dword v0, v1, s[0:1]
	global_store_dword v0, v2, s[0:1] offset:64
	global_store_dword v0, v3, s[0:1] offset:128
	;; [unrolled: 1-line block ×7, first 2 shown]
.LBB204_590:
	s_endpgm
.LBB204_591:
	ds_read_b32 v11, v9
	s_waitcnt lgkmcnt(0)
	v_add_f32_e32 v1, v1, v11
	s_or_b32 exec_lo, exec_lo, s0
	s_and_saveexec_b32 s0, vcc_lo
	s_cbranch_execz .LBB204_567
.LBB204_592:
	ds_read_b32 v11, v9 offset:64
	s_waitcnt lgkmcnt(0)
	v_add_f32_e32 v2, v2, v11
	s_or_b32 exec_lo, exec_lo, s0
	s_and_saveexec_b32 s0, vcc_lo
	s_cbranch_execz .LBB204_568
.LBB204_593:
	ds_read_b32 v11, v9 offset:128
	s_waitcnt lgkmcnt(0)
	v_add_f32_e32 v3, v3, v11
	s_or_b32 exec_lo, exec_lo, s0
	s_and_saveexec_b32 s0, vcc_lo
	s_cbranch_execz .LBB204_569
.LBB204_594:
	ds_read_b32 v11, v9 offset:192
	s_waitcnt lgkmcnt(0)
	v_add_f32_e32 v4, v4, v11
	s_or_b32 exec_lo, exec_lo, s0
	s_and_saveexec_b32 s0, vcc_lo
	s_cbranch_execz .LBB204_570
.LBB204_595:
	ds_read_b32 v11, v9 offset:256
	s_waitcnt lgkmcnt(0)
	v_add_f32_e32 v5, v5, v11
	s_or_b32 exec_lo, exec_lo, s0
	s_and_saveexec_b32 s0, vcc_lo
	s_cbranch_execz .LBB204_571
.LBB204_596:
	ds_read_b32 v11, v9 offset:320
	s_waitcnt lgkmcnt(0)
	v_add_f32_e32 v6, v6, v11
	s_or_b32 exec_lo, exec_lo, s0
	s_and_saveexec_b32 s0, vcc_lo
	s_cbranch_execz .LBB204_572
.LBB204_597:
	ds_read_b32 v11, v9 offset:384
	s_waitcnt lgkmcnt(0)
	v_add_f32_e32 v7, v7, v11
	s_or_b32 exec_lo, exec_lo, s0
	s_and_saveexec_b32 s0, vcc_lo
	s_cbranch_execnz .LBB204_573
	s_branch .LBB204_574
.LBB204_598:
	ds_read_b32 v10, v9
	s_waitcnt lgkmcnt(0)
	v_add_f32_e32 v1, v1, v10
	s_or_b32 exec_lo, exec_lo, s0
	s_and_saveexec_b32 s0, vcc_lo
	s_cbranch_execz .LBB204_580
.LBB204_599:
	ds_read_b32 v10, v9 offset:64
	s_waitcnt lgkmcnt(0)
	v_add_f32_e32 v2, v2, v10
	s_or_b32 exec_lo, exec_lo, s0
	s_and_saveexec_b32 s0, vcc_lo
	s_cbranch_execz .LBB204_581
.LBB204_600:
	ds_read_b32 v10, v9 offset:128
	s_waitcnt lgkmcnt(0)
	v_add_f32_e32 v3, v3, v10
	s_or_b32 exec_lo, exec_lo, s0
	s_and_saveexec_b32 s0, vcc_lo
	s_cbranch_execz .LBB204_582
.LBB204_601:
	ds_read_b32 v10, v9 offset:192
	s_waitcnt lgkmcnt(0)
	v_add_f32_e32 v4, v4, v10
	s_or_b32 exec_lo, exec_lo, s0
	s_and_saveexec_b32 s0, vcc_lo
	s_cbranch_execz .LBB204_583
.LBB204_602:
	ds_read_b32 v10, v9 offset:256
	s_waitcnt lgkmcnt(0)
	v_add_f32_e32 v5, v5, v10
	s_or_b32 exec_lo, exec_lo, s0
	s_and_saveexec_b32 s0, vcc_lo
	s_cbranch_execz .LBB204_584
.LBB204_603:
	ds_read_b32 v10, v9 offset:320
	s_waitcnt lgkmcnt(0)
	v_add_f32_e32 v6, v6, v10
	s_or_b32 exec_lo, exec_lo, s0
	s_and_saveexec_b32 s0, vcc_lo
	s_cbranch_execz .LBB204_585
.LBB204_604:
	ds_read_b32 v10, v9 offset:384
	s_waitcnt lgkmcnt(0)
	v_add_f32_e32 v7, v7, v10
	s_or_b32 exec_lo, exec_lo, s0
	s_and_saveexec_b32 s0, vcc_lo
	s_cbranch_execnz .LBB204_586
	s_branch .LBB204_587
	.section	.rodata,"a",@progbits
	.p2align	6, 0x0
	.amdhsa_kernel _ZN4vllm25paged_attention_v2_kernelIfhLi128ELi8ELi128ELNS_18Fp8KVCacheDataTypeE1ELb0ELi512EEEvPfS2_PT_PKS3_PKT0_S9_ifPKiSB_iPKfiiiSD_SD_iiiii
		.amdhsa_group_segment_fixed_size 544
		.amdhsa_private_segment_fixed_size 0
		.amdhsa_kernarg_size 400
		.amdhsa_user_sgpr_count 6
		.amdhsa_user_sgpr_private_segment_buffer 1
		.amdhsa_user_sgpr_dispatch_ptr 0
		.amdhsa_user_sgpr_queue_ptr 0
		.amdhsa_user_sgpr_kernarg_segment_ptr 1
		.amdhsa_user_sgpr_dispatch_id 0
		.amdhsa_user_sgpr_flat_scratch_init 0
		.amdhsa_user_sgpr_private_segment_size 0
		.amdhsa_wavefront_size32 1
		.amdhsa_uses_dynamic_stack 0
		.amdhsa_system_sgpr_private_segment_wavefront_offset 0
		.amdhsa_system_sgpr_workgroup_id_x 1
		.amdhsa_system_sgpr_workgroup_id_y 1
		.amdhsa_system_sgpr_workgroup_id_z 1
		.amdhsa_system_sgpr_workgroup_info 0
		.amdhsa_system_vgpr_workitem_id 0
		.amdhsa_next_free_vgpr 90
		.amdhsa_next_free_sgpr 42
		.amdhsa_reserve_vcc 1
		.amdhsa_reserve_flat_scratch 0
		.amdhsa_float_round_mode_32 0
		.amdhsa_float_round_mode_16_64 0
		.amdhsa_float_denorm_mode_32 3
		.amdhsa_float_denorm_mode_16_64 3
		.amdhsa_dx10_clamp 1
		.amdhsa_ieee_mode 1
		.amdhsa_fp16_overflow 0
		.amdhsa_workgroup_processor_mode 1
		.amdhsa_memory_ordered 1
		.amdhsa_forward_progress 1
		.amdhsa_shared_vgpr_count 0
		.amdhsa_exception_fp_ieee_invalid_op 0
		.amdhsa_exception_fp_denorm_src 0
		.amdhsa_exception_fp_ieee_div_zero 0
		.amdhsa_exception_fp_ieee_overflow 0
		.amdhsa_exception_fp_ieee_underflow 0
		.amdhsa_exception_fp_ieee_inexact 0
		.amdhsa_exception_int_div_zero 0
	.end_amdhsa_kernel
	.section	.text._ZN4vllm25paged_attention_v2_kernelIfhLi128ELi8ELi128ELNS_18Fp8KVCacheDataTypeE1ELb0ELi512EEEvPfS2_PT_PKS3_PKT0_S9_ifPKiSB_iPKfiiiSD_SD_iiiii,"axG",@progbits,_ZN4vllm25paged_attention_v2_kernelIfhLi128ELi8ELi128ELNS_18Fp8KVCacheDataTypeE1ELb0ELi512EEEvPfS2_PT_PKS3_PKT0_S9_ifPKiSB_iPKfiiiSD_SD_iiiii,comdat
.Lfunc_end204:
	.size	_ZN4vllm25paged_attention_v2_kernelIfhLi128ELi8ELi128ELNS_18Fp8KVCacheDataTypeE1ELb0ELi512EEEvPfS2_PT_PKS3_PKT0_S9_ifPKiSB_iPKfiiiSD_SD_iiiii, .Lfunc_end204-_ZN4vllm25paged_attention_v2_kernelIfhLi128ELi8ELi128ELNS_18Fp8KVCacheDataTypeE1ELb0ELi512EEEvPfS2_PT_PKS3_PKT0_S9_ifPKiSB_iPKfiiiSD_SD_iiiii
                                        ; -- End function
	.set _ZN4vllm25paged_attention_v2_kernelIfhLi128ELi8ELi128ELNS_18Fp8KVCacheDataTypeE1ELb0ELi512EEEvPfS2_PT_PKS3_PKT0_S9_ifPKiSB_iPKfiiiSD_SD_iiiii.num_vgpr, 90
	.set _ZN4vllm25paged_attention_v2_kernelIfhLi128ELi8ELi128ELNS_18Fp8KVCacheDataTypeE1ELb0ELi512EEEvPfS2_PT_PKS3_PKT0_S9_ifPKiSB_iPKfiiiSD_SD_iiiii.num_agpr, 0
	.set _ZN4vllm25paged_attention_v2_kernelIfhLi128ELi8ELi128ELNS_18Fp8KVCacheDataTypeE1ELb0ELi512EEEvPfS2_PT_PKS3_PKT0_S9_ifPKiSB_iPKfiiiSD_SD_iiiii.numbered_sgpr, 42
	.set _ZN4vllm25paged_attention_v2_kernelIfhLi128ELi8ELi128ELNS_18Fp8KVCacheDataTypeE1ELb0ELi512EEEvPfS2_PT_PKS3_PKT0_S9_ifPKiSB_iPKfiiiSD_SD_iiiii.num_named_barrier, 0
	.set _ZN4vllm25paged_attention_v2_kernelIfhLi128ELi8ELi128ELNS_18Fp8KVCacheDataTypeE1ELb0ELi512EEEvPfS2_PT_PKS3_PKT0_S9_ifPKiSB_iPKfiiiSD_SD_iiiii.private_seg_size, 0
	.set _ZN4vllm25paged_attention_v2_kernelIfhLi128ELi8ELi128ELNS_18Fp8KVCacheDataTypeE1ELb0ELi512EEEvPfS2_PT_PKS3_PKT0_S9_ifPKiSB_iPKfiiiSD_SD_iiiii.uses_vcc, 1
	.set _ZN4vllm25paged_attention_v2_kernelIfhLi128ELi8ELi128ELNS_18Fp8KVCacheDataTypeE1ELb0ELi512EEEvPfS2_PT_PKS3_PKT0_S9_ifPKiSB_iPKfiiiSD_SD_iiiii.uses_flat_scratch, 0
	.set _ZN4vllm25paged_attention_v2_kernelIfhLi128ELi8ELi128ELNS_18Fp8KVCacheDataTypeE1ELb0ELi512EEEvPfS2_PT_PKS3_PKT0_S9_ifPKiSB_iPKfiiiSD_SD_iiiii.has_dyn_sized_stack, 0
	.set _ZN4vllm25paged_attention_v2_kernelIfhLi128ELi8ELi128ELNS_18Fp8KVCacheDataTypeE1ELb0ELi512EEEvPfS2_PT_PKS3_PKT0_S9_ifPKiSB_iPKfiiiSD_SD_iiiii.has_recursion, 0
	.set _ZN4vllm25paged_attention_v2_kernelIfhLi128ELi8ELi128ELNS_18Fp8KVCacheDataTypeE1ELb0ELi512EEEvPfS2_PT_PKS3_PKT0_S9_ifPKiSB_iPKfiiiSD_SD_iiiii.has_indirect_call, 0
	.section	.AMDGPU.csdata,"",@progbits
; Kernel info:
; codeLenInByte = 17108
; TotalNumSgprs: 44
; NumVgprs: 90
; ScratchSize: 0
; MemoryBound: 0
; FloatMode: 240
; IeeeMode: 1
; LDSByteSize: 544 bytes/workgroup (compile time only)
; SGPRBlocks: 0
; VGPRBlocks: 11
; NumSGPRsForWavesPerEU: 44
; NumVGPRsForWavesPerEU: 90
; Occupancy: 10
; WaveLimiterHint : 1
; COMPUTE_PGM_RSRC2:SCRATCH_EN: 0
; COMPUTE_PGM_RSRC2:USER_SGPR: 6
; COMPUTE_PGM_RSRC2:TRAP_HANDLER: 0
; COMPUTE_PGM_RSRC2:TGID_X_EN: 1
; COMPUTE_PGM_RSRC2:TGID_Y_EN: 1
; COMPUTE_PGM_RSRC2:TGID_Z_EN: 1
; COMPUTE_PGM_RSRC2:TIDIG_COMP_CNT: 0
	.section	.text._ZN4vllm25paged_attention_v2_kernelIfhLi192ELi8ELi128ELNS_18Fp8KVCacheDataTypeE1ELb0ELi512EEEvPfS2_PT_PKS3_PKT0_S9_ifPKiSB_iPKfiiiSD_SD_iiiii,"axG",@progbits,_ZN4vllm25paged_attention_v2_kernelIfhLi192ELi8ELi128ELNS_18Fp8KVCacheDataTypeE1ELb0ELi512EEEvPfS2_PT_PKS3_PKT0_S9_ifPKiSB_iPKfiiiSD_SD_iiiii,comdat
	.protected	_ZN4vllm25paged_attention_v2_kernelIfhLi192ELi8ELi128ELNS_18Fp8KVCacheDataTypeE1ELb0ELi512EEEvPfS2_PT_PKS3_PKT0_S9_ifPKiSB_iPKfiiiSD_SD_iiiii ; -- Begin function _ZN4vllm25paged_attention_v2_kernelIfhLi192ELi8ELi128ELNS_18Fp8KVCacheDataTypeE1ELb0ELi512EEEvPfS2_PT_PKS3_PKT0_S9_ifPKiSB_iPKfiiiSD_SD_iiiii
	.globl	_ZN4vllm25paged_attention_v2_kernelIfhLi192ELi8ELi128ELNS_18Fp8KVCacheDataTypeE1ELb0ELi512EEEvPfS2_PT_PKS3_PKT0_S9_ifPKiSB_iPKfiiiSD_SD_iiiii
	.p2align	8
	.type	_ZN4vllm25paged_attention_v2_kernelIfhLi192ELi8ELi128ELNS_18Fp8KVCacheDataTypeE1ELb0ELi512EEEvPfS2_PT_PKS3_PKT0_S9_ifPKiSB_iPKfiiiSD_SD_iiiii,@function
_ZN4vllm25paged_attention_v2_kernelIfhLi192ELi8ELi128ELNS_18Fp8KVCacheDataTypeE1ELb0ELi512EEEvPfS2_PT_PKS3_PKT0_S9_ifPKiSB_iPKfiiiSD_SD_iiiii: ; @_ZN4vllm25paged_attention_v2_kernelIfhLi192ELi8ELi128ELNS_18Fp8KVCacheDataTypeE1ELb0ELi512EEEvPfS2_PT_PKS3_PKT0_S9_ifPKiSB_iPKfiiiSD_SD_iiiii
; %bb.0:
	s_load_dwordx2 s[0:1], s[4:5], 0x40
	s_mov_b32 s26, s7
	s_ashr_i32 s27, s7, 31
	s_lshl_b64 s[2:3], s[26:27], 2
	s_waitcnt lgkmcnt(0)
	s_add_u32 s0, s0, s2
	s_addc_u32 s1, s1, s3
	s_lshl_b32 s33, s8, 9
	s_load_dword s27, s[0:1], 0x0
	s_waitcnt lgkmcnt(0)
	s_cmp_ge_i32 s33, s27
	s_cbranch_scc1 .LBB205_863
; %bb.1:
	s_clause 0x1
	s_load_dword s9, s[4:5], 0x90
	s_load_dwordx2 s[36:37], s[4:5], 0x30
	s_waitcnt lgkmcnt(0)
	s_abs_i32 s3, s9
	s_abs_i32 s0, s36
	v_cvt_f32_u32_e32 v1, s0
	s_sub_i32 s2, 0, s0
	v_rcp_iflag_f32_e32 v1, v1
	v_mul_f32_e32 v1, 0x4f7ffffe, v1
	v_cvt_u32_f32_e32 v1, v1
	v_readfirstlane_b32 s1, v1
	s_mul_i32 s2, s2, s1
	s_mul_hi_u32 s2, s1, s2
	s_add_i32 s1, s1, s2
	s_xor_b32 s2, s9, s36
	s_mul_hi_u32 s1, s3, s1
	s_ashr_i32 s2, s2, 31
	s_mul_i32 s7, s1, s0
	s_mov_b32 s36, 0
	s_sub_i32 s3, s3, s7
	s_add_i32 s7, s1, 1
	s_sub_i32 s10, s3, s0
	s_cmp_ge_u32 s3, s0
	s_cselect_b32 s1, s7, s1
	s_cselect_b32 s3, s10, s3
	s_add_i32 s7, s1, 1
	s_cmp_ge_u32 s3, s0
	s_cselect_b32 s0, s7, s1
	s_abs_i32 s16, s6
	s_xor_b32 s0, s0, s2
	s_sub_i32 s10, s0, s2
	s_load_dwordx2 s[0:1], s[4:5], 0x50
	s_abs_i32 s2, s10
	v_cvt_f32_u32_e32 v1, s2
	s_sub_i32 s7, 0, s2
	v_rcp_iflag_f32_e32 v1, v1
	v_mul_f32_e32 v1, 0x4f7ffffe, v1
	v_cvt_u32_f32_e32 v1, v1
	v_readfirstlane_b32 s3, v1
	s_mul_i32 s7, s7, s3
	s_mul_hi_u32 s7, s3, s7
	s_add_i32 s3, s3, s7
	s_waitcnt lgkmcnt(0)
	s_cmp_eq_u64 s[0:1], 0
	s_mul_hi_u32 s3, s16, s3
	s_cbranch_scc1 .LBB205_3
; %bb.2:
	s_ashr_i32 s7, s6, 31
	s_lshl_b64 s[12:13], s[6:7], 2
	s_add_u32 s0, s0, s12
	s_addc_u32 s1, s1, s13
	s_load_dword s36, s[0:1], 0x0
.LBB205_3:
	s_clause 0x1
	s_load_dword s7, s[4:5], 0x98
	s_load_dwordx4 s[12:15], s[4:5], 0x58
	v_and_b32_e32 v41, 3, v0
	v_lshlrev_b32_e32 v60, 2, v0
	s_ashr_i32 s17, s6, 31
	s_ashr_i32 s18, s10, 31
	s_mul_i32 s10, s6, 0xc0
	s_waitcnt lgkmcnt(0)
	s_mov_b32 s15, exec_lo
	v_cmpx_gt_u32_e32 0xc0, v0
	s_cbranch_execz .LBB205_6
; %bb.4:
	s_load_dwordx2 s[0:1], s[4:5], 0x18
	s_mul_i32 s20, s12, s26
	v_and_b32_e32 v1, 0x3fc, v0
	s_ashr_i32 s21, s20, 31
	v_cmp_gt_u32_e32 vcc_lo, 64, v0
	s_lshl_b64 s[20:21], s[20:21], 2
	v_mad_u32_u24 v1, 0xc0, v41, v1
	s_waitcnt lgkmcnt(0)
	s_add_u32 s12, s0, s20
	s_addc_u32 s19, s1, s21
	s_ashr_i32 s11, s10, 31
	s_lshl_b64 s[0:1], s[10:11], 2
	s_add_u32 s0, s12, s0
	s_addc_u32 s1, s19, s1
	global_load_dword v2, v60, s[0:1]
	s_waitcnt vmcnt(0)
	ds_write_b32 v1, v2
	s_and_b32 exec_lo, exec_lo, vcc_lo
	s_cbranch_execz .LBB205_6
; %bb.5:
	v_lshrrev_b32_e32 v2, 2, v0
	v_lshlrev_b32_e32 v3, 2, v41
	v_lshlrev_b32_e32 v2, 4, v2
	v_or3_b32 v2, v2, v3, 0x200
	global_load_dword v2, v2, s[0:1]
	s_waitcnt vmcnt(0)
	ds_write_b32 v1, v2 offset:128
.LBB205_6:
	s_or_b32 exec_lo, exec_lo, s15
	s_add_i32 s0, s27, 7
	s_xor_b32 s17, s17, s18
	s_ashr_i32 s1, s0, 31
	s_clause 0x1
	s_load_dwordx2 s[28:29], s[4:5], 0x38
	s_load_dword s18, s[4:5], 0x48
	s_lshr_b32 s1, s1, 29
	s_lshl_b32 s15, s8, 6
	s_add_i32 s0, s0, s1
	s_add_i32 s1, s15, 64
	s_ashr_i32 s12, s0, 3
	s_mul_i32 s0, s3, s2
	s_min_i32 s11, s1, s12
	s_sub_i32 s0, s16, s0
	s_add_i32 s1, s3, 1
	s_sub_i32 s16, s0, s2
	s_cmp_ge_u32 s0, s2
	v_lshrrev_b32_e32 v59, 5, v0
	s_cselect_b32 s1, s1, s3
	s_cselect_b32 s0, s16, s0
	s_add_i32 s3, s1, 1
	s_cmp_ge_u32 s0, s2
	v_or_b32_e32 v49, s15, v59
	s_cselect_b32 s0, s3, s1
	v_mbcnt_lo_u32_b32 v61, -1, 0
	s_xor_b32 s0, s0, s17
	s_waitcnt lgkmcnt(0)
	s_mul_i32 s30, s18, s26
	s_sub_i32 s1, s0, s17
	v_cmp_gt_i32_e64 s0, s11, v49
	s_ashr_i32 s31, s30, 31
	s_mov_b32 s2, exec_lo
	s_barrier
	buffer_gl0_inv
                                        ; implicit-def: $vgpr52
                                        ; implicit-def: $vgpr62
	v_cmpx_le_i32_e64 s11, v49
	s_xor_b32 s2, exec_lo, s2
; %bb.7:
	v_mov_b32_e32 v52, 0
	v_mbcnt_lo_u32_b32 v61, -1, 0
	v_mov_b32_e32 v62, 32
                                        ; implicit-def: $vgpr41
; %bb.8:
	s_or_saveexec_b32 s38, s2
	s_clause 0x3
	s_load_dwordx4 s[20:23], s[4:5], 0x0
	s_load_dwordx2 s[24:25], s[4:5], 0x10
	s_load_dwordx2 s[34:35], s[4:5], 0x28
	s_load_dwordx4 s[16:19], s[4:5], 0x68
	v_mov_b32_e32 v65, 0xff7fffff
	v_ashrrev_i32_e32 v50, 31, v49
	s_mul_i32 s14, s1, s14
	s_xor_b32 exec_lo, exec_lo, s38
	s_cbranch_execz .LBB205_398
; %bb.9:
	s_load_dwordx2 s[2:3], s[4:5], 0x20
	v_xor_b32_e32 v33, 2, v61
	v_bfe_u32 v51, v0, 2, 3
	v_xor_b32_e32 v34, 1, v61
	v_mul_u32_u24_e32 v45, 0xc0, v41
	s_ashr_i32 s1, s14, 31
	v_cmp_gt_i32_e32 vcc_lo, 32, v33
	v_lshlrev_b32_e32 v35, 4, v51
	ds_read_b128 v[1:4], v45
	ds_read_b128 v[5:8], v45 offset:16
	ds_read_b128 v[9:12], v45 offset:32
	;; [unrolled: 1-line block ×7, first 2 shown]
	v_lshlrev_b32_e32 v55, 3, v59
	v_cndmask_b32_e32 v42, v61, v33, vcc_lo
	v_cmp_gt_i32_e32 vcc_lo, 32, v34
	v_mov_b32_e32 v52, 0
	v_mov_b32_e32 v62, 32
	v_add3_u32 v66, s33, v55, v51
	v_lshlrev_b32_e32 v63, 2, v42
	v_cndmask_b32_e32 v46, v61, v34, vcc_lo
	v_lshlrev_b32_e32 v42, 2, v51
	v_cmp_eq_u32_e32 vcc_lo, 0, v41
	s_waitcnt lgkmcnt(0)
	s_add_u32 s2, s2, s14
	s_addc_u32 s1, s3, s1
	v_add_co_u32 v43, s2, s2, v35
	v_add_co_ci_u32_e64 v44, null, s1, 0, s2
	ds_read_b128 v[33:36], v45 offset:128
	ds_read_b128 v[37:40], v45 offset:144
	v_add_co_u32 v53, s2, v43, v41
	v_lshlrev_b32_e32 v64, 2, v46
	s_load_dword s4, s[16:17], 0x0
	v_add_co_ci_u32_e64 v54, null, 0, v44, s2
	v_lshl_or_b32 v57, v59, 5, v42
	ds_read_b128 v[41:44], v45 offset:160
	ds_read_b128 v[45:48], v45 offset:176
	v_lshlrev_b64 v[55:56], 2, v[49:50]
	s_lshl_b64 s[2:3], s[30:31], 2
	s_sub_i32 s5, 1, s27
	s_add_u32 s2, s28, s2
	s_addc_u32 s3, s29, s3
	v_cmp_neq_f32_e64 s1, s36, 0
	v_add_co_u32 v55, s2, s2, v55
	v_add_nc_u32_e32 v67, 0x320, v57
	v_add_co_ci_u32_e64 v56, null, s3, v56, s2
	v_mov_b32_e32 v65, 0xff7fffff
	v_mov_b32_e32 v68, 0x7f
	;; [unrolled: 1-line block ×4, first 2 shown]
	s_mov_b32 s17, s13
	s_mov_b32 s16, 0
	s_branch .LBB205_11
.LBB205_10:                             ;   in Loop: Header=BB205_11 Depth=1
	s_or_b32 exec_lo, exec_lo, s3
	v_add_nc_u32_e32 v70, 4, v70
	v_add_co_u32 v55, s3, v55, 16
	v_add_nc_u32_e32 v66, 32, v66
	v_add_nc_u32_e32 v67, 0x80, v67
	v_cmp_le_i32_e64 s2, s11, v70
	v_add_co_ci_u32_e64 v56, null, 0, v56, s3
	s_or_b32 s16, s2, s16
	s_andn2_b32 exec_lo, exec_lo, s16
	s_cbranch_execz .LBB205_397
.LBB205_11:                             ; =>This Inner Loop Header: Depth=1
	global_load_dword v51, v[55:56], off
	v_mov_b32_e32 v71, 0
	v_mov_b32_e32 v72, 0
	s_mov_b32 s3, exec_lo
	s_waitcnt vmcnt(0) lgkmcnt(0)
	v_mad_i64_i32 v[57:58], null, v51, s17, v[53:54]
	global_load_ubyte v73, v[57:58], off
	s_waitcnt vmcnt(0)
	v_cmpx_ne_u16_e32 0, v73
	s_cbranch_execz .LBB205_19
; %bb.12:                               ;   in Loop: Header=BB205_11 Depth=1
	v_bfrev_b32_e32 v72, 1
	s_mov_b32 s39, exec_lo
	v_cmpx_ne_u16_e32 0x80, v73
	s_cbranch_execz .LBB205_18
; %bb.13:                               ;   in Loop: Header=BB205_11 Depth=1
	v_and_b32_sdwa v74, v73, v68 dst_sel:DWORD dst_unused:UNUSED_PAD src0_sel:WORD_0 src1_sel:DWORD
	v_mov_b32_e32 v72, 0x7f800001
	s_mov_b32 s40, exec_lo
	v_cmpx_ne_u32_e32 0x7f, v74
	s_cbranch_execz .LBB205_17
; %bb.14:                               ;   in Loop: Header=BB205_11 Depth=1
	v_and_b32_sdwa v51, v73, v69 dst_sel:DWORD dst_unused:UNUSED_PAD src0_sel:WORD_0 src1_sel:DWORD
	v_lshrrev_b32_e32 v72, 3, v74
	s_mov_b32 s41, exec_lo
	v_cmpx_gt_u32_e32 8, v74
; %bb.15:                               ;   in Loop: Header=BB205_11 Depth=1
	v_ffbh_u32_e32 v72, v51
	v_min_u32_e32 v72, 32, v72
	v_subrev_nc_u32_e32 v74, 28, v72
	v_sub_nc_u32_e32 v72, 29, v72
	v_lshlrev_b64 v[74:75], v74, v[51:52]
	v_and_b32_e32 v51, 7, v74
; %bb.16:                               ;   in Loop: Header=BB205_11 Depth=1
	s_or_b32 exec_lo, exec_lo, s41
	v_lshlrev_b32_e32 v73, 24, v73
	v_lshlrev_b32_e32 v51, 20, v51
	v_lshl_add_u32 v72, v72, 23, 0x3c000000
	v_and_b32_e32 v73, 0x80000000, v73
	v_or3_b32 v72, v51, v73, v72
.LBB205_17:                             ;   in Loop: Header=BB205_11 Depth=1
	s_or_b32 exec_lo, exec_lo, s40
.LBB205_18:                             ;   in Loop: Header=BB205_11 Depth=1
	s_or_b32 exec_lo, exec_lo, s39
.LBB205_19:                             ;   in Loop: Header=BB205_11 Depth=1
	s_or_b32 exec_lo, exec_lo, s3
	global_load_ubyte v73, v[57:58], off offset:4
	s_mov_b32 s3, exec_lo
	s_waitcnt vmcnt(0)
	v_cmpx_ne_u16_e32 0, v73
	s_cbranch_execz .LBB205_27
; %bb.20:                               ;   in Loop: Header=BB205_11 Depth=1
	v_bfrev_b32_e32 v71, 1
	s_mov_b32 s39, exec_lo
	v_cmpx_ne_u16_e32 0x80, v73
	s_cbranch_execz .LBB205_26
; %bb.21:                               ;   in Loop: Header=BB205_11 Depth=1
	v_and_b32_sdwa v74, v73, v68 dst_sel:DWORD dst_unused:UNUSED_PAD src0_sel:WORD_0 src1_sel:DWORD
	v_mov_b32_e32 v71, 0x7f800001
	s_mov_b32 s40, exec_lo
	v_cmpx_ne_u32_e32 0x7f, v74
	s_cbranch_execz .LBB205_25
; %bb.22:                               ;   in Loop: Header=BB205_11 Depth=1
	v_and_b32_sdwa v51, v73, v69 dst_sel:DWORD dst_unused:UNUSED_PAD src0_sel:WORD_0 src1_sel:DWORD
	v_lshrrev_b32_e32 v71, 3, v74
	s_mov_b32 s41, exec_lo
	v_cmpx_gt_u32_e32 8, v74
; %bb.23:                               ;   in Loop: Header=BB205_11 Depth=1
	v_ffbh_u32_e32 v71, v51
	v_min_u32_e32 v71, 32, v71
	v_subrev_nc_u32_e32 v74, 28, v71
	v_sub_nc_u32_e32 v71, 29, v71
	v_lshlrev_b64 v[74:75], v74, v[51:52]
	v_and_b32_e32 v51, 7, v74
; %bb.24:                               ;   in Loop: Header=BB205_11 Depth=1
	s_or_b32 exec_lo, exec_lo, s41
	v_lshlrev_b32_e32 v73, 24, v73
	v_lshlrev_b32_e32 v51, 20, v51
	v_lshl_add_u32 v71, v71, 23, 0x3c000000
	v_and_b32_e32 v73, 0x80000000, v73
	v_or3_b32 v71, v51, v73, v71
.LBB205_25:                             ;   in Loop: Header=BB205_11 Depth=1
	s_or_b32 exec_lo, exec_lo, s40
.LBB205_26:                             ;   in Loop: Header=BB205_11 Depth=1
	s_or_b32 exec_lo, exec_lo, s39
.LBB205_27:                             ;   in Loop: Header=BB205_11 Depth=1
	s_or_b32 exec_lo, exec_lo, s3
	global_load_ubyte v75, v[57:58], off offset:8
	v_mov_b32_e32 v73, 0
	v_mov_b32_e32 v74, 0
	s_mov_b32 s3, exec_lo
	s_waitcnt vmcnt(0)
	v_cmpx_ne_u16_e32 0, v75
	s_cbranch_execz .LBB205_35
; %bb.28:                               ;   in Loop: Header=BB205_11 Depth=1
	v_bfrev_b32_e32 v74, 1
	s_mov_b32 s39, exec_lo
	v_cmpx_ne_u16_e32 0x80, v75
	s_cbranch_execz .LBB205_34
; %bb.29:                               ;   in Loop: Header=BB205_11 Depth=1
	v_and_b32_sdwa v76, v75, v68 dst_sel:DWORD dst_unused:UNUSED_PAD src0_sel:WORD_0 src1_sel:DWORD
	v_mov_b32_e32 v74, 0x7f800001
	s_mov_b32 s40, exec_lo
	v_cmpx_ne_u32_e32 0x7f, v76
	s_cbranch_execz .LBB205_33
; %bb.30:                               ;   in Loop: Header=BB205_11 Depth=1
	v_and_b32_sdwa v51, v75, v69 dst_sel:DWORD dst_unused:UNUSED_PAD src0_sel:WORD_0 src1_sel:DWORD
	v_lshrrev_b32_e32 v74, 3, v76
	s_mov_b32 s41, exec_lo
	v_cmpx_gt_u32_e32 8, v76
; %bb.31:                               ;   in Loop: Header=BB205_11 Depth=1
	v_ffbh_u32_e32 v74, v51
	v_min_u32_e32 v74, 32, v74
	v_subrev_nc_u32_e32 v76, 28, v74
	v_sub_nc_u32_e32 v74, 29, v74
	v_lshlrev_b64 v[76:77], v76, v[51:52]
	v_and_b32_e32 v51, 7, v76
; %bb.32:                               ;   in Loop: Header=BB205_11 Depth=1
	s_or_b32 exec_lo, exec_lo, s41
	v_lshlrev_b32_e32 v75, 24, v75
	v_lshlrev_b32_e32 v51, 20, v51
	v_lshl_add_u32 v74, v74, 23, 0x3c000000
	v_and_b32_e32 v75, 0x80000000, v75
	v_or3_b32 v74, v51, v75, v74
.LBB205_33:                             ;   in Loop: Header=BB205_11 Depth=1
	s_or_b32 exec_lo, exec_lo, s40
.LBB205_34:                             ;   in Loop: Header=BB205_11 Depth=1
	s_or_b32 exec_lo, exec_lo, s39
.LBB205_35:                             ;   in Loop: Header=BB205_11 Depth=1
	s_or_b32 exec_lo, exec_lo, s3
	global_load_ubyte v75, v[57:58], off offset:12
	s_mov_b32 s3, exec_lo
	s_waitcnt vmcnt(0)
	v_cmpx_ne_u16_e32 0, v75
	s_cbranch_execz .LBB205_43
; %bb.36:                               ;   in Loop: Header=BB205_11 Depth=1
	v_bfrev_b32_e32 v73, 1
	s_mov_b32 s39, exec_lo
	v_cmpx_ne_u16_e32 0x80, v75
	s_cbranch_execz .LBB205_42
; %bb.37:                               ;   in Loop: Header=BB205_11 Depth=1
	v_and_b32_sdwa v76, v75, v68 dst_sel:DWORD dst_unused:UNUSED_PAD src0_sel:WORD_0 src1_sel:DWORD
	v_mov_b32_e32 v73, 0x7f800001
	s_mov_b32 s40, exec_lo
	v_cmpx_ne_u32_e32 0x7f, v76
	s_cbranch_execz .LBB205_41
; %bb.38:                               ;   in Loop: Header=BB205_11 Depth=1
	v_and_b32_sdwa v51, v75, v69 dst_sel:DWORD dst_unused:UNUSED_PAD src0_sel:WORD_0 src1_sel:DWORD
	v_lshrrev_b32_e32 v73, 3, v76
	s_mov_b32 s41, exec_lo
	v_cmpx_gt_u32_e32 8, v76
; %bb.39:                               ;   in Loop: Header=BB205_11 Depth=1
	v_ffbh_u32_e32 v73, v51
	v_min_u32_e32 v73, 32, v73
	v_subrev_nc_u32_e32 v76, 28, v73
	v_sub_nc_u32_e32 v73, 29, v73
	v_lshlrev_b64 v[76:77], v76, v[51:52]
	v_and_b32_e32 v51, 7, v76
; %bb.40:                               ;   in Loop: Header=BB205_11 Depth=1
	s_or_b32 exec_lo, exec_lo, s41
	v_lshlrev_b32_e32 v75, 24, v75
	v_lshlrev_b32_e32 v51, 20, v51
	v_lshl_add_u32 v73, v73, 23, 0x3c000000
	v_and_b32_e32 v75, 0x80000000, v75
	v_or3_b32 v73, v51, v75, v73
.LBB205_41:                             ;   in Loop: Header=BB205_11 Depth=1
	s_or_b32 exec_lo, exec_lo, s40
.LBB205_42:                             ;   in Loop: Header=BB205_11 Depth=1
	s_or_b32 exec_lo, exec_lo, s39
.LBB205_43:                             ;   in Loop: Header=BB205_11 Depth=1
	s_or_b32 exec_lo, exec_lo, s3
	global_load_ubyte v77, v[57:58], off offset:128
	v_mov_b32_e32 v75, 0
	v_mov_b32_e32 v76, 0
	s_mov_b32 s3, exec_lo
	s_waitcnt vmcnt(0)
	v_cmpx_ne_u16_e32 0, v77
	s_cbranch_execz .LBB205_51
; %bb.44:                               ;   in Loop: Header=BB205_11 Depth=1
	v_bfrev_b32_e32 v76, 1
	s_mov_b32 s39, exec_lo
	v_cmpx_ne_u16_e32 0x80, v77
	s_cbranch_execz .LBB205_50
; %bb.45:                               ;   in Loop: Header=BB205_11 Depth=1
	v_and_b32_sdwa v78, v77, v68 dst_sel:DWORD dst_unused:UNUSED_PAD src0_sel:WORD_0 src1_sel:DWORD
	v_mov_b32_e32 v76, 0x7f800001
	s_mov_b32 s40, exec_lo
	v_cmpx_ne_u32_e32 0x7f, v78
	s_cbranch_execz .LBB205_49
; %bb.46:                               ;   in Loop: Header=BB205_11 Depth=1
	v_and_b32_sdwa v51, v77, v69 dst_sel:DWORD dst_unused:UNUSED_PAD src0_sel:WORD_0 src1_sel:DWORD
	v_lshrrev_b32_e32 v76, 3, v78
	s_mov_b32 s41, exec_lo
	v_cmpx_gt_u32_e32 8, v78
; %bb.47:                               ;   in Loop: Header=BB205_11 Depth=1
	v_ffbh_u32_e32 v76, v51
	v_min_u32_e32 v76, 32, v76
	v_subrev_nc_u32_e32 v78, 28, v76
	v_sub_nc_u32_e32 v76, 29, v76
	v_lshlrev_b64 v[78:79], v78, v[51:52]
	v_and_b32_e32 v51, 7, v78
; %bb.48:                               ;   in Loop: Header=BB205_11 Depth=1
	s_or_b32 exec_lo, exec_lo, s41
	v_lshlrev_b32_e32 v77, 24, v77
	v_lshlrev_b32_e32 v51, 20, v51
	v_lshl_add_u32 v76, v76, 23, 0x3c000000
	v_and_b32_e32 v77, 0x80000000, v77
	v_or3_b32 v76, v51, v77, v76
.LBB205_49:                             ;   in Loop: Header=BB205_11 Depth=1
	s_or_b32 exec_lo, exec_lo, s40
.LBB205_50:                             ;   in Loop: Header=BB205_11 Depth=1
	s_or_b32 exec_lo, exec_lo, s39
.LBB205_51:                             ;   in Loop: Header=BB205_11 Depth=1
	s_or_b32 exec_lo, exec_lo, s3
	global_load_ubyte v77, v[57:58], off offset:132
	s_mov_b32 s3, exec_lo
	s_waitcnt vmcnt(0)
	v_cmpx_ne_u16_e32 0, v77
	s_cbranch_execz .LBB205_59
; %bb.52:                               ;   in Loop: Header=BB205_11 Depth=1
	v_bfrev_b32_e32 v75, 1
	s_mov_b32 s39, exec_lo
	v_cmpx_ne_u16_e32 0x80, v77
	s_cbranch_execz .LBB205_58
; %bb.53:                               ;   in Loop: Header=BB205_11 Depth=1
	v_and_b32_sdwa v78, v77, v68 dst_sel:DWORD dst_unused:UNUSED_PAD src0_sel:WORD_0 src1_sel:DWORD
	v_mov_b32_e32 v75, 0x7f800001
	s_mov_b32 s40, exec_lo
	v_cmpx_ne_u32_e32 0x7f, v78
	s_cbranch_execz .LBB205_57
; %bb.54:                               ;   in Loop: Header=BB205_11 Depth=1
	v_and_b32_sdwa v51, v77, v69 dst_sel:DWORD dst_unused:UNUSED_PAD src0_sel:WORD_0 src1_sel:DWORD
	v_lshrrev_b32_e32 v75, 3, v78
	s_mov_b32 s41, exec_lo
	v_cmpx_gt_u32_e32 8, v78
; %bb.55:                               ;   in Loop: Header=BB205_11 Depth=1
	v_ffbh_u32_e32 v75, v51
	v_min_u32_e32 v75, 32, v75
	v_subrev_nc_u32_e32 v78, 28, v75
	v_sub_nc_u32_e32 v75, 29, v75
	v_lshlrev_b64 v[78:79], v78, v[51:52]
	v_and_b32_e32 v51, 7, v78
; %bb.56:                               ;   in Loop: Header=BB205_11 Depth=1
	s_or_b32 exec_lo, exec_lo, s41
	v_lshlrev_b32_e32 v77, 24, v77
	v_lshlrev_b32_e32 v51, 20, v51
	v_lshl_add_u32 v75, v75, 23, 0x3c000000
	v_and_b32_e32 v77, 0x80000000, v77
	v_or3_b32 v75, v51, v77, v75
.LBB205_57:                             ;   in Loop: Header=BB205_11 Depth=1
	s_or_b32 exec_lo, exec_lo, s40
.LBB205_58:                             ;   in Loop: Header=BB205_11 Depth=1
	s_or_b32 exec_lo, exec_lo, s39
.LBB205_59:                             ;   in Loop: Header=BB205_11 Depth=1
	s_or_b32 exec_lo, exec_lo, s3
	global_load_ubyte v79, v[57:58], off offset:136
	v_mov_b32_e32 v77, 0
	v_mov_b32_e32 v78, 0
	s_mov_b32 s3, exec_lo
	s_waitcnt vmcnt(0)
	v_cmpx_ne_u16_e32 0, v79
	s_cbranch_execz .LBB205_67
; %bb.60:                               ;   in Loop: Header=BB205_11 Depth=1
	v_bfrev_b32_e32 v78, 1
	s_mov_b32 s39, exec_lo
	v_cmpx_ne_u16_e32 0x80, v79
	s_cbranch_execz .LBB205_66
; %bb.61:                               ;   in Loop: Header=BB205_11 Depth=1
	v_and_b32_sdwa v80, v79, v68 dst_sel:DWORD dst_unused:UNUSED_PAD src0_sel:WORD_0 src1_sel:DWORD
	v_mov_b32_e32 v78, 0x7f800001
	s_mov_b32 s40, exec_lo
	v_cmpx_ne_u32_e32 0x7f, v80
	s_cbranch_execz .LBB205_65
; %bb.62:                               ;   in Loop: Header=BB205_11 Depth=1
	v_and_b32_sdwa v51, v79, v69 dst_sel:DWORD dst_unused:UNUSED_PAD src0_sel:WORD_0 src1_sel:DWORD
	v_lshrrev_b32_e32 v78, 3, v80
	s_mov_b32 s41, exec_lo
	v_cmpx_gt_u32_e32 8, v80
; %bb.63:                               ;   in Loop: Header=BB205_11 Depth=1
	v_ffbh_u32_e32 v78, v51
	v_min_u32_e32 v78, 32, v78
	v_subrev_nc_u32_e32 v80, 28, v78
	v_sub_nc_u32_e32 v78, 29, v78
	v_lshlrev_b64 v[80:81], v80, v[51:52]
	v_and_b32_e32 v51, 7, v80
; %bb.64:                               ;   in Loop: Header=BB205_11 Depth=1
	s_or_b32 exec_lo, exec_lo, s41
	v_lshlrev_b32_e32 v79, 24, v79
	v_lshlrev_b32_e32 v51, 20, v51
	v_lshl_add_u32 v78, v78, 23, 0x3c000000
	v_and_b32_e32 v79, 0x80000000, v79
	v_or3_b32 v78, v51, v79, v78
.LBB205_65:                             ;   in Loop: Header=BB205_11 Depth=1
	s_or_b32 exec_lo, exec_lo, s40
.LBB205_66:                             ;   in Loop: Header=BB205_11 Depth=1
	s_or_b32 exec_lo, exec_lo, s39
.LBB205_67:                             ;   in Loop: Header=BB205_11 Depth=1
	s_or_b32 exec_lo, exec_lo, s3
	global_load_ubyte v79, v[57:58], off offset:140
	s_mov_b32 s3, exec_lo
	s_waitcnt vmcnt(0)
	v_cmpx_ne_u16_e32 0, v79
	s_cbranch_execz .LBB205_75
; %bb.68:                               ;   in Loop: Header=BB205_11 Depth=1
	v_bfrev_b32_e32 v77, 1
	s_mov_b32 s39, exec_lo
	v_cmpx_ne_u16_e32 0x80, v79
	s_cbranch_execz .LBB205_74
; %bb.69:                               ;   in Loop: Header=BB205_11 Depth=1
	v_and_b32_sdwa v80, v79, v68 dst_sel:DWORD dst_unused:UNUSED_PAD src0_sel:WORD_0 src1_sel:DWORD
	v_mov_b32_e32 v77, 0x7f800001
	s_mov_b32 s40, exec_lo
	v_cmpx_ne_u32_e32 0x7f, v80
	s_cbranch_execz .LBB205_73
; %bb.70:                               ;   in Loop: Header=BB205_11 Depth=1
	v_and_b32_sdwa v51, v79, v69 dst_sel:DWORD dst_unused:UNUSED_PAD src0_sel:WORD_0 src1_sel:DWORD
	v_lshrrev_b32_e32 v77, 3, v80
	s_mov_b32 s41, exec_lo
	v_cmpx_gt_u32_e32 8, v80
; %bb.71:                               ;   in Loop: Header=BB205_11 Depth=1
	v_ffbh_u32_e32 v77, v51
	v_min_u32_e32 v77, 32, v77
	v_subrev_nc_u32_e32 v80, 28, v77
	v_sub_nc_u32_e32 v77, 29, v77
	v_lshlrev_b64 v[80:81], v80, v[51:52]
	v_and_b32_e32 v51, 7, v80
; %bb.72:                               ;   in Loop: Header=BB205_11 Depth=1
	s_or_b32 exec_lo, exec_lo, s41
	v_lshlrev_b32_e32 v79, 24, v79
	v_lshlrev_b32_e32 v51, 20, v51
	v_lshl_add_u32 v77, v77, 23, 0x3c000000
	v_and_b32_e32 v79, 0x80000000, v79
	v_or3_b32 v77, v51, v79, v77
.LBB205_73:                             ;   in Loop: Header=BB205_11 Depth=1
	s_or_b32 exec_lo, exec_lo, s40
.LBB205_74:                             ;   in Loop: Header=BB205_11 Depth=1
	s_or_b32 exec_lo, exec_lo, s39
.LBB205_75:                             ;   in Loop: Header=BB205_11 Depth=1
	s_or_b32 exec_lo, exec_lo, s3
	global_load_ubyte v81, v[57:58], off offset:256
	v_mov_b32_e32 v79, 0
	v_mov_b32_e32 v80, 0
	s_mov_b32 s3, exec_lo
	s_waitcnt vmcnt(0)
	v_cmpx_ne_u16_e32 0, v81
	s_cbranch_execz .LBB205_83
; %bb.76:                               ;   in Loop: Header=BB205_11 Depth=1
	v_bfrev_b32_e32 v80, 1
	s_mov_b32 s39, exec_lo
	v_cmpx_ne_u16_e32 0x80, v81
	s_cbranch_execz .LBB205_82
; %bb.77:                               ;   in Loop: Header=BB205_11 Depth=1
	v_and_b32_sdwa v82, v81, v68 dst_sel:DWORD dst_unused:UNUSED_PAD src0_sel:WORD_0 src1_sel:DWORD
	v_mov_b32_e32 v80, 0x7f800001
	s_mov_b32 s40, exec_lo
	v_cmpx_ne_u32_e32 0x7f, v82
	s_cbranch_execz .LBB205_81
; %bb.78:                               ;   in Loop: Header=BB205_11 Depth=1
	v_and_b32_sdwa v51, v81, v69 dst_sel:DWORD dst_unused:UNUSED_PAD src0_sel:WORD_0 src1_sel:DWORD
	v_lshrrev_b32_e32 v80, 3, v82
	s_mov_b32 s41, exec_lo
	v_cmpx_gt_u32_e32 8, v82
; %bb.79:                               ;   in Loop: Header=BB205_11 Depth=1
	v_ffbh_u32_e32 v80, v51
	v_min_u32_e32 v80, 32, v80
	v_subrev_nc_u32_e32 v82, 28, v80
	v_sub_nc_u32_e32 v80, 29, v80
	v_lshlrev_b64 v[82:83], v82, v[51:52]
	v_and_b32_e32 v51, 7, v82
; %bb.80:                               ;   in Loop: Header=BB205_11 Depth=1
	s_or_b32 exec_lo, exec_lo, s41
	v_lshlrev_b32_e32 v81, 24, v81
	v_lshlrev_b32_e32 v51, 20, v51
	v_lshl_add_u32 v80, v80, 23, 0x3c000000
	v_and_b32_e32 v81, 0x80000000, v81
	v_or3_b32 v80, v51, v81, v80
.LBB205_81:                             ;   in Loop: Header=BB205_11 Depth=1
	s_or_b32 exec_lo, exec_lo, s40
.LBB205_82:                             ;   in Loop: Header=BB205_11 Depth=1
	s_or_b32 exec_lo, exec_lo, s39
.LBB205_83:                             ;   in Loop: Header=BB205_11 Depth=1
	s_or_b32 exec_lo, exec_lo, s3
	global_load_ubyte v81, v[57:58], off offset:260
	s_mov_b32 s3, exec_lo
	s_waitcnt vmcnt(0)
	v_cmpx_ne_u16_e32 0, v81
	s_cbranch_execz .LBB205_91
; %bb.84:                               ;   in Loop: Header=BB205_11 Depth=1
	v_bfrev_b32_e32 v79, 1
	s_mov_b32 s39, exec_lo
	v_cmpx_ne_u16_e32 0x80, v81
	s_cbranch_execz .LBB205_90
; %bb.85:                               ;   in Loop: Header=BB205_11 Depth=1
	v_and_b32_sdwa v82, v81, v68 dst_sel:DWORD dst_unused:UNUSED_PAD src0_sel:WORD_0 src1_sel:DWORD
	v_mov_b32_e32 v79, 0x7f800001
	s_mov_b32 s40, exec_lo
	v_cmpx_ne_u32_e32 0x7f, v82
	s_cbranch_execz .LBB205_89
; %bb.86:                               ;   in Loop: Header=BB205_11 Depth=1
	v_and_b32_sdwa v51, v81, v69 dst_sel:DWORD dst_unused:UNUSED_PAD src0_sel:WORD_0 src1_sel:DWORD
	v_lshrrev_b32_e32 v79, 3, v82
	s_mov_b32 s41, exec_lo
	v_cmpx_gt_u32_e32 8, v82
; %bb.87:                               ;   in Loop: Header=BB205_11 Depth=1
	v_ffbh_u32_e32 v79, v51
	v_min_u32_e32 v79, 32, v79
	v_subrev_nc_u32_e32 v82, 28, v79
	v_sub_nc_u32_e32 v79, 29, v79
	v_lshlrev_b64 v[82:83], v82, v[51:52]
	v_and_b32_e32 v51, 7, v82
; %bb.88:                               ;   in Loop: Header=BB205_11 Depth=1
	s_or_b32 exec_lo, exec_lo, s41
	v_lshlrev_b32_e32 v81, 24, v81
	v_lshlrev_b32_e32 v51, 20, v51
	v_lshl_add_u32 v79, v79, 23, 0x3c000000
	v_and_b32_e32 v81, 0x80000000, v81
	v_or3_b32 v79, v51, v81, v79
.LBB205_89:                             ;   in Loop: Header=BB205_11 Depth=1
	s_or_b32 exec_lo, exec_lo, s40
.LBB205_90:                             ;   in Loop: Header=BB205_11 Depth=1
	s_or_b32 exec_lo, exec_lo, s39
.LBB205_91:                             ;   in Loop: Header=BB205_11 Depth=1
	s_or_b32 exec_lo, exec_lo, s3
	global_load_ubyte v83, v[57:58], off offset:264
	v_mov_b32_e32 v81, 0
	v_mov_b32_e32 v82, 0
	s_mov_b32 s3, exec_lo
	s_waitcnt vmcnt(0)
	v_cmpx_ne_u16_e32 0, v83
	s_cbranch_execz .LBB205_99
; %bb.92:                               ;   in Loop: Header=BB205_11 Depth=1
	v_bfrev_b32_e32 v82, 1
	s_mov_b32 s39, exec_lo
	v_cmpx_ne_u16_e32 0x80, v83
	s_cbranch_execz .LBB205_98
; %bb.93:                               ;   in Loop: Header=BB205_11 Depth=1
	v_and_b32_sdwa v84, v83, v68 dst_sel:DWORD dst_unused:UNUSED_PAD src0_sel:WORD_0 src1_sel:DWORD
	v_mov_b32_e32 v82, 0x7f800001
	s_mov_b32 s40, exec_lo
	v_cmpx_ne_u32_e32 0x7f, v84
	s_cbranch_execz .LBB205_97
; %bb.94:                               ;   in Loop: Header=BB205_11 Depth=1
	v_and_b32_sdwa v51, v83, v69 dst_sel:DWORD dst_unused:UNUSED_PAD src0_sel:WORD_0 src1_sel:DWORD
	v_lshrrev_b32_e32 v82, 3, v84
	s_mov_b32 s41, exec_lo
	v_cmpx_gt_u32_e32 8, v84
; %bb.95:                               ;   in Loop: Header=BB205_11 Depth=1
	v_ffbh_u32_e32 v82, v51
	v_min_u32_e32 v82, 32, v82
	v_subrev_nc_u32_e32 v84, 28, v82
	v_sub_nc_u32_e32 v82, 29, v82
	v_lshlrev_b64 v[84:85], v84, v[51:52]
	v_and_b32_e32 v51, 7, v84
; %bb.96:                               ;   in Loop: Header=BB205_11 Depth=1
	s_or_b32 exec_lo, exec_lo, s41
	v_lshlrev_b32_e32 v83, 24, v83
	v_lshlrev_b32_e32 v51, 20, v51
	v_lshl_add_u32 v82, v82, 23, 0x3c000000
	v_and_b32_e32 v83, 0x80000000, v83
	v_or3_b32 v82, v51, v83, v82
.LBB205_97:                             ;   in Loop: Header=BB205_11 Depth=1
	s_or_b32 exec_lo, exec_lo, s40
.LBB205_98:                             ;   in Loop: Header=BB205_11 Depth=1
	s_or_b32 exec_lo, exec_lo, s39
.LBB205_99:                             ;   in Loop: Header=BB205_11 Depth=1
	s_or_b32 exec_lo, exec_lo, s3
	global_load_ubyte v83, v[57:58], off offset:268
	s_mov_b32 s3, exec_lo
	s_waitcnt vmcnt(0)
	v_cmpx_ne_u16_e32 0, v83
	s_cbranch_execz .LBB205_107
; %bb.100:                              ;   in Loop: Header=BB205_11 Depth=1
	v_bfrev_b32_e32 v81, 1
	s_mov_b32 s39, exec_lo
	v_cmpx_ne_u16_e32 0x80, v83
	s_cbranch_execz .LBB205_106
; %bb.101:                              ;   in Loop: Header=BB205_11 Depth=1
	v_and_b32_sdwa v84, v83, v68 dst_sel:DWORD dst_unused:UNUSED_PAD src0_sel:WORD_0 src1_sel:DWORD
	v_mov_b32_e32 v81, 0x7f800001
	s_mov_b32 s40, exec_lo
	v_cmpx_ne_u32_e32 0x7f, v84
	s_cbranch_execz .LBB205_105
; %bb.102:                              ;   in Loop: Header=BB205_11 Depth=1
	v_and_b32_sdwa v51, v83, v69 dst_sel:DWORD dst_unused:UNUSED_PAD src0_sel:WORD_0 src1_sel:DWORD
	v_lshrrev_b32_e32 v81, 3, v84
	s_mov_b32 s41, exec_lo
	v_cmpx_gt_u32_e32 8, v84
; %bb.103:                              ;   in Loop: Header=BB205_11 Depth=1
	v_ffbh_u32_e32 v81, v51
	v_min_u32_e32 v81, 32, v81
	v_subrev_nc_u32_e32 v84, 28, v81
	v_sub_nc_u32_e32 v81, 29, v81
	v_lshlrev_b64 v[84:85], v84, v[51:52]
	v_and_b32_e32 v51, 7, v84
; %bb.104:                              ;   in Loop: Header=BB205_11 Depth=1
	s_or_b32 exec_lo, exec_lo, s41
	v_lshlrev_b32_e32 v83, 24, v83
	v_lshlrev_b32_e32 v51, 20, v51
	v_lshl_add_u32 v81, v81, 23, 0x3c000000
	v_and_b32_e32 v83, 0x80000000, v83
	v_or3_b32 v81, v51, v83, v81
.LBB205_105:                            ;   in Loop: Header=BB205_11 Depth=1
	s_or_b32 exec_lo, exec_lo, s40
.LBB205_106:                            ;   in Loop: Header=BB205_11 Depth=1
	s_or_b32 exec_lo, exec_lo, s39
.LBB205_107:                            ;   in Loop: Header=BB205_11 Depth=1
	s_or_b32 exec_lo, exec_lo, s3
	global_load_ubyte v85, v[57:58], off offset:384
	v_mov_b32_e32 v83, 0
	v_mov_b32_e32 v84, 0
	s_mov_b32 s3, exec_lo
	s_waitcnt vmcnt(0)
	v_cmpx_ne_u16_e32 0, v85
	s_cbranch_execz .LBB205_115
; %bb.108:                              ;   in Loop: Header=BB205_11 Depth=1
	v_bfrev_b32_e32 v84, 1
	s_mov_b32 s39, exec_lo
	v_cmpx_ne_u16_e32 0x80, v85
	s_cbranch_execz .LBB205_114
; %bb.109:                              ;   in Loop: Header=BB205_11 Depth=1
	v_and_b32_sdwa v86, v85, v68 dst_sel:DWORD dst_unused:UNUSED_PAD src0_sel:WORD_0 src1_sel:DWORD
	v_mov_b32_e32 v84, 0x7f800001
	s_mov_b32 s40, exec_lo
	v_cmpx_ne_u32_e32 0x7f, v86
	s_cbranch_execz .LBB205_113
; %bb.110:                              ;   in Loop: Header=BB205_11 Depth=1
	v_and_b32_sdwa v51, v85, v69 dst_sel:DWORD dst_unused:UNUSED_PAD src0_sel:WORD_0 src1_sel:DWORD
	v_lshrrev_b32_e32 v84, 3, v86
	s_mov_b32 s41, exec_lo
	v_cmpx_gt_u32_e32 8, v86
; %bb.111:                              ;   in Loop: Header=BB205_11 Depth=1
	v_ffbh_u32_e32 v84, v51
	v_min_u32_e32 v84, 32, v84
	v_subrev_nc_u32_e32 v86, 28, v84
	v_sub_nc_u32_e32 v84, 29, v84
	v_lshlrev_b64 v[86:87], v86, v[51:52]
	v_and_b32_e32 v51, 7, v86
; %bb.112:                              ;   in Loop: Header=BB205_11 Depth=1
	s_or_b32 exec_lo, exec_lo, s41
	v_lshlrev_b32_e32 v85, 24, v85
	v_lshlrev_b32_e32 v51, 20, v51
	v_lshl_add_u32 v84, v84, 23, 0x3c000000
	v_and_b32_e32 v85, 0x80000000, v85
	v_or3_b32 v84, v51, v85, v84
.LBB205_113:                            ;   in Loop: Header=BB205_11 Depth=1
	s_or_b32 exec_lo, exec_lo, s40
.LBB205_114:                            ;   in Loop: Header=BB205_11 Depth=1
	s_or_b32 exec_lo, exec_lo, s39
.LBB205_115:                            ;   in Loop: Header=BB205_11 Depth=1
	s_or_b32 exec_lo, exec_lo, s3
	global_load_ubyte v85, v[57:58], off offset:388
	s_mov_b32 s3, exec_lo
	s_waitcnt vmcnt(0)
	v_cmpx_ne_u16_e32 0, v85
	s_cbranch_execz .LBB205_123
; %bb.116:                              ;   in Loop: Header=BB205_11 Depth=1
	v_bfrev_b32_e32 v83, 1
	s_mov_b32 s39, exec_lo
	v_cmpx_ne_u16_e32 0x80, v85
	s_cbranch_execz .LBB205_122
; %bb.117:                              ;   in Loop: Header=BB205_11 Depth=1
	v_and_b32_sdwa v86, v85, v68 dst_sel:DWORD dst_unused:UNUSED_PAD src0_sel:WORD_0 src1_sel:DWORD
	v_mov_b32_e32 v83, 0x7f800001
	s_mov_b32 s40, exec_lo
	v_cmpx_ne_u32_e32 0x7f, v86
	s_cbranch_execz .LBB205_121
; %bb.118:                              ;   in Loop: Header=BB205_11 Depth=1
	v_and_b32_sdwa v51, v85, v69 dst_sel:DWORD dst_unused:UNUSED_PAD src0_sel:WORD_0 src1_sel:DWORD
	v_lshrrev_b32_e32 v83, 3, v86
	s_mov_b32 s41, exec_lo
	v_cmpx_gt_u32_e32 8, v86
; %bb.119:                              ;   in Loop: Header=BB205_11 Depth=1
	v_ffbh_u32_e32 v83, v51
	v_min_u32_e32 v83, 32, v83
	v_subrev_nc_u32_e32 v86, 28, v83
	v_sub_nc_u32_e32 v83, 29, v83
	v_lshlrev_b64 v[86:87], v86, v[51:52]
	v_and_b32_e32 v51, 7, v86
; %bb.120:                              ;   in Loop: Header=BB205_11 Depth=1
	s_or_b32 exec_lo, exec_lo, s41
	v_lshlrev_b32_e32 v85, 24, v85
	v_lshlrev_b32_e32 v51, 20, v51
	v_lshl_add_u32 v83, v83, 23, 0x3c000000
	v_and_b32_e32 v85, 0x80000000, v85
	v_or3_b32 v83, v51, v85, v83
.LBB205_121:                            ;   in Loop: Header=BB205_11 Depth=1
	s_or_b32 exec_lo, exec_lo, s40
.LBB205_122:                            ;   in Loop: Header=BB205_11 Depth=1
	s_or_b32 exec_lo, exec_lo, s39
.LBB205_123:                            ;   in Loop: Header=BB205_11 Depth=1
	s_or_b32 exec_lo, exec_lo, s3
	global_load_ubyte v87, v[57:58], off offset:392
	v_mov_b32_e32 v85, 0
	v_mov_b32_e32 v86, 0
	s_mov_b32 s3, exec_lo
	s_waitcnt vmcnt(0)
	v_cmpx_ne_u16_e32 0, v87
	s_cbranch_execz .LBB205_131
; %bb.124:                              ;   in Loop: Header=BB205_11 Depth=1
	v_bfrev_b32_e32 v86, 1
	s_mov_b32 s39, exec_lo
	v_cmpx_ne_u16_e32 0x80, v87
	s_cbranch_execz .LBB205_130
; %bb.125:                              ;   in Loop: Header=BB205_11 Depth=1
	v_and_b32_sdwa v88, v87, v68 dst_sel:DWORD dst_unused:UNUSED_PAD src0_sel:WORD_0 src1_sel:DWORD
	v_mov_b32_e32 v86, 0x7f800001
	s_mov_b32 s40, exec_lo
	v_cmpx_ne_u32_e32 0x7f, v88
	s_cbranch_execz .LBB205_129
; %bb.126:                              ;   in Loop: Header=BB205_11 Depth=1
	v_and_b32_sdwa v51, v87, v69 dst_sel:DWORD dst_unused:UNUSED_PAD src0_sel:WORD_0 src1_sel:DWORD
	v_lshrrev_b32_e32 v86, 3, v88
	s_mov_b32 s41, exec_lo
	v_cmpx_gt_u32_e32 8, v88
; %bb.127:                              ;   in Loop: Header=BB205_11 Depth=1
	v_ffbh_u32_e32 v86, v51
	v_min_u32_e32 v86, 32, v86
	v_subrev_nc_u32_e32 v88, 28, v86
	v_sub_nc_u32_e32 v86, 29, v86
	v_lshlrev_b64 v[88:89], v88, v[51:52]
	v_and_b32_e32 v51, 7, v88
; %bb.128:                              ;   in Loop: Header=BB205_11 Depth=1
	s_or_b32 exec_lo, exec_lo, s41
	v_lshlrev_b32_e32 v87, 24, v87
	v_lshlrev_b32_e32 v51, 20, v51
	v_lshl_add_u32 v86, v86, 23, 0x3c000000
	v_and_b32_e32 v87, 0x80000000, v87
	v_or3_b32 v86, v51, v87, v86
.LBB205_129:                            ;   in Loop: Header=BB205_11 Depth=1
	s_or_b32 exec_lo, exec_lo, s40
.LBB205_130:                            ;   in Loop: Header=BB205_11 Depth=1
	s_or_b32 exec_lo, exec_lo, s39
.LBB205_131:                            ;   in Loop: Header=BB205_11 Depth=1
	s_or_b32 exec_lo, exec_lo, s3
	global_load_ubyte v87, v[57:58], off offset:396
	s_mov_b32 s3, exec_lo
	s_waitcnt vmcnt(0)
	v_cmpx_ne_u16_e32 0, v87
	s_cbranch_execz .LBB205_139
; %bb.132:                              ;   in Loop: Header=BB205_11 Depth=1
	v_bfrev_b32_e32 v85, 1
	s_mov_b32 s39, exec_lo
	v_cmpx_ne_u16_e32 0x80, v87
	s_cbranch_execz .LBB205_138
; %bb.133:                              ;   in Loop: Header=BB205_11 Depth=1
	v_and_b32_sdwa v88, v87, v68 dst_sel:DWORD dst_unused:UNUSED_PAD src0_sel:WORD_0 src1_sel:DWORD
	v_mov_b32_e32 v85, 0x7f800001
	s_mov_b32 s40, exec_lo
	v_cmpx_ne_u32_e32 0x7f, v88
	s_cbranch_execz .LBB205_137
; %bb.134:                              ;   in Loop: Header=BB205_11 Depth=1
	v_and_b32_sdwa v51, v87, v69 dst_sel:DWORD dst_unused:UNUSED_PAD src0_sel:WORD_0 src1_sel:DWORD
	v_lshrrev_b32_e32 v85, 3, v88
	s_mov_b32 s41, exec_lo
	v_cmpx_gt_u32_e32 8, v88
; %bb.135:                              ;   in Loop: Header=BB205_11 Depth=1
	v_ffbh_u32_e32 v85, v51
	v_min_u32_e32 v85, 32, v85
	v_subrev_nc_u32_e32 v88, 28, v85
	v_sub_nc_u32_e32 v85, 29, v85
	v_lshlrev_b64 v[88:89], v88, v[51:52]
	v_and_b32_e32 v51, 7, v88
; %bb.136:                              ;   in Loop: Header=BB205_11 Depth=1
	s_or_b32 exec_lo, exec_lo, s41
	v_lshlrev_b32_e32 v87, 24, v87
	v_lshlrev_b32_e32 v51, 20, v51
	v_lshl_add_u32 v85, v85, 23, 0x3c000000
	v_and_b32_e32 v87, 0x80000000, v87
	v_or3_b32 v85, v51, v87, v85
.LBB205_137:                            ;   in Loop: Header=BB205_11 Depth=1
	s_or_b32 exec_lo, exec_lo, s40
.LBB205_138:                            ;   in Loop: Header=BB205_11 Depth=1
	s_or_b32 exec_lo, exec_lo, s39
.LBB205_139:                            ;   in Loop: Header=BB205_11 Depth=1
	s_or_b32 exec_lo, exec_lo, s3
	global_load_ubyte v89, v[57:58], off offset:512
	v_mov_b32_e32 v87, 0
	v_mov_b32_e32 v88, 0
	s_mov_b32 s3, exec_lo
	s_waitcnt vmcnt(0)
	v_cmpx_ne_u16_e32 0, v89
	s_cbranch_execz .LBB205_147
; %bb.140:                              ;   in Loop: Header=BB205_11 Depth=1
	v_bfrev_b32_e32 v88, 1
	s_mov_b32 s39, exec_lo
	v_cmpx_ne_u16_e32 0x80, v89
	s_cbranch_execz .LBB205_146
; %bb.141:                              ;   in Loop: Header=BB205_11 Depth=1
	v_and_b32_sdwa v90, v89, v68 dst_sel:DWORD dst_unused:UNUSED_PAD src0_sel:WORD_0 src1_sel:DWORD
	v_mov_b32_e32 v88, 0x7f800001
	s_mov_b32 s40, exec_lo
	v_cmpx_ne_u32_e32 0x7f, v90
	s_cbranch_execz .LBB205_145
; %bb.142:                              ;   in Loop: Header=BB205_11 Depth=1
	v_and_b32_sdwa v51, v89, v69 dst_sel:DWORD dst_unused:UNUSED_PAD src0_sel:WORD_0 src1_sel:DWORD
	v_lshrrev_b32_e32 v88, 3, v90
	s_mov_b32 s41, exec_lo
	v_cmpx_gt_u32_e32 8, v90
; %bb.143:                              ;   in Loop: Header=BB205_11 Depth=1
	v_ffbh_u32_e32 v88, v51
	v_min_u32_e32 v88, 32, v88
	v_subrev_nc_u32_e32 v90, 28, v88
	v_sub_nc_u32_e32 v88, 29, v88
	v_lshlrev_b64 v[90:91], v90, v[51:52]
	v_and_b32_e32 v51, 7, v90
; %bb.144:                              ;   in Loop: Header=BB205_11 Depth=1
	s_or_b32 exec_lo, exec_lo, s41
	v_lshlrev_b32_e32 v89, 24, v89
	v_lshlrev_b32_e32 v51, 20, v51
	v_lshl_add_u32 v88, v88, 23, 0x3c000000
	v_and_b32_e32 v89, 0x80000000, v89
	v_or3_b32 v88, v51, v89, v88
.LBB205_145:                            ;   in Loop: Header=BB205_11 Depth=1
	s_or_b32 exec_lo, exec_lo, s40
.LBB205_146:                            ;   in Loop: Header=BB205_11 Depth=1
	s_or_b32 exec_lo, exec_lo, s39
.LBB205_147:                            ;   in Loop: Header=BB205_11 Depth=1
	s_or_b32 exec_lo, exec_lo, s3
	global_load_ubyte v89, v[57:58], off offset:516
	s_mov_b32 s3, exec_lo
	s_waitcnt vmcnt(0)
	v_cmpx_ne_u16_e32 0, v89
	s_cbranch_execz .LBB205_155
; %bb.148:                              ;   in Loop: Header=BB205_11 Depth=1
	v_bfrev_b32_e32 v87, 1
	s_mov_b32 s39, exec_lo
	v_cmpx_ne_u16_e32 0x80, v89
	s_cbranch_execz .LBB205_154
; %bb.149:                              ;   in Loop: Header=BB205_11 Depth=1
	v_and_b32_sdwa v90, v89, v68 dst_sel:DWORD dst_unused:UNUSED_PAD src0_sel:WORD_0 src1_sel:DWORD
	v_mov_b32_e32 v87, 0x7f800001
	s_mov_b32 s40, exec_lo
	v_cmpx_ne_u32_e32 0x7f, v90
	s_cbranch_execz .LBB205_153
; %bb.150:                              ;   in Loop: Header=BB205_11 Depth=1
	v_and_b32_sdwa v51, v89, v69 dst_sel:DWORD dst_unused:UNUSED_PAD src0_sel:WORD_0 src1_sel:DWORD
	v_lshrrev_b32_e32 v87, 3, v90
	s_mov_b32 s41, exec_lo
	v_cmpx_gt_u32_e32 8, v90
; %bb.151:                              ;   in Loop: Header=BB205_11 Depth=1
	v_ffbh_u32_e32 v87, v51
	v_min_u32_e32 v87, 32, v87
	v_subrev_nc_u32_e32 v90, 28, v87
	v_sub_nc_u32_e32 v87, 29, v87
	v_lshlrev_b64 v[90:91], v90, v[51:52]
	v_and_b32_e32 v51, 7, v90
; %bb.152:                              ;   in Loop: Header=BB205_11 Depth=1
	s_or_b32 exec_lo, exec_lo, s41
	v_lshlrev_b32_e32 v89, 24, v89
	v_lshlrev_b32_e32 v51, 20, v51
	v_lshl_add_u32 v87, v87, 23, 0x3c000000
	v_and_b32_e32 v89, 0x80000000, v89
	v_or3_b32 v87, v51, v89, v87
.LBB205_153:                            ;   in Loop: Header=BB205_11 Depth=1
	s_or_b32 exec_lo, exec_lo, s40
.LBB205_154:                            ;   in Loop: Header=BB205_11 Depth=1
	s_or_b32 exec_lo, exec_lo, s39
.LBB205_155:                            ;   in Loop: Header=BB205_11 Depth=1
	s_or_b32 exec_lo, exec_lo, s3
	global_load_ubyte v91, v[57:58], off offset:520
	v_mov_b32_e32 v89, 0
	v_mov_b32_e32 v90, 0
	s_mov_b32 s3, exec_lo
	s_waitcnt vmcnt(0)
	v_cmpx_ne_u16_e32 0, v91
	s_cbranch_execz .LBB205_163
; %bb.156:                              ;   in Loop: Header=BB205_11 Depth=1
	v_bfrev_b32_e32 v90, 1
	s_mov_b32 s39, exec_lo
	v_cmpx_ne_u16_e32 0x80, v91
	s_cbranch_execz .LBB205_162
; %bb.157:                              ;   in Loop: Header=BB205_11 Depth=1
	v_and_b32_sdwa v92, v91, v68 dst_sel:DWORD dst_unused:UNUSED_PAD src0_sel:WORD_0 src1_sel:DWORD
	v_mov_b32_e32 v90, 0x7f800001
	s_mov_b32 s40, exec_lo
	v_cmpx_ne_u32_e32 0x7f, v92
	s_cbranch_execz .LBB205_161
; %bb.158:                              ;   in Loop: Header=BB205_11 Depth=1
	v_and_b32_sdwa v51, v91, v69 dst_sel:DWORD dst_unused:UNUSED_PAD src0_sel:WORD_0 src1_sel:DWORD
	v_lshrrev_b32_e32 v90, 3, v92
	s_mov_b32 s41, exec_lo
	v_cmpx_gt_u32_e32 8, v92
; %bb.159:                              ;   in Loop: Header=BB205_11 Depth=1
	v_ffbh_u32_e32 v90, v51
	v_min_u32_e32 v90, 32, v90
	v_subrev_nc_u32_e32 v92, 28, v90
	v_sub_nc_u32_e32 v90, 29, v90
	v_lshlrev_b64 v[92:93], v92, v[51:52]
	v_and_b32_e32 v51, 7, v92
; %bb.160:                              ;   in Loop: Header=BB205_11 Depth=1
	s_or_b32 exec_lo, exec_lo, s41
	v_lshlrev_b32_e32 v91, 24, v91
	v_lshlrev_b32_e32 v51, 20, v51
	v_lshl_add_u32 v90, v90, 23, 0x3c000000
	v_and_b32_e32 v91, 0x80000000, v91
	v_or3_b32 v90, v51, v91, v90
.LBB205_161:                            ;   in Loop: Header=BB205_11 Depth=1
	s_or_b32 exec_lo, exec_lo, s40
.LBB205_162:                            ;   in Loop: Header=BB205_11 Depth=1
	s_or_b32 exec_lo, exec_lo, s39
.LBB205_163:                            ;   in Loop: Header=BB205_11 Depth=1
	s_or_b32 exec_lo, exec_lo, s3
	global_load_ubyte v91, v[57:58], off offset:524
	s_mov_b32 s3, exec_lo
	s_waitcnt vmcnt(0)
	v_cmpx_ne_u16_e32 0, v91
	s_cbranch_execz .LBB205_171
; %bb.164:                              ;   in Loop: Header=BB205_11 Depth=1
	v_bfrev_b32_e32 v89, 1
	s_mov_b32 s39, exec_lo
	v_cmpx_ne_u16_e32 0x80, v91
	s_cbranch_execz .LBB205_170
; %bb.165:                              ;   in Loop: Header=BB205_11 Depth=1
	v_and_b32_sdwa v92, v91, v68 dst_sel:DWORD dst_unused:UNUSED_PAD src0_sel:WORD_0 src1_sel:DWORD
	v_mov_b32_e32 v89, 0x7f800001
	s_mov_b32 s40, exec_lo
	v_cmpx_ne_u32_e32 0x7f, v92
	s_cbranch_execz .LBB205_169
; %bb.166:                              ;   in Loop: Header=BB205_11 Depth=1
	v_and_b32_sdwa v51, v91, v69 dst_sel:DWORD dst_unused:UNUSED_PAD src0_sel:WORD_0 src1_sel:DWORD
	v_lshrrev_b32_e32 v89, 3, v92
	s_mov_b32 s41, exec_lo
	v_cmpx_gt_u32_e32 8, v92
; %bb.167:                              ;   in Loop: Header=BB205_11 Depth=1
	v_ffbh_u32_e32 v89, v51
	v_min_u32_e32 v89, 32, v89
	v_subrev_nc_u32_e32 v92, 28, v89
	v_sub_nc_u32_e32 v89, 29, v89
	v_lshlrev_b64 v[92:93], v92, v[51:52]
	v_and_b32_e32 v51, 7, v92
; %bb.168:                              ;   in Loop: Header=BB205_11 Depth=1
	s_or_b32 exec_lo, exec_lo, s41
	v_lshlrev_b32_e32 v91, 24, v91
	v_lshlrev_b32_e32 v51, 20, v51
	v_lshl_add_u32 v89, v89, 23, 0x3c000000
	v_and_b32_e32 v91, 0x80000000, v91
	v_or3_b32 v89, v51, v91, v89
.LBB205_169:                            ;   in Loop: Header=BB205_11 Depth=1
	s_or_b32 exec_lo, exec_lo, s40
.LBB205_170:                            ;   in Loop: Header=BB205_11 Depth=1
	s_or_b32 exec_lo, exec_lo, s39
.LBB205_171:                            ;   in Loop: Header=BB205_11 Depth=1
	s_or_b32 exec_lo, exec_lo, s3
	global_load_ubyte v93, v[57:58], off offset:640
	v_mov_b32_e32 v91, 0
	v_mov_b32_e32 v92, 0
	s_mov_b32 s3, exec_lo
	s_waitcnt vmcnt(0)
	v_cmpx_ne_u16_e32 0, v93
	s_cbranch_execz .LBB205_179
; %bb.172:                              ;   in Loop: Header=BB205_11 Depth=1
	v_bfrev_b32_e32 v92, 1
	s_mov_b32 s39, exec_lo
	v_cmpx_ne_u16_e32 0x80, v93
	s_cbranch_execz .LBB205_178
; %bb.173:                              ;   in Loop: Header=BB205_11 Depth=1
	v_and_b32_sdwa v94, v93, v68 dst_sel:DWORD dst_unused:UNUSED_PAD src0_sel:WORD_0 src1_sel:DWORD
	v_mov_b32_e32 v92, 0x7f800001
	s_mov_b32 s40, exec_lo
	v_cmpx_ne_u32_e32 0x7f, v94
	s_cbranch_execz .LBB205_177
; %bb.174:                              ;   in Loop: Header=BB205_11 Depth=1
	v_and_b32_sdwa v51, v93, v69 dst_sel:DWORD dst_unused:UNUSED_PAD src0_sel:WORD_0 src1_sel:DWORD
	v_lshrrev_b32_e32 v92, 3, v94
	s_mov_b32 s41, exec_lo
	v_cmpx_gt_u32_e32 8, v94
; %bb.175:                              ;   in Loop: Header=BB205_11 Depth=1
	v_ffbh_u32_e32 v92, v51
	v_min_u32_e32 v92, 32, v92
	v_subrev_nc_u32_e32 v94, 28, v92
	v_sub_nc_u32_e32 v92, 29, v92
	v_lshlrev_b64 v[94:95], v94, v[51:52]
	v_and_b32_e32 v51, 7, v94
; %bb.176:                              ;   in Loop: Header=BB205_11 Depth=1
	s_or_b32 exec_lo, exec_lo, s41
	v_lshlrev_b32_e32 v93, 24, v93
	v_lshlrev_b32_e32 v51, 20, v51
	v_lshl_add_u32 v92, v92, 23, 0x3c000000
	v_and_b32_e32 v93, 0x80000000, v93
	v_or3_b32 v92, v51, v93, v92
.LBB205_177:                            ;   in Loop: Header=BB205_11 Depth=1
	s_or_b32 exec_lo, exec_lo, s40
.LBB205_178:                            ;   in Loop: Header=BB205_11 Depth=1
	s_or_b32 exec_lo, exec_lo, s39
.LBB205_179:                            ;   in Loop: Header=BB205_11 Depth=1
	s_or_b32 exec_lo, exec_lo, s3
	global_load_ubyte v93, v[57:58], off offset:644
	s_mov_b32 s3, exec_lo
	s_waitcnt vmcnt(0)
	v_cmpx_ne_u16_e32 0, v93
	s_cbranch_execz .LBB205_187
; %bb.180:                              ;   in Loop: Header=BB205_11 Depth=1
	v_bfrev_b32_e32 v91, 1
	s_mov_b32 s39, exec_lo
	v_cmpx_ne_u16_e32 0x80, v93
	s_cbranch_execz .LBB205_186
; %bb.181:                              ;   in Loop: Header=BB205_11 Depth=1
	v_and_b32_sdwa v94, v93, v68 dst_sel:DWORD dst_unused:UNUSED_PAD src0_sel:WORD_0 src1_sel:DWORD
	v_mov_b32_e32 v91, 0x7f800001
	s_mov_b32 s40, exec_lo
	v_cmpx_ne_u32_e32 0x7f, v94
	s_cbranch_execz .LBB205_185
; %bb.182:                              ;   in Loop: Header=BB205_11 Depth=1
	v_and_b32_sdwa v51, v93, v69 dst_sel:DWORD dst_unused:UNUSED_PAD src0_sel:WORD_0 src1_sel:DWORD
	v_lshrrev_b32_e32 v91, 3, v94
	s_mov_b32 s41, exec_lo
	v_cmpx_gt_u32_e32 8, v94
; %bb.183:                              ;   in Loop: Header=BB205_11 Depth=1
	v_ffbh_u32_e32 v91, v51
	v_min_u32_e32 v91, 32, v91
	v_subrev_nc_u32_e32 v94, 28, v91
	v_sub_nc_u32_e32 v91, 29, v91
	v_lshlrev_b64 v[94:95], v94, v[51:52]
	v_and_b32_e32 v51, 7, v94
; %bb.184:                              ;   in Loop: Header=BB205_11 Depth=1
	s_or_b32 exec_lo, exec_lo, s41
	v_lshlrev_b32_e32 v93, 24, v93
	v_lshlrev_b32_e32 v51, 20, v51
	v_lshl_add_u32 v91, v91, 23, 0x3c000000
	v_and_b32_e32 v93, 0x80000000, v93
	v_or3_b32 v91, v51, v93, v91
.LBB205_185:                            ;   in Loop: Header=BB205_11 Depth=1
	s_or_b32 exec_lo, exec_lo, s40
.LBB205_186:                            ;   in Loop: Header=BB205_11 Depth=1
	s_or_b32 exec_lo, exec_lo, s39
.LBB205_187:                            ;   in Loop: Header=BB205_11 Depth=1
	s_or_b32 exec_lo, exec_lo, s3
	global_load_ubyte v95, v[57:58], off offset:648
	v_mov_b32_e32 v93, 0
	v_mov_b32_e32 v94, 0
	s_mov_b32 s3, exec_lo
	s_waitcnt vmcnt(0)
	v_cmpx_ne_u16_e32 0, v95
	s_cbranch_execz .LBB205_195
; %bb.188:                              ;   in Loop: Header=BB205_11 Depth=1
	v_bfrev_b32_e32 v94, 1
	s_mov_b32 s39, exec_lo
	v_cmpx_ne_u16_e32 0x80, v95
	s_cbranch_execz .LBB205_194
; %bb.189:                              ;   in Loop: Header=BB205_11 Depth=1
	v_and_b32_sdwa v96, v95, v68 dst_sel:DWORD dst_unused:UNUSED_PAD src0_sel:WORD_0 src1_sel:DWORD
	v_mov_b32_e32 v94, 0x7f800001
	s_mov_b32 s40, exec_lo
	v_cmpx_ne_u32_e32 0x7f, v96
	s_cbranch_execz .LBB205_193
; %bb.190:                              ;   in Loop: Header=BB205_11 Depth=1
	v_and_b32_sdwa v51, v95, v69 dst_sel:DWORD dst_unused:UNUSED_PAD src0_sel:WORD_0 src1_sel:DWORD
	v_lshrrev_b32_e32 v94, 3, v96
	s_mov_b32 s41, exec_lo
	v_cmpx_gt_u32_e32 8, v96
; %bb.191:                              ;   in Loop: Header=BB205_11 Depth=1
	v_ffbh_u32_e32 v94, v51
	v_min_u32_e32 v94, 32, v94
	v_subrev_nc_u32_e32 v96, 28, v94
	v_sub_nc_u32_e32 v94, 29, v94
	v_lshlrev_b64 v[96:97], v96, v[51:52]
	v_and_b32_e32 v51, 7, v96
; %bb.192:                              ;   in Loop: Header=BB205_11 Depth=1
	s_or_b32 exec_lo, exec_lo, s41
	v_lshlrev_b32_e32 v95, 24, v95
	v_lshlrev_b32_e32 v51, 20, v51
	v_lshl_add_u32 v94, v94, 23, 0x3c000000
	v_and_b32_e32 v95, 0x80000000, v95
	v_or3_b32 v94, v51, v95, v94
.LBB205_193:                            ;   in Loop: Header=BB205_11 Depth=1
	s_or_b32 exec_lo, exec_lo, s40
.LBB205_194:                            ;   in Loop: Header=BB205_11 Depth=1
	s_or_b32 exec_lo, exec_lo, s39
.LBB205_195:                            ;   in Loop: Header=BB205_11 Depth=1
	s_or_b32 exec_lo, exec_lo, s3
	global_load_ubyte v95, v[57:58], off offset:652
	s_mov_b32 s3, exec_lo
	s_waitcnt vmcnt(0)
	v_cmpx_ne_u16_e32 0, v95
	s_cbranch_execz .LBB205_203
; %bb.196:                              ;   in Loop: Header=BB205_11 Depth=1
	v_bfrev_b32_e32 v93, 1
	s_mov_b32 s39, exec_lo
	v_cmpx_ne_u16_e32 0x80, v95
	s_cbranch_execz .LBB205_202
; %bb.197:                              ;   in Loop: Header=BB205_11 Depth=1
	v_and_b32_sdwa v96, v95, v68 dst_sel:DWORD dst_unused:UNUSED_PAD src0_sel:WORD_0 src1_sel:DWORD
	v_mov_b32_e32 v93, 0x7f800001
	s_mov_b32 s40, exec_lo
	v_cmpx_ne_u32_e32 0x7f, v96
	s_cbranch_execz .LBB205_201
; %bb.198:                              ;   in Loop: Header=BB205_11 Depth=1
	v_and_b32_sdwa v51, v95, v69 dst_sel:DWORD dst_unused:UNUSED_PAD src0_sel:WORD_0 src1_sel:DWORD
	v_lshrrev_b32_e32 v93, 3, v96
	s_mov_b32 s41, exec_lo
	v_cmpx_gt_u32_e32 8, v96
; %bb.199:                              ;   in Loop: Header=BB205_11 Depth=1
	v_ffbh_u32_e32 v93, v51
	v_min_u32_e32 v93, 32, v93
	v_subrev_nc_u32_e32 v96, 28, v93
	v_sub_nc_u32_e32 v93, 29, v93
	v_lshlrev_b64 v[96:97], v96, v[51:52]
	v_and_b32_e32 v51, 7, v96
; %bb.200:                              ;   in Loop: Header=BB205_11 Depth=1
	s_or_b32 exec_lo, exec_lo, s41
	v_lshlrev_b32_e32 v95, 24, v95
	v_lshlrev_b32_e32 v51, 20, v51
	v_lshl_add_u32 v93, v93, 23, 0x3c000000
	v_and_b32_e32 v95, 0x80000000, v95
	v_or3_b32 v93, v51, v95, v93
.LBB205_201:                            ;   in Loop: Header=BB205_11 Depth=1
	s_or_b32 exec_lo, exec_lo, s40
.LBB205_202:                            ;   in Loop: Header=BB205_11 Depth=1
	s_or_b32 exec_lo, exec_lo, s39
.LBB205_203:                            ;   in Loop: Header=BB205_11 Depth=1
	s_or_b32 exec_lo, exec_lo, s3
	global_load_ubyte v97, v[57:58], off offset:768
	v_mov_b32_e32 v95, 0
	v_mov_b32_e32 v96, 0
	s_mov_b32 s3, exec_lo
	s_waitcnt vmcnt(0)
	v_cmpx_ne_u16_e32 0, v97
	s_cbranch_execz .LBB205_211
; %bb.204:                              ;   in Loop: Header=BB205_11 Depth=1
	v_bfrev_b32_e32 v96, 1
	s_mov_b32 s39, exec_lo
	v_cmpx_ne_u16_e32 0x80, v97
	s_cbranch_execz .LBB205_210
; %bb.205:                              ;   in Loop: Header=BB205_11 Depth=1
	v_and_b32_sdwa v98, v97, v68 dst_sel:DWORD dst_unused:UNUSED_PAD src0_sel:WORD_0 src1_sel:DWORD
	v_mov_b32_e32 v96, 0x7f800001
	s_mov_b32 s40, exec_lo
	v_cmpx_ne_u32_e32 0x7f, v98
	s_cbranch_execz .LBB205_209
; %bb.206:                              ;   in Loop: Header=BB205_11 Depth=1
	v_and_b32_sdwa v51, v97, v69 dst_sel:DWORD dst_unused:UNUSED_PAD src0_sel:WORD_0 src1_sel:DWORD
	v_lshrrev_b32_e32 v96, 3, v98
	s_mov_b32 s41, exec_lo
	v_cmpx_gt_u32_e32 8, v98
; %bb.207:                              ;   in Loop: Header=BB205_11 Depth=1
	v_ffbh_u32_e32 v96, v51
	v_min_u32_e32 v96, 32, v96
	v_subrev_nc_u32_e32 v98, 28, v96
	v_sub_nc_u32_e32 v96, 29, v96
	v_lshlrev_b64 v[98:99], v98, v[51:52]
	v_and_b32_e32 v51, 7, v98
; %bb.208:                              ;   in Loop: Header=BB205_11 Depth=1
	s_or_b32 exec_lo, exec_lo, s41
	v_lshlrev_b32_e32 v97, 24, v97
	v_lshlrev_b32_e32 v51, 20, v51
	v_lshl_add_u32 v96, v96, 23, 0x3c000000
	v_and_b32_e32 v97, 0x80000000, v97
	v_or3_b32 v96, v51, v97, v96
.LBB205_209:                            ;   in Loop: Header=BB205_11 Depth=1
	s_or_b32 exec_lo, exec_lo, s40
.LBB205_210:                            ;   in Loop: Header=BB205_11 Depth=1
	s_or_b32 exec_lo, exec_lo, s39
.LBB205_211:                            ;   in Loop: Header=BB205_11 Depth=1
	s_or_b32 exec_lo, exec_lo, s3
	global_load_ubyte v97, v[57:58], off offset:772
	s_mov_b32 s3, exec_lo
	s_waitcnt vmcnt(0)
	v_cmpx_ne_u16_e32 0, v97
	s_cbranch_execz .LBB205_219
; %bb.212:                              ;   in Loop: Header=BB205_11 Depth=1
	v_bfrev_b32_e32 v95, 1
	s_mov_b32 s39, exec_lo
	v_cmpx_ne_u16_e32 0x80, v97
	s_cbranch_execz .LBB205_218
; %bb.213:                              ;   in Loop: Header=BB205_11 Depth=1
	v_and_b32_sdwa v98, v97, v68 dst_sel:DWORD dst_unused:UNUSED_PAD src0_sel:WORD_0 src1_sel:DWORD
	v_mov_b32_e32 v95, 0x7f800001
	s_mov_b32 s40, exec_lo
	v_cmpx_ne_u32_e32 0x7f, v98
	s_cbranch_execz .LBB205_217
; %bb.214:                              ;   in Loop: Header=BB205_11 Depth=1
	v_and_b32_sdwa v51, v97, v69 dst_sel:DWORD dst_unused:UNUSED_PAD src0_sel:WORD_0 src1_sel:DWORD
	v_lshrrev_b32_e32 v95, 3, v98
	s_mov_b32 s41, exec_lo
	v_cmpx_gt_u32_e32 8, v98
; %bb.215:                              ;   in Loop: Header=BB205_11 Depth=1
	v_ffbh_u32_e32 v95, v51
	v_min_u32_e32 v95, 32, v95
	v_subrev_nc_u32_e32 v98, 28, v95
	v_sub_nc_u32_e32 v95, 29, v95
	v_lshlrev_b64 v[98:99], v98, v[51:52]
	v_and_b32_e32 v51, 7, v98
; %bb.216:                              ;   in Loop: Header=BB205_11 Depth=1
	s_or_b32 exec_lo, exec_lo, s41
	v_lshlrev_b32_e32 v97, 24, v97
	v_lshlrev_b32_e32 v51, 20, v51
	v_lshl_add_u32 v95, v95, 23, 0x3c000000
	v_and_b32_e32 v97, 0x80000000, v97
	v_or3_b32 v95, v51, v97, v95
.LBB205_217:                            ;   in Loop: Header=BB205_11 Depth=1
	s_or_b32 exec_lo, exec_lo, s40
.LBB205_218:                            ;   in Loop: Header=BB205_11 Depth=1
	s_or_b32 exec_lo, exec_lo, s39
.LBB205_219:                            ;   in Loop: Header=BB205_11 Depth=1
	s_or_b32 exec_lo, exec_lo, s3
	global_load_ubyte v99, v[57:58], off offset:776
	v_mov_b32_e32 v97, 0
	v_mov_b32_e32 v98, 0
	s_mov_b32 s3, exec_lo
	s_waitcnt vmcnt(0)
	v_cmpx_ne_u16_e32 0, v99
	s_cbranch_execz .LBB205_227
; %bb.220:                              ;   in Loop: Header=BB205_11 Depth=1
	v_bfrev_b32_e32 v98, 1
	s_mov_b32 s39, exec_lo
	v_cmpx_ne_u16_e32 0x80, v99
	s_cbranch_execz .LBB205_226
; %bb.221:                              ;   in Loop: Header=BB205_11 Depth=1
	v_and_b32_sdwa v100, v99, v68 dst_sel:DWORD dst_unused:UNUSED_PAD src0_sel:WORD_0 src1_sel:DWORD
	v_mov_b32_e32 v98, 0x7f800001
	s_mov_b32 s40, exec_lo
	v_cmpx_ne_u32_e32 0x7f, v100
	s_cbranch_execz .LBB205_225
; %bb.222:                              ;   in Loop: Header=BB205_11 Depth=1
	v_and_b32_sdwa v51, v99, v69 dst_sel:DWORD dst_unused:UNUSED_PAD src0_sel:WORD_0 src1_sel:DWORD
	v_lshrrev_b32_e32 v98, 3, v100
	s_mov_b32 s41, exec_lo
	v_cmpx_gt_u32_e32 8, v100
; %bb.223:                              ;   in Loop: Header=BB205_11 Depth=1
	v_ffbh_u32_e32 v98, v51
	v_min_u32_e32 v98, 32, v98
	v_subrev_nc_u32_e32 v100, 28, v98
	v_sub_nc_u32_e32 v98, 29, v98
	v_lshlrev_b64 v[100:101], v100, v[51:52]
	v_and_b32_e32 v51, 7, v100
; %bb.224:                              ;   in Loop: Header=BB205_11 Depth=1
	s_or_b32 exec_lo, exec_lo, s41
	v_lshlrev_b32_e32 v99, 24, v99
	v_lshlrev_b32_e32 v51, 20, v51
	v_lshl_add_u32 v98, v98, 23, 0x3c000000
	v_and_b32_e32 v99, 0x80000000, v99
	v_or3_b32 v98, v51, v99, v98
.LBB205_225:                            ;   in Loop: Header=BB205_11 Depth=1
	s_or_b32 exec_lo, exec_lo, s40
.LBB205_226:                            ;   in Loop: Header=BB205_11 Depth=1
	s_or_b32 exec_lo, exec_lo, s39
.LBB205_227:                            ;   in Loop: Header=BB205_11 Depth=1
	s_or_b32 exec_lo, exec_lo, s3
	global_load_ubyte v99, v[57:58], off offset:780
	s_mov_b32 s3, exec_lo
	s_waitcnt vmcnt(0)
	v_cmpx_ne_u16_e32 0, v99
	s_cbranch_execz .LBB205_235
; %bb.228:                              ;   in Loop: Header=BB205_11 Depth=1
	v_bfrev_b32_e32 v97, 1
	s_mov_b32 s39, exec_lo
	v_cmpx_ne_u16_e32 0x80, v99
	s_cbranch_execz .LBB205_234
; %bb.229:                              ;   in Loop: Header=BB205_11 Depth=1
	v_and_b32_sdwa v100, v99, v68 dst_sel:DWORD dst_unused:UNUSED_PAD src0_sel:WORD_0 src1_sel:DWORD
	v_mov_b32_e32 v97, 0x7f800001
	s_mov_b32 s40, exec_lo
	v_cmpx_ne_u32_e32 0x7f, v100
	s_cbranch_execz .LBB205_233
; %bb.230:                              ;   in Loop: Header=BB205_11 Depth=1
	v_and_b32_sdwa v51, v99, v69 dst_sel:DWORD dst_unused:UNUSED_PAD src0_sel:WORD_0 src1_sel:DWORD
	v_lshrrev_b32_e32 v97, 3, v100
	s_mov_b32 s41, exec_lo
	v_cmpx_gt_u32_e32 8, v100
; %bb.231:                              ;   in Loop: Header=BB205_11 Depth=1
	v_ffbh_u32_e32 v97, v51
	v_min_u32_e32 v97, 32, v97
	v_subrev_nc_u32_e32 v100, 28, v97
	v_sub_nc_u32_e32 v97, 29, v97
	v_lshlrev_b64 v[100:101], v100, v[51:52]
	v_and_b32_e32 v51, 7, v100
; %bb.232:                              ;   in Loop: Header=BB205_11 Depth=1
	s_or_b32 exec_lo, exec_lo, s41
	v_lshlrev_b32_e32 v99, 24, v99
	v_lshlrev_b32_e32 v51, 20, v51
	v_lshl_add_u32 v97, v97, 23, 0x3c000000
	v_and_b32_e32 v99, 0x80000000, v99
	v_or3_b32 v97, v51, v99, v97
.LBB205_233:                            ;   in Loop: Header=BB205_11 Depth=1
	s_or_b32 exec_lo, exec_lo, s40
.LBB205_234:                            ;   in Loop: Header=BB205_11 Depth=1
	s_or_b32 exec_lo, exec_lo, s39
.LBB205_235:                            ;   in Loop: Header=BB205_11 Depth=1
	s_or_b32 exec_lo, exec_lo, s3
	global_load_ubyte v101, v[57:58], off offset:896
	v_mov_b32_e32 v99, 0
	v_mov_b32_e32 v100, 0
	s_mov_b32 s3, exec_lo
	s_waitcnt vmcnt(0)
	v_cmpx_ne_u16_e32 0, v101
	s_cbranch_execz .LBB205_243
; %bb.236:                              ;   in Loop: Header=BB205_11 Depth=1
	v_bfrev_b32_e32 v100, 1
	s_mov_b32 s39, exec_lo
	v_cmpx_ne_u16_e32 0x80, v101
	s_cbranch_execz .LBB205_242
; %bb.237:                              ;   in Loop: Header=BB205_11 Depth=1
	v_and_b32_sdwa v102, v101, v68 dst_sel:DWORD dst_unused:UNUSED_PAD src0_sel:WORD_0 src1_sel:DWORD
	v_mov_b32_e32 v100, 0x7f800001
	s_mov_b32 s40, exec_lo
	v_cmpx_ne_u32_e32 0x7f, v102
	s_cbranch_execz .LBB205_241
; %bb.238:                              ;   in Loop: Header=BB205_11 Depth=1
	v_and_b32_sdwa v51, v101, v69 dst_sel:DWORD dst_unused:UNUSED_PAD src0_sel:WORD_0 src1_sel:DWORD
	v_lshrrev_b32_e32 v100, 3, v102
	s_mov_b32 s41, exec_lo
	v_cmpx_gt_u32_e32 8, v102
; %bb.239:                              ;   in Loop: Header=BB205_11 Depth=1
	v_ffbh_u32_e32 v100, v51
	v_min_u32_e32 v100, 32, v100
	v_subrev_nc_u32_e32 v102, 28, v100
	v_sub_nc_u32_e32 v100, 29, v100
	v_lshlrev_b64 v[102:103], v102, v[51:52]
	v_and_b32_e32 v51, 7, v102
; %bb.240:                              ;   in Loop: Header=BB205_11 Depth=1
	s_or_b32 exec_lo, exec_lo, s41
	v_lshlrev_b32_e32 v101, 24, v101
	v_lshlrev_b32_e32 v51, 20, v51
	v_lshl_add_u32 v100, v100, 23, 0x3c000000
	v_and_b32_e32 v101, 0x80000000, v101
	v_or3_b32 v100, v51, v101, v100
.LBB205_241:                            ;   in Loop: Header=BB205_11 Depth=1
	s_or_b32 exec_lo, exec_lo, s40
.LBB205_242:                            ;   in Loop: Header=BB205_11 Depth=1
	s_or_b32 exec_lo, exec_lo, s39
.LBB205_243:                            ;   in Loop: Header=BB205_11 Depth=1
	s_or_b32 exec_lo, exec_lo, s3
	global_load_ubyte v101, v[57:58], off offset:900
	s_mov_b32 s3, exec_lo
	s_waitcnt vmcnt(0)
	v_cmpx_ne_u16_e32 0, v101
	s_cbranch_execz .LBB205_251
; %bb.244:                              ;   in Loop: Header=BB205_11 Depth=1
	v_bfrev_b32_e32 v99, 1
	s_mov_b32 s39, exec_lo
	v_cmpx_ne_u16_e32 0x80, v101
	s_cbranch_execz .LBB205_250
; %bb.245:                              ;   in Loop: Header=BB205_11 Depth=1
	v_and_b32_sdwa v102, v101, v68 dst_sel:DWORD dst_unused:UNUSED_PAD src0_sel:WORD_0 src1_sel:DWORD
	v_mov_b32_e32 v99, 0x7f800001
	s_mov_b32 s40, exec_lo
	v_cmpx_ne_u32_e32 0x7f, v102
	s_cbranch_execz .LBB205_249
; %bb.246:                              ;   in Loop: Header=BB205_11 Depth=1
	v_and_b32_sdwa v51, v101, v69 dst_sel:DWORD dst_unused:UNUSED_PAD src0_sel:WORD_0 src1_sel:DWORD
	v_lshrrev_b32_e32 v99, 3, v102
	s_mov_b32 s41, exec_lo
	v_cmpx_gt_u32_e32 8, v102
; %bb.247:                              ;   in Loop: Header=BB205_11 Depth=1
	v_ffbh_u32_e32 v99, v51
	v_min_u32_e32 v99, 32, v99
	v_subrev_nc_u32_e32 v102, 28, v99
	v_sub_nc_u32_e32 v99, 29, v99
	v_lshlrev_b64 v[102:103], v102, v[51:52]
	v_and_b32_e32 v51, 7, v102
; %bb.248:                              ;   in Loop: Header=BB205_11 Depth=1
	s_or_b32 exec_lo, exec_lo, s41
	v_lshlrev_b32_e32 v101, 24, v101
	v_lshlrev_b32_e32 v51, 20, v51
	v_lshl_add_u32 v99, v99, 23, 0x3c000000
	v_and_b32_e32 v101, 0x80000000, v101
	v_or3_b32 v99, v51, v101, v99
.LBB205_249:                            ;   in Loop: Header=BB205_11 Depth=1
	s_or_b32 exec_lo, exec_lo, s40
.LBB205_250:                            ;   in Loop: Header=BB205_11 Depth=1
	s_or_b32 exec_lo, exec_lo, s39
.LBB205_251:                            ;   in Loop: Header=BB205_11 Depth=1
	s_or_b32 exec_lo, exec_lo, s3
	global_load_ubyte v103, v[57:58], off offset:904
	v_mov_b32_e32 v101, 0
	v_mov_b32_e32 v102, 0
	s_mov_b32 s3, exec_lo
	s_waitcnt vmcnt(0)
	v_cmpx_ne_u16_e32 0, v103
	s_cbranch_execz .LBB205_259
; %bb.252:                              ;   in Loop: Header=BB205_11 Depth=1
	v_bfrev_b32_e32 v102, 1
	s_mov_b32 s39, exec_lo
	v_cmpx_ne_u16_e32 0x80, v103
	s_cbranch_execz .LBB205_258
; %bb.253:                              ;   in Loop: Header=BB205_11 Depth=1
	v_and_b32_sdwa v104, v103, v68 dst_sel:DWORD dst_unused:UNUSED_PAD src0_sel:WORD_0 src1_sel:DWORD
	v_mov_b32_e32 v102, 0x7f800001
	s_mov_b32 s40, exec_lo
	v_cmpx_ne_u32_e32 0x7f, v104
	s_cbranch_execz .LBB205_257
; %bb.254:                              ;   in Loop: Header=BB205_11 Depth=1
	v_and_b32_sdwa v51, v103, v69 dst_sel:DWORD dst_unused:UNUSED_PAD src0_sel:WORD_0 src1_sel:DWORD
	v_lshrrev_b32_e32 v102, 3, v104
	s_mov_b32 s41, exec_lo
	v_cmpx_gt_u32_e32 8, v104
; %bb.255:                              ;   in Loop: Header=BB205_11 Depth=1
	v_ffbh_u32_e32 v102, v51
	v_min_u32_e32 v102, 32, v102
	v_subrev_nc_u32_e32 v104, 28, v102
	v_sub_nc_u32_e32 v102, 29, v102
	v_lshlrev_b64 v[104:105], v104, v[51:52]
	v_and_b32_e32 v51, 7, v104
; %bb.256:                              ;   in Loop: Header=BB205_11 Depth=1
	s_or_b32 exec_lo, exec_lo, s41
	v_lshlrev_b32_e32 v103, 24, v103
	v_lshlrev_b32_e32 v51, 20, v51
	v_lshl_add_u32 v102, v102, 23, 0x3c000000
	v_and_b32_e32 v103, 0x80000000, v103
	v_or3_b32 v102, v51, v103, v102
.LBB205_257:                            ;   in Loop: Header=BB205_11 Depth=1
	s_or_b32 exec_lo, exec_lo, s40
.LBB205_258:                            ;   in Loop: Header=BB205_11 Depth=1
	s_or_b32 exec_lo, exec_lo, s39
.LBB205_259:                            ;   in Loop: Header=BB205_11 Depth=1
	s_or_b32 exec_lo, exec_lo, s3
	global_load_ubyte v103, v[57:58], off offset:908
	s_mov_b32 s3, exec_lo
	s_waitcnt vmcnt(0)
	v_cmpx_ne_u16_e32 0, v103
	s_cbranch_execz .LBB205_267
; %bb.260:                              ;   in Loop: Header=BB205_11 Depth=1
	v_bfrev_b32_e32 v101, 1
	s_mov_b32 s39, exec_lo
	v_cmpx_ne_u16_e32 0x80, v103
	s_cbranch_execz .LBB205_266
; %bb.261:                              ;   in Loop: Header=BB205_11 Depth=1
	v_and_b32_sdwa v104, v103, v68 dst_sel:DWORD dst_unused:UNUSED_PAD src0_sel:WORD_0 src1_sel:DWORD
	v_mov_b32_e32 v101, 0x7f800001
	s_mov_b32 s40, exec_lo
	v_cmpx_ne_u32_e32 0x7f, v104
	s_cbranch_execz .LBB205_265
; %bb.262:                              ;   in Loop: Header=BB205_11 Depth=1
	v_and_b32_sdwa v51, v103, v69 dst_sel:DWORD dst_unused:UNUSED_PAD src0_sel:WORD_0 src1_sel:DWORD
	v_lshrrev_b32_e32 v101, 3, v104
	s_mov_b32 s41, exec_lo
	v_cmpx_gt_u32_e32 8, v104
; %bb.263:                              ;   in Loop: Header=BB205_11 Depth=1
	v_ffbh_u32_e32 v101, v51
	v_min_u32_e32 v101, 32, v101
	v_subrev_nc_u32_e32 v104, 28, v101
	v_sub_nc_u32_e32 v101, 29, v101
	v_lshlrev_b64 v[104:105], v104, v[51:52]
	v_and_b32_e32 v51, 7, v104
; %bb.264:                              ;   in Loop: Header=BB205_11 Depth=1
	s_or_b32 exec_lo, exec_lo, s41
	v_lshlrev_b32_e32 v103, 24, v103
	v_lshlrev_b32_e32 v51, 20, v51
	v_lshl_add_u32 v101, v101, 23, 0x3c000000
	v_and_b32_e32 v103, 0x80000000, v103
	v_or3_b32 v101, v51, v103, v101
.LBB205_265:                            ;   in Loop: Header=BB205_11 Depth=1
	s_or_b32 exec_lo, exec_lo, s40
.LBB205_266:                            ;   in Loop: Header=BB205_11 Depth=1
	s_or_b32 exec_lo, exec_lo, s39
.LBB205_267:                            ;   in Loop: Header=BB205_11 Depth=1
	s_or_b32 exec_lo, exec_lo, s3
	global_load_ubyte v105, v[57:58], off offset:1024
	v_mov_b32_e32 v103, 0
	v_mov_b32_e32 v104, 0
	s_mov_b32 s3, exec_lo
	s_waitcnt vmcnt(0)
	v_cmpx_ne_u16_e32 0, v105
	s_cbranch_execz .LBB205_275
; %bb.268:                              ;   in Loop: Header=BB205_11 Depth=1
	v_bfrev_b32_e32 v104, 1
	s_mov_b32 s39, exec_lo
	v_cmpx_ne_u16_e32 0x80, v105
	s_cbranch_execz .LBB205_274
; %bb.269:                              ;   in Loop: Header=BB205_11 Depth=1
	v_and_b32_sdwa v106, v105, v68 dst_sel:DWORD dst_unused:UNUSED_PAD src0_sel:WORD_0 src1_sel:DWORD
	v_mov_b32_e32 v104, 0x7f800001
	s_mov_b32 s40, exec_lo
	v_cmpx_ne_u32_e32 0x7f, v106
	s_cbranch_execz .LBB205_273
; %bb.270:                              ;   in Loop: Header=BB205_11 Depth=1
	v_and_b32_sdwa v51, v105, v69 dst_sel:DWORD dst_unused:UNUSED_PAD src0_sel:WORD_0 src1_sel:DWORD
	v_lshrrev_b32_e32 v104, 3, v106
	s_mov_b32 s41, exec_lo
	v_cmpx_gt_u32_e32 8, v106
; %bb.271:                              ;   in Loop: Header=BB205_11 Depth=1
	v_ffbh_u32_e32 v104, v51
	v_min_u32_e32 v104, 32, v104
	v_subrev_nc_u32_e32 v106, 28, v104
	v_sub_nc_u32_e32 v104, 29, v104
	v_lshlrev_b64 v[106:107], v106, v[51:52]
	v_and_b32_e32 v51, 7, v106
; %bb.272:                              ;   in Loop: Header=BB205_11 Depth=1
	s_or_b32 exec_lo, exec_lo, s41
	v_lshlrev_b32_e32 v105, 24, v105
	v_lshlrev_b32_e32 v51, 20, v51
	v_lshl_add_u32 v104, v104, 23, 0x3c000000
	v_and_b32_e32 v105, 0x80000000, v105
	v_or3_b32 v104, v51, v105, v104
.LBB205_273:                            ;   in Loop: Header=BB205_11 Depth=1
	s_or_b32 exec_lo, exec_lo, s40
.LBB205_274:                            ;   in Loop: Header=BB205_11 Depth=1
	s_or_b32 exec_lo, exec_lo, s39
.LBB205_275:                            ;   in Loop: Header=BB205_11 Depth=1
	s_or_b32 exec_lo, exec_lo, s3
	global_load_ubyte v105, v[57:58], off offset:1028
	s_mov_b32 s3, exec_lo
	s_waitcnt vmcnt(0)
	v_cmpx_ne_u16_e32 0, v105
	s_cbranch_execz .LBB205_283
; %bb.276:                              ;   in Loop: Header=BB205_11 Depth=1
	v_bfrev_b32_e32 v103, 1
	s_mov_b32 s39, exec_lo
	v_cmpx_ne_u16_e32 0x80, v105
	s_cbranch_execz .LBB205_282
; %bb.277:                              ;   in Loop: Header=BB205_11 Depth=1
	v_and_b32_sdwa v106, v105, v68 dst_sel:DWORD dst_unused:UNUSED_PAD src0_sel:WORD_0 src1_sel:DWORD
	v_mov_b32_e32 v103, 0x7f800001
	s_mov_b32 s40, exec_lo
	v_cmpx_ne_u32_e32 0x7f, v106
	s_cbranch_execz .LBB205_281
; %bb.278:                              ;   in Loop: Header=BB205_11 Depth=1
	v_and_b32_sdwa v51, v105, v69 dst_sel:DWORD dst_unused:UNUSED_PAD src0_sel:WORD_0 src1_sel:DWORD
	v_lshrrev_b32_e32 v103, 3, v106
	s_mov_b32 s41, exec_lo
	v_cmpx_gt_u32_e32 8, v106
; %bb.279:                              ;   in Loop: Header=BB205_11 Depth=1
	v_ffbh_u32_e32 v103, v51
	v_min_u32_e32 v103, 32, v103
	v_subrev_nc_u32_e32 v106, 28, v103
	v_sub_nc_u32_e32 v103, 29, v103
	v_lshlrev_b64 v[106:107], v106, v[51:52]
	v_and_b32_e32 v51, 7, v106
; %bb.280:                              ;   in Loop: Header=BB205_11 Depth=1
	s_or_b32 exec_lo, exec_lo, s41
	v_lshlrev_b32_e32 v105, 24, v105
	v_lshlrev_b32_e32 v51, 20, v51
	v_lshl_add_u32 v103, v103, 23, 0x3c000000
	v_and_b32_e32 v105, 0x80000000, v105
	v_or3_b32 v103, v51, v105, v103
.LBB205_281:                            ;   in Loop: Header=BB205_11 Depth=1
	s_or_b32 exec_lo, exec_lo, s40
.LBB205_282:                            ;   in Loop: Header=BB205_11 Depth=1
	s_or_b32 exec_lo, exec_lo, s39
.LBB205_283:                            ;   in Loop: Header=BB205_11 Depth=1
	s_or_b32 exec_lo, exec_lo, s3
	global_load_ubyte v107, v[57:58], off offset:1032
	v_mov_b32_e32 v105, 0
	v_mov_b32_e32 v106, 0
	s_mov_b32 s3, exec_lo
	s_waitcnt vmcnt(0)
	v_cmpx_ne_u16_e32 0, v107
	s_cbranch_execz .LBB205_291
; %bb.284:                              ;   in Loop: Header=BB205_11 Depth=1
	v_bfrev_b32_e32 v106, 1
	s_mov_b32 s39, exec_lo
	v_cmpx_ne_u16_e32 0x80, v107
	s_cbranch_execz .LBB205_290
; %bb.285:                              ;   in Loop: Header=BB205_11 Depth=1
	v_and_b32_sdwa v108, v107, v68 dst_sel:DWORD dst_unused:UNUSED_PAD src0_sel:WORD_0 src1_sel:DWORD
	v_mov_b32_e32 v106, 0x7f800001
	s_mov_b32 s40, exec_lo
	v_cmpx_ne_u32_e32 0x7f, v108
	s_cbranch_execz .LBB205_289
; %bb.286:                              ;   in Loop: Header=BB205_11 Depth=1
	v_and_b32_sdwa v51, v107, v69 dst_sel:DWORD dst_unused:UNUSED_PAD src0_sel:WORD_0 src1_sel:DWORD
	v_lshrrev_b32_e32 v106, 3, v108
	s_mov_b32 s41, exec_lo
	v_cmpx_gt_u32_e32 8, v108
; %bb.287:                              ;   in Loop: Header=BB205_11 Depth=1
	v_ffbh_u32_e32 v106, v51
	v_min_u32_e32 v106, 32, v106
	v_subrev_nc_u32_e32 v108, 28, v106
	v_sub_nc_u32_e32 v106, 29, v106
	v_lshlrev_b64 v[108:109], v108, v[51:52]
	v_and_b32_e32 v51, 7, v108
; %bb.288:                              ;   in Loop: Header=BB205_11 Depth=1
	s_or_b32 exec_lo, exec_lo, s41
	v_lshlrev_b32_e32 v107, 24, v107
	v_lshlrev_b32_e32 v51, 20, v51
	v_lshl_add_u32 v106, v106, 23, 0x3c000000
	v_and_b32_e32 v107, 0x80000000, v107
	v_or3_b32 v106, v51, v107, v106
.LBB205_289:                            ;   in Loop: Header=BB205_11 Depth=1
	s_or_b32 exec_lo, exec_lo, s40
.LBB205_290:                            ;   in Loop: Header=BB205_11 Depth=1
	s_or_b32 exec_lo, exec_lo, s39
.LBB205_291:                            ;   in Loop: Header=BB205_11 Depth=1
	s_or_b32 exec_lo, exec_lo, s3
	global_load_ubyte v107, v[57:58], off offset:1036
	s_mov_b32 s3, exec_lo
	s_waitcnt vmcnt(0)
	v_cmpx_ne_u16_e32 0, v107
	s_cbranch_execz .LBB205_299
; %bb.292:                              ;   in Loop: Header=BB205_11 Depth=1
	v_bfrev_b32_e32 v105, 1
	s_mov_b32 s39, exec_lo
	v_cmpx_ne_u16_e32 0x80, v107
	s_cbranch_execz .LBB205_298
; %bb.293:                              ;   in Loop: Header=BB205_11 Depth=1
	v_and_b32_sdwa v108, v107, v68 dst_sel:DWORD dst_unused:UNUSED_PAD src0_sel:WORD_0 src1_sel:DWORD
	v_mov_b32_e32 v105, 0x7f800001
	s_mov_b32 s40, exec_lo
	v_cmpx_ne_u32_e32 0x7f, v108
	s_cbranch_execz .LBB205_297
; %bb.294:                              ;   in Loop: Header=BB205_11 Depth=1
	v_and_b32_sdwa v51, v107, v69 dst_sel:DWORD dst_unused:UNUSED_PAD src0_sel:WORD_0 src1_sel:DWORD
	v_lshrrev_b32_e32 v105, 3, v108
	s_mov_b32 s41, exec_lo
	v_cmpx_gt_u32_e32 8, v108
; %bb.295:                              ;   in Loop: Header=BB205_11 Depth=1
	v_ffbh_u32_e32 v105, v51
	v_min_u32_e32 v105, 32, v105
	v_subrev_nc_u32_e32 v108, 28, v105
	v_sub_nc_u32_e32 v105, 29, v105
	v_lshlrev_b64 v[108:109], v108, v[51:52]
	v_and_b32_e32 v51, 7, v108
; %bb.296:                              ;   in Loop: Header=BB205_11 Depth=1
	s_or_b32 exec_lo, exec_lo, s41
	v_lshlrev_b32_e32 v107, 24, v107
	v_lshlrev_b32_e32 v51, 20, v51
	v_lshl_add_u32 v105, v105, 23, 0x3c000000
	v_and_b32_e32 v107, 0x80000000, v107
	v_or3_b32 v105, v51, v107, v105
.LBB205_297:                            ;   in Loop: Header=BB205_11 Depth=1
	s_or_b32 exec_lo, exec_lo, s40
.LBB205_298:                            ;   in Loop: Header=BB205_11 Depth=1
	s_or_b32 exec_lo, exec_lo, s39
.LBB205_299:                            ;   in Loop: Header=BB205_11 Depth=1
	s_or_b32 exec_lo, exec_lo, s3
	global_load_ubyte v109, v[57:58], off offset:1152
	v_mov_b32_e32 v107, 0
	v_mov_b32_e32 v108, 0
	s_mov_b32 s3, exec_lo
	s_waitcnt vmcnt(0)
	v_cmpx_ne_u16_e32 0, v109
	s_cbranch_execz .LBB205_307
; %bb.300:                              ;   in Loop: Header=BB205_11 Depth=1
	v_bfrev_b32_e32 v108, 1
	s_mov_b32 s39, exec_lo
	v_cmpx_ne_u16_e32 0x80, v109
	s_cbranch_execz .LBB205_306
; %bb.301:                              ;   in Loop: Header=BB205_11 Depth=1
	v_and_b32_sdwa v110, v109, v68 dst_sel:DWORD dst_unused:UNUSED_PAD src0_sel:WORD_0 src1_sel:DWORD
	v_mov_b32_e32 v108, 0x7f800001
	s_mov_b32 s40, exec_lo
	v_cmpx_ne_u32_e32 0x7f, v110
	s_cbranch_execz .LBB205_305
; %bb.302:                              ;   in Loop: Header=BB205_11 Depth=1
	v_and_b32_sdwa v51, v109, v69 dst_sel:DWORD dst_unused:UNUSED_PAD src0_sel:WORD_0 src1_sel:DWORD
	v_lshrrev_b32_e32 v108, 3, v110
	s_mov_b32 s41, exec_lo
	v_cmpx_gt_u32_e32 8, v110
; %bb.303:                              ;   in Loop: Header=BB205_11 Depth=1
	v_ffbh_u32_e32 v108, v51
	v_min_u32_e32 v108, 32, v108
	v_subrev_nc_u32_e32 v110, 28, v108
	v_sub_nc_u32_e32 v108, 29, v108
	v_lshlrev_b64 v[110:111], v110, v[51:52]
	v_and_b32_e32 v51, 7, v110
; %bb.304:                              ;   in Loop: Header=BB205_11 Depth=1
	s_or_b32 exec_lo, exec_lo, s41
	v_lshlrev_b32_e32 v109, 24, v109
	v_lshlrev_b32_e32 v51, 20, v51
	v_lshl_add_u32 v108, v108, 23, 0x3c000000
	v_and_b32_e32 v109, 0x80000000, v109
	v_or3_b32 v108, v51, v109, v108
.LBB205_305:                            ;   in Loop: Header=BB205_11 Depth=1
	s_or_b32 exec_lo, exec_lo, s40
.LBB205_306:                            ;   in Loop: Header=BB205_11 Depth=1
	s_or_b32 exec_lo, exec_lo, s39
.LBB205_307:                            ;   in Loop: Header=BB205_11 Depth=1
	s_or_b32 exec_lo, exec_lo, s3
	global_load_ubyte v109, v[57:58], off offset:1156
	s_mov_b32 s3, exec_lo
	s_waitcnt vmcnt(0)
	v_cmpx_ne_u16_e32 0, v109
	s_cbranch_execz .LBB205_315
; %bb.308:                              ;   in Loop: Header=BB205_11 Depth=1
	v_bfrev_b32_e32 v107, 1
	s_mov_b32 s39, exec_lo
	v_cmpx_ne_u16_e32 0x80, v109
	s_cbranch_execz .LBB205_314
; %bb.309:                              ;   in Loop: Header=BB205_11 Depth=1
	v_and_b32_sdwa v110, v109, v68 dst_sel:DWORD dst_unused:UNUSED_PAD src0_sel:WORD_0 src1_sel:DWORD
	v_mov_b32_e32 v107, 0x7f800001
	s_mov_b32 s40, exec_lo
	v_cmpx_ne_u32_e32 0x7f, v110
	s_cbranch_execz .LBB205_313
; %bb.310:                              ;   in Loop: Header=BB205_11 Depth=1
	v_and_b32_sdwa v51, v109, v69 dst_sel:DWORD dst_unused:UNUSED_PAD src0_sel:WORD_0 src1_sel:DWORD
	v_lshrrev_b32_e32 v107, 3, v110
	s_mov_b32 s41, exec_lo
	v_cmpx_gt_u32_e32 8, v110
; %bb.311:                              ;   in Loop: Header=BB205_11 Depth=1
	v_ffbh_u32_e32 v107, v51
	v_min_u32_e32 v107, 32, v107
	v_subrev_nc_u32_e32 v110, 28, v107
	v_sub_nc_u32_e32 v107, 29, v107
	v_lshlrev_b64 v[110:111], v110, v[51:52]
	v_and_b32_e32 v51, 7, v110
; %bb.312:                              ;   in Loop: Header=BB205_11 Depth=1
	s_or_b32 exec_lo, exec_lo, s41
	v_lshlrev_b32_e32 v109, 24, v109
	v_lshlrev_b32_e32 v51, 20, v51
	v_lshl_add_u32 v107, v107, 23, 0x3c000000
	v_and_b32_e32 v109, 0x80000000, v109
	v_or3_b32 v107, v51, v109, v107
.LBB205_313:                            ;   in Loop: Header=BB205_11 Depth=1
	s_or_b32 exec_lo, exec_lo, s40
.LBB205_314:                            ;   in Loop: Header=BB205_11 Depth=1
	s_or_b32 exec_lo, exec_lo, s39
.LBB205_315:                            ;   in Loop: Header=BB205_11 Depth=1
	s_or_b32 exec_lo, exec_lo, s3
	global_load_ubyte v111, v[57:58], off offset:1160
	v_mov_b32_e32 v109, 0
	v_mov_b32_e32 v110, 0
	s_mov_b32 s3, exec_lo
	s_waitcnt vmcnt(0)
	v_cmpx_ne_u16_e32 0, v111
	s_cbranch_execz .LBB205_323
; %bb.316:                              ;   in Loop: Header=BB205_11 Depth=1
	v_bfrev_b32_e32 v110, 1
	s_mov_b32 s39, exec_lo
	v_cmpx_ne_u16_e32 0x80, v111
	s_cbranch_execz .LBB205_322
; %bb.317:                              ;   in Loop: Header=BB205_11 Depth=1
	v_and_b32_sdwa v112, v111, v68 dst_sel:DWORD dst_unused:UNUSED_PAD src0_sel:WORD_0 src1_sel:DWORD
	v_mov_b32_e32 v110, 0x7f800001
	s_mov_b32 s40, exec_lo
	v_cmpx_ne_u32_e32 0x7f, v112
	s_cbranch_execz .LBB205_321
; %bb.318:                              ;   in Loop: Header=BB205_11 Depth=1
	v_and_b32_sdwa v51, v111, v69 dst_sel:DWORD dst_unused:UNUSED_PAD src0_sel:WORD_0 src1_sel:DWORD
	v_lshrrev_b32_e32 v110, 3, v112
	s_mov_b32 s41, exec_lo
	v_cmpx_gt_u32_e32 8, v112
; %bb.319:                              ;   in Loop: Header=BB205_11 Depth=1
	v_ffbh_u32_e32 v110, v51
	v_min_u32_e32 v110, 32, v110
	v_subrev_nc_u32_e32 v112, 28, v110
	v_sub_nc_u32_e32 v110, 29, v110
	v_lshlrev_b64 v[112:113], v112, v[51:52]
	v_and_b32_e32 v51, 7, v112
; %bb.320:                              ;   in Loop: Header=BB205_11 Depth=1
	s_or_b32 exec_lo, exec_lo, s41
	v_lshlrev_b32_e32 v111, 24, v111
	v_lshlrev_b32_e32 v51, 20, v51
	v_lshl_add_u32 v110, v110, 23, 0x3c000000
	v_and_b32_e32 v111, 0x80000000, v111
	v_or3_b32 v110, v51, v111, v110
.LBB205_321:                            ;   in Loop: Header=BB205_11 Depth=1
	s_or_b32 exec_lo, exec_lo, s40
.LBB205_322:                            ;   in Loop: Header=BB205_11 Depth=1
	s_or_b32 exec_lo, exec_lo, s39
.LBB205_323:                            ;   in Loop: Header=BB205_11 Depth=1
	s_or_b32 exec_lo, exec_lo, s3
	global_load_ubyte v111, v[57:58], off offset:1164
	s_mov_b32 s3, exec_lo
	s_waitcnt vmcnt(0)
	v_cmpx_ne_u16_e32 0, v111
	s_cbranch_execz .LBB205_331
; %bb.324:                              ;   in Loop: Header=BB205_11 Depth=1
	v_bfrev_b32_e32 v109, 1
	s_mov_b32 s39, exec_lo
	v_cmpx_ne_u16_e32 0x80, v111
	s_cbranch_execz .LBB205_330
; %bb.325:                              ;   in Loop: Header=BB205_11 Depth=1
	v_and_b32_sdwa v112, v111, v68 dst_sel:DWORD dst_unused:UNUSED_PAD src0_sel:WORD_0 src1_sel:DWORD
	v_mov_b32_e32 v109, 0x7f800001
	s_mov_b32 s40, exec_lo
	v_cmpx_ne_u32_e32 0x7f, v112
	s_cbranch_execz .LBB205_329
; %bb.326:                              ;   in Loop: Header=BB205_11 Depth=1
	v_and_b32_sdwa v51, v111, v69 dst_sel:DWORD dst_unused:UNUSED_PAD src0_sel:WORD_0 src1_sel:DWORD
	v_lshrrev_b32_e32 v109, 3, v112
	s_mov_b32 s41, exec_lo
	v_cmpx_gt_u32_e32 8, v112
; %bb.327:                              ;   in Loop: Header=BB205_11 Depth=1
	v_ffbh_u32_e32 v109, v51
	v_min_u32_e32 v109, 32, v109
	v_subrev_nc_u32_e32 v112, 28, v109
	v_sub_nc_u32_e32 v109, 29, v109
	v_lshlrev_b64 v[112:113], v112, v[51:52]
	v_and_b32_e32 v51, 7, v112
; %bb.328:                              ;   in Loop: Header=BB205_11 Depth=1
	s_or_b32 exec_lo, exec_lo, s41
	v_lshlrev_b32_e32 v111, 24, v111
	v_lshlrev_b32_e32 v51, 20, v51
	v_lshl_add_u32 v109, v109, 23, 0x3c000000
	v_and_b32_e32 v111, 0x80000000, v111
	v_or3_b32 v109, v51, v111, v109
.LBB205_329:                            ;   in Loop: Header=BB205_11 Depth=1
	s_or_b32 exec_lo, exec_lo, s40
.LBB205_330:                            ;   in Loop: Header=BB205_11 Depth=1
	s_or_b32 exec_lo, exec_lo, s39
.LBB205_331:                            ;   in Loop: Header=BB205_11 Depth=1
	s_or_b32 exec_lo, exec_lo, s3
	global_load_ubyte v113, v[57:58], off offset:1280
	v_mov_b32_e32 v111, 0
	v_mov_b32_e32 v112, 0
	s_mov_b32 s3, exec_lo
	s_waitcnt vmcnt(0)
	v_cmpx_ne_u16_e32 0, v113
	s_cbranch_execz .LBB205_339
; %bb.332:                              ;   in Loop: Header=BB205_11 Depth=1
	v_bfrev_b32_e32 v112, 1
	s_mov_b32 s39, exec_lo
	v_cmpx_ne_u16_e32 0x80, v113
	s_cbranch_execz .LBB205_338
; %bb.333:                              ;   in Loop: Header=BB205_11 Depth=1
	v_and_b32_sdwa v114, v113, v68 dst_sel:DWORD dst_unused:UNUSED_PAD src0_sel:WORD_0 src1_sel:DWORD
	v_mov_b32_e32 v112, 0x7f800001
	s_mov_b32 s40, exec_lo
	v_cmpx_ne_u32_e32 0x7f, v114
	s_cbranch_execz .LBB205_337
; %bb.334:                              ;   in Loop: Header=BB205_11 Depth=1
	v_and_b32_sdwa v51, v113, v69 dst_sel:DWORD dst_unused:UNUSED_PAD src0_sel:WORD_0 src1_sel:DWORD
	v_lshrrev_b32_e32 v112, 3, v114
	s_mov_b32 s41, exec_lo
	v_cmpx_gt_u32_e32 8, v114
; %bb.335:                              ;   in Loop: Header=BB205_11 Depth=1
	v_ffbh_u32_e32 v112, v51
	v_min_u32_e32 v112, 32, v112
	v_subrev_nc_u32_e32 v114, 28, v112
	v_sub_nc_u32_e32 v112, 29, v112
	v_lshlrev_b64 v[114:115], v114, v[51:52]
	v_and_b32_e32 v51, 7, v114
; %bb.336:                              ;   in Loop: Header=BB205_11 Depth=1
	s_or_b32 exec_lo, exec_lo, s41
	v_lshlrev_b32_e32 v113, 24, v113
	v_lshlrev_b32_e32 v51, 20, v51
	v_lshl_add_u32 v112, v112, 23, 0x3c000000
	v_and_b32_e32 v113, 0x80000000, v113
	v_or3_b32 v112, v51, v113, v112
.LBB205_337:                            ;   in Loop: Header=BB205_11 Depth=1
	s_or_b32 exec_lo, exec_lo, s40
.LBB205_338:                            ;   in Loop: Header=BB205_11 Depth=1
	s_or_b32 exec_lo, exec_lo, s39
.LBB205_339:                            ;   in Loop: Header=BB205_11 Depth=1
	s_or_b32 exec_lo, exec_lo, s3
	global_load_ubyte v113, v[57:58], off offset:1284
	s_mov_b32 s3, exec_lo
	s_waitcnt vmcnt(0)
	v_cmpx_ne_u16_e32 0, v113
	s_cbranch_execz .LBB205_347
; %bb.340:                              ;   in Loop: Header=BB205_11 Depth=1
	v_bfrev_b32_e32 v111, 1
	s_mov_b32 s39, exec_lo
	v_cmpx_ne_u16_e32 0x80, v113
	s_cbranch_execz .LBB205_346
; %bb.341:                              ;   in Loop: Header=BB205_11 Depth=1
	v_and_b32_sdwa v114, v113, v68 dst_sel:DWORD dst_unused:UNUSED_PAD src0_sel:WORD_0 src1_sel:DWORD
	v_mov_b32_e32 v111, 0x7f800001
	s_mov_b32 s40, exec_lo
	v_cmpx_ne_u32_e32 0x7f, v114
	s_cbranch_execz .LBB205_345
; %bb.342:                              ;   in Loop: Header=BB205_11 Depth=1
	v_and_b32_sdwa v51, v113, v69 dst_sel:DWORD dst_unused:UNUSED_PAD src0_sel:WORD_0 src1_sel:DWORD
	v_lshrrev_b32_e32 v111, 3, v114
	s_mov_b32 s41, exec_lo
	v_cmpx_gt_u32_e32 8, v114
; %bb.343:                              ;   in Loop: Header=BB205_11 Depth=1
	v_ffbh_u32_e32 v111, v51
	v_min_u32_e32 v111, 32, v111
	v_subrev_nc_u32_e32 v114, 28, v111
	v_sub_nc_u32_e32 v111, 29, v111
	v_lshlrev_b64 v[114:115], v114, v[51:52]
	v_and_b32_e32 v51, 7, v114
; %bb.344:                              ;   in Loop: Header=BB205_11 Depth=1
	s_or_b32 exec_lo, exec_lo, s41
	v_lshlrev_b32_e32 v113, 24, v113
	v_lshlrev_b32_e32 v51, 20, v51
	v_lshl_add_u32 v111, v111, 23, 0x3c000000
	v_and_b32_e32 v113, 0x80000000, v113
	v_or3_b32 v111, v51, v113, v111
.LBB205_345:                            ;   in Loop: Header=BB205_11 Depth=1
	s_or_b32 exec_lo, exec_lo, s40
.LBB205_346:                            ;   in Loop: Header=BB205_11 Depth=1
	s_or_b32 exec_lo, exec_lo, s39
.LBB205_347:                            ;   in Loop: Header=BB205_11 Depth=1
	s_or_b32 exec_lo, exec_lo, s3
	global_load_ubyte v115, v[57:58], off offset:1288
	v_mov_b32_e32 v113, 0
	v_mov_b32_e32 v114, 0
	s_mov_b32 s3, exec_lo
	s_waitcnt vmcnt(0)
	v_cmpx_ne_u16_e32 0, v115
	s_cbranch_execz .LBB205_355
; %bb.348:                              ;   in Loop: Header=BB205_11 Depth=1
	v_bfrev_b32_e32 v114, 1
	s_mov_b32 s39, exec_lo
	v_cmpx_ne_u16_e32 0x80, v115
	s_cbranch_execz .LBB205_354
; %bb.349:                              ;   in Loop: Header=BB205_11 Depth=1
	v_and_b32_sdwa v116, v115, v68 dst_sel:DWORD dst_unused:UNUSED_PAD src0_sel:WORD_0 src1_sel:DWORD
	v_mov_b32_e32 v114, 0x7f800001
	s_mov_b32 s40, exec_lo
	v_cmpx_ne_u32_e32 0x7f, v116
	s_cbranch_execz .LBB205_353
; %bb.350:                              ;   in Loop: Header=BB205_11 Depth=1
	v_and_b32_sdwa v51, v115, v69 dst_sel:DWORD dst_unused:UNUSED_PAD src0_sel:WORD_0 src1_sel:DWORD
	v_lshrrev_b32_e32 v114, 3, v116
	s_mov_b32 s41, exec_lo
	v_cmpx_gt_u32_e32 8, v116
; %bb.351:                              ;   in Loop: Header=BB205_11 Depth=1
	v_ffbh_u32_e32 v114, v51
	v_min_u32_e32 v114, 32, v114
	v_subrev_nc_u32_e32 v116, 28, v114
	v_sub_nc_u32_e32 v114, 29, v114
	v_lshlrev_b64 v[116:117], v116, v[51:52]
	v_and_b32_e32 v51, 7, v116
; %bb.352:                              ;   in Loop: Header=BB205_11 Depth=1
	s_or_b32 exec_lo, exec_lo, s41
	v_lshlrev_b32_e32 v115, 24, v115
	v_lshlrev_b32_e32 v51, 20, v51
	v_lshl_add_u32 v114, v114, 23, 0x3c000000
	v_and_b32_e32 v115, 0x80000000, v115
	v_or3_b32 v114, v51, v115, v114
.LBB205_353:                            ;   in Loop: Header=BB205_11 Depth=1
	s_or_b32 exec_lo, exec_lo, s40
.LBB205_354:                            ;   in Loop: Header=BB205_11 Depth=1
	s_or_b32 exec_lo, exec_lo, s39
.LBB205_355:                            ;   in Loop: Header=BB205_11 Depth=1
	s_or_b32 exec_lo, exec_lo, s3
	global_load_ubyte v115, v[57:58], off offset:1292
	s_mov_b32 s3, exec_lo
	s_waitcnt vmcnt(0)
	v_cmpx_ne_u16_e32 0, v115
	s_cbranch_execz .LBB205_363
; %bb.356:                              ;   in Loop: Header=BB205_11 Depth=1
	v_bfrev_b32_e32 v113, 1
	s_mov_b32 s39, exec_lo
	v_cmpx_ne_u16_e32 0x80, v115
	s_cbranch_execz .LBB205_362
; %bb.357:                              ;   in Loop: Header=BB205_11 Depth=1
	v_and_b32_sdwa v116, v115, v68 dst_sel:DWORD dst_unused:UNUSED_PAD src0_sel:WORD_0 src1_sel:DWORD
	v_mov_b32_e32 v113, 0x7f800001
	s_mov_b32 s40, exec_lo
	v_cmpx_ne_u32_e32 0x7f, v116
	s_cbranch_execz .LBB205_361
; %bb.358:                              ;   in Loop: Header=BB205_11 Depth=1
	v_and_b32_sdwa v51, v115, v69 dst_sel:DWORD dst_unused:UNUSED_PAD src0_sel:WORD_0 src1_sel:DWORD
	v_lshrrev_b32_e32 v113, 3, v116
	s_mov_b32 s41, exec_lo
	v_cmpx_gt_u32_e32 8, v116
; %bb.359:                              ;   in Loop: Header=BB205_11 Depth=1
	v_ffbh_u32_e32 v113, v51
	v_min_u32_e32 v113, 32, v113
	v_subrev_nc_u32_e32 v116, 28, v113
	v_sub_nc_u32_e32 v113, 29, v113
	v_lshlrev_b64 v[116:117], v116, v[51:52]
	v_and_b32_e32 v51, 7, v116
; %bb.360:                              ;   in Loop: Header=BB205_11 Depth=1
	s_or_b32 exec_lo, exec_lo, s41
	v_lshlrev_b32_e32 v115, 24, v115
	v_lshlrev_b32_e32 v51, 20, v51
	v_lshl_add_u32 v113, v113, 23, 0x3c000000
	v_and_b32_e32 v115, 0x80000000, v115
	v_or3_b32 v113, v51, v115, v113
.LBB205_361:                            ;   in Loop: Header=BB205_11 Depth=1
	s_or_b32 exec_lo, exec_lo, s40
.LBB205_362:                            ;   in Loop: Header=BB205_11 Depth=1
	s_or_b32 exec_lo, exec_lo, s39
.LBB205_363:                            ;   in Loop: Header=BB205_11 Depth=1
	s_or_b32 exec_lo, exec_lo, s3
	global_load_ubyte v117, v[57:58], off offset:1408
	v_mov_b32_e32 v115, 0
	v_mov_b32_e32 v116, 0
	s_mov_b32 s3, exec_lo
	s_waitcnt vmcnt(0)
	v_cmpx_ne_u16_e32 0, v117
	s_cbranch_execz .LBB205_371
; %bb.364:                              ;   in Loop: Header=BB205_11 Depth=1
	v_bfrev_b32_e32 v116, 1
	s_mov_b32 s39, exec_lo
	v_cmpx_ne_u16_e32 0x80, v117
	s_cbranch_execz .LBB205_370
; %bb.365:                              ;   in Loop: Header=BB205_11 Depth=1
	v_and_b32_sdwa v118, v117, v68 dst_sel:DWORD dst_unused:UNUSED_PAD src0_sel:WORD_0 src1_sel:DWORD
	v_mov_b32_e32 v116, 0x7f800001
	s_mov_b32 s40, exec_lo
	v_cmpx_ne_u32_e32 0x7f, v118
	s_cbranch_execz .LBB205_369
; %bb.366:                              ;   in Loop: Header=BB205_11 Depth=1
	v_and_b32_sdwa v51, v117, v69 dst_sel:DWORD dst_unused:UNUSED_PAD src0_sel:WORD_0 src1_sel:DWORD
	v_lshrrev_b32_e32 v116, 3, v118
	s_mov_b32 s41, exec_lo
	v_cmpx_gt_u32_e32 8, v118
; %bb.367:                              ;   in Loop: Header=BB205_11 Depth=1
	v_ffbh_u32_e32 v116, v51
	v_min_u32_e32 v116, 32, v116
	v_subrev_nc_u32_e32 v118, 28, v116
	v_sub_nc_u32_e32 v116, 29, v116
	v_lshlrev_b64 v[118:119], v118, v[51:52]
	v_and_b32_e32 v51, 7, v118
; %bb.368:                              ;   in Loop: Header=BB205_11 Depth=1
	s_or_b32 exec_lo, exec_lo, s41
	v_lshlrev_b32_e32 v117, 24, v117
	v_lshlrev_b32_e32 v51, 20, v51
	v_lshl_add_u32 v116, v116, 23, 0x3c000000
	v_and_b32_e32 v117, 0x80000000, v117
	v_or3_b32 v116, v51, v117, v116
.LBB205_369:                            ;   in Loop: Header=BB205_11 Depth=1
	s_or_b32 exec_lo, exec_lo, s40
.LBB205_370:                            ;   in Loop: Header=BB205_11 Depth=1
	s_or_b32 exec_lo, exec_lo, s39
.LBB205_371:                            ;   in Loop: Header=BB205_11 Depth=1
	s_or_b32 exec_lo, exec_lo, s3
	global_load_ubyte v117, v[57:58], off offset:1412
	s_mov_b32 s3, exec_lo
	s_waitcnt vmcnt(0)
	v_cmpx_ne_u16_e32 0, v117
	s_cbranch_execz .LBB205_379
; %bb.372:                              ;   in Loop: Header=BB205_11 Depth=1
	v_bfrev_b32_e32 v115, 1
	s_mov_b32 s39, exec_lo
	v_cmpx_ne_u16_e32 0x80, v117
	s_cbranch_execz .LBB205_378
; %bb.373:                              ;   in Loop: Header=BB205_11 Depth=1
	v_and_b32_sdwa v118, v117, v68 dst_sel:DWORD dst_unused:UNUSED_PAD src0_sel:WORD_0 src1_sel:DWORD
	v_mov_b32_e32 v115, 0x7f800001
	s_mov_b32 s40, exec_lo
	v_cmpx_ne_u32_e32 0x7f, v118
	s_cbranch_execz .LBB205_377
; %bb.374:                              ;   in Loop: Header=BB205_11 Depth=1
	v_and_b32_sdwa v51, v117, v69 dst_sel:DWORD dst_unused:UNUSED_PAD src0_sel:WORD_0 src1_sel:DWORD
	v_lshrrev_b32_e32 v115, 3, v118
	s_mov_b32 s41, exec_lo
	v_cmpx_gt_u32_e32 8, v118
; %bb.375:                              ;   in Loop: Header=BB205_11 Depth=1
	v_ffbh_u32_e32 v115, v51
	v_min_u32_e32 v115, 32, v115
	v_subrev_nc_u32_e32 v118, 28, v115
	v_sub_nc_u32_e32 v115, 29, v115
	v_lshlrev_b64 v[118:119], v118, v[51:52]
	v_and_b32_e32 v51, 7, v118
; %bb.376:                              ;   in Loop: Header=BB205_11 Depth=1
	s_or_b32 exec_lo, exec_lo, s41
	v_lshlrev_b32_e32 v117, 24, v117
	v_lshlrev_b32_e32 v51, 20, v51
	v_lshl_add_u32 v115, v115, 23, 0x3c000000
	v_and_b32_e32 v117, 0x80000000, v117
	v_or3_b32 v115, v51, v117, v115
.LBB205_377:                            ;   in Loop: Header=BB205_11 Depth=1
	s_or_b32 exec_lo, exec_lo, s40
.LBB205_378:                            ;   in Loop: Header=BB205_11 Depth=1
	s_or_b32 exec_lo, exec_lo, s39
.LBB205_379:                            ;   in Loop: Header=BB205_11 Depth=1
	s_or_b32 exec_lo, exec_lo, s3
	global_load_ubyte v119, v[57:58], off offset:1416
	v_mov_b32_e32 v117, 0
	v_mov_b32_e32 v118, 0
	s_mov_b32 s3, exec_lo
	s_waitcnt vmcnt(0)
	v_cmpx_ne_u16_e32 0, v119
	s_cbranch_execz .LBB205_387
; %bb.380:                              ;   in Loop: Header=BB205_11 Depth=1
	v_bfrev_b32_e32 v118, 1
	s_mov_b32 s39, exec_lo
	v_cmpx_ne_u16_e32 0x80, v119
	s_cbranch_execz .LBB205_386
; %bb.381:                              ;   in Loop: Header=BB205_11 Depth=1
	v_and_b32_sdwa v120, v119, v68 dst_sel:DWORD dst_unused:UNUSED_PAD src0_sel:WORD_0 src1_sel:DWORD
	v_mov_b32_e32 v118, 0x7f800001
	s_mov_b32 s40, exec_lo
	v_cmpx_ne_u32_e32 0x7f, v120
	s_cbranch_execz .LBB205_385
; %bb.382:                              ;   in Loop: Header=BB205_11 Depth=1
	v_and_b32_sdwa v51, v119, v69 dst_sel:DWORD dst_unused:UNUSED_PAD src0_sel:WORD_0 src1_sel:DWORD
	v_lshrrev_b32_e32 v118, 3, v120
	s_mov_b32 s41, exec_lo
	v_cmpx_gt_u32_e32 8, v120
; %bb.383:                              ;   in Loop: Header=BB205_11 Depth=1
	v_ffbh_u32_e32 v118, v51
	v_min_u32_e32 v118, 32, v118
	v_subrev_nc_u32_e32 v120, 28, v118
	v_sub_nc_u32_e32 v118, 29, v118
	v_lshlrev_b64 v[120:121], v120, v[51:52]
	v_and_b32_e32 v51, 7, v120
; %bb.384:                              ;   in Loop: Header=BB205_11 Depth=1
	s_or_b32 exec_lo, exec_lo, s41
	v_lshlrev_b32_e32 v119, 24, v119
	v_lshlrev_b32_e32 v51, 20, v51
	v_lshl_add_u32 v118, v118, 23, 0x3c000000
	v_and_b32_e32 v119, 0x80000000, v119
	v_or3_b32 v118, v51, v119, v118
.LBB205_385:                            ;   in Loop: Header=BB205_11 Depth=1
	s_or_b32 exec_lo, exec_lo, s40
.LBB205_386:                            ;   in Loop: Header=BB205_11 Depth=1
	s_or_b32 exec_lo, exec_lo, s39
.LBB205_387:                            ;   in Loop: Header=BB205_11 Depth=1
	s_or_b32 exec_lo, exec_lo, s3
	global_load_ubyte v57, v[57:58], off offset:1420
	s_mov_b32 s3, exec_lo
	s_waitcnt vmcnt(0)
	v_cmpx_ne_u16_e32 0, v57
	s_cbranch_execz .LBB205_395
; %bb.388:                              ;   in Loop: Header=BB205_11 Depth=1
	v_bfrev_b32_e32 v117, 1
	s_mov_b32 s39, exec_lo
	v_cmpx_ne_u16_e32 0x80, v57
	s_cbranch_execz .LBB205_394
; %bb.389:                              ;   in Loop: Header=BB205_11 Depth=1
	v_and_b32_sdwa v119, v57, v68 dst_sel:DWORD dst_unused:UNUSED_PAD src0_sel:WORD_0 src1_sel:DWORD
	v_mov_b32_e32 v117, 0x7f800001
	s_mov_b32 s40, exec_lo
	v_cmpx_ne_u32_e32 0x7f, v119
	s_cbranch_execz .LBB205_393
; %bb.390:                              ;   in Loop: Header=BB205_11 Depth=1
	v_and_b32_sdwa v51, v57, v69 dst_sel:DWORD dst_unused:UNUSED_PAD src0_sel:WORD_0 src1_sel:DWORD
	v_lshrrev_b32_e32 v58, 3, v119
	s_mov_b32 s41, exec_lo
	v_cmpx_gt_u32_e32 8, v119
; %bb.391:                              ;   in Loop: Header=BB205_11 Depth=1
	v_ffbh_u32_e32 v58, v51
	v_min_u32_e32 v58, 32, v58
	v_subrev_nc_u32_e32 v117, 28, v58
	v_sub_nc_u32_e32 v58, 29, v58
	v_lshlrev_b64 v[119:120], v117, v[51:52]
	v_and_b32_e32 v51, 7, v119
; %bb.392:                              ;   in Loop: Header=BB205_11 Depth=1
	s_or_b32 exec_lo, exec_lo, s41
	v_lshlrev_b32_e32 v57, 24, v57
	v_lshlrev_b32_e32 v51, 20, v51
	v_lshl_add_u32 v58, v58, 23, 0x3c000000
	v_and_b32_e32 v57, 0x80000000, v57
	v_or3_b32 v117, v51, v57, v58
.LBB205_393:                            ;   in Loop: Header=BB205_11 Depth=1
	s_or_b32 exec_lo, exec_lo, s40
.LBB205_394:                            ;   in Loop: Header=BB205_11 Depth=1
	s_or_b32 exec_lo, exec_lo, s39
.LBB205_395:                            ;   in Loop: Header=BB205_11 Depth=1
	s_or_b32 exec_lo, exec_lo, s3
	s_waitcnt lgkmcnt(0)
	v_mul_f32_e32 v51, s4, v71
	v_mul_f32_e32 v57, s4, v72
	;; [unrolled: 1-line block ×4, first 2 shown]
	v_fmac_f32_e32 v51, v1, v57
	v_mul_f32_e32 v57, s4, v73
	v_fmac_f32_e32 v51, v3, v58
	v_mul_f32_e32 v58, s4, v76
	;; [unrolled: 2-line block ×45, first 2 shown]
	v_fmac_f32_e32 v51, v47, v58
	v_fmac_f32_e32 v51, v48, v57
	ds_bpermute_b32 v57, v63, v51
	s_waitcnt lgkmcnt(0)
	v_add_f32_e32 v51, v51, v57
	ds_bpermute_b32 v57, v64, v51
	s_and_saveexec_b32 s3, vcc_lo
	s_cbranch_execz .LBB205_10
; %bb.396:                              ;   in Loop: Header=BB205_11 Depth=1
	v_add_nc_u32_e32 v58, s5, v66
	s_waitcnt lgkmcnt(0)
	v_add_f32_e32 v51, v51, v57
	v_cmp_gt_i32_e64 s2, s27, v66
	v_cvt_f32_i32_e32 v58, v58
	v_mul_f32_e32 v58, s36, v58
	v_cndmask_b32_e64 v57, 0, v58, s1
	v_max_f32_e32 v58, v65, v65
	v_fmac_f32_e32 v57, s37, v51
	v_max_f32_e32 v51, v58, v57
	v_cndmask_b32_e64 v57, 0, v57, s2
	v_cndmask_b32_e64 v65, v65, v51, s2
	ds_write_b32 v67, v57
	s_branch .LBB205_10
.LBB205_397:
	s_or_b32 exec_lo, exec_lo, s16
.LBB205_398:
	s_or_b32 exec_lo, exec_lo, s38
	v_xor_b32_e32 v1, 16, v61
	v_xor_b32_e32 v3, 8, v61
	v_max_f32_e32 v5, v65, v65
	v_and_b32_e32 v25, 31, v0
	v_cmp_lt_i32_e32 vcc_lo, v1, v62
	v_cndmask_b32_e32 v1, v61, v1, vcc_lo
	v_cmp_lt_i32_e32 vcc_lo, v3, v62
	v_lshlrev_b32_e32 v2, 2, v1
	v_cndmask_b32_e32 v3, v61, v3, vcc_lo
	ds_bpermute_b32 v1, v2, v65
	v_lshlrev_b32_e32 v4, 2, v3
	s_waitcnt lgkmcnt(0)
	v_max_f32_e32 v1, v1, v1
	v_max_f32_e32 v1, v5, v1
	v_xor_b32_e32 v5, 4, v61
	ds_bpermute_b32 v3, v4, v1
	v_cmp_lt_i32_e32 vcc_lo, v5, v62
	v_cndmask_b32_e32 v5, v61, v5, vcc_lo
	v_cmp_eq_u32_e32 vcc_lo, 0, v25
	v_lshlrev_b32_e32 v7, 2, v5
	v_lshlrev_b32_e32 v5, 2, v59
	s_waitcnt lgkmcnt(0)
	v_max_f32_e32 v3, v3, v3
	v_max_f32_e32 v1, v1, v3
	ds_bpermute_b32 v3, v7, v1
	s_and_saveexec_b32 s1, vcc_lo
	s_cbranch_execz .LBB205_400
; %bb.399:
	s_waitcnt lgkmcnt(0)
	v_max_f32_e32 v3, v3, v3
	v_max_f32_e32 v1, v1, v1
	v_max_f32_e32 v1, v1, v3
	ds_write_b32 v5, v1 offset:768
.LBB205_400:
	s_or_b32 exec_lo, exec_lo, s1
	v_cmp_gt_u32_e64 s1, 4, v25
	v_mov_b32_e32 v1, 0xff7fffff
	v_lshlrev_b32_e32 v6, 2, v25
	s_waitcnt lgkmcnt(0)
	s_barrier
	buffer_gl0_inv
	s_and_saveexec_b32 s2, s1
; %bb.401:
	ds_read_b32 v1, v6 offset:768
; %bb.402:
	s_or_b32 exec_lo, exec_lo, s2
	v_xor_b32_e32 v3, 2, v61
	v_xor_b32_e32 v9, 1, v61
	v_cmp_lt_i32_e64 s2, v3, v62
	v_cndmask_b32_e64 v3, v61, v3, s2
	v_cmp_lt_i32_e64 s2, v9, v62
	v_lshlrev_b32_e32 v8, 2, v3
	v_cndmask_b32_e64 v9, v61, v9, s2
	s_sub_i32 s2, s11, s15
	s_lshl_b32 s2, s2, 3
	s_waitcnt lgkmcnt(0)
	ds_bpermute_b32 v3, v8, v1
	v_max_f32_e32 v1, v1, v1
	v_lshlrev_b32_e32 v26, 2, v9
	s_add_i32 s2, s2, s33
	v_mov_b32_e32 v9, 0
	s_min_i32 s2, s2, s27
	s_sub_i32 s4, s2, s33
	v_cmp_gt_i32_e64 s2, s4, v0
	s_waitcnt lgkmcnt(0)
	v_max_f32_e32 v3, v3, v3
	v_max_f32_e32 v1, v1, v3
	ds_bpermute_b32 v3, v26, v1
	s_waitcnt lgkmcnt(0)
	v_max_f32_e32 v3, v3, v3
	v_max_f32_e32 v1, v1, v3
	v_lshlrev_b32_e32 v3, 2, v52
	ds_bpermute_b32 v1, v3, v1
	v_lshl_add_u32 v3, v0, 2, 0x320
	s_and_saveexec_b32 s5, s2
	s_cbranch_execz .LBB205_406
; %bb.403:
	v_lshl_add_u32 v10, v0, 2, 0x320
	v_mov_b32_e32 v9, 0
	v_mov_b32_e32 v11, v0
	s_mov_b32 s15, 0
	.p2align	6
.LBB205_404:                            ; =>This Inner Loop Header: Depth=1
	ds_read_b32 v12, v10
	v_add_nc_u32_e32 v11, 0x80, v11
	v_cmp_le_i32_e64 s3, s4, v11
	s_or_b32 s15, s3, s15
	s_waitcnt lgkmcnt(0)
	v_sub_f32_e32 v12, v12, v1
	v_mul_f32_e32 v12, 0x3fb8aa3b, v12
	v_exp_f32_e32 v12, v12
	ds_write_b32 v10, v12
	v_add_f32_e32 v9, v9, v12
	v_add_nc_u32_e32 v10, 0x200, v10
	s_andn2_b32 exec_lo, exec_lo, s15
	s_cbranch_execnz .LBB205_404
; %bb.405:
	s_or_b32 exec_lo, exec_lo, s15
.LBB205_406:
	s_or_b32 exec_lo, exec_lo, s5
	ds_bpermute_b32 v2, v2, v9
	s_waitcnt lgkmcnt(0)
	v_add_f32_e32 v2, v9, v2
	ds_bpermute_b32 v4, v4, v2
	s_waitcnt lgkmcnt(0)
	v_add_f32_e32 v2, v2, v4
	;; [unrolled: 3-line block ×5, first 2 shown]
	s_and_saveexec_b32 s3, vcc_lo
; %bb.407:
	ds_write_b32 v5, v2 offset:784
; %bb.408:
	s_or_b32 exec_lo, exec_lo, s3
	s_waitcnt lgkmcnt(0)
	s_barrier
	buffer_gl0_inv
	s_and_saveexec_b32 s3, s1
; %bb.409:
	ds_read_b32 v2, v6 offset:784
; %bb.410:
	s_or_b32 exec_lo, exec_lo, s3
	s_waitcnt lgkmcnt(0)
	ds_bpermute_b32 v4, v8, v2
	v_lshlrev_b32_e32 v5, 2, v61
	s_waitcnt lgkmcnt(0)
	v_add_f32_e32 v2, v2, v4
	ds_bpermute_b32 v4, v26, v2
	s_waitcnt lgkmcnt(0)
	v_add_f32_e32 v2, v2, v4
	v_and_b32_e32 v4, 0xffffff80, v5
	ds_bpermute_b32 v2, v4, v2
	s_and_saveexec_b32 s1, s2
	s_cbranch_execz .LBB205_413
; %bb.411:
	s_waitcnt lgkmcnt(0)
	v_add_f32_e32 v4, 0x358637bd, v2
	s_mov_b32 s2, 0
	v_div_scale_f32 v5, null, v4, v4, 1.0
	v_div_scale_f32 v8, vcc_lo, 1.0, v4, 1.0
	v_rcp_f32_e32 v6, v5
	v_fma_f32 v7, -v5, v6, 1.0
	v_fmac_f32_e32 v6, v7, v6
	v_mul_f32_e32 v7, v8, v6
	v_fma_f32 v9, -v5, v7, v8
	v_fmac_f32_e32 v7, v9, v6
	v_fma_f32 v5, -v5, v7, v8
	v_div_fmas_f32 v5, v5, v6, v7
	v_div_fixup_f32 v4, v5, v4, 1.0
	v_mov_b32_e32 v5, v0
.LBB205_412:                            ; =>This Inner Loop Header: Depth=1
	ds_read_b32 v6, v3
	v_add_nc_u32_e32 v5, 0x80, v5
	v_cmp_le_i32_e32 vcc_lo, s4, v5
	s_or_b32 s2, vcc_lo, s2
	s_waitcnt lgkmcnt(0)
	v_mul_f32_e32 v6, v4, v6
	ds_write_b32 v3, v6
	v_add_nc_u32_e32 v3, 0x200, v3
	s_andn2_b32 exec_lo, exec_lo, s2
	s_cbranch_execnz .LBB205_412
.LBB205_413:
	s_or_b32 exec_lo, exec_lo, s1
	s_mul_i32 s1, s7, s26
	s_waitcnt lgkmcnt(0)
	s_mul_i32 s2, s1, s9
	s_mov_b32 s1, exec_lo
	s_barrier
	buffer_gl0_inv
	v_cmpx_eq_u32_e32 0, v0
	s_cbranch_execz .LBB205_415
; %bb.414:
	s_ashr_i32 s3, s2, 31
	s_mul_i32 s16, s7, s6
	s_lshl_b64 s[4:5], s[2:3], 2
	v_mov_b32_e32 v3, 0
	s_add_u32 s3, s22, s4
	s_addc_u32 s6, s23, s5
	s_ashr_i32 s17, s16, 31
	s_lshl_b64 s[16:17], s[16:17], 2
	s_add_u32 s3, s3, s16
	s_addc_u32 s6, s6, s17
	s_ashr_i32 s9, s8, 31
	s_lshl_b64 s[22:23], s[8:9], 2
	s_add_u32 s36, s3, s22
	s_addc_u32 s37, s6, s23
	s_add_u32 s3, s20, s4
	s_addc_u32 s4, s21, s5
	;; [unrolled: 2-line block ×4, first 2 shown]
	global_store_dword v3, v1, s[36:37]
	global_store_dword v3, v2, s[4:5]
.LBB205_415:
	s_or_b32 exec_lo, exec_lo, s1
	v_mov_b32_e32 v37, 0
	v_and_b32_e32 v27, 1, v0
	v_mov_b32_e32 v39, 0
	v_mov_b32_e32 v38, 0
	;; [unrolled: 1-line block ×11, first 2 shown]
	s_and_saveexec_b32 s1, s0
	s_cbranch_execz .LBB205_827
; %bb.416:
	s_load_dword s3, s[18:19], 0x0
	v_and_b32_e32 v1, 4, v60
	v_and_b32_e32 v2, 0x7c, v60
	v_lshl_add_u32 v4, v59, 3, s33
	s_ashr_i32 s0, s14, 31
	s_add_u32 s5, s34, s14
	v_lshlrev_b32_e32 v3, 4, v27
	v_add_co_u32 v7, s5, s5, v2
	v_add3_u32 v40, v4, v1, 3
	v_lshlrev_b64 v[1:2], 2, v[49:50]
	s_addc_u32 s0, s35, s0
	s_lshl_b64 s[14:15], s[30:31], 2
	s_add_i32 s4, s12, -1
	v_lshl_or_b32 v3, v59, 5, v3
	v_add_co_ci_u32_e64 v8, null, s0, 0, s5
	s_add_u32 s0, s28, s14
	s_addc_u32 s5, s29, s15
	v_add_co_u32 v9, vcc_lo, s0, v1
	v_mov_b32_e32 v6, 0
	v_add_nc_u32_e32 v41, 0x320, v3
	v_add_co_ci_u32_e64 v10, null, s5, v2, vcc_lo
	v_mov_b32_e32 v42, 0x80
	v_bfrev_b32_e32 v12, 1
	v_mov_b32_e32 v43, 0xffff
	v_mov_b32_e32 v14, 0x7f800001
	v_mov_b32_e32 v44, 0xff
	v_mov_b32_e32 v45, 7
	v_mov_b32_e32 v46, 24
	v_mov_b32_e32 v28, 0
	v_mov_b32_e32 v29, 0
	v_mov_b32_e32 v30, 0
	v_mov_b32_e32 v31, 0
	v_mov_b32_e32 v32, 0
	v_mov_b32_e32 v33, 0
	v_mov_b32_e32 v34, 0
	v_mov_b32_e32 v35, 0
	v_mov_b32_e32 v36, 0
	v_mov_b32_e32 v38, 0
	v_mov_b32_e32 v39, 0
	v_mov_b32_e32 v37, 0
	s_mov_b32 s5, s13
	s_waitcnt lgkmcnt(0)
	s_mov_b32 s9, s3
	s_mov_b32 s6, 0
	s_branch .LBB205_418
.LBB205_417:                            ;   in Loop: Header=BB205_418 Depth=1
	s_or_b32 exec_lo, exec_lo, s0
	s_waitcnt lgkmcnt(0)
	v_mul_f32_e32 v16, v1, v93
	v_mul_f32_e32 v17, v1, v91
	;; [unrolled: 1-line block ×5, first 2 shown]
	v_fmac_f32_e32 v16, v2, v92
	v_fmac_f32_e32 v17, v2, v90
	;; [unrolled: 1-line block ×4, first 2 shown]
	v_mul_f32_e32 v21, v1, v75
	v_fmac_f32_e32 v16, v3, v24
	v_fmac_f32_e32 v17, v3, v89
	;; [unrolled: 1-line block ×4, first 2 shown]
	v_mul_f32_e32 v22, v1, v71
	v_fmac_f32_e32 v16, v4, v23
	v_fmac_f32_e32 v17, v4, v88
	;; [unrolled: 1-line block ×5, first 2 shown]
	v_add_f32_e32 v29, v29, v16
	v_add_f32_e32 v30, v30, v17
	;; [unrolled: 1-line block ×4, first 2 shown]
	v_mul_f32_e32 v16, v1, v67
	v_mul_f32_e32 v17, v1, v63
	;; [unrolled: 1-line block ×5, first 2 shown]
	v_fmac_f32_e32 v21, v2, v74
	v_fmac_f32_e32 v22, v2, v70
	;; [unrolled: 1-line block ×15, first 2 shown]
	v_add_nc_u32_e32 v49, 4, v49
	v_fmac_f32_e32 v20, v4, v76
	v_fmac_f32_e32 v21, v4, v72
	;; [unrolled: 1-line block ×8, first 2 shown]
	v_cmp_le_i32_e32 vcc_lo, s11, v49
	v_add_co_u32 v9, s0, v9, 16
	v_add_f32_e32 v33, v33, v20
	v_add_f32_e32 v34, v34, v21
	;; [unrolled: 1-line block ×8, first 2 shown]
	v_add_nc_u32_e32 v40, 32, v40
	v_add_nc_u32_e32 v41, 0x80, v41
	v_add_co_ci_u32_e64 v10, null, 0, v10, s0
	s_or_b32 s6, vcc_lo, s6
	s_andn2_b32 exec_lo, exec_lo, s6
	s_cbranch_execz .LBB205_826
.LBB205_418:                            ; =>This Inner Loop Header: Depth=1
	global_load_dword v1, v[9:10], off
	v_mov_b32_e32 v19, 0
	v_mov_b32_e32 v17, 0
	;; [unrolled: 1-line block ×4, first 2 shown]
	s_waitcnt vmcnt(0)
	v_mad_i64_i32 v[15:16], null, v1, s5, v[7:8]
	ds_read_b128 v[1:4], v41
	global_load_dword v47, v[15:16], off
	s_waitcnt vmcnt(0)
	v_cmp_ne_u16_sdwa s12, v47, v6 src0_sel:BYTE_0 src1_sel:DWORD
	s_and_saveexec_b32 s0, s12
	s_cbranch_execz .LBB205_426
; %bb.419:                              ;   in Loop: Header=BB205_418 Depth=1
	v_bfrev_b32_e32 v17, 1
	v_mov_b32_e32 v18, 0
	v_cmp_ne_u16_sdwa s13, v47, v42 src0_sel:BYTE_0 src1_sel:DWORD
	s_and_saveexec_b32 s12, s13
	s_cbranch_execz .LBB205_425
; %bb.420:                              ;   in Loop: Header=BB205_418 Depth=1
	v_mov_b32_e32 v17, 0x7f800001
	v_and_b32_e32 v13, 0x7f, v47
	v_mov_b32_e32 v18, 0
	s_mov_b32 s13, exec_lo
	v_cmpx_ne_u32_e32 0x7f, v13
	s_cbranch_execz .LBB205_424
; %bb.421:                              ;   in Loop: Header=BB205_418 Depth=1
	v_and_b32_e32 v5, 7, v47
	v_lshrrev_b32_e32 v11, 3, v13
	s_mov_b32 s14, exec_lo
	v_cmpx_gt_u32_e32 8, v13
; %bb.422:                              ;   in Loop: Header=BB205_418 Depth=1
	v_ffbh_u32_e32 v11, v5
	v_min_u32_e32 v11, 32, v11
	v_subrev_nc_u32_e32 v13, 28, v11
	v_sub_nc_u32_e32 v11, 29, v11
	v_lshlrev_b64 v[17:18], v13, v[5:6]
	v_and_b32_e32 v5, 7, v17
; %bb.423:                              ;   in Loop: Header=BB205_418 Depth=1
	s_or_b32 exec_lo, exec_lo, s14
	v_lshlrev_b32_e32 v13, 24, v47
	v_lshlrev_b32_e32 v5, 20, v5
	v_lshl_add_u32 v11, v11, 23, 0x3c000000
	v_and_b32_e32 v13, 0x80000000, v13
	v_or3_b32 v5, v5, v13, v11
	v_mov_b32_e32 v18, v6
	v_mov_b32_e32 v17, v5
.LBB205_424:                            ;   in Loop: Header=BB205_418 Depth=1
	s_or_b32 exec_lo, exec_lo, s13
.LBB205_425:                            ;   in Loop: Header=BB205_418 Depth=1
	s_or_b32 exec_lo, exec_lo, s12
.LBB205_426:                            ;   in Loop: Header=BB205_418 Depth=1
	s_or_b32 exec_lo, exec_lo, s0
	v_cmp_ne_u16_sdwa s12, v47, v6 src0_sel:BYTE_1 src1_sel:DWORD
	s_and_saveexec_b32 s0, s12
	s_cbranch_execz .LBB205_434
; %bb.427:                              ;   in Loop: Header=BB205_418 Depth=1
	v_mov_b32_e32 v11, v6
	v_mov_b32_e32 v20, v12
	v_cmp_ne_u16_sdwa s13, v47, v42 src0_sel:BYTE_1 src1_sel:DWORD
	v_mov_b32_e32 v19, v11
	s_and_saveexec_b32 s12, s13
	s_cbranch_execz .LBB205_433
; %bb.428:                              ;   in Loop: Header=BB205_418 Depth=1
	v_and_b32_sdwa v5, v43, v47 dst_sel:DWORD dst_unused:UNUSED_PAD src0_sel:DWORD src1_sel:BYTE_1
	v_mov_b32_e32 v13, v6
	v_mov_b32_e32 v20, v14
	s_mov_b32 s13, exec_lo
	v_and_b32_e32 v21, 0x7f, v5
	v_mov_b32_e32 v19, v13
	v_cmpx_ne_u32_e32 0x7f, v21
	s_cbranch_execz .LBB205_432
; %bb.429:                              ;   in Loop: Header=BB205_418 Depth=1
	v_and_b32_e32 v5, 7, v5
	v_lshrrev_b32_e32 v11, 3, v21
	s_mov_b32 s14, exec_lo
	v_cmpx_gt_u32_e32 8, v21
; %bb.430:                              ;   in Loop: Header=BB205_418 Depth=1
	v_ffbh_u32_e32 v11, v5
	v_min_u32_e32 v11, 32, v11
	v_subrev_nc_u32_e32 v13, 28, v11
	v_sub_nc_u32_e32 v11, 29, v11
	v_lshlrev_b64 v[19:20], v13, v[5:6]
	v_and_b32_e32 v5, 7, v19
; %bb.431:                              ;   in Loop: Header=BB205_418 Depth=1
	s_or_b32 exec_lo, exec_lo, s14
	v_lshlrev_b32_e32 v13, 16, v47
	v_lshlrev_b32_e32 v5, 20, v5
	v_lshl_add_u32 v11, v11, 23, 0x3c000000
	v_mov_b32_e32 v19, v6
	v_and_b32_e32 v13, 0x80000000, v13
	v_or3_b32 v20, v5, v13, v11
.LBB205_432:                            ;   in Loop: Header=BB205_418 Depth=1
	s_or_b32 exec_lo, exec_lo, s13
.LBB205_433:                            ;   in Loop: Header=BB205_418 Depth=1
	s_or_b32 exec_lo, exec_lo, s12
.LBB205_434:                            ;   in Loop: Header=BB205_418 Depth=1
	s_or_b32 exec_lo, exec_lo, s0
	v_mov_b32_e32 v23, 0
	v_mov_b32_e32 v21, 0
	v_and_b32_sdwa v5, v47, v44 dst_sel:DWORD dst_unused:UNUSED_PAD src0_sel:WORD_1 src1_sel:DWORD
	v_mov_b32_e32 v24, 0
	v_mov_b32_e32 v22, 0
	s_mov_b32 s0, exec_lo
	v_cmpx_ne_u16_e32 0, v5
	s_cbranch_execz .LBB205_442
; %bb.435:                              ;   in Loop: Header=BB205_418 Depth=1
	v_bfrev_b32_e32 v21, 1
	v_mov_b32_e32 v22, 0
	s_mov_b32 s12, exec_lo
	v_cmpx_ne_u16_e32 0x80, v5
	s_cbranch_execz .LBB205_441
; %bb.436:                              ;   in Loop: Header=BB205_418 Depth=1
	v_mov_b32_e32 v21, 0x7f800001
	v_bfe_u32 v13, v47, 16, 7
	v_mov_b32_e32 v22, 0
	s_mov_b32 s13, exec_lo
	v_cmpx_ne_u32_e32 0x7f, v13
	s_cbranch_execz .LBB205_440
; %bb.437:                              ;   in Loop: Header=BB205_418 Depth=1
	v_and_b32_sdwa v5, v47, v45 dst_sel:DWORD dst_unused:UNUSED_PAD src0_sel:WORD_1 src1_sel:DWORD
	v_lshrrev_b32_e32 v11, 3, v13
	s_mov_b32 s14, exec_lo
	v_cmpx_gt_u32_e32 8, v13
; %bb.438:                              ;   in Loop: Header=BB205_418 Depth=1
	v_ffbh_u32_e32 v11, v5
	v_min_u32_e32 v11, 32, v11
	v_subrev_nc_u32_e32 v13, 28, v11
	v_sub_nc_u32_e32 v11, 29, v11
	v_lshlrev_b64 v[21:22], v13, v[5:6]
	v_and_b32_e32 v5, 7, v21
; %bb.439:                              ;   in Loop: Header=BB205_418 Depth=1
	s_or_b32 exec_lo, exec_lo, s14
	v_lshlrev_b32_sdwa v13, v46, v47 dst_sel:DWORD dst_unused:UNUSED_PAD src0_sel:DWORD src1_sel:WORD_1
	v_lshlrev_b32_e32 v5, 20, v5
	v_lshl_add_u32 v11, v11, 23, 0x3c000000
	v_and_b32_e32 v13, 0x80000000, v13
	v_or3_b32 v5, v5, v13, v11
	v_mov_b32_e32 v22, v6
	v_mov_b32_e32 v21, v5
.LBB205_440:                            ;   in Loop: Header=BB205_418 Depth=1
	s_or_b32 exec_lo, exec_lo, s13
.LBB205_441:                            ;   in Loop: Header=BB205_418 Depth=1
	s_or_b32 exec_lo, exec_lo, s12
.LBB205_442:                            ;   in Loop: Header=BB205_418 Depth=1
	s_or_b32 exec_lo, exec_lo, s0
	s_mov_b32 s0, exec_lo
	v_cmpx_lt_u32_e32 0xffffff, v47
	s_cbranch_execz .LBB205_450
; %bb.443:                              ;   in Loop: Header=BB205_418 Depth=1
	v_mov_b32_e32 v11, v6
	v_mov_b32_e32 v24, v12
	v_cmp_ne_u32_sdwa s13, v47, v42 src0_sel:BYTE_3 src1_sel:DWORD
	v_mov_b32_e32 v23, v11
	s_and_saveexec_b32 s12, s13
	s_cbranch_execz .LBB205_449
; %bb.444:                              ;   in Loop: Header=BB205_418 Depth=1
	v_mov_b32_e32 v13, v6
	v_mov_b32_e32 v24, v14
	v_bfe_u32 v48, v47, 24, 7
	s_mov_b32 s13, exec_lo
	v_mov_b32_e32 v23, v13
	v_cmpx_ne_u32_e32 0x7f, v48
	s_cbranch_execz .LBB205_448
; %bb.445:                              ;   in Loop: Header=BB205_418 Depth=1
	v_and_b32_sdwa v5, v47, v45 dst_sel:DWORD dst_unused:UNUSED_PAD src0_sel:BYTE_3 src1_sel:DWORD
	v_lshrrev_b32_e32 v11, 3, v48
	s_mov_b32 s14, exec_lo
	v_cmpx_gt_u32_e32 8, v48
; %bb.446:                              ;   in Loop: Header=BB205_418 Depth=1
	v_ffbh_u32_e32 v11, v5
	v_min_u32_e32 v11, 32, v11
	v_subrev_nc_u32_e32 v13, 28, v11
	v_sub_nc_u32_e32 v11, 29, v11
	v_lshlrev_b64 v[23:24], v13, v[5:6]
	v_and_b32_e32 v5, 7, v23
; %bb.447:                              ;   in Loop: Header=BB205_418 Depth=1
	s_or_b32 exec_lo, exec_lo, s14
	v_lshlrev_b32_sdwa v13, v46, v47 dst_sel:DWORD dst_unused:UNUSED_PAD src0_sel:DWORD src1_sel:BYTE_3
	v_lshlrev_b32_e32 v5, 20, v5
	v_lshl_add_u32 v11, v11, 23, 0x3c000000
	v_mov_b32_e32 v23, v6
	v_and_b32_e32 v13, 0x80000000, v13
	v_or3_b32 v24, v5, v13, v11
.LBB205_448:                            ;   in Loop: Header=BB205_418 Depth=1
	s_or_b32 exec_lo, exec_lo, s13
.LBB205_449:                            ;   in Loop: Header=BB205_418 Depth=1
	s_or_b32 exec_lo, exec_lo, s12
.LBB205_450:                            ;   in Loop: Header=BB205_418 Depth=1
	s_or_b32 exec_lo, exec_lo, s0
	v_or_b32_e32 v5, v20, v18
	v_or_b32_e32 v11, v19, v17
	;; [unrolled: 1-line block ×4, first 2 shown]
	v_add_nc_u32_e32 v52, -3, v40
	v_cmp_eq_u32_e32 vcc_lo, s4, v49
	v_mul_f32_e32 v50, s9, v5
	v_mul_f32_e32 v51, s3, v11
	;; [unrolled: 1-line block ×4, first 2 shown]
	v_add_nc_u32_e32 v54, -2, v40
	v_add_nc_u32_e32 v53, -1, v40
	s_and_saveexec_b32 s12, vcc_lo
	s_cbranch_execz .LBB205_452
; %bb.451:                              ;   in Loop: Header=BB205_418 Depth=1
	v_cmp_gt_i32_e64 s0, s27, v52
	v_cndmask_b32_e64 v51, 0, v51, s0
	v_cmp_gt_i32_e64 s0, s27, v54
	v_cndmask_b32_e64 v50, 0, v50, s0
	;; [unrolled: 2-line block ×4, first 2 shown]
.LBB205_452:                            ;   in Loop: Header=BB205_418 Depth=1
	s_or_b32 exec_lo, exec_lo, s12
	global_load_dword v55, v[15:16], off offset:128
	v_mov_b32_e32 v19, 0
	v_mov_b32_e32 v17, 0
	;; [unrolled: 1-line block ×4, first 2 shown]
	s_waitcnt vmcnt(0)
	v_cmp_ne_u16_sdwa s0, v55, v6 src0_sel:BYTE_0 src1_sel:DWORD
	s_and_saveexec_b32 s12, s0
	s_cbranch_execz .LBB205_460
; %bb.453:                              ;   in Loop: Header=BB205_418 Depth=1
	v_bfrev_b32_e32 v17, 1
	v_mov_b32_e32 v18, 0
	v_cmp_ne_u16_sdwa s0, v55, v42 src0_sel:BYTE_0 src1_sel:DWORD
	s_and_saveexec_b32 s13, s0
	s_cbranch_execz .LBB205_459
; %bb.454:                              ;   in Loop: Header=BB205_418 Depth=1
	v_mov_b32_e32 v17, 0x7f800001
	v_and_b32_e32 v13, 0x7f, v55
	v_mov_b32_e32 v18, 0
	s_mov_b32 s14, exec_lo
	v_cmpx_ne_u32_e32 0x7f, v13
	s_cbranch_execz .LBB205_458
; %bb.455:                              ;   in Loop: Header=BB205_418 Depth=1
	v_and_b32_e32 v5, 7, v55
	v_lshrrev_b32_e32 v11, 3, v13
	s_mov_b32 s15, exec_lo
	v_cmpx_gt_u32_e32 8, v13
; %bb.456:                              ;   in Loop: Header=BB205_418 Depth=1
	v_ffbh_u32_e32 v11, v5
	v_min_u32_e32 v11, 32, v11
	v_subrev_nc_u32_e32 v13, 28, v11
	v_sub_nc_u32_e32 v11, 29, v11
	v_lshlrev_b64 v[17:18], v13, v[5:6]
	v_and_b32_e32 v5, 7, v17
; %bb.457:                              ;   in Loop: Header=BB205_418 Depth=1
	s_or_b32 exec_lo, exec_lo, s15
	v_lshlrev_b32_e32 v13, 24, v55
	v_lshlrev_b32_e32 v5, 20, v5
	v_lshl_add_u32 v11, v11, 23, 0x3c000000
	v_and_b32_e32 v13, 0x80000000, v13
	v_or3_b32 v5, v5, v13, v11
	v_mov_b32_e32 v18, v6
	v_mov_b32_e32 v17, v5
.LBB205_458:                            ;   in Loop: Header=BB205_418 Depth=1
	s_or_b32 exec_lo, exec_lo, s14
.LBB205_459:                            ;   in Loop: Header=BB205_418 Depth=1
	s_or_b32 exec_lo, exec_lo, s13
.LBB205_460:                            ;   in Loop: Header=BB205_418 Depth=1
	s_or_b32 exec_lo, exec_lo, s12
	v_cmp_ne_u16_sdwa s0, v55, v6 src0_sel:BYTE_1 src1_sel:DWORD
	s_and_saveexec_b32 s12, s0
	s_cbranch_execz .LBB205_468
; %bb.461:                              ;   in Loop: Header=BB205_418 Depth=1
	v_mov_b32_e32 v11, v6
	v_mov_b32_e32 v20, v12
	v_cmp_ne_u16_sdwa s0, v55, v42 src0_sel:BYTE_1 src1_sel:DWORD
	v_mov_b32_e32 v19, v11
	s_and_saveexec_b32 s13, s0
	s_cbranch_execz .LBB205_467
; %bb.462:                              ;   in Loop: Header=BB205_418 Depth=1
	v_and_b32_sdwa v5, v43, v55 dst_sel:DWORD dst_unused:UNUSED_PAD src0_sel:DWORD src1_sel:BYTE_1
	v_mov_b32_e32 v13, v6
	v_mov_b32_e32 v20, v14
	s_mov_b32 s14, exec_lo
	v_and_b32_e32 v21, 0x7f, v5
	v_mov_b32_e32 v19, v13
	v_cmpx_ne_u32_e32 0x7f, v21
	s_cbranch_execz .LBB205_466
; %bb.463:                              ;   in Loop: Header=BB205_418 Depth=1
	v_and_b32_e32 v5, 7, v5
	v_lshrrev_b32_e32 v11, 3, v21
	s_mov_b32 s15, exec_lo
	v_cmpx_gt_u32_e32 8, v21
; %bb.464:                              ;   in Loop: Header=BB205_418 Depth=1
	v_ffbh_u32_e32 v11, v5
	v_min_u32_e32 v11, 32, v11
	v_subrev_nc_u32_e32 v13, 28, v11
	v_sub_nc_u32_e32 v11, 29, v11
	v_lshlrev_b64 v[19:20], v13, v[5:6]
	v_and_b32_e32 v5, 7, v19
; %bb.465:                              ;   in Loop: Header=BB205_418 Depth=1
	s_or_b32 exec_lo, exec_lo, s15
	v_lshlrev_b32_e32 v13, 16, v55
	v_lshlrev_b32_e32 v5, 20, v5
	v_lshl_add_u32 v11, v11, 23, 0x3c000000
	v_mov_b32_e32 v19, v6
	v_and_b32_e32 v13, 0x80000000, v13
	v_or3_b32 v20, v5, v13, v11
.LBB205_466:                            ;   in Loop: Header=BB205_418 Depth=1
	s_or_b32 exec_lo, exec_lo, s14
.LBB205_467:                            ;   in Loop: Header=BB205_418 Depth=1
	s_or_b32 exec_lo, exec_lo, s13
.LBB205_468:                            ;   in Loop: Header=BB205_418 Depth=1
	s_or_b32 exec_lo, exec_lo, s12
	v_mov_b32_e32 v23, 0
	v_mov_b32_e32 v21, 0
	v_and_b32_sdwa v5, v55, v44 dst_sel:DWORD dst_unused:UNUSED_PAD src0_sel:WORD_1 src1_sel:DWORD
	v_mov_b32_e32 v24, 0
	v_mov_b32_e32 v22, 0
	s_mov_b32 s12, exec_lo
	v_cmpx_ne_u16_e32 0, v5
	s_cbranch_execz .LBB205_476
; %bb.469:                              ;   in Loop: Header=BB205_418 Depth=1
	v_bfrev_b32_e32 v21, 1
	v_mov_b32_e32 v22, 0
	s_mov_b32 s13, exec_lo
	v_cmpx_ne_u16_e32 0x80, v5
	s_cbranch_execz .LBB205_475
; %bb.470:                              ;   in Loop: Header=BB205_418 Depth=1
	v_mov_b32_e32 v21, 0x7f800001
	v_bfe_u32 v13, v55, 16, 7
	v_mov_b32_e32 v22, 0
	s_mov_b32 s14, exec_lo
	v_cmpx_ne_u32_e32 0x7f, v13
	s_cbranch_execz .LBB205_474
; %bb.471:                              ;   in Loop: Header=BB205_418 Depth=1
	v_and_b32_sdwa v5, v55, v45 dst_sel:DWORD dst_unused:UNUSED_PAD src0_sel:WORD_1 src1_sel:DWORD
	v_lshrrev_b32_e32 v11, 3, v13
	s_mov_b32 s15, exec_lo
	v_cmpx_gt_u32_e32 8, v13
; %bb.472:                              ;   in Loop: Header=BB205_418 Depth=1
	v_ffbh_u32_e32 v11, v5
	v_min_u32_e32 v11, 32, v11
	v_subrev_nc_u32_e32 v13, 28, v11
	v_sub_nc_u32_e32 v11, 29, v11
	v_lshlrev_b64 v[21:22], v13, v[5:6]
	v_and_b32_e32 v5, 7, v21
; %bb.473:                              ;   in Loop: Header=BB205_418 Depth=1
	s_or_b32 exec_lo, exec_lo, s15
	v_lshlrev_b32_sdwa v13, v46, v55 dst_sel:DWORD dst_unused:UNUSED_PAD src0_sel:DWORD src1_sel:WORD_1
	v_lshlrev_b32_e32 v5, 20, v5
	v_lshl_add_u32 v11, v11, 23, 0x3c000000
	v_and_b32_e32 v13, 0x80000000, v13
	v_or3_b32 v5, v5, v13, v11
	v_mov_b32_e32 v22, v6
	v_mov_b32_e32 v21, v5
.LBB205_474:                            ;   in Loop: Header=BB205_418 Depth=1
	s_or_b32 exec_lo, exec_lo, s14
.LBB205_475:                            ;   in Loop: Header=BB205_418 Depth=1
	s_or_b32 exec_lo, exec_lo, s13
.LBB205_476:                            ;   in Loop: Header=BB205_418 Depth=1
	s_or_b32 exec_lo, exec_lo, s12
	s_mov_b32 s12, exec_lo
	v_cmpx_lt_u32_e32 0xffffff, v55
	s_cbranch_execz .LBB205_484
; %bb.477:                              ;   in Loop: Header=BB205_418 Depth=1
	v_mov_b32_e32 v11, v6
	v_mov_b32_e32 v24, v12
	v_cmp_ne_u32_sdwa s0, v55, v42 src0_sel:BYTE_3 src1_sel:DWORD
	v_mov_b32_e32 v23, v11
	s_and_saveexec_b32 s13, s0
	s_cbranch_execz .LBB205_483
; %bb.478:                              ;   in Loop: Header=BB205_418 Depth=1
	v_mov_b32_e32 v13, v6
	v_mov_b32_e32 v24, v14
	v_bfe_u32 v56, v55, 24, 7
	s_mov_b32 s14, exec_lo
	v_mov_b32_e32 v23, v13
	v_cmpx_ne_u32_e32 0x7f, v56
	s_cbranch_execz .LBB205_482
; %bb.479:                              ;   in Loop: Header=BB205_418 Depth=1
	v_and_b32_sdwa v5, v55, v45 dst_sel:DWORD dst_unused:UNUSED_PAD src0_sel:BYTE_3 src1_sel:DWORD
	v_lshrrev_b32_e32 v11, 3, v56
	s_mov_b32 s15, exec_lo
	v_cmpx_gt_u32_e32 8, v56
; %bb.480:                              ;   in Loop: Header=BB205_418 Depth=1
	v_ffbh_u32_e32 v11, v5
	v_min_u32_e32 v11, 32, v11
	v_subrev_nc_u32_e32 v13, 28, v11
	v_sub_nc_u32_e32 v11, 29, v11
	v_lshlrev_b64 v[23:24], v13, v[5:6]
	v_and_b32_e32 v5, 7, v23
; %bb.481:                              ;   in Loop: Header=BB205_418 Depth=1
	s_or_b32 exec_lo, exec_lo, s15
	v_lshlrev_b32_sdwa v13, v46, v55 dst_sel:DWORD dst_unused:UNUSED_PAD src0_sel:DWORD src1_sel:BYTE_3
	v_lshlrev_b32_e32 v5, 20, v5
	v_lshl_add_u32 v11, v11, 23, 0x3c000000
	v_mov_b32_e32 v23, v6
	v_and_b32_e32 v13, 0x80000000, v13
	v_or3_b32 v24, v5, v13, v11
.LBB205_482:                            ;   in Loop: Header=BB205_418 Depth=1
	s_or_b32 exec_lo, exec_lo, s14
.LBB205_483:                            ;   in Loop: Header=BB205_418 Depth=1
	s_or_b32 exec_lo, exec_lo, s13
.LBB205_484:                            ;   in Loop: Header=BB205_418 Depth=1
	s_or_b32 exec_lo, exec_lo, s12
	v_or_b32_e32 v5, v20, v18
	v_or_b32_e32 v11, v19, v17
	;; [unrolled: 1-line block ×4, first 2 shown]
	v_mul_f32_e32 v57, s9, v5
	v_mul_f32_e32 v58, s3, v11
	v_mul_f32_e32 v56, s3, v13
	v_mul_f32_e32 v55, s9, v17
	s_and_saveexec_b32 s12, vcc_lo
	s_cbranch_execz .LBB205_486
; %bb.485:                              ;   in Loop: Header=BB205_418 Depth=1
	v_cmp_gt_i32_e64 s0, s27, v52
	v_cndmask_b32_e64 v58, 0, v58, s0
	v_cmp_gt_i32_e64 s0, s27, v54
	v_cndmask_b32_e64 v57, 0, v57, s0
	;; [unrolled: 2-line block ×4, first 2 shown]
.LBB205_486:                            ;   in Loop: Header=BB205_418 Depth=1
	s_or_b32 exec_lo, exec_lo, s12
	global_load_dword v60, v[15:16], off offset:256
	v_mov_b32_e32 v19, 0
	v_mov_b32_e32 v17, 0
	;; [unrolled: 1-line block ×4, first 2 shown]
	s_waitcnt vmcnt(0)
	v_cmp_ne_u16_sdwa s0, v60, v6 src0_sel:BYTE_0 src1_sel:DWORD
	s_and_saveexec_b32 s12, s0
	s_cbranch_execz .LBB205_494
; %bb.487:                              ;   in Loop: Header=BB205_418 Depth=1
	v_bfrev_b32_e32 v17, 1
	v_mov_b32_e32 v18, 0
	v_cmp_ne_u16_sdwa s0, v60, v42 src0_sel:BYTE_0 src1_sel:DWORD
	s_and_saveexec_b32 s13, s0
	s_cbranch_execz .LBB205_493
; %bb.488:                              ;   in Loop: Header=BB205_418 Depth=1
	v_mov_b32_e32 v17, 0x7f800001
	v_and_b32_e32 v13, 0x7f, v60
	v_mov_b32_e32 v18, 0
	s_mov_b32 s14, exec_lo
	v_cmpx_ne_u32_e32 0x7f, v13
	s_cbranch_execz .LBB205_492
; %bb.489:                              ;   in Loop: Header=BB205_418 Depth=1
	v_and_b32_e32 v5, 7, v60
	v_lshrrev_b32_e32 v11, 3, v13
	s_mov_b32 s15, exec_lo
	v_cmpx_gt_u32_e32 8, v13
; %bb.490:                              ;   in Loop: Header=BB205_418 Depth=1
	v_ffbh_u32_e32 v11, v5
	v_min_u32_e32 v11, 32, v11
	v_subrev_nc_u32_e32 v13, 28, v11
	v_sub_nc_u32_e32 v11, 29, v11
	v_lshlrev_b64 v[17:18], v13, v[5:6]
	v_and_b32_e32 v5, 7, v17
; %bb.491:                              ;   in Loop: Header=BB205_418 Depth=1
	s_or_b32 exec_lo, exec_lo, s15
	v_lshlrev_b32_e32 v13, 24, v60
	v_lshlrev_b32_e32 v5, 20, v5
	v_lshl_add_u32 v11, v11, 23, 0x3c000000
	v_and_b32_e32 v13, 0x80000000, v13
	v_or3_b32 v5, v5, v13, v11
	v_mov_b32_e32 v18, v6
	v_mov_b32_e32 v17, v5
.LBB205_492:                            ;   in Loop: Header=BB205_418 Depth=1
	s_or_b32 exec_lo, exec_lo, s14
.LBB205_493:                            ;   in Loop: Header=BB205_418 Depth=1
	s_or_b32 exec_lo, exec_lo, s13
.LBB205_494:                            ;   in Loop: Header=BB205_418 Depth=1
	s_or_b32 exec_lo, exec_lo, s12
	v_cmp_ne_u16_sdwa s0, v60, v6 src0_sel:BYTE_1 src1_sel:DWORD
	s_and_saveexec_b32 s12, s0
	s_cbranch_execz .LBB205_502
; %bb.495:                              ;   in Loop: Header=BB205_418 Depth=1
	v_mov_b32_e32 v11, v6
	v_mov_b32_e32 v20, v12
	v_cmp_ne_u16_sdwa s0, v60, v42 src0_sel:BYTE_1 src1_sel:DWORD
	v_mov_b32_e32 v19, v11
	s_and_saveexec_b32 s13, s0
	s_cbranch_execz .LBB205_501
; %bb.496:                              ;   in Loop: Header=BB205_418 Depth=1
	v_and_b32_sdwa v5, v43, v60 dst_sel:DWORD dst_unused:UNUSED_PAD src0_sel:DWORD src1_sel:BYTE_1
	v_mov_b32_e32 v13, v6
	v_mov_b32_e32 v20, v14
	s_mov_b32 s14, exec_lo
	v_and_b32_e32 v21, 0x7f, v5
	v_mov_b32_e32 v19, v13
	v_cmpx_ne_u32_e32 0x7f, v21
	s_cbranch_execz .LBB205_500
; %bb.497:                              ;   in Loop: Header=BB205_418 Depth=1
	v_and_b32_e32 v5, 7, v5
	v_lshrrev_b32_e32 v11, 3, v21
	s_mov_b32 s15, exec_lo
	v_cmpx_gt_u32_e32 8, v21
; %bb.498:                              ;   in Loop: Header=BB205_418 Depth=1
	v_ffbh_u32_e32 v11, v5
	v_min_u32_e32 v11, 32, v11
	v_subrev_nc_u32_e32 v13, 28, v11
	v_sub_nc_u32_e32 v11, 29, v11
	v_lshlrev_b64 v[19:20], v13, v[5:6]
	v_and_b32_e32 v5, 7, v19
; %bb.499:                              ;   in Loop: Header=BB205_418 Depth=1
	s_or_b32 exec_lo, exec_lo, s15
	v_lshlrev_b32_e32 v13, 16, v60
	v_lshlrev_b32_e32 v5, 20, v5
	v_lshl_add_u32 v11, v11, 23, 0x3c000000
	v_mov_b32_e32 v19, v6
	v_and_b32_e32 v13, 0x80000000, v13
	v_or3_b32 v20, v5, v13, v11
.LBB205_500:                            ;   in Loop: Header=BB205_418 Depth=1
	s_or_b32 exec_lo, exec_lo, s14
.LBB205_501:                            ;   in Loop: Header=BB205_418 Depth=1
	s_or_b32 exec_lo, exec_lo, s13
.LBB205_502:                            ;   in Loop: Header=BB205_418 Depth=1
	s_or_b32 exec_lo, exec_lo, s12
	v_mov_b32_e32 v23, 0
	v_mov_b32_e32 v21, 0
	v_and_b32_sdwa v5, v60, v44 dst_sel:DWORD dst_unused:UNUSED_PAD src0_sel:WORD_1 src1_sel:DWORD
	v_mov_b32_e32 v24, 0
	v_mov_b32_e32 v22, 0
	s_mov_b32 s12, exec_lo
	v_cmpx_ne_u16_e32 0, v5
	s_cbranch_execz .LBB205_510
; %bb.503:                              ;   in Loop: Header=BB205_418 Depth=1
	v_bfrev_b32_e32 v21, 1
	v_mov_b32_e32 v22, 0
	s_mov_b32 s13, exec_lo
	v_cmpx_ne_u16_e32 0x80, v5
	s_cbranch_execz .LBB205_509
; %bb.504:                              ;   in Loop: Header=BB205_418 Depth=1
	v_mov_b32_e32 v21, 0x7f800001
	v_bfe_u32 v13, v60, 16, 7
	v_mov_b32_e32 v22, 0
	s_mov_b32 s14, exec_lo
	v_cmpx_ne_u32_e32 0x7f, v13
	s_cbranch_execz .LBB205_508
; %bb.505:                              ;   in Loop: Header=BB205_418 Depth=1
	v_and_b32_sdwa v5, v60, v45 dst_sel:DWORD dst_unused:UNUSED_PAD src0_sel:WORD_1 src1_sel:DWORD
	v_lshrrev_b32_e32 v11, 3, v13
	s_mov_b32 s15, exec_lo
	v_cmpx_gt_u32_e32 8, v13
; %bb.506:                              ;   in Loop: Header=BB205_418 Depth=1
	v_ffbh_u32_e32 v11, v5
	v_min_u32_e32 v11, 32, v11
	v_subrev_nc_u32_e32 v13, 28, v11
	v_sub_nc_u32_e32 v11, 29, v11
	v_lshlrev_b64 v[21:22], v13, v[5:6]
	v_and_b32_e32 v5, 7, v21
; %bb.507:                              ;   in Loop: Header=BB205_418 Depth=1
	s_or_b32 exec_lo, exec_lo, s15
	v_lshlrev_b32_sdwa v13, v46, v60 dst_sel:DWORD dst_unused:UNUSED_PAD src0_sel:DWORD src1_sel:WORD_1
	v_lshlrev_b32_e32 v5, 20, v5
	v_lshl_add_u32 v11, v11, 23, 0x3c000000
	v_and_b32_e32 v13, 0x80000000, v13
	v_or3_b32 v5, v5, v13, v11
	v_mov_b32_e32 v22, v6
	v_mov_b32_e32 v21, v5
.LBB205_508:                            ;   in Loop: Header=BB205_418 Depth=1
	s_or_b32 exec_lo, exec_lo, s14
.LBB205_509:                            ;   in Loop: Header=BB205_418 Depth=1
	s_or_b32 exec_lo, exec_lo, s13
.LBB205_510:                            ;   in Loop: Header=BB205_418 Depth=1
	s_or_b32 exec_lo, exec_lo, s12
	s_mov_b32 s12, exec_lo
	v_cmpx_lt_u32_e32 0xffffff, v60
	s_cbranch_execz .LBB205_518
; %bb.511:                              ;   in Loop: Header=BB205_418 Depth=1
	v_mov_b32_e32 v11, v6
	v_mov_b32_e32 v24, v12
	v_cmp_ne_u32_sdwa s0, v60, v42 src0_sel:BYTE_3 src1_sel:DWORD
	v_mov_b32_e32 v23, v11
	s_and_saveexec_b32 s13, s0
	s_cbranch_execz .LBB205_517
; %bb.512:                              ;   in Loop: Header=BB205_418 Depth=1
	v_mov_b32_e32 v13, v6
	v_mov_b32_e32 v24, v14
	v_bfe_u32 v61, v60, 24, 7
	s_mov_b32 s14, exec_lo
	v_mov_b32_e32 v23, v13
	v_cmpx_ne_u32_e32 0x7f, v61
	s_cbranch_execz .LBB205_516
; %bb.513:                              ;   in Loop: Header=BB205_418 Depth=1
	v_and_b32_sdwa v5, v60, v45 dst_sel:DWORD dst_unused:UNUSED_PAD src0_sel:BYTE_3 src1_sel:DWORD
	v_lshrrev_b32_e32 v11, 3, v61
	s_mov_b32 s15, exec_lo
	v_cmpx_gt_u32_e32 8, v61
; %bb.514:                              ;   in Loop: Header=BB205_418 Depth=1
	v_ffbh_u32_e32 v11, v5
	v_min_u32_e32 v11, 32, v11
	v_subrev_nc_u32_e32 v13, 28, v11
	v_sub_nc_u32_e32 v11, 29, v11
	v_lshlrev_b64 v[23:24], v13, v[5:6]
	v_and_b32_e32 v5, 7, v23
; %bb.515:                              ;   in Loop: Header=BB205_418 Depth=1
	s_or_b32 exec_lo, exec_lo, s15
	v_lshlrev_b32_sdwa v13, v46, v60 dst_sel:DWORD dst_unused:UNUSED_PAD src0_sel:DWORD src1_sel:BYTE_3
	v_lshlrev_b32_e32 v5, 20, v5
	v_lshl_add_u32 v11, v11, 23, 0x3c000000
	v_mov_b32_e32 v23, v6
	v_and_b32_e32 v13, 0x80000000, v13
	v_or3_b32 v24, v5, v13, v11
.LBB205_516:                            ;   in Loop: Header=BB205_418 Depth=1
	s_or_b32 exec_lo, exec_lo, s14
.LBB205_517:                            ;   in Loop: Header=BB205_418 Depth=1
	s_or_b32 exec_lo, exec_lo, s13
.LBB205_518:                            ;   in Loop: Header=BB205_418 Depth=1
	s_or_b32 exec_lo, exec_lo, s12
	v_or_b32_e32 v5, v20, v18
	v_or_b32_e32 v11, v19, v17
	;; [unrolled: 1-line block ×4, first 2 shown]
	v_mul_f32_e32 v62, s9, v5
	v_mul_f32_e32 v63, s3, v11
	;; [unrolled: 1-line block ×4, first 2 shown]
	s_and_saveexec_b32 s12, vcc_lo
	s_cbranch_execz .LBB205_520
; %bb.519:                              ;   in Loop: Header=BB205_418 Depth=1
	v_cmp_gt_i32_e64 s0, s27, v52
	v_cndmask_b32_e64 v63, 0, v63, s0
	v_cmp_gt_i32_e64 s0, s27, v54
	v_cndmask_b32_e64 v62, 0, v62, s0
	;; [unrolled: 2-line block ×4, first 2 shown]
.LBB205_520:                            ;   in Loop: Header=BB205_418 Depth=1
	s_or_b32 exec_lo, exec_lo, s12
	global_load_dword v64, v[15:16], off offset:384
	v_mov_b32_e32 v19, 0
	v_mov_b32_e32 v17, 0
	;; [unrolled: 1-line block ×4, first 2 shown]
	s_waitcnt vmcnt(0)
	v_cmp_ne_u16_sdwa s0, v64, v6 src0_sel:BYTE_0 src1_sel:DWORD
	s_and_saveexec_b32 s12, s0
	s_cbranch_execz .LBB205_528
; %bb.521:                              ;   in Loop: Header=BB205_418 Depth=1
	v_bfrev_b32_e32 v17, 1
	v_mov_b32_e32 v18, 0
	v_cmp_ne_u16_sdwa s0, v64, v42 src0_sel:BYTE_0 src1_sel:DWORD
	s_and_saveexec_b32 s13, s0
	s_cbranch_execz .LBB205_527
; %bb.522:                              ;   in Loop: Header=BB205_418 Depth=1
	v_mov_b32_e32 v17, 0x7f800001
	v_and_b32_e32 v13, 0x7f, v64
	v_mov_b32_e32 v18, 0
	s_mov_b32 s14, exec_lo
	v_cmpx_ne_u32_e32 0x7f, v13
	s_cbranch_execz .LBB205_526
; %bb.523:                              ;   in Loop: Header=BB205_418 Depth=1
	v_and_b32_e32 v5, 7, v64
	v_lshrrev_b32_e32 v11, 3, v13
	s_mov_b32 s15, exec_lo
	v_cmpx_gt_u32_e32 8, v13
; %bb.524:                              ;   in Loop: Header=BB205_418 Depth=1
	v_ffbh_u32_e32 v11, v5
	v_min_u32_e32 v11, 32, v11
	v_subrev_nc_u32_e32 v13, 28, v11
	v_sub_nc_u32_e32 v11, 29, v11
	v_lshlrev_b64 v[17:18], v13, v[5:6]
	v_and_b32_e32 v5, 7, v17
; %bb.525:                              ;   in Loop: Header=BB205_418 Depth=1
	s_or_b32 exec_lo, exec_lo, s15
	v_lshlrev_b32_e32 v13, 24, v64
	v_lshlrev_b32_e32 v5, 20, v5
	v_lshl_add_u32 v11, v11, 23, 0x3c000000
	v_and_b32_e32 v13, 0x80000000, v13
	v_or3_b32 v5, v5, v13, v11
	v_mov_b32_e32 v18, v6
	v_mov_b32_e32 v17, v5
.LBB205_526:                            ;   in Loop: Header=BB205_418 Depth=1
	s_or_b32 exec_lo, exec_lo, s14
.LBB205_527:                            ;   in Loop: Header=BB205_418 Depth=1
	s_or_b32 exec_lo, exec_lo, s13
.LBB205_528:                            ;   in Loop: Header=BB205_418 Depth=1
	s_or_b32 exec_lo, exec_lo, s12
	v_cmp_ne_u16_sdwa s0, v64, v6 src0_sel:BYTE_1 src1_sel:DWORD
	s_and_saveexec_b32 s12, s0
	s_cbranch_execz .LBB205_536
; %bb.529:                              ;   in Loop: Header=BB205_418 Depth=1
	v_mov_b32_e32 v11, v6
	v_mov_b32_e32 v20, v12
	v_cmp_ne_u16_sdwa s0, v64, v42 src0_sel:BYTE_1 src1_sel:DWORD
	v_mov_b32_e32 v19, v11
	s_and_saveexec_b32 s13, s0
	s_cbranch_execz .LBB205_535
; %bb.530:                              ;   in Loop: Header=BB205_418 Depth=1
	v_and_b32_sdwa v5, v43, v64 dst_sel:DWORD dst_unused:UNUSED_PAD src0_sel:DWORD src1_sel:BYTE_1
	v_mov_b32_e32 v13, v6
	v_mov_b32_e32 v20, v14
	s_mov_b32 s14, exec_lo
	v_and_b32_e32 v21, 0x7f, v5
	v_mov_b32_e32 v19, v13
	v_cmpx_ne_u32_e32 0x7f, v21
	s_cbranch_execz .LBB205_534
; %bb.531:                              ;   in Loop: Header=BB205_418 Depth=1
	v_and_b32_e32 v5, 7, v5
	v_lshrrev_b32_e32 v11, 3, v21
	s_mov_b32 s15, exec_lo
	v_cmpx_gt_u32_e32 8, v21
; %bb.532:                              ;   in Loop: Header=BB205_418 Depth=1
	v_ffbh_u32_e32 v11, v5
	v_min_u32_e32 v11, 32, v11
	v_subrev_nc_u32_e32 v13, 28, v11
	v_sub_nc_u32_e32 v11, 29, v11
	v_lshlrev_b64 v[19:20], v13, v[5:6]
	v_and_b32_e32 v5, 7, v19
; %bb.533:                              ;   in Loop: Header=BB205_418 Depth=1
	s_or_b32 exec_lo, exec_lo, s15
	v_lshlrev_b32_e32 v13, 16, v64
	v_lshlrev_b32_e32 v5, 20, v5
	v_lshl_add_u32 v11, v11, 23, 0x3c000000
	v_mov_b32_e32 v19, v6
	v_and_b32_e32 v13, 0x80000000, v13
	v_or3_b32 v20, v5, v13, v11
.LBB205_534:                            ;   in Loop: Header=BB205_418 Depth=1
	s_or_b32 exec_lo, exec_lo, s14
.LBB205_535:                            ;   in Loop: Header=BB205_418 Depth=1
	s_or_b32 exec_lo, exec_lo, s13
.LBB205_536:                            ;   in Loop: Header=BB205_418 Depth=1
	s_or_b32 exec_lo, exec_lo, s12
	v_mov_b32_e32 v23, 0
	v_mov_b32_e32 v21, 0
	v_and_b32_sdwa v5, v64, v44 dst_sel:DWORD dst_unused:UNUSED_PAD src0_sel:WORD_1 src1_sel:DWORD
	v_mov_b32_e32 v24, 0
	v_mov_b32_e32 v22, 0
	s_mov_b32 s12, exec_lo
	v_cmpx_ne_u16_e32 0, v5
	s_cbranch_execz .LBB205_544
; %bb.537:                              ;   in Loop: Header=BB205_418 Depth=1
	v_bfrev_b32_e32 v21, 1
	v_mov_b32_e32 v22, 0
	s_mov_b32 s13, exec_lo
	v_cmpx_ne_u16_e32 0x80, v5
	s_cbranch_execz .LBB205_543
; %bb.538:                              ;   in Loop: Header=BB205_418 Depth=1
	v_mov_b32_e32 v21, 0x7f800001
	v_bfe_u32 v13, v64, 16, 7
	v_mov_b32_e32 v22, 0
	s_mov_b32 s14, exec_lo
	v_cmpx_ne_u32_e32 0x7f, v13
	s_cbranch_execz .LBB205_542
; %bb.539:                              ;   in Loop: Header=BB205_418 Depth=1
	v_and_b32_sdwa v5, v64, v45 dst_sel:DWORD dst_unused:UNUSED_PAD src0_sel:WORD_1 src1_sel:DWORD
	v_lshrrev_b32_e32 v11, 3, v13
	s_mov_b32 s15, exec_lo
	v_cmpx_gt_u32_e32 8, v13
; %bb.540:                              ;   in Loop: Header=BB205_418 Depth=1
	v_ffbh_u32_e32 v11, v5
	v_min_u32_e32 v11, 32, v11
	v_subrev_nc_u32_e32 v13, 28, v11
	v_sub_nc_u32_e32 v11, 29, v11
	v_lshlrev_b64 v[21:22], v13, v[5:6]
	v_and_b32_e32 v5, 7, v21
; %bb.541:                              ;   in Loop: Header=BB205_418 Depth=1
	s_or_b32 exec_lo, exec_lo, s15
	v_lshlrev_b32_sdwa v13, v46, v64 dst_sel:DWORD dst_unused:UNUSED_PAD src0_sel:DWORD src1_sel:WORD_1
	v_lshlrev_b32_e32 v5, 20, v5
	v_lshl_add_u32 v11, v11, 23, 0x3c000000
	v_and_b32_e32 v13, 0x80000000, v13
	v_or3_b32 v5, v5, v13, v11
	v_mov_b32_e32 v22, v6
	v_mov_b32_e32 v21, v5
.LBB205_542:                            ;   in Loop: Header=BB205_418 Depth=1
	s_or_b32 exec_lo, exec_lo, s14
.LBB205_543:                            ;   in Loop: Header=BB205_418 Depth=1
	s_or_b32 exec_lo, exec_lo, s13
.LBB205_544:                            ;   in Loop: Header=BB205_418 Depth=1
	s_or_b32 exec_lo, exec_lo, s12
	s_mov_b32 s12, exec_lo
	v_cmpx_lt_u32_e32 0xffffff, v64
	s_cbranch_execz .LBB205_552
; %bb.545:                              ;   in Loop: Header=BB205_418 Depth=1
	v_mov_b32_e32 v11, v6
	v_mov_b32_e32 v24, v12
	v_cmp_ne_u32_sdwa s0, v64, v42 src0_sel:BYTE_3 src1_sel:DWORD
	v_mov_b32_e32 v23, v11
	s_and_saveexec_b32 s13, s0
	s_cbranch_execz .LBB205_551
; %bb.546:                              ;   in Loop: Header=BB205_418 Depth=1
	v_mov_b32_e32 v13, v6
	v_mov_b32_e32 v24, v14
	v_bfe_u32 v65, v64, 24, 7
	s_mov_b32 s14, exec_lo
	v_mov_b32_e32 v23, v13
	v_cmpx_ne_u32_e32 0x7f, v65
	s_cbranch_execz .LBB205_550
; %bb.547:                              ;   in Loop: Header=BB205_418 Depth=1
	v_and_b32_sdwa v5, v64, v45 dst_sel:DWORD dst_unused:UNUSED_PAD src0_sel:BYTE_3 src1_sel:DWORD
	v_lshrrev_b32_e32 v11, 3, v65
	s_mov_b32 s15, exec_lo
	v_cmpx_gt_u32_e32 8, v65
; %bb.548:                              ;   in Loop: Header=BB205_418 Depth=1
	v_ffbh_u32_e32 v11, v5
	v_min_u32_e32 v11, 32, v11
	v_subrev_nc_u32_e32 v13, 28, v11
	v_sub_nc_u32_e32 v11, 29, v11
	v_lshlrev_b64 v[23:24], v13, v[5:6]
	v_and_b32_e32 v5, 7, v23
; %bb.549:                              ;   in Loop: Header=BB205_418 Depth=1
	s_or_b32 exec_lo, exec_lo, s15
	v_lshlrev_b32_sdwa v13, v46, v64 dst_sel:DWORD dst_unused:UNUSED_PAD src0_sel:DWORD src1_sel:BYTE_3
	v_lshlrev_b32_e32 v5, 20, v5
	v_lshl_add_u32 v11, v11, 23, 0x3c000000
	v_mov_b32_e32 v23, v6
	v_and_b32_e32 v13, 0x80000000, v13
	v_or3_b32 v24, v5, v13, v11
.LBB205_550:                            ;   in Loop: Header=BB205_418 Depth=1
	s_or_b32 exec_lo, exec_lo, s14
.LBB205_551:                            ;   in Loop: Header=BB205_418 Depth=1
	s_or_b32 exec_lo, exec_lo, s13
.LBB205_552:                            ;   in Loop: Header=BB205_418 Depth=1
	s_or_b32 exec_lo, exec_lo, s12
	v_or_b32_e32 v5, v20, v18
	v_or_b32_e32 v11, v19, v17
	;; [unrolled: 1-line block ×4, first 2 shown]
	v_mul_f32_e32 v66, s9, v5
	v_mul_f32_e32 v67, s3, v11
	;; [unrolled: 1-line block ×4, first 2 shown]
	s_and_saveexec_b32 s12, vcc_lo
	s_cbranch_execz .LBB205_554
; %bb.553:                              ;   in Loop: Header=BB205_418 Depth=1
	v_cmp_gt_i32_e64 s0, s27, v52
	v_cndmask_b32_e64 v67, 0, v67, s0
	v_cmp_gt_i32_e64 s0, s27, v54
	v_cndmask_b32_e64 v66, 0, v66, s0
	;; [unrolled: 2-line block ×4, first 2 shown]
.LBB205_554:                            ;   in Loop: Header=BB205_418 Depth=1
	s_or_b32 exec_lo, exec_lo, s12
	global_load_dword v68, v[15:16], off offset:512
	v_mov_b32_e32 v19, 0
	v_mov_b32_e32 v17, 0
	;; [unrolled: 1-line block ×4, first 2 shown]
	s_waitcnt vmcnt(0)
	v_cmp_ne_u16_sdwa s0, v68, v6 src0_sel:BYTE_0 src1_sel:DWORD
	s_and_saveexec_b32 s12, s0
	s_cbranch_execz .LBB205_562
; %bb.555:                              ;   in Loop: Header=BB205_418 Depth=1
	v_bfrev_b32_e32 v17, 1
	v_mov_b32_e32 v18, 0
	v_cmp_ne_u16_sdwa s0, v68, v42 src0_sel:BYTE_0 src1_sel:DWORD
	s_and_saveexec_b32 s13, s0
	s_cbranch_execz .LBB205_561
; %bb.556:                              ;   in Loop: Header=BB205_418 Depth=1
	v_mov_b32_e32 v17, 0x7f800001
	v_and_b32_e32 v13, 0x7f, v68
	v_mov_b32_e32 v18, 0
	s_mov_b32 s14, exec_lo
	v_cmpx_ne_u32_e32 0x7f, v13
	s_cbranch_execz .LBB205_560
; %bb.557:                              ;   in Loop: Header=BB205_418 Depth=1
	v_and_b32_e32 v5, 7, v68
	v_lshrrev_b32_e32 v11, 3, v13
	s_mov_b32 s15, exec_lo
	v_cmpx_gt_u32_e32 8, v13
; %bb.558:                              ;   in Loop: Header=BB205_418 Depth=1
	v_ffbh_u32_e32 v11, v5
	v_min_u32_e32 v11, 32, v11
	v_subrev_nc_u32_e32 v13, 28, v11
	v_sub_nc_u32_e32 v11, 29, v11
	v_lshlrev_b64 v[17:18], v13, v[5:6]
	v_and_b32_e32 v5, 7, v17
; %bb.559:                              ;   in Loop: Header=BB205_418 Depth=1
	s_or_b32 exec_lo, exec_lo, s15
	v_lshlrev_b32_e32 v13, 24, v68
	v_lshlrev_b32_e32 v5, 20, v5
	v_lshl_add_u32 v11, v11, 23, 0x3c000000
	v_and_b32_e32 v13, 0x80000000, v13
	v_or3_b32 v5, v5, v13, v11
	v_mov_b32_e32 v18, v6
	v_mov_b32_e32 v17, v5
.LBB205_560:                            ;   in Loop: Header=BB205_418 Depth=1
	s_or_b32 exec_lo, exec_lo, s14
.LBB205_561:                            ;   in Loop: Header=BB205_418 Depth=1
	s_or_b32 exec_lo, exec_lo, s13
.LBB205_562:                            ;   in Loop: Header=BB205_418 Depth=1
	s_or_b32 exec_lo, exec_lo, s12
	v_cmp_ne_u16_sdwa s0, v68, v6 src0_sel:BYTE_1 src1_sel:DWORD
	s_and_saveexec_b32 s12, s0
	s_cbranch_execz .LBB205_570
; %bb.563:                              ;   in Loop: Header=BB205_418 Depth=1
	v_mov_b32_e32 v11, v6
	v_mov_b32_e32 v20, v12
	v_cmp_ne_u16_sdwa s0, v68, v42 src0_sel:BYTE_1 src1_sel:DWORD
	v_mov_b32_e32 v19, v11
	s_and_saveexec_b32 s13, s0
	s_cbranch_execz .LBB205_569
; %bb.564:                              ;   in Loop: Header=BB205_418 Depth=1
	v_and_b32_sdwa v5, v43, v68 dst_sel:DWORD dst_unused:UNUSED_PAD src0_sel:DWORD src1_sel:BYTE_1
	v_mov_b32_e32 v13, v6
	v_mov_b32_e32 v20, v14
	s_mov_b32 s14, exec_lo
	v_and_b32_e32 v21, 0x7f, v5
	v_mov_b32_e32 v19, v13
	v_cmpx_ne_u32_e32 0x7f, v21
	s_cbranch_execz .LBB205_568
; %bb.565:                              ;   in Loop: Header=BB205_418 Depth=1
	v_and_b32_e32 v5, 7, v5
	v_lshrrev_b32_e32 v11, 3, v21
	s_mov_b32 s15, exec_lo
	v_cmpx_gt_u32_e32 8, v21
; %bb.566:                              ;   in Loop: Header=BB205_418 Depth=1
	v_ffbh_u32_e32 v11, v5
	v_min_u32_e32 v11, 32, v11
	v_subrev_nc_u32_e32 v13, 28, v11
	v_sub_nc_u32_e32 v11, 29, v11
	v_lshlrev_b64 v[19:20], v13, v[5:6]
	v_and_b32_e32 v5, 7, v19
; %bb.567:                              ;   in Loop: Header=BB205_418 Depth=1
	s_or_b32 exec_lo, exec_lo, s15
	v_lshlrev_b32_e32 v13, 16, v68
	v_lshlrev_b32_e32 v5, 20, v5
	v_lshl_add_u32 v11, v11, 23, 0x3c000000
	v_mov_b32_e32 v19, v6
	v_and_b32_e32 v13, 0x80000000, v13
	v_or3_b32 v20, v5, v13, v11
.LBB205_568:                            ;   in Loop: Header=BB205_418 Depth=1
	s_or_b32 exec_lo, exec_lo, s14
.LBB205_569:                            ;   in Loop: Header=BB205_418 Depth=1
	s_or_b32 exec_lo, exec_lo, s13
.LBB205_570:                            ;   in Loop: Header=BB205_418 Depth=1
	s_or_b32 exec_lo, exec_lo, s12
	v_mov_b32_e32 v23, 0
	v_mov_b32_e32 v21, 0
	v_and_b32_sdwa v5, v68, v44 dst_sel:DWORD dst_unused:UNUSED_PAD src0_sel:WORD_1 src1_sel:DWORD
	v_mov_b32_e32 v24, 0
	v_mov_b32_e32 v22, 0
	s_mov_b32 s12, exec_lo
	v_cmpx_ne_u16_e32 0, v5
	s_cbranch_execz .LBB205_578
; %bb.571:                              ;   in Loop: Header=BB205_418 Depth=1
	v_bfrev_b32_e32 v21, 1
	v_mov_b32_e32 v22, 0
	s_mov_b32 s13, exec_lo
	v_cmpx_ne_u16_e32 0x80, v5
	s_cbranch_execz .LBB205_577
; %bb.572:                              ;   in Loop: Header=BB205_418 Depth=1
	v_mov_b32_e32 v21, 0x7f800001
	v_bfe_u32 v13, v68, 16, 7
	v_mov_b32_e32 v22, 0
	s_mov_b32 s14, exec_lo
	v_cmpx_ne_u32_e32 0x7f, v13
	s_cbranch_execz .LBB205_576
; %bb.573:                              ;   in Loop: Header=BB205_418 Depth=1
	v_and_b32_sdwa v5, v68, v45 dst_sel:DWORD dst_unused:UNUSED_PAD src0_sel:WORD_1 src1_sel:DWORD
	v_lshrrev_b32_e32 v11, 3, v13
	s_mov_b32 s15, exec_lo
	v_cmpx_gt_u32_e32 8, v13
; %bb.574:                              ;   in Loop: Header=BB205_418 Depth=1
	v_ffbh_u32_e32 v11, v5
	v_min_u32_e32 v11, 32, v11
	v_subrev_nc_u32_e32 v13, 28, v11
	v_sub_nc_u32_e32 v11, 29, v11
	v_lshlrev_b64 v[21:22], v13, v[5:6]
	v_and_b32_e32 v5, 7, v21
; %bb.575:                              ;   in Loop: Header=BB205_418 Depth=1
	s_or_b32 exec_lo, exec_lo, s15
	v_lshlrev_b32_sdwa v13, v46, v68 dst_sel:DWORD dst_unused:UNUSED_PAD src0_sel:DWORD src1_sel:WORD_1
	v_lshlrev_b32_e32 v5, 20, v5
	v_lshl_add_u32 v11, v11, 23, 0x3c000000
	v_and_b32_e32 v13, 0x80000000, v13
	v_or3_b32 v5, v5, v13, v11
	v_mov_b32_e32 v22, v6
	v_mov_b32_e32 v21, v5
.LBB205_576:                            ;   in Loop: Header=BB205_418 Depth=1
	s_or_b32 exec_lo, exec_lo, s14
.LBB205_577:                            ;   in Loop: Header=BB205_418 Depth=1
	s_or_b32 exec_lo, exec_lo, s13
.LBB205_578:                            ;   in Loop: Header=BB205_418 Depth=1
	s_or_b32 exec_lo, exec_lo, s12
	s_mov_b32 s12, exec_lo
	v_cmpx_lt_u32_e32 0xffffff, v68
	s_cbranch_execz .LBB205_586
; %bb.579:                              ;   in Loop: Header=BB205_418 Depth=1
	v_mov_b32_e32 v11, v6
	v_mov_b32_e32 v24, v12
	v_cmp_ne_u32_sdwa s0, v68, v42 src0_sel:BYTE_3 src1_sel:DWORD
	v_mov_b32_e32 v23, v11
	s_and_saveexec_b32 s13, s0
	s_cbranch_execz .LBB205_585
; %bb.580:                              ;   in Loop: Header=BB205_418 Depth=1
	v_mov_b32_e32 v13, v6
	v_mov_b32_e32 v24, v14
	v_bfe_u32 v69, v68, 24, 7
	s_mov_b32 s14, exec_lo
	v_mov_b32_e32 v23, v13
	v_cmpx_ne_u32_e32 0x7f, v69
	s_cbranch_execz .LBB205_584
; %bb.581:                              ;   in Loop: Header=BB205_418 Depth=1
	v_and_b32_sdwa v5, v68, v45 dst_sel:DWORD dst_unused:UNUSED_PAD src0_sel:BYTE_3 src1_sel:DWORD
	v_lshrrev_b32_e32 v11, 3, v69
	s_mov_b32 s15, exec_lo
	v_cmpx_gt_u32_e32 8, v69
; %bb.582:                              ;   in Loop: Header=BB205_418 Depth=1
	v_ffbh_u32_e32 v11, v5
	v_min_u32_e32 v11, 32, v11
	v_subrev_nc_u32_e32 v13, 28, v11
	v_sub_nc_u32_e32 v11, 29, v11
	v_lshlrev_b64 v[23:24], v13, v[5:6]
	v_and_b32_e32 v5, 7, v23
; %bb.583:                              ;   in Loop: Header=BB205_418 Depth=1
	s_or_b32 exec_lo, exec_lo, s15
	v_lshlrev_b32_sdwa v13, v46, v68 dst_sel:DWORD dst_unused:UNUSED_PAD src0_sel:DWORD src1_sel:BYTE_3
	v_lshlrev_b32_e32 v5, 20, v5
	v_lshl_add_u32 v11, v11, 23, 0x3c000000
	v_mov_b32_e32 v23, v6
	v_and_b32_e32 v13, 0x80000000, v13
	v_or3_b32 v24, v5, v13, v11
.LBB205_584:                            ;   in Loop: Header=BB205_418 Depth=1
	s_or_b32 exec_lo, exec_lo, s14
.LBB205_585:                            ;   in Loop: Header=BB205_418 Depth=1
	s_or_b32 exec_lo, exec_lo, s13
.LBB205_586:                            ;   in Loop: Header=BB205_418 Depth=1
	s_or_b32 exec_lo, exec_lo, s12
	v_or_b32_e32 v5, v20, v18
	v_or_b32_e32 v11, v19, v17
	;; [unrolled: 1-line block ×4, first 2 shown]
	v_mul_f32_e32 v70, s9, v5
	v_mul_f32_e32 v71, s3, v11
	;; [unrolled: 1-line block ×4, first 2 shown]
	s_and_saveexec_b32 s12, vcc_lo
	s_cbranch_execz .LBB205_588
; %bb.587:                              ;   in Loop: Header=BB205_418 Depth=1
	v_cmp_gt_i32_e64 s0, s27, v52
	v_cndmask_b32_e64 v71, 0, v71, s0
	v_cmp_gt_i32_e64 s0, s27, v54
	v_cndmask_b32_e64 v70, 0, v70, s0
	;; [unrolled: 2-line block ×4, first 2 shown]
.LBB205_588:                            ;   in Loop: Header=BB205_418 Depth=1
	s_or_b32 exec_lo, exec_lo, s12
	global_load_dword v72, v[15:16], off offset:640
	v_mov_b32_e32 v19, 0
	v_mov_b32_e32 v17, 0
	;; [unrolled: 1-line block ×4, first 2 shown]
	s_waitcnt vmcnt(0)
	v_cmp_ne_u16_sdwa s0, v72, v6 src0_sel:BYTE_0 src1_sel:DWORD
	s_and_saveexec_b32 s12, s0
	s_cbranch_execz .LBB205_596
; %bb.589:                              ;   in Loop: Header=BB205_418 Depth=1
	v_bfrev_b32_e32 v17, 1
	v_mov_b32_e32 v18, 0
	v_cmp_ne_u16_sdwa s0, v72, v42 src0_sel:BYTE_0 src1_sel:DWORD
	s_and_saveexec_b32 s13, s0
	s_cbranch_execz .LBB205_595
; %bb.590:                              ;   in Loop: Header=BB205_418 Depth=1
	v_mov_b32_e32 v17, 0x7f800001
	v_and_b32_e32 v13, 0x7f, v72
	v_mov_b32_e32 v18, 0
	s_mov_b32 s14, exec_lo
	v_cmpx_ne_u32_e32 0x7f, v13
	s_cbranch_execz .LBB205_594
; %bb.591:                              ;   in Loop: Header=BB205_418 Depth=1
	v_and_b32_e32 v5, 7, v72
	v_lshrrev_b32_e32 v11, 3, v13
	s_mov_b32 s15, exec_lo
	v_cmpx_gt_u32_e32 8, v13
; %bb.592:                              ;   in Loop: Header=BB205_418 Depth=1
	v_ffbh_u32_e32 v11, v5
	v_min_u32_e32 v11, 32, v11
	v_subrev_nc_u32_e32 v13, 28, v11
	v_sub_nc_u32_e32 v11, 29, v11
	v_lshlrev_b64 v[17:18], v13, v[5:6]
	v_and_b32_e32 v5, 7, v17
; %bb.593:                              ;   in Loop: Header=BB205_418 Depth=1
	s_or_b32 exec_lo, exec_lo, s15
	v_lshlrev_b32_e32 v13, 24, v72
	v_lshlrev_b32_e32 v5, 20, v5
	v_lshl_add_u32 v11, v11, 23, 0x3c000000
	v_and_b32_e32 v13, 0x80000000, v13
	v_or3_b32 v5, v5, v13, v11
	v_mov_b32_e32 v18, v6
	v_mov_b32_e32 v17, v5
.LBB205_594:                            ;   in Loop: Header=BB205_418 Depth=1
	s_or_b32 exec_lo, exec_lo, s14
.LBB205_595:                            ;   in Loop: Header=BB205_418 Depth=1
	s_or_b32 exec_lo, exec_lo, s13
.LBB205_596:                            ;   in Loop: Header=BB205_418 Depth=1
	s_or_b32 exec_lo, exec_lo, s12
	v_cmp_ne_u16_sdwa s0, v72, v6 src0_sel:BYTE_1 src1_sel:DWORD
	s_and_saveexec_b32 s12, s0
	s_cbranch_execz .LBB205_604
; %bb.597:                              ;   in Loop: Header=BB205_418 Depth=1
	v_mov_b32_e32 v11, v6
	v_mov_b32_e32 v20, v12
	v_cmp_ne_u16_sdwa s0, v72, v42 src0_sel:BYTE_1 src1_sel:DWORD
	v_mov_b32_e32 v19, v11
	s_and_saveexec_b32 s13, s0
	s_cbranch_execz .LBB205_603
; %bb.598:                              ;   in Loop: Header=BB205_418 Depth=1
	v_and_b32_sdwa v5, v43, v72 dst_sel:DWORD dst_unused:UNUSED_PAD src0_sel:DWORD src1_sel:BYTE_1
	v_mov_b32_e32 v13, v6
	v_mov_b32_e32 v20, v14
	s_mov_b32 s14, exec_lo
	v_and_b32_e32 v21, 0x7f, v5
	v_mov_b32_e32 v19, v13
	v_cmpx_ne_u32_e32 0x7f, v21
	s_cbranch_execz .LBB205_602
; %bb.599:                              ;   in Loop: Header=BB205_418 Depth=1
	v_and_b32_e32 v5, 7, v5
	v_lshrrev_b32_e32 v11, 3, v21
	s_mov_b32 s15, exec_lo
	v_cmpx_gt_u32_e32 8, v21
; %bb.600:                              ;   in Loop: Header=BB205_418 Depth=1
	v_ffbh_u32_e32 v11, v5
	v_min_u32_e32 v11, 32, v11
	v_subrev_nc_u32_e32 v13, 28, v11
	v_sub_nc_u32_e32 v11, 29, v11
	v_lshlrev_b64 v[19:20], v13, v[5:6]
	v_and_b32_e32 v5, 7, v19
; %bb.601:                              ;   in Loop: Header=BB205_418 Depth=1
	s_or_b32 exec_lo, exec_lo, s15
	v_lshlrev_b32_e32 v13, 16, v72
	v_lshlrev_b32_e32 v5, 20, v5
	v_lshl_add_u32 v11, v11, 23, 0x3c000000
	v_mov_b32_e32 v19, v6
	v_and_b32_e32 v13, 0x80000000, v13
	v_or3_b32 v20, v5, v13, v11
.LBB205_602:                            ;   in Loop: Header=BB205_418 Depth=1
	s_or_b32 exec_lo, exec_lo, s14
.LBB205_603:                            ;   in Loop: Header=BB205_418 Depth=1
	s_or_b32 exec_lo, exec_lo, s13
.LBB205_604:                            ;   in Loop: Header=BB205_418 Depth=1
	s_or_b32 exec_lo, exec_lo, s12
	v_mov_b32_e32 v23, 0
	v_mov_b32_e32 v21, 0
	v_and_b32_sdwa v5, v72, v44 dst_sel:DWORD dst_unused:UNUSED_PAD src0_sel:WORD_1 src1_sel:DWORD
	v_mov_b32_e32 v24, 0
	v_mov_b32_e32 v22, 0
	s_mov_b32 s12, exec_lo
	v_cmpx_ne_u16_e32 0, v5
	s_cbranch_execz .LBB205_612
; %bb.605:                              ;   in Loop: Header=BB205_418 Depth=1
	v_bfrev_b32_e32 v21, 1
	v_mov_b32_e32 v22, 0
	s_mov_b32 s13, exec_lo
	v_cmpx_ne_u16_e32 0x80, v5
	s_cbranch_execz .LBB205_611
; %bb.606:                              ;   in Loop: Header=BB205_418 Depth=1
	v_mov_b32_e32 v21, 0x7f800001
	v_bfe_u32 v13, v72, 16, 7
	v_mov_b32_e32 v22, 0
	s_mov_b32 s14, exec_lo
	v_cmpx_ne_u32_e32 0x7f, v13
	s_cbranch_execz .LBB205_610
; %bb.607:                              ;   in Loop: Header=BB205_418 Depth=1
	v_and_b32_sdwa v5, v72, v45 dst_sel:DWORD dst_unused:UNUSED_PAD src0_sel:WORD_1 src1_sel:DWORD
	v_lshrrev_b32_e32 v11, 3, v13
	s_mov_b32 s15, exec_lo
	v_cmpx_gt_u32_e32 8, v13
; %bb.608:                              ;   in Loop: Header=BB205_418 Depth=1
	v_ffbh_u32_e32 v11, v5
	v_min_u32_e32 v11, 32, v11
	v_subrev_nc_u32_e32 v13, 28, v11
	v_sub_nc_u32_e32 v11, 29, v11
	v_lshlrev_b64 v[21:22], v13, v[5:6]
	v_and_b32_e32 v5, 7, v21
; %bb.609:                              ;   in Loop: Header=BB205_418 Depth=1
	s_or_b32 exec_lo, exec_lo, s15
	v_lshlrev_b32_sdwa v13, v46, v72 dst_sel:DWORD dst_unused:UNUSED_PAD src0_sel:DWORD src1_sel:WORD_1
	v_lshlrev_b32_e32 v5, 20, v5
	v_lshl_add_u32 v11, v11, 23, 0x3c000000
	v_and_b32_e32 v13, 0x80000000, v13
	v_or3_b32 v5, v5, v13, v11
	v_mov_b32_e32 v22, v6
	v_mov_b32_e32 v21, v5
.LBB205_610:                            ;   in Loop: Header=BB205_418 Depth=1
	s_or_b32 exec_lo, exec_lo, s14
.LBB205_611:                            ;   in Loop: Header=BB205_418 Depth=1
	s_or_b32 exec_lo, exec_lo, s13
.LBB205_612:                            ;   in Loop: Header=BB205_418 Depth=1
	s_or_b32 exec_lo, exec_lo, s12
	s_mov_b32 s12, exec_lo
	v_cmpx_lt_u32_e32 0xffffff, v72
	s_cbranch_execz .LBB205_620
; %bb.613:                              ;   in Loop: Header=BB205_418 Depth=1
	v_mov_b32_e32 v11, v6
	v_mov_b32_e32 v24, v12
	v_cmp_ne_u32_sdwa s0, v72, v42 src0_sel:BYTE_3 src1_sel:DWORD
	v_mov_b32_e32 v23, v11
	s_and_saveexec_b32 s13, s0
	s_cbranch_execz .LBB205_619
; %bb.614:                              ;   in Loop: Header=BB205_418 Depth=1
	v_mov_b32_e32 v13, v6
	v_mov_b32_e32 v24, v14
	v_bfe_u32 v73, v72, 24, 7
	s_mov_b32 s14, exec_lo
	v_mov_b32_e32 v23, v13
	v_cmpx_ne_u32_e32 0x7f, v73
	s_cbranch_execz .LBB205_618
; %bb.615:                              ;   in Loop: Header=BB205_418 Depth=1
	v_and_b32_sdwa v5, v72, v45 dst_sel:DWORD dst_unused:UNUSED_PAD src0_sel:BYTE_3 src1_sel:DWORD
	v_lshrrev_b32_e32 v11, 3, v73
	s_mov_b32 s15, exec_lo
	v_cmpx_gt_u32_e32 8, v73
; %bb.616:                              ;   in Loop: Header=BB205_418 Depth=1
	v_ffbh_u32_e32 v11, v5
	v_min_u32_e32 v11, 32, v11
	v_subrev_nc_u32_e32 v13, 28, v11
	v_sub_nc_u32_e32 v11, 29, v11
	v_lshlrev_b64 v[23:24], v13, v[5:6]
	v_and_b32_e32 v5, 7, v23
; %bb.617:                              ;   in Loop: Header=BB205_418 Depth=1
	s_or_b32 exec_lo, exec_lo, s15
	v_lshlrev_b32_sdwa v13, v46, v72 dst_sel:DWORD dst_unused:UNUSED_PAD src0_sel:DWORD src1_sel:BYTE_3
	v_lshlrev_b32_e32 v5, 20, v5
	v_lshl_add_u32 v11, v11, 23, 0x3c000000
	v_mov_b32_e32 v23, v6
	v_and_b32_e32 v13, 0x80000000, v13
	v_or3_b32 v24, v5, v13, v11
.LBB205_618:                            ;   in Loop: Header=BB205_418 Depth=1
	s_or_b32 exec_lo, exec_lo, s14
.LBB205_619:                            ;   in Loop: Header=BB205_418 Depth=1
	s_or_b32 exec_lo, exec_lo, s13
.LBB205_620:                            ;   in Loop: Header=BB205_418 Depth=1
	s_or_b32 exec_lo, exec_lo, s12
	v_or_b32_e32 v5, v20, v18
	v_or_b32_e32 v11, v19, v17
	;; [unrolled: 1-line block ×4, first 2 shown]
	v_mul_f32_e32 v74, s9, v5
	v_mul_f32_e32 v75, s3, v11
	v_mul_f32_e32 v73, s3, v13
	v_mul_f32_e32 v72, s9, v17
	s_and_saveexec_b32 s12, vcc_lo
	s_cbranch_execz .LBB205_622
; %bb.621:                              ;   in Loop: Header=BB205_418 Depth=1
	v_cmp_gt_i32_e64 s0, s27, v52
	v_cndmask_b32_e64 v75, 0, v75, s0
	v_cmp_gt_i32_e64 s0, s27, v54
	v_cndmask_b32_e64 v74, 0, v74, s0
	;; [unrolled: 2-line block ×4, first 2 shown]
.LBB205_622:                            ;   in Loop: Header=BB205_418 Depth=1
	s_or_b32 exec_lo, exec_lo, s12
	global_load_dword v76, v[15:16], off offset:768
	v_mov_b32_e32 v19, 0
	v_mov_b32_e32 v17, 0
	;; [unrolled: 1-line block ×4, first 2 shown]
	s_waitcnt vmcnt(0)
	v_cmp_ne_u16_sdwa s0, v76, v6 src0_sel:BYTE_0 src1_sel:DWORD
	s_and_saveexec_b32 s12, s0
	s_cbranch_execz .LBB205_630
; %bb.623:                              ;   in Loop: Header=BB205_418 Depth=1
	v_bfrev_b32_e32 v17, 1
	v_mov_b32_e32 v18, 0
	v_cmp_ne_u16_sdwa s0, v76, v42 src0_sel:BYTE_0 src1_sel:DWORD
	s_and_saveexec_b32 s13, s0
	s_cbranch_execz .LBB205_629
; %bb.624:                              ;   in Loop: Header=BB205_418 Depth=1
	v_mov_b32_e32 v17, 0x7f800001
	v_and_b32_e32 v13, 0x7f, v76
	v_mov_b32_e32 v18, 0
	s_mov_b32 s14, exec_lo
	v_cmpx_ne_u32_e32 0x7f, v13
	s_cbranch_execz .LBB205_628
; %bb.625:                              ;   in Loop: Header=BB205_418 Depth=1
	v_and_b32_e32 v5, 7, v76
	v_lshrrev_b32_e32 v11, 3, v13
	s_mov_b32 s15, exec_lo
	v_cmpx_gt_u32_e32 8, v13
; %bb.626:                              ;   in Loop: Header=BB205_418 Depth=1
	v_ffbh_u32_e32 v11, v5
	v_min_u32_e32 v11, 32, v11
	v_subrev_nc_u32_e32 v13, 28, v11
	v_sub_nc_u32_e32 v11, 29, v11
	v_lshlrev_b64 v[17:18], v13, v[5:6]
	v_and_b32_e32 v5, 7, v17
; %bb.627:                              ;   in Loop: Header=BB205_418 Depth=1
	s_or_b32 exec_lo, exec_lo, s15
	v_lshlrev_b32_e32 v13, 24, v76
	v_lshlrev_b32_e32 v5, 20, v5
	v_lshl_add_u32 v11, v11, 23, 0x3c000000
	v_and_b32_e32 v13, 0x80000000, v13
	v_or3_b32 v5, v5, v13, v11
	v_mov_b32_e32 v18, v6
	v_mov_b32_e32 v17, v5
.LBB205_628:                            ;   in Loop: Header=BB205_418 Depth=1
	s_or_b32 exec_lo, exec_lo, s14
.LBB205_629:                            ;   in Loop: Header=BB205_418 Depth=1
	s_or_b32 exec_lo, exec_lo, s13
.LBB205_630:                            ;   in Loop: Header=BB205_418 Depth=1
	s_or_b32 exec_lo, exec_lo, s12
	v_cmp_ne_u16_sdwa s0, v76, v6 src0_sel:BYTE_1 src1_sel:DWORD
	s_and_saveexec_b32 s12, s0
	s_cbranch_execz .LBB205_638
; %bb.631:                              ;   in Loop: Header=BB205_418 Depth=1
	v_mov_b32_e32 v11, v6
	v_mov_b32_e32 v20, v12
	v_cmp_ne_u16_sdwa s0, v76, v42 src0_sel:BYTE_1 src1_sel:DWORD
	v_mov_b32_e32 v19, v11
	s_and_saveexec_b32 s13, s0
	s_cbranch_execz .LBB205_637
; %bb.632:                              ;   in Loop: Header=BB205_418 Depth=1
	v_and_b32_sdwa v5, v43, v76 dst_sel:DWORD dst_unused:UNUSED_PAD src0_sel:DWORD src1_sel:BYTE_1
	v_mov_b32_e32 v13, v6
	v_mov_b32_e32 v20, v14
	s_mov_b32 s14, exec_lo
	v_and_b32_e32 v21, 0x7f, v5
	v_mov_b32_e32 v19, v13
	v_cmpx_ne_u32_e32 0x7f, v21
	s_cbranch_execz .LBB205_636
; %bb.633:                              ;   in Loop: Header=BB205_418 Depth=1
	v_and_b32_e32 v5, 7, v5
	v_lshrrev_b32_e32 v11, 3, v21
	s_mov_b32 s15, exec_lo
	v_cmpx_gt_u32_e32 8, v21
; %bb.634:                              ;   in Loop: Header=BB205_418 Depth=1
	v_ffbh_u32_e32 v11, v5
	v_min_u32_e32 v11, 32, v11
	v_subrev_nc_u32_e32 v13, 28, v11
	v_sub_nc_u32_e32 v11, 29, v11
	v_lshlrev_b64 v[19:20], v13, v[5:6]
	v_and_b32_e32 v5, 7, v19
; %bb.635:                              ;   in Loop: Header=BB205_418 Depth=1
	s_or_b32 exec_lo, exec_lo, s15
	v_lshlrev_b32_e32 v13, 16, v76
	v_lshlrev_b32_e32 v5, 20, v5
	v_lshl_add_u32 v11, v11, 23, 0x3c000000
	v_mov_b32_e32 v19, v6
	v_and_b32_e32 v13, 0x80000000, v13
	v_or3_b32 v20, v5, v13, v11
.LBB205_636:                            ;   in Loop: Header=BB205_418 Depth=1
	s_or_b32 exec_lo, exec_lo, s14
.LBB205_637:                            ;   in Loop: Header=BB205_418 Depth=1
	s_or_b32 exec_lo, exec_lo, s13
.LBB205_638:                            ;   in Loop: Header=BB205_418 Depth=1
	s_or_b32 exec_lo, exec_lo, s12
	v_mov_b32_e32 v23, 0
	v_mov_b32_e32 v21, 0
	v_and_b32_sdwa v5, v76, v44 dst_sel:DWORD dst_unused:UNUSED_PAD src0_sel:WORD_1 src1_sel:DWORD
	v_mov_b32_e32 v24, 0
	v_mov_b32_e32 v22, 0
	s_mov_b32 s12, exec_lo
	v_cmpx_ne_u16_e32 0, v5
	s_cbranch_execz .LBB205_646
; %bb.639:                              ;   in Loop: Header=BB205_418 Depth=1
	v_bfrev_b32_e32 v21, 1
	v_mov_b32_e32 v22, 0
	s_mov_b32 s13, exec_lo
	v_cmpx_ne_u16_e32 0x80, v5
	s_cbranch_execz .LBB205_645
; %bb.640:                              ;   in Loop: Header=BB205_418 Depth=1
	v_mov_b32_e32 v21, 0x7f800001
	v_bfe_u32 v13, v76, 16, 7
	v_mov_b32_e32 v22, 0
	s_mov_b32 s14, exec_lo
	v_cmpx_ne_u32_e32 0x7f, v13
	s_cbranch_execz .LBB205_644
; %bb.641:                              ;   in Loop: Header=BB205_418 Depth=1
	v_and_b32_sdwa v5, v76, v45 dst_sel:DWORD dst_unused:UNUSED_PAD src0_sel:WORD_1 src1_sel:DWORD
	v_lshrrev_b32_e32 v11, 3, v13
	s_mov_b32 s15, exec_lo
	v_cmpx_gt_u32_e32 8, v13
; %bb.642:                              ;   in Loop: Header=BB205_418 Depth=1
	v_ffbh_u32_e32 v11, v5
	v_min_u32_e32 v11, 32, v11
	v_subrev_nc_u32_e32 v13, 28, v11
	v_sub_nc_u32_e32 v11, 29, v11
	v_lshlrev_b64 v[21:22], v13, v[5:6]
	v_and_b32_e32 v5, 7, v21
; %bb.643:                              ;   in Loop: Header=BB205_418 Depth=1
	s_or_b32 exec_lo, exec_lo, s15
	v_lshlrev_b32_sdwa v13, v46, v76 dst_sel:DWORD dst_unused:UNUSED_PAD src0_sel:DWORD src1_sel:WORD_1
	v_lshlrev_b32_e32 v5, 20, v5
	v_lshl_add_u32 v11, v11, 23, 0x3c000000
	v_and_b32_e32 v13, 0x80000000, v13
	v_or3_b32 v5, v5, v13, v11
	v_mov_b32_e32 v22, v6
	v_mov_b32_e32 v21, v5
.LBB205_644:                            ;   in Loop: Header=BB205_418 Depth=1
	s_or_b32 exec_lo, exec_lo, s14
.LBB205_645:                            ;   in Loop: Header=BB205_418 Depth=1
	s_or_b32 exec_lo, exec_lo, s13
.LBB205_646:                            ;   in Loop: Header=BB205_418 Depth=1
	s_or_b32 exec_lo, exec_lo, s12
	s_mov_b32 s12, exec_lo
	v_cmpx_lt_u32_e32 0xffffff, v76
	s_cbranch_execz .LBB205_654
; %bb.647:                              ;   in Loop: Header=BB205_418 Depth=1
	v_mov_b32_e32 v11, v6
	v_mov_b32_e32 v24, v12
	v_cmp_ne_u32_sdwa s0, v76, v42 src0_sel:BYTE_3 src1_sel:DWORD
	v_mov_b32_e32 v23, v11
	s_and_saveexec_b32 s13, s0
	s_cbranch_execz .LBB205_653
; %bb.648:                              ;   in Loop: Header=BB205_418 Depth=1
	v_mov_b32_e32 v13, v6
	v_mov_b32_e32 v24, v14
	v_bfe_u32 v77, v76, 24, 7
	s_mov_b32 s14, exec_lo
	v_mov_b32_e32 v23, v13
	v_cmpx_ne_u32_e32 0x7f, v77
	s_cbranch_execz .LBB205_652
; %bb.649:                              ;   in Loop: Header=BB205_418 Depth=1
	v_and_b32_sdwa v5, v76, v45 dst_sel:DWORD dst_unused:UNUSED_PAD src0_sel:BYTE_3 src1_sel:DWORD
	v_lshrrev_b32_e32 v11, 3, v77
	s_mov_b32 s15, exec_lo
	v_cmpx_gt_u32_e32 8, v77
; %bb.650:                              ;   in Loop: Header=BB205_418 Depth=1
	v_ffbh_u32_e32 v11, v5
	v_min_u32_e32 v11, 32, v11
	v_subrev_nc_u32_e32 v13, 28, v11
	v_sub_nc_u32_e32 v11, 29, v11
	v_lshlrev_b64 v[23:24], v13, v[5:6]
	v_and_b32_e32 v5, 7, v23
; %bb.651:                              ;   in Loop: Header=BB205_418 Depth=1
	s_or_b32 exec_lo, exec_lo, s15
	v_lshlrev_b32_sdwa v13, v46, v76 dst_sel:DWORD dst_unused:UNUSED_PAD src0_sel:DWORD src1_sel:BYTE_3
	v_lshlrev_b32_e32 v5, 20, v5
	v_lshl_add_u32 v11, v11, 23, 0x3c000000
	v_mov_b32_e32 v23, v6
	v_and_b32_e32 v13, 0x80000000, v13
	v_or3_b32 v24, v5, v13, v11
.LBB205_652:                            ;   in Loop: Header=BB205_418 Depth=1
	s_or_b32 exec_lo, exec_lo, s14
.LBB205_653:                            ;   in Loop: Header=BB205_418 Depth=1
	s_or_b32 exec_lo, exec_lo, s13
.LBB205_654:                            ;   in Loop: Header=BB205_418 Depth=1
	s_or_b32 exec_lo, exec_lo, s12
	v_or_b32_e32 v5, v20, v18
	v_or_b32_e32 v11, v19, v17
	;; [unrolled: 1-line block ×4, first 2 shown]
	v_mul_f32_e32 v78, s9, v5
	v_mul_f32_e32 v79, s3, v11
	;; [unrolled: 1-line block ×4, first 2 shown]
	s_and_saveexec_b32 s12, vcc_lo
	s_cbranch_execz .LBB205_656
; %bb.655:                              ;   in Loop: Header=BB205_418 Depth=1
	v_cmp_gt_i32_e64 s0, s27, v52
	v_cndmask_b32_e64 v79, 0, v79, s0
	v_cmp_gt_i32_e64 s0, s27, v54
	v_cndmask_b32_e64 v78, 0, v78, s0
	;; [unrolled: 2-line block ×4, first 2 shown]
.LBB205_656:                            ;   in Loop: Header=BB205_418 Depth=1
	s_or_b32 exec_lo, exec_lo, s12
	global_load_dword v80, v[15:16], off offset:896
	v_mov_b32_e32 v19, 0
	v_mov_b32_e32 v17, 0
	;; [unrolled: 1-line block ×4, first 2 shown]
	s_waitcnt vmcnt(0)
	v_cmp_ne_u16_sdwa s0, v80, v6 src0_sel:BYTE_0 src1_sel:DWORD
	s_and_saveexec_b32 s12, s0
	s_cbranch_execz .LBB205_664
; %bb.657:                              ;   in Loop: Header=BB205_418 Depth=1
	v_bfrev_b32_e32 v17, 1
	v_mov_b32_e32 v18, 0
	v_cmp_ne_u16_sdwa s0, v80, v42 src0_sel:BYTE_0 src1_sel:DWORD
	s_and_saveexec_b32 s13, s0
	s_cbranch_execz .LBB205_663
; %bb.658:                              ;   in Loop: Header=BB205_418 Depth=1
	v_mov_b32_e32 v17, 0x7f800001
	v_and_b32_e32 v13, 0x7f, v80
	v_mov_b32_e32 v18, 0
	s_mov_b32 s14, exec_lo
	v_cmpx_ne_u32_e32 0x7f, v13
	s_cbranch_execz .LBB205_662
; %bb.659:                              ;   in Loop: Header=BB205_418 Depth=1
	v_and_b32_e32 v5, 7, v80
	v_lshrrev_b32_e32 v11, 3, v13
	s_mov_b32 s15, exec_lo
	v_cmpx_gt_u32_e32 8, v13
; %bb.660:                              ;   in Loop: Header=BB205_418 Depth=1
	v_ffbh_u32_e32 v11, v5
	v_min_u32_e32 v11, 32, v11
	v_subrev_nc_u32_e32 v13, 28, v11
	v_sub_nc_u32_e32 v11, 29, v11
	v_lshlrev_b64 v[17:18], v13, v[5:6]
	v_and_b32_e32 v5, 7, v17
; %bb.661:                              ;   in Loop: Header=BB205_418 Depth=1
	s_or_b32 exec_lo, exec_lo, s15
	v_lshlrev_b32_e32 v13, 24, v80
	v_lshlrev_b32_e32 v5, 20, v5
	v_lshl_add_u32 v11, v11, 23, 0x3c000000
	v_and_b32_e32 v13, 0x80000000, v13
	v_or3_b32 v5, v5, v13, v11
	v_mov_b32_e32 v18, v6
	v_mov_b32_e32 v17, v5
.LBB205_662:                            ;   in Loop: Header=BB205_418 Depth=1
	s_or_b32 exec_lo, exec_lo, s14
.LBB205_663:                            ;   in Loop: Header=BB205_418 Depth=1
	s_or_b32 exec_lo, exec_lo, s13
.LBB205_664:                            ;   in Loop: Header=BB205_418 Depth=1
	s_or_b32 exec_lo, exec_lo, s12
	v_cmp_ne_u16_sdwa s0, v80, v6 src0_sel:BYTE_1 src1_sel:DWORD
	s_and_saveexec_b32 s12, s0
	s_cbranch_execz .LBB205_672
; %bb.665:                              ;   in Loop: Header=BB205_418 Depth=1
	v_mov_b32_e32 v11, v6
	v_mov_b32_e32 v20, v12
	v_cmp_ne_u16_sdwa s0, v80, v42 src0_sel:BYTE_1 src1_sel:DWORD
	v_mov_b32_e32 v19, v11
	s_and_saveexec_b32 s13, s0
	s_cbranch_execz .LBB205_671
; %bb.666:                              ;   in Loop: Header=BB205_418 Depth=1
	v_and_b32_sdwa v5, v43, v80 dst_sel:DWORD dst_unused:UNUSED_PAD src0_sel:DWORD src1_sel:BYTE_1
	v_mov_b32_e32 v13, v6
	v_mov_b32_e32 v20, v14
	s_mov_b32 s14, exec_lo
	v_and_b32_e32 v21, 0x7f, v5
	v_mov_b32_e32 v19, v13
	v_cmpx_ne_u32_e32 0x7f, v21
	s_cbranch_execz .LBB205_670
; %bb.667:                              ;   in Loop: Header=BB205_418 Depth=1
	v_and_b32_e32 v5, 7, v5
	v_lshrrev_b32_e32 v11, 3, v21
	s_mov_b32 s15, exec_lo
	v_cmpx_gt_u32_e32 8, v21
; %bb.668:                              ;   in Loop: Header=BB205_418 Depth=1
	v_ffbh_u32_e32 v11, v5
	v_min_u32_e32 v11, 32, v11
	v_subrev_nc_u32_e32 v13, 28, v11
	v_sub_nc_u32_e32 v11, 29, v11
	v_lshlrev_b64 v[19:20], v13, v[5:6]
	v_and_b32_e32 v5, 7, v19
; %bb.669:                              ;   in Loop: Header=BB205_418 Depth=1
	s_or_b32 exec_lo, exec_lo, s15
	v_lshlrev_b32_e32 v13, 16, v80
	v_lshlrev_b32_e32 v5, 20, v5
	v_lshl_add_u32 v11, v11, 23, 0x3c000000
	v_mov_b32_e32 v19, v6
	v_and_b32_e32 v13, 0x80000000, v13
	v_or3_b32 v20, v5, v13, v11
.LBB205_670:                            ;   in Loop: Header=BB205_418 Depth=1
	s_or_b32 exec_lo, exec_lo, s14
.LBB205_671:                            ;   in Loop: Header=BB205_418 Depth=1
	s_or_b32 exec_lo, exec_lo, s13
.LBB205_672:                            ;   in Loop: Header=BB205_418 Depth=1
	s_or_b32 exec_lo, exec_lo, s12
	v_mov_b32_e32 v23, 0
	v_mov_b32_e32 v21, 0
	v_and_b32_sdwa v5, v80, v44 dst_sel:DWORD dst_unused:UNUSED_PAD src0_sel:WORD_1 src1_sel:DWORD
	v_mov_b32_e32 v24, 0
	v_mov_b32_e32 v22, 0
	s_mov_b32 s12, exec_lo
	v_cmpx_ne_u16_e32 0, v5
	s_cbranch_execz .LBB205_680
; %bb.673:                              ;   in Loop: Header=BB205_418 Depth=1
	v_bfrev_b32_e32 v21, 1
	v_mov_b32_e32 v22, 0
	s_mov_b32 s13, exec_lo
	v_cmpx_ne_u16_e32 0x80, v5
	s_cbranch_execz .LBB205_679
; %bb.674:                              ;   in Loop: Header=BB205_418 Depth=1
	v_mov_b32_e32 v21, 0x7f800001
	v_bfe_u32 v13, v80, 16, 7
	v_mov_b32_e32 v22, 0
	s_mov_b32 s14, exec_lo
	v_cmpx_ne_u32_e32 0x7f, v13
	s_cbranch_execz .LBB205_678
; %bb.675:                              ;   in Loop: Header=BB205_418 Depth=1
	v_and_b32_sdwa v5, v80, v45 dst_sel:DWORD dst_unused:UNUSED_PAD src0_sel:WORD_1 src1_sel:DWORD
	v_lshrrev_b32_e32 v11, 3, v13
	s_mov_b32 s15, exec_lo
	v_cmpx_gt_u32_e32 8, v13
; %bb.676:                              ;   in Loop: Header=BB205_418 Depth=1
	v_ffbh_u32_e32 v11, v5
	v_min_u32_e32 v11, 32, v11
	v_subrev_nc_u32_e32 v13, 28, v11
	v_sub_nc_u32_e32 v11, 29, v11
	v_lshlrev_b64 v[21:22], v13, v[5:6]
	v_and_b32_e32 v5, 7, v21
; %bb.677:                              ;   in Loop: Header=BB205_418 Depth=1
	s_or_b32 exec_lo, exec_lo, s15
	v_lshlrev_b32_sdwa v13, v46, v80 dst_sel:DWORD dst_unused:UNUSED_PAD src0_sel:DWORD src1_sel:WORD_1
	v_lshlrev_b32_e32 v5, 20, v5
	v_lshl_add_u32 v11, v11, 23, 0x3c000000
	v_and_b32_e32 v13, 0x80000000, v13
	v_or3_b32 v5, v5, v13, v11
	v_mov_b32_e32 v22, v6
	v_mov_b32_e32 v21, v5
.LBB205_678:                            ;   in Loop: Header=BB205_418 Depth=1
	s_or_b32 exec_lo, exec_lo, s14
.LBB205_679:                            ;   in Loop: Header=BB205_418 Depth=1
	s_or_b32 exec_lo, exec_lo, s13
.LBB205_680:                            ;   in Loop: Header=BB205_418 Depth=1
	s_or_b32 exec_lo, exec_lo, s12
	s_mov_b32 s12, exec_lo
	v_cmpx_lt_u32_e32 0xffffff, v80
	s_cbranch_execz .LBB205_688
; %bb.681:                              ;   in Loop: Header=BB205_418 Depth=1
	v_mov_b32_e32 v11, v6
	v_mov_b32_e32 v24, v12
	v_cmp_ne_u32_sdwa s0, v80, v42 src0_sel:BYTE_3 src1_sel:DWORD
	v_mov_b32_e32 v23, v11
	s_and_saveexec_b32 s13, s0
	s_cbranch_execz .LBB205_687
; %bb.682:                              ;   in Loop: Header=BB205_418 Depth=1
	v_mov_b32_e32 v13, v6
	v_mov_b32_e32 v24, v14
	v_bfe_u32 v81, v80, 24, 7
	s_mov_b32 s14, exec_lo
	v_mov_b32_e32 v23, v13
	v_cmpx_ne_u32_e32 0x7f, v81
	s_cbranch_execz .LBB205_686
; %bb.683:                              ;   in Loop: Header=BB205_418 Depth=1
	v_and_b32_sdwa v5, v80, v45 dst_sel:DWORD dst_unused:UNUSED_PAD src0_sel:BYTE_3 src1_sel:DWORD
	v_lshrrev_b32_e32 v11, 3, v81
	s_mov_b32 s15, exec_lo
	v_cmpx_gt_u32_e32 8, v81
; %bb.684:                              ;   in Loop: Header=BB205_418 Depth=1
	v_ffbh_u32_e32 v11, v5
	v_min_u32_e32 v11, 32, v11
	v_subrev_nc_u32_e32 v13, 28, v11
	v_sub_nc_u32_e32 v11, 29, v11
	v_lshlrev_b64 v[23:24], v13, v[5:6]
	v_and_b32_e32 v5, 7, v23
; %bb.685:                              ;   in Loop: Header=BB205_418 Depth=1
	s_or_b32 exec_lo, exec_lo, s15
	v_lshlrev_b32_sdwa v13, v46, v80 dst_sel:DWORD dst_unused:UNUSED_PAD src0_sel:DWORD src1_sel:BYTE_3
	v_lshlrev_b32_e32 v5, 20, v5
	v_lshl_add_u32 v11, v11, 23, 0x3c000000
	v_mov_b32_e32 v23, v6
	v_and_b32_e32 v13, 0x80000000, v13
	v_or3_b32 v24, v5, v13, v11
.LBB205_686:                            ;   in Loop: Header=BB205_418 Depth=1
	s_or_b32 exec_lo, exec_lo, s14
.LBB205_687:                            ;   in Loop: Header=BB205_418 Depth=1
	s_or_b32 exec_lo, exec_lo, s13
.LBB205_688:                            ;   in Loop: Header=BB205_418 Depth=1
	s_or_b32 exec_lo, exec_lo, s12
	v_or_b32_e32 v5, v20, v18
	v_or_b32_e32 v11, v19, v17
	;; [unrolled: 1-line block ×4, first 2 shown]
	v_mul_f32_e32 v82, s9, v5
	v_mul_f32_e32 v83, s3, v11
	v_mul_f32_e32 v81, s3, v13
	v_mul_f32_e32 v80, s9, v17
	s_and_saveexec_b32 s12, vcc_lo
	s_cbranch_execz .LBB205_690
; %bb.689:                              ;   in Loop: Header=BB205_418 Depth=1
	v_cmp_gt_i32_e64 s0, s27, v52
	v_cndmask_b32_e64 v83, 0, v83, s0
	v_cmp_gt_i32_e64 s0, s27, v54
	v_cndmask_b32_e64 v82, 0, v82, s0
	;; [unrolled: 2-line block ×4, first 2 shown]
.LBB205_690:                            ;   in Loop: Header=BB205_418 Depth=1
	s_or_b32 exec_lo, exec_lo, s12
	global_load_dword v84, v[15:16], off offset:1024
	v_mov_b32_e32 v19, 0
	v_mov_b32_e32 v17, 0
	;; [unrolled: 1-line block ×4, first 2 shown]
	s_waitcnt vmcnt(0)
	v_cmp_ne_u16_sdwa s0, v84, v6 src0_sel:BYTE_0 src1_sel:DWORD
	s_and_saveexec_b32 s12, s0
	s_cbranch_execz .LBB205_698
; %bb.691:                              ;   in Loop: Header=BB205_418 Depth=1
	v_bfrev_b32_e32 v17, 1
	v_mov_b32_e32 v18, 0
	v_cmp_ne_u16_sdwa s0, v84, v42 src0_sel:BYTE_0 src1_sel:DWORD
	s_and_saveexec_b32 s13, s0
	s_cbranch_execz .LBB205_697
; %bb.692:                              ;   in Loop: Header=BB205_418 Depth=1
	v_mov_b32_e32 v17, 0x7f800001
	v_and_b32_e32 v13, 0x7f, v84
	v_mov_b32_e32 v18, 0
	s_mov_b32 s14, exec_lo
	v_cmpx_ne_u32_e32 0x7f, v13
	s_cbranch_execz .LBB205_696
; %bb.693:                              ;   in Loop: Header=BB205_418 Depth=1
	v_and_b32_e32 v5, 7, v84
	v_lshrrev_b32_e32 v11, 3, v13
	s_mov_b32 s15, exec_lo
	v_cmpx_gt_u32_e32 8, v13
; %bb.694:                              ;   in Loop: Header=BB205_418 Depth=1
	v_ffbh_u32_e32 v11, v5
	v_min_u32_e32 v11, 32, v11
	v_subrev_nc_u32_e32 v13, 28, v11
	v_sub_nc_u32_e32 v11, 29, v11
	v_lshlrev_b64 v[17:18], v13, v[5:6]
	v_and_b32_e32 v5, 7, v17
; %bb.695:                              ;   in Loop: Header=BB205_418 Depth=1
	s_or_b32 exec_lo, exec_lo, s15
	v_lshlrev_b32_e32 v13, 24, v84
	v_lshlrev_b32_e32 v5, 20, v5
	v_lshl_add_u32 v11, v11, 23, 0x3c000000
	v_and_b32_e32 v13, 0x80000000, v13
	v_or3_b32 v5, v5, v13, v11
	v_mov_b32_e32 v18, v6
	v_mov_b32_e32 v17, v5
.LBB205_696:                            ;   in Loop: Header=BB205_418 Depth=1
	s_or_b32 exec_lo, exec_lo, s14
.LBB205_697:                            ;   in Loop: Header=BB205_418 Depth=1
	s_or_b32 exec_lo, exec_lo, s13
.LBB205_698:                            ;   in Loop: Header=BB205_418 Depth=1
	s_or_b32 exec_lo, exec_lo, s12
	v_cmp_ne_u16_sdwa s0, v84, v6 src0_sel:BYTE_1 src1_sel:DWORD
	s_and_saveexec_b32 s12, s0
	s_cbranch_execz .LBB205_706
; %bb.699:                              ;   in Loop: Header=BB205_418 Depth=1
	v_mov_b32_e32 v11, v6
	v_mov_b32_e32 v20, v12
	v_cmp_ne_u16_sdwa s0, v84, v42 src0_sel:BYTE_1 src1_sel:DWORD
	v_mov_b32_e32 v19, v11
	s_and_saveexec_b32 s13, s0
	s_cbranch_execz .LBB205_705
; %bb.700:                              ;   in Loop: Header=BB205_418 Depth=1
	v_and_b32_sdwa v5, v43, v84 dst_sel:DWORD dst_unused:UNUSED_PAD src0_sel:DWORD src1_sel:BYTE_1
	v_mov_b32_e32 v13, v6
	v_mov_b32_e32 v20, v14
	s_mov_b32 s14, exec_lo
	v_and_b32_e32 v21, 0x7f, v5
	v_mov_b32_e32 v19, v13
	v_cmpx_ne_u32_e32 0x7f, v21
	s_cbranch_execz .LBB205_704
; %bb.701:                              ;   in Loop: Header=BB205_418 Depth=1
	v_and_b32_e32 v5, 7, v5
	v_lshrrev_b32_e32 v11, 3, v21
	s_mov_b32 s15, exec_lo
	v_cmpx_gt_u32_e32 8, v21
; %bb.702:                              ;   in Loop: Header=BB205_418 Depth=1
	v_ffbh_u32_e32 v11, v5
	v_min_u32_e32 v11, 32, v11
	v_subrev_nc_u32_e32 v13, 28, v11
	v_sub_nc_u32_e32 v11, 29, v11
	v_lshlrev_b64 v[19:20], v13, v[5:6]
	v_and_b32_e32 v5, 7, v19
; %bb.703:                              ;   in Loop: Header=BB205_418 Depth=1
	s_or_b32 exec_lo, exec_lo, s15
	v_lshlrev_b32_e32 v13, 16, v84
	v_lshlrev_b32_e32 v5, 20, v5
	v_lshl_add_u32 v11, v11, 23, 0x3c000000
	v_mov_b32_e32 v19, v6
	v_and_b32_e32 v13, 0x80000000, v13
	v_or3_b32 v20, v5, v13, v11
.LBB205_704:                            ;   in Loop: Header=BB205_418 Depth=1
	s_or_b32 exec_lo, exec_lo, s14
.LBB205_705:                            ;   in Loop: Header=BB205_418 Depth=1
	s_or_b32 exec_lo, exec_lo, s13
.LBB205_706:                            ;   in Loop: Header=BB205_418 Depth=1
	s_or_b32 exec_lo, exec_lo, s12
	v_mov_b32_e32 v23, 0
	v_mov_b32_e32 v21, 0
	v_and_b32_sdwa v5, v84, v44 dst_sel:DWORD dst_unused:UNUSED_PAD src0_sel:WORD_1 src1_sel:DWORD
	v_mov_b32_e32 v24, 0
	v_mov_b32_e32 v22, 0
	s_mov_b32 s12, exec_lo
	v_cmpx_ne_u16_e32 0, v5
	s_cbranch_execz .LBB205_714
; %bb.707:                              ;   in Loop: Header=BB205_418 Depth=1
	v_bfrev_b32_e32 v21, 1
	v_mov_b32_e32 v22, 0
	s_mov_b32 s13, exec_lo
	v_cmpx_ne_u16_e32 0x80, v5
	s_cbranch_execz .LBB205_713
; %bb.708:                              ;   in Loop: Header=BB205_418 Depth=1
	v_mov_b32_e32 v21, 0x7f800001
	v_bfe_u32 v13, v84, 16, 7
	v_mov_b32_e32 v22, 0
	s_mov_b32 s14, exec_lo
	v_cmpx_ne_u32_e32 0x7f, v13
	s_cbranch_execz .LBB205_712
; %bb.709:                              ;   in Loop: Header=BB205_418 Depth=1
	v_and_b32_sdwa v5, v84, v45 dst_sel:DWORD dst_unused:UNUSED_PAD src0_sel:WORD_1 src1_sel:DWORD
	v_lshrrev_b32_e32 v11, 3, v13
	s_mov_b32 s15, exec_lo
	v_cmpx_gt_u32_e32 8, v13
; %bb.710:                              ;   in Loop: Header=BB205_418 Depth=1
	v_ffbh_u32_e32 v11, v5
	v_min_u32_e32 v11, 32, v11
	v_subrev_nc_u32_e32 v13, 28, v11
	v_sub_nc_u32_e32 v11, 29, v11
	v_lshlrev_b64 v[21:22], v13, v[5:6]
	v_and_b32_e32 v5, 7, v21
; %bb.711:                              ;   in Loop: Header=BB205_418 Depth=1
	s_or_b32 exec_lo, exec_lo, s15
	v_lshlrev_b32_sdwa v13, v46, v84 dst_sel:DWORD dst_unused:UNUSED_PAD src0_sel:DWORD src1_sel:WORD_1
	v_lshlrev_b32_e32 v5, 20, v5
	v_lshl_add_u32 v11, v11, 23, 0x3c000000
	v_and_b32_e32 v13, 0x80000000, v13
	v_or3_b32 v5, v5, v13, v11
	v_mov_b32_e32 v22, v6
	v_mov_b32_e32 v21, v5
.LBB205_712:                            ;   in Loop: Header=BB205_418 Depth=1
	s_or_b32 exec_lo, exec_lo, s14
.LBB205_713:                            ;   in Loop: Header=BB205_418 Depth=1
	s_or_b32 exec_lo, exec_lo, s13
.LBB205_714:                            ;   in Loop: Header=BB205_418 Depth=1
	s_or_b32 exec_lo, exec_lo, s12
	s_mov_b32 s12, exec_lo
	v_cmpx_lt_u32_e32 0xffffff, v84
	s_cbranch_execz .LBB205_722
; %bb.715:                              ;   in Loop: Header=BB205_418 Depth=1
	v_mov_b32_e32 v11, v6
	v_mov_b32_e32 v24, v12
	v_cmp_ne_u32_sdwa s0, v84, v42 src0_sel:BYTE_3 src1_sel:DWORD
	v_mov_b32_e32 v23, v11
	s_and_saveexec_b32 s13, s0
	s_cbranch_execz .LBB205_721
; %bb.716:                              ;   in Loop: Header=BB205_418 Depth=1
	v_mov_b32_e32 v13, v6
	v_mov_b32_e32 v24, v14
	v_bfe_u32 v85, v84, 24, 7
	s_mov_b32 s14, exec_lo
	v_mov_b32_e32 v23, v13
	v_cmpx_ne_u32_e32 0x7f, v85
	s_cbranch_execz .LBB205_720
; %bb.717:                              ;   in Loop: Header=BB205_418 Depth=1
	v_and_b32_sdwa v5, v84, v45 dst_sel:DWORD dst_unused:UNUSED_PAD src0_sel:BYTE_3 src1_sel:DWORD
	v_lshrrev_b32_e32 v11, 3, v85
	s_mov_b32 s15, exec_lo
	v_cmpx_gt_u32_e32 8, v85
; %bb.718:                              ;   in Loop: Header=BB205_418 Depth=1
	v_ffbh_u32_e32 v11, v5
	v_min_u32_e32 v11, 32, v11
	v_subrev_nc_u32_e32 v13, 28, v11
	v_sub_nc_u32_e32 v11, 29, v11
	v_lshlrev_b64 v[23:24], v13, v[5:6]
	v_and_b32_e32 v5, 7, v23
; %bb.719:                              ;   in Loop: Header=BB205_418 Depth=1
	s_or_b32 exec_lo, exec_lo, s15
	v_lshlrev_b32_sdwa v13, v46, v84 dst_sel:DWORD dst_unused:UNUSED_PAD src0_sel:DWORD src1_sel:BYTE_3
	v_lshlrev_b32_e32 v5, 20, v5
	v_lshl_add_u32 v11, v11, 23, 0x3c000000
	v_mov_b32_e32 v23, v6
	v_and_b32_e32 v13, 0x80000000, v13
	v_or3_b32 v24, v5, v13, v11
.LBB205_720:                            ;   in Loop: Header=BB205_418 Depth=1
	s_or_b32 exec_lo, exec_lo, s14
.LBB205_721:                            ;   in Loop: Header=BB205_418 Depth=1
	s_or_b32 exec_lo, exec_lo, s13
.LBB205_722:                            ;   in Loop: Header=BB205_418 Depth=1
	s_or_b32 exec_lo, exec_lo, s12
	v_or_b32_e32 v5, v20, v18
	v_or_b32_e32 v11, v19, v17
	;; [unrolled: 1-line block ×4, first 2 shown]
	v_mul_f32_e32 v86, s9, v5
	v_mul_f32_e32 v87, s3, v11
	;; [unrolled: 1-line block ×4, first 2 shown]
	s_and_saveexec_b32 s12, vcc_lo
	s_cbranch_execz .LBB205_724
; %bb.723:                              ;   in Loop: Header=BB205_418 Depth=1
	v_cmp_gt_i32_e64 s0, s27, v52
	v_cndmask_b32_e64 v87, 0, v87, s0
	v_cmp_gt_i32_e64 s0, s27, v54
	v_cndmask_b32_e64 v86, 0, v86, s0
	;; [unrolled: 2-line block ×4, first 2 shown]
.LBB205_724:                            ;   in Loop: Header=BB205_418 Depth=1
	s_or_b32 exec_lo, exec_lo, s12
	global_load_dword v88, v[15:16], off offset:1152
	v_mov_b32_e32 v19, 0
	v_mov_b32_e32 v17, 0
	v_mov_b32_e32 v20, 0
	v_mov_b32_e32 v18, 0
	s_waitcnt vmcnt(0)
	v_cmp_ne_u16_sdwa s0, v88, v6 src0_sel:BYTE_0 src1_sel:DWORD
	s_and_saveexec_b32 s12, s0
	s_cbranch_execz .LBB205_732
; %bb.725:                              ;   in Loop: Header=BB205_418 Depth=1
	v_bfrev_b32_e32 v17, 1
	v_mov_b32_e32 v18, 0
	v_cmp_ne_u16_sdwa s0, v88, v42 src0_sel:BYTE_0 src1_sel:DWORD
	s_and_saveexec_b32 s13, s0
	s_cbranch_execz .LBB205_731
; %bb.726:                              ;   in Loop: Header=BB205_418 Depth=1
	v_mov_b32_e32 v17, 0x7f800001
	v_and_b32_e32 v13, 0x7f, v88
	v_mov_b32_e32 v18, 0
	s_mov_b32 s14, exec_lo
	v_cmpx_ne_u32_e32 0x7f, v13
	s_cbranch_execz .LBB205_730
; %bb.727:                              ;   in Loop: Header=BB205_418 Depth=1
	v_and_b32_e32 v5, 7, v88
	v_lshrrev_b32_e32 v11, 3, v13
	s_mov_b32 s15, exec_lo
	v_cmpx_gt_u32_e32 8, v13
; %bb.728:                              ;   in Loop: Header=BB205_418 Depth=1
	v_ffbh_u32_e32 v11, v5
	v_min_u32_e32 v11, 32, v11
	v_subrev_nc_u32_e32 v13, 28, v11
	v_sub_nc_u32_e32 v11, 29, v11
	v_lshlrev_b64 v[17:18], v13, v[5:6]
	v_and_b32_e32 v5, 7, v17
; %bb.729:                              ;   in Loop: Header=BB205_418 Depth=1
	s_or_b32 exec_lo, exec_lo, s15
	v_lshlrev_b32_e32 v13, 24, v88
	v_lshlrev_b32_e32 v5, 20, v5
	v_lshl_add_u32 v11, v11, 23, 0x3c000000
	v_and_b32_e32 v13, 0x80000000, v13
	v_or3_b32 v5, v5, v13, v11
	v_mov_b32_e32 v18, v6
	v_mov_b32_e32 v17, v5
.LBB205_730:                            ;   in Loop: Header=BB205_418 Depth=1
	s_or_b32 exec_lo, exec_lo, s14
.LBB205_731:                            ;   in Loop: Header=BB205_418 Depth=1
	s_or_b32 exec_lo, exec_lo, s13
.LBB205_732:                            ;   in Loop: Header=BB205_418 Depth=1
	s_or_b32 exec_lo, exec_lo, s12
	v_cmp_ne_u16_sdwa s0, v88, v6 src0_sel:BYTE_1 src1_sel:DWORD
	s_and_saveexec_b32 s12, s0
	s_cbranch_execz .LBB205_740
; %bb.733:                              ;   in Loop: Header=BB205_418 Depth=1
	v_mov_b32_e32 v11, v6
	v_mov_b32_e32 v20, v12
	v_cmp_ne_u16_sdwa s0, v88, v42 src0_sel:BYTE_1 src1_sel:DWORD
	v_mov_b32_e32 v19, v11
	s_and_saveexec_b32 s13, s0
	s_cbranch_execz .LBB205_739
; %bb.734:                              ;   in Loop: Header=BB205_418 Depth=1
	v_and_b32_sdwa v5, v43, v88 dst_sel:DWORD dst_unused:UNUSED_PAD src0_sel:DWORD src1_sel:BYTE_1
	v_mov_b32_e32 v13, v6
	v_mov_b32_e32 v20, v14
	s_mov_b32 s14, exec_lo
	v_and_b32_e32 v21, 0x7f, v5
	v_mov_b32_e32 v19, v13
	v_cmpx_ne_u32_e32 0x7f, v21
	s_cbranch_execz .LBB205_738
; %bb.735:                              ;   in Loop: Header=BB205_418 Depth=1
	v_and_b32_e32 v5, 7, v5
	v_lshrrev_b32_e32 v11, 3, v21
	s_mov_b32 s15, exec_lo
	v_cmpx_gt_u32_e32 8, v21
; %bb.736:                              ;   in Loop: Header=BB205_418 Depth=1
	v_ffbh_u32_e32 v11, v5
	v_min_u32_e32 v11, 32, v11
	v_subrev_nc_u32_e32 v13, 28, v11
	v_sub_nc_u32_e32 v11, 29, v11
	v_lshlrev_b64 v[19:20], v13, v[5:6]
	v_and_b32_e32 v5, 7, v19
; %bb.737:                              ;   in Loop: Header=BB205_418 Depth=1
	s_or_b32 exec_lo, exec_lo, s15
	v_lshlrev_b32_e32 v13, 16, v88
	v_lshlrev_b32_e32 v5, 20, v5
	v_lshl_add_u32 v11, v11, 23, 0x3c000000
	v_mov_b32_e32 v19, v6
	v_and_b32_e32 v13, 0x80000000, v13
	v_or3_b32 v20, v5, v13, v11
.LBB205_738:                            ;   in Loop: Header=BB205_418 Depth=1
	s_or_b32 exec_lo, exec_lo, s14
.LBB205_739:                            ;   in Loop: Header=BB205_418 Depth=1
	s_or_b32 exec_lo, exec_lo, s13
.LBB205_740:                            ;   in Loop: Header=BB205_418 Depth=1
	s_or_b32 exec_lo, exec_lo, s12
	v_mov_b32_e32 v23, 0
	v_mov_b32_e32 v21, 0
	v_and_b32_sdwa v5, v88, v44 dst_sel:DWORD dst_unused:UNUSED_PAD src0_sel:WORD_1 src1_sel:DWORD
	v_mov_b32_e32 v24, 0
	v_mov_b32_e32 v22, 0
	s_mov_b32 s12, exec_lo
	v_cmpx_ne_u16_e32 0, v5
	s_cbranch_execz .LBB205_748
; %bb.741:                              ;   in Loop: Header=BB205_418 Depth=1
	v_bfrev_b32_e32 v21, 1
	v_mov_b32_e32 v22, 0
	s_mov_b32 s13, exec_lo
	v_cmpx_ne_u16_e32 0x80, v5
	s_cbranch_execz .LBB205_747
; %bb.742:                              ;   in Loop: Header=BB205_418 Depth=1
	v_mov_b32_e32 v21, 0x7f800001
	v_bfe_u32 v13, v88, 16, 7
	v_mov_b32_e32 v22, 0
	s_mov_b32 s14, exec_lo
	v_cmpx_ne_u32_e32 0x7f, v13
	s_cbranch_execz .LBB205_746
; %bb.743:                              ;   in Loop: Header=BB205_418 Depth=1
	v_and_b32_sdwa v5, v88, v45 dst_sel:DWORD dst_unused:UNUSED_PAD src0_sel:WORD_1 src1_sel:DWORD
	v_lshrrev_b32_e32 v11, 3, v13
	s_mov_b32 s15, exec_lo
	v_cmpx_gt_u32_e32 8, v13
; %bb.744:                              ;   in Loop: Header=BB205_418 Depth=1
	v_ffbh_u32_e32 v11, v5
	v_min_u32_e32 v11, 32, v11
	v_subrev_nc_u32_e32 v13, 28, v11
	v_sub_nc_u32_e32 v11, 29, v11
	v_lshlrev_b64 v[21:22], v13, v[5:6]
	v_and_b32_e32 v5, 7, v21
; %bb.745:                              ;   in Loop: Header=BB205_418 Depth=1
	s_or_b32 exec_lo, exec_lo, s15
	v_lshlrev_b32_sdwa v13, v46, v88 dst_sel:DWORD dst_unused:UNUSED_PAD src0_sel:DWORD src1_sel:WORD_1
	v_lshlrev_b32_e32 v5, 20, v5
	v_lshl_add_u32 v11, v11, 23, 0x3c000000
	v_and_b32_e32 v13, 0x80000000, v13
	v_or3_b32 v5, v5, v13, v11
	v_mov_b32_e32 v22, v6
	v_mov_b32_e32 v21, v5
.LBB205_746:                            ;   in Loop: Header=BB205_418 Depth=1
	s_or_b32 exec_lo, exec_lo, s14
.LBB205_747:                            ;   in Loop: Header=BB205_418 Depth=1
	s_or_b32 exec_lo, exec_lo, s13
.LBB205_748:                            ;   in Loop: Header=BB205_418 Depth=1
	s_or_b32 exec_lo, exec_lo, s12
	s_mov_b32 s12, exec_lo
	v_cmpx_lt_u32_e32 0xffffff, v88
	s_cbranch_execz .LBB205_756
; %bb.749:                              ;   in Loop: Header=BB205_418 Depth=1
	v_mov_b32_e32 v11, v6
	v_mov_b32_e32 v24, v12
	v_cmp_ne_u32_sdwa s0, v88, v42 src0_sel:BYTE_3 src1_sel:DWORD
	v_mov_b32_e32 v23, v11
	s_and_saveexec_b32 s13, s0
	s_cbranch_execz .LBB205_755
; %bb.750:                              ;   in Loop: Header=BB205_418 Depth=1
	v_mov_b32_e32 v13, v6
	v_mov_b32_e32 v24, v14
	v_bfe_u32 v89, v88, 24, 7
	s_mov_b32 s14, exec_lo
	v_mov_b32_e32 v23, v13
	v_cmpx_ne_u32_e32 0x7f, v89
	s_cbranch_execz .LBB205_754
; %bb.751:                              ;   in Loop: Header=BB205_418 Depth=1
	v_and_b32_sdwa v5, v88, v45 dst_sel:DWORD dst_unused:UNUSED_PAD src0_sel:BYTE_3 src1_sel:DWORD
	v_lshrrev_b32_e32 v11, 3, v89
	s_mov_b32 s15, exec_lo
	v_cmpx_gt_u32_e32 8, v89
; %bb.752:                              ;   in Loop: Header=BB205_418 Depth=1
	v_ffbh_u32_e32 v11, v5
	v_min_u32_e32 v11, 32, v11
	v_subrev_nc_u32_e32 v13, 28, v11
	v_sub_nc_u32_e32 v11, 29, v11
	v_lshlrev_b64 v[23:24], v13, v[5:6]
	v_and_b32_e32 v5, 7, v23
; %bb.753:                              ;   in Loop: Header=BB205_418 Depth=1
	s_or_b32 exec_lo, exec_lo, s15
	v_lshlrev_b32_sdwa v13, v46, v88 dst_sel:DWORD dst_unused:UNUSED_PAD src0_sel:DWORD src1_sel:BYTE_3
	v_lshlrev_b32_e32 v5, 20, v5
	v_lshl_add_u32 v11, v11, 23, 0x3c000000
	v_mov_b32_e32 v23, v6
	v_and_b32_e32 v13, 0x80000000, v13
	v_or3_b32 v24, v5, v13, v11
.LBB205_754:                            ;   in Loop: Header=BB205_418 Depth=1
	s_or_b32 exec_lo, exec_lo, s14
.LBB205_755:                            ;   in Loop: Header=BB205_418 Depth=1
	s_or_b32 exec_lo, exec_lo, s13
.LBB205_756:                            ;   in Loop: Header=BB205_418 Depth=1
	s_or_b32 exec_lo, exec_lo, s12
	v_or_b32_e32 v5, v20, v18
	v_or_b32_e32 v11, v19, v17
	;; [unrolled: 1-line block ×4, first 2 shown]
	v_mul_f32_e32 v90, s9, v5
	v_mul_f32_e32 v91, s3, v11
	v_mul_f32_e32 v89, s3, v13
	v_mul_f32_e32 v88, s9, v17
	s_and_saveexec_b32 s12, vcc_lo
	s_cbranch_execz .LBB205_758
; %bb.757:                              ;   in Loop: Header=BB205_418 Depth=1
	v_cmp_gt_i32_e64 s0, s27, v52
	v_cndmask_b32_e64 v91, 0, v91, s0
	v_cmp_gt_i32_e64 s0, s27, v54
	v_cndmask_b32_e64 v90, 0, v90, s0
	;; [unrolled: 2-line block ×4, first 2 shown]
.LBB205_758:                            ;   in Loop: Header=BB205_418 Depth=1
	s_or_b32 exec_lo, exec_lo, s12
	global_load_dword v92, v[15:16], off offset:1280
	v_mov_b32_e32 v19, 0
	v_mov_b32_e32 v17, 0
	;; [unrolled: 1-line block ×4, first 2 shown]
	s_waitcnt vmcnt(0)
	v_cmp_ne_u16_sdwa s0, v92, v6 src0_sel:BYTE_0 src1_sel:DWORD
	s_and_saveexec_b32 s12, s0
	s_cbranch_execz .LBB205_766
; %bb.759:                              ;   in Loop: Header=BB205_418 Depth=1
	v_bfrev_b32_e32 v17, 1
	v_mov_b32_e32 v18, 0
	v_cmp_ne_u16_sdwa s0, v92, v42 src0_sel:BYTE_0 src1_sel:DWORD
	s_and_saveexec_b32 s13, s0
	s_cbranch_execz .LBB205_765
; %bb.760:                              ;   in Loop: Header=BB205_418 Depth=1
	v_mov_b32_e32 v17, 0x7f800001
	v_and_b32_e32 v13, 0x7f, v92
	v_mov_b32_e32 v18, 0
	s_mov_b32 s14, exec_lo
	v_cmpx_ne_u32_e32 0x7f, v13
	s_cbranch_execz .LBB205_764
; %bb.761:                              ;   in Loop: Header=BB205_418 Depth=1
	v_and_b32_e32 v5, 7, v92
	v_lshrrev_b32_e32 v11, 3, v13
	s_mov_b32 s15, exec_lo
	v_cmpx_gt_u32_e32 8, v13
; %bb.762:                              ;   in Loop: Header=BB205_418 Depth=1
	v_ffbh_u32_e32 v11, v5
	v_min_u32_e32 v11, 32, v11
	v_subrev_nc_u32_e32 v13, 28, v11
	v_sub_nc_u32_e32 v11, 29, v11
	v_lshlrev_b64 v[17:18], v13, v[5:6]
	v_and_b32_e32 v5, 7, v17
; %bb.763:                              ;   in Loop: Header=BB205_418 Depth=1
	s_or_b32 exec_lo, exec_lo, s15
	v_lshlrev_b32_e32 v13, 24, v92
	v_lshlrev_b32_e32 v5, 20, v5
	v_lshl_add_u32 v11, v11, 23, 0x3c000000
	v_and_b32_e32 v13, 0x80000000, v13
	v_or3_b32 v5, v5, v13, v11
	v_mov_b32_e32 v18, v6
	v_mov_b32_e32 v17, v5
.LBB205_764:                            ;   in Loop: Header=BB205_418 Depth=1
	s_or_b32 exec_lo, exec_lo, s14
.LBB205_765:                            ;   in Loop: Header=BB205_418 Depth=1
	s_or_b32 exec_lo, exec_lo, s13
.LBB205_766:                            ;   in Loop: Header=BB205_418 Depth=1
	s_or_b32 exec_lo, exec_lo, s12
	v_cmp_ne_u16_sdwa s0, v92, v6 src0_sel:BYTE_1 src1_sel:DWORD
	s_and_saveexec_b32 s12, s0
	s_cbranch_execz .LBB205_774
; %bb.767:                              ;   in Loop: Header=BB205_418 Depth=1
	v_mov_b32_e32 v11, v6
	v_mov_b32_e32 v20, v12
	v_cmp_ne_u16_sdwa s0, v92, v42 src0_sel:BYTE_1 src1_sel:DWORD
	v_mov_b32_e32 v19, v11
	s_and_saveexec_b32 s13, s0
	s_cbranch_execz .LBB205_773
; %bb.768:                              ;   in Loop: Header=BB205_418 Depth=1
	v_and_b32_sdwa v5, v43, v92 dst_sel:DWORD dst_unused:UNUSED_PAD src0_sel:DWORD src1_sel:BYTE_1
	v_mov_b32_e32 v13, v6
	v_mov_b32_e32 v20, v14
	s_mov_b32 s14, exec_lo
	v_and_b32_e32 v21, 0x7f, v5
	v_mov_b32_e32 v19, v13
	v_cmpx_ne_u32_e32 0x7f, v21
	s_cbranch_execz .LBB205_772
; %bb.769:                              ;   in Loop: Header=BB205_418 Depth=1
	v_and_b32_e32 v5, 7, v5
	v_lshrrev_b32_e32 v11, 3, v21
	s_mov_b32 s15, exec_lo
	v_cmpx_gt_u32_e32 8, v21
; %bb.770:                              ;   in Loop: Header=BB205_418 Depth=1
	v_ffbh_u32_e32 v11, v5
	v_min_u32_e32 v11, 32, v11
	v_subrev_nc_u32_e32 v13, 28, v11
	v_sub_nc_u32_e32 v11, 29, v11
	v_lshlrev_b64 v[19:20], v13, v[5:6]
	v_and_b32_e32 v5, 7, v19
; %bb.771:                              ;   in Loop: Header=BB205_418 Depth=1
	s_or_b32 exec_lo, exec_lo, s15
	v_lshlrev_b32_e32 v13, 16, v92
	v_lshlrev_b32_e32 v5, 20, v5
	v_lshl_add_u32 v11, v11, 23, 0x3c000000
	v_mov_b32_e32 v19, v6
	v_and_b32_e32 v13, 0x80000000, v13
	v_or3_b32 v20, v5, v13, v11
.LBB205_772:                            ;   in Loop: Header=BB205_418 Depth=1
	s_or_b32 exec_lo, exec_lo, s14
.LBB205_773:                            ;   in Loop: Header=BB205_418 Depth=1
	s_or_b32 exec_lo, exec_lo, s13
.LBB205_774:                            ;   in Loop: Header=BB205_418 Depth=1
	s_or_b32 exec_lo, exec_lo, s12
	v_mov_b32_e32 v23, 0
	v_mov_b32_e32 v21, 0
	v_and_b32_sdwa v5, v92, v44 dst_sel:DWORD dst_unused:UNUSED_PAD src0_sel:WORD_1 src1_sel:DWORD
	v_mov_b32_e32 v24, 0
	v_mov_b32_e32 v22, 0
	s_mov_b32 s12, exec_lo
	v_cmpx_ne_u16_e32 0, v5
	s_cbranch_execz .LBB205_782
; %bb.775:                              ;   in Loop: Header=BB205_418 Depth=1
	v_bfrev_b32_e32 v21, 1
	v_mov_b32_e32 v22, 0
	s_mov_b32 s13, exec_lo
	v_cmpx_ne_u16_e32 0x80, v5
	s_cbranch_execz .LBB205_781
; %bb.776:                              ;   in Loop: Header=BB205_418 Depth=1
	v_mov_b32_e32 v21, 0x7f800001
	v_bfe_u32 v13, v92, 16, 7
	v_mov_b32_e32 v22, 0
	s_mov_b32 s14, exec_lo
	v_cmpx_ne_u32_e32 0x7f, v13
	s_cbranch_execz .LBB205_780
; %bb.777:                              ;   in Loop: Header=BB205_418 Depth=1
	v_and_b32_sdwa v5, v92, v45 dst_sel:DWORD dst_unused:UNUSED_PAD src0_sel:WORD_1 src1_sel:DWORD
	v_lshrrev_b32_e32 v11, 3, v13
	s_mov_b32 s15, exec_lo
	v_cmpx_gt_u32_e32 8, v13
; %bb.778:                              ;   in Loop: Header=BB205_418 Depth=1
	v_ffbh_u32_e32 v11, v5
	v_min_u32_e32 v11, 32, v11
	v_subrev_nc_u32_e32 v13, 28, v11
	v_sub_nc_u32_e32 v11, 29, v11
	v_lshlrev_b64 v[21:22], v13, v[5:6]
	v_and_b32_e32 v5, 7, v21
; %bb.779:                              ;   in Loop: Header=BB205_418 Depth=1
	s_or_b32 exec_lo, exec_lo, s15
	v_lshlrev_b32_sdwa v13, v46, v92 dst_sel:DWORD dst_unused:UNUSED_PAD src0_sel:DWORD src1_sel:WORD_1
	v_lshlrev_b32_e32 v5, 20, v5
	v_lshl_add_u32 v11, v11, 23, 0x3c000000
	v_and_b32_e32 v13, 0x80000000, v13
	v_or3_b32 v5, v5, v13, v11
	v_mov_b32_e32 v22, v6
	v_mov_b32_e32 v21, v5
.LBB205_780:                            ;   in Loop: Header=BB205_418 Depth=1
	s_or_b32 exec_lo, exec_lo, s14
.LBB205_781:                            ;   in Loop: Header=BB205_418 Depth=1
	s_or_b32 exec_lo, exec_lo, s13
.LBB205_782:                            ;   in Loop: Header=BB205_418 Depth=1
	s_or_b32 exec_lo, exec_lo, s12
	s_mov_b32 s12, exec_lo
	v_cmpx_lt_u32_e32 0xffffff, v92
	s_cbranch_execz .LBB205_790
; %bb.783:                              ;   in Loop: Header=BB205_418 Depth=1
	v_mov_b32_e32 v11, v6
	v_mov_b32_e32 v24, v12
	v_cmp_ne_u32_sdwa s0, v92, v42 src0_sel:BYTE_3 src1_sel:DWORD
	v_mov_b32_e32 v23, v11
	s_and_saveexec_b32 s13, s0
	s_cbranch_execz .LBB205_789
; %bb.784:                              ;   in Loop: Header=BB205_418 Depth=1
	v_mov_b32_e32 v13, v6
	v_mov_b32_e32 v24, v14
	v_bfe_u32 v93, v92, 24, 7
	s_mov_b32 s14, exec_lo
	v_mov_b32_e32 v23, v13
	v_cmpx_ne_u32_e32 0x7f, v93
	s_cbranch_execz .LBB205_788
; %bb.785:                              ;   in Loop: Header=BB205_418 Depth=1
	v_and_b32_sdwa v5, v92, v45 dst_sel:DWORD dst_unused:UNUSED_PAD src0_sel:BYTE_3 src1_sel:DWORD
	v_lshrrev_b32_e32 v11, 3, v93
	s_mov_b32 s15, exec_lo
	v_cmpx_gt_u32_e32 8, v93
; %bb.786:                              ;   in Loop: Header=BB205_418 Depth=1
	v_ffbh_u32_e32 v11, v5
	v_min_u32_e32 v11, 32, v11
	v_subrev_nc_u32_e32 v13, 28, v11
	v_sub_nc_u32_e32 v11, 29, v11
	v_lshlrev_b64 v[23:24], v13, v[5:6]
	v_and_b32_e32 v5, 7, v23
; %bb.787:                              ;   in Loop: Header=BB205_418 Depth=1
	s_or_b32 exec_lo, exec_lo, s15
	v_lshlrev_b32_sdwa v13, v46, v92 dst_sel:DWORD dst_unused:UNUSED_PAD src0_sel:DWORD src1_sel:BYTE_3
	v_lshlrev_b32_e32 v5, 20, v5
	v_lshl_add_u32 v11, v11, 23, 0x3c000000
	v_mov_b32_e32 v23, v6
	v_and_b32_e32 v13, 0x80000000, v13
	v_or3_b32 v24, v5, v13, v11
.LBB205_788:                            ;   in Loop: Header=BB205_418 Depth=1
	s_or_b32 exec_lo, exec_lo, s14
.LBB205_789:                            ;   in Loop: Header=BB205_418 Depth=1
	s_or_b32 exec_lo, exec_lo, s13
.LBB205_790:                            ;   in Loop: Header=BB205_418 Depth=1
	s_or_b32 exec_lo, exec_lo, s12
	v_or_b32_e32 v5, v20, v18
	v_or_b32_e32 v11, v19, v17
	;; [unrolled: 1-line block ×4, first 2 shown]
	v_mul_f32_e32 v92, s9, v5
	v_mul_f32_e32 v93, s3, v11
	;; [unrolled: 1-line block ×4, first 2 shown]
	s_and_saveexec_b32 s12, vcc_lo
	s_cbranch_execz .LBB205_792
; %bb.791:                              ;   in Loop: Header=BB205_418 Depth=1
	v_cmp_gt_i32_e64 s0, s27, v52
	v_cndmask_b32_e64 v93, 0, v93, s0
	v_cmp_gt_i32_e64 s0, s27, v54
	v_cndmask_b32_e64 v92, 0, v92, s0
	v_cmp_gt_i32_e64 s0, s27, v53
	v_cndmask_b32_e64 v24, 0, v24, s0
	v_cmp_gt_i32_e64 s0, s27, v40
	v_cndmask_b32_e64 v23, 0, v23, s0
.LBB205_792:                            ;   in Loop: Header=BB205_418 Depth=1
	s_or_b32 exec_lo, exec_lo, s12
	global_load_dword v94, v[15:16], off offset:1408
	v_mov_b32_e32 v17, 0
	v_mov_b32_e32 v15, 0
	;; [unrolled: 1-line block ×4, first 2 shown]
	s_waitcnt vmcnt(0)
	v_cmp_ne_u16_sdwa s0, v94, v6 src0_sel:BYTE_0 src1_sel:DWORD
	s_and_saveexec_b32 s12, s0
	s_cbranch_execz .LBB205_800
; %bb.793:                              ;   in Loop: Header=BB205_418 Depth=1
	v_bfrev_b32_e32 v15, 1
	v_mov_b32_e32 v16, 0
	v_cmp_ne_u16_sdwa s0, v94, v42 src0_sel:BYTE_0 src1_sel:DWORD
	s_and_saveexec_b32 s13, s0
	s_cbranch_execz .LBB205_799
; %bb.794:                              ;   in Loop: Header=BB205_418 Depth=1
	v_mov_b32_e32 v15, 0x7f800001
	v_and_b32_e32 v13, 0x7f, v94
	v_mov_b32_e32 v16, 0
	s_mov_b32 s14, exec_lo
	v_cmpx_ne_u32_e32 0x7f, v13
	s_cbranch_execz .LBB205_798
; %bb.795:                              ;   in Loop: Header=BB205_418 Depth=1
	v_and_b32_e32 v5, 7, v94
	v_lshrrev_b32_e32 v11, 3, v13
	s_mov_b32 s15, exec_lo
	v_cmpx_gt_u32_e32 8, v13
; %bb.796:                              ;   in Loop: Header=BB205_418 Depth=1
	v_ffbh_u32_e32 v11, v5
	v_min_u32_e32 v11, 32, v11
	v_subrev_nc_u32_e32 v13, 28, v11
	v_sub_nc_u32_e32 v11, 29, v11
	v_lshlrev_b64 v[15:16], v13, v[5:6]
	v_and_b32_e32 v5, 7, v15
; %bb.797:                              ;   in Loop: Header=BB205_418 Depth=1
	s_or_b32 exec_lo, exec_lo, s15
	v_lshlrev_b32_e32 v13, 24, v94
	v_lshlrev_b32_e32 v5, 20, v5
	v_lshl_add_u32 v11, v11, 23, 0x3c000000
	v_and_b32_e32 v13, 0x80000000, v13
	v_or3_b32 v5, v5, v13, v11
	v_mov_b32_e32 v16, v6
	v_mov_b32_e32 v15, v5
.LBB205_798:                            ;   in Loop: Header=BB205_418 Depth=1
	s_or_b32 exec_lo, exec_lo, s14
.LBB205_799:                            ;   in Loop: Header=BB205_418 Depth=1
	s_or_b32 exec_lo, exec_lo, s13
.LBB205_800:                            ;   in Loop: Header=BB205_418 Depth=1
	s_or_b32 exec_lo, exec_lo, s12
	v_cmp_ne_u16_sdwa s0, v94, v6 src0_sel:BYTE_1 src1_sel:DWORD
	s_and_saveexec_b32 s12, s0
	s_cbranch_execz .LBB205_808
; %bb.801:                              ;   in Loop: Header=BB205_418 Depth=1
	v_mov_b32_e32 v11, v6
	v_mov_b32_e32 v18, v12
	v_cmp_ne_u16_sdwa s0, v94, v42 src0_sel:BYTE_1 src1_sel:DWORD
	v_mov_b32_e32 v17, v11
	s_and_saveexec_b32 s13, s0
	s_cbranch_execz .LBB205_807
; %bb.802:                              ;   in Loop: Header=BB205_418 Depth=1
	v_and_b32_sdwa v5, v43, v94 dst_sel:DWORD dst_unused:UNUSED_PAD src0_sel:DWORD src1_sel:BYTE_1
	v_mov_b32_e32 v13, v6
	v_mov_b32_e32 v18, v14
	s_mov_b32 s14, exec_lo
	v_and_b32_e32 v19, 0x7f, v5
	v_mov_b32_e32 v17, v13
	v_cmpx_ne_u32_e32 0x7f, v19
	s_cbranch_execz .LBB205_806
; %bb.803:                              ;   in Loop: Header=BB205_418 Depth=1
	v_and_b32_e32 v5, 7, v5
	v_lshrrev_b32_e32 v11, 3, v19
	s_mov_b32 s15, exec_lo
	v_cmpx_gt_u32_e32 8, v19
; %bb.804:                              ;   in Loop: Header=BB205_418 Depth=1
	v_ffbh_u32_e32 v11, v5
	v_min_u32_e32 v11, 32, v11
	v_subrev_nc_u32_e32 v13, 28, v11
	v_sub_nc_u32_e32 v11, 29, v11
	v_lshlrev_b64 v[17:18], v13, v[5:6]
	v_and_b32_e32 v5, 7, v17
; %bb.805:                              ;   in Loop: Header=BB205_418 Depth=1
	s_or_b32 exec_lo, exec_lo, s15
	v_lshlrev_b32_e32 v13, 16, v94
	v_lshlrev_b32_e32 v5, 20, v5
	v_lshl_add_u32 v11, v11, 23, 0x3c000000
	v_mov_b32_e32 v17, v6
	v_and_b32_e32 v13, 0x80000000, v13
	v_or3_b32 v18, v5, v13, v11
.LBB205_806:                            ;   in Loop: Header=BB205_418 Depth=1
	s_or_b32 exec_lo, exec_lo, s14
.LBB205_807:                            ;   in Loop: Header=BB205_418 Depth=1
	s_or_b32 exec_lo, exec_lo, s13
.LBB205_808:                            ;   in Loop: Header=BB205_418 Depth=1
	s_or_b32 exec_lo, exec_lo, s12
	v_mov_b32_e32 v21, 0
	v_mov_b32_e32 v19, 0
	v_and_b32_sdwa v5, v94, v44 dst_sel:DWORD dst_unused:UNUSED_PAD src0_sel:WORD_1 src1_sel:DWORD
	v_mov_b32_e32 v22, 0
	v_mov_b32_e32 v20, 0
	s_mov_b32 s12, exec_lo
	v_cmpx_ne_u16_e32 0, v5
	s_cbranch_execz .LBB205_816
; %bb.809:                              ;   in Loop: Header=BB205_418 Depth=1
	v_bfrev_b32_e32 v19, 1
	v_mov_b32_e32 v20, 0
	s_mov_b32 s13, exec_lo
	v_cmpx_ne_u16_e32 0x80, v5
	s_cbranch_execz .LBB205_815
; %bb.810:                              ;   in Loop: Header=BB205_418 Depth=1
	v_mov_b32_e32 v19, 0x7f800001
	v_bfe_u32 v13, v94, 16, 7
	v_mov_b32_e32 v20, 0
	s_mov_b32 s14, exec_lo
	v_cmpx_ne_u32_e32 0x7f, v13
	s_cbranch_execz .LBB205_814
; %bb.811:                              ;   in Loop: Header=BB205_418 Depth=1
	v_and_b32_sdwa v5, v94, v45 dst_sel:DWORD dst_unused:UNUSED_PAD src0_sel:WORD_1 src1_sel:DWORD
	v_lshrrev_b32_e32 v11, 3, v13
	s_mov_b32 s15, exec_lo
	v_cmpx_gt_u32_e32 8, v13
; %bb.812:                              ;   in Loop: Header=BB205_418 Depth=1
	v_ffbh_u32_e32 v11, v5
	v_min_u32_e32 v11, 32, v11
	v_subrev_nc_u32_e32 v13, 28, v11
	v_sub_nc_u32_e32 v11, 29, v11
	v_lshlrev_b64 v[19:20], v13, v[5:6]
	v_and_b32_e32 v5, 7, v19
; %bb.813:                              ;   in Loop: Header=BB205_418 Depth=1
	s_or_b32 exec_lo, exec_lo, s15
	v_lshlrev_b32_sdwa v13, v46, v94 dst_sel:DWORD dst_unused:UNUSED_PAD src0_sel:DWORD src1_sel:WORD_1
	v_lshlrev_b32_e32 v5, 20, v5
	v_lshl_add_u32 v11, v11, 23, 0x3c000000
	v_and_b32_e32 v13, 0x80000000, v13
	v_or3_b32 v5, v5, v13, v11
	v_mov_b32_e32 v20, v6
	v_mov_b32_e32 v19, v5
.LBB205_814:                            ;   in Loop: Header=BB205_418 Depth=1
	s_or_b32 exec_lo, exec_lo, s14
.LBB205_815:                            ;   in Loop: Header=BB205_418 Depth=1
	s_or_b32 exec_lo, exec_lo, s13
.LBB205_816:                            ;   in Loop: Header=BB205_418 Depth=1
	s_or_b32 exec_lo, exec_lo, s12
	s_mov_b32 s12, exec_lo
	v_cmpx_lt_u32_e32 0xffffff, v94
	s_cbranch_execz .LBB205_824
; %bb.817:                              ;   in Loop: Header=BB205_418 Depth=1
	v_mov_b32_e32 v11, v6
	v_mov_b32_e32 v22, v12
	v_cmp_ne_u32_sdwa s0, v94, v42 src0_sel:BYTE_3 src1_sel:DWORD
	v_mov_b32_e32 v21, v11
	s_and_saveexec_b32 s13, s0
	s_cbranch_execz .LBB205_823
; %bb.818:                              ;   in Loop: Header=BB205_418 Depth=1
	v_mov_b32_e32 v13, v6
	v_mov_b32_e32 v22, v14
	v_bfe_u32 v95, v94, 24, 7
	s_mov_b32 s14, exec_lo
	v_mov_b32_e32 v21, v13
	v_cmpx_ne_u32_e32 0x7f, v95
	s_cbranch_execz .LBB205_822
; %bb.819:                              ;   in Loop: Header=BB205_418 Depth=1
	v_and_b32_sdwa v5, v94, v45 dst_sel:DWORD dst_unused:UNUSED_PAD src0_sel:BYTE_3 src1_sel:DWORD
	v_lshrrev_b32_e32 v11, 3, v95
	s_mov_b32 s15, exec_lo
	v_cmpx_gt_u32_e32 8, v95
; %bb.820:                              ;   in Loop: Header=BB205_418 Depth=1
	v_ffbh_u32_e32 v11, v5
	v_min_u32_e32 v11, 32, v11
	v_subrev_nc_u32_e32 v13, 28, v11
	v_sub_nc_u32_e32 v11, 29, v11
	v_lshlrev_b64 v[21:22], v13, v[5:6]
	v_and_b32_e32 v5, 7, v21
; %bb.821:                              ;   in Loop: Header=BB205_418 Depth=1
	s_or_b32 exec_lo, exec_lo, s15
	v_lshlrev_b32_sdwa v13, v46, v94 dst_sel:DWORD dst_unused:UNUSED_PAD src0_sel:DWORD src1_sel:BYTE_3
	v_lshlrev_b32_e32 v5, 20, v5
	v_lshl_add_u32 v11, v11, 23, 0x3c000000
	v_mov_b32_e32 v21, v6
	v_and_b32_e32 v13, 0x80000000, v13
	v_or3_b32 v22, v5, v13, v11
.LBB205_822:                            ;   in Loop: Header=BB205_418 Depth=1
	s_or_b32 exec_lo, exec_lo, s14
.LBB205_823:                            ;   in Loop: Header=BB205_418 Depth=1
	s_or_b32 exec_lo, exec_lo, s13
.LBB205_824:                            ;   in Loop: Header=BB205_418 Depth=1
	s_or_b32 exec_lo, exec_lo, s12
	v_or_b32_e32 v5, v18, v16
	v_or_b32_e32 v11, v17, v15
	;; [unrolled: 1-line block ×4, first 2 shown]
	v_mul_f32_e32 v13, s9, v5
	v_mul_f32_e32 v15, s3, v11
	;; [unrolled: 1-line block ×4, first 2 shown]
	s_and_saveexec_b32 s0, vcc_lo
	s_cbranch_execz .LBB205_417
; %bb.825:                              ;   in Loop: Header=BB205_418 Depth=1
	v_cmp_gt_i32_e32 vcc_lo, s27, v52
	v_cndmask_b32_e32 v15, 0, v15, vcc_lo
	v_cmp_gt_i32_e32 vcc_lo, s27, v54
	v_cndmask_b32_e32 v13, 0, v13, vcc_lo
	;; [unrolled: 2-line block ×4, first 2 shown]
	s_branch .LBB205_417
.LBB205_826:
	s_or_b32 exec_lo, exec_lo, s6
.LBB205_827:
	s_or_b32 exec_lo, exec_lo, s1
	ds_bpermute_b32 v1, v26, v37
	ds_bpermute_b32 v2, v26, v39
	;; [unrolled: 1-line block ×12, first 2 shown]
	v_lshrrev_b32_e32 v13, 1, v25
	v_and_b32_e32 v16, 0x3c1, v0
	v_mul_u32_u24_e32 v15, 0x300, v59
	s_mov_b32 s0, exec_lo
	s_waitcnt lgkmcnt(0)
	s_waitcnt_vscnt null, 0x0
	v_lshl_add_u32 v14, v13, 2, 0x320
	s_barrier
	buffer_gl0_inv
	v_add_f32_e32 v1, v37, v1
	v_add_f32_e32 v2, v39, v2
	;; [unrolled: 1-line block ×12, first 2 shown]
	v_cmpx_eq_u32_e32 64, v16
	s_cbranch_execz .LBB205_829
; %bb.828:
	v_add_nc_u32_e32 v16, v14, v15
	v_add_nc_u32_e32 v17, 0xfffffa00, v16
	;; [unrolled: 1-line block ×8, first 2 shown]
	ds_write_b32 v17, v1
	ds_write_b32 v18, v2
	;; [unrolled: 1-line block ×7, first 2 shown]
	v_add_nc_u32_e32 v17, 0xfffffbc0, v16
	v_add_nc_u32_e32 v18, 0xfffffc00, v16
	;; [unrolled: 1-line block ×5, first 2 shown]
	ds_write_b32 v17, v8
	ds_write_b32 v18, v9
	;; [unrolled: 1-line block ×5, first 2 shown]
.LBB205_829:
	s_or_b32 exec_lo, exec_lo, s0
	v_lshlrev_b32_e32 v13, 2, v13
	s_mov_b32 s1, exec_lo
	v_cmp_eq_u32_e32 vcc_lo, 0, v27
	s_waitcnt lgkmcnt(0)
	s_barrier
	v_add3_u32 v13, 0x320, v15, v13
	buffer_gl0_inv
	v_cmpx_gt_u32_e32 64, v0
	s_cbranch_execz .LBB205_844
; %bb.830:
	s_and_saveexec_b32 s0, vcc_lo
	s_cbranch_execnz .LBB205_864
; %bb.831:
	s_or_b32 exec_lo, exec_lo, s0
	s_and_saveexec_b32 s0, vcc_lo
	s_cbranch_execnz .LBB205_865
.LBB205_832:
	s_or_b32 exec_lo, exec_lo, s0
	s_and_saveexec_b32 s0, vcc_lo
	s_cbranch_execnz .LBB205_866
.LBB205_833:
	s_or_b32 exec_lo, exec_lo, s0
	s_and_saveexec_b32 s0, vcc_lo
	s_cbranch_execnz .LBB205_867
.LBB205_834:
	s_or_b32 exec_lo, exec_lo, s0
	s_and_saveexec_b32 s0, vcc_lo
	s_cbranch_execnz .LBB205_868
.LBB205_835:
	s_or_b32 exec_lo, exec_lo, s0
	s_and_saveexec_b32 s0, vcc_lo
	s_cbranch_execnz .LBB205_869
.LBB205_836:
	s_or_b32 exec_lo, exec_lo, s0
	s_and_saveexec_b32 s0, vcc_lo
	s_cbranch_execnz .LBB205_870
.LBB205_837:
	s_or_b32 exec_lo, exec_lo, s0
	s_and_saveexec_b32 s0, vcc_lo
	s_cbranch_execnz .LBB205_871
.LBB205_838:
	s_or_b32 exec_lo, exec_lo, s0
	s_and_saveexec_b32 s0, vcc_lo
	s_cbranch_execnz .LBB205_872
.LBB205_839:
	s_or_b32 exec_lo, exec_lo, s0
	s_and_saveexec_b32 s0, vcc_lo
	s_cbranch_execnz .LBB205_873
.LBB205_840:
	s_or_b32 exec_lo, exec_lo, s0
	s_and_saveexec_b32 s0, vcc_lo
	s_cbranch_execnz .LBB205_874
.LBB205_841:
	s_or_b32 exec_lo, exec_lo, s0
	s_and_saveexec_b32 s0, vcc_lo
	s_cbranch_execz .LBB205_843
.LBB205_842:
	ds_read_b32 v15, v13 offset:704
	s_waitcnt lgkmcnt(0)
	v_add_f32_e32 v12, v12, v15
.LBB205_843:
	s_or_b32 exec_lo, exec_lo, s0
.LBB205_844:
	s_or_b32 exec_lo, exec_lo, s1
	v_and_b32_e32 v15, 0x3e1, v0
	s_mov_b32 s1, exec_lo
	s_barrier
	buffer_gl0_inv
	v_cmpx_eq_u32_e32 32, v15
	s_cbranch_execz .LBB205_846
; %bb.845:
	ds_write2_b32 v14, v1, v2 offset1:16
	ds_write2_b32 v14, v3, v4 offset0:32 offset1:48
	ds_write2_b32 v14, v5, v6 offset0:64 offset1:80
	;; [unrolled: 1-line block ×5, first 2 shown]
.LBB205_846:
	s_or_b32 exec_lo, exec_lo, s1
	s_mov_b32 s1, exec_lo
	s_waitcnt lgkmcnt(0)
	s_barrier
	buffer_gl0_inv
	v_cmpx_gt_u32_e32 32, v0
	s_cbranch_execz .LBB205_861
; %bb.847:
	s_and_saveexec_b32 s0, vcc_lo
	s_cbranch_execnz .LBB205_875
; %bb.848:
	s_or_b32 exec_lo, exec_lo, s0
	s_and_saveexec_b32 s0, vcc_lo
	s_cbranch_execnz .LBB205_876
.LBB205_849:
	s_or_b32 exec_lo, exec_lo, s0
	s_and_saveexec_b32 s0, vcc_lo
	s_cbranch_execnz .LBB205_877
.LBB205_850:
	s_or_b32 exec_lo, exec_lo, s0
	s_and_saveexec_b32 s0, vcc_lo
	s_cbranch_execnz .LBB205_878
.LBB205_851:
	s_or_b32 exec_lo, exec_lo, s0
	s_and_saveexec_b32 s0, vcc_lo
	s_cbranch_execnz .LBB205_879
.LBB205_852:
	s_or_b32 exec_lo, exec_lo, s0
	s_and_saveexec_b32 s0, vcc_lo
	s_cbranch_execnz .LBB205_880
.LBB205_853:
	s_or_b32 exec_lo, exec_lo, s0
	s_and_saveexec_b32 s0, vcc_lo
	s_cbranch_execnz .LBB205_881
.LBB205_854:
	s_or_b32 exec_lo, exec_lo, s0
	s_and_saveexec_b32 s0, vcc_lo
	s_cbranch_execnz .LBB205_882
.LBB205_855:
	s_or_b32 exec_lo, exec_lo, s0
	s_and_saveexec_b32 s0, vcc_lo
	s_cbranch_execnz .LBB205_883
.LBB205_856:
	s_or_b32 exec_lo, exec_lo, s0
	s_and_saveexec_b32 s0, vcc_lo
	s_cbranch_execnz .LBB205_884
.LBB205_857:
	s_or_b32 exec_lo, exec_lo, s0
	s_and_saveexec_b32 s0, vcc_lo
	s_cbranch_execnz .LBB205_885
.LBB205_858:
	s_or_b32 exec_lo, exec_lo, s0
	s_and_saveexec_b32 s0, vcc_lo
	s_cbranch_execz .LBB205_860
.LBB205_859:
	ds_read_b32 v13, v13 offset:704
	s_waitcnt lgkmcnt(0)
	v_add_f32_e32 v12, v12, v13
.LBB205_860:
	s_or_b32 exec_lo, exec_lo, s0
.LBB205_861:
	s_or_b32 exec_lo, exec_lo, s1
	s_barrier
	buffer_gl0_inv
	s_mov_b32 s0, exec_lo
	v_cmpx_eq_u32_e32 0, v15
	s_cbranch_execz .LBB205_863
; %bb.862:
	s_mul_i32 s0, s2, 0xc0
	s_mul_i32 s2, s7, s10
	s_ashr_i32 s1, s0, 31
	v_lshlrev_b32_e32 v0, 1, v0
	s_lshl_b64 s[0:1], s[0:1], 2
	s_add_u32 s4, s24, s0
	s_addc_u32 s5, s25, s1
	s_ashr_i32 s3, s2, 31
	s_lshl_b64 s[0:1], s[2:3], 2
	s_mul_i32 s2, s8, 0xc0
	s_add_u32 s4, s4, s0
	s_addc_u32 s5, s5, s1
	s_ashr_i32 s3, s2, 31
	s_lshl_b64 s[0:1], s[2:3], 2
	s_add_u32 s0, s4, s0
	s_addc_u32 s1, s5, s1
	global_store_dword v0, v1, s[0:1]
	global_store_dword v0, v2, s[0:1] offset:64
	global_store_dword v0, v3, s[0:1] offset:128
	;; [unrolled: 1-line block ×11, first 2 shown]
.LBB205_863:
	s_endpgm
.LBB205_864:
	ds_read_b32 v15, v13
	s_waitcnt lgkmcnt(0)
	v_add_f32_e32 v1, v1, v15
	s_or_b32 exec_lo, exec_lo, s0
	s_and_saveexec_b32 s0, vcc_lo
	s_cbranch_execz .LBB205_832
.LBB205_865:
	ds_read_b32 v15, v13 offset:64
	s_waitcnt lgkmcnt(0)
	v_add_f32_e32 v2, v2, v15
	s_or_b32 exec_lo, exec_lo, s0
	s_and_saveexec_b32 s0, vcc_lo
	s_cbranch_execz .LBB205_833
.LBB205_866:
	ds_read_b32 v15, v13 offset:128
	s_waitcnt lgkmcnt(0)
	v_add_f32_e32 v3, v3, v15
	s_or_b32 exec_lo, exec_lo, s0
	s_and_saveexec_b32 s0, vcc_lo
	s_cbranch_execz .LBB205_834
.LBB205_867:
	ds_read_b32 v15, v13 offset:192
	s_waitcnt lgkmcnt(0)
	v_add_f32_e32 v4, v4, v15
	s_or_b32 exec_lo, exec_lo, s0
	s_and_saveexec_b32 s0, vcc_lo
	s_cbranch_execz .LBB205_835
.LBB205_868:
	ds_read_b32 v15, v13 offset:256
	s_waitcnt lgkmcnt(0)
	v_add_f32_e32 v5, v5, v15
	s_or_b32 exec_lo, exec_lo, s0
	s_and_saveexec_b32 s0, vcc_lo
	s_cbranch_execz .LBB205_836
.LBB205_869:
	ds_read_b32 v15, v13 offset:320
	s_waitcnt lgkmcnt(0)
	v_add_f32_e32 v6, v6, v15
	s_or_b32 exec_lo, exec_lo, s0
	s_and_saveexec_b32 s0, vcc_lo
	s_cbranch_execz .LBB205_837
.LBB205_870:
	ds_read_b32 v15, v13 offset:384
	s_waitcnt lgkmcnt(0)
	v_add_f32_e32 v7, v7, v15
	s_or_b32 exec_lo, exec_lo, s0
	s_and_saveexec_b32 s0, vcc_lo
	s_cbranch_execz .LBB205_838
.LBB205_871:
	ds_read_b32 v15, v13 offset:448
	s_waitcnt lgkmcnt(0)
	v_add_f32_e32 v8, v8, v15
	s_or_b32 exec_lo, exec_lo, s0
	s_and_saveexec_b32 s0, vcc_lo
	s_cbranch_execz .LBB205_839
.LBB205_872:
	ds_read_b32 v15, v13 offset:512
	s_waitcnt lgkmcnt(0)
	v_add_f32_e32 v9, v9, v15
	s_or_b32 exec_lo, exec_lo, s0
	s_and_saveexec_b32 s0, vcc_lo
	s_cbranch_execz .LBB205_840
.LBB205_873:
	ds_read_b32 v15, v13 offset:576
	s_waitcnt lgkmcnt(0)
	v_add_f32_e32 v10, v10, v15
	s_or_b32 exec_lo, exec_lo, s0
	s_and_saveexec_b32 s0, vcc_lo
	s_cbranch_execz .LBB205_841
.LBB205_874:
	ds_read_b32 v15, v13 offset:640
	s_waitcnt lgkmcnt(0)
	v_add_f32_e32 v11, v11, v15
	s_or_b32 exec_lo, exec_lo, s0
	s_and_saveexec_b32 s0, vcc_lo
	s_cbranch_execnz .LBB205_842
	s_branch .LBB205_843
.LBB205_875:
	ds_read_b32 v14, v13
	s_waitcnt lgkmcnt(0)
	v_add_f32_e32 v1, v1, v14
	s_or_b32 exec_lo, exec_lo, s0
	s_and_saveexec_b32 s0, vcc_lo
	s_cbranch_execz .LBB205_849
.LBB205_876:
	ds_read_b32 v14, v13 offset:64
	s_waitcnt lgkmcnt(0)
	v_add_f32_e32 v2, v2, v14
	s_or_b32 exec_lo, exec_lo, s0
	s_and_saveexec_b32 s0, vcc_lo
	s_cbranch_execz .LBB205_850
.LBB205_877:
	ds_read_b32 v14, v13 offset:128
	s_waitcnt lgkmcnt(0)
	v_add_f32_e32 v3, v3, v14
	s_or_b32 exec_lo, exec_lo, s0
	s_and_saveexec_b32 s0, vcc_lo
	s_cbranch_execz .LBB205_851
.LBB205_878:
	ds_read_b32 v14, v13 offset:192
	s_waitcnt lgkmcnt(0)
	v_add_f32_e32 v4, v4, v14
	s_or_b32 exec_lo, exec_lo, s0
	s_and_saveexec_b32 s0, vcc_lo
	s_cbranch_execz .LBB205_852
.LBB205_879:
	ds_read_b32 v14, v13 offset:256
	s_waitcnt lgkmcnt(0)
	v_add_f32_e32 v5, v5, v14
	s_or_b32 exec_lo, exec_lo, s0
	s_and_saveexec_b32 s0, vcc_lo
	s_cbranch_execz .LBB205_853
.LBB205_880:
	ds_read_b32 v14, v13 offset:320
	s_waitcnt lgkmcnt(0)
	v_add_f32_e32 v6, v6, v14
	s_or_b32 exec_lo, exec_lo, s0
	s_and_saveexec_b32 s0, vcc_lo
	s_cbranch_execz .LBB205_854
.LBB205_881:
	ds_read_b32 v14, v13 offset:384
	s_waitcnt lgkmcnt(0)
	v_add_f32_e32 v7, v7, v14
	s_or_b32 exec_lo, exec_lo, s0
	s_and_saveexec_b32 s0, vcc_lo
	s_cbranch_execz .LBB205_855
.LBB205_882:
	ds_read_b32 v14, v13 offset:448
	s_waitcnt lgkmcnt(0)
	v_add_f32_e32 v8, v8, v14
	s_or_b32 exec_lo, exec_lo, s0
	s_and_saveexec_b32 s0, vcc_lo
	s_cbranch_execz .LBB205_856
.LBB205_883:
	ds_read_b32 v14, v13 offset:512
	s_waitcnt lgkmcnt(0)
	v_add_f32_e32 v9, v9, v14
	s_or_b32 exec_lo, exec_lo, s0
	s_and_saveexec_b32 s0, vcc_lo
	s_cbranch_execz .LBB205_857
.LBB205_884:
	ds_read_b32 v14, v13 offset:576
	s_waitcnt lgkmcnt(0)
	v_add_f32_e32 v10, v10, v14
	s_or_b32 exec_lo, exec_lo, s0
	s_and_saveexec_b32 s0, vcc_lo
	s_cbranch_execz .LBB205_858
.LBB205_885:
	ds_read_b32 v14, v13 offset:640
	s_waitcnt lgkmcnt(0)
	v_add_f32_e32 v11, v11, v14
	s_or_b32 exec_lo, exec_lo, s0
	s_and_saveexec_b32 s0, vcc_lo
	s_cbranch_execnz .LBB205_859
	s_branch .LBB205_860
	.section	.rodata,"a",@progbits
	.p2align	6, 0x0
	.amdhsa_kernel _ZN4vllm25paged_attention_v2_kernelIfhLi192ELi8ELi128ELNS_18Fp8KVCacheDataTypeE1ELb0ELi512EEEvPfS2_PT_PKS3_PKT0_S9_ifPKiSB_iPKfiiiSD_SD_iiiii
		.amdhsa_group_segment_fixed_size 800
		.amdhsa_private_segment_fixed_size 0
		.amdhsa_kernarg_size 400
		.amdhsa_user_sgpr_count 6
		.amdhsa_user_sgpr_private_segment_buffer 1
		.amdhsa_user_sgpr_dispatch_ptr 0
		.amdhsa_user_sgpr_queue_ptr 0
		.amdhsa_user_sgpr_kernarg_segment_ptr 1
		.amdhsa_user_sgpr_dispatch_id 0
		.amdhsa_user_sgpr_flat_scratch_init 0
		.amdhsa_user_sgpr_private_segment_size 0
		.amdhsa_wavefront_size32 1
		.amdhsa_uses_dynamic_stack 0
		.amdhsa_system_sgpr_private_segment_wavefront_offset 0
		.amdhsa_system_sgpr_workgroup_id_x 1
		.amdhsa_system_sgpr_workgroup_id_y 1
		.amdhsa_system_sgpr_workgroup_id_z 1
		.amdhsa_system_sgpr_workgroup_info 0
		.amdhsa_system_vgpr_workitem_id 0
		.amdhsa_next_free_vgpr 122
		.amdhsa_next_free_sgpr 42
		.amdhsa_reserve_vcc 1
		.amdhsa_reserve_flat_scratch 0
		.amdhsa_float_round_mode_32 0
		.amdhsa_float_round_mode_16_64 0
		.amdhsa_float_denorm_mode_32 3
		.amdhsa_float_denorm_mode_16_64 3
		.amdhsa_dx10_clamp 1
		.amdhsa_ieee_mode 1
		.amdhsa_fp16_overflow 0
		.amdhsa_workgroup_processor_mode 1
		.amdhsa_memory_ordered 1
		.amdhsa_forward_progress 1
		.amdhsa_shared_vgpr_count 0
		.amdhsa_exception_fp_ieee_invalid_op 0
		.amdhsa_exception_fp_denorm_src 0
		.amdhsa_exception_fp_ieee_div_zero 0
		.amdhsa_exception_fp_ieee_overflow 0
		.amdhsa_exception_fp_ieee_underflow 0
		.amdhsa_exception_fp_ieee_inexact 0
		.amdhsa_exception_int_div_zero 0
	.end_amdhsa_kernel
	.section	.text._ZN4vllm25paged_attention_v2_kernelIfhLi192ELi8ELi128ELNS_18Fp8KVCacheDataTypeE1ELb0ELi512EEEvPfS2_PT_PKS3_PKT0_S9_ifPKiSB_iPKfiiiSD_SD_iiiii,"axG",@progbits,_ZN4vllm25paged_attention_v2_kernelIfhLi192ELi8ELi128ELNS_18Fp8KVCacheDataTypeE1ELb0ELi512EEEvPfS2_PT_PKS3_PKT0_S9_ifPKiSB_iPKfiiiSD_SD_iiiii,comdat
.Lfunc_end205:
	.size	_ZN4vllm25paged_attention_v2_kernelIfhLi192ELi8ELi128ELNS_18Fp8KVCacheDataTypeE1ELb0ELi512EEEvPfS2_PT_PKS3_PKT0_S9_ifPKiSB_iPKfiiiSD_SD_iiiii, .Lfunc_end205-_ZN4vllm25paged_attention_v2_kernelIfhLi192ELi8ELi128ELNS_18Fp8KVCacheDataTypeE1ELb0ELi512EEEvPfS2_PT_PKS3_PKT0_S9_ifPKiSB_iPKfiiiSD_SD_iiiii
                                        ; -- End function
	.set _ZN4vllm25paged_attention_v2_kernelIfhLi192ELi8ELi128ELNS_18Fp8KVCacheDataTypeE1ELb0ELi512EEEvPfS2_PT_PKS3_PKT0_S9_ifPKiSB_iPKfiiiSD_SD_iiiii.num_vgpr, 122
	.set _ZN4vllm25paged_attention_v2_kernelIfhLi192ELi8ELi128ELNS_18Fp8KVCacheDataTypeE1ELb0ELi512EEEvPfS2_PT_PKS3_PKT0_S9_ifPKiSB_iPKfiiiSD_SD_iiiii.num_agpr, 0
	.set _ZN4vllm25paged_attention_v2_kernelIfhLi192ELi8ELi128ELNS_18Fp8KVCacheDataTypeE1ELb0ELi512EEEvPfS2_PT_PKS3_PKT0_S9_ifPKiSB_iPKfiiiSD_SD_iiiii.numbered_sgpr, 42
	.set _ZN4vllm25paged_attention_v2_kernelIfhLi192ELi8ELi128ELNS_18Fp8KVCacheDataTypeE1ELb0ELi512EEEvPfS2_PT_PKS3_PKT0_S9_ifPKiSB_iPKfiiiSD_SD_iiiii.num_named_barrier, 0
	.set _ZN4vllm25paged_attention_v2_kernelIfhLi192ELi8ELi128ELNS_18Fp8KVCacheDataTypeE1ELb0ELi512EEEvPfS2_PT_PKS3_PKT0_S9_ifPKiSB_iPKfiiiSD_SD_iiiii.private_seg_size, 0
	.set _ZN4vllm25paged_attention_v2_kernelIfhLi192ELi8ELi128ELNS_18Fp8KVCacheDataTypeE1ELb0ELi512EEEvPfS2_PT_PKS3_PKT0_S9_ifPKiSB_iPKfiiiSD_SD_iiiii.uses_vcc, 1
	.set _ZN4vllm25paged_attention_v2_kernelIfhLi192ELi8ELi128ELNS_18Fp8KVCacheDataTypeE1ELb0ELi512EEEvPfS2_PT_PKS3_PKT0_S9_ifPKiSB_iPKfiiiSD_SD_iiiii.uses_flat_scratch, 0
	.set _ZN4vllm25paged_attention_v2_kernelIfhLi192ELi8ELi128ELNS_18Fp8KVCacheDataTypeE1ELb0ELi512EEEvPfS2_PT_PKS3_PKT0_S9_ifPKiSB_iPKfiiiSD_SD_iiiii.has_dyn_sized_stack, 0
	.set _ZN4vllm25paged_attention_v2_kernelIfhLi192ELi8ELi128ELNS_18Fp8KVCacheDataTypeE1ELb0ELi512EEEvPfS2_PT_PKS3_PKT0_S9_ifPKiSB_iPKfiiiSD_SD_iiiii.has_recursion, 0
	.set _ZN4vllm25paged_attention_v2_kernelIfhLi192ELi8ELi128ELNS_18Fp8KVCacheDataTypeE1ELb0ELi512EEEvPfS2_PT_PKS3_PKT0_S9_ifPKiSB_iPKfiiiSD_SD_iiiii.has_indirect_call, 0
	.section	.AMDGPU.csdata,"",@progbits
; Kernel info:
; codeLenInByte = 24448
; TotalNumSgprs: 44
; NumVgprs: 122
; ScratchSize: 0
; MemoryBound: 0
; FloatMode: 240
; IeeeMode: 1
; LDSByteSize: 800 bytes/workgroup (compile time only)
; SGPRBlocks: 0
; VGPRBlocks: 15
; NumSGPRsForWavesPerEU: 44
; NumVGPRsForWavesPerEU: 122
; Occupancy: 8
; WaveLimiterHint : 1
; COMPUTE_PGM_RSRC2:SCRATCH_EN: 0
; COMPUTE_PGM_RSRC2:USER_SGPR: 6
; COMPUTE_PGM_RSRC2:TRAP_HANDLER: 0
; COMPUTE_PGM_RSRC2:TGID_X_EN: 1
; COMPUTE_PGM_RSRC2:TGID_Y_EN: 1
; COMPUTE_PGM_RSRC2:TGID_Z_EN: 1
; COMPUTE_PGM_RSRC2:TIDIG_COMP_CNT: 0
	.section	.text._ZN4vllm25paged_attention_v2_kernelIfhLi256ELi8ELi128ELNS_18Fp8KVCacheDataTypeE1ELb0ELi512EEEvPfS2_PT_PKS3_PKT0_S9_ifPKiSB_iPKfiiiSD_SD_iiiii,"axG",@progbits,_ZN4vllm25paged_attention_v2_kernelIfhLi256ELi8ELi128ELNS_18Fp8KVCacheDataTypeE1ELb0ELi512EEEvPfS2_PT_PKS3_PKT0_S9_ifPKiSB_iPKfiiiSD_SD_iiiii,comdat
	.protected	_ZN4vllm25paged_attention_v2_kernelIfhLi256ELi8ELi128ELNS_18Fp8KVCacheDataTypeE1ELb0ELi512EEEvPfS2_PT_PKS3_PKT0_S9_ifPKiSB_iPKfiiiSD_SD_iiiii ; -- Begin function _ZN4vllm25paged_attention_v2_kernelIfhLi256ELi8ELi128ELNS_18Fp8KVCacheDataTypeE1ELb0ELi512EEEvPfS2_PT_PKS3_PKT0_S9_ifPKiSB_iPKfiiiSD_SD_iiiii
	.globl	_ZN4vllm25paged_attention_v2_kernelIfhLi256ELi8ELi128ELNS_18Fp8KVCacheDataTypeE1ELb0ELi512EEEvPfS2_PT_PKS3_PKT0_S9_ifPKiSB_iPKfiiiSD_SD_iiiii
	.p2align	8
	.type	_ZN4vllm25paged_attention_v2_kernelIfhLi256ELi8ELi128ELNS_18Fp8KVCacheDataTypeE1ELb0ELi512EEEvPfS2_PT_PKS3_PKT0_S9_ifPKiSB_iPKfiiiSD_SD_iiiii,@function
_ZN4vllm25paged_attention_v2_kernelIfhLi256ELi8ELi128ELNS_18Fp8KVCacheDataTypeE1ELb0ELi512EEEvPfS2_PT_PKS3_PKT0_S9_ifPKiSB_iPKfiiiSD_SD_iiiii: ; @_ZN4vllm25paged_attention_v2_kernelIfhLi256ELi8ELi128ELNS_18Fp8KVCacheDataTypeE1ELb0ELi512EEEvPfS2_PT_PKS3_PKT0_S9_ifPKiSB_iPKfiiiSD_SD_iiiii
; %bb.0:
	s_mov_b64 s[46:47], s[2:3]
	s_mov_b64 s[44:45], s[0:1]
	s_load_dwordx2 s[0:1], s[4:5], 0x40
	s_add_u32 s44, s44, s9
	s_addc_u32 s45, s45, 0
	s_mov_b32 s26, s7
	s_ashr_i32 s27, s7, 31
	s_lshl_b64 s[2:3], s[26:27], 2
	s_waitcnt lgkmcnt(0)
	s_add_u32 s0, s0, s2
	s_addc_u32 s1, s1, s3
	s_lshl_b32 s33, s8, 9
	s_load_dword s27, s[0:1], 0x0
	s_waitcnt lgkmcnt(0)
	s_cmp_ge_i32 s33, s27
	s_cbranch_scc1 .LBB206_1135
; %bb.1:
	s_clause 0x1
	s_load_dword s9, s[4:5], 0x90
	s_load_dwordx2 s[36:37], s[4:5], 0x30
	v_mov_b32_e32 v44, v0
	s_waitcnt lgkmcnt(0)
	s_abs_i32 s3, s9
	s_abs_i32 s0, s36
	v_cvt_f32_u32_e32 v0, s0
	s_sub_i32 s2, 0, s0
	v_rcp_iflag_f32_e32 v0, v0
	v_mul_f32_e32 v0, 0x4f7ffffe, v0
	v_cvt_u32_f32_e32 v0, v0
	v_readfirstlane_b32 s1, v0
	s_mul_i32 s2, s2, s1
	s_mul_hi_u32 s2, s1, s2
	s_add_i32 s1, s1, s2
	s_xor_b32 s2, s9, s36
	s_mul_hi_u32 s1, s3, s1
	s_ashr_i32 s2, s2, 31
	s_mul_i32 s7, s1, s0
	s_mov_b32 s36, 0
	s_sub_i32 s3, s3, s7
	s_add_i32 s7, s1, 1
	s_sub_i32 s10, s3, s0
	s_cmp_ge_u32 s3, s0
	s_cselect_b32 s1, s7, s1
	s_cselect_b32 s3, s10, s3
	s_add_i32 s7, s1, 1
	s_cmp_ge_u32 s3, s0
	s_cselect_b32 s0, s7, s1
	s_abs_i32 s16, s6
	s_xor_b32 s0, s0, s2
	s_sub_i32 s10, s0, s2
	s_load_dwordx2 s[0:1], s[4:5], 0x50
	s_abs_i32 s2, s10
	v_cvt_f32_u32_e32 v0, s2
	s_sub_i32 s7, 0, s2
	v_rcp_iflag_f32_e32 v0, v0
	v_mul_f32_e32 v0, 0x4f7ffffe, v0
	v_cvt_u32_f32_e32 v0, v0
	v_readfirstlane_b32 s3, v0
	s_mul_i32 s7, s7, s3
	s_mul_hi_u32 s7, s3, s7
	s_add_i32 s3, s3, s7
	s_waitcnt lgkmcnt(0)
	s_cmp_eq_u64 s[0:1], 0
	s_mul_hi_u32 s3, s16, s3
	s_cbranch_scc1 .LBB206_3
; %bb.2:
	s_ashr_i32 s7, s6, 31
	s_lshl_b64 s[12:13], s[6:7], 2
	s_add_u32 s0, s0, s12
	s_addc_u32 s1, s1, s13
	s_load_dword s36, s[0:1], 0x0
.LBB206_3:
	s_clause 0x1
	s_load_dword s7, s[4:5], 0x98
	s_load_dwordx4 s[12:15], s[4:5], 0x58
	v_and_b32_e32 v0, 3, v44
	v_lshlrev_b32_e32 v12, 2, v44
	s_ashr_i32 s17, s6, 31
	s_ashr_i32 s18, s10, 31
	s_lshl_b32 s10, s6, 8
	s_waitcnt lgkmcnt(0)
	s_mov_b32 s15, exec_lo
	v_cmpx_gt_u32_e32 0x100, v44
	s_cbranch_execz .LBB206_6
; %bb.4:
	s_load_dwordx2 s[0:1], s[4:5], 0x18
	s_mul_i32 s20, s12, s26
	v_and_b32_e32 v1, 0x3fc, v44
	s_ashr_i32 s21, s20, 31
	v_cmp_gt_u32_e32 vcc_lo, 0x80, v44
	s_lshl_b64 s[20:21], s[20:21], 2
	v_lshl_add_u32 v1, v0, 8, v1
	s_waitcnt lgkmcnt(0)
	s_add_u32 s12, s0, s20
	s_addc_u32 s19, s1, s21
	s_ashr_i32 s11, s10, 31
	s_lshl_b64 s[0:1], s[10:11], 2
	s_add_u32 s0, s12, s0
	s_addc_u32 s1, s19, s1
	global_load_dword v2, v12, s[0:1]
	s_waitcnt vmcnt(0)
	ds_write_b32 v1, v2
	s_and_b32 exec_lo, exec_lo, vcc_lo
	s_cbranch_execz .LBB206_6
; %bb.5:
	v_lshrrev_b32_e32 v2, 2, v44
	v_lshlrev_b32_e32 v3, 2, v0
	v_lshlrev_b32_e32 v2, 4, v2
	v_or3_b32 v2, v2, v3, 0x200
	global_load_dword v2, v2, s[0:1]
	s_waitcnt vmcnt(0)
	ds_write_b32 v1, v2 offset:128
.LBB206_6:
	s_or_b32 exec_lo, exec_lo, s15
	s_add_i32 s0, s27, 7
	s_xor_b32 s17, s17, s18
	s_ashr_i32 s1, s0, 31
	s_clause 0x1
	s_load_dwordx2 s[28:29], s[4:5], 0x38
	s_load_dword s18, s[4:5], 0x48
	s_lshr_b32 s1, s1, 29
	s_lshl_b32 s15, s8, 6
	s_add_i32 s0, s0, s1
	s_add_i32 s1, s15, 64
	s_ashr_i32 s12, s0, 3
	s_mul_i32 s0, s3, s2
	s_min_i32 s11, s1, s12
	s_sub_i32 s0, s16, s0
	s_add_i32 s1, s3, 1
	s_sub_i32 s16, s0, s2
	s_cmp_ge_u32 s0, s2
	v_lshrrev_b32_e32 v45, 5, v44
	s_cselect_b32 s1, s1, s3
	s_cselect_b32 s0, s16, s0
	s_add_i32 s3, s1, 1
	s_cmp_ge_u32 s0, s2
	v_or_b32_e32 v52, s15, v45
	s_cselect_b32 s0, s3, s1
	v_mbcnt_lo_u32_b32 v36, -1, 0
	s_xor_b32 s0, s0, s17
	s_waitcnt lgkmcnt(0)
	s_mul_i32 s30, s18, s26
	s_sub_i32 s1, s0, s17
	v_cmp_gt_i32_e64 s0, s11, v52
	s_ashr_i32 s31, s30, 31
	s_mov_b32 s2, exec_lo
	s_barrier
	buffer_gl0_inv
                                        ; implicit-def: $vgpr68
                                        ; implicit-def: $vgpr9
	v_cmpx_le_i32_e64 s11, v52
	s_xor_b32 s2, exec_lo, s2
; %bb.7:
	v_mov_b32_e32 v68, 0
	v_mbcnt_lo_u32_b32 v36, -1, 0
	v_mov_b32_e32 v9, 32
                                        ; implicit-def: $vgpr0
; %bb.8:
	s_or_saveexec_b32 s38, s2
	s_clause 0x3
	s_load_dwordx4 s[20:23], s[4:5], 0x0
	s_load_dwordx2 s[24:25], s[4:5], 0x10
	s_load_dwordx2 s[34:35], s[4:5], 0x28
	s_load_dwordx4 s[16:19], s[4:5], 0x68
	v_mov_b32_e32 v3, 0xff7fffff
	v_ashrrev_i32_e32 v53, 31, v52
	s_mul_i32 s14, s1, s14
	s_xor_b32 exec_lo, exec_lo, s38
	s_cbranch_execz .LBB206_526
; %bb.9:
	s_load_dwordx2 s[2:3], s[4:5], 0x20
	v_xor_b32_e32 v33, 2, v36
	v_xor_b32_e32 v34, 1, v36
	v_bfe_u32 v65, v44, 2, 3
	v_lshlrev_b32_e32 v61, 8, v0
	buffer_store_dword v44, off, s[44:47], 0 offset:76 ; 4-byte Folded Spill
	v_cmp_gt_i32_e32 vcc_lo, 32, v33
	s_ashr_i32 s1, s14, 31
	v_lshlrev_b32_e32 v35, 4, v65
	buffer_store_dword v12, off, s[44:47], 0 offset:92 ; 4-byte Folded Spill
	ds_read_b128 v[1:4], v61
	ds_read_b128 v[5:8], v61 offset:16
	ds_read_b128 v[9:12], v61 offset:32
	;; [unrolled: 1-line block ×7, first 2 shown]
	v_cndmask_b32_e32 v41, v36, v33, vcc_lo
	v_cmp_gt_i32_e32 vcc_lo, 32, v34
	buffer_store_dword v36, off, s[44:47], 0 offset:96 ; 4-byte Folded Spill
	v_mov_b32_e32 v70, v53
	v_lshlrev_b32_e32 v66, 3, v45
	v_lshlrev_b32_e32 v41, 2, v41
	v_cndmask_b32_e32 v44, v36, v34, vcc_lo
	v_cmp_eq_u32_e32 vcc_lo, 0, v0
	v_mov_b32_e32 v69, v52
	s_waitcnt lgkmcnt(0)
	s_add_u32 s2, s2, s14
	s_addc_u32 s1, s3, s1
	v_add_co_u32 v42, s2, s2, v35
	ds_read_b128 v[33:36], v61 offset:128
	ds_read_b128 v[37:40], v61 offset:144
	buffer_store_dword v41, off, s[44:47], 0 offset:60 ; 4-byte Folded Spill
	v_lshlrev_b32_e32 v41, 2, v44
	v_add_co_ci_u32_e64 v43, null, s1, 0, s2
	v_add_co_u32 v42, s2, v42, v0
	buffer_store_dword v41, off, s[44:47], 0 offset:64 ; 4-byte Folded Spill
	v_lshlrev_b32_e32 v41, 2, v65
	v_add_co_ci_u32_e64 v43, null, 0, v43, s2
	s_load_dword s4, s[16:17], 0x0
	buffer_store_dword v42, off, s[44:47], 0 offset:68 ; 4-byte Folded Spill
	buffer_store_dword v43, off, s[44:47], 0 offset:72 ; 4-byte Folded Spill
	;; [unrolled: 1-line block ×3, first 2 shown]
	v_lshl_or_b32 v0, v45, 5, v41
	ds_read_b128 v[41:44], v61 offset:160
	ds_read_b128 v[45:48], v61 offset:176
	ds_read_b128 v[49:52], v61 offset:192
	ds_read_b128 v[53:56], v61 offset:208
	ds_read_b128 v[57:60], v61 offset:224
	ds_read_b128 v[61:64], v61 offset:240
	v_add3_u32 v84, s33, v66, v65
	v_lshlrev_b64 v[65:66], 2, v[69:70]
	v_add_nc_u32_e32 v85, 0x420, v0
	v_mov_b32_e32 v0, 0xff7fffff
	s_lshl_b64 s[2:3], s[30:31], 2
	s_sub_i32 s5, 1, s27
	s_add_u32 s2, s28, s2
	s_addc_u32 s3, s29, s3
	buffer_store_dword v0, off, s[44:47], 0 offset:56 ; 4-byte Folded Spill
	buffer_store_dword v69, off, s[44:47], 0 offset:84 ; 4-byte Folded Spill
	buffer_store_dword v70, off, s[44:47], 0 offset:88 ; 4-byte Folded Spill
	v_add_co_u32 v71, s2, s2, v65
	v_mov_b32_e32 v68, 0
	v_cmp_neq_f32_e64 s1, s36, 0
	v_add_co_ci_u32_e64 v72, null, s3, v66, s2
	v_mov_b32_e32 v86, 0x7f
	v_mov_b32_e32 v87, 7
	s_mov_b32 s17, s13
	s_mov_b32 s16, 0
	v_mov_b32_e32 v88, v69
	s_branch .LBB206_11
.LBB206_10:                             ;   in Loop: Header=BB206_11 Depth=1
	s_or_b32 exec_lo, exec_lo, s3
	v_add_nc_u32_e32 v88, 4, v88
	v_add_co_u32 v71, s3, v71, 16
	v_add_nc_u32_e32 v84, 32, v84
	v_add_nc_u32_e32 v85, 0x80, v85
	v_cmp_le_i32_e64 s2, s11, v88
	v_add_co_ci_u32_e64 v72, null, 0, v72, s3
	s_or_b32 s16, s2, s16
	s_andn2_b32 exec_lo, exec_lo, s16
	s_cbranch_execz .LBB206_525
.LBB206_11:                             ; =>This Inner Loop Header: Depth=1
	global_load_dword v0, v[71:72], off
	s_waitcnt lgkmcnt(0)
	s_clause 0x1
	buffer_load_dword v65, off, s[44:47], 0 offset:68
	buffer_load_dword v66, off, s[44:47], 0 offset:72
	s_mov_b32 s3, exec_lo
	s_waitcnt vmcnt(0)
	v_mad_i64_i32 v[73:74], null, v0, s17, v[65:66]
	v_mov_b32_e32 v65, 0
	buffer_store_dword v65, off, s[44:47], 0 ; 4-byte Folded Spill
	global_load_ubyte v0, v[73:74], off
	v_mov_b32_e32 v65, 0
	buffer_store_dword v65, off, s[44:47], 0 offset:4 ; 4-byte Folded Spill
	s_waitcnt vmcnt(0)
	v_cmpx_ne_u16_e32 0, v0
	s_cbranch_execz .LBB206_19
; %bb.12:                               ;   in Loop: Header=BB206_11 Depth=1
	v_bfrev_b32_e32 v65, 1
	s_mov_b32 s39, exec_lo
	buffer_store_dword v65, off, s[44:47], 0 offset:4 ; 4-byte Folded Spill
	v_cmpx_ne_u16_e32 0x80, v0
	s_cbranch_execz .LBB206_18
; %bb.13:                               ;   in Loop: Header=BB206_11 Depth=1
	v_and_b32_sdwa v66, v0, v86 dst_sel:DWORD dst_unused:UNUSED_PAD src0_sel:WORD_0 src1_sel:DWORD
	v_mov_b32_e32 v65, 0x7f800001
	s_mov_b32 s40, exec_lo
	buffer_store_dword v65, off, s[44:47], 0 offset:4 ; 4-byte Folded Spill
	v_cmpx_ne_u32_e32 0x7f, v66
	s_cbranch_execz .LBB206_17
; %bb.14:                               ;   in Loop: Header=BB206_11 Depth=1
	v_and_b32_sdwa v67, v0, v87 dst_sel:DWORD dst_unused:UNUSED_PAD src0_sel:WORD_0 src1_sel:DWORD
	v_lshrrev_b32_e32 v65, 3, v66
	s_mov_b32 s41, exec_lo
	v_cmpx_gt_u32_e32 8, v66
; %bb.15:                               ;   in Loop: Header=BB206_11 Depth=1
	v_ffbh_u32_e32 v65, v67
	v_min_u32_e32 v65, 32, v65
	v_subrev_nc_u32_e32 v66, 28, v65
	v_sub_nc_u32_e32 v65, 29, v65
	v_lshlrev_b64 v[66:67], v66, v[67:68]
	v_and_b32_e32 v67, 7, v66
; %bb.16:                               ;   in Loop: Header=BB206_11 Depth=1
	s_or_b32 exec_lo, exec_lo, s41
	v_lshlrev_b32_e32 v0, 24, v0
	v_lshlrev_b32_e32 v66, 20, v67
	v_lshl_add_u32 v65, v65, 23, 0x3c000000
	v_and_b32_e32 v0, 0x80000000, v0
	v_or3_b32 v0, v66, v0, v65
	buffer_store_dword v0, off, s[44:47], 0 offset:4 ; 4-byte Folded Spill
.LBB206_17:                             ;   in Loop: Header=BB206_11 Depth=1
	s_or_b32 exec_lo, exec_lo, s40
.LBB206_18:                             ;   in Loop: Header=BB206_11 Depth=1
	s_or_b32 exec_lo, exec_lo, s39
.LBB206_19:                             ;   in Loop: Header=BB206_11 Depth=1
	s_or_b32 exec_lo, exec_lo, s3
	global_load_ubyte v0, v[73:74], off offset:4
	s_mov_b32 s3, exec_lo
	s_waitcnt vmcnt(0)
	v_cmpx_ne_u16_e32 0, v0
	s_cbranch_execz .LBB206_27
; %bb.20:                               ;   in Loop: Header=BB206_11 Depth=1
	v_bfrev_b32_e32 v65, 1
	s_mov_b32 s39, exec_lo
	buffer_store_dword v65, off, s[44:47], 0 ; 4-byte Folded Spill
	v_cmpx_ne_u16_e32 0x80, v0
	s_cbranch_execz .LBB206_26
; %bb.21:                               ;   in Loop: Header=BB206_11 Depth=1
	v_and_b32_sdwa v66, v0, v86 dst_sel:DWORD dst_unused:UNUSED_PAD src0_sel:WORD_0 src1_sel:DWORD
	v_mov_b32_e32 v65, 0x7f800001
	s_mov_b32 s40, exec_lo
	buffer_store_dword v65, off, s[44:47], 0 ; 4-byte Folded Spill
	v_cmpx_ne_u32_e32 0x7f, v66
	s_cbranch_execz .LBB206_25
; %bb.22:                               ;   in Loop: Header=BB206_11 Depth=1
	v_and_b32_sdwa v67, v0, v87 dst_sel:DWORD dst_unused:UNUSED_PAD src0_sel:WORD_0 src1_sel:DWORD
	v_lshrrev_b32_e32 v65, 3, v66
	s_mov_b32 s41, exec_lo
	v_cmpx_gt_u32_e32 8, v66
; %bb.23:                               ;   in Loop: Header=BB206_11 Depth=1
	v_ffbh_u32_e32 v65, v67
	v_min_u32_e32 v65, 32, v65
	v_subrev_nc_u32_e32 v66, 28, v65
	v_sub_nc_u32_e32 v65, 29, v65
	v_lshlrev_b64 v[66:67], v66, v[67:68]
	v_and_b32_e32 v67, 7, v66
; %bb.24:                               ;   in Loop: Header=BB206_11 Depth=1
	s_or_b32 exec_lo, exec_lo, s41
	v_lshlrev_b32_e32 v0, 24, v0
	v_lshlrev_b32_e32 v66, 20, v67
	v_lshl_add_u32 v65, v65, 23, 0x3c000000
	v_and_b32_e32 v0, 0x80000000, v0
	v_or3_b32 v0, v66, v0, v65
	buffer_store_dword v0, off, s[44:47], 0 ; 4-byte Folded Spill
.LBB206_25:                             ;   in Loop: Header=BB206_11 Depth=1
	s_or_b32 exec_lo, exec_lo, s40
.LBB206_26:                             ;   in Loop: Header=BB206_11 Depth=1
	s_or_b32 exec_lo, exec_lo, s39
.LBB206_27:                             ;   in Loop: Header=BB206_11 Depth=1
	s_or_b32 exec_lo, exec_lo, s3
	global_load_ubyte v0, v[73:74], off offset:8
	v_mov_b32_e32 v65, 0
	s_mov_b32 s3, exec_lo
	buffer_store_dword v65, off, s[44:47], 0 offset:8 ; 4-byte Folded Spill
	v_mov_b32_e32 v65, 0
	buffer_store_dword v65, off, s[44:47], 0 offset:12 ; 4-byte Folded Spill
	s_waitcnt vmcnt(0)
	v_cmpx_ne_u16_e32 0, v0
	s_cbranch_execz .LBB206_35
; %bb.28:                               ;   in Loop: Header=BB206_11 Depth=1
	v_bfrev_b32_e32 v65, 1
	s_mov_b32 s39, exec_lo
	buffer_store_dword v65, off, s[44:47], 0 offset:12 ; 4-byte Folded Spill
	v_cmpx_ne_u16_e32 0x80, v0
	s_cbranch_execz .LBB206_34
; %bb.29:                               ;   in Loop: Header=BB206_11 Depth=1
	v_and_b32_sdwa v66, v0, v86 dst_sel:DWORD dst_unused:UNUSED_PAD src0_sel:WORD_0 src1_sel:DWORD
	v_mov_b32_e32 v65, 0x7f800001
	s_mov_b32 s40, exec_lo
	buffer_store_dword v65, off, s[44:47], 0 offset:12 ; 4-byte Folded Spill
	v_cmpx_ne_u32_e32 0x7f, v66
	s_cbranch_execz .LBB206_33
; %bb.30:                               ;   in Loop: Header=BB206_11 Depth=1
	v_and_b32_sdwa v67, v0, v87 dst_sel:DWORD dst_unused:UNUSED_PAD src0_sel:WORD_0 src1_sel:DWORD
	v_lshrrev_b32_e32 v65, 3, v66
	s_mov_b32 s41, exec_lo
	v_cmpx_gt_u32_e32 8, v66
; %bb.31:                               ;   in Loop: Header=BB206_11 Depth=1
	v_ffbh_u32_e32 v65, v67
	v_min_u32_e32 v65, 32, v65
	v_subrev_nc_u32_e32 v66, 28, v65
	v_sub_nc_u32_e32 v65, 29, v65
	v_lshlrev_b64 v[66:67], v66, v[67:68]
	v_and_b32_e32 v67, 7, v66
; %bb.32:                               ;   in Loop: Header=BB206_11 Depth=1
	s_or_b32 exec_lo, exec_lo, s41
	v_lshlrev_b32_e32 v0, 24, v0
	v_lshlrev_b32_e32 v66, 20, v67
	v_lshl_add_u32 v65, v65, 23, 0x3c000000
	v_and_b32_e32 v0, 0x80000000, v0
	v_or3_b32 v0, v66, v0, v65
	buffer_store_dword v0, off, s[44:47], 0 offset:12 ; 4-byte Folded Spill
.LBB206_33:                             ;   in Loop: Header=BB206_11 Depth=1
	s_or_b32 exec_lo, exec_lo, s40
.LBB206_34:                             ;   in Loop: Header=BB206_11 Depth=1
	s_or_b32 exec_lo, exec_lo, s39
.LBB206_35:                             ;   in Loop: Header=BB206_11 Depth=1
	s_or_b32 exec_lo, exec_lo, s3
	global_load_ubyte v0, v[73:74], off offset:12
	s_mov_b32 s3, exec_lo
	s_waitcnt vmcnt(0)
	v_cmpx_ne_u16_e32 0, v0
	s_cbranch_execz .LBB206_43
; %bb.36:                               ;   in Loop: Header=BB206_11 Depth=1
	v_bfrev_b32_e32 v65, 1
	s_mov_b32 s39, exec_lo
	buffer_store_dword v65, off, s[44:47], 0 offset:8 ; 4-byte Folded Spill
	v_cmpx_ne_u16_e32 0x80, v0
	s_cbranch_execz .LBB206_42
; %bb.37:                               ;   in Loop: Header=BB206_11 Depth=1
	v_and_b32_sdwa v66, v0, v86 dst_sel:DWORD dst_unused:UNUSED_PAD src0_sel:WORD_0 src1_sel:DWORD
	v_mov_b32_e32 v65, 0x7f800001
	s_mov_b32 s40, exec_lo
	buffer_store_dword v65, off, s[44:47], 0 offset:8 ; 4-byte Folded Spill
	v_cmpx_ne_u32_e32 0x7f, v66
	s_cbranch_execz .LBB206_41
; %bb.38:                               ;   in Loop: Header=BB206_11 Depth=1
	v_and_b32_sdwa v67, v0, v87 dst_sel:DWORD dst_unused:UNUSED_PAD src0_sel:WORD_0 src1_sel:DWORD
	v_lshrrev_b32_e32 v65, 3, v66
	s_mov_b32 s41, exec_lo
	v_cmpx_gt_u32_e32 8, v66
; %bb.39:                               ;   in Loop: Header=BB206_11 Depth=1
	v_ffbh_u32_e32 v65, v67
	v_min_u32_e32 v65, 32, v65
	v_subrev_nc_u32_e32 v66, 28, v65
	v_sub_nc_u32_e32 v65, 29, v65
	v_lshlrev_b64 v[66:67], v66, v[67:68]
	v_and_b32_e32 v67, 7, v66
; %bb.40:                               ;   in Loop: Header=BB206_11 Depth=1
	s_or_b32 exec_lo, exec_lo, s41
	v_lshlrev_b32_e32 v0, 24, v0
	v_lshlrev_b32_e32 v66, 20, v67
	v_lshl_add_u32 v65, v65, 23, 0x3c000000
	v_and_b32_e32 v0, 0x80000000, v0
	v_or3_b32 v0, v66, v0, v65
	buffer_store_dword v0, off, s[44:47], 0 offset:8 ; 4-byte Folded Spill
.LBB206_41:                             ;   in Loop: Header=BB206_11 Depth=1
	s_or_b32 exec_lo, exec_lo, s40
.LBB206_42:                             ;   in Loop: Header=BB206_11 Depth=1
	s_or_b32 exec_lo, exec_lo, s39
.LBB206_43:                             ;   in Loop: Header=BB206_11 Depth=1
	s_or_b32 exec_lo, exec_lo, s3
	global_load_ubyte v0, v[73:74], off offset:128
	v_mov_b32_e32 v65, 0
	s_mov_b32 s3, exec_lo
	buffer_store_dword v65, off, s[44:47], 0 offset:16 ; 4-byte Folded Spill
	v_mov_b32_e32 v65, 0
	buffer_store_dword v65, off, s[44:47], 0 offset:20 ; 4-byte Folded Spill
	s_waitcnt vmcnt(0)
	v_cmpx_ne_u16_e32 0, v0
	s_cbranch_execz .LBB206_51
; %bb.44:                               ;   in Loop: Header=BB206_11 Depth=1
	v_bfrev_b32_e32 v65, 1
	s_mov_b32 s39, exec_lo
	buffer_store_dword v65, off, s[44:47], 0 offset:20 ; 4-byte Folded Spill
	v_cmpx_ne_u16_e32 0x80, v0
	s_cbranch_execz .LBB206_50
; %bb.45:                               ;   in Loop: Header=BB206_11 Depth=1
	v_and_b32_sdwa v66, v0, v86 dst_sel:DWORD dst_unused:UNUSED_PAD src0_sel:WORD_0 src1_sel:DWORD
	v_mov_b32_e32 v65, 0x7f800001
	s_mov_b32 s40, exec_lo
	buffer_store_dword v65, off, s[44:47], 0 offset:20 ; 4-byte Folded Spill
	v_cmpx_ne_u32_e32 0x7f, v66
	s_cbranch_execz .LBB206_49
; %bb.46:                               ;   in Loop: Header=BB206_11 Depth=1
	v_and_b32_sdwa v67, v0, v87 dst_sel:DWORD dst_unused:UNUSED_PAD src0_sel:WORD_0 src1_sel:DWORD
	v_lshrrev_b32_e32 v65, 3, v66
	s_mov_b32 s41, exec_lo
	v_cmpx_gt_u32_e32 8, v66
; %bb.47:                               ;   in Loop: Header=BB206_11 Depth=1
	v_ffbh_u32_e32 v65, v67
	v_min_u32_e32 v65, 32, v65
	v_subrev_nc_u32_e32 v66, 28, v65
	v_sub_nc_u32_e32 v65, 29, v65
	v_lshlrev_b64 v[66:67], v66, v[67:68]
	v_and_b32_e32 v67, 7, v66
; %bb.48:                               ;   in Loop: Header=BB206_11 Depth=1
	s_or_b32 exec_lo, exec_lo, s41
	v_lshlrev_b32_e32 v0, 24, v0
	v_lshlrev_b32_e32 v66, 20, v67
	v_lshl_add_u32 v65, v65, 23, 0x3c000000
	v_and_b32_e32 v0, 0x80000000, v0
	v_or3_b32 v0, v66, v0, v65
	buffer_store_dword v0, off, s[44:47], 0 offset:20 ; 4-byte Folded Spill
.LBB206_49:                             ;   in Loop: Header=BB206_11 Depth=1
	s_or_b32 exec_lo, exec_lo, s40
.LBB206_50:                             ;   in Loop: Header=BB206_11 Depth=1
	s_or_b32 exec_lo, exec_lo, s39
.LBB206_51:                             ;   in Loop: Header=BB206_11 Depth=1
	s_or_b32 exec_lo, exec_lo, s3
	global_load_ubyte v0, v[73:74], off offset:132
	s_mov_b32 s3, exec_lo
	s_waitcnt vmcnt(0)
	v_cmpx_ne_u16_e32 0, v0
	s_cbranch_execz .LBB206_59
; %bb.52:                               ;   in Loop: Header=BB206_11 Depth=1
	v_bfrev_b32_e32 v65, 1
	s_mov_b32 s39, exec_lo
	buffer_store_dword v65, off, s[44:47], 0 offset:16 ; 4-byte Folded Spill
	v_cmpx_ne_u16_e32 0x80, v0
	s_cbranch_execz .LBB206_58
; %bb.53:                               ;   in Loop: Header=BB206_11 Depth=1
	v_and_b32_sdwa v66, v0, v86 dst_sel:DWORD dst_unused:UNUSED_PAD src0_sel:WORD_0 src1_sel:DWORD
	v_mov_b32_e32 v65, 0x7f800001
	s_mov_b32 s40, exec_lo
	buffer_store_dword v65, off, s[44:47], 0 offset:16 ; 4-byte Folded Spill
	v_cmpx_ne_u32_e32 0x7f, v66
	s_cbranch_execz .LBB206_57
; %bb.54:                               ;   in Loop: Header=BB206_11 Depth=1
	v_and_b32_sdwa v67, v0, v87 dst_sel:DWORD dst_unused:UNUSED_PAD src0_sel:WORD_0 src1_sel:DWORD
	v_lshrrev_b32_e32 v65, 3, v66
	s_mov_b32 s41, exec_lo
	v_cmpx_gt_u32_e32 8, v66
; %bb.55:                               ;   in Loop: Header=BB206_11 Depth=1
	v_ffbh_u32_e32 v65, v67
	v_min_u32_e32 v65, 32, v65
	v_subrev_nc_u32_e32 v66, 28, v65
	v_sub_nc_u32_e32 v65, 29, v65
	v_lshlrev_b64 v[66:67], v66, v[67:68]
	v_and_b32_e32 v67, 7, v66
; %bb.56:                               ;   in Loop: Header=BB206_11 Depth=1
	s_or_b32 exec_lo, exec_lo, s41
	v_lshlrev_b32_e32 v0, 24, v0
	v_lshlrev_b32_e32 v66, 20, v67
	v_lshl_add_u32 v65, v65, 23, 0x3c000000
	v_and_b32_e32 v0, 0x80000000, v0
	v_or3_b32 v0, v66, v0, v65
	buffer_store_dword v0, off, s[44:47], 0 offset:16 ; 4-byte Folded Spill
.LBB206_57:                             ;   in Loop: Header=BB206_11 Depth=1
	s_or_b32 exec_lo, exec_lo, s40
.LBB206_58:                             ;   in Loop: Header=BB206_11 Depth=1
	s_or_b32 exec_lo, exec_lo, s39
.LBB206_59:                             ;   in Loop: Header=BB206_11 Depth=1
	s_or_b32 exec_lo, exec_lo, s3
	global_load_ubyte v0, v[73:74], off offset:136
	v_mov_b32_e32 v65, 0
	s_mov_b32 s3, exec_lo
	buffer_store_dword v65, off, s[44:47], 0 offset:24 ; 4-byte Folded Spill
	v_mov_b32_e32 v65, 0
	buffer_store_dword v65, off, s[44:47], 0 offset:28 ; 4-byte Folded Spill
	s_waitcnt vmcnt(0)
	v_cmpx_ne_u16_e32 0, v0
	s_cbranch_execz .LBB206_67
; %bb.60:                               ;   in Loop: Header=BB206_11 Depth=1
	v_bfrev_b32_e32 v65, 1
	s_mov_b32 s39, exec_lo
	buffer_store_dword v65, off, s[44:47], 0 offset:28 ; 4-byte Folded Spill
	v_cmpx_ne_u16_e32 0x80, v0
	s_cbranch_execz .LBB206_66
; %bb.61:                               ;   in Loop: Header=BB206_11 Depth=1
	v_and_b32_sdwa v66, v0, v86 dst_sel:DWORD dst_unused:UNUSED_PAD src0_sel:WORD_0 src1_sel:DWORD
	v_mov_b32_e32 v65, 0x7f800001
	s_mov_b32 s40, exec_lo
	buffer_store_dword v65, off, s[44:47], 0 offset:28 ; 4-byte Folded Spill
	v_cmpx_ne_u32_e32 0x7f, v66
	s_cbranch_execz .LBB206_65
; %bb.62:                               ;   in Loop: Header=BB206_11 Depth=1
	v_and_b32_sdwa v67, v0, v87 dst_sel:DWORD dst_unused:UNUSED_PAD src0_sel:WORD_0 src1_sel:DWORD
	v_lshrrev_b32_e32 v65, 3, v66
	s_mov_b32 s41, exec_lo
	v_cmpx_gt_u32_e32 8, v66
; %bb.63:                               ;   in Loop: Header=BB206_11 Depth=1
	v_ffbh_u32_e32 v65, v67
	v_min_u32_e32 v65, 32, v65
	v_subrev_nc_u32_e32 v66, 28, v65
	v_sub_nc_u32_e32 v65, 29, v65
	v_lshlrev_b64 v[66:67], v66, v[67:68]
	v_and_b32_e32 v67, 7, v66
; %bb.64:                               ;   in Loop: Header=BB206_11 Depth=1
	s_or_b32 exec_lo, exec_lo, s41
	v_lshlrev_b32_e32 v0, 24, v0
	v_lshlrev_b32_e32 v66, 20, v67
	v_lshl_add_u32 v65, v65, 23, 0x3c000000
	v_and_b32_e32 v0, 0x80000000, v0
	v_or3_b32 v0, v66, v0, v65
	buffer_store_dword v0, off, s[44:47], 0 offset:28 ; 4-byte Folded Spill
.LBB206_65:                             ;   in Loop: Header=BB206_11 Depth=1
	s_or_b32 exec_lo, exec_lo, s40
.LBB206_66:                             ;   in Loop: Header=BB206_11 Depth=1
	s_or_b32 exec_lo, exec_lo, s39
.LBB206_67:                             ;   in Loop: Header=BB206_11 Depth=1
	s_or_b32 exec_lo, exec_lo, s3
	global_load_ubyte v0, v[73:74], off offset:140
	s_mov_b32 s3, exec_lo
	s_waitcnt vmcnt(0)
	v_cmpx_ne_u16_e32 0, v0
	s_cbranch_execz .LBB206_75
; %bb.68:                               ;   in Loop: Header=BB206_11 Depth=1
	v_bfrev_b32_e32 v65, 1
	s_mov_b32 s39, exec_lo
	buffer_store_dword v65, off, s[44:47], 0 offset:24 ; 4-byte Folded Spill
	v_cmpx_ne_u16_e32 0x80, v0
	s_cbranch_execz .LBB206_74
; %bb.69:                               ;   in Loop: Header=BB206_11 Depth=1
	v_and_b32_sdwa v66, v0, v86 dst_sel:DWORD dst_unused:UNUSED_PAD src0_sel:WORD_0 src1_sel:DWORD
	v_mov_b32_e32 v65, 0x7f800001
	s_mov_b32 s40, exec_lo
	buffer_store_dword v65, off, s[44:47], 0 offset:24 ; 4-byte Folded Spill
	v_cmpx_ne_u32_e32 0x7f, v66
	s_cbranch_execz .LBB206_73
; %bb.70:                               ;   in Loop: Header=BB206_11 Depth=1
	v_and_b32_sdwa v67, v0, v87 dst_sel:DWORD dst_unused:UNUSED_PAD src0_sel:WORD_0 src1_sel:DWORD
	v_lshrrev_b32_e32 v65, 3, v66
	s_mov_b32 s41, exec_lo
	v_cmpx_gt_u32_e32 8, v66
; %bb.71:                               ;   in Loop: Header=BB206_11 Depth=1
	v_ffbh_u32_e32 v65, v67
	v_min_u32_e32 v65, 32, v65
	v_subrev_nc_u32_e32 v66, 28, v65
	v_sub_nc_u32_e32 v65, 29, v65
	v_lshlrev_b64 v[66:67], v66, v[67:68]
	v_and_b32_e32 v67, 7, v66
; %bb.72:                               ;   in Loop: Header=BB206_11 Depth=1
	s_or_b32 exec_lo, exec_lo, s41
	v_lshlrev_b32_e32 v0, 24, v0
	v_lshlrev_b32_e32 v66, 20, v67
	v_lshl_add_u32 v65, v65, 23, 0x3c000000
	v_and_b32_e32 v0, 0x80000000, v0
	v_or3_b32 v0, v66, v0, v65
	buffer_store_dword v0, off, s[44:47], 0 offset:24 ; 4-byte Folded Spill
.LBB206_73:                             ;   in Loop: Header=BB206_11 Depth=1
	s_or_b32 exec_lo, exec_lo, s40
.LBB206_74:                             ;   in Loop: Header=BB206_11 Depth=1
	s_or_b32 exec_lo, exec_lo, s39
.LBB206_75:                             ;   in Loop: Header=BB206_11 Depth=1
	s_or_b32 exec_lo, exec_lo, s3
	global_load_ubyte v0, v[73:74], off offset:256
	v_mov_b32_e32 v65, 0
	s_mov_b32 s3, exec_lo
	buffer_store_dword v65, off, s[44:47], 0 offset:32 ; 4-byte Folded Spill
	v_mov_b32_e32 v65, 0
	buffer_store_dword v65, off, s[44:47], 0 offset:36 ; 4-byte Folded Spill
	s_waitcnt vmcnt(0)
	v_cmpx_ne_u16_e32 0, v0
	s_cbranch_execz .LBB206_83
; %bb.76:                               ;   in Loop: Header=BB206_11 Depth=1
	v_bfrev_b32_e32 v65, 1
	s_mov_b32 s39, exec_lo
	buffer_store_dword v65, off, s[44:47], 0 offset:36 ; 4-byte Folded Spill
	v_cmpx_ne_u16_e32 0x80, v0
	s_cbranch_execz .LBB206_82
; %bb.77:                               ;   in Loop: Header=BB206_11 Depth=1
	v_and_b32_sdwa v66, v0, v86 dst_sel:DWORD dst_unused:UNUSED_PAD src0_sel:WORD_0 src1_sel:DWORD
	v_mov_b32_e32 v65, 0x7f800001
	s_mov_b32 s40, exec_lo
	buffer_store_dword v65, off, s[44:47], 0 offset:36 ; 4-byte Folded Spill
	v_cmpx_ne_u32_e32 0x7f, v66
	s_cbranch_execz .LBB206_81
; %bb.78:                               ;   in Loop: Header=BB206_11 Depth=1
	v_and_b32_sdwa v67, v0, v87 dst_sel:DWORD dst_unused:UNUSED_PAD src0_sel:WORD_0 src1_sel:DWORD
	v_lshrrev_b32_e32 v65, 3, v66
	s_mov_b32 s41, exec_lo
	v_cmpx_gt_u32_e32 8, v66
; %bb.79:                               ;   in Loop: Header=BB206_11 Depth=1
	v_ffbh_u32_e32 v65, v67
	v_min_u32_e32 v65, 32, v65
	v_subrev_nc_u32_e32 v66, 28, v65
	v_sub_nc_u32_e32 v65, 29, v65
	v_lshlrev_b64 v[66:67], v66, v[67:68]
	v_and_b32_e32 v67, 7, v66
; %bb.80:                               ;   in Loop: Header=BB206_11 Depth=1
	s_or_b32 exec_lo, exec_lo, s41
	v_lshlrev_b32_e32 v0, 24, v0
	v_lshlrev_b32_e32 v66, 20, v67
	v_lshl_add_u32 v65, v65, 23, 0x3c000000
	v_and_b32_e32 v0, 0x80000000, v0
	v_or3_b32 v0, v66, v0, v65
	buffer_store_dword v0, off, s[44:47], 0 offset:36 ; 4-byte Folded Spill
.LBB206_81:                             ;   in Loop: Header=BB206_11 Depth=1
	s_or_b32 exec_lo, exec_lo, s40
.LBB206_82:                             ;   in Loop: Header=BB206_11 Depth=1
	s_or_b32 exec_lo, exec_lo, s39
.LBB206_83:                             ;   in Loop: Header=BB206_11 Depth=1
	s_or_b32 exec_lo, exec_lo, s3
	global_load_ubyte v0, v[73:74], off offset:260
	s_mov_b32 s3, exec_lo
	s_waitcnt vmcnt(0)
	v_cmpx_ne_u16_e32 0, v0
	s_cbranch_execz .LBB206_91
; %bb.84:                               ;   in Loop: Header=BB206_11 Depth=1
	v_bfrev_b32_e32 v65, 1
	s_mov_b32 s39, exec_lo
	buffer_store_dword v65, off, s[44:47], 0 offset:32 ; 4-byte Folded Spill
	v_cmpx_ne_u16_e32 0x80, v0
	s_cbranch_execz .LBB206_90
; %bb.85:                               ;   in Loop: Header=BB206_11 Depth=1
	v_and_b32_sdwa v66, v0, v86 dst_sel:DWORD dst_unused:UNUSED_PAD src0_sel:WORD_0 src1_sel:DWORD
	v_mov_b32_e32 v65, 0x7f800001
	s_mov_b32 s40, exec_lo
	buffer_store_dword v65, off, s[44:47], 0 offset:32 ; 4-byte Folded Spill
	v_cmpx_ne_u32_e32 0x7f, v66
	s_cbranch_execz .LBB206_89
; %bb.86:                               ;   in Loop: Header=BB206_11 Depth=1
	v_and_b32_sdwa v67, v0, v87 dst_sel:DWORD dst_unused:UNUSED_PAD src0_sel:WORD_0 src1_sel:DWORD
	v_lshrrev_b32_e32 v65, 3, v66
	s_mov_b32 s41, exec_lo
	v_cmpx_gt_u32_e32 8, v66
; %bb.87:                               ;   in Loop: Header=BB206_11 Depth=1
	v_ffbh_u32_e32 v65, v67
	v_min_u32_e32 v65, 32, v65
	v_subrev_nc_u32_e32 v66, 28, v65
	v_sub_nc_u32_e32 v65, 29, v65
	v_lshlrev_b64 v[66:67], v66, v[67:68]
	v_and_b32_e32 v67, 7, v66
; %bb.88:                               ;   in Loop: Header=BB206_11 Depth=1
	s_or_b32 exec_lo, exec_lo, s41
	v_lshlrev_b32_e32 v0, 24, v0
	v_lshlrev_b32_e32 v66, 20, v67
	v_lshl_add_u32 v65, v65, 23, 0x3c000000
	v_and_b32_e32 v0, 0x80000000, v0
	v_or3_b32 v0, v66, v0, v65
	buffer_store_dword v0, off, s[44:47], 0 offset:32 ; 4-byte Folded Spill
.LBB206_89:                             ;   in Loop: Header=BB206_11 Depth=1
	s_or_b32 exec_lo, exec_lo, s40
.LBB206_90:                             ;   in Loop: Header=BB206_11 Depth=1
	s_or_b32 exec_lo, exec_lo, s39
.LBB206_91:                             ;   in Loop: Header=BB206_11 Depth=1
	s_or_b32 exec_lo, exec_lo, s3
	global_load_ubyte v0, v[73:74], off offset:264
	v_mov_b32_e32 v65, 0
	s_mov_b32 s3, exec_lo
	buffer_store_dword v65, off, s[44:47], 0 offset:40 ; 4-byte Folded Spill
	v_mov_b32_e32 v65, 0
	buffer_store_dword v65, off, s[44:47], 0 offset:44 ; 4-byte Folded Spill
	s_waitcnt vmcnt(0)
	v_cmpx_ne_u16_e32 0, v0
	s_cbranch_execz .LBB206_99
; %bb.92:                               ;   in Loop: Header=BB206_11 Depth=1
	v_bfrev_b32_e32 v65, 1
	s_mov_b32 s39, exec_lo
	buffer_store_dword v65, off, s[44:47], 0 offset:44 ; 4-byte Folded Spill
	v_cmpx_ne_u16_e32 0x80, v0
	s_cbranch_execz .LBB206_98
; %bb.93:                               ;   in Loop: Header=BB206_11 Depth=1
	v_and_b32_sdwa v66, v0, v86 dst_sel:DWORD dst_unused:UNUSED_PAD src0_sel:WORD_0 src1_sel:DWORD
	v_mov_b32_e32 v65, 0x7f800001
	s_mov_b32 s40, exec_lo
	buffer_store_dword v65, off, s[44:47], 0 offset:44 ; 4-byte Folded Spill
	v_cmpx_ne_u32_e32 0x7f, v66
	s_cbranch_execz .LBB206_97
; %bb.94:                               ;   in Loop: Header=BB206_11 Depth=1
	v_and_b32_sdwa v67, v0, v87 dst_sel:DWORD dst_unused:UNUSED_PAD src0_sel:WORD_0 src1_sel:DWORD
	v_lshrrev_b32_e32 v65, 3, v66
	s_mov_b32 s41, exec_lo
	v_cmpx_gt_u32_e32 8, v66
; %bb.95:                               ;   in Loop: Header=BB206_11 Depth=1
	v_ffbh_u32_e32 v65, v67
	v_min_u32_e32 v65, 32, v65
	v_subrev_nc_u32_e32 v66, 28, v65
	v_sub_nc_u32_e32 v65, 29, v65
	v_lshlrev_b64 v[66:67], v66, v[67:68]
	v_and_b32_e32 v67, 7, v66
; %bb.96:                               ;   in Loop: Header=BB206_11 Depth=1
	s_or_b32 exec_lo, exec_lo, s41
	v_lshlrev_b32_e32 v0, 24, v0
	v_lshlrev_b32_e32 v66, 20, v67
	v_lshl_add_u32 v65, v65, 23, 0x3c000000
	v_and_b32_e32 v0, 0x80000000, v0
	v_or3_b32 v0, v66, v0, v65
	buffer_store_dword v0, off, s[44:47], 0 offset:44 ; 4-byte Folded Spill
.LBB206_97:                             ;   in Loop: Header=BB206_11 Depth=1
	s_or_b32 exec_lo, exec_lo, s40
.LBB206_98:                             ;   in Loop: Header=BB206_11 Depth=1
	s_or_b32 exec_lo, exec_lo, s39
.LBB206_99:                             ;   in Loop: Header=BB206_11 Depth=1
	s_or_b32 exec_lo, exec_lo, s3
	global_load_ubyte v0, v[73:74], off offset:268
	s_mov_b32 s3, exec_lo
	s_waitcnt vmcnt(0)
	v_cmpx_ne_u16_e32 0, v0
	s_cbranch_execz .LBB206_107
; %bb.100:                              ;   in Loop: Header=BB206_11 Depth=1
	v_bfrev_b32_e32 v65, 1
	s_mov_b32 s39, exec_lo
	buffer_store_dword v65, off, s[44:47], 0 offset:40 ; 4-byte Folded Spill
	v_cmpx_ne_u16_e32 0x80, v0
	s_cbranch_execz .LBB206_106
; %bb.101:                              ;   in Loop: Header=BB206_11 Depth=1
	v_and_b32_sdwa v66, v0, v86 dst_sel:DWORD dst_unused:UNUSED_PAD src0_sel:WORD_0 src1_sel:DWORD
	v_mov_b32_e32 v65, 0x7f800001
	s_mov_b32 s40, exec_lo
	buffer_store_dword v65, off, s[44:47], 0 offset:40 ; 4-byte Folded Spill
	v_cmpx_ne_u32_e32 0x7f, v66
	s_cbranch_execz .LBB206_105
; %bb.102:                              ;   in Loop: Header=BB206_11 Depth=1
	v_and_b32_sdwa v67, v0, v87 dst_sel:DWORD dst_unused:UNUSED_PAD src0_sel:WORD_0 src1_sel:DWORD
	v_lshrrev_b32_e32 v65, 3, v66
	s_mov_b32 s41, exec_lo
	v_cmpx_gt_u32_e32 8, v66
; %bb.103:                              ;   in Loop: Header=BB206_11 Depth=1
	v_ffbh_u32_e32 v65, v67
	v_min_u32_e32 v65, 32, v65
	v_subrev_nc_u32_e32 v66, 28, v65
	v_sub_nc_u32_e32 v65, 29, v65
	v_lshlrev_b64 v[66:67], v66, v[67:68]
	v_and_b32_e32 v67, 7, v66
; %bb.104:                              ;   in Loop: Header=BB206_11 Depth=1
	s_or_b32 exec_lo, exec_lo, s41
	v_lshlrev_b32_e32 v0, 24, v0
	v_lshlrev_b32_e32 v66, 20, v67
	v_lshl_add_u32 v65, v65, 23, 0x3c000000
	v_and_b32_e32 v0, 0x80000000, v0
	v_or3_b32 v0, v66, v0, v65
	buffer_store_dword v0, off, s[44:47], 0 offset:40 ; 4-byte Folded Spill
.LBB206_105:                            ;   in Loop: Header=BB206_11 Depth=1
	s_or_b32 exec_lo, exec_lo, s40
.LBB206_106:                            ;   in Loop: Header=BB206_11 Depth=1
	s_or_b32 exec_lo, exec_lo, s39
.LBB206_107:                            ;   in Loop: Header=BB206_11 Depth=1
	s_or_b32 exec_lo, exec_lo, s3
	global_load_ubyte v0, v[73:74], off offset:384
	v_mov_b32_e32 v65, 0
	s_mov_b32 s3, exec_lo
	buffer_store_dword v65, off, s[44:47], 0 offset:48 ; 4-byte Folded Spill
	v_mov_b32_e32 v65, 0
	buffer_store_dword v65, off, s[44:47], 0 offset:52 ; 4-byte Folded Spill
	s_waitcnt vmcnt(0)
	v_cmpx_ne_u16_e32 0, v0
	s_cbranch_execz .LBB206_115
; %bb.108:                              ;   in Loop: Header=BB206_11 Depth=1
	v_bfrev_b32_e32 v65, 1
	s_mov_b32 s39, exec_lo
	buffer_store_dword v65, off, s[44:47], 0 offset:52 ; 4-byte Folded Spill
	v_cmpx_ne_u16_e32 0x80, v0
	s_cbranch_execz .LBB206_114
; %bb.109:                              ;   in Loop: Header=BB206_11 Depth=1
	v_and_b32_sdwa v66, v0, v86 dst_sel:DWORD dst_unused:UNUSED_PAD src0_sel:WORD_0 src1_sel:DWORD
	v_mov_b32_e32 v65, 0x7f800001
	s_mov_b32 s40, exec_lo
	buffer_store_dword v65, off, s[44:47], 0 offset:52 ; 4-byte Folded Spill
	v_cmpx_ne_u32_e32 0x7f, v66
	s_cbranch_execz .LBB206_113
; %bb.110:                              ;   in Loop: Header=BB206_11 Depth=1
	v_and_b32_sdwa v67, v0, v87 dst_sel:DWORD dst_unused:UNUSED_PAD src0_sel:WORD_0 src1_sel:DWORD
	v_lshrrev_b32_e32 v65, 3, v66
	s_mov_b32 s41, exec_lo
	v_cmpx_gt_u32_e32 8, v66
; %bb.111:                              ;   in Loop: Header=BB206_11 Depth=1
	v_ffbh_u32_e32 v65, v67
	v_min_u32_e32 v65, 32, v65
	v_subrev_nc_u32_e32 v66, 28, v65
	v_sub_nc_u32_e32 v65, 29, v65
	v_lshlrev_b64 v[66:67], v66, v[67:68]
	v_and_b32_e32 v67, 7, v66
; %bb.112:                              ;   in Loop: Header=BB206_11 Depth=1
	s_or_b32 exec_lo, exec_lo, s41
	v_lshlrev_b32_e32 v0, 24, v0
	v_lshlrev_b32_e32 v66, 20, v67
	v_lshl_add_u32 v65, v65, 23, 0x3c000000
	v_and_b32_e32 v0, 0x80000000, v0
	v_or3_b32 v0, v66, v0, v65
	buffer_store_dword v0, off, s[44:47], 0 offset:52 ; 4-byte Folded Spill
.LBB206_113:                            ;   in Loop: Header=BB206_11 Depth=1
	s_or_b32 exec_lo, exec_lo, s40
.LBB206_114:                            ;   in Loop: Header=BB206_11 Depth=1
	s_or_b32 exec_lo, exec_lo, s39
.LBB206_115:                            ;   in Loop: Header=BB206_11 Depth=1
	s_or_b32 exec_lo, exec_lo, s3
	global_load_ubyte v0, v[73:74], off offset:388
	s_mov_b32 s3, exec_lo
	s_waitcnt vmcnt(0)
	v_cmpx_ne_u16_e32 0, v0
	s_cbranch_execz .LBB206_123
; %bb.116:                              ;   in Loop: Header=BB206_11 Depth=1
	v_bfrev_b32_e32 v65, 1
	s_mov_b32 s39, exec_lo
	buffer_store_dword v65, off, s[44:47], 0 offset:48 ; 4-byte Folded Spill
	v_cmpx_ne_u16_e32 0x80, v0
	s_cbranch_execz .LBB206_122
; %bb.117:                              ;   in Loop: Header=BB206_11 Depth=1
	v_and_b32_sdwa v66, v0, v86 dst_sel:DWORD dst_unused:UNUSED_PAD src0_sel:WORD_0 src1_sel:DWORD
	v_mov_b32_e32 v65, 0x7f800001
	s_mov_b32 s40, exec_lo
	buffer_store_dword v65, off, s[44:47], 0 offset:48 ; 4-byte Folded Spill
	v_cmpx_ne_u32_e32 0x7f, v66
	s_cbranch_execz .LBB206_121
; %bb.118:                              ;   in Loop: Header=BB206_11 Depth=1
	v_and_b32_sdwa v67, v0, v87 dst_sel:DWORD dst_unused:UNUSED_PAD src0_sel:WORD_0 src1_sel:DWORD
	v_lshrrev_b32_e32 v65, 3, v66
	s_mov_b32 s41, exec_lo
	v_cmpx_gt_u32_e32 8, v66
; %bb.119:                              ;   in Loop: Header=BB206_11 Depth=1
	v_ffbh_u32_e32 v65, v67
	v_min_u32_e32 v65, 32, v65
	v_subrev_nc_u32_e32 v66, 28, v65
	v_sub_nc_u32_e32 v65, 29, v65
	v_lshlrev_b64 v[66:67], v66, v[67:68]
	v_and_b32_e32 v67, 7, v66
; %bb.120:                              ;   in Loop: Header=BB206_11 Depth=1
	s_or_b32 exec_lo, exec_lo, s41
	v_lshlrev_b32_e32 v0, 24, v0
	v_lshlrev_b32_e32 v66, 20, v67
	v_lshl_add_u32 v65, v65, 23, 0x3c000000
	v_and_b32_e32 v0, 0x80000000, v0
	v_or3_b32 v0, v66, v0, v65
	buffer_store_dword v0, off, s[44:47], 0 offset:48 ; 4-byte Folded Spill
.LBB206_121:                            ;   in Loop: Header=BB206_11 Depth=1
	s_or_b32 exec_lo, exec_lo, s40
.LBB206_122:                            ;   in Loop: Header=BB206_11 Depth=1
	s_or_b32 exec_lo, exec_lo, s39
.LBB206_123:                            ;   in Loop: Header=BB206_11 Depth=1
	s_or_b32 exec_lo, exec_lo, s3
	global_load_ubyte v0, v[73:74], off offset:392
	v_mov_b32_e32 v103, 0
	v_mov_b32_e32 v104, 0
	s_mov_b32 s3, exec_lo
	s_waitcnt vmcnt(0)
	v_cmpx_ne_u16_e32 0, v0
	s_cbranch_execz .LBB206_131
; %bb.124:                              ;   in Loop: Header=BB206_11 Depth=1
	v_bfrev_b32_e32 v104, 1
	s_mov_b32 s39, exec_lo
	v_cmpx_ne_u16_e32 0x80, v0
	s_cbranch_execz .LBB206_130
; %bb.125:                              ;   in Loop: Header=BB206_11 Depth=1
	v_and_b32_sdwa v66, v0, v86 dst_sel:DWORD dst_unused:UNUSED_PAD src0_sel:WORD_0 src1_sel:DWORD
	v_mov_b32_e32 v104, 0x7f800001
	s_mov_b32 s40, exec_lo
	v_cmpx_ne_u32_e32 0x7f, v66
	s_cbranch_execz .LBB206_129
; %bb.126:                              ;   in Loop: Header=BB206_11 Depth=1
	v_and_b32_sdwa v67, v0, v87 dst_sel:DWORD dst_unused:UNUSED_PAD src0_sel:WORD_0 src1_sel:DWORD
	v_lshrrev_b32_e32 v65, 3, v66
	s_mov_b32 s41, exec_lo
	v_cmpx_gt_u32_e32 8, v66
; %bb.127:                              ;   in Loop: Header=BB206_11 Depth=1
	v_ffbh_u32_e32 v65, v67
	v_min_u32_e32 v65, 32, v65
	v_subrev_nc_u32_e32 v66, 28, v65
	v_sub_nc_u32_e32 v65, 29, v65
	v_lshlrev_b64 v[66:67], v66, v[67:68]
	v_and_b32_e32 v67, 7, v66
; %bb.128:                              ;   in Loop: Header=BB206_11 Depth=1
	s_or_b32 exec_lo, exec_lo, s41
	v_lshlrev_b32_e32 v0, 24, v0
	v_lshlrev_b32_e32 v66, 20, v67
	v_lshl_add_u32 v65, v65, 23, 0x3c000000
	v_and_b32_e32 v0, 0x80000000, v0
	v_or3_b32 v104, v66, v0, v65
.LBB206_129:                            ;   in Loop: Header=BB206_11 Depth=1
	s_or_b32 exec_lo, exec_lo, s40
.LBB206_130:                            ;   in Loop: Header=BB206_11 Depth=1
	s_or_b32 exec_lo, exec_lo, s39
.LBB206_131:                            ;   in Loop: Header=BB206_11 Depth=1
	s_or_b32 exec_lo, exec_lo, s3
	global_load_ubyte v0, v[73:74], off offset:396
	s_mov_b32 s3, exec_lo
	s_waitcnt vmcnt(0)
	v_cmpx_ne_u16_e32 0, v0
	s_cbranch_execz .LBB206_139
; %bb.132:                              ;   in Loop: Header=BB206_11 Depth=1
	v_bfrev_b32_e32 v103, 1
	s_mov_b32 s39, exec_lo
	v_cmpx_ne_u16_e32 0x80, v0
	s_cbranch_execz .LBB206_138
; %bb.133:                              ;   in Loop: Header=BB206_11 Depth=1
	v_and_b32_sdwa v66, v0, v86 dst_sel:DWORD dst_unused:UNUSED_PAD src0_sel:WORD_0 src1_sel:DWORD
	v_mov_b32_e32 v103, 0x7f800001
	s_mov_b32 s40, exec_lo
	v_cmpx_ne_u32_e32 0x7f, v66
	s_cbranch_execz .LBB206_137
; %bb.134:                              ;   in Loop: Header=BB206_11 Depth=1
	v_and_b32_sdwa v67, v0, v87 dst_sel:DWORD dst_unused:UNUSED_PAD src0_sel:WORD_0 src1_sel:DWORD
	v_lshrrev_b32_e32 v65, 3, v66
	s_mov_b32 s41, exec_lo
	v_cmpx_gt_u32_e32 8, v66
; %bb.135:                              ;   in Loop: Header=BB206_11 Depth=1
	v_ffbh_u32_e32 v65, v67
	v_min_u32_e32 v65, 32, v65
	v_subrev_nc_u32_e32 v66, 28, v65
	v_sub_nc_u32_e32 v65, 29, v65
	v_lshlrev_b64 v[66:67], v66, v[67:68]
	v_and_b32_e32 v67, 7, v66
; %bb.136:                              ;   in Loop: Header=BB206_11 Depth=1
	s_or_b32 exec_lo, exec_lo, s41
	v_lshlrev_b32_e32 v0, 24, v0
	v_lshlrev_b32_e32 v66, 20, v67
	v_lshl_add_u32 v65, v65, 23, 0x3c000000
	v_and_b32_e32 v0, 0x80000000, v0
	v_or3_b32 v103, v66, v0, v65
.LBB206_137:                            ;   in Loop: Header=BB206_11 Depth=1
	s_or_b32 exec_lo, exec_lo, s40
.LBB206_138:                            ;   in Loop: Header=BB206_11 Depth=1
	s_or_b32 exec_lo, exec_lo, s39
.LBB206_139:                            ;   in Loop: Header=BB206_11 Depth=1
	s_or_b32 exec_lo, exec_lo, s3
	global_load_ubyte v0, v[73:74], off offset:512
	v_mov_b32_e32 v105, 0
	v_mov_b32_e32 v106, 0
	s_mov_b32 s3, exec_lo
	s_waitcnt vmcnt(0)
	v_cmpx_ne_u16_e32 0, v0
	s_cbranch_execz .LBB206_147
; %bb.140:                              ;   in Loop: Header=BB206_11 Depth=1
	v_bfrev_b32_e32 v106, 1
	s_mov_b32 s39, exec_lo
	v_cmpx_ne_u16_e32 0x80, v0
	s_cbranch_execz .LBB206_146
; %bb.141:                              ;   in Loop: Header=BB206_11 Depth=1
	v_and_b32_sdwa v66, v0, v86 dst_sel:DWORD dst_unused:UNUSED_PAD src0_sel:WORD_0 src1_sel:DWORD
	v_mov_b32_e32 v106, 0x7f800001
	s_mov_b32 s40, exec_lo
	v_cmpx_ne_u32_e32 0x7f, v66
	s_cbranch_execz .LBB206_145
; %bb.142:                              ;   in Loop: Header=BB206_11 Depth=1
	v_and_b32_sdwa v67, v0, v87 dst_sel:DWORD dst_unused:UNUSED_PAD src0_sel:WORD_0 src1_sel:DWORD
	v_lshrrev_b32_e32 v65, 3, v66
	s_mov_b32 s41, exec_lo
	v_cmpx_gt_u32_e32 8, v66
; %bb.143:                              ;   in Loop: Header=BB206_11 Depth=1
	v_ffbh_u32_e32 v65, v67
	v_min_u32_e32 v65, 32, v65
	v_subrev_nc_u32_e32 v66, 28, v65
	v_sub_nc_u32_e32 v65, 29, v65
	v_lshlrev_b64 v[66:67], v66, v[67:68]
	v_and_b32_e32 v67, 7, v66
; %bb.144:                              ;   in Loop: Header=BB206_11 Depth=1
	s_or_b32 exec_lo, exec_lo, s41
	v_lshlrev_b32_e32 v0, 24, v0
	v_lshlrev_b32_e32 v66, 20, v67
	v_lshl_add_u32 v65, v65, 23, 0x3c000000
	v_and_b32_e32 v0, 0x80000000, v0
	v_or3_b32 v106, v66, v0, v65
.LBB206_145:                            ;   in Loop: Header=BB206_11 Depth=1
	s_or_b32 exec_lo, exec_lo, s40
.LBB206_146:                            ;   in Loop: Header=BB206_11 Depth=1
	s_or_b32 exec_lo, exec_lo, s39
.LBB206_147:                            ;   in Loop: Header=BB206_11 Depth=1
	s_or_b32 exec_lo, exec_lo, s3
	global_load_ubyte v0, v[73:74], off offset:516
	s_mov_b32 s3, exec_lo
	s_waitcnt vmcnt(0)
	v_cmpx_ne_u16_e32 0, v0
	s_cbranch_execz .LBB206_155
; %bb.148:                              ;   in Loop: Header=BB206_11 Depth=1
	v_bfrev_b32_e32 v105, 1
	s_mov_b32 s39, exec_lo
	v_cmpx_ne_u16_e32 0x80, v0
	s_cbranch_execz .LBB206_154
; %bb.149:                              ;   in Loop: Header=BB206_11 Depth=1
	v_and_b32_sdwa v66, v0, v86 dst_sel:DWORD dst_unused:UNUSED_PAD src0_sel:WORD_0 src1_sel:DWORD
	v_mov_b32_e32 v105, 0x7f800001
	s_mov_b32 s40, exec_lo
	v_cmpx_ne_u32_e32 0x7f, v66
	s_cbranch_execz .LBB206_153
; %bb.150:                              ;   in Loop: Header=BB206_11 Depth=1
	v_and_b32_sdwa v67, v0, v87 dst_sel:DWORD dst_unused:UNUSED_PAD src0_sel:WORD_0 src1_sel:DWORD
	v_lshrrev_b32_e32 v65, 3, v66
	s_mov_b32 s41, exec_lo
	v_cmpx_gt_u32_e32 8, v66
; %bb.151:                              ;   in Loop: Header=BB206_11 Depth=1
	v_ffbh_u32_e32 v65, v67
	v_min_u32_e32 v65, 32, v65
	v_subrev_nc_u32_e32 v66, 28, v65
	v_sub_nc_u32_e32 v65, 29, v65
	v_lshlrev_b64 v[66:67], v66, v[67:68]
	v_and_b32_e32 v67, 7, v66
; %bb.152:                              ;   in Loop: Header=BB206_11 Depth=1
	s_or_b32 exec_lo, exec_lo, s41
	v_lshlrev_b32_e32 v0, 24, v0
	v_lshlrev_b32_e32 v66, 20, v67
	v_lshl_add_u32 v65, v65, 23, 0x3c000000
	v_and_b32_e32 v0, 0x80000000, v0
	v_or3_b32 v105, v66, v0, v65
.LBB206_153:                            ;   in Loop: Header=BB206_11 Depth=1
	s_or_b32 exec_lo, exec_lo, s40
.LBB206_154:                            ;   in Loop: Header=BB206_11 Depth=1
	s_or_b32 exec_lo, exec_lo, s39
.LBB206_155:                            ;   in Loop: Header=BB206_11 Depth=1
	s_or_b32 exec_lo, exec_lo, s3
	global_load_ubyte v0, v[73:74], off offset:520
	v_mov_b32_e32 v107, 0
	v_mov_b32_e32 v108, 0
	s_mov_b32 s3, exec_lo
	s_waitcnt vmcnt(0)
	v_cmpx_ne_u16_e32 0, v0
	s_cbranch_execz .LBB206_163
; %bb.156:                              ;   in Loop: Header=BB206_11 Depth=1
	v_bfrev_b32_e32 v108, 1
	s_mov_b32 s39, exec_lo
	v_cmpx_ne_u16_e32 0x80, v0
	s_cbranch_execz .LBB206_162
; %bb.157:                              ;   in Loop: Header=BB206_11 Depth=1
	v_and_b32_sdwa v66, v0, v86 dst_sel:DWORD dst_unused:UNUSED_PAD src0_sel:WORD_0 src1_sel:DWORD
	v_mov_b32_e32 v108, 0x7f800001
	s_mov_b32 s40, exec_lo
	v_cmpx_ne_u32_e32 0x7f, v66
	s_cbranch_execz .LBB206_161
; %bb.158:                              ;   in Loop: Header=BB206_11 Depth=1
	v_and_b32_sdwa v67, v0, v87 dst_sel:DWORD dst_unused:UNUSED_PAD src0_sel:WORD_0 src1_sel:DWORD
	v_lshrrev_b32_e32 v65, 3, v66
	s_mov_b32 s41, exec_lo
	v_cmpx_gt_u32_e32 8, v66
; %bb.159:                              ;   in Loop: Header=BB206_11 Depth=1
	v_ffbh_u32_e32 v65, v67
	v_min_u32_e32 v65, 32, v65
	v_subrev_nc_u32_e32 v66, 28, v65
	v_sub_nc_u32_e32 v65, 29, v65
	v_lshlrev_b64 v[66:67], v66, v[67:68]
	v_and_b32_e32 v67, 7, v66
; %bb.160:                              ;   in Loop: Header=BB206_11 Depth=1
	s_or_b32 exec_lo, exec_lo, s41
	v_lshlrev_b32_e32 v0, 24, v0
	v_lshlrev_b32_e32 v66, 20, v67
	v_lshl_add_u32 v65, v65, 23, 0x3c000000
	v_and_b32_e32 v0, 0x80000000, v0
	v_or3_b32 v108, v66, v0, v65
.LBB206_161:                            ;   in Loop: Header=BB206_11 Depth=1
	s_or_b32 exec_lo, exec_lo, s40
.LBB206_162:                            ;   in Loop: Header=BB206_11 Depth=1
	s_or_b32 exec_lo, exec_lo, s39
.LBB206_163:                            ;   in Loop: Header=BB206_11 Depth=1
	s_or_b32 exec_lo, exec_lo, s3
	global_load_ubyte v0, v[73:74], off offset:524
	s_mov_b32 s3, exec_lo
	s_waitcnt vmcnt(0)
	v_cmpx_ne_u16_e32 0, v0
	s_cbranch_execz .LBB206_171
; %bb.164:                              ;   in Loop: Header=BB206_11 Depth=1
	v_bfrev_b32_e32 v107, 1
	s_mov_b32 s39, exec_lo
	v_cmpx_ne_u16_e32 0x80, v0
	s_cbranch_execz .LBB206_170
; %bb.165:                              ;   in Loop: Header=BB206_11 Depth=1
	v_and_b32_sdwa v66, v0, v86 dst_sel:DWORD dst_unused:UNUSED_PAD src0_sel:WORD_0 src1_sel:DWORD
	v_mov_b32_e32 v107, 0x7f800001
	s_mov_b32 s40, exec_lo
	v_cmpx_ne_u32_e32 0x7f, v66
	s_cbranch_execz .LBB206_169
; %bb.166:                              ;   in Loop: Header=BB206_11 Depth=1
	v_and_b32_sdwa v67, v0, v87 dst_sel:DWORD dst_unused:UNUSED_PAD src0_sel:WORD_0 src1_sel:DWORD
	v_lshrrev_b32_e32 v65, 3, v66
	s_mov_b32 s41, exec_lo
	v_cmpx_gt_u32_e32 8, v66
; %bb.167:                              ;   in Loop: Header=BB206_11 Depth=1
	v_ffbh_u32_e32 v65, v67
	v_min_u32_e32 v65, 32, v65
	v_subrev_nc_u32_e32 v66, 28, v65
	v_sub_nc_u32_e32 v65, 29, v65
	v_lshlrev_b64 v[66:67], v66, v[67:68]
	v_and_b32_e32 v67, 7, v66
; %bb.168:                              ;   in Loop: Header=BB206_11 Depth=1
	s_or_b32 exec_lo, exec_lo, s41
	v_lshlrev_b32_e32 v0, 24, v0
	v_lshlrev_b32_e32 v66, 20, v67
	v_lshl_add_u32 v65, v65, 23, 0x3c000000
	v_and_b32_e32 v0, 0x80000000, v0
	v_or3_b32 v107, v66, v0, v65
.LBB206_169:                            ;   in Loop: Header=BB206_11 Depth=1
	s_or_b32 exec_lo, exec_lo, s40
.LBB206_170:                            ;   in Loop: Header=BB206_11 Depth=1
	s_or_b32 exec_lo, exec_lo, s39
.LBB206_171:                            ;   in Loop: Header=BB206_11 Depth=1
	s_or_b32 exec_lo, exec_lo, s3
	global_load_ubyte v0, v[73:74], off offset:640
	v_mov_b32_e32 v109, 0
	v_mov_b32_e32 v110, 0
	s_mov_b32 s3, exec_lo
	s_waitcnt vmcnt(0)
	v_cmpx_ne_u16_e32 0, v0
	s_cbranch_execz .LBB206_179
; %bb.172:                              ;   in Loop: Header=BB206_11 Depth=1
	v_bfrev_b32_e32 v110, 1
	s_mov_b32 s39, exec_lo
	v_cmpx_ne_u16_e32 0x80, v0
	s_cbranch_execz .LBB206_178
; %bb.173:                              ;   in Loop: Header=BB206_11 Depth=1
	v_and_b32_sdwa v66, v0, v86 dst_sel:DWORD dst_unused:UNUSED_PAD src0_sel:WORD_0 src1_sel:DWORD
	v_mov_b32_e32 v110, 0x7f800001
	s_mov_b32 s40, exec_lo
	v_cmpx_ne_u32_e32 0x7f, v66
	s_cbranch_execz .LBB206_177
; %bb.174:                              ;   in Loop: Header=BB206_11 Depth=1
	v_and_b32_sdwa v67, v0, v87 dst_sel:DWORD dst_unused:UNUSED_PAD src0_sel:WORD_0 src1_sel:DWORD
	v_lshrrev_b32_e32 v65, 3, v66
	s_mov_b32 s41, exec_lo
	v_cmpx_gt_u32_e32 8, v66
; %bb.175:                              ;   in Loop: Header=BB206_11 Depth=1
	v_ffbh_u32_e32 v65, v67
	v_min_u32_e32 v65, 32, v65
	v_subrev_nc_u32_e32 v66, 28, v65
	v_sub_nc_u32_e32 v65, 29, v65
	v_lshlrev_b64 v[66:67], v66, v[67:68]
	v_and_b32_e32 v67, 7, v66
; %bb.176:                              ;   in Loop: Header=BB206_11 Depth=1
	s_or_b32 exec_lo, exec_lo, s41
	v_lshlrev_b32_e32 v0, 24, v0
	v_lshlrev_b32_e32 v66, 20, v67
	v_lshl_add_u32 v65, v65, 23, 0x3c000000
	v_and_b32_e32 v0, 0x80000000, v0
	v_or3_b32 v110, v66, v0, v65
.LBB206_177:                            ;   in Loop: Header=BB206_11 Depth=1
	s_or_b32 exec_lo, exec_lo, s40
.LBB206_178:                            ;   in Loop: Header=BB206_11 Depth=1
	s_or_b32 exec_lo, exec_lo, s39
.LBB206_179:                            ;   in Loop: Header=BB206_11 Depth=1
	s_or_b32 exec_lo, exec_lo, s3
	global_load_ubyte v0, v[73:74], off offset:644
	s_mov_b32 s3, exec_lo
	s_waitcnt vmcnt(0)
	v_cmpx_ne_u16_e32 0, v0
	s_cbranch_execz .LBB206_187
; %bb.180:                              ;   in Loop: Header=BB206_11 Depth=1
	v_bfrev_b32_e32 v109, 1
	s_mov_b32 s39, exec_lo
	v_cmpx_ne_u16_e32 0x80, v0
	s_cbranch_execz .LBB206_186
; %bb.181:                              ;   in Loop: Header=BB206_11 Depth=1
	v_and_b32_sdwa v66, v0, v86 dst_sel:DWORD dst_unused:UNUSED_PAD src0_sel:WORD_0 src1_sel:DWORD
	v_mov_b32_e32 v109, 0x7f800001
	s_mov_b32 s40, exec_lo
	v_cmpx_ne_u32_e32 0x7f, v66
	s_cbranch_execz .LBB206_185
; %bb.182:                              ;   in Loop: Header=BB206_11 Depth=1
	v_and_b32_sdwa v67, v0, v87 dst_sel:DWORD dst_unused:UNUSED_PAD src0_sel:WORD_0 src1_sel:DWORD
	v_lshrrev_b32_e32 v65, 3, v66
	s_mov_b32 s41, exec_lo
	v_cmpx_gt_u32_e32 8, v66
; %bb.183:                              ;   in Loop: Header=BB206_11 Depth=1
	v_ffbh_u32_e32 v65, v67
	v_min_u32_e32 v65, 32, v65
	v_subrev_nc_u32_e32 v66, 28, v65
	v_sub_nc_u32_e32 v65, 29, v65
	v_lshlrev_b64 v[66:67], v66, v[67:68]
	v_and_b32_e32 v67, 7, v66
; %bb.184:                              ;   in Loop: Header=BB206_11 Depth=1
	s_or_b32 exec_lo, exec_lo, s41
	v_lshlrev_b32_e32 v0, 24, v0
	v_lshlrev_b32_e32 v66, 20, v67
	v_lshl_add_u32 v65, v65, 23, 0x3c000000
	v_and_b32_e32 v0, 0x80000000, v0
	v_or3_b32 v109, v66, v0, v65
.LBB206_185:                            ;   in Loop: Header=BB206_11 Depth=1
	s_or_b32 exec_lo, exec_lo, s40
.LBB206_186:                            ;   in Loop: Header=BB206_11 Depth=1
	s_or_b32 exec_lo, exec_lo, s39
.LBB206_187:                            ;   in Loop: Header=BB206_11 Depth=1
	s_or_b32 exec_lo, exec_lo, s3
	global_load_ubyte v0, v[73:74], off offset:648
	v_mov_b32_e32 v111, 0
	v_mov_b32_e32 v112, 0
	s_mov_b32 s3, exec_lo
	s_waitcnt vmcnt(0)
	v_cmpx_ne_u16_e32 0, v0
	s_cbranch_execz .LBB206_195
; %bb.188:                              ;   in Loop: Header=BB206_11 Depth=1
	v_bfrev_b32_e32 v112, 1
	s_mov_b32 s39, exec_lo
	v_cmpx_ne_u16_e32 0x80, v0
	s_cbranch_execz .LBB206_194
; %bb.189:                              ;   in Loop: Header=BB206_11 Depth=1
	v_and_b32_sdwa v66, v0, v86 dst_sel:DWORD dst_unused:UNUSED_PAD src0_sel:WORD_0 src1_sel:DWORD
	v_mov_b32_e32 v112, 0x7f800001
	s_mov_b32 s40, exec_lo
	v_cmpx_ne_u32_e32 0x7f, v66
	s_cbranch_execz .LBB206_193
; %bb.190:                              ;   in Loop: Header=BB206_11 Depth=1
	v_and_b32_sdwa v67, v0, v87 dst_sel:DWORD dst_unused:UNUSED_PAD src0_sel:WORD_0 src1_sel:DWORD
	v_lshrrev_b32_e32 v65, 3, v66
	s_mov_b32 s41, exec_lo
	v_cmpx_gt_u32_e32 8, v66
; %bb.191:                              ;   in Loop: Header=BB206_11 Depth=1
	v_ffbh_u32_e32 v65, v67
	v_min_u32_e32 v65, 32, v65
	v_subrev_nc_u32_e32 v66, 28, v65
	v_sub_nc_u32_e32 v65, 29, v65
	v_lshlrev_b64 v[66:67], v66, v[67:68]
	v_and_b32_e32 v67, 7, v66
; %bb.192:                              ;   in Loop: Header=BB206_11 Depth=1
	s_or_b32 exec_lo, exec_lo, s41
	v_lshlrev_b32_e32 v0, 24, v0
	v_lshlrev_b32_e32 v66, 20, v67
	v_lshl_add_u32 v65, v65, 23, 0x3c000000
	v_and_b32_e32 v0, 0x80000000, v0
	v_or3_b32 v112, v66, v0, v65
.LBB206_193:                            ;   in Loop: Header=BB206_11 Depth=1
	s_or_b32 exec_lo, exec_lo, s40
.LBB206_194:                            ;   in Loop: Header=BB206_11 Depth=1
	s_or_b32 exec_lo, exec_lo, s39
.LBB206_195:                            ;   in Loop: Header=BB206_11 Depth=1
	s_or_b32 exec_lo, exec_lo, s3
	global_load_ubyte v0, v[73:74], off offset:652
	s_mov_b32 s3, exec_lo
	s_waitcnt vmcnt(0)
	v_cmpx_ne_u16_e32 0, v0
	s_cbranch_execz .LBB206_203
; %bb.196:                              ;   in Loop: Header=BB206_11 Depth=1
	v_bfrev_b32_e32 v111, 1
	s_mov_b32 s39, exec_lo
	v_cmpx_ne_u16_e32 0x80, v0
	s_cbranch_execz .LBB206_202
; %bb.197:                              ;   in Loop: Header=BB206_11 Depth=1
	v_and_b32_sdwa v66, v0, v86 dst_sel:DWORD dst_unused:UNUSED_PAD src0_sel:WORD_0 src1_sel:DWORD
	v_mov_b32_e32 v111, 0x7f800001
	s_mov_b32 s40, exec_lo
	v_cmpx_ne_u32_e32 0x7f, v66
	s_cbranch_execz .LBB206_201
; %bb.198:                              ;   in Loop: Header=BB206_11 Depth=1
	v_and_b32_sdwa v67, v0, v87 dst_sel:DWORD dst_unused:UNUSED_PAD src0_sel:WORD_0 src1_sel:DWORD
	v_lshrrev_b32_e32 v65, 3, v66
	s_mov_b32 s41, exec_lo
	v_cmpx_gt_u32_e32 8, v66
; %bb.199:                              ;   in Loop: Header=BB206_11 Depth=1
	v_ffbh_u32_e32 v65, v67
	v_min_u32_e32 v65, 32, v65
	v_subrev_nc_u32_e32 v66, 28, v65
	v_sub_nc_u32_e32 v65, 29, v65
	v_lshlrev_b64 v[66:67], v66, v[67:68]
	v_and_b32_e32 v67, 7, v66
; %bb.200:                              ;   in Loop: Header=BB206_11 Depth=1
	s_or_b32 exec_lo, exec_lo, s41
	v_lshlrev_b32_e32 v0, 24, v0
	v_lshlrev_b32_e32 v66, 20, v67
	v_lshl_add_u32 v65, v65, 23, 0x3c000000
	v_and_b32_e32 v0, 0x80000000, v0
	v_or3_b32 v111, v66, v0, v65
.LBB206_201:                            ;   in Loop: Header=BB206_11 Depth=1
	s_or_b32 exec_lo, exec_lo, s40
.LBB206_202:                            ;   in Loop: Header=BB206_11 Depth=1
	s_or_b32 exec_lo, exec_lo, s39
.LBB206_203:                            ;   in Loop: Header=BB206_11 Depth=1
	s_or_b32 exec_lo, exec_lo, s3
	global_load_ubyte v0, v[73:74], off offset:768
	v_mov_b32_e32 v113, 0
	v_mov_b32_e32 v114, 0
	s_mov_b32 s3, exec_lo
	s_waitcnt vmcnt(0)
	v_cmpx_ne_u16_e32 0, v0
	s_cbranch_execz .LBB206_211
; %bb.204:                              ;   in Loop: Header=BB206_11 Depth=1
	v_bfrev_b32_e32 v114, 1
	s_mov_b32 s39, exec_lo
	v_cmpx_ne_u16_e32 0x80, v0
	s_cbranch_execz .LBB206_210
; %bb.205:                              ;   in Loop: Header=BB206_11 Depth=1
	v_and_b32_sdwa v66, v0, v86 dst_sel:DWORD dst_unused:UNUSED_PAD src0_sel:WORD_0 src1_sel:DWORD
	v_mov_b32_e32 v114, 0x7f800001
	s_mov_b32 s40, exec_lo
	v_cmpx_ne_u32_e32 0x7f, v66
	s_cbranch_execz .LBB206_209
; %bb.206:                              ;   in Loop: Header=BB206_11 Depth=1
	v_and_b32_sdwa v67, v0, v87 dst_sel:DWORD dst_unused:UNUSED_PAD src0_sel:WORD_0 src1_sel:DWORD
	v_lshrrev_b32_e32 v65, 3, v66
	s_mov_b32 s41, exec_lo
	v_cmpx_gt_u32_e32 8, v66
; %bb.207:                              ;   in Loop: Header=BB206_11 Depth=1
	v_ffbh_u32_e32 v65, v67
	v_min_u32_e32 v65, 32, v65
	v_subrev_nc_u32_e32 v66, 28, v65
	v_sub_nc_u32_e32 v65, 29, v65
	v_lshlrev_b64 v[66:67], v66, v[67:68]
	v_and_b32_e32 v67, 7, v66
; %bb.208:                              ;   in Loop: Header=BB206_11 Depth=1
	s_or_b32 exec_lo, exec_lo, s41
	v_lshlrev_b32_e32 v0, 24, v0
	v_lshlrev_b32_e32 v66, 20, v67
	v_lshl_add_u32 v65, v65, 23, 0x3c000000
	v_and_b32_e32 v0, 0x80000000, v0
	v_or3_b32 v114, v66, v0, v65
.LBB206_209:                            ;   in Loop: Header=BB206_11 Depth=1
	s_or_b32 exec_lo, exec_lo, s40
.LBB206_210:                            ;   in Loop: Header=BB206_11 Depth=1
	s_or_b32 exec_lo, exec_lo, s39
.LBB206_211:                            ;   in Loop: Header=BB206_11 Depth=1
	s_or_b32 exec_lo, exec_lo, s3
	global_load_ubyte v0, v[73:74], off offset:772
	s_mov_b32 s3, exec_lo
	s_waitcnt vmcnt(0)
	v_cmpx_ne_u16_e32 0, v0
	s_cbranch_execz .LBB206_219
; %bb.212:                              ;   in Loop: Header=BB206_11 Depth=1
	v_bfrev_b32_e32 v113, 1
	s_mov_b32 s39, exec_lo
	v_cmpx_ne_u16_e32 0x80, v0
	s_cbranch_execz .LBB206_218
; %bb.213:                              ;   in Loop: Header=BB206_11 Depth=1
	v_and_b32_sdwa v66, v0, v86 dst_sel:DWORD dst_unused:UNUSED_PAD src0_sel:WORD_0 src1_sel:DWORD
	v_mov_b32_e32 v113, 0x7f800001
	s_mov_b32 s40, exec_lo
	v_cmpx_ne_u32_e32 0x7f, v66
	s_cbranch_execz .LBB206_217
; %bb.214:                              ;   in Loop: Header=BB206_11 Depth=1
	v_and_b32_sdwa v67, v0, v87 dst_sel:DWORD dst_unused:UNUSED_PAD src0_sel:WORD_0 src1_sel:DWORD
	v_lshrrev_b32_e32 v65, 3, v66
	s_mov_b32 s41, exec_lo
	v_cmpx_gt_u32_e32 8, v66
; %bb.215:                              ;   in Loop: Header=BB206_11 Depth=1
	v_ffbh_u32_e32 v65, v67
	v_min_u32_e32 v65, 32, v65
	v_subrev_nc_u32_e32 v66, 28, v65
	v_sub_nc_u32_e32 v65, 29, v65
	v_lshlrev_b64 v[66:67], v66, v[67:68]
	v_and_b32_e32 v67, 7, v66
; %bb.216:                              ;   in Loop: Header=BB206_11 Depth=1
	s_or_b32 exec_lo, exec_lo, s41
	v_lshlrev_b32_e32 v0, 24, v0
	v_lshlrev_b32_e32 v66, 20, v67
	v_lshl_add_u32 v65, v65, 23, 0x3c000000
	v_and_b32_e32 v0, 0x80000000, v0
	v_or3_b32 v113, v66, v0, v65
.LBB206_217:                            ;   in Loop: Header=BB206_11 Depth=1
	s_or_b32 exec_lo, exec_lo, s40
.LBB206_218:                            ;   in Loop: Header=BB206_11 Depth=1
	s_or_b32 exec_lo, exec_lo, s39
.LBB206_219:                            ;   in Loop: Header=BB206_11 Depth=1
	s_or_b32 exec_lo, exec_lo, s3
	global_load_ubyte v0, v[73:74], off offset:776
	v_mov_b32_e32 v115, 0
	v_mov_b32_e32 v116, 0
	s_mov_b32 s3, exec_lo
	s_waitcnt vmcnt(0)
	v_cmpx_ne_u16_e32 0, v0
	s_cbranch_execz .LBB206_227
; %bb.220:                              ;   in Loop: Header=BB206_11 Depth=1
	v_bfrev_b32_e32 v116, 1
	s_mov_b32 s39, exec_lo
	v_cmpx_ne_u16_e32 0x80, v0
	s_cbranch_execz .LBB206_226
; %bb.221:                              ;   in Loop: Header=BB206_11 Depth=1
	v_and_b32_sdwa v66, v0, v86 dst_sel:DWORD dst_unused:UNUSED_PAD src0_sel:WORD_0 src1_sel:DWORD
	v_mov_b32_e32 v116, 0x7f800001
	s_mov_b32 s40, exec_lo
	v_cmpx_ne_u32_e32 0x7f, v66
	s_cbranch_execz .LBB206_225
; %bb.222:                              ;   in Loop: Header=BB206_11 Depth=1
	v_and_b32_sdwa v67, v0, v87 dst_sel:DWORD dst_unused:UNUSED_PAD src0_sel:WORD_0 src1_sel:DWORD
	v_lshrrev_b32_e32 v65, 3, v66
	s_mov_b32 s41, exec_lo
	v_cmpx_gt_u32_e32 8, v66
; %bb.223:                              ;   in Loop: Header=BB206_11 Depth=1
	v_ffbh_u32_e32 v65, v67
	v_min_u32_e32 v65, 32, v65
	v_subrev_nc_u32_e32 v66, 28, v65
	v_sub_nc_u32_e32 v65, 29, v65
	v_lshlrev_b64 v[66:67], v66, v[67:68]
	v_and_b32_e32 v67, 7, v66
; %bb.224:                              ;   in Loop: Header=BB206_11 Depth=1
	s_or_b32 exec_lo, exec_lo, s41
	v_lshlrev_b32_e32 v0, 24, v0
	v_lshlrev_b32_e32 v66, 20, v67
	v_lshl_add_u32 v65, v65, 23, 0x3c000000
	v_and_b32_e32 v0, 0x80000000, v0
	v_or3_b32 v116, v66, v0, v65
.LBB206_225:                            ;   in Loop: Header=BB206_11 Depth=1
	s_or_b32 exec_lo, exec_lo, s40
.LBB206_226:                            ;   in Loop: Header=BB206_11 Depth=1
	s_or_b32 exec_lo, exec_lo, s39
.LBB206_227:                            ;   in Loop: Header=BB206_11 Depth=1
	s_or_b32 exec_lo, exec_lo, s3
	global_load_ubyte v0, v[73:74], off offset:780
	s_mov_b32 s3, exec_lo
	s_waitcnt vmcnt(0)
	v_cmpx_ne_u16_e32 0, v0
	s_cbranch_execz .LBB206_235
; %bb.228:                              ;   in Loop: Header=BB206_11 Depth=1
	v_bfrev_b32_e32 v115, 1
	s_mov_b32 s39, exec_lo
	v_cmpx_ne_u16_e32 0x80, v0
	s_cbranch_execz .LBB206_234
; %bb.229:                              ;   in Loop: Header=BB206_11 Depth=1
	v_and_b32_sdwa v66, v0, v86 dst_sel:DWORD dst_unused:UNUSED_PAD src0_sel:WORD_0 src1_sel:DWORD
	v_mov_b32_e32 v115, 0x7f800001
	s_mov_b32 s40, exec_lo
	v_cmpx_ne_u32_e32 0x7f, v66
	s_cbranch_execz .LBB206_233
; %bb.230:                              ;   in Loop: Header=BB206_11 Depth=1
	v_and_b32_sdwa v67, v0, v87 dst_sel:DWORD dst_unused:UNUSED_PAD src0_sel:WORD_0 src1_sel:DWORD
	v_lshrrev_b32_e32 v65, 3, v66
	s_mov_b32 s41, exec_lo
	v_cmpx_gt_u32_e32 8, v66
; %bb.231:                              ;   in Loop: Header=BB206_11 Depth=1
	v_ffbh_u32_e32 v65, v67
	v_min_u32_e32 v65, 32, v65
	v_subrev_nc_u32_e32 v66, 28, v65
	v_sub_nc_u32_e32 v65, 29, v65
	v_lshlrev_b64 v[66:67], v66, v[67:68]
	v_and_b32_e32 v67, 7, v66
; %bb.232:                              ;   in Loop: Header=BB206_11 Depth=1
	s_or_b32 exec_lo, exec_lo, s41
	v_lshlrev_b32_e32 v0, 24, v0
	v_lshlrev_b32_e32 v66, 20, v67
	v_lshl_add_u32 v65, v65, 23, 0x3c000000
	v_and_b32_e32 v0, 0x80000000, v0
	v_or3_b32 v115, v66, v0, v65
.LBB206_233:                            ;   in Loop: Header=BB206_11 Depth=1
	s_or_b32 exec_lo, exec_lo, s40
.LBB206_234:                            ;   in Loop: Header=BB206_11 Depth=1
	s_or_b32 exec_lo, exec_lo, s39
.LBB206_235:                            ;   in Loop: Header=BB206_11 Depth=1
	s_or_b32 exec_lo, exec_lo, s3
	global_load_ubyte v0, v[73:74], off offset:896
	v_mov_b32_e32 v117, 0
	v_mov_b32_e32 v118, 0
	s_mov_b32 s3, exec_lo
	s_waitcnt vmcnt(0)
	v_cmpx_ne_u16_e32 0, v0
	s_cbranch_execz .LBB206_243
; %bb.236:                              ;   in Loop: Header=BB206_11 Depth=1
	v_bfrev_b32_e32 v118, 1
	s_mov_b32 s39, exec_lo
	v_cmpx_ne_u16_e32 0x80, v0
	s_cbranch_execz .LBB206_242
; %bb.237:                              ;   in Loop: Header=BB206_11 Depth=1
	v_and_b32_sdwa v66, v0, v86 dst_sel:DWORD dst_unused:UNUSED_PAD src0_sel:WORD_0 src1_sel:DWORD
	v_mov_b32_e32 v118, 0x7f800001
	s_mov_b32 s40, exec_lo
	v_cmpx_ne_u32_e32 0x7f, v66
	s_cbranch_execz .LBB206_241
; %bb.238:                              ;   in Loop: Header=BB206_11 Depth=1
	v_and_b32_sdwa v67, v0, v87 dst_sel:DWORD dst_unused:UNUSED_PAD src0_sel:WORD_0 src1_sel:DWORD
	v_lshrrev_b32_e32 v65, 3, v66
	s_mov_b32 s41, exec_lo
	v_cmpx_gt_u32_e32 8, v66
; %bb.239:                              ;   in Loop: Header=BB206_11 Depth=1
	v_ffbh_u32_e32 v65, v67
	v_min_u32_e32 v65, 32, v65
	v_subrev_nc_u32_e32 v66, 28, v65
	v_sub_nc_u32_e32 v65, 29, v65
	v_lshlrev_b64 v[66:67], v66, v[67:68]
	v_and_b32_e32 v67, 7, v66
; %bb.240:                              ;   in Loop: Header=BB206_11 Depth=1
	s_or_b32 exec_lo, exec_lo, s41
	v_lshlrev_b32_e32 v0, 24, v0
	v_lshlrev_b32_e32 v66, 20, v67
	v_lshl_add_u32 v65, v65, 23, 0x3c000000
	v_and_b32_e32 v0, 0x80000000, v0
	v_or3_b32 v118, v66, v0, v65
.LBB206_241:                            ;   in Loop: Header=BB206_11 Depth=1
	s_or_b32 exec_lo, exec_lo, s40
.LBB206_242:                            ;   in Loop: Header=BB206_11 Depth=1
	s_or_b32 exec_lo, exec_lo, s39
.LBB206_243:                            ;   in Loop: Header=BB206_11 Depth=1
	s_or_b32 exec_lo, exec_lo, s3
	global_load_ubyte v0, v[73:74], off offset:900
	s_mov_b32 s3, exec_lo
	s_waitcnt vmcnt(0)
	v_cmpx_ne_u16_e32 0, v0
	s_cbranch_execz .LBB206_251
; %bb.244:                              ;   in Loop: Header=BB206_11 Depth=1
	v_bfrev_b32_e32 v117, 1
	s_mov_b32 s39, exec_lo
	v_cmpx_ne_u16_e32 0x80, v0
	s_cbranch_execz .LBB206_250
; %bb.245:                              ;   in Loop: Header=BB206_11 Depth=1
	v_and_b32_sdwa v66, v0, v86 dst_sel:DWORD dst_unused:UNUSED_PAD src0_sel:WORD_0 src1_sel:DWORD
	v_mov_b32_e32 v117, 0x7f800001
	s_mov_b32 s40, exec_lo
	v_cmpx_ne_u32_e32 0x7f, v66
	s_cbranch_execz .LBB206_249
; %bb.246:                              ;   in Loop: Header=BB206_11 Depth=1
	v_and_b32_sdwa v67, v0, v87 dst_sel:DWORD dst_unused:UNUSED_PAD src0_sel:WORD_0 src1_sel:DWORD
	v_lshrrev_b32_e32 v65, 3, v66
	s_mov_b32 s41, exec_lo
	v_cmpx_gt_u32_e32 8, v66
; %bb.247:                              ;   in Loop: Header=BB206_11 Depth=1
	v_ffbh_u32_e32 v65, v67
	v_min_u32_e32 v65, 32, v65
	v_subrev_nc_u32_e32 v66, 28, v65
	v_sub_nc_u32_e32 v65, 29, v65
	v_lshlrev_b64 v[66:67], v66, v[67:68]
	v_and_b32_e32 v67, 7, v66
; %bb.248:                              ;   in Loop: Header=BB206_11 Depth=1
	s_or_b32 exec_lo, exec_lo, s41
	v_lshlrev_b32_e32 v0, 24, v0
	v_lshlrev_b32_e32 v66, 20, v67
	v_lshl_add_u32 v65, v65, 23, 0x3c000000
	v_and_b32_e32 v0, 0x80000000, v0
	v_or3_b32 v117, v66, v0, v65
.LBB206_249:                            ;   in Loop: Header=BB206_11 Depth=1
	s_or_b32 exec_lo, exec_lo, s40
.LBB206_250:                            ;   in Loop: Header=BB206_11 Depth=1
	s_or_b32 exec_lo, exec_lo, s39
.LBB206_251:                            ;   in Loop: Header=BB206_11 Depth=1
	s_or_b32 exec_lo, exec_lo, s3
	global_load_ubyte v0, v[73:74], off offset:904
	v_mov_b32_e32 v119, 0
	v_mov_b32_e32 v120, 0
	s_mov_b32 s3, exec_lo
	s_waitcnt vmcnt(0)
	v_cmpx_ne_u16_e32 0, v0
	s_cbranch_execz .LBB206_259
; %bb.252:                              ;   in Loop: Header=BB206_11 Depth=1
	v_bfrev_b32_e32 v120, 1
	s_mov_b32 s39, exec_lo
	v_cmpx_ne_u16_e32 0x80, v0
	s_cbranch_execz .LBB206_258
; %bb.253:                              ;   in Loop: Header=BB206_11 Depth=1
	v_and_b32_sdwa v66, v0, v86 dst_sel:DWORD dst_unused:UNUSED_PAD src0_sel:WORD_0 src1_sel:DWORD
	v_mov_b32_e32 v120, 0x7f800001
	s_mov_b32 s40, exec_lo
	v_cmpx_ne_u32_e32 0x7f, v66
	s_cbranch_execz .LBB206_257
; %bb.254:                              ;   in Loop: Header=BB206_11 Depth=1
	v_and_b32_sdwa v67, v0, v87 dst_sel:DWORD dst_unused:UNUSED_PAD src0_sel:WORD_0 src1_sel:DWORD
	v_lshrrev_b32_e32 v65, 3, v66
	s_mov_b32 s41, exec_lo
	v_cmpx_gt_u32_e32 8, v66
; %bb.255:                              ;   in Loop: Header=BB206_11 Depth=1
	v_ffbh_u32_e32 v65, v67
	v_min_u32_e32 v65, 32, v65
	v_subrev_nc_u32_e32 v66, 28, v65
	v_sub_nc_u32_e32 v65, 29, v65
	v_lshlrev_b64 v[66:67], v66, v[67:68]
	v_and_b32_e32 v67, 7, v66
; %bb.256:                              ;   in Loop: Header=BB206_11 Depth=1
	s_or_b32 exec_lo, exec_lo, s41
	v_lshlrev_b32_e32 v0, 24, v0
	v_lshlrev_b32_e32 v66, 20, v67
	v_lshl_add_u32 v65, v65, 23, 0x3c000000
	v_and_b32_e32 v0, 0x80000000, v0
	v_or3_b32 v120, v66, v0, v65
.LBB206_257:                            ;   in Loop: Header=BB206_11 Depth=1
	s_or_b32 exec_lo, exec_lo, s40
.LBB206_258:                            ;   in Loop: Header=BB206_11 Depth=1
	s_or_b32 exec_lo, exec_lo, s39
.LBB206_259:                            ;   in Loop: Header=BB206_11 Depth=1
	s_or_b32 exec_lo, exec_lo, s3
	global_load_ubyte v0, v[73:74], off offset:908
	s_mov_b32 s3, exec_lo
	s_waitcnt vmcnt(0)
	v_cmpx_ne_u16_e32 0, v0
	s_cbranch_execz .LBB206_267
; %bb.260:                              ;   in Loop: Header=BB206_11 Depth=1
	v_bfrev_b32_e32 v119, 1
	s_mov_b32 s39, exec_lo
	v_cmpx_ne_u16_e32 0x80, v0
	s_cbranch_execz .LBB206_266
; %bb.261:                              ;   in Loop: Header=BB206_11 Depth=1
	v_and_b32_sdwa v66, v0, v86 dst_sel:DWORD dst_unused:UNUSED_PAD src0_sel:WORD_0 src1_sel:DWORD
	v_mov_b32_e32 v119, 0x7f800001
	s_mov_b32 s40, exec_lo
	v_cmpx_ne_u32_e32 0x7f, v66
	s_cbranch_execz .LBB206_265
; %bb.262:                              ;   in Loop: Header=BB206_11 Depth=1
	v_and_b32_sdwa v67, v0, v87 dst_sel:DWORD dst_unused:UNUSED_PAD src0_sel:WORD_0 src1_sel:DWORD
	v_lshrrev_b32_e32 v65, 3, v66
	s_mov_b32 s41, exec_lo
	v_cmpx_gt_u32_e32 8, v66
; %bb.263:                              ;   in Loop: Header=BB206_11 Depth=1
	v_ffbh_u32_e32 v65, v67
	v_min_u32_e32 v65, 32, v65
	v_subrev_nc_u32_e32 v66, 28, v65
	v_sub_nc_u32_e32 v65, 29, v65
	v_lshlrev_b64 v[66:67], v66, v[67:68]
	v_and_b32_e32 v67, 7, v66
; %bb.264:                              ;   in Loop: Header=BB206_11 Depth=1
	s_or_b32 exec_lo, exec_lo, s41
	v_lshlrev_b32_e32 v0, 24, v0
	v_lshlrev_b32_e32 v66, 20, v67
	v_lshl_add_u32 v65, v65, 23, 0x3c000000
	v_and_b32_e32 v0, 0x80000000, v0
	v_or3_b32 v119, v66, v0, v65
.LBB206_265:                            ;   in Loop: Header=BB206_11 Depth=1
	s_or_b32 exec_lo, exec_lo, s40
.LBB206_266:                            ;   in Loop: Header=BB206_11 Depth=1
	s_or_b32 exec_lo, exec_lo, s39
.LBB206_267:                            ;   in Loop: Header=BB206_11 Depth=1
	s_or_b32 exec_lo, exec_lo, s3
	global_load_ubyte v0, v[73:74], off offset:1024
	v_mov_b32_e32 v121, 0
	v_mov_b32_e32 v122, 0
	s_mov_b32 s3, exec_lo
	s_waitcnt vmcnt(0)
	v_cmpx_ne_u16_e32 0, v0
	s_cbranch_execz .LBB206_275
; %bb.268:                              ;   in Loop: Header=BB206_11 Depth=1
	v_bfrev_b32_e32 v122, 1
	s_mov_b32 s39, exec_lo
	v_cmpx_ne_u16_e32 0x80, v0
	s_cbranch_execz .LBB206_274
; %bb.269:                              ;   in Loop: Header=BB206_11 Depth=1
	v_and_b32_sdwa v66, v0, v86 dst_sel:DWORD dst_unused:UNUSED_PAD src0_sel:WORD_0 src1_sel:DWORD
	v_mov_b32_e32 v122, 0x7f800001
	s_mov_b32 s40, exec_lo
	v_cmpx_ne_u32_e32 0x7f, v66
	s_cbranch_execz .LBB206_273
; %bb.270:                              ;   in Loop: Header=BB206_11 Depth=1
	v_and_b32_sdwa v67, v0, v87 dst_sel:DWORD dst_unused:UNUSED_PAD src0_sel:WORD_0 src1_sel:DWORD
	v_lshrrev_b32_e32 v65, 3, v66
	s_mov_b32 s41, exec_lo
	v_cmpx_gt_u32_e32 8, v66
; %bb.271:                              ;   in Loop: Header=BB206_11 Depth=1
	v_ffbh_u32_e32 v65, v67
	v_min_u32_e32 v65, 32, v65
	v_subrev_nc_u32_e32 v66, 28, v65
	v_sub_nc_u32_e32 v65, 29, v65
	v_lshlrev_b64 v[66:67], v66, v[67:68]
	v_and_b32_e32 v67, 7, v66
; %bb.272:                              ;   in Loop: Header=BB206_11 Depth=1
	s_or_b32 exec_lo, exec_lo, s41
	v_lshlrev_b32_e32 v0, 24, v0
	v_lshlrev_b32_e32 v66, 20, v67
	v_lshl_add_u32 v65, v65, 23, 0x3c000000
	v_and_b32_e32 v0, 0x80000000, v0
	v_or3_b32 v122, v66, v0, v65
.LBB206_273:                            ;   in Loop: Header=BB206_11 Depth=1
	s_or_b32 exec_lo, exec_lo, s40
.LBB206_274:                            ;   in Loop: Header=BB206_11 Depth=1
	s_or_b32 exec_lo, exec_lo, s39
.LBB206_275:                            ;   in Loop: Header=BB206_11 Depth=1
	s_or_b32 exec_lo, exec_lo, s3
	global_load_ubyte v0, v[73:74], off offset:1028
	s_mov_b32 s3, exec_lo
	s_waitcnt vmcnt(0)
	v_cmpx_ne_u16_e32 0, v0
	s_cbranch_execz .LBB206_283
; %bb.276:                              ;   in Loop: Header=BB206_11 Depth=1
	v_bfrev_b32_e32 v121, 1
	s_mov_b32 s39, exec_lo
	v_cmpx_ne_u16_e32 0x80, v0
	s_cbranch_execz .LBB206_282
; %bb.277:                              ;   in Loop: Header=BB206_11 Depth=1
	v_and_b32_sdwa v66, v0, v86 dst_sel:DWORD dst_unused:UNUSED_PAD src0_sel:WORD_0 src1_sel:DWORD
	v_mov_b32_e32 v121, 0x7f800001
	s_mov_b32 s40, exec_lo
	v_cmpx_ne_u32_e32 0x7f, v66
	s_cbranch_execz .LBB206_281
; %bb.278:                              ;   in Loop: Header=BB206_11 Depth=1
	v_and_b32_sdwa v67, v0, v87 dst_sel:DWORD dst_unused:UNUSED_PAD src0_sel:WORD_0 src1_sel:DWORD
	v_lshrrev_b32_e32 v65, 3, v66
	s_mov_b32 s41, exec_lo
	v_cmpx_gt_u32_e32 8, v66
; %bb.279:                              ;   in Loop: Header=BB206_11 Depth=1
	v_ffbh_u32_e32 v65, v67
	v_min_u32_e32 v65, 32, v65
	v_subrev_nc_u32_e32 v66, 28, v65
	v_sub_nc_u32_e32 v65, 29, v65
	v_lshlrev_b64 v[66:67], v66, v[67:68]
	v_and_b32_e32 v67, 7, v66
; %bb.280:                              ;   in Loop: Header=BB206_11 Depth=1
	s_or_b32 exec_lo, exec_lo, s41
	v_lshlrev_b32_e32 v0, 24, v0
	v_lshlrev_b32_e32 v66, 20, v67
	v_lshl_add_u32 v65, v65, 23, 0x3c000000
	v_and_b32_e32 v0, 0x80000000, v0
	v_or3_b32 v121, v66, v0, v65
.LBB206_281:                            ;   in Loop: Header=BB206_11 Depth=1
	s_or_b32 exec_lo, exec_lo, s40
.LBB206_282:                            ;   in Loop: Header=BB206_11 Depth=1
	s_or_b32 exec_lo, exec_lo, s39
.LBB206_283:                            ;   in Loop: Header=BB206_11 Depth=1
	s_or_b32 exec_lo, exec_lo, s3
	global_load_ubyte v0, v[73:74], off offset:1032
	v_mov_b32_e32 v123, 0
	v_mov_b32_e32 v124, 0
	s_mov_b32 s3, exec_lo
	s_waitcnt vmcnt(0)
	v_cmpx_ne_u16_e32 0, v0
	s_cbranch_execz .LBB206_291
; %bb.284:                              ;   in Loop: Header=BB206_11 Depth=1
	v_bfrev_b32_e32 v124, 1
	s_mov_b32 s39, exec_lo
	v_cmpx_ne_u16_e32 0x80, v0
	s_cbranch_execz .LBB206_290
; %bb.285:                              ;   in Loop: Header=BB206_11 Depth=1
	v_and_b32_sdwa v66, v0, v86 dst_sel:DWORD dst_unused:UNUSED_PAD src0_sel:WORD_0 src1_sel:DWORD
	v_mov_b32_e32 v124, 0x7f800001
	s_mov_b32 s40, exec_lo
	v_cmpx_ne_u32_e32 0x7f, v66
	s_cbranch_execz .LBB206_289
; %bb.286:                              ;   in Loop: Header=BB206_11 Depth=1
	v_and_b32_sdwa v67, v0, v87 dst_sel:DWORD dst_unused:UNUSED_PAD src0_sel:WORD_0 src1_sel:DWORD
	v_lshrrev_b32_e32 v65, 3, v66
	s_mov_b32 s41, exec_lo
	v_cmpx_gt_u32_e32 8, v66
; %bb.287:                              ;   in Loop: Header=BB206_11 Depth=1
	v_ffbh_u32_e32 v65, v67
	v_min_u32_e32 v65, 32, v65
	v_subrev_nc_u32_e32 v66, 28, v65
	v_sub_nc_u32_e32 v65, 29, v65
	v_lshlrev_b64 v[66:67], v66, v[67:68]
	v_and_b32_e32 v67, 7, v66
; %bb.288:                              ;   in Loop: Header=BB206_11 Depth=1
	s_or_b32 exec_lo, exec_lo, s41
	v_lshlrev_b32_e32 v0, 24, v0
	v_lshlrev_b32_e32 v66, 20, v67
	v_lshl_add_u32 v65, v65, 23, 0x3c000000
	v_and_b32_e32 v0, 0x80000000, v0
	v_or3_b32 v124, v66, v0, v65
.LBB206_289:                            ;   in Loop: Header=BB206_11 Depth=1
	s_or_b32 exec_lo, exec_lo, s40
.LBB206_290:                            ;   in Loop: Header=BB206_11 Depth=1
	s_or_b32 exec_lo, exec_lo, s39
.LBB206_291:                            ;   in Loop: Header=BB206_11 Depth=1
	s_or_b32 exec_lo, exec_lo, s3
	global_load_ubyte v0, v[73:74], off offset:1036
	s_mov_b32 s3, exec_lo
	s_waitcnt vmcnt(0)
	v_cmpx_ne_u16_e32 0, v0
	s_cbranch_execz .LBB206_299
; %bb.292:                              ;   in Loop: Header=BB206_11 Depth=1
	v_bfrev_b32_e32 v123, 1
	s_mov_b32 s39, exec_lo
	v_cmpx_ne_u16_e32 0x80, v0
	s_cbranch_execz .LBB206_298
; %bb.293:                              ;   in Loop: Header=BB206_11 Depth=1
	v_and_b32_sdwa v66, v0, v86 dst_sel:DWORD dst_unused:UNUSED_PAD src0_sel:WORD_0 src1_sel:DWORD
	v_mov_b32_e32 v123, 0x7f800001
	s_mov_b32 s40, exec_lo
	v_cmpx_ne_u32_e32 0x7f, v66
	s_cbranch_execz .LBB206_297
; %bb.294:                              ;   in Loop: Header=BB206_11 Depth=1
	v_and_b32_sdwa v67, v0, v87 dst_sel:DWORD dst_unused:UNUSED_PAD src0_sel:WORD_0 src1_sel:DWORD
	v_lshrrev_b32_e32 v65, 3, v66
	s_mov_b32 s41, exec_lo
	v_cmpx_gt_u32_e32 8, v66
; %bb.295:                              ;   in Loop: Header=BB206_11 Depth=1
	v_ffbh_u32_e32 v65, v67
	v_min_u32_e32 v65, 32, v65
	v_subrev_nc_u32_e32 v66, 28, v65
	v_sub_nc_u32_e32 v65, 29, v65
	v_lshlrev_b64 v[66:67], v66, v[67:68]
	v_and_b32_e32 v67, 7, v66
; %bb.296:                              ;   in Loop: Header=BB206_11 Depth=1
	s_or_b32 exec_lo, exec_lo, s41
	v_lshlrev_b32_e32 v0, 24, v0
	v_lshlrev_b32_e32 v66, 20, v67
	v_lshl_add_u32 v65, v65, 23, 0x3c000000
	v_and_b32_e32 v0, 0x80000000, v0
	v_or3_b32 v123, v66, v0, v65
.LBB206_297:                            ;   in Loop: Header=BB206_11 Depth=1
	s_or_b32 exec_lo, exec_lo, s40
.LBB206_298:                            ;   in Loop: Header=BB206_11 Depth=1
	s_or_b32 exec_lo, exec_lo, s39
.LBB206_299:                            ;   in Loop: Header=BB206_11 Depth=1
	s_or_b32 exec_lo, exec_lo, s3
	global_load_ubyte v0, v[73:74], off offset:1152
	v_mov_b32_e32 v125, 0
	v_mov_b32_e32 v126, 0
	s_mov_b32 s3, exec_lo
	s_waitcnt vmcnt(0)
	v_cmpx_ne_u16_e32 0, v0
	s_cbranch_execz .LBB206_307
; %bb.300:                              ;   in Loop: Header=BB206_11 Depth=1
	v_bfrev_b32_e32 v126, 1
	s_mov_b32 s39, exec_lo
	v_cmpx_ne_u16_e32 0x80, v0
	s_cbranch_execz .LBB206_306
; %bb.301:                              ;   in Loop: Header=BB206_11 Depth=1
	v_and_b32_sdwa v66, v0, v86 dst_sel:DWORD dst_unused:UNUSED_PAD src0_sel:WORD_0 src1_sel:DWORD
	v_mov_b32_e32 v126, 0x7f800001
	s_mov_b32 s40, exec_lo
	v_cmpx_ne_u32_e32 0x7f, v66
	s_cbranch_execz .LBB206_305
; %bb.302:                              ;   in Loop: Header=BB206_11 Depth=1
	v_and_b32_sdwa v67, v0, v87 dst_sel:DWORD dst_unused:UNUSED_PAD src0_sel:WORD_0 src1_sel:DWORD
	v_lshrrev_b32_e32 v65, 3, v66
	s_mov_b32 s41, exec_lo
	v_cmpx_gt_u32_e32 8, v66
; %bb.303:                              ;   in Loop: Header=BB206_11 Depth=1
	v_ffbh_u32_e32 v65, v67
	v_min_u32_e32 v65, 32, v65
	v_subrev_nc_u32_e32 v66, 28, v65
	v_sub_nc_u32_e32 v65, 29, v65
	v_lshlrev_b64 v[66:67], v66, v[67:68]
	v_and_b32_e32 v67, 7, v66
; %bb.304:                              ;   in Loop: Header=BB206_11 Depth=1
	s_or_b32 exec_lo, exec_lo, s41
	v_lshlrev_b32_e32 v0, 24, v0
	v_lshlrev_b32_e32 v66, 20, v67
	v_lshl_add_u32 v65, v65, 23, 0x3c000000
	v_and_b32_e32 v0, 0x80000000, v0
	v_or3_b32 v126, v66, v0, v65
.LBB206_305:                            ;   in Loop: Header=BB206_11 Depth=1
	s_or_b32 exec_lo, exec_lo, s40
.LBB206_306:                            ;   in Loop: Header=BB206_11 Depth=1
	s_or_b32 exec_lo, exec_lo, s39
.LBB206_307:                            ;   in Loop: Header=BB206_11 Depth=1
	s_or_b32 exec_lo, exec_lo, s3
	global_load_ubyte v0, v[73:74], off offset:1156
	s_mov_b32 s3, exec_lo
	s_waitcnt vmcnt(0)
	v_cmpx_ne_u16_e32 0, v0
	s_cbranch_execz .LBB206_315
; %bb.308:                              ;   in Loop: Header=BB206_11 Depth=1
	v_bfrev_b32_e32 v125, 1
	s_mov_b32 s39, exec_lo
	v_cmpx_ne_u16_e32 0x80, v0
	s_cbranch_execz .LBB206_314
; %bb.309:                              ;   in Loop: Header=BB206_11 Depth=1
	v_and_b32_sdwa v66, v0, v86 dst_sel:DWORD dst_unused:UNUSED_PAD src0_sel:WORD_0 src1_sel:DWORD
	v_mov_b32_e32 v125, 0x7f800001
	s_mov_b32 s40, exec_lo
	v_cmpx_ne_u32_e32 0x7f, v66
	s_cbranch_execz .LBB206_313
; %bb.310:                              ;   in Loop: Header=BB206_11 Depth=1
	v_and_b32_sdwa v67, v0, v87 dst_sel:DWORD dst_unused:UNUSED_PAD src0_sel:WORD_0 src1_sel:DWORD
	v_lshrrev_b32_e32 v65, 3, v66
	s_mov_b32 s41, exec_lo
	v_cmpx_gt_u32_e32 8, v66
; %bb.311:                              ;   in Loop: Header=BB206_11 Depth=1
	v_ffbh_u32_e32 v65, v67
	v_min_u32_e32 v65, 32, v65
	v_subrev_nc_u32_e32 v66, 28, v65
	v_sub_nc_u32_e32 v65, 29, v65
	v_lshlrev_b64 v[66:67], v66, v[67:68]
	v_and_b32_e32 v67, 7, v66
; %bb.312:                              ;   in Loop: Header=BB206_11 Depth=1
	s_or_b32 exec_lo, exec_lo, s41
	v_lshlrev_b32_e32 v0, 24, v0
	v_lshlrev_b32_e32 v66, 20, v67
	v_lshl_add_u32 v65, v65, 23, 0x3c000000
	v_and_b32_e32 v0, 0x80000000, v0
	v_or3_b32 v125, v66, v0, v65
.LBB206_313:                            ;   in Loop: Header=BB206_11 Depth=1
	s_or_b32 exec_lo, exec_lo, s40
.LBB206_314:                            ;   in Loop: Header=BB206_11 Depth=1
	s_or_b32 exec_lo, exec_lo, s39
.LBB206_315:                            ;   in Loop: Header=BB206_11 Depth=1
	s_or_b32 exec_lo, exec_lo, s3
	global_load_ubyte v0, v[73:74], off offset:1160
	v_mov_b32_e32 v127, 0
	v_mov_b32_e32 v78, 0
	s_mov_b32 s3, exec_lo
	s_waitcnt vmcnt(0)
	v_cmpx_ne_u16_e32 0, v0
	s_cbranch_execz .LBB206_323
; %bb.316:                              ;   in Loop: Header=BB206_11 Depth=1
	v_bfrev_b32_e32 v78, 1
	s_mov_b32 s39, exec_lo
	v_cmpx_ne_u16_e32 0x80, v0
	s_cbranch_execz .LBB206_322
; %bb.317:                              ;   in Loop: Header=BB206_11 Depth=1
	v_and_b32_sdwa v66, v0, v86 dst_sel:DWORD dst_unused:UNUSED_PAD src0_sel:WORD_0 src1_sel:DWORD
	v_mov_b32_e32 v78, 0x7f800001
	s_mov_b32 s40, exec_lo
	v_cmpx_ne_u32_e32 0x7f, v66
	s_cbranch_execz .LBB206_321
; %bb.318:                              ;   in Loop: Header=BB206_11 Depth=1
	v_and_b32_sdwa v67, v0, v87 dst_sel:DWORD dst_unused:UNUSED_PAD src0_sel:WORD_0 src1_sel:DWORD
	v_lshrrev_b32_e32 v65, 3, v66
	s_mov_b32 s41, exec_lo
	v_cmpx_gt_u32_e32 8, v66
; %bb.319:                              ;   in Loop: Header=BB206_11 Depth=1
	v_ffbh_u32_e32 v65, v67
	v_min_u32_e32 v65, 32, v65
	v_subrev_nc_u32_e32 v66, 28, v65
	v_sub_nc_u32_e32 v65, 29, v65
	v_lshlrev_b64 v[66:67], v66, v[67:68]
	v_and_b32_e32 v67, 7, v66
; %bb.320:                              ;   in Loop: Header=BB206_11 Depth=1
	s_or_b32 exec_lo, exec_lo, s41
	v_lshlrev_b32_e32 v0, 24, v0
	v_lshlrev_b32_e32 v66, 20, v67
	v_lshl_add_u32 v65, v65, 23, 0x3c000000
	v_and_b32_e32 v0, 0x80000000, v0
	v_or3_b32 v78, v66, v0, v65
.LBB206_321:                            ;   in Loop: Header=BB206_11 Depth=1
	s_or_b32 exec_lo, exec_lo, s40
.LBB206_322:                            ;   in Loop: Header=BB206_11 Depth=1
	s_or_b32 exec_lo, exec_lo, s39
.LBB206_323:                            ;   in Loop: Header=BB206_11 Depth=1
	s_or_b32 exec_lo, exec_lo, s3
	global_load_ubyte v0, v[73:74], off offset:1164
	s_mov_b32 s3, exec_lo
	s_waitcnt vmcnt(0)
	v_cmpx_ne_u16_e32 0, v0
	s_cbranch_execz .LBB206_331
; %bb.324:                              ;   in Loop: Header=BB206_11 Depth=1
	v_bfrev_b32_e32 v127, 1
	s_mov_b32 s39, exec_lo
	v_cmpx_ne_u16_e32 0x80, v0
	s_cbranch_execz .LBB206_330
; %bb.325:                              ;   in Loop: Header=BB206_11 Depth=1
	v_and_b32_sdwa v66, v0, v86 dst_sel:DWORD dst_unused:UNUSED_PAD src0_sel:WORD_0 src1_sel:DWORD
	v_mov_b32_e32 v127, 0x7f800001
	s_mov_b32 s40, exec_lo
	v_cmpx_ne_u32_e32 0x7f, v66
	s_cbranch_execz .LBB206_329
; %bb.326:                              ;   in Loop: Header=BB206_11 Depth=1
	v_and_b32_sdwa v67, v0, v87 dst_sel:DWORD dst_unused:UNUSED_PAD src0_sel:WORD_0 src1_sel:DWORD
	v_lshrrev_b32_e32 v65, 3, v66
	s_mov_b32 s41, exec_lo
	v_cmpx_gt_u32_e32 8, v66
; %bb.327:                              ;   in Loop: Header=BB206_11 Depth=1
	v_ffbh_u32_e32 v65, v67
	v_min_u32_e32 v65, 32, v65
	v_subrev_nc_u32_e32 v66, 28, v65
	v_sub_nc_u32_e32 v65, 29, v65
	v_lshlrev_b64 v[66:67], v66, v[67:68]
	v_and_b32_e32 v67, 7, v66
; %bb.328:                              ;   in Loop: Header=BB206_11 Depth=1
	s_or_b32 exec_lo, exec_lo, s41
	v_lshlrev_b32_e32 v0, 24, v0
	v_lshlrev_b32_e32 v66, 20, v67
	v_lshl_add_u32 v65, v65, 23, 0x3c000000
	v_and_b32_e32 v0, 0x80000000, v0
	v_or3_b32 v127, v66, v0, v65
.LBB206_329:                            ;   in Loop: Header=BB206_11 Depth=1
	s_or_b32 exec_lo, exec_lo, s40
.LBB206_330:                            ;   in Loop: Header=BB206_11 Depth=1
	s_or_b32 exec_lo, exec_lo, s39
.LBB206_331:                            ;   in Loop: Header=BB206_11 Depth=1
	s_or_b32 exec_lo, exec_lo, s3
	global_load_ubyte v0, v[73:74], off offset:1280
	v_mov_b32_e32 v77, 0
	v_mov_b32_e32 v80, 0
	s_mov_b32 s3, exec_lo
	s_waitcnt vmcnt(0)
	v_cmpx_ne_u16_e32 0, v0
	s_cbranch_execz .LBB206_339
; %bb.332:                              ;   in Loop: Header=BB206_11 Depth=1
	v_bfrev_b32_e32 v80, 1
	s_mov_b32 s39, exec_lo
	v_cmpx_ne_u16_e32 0x80, v0
	s_cbranch_execz .LBB206_338
; %bb.333:                              ;   in Loop: Header=BB206_11 Depth=1
	v_and_b32_sdwa v66, v0, v86 dst_sel:DWORD dst_unused:UNUSED_PAD src0_sel:WORD_0 src1_sel:DWORD
	v_mov_b32_e32 v80, 0x7f800001
	s_mov_b32 s40, exec_lo
	v_cmpx_ne_u32_e32 0x7f, v66
	s_cbranch_execz .LBB206_337
; %bb.334:                              ;   in Loop: Header=BB206_11 Depth=1
	v_and_b32_sdwa v67, v0, v87 dst_sel:DWORD dst_unused:UNUSED_PAD src0_sel:WORD_0 src1_sel:DWORD
	v_lshrrev_b32_e32 v65, 3, v66
	s_mov_b32 s41, exec_lo
	v_cmpx_gt_u32_e32 8, v66
; %bb.335:                              ;   in Loop: Header=BB206_11 Depth=1
	v_ffbh_u32_e32 v65, v67
	v_min_u32_e32 v65, 32, v65
	v_subrev_nc_u32_e32 v66, 28, v65
	v_sub_nc_u32_e32 v65, 29, v65
	v_lshlrev_b64 v[66:67], v66, v[67:68]
	v_and_b32_e32 v67, 7, v66
; %bb.336:                              ;   in Loop: Header=BB206_11 Depth=1
	s_or_b32 exec_lo, exec_lo, s41
	v_lshlrev_b32_e32 v0, 24, v0
	v_lshlrev_b32_e32 v66, 20, v67
	v_lshl_add_u32 v65, v65, 23, 0x3c000000
	v_and_b32_e32 v0, 0x80000000, v0
	v_or3_b32 v80, v66, v0, v65
.LBB206_337:                            ;   in Loop: Header=BB206_11 Depth=1
	s_or_b32 exec_lo, exec_lo, s40
.LBB206_338:                            ;   in Loop: Header=BB206_11 Depth=1
	s_or_b32 exec_lo, exec_lo, s39
.LBB206_339:                            ;   in Loop: Header=BB206_11 Depth=1
	s_or_b32 exec_lo, exec_lo, s3
	global_load_ubyte v0, v[73:74], off offset:1284
	s_mov_b32 s3, exec_lo
	s_waitcnt vmcnt(0)
	v_cmpx_ne_u16_e32 0, v0
	s_cbranch_execz .LBB206_347
; %bb.340:                              ;   in Loop: Header=BB206_11 Depth=1
	v_bfrev_b32_e32 v77, 1
	s_mov_b32 s39, exec_lo
	v_cmpx_ne_u16_e32 0x80, v0
	s_cbranch_execz .LBB206_346
; %bb.341:                              ;   in Loop: Header=BB206_11 Depth=1
	v_and_b32_sdwa v66, v0, v86 dst_sel:DWORD dst_unused:UNUSED_PAD src0_sel:WORD_0 src1_sel:DWORD
	v_mov_b32_e32 v77, 0x7f800001
	s_mov_b32 s40, exec_lo
	v_cmpx_ne_u32_e32 0x7f, v66
	s_cbranch_execz .LBB206_345
; %bb.342:                              ;   in Loop: Header=BB206_11 Depth=1
	v_and_b32_sdwa v67, v0, v87 dst_sel:DWORD dst_unused:UNUSED_PAD src0_sel:WORD_0 src1_sel:DWORD
	v_lshrrev_b32_e32 v65, 3, v66
	s_mov_b32 s41, exec_lo
	v_cmpx_gt_u32_e32 8, v66
; %bb.343:                              ;   in Loop: Header=BB206_11 Depth=1
	v_ffbh_u32_e32 v65, v67
	v_min_u32_e32 v65, 32, v65
	v_subrev_nc_u32_e32 v66, 28, v65
	v_sub_nc_u32_e32 v65, 29, v65
	v_lshlrev_b64 v[66:67], v66, v[67:68]
	v_and_b32_e32 v67, 7, v66
; %bb.344:                              ;   in Loop: Header=BB206_11 Depth=1
	s_or_b32 exec_lo, exec_lo, s41
	v_lshlrev_b32_e32 v0, 24, v0
	v_lshlrev_b32_e32 v66, 20, v67
	v_lshl_add_u32 v65, v65, 23, 0x3c000000
	v_and_b32_e32 v0, 0x80000000, v0
	v_or3_b32 v77, v66, v0, v65
.LBB206_345:                            ;   in Loop: Header=BB206_11 Depth=1
	s_or_b32 exec_lo, exec_lo, s40
.LBB206_346:                            ;   in Loop: Header=BB206_11 Depth=1
	s_or_b32 exec_lo, exec_lo, s39
.LBB206_347:                            ;   in Loop: Header=BB206_11 Depth=1
	s_or_b32 exec_lo, exec_lo, s3
	global_load_ubyte v65, v[73:74], off offset:1288
	v_mov_b32_e32 v79, 0
	v_mov_b32_e32 v0, 0
	s_mov_b32 s3, exec_lo
	s_waitcnt vmcnt(0)
	v_cmpx_ne_u16_e32 0, v65
	s_cbranch_execz .LBB206_355
; %bb.348:                              ;   in Loop: Header=BB206_11 Depth=1
	v_bfrev_b32_e32 v0, 1
	s_mov_b32 s39, exec_lo
	v_cmpx_ne_u16_e32 0x80, v65
	s_cbranch_execz .LBB206_354
; %bb.349:                              ;   in Loop: Header=BB206_11 Depth=1
	v_and_b32_sdwa v66, v65, v86 dst_sel:DWORD dst_unused:UNUSED_PAD src0_sel:WORD_0 src1_sel:DWORD
	v_mov_b32_e32 v0, 0x7f800001
	s_mov_b32 s40, exec_lo
	v_cmpx_ne_u32_e32 0x7f, v66
	s_cbranch_execz .LBB206_353
; %bb.350:                              ;   in Loop: Header=BB206_11 Depth=1
	v_and_b32_sdwa v67, v65, v87 dst_sel:DWORD dst_unused:UNUSED_PAD src0_sel:WORD_0 src1_sel:DWORD
	v_lshrrev_b32_e32 v0, 3, v66
	s_mov_b32 s41, exec_lo
	v_cmpx_gt_u32_e32 8, v66
; %bb.351:                              ;   in Loop: Header=BB206_11 Depth=1
	v_ffbh_u32_e32 v0, v67
	v_min_u32_e32 v0, 32, v0
	v_subrev_nc_u32_e32 v66, 28, v0
	v_sub_nc_u32_e32 v0, 29, v0
	v_lshlrev_b64 v[66:67], v66, v[67:68]
	v_and_b32_e32 v67, 7, v66
; %bb.352:                              ;   in Loop: Header=BB206_11 Depth=1
	s_or_b32 exec_lo, exec_lo, s41
	v_lshlrev_b32_e32 v65, 24, v65
	v_lshlrev_b32_e32 v66, 20, v67
	v_lshl_add_u32 v0, v0, 23, 0x3c000000
	v_and_b32_e32 v65, 0x80000000, v65
	v_or3_b32 v0, v66, v65, v0
.LBB206_353:                            ;   in Loop: Header=BB206_11 Depth=1
	s_or_b32 exec_lo, exec_lo, s40
.LBB206_354:                            ;   in Loop: Header=BB206_11 Depth=1
	s_or_b32 exec_lo, exec_lo, s39
.LBB206_355:                            ;   in Loop: Header=BB206_11 Depth=1
	s_or_b32 exec_lo, exec_lo, s3
	global_load_ubyte v65, v[73:74], off offset:1292
	s_mov_b32 s3, exec_lo
	s_waitcnt vmcnt(0)
	v_cmpx_ne_u16_e32 0, v65
	s_cbranch_execz .LBB206_363
; %bb.356:                              ;   in Loop: Header=BB206_11 Depth=1
	v_bfrev_b32_e32 v79, 1
	s_mov_b32 s39, exec_lo
	v_cmpx_ne_u16_e32 0x80, v65
	s_cbranch_execz .LBB206_362
; %bb.357:                              ;   in Loop: Header=BB206_11 Depth=1
	v_and_b32_sdwa v69, v65, v86 dst_sel:DWORD dst_unused:UNUSED_PAD src0_sel:WORD_0 src1_sel:DWORD
	v_mov_b32_e32 v79, 0x7f800001
	s_mov_b32 s40, exec_lo
	v_cmpx_ne_u32_e32 0x7f, v69
	s_cbranch_execz .LBB206_361
; %bb.358:                              ;   in Loop: Header=BB206_11 Depth=1
	v_and_b32_sdwa v67, v65, v87 dst_sel:DWORD dst_unused:UNUSED_PAD src0_sel:WORD_0 src1_sel:DWORD
	v_lshrrev_b32_e32 v66, 3, v69
	s_mov_b32 s41, exec_lo
	v_cmpx_gt_u32_e32 8, v69
; %bb.359:                              ;   in Loop: Header=BB206_11 Depth=1
	v_ffbh_u32_e32 v66, v67
	v_min_u32_e32 v66, 32, v66
	v_subrev_nc_u32_e32 v69, 28, v66
	v_sub_nc_u32_e32 v66, 29, v66
	v_lshlrev_b64 v[69:70], v69, v[67:68]
	v_and_b32_e32 v67, 7, v69
; %bb.360:                              ;   in Loop: Header=BB206_11 Depth=1
	s_or_b32 exec_lo, exec_lo, s41
	v_lshlrev_b32_e32 v65, 24, v65
	v_lshlrev_b32_e32 v67, 20, v67
	v_lshl_add_u32 v66, v66, 23, 0x3c000000
	v_and_b32_e32 v65, 0x80000000, v65
	v_or3_b32 v79, v67, v65, v66
.LBB206_361:                            ;   in Loop: Header=BB206_11 Depth=1
	s_or_b32 exec_lo, exec_lo, s40
.LBB206_362:                            ;   in Loop: Header=BB206_11 Depth=1
	s_or_b32 exec_lo, exec_lo, s39
.LBB206_363:                            ;   in Loop: Header=BB206_11 Depth=1
	s_or_b32 exec_lo, exec_lo, s3
	global_load_ubyte v65, v[73:74], off offset:1408
	v_mov_b32_e32 v81, 0
	v_mov_b32_e32 v82, 0
	s_mov_b32 s3, exec_lo
	s_waitcnt vmcnt(0)
	v_cmpx_ne_u16_e32 0, v65
	s_cbranch_execz .LBB206_371
; %bb.364:                              ;   in Loop: Header=BB206_11 Depth=1
	v_bfrev_b32_e32 v82, 1
	s_mov_b32 s39, exec_lo
	v_cmpx_ne_u16_e32 0x80, v65
	s_cbranch_execz .LBB206_370
; %bb.365:                              ;   in Loop: Header=BB206_11 Depth=1
	v_and_b32_sdwa v69, v65, v86 dst_sel:DWORD dst_unused:UNUSED_PAD src0_sel:WORD_0 src1_sel:DWORD
	v_mov_b32_e32 v82, 0x7f800001
	s_mov_b32 s40, exec_lo
	v_cmpx_ne_u32_e32 0x7f, v69
	s_cbranch_execz .LBB206_369
; %bb.366:                              ;   in Loop: Header=BB206_11 Depth=1
	v_and_b32_sdwa v67, v65, v87 dst_sel:DWORD dst_unused:UNUSED_PAD src0_sel:WORD_0 src1_sel:DWORD
	v_lshrrev_b32_e32 v66, 3, v69
	s_mov_b32 s41, exec_lo
	v_cmpx_gt_u32_e32 8, v69
; %bb.367:                              ;   in Loop: Header=BB206_11 Depth=1
	v_ffbh_u32_e32 v66, v67
	v_min_u32_e32 v66, 32, v66
	v_subrev_nc_u32_e32 v69, 28, v66
	v_sub_nc_u32_e32 v66, 29, v66
	v_lshlrev_b64 v[69:70], v69, v[67:68]
	v_and_b32_e32 v67, 7, v69
; %bb.368:                              ;   in Loop: Header=BB206_11 Depth=1
	s_or_b32 exec_lo, exec_lo, s41
	v_lshlrev_b32_e32 v65, 24, v65
	v_lshlrev_b32_e32 v67, 20, v67
	v_lshl_add_u32 v66, v66, 23, 0x3c000000
	v_and_b32_e32 v65, 0x80000000, v65
	v_or3_b32 v82, v67, v65, v66
.LBB206_369:                            ;   in Loop: Header=BB206_11 Depth=1
	s_or_b32 exec_lo, exec_lo, s40
.LBB206_370:                            ;   in Loop: Header=BB206_11 Depth=1
	s_or_b32 exec_lo, exec_lo, s39
.LBB206_371:                            ;   in Loop: Header=BB206_11 Depth=1
	s_or_b32 exec_lo, exec_lo, s3
	global_load_ubyte v65, v[73:74], off offset:1412
	s_mov_b32 s3, exec_lo
	s_waitcnt vmcnt(0)
	v_cmpx_ne_u16_e32 0, v65
	s_cbranch_execz .LBB206_379
; %bb.372:                              ;   in Loop: Header=BB206_11 Depth=1
	v_bfrev_b32_e32 v81, 1
	s_mov_b32 s39, exec_lo
	v_cmpx_ne_u16_e32 0x80, v65
	s_cbranch_execz .LBB206_378
; %bb.373:                              ;   in Loop: Header=BB206_11 Depth=1
	v_and_b32_sdwa v69, v65, v86 dst_sel:DWORD dst_unused:UNUSED_PAD src0_sel:WORD_0 src1_sel:DWORD
	v_mov_b32_e32 v81, 0x7f800001
	s_mov_b32 s40, exec_lo
	v_cmpx_ne_u32_e32 0x7f, v69
	s_cbranch_execz .LBB206_377
; %bb.374:                              ;   in Loop: Header=BB206_11 Depth=1
	v_and_b32_sdwa v67, v65, v87 dst_sel:DWORD dst_unused:UNUSED_PAD src0_sel:WORD_0 src1_sel:DWORD
	v_lshrrev_b32_e32 v66, 3, v69
	s_mov_b32 s41, exec_lo
	v_cmpx_gt_u32_e32 8, v69
; %bb.375:                              ;   in Loop: Header=BB206_11 Depth=1
	v_ffbh_u32_e32 v66, v67
	v_min_u32_e32 v66, 32, v66
	v_subrev_nc_u32_e32 v69, 28, v66
	v_sub_nc_u32_e32 v66, 29, v66
	v_lshlrev_b64 v[69:70], v69, v[67:68]
	v_and_b32_e32 v67, 7, v69
; %bb.376:                              ;   in Loop: Header=BB206_11 Depth=1
	s_or_b32 exec_lo, exec_lo, s41
	v_lshlrev_b32_e32 v65, 24, v65
	v_lshlrev_b32_e32 v67, 20, v67
	v_lshl_add_u32 v66, v66, 23, 0x3c000000
	v_and_b32_e32 v65, 0x80000000, v65
	v_or3_b32 v81, v67, v65, v66
.LBB206_377:                            ;   in Loop: Header=BB206_11 Depth=1
	s_or_b32 exec_lo, exec_lo, s40
.LBB206_378:                            ;   in Loop: Header=BB206_11 Depth=1
	s_or_b32 exec_lo, exec_lo, s39
.LBB206_379:                            ;   in Loop: Header=BB206_11 Depth=1
	s_or_b32 exec_lo, exec_lo, s3
	global_load_ubyte v65, v[73:74], off offset:1416
	v_mov_b32_e32 v69, 0
	v_mov_b32_e32 v70, 0
	s_mov_b32 s3, exec_lo
	s_waitcnt vmcnt(0)
	v_cmpx_ne_u16_e32 0, v65
	s_cbranch_execz .LBB206_387
; %bb.380:                              ;   in Loop: Header=BB206_11 Depth=1
	v_bfrev_b32_e32 v70, 1
	s_mov_b32 s39, exec_lo
	v_cmpx_ne_u16_e32 0x80, v65
	s_cbranch_execz .LBB206_386
; %bb.381:                              ;   in Loop: Header=BB206_11 Depth=1
	v_and_b32_sdwa v75, v65, v86 dst_sel:DWORD dst_unused:UNUSED_PAD src0_sel:WORD_0 src1_sel:DWORD
	v_mov_b32_e32 v70, 0x7f800001
	s_mov_b32 s40, exec_lo
	v_cmpx_ne_u32_e32 0x7f, v75
	s_cbranch_execz .LBB206_385
; %bb.382:                              ;   in Loop: Header=BB206_11 Depth=1
	v_and_b32_sdwa v67, v65, v87 dst_sel:DWORD dst_unused:UNUSED_PAD src0_sel:WORD_0 src1_sel:DWORD
	v_lshrrev_b32_e32 v66, 3, v75
	s_mov_b32 s41, exec_lo
	v_cmpx_gt_u32_e32 8, v75
; %bb.383:                              ;   in Loop: Header=BB206_11 Depth=1
	v_ffbh_u32_e32 v66, v67
	v_min_u32_e32 v66, 32, v66
	v_subrev_nc_u32_e32 v70, 28, v66
	v_sub_nc_u32_e32 v66, 29, v66
	v_lshlrev_b64 v[75:76], v70, v[67:68]
	v_and_b32_e32 v67, 7, v75
; %bb.384:                              ;   in Loop: Header=BB206_11 Depth=1
	s_or_b32 exec_lo, exec_lo, s41
	v_lshlrev_b32_e32 v65, 24, v65
	v_lshlrev_b32_e32 v67, 20, v67
	v_lshl_add_u32 v66, v66, 23, 0x3c000000
	v_and_b32_e32 v65, 0x80000000, v65
	v_or3_b32 v70, v67, v65, v66
.LBB206_385:                            ;   in Loop: Header=BB206_11 Depth=1
	s_or_b32 exec_lo, exec_lo, s40
.LBB206_386:                            ;   in Loop: Header=BB206_11 Depth=1
	s_or_b32 exec_lo, exec_lo, s39
.LBB206_387:                            ;   in Loop: Header=BB206_11 Depth=1
	s_or_b32 exec_lo, exec_lo, s3
	global_load_ubyte v65, v[73:74], off offset:1420
	s_mov_b32 s3, exec_lo
	s_waitcnt vmcnt(0)
	v_cmpx_ne_u16_e32 0, v65
	s_cbranch_execz .LBB206_395
; %bb.388:                              ;   in Loop: Header=BB206_11 Depth=1
	v_bfrev_b32_e32 v69, 1
	s_mov_b32 s39, exec_lo
	v_cmpx_ne_u16_e32 0x80, v65
	s_cbranch_execz .LBB206_394
; %bb.389:                              ;   in Loop: Header=BB206_11 Depth=1
	v_and_b32_sdwa v75, v65, v86 dst_sel:DWORD dst_unused:UNUSED_PAD src0_sel:WORD_0 src1_sel:DWORD
	v_mov_b32_e32 v69, 0x7f800001
	s_mov_b32 s40, exec_lo
	v_cmpx_ne_u32_e32 0x7f, v75
	s_cbranch_execz .LBB206_393
; %bb.390:                              ;   in Loop: Header=BB206_11 Depth=1
	v_and_b32_sdwa v67, v65, v87 dst_sel:DWORD dst_unused:UNUSED_PAD src0_sel:WORD_0 src1_sel:DWORD
	v_lshrrev_b32_e32 v66, 3, v75
	s_mov_b32 s41, exec_lo
	v_cmpx_gt_u32_e32 8, v75
; %bb.391:                              ;   in Loop: Header=BB206_11 Depth=1
	v_ffbh_u32_e32 v66, v67
	v_min_u32_e32 v66, 32, v66
	v_subrev_nc_u32_e32 v69, 28, v66
	v_sub_nc_u32_e32 v66, 29, v66
	v_lshlrev_b64 v[75:76], v69, v[67:68]
	v_and_b32_e32 v67, 7, v75
; %bb.392:                              ;   in Loop: Header=BB206_11 Depth=1
	s_or_b32 exec_lo, exec_lo, s41
	v_lshlrev_b32_e32 v65, 24, v65
	v_lshlrev_b32_e32 v67, 20, v67
	v_lshl_add_u32 v66, v66, 23, 0x3c000000
	v_and_b32_e32 v65, 0x80000000, v65
	v_or3_b32 v69, v67, v65, v66
.LBB206_393:                            ;   in Loop: Header=BB206_11 Depth=1
	s_or_b32 exec_lo, exec_lo, s40
.LBB206_394:                            ;   in Loop: Header=BB206_11 Depth=1
	s_or_b32 exec_lo, exec_lo, s39
.LBB206_395:                            ;   in Loop: Header=BB206_11 Depth=1
	s_or_b32 exec_lo, exec_lo, s3
	global_load_ubyte v65, v[73:74], off offset:1536
	v_mov_b32_e32 v83, 0
	v_mov_b32_e32 v89, 0
	s_mov_b32 s3, exec_lo
	s_waitcnt vmcnt(0)
	v_cmpx_ne_u16_e32 0, v65
	s_cbranch_execz .LBB206_403
; %bb.396:                              ;   in Loop: Header=BB206_11 Depth=1
	v_bfrev_b32_e32 v89, 1
	s_mov_b32 s39, exec_lo
	v_cmpx_ne_u16_e32 0x80, v65
	s_cbranch_execz .LBB206_402
; %bb.397:                              ;   in Loop: Header=BB206_11 Depth=1
	v_and_b32_sdwa v75, v65, v86 dst_sel:DWORD dst_unused:UNUSED_PAD src0_sel:WORD_0 src1_sel:DWORD
	v_mov_b32_e32 v89, 0x7f800001
	s_mov_b32 s40, exec_lo
	v_cmpx_ne_u32_e32 0x7f, v75
	s_cbranch_execz .LBB206_401
; %bb.398:                              ;   in Loop: Header=BB206_11 Depth=1
	v_and_b32_sdwa v67, v65, v87 dst_sel:DWORD dst_unused:UNUSED_PAD src0_sel:WORD_0 src1_sel:DWORD
	v_lshrrev_b32_e32 v66, 3, v75
	s_mov_b32 s41, exec_lo
	v_cmpx_gt_u32_e32 8, v75
; %bb.399:                              ;   in Loop: Header=BB206_11 Depth=1
	v_ffbh_u32_e32 v66, v67
	v_min_u32_e32 v66, 32, v66
	v_subrev_nc_u32_e32 v75, 28, v66
	v_sub_nc_u32_e32 v66, 29, v66
	v_lshlrev_b64 v[75:76], v75, v[67:68]
	v_and_b32_e32 v67, 7, v75
; %bb.400:                              ;   in Loop: Header=BB206_11 Depth=1
	s_or_b32 exec_lo, exec_lo, s41
	v_lshlrev_b32_e32 v65, 24, v65
	v_lshlrev_b32_e32 v67, 20, v67
	v_lshl_add_u32 v66, v66, 23, 0x3c000000
	v_and_b32_e32 v65, 0x80000000, v65
	v_or3_b32 v89, v67, v65, v66
.LBB206_401:                            ;   in Loop: Header=BB206_11 Depth=1
	s_or_b32 exec_lo, exec_lo, s40
.LBB206_402:                            ;   in Loop: Header=BB206_11 Depth=1
	s_or_b32 exec_lo, exec_lo, s39
.LBB206_403:                            ;   in Loop: Header=BB206_11 Depth=1
	s_or_b32 exec_lo, exec_lo, s3
	global_load_ubyte v65, v[73:74], off offset:1540
	s_mov_b32 s3, exec_lo
	s_waitcnt vmcnt(0)
	v_cmpx_ne_u16_e32 0, v65
	s_cbranch_execz .LBB206_411
; %bb.404:                              ;   in Loop: Header=BB206_11 Depth=1
	v_bfrev_b32_e32 v83, 1
	s_mov_b32 s39, exec_lo
	v_cmpx_ne_u16_e32 0x80, v65
	s_cbranch_execz .LBB206_410
; %bb.405:                              ;   in Loop: Header=BB206_11 Depth=1
	v_and_b32_sdwa v75, v65, v86 dst_sel:DWORD dst_unused:UNUSED_PAD src0_sel:WORD_0 src1_sel:DWORD
	v_mov_b32_e32 v83, 0x7f800001
	s_mov_b32 s40, exec_lo
	v_cmpx_ne_u32_e32 0x7f, v75
	s_cbranch_execz .LBB206_409
; %bb.406:                              ;   in Loop: Header=BB206_11 Depth=1
	v_and_b32_sdwa v67, v65, v87 dst_sel:DWORD dst_unused:UNUSED_PAD src0_sel:WORD_0 src1_sel:DWORD
	v_lshrrev_b32_e32 v66, 3, v75
	s_mov_b32 s41, exec_lo
	v_cmpx_gt_u32_e32 8, v75
; %bb.407:                              ;   in Loop: Header=BB206_11 Depth=1
	v_ffbh_u32_e32 v66, v67
	v_min_u32_e32 v66, 32, v66
	v_subrev_nc_u32_e32 v75, 28, v66
	v_sub_nc_u32_e32 v66, 29, v66
	v_lshlrev_b64 v[75:76], v75, v[67:68]
	v_and_b32_e32 v67, 7, v75
; %bb.408:                              ;   in Loop: Header=BB206_11 Depth=1
	s_or_b32 exec_lo, exec_lo, s41
	v_lshlrev_b32_e32 v65, 24, v65
	v_lshlrev_b32_e32 v67, 20, v67
	v_lshl_add_u32 v66, v66, 23, 0x3c000000
	v_and_b32_e32 v65, 0x80000000, v65
	v_or3_b32 v83, v67, v65, v66
.LBB206_409:                            ;   in Loop: Header=BB206_11 Depth=1
	s_or_b32 exec_lo, exec_lo, s40
.LBB206_410:                            ;   in Loop: Header=BB206_11 Depth=1
	s_or_b32 exec_lo, exec_lo, s39
.LBB206_411:                            ;   in Loop: Header=BB206_11 Depth=1
	s_or_b32 exec_lo, exec_lo, s3
	global_load_ubyte v65, v[73:74], off offset:1544
	v_mov_b32_e32 v90, 0
	v_mov_b32_e32 v91, 0
	s_mov_b32 s3, exec_lo
	s_waitcnt vmcnt(0)
	v_cmpx_ne_u16_e32 0, v65
	s_cbranch_execz .LBB206_419
; %bb.412:                              ;   in Loop: Header=BB206_11 Depth=1
	v_bfrev_b32_e32 v91, 1
	s_mov_b32 s39, exec_lo
	v_cmpx_ne_u16_e32 0x80, v65
	s_cbranch_execz .LBB206_418
; %bb.413:                              ;   in Loop: Header=BB206_11 Depth=1
	v_and_b32_sdwa v75, v65, v86 dst_sel:DWORD dst_unused:UNUSED_PAD src0_sel:WORD_0 src1_sel:DWORD
	v_mov_b32_e32 v91, 0x7f800001
	s_mov_b32 s40, exec_lo
	v_cmpx_ne_u32_e32 0x7f, v75
	s_cbranch_execz .LBB206_417
; %bb.414:                              ;   in Loop: Header=BB206_11 Depth=1
	v_and_b32_sdwa v67, v65, v87 dst_sel:DWORD dst_unused:UNUSED_PAD src0_sel:WORD_0 src1_sel:DWORD
	v_lshrrev_b32_e32 v66, 3, v75
	s_mov_b32 s41, exec_lo
	v_cmpx_gt_u32_e32 8, v75
; %bb.415:                              ;   in Loop: Header=BB206_11 Depth=1
	v_ffbh_u32_e32 v66, v67
	v_min_u32_e32 v66, 32, v66
	v_subrev_nc_u32_e32 v75, 28, v66
	v_sub_nc_u32_e32 v66, 29, v66
	v_lshlrev_b64 v[75:76], v75, v[67:68]
	v_and_b32_e32 v67, 7, v75
; %bb.416:                              ;   in Loop: Header=BB206_11 Depth=1
	s_or_b32 exec_lo, exec_lo, s41
	v_lshlrev_b32_e32 v65, 24, v65
	v_lshlrev_b32_e32 v67, 20, v67
	v_lshl_add_u32 v66, v66, 23, 0x3c000000
	v_and_b32_e32 v65, 0x80000000, v65
	v_or3_b32 v91, v67, v65, v66
.LBB206_417:                            ;   in Loop: Header=BB206_11 Depth=1
	s_or_b32 exec_lo, exec_lo, s40
.LBB206_418:                            ;   in Loop: Header=BB206_11 Depth=1
	s_or_b32 exec_lo, exec_lo, s39
.LBB206_419:                            ;   in Loop: Header=BB206_11 Depth=1
	s_or_b32 exec_lo, exec_lo, s3
	global_load_ubyte v65, v[73:74], off offset:1548
	s_mov_b32 s3, exec_lo
	s_waitcnt vmcnt(0)
	v_cmpx_ne_u16_e32 0, v65
	s_cbranch_execz .LBB206_427
; %bb.420:                              ;   in Loop: Header=BB206_11 Depth=1
	v_bfrev_b32_e32 v90, 1
	s_mov_b32 s39, exec_lo
	v_cmpx_ne_u16_e32 0x80, v65
	s_cbranch_execz .LBB206_426
; %bb.421:                              ;   in Loop: Header=BB206_11 Depth=1
	v_and_b32_sdwa v75, v65, v86 dst_sel:DWORD dst_unused:UNUSED_PAD src0_sel:WORD_0 src1_sel:DWORD
	v_mov_b32_e32 v90, 0x7f800001
	s_mov_b32 s40, exec_lo
	v_cmpx_ne_u32_e32 0x7f, v75
	s_cbranch_execz .LBB206_425
; %bb.422:                              ;   in Loop: Header=BB206_11 Depth=1
	v_and_b32_sdwa v67, v65, v87 dst_sel:DWORD dst_unused:UNUSED_PAD src0_sel:WORD_0 src1_sel:DWORD
	v_lshrrev_b32_e32 v66, 3, v75
	s_mov_b32 s41, exec_lo
	v_cmpx_gt_u32_e32 8, v75
; %bb.423:                              ;   in Loop: Header=BB206_11 Depth=1
	v_ffbh_u32_e32 v66, v67
	v_min_u32_e32 v66, 32, v66
	v_subrev_nc_u32_e32 v75, 28, v66
	v_sub_nc_u32_e32 v66, 29, v66
	v_lshlrev_b64 v[75:76], v75, v[67:68]
	v_and_b32_e32 v67, 7, v75
; %bb.424:                              ;   in Loop: Header=BB206_11 Depth=1
	s_or_b32 exec_lo, exec_lo, s41
	v_lshlrev_b32_e32 v65, 24, v65
	v_lshlrev_b32_e32 v67, 20, v67
	v_lshl_add_u32 v66, v66, 23, 0x3c000000
	v_and_b32_e32 v65, 0x80000000, v65
	v_or3_b32 v90, v67, v65, v66
.LBB206_425:                            ;   in Loop: Header=BB206_11 Depth=1
	s_or_b32 exec_lo, exec_lo, s40
.LBB206_426:                            ;   in Loop: Header=BB206_11 Depth=1
	s_or_b32 exec_lo, exec_lo, s39
.LBB206_427:                            ;   in Loop: Header=BB206_11 Depth=1
	s_or_b32 exec_lo, exec_lo, s3
	global_load_ubyte v65, v[73:74], off offset:1664
	v_mov_b32_e32 v92, 0
	v_mov_b32_e32 v93, 0
	s_mov_b32 s3, exec_lo
	s_waitcnt vmcnt(0)
	v_cmpx_ne_u16_e32 0, v65
	s_cbranch_execz .LBB206_435
; %bb.428:                              ;   in Loop: Header=BB206_11 Depth=1
	v_bfrev_b32_e32 v93, 1
	s_mov_b32 s39, exec_lo
	v_cmpx_ne_u16_e32 0x80, v65
	s_cbranch_execz .LBB206_434
; %bb.429:                              ;   in Loop: Header=BB206_11 Depth=1
	v_and_b32_sdwa v75, v65, v86 dst_sel:DWORD dst_unused:UNUSED_PAD src0_sel:WORD_0 src1_sel:DWORD
	v_mov_b32_e32 v93, 0x7f800001
	s_mov_b32 s40, exec_lo
	v_cmpx_ne_u32_e32 0x7f, v75
	s_cbranch_execz .LBB206_433
; %bb.430:                              ;   in Loop: Header=BB206_11 Depth=1
	v_and_b32_sdwa v67, v65, v87 dst_sel:DWORD dst_unused:UNUSED_PAD src0_sel:WORD_0 src1_sel:DWORD
	v_lshrrev_b32_e32 v66, 3, v75
	s_mov_b32 s41, exec_lo
	v_cmpx_gt_u32_e32 8, v75
; %bb.431:                              ;   in Loop: Header=BB206_11 Depth=1
	v_ffbh_u32_e32 v66, v67
	v_min_u32_e32 v66, 32, v66
	v_subrev_nc_u32_e32 v75, 28, v66
	v_sub_nc_u32_e32 v66, 29, v66
	v_lshlrev_b64 v[75:76], v75, v[67:68]
	v_and_b32_e32 v67, 7, v75
; %bb.432:                              ;   in Loop: Header=BB206_11 Depth=1
	s_or_b32 exec_lo, exec_lo, s41
	v_lshlrev_b32_e32 v65, 24, v65
	v_lshlrev_b32_e32 v67, 20, v67
	v_lshl_add_u32 v66, v66, 23, 0x3c000000
	v_and_b32_e32 v65, 0x80000000, v65
	v_or3_b32 v93, v67, v65, v66
.LBB206_433:                            ;   in Loop: Header=BB206_11 Depth=1
	s_or_b32 exec_lo, exec_lo, s40
.LBB206_434:                            ;   in Loop: Header=BB206_11 Depth=1
	s_or_b32 exec_lo, exec_lo, s39
.LBB206_435:                            ;   in Loop: Header=BB206_11 Depth=1
	s_or_b32 exec_lo, exec_lo, s3
	global_load_ubyte v65, v[73:74], off offset:1668
	s_mov_b32 s3, exec_lo
	s_waitcnt vmcnt(0)
	v_cmpx_ne_u16_e32 0, v65
	s_cbranch_execz .LBB206_443
; %bb.436:                              ;   in Loop: Header=BB206_11 Depth=1
	v_bfrev_b32_e32 v92, 1
	s_mov_b32 s39, exec_lo
	v_cmpx_ne_u16_e32 0x80, v65
	s_cbranch_execz .LBB206_442
; %bb.437:                              ;   in Loop: Header=BB206_11 Depth=1
	v_and_b32_sdwa v75, v65, v86 dst_sel:DWORD dst_unused:UNUSED_PAD src0_sel:WORD_0 src1_sel:DWORD
	v_mov_b32_e32 v92, 0x7f800001
	s_mov_b32 s40, exec_lo
	v_cmpx_ne_u32_e32 0x7f, v75
	s_cbranch_execz .LBB206_441
; %bb.438:                              ;   in Loop: Header=BB206_11 Depth=1
	v_and_b32_sdwa v67, v65, v87 dst_sel:DWORD dst_unused:UNUSED_PAD src0_sel:WORD_0 src1_sel:DWORD
	v_lshrrev_b32_e32 v66, 3, v75
	s_mov_b32 s41, exec_lo
	v_cmpx_gt_u32_e32 8, v75
; %bb.439:                              ;   in Loop: Header=BB206_11 Depth=1
	v_ffbh_u32_e32 v66, v67
	v_min_u32_e32 v66, 32, v66
	v_subrev_nc_u32_e32 v75, 28, v66
	v_sub_nc_u32_e32 v66, 29, v66
	v_lshlrev_b64 v[75:76], v75, v[67:68]
	v_and_b32_e32 v67, 7, v75
; %bb.440:                              ;   in Loop: Header=BB206_11 Depth=1
	s_or_b32 exec_lo, exec_lo, s41
	v_lshlrev_b32_e32 v65, 24, v65
	v_lshlrev_b32_e32 v67, 20, v67
	v_lshl_add_u32 v66, v66, 23, 0x3c000000
	v_and_b32_e32 v65, 0x80000000, v65
	v_or3_b32 v92, v67, v65, v66
.LBB206_441:                            ;   in Loop: Header=BB206_11 Depth=1
	s_or_b32 exec_lo, exec_lo, s40
.LBB206_442:                            ;   in Loop: Header=BB206_11 Depth=1
	s_or_b32 exec_lo, exec_lo, s39
.LBB206_443:                            ;   in Loop: Header=BB206_11 Depth=1
	s_or_b32 exec_lo, exec_lo, s3
	global_load_ubyte v65, v[73:74], off offset:1672
	v_mov_b32_e32 v94, 0
	v_mov_b32_e32 v95, 0
	s_mov_b32 s3, exec_lo
	s_waitcnt vmcnt(0)
	v_cmpx_ne_u16_e32 0, v65
	s_cbranch_execz .LBB206_451
; %bb.444:                              ;   in Loop: Header=BB206_11 Depth=1
	v_bfrev_b32_e32 v95, 1
	s_mov_b32 s39, exec_lo
	v_cmpx_ne_u16_e32 0x80, v65
	s_cbranch_execz .LBB206_450
; %bb.445:                              ;   in Loop: Header=BB206_11 Depth=1
	v_and_b32_sdwa v75, v65, v86 dst_sel:DWORD dst_unused:UNUSED_PAD src0_sel:WORD_0 src1_sel:DWORD
	v_mov_b32_e32 v95, 0x7f800001
	s_mov_b32 s40, exec_lo
	v_cmpx_ne_u32_e32 0x7f, v75
	s_cbranch_execz .LBB206_449
; %bb.446:                              ;   in Loop: Header=BB206_11 Depth=1
	v_and_b32_sdwa v67, v65, v87 dst_sel:DWORD dst_unused:UNUSED_PAD src0_sel:WORD_0 src1_sel:DWORD
	v_lshrrev_b32_e32 v66, 3, v75
	s_mov_b32 s41, exec_lo
	v_cmpx_gt_u32_e32 8, v75
; %bb.447:                              ;   in Loop: Header=BB206_11 Depth=1
	v_ffbh_u32_e32 v66, v67
	v_min_u32_e32 v66, 32, v66
	v_subrev_nc_u32_e32 v75, 28, v66
	v_sub_nc_u32_e32 v66, 29, v66
	v_lshlrev_b64 v[75:76], v75, v[67:68]
	v_and_b32_e32 v67, 7, v75
; %bb.448:                              ;   in Loop: Header=BB206_11 Depth=1
	s_or_b32 exec_lo, exec_lo, s41
	v_lshlrev_b32_e32 v65, 24, v65
	v_lshlrev_b32_e32 v67, 20, v67
	v_lshl_add_u32 v66, v66, 23, 0x3c000000
	v_and_b32_e32 v65, 0x80000000, v65
	v_or3_b32 v95, v67, v65, v66
.LBB206_449:                            ;   in Loop: Header=BB206_11 Depth=1
	s_or_b32 exec_lo, exec_lo, s40
.LBB206_450:                            ;   in Loop: Header=BB206_11 Depth=1
	s_or_b32 exec_lo, exec_lo, s39
.LBB206_451:                            ;   in Loop: Header=BB206_11 Depth=1
	s_or_b32 exec_lo, exec_lo, s3
	global_load_ubyte v65, v[73:74], off offset:1676
	s_mov_b32 s3, exec_lo
	s_waitcnt vmcnt(0)
	v_cmpx_ne_u16_e32 0, v65
	s_cbranch_execz .LBB206_459
; %bb.452:                              ;   in Loop: Header=BB206_11 Depth=1
	v_bfrev_b32_e32 v94, 1
	s_mov_b32 s39, exec_lo
	v_cmpx_ne_u16_e32 0x80, v65
	s_cbranch_execz .LBB206_458
; %bb.453:                              ;   in Loop: Header=BB206_11 Depth=1
	v_and_b32_sdwa v75, v65, v86 dst_sel:DWORD dst_unused:UNUSED_PAD src0_sel:WORD_0 src1_sel:DWORD
	v_mov_b32_e32 v94, 0x7f800001
	s_mov_b32 s40, exec_lo
	v_cmpx_ne_u32_e32 0x7f, v75
	s_cbranch_execz .LBB206_457
; %bb.454:                              ;   in Loop: Header=BB206_11 Depth=1
	v_and_b32_sdwa v67, v65, v87 dst_sel:DWORD dst_unused:UNUSED_PAD src0_sel:WORD_0 src1_sel:DWORD
	v_lshrrev_b32_e32 v66, 3, v75
	s_mov_b32 s41, exec_lo
	v_cmpx_gt_u32_e32 8, v75
; %bb.455:                              ;   in Loop: Header=BB206_11 Depth=1
	v_ffbh_u32_e32 v66, v67
	v_min_u32_e32 v66, 32, v66
	v_subrev_nc_u32_e32 v75, 28, v66
	v_sub_nc_u32_e32 v66, 29, v66
	v_lshlrev_b64 v[75:76], v75, v[67:68]
	v_and_b32_e32 v67, 7, v75
; %bb.456:                              ;   in Loop: Header=BB206_11 Depth=1
	s_or_b32 exec_lo, exec_lo, s41
	v_lshlrev_b32_e32 v65, 24, v65
	v_lshlrev_b32_e32 v67, 20, v67
	v_lshl_add_u32 v66, v66, 23, 0x3c000000
	v_and_b32_e32 v65, 0x80000000, v65
	v_or3_b32 v94, v67, v65, v66
.LBB206_457:                            ;   in Loop: Header=BB206_11 Depth=1
	s_or_b32 exec_lo, exec_lo, s40
.LBB206_458:                            ;   in Loop: Header=BB206_11 Depth=1
	s_or_b32 exec_lo, exec_lo, s39
.LBB206_459:                            ;   in Loop: Header=BB206_11 Depth=1
	s_or_b32 exec_lo, exec_lo, s3
	global_load_ubyte v65, v[73:74], off offset:1792
	v_mov_b32_e32 v96, 0
	v_mov_b32_e32 v97, 0
	s_mov_b32 s3, exec_lo
	s_waitcnt vmcnt(0)
	v_cmpx_ne_u16_e32 0, v65
	s_cbranch_execz .LBB206_467
; %bb.460:                              ;   in Loop: Header=BB206_11 Depth=1
	v_bfrev_b32_e32 v97, 1
	s_mov_b32 s39, exec_lo
	v_cmpx_ne_u16_e32 0x80, v65
	s_cbranch_execz .LBB206_466
; %bb.461:                              ;   in Loop: Header=BB206_11 Depth=1
	v_and_b32_sdwa v75, v65, v86 dst_sel:DWORD dst_unused:UNUSED_PAD src0_sel:WORD_0 src1_sel:DWORD
	v_mov_b32_e32 v97, 0x7f800001
	s_mov_b32 s40, exec_lo
	v_cmpx_ne_u32_e32 0x7f, v75
	s_cbranch_execz .LBB206_465
; %bb.462:                              ;   in Loop: Header=BB206_11 Depth=1
	v_and_b32_sdwa v67, v65, v87 dst_sel:DWORD dst_unused:UNUSED_PAD src0_sel:WORD_0 src1_sel:DWORD
	v_lshrrev_b32_e32 v66, 3, v75
	s_mov_b32 s41, exec_lo
	v_cmpx_gt_u32_e32 8, v75
; %bb.463:                              ;   in Loop: Header=BB206_11 Depth=1
	v_ffbh_u32_e32 v66, v67
	v_min_u32_e32 v66, 32, v66
	v_subrev_nc_u32_e32 v75, 28, v66
	v_sub_nc_u32_e32 v66, 29, v66
	v_lshlrev_b64 v[75:76], v75, v[67:68]
	v_and_b32_e32 v67, 7, v75
; %bb.464:                              ;   in Loop: Header=BB206_11 Depth=1
	s_or_b32 exec_lo, exec_lo, s41
	v_lshlrev_b32_e32 v65, 24, v65
	v_lshlrev_b32_e32 v67, 20, v67
	v_lshl_add_u32 v66, v66, 23, 0x3c000000
	v_and_b32_e32 v65, 0x80000000, v65
	v_or3_b32 v97, v67, v65, v66
.LBB206_465:                            ;   in Loop: Header=BB206_11 Depth=1
	s_or_b32 exec_lo, exec_lo, s40
.LBB206_466:                            ;   in Loop: Header=BB206_11 Depth=1
	s_or_b32 exec_lo, exec_lo, s39
.LBB206_467:                            ;   in Loop: Header=BB206_11 Depth=1
	s_or_b32 exec_lo, exec_lo, s3
	global_load_ubyte v65, v[73:74], off offset:1796
	s_mov_b32 s3, exec_lo
	s_waitcnt vmcnt(0)
	v_cmpx_ne_u16_e32 0, v65
	s_cbranch_execz .LBB206_475
; %bb.468:                              ;   in Loop: Header=BB206_11 Depth=1
	v_bfrev_b32_e32 v96, 1
	s_mov_b32 s39, exec_lo
	v_cmpx_ne_u16_e32 0x80, v65
	s_cbranch_execz .LBB206_474
; %bb.469:                              ;   in Loop: Header=BB206_11 Depth=1
	v_and_b32_sdwa v75, v65, v86 dst_sel:DWORD dst_unused:UNUSED_PAD src0_sel:WORD_0 src1_sel:DWORD
	v_mov_b32_e32 v96, 0x7f800001
	s_mov_b32 s40, exec_lo
	v_cmpx_ne_u32_e32 0x7f, v75
	s_cbranch_execz .LBB206_473
; %bb.470:                              ;   in Loop: Header=BB206_11 Depth=1
	v_and_b32_sdwa v67, v65, v87 dst_sel:DWORD dst_unused:UNUSED_PAD src0_sel:WORD_0 src1_sel:DWORD
	v_lshrrev_b32_e32 v66, 3, v75
	s_mov_b32 s41, exec_lo
	v_cmpx_gt_u32_e32 8, v75
; %bb.471:                              ;   in Loop: Header=BB206_11 Depth=1
	v_ffbh_u32_e32 v66, v67
	v_min_u32_e32 v66, 32, v66
	v_subrev_nc_u32_e32 v75, 28, v66
	v_sub_nc_u32_e32 v66, 29, v66
	v_lshlrev_b64 v[75:76], v75, v[67:68]
	v_and_b32_e32 v67, 7, v75
; %bb.472:                              ;   in Loop: Header=BB206_11 Depth=1
	s_or_b32 exec_lo, exec_lo, s41
	v_lshlrev_b32_e32 v65, 24, v65
	v_lshlrev_b32_e32 v67, 20, v67
	v_lshl_add_u32 v66, v66, 23, 0x3c000000
	v_and_b32_e32 v65, 0x80000000, v65
	v_or3_b32 v96, v67, v65, v66
.LBB206_473:                            ;   in Loop: Header=BB206_11 Depth=1
	s_or_b32 exec_lo, exec_lo, s40
.LBB206_474:                            ;   in Loop: Header=BB206_11 Depth=1
	s_or_b32 exec_lo, exec_lo, s39
.LBB206_475:                            ;   in Loop: Header=BB206_11 Depth=1
	s_or_b32 exec_lo, exec_lo, s3
	global_load_ubyte v65, v[73:74], off offset:1800
	v_mov_b32_e32 v98, 0
	v_mov_b32_e32 v99, 0
	s_mov_b32 s3, exec_lo
	s_waitcnt vmcnt(0)
	v_cmpx_ne_u16_e32 0, v65
	s_cbranch_execz .LBB206_483
; %bb.476:                              ;   in Loop: Header=BB206_11 Depth=1
	v_bfrev_b32_e32 v99, 1
	s_mov_b32 s39, exec_lo
	v_cmpx_ne_u16_e32 0x80, v65
	s_cbranch_execz .LBB206_482
; %bb.477:                              ;   in Loop: Header=BB206_11 Depth=1
	v_and_b32_sdwa v75, v65, v86 dst_sel:DWORD dst_unused:UNUSED_PAD src0_sel:WORD_0 src1_sel:DWORD
	v_mov_b32_e32 v99, 0x7f800001
	s_mov_b32 s40, exec_lo
	v_cmpx_ne_u32_e32 0x7f, v75
	s_cbranch_execz .LBB206_481
; %bb.478:                              ;   in Loop: Header=BB206_11 Depth=1
	v_and_b32_sdwa v67, v65, v87 dst_sel:DWORD dst_unused:UNUSED_PAD src0_sel:WORD_0 src1_sel:DWORD
	v_lshrrev_b32_e32 v66, 3, v75
	s_mov_b32 s41, exec_lo
	v_cmpx_gt_u32_e32 8, v75
; %bb.479:                              ;   in Loop: Header=BB206_11 Depth=1
	v_ffbh_u32_e32 v66, v67
	v_min_u32_e32 v66, 32, v66
	v_subrev_nc_u32_e32 v75, 28, v66
	v_sub_nc_u32_e32 v66, 29, v66
	v_lshlrev_b64 v[75:76], v75, v[67:68]
	v_and_b32_e32 v67, 7, v75
; %bb.480:                              ;   in Loop: Header=BB206_11 Depth=1
	s_or_b32 exec_lo, exec_lo, s41
	v_lshlrev_b32_e32 v65, 24, v65
	v_lshlrev_b32_e32 v67, 20, v67
	v_lshl_add_u32 v66, v66, 23, 0x3c000000
	v_and_b32_e32 v65, 0x80000000, v65
	v_or3_b32 v99, v67, v65, v66
.LBB206_481:                            ;   in Loop: Header=BB206_11 Depth=1
	s_or_b32 exec_lo, exec_lo, s40
.LBB206_482:                            ;   in Loop: Header=BB206_11 Depth=1
	s_or_b32 exec_lo, exec_lo, s39
.LBB206_483:                            ;   in Loop: Header=BB206_11 Depth=1
	s_or_b32 exec_lo, exec_lo, s3
	global_load_ubyte v65, v[73:74], off offset:1804
	s_mov_b32 s3, exec_lo
	s_waitcnt vmcnt(0)
	v_cmpx_ne_u16_e32 0, v65
	s_cbranch_execz .LBB206_491
; %bb.484:                              ;   in Loop: Header=BB206_11 Depth=1
	v_bfrev_b32_e32 v98, 1
	s_mov_b32 s39, exec_lo
	v_cmpx_ne_u16_e32 0x80, v65
	s_cbranch_execz .LBB206_490
; %bb.485:                              ;   in Loop: Header=BB206_11 Depth=1
	v_and_b32_sdwa v75, v65, v86 dst_sel:DWORD dst_unused:UNUSED_PAD src0_sel:WORD_0 src1_sel:DWORD
	v_mov_b32_e32 v98, 0x7f800001
	s_mov_b32 s40, exec_lo
	v_cmpx_ne_u32_e32 0x7f, v75
	s_cbranch_execz .LBB206_489
; %bb.486:                              ;   in Loop: Header=BB206_11 Depth=1
	v_and_b32_sdwa v67, v65, v87 dst_sel:DWORD dst_unused:UNUSED_PAD src0_sel:WORD_0 src1_sel:DWORD
	v_lshrrev_b32_e32 v66, 3, v75
	s_mov_b32 s41, exec_lo
	v_cmpx_gt_u32_e32 8, v75
; %bb.487:                              ;   in Loop: Header=BB206_11 Depth=1
	v_ffbh_u32_e32 v66, v67
	v_min_u32_e32 v66, 32, v66
	v_subrev_nc_u32_e32 v75, 28, v66
	v_sub_nc_u32_e32 v66, 29, v66
	v_lshlrev_b64 v[75:76], v75, v[67:68]
	v_and_b32_e32 v67, 7, v75
; %bb.488:                              ;   in Loop: Header=BB206_11 Depth=1
	s_or_b32 exec_lo, exec_lo, s41
	v_lshlrev_b32_e32 v65, 24, v65
	v_lshlrev_b32_e32 v67, 20, v67
	v_lshl_add_u32 v66, v66, 23, 0x3c000000
	v_and_b32_e32 v65, 0x80000000, v65
	v_or3_b32 v98, v67, v65, v66
.LBB206_489:                            ;   in Loop: Header=BB206_11 Depth=1
	s_or_b32 exec_lo, exec_lo, s40
.LBB206_490:                            ;   in Loop: Header=BB206_11 Depth=1
	s_or_b32 exec_lo, exec_lo, s39
.LBB206_491:                            ;   in Loop: Header=BB206_11 Depth=1
	s_or_b32 exec_lo, exec_lo, s3
	global_load_ubyte v66, v[73:74], off offset:1920
	v_mov_b32_e32 v100, 0
	v_mov_b32_e32 v65, 0
	s_mov_b32 s3, exec_lo
	s_waitcnt vmcnt(0)
	v_cmpx_ne_u16_e32 0, v66
	s_cbranch_execz .LBB206_499
; %bb.492:                              ;   in Loop: Header=BB206_11 Depth=1
	v_bfrev_b32_e32 v65, 1
	s_mov_b32 s39, exec_lo
	v_cmpx_ne_u16_e32 0x80, v66
	s_cbranch_execz .LBB206_498
; %bb.493:                              ;   in Loop: Header=BB206_11 Depth=1
	v_and_b32_sdwa v75, v66, v86 dst_sel:DWORD dst_unused:UNUSED_PAD src0_sel:WORD_0 src1_sel:DWORD
	v_mov_b32_e32 v65, 0x7f800001
	s_mov_b32 s40, exec_lo
	v_cmpx_ne_u32_e32 0x7f, v75
	s_cbranch_execz .LBB206_497
; %bb.494:                              ;   in Loop: Header=BB206_11 Depth=1
	v_and_b32_sdwa v67, v66, v87 dst_sel:DWORD dst_unused:UNUSED_PAD src0_sel:WORD_0 src1_sel:DWORD
	v_lshrrev_b32_e32 v65, 3, v75
	s_mov_b32 s41, exec_lo
	v_cmpx_gt_u32_e32 8, v75
; %bb.495:                              ;   in Loop: Header=BB206_11 Depth=1
	v_ffbh_u32_e32 v65, v67
	v_min_u32_e32 v65, 32, v65
	v_subrev_nc_u32_e32 v75, 28, v65
	v_sub_nc_u32_e32 v65, 29, v65
	v_lshlrev_b64 v[75:76], v75, v[67:68]
	v_and_b32_e32 v67, 7, v75
; %bb.496:                              ;   in Loop: Header=BB206_11 Depth=1
	s_or_b32 exec_lo, exec_lo, s41
	v_lshlrev_b32_e32 v66, 24, v66
	v_lshlrev_b32_e32 v67, 20, v67
	v_lshl_add_u32 v65, v65, 23, 0x3c000000
	v_and_b32_e32 v66, 0x80000000, v66
	v_or3_b32 v65, v67, v66, v65
.LBB206_497:                            ;   in Loop: Header=BB206_11 Depth=1
	s_or_b32 exec_lo, exec_lo, s40
.LBB206_498:                            ;   in Loop: Header=BB206_11 Depth=1
	s_or_b32 exec_lo, exec_lo, s39
.LBB206_499:                            ;   in Loop: Header=BB206_11 Depth=1
	s_or_b32 exec_lo, exec_lo, s3
	global_load_ubyte v66, v[73:74], off offset:1924
	s_mov_b32 s3, exec_lo
	s_waitcnt vmcnt(0)
	v_cmpx_ne_u16_e32 0, v66
	s_cbranch_execz .LBB206_507
; %bb.500:                              ;   in Loop: Header=BB206_11 Depth=1
	v_bfrev_b32_e32 v100, 1
	s_mov_b32 s39, exec_lo
	v_cmpx_ne_u16_e32 0x80, v66
	s_cbranch_execz .LBB206_506
; %bb.501:                              ;   in Loop: Header=BB206_11 Depth=1
	v_and_b32_sdwa v75, v66, v86 dst_sel:DWORD dst_unused:UNUSED_PAD src0_sel:WORD_0 src1_sel:DWORD
	v_mov_b32_e32 v100, 0x7f800001
	s_mov_b32 s40, exec_lo
	v_cmpx_ne_u32_e32 0x7f, v75
	s_cbranch_execz .LBB206_505
; %bb.502:                              ;   in Loop: Header=BB206_11 Depth=1
	v_and_b32_sdwa v67, v66, v87 dst_sel:DWORD dst_unused:UNUSED_PAD src0_sel:WORD_0 src1_sel:DWORD
	v_lshrrev_b32_e32 v100, 3, v75
	v_cmp_gt_u32_e64 s2, 8, v75
	v_mov_b32_e32 v76, v68
	v_mov_b32_e32 v75, v67
	s_and_saveexec_b32 s41, s2
; %bb.503:                              ;   in Loop: Header=BB206_11 Depth=1
	v_ffbh_u32_e32 v75, v67
	v_min_u32_e32 v100, 32, v75
	v_subrev_nc_u32_e32 v75, 28, v100
	v_sub_nc_u32_e32 v100, 29, v100
	v_lshlrev_b64 v[75:76], v75, v[67:68]
	v_and_b32_e32 v75, 7, v75
; %bb.504:                              ;   in Loop: Header=BB206_11 Depth=1
	s_or_b32 exec_lo, exec_lo, s41
	v_lshlrev_b32_e32 v66, 24, v66
	v_lshlrev_b32_e32 v67, 20, v75
	v_lshl_add_u32 v75, v100, 23, 0x3c000000
	v_and_b32_e32 v66, 0x80000000, v66
	v_or3_b32 v100, v67, v66, v75
.LBB206_505:                            ;   in Loop: Header=BB206_11 Depth=1
	s_or_b32 exec_lo, exec_lo, s40
.LBB206_506:                            ;   in Loop: Header=BB206_11 Depth=1
	s_or_b32 exec_lo, exec_lo, s39
.LBB206_507:                            ;   in Loop: Header=BB206_11 Depth=1
	s_or_b32 exec_lo, exec_lo, s3
	global_load_ubyte v101, v[73:74], off offset:1928
	v_mov_b32_e32 v66, 0
	v_mov_b32_e32 v75, 0
	s_mov_b32 s3, exec_lo
	s_waitcnt vmcnt(0)
	v_cmpx_ne_u16_e32 0, v101
	s_cbranch_execz .LBB206_515
; %bb.508:                              ;   in Loop: Header=BB206_11 Depth=1
	v_bfrev_b32_e32 v75, 1
	s_mov_b32 s39, exec_lo
	v_cmpx_ne_u16_e32 0x80, v101
	s_cbranch_execz .LBB206_514
; %bb.509:                              ;   in Loop: Header=BB206_11 Depth=1
	v_and_b32_sdwa v76, v101, v86 dst_sel:DWORD dst_unused:UNUSED_PAD src0_sel:WORD_0 src1_sel:DWORD
	v_mov_b32_e32 v75, 0x7f800001
	s_mov_b32 s40, exec_lo
	v_cmpx_ne_u32_e32 0x7f, v76
	s_cbranch_execz .LBB206_513
; %bb.510:                              ;   in Loop: Header=BB206_11 Depth=1
	v_and_b32_sdwa v67, v101, v87 dst_sel:DWORD dst_unused:UNUSED_PAD src0_sel:WORD_0 src1_sel:DWORD
	v_lshrrev_b32_e32 v102, 3, v76
	v_cmp_gt_u32_e64 s2, 8, v76
	v_mov_b32_e32 v76, v68
	v_mov_b32_e32 v75, v67
	s_and_saveexec_b32 s41, s2
; %bb.511:                              ;   in Loop: Header=BB206_11 Depth=1
	v_ffbh_u32_e32 v75, v67
	v_min_u32_e32 v102, 32, v75
	v_subrev_nc_u32_e32 v75, 28, v102
	v_sub_nc_u32_e32 v102, 29, v102
	v_lshlrev_b64 v[75:76], v75, v[67:68]
	v_and_b32_e32 v75, 7, v75
; %bb.512:                              ;   in Loop: Header=BB206_11 Depth=1
	s_or_b32 exec_lo, exec_lo, s41
	v_lshlrev_b32_e32 v67, 24, v101
	v_lshlrev_b32_e32 v75, 20, v75
	v_lshl_add_u32 v76, v102, 23, 0x3c000000
	v_and_b32_e32 v67, 0x80000000, v67
	v_or3_b32 v75, v75, v67, v76
.LBB206_513:                            ;   in Loop: Header=BB206_11 Depth=1
	s_or_b32 exec_lo, exec_lo, s40
.LBB206_514:                            ;   in Loop: Header=BB206_11 Depth=1
	s_or_b32 exec_lo, exec_lo, s39
.LBB206_515:                            ;   in Loop: Header=BB206_11 Depth=1
	s_or_b32 exec_lo, exec_lo, s3
	global_load_ubyte v76, v[73:74], off offset:1932
	s_mov_b32 s3, exec_lo
	s_waitcnt vmcnt(0)
	v_cmpx_ne_u16_e32 0, v76
	s_cbranch_execz .LBB206_523
; %bb.516:                              ;   in Loop: Header=BB206_11 Depth=1
	v_bfrev_b32_e32 v66, 1
	s_mov_b32 s39, exec_lo
	v_cmpx_ne_u16_e32 0x80, v76
	s_cbranch_execz .LBB206_522
; %bb.517:                              ;   in Loop: Header=BB206_11 Depth=1
	v_and_b32_sdwa v73, v76, v86 dst_sel:DWORD dst_unused:UNUSED_PAD src0_sel:WORD_0 src1_sel:DWORD
	v_mov_b32_e32 v66, 0x7f800001
	s_mov_b32 s40, exec_lo
	v_cmpx_ne_u32_e32 0x7f, v73
	s_cbranch_execz .LBB206_521
; %bb.518:                              ;   in Loop: Header=BB206_11 Depth=1
	v_and_b32_sdwa v67, v76, v87 dst_sel:DWORD dst_unused:UNUSED_PAD src0_sel:WORD_0 src1_sel:DWORD
	v_lshrrev_b32_e32 v66, 3, v73
	v_cmp_gt_u32_e64 s2, 8, v73
	v_mov_b32_e32 v74, v68
	v_mov_b32_e32 v73, v67
	s_and_saveexec_b32 s41, s2
; %bb.519:                              ;   in Loop: Header=BB206_11 Depth=1
	v_ffbh_u32_e32 v66, v67
	v_min_u32_e32 v66, 32, v66
	v_subrev_nc_u32_e32 v73, 28, v66
	v_sub_nc_u32_e32 v66, 29, v66
	v_lshlrev_b64 v[73:74], v73, v[67:68]
	v_and_b32_e32 v73, 7, v73
; %bb.520:                              ;   in Loop: Header=BB206_11 Depth=1
	s_or_b32 exec_lo, exec_lo, s41
	v_lshlrev_b32_e32 v67, 24, v76
	v_lshlrev_b32_e32 v73, 20, v73
	v_lshl_add_u32 v66, v66, 23, 0x3c000000
	v_and_b32_e32 v67, 0x80000000, v67
	v_or3_b32 v66, v73, v67, v66
.LBB206_521:                            ;   in Loop: Header=BB206_11 Depth=1
	s_or_b32 exec_lo, exec_lo, s40
.LBB206_522:                            ;   in Loop: Header=BB206_11 Depth=1
	s_or_b32 exec_lo, exec_lo, s39
.LBB206_523:                            ;   in Loop: Header=BB206_11 Depth=1
	s_or_b32 exec_lo, exec_lo, s3
	s_clause 0x1
	buffer_load_dword v67, off, s[44:47], 0
	buffer_load_dword v73, off, s[44:47], 0 offset:4
	s_waitcnt lgkmcnt(0)
	v_mul_f32_e32 v0, s4, v0
	s_waitcnt vmcnt(1)
	v_mul_f32_e32 v67, s4, v67
	s_waitcnt vmcnt(0)
	v_mul_f32_e32 v73, s4, v73
	v_mul_f32_e32 v67, v2, v67
	v_fmac_f32_e32 v67, v1, v73
	buffer_load_dword v73, off, s[44:47], 0 offset:12 ; 4-byte Folded Reload
	s_waitcnt vmcnt(0)
	v_mul_f32_e32 v73, s4, v73
	v_fmac_f32_e32 v67, v3, v73
	buffer_load_dword v73, off, s[44:47], 0 offset:8 ; 4-byte Folded Reload
	s_waitcnt vmcnt(0)
	;; [unrolled: 4-line block ×12, first 2 shown]
	v_mul_f32_e32 v73, s4, v73
	v_fmac_f32_e32 v67, v14, v73
	v_mul_f32_e32 v73, s4, v104
	v_fmac_f32_e32 v67, v15, v73
	;; [unrolled: 2-line block ×29, first 2 shown]
	v_fmac_f32_e32 v67, v43, v0
	v_mul_f32_e32 v0, s4, v79
	v_fmac_f32_e32 v67, v44, v0
	v_mul_f32_e32 v0, s4, v82
	;; [unrolled: 2-line block ×18, first 2 shown]
	buffer_load_dword v65, off, s[44:47], 0 offset:64 ; 4-byte Folded Reload
	v_fmac_f32_e32 v67, v61, v0
	v_mul_f32_e32 v0, s4, v100
	v_fmac_f32_e32 v67, v62, v0
	v_mul_f32_e32 v0, s4, v75
	;; [unrolled: 2-line block ×3, first 2 shown]
	v_fmac_f32_e32 v67, v64, v0
	buffer_load_dword v0, off, s[44:47], 0 offset:60 ; 4-byte Folded Reload
	s_waitcnt vmcnt(0)
	ds_bpermute_b32 v0, v0, v67
	s_waitcnt lgkmcnt(0)
	v_add_f32_e32 v0, v67, v0
	ds_bpermute_b32 v65, v65, v0
	s_and_saveexec_b32 s3, vcc_lo
	s_cbranch_execz .LBB206_10
; %bb.524:                              ;   in Loop: Header=BB206_11 Depth=1
	buffer_load_dword v67, off, s[44:47], 0 offset:56 ; 4-byte Folded Reload
	v_add_nc_u32_e32 v66, s5, v84
	s_waitcnt lgkmcnt(0)
	v_add_f32_e32 v0, v0, v65
	v_cmp_gt_i32_e64 s2, s27, v84
	v_cvt_f32_i32_e32 v66, v66
	v_mul_f32_e32 v66, s36, v66
	v_cndmask_b32_e64 v65, 0, v66, s1
	v_fmac_f32_e32 v65, s37, v0
	s_waitcnt vmcnt(0)
	v_max_f32_e32 v66, v67, v67
	v_max_f32_e32 v0, v66, v65
	v_cndmask_b32_e64 v65, 0, v65, s2
	v_cndmask_b32_e64 v67, v67, v0, s2
	ds_write_b32 v85, v65
	buffer_store_dword v67, off, s[44:47], 0 offset:56 ; 4-byte Folded Spill
	s_branch .LBB206_10
.LBB206_525:
	s_or_b32 exec_lo, exec_lo, s16
	s_clause 0x6
	buffer_load_dword v44, off, s[44:47], 0 offset:76
	buffer_load_dword v45, off, s[44:47], 0 offset:80
	;; [unrolled: 1-line block ×7, first 2 shown]
	v_mov_b32_e32 v9, 32
.LBB206_526:
	s_or_b32 exec_lo, exec_lo, s38
	s_waitcnt vmcnt(1)
	v_xor_b32_e32 v0, 16, v36
	v_xor_b32_e32 v2, 8, v36
	s_waitcnt vmcnt(0)
	v_max_f32_e32 v4, v3, v3
	v_and_b32_e32 v25, 31, v44
	v_cmp_lt_i32_e32 vcc_lo, v0, v9
	v_cndmask_b32_e32 v0, v36, v0, vcc_lo
	v_cmp_lt_i32_e32 vcc_lo, v2, v9
	v_lshlrev_b32_e32 v1, 2, v0
	v_cndmask_b32_e32 v2, v36, v2, vcc_lo
	ds_bpermute_b32 v0, v1, v3
	v_lshlrev_b32_e32 v3, 2, v2
	s_waitcnt lgkmcnt(0)
	v_max_f32_e32 v0, v0, v0
	v_max_f32_e32 v0, v4, v0
	v_xor_b32_e32 v4, 4, v36
	ds_bpermute_b32 v2, v3, v0
	v_cmp_lt_i32_e32 vcc_lo, v4, v9
	v_cndmask_b32_e32 v4, v36, v4, vcc_lo
	v_cmp_eq_u32_e32 vcc_lo, 0, v25
	v_lshlrev_b32_e32 v6, 2, v4
	v_lshlrev_b32_e32 v4, 2, v45
	s_waitcnt lgkmcnt(0)
	v_max_f32_e32 v2, v2, v2
	v_max_f32_e32 v0, v0, v2
	ds_bpermute_b32 v2, v6, v0
	s_and_saveexec_b32 s1, vcc_lo
	s_cbranch_execz .LBB206_528
; %bb.527:
	s_waitcnt lgkmcnt(0)
	v_max_f32_e32 v2, v2, v2
	v_max_f32_e32 v0, v0, v0
	v_max_f32_e32 v0, v0, v2
	ds_write_b32 v4, v0 offset:1024
.LBB206_528:
	s_or_b32 exec_lo, exec_lo, s1
	v_cmp_gt_u32_e64 s1, 4, v25
	v_mov_b32_e32 v0, 0xff7fffff
	v_lshlrev_b32_e32 v5, 2, v25
	s_waitcnt lgkmcnt(0)
	s_waitcnt_vscnt null, 0x0
	s_barrier
	buffer_gl0_inv
	s_and_saveexec_b32 s2, s1
; %bb.529:
	ds_read_b32 v0, v5 offset:1024
; %bb.530:
	s_or_b32 exec_lo, exec_lo, s2
	v_xor_b32_e32 v2, 2, v36
	v_xor_b32_e32 v8, 1, v36
	v_cmp_lt_i32_e64 s2, v2, v9
	v_cndmask_b32_e64 v2, v36, v2, s2
	v_cmp_lt_i32_e64 s2, v8, v9
	v_lshlrev_b32_e32 v7, 2, v2
	v_cndmask_b32_e64 v8, v36, v8, s2
	s_sub_i32 s2, s11, s15
	s_lshl_b32 s2, s2, 3
	s_waitcnt lgkmcnt(0)
	ds_bpermute_b32 v2, v7, v0
	v_max_f32_e32 v0, v0, v0
	v_lshlrev_b32_e32 v26, 2, v8
	s_add_i32 s2, s2, s33
	v_mov_b32_e32 v8, 0
	s_min_i32 s2, s2, s27
	s_sub_i32 s4, s2, s33
	v_cmp_gt_i32_e64 s2, s4, v44
	s_waitcnt lgkmcnt(0)
	v_max_f32_e32 v2, v2, v2
	v_max_f32_e32 v0, v0, v2
	ds_bpermute_b32 v2, v26, v0
	s_waitcnt lgkmcnt(0)
	v_max_f32_e32 v2, v2, v2
	v_max_f32_e32 v0, v0, v2
	v_lshlrev_b32_e32 v2, 2, v68
	ds_bpermute_b32 v0, v2, v0
	v_lshl_add_u32 v2, v44, 2, 0x420
	s_and_saveexec_b32 s5, s2
	s_cbranch_execz .LBB206_534
; %bb.531:
	v_lshl_add_u32 v9, v44, 2, 0x420
	v_mov_b32_e32 v8, 0
	v_mov_b32_e32 v10, v44
	s_mov_b32 s15, 0
	.p2align	6
.LBB206_532:                            ; =>This Inner Loop Header: Depth=1
	ds_read_b32 v11, v9
	v_add_nc_u32_e32 v10, 0x80, v10
	v_cmp_le_i32_e64 s3, s4, v10
	s_or_b32 s15, s3, s15
	s_waitcnt lgkmcnt(0)
	v_sub_f32_e32 v11, v11, v0
	v_mul_f32_e32 v11, 0x3fb8aa3b, v11
	v_exp_f32_e32 v11, v11
	ds_write_b32 v9, v11
	v_add_f32_e32 v8, v8, v11
	v_add_nc_u32_e32 v9, 0x200, v9
	s_andn2_b32 exec_lo, exec_lo, s15
	s_cbranch_execnz .LBB206_532
; %bb.533:
	s_or_b32 exec_lo, exec_lo, s15
.LBB206_534:
	s_or_b32 exec_lo, exec_lo, s5
	ds_bpermute_b32 v1, v1, v8
	s_waitcnt lgkmcnt(0)
	v_add_f32_e32 v1, v8, v1
	ds_bpermute_b32 v3, v3, v1
	s_waitcnt lgkmcnt(0)
	v_add_f32_e32 v1, v1, v3
	;; [unrolled: 3-line block ×5, first 2 shown]
	s_and_saveexec_b32 s3, vcc_lo
; %bb.535:
	ds_write_b32 v4, v1 offset:1040
; %bb.536:
	s_or_b32 exec_lo, exec_lo, s3
	s_waitcnt lgkmcnt(0)
	s_barrier
	buffer_gl0_inv
	s_and_saveexec_b32 s3, s1
; %bb.537:
	ds_read_b32 v1, v5 offset:1040
; %bb.538:
	s_or_b32 exec_lo, exec_lo, s3
	s_waitcnt lgkmcnt(0)
	ds_bpermute_b32 v3, v7, v1
	v_lshlrev_b32_e32 v4, 2, v36
	s_waitcnt lgkmcnt(0)
	v_add_f32_e32 v1, v1, v3
	ds_bpermute_b32 v3, v26, v1
	s_waitcnt lgkmcnt(0)
	v_add_f32_e32 v1, v1, v3
	v_and_b32_e32 v3, 0xffffff80, v4
	ds_bpermute_b32 v1, v3, v1
	s_and_saveexec_b32 s1, s2
	s_cbranch_execz .LBB206_541
; %bb.539:
	s_waitcnt lgkmcnt(0)
	v_add_f32_e32 v3, 0x358637bd, v1
	s_mov_b32 s2, 0
	v_div_scale_f32 v4, null, v3, v3, 1.0
	v_div_scale_f32 v7, vcc_lo, 1.0, v3, 1.0
	v_rcp_f32_e32 v5, v4
	v_fma_f32 v6, -v4, v5, 1.0
	v_fmac_f32_e32 v5, v6, v5
	v_mul_f32_e32 v6, v7, v5
	v_fma_f32 v8, -v4, v6, v7
	v_fmac_f32_e32 v6, v8, v5
	v_fma_f32 v4, -v4, v6, v7
	v_div_fmas_f32 v4, v4, v5, v6
	v_div_fixup_f32 v3, v4, v3, 1.0
	v_mov_b32_e32 v4, v44
.LBB206_540:                            ; =>This Inner Loop Header: Depth=1
	ds_read_b32 v5, v2
	v_add_nc_u32_e32 v4, 0x80, v4
	v_cmp_le_i32_e32 vcc_lo, s4, v4
	s_or_b32 s2, vcc_lo, s2
	s_waitcnt lgkmcnt(0)
	v_mul_f32_e32 v5, v3, v5
	ds_write_b32 v2, v5
	v_add_nc_u32_e32 v2, 0x200, v2
	s_andn2_b32 exec_lo, exec_lo, s2
	s_cbranch_execnz .LBB206_540
.LBB206_541:
	s_or_b32 exec_lo, exec_lo, s1
	s_mul_i32 s1, s7, s26
	s_waitcnt lgkmcnt(0)
	s_mul_i32 s2, s1, s9
	s_mov_b32 s1, exec_lo
	s_barrier
	buffer_gl0_inv
	v_cmpx_eq_u32_e32 0, v44
	s_cbranch_execz .LBB206_543
; %bb.542:
	s_ashr_i32 s3, s2, 31
	s_mul_i32 s16, s7, s6
	s_lshl_b64 s[4:5], s[2:3], 2
	v_mov_b32_e32 v2, 0
	s_add_u32 s3, s22, s4
	s_addc_u32 s6, s23, s5
	s_ashr_i32 s17, s16, 31
	s_lshl_b64 s[16:17], s[16:17], 2
	s_add_u32 s3, s3, s16
	s_addc_u32 s6, s6, s17
	s_ashr_i32 s9, s8, 31
	s_lshl_b64 s[22:23], s[8:9], 2
	s_add_u32 s36, s3, s22
	s_addc_u32 s37, s6, s23
	s_add_u32 s3, s20, s4
	s_addc_u32 s4, s21, s5
	;; [unrolled: 2-line block ×4, first 2 shown]
	global_store_dword v2, v0, s[36:37]
	global_store_dword v2, v1, s[4:5]
.LBB206_543:
	s_or_b32 exec_lo, exec_lo, s1
	v_mov_b32_e32 v41, 0
	v_and_b32_e32 v27, 1, v44
	v_mov_b32_e32 v43, 0
	v_mov_b32_e32 v42, 0
	;; [unrolled: 1-line block ×15, first 2 shown]
	s_and_saveexec_b32 s1, s0
	s_cbranch_execz .LBB206_1091
; %bb.544:
	s_load_dword s3, s[18:19], 0x0
	v_and_b32_e32 v0, 4, v12
	v_and_b32_e32 v1, 0x7c, v12
	v_lshl_add_u32 v3, v45, 3, s33
	s_ashr_i32 s0, s14, 31
	s_add_u32 s5, s34, s14
	v_lshlrev_b32_e32 v2, 4, v27
	v_mov_b32_e32 v113, v44
	v_add_co_u32 v7, s5, s5, v1
	v_add3_u32 v44, v3, v0, 3
	v_lshlrev_b64 v[0:1], 2, v[52:53]
	s_addc_u32 s0, s35, s0
	s_lshl_b64 s[14:15], s[30:31], 2
	s_add_i32 s4, s12, -1
	v_lshl_or_b32 v2, v45, 5, v2
	v_add_co_ci_u32_e64 v8, null, s0, 0, s5
	s_add_u32 s0, s28, s14
	s_addc_u32 s5, s29, s15
	v_add_co_u32 v9, vcc_lo, s0, v0
	v_mov_b32_e32 v6, 0
	v_mov_b32_e32 v114, v45
	v_add_nc_u32_e32 v45, 0x420, v2
	v_add_co_ci_u32_e64 v10, null, s5, v1, vcc_lo
	v_mov_b32_e32 v46, 0x80
	v_bfrev_b32_e32 v12, 1
	v_mov_b32_e32 v47, 0xffff
	v_mov_b32_e32 v14, 0x7f800001
	;; [unrolled: 1-line block ×21, first 2 shown]
	s_mov_b32 s5, s13
	s_waitcnt lgkmcnt(0)
	s_mov_b32 s9, s3
	s_mov_b32 s6, 0
	s_branch .LBB206_546
.LBB206_545:                            ;   in Loop: Header=BB206_546 Depth=1
	s_or_b32 exec_lo, exec_lo, s0
	s_waitcnt lgkmcnt(0)
	v_mul_f32_e32 v18, v1, v105
	v_mul_f32_e32 v16, v1, v110
	;; [unrolled: 1-line block ×5, first 2 shown]
	v_fmac_f32_e32 v18, v2, v104
	v_fmac_f32_e32 v16, v2, v65
	;; [unrolled: 1-line block ×14, first 2 shown]
	v_mul_f32_e32 v0, v1, v91
	v_add_f32_e32 v31, v31, v18
	v_mul_f32_e32 v18, v1, v79
	v_add_f32_e32 v29, v29, v16
	v_add_f32_e32 v30, v30, v17
	v_mul_f32_e32 v16, v1, v87
	v_mul_f32_e32 v17, v1, v83
	v_fmac_f32_e32 v18, v2, v78
	v_fmac_f32_e32 v0, v2, v90
	;; [unrolled: 1-line block ×7, first 2 shown]
	v_mul_f32_e32 v21, v1, v95
	v_fmac_f32_e32 v16, v3, v85
	v_fmac_f32_e32 v17, v3, v81
	;; [unrolled: 1-line block ×4, first 2 shown]
	v_add_f32_e32 v32, v32, v19
	v_fmac_f32_e32 v16, v4, v84
	v_fmac_f32_e32 v17, v4, v80
	v_add_f32_e32 v38, v38, v18
	v_mul_f32_e32 v18, v1, v54
	v_mul_f32_e32 v19, v1, v74
	v_add_f32_e32 v35, v35, v0
	v_add_f32_e32 v36, v36, v16
	;; [unrolled: 1-line block ×3, first 2 shown]
	v_mul_f32_e32 v0, v1, v70
	v_mul_f32_e32 v16, v1, v66
	;; [unrolled: 1-line block ×4, first 2 shown]
	v_fmac_f32_e32 v18, v2, v53
	v_fmac_f32_e32 v21, v2, v94
	;; [unrolled: 1-line block ×8, first 2 shown]
	v_mov_b32_e32 v52, v115
	v_fmac_f32_e32 v21, v3, v93
	v_fmac_f32_e32 v19, v3, v72
	;; [unrolled: 1-line block ×6, first 2 shown]
	v_add_nc_u32_e32 v52, 4, v52
	v_fmac_f32_e32 v21, v4, v92
	v_fmac_f32_e32 v19, v4, v71
	;; [unrolled: 1-line block ×7, first 2 shown]
	v_cmp_le_i32_e32 vcc_lo, s11, v52
	v_add_co_u32 v9, s0, v9, 16
	v_add_f32_e32 v33, v33, v20
	v_add_f32_e32 v34, v34, v21
	v_add_f32_e32 v39, v39, v19
	v_add_f32_e32 v40, v40, v0
	v_add_f32_e32 v42, v42, v16
	v_add_f32_e32 v43, v43, v17
	v_add_f32_e32 v41, v41, v18
	v_add_f32_e32 v28, v28, v1
	v_add_nc_u32_e32 v44, 32, v44
	v_add_nc_u32_e32 v45, 0x80, v45
	v_add_co_ci_u32_e64 v10, null, 0, v10, s0
	s_or_b32 s6, vcc_lo, s6
	s_andn2_b32 exec_lo, exec_lo, s6
	s_cbranch_execz .LBB206_1090
.LBB206_546:                            ; =>This Inner Loop Header: Depth=1
	global_load_dword v0, v[9:10], off
	ds_read_b128 v[1:4], v45
	v_mov_b32_e32 v19, 0
	v_mov_b32_e32 v17, 0
	;; [unrolled: 1-line block ×4, first 2 shown]
	s_waitcnt vmcnt(0)
	v_mad_i64_i32 v[15:16], null, v0, s5, v[7:8]
	global_load_dword v0, v[15:16], off
	s_waitcnt vmcnt(0)
	v_cmp_ne_u16_sdwa s12, v0, v6 src0_sel:BYTE_0 src1_sel:DWORD
	s_and_saveexec_b32 s0, s12
	s_cbranch_execz .LBB206_554
; %bb.547:                              ;   in Loop: Header=BB206_546 Depth=1
	v_bfrev_b32_e32 v17, 1
	v_mov_b32_e32 v18, 0
	v_cmp_ne_u16_sdwa s13, v0, v46 src0_sel:BYTE_0 src1_sel:DWORD
	s_and_saveexec_b32 s12, s13
	s_cbranch_execz .LBB206_553
; %bb.548:                              ;   in Loop: Header=BB206_546 Depth=1
	v_mov_b32_e32 v17, 0x7f800001
	v_and_b32_e32 v13, 0x7f, v0
	v_mov_b32_e32 v18, 0
	s_mov_b32 s13, exec_lo
	v_cmpx_ne_u32_e32 0x7f, v13
	s_cbranch_execz .LBB206_552
; %bb.549:                              ;   in Loop: Header=BB206_546 Depth=1
	v_and_b32_e32 v5, 7, v0
	v_lshrrev_b32_e32 v11, 3, v13
	s_mov_b32 s14, exec_lo
	v_cmpx_gt_u32_e32 8, v13
; %bb.550:                              ;   in Loop: Header=BB206_546 Depth=1
	v_ffbh_u32_e32 v11, v5
	v_min_u32_e32 v11, 32, v11
	v_subrev_nc_u32_e32 v13, 28, v11
	v_sub_nc_u32_e32 v11, 29, v11
	v_lshlrev_b64 v[17:18], v13, v[5:6]
	v_and_b32_e32 v5, 7, v17
; %bb.551:                              ;   in Loop: Header=BB206_546 Depth=1
	s_or_b32 exec_lo, exec_lo, s14
	v_lshlrev_b32_e32 v13, 24, v0
	v_lshlrev_b32_e32 v5, 20, v5
	v_lshl_add_u32 v11, v11, 23, 0x3c000000
	v_and_b32_e32 v13, 0x80000000, v13
	v_or3_b32 v5, v5, v13, v11
	v_mov_b32_e32 v18, v6
	v_mov_b32_e32 v17, v5
.LBB206_552:                            ;   in Loop: Header=BB206_546 Depth=1
	s_or_b32 exec_lo, exec_lo, s13
.LBB206_553:                            ;   in Loop: Header=BB206_546 Depth=1
	s_or_b32 exec_lo, exec_lo, s12
.LBB206_554:                            ;   in Loop: Header=BB206_546 Depth=1
	s_or_b32 exec_lo, exec_lo, s0
	v_cmp_ne_u16_sdwa s12, v0, v6 src0_sel:BYTE_1 src1_sel:DWORD
	s_and_saveexec_b32 s0, s12
	s_cbranch_execz .LBB206_562
; %bb.555:                              ;   in Loop: Header=BB206_546 Depth=1
	v_mov_b32_e32 v11, v6
	v_mov_b32_e32 v20, v12
	v_cmp_ne_u16_sdwa s13, v0, v46 src0_sel:BYTE_1 src1_sel:DWORD
	v_mov_b32_e32 v19, v11
	s_and_saveexec_b32 s12, s13
	s_cbranch_execz .LBB206_561
; %bb.556:                              ;   in Loop: Header=BB206_546 Depth=1
	v_and_b32_sdwa v5, v47, v0 dst_sel:DWORD dst_unused:UNUSED_PAD src0_sel:DWORD src1_sel:BYTE_1
	v_mov_b32_e32 v13, v6
	v_mov_b32_e32 v20, v14
	s_mov_b32 s13, exec_lo
	v_and_b32_e32 v21, 0x7f, v5
	v_mov_b32_e32 v19, v13
	v_cmpx_ne_u32_e32 0x7f, v21
	s_cbranch_execz .LBB206_560
; %bb.557:                              ;   in Loop: Header=BB206_546 Depth=1
	v_and_b32_e32 v5, 7, v5
	v_lshrrev_b32_e32 v11, 3, v21
	s_mov_b32 s14, exec_lo
	v_cmpx_gt_u32_e32 8, v21
; %bb.558:                              ;   in Loop: Header=BB206_546 Depth=1
	v_ffbh_u32_e32 v11, v5
	v_min_u32_e32 v11, 32, v11
	v_subrev_nc_u32_e32 v13, 28, v11
	v_sub_nc_u32_e32 v11, 29, v11
	v_lshlrev_b64 v[19:20], v13, v[5:6]
	v_and_b32_e32 v5, 7, v19
; %bb.559:                              ;   in Loop: Header=BB206_546 Depth=1
	s_or_b32 exec_lo, exec_lo, s14
	v_lshlrev_b32_e32 v13, 16, v0
	v_lshlrev_b32_e32 v5, 20, v5
	v_lshl_add_u32 v11, v11, 23, 0x3c000000
	v_mov_b32_e32 v19, v6
	v_and_b32_e32 v13, 0x80000000, v13
	v_or3_b32 v20, v5, v13, v11
.LBB206_560:                            ;   in Loop: Header=BB206_546 Depth=1
	s_or_b32 exec_lo, exec_lo, s13
.LBB206_561:                            ;   in Loop: Header=BB206_546 Depth=1
	s_or_b32 exec_lo, exec_lo, s12
.LBB206_562:                            ;   in Loop: Header=BB206_546 Depth=1
	s_or_b32 exec_lo, exec_lo, s0
	v_mov_b32_e32 v23, 0
	v_mov_b32_e32 v21, 0
	v_and_b32_sdwa v5, v0, v48 dst_sel:DWORD dst_unused:UNUSED_PAD src0_sel:WORD_1 src1_sel:DWORD
	v_mov_b32_e32 v24, 0
	v_mov_b32_e32 v22, 0
	s_mov_b32 s0, exec_lo
	v_cmpx_ne_u16_e32 0, v5
	s_cbranch_execz .LBB206_570
; %bb.563:                              ;   in Loop: Header=BB206_546 Depth=1
	v_bfrev_b32_e32 v21, 1
	v_mov_b32_e32 v22, 0
	s_mov_b32 s12, exec_lo
	v_cmpx_ne_u16_e32 0x80, v5
	s_cbranch_execz .LBB206_569
; %bb.564:                              ;   in Loop: Header=BB206_546 Depth=1
	v_mov_b32_e32 v21, 0x7f800001
	v_bfe_u32 v13, v0, 16, 7
	v_mov_b32_e32 v22, 0
	s_mov_b32 s13, exec_lo
	v_cmpx_ne_u32_e32 0x7f, v13
	s_cbranch_execz .LBB206_568
; %bb.565:                              ;   in Loop: Header=BB206_546 Depth=1
	v_and_b32_sdwa v5, v0, v49 dst_sel:DWORD dst_unused:UNUSED_PAD src0_sel:WORD_1 src1_sel:DWORD
	v_lshrrev_b32_e32 v11, 3, v13
	s_mov_b32 s14, exec_lo
	v_cmpx_gt_u32_e32 8, v13
; %bb.566:                              ;   in Loop: Header=BB206_546 Depth=1
	v_ffbh_u32_e32 v11, v5
	v_min_u32_e32 v11, 32, v11
	v_subrev_nc_u32_e32 v13, 28, v11
	v_sub_nc_u32_e32 v11, 29, v11
	v_lshlrev_b64 v[21:22], v13, v[5:6]
	v_and_b32_e32 v5, 7, v21
; %bb.567:                              ;   in Loop: Header=BB206_546 Depth=1
	s_or_b32 exec_lo, exec_lo, s14
	v_lshlrev_b32_sdwa v13, v50, v0 dst_sel:DWORD dst_unused:UNUSED_PAD src0_sel:DWORD src1_sel:WORD_1
	v_lshlrev_b32_e32 v5, 20, v5
	v_lshl_add_u32 v11, v11, 23, 0x3c000000
	v_and_b32_e32 v13, 0x80000000, v13
	v_or3_b32 v5, v5, v13, v11
	v_mov_b32_e32 v22, v6
	v_mov_b32_e32 v21, v5
.LBB206_568:                            ;   in Loop: Header=BB206_546 Depth=1
	s_or_b32 exec_lo, exec_lo, s13
.LBB206_569:                            ;   in Loop: Header=BB206_546 Depth=1
	s_or_b32 exec_lo, exec_lo, s12
.LBB206_570:                            ;   in Loop: Header=BB206_546 Depth=1
	s_or_b32 exec_lo, exec_lo, s0
	s_mov_b32 s0, exec_lo
	v_cmpx_lt_u32_e32 0xffffff, v0
	s_cbranch_execz .LBB206_578
; %bb.571:                              ;   in Loop: Header=BB206_546 Depth=1
	v_mov_b32_e32 v11, v6
	v_mov_b32_e32 v24, v12
	v_cmp_ne_u32_sdwa s13, v0, v46 src0_sel:BYTE_3 src1_sel:DWORD
	v_mov_b32_e32 v23, v11
	s_and_saveexec_b32 s12, s13
	s_cbranch_execz .LBB206_577
; %bb.572:                              ;   in Loop: Header=BB206_546 Depth=1
	v_mov_b32_e32 v13, v6
	v_mov_b32_e32 v24, v14
	v_bfe_u32 v51, v0, 24, 7
	s_mov_b32 s13, exec_lo
	v_mov_b32_e32 v23, v13
	v_cmpx_ne_u32_e32 0x7f, v51
	s_cbranch_execz .LBB206_576
; %bb.573:                              ;   in Loop: Header=BB206_546 Depth=1
	v_and_b32_sdwa v5, v0, v49 dst_sel:DWORD dst_unused:UNUSED_PAD src0_sel:BYTE_3 src1_sel:DWORD
	v_lshrrev_b32_e32 v11, 3, v51
	s_mov_b32 s14, exec_lo
	v_cmpx_gt_u32_e32 8, v51
; %bb.574:                              ;   in Loop: Header=BB206_546 Depth=1
	v_ffbh_u32_e32 v11, v5
	v_min_u32_e32 v11, 32, v11
	v_subrev_nc_u32_e32 v13, 28, v11
	v_sub_nc_u32_e32 v11, 29, v11
	v_lshlrev_b64 v[23:24], v13, v[5:6]
	v_and_b32_e32 v5, 7, v23
; %bb.575:                              ;   in Loop: Header=BB206_546 Depth=1
	s_or_b32 exec_lo, exec_lo, s14
	v_lshlrev_b32_sdwa v0, v50, v0 dst_sel:DWORD dst_unused:UNUSED_PAD src0_sel:DWORD src1_sel:BYTE_3
	v_lshlrev_b32_e32 v5, 20, v5
	v_lshl_add_u32 v11, v11, 23, 0x3c000000
	v_mov_b32_e32 v23, v6
	v_and_b32_e32 v0, 0x80000000, v0
	v_or3_b32 v24, v5, v0, v11
.LBB206_576:                            ;   in Loop: Header=BB206_546 Depth=1
	s_or_b32 exec_lo, exec_lo, s13
.LBB206_577:                            ;   in Loop: Header=BB206_546 Depth=1
	s_or_b32 exec_lo, exec_lo, s12
.LBB206_578:                            ;   in Loop: Header=BB206_546 Depth=1
	s_or_b32 exec_lo, exec_lo, s0
	v_or_b32_e32 v0, v20, v18
	v_or_b32_e32 v5, v19, v17
	;; [unrolled: 1-line block ×4, first 2 shown]
	v_add_nc_u32_e32 v55, -3, v44
	v_mov_b32_e32 v115, v52
	v_cmp_eq_u32_e32 vcc_lo, s4, v52
	v_mul_f32_e32 v53, s9, v0
	v_mul_f32_e32 v54, s3, v5
	;; [unrolled: 1-line block ×4, first 2 shown]
	v_add_nc_u32_e32 v57, -2, v44
	v_add_nc_u32_e32 v56, -1, v44
	s_and_saveexec_b32 s12, vcc_lo
	s_cbranch_execz .LBB206_580
; %bb.579:                              ;   in Loop: Header=BB206_546 Depth=1
	v_cmp_gt_i32_e64 s0, s27, v55
	v_cndmask_b32_e64 v54, 0, v54, s0
	v_cmp_gt_i32_e64 s0, s27, v57
	v_cndmask_b32_e64 v53, 0, v53, s0
	;; [unrolled: 2-line block ×4, first 2 shown]
.LBB206_580:                            ;   in Loop: Header=BB206_546 Depth=1
	s_or_b32 exec_lo, exec_lo, s12
	global_load_dword v0, v[15:16], off offset:128
	v_mov_b32_e32 v19, 0
	v_mov_b32_e32 v17, 0
	;; [unrolled: 1-line block ×4, first 2 shown]
	s_waitcnt vmcnt(0)
	v_cmp_ne_u16_sdwa s0, v0, v6 src0_sel:BYTE_0 src1_sel:DWORD
	s_and_saveexec_b32 s12, s0
	s_cbranch_execz .LBB206_588
; %bb.581:                              ;   in Loop: Header=BB206_546 Depth=1
	v_bfrev_b32_e32 v17, 1
	v_mov_b32_e32 v18, 0
	v_cmp_ne_u16_sdwa s0, v0, v46 src0_sel:BYTE_0 src1_sel:DWORD
	s_and_saveexec_b32 s13, s0
	s_cbranch_execz .LBB206_587
; %bb.582:                              ;   in Loop: Header=BB206_546 Depth=1
	v_mov_b32_e32 v17, 0x7f800001
	v_and_b32_e32 v13, 0x7f, v0
	v_mov_b32_e32 v18, 0
	s_mov_b32 s14, exec_lo
	v_cmpx_ne_u32_e32 0x7f, v13
	s_cbranch_execz .LBB206_586
; %bb.583:                              ;   in Loop: Header=BB206_546 Depth=1
	v_and_b32_e32 v5, 7, v0
	v_lshrrev_b32_e32 v11, 3, v13
	s_mov_b32 s15, exec_lo
	v_cmpx_gt_u32_e32 8, v13
; %bb.584:                              ;   in Loop: Header=BB206_546 Depth=1
	v_ffbh_u32_e32 v11, v5
	v_min_u32_e32 v11, 32, v11
	v_subrev_nc_u32_e32 v13, 28, v11
	v_sub_nc_u32_e32 v11, 29, v11
	v_lshlrev_b64 v[17:18], v13, v[5:6]
	v_and_b32_e32 v5, 7, v17
; %bb.585:                              ;   in Loop: Header=BB206_546 Depth=1
	s_or_b32 exec_lo, exec_lo, s15
	v_lshlrev_b32_e32 v13, 24, v0
	v_lshlrev_b32_e32 v5, 20, v5
	v_lshl_add_u32 v11, v11, 23, 0x3c000000
	v_and_b32_e32 v13, 0x80000000, v13
	v_or3_b32 v5, v5, v13, v11
	v_mov_b32_e32 v18, v6
	v_mov_b32_e32 v17, v5
.LBB206_586:                            ;   in Loop: Header=BB206_546 Depth=1
	s_or_b32 exec_lo, exec_lo, s14
.LBB206_587:                            ;   in Loop: Header=BB206_546 Depth=1
	s_or_b32 exec_lo, exec_lo, s13
.LBB206_588:                            ;   in Loop: Header=BB206_546 Depth=1
	s_or_b32 exec_lo, exec_lo, s12
	v_cmp_ne_u16_sdwa s0, v0, v6 src0_sel:BYTE_1 src1_sel:DWORD
	s_and_saveexec_b32 s12, s0
	s_cbranch_execz .LBB206_596
; %bb.589:                              ;   in Loop: Header=BB206_546 Depth=1
	v_mov_b32_e32 v11, v6
	v_mov_b32_e32 v20, v12
	v_cmp_ne_u16_sdwa s0, v0, v46 src0_sel:BYTE_1 src1_sel:DWORD
	v_mov_b32_e32 v19, v11
	s_and_saveexec_b32 s13, s0
	s_cbranch_execz .LBB206_595
; %bb.590:                              ;   in Loop: Header=BB206_546 Depth=1
	v_and_b32_sdwa v5, v47, v0 dst_sel:DWORD dst_unused:UNUSED_PAD src0_sel:DWORD src1_sel:BYTE_1
	v_mov_b32_e32 v13, v6
	v_mov_b32_e32 v20, v14
	s_mov_b32 s14, exec_lo
	v_and_b32_e32 v21, 0x7f, v5
	v_mov_b32_e32 v19, v13
	v_cmpx_ne_u32_e32 0x7f, v21
	s_cbranch_execz .LBB206_594
; %bb.591:                              ;   in Loop: Header=BB206_546 Depth=1
	v_and_b32_e32 v5, 7, v5
	v_lshrrev_b32_e32 v11, 3, v21
	s_mov_b32 s15, exec_lo
	v_cmpx_gt_u32_e32 8, v21
; %bb.592:                              ;   in Loop: Header=BB206_546 Depth=1
	v_ffbh_u32_e32 v11, v5
	v_min_u32_e32 v11, 32, v11
	v_subrev_nc_u32_e32 v13, 28, v11
	v_sub_nc_u32_e32 v11, 29, v11
	v_lshlrev_b64 v[19:20], v13, v[5:6]
	v_and_b32_e32 v5, 7, v19
; %bb.593:                              ;   in Loop: Header=BB206_546 Depth=1
	s_or_b32 exec_lo, exec_lo, s15
	v_lshlrev_b32_e32 v13, 16, v0
	v_lshlrev_b32_e32 v5, 20, v5
	v_lshl_add_u32 v11, v11, 23, 0x3c000000
	v_mov_b32_e32 v19, v6
	v_and_b32_e32 v13, 0x80000000, v13
	v_or3_b32 v20, v5, v13, v11
.LBB206_594:                            ;   in Loop: Header=BB206_546 Depth=1
	s_or_b32 exec_lo, exec_lo, s14
.LBB206_595:                            ;   in Loop: Header=BB206_546 Depth=1
	s_or_b32 exec_lo, exec_lo, s13
.LBB206_596:                            ;   in Loop: Header=BB206_546 Depth=1
	s_or_b32 exec_lo, exec_lo, s12
	v_mov_b32_e32 v23, 0
	v_mov_b32_e32 v21, 0
	v_and_b32_sdwa v5, v0, v48 dst_sel:DWORD dst_unused:UNUSED_PAD src0_sel:WORD_1 src1_sel:DWORD
	v_mov_b32_e32 v24, 0
	v_mov_b32_e32 v22, 0
	s_mov_b32 s12, exec_lo
	v_cmpx_ne_u16_e32 0, v5
	s_cbranch_execz .LBB206_604
; %bb.597:                              ;   in Loop: Header=BB206_546 Depth=1
	v_bfrev_b32_e32 v21, 1
	v_mov_b32_e32 v22, 0
	s_mov_b32 s13, exec_lo
	v_cmpx_ne_u16_e32 0x80, v5
	s_cbranch_execz .LBB206_603
; %bb.598:                              ;   in Loop: Header=BB206_546 Depth=1
	v_mov_b32_e32 v21, 0x7f800001
	v_bfe_u32 v13, v0, 16, 7
	v_mov_b32_e32 v22, 0
	s_mov_b32 s14, exec_lo
	v_cmpx_ne_u32_e32 0x7f, v13
	s_cbranch_execz .LBB206_602
; %bb.599:                              ;   in Loop: Header=BB206_546 Depth=1
	v_and_b32_sdwa v5, v0, v49 dst_sel:DWORD dst_unused:UNUSED_PAD src0_sel:WORD_1 src1_sel:DWORD
	v_lshrrev_b32_e32 v11, 3, v13
	s_mov_b32 s15, exec_lo
	v_cmpx_gt_u32_e32 8, v13
; %bb.600:                              ;   in Loop: Header=BB206_546 Depth=1
	v_ffbh_u32_e32 v11, v5
	v_min_u32_e32 v11, 32, v11
	v_subrev_nc_u32_e32 v13, 28, v11
	v_sub_nc_u32_e32 v11, 29, v11
	v_lshlrev_b64 v[21:22], v13, v[5:6]
	v_and_b32_e32 v5, 7, v21
; %bb.601:                              ;   in Loop: Header=BB206_546 Depth=1
	s_or_b32 exec_lo, exec_lo, s15
	v_lshlrev_b32_sdwa v13, v50, v0 dst_sel:DWORD dst_unused:UNUSED_PAD src0_sel:DWORD src1_sel:WORD_1
	v_lshlrev_b32_e32 v5, 20, v5
	v_lshl_add_u32 v11, v11, 23, 0x3c000000
	v_and_b32_e32 v13, 0x80000000, v13
	v_or3_b32 v5, v5, v13, v11
	v_mov_b32_e32 v22, v6
	v_mov_b32_e32 v21, v5
.LBB206_602:                            ;   in Loop: Header=BB206_546 Depth=1
	s_or_b32 exec_lo, exec_lo, s14
.LBB206_603:                            ;   in Loop: Header=BB206_546 Depth=1
	s_or_b32 exec_lo, exec_lo, s13
.LBB206_604:                            ;   in Loop: Header=BB206_546 Depth=1
	s_or_b32 exec_lo, exec_lo, s12
	s_mov_b32 s12, exec_lo
	v_cmpx_lt_u32_e32 0xffffff, v0
	s_cbranch_execz .LBB206_612
; %bb.605:                              ;   in Loop: Header=BB206_546 Depth=1
	v_mov_b32_e32 v11, v6
	v_mov_b32_e32 v24, v12
	v_cmp_ne_u32_sdwa s0, v0, v46 src0_sel:BYTE_3 src1_sel:DWORD
	v_mov_b32_e32 v23, v11
	s_and_saveexec_b32 s13, s0
	s_cbranch_execz .LBB206_611
; %bb.606:                              ;   in Loop: Header=BB206_546 Depth=1
	v_mov_b32_e32 v13, v6
	v_mov_b32_e32 v24, v14
	v_bfe_u32 v58, v0, 24, 7
	s_mov_b32 s14, exec_lo
	v_mov_b32_e32 v23, v13
	v_cmpx_ne_u32_e32 0x7f, v58
	s_cbranch_execz .LBB206_610
; %bb.607:                              ;   in Loop: Header=BB206_546 Depth=1
	v_and_b32_sdwa v5, v0, v49 dst_sel:DWORD dst_unused:UNUSED_PAD src0_sel:BYTE_3 src1_sel:DWORD
	v_lshrrev_b32_e32 v11, 3, v58
	s_mov_b32 s15, exec_lo
	v_cmpx_gt_u32_e32 8, v58
; %bb.608:                              ;   in Loop: Header=BB206_546 Depth=1
	v_ffbh_u32_e32 v11, v5
	v_min_u32_e32 v11, 32, v11
	v_subrev_nc_u32_e32 v13, 28, v11
	v_sub_nc_u32_e32 v11, 29, v11
	v_lshlrev_b64 v[23:24], v13, v[5:6]
	v_and_b32_e32 v5, 7, v23
; %bb.609:                              ;   in Loop: Header=BB206_546 Depth=1
	s_or_b32 exec_lo, exec_lo, s15
	v_lshlrev_b32_sdwa v0, v50, v0 dst_sel:DWORD dst_unused:UNUSED_PAD src0_sel:DWORD src1_sel:BYTE_3
	v_lshlrev_b32_e32 v5, 20, v5
	v_lshl_add_u32 v11, v11, 23, 0x3c000000
	v_mov_b32_e32 v23, v6
	v_and_b32_e32 v0, 0x80000000, v0
	v_or3_b32 v24, v5, v0, v11
.LBB206_610:                            ;   in Loop: Header=BB206_546 Depth=1
	s_or_b32 exec_lo, exec_lo, s14
.LBB206_611:                            ;   in Loop: Header=BB206_546 Depth=1
	s_or_b32 exec_lo, exec_lo, s13
.LBB206_612:                            ;   in Loop: Header=BB206_546 Depth=1
	s_or_b32 exec_lo, exec_lo, s12
	v_or_b32_e32 v0, v20, v18
	v_or_b32_e32 v5, v19, v17
	;; [unrolled: 1-line block ×4, first 2 shown]
	v_mul_f32_e32 v60, s9, v0
	v_mul_f32_e32 v61, s3, v5
	;; [unrolled: 1-line block ×4, first 2 shown]
	s_and_saveexec_b32 s12, vcc_lo
	s_cbranch_execz .LBB206_614
; %bb.613:                              ;   in Loop: Header=BB206_546 Depth=1
	v_cmp_gt_i32_e64 s0, s27, v55
	v_cndmask_b32_e64 v61, 0, v61, s0
	v_cmp_gt_i32_e64 s0, s27, v57
	v_cndmask_b32_e64 v60, 0, v60, s0
	;; [unrolled: 2-line block ×4, first 2 shown]
.LBB206_614:                            ;   in Loop: Header=BB206_546 Depth=1
	s_or_b32 exec_lo, exec_lo, s12
	global_load_dword v0, v[15:16], off offset:256
	v_mov_b32_e32 v19, 0
	v_mov_b32_e32 v17, 0
	;; [unrolled: 1-line block ×4, first 2 shown]
	s_waitcnt vmcnt(0)
	v_cmp_ne_u16_sdwa s0, v0, v6 src0_sel:BYTE_0 src1_sel:DWORD
	s_and_saveexec_b32 s12, s0
	s_cbranch_execz .LBB206_622
; %bb.615:                              ;   in Loop: Header=BB206_546 Depth=1
	v_bfrev_b32_e32 v17, 1
	v_mov_b32_e32 v18, 0
	v_cmp_ne_u16_sdwa s0, v0, v46 src0_sel:BYTE_0 src1_sel:DWORD
	s_and_saveexec_b32 s13, s0
	s_cbranch_execz .LBB206_621
; %bb.616:                              ;   in Loop: Header=BB206_546 Depth=1
	v_mov_b32_e32 v17, 0x7f800001
	v_and_b32_e32 v13, 0x7f, v0
	v_mov_b32_e32 v18, 0
	s_mov_b32 s14, exec_lo
	v_cmpx_ne_u32_e32 0x7f, v13
	s_cbranch_execz .LBB206_620
; %bb.617:                              ;   in Loop: Header=BB206_546 Depth=1
	v_and_b32_e32 v5, 7, v0
	v_lshrrev_b32_e32 v11, 3, v13
	s_mov_b32 s15, exec_lo
	v_cmpx_gt_u32_e32 8, v13
; %bb.618:                              ;   in Loop: Header=BB206_546 Depth=1
	v_ffbh_u32_e32 v11, v5
	v_min_u32_e32 v11, 32, v11
	v_subrev_nc_u32_e32 v13, 28, v11
	v_sub_nc_u32_e32 v11, 29, v11
	v_lshlrev_b64 v[17:18], v13, v[5:6]
	v_and_b32_e32 v5, 7, v17
; %bb.619:                              ;   in Loop: Header=BB206_546 Depth=1
	s_or_b32 exec_lo, exec_lo, s15
	v_lshlrev_b32_e32 v13, 24, v0
	v_lshlrev_b32_e32 v5, 20, v5
	v_lshl_add_u32 v11, v11, 23, 0x3c000000
	v_and_b32_e32 v13, 0x80000000, v13
	v_or3_b32 v5, v5, v13, v11
	v_mov_b32_e32 v18, v6
	v_mov_b32_e32 v17, v5
.LBB206_620:                            ;   in Loop: Header=BB206_546 Depth=1
	s_or_b32 exec_lo, exec_lo, s14
.LBB206_621:                            ;   in Loop: Header=BB206_546 Depth=1
	s_or_b32 exec_lo, exec_lo, s13
.LBB206_622:                            ;   in Loop: Header=BB206_546 Depth=1
	s_or_b32 exec_lo, exec_lo, s12
	v_cmp_ne_u16_sdwa s0, v0, v6 src0_sel:BYTE_1 src1_sel:DWORD
	s_and_saveexec_b32 s12, s0
	s_cbranch_execz .LBB206_630
; %bb.623:                              ;   in Loop: Header=BB206_546 Depth=1
	v_mov_b32_e32 v11, v6
	v_mov_b32_e32 v20, v12
	v_cmp_ne_u16_sdwa s0, v0, v46 src0_sel:BYTE_1 src1_sel:DWORD
	v_mov_b32_e32 v19, v11
	s_and_saveexec_b32 s13, s0
	s_cbranch_execz .LBB206_629
; %bb.624:                              ;   in Loop: Header=BB206_546 Depth=1
	v_and_b32_sdwa v5, v47, v0 dst_sel:DWORD dst_unused:UNUSED_PAD src0_sel:DWORD src1_sel:BYTE_1
	v_mov_b32_e32 v13, v6
	v_mov_b32_e32 v20, v14
	s_mov_b32 s14, exec_lo
	v_and_b32_e32 v21, 0x7f, v5
	v_mov_b32_e32 v19, v13
	v_cmpx_ne_u32_e32 0x7f, v21
	s_cbranch_execz .LBB206_628
; %bb.625:                              ;   in Loop: Header=BB206_546 Depth=1
	v_and_b32_e32 v5, 7, v5
	v_lshrrev_b32_e32 v11, 3, v21
	s_mov_b32 s15, exec_lo
	v_cmpx_gt_u32_e32 8, v21
; %bb.626:                              ;   in Loop: Header=BB206_546 Depth=1
	v_ffbh_u32_e32 v11, v5
	v_min_u32_e32 v11, 32, v11
	v_subrev_nc_u32_e32 v13, 28, v11
	v_sub_nc_u32_e32 v11, 29, v11
	v_lshlrev_b64 v[19:20], v13, v[5:6]
	v_and_b32_e32 v5, 7, v19
; %bb.627:                              ;   in Loop: Header=BB206_546 Depth=1
	s_or_b32 exec_lo, exec_lo, s15
	v_lshlrev_b32_e32 v13, 16, v0
	v_lshlrev_b32_e32 v5, 20, v5
	v_lshl_add_u32 v11, v11, 23, 0x3c000000
	v_mov_b32_e32 v19, v6
	v_and_b32_e32 v13, 0x80000000, v13
	v_or3_b32 v20, v5, v13, v11
.LBB206_628:                            ;   in Loop: Header=BB206_546 Depth=1
	s_or_b32 exec_lo, exec_lo, s14
.LBB206_629:                            ;   in Loop: Header=BB206_546 Depth=1
	s_or_b32 exec_lo, exec_lo, s13
.LBB206_630:                            ;   in Loop: Header=BB206_546 Depth=1
	s_or_b32 exec_lo, exec_lo, s12
	v_mov_b32_e32 v23, 0
	v_mov_b32_e32 v21, 0
	v_and_b32_sdwa v5, v0, v48 dst_sel:DWORD dst_unused:UNUSED_PAD src0_sel:WORD_1 src1_sel:DWORD
	v_mov_b32_e32 v24, 0
	v_mov_b32_e32 v22, 0
	s_mov_b32 s12, exec_lo
	v_cmpx_ne_u16_e32 0, v5
	s_cbranch_execz .LBB206_638
; %bb.631:                              ;   in Loop: Header=BB206_546 Depth=1
	v_bfrev_b32_e32 v21, 1
	v_mov_b32_e32 v22, 0
	s_mov_b32 s13, exec_lo
	v_cmpx_ne_u16_e32 0x80, v5
	s_cbranch_execz .LBB206_637
; %bb.632:                              ;   in Loop: Header=BB206_546 Depth=1
	v_mov_b32_e32 v21, 0x7f800001
	v_bfe_u32 v13, v0, 16, 7
	v_mov_b32_e32 v22, 0
	s_mov_b32 s14, exec_lo
	v_cmpx_ne_u32_e32 0x7f, v13
	s_cbranch_execz .LBB206_636
; %bb.633:                              ;   in Loop: Header=BB206_546 Depth=1
	v_and_b32_sdwa v5, v0, v49 dst_sel:DWORD dst_unused:UNUSED_PAD src0_sel:WORD_1 src1_sel:DWORD
	v_lshrrev_b32_e32 v11, 3, v13
	s_mov_b32 s15, exec_lo
	v_cmpx_gt_u32_e32 8, v13
; %bb.634:                              ;   in Loop: Header=BB206_546 Depth=1
	v_ffbh_u32_e32 v11, v5
	v_min_u32_e32 v11, 32, v11
	v_subrev_nc_u32_e32 v13, 28, v11
	v_sub_nc_u32_e32 v11, 29, v11
	v_lshlrev_b64 v[21:22], v13, v[5:6]
	v_and_b32_e32 v5, 7, v21
; %bb.635:                              ;   in Loop: Header=BB206_546 Depth=1
	s_or_b32 exec_lo, exec_lo, s15
	v_lshlrev_b32_sdwa v13, v50, v0 dst_sel:DWORD dst_unused:UNUSED_PAD src0_sel:DWORD src1_sel:WORD_1
	v_lshlrev_b32_e32 v5, 20, v5
	v_lshl_add_u32 v11, v11, 23, 0x3c000000
	v_and_b32_e32 v13, 0x80000000, v13
	v_or3_b32 v5, v5, v13, v11
	v_mov_b32_e32 v22, v6
	v_mov_b32_e32 v21, v5
.LBB206_636:                            ;   in Loop: Header=BB206_546 Depth=1
	s_or_b32 exec_lo, exec_lo, s14
.LBB206_637:                            ;   in Loop: Header=BB206_546 Depth=1
	s_or_b32 exec_lo, exec_lo, s13
.LBB206_638:                            ;   in Loop: Header=BB206_546 Depth=1
	s_or_b32 exec_lo, exec_lo, s12
	s_mov_b32 s12, exec_lo
	v_cmpx_lt_u32_e32 0xffffff, v0
	s_cbranch_execz .LBB206_646
; %bb.639:                              ;   in Loop: Header=BB206_546 Depth=1
	v_mov_b32_e32 v11, v6
	v_mov_b32_e32 v24, v12
	v_cmp_ne_u32_sdwa s0, v0, v46 src0_sel:BYTE_3 src1_sel:DWORD
	v_mov_b32_e32 v23, v11
	s_and_saveexec_b32 s13, s0
	s_cbranch_execz .LBB206_645
; %bb.640:                              ;   in Loop: Header=BB206_546 Depth=1
	v_mov_b32_e32 v13, v6
	v_mov_b32_e32 v24, v14
	v_bfe_u32 v62, v0, 24, 7
	s_mov_b32 s14, exec_lo
	v_mov_b32_e32 v23, v13
	v_cmpx_ne_u32_e32 0x7f, v62
	s_cbranch_execz .LBB206_644
; %bb.641:                              ;   in Loop: Header=BB206_546 Depth=1
	v_and_b32_sdwa v5, v0, v49 dst_sel:DWORD dst_unused:UNUSED_PAD src0_sel:BYTE_3 src1_sel:DWORD
	v_lshrrev_b32_e32 v11, 3, v62
	s_mov_b32 s15, exec_lo
	v_cmpx_gt_u32_e32 8, v62
; %bb.642:                              ;   in Loop: Header=BB206_546 Depth=1
	v_ffbh_u32_e32 v11, v5
	v_min_u32_e32 v11, 32, v11
	v_subrev_nc_u32_e32 v13, 28, v11
	v_sub_nc_u32_e32 v11, 29, v11
	v_lshlrev_b64 v[23:24], v13, v[5:6]
	v_and_b32_e32 v5, 7, v23
; %bb.643:                              ;   in Loop: Header=BB206_546 Depth=1
	s_or_b32 exec_lo, exec_lo, s15
	v_lshlrev_b32_sdwa v0, v50, v0 dst_sel:DWORD dst_unused:UNUSED_PAD src0_sel:DWORD src1_sel:BYTE_3
	v_lshlrev_b32_e32 v5, 20, v5
	v_lshl_add_u32 v11, v11, 23, 0x3c000000
	v_mov_b32_e32 v23, v6
	v_and_b32_e32 v0, 0x80000000, v0
	v_or3_b32 v24, v5, v0, v11
.LBB206_644:                            ;   in Loop: Header=BB206_546 Depth=1
	s_or_b32 exec_lo, exec_lo, s14
.LBB206_645:                            ;   in Loop: Header=BB206_546 Depth=1
	s_or_b32 exec_lo, exec_lo, s13
.LBB206_646:                            ;   in Loop: Header=BB206_546 Depth=1
	s_or_b32 exec_lo, exec_lo, s12
	v_or_b32_e32 v0, v20, v18
	v_or_b32_e32 v5, v19, v17
	;; [unrolled: 1-line block ×4, first 2 shown]
	v_mul_f32_e32 v64, s9, v0
	v_mul_f32_e32 v66, s3, v5
	v_mul_f32_e32 v63, s3, v11
	v_mul_f32_e32 v62, s9, v13
	s_and_saveexec_b32 s12, vcc_lo
	s_cbranch_execz .LBB206_648
; %bb.647:                              ;   in Loop: Header=BB206_546 Depth=1
	v_cmp_gt_i32_e64 s0, s27, v55
	v_cndmask_b32_e64 v66, 0, v66, s0
	v_cmp_gt_i32_e64 s0, s27, v57
	v_cndmask_b32_e64 v64, 0, v64, s0
	;; [unrolled: 2-line block ×4, first 2 shown]
.LBB206_648:                            ;   in Loop: Header=BB206_546 Depth=1
	s_or_b32 exec_lo, exec_lo, s12
	global_load_dword v0, v[15:16], off offset:384
	v_mov_b32_e32 v19, 0
	v_mov_b32_e32 v17, 0
	;; [unrolled: 1-line block ×4, first 2 shown]
	s_waitcnt vmcnt(0)
	v_cmp_ne_u16_sdwa s0, v0, v6 src0_sel:BYTE_0 src1_sel:DWORD
	s_and_saveexec_b32 s12, s0
	s_cbranch_execz .LBB206_656
; %bb.649:                              ;   in Loop: Header=BB206_546 Depth=1
	v_bfrev_b32_e32 v17, 1
	v_mov_b32_e32 v18, 0
	v_cmp_ne_u16_sdwa s0, v0, v46 src0_sel:BYTE_0 src1_sel:DWORD
	s_and_saveexec_b32 s13, s0
	s_cbranch_execz .LBB206_655
; %bb.650:                              ;   in Loop: Header=BB206_546 Depth=1
	v_mov_b32_e32 v17, 0x7f800001
	v_and_b32_e32 v13, 0x7f, v0
	v_mov_b32_e32 v18, 0
	s_mov_b32 s14, exec_lo
	v_cmpx_ne_u32_e32 0x7f, v13
	s_cbranch_execz .LBB206_654
; %bb.651:                              ;   in Loop: Header=BB206_546 Depth=1
	v_and_b32_e32 v5, 7, v0
	v_lshrrev_b32_e32 v11, 3, v13
	s_mov_b32 s15, exec_lo
	v_cmpx_gt_u32_e32 8, v13
; %bb.652:                              ;   in Loop: Header=BB206_546 Depth=1
	v_ffbh_u32_e32 v11, v5
	v_min_u32_e32 v11, 32, v11
	v_subrev_nc_u32_e32 v13, 28, v11
	v_sub_nc_u32_e32 v11, 29, v11
	v_lshlrev_b64 v[17:18], v13, v[5:6]
	v_and_b32_e32 v5, 7, v17
; %bb.653:                              ;   in Loop: Header=BB206_546 Depth=1
	s_or_b32 exec_lo, exec_lo, s15
	v_lshlrev_b32_e32 v13, 24, v0
	v_lshlrev_b32_e32 v5, 20, v5
	v_lshl_add_u32 v11, v11, 23, 0x3c000000
	v_and_b32_e32 v13, 0x80000000, v13
	v_or3_b32 v5, v5, v13, v11
	v_mov_b32_e32 v18, v6
	v_mov_b32_e32 v17, v5
.LBB206_654:                            ;   in Loop: Header=BB206_546 Depth=1
	s_or_b32 exec_lo, exec_lo, s14
.LBB206_655:                            ;   in Loop: Header=BB206_546 Depth=1
	s_or_b32 exec_lo, exec_lo, s13
.LBB206_656:                            ;   in Loop: Header=BB206_546 Depth=1
	s_or_b32 exec_lo, exec_lo, s12
	v_cmp_ne_u16_sdwa s0, v0, v6 src0_sel:BYTE_1 src1_sel:DWORD
	s_and_saveexec_b32 s12, s0
	s_cbranch_execz .LBB206_664
; %bb.657:                              ;   in Loop: Header=BB206_546 Depth=1
	v_mov_b32_e32 v11, v6
	v_mov_b32_e32 v20, v12
	v_cmp_ne_u16_sdwa s0, v0, v46 src0_sel:BYTE_1 src1_sel:DWORD
	v_mov_b32_e32 v19, v11
	s_and_saveexec_b32 s13, s0
	s_cbranch_execz .LBB206_663
; %bb.658:                              ;   in Loop: Header=BB206_546 Depth=1
	v_and_b32_sdwa v5, v47, v0 dst_sel:DWORD dst_unused:UNUSED_PAD src0_sel:DWORD src1_sel:BYTE_1
	v_mov_b32_e32 v13, v6
	v_mov_b32_e32 v20, v14
	s_mov_b32 s14, exec_lo
	v_and_b32_e32 v21, 0x7f, v5
	v_mov_b32_e32 v19, v13
	v_cmpx_ne_u32_e32 0x7f, v21
	s_cbranch_execz .LBB206_662
; %bb.659:                              ;   in Loop: Header=BB206_546 Depth=1
	v_and_b32_e32 v5, 7, v5
	v_lshrrev_b32_e32 v11, 3, v21
	s_mov_b32 s15, exec_lo
	v_cmpx_gt_u32_e32 8, v21
; %bb.660:                              ;   in Loop: Header=BB206_546 Depth=1
	v_ffbh_u32_e32 v11, v5
	v_min_u32_e32 v11, 32, v11
	v_subrev_nc_u32_e32 v13, 28, v11
	v_sub_nc_u32_e32 v11, 29, v11
	v_lshlrev_b64 v[19:20], v13, v[5:6]
	v_and_b32_e32 v5, 7, v19
; %bb.661:                              ;   in Loop: Header=BB206_546 Depth=1
	s_or_b32 exec_lo, exec_lo, s15
	v_lshlrev_b32_e32 v13, 16, v0
	v_lshlrev_b32_e32 v5, 20, v5
	v_lshl_add_u32 v11, v11, 23, 0x3c000000
	v_mov_b32_e32 v19, v6
	v_and_b32_e32 v13, 0x80000000, v13
	v_or3_b32 v20, v5, v13, v11
.LBB206_662:                            ;   in Loop: Header=BB206_546 Depth=1
	s_or_b32 exec_lo, exec_lo, s14
.LBB206_663:                            ;   in Loop: Header=BB206_546 Depth=1
	s_or_b32 exec_lo, exec_lo, s13
.LBB206_664:                            ;   in Loop: Header=BB206_546 Depth=1
	s_or_b32 exec_lo, exec_lo, s12
	v_mov_b32_e32 v23, 0
	v_mov_b32_e32 v21, 0
	v_and_b32_sdwa v5, v0, v48 dst_sel:DWORD dst_unused:UNUSED_PAD src0_sel:WORD_1 src1_sel:DWORD
	v_mov_b32_e32 v24, 0
	v_mov_b32_e32 v22, 0
	s_mov_b32 s12, exec_lo
	v_cmpx_ne_u16_e32 0, v5
	s_cbranch_execz .LBB206_672
; %bb.665:                              ;   in Loop: Header=BB206_546 Depth=1
	v_bfrev_b32_e32 v21, 1
	v_mov_b32_e32 v22, 0
	s_mov_b32 s13, exec_lo
	v_cmpx_ne_u16_e32 0x80, v5
	s_cbranch_execz .LBB206_671
; %bb.666:                              ;   in Loop: Header=BB206_546 Depth=1
	v_mov_b32_e32 v21, 0x7f800001
	v_bfe_u32 v13, v0, 16, 7
	v_mov_b32_e32 v22, 0
	s_mov_b32 s14, exec_lo
	v_cmpx_ne_u32_e32 0x7f, v13
	s_cbranch_execz .LBB206_670
; %bb.667:                              ;   in Loop: Header=BB206_546 Depth=1
	v_and_b32_sdwa v5, v0, v49 dst_sel:DWORD dst_unused:UNUSED_PAD src0_sel:WORD_1 src1_sel:DWORD
	v_lshrrev_b32_e32 v11, 3, v13
	s_mov_b32 s15, exec_lo
	v_cmpx_gt_u32_e32 8, v13
; %bb.668:                              ;   in Loop: Header=BB206_546 Depth=1
	v_ffbh_u32_e32 v11, v5
	v_min_u32_e32 v11, 32, v11
	v_subrev_nc_u32_e32 v13, 28, v11
	v_sub_nc_u32_e32 v11, 29, v11
	v_lshlrev_b64 v[21:22], v13, v[5:6]
	v_and_b32_e32 v5, 7, v21
; %bb.669:                              ;   in Loop: Header=BB206_546 Depth=1
	s_or_b32 exec_lo, exec_lo, s15
	v_lshlrev_b32_sdwa v13, v50, v0 dst_sel:DWORD dst_unused:UNUSED_PAD src0_sel:DWORD src1_sel:WORD_1
	v_lshlrev_b32_e32 v5, 20, v5
	v_lshl_add_u32 v11, v11, 23, 0x3c000000
	v_and_b32_e32 v13, 0x80000000, v13
	v_or3_b32 v5, v5, v13, v11
	v_mov_b32_e32 v22, v6
	v_mov_b32_e32 v21, v5
.LBB206_670:                            ;   in Loop: Header=BB206_546 Depth=1
	s_or_b32 exec_lo, exec_lo, s14
.LBB206_671:                            ;   in Loop: Header=BB206_546 Depth=1
	s_or_b32 exec_lo, exec_lo, s13
.LBB206_672:                            ;   in Loop: Header=BB206_546 Depth=1
	s_or_b32 exec_lo, exec_lo, s12
	s_mov_b32 s12, exec_lo
	v_cmpx_lt_u32_e32 0xffffff, v0
	s_cbranch_execz .LBB206_680
; %bb.673:                              ;   in Loop: Header=BB206_546 Depth=1
	v_mov_b32_e32 v11, v6
	v_mov_b32_e32 v24, v12
	v_cmp_ne_u32_sdwa s0, v0, v46 src0_sel:BYTE_3 src1_sel:DWORD
	v_mov_b32_e32 v23, v11
	s_and_saveexec_b32 s13, s0
	s_cbranch_execz .LBB206_679
; %bb.674:                              ;   in Loop: Header=BB206_546 Depth=1
	v_mov_b32_e32 v13, v6
	v_mov_b32_e32 v24, v14
	v_bfe_u32 v65, v0, 24, 7
	s_mov_b32 s14, exec_lo
	v_mov_b32_e32 v23, v13
	v_cmpx_ne_u32_e32 0x7f, v65
	s_cbranch_execz .LBB206_678
; %bb.675:                              ;   in Loop: Header=BB206_546 Depth=1
	v_and_b32_sdwa v5, v0, v49 dst_sel:DWORD dst_unused:UNUSED_PAD src0_sel:BYTE_3 src1_sel:DWORD
	v_lshrrev_b32_e32 v11, 3, v65
	s_mov_b32 s15, exec_lo
	v_cmpx_gt_u32_e32 8, v65
; %bb.676:                              ;   in Loop: Header=BB206_546 Depth=1
	v_ffbh_u32_e32 v11, v5
	v_min_u32_e32 v11, 32, v11
	v_subrev_nc_u32_e32 v13, 28, v11
	v_sub_nc_u32_e32 v11, 29, v11
	v_lshlrev_b64 v[23:24], v13, v[5:6]
	v_and_b32_e32 v5, 7, v23
; %bb.677:                              ;   in Loop: Header=BB206_546 Depth=1
	s_or_b32 exec_lo, exec_lo, s15
	v_lshlrev_b32_sdwa v0, v50, v0 dst_sel:DWORD dst_unused:UNUSED_PAD src0_sel:DWORD src1_sel:BYTE_3
	v_lshlrev_b32_e32 v5, 20, v5
	v_lshl_add_u32 v11, v11, 23, 0x3c000000
	v_mov_b32_e32 v23, v6
	v_and_b32_e32 v0, 0x80000000, v0
	v_or3_b32 v24, v5, v0, v11
.LBB206_678:                            ;   in Loop: Header=BB206_546 Depth=1
	s_or_b32 exec_lo, exec_lo, s14
.LBB206_679:                            ;   in Loop: Header=BB206_546 Depth=1
	s_or_b32 exec_lo, exec_lo, s13
.LBB206_680:                            ;   in Loop: Header=BB206_546 Depth=1
	s_or_b32 exec_lo, exec_lo, s12
	v_or_b32_e32 v0, v20, v18
	v_or_b32_e32 v5, v19, v17
	;; [unrolled: 1-line block ×4, first 2 shown]
	v_mul_f32_e32 v69, s9, v0
	v_mul_f32_e32 v70, s3, v5
	;; [unrolled: 1-line block ×4, first 2 shown]
	s_and_saveexec_b32 s12, vcc_lo
	s_cbranch_execz .LBB206_682
; %bb.681:                              ;   in Loop: Header=BB206_546 Depth=1
	v_cmp_gt_i32_e64 s0, s27, v55
	v_cndmask_b32_e64 v70, 0, v70, s0
	v_cmp_gt_i32_e64 s0, s27, v57
	v_cndmask_b32_e64 v69, 0, v69, s0
	;; [unrolled: 2-line block ×4, first 2 shown]
.LBB206_682:                            ;   in Loop: Header=BB206_546 Depth=1
	s_or_b32 exec_lo, exec_lo, s12
	global_load_dword v0, v[15:16], off offset:512
	v_mov_b32_e32 v19, 0
	v_mov_b32_e32 v17, 0
	;; [unrolled: 1-line block ×4, first 2 shown]
	s_waitcnt vmcnt(0)
	v_cmp_ne_u16_sdwa s0, v0, v6 src0_sel:BYTE_0 src1_sel:DWORD
	s_and_saveexec_b32 s12, s0
	s_cbranch_execz .LBB206_690
; %bb.683:                              ;   in Loop: Header=BB206_546 Depth=1
	v_bfrev_b32_e32 v17, 1
	v_mov_b32_e32 v18, 0
	v_cmp_ne_u16_sdwa s0, v0, v46 src0_sel:BYTE_0 src1_sel:DWORD
	s_and_saveexec_b32 s13, s0
	s_cbranch_execz .LBB206_689
; %bb.684:                              ;   in Loop: Header=BB206_546 Depth=1
	v_mov_b32_e32 v17, 0x7f800001
	v_and_b32_e32 v13, 0x7f, v0
	v_mov_b32_e32 v18, 0
	s_mov_b32 s14, exec_lo
	v_cmpx_ne_u32_e32 0x7f, v13
	s_cbranch_execz .LBB206_688
; %bb.685:                              ;   in Loop: Header=BB206_546 Depth=1
	v_and_b32_e32 v5, 7, v0
	v_lshrrev_b32_e32 v11, 3, v13
	s_mov_b32 s15, exec_lo
	v_cmpx_gt_u32_e32 8, v13
; %bb.686:                              ;   in Loop: Header=BB206_546 Depth=1
	v_ffbh_u32_e32 v11, v5
	v_min_u32_e32 v11, 32, v11
	v_subrev_nc_u32_e32 v13, 28, v11
	v_sub_nc_u32_e32 v11, 29, v11
	v_lshlrev_b64 v[17:18], v13, v[5:6]
	v_and_b32_e32 v5, 7, v17
; %bb.687:                              ;   in Loop: Header=BB206_546 Depth=1
	s_or_b32 exec_lo, exec_lo, s15
	v_lshlrev_b32_e32 v13, 24, v0
	v_lshlrev_b32_e32 v5, 20, v5
	v_lshl_add_u32 v11, v11, 23, 0x3c000000
	v_and_b32_e32 v13, 0x80000000, v13
	v_or3_b32 v5, v5, v13, v11
	v_mov_b32_e32 v18, v6
	v_mov_b32_e32 v17, v5
.LBB206_688:                            ;   in Loop: Header=BB206_546 Depth=1
	s_or_b32 exec_lo, exec_lo, s14
.LBB206_689:                            ;   in Loop: Header=BB206_546 Depth=1
	s_or_b32 exec_lo, exec_lo, s13
.LBB206_690:                            ;   in Loop: Header=BB206_546 Depth=1
	s_or_b32 exec_lo, exec_lo, s12
	v_cmp_ne_u16_sdwa s0, v0, v6 src0_sel:BYTE_1 src1_sel:DWORD
	s_and_saveexec_b32 s12, s0
	s_cbranch_execz .LBB206_698
; %bb.691:                              ;   in Loop: Header=BB206_546 Depth=1
	v_mov_b32_e32 v11, v6
	v_mov_b32_e32 v20, v12
	v_cmp_ne_u16_sdwa s0, v0, v46 src0_sel:BYTE_1 src1_sel:DWORD
	v_mov_b32_e32 v19, v11
	s_and_saveexec_b32 s13, s0
	s_cbranch_execz .LBB206_697
; %bb.692:                              ;   in Loop: Header=BB206_546 Depth=1
	v_and_b32_sdwa v5, v47, v0 dst_sel:DWORD dst_unused:UNUSED_PAD src0_sel:DWORD src1_sel:BYTE_1
	v_mov_b32_e32 v13, v6
	v_mov_b32_e32 v20, v14
	s_mov_b32 s14, exec_lo
	v_and_b32_e32 v21, 0x7f, v5
	v_mov_b32_e32 v19, v13
	v_cmpx_ne_u32_e32 0x7f, v21
	s_cbranch_execz .LBB206_696
; %bb.693:                              ;   in Loop: Header=BB206_546 Depth=1
	v_and_b32_e32 v5, 7, v5
	v_lshrrev_b32_e32 v11, 3, v21
	s_mov_b32 s15, exec_lo
	v_cmpx_gt_u32_e32 8, v21
; %bb.694:                              ;   in Loop: Header=BB206_546 Depth=1
	v_ffbh_u32_e32 v11, v5
	v_min_u32_e32 v11, 32, v11
	v_subrev_nc_u32_e32 v13, 28, v11
	v_sub_nc_u32_e32 v11, 29, v11
	v_lshlrev_b64 v[19:20], v13, v[5:6]
	v_and_b32_e32 v5, 7, v19
; %bb.695:                              ;   in Loop: Header=BB206_546 Depth=1
	s_or_b32 exec_lo, exec_lo, s15
	v_lshlrev_b32_e32 v13, 16, v0
	v_lshlrev_b32_e32 v5, 20, v5
	v_lshl_add_u32 v11, v11, 23, 0x3c000000
	v_mov_b32_e32 v19, v6
	v_and_b32_e32 v13, 0x80000000, v13
	v_or3_b32 v20, v5, v13, v11
.LBB206_696:                            ;   in Loop: Header=BB206_546 Depth=1
	s_or_b32 exec_lo, exec_lo, s14
.LBB206_697:                            ;   in Loop: Header=BB206_546 Depth=1
	s_or_b32 exec_lo, exec_lo, s13
.LBB206_698:                            ;   in Loop: Header=BB206_546 Depth=1
	s_or_b32 exec_lo, exec_lo, s12
	v_mov_b32_e32 v23, 0
	v_mov_b32_e32 v21, 0
	v_and_b32_sdwa v5, v0, v48 dst_sel:DWORD dst_unused:UNUSED_PAD src0_sel:WORD_1 src1_sel:DWORD
	v_mov_b32_e32 v24, 0
	v_mov_b32_e32 v22, 0
	s_mov_b32 s12, exec_lo
	v_cmpx_ne_u16_e32 0, v5
	s_cbranch_execz .LBB206_706
; %bb.699:                              ;   in Loop: Header=BB206_546 Depth=1
	v_bfrev_b32_e32 v21, 1
	v_mov_b32_e32 v22, 0
	s_mov_b32 s13, exec_lo
	v_cmpx_ne_u16_e32 0x80, v5
	s_cbranch_execz .LBB206_705
; %bb.700:                              ;   in Loop: Header=BB206_546 Depth=1
	v_mov_b32_e32 v21, 0x7f800001
	v_bfe_u32 v13, v0, 16, 7
	v_mov_b32_e32 v22, 0
	s_mov_b32 s14, exec_lo
	v_cmpx_ne_u32_e32 0x7f, v13
	s_cbranch_execz .LBB206_704
; %bb.701:                              ;   in Loop: Header=BB206_546 Depth=1
	v_and_b32_sdwa v5, v0, v49 dst_sel:DWORD dst_unused:UNUSED_PAD src0_sel:WORD_1 src1_sel:DWORD
	v_lshrrev_b32_e32 v11, 3, v13
	s_mov_b32 s15, exec_lo
	v_cmpx_gt_u32_e32 8, v13
; %bb.702:                              ;   in Loop: Header=BB206_546 Depth=1
	v_ffbh_u32_e32 v11, v5
	v_min_u32_e32 v11, 32, v11
	v_subrev_nc_u32_e32 v13, 28, v11
	v_sub_nc_u32_e32 v11, 29, v11
	v_lshlrev_b64 v[21:22], v13, v[5:6]
	v_and_b32_e32 v5, 7, v21
; %bb.703:                              ;   in Loop: Header=BB206_546 Depth=1
	s_or_b32 exec_lo, exec_lo, s15
	v_lshlrev_b32_sdwa v13, v50, v0 dst_sel:DWORD dst_unused:UNUSED_PAD src0_sel:DWORD src1_sel:WORD_1
	v_lshlrev_b32_e32 v5, 20, v5
	v_lshl_add_u32 v11, v11, 23, 0x3c000000
	v_and_b32_e32 v13, 0x80000000, v13
	v_or3_b32 v5, v5, v13, v11
	v_mov_b32_e32 v22, v6
	v_mov_b32_e32 v21, v5
.LBB206_704:                            ;   in Loop: Header=BB206_546 Depth=1
	s_or_b32 exec_lo, exec_lo, s14
.LBB206_705:                            ;   in Loop: Header=BB206_546 Depth=1
	s_or_b32 exec_lo, exec_lo, s13
.LBB206_706:                            ;   in Loop: Header=BB206_546 Depth=1
	s_or_b32 exec_lo, exec_lo, s12
	s_mov_b32 s12, exec_lo
	v_cmpx_lt_u32_e32 0xffffff, v0
	s_cbranch_execz .LBB206_714
; %bb.707:                              ;   in Loop: Header=BB206_546 Depth=1
	v_mov_b32_e32 v11, v6
	v_mov_b32_e32 v24, v12
	v_cmp_ne_u32_sdwa s0, v0, v46 src0_sel:BYTE_3 src1_sel:DWORD
	v_mov_b32_e32 v23, v11
	s_and_saveexec_b32 s13, s0
	s_cbranch_execz .LBB206_713
; %bb.708:                              ;   in Loop: Header=BB206_546 Depth=1
	v_mov_b32_e32 v13, v6
	v_mov_b32_e32 v24, v14
	v_bfe_u32 v65, v0, 24, 7
	s_mov_b32 s14, exec_lo
	v_mov_b32_e32 v23, v13
	v_cmpx_ne_u32_e32 0x7f, v65
	s_cbranch_execz .LBB206_712
; %bb.709:                              ;   in Loop: Header=BB206_546 Depth=1
	v_and_b32_sdwa v5, v0, v49 dst_sel:DWORD dst_unused:UNUSED_PAD src0_sel:BYTE_3 src1_sel:DWORD
	v_lshrrev_b32_e32 v11, 3, v65
	s_mov_b32 s15, exec_lo
	v_cmpx_gt_u32_e32 8, v65
; %bb.710:                              ;   in Loop: Header=BB206_546 Depth=1
	v_ffbh_u32_e32 v11, v5
	v_min_u32_e32 v11, 32, v11
	v_subrev_nc_u32_e32 v13, 28, v11
	v_sub_nc_u32_e32 v11, 29, v11
	v_lshlrev_b64 v[23:24], v13, v[5:6]
	v_and_b32_e32 v5, 7, v23
; %bb.711:                              ;   in Loop: Header=BB206_546 Depth=1
	s_or_b32 exec_lo, exec_lo, s15
	v_lshlrev_b32_sdwa v0, v50, v0 dst_sel:DWORD dst_unused:UNUSED_PAD src0_sel:DWORD src1_sel:BYTE_3
	v_lshlrev_b32_e32 v5, 20, v5
	v_lshl_add_u32 v11, v11, 23, 0x3c000000
	v_mov_b32_e32 v23, v6
	v_and_b32_e32 v0, 0x80000000, v0
	v_or3_b32 v24, v5, v0, v11
.LBB206_712:                            ;   in Loop: Header=BB206_546 Depth=1
	s_or_b32 exec_lo, exec_lo, s14
.LBB206_713:                            ;   in Loop: Header=BB206_546 Depth=1
	s_or_b32 exec_lo, exec_lo, s13
.LBB206_714:                            ;   in Loop: Header=BB206_546 Depth=1
	s_or_b32 exec_lo, exec_lo, s12
	v_or_b32_e32 v0, v20, v18
	v_or_b32_e32 v5, v19, v17
	;; [unrolled: 1-line block ×4, first 2 shown]
	v_mul_f32_e32 v73, s9, v0
	v_mul_f32_e32 v74, s3, v5
	;; [unrolled: 1-line block ×4, first 2 shown]
	s_and_saveexec_b32 s12, vcc_lo
	s_cbranch_execz .LBB206_716
; %bb.715:                              ;   in Loop: Header=BB206_546 Depth=1
	v_cmp_gt_i32_e64 s0, s27, v55
	v_cndmask_b32_e64 v74, 0, v74, s0
	v_cmp_gt_i32_e64 s0, s27, v57
	v_cndmask_b32_e64 v73, 0, v73, s0
	;; [unrolled: 2-line block ×4, first 2 shown]
.LBB206_716:                            ;   in Loop: Header=BB206_546 Depth=1
	s_or_b32 exec_lo, exec_lo, s12
	global_load_dword v0, v[15:16], off offset:640
	v_mov_b32_e32 v19, 0
	v_mov_b32_e32 v17, 0
	;; [unrolled: 1-line block ×4, first 2 shown]
	s_waitcnt vmcnt(0)
	v_cmp_ne_u16_sdwa s0, v0, v6 src0_sel:BYTE_0 src1_sel:DWORD
	s_and_saveexec_b32 s12, s0
	s_cbranch_execz .LBB206_724
; %bb.717:                              ;   in Loop: Header=BB206_546 Depth=1
	v_bfrev_b32_e32 v17, 1
	v_mov_b32_e32 v18, 0
	v_cmp_ne_u16_sdwa s0, v0, v46 src0_sel:BYTE_0 src1_sel:DWORD
	s_and_saveexec_b32 s13, s0
	s_cbranch_execz .LBB206_723
; %bb.718:                              ;   in Loop: Header=BB206_546 Depth=1
	v_mov_b32_e32 v17, 0x7f800001
	v_and_b32_e32 v13, 0x7f, v0
	v_mov_b32_e32 v18, 0
	s_mov_b32 s14, exec_lo
	v_cmpx_ne_u32_e32 0x7f, v13
	s_cbranch_execz .LBB206_722
; %bb.719:                              ;   in Loop: Header=BB206_546 Depth=1
	v_and_b32_e32 v5, 7, v0
	v_lshrrev_b32_e32 v11, 3, v13
	s_mov_b32 s15, exec_lo
	v_cmpx_gt_u32_e32 8, v13
; %bb.720:                              ;   in Loop: Header=BB206_546 Depth=1
	v_ffbh_u32_e32 v11, v5
	v_min_u32_e32 v11, 32, v11
	v_subrev_nc_u32_e32 v13, 28, v11
	v_sub_nc_u32_e32 v11, 29, v11
	v_lshlrev_b64 v[17:18], v13, v[5:6]
	v_and_b32_e32 v5, 7, v17
; %bb.721:                              ;   in Loop: Header=BB206_546 Depth=1
	s_or_b32 exec_lo, exec_lo, s15
	v_lshlrev_b32_e32 v13, 24, v0
	v_lshlrev_b32_e32 v5, 20, v5
	v_lshl_add_u32 v11, v11, 23, 0x3c000000
	v_and_b32_e32 v13, 0x80000000, v13
	v_or3_b32 v5, v5, v13, v11
	v_mov_b32_e32 v18, v6
	v_mov_b32_e32 v17, v5
.LBB206_722:                            ;   in Loop: Header=BB206_546 Depth=1
	s_or_b32 exec_lo, exec_lo, s14
.LBB206_723:                            ;   in Loop: Header=BB206_546 Depth=1
	s_or_b32 exec_lo, exec_lo, s13
.LBB206_724:                            ;   in Loop: Header=BB206_546 Depth=1
	s_or_b32 exec_lo, exec_lo, s12
	v_cmp_ne_u16_sdwa s0, v0, v6 src0_sel:BYTE_1 src1_sel:DWORD
	s_and_saveexec_b32 s12, s0
	s_cbranch_execz .LBB206_732
; %bb.725:                              ;   in Loop: Header=BB206_546 Depth=1
	v_mov_b32_e32 v11, v6
	v_mov_b32_e32 v20, v12
	v_cmp_ne_u16_sdwa s0, v0, v46 src0_sel:BYTE_1 src1_sel:DWORD
	v_mov_b32_e32 v19, v11
	s_and_saveexec_b32 s13, s0
	s_cbranch_execz .LBB206_731
; %bb.726:                              ;   in Loop: Header=BB206_546 Depth=1
	v_and_b32_sdwa v5, v47, v0 dst_sel:DWORD dst_unused:UNUSED_PAD src0_sel:DWORD src1_sel:BYTE_1
	v_mov_b32_e32 v13, v6
	v_mov_b32_e32 v20, v14
	s_mov_b32 s14, exec_lo
	v_and_b32_e32 v21, 0x7f, v5
	v_mov_b32_e32 v19, v13
	v_cmpx_ne_u32_e32 0x7f, v21
	s_cbranch_execz .LBB206_730
; %bb.727:                              ;   in Loop: Header=BB206_546 Depth=1
	v_and_b32_e32 v5, 7, v5
	v_lshrrev_b32_e32 v11, 3, v21
	s_mov_b32 s15, exec_lo
	v_cmpx_gt_u32_e32 8, v21
; %bb.728:                              ;   in Loop: Header=BB206_546 Depth=1
	v_ffbh_u32_e32 v11, v5
	v_min_u32_e32 v11, 32, v11
	v_subrev_nc_u32_e32 v13, 28, v11
	v_sub_nc_u32_e32 v11, 29, v11
	v_lshlrev_b64 v[19:20], v13, v[5:6]
	v_and_b32_e32 v5, 7, v19
; %bb.729:                              ;   in Loop: Header=BB206_546 Depth=1
	s_or_b32 exec_lo, exec_lo, s15
	v_lshlrev_b32_e32 v13, 16, v0
	v_lshlrev_b32_e32 v5, 20, v5
	v_lshl_add_u32 v11, v11, 23, 0x3c000000
	v_mov_b32_e32 v19, v6
	v_and_b32_e32 v13, 0x80000000, v13
	v_or3_b32 v20, v5, v13, v11
.LBB206_730:                            ;   in Loop: Header=BB206_546 Depth=1
	s_or_b32 exec_lo, exec_lo, s14
.LBB206_731:                            ;   in Loop: Header=BB206_546 Depth=1
	s_or_b32 exec_lo, exec_lo, s13
.LBB206_732:                            ;   in Loop: Header=BB206_546 Depth=1
	s_or_b32 exec_lo, exec_lo, s12
	v_mov_b32_e32 v23, 0
	v_mov_b32_e32 v21, 0
	v_and_b32_sdwa v5, v0, v48 dst_sel:DWORD dst_unused:UNUSED_PAD src0_sel:WORD_1 src1_sel:DWORD
	v_mov_b32_e32 v24, 0
	v_mov_b32_e32 v22, 0
	s_mov_b32 s12, exec_lo
	v_cmpx_ne_u16_e32 0, v5
	s_cbranch_execz .LBB206_740
; %bb.733:                              ;   in Loop: Header=BB206_546 Depth=1
	v_bfrev_b32_e32 v21, 1
	v_mov_b32_e32 v22, 0
	s_mov_b32 s13, exec_lo
	v_cmpx_ne_u16_e32 0x80, v5
	s_cbranch_execz .LBB206_739
; %bb.734:                              ;   in Loop: Header=BB206_546 Depth=1
	v_mov_b32_e32 v21, 0x7f800001
	v_bfe_u32 v13, v0, 16, 7
	v_mov_b32_e32 v22, 0
	s_mov_b32 s14, exec_lo
	v_cmpx_ne_u32_e32 0x7f, v13
	s_cbranch_execz .LBB206_738
; %bb.735:                              ;   in Loop: Header=BB206_546 Depth=1
	v_and_b32_sdwa v5, v0, v49 dst_sel:DWORD dst_unused:UNUSED_PAD src0_sel:WORD_1 src1_sel:DWORD
	v_lshrrev_b32_e32 v11, 3, v13
	s_mov_b32 s15, exec_lo
	v_cmpx_gt_u32_e32 8, v13
; %bb.736:                              ;   in Loop: Header=BB206_546 Depth=1
	v_ffbh_u32_e32 v11, v5
	v_min_u32_e32 v11, 32, v11
	v_subrev_nc_u32_e32 v13, 28, v11
	v_sub_nc_u32_e32 v11, 29, v11
	v_lshlrev_b64 v[21:22], v13, v[5:6]
	v_and_b32_e32 v5, 7, v21
; %bb.737:                              ;   in Loop: Header=BB206_546 Depth=1
	s_or_b32 exec_lo, exec_lo, s15
	v_lshlrev_b32_sdwa v13, v50, v0 dst_sel:DWORD dst_unused:UNUSED_PAD src0_sel:DWORD src1_sel:WORD_1
	v_lshlrev_b32_e32 v5, 20, v5
	v_lshl_add_u32 v11, v11, 23, 0x3c000000
	v_and_b32_e32 v13, 0x80000000, v13
	v_or3_b32 v5, v5, v13, v11
	v_mov_b32_e32 v22, v6
	v_mov_b32_e32 v21, v5
.LBB206_738:                            ;   in Loop: Header=BB206_546 Depth=1
	s_or_b32 exec_lo, exec_lo, s14
.LBB206_739:                            ;   in Loop: Header=BB206_546 Depth=1
	s_or_b32 exec_lo, exec_lo, s13
.LBB206_740:                            ;   in Loop: Header=BB206_546 Depth=1
	s_or_b32 exec_lo, exec_lo, s12
	s_mov_b32 s12, exec_lo
	v_cmpx_lt_u32_e32 0xffffff, v0
	s_cbranch_execz .LBB206_748
; %bb.741:                              ;   in Loop: Header=BB206_546 Depth=1
	v_mov_b32_e32 v11, v6
	v_mov_b32_e32 v24, v12
	v_cmp_ne_u32_sdwa s0, v0, v46 src0_sel:BYTE_3 src1_sel:DWORD
	v_mov_b32_e32 v23, v11
	s_and_saveexec_b32 s13, s0
	s_cbranch_execz .LBB206_747
; %bb.742:                              ;   in Loop: Header=BB206_546 Depth=1
	v_mov_b32_e32 v13, v6
	v_mov_b32_e32 v24, v14
	v_bfe_u32 v65, v0, 24, 7
	s_mov_b32 s14, exec_lo
	v_mov_b32_e32 v23, v13
	v_cmpx_ne_u32_e32 0x7f, v65
	s_cbranch_execz .LBB206_746
; %bb.743:                              ;   in Loop: Header=BB206_546 Depth=1
	v_and_b32_sdwa v5, v0, v49 dst_sel:DWORD dst_unused:UNUSED_PAD src0_sel:BYTE_3 src1_sel:DWORD
	v_lshrrev_b32_e32 v11, 3, v65
	s_mov_b32 s15, exec_lo
	v_cmpx_gt_u32_e32 8, v65
; %bb.744:                              ;   in Loop: Header=BB206_546 Depth=1
	v_ffbh_u32_e32 v11, v5
	v_min_u32_e32 v11, 32, v11
	v_subrev_nc_u32_e32 v13, 28, v11
	v_sub_nc_u32_e32 v11, 29, v11
	v_lshlrev_b64 v[23:24], v13, v[5:6]
	v_and_b32_e32 v5, 7, v23
; %bb.745:                              ;   in Loop: Header=BB206_546 Depth=1
	s_or_b32 exec_lo, exec_lo, s15
	v_lshlrev_b32_sdwa v0, v50, v0 dst_sel:DWORD dst_unused:UNUSED_PAD src0_sel:DWORD src1_sel:BYTE_3
	v_lshlrev_b32_e32 v5, 20, v5
	v_lshl_add_u32 v11, v11, 23, 0x3c000000
	v_mov_b32_e32 v23, v6
	v_and_b32_e32 v0, 0x80000000, v0
	v_or3_b32 v24, v5, v0, v11
.LBB206_746:                            ;   in Loop: Header=BB206_546 Depth=1
	s_or_b32 exec_lo, exec_lo, s14
.LBB206_747:                            ;   in Loop: Header=BB206_546 Depth=1
	s_or_b32 exec_lo, exec_lo, s13
.LBB206_748:                            ;   in Loop: Header=BB206_546 Depth=1
	s_or_b32 exec_lo, exec_lo, s12
	v_or_b32_e32 v0, v20, v18
	v_or_b32_e32 v5, v19, v17
	;; [unrolled: 1-line block ×4, first 2 shown]
	v_mul_f32_e32 v78, s9, v0
	v_mul_f32_e32 v79, s3, v5
	;; [unrolled: 1-line block ×4, first 2 shown]
	s_and_saveexec_b32 s12, vcc_lo
	s_cbranch_execz .LBB206_750
; %bb.749:                              ;   in Loop: Header=BB206_546 Depth=1
	v_cmp_gt_i32_e64 s0, s27, v55
	v_cndmask_b32_e64 v79, 0, v79, s0
	v_cmp_gt_i32_e64 s0, s27, v57
	v_cndmask_b32_e64 v78, 0, v78, s0
	;; [unrolled: 2-line block ×4, first 2 shown]
.LBB206_750:                            ;   in Loop: Header=BB206_546 Depth=1
	s_or_b32 exec_lo, exec_lo, s12
	global_load_dword v0, v[15:16], off offset:768
	v_mov_b32_e32 v19, 0
	v_mov_b32_e32 v17, 0
	;; [unrolled: 1-line block ×4, first 2 shown]
	s_waitcnt vmcnt(0)
	v_cmp_ne_u16_sdwa s0, v0, v6 src0_sel:BYTE_0 src1_sel:DWORD
	s_and_saveexec_b32 s12, s0
	s_cbranch_execz .LBB206_758
; %bb.751:                              ;   in Loop: Header=BB206_546 Depth=1
	v_bfrev_b32_e32 v17, 1
	v_mov_b32_e32 v18, 0
	v_cmp_ne_u16_sdwa s0, v0, v46 src0_sel:BYTE_0 src1_sel:DWORD
	s_and_saveexec_b32 s13, s0
	s_cbranch_execz .LBB206_757
; %bb.752:                              ;   in Loop: Header=BB206_546 Depth=1
	v_mov_b32_e32 v17, 0x7f800001
	v_and_b32_e32 v13, 0x7f, v0
	v_mov_b32_e32 v18, 0
	s_mov_b32 s14, exec_lo
	v_cmpx_ne_u32_e32 0x7f, v13
	s_cbranch_execz .LBB206_756
; %bb.753:                              ;   in Loop: Header=BB206_546 Depth=1
	v_and_b32_e32 v5, 7, v0
	v_lshrrev_b32_e32 v11, 3, v13
	s_mov_b32 s15, exec_lo
	v_cmpx_gt_u32_e32 8, v13
; %bb.754:                              ;   in Loop: Header=BB206_546 Depth=1
	v_ffbh_u32_e32 v11, v5
	v_min_u32_e32 v11, 32, v11
	v_subrev_nc_u32_e32 v13, 28, v11
	v_sub_nc_u32_e32 v11, 29, v11
	v_lshlrev_b64 v[17:18], v13, v[5:6]
	v_and_b32_e32 v5, 7, v17
; %bb.755:                              ;   in Loop: Header=BB206_546 Depth=1
	s_or_b32 exec_lo, exec_lo, s15
	v_lshlrev_b32_e32 v13, 24, v0
	v_lshlrev_b32_e32 v5, 20, v5
	v_lshl_add_u32 v11, v11, 23, 0x3c000000
	v_and_b32_e32 v13, 0x80000000, v13
	v_or3_b32 v5, v5, v13, v11
	v_mov_b32_e32 v18, v6
	v_mov_b32_e32 v17, v5
.LBB206_756:                            ;   in Loop: Header=BB206_546 Depth=1
	s_or_b32 exec_lo, exec_lo, s14
.LBB206_757:                            ;   in Loop: Header=BB206_546 Depth=1
	s_or_b32 exec_lo, exec_lo, s13
.LBB206_758:                            ;   in Loop: Header=BB206_546 Depth=1
	s_or_b32 exec_lo, exec_lo, s12
	v_cmp_ne_u16_sdwa s0, v0, v6 src0_sel:BYTE_1 src1_sel:DWORD
	s_and_saveexec_b32 s12, s0
	s_cbranch_execz .LBB206_766
; %bb.759:                              ;   in Loop: Header=BB206_546 Depth=1
	v_mov_b32_e32 v11, v6
	v_mov_b32_e32 v20, v12
	v_cmp_ne_u16_sdwa s0, v0, v46 src0_sel:BYTE_1 src1_sel:DWORD
	v_mov_b32_e32 v19, v11
	s_and_saveexec_b32 s13, s0
	s_cbranch_execz .LBB206_765
; %bb.760:                              ;   in Loop: Header=BB206_546 Depth=1
	v_and_b32_sdwa v5, v47, v0 dst_sel:DWORD dst_unused:UNUSED_PAD src0_sel:DWORD src1_sel:BYTE_1
	v_mov_b32_e32 v13, v6
	v_mov_b32_e32 v20, v14
	s_mov_b32 s14, exec_lo
	v_and_b32_e32 v21, 0x7f, v5
	v_mov_b32_e32 v19, v13
	v_cmpx_ne_u32_e32 0x7f, v21
	s_cbranch_execz .LBB206_764
; %bb.761:                              ;   in Loop: Header=BB206_546 Depth=1
	v_and_b32_e32 v5, 7, v5
	v_lshrrev_b32_e32 v11, 3, v21
	s_mov_b32 s15, exec_lo
	v_cmpx_gt_u32_e32 8, v21
; %bb.762:                              ;   in Loop: Header=BB206_546 Depth=1
	v_ffbh_u32_e32 v11, v5
	v_min_u32_e32 v11, 32, v11
	v_subrev_nc_u32_e32 v13, 28, v11
	v_sub_nc_u32_e32 v11, 29, v11
	v_lshlrev_b64 v[19:20], v13, v[5:6]
	v_and_b32_e32 v5, 7, v19
; %bb.763:                              ;   in Loop: Header=BB206_546 Depth=1
	s_or_b32 exec_lo, exec_lo, s15
	v_lshlrev_b32_e32 v13, 16, v0
	v_lshlrev_b32_e32 v5, 20, v5
	v_lshl_add_u32 v11, v11, 23, 0x3c000000
	v_mov_b32_e32 v19, v6
	v_and_b32_e32 v13, 0x80000000, v13
	v_or3_b32 v20, v5, v13, v11
.LBB206_764:                            ;   in Loop: Header=BB206_546 Depth=1
	s_or_b32 exec_lo, exec_lo, s14
.LBB206_765:                            ;   in Loop: Header=BB206_546 Depth=1
	s_or_b32 exec_lo, exec_lo, s13
.LBB206_766:                            ;   in Loop: Header=BB206_546 Depth=1
	s_or_b32 exec_lo, exec_lo, s12
	v_mov_b32_e32 v23, 0
	v_mov_b32_e32 v21, 0
	v_and_b32_sdwa v5, v0, v48 dst_sel:DWORD dst_unused:UNUSED_PAD src0_sel:WORD_1 src1_sel:DWORD
	v_mov_b32_e32 v24, 0
	v_mov_b32_e32 v22, 0
	s_mov_b32 s12, exec_lo
	v_cmpx_ne_u16_e32 0, v5
	s_cbranch_execz .LBB206_774
; %bb.767:                              ;   in Loop: Header=BB206_546 Depth=1
	v_bfrev_b32_e32 v21, 1
	v_mov_b32_e32 v22, 0
	s_mov_b32 s13, exec_lo
	v_cmpx_ne_u16_e32 0x80, v5
	s_cbranch_execz .LBB206_773
; %bb.768:                              ;   in Loop: Header=BB206_546 Depth=1
	v_mov_b32_e32 v21, 0x7f800001
	v_bfe_u32 v13, v0, 16, 7
	v_mov_b32_e32 v22, 0
	s_mov_b32 s14, exec_lo
	v_cmpx_ne_u32_e32 0x7f, v13
	s_cbranch_execz .LBB206_772
; %bb.769:                              ;   in Loop: Header=BB206_546 Depth=1
	v_and_b32_sdwa v5, v0, v49 dst_sel:DWORD dst_unused:UNUSED_PAD src0_sel:WORD_1 src1_sel:DWORD
	v_lshrrev_b32_e32 v11, 3, v13
	s_mov_b32 s15, exec_lo
	v_cmpx_gt_u32_e32 8, v13
; %bb.770:                              ;   in Loop: Header=BB206_546 Depth=1
	v_ffbh_u32_e32 v11, v5
	v_min_u32_e32 v11, 32, v11
	v_subrev_nc_u32_e32 v13, 28, v11
	v_sub_nc_u32_e32 v11, 29, v11
	v_lshlrev_b64 v[21:22], v13, v[5:6]
	v_and_b32_e32 v5, 7, v21
; %bb.771:                              ;   in Loop: Header=BB206_546 Depth=1
	s_or_b32 exec_lo, exec_lo, s15
	v_lshlrev_b32_sdwa v13, v50, v0 dst_sel:DWORD dst_unused:UNUSED_PAD src0_sel:DWORD src1_sel:WORD_1
	v_lshlrev_b32_e32 v5, 20, v5
	v_lshl_add_u32 v11, v11, 23, 0x3c000000
	v_and_b32_e32 v13, 0x80000000, v13
	v_or3_b32 v5, v5, v13, v11
	v_mov_b32_e32 v22, v6
	v_mov_b32_e32 v21, v5
.LBB206_772:                            ;   in Loop: Header=BB206_546 Depth=1
	s_or_b32 exec_lo, exec_lo, s14
.LBB206_773:                            ;   in Loop: Header=BB206_546 Depth=1
	s_or_b32 exec_lo, exec_lo, s13
.LBB206_774:                            ;   in Loop: Header=BB206_546 Depth=1
	s_or_b32 exec_lo, exec_lo, s12
	s_mov_b32 s12, exec_lo
	v_cmpx_lt_u32_e32 0xffffff, v0
	s_cbranch_execz .LBB206_782
; %bb.775:                              ;   in Loop: Header=BB206_546 Depth=1
	v_mov_b32_e32 v11, v6
	v_mov_b32_e32 v24, v12
	v_cmp_ne_u32_sdwa s0, v0, v46 src0_sel:BYTE_3 src1_sel:DWORD
	v_mov_b32_e32 v23, v11
	s_and_saveexec_b32 s13, s0
	s_cbranch_execz .LBB206_781
; %bb.776:                              ;   in Loop: Header=BB206_546 Depth=1
	v_mov_b32_e32 v13, v6
	v_mov_b32_e32 v24, v14
	v_bfe_u32 v65, v0, 24, 7
	s_mov_b32 s14, exec_lo
	v_mov_b32_e32 v23, v13
	v_cmpx_ne_u32_e32 0x7f, v65
	s_cbranch_execz .LBB206_780
; %bb.777:                              ;   in Loop: Header=BB206_546 Depth=1
	v_and_b32_sdwa v5, v0, v49 dst_sel:DWORD dst_unused:UNUSED_PAD src0_sel:BYTE_3 src1_sel:DWORD
	v_lshrrev_b32_e32 v11, 3, v65
	s_mov_b32 s15, exec_lo
	v_cmpx_gt_u32_e32 8, v65
; %bb.778:                              ;   in Loop: Header=BB206_546 Depth=1
	v_ffbh_u32_e32 v11, v5
	v_min_u32_e32 v11, 32, v11
	v_subrev_nc_u32_e32 v13, 28, v11
	v_sub_nc_u32_e32 v11, 29, v11
	v_lshlrev_b64 v[23:24], v13, v[5:6]
	v_and_b32_e32 v5, 7, v23
; %bb.779:                              ;   in Loop: Header=BB206_546 Depth=1
	s_or_b32 exec_lo, exec_lo, s15
	v_lshlrev_b32_sdwa v0, v50, v0 dst_sel:DWORD dst_unused:UNUSED_PAD src0_sel:DWORD src1_sel:BYTE_3
	v_lshlrev_b32_e32 v5, 20, v5
	v_lshl_add_u32 v11, v11, 23, 0x3c000000
	v_mov_b32_e32 v23, v6
	v_and_b32_e32 v0, 0x80000000, v0
	v_or3_b32 v24, v5, v0, v11
.LBB206_780:                            ;   in Loop: Header=BB206_546 Depth=1
	s_or_b32 exec_lo, exec_lo, s14
.LBB206_781:                            ;   in Loop: Header=BB206_546 Depth=1
	s_or_b32 exec_lo, exec_lo, s13
.LBB206_782:                            ;   in Loop: Header=BB206_546 Depth=1
	s_or_b32 exec_lo, exec_lo, s12
	v_or_b32_e32 v0, v20, v18
	v_or_b32_e32 v5, v19, v17
	;; [unrolled: 1-line block ×4, first 2 shown]
	v_mul_f32_e32 v82, s9, v0
	v_mul_f32_e32 v83, s3, v5
	;; [unrolled: 1-line block ×4, first 2 shown]
	s_and_saveexec_b32 s12, vcc_lo
	s_cbranch_execz .LBB206_784
; %bb.783:                              ;   in Loop: Header=BB206_546 Depth=1
	v_cmp_gt_i32_e64 s0, s27, v55
	v_cndmask_b32_e64 v83, 0, v83, s0
	v_cmp_gt_i32_e64 s0, s27, v57
	v_cndmask_b32_e64 v82, 0, v82, s0
	;; [unrolled: 2-line block ×4, first 2 shown]
.LBB206_784:                            ;   in Loop: Header=BB206_546 Depth=1
	s_or_b32 exec_lo, exec_lo, s12
	global_load_dword v0, v[15:16], off offset:896
	v_mov_b32_e32 v19, 0
	v_mov_b32_e32 v17, 0
	;; [unrolled: 1-line block ×4, first 2 shown]
	s_waitcnt vmcnt(0)
	v_cmp_ne_u16_sdwa s0, v0, v6 src0_sel:BYTE_0 src1_sel:DWORD
	s_and_saveexec_b32 s12, s0
	s_cbranch_execz .LBB206_792
; %bb.785:                              ;   in Loop: Header=BB206_546 Depth=1
	v_bfrev_b32_e32 v17, 1
	v_mov_b32_e32 v18, 0
	v_cmp_ne_u16_sdwa s0, v0, v46 src0_sel:BYTE_0 src1_sel:DWORD
	s_and_saveexec_b32 s13, s0
	s_cbranch_execz .LBB206_791
; %bb.786:                              ;   in Loop: Header=BB206_546 Depth=1
	v_mov_b32_e32 v17, 0x7f800001
	v_and_b32_e32 v13, 0x7f, v0
	v_mov_b32_e32 v18, 0
	s_mov_b32 s14, exec_lo
	v_cmpx_ne_u32_e32 0x7f, v13
	s_cbranch_execz .LBB206_790
; %bb.787:                              ;   in Loop: Header=BB206_546 Depth=1
	v_and_b32_e32 v5, 7, v0
	v_lshrrev_b32_e32 v11, 3, v13
	s_mov_b32 s15, exec_lo
	v_cmpx_gt_u32_e32 8, v13
; %bb.788:                              ;   in Loop: Header=BB206_546 Depth=1
	v_ffbh_u32_e32 v11, v5
	v_min_u32_e32 v11, 32, v11
	v_subrev_nc_u32_e32 v13, 28, v11
	v_sub_nc_u32_e32 v11, 29, v11
	v_lshlrev_b64 v[17:18], v13, v[5:6]
	v_and_b32_e32 v5, 7, v17
; %bb.789:                              ;   in Loop: Header=BB206_546 Depth=1
	s_or_b32 exec_lo, exec_lo, s15
	v_lshlrev_b32_e32 v13, 24, v0
	v_lshlrev_b32_e32 v5, 20, v5
	v_lshl_add_u32 v11, v11, 23, 0x3c000000
	v_and_b32_e32 v13, 0x80000000, v13
	v_or3_b32 v5, v5, v13, v11
	v_mov_b32_e32 v18, v6
	v_mov_b32_e32 v17, v5
.LBB206_790:                            ;   in Loop: Header=BB206_546 Depth=1
	s_or_b32 exec_lo, exec_lo, s14
.LBB206_791:                            ;   in Loop: Header=BB206_546 Depth=1
	s_or_b32 exec_lo, exec_lo, s13
.LBB206_792:                            ;   in Loop: Header=BB206_546 Depth=1
	s_or_b32 exec_lo, exec_lo, s12
	v_cmp_ne_u16_sdwa s0, v0, v6 src0_sel:BYTE_1 src1_sel:DWORD
	s_and_saveexec_b32 s12, s0
	s_cbranch_execz .LBB206_800
; %bb.793:                              ;   in Loop: Header=BB206_546 Depth=1
	v_mov_b32_e32 v11, v6
	v_mov_b32_e32 v20, v12
	v_cmp_ne_u16_sdwa s0, v0, v46 src0_sel:BYTE_1 src1_sel:DWORD
	v_mov_b32_e32 v19, v11
	s_and_saveexec_b32 s13, s0
	s_cbranch_execz .LBB206_799
; %bb.794:                              ;   in Loop: Header=BB206_546 Depth=1
	v_and_b32_sdwa v5, v47, v0 dst_sel:DWORD dst_unused:UNUSED_PAD src0_sel:DWORD src1_sel:BYTE_1
	v_mov_b32_e32 v13, v6
	v_mov_b32_e32 v20, v14
	s_mov_b32 s14, exec_lo
	v_and_b32_e32 v21, 0x7f, v5
	v_mov_b32_e32 v19, v13
	v_cmpx_ne_u32_e32 0x7f, v21
	s_cbranch_execz .LBB206_798
; %bb.795:                              ;   in Loop: Header=BB206_546 Depth=1
	v_and_b32_e32 v5, 7, v5
	v_lshrrev_b32_e32 v11, 3, v21
	s_mov_b32 s15, exec_lo
	v_cmpx_gt_u32_e32 8, v21
; %bb.796:                              ;   in Loop: Header=BB206_546 Depth=1
	v_ffbh_u32_e32 v11, v5
	v_min_u32_e32 v11, 32, v11
	v_subrev_nc_u32_e32 v13, 28, v11
	v_sub_nc_u32_e32 v11, 29, v11
	v_lshlrev_b64 v[19:20], v13, v[5:6]
	v_and_b32_e32 v5, 7, v19
; %bb.797:                              ;   in Loop: Header=BB206_546 Depth=1
	s_or_b32 exec_lo, exec_lo, s15
	v_lshlrev_b32_e32 v13, 16, v0
	v_lshlrev_b32_e32 v5, 20, v5
	v_lshl_add_u32 v11, v11, 23, 0x3c000000
	v_mov_b32_e32 v19, v6
	v_and_b32_e32 v13, 0x80000000, v13
	v_or3_b32 v20, v5, v13, v11
.LBB206_798:                            ;   in Loop: Header=BB206_546 Depth=1
	s_or_b32 exec_lo, exec_lo, s14
.LBB206_799:                            ;   in Loop: Header=BB206_546 Depth=1
	s_or_b32 exec_lo, exec_lo, s13
.LBB206_800:                            ;   in Loop: Header=BB206_546 Depth=1
	s_or_b32 exec_lo, exec_lo, s12
	v_mov_b32_e32 v23, 0
	v_mov_b32_e32 v21, 0
	v_and_b32_sdwa v5, v0, v48 dst_sel:DWORD dst_unused:UNUSED_PAD src0_sel:WORD_1 src1_sel:DWORD
	v_mov_b32_e32 v24, 0
	v_mov_b32_e32 v22, 0
	s_mov_b32 s12, exec_lo
	v_cmpx_ne_u16_e32 0, v5
	s_cbranch_execz .LBB206_808
; %bb.801:                              ;   in Loop: Header=BB206_546 Depth=1
	v_bfrev_b32_e32 v21, 1
	v_mov_b32_e32 v22, 0
	s_mov_b32 s13, exec_lo
	v_cmpx_ne_u16_e32 0x80, v5
	s_cbranch_execz .LBB206_807
; %bb.802:                              ;   in Loop: Header=BB206_546 Depth=1
	v_mov_b32_e32 v21, 0x7f800001
	v_bfe_u32 v13, v0, 16, 7
	v_mov_b32_e32 v22, 0
	s_mov_b32 s14, exec_lo
	v_cmpx_ne_u32_e32 0x7f, v13
	s_cbranch_execz .LBB206_806
; %bb.803:                              ;   in Loop: Header=BB206_546 Depth=1
	v_and_b32_sdwa v5, v0, v49 dst_sel:DWORD dst_unused:UNUSED_PAD src0_sel:WORD_1 src1_sel:DWORD
	v_lshrrev_b32_e32 v11, 3, v13
	s_mov_b32 s15, exec_lo
	v_cmpx_gt_u32_e32 8, v13
; %bb.804:                              ;   in Loop: Header=BB206_546 Depth=1
	v_ffbh_u32_e32 v11, v5
	v_min_u32_e32 v11, 32, v11
	v_subrev_nc_u32_e32 v13, 28, v11
	v_sub_nc_u32_e32 v11, 29, v11
	v_lshlrev_b64 v[21:22], v13, v[5:6]
	v_and_b32_e32 v5, 7, v21
; %bb.805:                              ;   in Loop: Header=BB206_546 Depth=1
	s_or_b32 exec_lo, exec_lo, s15
	v_lshlrev_b32_sdwa v13, v50, v0 dst_sel:DWORD dst_unused:UNUSED_PAD src0_sel:DWORD src1_sel:WORD_1
	v_lshlrev_b32_e32 v5, 20, v5
	v_lshl_add_u32 v11, v11, 23, 0x3c000000
	v_and_b32_e32 v13, 0x80000000, v13
	v_or3_b32 v5, v5, v13, v11
	v_mov_b32_e32 v22, v6
	v_mov_b32_e32 v21, v5
.LBB206_806:                            ;   in Loop: Header=BB206_546 Depth=1
	s_or_b32 exec_lo, exec_lo, s14
.LBB206_807:                            ;   in Loop: Header=BB206_546 Depth=1
	s_or_b32 exec_lo, exec_lo, s13
.LBB206_808:                            ;   in Loop: Header=BB206_546 Depth=1
	s_or_b32 exec_lo, exec_lo, s12
	s_mov_b32 s12, exec_lo
	v_cmpx_lt_u32_e32 0xffffff, v0
	s_cbranch_execz .LBB206_816
; %bb.809:                              ;   in Loop: Header=BB206_546 Depth=1
	v_mov_b32_e32 v11, v6
	v_mov_b32_e32 v24, v12
	v_cmp_ne_u32_sdwa s0, v0, v46 src0_sel:BYTE_3 src1_sel:DWORD
	v_mov_b32_e32 v23, v11
	s_and_saveexec_b32 s13, s0
	s_cbranch_execz .LBB206_815
; %bb.810:                              ;   in Loop: Header=BB206_546 Depth=1
	v_mov_b32_e32 v13, v6
	v_mov_b32_e32 v24, v14
	v_bfe_u32 v65, v0, 24, 7
	s_mov_b32 s14, exec_lo
	v_mov_b32_e32 v23, v13
	v_cmpx_ne_u32_e32 0x7f, v65
	s_cbranch_execz .LBB206_814
; %bb.811:                              ;   in Loop: Header=BB206_546 Depth=1
	v_and_b32_sdwa v5, v0, v49 dst_sel:DWORD dst_unused:UNUSED_PAD src0_sel:BYTE_3 src1_sel:DWORD
	v_lshrrev_b32_e32 v11, 3, v65
	s_mov_b32 s15, exec_lo
	v_cmpx_gt_u32_e32 8, v65
; %bb.812:                              ;   in Loop: Header=BB206_546 Depth=1
	v_ffbh_u32_e32 v11, v5
	v_min_u32_e32 v11, 32, v11
	v_subrev_nc_u32_e32 v13, 28, v11
	v_sub_nc_u32_e32 v11, 29, v11
	v_lshlrev_b64 v[23:24], v13, v[5:6]
	v_and_b32_e32 v5, 7, v23
; %bb.813:                              ;   in Loop: Header=BB206_546 Depth=1
	s_or_b32 exec_lo, exec_lo, s15
	v_lshlrev_b32_sdwa v0, v50, v0 dst_sel:DWORD dst_unused:UNUSED_PAD src0_sel:DWORD src1_sel:BYTE_3
	v_lshlrev_b32_e32 v5, 20, v5
	v_lshl_add_u32 v11, v11, 23, 0x3c000000
	v_mov_b32_e32 v23, v6
	v_and_b32_e32 v0, 0x80000000, v0
	v_or3_b32 v24, v5, v0, v11
.LBB206_814:                            ;   in Loop: Header=BB206_546 Depth=1
	s_or_b32 exec_lo, exec_lo, s14
.LBB206_815:                            ;   in Loop: Header=BB206_546 Depth=1
	s_or_b32 exec_lo, exec_lo, s13
.LBB206_816:                            ;   in Loop: Header=BB206_546 Depth=1
	s_or_b32 exec_lo, exec_lo, s12
	v_or_b32_e32 v0, v20, v18
	v_or_b32_e32 v5, v19, v17
	;; [unrolled: 1-line block ×4, first 2 shown]
	v_mul_f32_e32 v86, s9, v0
	v_mul_f32_e32 v87, s3, v5
	;; [unrolled: 1-line block ×4, first 2 shown]
	s_and_saveexec_b32 s12, vcc_lo
	s_cbranch_execz .LBB206_818
; %bb.817:                              ;   in Loop: Header=BB206_546 Depth=1
	v_cmp_gt_i32_e64 s0, s27, v55
	v_cndmask_b32_e64 v87, 0, v87, s0
	v_cmp_gt_i32_e64 s0, s27, v57
	v_cndmask_b32_e64 v86, 0, v86, s0
	;; [unrolled: 2-line block ×4, first 2 shown]
.LBB206_818:                            ;   in Loop: Header=BB206_546 Depth=1
	s_or_b32 exec_lo, exec_lo, s12
	global_load_dword v0, v[15:16], off offset:1024
	v_mov_b32_e32 v19, 0
	v_mov_b32_e32 v17, 0
	v_mov_b32_e32 v20, 0
	v_mov_b32_e32 v18, 0
	s_waitcnt vmcnt(0)
	v_cmp_ne_u16_sdwa s0, v0, v6 src0_sel:BYTE_0 src1_sel:DWORD
	s_and_saveexec_b32 s12, s0
	s_cbranch_execz .LBB206_826
; %bb.819:                              ;   in Loop: Header=BB206_546 Depth=1
	v_bfrev_b32_e32 v17, 1
	v_mov_b32_e32 v18, 0
	v_cmp_ne_u16_sdwa s0, v0, v46 src0_sel:BYTE_0 src1_sel:DWORD
	s_and_saveexec_b32 s13, s0
	s_cbranch_execz .LBB206_825
; %bb.820:                              ;   in Loop: Header=BB206_546 Depth=1
	v_mov_b32_e32 v17, 0x7f800001
	v_and_b32_e32 v13, 0x7f, v0
	v_mov_b32_e32 v18, 0
	s_mov_b32 s14, exec_lo
	v_cmpx_ne_u32_e32 0x7f, v13
	s_cbranch_execz .LBB206_824
; %bb.821:                              ;   in Loop: Header=BB206_546 Depth=1
	v_and_b32_e32 v5, 7, v0
	v_lshrrev_b32_e32 v11, 3, v13
	s_mov_b32 s15, exec_lo
	v_cmpx_gt_u32_e32 8, v13
; %bb.822:                              ;   in Loop: Header=BB206_546 Depth=1
	v_ffbh_u32_e32 v11, v5
	v_min_u32_e32 v11, 32, v11
	v_subrev_nc_u32_e32 v13, 28, v11
	v_sub_nc_u32_e32 v11, 29, v11
	v_lshlrev_b64 v[17:18], v13, v[5:6]
	v_and_b32_e32 v5, 7, v17
; %bb.823:                              ;   in Loop: Header=BB206_546 Depth=1
	s_or_b32 exec_lo, exec_lo, s15
	v_lshlrev_b32_e32 v13, 24, v0
	v_lshlrev_b32_e32 v5, 20, v5
	v_lshl_add_u32 v11, v11, 23, 0x3c000000
	v_and_b32_e32 v13, 0x80000000, v13
	v_or3_b32 v5, v5, v13, v11
	v_mov_b32_e32 v18, v6
	v_mov_b32_e32 v17, v5
.LBB206_824:                            ;   in Loop: Header=BB206_546 Depth=1
	s_or_b32 exec_lo, exec_lo, s14
.LBB206_825:                            ;   in Loop: Header=BB206_546 Depth=1
	s_or_b32 exec_lo, exec_lo, s13
.LBB206_826:                            ;   in Loop: Header=BB206_546 Depth=1
	s_or_b32 exec_lo, exec_lo, s12
	v_cmp_ne_u16_sdwa s0, v0, v6 src0_sel:BYTE_1 src1_sel:DWORD
	s_and_saveexec_b32 s12, s0
	s_cbranch_execz .LBB206_834
; %bb.827:                              ;   in Loop: Header=BB206_546 Depth=1
	v_mov_b32_e32 v11, v6
	v_mov_b32_e32 v20, v12
	v_cmp_ne_u16_sdwa s0, v0, v46 src0_sel:BYTE_1 src1_sel:DWORD
	v_mov_b32_e32 v19, v11
	s_and_saveexec_b32 s13, s0
	s_cbranch_execz .LBB206_833
; %bb.828:                              ;   in Loop: Header=BB206_546 Depth=1
	v_and_b32_sdwa v5, v47, v0 dst_sel:DWORD dst_unused:UNUSED_PAD src0_sel:DWORD src1_sel:BYTE_1
	v_mov_b32_e32 v13, v6
	v_mov_b32_e32 v20, v14
	s_mov_b32 s14, exec_lo
	v_and_b32_e32 v21, 0x7f, v5
	v_mov_b32_e32 v19, v13
	v_cmpx_ne_u32_e32 0x7f, v21
	s_cbranch_execz .LBB206_832
; %bb.829:                              ;   in Loop: Header=BB206_546 Depth=1
	v_and_b32_e32 v5, 7, v5
	v_lshrrev_b32_e32 v11, 3, v21
	s_mov_b32 s15, exec_lo
	v_cmpx_gt_u32_e32 8, v21
; %bb.830:                              ;   in Loop: Header=BB206_546 Depth=1
	v_ffbh_u32_e32 v11, v5
	v_min_u32_e32 v11, 32, v11
	v_subrev_nc_u32_e32 v13, 28, v11
	v_sub_nc_u32_e32 v11, 29, v11
	v_lshlrev_b64 v[19:20], v13, v[5:6]
	v_and_b32_e32 v5, 7, v19
; %bb.831:                              ;   in Loop: Header=BB206_546 Depth=1
	s_or_b32 exec_lo, exec_lo, s15
	v_lshlrev_b32_e32 v13, 16, v0
	v_lshlrev_b32_e32 v5, 20, v5
	v_lshl_add_u32 v11, v11, 23, 0x3c000000
	v_mov_b32_e32 v19, v6
	v_and_b32_e32 v13, 0x80000000, v13
	v_or3_b32 v20, v5, v13, v11
.LBB206_832:                            ;   in Loop: Header=BB206_546 Depth=1
	s_or_b32 exec_lo, exec_lo, s14
.LBB206_833:                            ;   in Loop: Header=BB206_546 Depth=1
	s_or_b32 exec_lo, exec_lo, s13
.LBB206_834:                            ;   in Loop: Header=BB206_546 Depth=1
	s_or_b32 exec_lo, exec_lo, s12
	v_mov_b32_e32 v23, 0
	v_mov_b32_e32 v21, 0
	v_and_b32_sdwa v5, v0, v48 dst_sel:DWORD dst_unused:UNUSED_PAD src0_sel:WORD_1 src1_sel:DWORD
	v_mov_b32_e32 v24, 0
	v_mov_b32_e32 v22, 0
	s_mov_b32 s12, exec_lo
	v_cmpx_ne_u16_e32 0, v5
	s_cbranch_execz .LBB206_842
; %bb.835:                              ;   in Loop: Header=BB206_546 Depth=1
	v_bfrev_b32_e32 v21, 1
	v_mov_b32_e32 v22, 0
	s_mov_b32 s13, exec_lo
	v_cmpx_ne_u16_e32 0x80, v5
	s_cbranch_execz .LBB206_841
; %bb.836:                              ;   in Loop: Header=BB206_546 Depth=1
	v_mov_b32_e32 v21, 0x7f800001
	v_bfe_u32 v13, v0, 16, 7
	v_mov_b32_e32 v22, 0
	s_mov_b32 s14, exec_lo
	v_cmpx_ne_u32_e32 0x7f, v13
	s_cbranch_execz .LBB206_840
; %bb.837:                              ;   in Loop: Header=BB206_546 Depth=1
	v_and_b32_sdwa v5, v0, v49 dst_sel:DWORD dst_unused:UNUSED_PAD src0_sel:WORD_1 src1_sel:DWORD
	v_lshrrev_b32_e32 v11, 3, v13
	s_mov_b32 s15, exec_lo
	v_cmpx_gt_u32_e32 8, v13
; %bb.838:                              ;   in Loop: Header=BB206_546 Depth=1
	v_ffbh_u32_e32 v11, v5
	v_min_u32_e32 v11, 32, v11
	v_subrev_nc_u32_e32 v13, 28, v11
	v_sub_nc_u32_e32 v11, 29, v11
	v_lshlrev_b64 v[21:22], v13, v[5:6]
	v_and_b32_e32 v5, 7, v21
; %bb.839:                              ;   in Loop: Header=BB206_546 Depth=1
	s_or_b32 exec_lo, exec_lo, s15
	v_lshlrev_b32_sdwa v13, v50, v0 dst_sel:DWORD dst_unused:UNUSED_PAD src0_sel:DWORD src1_sel:WORD_1
	v_lshlrev_b32_e32 v5, 20, v5
	v_lshl_add_u32 v11, v11, 23, 0x3c000000
	v_and_b32_e32 v13, 0x80000000, v13
	v_or3_b32 v5, v5, v13, v11
	v_mov_b32_e32 v22, v6
	v_mov_b32_e32 v21, v5
.LBB206_840:                            ;   in Loop: Header=BB206_546 Depth=1
	s_or_b32 exec_lo, exec_lo, s14
.LBB206_841:                            ;   in Loop: Header=BB206_546 Depth=1
	s_or_b32 exec_lo, exec_lo, s13
.LBB206_842:                            ;   in Loop: Header=BB206_546 Depth=1
	s_or_b32 exec_lo, exec_lo, s12
	s_mov_b32 s12, exec_lo
	v_cmpx_lt_u32_e32 0xffffff, v0
	s_cbranch_execz .LBB206_850
; %bb.843:                              ;   in Loop: Header=BB206_546 Depth=1
	v_mov_b32_e32 v11, v6
	v_mov_b32_e32 v24, v12
	v_cmp_ne_u32_sdwa s0, v0, v46 src0_sel:BYTE_3 src1_sel:DWORD
	v_mov_b32_e32 v23, v11
	s_and_saveexec_b32 s13, s0
	s_cbranch_execz .LBB206_849
; %bb.844:                              ;   in Loop: Header=BB206_546 Depth=1
	v_mov_b32_e32 v13, v6
	v_mov_b32_e32 v24, v14
	v_bfe_u32 v65, v0, 24, 7
	s_mov_b32 s14, exec_lo
	v_mov_b32_e32 v23, v13
	v_cmpx_ne_u32_e32 0x7f, v65
	s_cbranch_execz .LBB206_848
; %bb.845:                              ;   in Loop: Header=BB206_546 Depth=1
	v_and_b32_sdwa v5, v0, v49 dst_sel:DWORD dst_unused:UNUSED_PAD src0_sel:BYTE_3 src1_sel:DWORD
	v_lshrrev_b32_e32 v11, 3, v65
	s_mov_b32 s15, exec_lo
	v_cmpx_gt_u32_e32 8, v65
; %bb.846:                              ;   in Loop: Header=BB206_546 Depth=1
	v_ffbh_u32_e32 v11, v5
	v_min_u32_e32 v11, 32, v11
	v_subrev_nc_u32_e32 v13, 28, v11
	v_sub_nc_u32_e32 v11, 29, v11
	v_lshlrev_b64 v[23:24], v13, v[5:6]
	v_and_b32_e32 v5, 7, v23
; %bb.847:                              ;   in Loop: Header=BB206_546 Depth=1
	s_or_b32 exec_lo, exec_lo, s15
	v_lshlrev_b32_sdwa v0, v50, v0 dst_sel:DWORD dst_unused:UNUSED_PAD src0_sel:DWORD src1_sel:BYTE_3
	v_lshlrev_b32_e32 v5, 20, v5
	v_lshl_add_u32 v11, v11, 23, 0x3c000000
	v_mov_b32_e32 v23, v6
	v_and_b32_e32 v0, 0x80000000, v0
	v_or3_b32 v24, v5, v0, v11
.LBB206_848:                            ;   in Loop: Header=BB206_546 Depth=1
	s_or_b32 exec_lo, exec_lo, s14
.LBB206_849:                            ;   in Loop: Header=BB206_546 Depth=1
	s_or_b32 exec_lo, exec_lo, s13
.LBB206_850:                            ;   in Loop: Header=BB206_546 Depth=1
	s_or_b32 exec_lo, exec_lo, s12
	v_or_b32_e32 v0, v20, v18
	v_or_b32_e32 v5, v19, v17
	;; [unrolled: 1-line block ×4, first 2 shown]
	v_mul_f32_e32 v90, s9, v0
	v_mul_f32_e32 v91, s3, v5
	;; [unrolled: 1-line block ×4, first 2 shown]
	s_and_saveexec_b32 s12, vcc_lo
	s_cbranch_execz .LBB206_852
; %bb.851:                              ;   in Loop: Header=BB206_546 Depth=1
	v_cmp_gt_i32_e64 s0, s27, v55
	v_cndmask_b32_e64 v91, 0, v91, s0
	v_cmp_gt_i32_e64 s0, s27, v57
	v_cndmask_b32_e64 v90, 0, v90, s0
	;; [unrolled: 2-line block ×4, first 2 shown]
.LBB206_852:                            ;   in Loop: Header=BB206_546 Depth=1
	s_or_b32 exec_lo, exec_lo, s12
	global_load_dword v0, v[15:16], off offset:1152
	v_mov_b32_e32 v19, 0
	v_mov_b32_e32 v17, 0
	;; [unrolled: 1-line block ×4, first 2 shown]
	s_waitcnt vmcnt(0)
	v_cmp_ne_u16_sdwa s0, v0, v6 src0_sel:BYTE_0 src1_sel:DWORD
	s_and_saveexec_b32 s12, s0
	s_cbranch_execz .LBB206_860
; %bb.853:                              ;   in Loop: Header=BB206_546 Depth=1
	v_bfrev_b32_e32 v17, 1
	v_mov_b32_e32 v18, 0
	v_cmp_ne_u16_sdwa s0, v0, v46 src0_sel:BYTE_0 src1_sel:DWORD
	s_and_saveexec_b32 s13, s0
	s_cbranch_execz .LBB206_859
; %bb.854:                              ;   in Loop: Header=BB206_546 Depth=1
	v_mov_b32_e32 v17, 0x7f800001
	v_and_b32_e32 v13, 0x7f, v0
	v_mov_b32_e32 v18, 0
	s_mov_b32 s14, exec_lo
	v_cmpx_ne_u32_e32 0x7f, v13
	s_cbranch_execz .LBB206_858
; %bb.855:                              ;   in Loop: Header=BB206_546 Depth=1
	v_and_b32_e32 v5, 7, v0
	v_lshrrev_b32_e32 v11, 3, v13
	s_mov_b32 s15, exec_lo
	v_cmpx_gt_u32_e32 8, v13
; %bb.856:                              ;   in Loop: Header=BB206_546 Depth=1
	v_ffbh_u32_e32 v11, v5
	v_min_u32_e32 v11, 32, v11
	v_subrev_nc_u32_e32 v13, 28, v11
	v_sub_nc_u32_e32 v11, 29, v11
	v_lshlrev_b64 v[17:18], v13, v[5:6]
	v_and_b32_e32 v5, 7, v17
; %bb.857:                              ;   in Loop: Header=BB206_546 Depth=1
	s_or_b32 exec_lo, exec_lo, s15
	v_lshlrev_b32_e32 v13, 24, v0
	v_lshlrev_b32_e32 v5, 20, v5
	v_lshl_add_u32 v11, v11, 23, 0x3c000000
	v_and_b32_e32 v13, 0x80000000, v13
	v_or3_b32 v5, v5, v13, v11
	v_mov_b32_e32 v18, v6
	v_mov_b32_e32 v17, v5
.LBB206_858:                            ;   in Loop: Header=BB206_546 Depth=1
	s_or_b32 exec_lo, exec_lo, s14
.LBB206_859:                            ;   in Loop: Header=BB206_546 Depth=1
	s_or_b32 exec_lo, exec_lo, s13
.LBB206_860:                            ;   in Loop: Header=BB206_546 Depth=1
	s_or_b32 exec_lo, exec_lo, s12
	v_cmp_ne_u16_sdwa s0, v0, v6 src0_sel:BYTE_1 src1_sel:DWORD
	s_and_saveexec_b32 s12, s0
	s_cbranch_execz .LBB206_868
; %bb.861:                              ;   in Loop: Header=BB206_546 Depth=1
	v_mov_b32_e32 v11, v6
	v_mov_b32_e32 v20, v12
	v_cmp_ne_u16_sdwa s0, v0, v46 src0_sel:BYTE_1 src1_sel:DWORD
	v_mov_b32_e32 v19, v11
	s_and_saveexec_b32 s13, s0
	s_cbranch_execz .LBB206_867
; %bb.862:                              ;   in Loop: Header=BB206_546 Depth=1
	v_and_b32_sdwa v5, v47, v0 dst_sel:DWORD dst_unused:UNUSED_PAD src0_sel:DWORD src1_sel:BYTE_1
	v_mov_b32_e32 v13, v6
	v_mov_b32_e32 v20, v14
	s_mov_b32 s14, exec_lo
	v_and_b32_e32 v21, 0x7f, v5
	v_mov_b32_e32 v19, v13
	v_cmpx_ne_u32_e32 0x7f, v21
	s_cbranch_execz .LBB206_866
; %bb.863:                              ;   in Loop: Header=BB206_546 Depth=1
	v_and_b32_e32 v5, 7, v5
	v_lshrrev_b32_e32 v11, 3, v21
	s_mov_b32 s15, exec_lo
	v_cmpx_gt_u32_e32 8, v21
; %bb.864:                              ;   in Loop: Header=BB206_546 Depth=1
	v_ffbh_u32_e32 v11, v5
	v_min_u32_e32 v11, 32, v11
	v_subrev_nc_u32_e32 v13, 28, v11
	v_sub_nc_u32_e32 v11, 29, v11
	v_lshlrev_b64 v[19:20], v13, v[5:6]
	v_and_b32_e32 v5, 7, v19
; %bb.865:                              ;   in Loop: Header=BB206_546 Depth=1
	s_or_b32 exec_lo, exec_lo, s15
	v_lshlrev_b32_e32 v13, 16, v0
	v_lshlrev_b32_e32 v5, 20, v5
	v_lshl_add_u32 v11, v11, 23, 0x3c000000
	v_mov_b32_e32 v19, v6
	v_and_b32_e32 v13, 0x80000000, v13
	v_or3_b32 v20, v5, v13, v11
.LBB206_866:                            ;   in Loop: Header=BB206_546 Depth=1
	s_or_b32 exec_lo, exec_lo, s14
.LBB206_867:                            ;   in Loop: Header=BB206_546 Depth=1
	s_or_b32 exec_lo, exec_lo, s13
.LBB206_868:                            ;   in Loop: Header=BB206_546 Depth=1
	s_or_b32 exec_lo, exec_lo, s12
	v_mov_b32_e32 v23, 0
	v_mov_b32_e32 v21, 0
	v_and_b32_sdwa v5, v0, v48 dst_sel:DWORD dst_unused:UNUSED_PAD src0_sel:WORD_1 src1_sel:DWORD
	v_mov_b32_e32 v24, 0
	v_mov_b32_e32 v22, 0
	s_mov_b32 s12, exec_lo
	v_cmpx_ne_u16_e32 0, v5
	s_cbranch_execz .LBB206_876
; %bb.869:                              ;   in Loop: Header=BB206_546 Depth=1
	v_bfrev_b32_e32 v21, 1
	v_mov_b32_e32 v22, 0
	s_mov_b32 s13, exec_lo
	v_cmpx_ne_u16_e32 0x80, v5
	s_cbranch_execz .LBB206_875
; %bb.870:                              ;   in Loop: Header=BB206_546 Depth=1
	v_mov_b32_e32 v21, 0x7f800001
	v_bfe_u32 v13, v0, 16, 7
	v_mov_b32_e32 v22, 0
	s_mov_b32 s14, exec_lo
	v_cmpx_ne_u32_e32 0x7f, v13
	s_cbranch_execz .LBB206_874
; %bb.871:                              ;   in Loop: Header=BB206_546 Depth=1
	v_and_b32_sdwa v5, v0, v49 dst_sel:DWORD dst_unused:UNUSED_PAD src0_sel:WORD_1 src1_sel:DWORD
	v_lshrrev_b32_e32 v11, 3, v13
	s_mov_b32 s15, exec_lo
	v_cmpx_gt_u32_e32 8, v13
; %bb.872:                              ;   in Loop: Header=BB206_546 Depth=1
	v_ffbh_u32_e32 v11, v5
	v_min_u32_e32 v11, 32, v11
	v_subrev_nc_u32_e32 v13, 28, v11
	v_sub_nc_u32_e32 v11, 29, v11
	v_lshlrev_b64 v[21:22], v13, v[5:6]
	v_and_b32_e32 v5, 7, v21
; %bb.873:                              ;   in Loop: Header=BB206_546 Depth=1
	s_or_b32 exec_lo, exec_lo, s15
	v_lshlrev_b32_sdwa v13, v50, v0 dst_sel:DWORD dst_unused:UNUSED_PAD src0_sel:DWORD src1_sel:WORD_1
	v_lshlrev_b32_e32 v5, 20, v5
	v_lshl_add_u32 v11, v11, 23, 0x3c000000
	v_and_b32_e32 v13, 0x80000000, v13
	v_or3_b32 v5, v5, v13, v11
	v_mov_b32_e32 v22, v6
	v_mov_b32_e32 v21, v5
.LBB206_874:                            ;   in Loop: Header=BB206_546 Depth=1
	s_or_b32 exec_lo, exec_lo, s14
.LBB206_875:                            ;   in Loop: Header=BB206_546 Depth=1
	s_or_b32 exec_lo, exec_lo, s13
.LBB206_876:                            ;   in Loop: Header=BB206_546 Depth=1
	s_or_b32 exec_lo, exec_lo, s12
	s_mov_b32 s12, exec_lo
	v_cmpx_lt_u32_e32 0xffffff, v0
	s_cbranch_execz .LBB206_884
; %bb.877:                              ;   in Loop: Header=BB206_546 Depth=1
	v_mov_b32_e32 v11, v6
	v_mov_b32_e32 v24, v12
	v_cmp_ne_u32_sdwa s0, v0, v46 src0_sel:BYTE_3 src1_sel:DWORD
	v_mov_b32_e32 v23, v11
	s_and_saveexec_b32 s13, s0
	s_cbranch_execz .LBB206_883
; %bb.878:                              ;   in Loop: Header=BB206_546 Depth=1
	v_mov_b32_e32 v13, v6
	v_mov_b32_e32 v24, v14
	v_bfe_u32 v65, v0, 24, 7
	s_mov_b32 s14, exec_lo
	v_mov_b32_e32 v23, v13
	v_cmpx_ne_u32_e32 0x7f, v65
	s_cbranch_execz .LBB206_882
; %bb.879:                              ;   in Loop: Header=BB206_546 Depth=1
	v_and_b32_sdwa v5, v0, v49 dst_sel:DWORD dst_unused:UNUSED_PAD src0_sel:BYTE_3 src1_sel:DWORD
	v_lshrrev_b32_e32 v11, 3, v65
	s_mov_b32 s15, exec_lo
	v_cmpx_gt_u32_e32 8, v65
; %bb.880:                              ;   in Loop: Header=BB206_546 Depth=1
	v_ffbh_u32_e32 v11, v5
	v_min_u32_e32 v11, 32, v11
	v_subrev_nc_u32_e32 v13, 28, v11
	v_sub_nc_u32_e32 v11, 29, v11
	v_lshlrev_b64 v[23:24], v13, v[5:6]
	v_and_b32_e32 v5, 7, v23
; %bb.881:                              ;   in Loop: Header=BB206_546 Depth=1
	s_or_b32 exec_lo, exec_lo, s15
	v_lshlrev_b32_sdwa v0, v50, v0 dst_sel:DWORD dst_unused:UNUSED_PAD src0_sel:DWORD src1_sel:BYTE_3
	v_lshlrev_b32_e32 v5, 20, v5
	v_lshl_add_u32 v11, v11, 23, 0x3c000000
	v_mov_b32_e32 v23, v6
	v_and_b32_e32 v0, 0x80000000, v0
	v_or3_b32 v24, v5, v0, v11
.LBB206_882:                            ;   in Loop: Header=BB206_546 Depth=1
	s_or_b32 exec_lo, exec_lo, s14
.LBB206_883:                            ;   in Loop: Header=BB206_546 Depth=1
	s_or_b32 exec_lo, exec_lo, s13
.LBB206_884:                            ;   in Loop: Header=BB206_546 Depth=1
	s_or_b32 exec_lo, exec_lo, s12
	v_or_b32_e32 v0, v20, v18
	v_or_b32_e32 v5, v19, v17
	;; [unrolled: 1-line block ×4, first 2 shown]
	v_mul_f32_e32 v94, s9, v0
	v_mul_f32_e32 v95, s3, v5
	;; [unrolled: 1-line block ×4, first 2 shown]
	s_and_saveexec_b32 s12, vcc_lo
	s_cbranch_execz .LBB206_886
; %bb.885:                              ;   in Loop: Header=BB206_546 Depth=1
	v_cmp_gt_i32_e64 s0, s27, v55
	v_cndmask_b32_e64 v95, 0, v95, s0
	v_cmp_gt_i32_e64 s0, s27, v57
	v_cndmask_b32_e64 v94, 0, v94, s0
	;; [unrolled: 2-line block ×4, first 2 shown]
.LBB206_886:                            ;   in Loop: Header=BB206_546 Depth=1
	s_or_b32 exec_lo, exec_lo, s12
	global_load_dword v0, v[15:16], off offset:1280
	v_mov_b32_e32 v19, 0
	v_mov_b32_e32 v17, 0
	;; [unrolled: 1-line block ×4, first 2 shown]
	s_waitcnt vmcnt(0)
	v_cmp_ne_u16_sdwa s0, v0, v6 src0_sel:BYTE_0 src1_sel:DWORD
	s_and_saveexec_b32 s12, s0
	s_cbranch_execz .LBB206_894
; %bb.887:                              ;   in Loop: Header=BB206_546 Depth=1
	v_bfrev_b32_e32 v17, 1
	v_mov_b32_e32 v18, 0
	v_cmp_ne_u16_sdwa s0, v0, v46 src0_sel:BYTE_0 src1_sel:DWORD
	s_and_saveexec_b32 s13, s0
	s_cbranch_execz .LBB206_893
; %bb.888:                              ;   in Loop: Header=BB206_546 Depth=1
	v_mov_b32_e32 v17, 0x7f800001
	v_and_b32_e32 v13, 0x7f, v0
	v_mov_b32_e32 v18, 0
	s_mov_b32 s14, exec_lo
	v_cmpx_ne_u32_e32 0x7f, v13
	s_cbranch_execz .LBB206_892
; %bb.889:                              ;   in Loop: Header=BB206_546 Depth=1
	v_and_b32_e32 v5, 7, v0
	v_lshrrev_b32_e32 v11, 3, v13
	s_mov_b32 s15, exec_lo
	v_cmpx_gt_u32_e32 8, v13
; %bb.890:                              ;   in Loop: Header=BB206_546 Depth=1
	v_ffbh_u32_e32 v11, v5
	v_min_u32_e32 v11, 32, v11
	v_subrev_nc_u32_e32 v13, 28, v11
	v_sub_nc_u32_e32 v11, 29, v11
	v_lshlrev_b64 v[17:18], v13, v[5:6]
	v_and_b32_e32 v5, 7, v17
; %bb.891:                              ;   in Loop: Header=BB206_546 Depth=1
	s_or_b32 exec_lo, exec_lo, s15
	v_lshlrev_b32_e32 v13, 24, v0
	v_lshlrev_b32_e32 v5, 20, v5
	v_lshl_add_u32 v11, v11, 23, 0x3c000000
	v_and_b32_e32 v13, 0x80000000, v13
	v_or3_b32 v5, v5, v13, v11
	v_mov_b32_e32 v18, v6
	v_mov_b32_e32 v17, v5
.LBB206_892:                            ;   in Loop: Header=BB206_546 Depth=1
	s_or_b32 exec_lo, exec_lo, s14
.LBB206_893:                            ;   in Loop: Header=BB206_546 Depth=1
	s_or_b32 exec_lo, exec_lo, s13
.LBB206_894:                            ;   in Loop: Header=BB206_546 Depth=1
	s_or_b32 exec_lo, exec_lo, s12
	v_cmp_ne_u16_sdwa s0, v0, v6 src0_sel:BYTE_1 src1_sel:DWORD
	s_and_saveexec_b32 s12, s0
	s_cbranch_execz .LBB206_902
; %bb.895:                              ;   in Loop: Header=BB206_546 Depth=1
	v_mov_b32_e32 v11, v6
	v_mov_b32_e32 v20, v12
	v_cmp_ne_u16_sdwa s0, v0, v46 src0_sel:BYTE_1 src1_sel:DWORD
	v_mov_b32_e32 v19, v11
	s_and_saveexec_b32 s13, s0
	s_cbranch_execz .LBB206_901
; %bb.896:                              ;   in Loop: Header=BB206_546 Depth=1
	v_and_b32_sdwa v5, v47, v0 dst_sel:DWORD dst_unused:UNUSED_PAD src0_sel:DWORD src1_sel:BYTE_1
	v_mov_b32_e32 v13, v6
	v_mov_b32_e32 v20, v14
	s_mov_b32 s14, exec_lo
	v_and_b32_e32 v21, 0x7f, v5
	v_mov_b32_e32 v19, v13
	v_cmpx_ne_u32_e32 0x7f, v21
	s_cbranch_execz .LBB206_900
; %bb.897:                              ;   in Loop: Header=BB206_546 Depth=1
	v_and_b32_e32 v5, 7, v5
	v_lshrrev_b32_e32 v11, 3, v21
	s_mov_b32 s15, exec_lo
	v_cmpx_gt_u32_e32 8, v21
; %bb.898:                              ;   in Loop: Header=BB206_546 Depth=1
	v_ffbh_u32_e32 v11, v5
	v_min_u32_e32 v11, 32, v11
	v_subrev_nc_u32_e32 v13, 28, v11
	v_sub_nc_u32_e32 v11, 29, v11
	v_lshlrev_b64 v[19:20], v13, v[5:6]
	v_and_b32_e32 v5, 7, v19
; %bb.899:                              ;   in Loop: Header=BB206_546 Depth=1
	s_or_b32 exec_lo, exec_lo, s15
	v_lshlrev_b32_e32 v13, 16, v0
	v_lshlrev_b32_e32 v5, 20, v5
	v_lshl_add_u32 v11, v11, 23, 0x3c000000
	v_mov_b32_e32 v19, v6
	v_and_b32_e32 v13, 0x80000000, v13
	v_or3_b32 v20, v5, v13, v11
.LBB206_900:                            ;   in Loop: Header=BB206_546 Depth=1
	s_or_b32 exec_lo, exec_lo, s14
.LBB206_901:                            ;   in Loop: Header=BB206_546 Depth=1
	s_or_b32 exec_lo, exec_lo, s13
.LBB206_902:                            ;   in Loop: Header=BB206_546 Depth=1
	s_or_b32 exec_lo, exec_lo, s12
	v_mov_b32_e32 v23, 0
	v_mov_b32_e32 v21, 0
	v_and_b32_sdwa v5, v0, v48 dst_sel:DWORD dst_unused:UNUSED_PAD src0_sel:WORD_1 src1_sel:DWORD
	v_mov_b32_e32 v24, 0
	v_mov_b32_e32 v22, 0
	s_mov_b32 s12, exec_lo
	v_cmpx_ne_u16_e32 0, v5
	s_cbranch_execz .LBB206_910
; %bb.903:                              ;   in Loop: Header=BB206_546 Depth=1
	v_bfrev_b32_e32 v21, 1
	v_mov_b32_e32 v22, 0
	s_mov_b32 s13, exec_lo
	v_cmpx_ne_u16_e32 0x80, v5
	s_cbranch_execz .LBB206_909
; %bb.904:                              ;   in Loop: Header=BB206_546 Depth=1
	v_mov_b32_e32 v21, 0x7f800001
	v_bfe_u32 v13, v0, 16, 7
	v_mov_b32_e32 v22, 0
	s_mov_b32 s14, exec_lo
	v_cmpx_ne_u32_e32 0x7f, v13
	s_cbranch_execz .LBB206_908
; %bb.905:                              ;   in Loop: Header=BB206_546 Depth=1
	v_and_b32_sdwa v5, v0, v49 dst_sel:DWORD dst_unused:UNUSED_PAD src0_sel:WORD_1 src1_sel:DWORD
	v_lshrrev_b32_e32 v11, 3, v13
	s_mov_b32 s15, exec_lo
	v_cmpx_gt_u32_e32 8, v13
; %bb.906:                              ;   in Loop: Header=BB206_546 Depth=1
	v_ffbh_u32_e32 v11, v5
	v_min_u32_e32 v11, 32, v11
	v_subrev_nc_u32_e32 v13, 28, v11
	v_sub_nc_u32_e32 v11, 29, v11
	v_lshlrev_b64 v[21:22], v13, v[5:6]
	v_and_b32_e32 v5, 7, v21
; %bb.907:                              ;   in Loop: Header=BB206_546 Depth=1
	s_or_b32 exec_lo, exec_lo, s15
	v_lshlrev_b32_sdwa v13, v50, v0 dst_sel:DWORD dst_unused:UNUSED_PAD src0_sel:DWORD src1_sel:WORD_1
	v_lshlrev_b32_e32 v5, 20, v5
	v_lshl_add_u32 v11, v11, 23, 0x3c000000
	v_and_b32_e32 v13, 0x80000000, v13
	v_or3_b32 v5, v5, v13, v11
	v_mov_b32_e32 v22, v6
	v_mov_b32_e32 v21, v5
.LBB206_908:                            ;   in Loop: Header=BB206_546 Depth=1
	s_or_b32 exec_lo, exec_lo, s14
.LBB206_909:                            ;   in Loop: Header=BB206_546 Depth=1
	s_or_b32 exec_lo, exec_lo, s13
.LBB206_910:                            ;   in Loop: Header=BB206_546 Depth=1
	s_or_b32 exec_lo, exec_lo, s12
	s_mov_b32 s12, exec_lo
	v_cmpx_lt_u32_e32 0xffffff, v0
	s_cbranch_execz .LBB206_918
; %bb.911:                              ;   in Loop: Header=BB206_546 Depth=1
	v_mov_b32_e32 v11, v6
	v_mov_b32_e32 v24, v12
	v_cmp_ne_u32_sdwa s0, v0, v46 src0_sel:BYTE_3 src1_sel:DWORD
	v_mov_b32_e32 v23, v11
	s_and_saveexec_b32 s13, s0
	s_cbranch_execz .LBB206_917
; %bb.912:                              ;   in Loop: Header=BB206_546 Depth=1
	v_mov_b32_e32 v13, v6
	v_mov_b32_e32 v24, v14
	v_bfe_u32 v65, v0, 24, 7
	s_mov_b32 s14, exec_lo
	v_mov_b32_e32 v23, v13
	v_cmpx_ne_u32_e32 0x7f, v65
	s_cbranch_execz .LBB206_916
; %bb.913:                              ;   in Loop: Header=BB206_546 Depth=1
	v_and_b32_sdwa v5, v0, v49 dst_sel:DWORD dst_unused:UNUSED_PAD src0_sel:BYTE_3 src1_sel:DWORD
	v_lshrrev_b32_e32 v11, 3, v65
	s_mov_b32 s15, exec_lo
	v_cmpx_gt_u32_e32 8, v65
; %bb.914:                              ;   in Loop: Header=BB206_546 Depth=1
	v_ffbh_u32_e32 v11, v5
	v_min_u32_e32 v11, 32, v11
	v_subrev_nc_u32_e32 v13, 28, v11
	v_sub_nc_u32_e32 v11, 29, v11
	v_lshlrev_b64 v[23:24], v13, v[5:6]
	v_and_b32_e32 v5, 7, v23
; %bb.915:                              ;   in Loop: Header=BB206_546 Depth=1
	s_or_b32 exec_lo, exec_lo, s15
	v_lshlrev_b32_sdwa v0, v50, v0 dst_sel:DWORD dst_unused:UNUSED_PAD src0_sel:DWORD src1_sel:BYTE_3
	v_lshlrev_b32_e32 v5, 20, v5
	v_lshl_add_u32 v11, v11, 23, 0x3c000000
	v_mov_b32_e32 v23, v6
	v_and_b32_e32 v0, 0x80000000, v0
	v_or3_b32 v24, v5, v0, v11
.LBB206_916:                            ;   in Loop: Header=BB206_546 Depth=1
	s_or_b32 exec_lo, exec_lo, s14
.LBB206_917:                            ;   in Loop: Header=BB206_546 Depth=1
	s_or_b32 exec_lo, exec_lo, s13
.LBB206_918:                            ;   in Loop: Header=BB206_546 Depth=1
	s_or_b32 exec_lo, exec_lo, s12
	v_or_b32_e32 v0, v20, v18
	v_or_b32_e32 v5, v19, v17
	;; [unrolled: 1-line block ×4, first 2 shown]
	v_mul_f32_e32 v96, s9, v0
	v_mul_f32_e32 v97, s3, v5
	;; [unrolled: 1-line block ×4, first 2 shown]
	s_and_saveexec_b32 s12, vcc_lo
	s_cbranch_execz .LBB206_920
; %bb.919:                              ;   in Loop: Header=BB206_546 Depth=1
	v_cmp_gt_i32_e64 s0, s27, v55
	v_cndmask_b32_e64 v97, 0, v97, s0
	v_cmp_gt_i32_e64 s0, s27, v57
	v_cndmask_b32_e64 v96, 0, v96, s0
	;; [unrolled: 2-line block ×4, first 2 shown]
.LBB206_920:                            ;   in Loop: Header=BB206_546 Depth=1
	s_or_b32 exec_lo, exec_lo, s12
	global_load_dword v65, v[15:16], off offset:1408
	v_mov_b32_e32 v19, 0
	v_mov_b32_e32 v17, 0
	v_mov_b32_e32 v20, 0
	v_mov_b32_e32 v18, 0
	s_waitcnt vmcnt(0)
	v_cmp_ne_u16_sdwa s0, v65, v6 src0_sel:BYTE_0 src1_sel:DWORD
	s_and_saveexec_b32 s12, s0
	s_cbranch_execz .LBB206_928
; %bb.921:                              ;   in Loop: Header=BB206_546 Depth=1
	v_bfrev_b32_e32 v17, 1
	v_mov_b32_e32 v18, 0
	v_cmp_ne_u16_sdwa s0, v65, v46 src0_sel:BYTE_0 src1_sel:DWORD
	s_and_saveexec_b32 s13, s0
	s_cbranch_execz .LBB206_927
; %bb.922:                              ;   in Loop: Header=BB206_546 Depth=1
	v_mov_b32_e32 v17, 0x7f800001
	v_and_b32_e32 v13, 0x7f, v65
	v_mov_b32_e32 v18, 0
	s_mov_b32 s14, exec_lo
	v_cmpx_ne_u32_e32 0x7f, v13
	s_cbranch_execz .LBB206_926
; %bb.923:                              ;   in Loop: Header=BB206_546 Depth=1
	v_and_b32_e32 v5, 7, v65
	v_lshrrev_b32_e32 v11, 3, v13
	s_mov_b32 s15, exec_lo
	v_cmpx_gt_u32_e32 8, v13
; %bb.924:                              ;   in Loop: Header=BB206_546 Depth=1
	v_ffbh_u32_e32 v11, v5
	v_min_u32_e32 v11, 32, v11
	v_subrev_nc_u32_e32 v13, 28, v11
	v_sub_nc_u32_e32 v11, 29, v11
	v_lshlrev_b64 v[17:18], v13, v[5:6]
	v_and_b32_e32 v5, 7, v17
; %bb.925:                              ;   in Loop: Header=BB206_546 Depth=1
	s_or_b32 exec_lo, exec_lo, s15
	v_lshlrev_b32_e32 v13, 24, v65
	v_lshlrev_b32_e32 v5, 20, v5
	v_lshl_add_u32 v11, v11, 23, 0x3c000000
	v_and_b32_e32 v13, 0x80000000, v13
	v_or3_b32 v5, v5, v13, v11
	v_mov_b32_e32 v18, v6
	v_mov_b32_e32 v17, v5
.LBB206_926:                            ;   in Loop: Header=BB206_546 Depth=1
	s_or_b32 exec_lo, exec_lo, s14
.LBB206_927:                            ;   in Loop: Header=BB206_546 Depth=1
	s_or_b32 exec_lo, exec_lo, s13
.LBB206_928:                            ;   in Loop: Header=BB206_546 Depth=1
	s_or_b32 exec_lo, exec_lo, s12
	v_cmp_ne_u16_sdwa s0, v65, v6 src0_sel:BYTE_1 src1_sel:DWORD
	s_and_saveexec_b32 s12, s0
	s_cbranch_execz .LBB206_936
; %bb.929:                              ;   in Loop: Header=BB206_546 Depth=1
	v_mov_b32_e32 v11, v6
	v_mov_b32_e32 v20, v12
	v_cmp_ne_u16_sdwa s0, v65, v46 src0_sel:BYTE_1 src1_sel:DWORD
	v_mov_b32_e32 v19, v11
	s_and_saveexec_b32 s13, s0
	s_cbranch_execz .LBB206_935
; %bb.930:                              ;   in Loop: Header=BB206_546 Depth=1
	v_and_b32_sdwa v5, v47, v65 dst_sel:DWORD dst_unused:UNUSED_PAD src0_sel:DWORD src1_sel:BYTE_1
	v_mov_b32_e32 v13, v6
	v_mov_b32_e32 v20, v14
	s_mov_b32 s14, exec_lo
	v_and_b32_e32 v21, 0x7f, v5
	v_mov_b32_e32 v19, v13
	v_cmpx_ne_u32_e32 0x7f, v21
	s_cbranch_execz .LBB206_934
; %bb.931:                              ;   in Loop: Header=BB206_546 Depth=1
	v_and_b32_e32 v5, 7, v5
	v_lshrrev_b32_e32 v11, 3, v21
	s_mov_b32 s15, exec_lo
	v_cmpx_gt_u32_e32 8, v21
; %bb.932:                              ;   in Loop: Header=BB206_546 Depth=1
	v_ffbh_u32_e32 v11, v5
	v_min_u32_e32 v11, 32, v11
	v_subrev_nc_u32_e32 v13, 28, v11
	v_sub_nc_u32_e32 v11, 29, v11
	v_lshlrev_b64 v[19:20], v13, v[5:6]
	v_and_b32_e32 v5, 7, v19
; %bb.933:                              ;   in Loop: Header=BB206_546 Depth=1
	s_or_b32 exec_lo, exec_lo, s15
	v_lshlrev_b32_e32 v13, 16, v65
	v_lshlrev_b32_e32 v5, 20, v5
	v_lshl_add_u32 v11, v11, 23, 0x3c000000
	v_mov_b32_e32 v19, v6
	v_and_b32_e32 v13, 0x80000000, v13
	v_or3_b32 v20, v5, v13, v11
.LBB206_934:                            ;   in Loop: Header=BB206_546 Depth=1
	s_or_b32 exec_lo, exec_lo, s14
.LBB206_935:                            ;   in Loop: Header=BB206_546 Depth=1
	s_or_b32 exec_lo, exec_lo, s13
.LBB206_936:                            ;   in Loop: Header=BB206_546 Depth=1
	s_or_b32 exec_lo, exec_lo, s12
	v_mov_b32_e32 v23, 0
	v_mov_b32_e32 v21, 0
	v_and_b32_sdwa v5, v65, v48 dst_sel:DWORD dst_unused:UNUSED_PAD src0_sel:WORD_1 src1_sel:DWORD
	v_mov_b32_e32 v24, 0
	v_mov_b32_e32 v22, 0
	s_mov_b32 s12, exec_lo
	v_cmpx_ne_u16_e32 0, v5
	s_cbranch_execz .LBB206_944
; %bb.937:                              ;   in Loop: Header=BB206_546 Depth=1
	v_bfrev_b32_e32 v21, 1
	v_mov_b32_e32 v22, 0
	s_mov_b32 s13, exec_lo
	v_cmpx_ne_u16_e32 0x80, v5
	s_cbranch_execz .LBB206_943
; %bb.938:                              ;   in Loop: Header=BB206_546 Depth=1
	v_mov_b32_e32 v21, 0x7f800001
	v_bfe_u32 v13, v65, 16, 7
	v_mov_b32_e32 v22, 0
	s_mov_b32 s14, exec_lo
	v_cmpx_ne_u32_e32 0x7f, v13
	s_cbranch_execz .LBB206_942
; %bb.939:                              ;   in Loop: Header=BB206_546 Depth=1
	v_and_b32_sdwa v5, v65, v49 dst_sel:DWORD dst_unused:UNUSED_PAD src0_sel:WORD_1 src1_sel:DWORD
	v_lshrrev_b32_e32 v11, 3, v13
	s_mov_b32 s15, exec_lo
	v_cmpx_gt_u32_e32 8, v13
; %bb.940:                              ;   in Loop: Header=BB206_546 Depth=1
	v_ffbh_u32_e32 v11, v5
	v_min_u32_e32 v11, 32, v11
	v_subrev_nc_u32_e32 v13, 28, v11
	v_sub_nc_u32_e32 v11, 29, v11
	v_lshlrev_b64 v[21:22], v13, v[5:6]
	v_and_b32_e32 v5, 7, v21
; %bb.941:                              ;   in Loop: Header=BB206_546 Depth=1
	s_or_b32 exec_lo, exec_lo, s15
	v_lshlrev_b32_sdwa v13, v50, v65 dst_sel:DWORD dst_unused:UNUSED_PAD src0_sel:DWORD src1_sel:WORD_1
	v_lshlrev_b32_e32 v5, 20, v5
	v_lshl_add_u32 v11, v11, 23, 0x3c000000
	v_and_b32_e32 v13, 0x80000000, v13
	v_or3_b32 v5, v5, v13, v11
	v_mov_b32_e32 v22, v6
	v_mov_b32_e32 v21, v5
.LBB206_942:                            ;   in Loop: Header=BB206_546 Depth=1
	s_or_b32 exec_lo, exec_lo, s14
.LBB206_943:                            ;   in Loop: Header=BB206_546 Depth=1
	s_or_b32 exec_lo, exec_lo, s13
.LBB206_944:                            ;   in Loop: Header=BB206_546 Depth=1
	s_or_b32 exec_lo, exec_lo, s12
	s_mov_b32 s12, exec_lo
	v_cmpx_lt_u32_e32 0xffffff, v65
	s_cbranch_execz .LBB206_952
; %bb.945:                              ;   in Loop: Header=BB206_546 Depth=1
	v_mov_b32_e32 v11, v6
	v_mov_b32_e32 v24, v12
	v_cmp_ne_u32_sdwa s0, v65, v46 src0_sel:BYTE_3 src1_sel:DWORD
	v_mov_b32_e32 v23, v11
	s_and_saveexec_b32 s13, s0
	s_cbranch_execz .LBB206_951
; %bb.946:                              ;   in Loop: Header=BB206_546 Depth=1
	v_mov_b32_e32 v13, v6
	v_mov_b32_e32 v24, v14
	v_bfe_u32 v98, v65, 24, 7
	s_mov_b32 s14, exec_lo
	v_mov_b32_e32 v23, v13
	v_cmpx_ne_u32_e32 0x7f, v98
	s_cbranch_execz .LBB206_950
; %bb.947:                              ;   in Loop: Header=BB206_546 Depth=1
	v_and_b32_sdwa v5, v65, v49 dst_sel:DWORD dst_unused:UNUSED_PAD src0_sel:BYTE_3 src1_sel:DWORD
	v_lshrrev_b32_e32 v11, 3, v98
	s_mov_b32 s15, exec_lo
	v_cmpx_gt_u32_e32 8, v98
; %bb.948:                              ;   in Loop: Header=BB206_546 Depth=1
	v_ffbh_u32_e32 v11, v5
	v_min_u32_e32 v11, 32, v11
	v_subrev_nc_u32_e32 v13, 28, v11
	v_sub_nc_u32_e32 v11, 29, v11
	v_lshlrev_b64 v[23:24], v13, v[5:6]
	v_and_b32_e32 v5, 7, v23
; %bb.949:                              ;   in Loop: Header=BB206_546 Depth=1
	s_or_b32 exec_lo, exec_lo, s15
	v_lshlrev_b32_sdwa v13, v50, v65 dst_sel:DWORD dst_unused:UNUSED_PAD src0_sel:DWORD src1_sel:BYTE_3
	v_lshlrev_b32_e32 v5, 20, v5
	v_lshl_add_u32 v11, v11, 23, 0x3c000000
	v_mov_b32_e32 v23, v6
	v_and_b32_e32 v13, 0x80000000, v13
	v_or3_b32 v24, v5, v13, v11
.LBB206_950:                            ;   in Loop: Header=BB206_546 Depth=1
	s_or_b32 exec_lo, exec_lo, s14
.LBB206_951:                            ;   in Loop: Header=BB206_546 Depth=1
	s_or_b32 exec_lo, exec_lo, s13
.LBB206_952:                            ;   in Loop: Header=BB206_546 Depth=1
	s_or_b32 exec_lo, exec_lo, s12
	v_or_b32_e32 v5, v20, v18
	v_or_b32_e32 v11, v19, v17
	;; [unrolled: 1-line block ×4, first 2 shown]
	v_mul_f32_e32 v100, s9, v5
	v_mul_f32_e32 v101, s3, v11
	;; [unrolled: 1-line block ×4, first 2 shown]
	s_and_saveexec_b32 s12, vcc_lo
	s_cbranch_execz .LBB206_954
; %bb.953:                              ;   in Loop: Header=BB206_546 Depth=1
	v_cmp_gt_i32_e64 s0, s27, v55
	v_cndmask_b32_e64 v101, 0, v101, s0
	v_cmp_gt_i32_e64 s0, s27, v57
	v_cndmask_b32_e64 v100, 0, v100, s0
	;; [unrolled: 2-line block ×4, first 2 shown]
.LBB206_954:                            ;   in Loop: Header=BB206_546 Depth=1
	s_or_b32 exec_lo, exec_lo, s12
	global_load_dword v65, v[15:16], off offset:1536
	v_mov_b32_e32 v19, 0
	v_mov_b32_e32 v17, 0
	;; [unrolled: 1-line block ×4, first 2 shown]
	s_waitcnt vmcnt(0)
	v_cmp_ne_u16_sdwa s0, v65, v6 src0_sel:BYTE_0 src1_sel:DWORD
	s_and_saveexec_b32 s12, s0
	s_cbranch_execz .LBB206_962
; %bb.955:                              ;   in Loop: Header=BB206_546 Depth=1
	v_bfrev_b32_e32 v17, 1
	v_mov_b32_e32 v18, 0
	v_cmp_ne_u16_sdwa s0, v65, v46 src0_sel:BYTE_0 src1_sel:DWORD
	s_and_saveexec_b32 s13, s0
	s_cbranch_execz .LBB206_961
; %bb.956:                              ;   in Loop: Header=BB206_546 Depth=1
	v_mov_b32_e32 v17, 0x7f800001
	v_and_b32_e32 v13, 0x7f, v65
	v_mov_b32_e32 v18, 0
	s_mov_b32 s14, exec_lo
	v_cmpx_ne_u32_e32 0x7f, v13
	s_cbranch_execz .LBB206_960
; %bb.957:                              ;   in Loop: Header=BB206_546 Depth=1
	v_and_b32_e32 v5, 7, v65
	v_lshrrev_b32_e32 v11, 3, v13
	s_mov_b32 s15, exec_lo
	v_cmpx_gt_u32_e32 8, v13
; %bb.958:                              ;   in Loop: Header=BB206_546 Depth=1
	v_ffbh_u32_e32 v11, v5
	v_min_u32_e32 v11, 32, v11
	v_subrev_nc_u32_e32 v13, 28, v11
	v_sub_nc_u32_e32 v11, 29, v11
	v_lshlrev_b64 v[17:18], v13, v[5:6]
	v_and_b32_e32 v5, 7, v17
; %bb.959:                              ;   in Loop: Header=BB206_546 Depth=1
	s_or_b32 exec_lo, exec_lo, s15
	v_lshlrev_b32_e32 v13, 24, v65
	v_lshlrev_b32_e32 v5, 20, v5
	v_lshl_add_u32 v11, v11, 23, 0x3c000000
	v_and_b32_e32 v13, 0x80000000, v13
	v_or3_b32 v5, v5, v13, v11
	v_mov_b32_e32 v18, v6
	v_mov_b32_e32 v17, v5
.LBB206_960:                            ;   in Loop: Header=BB206_546 Depth=1
	s_or_b32 exec_lo, exec_lo, s14
.LBB206_961:                            ;   in Loop: Header=BB206_546 Depth=1
	s_or_b32 exec_lo, exec_lo, s13
.LBB206_962:                            ;   in Loop: Header=BB206_546 Depth=1
	s_or_b32 exec_lo, exec_lo, s12
	v_cmp_ne_u16_sdwa s0, v65, v6 src0_sel:BYTE_1 src1_sel:DWORD
	s_and_saveexec_b32 s12, s0
	s_cbranch_execz .LBB206_970
; %bb.963:                              ;   in Loop: Header=BB206_546 Depth=1
	v_mov_b32_e32 v11, v6
	v_mov_b32_e32 v20, v12
	v_cmp_ne_u16_sdwa s0, v65, v46 src0_sel:BYTE_1 src1_sel:DWORD
	v_mov_b32_e32 v19, v11
	s_and_saveexec_b32 s13, s0
	s_cbranch_execz .LBB206_969
; %bb.964:                              ;   in Loop: Header=BB206_546 Depth=1
	v_and_b32_sdwa v5, v47, v65 dst_sel:DWORD dst_unused:UNUSED_PAD src0_sel:DWORD src1_sel:BYTE_1
	v_mov_b32_e32 v13, v6
	v_mov_b32_e32 v20, v14
	s_mov_b32 s14, exec_lo
	v_and_b32_e32 v21, 0x7f, v5
	v_mov_b32_e32 v19, v13
	v_cmpx_ne_u32_e32 0x7f, v21
	s_cbranch_execz .LBB206_968
; %bb.965:                              ;   in Loop: Header=BB206_546 Depth=1
	v_and_b32_e32 v5, 7, v5
	v_lshrrev_b32_e32 v11, 3, v21
	s_mov_b32 s15, exec_lo
	v_cmpx_gt_u32_e32 8, v21
; %bb.966:                              ;   in Loop: Header=BB206_546 Depth=1
	v_ffbh_u32_e32 v11, v5
	v_min_u32_e32 v11, 32, v11
	v_subrev_nc_u32_e32 v13, 28, v11
	v_sub_nc_u32_e32 v11, 29, v11
	v_lshlrev_b64 v[19:20], v13, v[5:6]
	v_and_b32_e32 v5, 7, v19
; %bb.967:                              ;   in Loop: Header=BB206_546 Depth=1
	s_or_b32 exec_lo, exec_lo, s15
	v_lshlrev_b32_e32 v13, 16, v65
	v_lshlrev_b32_e32 v5, 20, v5
	v_lshl_add_u32 v11, v11, 23, 0x3c000000
	v_mov_b32_e32 v19, v6
	v_and_b32_e32 v13, 0x80000000, v13
	v_or3_b32 v20, v5, v13, v11
.LBB206_968:                            ;   in Loop: Header=BB206_546 Depth=1
	s_or_b32 exec_lo, exec_lo, s14
.LBB206_969:                            ;   in Loop: Header=BB206_546 Depth=1
	s_or_b32 exec_lo, exec_lo, s13
.LBB206_970:                            ;   in Loop: Header=BB206_546 Depth=1
	s_or_b32 exec_lo, exec_lo, s12
	v_mov_b32_e32 v23, 0
	v_mov_b32_e32 v21, 0
	v_and_b32_sdwa v5, v65, v48 dst_sel:DWORD dst_unused:UNUSED_PAD src0_sel:WORD_1 src1_sel:DWORD
	v_mov_b32_e32 v24, 0
	v_mov_b32_e32 v22, 0
	s_mov_b32 s12, exec_lo
	v_cmpx_ne_u16_e32 0, v5
	s_cbranch_execz .LBB206_978
; %bb.971:                              ;   in Loop: Header=BB206_546 Depth=1
	v_bfrev_b32_e32 v21, 1
	v_mov_b32_e32 v22, 0
	s_mov_b32 s13, exec_lo
	v_cmpx_ne_u16_e32 0x80, v5
	s_cbranch_execz .LBB206_977
; %bb.972:                              ;   in Loop: Header=BB206_546 Depth=1
	v_mov_b32_e32 v21, 0x7f800001
	v_bfe_u32 v13, v65, 16, 7
	v_mov_b32_e32 v22, 0
	s_mov_b32 s14, exec_lo
	v_cmpx_ne_u32_e32 0x7f, v13
	s_cbranch_execz .LBB206_976
; %bb.973:                              ;   in Loop: Header=BB206_546 Depth=1
	v_and_b32_sdwa v5, v65, v49 dst_sel:DWORD dst_unused:UNUSED_PAD src0_sel:WORD_1 src1_sel:DWORD
	v_lshrrev_b32_e32 v11, 3, v13
	s_mov_b32 s15, exec_lo
	v_cmpx_gt_u32_e32 8, v13
; %bb.974:                              ;   in Loop: Header=BB206_546 Depth=1
	v_ffbh_u32_e32 v11, v5
	v_min_u32_e32 v11, 32, v11
	v_subrev_nc_u32_e32 v13, 28, v11
	v_sub_nc_u32_e32 v11, 29, v11
	v_lshlrev_b64 v[21:22], v13, v[5:6]
	v_and_b32_e32 v5, 7, v21
; %bb.975:                              ;   in Loop: Header=BB206_546 Depth=1
	s_or_b32 exec_lo, exec_lo, s15
	v_lshlrev_b32_sdwa v13, v50, v65 dst_sel:DWORD dst_unused:UNUSED_PAD src0_sel:DWORD src1_sel:WORD_1
	v_lshlrev_b32_e32 v5, 20, v5
	v_lshl_add_u32 v11, v11, 23, 0x3c000000
	v_and_b32_e32 v13, 0x80000000, v13
	v_or3_b32 v5, v5, v13, v11
	v_mov_b32_e32 v22, v6
	v_mov_b32_e32 v21, v5
.LBB206_976:                            ;   in Loop: Header=BB206_546 Depth=1
	s_or_b32 exec_lo, exec_lo, s14
.LBB206_977:                            ;   in Loop: Header=BB206_546 Depth=1
	s_or_b32 exec_lo, exec_lo, s13
.LBB206_978:                            ;   in Loop: Header=BB206_546 Depth=1
	s_or_b32 exec_lo, exec_lo, s12
	s_mov_b32 s12, exec_lo
	v_cmpx_lt_u32_e32 0xffffff, v65
	s_cbranch_execz .LBB206_986
; %bb.979:                              ;   in Loop: Header=BB206_546 Depth=1
	v_mov_b32_e32 v11, v6
	v_mov_b32_e32 v24, v12
	v_cmp_ne_u32_sdwa s0, v65, v46 src0_sel:BYTE_3 src1_sel:DWORD
	v_mov_b32_e32 v23, v11
	s_and_saveexec_b32 s13, s0
	s_cbranch_execz .LBB206_985
; %bb.980:                              ;   in Loop: Header=BB206_546 Depth=1
	v_mov_b32_e32 v13, v6
	v_mov_b32_e32 v24, v14
	v_bfe_u32 v102, v65, 24, 7
	s_mov_b32 s14, exec_lo
	v_mov_b32_e32 v23, v13
	v_cmpx_ne_u32_e32 0x7f, v102
	s_cbranch_execz .LBB206_984
; %bb.981:                              ;   in Loop: Header=BB206_546 Depth=1
	v_and_b32_sdwa v5, v65, v49 dst_sel:DWORD dst_unused:UNUSED_PAD src0_sel:BYTE_3 src1_sel:DWORD
	v_lshrrev_b32_e32 v11, 3, v102
	s_mov_b32 s15, exec_lo
	v_cmpx_gt_u32_e32 8, v102
; %bb.982:                              ;   in Loop: Header=BB206_546 Depth=1
	v_ffbh_u32_e32 v11, v5
	v_min_u32_e32 v11, 32, v11
	v_subrev_nc_u32_e32 v13, 28, v11
	v_sub_nc_u32_e32 v11, 29, v11
	v_lshlrev_b64 v[23:24], v13, v[5:6]
	v_and_b32_e32 v5, 7, v23
; %bb.983:                              ;   in Loop: Header=BB206_546 Depth=1
	s_or_b32 exec_lo, exec_lo, s15
	v_lshlrev_b32_sdwa v13, v50, v65 dst_sel:DWORD dst_unused:UNUSED_PAD src0_sel:DWORD src1_sel:BYTE_3
	v_lshlrev_b32_e32 v5, 20, v5
	v_lshl_add_u32 v11, v11, 23, 0x3c000000
	v_mov_b32_e32 v23, v6
	v_and_b32_e32 v13, 0x80000000, v13
	v_or3_b32 v24, v5, v13, v11
.LBB206_984:                            ;   in Loop: Header=BB206_546 Depth=1
	s_or_b32 exec_lo, exec_lo, s14
.LBB206_985:                            ;   in Loop: Header=BB206_546 Depth=1
	s_or_b32 exec_lo, exec_lo, s13
.LBB206_986:                            ;   in Loop: Header=BB206_546 Depth=1
	s_or_b32 exec_lo, exec_lo, s12
	v_or_b32_e32 v5, v20, v18
	v_or_b32_e32 v11, v19, v17
	;; [unrolled: 1-line block ×4, first 2 shown]
	v_mul_f32_e32 v104, s9, v5
	v_mul_f32_e32 v105, s3, v11
	v_mul_f32_e32 v103, s3, v13
	v_mul_f32_e32 v102, s9, v17
	s_and_saveexec_b32 s12, vcc_lo
	s_cbranch_execz .LBB206_988
; %bb.987:                              ;   in Loop: Header=BB206_546 Depth=1
	v_cmp_gt_i32_e64 s0, s27, v55
	v_cndmask_b32_e64 v105, 0, v105, s0
	v_cmp_gt_i32_e64 s0, s27, v57
	v_cndmask_b32_e64 v104, 0, v104, s0
	;; [unrolled: 2-line block ×4, first 2 shown]
.LBB206_988:                            ;   in Loop: Header=BB206_546 Depth=1
	s_or_b32 exec_lo, exec_lo, s12
	global_load_dword v65, v[15:16], off offset:1664
	v_mov_b32_e32 v19, 0
	v_mov_b32_e32 v17, 0
	;; [unrolled: 1-line block ×4, first 2 shown]
	s_waitcnt vmcnt(0)
	v_cmp_ne_u16_sdwa s0, v65, v6 src0_sel:BYTE_0 src1_sel:DWORD
	s_and_saveexec_b32 s12, s0
	s_cbranch_execz .LBB206_996
; %bb.989:                              ;   in Loop: Header=BB206_546 Depth=1
	v_bfrev_b32_e32 v17, 1
	v_mov_b32_e32 v18, 0
	v_cmp_ne_u16_sdwa s0, v65, v46 src0_sel:BYTE_0 src1_sel:DWORD
	s_and_saveexec_b32 s13, s0
	s_cbranch_execz .LBB206_995
; %bb.990:                              ;   in Loop: Header=BB206_546 Depth=1
	v_mov_b32_e32 v17, 0x7f800001
	v_and_b32_e32 v13, 0x7f, v65
	v_mov_b32_e32 v18, 0
	s_mov_b32 s14, exec_lo
	v_cmpx_ne_u32_e32 0x7f, v13
	s_cbranch_execz .LBB206_994
; %bb.991:                              ;   in Loop: Header=BB206_546 Depth=1
	v_and_b32_e32 v5, 7, v65
	v_lshrrev_b32_e32 v11, 3, v13
	s_mov_b32 s15, exec_lo
	v_cmpx_gt_u32_e32 8, v13
; %bb.992:                              ;   in Loop: Header=BB206_546 Depth=1
	v_ffbh_u32_e32 v11, v5
	v_min_u32_e32 v11, 32, v11
	v_subrev_nc_u32_e32 v13, 28, v11
	v_sub_nc_u32_e32 v11, 29, v11
	v_lshlrev_b64 v[17:18], v13, v[5:6]
	v_and_b32_e32 v5, 7, v17
; %bb.993:                              ;   in Loop: Header=BB206_546 Depth=1
	s_or_b32 exec_lo, exec_lo, s15
	v_lshlrev_b32_e32 v13, 24, v65
	v_lshlrev_b32_e32 v5, 20, v5
	v_lshl_add_u32 v11, v11, 23, 0x3c000000
	v_and_b32_e32 v13, 0x80000000, v13
	v_or3_b32 v5, v5, v13, v11
	v_mov_b32_e32 v18, v6
	v_mov_b32_e32 v17, v5
.LBB206_994:                            ;   in Loop: Header=BB206_546 Depth=1
	s_or_b32 exec_lo, exec_lo, s14
.LBB206_995:                            ;   in Loop: Header=BB206_546 Depth=1
	s_or_b32 exec_lo, exec_lo, s13
.LBB206_996:                            ;   in Loop: Header=BB206_546 Depth=1
	s_or_b32 exec_lo, exec_lo, s12
	v_cmp_ne_u16_sdwa s0, v65, v6 src0_sel:BYTE_1 src1_sel:DWORD
	s_and_saveexec_b32 s12, s0
	s_cbranch_execz .LBB206_1004
; %bb.997:                              ;   in Loop: Header=BB206_546 Depth=1
	v_mov_b32_e32 v11, v6
	v_mov_b32_e32 v20, v12
	v_cmp_ne_u16_sdwa s0, v65, v46 src0_sel:BYTE_1 src1_sel:DWORD
	v_mov_b32_e32 v19, v11
	s_and_saveexec_b32 s13, s0
	s_cbranch_execz .LBB206_1003
; %bb.998:                              ;   in Loop: Header=BB206_546 Depth=1
	v_and_b32_sdwa v5, v47, v65 dst_sel:DWORD dst_unused:UNUSED_PAD src0_sel:DWORD src1_sel:BYTE_1
	v_mov_b32_e32 v13, v6
	v_mov_b32_e32 v20, v14
	s_mov_b32 s14, exec_lo
	v_and_b32_e32 v21, 0x7f, v5
	v_mov_b32_e32 v19, v13
	v_cmpx_ne_u32_e32 0x7f, v21
	s_cbranch_execz .LBB206_1002
; %bb.999:                              ;   in Loop: Header=BB206_546 Depth=1
	v_and_b32_e32 v5, 7, v5
	v_lshrrev_b32_e32 v11, 3, v21
	s_mov_b32 s15, exec_lo
	v_cmpx_gt_u32_e32 8, v21
; %bb.1000:                             ;   in Loop: Header=BB206_546 Depth=1
	v_ffbh_u32_e32 v11, v5
	v_min_u32_e32 v11, 32, v11
	v_subrev_nc_u32_e32 v13, 28, v11
	v_sub_nc_u32_e32 v11, 29, v11
	v_lshlrev_b64 v[19:20], v13, v[5:6]
	v_and_b32_e32 v5, 7, v19
; %bb.1001:                             ;   in Loop: Header=BB206_546 Depth=1
	s_or_b32 exec_lo, exec_lo, s15
	v_lshlrev_b32_e32 v13, 16, v65
	v_lshlrev_b32_e32 v5, 20, v5
	v_lshl_add_u32 v11, v11, 23, 0x3c000000
	v_mov_b32_e32 v19, v6
	v_and_b32_e32 v13, 0x80000000, v13
	v_or3_b32 v20, v5, v13, v11
.LBB206_1002:                           ;   in Loop: Header=BB206_546 Depth=1
	s_or_b32 exec_lo, exec_lo, s14
.LBB206_1003:                           ;   in Loop: Header=BB206_546 Depth=1
	s_or_b32 exec_lo, exec_lo, s13
.LBB206_1004:                           ;   in Loop: Header=BB206_546 Depth=1
	s_or_b32 exec_lo, exec_lo, s12
	v_mov_b32_e32 v23, 0
	v_mov_b32_e32 v21, 0
	v_and_b32_sdwa v5, v65, v48 dst_sel:DWORD dst_unused:UNUSED_PAD src0_sel:WORD_1 src1_sel:DWORD
	v_mov_b32_e32 v24, 0
	v_mov_b32_e32 v22, 0
	s_mov_b32 s12, exec_lo
	v_cmpx_ne_u16_e32 0, v5
	s_cbranch_execz .LBB206_1012
; %bb.1005:                             ;   in Loop: Header=BB206_546 Depth=1
	v_bfrev_b32_e32 v21, 1
	v_mov_b32_e32 v22, 0
	s_mov_b32 s13, exec_lo
	v_cmpx_ne_u16_e32 0x80, v5
	s_cbranch_execz .LBB206_1011
; %bb.1006:                             ;   in Loop: Header=BB206_546 Depth=1
	v_mov_b32_e32 v21, 0x7f800001
	v_bfe_u32 v13, v65, 16, 7
	v_mov_b32_e32 v22, 0
	s_mov_b32 s14, exec_lo
	v_cmpx_ne_u32_e32 0x7f, v13
	s_cbranch_execz .LBB206_1010
; %bb.1007:                             ;   in Loop: Header=BB206_546 Depth=1
	v_and_b32_sdwa v5, v65, v49 dst_sel:DWORD dst_unused:UNUSED_PAD src0_sel:WORD_1 src1_sel:DWORD
	v_lshrrev_b32_e32 v11, 3, v13
	s_mov_b32 s15, exec_lo
	v_cmpx_gt_u32_e32 8, v13
; %bb.1008:                             ;   in Loop: Header=BB206_546 Depth=1
	v_ffbh_u32_e32 v11, v5
	v_min_u32_e32 v11, 32, v11
	v_subrev_nc_u32_e32 v13, 28, v11
	v_sub_nc_u32_e32 v11, 29, v11
	v_lshlrev_b64 v[21:22], v13, v[5:6]
	v_and_b32_e32 v5, 7, v21
; %bb.1009:                             ;   in Loop: Header=BB206_546 Depth=1
	s_or_b32 exec_lo, exec_lo, s15
	v_lshlrev_b32_sdwa v13, v50, v65 dst_sel:DWORD dst_unused:UNUSED_PAD src0_sel:DWORD src1_sel:WORD_1
	v_lshlrev_b32_e32 v5, 20, v5
	v_lshl_add_u32 v11, v11, 23, 0x3c000000
	v_and_b32_e32 v13, 0x80000000, v13
	v_or3_b32 v5, v5, v13, v11
	v_mov_b32_e32 v22, v6
	v_mov_b32_e32 v21, v5
.LBB206_1010:                           ;   in Loop: Header=BB206_546 Depth=1
	s_or_b32 exec_lo, exec_lo, s14
.LBB206_1011:                           ;   in Loop: Header=BB206_546 Depth=1
	s_or_b32 exec_lo, exec_lo, s13
.LBB206_1012:                           ;   in Loop: Header=BB206_546 Depth=1
	s_or_b32 exec_lo, exec_lo, s12
	s_mov_b32 s12, exec_lo
	v_cmpx_lt_u32_e32 0xffffff, v65
	s_cbranch_execz .LBB206_1020
; %bb.1013:                             ;   in Loop: Header=BB206_546 Depth=1
	v_mov_b32_e32 v11, v6
	v_mov_b32_e32 v24, v12
	v_cmp_ne_u32_sdwa s0, v65, v46 src0_sel:BYTE_3 src1_sel:DWORD
	v_mov_b32_e32 v23, v11
	s_and_saveexec_b32 s13, s0
	s_cbranch_execz .LBB206_1019
; %bb.1014:                             ;   in Loop: Header=BB206_546 Depth=1
	v_mov_b32_e32 v13, v6
	v_mov_b32_e32 v24, v14
	v_bfe_u32 v106, v65, 24, 7
	s_mov_b32 s14, exec_lo
	v_mov_b32_e32 v23, v13
	v_cmpx_ne_u32_e32 0x7f, v106
	s_cbranch_execz .LBB206_1018
; %bb.1015:                             ;   in Loop: Header=BB206_546 Depth=1
	v_and_b32_sdwa v5, v65, v49 dst_sel:DWORD dst_unused:UNUSED_PAD src0_sel:BYTE_3 src1_sel:DWORD
	v_lshrrev_b32_e32 v11, 3, v106
	s_mov_b32 s15, exec_lo
	v_cmpx_gt_u32_e32 8, v106
; %bb.1016:                             ;   in Loop: Header=BB206_546 Depth=1
	v_ffbh_u32_e32 v11, v5
	v_min_u32_e32 v11, 32, v11
	v_subrev_nc_u32_e32 v13, 28, v11
	v_sub_nc_u32_e32 v11, 29, v11
	v_lshlrev_b64 v[23:24], v13, v[5:6]
	v_and_b32_e32 v5, 7, v23
; %bb.1017:                             ;   in Loop: Header=BB206_546 Depth=1
	s_or_b32 exec_lo, exec_lo, s15
	v_lshlrev_b32_sdwa v13, v50, v65 dst_sel:DWORD dst_unused:UNUSED_PAD src0_sel:DWORD src1_sel:BYTE_3
	v_lshlrev_b32_e32 v5, 20, v5
	v_lshl_add_u32 v11, v11, 23, 0x3c000000
	v_mov_b32_e32 v23, v6
	v_and_b32_e32 v13, 0x80000000, v13
	v_or3_b32 v24, v5, v13, v11
.LBB206_1018:                           ;   in Loop: Header=BB206_546 Depth=1
	s_or_b32 exec_lo, exec_lo, s14
.LBB206_1019:                           ;   in Loop: Header=BB206_546 Depth=1
	s_or_b32 exec_lo, exec_lo, s13
.LBB206_1020:                           ;   in Loop: Header=BB206_546 Depth=1
	s_or_b32 exec_lo, exec_lo, s12
	v_or_b32_e32 v5, v20, v18
	v_or_b32_e32 v11, v19, v17
	;; [unrolled: 1-line block ×4, first 2 shown]
	v_mul_f32_e32 v108, s9, v5
	v_mul_f32_e32 v109, s3, v11
	;; [unrolled: 1-line block ×4, first 2 shown]
	s_and_saveexec_b32 s12, vcc_lo
	s_cbranch_execz .LBB206_1022
; %bb.1021:                             ;   in Loop: Header=BB206_546 Depth=1
	v_cmp_gt_i32_e64 s0, s27, v55
	v_cndmask_b32_e64 v109, 0, v109, s0
	v_cmp_gt_i32_e64 s0, s27, v57
	v_cndmask_b32_e64 v108, 0, v108, s0
	;; [unrolled: 2-line block ×4, first 2 shown]
.LBB206_1022:                           ;   in Loop: Header=BB206_546 Depth=1
	s_or_b32 exec_lo, exec_lo, s12
	global_load_dword v65, v[15:16], off offset:1792
	v_mov_b32_e32 v19, 0
	v_mov_b32_e32 v17, 0
	;; [unrolled: 1-line block ×4, first 2 shown]
	s_waitcnt vmcnt(0)
	v_cmp_ne_u16_sdwa s0, v65, v6 src0_sel:BYTE_0 src1_sel:DWORD
	s_and_saveexec_b32 s12, s0
	s_cbranch_execz .LBB206_1030
; %bb.1023:                             ;   in Loop: Header=BB206_546 Depth=1
	v_bfrev_b32_e32 v17, 1
	v_mov_b32_e32 v18, 0
	v_cmp_ne_u16_sdwa s0, v65, v46 src0_sel:BYTE_0 src1_sel:DWORD
	s_and_saveexec_b32 s13, s0
	s_cbranch_execz .LBB206_1029
; %bb.1024:                             ;   in Loop: Header=BB206_546 Depth=1
	v_mov_b32_e32 v17, 0x7f800001
	v_and_b32_e32 v13, 0x7f, v65
	v_mov_b32_e32 v18, 0
	s_mov_b32 s14, exec_lo
	v_cmpx_ne_u32_e32 0x7f, v13
	s_cbranch_execz .LBB206_1028
; %bb.1025:                             ;   in Loop: Header=BB206_546 Depth=1
	v_and_b32_e32 v5, 7, v65
	v_lshrrev_b32_e32 v11, 3, v13
	s_mov_b32 s15, exec_lo
	v_cmpx_gt_u32_e32 8, v13
; %bb.1026:                             ;   in Loop: Header=BB206_546 Depth=1
	v_ffbh_u32_e32 v11, v5
	v_min_u32_e32 v11, 32, v11
	v_subrev_nc_u32_e32 v13, 28, v11
	v_sub_nc_u32_e32 v11, 29, v11
	v_lshlrev_b64 v[17:18], v13, v[5:6]
	v_and_b32_e32 v5, 7, v17
; %bb.1027:                             ;   in Loop: Header=BB206_546 Depth=1
	s_or_b32 exec_lo, exec_lo, s15
	v_lshlrev_b32_e32 v13, 24, v65
	v_lshlrev_b32_e32 v5, 20, v5
	v_lshl_add_u32 v11, v11, 23, 0x3c000000
	v_and_b32_e32 v13, 0x80000000, v13
	v_or3_b32 v5, v5, v13, v11
	v_mov_b32_e32 v18, v6
	v_mov_b32_e32 v17, v5
.LBB206_1028:                           ;   in Loop: Header=BB206_546 Depth=1
	s_or_b32 exec_lo, exec_lo, s14
.LBB206_1029:                           ;   in Loop: Header=BB206_546 Depth=1
	s_or_b32 exec_lo, exec_lo, s13
.LBB206_1030:                           ;   in Loop: Header=BB206_546 Depth=1
	s_or_b32 exec_lo, exec_lo, s12
	v_cmp_ne_u16_sdwa s0, v65, v6 src0_sel:BYTE_1 src1_sel:DWORD
	s_and_saveexec_b32 s12, s0
	s_cbranch_execz .LBB206_1038
; %bb.1031:                             ;   in Loop: Header=BB206_546 Depth=1
	v_mov_b32_e32 v11, v6
	v_mov_b32_e32 v20, v12
	v_cmp_ne_u16_sdwa s0, v65, v46 src0_sel:BYTE_1 src1_sel:DWORD
	v_mov_b32_e32 v19, v11
	s_and_saveexec_b32 s13, s0
	s_cbranch_execz .LBB206_1037
; %bb.1032:                             ;   in Loop: Header=BB206_546 Depth=1
	v_and_b32_sdwa v5, v47, v65 dst_sel:DWORD dst_unused:UNUSED_PAD src0_sel:DWORD src1_sel:BYTE_1
	v_mov_b32_e32 v13, v6
	v_mov_b32_e32 v20, v14
	s_mov_b32 s14, exec_lo
	v_and_b32_e32 v21, 0x7f, v5
	v_mov_b32_e32 v19, v13
	v_cmpx_ne_u32_e32 0x7f, v21
	s_cbranch_execz .LBB206_1036
; %bb.1033:                             ;   in Loop: Header=BB206_546 Depth=1
	v_and_b32_e32 v5, 7, v5
	v_lshrrev_b32_e32 v11, 3, v21
	s_mov_b32 s15, exec_lo
	v_cmpx_gt_u32_e32 8, v21
; %bb.1034:                             ;   in Loop: Header=BB206_546 Depth=1
	v_ffbh_u32_e32 v11, v5
	v_min_u32_e32 v11, 32, v11
	v_subrev_nc_u32_e32 v13, 28, v11
	v_sub_nc_u32_e32 v11, 29, v11
	v_lshlrev_b64 v[19:20], v13, v[5:6]
	v_and_b32_e32 v5, 7, v19
; %bb.1035:                             ;   in Loop: Header=BB206_546 Depth=1
	s_or_b32 exec_lo, exec_lo, s15
	v_lshlrev_b32_e32 v13, 16, v65
	v_lshlrev_b32_e32 v5, 20, v5
	v_lshl_add_u32 v11, v11, 23, 0x3c000000
	v_mov_b32_e32 v19, v6
	v_and_b32_e32 v13, 0x80000000, v13
	v_or3_b32 v20, v5, v13, v11
.LBB206_1036:                           ;   in Loop: Header=BB206_546 Depth=1
	s_or_b32 exec_lo, exec_lo, s14
.LBB206_1037:                           ;   in Loop: Header=BB206_546 Depth=1
	s_or_b32 exec_lo, exec_lo, s13
.LBB206_1038:                           ;   in Loop: Header=BB206_546 Depth=1
	s_or_b32 exec_lo, exec_lo, s12
	v_mov_b32_e32 v23, 0
	v_mov_b32_e32 v21, 0
	v_and_b32_sdwa v5, v65, v48 dst_sel:DWORD dst_unused:UNUSED_PAD src0_sel:WORD_1 src1_sel:DWORD
	v_mov_b32_e32 v24, 0
	v_mov_b32_e32 v22, 0
	s_mov_b32 s12, exec_lo
	v_cmpx_ne_u16_e32 0, v5
	s_cbranch_execz .LBB206_1046
; %bb.1039:                             ;   in Loop: Header=BB206_546 Depth=1
	v_bfrev_b32_e32 v21, 1
	v_mov_b32_e32 v22, 0
	s_mov_b32 s13, exec_lo
	v_cmpx_ne_u16_e32 0x80, v5
	s_cbranch_execz .LBB206_1045
; %bb.1040:                             ;   in Loop: Header=BB206_546 Depth=1
	v_mov_b32_e32 v21, 0x7f800001
	v_bfe_u32 v13, v65, 16, 7
	v_mov_b32_e32 v22, 0
	s_mov_b32 s14, exec_lo
	v_cmpx_ne_u32_e32 0x7f, v13
	s_cbranch_execz .LBB206_1044
; %bb.1041:                             ;   in Loop: Header=BB206_546 Depth=1
	v_and_b32_sdwa v5, v65, v49 dst_sel:DWORD dst_unused:UNUSED_PAD src0_sel:WORD_1 src1_sel:DWORD
	v_lshrrev_b32_e32 v11, 3, v13
	s_mov_b32 s15, exec_lo
	v_cmpx_gt_u32_e32 8, v13
; %bb.1042:                             ;   in Loop: Header=BB206_546 Depth=1
	v_ffbh_u32_e32 v11, v5
	v_min_u32_e32 v11, 32, v11
	v_subrev_nc_u32_e32 v13, 28, v11
	v_sub_nc_u32_e32 v11, 29, v11
	v_lshlrev_b64 v[21:22], v13, v[5:6]
	v_and_b32_e32 v5, 7, v21
; %bb.1043:                             ;   in Loop: Header=BB206_546 Depth=1
	s_or_b32 exec_lo, exec_lo, s15
	v_lshlrev_b32_sdwa v13, v50, v65 dst_sel:DWORD dst_unused:UNUSED_PAD src0_sel:DWORD src1_sel:WORD_1
	v_lshlrev_b32_e32 v5, 20, v5
	v_lshl_add_u32 v11, v11, 23, 0x3c000000
	v_and_b32_e32 v13, 0x80000000, v13
	v_or3_b32 v5, v5, v13, v11
	v_mov_b32_e32 v22, v6
	v_mov_b32_e32 v21, v5
.LBB206_1044:                           ;   in Loop: Header=BB206_546 Depth=1
	s_or_b32 exec_lo, exec_lo, s14
.LBB206_1045:                           ;   in Loop: Header=BB206_546 Depth=1
	s_or_b32 exec_lo, exec_lo, s13
.LBB206_1046:                           ;   in Loop: Header=BB206_546 Depth=1
	s_or_b32 exec_lo, exec_lo, s12
	s_mov_b32 s12, exec_lo
	v_cmpx_lt_u32_e32 0xffffff, v65
	s_cbranch_execz .LBB206_1054
; %bb.1047:                             ;   in Loop: Header=BB206_546 Depth=1
	v_mov_b32_e32 v11, v6
	v_mov_b32_e32 v24, v12
	v_cmp_ne_u32_sdwa s0, v65, v46 src0_sel:BYTE_3 src1_sel:DWORD
	v_mov_b32_e32 v23, v11
	s_and_saveexec_b32 s13, s0
	s_cbranch_execz .LBB206_1053
; %bb.1048:                             ;   in Loop: Header=BB206_546 Depth=1
	v_mov_b32_e32 v13, v6
	v_mov_b32_e32 v24, v14
	v_bfe_u32 v110, v65, 24, 7
	s_mov_b32 s14, exec_lo
	v_mov_b32_e32 v23, v13
	v_cmpx_ne_u32_e32 0x7f, v110
	s_cbranch_execz .LBB206_1052
; %bb.1049:                             ;   in Loop: Header=BB206_546 Depth=1
	v_and_b32_sdwa v5, v65, v49 dst_sel:DWORD dst_unused:UNUSED_PAD src0_sel:BYTE_3 src1_sel:DWORD
	v_lshrrev_b32_e32 v11, 3, v110
	s_mov_b32 s15, exec_lo
	v_cmpx_gt_u32_e32 8, v110
; %bb.1050:                             ;   in Loop: Header=BB206_546 Depth=1
	v_ffbh_u32_e32 v11, v5
	v_min_u32_e32 v11, 32, v11
	v_subrev_nc_u32_e32 v13, 28, v11
	v_sub_nc_u32_e32 v11, 29, v11
	v_lshlrev_b64 v[23:24], v13, v[5:6]
	v_and_b32_e32 v5, 7, v23
; %bb.1051:                             ;   in Loop: Header=BB206_546 Depth=1
	s_or_b32 exec_lo, exec_lo, s15
	v_lshlrev_b32_sdwa v13, v50, v65 dst_sel:DWORD dst_unused:UNUSED_PAD src0_sel:DWORD src1_sel:BYTE_3
	v_lshlrev_b32_e32 v5, 20, v5
	v_lshl_add_u32 v11, v11, 23, 0x3c000000
	v_mov_b32_e32 v23, v6
	v_and_b32_e32 v13, 0x80000000, v13
	v_or3_b32 v24, v5, v13, v11
.LBB206_1052:                           ;   in Loop: Header=BB206_546 Depth=1
	s_or_b32 exec_lo, exec_lo, s14
.LBB206_1053:                           ;   in Loop: Header=BB206_546 Depth=1
	s_or_b32 exec_lo, exec_lo, s13
.LBB206_1054:                           ;   in Loop: Header=BB206_546 Depth=1
	s_or_b32 exec_lo, exec_lo, s12
	v_or_b32_e32 v5, v20, v18
	v_or_b32_e32 v11, v19, v17
	v_or_b32_e32 v13, v23, v21
	v_or_b32_e32 v17, v24, v22
	v_mul_f32_e32 v65, s9, v5
	v_mul_f32_e32 v110, s3, v11
	;; [unrolled: 1-line block ×4, first 2 shown]
	s_and_saveexec_b32 s12, vcc_lo
	s_cbranch_execz .LBB206_1056
; %bb.1055:                             ;   in Loop: Header=BB206_546 Depth=1
	v_cmp_gt_i32_e64 s0, s27, v55
	v_cndmask_b32_e64 v110, 0, v110, s0
	v_cmp_gt_i32_e64 s0, s27, v57
	v_cndmask_b32_e64 v65, 0, v65, s0
	;; [unrolled: 2-line block ×4, first 2 shown]
.LBB206_1056:                           ;   in Loop: Header=BB206_546 Depth=1
	s_or_b32 exec_lo, exec_lo, s12
	global_load_dword v111, v[15:16], off offset:1920
	v_mov_b32_e32 v17, 0
	v_mov_b32_e32 v15, 0
	;; [unrolled: 1-line block ×4, first 2 shown]
	s_waitcnt vmcnt(0)
	v_cmp_ne_u16_sdwa s0, v111, v6 src0_sel:BYTE_0 src1_sel:DWORD
	s_and_saveexec_b32 s12, s0
	s_cbranch_execz .LBB206_1064
; %bb.1057:                             ;   in Loop: Header=BB206_546 Depth=1
	v_bfrev_b32_e32 v15, 1
	v_mov_b32_e32 v16, 0
	v_cmp_ne_u16_sdwa s0, v111, v46 src0_sel:BYTE_0 src1_sel:DWORD
	s_and_saveexec_b32 s13, s0
	s_cbranch_execz .LBB206_1063
; %bb.1058:                             ;   in Loop: Header=BB206_546 Depth=1
	v_mov_b32_e32 v15, 0x7f800001
	v_and_b32_e32 v13, 0x7f, v111
	v_mov_b32_e32 v16, 0
	s_mov_b32 s14, exec_lo
	v_cmpx_ne_u32_e32 0x7f, v13
	s_cbranch_execz .LBB206_1062
; %bb.1059:                             ;   in Loop: Header=BB206_546 Depth=1
	v_and_b32_e32 v5, 7, v111
	v_lshrrev_b32_e32 v11, 3, v13
	s_mov_b32 s15, exec_lo
	v_cmpx_gt_u32_e32 8, v13
; %bb.1060:                             ;   in Loop: Header=BB206_546 Depth=1
	v_ffbh_u32_e32 v11, v5
	v_min_u32_e32 v11, 32, v11
	v_subrev_nc_u32_e32 v13, 28, v11
	v_sub_nc_u32_e32 v11, 29, v11
	v_lshlrev_b64 v[15:16], v13, v[5:6]
	v_and_b32_e32 v5, 7, v15
; %bb.1061:                             ;   in Loop: Header=BB206_546 Depth=1
	s_or_b32 exec_lo, exec_lo, s15
	v_lshlrev_b32_e32 v13, 24, v111
	v_lshlrev_b32_e32 v5, 20, v5
	v_lshl_add_u32 v11, v11, 23, 0x3c000000
	v_and_b32_e32 v13, 0x80000000, v13
	v_or3_b32 v5, v5, v13, v11
	v_mov_b32_e32 v16, v6
	v_mov_b32_e32 v15, v5
.LBB206_1062:                           ;   in Loop: Header=BB206_546 Depth=1
	s_or_b32 exec_lo, exec_lo, s14
.LBB206_1063:                           ;   in Loop: Header=BB206_546 Depth=1
	s_or_b32 exec_lo, exec_lo, s13
.LBB206_1064:                           ;   in Loop: Header=BB206_546 Depth=1
	s_or_b32 exec_lo, exec_lo, s12
	v_cmp_ne_u16_sdwa s0, v111, v6 src0_sel:BYTE_1 src1_sel:DWORD
	s_and_saveexec_b32 s12, s0
	s_cbranch_execz .LBB206_1072
; %bb.1065:                             ;   in Loop: Header=BB206_546 Depth=1
	v_mov_b32_e32 v11, v6
	v_mov_b32_e32 v18, v12
	v_cmp_ne_u16_sdwa s0, v111, v46 src0_sel:BYTE_1 src1_sel:DWORD
	v_mov_b32_e32 v17, v11
	s_and_saveexec_b32 s13, s0
	s_cbranch_execz .LBB206_1071
; %bb.1066:                             ;   in Loop: Header=BB206_546 Depth=1
	v_and_b32_sdwa v5, v47, v111 dst_sel:DWORD dst_unused:UNUSED_PAD src0_sel:DWORD src1_sel:BYTE_1
	v_mov_b32_e32 v13, v6
	v_mov_b32_e32 v18, v14
	s_mov_b32 s14, exec_lo
	v_and_b32_e32 v19, 0x7f, v5
	v_mov_b32_e32 v17, v13
	v_cmpx_ne_u32_e32 0x7f, v19
	s_cbranch_execz .LBB206_1070
; %bb.1067:                             ;   in Loop: Header=BB206_546 Depth=1
	v_and_b32_e32 v5, 7, v5
	v_lshrrev_b32_e32 v11, 3, v19
	s_mov_b32 s15, exec_lo
	v_cmpx_gt_u32_e32 8, v19
; %bb.1068:                             ;   in Loop: Header=BB206_546 Depth=1
	v_ffbh_u32_e32 v11, v5
	v_min_u32_e32 v11, 32, v11
	v_subrev_nc_u32_e32 v13, 28, v11
	v_sub_nc_u32_e32 v11, 29, v11
	v_lshlrev_b64 v[17:18], v13, v[5:6]
	v_and_b32_e32 v5, 7, v17
; %bb.1069:                             ;   in Loop: Header=BB206_546 Depth=1
	s_or_b32 exec_lo, exec_lo, s15
	v_lshlrev_b32_e32 v13, 16, v111
	v_lshlrev_b32_e32 v5, 20, v5
	v_lshl_add_u32 v11, v11, 23, 0x3c000000
	v_mov_b32_e32 v17, v6
	v_and_b32_e32 v13, 0x80000000, v13
	v_or3_b32 v18, v5, v13, v11
.LBB206_1070:                           ;   in Loop: Header=BB206_546 Depth=1
	s_or_b32 exec_lo, exec_lo, s14
.LBB206_1071:                           ;   in Loop: Header=BB206_546 Depth=1
	s_or_b32 exec_lo, exec_lo, s13
.LBB206_1072:                           ;   in Loop: Header=BB206_546 Depth=1
	s_or_b32 exec_lo, exec_lo, s12
	v_mov_b32_e32 v21, 0
	v_mov_b32_e32 v19, 0
	v_and_b32_sdwa v5, v111, v48 dst_sel:DWORD dst_unused:UNUSED_PAD src0_sel:WORD_1 src1_sel:DWORD
	v_mov_b32_e32 v22, 0
	v_mov_b32_e32 v20, 0
	s_mov_b32 s12, exec_lo
	v_cmpx_ne_u16_e32 0, v5
	s_cbranch_execz .LBB206_1080
; %bb.1073:                             ;   in Loop: Header=BB206_546 Depth=1
	v_bfrev_b32_e32 v19, 1
	v_mov_b32_e32 v20, 0
	s_mov_b32 s13, exec_lo
	v_cmpx_ne_u16_e32 0x80, v5
	s_cbranch_execz .LBB206_1079
; %bb.1074:                             ;   in Loop: Header=BB206_546 Depth=1
	v_mov_b32_e32 v19, 0x7f800001
	v_bfe_u32 v13, v111, 16, 7
	v_mov_b32_e32 v20, 0
	s_mov_b32 s14, exec_lo
	v_cmpx_ne_u32_e32 0x7f, v13
	s_cbranch_execz .LBB206_1078
; %bb.1075:                             ;   in Loop: Header=BB206_546 Depth=1
	v_and_b32_sdwa v5, v111, v49 dst_sel:DWORD dst_unused:UNUSED_PAD src0_sel:WORD_1 src1_sel:DWORD
	v_lshrrev_b32_e32 v11, 3, v13
	s_mov_b32 s15, exec_lo
	v_cmpx_gt_u32_e32 8, v13
; %bb.1076:                             ;   in Loop: Header=BB206_546 Depth=1
	v_ffbh_u32_e32 v11, v5
	v_min_u32_e32 v11, 32, v11
	v_subrev_nc_u32_e32 v13, 28, v11
	v_sub_nc_u32_e32 v11, 29, v11
	v_lshlrev_b64 v[19:20], v13, v[5:6]
	v_and_b32_e32 v5, 7, v19
; %bb.1077:                             ;   in Loop: Header=BB206_546 Depth=1
	s_or_b32 exec_lo, exec_lo, s15
	v_lshlrev_b32_sdwa v13, v50, v111 dst_sel:DWORD dst_unused:UNUSED_PAD src0_sel:DWORD src1_sel:WORD_1
	v_lshlrev_b32_e32 v5, 20, v5
	v_lshl_add_u32 v11, v11, 23, 0x3c000000
	v_and_b32_e32 v13, 0x80000000, v13
	v_or3_b32 v5, v5, v13, v11
	v_mov_b32_e32 v20, v6
	v_mov_b32_e32 v19, v5
.LBB206_1078:                           ;   in Loop: Header=BB206_546 Depth=1
	s_or_b32 exec_lo, exec_lo, s14
.LBB206_1079:                           ;   in Loop: Header=BB206_546 Depth=1
	s_or_b32 exec_lo, exec_lo, s13
.LBB206_1080:                           ;   in Loop: Header=BB206_546 Depth=1
	s_or_b32 exec_lo, exec_lo, s12
	s_mov_b32 s12, exec_lo
	v_cmpx_lt_u32_e32 0xffffff, v111
	s_cbranch_execz .LBB206_1088
; %bb.1081:                             ;   in Loop: Header=BB206_546 Depth=1
	v_mov_b32_e32 v11, v6
	v_mov_b32_e32 v22, v12
	v_cmp_ne_u32_sdwa s0, v111, v46 src0_sel:BYTE_3 src1_sel:DWORD
	v_mov_b32_e32 v21, v11
	s_and_saveexec_b32 s13, s0
	s_cbranch_execz .LBB206_1087
; %bb.1082:                             ;   in Loop: Header=BB206_546 Depth=1
	v_mov_b32_e32 v13, v6
	v_mov_b32_e32 v22, v14
	v_bfe_u32 v112, v111, 24, 7
	s_mov_b32 s14, exec_lo
	v_mov_b32_e32 v21, v13
	v_cmpx_ne_u32_e32 0x7f, v112
	s_cbranch_execz .LBB206_1086
; %bb.1083:                             ;   in Loop: Header=BB206_546 Depth=1
	v_and_b32_sdwa v5, v111, v49 dst_sel:DWORD dst_unused:UNUSED_PAD src0_sel:BYTE_3 src1_sel:DWORD
	v_lshrrev_b32_e32 v11, 3, v112
	s_mov_b32 s15, exec_lo
	v_cmpx_gt_u32_e32 8, v112
; %bb.1084:                             ;   in Loop: Header=BB206_546 Depth=1
	v_ffbh_u32_e32 v11, v5
	v_min_u32_e32 v11, 32, v11
	v_subrev_nc_u32_e32 v13, 28, v11
	v_sub_nc_u32_e32 v11, 29, v11
	v_lshlrev_b64 v[21:22], v13, v[5:6]
	v_and_b32_e32 v5, 7, v21
; %bb.1085:                             ;   in Loop: Header=BB206_546 Depth=1
	s_or_b32 exec_lo, exec_lo, s15
	v_lshlrev_b32_sdwa v13, v50, v111 dst_sel:DWORD dst_unused:UNUSED_PAD src0_sel:DWORD src1_sel:BYTE_3
	v_lshlrev_b32_e32 v5, 20, v5
	v_lshl_add_u32 v11, v11, 23, 0x3c000000
	v_mov_b32_e32 v21, v6
	v_and_b32_e32 v13, 0x80000000, v13
	v_or3_b32 v22, v5, v13, v11
.LBB206_1086:                           ;   in Loop: Header=BB206_546 Depth=1
	s_or_b32 exec_lo, exec_lo, s14
.LBB206_1087:                           ;   in Loop: Header=BB206_546 Depth=1
	s_or_b32 exec_lo, exec_lo, s13
.LBB206_1088:                           ;   in Loop: Header=BB206_546 Depth=1
	s_or_b32 exec_lo, exec_lo, s12
	v_or_b32_e32 v5, v18, v16
	v_or_b32_e32 v11, v17, v15
	;; [unrolled: 1-line block ×4, first 2 shown]
	v_mul_f32_e32 v13, s9, v5
	v_mul_f32_e32 v15, s3, v11
	;; [unrolled: 1-line block ×4, first 2 shown]
	s_and_saveexec_b32 s0, vcc_lo
	s_cbranch_execz .LBB206_545
; %bb.1089:                             ;   in Loop: Header=BB206_546 Depth=1
	v_cmp_gt_i32_e32 vcc_lo, s27, v55
	v_cndmask_b32_e32 v15, 0, v15, vcc_lo
	v_cmp_gt_i32_e32 vcc_lo, s27, v57
	v_cndmask_b32_e32 v13, 0, v13, vcc_lo
	;; [unrolled: 2-line block ×4, first 2 shown]
	s_branch .LBB206_545
.LBB206_1090:
	s_or_b32 exec_lo, exec_lo, s6
	v_mov_b32_e32 v44, v113
	v_mov_b32_e32 v45, v114
.LBB206_1091:
	s_or_b32 exec_lo, exec_lo, s1
	ds_bpermute_b32 v0, v26, v41
	ds_bpermute_b32 v1, v26, v43
	;; [unrolled: 1-line block ×16, first 2 shown]
	v_lshrrev_b32_e32 v16, 1, v25
	v_and_b32_e32 v19, 0x3c1, v44
	v_lshlrev_b32_e32 v18, 10, v45
	s_mov_b32 s0, exec_lo
	s_waitcnt lgkmcnt(15)
	v_add_f32_e32 v0, v41, v0
	s_waitcnt lgkmcnt(14)
	v_add_f32_e32 v1, v43, v1
	;; [unrolled: 2-line block ×16, first 2 shown]
	v_lshl_add_u32 v17, v16, 2, 0x420
	s_waitcnt_vscnt null, 0x0
	s_barrier
	buffer_gl0_inv
	v_cmpx_eq_u32_e32 64, v19
	s_cbranch_execz .LBB206_1093
; %bb.1092:
	v_add_nc_u32_e32 v19, v17, v18
	v_add_nc_u32_e32 v20, 0xfffff800, v19
	;; [unrolled: 1-line block ×7, first 2 shown]
	ds_write_b32 v20, v0
	ds_write_b32 v21, v1
	;; [unrolled: 1-line block ×6, first 2 shown]
	v_add_nc_u32_e32 v20, 0xfffff980, v19
	v_add_nc_u32_e32 v21, 0xfffff9c0, v19
	v_add_nc_u32_e32 v22, 0xfffffa00, v19
	v_add_nc_u32_e32 v23, 0xfffffa40, v19
	v_add_nc_u32_e32 v24, 0xfffffa80, v19
	ds_write_b32 v20, v6
	ds_write_b32 v21, v7
	;; [unrolled: 1-line block ×5, first 2 shown]
	v_add_nc_u32_e32 v20, 0xfffffac0, v19
	v_add_nc_u32_e32 v21, 0xfffffb00, v19
	;; [unrolled: 1-line block ×5, first 2 shown]
	ds_write_b32 v20, v11
	ds_write_b32 v21, v12
	;; [unrolled: 1-line block ×5, first 2 shown]
.LBB206_1093:
	s_or_b32 exec_lo, exec_lo, s0
	v_lshlrev_b32_e32 v16, 2, v16
	s_mov_b32 s1, exec_lo
	v_cmp_eq_u32_e32 vcc_lo, 0, v27
	s_waitcnt lgkmcnt(0)
	s_barrier
	v_add3_u32 v16, 0x420, v18, v16
	buffer_gl0_inv
	v_cmpx_gt_u32_e32 64, v44
	s_cbranch_execz .LBB206_1112
; %bb.1094:
	s_and_saveexec_b32 s0, vcc_lo
	s_cbranch_execnz .LBB206_1136
; %bb.1095:
	s_or_b32 exec_lo, exec_lo, s0
	s_and_saveexec_b32 s0, vcc_lo
	s_cbranch_execnz .LBB206_1137
.LBB206_1096:
	s_or_b32 exec_lo, exec_lo, s0
	s_and_saveexec_b32 s0, vcc_lo
	s_cbranch_execnz .LBB206_1138
.LBB206_1097:
	s_or_b32 exec_lo, exec_lo, s0
	s_and_saveexec_b32 s0, vcc_lo
	s_cbranch_execnz .LBB206_1139
.LBB206_1098:
	s_or_b32 exec_lo, exec_lo, s0
	s_and_saveexec_b32 s0, vcc_lo
	s_cbranch_execnz .LBB206_1140
.LBB206_1099:
	s_or_b32 exec_lo, exec_lo, s0
	s_and_saveexec_b32 s0, vcc_lo
	s_cbranch_execnz .LBB206_1141
.LBB206_1100:
	s_or_b32 exec_lo, exec_lo, s0
	s_and_saveexec_b32 s0, vcc_lo
	s_cbranch_execnz .LBB206_1142
.LBB206_1101:
	s_or_b32 exec_lo, exec_lo, s0
	s_and_saveexec_b32 s0, vcc_lo
	s_cbranch_execnz .LBB206_1143
.LBB206_1102:
	s_or_b32 exec_lo, exec_lo, s0
	s_and_saveexec_b32 s0, vcc_lo
	s_cbranch_execnz .LBB206_1144
.LBB206_1103:
	s_or_b32 exec_lo, exec_lo, s0
	s_and_saveexec_b32 s0, vcc_lo
	s_cbranch_execnz .LBB206_1145
.LBB206_1104:
	s_or_b32 exec_lo, exec_lo, s0
	s_and_saveexec_b32 s0, vcc_lo
	s_cbranch_execnz .LBB206_1146
.LBB206_1105:
	s_or_b32 exec_lo, exec_lo, s0
	s_and_saveexec_b32 s0, vcc_lo
	s_cbranch_execnz .LBB206_1147
.LBB206_1106:
	s_or_b32 exec_lo, exec_lo, s0
	s_and_saveexec_b32 s0, vcc_lo
	s_cbranch_execnz .LBB206_1148
.LBB206_1107:
	s_or_b32 exec_lo, exec_lo, s0
	s_and_saveexec_b32 s0, vcc_lo
	s_cbranch_execnz .LBB206_1149
.LBB206_1108:
	s_or_b32 exec_lo, exec_lo, s0
	s_and_saveexec_b32 s0, vcc_lo
	s_cbranch_execnz .LBB206_1150
.LBB206_1109:
	s_or_b32 exec_lo, exec_lo, s0
	s_and_saveexec_b32 s0, vcc_lo
	s_cbranch_execz .LBB206_1111
.LBB206_1110:
	ds_read_b32 v18, v16 offset:960
	s_waitcnt lgkmcnt(0)
	v_add_f32_e32 v15, v15, v18
.LBB206_1111:
	s_or_b32 exec_lo, exec_lo, s0
.LBB206_1112:
	s_or_b32 exec_lo, exec_lo, s1
	v_and_b32_e32 v18, 0x3e1, v44
	s_mov_b32 s1, exec_lo
	s_barrier
	buffer_gl0_inv
	v_cmpx_eq_u32_e32 32, v18
	s_cbranch_execz .LBB206_1114
; %bb.1113:
	ds_write2_b32 v17, v0, v1 offset1:16
	ds_write2_b32 v17, v2, v3 offset0:32 offset1:48
	ds_write2_b32 v17, v4, v5 offset0:64 offset1:80
	;; [unrolled: 1-line block ×7, first 2 shown]
.LBB206_1114:
	s_or_b32 exec_lo, exec_lo, s1
	s_mov_b32 s1, exec_lo
	s_waitcnt lgkmcnt(0)
	s_barrier
	buffer_gl0_inv
	v_cmpx_gt_u32_e32 32, v44
	s_cbranch_execz .LBB206_1133
; %bb.1115:
	s_and_saveexec_b32 s0, vcc_lo
	s_cbranch_execnz .LBB206_1151
; %bb.1116:
	s_or_b32 exec_lo, exec_lo, s0
	s_and_saveexec_b32 s0, vcc_lo
	s_cbranch_execnz .LBB206_1152
.LBB206_1117:
	s_or_b32 exec_lo, exec_lo, s0
	s_and_saveexec_b32 s0, vcc_lo
	s_cbranch_execnz .LBB206_1153
.LBB206_1118:
	s_or_b32 exec_lo, exec_lo, s0
	s_and_saveexec_b32 s0, vcc_lo
	s_cbranch_execnz .LBB206_1154
.LBB206_1119:
	s_or_b32 exec_lo, exec_lo, s0
	s_and_saveexec_b32 s0, vcc_lo
	s_cbranch_execnz .LBB206_1155
.LBB206_1120:
	s_or_b32 exec_lo, exec_lo, s0
	s_and_saveexec_b32 s0, vcc_lo
	s_cbranch_execnz .LBB206_1156
.LBB206_1121:
	s_or_b32 exec_lo, exec_lo, s0
	s_and_saveexec_b32 s0, vcc_lo
	s_cbranch_execnz .LBB206_1157
.LBB206_1122:
	s_or_b32 exec_lo, exec_lo, s0
	s_and_saveexec_b32 s0, vcc_lo
	s_cbranch_execnz .LBB206_1158
.LBB206_1123:
	s_or_b32 exec_lo, exec_lo, s0
	s_and_saveexec_b32 s0, vcc_lo
	s_cbranch_execnz .LBB206_1159
.LBB206_1124:
	s_or_b32 exec_lo, exec_lo, s0
	s_and_saveexec_b32 s0, vcc_lo
	s_cbranch_execnz .LBB206_1160
.LBB206_1125:
	s_or_b32 exec_lo, exec_lo, s0
	s_and_saveexec_b32 s0, vcc_lo
	s_cbranch_execnz .LBB206_1161
.LBB206_1126:
	s_or_b32 exec_lo, exec_lo, s0
	s_and_saveexec_b32 s0, vcc_lo
	s_cbranch_execnz .LBB206_1162
.LBB206_1127:
	s_or_b32 exec_lo, exec_lo, s0
	s_and_saveexec_b32 s0, vcc_lo
	s_cbranch_execnz .LBB206_1163
.LBB206_1128:
	s_or_b32 exec_lo, exec_lo, s0
	s_and_saveexec_b32 s0, vcc_lo
	s_cbranch_execnz .LBB206_1164
.LBB206_1129:
	s_or_b32 exec_lo, exec_lo, s0
	s_and_saveexec_b32 s0, vcc_lo
	s_cbranch_execnz .LBB206_1165
.LBB206_1130:
	s_or_b32 exec_lo, exec_lo, s0
	s_and_saveexec_b32 s0, vcc_lo
	s_cbranch_execz .LBB206_1132
.LBB206_1131:
	ds_read_b32 v16, v16 offset:960
	s_waitcnt lgkmcnt(0)
	v_add_f32_e32 v15, v15, v16
.LBB206_1132:
	s_or_b32 exec_lo, exec_lo, s0
.LBB206_1133:
	s_or_b32 exec_lo, exec_lo, s1
	s_barrier
	buffer_gl0_inv
	s_mov_b32 s0, exec_lo
	v_cmpx_eq_u32_e32 0, v18
	s_cbranch_execz .LBB206_1135
; %bb.1134:
	s_lshl_b32 s0, s2, 8
	s_mul_i32 s2, s7, s10
	s_ashr_i32 s1, s0, 31
	v_lshlrev_b32_e32 v16, 1, v44
	s_lshl_b64 s[0:1], s[0:1], 2
	s_add_u32 s4, s24, s0
	s_addc_u32 s5, s25, s1
	s_ashr_i32 s3, s2, 31
	s_lshl_b64 s[0:1], s[2:3], 2
	s_add_u32 s2, s4, s0
	s_addc_u32 s3, s5, s1
	s_lshl_b32 s0, s8, 8
	s_ashr_i32 s1, s0, 31
	s_lshl_b64 s[0:1], s[0:1], 2
	s_add_u32 s0, s2, s0
	s_addc_u32 s1, s3, s1
	global_store_dword v16, v0, s[0:1]
	global_store_dword v16, v1, s[0:1] offset:64
	global_store_dword v16, v2, s[0:1] offset:128
	;; [unrolled: 1-line block ×15, first 2 shown]
.LBB206_1135:
	s_endpgm
.LBB206_1136:
	ds_read_b32 v18, v16
	s_waitcnt lgkmcnt(0)
	v_add_f32_e32 v0, v0, v18
	s_or_b32 exec_lo, exec_lo, s0
	s_and_saveexec_b32 s0, vcc_lo
	s_cbranch_execz .LBB206_1096
.LBB206_1137:
	ds_read_b32 v18, v16 offset:64
	s_waitcnt lgkmcnt(0)
	v_add_f32_e32 v1, v1, v18
	s_or_b32 exec_lo, exec_lo, s0
	s_and_saveexec_b32 s0, vcc_lo
	s_cbranch_execz .LBB206_1097
.LBB206_1138:
	ds_read_b32 v18, v16 offset:128
	s_waitcnt lgkmcnt(0)
	v_add_f32_e32 v2, v2, v18
	s_or_b32 exec_lo, exec_lo, s0
	s_and_saveexec_b32 s0, vcc_lo
	s_cbranch_execz .LBB206_1098
.LBB206_1139:
	ds_read_b32 v18, v16 offset:192
	s_waitcnt lgkmcnt(0)
	v_add_f32_e32 v3, v3, v18
	s_or_b32 exec_lo, exec_lo, s0
	s_and_saveexec_b32 s0, vcc_lo
	s_cbranch_execz .LBB206_1099
.LBB206_1140:
	ds_read_b32 v18, v16 offset:256
	s_waitcnt lgkmcnt(0)
	v_add_f32_e32 v4, v4, v18
	s_or_b32 exec_lo, exec_lo, s0
	s_and_saveexec_b32 s0, vcc_lo
	s_cbranch_execz .LBB206_1100
.LBB206_1141:
	ds_read_b32 v18, v16 offset:320
	s_waitcnt lgkmcnt(0)
	v_add_f32_e32 v5, v5, v18
	s_or_b32 exec_lo, exec_lo, s0
	s_and_saveexec_b32 s0, vcc_lo
	s_cbranch_execz .LBB206_1101
.LBB206_1142:
	ds_read_b32 v18, v16 offset:384
	s_waitcnt lgkmcnt(0)
	v_add_f32_e32 v6, v6, v18
	s_or_b32 exec_lo, exec_lo, s0
	s_and_saveexec_b32 s0, vcc_lo
	s_cbranch_execz .LBB206_1102
.LBB206_1143:
	ds_read_b32 v18, v16 offset:448
	s_waitcnt lgkmcnt(0)
	v_add_f32_e32 v7, v7, v18
	s_or_b32 exec_lo, exec_lo, s0
	s_and_saveexec_b32 s0, vcc_lo
	s_cbranch_execz .LBB206_1103
.LBB206_1144:
	ds_read_b32 v18, v16 offset:512
	s_waitcnt lgkmcnt(0)
	v_add_f32_e32 v8, v8, v18
	s_or_b32 exec_lo, exec_lo, s0
	s_and_saveexec_b32 s0, vcc_lo
	s_cbranch_execz .LBB206_1104
.LBB206_1145:
	ds_read_b32 v18, v16 offset:576
	s_waitcnt lgkmcnt(0)
	v_add_f32_e32 v9, v9, v18
	s_or_b32 exec_lo, exec_lo, s0
	s_and_saveexec_b32 s0, vcc_lo
	s_cbranch_execz .LBB206_1105
.LBB206_1146:
	ds_read_b32 v18, v16 offset:640
	s_waitcnt lgkmcnt(0)
	v_add_f32_e32 v10, v10, v18
	s_or_b32 exec_lo, exec_lo, s0
	s_and_saveexec_b32 s0, vcc_lo
	s_cbranch_execz .LBB206_1106
.LBB206_1147:
	ds_read_b32 v18, v16 offset:704
	s_waitcnt lgkmcnt(0)
	v_add_f32_e32 v11, v11, v18
	s_or_b32 exec_lo, exec_lo, s0
	s_and_saveexec_b32 s0, vcc_lo
	s_cbranch_execz .LBB206_1107
.LBB206_1148:
	ds_read_b32 v18, v16 offset:768
	s_waitcnt lgkmcnt(0)
	v_add_f32_e32 v12, v12, v18
	s_or_b32 exec_lo, exec_lo, s0
	s_and_saveexec_b32 s0, vcc_lo
	s_cbranch_execz .LBB206_1108
.LBB206_1149:
	ds_read_b32 v18, v16 offset:832
	s_waitcnt lgkmcnt(0)
	v_add_f32_e32 v13, v13, v18
	s_or_b32 exec_lo, exec_lo, s0
	s_and_saveexec_b32 s0, vcc_lo
	s_cbranch_execz .LBB206_1109
.LBB206_1150:
	ds_read_b32 v18, v16 offset:896
	s_waitcnt lgkmcnt(0)
	v_add_f32_e32 v14, v14, v18
	s_or_b32 exec_lo, exec_lo, s0
	s_and_saveexec_b32 s0, vcc_lo
	s_cbranch_execnz .LBB206_1110
	s_branch .LBB206_1111
.LBB206_1151:
	ds_read_b32 v17, v16
	s_waitcnt lgkmcnt(0)
	v_add_f32_e32 v0, v0, v17
	s_or_b32 exec_lo, exec_lo, s0
	s_and_saveexec_b32 s0, vcc_lo
	s_cbranch_execz .LBB206_1117
.LBB206_1152:
	ds_read_b32 v17, v16 offset:64
	s_waitcnt lgkmcnt(0)
	v_add_f32_e32 v1, v1, v17
	s_or_b32 exec_lo, exec_lo, s0
	s_and_saveexec_b32 s0, vcc_lo
	s_cbranch_execz .LBB206_1118
.LBB206_1153:
	ds_read_b32 v17, v16 offset:128
	s_waitcnt lgkmcnt(0)
	v_add_f32_e32 v2, v2, v17
	s_or_b32 exec_lo, exec_lo, s0
	s_and_saveexec_b32 s0, vcc_lo
	s_cbranch_execz .LBB206_1119
.LBB206_1154:
	ds_read_b32 v17, v16 offset:192
	s_waitcnt lgkmcnt(0)
	v_add_f32_e32 v3, v3, v17
	s_or_b32 exec_lo, exec_lo, s0
	s_and_saveexec_b32 s0, vcc_lo
	s_cbranch_execz .LBB206_1120
.LBB206_1155:
	ds_read_b32 v17, v16 offset:256
	s_waitcnt lgkmcnt(0)
	v_add_f32_e32 v4, v4, v17
	s_or_b32 exec_lo, exec_lo, s0
	s_and_saveexec_b32 s0, vcc_lo
	s_cbranch_execz .LBB206_1121
.LBB206_1156:
	ds_read_b32 v17, v16 offset:320
	s_waitcnt lgkmcnt(0)
	v_add_f32_e32 v5, v5, v17
	s_or_b32 exec_lo, exec_lo, s0
	s_and_saveexec_b32 s0, vcc_lo
	s_cbranch_execz .LBB206_1122
.LBB206_1157:
	ds_read_b32 v17, v16 offset:384
	s_waitcnt lgkmcnt(0)
	v_add_f32_e32 v6, v6, v17
	s_or_b32 exec_lo, exec_lo, s0
	s_and_saveexec_b32 s0, vcc_lo
	s_cbranch_execz .LBB206_1123
.LBB206_1158:
	ds_read_b32 v17, v16 offset:448
	s_waitcnt lgkmcnt(0)
	v_add_f32_e32 v7, v7, v17
	s_or_b32 exec_lo, exec_lo, s0
	s_and_saveexec_b32 s0, vcc_lo
	s_cbranch_execz .LBB206_1124
.LBB206_1159:
	ds_read_b32 v17, v16 offset:512
	s_waitcnt lgkmcnt(0)
	v_add_f32_e32 v8, v8, v17
	s_or_b32 exec_lo, exec_lo, s0
	s_and_saveexec_b32 s0, vcc_lo
	s_cbranch_execz .LBB206_1125
.LBB206_1160:
	ds_read_b32 v17, v16 offset:576
	s_waitcnt lgkmcnt(0)
	v_add_f32_e32 v9, v9, v17
	s_or_b32 exec_lo, exec_lo, s0
	s_and_saveexec_b32 s0, vcc_lo
	s_cbranch_execz .LBB206_1126
.LBB206_1161:
	ds_read_b32 v17, v16 offset:640
	s_waitcnt lgkmcnt(0)
	v_add_f32_e32 v10, v10, v17
	s_or_b32 exec_lo, exec_lo, s0
	s_and_saveexec_b32 s0, vcc_lo
	s_cbranch_execz .LBB206_1127
.LBB206_1162:
	ds_read_b32 v17, v16 offset:704
	s_waitcnt lgkmcnt(0)
	v_add_f32_e32 v11, v11, v17
	s_or_b32 exec_lo, exec_lo, s0
	s_and_saveexec_b32 s0, vcc_lo
	s_cbranch_execz .LBB206_1128
.LBB206_1163:
	ds_read_b32 v17, v16 offset:768
	s_waitcnt lgkmcnt(0)
	v_add_f32_e32 v12, v12, v17
	s_or_b32 exec_lo, exec_lo, s0
	s_and_saveexec_b32 s0, vcc_lo
	s_cbranch_execz .LBB206_1129
.LBB206_1164:
	ds_read_b32 v17, v16 offset:832
	s_waitcnt lgkmcnt(0)
	v_add_f32_e32 v13, v13, v17
	s_or_b32 exec_lo, exec_lo, s0
	s_and_saveexec_b32 s0, vcc_lo
	s_cbranch_execz .LBB206_1130
.LBB206_1165:
	ds_read_b32 v17, v16 offset:896
	s_waitcnt lgkmcnt(0)
	v_add_f32_e32 v14, v14, v17
	s_or_b32 exec_lo, exec_lo, s0
	s_and_saveexec_b32 s0, vcc_lo
	s_cbranch_execnz .LBB206_1131
	s_branch .LBB206_1132
	.section	.rodata,"a",@progbits
	.p2align	6, 0x0
	.amdhsa_kernel _ZN4vllm25paged_attention_v2_kernelIfhLi256ELi8ELi128ELNS_18Fp8KVCacheDataTypeE1ELb0ELi512EEEvPfS2_PT_PKS3_PKT0_S9_ifPKiSB_iPKfiiiSD_SD_iiiii
		.amdhsa_group_segment_fixed_size 1056
		.amdhsa_private_segment_fixed_size 104
		.amdhsa_kernarg_size 400
		.amdhsa_user_sgpr_count 6
		.amdhsa_user_sgpr_private_segment_buffer 1
		.amdhsa_user_sgpr_dispatch_ptr 0
		.amdhsa_user_sgpr_queue_ptr 0
		.amdhsa_user_sgpr_kernarg_segment_ptr 1
		.amdhsa_user_sgpr_dispatch_id 0
		.amdhsa_user_sgpr_flat_scratch_init 0
		.amdhsa_user_sgpr_private_segment_size 0
		.amdhsa_wavefront_size32 1
		.amdhsa_uses_dynamic_stack 0
		.amdhsa_system_sgpr_private_segment_wavefront_offset 1
		.amdhsa_system_sgpr_workgroup_id_x 1
		.amdhsa_system_sgpr_workgroup_id_y 1
		.amdhsa_system_sgpr_workgroup_id_z 1
		.amdhsa_system_sgpr_workgroup_info 0
		.amdhsa_system_vgpr_workitem_id 0
		.amdhsa_next_free_vgpr 128
		.amdhsa_next_free_sgpr 48
		.amdhsa_reserve_vcc 1
		.amdhsa_reserve_flat_scratch 0
		.amdhsa_float_round_mode_32 0
		.amdhsa_float_round_mode_16_64 0
		.amdhsa_float_denorm_mode_32 3
		.amdhsa_float_denorm_mode_16_64 3
		.amdhsa_dx10_clamp 1
		.amdhsa_ieee_mode 1
		.amdhsa_fp16_overflow 0
		.amdhsa_workgroup_processor_mode 1
		.amdhsa_memory_ordered 1
		.amdhsa_forward_progress 1
		.amdhsa_shared_vgpr_count 0
		.amdhsa_exception_fp_ieee_invalid_op 0
		.amdhsa_exception_fp_denorm_src 0
		.amdhsa_exception_fp_ieee_div_zero 0
		.amdhsa_exception_fp_ieee_overflow 0
		.amdhsa_exception_fp_ieee_underflow 0
		.amdhsa_exception_fp_ieee_inexact 0
		.amdhsa_exception_int_div_zero 0
	.end_amdhsa_kernel
	.section	.text._ZN4vllm25paged_attention_v2_kernelIfhLi256ELi8ELi128ELNS_18Fp8KVCacheDataTypeE1ELb0ELi512EEEvPfS2_PT_PKS3_PKT0_S9_ifPKiSB_iPKfiiiSD_SD_iiiii,"axG",@progbits,_ZN4vllm25paged_attention_v2_kernelIfhLi256ELi8ELi128ELNS_18Fp8KVCacheDataTypeE1ELb0ELi512EEEvPfS2_PT_PKS3_PKT0_S9_ifPKiSB_iPKfiiiSD_SD_iiiii,comdat
.Lfunc_end206:
	.size	_ZN4vllm25paged_attention_v2_kernelIfhLi256ELi8ELi128ELNS_18Fp8KVCacheDataTypeE1ELb0ELi512EEEvPfS2_PT_PKS3_PKT0_S9_ifPKiSB_iPKfiiiSD_SD_iiiii, .Lfunc_end206-_ZN4vllm25paged_attention_v2_kernelIfhLi256ELi8ELi128ELNS_18Fp8KVCacheDataTypeE1ELb0ELi512EEEvPfS2_PT_PKS3_PKT0_S9_ifPKiSB_iPKfiiiSD_SD_iiiii
                                        ; -- End function
	.set _ZN4vllm25paged_attention_v2_kernelIfhLi256ELi8ELi128ELNS_18Fp8KVCacheDataTypeE1ELb0ELi512EEEvPfS2_PT_PKS3_PKT0_S9_ifPKiSB_iPKfiiiSD_SD_iiiii.num_vgpr, 128
	.set _ZN4vllm25paged_attention_v2_kernelIfhLi256ELi8ELi128ELNS_18Fp8KVCacheDataTypeE1ELb0ELi512EEEvPfS2_PT_PKS3_PKT0_S9_ifPKiSB_iPKfiiiSD_SD_iiiii.num_agpr, 0
	.set _ZN4vllm25paged_attention_v2_kernelIfhLi256ELi8ELi128ELNS_18Fp8KVCacheDataTypeE1ELb0ELi512EEEvPfS2_PT_PKS3_PKT0_S9_ifPKiSB_iPKfiiiSD_SD_iiiii.numbered_sgpr, 48
	.set _ZN4vllm25paged_attention_v2_kernelIfhLi256ELi8ELi128ELNS_18Fp8KVCacheDataTypeE1ELb0ELi512EEEvPfS2_PT_PKS3_PKT0_S9_ifPKiSB_iPKfiiiSD_SD_iiiii.num_named_barrier, 0
	.set _ZN4vllm25paged_attention_v2_kernelIfhLi256ELi8ELi128ELNS_18Fp8KVCacheDataTypeE1ELb0ELi512EEEvPfS2_PT_PKS3_PKT0_S9_ifPKiSB_iPKfiiiSD_SD_iiiii.private_seg_size, 104
	.set _ZN4vllm25paged_attention_v2_kernelIfhLi256ELi8ELi128ELNS_18Fp8KVCacheDataTypeE1ELb0ELi512EEEvPfS2_PT_PKS3_PKT0_S9_ifPKiSB_iPKfiiiSD_SD_iiiii.uses_vcc, 1
	.set _ZN4vllm25paged_attention_v2_kernelIfhLi256ELi8ELi128ELNS_18Fp8KVCacheDataTypeE1ELb0ELi512EEEvPfS2_PT_PKS3_PKT0_S9_ifPKiSB_iPKfiiiSD_SD_iiiii.uses_flat_scratch, 0
	.set _ZN4vllm25paged_attention_v2_kernelIfhLi256ELi8ELi128ELNS_18Fp8KVCacheDataTypeE1ELb0ELi512EEEvPfS2_PT_PKS3_PKT0_S9_ifPKiSB_iPKfiiiSD_SD_iiiii.has_dyn_sized_stack, 0
	.set _ZN4vllm25paged_attention_v2_kernelIfhLi256ELi8ELi128ELNS_18Fp8KVCacheDataTypeE1ELb0ELi512EEEvPfS2_PT_PKS3_PKT0_S9_ifPKiSB_iPKfiiiSD_SD_iiiii.has_recursion, 0
	.set _ZN4vllm25paged_attention_v2_kernelIfhLi256ELi8ELi128ELNS_18Fp8KVCacheDataTypeE1ELb0ELi512EEEvPfS2_PT_PKS3_PKT0_S9_ifPKiSB_iPKfiiiSD_SD_iiiii.has_indirect_call, 0
	.section	.AMDGPU.csdata,"",@progbits
; Kernel info:
; codeLenInByte = 32616
; TotalNumSgprs: 50
; NumVgprs: 128
; ScratchSize: 104
; MemoryBound: 0
; FloatMode: 240
; IeeeMode: 1
; LDSByteSize: 1056 bytes/workgroup (compile time only)
; SGPRBlocks: 0
; VGPRBlocks: 15
; NumSGPRsForWavesPerEU: 50
; NumVGPRsForWavesPerEU: 128
; Occupancy: 8
; WaveLimiterHint : 1
; COMPUTE_PGM_RSRC2:SCRATCH_EN: 1
; COMPUTE_PGM_RSRC2:USER_SGPR: 6
; COMPUTE_PGM_RSRC2:TRAP_HANDLER: 0
; COMPUTE_PGM_RSRC2:TGID_X_EN: 1
; COMPUTE_PGM_RSRC2:TGID_Y_EN: 1
; COMPUTE_PGM_RSRC2:TGID_Z_EN: 1
; COMPUTE_PGM_RSRC2:TIDIG_COMP_CNT: 0
	.section	.text._ZN4vllm25paged_attention_v2_kernelIfhLi32ELi16ELi128ELNS_18Fp8KVCacheDataTypeE1ELb1ELi512EEEvPfS2_PT_PKS3_PKT0_S9_ifPKiSB_iPKfiiiSD_SD_iiiii,"axG",@progbits,_ZN4vllm25paged_attention_v2_kernelIfhLi32ELi16ELi128ELNS_18Fp8KVCacheDataTypeE1ELb1ELi512EEEvPfS2_PT_PKS3_PKT0_S9_ifPKiSB_iPKfiiiSD_SD_iiiii,comdat
	.protected	_ZN4vllm25paged_attention_v2_kernelIfhLi32ELi16ELi128ELNS_18Fp8KVCacheDataTypeE1ELb1ELi512EEEvPfS2_PT_PKS3_PKT0_S9_ifPKiSB_iPKfiiiSD_SD_iiiii ; -- Begin function _ZN4vllm25paged_attention_v2_kernelIfhLi32ELi16ELi128ELNS_18Fp8KVCacheDataTypeE1ELb1ELi512EEEvPfS2_PT_PKS3_PKT0_S9_ifPKiSB_iPKfiiiSD_SD_iiiii
	.globl	_ZN4vllm25paged_attention_v2_kernelIfhLi32ELi16ELi128ELNS_18Fp8KVCacheDataTypeE1ELb1ELi512EEEvPfS2_PT_PKS3_PKT0_S9_ifPKiSB_iPKfiiiSD_SD_iiiii
	.p2align	8
	.type	_ZN4vllm25paged_attention_v2_kernelIfhLi32ELi16ELi128ELNS_18Fp8KVCacheDataTypeE1ELb1ELi512EEEvPfS2_PT_PKS3_PKT0_S9_ifPKiSB_iPKfiiiSD_SD_iiiii,@function
_ZN4vllm25paged_attention_v2_kernelIfhLi32ELi16ELi128ELNS_18Fp8KVCacheDataTypeE1ELb1ELi512EEEvPfS2_PT_PKS3_PKT0_S9_ifPKiSB_iPKfiiiSD_SD_iiiii: ; @_ZN4vllm25paged_attention_v2_kernelIfhLi32ELi16ELi128ELNS_18Fp8KVCacheDataTypeE1ELb1ELi512EEEvPfS2_PT_PKS3_PKT0_S9_ifPKiSB_iPKfiiiSD_SD_iiiii
; %bb.0:
	s_load_dwordx2 s[0:1], s[4:5], 0x40
	s_mov_b32 s30, s7
	s_ashr_i32 s31, s7, 31
	s_lshl_b64 s[2:3], s[30:31], 2
	s_waitcnt lgkmcnt(0)
	s_add_u32 s0, s0, s2
	s_addc_u32 s1, s1, s3
	s_lshl_b32 s42, s8, 9
	s_load_dword s31, s[0:1], 0x0
	s_waitcnt lgkmcnt(0)
	s_cmp_ge_i32 s42, s31
	s_cbranch_scc1 .LBB207_328
; %bb.1:
	s_clause 0x1
	s_load_dword s9, s[4:5], 0x90
	s_load_dwordx2 s[40:41], s[4:5], 0x30
	s_mov_b32 s44, 0
	s_waitcnt lgkmcnt(0)
	s_abs_i32 s3, s9
	s_abs_i32 s0, s40
	v_cvt_f32_u32_e32 v1, s0
	s_sub_i32 s2, 0, s0
	v_rcp_iflag_f32_e32 v1, v1
	v_mul_f32_e32 v1, 0x4f7ffffe, v1
	v_cvt_u32_f32_e32 v1, v1
	v_readfirstlane_b32 s1, v1
	s_mul_i32 s2, s2, s1
	s_mul_hi_u32 s2, s1, s2
	s_add_i32 s1, s1, s2
	s_xor_b32 s2, s9, s40
	s_mul_hi_u32 s1, s3, s1
	s_ashr_i32 s2, s2, 31
	s_mul_i32 s7, s1, s0
	s_sub_i32 s3, s3, s7
	s_add_i32 s7, s1, 1
	s_sub_i32 s10, s3, s0
	s_cmp_ge_u32 s3, s0
	s_cselect_b32 s1, s7, s1
	s_cselect_b32 s3, s10, s3
	s_add_i32 s7, s1, 1
	s_cmp_ge_u32 s3, s0
	s_cselect_b32 s0, s7, s1
	s_xor_b32 s0, s0, s2
	s_sub_i32 s10, s0, s2
	s_load_dwordx2 s[0:1], s[4:5], 0x50
	s_abs_i32 s2, s10
	v_cvt_f32_u32_e32 v1, s2
	s_sub_i32 s3, 0, s2
	v_rcp_iflag_f32_e32 v1, v1
	v_mul_f32_e32 v1, 0x4f7ffffe, v1
	v_cvt_u32_f32_e32 v1, v1
	v_readfirstlane_b32 s7, v1
	s_mul_i32 s3, s3, s7
	s_mul_hi_u32 s11, s7, s3
	s_abs_i32 s3, s6
	s_add_i32 s7, s7, s11
	s_waitcnt lgkmcnt(0)
	s_cmp_eq_u64 s[0:1], 0
	s_mul_hi_u32 s12, s3, s7
	s_cbranch_scc1 .LBB207_3
; %bb.2:
	s_ashr_i32 s7, s6, 31
	s_lshl_b64 s[14:15], s[6:7], 2
	s_add_u32 s0, s0, s14
	s_addc_u32 s1, s1, s15
	s_load_dword s44, s[0:1], 0x0
.LBB207_3:
	s_load_dwordx4 s[16:19], s[4:5], 0x58
	v_and_b32_e32 v1, 1, v0
	v_lshlrev_b32_e32 v63, 2, v0
	s_ashr_i32 s0, s6, 31
	s_ashr_i32 s1, s10, 31
	s_lshl_b32 s10, s6, 5
	s_mov_b32 s7, exec_lo
	v_cmpx_gt_u32_e32 16, v0
	s_cbranch_execz .LBB207_5
; %bb.4:
	s_load_dwordx2 s[14:15], s[4:5], 0x18
	s_waitcnt lgkmcnt(0)
	s_mul_i32 s20, s16, s30
	v_lshlrev_b32_e32 v2, 3, v0
	s_ashr_i32 s21, s20, 31
	v_and_b32_e32 v4, 0xff8, v63
	s_lshl_b64 s[20:21], s[20:21], 2
	v_lshl_add_u32 v4, v1, 6, v4
	s_add_u32 s13, s14, s20
	s_addc_u32 s16, s15, s21
	s_ashr_i32 s11, s10, 31
	s_lshl_b64 s[14:15], s[10:11], 2
	s_add_u32 s14, s13, s14
	s_addc_u32 s15, s16, s15
	global_load_dwordx2 v[2:3], v2, s[14:15]
	s_waitcnt vmcnt(0)
	ds_write_b64 v4, v[2:3]
.LBB207_5:
	s_or_b32 exec_lo, exec_lo, s7
	s_load_dwordx4 s[20:23], s[4:5], 0x78
	s_mul_i32 s7, s12, s2
	s_xor_b32 s0, s0, s1
	s_sub_i32 s1, s3, s7
	s_add_i32 s3, s12, 1
	s_sub_i32 s7, s1, s2
	s_cmp_ge_u32 s1, s2
                                        ; implicit-def: $sgpr33
	s_cselect_b32 s3, s3, s12
	s_cselect_b32 s1, s7, s1
	s_add_i32 s7, s3, 1
	s_cmp_ge_u32 s1, s2
	s_mov_b32 s12, -1
	s_cselect_b32 s1, s7, s3
	s_load_dword s3, s[4:5], 0x88
	s_xor_b32 s1, s1, s0
	s_add_i32 s7, s31, -1
	s_sub_i32 s1, s1, s0
	s_abs_i32 s2, s7
	s_waitcnt lgkmcnt(0)
	s_abs_i32 s11, s23
	s_barrier
	v_cvt_f32_u32_e32 v2, s11
	s_sub_i32 s0, 0, s11
	buffer_gl0_inv
	v_rcp_iflag_f32_e32 v2, v2
	v_mul_f32_e32 v2, 0x4f7ffffe, v2
	v_cvt_u32_f32_e32 v2, v2
	v_readfirstlane_b32 s19, v2
	s_mul_i32 s0, s0, s19
	s_mul_hi_u32 s0, s19, s0
	s_add_i32 s19, s19, s0
	s_cmp_lt_i32 s3, 0
	s_mul_hi_u32 s0, s2, s19
	s_cbranch_scc0 .LBB207_7
; %bb.6:
	s_mul_i32 s12, s20, s40
	s_add_i32 s12, s1, s12
	s_mul_i32 s12, s12, s3
	s_sub_i32 s33, 1, s12
	s_mov_b32 s12, 0
.LBB207_7:
	s_load_dwordx2 s[34:35], s[4:5], 0x38
	s_ashr_i32 s16, s7, 31
	s_andn2_b32 vcc_lo, exec_lo, s12
	s_ashr_i32 s23, s23, 31
	s_cbranch_vccnz .LBB207_9
; %bb.8:
	s_mul_i32 s7, s9, s20
	s_add_i32 s7, s7, s6
	s_mul_i32 s3, s7, s3
	s_add_i32 s33, s3, 1
.LBB207_9:
	s_clause 0x5
	s_load_dword s3, s[4:5], 0x48
	s_load_dwordx2 s[38:39], s[4:5], 0x28
	s_load_dwordx4 s[24:27], s[4:5], 0x0
	s_load_dwordx2 s[28:29], s[4:5], 0x10
	s_load_dword s7, s[4:5], 0x98
	s_load_dwordx4 s[12:15], s[4:5], 0x68
	s_xor_b32 s43, s16, s23
	s_mul_i32 s16, s0, s11
	s_add_i32 s20, s0, 1
	s_sub_i32 s2, s2, s16
	v_lshrrev_b32_e32 v61, 5, v0
	v_mov_b32_e32 v65, 0xff7fffff
	v_mbcnt_lo_u32_b32 v64, -1, 0
	s_mul_i32 s18, s1, s18
	v_lshl_add_u32 v62, v61, 4, s42
	s_waitcnt lgkmcnt(0)
	s_mul_i32 s36, s3, s30
	s_sub_i32 s3, s2, s11
	s_ashr_i32 s37, s36, 31
	s_cmp_ge_u32 s2, s11
	s_cselect_b32 s0, s20, s0
	s_cselect_b32 s2, s3, s2
	s_add_i32 s3, s0, 1
	s_cmp_ge_u32 s2, s11
	s_cselect_b32 s0, s3, s0
	s_add_i32 s2, s31, 15
	s_lshl_b32 s16, s8, 5
	s_ashr_i32 s3, s2, 31
	v_or_b32_e32 v17, s16, v61
	s_lshr_b32 s3, s3, 28
	s_add_i32 s2, s2, s3
	s_add_i32 s3, s16, 32
	s_ashr_i32 s40, s2, 4
	s_xor_b32 s2, s0, s43
	s_min_i32 s20, s3, s40
	v_ashrrev_i32_e32 v18, 31, v17
	v_cmp_gt_i32_e64 s0, s20, v17
	s_sub_i32 s43, s2, s43
	s_and_saveexec_b32 s45, s0
	s_cbranch_execz .LBB207_149
; %bb.10:
	s_load_dwordx2 s[2:3], s[4:5], 0x20
	s_sub_i32 s4, s43, s21
	s_ashr_i32 s1, s18, 31
	v_bfe_u32 v66, v0, 1, 4
	v_cmp_eq_u32_e32 vcc_lo, 0, v1
	v_lshlrev_b32_e32 v3, 1, v1
	v_lshlrev_b32_e32 v67, 6, v1
	v_mov_b32_e32 v20, 0
	v_lshlrev_b32_e32 v5, 2, v66
	v_subrev_nc_u32_e32 v6, s31, v66
	v_lshlrev_b32_e32 v7, 4, v66
	v_lshl_add_u32 v68, v61, 4, s42
	v_mov_b32_e32 v69, 0xff7fffff
	v_lshl_or_b32 v5, v61, 6, v5
	v_add_nc_u32_e32 v72, 1, v6
	v_mov_b32_e32 v70, 0x80
	v_bfrev_b32_e32 v22, 1
	v_mov_b32_e32 v71, 0xffff
	v_add_nc_u32_e32 v73, 0xa0, v5
	v_mov_b32_e32 v24, 0x7f800001
	s_waitcnt lgkmcnt(0)
	s_add_u32 s46, s2, s18
	s_addc_u32 s47, s3, s1
	s_abs_i32 s5, s22
	v_add_co_u32 v6, s46, s46, v7
	v_cvt_f32_u32_e32 v2, s5
	s_sub_i32 s2, 0, s5
	v_add_co_ci_u32_e64 v7, null, s47, 0, s46
	v_cmp_neq_f32_e64 s1, s44, 0
	v_rcp_iflag_f32_e32 v4, v2
	v_lshlrev_b64 v[1:2], 2, v[17:18]
	v_mov_b32_e32 v65, 0xff7fffff
	v_mov_b32_e32 v75, v17
	s_mov_b32 s46, 0
	s_mov_b32 s47, s17
	v_mul_f32_e32 v4, 0x4f7ffffe, v4
	v_cvt_u32_f32_e32 v4, v4
	v_mul_lo_u32 v5, s2, v4
	s_lshl_b64 s[2:3], s[36:37], 2
	s_add_u32 s2, s34, s2
	s_addc_u32 s3, s35, s3
	v_add_co_u32 v25, s2, s2, v1
	v_add_co_ci_u32_e64 v26, null, s3, v2, s2
	v_mul_hi_u32 v5, v4, v5
	v_add_co_u32 v27, s2, v6, v3
	v_add_co_ci_u32_e64 v28, null, 0, v7, s2
	v_add_nc_u32_e32 v74, v4, v5
	s_branch .LBB207_13
.LBB207_11:                             ;   in Loop: Header=BB207_13 Depth=1
	s_or_b32 exec_lo, exec_lo, s48
.LBB207_12:                             ;   in Loop: Header=BB207_13 Depth=1
	s_or_b32 exec_lo, exec_lo, s3
	v_add_nc_u32_e32 v75, 4, v75
	v_add_co_u32 v25, s3, v25, 16
	v_add_co_ci_u32_e64 v26, null, 0, v26, s3
	v_cmp_le_i32_e64 s2, s20, v75
	v_add_nc_u32_e32 v68, 64, v68
	v_add_nc_u32_e32 v73, 0x100, v73
	s_or_b32 s46, s2, s46
	s_andn2_b32 exec_lo, exec_lo, s46
	s_cbranch_execz .LBB207_148
.LBB207_13:                             ; =>This Inner Loop Header: Depth=1
	v_sub_nc_u32_e32 v1, 0, v68
	v_max_i32_e32 v1, v68, v1
	s_waitcnt lgkmcnt(0)
	v_mul_hi_u32 v2, v1, s19
	v_mul_lo_u32 v3, v2, s11
	v_sub_nc_u32_e32 v1, v1, v3
	v_add_nc_u32_e32 v3, 1, v2
	v_subrev_nc_u32_e32 v4, s11, v1
	v_cmp_le_u32_e64 s2, s11, v1
	v_cndmask_b32_e64 v2, v2, v3, s2
	v_cndmask_b32_e64 v1, v1, v4, s2
	v_ashrrev_i32_e32 v3, 31, v68
	v_add_nc_u32_e32 v4, 1, v2
	v_cmp_le_u32_e64 s2, s11, v1
	v_xor_b32_e32 v3, s23, v3
	v_cndmask_b32_e64 v1, v2, v4, s2
	v_xor_b32_e32 v1, v1, v3
	v_sub_nc_u32_e32 v1, v1, v3
	v_add_nc_u32_e32 v2, s33, v1
	v_cmp_ge_i32_e64 s3, s4, v1
	v_sub_nc_u32_e32 v3, 0, v2
	v_max_i32_e32 v3, v2, v3
	v_ashrrev_i32_e32 v2, 31, v2
	v_mul_hi_u32 v4, v3, v74
	v_mul_lo_u32 v4, v4, s5
	v_sub_nc_u32_e32 v3, v3, v4
	v_subrev_nc_u32_e32 v4, s5, v3
	v_cmp_le_u32_e64 s2, s5, v3
	v_cndmask_b32_e64 v3, v3, v4, s2
	v_subrev_nc_u32_e32 v4, s5, v3
	v_cmp_le_u32_e64 s2, s5, v3
	v_cndmask_b32_e64 v3, v3, v4, s2
	v_xor_b32_e32 v3, v3, v2
	v_sub_nc_u32_e32 v2, v3, v2
	v_cmp_ne_u32_e64 s2, 0, v2
	s_and_b32 s2, s2, s3
	s_and_saveexec_b32 s3, s2
	s_xor_b32 s2, exec_lo, s3
	s_cbranch_execz .LBB207_17
; %bb.14:                               ;   in Loop: Header=BB207_13 Depth=1
	s_and_saveexec_b32 s3, vcc_lo
; %bb.15:                               ;   in Loop: Header=BB207_13 Depth=1
	ds_write_b32 v73, v69
; %bb.16:                               ;   in Loop: Header=BB207_13 Depth=1
	s_or_b32 exec_lo, exec_lo, s3
.LBB207_17:                             ;   in Loop: Header=BB207_13 Depth=1
	s_andn2_saveexec_b32 s3, s2
	s_cbranch_execz .LBB207_12
; %bb.18:                               ;   in Loop: Header=BB207_13 Depth=1
	global_load_dword v1, v[25:26], off
	v_mov_b32_e32 v31, 0
	v_mov_b32_e32 v29, 0
	;; [unrolled: 1-line block ×4, first 2 shown]
	s_waitcnt vmcnt(0)
	v_mad_i64_i32 v[33:34], null, v1, s47, v[27:28]
	global_load_ushort v19, v[33:34], off
	ds_read_b128 v[13:16], v67
	ds_read_b128 v[9:12], v67 offset:16
	ds_read_b128 v[5:8], v67 offset:32
	;; [unrolled: 1-line block ×3, first 2 shown]
	s_load_dword s48, s[12:13], 0x0
	s_waitcnt vmcnt(0)
	v_and_b32_e32 v35, 0xffff, v19
	v_cmp_ne_u16_sdwa s2, v19, v20 src0_sel:BYTE_0 src1_sel:DWORD
	s_and_saveexec_b32 s49, s2
	s_cbranch_execz .LBB207_26
; %bb.19:                               ;   in Loop: Header=BB207_13 Depth=1
	v_bfrev_b32_e32 v29, 1
	v_mov_b32_e32 v30, 0
	v_cmp_ne_u16_sdwa s2, v35, v70 src0_sel:BYTE_0 src1_sel:DWORD
	s_and_saveexec_b32 s50, s2
	s_cbranch_execz .LBB207_25
; %bb.20:                               ;   in Loop: Header=BB207_13 Depth=1
	v_mov_b32_e32 v29, 0x7f800001
	v_and_b32_e32 v23, 0x7f, v35
	v_mov_b32_e32 v30, 0
	s_mov_b32 s51, exec_lo
	v_cmpx_ne_u32_e32 0x7f, v23
	s_cbranch_execz .LBB207_24
; %bb.21:                               ;   in Loop: Header=BB207_13 Depth=1
	v_and_b32_e32 v19, 7, v35
	v_lshrrev_b32_e32 v21, 3, v23
	s_mov_b32 s52, exec_lo
	v_cmpx_gt_u32_e32 8, v23
; %bb.22:                               ;   in Loop: Header=BB207_13 Depth=1
	v_ffbh_u32_e32 v21, v19
	v_min_u32_e32 v21, 32, v21
	v_subrev_nc_u32_e32 v23, 28, v21
	v_sub_nc_u32_e32 v21, 29, v21
	v_lshlrev_b64 v[29:30], v23, v[19:20]
	v_and_b32_e32 v19, 7, v29
; %bb.23:                               ;   in Loop: Header=BB207_13 Depth=1
	s_or_b32 exec_lo, exec_lo, s52
	v_lshlrev_b32_e32 v23, 24, v35
	v_lshlrev_b32_e32 v19, 20, v19
	v_lshl_add_u32 v21, v21, 23, 0x3c000000
	v_and_b32_e32 v23, 0x80000000, v23
	v_or3_b32 v19, v19, v23, v21
	v_mov_b32_e32 v30, v20
	v_mov_b32_e32 v29, v19
.LBB207_24:                             ;   in Loop: Header=BB207_13 Depth=1
	s_or_b32 exec_lo, exec_lo, s51
.LBB207_25:                             ;   in Loop: Header=BB207_13 Depth=1
	s_or_b32 exec_lo, exec_lo, s50
.LBB207_26:                             ;   in Loop: Header=BB207_13 Depth=1
	s_or_b32 exec_lo, exec_lo, s49
	v_cmp_ne_u16_sdwa s2, v35, v20 src0_sel:BYTE_1 src1_sel:DWORD
	s_and_saveexec_b32 s49, s2
	s_cbranch_execz .LBB207_34
; %bb.27:                               ;   in Loop: Header=BB207_13 Depth=1
	v_mov_b32_e32 v21, v20
	v_mov_b32_e32 v32, v22
	v_cmp_ne_u16_sdwa s2, v35, v70 src0_sel:BYTE_1 src1_sel:DWORD
	v_mov_b32_e32 v31, v21
	s_and_saveexec_b32 s50, s2
	s_cbranch_execz .LBB207_33
; %bb.28:                               ;   in Loop: Header=BB207_13 Depth=1
	v_and_b32_sdwa v19, v71, v35 dst_sel:DWORD dst_unused:UNUSED_PAD src0_sel:DWORD src1_sel:BYTE_1
	v_mov_b32_e32 v23, v20
	v_mov_b32_e32 v32, v24
	s_mov_b32 s51, exec_lo
	v_and_b32_e32 v36, 0x7f, v19
	v_mov_b32_e32 v31, v23
	v_cmpx_ne_u32_e32 0x7f, v36
	s_cbranch_execz .LBB207_32
; %bb.29:                               ;   in Loop: Header=BB207_13 Depth=1
	v_and_b32_e32 v19, 7, v19
	v_lshrrev_b32_e32 v21, 3, v36
	s_mov_b32 s52, exec_lo
	v_cmpx_gt_u32_e32 8, v36
; %bb.30:                               ;   in Loop: Header=BB207_13 Depth=1
	v_ffbh_u32_e32 v21, v19
	v_min_u32_e32 v21, 32, v21
	v_subrev_nc_u32_e32 v23, 28, v21
	v_sub_nc_u32_e32 v21, 29, v21
	v_lshlrev_b64 v[31:32], v23, v[19:20]
	v_and_b32_e32 v19, 7, v31
; %bb.31:                               ;   in Loop: Header=BB207_13 Depth=1
	s_or_b32 exec_lo, exec_lo, s52
	v_lshlrev_b32_e32 v23, 16, v35
	v_lshlrev_b32_e32 v19, 20, v19
	v_lshl_add_u32 v21, v21, 23, 0x3c000000
	v_mov_b32_e32 v31, v20
	v_and_b32_e32 v23, 0x80000000, v23
	v_or3_b32 v32, v19, v23, v21
.LBB207_32:                             ;   in Loop: Header=BB207_13 Depth=1
	s_or_b32 exec_lo, exec_lo, s51
.LBB207_33:                             ;   in Loop: Header=BB207_13 Depth=1
	s_or_b32 exec_lo, exec_lo, s50
.LBB207_34:                             ;   in Loop: Header=BB207_13 Depth=1
	s_or_b32 exec_lo, exec_lo, s49
	global_load_ushort v19, v[33:34], off offset:4
	v_mov_b32_e32 v37, 0
	v_mov_b32_e32 v35, 0
	;; [unrolled: 1-line block ×4, first 2 shown]
	s_waitcnt vmcnt(0)
	v_and_b32_e32 v39, 0xffff, v19
	v_cmp_ne_u16_sdwa s2, v19, v20 src0_sel:BYTE_0 src1_sel:DWORD
	s_and_saveexec_b32 s49, s2
	s_cbranch_execz .LBB207_42
; %bb.35:                               ;   in Loop: Header=BB207_13 Depth=1
	v_bfrev_b32_e32 v35, 1
	v_mov_b32_e32 v36, 0
	v_cmp_ne_u16_sdwa s2, v39, v70 src0_sel:BYTE_0 src1_sel:DWORD
	s_and_saveexec_b32 s50, s2
	s_cbranch_execz .LBB207_41
; %bb.36:                               ;   in Loop: Header=BB207_13 Depth=1
	v_mov_b32_e32 v35, 0x7f800001
	v_and_b32_e32 v23, 0x7f, v39
	v_mov_b32_e32 v36, 0
	s_mov_b32 s51, exec_lo
	v_cmpx_ne_u32_e32 0x7f, v23
	s_cbranch_execz .LBB207_40
; %bb.37:                               ;   in Loop: Header=BB207_13 Depth=1
	v_and_b32_e32 v19, 7, v39
	v_lshrrev_b32_e32 v21, 3, v23
	s_mov_b32 s52, exec_lo
	v_cmpx_gt_u32_e32 8, v23
; %bb.38:                               ;   in Loop: Header=BB207_13 Depth=1
	v_ffbh_u32_e32 v21, v19
	v_min_u32_e32 v21, 32, v21
	v_subrev_nc_u32_e32 v23, 28, v21
	v_sub_nc_u32_e32 v21, 29, v21
	v_lshlrev_b64 v[35:36], v23, v[19:20]
	v_and_b32_e32 v19, 7, v35
; %bb.39:                               ;   in Loop: Header=BB207_13 Depth=1
	s_or_b32 exec_lo, exec_lo, s52
	v_lshlrev_b32_e32 v23, 24, v39
	v_lshlrev_b32_e32 v19, 20, v19
	v_lshl_add_u32 v21, v21, 23, 0x3c000000
	v_and_b32_e32 v23, 0x80000000, v23
	v_or3_b32 v19, v19, v23, v21
	v_mov_b32_e32 v36, v20
	v_mov_b32_e32 v35, v19
.LBB207_40:                             ;   in Loop: Header=BB207_13 Depth=1
	s_or_b32 exec_lo, exec_lo, s51
.LBB207_41:                             ;   in Loop: Header=BB207_13 Depth=1
	s_or_b32 exec_lo, exec_lo, s50
.LBB207_42:                             ;   in Loop: Header=BB207_13 Depth=1
	s_or_b32 exec_lo, exec_lo, s49
	v_cmp_ne_u16_sdwa s2, v39, v20 src0_sel:BYTE_1 src1_sel:DWORD
	s_and_saveexec_b32 s49, s2
	s_cbranch_execz .LBB207_50
; %bb.43:                               ;   in Loop: Header=BB207_13 Depth=1
	v_mov_b32_e32 v21, v20
	v_mov_b32_e32 v38, v22
	v_cmp_ne_u16_sdwa s2, v39, v70 src0_sel:BYTE_1 src1_sel:DWORD
	v_mov_b32_e32 v37, v21
	s_and_saveexec_b32 s50, s2
	s_cbranch_execz .LBB207_49
; %bb.44:                               ;   in Loop: Header=BB207_13 Depth=1
	v_and_b32_sdwa v19, v71, v39 dst_sel:DWORD dst_unused:UNUSED_PAD src0_sel:DWORD src1_sel:BYTE_1
	v_mov_b32_e32 v23, v20
	v_mov_b32_e32 v38, v24
	s_mov_b32 s51, exec_lo
	v_and_b32_e32 v40, 0x7f, v19
	v_mov_b32_e32 v37, v23
	v_cmpx_ne_u32_e32 0x7f, v40
	s_cbranch_execz .LBB207_48
; %bb.45:                               ;   in Loop: Header=BB207_13 Depth=1
	v_and_b32_e32 v19, 7, v19
	v_lshrrev_b32_e32 v21, 3, v40
	s_mov_b32 s52, exec_lo
	v_cmpx_gt_u32_e32 8, v40
; %bb.46:                               ;   in Loop: Header=BB207_13 Depth=1
	v_ffbh_u32_e32 v21, v19
	v_min_u32_e32 v21, 32, v21
	v_subrev_nc_u32_e32 v23, 28, v21
	v_sub_nc_u32_e32 v21, 29, v21
	v_lshlrev_b64 v[37:38], v23, v[19:20]
	v_and_b32_e32 v19, 7, v37
; %bb.47:                               ;   in Loop: Header=BB207_13 Depth=1
	s_or_b32 exec_lo, exec_lo, s52
	v_lshlrev_b32_e32 v23, 16, v39
	v_lshlrev_b32_e32 v19, 20, v19
	v_lshl_add_u32 v21, v21, 23, 0x3c000000
	v_mov_b32_e32 v37, v20
	v_and_b32_e32 v23, 0x80000000, v23
	v_or3_b32 v38, v19, v23, v21
.LBB207_48:                             ;   in Loop: Header=BB207_13 Depth=1
	s_or_b32 exec_lo, exec_lo, s51
.LBB207_49:                             ;   in Loop: Header=BB207_13 Depth=1
	s_or_b32 exec_lo, exec_lo, s50
.LBB207_50:                             ;   in Loop: Header=BB207_13 Depth=1
	s_or_b32 exec_lo, exec_lo, s49
	global_load_ushort v19, v[33:34], off offset:8
	v_mov_b32_e32 v41, 0
	v_mov_b32_e32 v39, 0
	;; [unrolled: 1-line block ×4, first 2 shown]
	s_waitcnt vmcnt(0)
	v_and_b32_e32 v43, 0xffff, v19
	v_cmp_ne_u16_sdwa s2, v19, v20 src0_sel:BYTE_0 src1_sel:DWORD
	s_and_saveexec_b32 s49, s2
	s_cbranch_execz .LBB207_58
; %bb.51:                               ;   in Loop: Header=BB207_13 Depth=1
	v_bfrev_b32_e32 v39, 1
	v_mov_b32_e32 v40, 0
	v_cmp_ne_u16_sdwa s2, v43, v70 src0_sel:BYTE_0 src1_sel:DWORD
	s_and_saveexec_b32 s50, s2
	s_cbranch_execz .LBB207_57
; %bb.52:                               ;   in Loop: Header=BB207_13 Depth=1
	v_mov_b32_e32 v39, 0x7f800001
	v_and_b32_e32 v23, 0x7f, v43
	v_mov_b32_e32 v40, 0
	s_mov_b32 s51, exec_lo
	v_cmpx_ne_u32_e32 0x7f, v23
	s_cbranch_execz .LBB207_56
; %bb.53:                               ;   in Loop: Header=BB207_13 Depth=1
	v_and_b32_e32 v19, 7, v43
	v_lshrrev_b32_e32 v21, 3, v23
	s_mov_b32 s52, exec_lo
	v_cmpx_gt_u32_e32 8, v23
; %bb.54:                               ;   in Loop: Header=BB207_13 Depth=1
	v_ffbh_u32_e32 v21, v19
	v_min_u32_e32 v21, 32, v21
	v_subrev_nc_u32_e32 v23, 28, v21
	v_sub_nc_u32_e32 v21, 29, v21
	v_lshlrev_b64 v[39:40], v23, v[19:20]
	v_and_b32_e32 v19, 7, v39
; %bb.55:                               ;   in Loop: Header=BB207_13 Depth=1
	s_or_b32 exec_lo, exec_lo, s52
	v_lshlrev_b32_e32 v23, 24, v43
	v_lshlrev_b32_e32 v19, 20, v19
	v_lshl_add_u32 v21, v21, 23, 0x3c000000
	v_and_b32_e32 v23, 0x80000000, v23
	v_or3_b32 v19, v19, v23, v21
	v_mov_b32_e32 v40, v20
	v_mov_b32_e32 v39, v19
.LBB207_56:                             ;   in Loop: Header=BB207_13 Depth=1
	s_or_b32 exec_lo, exec_lo, s51
.LBB207_57:                             ;   in Loop: Header=BB207_13 Depth=1
	s_or_b32 exec_lo, exec_lo, s50
.LBB207_58:                             ;   in Loop: Header=BB207_13 Depth=1
	s_or_b32 exec_lo, exec_lo, s49
	v_cmp_ne_u16_sdwa s2, v43, v20 src0_sel:BYTE_1 src1_sel:DWORD
	s_and_saveexec_b32 s49, s2
	s_cbranch_execz .LBB207_66
; %bb.59:                               ;   in Loop: Header=BB207_13 Depth=1
	v_mov_b32_e32 v21, v20
	v_mov_b32_e32 v42, v22
	v_cmp_ne_u16_sdwa s2, v43, v70 src0_sel:BYTE_1 src1_sel:DWORD
	v_mov_b32_e32 v41, v21
	s_and_saveexec_b32 s50, s2
	s_cbranch_execz .LBB207_65
; %bb.60:                               ;   in Loop: Header=BB207_13 Depth=1
	v_and_b32_sdwa v19, v71, v43 dst_sel:DWORD dst_unused:UNUSED_PAD src0_sel:DWORD src1_sel:BYTE_1
	v_mov_b32_e32 v23, v20
	v_mov_b32_e32 v42, v24
	s_mov_b32 s51, exec_lo
	v_and_b32_e32 v44, 0x7f, v19
	v_mov_b32_e32 v41, v23
	v_cmpx_ne_u32_e32 0x7f, v44
	s_cbranch_execz .LBB207_64
; %bb.61:                               ;   in Loop: Header=BB207_13 Depth=1
	v_and_b32_e32 v19, 7, v19
	v_lshrrev_b32_e32 v21, 3, v44
	s_mov_b32 s52, exec_lo
	v_cmpx_gt_u32_e32 8, v44
; %bb.62:                               ;   in Loop: Header=BB207_13 Depth=1
	v_ffbh_u32_e32 v21, v19
	v_min_u32_e32 v21, 32, v21
	v_subrev_nc_u32_e32 v23, 28, v21
	v_sub_nc_u32_e32 v21, 29, v21
	v_lshlrev_b64 v[41:42], v23, v[19:20]
	v_and_b32_e32 v19, 7, v41
; %bb.63:                               ;   in Loop: Header=BB207_13 Depth=1
	s_or_b32 exec_lo, exec_lo, s52
	v_lshlrev_b32_e32 v23, 16, v43
	v_lshlrev_b32_e32 v19, 20, v19
	v_lshl_add_u32 v21, v21, 23, 0x3c000000
	v_mov_b32_e32 v41, v20
	v_and_b32_e32 v23, 0x80000000, v23
	v_or3_b32 v42, v19, v23, v21
.LBB207_64:                             ;   in Loop: Header=BB207_13 Depth=1
	s_or_b32 exec_lo, exec_lo, s51
.LBB207_65:                             ;   in Loop: Header=BB207_13 Depth=1
	s_or_b32 exec_lo, exec_lo, s50
.LBB207_66:                             ;   in Loop: Header=BB207_13 Depth=1
	s_or_b32 exec_lo, exec_lo, s49
	global_load_ushort v19, v[33:34], off offset:12
	v_mov_b32_e32 v45, 0
	v_mov_b32_e32 v43, 0
	;; [unrolled: 1-line block ×4, first 2 shown]
	s_waitcnt vmcnt(0)
	v_and_b32_e32 v47, 0xffff, v19
	v_cmp_ne_u16_sdwa s2, v19, v20 src0_sel:BYTE_0 src1_sel:DWORD
	s_and_saveexec_b32 s49, s2
	s_cbranch_execz .LBB207_74
; %bb.67:                               ;   in Loop: Header=BB207_13 Depth=1
	v_bfrev_b32_e32 v43, 1
	v_mov_b32_e32 v44, 0
	v_cmp_ne_u16_sdwa s2, v47, v70 src0_sel:BYTE_0 src1_sel:DWORD
	s_and_saveexec_b32 s50, s2
	s_cbranch_execz .LBB207_73
; %bb.68:                               ;   in Loop: Header=BB207_13 Depth=1
	v_mov_b32_e32 v43, 0x7f800001
	v_and_b32_e32 v23, 0x7f, v47
	v_mov_b32_e32 v44, 0
	s_mov_b32 s51, exec_lo
	v_cmpx_ne_u32_e32 0x7f, v23
	s_cbranch_execz .LBB207_72
; %bb.69:                               ;   in Loop: Header=BB207_13 Depth=1
	v_and_b32_e32 v19, 7, v47
	v_lshrrev_b32_e32 v21, 3, v23
	s_mov_b32 s52, exec_lo
	v_cmpx_gt_u32_e32 8, v23
; %bb.70:                               ;   in Loop: Header=BB207_13 Depth=1
	v_ffbh_u32_e32 v21, v19
	v_min_u32_e32 v21, 32, v21
	v_subrev_nc_u32_e32 v23, 28, v21
	v_sub_nc_u32_e32 v21, 29, v21
	v_lshlrev_b64 v[43:44], v23, v[19:20]
	v_and_b32_e32 v19, 7, v43
; %bb.71:                               ;   in Loop: Header=BB207_13 Depth=1
	s_or_b32 exec_lo, exec_lo, s52
	v_lshlrev_b32_e32 v23, 24, v47
	v_lshlrev_b32_e32 v19, 20, v19
	v_lshl_add_u32 v21, v21, 23, 0x3c000000
	v_and_b32_e32 v23, 0x80000000, v23
	v_or3_b32 v19, v19, v23, v21
	v_mov_b32_e32 v44, v20
	v_mov_b32_e32 v43, v19
.LBB207_72:                             ;   in Loop: Header=BB207_13 Depth=1
	s_or_b32 exec_lo, exec_lo, s51
.LBB207_73:                             ;   in Loop: Header=BB207_13 Depth=1
	s_or_b32 exec_lo, exec_lo, s50
.LBB207_74:                             ;   in Loop: Header=BB207_13 Depth=1
	s_or_b32 exec_lo, exec_lo, s49
	v_cmp_ne_u16_sdwa s2, v47, v20 src0_sel:BYTE_1 src1_sel:DWORD
	s_and_saveexec_b32 s49, s2
	s_cbranch_execz .LBB207_82
; %bb.75:                               ;   in Loop: Header=BB207_13 Depth=1
	v_mov_b32_e32 v21, v20
	v_mov_b32_e32 v46, v22
	v_cmp_ne_u16_sdwa s2, v47, v70 src0_sel:BYTE_1 src1_sel:DWORD
	v_mov_b32_e32 v45, v21
	s_and_saveexec_b32 s50, s2
	s_cbranch_execz .LBB207_81
; %bb.76:                               ;   in Loop: Header=BB207_13 Depth=1
	v_and_b32_sdwa v19, v71, v47 dst_sel:DWORD dst_unused:UNUSED_PAD src0_sel:DWORD src1_sel:BYTE_1
	v_mov_b32_e32 v23, v20
	v_mov_b32_e32 v46, v24
	s_mov_b32 s51, exec_lo
	v_and_b32_e32 v48, 0x7f, v19
	v_mov_b32_e32 v45, v23
	v_cmpx_ne_u32_e32 0x7f, v48
	s_cbranch_execz .LBB207_80
; %bb.77:                               ;   in Loop: Header=BB207_13 Depth=1
	v_and_b32_e32 v19, 7, v19
	v_lshrrev_b32_e32 v21, 3, v48
	s_mov_b32 s52, exec_lo
	v_cmpx_gt_u32_e32 8, v48
; %bb.78:                               ;   in Loop: Header=BB207_13 Depth=1
	v_ffbh_u32_e32 v21, v19
	v_min_u32_e32 v21, 32, v21
	v_subrev_nc_u32_e32 v23, 28, v21
	v_sub_nc_u32_e32 v21, 29, v21
	v_lshlrev_b64 v[45:46], v23, v[19:20]
	v_and_b32_e32 v19, 7, v45
; %bb.79:                               ;   in Loop: Header=BB207_13 Depth=1
	s_or_b32 exec_lo, exec_lo, s52
	v_lshlrev_b32_e32 v23, 16, v47
	v_lshlrev_b32_e32 v19, 20, v19
	v_lshl_add_u32 v21, v21, 23, 0x3c000000
	v_mov_b32_e32 v45, v20
	v_and_b32_e32 v23, 0x80000000, v23
	v_or3_b32 v46, v19, v23, v21
.LBB207_80:                             ;   in Loop: Header=BB207_13 Depth=1
	s_or_b32 exec_lo, exec_lo, s51
.LBB207_81:                             ;   in Loop: Header=BB207_13 Depth=1
	s_or_b32 exec_lo, exec_lo, s50
.LBB207_82:                             ;   in Loop: Header=BB207_13 Depth=1
	s_or_b32 exec_lo, exec_lo, s49
	global_load_ushort v19, v[33:34], off offset:256
	v_mov_b32_e32 v49, 0
	v_mov_b32_e32 v47, 0
	;; [unrolled: 1-line block ×4, first 2 shown]
	s_waitcnt vmcnt(0)
	v_and_b32_e32 v51, 0xffff, v19
	v_cmp_ne_u16_sdwa s2, v19, v20 src0_sel:BYTE_0 src1_sel:DWORD
	s_and_saveexec_b32 s49, s2
	s_cbranch_execz .LBB207_90
; %bb.83:                               ;   in Loop: Header=BB207_13 Depth=1
	v_bfrev_b32_e32 v47, 1
	v_mov_b32_e32 v48, 0
	v_cmp_ne_u16_sdwa s2, v51, v70 src0_sel:BYTE_0 src1_sel:DWORD
	s_and_saveexec_b32 s50, s2
	s_cbranch_execz .LBB207_89
; %bb.84:                               ;   in Loop: Header=BB207_13 Depth=1
	v_mov_b32_e32 v47, 0x7f800001
	v_and_b32_e32 v23, 0x7f, v51
	v_mov_b32_e32 v48, 0
	s_mov_b32 s51, exec_lo
	v_cmpx_ne_u32_e32 0x7f, v23
	s_cbranch_execz .LBB207_88
; %bb.85:                               ;   in Loop: Header=BB207_13 Depth=1
	v_and_b32_e32 v19, 7, v51
	v_lshrrev_b32_e32 v21, 3, v23
	s_mov_b32 s52, exec_lo
	v_cmpx_gt_u32_e32 8, v23
; %bb.86:                               ;   in Loop: Header=BB207_13 Depth=1
	v_ffbh_u32_e32 v21, v19
	v_min_u32_e32 v21, 32, v21
	v_subrev_nc_u32_e32 v23, 28, v21
	v_sub_nc_u32_e32 v21, 29, v21
	v_lshlrev_b64 v[47:48], v23, v[19:20]
	v_and_b32_e32 v19, 7, v47
; %bb.87:                               ;   in Loop: Header=BB207_13 Depth=1
	s_or_b32 exec_lo, exec_lo, s52
	v_lshlrev_b32_e32 v23, 24, v51
	v_lshlrev_b32_e32 v19, 20, v19
	v_lshl_add_u32 v21, v21, 23, 0x3c000000
	v_and_b32_e32 v23, 0x80000000, v23
	v_or3_b32 v19, v19, v23, v21
	v_mov_b32_e32 v48, v20
	v_mov_b32_e32 v47, v19
.LBB207_88:                             ;   in Loop: Header=BB207_13 Depth=1
	s_or_b32 exec_lo, exec_lo, s51
.LBB207_89:                             ;   in Loop: Header=BB207_13 Depth=1
	s_or_b32 exec_lo, exec_lo, s50
.LBB207_90:                             ;   in Loop: Header=BB207_13 Depth=1
	s_or_b32 exec_lo, exec_lo, s49
	v_cmp_ne_u16_sdwa s2, v51, v20 src0_sel:BYTE_1 src1_sel:DWORD
	s_and_saveexec_b32 s49, s2
	s_cbranch_execz .LBB207_98
; %bb.91:                               ;   in Loop: Header=BB207_13 Depth=1
	v_mov_b32_e32 v21, v20
	v_mov_b32_e32 v50, v22
	v_cmp_ne_u16_sdwa s2, v51, v70 src0_sel:BYTE_1 src1_sel:DWORD
	v_mov_b32_e32 v49, v21
	s_and_saveexec_b32 s50, s2
	s_cbranch_execz .LBB207_97
; %bb.92:                               ;   in Loop: Header=BB207_13 Depth=1
	v_and_b32_sdwa v19, v71, v51 dst_sel:DWORD dst_unused:UNUSED_PAD src0_sel:DWORD src1_sel:BYTE_1
	v_mov_b32_e32 v23, v20
	v_mov_b32_e32 v50, v24
	s_mov_b32 s51, exec_lo
	v_and_b32_e32 v52, 0x7f, v19
	v_mov_b32_e32 v49, v23
	v_cmpx_ne_u32_e32 0x7f, v52
	s_cbranch_execz .LBB207_96
; %bb.93:                               ;   in Loop: Header=BB207_13 Depth=1
	v_and_b32_e32 v19, 7, v19
	v_lshrrev_b32_e32 v21, 3, v52
	s_mov_b32 s52, exec_lo
	v_cmpx_gt_u32_e32 8, v52
; %bb.94:                               ;   in Loop: Header=BB207_13 Depth=1
	v_ffbh_u32_e32 v21, v19
	v_min_u32_e32 v21, 32, v21
	v_subrev_nc_u32_e32 v23, 28, v21
	v_sub_nc_u32_e32 v21, 29, v21
	v_lshlrev_b64 v[49:50], v23, v[19:20]
	v_and_b32_e32 v19, 7, v49
; %bb.95:                               ;   in Loop: Header=BB207_13 Depth=1
	s_or_b32 exec_lo, exec_lo, s52
	v_lshlrev_b32_e32 v23, 16, v51
	v_lshlrev_b32_e32 v19, 20, v19
	v_lshl_add_u32 v21, v21, 23, 0x3c000000
	v_mov_b32_e32 v49, v20
	v_and_b32_e32 v23, 0x80000000, v23
	v_or3_b32 v50, v19, v23, v21
.LBB207_96:                             ;   in Loop: Header=BB207_13 Depth=1
	s_or_b32 exec_lo, exec_lo, s51
.LBB207_97:                             ;   in Loop: Header=BB207_13 Depth=1
	s_or_b32 exec_lo, exec_lo, s50
.LBB207_98:                             ;   in Loop: Header=BB207_13 Depth=1
	s_or_b32 exec_lo, exec_lo, s49
	global_load_ushort v19, v[33:34], off offset:260
	v_mov_b32_e32 v53, 0
	v_mov_b32_e32 v51, 0
	;; [unrolled: 1-line block ×4, first 2 shown]
	s_waitcnt vmcnt(0)
	v_and_b32_e32 v55, 0xffff, v19
	v_cmp_ne_u16_sdwa s2, v19, v20 src0_sel:BYTE_0 src1_sel:DWORD
	s_and_saveexec_b32 s49, s2
	s_cbranch_execz .LBB207_106
; %bb.99:                               ;   in Loop: Header=BB207_13 Depth=1
	v_bfrev_b32_e32 v51, 1
	v_mov_b32_e32 v52, 0
	v_cmp_ne_u16_sdwa s2, v55, v70 src0_sel:BYTE_0 src1_sel:DWORD
	s_and_saveexec_b32 s50, s2
	s_cbranch_execz .LBB207_105
; %bb.100:                              ;   in Loop: Header=BB207_13 Depth=1
	v_mov_b32_e32 v51, 0x7f800001
	v_and_b32_e32 v23, 0x7f, v55
	v_mov_b32_e32 v52, 0
	s_mov_b32 s51, exec_lo
	v_cmpx_ne_u32_e32 0x7f, v23
	s_cbranch_execz .LBB207_104
; %bb.101:                              ;   in Loop: Header=BB207_13 Depth=1
	v_and_b32_e32 v19, 7, v55
	v_lshrrev_b32_e32 v21, 3, v23
	s_mov_b32 s52, exec_lo
	v_cmpx_gt_u32_e32 8, v23
; %bb.102:                              ;   in Loop: Header=BB207_13 Depth=1
	v_ffbh_u32_e32 v21, v19
	v_min_u32_e32 v21, 32, v21
	v_subrev_nc_u32_e32 v23, 28, v21
	v_sub_nc_u32_e32 v21, 29, v21
	v_lshlrev_b64 v[51:52], v23, v[19:20]
	v_and_b32_e32 v19, 7, v51
; %bb.103:                              ;   in Loop: Header=BB207_13 Depth=1
	s_or_b32 exec_lo, exec_lo, s52
	v_lshlrev_b32_e32 v23, 24, v55
	v_lshlrev_b32_e32 v19, 20, v19
	v_lshl_add_u32 v21, v21, 23, 0x3c000000
	v_and_b32_e32 v23, 0x80000000, v23
	v_or3_b32 v19, v19, v23, v21
	v_mov_b32_e32 v52, v20
	v_mov_b32_e32 v51, v19
.LBB207_104:                            ;   in Loop: Header=BB207_13 Depth=1
	s_or_b32 exec_lo, exec_lo, s51
.LBB207_105:                            ;   in Loop: Header=BB207_13 Depth=1
	s_or_b32 exec_lo, exec_lo, s50
.LBB207_106:                            ;   in Loop: Header=BB207_13 Depth=1
	s_or_b32 exec_lo, exec_lo, s49
	v_cmp_ne_u16_sdwa s2, v55, v20 src0_sel:BYTE_1 src1_sel:DWORD
	s_and_saveexec_b32 s49, s2
	s_cbranch_execz .LBB207_114
; %bb.107:                              ;   in Loop: Header=BB207_13 Depth=1
	v_mov_b32_e32 v21, v20
	v_mov_b32_e32 v54, v22
	v_cmp_ne_u16_sdwa s2, v55, v70 src0_sel:BYTE_1 src1_sel:DWORD
	v_mov_b32_e32 v53, v21
	s_and_saveexec_b32 s50, s2
	s_cbranch_execz .LBB207_113
; %bb.108:                              ;   in Loop: Header=BB207_13 Depth=1
	v_and_b32_sdwa v19, v71, v55 dst_sel:DWORD dst_unused:UNUSED_PAD src0_sel:DWORD src1_sel:BYTE_1
	v_mov_b32_e32 v23, v20
	v_mov_b32_e32 v54, v24
	s_mov_b32 s51, exec_lo
	v_and_b32_e32 v56, 0x7f, v19
	v_mov_b32_e32 v53, v23
	v_cmpx_ne_u32_e32 0x7f, v56
	s_cbranch_execz .LBB207_112
; %bb.109:                              ;   in Loop: Header=BB207_13 Depth=1
	v_and_b32_e32 v19, 7, v19
	v_lshrrev_b32_e32 v21, 3, v56
	s_mov_b32 s52, exec_lo
	v_cmpx_gt_u32_e32 8, v56
; %bb.110:                              ;   in Loop: Header=BB207_13 Depth=1
	v_ffbh_u32_e32 v21, v19
	v_min_u32_e32 v21, 32, v21
	v_subrev_nc_u32_e32 v23, 28, v21
	v_sub_nc_u32_e32 v21, 29, v21
	v_lshlrev_b64 v[53:54], v23, v[19:20]
	v_and_b32_e32 v19, 7, v53
; %bb.111:                              ;   in Loop: Header=BB207_13 Depth=1
	s_or_b32 exec_lo, exec_lo, s52
	v_lshlrev_b32_e32 v23, 16, v55
	v_lshlrev_b32_e32 v19, 20, v19
	v_lshl_add_u32 v21, v21, 23, 0x3c000000
	v_mov_b32_e32 v53, v20
	v_and_b32_e32 v23, 0x80000000, v23
	v_or3_b32 v54, v19, v23, v21
.LBB207_112:                            ;   in Loop: Header=BB207_13 Depth=1
	s_or_b32 exec_lo, exec_lo, s51
.LBB207_113:                            ;   in Loop: Header=BB207_13 Depth=1
	s_or_b32 exec_lo, exec_lo, s50
.LBB207_114:                            ;   in Loop: Header=BB207_13 Depth=1
	s_or_b32 exec_lo, exec_lo, s49
	global_load_ushort v19, v[33:34], off offset:264
	v_mov_b32_e32 v57, 0
	v_mov_b32_e32 v55, 0
	;; [unrolled: 1-line block ×4, first 2 shown]
	s_waitcnt vmcnt(0)
	v_and_b32_e32 v59, 0xffff, v19
	v_cmp_ne_u16_sdwa s2, v19, v20 src0_sel:BYTE_0 src1_sel:DWORD
	s_and_saveexec_b32 s49, s2
	s_cbranch_execz .LBB207_122
; %bb.115:                              ;   in Loop: Header=BB207_13 Depth=1
	v_bfrev_b32_e32 v55, 1
	v_mov_b32_e32 v56, 0
	v_cmp_ne_u16_sdwa s2, v59, v70 src0_sel:BYTE_0 src1_sel:DWORD
	s_and_saveexec_b32 s50, s2
	s_cbranch_execz .LBB207_121
; %bb.116:                              ;   in Loop: Header=BB207_13 Depth=1
	v_mov_b32_e32 v55, 0x7f800001
	v_and_b32_e32 v23, 0x7f, v59
	v_mov_b32_e32 v56, 0
	s_mov_b32 s51, exec_lo
	v_cmpx_ne_u32_e32 0x7f, v23
	s_cbranch_execz .LBB207_120
; %bb.117:                              ;   in Loop: Header=BB207_13 Depth=1
	v_and_b32_e32 v19, 7, v59
	v_lshrrev_b32_e32 v21, 3, v23
	s_mov_b32 s52, exec_lo
	v_cmpx_gt_u32_e32 8, v23
; %bb.118:                              ;   in Loop: Header=BB207_13 Depth=1
	v_ffbh_u32_e32 v21, v19
	v_min_u32_e32 v21, 32, v21
	v_subrev_nc_u32_e32 v23, 28, v21
	v_sub_nc_u32_e32 v21, 29, v21
	v_lshlrev_b64 v[55:56], v23, v[19:20]
	v_and_b32_e32 v19, 7, v55
; %bb.119:                              ;   in Loop: Header=BB207_13 Depth=1
	s_or_b32 exec_lo, exec_lo, s52
	v_lshlrev_b32_e32 v23, 24, v59
	v_lshlrev_b32_e32 v19, 20, v19
	v_lshl_add_u32 v21, v21, 23, 0x3c000000
	v_and_b32_e32 v23, 0x80000000, v23
	v_or3_b32 v19, v19, v23, v21
	v_mov_b32_e32 v56, v20
	v_mov_b32_e32 v55, v19
.LBB207_120:                            ;   in Loop: Header=BB207_13 Depth=1
	s_or_b32 exec_lo, exec_lo, s51
.LBB207_121:                            ;   in Loop: Header=BB207_13 Depth=1
	s_or_b32 exec_lo, exec_lo, s50
.LBB207_122:                            ;   in Loop: Header=BB207_13 Depth=1
	s_or_b32 exec_lo, exec_lo, s49
	v_cmp_ne_u16_sdwa s2, v59, v20 src0_sel:BYTE_1 src1_sel:DWORD
	s_and_saveexec_b32 s49, s2
	s_cbranch_execz .LBB207_130
; %bb.123:                              ;   in Loop: Header=BB207_13 Depth=1
	v_mov_b32_e32 v21, v20
	v_mov_b32_e32 v58, v22
	v_cmp_ne_u16_sdwa s2, v59, v70 src0_sel:BYTE_1 src1_sel:DWORD
	v_mov_b32_e32 v57, v21
	s_and_saveexec_b32 s50, s2
	s_cbranch_execz .LBB207_129
; %bb.124:                              ;   in Loop: Header=BB207_13 Depth=1
	v_and_b32_sdwa v19, v71, v59 dst_sel:DWORD dst_unused:UNUSED_PAD src0_sel:DWORD src1_sel:BYTE_1
	v_mov_b32_e32 v23, v20
	v_mov_b32_e32 v58, v24
	s_mov_b32 s51, exec_lo
	v_and_b32_e32 v60, 0x7f, v19
	v_mov_b32_e32 v57, v23
	v_cmpx_ne_u32_e32 0x7f, v60
	s_cbranch_execz .LBB207_128
; %bb.125:                              ;   in Loop: Header=BB207_13 Depth=1
	v_and_b32_e32 v19, 7, v19
	v_lshrrev_b32_e32 v21, 3, v60
	s_mov_b32 s52, exec_lo
	v_cmpx_gt_u32_e32 8, v60
; %bb.126:                              ;   in Loop: Header=BB207_13 Depth=1
	v_ffbh_u32_e32 v21, v19
	v_min_u32_e32 v21, 32, v21
	v_subrev_nc_u32_e32 v23, 28, v21
	v_sub_nc_u32_e32 v21, 29, v21
	v_lshlrev_b64 v[57:58], v23, v[19:20]
	v_and_b32_e32 v19, 7, v57
; %bb.127:                              ;   in Loop: Header=BB207_13 Depth=1
	s_or_b32 exec_lo, exec_lo, s52
	v_lshlrev_b32_e32 v23, 16, v59
	v_lshlrev_b32_e32 v19, 20, v19
	v_lshl_add_u32 v21, v21, 23, 0x3c000000
	v_mov_b32_e32 v57, v20
	v_and_b32_e32 v23, 0x80000000, v23
	v_or3_b32 v58, v19, v23, v21
.LBB207_128:                            ;   in Loop: Header=BB207_13 Depth=1
	s_or_b32 exec_lo, exec_lo, s51
.LBB207_129:                            ;   in Loop: Header=BB207_13 Depth=1
	s_or_b32 exec_lo, exec_lo, s50
.LBB207_130:                            ;   in Loop: Header=BB207_13 Depth=1
	s_or_b32 exec_lo, exec_lo, s49
	global_load_ushort v19, v[33:34], off offset:268
	v_mov_b32_e32 v59, 0
	v_mov_b32_e32 v33, 0
	;; [unrolled: 1-line block ×4, first 2 shown]
	s_waitcnt vmcnt(0)
	v_and_b32_e32 v76, 0xffff, v19
	v_cmp_ne_u16_sdwa s2, v19, v20 src0_sel:BYTE_0 src1_sel:DWORD
	s_and_saveexec_b32 s49, s2
	s_cbranch_execz .LBB207_138
; %bb.131:                              ;   in Loop: Header=BB207_13 Depth=1
	v_bfrev_b32_e32 v33, 1
	v_mov_b32_e32 v34, 0
	v_cmp_ne_u16_sdwa s2, v76, v70 src0_sel:BYTE_0 src1_sel:DWORD
	s_and_saveexec_b32 s50, s2
	s_cbranch_execz .LBB207_137
; %bb.132:                              ;   in Loop: Header=BB207_13 Depth=1
	v_mov_b32_e32 v33, 0x7f800001
	v_and_b32_e32 v23, 0x7f, v76
	v_mov_b32_e32 v34, 0
	s_mov_b32 s51, exec_lo
	v_cmpx_ne_u32_e32 0x7f, v23
	s_cbranch_execz .LBB207_136
; %bb.133:                              ;   in Loop: Header=BB207_13 Depth=1
	v_and_b32_e32 v19, 7, v76
	v_lshrrev_b32_e32 v21, 3, v23
	s_mov_b32 s52, exec_lo
	v_cmpx_gt_u32_e32 8, v23
; %bb.134:                              ;   in Loop: Header=BB207_13 Depth=1
	v_ffbh_u32_e32 v21, v19
	v_min_u32_e32 v21, 32, v21
	v_subrev_nc_u32_e32 v23, 28, v21
	v_sub_nc_u32_e32 v21, 29, v21
	v_lshlrev_b64 v[33:34], v23, v[19:20]
	v_and_b32_e32 v19, 7, v33
; %bb.135:                              ;   in Loop: Header=BB207_13 Depth=1
	s_or_b32 exec_lo, exec_lo, s52
	v_lshlrev_b32_e32 v23, 24, v76
	v_lshlrev_b32_e32 v19, 20, v19
	v_lshl_add_u32 v21, v21, 23, 0x3c000000
	v_and_b32_e32 v23, 0x80000000, v23
	v_or3_b32 v19, v19, v23, v21
	v_mov_b32_e32 v34, v20
	v_mov_b32_e32 v33, v19
.LBB207_136:                            ;   in Loop: Header=BB207_13 Depth=1
	s_or_b32 exec_lo, exec_lo, s51
.LBB207_137:                            ;   in Loop: Header=BB207_13 Depth=1
	s_or_b32 exec_lo, exec_lo, s50
.LBB207_138:                            ;   in Loop: Header=BB207_13 Depth=1
	s_or_b32 exec_lo, exec_lo, s49
	v_cmp_ne_u16_sdwa s2, v76, v20 src0_sel:BYTE_1 src1_sel:DWORD
	s_and_saveexec_b32 s49, s2
	s_cbranch_execz .LBB207_146
; %bb.139:                              ;   in Loop: Header=BB207_13 Depth=1
	v_mov_b32_e32 v21, v20
	v_mov_b32_e32 v60, v22
	v_cmp_ne_u16_sdwa s2, v76, v70 src0_sel:BYTE_1 src1_sel:DWORD
	v_mov_b32_e32 v59, v21
	s_and_saveexec_b32 s50, s2
	s_cbranch_execz .LBB207_145
; %bb.140:                              ;   in Loop: Header=BB207_13 Depth=1
	v_and_b32_sdwa v19, v71, v76 dst_sel:DWORD dst_unused:UNUSED_PAD src0_sel:DWORD src1_sel:BYTE_1
	v_mov_b32_e32 v23, v20
	v_mov_b32_e32 v60, v24
	s_mov_b32 s51, exec_lo
	v_and_b32_e32 v77, 0x7f, v19
	v_mov_b32_e32 v59, v23
	v_cmpx_ne_u32_e32 0x7f, v77
	s_cbranch_execz .LBB207_144
; %bb.141:                              ;   in Loop: Header=BB207_13 Depth=1
	v_and_b32_e32 v19, 7, v19
	v_lshrrev_b32_e32 v21, 3, v77
	s_mov_b32 s52, exec_lo
	v_cmpx_gt_u32_e32 8, v77
; %bb.142:                              ;   in Loop: Header=BB207_13 Depth=1
	v_ffbh_u32_e32 v21, v19
	v_min_u32_e32 v21, 32, v21
	v_subrev_nc_u32_e32 v23, 28, v21
	v_sub_nc_u32_e32 v21, 29, v21
	v_lshlrev_b64 v[59:60], v23, v[19:20]
	v_and_b32_e32 v19, 7, v59
; %bb.143:                              ;   in Loop: Header=BB207_13 Depth=1
	s_or_b32 exec_lo, exec_lo, s52
	v_lshlrev_b32_e32 v23, 16, v76
	v_lshlrev_b32_e32 v19, 20, v19
	v_lshl_add_u32 v21, v21, 23, 0x3c000000
	v_mov_b32_e32 v59, v20
	v_and_b32_e32 v23, 0x80000000, v23
	v_or3_b32 v60, v19, v23, v21
.LBB207_144:                            ;   in Loop: Header=BB207_13 Depth=1
	s_or_b32 exec_lo, exec_lo, s51
.LBB207_145:                            ;   in Loop: Header=BB207_13 Depth=1
	s_or_b32 exec_lo, exec_lo, s50
.LBB207_146:                            ;   in Loop: Header=BB207_13 Depth=1
	s_or_b32 exec_lo, exec_lo, s49
	v_or_b32_e32 v35, v37, v35
	v_or_b32_e32 v36, v38, v36
	;; [unrolled: 1-line block ×5, first 2 shown]
	s_waitcnt lgkmcnt(0)
	v_mul_f32_e32 v31, s48, v35
	v_mul_f32_e32 v32, s48, v36
	v_or_b32_e32 v35, v41, v39
	v_mul_f32_e32 v30, s48, v30
	v_mul_f32_e32 v29, s48, v29
	;; [unrolled: 1-line block ×4, first 2 shown]
	v_or_b32_e32 v44, v46, v44
	v_or_b32_e32 v31, v45, v43
	v_mul_f32_e32 v32, s48, v37
	v_mul_f32_e32 v35, s48, v35
	v_fmac_f32_e32 v15, v13, v29
	v_fmac_f32_e32 v16, v14, v30
	v_or_b32_e32 v48, v50, v48
	v_or_b32_e32 v13, v49, v47
	v_mul_f32_e32 v14, s48, v44
	v_mul_f32_e32 v29, s48, v31
	v_fmac_f32_e32 v15, v9, v35
	v_fmac_f32_e32 v16, v10, v32
	;; [unrolled: 6-line block ×4, first 2 shown]
	v_mul_f32_e32 v11, s48, v19
	v_mul_f32_e32 v5, s48, v21
	v_or_b32_e32 v6, v60, v34
	v_or_b32_e32 v10, v59, v33
	v_fmac_f32_e32 v15, v7, v9
	v_fmac_f32_e32 v16, v8, v12
	v_xor_b32_e32 v7, 1, v64
	v_mul_f32_e32 v6, s48, v6
	v_mul_f32_e32 v8, s48, v10
	v_fmac_f32_e32 v15, v1, v5
	v_fmac_f32_e32 v16, v2, v11
	v_cmp_gt_i32_e64 s2, 32, v7
	v_fmac_f32_e32 v15, v3, v8
	v_fmac_f32_e32 v16, v4, v6
	v_cndmask_b32_e64 v1, v64, v7, s2
	v_lshlrev_b32_e32 v2, 2, v1
	v_add_f32_e32 v1, v15, v16
	ds_bpermute_b32 v2, v2, v1
	s_and_saveexec_b32 s48, vcc_lo
	s_cbranch_execz .LBB207_11
; %bb.147:                              ;   in Loop: Header=BB207_13 Depth=1
	v_add_nc_u32_e32 v3, v72, v68
	s_waitcnt lgkmcnt(0)
	v_add_f32_e32 v1, v1, v2
	v_cvt_f32_i32_e32 v3, v3
	v_mul_f32_e32 v3, s44, v3
	v_cndmask_b32_e64 v2, 0, v3, s1
	v_max_f32_e32 v3, v65, v65
	v_fmac_f32_e32 v2, s41, v1
	v_add_nc_u32_e32 v1, v66, v68
	v_max_f32_e32 v3, v3, v2
	v_cmp_gt_i32_e64 s2, s31, v1
	v_cndmask_b32_e64 v1, 0, v2, s2
	v_cndmask_b32_e64 v65, v65, v3, s2
	ds_write_b32 v73, v1
	s_branch .LBB207_11
.LBB207_148:
	s_or_b32 exec_lo, exec_lo, s46
.LBB207_149:
	s_or_b32 exec_lo, exec_lo, s45
	v_xor_b32_e32 v1, 16, v64
	v_xor_b32_e32 v3, 8, v64
	v_max_f32_e32 v5, v65, v65
	v_xor_b32_e32 v6, 2, v64
	v_and_b32_e32 v26, 31, v0
	v_cmp_gt_i32_e32 vcc_lo, 32, v1
	v_cndmask_b32_e32 v1, v64, v1, vcc_lo
	v_cmp_gt_i32_e32 vcc_lo, 32, v3
	s_waitcnt lgkmcnt(0)
	v_lshlrev_b32_e32 v2, 2, v1
	v_cndmask_b32_e32 v3, v64, v3, vcc_lo
	ds_bpermute_b32 v1, v2, v65
	v_lshlrev_b32_e32 v4, 2, v3
	s_waitcnt lgkmcnt(0)
	v_max_f32_e32 v1, v1, v1
	v_max_f32_e32 v1, v5, v1
	v_xor_b32_e32 v5, 4, v64
	ds_bpermute_b32 v3, v4, v1
	v_cmp_gt_i32_e32 vcc_lo, 32, v5
	v_cndmask_b32_e32 v5, v64, v5, vcc_lo
	v_cmp_gt_i32_e32 vcc_lo, 32, v6
	v_lshlrev_b32_e32 v5, 2, v5
	v_cndmask_b32_e32 v6, v64, v6, vcc_lo
	v_cmp_eq_u32_e32 vcc_lo, 0, v26
	v_lshlrev_b32_e32 v27, 2, v6
	v_lshlrev_b32_e32 v6, 2, v61
	s_waitcnt lgkmcnt(0)
	v_max_f32_e32 v3, v3, v3
	v_max_f32_e32 v1, v1, v3
	ds_bpermute_b32 v3, v5, v1
	s_waitcnt lgkmcnt(0)
	v_max_f32_e32 v3, v3, v3
	v_max_f32_e32 v1, v1, v3
	ds_bpermute_b32 v3, v27, v1
	s_and_saveexec_b32 s1, vcc_lo
	s_cbranch_execz .LBB207_151
; %bb.150:
	s_waitcnt lgkmcnt(0)
	v_max_f32_e32 v3, v3, v3
	v_max_f32_e32 v1, v1, v1
	;; [unrolled: 1-line block ×3, first 2 shown]
	ds_write_b32 v6, v1 offset:128
.LBB207_151:
	s_or_b32 exec_lo, exec_lo, s1
	v_cmp_gt_u32_e64 s1, 4, v26
	v_mov_b32_e32 v1, 0xff7fffff
	v_lshlrev_b32_e32 v7, 2, v26
	s_waitcnt lgkmcnt(0)
	s_barrier
	buffer_gl0_inv
	s_and_saveexec_b32 s2, s1
; %bb.152:
	ds_read_b32 v1, v7 offset:128
; %bb.153:
	s_or_b32 exec_lo, exec_lo, s2
	s_waitcnt lgkmcnt(0)
	ds_bpermute_b32 v3, v27, v1
	v_xor_b32_e32 v8, 1, v64
	v_max_f32_e32 v1, v1, v1
	v_cmp_gt_i32_e64 s2, 32, v8
	v_cndmask_b32_e64 v8, v64, v8, s2
	s_sub_i32 s2, s20, s16
	s_lshl_b32 s2, s2, 4
	v_lshlrev_b32_e32 v28, 2, v8
	v_mov_b32_e32 v8, 0
	s_add_i32 s2, s2, s42
	s_min_i32 s2, s2, s31
	s_waitcnt lgkmcnt(0)
	v_max_f32_e32 v3, v3, v3
	s_sub_i32 s4, s2, s42
	v_cmp_gt_i32_e64 s2, s4, v0
	v_max_f32_e32 v1, v1, v3
	ds_bpermute_b32 v3, v28, v1
	s_waitcnt lgkmcnt(0)
	v_max_f32_e32 v3, v3, v3
	v_max_f32_e32 v1, v1, v3
	v_lshl_add_u32 v3, v0, 2, 0xa0
	ds_bpermute_b32 v1, v8, v1
	s_and_saveexec_b32 s5, s2
	s_cbranch_execz .LBB207_157
; %bb.154:
	v_lshl_add_u32 v9, v0, 2, 0xa0
	v_mov_b32_e32 v8, 0
	v_mov_b32_e32 v10, v0
	s_mov_b32 s12, 0
	.p2align	6
.LBB207_155:                            ; =>This Inner Loop Header: Depth=1
	ds_read_b32 v11, v9
	v_add_nc_u32_e32 v10, 0x80, v10
	v_cmp_le_i32_e64 s3, s4, v10
	s_or_b32 s12, s3, s12
	s_waitcnt lgkmcnt(0)
	v_sub_f32_e32 v11, v11, v1
	v_mul_f32_e32 v11, 0x3fb8aa3b, v11
	v_exp_f32_e32 v11, v11
	ds_write_b32 v9, v11
	v_add_f32_e32 v8, v8, v11
	v_add_nc_u32_e32 v9, 0x200, v9
	s_andn2_b32 exec_lo, exec_lo, s12
	s_cbranch_execnz .LBB207_155
; %bb.156:
	s_or_b32 exec_lo, exec_lo, s12
.LBB207_157:
	s_or_b32 exec_lo, exec_lo, s5
	ds_bpermute_b32 v2, v2, v8
	s_waitcnt lgkmcnt(0)
	v_add_f32_e32 v2, v8, v2
	ds_bpermute_b32 v4, v4, v2
	s_waitcnt lgkmcnt(0)
	v_add_f32_e32 v2, v2, v4
	;; [unrolled: 3-line block ×5, first 2 shown]
	s_and_saveexec_b32 s3, vcc_lo
; %bb.158:
	ds_write_b32 v6, v2 offset:144
; %bb.159:
	s_or_b32 exec_lo, exec_lo, s3
	s_waitcnt lgkmcnt(0)
	s_barrier
	buffer_gl0_inv
	s_and_saveexec_b32 s3, s1
; %bb.160:
	ds_read_b32 v2, v7 offset:144
; %bb.161:
	s_or_b32 exec_lo, exec_lo, s3
	s_waitcnt lgkmcnt(0)
	ds_bpermute_b32 v4, v27, v2
	s_waitcnt lgkmcnt(0)
	v_add_f32_e32 v2, v2, v4
	ds_bpermute_b32 v4, v28, v2
	s_waitcnt lgkmcnt(0)
	v_add_f32_e32 v2, v2, v4
	v_mov_b32_e32 v4, 0
	ds_bpermute_b32 v2, v4, v2
	s_and_saveexec_b32 s1, s2
	s_cbranch_execz .LBB207_164
; %bb.162:
	s_waitcnt lgkmcnt(0)
	v_add_f32_e32 v4, 0x358637bd, v2
	s_mov_b32 s2, 0
	v_div_scale_f32 v5, null, v4, v4, 1.0
	v_div_scale_f32 v8, vcc_lo, 1.0, v4, 1.0
	v_rcp_f32_e32 v6, v5
	v_fma_f32 v7, -v5, v6, 1.0
	v_fmac_f32_e32 v6, v7, v6
	v_mul_f32_e32 v7, v8, v6
	v_fma_f32 v9, -v5, v7, v8
	v_fmac_f32_e32 v7, v9, v6
	v_fma_f32 v5, -v5, v7, v8
	v_div_fmas_f32 v5, v5, v6, v7
	v_div_fixup_f32 v4, v5, v4, 1.0
	v_mov_b32_e32 v5, v0
.LBB207_163:                            ; =>This Inner Loop Header: Depth=1
	ds_read_b32 v6, v3
	v_add_nc_u32_e32 v5, 0x80, v5
	v_cmp_le_i32_e32 vcc_lo, s4, v5
	s_or_b32 s2, vcc_lo, s2
	s_waitcnt lgkmcnt(0)
	v_mul_f32_e32 v6, v4, v6
	ds_write_b32 v3, v6
	v_add_nc_u32_e32 v3, 0x200, v3
	s_andn2_b32 exec_lo, exec_lo, s2
	s_cbranch_execnz .LBB207_163
.LBB207_164:
	s_or_b32 exec_lo, exec_lo, s1
	s_mul_i32 s1, s7, s30
	s_waitcnt lgkmcnt(0)
	s_mul_i32 s2, s1, s9
	s_mov_b32 s1, exec_lo
	s_barrier
	buffer_gl0_inv
	v_cmpx_eq_u32_e32 0, v0
	s_cbranch_execz .LBB207_166
; %bb.165:
	s_ashr_i32 s3, s2, 31
	s_mul_i32 s12, s7, s6
	s_lshl_b64 s[4:5], s[2:3], 2
	v_mov_b32_e32 v3, 0
	s_add_u32 s3, s26, s4
	s_addc_u32 s6, s27, s5
	s_ashr_i32 s13, s12, 31
	s_lshl_b64 s[12:13], s[12:13], 2
	s_add_u32 s3, s3, s12
	s_addc_u32 s6, s6, s13
	s_ashr_i32 s9, s8, 31
	s_lshl_b64 s[8:9], s[8:9], 2
	s_add_u32 s26, s3, s8
	s_addc_u32 s27, s6, s9
	s_add_u32 s3, s24, s4
	s_addc_u32 s4, s25, s5
	;; [unrolled: 2-line block ×4, first 2 shown]
	global_store_dword v3, v1, s[26:27]
	global_store_dword v3, v2, s[4:5]
.LBB207_166:
	s_or_b32 exec_lo, exec_lo, s1
	v_mov_b32_e32 v34, 0
	v_and_b32_e32 v29, 3, v0
	v_mov_b32_e32 v33, 0
	v_mov_b32_e32 v32, 0
	v_mov_b32_e32 v30, 0
	s_and_saveexec_b32 s1, s0
	s_cbranch_execz .LBB207_308
; %bb.167:
	s_sub_i32 s3, s43, s21
	s_ashr_i32 s0, s18, 31
	s_add_u32 s5, s38, s18
	s_addc_u32 s0, s39, s0
	s_abs_i32 s4, s22
	v_and_b32_e32 v4, 0x7c, v63
	v_cvt_f32_u32_e32 v1, s4
	s_sub_i32 s6, 0, s4
	v_lshlrev_b32_e32 v5, 4, v29
	s_lshl_b64 s[8:9], s[36:37], 2
	v_add_co_u32 v11, s5, s5, v4
	v_rcp_iflag_f32_e32 v3, v1
	v_lshlrev_b64 v[1:2], 2, v[17:18]
	s_add_i32 s40, s40, -1
	v_lshl_or_b32 v5, v61, 6, v5
	v_add_co_ci_u32_e64 v12, null, s0, 0, s5
	s_add_u32 s0, s34, s8
	s_addc_u32 s5, s35, s9
	v_add_co_u32 v13, vcc_lo, s0, v1
	v_mul_f32_e32 v3, 0x4f7ffffe, v3
	v_and_b32_e32 v31, 12, v63
	v_mov_b32_e32 v6, 0
	v_mov_b32_e32 v35, 0x80
	v_bfrev_b32_e32 v8, 1
	v_cvt_u32_f32_e32 v3, v3
	v_mov_b32_e32 v36, 0xffff
	v_mov_b32_e32 v10, 0x7f800001
	;; [unrolled: 1-line block ×4, first 2 shown]
	v_mul_lo_u32 v7, s6, v3
	v_mov_b32_e32 v39, 24
	v_mov_b32_e32 v30, 0
	;; [unrolled: 1-line block ×4, first 2 shown]
	v_add_co_ci_u32_e64 v14, null, s5, v2, vcc_lo
	v_add_nc_u32_e32 v40, 0xa0, v5
	v_mul_hi_u32 v4, v3, v7
	v_mov_b32_e32 v34, 0
	s_mov_b32 s6, s17
	s_mov_b32 s5, 0
	v_add_nc_u32_e32 v41, v3, v4
	s_branch .LBB207_170
.LBB207_168:                            ;   in Loop: Header=BB207_170 Depth=1
	s_or_b32 exec_lo, exec_lo, s0
	v_mul_f32_e32 v16, v1, v55
	v_mul_f32_e32 v18, v1, v53
	;; [unrolled: 1-line block ×4, first 2 shown]
	v_fmac_f32_e32 v16, v2, v54
	v_fmac_f32_e32 v18, v2, v52
	;; [unrolled: 1-line block ×12, first 2 shown]
	v_add_f32_e32 v32, v32, v16
	v_add_f32_e32 v33, v33, v18
	;; [unrolled: 1-line block ×4, first 2 shown]
.LBB207_169:                            ;   in Loop: Header=BB207_170 Depth=1
	s_or_b32 exec_lo, exec_lo, s8
	v_add_nc_u32_e32 v17, 4, v17
	v_add_co_u32 v13, s0, v13, 16
	v_add_co_ci_u32_e64 v14, null, 0, v14, s0
	v_cmp_le_i32_e32 vcc_lo, s20, v17
	v_add_nc_u32_e32 v62, 64, v62
	v_add_nc_u32_e32 v40, 0x100, v40
	s_or_b32 s5, vcc_lo, s5
	s_andn2_b32 exec_lo, exec_lo, s5
	s_cbranch_execz .LBB207_307
.LBB207_170:                            ; =>This Inner Loop Header: Depth=1
	v_sub_nc_u32_e32 v1, 0, v62
	v_max_i32_e32 v1, v62, v1
	v_mul_hi_u32 v2, v1, s19
	v_mul_lo_u32 v3, v2, s11
	v_sub_nc_u32_e32 v1, v1, v3
	v_add_nc_u32_e32 v3, 1, v2
	v_subrev_nc_u32_e32 v4, s11, v1
	v_cmp_le_u32_e32 vcc_lo, s11, v1
	v_cndmask_b32_e32 v2, v2, v3, vcc_lo
	v_cndmask_b32_e32 v1, v1, v4, vcc_lo
	v_ashrrev_i32_e32 v3, 31, v62
	v_add_nc_u32_e32 v4, 1, v2
	v_cmp_le_u32_e32 vcc_lo, s11, v1
	v_xor_b32_e32 v3, s23, v3
	v_cndmask_b32_e32 v1, v2, v4, vcc_lo
	v_xor_b32_e32 v1, v1, v3
	v_sub_nc_u32_e32 v1, v1, v3
	v_add_nc_u32_e32 v2, s33, v1
	v_cmp_lt_i32_e64 s0, s3, v1
	v_sub_nc_u32_e32 v3, 0, v2
	v_max_i32_e32 v3, v2, v3
	v_ashrrev_i32_e32 v2, 31, v2
	v_mul_hi_u32 v4, v3, v41
	v_mul_lo_u32 v4, v4, s4
	v_sub_nc_u32_e32 v3, v3, v4
	v_subrev_nc_u32_e32 v4, s4, v3
	v_cmp_le_u32_e32 vcc_lo, s4, v3
	v_cndmask_b32_e32 v3, v3, v4, vcc_lo
	v_subrev_nc_u32_e32 v4, s4, v3
	v_cmp_le_u32_e32 vcc_lo, s4, v3
	v_cndmask_b32_e32 v3, v3, v4, vcc_lo
	v_xor_b32_e32 v3, v3, v2
	v_sub_nc_u32_e32 v2, v3, v2
	v_cmp_eq_u32_e32 vcc_lo, 0, v2
	s_or_b32 s0, vcc_lo, s0
	s_and_saveexec_b32 s8, s0
	s_cbranch_execz .LBB207_169
; %bb.171:                              ;   in Loop: Header=BB207_170 Depth=1
	global_load_dword v1, v[13:14], off
	s_load_dword s9, s[14:15], 0x0
	v_mov_b32_e32 v20, 0
	v_mov_b32_e32 v18, 0
	;; [unrolled: 1-line block ×4, first 2 shown]
	s_waitcnt vmcnt(0)
	v_mad_i64_i32 v[15:16], null, v1, s6, v[11:12]
	ds_read_b128 v[1:4], v40
	global_load_dword v42, v[15:16], off
	s_waitcnt vmcnt(0)
	v_cmp_ne_u16_sdwa s12, v42, v6 src0_sel:BYTE_0 src1_sel:DWORD
	s_and_saveexec_b32 s0, s12
	s_cbranch_execz .LBB207_179
; %bb.172:                              ;   in Loop: Header=BB207_170 Depth=1
	v_bfrev_b32_e32 v18, 1
	v_mov_b32_e32 v19, 0
	v_cmp_ne_u16_sdwa s13, v42, v35 src0_sel:BYTE_0 src1_sel:DWORD
	s_and_saveexec_b32 s12, s13
	s_cbranch_execz .LBB207_178
; %bb.173:                              ;   in Loop: Header=BB207_170 Depth=1
	v_mov_b32_e32 v18, 0x7f800001
	v_and_b32_e32 v9, 0x7f, v42
	v_mov_b32_e32 v19, 0
	s_mov_b32 s13, exec_lo
	v_cmpx_ne_u32_e32 0x7f, v9
	s_cbranch_execz .LBB207_177
; %bb.174:                              ;   in Loop: Header=BB207_170 Depth=1
	v_and_b32_e32 v5, 7, v42
	v_lshrrev_b32_e32 v7, 3, v9
	s_mov_b32 s17, exec_lo
	v_cmpx_gt_u32_e32 8, v9
; %bb.175:                              ;   in Loop: Header=BB207_170 Depth=1
	v_ffbh_u32_e32 v7, v5
	v_min_u32_e32 v7, 32, v7
	v_subrev_nc_u32_e32 v9, 28, v7
	v_sub_nc_u32_e32 v7, 29, v7
	v_lshlrev_b64 v[18:19], v9, v[5:6]
	v_and_b32_e32 v5, 7, v18
; %bb.176:                              ;   in Loop: Header=BB207_170 Depth=1
	s_or_b32 exec_lo, exec_lo, s17
	v_lshlrev_b32_e32 v9, 24, v42
	v_lshlrev_b32_e32 v5, 20, v5
	v_lshl_add_u32 v7, v7, 23, 0x3c000000
	v_and_b32_e32 v9, 0x80000000, v9
	v_or3_b32 v5, v5, v9, v7
	v_mov_b32_e32 v19, v6
	v_mov_b32_e32 v18, v5
.LBB207_177:                            ;   in Loop: Header=BB207_170 Depth=1
	s_or_b32 exec_lo, exec_lo, s13
.LBB207_178:                            ;   in Loop: Header=BB207_170 Depth=1
	s_or_b32 exec_lo, exec_lo, s12
.LBB207_179:                            ;   in Loop: Header=BB207_170 Depth=1
	s_or_b32 exec_lo, exec_lo, s0
	v_cmp_ne_u16_sdwa s12, v42, v6 src0_sel:BYTE_1 src1_sel:DWORD
	s_and_saveexec_b32 s0, s12
	s_cbranch_execz .LBB207_187
; %bb.180:                              ;   in Loop: Header=BB207_170 Depth=1
	v_mov_b32_e32 v7, v6
	v_mov_b32_e32 v21, v8
	v_cmp_ne_u16_sdwa s13, v42, v35 src0_sel:BYTE_1 src1_sel:DWORD
	v_mov_b32_e32 v20, v7
	s_and_saveexec_b32 s12, s13
	s_cbranch_execz .LBB207_186
; %bb.181:                              ;   in Loop: Header=BB207_170 Depth=1
	v_and_b32_sdwa v5, v36, v42 dst_sel:DWORD dst_unused:UNUSED_PAD src0_sel:DWORD src1_sel:BYTE_1
	v_mov_b32_e32 v9, v6
	v_mov_b32_e32 v21, v10
	s_mov_b32 s13, exec_lo
	v_and_b32_e32 v22, 0x7f, v5
	v_mov_b32_e32 v20, v9
	v_cmpx_ne_u32_e32 0x7f, v22
	s_cbranch_execz .LBB207_185
; %bb.182:                              ;   in Loop: Header=BB207_170 Depth=1
	v_and_b32_e32 v5, 7, v5
	v_lshrrev_b32_e32 v7, 3, v22
	s_mov_b32 s17, exec_lo
	v_cmpx_gt_u32_e32 8, v22
; %bb.183:                              ;   in Loop: Header=BB207_170 Depth=1
	v_ffbh_u32_e32 v7, v5
	v_min_u32_e32 v7, 32, v7
	v_subrev_nc_u32_e32 v9, 28, v7
	v_sub_nc_u32_e32 v7, 29, v7
	v_lshlrev_b64 v[20:21], v9, v[5:6]
	v_and_b32_e32 v5, 7, v20
; %bb.184:                              ;   in Loop: Header=BB207_170 Depth=1
	s_or_b32 exec_lo, exec_lo, s17
	v_lshlrev_b32_e32 v9, 16, v42
	v_lshlrev_b32_e32 v5, 20, v5
	v_lshl_add_u32 v7, v7, 23, 0x3c000000
	v_mov_b32_e32 v20, v6
	v_and_b32_e32 v9, 0x80000000, v9
	v_or3_b32 v21, v5, v9, v7
.LBB207_185:                            ;   in Loop: Header=BB207_170 Depth=1
	s_or_b32 exec_lo, exec_lo, s13
.LBB207_186:                            ;   in Loop: Header=BB207_170 Depth=1
	s_or_b32 exec_lo, exec_lo, s12
.LBB207_187:                            ;   in Loop: Header=BB207_170 Depth=1
	s_or_b32 exec_lo, exec_lo, s0
	v_mov_b32_e32 v24, 0
	v_mov_b32_e32 v22, 0
	v_and_b32_sdwa v5, v42, v37 dst_sel:DWORD dst_unused:UNUSED_PAD src0_sel:WORD_1 src1_sel:DWORD
	v_mov_b32_e32 v25, 0
	v_mov_b32_e32 v23, 0
	s_mov_b32 s0, exec_lo
	v_cmpx_ne_u16_e32 0, v5
	s_cbranch_execz .LBB207_195
; %bb.188:                              ;   in Loop: Header=BB207_170 Depth=1
	v_bfrev_b32_e32 v22, 1
	v_mov_b32_e32 v23, 0
	s_mov_b32 s12, exec_lo
	v_cmpx_ne_u16_e32 0x80, v5
	s_cbranch_execz .LBB207_194
; %bb.189:                              ;   in Loop: Header=BB207_170 Depth=1
	v_mov_b32_e32 v22, 0x7f800001
	v_bfe_u32 v9, v42, 16, 7
	v_mov_b32_e32 v23, 0
	s_mov_b32 s13, exec_lo
	v_cmpx_ne_u32_e32 0x7f, v9
	s_cbranch_execz .LBB207_193
; %bb.190:                              ;   in Loop: Header=BB207_170 Depth=1
	v_and_b32_sdwa v5, v42, v38 dst_sel:DWORD dst_unused:UNUSED_PAD src0_sel:WORD_1 src1_sel:DWORD
	v_lshrrev_b32_e32 v7, 3, v9
	s_mov_b32 s17, exec_lo
	v_cmpx_gt_u32_e32 8, v9
; %bb.191:                              ;   in Loop: Header=BB207_170 Depth=1
	v_ffbh_u32_e32 v7, v5
	v_min_u32_e32 v7, 32, v7
	v_subrev_nc_u32_e32 v9, 28, v7
	v_sub_nc_u32_e32 v7, 29, v7
	v_lshlrev_b64 v[22:23], v9, v[5:6]
	v_and_b32_e32 v5, 7, v22
; %bb.192:                              ;   in Loop: Header=BB207_170 Depth=1
	s_or_b32 exec_lo, exec_lo, s17
	v_lshlrev_b32_sdwa v9, v39, v42 dst_sel:DWORD dst_unused:UNUSED_PAD src0_sel:DWORD src1_sel:WORD_1
	v_lshlrev_b32_e32 v5, 20, v5
	v_lshl_add_u32 v7, v7, 23, 0x3c000000
	v_and_b32_e32 v9, 0x80000000, v9
	v_or3_b32 v5, v5, v9, v7
	v_mov_b32_e32 v23, v6
	v_mov_b32_e32 v22, v5
.LBB207_193:                            ;   in Loop: Header=BB207_170 Depth=1
	s_or_b32 exec_lo, exec_lo, s13
.LBB207_194:                            ;   in Loop: Header=BB207_170 Depth=1
	s_or_b32 exec_lo, exec_lo, s12
.LBB207_195:                            ;   in Loop: Header=BB207_170 Depth=1
	s_or_b32 exec_lo, exec_lo, s0
	s_mov_b32 s0, exec_lo
	v_cmpx_lt_u32_e32 0xffffff, v42
	s_cbranch_execz .LBB207_203
; %bb.196:                              ;   in Loop: Header=BB207_170 Depth=1
	v_mov_b32_e32 v7, v6
	v_mov_b32_e32 v25, v8
	v_cmp_ne_u32_sdwa s13, v42, v35 src0_sel:BYTE_3 src1_sel:DWORD
	v_mov_b32_e32 v24, v7
	s_and_saveexec_b32 s12, s13
	s_cbranch_execz .LBB207_202
; %bb.197:                              ;   in Loop: Header=BB207_170 Depth=1
	v_mov_b32_e32 v9, v6
	v_mov_b32_e32 v25, v10
	v_bfe_u32 v43, v42, 24, 7
	s_mov_b32 s13, exec_lo
	v_mov_b32_e32 v24, v9
	v_cmpx_ne_u32_e32 0x7f, v43
	s_cbranch_execz .LBB207_201
; %bb.198:                              ;   in Loop: Header=BB207_170 Depth=1
	v_and_b32_sdwa v5, v42, v38 dst_sel:DWORD dst_unused:UNUSED_PAD src0_sel:BYTE_3 src1_sel:DWORD
	v_lshrrev_b32_e32 v7, 3, v43
	s_mov_b32 s17, exec_lo
	v_cmpx_gt_u32_e32 8, v43
; %bb.199:                              ;   in Loop: Header=BB207_170 Depth=1
	v_ffbh_u32_e32 v7, v5
	v_min_u32_e32 v7, 32, v7
	v_subrev_nc_u32_e32 v9, 28, v7
	v_sub_nc_u32_e32 v7, 29, v7
	v_lshlrev_b64 v[24:25], v9, v[5:6]
	v_and_b32_e32 v5, 7, v24
; %bb.200:                              ;   in Loop: Header=BB207_170 Depth=1
	s_or_b32 exec_lo, exec_lo, s17
	v_lshlrev_b32_sdwa v9, v39, v42 dst_sel:DWORD dst_unused:UNUSED_PAD src0_sel:DWORD src1_sel:BYTE_3
	v_lshlrev_b32_e32 v5, 20, v5
	v_lshl_add_u32 v7, v7, 23, 0x3c000000
	v_mov_b32_e32 v24, v6
	v_and_b32_e32 v9, 0x80000000, v9
	v_or3_b32 v25, v5, v9, v7
.LBB207_201:                            ;   in Loop: Header=BB207_170 Depth=1
	s_or_b32 exec_lo, exec_lo, s13
.LBB207_202:                            ;   in Loop: Header=BB207_170 Depth=1
	s_or_b32 exec_lo, exec_lo, s12
.LBB207_203:                            ;   in Loop: Header=BB207_170 Depth=1
	s_or_b32 exec_lo, exec_lo, s0
	v_add_nc_u32_e32 v46, v31, v62
	v_or_b32_e32 v5, v21, v19
	v_or_b32_e32 v7, v20, v18
	;; [unrolled: 1-line block ×4, first 2 shown]
	v_cmp_eq_u32_e32 vcc_lo, s40, v17
	s_waitcnt lgkmcnt(0)
	v_mul_f32_e32 v44, s9, v5
	v_mul_f32_e32 v45, s9, v7
	;; [unrolled: 1-line block ×4, first 2 shown]
	v_add_nc_u32_e32 v49, 1, v46
	v_add_nc_u32_e32 v48, 2, v46
	;; [unrolled: 1-line block ×3, first 2 shown]
	s_and_saveexec_b32 s12, vcc_lo
	s_cbranch_execz .LBB207_205
; %bb.204:                              ;   in Loop: Header=BB207_170 Depth=1
	v_cmp_gt_i32_e64 s0, s31, v46
	v_cndmask_b32_e64 v45, 0, v45, s0
	v_cmp_gt_i32_e64 s0, s31, v49
	v_cndmask_b32_e64 v44, 0, v44, s0
	;; [unrolled: 2-line block ×4, first 2 shown]
.LBB207_205:                            ;   in Loop: Header=BB207_170 Depth=1
	s_or_b32 exec_lo, exec_lo, s12
	global_load_dword v50, v[15:16], off offset:128
	v_mov_b32_e32 v20, 0
	v_mov_b32_e32 v18, 0
	;; [unrolled: 1-line block ×4, first 2 shown]
	s_waitcnt vmcnt(0)
	v_cmp_ne_u16_sdwa s0, v50, v6 src0_sel:BYTE_0 src1_sel:DWORD
	s_and_saveexec_b32 s12, s0
	s_cbranch_execz .LBB207_213
; %bb.206:                              ;   in Loop: Header=BB207_170 Depth=1
	v_bfrev_b32_e32 v18, 1
	v_mov_b32_e32 v19, 0
	v_cmp_ne_u16_sdwa s0, v50, v35 src0_sel:BYTE_0 src1_sel:DWORD
	s_and_saveexec_b32 s13, s0
	s_cbranch_execz .LBB207_212
; %bb.207:                              ;   in Loop: Header=BB207_170 Depth=1
	v_mov_b32_e32 v18, 0x7f800001
	v_and_b32_e32 v9, 0x7f, v50
	v_mov_b32_e32 v19, 0
	s_mov_b32 s17, exec_lo
	v_cmpx_ne_u32_e32 0x7f, v9
	s_cbranch_execz .LBB207_211
; %bb.208:                              ;   in Loop: Header=BB207_170 Depth=1
	v_and_b32_e32 v5, 7, v50
	v_lshrrev_b32_e32 v7, 3, v9
	s_mov_b32 s18, exec_lo
	v_cmpx_gt_u32_e32 8, v9
; %bb.209:                              ;   in Loop: Header=BB207_170 Depth=1
	v_ffbh_u32_e32 v7, v5
	v_min_u32_e32 v7, 32, v7
	v_subrev_nc_u32_e32 v9, 28, v7
	v_sub_nc_u32_e32 v7, 29, v7
	v_lshlrev_b64 v[18:19], v9, v[5:6]
	v_and_b32_e32 v5, 7, v18
; %bb.210:                              ;   in Loop: Header=BB207_170 Depth=1
	s_or_b32 exec_lo, exec_lo, s18
	v_lshlrev_b32_e32 v9, 24, v50
	v_lshlrev_b32_e32 v5, 20, v5
	v_lshl_add_u32 v7, v7, 23, 0x3c000000
	v_and_b32_e32 v9, 0x80000000, v9
	v_or3_b32 v5, v5, v9, v7
	v_mov_b32_e32 v19, v6
	v_mov_b32_e32 v18, v5
.LBB207_211:                            ;   in Loop: Header=BB207_170 Depth=1
	s_or_b32 exec_lo, exec_lo, s17
.LBB207_212:                            ;   in Loop: Header=BB207_170 Depth=1
	s_or_b32 exec_lo, exec_lo, s13
.LBB207_213:                            ;   in Loop: Header=BB207_170 Depth=1
	s_or_b32 exec_lo, exec_lo, s12
	v_cmp_ne_u16_sdwa s0, v50, v6 src0_sel:BYTE_1 src1_sel:DWORD
	s_and_saveexec_b32 s12, s0
	s_cbranch_execz .LBB207_221
; %bb.214:                              ;   in Loop: Header=BB207_170 Depth=1
	v_mov_b32_e32 v7, v6
	v_mov_b32_e32 v21, v8
	v_cmp_ne_u16_sdwa s0, v50, v35 src0_sel:BYTE_1 src1_sel:DWORD
	v_mov_b32_e32 v20, v7
	s_and_saveexec_b32 s13, s0
	s_cbranch_execz .LBB207_220
; %bb.215:                              ;   in Loop: Header=BB207_170 Depth=1
	v_and_b32_sdwa v5, v36, v50 dst_sel:DWORD dst_unused:UNUSED_PAD src0_sel:DWORD src1_sel:BYTE_1
	v_mov_b32_e32 v9, v6
	v_mov_b32_e32 v21, v10
	s_mov_b32 s17, exec_lo
	v_and_b32_e32 v22, 0x7f, v5
	v_mov_b32_e32 v20, v9
	v_cmpx_ne_u32_e32 0x7f, v22
	s_cbranch_execz .LBB207_219
; %bb.216:                              ;   in Loop: Header=BB207_170 Depth=1
	v_and_b32_e32 v5, 7, v5
	v_lshrrev_b32_e32 v7, 3, v22
	s_mov_b32 s18, exec_lo
	v_cmpx_gt_u32_e32 8, v22
; %bb.217:                              ;   in Loop: Header=BB207_170 Depth=1
	v_ffbh_u32_e32 v7, v5
	v_min_u32_e32 v7, 32, v7
	v_subrev_nc_u32_e32 v9, 28, v7
	v_sub_nc_u32_e32 v7, 29, v7
	v_lshlrev_b64 v[20:21], v9, v[5:6]
	v_and_b32_e32 v5, 7, v20
; %bb.218:                              ;   in Loop: Header=BB207_170 Depth=1
	s_or_b32 exec_lo, exec_lo, s18
	v_lshlrev_b32_e32 v9, 16, v50
	v_lshlrev_b32_e32 v5, 20, v5
	v_lshl_add_u32 v7, v7, 23, 0x3c000000
	v_mov_b32_e32 v20, v6
	v_and_b32_e32 v9, 0x80000000, v9
	v_or3_b32 v21, v5, v9, v7
.LBB207_219:                            ;   in Loop: Header=BB207_170 Depth=1
	s_or_b32 exec_lo, exec_lo, s17
.LBB207_220:                            ;   in Loop: Header=BB207_170 Depth=1
	s_or_b32 exec_lo, exec_lo, s13
.LBB207_221:                            ;   in Loop: Header=BB207_170 Depth=1
	s_or_b32 exec_lo, exec_lo, s12
	v_mov_b32_e32 v24, 0
	v_mov_b32_e32 v22, 0
	v_and_b32_sdwa v5, v50, v37 dst_sel:DWORD dst_unused:UNUSED_PAD src0_sel:WORD_1 src1_sel:DWORD
	v_mov_b32_e32 v25, 0
	v_mov_b32_e32 v23, 0
	s_mov_b32 s12, exec_lo
	v_cmpx_ne_u16_e32 0, v5
	s_cbranch_execz .LBB207_229
; %bb.222:                              ;   in Loop: Header=BB207_170 Depth=1
	v_bfrev_b32_e32 v22, 1
	v_mov_b32_e32 v23, 0
	s_mov_b32 s13, exec_lo
	v_cmpx_ne_u16_e32 0x80, v5
	s_cbranch_execz .LBB207_228
; %bb.223:                              ;   in Loop: Header=BB207_170 Depth=1
	v_mov_b32_e32 v22, 0x7f800001
	v_bfe_u32 v9, v50, 16, 7
	v_mov_b32_e32 v23, 0
	s_mov_b32 s17, exec_lo
	v_cmpx_ne_u32_e32 0x7f, v9
	s_cbranch_execz .LBB207_227
; %bb.224:                              ;   in Loop: Header=BB207_170 Depth=1
	v_and_b32_sdwa v5, v50, v38 dst_sel:DWORD dst_unused:UNUSED_PAD src0_sel:WORD_1 src1_sel:DWORD
	v_lshrrev_b32_e32 v7, 3, v9
	s_mov_b32 s18, exec_lo
	v_cmpx_gt_u32_e32 8, v9
; %bb.225:                              ;   in Loop: Header=BB207_170 Depth=1
	v_ffbh_u32_e32 v7, v5
	v_min_u32_e32 v7, 32, v7
	v_subrev_nc_u32_e32 v9, 28, v7
	v_sub_nc_u32_e32 v7, 29, v7
	v_lshlrev_b64 v[22:23], v9, v[5:6]
	v_and_b32_e32 v5, 7, v22
; %bb.226:                              ;   in Loop: Header=BB207_170 Depth=1
	s_or_b32 exec_lo, exec_lo, s18
	v_lshlrev_b32_sdwa v9, v39, v50 dst_sel:DWORD dst_unused:UNUSED_PAD src0_sel:DWORD src1_sel:WORD_1
	v_lshlrev_b32_e32 v5, 20, v5
	v_lshl_add_u32 v7, v7, 23, 0x3c000000
	v_and_b32_e32 v9, 0x80000000, v9
	v_or3_b32 v5, v5, v9, v7
	v_mov_b32_e32 v23, v6
	v_mov_b32_e32 v22, v5
.LBB207_227:                            ;   in Loop: Header=BB207_170 Depth=1
	s_or_b32 exec_lo, exec_lo, s17
.LBB207_228:                            ;   in Loop: Header=BB207_170 Depth=1
	s_or_b32 exec_lo, exec_lo, s13
.LBB207_229:                            ;   in Loop: Header=BB207_170 Depth=1
	s_or_b32 exec_lo, exec_lo, s12
	s_mov_b32 s12, exec_lo
	v_cmpx_lt_u32_e32 0xffffff, v50
	s_cbranch_execz .LBB207_237
; %bb.230:                              ;   in Loop: Header=BB207_170 Depth=1
	v_mov_b32_e32 v7, v6
	v_mov_b32_e32 v25, v8
	v_cmp_ne_u32_sdwa s0, v50, v35 src0_sel:BYTE_3 src1_sel:DWORD
	v_mov_b32_e32 v24, v7
	s_and_saveexec_b32 s13, s0
	s_cbranch_execz .LBB207_236
; %bb.231:                              ;   in Loop: Header=BB207_170 Depth=1
	v_mov_b32_e32 v9, v6
	v_mov_b32_e32 v25, v10
	v_bfe_u32 v51, v50, 24, 7
	s_mov_b32 s17, exec_lo
	v_mov_b32_e32 v24, v9
	v_cmpx_ne_u32_e32 0x7f, v51
	s_cbranch_execz .LBB207_235
; %bb.232:                              ;   in Loop: Header=BB207_170 Depth=1
	v_and_b32_sdwa v5, v50, v38 dst_sel:DWORD dst_unused:UNUSED_PAD src0_sel:BYTE_3 src1_sel:DWORD
	v_lshrrev_b32_e32 v7, 3, v51
	s_mov_b32 s18, exec_lo
	v_cmpx_gt_u32_e32 8, v51
; %bb.233:                              ;   in Loop: Header=BB207_170 Depth=1
	v_ffbh_u32_e32 v7, v5
	v_min_u32_e32 v7, 32, v7
	v_subrev_nc_u32_e32 v9, 28, v7
	v_sub_nc_u32_e32 v7, 29, v7
	v_lshlrev_b64 v[24:25], v9, v[5:6]
	v_and_b32_e32 v5, 7, v24
; %bb.234:                              ;   in Loop: Header=BB207_170 Depth=1
	s_or_b32 exec_lo, exec_lo, s18
	v_lshlrev_b32_sdwa v9, v39, v50 dst_sel:DWORD dst_unused:UNUSED_PAD src0_sel:DWORD src1_sel:BYTE_3
	v_lshlrev_b32_e32 v5, 20, v5
	v_lshl_add_u32 v7, v7, 23, 0x3c000000
	v_mov_b32_e32 v24, v6
	v_and_b32_e32 v9, 0x80000000, v9
	v_or3_b32 v25, v5, v9, v7
.LBB207_235:                            ;   in Loop: Header=BB207_170 Depth=1
	s_or_b32 exec_lo, exec_lo, s17
.LBB207_236:                            ;   in Loop: Header=BB207_170 Depth=1
	s_or_b32 exec_lo, exec_lo, s13
.LBB207_237:                            ;   in Loop: Header=BB207_170 Depth=1
	s_or_b32 exec_lo, exec_lo, s12
	v_or_b32_e32 v5, v21, v19
	v_or_b32_e32 v7, v20, v18
	;; [unrolled: 1-line block ×4, first 2 shown]
	s_mov_b32 s12, s9
	v_mul_f32_e32 v52, s12, v5
	v_mul_f32_e32 v53, s9, v7
	;; [unrolled: 1-line block ×4, first 2 shown]
	s_and_saveexec_b32 s13, vcc_lo
	s_cbranch_execz .LBB207_239
; %bb.238:                              ;   in Loop: Header=BB207_170 Depth=1
	v_cmp_gt_i32_e64 s0, s31, v46
	v_cndmask_b32_e64 v53, 0, v53, s0
	v_cmp_gt_i32_e64 s0, s31, v49
	v_cndmask_b32_e64 v52, 0, v52, s0
	v_cmp_gt_i32_e64 s0, s31, v48
	v_cndmask_b32_e64 v51, 0, v51, s0
	v_cmp_gt_i32_e64 s0, s31, v47
	v_cndmask_b32_e64 v50, 0, v50, s0
.LBB207_239:                            ;   in Loop: Header=BB207_170 Depth=1
	s_or_b32 exec_lo, exec_lo, s13
	global_load_dword v54, v[15:16], off offset:256
	v_mov_b32_e32 v20, 0
	v_mov_b32_e32 v18, 0
	;; [unrolled: 1-line block ×4, first 2 shown]
	s_waitcnt vmcnt(0)
	v_cmp_ne_u16_sdwa s0, v54, v6 src0_sel:BYTE_0 src1_sel:DWORD
	s_and_saveexec_b32 s13, s0
	s_cbranch_execz .LBB207_247
; %bb.240:                              ;   in Loop: Header=BB207_170 Depth=1
	v_bfrev_b32_e32 v18, 1
	v_mov_b32_e32 v19, 0
	v_cmp_ne_u16_sdwa s0, v54, v35 src0_sel:BYTE_0 src1_sel:DWORD
	s_and_saveexec_b32 s17, s0
	s_cbranch_execz .LBB207_246
; %bb.241:                              ;   in Loop: Header=BB207_170 Depth=1
	v_mov_b32_e32 v18, 0x7f800001
	v_and_b32_e32 v9, 0x7f, v54
	v_mov_b32_e32 v19, 0
	s_mov_b32 s18, exec_lo
	v_cmpx_ne_u32_e32 0x7f, v9
	s_cbranch_execz .LBB207_245
; %bb.242:                              ;   in Loop: Header=BB207_170 Depth=1
	v_and_b32_e32 v5, 7, v54
	v_lshrrev_b32_e32 v7, 3, v9
	s_mov_b32 s21, exec_lo
	v_cmpx_gt_u32_e32 8, v9
; %bb.243:                              ;   in Loop: Header=BB207_170 Depth=1
	v_ffbh_u32_e32 v7, v5
	v_min_u32_e32 v7, 32, v7
	v_subrev_nc_u32_e32 v9, 28, v7
	v_sub_nc_u32_e32 v7, 29, v7
	v_lshlrev_b64 v[18:19], v9, v[5:6]
	v_and_b32_e32 v5, 7, v18
; %bb.244:                              ;   in Loop: Header=BB207_170 Depth=1
	s_or_b32 exec_lo, exec_lo, s21
	v_lshlrev_b32_e32 v9, 24, v54
	v_lshlrev_b32_e32 v5, 20, v5
	v_lshl_add_u32 v7, v7, 23, 0x3c000000
	v_and_b32_e32 v9, 0x80000000, v9
	v_or3_b32 v5, v5, v9, v7
	v_mov_b32_e32 v19, v6
	v_mov_b32_e32 v18, v5
.LBB207_245:                            ;   in Loop: Header=BB207_170 Depth=1
	s_or_b32 exec_lo, exec_lo, s18
.LBB207_246:                            ;   in Loop: Header=BB207_170 Depth=1
	s_or_b32 exec_lo, exec_lo, s17
.LBB207_247:                            ;   in Loop: Header=BB207_170 Depth=1
	s_or_b32 exec_lo, exec_lo, s13
	v_cmp_ne_u16_sdwa s0, v54, v6 src0_sel:BYTE_1 src1_sel:DWORD
	s_and_saveexec_b32 s13, s0
	s_cbranch_execz .LBB207_255
; %bb.248:                              ;   in Loop: Header=BB207_170 Depth=1
	v_mov_b32_e32 v7, v6
	v_mov_b32_e32 v21, v8
	v_cmp_ne_u16_sdwa s0, v54, v35 src0_sel:BYTE_1 src1_sel:DWORD
	v_mov_b32_e32 v20, v7
	s_and_saveexec_b32 s17, s0
	s_cbranch_execz .LBB207_254
; %bb.249:                              ;   in Loop: Header=BB207_170 Depth=1
	v_and_b32_sdwa v5, v36, v54 dst_sel:DWORD dst_unused:UNUSED_PAD src0_sel:DWORD src1_sel:BYTE_1
	v_mov_b32_e32 v9, v6
	v_mov_b32_e32 v21, v10
	s_mov_b32 s18, exec_lo
	v_and_b32_e32 v22, 0x7f, v5
	v_mov_b32_e32 v20, v9
	v_cmpx_ne_u32_e32 0x7f, v22
	s_cbranch_execz .LBB207_253
; %bb.250:                              ;   in Loop: Header=BB207_170 Depth=1
	v_and_b32_e32 v5, 7, v5
	v_lshrrev_b32_e32 v7, 3, v22
	s_mov_b32 s21, exec_lo
	v_cmpx_gt_u32_e32 8, v22
; %bb.251:                              ;   in Loop: Header=BB207_170 Depth=1
	v_ffbh_u32_e32 v7, v5
	v_min_u32_e32 v7, 32, v7
	v_subrev_nc_u32_e32 v9, 28, v7
	v_sub_nc_u32_e32 v7, 29, v7
	v_lshlrev_b64 v[20:21], v9, v[5:6]
	v_and_b32_e32 v5, 7, v20
; %bb.252:                              ;   in Loop: Header=BB207_170 Depth=1
	s_or_b32 exec_lo, exec_lo, s21
	v_lshlrev_b32_e32 v9, 16, v54
	v_lshlrev_b32_e32 v5, 20, v5
	v_lshl_add_u32 v7, v7, 23, 0x3c000000
	v_mov_b32_e32 v20, v6
	v_and_b32_e32 v9, 0x80000000, v9
	v_or3_b32 v21, v5, v9, v7
.LBB207_253:                            ;   in Loop: Header=BB207_170 Depth=1
	s_or_b32 exec_lo, exec_lo, s18
.LBB207_254:                            ;   in Loop: Header=BB207_170 Depth=1
	s_or_b32 exec_lo, exec_lo, s17
.LBB207_255:                            ;   in Loop: Header=BB207_170 Depth=1
	s_or_b32 exec_lo, exec_lo, s13
	v_mov_b32_e32 v24, 0
	v_mov_b32_e32 v22, 0
	v_and_b32_sdwa v5, v54, v37 dst_sel:DWORD dst_unused:UNUSED_PAD src0_sel:WORD_1 src1_sel:DWORD
	v_mov_b32_e32 v25, 0
	v_mov_b32_e32 v23, 0
	s_mov_b32 s13, exec_lo
	v_cmpx_ne_u16_e32 0, v5
	s_cbranch_execz .LBB207_263
; %bb.256:                              ;   in Loop: Header=BB207_170 Depth=1
	v_bfrev_b32_e32 v22, 1
	v_mov_b32_e32 v23, 0
	s_mov_b32 s17, exec_lo
	v_cmpx_ne_u16_e32 0x80, v5
	s_cbranch_execz .LBB207_262
; %bb.257:                              ;   in Loop: Header=BB207_170 Depth=1
	v_mov_b32_e32 v22, 0x7f800001
	v_bfe_u32 v9, v54, 16, 7
	v_mov_b32_e32 v23, 0
	s_mov_b32 s18, exec_lo
	v_cmpx_ne_u32_e32 0x7f, v9
	s_cbranch_execz .LBB207_261
; %bb.258:                              ;   in Loop: Header=BB207_170 Depth=1
	v_and_b32_sdwa v5, v54, v38 dst_sel:DWORD dst_unused:UNUSED_PAD src0_sel:WORD_1 src1_sel:DWORD
	v_lshrrev_b32_e32 v7, 3, v9
	s_mov_b32 s21, exec_lo
	v_cmpx_gt_u32_e32 8, v9
; %bb.259:                              ;   in Loop: Header=BB207_170 Depth=1
	v_ffbh_u32_e32 v7, v5
	v_min_u32_e32 v7, 32, v7
	v_subrev_nc_u32_e32 v9, 28, v7
	v_sub_nc_u32_e32 v7, 29, v7
	v_lshlrev_b64 v[22:23], v9, v[5:6]
	v_and_b32_e32 v5, 7, v22
; %bb.260:                              ;   in Loop: Header=BB207_170 Depth=1
	s_or_b32 exec_lo, exec_lo, s21
	v_lshlrev_b32_sdwa v9, v39, v54 dst_sel:DWORD dst_unused:UNUSED_PAD src0_sel:DWORD src1_sel:WORD_1
	v_lshlrev_b32_e32 v5, 20, v5
	v_lshl_add_u32 v7, v7, 23, 0x3c000000
	v_and_b32_e32 v9, 0x80000000, v9
	v_or3_b32 v5, v5, v9, v7
	v_mov_b32_e32 v23, v6
	v_mov_b32_e32 v22, v5
.LBB207_261:                            ;   in Loop: Header=BB207_170 Depth=1
	s_or_b32 exec_lo, exec_lo, s18
.LBB207_262:                            ;   in Loop: Header=BB207_170 Depth=1
	s_or_b32 exec_lo, exec_lo, s17
.LBB207_263:                            ;   in Loop: Header=BB207_170 Depth=1
	s_or_b32 exec_lo, exec_lo, s13
	s_mov_b32 s13, exec_lo
	v_cmpx_lt_u32_e32 0xffffff, v54
	s_cbranch_execz .LBB207_271
; %bb.264:                              ;   in Loop: Header=BB207_170 Depth=1
	v_mov_b32_e32 v7, v6
	v_mov_b32_e32 v25, v8
	v_cmp_ne_u32_sdwa s0, v54, v35 src0_sel:BYTE_3 src1_sel:DWORD
	v_mov_b32_e32 v24, v7
	s_and_saveexec_b32 s17, s0
	s_cbranch_execz .LBB207_270
; %bb.265:                              ;   in Loop: Header=BB207_170 Depth=1
	v_mov_b32_e32 v9, v6
	v_mov_b32_e32 v25, v10
	v_bfe_u32 v55, v54, 24, 7
	s_mov_b32 s18, exec_lo
	v_mov_b32_e32 v24, v9
	v_cmpx_ne_u32_e32 0x7f, v55
	s_cbranch_execz .LBB207_269
; %bb.266:                              ;   in Loop: Header=BB207_170 Depth=1
	v_and_b32_sdwa v5, v54, v38 dst_sel:DWORD dst_unused:UNUSED_PAD src0_sel:BYTE_3 src1_sel:DWORD
	v_lshrrev_b32_e32 v7, 3, v55
	s_mov_b32 s21, exec_lo
	v_cmpx_gt_u32_e32 8, v55
; %bb.267:                              ;   in Loop: Header=BB207_170 Depth=1
	v_ffbh_u32_e32 v7, v5
	v_min_u32_e32 v7, 32, v7
	v_subrev_nc_u32_e32 v9, 28, v7
	v_sub_nc_u32_e32 v7, 29, v7
	v_lshlrev_b64 v[24:25], v9, v[5:6]
	v_and_b32_e32 v5, 7, v24
; %bb.268:                              ;   in Loop: Header=BB207_170 Depth=1
	s_or_b32 exec_lo, exec_lo, s21
	v_lshlrev_b32_sdwa v9, v39, v54 dst_sel:DWORD dst_unused:UNUSED_PAD src0_sel:DWORD src1_sel:BYTE_3
	v_lshlrev_b32_e32 v5, 20, v5
	v_lshl_add_u32 v7, v7, 23, 0x3c000000
	v_mov_b32_e32 v24, v6
	v_and_b32_e32 v9, 0x80000000, v9
	v_or3_b32 v25, v5, v9, v7
.LBB207_269:                            ;   in Loop: Header=BB207_170 Depth=1
	s_or_b32 exec_lo, exec_lo, s18
.LBB207_270:                            ;   in Loop: Header=BB207_170 Depth=1
	s_or_b32 exec_lo, exec_lo, s17
.LBB207_271:                            ;   in Loop: Header=BB207_170 Depth=1
	s_or_b32 exec_lo, exec_lo, s13
	v_or_b32_e32 v5, v21, v19
	v_or_b32_e32 v7, v20, v18
	v_or_b32_e32 v9, v24, v22
	v_or_b32_e32 v18, v25, v23
	v_mul_f32_e32 v54, s12, v5
	v_mul_f32_e32 v55, s9, v7
	;; [unrolled: 1-line block ×4, first 2 shown]
	s_and_saveexec_b32 s13, vcc_lo
	s_cbranch_execz .LBB207_273
; %bb.272:                              ;   in Loop: Header=BB207_170 Depth=1
	v_cmp_gt_i32_e64 s0, s31, v46
	v_cndmask_b32_e64 v55, 0, v55, s0
	v_cmp_gt_i32_e64 s0, s31, v49
	v_cndmask_b32_e64 v54, 0, v54, s0
	;; [unrolled: 2-line block ×4, first 2 shown]
.LBB207_273:                            ;   in Loop: Header=BB207_170 Depth=1
	s_or_b32 exec_lo, exec_lo, s13
	global_load_dword v56, v[15:16], off offset:384
	v_mov_b32_e32 v18, 0
	v_mov_b32_e32 v15, 0
	;; [unrolled: 1-line block ×4, first 2 shown]
	s_waitcnt vmcnt(0)
	v_cmp_ne_u16_sdwa s0, v56, v6 src0_sel:BYTE_0 src1_sel:DWORD
	s_and_saveexec_b32 s13, s0
	s_cbranch_execz .LBB207_281
; %bb.274:                              ;   in Loop: Header=BB207_170 Depth=1
	v_bfrev_b32_e32 v15, 1
	v_mov_b32_e32 v16, 0
	v_cmp_ne_u16_sdwa s0, v56, v35 src0_sel:BYTE_0 src1_sel:DWORD
	s_and_saveexec_b32 s17, s0
	s_cbranch_execz .LBB207_280
; %bb.275:                              ;   in Loop: Header=BB207_170 Depth=1
	v_mov_b32_e32 v15, 0x7f800001
	v_and_b32_e32 v9, 0x7f, v56
	v_mov_b32_e32 v16, 0
	s_mov_b32 s18, exec_lo
	v_cmpx_ne_u32_e32 0x7f, v9
	s_cbranch_execz .LBB207_279
; %bb.276:                              ;   in Loop: Header=BB207_170 Depth=1
	v_and_b32_e32 v5, 7, v56
	v_lshrrev_b32_e32 v7, 3, v9
	s_mov_b32 s21, exec_lo
	v_cmpx_gt_u32_e32 8, v9
; %bb.277:                              ;   in Loop: Header=BB207_170 Depth=1
	v_ffbh_u32_e32 v7, v5
	v_min_u32_e32 v7, 32, v7
	v_subrev_nc_u32_e32 v9, 28, v7
	v_sub_nc_u32_e32 v7, 29, v7
	v_lshlrev_b64 v[15:16], v9, v[5:6]
	v_and_b32_e32 v5, 7, v15
; %bb.278:                              ;   in Loop: Header=BB207_170 Depth=1
	s_or_b32 exec_lo, exec_lo, s21
	v_lshlrev_b32_e32 v9, 24, v56
	v_lshlrev_b32_e32 v5, 20, v5
	v_lshl_add_u32 v7, v7, 23, 0x3c000000
	v_and_b32_e32 v9, 0x80000000, v9
	v_or3_b32 v5, v5, v9, v7
	v_mov_b32_e32 v16, v6
	v_mov_b32_e32 v15, v5
.LBB207_279:                            ;   in Loop: Header=BB207_170 Depth=1
	s_or_b32 exec_lo, exec_lo, s18
.LBB207_280:                            ;   in Loop: Header=BB207_170 Depth=1
	s_or_b32 exec_lo, exec_lo, s17
.LBB207_281:                            ;   in Loop: Header=BB207_170 Depth=1
	s_or_b32 exec_lo, exec_lo, s13
	v_cmp_ne_u16_sdwa s0, v56, v6 src0_sel:BYTE_1 src1_sel:DWORD
	s_and_saveexec_b32 s13, s0
	s_cbranch_execz .LBB207_289
; %bb.282:                              ;   in Loop: Header=BB207_170 Depth=1
	v_mov_b32_e32 v7, v6
	v_mov_b32_e32 v19, v8
	v_cmp_ne_u16_sdwa s0, v56, v35 src0_sel:BYTE_1 src1_sel:DWORD
	v_mov_b32_e32 v18, v7
	s_and_saveexec_b32 s17, s0
	s_cbranch_execz .LBB207_288
; %bb.283:                              ;   in Loop: Header=BB207_170 Depth=1
	v_and_b32_sdwa v5, v36, v56 dst_sel:DWORD dst_unused:UNUSED_PAD src0_sel:DWORD src1_sel:BYTE_1
	v_mov_b32_e32 v9, v6
	v_mov_b32_e32 v19, v10
	s_mov_b32 s18, exec_lo
	v_and_b32_e32 v20, 0x7f, v5
	v_mov_b32_e32 v18, v9
	v_cmpx_ne_u32_e32 0x7f, v20
	s_cbranch_execz .LBB207_287
; %bb.284:                              ;   in Loop: Header=BB207_170 Depth=1
	v_and_b32_e32 v5, 7, v5
	v_lshrrev_b32_e32 v7, 3, v20
	s_mov_b32 s21, exec_lo
	v_cmpx_gt_u32_e32 8, v20
; %bb.285:                              ;   in Loop: Header=BB207_170 Depth=1
	v_ffbh_u32_e32 v7, v5
	v_min_u32_e32 v7, 32, v7
	v_subrev_nc_u32_e32 v9, 28, v7
	v_sub_nc_u32_e32 v7, 29, v7
	v_lshlrev_b64 v[18:19], v9, v[5:6]
	v_and_b32_e32 v5, 7, v18
; %bb.286:                              ;   in Loop: Header=BB207_170 Depth=1
	s_or_b32 exec_lo, exec_lo, s21
	v_lshlrev_b32_e32 v9, 16, v56
	v_lshlrev_b32_e32 v5, 20, v5
	v_lshl_add_u32 v7, v7, 23, 0x3c000000
	v_mov_b32_e32 v18, v6
	v_and_b32_e32 v9, 0x80000000, v9
	v_or3_b32 v19, v5, v9, v7
.LBB207_287:                            ;   in Loop: Header=BB207_170 Depth=1
	s_or_b32 exec_lo, exec_lo, s18
.LBB207_288:                            ;   in Loop: Header=BB207_170 Depth=1
	s_or_b32 exec_lo, exec_lo, s17
.LBB207_289:                            ;   in Loop: Header=BB207_170 Depth=1
	s_or_b32 exec_lo, exec_lo, s13
	v_mov_b32_e32 v22, 0
	v_mov_b32_e32 v20, 0
	v_and_b32_sdwa v5, v56, v37 dst_sel:DWORD dst_unused:UNUSED_PAD src0_sel:WORD_1 src1_sel:DWORD
	v_mov_b32_e32 v23, 0
	v_mov_b32_e32 v21, 0
	s_mov_b32 s13, exec_lo
	v_cmpx_ne_u16_e32 0, v5
	s_cbranch_execz .LBB207_297
; %bb.290:                              ;   in Loop: Header=BB207_170 Depth=1
	v_bfrev_b32_e32 v20, 1
	v_mov_b32_e32 v21, 0
	s_mov_b32 s17, exec_lo
	v_cmpx_ne_u16_e32 0x80, v5
	s_cbranch_execz .LBB207_296
; %bb.291:                              ;   in Loop: Header=BB207_170 Depth=1
	v_mov_b32_e32 v20, 0x7f800001
	v_bfe_u32 v9, v56, 16, 7
	v_mov_b32_e32 v21, 0
	s_mov_b32 s18, exec_lo
	v_cmpx_ne_u32_e32 0x7f, v9
	s_cbranch_execz .LBB207_295
; %bb.292:                              ;   in Loop: Header=BB207_170 Depth=1
	v_and_b32_sdwa v5, v56, v38 dst_sel:DWORD dst_unused:UNUSED_PAD src0_sel:WORD_1 src1_sel:DWORD
	v_lshrrev_b32_e32 v7, 3, v9
	s_mov_b32 s21, exec_lo
	v_cmpx_gt_u32_e32 8, v9
; %bb.293:                              ;   in Loop: Header=BB207_170 Depth=1
	v_ffbh_u32_e32 v7, v5
	v_min_u32_e32 v7, 32, v7
	v_subrev_nc_u32_e32 v9, 28, v7
	v_sub_nc_u32_e32 v7, 29, v7
	v_lshlrev_b64 v[20:21], v9, v[5:6]
	v_and_b32_e32 v5, 7, v20
; %bb.294:                              ;   in Loop: Header=BB207_170 Depth=1
	s_or_b32 exec_lo, exec_lo, s21
	v_lshlrev_b32_sdwa v9, v39, v56 dst_sel:DWORD dst_unused:UNUSED_PAD src0_sel:DWORD src1_sel:WORD_1
	v_lshlrev_b32_e32 v5, 20, v5
	v_lshl_add_u32 v7, v7, 23, 0x3c000000
	v_and_b32_e32 v9, 0x80000000, v9
	v_or3_b32 v5, v5, v9, v7
	v_mov_b32_e32 v21, v6
	v_mov_b32_e32 v20, v5
.LBB207_295:                            ;   in Loop: Header=BB207_170 Depth=1
	s_or_b32 exec_lo, exec_lo, s18
.LBB207_296:                            ;   in Loop: Header=BB207_170 Depth=1
	s_or_b32 exec_lo, exec_lo, s17
.LBB207_297:                            ;   in Loop: Header=BB207_170 Depth=1
	s_or_b32 exec_lo, exec_lo, s13
	s_mov_b32 s13, exec_lo
	v_cmpx_lt_u32_e32 0xffffff, v56
	s_cbranch_execz .LBB207_305
; %bb.298:                              ;   in Loop: Header=BB207_170 Depth=1
	v_mov_b32_e32 v7, v6
	v_mov_b32_e32 v23, v8
	v_cmp_ne_u32_sdwa s0, v56, v35 src0_sel:BYTE_3 src1_sel:DWORD
	v_mov_b32_e32 v22, v7
	s_and_saveexec_b32 s17, s0
	s_cbranch_execz .LBB207_304
; %bb.299:                              ;   in Loop: Header=BB207_170 Depth=1
	v_mov_b32_e32 v9, v6
	v_mov_b32_e32 v23, v10
	v_bfe_u32 v57, v56, 24, 7
	s_mov_b32 s18, exec_lo
	v_mov_b32_e32 v22, v9
	v_cmpx_ne_u32_e32 0x7f, v57
	s_cbranch_execz .LBB207_303
; %bb.300:                              ;   in Loop: Header=BB207_170 Depth=1
	v_and_b32_sdwa v5, v56, v38 dst_sel:DWORD dst_unused:UNUSED_PAD src0_sel:BYTE_3 src1_sel:DWORD
	v_lshrrev_b32_e32 v7, 3, v57
	s_mov_b32 s21, exec_lo
	v_cmpx_gt_u32_e32 8, v57
; %bb.301:                              ;   in Loop: Header=BB207_170 Depth=1
	v_ffbh_u32_e32 v7, v5
	v_min_u32_e32 v7, 32, v7
	v_subrev_nc_u32_e32 v9, 28, v7
	v_sub_nc_u32_e32 v7, 29, v7
	v_lshlrev_b64 v[22:23], v9, v[5:6]
	v_and_b32_e32 v5, 7, v22
; %bb.302:                              ;   in Loop: Header=BB207_170 Depth=1
	s_or_b32 exec_lo, exec_lo, s21
	v_lshlrev_b32_sdwa v9, v39, v56 dst_sel:DWORD dst_unused:UNUSED_PAD src0_sel:DWORD src1_sel:BYTE_3
	v_lshlrev_b32_e32 v5, 20, v5
	v_lshl_add_u32 v7, v7, 23, 0x3c000000
	v_mov_b32_e32 v22, v6
	v_and_b32_e32 v9, 0x80000000, v9
	v_or3_b32 v23, v5, v9, v7
.LBB207_303:                            ;   in Loop: Header=BB207_170 Depth=1
	s_or_b32 exec_lo, exec_lo, s18
.LBB207_304:                            ;   in Loop: Header=BB207_170 Depth=1
	s_or_b32 exec_lo, exec_lo, s17
.LBB207_305:                            ;   in Loop: Header=BB207_170 Depth=1
	s_or_b32 exec_lo, exec_lo, s13
	v_or_b32_e32 v5, v19, v16
	v_or_b32_e32 v7, v18, v15
	;; [unrolled: 1-line block ×4, first 2 shown]
	v_mul_f32_e32 v9, s12, v5
	v_mul_f32_e32 v15, s9, v7
	;; [unrolled: 1-line block ×4, first 2 shown]
	s_and_saveexec_b32 s0, vcc_lo
	s_cbranch_execz .LBB207_168
; %bb.306:                              ;   in Loop: Header=BB207_170 Depth=1
	v_cmp_gt_i32_e32 vcc_lo, s31, v46
	v_cndmask_b32_e32 v15, 0, v15, vcc_lo
	v_cmp_gt_i32_e32 vcc_lo, s31, v49
	v_cndmask_b32_e32 v9, 0, v9, vcc_lo
	;; [unrolled: 2-line block ×4, first 2 shown]
	s_branch .LBB207_168
.LBB207_307:
	s_or_b32 exec_lo, exec_lo, s5
.LBB207_308:
	s_or_b32 exec_lo, exec_lo, s1
	ds_bpermute_b32 v1, v27, v34
	ds_bpermute_b32 v2, v27, v33
	ds_bpermute_b32 v3, v27, v32
	ds_bpermute_b32 v4, v27, v30
	v_and_b32_e32 v6, 28, v26
	v_lshrrev_b32_e32 v5, 2, v26
	v_and_b32_e32 v11, 0x3c3, v0
	s_mov_b32 s0, exec_lo
	s_waitcnt lgkmcnt(0)
	s_waitcnt_vscnt null, 0x0
	v_add_nc_u32_e32 v6, 0xa0, v6
	s_barrier
	buffer_gl0_inv
	v_add_f32_e32 v1, v34, v1
	v_add_f32_e32 v2, v33, v2
	;; [unrolled: 1-line block ×4, first 2 shown]
	ds_bpermute_b32 v7, v28, v1
	ds_bpermute_b32 v8, v28, v2
	;; [unrolled: 1-line block ×4, first 2 shown]
	s_waitcnt lgkmcnt(3)
	v_add_f32_e32 v1, v1, v7
	s_waitcnt lgkmcnt(2)
	v_add_f32_e32 v2, v2, v8
	;; [unrolled: 2-line block ×4, first 2 shown]
	v_cmpx_eq_u32_e32 64, v11
	s_cbranch_execz .LBB207_310
; %bb.309:
	v_lshl_add_u32 v7, v61, 7, v6
	v_add_nc_u32_e32 v8, 0xffffff00, v7
	v_add_nc_u32_e32 v9, 0xffffff20, v7
	v_add_nc_u32_e32 v10, 0xffffff40, v7
	v_add_nc_u32_e32 v7, 0xffffff60, v7
	ds_write_b32 v8, v1
	ds_write_b32 v9, v2
	;; [unrolled: 1-line block ×4, first 2 shown]
.LBB207_310:
	s_or_b32 exec_lo, exec_lo, s0
	v_and_b32_e32 v7, 0x3e0, v0
	v_lshlrev_b32_e32 v5, 2, v5
	s_mov_b32 s1, exec_lo
	v_cmp_eq_u32_e32 vcc_lo, 0, v29
	s_waitcnt lgkmcnt(0)
	v_lshlrev_b32_e32 v7, 2, v7
	s_barrier
	buffer_gl0_inv
	v_add3_u32 v5, 0xa0, v7, v5
	v_cmpx_gt_u32_e32 64, v0
	s_cbranch_execz .LBB207_317
; %bb.311:
	s_and_saveexec_b32 s0, vcc_lo
	s_cbranch_execnz .LBB207_329
; %bb.312:
	s_or_b32 exec_lo, exec_lo, s0
	s_and_saveexec_b32 s0, vcc_lo
	s_cbranch_execnz .LBB207_330
.LBB207_313:
	s_or_b32 exec_lo, exec_lo, s0
	s_and_saveexec_b32 s0, vcc_lo
	s_cbranch_execnz .LBB207_331
.LBB207_314:
	s_or_b32 exec_lo, exec_lo, s0
	s_and_saveexec_b32 s0, vcc_lo
	s_cbranch_execz .LBB207_316
.LBB207_315:
	ds_read_b32 v7, v5 offset:96
	s_waitcnt lgkmcnt(0)
	v_add_f32_e32 v4, v4, v7
.LBB207_316:
	s_or_b32 exec_lo, exec_lo, s0
.LBB207_317:
	s_or_b32 exec_lo, exec_lo, s1
	v_and_b32_e32 v7, 0x3e3, v0
	s_mov_b32 s1, exec_lo
	s_barrier
	buffer_gl0_inv
	v_cmpx_eq_u32_e32 32, v7
	s_cbranch_execz .LBB207_319
; %bb.318:
	ds_write2_b32 v6, v1, v2 offset1:8
	ds_write2_b32 v6, v3, v4 offset0:16 offset1:24
.LBB207_319:
	s_or_b32 exec_lo, exec_lo, s1
	s_mov_b32 s1, exec_lo
	s_waitcnt lgkmcnt(0)
	s_barrier
	buffer_gl0_inv
	v_cmpx_gt_u32_e32 32, v0
	s_cbranch_execz .LBB207_326
; %bb.320:
	s_and_saveexec_b32 s0, vcc_lo
	s_cbranch_execnz .LBB207_332
; %bb.321:
	s_or_b32 exec_lo, exec_lo, s0
	s_and_saveexec_b32 s0, vcc_lo
	s_cbranch_execnz .LBB207_333
.LBB207_322:
	s_or_b32 exec_lo, exec_lo, s0
	s_and_saveexec_b32 s0, vcc_lo
	s_cbranch_execnz .LBB207_334
.LBB207_323:
	s_or_b32 exec_lo, exec_lo, s0
	s_and_saveexec_b32 s0, vcc_lo
	s_cbranch_execz .LBB207_325
.LBB207_324:
	ds_read_b32 v5, v5 offset:96
	s_waitcnt lgkmcnt(0)
	v_add_f32_e32 v4, v4, v5
.LBB207_325:
	s_or_b32 exec_lo, exec_lo, s0
.LBB207_326:
	s_or_b32 exec_lo, exec_lo, s1
	s_barrier
	buffer_gl0_inv
	s_mov_b32 s0, exec_lo
	v_cmpx_eq_u32_e32 0, v7
	s_cbranch_execz .LBB207_328
; %bb.327:
	s_lshl_b32 s0, s2, 5
	s_mul_i32 s2, s7, s10
	s_ashr_i32 s1, s0, 31
	s_lshl_b64 s[0:1], s[0:1], 2
	s_add_u32 s4, s28, s0
	s_addc_u32 s5, s29, s1
	s_ashr_i32 s3, s2, 31
	s_lshl_b64 s[0:1], s[2:3], 2
	s_add_u32 s2, s4, s0
	s_addc_u32 s3, s5, s1
	;; [unrolled: 4-line block ×3, first 2 shown]
	global_store_dword v0, v1, s[0:1]
	global_store_dword v0, v2, s[0:1] offset:32
	global_store_dword v0, v3, s[0:1] offset:64
	;; [unrolled: 1-line block ×3, first 2 shown]
.LBB207_328:
	s_endpgm
.LBB207_329:
	ds_read_b32 v7, v5
	s_waitcnt lgkmcnt(0)
	v_add_f32_e32 v1, v1, v7
	s_or_b32 exec_lo, exec_lo, s0
	s_and_saveexec_b32 s0, vcc_lo
	s_cbranch_execz .LBB207_313
.LBB207_330:
	ds_read_b32 v7, v5 offset:32
	s_waitcnt lgkmcnt(0)
	v_add_f32_e32 v2, v2, v7
	s_or_b32 exec_lo, exec_lo, s0
	s_and_saveexec_b32 s0, vcc_lo
	s_cbranch_execz .LBB207_314
.LBB207_331:
	ds_read_b32 v7, v5 offset:64
	s_waitcnt lgkmcnt(0)
	v_add_f32_e32 v3, v3, v7
	s_or_b32 exec_lo, exec_lo, s0
	s_and_saveexec_b32 s0, vcc_lo
	s_cbranch_execnz .LBB207_315
	s_branch .LBB207_316
.LBB207_332:
	ds_read_b32 v6, v5
	s_waitcnt lgkmcnt(0)
	v_add_f32_e32 v1, v1, v6
	s_or_b32 exec_lo, exec_lo, s0
	s_and_saveexec_b32 s0, vcc_lo
	s_cbranch_execz .LBB207_322
.LBB207_333:
	ds_read_b32 v6, v5 offset:32
	s_waitcnt lgkmcnt(0)
	v_add_f32_e32 v2, v2, v6
	s_or_b32 exec_lo, exec_lo, s0
	s_and_saveexec_b32 s0, vcc_lo
	s_cbranch_execz .LBB207_323
.LBB207_334:
	ds_read_b32 v6, v5 offset:64
	s_waitcnt lgkmcnt(0)
	v_add_f32_e32 v3, v3, v6
	s_or_b32 exec_lo, exec_lo, s0
	s_and_saveexec_b32 s0, vcc_lo
	s_cbranch_execnz .LBB207_324
	s_branch .LBB207_325
	.section	.rodata,"a",@progbits
	.p2align	6, 0x0
	.amdhsa_kernel _ZN4vllm25paged_attention_v2_kernelIfhLi32ELi16ELi128ELNS_18Fp8KVCacheDataTypeE1ELb1ELi512EEEvPfS2_PT_PKS3_PKT0_S9_ifPKiSB_iPKfiiiSD_SD_iiiii
		.amdhsa_group_segment_fixed_size 160
		.amdhsa_private_segment_fixed_size 0
		.amdhsa_kernarg_size 400
		.amdhsa_user_sgpr_count 6
		.amdhsa_user_sgpr_private_segment_buffer 1
		.amdhsa_user_sgpr_dispatch_ptr 0
		.amdhsa_user_sgpr_queue_ptr 0
		.amdhsa_user_sgpr_kernarg_segment_ptr 1
		.amdhsa_user_sgpr_dispatch_id 0
		.amdhsa_user_sgpr_flat_scratch_init 0
		.amdhsa_user_sgpr_private_segment_size 0
		.amdhsa_wavefront_size32 1
		.amdhsa_uses_dynamic_stack 0
		.amdhsa_system_sgpr_private_segment_wavefront_offset 0
		.amdhsa_system_sgpr_workgroup_id_x 1
		.amdhsa_system_sgpr_workgroup_id_y 1
		.amdhsa_system_sgpr_workgroup_id_z 1
		.amdhsa_system_sgpr_workgroup_info 0
		.amdhsa_system_vgpr_workitem_id 0
		.amdhsa_next_free_vgpr 78
		.amdhsa_next_free_sgpr 53
		.amdhsa_reserve_vcc 1
		.amdhsa_reserve_flat_scratch 0
		.amdhsa_float_round_mode_32 0
		.amdhsa_float_round_mode_16_64 0
		.amdhsa_float_denorm_mode_32 3
		.amdhsa_float_denorm_mode_16_64 3
		.amdhsa_dx10_clamp 1
		.amdhsa_ieee_mode 1
		.amdhsa_fp16_overflow 0
		.amdhsa_workgroup_processor_mode 1
		.amdhsa_memory_ordered 1
		.amdhsa_forward_progress 1
		.amdhsa_shared_vgpr_count 0
		.amdhsa_exception_fp_ieee_invalid_op 0
		.amdhsa_exception_fp_denorm_src 0
		.amdhsa_exception_fp_ieee_div_zero 0
		.amdhsa_exception_fp_ieee_overflow 0
		.amdhsa_exception_fp_ieee_underflow 0
		.amdhsa_exception_fp_ieee_inexact 0
		.amdhsa_exception_int_div_zero 0
	.end_amdhsa_kernel
	.section	.text._ZN4vllm25paged_attention_v2_kernelIfhLi32ELi16ELi128ELNS_18Fp8KVCacheDataTypeE1ELb1ELi512EEEvPfS2_PT_PKS3_PKT0_S9_ifPKiSB_iPKfiiiSD_SD_iiiii,"axG",@progbits,_ZN4vllm25paged_attention_v2_kernelIfhLi32ELi16ELi128ELNS_18Fp8KVCacheDataTypeE1ELb1ELi512EEEvPfS2_PT_PKS3_PKT0_S9_ifPKiSB_iPKfiiiSD_SD_iiiii,comdat
.Lfunc_end207:
	.size	_ZN4vllm25paged_attention_v2_kernelIfhLi32ELi16ELi128ELNS_18Fp8KVCacheDataTypeE1ELb1ELi512EEEvPfS2_PT_PKS3_PKT0_S9_ifPKiSB_iPKfiiiSD_SD_iiiii, .Lfunc_end207-_ZN4vllm25paged_attention_v2_kernelIfhLi32ELi16ELi128ELNS_18Fp8KVCacheDataTypeE1ELb1ELi512EEEvPfS2_PT_PKS3_PKT0_S9_ifPKiSB_iPKfiiiSD_SD_iiiii
                                        ; -- End function
	.set _ZN4vllm25paged_attention_v2_kernelIfhLi32ELi16ELi128ELNS_18Fp8KVCacheDataTypeE1ELb1ELi512EEEvPfS2_PT_PKS3_PKT0_S9_ifPKiSB_iPKfiiiSD_SD_iiiii.num_vgpr, 78
	.set _ZN4vllm25paged_attention_v2_kernelIfhLi32ELi16ELi128ELNS_18Fp8KVCacheDataTypeE1ELb1ELi512EEEvPfS2_PT_PKS3_PKT0_S9_ifPKiSB_iPKfiiiSD_SD_iiiii.num_agpr, 0
	.set _ZN4vllm25paged_attention_v2_kernelIfhLi32ELi16ELi128ELNS_18Fp8KVCacheDataTypeE1ELb1ELi512EEEvPfS2_PT_PKS3_PKT0_S9_ifPKiSB_iPKfiiiSD_SD_iiiii.numbered_sgpr, 53
	.set _ZN4vllm25paged_attention_v2_kernelIfhLi32ELi16ELi128ELNS_18Fp8KVCacheDataTypeE1ELb1ELi512EEEvPfS2_PT_PKS3_PKT0_S9_ifPKiSB_iPKfiiiSD_SD_iiiii.num_named_barrier, 0
	.set _ZN4vllm25paged_attention_v2_kernelIfhLi32ELi16ELi128ELNS_18Fp8KVCacheDataTypeE1ELb1ELi512EEEvPfS2_PT_PKS3_PKT0_S9_ifPKiSB_iPKfiiiSD_SD_iiiii.private_seg_size, 0
	.set _ZN4vllm25paged_attention_v2_kernelIfhLi32ELi16ELi128ELNS_18Fp8KVCacheDataTypeE1ELb1ELi512EEEvPfS2_PT_PKS3_PKT0_S9_ifPKiSB_iPKfiiiSD_SD_iiiii.uses_vcc, 1
	.set _ZN4vllm25paged_attention_v2_kernelIfhLi32ELi16ELi128ELNS_18Fp8KVCacheDataTypeE1ELb1ELi512EEEvPfS2_PT_PKS3_PKT0_S9_ifPKiSB_iPKfiiiSD_SD_iiiii.uses_flat_scratch, 0
	.set _ZN4vllm25paged_attention_v2_kernelIfhLi32ELi16ELi128ELNS_18Fp8KVCacheDataTypeE1ELb1ELi512EEEvPfS2_PT_PKS3_PKT0_S9_ifPKiSB_iPKfiiiSD_SD_iiiii.has_dyn_sized_stack, 0
	.set _ZN4vllm25paged_attention_v2_kernelIfhLi32ELi16ELi128ELNS_18Fp8KVCacheDataTypeE1ELb1ELi512EEEvPfS2_PT_PKS3_PKT0_S9_ifPKiSB_iPKfiiiSD_SD_iiiii.has_recursion, 0
	.set _ZN4vllm25paged_attention_v2_kernelIfhLi32ELi16ELi128ELNS_18Fp8KVCacheDataTypeE1ELb1ELi512EEEvPfS2_PT_PKS3_PKT0_S9_ifPKiSB_iPKfiiiSD_SD_iiiii.has_indirect_call, 0
	.section	.AMDGPU.csdata,"",@progbits
; Kernel info:
; codeLenInByte = 11008
; TotalNumSgprs: 55
; NumVgprs: 78
; ScratchSize: 0
; MemoryBound: 0
; FloatMode: 240
; IeeeMode: 1
; LDSByteSize: 160 bytes/workgroup (compile time only)
; SGPRBlocks: 0
; VGPRBlocks: 9
; NumSGPRsForWavesPerEU: 55
; NumVGPRsForWavesPerEU: 78
; Occupancy: 12
; WaveLimiterHint : 1
; COMPUTE_PGM_RSRC2:SCRATCH_EN: 0
; COMPUTE_PGM_RSRC2:USER_SGPR: 6
; COMPUTE_PGM_RSRC2:TRAP_HANDLER: 0
; COMPUTE_PGM_RSRC2:TGID_X_EN: 1
; COMPUTE_PGM_RSRC2:TGID_Y_EN: 1
; COMPUTE_PGM_RSRC2:TGID_Z_EN: 1
; COMPUTE_PGM_RSRC2:TIDIG_COMP_CNT: 0
	.section	.text._ZN4vllm25paged_attention_v2_kernelIfhLi64ELi16ELi128ELNS_18Fp8KVCacheDataTypeE1ELb1ELi512EEEvPfS2_PT_PKS3_PKT0_S9_ifPKiSB_iPKfiiiSD_SD_iiiii,"axG",@progbits,_ZN4vllm25paged_attention_v2_kernelIfhLi64ELi16ELi128ELNS_18Fp8KVCacheDataTypeE1ELb1ELi512EEEvPfS2_PT_PKS3_PKT0_S9_ifPKiSB_iPKfiiiSD_SD_iiiii,comdat
	.protected	_ZN4vllm25paged_attention_v2_kernelIfhLi64ELi16ELi128ELNS_18Fp8KVCacheDataTypeE1ELb1ELi512EEEvPfS2_PT_PKS3_PKT0_S9_ifPKiSB_iPKfiiiSD_SD_iiiii ; -- Begin function _ZN4vllm25paged_attention_v2_kernelIfhLi64ELi16ELi128ELNS_18Fp8KVCacheDataTypeE1ELb1ELi512EEEvPfS2_PT_PKS3_PKT0_S9_ifPKiSB_iPKfiiiSD_SD_iiiii
	.globl	_ZN4vllm25paged_attention_v2_kernelIfhLi64ELi16ELi128ELNS_18Fp8KVCacheDataTypeE1ELb1ELi512EEEvPfS2_PT_PKS3_PKT0_S9_ifPKiSB_iPKfiiiSD_SD_iiiii
	.p2align	8
	.type	_ZN4vllm25paged_attention_v2_kernelIfhLi64ELi16ELi128ELNS_18Fp8KVCacheDataTypeE1ELb1ELi512EEEvPfS2_PT_PKS3_PKT0_S9_ifPKiSB_iPKfiiiSD_SD_iiiii,@function
_ZN4vllm25paged_attention_v2_kernelIfhLi64ELi16ELi128ELNS_18Fp8KVCacheDataTypeE1ELb1ELi512EEEvPfS2_PT_PKS3_PKT0_S9_ifPKiSB_iPKfiiiSD_SD_iiiii: ; @_ZN4vllm25paged_attention_v2_kernelIfhLi64ELi16ELi128ELNS_18Fp8KVCacheDataTypeE1ELb1ELi512EEEvPfS2_PT_PKS3_PKT0_S9_ifPKiSB_iPKfiiiSD_SD_iiiii
; %bb.0:
	s_load_dwordx2 s[0:1], s[4:5], 0x40
	s_mov_b32 s30, s7
	s_ashr_i32 s31, s7, 31
	s_lshl_b64 s[2:3], s[30:31], 2
	s_waitcnt lgkmcnt(0)
	s_add_u32 s0, s0, s2
	s_addc_u32 s1, s1, s3
	s_lshl_b32 s42, s8, 9
	s_load_dword s31, s[0:1], 0x0
	s_waitcnt lgkmcnt(0)
	s_cmp_ge_i32 s42, s31
	s_cbranch_scc1 .LBB208_600
; %bb.1:
	s_clause 0x1
	s_load_dword s9, s[4:5], 0x90
	s_load_dwordx2 s[40:41], s[4:5], 0x30
	s_mov_b32 s43, 0
	s_waitcnt lgkmcnt(0)
	s_abs_i32 s3, s9
	s_abs_i32 s0, s40
	v_cvt_f32_u32_e32 v1, s0
	s_sub_i32 s2, 0, s0
	v_rcp_iflag_f32_e32 v1, v1
	v_mul_f32_e32 v1, 0x4f7ffffe, v1
	v_cvt_u32_f32_e32 v1, v1
	v_readfirstlane_b32 s1, v1
	s_mul_i32 s2, s2, s1
	s_mul_hi_u32 s2, s1, s2
	s_add_i32 s1, s1, s2
	s_xor_b32 s2, s9, s40
	s_mul_hi_u32 s1, s3, s1
	s_ashr_i32 s2, s2, 31
	s_mul_i32 s7, s1, s0
	s_sub_i32 s3, s3, s7
	s_add_i32 s7, s1, 1
	s_sub_i32 s10, s3, s0
	s_cmp_ge_u32 s3, s0
	s_cselect_b32 s1, s7, s1
	s_cselect_b32 s3, s10, s3
	s_add_i32 s7, s1, 1
	s_cmp_ge_u32 s3, s0
	s_cselect_b32 s0, s7, s1
	s_xor_b32 s0, s0, s2
	s_sub_i32 s10, s0, s2
	s_load_dwordx2 s[0:1], s[4:5], 0x50
	s_abs_i32 s2, s10
	v_cvt_f32_u32_e32 v1, s2
	s_sub_i32 s3, 0, s2
	v_rcp_iflag_f32_e32 v1, v1
	v_mul_f32_e32 v1, 0x4f7ffffe, v1
	v_cvt_u32_f32_e32 v1, v1
	v_readfirstlane_b32 s7, v1
	s_mul_i32 s3, s3, s7
	s_mul_hi_u32 s11, s7, s3
	s_abs_i32 s3, s6
	s_add_i32 s7, s7, s11
	s_waitcnt lgkmcnt(0)
	s_cmp_eq_u64 s[0:1], 0
	s_mul_hi_u32 s12, s3, s7
	s_cbranch_scc1 .LBB208_3
; %bb.2:
	s_ashr_i32 s7, s6, 31
	s_lshl_b64 s[14:15], s[6:7], 2
	s_add_u32 s0, s0, s14
	s_addc_u32 s1, s1, s15
	s_load_dword s43, s[0:1], 0x0
.LBB208_3:
	s_load_dwordx4 s[16:19], s[4:5], 0x58
	v_and_b32_e32 v1, 1, v0
	v_cmp_gt_u32_e64 s0, 32, v0
	v_lshlrev_b32_e32 v111, 2, v0
	s_ashr_i32 s1, s6, 31
	s_ashr_i32 s7, s10, 31
	s_lshl_b32 s10, s6, 6
	s_and_saveexec_b32 s13, s0
	s_cbranch_execz .LBB208_5
; %bb.4:
	s_load_dwordx2 s[14:15], s[4:5], 0x18
	s_waitcnt lgkmcnt(0)
	s_mul_i32 s20, s16, s30
	v_lshlrev_b32_e32 v2, 3, v0
	s_ashr_i32 s21, s20, 31
	v_and_b32_e32 v4, 0xff8, v111
	s_lshl_b64 s[20:21], s[20:21], 2
	v_lshl_add_u32 v4, v1, 7, v4
	s_add_u32 s16, s14, s20
	s_addc_u32 s19, s15, s21
	s_ashr_i32 s11, s10, 31
	s_lshl_b64 s[14:15], s[10:11], 2
	s_add_u32 s14, s16, s14
	s_addc_u32 s15, s19, s15
	global_load_dwordx2 v[2:3], v2, s[14:15]
	s_waitcnt vmcnt(0)
	ds_write_b64 v4, v[2:3]
.LBB208_5:
	s_or_b32 exec_lo, exec_lo, s13
	s_load_dwordx4 s[20:23], s[4:5], 0x78
	s_mul_i32 s11, s12, s2
	s_xor_b32 s1, s1, s7
	s_sub_i32 s3, s3, s11
	s_add_i32 s7, s12, 1
	s_sub_i32 s11, s3, s2
	s_cmp_ge_u32 s3, s2
	s_mov_b32 s13, -1
	s_cselect_b32 s7, s7, s12
	s_cselect_b32 s3, s11, s3
	s_add_i32 s11, s7, 1
	s_cmp_ge_u32 s3, s2
                                        ; implicit-def: $sgpr19
	s_cselect_b32 s2, s11, s7
	s_load_dword s7, s[4:5], 0x88
	s_xor_b32 s2, s2, s1
	s_add_i32 s12, s31, -1
	s_sub_i32 s2, s2, s1
	s_abs_i32 s3, s12
	s_waitcnt lgkmcnt(0)
	s_abs_i32 s11, s23
	s_barrier
	v_cvt_f32_u32_e32 v2, s11
	s_sub_i32 s1, 0, s11
	buffer_gl0_inv
	v_rcp_iflag_f32_e32 v2, v2
	v_mul_f32_e32 v2, 0x4f7ffffe, v2
	v_cvt_u32_f32_e32 v2, v2
	v_readfirstlane_b32 s16, v2
	s_mul_i32 s1, s1, s16
	s_mul_hi_u32 s1, s16, s1
	s_add_i32 s16, s16, s1
	s_cmp_lt_i32 s7, 0
	s_mul_hi_u32 s1, s3, s16
	s_cbranch_scc0 .LBB208_7
; %bb.6:
	s_mul_i32 s13, s20, s40
	s_add_i32 s13, s2, s13
	s_mul_i32 s13, s13, s7
	s_sub_i32 s19, 1, s13
	s_mov_b32 s13, 0
.LBB208_7:
	s_load_dwordx2 s[34:35], s[4:5], 0x38
	s_ashr_i32 s33, s12, 31
	s_andn2_b32 vcc_lo, exec_lo, s13
	s_ashr_i32 s23, s23, 31
	s_cbranch_vccnz .LBB208_9
; %bb.8:
	s_mul_i32 s12, s9, s20
	s_add_i32 s12, s12, s6
	s_mul_i32 s7, s12, s7
	s_add_i32 s19, s7, 1
.LBB208_9:
	s_clause 0x5
	s_load_dword s20, s[4:5], 0x48
	s_load_dwordx2 s[38:39], s[4:5], 0x28
	s_load_dwordx4 s[24:27], s[4:5], 0x0
	s_load_dwordx2 s[28:29], s[4:5], 0x10
	s_load_dword s7, s[4:5], 0x98
	s_load_dwordx4 s[12:15], s[4:5], 0x68
	s_xor_b32 s40, s33, s23
	s_mul_i32 s33, s1, s11
	s_add_i32 s44, s1, 1
	s_sub_i32 s3, s3, s33
	v_lshrrev_b32_e32 v109, 5, v0
	v_mov_b32_e32 v113, 0xff7fffff
	v_mbcnt_lo_u32_b32 v112, -1, 0
	s_mul_i32 s18, s2, s18
	v_lshl_add_u32 v110, v109, 4, s42
	s_waitcnt lgkmcnt(0)
	s_mul_i32 s36, s20, s30
	s_sub_i32 s20, s3, s11
	s_ashr_i32 s37, s36, 31
	s_cmp_ge_u32 s3, s11
	s_cselect_b32 s1, s44, s1
	s_cselect_b32 s3, s20, s3
	s_add_i32 s20, s1, 1
	s_cmp_ge_u32 s3, s11
	s_cselect_b32 s1, s20, s1
	s_add_i32 s3, s31, 15
	s_lshl_b32 s44, s8, 5
	s_ashr_i32 s20, s3, 31
	v_or_b32_e32 v33, s44, v109
	s_lshr_b32 s20, s20, 28
	s_add_i32 s3, s3, s20
	s_add_i32 s20, s44, 32
	s_ashr_i32 s33, s3, 4
	s_xor_b32 s3, s1, s40
	s_min_i32 s20, s20, s33
	v_ashrrev_i32_e32 v34, 31, v33
	v_cmp_gt_i32_e64 s1, s20, v33
	s_sub_i32 s40, s3, s40
	s_and_saveexec_b32 s45, s1
	s_cbranch_execz .LBB208_277
; %bb.10:
	s_load_dwordx2 s[2:3], s[4:5], 0x20
	s_sub_i32 s5, s40, s21
	s_ashr_i32 s4, s18, 31
	v_bfe_u32 v114, v0, 1, 4
	v_cmp_eq_u32_e32 vcc_lo, 0, v1
	v_lshlrev_b32_e32 v3, 1, v1
	v_lshlrev_b32_e32 v115, 7, v1
	v_mov_b32_e32 v36, 0
	v_lshlrev_b32_e32 v5, 2, v114
	v_subrev_nc_u32_e32 v6, s31, v114
	v_lshlrev_b32_e32 v7, 4, v114
	v_lshl_add_u32 v116, v109, 4, s42
	v_mov_b32_e32 v117, 0xff7fffff
	v_lshl_or_b32 v5, v109, 6, v5
	v_add_nc_u32_e32 v120, 1, v6
	v_mov_b32_e32 v118, 0x80
	v_bfrev_b32_e32 v38, 1
	v_mov_b32_e32 v119, 0xffff
	v_add_nc_u32_e32 v121, 0x120, v5
	v_mov_b32_e32 v40, 0x7f800001
	s_waitcnt lgkmcnt(0)
	s_add_u32 s47, s2, s18
	s_addc_u32 s3, s3, s4
	s_abs_i32 s46, s22
	s_lshl_b64 s[48:49], s[36:37], 2
	v_cvt_f32_u32_e32 v2, s46
	s_sub_i32 s4, 0, s46
	v_cmp_neq_f32_e64 s2, s43, 0
	v_mov_b32_e32 v113, 0xff7fffff
	v_mov_b32_e32 v123, v33
	v_rcp_iflag_f32_e32 v4, v2
	v_lshlrev_b64 v[1:2], 2, v[33:34]
	v_mul_f32_e32 v4, 0x4f7ffffe, v4
	v_cvt_u32_f32_e32 v4, v4
	v_mul_lo_u32 v5, s4, v4
	v_add_co_u32 v6, s4, s47, v7
	v_add_co_ci_u32_e64 v7, null, s3, 0, s4
	s_add_u32 s3, s34, s48
	s_addc_u32 s4, s35, s49
	v_add_co_u32 v41, s3, s3, v1
	v_mul_hi_u32 v5, v4, v5
	v_add_co_ci_u32_e64 v42, null, s4, v2, s3
	v_add_co_u32 v43, s3, v6, v3
	v_add_co_ci_u32_e64 v44, null, 0, v7, s3
	s_mov_b32 s47, 0
	v_add_nc_u32_e32 v122, v4, v5
	s_mov_b32 s48, s17
	s_branch .LBB208_13
.LBB208_11:                             ;   in Loop: Header=BB208_13 Depth=1
	s_or_b32 exec_lo, exec_lo, s49
.LBB208_12:                             ;   in Loop: Header=BB208_13 Depth=1
	s_or_b32 exec_lo, exec_lo, s4
	v_add_nc_u32_e32 v123, 4, v123
	v_add_co_u32 v41, s4, v41, 16
	v_add_co_ci_u32_e64 v42, null, 0, v42, s4
	v_cmp_le_i32_e64 s3, s20, v123
	v_add_nc_u32_e32 v116, 64, v116
	v_add_nc_u32_e32 v121, 0x100, v121
	s_or_b32 s47, s3, s47
	s_andn2_b32 exec_lo, exec_lo, s47
	s_cbranch_execz .LBB208_276
.LBB208_13:                             ; =>This Inner Loop Header: Depth=1
	v_sub_nc_u32_e32 v1, 0, v116
	v_max_i32_e32 v1, v116, v1
	s_waitcnt lgkmcnt(0)
	v_mul_hi_u32 v2, v1, s16
	v_mul_lo_u32 v3, v2, s11
	v_sub_nc_u32_e32 v1, v1, v3
	v_add_nc_u32_e32 v3, 1, v2
	v_subrev_nc_u32_e32 v4, s11, v1
	v_cmp_le_u32_e64 s3, s11, v1
	v_cndmask_b32_e64 v2, v2, v3, s3
	v_cndmask_b32_e64 v1, v1, v4, s3
	v_ashrrev_i32_e32 v3, 31, v116
	v_add_nc_u32_e32 v4, 1, v2
	v_cmp_le_u32_e64 s3, s11, v1
	v_xor_b32_e32 v3, s23, v3
	v_cndmask_b32_e64 v1, v2, v4, s3
	v_xor_b32_e32 v1, v1, v3
	v_sub_nc_u32_e32 v1, v1, v3
	v_add_nc_u32_e32 v2, s19, v1
	v_cmp_ge_i32_e64 s4, s5, v1
	v_sub_nc_u32_e32 v3, 0, v2
	v_max_i32_e32 v3, v2, v3
	v_ashrrev_i32_e32 v2, 31, v2
	v_mul_hi_u32 v4, v3, v122
	v_mul_lo_u32 v4, v4, s46
	v_sub_nc_u32_e32 v3, v3, v4
	v_subrev_nc_u32_e32 v4, s46, v3
	v_cmp_le_u32_e64 s3, s46, v3
	v_cndmask_b32_e64 v3, v3, v4, s3
	v_subrev_nc_u32_e32 v4, s46, v3
	v_cmp_le_u32_e64 s3, s46, v3
	v_cndmask_b32_e64 v3, v3, v4, s3
	v_xor_b32_e32 v3, v3, v2
	v_sub_nc_u32_e32 v2, v3, v2
	v_cmp_ne_u32_e64 s3, 0, v2
	s_and_b32 s3, s3, s4
	s_and_saveexec_b32 s4, s3
	s_xor_b32 s3, exec_lo, s4
	s_cbranch_execz .LBB208_17
; %bb.14:                               ;   in Loop: Header=BB208_13 Depth=1
	s_and_saveexec_b32 s4, vcc_lo
; %bb.15:                               ;   in Loop: Header=BB208_13 Depth=1
	ds_write_b32 v121, v117
; %bb.16:                               ;   in Loop: Header=BB208_13 Depth=1
	s_or_b32 exec_lo, exec_lo, s4
.LBB208_17:                             ;   in Loop: Header=BB208_13 Depth=1
	s_andn2_saveexec_b32 s4, s3
	s_cbranch_execz .LBB208_12
; %bb.18:                               ;   in Loop: Header=BB208_13 Depth=1
	global_load_dword v1, v[41:42], off
	v_mov_b32_e32 v47, 0
	v_mov_b32_e32 v45, 0
	;; [unrolled: 1-line block ×4, first 2 shown]
	s_waitcnt vmcnt(0)
	v_mad_i64_i32 v[49:50], null, v1, s48, v[43:44]
	global_load_ushort v35, v[49:50], off
	ds_read_b128 v[29:32], v115
	ds_read_b128 v[25:28], v115 offset:16
	ds_read_b128 v[21:24], v115 offset:32
	;; [unrolled: 1-line block ×7, first 2 shown]
	s_load_dword s49, s[12:13], 0x0
	s_waitcnt vmcnt(0)
	v_and_b32_e32 v51, 0xffff, v35
	v_cmp_ne_u16_sdwa s3, v35, v36 src0_sel:BYTE_0 src1_sel:DWORD
	s_and_saveexec_b32 s50, s3
	s_cbranch_execz .LBB208_26
; %bb.19:                               ;   in Loop: Header=BB208_13 Depth=1
	v_bfrev_b32_e32 v45, 1
	v_mov_b32_e32 v46, 0
	v_cmp_ne_u16_sdwa s3, v51, v118 src0_sel:BYTE_0 src1_sel:DWORD
	s_and_saveexec_b32 s51, s3
	s_cbranch_execz .LBB208_25
; %bb.20:                               ;   in Loop: Header=BB208_13 Depth=1
	v_mov_b32_e32 v45, 0x7f800001
	v_and_b32_e32 v39, 0x7f, v51
	v_mov_b32_e32 v46, 0
	s_mov_b32 s52, exec_lo
	v_cmpx_ne_u32_e32 0x7f, v39
	s_cbranch_execz .LBB208_24
; %bb.21:                               ;   in Loop: Header=BB208_13 Depth=1
	v_and_b32_e32 v35, 7, v51
	v_lshrrev_b32_e32 v37, 3, v39
	s_mov_b32 s53, exec_lo
	v_cmpx_gt_u32_e32 8, v39
; %bb.22:                               ;   in Loop: Header=BB208_13 Depth=1
	v_ffbh_u32_e32 v37, v35
	v_min_u32_e32 v37, 32, v37
	v_subrev_nc_u32_e32 v39, 28, v37
	v_sub_nc_u32_e32 v37, 29, v37
	v_lshlrev_b64 v[45:46], v39, v[35:36]
	v_and_b32_e32 v35, 7, v45
; %bb.23:                               ;   in Loop: Header=BB208_13 Depth=1
	s_or_b32 exec_lo, exec_lo, s53
	v_lshlrev_b32_e32 v39, 24, v51
	v_lshlrev_b32_e32 v35, 20, v35
	v_lshl_add_u32 v37, v37, 23, 0x3c000000
	v_and_b32_e32 v39, 0x80000000, v39
	v_or3_b32 v35, v35, v39, v37
	v_mov_b32_e32 v46, v36
	v_mov_b32_e32 v45, v35
.LBB208_24:                             ;   in Loop: Header=BB208_13 Depth=1
	s_or_b32 exec_lo, exec_lo, s52
.LBB208_25:                             ;   in Loop: Header=BB208_13 Depth=1
	s_or_b32 exec_lo, exec_lo, s51
.LBB208_26:                             ;   in Loop: Header=BB208_13 Depth=1
	s_or_b32 exec_lo, exec_lo, s50
	v_cmp_ne_u16_sdwa s3, v51, v36 src0_sel:BYTE_1 src1_sel:DWORD
	s_and_saveexec_b32 s50, s3
	s_cbranch_execz .LBB208_34
; %bb.27:                               ;   in Loop: Header=BB208_13 Depth=1
	v_mov_b32_e32 v37, v36
	v_mov_b32_e32 v48, v38
	v_cmp_ne_u16_sdwa s3, v51, v118 src0_sel:BYTE_1 src1_sel:DWORD
	v_mov_b32_e32 v47, v37
	s_and_saveexec_b32 s51, s3
	s_cbranch_execz .LBB208_33
; %bb.28:                               ;   in Loop: Header=BB208_13 Depth=1
	v_and_b32_sdwa v35, v119, v51 dst_sel:DWORD dst_unused:UNUSED_PAD src0_sel:DWORD src1_sel:BYTE_1
	v_mov_b32_e32 v39, v36
	v_mov_b32_e32 v48, v40
	s_mov_b32 s52, exec_lo
	v_and_b32_e32 v52, 0x7f, v35
	v_mov_b32_e32 v47, v39
	v_cmpx_ne_u32_e32 0x7f, v52
	s_cbranch_execz .LBB208_32
; %bb.29:                               ;   in Loop: Header=BB208_13 Depth=1
	v_and_b32_e32 v35, 7, v35
	v_lshrrev_b32_e32 v37, 3, v52
	s_mov_b32 s53, exec_lo
	v_cmpx_gt_u32_e32 8, v52
; %bb.30:                               ;   in Loop: Header=BB208_13 Depth=1
	v_ffbh_u32_e32 v37, v35
	v_min_u32_e32 v37, 32, v37
	v_subrev_nc_u32_e32 v39, 28, v37
	v_sub_nc_u32_e32 v37, 29, v37
	v_lshlrev_b64 v[47:48], v39, v[35:36]
	v_and_b32_e32 v35, 7, v47
; %bb.31:                               ;   in Loop: Header=BB208_13 Depth=1
	s_or_b32 exec_lo, exec_lo, s53
	v_lshlrev_b32_e32 v39, 16, v51
	v_lshlrev_b32_e32 v35, 20, v35
	v_lshl_add_u32 v37, v37, 23, 0x3c000000
	v_mov_b32_e32 v47, v36
	v_and_b32_e32 v39, 0x80000000, v39
	v_or3_b32 v48, v35, v39, v37
.LBB208_32:                             ;   in Loop: Header=BB208_13 Depth=1
	s_or_b32 exec_lo, exec_lo, s52
.LBB208_33:                             ;   in Loop: Header=BB208_13 Depth=1
	s_or_b32 exec_lo, exec_lo, s51
.LBB208_34:                             ;   in Loop: Header=BB208_13 Depth=1
	s_or_b32 exec_lo, exec_lo, s50
	global_load_ushort v35, v[49:50], off offset:4
	v_mov_b32_e32 v53, 0
	v_mov_b32_e32 v51, 0
	;; [unrolled: 1-line block ×4, first 2 shown]
	s_waitcnt vmcnt(0)
	v_and_b32_e32 v55, 0xffff, v35
	v_cmp_ne_u16_sdwa s3, v35, v36 src0_sel:BYTE_0 src1_sel:DWORD
	s_and_saveexec_b32 s50, s3
	s_cbranch_execz .LBB208_42
; %bb.35:                               ;   in Loop: Header=BB208_13 Depth=1
	v_bfrev_b32_e32 v51, 1
	v_mov_b32_e32 v52, 0
	v_cmp_ne_u16_sdwa s3, v55, v118 src0_sel:BYTE_0 src1_sel:DWORD
	s_and_saveexec_b32 s51, s3
	s_cbranch_execz .LBB208_41
; %bb.36:                               ;   in Loop: Header=BB208_13 Depth=1
	v_mov_b32_e32 v51, 0x7f800001
	v_and_b32_e32 v39, 0x7f, v55
	v_mov_b32_e32 v52, 0
	s_mov_b32 s52, exec_lo
	v_cmpx_ne_u32_e32 0x7f, v39
	s_cbranch_execz .LBB208_40
; %bb.37:                               ;   in Loop: Header=BB208_13 Depth=1
	v_and_b32_e32 v35, 7, v55
	v_lshrrev_b32_e32 v37, 3, v39
	s_mov_b32 s53, exec_lo
	v_cmpx_gt_u32_e32 8, v39
; %bb.38:                               ;   in Loop: Header=BB208_13 Depth=1
	v_ffbh_u32_e32 v37, v35
	v_min_u32_e32 v37, 32, v37
	v_subrev_nc_u32_e32 v39, 28, v37
	v_sub_nc_u32_e32 v37, 29, v37
	v_lshlrev_b64 v[51:52], v39, v[35:36]
	v_and_b32_e32 v35, 7, v51
; %bb.39:                               ;   in Loop: Header=BB208_13 Depth=1
	s_or_b32 exec_lo, exec_lo, s53
	v_lshlrev_b32_e32 v39, 24, v55
	v_lshlrev_b32_e32 v35, 20, v35
	v_lshl_add_u32 v37, v37, 23, 0x3c000000
	v_and_b32_e32 v39, 0x80000000, v39
	v_or3_b32 v35, v35, v39, v37
	v_mov_b32_e32 v52, v36
	v_mov_b32_e32 v51, v35
.LBB208_40:                             ;   in Loop: Header=BB208_13 Depth=1
	s_or_b32 exec_lo, exec_lo, s52
.LBB208_41:                             ;   in Loop: Header=BB208_13 Depth=1
	s_or_b32 exec_lo, exec_lo, s51
.LBB208_42:                             ;   in Loop: Header=BB208_13 Depth=1
	s_or_b32 exec_lo, exec_lo, s50
	v_cmp_ne_u16_sdwa s3, v55, v36 src0_sel:BYTE_1 src1_sel:DWORD
	s_and_saveexec_b32 s50, s3
	s_cbranch_execz .LBB208_50
; %bb.43:                               ;   in Loop: Header=BB208_13 Depth=1
	v_mov_b32_e32 v37, v36
	v_mov_b32_e32 v54, v38
	v_cmp_ne_u16_sdwa s3, v55, v118 src0_sel:BYTE_1 src1_sel:DWORD
	v_mov_b32_e32 v53, v37
	s_and_saveexec_b32 s51, s3
	s_cbranch_execz .LBB208_49
; %bb.44:                               ;   in Loop: Header=BB208_13 Depth=1
	v_and_b32_sdwa v35, v119, v55 dst_sel:DWORD dst_unused:UNUSED_PAD src0_sel:DWORD src1_sel:BYTE_1
	v_mov_b32_e32 v39, v36
	v_mov_b32_e32 v54, v40
	s_mov_b32 s52, exec_lo
	v_and_b32_e32 v56, 0x7f, v35
	v_mov_b32_e32 v53, v39
	v_cmpx_ne_u32_e32 0x7f, v56
	s_cbranch_execz .LBB208_48
; %bb.45:                               ;   in Loop: Header=BB208_13 Depth=1
	v_and_b32_e32 v35, 7, v35
	v_lshrrev_b32_e32 v37, 3, v56
	s_mov_b32 s53, exec_lo
	v_cmpx_gt_u32_e32 8, v56
; %bb.46:                               ;   in Loop: Header=BB208_13 Depth=1
	v_ffbh_u32_e32 v37, v35
	v_min_u32_e32 v37, 32, v37
	v_subrev_nc_u32_e32 v39, 28, v37
	v_sub_nc_u32_e32 v37, 29, v37
	v_lshlrev_b64 v[53:54], v39, v[35:36]
	v_and_b32_e32 v35, 7, v53
; %bb.47:                               ;   in Loop: Header=BB208_13 Depth=1
	s_or_b32 exec_lo, exec_lo, s53
	v_lshlrev_b32_e32 v39, 16, v55
	v_lshlrev_b32_e32 v35, 20, v35
	v_lshl_add_u32 v37, v37, 23, 0x3c000000
	v_mov_b32_e32 v53, v36
	v_and_b32_e32 v39, 0x80000000, v39
	v_or3_b32 v54, v35, v39, v37
.LBB208_48:                             ;   in Loop: Header=BB208_13 Depth=1
	s_or_b32 exec_lo, exec_lo, s52
.LBB208_49:                             ;   in Loop: Header=BB208_13 Depth=1
	s_or_b32 exec_lo, exec_lo, s51
.LBB208_50:                             ;   in Loop: Header=BB208_13 Depth=1
	s_or_b32 exec_lo, exec_lo, s50
	global_load_ushort v35, v[49:50], off offset:8
	v_mov_b32_e32 v57, 0
	v_mov_b32_e32 v55, 0
	;; [unrolled: 1-line block ×4, first 2 shown]
	s_waitcnt vmcnt(0)
	v_and_b32_e32 v59, 0xffff, v35
	v_cmp_ne_u16_sdwa s3, v35, v36 src0_sel:BYTE_0 src1_sel:DWORD
	s_and_saveexec_b32 s50, s3
	s_cbranch_execz .LBB208_58
; %bb.51:                               ;   in Loop: Header=BB208_13 Depth=1
	v_bfrev_b32_e32 v55, 1
	v_mov_b32_e32 v56, 0
	v_cmp_ne_u16_sdwa s3, v59, v118 src0_sel:BYTE_0 src1_sel:DWORD
	s_and_saveexec_b32 s51, s3
	s_cbranch_execz .LBB208_57
; %bb.52:                               ;   in Loop: Header=BB208_13 Depth=1
	v_mov_b32_e32 v55, 0x7f800001
	v_and_b32_e32 v39, 0x7f, v59
	v_mov_b32_e32 v56, 0
	s_mov_b32 s52, exec_lo
	v_cmpx_ne_u32_e32 0x7f, v39
	s_cbranch_execz .LBB208_56
; %bb.53:                               ;   in Loop: Header=BB208_13 Depth=1
	v_and_b32_e32 v35, 7, v59
	v_lshrrev_b32_e32 v37, 3, v39
	s_mov_b32 s53, exec_lo
	v_cmpx_gt_u32_e32 8, v39
; %bb.54:                               ;   in Loop: Header=BB208_13 Depth=1
	v_ffbh_u32_e32 v37, v35
	v_min_u32_e32 v37, 32, v37
	v_subrev_nc_u32_e32 v39, 28, v37
	v_sub_nc_u32_e32 v37, 29, v37
	v_lshlrev_b64 v[55:56], v39, v[35:36]
	v_and_b32_e32 v35, 7, v55
; %bb.55:                               ;   in Loop: Header=BB208_13 Depth=1
	s_or_b32 exec_lo, exec_lo, s53
	v_lshlrev_b32_e32 v39, 24, v59
	v_lshlrev_b32_e32 v35, 20, v35
	v_lshl_add_u32 v37, v37, 23, 0x3c000000
	v_and_b32_e32 v39, 0x80000000, v39
	v_or3_b32 v35, v35, v39, v37
	v_mov_b32_e32 v56, v36
	v_mov_b32_e32 v55, v35
.LBB208_56:                             ;   in Loop: Header=BB208_13 Depth=1
	s_or_b32 exec_lo, exec_lo, s52
.LBB208_57:                             ;   in Loop: Header=BB208_13 Depth=1
	s_or_b32 exec_lo, exec_lo, s51
.LBB208_58:                             ;   in Loop: Header=BB208_13 Depth=1
	s_or_b32 exec_lo, exec_lo, s50
	v_cmp_ne_u16_sdwa s3, v59, v36 src0_sel:BYTE_1 src1_sel:DWORD
	s_and_saveexec_b32 s50, s3
	s_cbranch_execz .LBB208_66
; %bb.59:                               ;   in Loop: Header=BB208_13 Depth=1
	v_mov_b32_e32 v37, v36
	v_mov_b32_e32 v58, v38
	v_cmp_ne_u16_sdwa s3, v59, v118 src0_sel:BYTE_1 src1_sel:DWORD
	v_mov_b32_e32 v57, v37
	s_and_saveexec_b32 s51, s3
	s_cbranch_execz .LBB208_65
; %bb.60:                               ;   in Loop: Header=BB208_13 Depth=1
	v_and_b32_sdwa v35, v119, v59 dst_sel:DWORD dst_unused:UNUSED_PAD src0_sel:DWORD src1_sel:BYTE_1
	v_mov_b32_e32 v39, v36
	v_mov_b32_e32 v58, v40
	s_mov_b32 s52, exec_lo
	v_and_b32_e32 v60, 0x7f, v35
	v_mov_b32_e32 v57, v39
	v_cmpx_ne_u32_e32 0x7f, v60
	s_cbranch_execz .LBB208_64
; %bb.61:                               ;   in Loop: Header=BB208_13 Depth=1
	v_and_b32_e32 v35, 7, v35
	v_lshrrev_b32_e32 v37, 3, v60
	s_mov_b32 s53, exec_lo
	v_cmpx_gt_u32_e32 8, v60
; %bb.62:                               ;   in Loop: Header=BB208_13 Depth=1
	v_ffbh_u32_e32 v37, v35
	v_min_u32_e32 v37, 32, v37
	v_subrev_nc_u32_e32 v39, 28, v37
	v_sub_nc_u32_e32 v37, 29, v37
	v_lshlrev_b64 v[57:58], v39, v[35:36]
	v_and_b32_e32 v35, 7, v57
; %bb.63:                               ;   in Loop: Header=BB208_13 Depth=1
	s_or_b32 exec_lo, exec_lo, s53
	v_lshlrev_b32_e32 v39, 16, v59
	v_lshlrev_b32_e32 v35, 20, v35
	v_lshl_add_u32 v37, v37, 23, 0x3c000000
	v_mov_b32_e32 v57, v36
	v_and_b32_e32 v39, 0x80000000, v39
	v_or3_b32 v58, v35, v39, v37
.LBB208_64:                             ;   in Loop: Header=BB208_13 Depth=1
	s_or_b32 exec_lo, exec_lo, s52
.LBB208_65:                             ;   in Loop: Header=BB208_13 Depth=1
	s_or_b32 exec_lo, exec_lo, s51
.LBB208_66:                             ;   in Loop: Header=BB208_13 Depth=1
	s_or_b32 exec_lo, exec_lo, s50
	global_load_ushort v35, v[49:50], off offset:12
	v_mov_b32_e32 v61, 0
	v_mov_b32_e32 v59, 0
	;; [unrolled: 1-line block ×4, first 2 shown]
	s_waitcnt vmcnt(0)
	v_and_b32_e32 v63, 0xffff, v35
	v_cmp_ne_u16_sdwa s3, v35, v36 src0_sel:BYTE_0 src1_sel:DWORD
	s_and_saveexec_b32 s50, s3
	s_cbranch_execz .LBB208_74
; %bb.67:                               ;   in Loop: Header=BB208_13 Depth=1
	v_bfrev_b32_e32 v59, 1
	v_mov_b32_e32 v60, 0
	v_cmp_ne_u16_sdwa s3, v63, v118 src0_sel:BYTE_0 src1_sel:DWORD
	s_and_saveexec_b32 s51, s3
	s_cbranch_execz .LBB208_73
; %bb.68:                               ;   in Loop: Header=BB208_13 Depth=1
	v_mov_b32_e32 v59, 0x7f800001
	v_and_b32_e32 v39, 0x7f, v63
	v_mov_b32_e32 v60, 0
	s_mov_b32 s52, exec_lo
	v_cmpx_ne_u32_e32 0x7f, v39
	s_cbranch_execz .LBB208_72
; %bb.69:                               ;   in Loop: Header=BB208_13 Depth=1
	v_and_b32_e32 v35, 7, v63
	v_lshrrev_b32_e32 v37, 3, v39
	s_mov_b32 s53, exec_lo
	v_cmpx_gt_u32_e32 8, v39
; %bb.70:                               ;   in Loop: Header=BB208_13 Depth=1
	v_ffbh_u32_e32 v37, v35
	v_min_u32_e32 v37, 32, v37
	v_subrev_nc_u32_e32 v39, 28, v37
	v_sub_nc_u32_e32 v37, 29, v37
	v_lshlrev_b64 v[59:60], v39, v[35:36]
	v_and_b32_e32 v35, 7, v59
; %bb.71:                               ;   in Loop: Header=BB208_13 Depth=1
	s_or_b32 exec_lo, exec_lo, s53
	v_lshlrev_b32_e32 v39, 24, v63
	v_lshlrev_b32_e32 v35, 20, v35
	v_lshl_add_u32 v37, v37, 23, 0x3c000000
	v_and_b32_e32 v39, 0x80000000, v39
	v_or3_b32 v35, v35, v39, v37
	v_mov_b32_e32 v60, v36
	v_mov_b32_e32 v59, v35
.LBB208_72:                             ;   in Loop: Header=BB208_13 Depth=1
	s_or_b32 exec_lo, exec_lo, s52
.LBB208_73:                             ;   in Loop: Header=BB208_13 Depth=1
	s_or_b32 exec_lo, exec_lo, s51
.LBB208_74:                             ;   in Loop: Header=BB208_13 Depth=1
	s_or_b32 exec_lo, exec_lo, s50
	v_cmp_ne_u16_sdwa s3, v63, v36 src0_sel:BYTE_1 src1_sel:DWORD
	s_and_saveexec_b32 s50, s3
	s_cbranch_execz .LBB208_82
; %bb.75:                               ;   in Loop: Header=BB208_13 Depth=1
	v_mov_b32_e32 v37, v36
	v_mov_b32_e32 v62, v38
	v_cmp_ne_u16_sdwa s3, v63, v118 src0_sel:BYTE_1 src1_sel:DWORD
	v_mov_b32_e32 v61, v37
	s_and_saveexec_b32 s51, s3
	s_cbranch_execz .LBB208_81
; %bb.76:                               ;   in Loop: Header=BB208_13 Depth=1
	v_and_b32_sdwa v35, v119, v63 dst_sel:DWORD dst_unused:UNUSED_PAD src0_sel:DWORD src1_sel:BYTE_1
	v_mov_b32_e32 v39, v36
	v_mov_b32_e32 v62, v40
	s_mov_b32 s52, exec_lo
	v_and_b32_e32 v64, 0x7f, v35
	v_mov_b32_e32 v61, v39
	v_cmpx_ne_u32_e32 0x7f, v64
	s_cbranch_execz .LBB208_80
; %bb.77:                               ;   in Loop: Header=BB208_13 Depth=1
	v_and_b32_e32 v35, 7, v35
	v_lshrrev_b32_e32 v37, 3, v64
	s_mov_b32 s53, exec_lo
	v_cmpx_gt_u32_e32 8, v64
; %bb.78:                               ;   in Loop: Header=BB208_13 Depth=1
	v_ffbh_u32_e32 v37, v35
	v_min_u32_e32 v37, 32, v37
	v_subrev_nc_u32_e32 v39, 28, v37
	v_sub_nc_u32_e32 v37, 29, v37
	v_lshlrev_b64 v[61:62], v39, v[35:36]
	v_and_b32_e32 v35, 7, v61
; %bb.79:                               ;   in Loop: Header=BB208_13 Depth=1
	s_or_b32 exec_lo, exec_lo, s53
	v_lshlrev_b32_e32 v39, 16, v63
	v_lshlrev_b32_e32 v35, 20, v35
	v_lshl_add_u32 v37, v37, 23, 0x3c000000
	v_mov_b32_e32 v61, v36
	v_and_b32_e32 v39, 0x80000000, v39
	v_or3_b32 v62, v35, v39, v37
.LBB208_80:                             ;   in Loop: Header=BB208_13 Depth=1
	s_or_b32 exec_lo, exec_lo, s52
.LBB208_81:                             ;   in Loop: Header=BB208_13 Depth=1
	s_or_b32 exec_lo, exec_lo, s51
.LBB208_82:                             ;   in Loop: Header=BB208_13 Depth=1
	s_or_b32 exec_lo, exec_lo, s50
	global_load_ushort v35, v[49:50], off offset:256
	v_mov_b32_e32 v65, 0
	v_mov_b32_e32 v63, 0
	;; [unrolled: 1-line block ×4, first 2 shown]
	s_waitcnt vmcnt(0)
	v_and_b32_e32 v67, 0xffff, v35
	v_cmp_ne_u16_sdwa s3, v35, v36 src0_sel:BYTE_0 src1_sel:DWORD
	s_and_saveexec_b32 s50, s3
	s_cbranch_execz .LBB208_90
; %bb.83:                               ;   in Loop: Header=BB208_13 Depth=1
	v_bfrev_b32_e32 v63, 1
	v_mov_b32_e32 v64, 0
	v_cmp_ne_u16_sdwa s3, v67, v118 src0_sel:BYTE_0 src1_sel:DWORD
	s_and_saveexec_b32 s51, s3
	s_cbranch_execz .LBB208_89
; %bb.84:                               ;   in Loop: Header=BB208_13 Depth=1
	v_mov_b32_e32 v63, 0x7f800001
	v_and_b32_e32 v39, 0x7f, v67
	v_mov_b32_e32 v64, 0
	s_mov_b32 s52, exec_lo
	v_cmpx_ne_u32_e32 0x7f, v39
	s_cbranch_execz .LBB208_88
; %bb.85:                               ;   in Loop: Header=BB208_13 Depth=1
	v_and_b32_e32 v35, 7, v67
	v_lshrrev_b32_e32 v37, 3, v39
	s_mov_b32 s53, exec_lo
	v_cmpx_gt_u32_e32 8, v39
; %bb.86:                               ;   in Loop: Header=BB208_13 Depth=1
	v_ffbh_u32_e32 v37, v35
	v_min_u32_e32 v37, 32, v37
	v_subrev_nc_u32_e32 v39, 28, v37
	v_sub_nc_u32_e32 v37, 29, v37
	v_lshlrev_b64 v[63:64], v39, v[35:36]
	v_and_b32_e32 v35, 7, v63
; %bb.87:                               ;   in Loop: Header=BB208_13 Depth=1
	s_or_b32 exec_lo, exec_lo, s53
	v_lshlrev_b32_e32 v39, 24, v67
	v_lshlrev_b32_e32 v35, 20, v35
	v_lshl_add_u32 v37, v37, 23, 0x3c000000
	v_and_b32_e32 v39, 0x80000000, v39
	v_or3_b32 v35, v35, v39, v37
	v_mov_b32_e32 v64, v36
	v_mov_b32_e32 v63, v35
.LBB208_88:                             ;   in Loop: Header=BB208_13 Depth=1
	s_or_b32 exec_lo, exec_lo, s52
.LBB208_89:                             ;   in Loop: Header=BB208_13 Depth=1
	s_or_b32 exec_lo, exec_lo, s51
.LBB208_90:                             ;   in Loop: Header=BB208_13 Depth=1
	s_or_b32 exec_lo, exec_lo, s50
	v_cmp_ne_u16_sdwa s3, v67, v36 src0_sel:BYTE_1 src1_sel:DWORD
	s_and_saveexec_b32 s50, s3
	s_cbranch_execz .LBB208_98
; %bb.91:                               ;   in Loop: Header=BB208_13 Depth=1
	v_mov_b32_e32 v37, v36
	v_mov_b32_e32 v66, v38
	v_cmp_ne_u16_sdwa s3, v67, v118 src0_sel:BYTE_1 src1_sel:DWORD
	v_mov_b32_e32 v65, v37
	s_and_saveexec_b32 s51, s3
	s_cbranch_execz .LBB208_97
; %bb.92:                               ;   in Loop: Header=BB208_13 Depth=1
	v_and_b32_sdwa v35, v119, v67 dst_sel:DWORD dst_unused:UNUSED_PAD src0_sel:DWORD src1_sel:BYTE_1
	v_mov_b32_e32 v39, v36
	v_mov_b32_e32 v66, v40
	s_mov_b32 s52, exec_lo
	v_and_b32_e32 v68, 0x7f, v35
	v_mov_b32_e32 v65, v39
	v_cmpx_ne_u32_e32 0x7f, v68
	s_cbranch_execz .LBB208_96
; %bb.93:                               ;   in Loop: Header=BB208_13 Depth=1
	v_and_b32_e32 v35, 7, v35
	v_lshrrev_b32_e32 v37, 3, v68
	s_mov_b32 s53, exec_lo
	v_cmpx_gt_u32_e32 8, v68
; %bb.94:                               ;   in Loop: Header=BB208_13 Depth=1
	v_ffbh_u32_e32 v37, v35
	v_min_u32_e32 v37, 32, v37
	v_subrev_nc_u32_e32 v39, 28, v37
	v_sub_nc_u32_e32 v37, 29, v37
	v_lshlrev_b64 v[65:66], v39, v[35:36]
	v_and_b32_e32 v35, 7, v65
; %bb.95:                               ;   in Loop: Header=BB208_13 Depth=1
	s_or_b32 exec_lo, exec_lo, s53
	v_lshlrev_b32_e32 v39, 16, v67
	v_lshlrev_b32_e32 v35, 20, v35
	v_lshl_add_u32 v37, v37, 23, 0x3c000000
	v_mov_b32_e32 v65, v36
	v_and_b32_e32 v39, 0x80000000, v39
	v_or3_b32 v66, v35, v39, v37
.LBB208_96:                             ;   in Loop: Header=BB208_13 Depth=1
	s_or_b32 exec_lo, exec_lo, s52
.LBB208_97:                             ;   in Loop: Header=BB208_13 Depth=1
	s_or_b32 exec_lo, exec_lo, s51
.LBB208_98:                             ;   in Loop: Header=BB208_13 Depth=1
	s_or_b32 exec_lo, exec_lo, s50
	global_load_ushort v35, v[49:50], off offset:260
	v_mov_b32_e32 v69, 0
	v_mov_b32_e32 v67, 0
	;; [unrolled: 1-line block ×4, first 2 shown]
	s_waitcnt vmcnt(0)
	v_and_b32_e32 v71, 0xffff, v35
	v_cmp_ne_u16_sdwa s3, v35, v36 src0_sel:BYTE_0 src1_sel:DWORD
	s_and_saveexec_b32 s50, s3
	s_cbranch_execz .LBB208_106
; %bb.99:                               ;   in Loop: Header=BB208_13 Depth=1
	v_bfrev_b32_e32 v67, 1
	v_mov_b32_e32 v68, 0
	v_cmp_ne_u16_sdwa s3, v71, v118 src0_sel:BYTE_0 src1_sel:DWORD
	s_and_saveexec_b32 s51, s3
	s_cbranch_execz .LBB208_105
; %bb.100:                              ;   in Loop: Header=BB208_13 Depth=1
	v_mov_b32_e32 v67, 0x7f800001
	v_and_b32_e32 v39, 0x7f, v71
	v_mov_b32_e32 v68, 0
	s_mov_b32 s52, exec_lo
	v_cmpx_ne_u32_e32 0x7f, v39
	s_cbranch_execz .LBB208_104
; %bb.101:                              ;   in Loop: Header=BB208_13 Depth=1
	v_and_b32_e32 v35, 7, v71
	v_lshrrev_b32_e32 v37, 3, v39
	s_mov_b32 s53, exec_lo
	v_cmpx_gt_u32_e32 8, v39
; %bb.102:                              ;   in Loop: Header=BB208_13 Depth=1
	v_ffbh_u32_e32 v37, v35
	v_min_u32_e32 v37, 32, v37
	v_subrev_nc_u32_e32 v39, 28, v37
	v_sub_nc_u32_e32 v37, 29, v37
	v_lshlrev_b64 v[67:68], v39, v[35:36]
	v_and_b32_e32 v35, 7, v67
; %bb.103:                              ;   in Loop: Header=BB208_13 Depth=1
	s_or_b32 exec_lo, exec_lo, s53
	v_lshlrev_b32_e32 v39, 24, v71
	v_lshlrev_b32_e32 v35, 20, v35
	v_lshl_add_u32 v37, v37, 23, 0x3c000000
	v_and_b32_e32 v39, 0x80000000, v39
	v_or3_b32 v35, v35, v39, v37
	v_mov_b32_e32 v68, v36
	v_mov_b32_e32 v67, v35
.LBB208_104:                            ;   in Loop: Header=BB208_13 Depth=1
	s_or_b32 exec_lo, exec_lo, s52
.LBB208_105:                            ;   in Loop: Header=BB208_13 Depth=1
	s_or_b32 exec_lo, exec_lo, s51
.LBB208_106:                            ;   in Loop: Header=BB208_13 Depth=1
	s_or_b32 exec_lo, exec_lo, s50
	v_cmp_ne_u16_sdwa s3, v71, v36 src0_sel:BYTE_1 src1_sel:DWORD
	s_and_saveexec_b32 s50, s3
	s_cbranch_execz .LBB208_114
; %bb.107:                              ;   in Loop: Header=BB208_13 Depth=1
	v_mov_b32_e32 v37, v36
	v_mov_b32_e32 v70, v38
	v_cmp_ne_u16_sdwa s3, v71, v118 src0_sel:BYTE_1 src1_sel:DWORD
	v_mov_b32_e32 v69, v37
	s_and_saveexec_b32 s51, s3
	s_cbranch_execz .LBB208_113
; %bb.108:                              ;   in Loop: Header=BB208_13 Depth=1
	v_and_b32_sdwa v35, v119, v71 dst_sel:DWORD dst_unused:UNUSED_PAD src0_sel:DWORD src1_sel:BYTE_1
	v_mov_b32_e32 v39, v36
	v_mov_b32_e32 v70, v40
	s_mov_b32 s52, exec_lo
	v_and_b32_e32 v72, 0x7f, v35
	v_mov_b32_e32 v69, v39
	v_cmpx_ne_u32_e32 0x7f, v72
	s_cbranch_execz .LBB208_112
; %bb.109:                              ;   in Loop: Header=BB208_13 Depth=1
	v_and_b32_e32 v35, 7, v35
	v_lshrrev_b32_e32 v37, 3, v72
	s_mov_b32 s53, exec_lo
	v_cmpx_gt_u32_e32 8, v72
; %bb.110:                              ;   in Loop: Header=BB208_13 Depth=1
	v_ffbh_u32_e32 v37, v35
	v_min_u32_e32 v37, 32, v37
	v_subrev_nc_u32_e32 v39, 28, v37
	v_sub_nc_u32_e32 v37, 29, v37
	v_lshlrev_b64 v[69:70], v39, v[35:36]
	v_and_b32_e32 v35, 7, v69
; %bb.111:                              ;   in Loop: Header=BB208_13 Depth=1
	s_or_b32 exec_lo, exec_lo, s53
	v_lshlrev_b32_e32 v39, 16, v71
	v_lshlrev_b32_e32 v35, 20, v35
	v_lshl_add_u32 v37, v37, 23, 0x3c000000
	v_mov_b32_e32 v69, v36
	v_and_b32_e32 v39, 0x80000000, v39
	v_or3_b32 v70, v35, v39, v37
.LBB208_112:                            ;   in Loop: Header=BB208_13 Depth=1
	s_or_b32 exec_lo, exec_lo, s52
.LBB208_113:                            ;   in Loop: Header=BB208_13 Depth=1
	s_or_b32 exec_lo, exec_lo, s51
.LBB208_114:                            ;   in Loop: Header=BB208_13 Depth=1
	s_or_b32 exec_lo, exec_lo, s50
	global_load_ushort v35, v[49:50], off offset:264
	v_mov_b32_e32 v73, 0
	v_mov_b32_e32 v71, 0
	;; [unrolled: 1-line block ×4, first 2 shown]
	s_waitcnt vmcnt(0)
	v_and_b32_e32 v75, 0xffff, v35
	v_cmp_ne_u16_sdwa s3, v35, v36 src0_sel:BYTE_0 src1_sel:DWORD
	s_and_saveexec_b32 s50, s3
	s_cbranch_execz .LBB208_122
; %bb.115:                              ;   in Loop: Header=BB208_13 Depth=1
	v_bfrev_b32_e32 v71, 1
	v_mov_b32_e32 v72, 0
	v_cmp_ne_u16_sdwa s3, v75, v118 src0_sel:BYTE_0 src1_sel:DWORD
	s_and_saveexec_b32 s51, s3
	s_cbranch_execz .LBB208_121
; %bb.116:                              ;   in Loop: Header=BB208_13 Depth=1
	v_mov_b32_e32 v71, 0x7f800001
	v_and_b32_e32 v39, 0x7f, v75
	v_mov_b32_e32 v72, 0
	s_mov_b32 s52, exec_lo
	v_cmpx_ne_u32_e32 0x7f, v39
	s_cbranch_execz .LBB208_120
; %bb.117:                              ;   in Loop: Header=BB208_13 Depth=1
	v_and_b32_e32 v35, 7, v75
	v_lshrrev_b32_e32 v37, 3, v39
	s_mov_b32 s53, exec_lo
	v_cmpx_gt_u32_e32 8, v39
; %bb.118:                              ;   in Loop: Header=BB208_13 Depth=1
	v_ffbh_u32_e32 v37, v35
	v_min_u32_e32 v37, 32, v37
	v_subrev_nc_u32_e32 v39, 28, v37
	v_sub_nc_u32_e32 v37, 29, v37
	v_lshlrev_b64 v[71:72], v39, v[35:36]
	v_and_b32_e32 v35, 7, v71
; %bb.119:                              ;   in Loop: Header=BB208_13 Depth=1
	s_or_b32 exec_lo, exec_lo, s53
	v_lshlrev_b32_e32 v39, 24, v75
	v_lshlrev_b32_e32 v35, 20, v35
	v_lshl_add_u32 v37, v37, 23, 0x3c000000
	v_and_b32_e32 v39, 0x80000000, v39
	v_or3_b32 v35, v35, v39, v37
	v_mov_b32_e32 v72, v36
	v_mov_b32_e32 v71, v35
.LBB208_120:                            ;   in Loop: Header=BB208_13 Depth=1
	s_or_b32 exec_lo, exec_lo, s52
.LBB208_121:                            ;   in Loop: Header=BB208_13 Depth=1
	s_or_b32 exec_lo, exec_lo, s51
.LBB208_122:                            ;   in Loop: Header=BB208_13 Depth=1
	s_or_b32 exec_lo, exec_lo, s50
	v_cmp_ne_u16_sdwa s3, v75, v36 src0_sel:BYTE_1 src1_sel:DWORD
	s_and_saveexec_b32 s50, s3
	s_cbranch_execz .LBB208_130
; %bb.123:                              ;   in Loop: Header=BB208_13 Depth=1
	v_mov_b32_e32 v37, v36
	v_mov_b32_e32 v74, v38
	v_cmp_ne_u16_sdwa s3, v75, v118 src0_sel:BYTE_1 src1_sel:DWORD
	v_mov_b32_e32 v73, v37
	s_and_saveexec_b32 s51, s3
	s_cbranch_execz .LBB208_129
; %bb.124:                              ;   in Loop: Header=BB208_13 Depth=1
	v_and_b32_sdwa v35, v119, v75 dst_sel:DWORD dst_unused:UNUSED_PAD src0_sel:DWORD src1_sel:BYTE_1
	v_mov_b32_e32 v39, v36
	v_mov_b32_e32 v74, v40
	s_mov_b32 s52, exec_lo
	v_and_b32_e32 v76, 0x7f, v35
	v_mov_b32_e32 v73, v39
	v_cmpx_ne_u32_e32 0x7f, v76
	s_cbranch_execz .LBB208_128
; %bb.125:                              ;   in Loop: Header=BB208_13 Depth=1
	v_and_b32_e32 v35, 7, v35
	v_lshrrev_b32_e32 v37, 3, v76
	s_mov_b32 s53, exec_lo
	v_cmpx_gt_u32_e32 8, v76
; %bb.126:                              ;   in Loop: Header=BB208_13 Depth=1
	v_ffbh_u32_e32 v37, v35
	v_min_u32_e32 v37, 32, v37
	v_subrev_nc_u32_e32 v39, 28, v37
	v_sub_nc_u32_e32 v37, 29, v37
	v_lshlrev_b64 v[73:74], v39, v[35:36]
	v_and_b32_e32 v35, 7, v73
; %bb.127:                              ;   in Loop: Header=BB208_13 Depth=1
	s_or_b32 exec_lo, exec_lo, s53
	v_lshlrev_b32_e32 v39, 16, v75
	v_lshlrev_b32_e32 v35, 20, v35
	v_lshl_add_u32 v37, v37, 23, 0x3c000000
	v_mov_b32_e32 v73, v36
	v_and_b32_e32 v39, 0x80000000, v39
	v_or3_b32 v74, v35, v39, v37
.LBB208_128:                            ;   in Loop: Header=BB208_13 Depth=1
	s_or_b32 exec_lo, exec_lo, s52
.LBB208_129:                            ;   in Loop: Header=BB208_13 Depth=1
	s_or_b32 exec_lo, exec_lo, s51
.LBB208_130:                            ;   in Loop: Header=BB208_13 Depth=1
	s_or_b32 exec_lo, exec_lo, s50
	global_load_ushort v35, v[49:50], off offset:268
	v_mov_b32_e32 v77, 0
	v_mov_b32_e32 v75, 0
	;; [unrolled: 1-line block ×4, first 2 shown]
	s_waitcnt vmcnt(0)
	v_and_b32_e32 v79, 0xffff, v35
	v_cmp_ne_u16_sdwa s3, v35, v36 src0_sel:BYTE_0 src1_sel:DWORD
	s_and_saveexec_b32 s50, s3
	s_cbranch_execz .LBB208_138
; %bb.131:                              ;   in Loop: Header=BB208_13 Depth=1
	v_bfrev_b32_e32 v75, 1
	v_mov_b32_e32 v76, 0
	v_cmp_ne_u16_sdwa s3, v79, v118 src0_sel:BYTE_0 src1_sel:DWORD
	s_and_saveexec_b32 s51, s3
	s_cbranch_execz .LBB208_137
; %bb.132:                              ;   in Loop: Header=BB208_13 Depth=1
	v_mov_b32_e32 v75, 0x7f800001
	v_and_b32_e32 v39, 0x7f, v79
	v_mov_b32_e32 v76, 0
	s_mov_b32 s52, exec_lo
	v_cmpx_ne_u32_e32 0x7f, v39
	s_cbranch_execz .LBB208_136
; %bb.133:                              ;   in Loop: Header=BB208_13 Depth=1
	v_and_b32_e32 v35, 7, v79
	v_lshrrev_b32_e32 v37, 3, v39
	s_mov_b32 s53, exec_lo
	v_cmpx_gt_u32_e32 8, v39
; %bb.134:                              ;   in Loop: Header=BB208_13 Depth=1
	v_ffbh_u32_e32 v37, v35
	v_min_u32_e32 v37, 32, v37
	v_subrev_nc_u32_e32 v39, 28, v37
	v_sub_nc_u32_e32 v37, 29, v37
	v_lshlrev_b64 v[75:76], v39, v[35:36]
	v_and_b32_e32 v35, 7, v75
; %bb.135:                              ;   in Loop: Header=BB208_13 Depth=1
	s_or_b32 exec_lo, exec_lo, s53
	v_lshlrev_b32_e32 v39, 24, v79
	v_lshlrev_b32_e32 v35, 20, v35
	v_lshl_add_u32 v37, v37, 23, 0x3c000000
	v_and_b32_e32 v39, 0x80000000, v39
	v_or3_b32 v35, v35, v39, v37
	v_mov_b32_e32 v76, v36
	v_mov_b32_e32 v75, v35
.LBB208_136:                            ;   in Loop: Header=BB208_13 Depth=1
	s_or_b32 exec_lo, exec_lo, s52
.LBB208_137:                            ;   in Loop: Header=BB208_13 Depth=1
	s_or_b32 exec_lo, exec_lo, s51
.LBB208_138:                            ;   in Loop: Header=BB208_13 Depth=1
	s_or_b32 exec_lo, exec_lo, s50
	v_cmp_ne_u16_sdwa s3, v79, v36 src0_sel:BYTE_1 src1_sel:DWORD
	s_and_saveexec_b32 s50, s3
	s_cbranch_execz .LBB208_146
; %bb.139:                              ;   in Loop: Header=BB208_13 Depth=1
	v_mov_b32_e32 v37, v36
	v_mov_b32_e32 v78, v38
	v_cmp_ne_u16_sdwa s3, v79, v118 src0_sel:BYTE_1 src1_sel:DWORD
	v_mov_b32_e32 v77, v37
	s_and_saveexec_b32 s51, s3
	s_cbranch_execz .LBB208_145
; %bb.140:                              ;   in Loop: Header=BB208_13 Depth=1
	v_and_b32_sdwa v35, v119, v79 dst_sel:DWORD dst_unused:UNUSED_PAD src0_sel:DWORD src1_sel:BYTE_1
	v_mov_b32_e32 v39, v36
	v_mov_b32_e32 v78, v40
	s_mov_b32 s52, exec_lo
	v_and_b32_e32 v80, 0x7f, v35
	v_mov_b32_e32 v77, v39
	v_cmpx_ne_u32_e32 0x7f, v80
	s_cbranch_execz .LBB208_144
; %bb.141:                              ;   in Loop: Header=BB208_13 Depth=1
	v_and_b32_e32 v35, 7, v35
	v_lshrrev_b32_e32 v37, 3, v80
	s_mov_b32 s53, exec_lo
	v_cmpx_gt_u32_e32 8, v80
; %bb.142:                              ;   in Loop: Header=BB208_13 Depth=1
	v_ffbh_u32_e32 v37, v35
	v_min_u32_e32 v37, 32, v37
	v_subrev_nc_u32_e32 v39, 28, v37
	v_sub_nc_u32_e32 v37, 29, v37
	v_lshlrev_b64 v[77:78], v39, v[35:36]
	v_and_b32_e32 v35, 7, v77
; %bb.143:                              ;   in Loop: Header=BB208_13 Depth=1
	s_or_b32 exec_lo, exec_lo, s53
	v_lshlrev_b32_e32 v39, 16, v79
	v_lshlrev_b32_e32 v35, 20, v35
	v_lshl_add_u32 v37, v37, 23, 0x3c000000
	v_mov_b32_e32 v77, v36
	v_and_b32_e32 v39, 0x80000000, v39
	v_or3_b32 v78, v35, v39, v37
.LBB208_144:                            ;   in Loop: Header=BB208_13 Depth=1
	s_or_b32 exec_lo, exec_lo, s52
.LBB208_145:                            ;   in Loop: Header=BB208_13 Depth=1
	s_or_b32 exec_lo, exec_lo, s51
.LBB208_146:                            ;   in Loop: Header=BB208_13 Depth=1
	s_or_b32 exec_lo, exec_lo, s50
	global_load_ushort v35, v[49:50], off offset:512
	v_mov_b32_e32 v81, 0
	v_mov_b32_e32 v79, 0
	;; [unrolled: 1-line block ×4, first 2 shown]
	s_waitcnt vmcnt(0)
	v_and_b32_e32 v83, 0xffff, v35
	v_cmp_ne_u16_sdwa s3, v35, v36 src0_sel:BYTE_0 src1_sel:DWORD
	s_and_saveexec_b32 s50, s3
	s_cbranch_execz .LBB208_154
; %bb.147:                              ;   in Loop: Header=BB208_13 Depth=1
	v_bfrev_b32_e32 v79, 1
	v_mov_b32_e32 v80, 0
	v_cmp_ne_u16_sdwa s3, v83, v118 src0_sel:BYTE_0 src1_sel:DWORD
	s_and_saveexec_b32 s51, s3
	s_cbranch_execz .LBB208_153
; %bb.148:                              ;   in Loop: Header=BB208_13 Depth=1
	v_mov_b32_e32 v79, 0x7f800001
	v_and_b32_e32 v39, 0x7f, v83
	v_mov_b32_e32 v80, 0
	s_mov_b32 s52, exec_lo
	v_cmpx_ne_u32_e32 0x7f, v39
	s_cbranch_execz .LBB208_152
; %bb.149:                              ;   in Loop: Header=BB208_13 Depth=1
	v_and_b32_e32 v35, 7, v83
	v_lshrrev_b32_e32 v37, 3, v39
	s_mov_b32 s53, exec_lo
	v_cmpx_gt_u32_e32 8, v39
; %bb.150:                              ;   in Loop: Header=BB208_13 Depth=1
	v_ffbh_u32_e32 v37, v35
	v_min_u32_e32 v37, 32, v37
	v_subrev_nc_u32_e32 v39, 28, v37
	v_sub_nc_u32_e32 v37, 29, v37
	v_lshlrev_b64 v[79:80], v39, v[35:36]
	v_and_b32_e32 v35, 7, v79
; %bb.151:                              ;   in Loop: Header=BB208_13 Depth=1
	s_or_b32 exec_lo, exec_lo, s53
	v_lshlrev_b32_e32 v39, 24, v83
	v_lshlrev_b32_e32 v35, 20, v35
	v_lshl_add_u32 v37, v37, 23, 0x3c000000
	v_and_b32_e32 v39, 0x80000000, v39
	v_or3_b32 v35, v35, v39, v37
	v_mov_b32_e32 v80, v36
	v_mov_b32_e32 v79, v35
.LBB208_152:                            ;   in Loop: Header=BB208_13 Depth=1
	s_or_b32 exec_lo, exec_lo, s52
.LBB208_153:                            ;   in Loop: Header=BB208_13 Depth=1
	s_or_b32 exec_lo, exec_lo, s51
.LBB208_154:                            ;   in Loop: Header=BB208_13 Depth=1
	s_or_b32 exec_lo, exec_lo, s50
	v_cmp_ne_u16_sdwa s3, v83, v36 src0_sel:BYTE_1 src1_sel:DWORD
	s_and_saveexec_b32 s50, s3
	s_cbranch_execz .LBB208_162
; %bb.155:                              ;   in Loop: Header=BB208_13 Depth=1
	v_mov_b32_e32 v37, v36
	v_mov_b32_e32 v82, v38
	v_cmp_ne_u16_sdwa s3, v83, v118 src0_sel:BYTE_1 src1_sel:DWORD
	v_mov_b32_e32 v81, v37
	s_and_saveexec_b32 s51, s3
	s_cbranch_execz .LBB208_161
; %bb.156:                              ;   in Loop: Header=BB208_13 Depth=1
	v_and_b32_sdwa v35, v119, v83 dst_sel:DWORD dst_unused:UNUSED_PAD src0_sel:DWORD src1_sel:BYTE_1
	v_mov_b32_e32 v39, v36
	v_mov_b32_e32 v82, v40
	s_mov_b32 s52, exec_lo
	v_and_b32_e32 v84, 0x7f, v35
	v_mov_b32_e32 v81, v39
	v_cmpx_ne_u32_e32 0x7f, v84
	s_cbranch_execz .LBB208_160
; %bb.157:                              ;   in Loop: Header=BB208_13 Depth=1
	v_and_b32_e32 v35, 7, v35
	v_lshrrev_b32_e32 v37, 3, v84
	s_mov_b32 s53, exec_lo
	v_cmpx_gt_u32_e32 8, v84
; %bb.158:                              ;   in Loop: Header=BB208_13 Depth=1
	v_ffbh_u32_e32 v37, v35
	v_min_u32_e32 v37, 32, v37
	v_subrev_nc_u32_e32 v39, 28, v37
	v_sub_nc_u32_e32 v37, 29, v37
	v_lshlrev_b64 v[81:82], v39, v[35:36]
	v_and_b32_e32 v35, 7, v81
; %bb.159:                              ;   in Loop: Header=BB208_13 Depth=1
	s_or_b32 exec_lo, exec_lo, s53
	v_lshlrev_b32_e32 v39, 16, v83
	v_lshlrev_b32_e32 v35, 20, v35
	v_lshl_add_u32 v37, v37, 23, 0x3c000000
	v_mov_b32_e32 v81, v36
	v_and_b32_e32 v39, 0x80000000, v39
	v_or3_b32 v82, v35, v39, v37
.LBB208_160:                            ;   in Loop: Header=BB208_13 Depth=1
	s_or_b32 exec_lo, exec_lo, s52
.LBB208_161:                            ;   in Loop: Header=BB208_13 Depth=1
	s_or_b32 exec_lo, exec_lo, s51
.LBB208_162:                            ;   in Loop: Header=BB208_13 Depth=1
	s_or_b32 exec_lo, exec_lo, s50
	global_load_ushort v35, v[49:50], off offset:516
	v_mov_b32_e32 v85, 0
	v_mov_b32_e32 v83, 0
	;; [unrolled: 1-line block ×4, first 2 shown]
	s_waitcnt vmcnt(0)
	v_and_b32_e32 v87, 0xffff, v35
	v_cmp_ne_u16_sdwa s3, v35, v36 src0_sel:BYTE_0 src1_sel:DWORD
	s_and_saveexec_b32 s50, s3
	s_cbranch_execz .LBB208_170
; %bb.163:                              ;   in Loop: Header=BB208_13 Depth=1
	v_bfrev_b32_e32 v83, 1
	v_mov_b32_e32 v84, 0
	v_cmp_ne_u16_sdwa s3, v87, v118 src0_sel:BYTE_0 src1_sel:DWORD
	s_and_saveexec_b32 s51, s3
	s_cbranch_execz .LBB208_169
; %bb.164:                              ;   in Loop: Header=BB208_13 Depth=1
	v_mov_b32_e32 v83, 0x7f800001
	v_and_b32_e32 v39, 0x7f, v87
	v_mov_b32_e32 v84, 0
	s_mov_b32 s52, exec_lo
	v_cmpx_ne_u32_e32 0x7f, v39
	s_cbranch_execz .LBB208_168
; %bb.165:                              ;   in Loop: Header=BB208_13 Depth=1
	v_and_b32_e32 v35, 7, v87
	v_lshrrev_b32_e32 v37, 3, v39
	s_mov_b32 s53, exec_lo
	v_cmpx_gt_u32_e32 8, v39
; %bb.166:                              ;   in Loop: Header=BB208_13 Depth=1
	v_ffbh_u32_e32 v37, v35
	v_min_u32_e32 v37, 32, v37
	v_subrev_nc_u32_e32 v39, 28, v37
	v_sub_nc_u32_e32 v37, 29, v37
	v_lshlrev_b64 v[83:84], v39, v[35:36]
	v_and_b32_e32 v35, 7, v83
; %bb.167:                              ;   in Loop: Header=BB208_13 Depth=1
	s_or_b32 exec_lo, exec_lo, s53
	v_lshlrev_b32_e32 v39, 24, v87
	v_lshlrev_b32_e32 v35, 20, v35
	v_lshl_add_u32 v37, v37, 23, 0x3c000000
	v_and_b32_e32 v39, 0x80000000, v39
	v_or3_b32 v35, v35, v39, v37
	v_mov_b32_e32 v84, v36
	v_mov_b32_e32 v83, v35
.LBB208_168:                            ;   in Loop: Header=BB208_13 Depth=1
	s_or_b32 exec_lo, exec_lo, s52
.LBB208_169:                            ;   in Loop: Header=BB208_13 Depth=1
	s_or_b32 exec_lo, exec_lo, s51
.LBB208_170:                            ;   in Loop: Header=BB208_13 Depth=1
	s_or_b32 exec_lo, exec_lo, s50
	v_cmp_ne_u16_sdwa s3, v87, v36 src0_sel:BYTE_1 src1_sel:DWORD
	s_and_saveexec_b32 s50, s3
	s_cbranch_execz .LBB208_178
; %bb.171:                              ;   in Loop: Header=BB208_13 Depth=1
	v_mov_b32_e32 v37, v36
	v_mov_b32_e32 v86, v38
	v_cmp_ne_u16_sdwa s3, v87, v118 src0_sel:BYTE_1 src1_sel:DWORD
	v_mov_b32_e32 v85, v37
	s_and_saveexec_b32 s51, s3
	s_cbranch_execz .LBB208_177
; %bb.172:                              ;   in Loop: Header=BB208_13 Depth=1
	v_and_b32_sdwa v35, v119, v87 dst_sel:DWORD dst_unused:UNUSED_PAD src0_sel:DWORD src1_sel:BYTE_1
	v_mov_b32_e32 v39, v36
	v_mov_b32_e32 v86, v40
	s_mov_b32 s52, exec_lo
	v_and_b32_e32 v88, 0x7f, v35
	v_mov_b32_e32 v85, v39
	v_cmpx_ne_u32_e32 0x7f, v88
	s_cbranch_execz .LBB208_176
; %bb.173:                              ;   in Loop: Header=BB208_13 Depth=1
	v_and_b32_e32 v35, 7, v35
	v_lshrrev_b32_e32 v37, 3, v88
	s_mov_b32 s53, exec_lo
	v_cmpx_gt_u32_e32 8, v88
; %bb.174:                              ;   in Loop: Header=BB208_13 Depth=1
	v_ffbh_u32_e32 v37, v35
	v_min_u32_e32 v37, 32, v37
	v_subrev_nc_u32_e32 v39, 28, v37
	v_sub_nc_u32_e32 v37, 29, v37
	v_lshlrev_b64 v[85:86], v39, v[35:36]
	v_and_b32_e32 v35, 7, v85
; %bb.175:                              ;   in Loop: Header=BB208_13 Depth=1
	s_or_b32 exec_lo, exec_lo, s53
	v_lshlrev_b32_e32 v39, 16, v87
	v_lshlrev_b32_e32 v35, 20, v35
	v_lshl_add_u32 v37, v37, 23, 0x3c000000
	v_mov_b32_e32 v85, v36
	v_and_b32_e32 v39, 0x80000000, v39
	v_or3_b32 v86, v35, v39, v37
.LBB208_176:                            ;   in Loop: Header=BB208_13 Depth=1
	s_or_b32 exec_lo, exec_lo, s52
.LBB208_177:                            ;   in Loop: Header=BB208_13 Depth=1
	s_or_b32 exec_lo, exec_lo, s51
.LBB208_178:                            ;   in Loop: Header=BB208_13 Depth=1
	s_or_b32 exec_lo, exec_lo, s50
	global_load_ushort v35, v[49:50], off offset:520
	v_mov_b32_e32 v89, 0
	v_mov_b32_e32 v87, 0
	;; [unrolled: 1-line block ×4, first 2 shown]
	s_waitcnt vmcnt(0)
	v_and_b32_e32 v91, 0xffff, v35
	v_cmp_ne_u16_sdwa s3, v35, v36 src0_sel:BYTE_0 src1_sel:DWORD
	s_and_saveexec_b32 s50, s3
	s_cbranch_execz .LBB208_186
; %bb.179:                              ;   in Loop: Header=BB208_13 Depth=1
	v_bfrev_b32_e32 v87, 1
	v_mov_b32_e32 v88, 0
	v_cmp_ne_u16_sdwa s3, v91, v118 src0_sel:BYTE_0 src1_sel:DWORD
	s_and_saveexec_b32 s51, s3
	s_cbranch_execz .LBB208_185
; %bb.180:                              ;   in Loop: Header=BB208_13 Depth=1
	v_mov_b32_e32 v87, 0x7f800001
	v_and_b32_e32 v39, 0x7f, v91
	v_mov_b32_e32 v88, 0
	s_mov_b32 s52, exec_lo
	v_cmpx_ne_u32_e32 0x7f, v39
	s_cbranch_execz .LBB208_184
; %bb.181:                              ;   in Loop: Header=BB208_13 Depth=1
	v_and_b32_e32 v35, 7, v91
	v_lshrrev_b32_e32 v37, 3, v39
	s_mov_b32 s53, exec_lo
	v_cmpx_gt_u32_e32 8, v39
; %bb.182:                              ;   in Loop: Header=BB208_13 Depth=1
	v_ffbh_u32_e32 v37, v35
	v_min_u32_e32 v37, 32, v37
	v_subrev_nc_u32_e32 v39, 28, v37
	v_sub_nc_u32_e32 v37, 29, v37
	v_lshlrev_b64 v[87:88], v39, v[35:36]
	v_and_b32_e32 v35, 7, v87
; %bb.183:                              ;   in Loop: Header=BB208_13 Depth=1
	s_or_b32 exec_lo, exec_lo, s53
	v_lshlrev_b32_e32 v39, 24, v91
	v_lshlrev_b32_e32 v35, 20, v35
	v_lshl_add_u32 v37, v37, 23, 0x3c000000
	v_and_b32_e32 v39, 0x80000000, v39
	v_or3_b32 v35, v35, v39, v37
	v_mov_b32_e32 v88, v36
	v_mov_b32_e32 v87, v35
.LBB208_184:                            ;   in Loop: Header=BB208_13 Depth=1
	s_or_b32 exec_lo, exec_lo, s52
.LBB208_185:                            ;   in Loop: Header=BB208_13 Depth=1
	s_or_b32 exec_lo, exec_lo, s51
.LBB208_186:                            ;   in Loop: Header=BB208_13 Depth=1
	s_or_b32 exec_lo, exec_lo, s50
	v_cmp_ne_u16_sdwa s3, v91, v36 src0_sel:BYTE_1 src1_sel:DWORD
	s_and_saveexec_b32 s50, s3
	s_cbranch_execz .LBB208_194
; %bb.187:                              ;   in Loop: Header=BB208_13 Depth=1
	v_mov_b32_e32 v37, v36
	v_mov_b32_e32 v90, v38
	v_cmp_ne_u16_sdwa s3, v91, v118 src0_sel:BYTE_1 src1_sel:DWORD
	v_mov_b32_e32 v89, v37
	s_and_saveexec_b32 s51, s3
	s_cbranch_execz .LBB208_193
; %bb.188:                              ;   in Loop: Header=BB208_13 Depth=1
	v_and_b32_sdwa v35, v119, v91 dst_sel:DWORD dst_unused:UNUSED_PAD src0_sel:DWORD src1_sel:BYTE_1
	v_mov_b32_e32 v39, v36
	v_mov_b32_e32 v90, v40
	s_mov_b32 s52, exec_lo
	v_and_b32_e32 v92, 0x7f, v35
	v_mov_b32_e32 v89, v39
	v_cmpx_ne_u32_e32 0x7f, v92
	s_cbranch_execz .LBB208_192
; %bb.189:                              ;   in Loop: Header=BB208_13 Depth=1
	v_and_b32_e32 v35, 7, v35
	v_lshrrev_b32_e32 v37, 3, v92
	s_mov_b32 s53, exec_lo
	v_cmpx_gt_u32_e32 8, v92
; %bb.190:                              ;   in Loop: Header=BB208_13 Depth=1
	v_ffbh_u32_e32 v37, v35
	v_min_u32_e32 v37, 32, v37
	v_subrev_nc_u32_e32 v39, 28, v37
	v_sub_nc_u32_e32 v37, 29, v37
	v_lshlrev_b64 v[89:90], v39, v[35:36]
	v_and_b32_e32 v35, 7, v89
; %bb.191:                              ;   in Loop: Header=BB208_13 Depth=1
	s_or_b32 exec_lo, exec_lo, s53
	v_lshlrev_b32_e32 v39, 16, v91
	v_lshlrev_b32_e32 v35, 20, v35
	v_lshl_add_u32 v37, v37, 23, 0x3c000000
	v_mov_b32_e32 v89, v36
	v_and_b32_e32 v39, 0x80000000, v39
	v_or3_b32 v90, v35, v39, v37
.LBB208_192:                            ;   in Loop: Header=BB208_13 Depth=1
	s_or_b32 exec_lo, exec_lo, s52
.LBB208_193:                            ;   in Loop: Header=BB208_13 Depth=1
	s_or_b32 exec_lo, exec_lo, s51
.LBB208_194:                            ;   in Loop: Header=BB208_13 Depth=1
	s_or_b32 exec_lo, exec_lo, s50
	global_load_ushort v35, v[49:50], off offset:524
	v_mov_b32_e32 v93, 0
	v_mov_b32_e32 v91, 0
	;; [unrolled: 1-line block ×4, first 2 shown]
	s_waitcnt vmcnt(0)
	v_and_b32_e32 v95, 0xffff, v35
	v_cmp_ne_u16_sdwa s3, v35, v36 src0_sel:BYTE_0 src1_sel:DWORD
	s_and_saveexec_b32 s50, s3
	s_cbranch_execz .LBB208_202
; %bb.195:                              ;   in Loop: Header=BB208_13 Depth=1
	v_bfrev_b32_e32 v91, 1
	v_mov_b32_e32 v92, 0
	v_cmp_ne_u16_sdwa s3, v95, v118 src0_sel:BYTE_0 src1_sel:DWORD
	s_and_saveexec_b32 s51, s3
	s_cbranch_execz .LBB208_201
; %bb.196:                              ;   in Loop: Header=BB208_13 Depth=1
	v_mov_b32_e32 v91, 0x7f800001
	v_and_b32_e32 v39, 0x7f, v95
	v_mov_b32_e32 v92, 0
	s_mov_b32 s52, exec_lo
	v_cmpx_ne_u32_e32 0x7f, v39
	s_cbranch_execz .LBB208_200
; %bb.197:                              ;   in Loop: Header=BB208_13 Depth=1
	v_and_b32_e32 v35, 7, v95
	v_lshrrev_b32_e32 v37, 3, v39
	s_mov_b32 s53, exec_lo
	v_cmpx_gt_u32_e32 8, v39
; %bb.198:                              ;   in Loop: Header=BB208_13 Depth=1
	v_ffbh_u32_e32 v37, v35
	v_min_u32_e32 v37, 32, v37
	v_subrev_nc_u32_e32 v39, 28, v37
	v_sub_nc_u32_e32 v37, 29, v37
	v_lshlrev_b64 v[91:92], v39, v[35:36]
	v_and_b32_e32 v35, 7, v91
; %bb.199:                              ;   in Loop: Header=BB208_13 Depth=1
	s_or_b32 exec_lo, exec_lo, s53
	v_lshlrev_b32_e32 v39, 24, v95
	v_lshlrev_b32_e32 v35, 20, v35
	v_lshl_add_u32 v37, v37, 23, 0x3c000000
	v_and_b32_e32 v39, 0x80000000, v39
	v_or3_b32 v35, v35, v39, v37
	v_mov_b32_e32 v92, v36
	v_mov_b32_e32 v91, v35
.LBB208_200:                            ;   in Loop: Header=BB208_13 Depth=1
	s_or_b32 exec_lo, exec_lo, s52
.LBB208_201:                            ;   in Loop: Header=BB208_13 Depth=1
	s_or_b32 exec_lo, exec_lo, s51
.LBB208_202:                            ;   in Loop: Header=BB208_13 Depth=1
	s_or_b32 exec_lo, exec_lo, s50
	v_cmp_ne_u16_sdwa s3, v95, v36 src0_sel:BYTE_1 src1_sel:DWORD
	s_and_saveexec_b32 s50, s3
	s_cbranch_execz .LBB208_210
; %bb.203:                              ;   in Loop: Header=BB208_13 Depth=1
	v_mov_b32_e32 v37, v36
	v_mov_b32_e32 v94, v38
	v_cmp_ne_u16_sdwa s3, v95, v118 src0_sel:BYTE_1 src1_sel:DWORD
	v_mov_b32_e32 v93, v37
	s_and_saveexec_b32 s51, s3
	s_cbranch_execz .LBB208_209
; %bb.204:                              ;   in Loop: Header=BB208_13 Depth=1
	v_and_b32_sdwa v35, v119, v95 dst_sel:DWORD dst_unused:UNUSED_PAD src0_sel:DWORD src1_sel:BYTE_1
	v_mov_b32_e32 v39, v36
	v_mov_b32_e32 v94, v40
	s_mov_b32 s52, exec_lo
	v_and_b32_e32 v96, 0x7f, v35
	v_mov_b32_e32 v93, v39
	v_cmpx_ne_u32_e32 0x7f, v96
	s_cbranch_execz .LBB208_208
; %bb.205:                              ;   in Loop: Header=BB208_13 Depth=1
	v_and_b32_e32 v35, 7, v35
	v_lshrrev_b32_e32 v37, 3, v96
	s_mov_b32 s53, exec_lo
	v_cmpx_gt_u32_e32 8, v96
; %bb.206:                              ;   in Loop: Header=BB208_13 Depth=1
	v_ffbh_u32_e32 v37, v35
	v_min_u32_e32 v37, 32, v37
	v_subrev_nc_u32_e32 v39, 28, v37
	v_sub_nc_u32_e32 v37, 29, v37
	v_lshlrev_b64 v[93:94], v39, v[35:36]
	v_and_b32_e32 v35, 7, v93
; %bb.207:                              ;   in Loop: Header=BB208_13 Depth=1
	s_or_b32 exec_lo, exec_lo, s53
	v_lshlrev_b32_e32 v39, 16, v95
	v_lshlrev_b32_e32 v35, 20, v35
	v_lshl_add_u32 v37, v37, 23, 0x3c000000
	v_mov_b32_e32 v93, v36
	v_and_b32_e32 v39, 0x80000000, v39
	v_or3_b32 v94, v35, v39, v37
.LBB208_208:                            ;   in Loop: Header=BB208_13 Depth=1
	s_or_b32 exec_lo, exec_lo, s52
.LBB208_209:                            ;   in Loop: Header=BB208_13 Depth=1
	s_or_b32 exec_lo, exec_lo, s51
.LBB208_210:                            ;   in Loop: Header=BB208_13 Depth=1
	s_or_b32 exec_lo, exec_lo, s50
	global_load_ushort v35, v[49:50], off offset:768
	v_mov_b32_e32 v97, 0
	v_mov_b32_e32 v95, 0
	;; [unrolled: 1-line block ×4, first 2 shown]
	s_waitcnt vmcnt(0)
	v_and_b32_e32 v99, 0xffff, v35
	v_cmp_ne_u16_sdwa s3, v35, v36 src0_sel:BYTE_0 src1_sel:DWORD
	s_and_saveexec_b32 s50, s3
	s_cbranch_execz .LBB208_218
; %bb.211:                              ;   in Loop: Header=BB208_13 Depth=1
	v_bfrev_b32_e32 v95, 1
	v_mov_b32_e32 v96, 0
	v_cmp_ne_u16_sdwa s3, v99, v118 src0_sel:BYTE_0 src1_sel:DWORD
	s_and_saveexec_b32 s51, s3
	s_cbranch_execz .LBB208_217
; %bb.212:                              ;   in Loop: Header=BB208_13 Depth=1
	v_mov_b32_e32 v95, 0x7f800001
	v_and_b32_e32 v39, 0x7f, v99
	v_mov_b32_e32 v96, 0
	s_mov_b32 s52, exec_lo
	v_cmpx_ne_u32_e32 0x7f, v39
	s_cbranch_execz .LBB208_216
; %bb.213:                              ;   in Loop: Header=BB208_13 Depth=1
	v_and_b32_e32 v35, 7, v99
	v_lshrrev_b32_e32 v37, 3, v39
	s_mov_b32 s53, exec_lo
	v_cmpx_gt_u32_e32 8, v39
; %bb.214:                              ;   in Loop: Header=BB208_13 Depth=1
	v_ffbh_u32_e32 v37, v35
	v_min_u32_e32 v37, 32, v37
	v_subrev_nc_u32_e32 v39, 28, v37
	v_sub_nc_u32_e32 v37, 29, v37
	v_lshlrev_b64 v[95:96], v39, v[35:36]
	v_and_b32_e32 v35, 7, v95
; %bb.215:                              ;   in Loop: Header=BB208_13 Depth=1
	s_or_b32 exec_lo, exec_lo, s53
	v_lshlrev_b32_e32 v39, 24, v99
	v_lshlrev_b32_e32 v35, 20, v35
	v_lshl_add_u32 v37, v37, 23, 0x3c000000
	v_and_b32_e32 v39, 0x80000000, v39
	v_or3_b32 v35, v35, v39, v37
	v_mov_b32_e32 v96, v36
	v_mov_b32_e32 v95, v35
.LBB208_216:                            ;   in Loop: Header=BB208_13 Depth=1
	s_or_b32 exec_lo, exec_lo, s52
.LBB208_217:                            ;   in Loop: Header=BB208_13 Depth=1
	s_or_b32 exec_lo, exec_lo, s51
.LBB208_218:                            ;   in Loop: Header=BB208_13 Depth=1
	s_or_b32 exec_lo, exec_lo, s50
	v_cmp_ne_u16_sdwa s3, v99, v36 src0_sel:BYTE_1 src1_sel:DWORD
	s_and_saveexec_b32 s50, s3
	s_cbranch_execz .LBB208_226
; %bb.219:                              ;   in Loop: Header=BB208_13 Depth=1
	v_mov_b32_e32 v37, v36
	v_mov_b32_e32 v98, v38
	v_cmp_ne_u16_sdwa s3, v99, v118 src0_sel:BYTE_1 src1_sel:DWORD
	v_mov_b32_e32 v97, v37
	s_and_saveexec_b32 s51, s3
	s_cbranch_execz .LBB208_225
; %bb.220:                              ;   in Loop: Header=BB208_13 Depth=1
	v_and_b32_sdwa v35, v119, v99 dst_sel:DWORD dst_unused:UNUSED_PAD src0_sel:DWORD src1_sel:BYTE_1
	v_mov_b32_e32 v39, v36
	v_mov_b32_e32 v98, v40
	s_mov_b32 s52, exec_lo
	v_and_b32_e32 v100, 0x7f, v35
	v_mov_b32_e32 v97, v39
	v_cmpx_ne_u32_e32 0x7f, v100
	s_cbranch_execz .LBB208_224
; %bb.221:                              ;   in Loop: Header=BB208_13 Depth=1
	v_and_b32_e32 v35, 7, v35
	v_lshrrev_b32_e32 v37, 3, v100
	s_mov_b32 s53, exec_lo
	v_cmpx_gt_u32_e32 8, v100
; %bb.222:                              ;   in Loop: Header=BB208_13 Depth=1
	v_ffbh_u32_e32 v37, v35
	v_min_u32_e32 v37, 32, v37
	v_subrev_nc_u32_e32 v39, 28, v37
	v_sub_nc_u32_e32 v37, 29, v37
	v_lshlrev_b64 v[97:98], v39, v[35:36]
	v_and_b32_e32 v35, 7, v97
; %bb.223:                              ;   in Loop: Header=BB208_13 Depth=1
	s_or_b32 exec_lo, exec_lo, s53
	v_lshlrev_b32_e32 v39, 16, v99
	v_lshlrev_b32_e32 v35, 20, v35
	v_lshl_add_u32 v37, v37, 23, 0x3c000000
	v_mov_b32_e32 v97, v36
	v_and_b32_e32 v39, 0x80000000, v39
	v_or3_b32 v98, v35, v39, v37
.LBB208_224:                            ;   in Loop: Header=BB208_13 Depth=1
	s_or_b32 exec_lo, exec_lo, s52
.LBB208_225:                            ;   in Loop: Header=BB208_13 Depth=1
	s_or_b32 exec_lo, exec_lo, s51
.LBB208_226:                            ;   in Loop: Header=BB208_13 Depth=1
	s_or_b32 exec_lo, exec_lo, s50
	global_load_ushort v35, v[49:50], off offset:772
	v_mov_b32_e32 v101, 0
	v_mov_b32_e32 v99, 0
	;; [unrolled: 1-line block ×4, first 2 shown]
	s_waitcnt vmcnt(0)
	v_and_b32_e32 v103, 0xffff, v35
	v_cmp_ne_u16_sdwa s3, v35, v36 src0_sel:BYTE_0 src1_sel:DWORD
	s_and_saveexec_b32 s50, s3
	s_cbranch_execz .LBB208_234
; %bb.227:                              ;   in Loop: Header=BB208_13 Depth=1
	v_bfrev_b32_e32 v99, 1
	v_mov_b32_e32 v100, 0
	v_cmp_ne_u16_sdwa s3, v103, v118 src0_sel:BYTE_0 src1_sel:DWORD
	s_and_saveexec_b32 s51, s3
	s_cbranch_execz .LBB208_233
; %bb.228:                              ;   in Loop: Header=BB208_13 Depth=1
	v_mov_b32_e32 v99, 0x7f800001
	v_and_b32_e32 v39, 0x7f, v103
	v_mov_b32_e32 v100, 0
	s_mov_b32 s52, exec_lo
	v_cmpx_ne_u32_e32 0x7f, v39
	s_cbranch_execz .LBB208_232
; %bb.229:                              ;   in Loop: Header=BB208_13 Depth=1
	v_and_b32_e32 v35, 7, v103
	v_lshrrev_b32_e32 v37, 3, v39
	s_mov_b32 s53, exec_lo
	v_cmpx_gt_u32_e32 8, v39
; %bb.230:                              ;   in Loop: Header=BB208_13 Depth=1
	v_ffbh_u32_e32 v37, v35
	v_min_u32_e32 v37, 32, v37
	v_subrev_nc_u32_e32 v39, 28, v37
	v_sub_nc_u32_e32 v37, 29, v37
	v_lshlrev_b64 v[99:100], v39, v[35:36]
	v_and_b32_e32 v35, 7, v99
; %bb.231:                              ;   in Loop: Header=BB208_13 Depth=1
	s_or_b32 exec_lo, exec_lo, s53
	v_lshlrev_b32_e32 v39, 24, v103
	v_lshlrev_b32_e32 v35, 20, v35
	v_lshl_add_u32 v37, v37, 23, 0x3c000000
	v_and_b32_e32 v39, 0x80000000, v39
	v_or3_b32 v35, v35, v39, v37
	v_mov_b32_e32 v100, v36
	v_mov_b32_e32 v99, v35
.LBB208_232:                            ;   in Loop: Header=BB208_13 Depth=1
	s_or_b32 exec_lo, exec_lo, s52
.LBB208_233:                            ;   in Loop: Header=BB208_13 Depth=1
	s_or_b32 exec_lo, exec_lo, s51
.LBB208_234:                            ;   in Loop: Header=BB208_13 Depth=1
	s_or_b32 exec_lo, exec_lo, s50
	v_cmp_ne_u16_sdwa s3, v103, v36 src0_sel:BYTE_1 src1_sel:DWORD
	s_and_saveexec_b32 s50, s3
	s_cbranch_execz .LBB208_242
; %bb.235:                              ;   in Loop: Header=BB208_13 Depth=1
	v_mov_b32_e32 v37, v36
	v_mov_b32_e32 v102, v38
	v_cmp_ne_u16_sdwa s3, v103, v118 src0_sel:BYTE_1 src1_sel:DWORD
	v_mov_b32_e32 v101, v37
	s_and_saveexec_b32 s51, s3
	s_cbranch_execz .LBB208_241
; %bb.236:                              ;   in Loop: Header=BB208_13 Depth=1
	v_and_b32_sdwa v35, v119, v103 dst_sel:DWORD dst_unused:UNUSED_PAD src0_sel:DWORD src1_sel:BYTE_1
	v_mov_b32_e32 v39, v36
	v_mov_b32_e32 v102, v40
	s_mov_b32 s52, exec_lo
	v_and_b32_e32 v104, 0x7f, v35
	v_mov_b32_e32 v101, v39
	v_cmpx_ne_u32_e32 0x7f, v104
	s_cbranch_execz .LBB208_240
; %bb.237:                              ;   in Loop: Header=BB208_13 Depth=1
	v_and_b32_e32 v35, 7, v35
	v_lshrrev_b32_e32 v37, 3, v104
	s_mov_b32 s53, exec_lo
	v_cmpx_gt_u32_e32 8, v104
; %bb.238:                              ;   in Loop: Header=BB208_13 Depth=1
	v_ffbh_u32_e32 v37, v35
	v_min_u32_e32 v37, 32, v37
	v_subrev_nc_u32_e32 v39, 28, v37
	v_sub_nc_u32_e32 v37, 29, v37
	v_lshlrev_b64 v[101:102], v39, v[35:36]
	v_and_b32_e32 v35, 7, v101
; %bb.239:                              ;   in Loop: Header=BB208_13 Depth=1
	s_or_b32 exec_lo, exec_lo, s53
	v_lshlrev_b32_e32 v39, 16, v103
	v_lshlrev_b32_e32 v35, 20, v35
	v_lshl_add_u32 v37, v37, 23, 0x3c000000
	v_mov_b32_e32 v101, v36
	v_and_b32_e32 v39, 0x80000000, v39
	v_or3_b32 v102, v35, v39, v37
.LBB208_240:                            ;   in Loop: Header=BB208_13 Depth=1
	s_or_b32 exec_lo, exec_lo, s52
.LBB208_241:                            ;   in Loop: Header=BB208_13 Depth=1
	s_or_b32 exec_lo, exec_lo, s51
.LBB208_242:                            ;   in Loop: Header=BB208_13 Depth=1
	s_or_b32 exec_lo, exec_lo, s50
	global_load_ushort v35, v[49:50], off offset:776
	v_mov_b32_e32 v105, 0
	v_mov_b32_e32 v103, 0
	;; [unrolled: 1-line block ×4, first 2 shown]
	s_waitcnt vmcnt(0)
	v_and_b32_e32 v107, 0xffff, v35
	v_cmp_ne_u16_sdwa s3, v35, v36 src0_sel:BYTE_0 src1_sel:DWORD
	s_and_saveexec_b32 s50, s3
	s_cbranch_execz .LBB208_250
; %bb.243:                              ;   in Loop: Header=BB208_13 Depth=1
	v_bfrev_b32_e32 v103, 1
	v_mov_b32_e32 v104, 0
	v_cmp_ne_u16_sdwa s3, v107, v118 src0_sel:BYTE_0 src1_sel:DWORD
	s_and_saveexec_b32 s51, s3
	s_cbranch_execz .LBB208_249
; %bb.244:                              ;   in Loop: Header=BB208_13 Depth=1
	v_mov_b32_e32 v103, 0x7f800001
	v_and_b32_e32 v39, 0x7f, v107
	v_mov_b32_e32 v104, 0
	s_mov_b32 s52, exec_lo
	v_cmpx_ne_u32_e32 0x7f, v39
	s_cbranch_execz .LBB208_248
; %bb.245:                              ;   in Loop: Header=BB208_13 Depth=1
	v_and_b32_e32 v35, 7, v107
	v_lshrrev_b32_e32 v37, 3, v39
	s_mov_b32 s53, exec_lo
	v_cmpx_gt_u32_e32 8, v39
; %bb.246:                              ;   in Loop: Header=BB208_13 Depth=1
	v_ffbh_u32_e32 v37, v35
	v_min_u32_e32 v37, 32, v37
	v_subrev_nc_u32_e32 v39, 28, v37
	v_sub_nc_u32_e32 v37, 29, v37
	v_lshlrev_b64 v[103:104], v39, v[35:36]
	v_and_b32_e32 v35, 7, v103
; %bb.247:                              ;   in Loop: Header=BB208_13 Depth=1
	s_or_b32 exec_lo, exec_lo, s53
	v_lshlrev_b32_e32 v39, 24, v107
	v_lshlrev_b32_e32 v35, 20, v35
	v_lshl_add_u32 v37, v37, 23, 0x3c000000
	v_and_b32_e32 v39, 0x80000000, v39
	v_or3_b32 v35, v35, v39, v37
	v_mov_b32_e32 v104, v36
	v_mov_b32_e32 v103, v35
.LBB208_248:                            ;   in Loop: Header=BB208_13 Depth=1
	s_or_b32 exec_lo, exec_lo, s52
.LBB208_249:                            ;   in Loop: Header=BB208_13 Depth=1
	s_or_b32 exec_lo, exec_lo, s51
.LBB208_250:                            ;   in Loop: Header=BB208_13 Depth=1
	s_or_b32 exec_lo, exec_lo, s50
	v_cmp_ne_u16_sdwa s3, v107, v36 src0_sel:BYTE_1 src1_sel:DWORD
	s_and_saveexec_b32 s50, s3
	s_cbranch_execz .LBB208_258
; %bb.251:                              ;   in Loop: Header=BB208_13 Depth=1
	v_mov_b32_e32 v37, v36
	v_mov_b32_e32 v106, v38
	v_cmp_ne_u16_sdwa s3, v107, v118 src0_sel:BYTE_1 src1_sel:DWORD
	v_mov_b32_e32 v105, v37
	s_and_saveexec_b32 s51, s3
	s_cbranch_execz .LBB208_257
; %bb.252:                              ;   in Loop: Header=BB208_13 Depth=1
	v_and_b32_sdwa v35, v119, v107 dst_sel:DWORD dst_unused:UNUSED_PAD src0_sel:DWORD src1_sel:BYTE_1
	v_mov_b32_e32 v39, v36
	v_mov_b32_e32 v106, v40
	s_mov_b32 s52, exec_lo
	v_and_b32_e32 v108, 0x7f, v35
	v_mov_b32_e32 v105, v39
	v_cmpx_ne_u32_e32 0x7f, v108
	s_cbranch_execz .LBB208_256
; %bb.253:                              ;   in Loop: Header=BB208_13 Depth=1
	v_and_b32_e32 v35, 7, v35
	v_lshrrev_b32_e32 v37, 3, v108
	s_mov_b32 s53, exec_lo
	v_cmpx_gt_u32_e32 8, v108
; %bb.254:                              ;   in Loop: Header=BB208_13 Depth=1
	v_ffbh_u32_e32 v37, v35
	v_min_u32_e32 v37, 32, v37
	v_subrev_nc_u32_e32 v39, 28, v37
	v_sub_nc_u32_e32 v37, 29, v37
	v_lshlrev_b64 v[105:106], v39, v[35:36]
	v_and_b32_e32 v35, 7, v105
; %bb.255:                              ;   in Loop: Header=BB208_13 Depth=1
	s_or_b32 exec_lo, exec_lo, s53
	v_lshlrev_b32_e32 v39, 16, v107
	v_lshlrev_b32_e32 v35, 20, v35
	v_lshl_add_u32 v37, v37, 23, 0x3c000000
	v_mov_b32_e32 v105, v36
	v_and_b32_e32 v39, 0x80000000, v39
	v_or3_b32 v106, v35, v39, v37
.LBB208_256:                            ;   in Loop: Header=BB208_13 Depth=1
	s_or_b32 exec_lo, exec_lo, s52
.LBB208_257:                            ;   in Loop: Header=BB208_13 Depth=1
	s_or_b32 exec_lo, exec_lo, s51
.LBB208_258:                            ;   in Loop: Header=BB208_13 Depth=1
	s_or_b32 exec_lo, exec_lo, s50
	global_load_ushort v35, v[49:50], off offset:780
	v_mov_b32_e32 v107, 0
	v_mov_b32_e32 v49, 0
	v_mov_b32_e32 v108, 0
	v_mov_b32_e32 v50, 0
	s_waitcnt vmcnt(0)
	v_and_b32_e32 v124, 0xffff, v35
	v_cmp_ne_u16_sdwa s3, v35, v36 src0_sel:BYTE_0 src1_sel:DWORD
	s_and_saveexec_b32 s50, s3
	s_cbranch_execz .LBB208_266
; %bb.259:                              ;   in Loop: Header=BB208_13 Depth=1
	v_bfrev_b32_e32 v49, 1
	v_mov_b32_e32 v50, 0
	v_cmp_ne_u16_sdwa s3, v124, v118 src0_sel:BYTE_0 src1_sel:DWORD
	s_and_saveexec_b32 s51, s3
	s_cbranch_execz .LBB208_265
; %bb.260:                              ;   in Loop: Header=BB208_13 Depth=1
	v_mov_b32_e32 v49, 0x7f800001
	v_and_b32_e32 v39, 0x7f, v124
	v_mov_b32_e32 v50, 0
	s_mov_b32 s52, exec_lo
	v_cmpx_ne_u32_e32 0x7f, v39
	s_cbranch_execz .LBB208_264
; %bb.261:                              ;   in Loop: Header=BB208_13 Depth=1
	v_and_b32_e32 v35, 7, v124
	v_lshrrev_b32_e32 v37, 3, v39
	s_mov_b32 s53, exec_lo
	v_cmpx_gt_u32_e32 8, v39
; %bb.262:                              ;   in Loop: Header=BB208_13 Depth=1
	v_ffbh_u32_e32 v37, v35
	v_min_u32_e32 v37, 32, v37
	v_subrev_nc_u32_e32 v39, 28, v37
	v_sub_nc_u32_e32 v37, 29, v37
	v_lshlrev_b64 v[49:50], v39, v[35:36]
	v_and_b32_e32 v35, 7, v49
; %bb.263:                              ;   in Loop: Header=BB208_13 Depth=1
	s_or_b32 exec_lo, exec_lo, s53
	v_lshlrev_b32_e32 v39, 24, v124
	v_lshlrev_b32_e32 v35, 20, v35
	v_lshl_add_u32 v37, v37, 23, 0x3c000000
	v_and_b32_e32 v39, 0x80000000, v39
	v_or3_b32 v35, v35, v39, v37
	v_mov_b32_e32 v50, v36
	v_mov_b32_e32 v49, v35
.LBB208_264:                            ;   in Loop: Header=BB208_13 Depth=1
	s_or_b32 exec_lo, exec_lo, s52
.LBB208_265:                            ;   in Loop: Header=BB208_13 Depth=1
	s_or_b32 exec_lo, exec_lo, s51
.LBB208_266:                            ;   in Loop: Header=BB208_13 Depth=1
	s_or_b32 exec_lo, exec_lo, s50
	v_cmp_ne_u16_sdwa s3, v124, v36 src0_sel:BYTE_1 src1_sel:DWORD
	s_and_saveexec_b32 s50, s3
	s_cbranch_execz .LBB208_274
; %bb.267:                              ;   in Loop: Header=BB208_13 Depth=1
	v_mov_b32_e32 v37, v36
	v_mov_b32_e32 v108, v38
	v_cmp_ne_u16_sdwa s3, v124, v118 src0_sel:BYTE_1 src1_sel:DWORD
	v_mov_b32_e32 v107, v37
	s_and_saveexec_b32 s51, s3
	s_cbranch_execz .LBB208_273
; %bb.268:                              ;   in Loop: Header=BB208_13 Depth=1
	v_and_b32_sdwa v35, v119, v124 dst_sel:DWORD dst_unused:UNUSED_PAD src0_sel:DWORD src1_sel:BYTE_1
	v_mov_b32_e32 v39, v36
	v_mov_b32_e32 v108, v40
	s_mov_b32 s52, exec_lo
	v_and_b32_e32 v125, 0x7f, v35
	v_mov_b32_e32 v107, v39
	v_cmpx_ne_u32_e32 0x7f, v125
	s_cbranch_execz .LBB208_272
; %bb.269:                              ;   in Loop: Header=BB208_13 Depth=1
	v_and_b32_e32 v35, 7, v35
	v_lshrrev_b32_e32 v37, 3, v125
	s_mov_b32 s53, exec_lo
	v_cmpx_gt_u32_e32 8, v125
; %bb.270:                              ;   in Loop: Header=BB208_13 Depth=1
	v_ffbh_u32_e32 v37, v35
	v_min_u32_e32 v37, 32, v37
	v_subrev_nc_u32_e32 v39, 28, v37
	v_sub_nc_u32_e32 v37, 29, v37
	v_lshlrev_b64 v[107:108], v39, v[35:36]
	v_and_b32_e32 v35, 7, v107
; %bb.271:                              ;   in Loop: Header=BB208_13 Depth=1
	s_or_b32 exec_lo, exec_lo, s53
	v_lshlrev_b32_e32 v39, 16, v124
	v_lshlrev_b32_e32 v35, 20, v35
	v_lshl_add_u32 v37, v37, 23, 0x3c000000
	v_mov_b32_e32 v107, v36
	v_and_b32_e32 v39, 0x80000000, v39
	v_or3_b32 v108, v35, v39, v37
.LBB208_272:                            ;   in Loop: Header=BB208_13 Depth=1
	s_or_b32 exec_lo, exec_lo, s52
.LBB208_273:                            ;   in Loop: Header=BB208_13 Depth=1
	s_or_b32 exec_lo, exec_lo, s51
.LBB208_274:                            ;   in Loop: Header=BB208_13 Depth=1
	s_or_b32 exec_lo, exec_lo, s50
	v_or_b32_e32 v51, v53, v51
	v_or_b32_e32 v52, v54, v52
	;; [unrolled: 1-line block ×5, first 2 shown]
	s_waitcnt lgkmcnt(0)
	v_mul_f32_e32 v47, s49, v51
	v_mul_f32_e32 v48, s49, v52
	v_or_b32_e32 v51, v57, v55
	v_mul_f32_e32 v46, s49, v46
	v_mul_f32_e32 v45, s49, v45
	;; [unrolled: 1-line block ×4, first 2 shown]
	v_or_b32_e32 v60, v62, v60
	v_or_b32_e32 v47, v61, v59
	v_mul_f32_e32 v48, s49, v53
	v_mul_f32_e32 v51, s49, v51
	v_fmac_f32_e32 v31, v29, v45
	v_fmac_f32_e32 v32, v30, v46
	v_or_b32_e32 v64, v66, v64
	v_or_b32_e32 v29, v65, v63
	v_mul_f32_e32 v30, s49, v60
	v_mul_f32_e32 v45, s49, v47
	v_fmac_f32_e32 v31, v25, v51
	v_fmac_f32_e32 v32, v26, v48
	;; [unrolled: 6-line block ×12, first 2 shown]
	v_mul_f32_e32 v11, s49, v35
	v_mul_f32_e32 v5, s49, v37
	v_or_b32_e32 v6, v108, v50
	v_or_b32_e32 v10, v107, v49
	v_fmac_f32_e32 v31, v7, v9
	v_fmac_f32_e32 v32, v8, v12
	v_xor_b32_e32 v7, 1, v112
	v_mul_f32_e32 v6, s49, v6
	v_mul_f32_e32 v8, s49, v10
	v_fmac_f32_e32 v31, v1, v5
	v_fmac_f32_e32 v32, v2, v11
	v_cmp_gt_i32_e64 s3, 32, v7
	v_fmac_f32_e32 v31, v3, v8
	v_fmac_f32_e32 v32, v4, v6
	v_cndmask_b32_e64 v1, v112, v7, s3
	v_lshlrev_b32_e32 v2, 2, v1
	v_add_f32_e32 v1, v31, v32
	ds_bpermute_b32 v2, v2, v1
	s_and_saveexec_b32 s49, vcc_lo
	s_cbranch_execz .LBB208_11
; %bb.275:                              ;   in Loop: Header=BB208_13 Depth=1
	v_add_nc_u32_e32 v3, v120, v116
	s_waitcnt lgkmcnt(0)
	v_add_f32_e32 v1, v1, v2
	v_cvt_f32_i32_e32 v3, v3
	v_mul_f32_e32 v3, s43, v3
	v_cndmask_b32_e64 v2, 0, v3, s2
	v_max_f32_e32 v3, v113, v113
	v_fmac_f32_e32 v2, s41, v1
	v_add_nc_u32_e32 v1, v114, v116
	v_max_f32_e32 v3, v3, v2
	v_cmp_gt_i32_e64 s3, s31, v1
	v_cndmask_b32_e64 v1, 0, v2, s3
	v_cndmask_b32_e64 v113, v113, v3, s3
	ds_write_b32 v121, v1
	s_branch .LBB208_11
.LBB208_276:
	s_or_b32 exec_lo, exec_lo, s47
.LBB208_277:
	s_or_b32 exec_lo, exec_lo, s45
	v_xor_b32_e32 v1, 16, v112
	v_xor_b32_e32 v3, 8, v112
	v_max_f32_e32 v5, v113, v113
	v_xor_b32_e32 v6, 2, v112
	v_and_b32_e32 v25, 31, v0
	v_cmp_gt_i32_e32 vcc_lo, 32, v1
	v_cndmask_b32_e32 v1, v112, v1, vcc_lo
	v_cmp_gt_i32_e32 vcc_lo, 32, v3
	s_waitcnt lgkmcnt(0)
	v_lshlrev_b32_e32 v2, 2, v1
	v_cndmask_b32_e32 v3, v112, v3, vcc_lo
	ds_bpermute_b32 v1, v2, v113
	v_lshlrev_b32_e32 v4, 2, v3
	s_waitcnt lgkmcnt(0)
	v_max_f32_e32 v1, v1, v1
	v_max_f32_e32 v1, v5, v1
	v_xor_b32_e32 v5, 4, v112
	ds_bpermute_b32 v3, v4, v1
	v_cmp_gt_i32_e32 vcc_lo, 32, v5
	v_cndmask_b32_e32 v5, v112, v5, vcc_lo
	v_cmp_gt_i32_e32 vcc_lo, 32, v6
	v_lshlrev_b32_e32 v5, 2, v5
	v_cndmask_b32_e32 v6, v112, v6, vcc_lo
	v_cmp_eq_u32_e32 vcc_lo, 0, v25
	v_lshlrev_b32_e32 v26, 2, v6
	v_lshlrev_b32_e32 v6, 2, v109
	s_waitcnt lgkmcnt(0)
	v_max_f32_e32 v3, v3, v3
	v_max_f32_e32 v1, v1, v3
	ds_bpermute_b32 v3, v5, v1
	s_waitcnt lgkmcnt(0)
	v_max_f32_e32 v3, v3, v3
	v_max_f32_e32 v1, v1, v3
	ds_bpermute_b32 v3, v26, v1
	s_and_saveexec_b32 s2, vcc_lo
	s_cbranch_execz .LBB208_279
; %bb.278:
	s_waitcnt lgkmcnt(0)
	v_max_f32_e32 v3, v3, v3
	v_max_f32_e32 v1, v1, v1
	;; [unrolled: 1-line block ×3, first 2 shown]
	ds_write_b32 v6, v1 offset:256
.LBB208_279:
	s_or_b32 exec_lo, exec_lo, s2
	v_cmp_gt_u32_e64 s2, 4, v25
	v_mov_b32_e32 v1, 0xff7fffff
	v_lshlrev_b32_e32 v7, 2, v25
	s_waitcnt lgkmcnt(0)
	s_barrier
	buffer_gl0_inv
	s_and_saveexec_b32 s3, s2
; %bb.280:
	ds_read_b32 v1, v7 offset:256
; %bb.281:
	s_or_b32 exec_lo, exec_lo, s3
	s_waitcnt lgkmcnt(0)
	ds_bpermute_b32 v3, v26, v1
	v_xor_b32_e32 v8, 1, v112
	v_max_f32_e32 v1, v1, v1
	v_cmp_gt_i32_e64 s3, 32, v8
	v_cndmask_b32_e64 v8, v112, v8, s3
	s_sub_i32 s3, s20, s44
	s_lshl_b32 s3, s3, 4
	v_lshlrev_b32_e32 v27, 2, v8
	v_mov_b32_e32 v8, 0
	s_add_i32 s3, s3, s42
	s_min_i32 s3, s3, s31
	s_waitcnt lgkmcnt(0)
	v_max_f32_e32 v3, v3, v3
	s_sub_i32 s5, s3, s42
	v_cmp_gt_i32_e64 s3, s5, v0
	v_max_f32_e32 v1, v1, v3
	ds_bpermute_b32 v3, v27, v1
	s_waitcnt lgkmcnt(0)
	v_max_f32_e32 v3, v3, v3
	v_max_f32_e32 v1, v1, v3
	v_lshl_add_u32 v3, v0, 2, 0x120
	ds_bpermute_b32 v1, v8, v1
	s_and_saveexec_b32 s12, s3
	s_cbranch_execz .LBB208_285
; %bb.282:
	v_lshl_add_u32 v9, v0, 2, 0x120
	v_mov_b32_e32 v8, 0
	v_mov_b32_e32 v10, v0
	s_mov_b32 s13, 0
	.p2align	6
.LBB208_283:                            ; =>This Inner Loop Header: Depth=1
	ds_read_b32 v11, v9
	v_add_nc_u32_e32 v10, 0x80, v10
	v_cmp_le_i32_e64 s4, s5, v10
	s_or_b32 s13, s4, s13
	s_waitcnt lgkmcnt(0)
	v_sub_f32_e32 v11, v11, v1
	v_mul_f32_e32 v11, 0x3fb8aa3b, v11
	v_exp_f32_e32 v11, v11
	ds_write_b32 v9, v11
	v_add_f32_e32 v8, v8, v11
	v_add_nc_u32_e32 v9, 0x200, v9
	s_andn2_b32 exec_lo, exec_lo, s13
	s_cbranch_execnz .LBB208_283
; %bb.284:
	s_or_b32 exec_lo, exec_lo, s13
.LBB208_285:
	s_or_b32 exec_lo, exec_lo, s12
	ds_bpermute_b32 v2, v2, v8
	s_waitcnt lgkmcnt(0)
	v_add_f32_e32 v2, v8, v2
	ds_bpermute_b32 v4, v4, v2
	s_waitcnt lgkmcnt(0)
	v_add_f32_e32 v2, v2, v4
	ds_bpermute_b32 v4, v5, v2
	s_waitcnt lgkmcnt(0)
	v_add_f32_e32 v2, v2, v4
	ds_bpermute_b32 v4, v26, v2
	s_waitcnt lgkmcnt(0)
	v_add_f32_e32 v2, v2, v4
	ds_bpermute_b32 v4, v27, v2
	s_waitcnt lgkmcnt(0)
	v_add_f32_e32 v2, v2, v4
	s_and_saveexec_b32 s4, vcc_lo
; %bb.286:
	ds_write_b32 v6, v2 offset:272
; %bb.287:
	s_or_b32 exec_lo, exec_lo, s4
	s_waitcnt lgkmcnt(0)
	s_barrier
	buffer_gl0_inv
	s_and_saveexec_b32 s4, s2
; %bb.288:
	ds_read_b32 v2, v7 offset:272
; %bb.289:
	s_or_b32 exec_lo, exec_lo, s4
	s_waitcnt lgkmcnt(0)
	ds_bpermute_b32 v4, v26, v2
	s_waitcnt lgkmcnt(0)
	v_add_f32_e32 v2, v2, v4
	ds_bpermute_b32 v4, v27, v2
	s_waitcnt lgkmcnt(0)
	v_add_f32_e32 v2, v2, v4
	v_mov_b32_e32 v4, 0
	ds_bpermute_b32 v2, v4, v2
	s_and_saveexec_b32 s2, s3
	s_cbranch_execz .LBB208_292
; %bb.290:
	s_waitcnt lgkmcnt(0)
	v_add_f32_e32 v4, 0x358637bd, v2
	s_mov_b32 s3, 0
	v_div_scale_f32 v5, null, v4, v4, 1.0
	v_div_scale_f32 v8, vcc_lo, 1.0, v4, 1.0
	v_rcp_f32_e32 v6, v5
	v_fma_f32 v7, -v5, v6, 1.0
	v_fmac_f32_e32 v6, v7, v6
	v_mul_f32_e32 v7, v8, v6
	v_fma_f32 v9, -v5, v7, v8
	v_fmac_f32_e32 v7, v9, v6
	v_fma_f32 v5, -v5, v7, v8
	v_div_fmas_f32 v5, v5, v6, v7
	v_div_fixup_f32 v4, v5, v4, 1.0
	v_mov_b32_e32 v5, v0
.LBB208_291:                            ; =>This Inner Loop Header: Depth=1
	ds_read_b32 v6, v3
	v_add_nc_u32_e32 v5, 0x80, v5
	v_cmp_le_i32_e32 vcc_lo, s5, v5
	s_or_b32 s3, vcc_lo, s3
	s_waitcnt lgkmcnt(0)
	v_mul_f32_e32 v6, v4, v6
	ds_write_b32 v3, v6
	v_add_nc_u32_e32 v3, 0x200, v3
	s_andn2_b32 exec_lo, exec_lo, s3
	s_cbranch_execnz .LBB208_291
.LBB208_292:
	s_or_b32 exec_lo, exec_lo, s2
	s_mul_i32 s2, s7, s30
	s_mov_b32 s4, exec_lo
	s_mul_i32 s2, s2, s9
	s_waitcnt lgkmcnt(0)
	s_barrier
	buffer_gl0_inv
	v_cmpx_eq_u32_e32 0, v0
	s_cbranch_execz .LBB208_294
; %bb.293:
	s_ashr_i32 s3, s2, 31
	s_mul_i32 s42, s7, s6
	s_lshl_b64 s[12:13], s[2:3], 2
	v_mov_b32_e32 v3, 0
	s_add_u32 s3, s26, s12
	s_addc_u32 s5, s27, s13
	s_ashr_i32 s43, s42, 31
	s_lshl_b64 s[26:27], s[42:43], 2
	s_add_u32 s3, s3, s26
	s_addc_u32 s5, s5, s27
	s_ashr_i32 s9, s8, 31
	s_lshl_b64 s[42:43], s[8:9], 2
	s_add_u32 s44, s3, s42
	s_addc_u32 s45, s5, s43
	s_add_u32 s3, s24, s12
	s_addc_u32 s5, s25, s13
	;; [unrolled: 2-line block ×4, first 2 shown]
	global_store_dword v3, v1, s[44:45]
	global_store_dword v3, v2, s[12:13]
.LBB208_294:
	s_or_b32 exec_lo, exec_lo, s4
	v_mov_b32_e32 v38, 0
	v_and_b32_e32 v28, 3, v0
	v_mov_b32_e32 v37, 0
	v_mov_b32_e32 v36, 0
	v_mov_b32_e32 v35, 0
	v_mov_b32_e32 v32, 0
	v_mov_b32_e32 v31, 0
	v_mov_b32_e32 v30, 0
	v_mov_b32_e32 v29, 0
	s_and_saveexec_b32 s3, s1
	s_cbranch_execz .LBB208_572
; %bb.295:
	s_sub_i32 s4, s40, s21
	s_ashr_i32 s1, s18, 31
	s_add_u32 s6, s38, s18
	s_addc_u32 s1, s39, s1
	s_abs_i32 s5, s22
	v_and_b32_e32 v3, 0x7c, v111
	v_cvt_f32_u32_e32 v1, s5
	s_sub_i32 s9, 0, s5
	v_lshlrev_b32_e32 v5, 4, v28
	s_lshl_b64 s[12:13], s[36:37], 2
	v_add_co_u32 v11, s6, s6, v3
	v_rcp_iflag_f32_e32 v4, v1
	v_lshlrev_b64 v[1:2], 2, v[33:34]
	s_add_i32 s33, s33, -1
	v_lshl_or_b32 v5, v109, 6, v5
	v_add_co_ci_u32_e64 v12, null, s1, 0, s6
	s_add_u32 s1, s34, s12
	s_addc_u32 s6, s35, s13
	v_add_co_u32 v13, vcc_lo, s1, v1
	v_mul_f32_e32 v4, 0x4f7ffffe, v4
	v_and_b32_e32 v39, 12, v111
	v_mov_b32_e32 v6, 0
	v_mov_b32_e32 v34, 0x80
	v_bfrev_b32_e32 v8, 1
	v_cvt_u32_f32_e32 v4, v4
	v_mov_b32_e32 v40, 0xffff
	v_mov_b32_e32 v10, 0x7f800001
	;; [unrolled: 1-line block ×4, first 2 shown]
	v_mul_lo_u32 v7, s9, v4
	v_mov_b32_e32 v43, 24
	v_mov_b32_e32 v29, 0
	;; [unrolled: 1-line block ×7, first 2 shown]
	v_mul_hi_u32 v3, v4, v7
	v_mov_b32_e32 v37, 0
	v_add_co_ci_u32_e64 v14, null, s6, v2, vcc_lo
	v_add_nc_u32_e32 v44, 0x120, v5
	v_mov_b32_e32 v38, 0
	s_mov_b32 s9, s17
	s_mov_b32 s6, 0
	v_add_nc_u32_e32 v45, v4, v3
	s_branch .LBB208_298
.LBB208_296:                            ;   in Loop: Header=BB208_298 Depth=1
	s_or_b32 exec_lo, exec_lo, s1
	v_mul_f32_e32 v16, v1, v75
	v_mul_f32_e32 v17, v1, v73
	;; [unrolled: 1-line block ×8, first 2 shown]
	v_fmac_f32_e32 v16, v2, v74
	v_fmac_f32_e32 v17, v2, v72
	;; [unrolled: 1-line block ×24, first 2 shown]
	v_add_f32_e32 v30, v30, v16
	v_add_f32_e32 v31, v31, v17
	;; [unrolled: 1-line block ×8, first 2 shown]
.LBB208_297:                            ;   in Loop: Header=BB208_298 Depth=1
	s_or_b32 exec_lo, exec_lo, s12
	v_add_nc_u32_e32 v33, 4, v33
	v_add_co_u32 v13, s1, v13, 16
	v_add_co_ci_u32_e64 v14, null, 0, v14, s1
	v_cmp_le_i32_e32 vcc_lo, s20, v33
	v_add_nc_u32_e32 v110, 64, v110
	v_add_nc_u32_e32 v44, 0x100, v44
	s_or_b32 s6, vcc_lo, s6
	s_andn2_b32 exec_lo, exec_lo, s6
	s_cbranch_execz .LBB208_571
.LBB208_298:                            ; =>This Inner Loop Header: Depth=1
	v_sub_nc_u32_e32 v1, 0, v110
	v_max_i32_e32 v1, v110, v1
	v_mul_hi_u32 v2, v1, s16
	v_mul_lo_u32 v3, v2, s11
	v_sub_nc_u32_e32 v1, v1, v3
	v_add_nc_u32_e32 v3, 1, v2
	v_subrev_nc_u32_e32 v4, s11, v1
	v_cmp_le_u32_e32 vcc_lo, s11, v1
	v_cndmask_b32_e32 v2, v2, v3, vcc_lo
	v_cndmask_b32_e32 v1, v1, v4, vcc_lo
	v_ashrrev_i32_e32 v3, 31, v110
	v_add_nc_u32_e32 v4, 1, v2
	v_cmp_le_u32_e32 vcc_lo, s11, v1
	v_xor_b32_e32 v3, s23, v3
	v_cndmask_b32_e32 v1, v2, v4, vcc_lo
	v_xor_b32_e32 v1, v1, v3
	v_sub_nc_u32_e32 v1, v1, v3
	v_add_nc_u32_e32 v2, s19, v1
	v_cmp_lt_i32_e64 s1, s4, v1
	v_sub_nc_u32_e32 v3, 0, v2
	v_max_i32_e32 v3, v2, v3
	v_ashrrev_i32_e32 v2, 31, v2
	v_mul_hi_u32 v4, v3, v45
	v_mul_lo_u32 v4, v4, s5
	v_sub_nc_u32_e32 v3, v3, v4
	v_subrev_nc_u32_e32 v4, s5, v3
	v_cmp_le_u32_e32 vcc_lo, s5, v3
	v_cndmask_b32_e32 v3, v3, v4, vcc_lo
	v_subrev_nc_u32_e32 v4, s5, v3
	v_cmp_le_u32_e32 vcc_lo, s5, v3
	v_cndmask_b32_e32 v3, v3, v4, vcc_lo
	v_xor_b32_e32 v3, v3, v2
	v_sub_nc_u32_e32 v2, v3, v2
	v_cmp_eq_u32_e32 vcc_lo, 0, v2
	s_or_b32 s1, vcc_lo, s1
	s_and_saveexec_b32 s12, s1
	s_cbranch_execz .LBB208_297
; %bb.299:                              ;   in Loop: Header=BB208_298 Depth=1
	global_load_dword v1, v[13:14], off
	s_load_dword s13, s[14:15], 0x0
	v_mov_b32_e32 v19, 0
	v_mov_b32_e32 v17, 0
	;; [unrolled: 1-line block ×4, first 2 shown]
	s_waitcnt vmcnt(0)
	v_mad_i64_i32 v[15:16], null, v1, s9, v[11:12]
	ds_read_b128 v[1:4], v44
	global_load_dword v46, v[15:16], off
	s_waitcnt vmcnt(0)
	v_cmp_ne_u16_sdwa s17, v46, v6 src0_sel:BYTE_0 src1_sel:DWORD
	s_and_saveexec_b32 s1, s17
	s_cbranch_execz .LBB208_307
; %bb.300:                              ;   in Loop: Header=BB208_298 Depth=1
	v_bfrev_b32_e32 v17, 1
	v_mov_b32_e32 v18, 0
	v_cmp_ne_u16_sdwa s18, v46, v34 src0_sel:BYTE_0 src1_sel:DWORD
	s_and_saveexec_b32 s17, s18
	s_cbranch_execz .LBB208_306
; %bb.301:                              ;   in Loop: Header=BB208_298 Depth=1
	v_mov_b32_e32 v17, 0x7f800001
	v_and_b32_e32 v9, 0x7f, v46
	v_mov_b32_e32 v18, 0
	s_mov_b32 s18, exec_lo
	v_cmpx_ne_u32_e32 0x7f, v9
	s_cbranch_execz .LBB208_305
; %bb.302:                              ;   in Loop: Header=BB208_298 Depth=1
	v_and_b32_e32 v5, 7, v46
	v_lshrrev_b32_e32 v7, 3, v9
	s_mov_b32 s21, exec_lo
	v_cmpx_gt_u32_e32 8, v9
; %bb.303:                              ;   in Loop: Header=BB208_298 Depth=1
	v_ffbh_u32_e32 v7, v5
	v_min_u32_e32 v7, 32, v7
	v_subrev_nc_u32_e32 v9, 28, v7
	v_sub_nc_u32_e32 v7, 29, v7
	v_lshlrev_b64 v[17:18], v9, v[5:6]
	v_and_b32_e32 v5, 7, v17
; %bb.304:                              ;   in Loop: Header=BB208_298 Depth=1
	s_or_b32 exec_lo, exec_lo, s21
	v_lshlrev_b32_e32 v9, 24, v46
	v_lshlrev_b32_e32 v5, 20, v5
	v_lshl_add_u32 v7, v7, 23, 0x3c000000
	v_and_b32_e32 v9, 0x80000000, v9
	v_or3_b32 v5, v5, v9, v7
	v_mov_b32_e32 v18, v6
	v_mov_b32_e32 v17, v5
.LBB208_305:                            ;   in Loop: Header=BB208_298 Depth=1
	s_or_b32 exec_lo, exec_lo, s18
.LBB208_306:                            ;   in Loop: Header=BB208_298 Depth=1
	s_or_b32 exec_lo, exec_lo, s17
.LBB208_307:                            ;   in Loop: Header=BB208_298 Depth=1
	s_or_b32 exec_lo, exec_lo, s1
	v_cmp_ne_u16_sdwa s17, v46, v6 src0_sel:BYTE_1 src1_sel:DWORD
	s_and_saveexec_b32 s1, s17
	s_cbranch_execz .LBB208_315
; %bb.308:                              ;   in Loop: Header=BB208_298 Depth=1
	v_mov_b32_e32 v7, v6
	v_mov_b32_e32 v20, v8
	v_cmp_ne_u16_sdwa s18, v46, v34 src0_sel:BYTE_1 src1_sel:DWORD
	v_mov_b32_e32 v19, v7
	s_and_saveexec_b32 s17, s18
	s_cbranch_execz .LBB208_314
; %bb.309:                              ;   in Loop: Header=BB208_298 Depth=1
	v_and_b32_sdwa v5, v40, v46 dst_sel:DWORD dst_unused:UNUSED_PAD src0_sel:DWORD src1_sel:BYTE_1
	v_mov_b32_e32 v9, v6
	v_mov_b32_e32 v20, v10
	s_mov_b32 s18, exec_lo
	v_and_b32_e32 v21, 0x7f, v5
	v_mov_b32_e32 v19, v9
	v_cmpx_ne_u32_e32 0x7f, v21
	s_cbranch_execz .LBB208_313
; %bb.310:                              ;   in Loop: Header=BB208_298 Depth=1
	v_and_b32_e32 v5, 7, v5
	v_lshrrev_b32_e32 v7, 3, v21
	s_mov_b32 s21, exec_lo
	v_cmpx_gt_u32_e32 8, v21
; %bb.311:                              ;   in Loop: Header=BB208_298 Depth=1
	v_ffbh_u32_e32 v7, v5
	v_min_u32_e32 v7, 32, v7
	v_subrev_nc_u32_e32 v9, 28, v7
	v_sub_nc_u32_e32 v7, 29, v7
	v_lshlrev_b64 v[19:20], v9, v[5:6]
	v_and_b32_e32 v5, 7, v19
; %bb.312:                              ;   in Loop: Header=BB208_298 Depth=1
	s_or_b32 exec_lo, exec_lo, s21
	v_lshlrev_b32_e32 v9, 16, v46
	v_lshlrev_b32_e32 v5, 20, v5
	v_lshl_add_u32 v7, v7, 23, 0x3c000000
	v_mov_b32_e32 v19, v6
	v_and_b32_e32 v9, 0x80000000, v9
	v_or3_b32 v20, v5, v9, v7
.LBB208_313:                            ;   in Loop: Header=BB208_298 Depth=1
	s_or_b32 exec_lo, exec_lo, s18
.LBB208_314:                            ;   in Loop: Header=BB208_298 Depth=1
	s_or_b32 exec_lo, exec_lo, s17
.LBB208_315:                            ;   in Loop: Header=BB208_298 Depth=1
	s_or_b32 exec_lo, exec_lo, s1
	v_mov_b32_e32 v23, 0
	v_mov_b32_e32 v21, 0
	v_and_b32_sdwa v5, v46, v41 dst_sel:DWORD dst_unused:UNUSED_PAD src0_sel:WORD_1 src1_sel:DWORD
	v_mov_b32_e32 v24, 0
	v_mov_b32_e32 v22, 0
	s_mov_b32 s1, exec_lo
	v_cmpx_ne_u16_e32 0, v5
	s_cbranch_execz .LBB208_323
; %bb.316:                              ;   in Loop: Header=BB208_298 Depth=1
	v_bfrev_b32_e32 v21, 1
	v_mov_b32_e32 v22, 0
	s_mov_b32 s17, exec_lo
	v_cmpx_ne_u16_e32 0x80, v5
	s_cbranch_execz .LBB208_322
; %bb.317:                              ;   in Loop: Header=BB208_298 Depth=1
	v_mov_b32_e32 v21, 0x7f800001
	v_bfe_u32 v9, v46, 16, 7
	v_mov_b32_e32 v22, 0
	s_mov_b32 s18, exec_lo
	v_cmpx_ne_u32_e32 0x7f, v9
	s_cbranch_execz .LBB208_321
; %bb.318:                              ;   in Loop: Header=BB208_298 Depth=1
	v_and_b32_sdwa v5, v46, v42 dst_sel:DWORD dst_unused:UNUSED_PAD src0_sel:WORD_1 src1_sel:DWORD
	v_lshrrev_b32_e32 v7, 3, v9
	s_mov_b32 s21, exec_lo
	v_cmpx_gt_u32_e32 8, v9
; %bb.319:                              ;   in Loop: Header=BB208_298 Depth=1
	v_ffbh_u32_e32 v7, v5
	v_min_u32_e32 v7, 32, v7
	v_subrev_nc_u32_e32 v9, 28, v7
	v_sub_nc_u32_e32 v7, 29, v7
	v_lshlrev_b64 v[21:22], v9, v[5:6]
	v_and_b32_e32 v5, 7, v21
; %bb.320:                              ;   in Loop: Header=BB208_298 Depth=1
	s_or_b32 exec_lo, exec_lo, s21
	v_lshlrev_b32_sdwa v9, v43, v46 dst_sel:DWORD dst_unused:UNUSED_PAD src0_sel:DWORD src1_sel:WORD_1
	v_lshlrev_b32_e32 v5, 20, v5
	v_lshl_add_u32 v7, v7, 23, 0x3c000000
	v_and_b32_e32 v9, 0x80000000, v9
	v_or3_b32 v5, v5, v9, v7
	v_mov_b32_e32 v22, v6
	v_mov_b32_e32 v21, v5
.LBB208_321:                            ;   in Loop: Header=BB208_298 Depth=1
	s_or_b32 exec_lo, exec_lo, s18
.LBB208_322:                            ;   in Loop: Header=BB208_298 Depth=1
	s_or_b32 exec_lo, exec_lo, s17
.LBB208_323:                            ;   in Loop: Header=BB208_298 Depth=1
	s_or_b32 exec_lo, exec_lo, s1
	s_mov_b32 s1, exec_lo
	v_cmpx_lt_u32_e32 0xffffff, v46
	s_cbranch_execz .LBB208_331
; %bb.324:                              ;   in Loop: Header=BB208_298 Depth=1
	v_mov_b32_e32 v7, v6
	v_mov_b32_e32 v24, v8
	v_cmp_ne_u32_sdwa s18, v46, v34 src0_sel:BYTE_3 src1_sel:DWORD
	v_mov_b32_e32 v23, v7
	s_and_saveexec_b32 s17, s18
	s_cbranch_execz .LBB208_330
; %bb.325:                              ;   in Loop: Header=BB208_298 Depth=1
	v_mov_b32_e32 v9, v6
	v_mov_b32_e32 v24, v10
	v_bfe_u32 v47, v46, 24, 7
	s_mov_b32 s18, exec_lo
	v_mov_b32_e32 v23, v9
	v_cmpx_ne_u32_e32 0x7f, v47
	s_cbranch_execz .LBB208_329
; %bb.326:                              ;   in Loop: Header=BB208_298 Depth=1
	v_and_b32_sdwa v5, v46, v42 dst_sel:DWORD dst_unused:UNUSED_PAD src0_sel:BYTE_3 src1_sel:DWORD
	v_lshrrev_b32_e32 v7, 3, v47
	s_mov_b32 s21, exec_lo
	v_cmpx_gt_u32_e32 8, v47
; %bb.327:                              ;   in Loop: Header=BB208_298 Depth=1
	v_ffbh_u32_e32 v7, v5
	v_min_u32_e32 v7, 32, v7
	v_subrev_nc_u32_e32 v9, 28, v7
	v_sub_nc_u32_e32 v7, 29, v7
	v_lshlrev_b64 v[23:24], v9, v[5:6]
	v_and_b32_e32 v5, 7, v23
; %bb.328:                              ;   in Loop: Header=BB208_298 Depth=1
	s_or_b32 exec_lo, exec_lo, s21
	v_lshlrev_b32_sdwa v9, v43, v46 dst_sel:DWORD dst_unused:UNUSED_PAD src0_sel:DWORD src1_sel:BYTE_3
	v_lshlrev_b32_e32 v5, 20, v5
	v_lshl_add_u32 v7, v7, 23, 0x3c000000
	v_mov_b32_e32 v23, v6
	v_and_b32_e32 v9, 0x80000000, v9
	v_or3_b32 v24, v5, v9, v7
.LBB208_329:                            ;   in Loop: Header=BB208_298 Depth=1
	s_or_b32 exec_lo, exec_lo, s18
.LBB208_330:                            ;   in Loop: Header=BB208_298 Depth=1
	s_or_b32 exec_lo, exec_lo, s17
.LBB208_331:                            ;   in Loop: Header=BB208_298 Depth=1
	s_or_b32 exec_lo, exec_lo, s1
	v_add_nc_u32_e32 v50, v39, v110
	v_or_b32_e32 v5, v20, v18
	v_or_b32_e32 v7, v19, v17
	;; [unrolled: 1-line block ×4, first 2 shown]
	v_cmp_eq_u32_e32 vcc_lo, s33, v33
	s_waitcnt lgkmcnt(0)
	v_mul_f32_e32 v48, s13, v5
	v_mul_f32_e32 v49, s13, v7
	;; [unrolled: 1-line block ×4, first 2 shown]
	v_add_nc_u32_e32 v53, 1, v50
	v_add_nc_u32_e32 v52, 2, v50
	;; [unrolled: 1-line block ×3, first 2 shown]
	s_and_saveexec_b32 s17, vcc_lo
	s_cbranch_execz .LBB208_333
; %bb.332:                              ;   in Loop: Header=BB208_298 Depth=1
	v_cmp_gt_i32_e64 s1, s31, v50
	v_cndmask_b32_e64 v49, 0, v49, s1
	v_cmp_gt_i32_e64 s1, s31, v53
	v_cndmask_b32_e64 v48, 0, v48, s1
	;; [unrolled: 2-line block ×4, first 2 shown]
.LBB208_333:                            ;   in Loop: Header=BB208_298 Depth=1
	s_or_b32 exec_lo, exec_lo, s17
	global_load_dword v54, v[15:16], off offset:128
	v_mov_b32_e32 v19, 0
	v_mov_b32_e32 v17, 0
	;; [unrolled: 1-line block ×4, first 2 shown]
	s_waitcnt vmcnt(0)
	v_cmp_ne_u16_sdwa s1, v54, v6 src0_sel:BYTE_0 src1_sel:DWORD
	s_and_saveexec_b32 s17, s1
	s_cbranch_execz .LBB208_341
; %bb.334:                              ;   in Loop: Header=BB208_298 Depth=1
	v_bfrev_b32_e32 v17, 1
	v_mov_b32_e32 v18, 0
	v_cmp_ne_u16_sdwa s1, v54, v34 src0_sel:BYTE_0 src1_sel:DWORD
	s_and_saveexec_b32 s18, s1
	s_cbranch_execz .LBB208_340
; %bb.335:                              ;   in Loop: Header=BB208_298 Depth=1
	v_mov_b32_e32 v17, 0x7f800001
	v_and_b32_e32 v9, 0x7f, v54
	v_mov_b32_e32 v18, 0
	s_mov_b32 s21, exec_lo
	v_cmpx_ne_u32_e32 0x7f, v9
	s_cbranch_execz .LBB208_339
; %bb.336:                              ;   in Loop: Header=BB208_298 Depth=1
	v_and_b32_e32 v5, 7, v54
	v_lshrrev_b32_e32 v7, 3, v9
	s_mov_b32 s22, exec_lo
	v_cmpx_gt_u32_e32 8, v9
; %bb.337:                              ;   in Loop: Header=BB208_298 Depth=1
	v_ffbh_u32_e32 v7, v5
	v_min_u32_e32 v7, 32, v7
	v_subrev_nc_u32_e32 v9, 28, v7
	v_sub_nc_u32_e32 v7, 29, v7
	v_lshlrev_b64 v[17:18], v9, v[5:6]
	v_and_b32_e32 v5, 7, v17
; %bb.338:                              ;   in Loop: Header=BB208_298 Depth=1
	s_or_b32 exec_lo, exec_lo, s22
	v_lshlrev_b32_e32 v9, 24, v54
	v_lshlrev_b32_e32 v5, 20, v5
	v_lshl_add_u32 v7, v7, 23, 0x3c000000
	v_and_b32_e32 v9, 0x80000000, v9
	v_or3_b32 v5, v5, v9, v7
	v_mov_b32_e32 v18, v6
	v_mov_b32_e32 v17, v5
.LBB208_339:                            ;   in Loop: Header=BB208_298 Depth=1
	s_or_b32 exec_lo, exec_lo, s21
.LBB208_340:                            ;   in Loop: Header=BB208_298 Depth=1
	s_or_b32 exec_lo, exec_lo, s18
.LBB208_341:                            ;   in Loop: Header=BB208_298 Depth=1
	s_or_b32 exec_lo, exec_lo, s17
	v_cmp_ne_u16_sdwa s1, v54, v6 src0_sel:BYTE_1 src1_sel:DWORD
	s_and_saveexec_b32 s17, s1
	s_cbranch_execz .LBB208_349
; %bb.342:                              ;   in Loop: Header=BB208_298 Depth=1
	v_mov_b32_e32 v7, v6
	v_mov_b32_e32 v20, v8
	v_cmp_ne_u16_sdwa s1, v54, v34 src0_sel:BYTE_1 src1_sel:DWORD
	v_mov_b32_e32 v19, v7
	s_and_saveexec_b32 s18, s1
	s_cbranch_execz .LBB208_348
; %bb.343:                              ;   in Loop: Header=BB208_298 Depth=1
	v_and_b32_sdwa v5, v40, v54 dst_sel:DWORD dst_unused:UNUSED_PAD src0_sel:DWORD src1_sel:BYTE_1
	v_mov_b32_e32 v9, v6
	v_mov_b32_e32 v20, v10
	s_mov_b32 s21, exec_lo
	v_and_b32_e32 v21, 0x7f, v5
	v_mov_b32_e32 v19, v9
	v_cmpx_ne_u32_e32 0x7f, v21
	s_cbranch_execz .LBB208_347
; %bb.344:                              ;   in Loop: Header=BB208_298 Depth=1
	v_and_b32_e32 v5, 7, v5
	v_lshrrev_b32_e32 v7, 3, v21
	s_mov_b32 s22, exec_lo
	v_cmpx_gt_u32_e32 8, v21
; %bb.345:                              ;   in Loop: Header=BB208_298 Depth=1
	v_ffbh_u32_e32 v7, v5
	v_min_u32_e32 v7, 32, v7
	v_subrev_nc_u32_e32 v9, 28, v7
	v_sub_nc_u32_e32 v7, 29, v7
	v_lshlrev_b64 v[19:20], v9, v[5:6]
	v_and_b32_e32 v5, 7, v19
; %bb.346:                              ;   in Loop: Header=BB208_298 Depth=1
	s_or_b32 exec_lo, exec_lo, s22
	v_lshlrev_b32_e32 v9, 16, v54
	v_lshlrev_b32_e32 v5, 20, v5
	v_lshl_add_u32 v7, v7, 23, 0x3c000000
	v_mov_b32_e32 v19, v6
	v_and_b32_e32 v9, 0x80000000, v9
	v_or3_b32 v20, v5, v9, v7
.LBB208_347:                            ;   in Loop: Header=BB208_298 Depth=1
	s_or_b32 exec_lo, exec_lo, s21
.LBB208_348:                            ;   in Loop: Header=BB208_298 Depth=1
	s_or_b32 exec_lo, exec_lo, s18
.LBB208_349:                            ;   in Loop: Header=BB208_298 Depth=1
	s_or_b32 exec_lo, exec_lo, s17
	v_mov_b32_e32 v23, 0
	v_mov_b32_e32 v21, 0
	v_and_b32_sdwa v5, v54, v41 dst_sel:DWORD dst_unused:UNUSED_PAD src0_sel:WORD_1 src1_sel:DWORD
	v_mov_b32_e32 v24, 0
	v_mov_b32_e32 v22, 0
	s_mov_b32 s17, exec_lo
	v_cmpx_ne_u16_e32 0, v5
	s_cbranch_execz .LBB208_357
; %bb.350:                              ;   in Loop: Header=BB208_298 Depth=1
	v_bfrev_b32_e32 v21, 1
	v_mov_b32_e32 v22, 0
	s_mov_b32 s18, exec_lo
	v_cmpx_ne_u16_e32 0x80, v5
	s_cbranch_execz .LBB208_356
; %bb.351:                              ;   in Loop: Header=BB208_298 Depth=1
	v_mov_b32_e32 v21, 0x7f800001
	v_bfe_u32 v9, v54, 16, 7
	v_mov_b32_e32 v22, 0
	s_mov_b32 s21, exec_lo
	v_cmpx_ne_u32_e32 0x7f, v9
	s_cbranch_execz .LBB208_355
; %bb.352:                              ;   in Loop: Header=BB208_298 Depth=1
	v_and_b32_sdwa v5, v54, v42 dst_sel:DWORD dst_unused:UNUSED_PAD src0_sel:WORD_1 src1_sel:DWORD
	v_lshrrev_b32_e32 v7, 3, v9
	s_mov_b32 s22, exec_lo
	v_cmpx_gt_u32_e32 8, v9
; %bb.353:                              ;   in Loop: Header=BB208_298 Depth=1
	v_ffbh_u32_e32 v7, v5
	v_min_u32_e32 v7, 32, v7
	v_subrev_nc_u32_e32 v9, 28, v7
	v_sub_nc_u32_e32 v7, 29, v7
	v_lshlrev_b64 v[21:22], v9, v[5:6]
	v_and_b32_e32 v5, 7, v21
; %bb.354:                              ;   in Loop: Header=BB208_298 Depth=1
	s_or_b32 exec_lo, exec_lo, s22
	v_lshlrev_b32_sdwa v9, v43, v54 dst_sel:DWORD dst_unused:UNUSED_PAD src0_sel:DWORD src1_sel:WORD_1
	v_lshlrev_b32_e32 v5, 20, v5
	v_lshl_add_u32 v7, v7, 23, 0x3c000000
	v_and_b32_e32 v9, 0x80000000, v9
	v_or3_b32 v5, v5, v9, v7
	v_mov_b32_e32 v22, v6
	v_mov_b32_e32 v21, v5
.LBB208_355:                            ;   in Loop: Header=BB208_298 Depth=1
	s_or_b32 exec_lo, exec_lo, s21
.LBB208_356:                            ;   in Loop: Header=BB208_298 Depth=1
	s_or_b32 exec_lo, exec_lo, s18
.LBB208_357:                            ;   in Loop: Header=BB208_298 Depth=1
	s_or_b32 exec_lo, exec_lo, s17
	s_mov_b32 s17, exec_lo
	v_cmpx_lt_u32_e32 0xffffff, v54
	s_cbranch_execz .LBB208_365
; %bb.358:                              ;   in Loop: Header=BB208_298 Depth=1
	v_mov_b32_e32 v7, v6
	v_mov_b32_e32 v24, v8
	v_cmp_ne_u32_sdwa s1, v54, v34 src0_sel:BYTE_3 src1_sel:DWORD
	v_mov_b32_e32 v23, v7
	s_and_saveexec_b32 s18, s1
	s_cbranch_execz .LBB208_364
; %bb.359:                              ;   in Loop: Header=BB208_298 Depth=1
	v_mov_b32_e32 v9, v6
	v_mov_b32_e32 v24, v10
	v_bfe_u32 v55, v54, 24, 7
	s_mov_b32 s21, exec_lo
	v_mov_b32_e32 v23, v9
	v_cmpx_ne_u32_e32 0x7f, v55
	s_cbranch_execz .LBB208_363
; %bb.360:                              ;   in Loop: Header=BB208_298 Depth=1
	v_and_b32_sdwa v5, v54, v42 dst_sel:DWORD dst_unused:UNUSED_PAD src0_sel:BYTE_3 src1_sel:DWORD
	v_lshrrev_b32_e32 v7, 3, v55
	s_mov_b32 s22, exec_lo
	v_cmpx_gt_u32_e32 8, v55
; %bb.361:                              ;   in Loop: Header=BB208_298 Depth=1
	v_ffbh_u32_e32 v7, v5
	v_min_u32_e32 v7, 32, v7
	v_subrev_nc_u32_e32 v9, 28, v7
	v_sub_nc_u32_e32 v7, 29, v7
	v_lshlrev_b64 v[23:24], v9, v[5:6]
	v_and_b32_e32 v5, 7, v23
; %bb.362:                              ;   in Loop: Header=BB208_298 Depth=1
	s_or_b32 exec_lo, exec_lo, s22
	v_lshlrev_b32_sdwa v9, v43, v54 dst_sel:DWORD dst_unused:UNUSED_PAD src0_sel:DWORD src1_sel:BYTE_3
	v_lshlrev_b32_e32 v5, 20, v5
	v_lshl_add_u32 v7, v7, 23, 0x3c000000
	v_mov_b32_e32 v23, v6
	v_and_b32_e32 v9, 0x80000000, v9
	v_or3_b32 v24, v5, v9, v7
.LBB208_363:                            ;   in Loop: Header=BB208_298 Depth=1
	s_or_b32 exec_lo, exec_lo, s21
.LBB208_364:                            ;   in Loop: Header=BB208_298 Depth=1
	s_or_b32 exec_lo, exec_lo, s18
.LBB208_365:                            ;   in Loop: Header=BB208_298 Depth=1
	s_or_b32 exec_lo, exec_lo, s17
	v_or_b32_e32 v5, v20, v18
	v_or_b32_e32 v7, v19, v17
	;; [unrolled: 1-line block ×4, first 2 shown]
	s_mov_b32 s17, s13
	v_mul_f32_e32 v56, s17, v5
	v_mul_f32_e32 v57, s13, v7
	;; [unrolled: 1-line block ×4, first 2 shown]
	s_and_saveexec_b32 s18, vcc_lo
	s_cbranch_execz .LBB208_367
; %bb.366:                              ;   in Loop: Header=BB208_298 Depth=1
	v_cmp_gt_i32_e64 s1, s31, v50
	v_cndmask_b32_e64 v57, 0, v57, s1
	v_cmp_gt_i32_e64 s1, s31, v53
	v_cndmask_b32_e64 v56, 0, v56, s1
	;; [unrolled: 2-line block ×4, first 2 shown]
.LBB208_367:                            ;   in Loop: Header=BB208_298 Depth=1
	s_or_b32 exec_lo, exec_lo, s18
	global_load_dword v58, v[15:16], off offset:256
	v_mov_b32_e32 v19, 0
	v_mov_b32_e32 v17, 0
	;; [unrolled: 1-line block ×4, first 2 shown]
	s_waitcnt vmcnt(0)
	v_cmp_ne_u16_sdwa s1, v58, v6 src0_sel:BYTE_0 src1_sel:DWORD
	s_and_saveexec_b32 s18, s1
	s_cbranch_execz .LBB208_375
; %bb.368:                              ;   in Loop: Header=BB208_298 Depth=1
	v_bfrev_b32_e32 v17, 1
	v_mov_b32_e32 v18, 0
	v_cmp_ne_u16_sdwa s1, v58, v34 src0_sel:BYTE_0 src1_sel:DWORD
	s_and_saveexec_b32 s21, s1
	s_cbranch_execz .LBB208_374
; %bb.369:                              ;   in Loop: Header=BB208_298 Depth=1
	v_mov_b32_e32 v17, 0x7f800001
	v_and_b32_e32 v9, 0x7f, v58
	v_mov_b32_e32 v18, 0
	s_mov_b32 s22, exec_lo
	v_cmpx_ne_u32_e32 0x7f, v9
	s_cbranch_execz .LBB208_373
; %bb.370:                              ;   in Loop: Header=BB208_298 Depth=1
	v_and_b32_e32 v5, 7, v58
	v_lshrrev_b32_e32 v7, 3, v9
	s_mov_b32 s24, exec_lo
	v_cmpx_gt_u32_e32 8, v9
; %bb.371:                              ;   in Loop: Header=BB208_298 Depth=1
	v_ffbh_u32_e32 v7, v5
	v_min_u32_e32 v7, 32, v7
	v_subrev_nc_u32_e32 v9, 28, v7
	v_sub_nc_u32_e32 v7, 29, v7
	v_lshlrev_b64 v[17:18], v9, v[5:6]
	v_and_b32_e32 v5, 7, v17
; %bb.372:                              ;   in Loop: Header=BB208_298 Depth=1
	s_or_b32 exec_lo, exec_lo, s24
	v_lshlrev_b32_e32 v9, 24, v58
	v_lshlrev_b32_e32 v5, 20, v5
	v_lshl_add_u32 v7, v7, 23, 0x3c000000
	v_and_b32_e32 v9, 0x80000000, v9
	v_or3_b32 v5, v5, v9, v7
	v_mov_b32_e32 v18, v6
	v_mov_b32_e32 v17, v5
.LBB208_373:                            ;   in Loop: Header=BB208_298 Depth=1
	s_or_b32 exec_lo, exec_lo, s22
.LBB208_374:                            ;   in Loop: Header=BB208_298 Depth=1
	s_or_b32 exec_lo, exec_lo, s21
.LBB208_375:                            ;   in Loop: Header=BB208_298 Depth=1
	s_or_b32 exec_lo, exec_lo, s18
	v_cmp_ne_u16_sdwa s1, v58, v6 src0_sel:BYTE_1 src1_sel:DWORD
	s_and_saveexec_b32 s18, s1
	s_cbranch_execz .LBB208_383
; %bb.376:                              ;   in Loop: Header=BB208_298 Depth=1
	v_mov_b32_e32 v7, v6
	v_mov_b32_e32 v20, v8
	v_cmp_ne_u16_sdwa s1, v58, v34 src0_sel:BYTE_1 src1_sel:DWORD
	v_mov_b32_e32 v19, v7
	s_and_saveexec_b32 s21, s1
	s_cbranch_execz .LBB208_382
; %bb.377:                              ;   in Loop: Header=BB208_298 Depth=1
	v_and_b32_sdwa v5, v40, v58 dst_sel:DWORD dst_unused:UNUSED_PAD src0_sel:DWORD src1_sel:BYTE_1
	v_mov_b32_e32 v9, v6
	v_mov_b32_e32 v20, v10
	s_mov_b32 s22, exec_lo
	v_and_b32_e32 v21, 0x7f, v5
	v_mov_b32_e32 v19, v9
	v_cmpx_ne_u32_e32 0x7f, v21
	s_cbranch_execz .LBB208_381
; %bb.378:                              ;   in Loop: Header=BB208_298 Depth=1
	v_and_b32_e32 v5, 7, v5
	v_lshrrev_b32_e32 v7, 3, v21
	s_mov_b32 s24, exec_lo
	v_cmpx_gt_u32_e32 8, v21
; %bb.379:                              ;   in Loop: Header=BB208_298 Depth=1
	v_ffbh_u32_e32 v7, v5
	v_min_u32_e32 v7, 32, v7
	v_subrev_nc_u32_e32 v9, 28, v7
	v_sub_nc_u32_e32 v7, 29, v7
	v_lshlrev_b64 v[19:20], v9, v[5:6]
	v_and_b32_e32 v5, 7, v19
; %bb.380:                              ;   in Loop: Header=BB208_298 Depth=1
	s_or_b32 exec_lo, exec_lo, s24
	v_lshlrev_b32_e32 v9, 16, v58
	v_lshlrev_b32_e32 v5, 20, v5
	v_lshl_add_u32 v7, v7, 23, 0x3c000000
	v_mov_b32_e32 v19, v6
	v_and_b32_e32 v9, 0x80000000, v9
	v_or3_b32 v20, v5, v9, v7
.LBB208_381:                            ;   in Loop: Header=BB208_298 Depth=1
	s_or_b32 exec_lo, exec_lo, s22
.LBB208_382:                            ;   in Loop: Header=BB208_298 Depth=1
	s_or_b32 exec_lo, exec_lo, s21
.LBB208_383:                            ;   in Loop: Header=BB208_298 Depth=1
	s_or_b32 exec_lo, exec_lo, s18
	v_mov_b32_e32 v23, 0
	v_mov_b32_e32 v21, 0
	v_and_b32_sdwa v5, v58, v41 dst_sel:DWORD dst_unused:UNUSED_PAD src0_sel:WORD_1 src1_sel:DWORD
	v_mov_b32_e32 v24, 0
	v_mov_b32_e32 v22, 0
	s_mov_b32 s18, exec_lo
	v_cmpx_ne_u16_e32 0, v5
	s_cbranch_execz .LBB208_391
; %bb.384:                              ;   in Loop: Header=BB208_298 Depth=1
	v_bfrev_b32_e32 v21, 1
	v_mov_b32_e32 v22, 0
	s_mov_b32 s21, exec_lo
	v_cmpx_ne_u16_e32 0x80, v5
	s_cbranch_execz .LBB208_390
; %bb.385:                              ;   in Loop: Header=BB208_298 Depth=1
	v_mov_b32_e32 v21, 0x7f800001
	v_bfe_u32 v9, v58, 16, 7
	v_mov_b32_e32 v22, 0
	s_mov_b32 s22, exec_lo
	v_cmpx_ne_u32_e32 0x7f, v9
	s_cbranch_execz .LBB208_389
; %bb.386:                              ;   in Loop: Header=BB208_298 Depth=1
	v_and_b32_sdwa v5, v58, v42 dst_sel:DWORD dst_unused:UNUSED_PAD src0_sel:WORD_1 src1_sel:DWORD
	v_lshrrev_b32_e32 v7, 3, v9
	s_mov_b32 s24, exec_lo
	v_cmpx_gt_u32_e32 8, v9
; %bb.387:                              ;   in Loop: Header=BB208_298 Depth=1
	v_ffbh_u32_e32 v7, v5
	v_min_u32_e32 v7, 32, v7
	v_subrev_nc_u32_e32 v9, 28, v7
	v_sub_nc_u32_e32 v7, 29, v7
	v_lshlrev_b64 v[21:22], v9, v[5:6]
	v_and_b32_e32 v5, 7, v21
; %bb.388:                              ;   in Loop: Header=BB208_298 Depth=1
	s_or_b32 exec_lo, exec_lo, s24
	v_lshlrev_b32_sdwa v9, v43, v58 dst_sel:DWORD dst_unused:UNUSED_PAD src0_sel:DWORD src1_sel:WORD_1
	v_lshlrev_b32_e32 v5, 20, v5
	v_lshl_add_u32 v7, v7, 23, 0x3c000000
	v_and_b32_e32 v9, 0x80000000, v9
	v_or3_b32 v5, v5, v9, v7
	v_mov_b32_e32 v22, v6
	v_mov_b32_e32 v21, v5
.LBB208_389:                            ;   in Loop: Header=BB208_298 Depth=1
	s_or_b32 exec_lo, exec_lo, s22
.LBB208_390:                            ;   in Loop: Header=BB208_298 Depth=1
	s_or_b32 exec_lo, exec_lo, s21
.LBB208_391:                            ;   in Loop: Header=BB208_298 Depth=1
	s_or_b32 exec_lo, exec_lo, s18
	s_mov_b32 s18, exec_lo
	v_cmpx_lt_u32_e32 0xffffff, v58
	s_cbranch_execz .LBB208_399
; %bb.392:                              ;   in Loop: Header=BB208_298 Depth=1
	v_mov_b32_e32 v7, v6
	v_mov_b32_e32 v24, v8
	v_cmp_ne_u32_sdwa s1, v58, v34 src0_sel:BYTE_3 src1_sel:DWORD
	v_mov_b32_e32 v23, v7
	s_and_saveexec_b32 s21, s1
	s_cbranch_execz .LBB208_398
; %bb.393:                              ;   in Loop: Header=BB208_298 Depth=1
	v_mov_b32_e32 v9, v6
	v_mov_b32_e32 v24, v10
	v_bfe_u32 v59, v58, 24, 7
	s_mov_b32 s22, exec_lo
	v_mov_b32_e32 v23, v9
	v_cmpx_ne_u32_e32 0x7f, v59
	s_cbranch_execz .LBB208_397
; %bb.394:                              ;   in Loop: Header=BB208_298 Depth=1
	v_and_b32_sdwa v5, v58, v42 dst_sel:DWORD dst_unused:UNUSED_PAD src0_sel:BYTE_3 src1_sel:DWORD
	v_lshrrev_b32_e32 v7, 3, v59
	s_mov_b32 s24, exec_lo
	v_cmpx_gt_u32_e32 8, v59
; %bb.395:                              ;   in Loop: Header=BB208_298 Depth=1
	v_ffbh_u32_e32 v7, v5
	v_min_u32_e32 v7, 32, v7
	v_subrev_nc_u32_e32 v9, 28, v7
	v_sub_nc_u32_e32 v7, 29, v7
	v_lshlrev_b64 v[23:24], v9, v[5:6]
	v_and_b32_e32 v5, 7, v23
; %bb.396:                              ;   in Loop: Header=BB208_298 Depth=1
	s_or_b32 exec_lo, exec_lo, s24
	v_lshlrev_b32_sdwa v9, v43, v58 dst_sel:DWORD dst_unused:UNUSED_PAD src0_sel:DWORD src1_sel:BYTE_3
	v_lshlrev_b32_e32 v5, 20, v5
	v_lshl_add_u32 v7, v7, 23, 0x3c000000
	v_mov_b32_e32 v23, v6
	v_and_b32_e32 v9, 0x80000000, v9
	v_or3_b32 v24, v5, v9, v7
.LBB208_397:                            ;   in Loop: Header=BB208_298 Depth=1
	s_or_b32 exec_lo, exec_lo, s22
.LBB208_398:                            ;   in Loop: Header=BB208_298 Depth=1
	s_or_b32 exec_lo, exec_lo, s21
.LBB208_399:                            ;   in Loop: Header=BB208_298 Depth=1
	s_or_b32 exec_lo, exec_lo, s18
	v_or_b32_e32 v5, v20, v18
	v_or_b32_e32 v7, v19, v17
	;; [unrolled: 1-line block ×4, first 2 shown]
	v_mul_f32_e32 v60, s17, v5
	v_mul_f32_e32 v61, s13, v7
	;; [unrolled: 1-line block ×4, first 2 shown]
	s_and_saveexec_b32 s18, vcc_lo
	s_cbranch_execz .LBB208_401
; %bb.400:                              ;   in Loop: Header=BB208_298 Depth=1
	v_cmp_gt_i32_e64 s1, s31, v50
	v_cndmask_b32_e64 v61, 0, v61, s1
	v_cmp_gt_i32_e64 s1, s31, v53
	v_cndmask_b32_e64 v60, 0, v60, s1
	;; [unrolled: 2-line block ×4, first 2 shown]
.LBB208_401:                            ;   in Loop: Header=BB208_298 Depth=1
	s_or_b32 exec_lo, exec_lo, s18
	global_load_dword v62, v[15:16], off offset:384
	v_mov_b32_e32 v19, 0
	v_mov_b32_e32 v17, 0
	;; [unrolled: 1-line block ×4, first 2 shown]
	s_waitcnt vmcnt(0)
	v_cmp_ne_u16_sdwa s1, v62, v6 src0_sel:BYTE_0 src1_sel:DWORD
	s_and_saveexec_b32 s18, s1
	s_cbranch_execz .LBB208_409
; %bb.402:                              ;   in Loop: Header=BB208_298 Depth=1
	v_bfrev_b32_e32 v17, 1
	v_mov_b32_e32 v18, 0
	v_cmp_ne_u16_sdwa s1, v62, v34 src0_sel:BYTE_0 src1_sel:DWORD
	s_and_saveexec_b32 s21, s1
	s_cbranch_execz .LBB208_408
; %bb.403:                              ;   in Loop: Header=BB208_298 Depth=1
	v_mov_b32_e32 v17, 0x7f800001
	v_and_b32_e32 v9, 0x7f, v62
	v_mov_b32_e32 v18, 0
	s_mov_b32 s22, exec_lo
	v_cmpx_ne_u32_e32 0x7f, v9
	s_cbranch_execz .LBB208_407
; %bb.404:                              ;   in Loop: Header=BB208_298 Depth=1
	v_and_b32_e32 v5, 7, v62
	v_lshrrev_b32_e32 v7, 3, v9
	s_mov_b32 s24, exec_lo
	v_cmpx_gt_u32_e32 8, v9
; %bb.405:                              ;   in Loop: Header=BB208_298 Depth=1
	v_ffbh_u32_e32 v7, v5
	v_min_u32_e32 v7, 32, v7
	v_subrev_nc_u32_e32 v9, 28, v7
	v_sub_nc_u32_e32 v7, 29, v7
	v_lshlrev_b64 v[17:18], v9, v[5:6]
	v_and_b32_e32 v5, 7, v17
; %bb.406:                              ;   in Loop: Header=BB208_298 Depth=1
	s_or_b32 exec_lo, exec_lo, s24
	v_lshlrev_b32_e32 v9, 24, v62
	v_lshlrev_b32_e32 v5, 20, v5
	v_lshl_add_u32 v7, v7, 23, 0x3c000000
	v_and_b32_e32 v9, 0x80000000, v9
	v_or3_b32 v5, v5, v9, v7
	v_mov_b32_e32 v18, v6
	v_mov_b32_e32 v17, v5
.LBB208_407:                            ;   in Loop: Header=BB208_298 Depth=1
	s_or_b32 exec_lo, exec_lo, s22
.LBB208_408:                            ;   in Loop: Header=BB208_298 Depth=1
	s_or_b32 exec_lo, exec_lo, s21
.LBB208_409:                            ;   in Loop: Header=BB208_298 Depth=1
	s_or_b32 exec_lo, exec_lo, s18
	v_cmp_ne_u16_sdwa s1, v62, v6 src0_sel:BYTE_1 src1_sel:DWORD
	s_and_saveexec_b32 s18, s1
	s_cbranch_execz .LBB208_417
; %bb.410:                              ;   in Loop: Header=BB208_298 Depth=1
	v_mov_b32_e32 v7, v6
	v_mov_b32_e32 v20, v8
	v_cmp_ne_u16_sdwa s1, v62, v34 src0_sel:BYTE_1 src1_sel:DWORD
	v_mov_b32_e32 v19, v7
	s_and_saveexec_b32 s21, s1
	s_cbranch_execz .LBB208_416
; %bb.411:                              ;   in Loop: Header=BB208_298 Depth=1
	v_and_b32_sdwa v5, v40, v62 dst_sel:DWORD dst_unused:UNUSED_PAD src0_sel:DWORD src1_sel:BYTE_1
	v_mov_b32_e32 v9, v6
	v_mov_b32_e32 v20, v10
	s_mov_b32 s22, exec_lo
	v_and_b32_e32 v21, 0x7f, v5
	v_mov_b32_e32 v19, v9
	v_cmpx_ne_u32_e32 0x7f, v21
	s_cbranch_execz .LBB208_415
; %bb.412:                              ;   in Loop: Header=BB208_298 Depth=1
	v_and_b32_e32 v5, 7, v5
	v_lshrrev_b32_e32 v7, 3, v21
	s_mov_b32 s24, exec_lo
	v_cmpx_gt_u32_e32 8, v21
; %bb.413:                              ;   in Loop: Header=BB208_298 Depth=1
	v_ffbh_u32_e32 v7, v5
	v_min_u32_e32 v7, 32, v7
	v_subrev_nc_u32_e32 v9, 28, v7
	v_sub_nc_u32_e32 v7, 29, v7
	v_lshlrev_b64 v[19:20], v9, v[5:6]
	v_and_b32_e32 v5, 7, v19
; %bb.414:                              ;   in Loop: Header=BB208_298 Depth=1
	s_or_b32 exec_lo, exec_lo, s24
	v_lshlrev_b32_e32 v9, 16, v62
	v_lshlrev_b32_e32 v5, 20, v5
	v_lshl_add_u32 v7, v7, 23, 0x3c000000
	v_mov_b32_e32 v19, v6
	v_and_b32_e32 v9, 0x80000000, v9
	v_or3_b32 v20, v5, v9, v7
.LBB208_415:                            ;   in Loop: Header=BB208_298 Depth=1
	s_or_b32 exec_lo, exec_lo, s22
.LBB208_416:                            ;   in Loop: Header=BB208_298 Depth=1
	s_or_b32 exec_lo, exec_lo, s21
.LBB208_417:                            ;   in Loop: Header=BB208_298 Depth=1
	s_or_b32 exec_lo, exec_lo, s18
	v_mov_b32_e32 v23, 0
	v_mov_b32_e32 v21, 0
	v_and_b32_sdwa v5, v62, v41 dst_sel:DWORD dst_unused:UNUSED_PAD src0_sel:WORD_1 src1_sel:DWORD
	v_mov_b32_e32 v24, 0
	v_mov_b32_e32 v22, 0
	s_mov_b32 s18, exec_lo
	v_cmpx_ne_u16_e32 0, v5
	s_cbranch_execz .LBB208_425
; %bb.418:                              ;   in Loop: Header=BB208_298 Depth=1
	v_bfrev_b32_e32 v21, 1
	v_mov_b32_e32 v22, 0
	s_mov_b32 s21, exec_lo
	v_cmpx_ne_u16_e32 0x80, v5
	s_cbranch_execz .LBB208_424
; %bb.419:                              ;   in Loop: Header=BB208_298 Depth=1
	v_mov_b32_e32 v21, 0x7f800001
	v_bfe_u32 v9, v62, 16, 7
	v_mov_b32_e32 v22, 0
	s_mov_b32 s22, exec_lo
	v_cmpx_ne_u32_e32 0x7f, v9
	s_cbranch_execz .LBB208_423
; %bb.420:                              ;   in Loop: Header=BB208_298 Depth=1
	v_and_b32_sdwa v5, v62, v42 dst_sel:DWORD dst_unused:UNUSED_PAD src0_sel:WORD_1 src1_sel:DWORD
	v_lshrrev_b32_e32 v7, 3, v9
	s_mov_b32 s24, exec_lo
	v_cmpx_gt_u32_e32 8, v9
; %bb.421:                              ;   in Loop: Header=BB208_298 Depth=1
	v_ffbh_u32_e32 v7, v5
	v_min_u32_e32 v7, 32, v7
	v_subrev_nc_u32_e32 v9, 28, v7
	v_sub_nc_u32_e32 v7, 29, v7
	v_lshlrev_b64 v[21:22], v9, v[5:6]
	v_and_b32_e32 v5, 7, v21
; %bb.422:                              ;   in Loop: Header=BB208_298 Depth=1
	s_or_b32 exec_lo, exec_lo, s24
	v_lshlrev_b32_sdwa v9, v43, v62 dst_sel:DWORD dst_unused:UNUSED_PAD src0_sel:DWORD src1_sel:WORD_1
	v_lshlrev_b32_e32 v5, 20, v5
	v_lshl_add_u32 v7, v7, 23, 0x3c000000
	v_and_b32_e32 v9, 0x80000000, v9
	v_or3_b32 v5, v5, v9, v7
	v_mov_b32_e32 v22, v6
	v_mov_b32_e32 v21, v5
.LBB208_423:                            ;   in Loop: Header=BB208_298 Depth=1
	s_or_b32 exec_lo, exec_lo, s22
.LBB208_424:                            ;   in Loop: Header=BB208_298 Depth=1
	s_or_b32 exec_lo, exec_lo, s21
.LBB208_425:                            ;   in Loop: Header=BB208_298 Depth=1
	s_or_b32 exec_lo, exec_lo, s18
	s_mov_b32 s18, exec_lo
	v_cmpx_lt_u32_e32 0xffffff, v62
	s_cbranch_execz .LBB208_433
; %bb.426:                              ;   in Loop: Header=BB208_298 Depth=1
	v_mov_b32_e32 v7, v6
	v_mov_b32_e32 v24, v8
	v_cmp_ne_u32_sdwa s1, v62, v34 src0_sel:BYTE_3 src1_sel:DWORD
	v_mov_b32_e32 v23, v7
	s_and_saveexec_b32 s21, s1
	s_cbranch_execz .LBB208_432
; %bb.427:                              ;   in Loop: Header=BB208_298 Depth=1
	v_mov_b32_e32 v9, v6
	v_mov_b32_e32 v24, v10
	v_bfe_u32 v63, v62, 24, 7
	s_mov_b32 s22, exec_lo
	v_mov_b32_e32 v23, v9
	v_cmpx_ne_u32_e32 0x7f, v63
	s_cbranch_execz .LBB208_431
; %bb.428:                              ;   in Loop: Header=BB208_298 Depth=1
	v_and_b32_sdwa v5, v62, v42 dst_sel:DWORD dst_unused:UNUSED_PAD src0_sel:BYTE_3 src1_sel:DWORD
	v_lshrrev_b32_e32 v7, 3, v63
	s_mov_b32 s24, exec_lo
	v_cmpx_gt_u32_e32 8, v63
; %bb.429:                              ;   in Loop: Header=BB208_298 Depth=1
	v_ffbh_u32_e32 v7, v5
	v_min_u32_e32 v7, 32, v7
	v_subrev_nc_u32_e32 v9, 28, v7
	v_sub_nc_u32_e32 v7, 29, v7
	v_lshlrev_b64 v[23:24], v9, v[5:6]
	v_and_b32_e32 v5, 7, v23
; %bb.430:                              ;   in Loop: Header=BB208_298 Depth=1
	s_or_b32 exec_lo, exec_lo, s24
	v_lshlrev_b32_sdwa v9, v43, v62 dst_sel:DWORD dst_unused:UNUSED_PAD src0_sel:DWORD src1_sel:BYTE_3
	v_lshlrev_b32_e32 v5, 20, v5
	v_lshl_add_u32 v7, v7, 23, 0x3c000000
	v_mov_b32_e32 v23, v6
	v_and_b32_e32 v9, 0x80000000, v9
	v_or3_b32 v24, v5, v9, v7
.LBB208_431:                            ;   in Loop: Header=BB208_298 Depth=1
	s_or_b32 exec_lo, exec_lo, s22
.LBB208_432:                            ;   in Loop: Header=BB208_298 Depth=1
	s_or_b32 exec_lo, exec_lo, s21
.LBB208_433:                            ;   in Loop: Header=BB208_298 Depth=1
	s_or_b32 exec_lo, exec_lo, s18
	v_or_b32_e32 v5, v20, v18
	v_or_b32_e32 v7, v19, v17
	;; [unrolled: 1-line block ×4, first 2 shown]
	v_mul_f32_e32 v64, s17, v5
	v_mul_f32_e32 v65, s13, v7
	;; [unrolled: 1-line block ×4, first 2 shown]
	s_and_saveexec_b32 s18, vcc_lo
	s_cbranch_execz .LBB208_435
; %bb.434:                              ;   in Loop: Header=BB208_298 Depth=1
	v_cmp_gt_i32_e64 s1, s31, v50
	v_cndmask_b32_e64 v65, 0, v65, s1
	v_cmp_gt_i32_e64 s1, s31, v53
	v_cndmask_b32_e64 v64, 0, v64, s1
	;; [unrolled: 2-line block ×4, first 2 shown]
.LBB208_435:                            ;   in Loop: Header=BB208_298 Depth=1
	s_or_b32 exec_lo, exec_lo, s18
	global_load_dword v66, v[15:16], off offset:512
	v_mov_b32_e32 v19, 0
	v_mov_b32_e32 v17, 0
	;; [unrolled: 1-line block ×4, first 2 shown]
	s_waitcnt vmcnt(0)
	v_cmp_ne_u16_sdwa s1, v66, v6 src0_sel:BYTE_0 src1_sel:DWORD
	s_and_saveexec_b32 s18, s1
	s_cbranch_execz .LBB208_443
; %bb.436:                              ;   in Loop: Header=BB208_298 Depth=1
	v_bfrev_b32_e32 v17, 1
	v_mov_b32_e32 v18, 0
	v_cmp_ne_u16_sdwa s1, v66, v34 src0_sel:BYTE_0 src1_sel:DWORD
	s_and_saveexec_b32 s21, s1
	s_cbranch_execz .LBB208_442
; %bb.437:                              ;   in Loop: Header=BB208_298 Depth=1
	v_mov_b32_e32 v17, 0x7f800001
	v_and_b32_e32 v9, 0x7f, v66
	v_mov_b32_e32 v18, 0
	s_mov_b32 s22, exec_lo
	v_cmpx_ne_u32_e32 0x7f, v9
	s_cbranch_execz .LBB208_441
; %bb.438:                              ;   in Loop: Header=BB208_298 Depth=1
	v_and_b32_e32 v5, 7, v66
	v_lshrrev_b32_e32 v7, 3, v9
	s_mov_b32 s24, exec_lo
	v_cmpx_gt_u32_e32 8, v9
; %bb.439:                              ;   in Loop: Header=BB208_298 Depth=1
	v_ffbh_u32_e32 v7, v5
	v_min_u32_e32 v7, 32, v7
	v_subrev_nc_u32_e32 v9, 28, v7
	v_sub_nc_u32_e32 v7, 29, v7
	v_lshlrev_b64 v[17:18], v9, v[5:6]
	v_and_b32_e32 v5, 7, v17
; %bb.440:                              ;   in Loop: Header=BB208_298 Depth=1
	s_or_b32 exec_lo, exec_lo, s24
	v_lshlrev_b32_e32 v9, 24, v66
	v_lshlrev_b32_e32 v5, 20, v5
	v_lshl_add_u32 v7, v7, 23, 0x3c000000
	v_and_b32_e32 v9, 0x80000000, v9
	v_or3_b32 v5, v5, v9, v7
	v_mov_b32_e32 v18, v6
	v_mov_b32_e32 v17, v5
.LBB208_441:                            ;   in Loop: Header=BB208_298 Depth=1
	s_or_b32 exec_lo, exec_lo, s22
.LBB208_442:                            ;   in Loop: Header=BB208_298 Depth=1
	s_or_b32 exec_lo, exec_lo, s21
.LBB208_443:                            ;   in Loop: Header=BB208_298 Depth=1
	s_or_b32 exec_lo, exec_lo, s18
	v_cmp_ne_u16_sdwa s1, v66, v6 src0_sel:BYTE_1 src1_sel:DWORD
	s_and_saveexec_b32 s18, s1
	s_cbranch_execz .LBB208_451
; %bb.444:                              ;   in Loop: Header=BB208_298 Depth=1
	v_mov_b32_e32 v7, v6
	v_mov_b32_e32 v20, v8
	v_cmp_ne_u16_sdwa s1, v66, v34 src0_sel:BYTE_1 src1_sel:DWORD
	v_mov_b32_e32 v19, v7
	s_and_saveexec_b32 s21, s1
	s_cbranch_execz .LBB208_450
; %bb.445:                              ;   in Loop: Header=BB208_298 Depth=1
	v_and_b32_sdwa v5, v40, v66 dst_sel:DWORD dst_unused:UNUSED_PAD src0_sel:DWORD src1_sel:BYTE_1
	v_mov_b32_e32 v9, v6
	v_mov_b32_e32 v20, v10
	s_mov_b32 s22, exec_lo
	v_and_b32_e32 v21, 0x7f, v5
	v_mov_b32_e32 v19, v9
	v_cmpx_ne_u32_e32 0x7f, v21
	s_cbranch_execz .LBB208_449
; %bb.446:                              ;   in Loop: Header=BB208_298 Depth=1
	v_and_b32_e32 v5, 7, v5
	v_lshrrev_b32_e32 v7, 3, v21
	s_mov_b32 s24, exec_lo
	v_cmpx_gt_u32_e32 8, v21
; %bb.447:                              ;   in Loop: Header=BB208_298 Depth=1
	v_ffbh_u32_e32 v7, v5
	v_min_u32_e32 v7, 32, v7
	v_subrev_nc_u32_e32 v9, 28, v7
	v_sub_nc_u32_e32 v7, 29, v7
	v_lshlrev_b64 v[19:20], v9, v[5:6]
	v_and_b32_e32 v5, 7, v19
; %bb.448:                              ;   in Loop: Header=BB208_298 Depth=1
	s_or_b32 exec_lo, exec_lo, s24
	v_lshlrev_b32_e32 v9, 16, v66
	v_lshlrev_b32_e32 v5, 20, v5
	v_lshl_add_u32 v7, v7, 23, 0x3c000000
	v_mov_b32_e32 v19, v6
	v_and_b32_e32 v9, 0x80000000, v9
	v_or3_b32 v20, v5, v9, v7
.LBB208_449:                            ;   in Loop: Header=BB208_298 Depth=1
	s_or_b32 exec_lo, exec_lo, s22
.LBB208_450:                            ;   in Loop: Header=BB208_298 Depth=1
	s_or_b32 exec_lo, exec_lo, s21
.LBB208_451:                            ;   in Loop: Header=BB208_298 Depth=1
	s_or_b32 exec_lo, exec_lo, s18
	v_mov_b32_e32 v23, 0
	v_mov_b32_e32 v21, 0
	v_and_b32_sdwa v5, v66, v41 dst_sel:DWORD dst_unused:UNUSED_PAD src0_sel:WORD_1 src1_sel:DWORD
	v_mov_b32_e32 v24, 0
	v_mov_b32_e32 v22, 0
	s_mov_b32 s18, exec_lo
	v_cmpx_ne_u16_e32 0, v5
	s_cbranch_execz .LBB208_459
; %bb.452:                              ;   in Loop: Header=BB208_298 Depth=1
	v_bfrev_b32_e32 v21, 1
	v_mov_b32_e32 v22, 0
	s_mov_b32 s21, exec_lo
	v_cmpx_ne_u16_e32 0x80, v5
	s_cbranch_execz .LBB208_458
; %bb.453:                              ;   in Loop: Header=BB208_298 Depth=1
	v_mov_b32_e32 v21, 0x7f800001
	v_bfe_u32 v9, v66, 16, 7
	v_mov_b32_e32 v22, 0
	s_mov_b32 s22, exec_lo
	v_cmpx_ne_u32_e32 0x7f, v9
	s_cbranch_execz .LBB208_457
; %bb.454:                              ;   in Loop: Header=BB208_298 Depth=1
	v_and_b32_sdwa v5, v66, v42 dst_sel:DWORD dst_unused:UNUSED_PAD src0_sel:WORD_1 src1_sel:DWORD
	v_lshrrev_b32_e32 v7, 3, v9
	s_mov_b32 s24, exec_lo
	v_cmpx_gt_u32_e32 8, v9
; %bb.455:                              ;   in Loop: Header=BB208_298 Depth=1
	v_ffbh_u32_e32 v7, v5
	v_min_u32_e32 v7, 32, v7
	v_subrev_nc_u32_e32 v9, 28, v7
	v_sub_nc_u32_e32 v7, 29, v7
	v_lshlrev_b64 v[21:22], v9, v[5:6]
	v_and_b32_e32 v5, 7, v21
; %bb.456:                              ;   in Loop: Header=BB208_298 Depth=1
	s_or_b32 exec_lo, exec_lo, s24
	v_lshlrev_b32_sdwa v9, v43, v66 dst_sel:DWORD dst_unused:UNUSED_PAD src0_sel:DWORD src1_sel:WORD_1
	v_lshlrev_b32_e32 v5, 20, v5
	v_lshl_add_u32 v7, v7, 23, 0x3c000000
	v_and_b32_e32 v9, 0x80000000, v9
	v_or3_b32 v5, v5, v9, v7
	v_mov_b32_e32 v22, v6
	v_mov_b32_e32 v21, v5
.LBB208_457:                            ;   in Loop: Header=BB208_298 Depth=1
	s_or_b32 exec_lo, exec_lo, s22
.LBB208_458:                            ;   in Loop: Header=BB208_298 Depth=1
	s_or_b32 exec_lo, exec_lo, s21
.LBB208_459:                            ;   in Loop: Header=BB208_298 Depth=1
	s_or_b32 exec_lo, exec_lo, s18
	s_mov_b32 s18, exec_lo
	v_cmpx_lt_u32_e32 0xffffff, v66
	s_cbranch_execz .LBB208_467
; %bb.460:                              ;   in Loop: Header=BB208_298 Depth=1
	v_mov_b32_e32 v7, v6
	v_mov_b32_e32 v24, v8
	v_cmp_ne_u32_sdwa s1, v66, v34 src0_sel:BYTE_3 src1_sel:DWORD
	v_mov_b32_e32 v23, v7
	s_and_saveexec_b32 s21, s1
	s_cbranch_execz .LBB208_466
; %bb.461:                              ;   in Loop: Header=BB208_298 Depth=1
	v_mov_b32_e32 v9, v6
	v_mov_b32_e32 v24, v10
	v_bfe_u32 v67, v66, 24, 7
	s_mov_b32 s22, exec_lo
	v_mov_b32_e32 v23, v9
	v_cmpx_ne_u32_e32 0x7f, v67
	s_cbranch_execz .LBB208_465
; %bb.462:                              ;   in Loop: Header=BB208_298 Depth=1
	v_and_b32_sdwa v5, v66, v42 dst_sel:DWORD dst_unused:UNUSED_PAD src0_sel:BYTE_3 src1_sel:DWORD
	v_lshrrev_b32_e32 v7, 3, v67
	s_mov_b32 s24, exec_lo
	v_cmpx_gt_u32_e32 8, v67
; %bb.463:                              ;   in Loop: Header=BB208_298 Depth=1
	v_ffbh_u32_e32 v7, v5
	v_min_u32_e32 v7, 32, v7
	v_subrev_nc_u32_e32 v9, 28, v7
	v_sub_nc_u32_e32 v7, 29, v7
	v_lshlrev_b64 v[23:24], v9, v[5:6]
	v_and_b32_e32 v5, 7, v23
; %bb.464:                              ;   in Loop: Header=BB208_298 Depth=1
	s_or_b32 exec_lo, exec_lo, s24
	v_lshlrev_b32_sdwa v9, v43, v66 dst_sel:DWORD dst_unused:UNUSED_PAD src0_sel:DWORD src1_sel:BYTE_3
	v_lshlrev_b32_e32 v5, 20, v5
	v_lshl_add_u32 v7, v7, 23, 0x3c000000
	v_mov_b32_e32 v23, v6
	v_and_b32_e32 v9, 0x80000000, v9
	v_or3_b32 v24, v5, v9, v7
.LBB208_465:                            ;   in Loop: Header=BB208_298 Depth=1
	s_or_b32 exec_lo, exec_lo, s22
.LBB208_466:                            ;   in Loop: Header=BB208_298 Depth=1
	s_or_b32 exec_lo, exec_lo, s21
.LBB208_467:                            ;   in Loop: Header=BB208_298 Depth=1
	s_or_b32 exec_lo, exec_lo, s18
	v_or_b32_e32 v5, v20, v18
	v_or_b32_e32 v7, v19, v17
	;; [unrolled: 1-line block ×4, first 2 shown]
	v_mul_f32_e32 v68, s17, v5
	v_mul_f32_e32 v69, s13, v7
	;; [unrolled: 1-line block ×4, first 2 shown]
	s_and_saveexec_b32 s18, vcc_lo
	s_cbranch_execz .LBB208_469
; %bb.468:                              ;   in Loop: Header=BB208_298 Depth=1
	v_cmp_gt_i32_e64 s1, s31, v50
	v_cndmask_b32_e64 v69, 0, v69, s1
	v_cmp_gt_i32_e64 s1, s31, v53
	v_cndmask_b32_e64 v68, 0, v68, s1
	;; [unrolled: 2-line block ×4, first 2 shown]
.LBB208_469:                            ;   in Loop: Header=BB208_298 Depth=1
	s_or_b32 exec_lo, exec_lo, s18
	global_load_dword v70, v[15:16], off offset:640
	v_mov_b32_e32 v19, 0
	v_mov_b32_e32 v17, 0
	;; [unrolled: 1-line block ×4, first 2 shown]
	s_waitcnt vmcnt(0)
	v_cmp_ne_u16_sdwa s1, v70, v6 src0_sel:BYTE_0 src1_sel:DWORD
	s_and_saveexec_b32 s18, s1
	s_cbranch_execz .LBB208_477
; %bb.470:                              ;   in Loop: Header=BB208_298 Depth=1
	v_bfrev_b32_e32 v17, 1
	v_mov_b32_e32 v18, 0
	v_cmp_ne_u16_sdwa s1, v70, v34 src0_sel:BYTE_0 src1_sel:DWORD
	s_and_saveexec_b32 s21, s1
	s_cbranch_execz .LBB208_476
; %bb.471:                              ;   in Loop: Header=BB208_298 Depth=1
	v_mov_b32_e32 v17, 0x7f800001
	v_and_b32_e32 v9, 0x7f, v70
	v_mov_b32_e32 v18, 0
	s_mov_b32 s22, exec_lo
	v_cmpx_ne_u32_e32 0x7f, v9
	s_cbranch_execz .LBB208_475
; %bb.472:                              ;   in Loop: Header=BB208_298 Depth=1
	v_and_b32_e32 v5, 7, v70
	v_lshrrev_b32_e32 v7, 3, v9
	s_mov_b32 s24, exec_lo
	v_cmpx_gt_u32_e32 8, v9
; %bb.473:                              ;   in Loop: Header=BB208_298 Depth=1
	v_ffbh_u32_e32 v7, v5
	v_min_u32_e32 v7, 32, v7
	v_subrev_nc_u32_e32 v9, 28, v7
	v_sub_nc_u32_e32 v7, 29, v7
	v_lshlrev_b64 v[17:18], v9, v[5:6]
	v_and_b32_e32 v5, 7, v17
; %bb.474:                              ;   in Loop: Header=BB208_298 Depth=1
	s_or_b32 exec_lo, exec_lo, s24
	v_lshlrev_b32_e32 v9, 24, v70
	v_lshlrev_b32_e32 v5, 20, v5
	v_lshl_add_u32 v7, v7, 23, 0x3c000000
	v_and_b32_e32 v9, 0x80000000, v9
	v_or3_b32 v5, v5, v9, v7
	v_mov_b32_e32 v18, v6
	v_mov_b32_e32 v17, v5
.LBB208_475:                            ;   in Loop: Header=BB208_298 Depth=1
	s_or_b32 exec_lo, exec_lo, s22
.LBB208_476:                            ;   in Loop: Header=BB208_298 Depth=1
	s_or_b32 exec_lo, exec_lo, s21
.LBB208_477:                            ;   in Loop: Header=BB208_298 Depth=1
	s_or_b32 exec_lo, exec_lo, s18
	v_cmp_ne_u16_sdwa s1, v70, v6 src0_sel:BYTE_1 src1_sel:DWORD
	s_and_saveexec_b32 s18, s1
	s_cbranch_execz .LBB208_485
; %bb.478:                              ;   in Loop: Header=BB208_298 Depth=1
	v_mov_b32_e32 v7, v6
	v_mov_b32_e32 v20, v8
	v_cmp_ne_u16_sdwa s1, v70, v34 src0_sel:BYTE_1 src1_sel:DWORD
	v_mov_b32_e32 v19, v7
	s_and_saveexec_b32 s21, s1
	s_cbranch_execz .LBB208_484
; %bb.479:                              ;   in Loop: Header=BB208_298 Depth=1
	v_and_b32_sdwa v5, v40, v70 dst_sel:DWORD dst_unused:UNUSED_PAD src0_sel:DWORD src1_sel:BYTE_1
	v_mov_b32_e32 v9, v6
	v_mov_b32_e32 v20, v10
	s_mov_b32 s22, exec_lo
	v_and_b32_e32 v21, 0x7f, v5
	v_mov_b32_e32 v19, v9
	v_cmpx_ne_u32_e32 0x7f, v21
	s_cbranch_execz .LBB208_483
; %bb.480:                              ;   in Loop: Header=BB208_298 Depth=1
	v_and_b32_e32 v5, 7, v5
	v_lshrrev_b32_e32 v7, 3, v21
	s_mov_b32 s24, exec_lo
	v_cmpx_gt_u32_e32 8, v21
; %bb.481:                              ;   in Loop: Header=BB208_298 Depth=1
	v_ffbh_u32_e32 v7, v5
	v_min_u32_e32 v7, 32, v7
	v_subrev_nc_u32_e32 v9, 28, v7
	v_sub_nc_u32_e32 v7, 29, v7
	v_lshlrev_b64 v[19:20], v9, v[5:6]
	v_and_b32_e32 v5, 7, v19
; %bb.482:                              ;   in Loop: Header=BB208_298 Depth=1
	s_or_b32 exec_lo, exec_lo, s24
	v_lshlrev_b32_e32 v9, 16, v70
	v_lshlrev_b32_e32 v5, 20, v5
	v_lshl_add_u32 v7, v7, 23, 0x3c000000
	v_mov_b32_e32 v19, v6
	v_and_b32_e32 v9, 0x80000000, v9
	v_or3_b32 v20, v5, v9, v7
.LBB208_483:                            ;   in Loop: Header=BB208_298 Depth=1
	s_or_b32 exec_lo, exec_lo, s22
.LBB208_484:                            ;   in Loop: Header=BB208_298 Depth=1
	s_or_b32 exec_lo, exec_lo, s21
.LBB208_485:                            ;   in Loop: Header=BB208_298 Depth=1
	s_or_b32 exec_lo, exec_lo, s18
	v_mov_b32_e32 v23, 0
	v_mov_b32_e32 v21, 0
	v_and_b32_sdwa v5, v70, v41 dst_sel:DWORD dst_unused:UNUSED_PAD src0_sel:WORD_1 src1_sel:DWORD
	v_mov_b32_e32 v24, 0
	v_mov_b32_e32 v22, 0
	s_mov_b32 s18, exec_lo
	v_cmpx_ne_u16_e32 0, v5
	s_cbranch_execz .LBB208_493
; %bb.486:                              ;   in Loop: Header=BB208_298 Depth=1
	v_bfrev_b32_e32 v21, 1
	v_mov_b32_e32 v22, 0
	s_mov_b32 s21, exec_lo
	v_cmpx_ne_u16_e32 0x80, v5
	s_cbranch_execz .LBB208_492
; %bb.487:                              ;   in Loop: Header=BB208_298 Depth=1
	v_mov_b32_e32 v21, 0x7f800001
	v_bfe_u32 v9, v70, 16, 7
	v_mov_b32_e32 v22, 0
	s_mov_b32 s22, exec_lo
	v_cmpx_ne_u32_e32 0x7f, v9
	s_cbranch_execz .LBB208_491
; %bb.488:                              ;   in Loop: Header=BB208_298 Depth=1
	v_and_b32_sdwa v5, v70, v42 dst_sel:DWORD dst_unused:UNUSED_PAD src0_sel:WORD_1 src1_sel:DWORD
	v_lshrrev_b32_e32 v7, 3, v9
	s_mov_b32 s24, exec_lo
	v_cmpx_gt_u32_e32 8, v9
; %bb.489:                              ;   in Loop: Header=BB208_298 Depth=1
	v_ffbh_u32_e32 v7, v5
	v_min_u32_e32 v7, 32, v7
	v_subrev_nc_u32_e32 v9, 28, v7
	v_sub_nc_u32_e32 v7, 29, v7
	v_lshlrev_b64 v[21:22], v9, v[5:6]
	v_and_b32_e32 v5, 7, v21
; %bb.490:                              ;   in Loop: Header=BB208_298 Depth=1
	s_or_b32 exec_lo, exec_lo, s24
	v_lshlrev_b32_sdwa v9, v43, v70 dst_sel:DWORD dst_unused:UNUSED_PAD src0_sel:DWORD src1_sel:WORD_1
	v_lshlrev_b32_e32 v5, 20, v5
	v_lshl_add_u32 v7, v7, 23, 0x3c000000
	v_and_b32_e32 v9, 0x80000000, v9
	v_or3_b32 v5, v5, v9, v7
	v_mov_b32_e32 v22, v6
	v_mov_b32_e32 v21, v5
.LBB208_491:                            ;   in Loop: Header=BB208_298 Depth=1
	s_or_b32 exec_lo, exec_lo, s22
.LBB208_492:                            ;   in Loop: Header=BB208_298 Depth=1
	s_or_b32 exec_lo, exec_lo, s21
.LBB208_493:                            ;   in Loop: Header=BB208_298 Depth=1
	s_or_b32 exec_lo, exec_lo, s18
	s_mov_b32 s18, exec_lo
	v_cmpx_lt_u32_e32 0xffffff, v70
	s_cbranch_execz .LBB208_501
; %bb.494:                              ;   in Loop: Header=BB208_298 Depth=1
	v_mov_b32_e32 v7, v6
	v_mov_b32_e32 v24, v8
	v_cmp_ne_u32_sdwa s1, v70, v34 src0_sel:BYTE_3 src1_sel:DWORD
	v_mov_b32_e32 v23, v7
	s_and_saveexec_b32 s21, s1
	s_cbranch_execz .LBB208_500
; %bb.495:                              ;   in Loop: Header=BB208_298 Depth=1
	v_mov_b32_e32 v9, v6
	v_mov_b32_e32 v24, v10
	v_bfe_u32 v71, v70, 24, 7
	s_mov_b32 s22, exec_lo
	v_mov_b32_e32 v23, v9
	v_cmpx_ne_u32_e32 0x7f, v71
	s_cbranch_execz .LBB208_499
; %bb.496:                              ;   in Loop: Header=BB208_298 Depth=1
	v_and_b32_sdwa v5, v70, v42 dst_sel:DWORD dst_unused:UNUSED_PAD src0_sel:BYTE_3 src1_sel:DWORD
	v_lshrrev_b32_e32 v7, 3, v71
	s_mov_b32 s24, exec_lo
	v_cmpx_gt_u32_e32 8, v71
; %bb.497:                              ;   in Loop: Header=BB208_298 Depth=1
	v_ffbh_u32_e32 v7, v5
	v_min_u32_e32 v7, 32, v7
	v_subrev_nc_u32_e32 v9, 28, v7
	v_sub_nc_u32_e32 v7, 29, v7
	v_lshlrev_b64 v[23:24], v9, v[5:6]
	v_and_b32_e32 v5, 7, v23
; %bb.498:                              ;   in Loop: Header=BB208_298 Depth=1
	s_or_b32 exec_lo, exec_lo, s24
	v_lshlrev_b32_sdwa v9, v43, v70 dst_sel:DWORD dst_unused:UNUSED_PAD src0_sel:DWORD src1_sel:BYTE_3
	v_lshlrev_b32_e32 v5, 20, v5
	v_lshl_add_u32 v7, v7, 23, 0x3c000000
	v_mov_b32_e32 v23, v6
	v_and_b32_e32 v9, 0x80000000, v9
	v_or3_b32 v24, v5, v9, v7
.LBB208_499:                            ;   in Loop: Header=BB208_298 Depth=1
	s_or_b32 exec_lo, exec_lo, s22
.LBB208_500:                            ;   in Loop: Header=BB208_298 Depth=1
	s_or_b32 exec_lo, exec_lo, s21
.LBB208_501:                            ;   in Loop: Header=BB208_298 Depth=1
	s_or_b32 exec_lo, exec_lo, s18
	v_or_b32_e32 v5, v20, v18
	v_or_b32_e32 v7, v19, v17
	;; [unrolled: 1-line block ×4, first 2 shown]
	v_mul_f32_e32 v72, s17, v5
	v_mul_f32_e32 v73, s13, v7
	;; [unrolled: 1-line block ×4, first 2 shown]
	s_and_saveexec_b32 s18, vcc_lo
	s_cbranch_execz .LBB208_503
; %bb.502:                              ;   in Loop: Header=BB208_298 Depth=1
	v_cmp_gt_i32_e64 s1, s31, v50
	v_cndmask_b32_e64 v73, 0, v73, s1
	v_cmp_gt_i32_e64 s1, s31, v53
	v_cndmask_b32_e64 v72, 0, v72, s1
	;; [unrolled: 2-line block ×4, first 2 shown]
.LBB208_503:                            ;   in Loop: Header=BB208_298 Depth=1
	s_or_b32 exec_lo, exec_lo, s18
	global_load_dword v74, v[15:16], off offset:768
	v_mov_b32_e32 v19, 0
	v_mov_b32_e32 v17, 0
	;; [unrolled: 1-line block ×4, first 2 shown]
	s_waitcnt vmcnt(0)
	v_cmp_ne_u16_sdwa s1, v74, v6 src0_sel:BYTE_0 src1_sel:DWORD
	s_and_saveexec_b32 s18, s1
	s_cbranch_execz .LBB208_511
; %bb.504:                              ;   in Loop: Header=BB208_298 Depth=1
	v_bfrev_b32_e32 v17, 1
	v_mov_b32_e32 v18, 0
	v_cmp_ne_u16_sdwa s1, v74, v34 src0_sel:BYTE_0 src1_sel:DWORD
	s_and_saveexec_b32 s21, s1
	s_cbranch_execz .LBB208_510
; %bb.505:                              ;   in Loop: Header=BB208_298 Depth=1
	v_mov_b32_e32 v17, 0x7f800001
	v_and_b32_e32 v9, 0x7f, v74
	v_mov_b32_e32 v18, 0
	s_mov_b32 s22, exec_lo
	v_cmpx_ne_u32_e32 0x7f, v9
	s_cbranch_execz .LBB208_509
; %bb.506:                              ;   in Loop: Header=BB208_298 Depth=1
	v_and_b32_e32 v5, 7, v74
	v_lshrrev_b32_e32 v7, 3, v9
	s_mov_b32 s24, exec_lo
	v_cmpx_gt_u32_e32 8, v9
; %bb.507:                              ;   in Loop: Header=BB208_298 Depth=1
	v_ffbh_u32_e32 v7, v5
	v_min_u32_e32 v7, 32, v7
	v_subrev_nc_u32_e32 v9, 28, v7
	v_sub_nc_u32_e32 v7, 29, v7
	v_lshlrev_b64 v[17:18], v9, v[5:6]
	v_and_b32_e32 v5, 7, v17
; %bb.508:                              ;   in Loop: Header=BB208_298 Depth=1
	s_or_b32 exec_lo, exec_lo, s24
	v_lshlrev_b32_e32 v9, 24, v74
	v_lshlrev_b32_e32 v5, 20, v5
	v_lshl_add_u32 v7, v7, 23, 0x3c000000
	v_and_b32_e32 v9, 0x80000000, v9
	v_or3_b32 v5, v5, v9, v7
	v_mov_b32_e32 v18, v6
	v_mov_b32_e32 v17, v5
.LBB208_509:                            ;   in Loop: Header=BB208_298 Depth=1
	s_or_b32 exec_lo, exec_lo, s22
.LBB208_510:                            ;   in Loop: Header=BB208_298 Depth=1
	s_or_b32 exec_lo, exec_lo, s21
.LBB208_511:                            ;   in Loop: Header=BB208_298 Depth=1
	s_or_b32 exec_lo, exec_lo, s18
	v_cmp_ne_u16_sdwa s1, v74, v6 src0_sel:BYTE_1 src1_sel:DWORD
	s_and_saveexec_b32 s18, s1
	s_cbranch_execz .LBB208_519
; %bb.512:                              ;   in Loop: Header=BB208_298 Depth=1
	v_mov_b32_e32 v7, v6
	v_mov_b32_e32 v20, v8
	v_cmp_ne_u16_sdwa s1, v74, v34 src0_sel:BYTE_1 src1_sel:DWORD
	v_mov_b32_e32 v19, v7
	s_and_saveexec_b32 s21, s1
	s_cbranch_execz .LBB208_518
; %bb.513:                              ;   in Loop: Header=BB208_298 Depth=1
	v_and_b32_sdwa v5, v40, v74 dst_sel:DWORD dst_unused:UNUSED_PAD src0_sel:DWORD src1_sel:BYTE_1
	v_mov_b32_e32 v9, v6
	v_mov_b32_e32 v20, v10
	s_mov_b32 s22, exec_lo
	v_and_b32_e32 v21, 0x7f, v5
	v_mov_b32_e32 v19, v9
	v_cmpx_ne_u32_e32 0x7f, v21
	s_cbranch_execz .LBB208_517
; %bb.514:                              ;   in Loop: Header=BB208_298 Depth=1
	v_and_b32_e32 v5, 7, v5
	v_lshrrev_b32_e32 v7, 3, v21
	s_mov_b32 s24, exec_lo
	v_cmpx_gt_u32_e32 8, v21
; %bb.515:                              ;   in Loop: Header=BB208_298 Depth=1
	v_ffbh_u32_e32 v7, v5
	v_min_u32_e32 v7, 32, v7
	v_subrev_nc_u32_e32 v9, 28, v7
	v_sub_nc_u32_e32 v7, 29, v7
	v_lshlrev_b64 v[19:20], v9, v[5:6]
	v_and_b32_e32 v5, 7, v19
; %bb.516:                              ;   in Loop: Header=BB208_298 Depth=1
	s_or_b32 exec_lo, exec_lo, s24
	v_lshlrev_b32_e32 v9, 16, v74
	v_lshlrev_b32_e32 v5, 20, v5
	v_lshl_add_u32 v7, v7, 23, 0x3c000000
	v_mov_b32_e32 v19, v6
	v_and_b32_e32 v9, 0x80000000, v9
	v_or3_b32 v20, v5, v9, v7
.LBB208_517:                            ;   in Loop: Header=BB208_298 Depth=1
	s_or_b32 exec_lo, exec_lo, s22
.LBB208_518:                            ;   in Loop: Header=BB208_298 Depth=1
	s_or_b32 exec_lo, exec_lo, s21
.LBB208_519:                            ;   in Loop: Header=BB208_298 Depth=1
	s_or_b32 exec_lo, exec_lo, s18
	v_mov_b32_e32 v23, 0
	v_mov_b32_e32 v21, 0
	v_and_b32_sdwa v5, v74, v41 dst_sel:DWORD dst_unused:UNUSED_PAD src0_sel:WORD_1 src1_sel:DWORD
	v_mov_b32_e32 v24, 0
	v_mov_b32_e32 v22, 0
	s_mov_b32 s18, exec_lo
	v_cmpx_ne_u16_e32 0, v5
	s_cbranch_execz .LBB208_527
; %bb.520:                              ;   in Loop: Header=BB208_298 Depth=1
	v_bfrev_b32_e32 v21, 1
	v_mov_b32_e32 v22, 0
	s_mov_b32 s21, exec_lo
	v_cmpx_ne_u16_e32 0x80, v5
	s_cbranch_execz .LBB208_526
; %bb.521:                              ;   in Loop: Header=BB208_298 Depth=1
	v_mov_b32_e32 v21, 0x7f800001
	v_bfe_u32 v9, v74, 16, 7
	v_mov_b32_e32 v22, 0
	s_mov_b32 s22, exec_lo
	v_cmpx_ne_u32_e32 0x7f, v9
	s_cbranch_execz .LBB208_525
; %bb.522:                              ;   in Loop: Header=BB208_298 Depth=1
	v_and_b32_sdwa v5, v74, v42 dst_sel:DWORD dst_unused:UNUSED_PAD src0_sel:WORD_1 src1_sel:DWORD
	v_lshrrev_b32_e32 v7, 3, v9
	s_mov_b32 s24, exec_lo
	v_cmpx_gt_u32_e32 8, v9
; %bb.523:                              ;   in Loop: Header=BB208_298 Depth=1
	v_ffbh_u32_e32 v7, v5
	v_min_u32_e32 v7, 32, v7
	v_subrev_nc_u32_e32 v9, 28, v7
	v_sub_nc_u32_e32 v7, 29, v7
	v_lshlrev_b64 v[21:22], v9, v[5:6]
	v_and_b32_e32 v5, 7, v21
; %bb.524:                              ;   in Loop: Header=BB208_298 Depth=1
	s_or_b32 exec_lo, exec_lo, s24
	v_lshlrev_b32_sdwa v9, v43, v74 dst_sel:DWORD dst_unused:UNUSED_PAD src0_sel:DWORD src1_sel:WORD_1
	v_lshlrev_b32_e32 v5, 20, v5
	v_lshl_add_u32 v7, v7, 23, 0x3c000000
	v_and_b32_e32 v9, 0x80000000, v9
	v_or3_b32 v5, v5, v9, v7
	v_mov_b32_e32 v22, v6
	v_mov_b32_e32 v21, v5
.LBB208_525:                            ;   in Loop: Header=BB208_298 Depth=1
	s_or_b32 exec_lo, exec_lo, s22
.LBB208_526:                            ;   in Loop: Header=BB208_298 Depth=1
	s_or_b32 exec_lo, exec_lo, s21
.LBB208_527:                            ;   in Loop: Header=BB208_298 Depth=1
	s_or_b32 exec_lo, exec_lo, s18
	s_mov_b32 s18, exec_lo
	v_cmpx_lt_u32_e32 0xffffff, v74
	s_cbranch_execz .LBB208_535
; %bb.528:                              ;   in Loop: Header=BB208_298 Depth=1
	v_mov_b32_e32 v7, v6
	v_mov_b32_e32 v24, v8
	v_cmp_ne_u32_sdwa s1, v74, v34 src0_sel:BYTE_3 src1_sel:DWORD
	v_mov_b32_e32 v23, v7
	s_and_saveexec_b32 s21, s1
	s_cbranch_execz .LBB208_534
; %bb.529:                              ;   in Loop: Header=BB208_298 Depth=1
	v_mov_b32_e32 v9, v6
	v_mov_b32_e32 v24, v10
	v_bfe_u32 v75, v74, 24, 7
	s_mov_b32 s22, exec_lo
	v_mov_b32_e32 v23, v9
	v_cmpx_ne_u32_e32 0x7f, v75
	s_cbranch_execz .LBB208_533
; %bb.530:                              ;   in Loop: Header=BB208_298 Depth=1
	v_and_b32_sdwa v5, v74, v42 dst_sel:DWORD dst_unused:UNUSED_PAD src0_sel:BYTE_3 src1_sel:DWORD
	v_lshrrev_b32_e32 v7, 3, v75
	s_mov_b32 s24, exec_lo
	v_cmpx_gt_u32_e32 8, v75
; %bb.531:                              ;   in Loop: Header=BB208_298 Depth=1
	v_ffbh_u32_e32 v7, v5
	v_min_u32_e32 v7, 32, v7
	v_subrev_nc_u32_e32 v9, 28, v7
	v_sub_nc_u32_e32 v7, 29, v7
	v_lshlrev_b64 v[23:24], v9, v[5:6]
	v_and_b32_e32 v5, 7, v23
; %bb.532:                              ;   in Loop: Header=BB208_298 Depth=1
	s_or_b32 exec_lo, exec_lo, s24
	v_lshlrev_b32_sdwa v9, v43, v74 dst_sel:DWORD dst_unused:UNUSED_PAD src0_sel:DWORD src1_sel:BYTE_3
	v_lshlrev_b32_e32 v5, 20, v5
	v_lshl_add_u32 v7, v7, 23, 0x3c000000
	v_mov_b32_e32 v23, v6
	v_and_b32_e32 v9, 0x80000000, v9
	v_or3_b32 v24, v5, v9, v7
.LBB208_533:                            ;   in Loop: Header=BB208_298 Depth=1
	s_or_b32 exec_lo, exec_lo, s22
.LBB208_534:                            ;   in Loop: Header=BB208_298 Depth=1
	s_or_b32 exec_lo, exec_lo, s21
.LBB208_535:                            ;   in Loop: Header=BB208_298 Depth=1
	s_or_b32 exec_lo, exec_lo, s18
	v_or_b32_e32 v5, v20, v18
	v_or_b32_e32 v7, v19, v17
	;; [unrolled: 1-line block ×4, first 2 shown]
	v_mul_f32_e32 v74, s17, v5
	v_mul_f32_e32 v75, s13, v7
	;; [unrolled: 1-line block ×4, first 2 shown]
	s_and_saveexec_b32 s18, vcc_lo
	s_cbranch_execz .LBB208_537
; %bb.536:                              ;   in Loop: Header=BB208_298 Depth=1
	v_cmp_gt_i32_e64 s1, s31, v50
	v_cndmask_b32_e64 v75, 0, v75, s1
	v_cmp_gt_i32_e64 s1, s31, v53
	v_cndmask_b32_e64 v74, 0, v74, s1
	;; [unrolled: 2-line block ×4, first 2 shown]
.LBB208_537:                            ;   in Loop: Header=BB208_298 Depth=1
	s_or_b32 exec_lo, exec_lo, s18
	global_load_dword v76, v[15:16], off offset:896
	v_mov_b32_e32 v17, 0
	v_mov_b32_e32 v15, 0
	;; [unrolled: 1-line block ×4, first 2 shown]
	s_waitcnt vmcnt(0)
	v_cmp_ne_u16_sdwa s1, v76, v6 src0_sel:BYTE_0 src1_sel:DWORD
	s_and_saveexec_b32 s18, s1
	s_cbranch_execz .LBB208_545
; %bb.538:                              ;   in Loop: Header=BB208_298 Depth=1
	v_bfrev_b32_e32 v15, 1
	v_mov_b32_e32 v16, 0
	v_cmp_ne_u16_sdwa s1, v76, v34 src0_sel:BYTE_0 src1_sel:DWORD
	s_and_saveexec_b32 s21, s1
	s_cbranch_execz .LBB208_544
; %bb.539:                              ;   in Loop: Header=BB208_298 Depth=1
	v_mov_b32_e32 v15, 0x7f800001
	v_and_b32_e32 v9, 0x7f, v76
	v_mov_b32_e32 v16, 0
	s_mov_b32 s22, exec_lo
	v_cmpx_ne_u32_e32 0x7f, v9
	s_cbranch_execz .LBB208_543
; %bb.540:                              ;   in Loop: Header=BB208_298 Depth=1
	v_and_b32_e32 v5, 7, v76
	v_lshrrev_b32_e32 v7, 3, v9
	s_mov_b32 s24, exec_lo
	v_cmpx_gt_u32_e32 8, v9
; %bb.541:                              ;   in Loop: Header=BB208_298 Depth=1
	v_ffbh_u32_e32 v7, v5
	v_min_u32_e32 v7, 32, v7
	v_subrev_nc_u32_e32 v9, 28, v7
	v_sub_nc_u32_e32 v7, 29, v7
	v_lshlrev_b64 v[15:16], v9, v[5:6]
	v_and_b32_e32 v5, 7, v15
; %bb.542:                              ;   in Loop: Header=BB208_298 Depth=1
	s_or_b32 exec_lo, exec_lo, s24
	v_lshlrev_b32_e32 v9, 24, v76
	v_lshlrev_b32_e32 v5, 20, v5
	v_lshl_add_u32 v7, v7, 23, 0x3c000000
	v_and_b32_e32 v9, 0x80000000, v9
	v_or3_b32 v5, v5, v9, v7
	v_mov_b32_e32 v16, v6
	v_mov_b32_e32 v15, v5
.LBB208_543:                            ;   in Loop: Header=BB208_298 Depth=1
	s_or_b32 exec_lo, exec_lo, s22
.LBB208_544:                            ;   in Loop: Header=BB208_298 Depth=1
	s_or_b32 exec_lo, exec_lo, s21
.LBB208_545:                            ;   in Loop: Header=BB208_298 Depth=1
	s_or_b32 exec_lo, exec_lo, s18
	v_cmp_ne_u16_sdwa s1, v76, v6 src0_sel:BYTE_1 src1_sel:DWORD
	s_and_saveexec_b32 s18, s1
	s_cbranch_execz .LBB208_553
; %bb.546:                              ;   in Loop: Header=BB208_298 Depth=1
	v_mov_b32_e32 v7, v6
	v_mov_b32_e32 v18, v8
	v_cmp_ne_u16_sdwa s1, v76, v34 src0_sel:BYTE_1 src1_sel:DWORD
	v_mov_b32_e32 v17, v7
	s_and_saveexec_b32 s21, s1
	s_cbranch_execz .LBB208_552
; %bb.547:                              ;   in Loop: Header=BB208_298 Depth=1
	v_and_b32_sdwa v5, v40, v76 dst_sel:DWORD dst_unused:UNUSED_PAD src0_sel:DWORD src1_sel:BYTE_1
	v_mov_b32_e32 v9, v6
	v_mov_b32_e32 v18, v10
	s_mov_b32 s22, exec_lo
	v_and_b32_e32 v19, 0x7f, v5
	v_mov_b32_e32 v17, v9
	v_cmpx_ne_u32_e32 0x7f, v19
	s_cbranch_execz .LBB208_551
; %bb.548:                              ;   in Loop: Header=BB208_298 Depth=1
	v_and_b32_e32 v5, 7, v5
	v_lshrrev_b32_e32 v7, 3, v19
	s_mov_b32 s24, exec_lo
	v_cmpx_gt_u32_e32 8, v19
; %bb.549:                              ;   in Loop: Header=BB208_298 Depth=1
	v_ffbh_u32_e32 v7, v5
	v_min_u32_e32 v7, 32, v7
	v_subrev_nc_u32_e32 v9, 28, v7
	v_sub_nc_u32_e32 v7, 29, v7
	v_lshlrev_b64 v[17:18], v9, v[5:6]
	v_and_b32_e32 v5, 7, v17
; %bb.550:                              ;   in Loop: Header=BB208_298 Depth=1
	s_or_b32 exec_lo, exec_lo, s24
	v_lshlrev_b32_e32 v9, 16, v76
	v_lshlrev_b32_e32 v5, 20, v5
	v_lshl_add_u32 v7, v7, 23, 0x3c000000
	v_mov_b32_e32 v17, v6
	v_and_b32_e32 v9, 0x80000000, v9
	v_or3_b32 v18, v5, v9, v7
.LBB208_551:                            ;   in Loop: Header=BB208_298 Depth=1
	s_or_b32 exec_lo, exec_lo, s22
.LBB208_552:                            ;   in Loop: Header=BB208_298 Depth=1
	s_or_b32 exec_lo, exec_lo, s21
.LBB208_553:                            ;   in Loop: Header=BB208_298 Depth=1
	s_or_b32 exec_lo, exec_lo, s18
	v_mov_b32_e32 v21, 0
	v_mov_b32_e32 v19, 0
	v_and_b32_sdwa v5, v76, v41 dst_sel:DWORD dst_unused:UNUSED_PAD src0_sel:WORD_1 src1_sel:DWORD
	v_mov_b32_e32 v22, 0
	v_mov_b32_e32 v20, 0
	s_mov_b32 s18, exec_lo
	v_cmpx_ne_u16_e32 0, v5
	s_cbranch_execz .LBB208_561
; %bb.554:                              ;   in Loop: Header=BB208_298 Depth=1
	v_bfrev_b32_e32 v19, 1
	v_mov_b32_e32 v20, 0
	s_mov_b32 s21, exec_lo
	v_cmpx_ne_u16_e32 0x80, v5
	s_cbranch_execz .LBB208_560
; %bb.555:                              ;   in Loop: Header=BB208_298 Depth=1
	v_mov_b32_e32 v19, 0x7f800001
	v_bfe_u32 v9, v76, 16, 7
	v_mov_b32_e32 v20, 0
	s_mov_b32 s22, exec_lo
	v_cmpx_ne_u32_e32 0x7f, v9
	s_cbranch_execz .LBB208_559
; %bb.556:                              ;   in Loop: Header=BB208_298 Depth=1
	v_and_b32_sdwa v5, v76, v42 dst_sel:DWORD dst_unused:UNUSED_PAD src0_sel:WORD_1 src1_sel:DWORD
	v_lshrrev_b32_e32 v7, 3, v9
	s_mov_b32 s24, exec_lo
	v_cmpx_gt_u32_e32 8, v9
; %bb.557:                              ;   in Loop: Header=BB208_298 Depth=1
	v_ffbh_u32_e32 v7, v5
	v_min_u32_e32 v7, 32, v7
	v_subrev_nc_u32_e32 v9, 28, v7
	v_sub_nc_u32_e32 v7, 29, v7
	v_lshlrev_b64 v[19:20], v9, v[5:6]
	v_and_b32_e32 v5, 7, v19
; %bb.558:                              ;   in Loop: Header=BB208_298 Depth=1
	s_or_b32 exec_lo, exec_lo, s24
	v_lshlrev_b32_sdwa v9, v43, v76 dst_sel:DWORD dst_unused:UNUSED_PAD src0_sel:DWORD src1_sel:WORD_1
	v_lshlrev_b32_e32 v5, 20, v5
	v_lshl_add_u32 v7, v7, 23, 0x3c000000
	v_and_b32_e32 v9, 0x80000000, v9
	v_or3_b32 v5, v5, v9, v7
	v_mov_b32_e32 v20, v6
	v_mov_b32_e32 v19, v5
.LBB208_559:                            ;   in Loop: Header=BB208_298 Depth=1
	s_or_b32 exec_lo, exec_lo, s22
.LBB208_560:                            ;   in Loop: Header=BB208_298 Depth=1
	s_or_b32 exec_lo, exec_lo, s21
.LBB208_561:                            ;   in Loop: Header=BB208_298 Depth=1
	s_or_b32 exec_lo, exec_lo, s18
	s_mov_b32 s18, exec_lo
	v_cmpx_lt_u32_e32 0xffffff, v76
	s_cbranch_execz .LBB208_569
; %bb.562:                              ;   in Loop: Header=BB208_298 Depth=1
	v_mov_b32_e32 v7, v6
	v_mov_b32_e32 v22, v8
	v_cmp_ne_u32_sdwa s1, v76, v34 src0_sel:BYTE_3 src1_sel:DWORD
	v_mov_b32_e32 v21, v7
	s_and_saveexec_b32 s21, s1
	s_cbranch_execz .LBB208_568
; %bb.563:                              ;   in Loop: Header=BB208_298 Depth=1
	v_mov_b32_e32 v9, v6
	v_mov_b32_e32 v22, v10
	v_bfe_u32 v77, v76, 24, 7
	s_mov_b32 s22, exec_lo
	v_mov_b32_e32 v21, v9
	v_cmpx_ne_u32_e32 0x7f, v77
	s_cbranch_execz .LBB208_567
; %bb.564:                              ;   in Loop: Header=BB208_298 Depth=1
	v_and_b32_sdwa v5, v76, v42 dst_sel:DWORD dst_unused:UNUSED_PAD src0_sel:BYTE_3 src1_sel:DWORD
	v_lshrrev_b32_e32 v7, 3, v77
	s_mov_b32 s24, exec_lo
	v_cmpx_gt_u32_e32 8, v77
; %bb.565:                              ;   in Loop: Header=BB208_298 Depth=1
	v_ffbh_u32_e32 v7, v5
	v_min_u32_e32 v7, 32, v7
	v_subrev_nc_u32_e32 v9, 28, v7
	v_sub_nc_u32_e32 v7, 29, v7
	v_lshlrev_b64 v[21:22], v9, v[5:6]
	v_and_b32_e32 v5, 7, v21
; %bb.566:                              ;   in Loop: Header=BB208_298 Depth=1
	s_or_b32 exec_lo, exec_lo, s24
	v_lshlrev_b32_sdwa v9, v43, v76 dst_sel:DWORD dst_unused:UNUSED_PAD src0_sel:DWORD src1_sel:BYTE_3
	v_lshlrev_b32_e32 v5, 20, v5
	v_lshl_add_u32 v7, v7, 23, 0x3c000000
	v_mov_b32_e32 v21, v6
	v_and_b32_e32 v9, 0x80000000, v9
	v_or3_b32 v22, v5, v9, v7
.LBB208_567:                            ;   in Loop: Header=BB208_298 Depth=1
	s_or_b32 exec_lo, exec_lo, s22
.LBB208_568:                            ;   in Loop: Header=BB208_298 Depth=1
	s_or_b32 exec_lo, exec_lo, s21
.LBB208_569:                            ;   in Loop: Header=BB208_298 Depth=1
	s_or_b32 exec_lo, exec_lo, s18
	v_or_b32_e32 v5, v18, v16
	v_or_b32_e32 v7, v17, v15
	;; [unrolled: 1-line block ×4, first 2 shown]
	v_mul_f32_e32 v9, s17, v5
	v_mul_f32_e32 v15, s13, v7
	v_mul_f32_e32 v7, s13, v16
	v_mul_f32_e32 v5, s17, v17
	s_and_saveexec_b32 s1, vcc_lo
	s_cbranch_execz .LBB208_296
; %bb.570:                              ;   in Loop: Header=BB208_298 Depth=1
	v_cmp_gt_i32_e32 vcc_lo, s31, v50
	v_cndmask_b32_e32 v15, 0, v15, vcc_lo
	v_cmp_gt_i32_e32 vcc_lo, s31, v53
	v_cndmask_b32_e32 v9, 0, v9, vcc_lo
	;; [unrolled: 2-line block ×4, first 2 shown]
	s_branch .LBB208_296
.LBB208_571:
	s_or_b32 exec_lo, exec_lo, s6
.LBB208_572:
	s_or_b32 exec_lo, exec_lo, s3
	ds_bpermute_b32 v1, v26, v38
	ds_bpermute_b32 v2, v26, v37
	;; [unrolled: 1-line block ×8, first 2 shown]
	v_and_b32_e32 v10, 28, v25
	v_lshrrev_b32_e32 v9, 2, v25
	v_lshlrev_b32_e32 v11, 8, v109
	v_and_b32_e32 v20, 0x3c3, v0
	s_mov_b32 s1, exec_lo
	v_add_nc_u32_e32 v10, 0x120, v10
	s_waitcnt lgkmcnt(0)
	s_waitcnt_vscnt null, 0x0
	s_barrier
	buffer_gl0_inv
	v_add_f32_e32 v1, v38, v1
	v_add_f32_e32 v2, v37, v2
	;; [unrolled: 1-line block ×8, first 2 shown]
	ds_bpermute_b32 v12, v27, v1
	ds_bpermute_b32 v13, v27, v2
	ds_bpermute_b32 v14, v27, v3
	ds_bpermute_b32 v15, v27, v4
	ds_bpermute_b32 v16, v27, v5
	ds_bpermute_b32 v17, v27, v6
	ds_bpermute_b32 v18, v27, v7
	ds_bpermute_b32 v19, v27, v8
	s_waitcnt lgkmcnt(7)
	v_add_f32_e32 v1, v1, v12
	s_waitcnt lgkmcnt(6)
	v_add_f32_e32 v2, v2, v13
	;; [unrolled: 2-line block ×8, first 2 shown]
	v_cmpx_eq_u32_e32 64, v20
	s_cbranch_execz .LBB208_574
; %bb.573:
	v_add_nc_u32_e32 v12, v10, v11
	v_add_nc_u32_e32 v13, 0xfffffe00, v12
	;; [unrolled: 1-line block ×9, first 2 shown]
	ds_write_b32 v13, v1
	ds_write_b32 v14, v2
	;; [unrolled: 1-line block ×8, first 2 shown]
.LBB208_574:
	s_or_b32 exec_lo, exec_lo, s1
	v_lshlrev_b32_e32 v9, 2, v9
	s_mov_b32 s3, exec_lo
	v_cmp_eq_u32_e32 vcc_lo, 0, v28
	s_waitcnt lgkmcnt(0)
	s_barrier
	v_add3_u32 v9, 0x120, v11, v9
	buffer_gl0_inv
	v_cmpx_gt_u32_e32 64, v0
	s_cbranch_execz .LBB208_585
; %bb.575:
	s_and_saveexec_b32 s1, vcc_lo
	s_cbranch_execnz .LBB208_601
; %bb.576:
	s_or_b32 exec_lo, exec_lo, s1
	s_and_saveexec_b32 s1, vcc_lo
	s_cbranch_execnz .LBB208_602
.LBB208_577:
	s_or_b32 exec_lo, exec_lo, s1
	s_and_saveexec_b32 s1, vcc_lo
	s_cbranch_execnz .LBB208_603
.LBB208_578:
	s_or_b32 exec_lo, exec_lo, s1
	s_and_saveexec_b32 s1, vcc_lo
	s_cbranch_execnz .LBB208_604
.LBB208_579:
	s_or_b32 exec_lo, exec_lo, s1
	s_and_saveexec_b32 s1, vcc_lo
	s_cbranch_execnz .LBB208_605
.LBB208_580:
	s_or_b32 exec_lo, exec_lo, s1
	s_and_saveexec_b32 s1, vcc_lo
	s_cbranch_execnz .LBB208_606
.LBB208_581:
	s_or_b32 exec_lo, exec_lo, s1
	s_and_saveexec_b32 s1, vcc_lo
	s_cbranch_execnz .LBB208_607
.LBB208_582:
	s_or_b32 exec_lo, exec_lo, s1
	s_and_saveexec_b32 s1, vcc_lo
	s_cbranch_execz .LBB208_584
.LBB208_583:
	ds_read_b32 v11, v9 offset:224
	s_waitcnt lgkmcnt(0)
	v_add_f32_e32 v8, v8, v11
.LBB208_584:
	s_or_b32 exec_lo, exec_lo, s1
.LBB208_585:
	s_or_b32 exec_lo, exec_lo, s3
	v_and_b32_e32 v11, 0x3e3, v0
	s_mov_b32 s3, exec_lo
	s_barrier
	buffer_gl0_inv
	v_cmpx_eq_u32_e32 32, v11
	s_cbranch_execz .LBB208_587
; %bb.586:
	ds_write2_b32 v10, v1, v2 offset1:8
	ds_write2_b32 v10, v3, v4 offset0:16 offset1:24
	ds_write2_b32 v10, v5, v6 offset0:32 offset1:40
	;; [unrolled: 1-line block ×3, first 2 shown]
.LBB208_587:
	s_or_b32 exec_lo, exec_lo, s3
	s_waitcnt lgkmcnt(0)
	s_barrier
	buffer_gl0_inv
	s_and_saveexec_b32 s1, s0
	s_cbranch_execz .LBB208_598
; %bb.588:
	s_and_saveexec_b32 s0, vcc_lo
	s_cbranch_execnz .LBB208_608
; %bb.589:
	s_or_b32 exec_lo, exec_lo, s0
	s_and_saveexec_b32 s0, vcc_lo
	s_cbranch_execnz .LBB208_609
.LBB208_590:
	s_or_b32 exec_lo, exec_lo, s0
	s_and_saveexec_b32 s0, vcc_lo
	s_cbranch_execnz .LBB208_610
.LBB208_591:
	s_or_b32 exec_lo, exec_lo, s0
	s_and_saveexec_b32 s0, vcc_lo
	s_cbranch_execnz .LBB208_611
.LBB208_592:
	s_or_b32 exec_lo, exec_lo, s0
	s_and_saveexec_b32 s0, vcc_lo
	s_cbranch_execnz .LBB208_612
.LBB208_593:
	s_or_b32 exec_lo, exec_lo, s0
	s_and_saveexec_b32 s0, vcc_lo
	s_cbranch_execnz .LBB208_613
.LBB208_594:
	s_or_b32 exec_lo, exec_lo, s0
	s_and_saveexec_b32 s0, vcc_lo
	s_cbranch_execnz .LBB208_614
.LBB208_595:
	s_or_b32 exec_lo, exec_lo, s0
	s_and_saveexec_b32 s0, vcc_lo
	s_cbranch_execz .LBB208_597
.LBB208_596:
	ds_read_b32 v9, v9 offset:224
	s_waitcnt lgkmcnt(0)
	v_add_f32_e32 v8, v8, v9
.LBB208_597:
	s_or_b32 exec_lo, exec_lo, s0
.LBB208_598:
	s_or_b32 exec_lo, exec_lo, s1
	s_barrier
	buffer_gl0_inv
	s_mov_b32 s0, exec_lo
	v_cmpx_eq_u32_e32 0, v11
	s_cbranch_execz .LBB208_600
; %bb.599:
	s_lshl_b32 s0, s2, 6
	s_mul_i32 s2, s7, s10
	s_ashr_i32 s1, s0, 31
	s_lshl_b64 s[0:1], s[0:1], 2
	s_add_u32 s4, s28, s0
	s_addc_u32 s5, s29, s1
	s_ashr_i32 s3, s2, 31
	s_lshl_b64 s[0:1], s[2:3], 2
	s_add_u32 s2, s4, s0
	s_addc_u32 s3, s5, s1
	s_lshl_b32 s0, s8, 6
	s_ashr_i32 s1, s0, 31
	s_lshl_b64 s[0:1], s[0:1], 2
	s_add_u32 s0, s2, s0
	s_addc_u32 s1, s3, s1
	global_store_dword v0, v1, s[0:1]
	global_store_dword v0, v2, s[0:1] offset:32
	global_store_dword v0, v3, s[0:1] offset:64
	;; [unrolled: 1-line block ×7, first 2 shown]
.LBB208_600:
	s_endpgm
.LBB208_601:
	ds_read_b32 v11, v9
	s_waitcnt lgkmcnt(0)
	v_add_f32_e32 v1, v1, v11
	s_or_b32 exec_lo, exec_lo, s1
	s_and_saveexec_b32 s1, vcc_lo
	s_cbranch_execz .LBB208_577
.LBB208_602:
	ds_read_b32 v11, v9 offset:32
	s_waitcnt lgkmcnt(0)
	v_add_f32_e32 v2, v2, v11
	s_or_b32 exec_lo, exec_lo, s1
	s_and_saveexec_b32 s1, vcc_lo
	s_cbranch_execz .LBB208_578
.LBB208_603:
	ds_read_b32 v11, v9 offset:64
	s_waitcnt lgkmcnt(0)
	v_add_f32_e32 v3, v3, v11
	s_or_b32 exec_lo, exec_lo, s1
	s_and_saveexec_b32 s1, vcc_lo
	s_cbranch_execz .LBB208_579
.LBB208_604:
	ds_read_b32 v11, v9 offset:96
	s_waitcnt lgkmcnt(0)
	v_add_f32_e32 v4, v4, v11
	s_or_b32 exec_lo, exec_lo, s1
	s_and_saveexec_b32 s1, vcc_lo
	s_cbranch_execz .LBB208_580
.LBB208_605:
	ds_read_b32 v11, v9 offset:128
	s_waitcnt lgkmcnt(0)
	v_add_f32_e32 v5, v5, v11
	s_or_b32 exec_lo, exec_lo, s1
	s_and_saveexec_b32 s1, vcc_lo
	s_cbranch_execz .LBB208_581
.LBB208_606:
	ds_read_b32 v11, v9 offset:160
	s_waitcnt lgkmcnt(0)
	v_add_f32_e32 v6, v6, v11
	s_or_b32 exec_lo, exec_lo, s1
	s_and_saveexec_b32 s1, vcc_lo
	s_cbranch_execz .LBB208_582
.LBB208_607:
	ds_read_b32 v11, v9 offset:192
	s_waitcnt lgkmcnt(0)
	v_add_f32_e32 v7, v7, v11
	s_or_b32 exec_lo, exec_lo, s1
	s_and_saveexec_b32 s1, vcc_lo
	s_cbranch_execnz .LBB208_583
	s_branch .LBB208_584
.LBB208_608:
	ds_read_b32 v10, v9
	s_waitcnt lgkmcnt(0)
	v_add_f32_e32 v1, v1, v10
	s_or_b32 exec_lo, exec_lo, s0
	s_and_saveexec_b32 s0, vcc_lo
	s_cbranch_execz .LBB208_590
.LBB208_609:
	ds_read_b32 v10, v9 offset:32
	s_waitcnt lgkmcnt(0)
	v_add_f32_e32 v2, v2, v10
	s_or_b32 exec_lo, exec_lo, s0
	s_and_saveexec_b32 s0, vcc_lo
	s_cbranch_execz .LBB208_591
.LBB208_610:
	ds_read_b32 v10, v9 offset:64
	s_waitcnt lgkmcnt(0)
	v_add_f32_e32 v3, v3, v10
	s_or_b32 exec_lo, exec_lo, s0
	s_and_saveexec_b32 s0, vcc_lo
	s_cbranch_execz .LBB208_592
.LBB208_611:
	ds_read_b32 v10, v9 offset:96
	s_waitcnt lgkmcnt(0)
	v_add_f32_e32 v4, v4, v10
	s_or_b32 exec_lo, exec_lo, s0
	s_and_saveexec_b32 s0, vcc_lo
	s_cbranch_execz .LBB208_593
.LBB208_612:
	ds_read_b32 v10, v9 offset:128
	s_waitcnt lgkmcnt(0)
	v_add_f32_e32 v5, v5, v10
	s_or_b32 exec_lo, exec_lo, s0
	s_and_saveexec_b32 s0, vcc_lo
	s_cbranch_execz .LBB208_594
.LBB208_613:
	ds_read_b32 v10, v9 offset:160
	s_waitcnt lgkmcnt(0)
	v_add_f32_e32 v6, v6, v10
	s_or_b32 exec_lo, exec_lo, s0
	s_and_saveexec_b32 s0, vcc_lo
	s_cbranch_execz .LBB208_595
.LBB208_614:
	ds_read_b32 v10, v9 offset:192
	s_waitcnt lgkmcnt(0)
	v_add_f32_e32 v7, v7, v10
	s_or_b32 exec_lo, exec_lo, s0
	s_and_saveexec_b32 s0, vcc_lo
	s_cbranch_execnz .LBB208_596
	s_branch .LBB208_597
	.section	.rodata,"a",@progbits
	.p2align	6, 0x0
	.amdhsa_kernel _ZN4vllm25paged_attention_v2_kernelIfhLi64ELi16ELi128ELNS_18Fp8KVCacheDataTypeE1ELb1ELi512EEEvPfS2_PT_PKS3_PKT0_S9_ifPKiSB_iPKfiiiSD_SD_iiiii
		.amdhsa_group_segment_fixed_size 288
		.amdhsa_private_segment_fixed_size 0
		.amdhsa_kernarg_size 400
		.amdhsa_user_sgpr_count 6
		.amdhsa_user_sgpr_private_segment_buffer 1
		.amdhsa_user_sgpr_dispatch_ptr 0
		.amdhsa_user_sgpr_queue_ptr 0
		.amdhsa_user_sgpr_kernarg_segment_ptr 1
		.amdhsa_user_sgpr_dispatch_id 0
		.amdhsa_user_sgpr_flat_scratch_init 0
		.amdhsa_user_sgpr_private_segment_size 0
		.amdhsa_wavefront_size32 1
		.amdhsa_uses_dynamic_stack 0
		.amdhsa_system_sgpr_private_segment_wavefront_offset 0
		.amdhsa_system_sgpr_workgroup_id_x 1
		.amdhsa_system_sgpr_workgroup_id_y 1
		.amdhsa_system_sgpr_workgroup_id_z 1
		.amdhsa_system_sgpr_workgroup_info 0
		.amdhsa_system_vgpr_workitem_id 0
		.amdhsa_next_free_vgpr 126
		.amdhsa_next_free_sgpr 54
		.amdhsa_reserve_vcc 1
		.amdhsa_reserve_flat_scratch 0
		.amdhsa_float_round_mode_32 0
		.amdhsa_float_round_mode_16_64 0
		.amdhsa_float_denorm_mode_32 3
		.amdhsa_float_denorm_mode_16_64 3
		.amdhsa_dx10_clamp 1
		.amdhsa_ieee_mode 1
		.amdhsa_fp16_overflow 0
		.amdhsa_workgroup_processor_mode 1
		.amdhsa_memory_ordered 1
		.amdhsa_forward_progress 1
		.amdhsa_shared_vgpr_count 0
		.amdhsa_exception_fp_ieee_invalid_op 0
		.amdhsa_exception_fp_denorm_src 0
		.amdhsa_exception_fp_ieee_div_zero 0
		.amdhsa_exception_fp_ieee_overflow 0
		.amdhsa_exception_fp_ieee_underflow 0
		.amdhsa_exception_fp_ieee_inexact 0
		.amdhsa_exception_int_div_zero 0
	.end_amdhsa_kernel
	.section	.text._ZN4vllm25paged_attention_v2_kernelIfhLi64ELi16ELi128ELNS_18Fp8KVCacheDataTypeE1ELb1ELi512EEEvPfS2_PT_PKS3_PKT0_S9_ifPKiSB_iPKfiiiSD_SD_iiiii,"axG",@progbits,_ZN4vllm25paged_attention_v2_kernelIfhLi64ELi16ELi128ELNS_18Fp8KVCacheDataTypeE1ELb1ELi512EEEvPfS2_PT_PKS3_PKT0_S9_ifPKiSB_iPKfiiiSD_SD_iiiii,comdat
.Lfunc_end208:
	.size	_ZN4vllm25paged_attention_v2_kernelIfhLi64ELi16ELi128ELNS_18Fp8KVCacheDataTypeE1ELb1ELi512EEEvPfS2_PT_PKS3_PKT0_S9_ifPKiSB_iPKfiiiSD_SD_iiiii, .Lfunc_end208-_ZN4vllm25paged_attention_v2_kernelIfhLi64ELi16ELi128ELNS_18Fp8KVCacheDataTypeE1ELb1ELi512EEEvPfS2_PT_PKS3_PKT0_S9_ifPKiSB_iPKfiiiSD_SD_iiiii
                                        ; -- End function
	.set _ZN4vllm25paged_attention_v2_kernelIfhLi64ELi16ELi128ELNS_18Fp8KVCacheDataTypeE1ELb1ELi512EEEvPfS2_PT_PKS3_PKT0_S9_ifPKiSB_iPKfiiiSD_SD_iiiii.num_vgpr, 126
	.set _ZN4vllm25paged_attention_v2_kernelIfhLi64ELi16ELi128ELNS_18Fp8KVCacheDataTypeE1ELb1ELi512EEEvPfS2_PT_PKS3_PKT0_S9_ifPKiSB_iPKfiiiSD_SD_iiiii.num_agpr, 0
	.set _ZN4vllm25paged_attention_v2_kernelIfhLi64ELi16ELi128ELNS_18Fp8KVCacheDataTypeE1ELb1ELi512EEEvPfS2_PT_PKS3_PKT0_S9_ifPKiSB_iPKfiiiSD_SD_iiiii.numbered_sgpr, 54
	.set _ZN4vllm25paged_attention_v2_kernelIfhLi64ELi16ELi128ELNS_18Fp8KVCacheDataTypeE1ELb1ELi512EEEvPfS2_PT_PKS3_PKT0_S9_ifPKiSB_iPKfiiiSD_SD_iiiii.num_named_barrier, 0
	.set _ZN4vllm25paged_attention_v2_kernelIfhLi64ELi16ELi128ELNS_18Fp8KVCacheDataTypeE1ELb1ELi512EEEvPfS2_PT_PKS3_PKT0_S9_ifPKiSB_iPKfiiiSD_SD_iiiii.private_seg_size, 0
	.set _ZN4vllm25paged_attention_v2_kernelIfhLi64ELi16ELi128ELNS_18Fp8KVCacheDataTypeE1ELb1ELi512EEEvPfS2_PT_PKS3_PKT0_S9_ifPKiSB_iPKfiiiSD_SD_iiiii.uses_vcc, 1
	.set _ZN4vllm25paged_attention_v2_kernelIfhLi64ELi16ELi128ELNS_18Fp8KVCacheDataTypeE1ELb1ELi512EEEvPfS2_PT_PKS3_PKT0_S9_ifPKiSB_iPKfiiiSD_SD_iiiii.uses_flat_scratch, 0
	.set _ZN4vllm25paged_attention_v2_kernelIfhLi64ELi16ELi128ELNS_18Fp8KVCacheDataTypeE1ELb1ELi512EEEvPfS2_PT_PKS3_PKT0_S9_ifPKiSB_iPKfiiiSD_SD_iiiii.has_dyn_sized_stack, 0
	.set _ZN4vllm25paged_attention_v2_kernelIfhLi64ELi16ELi128ELNS_18Fp8KVCacheDataTypeE1ELb1ELi512EEEvPfS2_PT_PKS3_PKT0_S9_ifPKiSB_iPKfiiiSD_SD_iiiii.has_recursion, 0
	.set _ZN4vllm25paged_attention_v2_kernelIfhLi64ELi16ELi128ELNS_18Fp8KVCacheDataTypeE1ELb1ELi512EEEvPfS2_PT_PKS3_PKT0_S9_ifPKiSB_iPKfiiiSD_SD_iiiii.has_indirect_call, 0
	.section	.AMDGPU.csdata,"",@progbits
; Kernel info:
; codeLenInByte = 18708
; TotalNumSgprs: 56
; NumVgprs: 126
; ScratchSize: 0
; MemoryBound: 0
; FloatMode: 240
; IeeeMode: 1
; LDSByteSize: 288 bytes/workgroup (compile time only)
; SGPRBlocks: 0
; VGPRBlocks: 15
; NumSGPRsForWavesPerEU: 56
; NumVGPRsForWavesPerEU: 126
; Occupancy: 8
; WaveLimiterHint : 1
; COMPUTE_PGM_RSRC2:SCRATCH_EN: 0
; COMPUTE_PGM_RSRC2:USER_SGPR: 6
; COMPUTE_PGM_RSRC2:TRAP_HANDLER: 0
; COMPUTE_PGM_RSRC2:TGID_X_EN: 1
; COMPUTE_PGM_RSRC2:TGID_Y_EN: 1
; COMPUTE_PGM_RSRC2:TGID_Z_EN: 1
; COMPUTE_PGM_RSRC2:TIDIG_COMP_CNT: 0
	.section	.text._ZN4vllm25paged_attention_v2_kernelIfhLi80ELi16ELi128ELNS_18Fp8KVCacheDataTypeE1ELb1ELi512EEEvPfS2_PT_PKS3_PKT0_S9_ifPKiSB_iPKfiiiSD_SD_iiiii,"axG",@progbits,_ZN4vllm25paged_attention_v2_kernelIfhLi80ELi16ELi128ELNS_18Fp8KVCacheDataTypeE1ELb1ELi512EEEvPfS2_PT_PKS3_PKT0_S9_ifPKiSB_iPKfiiiSD_SD_iiiii,comdat
	.protected	_ZN4vllm25paged_attention_v2_kernelIfhLi80ELi16ELi128ELNS_18Fp8KVCacheDataTypeE1ELb1ELi512EEEvPfS2_PT_PKS3_PKT0_S9_ifPKiSB_iPKfiiiSD_SD_iiiii ; -- Begin function _ZN4vllm25paged_attention_v2_kernelIfhLi80ELi16ELi128ELNS_18Fp8KVCacheDataTypeE1ELb1ELi512EEEvPfS2_PT_PKS3_PKT0_S9_ifPKiSB_iPKfiiiSD_SD_iiiii
	.globl	_ZN4vllm25paged_attention_v2_kernelIfhLi80ELi16ELi128ELNS_18Fp8KVCacheDataTypeE1ELb1ELi512EEEvPfS2_PT_PKS3_PKT0_S9_ifPKiSB_iPKfiiiSD_SD_iiiii
	.p2align	8
	.type	_ZN4vllm25paged_attention_v2_kernelIfhLi80ELi16ELi128ELNS_18Fp8KVCacheDataTypeE1ELb1ELi512EEEvPfS2_PT_PKS3_PKT0_S9_ifPKiSB_iPKfiiiSD_SD_iiiii,@function
_ZN4vllm25paged_attention_v2_kernelIfhLi80ELi16ELi128ELNS_18Fp8KVCacheDataTypeE1ELb1ELi512EEEvPfS2_PT_PKS3_PKT0_S9_ifPKiSB_iPKfiiiSD_SD_iiiii: ; @_ZN4vllm25paged_attention_v2_kernelIfhLi80ELi16ELi128ELNS_18Fp8KVCacheDataTypeE1ELb1ELi512EEEvPfS2_PT_PKS3_PKT0_S9_ifPKiSB_iPKfiiiSD_SD_iiiii
; %bb.0:
	s_mov_b64 s[58:59], s[2:3]
	s_mov_b64 s[56:57], s[0:1]
	s_load_dwordx2 s[0:1], s[4:5], 0x40
	s_add_u32 s56, s56, s9
	s_addc_u32 s57, s57, 0
	s_mov_b32 s30, s7
	s_ashr_i32 s31, s7, 31
	s_lshl_b64 s[2:3], s[30:31], 2
	s_waitcnt lgkmcnt(0)
	s_add_u32 s0, s0, s2
	s_addc_u32 s1, s1, s3
	s_lshl_b32 s42, s8, 9
	s_load_dword s31, s[0:1], 0x0
	s_waitcnt lgkmcnt(0)
	s_cmp_ge_i32 s42, s31
	s_cbranch_scc1 .LBB209_736
; %bb.1:
	s_clause 0x1
	s_load_dword s9, s[4:5], 0x90
	s_load_dwordx2 s[40:41], s[4:5], 0x30
	v_mov_b32_e32 v38, v0
	s_mov_b32 s43, 0
	s_waitcnt lgkmcnt(0)
	s_abs_i32 s3, s9
	s_abs_i32 s0, s40
	v_cvt_f32_u32_e32 v0, s0
	s_sub_i32 s2, 0, s0
	v_rcp_iflag_f32_e32 v0, v0
	v_mul_f32_e32 v0, 0x4f7ffffe, v0
	v_cvt_u32_f32_e32 v0, v0
	v_readfirstlane_b32 s1, v0
	s_mul_i32 s2, s2, s1
	s_mul_hi_u32 s2, s1, s2
	s_add_i32 s1, s1, s2
	s_xor_b32 s2, s9, s40
	s_mul_hi_u32 s1, s3, s1
	s_ashr_i32 s2, s2, 31
	s_mul_i32 s7, s1, s0
	s_sub_i32 s3, s3, s7
	s_add_i32 s7, s1, 1
	s_sub_i32 s10, s3, s0
	s_cmp_ge_u32 s3, s0
	s_cselect_b32 s1, s7, s1
	s_cselect_b32 s3, s10, s3
	s_add_i32 s7, s1, 1
	s_cmp_ge_u32 s3, s0
	s_cselect_b32 s0, s7, s1
	s_xor_b32 s0, s0, s2
	s_sub_i32 s10, s0, s2
	s_load_dwordx2 s[0:1], s[4:5], 0x50
	s_abs_i32 s2, s10
	v_cvt_f32_u32_e32 v0, s2
	s_sub_i32 s3, 0, s2
	v_rcp_iflag_f32_e32 v0, v0
	v_mul_f32_e32 v0, 0x4f7ffffe, v0
	v_cvt_u32_f32_e32 v0, v0
	v_readfirstlane_b32 s7, v0
	s_mul_i32 s3, s3, s7
	s_mul_hi_u32 s11, s7, s3
	s_abs_i32 s3, s6
	s_add_i32 s7, s7, s11
	s_waitcnt lgkmcnt(0)
	s_cmp_eq_u64 s[0:1], 0
	s_mul_hi_u32 s12, s3, s7
	s_cbranch_scc1 .LBB209_3
; %bb.2:
	s_ashr_i32 s7, s6, 31
	s_lshl_b64 s[14:15], s[6:7], 2
	s_add_u32 s0, s0, s14
	s_addc_u32 s1, s1, s15
	s_load_dword s43, s[0:1], 0x0
.LBB209_3:
	s_load_dwordx4 s[16:19], s[4:5], 0x58
	v_and_b32_e32 v0, 1, v38
	v_lshlrev_b32_e32 v12, 2, v38
	s_ashr_i32 s0, s6, 31
	s_ashr_i32 s1, s10, 31
	s_mul_i32 s10, s6, 0x50
	s_mov_b32 s7, exec_lo
	v_cmpx_gt_u32_e32 40, v38
	s_cbranch_execz .LBB209_5
; %bb.4:
	s_load_dwordx2 s[14:15], s[4:5], 0x18
	s_waitcnt lgkmcnt(0)
	s_mul_i32 s20, s16, s30
	v_lshlrev_b32_e32 v1, 3, v38
	s_ashr_i32 s21, s20, 31
	v_and_b32_e32 v3, 0xff8, v12
	s_lshl_b64 s[20:21], s[20:21], 2
	v_mad_u32_u24 v3, 0xa0, v0, v3
	s_add_u32 s13, s14, s20
	s_addc_u32 s16, s15, s21
	s_ashr_i32 s11, s10, 31
	s_lshl_b64 s[14:15], s[10:11], 2
	s_add_u32 s14, s13, s14
	s_addc_u32 s15, s16, s15
	global_load_dwordx2 v[1:2], v1, s[14:15]
	s_waitcnt vmcnt(0)
	ds_write_b64 v3, v[1:2]
.LBB209_5:
	s_or_b32 exec_lo, exec_lo, s7
	s_load_dwordx4 s[20:23], s[4:5], 0x78
	s_mul_i32 s7, s12, s2
	s_xor_b32 s0, s0, s1
	s_sub_i32 s1, s3, s7
	s_add_i32 s3, s12, 1
	s_sub_i32 s7, s1, s2
	s_cmp_ge_u32 s1, s2
                                        ; implicit-def: $sgpr19
	s_cselect_b32 s3, s3, s12
	s_cselect_b32 s1, s7, s1
	s_add_i32 s7, s3, 1
	s_cmp_ge_u32 s1, s2
	s_mov_b32 s12, -1
	s_cselect_b32 s1, s7, s3
	s_load_dword s3, s[4:5], 0x88
	s_xor_b32 s1, s1, s0
	s_add_i32 s7, s31, -1
	s_sub_i32 s1, s1, s0
	s_abs_i32 s2, s7
	s_waitcnt lgkmcnt(0)
	s_abs_i32 s11, s23
	s_barrier
	v_cvt_f32_u32_e32 v1, s11
	s_sub_i32 s0, 0, s11
	buffer_gl0_inv
	v_rcp_iflag_f32_e32 v1, v1
	v_mul_f32_e32 v1, 0x4f7ffffe, v1
	v_cvt_u32_f32_e32 v1, v1
	v_readfirstlane_b32 s16, v1
	s_mul_i32 s0, s0, s16
	s_mul_hi_u32 s0, s16, s0
	s_add_i32 s16, s16, s0
	s_cmp_lt_i32 s3, 0
	s_mul_hi_u32 s0, s2, s16
	s_cbranch_scc0 .LBB209_7
; %bb.6:
	s_mul_i32 s12, s20, s40
	s_add_i32 s12, s1, s12
	s_mul_i32 s12, s12, s3
	s_sub_i32 s19, 1, s12
	s_mov_b32 s12, 0
.LBB209_7:
	s_load_dwordx2 s[34:35], s[4:5], 0x38
	s_ashr_i32 s33, s7, 31
	s_andn2_b32 vcc_lo, exec_lo, s12
	s_ashr_i32 s23, s23, 31
	s_cbranch_vccnz .LBB209_9
; %bb.8:
	s_mul_i32 s7, s9, s20
	s_add_i32 s7, s7, s6
	s_mul_i32 s3, s7, s3
	s_add_i32 s19, s3, 1
.LBB209_9:
	s_clause 0x5
	s_load_dword s3, s[4:5], 0x48
	s_load_dwordx2 s[38:39], s[4:5], 0x28
	s_load_dwordx4 s[24:27], s[4:5], 0x0
	s_load_dwordx2 s[28:29], s[4:5], 0x10
	s_load_dword s7, s[4:5], 0x98
	s_load_dwordx4 s[12:15], s[4:5], 0x68
	s_mul_i32 s20, s0, s11
	s_xor_b32 s40, s33, s23
	s_sub_i32 s2, s2, s20
	s_add_i32 s33, s0, 1
	v_lshrrev_b32_e32 v1, 5, v38
	v_mov_b32_e32 v3, 0xff7fffff
	s_mul_i32 s18, s1, s18
	v_lshl_add_u32 v125, v1, 4, s42
	buffer_store_dword v1, off, s[56:59], 0 offset:72 ; 4-byte Folded Spill
	s_waitcnt lgkmcnt(0)
	s_mul_i32 s36, s3, s30
	s_sub_i32 s3, s2, s11
	s_ashr_i32 s37, s36, 31
	s_cmp_ge_u32 s2, s11
	s_cselect_b32 s0, s33, s0
	s_cselect_b32 s2, s3, s2
	s_add_i32 s3, s0, 1
	s_cmp_ge_u32 s2, s11
	s_cselect_b32 s0, s3, s0
	s_add_i32 s2, s31, 15
	s_lshl_b32 s44, s8, 5
	s_ashr_i32 s3, s2, 31
	v_or_b32_e32 v41, s44, v1
	s_lshr_b32 s3, s3, 28
	s_add_i32 s2, s2, s3
	s_add_i32 s3, s44, 32
	s_ashr_i32 s33, s2, 4
	s_xor_b32 s2, s0, s40
	s_min_i32 s20, s3, s33
	v_ashrrev_i32_e32 v42, 31, v41
	v_cmp_gt_i32_e64 s0, s20, v41
	s_sub_i32 s40, s2, s40
	s_and_saveexec_b32 s45, s0
	s_cbranch_execz .LBB209_341
; %bb.10:
	buffer_load_dword v7, off, s[56:59], 0 offset:72 ; 4-byte Folded Reload
	s_load_dwordx2 s[2:3], s[4:5], 0x20
	s_sub_i32 s4, s40, s21
	s_ashr_i32 s1, s18, 31
	v_bfe_u32 v9, v38, 1, 4
	v_lshlrev_b32_e32 v4, 1, v0
	v_mov_b32_e32 v8, 0xff7fffff
	buffer_store_dword v12, off, s[56:59], 0 offset:80 ; 4-byte Folded Spill
	buffer_store_dword v38, off, s[56:59], 0 offset:76 ; 4-byte Folded Spill
	v_lshlrev_b32_e32 v5, 2, v9
	v_subrev_nc_u32_e32 v6, s31, v9
	buffer_store_dword v8, off, s[56:59], 0 offset:52 ; 4-byte Folded Spill
	buffer_store_dword v9, off, s[56:59], 0 offset:64 ; 4-byte Folded Spill
	v_cmp_eq_u32_e32 vcc_lo, 0, v0
	v_mov_b32_e32 v44, 0
	v_add_nc_u32_e32 v6, 1, v6
	v_mul_u32_u24_e32 v0, 0xa0, v0
	v_mov_b32_e32 v54, 0x80
	v_bfrev_b32_e32 v56, 1
	v_mov_b32_e32 v60, 0x7f800001
	buffer_store_dword v6, off, s[56:59], 0 offset:68 ; 4-byte Folded Spill
	s_waitcnt lgkmcnt(0)
	s_add_u32 s46, s2, s18
	s_addc_u32 s47, s3, s1
	s_abs_i32 s5, s22
	v_cmp_neq_f32_e64 s1, s43, 0
	v_cvt_f32_u32_e32 v1, s5
	s_sub_i32 s2, 0, s5
	v_mov_b32_e32 v58, v41
	v_rcp_iflag_f32_e32 v3, v1
	v_lshlrev_b64 v[1:2], 2, v[41:42]
	v_mul_f32_e32 v3, 0x4f7ffffe, v3
	v_cvt_u32_f32_e32 v3, v3
	s_waitcnt vmcnt(0)
	v_lshl_or_b32 v5, v7, 6, v5
	v_lshl_add_u32 v53, v7, 4, s42
	v_lshlrev_b32_e32 v7, 4, v9
	v_add_nc_u32_e32 v57, 0x160, v5
	v_mul_lo_u32 v5, s2, v3
	s_lshl_b64 s[2:3], s[36:37], 2
	v_add_co_u32 v6, s46, s46, v7
	s_add_u32 s2, s34, s2
	v_add_co_ci_u32_e64 v7, null, s47, 0, s46
	s_addc_u32 s3, s35, s3
	v_add_co_u32 v49, s2, s2, v1
	v_mul_hi_u32 v5, v3, v5
	v_add_co_ci_u32_e64 v50, null, s3, v2, s2
	v_add_co_u32 v1, s2, v6, v4
	v_add_co_ci_u32_e64 v2, null, 0, v7, s2
	buffer_store_dword v1, off, s[56:59], 0 offset:56 ; 4-byte Folded Spill
	buffer_store_dword v2, off, s[56:59], 0 offset:60 ; 4-byte Folded Spill
	v_add_nc_u32_e32 v1, v3, v5
	s_mov_b32 s46, 0
	s_mov_b32 s47, s17
	buffer_store_dword v1, off, s[56:59], 0 offset:32 ; 4-byte Folded Spill
	s_branch .LBB209_13
.LBB209_11:                             ;   in Loop: Header=BB209_13 Depth=1
	s_or_b32 exec_lo, exec_lo, s48
.LBB209_12:                             ;   in Loop: Header=BB209_13 Depth=1
	s_or_b32 exec_lo, exec_lo, s3
	v_add_nc_u32_e32 v58, 4, v58
	v_add_co_u32 v49, s3, v49, 16
	v_add_co_ci_u32_e64 v50, null, 0, v50, s3
	v_cmp_le_i32_e64 s2, s20, v58
	v_add_nc_u32_e32 v53, 64, v53
	v_add_nc_u32_e32 v57, 0x100, v57
	s_or_b32 s46, s2, s46
	s_andn2_b32 exec_lo, exec_lo, s46
	s_cbranch_execz .LBB209_340
.LBB209_13:                             ; =>This Inner Loop Header: Depth=1
	v_sub_nc_u32_e32 v1, 0, v53
	v_max_i32_e32 v1, v53, v1
	s_waitcnt lgkmcnt(0)
	v_mul_hi_u32 v2, v1, s16
	v_mul_lo_u32 v3, v2, s11
	v_sub_nc_u32_e32 v1, v1, v3
	v_add_nc_u32_e32 v3, 1, v2
	v_subrev_nc_u32_e32 v4, s11, v1
	v_cmp_le_u32_e64 s2, s11, v1
	v_cndmask_b32_e64 v2, v2, v3, s2
	v_cndmask_b32_e64 v1, v1, v4, s2
	v_ashrrev_i32_e32 v3, 31, v53
	v_add_nc_u32_e32 v4, 1, v2
	v_cmp_le_u32_e64 s2, s11, v1
	v_xor_b32_e32 v3, s23, v3
	v_cndmask_b32_e64 v1, v2, v4, s2
	buffer_load_dword v4, off, s[56:59], 0 offset:32 ; 4-byte Folded Reload
	v_xor_b32_e32 v1, v1, v3
	v_sub_nc_u32_e32 v1, v1, v3
	v_add_nc_u32_e32 v2, s19, v1
	v_cmp_ge_i32_e64 s3, s4, v1
	v_sub_nc_u32_e32 v3, 0, v2
	v_max_i32_e32 v3, v2, v3
	v_ashrrev_i32_e32 v2, 31, v2
	s_waitcnt vmcnt(0)
	v_mul_hi_u32 v4, v3, v4
	v_mul_lo_u32 v4, v4, s5
	v_sub_nc_u32_e32 v3, v3, v4
	v_subrev_nc_u32_e32 v4, s5, v3
	v_cmp_le_u32_e64 s2, s5, v3
	v_cndmask_b32_e64 v3, v3, v4, s2
	v_subrev_nc_u32_e32 v4, s5, v3
	v_cmp_le_u32_e64 s2, s5, v3
	v_cndmask_b32_e64 v3, v3, v4, s2
	v_xor_b32_e32 v3, v3, v2
	v_sub_nc_u32_e32 v2, v3, v2
	v_cmp_ne_u32_e64 s2, 0, v2
	s_and_b32 s2, s2, s3
	s_and_saveexec_b32 s3, s2
	s_xor_b32 s2, exec_lo, s3
	s_cbranch_execz .LBB209_17
; %bb.14:                               ;   in Loop: Header=BB209_13 Depth=1
	s_and_saveexec_b32 s3, vcc_lo
; %bb.15:                               ;   in Loop: Header=BB209_13 Depth=1
	v_mov_b32_e32 v1, 0xff7fffff
	ds_write_b32 v57, v1
; %bb.16:                               ;   in Loop: Header=BB209_13 Depth=1
	s_or_b32 exec_lo, exec_lo, s3
.LBB209_17:                             ;   in Loop: Header=BB209_13 Depth=1
	s_andn2_saveexec_b32 s3, s2
	s_cbranch_execz .LBB209_12
; %bb.18:                               ;   in Loop: Header=BB209_13 Depth=1
	global_load_dword v1, v[49:50], off
	s_clause 0x1
	buffer_load_dword v2, off, s[56:59], 0 offset:56
	buffer_load_dword v3, off, s[56:59], 0 offset:60
	s_waitcnt vmcnt(0)
	v_mad_i64_i32 v[61:62], null, v1, s47, v[2:3]
	v_mov_b32_e32 v3, 0
	v_mov_b32_e32 v4, 0
	global_load_ushort v2, v[61:62], off
	ds_read_b128 v[37:40], v0
	ds_read_b128 v[33:36], v0 offset:16
	ds_read_b128 v[29:32], v0 offset:32
	;; [unrolled: 1-line block ×9, first 2 shown]
	s_waitcnt lgkmcnt(0)
	buffer_store_dword v45, off, s[56:59], 0 offset:36 ; 4-byte Folded Spill
	buffer_store_dword v46, off, s[56:59], 0 offset:40 ; 4-byte Folded Spill
	;; [unrolled: 1-line block ×4, first 2 shown]
	s_load_dword s48, s[12:13], 0x0
	buffer_store_dword v3, off, s[56:59], 0 offset:8 ; 4-byte Folded Spill
	buffer_store_dword v4, off, s[56:59], 0 offset:12 ; 4-byte Folded Spill
	v_mov_b32_e32 v3, 0
	v_mov_b32_e32 v4, 0
	buffer_store_dword v3, off, s[56:59], 0 ; 4-byte Folded Spill
	buffer_store_dword v4, off, s[56:59], 0 offset:4 ; 4-byte Folded Spill
	s_waitcnt vmcnt(0)
	v_and_b32_e32 v1, 0xffff, v2
	v_cmp_ne_u16_sdwa s2, v2, v44 src0_sel:BYTE_0 src1_sel:DWORD
	s_and_saveexec_b32 s49, s2
	s_cbranch_execz .LBB209_26
; %bb.19:                               ;   in Loop: Header=BB209_13 Depth=1
	v_bfrev_b32_e32 v2, 1
	v_mov_b32_e32 v3, 0
	v_cmp_ne_u16_sdwa s2, v1, v54 src0_sel:BYTE_0 src1_sel:DWORD
	buffer_store_dword v2, off, s[56:59], 0 ; 4-byte Folded Spill
	buffer_store_dword v3, off, s[56:59], 0 offset:4 ; 4-byte Folded Spill
	s_and_saveexec_b32 s50, s2
	s_cbranch_execz .LBB209_25
; %bb.20:                               ;   in Loop: Header=BB209_13 Depth=1
	v_mov_b32_e32 v45, 0x7f800001
	v_and_b32_e32 v3, 0x7f, v1
	v_mov_b32_e32 v46, 0
	s_mov_b32 s51, exec_lo
	buffer_store_dword v45, off, s[56:59], 0 ; 4-byte Folded Spill
	buffer_store_dword v46, off, s[56:59], 0 offset:4 ; 4-byte Folded Spill
	v_cmpx_ne_u32_e32 0x7f, v3
	s_cbranch_execz .LBB209_24
; %bb.21:                               ;   in Loop: Header=BB209_13 Depth=1
	v_and_b32_e32 v43, 7, v1
	v_lshrrev_b32_e32 v2, 3, v3
	s_mov_b32 s52, exec_lo
	v_cmpx_gt_u32_e32 8, v3
; %bb.22:                               ;   in Loop: Header=BB209_13 Depth=1
	v_ffbh_u32_e32 v2, v43
	v_min_u32_e32 v2, 32, v2
	v_subrev_nc_u32_e32 v3, 28, v2
	v_sub_nc_u32_e32 v2, 29, v2
	v_lshlrev_b64 v[3:4], v3, v[43:44]
	v_and_b32_e32 v43, 7, v3
; %bb.23:                               ;   in Loop: Header=BB209_13 Depth=1
	s_or_b32 exec_lo, exec_lo, s52
	v_lshlrev_b32_e32 v3, 24, v1
	v_lshlrev_b32_e32 v4, 20, v43
	v_lshl_add_u32 v2, v2, 23, 0x3c000000
	v_and_b32_e32 v3, 0x80000000, v3
	v_or3_b32 v43, v4, v3, v2
	buffer_store_dword v43, off, s[56:59], 0 ; 4-byte Folded Spill
	buffer_store_dword v44, off, s[56:59], 0 offset:4 ; 4-byte Folded Spill
.LBB209_24:                             ;   in Loop: Header=BB209_13 Depth=1
	s_or_b32 exec_lo, exec_lo, s51
.LBB209_25:                             ;   in Loop: Header=BB209_13 Depth=1
	s_or_b32 exec_lo, exec_lo, s50
.LBB209_26:                             ;   in Loop: Header=BB209_13 Depth=1
	s_or_b32 exec_lo, exec_lo, s49
	v_cmp_ne_u16_sdwa s2, v1, v44 src0_sel:BYTE_1 src1_sel:DWORD
	s_and_saveexec_b32 s49, s2
	s_cbranch_execz .LBB209_34
; %bb.27:                               ;   in Loop: Header=BB209_13 Depth=1
	v_mov_b32_e32 v55, v44
	v_cmp_ne_u16_sdwa s2, v1, v54 src0_sel:BYTE_1 src1_sel:DWORD
	buffer_store_dword v55, off, s[56:59], 0 offset:8 ; 4-byte Folded Spill
	buffer_store_dword v56, off, s[56:59], 0 offset:12 ; 4-byte Folded Spill
	s_and_saveexec_b32 s50, s2
	s_cbranch_execz .LBB209_33
; %bb.28:                               ;   in Loop: Header=BB209_13 Depth=1
	v_mov_b32_e32 v2, 0xffff
	v_mov_b32_e32 v59, v44
	s_mov_b32 s51, exec_lo
	buffer_store_dword v59, off, s[56:59], 0 offset:8 ; 4-byte Folded Spill
	buffer_store_dword v60, off, s[56:59], 0 offset:12 ; 4-byte Folded Spill
	v_and_b32_sdwa v2, v2, v1 dst_sel:DWORD dst_unused:UNUSED_PAD src0_sel:DWORD src1_sel:BYTE_1
	v_and_b32_e32 v3, 0x7f, v2
	v_cmpx_ne_u32_e32 0x7f, v3
	s_cbranch_execz .LBB209_32
; %bb.29:                               ;   in Loop: Header=BB209_13 Depth=1
	v_and_b32_e32 v43, 7, v2
	v_lshrrev_b32_e32 v2, 3, v3
	s_mov_b32 s52, exec_lo
	v_cmpx_gt_u32_e32 8, v3
; %bb.30:                               ;   in Loop: Header=BB209_13 Depth=1
	v_ffbh_u32_e32 v2, v43
	v_min_u32_e32 v2, 32, v2
	v_subrev_nc_u32_e32 v3, 28, v2
	v_sub_nc_u32_e32 v2, 29, v2
	v_lshlrev_b64 v[3:4], v3, v[43:44]
	v_and_b32_e32 v43, 7, v3
; %bb.31:                               ;   in Loop: Header=BB209_13 Depth=1
	s_or_b32 exec_lo, exec_lo, s52
	v_lshlrev_b32_e32 v1, 16, v1
	v_lshlrev_b32_e32 v3, 20, v43
	v_lshl_add_u32 v2, v2, 23, 0x3c000000
	v_and_b32_e32 v1, 0x80000000, v1
	v_or3_b32 v2, v3, v1, v2
	v_mov_b32_e32 v1, v44
	buffer_store_dword v1, off, s[56:59], 0 offset:8 ; 4-byte Folded Spill
	buffer_store_dword v2, off, s[56:59], 0 offset:12 ; 4-byte Folded Spill
.LBB209_32:                             ;   in Loop: Header=BB209_13 Depth=1
	s_or_b32 exec_lo, exec_lo, s51
.LBB209_33:                             ;   in Loop: Header=BB209_13 Depth=1
	s_or_b32 exec_lo, exec_lo, s50
.LBB209_34:                             ;   in Loop: Header=BB209_13 Depth=1
	s_or_b32 exec_lo, exec_lo, s49
	global_load_ushort v2, v[61:62], off offset:4
	v_mov_b32_e32 v3, 0
	v_mov_b32_e32 v4, 0
	buffer_store_dword v3, off, s[56:59], 0 offset:24 ; 4-byte Folded Spill
	buffer_store_dword v4, off, s[56:59], 0 offset:28 ; 4-byte Folded Spill
	v_mov_b32_e32 v3, 0
	v_mov_b32_e32 v4, 0
	buffer_store_dword v3, off, s[56:59], 0 offset:16 ; 4-byte Folded Spill
	buffer_store_dword v4, off, s[56:59], 0 offset:20 ; 4-byte Folded Spill
	s_waitcnt vmcnt(0)
	v_and_b32_e32 v1, 0xffff, v2
	v_cmp_ne_u16_sdwa s2, v2, v44 src0_sel:BYTE_0 src1_sel:DWORD
	s_and_saveexec_b32 s49, s2
	s_cbranch_execz .LBB209_42
; %bb.35:                               ;   in Loop: Header=BB209_13 Depth=1
	v_bfrev_b32_e32 v2, 1
	v_mov_b32_e32 v3, 0
	v_cmp_ne_u16_sdwa s2, v1, v54 src0_sel:BYTE_0 src1_sel:DWORD
	buffer_store_dword v2, off, s[56:59], 0 offset:16 ; 4-byte Folded Spill
	buffer_store_dword v3, off, s[56:59], 0 offset:20 ; 4-byte Folded Spill
	s_and_saveexec_b32 s50, s2
	s_cbranch_execz .LBB209_41
; %bb.36:                               ;   in Loop: Header=BB209_13 Depth=1
	v_mov_b32_e32 v45, 0x7f800001
	v_and_b32_e32 v3, 0x7f, v1
	v_mov_b32_e32 v46, 0
	s_mov_b32 s51, exec_lo
	buffer_store_dword v45, off, s[56:59], 0 offset:16 ; 4-byte Folded Spill
	buffer_store_dword v46, off, s[56:59], 0 offset:20 ; 4-byte Folded Spill
	v_cmpx_ne_u32_e32 0x7f, v3
	s_cbranch_execz .LBB209_40
; %bb.37:                               ;   in Loop: Header=BB209_13 Depth=1
	v_and_b32_e32 v43, 7, v1
	v_lshrrev_b32_e32 v2, 3, v3
	s_mov_b32 s52, exec_lo
	v_cmpx_gt_u32_e32 8, v3
; %bb.38:                               ;   in Loop: Header=BB209_13 Depth=1
	v_ffbh_u32_e32 v2, v43
	v_min_u32_e32 v2, 32, v2
	v_subrev_nc_u32_e32 v3, 28, v2
	v_sub_nc_u32_e32 v2, 29, v2
	v_lshlrev_b64 v[3:4], v3, v[43:44]
	v_and_b32_e32 v43, 7, v3
; %bb.39:                               ;   in Loop: Header=BB209_13 Depth=1
	s_or_b32 exec_lo, exec_lo, s52
	v_lshlrev_b32_e32 v3, 24, v1
	v_lshlrev_b32_e32 v4, 20, v43
	v_lshl_add_u32 v2, v2, 23, 0x3c000000
	v_and_b32_e32 v3, 0x80000000, v3
	v_or3_b32 v43, v4, v3, v2
	buffer_store_dword v43, off, s[56:59], 0 offset:16 ; 4-byte Folded Spill
	buffer_store_dword v44, off, s[56:59], 0 offset:20 ; 4-byte Folded Spill
.LBB209_40:                             ;   in Loop: Header=BB209_13 Depth=1
	s_or_b32 exec_lo, exec_lo, s51
.LBB209_41:                             ;   in Loop: Header=BB209_13 Depth=1
	s_or_b32 exec_lo, exec_lo, s50
.LBB209_42:                             ;   in Loop: Header=BB209_13 Depth=1
	s_or_b32 exec_lo, exec_lo, s49
	v_cmp_ne_u16_sdwa s2, v1, v44 src0_sel:BYTE_1 src1_sel:DWORD
	s_and_saveexec_b32 s49, s2
	s_cbranch_execz .LBB209_50
; %bb.43:                               ;   in Loop: Header=BB209_13 Depth=1
	v_mov_b32_e32 v55, v44
	v_cmp_ne_u16_sdwa s2, v1, v54 src0_sel:BYTE_1 src1_sel:DWORD
	buffer_store_dword v55, off, s[56:59], 0 offset:24 ; 4-byte Folded Spill
	buffer_store_dword v56, off, s[56:59], 0 offset:28 ; 4-byte Folded Spill
	s_and_saveexec_b32 s50, s2
	s_cbranch_execz .LBB209_49
; %bb.44:                               ;   in Loop: Header=BB209_13 Depth=1
	v_mov_b32_e32 v2, 0xffff
	v_mov_b32_e32 v59, v44
	s_mov_b32 s51, exec_lo
	buffer_store_dword v59, off, s[56:59], 0 offset:24 ; 4-byte Folded Spill
	buffer_store_dword v60, off, s[56:59], 0 offset:28 ; 4-byte Folded Spill
	v_and_b32_sdwa v2, v2, v1 dst_sel:DWORD dst_unused:UNUSED_PAD src0_sel:DWORD src1_sel:BYTE_1
	v_and_b32_e32 v3, 0x7f, v2
	v_cmpx_ne_u32_e32 0x7f, v3
	s_cbranch_execz .LBB209_48
; %bb.45:                               ;   in Loop: Header=BB209_13 Depth=1
	v_and_b32_e32 v43, 7, v2
	v_lshrrev_b32_e32 v2, 3, v3
	s_mov_b32 s52, exec_lo
	v_cmpx_gt_u32_e32 8, v3
; %bb.46:                               ;   in Loop: Header=BB209_13 Depth=1
	v_ffbh_u32_e32 v2, v43
	v_min_u32_e32 v2, 32, v2
	v_subrev_nc_u32_e32 v3, 28, v2
	v_sub_nc_u32_e32 v2, 29, v2
	v_lshlrev_b64 v[3:4], v3, v[43:44]
	v_and_b32_e32 v43, 7, v3
; %bb.47:                               ;   in Loop: Header=BB209_13 Depth=1
	s_or_b32 exec_lo, exec_lo, s52
	v_lshlrev_b32_e32 v1, 16, v1
	v_lshlrev_b32_e32 v3, 20, v43
	v_lshl_add_u32 v2, v2, 23, 0x3c000000
	v_and_b32_e32 v1, 0x80000000, v1
	v_or3_b32 v2, v3, v1, v2
	v_mov_b32_e32 v1, v44
	buffer_store_dword v1, off, s[56:59], 0 offset:24 ; 4-byte Folded Spill
	buffer_store_dword v2, off, s[56:59], 0 offset:28 ; 4-byte Folded Spill
.LBB209_48:                             ;   in Loop: Header=BB209_13 Depth=1
	s_or_b32 exec_lo, exec_lo, s51
.LBB209_49:                             ;   in Loop: Header=BB209_13 Depth=1
	s_or_b32 exec_lo, exec_lo, s50
.LBB209_50:                             ;   in Loop: Header=BB209_13 Depth=1
	s_or_b32 exec_lo, exec_lo, s49
	global_load_ushort v2, v[61:62], off offset:8
	v_mov_b32_e32 v65, 0
	v_mov_b32_e32 v63, 0
	;; [unrolled: 1-line block ×4, first 2 shown]
	s_waitcnt vmcnt(0)
	v_and_b32_e32 v1, 0xffff, v2
	v_cmp_ne_u16_sdwa s2, v2, v44 src0_sel:BYTE_0 src1_sel:DWORD
	s_and_saveexec_b32 s49, s2
	s_cbranch_execz .LBB209_58
; %bb.51:                               ;   in Loop: Header=BB209_13 Depth=1
	v_bfrev_b32_e32 v63, 1
	v_mov_b32_e32 v64, 0
	v_cmp_ne_u16_sdwa s2, v1, v54 src0_sel:BYTE_0 src1_sel:DWORD
	s_and_saveexec_b32 s50, s2
	s_cbranch_execz .LBB209_57
; %bb.52:                               ;   in Loop: Header=BB209_13 Depth=1
	v_mov_b32_e32 v63, 0x7f800001
	v_and_b32_e32 v3, 0x7f, v1
	v_mov_b32_e32 v64, 0
	s_mov_b32 s51, exec_lo
	v_cmpx_ne_u32_e32 0x7f, v3
	s_cbranch_execz .LBB209_56
; %bb.53:                               ;   in Loop: Header=BB209_13 Depth=1
	v_and_b32_e32 v43, 7, v1
	v_lshrrev_b32_e32 v2, 3, v3
	s_mov_b32 s52, exec_lo
	v_cmpx_gt_u32_e32 8, v3
; %bb.54:                               ;   in Loop: Header=BB209_13 Depth=1
	v_ffbh_u32_e32 v2, v43
	v_min_u32_e32 v2, 32, v2
	v_subrev_nc_u32_e32 v3, 28, v2
	v_sub_nc_u32_e32 v2, 29, v2
	v_lshlrev_b64 v[3:4], v3, v[43:44]
	v_and_b32_e32 v43, 7, v3
; %bb.55:                               ;   in Loop: Header=BB209_13 Depth=1
	s_or_b32 exec_lo, exec_lo, s52
	v_lshlrev_b32_e32 v3, 24, v1
	v_lshlrev_b32_e32 v4, 20, v43
	v_lshl_add_u32 v2, v2, 23, 0x3c000000
	v_and_b32_e32 v3, 0x80000000, v3
	v_or3_b32 v43, v4, v3, v2
	v_mov_b32_e32 v64, v44
	v_mov_b32_e32 v63, v43
.LBB209_56:                             ;   in Loop: Header=BB209_13 Depth=1
	s_or_b32 exec_lo, exec_lo, s51
.LBB209_57:                             ;   in Loop: Header=BB209_13 Depth=1
	s_or_b32 exec_lo, exec_lo, s50
.LBB209_58:                             ;   in Loop: Header=BB209_13 Depth=1
	s_or_b32 exec_lo, exec_lo, s49
	v_cmp_ne_u16_sdwa s2, v1, v44 src0_sel:BYTE_1 src1_sel:DWORD
	s_and_saveexec_b32 s49, s2
	s_cbranch_execz .LBB209_66
; %bb.59:                               ;   in Loop: Header=BB209_13 Depth=1
	v_mov_b32_e32 v55, v44
	v_mov_b32_e32 v66, v56
	v_cmp_ne_u16_sdwa s2, v1, v54 src0_sel:BYTE_1 src1_sel:DWORD
	v_mov_b32_e32 v65, v55
	s_and_saveexec_b32 s50, s2
	s_cbranch_execz .LBB209_65
; %bb.60:                               ;   in Loop: Header=BB209_13 Depth=1
	v_mov_b32_e32 v2, 0xffff
	v_mov_b32_e32 v59, v44
	v_mov_b32_e32 v66, v60
	s_mov_b32 s51, exec_lo
	v_and_b32_sdwa v2, v2, v1 dst_sel:DWORD dst_unused:UNUSED_PAD src0_sel:DWORD src1_sel:BYTE_1
	v_mov_b32_e32 v65, v59
	v_and_b32_e32 v3, 0x7f, v2
	v_cmpx_ne_u32_e32 0x7f, v3
	s_cbranch_execz .LBB209_64
; %bb.61:                               ;   in Loop: Header=BB209_13 Depth=1
	v_and_b32_e32 v43, 7, v2
	v_lshrrev_b32_e32 v2, 3, v3
	s_mov_b32 s52, exec_lo
	v_cmpx_gt_u32_e32 8, v3
; %bb.62:                               ;   in Loop: Header=BB209_13 Depth=1
	v_ffbh_u32_e32 v2, v43
	v_min_u32_e32 v2, 32, v2
	v_subrev_nc_u32_e32 v3, 28, v2
	v_sub_nc_u32_e32 v2, 29, v2
	v_lshlrev_b64 v[3:4], v3, v[43:44]
	v_and_b32_e32 v43, 7, v3
; %bb.63:                               ;   in Loop: Header=BB209_13 Depth=1
	s_or_b32 exec_lo, exec_lo, s52
	v_lshlrev_b32_e32 v1, 16, v1
	v_lshlrev_b32_e32 v3, 20, v43
	v_lshl_add_u32 v2, v2, 23, 0x3c000000
	v_mov_b32_e32 v65, v44
	v_and_b32_e32 v1, 0x80000000, v1
	v_or3_b32 v66, v3, v1, v2
.LBB209_64:                             ;   in Loop: Header=BB209_13 Depth=1
	s_or_b32 exec_lo, exec_lo, s51
.LBB209_65:                             ;   in Loop: Header=BB209_13 Depth=1
	s_or_b32 exec_lo, exec_lo, s50
.LBB209_66:                             ;   in Loop: Header=BB209_13 Depth=1
	s_or_b32 exec_lo, exec_lo, s49
	global_load_ushort v2, v[61:62], off offset:12
	v_mov_b32_e32 v69, 0
	v_mov_b32_e32 v67, 0
	;; [unrolled: 1-line block ×4, first 2 shown]
	s_waitcnt vmcnt(0)
	v_and_b32_e32 v1, 0xffff, v2
	v_cmp_ne_u16_sdwa s2, v2, v44 src0_sel:BYTE_0 src1_sel:DWORD
	s_and_saveexec_b32 s49, s2
	s_cbranch_execz .LBB209_74
; %bb.67:                               ;   in Loop: Header=BB209_13 Depth=1
	v_bfrev_b32_e32 v67, 1
	v_mov_b32_e32 v68, 0
	v_cmp_ne_u16_sdwa s2, v1, v54 src0_sel:BYTE_0 src1_sel:DWORD
	s_and_saveexec_b32 s50, s2
	s_cbranch_execz .LBB209_73
; %bb.68:                               ;   in Loop: Header=BB209_13 Depth=1
	v_mov_b32_e32 v67, 0x7f800001
	v_and_b32_e32 v3, 0x7f, v1
	v_mov_b32_e32 v68, 0
	s_mov_b32 s51, exec_lo
	v_cmpx_ne_u32_e32 0x7f, v3
	s_cbranch_execz .LBB209_72
; %bb.69:                               ;   in Loop: Header=BB209_13 Depth=1
	v_and_b32_e32 v43, 7, v1
	v_lshrrev_b32_e32 v2, 3, v3
	s_mov_b32 s52, exec_lo
	v_cmpx_gt_u32_e32 8, v3
; %bb.70:                               ;   in Loop: Header=BB209_13 Depth=1
	v_ffbh_u32_e32 v2, v43
	v_min_u32_e32 v2, 32, v2
	v_subrev_nc_u32_e32 v3, 28, v2
	v_sub_nc_u32_e32 v2, 29, v2
	v_lshlrev_b64 v[3:4], v3, v[43:44]
	v_and_b32_e32 v43, 7, v3
; %bb.71:                               ;   in Loop: Header=BB209_13 Depth=1
	s_or_b32 exec_lo, exec_lo, s52
	v_lshlrev_b32_e32 v3, 24, v1
	v_lshlrev_b32_e32 v4, 20, v43
	v_lshl_add_u32 v2, v2, 23, 0x3c000000
	v_and_b32_e32 v3, 0x80000000, v3
	v_or3_b32 v43, v4, v3, v2
	v_mov_b32_e32 v68, v44
	v_mov_b32_e32 v67, v43
.LBB209_72:                             ;   in Loop: Header=BB209_13 Depth=1
	s_or_b32 exec_lo, exec_lo, s51
.LBB209_73:                             ;   in Loop: Header=BB209_13 Depth=1
	s_or_b32 exec_lo, exec_lo, s50
.LBB209_74:                             ;   in Loop: Header=BB209_13 Depth=1
	s_or_b32 exec_lo, exec_lo, s49
	v_cmp_ne_u16_sdwa s2, v1, v44 src0_sel:BYTE_1 src1_sel:DWORD
	s_and_saveexec_b32 s49, s2
	s_cbranch_execz .LBB209_82
; %bb.75:                               ;   in Loop: Header=BB209_13 Depth=1
	v_mov_b32_e32 v55, v44
	v_mov_b32_e32 v70, v56
	v_cmp_ne_u16_sdwa s2, v1, v54 src0_sel:BYTE_1 src1_sel:DWORD
	v_mov_b32_e32 v69, v55
	s_and_saveexec_b32 s50, s2
	s_cbranch_execz .LBB209_81
; %bb.76:                               ;   in Loop: Header=BB209_13 Depth=1
	v_mov_b32_e32 v2, 0xffff
	v_mov_b32_e32 v59, v44
	;; [unrolled: 1-line block ×3, first 2 shown]
	s_mov_b32 s51, exec_lo
	v_and_b32_sdwa v2, v2, v1 dst_sel:DWORD dst_unused:UNUSED_PAD src0_sel:DWORD src1_sel:BYTE_1
	v_mov_b32_e32 v69, v59
	v_and_b32_e32 v3, 0x7f, v2
	v_cmpx_ne_u32_e32 0x7f, v3
	s_cbranch_execz .LBB209_80
; %bb.77:                               ;   in Loop: Header=BB209_13 Depth=1
	v_and_b32_e32 v43, 7, v2
	v_lshrrev_b32_e32 v2, 3, v3
	s_mov_b32 s52, exec_lo
	v_cmpx_gt_u32_e32 8, v3
; %bb.78:                               ;   in Loop: Header=BB209_13 Depth=1
	v_ffbh_u32_e32 v2, v43
	v_min_u32_e32 v2, 32, v2
	v_subrev_nc_u32_e32 v3, 28, v2
	v_sub_nc_u32_e32 v2, 29, v2
	v_lshlrev_b64 v[3:4], v3, v[43:44]
	v_and_b32_e32 v43, 7, v3
; %bb.79:                               ;   in Loop: Header=BB209_13 Depth=1
	s_or_b32 exec_lo, exec_lo, s52
	v_lshlrev_b32_e32 v1, 16, v1
	v_lshlrev_b32_e32 v3, 20, v43
	v_lshl_add_u32 v2, v2, 23, 0x3c000000
	v_mov_b32_e32 v69, v44
	v_and_b32_e32 v1, 0x80000000, v1
	v_or3_b32 v70, v3, v1, v2
.LBB209_80:                             ;   in Loop: Header=BB209_13 Depth=1
	s_or_b32 exec_lo, exec_lo, s51
.LBB209_81:                             ;   in Loop: Header=BB209_13 Depth=1
	s_or_b32 exec_lo, exec_lo, s50
.LBB209_82:                             ;   in Loop: Header=BB209_13 Depth=1
	s_or_b32 exec_lo, exec_lo, s49
	global_load_ushort v2, v[61:62], off offset:256
	v_mov_b32_e32 v73, 0
	v_mov_b32_e32 v71, 0
	;; [unrolled: 1-line block ×4, first 2 shown]
	s_waitcnt vmcnt(0)
	v_and_b32_e32 v1, 0xffff, v2
	v_cmp_ne_u16_sdwa s2, v2, v44 src0_sel:BYTE_0 src1_sel:DWORD
	s_and_saveexec_b32 s49, s2
	s_cbranch_execz .LBB209_90
; %bb.83:                               ;   in Loop: Header=BB209_13 Depth=1
	v_bfrev_b32_e32 v71, 1
	v_mov_b32_e32 v72, 0
	v_cmp_ne_u16_sdwa s2, v1, v54 src0_sel:BYTE_0 src1_sel:DWORD
	s_and_saveexec_b32 s50, s2
	s_cbranch_execz .LBB209_89
; %bb.84:                               ;   in Loop: Header=BB209_13 Depth=1
	v_mov_b32_e32 v71, 0x7f800001
	v_and_b32_e32 v3, 0x7f, v1
	v_mov_b32_e32 v72, 0
	s_mov_b32 s51, exec_lo
	v_cmpx_ne_u32_e32 0x7f, v3
	s_cbranch_execz .LBB209_88
; %bb.85:                               ;   in Loop: Header=BB209_13 Depth=1
	v_and_b32_e32 v43, 7, v1
	v_lshrrev_b32_e32 v2, 3, v3
	s_mov_b32 s52, exec_lo
	v_cmpx_gt_u32_e32 8, v3
; %bb.86:                               ;   in Loop: Header=BB209_13 Depth=1
	v_ffbh_u32_e32 v2, v43
	v_min_u32_e32 v2, 32, v2
	v_subrev_nc_u32_e32 v3, 28, v2
	v_sub_nc_u32_e32 v2, 29, v2
	v_lshlrev_b64 v[3:4], v3, v[43:44]
	v_and_b32_e32 v43, 7, v3
; %bb.87:                               ;   in Loop: Header=BB209_13 Depth=1
	s_or_b32 exec_lo, exec_lo, s52
	v_lshlrev_b32_e32 v3, 24, v1
	v_lshlrev_b32_e32 v4, 20, v43
	v_lshl_add_u32 v2, v2, 23, 0x3c000000
	v_and_b32_e32 v3, 0x80000000, v3
	v_or3_b32 v43, v4, v3, v2
	v_mov_b32_e32 v72, v44
	v_mov_b32_e32 v71, v43
.LBB209_88:                             ;   in Loop: Header=BB209_13 Depth=1
	s_or_b32 exec_lo, exec_lo, s51
.LBB209_89:                             ;   in Loop: Header=BB209_13 Depth=1
	s_or_b32 exec_lo, exec_lo, s50
.LBB209_90:                             ;   in Loop: Header=BB209_13 Depth=1
	s_or_b32 exec_lo, exec_lo, s49
	v_cmp_ne_u16_sdwa s2, v1, v44 src0_sel:BYTE_1 src1_sel:DWORD
	s_and_saveexec_b32 s49, s2
	s_cbranch_execz .LBB209_98
; %bb.91:                               ;   in Loop: Header=BB209_13 Depth=1
	v_mov_b32_e32 v55, v44
	v_mov_b32_e32 v74, v56
	v_cmp_ne_u16_sdwa s2, v1, v54 src0_sel:BYTE_1 src1_sel:DWORD
	v_mov_b32_e32 v73, v55
	s_and_saveexec_b32 s50, s2
	s_cbranch_execz .LBB209_97
; %bb.92:                               ;   in Loop: Header=BB209_13 Depth=1
	v_mov_b32_e32 v2, 0xffff
	v_mov_b32_e32 v59, v44
	;; [unrolled: 1-line block ×3, first 2 shown]
	s_mov_b32 s51, exec_lo
	v_and_b32_sdwa v2, v2, v1 dst_sel:DWORD dst_unused:UNUSED_PAD src0_sel:DWORD src1_sel:BYTE_1
	v_mov_b32_e32 v73, v59
	v_and_b32_e32 v3, 0x7f, v2
	v_cmpx_ne_u32_e32 0x7f, v3
	s_cbranch_execz .LBB209_96
; %bb.93:                               ;   in Loop: Header=BB209_13 Depth=1
	v_and_b32_e32 v43, 7, v2
	v_lshrrev_b32_e32 v2, 3, v3
	s_mov_b32 s52, exec_lo
	v_cmpx_gt_u32_e32 8, v3
; %bb.94:                               ;   in Loop: Header=BB209_13 Depth=1
	v_ffbh_u32_e32 v2, v43
	v_min_u32_e32 v2, 32, v2
	v_subrev_nc_u32_e32 v3, 28, v2
	v_sub_nc_u32_e32 v2, 29, v2
	v_lshlrev_b64 v[3:4], v3, v[43:44]
	v_and_b32_e32 v43, 7, v3
; %bb.95:                               ;   in Loop: Header=BB209_13 Depth=1
	s_or_b32 exec_lo, exec_lo, s52
	v_lshlrev_b32_e32 v1, 16, v1
	v_lshlrev_b32_e32 v3, 20, v43
	v_lshl_add_u32 v2, v2, 23, 0x3c000000
	v_mov_b32_e32 v73, v44
	v_and_b32_e32 v1, 0x80000000, v1
	v_or3_b32 v74, v3, v1, v2
.LBB209_96:                             ;   in Loop: Header=BB209_13 Depth=1
	s_or_b32 exec_lo, exec_lo, s51
.LBB209_97:                             ;   in Loop: Header=BB209_13 Depth=1
	s_or_b32 exec_lo, exec_lo, s50
.LBB209_98:                             ;   in Loop: Header=BB209_13 Depth=1
	s_or_b32 exec_lo, exec_lo, s49
	global_load_ushort v2, v[61:62], off offset:260
	v_mov_b32_e32 v77, 0
	v_mov_b32_e32 v75, 0
	;; [unrolled: 1-line block ×4, first 2 shown]
	s_waitcnt vmcnt(0)
	v_and_b32_e32 v1, 0xffff, v2
	v_cmp_ne_u16_sdwa s2, v2, v44 src0_sel:BYTE_0 src1_sel:DWORD
	s_and_saveexec_b32 s49, s2
	s_cbranch_execz .LBB209_106
; %bb.99:                               ;   in Loop: Header=BB209_13 Depth=1
	v_bfrev_b32_e32 v75, 1
	v_mov_b32_e32 v76, 0
	v_cmp_ne_u16_sdwa s2, v1, v54 src0_sel:BYTE_0 src1_sel:DWORD
	s_and_saveexec_b32 s50, s2
	s_cbranch_execz .LBB209_105
; %bb.100:                              ;   in Loop: Header=BB209_13 Depth=1
	v_mov_b32_e32 v75, 0x7f800001
	v_and_b32_e32 v3, 0x7f, v1
	v_mov_b32_e32 v76, 0
	s_mov_b32 s51, exec_lo
	v_cmpx_ne_u32_e32 0x7f, v3
	s_cbranch_execz .LBB209_104
; %bb.101:                              ;   in Loop: Header=BB209_13 Depth=1
	v_and_b32_e32 v43, 7, v1
	v_lshrrev_b32_e32 v2, 3, v3
	s_mov_b32 s52, exec_lo
	v_cmpx_gt_u32_e32 8, v3
; %bb.102:                              ;   in Loop: Header=BB209_13 Depth=1
	v_ffbh_u32_e32 v2, v43
	v_min_u32_e32 v2, 32, v2
	v_subrev_nc_u32_e32 v3, 28, v2
	v_sub_nc_u32_e32 v2, 29, v2
	v_lshlrev_b64 v[3:4], v3, v[43:44]
	v_and_b32_e32 v43, 7, v3
; %bb.103:                              ;   in Loop: Header=BB209_13 Depth=1
	s_or_b32 exec_lo, exec_lo, s52
	v_lshlrev_b32_e32 v3, 24, v1
	v_lshlrev_b32_e32 v4, 20, v43
	v_lshl_add_u32 v2, v2, 23, 0x3c000000
	v_and_b32_e32 v3, 0x80000000, v3
	v_or3_b32 v43, v4, v3, v2
	v_mov_b32_e32 v76, v44
	v_mov_b32_e32 v75, v43
.LBB209_104:                            ;   in Loop: Header=BB209_13 Depth=1
	s_or_b32 exec_lo, exec_lo, s51
.LBB209_105:                            ;   in Loop: Header=BB209_13 Depth=1
	s_or_b32 exec_lo, exec_lo, s50
.LBB209_106:                            ;   in Loop: Header=BB209_13 Depth=1
	s_or_b32 exec_lo, exec_lo, s49
	v_cmp_ne_u16_sdwa s2, v1, v44 src0_sel:BYTE_1 src1_sel:DWORD
	s_and_saveexec_b32 s49, s2
	s_cbranch_execz .LBB209_114
; %bb.107:                              ;   in Loop: Header=BB209_13 Depth=1
	v_mov_b32_e32 v55, v44
	v_mov_b32_e32 v78, v56
	v_cmp_ne_u16_sdwa s2, v1, v54 src0_sel:BYTE_1 src1_sel:DWORD
	v_mov_b32_e32 v77, v55
	s_and_saveexec_b32 s50, s2
	s_cbranch_execz .LBB209_113
; %bb.108:                              ;   in Loop: Header=BB209_13 Depth=1
	v_mov_b32_e32 v2, 0xffff
	v_mov_b32_e32 v59, v44
	;; [unrolled: 1-line block ×3, first 2 shown]
	s_mov_b32 s51, exec_lo
	v_and_b32_sdwa v2, v2, v1 dst_sel:DWORD dst_unused:UNUSED_PAD src0_sel:DWORD src1_sel:BYTE_1
	v_mov_b32_e32 v77, v59
	v_and_b32_e32 v3, 0x7f, v2
	v_cmpx_ne_u32_e32 0x7f, v3
	s_cbranch_execz .LBB209_112
; %bb.109:                              ;   in Loop: Header=BB209_13 Depth=1
	v_and_b32_e32 v43, 7, v2
	v_lshrrev_b32_e32 v2, 3, v3
	s_mov_b32 s52, exec_lo
	v_cmpx_gt_u32_e32 8, v3
; %bb.110:                              ;   in Loop: Header=BB209_13 Depth=1
	v_ffbh_u32_e32 v2, v43
	v_min_u32_e32 v2, 32, v2
	v_subrev_nc_u32_e32 v3, 28, v2
	v_sub_nc_u32_e32 v2, 29, v2
	v_lshlrev_b64 v[3:4], v3, v[43:44]
	v_and_b32_e32 v43, 7, v3
; %bb.111:                              ;   in Loop: Header=BB209_13 Depth=1
	s_or_b32 exec_lo, exec_lo, s52
	v_lshlrev_b32_e32 v1, 16, v1
	v_lshlrev_b32_e32 v3, 20, v43
	v_lshl_add_u32 v2, v2, 23, 0x3c000000
	v_mov_b32_e32 v77, v44
	v_and_b32_e32 v1, 0x80000000, v1
	v_or3_b32 v78, v3, v1, v2
.LBB209_112:                            ;   in Loop: Header=BB209_13 Depth=1
	s_or_b32 exec_lo, exec_lo, s51
.LBB209_113:                            ;   in Loop: Header=BB209_13 Depth=1
	s_or_b32 exec_lo, exec_lo, s50
.LBB209_114:                            ;   in Loop: Header=BB209_13 Depth=1
	s_or_b32 exec_lo, exec_lo, s49
	global_load_ushort v2, v[61:62], off offset:264
	v_mov_b32_e32 v81, 0
	v_mov_b32_e32 v79, 0
	;; [unrolled: 1-line block ×4, first 2 shown]
	s_waitcnt vmcnt(0)
	v_and_b32_e32 v1, 0xffff, v2
	v_cmp_ne_u16_sdwa s2, v2, v44 src0_sel:BYTE_0 src1_sel:DWORD
	s_and_saveexec_b32 s49, s2
	s_cbranch_execz .LBB209_122
; %bb.115:                              ;   in Loop: Header=BB209_13 Depth=1
	v_bfrev_b32_e32 v79, 1
	v_mov_b32_e32 v80, 0
	v_cmp_ne_u16_sdwa s2, v1, v54 src0_sel:BYTE_0 src1_sel:DWORD
	s_and_saveexec_b32 s50, s2
	s_cbranch_execz .LBB209_121
; %bb.116:                              ;   in Loop: Header=BB209_13 Depth=1
	v_mov_b32_e32 v79, 0x7f800001
	v_and_b32_e32 v3, 0x7f, v1
	v_mov_b32_e32 v80, 0
	s_mov_b32 s51, exec_lo
	v_cmpx_ne_u32_e32 0x7f, v3
	s_cbranch_execz .LBB209_120
; %bb.117:                              ;   in Loop: Header=BB209_13 Depth=1
	v_and_b32_e32 v43, 7, v1
	v_lshrrev_b32_e32 v2, 3, v3
	s_mov_b32 s52, exec_lo
	v_cmpx_gt_u32_e32 8, v3
; %bb.118:                              ;   in Loop: Header=BB209_13 Depth=1
	v_ffbh_u32_e32 v2, v43
	v_min_u32_e32 v2, 32, v2
	v_subrev_nc_u32_e32 v3, 28, v2
	v_sub_nc_u32_e32 v2, 29, v2
	v_lshlrev_b64 v[3:4], v3, v[43:44]
	v_and_b32_e32 v43, 7, v3
; %bb.119:                              ;   in Loop: Header=BB209_13 Depth=1
	s_or_b32 exec_lo, exec_lo, s52
	v_lshlrev_b32_e32 v3, 24, v1
	v_lshlrev_b32_e32 v4, 20, v43
	v_lshl_add_u32 v2, v2, 23, 0x3c000000
	v_and_b32_e32 v3, 0x80000000, v3
	v_or3_b32 v43, v4, v3, v2
	v_mov_b32_e32 v80, v44
	v_mov_b32_e32 v79, v43
.LBB209_120:                            ;   in Loop: Header=BB209_13 Depth=1
	s_or_b32 exec_lo, exec_lo, s51
.LBB209_121:                            ;   in Loop: Header=BB209_13 Depth=1
	s_or_b32 exec_lo, exec_lo, s50
.LBB209_122:                            ;   in Loop: Header=BB209_13 Depth=1
	s_or_b32 exec_lo, exec_lo, s49
	v_cmp_ne_u16_sdwa s2, v1, v44 src0_sel:BYTE_1 src1_sel:DWORD
	s_and_saveexec_b32 s49, s2
	s_cbranch_execz .LBB209_130
; %bb.123:                              ;   in Loop: Header=BB209_13 Depth=1
	v_mov_b32_e32 v55, v44
	v_mov_b32_e32 v82, v56
	v_cmp_ne_u16_sdwa s2, v1, v54 src0_sel:BYTE_1 src1_sel:DWORD
	v_mov_b32_e32 v81, v55
	s_and_saveexec_b32 s50, s2
	s_cbranch_execz .LBB209_129
; %bb.124:                              ;   in Loop: Header=BB209_13 Depth=1
	v_mov_b32_e32 v2, 0xffff
	v_mov_b32_e32 v59, v44
	;; [unrolled: 1-line block ×3, first 2 shown]
	s_mov_b32 s51, exec_lo
	v_and_b32_sdwa v2, v2, v1 dst_sel:DWORD dst_unused:UNUSED_PAD src0_sel:DWORD src1_sel:BYTE_1
	v_mov_b32_e32 v81, v59
	v_and_b32_e32 v3, 0x7f, v2
	v_cmpx_ne_u32_e32 0x7f, v3
	s_cbranch_execz .LBB209_128
; %bb.125:                              ;   in Loop: Header=BB209_13 Depth=1
	v_and_b32_e32 v43, 7, v2
	v_lshrrev_b32_e32 v2, 3, v3
	s_mov_b32 s52, exec_lo
	v_cmpx_gt_u32_e32 8, v3
; %bb.126:                              ;   in Loop: Header=BB209_13 Depth=1
	v_ffbh_u32_e32 v2, v43
	v_min_u32_e32 v2, 32, v2
	v_subrev_nc_u32_e32 v3, 28, v2
	v_sub_nc_u32_e32 v2, 29, v2
	v_lshlrev_b64 v[3:4], v3, v[43:44]
	v_and_b32_e32 v43, 7, v3
; %bb.127:                              ;   in Loop: Header=BB209_13 Depth=1
	s_or_b32 exec_lo, exec_lo, s52
	v_lshlrev_b32_e32 v1, 16, v1
	v_lshlrev_b32_e32 v3, 20, v43
	v_lshl_add_u32 v2, v2, 23, 0x3c000000
	v_mov_b32_e32 v81, v44
	v_and_b32_e32 v1, 0x80000000, v1
	v_or3_b32 v82, v3, v1, v2
.LBB209_128:                            ;   in Loop: Header=BB209_13 Depth=1
	s_or_b32 exec_lo, exec_lo, s51
.LBB209_129:                            ;   in Loop: Header=BB209_13 Depth=1
	s_or_b32 exec_lo, exec_lo, s50
.LBB209_130:                            ;   in Loop: Header=BB209_13 Depth=1
	s_or_b32 exec_lo, exec_lo, s49
	global_load_ushort v2, v[61:62], off offset:268
	v_mov_b32_e32 v85, 0
	v_mov_b32_e32 v83, 0
	;; [unrolled: 1-line block ×4, first 2 shown]
	s_waitcnt vmcnt(0)
	v_and_b32_e32 v1, 0xffff, v2
	v_cmp_ne_u16_sdwa s2, v2, v44 src0_sel:BYTE_0 src1_sel:DWORD
	s_and_saveexec_b32 s49, s2
	s_cbranch_execz .LBB209_138
; %bb.131:                              ;   in Loop: Header=BB209_13 Depth=1
	v_bfrev_b32_e32 v83, 1
	v_mov_b32_e32 v84, 0
	v_cmp_ne_u16_sdwa s2, v1, v54 src0_sel:BYTE_0 src1_sel:DWORD
	s_and_saveexec_b32 s50, s2
	s_cbranch_execz .LBB209_137
; %bb.132:                              ;   in Loop: Header=BB209_13 Depth=1
	v_mov_b32_e32 v83, 0x7f800001
	v_and_b32_e32 v3, 0x7f, v1
	v_mov_b32_e32 v84, 0
	s_mov_b32 s51, exec_lo
	v_cmpx_ne_u32_e32 0x7f, v3
	s_cbranch_execz .LBB209_136
; %bb.133:                              ;   in Loop: Header=BB209_13 Depth=1
	v_and_b32_e32 v43, 7, v1
	v_lshrrev_b32_e32 v2, 3, v3
	s_mov_b32 s52, exec_lo
	v_cmpx_gt_u32_e32 8, v3
; %bb.134:                              ;   in Loop: Header=BB209_13 Depth=1
	v_ffbh_u32_e32 v2, v43
	v_min_u32_e32 v2, 32, v2
	v_subrev_nc_u32_e32 v3, 28, v2
	v_sub_nc_u32_e32 v2, 29, v2
	v_lshlrev_b64 v[3:4], v3, v[43:44]
	v_and_b32_e32 v43, 7, v3
; %bb.135:                              ;   in Loop: Header=BB209_13 Depth=1
	s_or_b32 exec_lo, exec_lo, s52
	v_lshlrev_b32_e32 v3, 24, v1
	v_lshlrev_b32_e32 v4, 20, v43
	v_lshl_add_u32 v2, v2, 23, 0x3c000000
	v_and_b32_e32 v3, 0x80000000, v3
	v_or3_b32 v43, v4, v3, v2
	v_mov_b32_e32 v84, v44
	v_mov_b32_e32 v83, v43
.LBB209_136:                            ;   in Loop: Header=BB209_13 Depth=1
	s_or_b32 exec_lo, exec_lo, s51
.LBB209_137:                            ;   in Loop: Header=BB209_13 Depth=1
	s_or_b32 exec_lo, exec_lo, s50
.LBB209_138:                            ;   in Loop: Header=BB209_13 Depth=1
	s_or_b32 exec_lo, exec_lo, s49
	v_cmp_ne_u16_sdwa s2, v1, v44 src0_sel:BYTE_1 src1_sel:DWORD
	s_and_saveexec_b32 s49, s2
	s_cbranch_execz .LBB209_146
; %bb.139:                              ;   in Loop: Header=BB209_13 Depth=1
	v_mov_b32_e32 v55, v44
	v_mov_b32_e32 v86, v56
	v_cmp_ne_u16_sdwa s2, v1, v54 src0_sel:BYTE_1 src1_sel:DWORD
	v_mov_b32_e32 v85, v55
	s_and_saveexec_b32 s50, s2
	s_cbranch_execz .LBB209_145
; %bb.140:                              ;   in Loop: Header=BB209_13 Depth=1
	v_mov_b32_e32 v2, 0xffff
	v_mov_b32_e32 v59, v44
	;; [unrolled: 1-line block ×3, first 2 shown]
	s_mov_b32 s51, exec_lo
	v_and_b32_sdwa v2, v2, v1 dst_sel:DWORD dst_unused:UNUSED_PAD src0_sel:DWORD src1_sel:BYTE_1
	v_mov_b32_e32 v85, v59
	v_and_b32_e32 v3, 0x7f, v2
	v_cmpx_ne_u32_e32 0x7f, v3
	s_cbranch_execz .LBB209_144
; %bb.141:                              ;   in Loop: Header=BB209_13 Depth=1
	v_and_b32_e32 v43, 7, v2
	v_lshrrev_b32_e32 v2, 3, v3
	s_mov_b32 s52, exec_lo
	v_cmpx_gt_u32_e32 8, v3
; %bb.142:                              ;   in Loop: Header=BB209_13 Depth=1
	v_ffbh_u32_e32 v2, v43
	v_min_u32_e32 v2, 32, v2
	v_subrev_nc_u32_e32 v3, 28, v2
	v_sub_nc_u32_e32 v2, 29, v2
	v_lshlrev_b64 v[3:4], v3, v[43:44]
	v_and_b32_e32 v43, 7, v3
; %bb.143:                              ;   in Loop: Header=BB209_13 Depth=1
	s_or_b32 exec_lo, exec_lo, s52
	v_lshlrev_b32_e32 v1, 16, v1
	v_lshlrev_b32_e32 v3, 20, v43
	v_lshl_add_u32 v2, v2, 23, 0x3c000000
	v_mov_b32_e32 v85, v44
	v_and_b32_e32 v1, 0x80000000, v1
	v_or3_b32 v86, v3, v1, v2
.LBB209_144:                            ;   in Loop: Header=BB209_13 Depth=1
	s_or_b32 exec_lo, exec_lo, s51
.LBB209_145:                            ;   in Loop: Header=BB209_13 Depth=1
	s_or_b32 exec_lo, exec_lo, s50
.LBB209_146:                            ;   in Loop: Header=BB209_13 Depth=1
	s_or_b32 exec_lo, exec_lo, s49
	global_load_ushort v2, v[61:62], off offset:512
	v_mov_b32_e32 v89, 0
	v_mov_b32_e32 v87, 0
	;; [unrolled: 1-line block ×4, first 2 shown]
	s_waitcnt vmcnt(0)
	v_and_b32_e32 v1, 0xffff, v2
	v_cmp_ne_u16_sdwa s2, v2, v44 src0_sel:BYTE_0 src1_sel:DWORD
	s_and_saveexec_b32 s49, s2
	s_cbranch_execz .LBB209_154
; %bb.147:                              ;   in Loop: Header=BB209_13 Depth=1
	v_bfrev_b32_e32 v87, 1
	v_mov_b32_e32 v88, 0
	v_cmp_ne_u16_sdwa s2, v1, v54 src0_sel:BYTE_0 src1_sel:DWORD
	s_and_saveexec_b32 s50, s2
	s_cbranch_execz .LBB209_153
; %bb.148:                              ;   in Loop: Header=BB209_13 Depth=1
	v_mov_b32_e32 v87, 0x7f800001
	v_and_b32_e32 v3, 0x7f, v1
	v_mov_b32_e32 v88, 0
	s_mov_b32 s51, exec_lo
	v_cmpx_ne_u32_e32 0x7f, v3
	s_cbranch_execz .LBB209_152
; %bb.149:                              ;   in Loop: Header=BB209_13 Depth=1
	v_and_b32_e32 v43, 7, v1
	v_lshrrev_b32_e32 v2, 3, v3
	s_mov_b32 s52, exec_lo
	v_cmpx_gt_u32_e32 8, v3
; %bb.150:                              ;   in Loop: Header=BB209_13 Depth=1
	v_ffbh_u32_e32 v2, v43
	v_min_u32_e32 v2, 32, v2
	v_subrev_nc_u32_e32 v3, 28, v2
	v_sub_nc_u32_e32 v2, 29, v2
	v_lshlrev_b64 v[3:4], v3, v[43:44]
	v_and_b32_e32 v43, 7, v3
; %bb.151:                              ;   in Loop: Header=BB209_13 Depth=1
	s_or_b32 exec_lo, exec_lo, s52
	v_lshlrev_b32_e32 v3, 24, v1
	v_lshlrev_b32_e32 v4, 20, v43
	v_lshl_add_u32 v2, v2, 23, 0x3c000000
	v_and_b32_e32 v3, 0x80000000, v3
	v_or3_b32 v43, v4, v3, v2
	v_mov_b32_e32 v88, v44
	v_mov_b32_e32 v87, v43
.LBB209_152:                            ;   in Loop: Header=BB209_13 Depth=1
	s_or_b32 exec_lo, exec_lo, s51
.LBB209_153:                            ;   in Loop: Header=BB209_13 Depth=1
	s_or_b32 exec_lo, exec_lo, s50
.LBB209_154:                            ;   in Loop: Header=BB209_13 Depth=1
	s_or_b32 exec_lo, exec_lo, s49
	v_cmp_ne_u16_sdwa s2, v1, v44 src0_sel:BYTE_1 src1_sel:DWORD
	s_and_saveexec_b32 s49, s2
	s_cbranch_execz .LBB209_162
; %bb.155:                              ;   in Loop: Header=BB209_13 Depth=1
	v_mov_b32_e32 v55, v44
	v_mov_b32_e32 v90, v56
	v_cmp_ne_u16_sdwa s2, v1, v54 src0_sel:BYTE_1 src1_sel:DWORD
	v_mov_b32_e32 v89, v55
	s_and_saveexec_b32 s50, s2
	s_cbranch_execz .LBB209_161
; %bb.156:                              ;   in Loop: Header=BB209_13 Depth=1
	v_mov_b32_e32 v2, 0xffff
	v_mov_b32_e32 v59, v44
	;; [unrolled: 1-line block ×3, first 2 shown]
	s_mov_b32 s51, exec_lo
	v_and_b32_sdwa v2, v2, v1 dst_sel:DWORD dst_unused:UNUSED_PAD src0_sel:DWORD src1_sel:BYTE_1
	v_mov_b32_e32 v89, v59
	v_and_b32_e32 v3, 0x7f, v2
	v_cmpx_ne_u32_e32 0x7f, v3
	s_cbranch_execz .LBB209_160
; %bb.157:                              ;   in Loop: Header=BB209_13 Depth=1
	v_and_b32_e32 v43, 7, v2
	v_lshrrev_b32_e32 v2, 3, v3
	s_mov_b32 s52, exec_lo
	v_cmpx_gt_u32_e32 8, v3
; %bb.158:                              ;   in Loop: Header=BB209_13 Depth=1
	v_ffbh_u32_e32 v2, v43
	v_min_u32_e32 v2, 32, v2
	v_subrev_nc_u32_e32 v3, 28, v2
	v_sub_nc_u32_e32 v2, 29, v2
	v_lshlrev_b64 v[3:4], v3, v[43:44]
	v_and_b32_e32 v43, 7, v3
; %bb.159:                              ;   in Loop: Header=BB209_13 Depth=1
	s_or_b32 exec_lo, exec_lo, s52
	v_lshlrev_b32_e32 v1, 16, v1
	v_lshlrev_b32_e32 v3, 20, v43
	v_lshl_add_u32 v2, v2, 23, 0x3c000000
	v_mov_b32_e32 v89, v44
	v_and_b32_e32 v1, 0x80000000, v1
	v_or3_b32 v90, v3, v1, v2
.LBB209_160:                            ;   in Loop: Header=BB209_13 Depth=1
	s_or_b32 exec_lo, exec_lo, s51
.LBB209_161:                            ;   in Loop: Header=BB209_13 Depth=1
	s_or_b32 exec_lo, exec_lo, s50
.LBB209_162:                            ;   in Loop: Header=BB209_13 Depth=1
	s_or_b32 exec_lo, exec_lo, s49
	global_load_ushort v2, v[61:62], off offset:516
	v_mov_b32_e32 v93, 0
	v_mov_b32_e32 v91, 0
	;; [unrolled: 1-line block ×4, first 2 shown]
	s_waitcnt vmcnt(0)
	v_and_b32_e32 v1, 0xffff, v2
	v_cmp_ne_u16_sdwa s2, v2, v44 src0_sel:BYTE_0 src1_sel:DWORD
	s_and_saveexec_b32 s49, s2
	s_cbranch_execz .LBB209_170
; %bb.163:                              ;   in Loop: Header=BB209_13 Depth=1
	v_bfrev_b32_e32 v91, 1
	v_mov_b32_e32 v92, 0
	v_cmp_ne_u16_sdwa s2, v1, v54 src0_sel:BYTE_0 src1_sel:DWORD
	s_and_saveexec_b32 s50, s2
	s_cbranch_execz .LBB209_169
; %bb.164:                              ;   in Loop: Header=BB209_13 Depth=1
	v_mov_b32_e32 v91, 0x7f800001
	v_and_b32_e32 v3, 0x7f, v1
	v_mov_b32_e32 v92, 0
	s_mov_b32 s51, exec_lo
	v_cmpx_ne_u32_e32 0x7f, v3
	s_cbranch_execz .LBB209_168
; %bb.165:                              ;   in Loop: Header=BB209_13 Depth=1
	v_and_b32_e32 v43, 7, v1
	v_lshrrev_b32_e32 v2, 3, v3
	s_mov_b32 s52, exec_lo
	v_cmpx_gt_u32_e32 8, v3
; %bb.166:                              ;   in Loop: Header=BB209_13 Depth=1
	v_ffbh_u32_e32 v2, v43
	v_min_u32_e32 v2, 32, v2
	v_subrev_nc_u32_e32 v3, 28, v2
	v_sub_nc_u32_e32 v2, 29, v2
	v_lshlrev_b64 v[3:4], v3, v[43:44]
	v_and_b32_e32 v43, 7, v3
; %bb.167:                              ;   in Loop: Header=BB209_13 Depth=1
	s_or_b32 exec_lo, exec_lo, s52
	v_lshlrev_b32_e32 v3, 24, v1
	v_lshlrev_b32_e32 v4, 20, v43
	v_lshl_add_u32 v2, v2, 23, 0x3c000000
	v_and_b32_e32 v3, 0x80000000, v3
	v_or3_b32 v43, v4, v3, v2
	v_mov_b32_e32 v92, v44
	v_mov_b32_e32 v91, v43
.LBB209_168:                            ;   in Loop: Header=BB209_13 Depth=1
	s_or_b32 exec_lo, exec_lo, s51
.LBB209_169:                            ;   in Loop: Header=BB209_13 Depth=1
	s_or_b32 exec_lo, exec_lo, s50
.LBB209_170:                            ;   in Loop: Header=BB209_13 Depth=1
	s_or_b32 exec_lo, exec_lo, s49
	v_cmp_ne_u16_sdwa s2, v1, v44 src0_sel:BYTE_1 src1_sel:DWORD
	s_and_saveexec_b32 s49, s2
	s_cbranch_execz .LBB209_178
; %bb.171:                              ;   in Loop: Header=BB209_13 Depth=1
	v_mov_b32_e32 v55, v44
	v_mov_b32_e32 v94, v56
	v_cmp_ne_u16_sdwa s2, v1, v54 src0_sel:BYTE_1 src1_sel:DWORD
	v_mov_b32_e32 v93, v55
	s_and_saveexec_b32 s50, s2
	s_cbranch_execz .LBB209_177
; %bb.172:                              ;   in Loop: Header=BB209_13 Depth=1
	v_mov_b32_e32 v2, 0xffff
	v_mov_b32_e32 v59, v44
	;; [unrolled: 1-line block ×3, first 2 shown]
	s_mov_b32 s51, exec_lo
	v_and_b32_sdwa v2, v2, v1 dst_sel:DWORD dst_unused:UNUSED_PAD src0_sel:DWORD src1_sel:BYTE_1
	v_mov_b32_e32 v93, v59
	v_and_b32_e32 v3, 0x7f, v2
	v_cmpx_ne_u32_e32 0x7f, v3
	s_cbranch_execz .LBB209_176
; %bb.173:                              ;   in Loop: Header=BB209_13 Depth=1
	v_and_b32_e32 v43, 7, v2
	v_lshrrev_b32_e32 v2, 3, v3
	s_mov_b32 s52, exec_lo
	v_cmpx_gt_u32_e32 8, v3
; %bb.174:                              ;   in Loop: Header=BB209_13 Depth=1
	v_ffbh_u32_e32 v2, v43
	v_min_u32_e32 v2, 32, v2
	v_subrev_nc_u32_e32 v3, 28, v2
	v_sub_nc_u32_e32 v2, 29, v2
	v_lshlrev_b64 v[3:4], v3, v[43:44]
	v_and_b32_e32 v43, 7, v3
; %bb.175:                              ;   in Loop: Header=BB209_13 Depth=1
	s_or_b32 exec_lo, exec_lo, s52
	v_lshlrev_b32_e32 v1, 16, v1
	v_lshlrev_b32_e32 v3, 20, v43
	v_lshl_add_u32 v2, v2, 23, 0x3c000000
	v_mov_b32_e32 v93, v44
	v_and_b32_e32 v1, 0x80000000, v1
	v_or3_b32 v94, v3, v1, v2
.LBB209_176:                            ;   in Loop: Header=BB209_13 Depth=1
	s_or_b32 exec_lo, exec_lo, s51
.LBB209_177:                            ;   in Loop: Header=BB209_13 Depth=1
	s_or_b32 exec_lo, exec_lo, s50
.LBB209_178:                            ;   in Loop: Header=BB209_13 Depth=1
	s_or_b32 exec_lo, exec_lo, s49
	global_load_ushort v2, v[61:62], off offset:520
	v_mov_b32_e32 v97, 0
	v_mov_b32_e32 v95, 0
	;; [unrolled: 1-line block ×4, first 2 shown]
	s_waitcnt vmcnt(0)
	v_and_b32_e32 v1, 0xffff, v2
	v_cmp_ne_u16_sdwa s2, v2, v44 src0_sel:BYTE_0 src1_sel:DWORD
	s_and_saveexec_b32 s49, s2
	s_cbranch_execz .LBB209_186
; %bb.179:                              ;   in Loop: Header=BB209_13 Depth=1
	v_bfrev_b32_e32 v95, 1
	v_mov_b32_e32 v96, 0
	v_cmp_ne_u16_sdwa s2, v1, v54 src0_sel:BYTE_0 src1_sel:DWORD
	s_and_saveexec_b32 s50, s2
	s_cbranch_execz .LBB209_185
; %bb.180:                              ;   in Loop: Header=BB209_13 Depth=1
	v_mov_b32_e32 v95, 0x7f800001
	v_and_b32_e32 v3, 0x7f, v1
	v_mov_b32_e32 v96, 0
	s_mov_b32 s51, exec_lo
	v_cmpx_ne_u32_e32 0x7f, v3
	s_cbranch_execz .LBB209_184
; %bb.181:                              ;   in Loop: Header=BB209_13 Depth=1
	v_and_b32_e32 v43, 7, v1
	v_lshrrev_b32_e32 v2, 3, v3
	s_mov_b32 s52, exec_lo
	v_cmpx_gt_u32_e32 8, v3
; %bb.182:                              ;   in Loop: Header=BB209_13 Depth=1
	v_ffbh_u32_e32 v2, v43
	v_min_u32_e32 v2, 32, v2
	v_subrev_nc_u32_e32 v3, 28, v2
	v_sub_nc_u32_e32 v2, 29, v2
	v_lshlrev_b64 v[3:4], v3, v[43:44]
	v_and_b32_e32 v43, 7, v3
; %bb.183:                              ;   in Loop: Header=BB209_13 Depth=1
	s_or_b32 exec_lo, exec_lo, s52
	v_lshlrev_b32_e32 v3, 24, v1
	v_lshlrev_b32_e32 v4, 20, v43
	v_lshl_add_u32 v2, v2, 23, 0x3c000000
	v_and_b32_e32 v3, 0x80000000, v3
	v_or3_b32 v43, v4, v3, v2
	v_mov_b32_e32 v96, v44
	v_mov_b32_e32 v95, v43
.LBB209_184:                            ;   in Loop: Header=BB209_13 Depth=1
	s_or_b32 exec_lo, exec_lo, s51
.LBB209_185:                            ;   in Loop: Header=BB209_13 Depth=1
	s_or_b32 exec_lo, exec_lo, s50
.LBB209_186:                            ;   in Loop: Header=BB209_13 Depth=1
	s_or_b32 exec_lo, exec_lo, s49
	v_cmp_ne_u16_sdwa s2, v1, v44 src0_sel:BYTE_1 src1_sel:DWORD
	s_and_saveexec_b32 s49, s2
	s_cbranch_execz .LBB209_194
; %bb.187:                              ;   in Loop: Header=BB209_13 Depth=1
	v_mov_b32_e32 v55, v44
	v_mov_b32_e32 v98, v56
	v_cmp_ne_u16_sdwa s2, v1, v54 src0_sel:BYTE_1 src1_sel:DWORD
	v_mov_b32_e32 v97, v55
	s_and_saveexec_b32 s50, s2
	s_cbranch_execz .LBB209_193
; %bb.188:                              ;   in Loop: Header=BB209_13 Depth=1
	v_mov_b32_e32 v2, 0xffff
	v_mov_b32_e32 v59, v44
	v_mov_b32_e32 v98, v60
	s_mov_b32 s51, exec_lo
	v_and_b32_sdwa v2, v2, v1 dst_sel:DWORD dst_unused:UNUSED_PAD src0_sel:DWORD src1_sel:BYTE_1
	v_mov_b32_e32 v97, v59
	v_and_b32_e32 v3, 0x7f, v2
	v_cmpx_ne_u32_e32 0x7f, v3
	s_cbranch_execz .LBB209_192
; %bb.189:                              ;   in Loop: Header=BB209_13 Depth=1
	v_and_b32_e32 v43, 7, v2
	v_lshrrev_b32_e32 v2, 3, v3
	s_mov_b32 s52, exec_lo
	v_cmpx_gt_u32_e32 8, v3
; %bb.190:                              ;   in Loop: Header=BB209_13 Depth=1
	v_ffbh_u32_e32 v2, v43
	v_min_u32_e32 v2, 32, v2
	v_subrev_nc_u32_e32 v3, 28, v2
	v_sub_nc_u32_e32 v2, 29, v2
	v_lshlrev_b64 v[3:4], v3, v[43:44]
	v_and_b32_e32 v43, 7, v3
; %bb.191:                              ;   in Loop: Header=BB209_13 Depth=1
	s_or_b32 exec_lo, exec_lo, s52
	v_lshlrev_b32_e32 v1, 16, v1
	v_lshlrev_b32_e32 v3, 20, v43
	v_lshl_add_u32 v2, v2, 23, 0x3c000000
	v_mov_b32_e32 v97, v44
	v_and_b32_e32 v1, 0x80000000, v1
	v_or3_b32 v98, v3, v1, v2
.LBB209_192:                            ;   in Loop: Header=BB209_13 Depth=1
	s_or_b32 exec_lo, exec_lo, s51
.LBB209_193:                            ;   in Loop: Header=BB209_13 Depth=1
	s_or_b32 exec_lo, exec_lo, s50
.LBB209_194:                            ;   in Loop: Header=BB209_13 Depth=1
	s_or_b32 exec_lo, exec_lo, s49
	global_load_ushort v2, v[61:62], off offset:524
	v_mov_b32_e32 v101, 0
	v_mov_b32_e32 v99, 0
	;; [unrolled: 1-line block ×4, first 2 shown]
	s_waitcnt vmcnt(0)
	v_and_b32_e32 v1, 0xffff, v2
	v_cmp_ne_u16_sdwa s2, v2, v44 src0_sel:BYTE_0 src1_sel:DWORD
	s_and_saveexec_b32 s49, s2
	s_cbranch_execz .LBB209_202
; %bb.195:                              ;   in Loop: Header=BB209_13 Depth=1
	v_bfrev_b32_e32 v99, 1
	v_mov_b32_e32 v100, 0
	v_cmp_ne_u16_sdwa s2, v1, v54 src0_sel:BYTE_0 src1_sel:DWORD
	s_and_saveexec_b32 s50, s2
	s_cbranch_execz .LBB209_201
; %bb.196:                              ;   in Loop: Header=BB209_13 Depth=1
	v_mov_b32_e32 v99, 0x7f800001
	v_and_b32_e32 v3, 0x7f, v1
	v_mov_b32_e32 v100, 0
	s_mov_b32 s51, exec_lo
	v_cmpx_ne_u32_e32 0x7f, v3
	s_cbranch_execz .LBB209_200
; %bb.197:                              ;   in Loop: Header=BB209_13 Depth=1
	v_and_b32_e32 v43, 7, v1
	v_lshrrev_b32_e32 v2, 3, v3
	s_mov_b32 s52, exec_lo
	v_cmpx_gt_u32_e32 8, v3
; %bb.198:                              ;   in Loop: Header=BB209_13 Depth=1
	v_ffbh_u32_e32 v2, v43
	v_min_u32_e32 v2, 32, v2
	v_subrev_nc_u32_e32 v3, 28, v2
	v_sub_nc_u32_e32 v2, 29, v2
	v_lshlrev_b64 v[3:4], v3, v[43:44]
	v_and_b32_e32 v43, 7, v3
; %bb.199:                              ;   in Loop: Header=BB209_13 Depth=1
	s_or_b32 exec_lo, exec_lo, s52
	v_lshlrev_b32_e32 v3, 24, v1
	v_lshlrev_b32_e32 v4, 20, v43
	v_lshl_add_u32 v2, v2, 23, 0x3c000000
	v_and_b32_e32 v3, 0x80000000, v3
	v_or3_b32 v43, v4, v3, v2
	v_mov_b32_e32 v100, v44
	v_mov_b32_e32 v99, v43
.LBB209_200:                            ;   in Loop: Header=BB209_13 Depth=1
	s_or_b32 exec_lo, exec_lo, s51
.LBB209_201:                            ;   in Loop: Header=BB209_13 Depth=1
	s_or_b32 exec_lo, exec_lo, s50
.LBB209_202:                            ;   in Loop: Header=BB209_13 Depth=1
	s_or_b32 exec_lo, exec_lo, s49
	v_cmp_ne_u16_sdwa s2, v1, v44 src0_sel:BYTE_1 src1_sel:DWORD
	s_and_saveexec_b32 s49, s2
	s_cbranch_execz .LBB209_210
; %bb.203:                              ;   in Loop: Header=BB209_13 Depth=1
	v_mov_b32_e32 v55, v44
	v_mov_b32_e32 v102, v56
	v_cmp_ne_u16_sdwa s2, v1, v54 src0_sel:BYTE_1 src1_sel:DWORD
	v_mov_b32_e32 v101, v55
	s_and_saveexec_b32 s50, s2
	s_cbranch_execz .LBB209_209
; %bb.204:                              ;   in Loop: Header=BB209_13 Depth=1
	v_mov_b32_e32 v2, 0xffff
	v_mov_b32_e32 v59, v44
	;; [unrolled: 1-line block ×3, first 2 shown]
	s_mov_b32 s51, exec_lo
	v_and_b32_sdwa v2, v2, v1 dst_sel:DWORD dst_unused:UNUSED_PAD src0_sel:DWORD src1_sel:BYTE_1
	v_mov_b32_e32 v101, v59
	v_and_b32_e32 v3, 0x7f, v2
	v_cmpx_ne_u32_e32 0x7f, v3
	s_cbranch_execz .LBB209_208
; %bb.205:                              ;   in Loop: Header=BB209_13 Depth=1
	v_and_b32_e32 v43, 7, v2
	v_lshrrev_b32_e32 v2, 3, v3
	s_mov_b32 s52, exec_lo
	v_cmpx_gt_u32_e32 8, v3
; %bb.206:                              ;   in Loop: Header=BB209_13 Depth=1
	v_ffbh_u32_e32 v2, v43
	v_min_u32_e32 v2, 32, v2
	v_subrev_nc_u32_e32 v3, 28, v2
	v_sub_nc_u32_e32 v2, 29, v2
	v_lshlrev_b64 v[3:4], v3, v[43:44]
	v_and_b32_e32 v43, 7, v3
; %bb.207:                              ;   in Loop: Header=BB209_13 Depth=1
	s_or_b32 exec_lo, exec_lo, s52
	v_lshlrev_b32_e32 v1, 16, v1
	v_lshlrev_b32_e32 v3, 20, v43
	v_lshl_add_u32 v2, v2, 23, 0x3c000000
	v_mov_b32_e32 v101, v44
	v_and_b32_e32 v1, 0x80000000, v1
	v_or3_b32 v102, v3, v1, v2
.LBB209_208:                            ;   in Loop: Header=BB209_13 Depth=1
	s_or_b32 exec_lo, exec_lo, s51
.LBB209_209:                            ;   in Loop: Header=BB209_13 Depth=1
	s_or_b32 exec_lo, exec_lo, s50
.LBB209_210:                            ;   in Loop: Header=BB209_13 Depth=1
	s_or_b32 exec_lo, exec_lo, s49
	global_load_ushort v2, v[61:62], off offset:768
	v_mov_b32_e32 v105, 0
	v_mov_b32_e32 v103, 0
	;; [unrolled: 1-line block ×4, first 2 shown]
	s_waitcnt vmcnt(0)
	v_and_b32_e32 v1, 0xffff, v2
	v_cmp_ne_u16_sdwa s2, v2, v44 src0_sel:BYTE_0 src1_sel:DWORD
	s_and_saveexec_b32 s49, s2
	s_cbranch_execz .LBB209_218
; %bb.211:                              ;   in Loop: Header=BB209_13 Depth=1
	v_bfrev_b32_e32 v103, 1
	v_mov_b32_e32 v104, 0
	v_cmp_ne_u16_sdwa s2, v1, v54 src0_sel:BYTE_0 src1_sel:DWORD
	s_and_saveexec_b32 s50, s2
	s_cbranch_execz .LBB209_217
; %bb.212:                              ;   in Loop: Header=BB209_13 Depth=1
	v_mov_b32_e32 v103, 0x7f800001
	v_and_b32_e32 v3, 0x7f, v1
	v_mov_b32_e32 v104, 0
	s_mov_b32 s51, exec_lo
	v_cmpx_ne_u32_e32 0x7f, v3
	s_cbranch_execz .LBB209_216
; %bb.213:                              ;   in Loop: Header=BB209_13 Depth=1
	v_and_b32_e32 v43, 7, v1
	v_lshrrev_b32_e32 v2, 3, v3
	s_mov_b32 s52, exec_lo
	v_cmpx_gt_u32_e32 8, v3
; %bb.214:                              ;   in Loop: Header=BB209_13 Depth=1
	v_ffbh_u32_e32 v2, v43
	v_min_u32_e32 v2, 32, v2
	v_subrev_nc_u32_e32 v3, 28, v2
	v_sub_nc_u32_e32 v2, 29, v2
	v_lshlrev_b64 v[3:4], v3, v[43:44]
	v_and_b32_e32 v43, 7, v3
; %bb.215:                              ;   in Loop: Header=BB209_13 Depth=1
	s_or_b32 exec_lo, exec_lo, s52
	v_lshlrev_b32_e32 v3, 24, v1
	v_lshlrev_b32_e32 v4, 20, v43
	v_lshl_add_u32 v2, v2, 23, 0x3c000000
	v_and_b32_e32 v3, 0x80000000, v3
	v_or3_b32 v43, v4, v3, v2
	v_mov_b32_e32 v104, v44
	v_mov_b32_e32 v103, v43
.LBB209_216:                            ;   in Loop: Header=BB209_13 Depth=1
	s_or_b32 exec_lo, exec_lo, s51
.LBB209_217:                            ;   in Loop: Header=BB209_13 Depth=1
	s_or_b32 exec_lo, exec_lo, s50
.LBB209_218:                            ;   in Loop: Header=BB209_13 Depth=1
	s_or_b32 exec_lo, exec_lo, s49
	v_cmp_ne_u16_sdwa s2, v1, v44 src0_sel:BYTE_1 src1_sel:DWORD
	s_and_saveexec_b32 s49, s2
	s_cbranch_execz .LBB209_226
; %bb.219:                              ;   in Loop: Header=BB209_13 Depth=1
	v_mov_b32_e32 v55, v44
	v_mov_b32_e32 v106, v56
	v_cmp_ne_u16_sdwa s2, v1, v54 src0_sel:BYTE_1 src1_sel:DWORD
	v_mov_b32_e32 v105, v55
	s_and_saveexec_b32 s50, s2
	s_cbranch_execz .LBB209_225
; %bb.220:                              ;   in Loop: Header=BB209_13 Depth=1
	v_mov_b32_e32 v2, 0xffff
	v_mov_b32_e32 v59, v44
	;; [unrolled: 1-line block ×3, first 2 shown]
	s_mov_b32 s51, exec_lo
	v_and_b32_sdwa v2, v2, v1 dst_sel:DWORD dst_unused:UNUSED_PAD src0_sel:DWORD src1_sel:BYTE_1
	v_mov_b32_e32 v105, v59
	v_and_b32_e32 v3, 0x7f, v2
	v_cmpx_ne_u32_e32 0x7f, v3
	s_cbranch_execz .LBB209_224
; %bb.221:                              ;   in Loop: Header=BB209_13 Depth=1
	v_and_b32_e32 v43, 7, v2
	v_lshrrev_b32_e32 v2, 3, v3
	s_mov_b32 s52, exec_lo
	v_cmpx_gt_u32_e32 8, v3
; %bb.222:                              ;   in Loop: Header=BB209_13 Depth=1
	v_ffbh_u32_e32 v2, v43
	v_min_u32_e32 v2, 32, v2
	v_subrev_nc_u32_e32 v3, 28, v2
	v_sub_nc_u32_e32 v2, 29, v2
	v_lshlrev_b64 v[3:4], v3, v[43:44]
	v_and_b32_e32 v43, 7, v3
; %bb.223:                              ;   in Loop: Header=BB209_13 Depth=1
	s_or_b32 exec_lo, exec_lo, s52
	v_lshlrev_b32_e32 v1, 16, v1
	v_lshlrev_b32_e32 v3, 20, v43
	v_lshl_add_u32 v2, v2, 23, 0x3c000000
	v_mov_b32_e32 v105, v44
	v_and_b32_e32 v1, 0x80000000, v1
	v_or3_b32 v106, v3, v1, v2
.LBB209_224:                            ;   in Loop: Header=BB209_13 Depth=1
	s_or_b32 exec_lo, exec_lo, s51
.LBB209_225:                            ;   in Loop: Header=BB209_13 Depth=1
	s_or_b32 exec_lo, exec_lo, s50
.LBB209_226:                            ;   in Loop: Header=BB209_13 Depth=1
	s_or_b32 exec_lo, exec_lo, s49
	global_load_ushort v2, v[61:62], off offset:772
	v_mov_b32_e32 v109, 0
	v_mov_b32_e32 v107, 0
	;; [unrolled: 1-line block ×4, first 2 shown]
	s_waitcnt vmcnt(0)
	v_and_b32_e32 v1, 0xffff, v2
	v_cmp_ne_u16_sdwa s2, v2, v44 src0_sel:BYTE_0 src1_sel:DWORD
	s_and_saveexec_b32 s49, s2
	s_cbranch_execz .LBB209_234
; %bb.227:                              ;   in Loop: Header=BB209_13 Depth=1
	v_bfrev_b32_e32 v107, 1
	v_mov_b32_e32 v108, 0
	v_cmp_ne_u16_sdwa s2, v1, v54 src0_sel:BYTE_0 src1_sel:DWORD
	s_and_saveexec_b32 s50, s2
	s_cbranch_execz .LBB209_233
; %bb.228:                              ;   in Loop: Header=BB209_13 Depth=1
	v_mov_b32_e32 v107, 0x7f800001
	v_and_b32_e32 v3, 0x7f, v1
	v_mov_b32_e32 v108, 0
	s_mov_b32 s51, exec_lo
	v_cmpx_ne_u32_e32 0x7f, v3
	s_cbranch_execz .LBB209_232
; %bb.229:                              ;   in Loop: Header=BB209_13 Depth=1
	v_and_b32_e32 v43, 7, v1
	v_lshrrev_b32_e32 v2, 3, v3
	s_mov_b32 s52, exec_lo
	v_cmpx_gt_u32_e32 8, v3
; %bb.230:                              ;   in Loop: Header=BB209_13 Depth=1
	v_ffbh_u32_e32 v2, v43
	v_min_u32_e32 v2, 32, v2
	v_subrev_nc_u32_e32 v3, 28, v2
	v_sub_nc_u32_e32 v2, 29, v2
	v_lshlrev_b64 v[3:4], v3, v[43:44]
	v_and_b32_e32 v43, 7, v3
; %bb.231:                              ;   in Loop: Header=BB209_13 Depth=1
	s_or_b32 exec_lo, exec_lo, s52
	v_lshlrev_b32_e32 v3, 24, v1
	v_lshlrev_b32_e32 v4, 20, v43
	v_lshl_add_u32 v2, v2, 23, 0x3c000000
	v_and_b32_e32 v3, 0x80000000, v3
	v_or3_b32 v43, v4, v3, v2
	v_mov_b32_e32 v108, v44
	v_mov_b32_e32 v107, v43
.LBB209_232:                            ;   in Loop: Header=BB209_13 Depth=1
	s_or_b32 exec_lo, exec_lo, s51
.LBB209_233:                            ;   in Loop: Header=BB209_13 Depth=1
	s_or_b32 exec_lo, exec_lo, s50
.LBB209_234:                            ;   in Loop: Header=BB209_13 Depth=1
	s_or_b32 exec_lo, exec_lo, s49
	v_cmp_ne_u16_sdwa s2, v1, v44 src0_sel:BYTE_1 src1_sel:DWORD
	s_and_saveexec_b32 s49, s2
	s_cbranch_execz .LBB209_242
; %bb.235:                              ;   in Loop: Header=BB209_13 Depth=1
	v_mov_b32_e32 v55, v44
	v_mov_b32_e32 v110, v56
	v_cmp_ne_u16_sdwa s2, v1, v54 src0_sel:BYTE_1 src1_sel:DWORD
	v_mov_b32_e32 v109, v55
	s_and_saveexec_b32 s50, s2
	s_cbranch_execz .LBB209_241
; %bb.236:                              ;   in Loop: Header=BB209_13 Depth=1
	v_mov_b32_e32 v2, 0xffff
	v_mov_b32_e32 v59, v44
	;; [unrolled: 1-line block ×3, first 2 shown]
	s_mov_b32 s51, exec_lo
	v_and_b32_sdwa v2, v2, v1 dst_sel:DWORD dst_unused:UNUSED_PAD src0_sel:DWORD src1_sel:BYTE_1
	v_mov_b32_e32 v109, v59
	v_and_b32_e32 v3, 0x7f, v2
	v_cmpx_ne_u32_e32 0x7f, v3
	s_cbranch_execz .LBB209_240
; %bb.237:                              ;   in Loop: Header=BB209_13 Depth=1
	v_and_b32_e32 v43, 7, v2
	v_lshrrev_b32_e32 v2, 3, v3
	s_mov_b32 s52, exec_lo
	v_cmpx_gt_u32_e32 8, v3
; %bb.238:                              ;   in Loop: Header=BB209_13 Depth=1
	v_ffbh_u32_e32 v2, v43
	v_min_u32_e32 v2, 32, v2
	v_subrev_nc_u32_e32 v3, 28, v2
	v_sub_nc_u32_e32 v2, 29, v2
	v_lshlrev_b64 v[3:4], v3, v[43:44]
	v_and_b32_e32 v43, 7, v3
; %bb.239:                              ;   in Loop: Header=BB209_13 Depth=1
	s_or_b32 exec_lo, exec_lo, s52
	v_lshlrev_b32_e32 v1, 16, v1
	v_lshlrev_b32_e32 v3, 20, v43
	v_lshl_add_u32 v2, v2, 23, 0x3c000000
	v_mov_b32_e32 v109, v44
	v_and_b32_e32 v1, 0x80000000, v1
	v_or3_b32 v110, v3, v1, v2
.LBB209_240:                            ;   in Loop: Header=BB209_13 Depth=1
	s_or_b32 exec_lo, exec_lo, s51
.LBB209_241:                            ;   in Loop: Header=BB209_13 Depth=1
	s_or_b32 exec_lo, exec_lo, s50
.LBB209_242:                            ;   in Loop: Header=BB209_13 Depth=1
	s_or_b32 exec_lo, exec_lo, s49
	global_load_ushort v1, v[61:62], off offset:776
	v_mov_b32_e32 v113, 0
	v_mov_b32_e32 v111, 0
	v_mov_b32_e32 v114, 0
	v_mov_b32_e32 v112, 0
	s_waitcnt vmcnt(0)
	v_and_b32_e32 v45, 0xffff, v1
	v_cmp_ne_u16_sdwa s2, v1, v44 src0_sel:BYTE_0 src1_sel:DWORD
	s_and_saveexec_b32 s49, s2
	s_cbranch_execz .LBB209_250
; %bb.243:                              ;   in Loop: Header=BB209_13 Depth=1
	v_bfrev_b32_e32 v111, 1
	v_mov_b32_e32 v112, 0
	v_cmp_ne_u16_sdwa s2, v45, v54 src0_sel:BYTE_0 src1_sel:DWORD
	s_and_saveexec_b32 s50, s2
	s_cbranch_execz .LBB209_249
; %bb.244:                              ;   in Loop: Header=BB209_13 Depth=1
	v_mov_b32_e32 v111, 0x7f800001
	v_and_b32_e32 v2, 0x7f, v45
	v_mov_b32_e32 v112, 0
	s_mov_b32 s51, exec_lo
	v_cmpx_ne_u32_e32 0x7f, v2
	s_cbranch_execz .LBB209_248
; %bb.245:                              ;   in Loop: Header=BB209_13 Depth=1
	v_and_b32_e32 v43, 7, v45
	v_lshrrev_b32_e32 v1, 3, v2
	s_mov_b32 s52, exec_lo
	v_cmpx_gt_u32_e32 8, v2
; %bb.246:                              ;   in Loop: Header=BB209_13 Depth=1
	v_ffbh_u32_e32 v1, v43
	v_min_u32_e32 v1, 32, v1
	v_subrev_nc_u32_e32 v2, 28, v1
	v_sub_nc_u32_e32 v1, 29, v1
	v_lshlrev_b64 v[2:3], v2, v[43:44]
	v_and_b32_e32 v43, 7, v2
; %bb.247:                              ;   in Loop: Header=BB209_13 Depth=1
	s_or_b32 exec_lo, exec_lo, s52
	v_lshlrev_b32_e32 v2, 24, v45
	v_lshlrev_b32_e32 v3, 20, v43
	v_lshl_add_u32 v1, v1, 23, 0x3c000000
	v_and_b32_e32 v2, 0x80000000, v2
	v_or3_b32 v43, v3, v2, v1
	v_mov_b32_e32 v112, v44
	v_mov_b32_e32 v111, v43
.LBB209_248:                            ;   in Loop: Header=BB209_13 Depth=1
	s_or_b32 exec_lo, exec_lo, s51
.LBB209_249:                            ;   in Loop: Header=BB209_13 Depth=1
	s_or_b32 exec_lo, exec_lo, s50
.LBB209_250:                            ;   in Loop: Header=BB209_13 Depth=1
	s_or_b32 exec_lo, exec_lo, s49
	v_cmp_ne_u16_sdwa s2, v45, v44 src0_sel:BYTE_1 src1_sel:DWORD
	s_and_saveexec_b32 s49, s2
	s_cbranch_execz .LBB209_258
; %bb.251:                              ;   in Loop: Header=BB209_13 Depth=1
	v_mov_b32_e32 v55, v44
	v_mov_b32_e32 v114, v56
	v_cmp_ne_u16_sdwa s2, v45, v54 src0_sel:BYTE_1 src1_sel:DWORD
	v_mov_b32_e32 v113, v55
	s_and_saveexec_b32 s50, s2
	s_cbranch_execz .LBB209_257
; %bb.252:                              ;   in Loop: Header=BB209_13 Depth=1
	v_mov_b32_e32 v1, 0xffff
	v_mov_b32_e32 v59, v44
	;; [unrolled: 1-line block ×3, first 2 shown]
	s_mov_b32 s51, exec_lo
	v_and_b32_sdwa v1, v1, v45 dst_sel:DWORD dst_unused:UNUSED_PAD src0_sel:DWORD src1_sel:BYTE_1
	v_mov_b32_e32 v113, v59
	v_and_b32_e32 v2, 0x7f, v1
	v_cmpx_ne_u32_e32 0x7f, v2
	s_cbranch_execz .LBB209_256
; %bb.253:                              ;   in Loop: Header=BB209_13 Depth=1
	v_and_b32_e32 v43, 7, v1
	v_lshrrev_b32_e32 v1, 3, v2
	s_mov_b32 s52, exec_lo
	v_cmpx_gt_u32_e32 8, v2
; %bb.254:                              ;   in Loop: Header=BB209_13 Depth=1
	v_ffbh_u32_e32 v1, v43
	v_min_u32_e32 v1, 32, v1
	v_subrev_nc_u32_e32 v2, 28, v1
	v_sub_nc_u32_e32 v1, 29, v1
	v_lshlrev_b64 v[2:3], v2, v[43:44]
	v_and_b32_e32 v43, 7, v2
; %bb.255:                              ;   in Loop: Header=BB209_13 Depth=1
	s_or_b32 exec_lo, exec_lo, s52
	v_lshlrev_b32_e32 v2, 16, v45
	v_lshlrev_b32_e32 v3, 20, v43
	v_lshl_add_u32 v1, v1, 23, 0x3c000000
	v_mov_b32_e32 v113, v44
	v_and_b32_e32 v2, 0x80000000, v2
	v_or3_b32 v114, v3, v2, v1
.LBB209_256:                            ;   in Loop: Header=BB209_13 Depth=1
	s_or_b32 exec_lo, exec_lo, s51
.LBB209_257:                            ;   in Loop: Header=BB209_13 Depth=1
	s_or_b32 exec_lo, exec_lo, s50
.LBB209_258:                            ;   in Loop: Header=BB209_13 Depth=1
	s_or_b32 exec_lo, exec_lo, s49
	global_load_ushort v1, v[61:62], off offset:780
	v_mov_b32_e32 v117, 0
	v_mov_b32_e32 v115, 0
	;; [unrolled: 1-line block ×4, first 2 shown]
	s_waitcnt vmcnt(0)
	v_and_b32_e32 v45, 0xffff, v1
	v_cmp_ne_u16_sdwa s2, v1, v44 src0_sel:BYTE_0 src1_sel:DWORD
	s_and_saveexec_b32 s49, s2
	s_cbranch_execz .LBB209_266
; %bb.259:                              ;   in Loop: Header=BB209_13 Depth=1
	v_bfrev_b32_e32 v115, 1
	v_mov_b32_e32 v116, 0
	v_cmp_ne_u16_sdwa s2, v45, v54 src0_sel:BYTE_0 src1_sel:DWORD
	s_and_saveexec_b32 s50, s2
	s_cbranch_execz .LBB209_265
; %bb.260:                              ;   in Loop: Header=BB209_13 Depth=1
	v_mov_b32_e32 v115, 0x7f800001
	v_and_b32_e32 v2, 0x7f, v45
	v_mov_b32_e32 v116, 0
	s_mov_b32 s51, exec_lo
	v_cmpx_ne_u32_e32 0x7f, v2
	s_cbranch_execz .LBB209_264
; %bb.261:                              ;   in Loop: Header=BB209_13 Depth=1
	v_and_b32_e32 v43, 7, v45
	v_lshrrev_b32_e32 v1, 3, v2
	s_mov_b32 s52, exec_lo
	v_cmpx_gt_u32_e32 8, v2
; %bb.262:                              ;   in Loop: Header=BB209_13 Depth=1
	v_ffbh_u32_e32 v1, v43
	v_min_u32_e32 v1, 32, v1
	v_subrev_nc_u32_e32 v2, 28, v1
	v_sub_nc_u32_e32 v1, 29, v1
	v_lshlrev_b64 v[2:3], v2, v[43:44]
	v_and_b32_e32 v43, 7, v2
; %bb.263:                              ;   in Loop: Header=BB209_13 Depth=1
	s_or_b32 exec_lo, exec_lo, s52
	v_lshlrev_b32_e32 v2, 24, v45
	v_lshlrev_b32_e32 v3, 20, v43
	v_lshl_add_u32 v1, v1, 23, 0x3c000000
	v_and_b32_e32 v2, 0x80000000, v2
	v_or3_b32 v43, v3, v2, v1
	v_mov_b32_e32 v116, v44
	v_mov_b32_e32 v115, v43
.LBB209_264:                            ;   in Loop: Header=BB209_13 Depth=1
	s_or_b32 exec_lo, exec_lo, s51
.LBB209_265:                            ;   in Loop: Header=BB209_13 Depth=1
	s_or_b32 exec_lo, exec_lo, s50
.LBB209_266:                            ;   in Loop: Header=BB209_13 Depth=1
	s_or_b32 exec_lo, exec_lo, s49
	v_cmp_ne_u16_sdwa s2, v45, v44 src0_sel:BYTE_1 src1_sel:DWORD
	s_and_saveexec_b32 s49, s2
	s_cbranch_execz .LBB209_274
; %bb.267:                              ;   in Loop: Header=BB209_13 Depth=1
	v_mov_b32_e32 v55, v44
	v_mov_b32_e32 v118, v56
	v_cmp_ne_u16_sdwa s2, v45, v54 src0_sel:BYTE_1 src1_sel:DWORD
	v_mov_b32_e32 v117, v55
	s_and_saveexec_b32 s50, s2
	s_cbranch_execz .LBB209_273
; %bb.268:                              ;   in Loop: Header=BB209_13 Depth=1
	v_mov_b32_e32 v1, 0xffff
	v_mov_b32_e32 v59, v44
	;; [unrolled: 1-line block ×3, first 2 shown]
	s_mov_b32 s51, exec_lo
	v_and_b32_sdwa v1, v1, v45 dst_sel:DWORD dst_unused:UNUSED_PAD src0_sel:DWORD src1_sel:BYTE_1
	v_mov_b32_e32 v117, v59
	v_and_b32_e32 v2, 0x7f, v1
	v_cmpx_ne_u32_e32 0x7f, v2
	s_cbranch_execz .LBB209_272
; %bb.269:                              ;   in Loop: Header=BB209_13 Depth=1
	v_and_b32_e32 v43, 7, v1
	v_lshrrev_b32_e32 v1, 3, v2
	s_mov_b32 s52, exec_lo
	v_cmpx_gt_u32_e32 8, v2
; %bb.270:                              ;   in Loop: Header=BB209_13 Depth=1
	v_ffbh_u32_e32 v1, v43
	v_min_u32_e32 v1, 32, v1
	v_subrev_nc_u32_e32 v2, 28, v1
	v_sub_nc_u32_e32 v1, 29, v1
	v_lshlrev_b64 v[2:3], v2, v[43:44]
	v_and_b32_e32 v43, 7, v2
; %bb.271:                              ;   in Loop: Header=BB209_13 Depth=1
	s_or_b32 exec_lo, exec_lo, s52
	v_lshlrev_b32_e32 v2, 16, v45
	v_lshlrev_b32_e32 v3, 20, v43
	v_lshl_add_u32 v1, v1, 23, 0x3c000000
	v_mov_b32_e32 v117, v44
	v_and_b32_e32 v2, 0x80000000, v2
	v_or3_b32 v118, v3, v2, v1
.LBB209_272:                            ;   in Loop: Header=BB209_13 Depth=1
	s_or_b32 exec_lo, exec_lo, s51
.LBB209_273:                            ;   in Loop: Header=BB209_13 Depth=1
	s_or_b32 exec_lo, exec_lo, s50
.LBB209_274:                            ;   in Loop: Header=BB209_13 Depth=1
	s_or_b32 exec_lo, exec_lo, s49
	global_load_ushort v1, v[61:62], off offset:1024
	v_mov_b32_e32 v121, 0
	v_mov_b32_e32 v119, 0
	;; [unrolled: 1-line block ×4, first 2 shown]
	s_waitcnt vmcnt(0)
	v_and_b32_e32 v45, 0xffff, v1
	v_cmp_ne_u16_sdwa s2, v1, v44 src0_sel:BYTE_0 src1_sel:DWORD
	s_and_saveexec_b32 s49, s2
	s_cbranch_execz .LBB209_282
; %bb.275:                              ;   in Loop: Header=BB209_13 Depth=1
	v_bfrev_b32_e32 v119, 1
	v_mov_b32_e32 v120, 0
	v_cmp_ne_u16_sdwa s2, v45, v54 src0_sel:BYTE_0 src1_sel:DWORD
	s_and_saveexec_b32 s50, s2
	s_cbranch_execz .LBB209_281
; %bb.276:                              ;   in Loop: Header=BB209_13 Depth=1
	v_mov_b32_e32 v119, 0x7f800001
	v_and_b32_e32 v2, 0x7f, v45
	v_mov_b32_e32 v120, 0
	s_mov_b32 s51, exec_lo
	v_cmpx_ne_u32_e32 0x7f, v2
	s_cbranch_execz .LBB209_280
; %bb.277:                              ;   in Loop: Header=BB209_13 Depth=1
	v_and_b32_e32 v43, 7, v45
	v_lshrrev_b32_e32 v1, 3, v2
	s_mov_b32 s52, exec_lo
	v_cmpx_gt_u32_e32 8, v2
; %bb.278:                              ;   in Loop: Header=BB209_13 Depth=1
	v_ffbh_u32_e32 v1, v43
	v_min_u32_e32 v1, 32, v1
	v_subrev_nc_u32_e32 v2, 28, v1
	v_sub_nc_u32_e32 v1, 29, v1
	v_lshlrev_b64 v[2:3], v2, v[43:44]
	v_and_b32_e32 v43, 7, v2
; %bb.279:                              ;   in Loop: Header=BB209_13 Depth=1
	s_or_b32 exec_lo, exec_lo, s52
	v_lshlrev_b32_e32 v2, 24, v45
	v_lshlrev_b32_e32 v3, 20, v43
	v_lshl_add_u32 v1, v1, 23, 0x3c000000
	v_and_b32_e32 v2, 0x80000000, v2
	v_or3_b32 v43, v3, v2, v1
	v_mov_b32_e32 v120, v44
	v_mov_b32_e32 v119, v43
.LBB209_280:                            ;   in Loop: Header=BB209_13 Depth=1
	s_or_b32 exec_lo, exec_lo, s51
.LBB209_281:                            ;   in Loop: Header=BB209_13 Depth=1
	s_or_b32 exec_lo, exec_lo, s50
.LBB209_282:                            ;   in Loop: Header=BB209_13 Depth=1
	s_or_b32 exec_lo, exec_lo, s49
	v_cmp_ne_u16_sdwa s2, v45, v44 src0_sel:BYTE_1 src1_sel:DWORD
	s_and_saveexec_b32 s49, s2
	s_cbranch_execz .LBB209_290
; %bb.283:                              ;   in Loop: Header=BB209_13 Depth=1
	v_mov_b32_e32 v55, v44
	v_mov_b32_e32 v122, v56
	v_cmp_ne_u16_sdwa s2, v45, v54 src0_sel:BYTE_1 src1_sel:DWORD
	v_mov_b32_e32 v121, v55
	s_and_saveexec_b32 s50, s2
	s_cbranch_execz .LBB209_289
; %bb.284:                              ;   in Loop: Header=BB209_13 Depth=1
	v_mov_b32_e32 v1, 0xffff
	v_mov_b32_e32 v59, v44
	;; [unrolled: 1-line block ×3, first 2 shown]
	s_mov_b32 s51, exec_lo
	v_and_b32_sdwa v1, v1, v45 dst_sel:DWORD dst_unused:UNUSED_PAD src0_sel:DWORD src1_sel:BYTE_1
	v_mov_b32_e32 v121, v59
	v_and_b32_e32 v2, 0x7f, v1
	v_cmpx_ne_u32_e32 0x7f, v2
	s_cbranch_execz .LBB209_288
; %bb.285:                              ;   in Loop: Header=BB209_13 Depth=1
	v_and_b32_e32 v43, 7, v1
	v_lshrrev_b32_e32 v1, 3, v2
	s_mov_b32 s52, exec_lo
	v_cmpx_gt_u32_e32 8, v2
; %bb.286:                              ;   in Loop: Header=BB209_13 Depth=1
	v_ffbh_u32_e32 v1, v43
	v_min_u32_e32 v1, 32, v1
	v_subrev_nc_u32_e32 v2, 28, v1
	v_sub_nc_u32_e32 v1, 29, v1
	v_lshlrev_b64 v[2:3], v2, v[43:44]
	v_and_b32_e32 v43, 7, v2
; %bb.287:                              ;   in Loop: Header=BB209_13 Depth=1
	s_or_b32 exec_lo, exec_lo, s52
	v_lshlrev_b32_e32 v2, 16, v45
	v_lshlrev_b32_e32 v3, 20, v43
	v_lshl_add_u32 v1, v1, 23, 0x3c000000
	v_mov_b32_e32 v121, v44
	v_and_b32_e32 v2, 0x80000000, v2
	v_or3_b32 v122, v3, v2, v1
.LBB209_288:                            ;   in Loop: Header=BB209_13 Depth=1
	s_or_b32 exec_lo, exec_lo, s51
.LBB209_289:                            ;   in Loop: Header=BB209_13 Depth=1
	s_or_b32 exec_lo, exec_lo, s50
.LBB209_290:                            ;   in Loop: Header=BB209_13 Depth=1
	s_or_b32 exec_lo, exec_lo, s49
	global_load_ushort v1, v[61:62], off offset:1028
	v_mov_b32_e32 v45, 0
	v_mov_b32_e32 v123, 0
	;; [unrolled: 1-line block ×4, first 2 shown]
	s_waitcnt vmcnt(0)
	v_and_b32_e32 v47, 0xffff, v1
	v_cmp_ne_u16_sdwa s2, v1, v44 src0_sel:BYTE_0 src1_sel:DWORD
	s_and_saveexec_b32 s49, s2
	s_cbranch_execz .LBB209_298
; %bb.291:                              ;   in Loop: Header=BB209_13 Depth=1
	v_bfrev_b32_e32 v123, 1
	v_mov_b32_e32 v124, 0
	v_cmp_ne_u16_sdwa s2, v47, v54 src0_sel:BYTE_0 src1_sel:DWORD
	s_and_saveexec_b32 s50, s2
	s_cbranch_execz .LBB209_297
; %bb.292:                              ;   in Loop: Header=BB209_13 Depth=1
	v_mov_b32_e32 v123, 0x7f800001
	v_and_b32_e32 v2, 0x7f, v47
	v_mov_b32_e32 v124, 0
	s_mov_b32 s51, exec_lo
	v_cmpx_ne_u32_e32 0x7f, v2
	s_cbranch_execz .LBB209_296
; %bb.293:                              ;   in Loop: Header=BB209_13 Depth=1
	v_and_b32_e32 v43, 7, v47
	v_lshrrev_b32_e32 v1, 3, v2
	s_mov_b32 s52, exec_lo
	v_cmpx_gt_u32_e32 8, v2
; %bb.294:                              ;   in Loop: Header=BB209_13 Depth=1
	v_ffbh_u32_e32 v1, v43
	v_min_u32_e32 v1, 32, v1
	v_subrev_nc_u32_e32 v2, 28, v1
	v_sub_nc_u32_e32 v1, 29, v1
	v_lshlrev_b64 v[2:3], v2, v[43:44]
	v_and_b32_e32 v43, 7, v2
; %bb.295:                              ;   in Loop: Header=BB209_13 Depth=1
	s_or_b32 exec_lo, exec_lo, s52
	v_lshlrev_b32_e32 v2, 24, v47
	v_lshlrev_b32_e32 v3, 20, v43
	v_lshl_add_u32 v1, v1, 23, 0x3c000000
	v_and_b32_e32 v2, 0x80000000, v2
	v_or3_b32 v43, v3, v2, v1
	v_mov_b32_e32 v124, v44
	v_mov_b32_e32 v123, v43
.LBB209_296:                            ;   in Loop: Header=BB209_13 Depth=1
	s_or_b32 exec_lo, exec_lo, s51
.LBB209_297:                            ;   in Loop: Header=BB209_13 Depth=1
	s_or_b32 exec_lo, exec_lo, s50
.LBB209_298:                            ;   in Loop: Header=BB209_13 Depth=1
	s_or_b32 exec_lo, exec_lo, s49
	v_cmp_ne_u16_sdwa s2, v47, v44 src0_sel:BYTE_1 src1_sel:DWORD
	s_and_saveexec_b32 s49, s2
	s_cbranch_execz .LBB209_306
; %bb.299:                              ;   in Loop: Header=BB209_13 Depth=1
	v_mov_b32_e32 v55, v44
	v_cmp_ne_u16_sdwa s2, v47, v54 src0_sel:BYTE_1 src1_sel:DWORD
	v_mov_b32_e32 v45, v55
	v_mov_b32_e32 v46, v56
	s_and_saveexec_b32 s50, s2
	s_cbranch_execz .LBB209_305
; %bb.300:                              ;   in Loop: Header=BB209_13 Depth=1
	v_mov_b32_e32 v1, 0xffff
	v_mov_b32_e32 v59, v44
	s_mov_b32 s51, exec_lo
	v_and_b32_sdwa v1, v1, v47 dst_sel:DWORD dst_unused:UNUSED_PAD src0_sel:DWORD src1_sel:BYTE_1
	v_mov_b32_e32 v45, v59
	v_mov_b32_e32 v46, v60
	v_and_b32_e32 v2, 0x7f, v1
	v_cmpx_ne_u32_e32 0x7f, v2
	s_cbranch_execz .LBB209_304
; %bb.301:                              ;   in Loop: Header=BB209_13 Depth=1
	v_and_b32_e32 v43, 7, v1
	v_lshrrev_b32_e32 v1, 3, v2
	s_mov_b32 s52, exec_lo
	v_cmpx_gt_u32_e32 8, v2
; %bb.302:                              ;   in Loop: Header=BB209_13 Depth=1
	v_ffbh_u32_e32 v1, v43
	v_min_u32_e32 v1, 32, v1
	v_subrev_nc_u32_e32 v2, 28, v1
	v_sub_nc_u32_e32 v1, 29, v1
	v_lshlrev_b64 v[2:3], v2, v[43:44]
	v_and_b32_e32 v43, 7, v2
; %bb.303:                              ;   in Loop: Header=BB209_13 Depth=1
	s_or_b32 exec_lo, exec_lo, s52
	v_lshlrev_b32_e32 v2, 16, v47
	v_lshlrev_b32_e32 v3, 20, v43
	v_lshl_add_u32 v1, v1, 23, 0x3c000000
	v_mov_b32_e32 v45, v44
	v_and_b32_e32 v2, 0x80000000, v2
	v_or3_b32 v46, v3, v2, v1
.LBB209_304:                            ;   in Loop: Header=BB209_13 Depth=1
	s_or_b32 exec_lo, exec_lo, s51
.LBB209_305:                            ;   in Loop: Header=BB209_13 Depth=1
	s_or_b32 exec_lo, exec_lo, s50
.LBB209_306:                            ;   in Loop: Header=BB209_13 Depth=1
	s_or_b32 exec_lo, exec_lo, s49
	global_load_ushort v1, v[61:62], off offset:1032
	v_mov_b32_e32 v126, 0
	v_mov_b32_e32 v51, 0
	;; [unrolled: 1-line block ×4, first 2 shown]
	s_waitcnt vmcnt(0)
	v_and_b32_e32 v47, 0xffff, v1
	v_cmp_ne_u16_sdwa s2, v1, v44 src0_sel:BYTE_0 src1_sel:DWORD
	s_and_saveexec_b32 s49, s2
	s_cbranch_execz .LBB209_314
; %bb.307:                              ;   in Loop: Header=BB209_13 Depth=1
	v_bfrev_b32_e32 v51, 1
	v_mov_b32_e32 v52, 0
	v_cmp_ne_u16_sdwa s2, v47, v54 src0_sel:BYTE_0 src1_sel:DWORD
	s_and_saveexec_b32 s50, s2
	s_cbranch_execz .LBB209_313
; %bb.308:                              ;   in Loop: Header=BB209_13 Depth=1
	v_mov_b32_e32 v51, 0x7f800001
	v_and_b32_e32 v2, 0x7f, v47
	v_mov_b32_e32 v52, 0
	s_mov_b32 s51, exec_lo
	v_cmpx_ne_u32_e32 0x7f, v2
	s_cbranch_execz .LBB209_312
; %bb.309:                              ;   in Loop: Header=BB209_13 Depth=1
	v_and_b32_e32 v43, 7, v47
	v_lshrrev_b32_e32 v1, 3, v2
	s_mov_b32 s52, exec_lo
	v_cmpx_gt_u32_e32 8, v2
; %bb.310:                              ;   in Loop: Header=BB209_13 Depth=1
	v_ffbh_u32_e32 v1, v43
	v_min_u32_e32 v1, 32, v1
	v_subrev_nc_u32_e32 v2, 28, v1
	v_sub_nc_u32_e32 v1, 29, v1
	v_lshlrev_b64 v[2:3], v2, v[43:44]
	v_and_b32_e32 v43, 7, v2
; %bb.311:                              ;   in Loop: Header=BB209_13 Depth=1
	s_or_b32 exec_lo, exec_lo, s52
	v_lshlrev_b32_e32 v2, 24, v47
	v_lshlrev_b32_e32 v3, 20, v43
	v_lshl_add_u32 v1, v1, 23, 0x3c000000
	v_and_b32_e32 v2, 0x80000000, v2
	v_or3_b32 v43, v3, v2, v1
	v_mov_b32_e32 v52, v44
	v_mov_b32_e32 v51, v43
.LBB209_312:                            ;   in Loop: Header=BB209_13 Depth=1
	s_or_b32 exec_lo, exec_lo, s51
.LBB209_313:                            ;   in Loop: Header=BB209_13 Depth=1
	s_or_b32 exec_lo, exec_lo, s50
.LBB209_314:                            ;   in Loop: Header=BB209_13 Depth=1
	s_or_b32 exec_lo, exec_lo, s49
	v_cmp_ne_u16_sdwa s2, v47, v44 src0_sel:BYTE_1 src1_sel:DWORD
	s_and_saveexec_b32 s49, s2
	s_cbranch_execz .LBB209_322
; %bb.315:                              ;   in Loop: Header=BB209_13 Depth=1
	v_mov_b32_e32 v55, v44
	v_mov_b32_e32 v127, v56
	v_cmp_ne_u16_sdwa s2, v47, v54 src0_sel:BYTE_1 src1_sel:DWORD
	v_mov_b32_e32 v126, v55
	s_and_saveexec_b32 s50, s2
	s_cbranch_execz .LBB209_321
; %bb.316:                              ;   in Loop: Header=BB209_13 Depth=1
	v_mov_b32_e32 v1, 0xffff
	v_mov_b32_e32 v59, v44
	;; [unrolled: 1-line block ×3, first 2 shown]
	s_mov_b32 s51, exec_lo
	v_and_b32_sdwa v1, v1, v47 dst_sel:DWORD dst_unused:UNUSED_PAD src0_sel:DWORD src1_sel:BYTE_1
	v_mov_b32_e32 v126, v59
	v_and_b32_e32 v2, 0x7f, v1
	v_cmpx_ne_u32_e32 0x7f, v2
	s_cbranch_execz .LBB209_320
; %bb.317:                              ;   in Loop: Header=BB209_13 Depth=1
	v_and_b32_e32 v43, 7, v1
	v_lshrrev_b32_e32 v1, 3, v2
	s_mov_b32 s52, exec_lo
	v_cmpx_gt_u32_e32 8, v2
; %bb.318:                              ;   in Loop: Header=BB209_13 Depth=1
	v_ffbh_u32_e32 v1, v43
	v_min_u32_e32 v1, 32, v1
	v_subrev_nc_u32_e32 v2, 28, v1
	v_sub_nc_u32_e32 v1, 29, v1
	v_lshlrev_b64 v[2:3], v2, v[43:44]
	v_and_b32_e32 v43, 7, v2
; %bb.319:                              ;   in Loop: Header=BB209_13 Depth=1
	s_or_b32 exec_lo, exec_lo, s52
	v_lshlrev_b32_e32 v2, 16, v47
	v_lshlrev_b32_e32 v3, 20, v43
	v_lshl_add_u32 v1, v1, 23, 0x3c000000
	v_mov_b32_e32 v126, v44
	v_and_b32_e32 v2, 0x80000000, v2
	v_or3_b32 v127, v3, v2, v1
.LBB209_320:                            ;   in Loop: Header=BB209_13 Depth=1
	s_or_b32 exec_lo, exec_lo, s51
.LBB209_321:                            ;   in Loop: Header=BB209_13 Depth=1
	s_or_b32 exec_lo, exec_lo, s50
.LBB209_322:                            ;   in Loop: Header=BB209_13 Depth=1
	s_or_b32 exec_lo, exec_lo, s49
	global_load_ushort v2, v[61:62], off offset:1036
	v_mov_b32_e32 v47, 0
	v_mov_b32_e32 v61, 0
	v_mov_b32_e32 v48, 0
	v_mov_b32_e32 v62, 0
	s_waitcnt vmcnt(0)
	v_and_b32_e32 v1, 0xffff, v2
	v_cmp_ne_u16_sdwa s2, v2, v44 src0_sel:BYTE_0 src1_sel:DWORD
	s_and_saveexec_b32 s49, s2
	s_cbranch_execz .LBB209_330
; %bb.323:                              ;   in Loop: Header=BB209_13 Depth=1
	v_bfrev_b32_e32 v61, 1
	v_mov_b32_e32 v62, 0
	v_cmp_ne_u16_sdwa s2, v1, v54 src0_sel:BYTE_0 src1_sel:DWORD
	s_and_saveexec_b32 s50, s2
	s_cbranch_execz .LBB209_329
; %bb.324:                              ;   in Loop: Header=BB209_13 Depth=1
	v_mov_b32_e32 v61, 0x7f800001
	v_and_b32_e32 v3, 0x7f, v1
	v_mov_b32_e32 v62, 0
	s_mov_b32 s51, exec_lo
	v_cmpx_ne_u32_e32 0x7f, v3
	s_cbranch_execz .LBB209_328
; %bb.325:                              ;   in Loop: Header=BB209_13 Depth=1
	v_and_b32_e32 v43, 7, v1
	v_lshrrev_b32_e32 v2, 3, v3
	s_mov_b32 s52, exec_lo
	v_cmpx_gt_u32_e32 8, v3
; %bb.326:                              ;   in Loop: Header=BB209_13 Depth=1
	v_ffbh_u32_e32 v2, v43
	v_min_u32_e32 v2, 32, v2
	v_subrev_nc_u32_e32 v3, 28, v2
	v_sub_nc_u32_e32 v2, 29, v2
	v_lshlrev_b64 v[3:4], v3, v[43:44]
	v_and_b32_e32 v43, 7, v3
; %bb.327:                              ;   in Loop: Header=BB209_13 Depth=1
	s_or_b32 exec_lo, exec_lo, s52
	v_lshlrev_b32_e32 v3, 24, v1
	v_lshlrev_b32_e32 v4, 20, v43
	v_lshl_add_u32 v2, v2, 23, 0x3c000000
	v_and_b32_e32 v3, 0x80000000, v3
	v_or3_b32 v43, v4, v3, v2
	v_mov_b32_e32 v62, v44
	v_mov_b32_e32 v61, v43
.LBB209_328:                            ;   in Loop: Header=BB209_13 Depth=1
	s_or_b32 exec_lo, exec_lo, s51
.LBB209_329:                            ;   in Loop: Header=BB209_13 Depth=1
	s_or_b32 exec_lo, exec_lo, s50
.LBB209_330:                            ;   in Loop: Header=BB209_13 Depth=1
	s_or_b32 exec_lo, exec_lo, s49
	v_cmp_ne_u16_sdwa s2, v1, v44 src0_sel:BYTE_1 src1_sel:DWORD
	s_and_saveexec_b32 s49, s2
	s_cbranch_execz .LBB209_338
; %bb.331:                              ;   in Loop: Header=BB209_13 Depth=1
	v_mov_b32_e32 v55, v44
	v_cmp_ne_u16_sdwa s2, v1, v54 src0_sel:BYTE_1 src1_sel:DWORD
	v_mov_b32_e32 v47, v55
	v_mov_b32_e32 v48, v56
	s_and_saveexec_b32 s50, s2
	s_cbranch_execz .LBB209_337
; %bb.332:                              ;   in Loop: Header=BB209_13 Depth=1
	v_mov_b32_e32 v2, 0xffff
	v_mov_b32_e32 v59, v44
	s_mov_b32 s51, exec_lo
	v_and_b32_sdwa v2, v2, v1 dst_sel:DWORD dst_unused:UNUSED_PAD src0_sel:DWORD src1_sel:BYTE_1
	v_mov_b32_e32 v47, v59
	v_mov_b32_e32 v48, v60
	v_and_b32_e32 v3, 0x7f, v2
	v_cmpx_ne_u32_e32 0x7f, v3
	s_cbranch_execz .LBB209_336
; %bb.333:                              ;   in Loop: Header=BB209_13 Depth=1
	v_and_b32_e32 v43, 7, v2
	v_lshrrev_b32_e32 v2, 3, v3
	s_mov_b32 s52, exec_lo
	v_cmpx_gt_u32_e32 8, v3
; %bb.334:                              ;   in Loop: Header=BB209_13 Depth=1
	v_ffbh_u32_e32 v2, v43
	v_min_u32_e32 v2, 32, v2
	v_subrev_nc_u32_e32 v3, 28, v2
	v_sub_nc_u32_e32 v2, 29, v2
	v_lshlrev_b64 v[3:4], v3, v[43:44]
	v_and_b32_e32 v43, 7, v3
; %bb.335:                              ;   in Loop: Header=BB209_13 Depth=1
	s_or_b32 exec_lo, exec_lo, s52
	v_lshlrev_b32_e32 v1, 16, v1
	v_lshlrev_b32_e32 v3, 20, v43
	v_lshl_add_u32 v2, v2, 23, 0x3c000000
	v_mov_b32_e32 v47, v44
	v_and_b32_e32 v1, 0x80000000, v1
	v_or3_b32 v48, v3, v1, v2
.LBB209_336:                            ;   in Loop: Header=BB209_13 Depth=1
	s_or_b32 exec_lo, exec_lo, s51
.LBB209_337:                            ;   in Loop: Header=BB209_13 Depth=1
	s_or_b32 exec_lo, exec_lo, s50
.LBB209_338:                            ;   in Loop: Header=BB209_13 Depth=1
	s_or_b32 exec_lo, exec_lo, s49
	v_or_b32_e32 v1, v127, v52
	v_or_b32_e32 v2, v126, v51
	;; [unrolled: 1-line block ×4, first 2 shown]
	s_waitcnt lgkmcnt(0)
	v_mul_f32_e32 v43, s48, v1
	v_mul_f32_e32 v51, s48, v2
	v_or_b32_e32 v1, v46, v124
	v_or_b32_e32 v2, v45, v123
	v_mul_f32_e32 v48, s48, v48
	v_mul_f32_e32 v61, s48, v47
	;; [unrolled: 1-line block ×4, first 2 shown]
	v_or_b32_e32 v1, v122, v120
	v_or_b32_e32 v2, v121, v119
	v_mul_f32_e32 v52, s48, v1
	v_mul_f32_e32 v55, s48, v2
	v_or_b32_e32 v1, v118, v116
	v_or_b32_e32 v2, v117, v115
	v_mul_f32_e32 v59, s48, v1
	v_mul_f32_e32 v115, s48, v2
	;; [unrolled: 4-line block ×15, first 2 shown]
	s_clause 0x3
	buffer_load_dword v1, off, s[56:59], 0 offset:16
	buffer_load_dword v2, off, s[56:59], 0 offset:20
	;; [unrolled: 1-line block ×4, first 2 shown]
	s_waitcnt vmcnt(1)
	v_or_b32_e32 v1, v3, v1
	s_waitcnt vmcnt(0)
	v_or_b32_e32 v65, v4, v2
	v_mul_f32_e32 v1, s48, v1
	v_mul_f32_e32 v2, s48, v65
	s_clause 0x3
	buffer_load_dword v65, off, s[56:59], 0
	buffer_load_dword v66, off, s[56:59], 0 offset:4
	buffer_load_dword v69, off, s[56:59], 0 offset:8
	;; [unrolled: 1-line block ×3, first 2 shown]
	v_mul_f32_e32 v39, v39, v1
	s_waitcnt vmcnt(1)
	v_or_b32_e32 v4, v69, v65
	s_waitcnt vmcnt(0)
	v_or_b32_e32 v3, v70, v66
	v_mbcnt_lo_u32_b32 v66, -1, 0
	v_mul_f32_e32 v4, s48, v4
	v_mul_f32_e32 v3, s48, v3
	v_xor_b32_e32 v65, 1, v66
	v_fmac_f32_e32 v39, v37, v4
	v_mul_f32_e32 v37, v40, v2
	v_cmp_gt_i32_e64 s2, 32, v65
	v_fmac_f32_e32 v39, v33, v64
	v_fmac_f32_e32 v37, v38, v3
	s_clause 0x3
	buffer_load_dword v1, off, s[56:59], 0 offset:36
	buffer_load_dword v2, off, s[56:59], 0 offset:40
	;; [unrolled: 1-line block ×4, first 2 shown]
	v_cndmask_b32_e64 v65, v66, v65, s2
	v_fmac_f32_e32 v39, v35, v68
	v_fmac_f32_e32 v37, v34, v63
	v_lshlrev_b32_e32 v47, 2, v65
	v_fmac_f32_e32 v39, v29, v72
	v_fmac_f32_e32 v37, v36, v67
	;; [unrolled: 1-line block ×29, first 2 shown]
	s_waitcnt vmcnt(3)
	v_fmac_f32_e32 v39, v1, v51
	s_waitcnt vmcnt(2)
	v_fmac_f32_e32 v37, v2, v43
	;; [unrolled: 2-line block ×4, first 2 shown]
	v_add_f32_e32 v1, v39, v37
	ds_bpermute_b32 v2, v47, v1
	s_and_saveexec_b32 s48, vcc_lo
	s_cbranch_execz .LBB209_11
; %bb.339:                              ;   in Loop: Header=BB209_13 Depth=1
	buffer_load_dword v3, off, s[56:59], 0 offset:68 ; 4-byte Folded Reload
	s_waitcnt lgkmcnt(0)
	v_add_f32_e32 v1, v1, v2
	buffer_load_dword v4, off, s[56:59], 0 offset:52 ; 4-byte Folded Reload
	s_waitcnt vmcnt(1)
	v_add_nc_u32_e32 v3, v3, v53
	v_cvt_f32_i32_e32 v3, v3
	v_mul_f32_e32 v3, s43, v3
	v_cndmask_b32_e64 v2, 0, v3, s1
	v_fmac_f32_e32 v2, s41, v1
	buffer_load_dword v1, off, s[56:59], 0 offset:64 ; 4-byte Folded Reload
	s_waitcnt vmcnt(1)
	v_max_f32_e32 v3, v4, v4
	v_max_f32_e32 v3, v3, v2
	s_waitcnt vmcnt(0)
	v_add_nc_u32_e32 v1, v1, v53
	v_cmp_gt_i32_e64 s2, s31, v1
	v_cndmask_b32_e64 v1, 0, v2, s2
	v_cndmask_b32_e64 v4, v4, v3, s2
	ds_write_b32 v57, v1
	buffer_store_dword v4, off, s[56:59], 0 offset:52 ; 4-byte Folded Spill
	s_branch .LBB209_11
.LBB209_340:
	s_or_b32 exec_lo, exec_lo, s46
	s_clause 0x2
	buffer_load_dword v38, off, s[56:59], 0 offset:76
	buffer_load_dword v12, off, s[56:59], 0 offset:80
	;; [unrolled: 1-line block ×3, first 2 shown]
.LBB209_341:
	s_or_b32 exec_lo, exec_lo, s45
	v_mbcnt_lo_u32_b32 v6, -1, 0
	v_xor_b32_e32 v0, 16, v6
	v_xor_b32_e32 v1, 8, v6
	v_cmp_gt_i32_e32 vcc_lo, 32, v0
	v_cndmask_b32_e32 v0, v6, v0, vcc_lo
	v_cmp_gt_i32_e32 vcc_lo, 32, v1
	s_waitcnt lgkmcnt(0)
	v_lshlrev_b32_e32 v2, 2, v0
	v_cndmask_b32_e32 v1, v6, v1, vcc_lo
	s_waitcnt vmcnt(0)
	ds_bpermute_b32 v0, v2, v3
	v_max_f32_e32 v3, v3, v3
	v_lshlrev_b32_e32 v4, 2, v1
	s_waitcnt lgkmcnt(0)
	v_max_f32_e32 v0, v0, v0
	v_max_f32_e32 v0, v3, v0
	v_xor_b32_e32 v3, 4, v6
	ds_bpermute_b32 v1, v4, v0
	v_cmp_gt_i32_e32 vcc_lo, 32, v3
	v_cndmask_b32_e32 v3, v6, v3, vcc_lo
	v_lshlrev_b32_e32 v5, 2, v3
	v_xor_b32_e32 v3, 2, v6
	v_cmp_gt_i32_e32 vcc_lo, 32, v3
	s_waitcnt lgkmcnt(0)
	v_max_f32_e32 v1, v1, v1
	v_cndmask_b32_e32 v3, v6, v3, vcc_lo
	buffer_load_dword v6, off, s[56:59], 0 offset:72 ; 4-byte Folded Reload
	v_max_f32_e32 v0, v0, v1
	v_lshlrev_b32_e32 v25, 2, v3
	ds_bpermute_b32 v1, v5, v0
	s_waitcnt lgkmcnt(0)
	v_max_f32_e32 v1, v1, v1
	v_max_f32_e32 v1, v0, v1
	v_and_b32_e32 v0, 31, v38
	ds_bpermute_b32 v3, v25, v1
	v_cmp_eq_u32_e32 vcc_lo, 0, v0
	s_waitcnt vmcnt(0)
	v_lshlrev_b32_e32 v6, 2, v6
	s_and_saveexec_b32 s1, vcc_lo
	s_cbranch_execz .LBB209_343
; %bb.342:
	s_waitcnt lgkmcnt(0)
	v_max_f32_e32 v3, v3, v3
	v_max_f32_e32 v1, v1, v1
	v_max_f32_e32 v1, v1, v3
	ds_write_b32 v6, v1 offset:320
.LBB209_343:
	s_or_b32 exec_lo, exec_lo, s1
	v_cmp_gt_u32_e64 s1, 4, v0
	v_mov_b32_e32 v1, 0xff7fffff
	v_lshlrev_b32_e32 v7, 2, v0
	s_waitcnt lgkmcnt(0)
	s_waitcnt_vscnt null, 0x0
	s_barrier
	buffer_gl0_inv
	s_and_saveexec_b32 s2, s1
; %bb.344:
	ds_read_b32 v1, v7 offset:320
; %bb.345:
	s_or_b32 exec_lo, exec_lo, s2
	s_waitcnt lgkmcnt(0)
	ds_bpermute_b32 v3, v25, v1
	v_mbcnt_lo_u32_b32 v9, -1, 0
	v_max_f32_e32 v1, v1, v1
	v_xor_b32_e32 v8, 1, v9
	v_cmp_gt_i32_e64 s2, 32, v8
	v_cndmask_b32_e64 v8, v9, v8, s2
	s_sub_i32 s2, s20, s44
	s_lshl_b32 s2, s2, 4
	s_waitcnt lgkmcnt(0)
	v_max_f32_e32 v3, v3, v3
	v_lshlrev_b32_e32 v26, 2, v8
	v_mov_b32_e32 v8, 0
	s_add_i32 s2, s2, s42
	s_min_i32 s2, s2, s31
	v_max_f32_e32 v1, v1, v3
	s_sub_i32 s4, s2, s42
	v_cmp_gt_i32_e64 s2, s4, v38
	ds_bpermute_b32 v3, v26, v1
	s_waitcnt lgkmcnt(0)
	v_max_f32_e32 v3, v3, v3
	v_max_f32_e32 v1, v1, v3
	v_lshl_add_u32 v3, v38, 2, 0x160
	ds_bpermute_b32 v1, v8, v1
	s_and_saveexec_b32 s5, s2
	s_cbranch_execz .LBB209_349
; %bb.346:
	v_lshl_add_u32 v9, v38, 2, 0x160
	v_mov_b32_e32 v8, 0
	v_mov_b32_e32 v10, v38
	s_mov_b32 s12, 0
	.p2align	6
.LBB209_347:                            ; =>This Inner Loop Header: Depth=1
	ds_read_b32 v11, v9
	v_add_nc_u32_e32 v10, 0x80, v10
	v_cmp_le_i32_e64 s3, s4, v10
	s_or_b32 s12, s3, s12
	s_waitcnt lgkmcnt(0)
	v_sub_f32_e32 v11, v11, v1
	v_mul_f32_e32 v11, 0x3fb8aa3b, v11
	v_exp_f32_e32 v11, v11
	ds_write_b32 v9, v11
	v_add_f32_e32 v8, v8, v11
	v_add_nc_u32_e32 v9, 0x200, v9
	s_andn2_b32 exec_lo, exec_lo, s12
	s_cbranch_execnz .LBB209_347
; %bb.348:
	s_or_b32 exec_lo, exec_lo, s12
.LBB209_349:
	s_or_b32 exec_lo, exec_lo, s5
	ds_bpermute_b32 v2, v2, v8
	s_waitcnt lgkmcnt(0)
	v_add_f32_e32 v2, v8, v2
	ds_bpermute_b32 v4, v4, v2
	s_waitcnt lgkmcnt(0)
	v_add_f32_e32 v2, v2, v4
	ds_bpermute_b32 v4, v5, v2
	s_waitcnt lgkmcnt(0)
	v_add_f32_e32 v2, v2, v4
	ds_bpermute_b32 v4, v25, v2
	s_waitcnt lgkmcnt(0)
	v_add_f32_e32 v2, v2, v4
	ds_bpermute_b32 v4, v26, v2
	s_waitcnt lgkmcnt(0)
	v_add_f32_e32 v2, v2, v4
	s_and_saveexec_b32 s3, vcc_lo
; %bb.350:
	ds_write_b32 v6, v2 offset:336
; %bb.351:
	s_or_b32 exec_lo, exec_lo, s3
	s_waitcnt lgkmcnt(0)
	s_barrier
	buffer_gl0_inv
	s_and_saveexec_b32 s3, s1
; %bb.352:
	ds_read_b32 v2, v7 offset:336
; %bb.353:
	s_or_b32 exec_lo, exec_lo, s3
	s_waitcnt lgkmcnt(0)
	ds_bpermute_b32 v4, v25, v2
	s_waitcnt lgkmcnt(0)
	v_add_f32_e32 v2, v2, v4
	ds_bpermute_b32 v4, v26, v2
	s_waitcnt lgkmcnt(0)
	v_add_f32_e32 v2, v2, v4
	v_mov_b32_e32 v4, 0
	ds_bpermute_b32 v2, v4, v2
	s_and_saveexec_b32 s1, s2
	s_cbranch_execz .LBB209_356
; %bb.354:
	s_waitcnt lgkmcnt(0)
	v_add_f32_e32 v4, 0x358637bd, v2
	s_mov_b32 s2, 0
	v_div_scale_f32 v5, null, v4, v4, 1.0
	v_div_scale_f32 v8, vcc_lo, 1.0, v4, 1.0
	v_rcp_f32_e32 v6, v5
	v_fma_f32 v7, -v5, v6, 1.0
	v_fmac_f32_e32 v6, v7, v6
	v_mul_f32_e32 v7, v8, v6
	v_fma_f32 v9, -v5, v7, v8
	v_fmac_f32_e32 v7, v9, v6
	v_fma_f32 v5, -v5, v7, v8
	v_div_fmas_f32 v5, v5, v6, v7
	v_div_fixup_f32 v4, v5, v4, 1.0
	v_mov_b32_e32 v5, v38
.LBB209_355:                            ; =>This Inner Loop Header: Depth=1
	ds_read_b32 v6, v3
	v_add_nc_u32_e32 v5, 0x80, v5
	v_cmp_le_i32_e32 vcc_lo, s4, v5
	s_or_b32 s2, vcc_lo, s2
	s_waitcnt lgkmcnt(0)
	v_mul_f32_e32 v6, v4, v6
	ds_write_b32 v3, v6
	v_add_nc_u32_e32 v3, 0x200, v3
	s_andn2_b32 exec_lo, exec_lo, s2
	s_cbranch_execnz .LBB209_355
.LBB209_356:
	s_or_b32 exec_lo, exec_lo, s1
	s_mul_i32 s1, s7, s30
	s_waitcnt lgkmcnt(0)
	s_mul_i32 s2, s1, s9
	s_mov_b32 s1, exec_lo
	s_barrier
	buffer_gl0_inv
	v_cmpx_eq_u32_e32 0, v38
	s_cbranch_execz .LBB209_358
; %bb.357:
	s_ashr_i32 s3, s2, 31
	s_mul_i32 s12, s7, s6
	s_lshl_b64 s[4:5], s[2:3], 2
	v_mov_b32_e32 v3, 0
	s_add_u32 s3, s26, s4
	s_addc_u32 s6, s27, s5
	s_ashr_i32 s13, s12, 31
	s_lshl_b64 s[12:13], s[12:13], 2
	s_add_u32 s3, s3, s12
	s_addc_u32 s6, s6, s13
	s_ashr_i32 s9, s8, 31
	s_lshl_b64 s[26:27], s[8:9], 2
	s_add_u32 s42, s3, s26
	s_addc_u32 s43, s6, s27
	s_add_u32 s3, s24, s4
	s_addc_u32 s4, s25, s5
	;; [unrolled: 2-line block ×4, first 2 shown]
	global_store_dword v3, v1, s[42:43]
	global_store_dword v3, v2, s[4:5]
.LBB209_358:
	s_or_b32 exec_lo, exec_lo, s1
	v_mov_b32_e32 v36, 0
	v_and_b32_e32 v27, 3, v38
	v_mov_b32_e32 v37, 0
	v_mov_b32_e32 v35, 0
	;; [unrolled: 1-line block ×9, first 2 shown]
	s_and_saveexec_b32 s1, s0
	s_cbranch_execz .LBB209_704
; %bb.359:
	s_sub_i32 s3, s40, s21
	s_ashr_i32 s0, s18, 31
	s_add_u32 s5, s38, s18
	s_addc_u32 s0, s39, s0
	s_abs_i32 s4, s22
	v_and_b32_e32 v3, 0x7c, v12
	v_cvt_f32_u32_e32 v1, s4
	s_sub_i32 s6, 0, s4
	v_lshlrev_b32_e32 v5, 4, v27
	s_lshl_b64 s[12:13], s[36:37], 2
	v_add_co_u32 v11, s5, s5, v3
	v_rcp_iflag_f32_e32 v4, v1
	v_lshlrev_b64 v[1:2], 2, v[41:42]
	s_add_i32 s33, s33, -1
	v_mov_b32_e32 v87, v38
	v_and_b32_e32 v38, 12, v12
	v_add_co_ci_u32_e64 v12, null, s0, 0, s5
	s_add_u32 s0, s34, s12
	s_addc_u32 s5, s35, s13
	v_add_co_u32 v13, vcc_lo, s0, v1
	v_mul_f32_e32 v4, 0x4f7ffffe, v4
	v_mov_b32_e32 v6, 0
	v_mov_b32_e32 v39, 0x80
	v_bfrev_b32_e32 v8, 1
	v_mov_b32_e32 v40, 0xffff
	v_cvt_u32_f32_e32 v4, v4
	v_mov_b32_e32 v10, 0x7f800001
	v_mov_b32_e32 v42, 0xff
	;; [unrolled: 1-line block ×4, first 2 shown]
	v_mul_lo_u32 v7, s6, v4
	v_mov_b32_e32 v28, 0
	v_mov_b32_e32 v29, 0
	;; [unrolled: 1-line block ×7, first 2 shown]
	v_mul_hi_u32 v3, v4, v7
	buffer_load_dword v7, off, s[56:59], 0 offset:72 ; 4-byte Folded Reload
	v_add_co_ci_u32_e64 v14, null, s5, v2, vcc_lo
	v_mov_b32_e32 v35, 0
	v_mov_b32_e32 v37, 0
	;; [unrolled: 1-line block ×3, first 2 shown]
	s_mov_b32 s6, s17
	v_add_nc_u32_e32 v46, v4, v3
	s_mov_b32 s5, 0
	s_waitcnt vmcnt(0)
	v_lshl_or_b32 v5, v7, 6, v5
	v_add_nc_u32_e32 v45, 0x160, v5
	s_branch .LBB209_362
.LBB209_360:                            ;   in Loop: Header=BB209_362 Depth=1
	s_or_b32 exec_lo, exec_lo, s0
	v_mul_f32_e32 v16, v1, v84
	v_mul_f32_e32 v17, v1, v82
	;; [unrolled: 1-line block ×5, first 2 shown]
	v_fmac_f32_e32 v16, v2, v83
	v_fmac_f32_e32 v17, v2, v81
	;; [unrolled: 1-line block ×15, first 2 shown]
	v_add_f32_e32 v29, v29, v16
	v_add_f32_e32 v30, v30, v17
	;; [unrolled: 1-line block ×4, first 2 shown]
	v_mul_f32_e32 v16, v1, v66
	v_mul_f32_e32 v17, v1, v62
	;; [unrolled: 1-line block ×5, first 2 shown]
	v_fmac_f32_e32 v16, v2, v65
	v_fmac_f32_e32 v17, v2, v61
	;; [unrolled: 1-line block ×15, first 2 shown]
	v_add_f32_e32 v33, v33, v20
	v_add_f32_e32 v34, v34, v16
	;; [unrolled: 1-line block ×6, first 2 shown]
.LBB209_361:                            ;   in Loop: Header=BB209_362 Depth=1
	s_or_b32 exec_lo, exec_lo, s9
	v_add_nc_u32_e32 v41, 4, v41
	v_add_co_u32 v13, s0, v13, 16
	v_add_co_ci_u32_e64 v14, null, 0, v14, s0
	v_cmp_le_i32_e32 vcc_lo, s20, v41
	v_add_nc_u32_e32 v125, 64, v125
	v_add_nc_u32_e32 v45, 0x100, v45
	s_or_b32 s5, vcc_lo, s5
	s_andn2_b32 exec_lo, exec_lo, s5
	s_cbranch_execz .LBB209_703
.LBB209_362:                            ; =>This Inner Loop Header: Depth=1
	v_sub_nc_u32_e32 v1, 0, v125
	v_max_i32_e32 v1, v125, v1
	v_mul_hi_u32 v2, v1, s16
	v_mul_lo_u32 v3, v2, s11
	v_sub_nc_u32_e32 v1, v1, v3
	v_add_nc_u32_e32 v3, 1, v2
	v_subrev_nc_u32_e32 v4, s11, v1
	v_cmp_le_u32_e32 vcc_lo, s11, v1
	v_cndmask_b32_e32 v2, v2, v3, vcc_lo
	v_cndmask_b32_e32 v1, v1, v4, vcc_lo
	v_ashrrev_i32_e32 v3, 31, v125
	v_add_nc_u32_e32 v4, 1, v2
	v_cmp_le_u32_e32 vcc_lo, s11, v1
	v_xor_b32_e32 v3, s23, v3
	v_cndmask_b32_e32 v1, v2, v4, vcc_lo
	v_xor_b32_e32 v1, v1, v3
	v_sub_nc_u32_e32 v1, v1, v3
	v_add_nc_u32_e32 v2, s19, v1
	v_cmp_lt_i32_e64 s0, s3, v1
	v_sub_nc_u32_e32 v3, 0, v2
	v_max_i32_e32 v3, v2, v3
	v_ashrrev_i32_e32 v2, 31, v2
	v_mul_hi_u32 v4, v3, v46
	v_mul_lo_u32 v4, v4, s4
	v_sub_nc_u32_e32 v3, v3, v4
	v_subrev_nc_u32_e32 v4, s4, v3
	v_cmp_le_u32_e32 vcc_lo, s4, v3
	v_cndmask_b32_e32 v3, v3, v4, vcc_lo
	v_subrev_nc_u32_e32 v4, s4, v3
	v_cmp_le_u32_e32 vcc_lo, s4, v3
	v_cndmask_b32_e32 v3, v3, v4, vcc_lo
	v_xor_b32_e32 v3, v3, v2
	v_sub_nc_u32_e32 v2, v3, v2
	v_cmp_eq_u32_e32 vcc_lo, 0, v2
	s_or_b32 s0, vcc_lo, s0
	s_and_saveexec_b32 s9, s0
	s_cbranch_execz .LBB209_361
; %bb.363:                              ;   in Loop: Header=BB209_362 Depth=1
	global_load_dword v1, v[13:14], off
	s_load_dword s12, s[14:15], 0x0
	v_mov_b32_e32 v19, 0
	v_mov_b32_e32 v17, 0
	;; [unrolled: 1-line block ×4, first 2 shown]
	s_waitcnt vmcnt(0)
	v_mad_i64_i32 v[15:16], null, v1, s6, v[11:12]
	ds_read_b128 v[1:4], v45
	global_load_dword v47, v[15:16], off
	s_waitcnt vmcnt(0)
	v_cmp_ne_u16_sdwa s13, v47, v6 src0_sel:BYTE_0 src1_sel:DWORD
	s_and_saveexec_b32 s0, s13
	s_cbranch_execz .LBB209_371
; %bb.364:                              ;   in Loop: Header=BB209_362 Depth=1
	v_bfrev_b32_e32 v17, 1
	v_mov_b32_e32 v18, 0
	v_cmp_ne_u16_sdwa s17, v47, v39 src0_sel:BYTE_0 src1_sel:DWORD
	s_and_saveexec_b32 s13, s17
	s_cbranch_execz .LBB209_370
; %bb.365:                              ;   in Loop: Header=BB209_362 Depth=1
	v_mov_b32_e32 v17, 0x7f800001
	v_and_b32_e32 v9, 0x7f, v47
	v_mov_b32_e32 v18, 0
	s_mov_b32 s17, exec_lo
	v_cmpx_ne_u32_e32 0x7f, v9
	s_cbranch_execz .LBB209_369
; %bb.366:                              ;   in Loop: Header=BB209_362 Depth=1
	v_and_b32_e32 v5, 7, v47
	v_lshrrev_b32_e32 v7, 3, v9
	s_mov_b32 s18, exec_lo
	v_cmpx_gt_u32_e32 8, v9
; %bb.367:                              ;   in Loop: Header=BB209_362 Depth=1
	v_ffbh_u32_e32 v7, v5
	v_min_u32_e32 v7, 32, v7
	v_subrev_nc_u32_e32 v9, 28, v7
	v_sub_nc_u32_e32 v7, 29, v7
	v_lshlrev_b64 v[17:18], v9, v[5:6]
	v_and_b32_e32 v5, 7, v17
; %bb.368:                              ;   in Loop: Header=BB209_362 Depth=1
	s_or_b32 exec_lo, exec_lo, s18
	v_lshlrev_b32_e32 v9, 24, v47
	v_lshlrev_b32_e32 v5, 20, v5
	v_lshl_add_u32 v7, v7, 23, 0x3c000000
	v_and_b32_e32 v9, 0x80000000, v9
	v_or3_b32 v5, v5, v9, v7
	v_mov_b32_e32 v18, v6
	v_mov_b32_e32 v17, v5
.LBB209_369:                            ;   in Loop: Header=BB209_362 Depth=1
	s_or_b32 exec_lo, exec_lo, s17
.LBB209_370:                            ;   in Loop: Header=BB209_362 Depth=1
	s_or_b32 exec_lo, exec_lo, s13
.LBB209_371:                            ;   in Loop: Header=BB209_362 Depth=1
	s_or_b32 exec_lo, exec_lo, s0
	v_cmp_ne_u16_sdwa s13, v47, v6 src0_sel:BYTE_1 src1_sel:DWORD
	s_and_saveexec_b32 s0, s13
	s_cbranch_execz .LBB209_379
; %bb.372:                              ;   in Loop: Header=BB209_362 Depth=1
	v_mov_b32_e32 v7, v6
	v_mov_b32_e32 v20, v8
	v_cmp_ne_u16_sdwa s17, v47, v39 src0_sel:BYTE_1 src1_sel:DWORD
	v_mov_b32_e32 v19, v7
	s_and_saveexec_b32 s13, s17
	s_cbranch_execz .LBB209_378
; %bb.373:                              ;   in Loop: Header=BB209_362 Depth=1
	v_and_b32_sdwa v5, v40, v47 dst_sel:DWORD dst_unused:UNUSED_PAD src0_sel:DWORD src1_sel:BYTE_1
	v_mov_b32_e32 v9, v6
	v_mov_b32_e32 v20, v10
	s_mov_b32 s17, exec_lo
	v_and_b32_e32 v21, 0x7f, v5
	v_mov_b32_e32 v19, v9
	v_cmpx_ne_u32_e32 0x7f, v21
	s_cbranch_execz .LBB209_377
; %bb.374:                              ;   in Loop: Header=BB209_362 Depth=1
	v_and_b32_e32 v5, 7, v5
	v_lshrrev_b32_e32 v7, 3, v21
	s_mov_b32 s18, exec_lo
	v_cmpx_gt_u32_e32 8, v21
; %bb.375:                              ;   in Loop: Header=BB209_362 Depth=1
	v_ffbh_u32_e32 v7, v5
	v_min_u32_e32 v7, 32, v7
	v_subrev_nc_u32_e32 v9, 28, v7
	v_sub_nc_u32_e32 v7, 29, v7
	v_lshlrev_b64 v[19:20], v9, v[5:6]
	v_and_b32_e32 v5, 7, v19
; %bb.376:                              ;   in Loop: Header=BB209_362 Depth=1
	s_or_b32 exec_lo, exec_lo, s18
	v_lshlrev_b32_e32 v9, 16, v47
	v_lshlrev_b32_e32 v5, 20, v5
	v_lshl_add_u32 v7, v7, 23, 0x3c000000
	v_mov_b32_e32 v19, v6
	v_and_b32_e32 v9, 0x80000000, v9
	v_or3_b32 v20, v5, v9, v7
.LBB209_377:                            ;   in Loop: Header=BB209_362 Depth=1
	s_or_b32 exec_lo, exec_lo, s17
.LBB209_378:                            ;   in Loop: Header=BB209_362 Depth=1
	s_or_b32 exec_lo, exec_lo, s13
.LBB209_379:                            ;   in Loop: Header=BB209_362 Depth=1
	s_or_b32 exec_lo, exec_lo, s0
	v_mov_b32_e32 v23, 0
	v_mov_b32_e32 v21, 0
	v_and_b32_sdwa v5, v47, v42 dst_sel:DWORD dst_unused:UNUSED_PAD src0_sel:WORD_1 src1_sel:DWORD
	v_mov_b32_e32 v24, 0
	v_mov_b32_e32 v22, 0
	s_mov_b32 s0, exec_lo
	v_cmpx_ne_u16_e32 0, v5
	s_cbranch_execz .LBB209_387
; %bb.380:                              ;   in Loop: Header=BB209_362 Depth=1
	v_bfrev_b32_e32 v21, 1
	v_mov_b32_e32 v22, 0
	s_mov_b32 s13, exec_lo
	v_cmpx_ne_u16_e32 0x80, v5
	s_cbranch_execz .LBB209_386
; %bb.381:                              ;   in Loop: Header=BB209_362 Depth=1
	v_mov_b32_e32 v21, 0x7f800001
	v_bfe_u32 v9, v47, 16, 7
	v_mov_b32_e32 v22, 0
	s_mov_b32 s17, exec_lo
	v_cmpx_ne_u32_e32 0x7f, v9
	s_cbranch_execz .LBB209_385
; %bb.382:                              ;   in Loop: Header=BB209_362 Depth=1
	v_and_b32_sdwa v5, v47, v43 dst_sel:DWORD dst_unused:UNUSED_PAD src0_sel:WORD_1 src1_sel:DWORD
	v_lshrrev_b32_e32 v7, 3, v9
	s_mov_b32 s18, exec_lo
	v_cmpx_gt_u32_e32 8, v9
; %bb.383:                              ;   in Loop: Header=BB209_362 Depth=1
	v_ffbh_u32_e32 v7, v5
	v_min_u32_e32 v7, 32, v7
	v_subrev_nc_u32_e32 v9, 28, v7
	v_sub_nc_u32_e32 v7, 29, v7
	v_lshlrev_b64 v[21:22], v9, v[5:6]
	v_and_b32_e32 v5, 7, v21
; %bb.384:                              ;   in Loop: Header=BB209_362 Depth=1
	s_or_b32 exec_lo, exec_lo, s18
	v_lshlrev_b32_sdwa v9, v44, v47 dst_sel:DWORD dst_unused:UNUSED_PAD src0_sel:DWORD src1_sel:WORD_1
	v_lshlrev_b32_e32 v5, 20, v5
	v_lshl_add_u32 v7, v7, 23, 0x3c000000
	v_and_b32_e32 v9, 0x80000000, v9
	v_or3_b32 v5, v5, v9, v7
	v_mov_b32_e32 v22, v6
	v_mov_b32_e32 v21, v5
.LBB209_385:                            ;   in Loop: Header=BB209_362 Depth=1
	s_or_b32 exec_lo, exec_lo, s17
.LBB209_386:                            ;   in Loop: Header=BB209_362 Depth=1
	s_or_b32 exec_lo, exec_lo, s13
.LBB209_387:                            ;   in Loop: Header=BB209_362 Depth=1
	s_or_b32 exec_lo, exec_lo, s0
	s_mov_b32 s0, exec_lo
	v_cmpx_lt_u32_e32 0xffffff, v47
	s_cbranch_execz .LBB209_395
; %bb.388:                              ;   in Loop: Header=BB209_362 Depth=1
	v_mov_b32_e32 v7, v6
	v_mov_b32_e32 v24, v8
	v_cmp_ne_u32_sdwa s17, v47, v39 src0_sel:BYTE_3 src1_sel:DWORD
	v_mov_b32_e32 v23, v7
	s_and_saveexec_b32 s13, s17
	s_cbranch_execz .LBB209_394
; %bb.389:                              ;   in Loop: Header=BB209_362 Depth=1
	v_mov_b32_e32 v9, v6
	v_mov_b32_e32 v24, v10
	v_bfe_u32 v48, v47, 24, 7
	s_mov_b32 s17, exec_lo
	v_mov_b32_e32 v23, v9
	v_cmpx_ne_u32_e32 0x7f, v48
	s_cbranch_execz .LBB209_393
; %bb.390:                              ;   in Loop: Header=BB209_362 Depth=1
	v_and_b32_sdwa v5, v47, v43 dst_sel:DWORD dst_unused:UNUSED_PAD src0_sel:BYTE_3 src1_sel:DWORD
	v_lshrrev_b32_e32 v7, 3, v48
	s_mov_b32 s18, exec_lo
	v_cmpx_gt_u32_e32 8, v48
; %bb.391:                              ;   in Loop: Header=BB209_362 Depth=1
	v_ffbh_u32_e32 v7, v5
	v_min_u32_e32 v7, 32, v7
	v_subrev_nc_u32_e32 v9, 28, v7
	v_sub_nc_u32_e32 v7, 29, v7
	v_lshlrev_b64 v[23:24], v9, v[5:6]
	v_and_b32_e32 v5, 7, v23
; %bb.392:                              ;   in Loop: Header=BB209_362 Depth=1
	s_or_b32 exec_lo, exec_lo, s18
	v_lshlrev_b32_sdwa v9, v44, v47 dst_sel:DWORD dst_unused:UNUSED_PAD src0_sel:DWORD src1_sel:BYTE_3
	v_lshlrev_b32_e32 v5, 20, v5
	v_lshl_add_u32 v7, v7, 23, 0x3c000000
	v_mov_b32_e32 v23, v6
	v_and_b32_e32 v9, 0x80000000, v9
	v_or3_b32 v24, v5, v9, v7
.LBB209_393:                            ;   in Loop: Header=BB209_362 Depth=1
	s_or_b32 exec_lo, exec_lo, s17
.LBB209_394:                            ;   in Loop: Header=BB209_362 Depth=1
	s_or_b32 exec_lo, exec_lo, s13
.LBB209_395:                            ;   in Loop: Header=BB209_362 Depth=1
	s_or_b32 exec_lo, exec_lo, s0
	v_add_nc_u32_e32 v51, v38, v125
	v_or_b32_e32 v5, v20, v18
	v_or_b32_e32 v7, v19, v17
	;; [unrolled: 1-line block ×4, first 2 shown]
	v_cmp_eq_u32_e32 vcc_lo, s33, v41
	s_waitcnt lgkmcnt(0)
	v_mul_f32_e32 v49, s12, v5
	v_mul_f32_e32 v50, s12, v7
	;; [unrolled: 1-line block ×4, first 2 shown]
	v_add_nc_u32_e32 v54, 1, v51
	v_add_nc_u32_e32 v53, 2, v51
	;; [unrolled: 1-line block ×3, first 2 shown]
	s_and_saveexec_b32 s13, vcc_lo
	s_cbranch_execz .LBB209_397
; %bb.396:                              ;   in Loop: Header=BB209_362 Depth=1
	v_cmp_gt_i32_e64 s0, s31, v51
	v_cndmask_b32_e64 v50, 0, v50, s0
	v_cmp_gt_i32_e64 s0, s31, v54
	v_cndmask_b32_e64 v49, 0, v49, s0
	;; [unrolled: 2-line block ×4, first 2 shown]
.LBB209_397:                            ;   in Loop: Header=BB209_362 Depth=1
	s_or_b32 exec_lo, exec_lo, s13
	global_load_dword v55, v[15:16], off offset:128
	v_mov_b32_e32 v19, 0
	v_mov_b32_e32 v17, 0
	;; [unrolled: 1-line block ×4, first 2 shown]
	s_waitcnt vmcnt(0)
	v_cmp_ne_u16_sdwa s0, v55, v6 src0_sel:BYTE_0 src1_sel:DWORD
	s_and_saveexec_b32 s13, s0
	s_cbranch_execz .LBB209_405
; %bb.398:                              ;   in Loop: Header=BB209_362 Depth=1
	v_bfrev_b32_e32 v17, 1
	v_mov_b32_e32 v18, 0
	v_cmp_ne_u16_sdwa s0, v55, v39 src0_sel:BYTE_0 src1_sel:DWORD
	s_and_saveexec_b32 s17, s0
	s_cbranch_execz .LBB209_404
; %bb.399:                              ;   in Loop: Header=BB209_362 Depth=1
	v_mov_b32_e32 v17, 0x7f800001
	v_and_b32_e32 v9, 0x7f, v55
	v_mov_b32_e32 v18, 0
	s_mov_b32 s18, exec_lo
	v_cmpx_ne_u32_e32 0x7f, v9
	s_cbranch_execz .LBB209_403
; %bb.400:                              ;   in Loop: Header=BB209_362 Depth=1
	v_and_b32_e32 v5, 7, v55
	v_lshrrev_b32_e32 v7, 3, v9
	s_mov_b32 s21, exec_lo
	v_cmpx_gt_u32_e32 8, v9
; %bb.401:                              ;   in Loop: Header=BB209_362 Depth=1
	v_ffbh_u32_e32 v7, v5
	v_min_u32_e32 v7, 32, v7
	v_subrev_nc_u32_e32 v9, 28, v7
	v_sub_nc_u32_e32 v7, 29, v7
	v_lshlrev_b64 v[17:18], v9, v[5:6]
	v_and_b32_e32 v5, 7, v17
; %bb.402:                              ;   in Loop: Header=BB209_362 Depth=1
	s_or_b32 exec_lo, exec_lo, s21
	v_lshlrev_b32_e32 v9, 24, v55
	v_lshlrev_b32_e32 v5, 20, v5
	v_lshl_add_u32 v7, v7, 23, 0x3c000000
	v_and_b32_e32 v9, 0x80000000, v9
	v_or3_b32 v5, v5, v9, v7
	v_mov_b32_e32 v18, v6
	v_mov_b32_e32 v17, v5
.LBB209_403:                            ;   in Loop: Header=BB209_362 Depth=1
	s_or_b32 exec_lo, exec_lo, s18
.LBB209_404:                            ;   in Loop: Header=BB209_362 Depth=1
	s_or_b32 exec_lo, exec_lo, s17
.LBB209_405:                            ;   in Loop: Header=BB209_362 Depth=1
	s_or_b32 exec_lo, exec_lo, s13
	v_cmp_ne_u16_sdwa s0, v55, v6 src0_sel:BYTE_1 src1_sel:DWORD
	s_and_saveexec_b32 s13, s0
	s_cbranch_execz .LBB209_413
; %bb.406:                              ;   in Loop: Header=BB209_362 Depth=1
	v_mov_b32_e32 v7, v6
	v_mov_b32_e32 v20, v8
	v_cmp_ne_u16_sdwa s0, v55, v39 src0_sel:BYTE_1 src1_sel:DWORD
	v_mov_b32_e32 v19, v7
	s_and_saveexec_b32 s17, s0
	s_cbranch_execz .LBB209_412
; %bb.407:                              ;   in Loop: Header=BB209_362 Depth=1
	v_and_b32_sdwa v5, v40, v55 dst_sel:DWORD dst_unused:UNUSED_PAD src0_sel:DWORD src1_sel:BYTE_1
	v_mov_b32_e32 v9, v6
	v_mov_b32_e32 v20, v10
	s_mov_b32 s18, exec_lo
	v_and_b32_e32 v21, 0x7f, v5
	v_mov_b32_e32 v19, v9
	v_cmpx_ne_u32_e32 0x7f, v21
	s_cbranch_execz .LBB209_411
; %bb.408:                              ;   in Loop: Header=BB209_362 Depth=1
	v_and_b32_e32 v5, 7, v5
	v_lshrrev_b32_e32 v7, 3, v21
	s_mov_b32 s21, exec_lo
	v_cmpx_gt_u32_e32 8, v21
; %bb.409:                              ;   in Loop: Header=BB209_362 Depth=1
	v_ffbh_u32_e32 v7, v5
	v_min_u32_e32 v7, 32, v7
	v_subrev_nc_u32_e32 v9, 28, v7
	v_sub_nc_u32_e32 v7, 29, v7
	v_lshlrev_b64 v[19:20], v9, v[5:6]
	v_and_b32_e32 v5, 7, v19
; %bb.410:                              ;   in Loop: Header=BB209_362 Depth=1
	s_or_b32 exec_lo, exec_lo, s21
	v_lshlrev_b32_e32 v9, 16, v55
	v_lshlrev_b32_e32 v5, 20, v5
	v_lshl_add_u32 v7, v7, 23, 0x3c000000
	v_mov_b32_e32 v19, v6
	v_and_b32_e32 v9, 0x80000000, v9
	v_or3_b32 v20, v5, v9, v7
.LBB209_411:                            ;   in Loop: Header=BB209_362 Depth=1
	s_or_b32 exec_lo, exec_lo, s18
.LBB209_412:                            ;   in Loop: Header=BB209_362 Depth=1
	s_or_b32 exec_lo, exec_lo, s17
.LBB209_413:                            ;   in Loop: Header=BB209_362 Depth=1
	s_or_b32 exec_lo, exec_lo, s13
	v_mov_b32_e32 v23, 0
	v_mov_b32_e32 v21, 0
	v_and_b32_sdwa v5, v55, v42 dst_sel:DWORD dst_unused:UNUSED_PAD src0_sel:WORD_1 src1_sel:DWORD
	v_mov_b32_e32 v24, 0
	v_mov_b32_e32 v22, 0
	s_mov_b32 s13, exec_lo
	v_cmpx_ne_u16_e32 0, v5
	s_cbranch_execz .LBB209_421
; %bb.414:                              ;   in Loop: Header=BB209_362 Depth=1
	v_bfrev_b32_e32 v21, 1
	v_mov_b32_e32 v22, 0
	s_mov_b32 s17, exec_lo
	v_cmpx_ne_u16_e32 0x80, v5
	s_cbranch_execz .LBB209_420
; %bb.415:                              ;   in Loop: Header=BB209_362 Depth=1
	v_mov_b32_e32 v21, 0x7f800001
	v_bfe_u32 v9, v55, 16, 7
	v_mov_b32_e32 v22, 0
	s_mov_b32 s18, exec_lo
	v_cmpx_ne_u32_e32 0x7f, v9
	s_cbranch_execz .LBB209_419
; %bb.416:                              ;   in Loop: Header=BB209_362 Depth=1
	v_and_b32_sdwa v5, v55, v43 dst_sel:DWORD dst_unused:UNUSED_PAD src0_sel:WORD_1 src1_sel:DWORD
	v_lshrrev_b32_e32 v7, 3, v9
	s_mov_b32 s21, exec_lo
	v_cmpx_gt_u32_e32 8, v9
; %bb.417:                              ;   in Loop: Header=BB209_362 Depth=1
	v_ffbh_u32_e32 v7, v5
	v_min_u32_e32 v7, 32, v7
	v_subrev_nc_u32_e32 v9, 28, v7
	v_sub_nc_u32_e32 v7, 29, v7
	v_lshlrev_b64 v[21:22], v9, v[5:6]
	v_and_b32_e32 v5, 7, v21
; %bb.418:                              ;   in Loop: Header=BB209_362 Depth=1
	s_or_b32 exec_lo, exec_lo, s21
	v_lshlrev_b32_sdwa v9, v44, v55 dst_sel:DWORD dst_unused:UNUSED_PAD src0_sel:DWORD src1_sel:WORD_1
	v_lshlrev_b32_e32 v5, 20, v5
	v_lshl_add_u32 v7, v7, 23, 0x3c000000
	v_and_b32_e32 v9, 0x80000000, v9
	v_or3_b32 v5, v5, v9, v7
	v_mov_b32_e32 v22, v6
	v_mov_b32_e32 v21, v5
.LBB209_419:                            ;   in Loop: Header=BB209_362 Depth=1
	s_or_b32 exec_lo, exec_lo, s18
.LBB209_420:                            ;   in Loop: Header=BB209_362 Depth=1
	s_or_b32 exec_lo, exec_lo, s17
.LBB209_421:                            ;   in Loop: Header=BB209_362 Depth=1
	s_or_b32 exec_lo, exec_lo, s13
	s_mov_b32 s13, exec_lo
	v_cmpx_lt_u32_e32 0xffffff, v55
	s_cbranch_execz .LBB209_429
; %bb.422:                              ;   in Loop: Header=BB209_362 Depth=1
	v_mov_b32_e32 v7, v6
	v_mov_b32_e32 v24, v8
	v_cmp_ne_u32_sdwa s0, v55, v39 src0_sel:BYTE_3 src1_sel:DWORD
	v_mov_b32_e32 v23, v7
	s_and_saveexec_b32 s17, s0
	s_cbranch_execz .LBB209_428
; %bb.423:                              ;   in Loop: Header=BB209_362 Depth=1
	v_mov_b32_e32 v9, v6
	v_mov_b32_e32 v24, v10
	v_bfe_u32 v56, v55, 24, 7
	s_mov_b32 s18, exec_lo
	v_mov_b32_e32 v23, v9
	v_cmpx_ne_u32_e32 0x7f, v56
	s_cbranch_execz .LBB209_427
; %bb.424:                              ;   in Loop: Header=BB209_362 Depth=1
	v_and_b32_sdwa v5, v55, v43 dst_sel:DWORD dst_unused:UNUSED_PAD src0_sel:BYTE_3 src1_sel:DWORD
	v_lshrrev_b32_e32 v7, 3, v56
	s_mov_b32 s21, exec_lo
	v_cmpx_gt_u32_e32 8, v56
; %bb.425:                              ;   in Loop: Header=BB209_362 Depth=1
	v_ffbh_u32_e32 v7, v5
	v_min_u32_e32 v7, 32, v7
	v_subrev_nc_u32_e32 v9, 28, v7
	v_sub_nc_u32_e32 v7, 29, v7
	v_lshlrev_b64 v[23:24], v9, v[5:6]
	v_and_b32_e32 v5, 7, v23
; %bb.426:                              ;   in Loop: Header=BB209_362 Depth=1
	s_or_b32 exec_lo, exec_lo, s21
	v_lshlrev_b32_sdwa v9, v44, v55 dst_sel:DWORD dst_unused:UNUSED_PAD src0_sel:DWORD src1_sel:BYTE_3
	v_lshlrev_b32_e32 v5, 20, v5
	v_lshl_add_u32 v7, v7, 23, 0x3c000000
	v_mov_b32_e32 v23, v6
	v_and_b32_e32 v9, 0x80000000, v9
	v_or3_b32 v24, v5, v9, v7
.LBB209_427:                            ;   in Loop: Header=BB209_362 Depth=1
	s_or_b32 exec_lo, exec_lo, s18
.LBB209_428:                            ;   in Loop: Header=BB209_362 Depth=1
	s_or_b32 exec_lo, exec_lo, s17
.LBB209_429:                            ;   in Loop: Header=BB209_362 Depth=1
	s_or_b32 exec_lo, exec_lo, s13
	v_or_b32_e32 v5, v20, v18
	v_or_b32_e32 v7, v19, v17
	;; [unrolled: 1-line block ×4, first 2 shown]
	s_mov_b32 s13, s12
	v_mul_f32_e32 v57, s13, v5
	v_mul_f32_e32 v58, s12, v7
	;; [unrolled: 1-line block ×4, first 2 shown]
	s_and_saveexec_b32 s17, vcc_lo
	s_cbranch_execz .LBB209_431
; %bb.430:                              ;   in Loop: Header=BB209_362 Depth=1
	v_cmp_gt_i32_e64 s0, s31, v51
	v_cndmask_b32_e64 v58, 0, v58, s0
	v_cmp_gt_i32_e64 s0, s31, v54
	v_cndmask_b32_e64 v57, 0, v57, s0
	;; [unrolled: 2-line block ×4, first 2 shown]
.LBB209_431:                            ;   in Loop: Header=BB209_362 Depth=1
	s_or_b32 exec_lo, exec_lo, s17
	global_load_dword v59, v[15:16], off offset:256
	v_mov_b32_e32 v19, 0
	v_mov_b32_e32 v17, 0
	;; [unrolled: 1-line block ×4, first 2 shown]
	s_waitcnt vmcnt(0)
	v_cmp_ne_u16_sdwa s0, v59, v6 src0_sel:BYTE_0 src1_sel:DWORD
	s_and_saveexec_b32 s17, s0
	s_cbranch_execz .LBB209_439
; %bb.432:                              ;   in Loop: Header=BB209_362 Depth=1
	v_bfrev_b32_e32 v17, 1
	v_mov_b32_e32 v18, 0
	v_cmp_ne_u16_sdwa s0, v59, v39 src0_sel:BYTE_0 src1_sel:DWORD
	s_and_saveexec_b32 s18, s0
	s_cbranch_execz .LBB209_438
; %bb.433:                              ;   in Loop: Header=BB209_362 Depth=1
	v_mov_b32_e32 v17, 0x7f800001
	v_and_b32_e32 v9, 0x7f, v59
	v_mov_b32_e32 v18, 0
	s_mov_b32 s21, exec_lo
	v_cmpx_ne_u32_e32 0x7f, v9
	s_cbranch_execz .LBB209_437
; %bb.434:                              ;   in Loop: Header=BB209_362 Depth=1
	v_and_b32_e32 v5, 7, v59
	v_lshrrev_b32_e32 v7, 3, v9
	s_mov_b32 s22, exec_lo
	v_cmpx_gt_u32_e32 8, v9
; %bb.435:                              ;   in Loop: Header=BB209_362 Depth=1
	v_ffbh_u32_e32 v7, v5
	v_min_u32_e32 v7, 32, v7
	v_subrev_nc_u32_e32 v9, 28, v7
	v_sub_nc_u32_e32 v7, 29, v7
	v_lshlrev_b64 v[17:18], v9, v[5:6]
	v_and_b32_e32 v5, 7, v17
; %bb.436:                              ;   in Loop: Header=BB209_362 Depth=1
	s_or_b32 exec_lo, exec_lo, s22
	v_lshlrev_b32_e32 v9, 24, v59
	v_lshlrev_b32_e32 v5, 20, v5
	v_lshl_add_u32 v7, v7, 23, 0x3c000000
	v_and_b32_e32 v9, 0x80000000, v9
	v_or3_b32 v5, v5, v9, v7
	v_mov_b32_e32 v18, v6
	v_mov_b32_e32 v17, v5
.LBB209_437:                            ;   in Loop: Header=BB209_362 Depth=1
	s_or_b32 exec_lo, exec_lo, s21
.LBB209_438:                            ;   in Loop: Header=BB209_362 Depth=1
	s_or_b32 exec_lo, exec_lo, s18
.LBB209_439:                            ;   in Loop: Header=BB209_362 Depth=1
	s_or_b32 exec_lo, exec_lo, s17
	v_cmp_ne_u16_sdwa s0, v59, v6 src0_sel:BYTE_1 src1_sel:DWORD
	s_and_saveexec_b32 s17, s0
	s_cbranch_execz .LBB209_447
; %bb.440:                              ;   in Loop: Header=BB209_362 Depth=1
	v_mov_b32_e32 v7, v6
	v_mov_b32_e32 v20, v8
	v_cmp_ne_u16_sdwa s0, v59, v39 src0_sel:BYTE_1 src1_sel:DWORD
	v_mov_b32_e32 v19, v7
	s_and_saveexec_b32 s18, s0
	s_cbranch_execz .LBB209_446
; %bb.441:                              ;   in Loop: Header=BB209_362 Depth=1
	v_and_b32_sdwa v5, v40, v59 dst_sel:DWORD dst_unused:UNUSED_PAD src0_sel:DWORD src1_sel:BYTE_1
	v_mov_b32_e32 v9, v6
	v_mov_b32_e32 v20, v10
	s_mov_b32 s21, exec_lo
	v_and_b32_e32 v21, 0x7f, v5
	v_mov_b32_e32 v19, v9
	v_cmpx_ne_u32_e32 0x7f, v21
	s_cbranch_execz .LBB209_445
; %bb.442:                              ;   in Loop: Header=BB209_362 Depth=1
	v_and_b32_e32 v5, 7, v5
	v_lshrrev_b32_e32 v7, 3, v21
	s_mov_b32 s22, exec_lo
	v_cmpx_gt_u32_e32 8, v21
; %bb.443:                              ;   in Loop: Header=BB209_362 Depth=1
	v_ffbh_u32_e32 v7, v5
	v_min_u32_e32 v7, 32, v7
	v_subrev_nc_u32_e32 v9, 28, v7
	v_sub_nc_u32_e32 v7, 29, v7
	v_lshlrev_b64 v[19:20], v9, v[5:6]
	v_and_b32_e32 v5, 7, v19
; %bb.444:                              ;   in Loop: Header=BB209_362 Depth=1
	s_or_b32 exec_lo, exec_lo, s22
	v_lshlrev_b32_e32 v9, 16, v59
	v_lshlrev_b32_e32 v5, 20, v5
	v_lshl_add_u32 v7, v7, 23, 0x3c000000
	v_mov_b32_e32 v19, v6
	v_and_b32_e32 v9, 0x80000000, v9
	v_or3_b32 v20, v5, v9, v7
.LBB209_445:                            ;   in Loop: Header=BB209_362 Depth=1
	s_or_b32 exec_lo, exec_lo, s21
.LBB209_446:                            ;   in Loop: Header=BB209_362 Depth=1
	s_or_b32 exec_lo, exec_lo, s18
.LBB209_447:                            ;   in Loop: Header=BB209_362 Depth=1
	s_or_b32 exec_lo, exec_lo, s17
	v_mov_b32_e32 v23, 0
	v_mov_b32_e32 v21, 0
	v_and_b32_sdwa v5, v59, v42 dst_sel:DWORD dst_unused:UNUSED_PAD src0_sel:WORD_1 src1_sel:DWORD
	v_mov_b32_e32 v24, 0
	v_mov_b32_e32 v22, 0
	s_mov_b32 s17, exec_lo
	v_cmpx_ne_u16_e32 0, v5
	s_cbranch_execz .LBB209_455
; %bb.448:                              ;   in Loop: Header=BB209_362 Depth=1
	v_bfrev_b32_e32 v21, 1
	v_mov_b32_e32 v22, 0
	s_mov_b32 s18, exec_lo
	v_cmpx_ne_u16_e32 0x80, v5
	s_cbranch_execz .LBB209_454
; %bb.449:                              ;   in Loop: Header=BB209_362 Depth=1
	v_mov_b32_e32 v21, 0x7f800001
	v_bfe_u32 v9, v59, 16, 7
	v_mov_b32_e32 v22, 0
	s_mov_b32 s21, exec_lo
	v_cmpx_ne_u32_e32 0x7f, v9
	s_cbranch_execz .LBB209_453
; %bb.450:                              ;   in Loop: Header=BB209_362 Depth=1
	v_and_b32_sdwa v5, v59, v43 dst_sel:DWORD dst_unused:UNUSED_PAD src0_sel:WORD_1 src1_sel:DWORD
	v_lshrrev_b32_e32 v7, 3, v9
	s_mov_b32 s22, exec_lo
	v_cmpx_gt_u32_e32 8, v9
; %bb.451:                              ;   in Loop: Header=BB209_362 Depth=1
	v_ffbh_u32_e32 v7, v5
	v_min_u32_e32 v7, 32, v7
	v_subrev_nc_u32_e32 v9, 28, v7
	v_sub_nc_u32_e32 v7, 29, v7
	v_lshlrev_b64 v[21:22], v9, v[5:6]
	v_and_b32_e32 v5, 7, v21
; %bb.452:                              ;   in Loop: Header=BB209_362 Depth=1
	s_or_b32 exec_lo, exec_lo, s22
	v_lshlrev_b32_sdwa v9, v44, v59 dst_sel:DWORD dst_unused:UNUSED_PAD src0_sel:DWORD src1_sel:WORD_1
	v_lshlrev_b32_e32 v5, 20, v5
	v_lshl_add_u32 v7, v7, 23, 0x3c000000
	v_and_b32_e32 v9, 0x80000000, v9
	v_or3_b32 v5, v5, v9, v7
	v_mov_b32_e32 v22, v6
	v_mov_b32_e32 v21, v5
.LBB209_453:                            ;   in Loop: Header=BB209_362 Depth=1
	s_or_b32 exec_lo, exec_lo, s21
.LBB209_454:                            ;   in Loop: Header=BB209_362 Depth=1
	s_or_b32 exec_lo, exec_lo, s18
.LBB209_455:                            ;   in Loop: Header=BB209_362 Depth=1
	s_or_b32 exec_lo, exec_lo, s17
	s_mov_b32 s17, exec_lo
	v_cmpx_lt_u32_e32 0xffffff, v59
	s_cbranch_execz .LBB209_463
; %bb.456:                              ;   in Loop: Header=BB209_362 Depth=1
	v_mov_b32_e32 v7, v6
	v_mov_b32_e32 v24, v8
	v_cmp_ne_u32_sdwa s0, v59, v39 src0_sel:BYTE_3 src1_sel:DWORD
	v_mov_b32_e32 v23, v7
	s_and_saveexec_b32 s18, s0
	s_cbranch_execz .LBB209_462
; %bb.457:                              ;   in Loop: Header=BB209_362 Depth=1
	v_mov_b32_e32 v9, v6
	v_mov_b32_e32 v24, v10
	v_bfe_u32 v60, v59, 24, 7
	s_mov_b32 s21, exec_lo
	v_mov_b32_e32 v23, v9
	v_cmpx_ne_u32_e32 0x7f, v60
	s_cbranch_execz .LBB209_461
; %bb.458:                              ;   in Loop: Header=BB209_362 Depth=1
	v_and_b32_sdwa v5, v59, v43 dst_sel:DWORD dst_unused:UNUSED_PAD src0_sel:BYTE_3 src1_sel:DWORD
	v_lshrrev_b32_e32 v7, 3, v60
	s_mov_b32 s22, exec_lo
	v_cmpx_gt_u32_e32 8, v60
; %bb.459:                              ;   in Loop: Header=BB209_362 Depth=1
	v_ffbh_u32_e32 v7, v5
	v_min_u32_e32 v7, 32, v7
	v_subrev_nc_u32_e32 v9, 28, v7
	v_sub_nc_u32_e32 v7, 29, v7
	v_lshlrev_b64 v[23:24], v9, v[5:6]
	v_and_b32_e32 v5, 7, v23
; %bb.460:                              ;   in Loop: Header=BB209_362 Depth=1
	s_or_b32 exec_lo, exec_lo, s22
	v_lshlrev_b32_sdwa v9, v44, v59 dst_sel:DWORD dst_unused:UNUSED_PAD src0_sel:DWORD src1_sel:BYTE_3
	v_lshlrev_b32_e32 v5, 20, v5
	v_lshl_add_u32 v7, v7, 23, 0x3c000000
	v_mov_b32_e32 v23, v6
	v_and_b32_e32 v9, 0x80000000, v9
	v_or3_b32 v24, v5, v9, v7
.LBB209_461:                            ;   in Loop: Header=BB209_362 Depth=1
	s_or_b32 exec_lo, exec_lo, s21
.LBB209_462:                            ;   in Loop: Header=BB209_362 Depth=1
	s_or_b32 exec_lo, exec_lo, s18
.LBB209_463:                            ;   in Loop: Header=BB209_362 Depth=1
	s_or_b32 exec_lo, exec_lo, s17
	v_or_b32_e32 v5, v20, v18
	v_or_b32_e32 v7, v19, v17
	v_or_b32_e32 v9, v23, v21
	v_or_b32_e32 v17, v24, v22
	v_mul_f32_e32 v61, s13, v5
	v_mul_f32_e32 v62, s12, v7
	;; [unrolled: 1-line block ×4, first 2 shown]
	s_and_saveexec_b32 s17, vcc_lo
	s_cbranch_execz .LBB209_465
; %bb.464:                              ;   in Loop: Header=BB209_362 Depth=1
	v_cmp_gt_i32_e64 s0, s31, v51
	v_cndmask_b32_e64 v62, 0, v62, s0
	v_cmp_gt_i32_e64 s0, s31, v54
	v_cndmask_b32_e64 v61, 0, v61, s0
	;; [unrolled: 2-line block ×4, first 2 shown]
.LBB209_465:                            ;   in Loop: Header=BB209_362 Depth=1
	s_or_b32 exec_lo, exec_lo, s17
	global_load_dword v63, v[15:16], off offset:384
	v_mov_b32_e32 v19, 0
	v_mov_b32_e32 v17, 0
	;; [unrolled: 1-line block ×4, first 2 shown]
	s_waitcnt vmcnt(0)
	v_cmp_ne_u16_sdwa s0, v63, v6 src0_sel:BYTE_0 src1_sel:DWORD
	s_and_saveexec_b32 s17, s0
	s_cbranch_execz .LBB209_473
; %bb.466:                              ;   in Loop: Header=BB209_362 Depth=1
	v_bfrev_b32_e32 v17, 1
	v_mov_b32_e32 v18, 0
	v_cmp_ne_u16_sdwa s0, v63, v39 src0_sel:BYTE_0 src1_sel:DWORD
	s_and_saveexec_b32 s18, s0
	s_cbranch_execz .LBB209_472
; %bb.467:                              ;   in Loop: Header=BB209_362 Depth=1
	v_mov_b32_e32 v17, 0x7f800001
	v_and_b32_e32 v9, 0x7f, v63
	v_mov_b32_e32 v18, 0
	s_mov_b32 s21, exec_lo
	v_cmpx_ne_u32_e32 0x7f, v9
	s_cbranch_execz .LBB209_471
; %bb.468:                              ;   in Loop: Header=BB209_362 Depth=1
	v_and_b32_e32 v5, 7, v63
	v_lshrrev_b32_e32 v7, 3, v9
	s_mov_b32 s22, exec_lo
	v_cmpx_gt_u32_e32 8, v9
; %bb.469:                              ;   in Loop: Header=BB209_362 Depth=1
	v_ffbh_u32_e32 v7, v5
	v_min_u32_e32 v7, 32, v7
	v_subrev_nc_u32_e32 v9, 28, v7
	v_sub_nc_u32_e32 v7, 29, v7
	v_lshlrev_b64 v[17:18], v9, v[5:6]
	v_and_b32_e32 v5, 7, v17
; %bb.470:                              ;   in Loop: Header=BB209_362 Depth=1
	s_or_b32 exec_lo, exec_lo, s22
	v_lshlrev_b32_e32 v9, 24, v63
	v_lshlrev_b32_e32 v5, 20, v5
	v_lshl_add_u32 v7, v7, 23, 0x3c000000
	v_and_b32_e32 v9, 0x80000000, v9
	v_or3_b32 v5, v5, v9, v7
	v_mov_b32_e32 v18, v6
	v_mov_b32_e32 v17, v5
.LBB209_471:                            ;   in Loop: Header=BB209_362 Depth=1
	s_or_b32 exec_lo, exec_lo, s21
.LBB209_472:                            ;   in Loop: Header=BB209_362 Depth=1
	s_or_b32 exec_lo, exec_lo, s18
.LBB209_473:                            ;   in Loop: Header=BB209_362 Depth=1
	s_or_b32 exec_lo, exec_lo, s17
	v_cmp_ne_u16_sdwa s0, v63, v6 src0_sel:BYTE_1 src1_sel:DWORD
	s_and_saveexec_b32 s17, s0
	s_cbranch_execz .LBB209_481
; %bb.474:                              ;   in Loop: Header=BB209_362 Depth=1
	v_mov_b32_e32 v7, v6
	v_mov_b32_e32 v20, v8
	v_cmp_ne_u16_sdwa s0, v63, v39 src0_sel:BYTE_1 src1_sel:DWORD
	v_mov_b32_e32 v19, v7
	s_and_saveexec_b32 s18, s0
	s_cbranch_execz .LBB209_480
; %bb.475:                              ;   in Loop: Header=BB209_362 Depth=1
	v_and_b32_sdwa v5, v40, v63 dst_sel:DWORD dst_unused:UNUSED_PAD src0_sel:DWORD src1_sel:BYTE_1
	v_mov_b32_e32 v9, v6
	v_mov_b32_e32 v20, v10
	s_mov_b32 s21, exec_lo
	v_and_b32_e32 v21, 0x7f, v5
	v_mov_b32_e32 v19, v9
	v_cmpx_ne_u32_e32 0x7f, v21
	s_cbranch_execz .LBB209_479
; %bb.476:                              ;   in Loop: Header=BB209_362 Depth=1
	v_and_b32_e32 v5, 7, v5
	v_lshrrev_b32_e32 v7, 3, v21
	s_mov_b32 s22, exec_lo
	v_cmpx_gt_u32_e32 8, v21
; %bb.477:                              ;   in Loop: Header=BB209_362 Depth=1
	v_ffbh_u32_e32 v7, v5
	v_min_u32_e32 v7, 32, v7
	v_subrev_nc_u32_e32 v9, 28, v7
	v_sub_nc_u32_e32 v7, 29, v7
	v_lshlrev_b64 v[19:20], v9, v[5:6]
	v_and_b32_e32 v5, 7, v19
; %bb.478:                              ;   in Loop: Header=BB209_362 Depth=1
	s_or_b32 exec_lo, exec_lo, s22
	v_lshlrev_b32_e32 v9, 16, v63
	v_lshlrev_b32_e32 v5, 20, v5
	v_lshl_add_u32 v7, v7, 23, 0x3c000000
	v_mov_b32_e32 v19, v6
	v_and_b32_e32 v9, 0x80000000, v9
	v_or3_b32 v20, v5, v9, v7
.LBB209_479:                            ;   in Loop: Header=BB209_362 Depth=1
	s_or_b32 exec_lo, exec_lo, s21
.LBB209_480:                            ;   in Loop: Header=BB209_362 Depth=1
	s_or_b32 exec_lo, exec_lo, s18
.LBB209_481:                            ;   in Loop: Header=BB209_362 Depth=1
	s_or_b32 exec_lo, exec_lo, s17
	v_mov_b32_e32 v23, 0
	v_mov_b32_e32 v21, 0
	v_and_b32_sdwa v5, v63, v42 dst_sel:DWORD dst_unused:UNUSED_PAD src0_sel:WORD_1 src1_sel:DWORD
	v_mov_b32_e32 v24, 0
	v_mov_b32_e32 v22, 0
	s_mov_b32 s17, exec_lo
	v_cmpx_ne_u16_e32 0, v5
	s_cbranch_execz .LBB209_489
; %bb.482:                              ;   in Loop: Header=BB209_362 Depth=1
	v_bfrev_b32_e32 v21, 1
	v_mov_b32_e32 v22, 0
	s_mov_b32 s18, exec_lo
	v_cmpx_ne_u16_e32 0x80, v5
	s_cbranch_execz .LBB209_488
; %bb.483:                              ;   in Loop: Header=BB209_362 Depth=1
	v_mov_b32_e32 v21, 0x7f800001
	v_bfe_u32 v9, v63, 16, 7
	v_mov_b32_e32 v22, 0
	s_mov_b32 s21, exec_lo
	v_cmpx_ne_u32_e32 0x7f, v9
	s_cbranch_execz .LBB209_487
; %bb.484:                              ;   in Loop: Header=BB209_362 Depth=1
	v_and_b32_sdwa v5, v63, v43 dst_sel:DWORD dst_unused:UNUSED_PAD src0_sel:WORD_1 src1_sel:DWORD
	v_lshrrev_b32_e32 v7, 3, v9
	s_mov_b32 s22, exec_lo
	v_cmpx_gt_u32_e32 8, v9
; %bb.485:                              ;   in Loop: Header=BB209_362 Depth=1
	v_ffbh_u32_e32 v7, v5
	v_min_u32_e32 v7, 32, v7
	v_subrev_nc_u32_e32 v9, 28, v7
	v_sub_nc_u32_e32 v7, 29, v7
	v_lshlrev_b64 v[21:22], v9, v[5:6]
	v_and_b32_e32 v5, 7, v21
; %bb.486:                              ;   in Loop: Header=BB209_362 Depth=1
	s_or_b32 exec_lo, exec_lo, s22
	v_lshlrev_b32_sdwa v9, v44, v63 dst_sel:DWORD dst_unused:UNUSED_PAD src0_sel:DWORD src1_sel:WORD_1
	v_lshlrev_b32_e32 v5, 20, v5
	v_lshl_add_u32 v7, v7, 23, 0x3c000000
	v_and_b32_e32 v9, 0x80000000, v9
	v_or3_b32 v5, v5, v9, v7
	v_mov_b32_e32 v22, v6
	v_mov_b32_e32 v21, v5
.LBB209_487:                            ;   in Loop: Header=BB209_362 Depth=1
	s_or_b32 exec_lo, exec_lo, s21
.LBB209_488:                            ;   in Loop: Header=BB209_362 Depth=1
	s_or_b32 exec_lo, exec_lo, s18
.LBB209_489:                            ;   in Loop: Header=BB209_362 Depth=1
	s_or_b32 exec_lo, exec_lo, s17
	s_mov_b32 s17, exec_lo
	v_cmpx_lt_u32_e32 0xffffff, v63
	s_cbranch_execz .LBB209_497
; %bb.490:                              ;   in Loop: Header=BB209_362 Depth=1
	v_mov_b32_e32 v7, v6
	v_mov_b32_e32 v24, v8
	v_cmp_ne_u32_sdwa s0, v63, v39 src0_sel:BYTE_3 src1_sel:DWORD
	v_mov_b32_e32 v23, v7
	s_and_saveexec_b32 s18, s0
	s_cbranch_execz .LBB209_496
; %bb.491:                              ;   in Loop: Header=BB209_362 Depth=1
	v_mov_b32_e32 v9, v6
	v_mov_b32_e32 v24, v10
	v_bfe_u32 v64, v63, 24, 7
	s_mov_b32 s21, exec_lo
	v_mov_b32_e32 v23, v9
	v_cmpx_ne_u32_e32 0x7f, v64
	s_cbranch_execz .LBB209_495
; %bb.492:                              ;   in Loop: Header=BB209_362 Depth=1
	v_and_b32_sdwa v5, v63, v43 dst_sel:DWORD dst_unused:UNUSED_PAD src0_sel:BYTE_3 src1_sel:DWORD
	v_lshrrev_b32_e32 v7, 3, v64
	s_mov_b32 s22, exec_lo
	v_cmpx_gt_u32_e32 8, v64
; %bb.493:                              ;   in Loop: Header=BB209_362 Depth=1
	v_ffbh_u32_e32 v7, v5
	v_min_u32_e32 v7, 32, v7
	v_subrev_nc_u32_e32 v9, 28, v7
	v_sub_nc_u32_e32 v7, 29, v7
	v_lshlrev_b64 v[23:24], v9, v[5:6]
	v_and_b32_e32 v5, 7, v23
; %bb.494:                              ;   in Loop: Header=BB209_362 Depth=1
	s_or_b32 exec_lo, exec_lo, s22
	v_lshlrev_b32_sdwa v9, v44, v63 dst_sel:DWORD dst_unused:UNUSED_PAD src0_sel:DWORD src1_sel:BYTE_3
	v_lshlrev_b32_e32 v5, 20, v5
	v_lshl_add_u32 v7, v7, 23, 0x3c000000
	v_mov_b32_e32 v23, v6
	v_and_b32_e32 v9, 0x80000000, v9
	v_or3_b32 v24, v5, v9, v7
.LBB209_495:                            ;   in Loop: Header=BB209_362 Depth=1
	s_or_b32 exec_lo, exec_lo, s21
.LBB209_496:                            ;   in Loop: Header=BB209_362 Depth=1
	s_or_b32 exec_lo, exec_lo, s18
.LBB209_497:                            ;   in Loop: Header=BB209_362 Depth=1
	s_or_b32 exec_lo, exec_lo, s17
	v_or_b32_e32 v5, v20, v18
	v_or_b32_e32 v7, v19, v17
	;; [unrolled: 1-line block ×4, first 2 shown]
	v_mul_f32_e32 v65, s13, v5
	v_mul_f32_e32 v66, s12, v7
	;; [unrolled: 1-line block ×4, first 2 shown]
	s_and_saveexec_b32 s17, vcc_lo
	s_cbranch_execz .LBB209_499
; %bb.498:                              ;   in Loop: Header=BB209_362 Depth=1
	v_cmp_gt_i32_e64 s0, s31, v51
	v_cndmask_b32_e64 v66, 0, v66, s0
	v_cmp_gt_i32_e64 s0, s31, v54
	v_cndmask_b32_e64 v65, 0, v65, s0
	;; [unrolled: 2-line block ×4, first 2 shown]
.LBB209_499:                            ;   in Loop: Header=BB209_362 Depth=1
	s_or_b32 exec_lo, exec_lo, s17
	global_load_dword v67, v[15:16], off offset:512
	v_mov_b32_e32 v19, 0
	v_mov_b32_e32 v17, 0
	;; [unrolled: 1-line block ×4, first 2 shown]
	s_waitcnt vmcnt(0)
	v_cmp_ne_u16_sdwa s0, v67, v6 src0_sel:BYTE_0 src1_sel:DWORD
	s_and_saveexec_b32 s17, s0
	s_cbranch_execz .LBB209_507
; %bb.500:                              ;   in Loop: Header=BB209_362 Depth=1
	v_bfrev_b32_e32 v17, 1
	v_mov_b32_e32 v18, 0
	v_cmp_ne_u16_sdwa s0, v67, v39 src0_sel:BYTE_0 src1_sel:DWORD
	s_and_saveexec_b32 s18, s0
	s_cbranch_execz .LBB209_506
; %bb.501:                              ;   in Loop: Header=BB209_362 Depth=1
	v_mov_b32_e32 v17, 0x7f800001
	v_and_b32_e32 v9, 0x7f, v67
	v_mov_b32_e32 v18, 0
	s_mov_b32 s21, exec_lo
	v_cmpx_ne_u32_e32 0x7f, v9
	s_cbranch_execz .LBB209_505
; %bb.502:                              ;   in Loop: Header=BB209_362 Depth=1
	v_and_b32_e32 v5, 7, v67
	v_lshrrev_b32_e32 v7, 3, v9
	s_mov_b32 s22, exec_lo
	v_cmpx_gt_u32_e32 8, v9
; %bb.503:                              ;   in Loop: Header=BB209_362 Depth=1
	v_ffbh_u32_e32 v7, v5
	v_min_u32_e32 v7, 32, v7
	v_subrev_nc_u32_e32 v9, 28, v7
	v_sub_nc_u32_e32 v7, 29, v7
	v_lshlrev_b64 v[17:18], v9, v[5:6]
	v_and_b32_e32 v5, 7, v17
; %bb.504:                              ;   in Loop: Header=BB209_362 Depth=1
	s_or_b32 exec_lo, exec_lo, s22
	v_lshlrev_b32_e32 v9, 24, v67
	v_lshlrev_b32_e32 v5, 20, v5
	v_lshl_add_u32 v7, v7, 23, 0x3c000000
	v_and_b32_e32 v9, 0x80000000, v9
	v_or3_b32 v5, v5, v9, v7
	v_mov_b32_e32 v18, v6
	v_mov_b32_e32 v17, v5
.LBB209_505:                            ;   in Loop: Header=BB209_362 Depth=1
	s_or_b32 exec_lo, exec_lo, s21
.LBB209_506:                            ;   in Loop: Header=BB209_362 Depth=1
	s_or_b32 exec_lo, exec_lo, s18
.LBB209_507:                            ;   in Loop: Header=BB209_362 Depth=1
	s_or_b32 exec_lo, exec_lo, s17
	v_cmp_ne_u16_sdwa s0, v67, v6 src0_sel:BYTE_1 src1_sel:DWORD
	s_and_saveexec_b32 s17, s0
	s_cbranch_execz .LBB209_515
; %bb.508:                              ;   in Loop: Header=BB209_362 Depth=1
	v_mov_b32_e32 v7, v6
	v_mov_b32_e32 v20, v8
	v_cmp_ne_u16_sdwa s0, v67, v39 src0_sel:BYTE_1 src1_sel:DWORD
	v_mov_b32_e32 v19, v7
	s_and_saveexec_b32 s18, s0
	s_cbranch_execz .LBB209_514
; %bb.509:                              ;   in Loop: Header=BB209_362 Depth=1
	v_and_b32_sdwa v5, v40, v67 dst_sel:DWORD dst_unused:UNUSED_PAD src0_sel:DWORD src1_sel:BYTE_1
	v_mov_b32_e32 v9, v6
	v_mov_b32_e32 v20, v10
	s_mov_b32 s21, exec_lo
	v_and_b32_e32 v21, 0x7f, v5
	v_mov_b32_e32 v19, v9
	v_cmpx_ne_u32_e32 0x7f, v21
	s_cbranch_execz .LBB209_513
; %bb.510:                              ;   in Loop: Header=BB209_362 Depth=1
	v_and_b32_e32 v5, 7, v5
	v_lshrrev_b32_e32 v7, 3, v21
	s_mov_b32 s22, exec_lo
	v_cmpx_gt_u32_e32 8, v21
; %bb.511:                              ;   in Loop: Header=BB209_362 Depth=1
	v_ffbh_u32_e32 v7, v5
	v_min_u32_e32 v7, 32, v7
	v_subrev_nc_u32_e32 v9, 28, v7
	v_sub_nc_u32_e32 v7, 29, v7
	v_lshlrev_b64 v[19:20], v9, v[5:6]
	v_and_b32_e32 v5, 7, v19
; %bb.512:                              ;   in Loop: Header=BB209_362 Depth=1
	s_or_b32 exec_lo, exec_lo, s22
	v_lshlrev_b32_e32 v9, 16, v67
	v_lshlrev_b32_e32 v5, 20, v5
	v_lshl_add_u32 v7, v7, 23, 0x3c000000
	v_mov_b32_e32 v19, v6
	v_and_b32_e32 v9, 0x80000000, v9
	v_or3_b32 v20, v5, v9, v7
.LBB209_513:                            ;   in Loop: Header=BB209_362 Depth=1
	s_or_b32 exec_lo, exec_lo, s21
.LBB209_514:                            ;   in Loop: Header=BB209_362 Depth=1
	s_or_b32 exec_lo, exec_lo, s18
.LBB209_515:                            ;   in Loop: Header=BB209_362 Depth=1
	s_or_b32 exec_lo, exec_lo, s17
	v_mov_b32_e32 v23, 0
	v_mov_b32_e32 v21, 0
	v_and_b32_sdwa v5, v67, v42 dst_sel:DWORD dst_unused:UNUSED_PAD src0_sel:WORD_1 src1_sel:DWORD
	v_mov_b32_e32 v24, 0
	v_mov_b32_e32 v22, 0
	s_mov_b32 s17, exec_lo
	v_cmpx_ne_u16_e32 0, v5
	s_cbranch_execz .LBB209_523
; %bb.516:                              ;   in Loop: Header=BB209_362 Depth=1
	v_bfrev_b32_e32 v21, 1
	v_mov_b32_e32 v22, 0
	s_mov_b32 s18, exec_lo
	v_cmpx_ne_u16_e32 0x80, v5
	s_cbranch_execz .LBB209_522
; %bb.517:                              ;   in Loop: Header=BB209_362 Depth=1
	v_mov_b32_e32 v21, 0x7f800001
	v_bfe_u32 v9, v67, 16, 7
	v_mov_b32_e32 v22, 0
	s_mov_b32 s21, exec_lo
	v_cmpx_ne_u32_e32 0x7f, v9
	s_cbranch_execz .LBB209_521
; %bb.518:                              ;   in Loop: Header=BB209_362 Depth=1
	v_and_b32_sdwa v5, v67, v43 dst_sel:DWORD dst_unused:UNUSED_PAD src0_sel:WORD_1 src1_sel:DWORD
	v_lshrrev_b32_e32 v7, 3, v9
	s_mov_b32 s22, exec_lo
	v_cmpx_gt_u32_e32 8, v9
; %bb.519:                              ;   in Loop: Header=BB209_362 Depth=1
	v_ffbh_u32_e32 v7, v5
	v_min_u32_e32 v7, 32, v7
	v_subrev_nc_u32_e32 v9, 28, v7
	v_sub_nc_u32_e32 v7, 29, v7
	v_lshlrev_b64 v[21:22], v9, v[5:6]
	v_and_b32_e32 v5, 7, v21
; %bb.520:                              ;   in Loop: Header=BB209_362 Depth=1
	s_or_b32 exec_lo, exec_lo, s22
	v_lshlrev_b32_sdwa v9, v44, v67 dst_sel:DWORD dst_unused:UNUSED_PAD src0_sel:DWORD src1_sel:WORD_1
	v_lshlrev_b32_e32 v5, 20, v5
	v_lshl_add_u32 v7, v7, 23, 0x3c000000
	v_and_b32_e32 v9, 0x80000000, v9
	v_or3_b32 v5, v5, v9, v7
	v_mov_b32_e32 v22, v6
	v_mov_b32_e32 v21, v5
.LBB209_521:                            ;   in Loop: Header=BB209_362 Depth=1
	s_or_b32 exec_lo, exec_lo, s21
.LBB209_522:                            ;   in Loop: Header=BB209_362 Depth=1
	s_or_b32 exec_lo, exec_lo, s18
.LBB209_523:                            ;   in Loop: Header=BB209_362 Depth=1
	s_or_b32 exec_lo, exec_lo, s17
	s_mov_b32 s17, exec_lo
	v_cmpx_lt_u32_e32 0xffffff, v67
	s_cbranch_execz .LBB209_531
; %bb.524:                              ;   in Loop: Header=BB209_362 Depth=1
	v_mov_b32_e32 v7, v6
	v_mov_b32_e32 v24, v8
	v_cmp_ne_u32_sdwa s0, v67, v39 src0_sel:BYTE_3 src1_sel:DWORD
	v_mov_b32_e32 v23, v7
	s_and_saveexec_b32 s18, s0
	s_cbranch_execz .LBB209_530
; %bb.525:                              ;   in Loop: Header=BB209_362 Depth=1
	v_mov_b32_e32 v9, v6
	v_mov_b32_e32 v24, v10
	v_bfe_u32 v68, v67, 24, 7
	s_mov_b32 s21, exec_lo
	v_mov_b32_e32 v23, v9
	v_cmpx_ne_u32_e32 0x7f, v68
	s_cbranch_execz .LBB209_529
; %bb.526:                              ;   in Loop: Header=BB209_362 Depth=1
	v_and_b32_sdwa v5, v67, v43 dst_sel:DWORD dst_unused:UNUSED_PAD src0_sel:BYTE_3 src1_sel:DWORD
	v_lshrrev_b32_e32 v7, 3, v68
	s_mov_b32 s22, exec_lo
	v_cmpx_gt_u32_e32 8, v68
; %bb.527:                              ;   in Loop: Header=BB209_362 Depth=1
	v_ffbh_u32_e32 v7, v5
	v_min_u32_e32 v7, 32, v7
	v_subrev_nc_u32_e32 v9, 28, v7
	v_sub_nc_u32_e32 v7, 29, v7
	v_lshlrev_b64 v[23:24], v9, v[5:6]
	v_and_b32_e32 v5, 7, v23
; %bb.528:                              ;   in Loop: Header=BB209_362 Depth=1
	s_or_b32 exec_lo, exec_lo, s22
	v_lshlrev_b32_sdwa v9, v44, v67 dst_sel:DWORD dst_unused:UNUSED_PAD src0_sel:DWORD src1_sel:BYTE_3
	v_lshlrev_b32_e32 v5, 20, v5
	v_lshl_add_u32 v7, v7, 23, 0x3c000000
	v_mov_b32_e32 v23, v6
	v_and_b32_e32 v9, 0x80000000, v9
	v_or3_b32 v24, v5, v9, v7
.LBB209_529:                            ;   in Loop: Header=BB209_362 Depth=1
	s_or_b32 exec_lo, exec_lo, s21
.LBB209_530:                            ;   in Loop: Header=BB209_362 Depth=1
	s_or_b32 exec_lo, exec_lo, s18
.LBB209_531:                            ;   in Loop: Header=BB209_362 Depth=1
	s_or_b32 exec_lo, exec_lo, s17
	v_or_b32_e32 v5, v20, v18
	v_or_b32_e32 v7, v19, v17
	;; [unrolled: 1-line block ×4, first 2 shown]
	v_mul_f32_e32 v69, s13, v5
	v_mul_f32_e32 v70, s12, v7
	;; [unrolled: 1-line block ×4, first 2 shown]
	s_and_saveexec_b32 s17, vcc_lo
	s_cbranch_execz .LBB209_533
; %bb.532:                              ;   in Loop: Header=BB209_362 Depth=1
	v_cmp_gt_i32_e64 s0, s31, v51
	v_cndmask_b32_e64 v70, 0, v70, s0
	v_cmp_gt_i32_e64 s0, s31, v54
	v_cndmask_b32_e64 v69, 0, v69, s0
	;; [unrolled: 2-line block ×4, first 2 shown]
.LBB209_533:                            ;   in Loop: Header=BB209_362 Depth=1
	s_or_b32 exec_lo, exec_lo, s17
	global_load_dword v71, v[15:16], off offset:640
	v_mov_b32_e32 v19, 0
	v_mov_b32_e32 v17, 0
	;; [unrolled: 1-line block ×4, first 2 shown]
	s_waitcnt vmcnt(0)
	v_cmp_ne_u16_sdwa s0, v71, v6 src0_sel:BYTE_0 src1_sel:DWORD
	s_and_saveexec_b32 s17, s0
	s_cbranch_execz .LBB209_541
; %bb.534:                              ;   in Loop: Header=BB209_362 Depth=1
	v_bfrev_b32_e32 v17, 1
	v_mov_b32_e32 v18, 0
	v_cmp_ne_u16_sdwa s0, v71, v39 src0_sel:BYTE_0 src1_sel:DWORD
	s_and_saveexec_b32 s18, s0
	s_cbranch_execz .LBB209_540
; %bb.535:                              ;   in Loop: Header=BB209_362 Depth=1
	v_mov_b32_e32 v17, 0x7f800001
	v_and_b32_e32 v9, 0x7f, v71
	v_mov_b32_e32 v18, 0
	s_mov_b32 s21, exec_lo
	v_cmpx_ne_u32_e32 0x7f, v9
	s_cbranch_execz .LBB209_539
; %bb.536:                              ;   in Loop: Header=BB209_362 Depth=1
	v_and_b32_e32 v5, 7, v71
	v_lshrrev_b32_e32 v7, 3, v9
	s_mov_b32 s22, exec_lo
	v_cmpx_gt_u32_e32 8, v9
; %bb.537:                              ;   in Loop: Header=BB209_362 Depth=1
	v_ffbh_u32_e32 v7, v5
	v_min_u32_e32 v7, 32, v7
	v_subrev_nc_u32_e32 v9, 28, v7
	v_sub_nc_u32_e32 v7, 29, v7
	v_lshlrev_b64 v[17:18], v9, v[5:6]
	v_and_b32_e32 v5, 7, v17
; %bb.538:                              ;   in Loop: Header=BB209_362 Depth=1
	s_or_b32 exec_lo, exec_lo, s22
	v_lshlrev_b32_e32 v9, 24, v71
	v_lshlrev_b32_e32 v5, 20, v5
	v_lshl_add_u32 v7, v7, 23, 0x3c000000
	v_and_b32_e32 v9, 0x80000000, v9
	v_or3_b32 v5, v5, v9, v7
	v_mov_b32_e32 v18, v6
	v_mov_b32_e32 v17, v5
.LBB209_539:                            ;   in Loop: Header=BB209_362 Depth=1
	s_or_b32 exec_lo, exec_lo, s21
.LBB209_540:                            ;   in Loop: Header=BB209_362 Depth=1
	s_or_b32 exec_lo, exec_lo, s18
.LBB209_541:                            ;   in Loop: Header=BB209_362 Depth=1
	s_or_b32 exec_lo, exec_lo, s17
	v_cmp_ne_u16_sdwa s0, v71, v6 src0_sel:BYTE_1 src1_sel:DWORD
	s_and_saveexec_b32 s17, s0
	s_cbranch_execz .LBB209_549
; %bb.542:                              ;   in Loop: Header=BB209_362 Depth=1
	v_mov_b32_e32 v7, v6
	v_mov_b32_e32 v20, v8
	v_cmp_ne_u16_sdwa s0, v71, v39 src0_sel:BYTE_1 src1_sel:DWORD
	v_mov_b32_e32 v19, v7
	s_and_saveexec_b32 s18, s0
	s_cbranch_execz .LBB209_548
; %bb.543:                              ;   in Loop: Header=BB209_362 Depth=1
	v_and_b32_sdwa v5, v40, v71 dst_sel:DWORD dst_unused:UNUSED_PAD src0_sel:DWORD src1_sel:BYTE_1
	v_mov_b32_e32 v9, v6
	v_mov_b32_e32 v20, v10
	s_mov_b32 s21, exec_lo
	v_and_b32_e32 v21, 0x7f, v5
	v_mov_b32_e32 v19, v9
	v_cmpx_ne_u32_e32 0x7f, v21
	s_cbranch_execz .LBB209_547
; %bb.544:                              ;   in Loop: Header=BB209_362 Depth=1
	v_and_b32_e32 v5, 7, v5
	v_lshrrev_b32_e32 v7, 3, v21
	s_mov_b32 s22, exec_lo
	v_cmpx_gt_u32_e32 8, v21
; %bb.545:                              ;   in Loop: Header=BB209_362 Depth=1
	v_ffbh_u32_e32 v7, v5
	v_min_u32_e32 v7, 32, v7
	v_subrev_nc_u32_e32 v9, 28, v7
	v_sub_nc_u32_e32 v7, 29, v7
	v_lshlrev_b64 v[19:20], v9, v[5:6]
	v_and_b32_e32 v5, 7, v19
; %bb.546:                              ;   in Loop: Header=BB209_362 Depth=1
	s_or_b32 exec_lo, exec_lo, s22
	v_lshlrev_b32_e32 v9, 16, v71
	v_lshlrev_b32_e32 v5, 20, v5
	v_lshl_add_u32 v7, v7, 23, 0x3c000000
	v_mov_b32_e32 v19, v6
	v_and_b32_e32 v9, 0x80000000, v9
	v_or3_b32 v20, v5, v9, v7
.LBB209_547:                            ;   in Loop: Header=BB209_362 Depth=1
	s_or_b32 exec_lo, exec_lo, s21
.LBB209_548:                            ;   in Loop: Header=BB209_362 Depth=1
	s_or_b32 exec_lo, exec_lo, s18
.LBB209_549:                            ;   in Loop: Header=BB209_362 Depth=1
	s_or_b32 exec_lo, exec_lo, s17
	v_mov_b32_e32 v23, 0
	v_mov_b32_e32 v21, 0
	v_and_b32_sdwa v5, v71, v42 dst_sel:DWORD dst_unused:UNUSED_PAD src0_sel:WORD_1 src1_sel:DWORD
	v_mov_b32_e32 v24, 0
	v_mov_b32_e32 v22, 0
	s_mov_b32 s17, exec_lo
	v_cmpx_ne_u16_e32 0, v5
	s_cbranch_execz .LBB209_557
; %bb.550:                              ;   in Loop: Header=BB209_362 Depth=1
	v_bfrev_b32_e32 v21, 1
	v_mov_b32_e32 v22, 0
	s_mov_b32 s18, exec_lo
	v_cmpx_ne_u16_e32 0x80, v5
	s_cbranch_execz .LBB209_556
; %bb.551:                              ;   in Loop: Header=BB209_362 Depth=1
	v_mov_b32_e32 v21, 0x7f800001
	v_bfe_u32 v9, v71, 16, 7
	v_mov_b32_e32 v22, 0
	s_mov_b32 s21, exec_lo
	v_cmpx_ne_u32_e32 0x7f, v9
	s_cbranch_execz .LBB209_555
; %bb.552:                              ;   in Loop: Header=BB209_362 Depth=1
	v_and_b32_sdwa v5, v71, v43 dst_sel:DWORD dst_unused:UNUSED_PAD src0_sel:WORD_1 src1_sel:DWORD
	v_lshrrev_b32_e32 v7, 3, v9
	s_mov_b32 s22, exec_lo
	v_cmpx_gt_u32_e32 8, v9
; %bb.553:                              ;   in Loop: Header=BB209_362 Depth=1
	v_ffbh_u32_e32 v7, v5
	v_min_u32_e32 v7, 32, v7
	v_subrev_nc_u32_e32 v9, 28, v7
	v_sub_nc_u32_e32 v7, 29, v7
	v_lshlrev_b64 v[21:22], v9, v[5:6]
	v_and_b32_e32 v5, 7, v21
; %bb.554:                              ;   in Loop: Header=BB209_362 Depth=1
	s_or_b32 exec_lo, exec_lo, s22
	v_lshlrev_b32_sdwa v9, v44, v71 dst_sel:DWORD dst_unused:UNUSED_PAD src0_sel:DWORD src1_sel:WORD_1
	v_lshlrev_b32_e32 v5, 20, v5
	v_lshl_add_u32 v7, v7, 23, 0x3c000000
	v_and_b32_e32 v9, 0x80000000, v9
	v_or3_b32 v5, v5, v9, v7
	v_mov_b32_e32 v22, v6
	v_mov_b32_e32 v21, v5
.LBB209_555:                            ;   in Loop: Header=BB209_362 Depth=1
	s_or_b32 exec_lo, exec_lo, s21
.LBB209_556:                            ;   in Loop: Header=BB209_362 Depth=1
	s_or_b32 exec_lo, exec_lo, s18
.LBB209_557:                            ;   in Loop: Header=BB209_362 Depth=1
	s_or_b32 exec_lo, exec_lo, s17
	s_mov_b32 s17, exec_lo
	v_cmpx_lt_u32_e32 0xffffff, v71
	s_cbranch_execz .LBB209_565
; %bb.558:                              ;   in Loop: Header=BB209_362 Depth=1
	v_mov_b32_e32 v7, v6
	v_mov_b32_e32 v24, v8
	v_cmp_ne_u32_sdwa s0, v71, v39 src0_sel:BYTE_3 src1_sel:DWORD
	v_mov_b32_e32 v23, v7
	s_and_saveexec_b32 s18, s0
	s_cbranch_execz .LBB209_564
; %bb.559:                              ;   in Loop: Header=BB209_362 Depth=1
	v_mov_b32_e32 v9, v6
	v_mov_b32_e32 v24, v10
	v_bfe_u32 v72, v71, 24, 7
	s_mov_b32 s21, exec_lo
	v_mov_b32_e32 v23, v9
	v_cmpx_ne_u32_e32 0x7f, v72
	s_cbranch_execz .LBB209_563
; %bb.560:                              ;   in Loop: Header=BB209_362 Depth=1
	v_and_b32_sdwa v5, v71, v43 dst_sel:DWORD dst_unused:UNUSED_PAD src0_sel:BYTE_3 src1_sel:DWORD
	v_lshrrev_b32_e32 v7, 3, v72
	s_mov_b32 s22, exec_lo
	v_cmpx_gt_u32_e32 8, v72
; %bb.561:                              ;   in Loop: Header=BB209_362 Depth=1
	v_ffbh_u32_e32 v7, v5
	v_min_u32_e32 v7, 32, v7
	v_subrev_nc_u32_e32 v9, 28, v7
	v_sub_nc_u32_e32 v7, 29, v7
	v_lshlrev_b64 v[23:24], v9, v[5:6]
	v_and_b32_e32 v5, 7, v23
; %bb.562:                              ;   in Loop: Header=BB209_362 Depth=1
	s_or_b32 exec_lo, exec_lo, s22
	v_lshlrev_b32_sdwa v9, v44, v71 dst_sel:DWORD dst_unused:UNUSED_PAD src0_sel:DWORD src1_sel:BYTE_3
	v_lshlrev_b32_e32 v5, 20, v5
	v_lshl_add_u32 v7, v7, 23, 0x3c000000
	v_mov_b32_e32 v23, v6
	v_and_b32_e32 v9, 0x80000000, v9
	v_or3_b32 v24, v5, v9, v7
.LBB209_563:                            ;   in Loop: Header=BB209_362 Depth=1
	s_or_b32 exec_lo, exec_lo, s21
.LBB209_564:                            ;   in Loop: Header=BB209_362 Depth=1
	s_or_b32 exec_lo, exec_lo, s18
.LBB209_565:                            ;   in Loop: Header=BB209_362 Depth=1
	s_or_b32 exec_lo, exec_lo, s17
	v_or_b32_e32 v5, v20, v18
	v_or_b32_e32 v7, v19, v17
	;; [unrolled: 1-line block ×4, first 2 shown]
	v_mul_f32_e32 v73, s13, v5
	v_mul_f32_e32 v74, s12, v7
	;; [unrolled: 1-line block ×4, first 2 shown]
	s_and_saveexec_b32 s17, vcc_lo
	s_cbranch_execz .LBB209_567
; %bb.566:                              ;   in Loop: Header=BB209_362 Depth=1
	v_cmp_gt_i32_e64 s0, s31, v51
	v_cndmask_b32_e64 v74, 0, v74, s0
	v_cmp_gt_i32_e64 s0, s31, v54
	v_cndmask_b32_e64 v73, 0, v73, s0
	;; [unrolled: 2-line block ×4, first 2 shown]
.LBB209_567:                            ;   in Loop: Header=BB209_362 Depth=1
	s_or_b32 exec_lo, exec_lo, s17
	global_load_dword v75, v[15:16], off offset:768
	v_mov_b32_e32 v19, 0
	v_mov_b32_e32 v17, 0
	;; [unrolled: 1-line block ×4, first 2 shown]
	s_waitcnt vmcnt(0)
	v_cmp_ne_u16_sdwa s0, v75, v6 src0_sel:BYTE_0 src1_sel:DWORD
	s_and_saveexec_b32 s17, s0
	s_cbranch_execz .LBB209_575
; %bb.568:                              ;   in Loop: Header=BB209_362 Depth=1
	v_bfrev_b32_e32 v17, 1
	v_mov_b32_e32 v18, 0
	v_cmp_ne_u16_sdwa s0, v75, v39 src0_sel:BYTE_0 src1_sel:DWORD
	s_and_saveexec_b32 s18, s0
	s_cbranch_execz .LBB209_574
; %bb.569:                              ;   in Loop: Header=BB209_362 Depth=1
	v_mov_b32_e32 v17, 0x7f800001
	v_and_b32_e32 v9, 0x7f, v75
	v_mov_b32_e32 v18, 0
	s_mov_b32 s21, exec_lo
	v_cmpx_ne_u32_e32 0x7f, v9
	s_cbranch_execz .LBB209_573
; %bb.570:                              ;   in Loop: Header=BB209_362 Depth=1
	v_and_b32_e32 v5, 7, v75
	v_lshrrev_b32_e32 v7, 3, v9
	s_mov_b32 s22, exec_lo
	v_cmpx_gt_u32_e32 8, v9
; %bb.571:                              ;   in Loop: Header=BB209_362 Depth=1
	v_ffbh_u32_e32 v7, v5
	v_min_u32_e32 v7, 32, v7
	v_subrev_nc_u32_e32 v9, 28, v7
	v_sub_nc_u32_e32 v7, 29, v7
	v_lshlrev_b64 v[17:18], v9, v[5:6]
	v_and_b32_e32 v5, 7, v17
; %bb.572:                              ;   in Loop: Header=BB209_362 Depth=1
	s_or_b32 exec_lo, exec_lo, s22
	v_lshlrev_b32_e32 v9, 24, v75
	v_lshlrev_b32_e32 v5, 20, v5
	v_lshl_add_u32 v7, v7, 23, 0x3c000000
	v_and_b32_e32 v9, 0x80000000, v9
	v_or3_b32 v5, v5, v9, v7
	v_mov_b32_e32 v18, v6
	v_mov_b32_e32 v17, v5
.LBB209_573:                            ;   in Loop: Header=BB209_362 Depth=1
	s_or_b32 exec_lo, exec_lo, s21
.LBB209_574:                            ;   in Loop: Header=BB209_362 Depth=1
	s_or_b32 exec_lo, exec_lo, s18
.LBB209_575:                            ;   in Loop: Header=BB209_362 Depth=1
	s_or_b32 exec_lo, exec_lo, s17
	v_cmp_ne_u16_sdwa s0, v75, v6 src0_sel:BYTE_1 src1_sel:DWORD
	s_and_saveexec_b32 s17, s0
	s_cbranch_execz .LBB209_583
; %bb.576:                              ;   in Loop: Header=BB209_362 Depth=1
	v_mov_b32_e32 v7, v6
	v_mov_b32_e32 v20, v8
	v_cmp_ne_u16_sdwa s0, v75, v39 src0_sel:BYTE_1 src1_sel:DWORD
	v_mov_b32_e32 v19, v7
	s_and_saveexec_b32 s18, s0
	s_cbranch_execz .LBB209_582
; %bb.577:                              ;   in Loop: Header=BB209_362 Depth=1
	v_and_b32_sdwa v5, v40, v75 dst_sel:DWORD dst_unused:UNUSED_PAD src0_sel:DWORD src1_sel:BYTE_1
	v_mov_b32_e32 v9, v6
	v_mov_b32_e32 v20, v10
	s_mov_b32 s21, exec_lo
	v_and_b32_e32 v21, 0x7f, v5
	v_mov_b32_e32 v19, v9
	v_cmpx_ne_u32_e32 0x7f, v21
	s_cbranch_execz .LBB209_581
; %bb.578:                              ;   in Loop: Header=BB209_362 Depth=1
	v_and_b32_e32 v5, 7, v5
	v_lshrrev_b32_e32 v7, 3, v21
	s_mov_b32 s22, exec_lo
	v_cmpx_gt_u32_e32 8, v21
; %bb.579:                              ;   in Loop: Header=BB209_362 Depth=1
	v_ffbh_u32_e32 v7, v5
	v_min_u32_e32 v7, 32, v7
	v_subrev_nc_u32_e32 v9, 28, v7
	v_sub_nc_u32_e32 v7, 29, v7
	v_lshlrev_b64 v[19:20], v9, v[5:6]
	v_and_b32_e32 v5, 7, v19
; %bb.580:                              ;   in Loop: Header=BB209_362 Depth=1
	s_or_b32 exec_lo, exec_lo, s22
	v_lshlrev_b32_e32 v9, 16, v75
	v_lshlrev_b32_e32 v5, 20, v5
	v_lshl_add_u32 v7, v7, 23, 0x3c000000
	v_mov_b32_e32 v19, v6
	v_and_b32_e32 v9, 0x80000000, v9
	v_or3_b32 v20, v5, v9, v7
.LBB209_581:                            ;   in Loop: Header=BB209_362 Depth=1
	s_or_b32 exec_lo, exec_lo, s21
.LBB209_582:                            ;   in Loop: Header=BB209_362 Depth=1
	s_or_b32 exec_lo, exec_lo, s18
.LBB209_583:                            ;   in Loop: Header=BB209_362 Depth=1
	s_or_b32 exec_lo, exec_lo, s17
	v_mov_b32_e32 v23, 0
	v_mov_b32_e32 v21, 0
	v_and_b32_sdwa v5, v75, v42 dst_sel:DWORD dst_unused:UNUSED_PAD src0_sel:WORD_1 src1_sel:DWORD
	v_mov_b32_e32 v24, 0
	v_mov_b32_e32 v22, 0
	s_mov_b32 s17, exec_lo
	v_cmpx_ne_u16_e32 0, v5
	s_cbranch_execz .LBB209_591
; %bb.584:                              ;   in Loop: Header=BB209_362 Depth=1
	v_bfrev_b32_e32 v21, 1
	v_mov_b32_e32 v22, 0
	s_mov_b32 s18, exec_lo
	v_cmpx_ne_u16_e32 0x80, v5
	s_cbranch_execz .LBB209_590
; %bb.585:                              ;   in Loop: Header=BB209_362 Depth=1
	v_mov_b32_e32 v21, 0x7f800001
	v_bfe_u32 v9, v75, 16, 7
	v_mov_b32_e32 v22, 0
	s_mov_b32 s21, exec_lo
	v_cmpx_ne_u32_e32 0x7f, v9
	s_cbranch_execz .LBB209_589
; %bb.586:                              ;   in Loop: Header=BB209_362 Depth=1
	v_and_b32_sdwa v5, v75, v43 dst_sel:DWORD dst_unused:UNUSED_PAD src0_sel:WORD_1 src1_sel:DWORD
	v_lshrrev_b32_e32 v7, 3, v9
	s_mov_b32 s22, exec_lo
	v_cmpx_gt_u32_e32 8, v9
; %bb.587:                              ;   in Loop: Header=BB209_362 Depth=1
	v_ffbh_u32_e32 v7, v5
	v_min_u32_e32 v7, 32, v7
	v_subrev_nc_u32_e32 v9, 28, v7
	v_sub_nc_u32_e32 v7, 29, v7
	v_lshlrev_b64 v[21:22], v9, v[5:6]
	v_and_b32_e32 v5, 7, v21
; %bb.588:                              ;   in Loop: Header=BB209_362 Depth=1
	s_or_b32 exec_lo, exec_lo, s22
	v_lshlrev_b32_sdwa v9, v44, v75 dst_sel:DWORD dst_unused:UNUSED_PAD src0_sel:DWORD src1_sel:WORD_1
	v_lshlrev_b32_e32 v5, 20, v5
	v_lshl_add_u32 v7, v7, 23, 0x3c000000
	v_and_b32_e32 v9, 0x80000000, v9
	v_or3_b32 v5, v5, v9, v7
	v_mov_b32_e32 v22, v6
	v_mov_b32_e32 v21, v5
.LBB209_589:                            ;   in Loop: Header=BB209_362 Depth=1
	s_or_b32 exec_lo, exec_lo, s21
.LBB209_590:                            ;   in Loop: Header=BB209_362 Depth=1
	s_or_b32 exec_lo, exec_lo, s18
.LBB209_591:                            ;   in Loop: Header=BB209_362 Depth=1
	s_or_b32 exec_lo, exec_lo, s17
	s_mov_b32 s17, exec_lo
	v_cmpx_lt_u32_e32 0xffffff, v75
	s_cbranch_execz .LBB209_599
; %bb.592:                              ;   in Loop: Header=BB209_362 Depth=1
	v_mov_b32_e32 v7, v6
	v_mov_b32_e32 v24, v8
	v_cmp_ne_u32_sdwa s0, v75, v39 src0_sel:BYTE_3 src1_sel:DWORD
	v_mov_b32_e32 v23, v7
	s_and_saveexec_b32 s18, s0
	s_cbranch_execz .LBB209_598
; %bb.593:                              ;   in Loop: Header=BB209_362 Depth=1
	v_mov_b32_e32 v9, v6
	v_mov_b32_e32 v24, v10
	v_bfe_u32 v76, v75, 24, 7
	s_mov_b32 s21, exec_lo
	v_mov_b32_e32 v23, v9
	v_cmpx_ne_u32_e32 0x7f, v76
	s_cbranch_execz .LBB209_597
; %bb.594:                              ;   in Loop: Header=BB209_362 Depth=1
	v_and_b32_sdwa v5, v75, v43 dst_sel:DWORD dst_unused:UNUSED_PAD src0_sel:BYTE_3 src1_sel:DWORD
	v_lshrrev_b32_e32 v7, 3, v76
	s_mov_b32 s22, exec_lo
	v_cmpx_gt_u32_e32 8, v76
; %bb.595:                              ;   in Loop: Header=BB209_362 Depth=1
	v_ffbh_u32_e32 v7, v5
	v_min_u32_e32 v7, 32, v7
	v_subrev_nc_u32_e32 v9, 28, v7
	v_sub_nc_u32_e32 v7, 29, v7
	v_lshlrev_b64 v[23:24], v9, v[5:6]
	v_and_b32_e32 v5, 7, v23
; %bb.596:                              ;   in Loop: Header=BB209_362 Depth=1
	s_or_b32 exec_lo, exec_lo, s22
	v_lshlrev_b32_sdwa v9, v44, v75 dst_sel:DWORD dst_unused:UNUSED_PAD src0_sel:DWORD src1_sel:BYTE_3
	v_lshlrev_b32_e32 v5, 20, v5
	v_lshl_add_u32 v7, v7, 23, 0x3c000000
	v_mov_b32_e32 v23, v6
	v_and_b32_e32 v9, 0x80000000, v9
	v_or3_b32 v24, v5, v9, v7
.LBB209_597:                            ;   in Loop: Header=BB209_362 Depth=1
	s_or_b32 exec_lo, exec_lo, s21
.LBB209_598:                            ;   in Loop: Header=BB209_362 Depth=1
	s_or_b32 exec_lo, exec_lo, s18
.LBB209_599:                            ;   in Loop: Header=BB209_362 Depth=1
	s_or_b32 exec_lo, exec_lo, s17
	v_or_b32_e32 v5, v20, v18
	v_or_b32_e32 v7, v19, v17
	;; [unrolled: 1-line block ×4, first 2 shown]
	v_mul_f32_e32 v77, s13, v5
	v_mul_f32_e32 v78, s12, v7
	;; [unrolled: 1-line block ×4, first 2 shown]
	s_and_saveexec_b32 s17, vcc_lo
	s_cbranch_execz .LBB209_601
; %bb.600:                              ;   in Loop: Header=BB209_362 Depth=1
	v_cmp_gt_i32_e64 s0, s31, v51
	v_cndmask_b32_e64 v78, 0, v78, s0
	v_cmp_gt_i32_e64 s0, s31, v54
	v_cndmask_b32_e64 v77, 0, v77, s0
	;; [unrolled: 2-line block ×4, first 2 shown]
.LBB209_601:                            ;   in Loop: Header=BB209_362 Depth=1
	s_or_b32 exec_lo, exec_lo, s17
	global_load_dword v79, v[15:16], off offset:896
	v_mov_b32_e32 v19, 0
	v_mov_b32_e32 v17, 0
	;; [unrolled: 1-line block ×4, first 2 shown]
	s_waitcnt vmcnt(0)
	v_cmp_ne_u16_sdwa s0, v79, v6 src0_sel:BYTE_0 src1_sel:DWORD
	s_and_saveexec_b32 s17, s0
	s_cbranch_execz .LBB209_609
; %bb.602:                              ;   in Loop: Header=BB209_362 Depth=1
	v_bfrev_b32_e32 v17, 1
	v_mov_b32_e32 v18, 0
	v_cmp_ne_u16_sdwa s0, v79, v39 src0_sel:BYTE_0 src1_sel:DWORD
	s_and_saveexec_b32 s18, s0
	s_cbranch_execz .LBB209_608
; %bb.603:                              ;   in Loop: Header=BB209_362 Depth=1
	v_mov_b32_e32 v17, 0x7f800001
	v_and_b32_e32 v9, 0x7f, v79
	v_mov_b32_e32 v18, 0
	s_mov_b32 s21, exec_lo
	v_cmpx_ne_u32_e32 0x7f, v9
	s_cbranch_execz .LBB209_607
; %bb.604:                              ;   in Loop: Header=BB209_362 Depth=1
	v_and_b32_e32 v5, 7, v79
	v_lshrrev_b32_e32 v7, 3, v9
	s_mov_b32 s22, exec_lo
	v_cmpx_gt_u32_e32 8, v9
; %bb.605:                              ;   in Loop: Header=BB209_362 Depth=1
	v_ffbh_u32_e32 v7, v5
	v_min_u32_e32 v7, 32, v7
	v_subrev_nc_u32_e32 v9, 28, v7
	v_sub_nc_u32_e32 v7, 29, v7
	v_lshlrev_b64 v[17:18], v9, v[5:6]
	v_and_b32_e32 v5, 7, v17
; %bb.606:                              ;   in Loop: Header=BB209_362 Depth=1
	s_or_b32 exec_lo, exec_lo, s22
	v_lshlrev_b32_e32 v9, 24, v79
	v_lshlrev_b32_e32 v5, 20, v5
	v_lshl_add_u32 v7, v7, 23, 0x3c000000
	v_and_b32_e32 v9, 0x80000000, v9
	v_or3_b32 v5, v5, v9, v7
	v_mov_b32_e32 v18, v6
	v_mov_b32_e32 v17, v5
.LBB209_607:                            ;   in Loop: Header=BB209_362 Depth=1
	s_or_b32 exec_lo, exec_lo, s21
.LBB209_608:                            ;   in Loop: Header=BB209_362 Depth=1
	s_or_b32 exec_lo, exec_lo, s18
.LBB209_609:                            ;   in Loop: Header=BB209_362 Depth=1
	s_or_b32 exec_lo, exec_lo, s17
	v_cmp_ne_u16_sdwa s0, v79, v6 src0_sel:BYTE_1 src1_sel:DWORD
	s_and_saveexec_b32 s17, s0
	s_cbranch_execz .LBB209_617
; %bb.610:                              ;   in Loop: Header=BB209_362 Depth=1
	v_mov_b32_e32 v7, v6
	v_mov_b32_e32 v20, v8
	v_cmp_ne_u16_sdwa s0, v79, v39 src0_sel:BYTE_1 src1_sel:DWORD
	v_mov_b32_e32 v19, v7
	s_and_saveexec_b32 s18, s0
	s_cbranch_execz .LBB209_616
; %bb.611:                              ;   in Loop: Header=BB209_362 Depth=1
	v_and_b32_sdwa v5, v40, v79 dst_sel:DWORD dst_unused:UNUSED_PAD src0_sel:DWORD src1_sel:BYTE_1
	v_mov_b32_e32 v9, v6
	v_mov_b32_e32 v20, v10
	s_mov_b32 s21, exec_lo
	v_and_b32_e32 v21, 0x7f, v5
	v_mov_b32_e32 v19, v9
	v_cmpx_ne_u32_e32 0x7f, v21
	s_cbranch_execz .LBB209_615
; %bb.612:                              ;   in Loop: Header=BB209_362 Depth=1
	v_and_b32_e32 v5, 7, v5
	v_lshrrev_b32_e32 v7, 3, v21
	s_mov_b32 s22, exec_lo
	v_cmpx_gt_u32_e32 8, v21
; %bb.613:                              ;   in Loop: Header=BB209_362 Depth=1
	v_ffbh_u32_e32 v7, v5
	v_min_u32_e32 v7, 32, v7
	v_subrev_nc_u32_e32 v9, 28, v7
	v_sub_nc_u32_e32 v7, 29, v7
	v_lshlrev_b64 v[19:20], v9, v[5:6]
	v_and_b32_e32 v5, 7, v19
; %bb.614:                              ;   in Loop: Header=BB209_362 Depth=1
	s_or_b32 exec_lo, exec_lo, s22
	v_lshlrev_b32_e32 v9, 16, v79
	v_lshlrev_b32_e32 v5, 20, v5
	v_lshl_add_u32 v7, v7, 23, 0x3c000000
	v_mov_b32_e32 v19, v6
	v_and_b32_e32 v9, 0x80000000, v9
	v_or3_b32 v20, v5, v9, v7
.LBB209_615:                            ;   in Loop: Header=BB209_362 Depth=1
	s_or_b32 exec_lo, exec_lo, s21
.LBB209_616:                            ;   in Loop: Header=BB209_362 Depth=1
	s_or_b32 exec_lo, exec_lo, s18
.LBB209_617:                            ;   in Loop: Header=BB209_362 Depth=1
	s_or_b32 exec_lo, exec_lo, s17
	v_mov_b32_e32 v23, 0
	v_mov_b32_e32 v21, 0
	v_and_b32_sdwa v5, v79, v42 dst_sel:DWORD dst_unused:UNUSED_PAD src0_sel:WORD_1 src1_sel:DWORD
	v_mov_b32_e32 v24, 0
	v_mov_b32_e32 v22, 0
	s_mov_b32 s17, exec_lo
	v_cmpx_ne_u16_e32 0, v5
	s_cbranch_execz .LBB209_625
; %bb.618:                              ;   in Loop: Header=BB209_362 Depth=1
	v_bfrev_b32_e32 v21, 1
	v_mov_b32_e32 v22, 0
	s_mov_b32 s18, exec_lo
	v_cmpx_ne_u16_e32 0x80, v5
	s_cbranch_execz .LBB209_624
; %bb.619:                              ;   in Loop: Header=BB209_362 Depth=1
	v_mov_b32_e32 v21, 0x7f800001
	v_bfe_u32 v9, v79, 16, 7
	v_mov_b32_e32 v22, 0
	s_mov_b32 s21, exec_lo
	v_cmpx_ne_u32_e32 0x7f, v9
	s_cbranch_execz .LBB209_623
; %bb.620:                              ;   in Loop: Header=BB209_362 Depth=1
	v_and_b32_sdwa v5, v79, v43 dst_sel:DWORD dst_unused:UNUSED_PAD src0_sel:WORD_1 src1_sel:DWORD
	v_lshrrev_b32_e32 v7, 3, v9
	s_mov_b32 s22, exec_lo
	v_cmpx_gt_u32_e32 8, v9
; %bb.621:                              ;   in Loop: Header=BB209_362 Depth=1
	v_ffbh_u32_e32 v7, v5
	v_min_u32_e32 v7, 32, v7
	v_subrev_nc_u32_e32 v9, 28, v7
	v_sub_nc_u32_e32 v7, 29, v7
	v_lshlrev_b64 v[21:22], v9, v[5:6]
	v_and_b32_e32 v5, 7, v21
; %bb.622:                              ;   in Loop: Header=BB209_362 Depth=1
	s_or_b32 exec_lo, exec_lo, s22
	v_lshlrev_b32_sdwa v9, v44, v79 dst_sel:DWORD dst_unused:UNUSED_PAD src0_sel:DWORD src1_sel:WORD_1
	v_lshlrev_b32_e32 v5, 20, v5
	v_lshl_add_u32 v7, v7, 23, 0x3c000000
	v_and_b32_e32 v9, 0x80000000, v9
	v_or3_b32 v5, v5, v9, v7
	v_mov_b32_e32 v22, v6
	v_mov_b32_e32 v21, v5
.LBB209_623:                            ;   in Loop: Header=BB209_362 Depth=1
	s_or_b32 exec_lo, exec_lo, s21
.LBB209_624:                            ;   in Loop: Header=BB209_362 Depth=1
	s_or_b32 exec_lo, exec_lo, s18
.LBB209_625:                            ;   in Loop: Header=BB209_362 Depth=1
	s_or_b32 exec_lo, exec_lo, s17
	s_mov_b32 s17, exec_lo
	v_cmpx_lt_u32_e32 0xffffff, v79
	s_cbranch_execz .LBB209_633
; %bb.626:                              ;   in Loop: Header=BB209_362 Depth=1
	v_mov_b32_e32 v7, v6
	v_mov_b32_e32 v24, v8
	v_cmp_ne_u32_sdwa s0, v79, v39 src0_sel:BYTE_3 src1_sel:DWORD
	v_mov_b32_e32 v23, v7
	s_and_saveexec_b32 s18, s0
	s_cbranch_execz .LBB209_632
; %bb.627:                              ;   in Loop: Header=BB209_362 Depth=1
	v_mov_b32_e32 v9, v6
	v_mov_b32_e32 v24, v10
	v_bfe_u32 v80, v79, 24, 7
	s_mov_b32 s21, exec_lo
	v_mov_b32_e32 v23, v9
	v_cmpx_ne_u32_e32 0x7f, v80
	s_cbranch_execz .LBB209_631
; %bb.628:                              ;   in Loop: Header=BB209_362 Depth=1
	v_and_b32_sdwa v5, v79, v43 dst_sel:DWORD dst_unused:UNUSED_PAD src0_sel:BYTE_3 src1_sel:DWORD
	v_lshrrev_b32_e32 v7, 3, v80
	s_mov_b32 s22, exec_lo
	v_cmpx_gt_u32_e32 8, v80
; %bb.629:                              ;   in Loop: Header=BB209_362 Depth=1
	v_ffbh_u32_e32 v7, v5
	v_min_u32_e32 v7, 32, v7
	v_subrev_nc_u32_e32 v9, 28, v7
	v_sub_nc_u32_e32 v7, 29, v7
	v_lshlrev_b64 v[23:24], v9, v[5:6]
	v_and_b32_e32 v5, 7, v23
; %bb.630:                              ;   in Loop: Header=BB209_362 Depth=1
	s_or_b32 exec_lo, exec_lo, s22
	v_lshlrev_b32_sdwa v9, v44, v79 dst_sel:DWORD dst_unused:UNUSED_PAD src0_sel:DWORD src1_sel:BYTE_3
	v_lshlrev_b32_e32 v5, 20, v5
	v_lshl_add_u32 v7, v7, 23, 0x3c000000
	v_mov_b32_e32 v23, v6
	v_and_b32_e32 v9, 0x80000000, v9
	v_or3_b32 v24, v5, v9, v7
.LBB209_631:                            ;   in Loop: Header=BB209_362 Depth=1
	s_or_b32 exec_lo, exec_lo, s21
.LBB209_632:                            ;   in Loop: Header=BB209_362 Depth=1
	s_or_b32 exec_lo, exec_lo, s18
.LBB209_633:                            ;   in Loop: Header=BB209_362 Depth=1
	s_or_b32 exec_lo, exec_lo, s17
	v_or_b32_e32 v5, v20, v18
	v_or_b32_e32 v7, v19, v17
	;; [unrolled: 1-line block ×4, first 2 shown]
	v_mul_f32_e32 v81, s13, v5
	v_mul_f32_e32 v82, s12, v7
	;; [unrolled: 1-line block ×4, first 2 shown]
	s_and_saveexec_b32 s17, vcc_lo
	s_cbranch_execz .LBB209_635
; %bb.634:                              ;   in Loop: Header=BB209_362 Depth=1
	v_cmp_gt_i32_e64 s0, s31, v51
	v_cndmask_b32_e64 v82, 0, v82, s0
	v_cmp_gt_i32_e64 s0, s31, v54
	v_cndmask_b32_e64 v81, 0, v81, s0
	;; [unrolled: 2-line block ×4, first 2 shown]
.LBB209_635:                            ;   in Loop: Header=BB209_362 Depth=1
	s_or_b32 exec_lo, exec_lo, s17
	global_load_dword v83, v[15:16], off offset:1024
	v_mov_b32_e32 v19, 0
	v_mov_b32_e32 v17, 0
	;; [unrolled: 1-line block ×4, first 2 shown]
	s_waitcnt vmcnt(0)
	v_cmp_ne_u16_sdwa s0, v83, v6 src0_sel:BYTE_0 src1_sel:DWORD
	s_and_saveexec_b32 s17, s0
	s_cbranch_execz .LBB209_643
; %bb.636:                              ;   in Loop: Header=BB209_362 Depth=1
	v_bfrev_b32_e32 v17, 1
	v_mov_b32_e32 v18, 0
	v_cmp_ne_u16_sdwa s0, v83, v39 src0_sel:BYTE_0 src1_sel:DWORD
	s_and_saveexec_b32 s18, s0
	s_cbranch_execz .LBB209_642
; %bb.637:                              ;   in Loop: Header=BB209_362 Depth=1
	v_mov_b32_e32 v17, 0x7f800001
	v_and_b32_e32 v9, 0x7f, v83
	v_mov_b32_e32 v18, 0
	s_mov_b32 s21, exec_lo
	v_cmpx_ne_u32_e32 0x7f, v9
	s_cbranch_execz .LBB209_641
; %bb.638:                              ;   in Loop: Header=BB209_362 Depth=1
	v_and_b32_e32 v5, 7, v83
	v_lshrrev_b32_e32 v7, 3, v9
	s_mov_b32 s22, exec_lo
	v_cmpx_gt_u32_e32 8, v9
; %bb.639:                              ;   in Loop: Header=BB209_362 Depth=1
	v_ffbh_u32_e32 v7, v5
	v_min_u32_e32 v7, 32, v7
	v_subrev_nc_u32_e32 v9, 28, v7
	v_sub_nc_u32_e32 v7, 29, v7
	v_lshlrev_b64 v[17:18], v9, v[5:6]
	v_and_b32_e32 v5, 7, v17
; %bb.640:                              ;   in Loop: Header=BB209_362 Depth=1
	s_or_b32 exec_lo, exec_lo, s22
	v_lshlrev_b32_e32 v9, 24, v83
	v_lshlrev_b32_e32 v5, 20, v5
	v_lshl_add_u32 v7, v7, 23, 0x3c000000
	v_and_b32_e32 v9, 0x80000000, v9
	v_or3_b32 v5, v5, v9, v7
	v_mov_b32_e32 v18, v6
	v_mov_b32_e32 v17, v5
.LBB209_641:                            ;   in Loop: Header=BB209_362 Depth=1
	s_or_b32 exec_lo, exec_lo, s21
.LBB209_642:                            ;   in Loop: Header=BB209_362 Depth=1
	s_or_b32 exec_lo, exec_lo, s18
.LBB209_643:                            ;   in Loop: Header=BB209_362 Depth=1
	s_or_b32 exec_lo, exec_lo, s17
	v_cmp_ne_u16_sdwa s0, v83, v6 src0_sel:BYTE_1 src1_sel:DWORD
	s_and_saveexec_b32 s17, s0
	s_cbranch_execz .LBB209_651
; %bb.644:                              ;   in Loop: Header=BB209_362 Depth=1
	v_mov_b32_e32 v7, v6
	v_mov_b32_e32 v20, v8
	v_cmp_ne_u16_sdwa s0, v83, v39 src0_sel:BYTE_1 src1_sel:DWORD
	v_mov_b32_e32 v19, v7
	s_and_saveexec_b32 s18, s0
	s_cbranch_execz .LBB209_650
; %bb.645:                              ;   in Loop: Header=BB209_362 Depth=1
	v_and_b32_sdwa v5, v40, v83 dst_sel:DWORD dst_unused:UNUSED_PAD src0_sel:DWORD src1_sel:BYTE_1
	v_mov_b32_e32 v9, v6
	v_mov_b32_e32 v20, v10
	s_mov_b32 s21, exec_lo
	v_and_b32_e32 v21, 0x7f, v5
	v_mov_b32_e32 v19, v9
	v_cmpx_ne_u32_e32 0x7f, v21
	s_cbranch_execz .LBB209_649
; %bb.646:                              ;   in Loop: Header=BB209_362 Depth=1
	v_and_b32_e32 v5, 7, v5
	v_lshrrev_b32_e32 v7, 3, v21
	s_mov_b32 s22, exec_lo
	v_cmpx_gt_u32_e32 8, v21
; %bb.647:                              ;   in Loop: Header=BB209_362 Depth=1
	v_ffbh_u32_e32 v7, v5
	v_min_u32_e32 v7, 32, v7
	v_subrev_nc_u32_e32 v9, 28, v7
	v_sub_nc_u32_e32 v7, 29, v7
	v_lshlrev_b64 v[19:20], v9, v[5:6]
	v_and_b32_e32 v5, 7, v19
; %bb.648:                              ;   in Loop: Header=BB209_362 Depth=1
	s_or_b32 exec_lo, exec_lo, s22
	v_lshlrev_b32_e32 v9, 16, v83
	v_lshlrev_b32_e32 v5, 20, v5
	v_lshl_add_u32 v7, v7, 23, 0x3c000000
	v_mov_b32_e32 v19, v6
	v_and_b32_e32 v9, 0x80000000, v9
	v_or3_b32 v20, v5, v9, v7
.LBB209_649:                            ;   in Loop: Header=BB209_362 Depth=1
	s_or_b32 exec_lo, exec_lo, s21
.LBB209_650:                            ;   in Loop: Header=BB209_362 Depth=1
	s_or_b32 exec_lo, exec_lo, s18
.LBB209_651:                            ;   in Loop: Header=BB209_362 Depth=1
	s_or_b32 exec_lo, exec_lo, s17
	v_mov_b32_e32 v23, 0
	v_mov_b32_e32 v21, 0
	v_and_b32_sdwa v5, v83, v42 dst_sel:DWORD dst_unused:UNUSED_PAD src0_sel:WORD_1 src1_sel:DWORD
	v_mov_b32_e32 v24, 0
	v_mov_b32_e32 v22, 0
	s_mov_b32 s17, exec_lo
	v_cmpx_ne_u16_e32 0, v5
	s_cbranch_execz .LBB209_659
; %bb.652:                              ;   in Loop: Header=BB209_362 Depth=1
	v_bfrev_b32_e32 v21, 1
	v_mov_b32_e32 v22, 0
	s_mov_b32 s18, exec_lo
	v_cmpx_ne_u16_e32 0x80, v5
	s_cbranch_execz .LBB209_658
; %bb.653:                              ;   in Loop: Header=BB209_362 Depth=1
	v_mov_b32_e32 v21, 0x7f800001
	v_bfe_u32 v9, v83, 16, 7
	v_mov_b32_e32 v22, 0
	s_mov_b32 s21, exec_lo
	v_cmpx_ne_u32_e32 0x7f, v9
	s_cbranch_execz .LBB209_657
; %bb.654:                              ;   in Loop: Header=BB209_362 Depth=1
	v_and_b32_sdwa v5, v83, v43 dst_sel:DWORD dst_unused:UNUSED_PAD src0_sel:WORD_1 src1_sel:DWORD
	v_lshrrev_b32_e32 v7, 3, v9
	s_mov_b32 s22, exec_lo
	v_cmpx_gt_u32_e32 8, v9
; %bb.655:                              ;   in Loop: Header=BB209_362 Depth=1
	v_ffbh_u32_e32 v7, v5
	v_min_u32_e32 v7, 32, v7
	v_subrev_nc_u32_e32 v9, 28, v7
	v_sub_nc_u32_e32 v7, 29, v7
	v_lshlrev_b64 v[21:22], v9, v[5:6]
	v_and_b32_e32 v5, 7, v21
; %bb.656:                              ;   in Loop: Header=BB209_362 Depth=1
	s_or_b32 exec_lo, exec_lo, s22
	v_lshlrev_b32_sdwa v9, v44, v83 dst_sel:DWORD dst_unused:UNUSED_PAD src0_sel:DWORD src1_sel:WORD_1
	v_lshlrev_b32_e32 v5, 20, v5
	v_lshl_add_u32 v7, v7, 23, 0x3c000000
	v_and_b32_e32 v9, 0x80000000, v9
	v_or3_b32 v5, v5, v9, v7
	v_mov_b32_e32 v22, v6
	v_mov_b32_e32 v21, v5
.LBB209_657:                            ;   in Loop: Header=BB209_362 Depth=1
	s_or_b32 exec_lo, exec_lo, s21
.LBB209_658:                            ;   in Loop: Header=BB209_362 Depth=1
	s_or_b32 exec_lo, exec_lo, s18
.LBB209_659:                            ;   in Loop: Header=BB209_362 Depth=1
	s_or_b32 exec_lo, exec_lo, s17
	s_mov_b32 s17, exec_lo
	v_cmpx_lt_u32_e32 0xffffff, v83
	s_cbranch_execz .LBB209_667
; %bb.660:                              ;   in Loop: Header=BB209_362 Depth=1
	v_mov_b32_e32 v7, v6
	v_mov_b32_e32 v24, v8
	v_cmp_ne_u32_sdwa s0, v83, v39 src0_sel:BYTE_3 src1_sel:DWORD
	v_mov_b32_e32 v23, v7
	s_and_saveexec_b32 s18, s0
	s_cbranch_execz .LBB209_666
; %bb.661:                              ;   in Loop: Header=BB209_362 Depth=1
	v_mov_b32_e32 v9, v6
	v_mov_b32_e32 v24, v10
	v_bfe_u32 v84, v83, 24, 7
	s_mov_b32 s21, exec_lo
	v_mov_b32_e32 v23, v9
	v_cmpx_ne_u32_e32 0x7f, v84
	s_cbranch_execz .LBB209_665
; %bb.662:                              ;   in Loop: Header=BB209_362 Depth=1
	v_and_b32_sdwa v5, v83, v43 dst_sel:DWORD dst_unused:UNUSED_PAD src0_sel:BYTE_3 src1_sel:DWORD
	v_lshrrev_b32_e32 v7, 3, v84
	s_mov_b32 s22, exec_lo
	v_cmpx_gt_u32_e32 8, v84
; %bb.663:                              ;   in Loop: Header=BB209_362 Depth=1
	v_ffbh_u32_e32 v7, v5
	v_min_u32_e32 v7, 32, v7
	v_subrev_nc_u32_e32 v9, 28, v7
	v_sub_nc_u32_e32 v7, 29, v7
	v_lshlrev_b64 v[23:24], v9, v[5:6]
	v_and_b32_e32 v5, 7, v23
; %bb.664:                              ;   in Loop: Header=BB209_362 Depth=1
	s_or_b32 exec_lo, exec_lo, s22
	v_lshlrev_b32_sdwa v9, v44, v83 dst_sel:DWORD dst_unused:UNUSED_PAD src0_sel:DWORD src1_sel:BYTE_3
	v_lshlrev_b32_e32 v5, 20, v5
	v_lshl_add_u32 v7, v7, 23, 0x3c000000
	v_mov_b32_e32 v23, v6
	v_and_b32_e32 v9, 0x80000000, v9
	v_or3_b32 v24, v5, v9, v7
.LBB209_665:                            ;   in Loop: Header=BB209_362 Depth=1
	s_or_b32 exec_lo, exec_lo, s21
.LBB209_666:                            ;   in Loop: Header=BB209_362 Depth=1
	s_or_b32 exec_lo, exec_lo, s18
.LBB209_667:                            ;   in Loop: Header=BB209_362 Depth=1
	s_or_b32 exec_lo, exec_lo, s17
	v_or_b32_e32 v5, v20, v18
	v_or_b32_e32 v7, v19, v17
	;; [unrolled: 1-line block ×4, first 2 shown]
	v_mul_f32_e32 v83, s13, v5
	v_mul_f32_e32 v84, s12, v7
	;; [unrolled: 1-line block ×4, first 2 shown]
	s_and_saveexec_b32 s17, vcc_lo
	s_cbranch_execz .LBB209_669
; %bb.668:                              ;   in Loop: Header=BB209_362 Depth=1
	v_cmp_gt_i32_e64 s0, s31, v51
	v_cndmask_b32_e64 v84, 0, v84, s0
	v_cmp_gt_i32_e64 s0, s31, v54
	v_cndmask_b32_e64 v83, 0, v83, s0
	;; [unrolled: 2-line block ×4, first 2 shown]
.LBB209_669:                            ;   in Loop: Header=BB209_362 Depth=1
	s_or_b32 exec_lo, exec_lo, s17
	global_load_dword v85, v[15:16], off offset:1152
	v_mov_b32_e32 v17, 0
	v_mov_b32_e32 v15, 0
	;; [unrolled: 1-line block ×4, first 2 shown]
	s_waitcnt vmcnt(0)
	v_cmp_ne_u16_sdwa s0, v85, v6 src0_sel:BYTE_0 src1_sel:DWORD
	s_and_saveexec_b32 s17, s0
	s_cbranch_execz .LBB209_677
; %bb.670:                              ;   in Loop: Header=BB209_362 Depth=1
	v_bfrev_b32_e32 v15, 1
	v_mov_b32_e32 v16, 0
	v_cmp_ne_u16_sdwa s0, v85, v39 src0_sel:BYTE_0 src1_sel:DWORD
	s_and_saveexec_b32 s18, s0
	s_cbranch_execz .LBB209_676
; %bb.671:                              ;   in Loop: Header=BB209_362 Depth=1
	v_mov_b32_e32 v15, 0x7f800001
	v_and_b32_e32 v9, 0x7f, v85
	v_mov_b32_e32 v16, 0
	s_mov_b32 s21, exec_lo
	v_cmpx_ne_u32_e32 0x7f, v9
	s_cbranch_execz .LBB209_675
; %bb.672:                              ;   in Loop: Header=BB209_362 Depth=1
	v_and_b32_e32 v5, 7, v85
	v_lshrrev_b32_e32 v7, 3, v9
	s_mov_b32 s22, exec_lo
	v_cmpx_gt_u32_e32 8, v9
; %bb.673:                              ;   in Loop: Header=BB209_362 Depth=1
	v_ffbh_u32_e32 v7, v5
	v_min_u32_e32 v7, 32, v7
	v_subrev_nc_u32_e32 v9, 28, v7
	v_sub_nc_u32_e32 v7, 29, v7
	v_lshlrev_b64 v[15:16], v9, v[5:6]
	v_and_b32_e32 v5, 7, v15
; %bb.674:                              ;   in Loop: Header=BB209_362 Depth=1
	s_or_b32 exec_lo, exec_lo, s22
	v_lshlrev_b32_e32 v9, 24, v85
	v_lshlrev_b32_e32 v5, 20, v5
	v_lshl_add_u32 v7, v7, 23, 0x3c000000
	v_and_b32_e32 v9, 0x80000000, v9
	v_or3_b32 v5, v5, v9, v7
	v_mov_b32_e32 v16, v6
	v_mov_b32_e32 v15, v5
.LBB209_675:                            ;   in Loop: Header=BB209_362 Depth=1
	s_or_b32 exec_lo, exec_lo, s21
.LBB209_676:                            ;   in Loop: Header=BB209_362 Depth=1
	s_or_b32 exec_lo, exec_lo, s18
.LBB209_677:                            ;   in Loop: Header=BB209_362 Depth=1
	s_or_b32 exec_lo, exec_lo, s17
	v_cmp_ne_u16_sdwa s0, v85, v6 src0_sel:BYTE_1 src1_sel:DWORD
	s_and_saveexec_b32 s17, s0
	s_cbranch_execz .LBB209_685
; %bb.678:                              ;   in Loop: Header=BB209_362 Depth=1
	v_mov_b32_e32 v7, v6
	v_mov_b32_e32 v18, v8
	v_cmp_ne_u16_sdwa s0, v85, v39 src0_sel:BYTE_1 src1_sel:DWORD
	v_mov_b32_e32 v17, v7
	s_and_saveexec_b32 s18, s0
	s_cbranch_execz .LBB209_684
; %bb.679:                              ;   in Loop: Header=BB209_362 Depth=1
	v_and_b32_sdwa v5, v40, v85 dst_sel:DWORD dst_unused:UNUSED_PAD src0_sel:DWORD src1_sel:BYTE_1
	v_mov_b32_e32 v9, v6
	v_mov_b32_e32 v18, v10
	s_mov_b32 s21, exec_lo
	v_and_b32_e32 v19, 0x7f, v5
	v_mov_b32_e32 v17, v9
	v_cmpx_ne_u32_e32 0x7f, v19
	s_cbranch_execz .LBB209_683
; %bb.680:                              ;   in Loop: Header=BB209_362 Depth=1
	v_and_b32_e32 v5, 7, v5
	v_lshrrev_b32_e32 v7, 3, v19
	s_mov_b32 s22, exec_lo
	v_cmpx_gt_u32_e32 8, v19
; %bb.681:                              ;   in Loop: Header=BB209_362 Depth=1
	v_ffbh_u32_e32 v7, v5
	v_min_u32_e32 v7, 32, v7
	v_subrev_nc_u32_e32 v9, 28, v7
	v_sub_nc_u32_e32 v7, 29, v7
	v_lshlrev_b64 v[17:18], v9, v[5:6]
	v_and_b32_e32 v5, 7, v17
; %bb.682:                              ;   in Loop: Header=BB209_362 Depth=1
	s_or_b32 exec_lo, exec_lo, s22
	v_lshlrev_b32_e32 v9, 16, v85
	v_lshlrev_b32_e32 v5, 20, v5
	v_lshl_add_u32 v7, v7, 23, 0x3c000000
	v_mov_b32_e32 v17, v6
	v_and_b32_e32 v9, 0x80000000, v9
	v_or3_b32 v18, v5, v9, v7
.LBB209_683:                            ;   in Loop: Header=BB209_362 Depth=1
	s_or_b32 exec_lo, exec_lo, s21
.LBB209_684:                            ;   in Loop: Header=BB209_362 Depth=1
	s_or_b32 exec_lo, exec_lo, s18
.LBB209_685:                            ;   in Loop: Header=BB209_362 Depth=1
	s_or_b32 exec_lo, exec_lo, s17
	v_mov_b32_e32 v21, 0
	v_mov_b32_e32 v19, 0
	v_and_b32_sdwa v5, v85, v42 dst_sel:DWORD dst_unused:UNUSED_PAD src0_sel:WORD_1 src1_sel:DWORD
	v_mov_b32_e32 v22, 0
	v_mov_b32_e32 v20, 0
	s_mov_b32 s17, exec_lo
	v_cmpx_ne_u16_e32 0, v5
	s_cbranch_execz .LBB209_693
; %bb.686:                              ;   in Loop: Header=BB209_362 Depth=1
	v_bfrev_b32_e32 v19, 1
	v_mov_b32_e32 v20, 0
	s_mov_b32 s18, exec_lo
	v_cmpx_ne_u16_e32 0x80, v5
	s_cbranch_execz .LBB209_692
; %bb.687:                              ;   in Loop: Header=BB209_362 Depth=1
	v_mov_b32_e32 v19, 0x7f800001
	v_bfe_u32 v9, v85, 16, 7
	v_mov_b32_e32 v20, 0
	s_mov_b32 s21, exec_lo
	v_cmpx_ne_u32_e32 0x7f, v9
	s_cbranch_execz .LBB209_691
; %bb.688:                              ;   in Loop: Header=BB209_362 Depth=1
	v_and_b32_sdwa v5, v85, v43 dst_sel:DWORD dst_unused:UNUSED_PAD src0_sel:WORD_1 src1_sel:DWORD
	v_lshrrev_b32_e32 v7, 3, v9
	s_mov_b32 s22, exec_lo
	v_cmpx_gt_u32_e32 8, v9
; %bb.689:                              ;   in Loop: Header=BB209_362 Depth=1
	v_ffbh_u32_e32 v7, v5
	v_min_u32_e32 v7, 32, v7
	v_subrev_nc_u32_e32 v9, 28, v7
	v_sub_nc_u32_e32 v7, 29, v7
	v_lshlrev_b64 v[19:20], v9, v[5:6]
	v_and_b32_e32 v5, 7, v19
; %bb.690:                              ;   in Loop: Header=BB209_362 Depth=1
	s_or_b32 exec_lo, exec_lo, s22
	v_lshlrev_b32_sdwa v9, v44, v85 dst_sel:DWORD dst_unused:UNUSED_PAD src0_sel:DWORD src1_sel:WORD_1
	v_lshlrev_b32_e32 v5, 20, v5
	v_lshl_add_u32 v7, v7, 23, 0x3c000000
	v_and_b32_e32 v9, 0x80000000, v9
	v_or3_b32 v5, v5, v9, v7
	v_mov_b32_e32 v20, v6
	v_mov_b32_e32 v19, v5
.LBB209_691:                            ;   in Loop: Header=BB209_362 Depth=1
	s_or_b32 exec_lo, exec_lo, s21
.LBB209_692:                            ;   in Loop: Header=BB209_362 Depth=1
	s_or_b32 exec_lo, exec_lo, s18
.LBB209_693:                            ;   in Loop: Header=BB209_362 Depth=1
	s_or_b32 exec_lo, exec_lo, s17
	s_mov_b32 s17, exec_lo
	v_cmpx_lt_u32_e32 0xffffff, v85
	s_cbranch_execz .LBB209_701
; %bb.694:                              ;   in Loop: Header=BB209_362 Depth=1
	v_mov_b32_e32 v7, v6
	v_mov_b32_e32 v22, v8
	v_cmp_ne_u32_sdwa s0, v85, v39 src0_sel:BYTE_3 src1_sel:DWORD
	v_mov_b32_e32 v21, v7
	s_and_saveexec_b32 s18, s0
	s_cbranch_execz .LBB209_700
; %bb.695:                              ;   in Loop: Header=BB209_362 Depth=1
	v_mov_b32_e32 v9, v6
	v_mov_b32_e32 v22, v10
	v_bfe_u32 v86, v85, 24, 7
	s_mov_b32 s21, exec_lo
	v_mov_b32_e32 v21, v9
	v_cmpx_ne_u32_e32 0x7f, v86
	s_cbranch_execz .LBB209_699
; %bb.696:                              ;   in Loop: Header=BB209_362 Depth=1
	v_and_b32_sdwa v5, v85, v43 dst_sel:DWORD dst_unused:UNUSED_PAD src0_sel:BYTE_3 src1_sel:DWORD
	v_lshrrev_b32_e32 v7, 3, v86
	s_mov_b32 s22, exec_lo
	v_cmpx_gt_u32_e32 8, v86
; %bb.697:                              ;   in Loop: Header=BB209_362 Depth=1
	v_ffbh_u32_e32 v7, v5
	v_min_u32_e32 v7, 32, v7
	v_subrev_nc_u32_e32 v9, 28, v7
	v_sub_nc_u32_e32 v7, 29, v7
	v_lshlrev_b64 v[21:22], v9, v[5:6]
	v_and_b32_e32 v5, 7, v21
; %bb.698:                              ;   in Loop: Header=BB209_362 Depth=1
	s_or_b32 exec_lo, exec_lo, s22
	v_lshlrev_b32_sdwa v9, v44, v85 dst_sel:DWORD dst_unused:UNUSED_PAD src0_sel:DWORD src1_sel:BYTE_3
	v_lshlrev_b32_e32 v5, 20, v5
	v_lshl_add_u32 v7, v7, 23, 0x3c000000
	v_mov_b32_e32 v21, v6
	v_and_b32_e32 v9, 0x80000000, v9
	v_or3_b32 v22, v5, v9, v7
.LBB209_699:                            ;   in Loop: Header=BB209_362 Depth=1
	s_or_b32 exec_lo, exec_lo, s21
.LBB209_700:                            ;   in Loop: Header=BB209_362 Depth=1
	s_or_b32 exec_lo, exec_lo, s18
.LBB209_701:                            ;   in Loop: Header=BB209_362 Depth=1
	s_or_b32 exec_lo, exec_lo, s17
	v_or_b32_e32 v5, v18, v16
	v_or_b32_e32 v7, v17, v15
	;; [unrolled: 1-line block ×4, first 2 shown]
	v_mul_f32_e32 v9, s13, v5
	v_mul_f32_e32 v15, s12, v7
	;; [unrolled: 1-line block ×4, first 2 shown]
	s_and_saveexec_b32 s0, vcc_lo
	s_cbranch_execz .LBB209_360
; %bb.702:                              ;   in Loop: Header=BB209_362 Depth=1
	v_cmp_gt_i32_e32 vcc_lo, s31, v51
	v_cndmask_b32_e32 v15, 0, v15, vcc_lo
	v_cmp_gt_i32_e32 vcc_lo, s31, v54
	v_cndmask_b32_e32 v9, 0, v9, vcc_lo
	;; [unrolled: 2-line block ×4, first 2 shown]
	s_branch .LBB209_360
.LBB209_703:
	s_or_b32 exec_lo, exec_lo, s5
	v_mov_b32_e32 v38, v87
.LBB209_704:
	s_or_b32 exec_lo, exec_lo, s1
	ds_bpermute_b32 v10, v25, v28
	v_and_b32_e32 v11, 28, v0
	ds_bpermute_b32 v1, v25, v36
	ds_bpermute_b32 v2, v25, v37
	;; [unrolled: 1-line block ×9, first 2 shown]
	v_and_b32_e32 v24, 0x3c3, v38
	v_add_nc_u32_e32 v11, 0x160, v11
	s_mov_b32 s0, exec_lo
	s_waitcnt lgkmcnt(9)
	v_add_f32_e32 v13, v28, v10
	v_lshrrev_b32_e32 v10, 2, v0
	buffer_load_dword v0, off, s[56:59], 0 offset:72 ; 4-byte Folded Reload
	s_waitcnt lgkmcnt(8)
	v_add_f32_e32 v1, v36, v1
	s_waitcnt lgkmcnt(7)
	v_add_f32_e32 v2, v37, v2
	;; [unrolled: 2-line block ×9, first 2 shown]
	ds_bpermute_b32 v14, v26, v1
	ds_bpermute_b32 v15, v26, v2
	;; [unrolled: 1-line block ×10, first 2 shown]
	s_waitcnt vmcnt(0) lgkmcnt(0)
	s_waitcnt_vscnt null, 0x0
	s_barrier
	buffer_gl0_inv
	v_mul_u32_u24_e32 v12, 0x140, v0
	v_add_f32_e32 v0, v1, v14
	v_add_f32_e32 v1, v2, v15
	;; [unrolled: 1-line block ×10, first 2 shown]
	v_cmpx_eq_u32_e32 64, v24
	s_cbranch_execz .LBB209_706
; %bb.705:
	v_add_nc_u32_e32 v13, v11, v12
	v_add_nc_u32_e32 v14, 0xfffffd80, v13
	;; [unrolled: 1-line block ×6, first 2 shown]
	ds_write_b32 v14, v0
	ds_write_b32 v15, v1
	;; [unrolled: 1-line block ×5, first 2 shown]
	v_add_nc_u32_e32 v14, 0xfffffe20, v13
	v_add_nc_u32_e32 v15, 0xfffffe40, v13
	;; [unrolled: 1-line block ×5, first 2 shown]
	ds_write_b32 v14, v5
	ds_write_b32 v15, v6
	;; [unrolled: 1-line block ×5, first 2 shown]
.LBB209_706:
	s_or_b32 exec_lo, exec_lo, s0
	v_lshlrev_b32_e32 v10, 2, v10
	s_mov_b32 s1, exec_lo
	v_cmp_eq_u32_e32 vcc_lo, 0, v27
	s_waitcnt lgkmcnt(0)
	s_barrier
	v_add3_u32 v10, 0x160, v12, v10
	buffer_gl0_inv
	v_cmpx_gt_u32_e32 64, v38
	s_cbranch_execz .LBB209_719
; %bb.707:
	s_and_saveexec_b32 s0, vcc_lo
	s_cbranch_execnz .LBB209_737
; %bb.708:
	s_or_b32 exec_lo, exec_lo, s0
	s_and_saveexec_b32 s0, vcc_lo
	s_cbranch_execnz .LBB209_738
.LBB209_709:
	s_or_b32 exec_lo, exec_lo, s0
	s_and_saveexec_b32 s0, vcc_lo
	s_cbranch_execnz .LBB209_739
.LBB209_710:
	s_or_b32 exec_lo, exec_lo, s0
	s_and_saveexec_b32 s0, vcc_lo
	s_cbranch_execnz .LBB209_740
.LBB209_711:
	s_or_b32 exec_lo, exec_lo, s0
	s_and_saveexec_b32 s0, vcc_lo
	s_cbranch_execnz .LBB209_741
.LBB209_712:
	s_or_b32 exec_lo, exec_lo, s0
	s_and_saveexec_b32 s0, vcc_lo
	s_cbranch_execnz .LBB209_742
.LBB209_713:
	s_or_b32 exec_lo, exec_lo, s0
	s_and_saveexec_b32 s0, vcc_lo
	s_cbranch_execnz .LBB209_743
.LBB209_714:
	s_or_b32 exec_lo, exec_lo, s0
	s_and_saveexec_b32 s0, vcc_lo
	s_cbranch_execnz .LBB209_744
.LBB209_715:
	s_or_b32 exec_lo, exec_lo, s0
	s_and_saveexec_b32 s0, vcc_lo
	s_cbranch_execnz .LBB209_745
.LBB209_716:
	s_or_b32 exec_lo, exec_lo, s0
	s_and_saveexec_b32 s0, vcc_lo
	s_cbranch_execz .LBB209_718
.LBB209_717:
	ds_read_b32 v12, v10 offset:288
	s_waitcnt lgkmcnt(0)
	v_add_f32_e32 v9, v9, v12
.LBB209_718:
	s_or_b32 exec_lo, exec_lo, s0
.LBB209_719:
	s_or_b32 exec_lo, exec_lo, s1
	v_and_b32_e32 v12, 0x3e3, v38
	s_mov_b32 s1, exec_lo
	s_barrier
	buffer_gl0_inv
	v_cmpx_eq_u32_e32 32, v12
	s_cbranch_execz .LBB209_721
; %bb.720:
	ds_write2_b32 v11, v0, v1 offset1:8
	ds_write2_b32 v11, v2, v3 offset0:16 offset1:24
	ds_write2_b32 v11, v4, v5 offset0:32 offset1:40
	ds_write2_b32 v11, v6, v7 offset0:48 offset1:56
	ds_write2_b32 v11, v8, v9 offset0:64 offset1:72
.LBB209_721:
	s_or_b32 exec_lo, exec_lo, s1
	s_mov_b32 s1, exec_lo
	s_waitcnt lgkmcnt(0)
	s_barrier
	buffer_gl0_inv
	v_cmpx_gt_u32_e32 32, v38
	s_cbranch_execz .LBB209_734
; %bb.722:
	s_and_saveexec_b32 s0, vcc_lo
	s_cbranch_execnz .LBB209_746
; %bb.723:
	s_or_b32 exec_lo, exec_lo, s0
	s_and_saveexec_b32 s0, vcc_lo
	s_cbranch_execnz .LBB209_747
.LBB209_724:
	s_or_b32 exec_lo, exec_lo, s0
	s_and_saveexec_b32 s0, vcc_lo
	s_cbranch_execnz .LBB209_748
.LBB209_725:
	s_or_b32 exec_lo, exec_lo, s0
	s_and_saveexec_b32 s0, vcc_lo
	s_cbranch_execnz .LBB209_749
.LBB209_726:
	s_or_b32 exec_lo, exec_lo, s0
	s_and_saveexec_b32 s0, vcc_lo
	s_cbranch_execnz .LBB209_750
.LBB209_727:
	s_or_b32 exec_lo, exec_lo, s0
	s_and_saveexec_b32 s0, vcc_lo
	s_cbranch_execnz .LBB209_751
.LBB209_728:
	s_or_b32 exec_lo, exec_lo, s0
	s_and_saveexec_b32 s0, vcc_lo
	s_cbranch_execnz .LBB209_752
.LBB209_729:
	s_or_b32 exec_lo, exec_lo, s0
	s_and_saveexec_b32 s0, vcc_lo
	s_cbranch_execnz .LBB209_753
.LBB209_730:
	s_or_b32 exec_lo, exec_lo, s0
	s_and_saveexec_b32 s0, vcc_lo
	s_cbranch_execnz .LBB209_754
.LBB209_731:
	s_or_b32 exec_lo, exec_lo, s0
	s_and_saveexec_b32 s0, vcc_lo
	s_cbranch_execz .LBB209_733
.LBB209_732:
	ds_read_b32 v10, v10 offset:288
	s_waitcnt lgkmcnt(0)
	v_add_f32_e32 v9, v9, v10
.LBB209_733:
	s_or_b32 exec_lo, exec_lo, s0
.LBB209_734:
	s_or_b32 exec_lo, exec_lo, s1
	s_barrier
	buffer_gl0_inv
	s_mov_b32 s0, exec_lo
	v_cmpx_eq_u32_e32 0, v12
	s_cbranch_execz .LBB209_736
; %bb.735:
	s_mul_i32 s0, s2, 0x50
	s_mul_i32 s2, s7, s10
	s_ashr_i32 s1, s0, 31
	s_lshl_b64 s[0:1], s[0:1], 2
	s_add_u32 s4, s28, s0
	s_addc_u32 s5, s29, s1
	s_ashr_i32 s3, s2, 31
	s_lshl_b64 s[0:1], s[2:3], 2
	s_mul_i32 s2, s8, 0x50
	s_add_u32 s4, s4, s0
	s_addc_u32 s5, s5, s1
	s_ashr_i32 s3, s2, 31
	s_lshl_b64 s[0:1], s[2:3], 2
	s_add_u32 s0, s4, s0
	s_addc_u32 s1, s5, s1
	global_store_dword v38, v0, s[0:1]
	global_store_dword v38, v1, s[0:1] offset:32
	global_store_dword v38, v2, s[0:1] offset:64
	;; [unrolled: 1-line block ×9, first 2 shown]
.LBB209_736:
	s_endpgm
.LBB209_737:
	ds_read_b32 v12, v10
	s_waitcnt lgkmcnt(0)
	v_add_f32_e32 v0, v0, v12
	s_or_b32 exec_lo, exec_lo, s0
	s_and_saveexec_b32 s0, vcc_lo
	s_cbranch_execz .LBB209_709
.LBB209_738:
	ds_read_b32 v12, v10 offset:32
	s_waitcnt lgkmcnt(0)
	v_add_f32_e32 v1, v1, v12
	s_or_b32 exec_lo, exec_lo, s0
	s_and_saveexec_b32 s0, vcc_lo
	s_cbranch_execz .LBB209_710
.LBB209_739:
	ds_read_b32 v12, v10 offset:64
	s_waitcnt lgkmcnt(0)
	v_add_f32_e32 v2, v2, v12
	s_or_b32 exec_lo, exec_lo, s0
	s_and_saveexec_b32 s0, vcc_lo
	s_cbranch_execz .LBB209_711
.LBB209_740:
	ds_read_b32 v12, v10 offset:96
	s_waitcnt lgkmcnt(0)
	v_add_f32_e32 v3, v3, v12
	s_or_b32 exec_lo, exec_lo, s0
	s_and_saveexec_b32 s0, vcc_lo
	s_cbranch_execz .LBB209_712
.LBB209_741:
	ds_read_b32 v12, v10 offset:128
	s_waitcnt lgkmcnt(0)
	v_add_f32_e32 v4, v4, v12
	s_or_b32 exec_lo, exec_lo, s0
	s_and_saveexec_b32 s0, vcc_lo
	s_cbranch_execz .LBB209_713
.LBB209_742:
	ds_read_b32 v12, v10 offset:160
	s_waitcnt lgkmcnt(0)
	v_add_f32_e32 v5, v5, v12
	s_or_b32 exec_lo, exec_lo, s0
	s_and_saveexec_b32 s0, vcc_lo
	s_cbranch_execz .LBB209_714
.LBB209_743:
	ds_read_b32 v12, v10 offset:192
	s_waitcnt lgkmcnt(0)
	v_add_f32_e32 v6, v6, v12
	s_or_b32 exec_lo, exec_lo, s0
	s_and_saveexec_b32 s0, vcc_lo
	s_cbranch_execz .LBB209_715
.LBB209_744:
	ds_read_b32 v12, v10 offset:224
	s_waitcnt lgkmcnt(0)
	v_add_f32_e32 v7, v7, v12
	s_or_b32 exec_lo, exec_lo, s0
	s_and_saveexec_b32 s0, vcc_lo
	s_cbranch_execz .LBB209_716
.LBB209_745:
	ds_read_b32 v12, v10 offset:256
	s_waitcnt lgkmcnt(0)
	v_add_f32_e32 v8, v8, v12
	s_or_b32 exec_lo, exec_lo, s0
	s_and_saveexec_b32 s0, vcc_lo
	s_cbranch_execnz .LBB209_717
	s_branch .LBB209_718
.LBB209_746:
	ds_read_b32 v11, v10
	s_waitcnt lgkmcnt(0)
	v_add_f32_e32 v0, v0, v11
	s_or_b32 exec_lo, exec_lo, s0
	s_and_saveexec_b32 s0, vcc_lo
	s_cbranch_execz .LBB209_724
.LBB209_747:
	ds_read_b32 v11, v10 offset:32
	s_waitcnt lgkmcnt(0)
	v_add_f32_e32 v1, v1, v11
	s_or_b32 exec_lo, exec_lo, s0
	s_and_saveexec_b32 s0, vcc_lo
	s_cbranch_execz .LBB209_725
.LBB209_748:
	ds_read_b32 v11, v10 offset:64
	s_waitcnt lgkmcnt(0)
	v_add_f32_e32 v2, v2, v11
	s_or_b32 exec_lo, exec_lo, s0
	s_and_saveexec_b32 s0, vcc_lo
	s_cbranch_execz .LBB209_726
.LBB209_749:
	ds_read_b32 v11, v10 offset:96
	s_waitcnt lgkmcnt(0)
	v_add_f32_e32 v3, v3, v11
	s_or_b32 exec_lo, exec_lo, s0
	s_and_saveexec_b32 s0, vcc_lo
	s_cbranch_execz .LBB209_727
.LBB209_750:
	ds_read_b32 v11, v10 offset:128
	s_waitcnt lgkmcnt(0)
	v_add_f32_e32 v4, v4, v11
	s_or_b32 exec_lo, exec_lo, s0
	s_and_saveexec_b32 s0, vcc_lo
	s_cbranch_execz .LBB209_728
.LBB209_751:
	ds_read_b32 v11, v10 offset:160
	s_waitcnt lgkmcnt(0)
	v_add_f32_e32 v5, v5, v11
	s_or_b32 exec_lo, exec_lo, s0
	s_and_saveexec_b32 s0, vcc_lo
	s_cbranch_execz .LBB209_729
.LBB209_752:
	ds_read_b32 v11, v10 offset:192
	s_waitcnt lgkmcnt(0)
	v_add_f32_e32 v6, v6, v11
	s_or_b32 exec_lo, exec_lo, s0
	s_and_saveexec_b32 s0, vcc_lo
	s_cbranch_execz .LBB209_730
.LBB209_753:
	ds_read_b32 v11, v10 offset:224
	s_waitcnt lgkmcnt(0)
	v_add_f32_e32 v7, v7, v11
	s_or_b32 exec_lo, exec_lo, s0
	s_and_saveexec_b32 s0, vcc_lo
	s_cbranch_execz .LBB209_731
.LBB209_754:
	ds_read_b32 v11, v10 offset:256
	s_waitcnt lgkmcnt(0)
	v_add_f32_e32 v8, v8, v11
	s_or_b32 exec_lo, exec_lo, s0
	s_and_saveexec_b32 s0, vcc_lo
	s_cbranch_execnz .LBB209_732
	s_branch .LBB209_733
	.section	.rodata,"a",@progbits
	.p2align	6, 0x0
	.amdhsa_kernel _ZN4vllm25paged_attention_v2_kernelIfhLi80ELi16ELi128ELNS_18Fp8KVCacheDataTypeE1ELb1ELi512EEEvPfS2_PT_PKS3_PKT0_S9_ifPKiSB_iPKfiiiSD_SD_iiiii
		.amdhsa_group_segment_fixed_size 352
		.amdhsa_private_segment_fixed_size 88
		.amdhsa_kernarg_size 400
		.amdhsa_user_sgpr_count 6
		.amdhsa_user_sgpr_private_segment_buffer 1
		.amdhsa_user_sgpr_dispatch_ptr 0
		.amdhsa_user_sgpr_queue_ptr 0
		.amdhsa_user_sgpr_kernarg_segment_ptr 1
		.amdhsa_user_sgpr_dispatch_id 0
		.amdhsa_user_sgpr_flat_scratch_init 0
		.amdhsa_user_sgpr_private_segment_size 0
		.amdhsa_wavefront_size32 1
		.amdhsa_uses_dynamic_stack 0
		.amdhsa_system_sgpr_private_segment_wavefront_offset 1
		.amdhsa_system_sgpr_workgroup_id_x 1
		.amdhsa_system_sgpr_workgroup_id_y 1
		.amdhsa_system_sgpr_workgroup_id_z 1
		.amdhsa_system_sgpr_workgroup_info 0
		.amdhsa_system_vgpr_workitem_id 0
		.amdhsa_next_free_vgpr 128
		.amdhsa_next_free_sgpr 60
		.amdhsa_reserve_vcc 1
		.amdhsa_reserve_flat_scratch 0
		.amdhsa_float_round_mode_32 0
		.amdhsa_float_round_mode_16_64 0
		.amdhsa_float_denorm_mode_32 3
		.amdhsa_float_denorm_mode_16_64 3
		.amdhsa_dx10_clamp 1
		.amdhsa_ieee_mode 1
		.amdhsa_fp16_overflow 0
		.amdhsa_workgroup_processor_mode 1
		.amdhsa_memory_ordered 1
		.amdhsa_forward_progress 1
		.amdhsa_shared_vgpr_count 0
		.amdhsa_exception_fp_ieee_invalid_op 0
		.amdhsa_exception_fp_denorm_src 0
		.amdhsa_exception_fp_ieee_div_zero 0
		.amdhsa_exception_fp_ieee_overflow 0
		.amdhsa_exception_fp_ieee_underflow 0
		.amdhsa_exception_fp_ieee_inexact 0
		.amdhsa_exception_int_div_zero 0
	.end_amdhsa_kernel
	.section	.text._ZN4vllm25paged_attention_v2_kernelIfhLi80ELi16ELi128ELNS_18Fp8KVCacheDataTypeE1ELb1ELi512EEEvPfS2_PT_PKS3_PKT0_S9_ifPKiSB_iPKfiiiSD_SD_iiiii,"axG",@progbits,_ZN4vllm25paged_attention_v2_kernelIfhLi80ELi16ELi128ELNS_18Fp8KVCacheDataTypeE1ELb1ELi512EEEvPfS2_PT_PKS3_PKT0_S9_ifPKiSB_iPKfiiiSD_SD_iiiii,comdat
.Lfunc_end209:
	.size	_ZN4vllm25paged_attention_v2_kernelIfhLi80ELi16ELi128ELNS_18Fp8KVCacheDataTypeE1ELb1ELi512EEEvPfS2_PT_PKS3_PKT0_S9_ifPKiSB_iPKfiiiSD_SD_iiiii, .Lfunc_end209-_ZN4vllm25paged_attention_v2_kernelIfhLi80ELi16ELi128ELNS_18Fp8KVCacheDataTypeE1ELb1ELi512EEEvPfS2_PT_PKS3_PKT0_S9_ifPKiSB_iPKfiiiSD_SD_iiiii
                                        ; -- End function
	.set _ZN4vllm25paged_attention_v2_kernelIfhLi80ELi16ELi128ELNS_18Fp8KVCacheDataTypeE1ELb1ELi512EEEvPfS2_PT_PKS3_PKT0_S9_ifPKiSB_iPKfiiiSD_SD_iiiii.num_vgpr, 128
	.set _ZN4vllm25paged_attention_v2_kernelIfhLi80ELi16ELi128ELNS_18Fp8KVCacheDataTypeE1ELb1ELi512EEEvPfS2_PT_PKS3_PKT0_S9_ifPKiSB_iPKfiiiSD_SD_iiiii.num_agpr, 0
	.set _ZN4vllm25paged_attention_v2_kernelIfhLi80ELi16ELi128ELNS_18Fp8KVCacheDataTypeE1ELb1ELi512EEEvPfS2_PT_PKS3_PKT0_S9_ifPKiSB_iPKfiiiSD_SD_iiiii.numbered_sgpr, 60
	.set _ZN4vllm25paged_attention_v2_kernelIfhLi80ELi16ELi128ELNS_18Fp8KVCacheDataTypeE1ELb1ELi512EEEvPfS2_PT_PKS3_PKT0_S9_ifPKiSB_iPKfiiiSD_SD_iiiii.num_named_barrier, 0
	.set _ZN4vllm25paged_attention_v2_kernelIfhLi80ELi16ELi128ELNS_18Fp8KVCacheDataTypeE1ELb1ELi512EEEvPfS2_PT_PKS3_PKT0_S9_ifPKiSB_iPKfiiiSD_SD_iiiii.private_seg_size, 88
	.set _ZN4vllm25paged_attention_v2_kernelIfhLi80ELi16ELi128ELNS_18Fp8KVCacheDataTypeE1ELb1ELi512EEEvPfS2_PT_PKS3_PKT0_S9_ifPKiSB_iPKfiiiSD_SD_iiiii.uses_vcc, 1
	.set _ZN4vllm25paged_attention_v2_kernelIfhLi80ELi16ELi128ELNS_18Fp8KVCacheDataTypeE1ELb1ELi512EEEvPfS2_PT_PKS3_PKT0_S9_ifPKiSB_iPKfiiiSD_SD_iiiii.uses_flat_scratch, 0
	.set _ZN4vllm25paged_attention_v2_kernelIfhLi80ELi16ELi128ELNS_18Fp8KVCacheDataTypeE1ELb1ELi512EEEvPfS2_PT_PKS3_PKT0_S9_ifPKiSB_iPKfiiiSD_SD_iiiii.has_dyn_sized_stack, 0
	.set _ZN4vllm25paged_attention_v2_kernelIfhLi80ELi16ELi128ELNS_18Fp8KVCacheDataTypeE1ELb1ELi512EEEvPfS2_PT_PKS3_PKT0_S9_ifPKiSB_iPKfiiiSD_SD_iiiii.has_recursion, 0
	.set _ZN4vllm25paged_attention_v2_kernelIfhLi80ELi16ELi128ELNS_18Fp8KVCacheDataTypeE1ELb1ELi512EEEvPfS2_PT_PKS3_PKT0_S9_ifPKiSB_iPKfiiiSD_SD_iiiii.has_indirect_call, 0
	.section	.AMDGPU.csdata,"",@progbits
; Kernel info:
; codeLenInByte = 23440
; TotalNumSgprs: 62
; NumVgprs: 128
; ScratchSize: 88
; MemoryBound: 0
; FloatMode: 240
; IeeeMode: 1
; LDSByteSize: 352 bytes/workgroup (compile time only)
; SGPRBlocks: 0
; VGPRBlocks: 15
; NumSGPRsForWavesPerEU: 62
; NumVGPRsForWavesPerEU: 128
; Occupancy: 8
; WaveLimiterHint : 1
; COMPUTE_PGM_RSRC2:SCRATCH_EN: 1
; COMPUTE_PGM_RSRC2:USER_SGPR: 6
; COMPUTE_PGM_RSRC2:TRAP_HANDLER: 0
; COMPUTE_PGM_RSRC2:TGID_X_EN: 1
; COMPUTE_PGM_RSRC2:TGID_Y_EN: 1
; COMPUTE_PGM_RSRC2:TGID_Z_EN: 1
; COMPUTE_PGM_RSRC2:TIDIG_COMP_CNT: 0
	.section	.text._ZN4vllm25paged_attention_v2_kernelIfhLi96ELi16ELi128ELNS_18Fp8KVCacheDataTypeE1ELb1ELi512EEEvPfS2_PT_PKS3_PKT0_S9_ifPKiSB_iPKfiiiSD_SD_iiiii,"axG",@progbits,_ZN4vllm25paged_attention_v2_kernelIfhLi96ELi16ELi128ELNS_18Fp8KVCacheDataTypeE1ELb1ELi512EEEvPfS2_PT_PKS3_PKT0_S9_ifPKiSB_iPKfiiiSD_SD_iiiii,comdat
	.protected	_ZN4vllm25paged_attention_v2_kernelIfhLi96ELi16ELi128ELNS_18Fp8KVCacheDataTypeE1ELb1ELi512EEEvPfS2_PT_PKS3_PKT0_S9_ifPKiSB_iPKfiiiSD_SD_iiiii ; -- Begin function _ZN4vllm25paged_attention_v2_kernelIfhLi96ELi16ELi128ELNS_18Fp8KVCacheDataTypeE1ELb1ELi512EEEvPfS2_PT_PKS3_PKT0_S9_ifPKiSB_iPKfiiiSD_SD_iiiii
	.globl	_ZN4vllm25paged_attention_v2_kernelIfhLi96ELi16ELi128ELNS_18Fp8KVCacheDataTypeE1ELb1ELi512EEEvPfS2_PT_PKS3_PKT0_S9_ifPKiSB_iPKfiiiSD_SD_iiiii
	.p2align	8
	.type	_ZN4vllm25paged_attention_v2_kernelIfhLi96ELi16ELi128ELNS_18Fp8KVCacheDataTypeE1ELb1ELi512EEEvPfS2_PT_PKS3_PKT0_S9_ifPKiSB_iPKfiiiSD_SD_iiiii,@function
_ZN4vllm25paged_attention_v2_kernelIfhLi96ELi16ELi128ELNS_18Fp8KVCacheDataTypeE1ELb1ELi512EEEvPfS2_PT_PKS3_PKT0_S9_ifPKiSB_iPKfiiiSD_SD_iiiii: ; @_ZN4vllm25paged_attention_v2_kernelIfhLi96ELi16ELi128ELNS_18Fp8KVCacheDataTypeE1ELb1ELi512EEEvPfS2_PT_PKS3_PKT0_S9_ifPKiSB_iPKfiiiSD_SD_iiiii
; %bb.0:
	s_mov_b64 s[58:59], s[2:3]
	s_mov_b64 s[56:57], s[0:1]
	s_load_dwordx2 s[0:1], s[4:5], 0x40
	s_add_u32 s56, s56, s9
	s_addc_u32 s57, s57, 0
	s_mov_b32 s30, s7
	s_ashr_i32 s31, s7, 31
	s_lshl_b64 s[2:3], s[30:31], 2
	s_waitcnt lgkmcnt(0)
	s_add_u32 s0, s0, s2
	s_addc_u32 s1, s1, s3
	s_lshl_b32 s42, s8, 9
	s_load_dword s31, s[0:1], 0x0
	s_waitcnt lgkmcnt(0)
	s_cmp_ge_i32 s42, s31
	s_cbranch_scc1 .LBB210_872
; %bb.1:
	s_clause 0x1
	s_load_dword s9, s[4:5], 0x90
	s_load_dwordx2 s[40:41], s[4:5], 0x30
	s_mov_b32 s43, 0
	s_waitcnt lgkmcnt(0)
	s_abs_i32 s3, s9
	s_abs_i32 s0, s40
	v_cvt_f32_u32_e32 v1, s0
	s_sub_i32 s2, 0, s0
	v_rcp_iflag_f32_e32 v1, v1
	v_mul_f32_e32 v1, 0x4f7ffffe, v1
	v_cvt_u32_f32_e32 v1, v1
	v_readfirstlane_b32 s1, v1
	s_mul_i32 s2, s2, s1
	s_mul_hi_u32 s2, s1, s2
	s_add_i32 s1, s1, s2
	s_xor_b32 s2, s9, s40
	s_mul_hi_u32 s1, s3, s1
	s_ashr_i32 s2, s2, 31
	s_mul_i32 s7, s1, s0
	s_sub_i32 s3, s3, s7
	s_add_i32 s7, s1, 1
	s_sub_i32 s10, s3, s0
	s_cmp_ge_u32 s3, s0
	s_cselect_b32 s1, s7, s1
	s_cselect_b32 s3, s10, s3
	s_add_i32 s7, s1, 1
	s_cmp_ge_u32 s3, s0
	s_cselect_b32 s0, s7, s1
	s_xor_b32 s0, s0, s2
	s_sub_i32 s10, s0, s2
	s_load_dwordx2 s[0:1], s[4:5], 0x50
	s_abs_i32 s2, s10
	v_cvt_f32_u32_e32 v1, s2
	s_sub_i32 s3, 0, s2
	v_rcp_iflag_f32_e32 v1, v1
	v_mul_f32_e32 v1, 0x4f7ffffe, v1
	v_cvt_u32_f32_e32 v1, v1
	v_readfirstlane_b32 s7, v1
	s_mul_i32 s3, s3, s7
	s_mul_hi_u32 s11, s7, s3
	s_abs_i32 s3, s6
	s_add_i32 s7, s7, s11
	s_waitcnt lgkmcnt(0)
	s_cmp_eq_u64 s[0:1], 0
	s_mul_hi_u32 s12, s3, s7
	s_cbranch_scc1 .LBB210_3
; %bb.2:
	s_ashr_i32 s7, s6, 31
	s_lshl_b64 s[14:15], s[6:7], 2
	s_add_u32 s0, s0, s14
	s_addc_u32 s1, s1, s15
	s_load_dword s43, s[0:1], 0x0
.LBB210_3:
	s_load_dwordx4 s[16:19], s[4:5], 0x58
	v_and_b32_e32 v5, 1, v0
	v_lshlrev_b32_e32 v12, 2, v0
	s_ashr_i32 s0, s6, 31
	s_ashr_i32 s1, s10, 31
	s_mul_i32 s10, s6, 0x60
	s_mov_b32 s7, exec_lo
	v_cmpx_gt_u32_e32 48, v0
	s_cbranch_execz .LBB210_5
; %bb.4:
	s_load_dwordx2 s[14:15], s[4:5], 0x18
	s_waitcnt lgkmcnt(0)
	s_mul_i32 s20, s16, s30
	v_lshlrev_b32_e32 v1, 3, v0
	s_ashr_i32 s21, s20, 31
	v_and_b32_e32 v3, 0xff8, v12
	s_lshl_b64 s[20:21], s[20:21], 2
	v_mad_u32_u24 v3, 0xc0, v5, v3
	s_add_u32 s13, s14, s20
	s_addc_u32 s16, s15, s21
	s_ashr_i32 s11, s10, 31
	s_lshl_b64 s[14:15], s[10:11], 2
	s_add_u32 s14, s13, s14
	s_addc_u32 s15, s16, s15
	global_load_dwordx2 v[1:2], v1, s[14:15]
	s_waitcnt vmcnt(0)
	ds_write_b64 v3, v[1:2]
.LBB210_5:
	s_or_b32 exec_lo, exec_lo, s7
	s_load_dwordx4 s[20:23], s[4:5], 0x78
	s_mul_i32 s7, s12, s2
	s_xor_b32 s0, s0, s1
	s_sub_i32 s1, s3, s7
	s_add_i32 s3, s12, 1
	s_sub_i32 s7, s1, s2
	s_cmp_ge_u32 s1, s2
                                        ; implicit-def: $sgpr19
	s_cselect_b32 s3, s3, s12
	s_cselect_b32 s1, s7, s1
	s_add_i32 s7, s3, 1
	s_cmp_ge_u32 s1, s2
	s_mov_b32 s12, -1
	s_cselect_b32 s1, s7, s3
	s_load_dword s3, s[4:5], 0x88
	s_xor_b32 s1, s1, s0
	s_add_i32 s7, s31, -1
	s_sub_i32 s1, s1, s0
	s_abs_i32 s2, s7
	s_waitcnt lgkmcnt(0)
	s_abs_i32 s11, s23
	s_barrier
	v_cvt_f32_u32_e32 v1, s11
	s_sub_i32 s0, 0, s11
	buffer_gl0_inv
	v_rcp_iflag_f32_e32 v1, v1
	v_mul_f32_e32 v1, 0x4f7ffffe, v1
	v_cvt_u32_f32_e32 v1, v1
	v_readfirstlane_b32 s16, v1
	s_mul_i32 s0, s0, s16
	s_mul_hi_u32 s0, s16, s0
	s_add_i32 s16, s16, s0
	s_cmp_lt_i32 s3, 0
	s_mul_hi_u32 s0, s2, s16
	s_cbranch_scc0 .LBB210_7
; %bb.6:
	s_mul_i32 s12, s20, s40
	s_add_i32 s12, s1, s12
	s_mul_i32 s12, s12, s3
	s_sub_i32 s19, 1, s12
	s_mov_b32 s12, 0
.LBB210_7:
	s_load_dwordx2 s[34:35], s[4:5], 0x38
	s_ashr_i32 s33, s7, 31
	s_andn2_b32 vcc_lo, exec_lo, s12
	s_ashr_i32 s23, s23, 31
	s_cbranch_vccnz .LBB210_9
; %bb.8:
	s_mul_i32 s7, s9, s20
	s_add_i32 s7, s7, s6
	s_mul_i32 s3, s7, s3
	s_add_i32 s19, s3, 1
.LBB210_9:
	s_clause 0x5
	s_load_dword s3, s[4:5], 0x48
	s_load_dwordx2 s[38:39], s[4:5], 0x28
	s_load_dwordx4 s[24:27], s[4:5], 0x0
	s_load_dwordx2 s[28:29], s[4:5], 0x10
	s_load_dword s7, s[4:5], 0x98
	s_load_dwordx4 s[12:15], s[4:5], 0x68
	s_mul_i32 s20, s0, s11
	s_xor_b32 s40, s33, s23
	s_sub_i32 s2, s2, s20
	s_add_i32 s33, s0, 1
	buffer_store_dword v0, off, s[56:59], 0 offset:148 ; 4-byte Folded Spill
	v_lshrrev_b32_e32 v0, 5, v0
	v_mov_b32_e32 v3, 0xff7fffff
	s_mul_i32 s18, s1, s18
	v_lshl_add_u32 v127, v0, 4, s42
	buffer_store_dword v0, off, s[56:59], 0 offset:160 ; 4-byte Folded Spill
	s_waitcnt lgkmcnt(0)
	s_mul_i32 s36, s3, s30
	s_sub_i32 s3, s2, s11
	s_ashr_i32 s37, s36, 31
	s_cmp_ge_u32 s2, s11
	s_cselect_b32 s0, s33, s0
	s_cselect_b32 s2, s3, s2
	s_add_i32 s3, s0, 1
	s_cmp_ge_u32 s2, s11
	s_cselect_b32 s0, s3, s0
	s_add_i32 s2, s31, 15
	s_lshl_b32 s44, s8, 5
	s_ashr_i32 s3, s2, 31
	v_or_b32_e32 v49, s44, v0
	s_lshr_b32 s3, s3, 28
	s_add_i32 s2, s2, s3
	s_add_i32 s3, s44, 32
	s_ashr_i32 s33, s2, 4
	s_xor_b32 s2, s0, s40
	s_min_i32 s20, s3, s33
	v_ashrrev_i32_e32 v50, 31, v49
	v_cmp_gt_i32_e64 s0, s20, v49
	s_sub_i32 s40, s2, s40
	s_and_saveexec_b32 s45, s0
	s_cbranch_execz .LBB210_405
; %bb.10:
	s_clause 0x1
	buffer_load_dword v0, off, s[56:59], 0 offset:148
	buffer_load_dword v8, off, s[56:59], 0 offset:160
	s_load_dwordx2 s[2:3], s[4:5], 0x20
	s_sub_i32 s4, s40, s21
	s_ashr_i32 s1, s18, 31
	v_cmp_eq_u32_e32 vcc_lo, 0, v5
	v_lshlrev_b32_e32 v4, 1, v5
	v_mov_b32_e32 v52, 0
	v_mov_b32_e32 v72, 0x80
	v_bfrev_b32_e32 v54, 1
	v_mov_b32_e32 v6, 0x7f800001
	v_mov_b32_e32 v9, 0xff7fffff
	;; [unrolled: 1-line block ×3, first 2 shown]
	buffer_store_dword v12, off, s[56:59], 0 offset:164 ; 4-byte Folded Spill
	buffer_store_dword v9, off, s[56:59], 0 offset:136 ; 4-byte Folded Spill
	s_waitcnt lgkmcnt(0)
	s_add_u32 s46, s2, s18
	s_addc_u32 s47, s3, s1
	s_abs_i32 s5, s22
	v_cmp_neq_f32_e64 s1, s43, 0
	v_cvt_f32_u32_e32 v1, s5
	s_sub_i32 s2, 0, s5
	v_rcp_iflag_f32_e32 v3, v1
	v_lshlrev_b64 v[1:2], 2, v[49:50]
	v_mul_f32_e32 v3, 0x4f7ffffe, v3
	v_cvt_u32_f32_e32 v3, v3
	s_waitcnt vmcnt(1)
	v_bfe_u32 v10, v0, 1, 4
	v_mul_u32_u24_e32 v0, 0xc0, v5
	s_waitcnt vmcnt(0)
	v_lshl_add_u32 v71, v8, 4, s42
	v_lshlrev_b32_e32 v5, 2, v10
	v_subrev_nc_u32_e32 v7, s31, v10
	buffer_store_dword v10, off, s[56:59], 0 offset:152 ; 4-byte Folded Spill
	v_lshl_or_b32 v5, v8, 6, v5
	v_lshlrev_b32_e32 v8, 4, v10
	v_add_nc_u32_e32 v7, 1, v7
	v_add_nc_u32_e32 v21, 0x1a0, v5
	v_mul_lo_u32 v5, s2, v3
	s_lshl_b64 s[2:3], s[36:37], 2
	buffer_store_dword v7, off, s[56:59], 0 offset:156 ; 4-byte Folded Spill
	v_add_co_u32 v7, s46, s46, v8
	s_add_u32 s2, s34, s2
	v_add_co_ci_u32_e64 v8, null, s47, 0, s46
	v_mul_hi_u32 v5, v3, v5
	s_addc_u32 s3, s35, s3
	v_add_co_u32 v57, s2, s2, v1
	v_add_co_ci_u32_e64 v58, null, s3, v2, s2
	v_add_co_u32 v1, s2, v7, v4
	v_add_co_ci_u32_e64 v2, null, 0, v8, s2
	v_add_nc_u32_e32 v22, v3, v5
	s_mov_b32 s46, 0
	s_mov_b32 s47, s17
	buffer_store_dword v1, off, s[56:59], 0 offset:140 ; 4-byte Folded Spill
	buffer_store_dword v2, off, s[56:59], 0 offset:144 ; 4-byte Folded Spill
	s_branch .LBB210_13
.LBB210_11:                             ;   in Loop: Header=BB210_13 Depth=1
	s_or_b32 exec_lo, exec_lo, s48
.LBB210_12:                             ;   in Loop: Header=BB210_13 Depth=1
	s_or_b32 exec_lo, exec_lo, s3
	v_add_nc_u32_e32 v23, 4, v23
	v_add_co_u32 v57, s3, v57, 16
	v_add_co_ci_u32_e64 v58, null, 0, v58, s3
	v_cmp_le_i32_e64 s2, s20, v23
	v_add_nc_u32_e32 v71, 64, v71
	v_add_nc_u32_e32 v21, 0x100, v21
	s_or_b32 s46, s2, s46
	s_andn2_b32 exec_lo, exec_lo, s46
	s_cbranch_execz .LBB210_404
.LBB210_13:                             ; =>This Inner Loop Header: Depth=1
	v_sub_nc_u32_e32 v1, 0, v71
	v_max_i32_e32 v1, v71, v1
	s_waitcnt lgkmcnt(0)
	v_mul_hi_u32 v2, v1, s16
	v_mul_lo_u32 v3, v2, s11
	v_sub_nc_u32_e32 v1, v1, v3
	v_add_nc_u32_e32 v3, 1, v2
	v_subrev_nc_u32_e32 v4, s11, v1
	v_cmp_le_u32_e64 s2, s11, v1
	v_cndmask_b32_e64 v2, v2, v3, s2
	v_cndmask_b32_e64 v1, v1, v4, s2
	v_ashrrev_i32_e32 v3, 31, v71
	v_add_nc_u32_e32 v4, 1, v2
	v_cmp_le_u32_e64 s2, s11, v1
	v_xor_b32_e32 v3, s23, v3
	v_cndmask_b32_e64 v1, v2, v4, s2
	v_xor_b32_e32 v1, v1, v3
	v_sub_nc_u32_e32 v1, v1, v3
	v_add_nc_u32_e32 v2, s19, v1
	v_cmp_ge_i32_e64 s3, s4, v1
	v_sub_nc_u32_e32 v3, 0, v2
	v_max_i32_e32 v3, v2, v3
	v_ashrrev_i32_e32 v2, 31, v2
	v_mul_hi_u32 v4, v3, v22
	v_mul_lo_u32 v4, v4, s5
	v_sub_nc_u32_e32 v3, v3, v4
	v_subrev_nc_u32_e32 v4, s5, v3
	v_cmp_le_u32_e64 s2, s5, v3
	v_cndmask_b32_e64 v3, v3, v4, s2
	v_subrev_nc_u32_e32 v4, s5, v3
	v_cmp_le_u32_e64 s2, s5, v3
	v_cndmask_b32_e64 v3, v3, v4, s2
	v_xor_b32_e32 v3, v3, v2
	v_sub_nc_u32_e32 v2, v3, v2
	v_cmp_ne_u32_e64 s2, 0, v2
	s_and_b32 s2, s2, s3
	s_and_saveexec_b32 s3, s2
	s_xor_b32 s2, exec_lo, s3
	s_cbranch_execz .LBB210_17
; %bb.14:                               ;   in Loop: Header=BB210_13 Depth=1
	s_and_saveexec_b32 s3, vcc_lo
; %bb.15:                               ;   in Loop: Header=BB210_13 Depth=1
	v_mov_b32_e32 v1, 0xff7fffff
	ds_write_b32 v21, v1
; %bb.16:                               ;   in Loop: Header=BB210_13 Depth=1
	s_or_b32 exec_lo, exec_lo, s3
.LBB210_17:                             ;   in Loop: Header=BB210_13 Depth=1
	s_andn2_saveexec_b32 s3, s2
	s_cbranch_execz .LBB210_12
; %bb.18:                               ;   in Loop: Header=BB210_13 Depth=1
	global_load_dword v1, v[57:58], off
	s_clause 0x1
	buffer_load_dword v2, off, s[56:59], 0 offset:140
	buffer_load_dword v3, off, s[56:59], 0 offset:144
	s_waitcnt vmcnt(0)
	v_mad_i64_i32 v[69:70], null, v1, s47, v[2:3]
	global_load_ushort v1, v[69:70], off
	ds_read_b128 v[45:48], v0
	ds_read_b128 v[41:44], v0 offset:16
	ds_read_b128 v[37:40], v0 offset:32
	;; [unrolled: 1-line block ×6, first 2 shown]
	s_waitcnt lgkmcnt(0)
	buffer_store_dword v2, off, s[56:59], 0 offset:120 ; 4-byte Folded Spill
	buffer_store_dword v3, off, s[56:59], 0 offset:124 ; 4-byte Folded Spill
	buffer_store_dword v4, off, s[56:59], 0 offset:128 ; 4-byte Folded Spill
	buffer_store_dword v5, off, s[56:59], 0 offset:132 ; 4-byte Folded Spill
	ds_read_b128 v[2:5], v0 offset:112
	s_waitcnt lgkmcnt(0)
	buffer_store_dword v2, off, s[56:59], 0 offset:104 ; 4-byte Folded Spill
	buffer_store_dword v3, off, s[56:59], 0 offset:108 ; 4-byte Folded Spill
	buffer_store_dword v4, off, s[56:59], 0 offset:112 ; 4-byte Folded Spill
	buffer_store_dword v5, off, s[56:59], 0 offset:116 ; 4-byte Folded Spill
	ds_read_b128 v[2:5], v0 offset:128
	;; [unrolled: 6-line block ×5, first 2 shown]
	s_waitcnt lgkmcnt(0)
	buffer_store_dword v2, off, s[56:59], 0 offset:40 ; 4-byte Folded Spill
	buffer_store_dword v3, off, s[56:59], 0 offset:44 ; 4-byte Folded Spill
	;; [unrolled: 1-line block ×4, first 2 shown]
	s_load_dword s48, s[12:13], 0x0
	v_mov_b32_e32 v2, 0
	v_mov_b32_e32 v3, 0
	buffer_store_dword v2, off, s[56:59], 0 ; 4-byte Folded Spill
	buffer_store_dword v3, off, s[56:59], 0 offset:4 ; 4-byte Folded Spill
	v_mov_b32_e32 v2, 0
	v_mov_b32_e32 v3, 0
	buffer_store_dword v2, off, s[56:59], 0 offset:8 ; 4-byte Folded Spill
	buffer_store_dword v3, off, s[56:59], 0 offset:12 ; 4-byte Folded Spill
	s_waitcnt vmcnt(0)
	v_cmp_ne_u16_sdwa s2, v1, v52 src0_sel:BYTE_0 src1_sel:DWORD
	v_and_b32_e32 v1, 0xffff, v1
	s_and_saveexec_b32 s49, s2
	s_cbranch_execz .LBB210_26
; %bb.19:                               ;   in Loop: Header=BB210_13 Depth=1
	v_bfrev_b32_e32 v2, 1
	v_mov_b32_e32 v3, 0
	v_cmp_ne_u16_sdwa s2, v1, v72 src0_sel:BYTE_0 src1_sel:DWORD
	buffer_store_dword v2, off, s[56:59], 0 offset:8 ; 4-byte Folded Spill
	buffer_store_dword v3, off, s[56:59], 0 offset:12 ; 4-byte Folded Spill
	s_and_saveexec_b32 s50, s2
	s_cbranch_execz .LBB210_25
; %bb.20:                               ;   in Loop: Header=BB210_13 Depth=1
	v_mov_b32_e32 v4, 0x7f800001
	v_and_b32_e32 v3, 0x7f, v1
	v_mov_b32_e32 v5, 0
	s_mov_b32 s51, exec_lo
	buffer_store_dword v4, off, s[56:59], 0 offset:8 ; 4-byte Folded Spill
	buffer_store_dword v5, off, s[56:59], 0 offset:12 ; 4-byte Folded Spill
	v_cmpx_ne_u32_e32 0x7f, v3
	s_cbranch_execz .LBB210_24
; %bb.21:                               ;   in Loop: Header=BB210_13 Depth=1
	v_and_b32_e32 v51, 7, v1
	v_lshrrev_b32_e32 v2, 3, v3
	s_mov_b32 s52, exec_lo
	v_cmpx_gt_u32_e32 8, v3
; %bb.22:                               ;   in Loop: Header=BB210_13 Depth=1
	v_ffbh_u32_e32 v2, v51
	v_min_u32_e32 v2, 32, v2
	v_subrev_nc_u32_e32 v3, 28, v2
	v_sub_nc_u32_e32 v2, 29, v2
	v_lshlrev_b64 v[3:4], v3, v[51:52]
	v_and_b32_e32 v51, 7, v3
; %bb.23:                               ;   in Loop: Header=BB210_13 Depth=1
	s_or_b32 exec_lo, exec_lo, s52
	v_lshlrev_b32_e32 v3, 24, v1
	v_lshlrev_b32_e32 v4, 20, v51
	v_lshl_add_u32 v2, v2, 23, 0x3c000000
	v_and_b32_e32 v3, 0x80000000, v3
	v_or3_b32 v51, v4, v3, v2
	buffer_store_dword v51, off, s[56:59], 0 offset:8 ; 4-byte Folded Spill
	buffer_store_dword v52, off, s[56:59], 0 offset:12 ; 4-byte Folded Spill
.LBB210_24:                             ;   in Loop: Header=BB210_13 Depth=1
	s_or_b32 exec_lo, exec_lo, s51
.LBB210_25:                             ;   in Loop: Header=BB210_13 Depth=1
	s_or_b32 exec_lo, exec_lo, s50
.LBB210_26:                             ;   in Loop: Header=BB210_13 Depth=1
	s_or_b32 exec_lo, exec_lo, s49
	v_cmp_ne_u16_sdwa s2, v1, v52 src0_sel:BYTE_1 src1_sel:DWORD
	s_and_saveexec_b32 s49, s2
	s_cbranch_execz .LBB210_34
; %bb.27:                               ;   in Loop: Header=BB210_13 Depth=1
	v_mov_b32_e32 v53, v52
	v_cmp_ne_u16_sdwa s2, v1, v72 src0_sel:BYTE_1 src1_sel:DWORD
	buffer_store_dword v53, off, s[56:59], 0 ; 4-byte Folded Spill
	buffer_store_dword v54, off, s[56:59], 0 offset:4 ; 4-byte Folded Spill
	s_and_saveexec_b32 s50, s2
	s_cbranch_execz .LBB210_33
; %bb.28:                               ;   in Loop: Header=BB210_13 Depth=1
	v_mov_b32_e32 v2, 0xffff
	v_mov_b32_e32 v5, v52
	s_mov_b32 s51, exec_lo
	buffer_store_dword v5, off, s[56:59], 0 ; 4-byte Folded Spill
	buffer_store_dword v6, off, s[56:59], 0 offset:4 ; 4-byte Folded Spill
	v_and_b32_sdwa v2, v2, v1 dst_sel:DWORD dst_unused:UNUSED_PAD src0_sel:DWORD src1_sel:BYTE_1
	v_and_b32_e32 v3, 0x7f, v2
	v_cmpx_ne_u32_e32 0x7f, v3
	s_cbranch_execz .LBB210_32
; %bb.29:                               ;   in Loop: Header=BB210_13 Depth=1
	v_and_b32_e32 v51, 7, v2
	v_lshrrev_b32_e32 v2, 3, v3
	s_mov_b32 s52, exec_lo
	v_cmpx_gt_u32_e32 8, v3
; %bb.30:                               ;   in Loop: Header=BB210_13 Depth=1
	v_ffbh_u32_e32 v2, v51
	v_min_u32_e32 v2, 32, v2
	v_subrev_nc_u32_e32 v3, 28, v2
	v_sub_nc_u32_e32 v2, 29, v2
	v_lshlrev_b64 v[3:4], v3, v[51:52]
	v_and_b32_e32 v51, 7, v3
; %bb.31:                               ;   in Loop: Header=BB210_13 Depth=1
	s_or_b32 exec_lo, exec_lo, s52
	v_lshlrev_b32_e32 v1, 16, v1
	v_lshlrev_b32_e32 v3, 20, v51
	v_lshl_add_u32 v2, v2, 23, 0x3c000000
	v_and_b32_e32 v1, 0x80000000, v1
	v_or3_b32 v2, v3, v1, v2
	v_mov_b32_e32 v1, v52
	buffer_store_dword v1, off, s[56:59], 0 ; 4-byte Folded Spill
	buffer_store_dword v2, off, s[56:59], 0 offset:4 ; 4-byte Folded Spill
.LBB210_32:                             ;   in Loop: Header=BB210_13 Depth=1
	s_or_b32 exec_lo, exec_lo, s51
.LBB210_33:                             ;   in Loop: Header=BB210_13 Depth=1
	s_or_b32 exec_lo, exec_lo, s50
.LBB210_34:                             ;   in Loop: Header=BB210_13 Depth=1
	s_or_b32 exec_lo, exec_lo, s49
	global_load_ushort v2, v[69:70], off offset:4
	v_mov_b32_e32 v3, 0
	v_mov_b32_e32 v4, 0
	buffer_store_dword v3, off, s[56:59], 0 offset:24 ; 4-byte Folded Spill
	buffer_store_dword v4, off, s[56:59], 0 offset:28 ; 4-byte Folded Spill
	v_mov_b32_e32 v3, 0
	v_mov_b32_e32 v4, 0
	buffer_store_dword v3, off, s[56:59], 0 offset:16 ; 4-byte Folded Spill
	buffer_store_dword v4, off, s[56:59], 0 offset:20 ; 4-byte Folded Spill
	s_waitcnt vmcnt(0)
	v_and_b32_e32 v1, 0xffff, v2
	v_cmp_ne_u16_sdwa s2, v2, v52 src0_sel:BYTE_0 src1_sel:DWORD
	s_and_saveexec_b32 s49, s2
	s_cbranch_execz .LBB210_42
; %bb.35:                               ;   in Loop: Header=BB210_13 Depth=1
	v_bfrev_b32_e32 v2, 1
	v_mov_b32_e32 v3, 0
	v_cmp_ne_u16_sdwa s2, v1, v72 src0_sel:BYTE_0 src1_sel:DWORD
	buffer_store_dword v2, off, s[56:59], 0 offset:16 ; 4-byte Folded Spill
	buffer_store_dword v3, off, s[56:59], 0 offset:20 ; 4-byte Folded Spill
	s_and_saveexec_b32 s50, s2
	s_cbranch_execz .LBB210_41
; %bb.36:                               ;   in Loop: Header=BB210_13 Depth=1
	v_mov_b32_e32 v4, 0x7f800001
	v_and_b32_e32 v3, 0x7f, v1
	v_mov_b32_e32 v5, 0
	s_mov_b32 s51, exec_lo
	buffer_store_dword v4, off, s[56:59], 0 offset:16 ; 4-byte Folded Spill
	buffer_store_dword v5, off, s[56:59], 0 offset:20 ; 4-byte Folded Spill
	v_cmpx_ne_u32_e32 0x7f, v3
	s_cbranch_execz .LBB210_40
; %bb.37:                               ;   in Loop: Header=BB210_13 Depth=1
	v_and_b32_e32 v51, 7, v1
	v_lshrrev_b32_e32 v2, 3, v3
	s_mov_b32 s52, exec_lo
	v_cmpx_gt_u32_e32 8, v3
; %bb.38:                               ;   in Loop: Header=BB210_13 Depth=1
	v_ffbh_u32_e32 v2, v51
	v_min_u32_e32 v2, 32, v2
	v_subrev_nc_u32_e32 v3, 28, v2
	v_sub_nc_u32_e32 v2, 29, v2
	v_lshlrev_b64 v[3:4], v3, v[51:52]
	v_and_b32_e32 v51, 7, v3
; %bb.39:                               ;   in Loop: Header=BB210_13 Depth=1
	s_or_b32 exec_lo, exec_lo, s52
	v_lshlrev_b32_e32 v3, 24, v1
	v_lshlrev_b32_e32 v4, 20, v51
	v_lshl_add_u32 v2, v2, 23, 0x3c000000
	v_and_b32_e32 v3, 0x80000000, v3
	v_or3_b32 v51, v4, v3, v2
	buffer_store_dword v51, off, s[56:59], 0 offset:16 ; 4-byte Folded Spill
	buffer_store_dword v52, off, s[56:59], 0 offset:20 ; 4-byte Folded Spill
.LBB210_40:                             ;   in Loop: Header=BB210_13 Depth=1
	s_or_b32 exec_lo, exec_lo, s51
.LBB210_41:                             ;   in Loop: Header=BB210_13 Depth=1
	s_or_b32 exec_lo, exec_lo, s50
.LBB210_42:                             ;   in Loop: Header=BB210_13 Depth=1
	s_or_b32 exec_lo, exec_lo, s49
	v_cmp_ne_u16_sdwa s2, v1, v52 src0_sel:BYTE_1 src1_sel:DWORD
	s_and_saveexec_b32 s49, s2
	s_cbranch_execz .LBB210_50
; %bb.43:                               ;   in Loop: Header=BB210_13 Depth=1
	v_mov_b32_e32 v53, v52
	v_cmp_ne_u16_sdwa s2, v1, v72 src0_sel:BYTE_1 src1_sel:DWORD
	buffer_store_dword v53, off, s[56:59], 0 offset:24 ; 4-byte Folded Spill
	buffer_store_dword v54, off, s[56:59], 0 offset:28 ; 4-byte Folded Spill
	s_and_saveexec_b32 s50, s2
	s_cbranch_execz .LBB210_49
; %bb.44:                               ;   in Loop: Header=BB210_13 Depth=1
	v_mov_b32_e32 v2, 0xffff
	v_mov_b32_e32 v5, v52
	s_mov_b32 s51, exec_lo
	buffer_store_dword v5, off, s[56:59], 0 offset:24 ; 4-byte Folded Spill
	buffer_store_dword v6, off, s[56:59], 0 offset:28 ; 4-byte Folded Spill
	v_and_b32_sdwa v2, v2, v1 dst_sel:DWORD dst_unused:UNUSED_PAD src0_sel:DWORD src1_sel:BYTE_1
	v_and_b32_e32 v3, 0x7f, v2
	v_cmpx_ne_u32_e32 0x7f, v3
	s_cbranch_execz .LBB210_48
; %bb.45:                               ;   in Loop: Header=BB210_13 Depth=1
	v_and_b32_e32 v51, 7, v2
	v_lshrrev_b32_e32 v2, 3, v3
	s_mov_b32 s52, exec_lo
	v_cmpx_gt_u32_e32 8, v3
; %bb.46:                               ;   in Loop: Header=BB210_13 Depth=1
	v_ffbh_u32_e32 v2, v51
	v_min_u32_e32 v2, 32, v2
	v_subrev_nc_u32_e32 v3, 28, v2
	v_sub_nc_u32_e32 v2, 29, v2
	v_lshlrev_b64 v[3:4], v3, v[51:52]
	v_and_b32_e32 v51, 7, v3
; %bb.47:                               ;   in Loop: Header=BB210_13 Depth=1
	s_or_b32 exec_lo, exec_lo, s52
	v_lshlrev_b32_e32 v1, 16, v1
	v_lshlrev_b32_e32 v3, 20, v51
	v_lshl_add_u32 v2, v2, 23, 0x3c000000
	v_and_b32_e32 v1, 0x80000000, v1
	v_or3_b32 v2, v3, v1, v2
	v_mov_b32_e32 v1, v52
	buffer_store_dword v1, off, s[56:59], 0 offset:24 ; 4-byte Folded Spill
	buffer_store_dword v2, off, s[56:59], 0 offset:28 ; 4-byte Folded Spill
.LBB210_48:                             ;   in Loop: Header=BB210_13 Depth=1
	s_or_b32 exec_lo, exec_lo, s51
.LBB210_49:                             ;   in Loop: Header=BB210_13 Depth=1
	s_or_b32 exec_lo, exec_lo, s50
.LBB210_50:                             ;   in Loop: Header=BB210_13 Depth=1
	s_or_b32 exec_lo, exec_lo, s49
	global_load_ushort v2, v[69:70], off offset:8
	v_mov_b32_e32 v9, 0
	v_mov_b32_e32 v3, 0
	;; [unrolled: 1-line block ×4, first 2 shown]
	buffer_store_dword v3, off, s[56:59], 0 offset:32 ; 4-byte Folded Spill
	buffer_store_dword v4, off, s[56:59], 0 offset:36 ; 4-byte Folded Spill
	s_waitcnt vmcnt(0)
	v_and_b32_e32 v1, 0xffff, v2
	v_cmp_ne_u16_sdwa s2, v2, v52 src0_sel:BYTE_0 src1_sel:DWORD
	s_and_saveexec_b32 s49, s2
	s_cbranch_execz .LBB210_58
; %bb.51:                               ;   in Loop: Header=BB210_13 Depth=1
	v_bfrev_b32_e32 v2, 1
	v_mov_b32_e32 v3, 0
	v_cmp_ne_u16_sdwa s2, v1, v72 src0_sel:BYTE_0 src1_sel:DWORD
	buffer_store_dword v2, off, s[56:59], 0 offset:32 ; 4-byte Folded Spill
	buffer_store_dword v3, off, s[56:59], 0 offset:36 ; 4-byte Folded Spill
	s_and_saveexec_b32 s50, s2
	s_cbranch_execz .LBB210_57
; %bb.52:                               ;   in Loop: Header=BB210_13 Depth=1
	v_mov_b32_e32 v4, 0x7f800001
	v_and_b32_e32 v3, 0x7f, v1
	v_mov_b32_e32 v5, 0
	s_mov_b32 s51, exec_lo
	buffer_store_dword v4, off, s[56:59], 0 offset:32 ; 4-byte Folded Spill
	buffer_store_dword v5, off, s[56:59], 0 offset:36 ; 4-byte Folded Spill
	v_cmpx_ne_u32_e32 0x7f, v3
	s_cbranch_execz .LBB210_56
; %bb.53:                               ;   in Loop: Header=BB210_13 Depth=1
	v_and_b32_e32 v51, 7, v1
	v_lshrrev_b32_e32 v2, 3, v3
	s_mov_b32 s52, exec_lo
	v_cmpx_gt_u32_e32 8, v3
; %bb.54:                               ;   in Loop: Header=BB210_13 Depth=1
	v_ffbh_u32_e32 v2, v51
	v_min_u32_e32 v2, 32, v2
	v_subrev_nc_u32_e32 v3, 28, v2
	v_sub_nc_u32_e32 v2, 29, v2
	v_lshlrev_b64 v[3:4], v3, v[51:52]
	v_and_b32_e32 v51, 7, v3
; %bb.55:                               ;   in Loop: Header=BB210_13 Depth=1
	s_or_b32 exec_lo, exec_lo, s52
	v_lshlrev_b32_e32 v3, 24, v1
	v_lshlrev_b32_e32 v4, 20, v51
	v_lshl_add_u32 v2, v2, 23, 0x3c000000
	v_and_b32_e32 v3, 0x80000000, v3
	v_or3_b32 v51, v4, v3, v2
	buffer_store_dword v51, off, s[56:59], 0 offset:32 ; 4-byte Folded Spill
	buffer_store_dword v52, off, s[56:59], 0 offset:36 ; 4-byte Folded Spill
.LBB210_56:                             ;   in Loop: Header=BB210_13 Depth=1
	s_or_b32 exec_lo, exec_lo, s51
.LBB210_57:                             ;   in Loop: Header=BB210_13 Depth=1
	s_or_b32 exec_lo, exec_lo, s50
.LBB210_58:                             ;   in Loop: Header=BB210_13 Depth=1
	s_or_b32 exec_lo, exec_lo, s49
	v_cmp_ne_u16_sdwa s2, v1, v52 src0_sel:BYTE_1 src1_sel:DWORD
	s_and_saveexec_b32 s49, s2
	s_cbranch_execz .LBB210_66
; %bb.59:                               ;   in Loop: Header=BB210_13 Depth=1
	v_mov_b32_e32 v53, v52
	v_cmp_ne_u16_sdwa s2, v1, v72 src0_sel:BYTE_1 src1_sel:DWORD
	v_mov_b32_e32 v9, v53
	v_mov_b32_e32 v10, v54
	s_and_saveexec_b32 s50, s2
	s_cbranch_execz .LBB210_65
; %bb.60:                               ;   in Loop: Header=BB210_13 Depth=1
	v_mov_b32_e32 v2, 0xffff
	v_mov_b32_e32 v5, v52
	;; [unrolled: 1-line block ×3, first 2 shown]
	s_mov_b32 s51, exec_lo
	v_and_b32_sdwa v2, v2, v1 dst_sel:DWORD dst_unused:UNUSED_PAD src0_sel:DWORD src1_sel:BYTE_1
	v_mov_b32_e32 v9, v5
	v_and_b32_e32 v3, 0x7f, v2
	v_cmpx_ne_u32_e32 0x7f, v3
	s_cbranch_execz .LBB210_64
; %bb.61:                               ;   in Loop: Header=BB210_13 Depth=1
	v_and_b32_e32 v51, 7, v2
	v_lshrrev_b32_e32 v2, 3, v3
	s_mov_b32 s52, exec_lo
	v_cmpx_gt_u32_e32 8, v3
; %bb.62:                               ;   in Loop: Header=BB210_13 Depth=1
	v_ffbh_u32_e32 v2, v51
	v_min_u32_e32 v2, 32, v2
	v_subrev_nc_u32_e32 v3, 28, v2
	v_sub_nc_u32_e32 v2, 29, v2
	v_lshlrev_b64 v[3:4], v3, v[51:52]
	v_and_b32_e32 v51, 7, v3
; %bb.63:                               ;   in Loop: Header=BB210_13 Depth=1
	s_or_b32 exec_lo, exec_lo, s52
	v_lshlrev_b32_e32 v1, 16, v1
	v_lshlrev_b32_e32 v3, 20, v51
	v_lshl_add_u32 v2, v2, 23, 0x3c000000
	v_mov_b32_e32 v9, v52
	v_and_b32_e32 v1, 0x80000000, v1
	v_or3_b32 v10, v3, v1, v2
.LBB210_64:                             ;   in Loop: Header=BB210_13 Depth=1
	s_or_b32 exec_lo, exec_lo, s51
.LBB210_65:                             ;   in Loop: Header=BB210_13 Depth=1
	s_or_b32 exec_lo, exec_lo, s50
.LBB210_66:                             ;   in Loop: Header=BB210_13 Depth=1
	s_or_b32 exec_lo, exec_lo, s49
	global_load_ushort v2, v[69:70], off offset:12
	v_mov_b32_e32 v77, 0
	v_mov_b32_e32 v75, 0
	;; [unrolled: 1-line block ×4, first 2 shown]
	s_waitcnt vmcnt(0)
	v_and_b32_e32 v1, 0xffff, v2
	v_cmp_ne_u16_sdwa s2, v2, v52 src0_sel:BYTE_0 src1_sel:DWORD
	s_and_saveexec_b32 s49, s2
	s_cbranch_execz .LBB210_74
; %bb.67:                               ;   in Loop: Header=BB210_13 Depth=1
	v_bfrev_b32_e32 v75, 1
	v_mov_b32_e32 v76, 0
	v_cmp_ne_u16_sdwa s2, v1, v72 src0_sel:BYTE_0 src1_sel:DWORD
	s_and_saveexec_b32 s50, s2
	s_cbranch_execz .LBB210_73
; %bb.68:                               ;   in Loop: Header=BB210_13 Depth=1
	v_mov_b32_e32 v75, 0x7f800001
	v_and_b32_e32 v3, 0x7f, v1
	v_mov_b32_e32 v76, 0
	s_mov_b32 s51, exec_lo
	v_cmpx_ne_u32_e32 0x7f, v3
	s_cbranch_execz .LBB210_72
; %bb.69:                               ;   in Loop: Header=BB210_13 Depth=1
	v_and_b32_e32 v51, 7, v1
	v_lshrrev_b32_e32 v2, 3, v3
	s_mov_b32 s52, exec_lo
	v_cmpx_gt_u32_e32 8, v3
; %bb.70:                               ;   in Loop: Header=BB210_13 Depth=1
	v_ffbh_u32_e32 v2, v51
	v_min_u32_e32 v2, 32, v2
	v_subrev_nc_u32_e32 v3, 28, v2
	v_sub_nc_u32_e32 v2, 29, v2
	v_lshlrev_b64 v[3:4], v3, v[51:52]
	v_and_b32_e32 v51, 7, v3
; %bb.71:                               ;   in Loop: Header=BB210_13 Depth=1
	s_or_b32 exec_lo, exec_lo, s52
	v_lshlrev_b32_e32 v3, 24, v1
	v_lshlrev_b32_e32 v4, 20, v51
	v_lshl_add_u32 v2, v2, 23, 0x3c000000
	v_and_b32_e32 v3, 0x80000000, v3
	v_or3_b32 v51, v4, v3, v2
	v_mov_b32_e32 v76, v52
	v_mov_b32_e32 v75, v51
.LBB210_72:                             ;   in Loop: Header=BB210_13 Depth=1
	s_or_b32 exec_lo, exec_lo, s51
.LBB210_73:                             ;   in Loop: Header=BB210_13 Depth=1
	s_or_b32 exec_lo, exec_lo, s50
.LBB210_74:                             ;   in Loop: Header=BB210_13 Depth=1
	s_or_b32 exec_lo, exec_lo, s49
	v_cmp_ne_u16_sdwa s2, v1, v52 src0_sel:BYTE_1 src1_sel:DWORD
	s_and_saveexec_b32 s49, s2
	s_cbranch_execz .LBB210_82
; %bb.75:                               ;   in Loop: Header=BB210_13 Depth=1
	v_mov_b32_e32 v53, v52
	v_mov_b32_e32 v78, v54
	v_cmp_ne_u16_sdwa s2, v1, v72 src0_sel:BYTE_1 src1_sel:DWORD
	v_mov_b32_e32 v77, v53
	s_and_saveexec_b32 s50, s2
	s_cbranch_execz .LBB210_81
; %bb.76:                               ;   in Loop: Header=BB210_13 Depth=1
	v_mov_b32_e32 v2, 0xffff
	v_mov_b32_e32 v5, v52
	;; [unrolled: 1-line block ×3, first 2 shown]
	s_mov_b32 s51, exec_lo
	v_and_b32_sdwa v2, v2, v1 dst_sel:DWORD dst_unused:UNUSED_PAD src0_sel:DWORD src1_sel:BYTE_1
	v_mov_b32_e32 v77, v5
	v_and_b32_e32 v3, 0x7f, v2
	v_cmpx_ne_u32_e32 0x7f, v3
	s_cbranch_execz .LBB210_80
; %bb.77:                               ;   in Loop: Header=BB210_13 Depth=1
	v_and_b32_e32 v51, 7, v2
	v_lshrrev_b32_e32 v2, 3, v3
	s_mov_b32 s52, exec_lo
	v_cmpx_gt_u32_e32 8, v3
; %bb.78:                               ;   in Loop: Header=BB210_13 Depth=1
	v_ffbh_u32_e32 v2, v51
	v_min_u32_e32 v2, 32, v2
	v_subrev_nc_u32_e32 v3, 28, v2
	v_sub_nc_u32_e32 v2, 29, v2
	v_lshlrev_b64 v[3:4], v3, v[51:52]
	v_and_b32_e32 v51, 7, v3
; %bb.79:                               ;   in Loop: Header=BB210_13 Depth=1
	s_or_b32 exec_lo, exec_lo, s52
	v_lshlrev_b32_e32 v1, 16, v1
	v_lshlrev_b32_e32 v3, 20, v51
	v_lshl_add_u32 v2, v2, 23, 0x3c000000
	v_mov_b32_e32 v77, v52
	v_and_b32_e32 v1, 0x80000000, v1
	v_or3_b32 v78, v3, v1, v2
.LBB210_80:                             ;   in Loop: Header=BB210_13 Depth=1
	s_or_b32 exec_lo, exec_lo, s51
.LBB210_81:                             ;   in Loop: Header=BB210_13 Depth=1
	s_or_b32 exec_lo, exec_lo, s50
.LBB210_82:                             ;   in Loop: Header=BB210_13 Depth=1
	s_or_b32 exec_lo, exec_lo, s49
	global_load_ushort v2, v[69:70], off offset:256
	v_mov_b32_e32 v81, 0
	v_mov_b32_e32 v79, 0
	;; [unrolled: 1-line block ×4, first 2 shown]
	s_waitcnt vmcnt(0)
	v_and_b32_e32 v1, 0xffff, v2
	v_cmp_ne_u16_sdwa s2, v2, v52 src0_sel:BYTE_0 src1_sel:DWORD
	s_and_saveexec_b32 s49, s2
	s_cbranch_execz .LBB210_90
; %bb.83:                               ;   in Loop: Header=BB210_13 Depth=1
	v_bfrev_b32_e32 v79, 1
	v_mov_b32_e32 v80, 0
	v_cmp_ne_u16_sdwa s2, v1, v72 src0_sel:BYTE_0 src1_sel:DWORD
	s_and_saveexec_b32 s50, s2
	s_cbranch_execz .LBB210_89
; %bb.84:                               ;   in Loop: Header=BB210_13 Depth=1
	v_mov_b32_e32 v79, 0x7f800001
	v_and_b32_e32 v3, 0x7f, v1
	v_mov_b32_e32 v80, 0
	s_mov_b32 s51, exec_lo
	v_cmpx_ne_u32_e32 0x7f, v3
	s_cbranch_execz .LBB210_88
; %bb.85:                               ;   in Loop: Header=BB210_13 Depth=1
	v_and_b32_e32 v51, 7, v1
	v_lshrrev_b32_e32 v2, 3, v3
	s_mov_b32 s52, exec_lo
	v_cmpx_gt_u32_e32 8, v3
; %bb.86:                               ;   in Loop: Header=BB210_13 Depth=1
	v_ffbh_u32_e32 v2, v51
	v_min_u32_e32 v2, 32, v2
	v_subrev_nc_u32_e32 v3, 28, v2
	v_sub_nc_u32_e32 v2, 29, v2
	v_lshlrev_b64 v[3:4], v3, v[51:52]
	v_and_b32_e32 v51, 7, v3
; %bb.87:                               ;   in Loop: Header=BB210_13 Depth=1
	s_or_b32 exec_lo, exec_lo, s52
	v_lshlrev_b32_e32 v3, 24, v1
	v_lshlrev_b32_e32 v4, 20, v51
	v_lshl_add_u32 v2, v2, 23, 0x3c000000
	v_and_b32_e32 v3, 0x80000000, v3
	v_or3_b32 v51, v4, v3, v2
	v_mov_b32_e32 v80, v52
	v_mov_b32_e32 v79, v51
.LBB210_88:                             ;   in Loop: Header=BB210_13 Depth=1
	s_or_b32 exec_lo, exec_lo, s51
.LBB210_89:                             ;   in Loop: Header=BB210_13 Depth=1
	s_or_b32 exec_lo, exec_lo, s50
.LBB210_90:                             ;   in Loop: Header=BB210_13 Depth=1
	s_or_b32 exec_lo, exec_lo, s49
	v_cmp_ne_u16_sdwa s2, v1, v52 src0_sel:BYTE_1 src1_sel:DWORD
	s_and_saveexec_b32 s49, s2
	s_cbranch_execz .LBB210_98
; %bb.91:                               ;   in Loop: Header=BB210_13 Depth=1
	v_mov_b32_e32 v53, v52
	v_mov_b32_e32 v82, v54
	v_cmp_ne_u16_sdwa s2, v1, v72 src0_sel:BYTE_1 src1_sel:DWORD
	v_mov_b32_e32 v81, v53
	s_and_saveexec_b32 s50, s2
	s_cbranch_execz .LBB210_97
; %bb.92:                               ;   in Loop: Header=BB210_13 Depth=1
	v_mov_b32_e32 v2, 0xffff
	v_mov_b32_e32 v5, v52
	;; [unrolled: 1-line block ×3, first 2 shown]
	s_mov_b32 s51, exec_lo
	v_and_b32_sdwa v2, v2, v1 dst_sel:DWORD dst_unused:UNUSED_PAD src0_sel:DWORD src1_sel:BYTE_1
	v_mov_b32_e32 v81, v5
	v_and_b32_e32 v3, 0x7f, v2
	v_cmpx_ne_u32_e32 0x7f, v3
	s_cbranch_execz .LBB210_96
; %bb.93:                               ;   in Loop: Header=BB210_13 Depth=1
	v_and_b32_e32 v51, 7, v2
	v_lshrrev_b32_e32 v2, 3, v3
	s_mov_b32 s52, exec_lo
	v_cmpx_gt_u32_e32 8, v3
; %bb.94:                               ;   in Loop: Header=BB210_13 Depth=1
	v_ffbh_u32_e32 v2, v51
	v_min_u32_e32 v2, 32, v2
	v_subrev_nc_u32_e32 v3, 28, v2
	v_sub_nc_u32_e32 v2, 29, v2
	v_lshlrev_b64 v[3:4], v3, v[51:52]
	v_and_b32_e32 v51, 7, v3
; %bb.95:                               ;   in Loop: Header=BB210_13 Depth=1
	s_or_b32 exec_lo, exec_lo, s52
	v_lshlrev_b32_e32 v1, 16, v1
	v_lshlrev_b32_e32 v3, 20, v51
	v_lshl_add_u32 v2, v2, 23, 0x3c000000
	v_mov_b32_e32 v81, v52
	v_and_b32_e32 v1, 0x80000000, v1
	v_or3_b32 v82, v3, v1, v2
.LBB210_96:                             ;   in Loop: Header=BB210_13 Depth=1
	s_or_b32 exec_lo, exec_lo, s51
.LBB210_97:                             ;   in Loop: Header=BB210_13 Depth=1
	s_or_b32 exec_lo, exec_lo, s50
.LBB210_98:                             ;   in Loop: Header=BB210_13 Depth=1
	s_or_b32 exec_lo, exec_lo, s49
	global_load_ushort v2, v[69:70], off offset:260
	v_mov_b32_e32 v85, 0
	v_mov_b32_e32 v83, 0
	;; [unrolled: 1-line block ×4, first 2 shown]
	s_waitcnt vmcnt(0)
	v_and_b32_e32 v1, 0xffff, v2
	v_cmp_ne_u16_sdwa s2, v2, v52 src0_sel:BYTE_0 src1_sel:DWORD
	s_and_saveexec_b32 s49, s2
	s_cbranch_execz .LBB210_106
; %bb.99:                               ;   in Loop: Header=BB210_13 Depth=1
	v_bfrev_b32_e32 v83, 1
	v_mov_b32_e32 v84, 0
	v_cmp_ne_u16_sdwa s2, v1, v72 src0_sel:BYTE_0 src1_sel:DWORD
	s_and_saveexec_b32 s50, s2
	s_cbranch_execz .LBB210_105
; %bb.100:                              ;   in Loop: Header=BB210_13 Depth=1
	v_mov_b32_e32 v83, 0x7f800001
	v_and_b32_e32 v3, 0x7f, v1
	v_mov_b32_e32 v84, 0
	s_mov_b32 s51, exec_lo
	v_cmpx_ne_u32_e32 0x7f, v3
	s_cbranch_execz .LBB210_104
; %bb.101:                              ;   in Loop: Header=BB210_13 Depth=1
	v_and_b32_e32 v51, 7, v1
	v_lshrrev_b32_e32 v2, 3, v3
	s_mov_b32 s52, exec_lo
	v_cmpx_gt_u32_e32 8, v3
; %bb.102:                              ;   in Loop: Header=BB210_13 Depth=1
	v_ffbh_u32_e32 v2, v51
	v_min_u32_e32 v2, 32, v2
	v_subrev_nc_u32_e32 v3, 28, v2
	v_sub_nc_u32_e32 v2, 29, v2
	v_lshlrev_b64 v[3:4], v3, v[51:52]
	v_and_b32_e32 v51, 7, v3
; %bb.103:                              ;   in Loop: Header=BB210_13 Depth=1
	s_or_b32 exec_lo, exec_lo, s52
	v_lshlrev_b32_e32 v3, 24, v1
	v_lshlrev_b32_e32 v4, 20, v51
	v_lshl_add_u32 v2, v2, 23, 0x3c000000
	v_and_b32_e32 v3, 0x80000000, v3
	v_or3_b32 v51, v4, v3, v2
	v_mov_b32_e32 v84, v52
	v_mov_b32_e32 v83, v51
.LBB210_104:                            ;   in Loop: Header=BB210_13 Depth=1
	s_or_b32 exec_lo, exec_lo, s51
.LBB210_105:                            ;   in Loop: Header=BB210_13 Depth=1
	s_or_b32 exec_lo, exec_lo, s50
.LBB210_106:                            ;   in Loop: Header=BB210_13 Depth=1
	s_or_b32 exec_lo, exec_lo, s49
	v_cmp_ne_u16_sdwa s2, v1, v52 src0_sel:BYTE_1 src1_sel:DWORD
	s_and_saveexec_b32 s49, s2
	s_cbranch_execz .LBB210_114
; %bb.107:                              ;   in Loop: Header=BB210_13 Depth=1
	v_mov_b32_e32 v53, v52
	v_mov_b32_e32 v86, v54
	v_cmp_ne_u16_sdwa s2, v1, v72 src0_sel:BYTE_1 src1_sel:DWORD
	v_mov_b32_e32 v85, v53
	s_and_saveexec_b32 s50, s2
	s_cbranch_execz .LBB210_113
; %bb.108:                              ;   in Loop: Header=BB210_13 Depth=1
	v_mov_b32_e32 v2, 0xffff
	v_mov_b32_e32 v5, v52
	;; [unrolled: 1-line block ×3, first 2 shown]
	s_mov_b32 s51, exec_lo
	v_and_b32_sdwa v2, v2, v1 dst_sel:DWORD dst_unused:UNUSED_PAD src0_sel:DWORD src1_sel:BYTE_1
	v_mov_b32_e32 v85, v5
	v_and_b32_e32 v3, 0x7f, v2
	v_cmpx_ne_u32_e32 0x7f, v3
	s_cbranch_execz .LBB210_112
; %bb.109:                              ;   in Loop: Header=BB210_13 Depth=1
	v_and_b32_e32 v51, 7, v2
	v_lshrrev_b32_e32 v2, 3, v3
	s_mov_b32 s52, exec_lo
	v_cmpx_gt_u32_e32 8, v3
; %bb.110:                              ;   in Loop: Header=BB210_13 Depth=1
	v_ffbh_u32_e32 v2, v51
	v_min_u32_e32 v2, 32, v2
	v_subrev_nc_u32_e32 v3, 28, v2
	v_sub_nc_u32_e32 v2, 29, v2
	v_lshlrev_b64 v[3:4], v3, v[51:52]
	v_and_b32_e32 v51, 7, v3
; %bb.111:                              ;   in Loop: Header=BB210_13 Depth=1
	s_or_b32 exec_lo, exec_lo, s52
	v_lshlrev_b32_e32 v1, 16, v1
	v_lshlrev_b32_e32 v3, 20, v51
	v_lshl_add_u32 v2, v2, 23, 0x3c000000
	v_mov_b32_e32 v85, v52
	v_and_b32_e32 v1, 0x80000000, v1
	v_or3_b32 v86, v3, v1, v2
.LBB210_112:                            ;   in Loop: Header=BB210_13 Depth=1
	s_or_b32 exec_lo, exec_lo, s51
.LBB210_113:                            ;   in Loop: Header=BB210_13 Depth=1
	s_or_b32 exec_lo, exec_lo, s50
.LBB210_114:                            ;   in Loop: Header=BB210_13 Depth=1
	s_or_b32 exec_lo, exec_lo, s49
	global_load_ushort v2, v[69:70], off offset:264
	v_mov_b32_e32 v89, 0
	v_mov_b32_e32 v87, 0
	;; [unrolled: 1-line block ×4, first 2 shown]
	s_waitcnt vmcnt(0)
	v_and_b32_e32 v1, 0xffff, v2
	v_cmp_ne_u16_sdwa s2, v2, v52 src0_sel:BYTE_0 src1_sel:DWORD
	s_and_saveexec_b32 s49, s2
	s_cbranch_execz .LBB210_122
; %bb.115:                              ;   in Loop: Header=BB210_13 Depth=1
	v_bfrev_b32_e32 v87, 1
	v_mov_b32_e32 v88, 0
	v_cmp_ne_u16_sdwa s2, v1, v72 src0_sel:BYTE_0 src1_sel:DWORD
	s_and_saveexec_b32 s50, s2
	s_cbranch_execz .LBB210_121
; %bb.116:                              ;   in Loop: Header=BB210_13 Depth=1
	v_mov_b32_e32 v87, 0x7f800001
	v_and_b32_e32 v3, 0x7f, v1
	v_mov_b32_e32 v88, 0
	s_mov_b32 s51, exec_lo
	v_cmpx_ne_u32_e32 0x7f, v3
	s_cbranch_execz .LBB210_120
; %bb.117:                              ;   in Loop: Header=BB210_13 Depth=1
	v_and_b32_e32 v51, 7, v1
	v_lshrrev_b32_e32 v2, 3, v3
	s_mov_b32 s52, exec_lo
	v_cmpx_gt_u32_e32 8, v3
; %bb.118:                              ;   in Loop: Header=BB210_13 Depth=1
	v_ffbh_u32_e32 v2, v51
	v_min_u32_e32 v2, 32, v2
	v_subrev_nc_u32_e32 v3, 28, v2
	v_sub_nc_u32_e32 v2, 29, v2
	v_lshlrev_b64 v[3:4], v3, v[51:52]
	v_and_b32_e32 v51, 7, v3
; %bb.119:                              ;   in Loop: Header=BB210_13 Depth=1
	s_or_b32 exec_lo, exec_lo, s52
	v_lshlrev_b32_e32 v3, 24, v1
	v_lshlrev_b32_e32 v4, 20, v51
	v_lshl_add_u32 v2, v2, 23, 0x3c000000
	v_and_b32_e32 v3, 0x80000000, v3
	v_or3_b32 v51, v4, v3, v2
	v_mov_b32_e32 v88, v52
	v_mov_b32_e32 v87, v51
.LBB210_120:                            ;   in Loop: Header=BB210_13 Depth=1
	s_or_b32 exec_lo, exec_lo, s51
.LBB210_121:                            ;   in Loop: Header=BB210_13 Depth=1
	s_or_b32 exec_lo, exec_lo, s50
.LBB210_122:                            ;   in Loop: Header=BB210_13 Depth=1
	s_or_b32 exec_lo, exec_lo, s49
	v_cmp_ne_u16_sdwa s2, v1, v52 src0_sel:BYTE_1 src1_sel:DWORD
	s_and_saveexec_b32 s49, s2
	s_cbranch_execz .LBB210_130
; %bb.123:                              ;   in Loop: Header=BB210_13 Depth=1
	v_mov_b32_e32 v53, v52
	v_mov_b32_e32 v90, v54
	v_cmp_ne_u16_sdwa s2, v1, v72 src0_sel:BYTE_1 src1_sel:DWORD
	v_mov_b32_e32 v89, v53
	s_and_saveexec_b32 s50, s2
	s_cbranch_execz .LBB210_129
; %bb.124:                              ;   in Loop: Header=BB210_13 Depth=1
	v_mov_b32_e32 v2, 0xffff
	v_mov_b32_e32 v5, v52
	;; [unrolled: 1-line block ×3, first 2 shown]
	s_mov_b32 s51, exec_lo
	v_and_b32_sdwa v2, v2, v1 dst_sel:DWORD dst_unused:UNUSED_PAD src0_sel:DWORD src1_sel:BYTE_1
	v_mov_b32_e32 v89, v5
	v_and_b32_e32 v3, 0x7f, v2
	v_cmpx_ne_u32_e32 0x7f, v3
	s_cbranch_execz .LBB210_128
; %bb.125:                              ;   in Loop: Header=BB210_13 Depth=1
	v_and_b32_e32 v51, 7, v2
	v_lshrrev_b32_e32 v2, 3, v3
	s_mov_b32 s52, exec_lo
	v_cmpx_gt_u32_e32 8, v3
; %bb.126:                              ;   in Loop: Header=BB210_13 Depth=1
	v_ffbh_u32_e32 v2, v51
	v_min_u32_e32 v2, 32, v2
	v_subrev_nc_u32_e32 v3, 28, v2
	v_sub_nc_u32_e32 v2, 29, v2
	v_lshlrev_b64 v[3:4], v3, v[51:52]
	v_and_b32_e32 v51, 7, v3
; %bb.127:                              ;   in Loop: Header=BB210_13 Depth=1
	s_or_b32 exec_lo, exec_lo, s52
	v_lshlrev_b32_e32 v1, 16, v1
	v_lshlrev_b32_e32 v3, 20, v51
	v_lshl_add_u32 v2, v2, 23, 0x3c000000
	v_mov_b32_e32 v89, v52
	v_and_b32_e32 v1, 0x80000000, v1
	v_or3_b32 v90, v3, v1, v2
.LBB210_128:                            ;   in Loop: Header=BB210_13 Depth=1
	s_or_b32 exec_lo, exec_lo, s51
.LBB210_129:                            ;   in Loop: Header=BB210_13 Depth=1
	s_or_b32 exec_lo, exec_lo, s50
.LBB210_130:                            ;   in Loop: Header=BB210_13 Depth=1
	s_or_b32 exec_lo, exec_lo, s49
	global_load_ushort v2, v[69:70], off offset:268
	v_mov_b32_e32 v93, 0
	v_mov_b32_e32 v91, 0
	;; [unrolled: 1-line block ×4, first 2 shown]
	s_waitcnt vmcnt(0)
	v_and_b32_e32 v1, 0xffff, v2
	v_cmp_ne_u16_sdwa s2, v2, v52 src0_sel:BYTE_0 src1_sel:DWORD
	s_and_saveexec_b32 s49, s2
	s_cbranch_execz .LBB210_138
; %bb.131:                              ;   in Loop: Header=BB210_13 Depth=1
	v_bfrev_b32_e32 v91, 1
	v_mov_b32_e32 v92, 0
	v_cmp_ne_u16_sdwa s2, v1, v72 src0_sel:BYTE_0 src1_sel:DWORD
	s_and_saveexec_b32 s50, s2
	s_cbranch_execz .LBB210_137
; %bb.132:                              ;   in Loop: Header=BB210_13 Depth=1
	v_mov_b32_e32 v91, 0x7f800001
	v_and_b32_e32 v3, 0x7f, v1
	v_mov_b32_e32 v92, 0
	s_mov_b32 s51, exec_lo
	v_cmpx_ne_u32_e32 0x7f, v3
	s_cbranch_execz .LBB210_136
; %bb.133:                              ;   in Loop: Header=BB210_13 Depth=1
	v_and_b32_e32 v51, 7, v1
	v_lshrrev_b32_e32 v2, 3, v3
	s_mov_b32 s52, exec_lo
	v_cmpx_gt_u32_e32 8, v3
; %bb.134:                              ;   in Loop: Header=BB210_13 Depth=1
	v_ffbh_u32_e32 v2, v51
	v_min_u32_e32 v2, 32, v2
	v_subrev_nc_u32_e32 v3, 28, v2
	v_sub_nc_u32_e32 v2, 29, v2
	v_lshlrev_b64 v[3:4], v3, v[51:52]
	v_and_b32_e32 v51, 7, v3
; %bb.135:                              ;   in Loop: Header=BB210_13 Depth=1
	s_or_b32 exec_lo, exec_lo, s52
	v_lshlrev_b32_e32 v3, 24, v1
	v_lshlrev_b32_e32 v4, 20, v51
	v_lshl_add_u32 v2, v2, 23, 0x3c000000
	v_and_b32_e32 v3, 0x80000000, v3
	v_or3_b32 v51, v4, v3, v2
	v_mov_b32_e32 v92, v52
	v_mov_b32_e32 v91, v51
.LBB210_136:                            ;   in Loop: Header=BB210_13 Depth=1
	s_or_b32 exec_lo, exec_lo, s51
.LBB210_137:                            ;   in Loop: Header=BB210_13 Depth=1
	s_or_b32 exec_lo, exec_lo, s50
.LBB210_138:                            ;   in Loop: Header=BB210_13 Depth=1
	s_or_b32 exec_lo, exec_lo, s49
	v_cmp_ne_u16_sdwa s2, v1, v52 src0_sel:BYTE_1 src1_sel:DWORD
	s_and_saveexec_b32 s49, s2
	s_cbranch_execz .LBB210_146
; %bb.139:                              ;   in Loop: Header=BB210_13 Depth=1
	v_mov_b32_e32 v53, v52
	v_mov_b32_e32 v94, v54
	v_cmp_ne_u16_sdwa s2, v1, v72 src0_sel:BYTE_1 src1_sel:DWORD
	v_mov_b32_e32 v93, v53
	s_and_saveexec_b32 s50, s2
	s_cbranch_execz .LBB210_145
; %bb.140:                              ;   in Loop: Header=BB210_13 Depth=1
	v_mov_b32_e32 v2, 0xffff
	v_mov_b32_e32 v5, v52
	;; [unrolled: 1-line block ×3, first 2 shown]
	s_mov_b32 s51, exec_lo
	v_and_b32_sdwa v2, v2, v1 dst_sel:DWORD dst_unused:UNUSED_PAD src0_sel:DWORD src1_sel:BYTE_1
	v_mov_b32_e32 v93, v5
	v_and_b32_e32 v3, 0x7f, v2
	v_cmpx_ne_u32_e32 0x7f, v3
	s_cbranch_execz .LBB210_144
; %bb.141:                              ;   in Loop: Header=BB210_13 Depth=1
	v_and_b32_e32 v51, 7, v2
	v_lshrrev_b32_e32 v2, 3, v3
	s_mov_b32 s52, exec_lo
	v_cmpx_gt_u32_e32 8, v3
; %bb.142:                              ;   in Loop: Header=BB210_13 Depth=1
	v_ffbh_u32_e32 v2, v51
	v_min_u32_e32 v2, 32, v2
	v_subrev_nc_u32_e32 v3, 28, v2
	v_sub_nc_u32_e32 v2, 29, v2
	v_lshlrev_b64 v[3:4], v3, v[51:52]
	v_and_b32_e32 v51, 7, v3
; %bb.143:                              ;   in Loop: Header=BB210_13 Depth=1
	s_or_b32 exec_lo, exec_lo, s52
	v_lshlrev_b32_e32 v1, 16, v1
	v_lshlrev_b32_e32 v3, 20, v51
	v_lshl_add_u32 v2, v2, 23, 0x3c000000
	v_mov_b32_e32 v93, v52
	v_and_b32_e32 v1, 0x80000000, v1
	v_or3_b32 v94, v3, v1, v2
.LBB210_144:                            ;   in Loop: Header=BB210_13 Depth=1
	s_or_b32 exec_lo, exec_lo, s51
.LBB210_145:                            ;   in Loop: Header=BB210_13 Depth=1
	s_or_b32 exec_lo, exec_lo, s50
.LBB210_146:                            ;   in Loop: Header=BB210_13 Depth=1
	s_or_b32 exec_lo, exec_lo, s49
	global_load_ushort v2, v[69:70], off offset:512
	v_mov_b32_e32 v97, 0
	v_mov_b32_e32 v95, 0
	;; [unrolled: 1-line block ×4, first 2 shown]
	s_waitcnt vmcnt(0)
	v_and_b32_e32 v1, 0xffff, v2
	v_cmp_ne_u16_sdwa s2, v2, v52 src0_sel:BYTE_0 src1_sel:DWORD
	s_and_saveexec_b32 s49, s2
	s_cbranch_execz .LBB210_154
; %bb.147:                              ;   in Loop: Header=BB210_13 Depth=1
	v_bfrev_b32_e32 v95, 1
	v_mov_b32_e32 v96, 0
	v_cmp_ne_u16_sdwa s2, v1, v72 src0_sel:BYTE_0 src1_sel:DWORD
	s_and_saveexec_b32 s50, s2
	s_cbranch_execz .LBB210_153
; %bb.148:                              ;   in Loop: Header=BB210_13 Depth=1
	v_mov_b32_e32 v95, 0x7f800001
	v_and_b32_e32 v3, 0x7f, v1
	v_mov_b32_e32 v96, 0
	s_mov_b32 s51, exec_lo
	v_cmpx_ne_u32_e32 0x7f, v3
	s_cbranch_execz .LBB210_152
; %bb.149:                              ;   in Loop: Header=BB210_13 Depth=1
	v_and_b32_e32 v51, 7, v1
	v_lshrrev_b32_e32 v2, 3, v3
	s_mov_b32 s52, exec_lo
	v_cmpx_gt_u32_e32 8, v3
; %bb.150:                              ;   in Loop: Header=BB210_13 Depth=1
	v_ffbh_u32_e32 v2, v51
	v_min_u32_e32 v2, 32, v2
	v_subrev_nc_u32_e32 v3, 28, v2
	v_sub_nc_u32_e32 v2, 29, v2
	v_lshlrev_b64 v[3:4], v3, v[51:52]
	v_and_b32_e32 v51, 7, v3
; %bb.151:                              ;   in Loop: Header=BB210_13 Depth=1
	s_or_b32 exec_lo, exec_lo, s52
	v_lshlrev_b32_e32 v3, 24, v1
	v_lshlrev_b32_e32 v4, 20, v51
	v_lshl_add_u32 v2, v2, 23, 0x3c000000
	v_and_b32_e32 v3, 0x80000000, v3
	v_or3_b32 v51, v4, v3, v2
	v_mov_b32_e32 v96, v52
	v_mov_b32_e32 v95, v51
.LBB210_152:                            ;   in Loop: Header=BB210_13 Depth=1
	s_or_b32 exec_lo, exec_lo, s51
.LBB210_153:                            ;   in Loop: Header=BB210_13 Depth=1
	s_or_b32 exec_lo, exec_lo, s50
.LBB210_154:                            ;   in Loop: Header=BB210_13 Depth=1
	s_or_b32 exec_lo, exec_lo, s49
	v_cmp_ne_u16_sdwa s2, v1, v52 src0_sel:BYTE_1 src1_sel:DWORD
	s_and_saveexec_b32 s49, s2
	s_cbranch_execz .LBB210_162
; %bb.155:                              ;   in Loop: Header=BB210_13 Depth=1
	v_mov_b32_e32 v53, v52
	v_mov_b32_e32 v98, v54
	v_cmp_ne_u16_sdwa s2, v1, v72 src0_sel:BYTE_1 src1_sel:DWORD
	v_mov_b32_e32 v97, v53
	s_and_saveexec_b32 s50, s2
	s_cbranch_execz .LBB210_161
; %bb.156:                              ;   in Loop: Header=BB210_13 Depth=1
	v_mov_b32_e32 v2, 0xffff
	v_mov_b32_e32 v5, v52
	;; [unrolled: 1-line block ×3, first 2 shown]
	s_mov_b32 s51, exec_lo
	v_and_b32_sdwa v2, v2, v1 dst_sel:DWORD dst_unused:UNUSED_PAD src0_sel:DWORD src1_sel:BYTE_1
	v_mov_b32_e32 v97, v5
	v_and_b32_e32 v3, 0x7f, v2
	v_cmpx_ne_u32_e32 0x7f, v3
	s_cbranch_execz .LBB210_160
; %bb.157:                              ;   in Loop: Header=BB210_13 Depth=1
	v_and_b32_e32 v51, 7, v2
	v_lshrrev_b32_e32 v2, 3, v3
	s_mov_b32 s52, exec_lo
	v_cmpx_gt_u32_e32 8, v3
; %bb.158:                              ;   in Loop: Header=BB210_13 Depth=1
	v_ffbh_u32_e32 v2, v51
	v_min_u32_e32 v2, 32, v2
	v_subrev_nc_u32_e32 v3, 28, v2
	v_sub_nc_u32_e32 v2, 29, v2
	v_lshlrev_b64 v[3:4], v3, v[51:52]
	v_and_b32_e32 v51, 7, v3
; %bb.159:                              ;   in Loop: Header=BB210_13 Depth=1
	s_or_b32 exec_lo, exec_lo, s52
	v_lshlrev_b32_e32 v1, 16, v1
	v_lshlrev_b32_e32 v3, 20, v51
	v_lshl_add_u32 v2, v2, 23, 0x3c000000
	v_mov_b32_e32 v97, v52
	v_and_b32_e32 v1, 0x80000000, v1
	v_or3_b32 v98, v3, v1, v2
.LBB210_160:                            ;   in Loop: Header=BB210_13 Depth=1
	s_or_b32 exec_lo, exec_lo, s51
.LBB210_161:                            ;   in Loop: Header=BB210_13 Depth=1
	s_or_b32 exec_lo, exec_lo, s50
.LBB210_162:                            ;   in Loop: Header=BB210_13 Depth=1
	s_or_b32 exec_lo, exec_lo, s49
	global_load_ushort v2, v[69:70], off offset:516
	v_mov_b32_e32 v101, 0
	v_mov_b32_e32 v99, 0
	;; [unrolled: 1-line block ×4, first 2 shown]
	s_waitcnt vmcnt(0)
	v_and_b32_e32 v1, 0xffff, v2
	v_cmp_ne_u16_sdwa s2, v2, v52 src0_sel:BYTE_0 src1_sel:DWORD
	s_and_saveexec_b32 s49, s2
	s_cbranch_execz .LBB210_170
; %bb.163:                              ;   in Loop: Header=BB210_13 Depth=1
	v_bfrev_b32_e32 v99, 1
	v_mov_b32_e32 v100, 0
	v_cmp_ne_u16_sdwa s2, v1, v72 src0_sel:BYTE_0 src1_sel:DWORD
	s_and_saveexec_b32 s50, s2
	s_cbranch_execz .LBB210_169
; %bb.164:                              ;   in Loop: Header=BB210_13 Depth=1
	v_mov_b32_e32 v99, 0x7f800001
	v_and_b32_e32 v3, 0x7f, v1
	v_mov_b32_e32 v100, 0
	s_mov_b32 s51, exec_lo
	v_cmpx_ne_u32_e32 0x7f, v3
	s_cbranch_execz .LBB210_168
; %bb.165:                              ;   in Loop: Header=BB210_13 Depth=1
	v_and_b32_e32 v51, 7, v1
	v_lshrrev_b32_e32 v2, 3, v3
	s_mov_b32 s52, exec_lo
	v_cmpx_gt_u32_e32 8, v3
; %bb.166:                              ;   in Loop: Header=BB210_13 Depth=1
	v_ffbh_u32_e32 v2, v51
	v_min_u32_e32 v2, 32, v2
	v_subrev_nc_u32_e32 v3, 28, v2
	v_sub_nc_u32_e32 v2, 29, v2
	v_lshlrev_b64 v[3:4], v3, v[51:52]
	v_and_b32_e32 v51, 7, v3
; %bb.167:                              ;   in Loop: Header=BB210_13 Depth=1
	s_or_b32 exec_lo, exec_lo, s52
	v_lshlrev_b32_e32 v3, 24, v1
	v_lshlrev_b32_e32 v4, 20, v51
	v_lshl_add_u32 v2, v2, 23, 0x3c000000
	v_and_b32_e32 v3, 0x80000000, v3
	v_or3_b32 v51, v4, v3, v2
	v_mov_b32_e32 v100, v52
	v_mov_b32_e32 v99, v51
.LBB210_168:                            ;   in Loop: Header=BB210_13 Depth=1
	s_or_b32 exec_lo, exec_lo, s51
.LBB210_169:                            ;   in Loop: Header=BB210_13 Depth=1
	s_or_b32 exec_lo, exec_lo, s50
.LBB210_170:                            ;   in Loop: Header=BB210_13 Depth=1
	s_or_b32 exec_lo, exec_lo, s49
	v_cmp_ne_u16_sdwa s2, v1, v52 src0_sel:BYTE_1 src1_sel:DWORD
	s_and_saveexec_b32 s49, s2
	s_cbranch_execz .LBB210_178
; %bb.171:                              ;   in Loop: Header=BB210_13 Depth=1
	v_mov_b32_e32 v53, v52
	v_mov_b32_e32 v102, v54
	v_cmp_ne_u16_sdwa s2, v1, v72 src0_sel:BYTE_1 src1_sel:DWORD
	v_mov_b32_e32 v101, v53
	s_and_saveexec_b32 s50, s2
	s_cbranch_execz .LBB210_177
; %bb.172:                              ;   in Loop: Header=BB210_13 Depth=1
	v_mov_b32_e32 v2, 0xffff
	v_mov_b32_e32 v5, v52
	;; [unrolled: 1-line block ×3, first 2 shown]
	s_mov_b32 s51, exec_lo
	v_and_b32_sdwa v2, v2, v1 dst_sel:DWORD dst_unused:UNUSED_PAD src0_sel:DWORD src1_sel:BYTE_1
	v_mov_b32_e32 v101, v5
	v_and_b32_e32 v3, 0x7f, v2
	v_cmpx_ne_u32_e32 0x7f, v3
	s_cbranch_execz .LBB210_176
; %bb.173:                              ;   in Loop: Header=BB210_13 Depth=1
	v_and_b32_e32 v51, 7, v2
	v_lshrrev_b32_e32 v2, 3, v3
	s_mov_b32 s52, exec_lo
	v_cmpx_gt_u32_e32 8, v3
; %bb.174:                              ;   in Loop: Header=BB210_13 Depth=1
	v_ffbh_u32_e32 v2, v51
	v_min_u32_e32 v2, 32, v2
	v_subrev_nc_u32_e32 v3, 28, v2
	v_sub_nc_u32_e32 v2, 29, v2
	v_lshlrev_b64 v[3:4], v3, v[51:52]
	v_and_b32_e32 v51, 7, v3
; %bb.175:                              ;   in Loop: Header=BB210_13 Depth=1
	s_or_b32 exec_lo, exec_lo, s52
	v_lshlrev_b32_e32 v1, 16, v1
	v_lshlrev_b32_e32 v3, 20, v51
	v_lshl_add_u32 v2, v2, 23, 0x3c000000
	v_mov_b32_e32 v101, v52
	v_and_b32_e32 v1, 0x80000000, v1
	v_or3_b32 v102, v3, v1, v2
.LBB210_176:                            ;   in Loop: Header=BB210_13 Depth=1
	s_or_b32 exec_lo, exec_lo, s51
.LBB210_177:                            ;   in Loop: Header=BB210_13 Depth=1
	s_or_b32 exec_lo, exec_lo, s50
.LBB210_178:                            ;   in Loop: Header=BB210_13 Depth=1
	s_or_b32 exec_lo, exec_lo, s49
	global_load_ushort v2, v[69:70], off offset:520
	v_mov_b32_e32 v105, 0
	v_mov_b32_e32 v103, 0
	;; [unrolled: 1-line block ×4, first 2 shown]
	s_waitcnt vmcnt(0)
	v_and_b32_e32 v1, 0xffff, v2
	v_cmp_ne_u16_sdwa s2, v2, v52 src0_sel:BYTE_0 src1_sel:DWORD
	s_and_saveexec_b32 s49, s2
	s_cbranch_execz .LBB210_186
; %bb.179:                              ;   in Loop: Header=BB210_13 Depth=1
	v_bfrev_b32_e32 v103, 1
	v_mov_b32_e32 v104, 0
	v_cmp_ne_u16_sdwa s2, v1, v72 src0_sel:BYTE_0 src1_sel:DWORD
	s_and_saveexec_b32 s50, s2
	s_cbranch_execz .LBB210_185
; %bb.180:                              ;   in Loop: Header=BB210_13 Depth=1
	v_mov_b32_e32 v103, 0x7f800001
	v_and_b32_e32 v3, 0x7f, v1
	v_mov_b32_e32 v104, 0
	s_mov_b32 s51, exec_lo
	v_cmpx_ne_u32_e32 0x7f, v3
	s_cbranch_execz .LBB210_184
; %bb.181:                              ;   in Loop: Header=BB210_13 Depth=1
	v_and_b32_e32 v51, 7, v1
	v_lshrrev_b32_e32 v2, 3, v3
	s_mov_b32 s52, exec_lo
	v_cmpx_gt_u32_e32 8, v3
; %bb.182:                              ;   in Loop: Header=BB210_13 Depth=1
	v_ffbh_u32_e32 v2, v51
	v_min_u32_e32 v2, 32, v2
	v_subrev_nc_u32_e32 v3, 28, v2
	v_sub_nc_u32_e32 v2, 29, v2
	v_lshlrev_b64 v[3:4], v3, v[51:52]
	v_and_b32_e32 v51, 7, v3
; %bb.183:                              ;   in Loop: Header=BB210_13 Depth=1
	s_or_b32 exec_lo, exec_lo, s52
	v_lshlrev_b32_e32 v3, 24, v1
	v_lshlrev_b32_e32 v4, 20, v51
	v_lshl_add_u32 v2, v2, 23, 0x3c000000
	v_and_b32_e32 v3, 0x80000000, v3
	v_or3_b32 v51, v4, v3, v2
	v_mov_b32_e32 v104, v52
	v_mov_b32_e32 v103, v51
.LBB210_184:                            ;   in Loop: Header=BB210_13 Depth=1
	s_or_b32 exec_lo, exec_lo, s51
.LBB210_185:                            ;   in Loop: Header=BB210_13 Depth=1
	s_or_b32 exec_lo, exec_lo, s50
.LBB210_186:                            ;   in Loop: Header=BB210_13 Depth=1
	s_or_b32 exec_lo, exec_lo, s49
	v_cmp_ne_u16_sdwa s2, v1, v52 src0_sel:BYTE_1 src1_sel:DWORD
	s_and_saveexec_b32 s49, s2
	s_cbranch_execz .LBB210_194
; %bb.187:                              ;   in Loop: Header=BB210_13 Depth=1
	v_mov_b32_e32 v53, v52
	v_mov_b32_e32 v106, v54
	v_cmp_ne_u16_sdwa s2, v1, v72 src0_sel:BYTE_1 src1_sel:DWORD
	v_mov_b32_e32 v105, v53
	s_and_saveexec_b32 s50, s2
	s_cbranch_execz .LBB210_193
; %bb.188:                              ;   in Loop: Header=BB210_13 Depth=1
	v_mov_b32_e32 v2, 0xffff
	v_mov_b32_e32 v5, v52
	;; [unrolled: 1-line block ×3, first 2 shown]
	s_mov_b32 s51, exec_lo
	v_and_b32_sdwa v2, v2, v1 dst_sel:DWORD dst_unused:UNUSED_PAD src0_sel:DWORD src1_sel:BYTE_1
	v_mov_b32_e32 v105, v5
	v_and_b32_e32 v3, 0x7f, v2
	v_cmpx_ne_u32_e32 0x7f, v3
	s_cbranch_execz .LBB210_192
; %bb.189:                              ;   in Loop: Header=BB210_13 Depth=1
	v_and_b32_e32 v51, 7, v2
	v_lshrrev_b32_e32 v2, 3, v3
	s_mov_b32 s52, exec_lo
	v_cmpx_gt_u32_e32 8, v3
; %bb.190:                              ;   in Loop: Header=BB210_13 Depth=1
	v_ffbh_u32_e32 v2, v51
	v_min_u32_e32 v2, 32, v2
	v_subrev_nc_u32_e32 v3, 28, v2
	v_sub_nc_u32_e32 v2, 29, v2
	v_lshlrev_b64 v[3:4], v3, v[51:52]
	v_and_b32_e32 v51, 7, v3
; %bb.191:                              ;   in Loop: Header=BB210_13 Depth=1
	s_or_b32 exec_lo, exec_lo, s52
	v_lshlrev_b32_e32 v1, 16, v1
	v_lshlrev_b32_e32 v3, 20, v51
	v_lshl_add_u32 v2, v2, 23, 0x3c000000
	v_mov_b32_e32 v105, v52
	v_and_b32_e32 v1, 0x80000000, v1
	v_or3_b32 v106, v3, v1, v2
.LBB210_192:                            ;   in Loop: Header=BB210_13 Depth=1
	s_or_b32 exec_lo, exec_lo, s51
.LBB210_193:                            ;   in Loop: Header=BB210_13 Depth=1
	s_or_b32 exec_lo, exec_lo, s50
.LBB210_194:                            ;   in Loop: Header=BB210_13 Depth=1
	s_or_b32 exec_lo, exec_lo, s49
	global_load_ushort v2, v[69:70], off offset:524
	v_mov_b32_e32 v109, 0
	v_mov_b32_e32 v107, 0
	;; [unrolled: 1-line block ×4, first 2 shown]
	s_waitcnt vmcnt(0)
	v_and_b32_e32 v1, 0xffff, v2
	v_cmp_ne_u16_sdwa s2, v2, v52 src0_sel:BYTE_0 src1_sel:DWORD
	s_and_saveexec_b32 s49, s2
	s_cbranch_execz .LBB210_202
; %bb.195:                              ;   in Loop: Header=BB210_13 Depth=1
	v_bfrev_b32_e32 v107, 1
	v_mov_b32_e32 v108, 0
	v_cmp_ne_u16_sdwa s2, v1, v72 src0_sel:BYTE_0 src1_sel:DWORD
	s_and_saveexec_b32 s50, s2
	s_cbranch_execz .LBB210_201
; %bb.196:                              ;   in Loop: Header=BB210_13 Depth=1
	v_mov_b32_e32 v107, 0x7f800001
	v_and_b32_e32 v3, 0x7f, v1
	v_mov_b32_e32 v108, 0
	s_mov_b32 s51, exec_lo
	v_cmpx_ne_u32_e32 0x7f, v3
	s_cbranch_execz .LBB210_200
; %bb.197:                              ;   in Loop: Header=BB210_13 Depth=1
	v_and_b32_e32 v51, 7, v1
	v_lshrrev_b32_e32 v2, 3, v3
	s_mov_b32 s52, exec_lo
	v_cmpx_gt_u32_e32 8, v3
; %bb.198:                              ;   in Loop: Header=BB210_13 Depth=1
	v_ffbh_u32_e32 v2, v51
	v_min_u32_e32 v2, 32, v2
	v_subrev_nc_u32_e32 v3, 28, v2
	v_sub_nc_u32_e32 v2, 29, v2
	v_lshlrev_b64 v[3:4], v3, v[51:52]
	v_and_b32_e32 v51, 7, v3
; %bb.199:                              ;   in Loop: Header=BB210_13 Depth=1
	s_or_b32 exec_lo, exec_lo, s52
	v_lshlrev_b32_e32 v3, 24, v1
	v_lshlrev_b32_e32 v4, 20, v51
	v_lshl_add_u32 v2, v2, 23, 0x3c000000
	v_and_b32_e32 v3, 0x80000000, v3
	v_or3_b32 v51, v4, v3, v2
	v_mov_b32_e32 v108, v52
	v_mov_b32_e32 v107, v51
.LBB210_200:                            ;   in Loop: Header=BB210_13 Depth=1
	s_or_b32 exec_lo, exec_lo, s51
.LBB210_201:                            ;   in Loop: Header=BB210_13 Depth=1
	s_or_b32 exec_lo, exec_lo, s50
.LBB210_202:                            ;   in Loop: Header=BB210_13 Depth=1
	s_or_b32 exec_lo, exec_lo, s49
	v_cmp_ne_u16_sdwa s2, v1, v52 src0_sel:BYTE_1 src1_sel:DWORD
	s_and_saveexec_b32 s49, s2
	s_cbranch_execz .LBB210_210
; %bb.203:                              ;   in Loop: Header=BB210_13 Depth=1
	v_mov_b32_e32 v53, v52
	v_mov_b32_e32 v110, v54
	v_cmp_ne_u16_sdwa s2, v1, v72 src0_sel:BYTE_1 src1_sel:DWORD
	v_mov_b32_e32 v109, v53
	s_and_saveexec_b32 s50, s2
	s_cbranch_execz .LBB210_209
; %bb.204:                              ;   in Loop: Header=BB210_13 Depth=1
	v_mov_b32_e32 v2, 0xffff
	v_mov_b32_e32 v5, v52
	;; [unrolled: 1-line block ×3, first 2 shown]
	s_mov_b32 s51, exec_lo
	v_and_b32_sdwa v2, v2, v1 dst_sel:DWORD dst_unused:UNUSED_PAD src0_sel:DWORD src1_sel:BYTE_1
	v_mov_b32_e32 v109, v5
	v_and_b32_e32 v3, 0x7f, v2
	v_cmpx_ne_u32_e32 0x7f, v3
	s_cbranch_execz .LBB210_208
; %bb.205:                              ;   in Loop: Header=BB210_13 Depth=1
	v_and_b32_e32 v51, 7, v2
	v_lshrrev_b32_e32 v2, 3, v3
	s_mov_b32 s52, exec_lo
	v_cmpx_gt_u32_e32 8, v3
; %bb.206:                              ;   in Loop: Header=BB210_13 Depth=1
	v_ffbh_u32_e32 v2, v51
	v_min_u32_e32 v2, 32, v2
	v_subrev_nc_u32_e32 v3, 28, v2
	v_sub_nc_u32_e32 v2, 29, v2
	v_lshlrev_b64 v[3:4], v3, v[51:52]
	v_and_b32_e32 v51, 7, v3
; %bb.207:                              ;   in Loop: Header=BB210_13 Depth=1
	s_or_b32 exec_lo, exec_lo, s52
	v_lshlrev_b32_e32 v1, 16, v1
	v_lshlrev_b32_e32 v3, 20, v51
	v_lshl_add_u32 v2, v2, 23, 0x3c000000
	v_mov_b32_e32 v109, v52
	v_and_b32_e32 v1, 0x80000000, v1
	v_or3_b32 v110, v3, v1, v2
.LBB210_208:                            ;   in Loop: Header=BB210_13 Depth=1
	s_or_b32 exec_lo, exec_lo, s51
.LBB210_209:                            ;   in Loop: Header=BB210_13 Depth=1
	s_or_b32 exec_lo, exec_lo, s50
.LBB210_210:                            ;   in Loop: Header=BB210_13 Depth=1
	s_or_b32 exec_lo, exec_lo, s49
	global_load_ushort v2, v[69:70], off offset:768
	v_mov_b32_e32 v113, 0
	v_mov_b32_e32 v111, 0
	;; [unrolled: 1-line block ×4, first 2 shown]
	s_waitcnt vmcnt(0)
	v_and_b32_e32 v1, 0xffff, v2
	v_cmp_ne_u16_sdwa s2, v2, v52 src0_sel:BYTE_0 src1_sel:DWORD
	s_and_saveexec_b32 s49, s2
	s_cbranch_execz .LBB210_218
; %bb.211:                              ;   in Loop: Header=BB210_13 Depth=1
	v_bfrev_b32_e32 v111, 1
	v_mov_b32_e32 v112, 0
	v_cmp_ne_u16_sdwa s2, v1, v72 src0_sel:BYTE_0 src1_sel:DWORD
	s_and_saveexec_b32 s50, s2
	s_cbranch_execz .LBB210_217
; %bb.212:                              ;   in Loop: Header=BB210_13 Depth=1
	v_mov_b32_e32 v111, 0x7f800001
	v_and_b32_e32 v3, 0x7f, v1
	v_mov_b32_e32 v112, 0
	s_mov_b32 s51, exec_lo
	v_cmpx_ne_u32_e32 0x7f, v3
	s_cbranch_execz .LBB210_216
; %bb.213:                              ;   in Loop: Header=BB210_13 Depth=1
	v_and_b32_e32 v51, 7, v1
	v_lshrrev_b32_e32 v2, 3, v3
	s_mov_b32 s52, exec_lo
	v_cmpx_gt_u32_e32 8, v3
; %bb.214:                              ;   in Loop: Header=BB210_13 Depth=1
	v_ffbh_u32_e32 v2, v51
	v_min_u32_e32 v2, 32, v2
	v_subrev_nc_u32_e32 v3, 28, v2
	v_sub_nc_u32_e32 v2, 29, v2
	v_lshlrev_b64 v[3:4], v3, v[51:52]
	v_and_b32_e32 v51, 7, v3
; %bb.215:                              ;   in Loop: Header=BB210_13 Depth=1
	s_or_b32 exec_lo, exec_lo, s52
	v_lshlrev_b32_e32 v3, 24, v1
	v_lshlrev_b32_e32 v4, 20, v51
	v_lshl_add_u32 v2, v2, 23, 0x3c000000
	v_and_b32_e32 v3, 0x80000000, v3
	v_or3_b32 v51, v4, v3, v2
	v_mov_b32_e32 v112, v52
	v_mov_b32_e32 v111, v51
.LBB210_216:                            ;   in Loop: Header=BB210_13 Depth=1
	s_or_b32 exec_lo, exec_lo, s51
.LBB210_217:                            ;   in Loop: Header=BB210_13 Depth=1
	s_or_b32 exec_lo, exec_lo, s50
.LBB210_218:                            ;   in Loop: Header=BB210_13 Depth=1
	s_or_b32 exec_lo, exec_lo, s49
	v_cmp_ne_u16_sdwa s2, v1, v52 src0_sel:BYTE_1 src1_sel:DWORD
	s_and_saveexec_b32 s49, s2
	s_cbranch_execz .LBB210_226
; %bb.219:                              ;   in Loop: Header=BB210_13 Depth=1
	v_mov_b32_e32 v53, v52
	v_mov_b32_e32 v114, v54
	v_cmp_ne_u16_sdwa s2, v1, v72 src0_sel:BYTE_1 src1_sel:DWORD
	v_mov_b32_e32 v113, v53
	s_and_saveexec_b32 s50, s2
	s_cbranch_execz .LBB210_225
; %bb.220:                              ;   in Loop: Header=BB210_13 Depth=1
	v_mov_b32_e32 v2, 0xffff
	v_mov_b32_e32 v5, v52
	;; [unrolled: 1-line block ×3, first 2 shown]
	s_mov_b32 s51, exec_lo
	v_and_b32_sdwa v2, v2, v1 dst_sel:DWORD dst_unused:UNUSED_PAD src0_sel:DWORD src1_sel:BYTE_1
	v_mov_b32_e32 v113, v5
	v_and_b32_e32 v3, 0x7f, v2
	v_cmpx_ne_u32_e32 0x7f, v3
	s_cbranch_execz .LBB210_224
; %bb.221:                              ;   in Loop: Header=BB210_13 Depth=1
	v_and_b32_e32 v51, 7, v2
	v_lshrrev_b32_e32 v2, 3, v3
	s_mov_b32 s52, exec_lo
	v_cmpx_gt_u32_e32 8, v3
; %bb.222:                              ;   in Loop: Header=BB210_13 Depth=1
	v_ffbh_u32_e32 v2, v51
	v_min_u32_e32 v2, 32, v2
	v_subrev_nc_u32_e32 v3, 28, v2
	v_sub_nc_u32_e32 v2, 29, v2
	v_lshlrev_b64 v[3:4], v3, v[51:52]
	v_and_b32_e32 v51, 7, v3
; %bb.223:                              ;   in Loop: Header=BB210_13 Depth=1
	s_or_b32 exec_lo, exec_lo, s52
	v_lshlrev_b32_e32 v1, 16, v1
	v_lshlrev_b32_e32 v3, 20, v51
	v_lshl_add_u32 v2, v2, 23, 0x3c000000
	v_mov_b32_e32 v113, v52
	v_and_b32_e32 v1, 0x80000000, v1
	v_or3_b32 v114, v3, v1, v2
.LBB210_224:                            ;   in Loop: Header=BB210_13 Depth=1
	s_or_b32 exec_lo, exec_lo, s51
.LBB210_225:                            ;   in Loop: Header=BB210_13 Depth=1
	s_or_b32 exec_lo, exec_lo, s50
.LBB210_226:                            ;   in Loop: Header=BB210_13 Depth=1
	s_or_b32 exec_lo, exec_lo, s49
	global_load_ushort v2, v[69:70], off offset:772
	v_mov_b32_e32 v117, 0
	v_mov_b32_e32 v115, 0
	v_mov_b32_e32 v118, 0
	v_mov_b32_e32 v116, 0
	s_waitcnt vmcnt(0)
	v_and_b32_e32 v1, 0xffff, v2
	v_cmp_ne_u16_sdwa s2, v2, v52 src0_sel:BYTE_0 src1_sel:DWORD
	s_and_saveexec_b32 s49, s2
	s_cbranch_execz .LBB210_234
; %bb.227:                              ;   in Loop: Header=BB210_13 Depth=1
	v_bfrev_b32_e32 v115, 1
	v_mov_b32_e32 v116, 0
	v_cmp_ne_u16_sdwa s2, v1, v72 src0_sel:BYTE_0 src1_sel:DWORD
	s_and_saveexec_b32 s50, s2
	s_cbranch_execz .LBB210_233
; %bb.228:                              ;   in Loop: Header=BB210_13 Depth=1
	v_mov_b32_e32 v115, 0x7f800001
	v_and_b32_e32 v3, 0x7f, v1
	v_mov_b32_e32 v116, 0
	s_mov_b32 s51, exec_lo
	v_cmpx_ne_u32_e32 0x7f, v3
	s_cbranch_execz .LBB210_232
; %bb.229:                              ;   in Loop: Header=BB210_13 Depth=1
	v_and_b32_e32 v51, 7, v1
	v_lshrrev_b32_e32 v2, 3, v3
	s_mov_b32 s52, exec_lo
	v_cmpx_gt_u32_e32 8, v3
; %bb.230:                              ;   in Loop: Header=BB210_13 Depth=1
	v_ffbh_u32_e32 v2, v51
	v_min_u32_e32 v2, 32, v2
	v_subrev_nc_u32_e32 v3, 28, v2
	v_sub_nc_u32_e32 v2, 29, v2
	v_lshlrev_b64 v[3:4], v3, v[51:52]
	v_and_b32_e32 v51, 7, v3
; %bb.231:                              ;   in Loop: Header=BB210_13 Depth=1
	s_or_b32 exec_lo, exec_lo, s52
	v_lshlrev_b32_e32 v3, 24, v1
	v_lshlrev_b32_e32 v4, 20, v51
	v_lshl_add_u32 v2, v2, 23, 0x3c000000
	v_and_b32_e32 v3, 0x80000000, v3
	v_or3_b32 v51, v4, v3, v2
	v_mov_b32_e32 v116, v52
	v_mov_b32_e32 v115, v51
.LBB210_232:                            ;   in Loop: Header=BB210_13 Depth=1
	s_or_b32 exec_lo, exec_lo, s51
.LBB210_233:                            ;   in Loop: Header=BB210_13 Depth=1
	s_or_b32 exec_lo, exec_lo, s50
.LBB210_234:                            ;   in Loop: Header=BB210_13 Depth=1
	s_or_b32 exec_lo, exec_lo, s49
	v_cmp_ne_u16_sdwa s2, v1, v52 src0_sel:BYTE_1 src1_sel:DWORD
	s_and_saveexec_b32 s49, s2
	s_cbranch_execz .LBB210_242
; %bb.235:                              ;   in Loop: Header=BB210_13 Depth=1
	v_mov_b32_e32 v53, v52
	v_mov_b32_e32 v118, v54
	v_cmp_ne_u16_sdwa s2, v1, v72 src0_sel:BYTE_1 src1_sel:DWORD
	v_mov_b32_e32 v117, v53
	s_and_saveexec_b32 s50, s2
	s_cbranch_execz .LBB210_241
; %bb.236:                              ;   in Loop: Header=BB210_13 Depth=1
	v_mov_b32_e32 v2, 0xffff
	v_mov_b32_e32 v5, v52
	;; [unrolled: 1-line block ×3, first 2 shown]
	s_mov_b32 s51, exec_lo
	v_and_b32_sdwa v2, v2, v1 dst_sel:DWORD dst_unused:UNUSED_PAD src0_sel:DWORD src1_sel:BYTE_1
	v_mov_b32_e32 v117, v5
	v_and_b32_e32 v3, 0x7f, v2
	v_cmpx_ne_u32_e32 0x7f, v3
	s_cbranch_execz .LBB210_240
; %bb.237:                              ;   in Loop: Header=BB210_13 Depth=1
	v_and_b32_e32 v51, 7, v2
	v_lshrrev_b32_e32 v2, 3, v3
	s_mov_b32 s52, exec_lo
	v_cmpx_gt_u32_e32 8, v3
; %bb.238:                              ;   in Loop: Header=BB210_13 Depth=1
	v_ffbh_u32_e32 v2, v51
	v_min_u32_e32 v2, 32, v2
	v_subrev_nc_u32_e32 v3, 28, v2
	v_sub_nc_u32_e32 v2, 29, v2
	v_lshlrev_b64 v[3:4], v3, v[51:52]
	v_and_b32_e32 v51, 7, v3
; %bb.239:                              ;   in Loop: Header=BB210_13 Depth=1
	s_or_b32 exec_lo, exec_lo, s52
	v_lshlrev_b32_e32 v1, 16, v1
	v_lshlrev_b32_e32 v3, 20, v51
	v_lshl_add_u32 v2, v2, 23, 0x3c000000
	v_mov_b32_e32 v117, v52
	v_and_b32_e32 v1, 0x80000000, v1
	v_or3_b32 v118, v3, v1, v2
.LBB210_240:                            ;   in Loop: Header=BB210_13 Depth=1
	s_or_b32 exec_lo, exec_lo, s51
.LBB210_241:                            ;   in Loop: Header=BB210_13 Depth=1
	s_or_b32 exec_lo, exec_lo, s50
.LBB210_242:                            ;   in Loop: Header=BB210_13 Depth=1
	s_or_b32 exec_lo, exec_lo, s49
	global_load_ushort v2, v[69:70], off offset:776
	v_mov_b32_e32 v121, 0
	v_mov_b32_e32 v119, 0
	;; [unrolled: 1-line block ×4, first 2 shown]
	s_waitcnt vmcnt(0)
	v_and_b32_e32 v1, 0xffff, v2
	v_cmp_ne_u16_sdwa s2, v2, v52 src0_sel:BYTE_0 src1_sel:DWORD
	s_and_saveexec_b32 s49, s2
	s_cbranch_execz .LBB210_250
; %bb.243:                              ;   in Loop: Header=BB210_13 Depth=1
	v_bfrev_b32_e32 v119, 1
	v_mov_b32_e32 v120, 0
	v_cmp_ne_u16_sdwa s2, v1, v72 src0_sel:BYTE_0 src1_sel:DWORD
	s_and_saveexec_b32 s50, s2
	s_cbranch_execz .LBB210_249
; %bb.244:                              ;   in Loop: Header=BB210_13 Depth=1
	v_mov_b32_e32 v119, 0x7f800001
	v_and_b32_e32 v3, 0x7f, v1
	v_mov_b32_e32 v120, 0
	s_mov_b32 s51, exec_lo
	v_cmpx_ne_u32_e32 0x7f, v3
	s_cbranch_execz .LBB210_248
; %bb.245:                              ;   in Loop: Header=BB210_13 Depth=1
	v_and_b32_e32 v51, 7, v1
	v_lshrrev_b32_e32 v2, 3, v3
	s_mov_b32 s52, exec_lo
	v_cmpx_gt_u32_e32 8, v3
; %bb.246:                              ;   in Loop: Header=BB210_13 Depth=1
	v_ffbh_u32_e32 v2, v51
	v_min_u32_e32 v2, 32, v2
	v_subrev_nc_u32_e32 v3, 28, v2
	v_sub_nc_u32_e32 v2, 29, v2
	v_lshlrev_b64 v[3:4], v3, v[51:52]
	v_and_b32_e32 v51, 7, v3
; %bb.247:                              ;   in Loop: Header=BB210_13 Depth=1
	s_or_b32 exec_lo, exec_lo, s52
	v_lshlrev_b32_e32 v3, 24, v1
	v_lshlrev_b32_e32 v4, 20, v51
	v_lshl_add_u32 v2, v2, 23, 0x3c000000
	v_and_b32_e32 v3, 0x80000000, v3
	v_or3_b32 v51, v4, v3, v2
	v_mov_b32_e32 v120, v52
	v_mov_b32_e32 v119, v51
.LBB210_248:                            ;   in Loop: Header=BB210_13 Depth=1
	s_or_b32 exec_lo, exec_lo, s51
.LBB210_249:                            ;   in Loop: Header=BB210_13 Depth=1
	s_or_b32 exec_lo, exec_lo, s50
.LBB210_250:                            ;   in Loop: Header=BB210_13 Depth=1
	s_or_b32 exec_lo, exec_lo, s49
	v_cmp_ne_u16_sdwa s2, v1, v52 src0_sel:BYTE_1 src1_sel:DWORD
	s_and_saveexec_b32 s49, s2
	s_cbranch_execz .LBB210_258
; %bb.251:                              ;   in Loop: Header=BB210_13 Depth=1
	v_mov_b32_e32 v53, v52
	v_mov_b32_e32 v122, v54
	v_cmp_ne_u16_sdwa s2, v1, v72 src0_sel:BYTE_1 src1_sel:DWORD
	v_mov_b32_e32 v121, v53
	s_and_saveexec_b32 s50, s2
	s_cbranch_execz .LBB210_257
; %bb.252:                              ;   in Loop: Header=BB210_13 Depth=1
	v_mov_b32_e32 v2, 0xffff
	v_mov_b32_e32 v5, v52
	;; [unrolled: 1-line block ×3, first 2 shown]
	s_mov_b32 s51, exec_lo
	v_and_b32_sdwa v2, v2, v1 dst_sel:DWORD dst_unused:UNUSED_PAD src0_sel:DWORD src1_sel:BYTE_1
	v_mov_b32_e32 v121, v5
	v_and_b32_e32 v3, 0x7f, v2
	v_cmpx_ne_u32_e32 0x7f, v3
	s_cbranch_execz .LBB210_256
; %bb.253:                              ;   in Loop: Header=BB210_13 Depth=1
	v_and_b32_e32 v51, 7, v2
	v_lshrrev_b32_e32 v2, 3, v3
	s_mov_b32 s52, exec_lo
	v_cmpx_gt_u32_e32 8, v3
; %bb.254:                              ;   in Loop: Header=BB210_13 Depth=1
	v_ffbh_u32_e32 v2, v51
	v_min_u32_e32 v2, 32, v2
	v_subrev_nc_u32_e32 v3, 28, v2
	v_sub_nc_u32_e32 v2, 29, v2
	v_lshlrev_b64 v[3:4], v3, v[51:52]
	v_and_b32_e32 v51, 7, v3
; %bb.255:                              ;   in Loop: Header=BB210_13 Depth=1
	s_or_b32 exec_lo, exec_lo, s52
	v_lshlrev_b32_e32 v1, 16, v1
	v_lshlrev_b32_e32 v3, 20, v51
	v_lshl_add_u32 v2, v2, 23, 0x3c000000
	v_mov_b32_e32 v121, v52
	v_and_b32_e32 v1, 0x80000000, v1
	v_or3_b32 v122, v3, v1, v2
.LBB210_256:                            ;   in Loop: Header=BB210_13 Depth=1
	s_or_b32 exec_lo, exec_lo, s51
.LBB210_257:                            ;   in Loop: Header=BB210_13 Depth=1
	s_or_b32 exec_lo, exec_lo, s50
.LBB210_258:                            ;   in Loop: Header=BB210_13 Depth=1
	s_or_b32 exec_lo, exec_lo, s49
	global_load_ushort v2, v[69:70], off offset:780
	v_mov_b32_e32 v125, 0
	v_mov_b32_e32 v123, 0
	;; [unrolled: 1-line block ×4, first 2 shown]
	s_waitcnt vmcnt(0)
	v_and_b32_e32 v1, 0xffff, v2
	v_cmp_ne_u16_sdwa s2, v2, v52 src0_sel:BYTE_0 src1_sel:DWORD
	s_and_saveexec_b32 s49, s2
	s_cbranch_execz .LBB210_266
; %bb.259:                              ;   in Loop: Header=BB210_13 Depth=1
	v_bfrev_b32_e32 v123, 1
	v_mov_b32_e32 v124, 0
	v_cmp_ne_u16_sdwa s2, v1, v72 src0_sel:BYTE_0 src1_sel:DWORD
	s_and_saveexec_b32 s50, s2
	s_cbranch_execz .LBB210_265
; %bb.260:                              ;   in Loop: Header=BB210_13 Depth=1
	v_mov_b32_e32 v123, 0x7f800001
	v_and_b32_e32 v3, 0x7f, v1
	v_mov_b32_e32 v124, 0
	s_mov_b32 s51, exec_lo
	v_cmpx_ne_u32_e32 0x7f, v3
	s_cbranch_execz .LBB210_264
; %bb.261:                              ;   in Loop: Header=BB210_13 Depth=1
	v_and_b32_e32 v51, 7, v1
	v_lshrrev_b32_e32 v2, 3, v3
	s_mov_b32 s52, exec_lo
	v_cmpx_gt_u32_e32 8, v3
; %bb.262:                              ;   in Loop: Header=BB210_13 Depth=1
	v_ffbh_u32_e32 v2, v51
	v_min_u32_e32 v2, 32, v2
	v_subrev_nc_u32_e32 v3, 28, v2
	v_sub_nc_u32_e32 v2, 29, v2
	v_lshlrev_b64 v[3:4], v3, v[51:52]
	v_and_b32_e32 v51, 7, v3
; %bb.263:                              ;   in Loop: Header=BB210_13 Depth=1
	s_or_b32 exec_lo, exec_lo, s52
	v_lshlrev_b32_e32 v3, 24, v1
	v_lshlrev_b32_e32 v4, 20, v51
	v_lshl_add_u32 v2, v2, 23, 0x3c000000
	v_and_b32_e32 v3, 0x80000000, v3
	v_or3_b32 v51, v4, v3, v2
	v_mov_b32_e32 v124, v52
	v_mov_b32_e32 v123, v51
.LBB210_264:                            ;   in Loop: Header=BB210_13 Depth=1
	s_or_b32 exec_lo, exec_lo, s51
.LBB210_265:                            ;   in Loop: Header=BB210_13 Depth=1
	s_or_b32 exec_lo, exec_lo, s50
.LBB210_266:                            ;   in Loop: Header=BB210_13 Depth=1
	s_or_b32 exec_lo, exec_lo, s49
	v_cmp_ne_u16_sdwa s2, v1, v52 src0_sel:BYTE_1 src1_sel:DWORD
	s_and_saveexec_b32 s49, s2
	s_cbranch_execz .LBB210_274
; %bb.267:                              ;   in Loop: Header=BB210_13 Depth=1
	v_mov_b32_e32 v53, v52
	v_mov_b32_e32 v126, v54
	v_cmp_ne_u16_sdwa s2, v1, v72 src0_sel:BYTE_1 src1_sel:DWORD
	v_mov_b32_e32 v125, v53
	s_and_saveexec_b32 s50, s2
	s_cbranch_execz .LBB210_273
; %bb.268:                              ;   in Loop: Header=BB210_13 Depth=1
	v_mov_b32_e32 v2, 0xffff
	v_mov_b32_e32 v5, v52
	;; [unrolled: 1-line block ×3, first 2 shown]
	s_mov_b32 s51, exec_lo
	v_and_b32_sdwa v2, v2, v1 dst_sel:DWORD dst_unused:UNUSED_PAD src0_sel:DWORD src1_sel:BYTE_1
	v_mov_b32_e32 v125, v5
	v_and_b32_e32 v3, 0x7f, v2
	v_cmpx_ne_u32_e32 0x7f, v3
	s_cbranch_execz .LBB210_272
; %bb.269:                              ;   in Loop: Header=BB210_13 Depth=1
	v_and_b32_e32 v51, 7, v2
	v_lshrrev_b32_e32 v2, 3, v3
	s_mov_b32 s52, exec_lo
	v_cmpx_gt_u32_e32 8, v3
; %bb.270:                              ;   in Loop: Header=BB210_13 Depth=1
	v_ffbh_u32_e32 v2, v51
	v_min_u32_e32 v2, 32, v2
	v_subrev_nc_u32_e32 v3, 28, v2
	v_sub_nc_u32_e32 v2, 29, v2
	v_lshlrev_b64 v[3:4], v3, v[51:52]
	v_and_b32_e32 v51, 7, v3
; %bb.271:                              ;   in Loop: Header=BB210_13 Depth=1
	s_or_b32 exec_lo, exec_lo, s52
	v_lshlrev_b32_e32 v1, 16, v1
	v_lshlrev_b32_e32 v3, 20, v51
	v_lshl_add_u32 v2, v2, 23, 0x3c000000
	v_mov_b32_e32 v125, v52
	v_and_b32_e32 v1, 0x80000000, v1
	v_or3_b32 v126, v3, v1, v2
.LBB210_272:                            ;   in Loop: Header=BB210_13 Depth=1
	s_or_b32 exec_lo, exec_lo, s51
.LBB210_273:                            ;   in Loop: Header=BB210_13 Depth=1
	s_or_b32 exec_lo, exec_lo, s50
.LBB210_274:                            ;   in Loop: Header=BB210_13 Depth=1
	s_or_b32 exec_lo, exec_lo, s49
	global_load_ushort v2, v[69:70], off offset:1024
	v_mov_b32_e32 v63, 0
	v_mov_b32_e32 v59, 0
	;; [unrolled: 1-line block ×4, first 2 shown]
	s_waitcnt vmcnt(0)
	v_and_b32_e32 v1, 0xffff, v2
	v_cmp_ne_u16_sdwa s2, v2, v52 src0_sel:BYTE_0 src1_sel:DWORD
	s_and_saveexec_b32 s49, s2
	s_cbranch_execz .LBB210_282
; %bb.275:                              ;   in Loop: Header=BB210_13 Depth=1
	v_bfrev_b32_e32 v59, 1
	v_mov_b32_e32 v60, 0
	v_cmp_ne_u16_sdwa s2, v1, v72 src0_sel:BYTE_0 src1_sel:DWORD
	s_and_saveexec_b32 s50, s2
	s_cbranch_execz .LBB210_281
; %bb.276:                              ;   in Loop: Header=BB210_13 Depth=1
	v_mov_b32_e32 v59, 0x7f800001
	v_and_b32_e32 v3, 0x7f, v1
	v_mov_b32_e32 v60, 0
	s_mov_b32 s51, exec_lo
	v_cmpx_ne_u32_e32 0x7f, v3
	s_cbranch_execz .LBB210_280
; %bb.277:                              ;   in Loop: Header=BB210_13 Depth=1
	v_and_b32_e32 v51, 7, v1
	v_lshrrev_b32_e32 v2, 3, v3
	s_mov_b32 s52, exec_lo
	v_cmpx_gt_u32_e32 8, v3
; %bb.278:                              ;   in Loop: Header=BB210_13 Depth=1
	v_ffbh_u32_e32 v2, v51
	v_min_u32_e32 v2, 32, v2
	v_subrev_nc_u32_e32 v3, 28, v2
	v_sub_nc_u32_e32 v2, 29, v2
	v_lshlrev_b64 v[3:4], v3, v[51:52]
	v_and_b32_e32 v51, 7, v3
; %bb.279:                              ;   in Loop: Header=BB210_13 Depth=1
	s_or_b32 exec_lo, exec_lo, s52
	v_lshlrev_b32_e32 v3, 24, v1
	v_lshlrev_b32_e32 v4, 20, v51
	v_lshl_add_u32 v2, v2, 23, 0x3c000000
	v_and_b32_e32 v3, 0x80000000, v3
	v_or3_b32 v51, v4, v3, v2
	v_mov_b32_e32 v60, v52
	v_mov_b32_e32 v59, v51
.LBB210_280:                            ;   in Loop: Header=BB210_13 Depth=1
	s_or_b32 exec_lo, exec_lo, s51
.LBB210_281:                            ;   in Loop: Header=BB210_13 Depth=1
	s_or_b32 exec_lo, exec_lo, s50
.LBB210_282:                            ;   in Loop: Header=BB210_13 Depth=1
	s_or_b32 exec_lo, exec_lo, s49
	v_cmp_ne_u16_sdwa s2, v1, v52 src0_sel:BYTE_1 src1_sel:DWORD
	s_and_saveexec_b32 s49, s2
	s_cbranch_execz .LBB210_290
; %bb.283:                              ;   in Loop: Header=BB210_13 Depth=1
	v_mov_b32_e32 v53, v52
	v_mov_b32_e32 v64, v54
	v_cmp_ne_u16_sdwa s2, v1, v72 src0_sel:BYTE_1 src1_sel:DWORD
	v_mov_b32_e32 v63, v53
	s_and_saveexec_b32 s50, s2
	s_cbranch_execz .LBB210_289
; %bb.284:                              ;   in Loop: Header=BB210_13 Depth=1
	v_mov_b32_e32 v2, 0xffff
	v_mov_b32_e32 v5, v52
	;; [unrolled: 1-line block ×3, first 2 shown]
	s_mov_b32 s51, exec_lo
	v_and_b32_sdwa v2, v2, v1 dst_sel:DWORD dst_unused:UNUSED_PAD src0_sel:DWORD src1_sel:BYTE_1
	v_mov_b32_e32 v63, v5
	v_and_b32_e32 v3, 0x7f, v2
	v_cmpx_ne_u32_e32 0x7f, v3
	s_cbranch_execz .LBB210_288
; %bb.285:                              ;   in Loop: Header=BB210_13 Depth=1
	v_and_b32_e32 v51, 7, v2
	v_lshrrev_b32_e32 v2, 3, v3
	s_mov_b32 s52, exec_lo
	v_cmpx_gt_u32_e32 8, v3
; %bb.286:                              ;   in Loop: Header=BB210_13 Depth=1
	v_ffbh_u32_e32 v2, v51
	v_min_u32_e32 v2, 32, v2
	v_subrev_nc_u32_e32 v3, 28, v2
	v_sub_nc_u32_e32 v2, 29, v2
	v_lshlrev_b64 v[3:4], v3, v[51:52]
	v_and_b32_e32 v51, 7, v3
; %bb.287:                              ;   in Loop: Header=BB210_13 Depth=1
	s_or_b32 exec_lo, exec_lo, s52
	v_lshlrev_b32_e32 v1, 16, v1
	v_lshlrev_b32_e32 v3, 20, v51
	v_lshl_add_u32 v2, v2, 23, 0x3c000000
	v_mov_b32_e32 v63, v52
	v_and_b32_e32 v1, 0x80000000, v1
	v_or3_b32 v64, v3, v1, v2
.LBB210_288:                            ;   in Loop: Header=BB210_13 Depth=1
	s_or_b32 exec_lo, exec_lo, s51
.LBB210_289:                            ;   in Loop: Header=BB210_13 Depth=1
	s_or_b32 exec_lo, exec_lo, s50
.LBB210_290:                            ;   in Loop: Header=BB210_13 Depth=1
	s_or_b32 exec_lo, exec_lo, s49
	global_load_ushort v2, v[69:70], off offset:1028
	v_mov_b32_e32 v61, 0
	v_mov_b32_e32 v65, 0
	;; [unrolled: 1-line block ×4, first 2 shown]
	s_waitcnt vmcnt(0)
	v_and_b32_e32 v1, 0xffff, v2
	v_cmp_ne_u16_sdwa s2, v2, v52 src0_sel:BYTE_0 src1_sel:DWORD
	s_and_saveexec_b32 s49, s2
	s_cbranch_execz .LBB210_298
; %bb.291:                              ;   in Loop: Header=BB210_13 Depth=1
	v_bfrev_b32_e32 v65, 1
	v_mov_b32_e32 v66, 0
	v_cmp_ne_u16_sdwa s2, v1, v72 src0_sel:BYTE_0 src1_sel:DWORD
	s_and_saveexec_b32 s50, s2
	s_cbranch_execz .LBB210_297
; %bb.292:                              ;   in Loop: Header=BB210_13 Depth=1
	v_mov_b32_e32 v65, 0x7f800001
	v_and_b32_e32 v3, 0x7f, v1
	v_mov_b32_e32 v66, 0
	s_mov_b32 s51, exec_lo
	v_cmpx_ne_u32_e32 0x7f, v3
	s_cbranch_execz .LBB210_296
; %bb.293:                              ;   in Loop: Header=BB210_13 Depth=1
	v_and_b32_e32 v51, 7, v1
	v_lshrrev_b32_e32 v2, 3, v3
	s_mov_b32 s52, exec_lo
	v_cmpx_gt_u32_e32 8, v3
; %bb.294:                              ;   in Loop: Header=BB210_13 Depth=1
	v_ffbh_u32_e32 v2, v51
	v_min_u32_e32 v2, 32, v2
	v_subrev_nc_u32_e32 v3, 28, v2
	v_sub_nc_u32_e32 v2, 29, v2
	v_lshlrev_b64 v[3:4], v3, v[51:52]
	v_and_b32_e32 v51, 7, v3
; %bb.295:                              ;   in Loop: Header=BB210_13 Depth=1
	s_or_b32 exec_lo, exec_lo, s52
	v_lshlrev_b32_e32 v3, 24, v1
	v_lshlrev_b32_e32 v4, 20, v51
	v_lshl_add_u32 v2, v2, 23, 0x3c000000
	v_and_b32_e32 v3, 0x80000000, v3
	v_or3_b32 v51, v4, v3, v2
	v_mov_b32_e32 v66, v52
	v_mov_b32_e32 v65, v51
.LBB210_296:                            ;   in Loop: Header=BB210_13 Depth=1
	s_or_b32 exec_lo, exec_lo, s51
.LBB210_297:                            ;   in Loop: Header=BB210_13 Depth=1
	s_or_b32 exec_lo, exec_lo, s50
.LBB210_298:                            ;   in Loop: Header=BB210_13 Depth=1
	s_or_b32 exec_lo, exec_lo, s49
	v_cmp_ne_u16_sdwa s2, v1, v52 src0_sel:BYTE_1 src1_sel:DWORD
	s_and_saveexec_b32 s49, s2
	s_cbranch_execz .LBB210_306
; %bb.299:                              ;   in Loop: Header=BB210_13 Depth=1
	v_mov_b32_e32 v53, v52
	v_mov_b32_e32 v62, v54
	v_cmp_ne_u16_sdwa s2, v1, v72 src0_sel:BYTE_1 src1_sel:DWORD
	v_mov_b32_e32 v61, v53
	s_and_saveexec_b32 s50, s2
	s_cbranch_execz .LBB210_305
; %bb.300:                              ;   in Loop: Header=BB210_13 Depth=1
	v_mov_b32_e32 v2, 0xffff
	v_mov_b32_e32 v5, v52
	;; [unrolled: 1-line block ×3, first 2 shown]
	s_mov_b32 s51, exec_lo
	v_and_b32_sdwa v2, v2, v1 dst_sel:DWORD dst_unused:UNUSED_PAD src0_sel:DWORD src1_sel:BYTE_1
	v_mov_b32_e32 v61, v5
	v_and_b32_e32 v3, 0x7f, v2
	v_cmpx_ne_u32_e32 0x7f, v3
	s_cbranch_execz .LBB210_304
; %bb.301:                              ;   in Loop: Header=BB210_13 Depth=1
	v_and_b32_e32 v51, 7, v2
	v_lshrrev_b32_e32 v2, 3, v3
	s_mov_b32 s52, exec_lo
	v_cmpx_gt_u32_e32 8, v3
; %bb.302:                              ;   in Loop: Header=BB210_13 Depth=1
	v_ffbh_u32_e32 v2, v51
	v_min_u32_e32 v2, 32, v2
	v_subrev_nc_u32_e32 v3, 28, v2
	v_sub_nc_u32_e32 v2, 29, v2
	v_lshlrev_b64 v[3:4], v3, v[51:52]
	v_and_b32_e32 v51, 7, v3
; %bb.303:                              ;   in Loop: Header=BB210_13 Depth=1
	s_or_b32 exec_lo, exec_lo, s52
	v_lshlrev_b32_e32 v1, 16, v1
	v_lshlrev_b32_e32 v3, 20, v51
	v_lshl_add_u32 v2, v2, 23, 0x3c000000
	v_mov_b32_e32 v61, v52
	v_and_b32_e32 v1, 0x80000000, v1
	v_or3_b32 v62, v3, v1, v2
.LBB210_304:                            ;   in Loop: Header=BB210_13 Depth=1
	s_or_b32 exec_lo, exec_lo, s51
.LBB210_305:                            ;   in Loop: Header=BB210_13 Depth=1
	s_or_b32 exec_lo, exec_lo, s50
.LBB210_306:                            ;   in Loop: Header=BB210_13 Depth=1
	s_or_b32 exec_lo, exec_lo, s49
	global_load_ushort v2, v[69:70], off offset:1032
	v_mov_b32_e32 v55, 0
	v_mov_b32_e32 v67, 0
	;; [unrolled: 1-line block ×4, first 2 shown]
	s_waitcnt vmcnt(0)
	v_and_b32_e32 v1, 0xffff, v2
	v_cmp_ne_u16_sdwa s2, v2, v52 src0_sel:BYTE_0 src1_sel:DWORD
	s_and_saveexec_b32 s49, s2
	s_cbranch_execz .LBB210_314
; %bb.307:                              ;   in Loop: Header=BB210_13 Depth=1
	v_bfrev_b32_e32 v67, 1
	v_mov_b32_e32 v68, 0
	v_cmp_ne_u16_sdwa s2, v1, v72 src0_sel:BYTE_0 src1_sel:DWORD
	s_and_saveexec_b32 s50, s2
	s_cbranch_execz .LBB210_313
; %bb.308:                              ;   in Loop: Header=BB210_13 Depth=1
	v_mov_b32_e32 v67, 0x7f800001
	v_and_b32_e32 v3, 0x7f, v1
	v_mov_b32_e32 v68, 0
	s_mov_b32 s51, exec_lo
	v_cmpx_ne_u32_e32 0x7f, v3
	s_cbranch_execz .LBB210_312
; %bb.309:                              ;   in Loop: Header=BB210_13 Depth=1
	v_and_b32_e32 v51, 7, v1
	v_lshrrev_b32_e32 v2, 3, v3
	s_mov_b32 s52, exec_lo
	v_cmpx_gt_u32_e32 8, v3
; %bb.310:                              ;   in Loop: Header=BB210_13 Depth=1
	v_ffbh_u32_e32 v2, v51
	v_min_u32_e32 v2, 32, v2
	v_subrev_nc_u32_e32 v3, 28, v2
	v_sub_nc_u32_e32 v2, 29, v2
	v_lshlrev_b64 v[3:4], v3, v[51:52]
	v_and_b32_e32 v51, 7, v3
; %bb.311:                              ;   in Loop: Header=BB210_13 Depth=1
	s_or_b32 exec_lo, exec_lo, s52
	v_lshlrev_b32_e32 v3, 24, v1
	v_lshlrev_b32_e32 v4, 20, v51
	v_lshl_add_u32 v2, v2, 23, 0x3c000000
	v_and_b32_e32 v3, 0x80000000, v3
	v_or3_b32 v51, v4, v3, v2
	v_mov_b32_e32 v68, v52
	v_mov_b32_e32 v67, v51
.LBB210_312:                            ;   in Loop: Header=BB210_13 Depth=1
	s_or_b32 exec_lo, exec_lo, s51
.LBB210_313:                            ;   in Loop: Header=BB210_13 Depth=1
	s_or_b32 exec_lo, exec_lo, s50
.LBB210_314:                            ;   in Loop: Header=BB210_13 Depth=1
	s_or_b32 exec_lo, exec_lo, s49
	v_cmp_ne_u16_sdwa s2, v1, v52 src0_sel:BYTE_1 src1_sel:DWORD
	s_and_saveexec_b32 s49, s2
	s_cbranch_execz .LBB210_322
; %bb.315:                              ;   in Loop: Header=BB210_13 Depth=1
	v_mov_b32_e32 v53, v52
	v_mov_b32_e32 v56, v54
	v_cmp_ne_u16_sdwa s2, v1, v72 src0_sel:BYTE_1 src1_sel:DWORD
	v_mov_b32_e32 v55, v53
	s_and_saveexec_b32 s50, s2
	s_cbranch_execz .LBB210_321
; %bb.316:                              ;   in Loop: Header=BB210_13 Depth=1
	v_mov_b32_e32 v2, 0xffff
	v_mov_b32_e32 v5, v52
	;; [unrolled: 1-line block ×3, first 2 shown]
	s_mov_b32 s51, exec_lo
	v_and_b32_sdwa v2, v2, v1 dst_sel:DWORD dst_unused:UNUSED_PAD src0_sel:DWORD src1_sel:BYTE_1
	v_mov_b32_e32 v55, v5
	v_and_b32_e32 v3, 0x7f, v2
	v_cmpx_ne_u32_e32 0x7f, v3
	s_cbranch_execz .LBB210_320
; %bb.317:                              ;   in Loop: Header=BB210_13 Depth=1
	v_and_b32_e32 v51, 7, v2
	v_lshrrev_b32_e32 v2, 3, v3
	s_mov_b32 s52, exec_lo
	v_cmpx_gt_u32_e32 8, v3
; %bb.318:                              ;   in Loop: Header=BB210_13 Depth=1
	v_ffbh_u32_e32 v2, v51
	v_min_u32_e32 v2, 32, v2
	v_subrev_nc_u32_e32 v3, 28, v2
	v_sub_nc_u32_e32 v2, 29, v2
	v_lshlrev_b64 v[3:4], v3, v[51:52]
	v_and_b32_e32 v51, 7, v3
; %bb.319:                              ;   in Loop: Header=BB210_13 Depth=1
	s_or_b32 exec_lo, exec_lo, s52
	v_lshlrev_b32_e32 v1, 16, v1
	v_lshlrev_b32_e32 v3, 20, v51
	v_lshl_add_u32 v2, v2, 23, 0x3c000000
	v_mov_b32_e32 v55, v52
	v_and_b32_e32 v1, 0x80000000, v1
	v_or3_b32 v56, v3, v1, v2
.LBB210_320:                            ;   in Loop: Header=BB210_13 Depth=1
	s_or_b32 exec_lo, exec_lo, s51
.LBB210_321:                            ;   in Loop: Header=BB210_13 Depth=1
	s_or_b32 exec_lo, exec_lo, s50
.LBB210_322:                            ;   in Loop: Header=BB210_13 Depth=1
	s_or_b32 exec_lo, exec_lo, s49
	global_load_ushort v2, v[69:70], off offset:1036
	v_mov_b32_e32 v73, 0
	v_mov_b32_e32 v3, 0
	;; [unrolled: 1-line block ×4, first 2 shown]
	s_waitcnt vmcnt(0)
	v_and_b32_e32 v1, 0xffff, v2
	v_cmp_ne_u16_sdwa s2, v2, v52 src0_sel:BYTE_0 src1_sel:DWORD
	s_and_saveexec_b32 s49, s2
	s_cbranch_execz .LBB210_330
; %bb.323:                              ;   in Loop: Header=BB210_13 Depth=1
	v_bfrev_b32_e32 v3, 1
	v_mov_b32_e32 v4, 0
	v_cmp_ne_u16_sdwa s2, v1, v72 src0_sel:BYTE_0 src1_sel:DWORD
	s_and_saveexec_b32 s50, s2
	s_cbranch_execz .LBB210_329
; %bb.324:                              ;   in Loop: Header=BB210_13 Depth=1
	v_mov_b32_e32 v3, 0x7f800001
	v_and_b32_e32 v5, 0x7f, v1
	v_mov_b32_e32 v4, 0
	s_mov_b32 s51, exec_lo
	v_cmpx_ne_u32_e32 0x7f, v5
	s_cbranch_execz .LBB210_328
; %bb.325:                              ;   in Loop: Header=BB210_13 Depth=1
	v_and_b32_e32 v51, 7, v1
	v_lshrrev_b32_e32 v2, 3, v5
	s_mov_b32 s52, exec_lo
	v_cmpx_gt_u32_e32 8, v5
; %bb.326:                              ;   in Loop: Header=BB210_13 Depth=1
	v_ffbh_u32_e32 v2, v51
	v_min_u32_e32 v2, 32, v2
	v_subrev_nc_u32_e32 v3, 28, v2
	v_sub_nc_u32_e32 v2, 29, v2
	v_lshlrev_b64 v[3:4], v3, v[51:52]
	v_and_b32_e32 v51, 7, v3
; %bb.327:                              ;   in Loop: Header=BB210_13 Depth=1
	s_or_b32 exec_lo, exec_lo, s52
	v_lshlrev_b32_e32 v3, 24, v1
	v_lshlrev_b32_e32 v4, 20, v51
	v_lshl_add_u32 v2, v2, 23, 0x3c000000
	v_and_b32_e32 v3, 0x80000000, v3
	v_or3_b32 v51, v4, v3, v2
	v_mov_b32_e32 v3, v51
	v_mov_b32_e32 v4, v52
.LBB210_328:                            ;   in Loop: Header=BB210_13 Depth=1
	s_or_b32 exec_lo, exec_lo, s51
.LBB210_329:                            ;   in Loop: Header=BB210_13 Depth=1
	s_or_b32 exec_lo, exec_lo, s50
.LBB210_330:                            ;   in Loop: Header=BB210_13 Depth=1
	s_or_b32 exec_lo, exec_lo, s49
	v_cmp_ne_u16_sdwa s2, v1, v52 src0_sel:BYTE_1 src1_sel:DWORD
	s_and_saveexec_b32 s49, s2
	s_cbranch_execz .LBB210_338
; %bb.331:                              ;   in Loop: Header=BB210_13 Depth=1
	v_mov_b32_e32 v53, v52
	v_mov_b32_e32 v74, v54
	v_cmp_ne_u16_sdwa s2, v1, v72 src0_sel:BYTE_1 src1_sel:DWORD
	v_mov_b32_e32 v73, v53
	s_and_saveexec_b32 s50, s2
	s_cbranch_execz .LBB210_337
; %bb.332:                              ;   in Loop: Header=BB210_13 Depth=1
	v_mov_b32_e32 v2, 0xffff
	v_mov_b32_e32 v5, v52
	;; [unrolled: 1-line block ×3, first 2 shown]
	s_mov_b32 s51, exec_lo
	v_and_b32_sdwa v2, v2, v1 dst_sel:DWORD dst_unused:UNUSED_PAD src0_sel:DWORD src1_sel:BYTE_1
	v_mov_b32_e32 v73, v5
	v_and_b32_e32 v7, 0x7f, v2
	v_cmpx_ne_u32_e32 0x7f, v7
	s_cbranch_execz .LBB210_336
; %bb.333:                              ;   in Loop: Header=BB210_13 Depth=1
	v_and_b32_e32 v51, 7, v2
	v_lshrrev_b32_e32 v2, 3, v7
	s_mov_b32 s52, exec_lo
	v_cmpx_gt_u32_e32 8, v7
; %bb.334:                              ;   in Loop: Header=BB210_13 Depth=1
	v_ffbh_u32_e32 v2, v51
	v_min_u32_e32 v2, 32, v2
	v_subrev_nc_u32_e32 v5, 28, v2
	v_sub_nc_u32_e32 v2, 29, v2
	v_lshlrev_b64 v[7:8], v5, v[51:52]
	v_and_b32_e32 v51, 7, v7
; %bb.335:                              ;   in Loop: Header=BB210_13 Depth=1
	s_or_b32 exec_lo, exec_lo, s52
	v_lshlrev_b32_e32 v1, 16, v1
	v_lshlrev_b32_e32 v5, 20, v51
	v_lshl_add_u32 v2, v2, 23, 0x3c000000
	v_mov_b32_e32 v73, v52
	v_and_b32_e32 v1, 0x80000000, v1
	v_or3_b32 v74, v5, v1, v2
.LBB210_336:                            ;   in Loop: Header=BB210_13 Depth=1
	s_or_b32 exec_lo, exec_lo, s51
.LBB210_337:                            ;   in Loop: Header=BB210_13 Depth=1
	s_or_b32 exec_lo, exec_lo, s50
.LBB210_338:                            ;   in Loop: Header=BB210_13 Depth=1
	s_or_b32 exec_lo, exec_lo, s49
	global_load_ushort v1, v[69:70], off offset:1280
	v_mov_b32_e32 v7, 0
	v_mov_b32_e32 v8, 0
	s_waitcnt vmcnt(0)
	v_and_b32_e32 v11, 0xffff, v1
	v_cmp_ne_u16_sdwa s2, v1, v52 src0_sel:BYTE_0 src1_sel:DWORD
	v_mov_b32_e32 v1, 0
	v_mov_b32_e32 v2, 0
	s_and_saveexec_b32 s49, s2
	s_cbranch_execz .LBB210_346
; %bb.339:                              ;   in Loop: Header=BB210_13 Depth=1
	v_bfrev_b32_e32 v7, 1
	v_mov_b32_e32 v8, 0
	v_cmp_ne_u16_sdwa s2, v11, v72 src0_sel:BYTE_0 src1_sel:DWORD
	s_and_saveexec_b32 s50, s2
	s_cbranch_execz .LBB210_345
; %bb.340:                              ;   in Loop: Header=BB210_13 Depth=1
	v_mov_b32_e32 v7, 0x7f800001
	v_and_b32_e32 v12, 0x7f, v11
	v_mov_b32_e32 v8, 0
	s_mov_b32 s51, exec_lo
	v_cmpx_ne_u32_e32 0x7f, v12
	s_cbranch_execz .LBB210_344
; %bb.341:                              ;   in Loop: Header=BB210_13 Depth=1
	v_and_b32_e32 v51, 7, v11
	v_lshrrev_b32_e32 v5, 3, v12
	s_mov_b32 s52, exec_lo
	v_cmpx_gt_u32_e32 8, v12
; %bb.342:                              ;   in Loop: Header=BB210_13 Depth=1
	v_ffbh_u32_e32 v5, v51
	v_min_u32_e32 v5, 32, v5
	v_subrev_nc_u32_e32 v7, 28, v5
	v_sub_nc_u32_e32 v5, 29, v5
	v_lshlrev_b64 v[7:8], v7, v[51:52]
	v_and_b32_e32 v51, 7, v7
; %bb.343:                              ;   in Loop: Header=BB210_13 Depth=1
	s_or_b32 exec_lo, exec_lo, s52
	v_lshlrev_b32_e32 v7, 24, v11
	v_lshlrev_b32_e32 v8, 20, v51
	v_lshl_add_u32 v5, v5, 23, 0x3c000000
	v_and_b32_e32 v7, 0x80000000, v7
	v_or3_b32 v51, v8, v7, v5
	v_mov_b32_e32 v7, v51
	v_mov_b32_e32 v8, v52
.LBB210_344:                            ;   in Loop: Header=BB210_13 Depth=1
	s_or_b32 exec_lo, exec_lo, s51
.LBB210_345:                            ;   in Loop: Header=BB210_13 Depth=1
	s_or_b32 exec_lo, exec_lo, s50
.LBB210_346:                            ;   in Loop: Header=BB210_13 Depth=1
	s_or_b32 exec_lo, exec_lo, s49
	v_cmp_ne_u16_sdwa s2, v11, v52 src0_sel:BYTE_1 src1_sel:DWORD
	s_and_saveexec_b32 s49, s2
	s_cbranch_execz .LBB210_354
; %bb.347:                              ;   in Loop: Header=BB210_13 Depth=1
	v_mov_b32_e32 v53, v52
	v_cmp_ne_u16_sdwa s2, v11, v72 src0_sel:BYTE_1 src1_sel:DWORD
	v_mov_b32_e32 v1, v53
	v_mov_b32_e32 v2, v54
	s_and_saveexec_b32 s50, s2
	s_cbranch_execz .LBB210_353
; %bb.348:                              ;   in Loop: Header=BB210_13 Depth=1
	v_mov_b32_e32 v1, 0xffff
	v_mov_b32_e32 v5, v52
	s_mov_b32 s51, exec_lo
	v_and_b32_sdwa v13, v1, v11 dst_sel:DWORD dst_unused:UNUSED_PAD src0_sel:DWORD src1_sel:BYTE_1
	v_mov_b32_e32 v1, v5
	v_mov_b32_e32 v2, v6
	v_and_b32_e32 v12, 0x7f, v13
	v_cmpx_ne_u32_e32 0x7f, v12
	s_cbranch_execz .LBB210_352
; %bb.349:                              ;   in Loop: Header=BB210_13 Depth=1
	v_and_b32_e32 v51, 7, v13
	v_lshrrev_b32_e32 v1, 3, v12
	s_mov_b32 s52, exec_lo
	v_cmpx_gt_u32_e32 8, v12
; %bb.350:                              ;   in Loop: Header=BB210_13 Depth=1
	v_ffbh_u32_e32 v1, v51
	v_min_u32_e32 v1, 32, v1
	v_subrev_nc_u32_e32 v2, 28, v1
	v_sub_nc_u32_e32 v1, 29, v1
	v_lshlrev_b64 v[12:13], v2, v[51:52]
	v_and_b32_e32 v51, 7, v12
; %bb.351:                              ;   in Loop: Header=BB210_13 Depth=1
	s_or_b32 exec_lo, exec_lo, s52
	v_lshlrev_b32_e32 v2, 16, v11
	v_lshlrev_b32_e32 v5, 20, v51
	v_lshl_add_u32 v1, v1, 23, 0x3c000000
	v_and_b32_e32 v2, 0x80000000, v2
	v_or3_b32 v2, v5, v2, v1
	v_mov_b32_e32 v1, v52
.LBB210_352:                            ;   in Loop: Header=BB210_13 Depth=1
	s_or_b32 exec_lo, exec_lo, s51
.LBB210_353:                            ;   in Loop: Header=BB210_13 Depth=1
	s_or_b32 exec_lo, exec_lo, s50
.LBB210_354:                            ;   in Loop: Header=BB210_13 Depth=1
	s_or_b32 exec_lo, exec_lo, s49
	global_load_ushort v5, v[69:70], off offset:1284
	v_mov_b32_e32 v15, 0
	v_mov_b32_e32 v13, 0
	;; [unrolled: 1-line block ×4, first 2 shown]
	s_waitcnt vmcnt(0)
	v_and_b32_e32 v11, 0xffff, v5
	v_cmp_ne_u16_sdwa s2, v5, v52 src0_sel:BYTE_0 src1_sel:DWORD
	s_and_saveexec_b32 s49, s2
	s_cbranch_execz .LBB210_362
; %bb.355:                              ;   in Loop: Header=BB210_13 Depth=1
	v_bfrev_b32_e32 v13, 1
	v_mov_b32_e32 v14, 0
	v_cmp_ne_u16_sdwa s2, v11, v72 src0_sel:BYTE_0 src1_sel:DWORD
	s_and_saveexec_b32 s50, s2
	s_cbranch_execz .LBB210_361
; %bb.356:                              ;   in Loop: Header=BB210_13 Depth=1
	v_mov_b32_e32 v13, 0x7f800001
	v_and_b32_e32 v12, 0x7f, v11
	v_mov_b32_e32 v14, 0
	s_mov_b32 s51, exec_lo
	v_cmpx_ne_u32_e32 0x7f, v12
	s_cbranch_execz .LBB210_360
; %bb.357:                              ;   in Loop: Header=BB210_13 Depth=1
	v_and_b32_e32 v51, 7, v11
	v_lshrrev_b32_e32 v5, 3, v12
	s_mov_b32 s52, exec_lo
	v_cmpx_gt_u32_e32 8, v12
; %bb.358:                              ;   in Loop: Header=BB210_13 Depth=1
	v_ffbh_u32_e32 v5, v51
	v_min_u32_e32 v5, 32, v5
	v_subrev_nc_u32_e32 v12, 28, v5
	v_sub_nc_u32_e32 v5, 29, v5
	v_lshlrev_b64 v[12:13], v12, v[51:52]
	v_and_b32_e32 v51, 7, v12
; %bb.359:                              ;   in Loop: Header=BB210_13 Depth=1
	s_or_b32 exec_lo, exec_lo, s52
	v_lshlrev_b32_e32 v12, 24, v11
	v_lshlrev_b32_e32 v13, 20, v51
	v_lshl_add_u32 v5, v5, 23, 0x3c000000
	v_and_b32_e32 v12, 0x80000000, v12
	v_or3_b32 v51, v13, v12, v5
	v_mov_b32_e32 v13, v51
	v_mov_b32_e32 v14, v52
.LBB210_360:                            ;   in Loop: Header=BB210_13 Depth=1
	s_or_b32 exec_lo, exec_lo, s51
.LBB210_361:                            ;   in Loop: Header=BB210_13 Depth=1
	s_or_b32 exec_lo, exec_lo, s50
.LBB210_362:                            ;   in Loop: Header=BB210_13 Depth=1
	s_or_b32 exec_lo, exec_lo, s49
	v_cmp_ne_u16_sdwa s2, v11, v52 src0_sel:BYTE_1 src1_sel:DWORD
	s_and_saveexec_b32 s49, s2
	s_cbranch_execz .LBB210_370
; %bb.363:                              ;   in Loop: Header=BB210_13 Depth=1
	v_mov_b32_e32 v53, v52
	v_cmp_ne_u16_sdwa s2, v11, v72 src0_sel:BYTE_1 src1_sel:DWORD
	v_mov_b32_e32 v15, v53
	v_mov_b32_e32 v16, v54
	s_and_saveexec_b32 s50, s2
	s_cbranch_execz .LBB210_369
; %bb.364:                              ;   in Loop: Header=BB210_13 Depth=1
	v_mov_b32_e32 v5, 0xffff
	s_mov_b32 s51, exec_lo
	v_and_b32_sdwa v17, v5, v11 dst_sel:DWORD dst_unused:UNUSED_PAD src0_sel:DWORD src1_sel:BYTE_1
	v_mov_b32_e32 v5, v52
	v_mov_b32_e32 v16, v6
	v_and_b32_e32 v12, 0x7f, v17
	v_mov_b32_e32 v15, v5
	v_cmpx_ne_u32_e32 0x7f, v12
	s_cbranch_execz .LBB210_368
; %bb.365:                              ;   in Loop: Header=BB210_13 Depth=1
	v_and_b32_e32 v51, 7, v17
	v_lshrrev_b32_e32 v5, 3, v12
	s_mov_b32 s52, exec_lo
	v_cmpx_gt_u32_e32 8, v12
; %bb.366:                              ;   in Loop: Header=BB210_13 Depth=1
	v_ffbh_u32_e32 v5, v51
	v_min_u32_e32 v5, 32, v5
	v_subrev_nc_u32_e32 v12, 28, v5
	v_sub_nc_u32_e32 v5, 29, v5
	v_lshlrev_b64 v[15:16], v12, v[51:52]
	v_and_b32_e32 v51, 7, v15
; %bb.367:                              ;   in Loop: Header=BB210_13 Depth=1
	s_or_b32 exec_lo, exec_lo, s52
	v_lshlrev_b32_e32 v11, 16, v11
	v_lshlrev_b32_e32 v12, 20, v51
	v_lshl_add_u32 v5, v5, 23, 0x3c000000
	v_mov_b32_e32 v15, v52
	v_and_b32_e32 v11, 0x80000000, v11
	v_or3_b32 v16, v12, v11, v5
.LBB210_368:                            ;   in Loop: Header=BB210_13 Depth=1
	s_or_b32 exec_lo, exec_lo, s51
.LBB210_369:                            ;   in Loop: Header=BB210_13 Depth=1
	s_or_b32 exec_lo, exec_lo, s50
.LBB210_370:                            ;   in Loop: Header=BB210_13 Depth=1
	s_or_b32 exec_lo, exec_lo, s49
	global_load_ushort v5, v[69:70], off offset:1288
	v_mov_b32_e32 v19, 0
	v_mov_b32_e32 v17, 0
	;; [unrolled: 1-line block ×4, first 2 shown]
	s_waitcnt vmcnt(0)
	v_and_b32_e32 v11, 0xffff, v5
	v_cmp_ne_u16_sdwa s2, v5, v52 src0_sel:BYTE_0 src1_sel:DWORD
	s_and_saveexec_b32 s49, s2
	s_cbranch_execz .LBB210_378
; %bb.371:                              ;   in Loop: Header=BB210_13 Depth=1
	v_bfrev_b32_e32 v17, 1
	v_mov_b32_e32 v18, 0
	v_cmp_ne_u16_sdwa s2, v11, v72 src0_sel:BYTE_0 src1_sel:DWORD
	s_and_saveexec_b32 s50, s2
	s_cbranch_execz .LBB210_377
; %bb.372:                              ;   in Loop: Header=BB210_13 Depth=1
	v_mov_b32_e32 v17, 0x7f800001
	v_and_b32_e32 v12, 0x7f, v11
	v_mov_b32_e32 v18, 0
	s_mov_b32 s51, exec_lo
	v_cmpx_ne_u32_e32 0x7f, v12
	s_cbranch_execz .LBB210_376
; %bb.373:                              ;   in Loop: Header=BB210_13 Depth=1
	v_and_b32_e32 v51, 7, v11
	v_lshrrev_b32_e32 v5, 3, v12
	s_mov_b32 s52, exec_lo
	v_cmpx_gt_u32_e32 8, v12
; %bb.374:                              ;   in Loop: Header=BB210_13 Depth=1
	v_ffbh_u32_e32 v5, v51
	v_min_u32_e32 v5, 32, v5
	v_subrev_nc_u32_e32 v12, 28, v5
	v_sub_nc_u32_e32 v5, 29, v5
	v_lshlrev_b64 v[17:18], v12, v[51:52]
	v_and_b32_e32 v51, 7, v17
; %bb.375:                              ;   in Loop: Header=BB210_13 Depth=1
	s_or_b32 exec_lo, exec_lo, s52
	v_lshlrev_b32_e32 v12, 24, v11
	v_lshlrev_b32_e32 v17, 20, v51
	v_lshl_add_u32 v5, v5, 23, 0x3c000000
	v_and_b32_e32 v12, 0x80000000, v12
	v_or3_b32 v51, v17, v12, v5
	v_mov_b32_e32 v17, v51
	v_mov_b32_e32 v18, v52
.LBB210_376:                            ;   in Loop: Header=BB210_13 Depth=1
	s_or_b32 exec_lo, exec_lo, s51
.LBB210_377:                            ;   in Loop: Header=BB210_13 Depth=1
	s_or_b32 exec_lo, exec_lo, s50
.LBB210_378:                            ;   in Loop: Header=BB210_13 Depth=1
	s_or_b32 exec_lo, exec_lo, s49
	v_cmp_ne_u16_sdwa s2, v11, v52 src0_sel:BYTE_1 src1_sel:DWORD
	s_and_saveexec_b32 s49, s2
	s_cbranch_execz .LBB210_386
; %bb.379:                              ;   in Loop: Header=BB210_13 Depth=1
	v_mov_b32_e32 v53, v52
	v_cmp_ne_u16_sdwa s2, v11, v72 src0_sel:BYTE_1 src1_sel:DWORD
	v_mov_b32_e32 v19, v53
	v_mov_b32_e32 v20, v54
	s_and_saveexec_b32 s50, s2
	s_cbranch_execz .LBB210_385
; %bb.380:                              ;   in Loop: Header=BB210_13 Depth=1
	v_mov_b32_e32 v5, 0xffff
	s_mov_b32 s51, exec_lo
	v_and_b32_sdwa v24, v5, v11 dst_sel:DWORD dst_unused:UNUSED_PAD src0_sel:DWORD src1_sel:BYTE_1
	v_mov_b32_e32 v5, v52
	v_mov_b32_e32 v20, v6
	v_and_b32_e32 v12, 0x7f, v24
	v_mov_b32_e32 v19, v5
	v_cmpx_ne_u32_e32 0x7f, v12
	s_cbranch_execz .LBB210_384
; %bb.381:                              ;   in Loop: Header=BB210_13 Depth=1
	v_and_b32_e32 v51, 7, v24
	v_lshrrev_b32_e32 v5, 3, v12
	s_mov_b32 s52, exec_lo
	v_cmpx_gt_u32_e32 8, v12
; %bb.382:                              ;   in Loop: Header=BB210_13 Depth=1
	v_ffbh_u32_e32 v5, v51
	v_min_u32_e32 v5, 32, v5
	v_subrev_nc_u32_e32 v12, 28, v5
	v_sub_nc_u32_e32 v5, 29, v5
	v_lshlrev_b64 v[19:20], v12, v[51:52]
	v_and_b32_e32 v51, 7, v19
; %bb.383:                              ;   in Loop: Header=BB210_13 Depth=1
	s_or_b32 exec_lo, exec_lo, s52
	v_lshlrev_b32_e32 v11, 16, v11
	v_lshlrev_b32_e32 v12, 20, v51
	v_lshl_add_u32 v5, v5, 23, 0x3c000000
	v_mov_b32_e32 v19, v52
	v_and_b32_e32 v11, 0x80000000, v11
	v_or3_b32 v20, v12, v11, v5
.LBB210_384:                            ;   in Loop: Header=BB210_13 Depth=1
	s_or_b32 exec_lo, exec_lo, s51
.LBB210_385:                            ;   in Loop: Header=BB210_13 Depth=1
	s_or_b32 exec_lo, exec_lo, s50
.LBB210_386:                            ;   in Loop: Header=BB210_13 Depth=1
	s_or_b32 exec_lo, exec_lo, s49
	global_load_ushort v5, v[69:70], off offset:1292
	v_mov_b32_e32 v69, 0
	v_mov_b32_e32 v11, 0
	;; [unrolled: 1-line block ×4, first 2 shown]
	s_waitcnt vmcnt(0)
	v_and_b32_e32 v24, 0xffff, v5
	v_cmp_ne_u16_sdwa s2, v5, v52 src0_sel:BYTE_0 src1_sel:DWORD
	s_and_saveexec_b32 s49, s2
	s_cbranch_execz .LBB210_394
; %bb.387:                              ;   in Loop: Header=BB210_13 Depth=1
	v_bfrev_b32_e32 v11, 1
	v_mov_b32_e32 v12, 0
	v_cmp_ne_u16_sdwa s2, v24, v72 src0_sel:BYTE_0 src1_sel:DWORD
	s_and_saveexec_b32 s50, s2
	s_cbranch_execz .LBB210_393
; %bb.388:                              ;   in Loop: Header=BB210_13 Depth=1
	v_mov_b32_e32 v11, 0x7f800001
	v_and_b32_e32 v53, 0x7f, v24
	v_mov_b32_e32 v12, 0
	s_mov_b32 s51, exec_lo
	v_cmpx_ne_u32_e32 0x7f, v53
	s_cbranch_execz .LBB210_392
; %bb.389:                              ;   in Loop: Header=BB210_13 Depth=1
	v_and_b32_e32 v51, 7, v24
	v_lshrrev_b32_e32 v5, 3, v53
	s_mov_b32 s52, exec_lo
	v_cmpx_gt_u32_e32 8, v53
; %bb.390:                              ;   in Loop: Header=BB210_13 Depth=1
	v_ffbh_u32_e32 v5, v51
	v_min_u32_e32 v5, 32, v5
	v_subrev_nc_u32_e32 v11, 28, v5
	v_sub_nc_u32_e32 v5, 29, v5
	v_lshlrev_b64 v[11:12], v11, v[51:52]
	v_and_b32_e32 v51, 7, v11
; %bb.391:                              ;   in Loop: Header=BB210_13 Depth=1
	s_or_b32 exec_lo, exec_lo, s52
	v_lshlrev_b32_e32 v11, 24, v24
	v_lshlrev_b32_e32 v12, 20, v51
	v_lshl_add_u32 v5, v5, 23, 0x3c000000
	v_and_b32_e32 v11, 0x80000000, v11
	v_or3_b32 v51, v12, v11, v5
	v_mov_b32_e32 v11, v51
	v_mov_b32_e32 v12, v52
.LBB210_392:                            ;   in Loop: Header=BB210_13 Depth=1
	s_or_b32 exec_lo, exec_lo, s51
.LBB210_393:                            ;   in Loop: Header=BB210_13 Depth=1
	s_or_b32 exec_lo, exec_lo, s50
.LBB210_394:                            ;   in Loop: Header=BB210_13 Depth=1
	s_or_b32 exec_lo, exec_lo, s49
	v_cmp_ne_u16_sdwa s2, v24, v52 src0_sel:BYTE_1 src1_sel:DWORD
	s_and_saveexec_b32 s49, s2
	s_cbranch_execz .LBB210_402
; %bb.395:                              ;   in Loop: Header=BB210_13 Depth=1
	v_mov_b32_e32 v53, v52
	v_mov_b32_e32 v70, v54
	v_cmp_ne_u16_sdwa s2, v24, v72 src0_sel:BYTE_1 src1_sel:DWORD
	v_mov_b32_e32 v69, v53
	s_and_saveexec_b32 s50, s2
	s_cbranch_execz .LBB210_401
; %bb.396:                              ;   in Loop: Header=BB210_13 Depth=1
	v_mov_b32_e32 v5, 0xffff
	s_mov_b32 s51, exec_lo
	v_and_b32_sdwa v51, v5, v24 dst_sel:DWORD dst_unused:UNUSED_PAD src0_sel:DWORD src1_sel:BYTE_1
	v_mov_b32_e32 v5, v52
	v_mov_b32_e32 v70, v6
	v_and_b32_e32 v53, 0x7f, v51
	v_mov_b32_e32 v69, v5
	v_cmpx_ne_u32_e32 0x7f, v53
	s_cbranch_execz .LBB210_400
; %bb.397:                              ;   in Loop: Header=BB210_13 Depth=1
	v_and_b32_e32 v51, 7, v51
	v_lshrrev_b32_e32 v5, 3, v53
	s_mov_b32 s52, exec_lo
	v_cmpx_gt_u32_e32 8, v53
; %bb.398:                              ;   in Loop: Header=BB210_13 Depth=1
	v_ffbh_u32_e32 v5, v51
	v_min_u32_e32 v5, 32, v5
	v_subrev_nc_u32_e32 v53, 28, v5
	v_sub_nc_u32_e32 v5, 29, v5
	v_lshlrev_b64 v[69:70], v53, v[51:52]
	v_and_b32_e32 v51, 7, v69
; %bb.399:                              ;   in Loop: Header=BB210_13 Depth=1
	s_or_b32 exec_lo, exec_lo, s52
	v_lshlrev_b32_e32 v24, 16, v24
	v_lshlrev_b32_e32 v51, 20, v51
	v_lshl_add_u32 v5, v5, 23, 0x3c000000
	v_mov_b32_e32 v69, v52
	v_and_b32_e32 v24, 0x80000000, v24
	v_or3_b32 v70, v51, v24, v5
.LBB210_400:                            ;   in Loop: Header=BB210_13 Depth=1
	s_or_b32 exec_lo, exec_lo, s51
.LBB210_401:                            ;   in Loop: Header=BB210_13 Depth=1
	s_or_b32 exec_lo, exec_lo, s50
.LBB210_402:                            ;   in Loop: Header=BB210_13 Depth=1
	s_or_b32 exec_lo, exec_lo, s49
	v_or_b32_e32 v76, v78, v76
	v_or_b32_e32 v77, v77, v75
	;; [unrolled: 1-line block ×6, first 2 shown]
	s_waitcnt lgkmcnt(0)
	v_mul_f32_e32 v75, s48, v76
	v_mul_f32_e32 v76, s48, v77
	s_clause 0x1
	buffer_load_dword v77, off, s[56:59], 0 offset:32
	buffer_load_dword v78, off, s[56:59], 0 offset:36
	v_mul_f32_e32 v83, s48, v84
	v_mul_f32_e32 v84, s48, v85
	;; [unrolled: 1-line block ×4, first 2 shown]
	s_clause 0x3
	buffer_load_dword v81, off, s[56:59], 0 offset:16
	buffer_load_dword v82, off, s[56:59], 0 offset:20
	;; [unrolled: 1-line block ×4, first 2 shown]
	v_or_b32_e32 v88, v90, v88
	v_or_b32_e32 v89, v89, v87
	;; [unrolled: 1-line block ×5, first 2 shown]
	v_mul_f32_e32 v87, s48, v88
	v_mul_f32_e32 v88, s48, v89
	;; [unrolled: 1-line block ×4, first 2 shown]
	v_or_b32_e32 v7, v73, v3
	v_or_b32_e32 v73, v94, v92
	;; [unrolled: 1-line block ×5, first 2 shown]
	v_mul_f32_e32 v3, s48, v4
	v_mul_f32_e32 v4, s48, v7
	v_or_b32_e32 v7, v56, v68
	v_or_b32_e32 v8, v55, v67
	;; [unrolled: 1-line block ×4, first 2 shown]
	v_mul_f32_e32 v73, s48, v73
	v_mul_f32_e32 v74, s48, v74
	;; [unrolled: 1-line block ×4, first 2 shown]
	v_or_b32_e32 v15, v62, v66
	v_or_b32_e32 v16, v61, v65
	;; [unrolled: 1-line block ×4, first 2 shown]
	v_mul_f32_e32 v67, s48, v67
	v_mul_f32_e32 v68, s48, v68
	v_or_b32_e32 v5, v20, v18
	v_or_b32_e32 v17, v19, v17
	;; [unrolled: 1-line block ×6, first 2 shown]
	v_mul_f32_e32 v65, s48, v65
	v_mul_f32_e32 v66, s48, v66
	v_or_b32_e32 v61, v110, v108
	v_or_b32_e32 v62, v109, v107
	v_mul_f32_e32 v63, s48, v63
	v_mul_f32_e32 v64, s48, v64
	v_or_b32_e32 v59, v114, v112
	v_mul_f32_e32 v61, s48, v61
	v_mul_f32_e32 v62, s48, v62
	v_or_b32_e32 v60, v113, v111
	v_or_b32_e32 v55, v118, v116
	;; [unrolled: 1-line block ×3, first 2 shown]
	v_mul_f32_e32 v59, s48, v59
	v_or_b32_e32 v53, v121, v119
	v_mul_f32_e32 v60, s48, v60
	v_mul_f32_e32 v55, s48, v55
	;; [unrolled: 1-line block ×3, first 2 shown]
	v_or_b32_e32 v24, v125, v123
	v_or_b32_e32 v51, v122, v120
	v_mul_f32_e32 v53, s48, v53
	v_or_b32_e32 v20, v126, v124
	v_mul_f32_e32 v18, s48, v18
	v_mul_f32_e32 v24, s48, v24
	;; [unrolled: 1-line block ×11, first 2 shown]
	v_or_b32_e32 v11, v69, v11
	v_mul_f32_e32 v11, s48, v11
	s_waitcnt vmcnt(5)
	v_or_b32_e32 v9, v9, v77
	s_waitcnt vmcnt(4)
	v_or_b32_e32 v10, v10, v78
	v_mul_f32_e32 v78, s48, v9
	v_mul_f32_e32 v77, s48, v10
	s_waitcnt vmcnt(0)
	v_or_b32_e32 v9, v86, v82
	v_or_b32_e32 v10, v85, v81
	s_clause 0x3
	buffer_load_dword v85, off, s[56:59], 0
	buffer_load_dword v86, off, s[56:59], 0 offset:4
	buffer_load_dword v89, off, s[56:59], 0 offset:8
	;; [unrolled: 1-line block ×3, first 2 shown]
	v_mul_f32_e32 v81, s48, v9
	v_mul_f32_e32 v82, s48, v10
	s_waitcnt vmcnt(1)
	v_or_b32_e32 v10, v85, v89
	s_waitcnt vmcnt(0)
	v_or_b32_e32 v9, v86, v90
	v_mul_f32_e32 v86, s48, v10
	v_mbcnt_lo_u32_b32 v10, -1, 0
	v_mul_f32_e32 v85, s48, v9
	v_xor_b32_e32 v9, 1, v10
	v_cmp_gt_i32_e64 s2, 32, v9
	v_cndmask_b32_e64 v9, v10, v9, s2
	v_or_b32_e32 v10, v70, v12
	v_mul_f32_e32 v12, v47, v82
	v_lshlrev_b32_e32 v9, 2, v9
	v_mul_f32_e32 v10, s48, v10
	v_fmac_f32_e32 v12, v45, v86
	v_mul_f32_e32 v45, v48, v81
	v_fmac_f32_e32 v12, v41, v78
	v_fmac_f32_e32 v45, v46, v85
	;; [unrolled: 1-line block ×21, first 2 shown]
	s_clause 0x3
	buffer_load_dword v25, off, s[56:59], 0 offset:120
	buffer_load_dword v26, off, s[56:59], 0 offset:124
	buffer_load_dword v27, off, s[56:59], 0 offset:128
	buffer_load_dword v28, off, s[56:59], 0 offset:132
	s_waitcnt vmcnt(3)
	v_fmac_f32_e32 v12, v25, v60
	s_waitcnt vmcnt(2)
	v_fmac_f32_e32 v45, v26, v59
	s_waitcnt vmcnt(1)
	v_fmac_f32_e32 v12, v27, v56
	s_waitcnt vmcnt(0)
	v_fmac_f32_e32 v45, v28, v55
	s_clause 0x3
	buffer_load_dword v25, off, s[56:59], 0 offset:104
	buffer_load_dword v26, off, s[56:59], 0 offset:108
	;; [unrolled: 1-line block ×4, first 2 shown]
	s_waitcnt vmcnt(3)
	v_fmac_f32_e32 v12, v25, v53
	s_waitcnt vmcnt(2)
	v_fmac_f32_e32 v45, v26, v51
	;; [unrolled: 2-line block ×3, first 2 shown]
	s_clause 0x3
	buffer_load_dword v24, off, s[56:59], 0 offset:88
	buffer_load_dword v25, off, s[56:59], 0 offset:92
	;; [unrolled: 1-line block ×4, first 2 shown]
	s_waitcnt vmcnt(4)
	v_fmac_f32_e32 v45, v28, v20
	s_waitcnt vmcnt(3)
	v_fmac_f32_e32 v12, v24, v19
	;; [unrolled: 2-line block ×5, first 2 shown]
	s_clause 0x3
	buffer_load_dword v24, off, s[56:59], 0 offset:72
	buffer_load_dword v25, off, s[56:59], 0 offset:76
	;; [unrolled: 1-line block ×4, first 2 shown]
	s_waitcnt vmcnt(3)
	v_fmac_f32_e32 v12, v24, v8
	s_waitcnt vmcnt(2)
	v_fmac_f32_e32 v45, v25, v7
	;; [unrolled: 2-line block ×4, first 2 shown]
	s_clause 0x3
	buffer_load_dword v24, off, s[56:59], 0 offset:56
	buffer_load_dword v25, off, s[56:59], 0 offset:60
	;; [unrolled: 1-line block ×4, first 2 shown]
	s_waitcnt vmcnt(3)
	v_fmac_f32_e32 v12, v24, v2
	s_waitcnt vmcnt(2)
	v_fmac_f32_e32 v45, v25, v1
	s_clause 0x3
	buffer_load_dword v1, off, s[56:59], 0 offset:40
	buffer_load_dword v2, off, s[56:59], 0 offset:44
	buffer_load_dword v3, off, s[56:59], 0 offset:48
	buffer_load_dword v4, off, s[56:59], 0 offset:52
	s_waitcnt vmcnt(5)
	v_fmac_f32_e32 v12, v26, v14
	s_waitcnt vmcnt(4)
	v_fmac_f32_e32 v45, v27, v13
	;; [unrolled: 2-line block ×6, first 2 shown]
	v_add_f32_e32 v1, v12, v45
	ds_bpermute_b32 v2, v9, v1
	s_and_saveexec_b32 s48, vcc_lo
	s_cbranch_execz .LBB210_11
; %bb.403:                              ;   in Loop: Header=BB210_13 Depth=1
	buffer_load_dword v3, off, s[56:59], 0 offset:156 ; 4-byte Folded Reload
	s_waitcnt lgkmcnt(0)
	v_add_f32_e32 v1, v1, v2
	buffer_load_dword v4, off, s[56:59], 0 offset:136 ; 4-byte Folded Reload
	s_waitcnt vmcnt(1)
	v_add_nc_u32_e32 v3, v3, v71
	v_cvt_f32_i32_e32 v3, v3
	v_mul_f32_e32 v3, s43, v3
	v_cndmask_b32_e64 v2, 0, v3, s1
	v_fmac_f32_e32 v2, s41, v1
	buffer_load_dword v1, off, s[56:59], 0 offset:152 ; 4-byte Folded Reload
	s_waitcnt vmcnt(1)
	v_max_f32_e32 v3, v4, v4
	v_max_f32_e32 v3, v3, v2
	s_waitcnt vmcnt(0)
	v_add_nc_u32_e32 v1, v1, v71
	v_cmp_gt_i32_e64 s2, s31, v1
	v_cndmask_b32_e64 v1, 0, v2, s2
	v_cndmask_b32_e64 v4, v4, v3, s2
	ds_write_b32 v21, v1
	buffer_store_dword v4, off, s[56:59], 0 offset:136 ; 4-byte Folded Spill
	s_branch .LBB210_11
.LBB210_404:
	s_or_b32 exec_lo, exec_lo, s46
	s_clause 0x1
	buffer_load_dword v12, off, s[56:59], 0 offset:164
	buffer_load_dword v3, off, s[56:59], 0 offset:136
.LBB210_405:
	s_or_b32 exec_lo, exec_lo, s45
	v_mbcnt_lo_u32_b32 v6, -1, 0
	v_xor_b32_e32 v0, 16, v6
	v_xor_b32_e32 v1, 8, v6
	v_cmp_gt_i32_e32 vcc_lo, 32, v0
	v_cndmask_b32_e32 v0, v6, v0, vcc_lo
	v_cmp_gt_i32_e32 vcc_lo, 32, v1
	s_waitcnt lgkmcnt(0)
	v_lshlrev_b32_e32 v2, 2, v0
	v_cndmask_b32_e32 v1, v6, v1, vcc_lo
	s_waitcnt vmcnt(0)
	ds_bpermute_b32 v0, v2, v3
	v_max_f32_e32 v3, v3, v3
	v_lshlrev_b32_e32 v4, 2, v1
	s_waitcnt lgkmcnt(0)
	v_max_f32_e32 v0, v0, v0
	v_max_f32_e32 v0, v3, v0
	v_xor_b32_e32 v3, 4, v6
	ds_bpermute_b32 v1, v4, v0
	v_cmp_gt_i32_e32 vcc_lo, 32, v3
	v_cndmask_b32_e32 v3, v6, v3, vcc_lo
	v_lshlrev_b32_e32 v5, 2, v3
	v_xor_b32_e32 v3, 2, v6
	v_cmp_gt_i32_e32 vcc_lo, 32, v3
	s_waitcnt lgkmcnt(0)
	v_max_f32_e32 v1, v1, v1
	v_cndmask_b32_e32 v3, v6, v3, vcc_lo
	buffer_load_dword v6, off, s[56:59], 0 offset:160 ; 4-byte Folded Reload
	v_max_f32_e32 v0, v0, v1
	v_lshlrev_b32_e32 v25, 2, v3
	ds_bpermute_b32 v1, v5, v0
	s_waitcnt lgkmcnt(0)
	v_max_f32_e32 v1, v1, v1
	v_max_f32_e32 v1, v0, v1
	buffer_load_dword v0, off, s[56:59], 0 offset:148 ; 4-byte Folded Reload
	ds_bpermute_b32 v3, v25, v1
	s_waitcnt vmcnt(1)
	v_lshlrev_b32_e32 v6, 2, v6
	s_waitcnt vmcnt(0)
	v_and_b32_e32 v0, 31, v0
	v_cmp_eq_u32_e32 vcc_lo, 0, v0
	s_and_saveexec_b32 s1, vcc_lo
	s_cbranch_execz .LBB210_407
; %bb.406:
	s_waitcnt lgkmcnt(0)
	v_max_f32_e32 v3, v3, v3
	v_max_f32_e32 v1, v1, v1
	v_max_f32_e32 v1, v1, v3
	ds_write_b32 v6, v1 offset:384
.LBB210_407:
	s_or_b32 exec_lo, exec_lo, s1
	v_cmp_gt_u32_e64 s1, 4, v0
	v_mov_b32_e32 v1, 0xff7fffff
	v_lshlrev_b32_e32 v7, 2, v0
	s_waitcnt lgkmcnt(0)
	s_waitcnt_vscnt null, 0x0
	s_barrier
	buffer_gl0_inv
	s_and_saveexec_b32 s2, s1
; %bb.408:
	ds_read_b32 v1, v7 offset:384
; %bb.409:
	s_or_b32 exec_lo, exec_lo, s2
	s_waitcnt lgkmcnt(0)
	ds_bpermute_b32 v3, v25, v1
	v_mbcnt_lo_u32_b32 v9, -1, 0
	v_max_f32_e32 v1, v1, v1
	v_xor_b32_e32 v8, 1, v9
	v_cmp_gt_i32_e64 s2, 32, v8
	v_cndmask_b32_e64 v8, v9, v8, s2
	s_sub_i32 s2, s20, s44
	s_lshl_b32 s2, s2, 4
	s_waitcnt lgkmcnt(0)
	v_max_f32_e32 v3, v3, v3
	v_lshlrev_b32_e32 v26, 2, v8
	v_mov_b32_e32 v8, 0
	s_add_i32 s2, s2, s42
	s_min_i32 s2, s2, s31
	v_max_f32_e32 v1, v1, v3
	s_sub_i32 s4, s2, s42
	ds_bpermute_b32 v3, v26, v1
	s_waitcnt lgkmcnt(0)
	v_max_f32_e32 v3, v3, v3
	v_max_f32_e32 v1, v1, v3
	buffer_load_dword v3, off, s[56:59], 0 offset:148 ; 4-byte Folded Reload
	ds_bpermute_b32 v1, v8, v1
	s_waitcnt vmcnt(0)
	v_cmp_gt_i32_e64 s2, s4, v3
	v_lshl_add_u32 v3, v3, 2, 0x1a0
	s_and_saveexec_b32 s5, s2
	s_cbranch_execz .LBB210_413
; %bb.410:
	buffer_load_dword v10, off, s[56:59], 0 offset:148 ; 4-byte Folded Reload
	v_mov_b32_e32 v8, 0
	s_mov_b32 s12, 0
	s_waitcnt vmcnt(0)
	v_lshl_add_u32 v9, v10, 2, 0x1a0
	.p2align	6
.LBB210_411:                            ; =>This Inner Loop Header: Depth=1
	ds_read_b32 v11, v9
	v_add_nc_u32_e32 v10, 0x80, v10
	v_cmp_le_i32_e64 s3, s4, v10
	s_or_b32 s12, s3, s12
	s_waitcnt lgkmcnt(0)
	v_sub_f32_e32 v11, v11, v1
	v_mul_f32_e32 v11, 0x3fb8aa3b, v11
	v_exp_f32_e32 v11, v11
	ds_write_b32 v9, v11
	v_add_f32_e32 v8, v8, v11
	v_add_nc_u32_e32 v9, 0x200, v9
	s_andn2_b32 exec_lo, exec_lo, s12
	s_cbranch_execnz .LBB210_411
; %bb.412:
	s_or_b32 exec_lo, exec_lo, s12
.LBB210_413:
	s_or_b32 exec_lo, exec_lo, s5
	ds_bpermute_b32 v2, v2, v8
	s_waitcnt lgkmcnt(0)
	v_add_f32_e32 v2, v8, v2
	ds_bpermute_b32 v4, v4, v2
	s_waitcnt lgkmcnt(0)
	v_add_f32_e32 v2, v2, v4
	;; [unrolled: 3-line block ×5, first 2 shown]
	s_and_saveexec_b32 s3, vcc_lo
; %bb.414:
	ds_write_b32 v6, v2 offset:400
; %bb.415:
	s_or_b32 exec_lo, exec_lo, s3
	s_waitcnt lgkmcnt(0)
	s_barrier
	buffer_gl0_inv
	s_and_saveexec_b32 s3, s1
; %bb.416:
	ds_read_b32 v2, v7 offset:400
; %bb.417:
	s_or_b32 exec_lo, exec_lo, s3
	s_waitcnt lgkmcnt(0)
	ds_bpermute_b32 v4, v25, v2
	s_waitcnt lgkmcnt(0)
	v_add_f32_e32 v2, v2, v4
	ds_bpermute_b32 v4, v26, v2
	s_waitcnt lgkmcnt(0)
	v_add_f32_e32 v2, v2, v4
	v_mov_b32_e32 v4, 0
	ds_bpermute_b32 v2, v4, v2
	s_and_saveexec_b32 s1, s2
	s_cbranch_execz .LBB210_420
; %bb.418:
	s_waitcnt lgkmcnt(0)
	v_add_f32_e32 v4, 0x358637bd, v2
	s_mov_b32 s2, 0
	v_div_scale_f32 v5, null, v4, v4, 1.0
	v_div_scale_f32 v8, vcc_lo, 1.0, v4, 1.0
	v_rcp_f32_e32 v6, v5
	v_fma_f32 v7, -v5, v6, 1.0
	v_fmac_f32_e32 v6, v7, v6
	v_mul_f32_e32 v7, v8, v6
	v_fma_f32 v9, -v5, v7, v8
	v_fmac_f32_e32 v7, v9, v6
	v_fma_f32 v5, -v5, v7, v8
	v_div_fmas_f32 v5, v5, v6, v7
	v_div_fixup_f32 v4, v5, v4, 1.0
	buffer_load_dword v5, off, s[56:59], 0 offset:148 ; 4-byte Folded Reload
.LBB210_419:                            ; =>This Inner Loop Header: Depth=1
	ds_read_b32 v6, v3
	s_waitcnt vmcnt(0)
	v_add_nc_u32_e32 v5, 0x80, v5
	v_cmp_le_i32_e32 vcc_lo, s4, v5
	s_or_b32 s2, vcc_lo, s2
	s_waitcnt lgkmcnt(0)
	v_mul_f32_e32 v6, v4, v6
	ds_write_b32 v3, v6
	v_add_nc_u32_e32 v3, 0x200, v3
	s_andn2_b32 exec_lo, exec_lo, s2
	s_cbranch_execnz .LBB210_419
.LBB210_420:
	s_or_b32 exec_lo, exec_lo, s1
	s_waitcnt lgkmcnt(0)
	buffer_load_dword v3, off, s[56:59], 0 offset:148 ; 4-byte Folded Reload
	s_mul_i32 s1, s7, s30
	s_barrier
	s_mul_i32 s2, s1, s9
	s_mov_b32 s1, exec_lo
	s_waitcnt vmcnt(0)
	buffer_gl0_inv
	v_cmpx_eq_u32_e32 0, v3
	s_cbranch_execz .LBB210_422
; %bb.421:
	s_ashr_i32 s3, s2, 31
	s_mul_i32 s12, s7, s6
	s_lshl_b64 s[4:5], s[2:3], 2
	v_mov_b32_e32 v3, 0
	s_add_u32 s3, s26, s4
	s_addc_u32 s6, s27, s5
	s_ashr_i32 s13, s12, 31
	s_lshl_b64 s[12:13], s[12:13], 2
	s_add_u32 s3, s3, s12
	s_addc_u32 s6, s6, s13
	s_ashr_i32 s9, s8, 31
	s_lshl_b64 s[26:27], s[8:9], 2
	s_add_u32 s42, s3, s26
	s_addc_u32 s43, s6, s27
	s_add_u32 s3, s24, s4
	s_addc_u32 s4, s25, s5
	;; [unrolled: 2-line block ×4, first 2 shown]
	global_store_dword v3, v1, s[42:43]
	global_store_dword v3, v2, s[4:5]
.LBB210_422:
	s_or_b32 exec_lo, exec_lo, s1
	buffer_load_dword v1, off, s[56:59], 0 offset:148 ; 4-byte Folded Reload
	v_mov_b32_e32 v38, 0
	v_mov_b32_e32 v39, 0
	;; [unrolled: 1-line block ×12, first 2 shown]
	s_waitcnt vmcnt(0)
	v_and_b32_e32 v27, 3, v1
	s_and_saveexec_b32 s1, s0
	s_cbranch_execz .LBB210_836
; %bb.423:
	s_sub_i32 s3, s40, s21
	s_ashr_i32 s0, s18, 31
	s_add_u32 s5, s38, s18
	s_addc_u32 s0, s39, s0
	s_abs_i32 s4, s22
	v_and_b32_e32 v3, 0x7c, v12
	v_cvt_f32_u32_e32 v1, s4
	s_sub_i32 s6, 0, s4
	v_lshlrev_b32_e32 v5, 4, v27
	s_lshl_b64 s[12:13], s[36:37], 2
	v_add_co_u32 v11, s5, s5, v3
	v_rcp_iflag_f32_e32 v4, v1
	v_lshlrev_b64 v[1:2], 2, v[49:50]
	s_add_i32 s33, s33, -1
	v_and_b32_e32 v40, 12, v12
	v_add_co_ci_u32_e64 v12, null, s0, 0, s5
	s_add_u32 s0, s34, s12
	s_addc_u32 s5, s35, s13
	v_add_co_u32 v13, vcc_lo, s0, v1
	v_mul_f32_e32 v4, 0x4f7ffffe, v4
	v_mov_b32_e32 v6, 0
	v_mov_b32_e32 v41, 0x80
	v_bfrev_b32_e32 v8, 1
	v_mov_b32_e32 v42, 0xffff
	v_cvt_u32_f32_e32 v4, v4
	v_mov_b32_e32 v10, 0x7f800001
	v_mov_b32_e32 v43, 0xff
	;; [unrolled: 1-line block ×4, first 2 shown]
	v_mul_lo_u32 v7, s6, v4
	v_mov_b32_e32 v28, 0
	v_mov_b32_e32 v29, 0
	v_mov_b32_e32 v30, 0
	v_mov_b32_e32 v31, 0
	v_mov_b32_e32 v32, 0
	v_mov_b32_e32 v33, 0
	v_mov_b32_e32 v34, 0
	v_mul_hi_u32 v3, v4, v7
	buffer_load_dword v7, off, s[56:59], 0 offset:160 ; 4-byte Folded Reload
	v_add_co_ci_u32_e64 v14, null, s5, v2, vcc_lo
	v_mov_b32_e32 v35, 0
	v_mov_b32_e32 v36, 0
	;; [unrolled: 1-line block ×4, first 2 shown]
	v_add_nc_u32_e32 v47, v4, v3
	v_mov_b32_e32 v38, 0
	s_mov_b32 s6, s17
	s_mov_b32 s5, 0
	s_waitcnt vmcnt(0)
	v_lshl_or_b32 v5, v7, 6, v5
	v_add_nc_u32_e32 v46, 0x1a0, v5
	s_branch .LBB210_426
.LBB210_424:                            ;   in Loop: Header=BB210_426 Depth=1
	s_or_b32 exec_lo, exec_lo, s0
	v_mul_f32_e32 v16, v1, v94
	v_mul_f32_e32 v17, v1, v92
	;; [unrolled: 1-line block ×5, first 2 shown]
	v_fmac_f32_e32 v16, v2, v93
	v_fmac_f32_e32 v17, v2, v91
	;; [unrolled: 1-line block ×4, first 2 shown]
	v_mul_f32_e32 v21, v1, v76
	v_fmac_f32_e32 v16, v3, v24
	v_fmac_f32_e32 v17, v3, v90
	;; [unrolled: 1-line block ×4, first 2 shown]
	v_mul_f32_e32 v22, v1, v72
	v_fmac_f32_e32 v16, v4, v23
	v_fmac_f32_e32 v17, v4, v89
	;; [unrolled: 1-line block ×5, first 2 shown]
	v_add_f32_e32 v29, v29, v16
	v_add_f32_e32 v30, v30, v17
	;; [unrolled: 1-line block ×4, first 2 shown]
	v_mul_f32_e32 v16, v1, v68
	v_mul_f32_e32 v17, v1, v64
	;; [unrolled: 1-line block ×5, first 2 shown]
	v_fmac_f32_e32 v21, v2, v75
	v_fmac_f32_e32 v22, v2, v71
	;; [unrolled: 1-line block ×23, first 2 shown]
	v_add_f32_e32 v33, v33, v20
	v_add_f32_e32 v34, v34, v21
	;; [unrolled: 1-line block ×8, first 2 shown]
.LBB210_425:                            ;   in Loop: Header=BB210_426 Depth=1
	s_or_b32 exec_lo, exec_lo, s9
	v_add_nc_u32_e32 v49, 4, v49
	v_add_co_u32 v13, s0, v13, 16
	v_add_co_ci_u32_e64 v14, null, 0, v14, s0
	v_cmp_le_i32_e32 vcc_lo, s20, v49
	v_add_nc_u32_e32 v127, 64, v127
	v_add_nc_u32_e32 v46, 0x100, v46
	s_or_b32 s5, vcc_lo, s5
	s_andn2_b32 exec_lo, exec_lo, s5
	s_cbranch_execz .LBB210_835
.LBB210_426:                            ; =>This Inner Loop Header: Depth=1
	v_sub_nc_u32_e32 v1, 0, v127
	v_max_i32_e32 v1, v127, v1
	v_mul_hi_u32 v2, v1, s16
	v_mul_lo_u32 v3, v2, s11
	v_sub_nc_u32_e32 v1, v1, v3
	v_add_nc_u32_e32 v3, 1, v2
	v_subrev_nc_u32_e32 v4, s11, v1
	v_cmp_le_u32_e32 vcc_lo, s11, v1
	v_cndmask_b32_e32 v2, v2, v3, vcc_lo
	v_cndmask_b32_e32 v1, v1, v4, vcc_lo
	v_ashrrev_i32_e32 v3, 31, v127
	v_add_nc_u32_e32 v4, 1, v2
	v_cmp_le_u32_e32 vcc_lo, s11, v1
	v_xor_b32_e32 v3, s23, v3
	v_cndmask_b32_e32 v1, v2, v4, vcc_lo
	v_xor_b32_e32 v1, v1, v3
	v_sub_nc_u32_e32 v1, v1, v3
	v_add_nc_u32_e32 v2, s19, v1
	v_cmp_lt_i32_e64 s0, s3, v1
	v_sub_nc_u32_e32 v3, 0, v2
	v_max_i32_e32 v3, v2, v3
	v_ashrrev_i32_e32 v2, 31, v2
	v_mul_hi_u32 v4, v3, v47
	v_mul_lo_u32 v4, v4, s4
	v_sub_nc_u32_e32 v3, v3, v4
	v_subrev_nc_u32_e32 v4, s4, v3
	v_cmp_le_u32_e32 vcc_lo, s4, v3
	v_cndmask_b32_e32 v3, v3, v4, vcc_lo
	v_subrev_nc_u32_e32 v4, s4, v3
	v_cmp_le_u32_e32 vcc_lo, s4, v3
	v_cndmask_b32_e32 v3, v3, v4, vcc_lo
	v_xor_b32_e32 v3, v3, v2
	v_sub_nc_u32_e32 v2, v3, v2
	v_cmp_eq_u32_e32 vcc_lo, 0, v2
	s_or_b32 s0, vcc_lo, s0
	s_and_saveexec_b32 s9, s0
	s_cbranch_execz .LBB210_425
; %bb.427:                              ;   in Loop: Header=BB210_426 Depth=1
	global_load_dword v1, v[13:14], off
	s_load_dword s12, s[14:15], 0x0
	v_mov_b32_e32 v19, 0
	v_mov_b32_e32 v17, 0
	;; [unrolled: 1-line block ×4, first 2 shown]
	s_waitcnt vmcnt(0)
	v_mad_i64_i32 v[15:16], null, v1, s6, v[11:12]
	ds_read_b128 v[1:4], v46
	global_load_dword v48, v[15:16], off
	s_waitcnt vmcnt(0)
	v_cmp_ne_u16_sdwa s13, v48, v6 src0_sel:BYTE_0 src1_sel:DWORD
	s_and_saveexec_b32 s0, s13
	s_cbranch_execz .LBB210_435
; %bb.428:                              ;   in Loop: Header=BB210_426 Depth=1
	v_bfrev_b32_e32 v17, 1
	v_mov_b32_e32 v18, 0
	v_cmp_ne_u16_sdwa s17, v48, v41 src0_sel:BYTE_0 src1_sel:DWORD
	s_and_saveexec_b32 s13, s17
	s_cbranch_execz .LBB210_434
; %bb.429:                              ;   in Loop: Header=BB210_426 Depth=1
	v_mov_b32_e32 v17, 0x7f800001
	v_and_b32_e32 v9, 0x7f, v48
	v_mov_b32_e32 v18, 0
	s_mov_b32 s17, exec_lo
	v_cmpx_ne_u32_e32 0x7f, v9
	s_cbranch_execz .LBB210_433
; %bb.430:                              ;   in Loop: Header=BB210_426 Depth=1
	v_and_b32_e32 v5, 7, v48
	v_lshrrev_b32_e32 v7, 3, v9
	s_mov_b32 s18, exec_lo
	v_cmpx_gt_u32_e32 8, v9
; %bb.431:                              ;   in Loop: Header=BB210_426 Depth=1
	v_ffbh_u32_e32 v7, v5
	v_min_u32_e32 v7, 32, v7
	v_subrev_nc_u32_e32 v9, 28, v7
	v_sub_nc_u32_e32 v7, 29, v7
	v_lshlrev_b64 v[17:18], v9, v[5:6]
	v_and_b32_e32 v5, 7, v17
; %bb.432:                              ;   in Loop: Header=BB210_426 Depth=1
	s_or_b32 exec_lo, exec_lo, s18
	v_lshlrev_b32_e32 v9, 24, v48
	v_lshlrev_b32_e32 v5, 20, v5
	v_lshl_add_u32 v7, v7, 23, 0x3c000000
	v_and_b32_e32 v9, 0x80000000, v9
	v_or3_b32 v5, v5, v9, v7
	v_mov_b32_e32 v18, v6
	v_mov_b32_e32 v17, v5
.LBB210_433:                            ;   in Loop: Header=BB210_426 Depth=1
	s_or_b32 exec_lo, exec_lo, s17
.LBB210_434:                            ;   in Loop: Header=BB210_426 Depth=1
	s_or_b32 exec_lo, exec_lo, s13
.LBB210_435:                            ;   in Loop: Header=BB210_426 Depth=1
	s_or_b32 exec_lo, exec_lo, s0
	v_cmp_ne_u16_sdwa s13, v48, v6 src0_sel:BYTE_1 src1_sel:DWORD
	s_and_saveexec_b32 s0, s13
	s_cbranch_execz .LBB210_443
; %bb.436:                              ;   in Loop: Header=BB210_426 Depth=1
	v_mov_b32_e32 v7, v6
	v_mov_b32_e32 v20, v8
	v_cmp_ne_u16_sdwa s17, v48, v41 src0_sel:BYTE_1 src1_sel:DWORD
	v_mov_b32_e32 v19, v7
	s_and_saveexec_b32 s13, s17
	s_cbranch_execz .LBB210_442
; %bb.437:                              ;   in Loop: Header=BB210_426 Depth=1
	v_and_b32_sdwa v5, v42, v48 dst_sel:DWORD dst_unused:UNUSED_PAD src0_sel:DWORD src1_sel:BYTE_1
	v_mov_b32_e32 v9, v6
	v_mov_b32_e32 v20, v10
	s_mov_b32 s17, exec_lo
	v_and_b32_e32 v21, 0x7f, v5
	v_mov_b32_e32 v19, v9
	v_cmpx_ne_u32_e32 0x7f, v21
	s_cbranch_execz .LBB210_441
; %bb.438:                              ;   in Loop: Header=BB210_426 Depth=1
	v_and_b32_e32 v5, 7, v5
	v_lshrrev_b32_e32 v7, 3, v21
	s_mov_b32 s18, exec_lo
	v_cmpx_gt_u32_e32 8, v21
; %bb.439:                              ;   in Loop: Header=BB210_426 Depth=1
	v_ffbh_u32_e32 v7, v5
	v_min_u32_e32 v7, 32, v7
	v_subrev_nc_u32_e32 v9, 28, v7
	v_sub_nc_u32_e32 v7, 29, v7
	v_lshlrev_b64 v[19:20], v9, v[5:6]
	v_and_b32_e32 v5, 7, v19
; %bb.440:                              ;   in Loop: Header=BB210_426 Depth=1
	s_or_b32 exec_lo, exec_lo, s18
	v_lshlrev_b32_e32 v9, 16, v48
	v_lshlrev_b32_e32 v5, 20, v5
	v_lshl_add_u32 v7, v7, 23, 0x3c000000
	v_mov_b32_e32 v19, v6
	v_and_b32_e32 v9, 0x80000000, v9
	v_or3_b32 v20, v5, v9, v7
.LBB210_441:                            ;   in Loop: Header=BB210_426 Depth=1
	s_or_b32 exec_lo, exec_lo, s17
.LBB210_442:                            ;   in Loop: Header=BB210_426 Depth=1
	s_or_b32 exec_lo, exec_lo, s13
.LBB210_443:                            ;   in Loop: Header=BB210_426 Depth=1
	s_or_b32 exec_lo, exec_lo, s0
	v_mov_b32_e32 v23, 0
	v_mov_b32_e32 v21, 0
	v_and_b32_sdwa v5, v48, v43 dst_sel:DWORD dst_unused:UNUSED_PAD src0_sel:WORD_1 src1_sel:DWORD
	v_mov_b32_e32 v24, 0
	v_mov_b32_e32 v22, 0
	s_mov_b32 s0, exec_lo
	v_cmpx_ne_u16_e32 0, v5
	s_cbranch_execz .LBB210_451
; %bb.444:                              ;   in Loop: Header=BB210_426 Depth=1
	v_bfrev_b32_e32 v21, 1
	v_mov_b32_e32 v22, 0
	s_mov_b32 s13, exec_lo
	v_cmpx_ne_u16_e32 0x80, v5
	s_cbranch_execz .LBB210_450
; %bb.445:                              ;   in Loop: Header=BB210_426 Depth=1
	v_mov_b32_e32 v21, 0x7f800001
	v_bfe_u32 v9, v48, 16, 7
	v_mov_b32_e32 v22, 0
	s_mov_b32 s17, exec_lo
	v_cmpx_ne_u32_e32 0x7f, v9
	s_cbranch_execz .LBB210_449
; %bb.446:                              ;   in Loop: Header=BB210_426 Depth=1
	v_and_b32_sdwa v5, v48, v44 dst_sel:DWORD dst_unused:UNUSED_PAD src0_sel:WORD_1 src1_sel:DWORD
	v_lshrrev_b32_e32 v7, 3, v9
	s_mov_b32 s18, exec_lo
	v_cmpx_gt_u32_e32 8, v9
; %bb.447:                              ;   in Loop: Header=BB210_426 Depth=1
	v_ffbh_u32_e32 v7, v5
	v_min_u32_e32 v7, 32, v7
	v_subrev_nc_u32_e32 v9, 28, v7
	v_sub_nc_u32_e32 v7, 29, v7
	v_lshlrev_b64 v[21:22], v9, v[5:6]
	v_and_b32_e32 v5, 7, v21
; %bb.448:                              ;   in Loop: Header=BB210_426 Depth=1
	s_or_b32 exec_lo, exec_lo, s18
	v_lshlrev_b32_sdwa v9, v45, v48 dst_sel:DWORD dst_unused:UNUSED_PAD src0_sel:DWORD src1_sel:WORD_1
	v_lshlrev_b32_e32 v5, 20, v5
	v_lshl_add_u32 v7, v7, 23, 0x3c000000
	v_and_b32_e32 v9, 0x80000000, v9
	v_or3_b32 v5, v5, v9, v7
	v_mov_b32_e32 v22, v6
	v_mov_b32_e32 v21, v5
.LBB210_449:                            ;   in Loop: Header=BB210_426 Depth=1
	s_or_b32 exec_lo, exec_lo, s17
.LBB210_450:                            ;   in Loop: Header=BB210_426 Depth=1
	s_or_b32 exec_lo, exec_lo, s13
.LBB210_451:                            ;   in Loop: Header=BB210_426 Depth=1
	s_or_b32 exec_lo, exec_lo, s0
	s_mov_b32 s0, exec_lo
	v_cmpx_lt_u32_e32 0xffffff, v48
	s_cbranch_execz .LBB210_459
; %bb.452:                              ;   in Loop: Header=BB210_426 Depth=1
	v_mov_b32_e32 v7, v6
	v_mov_b32_e32 v24, v8
	v_cmp_ne_u32_sdwa s17, v48, v41 src0_sel:BYTE_3 src1_sel:DWORD
	v_mov_b32_e32 v23, v7
	s_and_saveexec_b32 s13, s17
	s_cbranch_execz .LBB210_458
; %bb.453:                              ;   in Loop: Header=BB210_426 Depth=1
	v_mov_b32_e32 v9, v6
	v_mov_b32_e32 v24, v10
	v_bfe_u32 v50, v48, 24, 7
	s_mov_b32 s17, exec_lo
	v_mov_b32_e32 v23, v9
	v_cmpx_ne_u32_e32 0x7f, v50
	s_cbranch_execz .LBB210_457
; %bb.454:                              ;   in Loop: Header=BB210_426 Depth=1
	v_and_b32_sdwa v5, v48, v44 dst_sel:DWORD dst_unused:UNUSED_PAD src0_sel:BYTE_3 src1_sel:DWORD
	v_lshrrev_b32_e32 v7, 3, v50
	s_mov_b32 s18, exec_lo
	v_cmpx_gt_u32_e32 8, v50
; %bb.455:                              ;   in Loop: Header=BB210_426 Depth=1
	v_ffbh_u32_e32 v7, v5
	v_min_u32_e32 v7, 32, v7
	v_subrev_nc_u32_e32 v9, 28, v7
	v_sub_nc_u32_e32 v7, 29, v7
	v_lshlrev_b64 v[23:24], v9, v[5:6]
	v_and_b32_e32 v5, 7, v23
; %bb.456:                              ;   in Loop: Header=BB210_426 Depth=1
	s_or_b32 exec_lo, exec_lo, s18
	v_lshlrev_b32_sdwa v9, v45, v48 dst_sel:DWORD dst_unused:UNUSED_PAD src0_sel:DWORD src1_sel:BYTE_3
	v_lshlrev_b32_e32 v5, 20, v5
	v_lshl_add_u32 v7, v7, 23, 0x3c000000
	v_mov_b32_e32 v23, v6
	v_and_b32_e32 v9, 0x80000000, v9
	v_or3_b32 v24, v5, v9, v7
.LBB210_457:                            ;   in Loop: Header=BB210_426 Depth=1
	s_or_b32 exec_lo, exec_lo, s17
.LBB210_458:                            ;   in Loop: Header=BB210_426 Depth=1
	s_or_b32 exec_lo, exec_lo, s13
.LBB210_459:                            ;   in Loop: Header=BB210_426 Depth=1
	s_or_b32 exec_lo, exec_lo, s0
	v_add_nc_u32_e32 v53, v40, v127
	v_or_b32_e32 v5, v20, v18
	v_or_b32_e32 v7, v19, v17
	;; [unrolled: 1-line block ×4, first 2 shown]
	v_cmp_eq_u32_e32 vcc_lo, s33, v49
	s_waitcnt lgkmcnt(0)
	v_mul_f32_e32 v51, s12, v5
	v_mul_f32_e32 v52, s12, v7
	v_mul_f32_e32 v50, s12, v9
	v_mul_f32_e32 v48, s12, v17
	v_add_nc_u32_e32 v56, 1, v53
	v_add_nc_u32_e32 v55, 2, v53
	;; [unrolled: 1-line block ×3, first 2 shown]
	s_and_saveexec_b32 s13, vcc_lo
	s_cbranch_execz .LBB210_461
; %bb.460:                              ;   in Loop: Header=BB210_426 Depth=1
	v_cmp_gt_i32_e64 s0, s31, v53
	v_cndmask_b32_e64 v52, 0, v52, s0
	v_cmp_gt_i32_e64 s0, s31, v56
	v_cndmask_b32_e64 v51, 0, v51, s0
	;; [unrolled: 2-line block ×4, first 2 shown]
.LBB210_461:                            ;   in Loop: Header=BB210_426 Depth=1
	s_or_b32 exec_lo, exec_lo, s13
	global_load_dword v57, v[15:16], off offset:128
	v_mov_b32_e32 v19, 0
	v_mov_b32_e32 v17, 0
	;; [unrolled: 1-line block ×4, first 2 shown]
	s_waitcnt vmcnt(0)
	v_cmp_ne_u16_sdwa s0, v57, v6 src0_sel:BYTE_0 src1_sel:DWORD
	s_and_saveexec_b32 s13, s0
	s_cbranch_execz .LBB210_469
; %bb.462:                              ;   in Loop: Header=BB210_426 Depth=1
	v_bfrev_b32_e32 v17, 1
	v_mov_b32_e32 v18, 0
	v_cmp_ne_u16_sdwa s0, v57, v41 src0_sel:BYTE_0 src1_sel:DWORD
	s_and_saveexec_b32 s17, s0
	s_cbranch_execz .LBB210_468
; %bb.463:                              ;   in Loop: Header=BB210_426 Depth=1
	v_mov_b32_e32 v17, 0x7f800001
	v_and_b32_e32 v9, 0x7f, v57
	v_mov_b32_e32 v18, 0
	s_mov_b32 s18, exec_lo
	v_cmpx_ne_u32_e32 0x7f, v9
	s_cbranch_execz .LBB210_467
; %bb.464:                              ;   in Loop: Header=BB210_426 Depth=1
	v_and_b32_e32 v5, 7, v57
	v_lshrrev_b32_e32 v7, 3, v9
	s_mov_b32 s21, exec_lo
	v_cmpx_gt_u32_e32 8, v9
; %bb.465:                              ;   in Loop: Header=BB210_426 Depth=1
	v_ffbh_u32_e32 v7, v5
	v_min_u32_e32 v7, 32, v7
	v_subrev_nc_u32_e32 v9, 28, v7
	v_sub_nc_u32_e32 v7, 29, v7
	v_lshlrev_b64 v[17:18], v9, v[5:6]
	v_and_b32_e32 v5, 7, v17
; %bb.466:                              ;   in Loop: Header=BB210_426 Depth=1
	s_or_b32 exec_lo, exec_lo, s21
	v_lshlrev_b32_e32 v9, 24, v57
	v_lshlrev_b32_e32 v5, 20, v5
	v_lshl_add_u32 v7, v7, 23, 0x3c000000
	v_and_b32_e32 v9, 0x80000000, v9
	v_or3_b32 v5, v5, v9, v7
	v_mov_b32_e32 v18, v6
	v_mov_b32_e32 v17, v5
.LBB210_467:                            ;   in Loop: Header=BB210_426 Depth=1
	s_or_b32 exec_lo, exec_lo, s18
.LBB210_468:                            ;   in Loop: Header=BB210_426 Depth=1
	s_or_b32 exec_lo, exec_lo, s17
.LBB210_469:                            ;   in Loop: Header=BB210_426 Depth=1
	s_or_b32 exec_lo, exec_lo, s13
	v_cmp_ne_u16_sdwa s0, v57, v6 src0_sel:BYTE_1 src1_sel:DWORD
	s_and_saveexec_b32 s13, s0
	s_cbranch_execz .LBB210_477
; %bb.470:                              ;   in Loop: Header=BB210_426 Depth=1
	v_mov_b32_e32 v7, v6
	v_mov_b32_e32 v20, v8
	v_cmp_ne_u16_sdwa s0, v57, v41 src0_sel:BYTE_1 src1_sel:DWORD
	v_mov_b32_e32 v19, v7
	s_and_saveexec_b32 s17, s0
	s_cbranch_execz .LBB210_476
; %bb.471:                              ;   in Loop: Header=BB210_426 Depth=1
	v_and_b32_sdwa v5, v42, v57 dst_sel:DWORD dst_unused:UNUSED_PAD src0_sel:DWORD src1_sel:BYTE_1
	v_mov_b32_e32 v9, v6
	v_mov_b32_e32 v20, v10
	s_mov_b32 s18, exec_lo
	v_and_b32_e32 v21, 0x7f, v5
	v_mov_b32_e32 v19, v9
	v_cmpx_ne_u32_e32 0x7f, v21
	s_cbranch_execz .LBB210_475
; %bb.472:                              ;   in Loop: Header=BB210_426 Depth=1
	v_and_b32_e32 v5, 7, v5
	v_lshrrev_b32_e32 v7, 3, v21
	s_mov_b32 s21, exec_lo
	v_cmpx_gt_u32_e32 8, v21
; %bb.473:                              ;   in Loop: Header=BB210_426 Depth=1
	v_ffbh_u32_e32 v7, v5
	v_min_u32_e32 v7, 32, v7
	v_subrev_nc_u32_e32 v9, 28, v7
	v_sub_nc_u32_e32 v7, 29, v7
	v_lshlrev_b64 v[19:20], v9, v[5:6]
	v_and_b32_e32 v5, 7, v19
; %bb.474:                              ;   in Loop: Header=BB210_426 Depth=1
	s_or_b32 exec_lo, exec_lo, s21
	v_lshlrev_b32_e32 v9, 16, v57
	v_lshlrev_b32_e32 v5, 20, v5
	v_lshl_add_u32 v7, v7, 23, 0x3c000000
	v_mov_b32_e32 v19, v6
	v_and_b32_e32 v9, 0x80000000, v9
	v_or3_b32 v20, v5, v9, v7
.LBB210_475:                            ;   in Loop: Header=BB210_426 Depth=1
	s_or_b32 exec_lo, exec_lo, s18
.LBB210_476:                            ;   in Loop: Header=BB210_426 Depth=1
	s_or_b32 exec_lo, exec_lo, s17
.LBB210_477:                            ;   in Loop: Header=BB210_426 Depth=1
	s_or_b32 exec_lo, exec_lo, s13
	v_mov_b32_e32 v23, 0
	v_mov_b32_e32 v21, 0
	v_and_b32_sdwa v5, v57, v43 dst_sel:DWORD dst_unused:UNUSED_PAD src0_sel:WORD_1 src1_sel:DWORD
	v_mov_b32_e32 v24, 0
	v_mov_b32_e32 v22, 0
	s_mov_b32 s13, exec_lo
	v_cmpx_ne_u16_e32 0, v5
	s_cbranch_execz .LBB210_485
; %bb.478:                              ;   in Loop: Header=BB210_426 Depth=1
	v_bfrev_b32_e32 v21, 1
	v_mov_b32_e32 v22, 0
	s_mov_b32 s17, exec_lo
	v_cmpx_ne_u16_e32 0x80, v5
	s_cbranch_execz .LBB210_484
; %bb.479:                              ;   in Loop: Header=BB210_426 Depth=1
	v_mov_b32_e32 v21, 0x7f800001
	v_bfe_u32 v9, v57, 16, 7
	v_mov_b32_e32 v22, 0
	s_mov_b32 s18, exec_lo
	v_cmpx_ne_u32_e32 0x7f, v9
	s_cbranch_execz .LBB210_483
; %bb.480:                              ;   in Loop: Header=BB210_426 Depth=1
	v_and_b32_sdwa v5, v57, v44 dst_sel:DWORD dst_unused:UNUSED_PAD src0_sel:WORD_1 src1_sel:DWORD
	v_lshrrev_b32_e32 v7, 3, v9
	s_mov_b32 s21, exec_lo
	v_cmpx_gt_u32_e32 8, v9
; %bb.481:                              ;   in Loop: Header=BB210_426 Depth=1
	v_ffbh_u32_e32 v7, v5
	v_min_u32_e32 v7, 32, v7
	v_subrev_nc_u32_e32 v9, 28, v7
	v_sub_nc_u32_e32 v7, 29, v7
	v_lshlrev_b64 v[21:22], v9, v[5:6]
	v_and_b32_e32 v5, 7, v21
; %bb.482:                              ;   in Loop: Header=BB210_426 Depth=1
	s_or_b32 exec_lo, exec_lo, s21
	v_lshlrev_b32_sdwa v9, v45, v57 dst_sel:DWORD dst_unused:UNUSED_PAD src0_sel:DWORD src1_sel:WORD_1
	v_lshlrev_b32_e32 v5, 20, v5
	v_lshl_add_u32 v7, v7, 23, 0x3c000000
	v_and_b32_e32 v9, 0x80000000, v9
	v_or3_b32 v5, v5, v9, v7
	v_mov_b32_e32 v22, v6
	v_mov_b32_e32 v21, v5
.LBB210_483:                            ;   in Loop: Header=BB210_426 Depth=1
	s_or_b32 exec_lo, exec_lo, s18
.LBB210_484:                            ;   in Loop: Header=BB210_426 Depth=1
	s_or_b32 exec_lo, exec_lo, s17
.LBB210_485:                            ;   in Loop: Header=BB210_426 Depth=1
	s_or_b32 exec_lo, exec_lo, s13
	s_mov_b32 s13, exec_lo
	v_cmpx_lt_u32_e32 0xffffff, v57
	s_cbranch_execz .LBB210_493
; %bb.486:                              ;   in Loop: Header=BB210_426 Depth=1
	v_mov_b32_e32 v7, v6
	v_mov_b32_e32 v24, v8
	v_cmp_ne_u32_sdwa s0, v57, v41 src0_sel:BYTE_3 src1_sel:DWORD
	v_mov_b32_e32 v23, v7
	s_and_saveexec_b32 s17, s0
	s_cbranch_execz .LBB210_492
; %bb.487:                              ;   in Loop: Header=BB210_426 Depth=1
	v_mov_b32_e32 v9, v6
	v_mov_b32_e32 v24, v10
	v_bfe_u32 v58, v57, 24, 7
	s_mov_b32 s18, exec_lo
	v_mov_b32_e32 v23, v9
	v_cmpx_ne_u32_e32 0x7f, v58
	s_cbranch_execz .LBB210_491
; %bb.488:                              ;   in Loop: Header=BB210_426 Depth=1
	v_and_b32_sdwa v5, v57, v44 dst_sel:DWORD dst_unused:UNUSED_PAD src0_sel:BYTE_3 src1_sel:DWORD
	v_lshrrev_b32_e32 v7, 3, v58
	s_mov_b32 s21, exec_lo
	v_cmpx_gt_u32_e32 8, v58
; %bb.489:                              ;   in Loop: Header=BB210_426 Depth=1
	v_ffbh_u32_e32 v7, v5
	v_min_u32_e32 v7, 32, v7
	v_subrev_nc_u32_e32 v9, 28, v7
	v_sub_nc_u32_e32 v7, 29, v7
	v_lshlrev_b64 v[23:24], v9, v[5:6]
	v_and_b32_e32 v5, 7, v23
; %bb.490:                              ;   in Loop: Header=BB210_426 Depth=1
	s_or_b32 exec_lo, exec_lo, s21
	v_lshlrev_b32_sdwa v9, v45, v57 dst_sel:DWORD dst_unused:UNUSED_PAD src0_sel:DWORD src1_sel:BYTE_3
	v_lshlrev_b32_e32 v5, 20, v5
	v_lshl_add_u32 v7, v7, 23, 0x3c000000
	v_mov_b32_e32 v23, v6
	v_and_b32_e32 v9, 0x80000000, v9
	v_or3_b32 v24, v5, v9, v7
.LBB210_491:                            ;   in Loop: Header=BB210_426 Depth=1
	s_or_b32 exec_lo, exec_lo, s18
.LBB210_492:                            ;   in Loop: Header=BB210_426 Depth=1
	s_or_b32 exec_lo, exec_lo, s17
.LBB210_493:                            ;   in Loop: Header=BB210_426 Depth=1
	s_or_b32 exec_lo, exec_lo, s13
	v_or_b32_e32 v5, v20, v18
	v_or_b32_e32 v7, v19, v17
	;; [unrolled: 1-line block ×4, first 2 shown]
	s_mov_b32 s13, s12
	v_mul_f32_e32 v59, s13, v5
	v_mul_f32_e32 v60, s12, v7
	;; [unrolled: 1-line block ×4, first 2 shown]
	s_and_saveexec_b32 s17, vcc_lo
	s_cbranch_execz .LBB210_495
; %bb.494:                              ;   in Loop: Header=BB210_426 Depth=1
	v_cmp_gt_i32_e64 s0, s31, v53
	v_cndmask_b32_e64 v60, 0, v60, s0
	v_cmp_gt_i32_e64 s0, s31, v56
	v_cndmask_b32_e64 v59, 0, v59, s0
	;; [unrolled: 2-line block ×4, first 2 shown]
.LBB210_495:                            ;   in Loop: Header=BB210_426 Depth=1
	s_or_b32 exec_lo, exec_lo, s17
	global_load_dword v61, v[15:16], off offset:256
	v_mov_b32_e32 v19, 0
	v_mov_b32_e32 v17, 0
	v_mov_b32_e32 v20, 0
	v_mov_b32_e32 v18, 0
	s_waitcnt vmcnt(0)
	v_cmp_ne_u16_sdwa s0, v61, v6 src0_sel:BYTE_0 src1_sel:DWORD
	s_and_saveexec_b32 s17, s0
	s_cbranch_execz .LBB210_503
; %bb.496:                              ;   in Loop: Header=BB210_426 Depth=1
	v_bfrev_b32_e32 v17, 1
	v_mov_b32_e32 v18, 0
	v_cmp_ne_u16_sdwa s0, v61, v41 src0_sel:BYTE_0 src1_sel:DWORD
	s_and_saveexec_b32 s18, s0
	s_cbranch_execz .LBB210_502
; %bb.497:                              ;   in Loop: Header=BB210_426 Depth=1
	v_mov_b32_e32 v17, 0x7f800001
	v_and_b32_e32 v9, 0x7f, v61
	v_mov_b32_e32 v18, 0
	s_mov_b32 s21, exec_lo
	v_cmpx_ne_u32_e32 0x7f, v9
	s_cbranch_execz .LBB210_501
; %bb.498:                              ;   in Loop: Header=BB210_426 Depth=1
	v_and_b32_e32 v5, 7, v61
	v_lshrrev_b32_e32 v7, 3, v9
	s_mov_b32 s22, exec_lo
	v_cmpx_gt_u32_e32 8, v9
; %bb.499:                              ;   in Loop: Header=BB210_426 Depth=1
	v_ffbh_u32_e32 v7, v5
	v_min_u32_e32 v7, 32, v7
	v_subrev_nc_u32_e32 v9, 28, v7
	v_sub_nc_u32_e32 v7, 29, v7
	v_lshlrev_b64 v[17:18], v9, v[5:6]
	v_and_b32_e32 v5, 7, v17
; %bb.500:                              ;   in Loop: Header=BB210_426 Depth=1
	s_or_b32 exec_lo, exec_lo, s22
	v_lshlrev_b32_e32 v9, 24, v61
	v_lshlrev_b32_e32 v5, 20, v5
	v_lshl_add_u32 v7, v7, 23, 0x3c000000
	v_and_b32_e32 v9, 0x80000000, v9
	v_or3_b32 v5, v5, v9, v7
	v_mov_b32_e32 v18, v6
	v_mov_b32_e32 v17, v5
.LBB210_501:                            ;   in Loop: Header=BB210_426 Depth=1
	s_or_b32 exec_lo, exec_lo, s21
.LBB210_502:                            ;   in Loop: Header=BB210_426 Depth=1
	s_or_b32 exec_lo, exec_lo, s18
.LBB210_503:                            ;   in Loop: Header=BB210_426 Depth=1
	s_or_b32 exec_lo, exec_lo, s17
	v_cmp_ne_u16_sdwa s0, v61, v6 src0_sel:BYTE_1 src1_sel:DWORD
	s_and_saveexec_b32 s17, s0
	s_cbranch_execz .LBB210_511
; %bb.504:                              ;   in Loop: Header=BB210_426 Depth=1
	v_mov_b32_e32 v7, v6
	v_mov_b32_e32 v20, v8
	v_cmp_ne_u16_sdwa s0, v61, v41 src0_sel:BYTE_1 src1_sel:DWORD
	v_mov_b32_e32 v19, v7
	s_and_saveexec_b32 s18, s0
	s_cbranch_execz .LBB210_510
; %bb.505:                              ;   in Loop: Header=BB210_426 Depth=1
	v_and_b32_sdwa v5, v42, v61 dst_sel:DWORD dst_unused:UNUSED_PAD src0_sel:DWORD src1_sel:BYTE_1
	v_mov_b32_e32 v9, v6
	v_mov_b32_e32 v20, v10
	s_mov_b32 s21, exec_lo
	v_and_b32_e32 v21, 0x7f, v5
	v_mov_b32_e32 v19, v9
	v_cmpx_ne_u32_e32 0x7f, v21
	s_cbranch_execz .LBB210_509
; %bb.506:                              ;   in Loop: Header=BB210_426 Depth=1
	v_and_b32_e32 v5, 7, v5
	v_lshrrev_b32_e32 v7, 3, v21
	s_mov_b32 s22, exec_lo
	v_cmpx_gt_u32_e32 8, v21
; %bb.507:                              ;   in Loop: Header=BB210_426 Depth=1
	v_ffbh_u32_e32 v7, v5
	v_min_u32_e32 v7, 32, v7
	v_subrev_nc_u32_e32 v9, 28, v7
	v_sub_nc_u32_e32 v7, 29, v7
	v_lshlrev_b64 v[19:20], v9, v[5:6]
	v_and_b32_e32 v5, 7, v19
; %bb.508:                              ;   in Loop: Header=BB210_426 Depth=1
	s_or_b32 exec_lo, exec_lo, s22
	v_lshlrev_b32_e32 v9, 16, v61
	v_lshlrev_b32_e32 v5, 20, v5
	v_lshl_add_u32 v7, v7, 23, 0x3c000000
	v_mov_b32_e32 v19, v6
	v_and_b32_e32 v9, 0x80000000, v9
	v_or3_b32 v20, v5, v9, v7
.LBB210_509:                            ;   in Loop: Header=BB210_426 Depth=1
	s_or_b32 exec_lo, exec_lo, s21
.LBB210_510:                            ;   in Loop: Header=BB210_426 Depth=1
	s_or_b32 exec_lo, exec_lo, s18
.LBB210_511:                            ;   in Loop: Header=BB210_426 Depth=1
	s_or_b32 exec_lo, exec_lo, s17
	v_mov_b32_e32 v23, 0
	v_mov_b32_e32 v21, 0
	v_and_b32_sdwa v5, v61, v43 dst_sel:DWORD dst_unused:UNUSED_PAD src0_sel:WORD_1 src1_sel:DWORD
	v_mov_b32_e32 v24, 0
	v_mov_b32_e32 v22, 0
	s_mov_b32 s17, exec_lo
	v_cmpx_ne_u16_e32 0, v5
	s_cbranch_execz .LBB210_519
; %bb.512:                              ;   in Loop: Header=BB210_426 Depth=1
	v_bfrev_b32_e32 v21, 1
	v_mov_b32_e32 v22, 0
	s_mov_b32 s18, exec_lo
	v_cmpx_ne_u16_e32 0x80, v5
	s_cbranch_execz .LBB210_518
; %bb.513:                              ;   in Loop: Header=BB210_426 Depth=1
	v_mov_b32_e32 v21, 0x7f800001
	v_bfe_u32 v9, v61, 16, 7
	v_mov_b32_e32 v22, 0
	s_mov_b32 s21, exec_lo
	v_cmpx_ne_u32_e32 0x7f, v9
	s_cbranch_execz .LBB210_517
; %bb.514:                              ;   in Loop: Header=BB210_426 Depth=1
	v_and_b32_sdwa v5, v61, v44 dst_sel:DWORD dst_unused:UNUSED_PAD src0_sel:WORD_1 src1_sel:DWORD
	v_lshrrev_b32_e32 v7, 3, v9
	s_mov_b32 s22, exec_lo
	v_cmpx_gt_u32_e32 8, v9
; %bb.515:                              ;   in Loop: Header=BB210_426 Depth=1
	v_ffbh_u32_e32 v7, v5
	v_min_u32_e32 v7, 32, v7
	v_subrev_nc_u32_e32 v9, 28, v7
	v_sub_nc_u32_e32 v7, 29, v7
	v_lshlrev_b64 v[21:22], v9, v[5:6]
	v_and_b32_e32 v5, 7, v21
; %bb.516:                              ;   in Loop: Header=BB210_426 Depth=1
	s_or_b32 exec_lo, exec_lo, s22
	v_lshlrev_b32_sdwa v9, v45, v61 dst_sel:DWORD dst_unused:UNUSED_PAD src0_sel:DWORD src1_sel:WORD_1
	v_lshlrev_b32_e32 v5, 20, v5
	v_lshl_add_u32 v7, v7, 23, 0x3c000000
	v_and_b32_e32 v9, 0x80000000, v9
	v_or3_b32 v5, v5, v9, v7
	v_mov_b32_e32 v22, v6
	v_mov_b32_e32 v21, v5
.LBB210_517:                            ;   in Loop: Header=BB210_426 Depth=1
	s_or_b32 exec_lo, exec_lo, s21
.LBB210_518:                            ;   in Loop: Header=BB210_426 Depth=1
	s_or_b32 exec_lo, exec_lo, s18
.LBB210_519:                            ;   in Loop: Header=BB210_426 Depth=1
	s_or_b32 exec_lo, exec_lo, s17
	s_mov_b32 s17, exec_lo
	v_cmpx_lt_u32_e32 0xffffff, v61
	s_cbranch_execz .LBB210_527
; %bb.520:                              ;   in Loop: Header=BB210_426 Depth=1
	v_mov_b32_e32 v7, v6
	v_mov_b32_e32 v24, v8
	v_cmp_ne_u32_sdwa s0, v61, v41 src0_sel:BYTE_3 src1_sel:DWORD
	v_mov_b32_e32 v23, v7
	s_and_saveexec_b32 s18, s0
	s_cbranch_execz .LBB210_526
; %bb.521:                              ;   in Loop: Header=BB210_426 Depth=1
	v_mov_b32_e32 v9, v6
	v_mov_b32_e32 v24, v10
	v_bfe_u32 v62, v61, 24, 7
	s_mov_b32 s21, exec_lo
	v_mov_b32_e32 v23, v9
	v_cmpx_ne_u32_e32 0x7f, v62
	s_cbranch_execz .LBB210_525
; %bb.522:                              ;   in Loop: Header=BB210_426 Depth=1
	v_and_b32_sdwa v5, v61, v44 dst_sel:DWORD dst_unused:UNUSED_PAD src0_sel:BYTE_3 src1_sel:DWORD
	v_lshrrev_b32_e32 v7, 3, v62
	s_mov_b32 s22, exec_lo
	v_cmpx_gt_u32_e32 8, v62
; %bb.523:                              ;   in Loop: Header=BB210_426 Depth=1
	v_ffbh_u32_e32 v7, v5
	v_min_u32_e32 v7, 32, v7
	v_subrev_nc_u32_e32 v9, 28, v7
	v_sub_nc_u32_e32 v7, 29, v7
	v_lshlrev_b64 v[23:24], v9, v[5:6]
	v_and_b32_e32 v5, 7, v23
; %bb.524:                              ;   in Loop: Header=BB210_426 Depth=1
	s_or_b32 exec_lo, exec_lo, s22
	v_lshlrev_b32_sdwa v9, v45, v61 dst_sel:DWORD dst_unused:UNUSED_PAD src0_sel:DWORD src1_sel:BYTE_3
	v_lshlrev_b32_e32 v5, 20, v5
	v_lshl_add_u32 v7, v7, 23, 0x3c000000
	v_mov_b32_e32 v23, v6
	v_and_b32_e32 v9, 0x80000000, v9
	v_or3_b32 v24, v5, v9, v7
.LBB210_525:                            ;   in Loop: Header=BB210_426 Depth=1
	s_or_b32 exec_lo, exec_lo, s21
.LBB210_526:                            ;   in Loop: Header=BB210_426 Depth=1
	s_or_b32 exec_lo, exec_lo, s18
.LBB210_527:                            ;   in Loop: Header=BB210_426 Depth=1
	s_or_b32 exec_lo, exec_lo, s17
	v_or_b32_e32 v5, v20, v18
	v_or_b32_e32 v7, v19, v17
	;; [unrolled: 1-line block ×4, first 2 shown]
	v_mul_f32_e32 v63, s13, v5
	v_mul_f32_e32 v64, s12, v7
	;; [unrolled: 1-line block ×4, first 2 shown]
	s_and_saveexec_b32 s17, vcc_lo
	s_cbranch_execz .LBB210_529
; %bb.528:                              ;   in Loop: Header=BB210_426 Depth=1
	v_cmp_gt_i32_e64 s0, s31, v53
	v_cndmask_b32_e64 v64, 0, v64, s0
	v_cmp_gt_i32_e64 s0, s31, v56
	v_cndmask_b32_e64 v63, 0, v63, s0
	;; [unrolled: 2-line block ×4, first 2 shown]
.LBB210_529:                            ;   in Loop: Header=BB210_426 Depth=1
	s_or_b32 exec_lo, exec_lo, s17
	global_load_dword v65, v[15:16], off offset:384
	v_mov_b32_e32 v19, 0
	v_mov_b32_e32 v17, 0
	;; [unrolled: 1-line block ×4, first 2 shown]
	s_waitcnt vmcnt(0)
	v_cmp_ne_u16_sdwa s0, v65, v6 src0_sel:BYTE_0 src1_sel:DWORD
	s_and_saveexec_b32 s17, s0
	s_cbranch_execz .LBB210_537
; %bb.530:                              ;   in Loop: Header=BB210_426 Depth=1
	v_bfrev_b32_e32 v17, 1
	v_mov_b32_e32 v18, 0
	v_cmp_ne_u16_sdwa s0, v65, v41 src0_sel:BYTE_0 src1_sel:DWORD
	s_and_saveexec_b32 s18, s0
	s_cbranch_execz .LBB210_536
; %bb.531:                              ;   in Loop: Header=BB210_426 Depth=1
	v_mov_b32_e32 v17, 0x7f800001
	v_and_b32_e32 v9, 0x7f, v65
	v_mov_b32_e32 v18, 0
	s_mov_b32 s21, exec_lo
	v_cmpx_ne_u32_e32 0x7f, v9
	s_cbranch_execz .LBB210_535
; %bb.532:                              ;   in Loop: Header=BB210_426 Depth=1
	v_and_b32_e32 v5, 7, v65
	v_lshrrev_b32_e32 v7, 3, v9
	s_mov_b32 s22, exec_lo
	v_cmpx_gt_u32_e32 8, v9
; %bb.533:                              ;   in Loop: Header=BB210_426 Depth=1
	v_ffbh_u32_e32 v7, v5
	v_min_u32_e32 v7, 32, v7
	v_subrev_nc_u32_e32 v9, 28, v7
	v_sub_nc_u32_e32 v7, 29, v7
	v_lshlrev_b64 v[17:18], v9, v[5:6]
	v_and_b32_e32 v5, 7, v17
; %bb.534:                              ;   in Loop: Header=BB210_426 Depth=1
	s_or_b32 exec_lo, exec_lo, s22
	v_lshlrev_b32_e32 v9, 24, v65
	v_lshlrev_b32_e32 v5, 20, v5
	v_lshl_add_u32 v7, v7, 23, 0x3c000000
	v_and_b32_e32 v9, 0x80000000, v9
	v_or3_b32 v5, v5, v9, v7
	v_mov_b32_e32 v18, v6
	v_mov_b32_e32 v17, v5
.LBB210_535:                            ;   in Loop: Header=BB210_426 Depth=1
	s_or_b32 exec_lo, exec_lo, s21
.LBB210_536:                            ;   in Loop: Header=BB210_426 Depth=1
	s_or_b32 exec_lo, exec_lo, s18
.LBB210_537:                            ;   in Loop: Header=BB210_426 Depth=1
	s_or_b32 exec_lo, exec_lo, s17
	v_cmp_ne_u16_sdwa s0, v65, v6 src0_sel:BYTE_1 src1_sel:DWORD
	s_and_saveexec_b32 s17, s0
	s_cbranch_execz .LBB210_545
; %bb.538:                              ;   in Loop: Header=BB210_426 Depth=1
	v_mov_b32_e32 v7, v6
	v_mov_b32_e32 v20, v8
	v_cmp_ne_u16_sdwa s0, v65, v41 src0_sel:BYTE_1 src1_sel:DWORD
	v_mov_b32_e32 v19, v7
	s_and_saveexec_b32 s18, s0
	s_cbranch_execz .LBB210_544
; %bb.539:                              ;   in Loop: Header=BB210_426 Depth=1
	v_and_b32_sdwa v5, v42, v65 dst_sel:DWORD dst_unused:UNUSED_PAD src0_sel:DWORD src1_sel:BYTE_1
	v_mov_b32_e32 v9, v6
	v_mov_b32_e32 v20, v10
	s_mov_b32 s21, exec_lo
	v_and_b32_e32 v21, 0x7f, v5
	v_mov_b32_e32 v19, v9
	v_cmpx_ne_u32_e32 0x7f, v21
	s_cbranch_execz .LBB210_543
; %bb.540:                              ;   in Loop: Header=BB210_426 Depth=1
	v_and_b32_e32 v5, 7, v5
	v_lshrrev_b32_e32 v7, 3, v21
	s_mov_b32 s22, exec_lo
	v_cmpx_gt_u32_e32 8, v21
; %bb.541:                              ;   in Loop: Header=BB210_426 Depth=1
	v_ffbh_u32_e32 v7, v5
	v_min_u32_e32 v7, 32, v7
	v_subrev_nc_u32_e32 v9, 28, v7
	v_sub_nc_u32_e32 v7, 29, v7
	v_lshlrev_b64 v[19:20], v9, v[5:6]
	v_and_b32_e32 v5, 7, v19
; %bb.542:                              ;   in Loop: Header=BB210_426 Depth=1
	s_or_b32 exec_lo, exec_lo, s22
	v_lshlrev_b32_e32 v9, 16, v65
	v_lshlrev_b32_e32 v5, 20, v5
	v_lshl_add_u32 v7, v7, 23, 0x3c000000
	v_mov_b32_e32 v19, v6
	v_and_b32_e32 v9, 0x80000000, v9
	v_or3_b32 v20, v5, v9, v7
.LBB210_543:                            ;   in Loop: Header=BB210_426 Depth=1
	s_or_b32 exec_lo, exec_lo, s21
.LBB210_544:                            ;   in Loop: Header=BB210_426 Depth=1
	s_or_b32 exec_lo, exec_lo, s18
.LBB210_545:                            ;   in Loop: Header=BB210_426 Depth=1
	s_or_b32 exec_lo, exec_lo, s17
	v_mov_b32_e32 v23, 0
	v_mov_b32_e32 v21, 0
	v_and_b32_sdwa v5, v65, v43 dst_sel:DWORD dst_unused:UNUSED_PAD src0_sel:WORD_1 src1_sel:DWORD
	v_mov_b32_e32 v24, 0
	v_mov_b32_e32 v22, 0
	s_mov_b32 s17, exec_lo
	v_cmpx_ne_u16_e32 0, v5
	s_cbranch_execz .LBB210_553
; %bb.546:                              ;   in Loop: Header=BB210_426 Depth=1
	v_bfrev_b32_e32 v21, 1
	v_mov_b32_e32 v22, 0
	s_mov_b32 s18, exec_lo
	v_cmpx_ne_u16_e32 0x80, v5
	s_cbranch_execz .LBB210_552
; %bb.547:                              ;   in Loop: Header=BB210_426 Depth=1
	v_mov_b32_e32 v21, 0x7f800001
	v_bfe_u32 v9, v65, 16, 7
	v_mov_b32_e32 v22, 0
	s_mov_b32 s21, exec_lo
	v_cmpx_ne_u32_e32 0x7f, v9
	s_cbranch_execz .LBB210_551
; %bb.548:                              ;   in Loop: Header=BB210_426 Depth=1
	v_and_b32_sdwa v5, v65, v44 dst_sel:DWORD dst_unused:UNUSED_PAD src0_sel:WORD_1 src1_sel:DWORD
	v_lshrrev_b32_e32 v7, 3, v9
	s_mov_b32 s22, exec_lo
	v_cmpx_gt_u32_e32 8, v9
; %bb.549:                              ;   in Loop: Header=BB210_426 Depth=1
	v_ffbh_u32_e32 v7, v5
	v_min_u32_e32 v7, 32, v7
	v_subrev_nc_u32_e32 v9, 28, v7
	v_sub_nc_u32_e32 v7, 29, v7
	v_lshlrev_b64 v[21:22], v9, v[5:6]
	v_and_b32_e32 v5, 7, v21
; %bb.550:                              ;   in Loop: Header=BB210_426 Depth=1
	s_or_b32 exec_lo, exec_lo, s22
	v_lshlrev_b32_sdwa v9, v45, v65 dst_sel:DWORD dst_unused:UNUSED_PAD src0_sel:DWORD src1_sel:WORD_1
	v_lshlrev_b32_e32 v5, 20, v5
	v_lshl_add_u32 v7, v7, 23, 0x3c000000
	v_and_b32_e32 v9, 0x80000000, v9
	v_or3_b32 v5, v5, v9, v7
	v_mov_b32_e32 v22, v6
	v_mov_b32_e32 v21, v5
.LBB210_551:                            ;   in Loop: Header=BB210_426 Depth=1
	s_or_b32 exec_lo, exec_lo, s21
.LBB210_552:                            ;   in Loop: Header=BB210_426 Depth=1
	s_or_b32 exec_lo, exec_lo, s18
.LBB210_553:                            ;   in Loop: Header=BB210_426 Depth=1
	s_or_b32 exec_lo, exec_lo, s17
	s_mov_b32 s17, exec_lo
	v_cmpx_lt_u32_e32 0xffffff, v65
	s_cbranch_execz .LBB210_561
; %bb.554:                              ;   in Loop: Header=BB210_426 Depth=1
	v_mov_b32_e32 v7, v6
	v_mov_b32_e32 v24, v8
	v_cmp_ne_u32_sdwa s0, v65, v41 src0_sel:BYTE_3 src1_sel:DWORD
	v_mov_b32_e32 v23, v7
	s_and_saveexec_b32 s18, s0
	s_cbranch_execz .LBB210_560
; %bb.555:                              ;   in Loop: Header=BB210_426 Depth=1
	v_mov_b32_e32 v9, v6
	v_mov_b32_e32 v24, v10
	v_bfe_u32 v66, v65, 24, 7
	s_mov_b32 s21, exec_lo
	v_mov_b32_e32 v23, v9
	v_cmpx_ne_u32_e32 0x7f, v66
	s_cbranch_execz .LBB210_559
; %bb.556:                              ;   in Loop: Header=BB210_426 Depth=1
	v_and_b32_sdwa v5, v65, v44 dst_sel:DWORD dst_unused:UNUSED_PAD src0_sel:BYTE_3 src1_sel:DWORD
	v_lshrrev_b32_e32 v7, 3, v66
	s_mov_b32 s22, exec_lo
	v_cmpx_gt_u32_e32 8, v66
; %bb.557:                              ;   in Loop: Header=BB210_426 Depth=1
	v_ffbh_u32_e32 v7, v5
	v_min_u32_e32 v7, 32, v7
	v_subrev_nc_u32_e32 v9, 28, v7
	v_sub_nc_u32_e32 v7, 29, v7
	v_lshlrev_b64 v[23:24], v9, v[5:6]
	v_and_b32_e32 v5, 7, v23
; %bb.558:                              ;   in Loop: Header=BB210_426 Depth=1
	s_or_b32 exec_lo, exec_lo, s22
	v_lshlrev_b32_sdwa v9, v45, v65 dst_sel:DWORD dst_unused:UNUSED_PAD src0_sel:DWORD src1_sel:BYTE_3
	v_lshlrev_b32_e32 v5, 20, v5
	v_lshl_add_u32 v7, v7, 23, 0x3c000000
	v_mov_b32_e32 v23, v6
	v_and_b32_e32 v9, 0x80000000, v9
	v_or3_b32 v24, v5, v9, v7
.LBB210_559:                            ;   in Loop: Header=BB210_426 Depth=1
	s_or_b32 exec_lo, exec_lo, s21
.LBB210_560:                            ;   in Loop: Header=BB210_426 Depth=1
	s_or_b32 exec_lo, exec_lo, s18
.LBB210_561:                            ;   in Loop: Header=BB210_426 Depth=1
	s_or_b32 exec_lo, exec_lo, s17
	v_or_b32_e32 v5, v20, v18
	v_or_b32_e32 v7, v19, v17
	;; [unrolled: 1-line block ×4, first 2 shown]
	v_mul_f32_e32 v67, s13, v5
	v_mul_f32_e32 v68, s12, v7
	;; [unrolled: 1-line block ×4, first 2 shown]
	s_and_saveexec_b32 s17, vcc_lo
	s_cbranch_execz .LBB210_563
; %bb.562:                              ;   in Loop: Header=BB210_426 Depth=1
	v_cmp_gt_i32_e64 s0, s31, v53
	v_cndmask_b32_e64 v68, 0, v68, s0
	v_cmp_gt_i32_e64 s0, s31, v56
	v_cndmask_b32_e64 v67, 0, v67, s0
	;; [unrolled: 2-line block ×4, first 2 shown]
.LBB210_563:                            ;   in Loop: Header=BB210_426 Depth=1
	s_or_b32 exec_lo, exec_lo, s17
	global_load_dword v69, v[15:16], off offset:512
	v_mov_b32_e32 v19, 0
	v_mov_b32_e32 v17, 0
	;; [unrolled: 1-line block ×4, first 2 shown]
	s_waitcnt vmcnt(0)
	v_cmp_ne_u16_sdwa s0, v69, v6 src0_sel:BYTE_0 src1_sel:DWORD
	s_and_saveexec_b32 s17, s0
	s_cbranch_execz .LBB210_571
; %bb.564:                              ;   in Loop: Header=BB210_426 Depth=1
	v_bfrev_b32_e32 v17, 1
	v_mov_b32_e32 v18, 0
	v_cmp_ne_u16_sdwa s0, v69, v41 src0_sel:BYTE_0 src1_sel:DWORD
	s_and_saveexec_b32 s18, s0
	s_cbranch_execz .LBB210_570
; %bb.565:                              ;   in Loop: Header=BB210_426 Depth=1
	v_mov_b32_e32 v17, 0x7f800001
	v_and_b32_e32 v9, 0x7f, v69
	v_mov_b32_e32 v18, 0
	s_mov_b32 s21, exec_lo
	v_cmpx_ne_u32_e32 0x7f, v9
	s_cbranch_execz .LBB210_569
; %bb.566:                              ;   in Loop: Header=BB210_426 Depth=1
	v_and_b32_e32 v5, 7, v69
	v_lshrrev_b32_e32 v7, 3, v9
	s_mov_b32 s22, exec_lo
	v_cmpx_gt_u32_e32 8, v9
; %bb.567:                              ;   in Loop: Header=BB210_426 Depth=1
	v_ffbh_u32_e32 v7, v5
	v_min_u32_e32 v7, 32, v7
	v_subrev_nc_u32_e32 v9, 28, v7
	v_sub_nc_u32_e32 v7, 29, v7
	v_lshlrev_b64 v[17:18], v9, v[5:6]
	v_and_b32_e32 v5, 7, v17
; %bb.568:                              ;   in Loop: Header=BB210_426 Depth=1
	s_or_b32 exec_lo, exec_lo, s22
	v_lshlrev_b32_e32 v9, 24, v69
	v_lshlrev_b32_e32 v5, 20, v5
	v_lshl_add_u32 v7, v7, 23, 0x3c000000
	v_and_b32_e32 v9, 0x80000000, v9
	v_or3_b32 v5, v5, v9, v7
	v_mov_b32_e32 v18, v6
	v_mov_b32_e32 v17, v5
.LBB210_569:                            ;   in Loop: Header=BB210_426 Depth=1
	s_or_b32 exec_lo, exec_lo, s21
.LBB210_570:                            ;   in Loop: Header=BB210_426 Depth=1
	s_or_b32 exec_lo, exec_lo, s18
.LBB210_571:                            ;   in Loop: Header=BB210_426 Depth=1
	s_or_b32 exec_lo, exec_lo, s17
	v_cmp_ne_u16_sdwa s0, v69, v6 src0_sel:BYTE_1 src1_sel:DWORD
	s_and_saveexec_b32 s17, s0
	s_cbranch_execz .LBB210_579
; %bb.572:                              ;   in Loop: Header=BB210_426 Depth=1
	v_mov_b32_e32 v7, v6
	v_mov_b32_e32 v20, v8
	v_cmp_ne_u16_sdwa s0, v69, v41 src0_sel:BYTE_1 src1_sel:DWORD
	v_mov_b32_e32 v19, v7
	s_and_saveexec_b32 s18, s0
	s_cbranch_execz .LBB210_578
; %bb.573:                              ;   in Loop: Header=BB210_426 Depth=1
	v_and_b32_sdwa v5, v42, v69 dst_sel:DWORD dst_unused:UNUSED_PAD src0_sel:DWORD src1_sel:BYTE_1
	v_mov_b32_e32 v9, v6
	v_mov_b32_e32 v20, v10
	s_mov_b32 s21, exec_lo
	v_and_b32_e32 v21, 0x7f, v5
	v_mov_b32_e32 v19, v9
	v_cmpx_ne_u32_e32 0x7f, v21
	s_cbranch_execz .LBB210_577
; %bb.574:                              ;   in Loop: Header=BB210_426 Depth=1
	v_and_b32_e32 v5, 7, v5
	v_lshrrev_b32_e32 v7, 3, v21
	s_mov_b32 s22, exec_lo
	v_cmpx_gt_u32_e32 8, v21
; %bb.575:                              ;   in Loop: Header=BB210_426 Depth=1
	v_ffbh_u32_e32 v7, v5
	v_min_u32_e32 v7, 32, v7
	v_subrev_nc_u32_e32 v9, 28, v7
	v_sub_nc_u32_e32 v7, 29, v7
	v_lshlrev_b64 v[19:20], v9, v[5:6]
	v_and_b32_e32 v5, 7, v19
; %bb.576:                              ;   in Loop: Header=BB210_426 Depth=1
	s_or_b32 exec_lo, exec_lo, s22
	v_lshlrev_b32_e32 v9, 16, v69
	v_lshlrev_b32_e32 v5, 20, v5
	v_lshl_add_u32 v7, v7, 23, 0x3c000000
	v_mov_b32_e32 v19, v6
	v_and_b32_e32 v9, 0x80000000, v9
	v_or3_b32 v20, v5, v9, v7
.LBB210_577:                            ;   in Loop: Header=BB210_426 Depth=1
	s_or_b32 exec_lo, exec_lo, s21
.LBB210_578:                            ;   in Loop: Header=BB210_426 Depth=1
	s_or_b32 exec_lo, exec_lo, s18
.LBB210_579:                            ;   in Loop: Header=BB210_426 Depth=1
	s_or_b32 exec_lo, exec_lo, s17
	v_mov_b32_e32 v23, 0
	v_mov_b32_e32 v21, 0
	v_and_b32_sdwa v5, v69, v43 dst_sel:DWORD dst_unused:UNUSED_PAD src0_sel:WORD_1 src1_sel:DWORD
	v_mov_b32_e32 v24, 0
	v_mov_b32_e32 v22, 0
	s_mov_b32 s17, exec_lo
	v_cmpx_ne_u16_e32 0, v5
	s_cbranch_execz .LBB210_587
; %bb.580:                              ;   in Loop: Header=BB210_426 Depth=1
	v_bfrev_b32_e32 v21, 1
	v_mov_b32_e32 v22, 0
	s_mov_b32 s18, exec_lo
	v_cmpx_ne_u16_e32 0x80, v5
	s_cbranch_execz .LBB210_586
; %bb.581:                              ;   in Loop: Header=BB210_426 Depth=1
	v_mov_b32_e32 v21, 0x7f800001
	v_bfe_u32 v9, v69, 16, 7
	v_mov_b32_e32 v22, 0
	s_mov_b32 s21, exec_lo
	v_cmpx_ne_u32_e32 0x7f, v9
	s_cbranch_execz .LBB210_585
; %bb.582:                              ;   in Loop: Header=BB210_426 Depth=1
	v_and_b32_sdwa v5, v69, v44 dst_sel:DWORD dst_unused:UNUSED_PAD src0_sel:WORD_1 src1_sel:DWORD
	v_lshrrev_b32_e32 v7, 3, v9
	s_mov_b32 s22, exec_lo
	v_cmpx_gt_u32_e32 8, v9
; %bb.583:                              ;   in Loop: Header=BB210_426 Depth=1
	v_ffbh_u32_e32 v7, v5
	v_min_u32_e32 v7, 32, v7
	v_subrev_nc_u32_e32 v9, 28, v7
	v_sub_nc_u32_e32 v7, 29, v7
	v_lshlrev_b64 v[21:22], v9, v[5:6]
	v_and_b32_e32 v5, 7, v21
; %bb.584:                              ;   in Loop: Header=BB210_426 Depth=1
	s_or_b32 exec_lo, exec_lo, s22
	v_lshlrev_b32_sdwa v9, v45, v69 dst_sel:DWORD dst_unused:UNUSED_PAD src0_sel:DWORD src1_sel:WORD_1
	v_lshlrev_b32_e32 v5, 20, v5
	v_lshl_add_u32 v7, v7, 23, 0x3c000000
	v_and_b32_e32 v9, 0x80000000, v9
	v_or3_b32 v5, v5, v9, v7
	v_mov_b32_e32 v22, v6
	v_mov_b32_e32 v21, v5
.LBB210_585:                            ;   in Loop: Header=BB210_426 Depth=1
	s_or_b32 exec_lo, exec_lo, s21
.LBB210_586:                            ;   in Loop: Header=BB210_426 Depth=1
	s_or_b32 exec_lo, exec_lo, s18
.LBB210_587:                            ;   in Loop: Header=BB210_426 Depth=1
	s_or_b32 exec_lo, exec_lo, s17
	s_mov_b32 s17, exec_lo
	v_cmpx_lt_u32_e32 0xffffff, v69
	s_cbranch_execz .LBB210_595
; %bb.588:                              ;   in Loop: Header=BB210_426 Depth=1
	v_mov_b32_e32 v7, v6
	v_mov_b32_e32 v24, v8
	v_cmp_ne_u32_sdwa s0, v69, v41 src0_sel:BYTE_3 src1_sel:DWORD
	v_mov_b32_e32 v23, v7
	s_and_saveexec_b32 s18, s0
	s_cbranch_execz .LBB210_594
; %bb.589:                              ;   in Loop: Header=BB210_426 Depth=1
	v_mov_b32_e32 v9, v6
	v_mov_b32_e32 v24, v10
	v_bfe_u32 v70, v69, 24, 7
	s_mov_b32 s21, exec_lo
	v_mov_b32_e32 v23, v9
	v_cmpx_ne_u32_e32 0x7f, v70
	s_cbranch_execz .LBB210_593
; %bb.590:                              ;   in Loop: Header=BB210_426 Depth=1
	v_and_b32_sdwa v5, v69, v44 dst_sel:DWORD dst_unused:UNUSED_PAD src0_sel:BYTE_3 src1_sel:DWORD
	v_lshrrev_b32_e32 v7, 3, v70
	s_mov_b32 s22, exec_lo
	v_cmpx_gt_u32_e32 8, v70
; %bb.591:                              ;   in Loop: Header=BB210_426 Depth=1
	v_ffbh_u32_e32 v7, v5
	v_min_u32_e32 v7, 32, v7
	v_subrev_nc_u32_e32 v9, 28, v7
	v_sub_nc_u32_e32 v7, 29, v7
	v_lshlrev_b64 v[23:24], v9, v[5:6]
	v_and_b32_e32 v5, 7, v23
; %bb.592:                              ;   in Loop: Header=BB210_426 Depth=1
	s_or_b32 exec_lo, exec_lo, s22
	v_lshlrev_b32_sdwa v9, v45, v69 dst_sel:DWORD dst_unused:UNUSED_PAD src0_sel:DWORD src1_sel:BYTE_3
	v_lshlrev_b32_e32 v5, 20, v5
	v_lshl_add_u32 v7, v7, 23, 0x3c000000
	v_mov_b32_e32 v23, v6
	v_and_b32_e32 v9, 0x80000000, v9
	v_or3_b32 v24, v5, v9, v7
.LBB210_593:                            ;   in Loop: Header=BB210_426 Depth=1
	s_or_b32 exec_lo, exec_lo, s21
.LBB210_594:                            ;   in Loop: Header=BB210_426 Depth=1
	s_or_b32 exec_lo, exec_lo, s18
.LBB210_595:                            ;   in Loop: Header=BB210_426 Depth=1
	s_or_b32 exec_lo, exec_lo, s17
	v_or_b32_e32 v5, v20, v18
	v_or_b32_e32 v7, v19, v17
	;; [unrolled: 1-line block ×4, first 2 shown]
	v_mul_f32_e32 v71, s13, v5
	v_mul_f32_e32 v72, s12, v7
	;; [unrolled: 1-line block ×4, first 2 shown]
	s_and_saveexec_b32 s17, vcc_lo
	s_cbranch_execz .LBB210_597
; %bb.596:                              ;   in Loop: Header=BB210_426 Depth=1
	v_cmp_gt_i32_e64 s0, s31, v53
	v_cndmask_b32_e64 v72, 0, v72, s0
	v_cmp_gt_i32_e64 s0, s31, v56
	v_cndmask_b32_e64 v71, 0, v71, s0
	;; [unrolled: 2-line block ×4, first 2 shown]
.LBB210_597:                            ;   in Loop: Header=BB210_426 Depth=1
	s_or_b32 exec_lo, exec_lo, s17
	global_load_dword v73, v[15:16], off offset:640
	v_mov_b32_e32 v19, 0
	v_mov_b32_e32 v17, 0
	;; [unrolled: 1-line block ×4, first 2 shown]
	s_waitcnt vmcnt(0)
	v_cmp_ne_u16_sdwa s0, v73, v6 src0_sel:BYTE_0 src1_sel:DWORD
	s_and_saveexec_b32 s17, s0
	s_cbranch_execz .LBB210_605
; %bb.598:                              ;   in Loop: Header=BB210_426 Depth=1
	v_bfrev_b32_e32 v17, 1
	v_mov_b32_e32 v18, 0
	v_cmp_ne_u16_sdwa s0, v73, v41 src0_sel:BYTE_0 src1_sel:DWORD
	s_and_saveexec_b32 s18, s0
	s_cbranch_execz .LBB210_604
; %bb.599:                              ;   in Loop: Header=BB210_426 Depth=1
	v_mov_b32_e32 v17, 0x7f800001
	v_and_b32_e32 v9, 0x7f, v73
	v_mov_b32_e32 v18, 0
	s_mov_b32 s21, exec_lo
	v_cmpx_ne_u32_e32 0x7f, v9
	s_cbranch_execz .LBB210_603
; %bb.600:                              ;   in Loop: Header=BB210_426 Depth=1
	v_and_b32_e32 v5, 7, v73
	v_lshrrev_b32_e32 v7, 3, v9
	s_mov_b32 s22, exec_lo
	v_cmpx_gt_u32_e32 8, v9
; %bb.601:                              ;   in Loop: Header=BB210_426 Depth=1
	v_ffbh_u32_e32 v7, v5
	v_min_u32_e32 v7, 32, v7
	v_subrev_nc_u32_e32 v9, 28, v7
	v_sub_nc_u32_e32 v7, 29, v7
	v_lshlrev_b64 v[17:18], v9, v[5:6]
	v_and_b32_e32 v5, 7, v17
; %bb.602:                              ;   in Loop: Header=BB210_426 Depth=1
	s_or_b32 exec_lo, exec_lo, s22
	v_lshlrev_b32_e32 v9, 24, v73
	v_lshlrev_b32_e32 v5, 20, v5
	v_lshl_add_u32 v7, v7, 23, 0x3c000000
	v_and_b32_e32 v9, 0x80000000, v9
	v_or3_b32 v5, v5, v9, v7
	v_mov_b32_e32 v18, v6
	v_mov_b32_e32 v17, v5
.LBB210_603:                            ;   in Loop: Header=BB210_426 Depth=1
	s_or_b32 exec_lo, exec_lo, s21
.LBB210_604:                            ;   in Loop: Header=BB210_426 Depth=1
	s_or_b32 exec_lo, exec_lo, s18
.LBB210_605:                            ;   in Loop: Header=BB210_426 Depth=1
	s_or_b32 exec_lo, exec_lo, s17
	v_cmp_ne_u16_sdwa s0, v73, v6 src0_sel:BYTE_1 src1_sel:DWORD
	s_and_saveexec_b32 s17, s0
	s_cbranch_execz .LBB210_613
; %bb.606:                              ;   in Loop: Header=BB210_426 Depth=1
	v_mov_b32_e32 v7, v6
	v_mov_b32_e32 v20, v8
	v_cmp_ne_u16_sdwa s0, v73, v41 src0_sel:BYTE_1 src1_sel:DWORD
	v_mov_b32_e32 v19, v7
	s_and_saveexec_b32 s18, s0
	s_cbranch_execz .LBB210_612
; %bb.607:                              ;   in Loop: Header=BB210_426 Depth=1
	v_and_b32_sdwa v5, v42, v73 dst_sel:DWORD dst_unused:UNUSED_PAD src0_sel:DWORD src1_sel:BYTE_1
	v_mov_b32_e32 v9, v6
	v_mov_b32_e32 v20, v10
	s_mov_b32 s21, exec_lo
	v_and_b32_e32 v21, 0x7f, v5
	v_mov_b32_e32 v19, v9
	v_cmpx_ne_u32_e32 0x7f, v21
	s_cbranch_execz .LBB210_611
; %bb.608:                              ;   in Loop: Header=BB210_426 Depth=1
	v_and_b32_e32 v5, 7, v5
	v_lshrrev_b32_e32 v7, 3, v21
	s_mov_b32 s22, exec_lo
	v_cmpx_gt_u32_e32 8, v21
; %bb.609:                              ;   in Loop: Header=BB210_426 Depth=1
	v_ffbh_u32_e32 v7, v5
	v_min_u32_e32 v7, 32, v7
	v_subrev_nc_u32_e32 v9, 28, v7
	v_sub_nc_u32_e32 v7, 29, v7
	v_lshlrev_b64 v[19:20], v9, v[5:6]
	v_and_b32_e32 v5, 7, v19
; %bb.610:                              ;   in Loop: Header=BB210_426 Depth=1
	s_or_b32 exec_lo, exec_lo, s22
	v_lshlrev_b32_e32 v9, 16, v73
	v_lshlrev_b32_e32 v5, 20, v5
	v_lshl_add_u32 v7, v7, 23, 0x3c000000
	v_mov_b32_e32 v19, v6
	v_and_b32_e32 v9, 0x80000000, v9
	v_or3_b32 v20, v5, v9, v7
.LBB210_611:                            ;   in Loop: Header=BB210_426 Depth=1
	s_or_b32 exec_lo, exec_lo, s21
.LBB210_612:                            ;   in Loop: Header=BB210_426 Depth=1
	s_or_b32 exec_lo, exec_lo, s18
.LBB210_613:                            ;   in Loop: Header=BB210_426 Depth=1
	s_or_b32 exec_lo, exec_lo, s17
	v_mov_b32_e32 v23, 0
	v_mov_b32_e32 v21, 0
	v_and_b32_sdwa v5, v73, v43 dst_sel:DWORD dst_unused:UNUSED_PAD src0_sel:WORD_1 src1_sel:DWORD
	v_mov_b32_e32 v24, 0
	v_mov_b32_e32 v22, 0
	s_mov_b32 s17, exec_lo
	v_cmpx_ne_u16_e32 0, v5
	s_cbranch_execz .LBB210_621
; %bb.614:                              ;   in Loop: Header=BB210_426 Depth=1
	v_bfrev_b32_e32 v21, 1
	v_mov_b32_e32 v22, 0
	s_mov_b32 s18, exec_lo
	v_cmpx_ne_u16_e32 0x80, v5
	s_cbranch_execz .LBB210_620
; %bb.615:                              ;   in Loop: Header=BB210_426 Depth=1
	v_mov_b32_e32 v21, 0x7f800001
	v_bfe_u32 v9, v73, 16, 7
	v_mov_b32_e32 v22, 0
	s_mov_b32 s21, exec_lo
	v_cmpx_ne_u32_e32 0x7f, v9
	s_cbranch_execz .LBB210_619
; %bb.616:                              ;   in Loop: Header=BB210_426 Depth=1
	v_and_b32_sdwa v5, v73, v44 dst_sel:DWORD dst_unused:UNUSED_PAD src0_sel:WORD_1 src1_sel:DWORD
	v_lshrrev_b32_e32 v7, 3, v9
	s_mov_b32 s22, exec_lo
	v_cmpx_gt_u32_e32 8, v9
; %bb.617:                              ;   in Loop: Header=BB210_426 Depth=1
	v_ffbh_u32_e32 v7, v5
	v_min_u32_e32 v7, 32, v7
	v_subrev_nc_u32_e32 v9, 28, v7
	v_sub_nc_u32_e32 v7, 29, v7
	v_lshlrev_b64 v[21:22], v9, v[5:6]
	v_and_b32_e32 v5, 7, v21
; %bb.618:                              ;   in Loop: Header=BB210_426 Depth=1
	s_or_b32 exec_lo, exec_lo, s22
	v_lshlrev_b32_sdwa v9, v45, v73 dst_sel:DWORD dst_unused:UNUSED_PAD src0_sel:DWORD src1_sel:WORD_1
	v_lshlrev_b32_e32 v5, 20, v5
	v_lshl_add_u32 v7, v7, 23, 0x3c000000
	v_and_b32_e32 v9, 0x80000000, v9
	v_or3_b32 v5, v5, v9, v7
	v_mov_b32_e32 v22, v6
	v_mov_b32_e32 v21, v5
.LBB210_619:                            ;   in Loop: Header=BB210_426 Depth=1
	s_or_b32 exec_lo, exec_lo, s21
.LBB210_620:                            ;   in Loop: Header=BB210_426 Depth=1
	s_or_b32 exec_lo, exec_lo, s18
.LBB210_621:                            ;   in Loop: Header=BB210_426 Depth=1
	s_or_b32 exec_lo, exec_lo, s17
	s_mov_b32 s17, exec_lo
	v_cmpx_lt_u32_e32 0xffffff, v73
	s_cbranch_execz .LBB210_629
; %bb.622:                              ;   in Loop: Header=BB210_426 Depth=1
	v_mov_b32_e32 v7, v6
	v_mov_b32_e32 v24, v8
	v_cmp_ne_u32_sdwa s0, v73, v41 src0_sel:BYTE_3 src1_sel:DWORD
	v_mov_b32_e32 v23, v7
	s_and_saveexec_b32 s18, s0
	s_cbranch_execz .LBB210_628
; %bb.623:                              ;   in Loop: Header=BB210_426 Depth=1
	v_mov_b32_e32 v9, v6
	v_mov_b32_e32 v24, v10
	v_bfe_u32 v74, v73, 24, 7
	s_mov_b32 s21, exec_lo
	v_mov_b32_e32 v23, v9
	v_cmpx_ne_u32_e32 0x7f, v74
	s_cbranch_execz .LBB210_627
; %bb.624:                              ;   in Loop: Header=BB210_426 Depth=1
	v_and_b32_sdwa v5, v73, v44 dst_sel:DWORD dst_unused:UNUSED_PAD src0_sel:BYTE_3 src1_sel:DWORD
	v_lshrrev_b32_e32 v7, 3, v74
	s_mov_b32 s22, exec_lo
	v_cmpx_gt_u32_e32 8, v74
; %bb.625:                              ;   in Loop: Header=BB210_426 Depth=1
	v_ffbh_u32_e32 v7, v5
	v_min_u32_e32 v7, 32, v7
	v_subrev_nc_u32_e32 v9, 28, v7
	v_sub_nc_u32_e32 v7, 29, v7
	v_lshlrev_b64 v[23:24], v9, v[5:6]
	v_and_b32_e32 v5, 7, v23
; %bb.626:                              ;   in Loop: Header=BB210_426 Depth=1
	s_or_b32 exec_lo, exec_lo, s22
	v_lshlrev_b32_sdwa v9, v45, v73 dst_sel:DWORD dst_unused:UNUSED_PAD src0_sel:DWORD src1_sel:BYTE_3
	v_lshlrev_b32_e32 v5, 20, v5
	v_lshl_add_u32 v7, v7, 23, 0x3c000000
	v_mov_b32_e32 v23, v6
	v_and_b32_e32 v9, 0x80000000, v9
	v_or3_b32 v24, v5, v9, v7
.LBB210_627:                            ;   in Loop: Header=BB210_426 Depth=1
	s_or_b32 exec_lo, exec_lo, s21
.LBB210_628:                            ;   in Loop: Header=BB210_426 Depth=1
	s_or_b32 exec_lo, exec_lo, s18
.LBB210_629:                            ;   in Loop: Header=BB210_426 Depth=1
	s_or_b32 exec_lo, exec_lo, s17
	v_or_b32_e32 v5, v20, v18
	v_or_b32_e32 v7, v19, v17
	;; [unrolled: 1-line block ×4, first 2 shown]
	v_mul_f32_e32 v75, s13, v5
	v_mul_f32_e32 v76, s12, v7
	v_mul_f32_e32 v74, s12, v9
	v_mul_f32_e32 v73, s13, v17
	s_and_saveexec_b32 s17, vcc_lo
	s_cbranch_execz .LBB210_631
; %bb.630:                              ;   in Loop: Header=BB210_426 Depth=1
	v_cmp_gt_i32_e64 s0, s31, v53
	v_cndmask_b32_e64 v76, 0, v76, s0
	v_cmp_gt_i32_e64 s0, s31, v56
	v_cndmask_b32_e64 v75, 0, v75, s0
	;; [unrolled: 2-line block ×4, first 2 shown]
.LBB210_631:                            ;   in Loop: Header=BB210_426 Depth=1
	s_or_b32 exec_lo, exec_lo, s17
	global_load_dword v77, v[15:16], off offset:768
	v_mov_b32_e32 v19, 0
	v_mov_b32_e32 v17, 0
	;; [unrolled: 1-line block ×4, first 2 shown]
	s_waitcnt vmcnt(0)
	v_cmp_ne_u16_sdwa s0, v77, v6 src0_sel:BYTE_0 src1_sel:DWORD
	s_and_saveexec_b32 s17, s0
	s_cbranch_execz .LBB210_639
; %bb.632:                              ;   in Loop: Header=BB210_426 Depth=1
	v_bfrev_b32_e32 v17, 1
	v_mov_b32_e32 v18, 0
	v_cmp_ne_u16_sdwa s0, v77, v41 src0_sel:BYTE_0 src1_sel:DWORD
	s_and_saveexec_b32 s18, s0
	s_cbranch_execz .LBB210_638
; %bb.633:                              ;   in Loop: Header=BB210_426 Depth=1
	v_mov_b32_e32 v17, 0x7f800001
	v_and_b32_e32 v9, 0x7f, v77
	v_mov_b32_e32 v18, 0
	s_mov_b32 s21, exec_lo
	v_cmpx_ne_u32_e32 0x7f, v9
	s_cbranch_execz .LBB210_637
; %bb.634:                              ;   in Loop: Header=BB210_426 Depth=1
	v_and_b32_e32 v5, 7, v77
	v_lshrrev_b32_e32 v7, 3, v9
	s_mov_b32 s22, exec_lo
	v_cmpx_gt_u32_e32 8, v9
; %bb.635:                              ;   in Loop: Header=BB210_426 Depth=1
	v_ffbh_u32_e32 v7, v5
	v_min_u32_e32 v7, 32, v7
	v_subrev_nc_u32_e32 v9, 28, v7
	v_sub_nc_u32_e32 v7, 29, v7
	v_lshlrev_b64 v[17:18], v9, v[5:6]
	v_and_b32_e32 v5, 7, v17
; %bb.636:                              ;   in Loop: Header=BB210_426 Depth=1
	s_or_b32 exec_lo, exec_lo, s22
	v_lshlrev_b32_e32 v9, 24, v77
	v_lshlrev_b32_e32 v5, 20, v5
	v_lshl_add_u32 v7, v7, 23, 0x3c000000
	v_and_b32_e32 v9, 0x80000000, v9
	v_or3_b32 v5, v5, v9, v7
	v_mov_b32_e32 v18, v6
	v_mov_b32_e32 v17, v5
.LBB210_637:                            ;   in Loop: Header=BB210_426 Depth=1
	s_or_b32 exec_lo, exec_lo, s21
.LBB210_638:                            ;   in Loop: Header=BB210_426 Depth=1
	s_or_b32 exec_lo, exec_lo, s18
.LBB210_639:                            ;   in Loop: Header=BB210_426 Depth=1
	s_or_b32 exec_lo, exec_lo, s17
	v_cmp_ne_u16_sdwa s0, v77, v6 src0_sel:BYTE_1 src1_sel:DWORD
	s_and_saveexec_b32 s17, s0
	s_cbranch_execz .LBB210_647
; %bb.640:                              ;   in Loop: Header=BB210_426 Depth=1
	v_mov_b32_e32 v7, v6
	v_mov_b32_e32 v20, v8
	v_cmp_ne_u16_sdwa s0, v77, v41 src0_sel:BYTE_1 src1_sel:DWORD
	v_mov_b32_e32 v19, v7
	s_and_saveexec_b32 s18, s0
	s_cbranch_execz .LBB210_646
; %bb.641:                              ;   in Loop: Header=BB210_426 Depth=1
	v_and_b32_sdwa v5, v42, v77 dst_sel:DWORD dst_unused:UNUSED_PAD src0_sel:DWORD src1_sel:BYTE_1
	v_mov_b32_e32 v9, v6
	v_mov_b32_e32 v20, v10
	s_mov_b32 s21, exec_lo
	v_and_b32_e32 v21, 0x7f, v5
	v_mov_b32_e32 v19, v9
	v_cmpx_ne_u32_e32 0x7f, v21
	s_cbranch_execz .LBB210_645
; %bb.642:                              ;   in Loop: Header=BB210_426 Depth=1
	v_and_b32_e32 v5, 7, v5
	v_lshrrev_b32_e32 v7, 3, v21
	s_mov_b32 s22, exec_lo
	v_cmpx_gt_u32_e32 8, v21
; %bb.643:                              ;   in Loop: Header=BB210_426 Depth=1
	v_ffbh_u32_e32 v7, v5
	v_min_u32_e32 v7, 32, v7
	v_subrev_nc_u32_e32 v9, 28, v7
	v_sub_nc_u32_e32 v7, 29, v7
	v_lshlrev_b64 v[19:20], v9, v[5:6]
	v_and_b32_e32 v5, 7, v19
; %bb.644:                              ;   in Loop: Header=BB210_426 Depth=1
	s_or_b32 exec_lo, exec_lo, s22
	v_lshlrev_b32_e32 v9, 16, v77
	v_lshlrev_b32_e32 v5, 20, v5
	v_lshl_add_u32 v7, v7, 23, 0x3c000000
	v_mov_b32_e32 v19, v6
	v_and_b32_e32 v9, 0x80000000, v9
	v_or3_b32 v20, v5, v9, v7
.LBB210_645:                            ;   in Loop: Header=BB210_426 Depth=1
	s_or_b32 exec_lo, exec_lo, s21
.LBB210_646:                            ;   in Loop: Header=BB210_426 Depth=1
	s_or_b32 exec_lo, exec_lo, s18
.LBB210_647:                            ;   in Loop: Header=BB210_426 Depth=1
	s_or_b32 exec_lo, exec_lo, s17
	v_mov_b32_e32 v23, 0
	v_mov_b32_e32 v21, 0
	v_and_b32_sdwa v5, v77, v43 dst_sel:DWORD dst_unused:UNUSED_PAD src0_sel:WORD_1 src1_sel:DWORD
	v_mov_b32_e32 v24, 0
	v_mov_b32_e32 v22, 0
	s_mov_b32 s17, exec_lo
	v_cmpx_ne_u16_e32 0, v5
	s_cbranch_execz .LBB210_655
; %bb.648:                              ;   in Loop: Header=BB210_426 Depth=1
	v_bfrev_b32_e32 v21, 1
	v_mov_b32_e32 v22, 0
	s_mov_b32 s18, exec_lo
	v_cmpx_ne_u16_e32 0x80, v5
	s_cbranch_execz .LBB210_654
; %bb.649:                              ;   in Loop: Header=BB210_426 Depth=1
	v_mov_b32_e32 v21, 0x7f800001
	v_bfe_u32 v9, v77, 16, 7
	v_mov_b32_e32 v22, 0
	s_mov_b32 s21, exec_lo
	v_cmpx_ne_u32_e32 0x7f, v9
	s_cbranch_execz .LBB210_653
; %bb.650:                              ;   in Loop: Header=BB210_426 Depth=1
	v_and_b32_sdwa v5, v77, v44 dst_sel:DWORD dst_unused:UNUSED_PAD src0_sel:WORD_1 src1_sel:DWORD
	v_lshrrev_b32_e32 v7, 3, v9
	s_mov_b32 s22, exec_lo
	v_cmpx_gt_u32_e32 8, v9
; %bb.651:                              ;   in Loop: Header=BB210_426 Depth=1
	v_ffbh_u32_e32 v7, v5
	v_min_u32_e32 v7, 32, v7
	v_subrev_nc_u32_e32 v9, 28, v7
	v_sub_nc_u32_e32 v7, 29, v7
	v_lshlrev_b64 v[21:22], v9, v[5:6]
	v_and_b32_e32 v5, 7, v21
; %bb.652:                              ;   in Loop: Header=BB210_426 Depth=1
	s_or_b32 exec_lo, exec_lo, s22
	v_lshlrev_b32_sdwa v9, v45, v77 dst_sel:DWORD dst_unused:UNUSED_PAD src0_sel:DWORD src1_sel:WORD_1
	v_lshlrev_b32_e32 v5, 20, v5
	v_lshl_add_u32 v7, v7, 23, 0x3c000000
	v_and_b32_e32 v9, 0x80000000, v9
	v_or3_b32 v5, v5, v9, v7
	v_mov_b32_e32 v22, v6
	v_mov_b32_e32 v21, v5
.LBB210_653:                            ;   in Loop: Header=BB210_426 Depth=1
	s_or_b32 exec_lo, exec_lo, s21
.LBB210_654:                            ;   in Loop: Header=BB210_426 Depth=1
	s_or_b32 exec_lo, exec_lo, s18
.LBB210_655:                            ;   in Loop: Header=BB210_426 Depth=1
	s_or_b32 exec_lo, exec_lo, s17
	s_mov_b32 s17, exec_lo
	v_cmpx_lt_u32_e32 0xffffff, v77
	s_cbranch_execz .LBB210_663
; %bb.656:                              ;   in Loop: Header=BB210_426 Depth=1
	v_mov_b32_e32 v7, v6
	v_mov_b32_e32 v24, v8
	v_cmp_ne_u32_sdwa s0, v77, v41 src0_sel:BYTE_3 src1_sel:DWORD
	v_mov_b32_e32 v23, v7
	s_and_saveexec_b32 s18, s0
	s_cbranch_execz .LBB210_662
; %bb.657:                              ;   in Loop: Header=BB210_426 Depth=1
	v_mov_b32_e32 v9, v6
	v_mov_b32_e32 v24, v10
	v_bfe_u32 v78, v77, 24, 7
	s_mov_b32 s21, exec_lo
	v_mov_b32_e32 v23, v9
	v_cmpx_ne_u32_e32 0x7f, v78
	s_cbranch_execz .LBB210_661
; %bb.658:                              ;   in Loop: Header=BB210_426 Depth=1
	v_and_b32_sdwa v5, v77, v44 dst_sel:DWORD dst_unused:UNUSED_PAD src0_sel:BYTE_3 src1_sel:DWORD
	v_lshrrev_b32_e32 v7, 3, v78
	s_mov_b32 s22, exec_lo
	v_cmpx_gt_u32_e32 8, v78
; %bb.659:                              ;   in Loop: Header=BB210_426 Depth=1
	v_ffbh_u32_e32 v7, v5
	v_min_u32_e32 v7, 32, v7
	v_subrev_nc_u32_e32 v9, 28, v7
	v_sub_nc_u32_e32 v7, 29, v7
	v_lshlrev_b64 v[23:24], v9, v[5:6]
	v_and_b32_e32 v5, 7, v23
; %bb.660:                              ;   in Loop: Header=BB210_426 Depth=1
	s_or_b32 exec_lo, exec_lo, s22
	v_lshlrev_b32_sdwa v9, v45, v77 dst_sel:DWORD dst_unused:UNUSED_PAD src0_sel:DWORD src1_sel:BYTE_3
	v_lshlrev_b32_e32 v5, 20, v5
	v_lshl_add_u32 v7, v7, 23, 0x3c000000
	v_mov_b32_e32 v23, v6
	v_and_b32_e32 v9, 0x80000000, v9
	v_or3_b32 v24, v5, v9, v7
.LBB210_661:                            ;   in Loop: Header=BB210_426 Depth=1
	s_or_b32 exec_lo, exec_lo, s21
.LBB210_662:                            ;   in Loop: Header=BB210_426 Depth=1
	s_or_b32 exec_lo, exec_lo, s18
.LBB210_663:                            ;   in Loop: Header=BB210_426 Depth=1
	s_or_b32 exec_lo, exec_lo, s17
	v_or_b32_e32 v5, v20, v18
	v_or_b32_e32 v7, v19, v17
	;; [unrolled: 1-line block ×4, first 2 shown]
	v_mul_f32_e32 v79, s13, v5
	v_mul_f32_e32 v80, s12, v7
	;; [unrolled: 1-line block ×4, first 2 shown]
	s_and_saveexec_b32 s17, vcc_lo
	s_cbranch_execz .LBB210_665
; %bb.664:                              ;   in Loop: Header=BB210_426 Depth=1
	v_cmp_gt_i32_e64 s0, s31, v53
	v_cndmask_b32_e64 v80, 0, v80, s0
	v_cmp_gt_i32_e64 s0, s31, v56
	v_cndmask_b32_e64 v79, 0, v79, s0
	;; [unrolled: 2-line block ×4, first 2 shown]
.LBB210_665:                            ;   in Loop: Header=BB210_426 Depth=1
	s_or_b32 exec_lo, exec_lo, s17
	global_load_dword v81, v[15:16], off offset:896
	v_mov_b32_e32 v19, 0
	v_mov_b32_e32 v17, 0
	;; [unrolled: 1-line block ×4, first 2 shown]
	s_waitcnt vmcnt(0)
	v_cmp_ne_u16_sdwa s0, v81, v6 src0_sel:BYTE_0 src1_sel:DWORD
	s_and_saveexec_b32 s17, s0
	s_cbranch_execz .LBB210_673
; %bb.666:                              ;   in Loop: Header=BB210_426 Depth=1
	v_bfrev_b32_e32 v17, 1
	v_mov_b32_e32 v18, 0
	v_cmp_ne_u16_sdwa s0, v81, v41 src0_sel:BYTE_0 src1_sel:DWORD
	s_and_saveexec_b32 s18, s0
	s_cbranch_execz .LBB210_672
; %bb.667:                              ;   in Loop: Header=BB210_426 Depth=1
	v_mov_b32_e32 v17, 0x7f800001
	v_and_b32_e32 v9, 0x7f, v81
	v_mov_b32_e32 v18, 0
	s_mov_b32 s21, exec_lo
	v_cmpx_ne_u32_e32 0x7f, v9
	s_cbranch_execz .LBB210_671
; %bb.668:                              ;   in Loop: Header=BB210_426 Depth=1
	v_and_b32_e32 v5, 7, v81
	v_lshrrev_b32_e32 v7, 3, v9
	s_mov_b32 s22, exec_lo
	v_cmpx_gt_u32_e32 8, v9
; %bb.669:                              ;   in Loop: Header=BB210_426 Depth=1
	v_ffbh_u32_e32 v7, v5
	v_min_u32_e32 v7, 32, v7
	v_subrev_nc_u32_e32 v9, 28, v7
	v_sub_nc_u32_e32 v7, 29, v7
	v_lshlrev_b64 v[17:18], v9, v[5:6]
	v_and_b32_e32 v5, 7, v17
; %bb.670:                              ;   in Loop: Header=BB210_426 Depth=1
	s_or_b32 exec_lo, exec_lo, s22
	v_lshlrev_b32_e32 v9, 24, v81
	v_lshlrev_b32_e32 v5, 20, v5
	v_lshl_add_u32 v7, v7, 23, 0x3c000000
	v_and_b32_e32 v9, 0x80000000, v9
	v_or3_b32 v5, v5, v9, v7
	v_mov_b32_e32 v18, v6
	v_mov_b32_e32 v17, v5
.LBB210_671:                            ;   in Loop: Header=BB210_426 Depth=1
	s_or_b32 exec_lo, exec_lo, s21
.LBB210_672:                            ;   in Loop: Header=BB210_426 Depth=1
	s_or_b32 exec_lo, exec_lo, s18
.LBB210_673:                            ;   in Loop: Header=BB210_426 Depth=1
	s_or_b32 exec_lo, exec_lo, s17
	v_cmp_ne_u16_sdwa s0, v81, v6 src0_sel:BYTE_1 src1_sel:DWORD
	s_and_saveexec_b32 s17, s0
	s_cbranch_execz .LBB210_681
; %bb.674:                              ;   in Loop: Header=BB210_426 Depth=1
	v_mov_b32_e32 v7, v6
	v_mov_b32_e32 v20, v8
	v_cmp_ne_u16_sdwa s0, v81, v41 src0_sel:BYTE_1 src1_sel:DWORD
	v_mov_b32_e32 v19, v7
	s_and_saveexec_b32 s18, s0
	s_cbranch_execz .LBB210_680
; %bb.675:                              ;   in Loop: Header=BB210_426 Depth=1
	v_and_b32_sdwa v5, v42, v81 dst_sel:DWORD dst_unused:UNUSED_PAD src0_sel:DWORD src1_sel:BYTE_1
	v_mov_b32_e32 v9, v6
	v_mov_b32_e32 v20, v10
	s_mov_b32 s21, exec_lo
	v_and_b32_e32 v21, 0x7f, v5
	v_mov_b32_e32 v19, v9
	v_cmpx_ne_u32_e32 0x7f, v21
	s_cbranch_execz .LBB210_679
; %bb.676:                              ;   in Loop: Header=BB210_426 Depth=1
	v_and_b32_e32 v5, 7, v5
	v_lshrrev_b32_e32 v7, 3, v21
	s_mov_b32 s22, exec_lo
	v_cmpx_gt_u32_e32 8, v21
; %bb.677:                              ;   in Loop: Header=BB210_426 Depth=1
	v_ffbh_u32_e32 v7, v5
	v_min_u32_e32 v7, 32, v7
	v_subrev_nc_u32_e32 v9, 28, v7
	v_sub_nc_u32_e32 v7, 29, v7
	v_lshlrev_b64 v[19:20], v9, v[5:6]
	v_and_b32_e32 v5, 7, v19
; %bb.678:                              ;   in Loop: Header=BB210_426 Depth=1
	s_or_b32 exec_lo, exec_lo, s22
	v_lshlrev_b32_e32 v9, 16, v81
	v_lshlrev_b32_e32 v5, 20, v5
	v_lshl_add_u32 v7, v7, 23, 0x3c000000
	v_mov_b32_e32 v19, v6
	v_and_b32_e32 v9, 0x80000000, v9
	v_or3_b32 v20, v5, v9, v7
.LBB210_679:                            ;   in Loop: Header=BB210_426 Depth=1
	s_or_b32 exec_lo, exec_lo, s21
.LBB210_680:                            ;   in Loop: Header=BB210_426 Depth=1
	s_or_b32 exec_lo, exec_lo, s18
.LBB210_681:                            ;   in Loop: Header=BB210_426 Depth=1
	s_or_b32 exec_lo, exec_lo, s17
	v_mov_b32_e32 v23, 0
	v_mov_b32_e32 v21, 0
	v_and_b32_sdwa v5, v81, v43 dst_sel:DWORD dst_unused:UNUSED_PAD src0_sel:WORD_1 src1_sel:DWORD
	v_mov_b32_e32 v24, 0
	v_mov_b32_e32 v22, 0
	s_mov_b32 s17, exec_lo
	v_cmpx_ne_u16_e32 0, v5
	s_cbranch_execz .LBB210_689
; %bb.682:                              ;   in Loop: Header=BB210_426 Depth=1
	v_bfrev_b32_e32 v21, 1
	v_mov_b32_e32 v22, 0
	s_mov_b32 s18, exec_lo
	v_cmpx_ne_u16_e32 0x80, v5
	s_cbranch_execz .LBB210_688
; %bb.683:                              ;   in Loop: Header=BB210_426 Depth=1
	v_mov_b32_e32 v21, 0x7f800001
	v_bfe_u32 v9, v81, 16, 7
	v_mov_b32_e32 v22, 0
	s_mov_b32 s21, exec_lo
	v_cmpx_ne_u32_e32 0x7f, v9
	s_cbranch_execz .LBB210_687
; %bb.684:                              ;   in Loop: Header=BB210_426 Depth=1
	v_and_b32_sdwa v5, v81, v44 dst_sel:DWORD dst_unused:UNUSED_PAD src0_sel:WORD_1 src1_sel:DWORD
	v_lshrrev_b32_e32 v7, 3, v9
	s_mov_b32 s22, exec_lo
	v_cmpx_gt_u32_e32 8, v9
; %bb.685:                              ;   in Loop: Header=BB210_426 Depth=1
	v_ffbh_u32_e32 v7, v5
	v_min_u32_e32 v7, 32, v7
	v_subrev_nc_u32_e32 v9, 28, v7
	v_sub_nc_u32_e32 v7, 29, v7
	v_lshlrev_b64 v[21:22], v9, v[5:6]
	v_and_b32_e32 v5, 7, v21
; %bb.686:                              ;   in Loop: Header=BB210_426 Depth=1
	s_or_b32 exec_lo, exec_lo, s22
	v_lshlrev_b32_sdwa v9, v45, v81 dst_sel:DWORD dst_unused:UNUSED_PAD src0_sel:DWORD src1_sel:WORD_1
	v_lshlrev_b32_e32 v5, 20, v5
	v_lshl_add_u32 v7, v7, 23, 0x3c000000
	v_and_b32_e32 v9, 0x80000000, v9
	v_or3_b32 v5, v5, v9, v7
	v_mov_b32_e32 v22, v6
	v_mov_b32_e32 v21, v5
.LBB210_687:                            ;   in Loop: Header=BB210_426 Depth=1
	s_or_b32 exec_lo, exec_lo, s21
.LBB210_688:                            ;   in Loop: Header=BB210_426 Depth=1
	s_or_b32 exec_lo, exec_lo, s18
.LBB210_689:                            ;   in Loop: Header=BB210_426 Depth=1
	s_or_b32 exec_lo, exec_lo, s17
	s_mov_b32 s17, exec_lo
	v_cmpx_lt_u32_e32 0xffffff, v81
	s_cbranch_execz .LBB210_697
; %bb.690:                              ;   in Loop: Header=BB210_426 Depth=1
	v_mov_b32_e32 v7, v6
	v_mov_b32_e32 v24, v8
	v_cmp_ne_u32_sdwa s0, v81, v41 src0_sel:BYTE_3 src1_sel:DWORD
	v_mov_b32_e32 v23, v7
	s_and_saveexec_b32 s18, s0
	s_cbranch_execz .LBB210_696
; %bb.691:                              ;   in Loop: Header=BB210_426 Depth=1
	v_mov_b32_e32 v9, v6
	v_mov_b32_e32 v24, v10
	v_bfe_u32 v82, v81, 24, 7
	s_mov_b32 s21, exec_lo
	v_mov_b32_e32 v23, v9
	v_cmpx_ne_u32_e32 0x7f, v82
	s_cbranch_execz .LBB210_695
; %bb.692:                              ;   in Loop: Header=BB210_426 Depth=1
	v_and_b32_sdwa v5, v81, v44 dst_sel:DWORD dst_unused:UNUSED_PAD src0_sel:BYTE_3 src1_sel:DWORD
	v_lshrrev_b32_e32 v7, 3, v82
	s_mov_b32 s22, exec_lo
	v_cmpx_gt_u32_e32 8, v82
; %bb.693:                              ;   in Loop: Header=BB210_426 Depth=1
	v_ffbh_u32_e32 v7, v5
	v_min_u32_e32 v7, 32, v7
	v_subrev_nc_u32_e32 v9, 28, v7
	v_sub_nc_u32_e32 v7, 29, v7
	v_lshlrev_b64 v[23:24], v9, v[5:6]
	v_and_b32_e32 v5, 7, v23
; %bb.694:                              ;   in Loop: Header=BB210_426 Depth=1
	s_or_b32 exec_lo, exec_lo, s22
	v_lshlrev_b32_sdwa v9, v45, v81 dst_sel:DWORD dst_unused:UNUSED_PAD src0_sel:DWORD src1_sel:BYTE_3
	v_lshlrev_b32_e32 v5, 20, v5
	v_lshl_add_u32 v7, v7, 23, 0x3c000000
	v_mov_b32_e32 v23, v6
	v_and_b32_e32 v9, 0x80000000, v9
	v_or3_b32 v24, v5, v9, v7
.LBB210_695:                            ;   in Loop: Header=BB210_426 Depth=1
	s_or_b32 exec_lo, exec_lo, s21
.LBB210_696:                            ;   in Loop: Header=BB210_426 Depth=1
	s_or_b32 exec_lo, exec_lo, s18
.LBB210_697:                            ;   in Loop: Header=BB210_426 Depth=1
	s_or_b32 exec_lo, exec_lo, s17
	v_or_b32_e32 v5, v20, v18
	v_or_b32_e32 v7, v19, v17
	;; [unrolled: 1-line block ×4, first 2 shown]
	v_mul_f32_e32 v83, s13, v5
	v_mul_f32_e32 v84, s12, v7
	;; [unrolled: 1-line block ×4, first 2 shown]
	s_and_saveexec_b32 s17, vcc_lo
	s_cbranch_execz .LBB210_699
; %bb.698:                              ;   in Loop: Header=BB210_426 Depth=1
	v_cmp_gt_i32_e64 s0, s31, v53
	v_cndmask_b32_e64 v84, 0, v84, s0
	v_cmp_gt_i32_e64 s0, s31, v56
	v_cndmask_b32_e64 v83, 0, v83, s0
	;; [unrolled: 2-line block ×4, first 2 shown]
.LBB210_699:                            ;   in Loop: Header=BB210_426 Depth=1
	s_or_b32 exec_lo, exec_lo, s17
	global_load_dword v85, v[15:16], off offset:1024
	v_mov_b32_e32 v19, 0
	v_mov_b32_e32 v17, 0
	;; [unrolled: 1-line block ×4, first 2 shown]
	s_waitcnt vmcnt(0)
	v_cmp_ne_u16_sdwa s0, v85, v6 src0_sel:BYTE_0 src1_sel:DWORD
	s_and_saveexec_b32 s17, s0
	s_cbranch_execz .LBB210_707
; %bb.700:                              ;   in Loop: Header=BB210_426 Depth=1
	v_bfrev_b32_e32 v17, 1
	v_mov_b32_e32 v18, 0
	v_cmp_ne_u16_sdwa s0, v85, v41 src0_sel:BYTE_0 src1_sel:DWORD
	s_and_saveexec_b32 s18, s0
	s_cbranch_execz .LBB210_706
; %bb.701:                              ;   in Loop: Header=BB210_426 Depth=1
	v_mov_b32_e32 v17, 0x7f800001
	v_and_b32_e32 v9, 0x7f, v85
	v_mov_b32_e32 v18, 0
	s_mov_b32 s21, exec_lo
	v_cmpx_ne_u32_e32 0x7f, v9
	s_cbranch_execz .LBB210_705
; %bb.702:                              ;   in Loop: Header=BB210_426 Depth=1
	v_and_b32_e32 v5, 7, v85
	v_lshrrev_b32_e32 v7, 3, v9
	s_mov_b32 s22, exec_lo
	v_cmpx_gt_u32_e32 8, v9
; %bb.703:                              ;   in Loop: Header=BB210_426 Depth=1
	v_ffbh_u32_e32 v7, v5
	v_min_u32_e32 v7, 32, v7
	v_subrev_nc_u32_e32 v9, 28, v7
	v_sub_nc_u32_e32 v7, 29, v7
	v_lshlrev_b64 v[17:18], v9, v[5:6]
	v_and_b32_e32 v5, 7, v17
; %bb.704:                              ;   in Loop: Header=BB210_426 Depth=1
	s_or_b32 exec_lo, exec_lo, s22
	v_lshlrev_b32_e32 v9, 24, v85
	v_lshlrev_b32_e32 v5, 20, v5
	v_lshl_add_u32 v7, v7, 23, 0x3c000000
	v_and_b32_e32 v9, 0x80000000, v9
	v_or3_b32 v5, v5, v9, v7
	v_mov_b32_e32 v18, v6
	v_mov_b32_e32 v17, v5
.LBB210_705:                            ;   in Loop: Header=BB210_426 Depth=1
	s_or_b32 exec_lo, exec_lo, s21
.LBB210_706:                            ;   in Loop: Header=BB210_426 Depth=1
	s_or_b32 exec_lo, exec_lo, s18
.LBB210_707:                            ;   in Loop: Header=BB210_426 Depth=1
	s_or_b32 exec_lo, exec_lo, s17
	v_cmp_ne_u16_sdwa s0, v85, v6 src0_sel:BYTE_1 src1_sel:DWORD
	s_and_saveexec_b32 s17, s0
	s_cbranch_execz .LBB210_715
; %bb.708:                              ;   in Loop: Header=BB210_426 Depth=1
	v_mov_b32_e32 v7, v6
	v_mov_b32_e32 v20, v8
	v_cmp_ne_u16_sdwa s0, v85, v41 src0_sel:BYTE_1 src1_sel:DWORD
	v_mov_b32_e32 v19, v7
	s_and_saveexec_b32 s18, s0
	s_cbranch_execz .LBB210_714
; %bb.709:                              ;   in Loop: Header=BB210_426 Depth=1
	v_and_b32_sdwa v5, v42, v85 dst_sel:DWORD dst_unused:UNUSED_PAD src0_sel:DWORD src1_sel:BYTE_1
	v_mov_b32_e32 v9, v6
	v_mov_b32_e32 v20, v10
	s_mov_b32 s21, exec_lo
	v_and_b32_e32 v21, 0x7f, v5
	v_mov_b32_e32 v19, v9
	v_cmpx_ne_u32_e32 0x7f, v21
	s_cbranch_execz .LBB210_713
; %bb.710:                              ;   in Loop: Header=BB210_426 Depth=1
	v_and_b32_e32 v5, 7, v5
	v_lshrrev_b32_e32 v7, 3, v21
	s_mov_b32 s22, exec_lo
	v_cmpx_gt_u32_e32 8, v21
; %bb.711:                              ;   in Loop: Header=BB210_426 Depth=1
	v_ffbh_u32_e32 v7, v5
	v_min_u32_e32 v7, 32, v7
	v_subrev_nc_u32_e32 v9, 28, v7
	v_sub_nc_u32_e32 v7, 29, v7
	v_lshlrev_b64 v[19:20], v9, v[5:6]
	v_and_b32_e32 v5, 7, v19
; %bb.712:                              ;   in Loop: Header=BB210_426 Depth=1
	s_or_b32 exec_lo, exec_lo, s22
	v_lshlrev_b32_e32 v9, 16, v85
	v_lshlrev_b32_e32 v5, 20, v5
	v_lshl_add_u32 v7, v7, 23, 0x3c000000
	v_mov_b32_e32 v19, v6
	v_and_b32_e32 v9, 0x80000000, v9
	v_or3_b32 v20, v5, v9, v7
.LBB210_713:                            ;   in Loop: Header=BB210_426 Depth=1
	s_or_b32 exec_lo, exec_lo, s21
.LBB210_714:                            ;   in Loop: Header=BB210_426 Depth=1
	s_or_b32 exec_lo, exec_lo, s18
.LBB210_715:                            ;   in Loop: Header=BB210_426 Depth=1
	s_or_b32 exec_lo, exec_lo, s17
	v_mov_b32_e32 v23, 0
	v_mov_b32_e32 v21, 0
	v_and_b32_sdwa v5, v85, v43 dst_sel:DWORD dst_unused:UNUSED_PAD src0_sel:WORD_1 src1_sel:DWORD
	v_mov_b32_e32 v24, 0
	v_mov_b32_e32 v22, 0
	s_mov_b32 s17, exec_lo
	v_cmpx_ne_u16_e32 0, v5
	s_cbranch_execz .LBB210_723
; %bb.716:                              ;   in Loop: Header=BB210_426 Depth=1
	v_bfrev_b32_e32 v21, 1
	v_mov_b32_e32 v22, 0
	s_mov_b32 s18, exec_lo
	v_cmpx_ne_u16_e32 0x80, v5
	s_cbranch_execz .LBB210_722
; %bb.717:                              ;   in Loop: Header=BB210_426 Depth=1
	v_mov_b32_e32 v21, 0x7f800001
	v_bfe_u32 v9, v85, 16, 7
	v_mov_b32_e32 v22, 0
	s_mov_b32 s21, exec_lo
	v_cmpx_ne_u32_e32 0x7f, v9
	s_cbranch_execz .LBB210_721
; %bb.718:                              ;   in Loop: Header=BB210_426 Depth=1
	v_and_b32_sdwa v5, v85, v44 dst_sel:DWORD dst_unused:UNUSED_PAD src0_sel:WORD_1 src1_sel:DWORD
	v_lshrrev_b32_e32 v7, 3, v9
	s_mov_b32 s22, exec_lo
	v_cmpx_gt_u32_e32 8, v9
; %bb.719:                              ;   in Loop: Header=BB210_426 Depth=1
	v_ffbh_u32_e32 v7, v5
	v_min_u32_e32 v7, 32, v7
	v_subrev_nc_u32_e32 v9, 28, v7
	v_sub_nc_u32_e32 v7, 29, v7
	v_lshlrev_b64 v[21:22], v9, v[5:6]
	v_and_b32_e32 v5, 7, v21
; %bb.720:                              ;   in Loop: Header=BB210_426 Depth=1
	s_or_b32 exec_lo, exec_lo, s22
	v_lshlrev_b32_sdwa v9, v45, v85 dst_sel:DWORD dst_unused:UNUSED_PAD src0_sel:DWORD src1_sel:WORD_1
	v_lshlrev_b32_e32 v5, 20, v5
	v_lshl_add_u32 v7, v7, 23, 0x3c000000
	v_and_b32_e32 v9, 0x80000000, v9
	v_or3_b32 v5, v5, v9, v7
	v_mov_b32_e32 v22, v6
	v_mov_b32_e32 v21, v5
.LBB210_721:                            ;   in Loop: Header=BB210_426 Depth=1
	s_or_b32 exec_lo, exec_lo, s21
.LBB210_722:                            ;   in Loop: Header=BB210_426 Depth=1
	s_or_b32 exec_lo, exec_lo, s18
.LBB210_723:                            ;   in Loop: Header=BB210_426 Depth=1
	s_or_b32 exec_lo, exec_lo, s17
	s_mov_b32 s17, exec_lo
	v_cmpx_lt_u32_e32 0xffffff, v85
	s_cbranch_execz .LBB210_731
; %bb.724:                              ;   in Loop: Header=BB210_426 Depth=1
	v_mov_b32_e32 v7, v6
	v_mov_b32_e32 v24, v8
	v_cmp_ne_u32_sdwa s0, v85, v41 src0_sel:BYTE_3 src1_sel:DWORD
	v_mov_b32_e32 v23, v7
	s_and_saveexec_b32 s18, s0
	s_cbranch_execz .LBB210_730
; %bb.725:                              ;   in Loop: Header=BB210_426 Depth=1
	v_mov_b32_e32 v9, v6
	v_mov_b32_e32 v24, v10
	v_bfe_u32 v86, v85, 24, 7
	s_mov_b32 s21, exec_lo
	v_mov_b32_e32 v23, v9
	v_cmpx_ne_u32_e32 0x7f, v86
	s_cbranch_execz .LBB210_729
; %bb.726:                              ;   in Loop: Header=BB210_426 Depth=1
	v_and_b32_sdwa v5, v85, v44 dst_sel:DWORD dst_unused:UNUSED_PAD src0_sel:BYTE_3 src1_sel:DWORD
	v_lshrrev_b32_e32 v7, 3, v86
	s_mov_b32 s22, exec_lo
	v_cmpx_gt_u32_e32 8, v86
; %bb.727:                              ;   in Loop: Header=BB210_426 Depth=1
	v_ffbh_u32_e32 v7, v5
	v_min_u32_e32 v7, 32, v7
	v_subrev_nc_u32_e32 v9, 28, v7
	v_sub_nc_u32_e32 v7, 29, v7
	v_lshlrev_b64 v[23:24], v9, v[5:6]
	v_and_b32_e32 v5, 7, v23
; %bb.728:                              ;   in Loop: Header=BB210_426 Depth=1
	s_or_b32 exec_lo, exec_lo, s22
	v_lshlrev_b32_sdwa v9, v45, v85 dst_sel:DWORD dst_unused:UNUSED_PAD src0_sel:DWORD src1_sel:BYTE_3
	v_lshlrev_b32_e32 v5, 20, v5
	v_lshl_add_u32 v7, v7, 23, 0x3c000000
	v_mov_b32_e32 v23, v6
	v_and_b32_e32 v9, 0x80000000, v9
	v_or3_b32 v24, v5, v9, v7
.LBB210_729:                            ;   in Loop: Header=BB210_426 Depth=1
	s_or_b32 exec_lo, exec_lo, s21
.LBB210_730:                            ;   in Loop: Header=BB210_426 Depth=1
	s_or_b32 exec_lo, exec_lo, s18
.LBB210_731:                            ;   in Loop: Header=BB210_426 Depth=1
	s_or_b32 exec_lo, exec_lo, s17
	v_or_b32_e32 v5, v20, v18
	v_or_b32_e32 v7, v19, v17
	;; [unrolled: 1-line block ×4, first 2 shown]
	v_mul_f32_e32 v87, s13, v5
	v_mul_f32_e32 v88, s12, v7
	;; [unrolled: 1-line block ×4, first 2 shown]
	s_and_saveexec_b32 s17, vcc_lo
	s_cbranch_execz .LBB210_733
; %bb.732:                              ;   in Loop: Header=BB210_426 Depth=1
	v_cmp_gt_i32_e64 s0, s31, v53
	v_cndmask_b32_e64 v88, 0, v88, s0
	v_cmp_gt_i32_e64 s0, s31, v56
	v_cndmask_b32_e64 v87, 0, v87, s0
	;; [unrolled: 2-line block ×4, first 2 shown]
.LBB210_733:                            ;   in Loop: Header=BB210_426 Depth=1
	s_or_b32 exec_lo, exec_lo, s17
	global_load_dword v89, v[15:16], off offset:1152
	v_mov_b32_e32 v19, 0
	v_mov_b32_e32 v17, 0
	;; [unrolled: 1-line block ×4, first 2 shown]
	s_waitcnt vmcnt(0)
	v_cmp_ne_u16_sdwa s0, v89, v6 src0_sel:BYTE_0 src1_sel:DWORD
	s_and_saveexec_b32 s17, s0
	s_cbranch_execz .LBB210_741
; %bb.734:                              ;   in Loop: Header=BB210_426 Depth=1
	v_bfrev_b32_e32 v17, 1
	v_mov_b32_e32 v18, 0
	v_cmp_ne_u16_sdwa s0, v89, v41 src0_sel:BYTE_0 src1_sel:DWORD
	s_and_saveexec_b32 s18, s0
	s_cbranch_execz .LBB210_740
; %bb.735:                              ;   in Loop: Header=BB210_426 Depth=1
	v_mov_b32_e32 v17, 0x7f800001
	v_and_b32_e32 v9, 0x7f, v89
	v_mov_b32_e32 v18, 0
	s_mov_b32 s21, exec_lo
	v_cmpx_ne_u32_e32 0x7f, v9
	s_cbranch_execz .LBB210_739
; %bb.736:                              ;   in Loop: Header=BB210_426 Depth=1
	v_and_b32_e32 v5, 7, v89
	v_lshrrev_b32_e32 v7, 3, v9
	s_mov_b32 s22, exec_lo
	v_cmpx_gt_u32_e32 8, v9
; %bb.737:                              ;   in Loop: Header=BB210_426 Depth=1
	v_ffbh_u32_e32 v7, v5
	v_min_u32_e32 v7, 32, v7
	v_subrev_nc_u32_e32 v9, 28, v7
	v_sub_nc_u32_e32 v7, 29, v7
	v_lshlrev_b64 v[17:18], v9, v[5:6]
	v_and_b32_e32 v5, 7, v17
; %bb.738:                              ;   in Loop: Header=BB210_426 Depth=1
	s_or_b32 exec_lo, exec_lo, s22
	v_lshlrev_b32_e32 v9, 24, v89
	v_lshlrev_b32_e32 v5, 20, v5
	v_lshl_add_u32 v7, v7, 23, 0x3c000000
	v_and_b32_e32 v9, 0x80000000, v9
	v_or3_b32 v5, v5, v9, v7
	v_mov_b32_e32 v18, v6
	v_mov_b32_e32 v17, v5
.LBB210_739:                            ;   in Loop: Header=BB210_426 Depth=1
	s_or_b32 exec_lo, exec_lo, s21
.LBB210_740:                            ;   in Loop: Header=BB210_426 Depth=1
	s_or_b32 exec_lo, exec_lo, s18
.LBB210_741:                            ;   in Loop: Header=BB210_426 Depth=1
	s_or_b32 exec_lo, exec_lo, s17
	v_cmp_ne_u16_sdwa s0, v89, v6 src0_sel:BYTE_1 src1_sel:DWORD
	s_and_saveexec_b32 s17, s0
	s_cbranch_execz .LBB210_749
; %bb.742:                              ;   in Loop: Header=BB210_426 Depth=1
	v_mov_b32_e32 v7, v6
	v_mov_b32_e32 v20, v8
	v_cmp_ne_u16_sdwa s0, v89, v41 src0_sel:BYTE_1 src1_sel:DWORD
	v_mov_b32_e32 v19, v7
	s_and_saveexec_b32 s18, s0
	s_cbranch_execz .LBB210_748
; %bb.743:                              ;   in Loop: Header=BB210_426 Depth=1
	v_and_b32_sdwa v5, v42, v89 dst_sel:DWORD dst_unused:UNUSED_PAD src0_sel:DWORD src1_sel:BYTE_1
	v_mov_b32_e32 v9, v6
	v_mov_b32_e32 v20, v10
	s_mov_b32 s21, exec_lo
	v_and_b32_e32 v21, 0x7f, v5
	v_mov_b32_e32 v19, v9
	v_cmpx_ne_u32_e32 0x7f, v21
	s_cbranch_execz .LBB210_747
; %bb.744:                              ;   in Loop: Header=BB210_426 Depth=1
	v_and_b32_e32 v5, 7, v5
	v_lshrrev_b32_e32 v7, 3, v21
	s_mov_b32 s22, exec_lo
	v_cmpx_gt_u32_e32 8, v21
; %bb.745:                              ;   in Loop: Header=BB210_426 Depth=1
	v_ffbh_u32_e32 v7, v5
	v_min_u32_e32 v7, 32, v7
	v_subrev_nc_u32_e32 v9, 28, v7
	v_sub_nc_u32_e32 v7, 29, v7
	v_lshlrev_b64 v[19:20], v9, v[5:6]
	v_and_b32_e32 v5, 7, v19
; %bb.746:                              ;   in Loop: Header=BB210_426 Depth=1
	s_or_b32 exec_lo, exec_lo, s22
	v_lshlrev_b32_e32 v9, 16, v89
	v_lshlrev_b32_e32 v5, 20, v5
	v_lshl_add_u32 v7, v7, 23, 0x3c000000
	v_mov_b32_e32 v19, v6
	v_and_b32_e32 v9, 0x80000000, v9
	v_or3_b32 v20, v5, v9, v7
.LBB210_747:                            ;   in Loop: Header=BB210_426 Depth=1
	s_or_b32 exec_lo, exec_lo, s21
.LBB210_748:                            ;   in Loop: Header=BB210_426 Depth=1
	s_or_b32 exec_lo, exec_lo, s18
.LBB210_749:                            ;   in Loop: Header=BB210_426 Depth=1
	s_or_b32 exec_lo, exec_lo, s17
	v_mov_b32_e32 v23, 0
	v_mov_b32_e32 v21, 0
	v_and_b32_sdwa v5, v89, v43 dst_sel:DWORD dst_unused:UNUSED_PAD src0_sel:WORD_1 src1_sel:DWORD
	v_mov_b32_e32 v24, 0
	v_mov_b32_e32 v22, 0
	s_mov_b32 s17, exec_lo
	v_cmpx_ne_u16_e32 0, v5
	s_cbranch_execz .LBB210_757
; %bb.750:                              ;   in Loop: Header=BB210_426 Depth=1
	v_bfrev_b32_e32 v21, 1
	v_mov_b32_e32 v22, 0
	s_mov_b32 s18, exec_lo
	v_cmpx_ne_u16_e32 0x80, v5
	s_cbranch_execz .LBB210_756
; %bb.751:                              ;   in Loop: Header=BB210_426 Depth=1
	v_mov_b32_e32 v21, 0x7f800001
	v_bfe_u32 v9, v89, 16, 7
	v_mov_b32_e32 v22, 0
	s_mov_b32 s21, exec_lo
	v_cmpx_ne_u32_e32 0x7f, v9
	s_cbranch_execz .LBB210_755
; %bb.752:                              ;   in Loop: Header=BB210_426 Depth=1
	v_and_b32_sdwa v5, v89, v44 dst_sel:DWORD dst_unused:UNUSED_PAD src0_sel:WORD_1 src1_sel:DWORD
	v_lshrrev_b32_e32 v7, 3, v9
	s_mov_b32 s22, exec_lo
	v_cmpx_gt_u32_e32 8, v9
; %bb.753:                              ;   in Loop: Header=BB210_426 Depth=1
	v_ffbh_u32_e32 v7, v5
	v_min_u32_e32 v7, 32, v7
	v_subrev_nc_u32_e32 v9, 28, v7
	v_sub_nc_u32_e32 v7, 29, v7
	v_lshlrev_b64 v[21:22], v9, v[5:6]
	v_and_b32_e32 v5, 7, v21
; %bb.754:                              ;   in Loop: Header=BB210_426 Depth=1
	s_or_b32 exec_lo, exec_lo, s22
	v_lshlrev_b32_sdwa v9, v45, v89 dst_sel:DWORD dst_unused:UNUSED_PAD src0_sel:DWORD src1_sel:WORD_1
	v_lshlrev_b32_e32 v5, 20, v5
	v_lshl_add_u32 v7, v7, 23, 0x3c000000
	v_and_b32_e32 v9, 0x80000000, v9
	v_or3_b32 v5, v5, v9, v7
	v_mov_b32_e32 v22, v6
	v_mov_b32_e32 v21, v5
.LBB210_755:                            ;   in Loop: Header=BB210_426 Depth=1
	s_or_b32 exec_lo, exec_lo, s21
.LBB210_756:                            ;   in Loop: Header=BB210_426 Depth=1
	s_or_b32 exec_lo, exec_lo, s18
.LBB210_757:                            ;   in Loop: Header=BB210_426 Depth=1
	s_or_b32 exec_lo, exec_lo, s17
	s_mov_b32 s17, exec_lo
	v_cmpx_lt_u32_e32 0xffffff, v89
	s_cbranch_execz .LBB210_765
; %bb.758:                              ;   in Loop: Header=BB210_426 Depth=1
	v_mov_b32_e32 v7, v6
	v_mov_b32_e32 v24, v8
	v_cmp_ne_u32_sdwa s0, v89, v41 src0_sel:BYTE_3 src1_sel:DWORD
	v_mov_b32_e32 v23, v7
	s_and_saveexec_b32 s18, s0
	s_cbranch_execz .LBB210_764
; %bb.759:                              ;   in Loop: Header=BB210_426 Depth=1
	v_mov_b32_e32 v9, v6
	v_mov_b32_e32 v24, v10
	v_bfe_u32 v90, v89, 24, 7
	s_mov_b32 s21, exec_lo
	v_mov_b32_e32 v23, v9
	v_cmpx_ne_u32_e32 0x7f, v90
	s_cbranch_execz .LBB210_763
; %bb.760:                              ;   in Loop: Header=BB210_426 Depth=1
	v_and_b32_sdwa v5, v89, v44 dst_sel:DWORD dst_unused:UNUSED_PAD src0_sel:BYTE_3 src1_sel:DWORD
	v_lshrrev_b32_e32 v7, 3, v90
	s_mov_b32 s22, exec_lo
	v_cmpx_gt_u32_e32 8, v90
; %bb.761:                              ;   in Loop: Header=BB210_426 Depth=1
	v_ffbh_u32_e32 v7, v5
	v_min_u32_e32 v7, 32, v7
	v_subrev_nc_u32_e32 v9, 28, v7
	v_sub_nc_u32_e32 v7, 29, v7
	v_lshlrev_b64 v[23:24], v9, v[5:6]
	v_and_b32_e32 v5, 7, v23
; %bb.762:                              ;   in Loop: Header=BB210_426 Depth=1
	s_or_b32 exec_lo, exec_lo, s22
	v_lshlrev_b32_sdwa v9, v45, v89 dst_sel:DWORD dst_unused:UNUSED_PAD src0_sel:DWORD src1_sel:BYTE_3
	v_lshlrev_b32_e32 v5, 20, v5
	v_lshl_add_u32 v7, v7, 23, 0x3c000000
	v_mov_b32_e32 v23, v6
	v_and_b32_e32 v9, 0x80000000, v9
	v_or3_b32 v24, v5, v9, v7
.LBB210_763:                            ;   in Loop: Header=BB210_426 Depth=1
	s_or_b32 exec_lo, exec_lo, s21
.LBB210_764:                            ;   in Loop: Header=BB210_426 Depth=1
	s_or_b32 exec_lo, exec_lo, s18
.LBB210_765:                            ;   in Loop: Header=BB210_426 Depth=1
	s_or_b32 exec_lo, exec_lo, s17
	v_or_b32_e32 v5, v20, v18
	v_or_b32_e32 v7, v19, v17
	;; [unrolled: 1-line block ×4, first 2 shown]
	v_mul_f32_e32 v91, s13, v5
	v_mul_f32_e32 v92, s12, v7
	;; [unrolled: 1-line block ×4, first 2 shown]
	s_and_saveexec_b32 s17, vcc_lo
	s_cbranch_execz .LBB210_767
; %bb.766:                              ;   in Loop: Header=BB210_426 Depth=1
	v_cmp_gt_i32_e64 s0, s31, v53
	v_cndmask_b32_e64 v92, 0, v92, s0
	v_cmp_gt_i32_e64 s0, s31, v56
	v_cndmask_b32_e64 v91, 0, v91, s0
	;; [unrolled: 2-line block ×4, first 2 shown]
.LBB210_767:                            ;   in Loop: Header=BB210_426 Depth=1
	s_or_b32 exec_lo, exec_lo, s17
	global_load_dword v93, v[15:16], off offset:1280
	v_mov_b32_e32 v19, 0
	v_mov_b32_e32 v17, 0
	;; [unrolled: 1-line block ×4, first 2 shown]
	s_waitcnt vmcnt(0)
	v_cmp_ne_u16_sdwa s0, v93, v6 src0_sel:BYTE_0 src1_sel:DWORD
	s_and_saveexec_b32 s17, s0
	s_cbranch_execz .LBB210_775
; %bb.768:                              ;   in Loop: Header=BB210_426 Depth=1
	v_bfrev_b32_e32 v17, 1
	v_mov_b32_e32 v18, 0
	v_cmp_ne_u16_sdwa s0, v93, v41 src0_sel:BYTE_0 src1_sel:DWORD
	s_and_saveexec_b32 s18, s0
	s_cbranch_execz .LBB210_774
; %bb.769:                              ;   in Loop: Header=BB210_426 Depth=1
	v_mov_b32_e32 v17, 0x7f800001
	v_and_b32_e32 v9, 0x7f, v93
	v_mov_b32_e32 v18, 0
	s_mov_b32 s21, exec_lo
	v_cmpx_ne_u32_e32 0x7f, v9
	s_cbranch_execz .LBB210_773
; %bb.770:                              ;   in Loop: Header=BB210_426 Depth=1
	v_and_b32_e32 v5, 7, v93
	v_lshrrev_b32_e32 v7, 3, v9
	s_mov_b32 s22, exec_lo
	v_cmpx_gt_u32_e32 8, v9
; %bb.771:                              ;   in Loop: Header=BB210_426 Depth=1
	v_ffbh_u32_e32 v7, v5
	v_min_u32_e32 v7, 32, v7
	v_subrev_nc_u32_e32 v9, 28, v7
	v_sub_nc_u32_e32 v7, 29, v7
	v_lshlrev_b64 v[17:18], v9, v[5:6]
	v_and_b32_e32 v5, 7, v17
; %bb.772:                              ;   in Loop: Header=BB210_426 Depth=1
	s_or_b32 exec_lo, exec_lo, s22
	v_lshlrev_b32_e32 v9, 24, v93
	v_lshlrev_b32_e32 v5, 20, v5
	v_lshl_add_u32 v7, v7, 23, 0x3c000000
	v_and_b32_e32 v9, 0x80000000, v9
	v_or3_b32 v5, v5, v9, v7
	v_mov_b32_e32 v18, v6
	v_mov_b32_e32 v17, v5
.LBB210_773:                            ;   in Loop: Header=BB210_426 Depth=1
	s_or_b32 exec_lo, exec_lo, s21
.LBB210_774:                            ;   in Loop: Header=BB210_426 Depth=1
	s_or_b32 exec_lo, exec_lo, s18
.LBB210_775:                            ;   in Loop: Header=BB210_426 Depth=1
	s_or_b32 exec_lo, exec_lo, s17
	v_cmp_ne_u16_sdwa s0, v93, v6 src0_sel:BYTE_1 src1_sel:DWORD
	s_and_saveexec_b32 s17, s0
	s_cbranch_execz .LBB210_783
; %bb.776:                              ;   in Loop: Header=BB210_426 Depth=1
	v_mov_b32_e32 v7, v6
	v_mov_b32_e32 v20, v8
	v_cmp_ne_u16_sdwa s0, v93, v41 src0_sel:BYTE_1 src1_sel:DWORD
	v_mov_b32_e32 v19, v7
	s_and_saveexec_b32 s18, s0
	s_cbranch_execz .LBB210_782
; %bb.777:                              ;   in Loop: Header=BB210_426 Depth=1
	v_and_b32_sdwa v5, v42, v93 dst_sel:DWORD dst_unused:UNUSED_PAD src0_sel:DWORD src1_sel:BYTE_1
	v_mov_b32_e32 v9, v6
	v_mov_b32_e32 v20, v10
	s_mov_b32 s21, exec_lo
	v_and_b32_e32 v21, 0x7f, v5
	v_mov_b32_e32 v19, v9
	v_cmpx_ne_u32_e32 0x7f, v21
	s_cbranch_execz .LBB210_781
; %bb.778:                              ;   in Loop: Header=BB210_426 Depth=1
	v_and_b32_e32 v5, 7, v5
	v_lshrrev_b32_e32 v7, 3, v21
	s_mov_b32 s22, exec_lo
	v_cmpx_gt_u32_e32 8, v21
; %bb.779:                              ;   in Loop: Header=BB210_426 Depth=1
	v_ffbh_u32_e32 v7, v5
	v_min_u32_e32 v7, 32, v7
	v_subrev_nc_u32_e32 v9, 28, v7
	v_sub_nc_u32_e32 v7, 29, v7
	v_lshlrev_b64 v[19:20], v9, v[5:6]
	v_and_b32_e32 v5, 7, v19
; %bb.780:                              ;   in Loop: Header=BB210_426 Depth=1
	s_or_b32 exec_lo, exec_lo, s22
	v_lshlrev_b32_e32 v9, 16, v93
	v_lshlrev_b32_e32 v5, 20, v5
	v_lshl_add_u32 v7, v7, 23, 0x3c000000
	v_mov_b32_e32 v19, v6
	v_and_b32_e32 v9, 0x80000000, v9
	v_or3_b32 v20, v5, v9, v7
.LBB210_781:                            ;   in Loop: Header=BB210_426 Depth=1
	s_or_b32 exec_lo, exec_lo, s21
.LBB210_782:                            ;   in Loop: Header=BB210_426 Depth=1
	s_or_b32 exec_lo, exec_lo, s18
.LBB210_783:                            ;   in Loop: Header=BB210_426 Depth=1
	s_or_b32 exec_lo, exec_lo, s17
	v_mov_b32_e32 v23, 0
	v_mov_b32_e32 v21, 0
	v_and_b32_sdwa v5, v93, v43 dst_sel:DWORD dst_unused:UNUSED_PAD src0_sel:WORD_1 src1_sel:DWORD
	v_mov_b32_e32 v24, 0
	v_mov_b32_e32 v22, 0
	s_mov_b32 s17, exec_lo
	v_cmpx_ne_u16_e32 0, v5
	s_cbranch_execz .LBB210_791
; %bb.784:                              ;   in Loop: Header=BB210_426 Depth=1
	v_bfrev_b32_e32 v21, 1
	v_mov_b32_e32 v22, 0
	s_mov_b32 s18, exec_lo
	v_cmpx_ne_u16_e32 0x80, v5
	s_cbranch_execz .LBB210_790
; %bb.785:                              ;   in Loop: Header=BB210_426 Depth=1
	v_mov_b32_e32 v21, 0x7f800001
	v_bfe_u32 v9, v93, 16, 7
	v_mov_b32_e32 v22, 0
	s_mov_b32 s21, exec_lo
	v_cmpx_ne_u32_e32 0x7f, v9
	s_cbranch_execz .LBB210_789
; %bb.786:                              ;   in Loop: Header=BB210_426 Depth=1
	v_and_b32_sdwa v5, v93, v44 dst_sel:DWORD dst_unused:UNUSED_PAD src0_sel:WORD_1 src1_sel:DWORD
	v_lshrrev_b32_e32 v7, 3, v9
	s_mov_b32 s22, exec_lo
	v_cmpx_gt_u32_e32 8, v9
; %bb.787:                              ;   in Loop: Header=BB210_426 Depth=1
	v_ffbh_u32_e32 v7, v5
	v_min_u32_e32 v7, 32, v7
	v_subrev_nc_u32_e32 v9, 28, v7
	v_sub_nc_u32_e32 v7, 29, v7
	v_lshlrev_b64 v[21:22], v9, v[5:6]
	v_and_b32_e32 v5, 7, v21
; %bb.788:                              ;   in Loop: Header=BB210_426 Depth=1
	s_or_b32 exec_lo, exec_lo, s22
	v_lshlrev_b32_sdwa v9, v45, v93 dst_sel:DWORD dst_unused:UNUSED_PAD src0_sel:DWORD src1_sel:WORD_1
	v_lshlrev_b32_e32 v5, 20, v5
	v_lshl_add_u32 v7, v7, 23, 0x3c000000
	v_and_b32_e32 v9, 0x80000000, v9
	v_or3_b32 v5, v5, v9, v7
	v_mov_b32_e32 v22, v6
	v_mov_b32_e32 v21, v5
.LBB210_789:                            ;   in Loop: Header=BB210_426 Depth=1
	s_or_b32 exec_lo, exec_lo, s21
.LBB210_790:                            ;   in Loop: Header=BB210_426 Depth=1
	s_or_b32 exec_lo, exec_lo, s18
.LBB210_791:                            ;   in Loop: Header=BB210_426 Depth=1
	s_or_b32 exec_lo, exec_lo, s17
	s_mov_b32 s17, exec_lo
	v_cmpx_lt_u32_e32 0xffffff, v93
	s_cbranch_execz .LBB210_799
; %bb.792:                              ;   in Loop: Header=BB210_426 Depth=1
	v_mov_b32_e32 v7, v6
	v_mov_b32_e32 v24, v8
	v_cmp_ne_u32_sdwa s0, v93, v41 src0_sel:BYTE_3 src1_sel:DWORD
	v_mov_b32_e32 v23, v7
	s_and_saveexec_b32 s18, s0
	s_cbranch_execz .LBB210_798
; %bb.793:                              ;   in Loop: Header=BB210_426 Depth=1
	v_mov_b32_e32 v9, v6
	v_mov_b32_e32 v24, v10
	v_bfe_u32 v94, v93, 24, 7
	s_mov_b32 s21, exec_lo
	v_mov_b32_e32 v23, v9
	v_cmpx_ne_u32_e32 0x7f, v94
	s_cbranch_execz .LBB210_797
; %bb.794:                              ;   in Loop: Header=BB210_426 Depth=1
	v_and_b32_sdwa v5, v93, v44 dst_sel:DWORD dst_unused:UNUSED_PAD src0_sel:BYTE_3 src1_sel:DWORD
	v_lshrrev_b32_e32 v7, 3, v94
	s_mov_b32 s22, exec_lo
	v_cmpx_gt_u32_e32 8, v94
; %bb.795:                              ;   in Loop: Header=BB210_426 Depth=1
	v_ffbh_u32_e32 v7, v5
	v_min_u32_e32 v7, 32, v7
	v_subrev_nc_u32_e32 v9, 28, v7
	v_sub_nc_u32_e32 v7, 29, v7
	v_lshlrev_b64 v[23:24], v9, v[5:6]
	v_and_b32_e32 v5, 7, v23
; %bb.796:                              ;   in Loop: Header=BB210_426 Depth=1
	s_or_b32 exec_lo, exec_lo, s22
	v_lshlrev_b32_sdwa v9, v45, v93 dst_sel:DWORD dst_unused:UNUSED_PAD src0_sel:DWORD src1_sel:BYTE_3
	v_lshlrev_b32_e32 v5, 20, v5
	v_lshl_add_u32 v7, v7, 23, 0x3c000000
	v_mov_b32_e32 v23, v6
	v_and_b32_e32 v9, 0x80000000, v9
	v_or3_b32 v24, v5, v9, v7
.LBB210_797:                            ;   in Loop: Header=BB210_426 Depth=1
	s_or_b32 exec_lo, exec_lo, s21
.LBB210_798:                            ;   in Loop: Header=BB210_426 Depth=1
	s_or_b32 exec_lo, exec_lo, s18
.LBB210_799:                            ;   in Loop: Header=BB210_426 Depth=1
	s_or_b32 exec_lo, exec_lo, s17
	v_or_b32_e32 v5, v20, v18
	v_or_b32_e32 v7, v19, v17
	;; [unrolled: 1-line block ×4, first 2 shown]
	v_mul_f32_e32 v93, s13, v5
	v_mul_f32_e32 v94, s12, v7
	;; [unrolled: 1-line block ×4, first 2 shown]
	s_and_saveexec_b32 s17, vcc_lo
	s_cbranch_execz .LBB210_801
; %bb.800:                              ;   in Loop: Header=BB210_426 Depth=1
	v_cmp_gt_i32_e64 s0, s31, v53
	v_cndmask_b32_e64 v94, 0, v94, s0
	v_cmp_gt_i32_e64 s0, s31, v56
	v_cndmask_b32_e64 v93, 0, v93, s0
	;; [unrolled: 2-line block ×4, first 2 shown]
.LBB210_801:                            ;   in Loop: Header=BB210_426 Depth=1
	s_or_b32 exec_lo, exec_lo, s17
	global_load_dword v95, v[15:16], off offset:1408
	v_mov_b32_e32 v17, 0
	v_mov_b32_e32 v15, 0
	;; [unrolled: 1-line block ×4, first 2 shown]
	s_waitcnt vmcnt(0)
	v_cmp_ne_u16_sdwa s0, v95, v6 src0_sel:BYTE_0 src1_sel:DWORD
	s_and_saveexec_b32 s17, s0
	s_cbranch_execz .LBB210_809
; %bb.802:                              ;   in Loop: Header=BB210_426 Depth=1
	v_bfrev_b32_e32 v15, 1
	v_mov_b32_e32 v16, 0
	v_cmp_ne_u16_sdwa s0, v95, v41 src0_sel:BYTE_0 src1_sel:DWORD
	s_and_saveexec_b32 s18, s0
	s_cbranch_execz .LBB210_808
; %bb.803:                              ;   in Loop: Header=BB210_426 Depth=1
	v_mov_b32_e32 v15, 0x7f800001
	v_and_b32_e32 v9, 0x7f, v95
	v_mov_b32_e32 v16, 0
	s_mov_b32 s21, exec_lo
	v_cmpx_ne_u32_e32 0x7f, v9
	s_cbranch_execz .LBB210_807
; %bb.804:                              ;   in Loop: Header=BB210_426 Depth=1
	v_and_b32_e32 v5, 7, v95
	v_lshrrev_b32_e32 v7, 3, v9
	s_mov_b32 s22, exec_lo
	v_cmpx_gt_u32_e32 8, v9
; %bb.805:                              ;   in Loop: Header=BB210_426 Depth=1
	v_ffbh_u32_e32 v7, v5
	v_min_u32_e32 v7, 32, v7
	v_subrev_nc_u32_e32 v9, 28, v7
	v_sub_nc_u32_e32 v7, 29, v7
	v_lshlrev_b64 v[15:16], v9, v[5:6]
	v_and_b32_e32 v5, 7, v15
; %bb.806:                              ;   in Loop: Header=BB210_426 Depth=1
	s_or_b32 exec_lo, exec_lo, s22
	v_lshlrev_b32_e32 v9, 24, v95
	v_lshlrev_b32_e32 v5, 20, v5
	v_lshl_add_u32 v7, v7, 23, 0x3c000000
	v_and_b32_e32 v9, 0x80000000, v9
	v_or3_b32 v5, v5, v9, v7
	v_mov_b32_e32 v16, v6
	v_mov_b32_e32 v15, v5
.LBB210_807:                            ;   in Loop: Header=BB210_426 Depth=1
	s_or_b32 exec_lo, exec_lo, s21
.LBB210_808:                            ;   in Loop: Header=BB210_426 Depth=1
	s_or_b32 exec_lo, exec_lo, s18
.LBB210_809:                            ;   in Loop: Header=BB210_426 Depth=1
	s_or_b32 exec_lo, exec_lo, s17
	v_cmp_ne_u16_sdwa s0, v95, v6 src0_sel:BYTE_1 src1_sel:DWORD
	s_and_saveexec_b32 s17, s0
	s_cbranch_execz .LBB210_817
; %bb.810:                              ;   in Loop: Header=BB210_426 Depth=1
	v_mov_b32_e32 v7, v6
	v_mov_b32_e32 v18, v8
	v_cmp_ne_u16_sdwa s0, v95, v41 src0_sel:BYTE_1 src1_sel:DWORD
	v_mov_b32_e32 v17, v7
	s_and_saveexec_b32 s18, s0
	s_cbranch_execz .LBB210_816
; %bb.811:                              ;   in Loop: Header=BB210_426 Depth=1
	v_and_b32_sdwa v5, v42, v95 dst_sel:DWORD dst_unused:UNUSED_PAD src0_sel:DWORD src1_sel:BYTE_1
	v_mov_b32_e32 v9, v6
	v_mov_b32_e32 v18, v10
	s_mov_b32 s21, exec_lo
	v_and_b32_e32 v19, 0x7f, v5
	v_mov_b32_e32 v17, v9
	v_cmpx_ne_u32_e32 0x7f, v19
	s_cbranch_execz .LBB210_815
; %bb.812:                              ;   in Loop: Header=BB210_426 Depth=1
	v_and_b32_e32 v5, 7, v5
	v_lshrrev_b32_e32 v7, 3, v19
	s_mov_b32 s22, exec_lo
	v_cmpx_gt_u32_e32 8, v19
; %bb.813:                              ;   in Loop: Header=BB210_426 Depth=1
	v_ffbh_u32_e32 v7, v5
	v_min_u32_e32 v7, 32, v7
	v_subrev_nc_u32_e32 v9, 28, v7
	v_sub_nc_u32_e32 v7, 29, v7
	v_lshlrev_b64 v[17:18], v9, v[5:6]
	v_and_b32_e32 v5, 7, v17
; %bb.814:                              ;   in Loop: Header=BB210_426 Depth=1
	s_or_b32 exec_lo, exec_lo, s22
	v_lshlrev_b32_e32 v9, 16, v95
	v_lshlrev_b32_e32 v5, 20, v5
	v_lshl_add_u32 v7, v7, 23, 0x3c000000
	v_mov_b32_e32 v17, v6
	v_and_b32_e32 v9, 0x80000000, v9
	v_or3_b32 v18, v5, v9, v7
.LBB210_815:                            ;   in Loop: Header=BB210_426 Depth=1
	s_or_b32 exec_lo, exec_lo, s21
.LBB210_816:                            ;   in Loop: Header=BB210_426 Depth=1
	s_or_b32 exec_lo, exec_lo, s18
.LBB210_817:                            ;   in Loop: Header=BB210_426 Depth=1
	s_or_b32 exec_lo, exec_lo, s17
	v_mov_b32_e32 v21, 0
	v_mov_b32_e32 v19, 0
	v_and_b32_sdwa v5, v95, v43 dst_sel:DWORD dst_unused:UNUSED_PAD src0_sel:WORD_1 src1_sel:DWORD
	v_mov_b32_e32 v22, 0
	v_mov_b32_e32 v20, 0
	s_mov_b32 s17, exec_lo
	v_cmpx_ne_u16_e32 0, v5
	s_cbranch_execz .LBB210_825
; %bb.818:                              ;   in Loop: Header=BB210_426 Depth=1
	v_bfrev_b32_e32 v19, 1
	v_mov_b32_e32 v20, 0
	s_mov_b32 s18, exec_lo
	v_cmpx_ne_u16_e32 0x80, v5
	s_cbranch_execz .LBB210_824
; %bb.819:                              ;   in Loop: Header=BB210_426 Depth=1
	v_mov_b32_e32 v19, 0x7f800001
	v_bfe_u32 v9, v95, 16, 7
	v_mov_b32_e32 v20, 0
	s_mov_b32 s21, exec_lo
	v_cmpx_ne_u32_e32 0x7f, v9
	s_cbranch_execz .LBB210_823
; %bb.820:                              ;   in Loop: Header=BB210_426 Depth=1
	v_and_b32_sdwa v5, v95, v44 dst_sel:DWORD dst_unused:UNUSED_PAD src0_sel:WORD_1 src1_sel:DWORD
	v_lshrrev_b32_e32 v7, 3, v9
	s_mov_b32 s22, exec_lo
	v_cmpx_gt_u32_e32 8, v9
; %bb.821:                              ;   in Loop: Header=BB210_426 Depth=1
	v_ffbh_u32_e32 v7, v5
	v_min_u32_e32 v7, 32, v7
	v_subrev_nc_u32_e32 v9, 28, v7
	v_sub_nc_u32_e32 v7, 29, v7
	v_lshlrev_b64 v[19:20], v9, v[5:6]
	v_and_b32_e32 v5, 7, v19
; %bb.822:                              ;   in Loop: Header=BB210_426 Depth=1
	s_or_b32 exec_lo, exec_lo, s22
	v_lshlrev_b32_sdwa v9, v45, v95 dst_sel:DWORD dst_unused:UNUSED_PAD src0_sel:DWORD src1_sel:WORD_1
	v_lshlrev_b32_e32 v5, 20, v5
	v_lshl_add_u32 v7, v7, 23, 0x3c000000
	v_and_b32_e32 v9, 0x80000000, v9
	v_or3_b32 v5, v5, v9, v7
	v_mov_b32_e32 v20, v6
	v_mov_b32_e32 v19, v5
.LBB210_823:                            ;   in Loop: Header=BB210_426 Depth=1
	s_or_b32 exec_lo, exec_lo, s21
.LBB210_824:                            ;   in Loop: Header=BB210_426 Depth=1
	s_or_b32 exec_lo, exec_lo, s18
.LBB210_825:                            ;   in Loop: Header=BB210_426 Depth=1
	s_or_b32 exec_lo, exec_lo, s17
	s_mov_b32 s17, exec_lo
	v_cmpx_lt_u32_e32 0xffffff, v95
	s_cbranch_execz .LBB210_833
; %bb.826:                              ;   in Loop: Header=BB210_426 Depth=1
	v_mov_b32_e32 v7, v6
	v_mov_b32_e32 v22, v8
	v_cmp_ne_u32_sdwa s0, v95, v41 src0_sel:BYTE_3 src1_sel:DWORD
	v_mov_b32_e32 v21, v7
	s_and_saveexec_b32 s18, s0
	s_cbranch_execz .LBB210_832
; %bb.827:                              ;   in Loop: Header=BB210_426 Depth=1
	v_mov_b32_e32 v9, v6
	v_mov_b32_e32 v22, v10
	v_bfe_u32 v96, v95, 24, 7
	s_mov_b32 s21, exec_lo
	v_mov_b32_e32 v21, v9
	v_cmpx_ne_u32_e32 0x7f, v96
	s_cbranch_execz .LBB210_831
; %bb.828:                              ;   in Loop: Header=BB210_426 Depth=1
	v_and_b32_sdwa v5, v95, v44 dst_sel:DWORD dst_unused:UNUSED_PAD src0_sel:BYTE_3 src1_sel:DWORD
	v_lshrrev_b32_e32 v7, 3, v96
	s_mov_b32 s22, exec_lo
	v_cmpx_gt_u32_e32 8, v96
; %bb.829:                              ;   in Loop: Header=BB210_426 Depth=1
	v_ffbh_u32_e32 v7, v5
	v_min_u32_e32 v7, 32, v7
	v_subrev_nc_u32_e32 v9, 28, v7
	v_sub_nc_u32_e32 v7, 29, v7
	v_lshlrev_b64 v[21:22], v9, v[5:6]
	v_and_b32_e32 v5, 7, v21
; %bb.830:                              ;   in Loop: Header=BB210_426 Depth=1
	s_or_b32 exec_lo, exec_lo, s22
	v_lshlrev_b32_sdwa v9, v45, v95 dst_sel:DWORD dst_unused:UNUSED_PAD src0_sel:DWORD src1_sel:BYTE_3
	v_lshlrev_b32_e32 v5, 20, v5
	v_lshl_add_u32 v7, v7, 23, 0x3c000000
	v_mov_b32_e32 v21, v6
	v_and_b32_e32 v9, 0x80000000, v9
	v_or3_b32 v22, v5, v9, v7
.LBB210_831:                            ;   in Loop: Header=BB210_426 Depth=1
	s_or_b32 exec_lo, exec_lo, s21
.LBB210_832:                            ;   in Loop: Header=BB210_426 Depth=1
	s_or_b32 exec_lo, exec_lo, s18
.LBB210_833:                            ;   in Loop: Header=BB210_426 Depth=1
	s_or_b32 exec_lo, exec_lo, s17
	v_or_b32_e32 v5, v18, v16
	v_or_b32_e32 v7, v17, v15
	;; [unrolled: 1-line block ×4, first 2 shown]
	v_mul_f32_e32 v9, s13, v5
	v_mul_f32_e32 v15, s12, v7
	;; [unrolled: 1-line block ×4, first 2 shown]
	s_and_saveexec_b32 s0, vcc_lo
	s_cbranch_execz .LBB210_424
; %bb.834:                              ;   in Loop: Header=BB210_426 Depth=1
	v_cmp_gt_i32_e32 vcc_lo, s31, v53
	v_cndmask_b32_e32 v15, 0, v15, vcc_lo
	v_cmp_gt_i32_e32 vcc_lo, s31, v56
	v_cndmask_b32_e32 v9, 0, v9, vcc_lo
	;; [unrolled: 2-line block ×4, first 2 shown]
	s_branch .LBB210_424
.LBB210_835:
	s_or_b32 exec_lo, exec_lo, s5
.LBB210_836:
	s_or_b32 exec_lo, exec_lo, s1
	ds_bpermute_b32 v2, v25, v39
	ds_bpermute_b32 v11, v25, v29
	;; [unrolled: 1-line block ×12, first 2 shown]
	s_mov_b32 s0, exec_lo
	s_waitcnt lgkmcnt(11)
	v_add_f32_e32 v2, v39, v2
	s_waitcnt lgkmcnt(10)
	v_add_f32_e32 v11, v29, v11
	;; [unrolled: 2-line block ×5, first 2 shown]
	ds_bpermute_b32 v14, v26, v2
	ds_bpermute_b32 v23, v26, v11
	s_waitcnt lgkmcnt(8)
	v_add_f32_e32 v5, v35, v5
	s_waitcnt lgkmcnt(7)
	v_add_f32_e32 v6, v34, v6
	;; [unrolled: 2-line block ×7, first 2 shown]
	ds_bpermute_b32 v13, v26, v1
	ds_bpermute_b32 v15, v26, v3
	;; [unrolled: 1-line block ×10, first 2 shown]
	s_waitcnt lgkmcnt(11)
	v_add_f32_e32 v2, v2, v14
	s_waitcnt lgkmcnt(10)
	v_add_f32_e32 v11, v11, v23
	s_clause 0x1
	buffer_load_dword v23, off, s[56:59], 0 offset:148
	buffer_load_dword v14, off, s[56:59], 0 offset:160
	s_waitcnt vmcnt(0) lgkmcnt(0)
	s_waitcnt_vscnt null, 0x0
	s_barrier
	buffer_gl0_inv
	v_add_f32_e32 v1, v1, v13
	v_and_b32_e32 v13, 28, v0
	v_add_f32_e32 v3, v3, v15
	v_add_f32_e32 v4, v4, v16
	;; [unrolled: 1-line block ×9, first 2 shown]
	v_lshrrev_b32_e32 v0, 2, v0
	v_add_nc_u32_e32 v13, 0x1a0, v13
	v_and_b32_e32 v15, 0x3c3, v23
	v_mul_u32_u24_e32 v14, 0x180, v14
	v_cmpx_eq_u32_e32 64, v15
	s_cbranch_execz .LBB210_838
; %bb.837:
	v_add_nc_u32_e32 v15, v13, v14
	v_add_nc_u32_e32 v16, 0xfffffd00, v15
	;; [unrolled: 1-line block ×8, first 2 shown]
	ds_write_b32 v16, v1
	ds_write_b32 v17, v2
	;; [unrolled: 1-line block ×7, first 2 shown]
	v_add_nc_u32_e32 v16, 0xfffffde0, v15
	v_add_nc_u32_e32 v17, 0xfffffe00, v15
	;; [unrolled: 1-line block ×5, first 2 shown]
	ds_write_b32 v16, v8
	ds_write_b32 v17, v9
	;; [unrolled: 1-line block ×5, first 2 shown]
.LBB210_838:
	s_or_b32 exec_lo, exec_lo, s0
	v_lshlrev_b32_e32 v0, 2, v0
	s_mov_b32 s1, exec_lo
	v_cmp_eq_u32_e32 vcc_lo, 0, v27
	s_waitcnt lgkmcnt(0)
	s_barrier
	v_add3_u32 v0, 0x1a0, v14, v0
	buffer_gl0_inv
	v_cmpx_gt_u32_e32 64, v23
	s_cbranch_execz .LBB210_853
; %bb.839:
	s_and_saveexec_b32 s0, vcc_lo
	s_cbranch_execnz .LBB210_873
; %bb.840:
	s_or_b32 exec_lo, exec_lo, s0
	s_and_saveexec_b32 s0, vcc_lo
	s_cbranch_execnz .LBB210_874
.LBB210_841:
	s_or_b32 exec_lo, exec_lo, s0
	s_and_saveexec_b32 s0, vcc_lo
	s_cbranch_execnz .LBB210_875
.LBB210_842:
	s_or_b32 exec_lo, exec_lo, s0
	s_and_saveexec_b32 s0, vcc_lo
	s_cbranch_execnz .LBB210_876
.LBB210_843:
	s_or_b32 exec_lo, exec_lo, s0
	s_and_saveexec_b32 s0, vcc_lo
	s_cbranch_execnz .LBB210_877
.LBB210_844:
	s_or_b32 exec_lo, exec_lo, s0
	s_and_saveexec_b32 s0, vcc_lo
	s_cbranch_execnz .LBB210_878
.LBB210_845:
	s_or_b32 exec_lo, exec_lo, s0
	s_and_saveexec_b32 s0, vcc_lo
	s_cbranch_execnz .LBB210_879
.LBB210_846:
	s_or_b32 exec_lo, exec_lo, s0
	s_and_saveexec_b32 s0, vcc_lo
	s_cbranch_execnz .LBB210_880
.LBB210_847:
	s_or_b32 exec_lo, exec_lo, s0
	s_and_saveexec_b32 s0, vcc_lo
	s_cbranch_execnz .LBB210_881
.LBB210_848:
	s_or_b32 exec_lo, exec_lo, s0
	s_and_saveexec_b32 s0, vcc_lo
	s_cbranch_execnz .LBB210_882
.LBB210_849:
	s_or_b32 exec_lo, exec_lo, s0
	s_and_saveexec_b32 s0, vcc_lo
	s_cbranch_execnz .LBB210_883
.LBB210_850:
	s_or_b32 exec_lo, exec_lo, s0
	s_and_saveexec_b32 s0, vcc_lo
	s_cbranch_execz .LBB210_852
.LBB210_851:
	ds_read_b32 v14, v0 offset:352
	s_waitcnt lgkmcnt(0)
	v_add_f32_e32 v12, v12, v14
.LBB210_852:
	s_or_b32 exec_lo, exec_lo, s0
.LBB210_853:
	s_or_b32 exec_lo, exec_lo, s1
	v_and_b32_e32 v14, 0x3e3, v23
	s_mov_b32 s1, exec_lo
	s_barrier
	buffer_gl0_inv
	v_cmpx_eq_u32_e32 32, v14
	s_cbranch_execz .LBB210_855
; %bb.854:
	ds_write2_b32 v13, v1, v2 offset1:8
	ds_write2_b32 v13, v3, v4 offset0:16 offset1:24
	ds_write2_b32 v13, v5, v6 offset0:32 offset1:40
	;; [unrolled: 1-line block ×5, first 2 shown]
.LBB210_855:
	s_or_b32 exec_lo, exec_lo, s1
	s_mov_b32 s1, exec_lo
	s_waitcnt lgkmcnt(0)
	s_barrier
	buffer_gl0_inv
	v_cmpx_gt_u32_e32 32, v23
	s_cbranch_execz .LBB210_870
; %bb.856:
	s_and_saveexec_b32 s0, vcc_lo
	s_cbranch_execnz .LBB210_884
; %bb.857:
	s_or_b32 exec_lo, exec_lo, s0
	s_and_saveexec_b32 s0, vcc_lo
	s_cbranch_execnz .LBB210_885
.LBB210_858:
	s_or_b32 exec_lo, exec_lo, s0
	s_and_saveexec_b32 s0, vcc_lo
	s_cbranch_execnz .LBB210_886
.LBB210_859:
	s_or_b32 exec_lo, exec_lo, s0
	s_and_saveexec_b32 s0, vcc_lo
	s_cbranch_execnz .LBB210_887
.LBB210_860:
	s_or_b32 exec_lo, exec_lo, s0
	s_and_saveexec_b32 s0, vcc_lo
	s_cbranch_execnz .LBB210_888
.LBB210_861:
	s_or_b32 exec_lo, exec_lo, s0
	s_and_saveexec_b32 s0, vcc_lo
	s_cbranch_execnz .LBB210_889
.LBB210_862:
	s_or_b32 exec_lo, exec_lo, s0
	s_and_saveexec_b32 s0, vcc_lo
	s_cbranch_execnz .LBB210_890
.LBB210_863:
	s_or_b32 exec_lo, exec_lo, s0
	s_and_saveexec_b32 s0, vcc_lo
	s_cbranch_execnz .LBB210_891
.LBB210_864:
	s_or_b32 exec_lo, exec_lo, s0
	s_and_saveexec_b32 s0, vcc_lo
	s_cbranch_execnz .LBB210_892
.LBB210_865:
	s_or_b32 exec_lo, exec_lo, s0
	s_and_saveexec_b32 s0, vcc_lo
	s_cbranch_execnz .LBB210_893
.LBB210_866:
	s_or_b32 exec_lo, exec_lo, s0
	s_and_saveexec_b32 s0, vcc_lo
	s_cbranch_execnz .LBB210_894
.LBB210_867:
	s_or_b32 exec_lo, exec_lo, s0
	s_and_saveexec_b32 s0, vcc_lo
	s_cbranch_execz .LBB210_869
.LBB210_868:
	ds_read_b32 v0, v0 offset:352
	s_waitcnt lgkmcnt(0)
	v_add_f32_e32 v12, v12, v0
.LBB210_869:
	s_or_b32 exec_lo, exec_lo, s0
.LBB210_870:
	s_or_b32 exec_lo, exec_lo, s1
	s_barrier
	buffer_gl0_inv
	s_mov_b32 s0, exec_lo
	v_cmpx_eq_u32_e32 0, v14
	s_cbranch_execz .LBB210_872
; %bb.871:
	s_mul_i32 s0, s2, 0x60
	s_mul_i32 s2, s7, s10
	s_ashr_i32 s1, s0, 31
	s_lshl_b64 s[0:1], s[0:1], 2
	s_add_u32 s4, s28, s0
	s_addc_u32 s5, s29, s1
	s_ashr_i32 s3, s2, 31
	s_lshl_b64 s[0:1], s[2:3], 2
	s_mul_i32 s2, s8, 0x60
	s_add_u32 s4, s4, s0
	s_addc_u32 s5, s5, s1
	s_ashr_i32 s3, s2, 31
	s_lshl_b64 s[0:1], s[2:3], 2
	s_add_u32 s0, s4, s0
	s_addc_u32 s1, s5, s1
	global_store_dword v23, v1, s[0:1]
	global_store_dword v23, v2, s[0:1] offset:32
	global_store_dword v23, v3, s[0:1] offset:64
	;; [unrolled: 1-line block ×11, first 2 shown]
.LBB210_872:
	s_endpgm
.LBB210_873:
	ds_read_b32 v14, v0
	s_waitcnt lgkmcnt(0)
	v_add_f32_e32 v1, v1, v14
	s_or_b32 exec_lo, exec_lo, s0
	s_and_saveexec_b32 s0, vcc_lo
	s_cbranch_execz .LBB210_841
.LBB210_874:
	ds_read_b32 v14, v0 offset:32
	s_waitcnt lgkmcnt(0)
	v_add_f32_e32 v2, v2, v14
	s_or_b32 exec_lo, exec_lo, s0
	s_and_saveexec_b32 s0, vcc_lo
	s_cbranch_execz .LBB210_842
.LBB210_875:
	ds_read_b32 v14, v0 offset:64
	s_waitcnt lgkmcnt(0)
	v_add_f32_e32 v3, v3, v14
	s_or_b32 exec_lo, exec_lo, s0
	s_and_saveexec_b32 s0, vcc_lo
	s_cbranch_execz .LBB210_843
.LBB210_876:
	ds_read_b32 v14, v0 offset:96
	s_waitcnt lgkmcnt(0)
	v_add_f32_e32 v4, v4, v14
	s_or_b32 exec_lo, exec_lo, s0
	s_and_saveexec_b32 s0, vcc_lo
	s_cbranch_execz .LBB210_844
.LBB210_877:
	ds_read_b32 v14, v0 offset:128
	s_waitcnt lgkmcnt(0)
	v_add_f32_e32 v5, v5, v14
	s_or_b32 exec_lo, exec_lo, s0
	s_and_saveexec_b32 s0, vcc_lo
	s_cbranch_execz .LBB210_845
.LBB210_878:
	ds_read_b32 v14, v0 offset:160
	s_waitcnt lgkmcnt(0)
	v_add_f32_e32 v6, v6, v14
	s_or_b32 exec_lo, exec_lo, s0
	s_and_saveexec_b32 s0, vcc_lo
	s_cbranch_execz .LBB210_846
.LBB210_879:
	ds_read_b32 v14, v0 offset:192
	s_waitcnt lgkmcnt(0)
	v_add_f32_e32 v7, v7, v14
	s_or_b32 exec_lo, exec_lo, s0
	s_and_saveexec_b32 s0, vcc_lo
	s_cbranch_execz .LBB210_847
.LBB210_880:
	ds_read_b32 v14, v0 offset:224
	s_waitcnt lgkmcnt(0)
	v_add_f32_e32 v8, v8, v14
	s_or_b32 exec_lo, exec_lo, s0
	s_and_saveexec_b32 s0, vcc_lo
	s_cbranch_execz .LBB210_848
.LBB210_881:
	ds_read_b32 v14, v0 offset:256
	s_waitcnt lgkmcnt(0)
	v_add_f32_e32 v9, v9, v14
	s_or_b32 exec_lo, exec_lo, s0
	s_and_saveexec_b32 s0, vcc_lo
	s_cbranch_execz .LBB210_849
.LBB210_882:
	ds_read_b32 v14, v0 offset:288
	s_waitcnt lgkmcnt(0)
	v_add_f32_e32 v10, v10, v14
	s_or_b32 exec_lo, exec_lo, s0
	s_and_saveexec_b32 s0, vcc_lo
	s_cbranch_execz .LBB210_850
.LBB210_883:
	ds_read_b32 v14, v0 offset:320
	s_waitcnt lgkmcnt(0)
	v_add_f32_e32 v11, v11, v14
	s_or_b32 exec_lo, exec_lo, s0
	s_and_saveexec_b32 s0, vcc_lo
	s_cbranch_execnz .LBB210_851
	s_branch .LBB210_852
.LBB210_884:
	ds_read_b32 v13, v0
	s_waitcnt lgkmcnt(0)
	v_add_f32_e32 v1, v1, v13
	s_or_b32 exec_lo, exec_lo, s0
	s_and_saveexec_b32 s0, vcc_lo
	s_cbranch_execz .LBB210_858
.LBB210_885:
	ds_read_b32 v13, v0 offset:32
	s_waitcnt lgkmcnt(0)
	v_add_f32_e32 v2, v2, v13
	s_or_b32 exec_lo, exec_lo, s0
	s_and_saveexec_b32 s0, vcc_lo
	s_cbranch_execz .LBB210_859
.LBB210_886:
	ds_read_b32 v13, v0 offset:64
	s_waitcnt lgkmcnt(0)
	v_add_f32_e32 v3, v3, v13
	s_or_b32 exec_lo, exec_lo, s0
	s_and_saveexec_b32 s0, vcc_lo
	s_cbranch_execz .LBB210_860
.LBB210_887:
	ds_read_b32 v13, v0 offset:96
	s_waitcnt lgkmcnt(0)
	v_add_f32_e32 v4, v4, v13
	s_or_b32 exec_lo, exec_lo, s0
	s_and_saveexec_b32 s0, vcc_lo
	s_cbranch_execz .LBB210_861
.LBB210_888:
	ds_read_b32 v13, v0 offset:128
	s_waitcnt lgkmcnt(0)
	v_add_f32_e32 v5, v5, v13
	s_or_b32 exec_lo, exec_lo, s0
	s_and_saveexec_b32 s0, vcc_lo
	s_cbranch_execz .LBB210_862
.LBB210_889:
	ds_read_b32 v13, v0 offset:160
	s_waitcnt lgkmcnt(0)
	v_add_f32_e32 v6, v6, v13
	s_or_b32 exec_lo, exec_lo, s0
	s_and_saveexec_b32 s0, vcc_lo
	s_cbranch_execz .LBB210_863
.LBB210_890:
	ds_read_b32 v13, v0 offset:192
	s_waitcnt lgkmcnt(0)
	v_add_f32_e32 v7, v7, v13
	s_or_b32 exec_lo, exec_lo, s0
	s_and_saveexec_b32 s0, vcc_lo
	s_cbranch_execz .LBB210_864
.LBB210_891:
	ds_read_b32 v13, v0 offset:224
	s_waitcnt lgkmcnt(0)
	v_add_f32_e32 v8, v8, v13
	s_or_b32 exec_lo, exec_lo, s0
	s_and_saveexec_b32 s0, vcc_lo
	s_cbranch_execz .LBB210_865
.LBB210_892:
	ds_read_b32 v13, v0 offset:256
	s_waitcnt lgkmcnt(0)
	v_add_f32_e32 v9, v9, v13
	s_or_b32 exec_lo, exec_lo, s0
	s_and_saveexec_b32 s0, vcc_lo
	s_cbranch_execz .LBB210_866
.LBB210_893:
	ds_read_b32 v13, v0 offset:288
	s_waitcnt lgkmcnt(0)
	v_add_f32_e32 v10, v10, v13
	s_or_b32 exec_lo, exec_lo, s0
	s_and_saveexec_b32 s0, vcc_lo
	s_cbranch_execz .LBB210_867
.LBB210_894:
	ds_read_b32 v13, v0 offset:320
	s_waitcnt lgkmcnt(0)
	v_add_f32_e32 v11, v11, v13
	s_or_b32 exec_lo, exec_lo, s0
	s_and_saveexec_b32 s0, vcc_lo
	s_cbranch_execnz .LBB210_868
	s_branch .LBB210_869
	.section	.rodata,"a",@progbits
	.p2align	6, 0x0
	.amdhsa_kernel _ZN4vllm25paged_attention_v2_kernelIfhLi96ELi16ELi128ELNS_18Fp8KVCacheDataTypeE1ELb1ELi512EEEvPfS2_PT_PKS3_PKT0_S9_ifPKiSB_iPKfiiiSD_SD_iiiii
		.amdhsa_group_segment_fixed_size 416
		.amdhsa_private_segment_fixed_size 172
		.amdhsa_kernarg_size 400
		.amdhsa_user_sgpr_count 6
		.amdhsa_user_sgpr_private_segment_buffer 1
		.amdhsa_user_sgpr_dispatch_ptr 0
		.amdhsa_user_sgpr_queue_ptr 0
		.amdhsa_user_sgpr_kernarg_segment_ptr 1
		.amdhsa_user_sgpr_dispatch_id 0
		.amdhsa_user_sgpr_flat_scratch_init 0
		.amdhsa_user_sgpr_private_segment_size 0
		.amdhsa_wavefront_size32 1
		.amdhsa_uses_dynamic_stack 0
		.amdhsa_system_sgpr_private_segment_wavefront_offset 1
		.amdhsa_system_sgpr_workgroup_id_x 1
		.amdhsa_system_sgpr_workgroup_id_y 1
		.amdhsa_system_sgpr_workgroup_id_z 1
		.amdhsa_system_sgpr_workgroup_info 0
		.amdhsa_system_vgpr_workitem_id 0
		.amdhsa_next_free_vgpr 128
		.amdhsa_next_free_sgpr 60
		.amdhsa_reserve_vcc 1
		.amdhsa_reserve_flat_scratch 0
		.amdhsa_float_round_mode_32 0
		.amdhsa_float_round_mode_16_64 0
		.amdhsa_float_denorm_mode_32 3
		.amdhsa_float_denorm_mode_16_64 3
		.amdhsa_dx10_clamp 1
		.amdhsa_ieee_mode 1
		.amdhsa_fp16_overflow 0
		.amdhsa_workgroup_processor_mode 1
		.amdhsa_memory_ordered 1
		.amdhsa_forward_progress 1
		.amdhsa_shared_vgpr_count 0
		.amdhsa_exception_fp_ieee_invalid_op 0
		.amdhsa_exception_fp_denorm_src 0
		.amdhsa_exception_fp_ieee_div_zero 0
		.amdhsa_exception_fp_ieee_overflow 0
		.amdhsa_exception_fp_ieee_underflow 0
		.amdhsa_exception_fp_ieee_inexact 0
		.amdhsa_exception_int_div_zero 0
	.end_amdhsa_kernel
	.section	.text._ZN4vllm25paged_attention_v2_kernelIfhLi96ELi16ELi128ELNS_18Fp8KVCacheDataTypeE1ELb1ELi512EEEvPfS2_PT_PKS3_PKT0_S9_ifPKiSB_iPKfiiiSD_SD_iiiii,"axG",@progbits,_ZN4vllm25paged_attention_v2_kernelIfhLi96ELi16ELi128ELNS_18Fp8KVCacheDataTypeE1ELb1ELi512EEEvPfS2_PT_PKS3_PKT0_S9_ifPKiSB_iPKfiiiSD_SD_iiiii,comdat
.Lfunc_end210:
	.size	_ZN4vllm25paged_attention_v2_kernelIfhLi96ELi16ELi128ELNS_18Fp8KVCacheDataTypeE1ELb1ELi512EEEvPfS2_PT_PKS3_PKT0_S9_ifPKiSB_iPKfiiiSD_SD_iiiii, .Lfunc_end210-_ZN4vllm25paged_attention_v2_kernelIfhLi96ELi16ELi128ELNS_18Fp8KVCacheDataTypeE1ELb1ELi512EEEvPfS2_PT_PKS3_PKT0_S9_ifPKiSB_iPKfiiiSD_SD_iiiii
                                        ; -- End function
	.set _ZN4vllm25paged_attention_v2_kernelIfhLi96ELi16ELi128ELNS_18Fp8KVCacheDataTypeE1ELb1ELi512EEEvPfS2_PT_PKS3_PKT0_S9_ifPKiSB_iPKfiiiSD_SD_iiiii.num_vgpr, 128
	.set _ZN4vllm25paged_attention_v2_kernelIfhLi96ELi16ELi128ELNS_18Fp8KVCacheDataTypeE1ELb1ELi512EEEvPfS2_PT_PKS3_PKT0_S9_ifPKiSB_iPKfiiiSD_SD_iiiii.num_agpr, 0
	.set _ZN4vllm25paged_attention_v2_kernelIfhLi96ELi16ELi128ELNS_18Fp8KVCacheDataTypeE1ELb1ELi512EEEvPfS2_PT_PKS3_PKT0_S9_ifPKiSB_iPKfiiiSD_SD_iiiii.numbered_sgpr, 60
	.set _ZN4vllm25paged_attention_v2_kernelIfhLi96ELi16ELi128ELNS_18Fp8KVCacheDataTypeE1ELb1ELi512EEEvPfS2_PT_PKS3_PKT0_S9_ifPKiSB_iPKfiiiSD_SD_iiiii.num_named_barrier, 0
	.set _ZN4vllm25paged_attention_v2_kernelIfhLi96ELi16ELi128ELNS_18Fp8KVCacheDataTypeE1ELb1ELi512EEEvPfS2_PT_PKS3_PKT0_S9_ifPKiSB_iPKfiiiSD_SD_iiiii.private_seg_size, 172
	.set _ZN4vllm25paged_attention_v2_kernelIfhLi96ELi16ELi128ELNS_18Fp8KVCacheDataTypeE1ELb1ELi512EEEvPfS2_PT_PKS3_PKT0_S9_ifPKiSB_iPKfiiiSD_SD_iiiii.uses_vcc, 1
	.set _ZN4vllm25paged_attention_v2_kernelIfhLi96ELi16ELi128ELNS_18Fp8KVCacheDataTypeE1ELb1ELi512EEEvPfS2_PT_PKS3_PKT0_S9_ifPKiSB_iPKfiiiSD_SD_iiiii.uses_flat_scratch, 0
	.set _ZN4vllm25paged_attention_v2_kernelIfhLi96ELi16ELi128ELNS_18Fp8KVCacheDataTypeE1ELb1ELi512EEEvPfS2_PT_PKS3_PKT0_S9_ifPKiSB_iPKfiiiSD_SD_iiiii.has_dyn_sized_stack, 0
	.set _ZN4vllm25paged_attention_v2_kernelIfhLi96ELi16ELi128ELNS_18Fp8KVCacheDataTypeE1ELb1ELi512EEEvPfS2_PT_PKS3_PKT0_S9_ifPKiSB_iPKfiiiSD_SD_iiiii.has_recursion, 0
	.set _ZN4vllm25paged_attention_v2_kernelIfhLi96ELi16ELi128ELNS_18Fp8KVCacheDataTypeE1ELb1ELi512EEEvPfS2_PT_PKS3_PKT0_S9_ifPKiSB_iPKfiiiSD_SD_iiiii.has_indirect_call, 0
	.section	.AMDGPU.csdata,"",@progbits
; Kernel info:
; codeLenInByte = 27916
; TotalNumSgprs: 62
; NumVgprs: 128
; ScratchSize: 172
; MemoryBound: 0
; FloatMode: 240
; IeeeMode: 1
; LDSByteSize: 416 bytes/workgroup (compile time only)
; SGPRBlocks: 0
; VGPRBlocks: 15
; NumSGPRsForWavesPerEU: 62
; NumVGPRsForWavesPerEU: 128
; Occupancy: 8
; WaveLimiterHint : 1
; COMPUTE_PGM_RSRC2:SCRATCH_EN: 1
; COMPUTE_PGM_RSRC2:USER_SGPR: 6
; COMPUTE_PGM_RSRC2:TRAP_HANDLER: 0
; COMPUTE_PGM_RSRC2:TGID_X_EN: 1
; COMPUTE_PGM_RSRC2:TGID_Y_EN: 1
; COMPUTE_PGM_RSRC2:TGID_Z_EN: 1
; COMPUTE_PGM_RSRC2:TIDIG_COMP_CNT: 0
	.section	.text._ZN4vllm25paged_attention_v2_kernelIfhLi112ELi16ELi128ELNS_18Fp8KVCacheDataTypeE1ELb1ELi512EEEvPfS2_PT_PKS3_PKT0_S9_ifPKiSB_iPKfiiiSD_SD_iiiii,"axG",@progbits,_ZN4vllm25paged_attention_v2_kernelIfhLi112ELi16ELi128ELNS_18Fp8KVCacheDataTypeE1ELb1ELi512EEEvPfS2_PT_PKS3_PKT0_S9_ifPKiSB_iPKfiiiSD_SD_iiiii,comdat
	.protected	_ZN4vllm25paged_attention_v2_kernelIfhLi112ELi16ELi128ELNS_18Fp8KVCacheDataTypeE1ELb1ELi512EEEvPfS2_PT_PKS3_PKT0_S9_ifPKiSB_iPKfiiiSD_SD_iiiii ; -- Begin function _ZN4vllm25paged_attention_v2_kernelIfhLi112ELi16ELi128ELNS_18Fp8KVCacheDataTypeE1ELb1ELi512EEEvPfS2_PT_PKS3_PKT0_S9_ifPKiSB_iPKfiiiSD_SD_iiiii
	.globl	_ZN4vllm25paged_attention_v2_kernelIfhLi112ELi16ELi128ELNS_18Fp8KVCacheDataTypeE1ELb1ELi512EEEvPfS2_PT_PKS3_PKT0_S9_ifPKiSB_iPKfiiiSD_SD_iiiii
	.p2align	8
	.type	_ZN4vllm25paged_attention_v2_kernelIfhLi112ELi16ELi128ELNS_18Fp8KVCacheDataTypeE1ELb1ELi512EEEvPfS2_PT_PKS3_PKT0_S9_ifPKiSB_iPKfiiiSD_SD_iiiii,@function
_ZN4vllm25paged_attention_v2_kernelIfhLi112ELi16ELi128ELNS_18Fp8KVCacheDataTypeE1ELb1ELi512EEEvPfS2_PT_PKS3_PKT0_S9_ifPKiSB_iPKfiiiSD_SD_iiiii: ; @_ZN4vllm25paged_attention_v2_kernelIfhLi112ELi16ELi128ELNS_18Fp8KVCacheDataTypeE1ELb1ELi512EEEvPfS2_PT_PKS3_PKT0_S9_ifPKiSB_iPKfiiiSD_SD_iiiii
; %bb.0:
	s_mov_b64 s[58:59], s[2:3]
	s_mov_b64 s[56:57], s[0:1]
	s_load_dwordx2 s[0:1], s[4:5], 0x40
	s_add_u32 s56, s56, s9
	s_addc_u32 s57, s57, 0
	s_mov_b32 s30, s7
	s_ashr_i32 s31, s7, 31
	s_lshl_b64 s[2:3], s[30:31], 2
	s_waitcnt lgkmcnt(0)
	s_add_u32 s0, s0, s2
	s_addc_u32 s1, s1, s3
	s_lshl_b32 s42, s8, 9
	s_load_dword s31, s[0:1], 0x0
	s_waitcnt lgkmcnt(0)
	s_cmp_ge_i32 s42, s31
	s_cbranch_scc1 .LBB211_1008
; %bb.1:
	s_clause 0x1
	s_load_dword s9, s[4:5], 0x90
	s_load_dwordx2 s[40:41], s[4:5], 0x30
	v_mov_b32_e32 v12, v0
	s_mov_b32 s43, 0
	s_waitcnt lgkmcnt(0)
	s_abs_i32 s3, s9
	s_abs_i32 s0, s40
	v_cvt_f32_u32_e32 v0, s0
	s_sub_i32 s2, 0, s0
	v_rcp_iflag_f32_e32 v0, v0
	v_mul_f32_e32 v0, 0x4f7ffffe, v0
	v_cvt_u32_f32_e32 v0, v0
	v_readfirstlane_b32 s1, v0
	s_mul_i32 s2, s2, s1
	s_mul_hi_u32 s2, s1, s2
	s_add_i32 s1, s1, s2
	s_xor_b32 s2, s9, s40
	s_mul_hi_u32 s1, s3, s1
	s_ashr_i32 s2, s2, 31
	s_mul_i32 s7, s1, s0
	s_sub_i32 s3, s3, s7
	s_add_i32 s7, s1, 1
	s_sub_i32 s10, s3, s0
	s_cmp_ge_u32 s3, s0
	s_cselect_b32 s1, s7, s1
	s_cselect_b32 s3, s10, s3
	s_add_i32 s7, s1, 1
	s_cmp_ge_u32 s3, s0
	s_cselect_b32 s0, s7, s1
	s_xor_b32 s0, s0, s2
	s_sub_i32 s10, s0, s2
	s_load_dwordx2 s[0:1], s[4:5], 0x50
	s_abs_i32 s2, s10
	v_cvt_f32_u32_e32 v0, s2
	s_sub_i32 s3, 0, s2
	v_rcp_iflag_f32_e32 v0, v0
	v_mul_f32_e32 v0, 0x4f7ffffe, v0
	v_cvt_u32_f32_e32 v0, v0
	v_readfirstlane_b32 s7, v0
	s_mul_i32 s3, s3, s7
	s_mul_hi_u32 s11, s7, s3
	s_abs_i32 s3, s6
	s_add_i32 s7, s7, s11
	s_waitcnt lgkmcnt(0)
	s_cmp_eq_u64 s[0:1], 0
	s_mul_hi_u32 s12, s3, s7
	s_cbranch_scc1 .LBB211_3
; %bb.2:
	s_ashr_i32 s7, s6, 31
	s_lshl_b64 s[14:15], s[6:7], 2
	s_add_u32 s0, s0, s14
	s_addc_u32 s1, s1, s15
	s_load_dword s43, s[0:1], 0x0
.LBB211_3:
	s_load_dwordx4 s[16:19], s[4:5], 0x58
	v_and_b32_e32 v0, 1, v12
	v_lshlrev_b32_e32 v13, 2, v12
	s_ashr_i32 s0, s6, 31
	s_ashr_i32 s1, s10, 31
	s_mul_i32 s10, s6, 0x70
	s_mov_b32 s7, exec_lo
	v_cmpx_gt_u32_e32 56, v12
	s_cbranch_execz .LBB211_5
; %bb.4:
	s_load_dwordx2 s[14:15], s[4:5], 0x18
	s_waitcnt lgkmcnt(0)
	s_mul_i32 s20, s16, s30
	v_lshlrev_b32_e32 v1, 3, v12
	s_ashr_i32 s21, s20, 31
	v_and_b32_e32 v3, 0xff8, v13
	s_lshl_b64 s[20:21], s[20:21], 2
	v_mad_u32_u24 v3, 0xe0, v0, v3
	s_add_u32 s13, s14, s20
	s_addc_u32 s16, s15, s21
	s_ashr_i32 s11, s10, 31
	s_lshl_b64 s[14:15], s[10:11], 2
	s_add_u32 s14, s13, s14
	s_addc_u32 s15, s16, s15
	global_load_dwordx2 v[1:2], v1, s[14:15]
	s_waitcnt vmcnt(0)
	ds_write_b64 v3, v[1:2]
.LBB211_5:
	s_or_b32 exec_lo, exec_lo, s7
	s_load_dwordx4 s[20:23], s[4:5], 0x78
	s_mul_i32 s7, s12, s2
	s_xor_b32 s0, s0, s1
	s_sub_i32 s1, s3, s7
	s_add_i32 s3, s12, 1
	s_sub_i32 s7, s1, s2
	s_cmp_ge_u32 s1, s2
                                        ; implicit-def: $sgpr19
	s_cselect_b32 s3, s3, s12
	s_cselect_b32 s1, s7, s1
	s_add_i32 s7, s3, 1
	s_cmp_ge_u32 s1, s2
	s_mov_b32 s12, -1
	s_cselect_b32 s1, s7, s3
	s_load_dword s3, s[4:5], 0x88
	s_xor_b32 s1, s1, s0
	s_add_i32 s7, s31, -1
	s_sub_i32 s1, s1, s0
	s_abs_i32 s2, s7
	s_waitcnt lgkmcnt(0)
	s_abs_i32 s11, s23
	s_barrier
	v_cvt_f32_u32_e32 v1, s11
	s_sub_i32 s0, 0, s11
	buffer_gl0_inv
	v_rcp_iflag_f32_e32 v1, v1
	v_mul_f32_e32 v1, 0x4f7ffffe, v1
	v_cvt_u32_f32_e32 v1, v1
	v_readfirstlane_b32 s16, v1
	s_mul_i32 s0, s0, s16
	s_mul_hi_u32 s0, s16, s0
	s_add_i32 s16, s16, s0
	s_cmp_lt_i32 s3, 0
	s_mul_hi_u32 s0, s2, s16
	s_cbranch_scc0 .LBB211_7
; %bb.6:
	s_mul_i32 s12, s20, s40
	s_add_i32 s12, s1, s12
	s_mul_i32 s12, s12, s3
	s_sub_i32 s19, 1, s12
	s_mov_b32 s12, 0
.LBB211_7:
	s_load_dwordx2 s[34:35], s[4:5], 0x38
	s_ashr_i32 s33, s7, 31
	s_andn2_b32 vcc_lo, exec_lo, s12
	s_ashr_i32 s23, s23, 31
	s_cbranch_vccnz .LBB211_9
; %bb.8:
	s_mul_i32 s7, s9, s20
	s_add_i32 s7, s7, s6
	s_mul_i32 s3, s7, s3
	s_add_i32 s19, s3, 1
.LBB211_9:
	s_clause 0x5
	s_load_dword s3, s[4:5], 0x48
	s_load_dwordx2 s[38:39], s[4:5], 0x28
	s_load_dwordx4 s[24:27], s[4:5], 0x0
	s_load_dwordx2 s[28:29], s[4:5], 0x10
	s_load_dword s7, s[4:5], 0x98
	s_load_dwordx4 s[12:15], s[4:5], 0x68
	s_mul_i32 s20, s0, s11
	s_xor_b32 s40, s33, s23
	s_sub_i32 s2, s2, s20
	s_add_i32 s33, s0, 1
	v_lshrrev_b32_e32 v1, 5, v12
	v_mov_b32_e32 v3, 0xff7fffff
	s_mul_i32 s18, s1, s18
	v_lshl_add_u32 v127, v1, 4, s42
	buffer_store_dword v1, off, s[56:59], 0 offset:240 ; 4-byte Folded Spill
	s_waitcnt lgkmcnt(0)
	s_mul_i32 s36, s3, s30
	s_sub_i32 s3, s2, s11
	s_ashr_i32 s37, s36, 31
	s_cmp_ge_u32 s2, s11
	s_cselect_b32 s0, s33, s0
	s_cselect_b32 s2, s3, s2
	s_add_i32 s3, s0, 1
	s_cmp_ge_u32 s2, s11
	s_cselect_b32 s0, s3, s0
	s_add_i32 s2, s31, 15
	s_lshl_b32 s44, s8, 5
	s_ashr_i32 s3, s2, 31
	v_or_b32_e32 v49, s44, v1
	s_lshr_b32 s3, s3, 28
	s_add_i32 s2, s2, s3
	s_add_i32 s3, s44, 32
	s_ashr_i32 s33, s2, 4
	s_xor_b32 s2, s0, s40
	s_min_i32 s20, s3, s33
	v_ashrrev_i32_e32 v50, 31, v49
	v_cmp_gt_i32_e64 s0, s20, v49
	s_sub_i32 s40, s2, s40
	s_mov_b32 s45, exec_lo
	s_and_b32 s1, s45, s0
	buffer_store_dword v12, off, s[56:59], 0 offset:244 ; 4-byte Folded Spill
	s_mov_b32 exec_lo, s1
	s_cbranch_execz .LBB211_469
; %bb.10:
	buffer_load_dword v7, off, s[56:59], 0 offset:240 ; 4-byte Folded Reload
	s_load_dwordx2 s[2:3], s[4:5], 0x20
	s_sub_i32 s4, s40, s21
	s_ashr_i32 s1, s18, 31
	v_bfe_u32 v9, v12, 1, 4
	v_lshlrev_b32_e32 v4, 1, v0
	v_mov_b32_e32 v8, 0xff7fffff
	buffer_store_dword v13, off, s[56:59], 0 offset:248 ; 4-byte Folded Spill
	v_cmp_eq_u32_e32 vcc_lo, 0, v0
	v_lshlrev_b32_e32 v5, 2, v9
	v_subrev_nc_u32_e32 v6, s31, v9
	buffer_store_dword v8, off, s[56:59], 0 offset:220 ; 4-byte Folded Spill
	buffer_store_dword v9, off, s[56:59], 0 offset:232 ; 4-byte Folded Spill
	v_mov_b32_e32 v52, 0
	v_mul_u32_u24_e32 v0, 0xe0, v0
	v_add_nc_u32_e32 v6, 1, v6
	v_mov_b32_e32 v34, 0x80
	v_bfrev_b32_e32 v26, 1
	v_mov_b32_e32 v76, 0x7f800001
	v_mov_b32_e32 v35, v49
	buffer_store_dword v6, off, s[56:59], 0 offset:236 ; 4-byte Folded Spill
	s_waitcnt lgkmcnt(0)
	s_add_u32 s46, s2, s18
	s_addc_u32 s47, s3, s1
	s_abs_i32 s5, s22
	v_cmp_neq_f32_e64 s1, s43, 0
	v_cvt_f32_u32_e32 v1, s5
	s_sub_i32 s2, 0, s5
	v_rcp_iflag_f32_e32 v3, v1
	v_lshlrev_b64 v[1:2], 2, v[49:50]
	v_mul_f32_e32 v3, 0x4f7ffffe, v3
	v_cvt_u32_f32_e32 v3, v3
	s_waitcnt vmcnt(0)
	v_lshl_or_b32 v5, v7, 6, v5
	v_lshl_add_u32 v33, v7, 4, s42
	v_lshlrev_b32_e32 v7, 4, v9
	v_add_nc_u32_e32 v36, 0x1e0, v5
	v_mul_lo_u32 v5, s2, v3
	s_lshl_b64 s[2:3], s[36:37], 2
	v_add_co_u32 v6, s46, s46, v7
	s_add_u32 s2, s34, s2
	v_add_co_ci_u32_e64 v7, null, s47, 0, s46
	s_addc_u32 s3, s35, s3
	v_add_co_u32 v57, s2, s2, v1
	v_mul_hi_u32 v5, v3, v5
	v_add_co_ci_u32_e64 v58, null, s3, v2, s2
	v_add_co_u32 v1, s2, v6, v4
	v_add_co_ci_u32_e64 v2, null, 0, v7, s2
	buffer_store_dword v1, off, s[56:59], 0 offset:224 ; 4-byte Folded Spill
	buffer_store_dword v2, off, s[56:59], 0 offset:228 ; 4-byte Folded Spill
	v_add_nc_u32_e32 v1, v3, v5
	s_mov_b32 s46, 0
	s_mov_b32 s47, s17
	buffer_store_dword v1, off, s[56:59], 0 offset:32 ; 4-byte Folded Spill
	s_branch .LBB211_13
.LBB211_11:                             ;   in Loop: Header=BB211_13 Depth=1
	s_or_b32 exec_lo, exec_lo, s48
.LBB211_12:                             ;   in Loop: Header=BB211_13 Depth=1
	s_or_b32 exec_lo, exec_lo, s3
	v_add_nc_u32_e32 v35, 4, v35
	v_add_co_u32 v57, s3, v57, 16
	v_add_co_ci_u32_e64 v58, null, 0, v58, s3
	v_cmp_le_i32_e64 s2, s20, v35
	v_add_nc_u32_e32 v33, 64, v33
	v_add_nc_u32_e32 v36, 0x100, v36
	s_or_b32 s46, s2, s46
	s_andn2_b32 exec_lo, exec_lo, s46
	s_cbranch_execz .LBB211_468
.LBB211_13:                             ; =>This Inner Loop Header: Depth=1
	v_sub_nc_u32_e32 v1, 0, v33
	v_max_i32_e32 v1, v33, v1
	s_waitcnt lgkmcnt(0)
	v_mul_hi_u32 v2, v1, s16
	v_mul_lo_u32 v3, v2, s11
	v_sub_nc_u32_e32 v1, v1, v3
	v_add_nc_u32_e32 v3, 1, v2
	v_subrev_nc_u32_e32 v4, s11, v1
	v_cmp_le_u32_e64 s2, s11, v1
	v_cndmask_b32_e64 v2, v2, v3, s2
	v_cndmask_b32_e64 v1, v1, v4, s2
	v_ashrrev_i32_e32 v3, 31, v33
	v_add_nc_u32_e32 v4, 1, v2
	v_cmp_le_u32_e64 s2, s11, v1
	v_xor_b32_e32 v3, s23, v3
	v_cndmask_b32_e64 v1, v2, v4, s2
	buffer_load_dword v4, off, s[56:59], 0 offset:32 ; 4-byte Folded Reload
	v_xor_b32_e32 v1, v1, v3
	v_sub_nc_u32_e32 v1, v1, v3
	v_add_nc_u32_e32 v2, s19, v1
	v_cmp_ge_i32_e64 s3, s4, v1
	v_sub_nc_u32_e32 v3, 0, v2
	v_max_i32_e32 v3, v2, v3
	v_ashrrev_i32_e32 v2, 31, v2
	s_waitcnt vmcnt(0)
	v_mul_hi_u32 v4, v3, v4
	v_mul_lo_u32 v4, v4, s5
	v_sub_nc_u32_e32 v3, v3, v4
	v_subrev_nc_u32_e32 v4, s5, v3
	v_cmp_le_u32_e64 s2, s5, v3
	v_cndmask_b32_e64 v3, v3, v4, s2
	v_subrev_nc_u32_e32 v4, s5, v3
	v_cmp_le_u32_e64 s2, s5, v3
	v_cndmask_b32_e64 v3, v3, v4, s2
	v_xor_b32_e32 v3, v3, v2
	v_sub_nc_u32_e32 v2, v3, v2
	v_cmp_ne_u32_e64 s2, 0, v2
	s_and_b32 s2, s2, s3
	s_and_saveexec_b32 s3, s2
	s_xor_b32 s2, exec_lo, s3
	s_cbranch_execz .LBB211_17
; %bb.14:                               ;   in Loop: Header=BB211_13 Depth=1
	s_and_saveexec_b32 s3, vcc_lo
; %bb.15:                               ;   in Loop: Header=BB211_13 Depth=1
	v_mov_b32_e32 v1, 0xff7fffff
	ds_write_b32 v36, v1
; %bb.16:                               ;   in Loop: Header=BB211_13 Depth=1
	s_or_b32 exec_lo, exec_lo, s3
.LBB211_17:                             ;   in Loop: Header=BB211_13 Depth=1
	s_andn2_saveexec_b32 s3, s2
	s_cbranch_execz .LBB211_12
; %bb.18:                               ;   in Loop: Header=BB211_13 Depth=1
	global_load_dword v1, v[57:58], off
	s_clause 0x1
	buffer_load_dword v2, off, s[56:59], 0 offset:224
	buffer_load_dword v3, off, s[56:59], 0 offset:228
	v_mov_b32_e32 v40, 0
	v_mov_b32_e32 v41, 0
	s_waitcnt vmcnt(0)
	v_mad_i64_i32 v[71:72], null, v1, s47, v[2:3]
	global_load_ushort v2, v[71:72], off
	ds_read_b128 v[45:48], v0
	ds_read_b128 v[3:6], v0 offset:16
	s_waitcnt lgkmcnt(0)
	buffer_store_dword v3, off, s[56:59], 0 offset:204 ; 4-byte Folded Spill
	buffer_store_dword v4, off, s[56:59], 0 offset:208 ; 4-byte Folded Spill
	buffer_store_dword v5, off, s[56:59], 0 offset:212 ; 4-byte Folded Spill
	buffer_store_dword v6, off, s[56:59], 0 offset:216 ; 4-byte Folded Spill
	ds_read_b128 v[3:6], v0 offset:32
	s_waitcnt lgkmcnt(0)
	buffer_store_dword v3, off, s[56:59], 0 offset:188 ; 4-byte Folded Spill
	buffer_store_dword v4, off, s[56:59], 0 offset:192 ; 4-byte Folded Spill
	buffer_store_dword v5, off, s[56:59], 0 offset:196 ; 4-byte Folded Spill
	buffer_store_dword v6, off, s[56:59], 0 offset:200 ; 4-byte Folded Spill
	;; [unrolled: 6-line block ×9, first 2 shown]
	ds_read_b64 v[3:4], v0 offset:192
	s_waitcnt lgkmcnt(0)
	buffer_store_dword v3, off, s[56:59], 0 offset:36 ; 4-byte Folded Spill
	buffer_store_dword v4, off, s[56:59], 0 offset:40 ; 4-byte Folded Spill
	v_mov_b32_e32 v3, 0
	v_mov_b32_e32 v4, 0
	s_load_dword s48, s[12:13], 0x0
	buffer_store_dword v3, off, s[56:59], 0 offset:24 ; 4-byte Folded Spill
	buffer_store_dword v4, off, s[56:59], 0 offset:28 ; 4-byte Folded Spill
	s_waitcnt vmcnt(0)
	v_and_b32_e32 v1, 0xffff, v2
	v_cmp_ne_u16_sdwa s2, v2, v52 src0_sel:BYTE_0 src1_sel:DWORD
	ds_read_b128 v[2:5], v0 offset:160
	s_waitcnt lgkmcnt(0)
	buffer_store_dword v2, off, s[56:59], 0 offset:60 ; 4-byte Folded Spill
	buffer_store_dword v3, off, s[56:59], 0 offset:64 ; 4-byte Folded Spill
	;; [unrolled: 1-line block ×4, first 2 shown]
	ds_read_b128 v[2:5], v0 offset:176
	s_waitcnt lgkmcnt(0)
	buffer_store_dword v2, off, s[56:59], 0 offset:44 ; 4-byte Folded Spill
	buffer_store_dword v3, off, s[56:59], 0 offset:48 ; 4-byte Folded Spill
	;; [unrolled: 1-line block ×4, first 2 shown]
	s_and_saveexec_b32 s49, s2
	s_cbranch_execz .LBB211_26
; %bb.19:                               ;   in Loop: Header=BB211_13 Depth=1
	v_bfrev_b32_e32 v4, 1
	v_mov_b32_e32 v5, 0
	v_cmp_ne_u16_sdwa s2, v1, v34 src0_sel:BYTE_0 src1_sel:DWORD
	s_and_saveexec_b32 s50, s2
	s_cbranch_execz .LBB211_25
; %bb.20:                               ;   in Loop: Header=BB211_13 Depth=1
	v_mov_b32_e32 v4, 0x7f800001
	v_and_b32_e32 v3, 0x7f, v1
	v_mov_b32_e32 v5, 0
	s_mov_b32 s51, exec_lo
	v_cmpx_ne_u32_e32 0x7f, v3
	s_cbranch_execz .LBB211_24
; %bb.21:                               ;   in Loop: Header=BB211_13 Depth=1
	v_and_b32_e32 v51, 7, v1
	v_lshrrev_b32_e32 v2, 3, v3
	s_mov_b32 s52, exec_lo
	v_cmpx_gt_u32_e32 8, v3
; %bb.22:                               ;   in Loop: Header=BB211_13 Depth=1
	v_ffbh_u32_e32 v2, v51
	v_min_u32_e32 v2, 32, v2
	v_subrev_nc_u32_e32 v3, 28, v2
	v_sub_nc_u32_e32 v2, 29, v2
	v_lshlrev_b64 v[3:4], v3, v[51:52]
	v_and_b32_e32 v51, 7, v3
; %bb.23:                               ;   in Loop: Header=BB211_13 Depth=1
	s_or_b32 exec_lo, exec_lo, s52
	v_lshlrev_b32_e32 v3, 24, v1
	v_lshlrev_b32_e32 v4, 20, v51
	v_lshl_add_u32 v2, v2, 23, 0x3c000000
	v_and_b32_e32 v3, 0x80000000, v3
	v_or3_b32 v51, v4, v3, v2
	v_mov_b32_e32 v4, v51
	v_mov_b32_e32 v5, v52
.LBB211_24:                             ;   in Loop: Header=BB211_13 Depth=1
	s_or_b32 exec_lo, exec_lo, s51
.LBB211_25:                             ;   in Loop: Header=BB211_13 Depth=1
	s_or_b32 exec_lo, exec_lo, s50
	buffer_store_dword v4, off, s[56:59], 0 offset:24 ; 4-byte Folded Spill
	buffer_store_dword v5, off, s[56:59], 0 offset:28 ; 4-byte Folded Spill
.LBB211_26:                             ;   in Loop: Header=BB211_13 Depth=1
	s_or_b32 exec_lo, exec_lo, s49
	v_cmp_ne_u16_sdwa s2, v1, v52 src0_sel:BYTE_1 src1_sel:DWORD
	s_and_saveexec_b32 s49, s2
	s_cbranch_execz .LBB211_34
; %bb.27:                               ;   in Loop: Header=BB211_13 Depth=1
	v_mov_b32_e32 v25, v52
	v_mov_b32_e32 v41, v26
	v_cmp_ne_u16_sdwa s2, v1, v34 src0_sel:BYTE_1 src1_sel:DWORD
	v_mov_b32_e32 v40, v25
	s_and_saveexec_b32 s50, s2
	s_cbranch_execz .LBB211_33
; %bb.28:                               ;   in Loop: Header=BB211_13 Depth=1
	v_mov_b32_e32 v2, 0xffff
	v_mov_b32_e32 v75, v52
	s_mov_b32 s51, exec_lo
	v_and_b32_sdwa v2, v2, v1 dst_sel:DWORD dst_unused:UNUSED_PAD src0_sel:DWORD src1_sel:BYTE_1
	v_mov_b32_e32 v40, v75
	v_mov_b32_e32 v41, v76
	v_and_b32_e32 v3, 0x7f, v2
	v_cmpx_ne_u32_e32 0x7f, v3
	s_cbranch_execz .LBB211_32
; %bb.29:                               ;   in Loop: Header=BB211_13 Depth=1
	v_and_b32_e32 v51, 7, v2
	v_lshrrev_b32_e32 v2, 3, v3
	s_mov_b32 s52, exec_lo
	v_cmpx_gt_u32_e32 8, v3
; %bb.30:                               ;   in Loop: Header=BB211_13 Depth=1
	v_ffbh_u32_e32 v2, v51
	v_min_u32_e32 v2, 32, v2
	v_subrev_nc_u32_e32 v3, 28, v2
	v_sub_nc_u32_e32 v2, 29, v2
	v_lshlrev_b64 v[3:4], v3, v[51:52]
	v_and_b32_e32 v51, 7, v3
; %bb.31:                               ;   in Loop: Header=BB211_13 Depth=1
	s_or_b32 exec_lo, exec_lo, s52
	v_lshlrev_b32_e32 v1, 16, v1
	v_lshlrev_b32_e32 v3, 20, v51
	v_lshl_add_u32 v2, v2, 23, 0x3c000000
	v_mov_b32_e32 v40, v52
	v_and_b32_e32 v1, 0x80000000, v1
	v_or3_b32 v41, v3, v1, v2
.LBB211_32:                             ;   in Loop: Header=BB211_13 Depth=1
	s_or_b32 exec_lo, exec_lo, s51
.LBB211_33:                             ;   in Loop: Header=BB211_13 Depth=1
	s_or_b32 exec_lo, exec_lo, s50
.LBB211_34:                             ;   in Loop: Header=BB211_13 Depth=1
	s_or_b32 exec_lo, exec_lo, s49
	global_load_ushort v2, v[71:72], off offset:4
	v_mov_b32_e32 v3, 0
	v_mov_b32_e32 v42, 0
	;; [unrolled: 1-line block ×4, first 2 shown]
	buffer_store_dword v3, off, s[56:59], 0 ; 4-byte Folded Spill
	buffer_store_dword v4, off, s[56:59], 0 offset:4 ; 4-byte Folded Spill
	s_waitcnt vmcnt(0)
	v_and_b32_e32 v1, 0xffff, v2
	v_cmp_ne_u16_sdwa s2, v2, v52 src0_sel:BYTE_0 src1_sel:DWORD
	s_and_saveexec_b32 s49, s2
	s_cbranch_execz .LBB211_42
; %bb.35:                               ;   in Loop: Header=BB211_13 Depth=1
	v_bfrev_b32_e32 v42, 1
	v_mov_b32_e32 v43, 0
	v_cmp_ne_u16_sdwa s2, v1, v34 src0_sel:BYTE_0 src1_sel:DWORD
	s_and_saveexec_b32 s50, s2
	s_cbranch_execz .LBB211_41
; %bb.36:                               ;   in Loop: Header=BB211_13 Depth=1
	v_mov_b32_e32 v42, 0x7f800001
	v_and_b32_e32 v3, 0x7f, v1
	v_mov_b32_e32 v43, 0
	s_mov_b32 s51, exec_lo
	v_cmpx_ne_u32_e32 0x7f, v3
	s_cbranch_execz .LBB211_40
; %bb.37:                               ;   in Loop: Header=BB211_13 Depth=1
	v_and_b32_e32 v51, 7, v1
	v_lshrrev_b32_e32 v2, 3, v3
	s_mov_b32 s52, exec_lo
	v_cmpx_gt_u32_e32 8, v3
; %bb.38:                               ;   in Loop: Header=BB211_13 Depth=1
	v_ffbh_u32_e32 v2, v51
	v_min_u32_e32 v2, 32, v2
	v_subrev_nc_u32_e32 v3, 28, v2
	v_sub_nc_u32_e32 v2, 29, v2
	v_lshlrev_b64 v[3:4], v3, v[51:52]
	v_and_b32_e32 v51, 7, v3
; %bb.39:                               ;   in Loop: Header=BB211_13 Depth=1
	s_or_b32 exec_lo, exec_lo, s52
	v_lshlrev_b32_e32 v3, 24, v1
	v_lshlrev_b32_e32 v4, 20, v51
	v_lshl_add_u32 v2, v2, 23, 0x3c000000
	v_and_b32_e32 v3, 0x80000000, v3
	v_or3_b32 v51, v4, v3, v2
	v_mov_b32_e32 v42, v51
	v_mov_b32_e32 v43, v52
.LBB211_40:                             ;   in Loop: Header=BB211_13 Depth=1
	s_or_b32 exec_lo, exec_lo, s51
.LBB211_41:                             ;   in Loop: Header=BB211_13 Depth=1
	s_or_b32 exec_lo, exec_lo, s50
.LBB211_42:                             ;   in Loop: Header=BB211_13 Depth=1
	s_or_b32 exec_lo, exec_lo, s49
	v_cmp_ne_u16_sdwa s2, v1, v52 src0_sel:BYTE_1 src1_sel:DWORD
	s_and_saveexec_b32 s49, s2
	s_cbranch_execz .LBB211_50
; %bb.43:                               ;   in Loop: Header=BB211_13 Depth=1
	v_mov_b32_e32 v25, v52
	v_cmp_ne_u16_sdwa s2, v1, v34 src0_sel:BYTE_1 src1_sel:DWORD
	buffer_store_dword v25, off, s[56:59], 0 ; 4-byte Folded Spill
	buffer_store_dword v26, off, s[56:59], 0 offset:4 ; 4-byte Folded Spill
	s_and_saveexec_b32 s50, s2
	s_cbranch_execz .LBB211_49
; %bb.44:                               ;   in Loop: Header=BB211_13 Depth=1
	v_mov_b32_e32 v2, 0xffff
	v_mov_b32_e32 v75, v52
	s_mov_b32 s51, exec_lo
	buffer_store_dword v75, off, s[56:59], 0 ; 4-byte Folded Spill
	buffer_store_dword v76, off, s[56:59], 0 offset:4 ; 4-byte Folded Spill
	v_and_b32_sdwa v2, v2, v1 dst_sel:DWORD dst_unused:UNUSED_PAD src0_sel:DWORD src1_sel:BYTE_1
	v_and_b32_e32 v3, 0x7f, v2
	v_cmpx_ne_u32_e32 0x7f, v3
	s_cbranch_execz .LBB211_48
; %bb.45:                               ;   in Loop: Header=BB211_13 Depth=1
	v_and_b32_e32 v51, 7, v2
	v_lshrrev_b32_e32 v2, 3, v3
	s_mov_b32 s52, exec_lo
	v_cmpx_gt_u32_e32 8, v3
; %bb.46:                               ;   in Loop: Header=BB211_13 Depth=1
	v_ffbh_u32_e32 v2, v51
	v_min_u32_e32 v2, 32, v2
	v_subrev_nc_u32_e32 v3, 28, v2
	v_sub_nc_u32_e32 v2, 29, v2
	v_lshlrev_b64 v[3:4], v3, v[51:52]
	v_and_b32_e32 v51, 7, v3
; %bb.47:                               ;   in Loop: Header=BB211_13 Depth=1
	s_or_b32 exec_lo, exec_lo, s52
	v_lshlrev_b32_e32 v1, 16, v1
	v_lshlrev_b32_e32 v3, 20, v51
	v_lshl_add_u32 v2, v2, 23, 0x3c000000
	v_and_b32_e32 v1, 0x80000000, v1
	v_or3_b32 v2, v3, v1, v2
	v_mov_b32_e32 v1, v52
	buffer_store_dword v1, off, s[56:59], 0 ; 4-byte Folded Spill
	buffer_store_dword v2, off, s[56:59], 0 offset:4 ; 4-byte Folded Spill
.LBB211_48:                             ;   in Loop: Header=BB211_13 Depth=1
	s_or_b32 exec_lo, exec_lo, s51
.LBB211_49:                             ;   in Loop: Header=BB211_13 Depth=1
	s_or_b32 exec_lo, exec_lo, s50
.LBB211_50:                             ;   in Loop: Header=BB211_13 Depth=1
	s_or_b32 exec_lo, exec_lo, s49
	global_load_ushort v2, v[71:72], off offset:8
	v_mov_b32_e32 v77, 0
	v_mov_b32_e32 v3, 0
	;; [unrolled: 1-line block ×4, first 2 shown]
	buffer_store_dword v3, off, s[56:59], 0 offset:8 ; 4-byte Folded Spill
	buffer_store_dword v4, off, s[56:59], 0 offset:12 ; 4-byte Folded Spill
	s_waitcnt vmcnt(0)
	v_and_b32_e32 v1, 0xffff, v2
	v_cmp_ne_u16_sdwa s2, v2, v52 src0_sel:BYTE_0 src1_sel:DWORD
	s_and_saveexec_b32 s49, s2
	s_cbranch_execz .LBB211_58
; %bb.51:                               ;   in Loop: Header=BB211_13 Depth=1
	v_bfrev_b32_e32 v2, 1
	v_mov_b32_e32 v3, 0
	v_cmp_ne_u16_sdwa s2, v1, v34 src0_sel:BYTE_0 src1_sel:DWORD
	buffer_store_dword v2, off, s[56:59], 0 offset:8 ; 4-byte Folded Spill
	buffer_store_dword v3, off, s[56:59], 0 offset:12 ; 4-byte Folded Spill
	s_and_saveexec_b32 s50, s2
	s_cbranch_execz .LBB211_57
; %bb.52:                               ;   in Loop: Header=BB211_13 Depth=1
	v_mov_b32_e32 v4, 0x7f800001
	v_and_b32_e32 v3, 0x7f, v1
	v_mov_b32_e32 v5, 0
	s_mov_b32 s51, exec_lo
	buffer_store_dword v4, off, s[56:59], 0 offset:8 ; 4-byte Folded Spill
	buffer_store_dword v5, off, s[56:59], 0 offset:12 ; 4-byte Folded Spill
	v_cmpx_ne_u32_e32 0x7f, v3
	s_cbranch_execz .LBB211_56
; %bb.53:                               ;   in Loop: Header=BB211_13 Depth=1
	v_and_b32_e32 v51, 7, v1
	v_lshrrev_b32_e32 v2, 3, v3
	s_mov_b32 s52, exec_lo
	v_cmpx_gt_u32_e32 8, v3
; %bb.54:                               ;   in Loop: Header=BB211_13 Depth=1
	v_ffbh_u32_e32 v2, v51
	v_min_u32_e32 v2, 32, v2
	v_subrev_nc_u32_e32 v3, 28, v2
	v_sub_nc_u32_e32 v2, 29, v2
	v_lshlrev_b64 v[3:4], v3, v[51:52]
	v_and_b32_e32 v51, 7, v3
; %bb.55:                               ;   in Loop: Header=BB211_13 Depth=1
	s_or_b32 exec_lo, exec_lo, s52
	v_lshlrev_b32_e32 v3, 24, v1
	v_lshlrev_b32_e32 v4, 20, v51
	v_lshl_add_u32 v2, v2, 23, 0x3c000000
	v_and_b32_e32 v3, 0x80000000, v3
	v_or3_b32 v51, v4, v3, v2
	buffer_store_dword v51, off, s[56:59], 0 offset:8 ; 4-byte Folded Spill
	buffer_store_dword v52, off, s[56:59], 0 offset:12 ; 4-byte Folded Spill
.LBB211_56:                             ;   in Loop: Header=BB211_13 Depth=1
	s_or_b32 exec_lo, exec_lo, s51
.LBB211_57:                             ;   in Loop: Header=BB211_13 Depth=1
	s_or_b32 exec_lo, exec_lo, s50
.LBB211_58:                             ;   in Loop: Header=BB211_13 Depth=1
	s_or_b32 exec_lo, exec_lo, s49
	v_cmp_ne_u16_sdwa s2, v1, v52 src0_sel:BYTE_1 src1_sel:DWORD
	s_and_saveexec_b32 s49, s2
	s_cbranch_execz .LBB211_66
; %bb.59:                               ;   in Loop: Header=BB211_13 Depth=1
	v_mov_b32_e32 v25, v52
	v_mov_b32_e32 v78, v26
	v_cmp_ne_u16_sdwa s2, v1, v34 src0_sel:BYTE_1 src1_sel:DWORD
	v_mov_b32_e32 v77, v25
	s_and_saveexec_b32 s50, s2
	s_cbranch_execz .LBB211_65
; %bb.60:                               ;   in Loop: Header=BB211_13 Depth=1
	v_mov_b32_e32 v2, 0xffff
	v_mov_b32_e32 v75, v52
	;; [unrolled: 1-line block ×3, first 2 shown]
	s_mov_b32 s51, exec_lo
	v_and_b32_sdwa v2, v2, v1 dst_sel:DWORD dst_unused:UNUSED_PAD src0_sel:DWORD src1_sel:BYTE_1
	v_mov_b32_e32 v77, v75
	v_and_b32_e32 v3, 0x7f, v2
	v_cmpx_ne_u32_e32 0x7f, v3
	s_cbranch_execz .LBB211_64
; %bb.61:                               ;   in Loop: Header=BB211_13 Depth=1
	v_and_b32_e32 v51, 7, v2
	v_lshrrev_b32_e32 v2, 3, v3
	s_mov_b32 s52, exec_lo
	v_cmpx_gt_u32_e32 8, v3
; %bb.62:                               ;   in Loop: Header=BB211_13 Depth=1
	v_ffbh_u32_e32 v2, v51
	v_min_u32_e32 v2, 32, v2
	v_subrev_nc_u32_e32 v3, 28, v2
	v_sub_nc_u32_e32 v2, 29, v2
	v_lshlrev_b64 v[3:4], v3, v[51:52]
	v_and_b32_e32 v51, 7, v3
; %bb.63:                               ;   in Loop: Header=BB211_13 Depth=1
	s_or_b32 exec_lo, exec_lo, s52
	v_lshlrev_b32_e32 v1, 16, v1
	v_lshlrev_b32_e32 v3, 20, v51
	v_lshl_add_u32 v2, v2, 23, 0x3c000000
	v_mov_b32_e32 v77, v52
	v_and_b32_e32 v1, 0x80000000, v1
	v_or3_b32 v78, v3, v1, v2
.LBB211_64:                             ;   in Loop: Header=BB211_13 Depth=1
	s_or_b32 exec_lo, exec_lo, s51
.LBB211_65:                             ;   in Loop: Header=BB211_13 Depth=1
	s_or_b32 exec_lo, exec_lo, s50
.LBB211_66:                             ;   in Loop: Header=BB211_13 Depth=1
	s_or_b32 exec_lo, exec_lo, s49
	global_load_ushort v2, v[71:72], off offset:12
	v_mov_b32_e32 v79, 0
	v_mov_b32_e32 v3, 0
	;; [unrolled: 1-line block ×4, first 2 shown]
	buffer_store_dword v3, off, s[56:59], 0 offset:16 ; 4-byte Folded Spill
	buffer_store_dword v4, off, s[56:59], 0 offset:20 ; 4-byte Folded Spill
	s_waitcnt vmcnt(0)
	v_and_b32_e32 v1, 0xffff, v2
	v_cmp_ne_u16_sdwa s2, v2, v52 src0_sel:BYTE_0 src1_sel:DWORD
	s_and_saveexec_b32 s49, s2
	s_cbranch_execz .LBB211_74
; %bb.67:                               ;   in Loop: Header=BB211_13 Depth=1
	v_bfrev_b32_e32 v2, 1
	v_mov_b32_e32 v3, 0
	v_cmp_ne_u16_sdwa s2, v1, v34 src0_sel:BYTE_0 src1_sel:DWORD
	buffer_store_dword v2, off, s[56:59], 0 offset:16 ; 4-byte Folded Spill
	buffer_store_dword v3, off, s[56:59], 0 offset:20 ; 4-byte Folded Spill
	s_and_saveexec_b32 s50, s2
	s_cbranch_execz .LBB211_73
; %bb.68:                               ;   in Loop: Header=BB211_13 Depth=1
	v_mov_b32_e32 v4, 0x7f800001
	v_and_b32_e32 v3, 0x7f, v1
	v_mov_b32_e32 v5, 0
	s_mov_b32 s51, exec_lo
	buffer_store_dword v4, off, s[56:59], 0 offset:16 ; 4-byte Folded Spill
	buffer_store_dword v5, off, s[56:59], 0 offset:20 ; 4-byte Folded Spill
	v_cmpx_ne_u32_e32 0x7f, v3
	s_cbranch_execz .LBB211_72
; %bb.69:                               ;   in Loop: Header=BB211_13 Depth=1
	v_and_b32_e32 v51, 7, v1
	v_lshrrev_b32_e32 v2, 3, v3
	s_mov_b32 s52, exec_lo
	v_cmpx_gt_u32_e32 8, v3
; %bb.70:                               ;   in Loop: Header=BB211_13 Depth=1
	v_ffbh_u32_e32 v2, v51
	v_min_u32_e32 v2, 32, v2
	v_subrev_nc_u32_e32 v3, 28, v2
	v_sub_nc_u32_e32 v2, 29, v2
	v_lshlrev_b64 v[3:4], v3, v[51:52]
	v_and_b32_e32 v51, 7, v3
; %bb.71:                               ;   in Loop: Header=BB211_13 Depth=1
	s_or_b32 exec_lo, exec_lo, s52
	v_lshlrev_b32_e32 v3, 24, v1
	v_lshlrev_b32_e32 v4, 20, v51
	v_lshl_add_u32 v2, v2, 23, 0x3c000000
	v_and_b32_e32 v3, 0x80000000, v3
	v_or3_b32 v51, v4, v3, v2
	buffer_store_dword v51, off, s[56:59], 0 offset:16 ; 4-byte Folded Spill
	buffer_store_dword v52, off, s[56:59], 0 offset:20 ; 4-byte Folded Spill
.LBB211_72:                             ;   in Loop: Header=BB211_13 Depth=1
	s_or_b32 exec_lo, exec_lo, s51
.LBB211_73:                             ;   in Loop: Header=BB211_13 Depth=1
	s_or_b32 exec_lo, exec_lo, s50
.LBB211_74:                             ;   in Loop: Header=BB211_13 Depth=1
	s_or_b32 exec_lo, exec_lo, s49
	v_cmp_ne_u16_sdwa s2, v1, v52 src0_sel:BYTE_1 src1_sel:DWORD
	s_and_saveexec_b32 s49, s2
	s_cbranch_execz .LBB211_82
; %bb.75:                               ;   in Loop: Header=BB211_13 Depth=1
	v_mov_b32_e32 v25, v52
	v_mov_b32_e32 v80, v26
	v_cmp_ne_u16_sdwa s2, v1, v34 src0_sel:BYTE_1 src1_sel:DWORD
	v_mov_b32_e32 v79, v25
	s_and_saveexec_b32 s50, s2
	s_cbranch_execz .LBB211_81
; %bb.76:                               ;   in Loop: Header=BB211_13 Depth=1
	v_mov_b32_e32 v2, 0xffff
	v_mov_b32_e32 v75, v52
	;; [unrolled: 1-line block ×3, first 2 shown]
	s_mov_b32 s51, exec_lo
	v_and_b32_sdwa v2, v2, v1 dst_sel:DWORD dst_unused:UNUSED_PAD src0_sel:DWORD src1_sel:BYTE_1
	v_mov_b32_e32 v79, v75
	v_and_b32_e32 v3, 0x7f, v2
	v_cmpx_ne_u32_e32 0x7f, v3
	s_cbranch_execz .LBB211_80
; %bb.77:                               ;   in Loop: Header=BB211_13 Depth=1
	v_and_b32_e32 v51, 7, v2
	v_lshrrev_b32_e32 v2, 3, v3
	s_mov_b32 s52, exec_lo
	v_cmpx_gt_u32_e32 8, v3
; %bb.78:                               ;   in Loop: Header=BB211_13 Depth=1
	v_ffbh_u32_e32 v2, v51
	v_min_u32_e32 v2, 32, v2
	v_subrev_nc_u32_e32 v3, 28, v2
	v_sub_nc_u32_e32 v2, 29, v2
	v_lshlrev_b64 v[3:4], v3, v[51:52]
	v_and_b32_e32 v51, 7, v3
; %bb.79:                               ;   in Loop: Header=BB211_13 Depth=1
	s_or_b32 exec_lo, exec_lo, s52
	v_lshlrev_b32_e32 v1, 16, v1
	v_lshlrev_b32_e32 v3, 20, v51
	v_lshl_add_u32 v2, v2, 23, 0x3c000000
	v_mov_b32_e32 v79, v52
	v_and_b32_e32 v1, 0x80000000, v1
	v_or3_b32 v80, v3, v1, v2
.LBB211_80:                             ;   in Loop: Header=BB211_13 Depth=1
	s_or_b32 exec_lo, exec_lo, s51
.LBB211_81:                             ;   in Loop: Header=BB211_13 Depth=1
	s_or_b32 exec_lo, exec_lo, s50
.LBB211_82:                             ;   in Loop: Header=BB211_13 Depth=1
	s_or_b32 exec_lo, exec_lo, s49
	global_load_ushort v2, v[71:72], off offset:256
	v_mov_b32_e32 v83, 0
	v_mov_b32_e32 v81, 0
	;; [unrolled: 1-line block ×4, first 2 shown]
	s_waitcnt vmcnt(0)
	v_and_b32_e32 v1, 0xffff, v2
	v_cmp_ne_u16_sdwa s2, v2, v52 src0_sel:BYTE_0 src1_sel:DWORD
	s_and_saveexec_b32 s49, s2
	s_cbranch_execz .LBB211_90
; %bb.83:                               ;   in Loop: Header=BB211_13 Depth=1
	v_bfrev_b32_e32 v81, 1
	v_mov_b32_e32 v82, 0
	v_cmp_ne_u16_sdwa s2, v1, v34 src0_sel:BYTE_0 src1_sel:DWORD
	s_and_saveexec_b32 s50, s2
	s_cbranch_execz .LBB211_89
; %bb.84:                               ;   in Loop: Header=BB211_13 Depth=1
	v_mov_b32_e32 v81, 0x7f800001
	v_and_b32_e32 v3, 0x7f, v1
	v_mov_b32_e32 v82, 0
	s_mov_b32 s51, exec_lo
	v_cmpx_ne_u32_e32 0x7f, v3
	s_cbranch_execz .LBB211_88
; %bb.85:                               ;   in Loop: Header=BB211_13 Depth=1
	v_and_b32_e32 v51, 7, v1
	v_lshrrev_b32_e32 v2, 3, v3
	s_mov_b32 s52, exec_lo
	v_cmpx_gt_u32_e32 8, v3
; %bb.86:                               ;   in Loop: Header=BB211_13 Depth=1
	v_ffbh_u32_e32 v2, v51
	v_min_u32_e32 v2, 32, v2
	v_subrev_nc_u32_e32 v3, 28, v2
	v_sub_nc_u32_e32 v2, 29, v2
	v_lshlrev_b64 v[3:4], v3, v[51:52]
	v_and_b32_e32 v51, 7, v3
; %bb.87:                               ;   in Loop: Header=BB211_13 Depth=1
	s_or_b32 exec_lo, exec_lo, s52
	v_lshlrev_b32_e32 v3, 24, v1
	v_lshlrev_b32_e32 v4, 20, v51
	v_lshl_add_u32 v2, v2, 23, 0x3c000000
	v_and_b32_e32 v3, 0x80000000, v3
	v_or3_b32 v51, v4, v3, v2
	v_mov_b32_e32 v82, v52
	v_mov_b32_e32 v81, v51
.LBB211_88:                             ;   in Loop: Header=BB211_13 Depth=1
	s_or_b32 exec_lo, exec_lo, s51
.LBB211_89:                             ;   in Loop: Header=BB211_13 Depth=1
	s_or_b32 exec_lo, exec_lo, s50
.LBB211_90:                             ;   in Loop: Header=BB211_13 Depth=1
	s_or_b32 exec_lo, exec_lo, s49
	v_cmp_ne_u16_sdwa s2, v1, v52 src0_sel:BYTE_1 src1_sel:DWORD
	s_and_saveexec_b32 s49, s2
	s_cbranch_execz .LBB211_98
; %bb.91:                               ;   in Loop: Header=BB211_13 Depth=1
	v_mov_b32_e32 v25, v52
	v_mov_b32_e32 v84, v26
	v_cmp_ne_u16_sdwa s2, v1, v34 src0_sel:BYTE_1 src1_sel:DWORD
	v_mov_b32_e32 v83, v25
	s_and_saveexec_b32 s50, s2
	s_cbranch_execz .LBB211_97
; %bb.92:                               ;   in Loop: Header=BB211_13 Depth=1
	v_mov_b32_e32 v2, 0xffff
	v_mov_b32_e32 v75, v52
	;; [unrolled: 1-line block ×3, first 2 shown]
	s_mov_b32 s51, exec_lo
	v_and_b32_sdwa v2, v2, v1 dst_sel:DWORD dst_unused:UNUSED_PAD src0_sel:DWORD src1_sel:BYTE_1
	v_mov_b32_e32 v83, v75
	v_and_b32_e32 v3, 0x7f, v2
	v_cmpx_ne_u32_e32 0x7f, v3
	s_cbranch_execz .LBB211_96
; %bb.93:                               ;   in Loop: Header=BB211_13 Depth=1
	v_and_b32_e32 v51, 7, v2
	v_lshrrev_b32_e32 v2, 3, v3
	s_mov_b32 s52, exec_lo
	v_cmpx_gt_u32_e32 8, v3
; %bb.94:                               ;   in Loop: Header=BB211_13 Depth=1
	v_ffbh_u32_e32 v2, v51
	v_min_u32_e32 v2, 32, v2
	v_subrev_nc_u32_e32 v3, 28, v2
	v_sub_nc_u32_e32 v2, 29, v2
	v_lshlrev_b64 v[3:4], v3, v[51:52]
	v_and_b32_e32 v51, 7, v3
; %bb.95:                               ;   in Loop: Header=BB211_13 Depth=1
	s_or_b32 exec_lo, exec_lo, s52
	v_lshlrev_b32_e32 v1, 16, v1
	v_lshlrev_b32_e32 v3, 20, v51
	v_lshl_add_u32 v2, v2, 23, 0x3c000000
	v_mov_b32_e32 v83, v52
	v_and_b32_e32 v1, 0x80000000, v1
	v_or3_b32 v84, v3, v1, v2
.LBB211_96:                             ;   in Loop: Header=BB211_13 Depth=1
	s_or_b32 exec_lo, exec_lo, s51
.LBB211_97:                             ;   in Loop: Header=BB211_13 Depth=1
	s_or_b32 exec_lo, exec_lo, s50
.LBB211_98:                             ;   in Loop: Header=BB211_13 Depth=1
	s_or_b32 exec_lo, exec_lo, s49
	global_load_ushort v2, v[71:72], off offset:260
	v_mov_b32_e32 v87, 0
	v_mov_b32_e32 v85, 0
	;; [unrolled: 1-line block ×4, first 2 shown]
	s_waitcnt vmcnt(0)
	v_and_b32_e32 v1, 0xffff, v2
	v_cmp_ne_u16_sdwa s2, v2, v52 src0_sel:BYTE_0 src1_sel:DWORD
	s_and_saveexec_b32 s49, s2
	s_cbranch_execz .LBB211_106
; %bb.99:                               ;   in Loop: Header=BB211_13 Depth=1
	v_bfrev_b32_e32 v85, 1
	v_mov_b32_e32 v86, 0
	v_cmp_ne_u16_sdwa s2, v1, v34 src0_sel:BYTE_0 src1_sel:DWORD
	s_and_saveexec_b32 s50, s2
	s_cbranch_execz .LBB211_105
; %bb.100:                              ;   in Loop: Header=BB211_13 Depth=1
	v_mov_b32_e32 v85, 0x7f800001
	v_and_b32_e32 v3, 0x7f, v1
	v_mov_b32_e32 v86, 0
	s_mov_b32 s51, exec_lo
	v_cmpx_ne_u32_e32 0x7f, v3
	s_cbranch_execz .LBB211_104
; %bb.101:                              ;   in Loop: Header=BB211_13 Depth=1
	v_and_b32_e32 v51, 7, v1
	v_lshrrev_b32_e32 v2, 3, v3
	s_mov_b32 s52, exec_lo
	v_cmpx_gt_u32_e32 8, v3
; %bb.102:                              ;   in Loop: Header=BB211_13 Depth=1
	v_ffbh_u32_e32 v2, v51
	v_min_u32_e32 v2, 32, v2
	v_subrev_nc_u32_e32 v3, 28, v2
	v_sub_nc_u32_e32 v2, 29, v2
	v_lshlrev_b64 v[3:4], v3, v[51:52]
	v_and_b32_e32 v51, 7, v3
; %bb.103:                              ;   in Loop: Header=BB211_13 Depth=1
	s_or_b32 exec_lo, exec_lo, s52
	v_lshlrev_b32_e32 v3, 24, v1
	v_lshlrev_b32_e32 v4, 20, v51
	v_lshl_add_u32 v2, v2, 23, 0x3c000000
	v_and_b32_e32 v3, 0x80000000, v3
	v_or3_b32 v51, v4, v3, v2
	v_mov_b32_e32 v86, v52
	v_mov_b32_e32 v85, v51
.LBB211_104:                            ;   in Loop: Header=BB211_13 Depth=1
	s_or_b32 exec_lo, exec_lo, s51
.LBB211_105:                            ;   in Loop: Header=BB211_13 Depth=1
	s_or_b32 exec_lo, exec_lo, s50
.LBB211_106:                            ;   in Loop: Header=BB211_13 Depth=1
	s_or_b32 exec_lo, exec_lo, s49
	v_cmp_ne_u16_sdwa s2, v1, v52 src0_sel:BYTE_1 src1_sel:DWORD
	s_and_saveexec_b32 s49, s2
	s_cbranch_execz .LBB211_114
; %bb.107:                              ;   in Loop: Header=BB211_13 Depth=1
	v_mov_b32_e32 v25, v52
	v_mov_b32_e32 v88, v26
	v_cmp_ne_u16_sdwa s2, v1, v34 src0_sel:BYTE_1 src1_sel:DWORD
	v_mov_b32_e32 v87, v25
	s_and_saveexec_b32 s50, s2
	s_cbranch_execz .LBB211_113
; %bb.108:                              ;   in Loop: Header=BB211_13 Depth=1
	v_mov_b32_e32 v2, 0xffff
	v_mov_b32_e32 v75, v52
	;; [unrolled: 1-line block ×3, first 2 shown]
	s_mov_b32 s51, exec_lo
	v_and_b32_sdwa v2, v2, v1 dst_sel:DWORD dst_unused:UNUSED_PAD src0_sel:DWORD src1_sel:BYTE_1
	v_mov_b32_e32 v87, v75
	v_and_b32_e32 v3, 0x7f, v2
	v_cmpx_ne_u32_e32 0x7f, v3
	s_cbranch_execz .LBB211_112
; %bb.109:                              ;   in Loop: Header=BB211_13 Depth=1
	v_and_b32_e32 v51, 7, v2
	v_lshrrev_b32_e32 v2, 3, v3
	s_mov_b32 s52, exec_lo
	v_cmpx_gt_u32_e32 8, v3
; %bb.110:                              ;   in Loop: Header=BB211_13 Depth=1
	v_ffbh_u32_e32 v2, v51
	v_min_u32_e32 v2, 32, v2
	v_subrev_nc_u32_e32 v3, 28, v2
	v_sub_nc_u32_e32 v2, 29, v2
	v_lshlrev_b64 v[3:4], v3, v[51:52]
	v_and_b32_e32 v51, 7, v3
; %bb.111:                              ;   in Loop: Header=BB211_13 Depth=1
	s_or_b32 exec_lo, exec_lo, s52
	v_lshlrev_b32_e32 v1, 16, v1
	v_lshlrev_b32_e32 v3, 20, v51
	v_lshl_add_u32 v2, v2, 23, 0x3c000000
	v_mov_b32_e32 v87, v52
	v_and_b32_e32 v1, 0x80000000, v1
	v_or3_b32 v88, v3, v1, v2
.LBB211_112:                            ;   in Loop: Header=BB211_13 Depth=1
	s_or_b32 exec_lo, exec_lo, s51
.LBB211_113:                            ;   in Loop: Header=BB211_13 Depth=1
	s_or_b32 exec_lo, exec_lo, s50
.LBB211_114:                            ;   in Loop: Header=BB211_13 Depth=1
	s_or_b32 exec_lo, exec_lo, s49
	global_load_ushort v2, v[71:72], off offset:264
	v_mov_b32_e32 v91, 0
	v_mov_b32_e32 v89, 0
	;; [unrolled: 1-line block ×4, first 2 shown]
	s_waitcnt vmcnt(0)
	v_and_b32_e32 v1, 0xffff, v2
	v_cmp_ne_u16_sdwa s2, v2, v52 src0_sel:BYTE_0 src1_sel:DWORD
	s_and_saveexec_b32 s49, s2
	s_cbranch_execz .LBB211_122
; %bb.115:                              ;   in Loop: Header=BB211_13 Depth=1
	v_bfrev_b32_e32 v89, 1
	v_mov_b32_e32 v90, 0
	v_cmp_ne_u16_sdwa s2, v1, v34 src0_sel:BYTE_0 src1_sel:DWORD
	s_and_saveexec_b32 s50, s2
	s_cbranch_execz .LBB211_121
; %bb.116:                              ;   in Loop: Header=BB211_13 Depth=1
	v_mov_b32_e32 v89, 0x7f800001
	v_and_b32_e32 v3, 0x7f, v1
	v_mov_b32_e32 v90, 0
	s_mov_b32 s51, exec_lo
	v_cmpx_ne_u32_e32 0x7f, v3
	s_cbranch_execz .LBB211_120
; %bb.117:                              ;   in Loop: Header=BB211_13 Depth=1
	v_and_b32_e32 v51, 7, v1
	v_lshrrev_b32_e32 v2, 3, v3
	s_mov_b32 s52, exec_lo
	v_cmpx_gt_u32_e32 8, v3
; %bb.118:                              ;   in Loop: Header=BB211_13 Depth=1
	v_ffbh_u32_e32 v2, v51
	v_min_u32_e32 v2, 32, v2
	v_subrev_nc_u32_e32 v3, 28, v2
	v_sub_nc_u32_e32 v2, 29, v2
	v_lshlrev_b64 v[3:4], v3, v[51:52]
	v_and_b32_e32 v51, 7, v3
; %bb.119:                              ;   in Loop: Header=BB211_13 Depth=1
	s_or_b32 exec_lo, exec_lo, s52
	v_lshlrev_b32_e32 v3, 24, v1
	v_lshlrev_b32_e32 v4, 20, v51
	v_lshl_add_u32 v2, v2, 23, 0x3c000000
	v_and_b32_e32 v3, 0x80000000, v3
	v_or3_b32 v51, v4, v3, v2
	v_mov_b32_e32 v90, v52
	v_mov_b32_e32 v89, v51
.LBB211_120:                            ;   in Loop: Header=BB211_13 Depth=1
	s_or_b32 exec_lo, exec_lo, s51
.LBB211_121:                            ;   in Loop: Header=BB211_13 Depth=1
	s_or_b32 exec_lo, exec_lo, s50
.LBB211_122:                            ;   in Loop: Header=BB211_13 Depth=1
	s_or_b32 exec_lo, exec_lo, s49
	v_cmp_ne_u16_sdwa s2, v1, v52 src0_sel:BYTE_1 src1_sel:DWORD
	s_and_saveexec_b32 s49, s2
	s_cbranch_execz .LBB211_130
; %bb.123:                              ;   in Loop: Header=BB211_13 Depth=1
	v_mov_b32_e32 v25, v52
	v_mov_b32_e32 v92, v26
	v_cmp_ne_u16_sdwa s2, v1, v34 src0_sel:BYTE_1 src1_sel:DWORD
	v_mov_b32_e32 v91, v25
	s_and_saveexec_b32 s50, s2
	s_cbranch_execz .LBB211_129
; %bb.124:                              ;   in Loop: Header=BB211_13 Depth=1
	v_mov_b32_e32 v2, 0xffff
	v_mov_b32_e32 v75, v52
	;; [unrolled: 1-line block ×3, first 2 shown]
	s_mov_b32 s51, exec_lo
	v_and_b32_sdwa v2, v2, v1 dst_sel:DWORD dst_unused:UNUSED_PAD src0_sel:DWORD src1_sel:BYTE_1
	v_mov_b32_e32 v91, v75
	v_and_b32_e32 v3, 0x7f, v2
	v_cmpx_ne_u32_e32 0x7f, v3
	s_cbranch_execz .LBB211_128
; %bb.125:                              ;   in Loop: Header=BB211_13 Depth=1
	v_and_b32_e32 v51, 7, v2
	v_lshrrev_b32_e32 v2, 3, v3
	s_mov_b32 s52, exec_lo
	v_cmpx_gt_u32_e32 8, v3
; %bb.126:                              ;   in Loop: Header=BB211_13 Depth=1
	v_ffbh_u32_e32 v2, v51
	v_min_u32_e32 v2, 32, v2
	v_subrev_nc_u32_e32 v3, 28, v2
	v_sub_nc_u32_e32 v2, 29, v2
	v_lshlrev_b64 v[3:4], v3, v[51:52]
	v_and_b32_e32 v51, 7, v3
; %bb.127:                              ;   in Loop: Header=BB211_13 Depth=1
	s_or_b32 exec_lo, exec_lo, s52
	v_lshlrev_b32_e32 v1, 16, v1
	v_lshlrev_b32_e32 v3, 20, v51
	v_lshl_add_u32 v2, v2, 23, 0x3c000000
	v_mov_b32_e32 v91, v52
	v_and_b32_e32 v1, 0x80000000, v1
	v_or3_b32 v92, v3, v1, v2
.LBB211_128:                            ;   in Loop: Header=BB211_13 Depth=1
	s_or_b32 exec_lo, exec_lo, s51
.LBB211_129:                            ;   in Loop: Header=BB211_13 Depth=1
	s_or_b32 exec_lo, exec_lo, s50
.LBB211_130:                            ;   in Loop: Header=BB211_13 Depth=1
	s_or_b32 exec_lo, exec_lo, s49
	global_load_ushort v2, v[71:72], off offset:268
	v_mov_b32_e32 v95, 0
	v_mov_b32_e32 v93, 0
	;; [unrolled: 1-line block ×4, first 2 shown]
	s_waitcnt vmcnt(0)
	v_and_b32_e32 v1, 0xffff, v2
	v_cmp_ne_u16_sdwa s2, v2, v52 src0_sel:BYTE_0 src1_sel:DWORD
	s_and_saveexec_b32 s49, s2
	s_cbranch_execz .LBB211_138
; %bb.131:                              ;   in Loop: Header=BB211_13 Depth=1
	v_bfrev_b32_e32 v93, 1
	v_mov_b32_e32 v94, 0
	v_cmp_ne_u16_sdwa s2, v1, v34 src0_sel:BYTE_0 src1_sel:DWORD
	s_and_saveexec_b32 s50, s2
	s_cbranch_execz .LBB211_137
; %bb.132:                              ;   in Loop: Header=BB211_13 Depth=1
	v_mov_b32_e32 v93, 0x7f800001
	v_and_b32_e32 v3, 0x7f, v1
	v_mov_b32_e32 v94, 0
	s_mov_b32 s51, exec_lo
	v_cmpx_ne_u32_e32 0x7f, v3
	s_cbranch_execz .LBB211_136
; %bb.133:                              ;   in Loop: Header=BB211_13 Depth=1
	v_and_b32_e32 v51, 7, v1
	v_lshrrev_b32_e32 v2, 3, v3
	s_mov_b32 s52, exec_lo
	v_cmpx_gt_u32_e32 8, v3
; %bb.134:                              ;   in Loop: Header=BB211_13 Depth=1
	v_ffbh_u32_e32 v2, v51
	v_min_u32_e32 v2, 32, v2
	v_subrev_nc_u32_e32 v3, 28, v2
	v_sub_nc_u32_e32 v2, 29, v2
	v_lshlrev_b64 v[3:4], v3, v[51:52]
	v_and_b32_e32 v51, 7, v3
; %bb.135:                              ;   in Loop: Header=BB211_13 Depth=1
	s_or_b32 exec_lo, exec_lo, s52
	v_lshlrev_b32_e32 v3, 24, v1
	v_lshlrev_b32_e32 v4, 20, v51
	v_lshl_add_u32 v2, v2, 23, 0x3c000000
	v_and_b32_e32 v3, 0x80000000, v3
	v_or3_b32 v51, v4, v3, v2
	v_mov_b32_e32 v94, v52
	v_mov_b32_e32 v93, v51
.LBB211_136:                            ;   in Loop: Header=BB211_13 Depth=1
	s_or_b32 exec_lo, exec_lo, s51
.LBB211_137:                            ;   in Loop: Header=BB211_13 Depth=1
	s_or_b32 exec_lo, exec_lo, s50
.LBB211_138:                            ;   in Loop: Header=BB211_13 Depth=1
	s_or_b32 exec_lo, exec_lo, s49
	v_cmp_ne_u16_sdwa s2, v1, v52 src0_sel:BYTE_1 src1_sel:DWORD
	s_and_saveexec_b32 s49, s2
	s_cbranch_execz .LBB211_146
; %bb.139:                              ;   in Loop: Header=BB211_13 Depth=1
	v_mov_b32_e32 v25, v52
	v_mov_b32_e32 v96, v26
	v_cmp_ne_u16_sdwa s2, v1, v34 src0_sel:BYTE_1 src1_sel:DWORD
	v_mov_b32_e32 v95, v25
	s_and_saveexec_b32 s50, s2
	s_cbranch_execz .LBB211_145
; %bb.140:                              ;   in Loop: Header=BB211_13 Depth=1
	v_mov_b32_e32 v2, 0xffff
	v_mov_b32_e32 v75, v52
	;; [unrolled: 1-line block ×3, first 2 shown]
	s_mov_b32 s51, exec_lo
	v_and_b32_sdwa v2, v2, v1 dst_sel:DWORD dst_unused:UNUSED_PAD src0_sel:DWORD src1_sel:BYTE_1
	v_mov_b32_e32 v95, v75
	v_and_b32_e32 v3, 0x7f, v2
	v_cmpx_ne_u32_e32 0x7f, v3
	s_cbranch_execz .LBB211_144
; %bb.141:                              ;   in Loop: Header=BB211_13 Depth=1
	v_and_b32_e32 v51, 7, v2
	v_lshrrev_b32_e32 v2, 3, v3
	s_mov_b32 s52, exec_lo
	v_cmpx_gt_u32_e32 8, v3
; %bb.142:                              ;   in Loop: Header=BB211_13 Depth=1
	v_ffbh_u32_e32 v2, v51
	v_min_u32_e32 v2, 32, v2
	v_subrev_nc_u32_e32 v3, 28, v2
	v_sub_nc_u32_e32 v2, 29, v2
	v_lshlrev_b64 v[3:4], v3, v[51:52]
	v_and_b32_e32 v51, 7, v3
; %bb.143:                              ;   in Loop: Header=BB211_13 Depth=1
	s_or_b32 exec_lo, exec_lo, s52
	v_lshlrev_b32_e32 v1, 16, v1
	v_lshlrev_b32_e32 v3, 20, v51
	v_lshl_add_u32 v2, v2, 23, 0x3c000000
	v_mov_b32_e32 v95, v52
	v_and_b32_e32 v1, 0x80000000, v1
	v_or3_b32 v96, v3, v1, v2
.LBB211_144:                            ;   in Loop: Header=BB211_13 Depth=1
	s_or_b32 exec_lo, exec_lo, s51
.LBB211_145:                            ;   in Loop: Header=BB211_13 Depth=1
	s_or_b32 exec_lo, exec_lo, s50
.LBB211_146:                            ;   in Loop: Header=BB211_13 Depth=1
	s_or_b32 exec_lo, exec_lo, s49
	global_load_ushort v2, v[71:72], off offset:512
	v_mov_b32_e32 v99, 0
	v_mov_b32_e32 v97, 0
	;; [unrolled: 1-line block ×4, first 2 shown]
	s_waitcnt vmcnt(0)
	v_and_b32_e32 v1, 0xffff, v2
	v_cmp_ne_u16_sdwa s2, v2, v52 src0_sel:BYTE_0 src1_sel:DWORD
	s_and_saveexec_b32 s49, s2
	s_cbranch_execz .LBB211_154
; %bb.147:                              ;   in Loop: Header=BB211_13 Depth=1
	v_bfrev_b32_e32 v97, 1
	v_mov_b32_e32 v98, 0
	v_cmp_ne_u16_sdwa s2, v1, v34 src0_sel:BYTE_0 src1_sel:DWORD
	s_and_saveexec_b32 s50, s2
	s_cbranch_execz .LBB211_153
; %bb.148:                              ;   in Loop: Header=BB211_13 Depth=1
	v_mov_b32_e32 v97, 0x7f800001
	v_and_b32_e32 v3, 0x7f, v1
	v_mov_b32_e32 v98, 0
	s_mov_b32 s51, exec_lo
	v_cmpx_ne_u32_e32 0x7f, v3
	s_cbranch_execz .LBB211_152
; %bb.149:                              ;   in Loop: Header=BB211_13 Depth=1
	v_and_b32_e32 v51, 7, v1
	v_lshrrev_b32_e32 v2, 3, v3
	s_mov_b32 s52, exec_lo
	v_cmpx_gt_u32_e32 8, v3
; %bb.150:                              ;   in Loop: Header=BB211_13 Depth=1
	v_ffbh_u32_e32 v2, v51
	v_min_u32_e32 v2, 32, v2
	v_subrev_nc_u32_e32 v3, 28, v2
	v_sub_nc_u32_e32 v2, 29, v2
	v_lshlrev_b64 v[3:4], v3, v[51:52]
	v_and_b32_e32 v51, 7, v3
; %bb.151:                              ;   in Loop: Header=BB211_13 Depth=1
	s_or_b32 exec_lo, exec_lo, s52
	v_lshlrev_b32_e32 v3, 24, v1
	v_lshlrev_b32_e32 v4, 20, v51
	v_lshl_add_u32 v2, v2, 23, 0x3c000000
	v_and_b32_e32 v3, 0x80000000, v3
	v_or3_b32 v51, v4, v3, v2
	v_mov_b32_e32 v98, v52
	v_mov_b32_e32 v97, v51
.LBB211_152:                            ;   in Loop: Header=BB211_13 Depth=1
	s_or_b32 exec_lo, exec_lo, s51
.LBB211_153:                            ;   in Loop: Header=BB211_13 Depth=1
	s_or_b32 exec_lo, exec_lo, s50
.LBB211_154:                            ;   in Loop: Header=BB211_13 Depth=1
	s_or_b32 exec_lo, exec_lo, s49
	v_cmp_ne_u16_sdwa s2, v1, v52 src0_sel:BYTE_1 src1_sel:DWORD
	s_and_saveexec_b32 s49, s2
	s_cbranch_execz .LBB211_162
; %bb.155:                              ;   in Loop: Header=BB211_13 Depth=1
	v_mov_b32_e32 v25, v52
	v_mov_b32_e32 v100, v26
	v_cmp_ne_u16_sdwa s2, v1, v34 src0_sel:BYTE_1 src1_sel:DWORD
	v_mov_b32_e32 v99, v25
	s_and_saveexec_b32 s50, s2
	s_cbranch_execz .LBB211_161
; %bb.156:                              ;   in Loop: Header=BB211_13 Depth=1
	v_mov_b32_e32 v2, 0xffff
	v_mov_b32_e32 v75, v52
	;; [unrolled: 1-line block ×3, first 2 shown]
	s_mov_b32 s51, exec_lo
	v_and_b32_sdwa v2, v2, v1 dst_sel:DWORD dst_unused:UNUSED_PAD src0_sel:DWORD src1_sel:BYTE_1
	v_mov_b32_e32 v99, v75
	v_and_b32_e32 v3, 0x7f, v2
	v_cmpx_ne_u32_e32 0x7f, v3
	s_cbranch_execz .LBB211_160
; %bb.157:                              ;   in Loop: Header=BB211_13 Depth=1
	v_and_b32_e32 v51, 7, v2
	v_lshrrev_b32_e32 v2, 3, v3
	s_mov_b32 s52, exec_lo
	v_cmpx_gt_u32_e32 8, v3
; %bb.158:                              ;   in Loop: Header=BB211_13 Depth=1
	v_ffbh_u32_e32 v2, v51
	v_min_u32_e32 v2, 32, v2
	v_subrev_nc_u32_e32 v3, 28, v2
	v_sub_nc_u32_e32 v2, 29, v2
	v_lshlrev_b64 v[3:4], v3, v[51:52]
	v_and_b32_e32 v51, 7, v3
; %bb.159:                              ;   in Loop: Header=BB211_13 Depth=1
	s_or_b32 exec_lo, exec_lo, s52
	v_lshlrev_b32_e32 v1, 16, v1
	v_lshlrev_b32_e32 v3, 20, v51
	v_lshl_add_u32 v2, v2, 23, 0x3c000000
	v_mov_b32_e32 v99, v52
	v_and_b32_e32 v1, 0x80000000, v1
	v_or3_b32 v100, v3, v1, v2
.LBB211_160:                            ;   in Loop: Header=BB211_13 Depth=1
	s_or_b32 exec_lo, exec_lo, s51
.LBB211_161:                            ;   in Loop: Header=BB211_13 Depth=1
	s_or_b32 exec_lo, exec_lo, s50
.LBB211_162:                            ;   in Loop: Header=BB211_13 Depth=1
	s_or_b32 exec_lo, exec_lo, s49
	global_load_ushort v2, v[71:72], off offset:516
	v_mov_b32_e32 v103, 0
	v_mov_b32_e32 v101, 0
	;; [unrolled: 1-line block ×4, first 2 shown]
	s_waitcnt vmcnt(0)
	v_and_b32_e32 v1, 0xffff, v2
	v_cmp_ne_u16_sdwa s2, v2, v52 src0_sel:BYTE_0 src1_sel:DWORD
	s_and_saveexec_b32 s49, s2
	s_cbranch_execz .LBB211_170
; %bb.163:                              ;   in Loop: Header=BB211_13 Depth=1
	v_bfrev_b32_e32 v101, 1
	v_mov_b32_e32 v102, 0
	v_cmp_ne_u16_sdwa s2, v1, v34 src0_sel:BYTE_0 src1_sel:DWORD
	s_and_saveexec_b32 s50, s2
	s_cbranch_execz .LBB211_169
; %bb.164:                              ;   in Loop: Header=BB211_13 Depth=1
	v_mov_b32_e32 v101, 0x7f800001
	v_and_b32_e32 v3, 0x7f, v1
	v_mov_b32_e32 v102, 0
	s_mov_b32 s51, exec_lo
	v_cmpx_ne_u32_e32 0x7f, v3
	s_cbranch_execz .LBB211_168
; %bb.165:                              ;   in Loop: Header=BB211_13 Depth=1
	v_and_b32_e32 v51, 7, v1
	v_lshrrev_b32_e32 v2, 3, v3
	s_mov_b32 s52, exec_lo
	v_cmpx_gt_u32_e32 8, v3
; %bb.166:                              ;   in Loop: Header=BB211_13 Depth=1
	v_ffbh_u32_e32 v2, v51
	v_min_u32_e32 v2, 32, v2
	v_subrev_nc_u32_e32 v3, 28, v2
	v_sub_nc_u32_e32 v2, 29, v2
	v_lshlrev_b64 v[3:4], v3, v[51:52]
	v_and_b32_e32 v51, 7, v3
; %bb.167:                              ;   in Loop: Header=BB211_13 Depth=1
	s_or_b32 exec_lo, exec_lo, s52
	v_lshlrev_b32_e32 v3, 24, v1
	v_lshlrev_b32_e32 v4, 20, v51
	v_lshl_add_u32 v2, v2, 23, 0x3c000000
	v_and_b32_e32 v3, 0x80000000, v3
	v_or3_b32 v51, v4, v3, v2
	v_mov_b32_e32 v102, v52
	v_mov_b32_e32 v101, v51
.LBB211_168:                            ;   in Loop: Header=BB211_13 Depth=1
	s_or_b32 exec_lo, exec_lo, s51
.LBB211_169:                            ;   in Loop: Header=BB211_13 Depth=1
	s_or_b32 exec_lo, exec_lo, s50
.LBB211_170:                            ;   in Loop: Header=BB211_13 Depth=1
	s_or_b32 exec_lo, exec_lo, s49
	v_cmp_ne_u16_sdwa s2, v1, v52 src0_sel:BYTE_1 src1_sel:DWORD
	s_and_saveexec_b32 s49, s2
	s_cbranch_execz .LBB211_178
; %bb.171:                              ;   in Loop: Header=BB211_13 Depth=1
	v_mov_b32_e32 v25, v52
	v_mov_b32_e32 v104, v26
	v_cmp_ne_u16_sdwa s2, v1, v34 src0_sel:BYTE_1 src1_sel:DWORD
	v_mov_b32_e32 v103, v25
	s_and_saveexec_b32 s50, s2
	s_cbranch_execz .LBB211_177
; %bb.172:                              ;   in Loop: Header=BB211_13 Depth=1
	v_mov_b32_e32 v2, 0xffff
	v_mov_b32_e32 v75, v52
	;; [unrolled: 1-line block ×3, first 2 shown]
	s_mov_b32 s51, exec_lo
	v_and_b32_sdwa v2, v2, v1 dst_sel:DWORD dst_unused:UNUSED_PAD src0_sel:DWORD src1_sel:BYTE_1
	v_mov_b32_e32 v103, v75
	v_and_b32_e32 v3, 0x7f, v2
	v_cmpx_ne_u32_e32 0x7f, v3
	s_cbranch_execz .LBB211_176
; %bb.173:                              ;   in Loop: Header=BB211_13 Depth=1
	v_and_b32_e32 v51, 7, v2
	v_lshrrev_b32_e32 v2, 3, v3
	s_mov_b32 s52, exec_lo
	v_cmpx_gt_u32_e32 8, v3
; %bb.174:                              ;   in Loop: Header=BB211_13 Depth=1
	v_ffbh_u32_e32 v2, v51
	v_min_u32_e32 v2, 32, v2
	v_subrev_nc_u32_e32 v3, 28, v2
	v_sub_nc_u32_e32 v2, 29, v2
	v_lshlrev_b64 v[3:4], v3, v[51:52]
	v_and_b32_e32 v51, 7, v3
; %bb.175:                              ;   in Loop: Header=BB211_13 Depth=1
	s_or_b32 exec_lo, exec_lo, s52
	v_lshlrev_b32_e32 v1, 16, v1
	v_lshlrev_b32_e32 v3, 20, v51
	v_lshl_add_u32 v2, v2, 23, 0x3c000000
	v_mov_b32_e32 v103, v52
	v_and_b32_e32 v1, 0x80000000, v1
	v_or3_b32 v104, v3, v1, v2
.LBB211_176:                            ;   in Loop: Header=BB211_13 Depth=1
	s_or_b32 exec_lo, exec_lo, s51
.LBB211_177:                            ;   in Loop: Header=BB211_13 Depth=1
	s_or_b32 exec_lo, exec_lo, s50
.LBB211_178:                            ;   in Loop: Header=BB211_13 Depth=1
	s_or_b32 exec_lo, exec_lo, s49
	global_load_ushort v2, v[71:72], off offset:520
	v_mov_b32_e32 v107, 0
	v_mov_b32_e32 v105, 0
	v_mov_b32_e32 v108, 0
	v_mov_b32_e32 v106, 0
	s_waitcnt vmcnt(0)
	v_and_b32_e32 v1, 0xffff, v2
	v_cmp_ne_u16_sdwa s2, v2, v52 src0_sel:BYTE_0 src1_sel:DWORD
	s_and_saveexec_b32 s49, s2
	s_cbranch_execz .LBB211_186
; %bb.179:                              ;   in Loop: Header=BB211_13 Depth=1
	v_bfrev_b32_e32 v105, 1
	v_mov_b32_e32 v106, 0
	v_cmp_ne_u16_sdwa s2, v1, v34 src0_sel:BYTE_0 src1_sel:DWORD
	s_and_saveexec_b32 s50, s2
	s_cbranch_execz .LBB211_185
; %bb.180:                              ;   in Loop: Header=BB211_13 Depth=1
	v_mov_b32_e32 v105, 0x7f800001
	v_and_b32_e32 v3, 0x7f, v1
	v_mov_b32_e32 v106, 0
	s_mov_b32 s51, exec_lo
	v_cmpx_ne_u32_e32 0x7f, v3
	s_cbranch_execz .LBB211_184
; %bb.181:                              ;   in Loop: Header=BB211_13 Depth=1
	v_and_b32_e32 v51, 7, v1
	v_lshrrev_b32_e32 v2, 3, v3
	s_mov_b32 s52, exec_lo
	v_cmpx_gt_u32_e32 8, v3
; %bb.182:                              ;   in Loop: Header=BB211_13 Depth=1
	v_ffbh_u32_e32 v2, v51
	v_min_u32_e32 v2, 32, v2
	v_subrev_nc_u32_e32 v3, 28, v2
	v_sub_nc_u32_e32 v2, 29, v2
	v_lshlrev_b64 v[3:4], v3, v[51:52]
	v_and_b32_e32 v51, 7, v3
; %bb.183:                              ;   in Loop: Header=BB211_13 Depth=1
	s_or_b32 exec_lo, exec_lo, s52
	v_lshlrev_b32_e32 v3, 24, v1
	v_lshlrev_b32_e32 v4, 20, v51
	v_lshl_add_u32 v2, v2, 23, 0x3c000000
	v_and_b32_e32 v3, 0x80000000, v3
	v_or3_b32 v51, v4, v3, v2
	v_mov_b32_e32 v106, v52
	v_mov_b32_e32 v105, v51
.LBB211_184:                            ;   in Loop: Header=BB211_13 Depth=1
	s_or_b32 exec_lo, exec_lo, s51
.LBB211_185:                            ;   in Loop: Header=BB211_13 Depth=1
	s_or_b32 exec_lo, exec_lo, s50
.LBB211_186:                            ;   in Loop: Header=BB211_13 Depth=1
	s_or_b32 exec_lo, exec_lo, s49
	v_cmp_ne_u16_sdwa s2, v1, v52 src0_sel:BYTE_1 src1_sel:DWORD
	s_and_saveexec_b32 s49, s2
	s_cbranch_execz .LBB211_194
; %bb.187:                              ;   in Loop: Header=BB211_13 Depth=1
	v_mov_b32_e32 v25, v52
	v_mov_b32_e32 v108, v26
	v_cmp_ne_u16_sdwa s2, v1, v34 src0_sel:BYTE_1 src1_sel:DWORD
	v_mov_b32_e32 v107, v25
	s_and_saveexec_b32 s50, s2
	s_cbranch_execz .LBB211_193
; %bb.188:                              ;   in Loop: Header=BB211_13 Depth=1
	v_mov_b32_e32 v2, 0xffff
	v_mov_b32_e32 v75, v52
	;; [unrolled: 1-line block ×3, first 2 shown]
	s_mov_b32 s51, exec_lo
	v_and_b32_sdwa v2, v2, v1 dst_sel:DWORD dst_unused:UNUSED_PAD src0_sel:DWORD src1_sel:BYTE_1
	v_mov_b32_e32 v107, v75
	v_and_b32_e32 v3, 0x7f, v2
	v_cmpx_ne_u32_e32 0x7f, v3
	s_cbranch_execz .LBB211_192
; %bb.189:                              ;   in Loop: Header=BB211_13 Depth=1
	v_and_b32_e32 v51, 7, v2
	v_lshrrev_b32_e32 v2, 3, v3
	s_mov_b32 s52, exec_lo
	v_cmpx_gt_u32_e32 8, v3
; %bb.190:                              ;   in Loop: Header=BB211_13 Depth=1
	v_ffbh_u32_e32 v2, v51
	v_min_u32_e32 v2, 32, v2
	v_subrev_nc_u32_e32 v3, 28, v2
	v_sub_nc_u32_e32 v2, 29, v2
	v_lshlrev_b64 v[3:4], v3, v[51:52]
	v_and_b32_e32 v51, 7, v3
; %bb.191:                              ;   in Loop: Header=BB211_13 Depth=1
	s_or_b32 exec_lo, exec_lo, s52
	v_lshlrev_b32_e32 v1, 16, v1
	v_lshlrev_b32_e32 v3, 20, v51
	v_lshl_add_u32 v2, v2, 23, 0x3c000000
	v_mov_b32_e32 v107, v52
	v_and_b32_e32 v1, 0x80000000, v1
	v_or3_b32 v108, v3, v1, v2
.LBB211_192:                            ;   in Loop: Header=BB211_13 Depth=1
	s_or_b32 exec_lo, exec_lo, s51
.LBB211_193:                            ;   in Loop: Header=BB211_13 Depth=1
	s_or_b32 exec_lo, exec_lo, s50
.LBB211_194:                            ;   in Loop: Header=BB211_13 Depth=1
	s_or_b32 exec_lo, exec_lo, s49
	global_load_ushort v2, v[71:72], off offset:524
	v_mov_b32_e32 v111, 0
	v_mov_b32_e32 v109, 0
	;; [unrolled: 1-line block ×4, first 2 shown]
	s_waitcnt vmcnt(0)
	v_and_b32_e32 v1, 0xffff, v2
	v_cmp_ne_u16_sdwa s2, v2, v52 src0_sel:BYTE_0 src1_sel:DWORD
	s_and_saveexec_b32 s49, s2
	s_cbranch_execz .LBB211_202
; %bb.195:                              ;   in Loop: Header=BB211_13 Depth=1
	v_bfrev_b32_e32 v109, 1
	v_mov_b32_e32 v110, 0
	v_cmp_ne_u16_sdwa s2, v1, v34 src0_sel:BYTE_0 src1_sel:DWORD
	s_and_saveexec_b32 s50, s2
	s_cbranch_execz .LBB211_201
; %bb.196:                              ;   in Loop: Header=BB211_13 Depth=1
	v_mov_b32_e32 v109, 0x7f800001
	v_and_b32_e32 v3, 0x7f, v1
	v_mov_b32_e32 v110, 0
	s_mov_b32 s51, exec_lo
	v_cmpx_ne_u32_e32 0x7f, v3
	s_cbranch_execz .LBB211_200
; %bb.197:                              ;   in Loop: Header=BB211_13 Depth=1
	v_and_b32_e32 v51, 7, v1
	v_lshrrev_b32_e32 v2, 3, v3
	s_mov_b32 s52, exec_lo
	v_cmpx_gt_u32_e32 8, v3
; %bb.198:                              ;   in Loop: Header=BB211_13 Depth=1
	v_ffbh_u32_e32 v2, v51
	v_min_u32_e32 v2, 32, v2
	v_subrev_nc_u32_e32 v3, 28, v2
	v_sub_nc_u32_e32 v2, 29, v2
	v_lshlrev_b64 v[3:4], v3, v[51:52]
	v_and_b32_e32 v51, 7, v3
; %bb.199:                              ;   in Loop: Header=BB211_13 Depth=1
	s_or_b32 exec_lo, exec_lo, s52
	v_lshlrev_b32_e32 v3, 24, v1
	v_lshlrev_b32_e32 v4, 20, v51
	v_lshl_add_u32 v2, v2, 23, 0x3c000000
	v_and_b32_e32 v3, 0x80000000, v3
	v_or3_b32 v51, v4, v3, v2
	v_mov_b32_e32 v110, v52
	v_mov_b32_e32 v109, v51
.LBB211_200:                            ;   in Loop: Header=BB211_13 Depth=1
	s_or_b32 exec_lo, exec_lo, s51
.LBB211_201:                            ;   in Loop: Header=BB211_13 Depth=1
	s_or_b32 exec_lo, exec_lo, s50
.LBB211_202:                            ;   in Loop: Header=BB211_13 Depth=1
	s_or_b32 exec_lo, exec_lo, s49
	v_cmp_ne_u16_sdwa s2, v1, v52 src0_sel:BYTE_1 src1_sel:DWORD
	s_and_saveexec_b32 s49, s2
	s_cbranch_execz .LBB211_210
; %bb.203:                              ;   in Loop: Header=BB211_13 Depth=1
	v_mov_b32_e32 v25, v52
	v_mov_b32_e32 v112, v26
	v_cmp_ne_u16_sdwa s2, v1, v34 src0_sel:BYTE_1 src1_sel:DWORD
	v_mov_b32_e32 v111, v25
	s_and_saveexec_b32 s50, s2
	s_cbranch_execz .LBB211_209
; %bb.204:                              ;   in Loop: Header=BB211_13 Depth=1
	v_mov_b32_e32 v2, 0xffff
	v_mov_b32_e32 v75, v52
	;; [unrolled: 1-line block ×3, first 2 shown]
	s_mov_b32 s51, exec_lo
	v_and_b32_sdwa v2, v2, v1 dst_sel:DWORD dst_unused:UNUSED_PAD src0_sel:DWORD src1_sel:BYTE_1
	v_mov_b32_e32 v111, v75
	v_and_b32_e32 v3, 0x7f, v2
	v_cmpx_ne_u32_e32 0x7f, v3
	s_cbranch_execz .LBB211_208
; %bb.205:                              ;   in Loop: Header=BB211_13 Depth=1
	v_and_b32_e32 v51, 7, v2
	v_lshrrev_b32_e32 v2, 3, v3
	s_mov_b32 s52, exec_lo
	v_cmpx_gt_u32_e32 8, v3
; %bb.206:                              ;   in Loop: Header=BB211_13 Depth=1
	v_ffbh_u32_e32 v2, v51
	v_min_u32_e32 v2, 32, v2
	v_subrev_nc_u32_e32 v3, 28, v2
	v_sub_nc_u32_e32 v2, 29, v2
	v_lshlrev_b64 v[3:4], v3, v[51:52]
	v_and_b32_e32 v51, 7, v3
; %bb.207:                              ;   in Loop: Header=BB211_13 Depth=1
	s_or_b32 exec_lo, exec_lo, s52
	v_lshlrev_b32_e32 v1, 16, v1
	v_lshlrev_b32_e32 v3, 20, v51
	v_lshl_add_u32 v2, v2, 23, 0x3c000000
	v_mov_b32_e32 v111, v52
	v_and_b32_e32 v1, 0x80000000, v1
	v_or3_b32 v112, v3, v1, v2
.LBB211_208:                            ;   in Loop: Header=BB211_13 Depth=1
	s_or_b32 exec_lo, exec_lo, s51
.LBB211_209:                            ;   in Loop: Header=BB211_13 Depth=1
	s_or_b32 exec_lo, exec_lo, s50
.LBB211_210:                            ;   in Loop: Header=BB211_13 Depth=1
	s_or_b32 exec_lo, exec_lo, s49
	global_load_ushort v2, v[71:72], off offset:768
	v_mov_b32_e32 v115, 0
	v_mov_b32_e32 v113, 0
	;; [unrolled: 1-line block ×4, first 2 shown]
	s_waitcnt vmcnt(0)
	v_and_b32_e32 v1, 0xffff, v2
	v_cmp_ne_u16_sdwa s2, v2, v52 src0_sel:BYTE_0 src1_sel:DWORD
	s_and_saveexec_b32 s49, s2
	s_cbranch_execz .LBB211_218
; %bb.211:                              ;   in Loop: Header=BB211_13 Depth=1
	v_bfrev_b32_e32 v113, 1
	v_mov_b32_e32 v114, 0
	v_cmp_ne_u16_sdwa s2, v1, v34 src0_sel:BYTE_0 src1_sel:DWORD
	s_and_saveexec_b32 s50, s2
	s_cbranch_execz .LBB211_217
; %bb.212:                              ;   in Loop: Header=BB211_13 Depth=1
	v_mov_b32_e32 v113, 0x7f800001
	v_and_b32_e32 v3, 0x7f, v1
	v_mov_b32_e32 v114, 0
	s_mov_b32 s51, exec_lo
	v_cmpx_ne_u32_e32 0x7f, v3
	s_cbranch_execz .LBB211_216
; %bb.213:                              ;   in Loop: Header=BB211_13 Depth=1
	v_and_b32_e32 v51, 7, v1
	v_lshrrev_b32_e32 v2, 3, v3
	s_mov_b32 s52, exec_lo
	v_cmpx_gt_u32_e32 8, v3
; %bb.214:                              ;   in Loop: Header=BB211_13 Depth=1
	v_ffbh_u32_e32 v2, v51
	v_min_u32_e32 v2, 32, v2
	v_subrev_nc_u32_e32 v3, 28, v2
	v_sub_nc_u32_e32 v2, 29, v2
	v_lshlrev_b64 v[3:4], v3, v[51:52]
	v_and_b32_e32 v51, 7, v3
; %bb.215:                              ;   in Loop: Header=BB211_13 Depth=1
	s_or_b32 exec_lo, exec_lo, s52
	v_lshlrev_b32_e32 v3, 24, v1
	v_lshlrev_b32_e32 v4, 20, v51
	v_lshl_add_u32 v2, v2, 23, 0x3c000000
	v_and_b32_e32 v3, 0x80000000, v3
	v_or3_b32 v51, v4, v3, v2
	v_mov_b32_e32 v114, v52
	v_mov_b32_e32 v113, v51
.LBB211_216:                            ;   in Loop: Header=BB211_13 Depth=1
	s_or_b32 exec_lo, exec_lo, s51
.LBB211_217:                            ;   in Loop: Header=BB211_13 Depth=1
	s_or_b32 exec_lo, exec_lo, s50
.LBB211_218:                            ;   in Loop: Header=BB211_13 Depth=1
	s_or_b32 exec_lo, exec_lo, s49
	v_cmp_ne_u16_sdwa s2, v1, v52 src0_sel:BYTE_1 src1_sel:DWORD
	s_and_saveexec_b32 s49, s2
	s_cbranch_execz .LBB211_226
; %bb.219:                              ;   in Loop: Header=BB211_13 Depth=1
	v_mov_b32_e32 v25, v52
	v_mov_b32_e32 v116, v26
	v_cmp_ne_u16_sdwa s2, v1, v34 src0_sel:BYTE_1 src1_sel:DWORD
	v_mov_b32_e32 v115, v25
	s_and_saveexec_b32 s50, s2
	s_cbranch_execz .LBB211_225
; %bb.220:                              ;   in Loop: Header=BB211_13 Depth=1
	v_mov_b32_e32 v2, 0xffff
	v_mov_b32_e32 v75, v52
	;; [unrolled: 1-line block ×3, first 2 shown]
	s_mov_b32 s51, exec_lo
	v_and_b32_sdwa v2, v2, v1 dst_sel:DWORD dst_unused:UNUSED_PAD src0_sel:DWORD src1_sel:BYTE_1
	v_mov_b32_e32 v115, v75
	v_and_b32_e32 v3, 0x7f, v2
	v_cmpx_ne_u32_e32 0x7f, v3
	s_cbranch_execz .LBB211_224
; %bb.221:                              ;   in Loop: Header=BB211_13 Depth=1
	v_and_b32_e32 v51, 7, v2
	v_lshrrev_b32_e32 v2, 3, v3
	s_mov_b32 s52, exec_lo
	v_cmpx_gt_u32_e32 8, v3
; %bb.222:                              ;   in Loop: Header=BB211_13 Depth=1
	v_ffbh_u32_e32 v2, v51
	v_min_u32_e32 v2, 32, v2
	v_subrev_nc_u32_e32 v3, 28, v2
	v_sub_nc_u32_e32 v2, 29, v2
	v_lshlrev_b64 v[3:4], v3, v[51:52]
	v_and_b32_e32 v51, 7, v3
; %bb.223:                              ;   in Loop: Header=BB211_13 Depth=1
	s_or_b32 exec_lo, exec_lo, s52
	v_lshlrev_b32_e32 v1, 16, v1
	v_lshlrev_b32_e32 v3, 20, v51
	v_lshl_add_u32 v2, v2, 23, 0x3c000000
	v_mov_b32_e32 v115, v52
	v_and_b32_e32 v1, 0x80000000, v1
	v_or3_b32 v116, v3, v1, v2
.LBB211_224:                            ;   in Loop: Header=BB211_13 Depth=1
	s_or_b32 exec_lo, exec_lo, s51
.LBB211_225:                            ;   in Loop: Header=BB211_13 Depth=1
	s_or_b32 exec_lo, exec_lo, s50
.LBB211_226:                            ;   in Loop: Header=BB211_13 Depth=1
	s_or_b32 exec_lo, exec_lo, s49
	global_load_ushort v2, v[71:72], off offset:772
	v_mov_b32_e32 v119, 0
	v_mov_b32_e32 v117, 0
	;; [unrolled: 1-line block ×4, first 2 shown]
	s_waitcnt vmcnt(0)
	v_and_b32_e32 v1, 0xffff, v2
	v_cmp_ne_u16_sdwa s2, v2, v52 src0_sel:BYTE_0 src1_sel:DWORD
	s_and_saveexec_b32 s49, s2
	s_cbranch_execz .LBB211_234
; %bb.227:                              ;   in Loop: Header=BB211_13 Depth=1
	v_bfrev_b32_e32 v117, 1
	v_mov_b32_e32 v118, 0
	v_cmp_ne_u16_sdwa s2, v1, v34 src0_sel:BYTE_0 src1_sel:DWORD
	s_and_saveexec_b32 s50, s2
	s_cbranch_execz .LBB211_233
; %bb.228:                              ;   in Loop: Header=BB211_13 Depth=1
	v_mov_b32_e32 v117, 0x7f800001
	v_and_b32_e32 v3, 0x7f, v1
	v_mov_b32_e32 v118, 0
	s_mov_b32 s51, exec_lo
	v_cmpx_ne_u32_e32 0x7f, v3
	s_cbranch_execz .LBB211_232
; %bb.229:                              ;   in Loop: Header=BB211_13 Depth=1
	v_and_b32_e32 v51, 7, v1
	v_lshrrev_b32_e32 v2, 3, v3
	s_mov_b32 s52, exec_lo
	v_cmpx_gt_u32_e32 8, v3
; %bb.230:                              ;   in Loop: Header=BB211_13 Depth=1
	v_ffbh_u32_e32 v2, v51
	v_min_u32_e32 v2, 32, v2
	v_subrev_nc_u32_e32 v3, 28, v2
	v_sub_nc_u32_e32 v2, 29, v2
	v_lshlrev_b64 v[3:4], v3, v[51:52]
	v_and_b32_e32 v51, 7, v3
; %bb.231:                              ;   in Loop: Header=BB211_13 Depth=1
	s_or_b32 exec_lo, exec_lo, s52
	v_lshlrev_b32_e32 v3, 24, v1
	v_lshlrev_b32_e32 v4, 20, v51
	v_lshl_add_u32 v2, v2, 23, 0x3c000000
	v_and_b32_e32 v3, 0x80000000, v3
	v_or3_b32 v51, v4, v3, v2
	v_mov_b32_e32 v118, v52
	v_mov_b32_e32 v117, v51
.LBB211_232:                            ;   in Loop: Header=BB211_13 Depth=1
	s_or_b32 exec_lo, exec_lo, s51
.LBB211_233:                            ;   in Loop: Header=BB211_13 Depth=1
	s_or_b32 exec_lo, exec_lo, s50
.LBB211_234:                            ;   in Loop: Header=BB211_13 Depth=1
	s_or_b32 exec_lo, exec_lo, s49
	v_cmp_ne_u16_sdwa s2, v1, v52 src0_sel:BYTE_1 src1_sel:DWORD
	s_and_saveexec_b32 s49, s2
	s_cbranch_execz .LBB211_242
; %bb.235:                              ;   in Loop: Header=BB211_13 Depth=1
	v_mov_b32_e32 v25, v52
	v_mov_b32_e32 v120, v26
	v_cmp_ne_u16_sdwa s2, v1, v34 src0_sel:BYTE_1 src1_sel:DWORD
	v_mov_b32_e32 v119, v25
	s_and_saveexec_b32 s50, s2
	s_cbranch_execz .LBB211_241
; %bb.236:                              ;   in Loop: Header=BB211_13 Depth=1
	v_mov_b32_e32 v2, 0xffff
	v_mov_b32_e32 v75, v52
	;; [unrolled: 1-line block ×3, first 2 shown]
	s_mov_b32 s51, exec_lo
	v_and_b32_sdwa v2, v2, v1 dst_sel:DWORD dst_unused:UNUSED_PAD src0_sel:DWORD src1_sel:BYTE_1
	v_mov_b32_e32 v119, v75
	v_and_b32_e32 v3, 0x7f, v2
	v_cmpx_ne_u32_e32 0x7f, v3
	s_cbranch_execz .LBB211_240
; %bb.237:                              ;   in Loop: Header=BB211_13 Depth=1
	v_and_b32_e32 v51, 7, v2
	v_lshrrev_b32_e32 v2, 3, v3
	s_mov_b32 s52, exec_lo
	v_cmpx_gt_u32_e32 8, v3
; %bb.238:                              ;   in Loop: Header=BB211_13 Depth=1
	v_ffbh_u32_e32 v2, v51
	v_min_u32_e32 v2, 32, v2
	v_subrev_nc_u32_e32 v3, 28, v2
	v_sub_nc_u32_e32 v2, 29, v2
	v_lshlrev_b64 v[3:4], v3, v[51:52]
	v_and_b32_e32 v51, 7, v3
; %bb.239:                              ;   in Loop: Header=BB211_13 Depth=1
	s_or_b32 exec_lo, exec_lo, s52
	v_lshlrev_b32_e32 v1, 16, v1
	v_lshlrev_b32_e32 v3, 20, v51
	v_lshl_add_u32 v2, v2, 23, 0x3c000000
	v_mov_b32_e32 v119, v52
	v_and_b32_e32 v1, 0x80000000, v1
	v_or3_b32 v120, v3, v1, v2
.LBB211_240:                            ;   in Loop: Header=BB211_13 Depth=1
	s_or_b32 exec_lo, exec_lo, s51
.LBB211_241:                            ;   in Loop: Header=BB211_13 Depth=1
	s_or_b32 exec_lo, exec_lo, s50
.LBB211_242:                            ;   in Loop: Header=BB211_13 Depth=1
	s_or_b32 exec_lo, exec_lo, s49
	global_load_ushort v2, v[71:72], off offset:776
	v_mov_b32_e32 v123, 0
	v_mov_b32_e32 v121, 0
	;; [unrolled: 1-line block ×4, first 2 shown]
	s_waitcnt vmcnt(0)
	v_and_b32_e32 v1, 0xffff, v2
	v_cmp_ne_u16_sdwa s2, v2, v52 src0_sel:BYTE_0 src1_sel:DWORD
	s_and_saveexec_b32 s49, s2
	s_cbranch_execz .LBB211_250
; %bb.243:                              ;   in Loop: Header=BB211_13 Depth=1
	v_bfrev_b32_e32 v121, 1
	v_mov_b32_e32 v122, 0
	v_cmp_ne_u16_sdwa s2, v1, v34 src0_sel:BYTE_0 src1_sel:DWORD
	s_and_saveexec_b32 s50, s2
	s_cbranch_execz .LBB211_249
; %bb.244:                              ;   in Loop: Header=BB211_13 Depth=1
	v_mov_b32_e32 v121, 0x7f800001
	v_and_b32_e32 v3, 0x7f, v1
	v_mov_b32_e32 v122, 0
	s_mov_b32 s51, exec_lo
	v_cmpx_ne_u32_e32 0x7f, v3
	s_cbranch_execz .LBB211_248
; %bb.245:                              ;   in Loop: Header=BB211_13 Depth=1
	v_and_b32_e32 v51, 7, v1
	v_lshrrev_b32_e32 v2, 3, v3
	s_mov_b32 s52, exec_lo
	v_cmpx_gt_u32_e32 8, v3
; %bb.246:                              ;   in Loop: Header=BB211_13 Depth=1
	v_ffbh_u32_e32 v2, v51
	v_min_u32_e32 v2, 32, v2
	v_subrev_nc_u32_e32 v3, 28, v2
	v_sub_nc_u32_e32 v2, 29, v2
	v_lshlrev_b64 v[3:4], v3, v[51:52]
	v_and_b32_e32 v51, 7, v3
; %bb.247:                              ;   in Loop: Header=BB211_13 Depth=1
	s_or_b32 exec_lo, exec_lo, s52
	v_lshlrev_b32_e32 v3, 24, v1
	v_lshlrev_b32_e32 v4, 20, v51
	v_lshl_add_u32 v2, v2, 23, 0x3c000000
	v_and_b32_e32 v3, 0x80000000, v3
	v_or3_b32 v51, v4, v3, v2
	v_mov_b32_e32 v122, v52
	v_mov_b32_e32 v121, v51
.LBB211_248:                            ;   in Loop: Header=BB211_13 Depth=1
	s_or_b32 exec_lo, exec_lo, s51
.LBB211_249:                            ;   in Loop: Header=BB211_13 Depth=1
	s_or_b32 exec_lo, exec_lo, s50
.LBB211_250:                            ;   in Loop: Header=BB211_13 Depth=1
	s_or_b32 exec_lo, exec_lo, s49
	v_cmp_ne_u16_sdwa s2, v1, v52 src0_sel:BYTE_1 src1_sel:DWORD
	s_and_saveexec_b32 s49, s2
	s_cbranch_execz .LBB211_258
; %bb.251:                              ;   in Loop: Header=BB211_13 Depth=1
	v_mov_b32_e32 v25, v52
	v_mov_b32_e32 v124, v26
	v_cmp_ne_u16_sdwa s2, v1, v34 src0_sel:BYTE_1 src1_sel:DWORD
	v_mov_b32_e32 v123, v25
	s_and_saveexec_b32 s50, s2
	s_cbranch_execz .LBB211_257
; %bb.252:                              ;   in Loop: Header=BB211_13 Depth=1
	v_mov_b32_e32 v2, 0xffff
	v_mov_b32_e32 v75, v52
	;; [unrolled: 1-line block ×3, first 2 shown]
	s_mov_b32 s51, exec_lo
	v_and_b32_sdwa v2, v2, v1 dst_sel:DWORD dst_unused:UNUSED_PAD src0_sel:DWORD src1_sel:BYTE_1
	v_mov_b32_e32 v123, v75
	v_and_b32_e32 v3, 0x7f, v2
	v_cmpx_ne_u32_e32 0x7f, v3
	s_cbranch_execz .LBB211_256
; %bb.253:                              ;   in Loop: Header=BB211_13 Depth=1
	v_and_b32_e32 v51, 7, v2
	v_lshrrev_b32_e32 v2, 3, v3
	s_mov_b32 s52, exec_lo
	v_cmpx_gt_u32_e32 8, v3
; %bb.254:                              ;   in Loop: Header=BB211_13 Depth=1
	v_ffbh_u32_e32 v2, v51
	v_min_u32_e32 v2, 32, v2
	v_subrev_nc_u32_e32 v3, 28, v2
	v_sub_nc_u32_e32 v2, 29, v2
	v_lshlrev_b64 v[3:4], v3, v[51:52]
	v_and_b32_e32 v51, 7, v3
; %bb.255:                              ;   in Loop: Header=BB211_13 Depth=1
	s_or_b32 exec_lo, exec_lo, s52
	v_lshlrev_b32_e32 v1, 16, v1
	v_lshlrev_b32_e32 v3, 20, v51
	v_lshl_add_u32 v2, v2, 23, 0x3c000000
	v_mov_b32_e32 v123, v52
	v_and_b32_e32 v1, 0x80000000, v1
	v_or3_b32 v124, v3, v1, v2
.LBB211_256:                            ;   in Loop: Header=BB211_13 Depth=1
	s_or_b32 exec_lo, exec_lo, s51
.LBB211_257:                            ;   in Loop: Header=BB211_13 Depth=1
	s_or_b32 exec_lo, exec_lo, s50
.LBB211_258:                            ;   in Loop: Header=BB211_13 Depth=1
	s_or_b32 exec_lo, exec_lo, s49
	global_load_ushort v2, v[71:72], off offset:780
	v_mov_b32_e32 v59, 0
	v_mov_b32_e32 v125, 0
	;; [unrolled: 1-line block ×4, first 2 shown]
	s_waitcnt vmcnt(0)
	v_and_b32_e32 v1, 0xffff, v2
	v_cmp_ne_u16_sdwa s2, v2, v52 src0_sel:BYTE_0 src1_sel:DWORD
	s_and_saveexec_b32 s49, s2
	s_cbranch_execz .LBB211_266
; %bb.259:                              ;   in Loop: Header=BB211_13 Depth=1
	v_bfrev_b32_e32 v125, 1
	v_mov_b32_e32 v126, 0
	v_cmp_ne_u16_sdwa s2, v1, v34 src0_sel:BYTE_0 src1_sel:DWORD
	s_and_saveexec_b32 s50, s2
	s_cbranch_execz .LBB211_265
; %bb.260:                              ;   in Loop: Header=BB211_13 Depth=1
	v_mov_b32_e32 v125, 0x7f800001
	v_and_b32_e32 v3, 0x7f, v1
	v_mov_b32_e32 v126, 0
	s_mov_b32 s51, exec_lo
	v_cmpx_ne_u32_e32 0x7f, v3
	s_cbranch_execz .LBB211_264
; %bb.261:                              ;   in Loop: Header=BB211_13 Depth=1
	v_and_b32_e32 v51, 7, v1
	v_lshrrev_b32_e32 v2, 3, v3
	s_mov_b32 s52, exec_lo
	v_cmpx_gt_u32_e32 8, v3
; %bb.262:                              ;   in Loop: Header=BB211_13 Depth=1
	v_ffbh_u32_e32 v2, v51
	v_min_u32_e32 v2, 32, v2
	v_subrev_nc_u32_e32 v3, 28, v2
	v_sub_nc_u32_e32 v2, 29, v2
	v_lshlrev_b64 v[3:4], v3, v[51:52]
	v_and_b32_e32 v51, 7, v3
; %bb.263:                              ;   in Loop: Header=BB211_13 Depth=1
	s_or_b32 exec_lo, exec_lo, s52
	v_lshlrev_b32_e32 v3, 24, v1
	v_lshlrev_b32_e32 v4, 20, v51
	v_lshl_add_u32 v2, v2, 23, 0x3c000000
	v_and_b32_e32 v3, 0x80000000, v3
	v_or3_b32 v51, v4, v3, v2
	v_mov_b32_e32 v126, v52
	v_mov_b32_e32 v125, v51
.LBB211_264:                            ;   in Loop: Header=BB211_13 Depth=1
	s_or_b32 exec_lo, exec_lo, s51
.LBB211_265:                            ;   in Loop: Header=BB211_13 Depth=1
	s_or_b32 exec_lo, exec_lo, s50
.LBB211_266:                            ;   in Loop: Header=BB211_13 Depth=1
	s_or_b32 exec_lo, exec_lo, s49
	v_cmp_ne_u16_sdwa s2, v1, v52 src0_sel:BYTE_1 src1_sel:DWORD
	s_and_saveexec_b32 s49, s2
	s_cbranch_execz .LBB211_274
; %bb.267:                              ;   in Loop: Header=BB211_13 Depth=1
	v_mov_b32_e32 v25, v52
	v_mov_b32_e32 v60, v26
	v_cmp_ne_u16_sdwa s2, v1, v34 src0_sel:BYTE_1 src1_sel:DWORD
	v_mov_b32_e32 v59, v25
	s_and_saveexec_b32 s50, s2
	s_cbranch_execz .LBB211_273
; %bb.268:                              ;   in Loop: Header=BB211_13 Depth=1
	v_mov_b32_e32 v2, 0xffff
	v_mov_b32_e32 v75, v52
	s_mov_b32 s51, exec_lo
	v_and_b32_sdwa v2, v2, v1 dst_sel:DWORD dst_unused:UNUSED_PAD src0_sel:DWORD src1_sel:BYTE_1
	v_mov_b32_e32 v59, v75
	v_mov_b32_e32 v60, v76
	v_and_b32_e32 v3, 0x7f, v2
	v_cmpx_ne_u32_e32 0x7f, v3
	s_cbranch_execz .LBB211_272
; %bb.269:                              ;   in Loop: Header=BB211_13 Depth=1
	v_and_b32_e32 v51, 7, v2
	v_lshrrev_b32_e32 v2, 3, v3
	s_mov_b32 s52, exec_lo
	v_cmpx_gt_u32_e32 8, v3
; %bb.270:                              ;   in Loop: Header=BB211_13 Depth=1
	v_ffbh_u32_e32 v2, v51
	v_min_u32_e32 v2, 32, v2
	v_subrev_nc_u32_e32 v3, 28, v2
	v_sub_nc_u32_e32 v2, 29, v2
	v_lshlrev_b64 v[3:4], v3, v[51:52]
	v_and_b32_e32 v51, 7, v3
; %bb.271:                              ;   in Loop: Header=BB211_13 Depth=1
	s_or_b32 exec_lo, exec_lo, s52
	v_lshlrev_b32_e32 v1, 16, v1
	v_lshlrev_b32_e32 v3, 20, v51
	v_lshl_add_u32 v2, v2, 23, 0x3c000000
	v_mov_b32_e32 v59, v52
	v_and_b32_e32 v1, 0x80000000, v1
	v_or3_b32 v60, v3, v1, v2
.LBB211_272:                            ;   in Loop: Header=BB211_13 Depth=1
	s_or_b32 exec_lo, exec_lo, s51
.LBB211_273:                            ;   in Loop: Header=BB211_13 Depth=1
	s_or_b32 exec_lo, exec_lo, s50
.LBB211_274:                            ;   in Loop: Header=BB211_13 Depth=1
	s_or_b32 exec_lo, exec_lo, s49
	global_load_ushort v2, v[71:72], off offset:1024
	v_mov_b32_e32 v63, 0
	v_mov_b32_e32 v61, 0
	;; [unrolled: 1-line block ×4, first 2 shown]
	s_waitcnt vmcnt(0)
	v_and_b32_e32 v1, 0xffff, v2
	v_cmp_ne_u16_sdwa s2, v2, v52 src0_sel:BYTE_0 src1_sel:DWORD
	s_and_saveexec_b32 s49, s2
	s_cbranch_execz .LBB211_282
; %bb.275:                              ;   in Loop: Header=BB211_13 Depth=1
	v_bfrev_b32_e32 v61, 1
	v_mov_b32_e32 v62, 0
	v_cmp_ne_u16_sdwa s2, v1, v34 src0_sel:BYTE_0 src1_sel:DWORD
	s_and_saveexec_b32 s50, s2
	s_cbranch_execz .LBB211_281
; %bb.276:                              ;   in Loop: Header=BB211_13 Depth=1
	v_mov_b32_e32 v61, 0x7f800001
	v_and_b32_e32 v3, 0x7f, v1
	v_mov_b32_e32 v62, 0
	s_mov_b32 s51, exec_lo
	v_cmpx_ne_u32_e32 0x7f, v3
	s_cbranch_execz .LBB211_280
; %bb.277:                              ;   in Loop: Header=BB211_13 Depth=1
	v_and_b32_e32 v51, 7, v1
	v_lshrrev_b32_e32 v2, 3, v3
	s_mov_b32 s52, exec_lo
	v_cmpx_gt_u32_e32 8, v3
; %bb.278:                              ;   in Loop: Header=BB211_13 Depth=1
	v_ffbh_u32_e32 v2, v51
	v_min_u32_e32 v2, 32, v2
	v_subrev_nc_u32_e32 v3, 28, v2
	v_sub_nc_u32_e32 v2, 29, v2
	v_lshlrev_b64 v[3:4], v3, v[51:52]
	v_and_b32_e32 v51, 7, v3
; %bb.279:                              ;   in Loop: Header=BB211_13 Depth=1
	s_or_b32 exec_lo, exec_lo, s52
	v_lshlrev_b32_e32 v3, 24, v1
	v_lshlrev_b32_e32 v4, 20, v51
	v_lshl_add_u32 v2, v2, 23, 0x3c000000
	v_and_b32_e32 v3, 0x80000000, v3
	v_or3_b32 v51, v4, v3, v2
	v_mov_b32_e32 v62, v52
	v_mov_b32_e32 v61, v51
.LBB211_280:                            ;   in Loop: Header=BB211_13 Depth=1
	s_or_b32 exec_lo, exec_lo, s51
.LBB211_281:                            ;   in Loop: Header=BB211_13 Depth=1
	s_or_b32 exec_lo, exec_lo, s50
.LBB211_282:                            ;   in Loop: Header=BB211_13 Depth=1
	s_or_b32 exec_lo, exec_lo, s49
	v_cmp_ne_u16_sdwa s2, v1, v52 src0_sel:BYTE_1 src1_sel:DWORD
	s_and_saveexec_b32 s49, s2
	s_cbranch_execz .LBB211_290
; %bb.283:                              ;   in Loop: Header=BB211_13 Depth=1
	v_mov_b32_e32 v25, v52
	v_mov_b32_e32 v64, v26
	v_cmp_ne_u16_sdwa s2, v1, v34 src0_sel:BYTE_1 src1_sel:DWORD
	v_mov_b32_e32 v63, v25
	s_and_saveexec_b32 s50, s2
	s_cbranch_execz .LBB211_289
; %bb.284:                              ;   in Loop: Header=BB211_13 Depth=1
	v_mov_b32_e32 v2, 0xffff
	v_mov_b32_e32 v75, v52
	s_mov_b32 s51, exec_lo
	v_and_b32_sdwa v2, v2, v1 dst_sel:DWORD dst_unused:UNUSED_PAD src0_sel:DWORD src1_sel:BYTE_1
	v_mov_b32_e32 v63, v75
	v_mov_b32_e32 v64, v76
	v_and_b32_e32 v3, 0x7f, v2
	v_cmpx_ne_u32_e32 0x7f, v3
	s_cbranch_execz .LBB211_288
; %bb.285:                              ;   in Loop: Header=BB211_13 Depth=1
	v_and_b32_e32 v51, 7, v2
	v_lshrrev_b32_e32 v2, 3, v3
	s_mov_b32 s52, exec_lo
	v_cmpx_gt_u32_e32 8, v3
; %bb.286:                              ;   in Loop: Header=BB211_13 Depth=1
	v_ffbh_u32_e32 v2, v51
	v_min_u32_e32 v2, 32, v2
	v_subrev_nc_u32_e32 v3, 28, v2
	v_sub_nc_u32_e32 v2, 29, v2
	v_lshlrev_b64 v[3:4], v3, v[51:52]
	v_and_b32_e32 v51, 7, v3
; %bb.287:                              ;   in Loop: Header=BB211_13 Depth=1
	s_or_b32 exec_lo, exec_lo, s52
	v_lshlrev_b32_e32 v1, 16, v1
	v_lshlrev_b32_e32 v3, 20, v51
	v_lshl_add_u32 v2, v2, 23, 0x3c000000
	v_mov_b32_e32 v63, v52
	v_and_b32_e32 v1, 0x80000000, v1
	v_or3_b32 v64, v3, v1, v2
.LBB211_288:                            ;   in Loop: Header=BB211_13 Depth=1
	s_or_b32 exec_lo, exec_lo, s51
.LBB211_289:                            ;   in Loop: Header=BB211_13 Depth=1
	s_or_b32 exec_lo, exec_lo, s50
.LBB211_290:                            ;   in Loop: Header=BB211_13 Depth=1
	s_or_b32 exec_lo, exec_lo, s49
	global_load_ushort v2, v[71:72], off offset:1028
	v_mov_b32_e32 v65, 0
	v_mov_b32_e32 v67, 0
	;; [unrolled: 1-line block ×4, first 2 shown]
	s_waitcnt vmcnt(0)
	v_and_b32_e32 v1, 0xffff, v2
	v_cmp_ne_u16_sdwa s2, v2, v52 src0_sel:BYTE_0 src1_sel:DWORD
	s_and_saveexec_b32 s49, s2
	s_cbranch_execz .LBB211_298
; %bb.291:                              ;   in Loop: Header=BB211_13 Depth=1
	v_bfrev_b32_e32 v67, 1
	v_mov_b32_e32 v68, 0
	v_cmp_ne_u16_sdwa s2, v1, v34 src0_sel:BYTE_0 src1_sel:DWORD
	s_and_saveexec_b32 s50, s2
	s_cbranch_execz .LBB211_297
; %bb.292:                              ;   in Loop: Header=BB211_13 Depth=1
	v_mov_b32_e32 v67, 0x7f800001
	v_and_b32_e32 v3, 0x7f, v1
	v_mov_b32_e32 v68, 0
	s_mov_b32 s51, exec_lo
	v_cmpx_ne_u32_e32 0x7f, v3
	s_cbranch_execz .LBB211_296
; %bb.293:                              ;   in Loop: Header=BB211_13 Depth=1
	v_and_b32_e32 v51, 7, v1
	v_lshrrev_b32_e32 v2, 3, v3
	s_mov_b32 s52, exec_lo
	v_cmpx_gt_u32_e32 8, v3
; %bb.294:                              ;   in Loop: Header=BB211_13 Depth=1
	v_ffbh_u32_e32 v2, v51
	v_min_u32_e32 v2, 32, v2
	v_subrev_nc_u32_e32 v3, 28, v2
	v_sub_nc_u32_e32 v2, 29, v2
	v_lshlrev_b64 v[3:4], v3, v[51:52]
	v_and_b32_e32 v51, 7, v3
; %bb.295:                              ;   in Loop: Header=BB211_13 Depth=1
	s_or_b32 exec_lo, exec_lo, s52
	v_lshlrev_b32_e32 v3, 24, v1
	v_lshlrev_b32_e32 v4, 20, v51
	v_lshl_add_u32 v2, v2, 23, 0x3c000000
	v_and_b32_e32 v3, 0x80000000, v3
	v_or3_b32 v51, v4, v3, v2
	v_mov_b32_e32 v68, v52
	v_mov_b32_e32 v67, v51
.LBB211_296:                            ;   in Loop: Header=BB211_13 Depth=1
	s_or_b32 exec_lo, exec_lo, s51
.LBB211_297:                            ;   in Loop: Header=BB211_13 Depth=1
	s_or_b32 exec_lo, exec_lo, s50
.LBB211_298:                            ;   in Loop: Header=BB211_13 Depth=1
	s_or_b32 exec_lo, exec_lo, s49
	v_cmp_ne_u16_sdwa s2, v1, v52 src0_sel:BYTE_1 src1_sel:DWORD
	s_and_saveexec_b32 s49, s2
	s_cbranch_execz .LBB211_306
; %bb.299:                              ;   in Loop: Header=BB211_13 Depth=1
	v_mov_b32_e32 v25, v52
	v_mov_b32_e32 v66, v26
	v_cmp_ne_u16_sdwa s2, v1, v34 src0_sel:BYTE_1 src1_sel:DWORD
	v_mov_b32_e32 v65, v25
	s_and_saveexec_b32 s50, s2
	s_cbranch_execz .LBB211_305
; %bb.300:                              ;   in Loop: Header=BB211_13 Depth=1
	v_mov_b32_e32 v2, 0xffff
	v_mov_b32_e32 v75, v52
	s_mov_b32 s51, exec_lo
	v_and_b32_sdwa v2, v2, v1 dst_sel:DWORD dst_unused:UNUSED_PAD src0_sel:DWORD src1_sel:BYTE_1
	v_mov_b32_e32 v65, v75
	v_mov_b32_e32 v66, v76
	v_and_b32_e32 v3, 0x7f, v2
	v_cmpx_ne_u32_e32 0x7f, v3
	s_cbranch_execz .LBB211_304
; %bb.301:                              ;   in Loop: Header=BB211_13 Depth=1
	v_and_b32_e32 v51, 7, v2
	v_lshrrev_b32_e32 v2, 3, v3
	s_mov_b32 s52, exec_lo
	v_cmpx_gt_u32_e32 8, v3
; %bb.302:                              ;   in Loop: Header=BB211_13 Depth=1
	v_ffbh_u32_e32 v2, v51
	v_min_u32_e32 v2, 32, v2
	v_subrev_nc_u32_e32 v3, 28, v2
	v_sub_nc_u32_e32 v2, 29, v2
	v_lshlrev_b64 v[3:4], v3, v[51:52]
	v_and_b32_e32 v51, 7, v3
; %bb.303:                              ;   in Loop: Header=BB211_13 Depth=1
	s_or_b32 exec_lo, exec_lo, s52
	v_lshlrev_b32_e32 v1, 16, v1
	v_lshlrev_b32_e32 v3, 20, v51
	v_lshl_add_u32 v2, v2, 23, 0x3c000000
	v_mov_b32_e32 v65, v52
	v_and_b32_e32 v1, 0x80000000, v1
	v_or3_b32 v66, v3, v1, v2
.LBB211_304:                            ;   in Loop: Header=BB211_13 Depth=1
	s_or_b32 exec_lo, exec_lo, s51
.LBB211_305:                            ;   in Loop: Header=BB211_13 Depth=1
	s_or_b32 exec_lo, exec_lo, s50
.LBB211_306:                            ;   in Loop: Header=BB211_13 Depth=1
	s_or_b32 exec_lo, exec_lo, s49
	global_load_ushort v1, v[71:72], off offset:1032
	v_mov_b32_e32 v69, 0
	v_mov_b32_e32 v70, 0
	s_waitcnt vmcnt(0)
	v_and_b32_e32 v3, 0xffff, v1
	v_cmp_ne_u16_sdwa s2, v1, v52 src0_sel:BYTE_0 src1_sel:DWORD
	v_mov_b32_e32 v1, 0
	v_mov_b32_e32 v2, 0
	s_and_saveexec_b32 s49, s2
	s_cbranch_execz .LBB211_314
; %bb.307:                              ;   in Loop: Header=BB211_13 Depth=1
	v_bfrev_b32_e32 v69, 1
	v_mov_b32_e32 v70, 0
	v_cmp_ne_u16_sdwa s2, v3, v34 src0_sel:BYTE_0 src1_sel:DWORD
	s_and_saveexec_b32 s50, s2
	s_cbranch_execz .LBB211_313
; %bb.308:                              ;   in Loop: Header=BB211_13 Depth=1
	v_mov_b32_e32 v69, 0x7f800001
	v_and_b32_e32 v5, 0x7f, v3
	v_mov_b32_e32 v70, 0
	s_mov_b32 s51, exec_lo
	v_cmpx_ne_u32_e32 0x7f, v5
	s_cbranch_execz .LBB211_312
; %bb.309:                              ;   in Loop: Header=BB211_13 Depth=1
	v_and_b32_e32 v51, 7, v3
	v_lshrrev_b32_e32 v4, 3, v5
	s_mov_b32 s52, exec_lo
	v_cmpx_gt_u32_e32 8, v5
; %bb.310:                              ;   in Loop: Header=BB211_13 Depth=1
	v_ffbh_u32_e32 v4, v51
	v_min_u32_e32 v4, 32, v4
	v_subrev_nc_u32_e32 v5, 28, v4
	v_sub_nc_u32_e32 v4, 29, v4
	v_lshlrev_b64 v[5:6], v5, v[51:52]
	v_and_b32_e32 v51, 7, v5
; %bb.311:                              ;   in Loop: Header=BB211_13 Depth=1
	s_or_b32 exec_lo, exec_lo, s52
	v_lshlrev_b32_e32 v5, 24, v3
	v_lshlrev_b32_e32 v6, 20, v51
	v_lshl_add_u32 v4, v4, 23, 0x3c000000
	v_and_b32_e32 v5, 0x80000000, v5
	v_or3_b32 v51, v6, v5, v4
	v_mov_b32_e32 v70, v52
	v_mov_b32_e32 v69, v51
.LBB211_312:                            ;   in Loop: Header=BB211_13 Depth=1
	s_or_b32 exec_lo, exec_lo, s51
.LBB211_313:                            ;   in Loop: Header=BB211_13 Depth=1
	s_or_b32 exec_lo, exec_lo, s50
.LBB211_314:                            ;   in Loop: Header=BB211_13 Depth=1
	s_or_b32 exec_lo, exec_lo, s49
	v_cmp_ne_u16_sdwa s2, v3, v52 src0_sel:BYTE_1 src1_sel:DWORD
	s_and_saveexec_b32 s49, s2
	s_cbranch_execz .LBB211_322
; %bb.315:                              ;   in Loop: Header=BB211_13 Depth=1
	v_mov_b32_e32 v25, v52
	v_cmp_ne_u16_sdwa s2, v3, v34 src0_sel:BYTE_1 src1_sel:DWORD
	v_mov_b32_e32 v1, v25
	v_mov_b32_e32 v2, v26
	s_and_saveexec_b32 s50, s2
	s_cbranch_execz .LBB211_321
; %bb.316:                              ;   in Loop: Header=BB211_13 Depth=1
	v_mov_b32_e32 v1, 0xffff
	v_mov_b32_e32 v75, v52
	s_mov_b32 s51, exec_lo
	v_and_b32_sdwa v5, v1, v3 dst_sel:DWORD dst_unused:UNUSED_PAD src0_sel:DWORD src1_sel:BYTE_1
	v_mov_b32_e32 v1, v75
	v_mov_b32_e32 v2, v76
	v_and_b32_e32 v4, 0x7f, v5
	v_cmpx_ne_u32_e32 0x7f, v4
	s_cbranch_execz .LBB211_320
; %bb.317:                              ;   in Loop: Header=BB211_13 Depth=1
	v_and_b32_e32 v51, 7, v5
	v_lshrrev_b32_e32 v1, 3, v4
	s_mov_b32 s52, exec_lo
	v_cmpx_gt_u32_e32 8, v4
; %bb.318:                              ;   in Loop: Header=BB211_13 Depth=1
	v_ffbh_u32_e32 v1, v51
	v_min_u32_e32 v1, 32, v1
	v_subrev_nc_u32_e32 v2, 28, v1
	v_sub_nc_u32_e32 v1, 29, v1
	v_lshlrev_b64 v[4:5], v2, v[51:52]
	v_and_b32_e32 v51, 7, v4
; %bb.319:                              ;   in Loop: Header=BB211_13 Depth=1
	s_or_b32 exec_lo, exec_lo, s52
	v_lshlrev_b32_e32 v2, 16, v3
	v_lshlrev_b32_e32 v3, 20, v51
	v_lshl_add_u32 v1, v1, 23, 0x3c000000
	v_and_b32_e32 v2, 0x80000000, v2
	v_or3_b32 v2, v3, v2, v1
	v_mov_b32_e32 v1, v52
.LBB211_320:                            ;   in Loop: Header=BB211_13 Depth=1
	s_or_b32 exec_lo, exec_lo, s51
.LBB211_321:                            ;   in Loop: Header=BB211_13 Depth=1
	s_or_b32 exec_lo, exec_lo, s50
.LBB211_322:                            ;   in Loop: Header=BB211_13 Depth=1
	s_or_b32 exec_lo, exec_lo, s49
	global_load_ushort v3, v[71:72], off offset:1036
	v_mov_b32_e32 v5, 0
	v_mov_b32_e32 v6, 0
	s_waitcnt vmcnt(0)
	v_and_b32_e32 v7, 0xffff, v3
	v_cmp_ne_u16_sdwa s2, v3, v52 src0_sel:BYTE_0 src1_sel:DWORD
	v_mov_b32_e32 v3, 0
	v_mov_b32_e32 v4, 0
	s_and_saveexec_b32 s49, s2
	s_cbranch_execz .LBB211_330
; %bb.323:                              ;   in Loop: Header=BB211_13 Depth=1
	v_bfrev_b32_e32 v3, 1
	v_mov_b32_e32 v4, 0
	v_cmp_ne_u16_sdwa s2, v7, v34 src0_sel:BYTE_0 src1_sel:DWORD
	s_and_saveexec_b32 s50, s2
	s_cbranch_execz .LBB211_329
; %bb.324:                              ;   in Loop: Header=BB211_13 Depth=1
	v_mov_b32_e32 v3, 0x7f800001
	v_and_b32_e32 v8, 0x7f, v7
	v_mov_b32_e32 v4, 0
	s_mov_b32 s51, exec_lo
	v_cmpx_ne_u32_e32 0x7f, v8
	s_cbranch_execz .LBB211_328
; %bb.325:                              ;   in Loop: Header=BB211_13 Depth=1
	v_and_b32_e32 v51, 7, v7
	v_lshrrev_b32_e32 v3, 3, v8
	s_mov_b32 s52, exec_lo
	v_cmpx_gt_u32_e32 8, v8
; %bb.326:                              ;   in Loop: Header=BB211_13 Depth=1
	v_ffbh_u32_e32 v3, v51
	v_min_u32_e32 v3, 32, v3
	v_subrev_nc_u32_e32 v4, 28, v3
	v_sub_nc_u32_e32 v3, 29, v3
	v_lshlrev_b64 v[8:9], v4, v[51:52]
	v_and_b32_e32 v51, 7, v8
; %bb.327:                              ;   in Loop: Header=BB211_13 Depth=1
	s_or_b32 exec_lo, exec_lo, s52
	v_lshlrev_b32_e32 v4, 24, v7
	v_lshlrev_b32_e32 v8, 20, v51
	v_lshl_add_u32 v3, v3, 23, 0x3c000000
	v_and_b32_e32 v4, 0x80000000, v4
	v_or3_b32 v51, v8, v4, v3
	v_mov_b32_e32 v3, v51
	v_mov_b32_e32 v4, v52
.LBB211_328:                            ;   in Loop: Header=BB211_13 Depth=1
	s_or_b32 exec_lo, exec_lo, s51
.LBB211_329:                            ;   in Loop: Header=BB211_13 Depth=1
	s_or_b32 exec_lo, exec_lo, s50
.LBB211_330:                            ;   in Loop: Header=BB211_13 Depth=1
	s_or_b32 exec_lo, exec_lo, s49
	v_cmp_ne_u16_sdwa s2, v7, v52 src0_sel:BYTE_1 src1_sel:DWORD
	s_and_saveexec_b32 s49, s2
	s_cbranch_execz .LBB211_338
; %bb.331:                              ;   in Loop: Header=BB211_13 Depth=1
	v_mov_b32_e32 v25, v52
	v_cmp_ne_u16_sdwa s2, v7, v34 src0_sel:BYTE_1 src1_sel:DWORD
	v_mov_b32_e32 v5, v25
	v_mov_b32_e32 v6, v26
	s_and_saveexec_b32 s50, s2
	s_cbranch_execz .LBB211_337
; %bb.332:                              ;   in Loop: Header=BB211_13 Depth=1
	v_mov_b32_e32 v5, 0xffff
	v_mov_b32_e32 v75, v52
	s_mov_b32 s51, exec_lo
	v_and_b32_sdwa v9, v5, v7 dst_sel:DWORD dst_unused:UNUSED_PAD src0_sel:DWORD src1_sel:BYTE_1
	v_mov_b32_e32 v5, v75
	v_mov_b32_e32 v6, v76
	v_and_b32_e32 v8, 0x7f, v9
	v_cmpx_ne_u32_e32 0x7f, v8
	s_cbranch_execz .LBB211_336
; %bb.333:                              ;   in Loop: Header=BB211_13 Depth=1
	v_and_b32_e32 v51, 7, v9
	v_lshrrev_b32_e32 v5, 3, v8
	s_mov_b32 s52, exec_lo
	v_cmpx_gt_u32_e32 8, v8
; %bb.334:                              ;   in Loop: Header=BB211_13 Depth=1
	v_ffbh_u32_e32 v5, v51
	v_min_u32_e32 v5, 32, v5
	v_subrev_nc_u32_e32 v6, 28, v5
	v_sub_nc_u32_e32 v5, 29, v5
	v_lshlrev_b64 v[8:9], v6, v[51:52]
	v_and_b32_e32 v51, 7, v8
; %bb.335:                              ;   in Loop: Header=BB211_13 Depth=1
	s_or_b32 exec_lo, exec_lo, s52
	v_lshlrev_b32_e32 v6, 16, v7
	v_lshlrev_b32_e32 v7, 20, v51
	v_lshl_add_u32 v5, v5, 23, 0x3c000000
	v_and_b32_e32 v6, 0x80000000, v6
	v_or3_b32 v6, v7, v6, v5
	v_mov_b32_e32 v5, v52
.LBB211_336:                            ;   in Loop: Header=BB211_13 Depth=1
	s_or_b32 exec_lo, exec_lo, s51
.LBB211_337:                            ;   in Loop: Header=BB211_13 Depth=1
	s_or_b32 exec_lo, exec_lo, s50
.LBB211_338:                            ;   in Loop: Header=BB211_13 Depth=1
	s_or_b32 exec_lo, exec_lo, s49
	global_load_ushort v7, v[71:72], off offset:1280
	v_mov_b32_e32 v73, 0
	v_mov_b32_e32 v74, 0
	s_waitcnt vmcnt(0)
	v_and_b32_e32 v9, 0xffff, v7
	v_cmp_ne_u16_sdwa s2, v7, v52 src0_sel:BYTE_0 src1_sel:DWORD
	v_mov_b32_e32 v7, 0
	v_mov_b32_e32 v8, 0
	s_and_saveexec_b32 s49, s2
	s_cbranch_execz .LBB211_346
; %bb.339:                              ;   in Loop: Header=BB211_13 Depth=1
	v_bfrev_b32_e32 v7, 1
	v_mov_b32_e32 v8, 0
	v_cmp_ne_u16_sdwa s2, v9, v34 src0_sel:BYTE_0 src1_sel:DWORD
	s_and_saveexec_b32 s50, s2
	s_cbranch_execz .LBB211_345
; %bb.340:                              ;   in Loop: Header=BB211_13 Depth=1
	v_mov_b32_e32 v7, 0x7f800001
	v_and_b32_e32 v10, 0x7f, v9
	v_mov_b32_e32 v8, 0
	s_mov_b32 s51, exec_lo
	v_cmpx_ne_u32_e32 0x7f, v10
	s_cbranch_execz .LBB211_344
; %bb.341:                              ;   in Loop: Header=BB211_13 Depth=1
	v_and_b32_e32 v51, 7, v9
	v_lshrrev_b32_e32 v7, 3, v10
	s_mov_b32 s52, exec_lo
	v_cmpx_gt_u32_e32 8, v10
; %bb.342:                              ;   in Loop: Header=BB211_13 Depth=1
	v_ffbh_u32_e32 v7, v51
	v_min_u32_e32 v7, 32, v7
	v_subrev_nc_u32_e32 v8, 28, v7
	v_sub_nc_u32_e32 v7, 29, v7
	v_lshlrev_b64 v[10:11], v8, v[51:52]
	v_and_b32_e32 v51, 7, v10
; %bb.343:                              ;   in Loop: Header=BB211_13 Depth=1
	s_or_b32 exec_lo, exec_lo, s52
	v_lshlrev_b32_e32 v8, 24, v9
	v_lshlrev_b32_e32 v10, 20, v51
	v_lshl_add_u32 v7, v7, 23, 0x3c000000
	v_and_b32_e32 v8, 0x80000000, v8
	v_or3_b32 v51, v10, v8, v7
	v_mov_b32_e32 v7, v51
	v_mov_b32_e32 v8, v52
.LBB211_344:                            ;   in Loop: Header=BB211_13 Depth=1
	s_or_b32 exec_lo, exec_lo, s51
.LBB211_345:                            ;   in Loop: Header=BB211_13 Depth=1
	s_or_b32 exec_lo, exec_lo, s50
.LBB211_346:                            ;   in Loop: Header=BB211_13 Depth=1
	s_or_b32 exec_lo, exec_lo, s49
	v_cmp_ne_u16_sdwa s2, v9, v52 src0_sel:BYTE_1 src1_sel:DWORD
	s_and_saveexec_b32 s49, s2
	s_cbranch_execz .LBB211_354
; %bb.347:                              ;   in Loop: Header=BB211_13 Depth=1
	v_mov_b32_e32 v25, v52
	v_mov_b32_e32 v74, v26
	v_cmp_ne_u16_sdwa s2, v9, v34 src0_sel:BYTE_1 src1_sel:DWORD
	v_mov_b32_e32 v73, v25
	s_and_saveexec_b32 s50, s2
	s_cbranch_execz .LBB211_353
; %bb.348:                              ;   in Loop: Header=BB211_13 Depth=1
	v_mov_b32_e32 v10, 0xffff
	v_mov_b32_e32 v75, v52
	s_mov_b32 s51, exec_lo
	v_and_b32_sdwa v10, v10, v9 dst_sel:DWORD dst_unused:UNUSED_PAD src0_sel:DWORD src1_sel:BYTE_1
	v_mov_b32_e32 v73, v75
	v_mov_b32_e32 v74, v76
	v_and_b32_e32 v11, 0x7f, v10
	v_cmpx_ne_u32_e32 0x7f, v11
	s_cbranch_execz .LBB211_352
; %bb.349:                              ;   in Loop: Header=BB211_13 Depth=1
	v_and_b32_e32 v51, 7, v10
	v_lshrrev_b32_e32 v10, 3, v11
	s_mov_b32 s52, exec_lo
	v_cmpx_gt_u32_e32 8, v11
; %bb.350:                              ;   in Loop: Header=BB211_13 Depth=1
	v_ffbh_u32_e32 v10, v51
	v_min_u32_e32 v10, 32, v10
	v_subrev_nc_u32_e32 v11, 28, v10
	v_sub_nc_u32_e32 v10, 29, v10
	v_lshlrev_b64 v[11:12], v11, v[51:52]
	v_and_b32_e32 v51, 7, v11
; %bb.351:                              ;   in Loop: Header=BB211_13 Depth=1
	s_or_b32 exec_lo, exec_lo, s52
	v_lshlrev_b32_e32 v9, 16, v9
	v_lshlrev_b32_e32 v11, 20, v51
	v_lshl_add_u32 v10, v10, 23, 0x3c000000
	v_mov_b32_e32 v73, v52
	v_and_b32_e32 v9, 0x80000000, v9
	v_or3_b32 v74, v11, v9, v10
.LBB211_352:                            ;   in Loop: Header=BB211_13 Depth=1
	s_or_b32 exec_lo, exec_lo, s51
.LBB211_353:                            ;   in Loop: Header=BB211_13 Depth=1
	s_or_b32 exec_lo, exec_lo, s50
.LBB211_354:                            ;   in Loop: Header=BB211_13 Depth=1
	s_or_b32 exec_lo, exec_lo, s49
	global_load_ushort v9, v[71:72], off offset:1284
	v_mov_b32_e32 v11, 0
	v_mov_b32_e32 v12, 0
	s_waitcnt vmcnt(0)
	v_and_b32_e32 v13, 0xffff, v9
	v_cmp_ne_u16_sdwa s2, v9, v52 src0_sel:BYTE_0 src1_sel:DWORD
	v_mov_b32_e32 v9, 0
	v_mov_b32_e32 v10, 0
	s_and_saveexec_b32 s49, s2
	s_cbranch_execz .LBB211_362
; %bb.355:                              ;   in Loop: Header=BB211_13 Depth=1
	v_bfrev_b32_e32 v9, 1
	v_mov_b32_e32 v10, 0
	v_cmp_ne_u16_sdwa s2, v13, v34 src0_sel:BYTE_0 src1_sel:DWORD
	s_and_saveexec_b32 s50, s2
	s_cbranch_execz .LBB211_361
; %bb.356:                              ;   in Loop: Header=BB211_13 Depth=1
	v_mov_b32_e32 v9, 0x7f800001
	v_and_b32_e32 v14, 0x7f, v13
	v_mov_b32_e32 v10, 0
	s_mov_b32 s51, exec_lo
	v_cmpx_ne_u32_e32 0x7f, v14
	s_cbranch_execz .LBB211_360
; %bb.357:                              ;   in Loop: Header=BB211_13 Depth=1
	v_and_b32_e32 v51, 7, v13
	v_lshrrev_b32_e32 v9, 3, v14
	s_mov_b32 s52, exec_lo
	v_cmpx_gt_u32_e32 8, v14
; %bb.358:                              ;   in Loop: Header=BB211_13 Depth=1
	v_ffbh_u32_e32 v9, v51
	v_min_u32_e32 v9, 32, v9
	v_subrev_nc_u32_e32 v10, 28, v9
	v_sub_nc_u32_e32 v9, 29, v9
	v_lshlrev_b64 v[14:15], v10, v[51:52]
	v_and_b32_e32 v51, 7, v14
; %bb.359:                              ;   in Loop: Header=BB211_13 Depth=1
	s_or_b32 exec_lo, exec_lo, s52
	v_lshlrev_b32_e32 v10, 24, v13
	v_lshlrev_b32_e32 v14, 20, v51
	v_lshl_add_u32 v9, v9, 23, 0x3c000000
	v_and_b32_e32 v10, 0x80000000, v10
	v_or3_b32 v51, v14, v10, v9
	v_mov_b32_e32 v9, v51
	v_mov_b32_e32 v10, v52
.LBB211_360:                            ;   in Loop: Header=BB211_13 Depth=1
	s_or_b32 exec_lo, exec_lo, s51
.LBB211_361:                            ;   in Loop: Header=BB211_13 Depth=1
	s_or_b32 exec_lo, exec_lo, s50
.LBB211_362:                            ;   in Loop: Header=BB211_13 Depth=1
	s_or_b32 exec_lo, exec_lo, s49
	v_cmp_ne_u16_sdwa s2, v13, v52 src0_sel:BYTE_1 src1_sel:DWORD
	s_and_saveexec_b32 s49, s2
	s_cbranch_execz .LBB211_370
; %bb.363:                              ;   in Loop: Header=BB211_13 Depth=1
	v_mov_b32_e32 v25, v52
	v_cmp_ne_u16_sdwa s2, v13, v34 src0_sel:BYTE_1 src1_sel:DWORD
	v_mov_b32_e32 v11, v25
	v_mov_b32_e32 v12, v26
	s_and_saveexec_b32 s50, s2
	s_cbranch_execz .LBB211_369
; %bb.364:                              ;   in Loop: Header=BB211_13 Depth=1
	v_mov_b32_e32 v11, 0xffff
	v_mov_b32_e32 v75, v52
	s_mov_b32 s51, exec_lo
	v_and_b32_sdwa v15, v11, v13 dst_sel:DWORD dst_unused:UNUSED_PAD src0_sel:DWORD src1_sel:BYTE_1
	v_mov_b32_e32 v11, v75
	v_mov_b32_e32 v12, v76
	v_and_b32_e32 v14, 0x7f, v15
	v_cmpx_ne_u32_e32 0x7f, v14
	s_cbranch_execz .LBB211_368
; %bb.365:                              ;   in Loop: Header=BB211_13 Depth=1
	v_and_b32_e32 v51, 7, v15
	v_lshrrev_b32_e32 v11, 3, v14
	s_mov_b32 s52, exec_lo
	v_cmpx_gt_u32_e32 8, v14
; %bb.366:                              ;   in Loop: Header=BB211_13 Depth=1
	v_ffbh_u32_e32 v11, v51
	v_min_u32_e32 v11, 32, v11
	v_subrev_nc_u32_e32 v12, 28, v11
	v_sub_nc_u32_e32 v11, 29, v11
	v_lshlrev_b64 v[14:15], v12, v[51:52]
	v_and_b32_e32 v51, 7, v14
; %bb.367:                              ;   in Loop: Header=BB211_13 Depth=1
	s_or_b32 exec_lo, exec_lo, s52
	v_lshlrev_b32_e32 v12, 16, v13
	v_lshlrev_b32_e32 v13, 20, v51
	v_lshl_add_u32 v11, v11, 23, 0x3c000000
	v_and_b32_e32 v12, 0x80000000, v12
	v_or3_b32 v12, v13, v12, v11
	v_mov_b32_e32 v11, v52
.LBB211_368:                            ;   in Loop: Header=BB211_13 Depth=1
	s_or_b32 exec_lo, exec_lo, s51
.LBB211_369:                            ;   in Loop: Header=BB211_13 Depth=1
	s_or_b32 exec_lo, exec_lo, s50
.LBB211_370:                            ;   in Loop: Header=BB211_13 Depth=1
	s_or_b32 exec_lo, exec_lo, s49
	global_load_ushort v13, v[71:72], off offset:1288
	v_mov_b32_e32 v15, 0
	v_mov_b32_e32 v16, 0
	s_waitcnt vmcnt(0)
	v_and_b32_e32 v17, 0xffff, v13
	v_cmp_ne_u16_sdwa s2, v13, v52 src0_sel:BYTE_0 src1_sel:DWORD
	v_mov_b32_e32 v13, 0
	v_mov_b32_e32 v14, 0
	s_and_saveexec_b32 s49, s2
	s_cbranch_execz .LBB211_378
; %bb.371:                              ;   in Loop: Header=BB211_13 Depth=1
	v_bfrev_b32_e32 v13, 1
	v_mov_b32_e32 v14, 0
	v_cmp_ne_u16_sdwa s2, v17, v34 src0_sel:BYTE_0 src1_sel:DWORD
	s_and_saveexec_b32 s50, s2
	s_cbranch_execz .LBB211_377
; %bb.372:                              ;   in Loop: Header=BB211_13 Depth=1
	v_mov_b32_e32 v13, 0x7f800001
	v_and_b32_e32 v18, 0x7f, v17
	v_mov_b32_e32 v14, 0
	s_mov_b32 s51, exec_lo
	v_cmpx_ne_u32_e32 0x7f, v18
	s_cbranch_execz .LBB211_376
; %bb.373:                              ;   in Loop: Header=BB211_13 Depth=1
	v_and_b32_e32 v51, 7, v17
	v_lshrrev_b32_e32 v13, 3, v18
	s_mov_b32 s52, exec_lo
	v_cmpx_gt_u32_e32 8, v18
; %bb.374:                              ;   in Loop: Header=BB211_13 Depth=1
	v_ffbh_u32_e32 v13, v51
	v_min_u32_e32 v13, 32, v13
	v_subrev_nc_u32_e32 v14, 28, v13
	v_sub_nc_u32_e32 v13, 29, v13
	v_lshlrev_b64 v[18:19], v14, v[51:52]
	v_and_b32_e32 v51, 7, v18
; %bb.375:                              ;   in Loop: Header=BB211_13 Depth=1
	s_or_b32 exec_lo, exec_lo, s52
	v_lshlrev_b32_e32 v14, 24, v17
	v_lshlrev_b32_e32 v18, 20, v51
	v_lshl_add_u32 v13, v13, 23, 0x3c000000
	v_and_b32_e32 v14, 0x80000000, v14
	v_or3_b32 v51, v18, v14, v13
	v_mov_b32_e32 v13, v51
	v_mov_b32_e32 v14, v52
.LBB211_376:                            ;   in Loop: Header=BB211_13 Depth=1
	s_or_b32 exec_lo, exec_lo, s51
.LBB211_377:                            ;   in Loop: Header=BB211_13 Depth=1
	s_or_b32 exec_lo, exec_lo, s50
.LBB211_378:                            ;   in Loop: Header=BB211_13 Depth=1
	s_or_b32 exec_lo, exec_lo, s49
	v_cmp_ne_u16_sdwa s2, v17, v52 src0_sel:BYTE_1 src1_sel:DWORD
	s_and_saveexec_b32 s49, s2
	s_cbranch_execz .LBB211_386
; %bb.379:                              ;   in Loop: Header=BB211_13 Depth=1
	v_mov_b32_e32 v25, v52
	v_cmp_ne_u16_sdwa s2, v17, v34 src0_sel:BYTE_1 src1_sel:DWORD
	v_mov_b32_e32 v15, v25
	v_mov_b32_e32 v16, v26
	s_and_saveexec_b32 s50, s2
	s_cbranch_execz .LBB211_385
; %bb.380:                              ;   in Loop: Header=BB211_13 Depth=1
	v_mov_b32_e32 v15, 0xffff
	v_mov_b32_e32 v75, v52
	s_mov_b32 s51, exec_lo
	v_and_b32_sdwa v19, v15, v17 dst_sel:DWORD dst_unused:UNUSED_PAD src0_sel:DWORD src1_sel:BYTE_1
	v_mov_b32_e32 v15, v75
	v_mov_b32_e32 v16, v76
	v_and_b32_e32 v18, 0x7f, v19
	v_cmpx_ne_u32_e32 0x7f, v18
	s_cbranch_execz .LBB211_384
; %bb.381:                              ;   in Loop: Header=BB211_13 Depth=1
	v_and_b32_e32 v51, 7, v19
	v_lshrrev_b32_e32 v15, 3, v18
	s_mov_b32 s52, exec_lo
	v_cmpx_gt_u32_e32 8, v18
; %bb.382:                              ;   in Loop: Header=BB211_13 Depth=1
	v_ffbh_u32_e32 v15, v51
	v_min_u32_e32 v15, 32, v15
	v_subrev_nc_u32_e32 v16, 28, v15
	v_sub_nc_u32_e32 v15, 29, v15
	v_lshlrev_b64 v[18:19], v16, v[51:52]
	v_and_b32_e32 v51, 7, v18
; %bb.383:                              ;   in Loop: Header=BB211_13 Depth=1
	s_or_b32 exec_lo, exec_lo, s52
	v_lshlrev_b32_e32 v16, 16, v17
	v_lshlrev_b32_e32 v17, 20, v51
	v_lshl_add_u32 v15, v15, 23, 0x3c000000
	v_and_b32_e32 v16, 0x80000000, v16
	v_or3_b32 v16, v17, v16, v15
	v_mov_b32_e32 v15, v52
.LBB211_384:                            ;   in Loop: Header=BB211_13 Depth=1
	s_or_b32 exec_lo, exec_lo, s51
.LBB211_385:                            ;   in Loop: Header=BB211_13 Depth=1
	s_or_b32 exec_lo, exec_lo, s50
.LBB211_386:                            ;   in Loop: Header=BB211_13 Depth=1
	s_or_b32 exec_lo, exec_lo, s49
	global_load_ushort v17, v[71:72], off offset:1292
	v_mov_b32_e32 v19, 0
	v_mov_b32_e32 v20, 0
	s_waitcnt vmcnt(0)
	v_and_b32_e32 v21, 0xffff, v17
	v_cmp_ne_u16_sdwa s2, v17, v52 src0_sel:BYTE_0 src1_sel:DWORD
	v_mov_b32_e32 v17, 0
	v_mov_b32_e32 v18, 0
	s_and_saveexec_b32 s49, s2
	s_cbranch_execz .LBB211_394
; %bb.387:                              ;   in Loop: Header=BB211_13 Depth=1
	v_bfrev_b32_e32 v17, 1
	v_mov_b32_e32 v18, 0
	v_cmp_ne_u16_sdwa s2, v21, v34 src0_sel:BYTE_0 src1_sel:DWORD
	s_and_saveexec_b32 s50, s2
	s_cbranch_execz .LBB211_393
; %bb.388:                              ;   in Loop: Header=BB211_13 Depth=1
	v_mov_b32_e32 v17, 0x7f800001
	v_and_b32_e32 v22, 0x7f, v21
	v_mov_b32_e32 v18, 0
	s_mov_b32 s51, exec_lo
	v_cmpx_ne_u32_e32 0x7f, v22
	s_cbranch_execz .LBB211_392
; %bb.389:                              ;   in Loop: Header=BB211_13 Depth=1
	v_and_b32_e32 v51, 7, v21
	v_lshrrev_b32_e32 v17, 3, v22
	s_mov_b32 s52, exec_lo
	v_cmpx_gt_u32_e32 8, v22
; %bb.390:                              ;   in Loop: Header=BB211_13 Depth=1
	v_ffbh_u32_e32 v17, v51
	v_min_u32_e32 v17, 32, v17
	v_subrev_nc_u32_e32 v18, 28, v17
	v_sub_nc_u32_e32 v17, 29, v17
	v_lshlrev_b64 v[22:23], v18, v[51:52]
	v_and_b32_e32 v51, 7, v22
; %bb.391:                              ;   in Loop: Header=BB211_13 Depth=1
	s_or_b32 exec_lo, exec_lo, s52
	v_lshlrev_b32_e32 v18, 24, v21
	v_lshlrev_b32_e32 v22, 20, v51
	v_lshl_add_u32 v17, v17, 23, 0x3c000000
	v_and_b32_e32 v18, 0x80000000, v18
	v_or3_b32 v51, v22, v18, v17
	v_mov_b32_e32 v17, v51
	v_mov_b32_e32 v18, v52
.LBB211_392:                            ;   in Loop: Header=BB211_13 Depth=1
	s_or_b32 exec_lo, exec_lo, s51
.LBB211_393:                            ;   in Loop: Header=BB211_13 Depth=1
	s_or_b32 exec_lo, exec_lo, s50
.LBB211_394:                            ;   in Loop: Header=BB211_13 Depth=1
	s_or_b32 exec_lo, exec_lo, s49
	v_cmp_ne_u16_sdwa s2, v21, v52 src0_sel:BYTE_1 src1_sel:DWORD
	s_and_saveexec_b32 s49, s2
	s_cbranch_execz .LBB211_402
; %bb.395:                              ;   in Loop: Header=BB211_13 Depth=1
	v_mov_b32_e32 v25, v52
	v_cmp_ne_u16_sdwa s2, v21, v34 src0_sel:BYTE_1 src1_sel:DWORD
	v_mov_b32_e32 v19, v25
	v_mov_b32_e32 v20, v26
	s_and_saveexec_b32 s50, s2
	s_cbranch_execz .LBB211_401
; %bb.396:                              ;   in Loop: Header=BB211_13 Depth=1
	v_mov_b32_e32 v19, 0xffff
	v_mov_b32_e32 v75, v52
	s_mov_b32 s51, exec_lo
	v_and_b32_sdwa v23, v19, v21 dst_sel:DWORD dst_unused:UNUSED_PAD src0_sel:DWORD src1_sel:BYTE_1
	v_mov_b32_e32 v19, v75
	v_mov_b32_e32 v20, v76
	v_and_b32_e32 v22, 0x7f, v23
	v_cmpx_ne_u32_e32 0x7f, v22
	s_cbranch_execz .LBB211_400
; %bb.397:                              ;   in Loop: Header=BB211_13 Depth=1
	v_and_b32_e32 v51, 7, v23
	v_lshrrev_b32_e32 v19, 3, v22
	s_mov_b32 s52, exec_lo
	v_cmpx_gt_u32_e32 8, v22
; %bb.398:                              ;   in Loop: Header=BB211_13 Depth=1
	v_ffbh_u32_e32 v19, v51
	v_min_u32_e32 v19, 32, v19
	v_subrev_nc_u32_e32 v20, 28, v19
	v_sub_nc_u32_e32 v19, 29, v19
	v_lshlrev_b64 v[22:23], v20, v[51:52]
	v_and_b32_e32 v51, 7, v22
; %bb.399:                              ;   in Loop: Header=BB211_13 Depth=1
	s_or_b32 exec_lo, exec_lo, s52
	v_lshlrev_b32_e32 v20, 16, v21
	v_lshlrev_b32_e32 v21, 20, v51
	v_lshl_add_u32 v19, v19, 23, 0x3c000000
	v_and_b32_e32 v20, 0x80000000, v20
	v_or3_b32 v20, v21, v20, v19
	v_mov_b32_e32 v19, v52
.LBB211_400:                            ;   in Loop: Header=BB211_13 Depth=1
	s_or_b32 exec_lo, exec_lo, s51
.LBB211_401:                            ;   in Loop: Header=BB211_13 Depth=1
	s_or_b32 exec_lo, exec_lo, s50
.LBB211_402:                            ;   in Loop: Header=BB211_13 Depth=1
	s_or_b32 exec_lo, exec_lo, s49
	global_load_ushort v21, v[71:72], off offset:1536
	v_mov_b32_e32 v23, 0
	v_mov_b32_e32 v24, 0
	s_waitcnt vmcnt(0)
	v_and_b32_e32 v27, 0xffff, v21
	v_cmp_ne_u16_sdwa s2, v21, v52 src0_sel:BYTE_0 src1_sel:DWORD
	v_mov_b32_e32 v21, 0
	v_mov_b32_e32 v22, 0
	s_and_saveexec_b32 s49, s2
	s_cbranch_execz .LBB211_410
; %bb.403:                              ;   in Loop: Header=BB211_13 Depth=1
	v_bfrev_b32_e32 v21, 1
	v_mov_b32_e32 v22, 0
	v_cmp_ne_u16_sdwa s2, v27, v34 src0_sel:BYTE_0 src1_sel:DWORD
	s_and_saveexec_b32 s50, s2
	s_cbranch_execz .LBB211_409
; %bb.404:                              ;   in Loop: Header=BB211_13 Depth=1
	v_mov_b32_e32 v21, 0x7f800001
	v_and_b32_e32 v25, 0x7f, v27
	v_mov_b32_e32 v22, 0
	s_mov_b32 s51, exec_lo
	v_cmpx_ne_u32_e32 0x7f, v25
	s_cbranch_execz .LBB211_408
; %bb.405:                              ;   in Loop: Header=BB211_13 Depth=1
	v_and_b32_e32 v51, 7, v27
	v_lshrrev_b32_e32 v21, 3, v25
	s_mov_b32 s52, exec_lo
	v_cmpx_gt_u32_e32 8, v25
; %bb.406:                              ;   in Loop: Header=BB211_13 Depth=1
	v_ffbh_u32_e32 v21, v51
	v_min_u32_e32 v21, 32, v21
	v_subrev_nc_u32_e32 v22, 28, v21
	v_sub_nc_u32_e32 v21, 29, v21
	v_lshlrev_b64 v[28:29], v22, v[51:52]
	v_and_b32_e32 v51, 7, v28
; %bb.407:                              ;   in Loop: Header=BB211_13 Depth=1
	s_or_b32 exec_lo, exec_lo, s52
	v_lshlrev_b32_e32 v22, 24, v27
	v_lshlrev_b32_e32 v25, 20, v51
	v_lshl_add_u32 v21, v21, 23, 0x3c000000
	v_and_b32_e32 v22, 0x80000000, v22
	v_or3_b32 v51, v25, v22, v21
	v_mov_b32_e32 v21, v51
	v_mov_b32_e32 v22, v52
.LBB211_408:                            ;   in Loop: Header=BB211_13 Depth=1
	s_or_b32 exec_lo, exec_lo, s51
.LBB211_409:                            ;   in Loop: Header=BB211_13 Depth=1
	s_or_b32 exec_lo, exec_lo, s50
.LBB211_410:                            ;   in Loop: Header=BB211_13 Depth=1
	s_or_b32 exec_lo, exec_lo, s49
	v_cmp_ne_u16_sdwa s2, v27, v52 src0_sel:BYTE_1 src1_sel:DWORD
	s_and_saveexec_b32 s49, s2
	s_cbranch_execz .LBB211_418
; %bb.411:                              ;   in Loop: Header=BB211_13 Depth=1
	v_mov_b32_e32 v25, v52
	v_cmp_ne_u16_sdwa s2, v27, v34 src0_sel:BYTE_1 src1_sel:DWORD
	v_mov_b32_e32 v23, v25
	v_mov_b32_e32 v24, v26
	s_and_saveexec_b32 s50, s2
	s_cbranch_execz .LBB211_417
; %bb.412:                              ;   in Loop: Header=BB211_13 Depth=1
	v_mov_b32_e32 v23, 0xffff
	v_mov_b32_e32 v75, v52
	s_mov_b32 s51, exec_lo
	v_and_b32_sdwa v28, v23, v27 dst_sel:DWORD dst_unused:UNUSED_PAD src0_sel:DWORD src1_sel:BYTE_1
	v_mov_b32_e32 v23, v75
	v_mov_b32_e32 v24, v76
	v_and_b32_e32 v25, 0x7f, v28
	v_cmpx_ne_u32_e32 0x7f, v25
	s_cbranch_execz .LBB211_416
; %bb.413:                              ;   in Loop: Header=BB211_13 Depth=1
	v_and_b32_e32 v51, 7, v28
	v_lshrrev_b32_e32 v23, 3, v25
	s_mov_b32 s52, exec_lo
	v_cmpx_gt_u32_e32 8, v25
; %bb.414:                              ;   in Loop: Header=BB211_13 Depth=1
	v_ffbh_u32_e32 v23, v51
	v_min_u32_e32 v23, 32, v23
	v_subrev_nc_u32_e32 v24, 28, v23
	v_sub_nc_u32_e32 v23, 29, v23
	v_lshlrev_b64 v[24:25], v24, v[51:52]
	v_and_b32_e32 v51, 7, v24
; %bb.415:                              ;   in Loop: Header=BB211_13 Depth=1
	s_or_b32 exec_lo, exec_lo, s52
	v_lshlrev_b32_e32 v24, 16, v27
	v_lshlrev_b32_e32 v25, 20, v51
	v_lshl_add_u32 v23, v23, 23, 0x3c000000
	v_and_b32_e32 v24, 0x80000000, v24
	v_or3_b32 v24, v25, v24, v23
	v_mov_b32_e32 v23, v52
.LBB211_416:                            ;   in Loop: Header=BB211_13 Depth=1
	s_or_b32 exec_lo, exec_lo, s51
.LBB211_417:                            ;   in Loop: Header=BB211_13 Depth=1
	s_or_b32 exec_lo, exec_lo, s50
.LBB211_418:                            ;   in Loop: Header=BB211_13 Depth=1
	s_or_b32 exec_lo, exec_lo, s49
	global_load_ushort v25, v[71:72], off offset:1540
	v_mov_b32_e32 v53, 0
	v_mov_b32_e32 v27, 0
	;; [unrolled: 1-line block ×4, first 2 shown]
	s_waitcnt vmcnt(0)
	v_and_b32_e32 v29, 0xffff, v25
	v_cmp_ne_u16_sdwa s2, v25, v52 src0_sel:BYTE_0 src1_sel:DWORD
	s_and_saveexec_b32 s49, s2
	s_cbranch_execz .LBB211_426
; %bb.419:                              ;   in Loop: Header=BB211_13 Depth=1
	v_bfrev_b32_e32 v27, 1
	v_mov_b32_e32 v28, 0
	v_cmp_ne_u16_sdwa s2, v29, v34 src0_sel:BYTE_0 src1_sel:DWORD
	s_and_saveexec_b32 s50, s2
	s_cbranch_execz .LBB211_425
; %bb.420:                              ;   in Loop: Header=BB211_13 Depth=1
	v_mov_b32_e32 v27, 0x7f800001
	v_and_b32_e32 v30, 0x7f, v29
	v_mov_b32_e32 v28, 0
	s_mov_b32 s51, exec_lo
	v_cmpx_ne_u32_e32 0x7f, v30
	s_cbranch_execz .LBB211_424
; %bb.421:                              ;   in Loop: Header=BB211_13 Depth=1
	v_and_b32_e32 v51, 7, v29
	v_lshrrev_b32_e32 v25, 3, v30
	s_mov_b32 s52, exec_lo
	v_cmpx_gt_u32_e32 8, v30
; %bb.422:                              ;   in Loop: Header=BB211_13 Depth=1
	v_ffbh_u32_e32 v25, v51
	v_min_u32_e32 v25, 32, v25
	v_subrev_nc_u32_e32 v27, 28, v25
	v_sub_nc_u32_e32 v25, 29, v25
	v_lshlrev_b64 v[27:28], v27, v[51:52]
	v_and_b32_e32 v51, 7, v27
; %bb.423:                              ;   in Loop: Header=BB211_13 Depth=1
	s_or_b32 exec_lo, exec_lo, s52
	v_lshlrev_b32_e32 v27, 24, v29
	v_lshlrev_b32_e32 v28, 20, v51
	v_lshl_add_u32 v25, v25, 23, 0x3c000000
	v_and_b32_e32 v27, 0x80000000, v27
	v_or3_b32 v51, v28, v27, v25
	v_mov_b32_e32 v27, v51
	v_mov_b32_e32 v28, v52
.LBB211_424:                            ;   in Loop: Header=BB211_13 Depth=1
	s_or_b32 exec_lo, exec_lo, s51
.LBB211_425:                            ;   in Loop: Header=BB211_13 Depth=1
	s_or_b32 exec_lo, exec_lo, s50
.LBB211_426:                            ;   in Loop: Header=BB211_13 Depth=1
	s_or_b32 exec_lo, exec_lo, s49
	v_cmp_ne_u16_sdwa s2, v29, v52 src0_sel:BYTE_1 src1_sel:DWORD
	s_and_saveexec_b32 s49, s2
	s_cbranch_execz .LBB211_434
; %bb.427:                              ;   in Loop: Header=BB211_13 Depth=1
	v_mov_b32_e32 v25, v52
	v_mov_b32_e32 v54, v26
	v_cmp_ne_u16_sdwa s2, v29, v34 src0_sel:BYTE_1 src1_sel:DWORD
	v_mov_b32_e32 v53, v25
	s_and_saveexec_b32 s50, s2
	s_cbranch_execz .LBB211_433
; %bb.428:                              ;   in Loop: Header=BB211_13 Depth=1
	v_mov_b32_e32 v25, 0xffff
	v_mov_b32_e32 v75, v52
	s_mov_b32 s51, exec_lo
	v_and_b32_sdwa v25, v25, v29 dst_sel:DWORD dst_unused:UNUSED_PAD src0_sel:DWORD src1_sel:BYTE_1
	v_mov_b32_e32 v53, v75
	v_mov_b32_e32 v54, v76
	v_and_b32_e32 v30, 0x7f, v25
	v_cmpx_ne_u32_e32 0x7f, v30
	s_cbranch_execz .LBB211_432
; %bb.429:                              ;   in Loop: Header=BB211_13 Depth=1
	v_and_b32_e32 v51, 7, v25
	v_lshrrev_b32_e32 v25, 3, v30
	s_mov_b32 s52, exec_lo
	v_cmpx_gt_u32_e32 8, v30
; %bb.430:                              ;   in Loop: Header=BB211_13 Depth=1
	v_ffbh_u32_e32 v25, v51
	v_min_u32_e32 v25, 32, v25
	v_subrev_nc_u32_e32 v30, 28, v25
	v_sub_nc_u32_e32 v25, 29, v25
	v_lshlrev_b64 v[30:31], v30, v[51:52]
	v_and_b32_e32 v51, 7, v30
; %bb.431:                              ;   in Loop: Header=BB211_13 Depth=1
	s_or_b32 exec_lo, exec_lo, s52
	v_lshlrev_b32_e32 v29, 16, v29
	v_lshlrev_b32_e32 v30, 20, v51
	v_lshl_add_u32 v25, v25, 23, 0x3c000000
	v_mov_b32_e32 v53, v52
	v_and_b32_e32 v29, 0x80000000, v29
	v_or3_b32 v54, v30, v29, v25
.LBB211_432:                            ;   in Loop: Header=BB211_13 Depth=1
	s_or_b32 exec_lo, exec_lo, s51
.LBB211_433:                            ;   in Loop: Header=BB211_13 Depth=1
	s_or_b32 exec_lo, exec_lo, s50
.LBB211_434:                            ;   in Loop: Header=BB211_13 Depth=1
	s_or_b32 exec_lo, exec_lo, s49
	global_load_ushort v25, v[71:72], off offset:1544
	v_mov_b32_e32 v31, 0
	v_mov_b32_e32 v29, 0
	v_mov_b32_e32 v32, 0
	v_mov_b32_e32 v30, 0
	s_waitcnt vmcnt(0)
	v_and_b32_e32 v55, 0xffff, v25
	v_cmp_ne_u16_sdwa s2, v25, v52 src0_sel:BYTE_0 src1_sel:DWORD
	s_and_saveexec_b32 s49, s2
	s_cbranch_execz .LBB211_442
; %bb.435:                              ;   in Loop: Header=BB211_13 Depth=1
	v_bfrev_b32_e32 v29, 1
	v_mov_b32_e32 v30, 0
	v_cmp_ne_u16_sdwa s2, v55, v34 src0_sel:BYTE_0 src1_sel:DWORD
	s_and_saveexec_b32 s50, s2
	s_cbranch_execz .LBB211_441
; %bb.436:                              ;   in Loop: Header=BB211_13 Depth=1
	v_mov_b32_e32 v29, 0x7f800001
	v_and_b32_e32 v37, 0x7f, v55
	v_mov_b32_e32 v30, 0
	s_mov_b32 s51, exec_lo
	v_cmpx_ne_u32_e32 0x7f, v37
	s_cbranch_execz .LBB211_440
; %bb.437:                              ;   in Loop: Header=BB211_13 Depth=1
	v_and_b32_e32 v51, 7, v55
	v_lshrrev_b32_e32 v25, 3, v37
	s_mov_b32 s52, exec_lo
	v_cmpx_gt_u32_e32 8, v37
; %bb.438:                              ;   in Loop: Header=BB211_13 Depth=1
	v_ffbh_u32_e32 v25, v51
	v_min_u32_e32 v25, 32, v25
	v_subrev_nc_u32_e32 v29, 28, v25
	v_sub_nc_u32_e32 v25, 29, v25
	v_lshlrev_b64 v[29:30], v29, v[51:52]
	v_and_b32_e32 v51, 7, v29
; %bb.439:                              ;   in Loop: Header=BB211_13 Depth=1
	s_or_b32 exec_lo, exec_lo, s52
	v_lshlrev_b32_e32 v29, 24, v55
	v_lshlrev_b32_e32 v30, 20, v51
	v_lshl_add_u32 v25, v25, 23, 0x3c000000
	v_and_b32_e32 v29, 0x80000000, v29
	v_or3_b32 v51, v30, v29, v25
	v_mov_b32_e32 v29, v51
	v_mov_b32_e32 v30, v52
.LBB211_440:                            ;   in Loop: Header=BB211_13 Depth=1
	s_or_b32 exec_lo, exec_lo, s51
.LBB211_441:                            ;   in Loop: Header=BB211_13 Depth=1
	s_or_b32 exec_lo, exec_lo, s50
.LBB211_442:                            ;   in Loop: Header=BB211_13 Depth=1
	s_or_b32 exec_lo, exec_lo, s49
	v_cmp_ne_u16_sdwa s2, v55, v52 src0_sel:BYTE_1 src1_sel:DWORD
	s_and_saveexec_b32 s49, s2
	s_cbranch_execz .LBB211_450
; %bb.443:                              ;   in Loop: Header=BB211_13 Depth=1
	v_mov_b32_e32 v25, v52
	v_mov_b32_e32 v32, v26
	v_cmp_ne_u16_sdwa s2, v55, v34 src0_sel:BYTE_1 src1_sel:DWORD
	v_mov_b32_e32 v31, v25
	s_and_saveexec_b32 s50, s2
	s_cbranch_execz .LBB211_449
; %bb.444:                              ;   in Loop: Header=BB211_13 Depth=1
	v_mov_b32_e32 v25, 0xffff
	v_mov_b32_e32 v75, v52
	s_mov_b32 s51, exec_lo
	v_and_b32_sdwa v25, v25, v55 dst_sel:DWORD dst_unused:UNUSED_PAD src0_sel:DWORD src1_sel:BYTE_1
	v_mov_b32_e32 v31, v75
	v_mov_b32_e32 v32, v76
	v_and_b32_e32 v37, 0x7f, v25
	v_cmpx_ne_u32_e32 0x7f, v37
	s_cbranch_execz .LBB211_448
; %bb.445:                              ;   in Loop: Header=BB211_13 Depth=1
	v_and_b32_e32 v51, 7, v25
	v_lshrrev_b32_e32 v25, 3, v37
	s_mov_b32 s52, exec_lo
	v_cmpx_gt_u32_e32 8, v37
; %bb.446:                              ;   in Loop: Header=BB211_13 Depth=1
	v_ffbh_u32_e32 v25, v51
	v_min_u32_e32 v25, 32, v25
	v_subrev_nc_u32_e32 v31, 28, v25
	v_sub_nc_u32_e32 v25, 29, v25
	v_lshlrev_b64 v[31:32], v31, v[51:52]
	v_and_b32_e32 v51, 7, v31
; %bb.447:                              ;   in Loop: Header=BB211_13 Depth=1
	s_or_b32 exec_lo, exec_lo, s52
	v_lshlrev_b32_e32 v31, 16, v55
	v_lshlrev_b32_e32 v32, 20, v51
	v_lshl_add_u32 v25, v25, 23, 0x3c000000
	v_and_b32_e32 v31, 0x80000000, v31
	v_or3_b32 v32, v32, v31, v25
	v_mov_b32_e32 v31, v52
.LBB211_448:                            ;   in Loop: Header=BB211_13 Depth=1
	s_or_b32 exec_lo, exec_lo, s51
.LBB211_449:                            ;   in Loop: Header=BB211_13 Depth=1
	s_or_b32 exec_lo, exec_lo, s50
.LBB211_450:                            ;   in Loop: Header=BB211_13 Depth=1
	s_or_b32 exec_lo, exec_lo, s49
	global_load_ushort v25, v[71:72], off offset:1548
	v_mov_b32_e32 v55, 0
	v_mov_b32_e32 v71, 0
	;; [unrolled: 1-line block ×4, first 2 shown]
	s_waitcnt vmcnt(0)
	v_and_b32_e32 v37, 0xffff, v25
	v_cmp_ne_u16_sdwa s2, v25, v52 src0_sel:BYTE_0 src1_sel:DWORD
	s_and_saveexec_b32 s49, s2
	s_cbranch_execz .LBB211_458
; %bb.451:                              ;   in Loop: Header=BB211_13 Depth=1
	v_bfrev_b32_e32 v71, 1
	v_mov_b32_e32 v72, 0
	v_cmp_ne_u16_sdwa s2, v37, v34 src0_sel:BYTE_0 src1_sel:DWORD
	s_and_saveexec_b32 s50, s2
	s_cbranch_execz .LBB211_457
; %bb.452:                              ;   in Loop: Header=BB211_13 Depth=1
	v_mov_b32_e32 v71, 0x7f800001
	v_and_b32_e32 v38, 0x7f, v37
	v_mov_b32_e32 v72, 0
	s_mov_b32 s51, exec_lo
	v_cmpx_ne_u32_e32 0x7f, v38
	s_cbranch_execz .LBB211_456
; %bb.453:                              ;   in Loop: Header=BB211_13 Depth=1
	v_and_b32_e32 v51, 7, v37
	v_lshrrev_b32_e32 v25, 3, v38
	s_mov_b32 s52, exec_lo
	v_cmpx_gt_u32_e32 8, v38
; %bb.454:                              ;   in Loop: Header=BB211_13 Depth=1
	v_ffbh_u32_e32 v25, v51
	v_min_u32_e32 v25, 32, v25
	v_subrev_nc_u32_e32 v38, 28, v25
	v_sub_nc_u32_e32 v25, 29, v25
	v_lshlrev_b64 v[38:39], v38, v[51:52]
	v_and_b32_e32 v51, 7, v38
; %bb.455:                              ;   in Loop: Header=BB211_13 Depth=1
	s_or_b32 exec_lo, exec_lo, s52
	v_lshlrev_b32_e32 v38, 24, v37
	v_lshlrev_b32_e32 v39, 20, v51
	v_lshl_add_u32 v25, v25, 23, 0x3c000000
	v_and_b32_e32 v38, 0x80000000, v38
	v_or3_b32 v51, v39, v38, v25
	v_mov_b32_e32 v72, v52
	v_mov_b32_e32 v71, v51
.LBB211_456:                            ;   in Loop: Header=BB211_13 Depth=1
	s_or_b32 exec_lo, exec_lo, s51
.LBB211_457:                            ;   in Loop: Header=BB211_13 Depth=1
	s_or_b32 exec_lo, exec_lo, s50
.LBB211_458:                            ;   in Loop: Header=BB211_13 Depth=1
	s_or_b32 exec_lo, exec_lo, s49
	v_cmp_ne_u16_sdwa s2, v37, v52 src0_sel:BYTE_1 src1_sel:DWORD
	s_and_saveexec_b32 s49, s2
	s_cbranch_execz .LBB211_466
; %bb.459:                              ;   in Loop: Header=BB211_13 Depth=1
	v_mov_b32_e32 v25, v52
	v_mov_b32_e32 v56, v26
	v_cmp_ne_u16_sdwa s2, v37, v34 src0_sel:BYTE_1 src1_sel:DWORD
	v_mov_b32_e32 v55, v25
	s_and_saveexec_b32 s50, s2
	s_cbranch_execz .LBB211_465
; %bb.460:                              ;   in Loop: Header=BB211_13 Depth=1
	v_mov_b32_e32 v25, 0xffff
	v_mov_b32_e32 v75, v52
	s_mov_b32 s51, exec_lo
	v_and_b32_sdwa v25, v25, v37 dst_sel:DWORD dst_unused:UNUSED_PAD src0_sel:DWORD src1_sel:BYTE_1
	v_mov_b32_e32 v55, v75
	v_mov_b32_e32 v56, v76
	v_and_b32_e32 v38, 0x7f, v25
	v_cmpx_ne_u32_e32 0x7f, v38
	s_cbranch_execz .LBB211_464
; %bb.461:                              ;   in Loop: Header=BB211_13 Depth=1
	v_and_b32_e32 v51, 7, v25
	v_lshrrev_b32_e32 v25, 3, v38
	s_mov_b32 s52, exec_lo
	v_cmpx_gt_u32_e32 8, v38
; %bb.462:                              ;   in Loop: Header=BB211_13 Depth=1
	v_ffbh_u32_e32 v25, v51
	v_min_u32_e32 v25, 32, v25
	v_subrev_nc_u32_e32 v38, 28, v25
	v_sub_nc_u32_e32 v25, 29, v25
	v_lshlrev_b64 v[38:39], v38, v[51:52]
	v_and_b32_e32 v51, 7, v38
; %bb.463:                              ;   in Loop: Header=BB211_13 Depth=1
	s_or_b32 exec_lo, exec_lo, s52
	v_lshlrev_b32_e32 v37, 16, v37
	v_lshlrev_b32_e32 v38, 20, v51
	v_lshl_add_u32 v25, v25, 23, 0x3c000000
	v_mov_b32_e32 v55, v52
	v_and_b32_e32 v37, 0x80000000, v37
	v_or3_b32 v56, v38, v37, v25
.LBB211_464:                            ;   in Loop: Header=BB211_13 Depth=1
	s_or_b32 exec_lo, exec_lo, s51
.LBB211_465:                            ;   in Loop: Header=BB211_13 Depth=1
	s_or_b32 exec_lo, exec_lo, s50
.LBB211_466:                            ;   in Loop: Header=BB211_13 Depth=1
	s_or_b32 exec_lo, exec_lo, s49
	v_or_b32_e32 v38, v107, v105
	v_or_b32_e32 v28, v54, v28
	v_or_b32_e32 v14, v16, v14
	v_or_b32_e32 v15, v15, v13
	v_or_b32_e32 v10, v12, v10
	v_or_b32_e32 v11, v11, v9
	v_mul_f32_e32 v54, s48, v38
	v_or_b32_e32 v38, v103, v101
	v_mul_f32_e32 v13, s48, v14
	v_mul_f32_e32 v14, s48, v15
	;; [unrolled: 1-line block ×4, first 2 shown]
	v_or_b32_e32 v8, v74, v8
	v_or_b32_e32 v11, v73, v7
	;; [unrolled: 1-line block ×3, first 2 shown]
	v_mul_f32_e32 v60, s48, v38
	v_or_b32_e32 v38, v99, v97
	v_mul_f32_e32 v7, s48, v8
	v_mul_f32_e32 v8, s48, v11
	v_or_b32_e32 v11, v64, v62
	v_or_b32_e32 v4, v6, v4
	v_mul_f32_e32 v62, s48, v38
	v_or_b32_e32 v38, v95, v93
	v_or_b32_e32 v6, v65, v67
	;; [unrolled: 1-line block ×3, first 2 shown]
	v_mul_f32_e32 v3, s48, v4
	v_or_b32_e32 v37, v111, v109
	v_mul_f32_e32 v65, s48, v38
	v_or_b32_e32 v38, v91, v89
	;; [unrolled: 2-line block ×5, first 2 shown]
	v_or_b32_e32 v25, v32, v30
	v_or_b32_e32 v30, v53, v27
	v_mul_f32_e32 v53, s48, v37
	v_or_b32_e32 v37, v104, v102
	v_mul_f32_e32 v69, s48, v38
	v_or_b32_e32 v38, v83, v81
	v_or_b32_e32 v16, v59, v125
	v_or_b32_e32 v12, v63, v61
	v_mul_f32_e32 v59, s48, v37
	v_or_b32_e32 v37, v100, v98
	v_mul_f32_e32 v73, s48, v38
	s_clause 0x1
	buffer_load_dword v38, off, s[56:59], 0 offset:16
	buffer_load_dword v39, off, s[56:59], 0 offset:20
	v_or_b32_e32 v2, v2, v70
	v_or_b32_e32 v32, v112, v110
	v_mul_f32_e32 v61, s48, v37
	v_or_b32_e32 v37, v96, v94
	v_or_b32_e32 v29, v31, v29
	v_mul_f32_e32 v1, s48, v2
	v_mul_f32_e32 v2, s48, v5
	v_or_b32_e32 v5, v66, v68
	v_mul_f32_e32 v64, s48, v37
	v_or_b32_e32 v37, v92, v90
	v_mul_f32_e32 v32, s48, v32
	v_mul_f32_e32 v27, s48, v28
	;; [unrolled: 1-line block ×3, first 2 shown]
	v_or_b32_e32 v22, v24, v22
	v_mul_f32_e32 v66, s48, v37
	v_or_b32_e32 v37, v88, v86
	v_or_b32_e32 v23, v23, v21
	;; [unrolled: 1-line block ×4, first 2 shown]
	v_mul_f32_e32 v21, s48, v22
	v_mul_f32_e32 v68, s48, v37
	v_or_b32_e32 v37, v84, v82
	v_mul_f32_e32 v22, s48, v23
	v_or_b32_e32 v23, v120, v118
	v_or_b32_e32 v24, v119, v117
	v_mul_f32_e32 v30, s48, v30
	v_mul_f32_e32 v70, s48, v37
	;; [unrolled: 1-line block ×5, first 2 shown]
	v_or_b32_e32 v18, v20, v18
	v_or_b32_e32 v19, v19, v17
	;; [unrolled: 1-line block ×3, first 2 shown]
	v_mul_f32_e32 v15, s48, v15
	v_mul_f32_e32 v16, s48, v16
	;; [unrolled: 1-line block ×4, first 2 shown]
	v_or_b32_e32 v19, v124, v122
	v_mul_f32_e32 v20, s48, v20
	v_mul_f32_e32 v11, s48, v11
	;; [unrolled: 1-line block ×8, first 2 shown]
	v_or_b32_e32 v56, v56, v72
	v_or_b32_e32 v55, v55, v71
	v_mul_f32_e32 v56, s48, v56
	s_waitcnt vmcnt(1)
	v_or_b32_e32 v38, v79, v38
	s_waitcnt vmcnt(0)
	v_or_b32_e32 v37, v80, v39
	v_mul_f32_e32 v75, s48, v38
	s_clause 0x1
	buffer_load_dword v38, off, s[56:59], 0 offset:8
	buffer_load_dword v39, off, s[56:59], 0 offset:12
	v_mul_f32_e32 v74, s48, v37
	s_waitcnt vmcnt(1)
	v_or_b32_e32 v38, v77, v38
	s_waitcnt vmcnt(0)
	v_or_b32_e32 v37, v78, v39
	v_mul_f32_e32 v78, s48, v38
	v_mul_f32_e32 v77, s48, v37
	s_clause 0x3
	buffer_load_dword v37, off, s[56:59], 0
	buffer_load_dword v38, off, s[56:59], 0 offset:4
	buffer_load_dword v79, off, s[56:59], 0 offset:24
	;; [unrolled: 1-line block ×3, first 2 shown]
	s_waitcnt vmcnt(3)
	v_or_b32_e32 v37, v37, v42
	s_waitcnt vmcnt(2)
	v_or_b32_e32 v63, v38, v43
	;; [unrolled: 2-line block ×4, first 2 shown]
	v_mbcnt_lo_u32_b32 v79, -1, 0
	v_mul_f32_e32 v37, s48, v37
	v_mul_f32_e32 v38, s48, v63
	;; [unrolled: 1-line block ×4, first 2 shown]
	v_xor_b32_e32 v63, 1, v79
	v_mul_f32_e32 v47, v47, v37
	v_cmp_gt_i32_e64 s2, 32, v63
	v_fmac_f32_e32 v47, v45, v40
	v_mul_f32_e32 v45, v48, v38
	v_cndmask_b32_e64 v79, v79, v63, s2
	v_mul_f32_e32 v63, s48, v55
	v_fmac_f32_e32 v45, v46, v39
	s_clause 0x3
	buffer_load_dword v37, off, s[56:59], 0 offset:204
	buffer_load_dword v38, off, s[56:59], 0 offset:208
	;; [unrolled: 1-line block ×4, first 2 shown]
	v_lshlrev_b32_e32 v55, 2, v79
	s_waitcnt vmcnt(3)
	v_fmac_f32_e32 v47, v37, v78
	s_waitcnt vmcnt(2)
	v_fmac_f32_e32 v45, v38, v77
	s_waitcnt vmcnt(1)
	v_fmac_f32_e32 v47, v39, v75
	s_waitcnt vmcnt(0)
	v_fmac_f32_e32 v45, v40, v74
	s_clause 0x3
	buffer_load_dword v37, off, s[56:59], 0 offset:188
	buffer_load_dword v38, off, s[56:59], 0 offset:192
	buffer_load_dword v39, off, s[56:59], 0 offset:196
	buffer_load_dword v40, off, s[56:59], 0 offset:200
	s_waitcnt vmcnt(3)
	v_fmac_f32_e32 v47, v37, v73
	s_waitcnt vmcnt(2)
	v_fmac_f32_e32 v45, v38, v70
	s_waitcnt vmcnt(1)
	v_fmac_f32_e32 v47, v39, v69
	s_waitcnt vmcnt(0)
	v_fmac_f32_e32 v45, v40, v68
	s_clause 0x3
	buffer_load_dword v37, off, s[56:59], 0 offset:172
	buffer_load_dword v38, off, s[56:59], 0 offset:176
	buffer_load_dword v39, off, s[56:59], 0 offset:180
	buffer_load_dword v40, off, s[56:59], 0 offset:184
	;; [unrolled: 13-line block ×10, first 2 shown]
	s_waitcnt vmcnt(3)
	v_fmac_f32_e32 v47, v1, v14
	s_waitcnt vmcnt(2)
	v_fmac_f32_e32 v45, v2, v13
	s_clause 0x1
	buffer_load_dword v1, off, s[56:59], 0 offset:36
	buffer_load_dword v2, off, s[56:59], 0 offset:40
	s_waitcnt vmcnt(3)
	v_fmac_f32_e32 v47, v3, v18
	s_waitcnt vmcnt(2)
	v_fmac_f32_e32 v45, v4, v17
	;; [unrolled: 2-line block ×4, first 2 shown]
	ds_read2_b64 v[1:4], v0 offset0:25 offset1:26
	s_waitcnt lgkmcnt(0)
	v_fmac_f32_e32 v47, v28, v1
	v_fmac_f32_e32 v45, v27, v2
	ds_read_b64 v[1:2], v0 offset:216
	v_fmac_f32_e32 v47, v29, v3
	v_fmac_f32_e32 v45, v25, v4
	s_waitcnt lgkmcnt(0)
	v_fmac_f32_e32 v47, v63, v1
	v_fmac_f32_e32 v45, v56, v2
	v_add_f32_e32 v1, v47, v45
	ds_bpermute_b32 v2, v55, v1
	s_and_saveexec_b32 s48, vcc_lo
	s_cbranch_execz .LBB211_11
; %bb.467:                              ;   in Loop: Header=BB211_13 Depth=1
	buffer_load_dword v3, off, s[56:59], 0 offset:236 ; 4-byte Folded Reload
	s_waitcnt lgkmcnt(0)
	v_add_f32_e32 v1, v1, v2
	buffer_load_dword v4, off, s[56:59], 0 offset:220 ; 4-byte Folded Reload
	s_waitcnt vmcnt(1)
	v_add_nc_u32_e32 v3, v3, v33
	v_cvt_f32_i32_e32 v3, v3
	v_mul_f32_e32 v3, s43, v3
	v_cndmask_b32_e64 v2, 0, v3, s1
	v_fmac_f32_e32 v2, s41, v1
	buffer_load_dword v1, off, s[56:59], 0 offset:232 ; 4-byte Folded Reload
	s_waitcnt vmcnt(1)
	v_max_f32_e32 v3, v4, v4
	v_max_f32_e32 v3, v3, v2
	s_waitcnt vmcnt(0)
	v_add_nc_u32_e32 v1, v1, v33
	v_cmp_gt_i32_e64 s2, s31, v1
	v_cndmask_b32_e64 v1, 0, v2, s2
	v_cndmask_b32_e64 v4, v4, v3, s2
	ds_write_b32 v36, v1
	buffer_store_dword v4, off, s[56:59], 0 offset:220 ; 4-byte Folded Spill
	s_branch .LBB211_11
.LBB211_468:
	s_or_b32 exec_lo, exec_lo, s46
	s_clause 0x2
	buffer_load_dword v12, off, s[56:59], 0 offset:244
	buffer_load_dword v13, off, s[56:59], 0 offset:248
	;; [unrolled: 1-line block ×3, first 2 shown]
.LBB211_469:
	s_or_b32 exec_lo, exec_lo, s45
	v_mbcnt_lo_u32_b32 v6, -1, 0
	v_xor_b32_e32 v0, 16, v6
	v_xor_b32_e32 v1, 8, v6
	v_cmp_gt_i32_e32 vcc_lo, 32, v0
	v_cndmask_b32_e32 v0, v6, v0, vcc_lo
	v_cmp_gt_i32_e32 vcc_lo, 32, v1
	s_waitcnt lgkmcnt(0)
	v_lshlrev_b32_e32 v2, 2, v0
	v_cndmask_b32_e32 v1, v6, v1, vcc_lo
	s_waitcnt vmcnt(0)
	ds_bpermute_b32 v0, v2, v3
	v_max_f32_e32 v3, v3, v3
	v_lshlrev_b32_e32 v4, 2, v1
	s_waitcnt lgkmcnt(0)
	v_max_f32_e32 v0, v0, v0
	v_max_f32_e32 v0, v3, v0
	v_xor_b32_e32 v3, 4, v6
	ds_bpermute_b32 v1, v4, v0
	v_cmp_gt_i32_e32 vcc_lo, 32, v3
	v_cndmask_b32_e32 v3, v6, v3, vcc_lo
	v_lshlrev_b32_e32 v5, 2, v3
	v_xor_b32_e32 v3, 2, v6
	v_cmp_gt_i32_e32 vcc_lo, 32, v3
	s_waitcnt lgkmcnt(0)
	v_max_f32_e32 v1, v1, v1
	v_cndmask_b32_e32 v3, v6, v3, vcc_lo
	buffer_load_dword v6, off, s[56:59], 0 offset:240 ; 4-byte Folded Reload
	v_max_f32_e32 v0, v0, v1
	v_lshlrev_b32_e32 v25, 2, v3
	ds_bpermute_b32 v1, v5, v0
	s_waitcnt lgkmcnt(0)
	v_max_f32_e32 v1, v1, v1
	v_max_f32_e32 v1, v0, v1
	v_and_b32_e32 v0, 31, v12
	ds_bpermute_b32 v3, v25, v1
	v_cmp_eq_u32_e32 vcc_lo, 0, v0
	s_waitcnt vmcnt(0)
	v_lshlrev_b32_e32 v6, 2, v6
	s_and_saveexec_b32 s1, vcc_lo
	s_cbranch_execz .LBB211_471
; %bb.470:
	s_waitcnt lgkmcnt(0)
	v_max_f32_e32 v3, v3, v3
	v_max_f32_e32 v1, v1, v1
	;; [unrolled: 1-line block ×3, first 2 shown]
	ds_write_b32 v6, v1 offset:448
.LBB211_471:
	s_or_b32 exec_lo, exec_lo, s1
	v_cmp_gt_u32_e64 s1, 4, v0
	v_mov_b32_e32 v1, 0xff7fffff
	v_lshlrev_b32_e32 v7, 2, v0
	s_waitcnt lgkmcnt(0)
	s_waitcnt_vscnt null, 0x0
	s_barrier
	buffer_gl0_inv
	s_and_saveexec_b32 s2, s1
; %bb.472:
	ds_read_b32 v1, v7 offset:448
; %bb.473:
	s_or_b32 exec_lo, exec_lo, s2
	s_waitcnt lgkmcnt(0)
	ds_bpermute_b32 v3, v25, v1
	v_mbcnt_lo_u32_b32 v9, -1, 0
	v_max_f32_e32 v1, v1, v1
	v_xor_b32_e32 v8, 1, v9
	v_cmp_gt_i32_e64 s2, 32, v8
	v_cndmask_b32_e64 v8, v9, v8, s2
	s_sub_i32 s2, s20, s44
	s_lshl_b32 s2, s2, 4
	s_waitcnt lgkmcnt(0)
	v_max_f32_e32 v3, v3, v3
	v_lshlrev_b32_e32 v26, 2, v8
	v_mov_b32_e32 v8, 0
	s_add_i32 s2, s2, s42
	s_min_i32 s2, s2, s31
	v_max_f32_e32 v1, v1, v3
	s_sub_i32 s4, s2, s42
	v_cmp_gt_i32_e64 s2, s4, v12
	ds_bpermute_b32 v3, v26, v1
	s_waitcnt lgkmcnt(0)
	v_max_f32_e32 v3, v3, v3
	v_max_f32_e32 v1, v1, v3
	v_lshl_add_u32 v3, v12, 2, 0x1e0
	ds_bpermute_b32 v1, v8, v1
	s_and_saveexec_b32 s5, s2
	s_cbranch_execz .LBB211_477
; %bb.474:
	v_lshl_add_u32 v9, v12, 2, 0x1e0
	v_mov_b32_e32 v8, 0
	v_mov_b32_e32 v10, v12
	s_mov_b32 s12, 0
	.p2align	6
.LBB211_475:                            ; =>This Inner Loop Header: Depth=1
	ds_read_b32 v11, v9
	v_add_nc_u32_e32 v10, 0x80, v10
	v_cmp_le_i32_e64 s3, s4, v10
	s_or_b32 s12, s3, s12
	s_waitcnt lgkmcnt(0)
	v_sub_f32_e32 v11, v11, v1
	v_mul_f32_e32 v11, 0x3fb8aa3b, v11
	v_exp_f32_e32 v11, v11
	ds_write_b32 v9, v11
	v_add_f32_e32 v8, v8, v11
	v_add_nc_u32_e32 v9, 0x200, v9
	s_andn2_b32 exec_lo, exec_lo, s12
	s_cbranch_execnz .LBB211_475
; %bb.476:
	s_or_b32 exec_lo, exec_lo, s12
.LBB211_477:
	s_or_b32 exec_lo, exec_lo, s5
	ds_bpermute_b32 v2, v2, v8
	s_waitcnt lgkmcnt(0)
	v_add_f32_e32 v2, v8, v2
	ds_bpermute_b32 v4, v4, v2
	s_waitcnt lgkmcnt(0)
	v_add_f32_e32 v2, v2, v4
	;; [unrolled: 3-line block ×5, first 2 shown]
	s_and_saveexec_b32 s3, vcc_lo
; %bb.478:
	ds_write_b32 v6, v2 offset:464
; %bb.479:
	s_or_b32 exec_lo, exec_lo, s3
	s_waitcnt lgkmcnt(0)
	s_barrier
	buffer_gl0_inv
	s_and_saveexec_b32 s3, s1
; %bb.480:
	ds_read_b32 v2, v7 offset:464
; %bb.481:
	s_or_b32 exec_lo, exec_lo, s3
	s_waitcnt lgkmcnt(0)
	ds_bpermute_b32 v4, v25, v2
	s_waitcnt lgkmcnt(0)
	v_add_f32_e32 v2, v2, v4
	ds_bpermute_b32 v4, v26, v2
	s_waitcnt lgkmcnt(0)
	v_add_f32_e32 v2, v2, v4
	v_mov_b32_e32 v4, 0
	ds_bpermute_b32 v2, v4, v2
	s_and_saveexec_b32 s1, s2
	s_cbranch_execz .LBB211_484
; %bb.482:
	s_waitcnt lgkmcnt(0)
	v_add_f32_e32 v4, 0x358637bd, v2
	s_mov_b32 s2, 0
	v_div_scale_f32 v5, null, v4, v4, 1.0
	v_div_scale_f32 v8, vcc_lo, 1.0, v4, 1.0
	v_rcp_f32_e32 v6, v5
	v_fma_f32 v7, -v5, v6, 1.0
	v_fmac_f32_e32 v6, v7, v6
	v_mul_f32_e32 v7, v8, v6
	v_fma_f32 v9, -v5, v7, v8
	v_fmac_f32_e32 v7, v9, v6
	v_fma_f32 v5, -v5, v7, v8
	v_div_fmas_f32 v5, v5, v6, v7
	v_div_fixup_f32 v4, v5, v4, 1.0
	v_mov_b32_e32 v5, v12
.LBB211_483:                            ; =>This Inner Loop Header: Depth=1
	ds_read_b32 v6, v3
	v_add_nc_u32_e32 v5, 0x80, v5
	v_cmp_le_i32_e32 vcc_lo, s4, v5
	s_or_b32 s2, vcc_lo, s2
	s_waitcnt lgkmcnt(0)
	v_mul_f32_e32 v6, v4, v6
	ds_write_b32 v3, v6
	v_add_nc_u32_e32 v3, 0x200, v3
	s_andn2_b32 exec_lo, exec_lo, s2
	s_cbranch_execnz .LBB211_483
.LBB211_484:
	s_or_b32 exec_lo, exec_lo, s1
	s_mul_i32 s1, s7, s30
	s_waitcnt lgkmcnt(0)
	s_mul_i32 s2, s1, s9
	s_mov_b32 s1, exec_lo
	s_barrier
	buffer_gl0_inv
	v_cmpx_eq_u32_e32 0, v12
	s_cbranch_execz .LBB211_486
; %bb.485:
	s_ashr_i32 s3, s2, 31
	s_mul_i32 s12, s7, s6
	s_lshl_b64 s[4:5], s[2:3], 2
	v_mov_b32_e32 v3, 0
	s_add_u32 s3, s26, s4
	s_addc_u32 s6, s27, s5
	s_ashr_i32 s13, s12, 31
	s_lshl_b64 s[12:13], s[12:13], 2
	s_add_u32 s3, s3, s12
	s_addc_u32 s6, s6, s13
	s_ashr_i32 s9, s8, 31
	s_lshl_b64 s[26:27], s[8:9], 2
	s_add_u32 s42, s3, s26
	s_addc_u32 s43, s6, s27
	s_add_u32 s3, s24, s4
	s_addc_u32 s4, s25, s5
	;; [unrolled: 2-line block ×4, first 2 shown]
	global_store_dword v3, v1, s[42:43]
	global_store_dword v3, v2, s[4:5]
.LBB211_486:
	s_or_b32 exec_lo, exec_lo, s1
	v_mov_b32_e32 v40, 0
	v_and_b32_e32 v27, 3, v12
	v_mov_b32_e32 v41, 0
	v_mov_b32_e32 v39, 0
	;; [unrolled: 1-line block ×13, first 2 shown]
	s_and_saveexec_b32 s1, s0
	s_cbranch_execz .LBB211_968
; %bb.487:
	s_sub_i32 s3, s40, s21
	s_ashr_i32 s0, s18, 31
	s_add_u32 s5, s38, s18
	s_addc_u32 s0, s39, s0
	s_abs_i32 s4, s22
	v_and_b32_e32 v3, 0x7c, v13
	v_cvt_f32_u32_e32 v1, s4
	s_sub_i32 s6, 0, s4
	v_lshlrev_b32_e32 v5, 4, v27
	s_lshl_b64 s[12:13], s[36:37], 2
	v_add_co_u32 v11, s5, s5, v3
	v_rcp_iflag_f32_e32 v4, v1
	v_lshlrev_b64 v[1:2], 2, v[49:50]
	s_add_i32 s33, s33, -1
	v_add_co_ci_u32_e64 v12, null, s0, 0, s5
	s_add_u32 s0, s34, s12
	v_and_b32_e32 v42, 12, v13
	s_addc_u32 s5, s35, s13
	v_add_co_u32 v13, vcc_lo, s0, v1
	v_mul_f32_e32 v4, 0x4f7ffffe, v4
	v_mov_b32_e32 v6, 0
	v_mov_b32_e32 v43, 0x80
	v_bfrev_b32_e32 v8, 1
	v_mov_b32_e32 v44, 0xffff
	v_cvt_u32_f32_e32 v4, v4
	v_mov_b32_e32 v10, 0x7f800001
	v_mov_b32_e32 v45, 0xff
	;; [unrolled: 1-line block ×4, first 2 shown]
	v_mul_lo_u32 v7, s6, v4
	v_mov_b32_e32 v28, 0
	v_mov_b32_e32 v29, 0
	;; [unrolled: 1-line block ×7, first 2 shown]
	v_mul_hi_u32 v3, v4, v7
	buffer_load_dword v7, off, s[56:59], 0 offset:240 ; 4-byte Folded Reload
	v_add_co_ci_u32_e64 v14, null, s5, v2, vcc_lo
	v_mov_b32_e32 v35, 0
	v_mov_b32_e32 v36, 0
	v_mov_b32_e32 v37, 0
	v_mov_b32_e32 v38, 0
	v_add_nc_u32_e32 v50, v4, v3
	v_mov_b32_e32 v39, 0
	v_mov_b32_e32 v41, 0
	;; [unrolled: 1-line block ×3, first 2 shown]
	s_mov_b32 s6, s17
	s_mov_b32 s5, 0
	s_waitcnt vmcnt(0)
	v_lshl_or_b32 v5, v7, 6, v5
	v_add_nc_u32_e32 v48, 0x1e0, v5
	s_branch .LBB211_490
.LBB211_488:                            ;   in Loop: Header=BB211_490 Depth=1
	s_or_b32 exec_lo, exec_lo, s0
	v_mul_f32_e32 v16, v1, v104
	v_mul_f32_e32 v17, v1, v102
	v_mul_f32_e32 v18, v1, v98
	v_mul_f32_e32 v19, v1, v94
	v_mul_f32_e32 v20, v1, v90
	v_fmac_f32_e32 v16, v2, v103
	v_fmac_f32_e32 v17, v2, v101
	v_fmac_f32_e32 v18, v2, v97
	v_fmac_f32_e32 v19, v2, v93
	v_fmac_f32_e32 v20, v2, v89
	v_fmac_f32_e32 v16, v3, v24
	v_fmac_f32_e32 v17, v3, v100
	v_fmac_f32_e32 v18, v3, v96
	v_fmac_f32_e32 v19, v3, v92
	v_fmac_f32_e32 v20, v3, v88
	v_fmac_f32_e32 v16, v4, v23
	v_fmac_f32_e32 v17, v4, v99
	v_fmac_f32_e32 v18, v4, v95
	v_fmac_f32_e32 v19, v4, v91
	v_fmac_f32_e32 v20, v4, v87
	v_add_f32_e32 v29, v29, v16
	v_add_f32_e32 v30, v30, v17
	;; [unrolled: 1-line block ×4, first 2 shown]
	v_mul_f32_e32 v16, v1, v86
	v_mul_f32_e32 v17, v1, v82
	;; [unrolled: 1-line block ×4, first 2 shown]
	v_add_f32_e32 v33, v33, v20
	v_fmac_f32_e32 v16, v2, v85
	v_fmac_f32_e32 v17, v2, v81
	;; [unrolled: 1-line block ×12, first 2 shown]
	v_add_f32_e32 v34, v34, v16
	v_add_f32_e32 v35, v35, v17
	;; [unrolled: 1-line block ×4, first 2 shown]
	v_mul_f32_e32 v16, v1, v70
	v_mul_f32_e32 v17, v1, v66
	;; [unrolled: 1-line block ×5, first 2 shown]
	v_fmac_f32_e32 v16, v2, v69
	v_fmac_f32_e32 v17, v2, v65
	;; [unrolled: 1-line block ×15, first 2 shown]
	v_add_f32_e32 v38, v38, v16
	v_add_f32_e32 v39, v39, v17
	;; [unrolled: 1-line block ×5, first 2 shown]
.LBB211_489:                            ;   in Loop: Header=BB211_490 Depth=1
	s_or_b32 exec_lo, exec_lo, s9
	v_add_nc_u32_e32 v49, 4, v49
	v_add_co_u32 v13, s0, v13, 16
	v_add_co_ci_u32_e64 v14, null, 0, v14, s0
	v_cmp_le_i32_e32 vcc_lo, s20, v49
	v_add_nc_u32_e32 v127, 64, v127
	v_add_nc_u32_e32 v48, 0x100, v48
	s_or_b32 s5, vcc_lo, s5
	s_andn2_b32 exec_lo, exec_lo, s5
	s_cbranch_execz .LBB211_967
.LBB211_490:                            ; =>This Inner Loop Header: Depth=1
	v_sub_nc_u32_e32 v1, 0, v127
	v_max_i32_e32 v1, v127, v1
	v_mul_hi_u32 v2, v1, s16
	v_mul_lo_u32 v3, v2, s11
	v_sub_nc_u32_e32 v1, v1, v3
	v_add_nc_u32_e32 v3, 1, v2
	v_subrev_nc_u32_e32 v4, s11, v1
	v_cmp_le_u32_e32 vcc_lo, s11, v1
	v_cndmask_b32_e32 v2, v2, v3, vcc_lo
	v_cndmask_b32_e32 v1, v1, v4, vcc_lo
	v_ashrrev_i32_e32 v3, 31, v127
	v_add_nc_u32_e32 v4, 1, v2
	v_cmp_le_u32_e32 vcc_lo, s11, v1
	v_xor_b32_e32 v3, s23, v3
	v_cndmask_b32_e32 v1, v2, v4, vcc_lo
	v_xor_b32_e32 v1, v1, v3
	v_sub_nc_u32_e32 v1, v1, v3
	v_add_nc_u32_e32 v2, s19, v1
	v_cmp_lt_i32_e64 s0, s3, v1
	v_sub_nc_u32_e32 v3, 0, v2
	v_max_i32_e32 v3, v2, v3
	v_ashrrev_i32_e32 v2, 31, v2
	v_mul_hi_u32 v4, v3, v50
	v_mul_lo_u32 v4, v4, s4
	v_sub_nc_u32_e32 v3, v3, v4
	v_subrev_nc_u32_e32 v4, s4, v3
	v_cmp_le_u32_e32 vcc_lo, s4, v3
	v_cndmask_b32_e32 v3, v3, v4, vcc_lo
	v_subrev_nc_u32_e32 v4, s4, v3
	v_cmp_le_u32_e32 vcc_lo, s4, v3
	v_cndmask_b32_e32 v3, v3, v4, vcc_lo
	v_xor_b32_e32 v3, v3, v2
	v_sub_nc_u32_e32 v2, v3, v2
	v_cmp_eq_u32_e32 vcc_lo, 0, v2
	s_or_b32 s0, vcc_lo, s0
	s_and_saveexec_b32 s9, s0
	s_cbranch_execz .LBB211_489
; %bb.491:                              ;   in Loop: Header=BB211_490 Depth=1
	global_load_dword v1, v[13:14], off
	s_load_dword s12, s[14:15], 0x0
	v_mov_b32_e32 v19, 0
	v_mov_b32_e32 v17, 0
	;; [unrolled: 1-line block ×4, first 2 shown]
	s_waitcnt vmcnt(0)
	v_mad_i64_i32 v[15:16], null, v1, s6, v[11:12]
	ds_read_b128 v[1:4], v48
	global_load_dword v51, v[15:16], off
	s_waitcnt vmcnt(0)
	v_cmp_ne_u16_sdwa s13, v51, v6 src0_sel:BYTE_0 src1_sel:DWORD
	s_and_saveexec_b32 s0, s13
	s_cbranch_execz .LBB211_499
; %bb.492:                              ;   in Loop: Header=BB211_490 Depth=1
	v_bfrev_b32_e32 v17, 1
	v_mov_b32_e32 v18, 0
	v_cmp_ne_u16_sdwa s17, v51, v43 src0_sel:BYTE_0 src1_sel:DWORD
	s_and_saveexec_b32 s13, s17
	s_cbranch_execz .LBB211_498
; %bb.493:                              ;   in Loop: Header=BB211_490 Depth=1
	v_mov_b32_e32 v17, 0x7f800001
	v_and_b32_e32 v9, 0x7f, v51
	v_mov_b32_e32 v18, 0
	s_mov_b32 s17, exec_lo
	v_cmpx_ne_u32_e32 0x7f, v9
	s_cbranch_execz .LBB211_497
; %bb.494:                              ;   in Loop: Header=BB211_490 Depth=1
	v_and_b32_e32 v5, 7, v51
	v_lshrrev_b32_e32 v7, 3, v9
	s_mov_b32 s18, exec_lo
	v_cmpx_gt_u32_e32 8, v9
; %bb.495:                              ;   in Loop: Header=BB211_490 Depth=1
	v_ffbh_u32_e32 v7, v5
	v_min_u32_e32 v7, 32, v7
	v_subrev_nc_u32_e32 v9, 28, v7
	v_sub_nc_u32_e32 v7, 29, v7
	v_lshlrev_b64 v[17:18], v9, v[5:6]
	v_and_b32_e32 v5, 7, v17
; %bb.496:                              ;   in Loop: Header=BB211_490 Depth=1
	s_or_b32 exec_lo, exec_lo, s18
	v_lshlrev_b32_e32 v9, 24, v51
	v_lshlrev_b32_e32 v5, 20, v5
	v_lshl_add_u32 v7, v7, 23, 0x3c000000
	v_and_b32_e32 v9, 0x80000000, v9
	v_or3_b32 v5, v5, v9, v7
	v_mov_b32_e32 v18, v6
	v_mov_b32_e32 v17, v5
.LBB211_497:                            ;   in Loop: Header=BB211_490 Depth=1
	s_or_b32 exec_lo, exec_lo, s17
.LBB211_498:                            ;   in Loop: Header=BB211_490 Depth=1
	s_or_b32 exec_lo, exec_lo, s13
.LBB211_499:                            ;   in Loop: Header=BB211_490 Depth=1
	s_or_b32 exec_lo, exec_lo, s0
	v_cmp_ne_u16_sdwa s13, v51, v6 src0_sel:BYTE_1 src1_sel:DWORD
	s_and_saveexec_b32 s0, s13
	s_cbranch_execz .LBB211_507
; %bb.500:                              ;   in Loop: Header=BB211_490 Depth=1
	v_mov_b32_e32 v7, v6
	v_mov_b32_e32 v20, v8
	v_cmp_ne_u16_sdwa s17, v51, v43 src0_sel:BYTE_1 src1_sel:DWORD
	v_mov_b32_e32 v19, v7
	s_and_saveexec_b32 s13, s17
	s_cbranch_execz .LBB211_506
; %bb.501:                              ;   in Loop: Header=BB211_490 Depth=1
	v_and_b32_sdwa v5, v44, v51 dst_sel:DWORD dst_unused:UNUSED_PAD src0_sel:DWORD src1_sel:BYTE_1
	v_mov_b32_e32 v9, v6
	v_mov_b32_e32 v20, v10
	s_mov_b32 s17, exec_lo
	v_and_b32_e32 v21, 0x7f, v5
	v_mov_b32_e32 v19, v9
	v_cmpx_ne_u32_e32 0x7f, v21
	s_cbranch_execz .LBB211_505
; %bb.502:                              ;   in Loop: Header=BB211_490 Depth=1
	v_and_b32_e32 v5, 7, v5
	v_lshrrev_b32_e32 v7, 3, v21
	s_mov_b32 s18, exec_lo
	v_cmpx_gt_u32_e32 8, v21
; %bb.503:                              ;   in Loop: Header=BB211_490 Depth=1
	v_ffbh_u32_e32 v7, v5
	v_min_u32_e32 v7, 32, v7
	v_subrev_nc_u32_e32 v9, 28, v7
	v_sub_nc_u32_e32 v7, 29, v7
	v_lshlrev_b64 v[19:20], v9, v[5:6]
	v_and_b32_e32 v5, 7, v19
; %bb.504:                              ;   in Loop: Header=BB211_490 Depth=1
	s_or_b32 exec_lo, exec_lo, s18
	v_lshlrev_b32_e32 v9, 16, v51
	v_lshlrev_b32_e32 v5, 20, v5
	v_lshl_add_u32 v7, v7, 23, 0x3c000000
	v_mov_b32_e32 v19, v6
	v_and_b32_e32 v9, 0x80000000, v9
	v_or3_b32 v20, v5, v9, v7
.LBB211_505:                            ;   in Loop: Header=BB211_490 Depth=1
	s_or_b32 exec_lo, exec_lo, s17
.LBB211_506:                            ;   in Loop: Header=BB211_490 Depth=1
	s_or_b32 exec_lo, exec_lo, s13
.LBB211_507:                            ;   in Loop: Header=BB211_490 Depth=1
	s_or_b32 exec_lo, exec_lo, s0
	v_mov_b32_e32 v23, 0
	v_mov_b32_e32 v21, 0
	v_and_b32_sdwa v5, v51, v45 dst_sel:DWORD dst_unused:UNUSED_PAD src0_sel:WORD_1 src1_sel:DWORD
	v_mov_b32_e32 v24, 0
	v_mov_b32_e32 v22, 0
	s_mov_b32 s0, exec_lo
	v_cmpx_ne_u16_e32 0, v5
	s_cbranch_execz .LBB211_515
; %bb.508:                              ;   in Loop: Header=BB211_490 Depth=1
	v_bfrev_b32_e32 v21, 1
	v_mov_b32_e32 v22, 0
	s_mov_b32 s13, exec_lo
	v_cmpx_ne_u16_e32 0x80, v5
	s_cbranch_execz .LBB211_514
; %bb.509:                              ;   in Loop: Header=BB211_490 Depth=1
	v_mov_b32_e32 v21, 0x7f800001
	v_bfe_u32 v9, v51, 16, 7
	v_mov_b32_e32 v22, 0
	s_mov_b32 s17, exec_lo
	v_cmpx_ne_u32_e32 0x7f, v9
	s_cbranch_execz .LBB211_513
; %bb.510:                              ;   in Loop: Header=BB211_490 Depth=1
	v_and_b32_sdwa v5, v51, v46 dst_sel:DWORD dst_unused:UNUSED_PAD src0_sel:WORD_1 src1_sel:DWORD
	v_lshrrev_b32_e32 v7, 3, v9
	s_mov_b32 s18, exec_lo
	v_cmpx_gt_u32_e32 8, v9
; %bb.511:                              ;   in Loop: Header=BB211_490 Depth=1
	v_ffbh_u32_e32 v7, v5
	v_min_u32_e32 v7, 32, v7
	v_subrev_nc_u32_e32 v9, 28, v7
	v_sub_nc_u32_e32 v7, 29, v7
	v_lshlrev_b64 v[21:22], v9, v[5:6]
	v_and_b32_e32 v5, 7, v21
; %bb.512:                              ;   in Loop: Header=BB211_490 Depth=1
	s_or_b32 exec_lo, exec_lo, s18
	v_lshlrev_b32_sdwa v9, v47, v51 dst_sel:DWORD dst_unused:UNUSED_PAD src0_sel:DWORD src1_sel:WORD_1
	v_lshlrev_b32_e32 v5, 20, v5
	v_lshl_add_u32 v7, v7, 23, 0x3c000000
	v_and_b32_e32 v9, 0x80000000, v9
	v_or3_b32 v5, v5, v9, v7
	v_mov_b32_e32 v22, v6
	v_mov_b32_e32 v21, v5
.LBB211_513:                            ;   in Loop: Header=BB211_490 Depth=1
	s_or_b32 exec_lo, exec_lo, s17
.LBB211_514:                            ;   in Loop: Header=BB211_490 Depth=1
	s_or_b32 exec_lo, exec_lo, s13
.LBB211_515:                            ;   in Loop: Header=BB211_490 Depth=1
	s_or_b32 exec_lo, exec_lo, s0
	s_mov_b32 s0, exec_lo
	v_cmpx_lt_u32_e32 0xffffff, v51
	s_cbranch_execz .LBB211_523
; %bb.516:                              ;   in Loop: Header=BB211_490 Depth=1
	v_mov_b32_e32 v7, v6
	v_mov_b32_e32 v24, v8
	v_cmp_ne_u32_sdwa s17, v51, v43 src0_sel:BYTE_3 src1_sel:DWORD
	v_mov_b32_e32 v23, v7
	s_and_saveexec_b32 s13, s17
	s_cbranch_execz .LBB211_522
; %bb.517:                              ;   in Loop: Header=BB211_490 Depth=1
	v_mov_b32_e32 v9, v6
	v_mov_b32_e32 v24, v10
	v_bfe_u32 v52, v51, 24, 7
	s_mov_b32 s17, exec_lo
	v_mov_b32_e32 v23, v9
	v_cmpx_ne_u32_e32 0x7f, v52
	s_cbranch_execz .LBB211_521
; %bb.518:                              ;   in Loop: Header=BB211_490 Depth=1
	v_and_b32_sdwa v5, v51, v46 dst_sel:DWORD dst_unused:UNUSED_PAD src0_sel:BYTE_3 src1_sel:DWORD
	v_lshrrev_b32_e32 v7, 3, v52
	s_mov_b32 s18, exec_lo
	v_cmpx_gt_u32_e32 8, v52
; %bb.519:                              ;   in Loop: Header=BB211_490 Depth=1
	v_ffbh_u32_e32 v7, v5
	v_min_u32_e32 v7, 32, v7
	v_subrev_nc_u32_e32 v9, 28, v7
	v_sub_nc_u32_e32 v7, 29, v7
	v_lshlrev_b64 v[23:24], v9, v[5:6]
	v_and_b32_e32 v5, 7, v23
; %bb.520:                              ;   in Loop: Header=BB211_490 Depth=1
	s_or_b32 exec_lo, exec_lo, s18
	v_lshlrev_b32_sdwa v9, v47, v51 dst_sel:DWORD dst_unused:UNUSED_PAD src0_sel:DWORD src1_sel:BYTE_3
	v_lshlrev_b32_e32 v5, 20, v5
	v_lshl_add_u32 v7, v7, 23, 0x3c000000
	v_mov_b32_e32 v23, v6
	v_and_b32_e32 v9, 0x80000000, v9
	v_or3_b32 v24, v5, v9, v7
.LBB211_521:                            ;   in Loop: Header=BB211_490 Depth=1
	s_or_b32 exec_lo, exec_lo, s17
.LBB211_522:                            ;   in Loop: Header=BB211_490 Depth=1
	s_or_b32 exec_lo, exec_lo, s13
.LBB211_523:                            ;   in Loop: Header=BB211_490 Depth=1
	s_or_b32 exec_lo, exec_lo, s0
	v_add_nc_u32_e32 v55, v42, v127
	v_or_b32_e32 v5, v20, v18
	v_or_b32_e32 v7, v19, v17
	;; [unrolled: 1-line block ×4, first 2 shown]
	v_cmp_eq_u32_e32 vcc_lo, s33, v49
	s_waitcnt lgkmcnt(0)
	v_mul_f32_e32 v53, s12, v5
	v_mul_f32_e32 v54, s12, v7
	;; [unrolled: 1-line block ×4, first 2 shown]
	v_add_nc_u32_e32 v58, 1, v55
	v_add_nc_u32_e32 v57, 2, v55
	;; [unrolled: 1-line block ×3, first 2 shown]
	s_and_saveexec_b32 s13, vcc_lo
	s_cbranch_execz .LBB211_525
; %bb.524:                              ;   in Loop: Header=BB211_490 Depth=1
	v_cmp_gt_i32_e64 s0, s31, v55
	v_cndmask_b32_e64 v54, 0, v54, s0
	v_cmp_gt_i32_e64 s0, s31, v58
	v_cndmask_b32_e64 v53, 0, v53, s0
	;; [unrolled: 2-line block ×4, first 2 shown]
.LBB211_525:                            ;   in Loop: Header=BB211_490 Depth=1
	s_or_b32 exec_lo, exec_lo, s13
	global_load_dword v59, v[15:16], off offset:128
	v_mov_b32_e32 v19, 0
	v_mov_b32_e32 v17, 0
	;; [unrolled: 1-line block ×4, first 2 shown]
	s_waitcnt vmcnt(0)
	v_cmp_ne_u16_sdwa s0, v59, v6 src0_sel:BYTE_0 src1_sel:DWORD
	s_and_saveexec_b32 s13, s0
	s_cbranch_execz .LBB211_533
; %bb.526:                              ;   in Loop: Header=BB211_490 Depth=1
	v_bfrev_b32_e32 v17, 1
	v_mov_b32_e32 v18, 0
	v_cmp_ne_u16_sdwa s0, v59, v43 src0_sel:BYTE_0 src1_sel:DWORD
	s_and_saveexec_b32 s17, s0
	s_cbranch_execz .LBB211_532
; %bb.527:                              ;   in Loop: Header=BB211_490 Depth=1
	v_mov_b32_e32 v17, 0x7f800001
	v_and_b32_e32 v9, 0x7f, v59
	v_mov_b32_e32 v18, 0
	s_mov_b32 s18, exec_lo
	v_cmpx_ne_u32_e32 0x7f, v9
	s_cbranch_execz .LBB211_531
; %bb.528:                              ;   in Loop: Header=BB211_490 Depth=1
	v_and_b32_e32 v5, 7, v59
	v_lshrrev_b32_e32 v7, 3, v9
	s_mov_b32 s21, exec_lo
	v_cmpx_gt_u32_e32 8, v9
; %bb.529:                              ;   in Loop: Header=BB211_490 Depth=1
	v_ffbh_u32_e32 v7, v5
	v_min_u32_e32 v7, 32, v7
	v_subrev_nc_u32_e32 v9, 28, v7
	v_sub_nc_u32_e32 v7, 29, v7
	v_lshlrev_b64 v[17:18], v9, v[5:6]
	v_and_b32_e32 v5, 7, v17
; %bb.530:                              ;   in Loop: Header=BB211_490 Depth=1
	s_or_b32 exec_lo, exec_lo, s21
	v_lshlrev_b32_e32 v9, 24, v59
	v_lshlrev_b32_e32 v5, 20, v5
	v_lshl_add_u32 v7, v7, 23, 0x3c000000
	v_and_b32_e32 v9, 0x80000000, v9
	v_or3_b32 v5, v5, v9, v7
	v_mov_b32_e32 v18, v6
	v_mov_b32_e32 v17, v5
.LBB211_531:                            ;   in Loop: Header=BB211_490 Depth=1
	s_or_b32 exec_lo, exec_lo, s18
.LBB211_532:                            ;   in Loop: Header=BB211_490 Depth=1
	s_or_b32 exec_lo, exec_lo, s17
.LBB211_533:                            ;   in Loop: Header=BB211_490 Depth=1
	s_or_b32 exec_lo, exec_lo, s13
	v_cmp_ne_u16_sdwa s0, v59, v6 src0_sel:BYTE_1 src1_sel:DWORD
	s_and_saveexec_b32 s13, s0
	s_cbranch_execz .LBB211_541
; %bb.534:                              ;   in Loop: Header=BB211_490 Depth=1
	v_mov_b32_e32 v7, v6
	v_mov_b32_e32 v20, v8
	v_cmp_ne_u16_sdwa s0, v59, v43 src0_sel:BYTE_1 src1_sel:DWORD
	v_mov_b32_e32 v19, v7
	s_and_saveexec_b32 s17, s0
	s_cbranch_execz .LBB211_540
; %bb.535:                              ;   in Loop: Header=BB211_490 Depth=1
	v_and_b32_sdwa v5, v44, v59 dst_sel:DWORD dst_unused:UNUSED_PAD src0_sel:DWORD src1_sel:BYTE_1
	v_mov_b32_e32 v9, v6
	v_mov_b32_e32 v20, v10
	s_mov_b32 s18, exec_lo
	v_and_b32_e32 v21, 0x7f, v5
	v_mov_b32_e32 v19, v9
	v_cmpx_ne_u32_e32 0x7f, v21
	s_cbranch_execz .LBB211_539
; %bb.536:                              ;   in Loop: Header=BB211_490 Depth=1
	v_and_b32_e32 v5, 7, v5
	v_lshrrev_b32_e32 v7, 3, v21
	s_mov_b32 s21, exec_lo
	v_cmpx_gt_u32_e32 8, v21
; %bb.537:                              ;   in Loop: Header=BB211_490 Depth=1
	v_ffbh_u32_e32 v7, v5
	v_min_u32_e32 v7, 32, v7
	v_subrev_nc_u32_e32 v9, 28, v7
	v_sub_nc_u32_e32 v7, 29, v7
	v_lshlrev_b64 v[19:20], v9, v[5:6]
	v_and_b32_e32 v5, 7, v19
; %bb.538:                              ;   in Loop: Header=BB211_490 Depth=1
	s_or_b32 exec_lo, exec_lo, s21
	v_lshlrev_b32_e32 v9, 16, v59
	v_lshlrev_b32_e32 v5, 20, v5
	v_lshl_add_u32 v7, v7, 23, 0x3c000000
	v_mov_b32_e32 v19, v6
	v_and_b32_e32 v9, 0x80000000, v9
	v_or3_b32 v20, v5, v9, v7
.LBB211_539:                            ;   in Loop: Header=BB211_490 Depth=1
	s_or_b32 exec_lo, exec_lo, s18
.LBB211_540:                            ;   in Loop: Header=BB211_490 Depth=1
	s_or_b32 exec_lo, exec_lo, s17
.LBB211_541:                            ;   in Loop: Header=BB211_490 Depth=1
	s_or_b32 exec_lo, exec_lo, s13
	v_mov_b32_e32 v23, 0
	v_mov_b32_e32 v21, 0
	v_and_b32_sdwa v5, v59, v45 dst_sel:DWORD dst_unused:UNUSED_PAD src0_sel:WORD_1 src1_sel:DWORD
	v_mov_b32_e32 v24, 0
	v_mov_b32_e32 v22, 0
	s_mov_b32 s13, exec_lo
	v_cmpx_ne_u16_e32 0, v5
	s_cbranch_execz .LBB211_549
; %bb.542:                              ;   in Loop: Header=BB211_490 Depth=1
	v_bfrev_b32_e32 v21, 1
	v_mov_b32_e32 v22, 0
	s_mov_b32 s17, exec_lo
	v_cmpx_ne_u16_e32 0x80, v5
	s_cbranch_execz .LBB211_548
; %bb.543:                              ;   in Loop: Header=BB211_490 Depth=1
	v_mov_b32_e32 v21, 0x7f800001
	v_bfe_u32 v9, v59, 16, 7
	v_mov_b32_e32 v22, 0
	s_mov_b32 s18, exec_lo
	v_cmpx_ne_u32_e32 0x7f, v9
	s_cbranch_execz .LBB211_547
; %bb.544:                              ;   in Loop: Header=BB211_490 Depth=1
	v_and_b32_sdwa v5, v59, v46 dst_sel:DWORD dst_unused:UNUSED_PAD src0_sel:WORD_1 src1_sel:DWORD
	v_lshrrev_b32_e32 v7, 3, v9
	s_mov_b32 s21, exec_lo
	v_cmpx_gt_u32_e32 8, v9
; %bb.545:                              ;   in Loop: Header=BB211_490 Depth=1
	v_ffbh_u32_e32 v7, v5
	v_min_u32_e32 v7, 32, v7
	v_subrev_nc_u32_e32 v9, 28, v7
	v_sub_nc_u32_e32 v7, 29, v7
	v_lshlrev_b64 v[21:22], v9, v[5:6]
	v_and_b32_e32 v5, 7, v21
; %bb.546:                              ;   in Loop: Header=BB211_490 Depth=1
	s_or_b32 exec_lo, exec_lo, s21
	v_lshlrev_b32_sdwa v9, v47, v59 dst_sel:DWORD dst_unused:UNUSED_PAD src0_sel:DWORD src1_sel:WORD_1
	v_lshlrev_b32_e32 v5, 20, v5
	v_lshl_add_u32 v7, v7, 23, 0x3c000000
	v_and_b32_e32 v9, 0x80000000, v9
	v_or3_b32 v5, v5, v9, v7
	v_mov_b32_e32 v22, v6
	v_mov_b32_e32 v21, v5
.LBB211_547:                            ;   in Loop: Header=BB211_490 Depth=1
	s_or_b32 exec_lo, exec_lo, s18
.LBB211_548:                            ;   in Loop: Header=BB211_490 Depth=1
	s_or_b32 exec_lo, exec_lo, s17
.LBB211_549:                            ;   in Loop: Header=BB211_490 Depth=1
	s_or_b32 exec_lo, exec_lo, s13
	s_mov_b32 s13, exec_lo
	v_cmpx_lt_u32_e32 0xffffff, v59
	s_cbranch_execz .LBB211_557
; %bb.550:                              ;   in Loop: Header=BB211_490 Depth=1
	v_mov_b32_e32 v7, v6
	v_mov_b32_e32 v24, v8
	v_cmp_ne_u32_sdwa s0, v59, v43 src0_sel:BYTE_3 src1_sel:DWORD
	v_mov_b32_e32 v23, v7
	s_and_saveexec_b32 s17, s0
	s_cbranch_execz .LBB211_556
; %bb.551:                              ;   in Loop: Header=BB211_490 Depth=1
	v_mov_b32_e32 v9, v6
	v_mov_b32_e32 v24, v10
	v_bfe_u32 v60, v59, 24, 7
	s_mov_b32 s18, exec_lo
	v_mov_b32_e32 v23, v9
	v_cmpx_ne_u32_e32 0x7f, v60
	s_cbranch_execz .LBB211_555
; %bb.552:                              ;   in Loop: Header=BB211_490 Depth=1
	v_and_b32_sdwa v5, v59, v46 dst_sel:DWORD dst_unused:UNUSED_PAD src0_sel:BYTE_3 src1_sel:DWORD
	v_lshrrev_b32_e32 v7, 3, v60
	s_mov_b32 s21, exec_lo
	v_cmpx_gt_u32_e32 8, v60
; %bb.553:                              ;   in Loop: Header=BB211_490 Depth=1
	v_ffbh_u32_e32 v7, v5
	v_min_u32_e32 v7, 32, v7
	v_subrev_nc_u32_e32 v9, 28, v7
	v_sub_nc_u32_e32 v7, 29, v7
	v_lshlrev_b64 v[23:24], v9, v[5:6]
	v_and_b32_e32 v5, 7, v23
; %bb.554:                              ;   in Loop: Header=BB211_490 Depth=1
	s_or_b32 exec_lo, exec_lo, s21
	v_lshlrev_b32_sdwa v9, v47, v59 dst_sel:DWORD dst_unused:UNUSED_PAD src0_sel:DWORD src1_sel:BYTE_3
	v_lshlrev_b32_e32 v5, 20, v5
	v_lshl_add_u32 v7, v7, 23, 0x3c000000
	v_mov_b32_e32 v23, v6
	v_and_b32_e32 v9, 0x80000000, v9
	v_or3_b32 v24, v5, v9, v7
.LBB211_555:                            ;   in Loop: Header=BB211_490 Depth=1
	s_or_b32 exec_lo, exec_lo, s18
.LBB211_556:                            ;   in Loop: Header=BB211_490 Depth=1
	s_or_b32 exec_lo, exec_lo, s17
.LBB211_557:                            ;   in Loop: Header=BB211_490 Depth=1
	s_or_b32 exec_lo, exec_lo, s13
	v_or_b32_e32 v5, v20, v18
	v_or_b32_e32 v7, v19, v17
	;; [unrolled: 1-line block ×4, first 2 shown]
	s_mov_b32 s13, s12
	v_mul_f32_e32 v61, s13, v5
	v_mul_f32_e32 v62, s12, v7
	;; [unrolled: 1-line block ×4, first 2 shown]
	s_and_saveexec_b32 s17, vcc_lo
	s_cbranch_execz .LBB211_559
; %bb.558:                              ;   in Loop: Header=BB211_490 Depth=1
	v_cmp_gt_i32_e64 s0, s31, v55
	v_cndmask_b32_e64 v62, 0, v62, s0
	v_cmp_gt_i32_e64 s0, s31, v58
	v_cndmask_b32_e64 v61, 0, v61, s0
	;; [unrolled: 2-line block ×4, first 2 shown]
.LBB211_559:                            ;   in Loop: Header=BB211_490 Depth=1
	s_or_b32 exec_lo, exec_lo, s17
	global_load_dword v63, v[15:16], off offset:256
	v_mov_b32_e32 v19, 0
	v_mov_b32_e32 v17, 0
	;; [unrolled: 1-line block ×4, first 2 shown]
	s_waitcnt vmcnt(0)
	v_cmp_ne_u16_sdwa s0, v63, v6 src0_sel:BYTE_0 src1_sel:DWORD
	s_and_saveexec_b32 s17, s0
	s_cbranch_execz .LBB211_567
; %bb.560:                              ;   in Loop: Header=BB211_490 Depth=1
	v_bfrev_b32_e32 v17, 1
	v_mov_b32_e32 v18, 0
	v_cmp_ne_u16_sdwa s0, v63, v43 src0_sel:BYTE_0 src1_sel:DWORD
	s_and_saveexec_b32 s18, s0
	s_cbranch_execz .LBB211_566
; %bb.561:                              ;   in Loop: Header=BB211_490 Depth=1
	v_mov_b32_e32 v17, 0x7f800001
	v_and_b32_e32 v9, 0x7f, v63
	v_mov_b32_e32 v18, 0
	s_mov_b32 s21, exec_lo
	v_cmpx_ne_u32_e32 0x7f, v9
	s_cbranch_execz .LBB211_565
; %bb.562:                              ;   in Loop: Header=BB211_490 Depth=1
	v_and_b32_e32 v5, 7, v63
	v_lshrrev_b32_e32 v7, 3, v9
	s_mov_b32 s22, exec_lo
	v_cmpx_gt_u32_e32 8, v9
; %bb.563:                              ;   in Loop: Header=BB211_490 Depth=1
	v_ffbh_u32_e32 v7, v5
	v_min_u32_e32 v7, 32, v7
	v_subrev_nc_u32_e32 v9, 28, v7
	v_sub_nc_u32_e32 v7, 29, v7
	v_lshlrev_b64 v[17:18], v9, v[5:6]
	v_and_b32_e32 v5, 7, v17
; %bb.564:                              ;   in Loop: Header=BB211_490 Depth=1
	s_or_b32 exec_lo, exec_lo, s22
	v_lshlrev_b32_e32 v9, 24, v63
	v_lshlrev_b32_e32 v5, 20, v5
	v_lshl_add_u32 v7, v7, 23, 0x3c000000
	v_and_b32_e32 v9, 0x80000000, v9
	v_or3_b32 v5, v5, v9, v7
	v_mov_b32_e32 v18, v6
	v_mov_b32_e32 v17, v5
.LBB211_565:                            ;   in Loop: Header=BB211_490 Depth=1
	s_or_b32 exec_lo, exec_lo, s21
.LBB211_566:                            ;   in Loop: Header=BB211_490 Depth=1
	s_or_b32 exec_lo, exec_lo, s18
.LBB211_567:                            ;   in Loop: Header=BB211_490 Depth=1
	s_or_b32 exec_lo, exec_lo, s17
	v_cmp_ne_u16_sdwa s0, v63, v6 src0_sel:BYTE_1 src1_sel:DWORD
	s_and_saveexec_b32 s17, s0
	s_cbranch_execz .LBB211_575
; %bb.568:                              ;   in Loop: Header=BB211_490 Depth=1
	v_mov_b32_e32 v7, v6
	v_mov_b32_e32 v20, v8
	v_cmp_ne_u16_sdwa s0, v63, v43 src0_sel:BYTE_1 src1_sel:DWORD
	v_mov_b32_e32 v19, v7
	s_and_saveexec_b32 s18, s0
	s_cbranch_execz .LBB211_574
; %bb.569:                              ;   in Loop: Header=BB211_490 Depth=1
	v_and_b32_sdwa v5, v44, v63 dst_sel:DWORD dst_unused:UNUSED_PAD src0_sel:DWORD src1_sel:BYTE_1
	v_mov_b32_e32 v9, v6
	v_mov_b32_e32 v20, v10
	s_mov_b32 s21, exec_lo
	v_and_b32_e32 v21, 0x7f, v5
	v_mov_b32_e32 v19, v9
	v_cmpx_ne_u32_e32 0x7f, v21
	s_cbranch_execz .LBB211_573
; %bb.570:                              ;   in Loop: Header=BB211_490 Depth=1
	v_and_b32_e32 v5, 7, v5
	v_lshrrev_b32_e32 v7, 3, v21
	s_mov_b32 s22, exec_lo
	v_cmpx_gt_u32_e32 8, v21
; %bb.571:                              ;   in Loop: Header=BB211_490 Depth=1
	v_ffbh_u32_e32 v7, v5
	v_min_u32_e32 v7, 32, v7
	v_subrev_nc_u32_e32 v9, 28, v7
	v_sub_nc_u32_e32 v7, 29, v7
	v_lshlrev_b64 v[19:20], v9, v[5:6]
	v_and_b32_e32 v5, 7, v19
; %bb.572:                              ;   in Loop: Header=BB211_490 Depth=1
	s_or_b32 exec_lo, exec_lo, s22
	v_lshlrev_b32_e32 v9, 16, v63
	v_lshlrev_b32_e32 v5, 20, v5
	v_lshl_add_u32 v7, v7, 23, 0x3c000000
	v_mov_b32_e32 v19, v6
	v_and_b32_e32 v9, 0x80000000, v9
	v_or3_b32 v20, v5, v9, v7
.LBB211_573:                            ;   in Loop: Header=BB211_490 Depth=1
	s_or_b32 exec_lo, exec_lo, s21
.LBB211_574:                            ;   in Loop: Header=BB211_490 Depth=1
	s_or_b32 exec_lo, exec_lo, s18
.LBB211_575:                            ;   in Loop: Header=BB211_490 Depth=1
	s_or_b32 exec_lo, exec_lo, s17
	v_mov_b32_e32 v23, 0
	v_mov_b32_e32 v21, 0
	v_and_b32_sdwa v5, v63, v45 dst_sel:DWORD dst_unused:UNUSED_PAD src0_sel:WORD_1 src1_sel:DWORD
	v_mov_b32_e32 v24, 0
	v_mov_b32_e32 v22, 0
	s_mov_b32 s17, exec_lo
	v_cmpx_ne_u16_e32 0, v5
	s_cbranch_execz .LBB211_583
; %bb.576:                              ;   in Loop: Header=BB211_490 Depth=1
	v_bfrev_b32_e32 v21, 1
	v_mov_b32_e32 v22, 0
	s_mov_b32 s18, exec_lo
	v_cmpx_ne_u16_e32 0x80, v5
	s_cbranch_execz .LBB211_582
; %bb.577:                              ;   in Loop: Header=BB211_490 Depth=1
	v_mov_b32_e32 v21, 0x7f800001
	v_bfe_u32 v9, v63, 16, 7
	v_mov_b32_e32 v22, 0
	s_mov_b32 s21, exec_lo
	v_cmpx_ne_u32_e32 0x7f, v9
	s_cbranch_execz .LBB211_581
; %bb.578:                              ;   in Loop: Header=BB211_490 Depth=1
	v_and_b32_sdwa v5, v63, v46 dst_sel:DWORD dst_unused:UNUSED_PAD src0_sel:WORD_1 src1_sel:DWORD
	v_lshrrev_b32_e32 v7, 3, v9
	s_mov_b32 s22, exec_lo
	v_cmpx_gt_u32_e32 8, v9
; %bb.579:                              ;   in Loop: Header=BB211_490 Depth=1
	v_ffbh_u32_e32 v7, v5
	v_min_u32_e32 v7, 32, v7
	v_subrev_nc_u32_e32 v9, 28, v7
	v_sub_nc_u32_e32 v7, 29, v7
	v_lshlrev_b64 v[21:22], v9, v[5:6]
	v_and_b32_e32 v5, 7, v21
; %bb.580:                              ;   in Loop: Header=BB211_490 Depth=1
	s_or_b32 exec_lo, exec_lo, s22
	v_lshlrev_b32_sdwa v9, v47, v63 dst_sel:DWORD dst_unused:UNUSED_PAD src0_sel:DWORD src1_sel:WORD_1
	v_lshlrev_b32_e32 v5, 20, v5
	v_lshl_add_u32 v7, v7, 23, 0x3c000000
	v_and_b32_e32 v9, 0x80000000, v9
	v_or3_b32 v5, v5, v9, v7
	v_mov_b32_e32 v22, v6
	v_mov_b32_e32 v21, v5
.LBB211_581:                            ;   in Loop: Header=BB211_490 Depth=1
	s_or_b32 exec_lo, exec_lo, s21
.LBB211_582:                            ;   in Loop: Header=BB211_490 Depth=1
	s_or_b32 exec_lo, exec_lo, s18
.LBB211_583:                            ;   in Loop: Header=BB211_490 Depth=1
	s_or_b32 exec_lo, exec_lo, s17
	s_mov_b32 s17, exec_lo
	v_cmpx_lt_u32_e32 0xffffff, v63
	s_cbranch_execz .LBB211_591
; %bb.584:                              ;   in Loop: Header=BB211_490 Depth=1
	v_mov_b32_e32 v7, v6
	v_mov_b32_e32 v24, v8
	v_cmp_ne_u32_sdwa s0, v63, v43 src0_sel:BYTE_3 src1_sel:DWORD
	v_mov_b32_e32 v23, v7
	s_and_saveexec_b32 s18, s0
	s_cbranch_execz .LBB211_590
; %bb.585:                              ;   in Loop: Header=BB211_490 Depth=1
	v_mov_b32_e32 v9, v6
	v_mov_b32_e32 v24, v10
	v_bfe_u32 v64, v63, 24, 7
	s_mov_b32 s21, exec_lo
	v_mov_b32_e32 v23, v9
	v_cmpx_ne_u32_e32 0x7f, v64
	s_cbranch_execz .LBB211_589
; %bb.586:                              ;   in Loop: Header=BB211_490 Depth=1
	v_and_b32_sdwa v5, v63, v46 dst_sel:DWORD dst_unused:UNUSED_PAD src0_sel:BYTE_3 src1_sel:DWORD
	v_lshrrev_b32_e32 v7, 3, v64
	s_mov_b32 s22, exec_lo
	v_cmpx_gt_u32_e32 8, v64
; %bb.587:                              ;   in Loop: Header=BB211_490 Depth=1
	v_ffbh_u32_e32 v7, v5
	v_min_u32_e32 v7, 32, v7
	v_subrev_nc_u32_e32 v9, 28, v7
	v_sub_nc_u32_e32 v7, 29, v7
	v_lshlrev_b64 v[23:24], v9, v[5:6]
	v_and_b32_e32 v5, 7, v23
; %bb.588:                              ;   in Loop: Header=BB211_490 Depth=1
	s_or_b32 exec_lo, exec_lo, s22
	v_lshlrev_b32_sdwa v9, v47, v63 dst_sel:DWORD dst_unused:UNUSED_PAD src0_sel:DWORD src1_sel:BYTE_3
	v_lshlrev_b32_e32 v5, 20, v5
	v_lshl_add_u32 v7, v7, 23, 0x3c000000
	v_mov_b32_e32 v23, v6
	v_and_b32_e32 v9, 0x80000000, v9
	v_or3_b32 v24, v5, v9, v7
.LBB211_589:                            ;   in Loop: Header=BB211_490 Depth=1
	s_or_b32 exec_lo, exec_lo, s21
.LBB211_590:                            ;   in Loop: Header=BB211_490 Depth=1
	s_or_b32 exec_lo, exec_lo, s18
.LBB211_591:                            ;   in Loop: Header=BB211_490 Depth=1
	s_or_b32 exec_lo, exec_lo, s17
	v_or_b32_e32 v5, v20, v18
	v_or_b32_e32 v7, v19, v17
	;; [unrolled: 1-line block ×4, first 2 shown]
	v_mul_f32_e32 v65, s13, v5
	v_mul_f32_e32 v66, s12, v7
	;; [unrolled: 1-line block ×4, first 2 shown]
	s_and_saveexec_b32 s17, vcc_lo
	s_cbranch_execz .LBB211_593
; %bb.592:                              ;   in Loop: Header=BB211_490 Depth=1
	v_cmp_gt_i32_e64 s0, s31, v55
	v_cndmask_b32_e64 v66, 0, v66, s0
	v_cmp_gt_i32_e64 s0, s31, v58
	v_cndmask_b32_e64 v65, 0, v65, s0
	;; [unrolled: 2-line block ×4, first 2 shown]
.LBB211_593:                            ;   in Loop: Header=BB211_490 Depth=1
	s_or_b32 exec_lo, exec_lo, s17
	global_load_dword v67, v[15:16], off offset:384
	v_mov_b32_e32 v19, 0
	v_mov_b32_e32 v17, 0
	;; [unrolled: 1-line block ×4, first 2 shown]
	s_waitcnt vmcnt(0)
	v_cmp_ne_u16_sdwa s0, v67, v6 src0_sel:BYTE_0 src1_sel:DWORD
	s_and_saveexec_b32 s17, s0
	s_cbranch_execz .LBB211_601
; %bb.594:                              ;   in Loop: Header=BB211_490 Depth=1
	v_bfrev_b32_e32 v17, 1
	v_mov_b32_e32 v18, 0
	v_cmp_ne_u16_sdwa s0, v67, v43 src0_sel:BYTE_0 src1_sel:DWORD
	s_and_saveexec_b32 s18, s0
	s_cbranch_execz .LBB211_600
; %bb.595:                              ;   in Loop: Header=BB211_490 Depth=1
	v_mov_b32_e32 v17, 0x7f800001
	v_and_b32_e32 v9, 0x7f, v67
	v_mov_b32_e32 v18, 0
	s_mov_b32 s21, exec_lo
	v_cmpx_ne_u32_e32 0x7f, v9
	s_cbranch_execz .LBB211_599
; %bb.596:                              ;   in Loop: Header=BB211_490 Depth=1
	v_and_b32_e32 v5, 7, v67
	v_lshrrev_b32_e32 v7, 3, v9
	s_mov_b32 s22, exec_lo
	v_cmpx_gt_u32_e32 8, v9
; %bb.597:                              ;   in Loop: Header=BB211_490 Depth=1
	v_ffbh_u32_e32 v7, v5
	v_min_u32_e32 v7, 32, v7
	v_subrev_nc_u32_e32 v9, 28, v7
	v_sub_nc_u32_e32 v7, 29, v7
	v_lshlrev_b64 v[17:18], v9, v[5:6]
	v_and_b32_e32 v5, 7, v17
; %bb.598:                              ;   in Loop: Header=BB211_490 Depth=1
	s_or_b32 exec_lo, exec_lo, s22
	v_lshlrev_b32_e32 v9, 24, v67
	v_lshlrev_b32_e32 v5, 20, v5
	v_lshl_add_u32 v7, v7, 23, 0x3c000000
	v_and_b32_e32 v9, 0x80000000, v9
	v_or3_b32 v5, v5, v9, v7
	v_mov_b32_e32 v18, v6
	v_mov_b32_e32 v17, v5
.LBB211_599:                            ;   in Loop: Header=BB211_490 Depth=1
	s_or_b32 exec_lo, exec_lo, s21
.LBB211_600:                            ;   in Loop: Header=BB211_490 Depth=1
	s_or_b32 exec_lo, exec_lo, s18
.LBB211_601:                            ;   in Loop: Header=BB211_490 Depth=1
	s_or_b32 exec_lo, exec_lo, s17
	v_cmp_ne_u16_sdwa s0, v67, v6 src0_sel:BYTE_1 src1_sel:DWORD
	s_and_saveexec_b32 s17, s0
	s_cbranch_execz .LBB211_609
; %bb.602:                              ;   in Loop: Header=BB211_490 Depth=1
	v_mov_b32_e32 v7, v6
	v_mov_b32_e32 v20, v8
	v_cmp_ne_u16_sdwa s0, v67, v43 src0_sel:BYTE_1 src1_sel:DWORD
	v_mov_b32_e32 v19, v7
	s_and_saveexec_b32 s18, s0
	s_cbranch_execz .LBB211_608
; %bb.603:                              ;   in Loop: Header=BB211_490 Depth=1
	v_and_b32_sdwa v5, v44, v67 dst_sel:DWORD dst_unused:UNUSED_PAD src0_sel:DWORD src1_sel:BYTE_1
	v_mov_b32_e32 v9, v6
	v_mov_b32_e32 v20, v10
	s_mov_b32 s21, exec_lo
	v_and_b32_e32 v21, 0x7f, v5
	v_mov_b32_e32 v19, v9
	v_cmpx_ne_u32_e32 0x7f, v21
	s_cbranch_execz .LBB211_607
; %bb.604:                              ;   in Loop: Header=BB211_490 Depth=1
	v_and_b32_e32 v5, 7, v5
	v_lshrrev_b32_e32 v7, 3, v21
	s_mov_b32 s22, exec_lo
	v_cmpx_gt_u32_e32 8, v21
; %bb.605:                              ;   in Loop: Header=BB211_490 Depth=1
	v_ffbh_u32_e32 v7, v5
	v_min_u32_e32 v7, 32, v7
	v_subrev_nc_u32_e32 v9, 28, v7
	v_sub_nc_u32_e32 v7, 29, v7
	v_lshlrev_b64 v[19:20], v9, v[5:6]
	v_and_b32_e32 v5, 7, v19
; %bb.606:                              ;   in Loop: Header=BB211_490 Depth=1
	s_or_b32 exec_lo, exec_lo, s22
	v_lshlrev_b32_e32 v9, 16, v67
	v_lshlrev_b32_e32 v5, 20, v5
	v_lshl_add_u32 v7, v7, 23, 0x3c000000
	v_mov_b32_e32 v19, v6
	v_and_b32_e32 v9, 0x80000000, v9
	v_or3_b32 v20, v5, v9, v7
.LBB211_607:                            ;   in Loop: Header=BB211_490 Depth=1
	s_or_b32 exec_lo, exec_lo, s21
.LBB211_608:                            ;   in Loop: Header=BB211_490 Depth=1
	s_or_b32 exec_lo, exec_lo, s18
.LBB211_609:                            ;   in Loop: Header=BB211_490 Depth=1
	s_or_b32 exec_lo, exec_lo, s17
	v_mov_b32_e32 v23, 0
	v_mov_b32_e32 v21, 0
	v_and_b32_sdwa v5, v67, v45 dst_sel:DWORD dst_unused:UNUSED_PAD src0_sel:WORD_1 src1_sel:DWORD
	v_mov_b32_e32 v24, 0
	v_mov_b32_e32 v22, 0
	s_mov_b32 s17, exec_lo
	v_cmpx_ne_u16_e32 0, v5
	s_cbranch_execz .LBB211_617
; %bb.610:                              ;   in Loop: Header=BB211_490 Depth=1
	v_bfrev_b32_e32 v21, 1
	v_mov_b32_e32 v22, 0
	s_mov_b32 s18, exec_lo
	v_cmpx_ne_u16_e32 0x80, v5
	s_cbranch_execz .LBB211_616
; %bb.611:                              ;   in Loop: Header=BB211_490 Depth=1
	v_mov_b32_e32 v21, 0x7f800001
	v_bfe_u32 v9, v67, 16, 7
	v_mov_b32_e32 v22, 0
	s_mov_b32 s21, exec_lo
	v_cmpx_ne_u32_e32 0x7f, v9
	s_cbranch_execz .LBB211_615
; %bb.612:                              ;   in Loop: Header=BB211_490 Depth=1
	v_and_b32_sdwa v5, v67, v46 dst_sel:DWORD dst_unused:UNUSED_PAD src0_sel:WORD_1 src1_sel:DWORD
	v_lshrrev_b32_e32 v7, 3, v9
	s_mov_b32 s22, exec_lo
	v_cmpx_gt_u32_e32 8, v9
; %bb.613:                              ;   in Loop: Header=BB211_490 Depth=1
	v_ffbh_u32_e32 v7, v5
	v_min_u32_e32 v7, 32, v7
	v_subrev_nc_u32_e32 v9, 28, v7
	v_sub_nc_u32_e32 v7, 29, v7
	v_lshlrev_b64 v[21:22], v9, v[5:6]
	v_and_b32_e32 v5, 7, v21
; %bb.614:                              ;   in Loop: Header=BB211_490 Depth=1
	s_or_b32 exec_lo, exec_lo, s22
	v_lshlrev_b32_sdwa v9, v47, v67 dst_sel:DWORD dst_unused:UNUSED_PAD src0_sel:DWORD src1_sel:WORD_1
	v_lshlrev_b32_e32 v5, 20, v5
	v_lshl_add_u32 v7, v7, 23, 0x3c000000
	v_and_b32_e32 v9, 0x80000000, v9
	v_or3_b32 v5, v5, v9, v7
	v_mov_b32_e32 v22, v6
	v_mov_b32_e32 v21, v5
.LBB211_615:                            ;   in Loop: Header=BB211_490 Depth=1
	s_or_b32 exec_lo, exec_lo, s21
.LBB211_616:                            ;   in Loop: Header=BB211_490 Depth=1
	s_or_b32 exec_lo, exec_lo, s18
.LBB211_617:                            ;   in Loop: Header=BB211_490 Depth=1
	s_or_b32 exec_lo, exec_lo, s17
	s_mov_b32 s17, exec_lo
	v_cmpx_lt_u32_e32 0xffffff, v67
	s_cbranch_execz .LBB211_625
; %bb.618:                              ;   in Loop: Header=BB211_490 Depth=1
	v_mov_b32_e32 v7, v6
	v_mov_b32_e32 v24, v8
	v_cmp_ne_u32_sdwa s0, v67, v43 src0_sel:BYTE_3 src1_sel:DWORD
	v_mov_b32_e32 v23, v7
	s_and_saveexec_b32 s18, s0
	s_cbranch_execz .LBB211_624
; %bb.619:                              ;   in Loop: Header=BB211_490 Depth=1
	v_mov_b32_e32 v9, v6
	v_mov_b32_e32 v24, v10
	v_bfe_u32 v68, v67, 24, 7
	s_mov_b32 s21, exec_lo
	v_mov_b32_e32 v23, v9
	v_cmpx_ne_u32_e32 0x7f, v68
	s_cbranch_execz .LBB211_623
; %bb.620:                              ;   in Loop: Header=BB211_490 Depth=1
	v_and_b32_sdwa v5, v67, v46 dst_sel:DWORD dst_unused:UNUSED_PAD src0_sel:BYTE_3 src1_sel:DWORD
	v_lshrrev_b32_e32 v7, 3, v68
	s_mov_b32 s22, exec_lo
	v_cmpx_gt_u32_e32 8, v68
; %bb.621:                              ;   in Loop: Header=BB211_490 Depth=1
	v_ffbh_u32_e32 v7, v5
	v_min_u32_e32 v7, 32, v7
	v_subrev_nc_u32_e32 v9, 28, v7
	v_sub_nc_u32_e32 v7, 29, v7
	v_lshlrev_b64 v[23:24], v9, v[5:6]
	v_and_b32_e32 v5, 7, v23
; %bb.622:                              ;   in Loop: Header=BB211_490 Depth=1
	s_or_b32 exec_lo, exec_lo, s22
	v_lshlrev_b32_sdwa v9, v47, v67 dst_sel:DWORD dst_unused:UNUSED_PAD src0_sel:DWORD src1_sel:BYTE_3
	v_lshlrev_b32_e32 v5, 20, v5
	v_lshl_add_u32 v7, v7, 23, 0x3c000000
	v_mov_b32_e32 v23, v6
	v_and_b32_e32 v9, 0x80000000, v9
	v_or3_b32 v24, v5, v9, v7
.LBB211_623:                            ;   in Loop: Header=BB211_490 Depth=1
	s_or_b32 exec_lo, exec_lo, s21
.LBB211_624:                            ;   in Loop: Header=BB211_490 Depth=1
	s_or_b32 exec_lo, exec_lo, s18
.LBB211_625:                            ;   in Loop: Header=BB211_490 Depth=1
	s_or_b32 exec_lo, exec_lo, s17
	v_or_b32_e32 v5, v20, v18
	v_or_b32_e32 v7, v19, v17
	;; [unrolled: 1-line block ×4, first 2 shown]
	v_mul_f32_e32 v69, s13, v5
	v_mul_f32_e32 v70, s12, v7
	;; [unrolled: 1-line block ×4, first 2 shown]
	s_and_saveexec_b32 s17, vcc_lo
	s_cbranch_execz .LBB211_627
; %bb.626:                              ;   in Loop: Header=BB211_490 Depth=1
	v_cmp_gt_i32_e64 s0, s31, v55
	v_cndmask_b32_e64 v70, 0, v70, s0
	v_cmp_gt_i32_e64 s0, s31, v58
	v_cndmask_b32_e64 v69, 0, v69, s0
	;; [unrolled: 2-line block ×4, first 2 shown]
.LBB211_627:                            ;   in Loop: Header=BB211_490 Depth=1
	s_or_b32 exec_lo, exec_lo, s17
	global_load_dword v71, v[15:16], off offset:512
	v_mov_b32_e32 v19, 0
	v_mov_b32_e32 v17, 0
	;; [unrolled: 1-line block ×4, first 2 shown]
	s_waitcnt vmcnt(0)
	v_cmp_ne_u16_sdwa s0, v71, v6 src0_sel:BYTE_0 src1_sel:DWORD
	s_and_saveexec_b32 s17, s0
	s_cbranch_execz .LBB211_635
; %bb.628:                              ;   in Loop: Header=BB211_490 Depth=1
	v_bfrev_b32_e32 v17, 1
	v_mov_b32_e32 v18, 0
	v_cmp_ne_u16_sdwa s0, v71, v43 src0_sel:BYTE_0 src1_sel:DWORD
	s_and_saveexec_b32 s18, s0
	s_cbranch_execz .LBB211_634
; %bb.629:                              ;   in Loop: Header=BB211_490 Depth=1
	v_mov_b32_e32 v17, 0x7f800001
	v_and_b32_e32 v9, 0x7f, v71
	v_mov_b32_e32 v18, 0
	s_mov_b32 s21, exec_lo
	v_cmpx_ne_u32_e32 0x7f, v9
	s_cbranch_execz .LBB211_633
; %bb.630:                              ;   in Loop: Header=BB211_490 Depth=1
	v_and_b32_e32 v5, 7, v71
	v_lshrrev_b32_e32 v7, 3, v9
	s_mov_b32 s22, exec_lo
	v_cmpx_gt_u32_e32 8, v9
; %bb.631:                              ;   in Loop: Header=BB211_490 Depth=1
	v_ffbh_u32_e32 v7, v5
	v_min_u32_e32 v7, 32, v7
	v_subrev_nc_u32_e32 v9, 28, v7
	v_sub_nc_u32_e32 v7, 29, v7
	v_lshlrev_b64 v[17:18], v9, v[5:6]
	v_and_b32_e32 v5, 7, v17
; %bb.632:                              ;   in Loop: Header=BB211_490 Depth=1
	s_or_b32 exec_lo, exec_lo, s22
	v_lshlrev_b32_e32 v9, 24, v71
	v_lshlrev_b32_e32 v5, 20, v5
	v_lshl_add_u32 v7, v7, 23, 0x3c000000
	v_and_b32_e32 v9, 0x80000000, v9
	v_or3_b32 v5, v5, v9, v7
	v_mov_b32_e32 v18, v6
	v_mov_b32_e32 v17, v5
.LBB211_633:                            ;   in Loop: Header=BB211_490 Depth=1
	s_or_b32 exec_lo, exec_lo, s21
.LBB211_634:                            ;   in Loop: Header=BB211_490 Depth=1
	s_or_b32 exec_lo, exec_lo, s18
.LBB211_635:                            ;   in Loop: Header=BB211_490 Depth=1
	s_or_b32 exec_lo, exec_lo, s17
	v_cmp_ne_u16_sdwa s0, v71, v6 src0_sel:BYTE_1 src1_sel:DWORD
	s_and_saveexec_b32 s17, s0
	s_cbranch_execz .LBB211_643
; %bb.636:                              ;   in Loop: Header=BB211_490 Depth=1
	v_mov_b32_e32 v7, v6
	v_mov_b32_e32 v20, v8
	v_cmp_ne_u16_sdwa s0, v71, v43 src0_sel:BYTE_1 src1_sel:DWORD
	v_mov_b32_e32 v19, v7
	s_and_saveexec_b32 s18, s0
	s_cbranch_execz .LBB211_642
; %bb.637:                              ;   in Loop: Header=BB211_490 Depth=1
	v_and_b32_sdwa v5, v44, v71 dst_sel:DWORD dst_unused:UNUSED_PAD src0_sel:DWORD src1_sel:BYTE_1
	v_mov_b32_e32 v9, v6
	v_mov_b32_e32 v20, v10
	s_mov_b32 s21, exec_lo
	v_and_b32_e32 v21, 0x7f, v5
	v_mov_b32_e32 v19, v9
	v_cmpx_ne_u32_e32 0x7f, v21
	s_cbranch_execz .LBB211_641
; %bb.638:                              ;   in Loop: Header=BB211_490 Depth=1
	v_and_b32_e32 v5, 7, v5
	v_lshrrev_b32_e32 v7, 3, v21
	s_mov_b32 s22, exec_lo
	v_cmpx_gt_u32_e32 8, v21
; %bb.639:                              ;   in Loop: Header=BB211_490 Depth=1
	v_ffbh_u32_e32 v7, v5
	v_min_u32_e32 v7, 32, v7
	v_subrev_nc_u32_e32 v9, 28, v7
	v_sub_nc_u32_e32 v7, 29, v7
	v_lshlrev_b64 v[19:20], v9, v[5:6]
	v_and_b32_e32 v5, 7, v19
; %bb.640:                              ;   in Loop: Header=BB211_490 Depth=1
	s_or_b32 exec_lo, exec_lo, s22
	v_lshlrev_b32_e32 v9, 16, v71
	v_lshlrev_b32_e32 v5, 20, v5
	v_lshl_add_u32 v7, v7, 23, 0x3c000000
	v_mov_b32_e32 v19, v6
	v_and_b32_e32 v9, 0x80000000, v9
	v_or3_b32 v20, v5, v9, v7
.LBB211_641:                            ;   in Loop: Header=BB211_490 Depth=1
	s_or_b32 exec_lo, exec_lo, s21
.LBB211_642:                            ;   in Loop: Header=BB211_490 Depth=1
	s_or_b32 exec_lo, exec_lo, s18
.LBB211_643:                            ;   in Loop: Header=BB211_490 Depth=1
	s_or_b32 exec_lo, exec_lo, s17
	v_mov_b32_e32 v23, 0
	v_mov_b32_e32 v21, 0
	v_and_b32_sdwa v5, v71, v45 dst_sel:DWORD dst_unused:UNUSED_PAD src0_sel:WORD_1 src1_sel:DWORD
	v_mov_b32_e32 v24, 0
	v_mov_b32_e32 v22, 0
	s_mov_b32 s17, exec_lo
	v_cmpx_ne_u16_e32 0, v5
	s_cbranch_execz .LBB211_651
; %bb.644:                              ;   in Loop: Header=BB211_490 Depth=1
	v_bfrev_b32_e32 v21, 1
	v_mov_b32_e32 v22, 0
	s_mov_b32 s18, exec_lo
	v_cmpx_ne_u16_e32 0x80, v5
	s_cbranch_execz .LBB211_650
; %bb.645:                              ;   in Loop: Header=BB211_490 Depth=1
	v_mov_b32_e32 v21, 0x7f800001
	v_bfe_u32 v9, v71, 16, 7
	v_mov_b32_e32 v22, 0
	s_mov_b32 s21, exec_lo
	v_cmpx_ne_u32_e32 0x7f, v9
	s_cbranch_execz .LBB211_649
; %bb.646:                              ;   in Loop: Header=BB211_490 Depth=1
	v_and_b32_sdwa v5, v71, v46 dst_sel:DWORD dst_unused:UNUSED_PAD src0_sel:WORD_1 src1_sel:DWORD
	v_lshrrev_b32_e32 v7, 3, v9
	s_mov_b32 s22, exec_lo
	v_cmpx_gt_u32_e32 8, v9
; %bb.647:                              ;   in Loop: Header=BB211_490 Depth=1
	v_ffbh_u32_e32 v7, v5
	v_min_u32_e32 v7, 32, v7
	v_subrev_nc_u32_e32 v9, 28, v7
	v_sub_nc_u32_e32 v7, 29, v7
	v_lshlrev_b64 v[21:22], v9, v[5:6]
	v_and_b32_e32 v5, 7, v21
; %bb.648:                              ;   in Loop: Header=BB211_490 Depth=1
	s_or_b32 exec_lo, exec_lo, s22
	v_lshlrev_b32_sdwa v9, v47, v71 dst_sel:DWORD dst_unused:UNUSED_PAD src0_sel:DWORD src1_sel:WORD_1
	v_lshlrev_b32_e32 v5, 20, v5
	v_lshl_add_u32 v7, v7, 23, 0x3c000000
	v_and_b32_e32 v9, 0x80000000, v9
	v_or3_b32 v5, v5, v9, v7
	v_mov_b32_e32 v22, v6
	v_mov_b32_e32 v21, v5
.LBB211_649:                            ;   in Loop: Header=BB211_490 Depth=1
	s_or_b32 exec_lo, exec_lo, s21
.LBB211_650:                            ;   in Loop: Header=BB211_490 Depth=1
	s_or_b32 exec_lo, exec_lo, s18
.LBB211_651:                            ;   in Loop: Header=BB211_490 Depth=1
	s_or_b32 exec_lo, exec_lo, s17
	s_mov_b32 s17, exec_lo
	v_cmpx_lt_u32_e32 0xffffff, v71
	s_cbranch_execz .LBB211_659
; %bb.652:                              ;   in Loop: Header=BB211_490 Depth=1
	v_mov_b32_e32 v7, v6
	v_mov_b32_e32 v24, v8
	v_cmp_ne_u32_sdwa s0, v71, v43 src0_sel:BYTE_3 src1_sel:DWORD
	v_mov_b32_e32 v23, v7
	s_and_saveexec_b32 s18, s0
	s_cbranch_execz .LBB211_658
; %bb.653:                              ;   in Loop: Header=BB211_490 Depth=1
	v_mov_b32_e32 v9, v6
	v_mov_b32_e32 v24, v10
	v_bfe_u32 v72, v71, 24, 7
	s_mov_b32 s21, exec_lo
	v_mov_b32_e32 v23, v9
	v_cmpx_ne_u32_e32 0x7f, v72
	s_cbranch_execz .LBB211_657
; %bb.654:                              ;   in Loop: Header=BB211_490 Depth=1
	v_and_b32_sdwa v5, v71, v46 dst_sel:DWORD dst_unused:UNUSED_PAD src0_sel:BYTE_3 src1_sel:DWORD
	v_lshrrev_b32_e32 v7, 3, v72
	s_mov_b32 s22, exec_lo
	v_cmpx_gt_u32_e32 8, v72
; %bb.655:                              ;   in Loop: Header=BB211_490 Depth=1
	v_ffbh_u32_e32 v7, v5
	v_min_u32_e32 v7, 32, v7
	v_subrev_nc_u32_e32 v9, 28, v7
	v_sub_nc_u32_e32 v7, 29, v7
	v_lshlrev_b64 v[23:24], v9, v[5:6]
	v_and_b32_e32 v5, 7, v23
; %bb.656:                              ;   in Loop: Header=BB211_490 Depth=1
	s_or_b32 exec_lo, exec_lo, s22
	v_lshlrev_b32_sdwa v9, v47, v71 dst_sel:DWORD dst_unused:UNUSED_PAD src0_sel:DWORD src1_sel:BYTE_3
	v_lshlrev_b32_e32 v5, 20, v5
	v_lshl_add_u32 v7, v7, 23, 0x3c000000
	v_mov_b32_e32 v23, v6
	v_and_b32_e32 v9, 0x80000000, v9
	v_or3_b32 v24, v5, v9, v7
.LBB211_657:                            ;   in Loop: Header=BB211_490 Depth=1
	s_or_b32 exec_lo, exec_lo, s21
.LBB211_658:                            ;   in Loop: Header=BB211_490 Depth=1
	s_or_b32 exec_lo, exec_lo, s18
.LBB211_659:                            ;   in Loop: Header=BB211_490 Depth=1
	s_or_b32 exec_lo, exec_lo, s17
	v_or_b32_e32 v5, v20, v18
	v_or_b32_e32 v7, v19, v17
	v_or_b32_e32 v9, v23, v21
	v_or_b32_e32 v17, v24, v22
	v_mul_f32_e32 v73, s13, v5
	v_mul_f32_e32 v74, s12, v7
	;; [unrolled: 1-line block ×4, first 2 shown]
	s_and_saveexec_b32 s17, vcc_lo
	s_cbranch_execz .LBB211_661
; %bb.660:                              ;   in Loop: Header=BB211_490 Depth=1
	v_cmp_gt_i32_e64 s0, s31, v55
	v_cndmask_b32_e64 v74, 0, v74, s0
	v_cmp_gt_i32_e64 s0, s31, v58
	v_cndmask_b32_e64 v73, 0, v73, s0
	;; [unrolled: 2-line block ×4, first 2 shown]
.LBB211_661:                            ;   in Loop: Header=BB211_490 Depth=1
	s_or_b32 exec_lo, exec_lo, s17
	global_load_dword v75, v[15:16], off offset:640
	v_mov_b32_e32 v19, 0
	v_mov_b32_e32 v17, 0
	;; [unrolled: 1-line block ×4, first 2 shown]
	s_waitcnt vmcnt(0)
	v_cmp_ne_u16_sdwa s0, v75, v6 src0_sel:BYTE_0 src1_sel:DWORD
	s_and_saveexec_b32 s17, s0
	s_cbranch_execz .LBB211_669
; %bb.662:                              ;   in Loop: Header=BB211_490 Depth=1
	v_bfrev_b32_e32 v17, 1
	v_mov_b32_e32 v18, 0
	v_cmp_ne_u16_sdwa s0, v75, v43 src0_sel:BYTE_0 src1_sel:DWORD
	s_and_saveexec_b32 s18, s0
	s_cbranch_execz .LBB211_668
; %bb.663:                              ;   in Loop: Header=BB211_490 Depth=1
	v_mov_b32_e32 v17, 0x7f800001
	v_and_b32_e32 v9, 0x7f, v75
	v_mov_b32_e32 v18, 0
	s_mov_b32 s21, exec_lo
	v_cmpx_ne_u32_e32 0x7f, v9
	s_cbranch_execz .LBB211_667
; %bb.664:                              ;   in Loop: Header=BB211_490 Depth=1
	v_and_b32_e32 v5, 7, v75
	v_lshrrev_b32_e32 v7, 3, v9
	s_mov_b32 s22, exec_lo
	v_cmpx_gt_u32_e32 8, v9
; %bb.665:                              ;   in Loop: Header=BB211_490 Depth=1
	v_ffbh_u32_e32 v7, v5
	v_min_u32_e32 v7, 32, v7
	v_subrev_nc_u32_e32 v9, 28, v7
	v_sub_nc_u32_e32 v7, 29, v7
	v_lshlrev_b64 v[17:18], v9, v[5:6]
	v_and_b32_e32 v5, 7, v17
; %bb.666:                              ;   in Loop: Header=BB211_490 Depth=1
	s_or_b32 exec_lo, exec_lo, s22
	v_lshlrev_b32_e32 v9, 24, v75
	v_lshlrev_b32_e32 v5, 20, v5
	v_lshl_add_u32 v7, v7, 23, 0x3c000000
	v_and_b32_e32 v9, 0x80000000, v9
	v_or3_b32 v5, v5, v9, v7
	v_mov_b32_e32 v18, v6
	v_mov_b32_e32 v17, v5
.LBB211_667:                            ;   in Loop: Header=BB211_490 Depth=1
	s_or_b32 exec_lo, exec_lo, s21
.LBB211_668:                            ;   in Loop: Header=BB211_490 Depth=1
	s_or_b32 exec_lo, exec_lo, s18
.LBB211_669:                            ;   in Loop: Header=BB211_490 Depth=1
	s_or_b32 exec_lo, exec_lo, s17
	v_cmp_ne_u16_sdwa s0, v75, v6 src0_sel:BYTE_1 src1_sel:DWORD
	s_and_saveexec_b32 s17, s0
	s_cbranch_execz .LBB211_677
; %bb.670:                              ;   in Loop: Header=BB211_490 Depth=1
	v_mov_b32_e32 v7, v6
	v_mov_b32_e32 v20, v8
	v_cmp_ne_u16_sdwa s0, v75, v43 src0_sel:BYTE_1 src1_sel:DWORD
	v_mov_b32_e32 v19, v7
	s_and_saveexec_b32 s18, s0
	s_cbranch_execz .LBB211_676
; %bb.671:                              ;   in Loop: Header=BB211_490 Depth=1
	v_and_b32_sdwa v5, v44, v75 dst_sel:DWORD dst_unused:UNUSED_PAD src0_sel:DWORD src1_sel:BYTE_1
	v_mov_b32_e32 v9, v6
	v_mov_b32_e32 v20, v10
	s_mov_b32 s21, exec_lo
	v_and_b32_e32 v21, 0x7f, v5
	v_mov_b32_e32 v19, v9
	v_cmpx_ne_u32_e32 0x7f, v21
	s_cbranch_execz .LBB211_675
; %bb.672:                              ;   in Loop: Header=BB211_490 Depth=1
	v_and_b32_e32 v5, 7, v5
	v_lshrrev_b32_e32 v7, 3, v21
	s_mov_b32 s22, exec_lo
	v_cmpx_gt_u32_e32 8, v21
; %bb.673:                              ;   in Loop: Header=BB211_490 Depth=1
	v_ffbh_u32_e32 v7, v5
	v_min_u32_e32 v7, 32, v7
	v_subrev_nc_u32_e32 v9, 28, v7
	v_sub_nc_u32_e32 v7, 29, v7
	v_lshlrev_b64 v[19:20], v9, v[5:6]
	v_and_b32_e32 v5, 7, v19
; %bb.674:                              ;   in Loop: Header=BB211_490 Depth=1
	s_or_b32 exec_lo, exec_lo, s22
	v_lshlrev_b32_e32 v9, 16, v75
	v_lshlrev_b32_e32 v5, 20, v5
	v_lshl_add_u32 v7, v7, 23, 0x3c000000
	v_mov_b32_e32 v19, v6
	v_and_b32_e32 v9, 0x80000000, v9
	v_or3_b32 v20, v5, v9, v7
.LBB211_675:                            ;   in Loop: Header=BB211_490 Depth=1
	s_or_b32 exec_lo, exec_lo, s21
.LBB211_676:                            ;   in Loop: Header=BB211_490 Depth=1
	s_or_b32 exec_lo, exec_lo, s18
.LBB211_677:                            ;   in Loop: Header=BB211_490 Depth=1
	s_or_b32 exec_lo, exec_lo, s17
	v_mov_b32_e32 v23, 0
	v_mov_b32_e32 v21, 0
	v_and_b32_sdwa v5, v75, v45 dst_sel:DWORD dst_unused:UNUSED_PAD src0_sel:WORD_1 src1_sel:DWORD
	v_mov_b32_e32 v24, 0
	v_mov_b32_e32 v22, 0
	s_mov_b32 s17, exec_lo
	v_cmpx_ne_u16_e32 0, v5
	s_cbranch_execz .LBB211_685
; %bb.678:                              ;   in Loop: Header=BB211_490 Depth=1
	v_bfrev_b32_e32 v21, 1
	v_mov_b32_e32 v22, 0
	s_mov_b32 s18, exec_lo
	v_cmpx_ne_u16_e32 0x80, v5
	s_cbranch_execz .LBB211_684
; %bb.679:                              ;   in Loop: Header=BB211_490 Depth=1
	v_mov_b32_e32 v21, 0x7f800001
	v_bfe_u32 v9, v75, 16, 7
	v_mov_b32_e32 v22, 0
	s_mov_b32 s21, exec_lo
	v_cmpx_ne_u32_e32 0x7f, v9
	s_cbranch_execz .LBB211_683
; %bb.680:                              ;   in Loop: Header=BB211_490 Depth=1
	v_and_b32_sdwa v5, v75, v46 dst_sel:DWORD dst_unused:UNUSED_PAD src0_sel:WORD_1 src1_sel:DWORD
	v_lshrrev_b32_e32 v7, 3, v9
	s_mov_b32 s22, exec_lo
	v_cmpx_gt_u32_e32 8, v9
; %bb.681:                              ;   in Loop: Header=BB211_490 Depth=1
	v_ffbh_u32_e32 v7, v5
	v_min_u32_e32 v7, 32, v7
	v_subrev_nc_u32_e32 v9, 28, v7
	v_sub_nc_u32_e32 v7, 29, v7
	v_lshlrev_b64 v[21:22], v9, v[5:6]
	v_and_b32_e32 v5, 7, v21
; %bb.682:                              ;   in Loop: Header=BB211_490 Depth=1
	s_or_b32 exec_lo, exec_lo, s22
	v_lshlrev_b32_sdwa v9, v47, v75 dst_sel:DWORD dst_unused:UNUSED_PAD src0_sel:DWORD src1_sel:WORD_1
	v_lshlrev_b32_e32 v5, 20, v5
	v_lshl_add_u32 v7, v7, 23, 0x3c000000
	v_and_b32_e32 v9, 0x80000000, v9
	v_or3_b32 v5, v5, v9, v7
	v_mov_b32_e32 v22, v6
	v_mov_b32_e32 v21, v5
.LBB211_683:                            ;   in Loop: Header=BB211_490 Depth=1
	s_or_b32 exec_lo, exec_lo, s21
.LBB211_684:                            ;   in Loop: Header=BB211_490 Depth=1
	s_or_b32 exec_lo, exec_lo, s18
.LBB211_685:                            ;   in Loop: Header=BB211_490 Depth=1
	s_or_b32 exec_lo, exec_lo, s17
	s_mov_b32 s17, exec_lo
	v_cmpx_lt_u32_e32 0xffffff, v75
	s_cbranch_execz .LBB211_693
; %bb.686:                              ;   in Loop: Header=BB211_490 Depth=1
	v_mov_b32_e32 v7, v6
	v_mov_b32_e32 v24, v8
	v_cmp_ne_u32_sdwa s0, v75, v43 src0_sel:BYTE_3 src1_sel:DWORD
	v_mov_b32_e32 v23, v7
	s_and_saveexec_b32 s18, s0
	s_cbranch_execz .LBB211_692
; %bb.687:                              ;   in Loop: Header=BB211_490 Depth=1
	v_mov_b32_e32 v9, v6
	v_mov_b32_e32 v24, v10
	v_bfe_u32 v76, v75, 24, 7
	s_mov_b32 s21, exec_lo
	v_mov_b32_e32 v23, v9
	v_cmpx_ne_u32_e32 0x7f, v76
	s_cbranch_execz .LBB211_691
; %bb.688:                              ;   in Loop: Header=BB211_490 Depth=1
	v_and_b32_sdwa v5, v75, v46 dst_sel:DWORD dst_unused:UNUSED_PAD src0_sel:BYTE_3 src1_sel:DWORD
	v_lshrrev_b32_e32 v7, 3, v76
	s_mov_b32 s22, exec_lo
	v_cmpx_gt_u32_e32 8, v76
; %bb.689:                              ;   in Loop: Header=BB211_490 Depth=1
	v_ffbh_u32_e32 v7, v5
	v_min_u32_e32 v7, 32, v7
	v_subrev_nc_u32_e32 v9, 28, v7
	v_sub_nc_u32_e32 v7, 29, v7
	v_lshlrev_b64 v[23:24], v9, v[5:6]
	v_and_b32_e32 v5, 7, v23
; %bb.690:                              ;   in Loop: Header=BB211_490 Depth=1
	s_or_b32 exec_lo, exec_lo, s22
	v_lshlrev_b32_sdwa v9, v47, v75 dst_sel:DWORD dst_unused:UNUSED_PAD src0_sel:DWORD src1_sel:BYTE_3
	v_lshlrev_b32_e32 v5, 20, v5
	v_lshl_add_u32 v7, v7, 23, 0x3c000000
	v_mov_b32_e32 v23, v6
	v_and_b32_e32 v9, 0x80000000, v9
	v_or3_b32 v24, v5, v9, v7
.LBB211_691:                            ;   in Loop: Header=BB211_490 Depth=1
	s_or_b32 exec_lo, exec_lo, s21
.LBB211_692:                            ;   in Loop: Header=BB211_490 Depth=1
	s_or_b32 exec_lo, exec_lo, s18
.LBB211_693:                            ;   in Loop: Header=BB211_490 Depth=1
	s_or_b32 exec_lo, exec_lo, s17
	v_or_b32_e32 v5, v20, v18
	v_or_b32_e32 v7, v19, v17
	;; [unrolled: 1-line block ×4, first 2 shown]
	v_mul_f32_e32 v77, s13, v5
	v_mul_f32_e32 v78, s12, v7
	v_mul_f32_e32 v76, s12, v9
	v_mul_f32_e32 v75, s13, v17
	s_and_saveexec_b32 s17, vcc_lo
	s_cbranch_execz .LBB211_695
; %bb.694:                              ;   in Loop: Header=BB211_490 Depth=1
	v_cmp_gt_i32_e64 s0, s31, v55
	v_cndmask_b32_e64 v78, 0, v78, s0
	v_cmp_gt_i32_e64 s0, s31, v58
	v_cndmask_b32_e64 v77, 0, v77, s0
	v_cmp_gt_i32_e64 s0, s31, v57
	v_cndmask_b32_e64 v76, 0, v76, s0
	v_cmp_gt_i32_e64 s0, s31, v56
	v_cndmask_b32_e64 v75, 0, v75, s0
.LBB211_695:                            ;   in Loop: Header=BB211_490 Depth=1
	s_or_b32 exec_lo, exec_lo, s17
	global_load_dword v79, v[15:16], off offset:768
	v_mov_b32_e32 v19, 0
	v_mov_b32_e32 v17, 0
	;; [unrolled: 1-line block ×4, first 2 shown]
	s_waitcnt vmcnt(0)
	v_cmp_ne_u16_sdwa s0, v79, v6 src0_sel:BYTE_0 src1_sel:DWORD
	s_and_saveexec_b32 s17, s0
	s_cbranch_execz .LBB211_703
; %bb.696:                              ;   in Loop: Header=BB211_490 Depth=1
	v_bfrev_b32_e32 v17, 1
	v_mov_b32_e32 v18, 0
	v_cmp_ne_u16_sdwa s0, v79, v43 src0_sel:BYTE_0 src1_sel:DWORD
	s_and_saveexec_b32 s18, s0
	s_cbranch_execz .LBB211_702
; %bb.697:                              ;   in Loop: Header=BB211_490 Depth=1
	v_mov_b32_e32 v17, 0x7f800001
	v_and_b32_e32 v9, 0x7f, v79
	v_mov_b32_e32 v18, 0
	s_mov_b32 s21, exec_lo
	v_cmpx_ne_u32_e32 0x7f, v9
	s_cbranch_execz .LBB211_701
; %bb.698:                              ;   in Loop: Header=BB211_490 Depth=1
	v_and_b32_e32 v5, 7, v79
	v_lshrrev_b32_e32 v7, 3, v9
	s_mov_b32 s22, exec_lo
	v_cmpx_gt_u32_e32 8, v9
; %bb.699:                              ;   in Loop: Header=BB211_490 Depth=1
	v_ffbh_u32_e32 v7, v5
	v_min_u32_e32 v7, 32, v7
	v_subrev_nc_u32_e32 v9, 28, v7
	v_sub_nc_u32_e32 v7, 29, v7
	v_lshlrev_b64 v[17:18], v9, v[5:6]
	v_and_b32_e32 v5, 7, v17
; %bb.700:                              ;   in Loop: Header=BB211_490 Depth=1
	s_or_b32 exec_lo, exec_lo, s22
	v_lshlrev_b32_e32 v9, 24, v79
	v_lshlrev_b32_e32 v5, 20, v5
	v_lshl_add_u32 v7, v7, 23, 0x3c000000
	v_and_b32_e32 v9, 0x80000000, v9
	v_or3_b32 v5, v5, v9, v7
	v_mov_b32_e32 v18, v6
	v_mov_b32_e32 v17, v5
.LBB211_701:                            ;   in Loop: Header=BB211_490 Depth=1
	s_or_b32 exec_lo, exec_lo, s21
.LBB211_702:                            ;   in Loop: Header=BB211_490 Depth=1
	s_or_b32 exec_lo, exec_lo, s18
.LBB211_703:                            ;   in Loop: Header=BB211_490 Depth=1
	s_or_b32 exec_lo, exec_lo, s17
	v_cmp_ne_u16_sdwa s0, v79, v6 src0_sel:BYTE_1 src1_sel:DWORD
	s_and_saveexec_b32 s17, s0
	s_cbranch_execz .LBB211_711
; %bb.704:                              ;   in Loop: Header=BB211_490 Depth=1
	v_mov_b32_e32 v7, v6
	v_mov_b32_e32 v20, v8
	v_cmp_ne_u16_sdwa s0, v79, v43 src0_sel:BYTE_1 src1_sel:DWORD
	v_mov_b32_e32 v19, v7
	s_and_saveexec_b32 s18, s0
	s_cbranch_execz .LBB211_710
; %bb.705:                              ;   in Loop: Header=BB211_490 Depth=1
	v_and_b32_sdwa v5, v44, v79 dst_sel:DWORD dst_unused:UNUSED_PAD src0_sel:DWORD src1_sel:BYTE_1
	v_mov_b32_e32 v9, v6
	v_mov_b32_e32 v20, v10
	s_mov_b32 s21, exec_lo
	v_and_b32_e32 v21, 0x7f, v5
	v_mov_b32_e32 v19, v9
	v_cmpx_ne_u32_e32 0x7f, v21
	s_cbranch_execz .LBB211_709
; %bb.706:                              ;   in Loop: Header=BB211_490 Depth=1
	v_and_b32_e32 v5, 7, v5
	v_lshrrev_b32_e32 v7, 3, v21
	s_mov_b32 s22, exec_lo
	v_cmpx_gt_u32_e32 8, v21
; %bb.707:                              ;   in Loop: Header=BB211_490 Depth=1
	v_ffbh_u32_e32 v7, v5
	v_min_u32_e32 v7, 32, v7
	v_subrev_nc_u32_e32 v9, 28, v7
	v_sub_nc_u32_e32 v7, 29, v7
	v_lshlrev_b64 v[19:20], v9, v[5:6]
	v_and_b32_e32 v5, 7, v19
; %bb.708:                              ;   in Loop: Header=BB211_490 Depth=1
	s_or_b32 exec_lo, exec_lo, s22
	v_lshlrev_b32_e32 v9, 16, v79
	v_lshlrev_b32_e32 v5, 20, v5
	v_lshl_add_u32 v7, v7, 23, 0x3c000000
	v_mov_b32_e32 v19, v6
	v_and_b32_e32 v9, 0x80000000, v9
	v_or3_b32 v20, v5, v9, v7
.LBB211_709:                            ;   in Loop: Header=BB211_490 Depth=1
	s_or_b32 exec_lo, exec_lo, s21
.LBB211_710:                            ;   in Loop: Header=BB211_490 Depth=1
	s_or_b32 exec_lo, exec_lo, s18
.LBB211_711:                            ;   in Loop: Header=BB211_490 Depth=1
	s_or_b32 exec_lo, exec_lo, s17
	v_mov_b32_e32 v23, 0
	v_mov_b32_e32 v21, 0
	v_and_b32_sdwa v5, v79, v45 dst_sel:DWORD dst_unused:UNUSED_PAD src0_sel:WORD_1 src1_sel:DWORD
	v_mov_b32_e32 v24, 0
	v_mov_b32_e32 v22, 0
	s_mov_b32 s17, exec_lo
	v_cmpx_ne_u16_e32 0, v5
	s_cbranch_execz .LBB211_719
; %bb.712:                              ;   in Loop: Header=BB211_490 Depth=1
	v_bfrev_b32_e32 v21, 1
	v_mov_b32_e32 v22, 0
	s_mov_b32 s18, exec_lo
	v_cmpx_ne_u16_e32 0x80, v5
	s_cbranch_execz .LBB211_718
; %bb.713:                              ;   in Loop: Header=BB211_490 Depth=1
	v_mov_b32_e32 v21, 0x7f800001
	v_bfe_u32 v9, v79, 16, 7
	v_mov_b32_e32 v22, 0
	s_mov_b32 s21, exec_lo
	v_cmpx_ne_u32_e32 0x7f, v9
	s_cbranch_execz .LBB211_717
; %bb.714:                              ;   in Loop: Header=BB211_490 Depth=1
	v_and_b32_sdwa v5, v79, v46 dst_sel:DWORD dst_unused:UNUSED_PAD src0_sel:WORD_1 src1_sel:DWORD
	v_lshrrev_b32_e32 v7, 3, v9
	s_mov_b32 s22, exec_lo
	v_cmpx_gt_u32_e32 8, v9
; %bb.715:                              ;   in Loop: Header=BB211_490 Depth=1
	v_ffbh_u32_e32 v7, v5
	v_min_u32_e32 v7, 32, v7
	v_subrev_nc_u32_e32 v9, 28, v7
	v_sub_nc_u32_e32 v7, 29, v7
	v_lshlrev_b64 v[21:22], v9, v[5:6]
	v_and_b32_e32 v5, 7, v21
; %bb.716:                              ;   in Loop: Header=BB211_490 Depth=1
	s_or_b32 exec_lo, exec_lo, s22
	v_lshlrev_b32_sdwa v9, v47, v79 dst_sel:DWORD dst_unused:UNUSED_PAD src0_sel:DWORD src1_sel:WORD_1
	v_lshlrev_b32_e32 v5, 20, v5
	v_lshl_add_u32 v7, v7, 23, 0x3c000000
	v_and_b32_e32 v9, 0x80000000, v9
	v_or3_b32 v5, v5, v9, v7
	v_mov_b32_e32 v22, v6
	v_mov_b32_e32 v21, v5
.LBB211_717:                            ;   in Loop: Header=BB211_490 Depth=1
	s_or_b32 exec_lo, exec_lo, s21
.LBB211_718:                            ;   in Loop: Header=BB211_490 Depth=1
	s_or_b32 exec_lo, exec_lo, s18
.LBB211_719:                            ;   in Loop: Header=BB211_490 Depth=1
	s_or_b32 exec_lo, exec_lo, s17
	s_mov_b32 s17, exec_lo
	v_cmpx_lt_u32_e32 0xffffff, v79
	s_cbranch_execz .LBB211_727
; %bb.720:                              ;   in Loop: Header=BB211_490 Depth=1
	v_mov_b32_e32 v7, v6
	v_mov_b32_e32 v24, v8
	v_cmp_ne_u32_sdwa s0, v79, v43 src0_sel:BYTE_3 src1_sel:DWORD
	v_mov_b32_e32 v23, v7
	s_and_saveexec_b32 s18, s0
	s_cbranch_execz .LBB211_726
; %bb.721:                              ;   in Loop: Header=BB211_490 Depth=1
	v_mov_b32_e32 v9, v6
	v_mov_b32_e32 v24, v10
	v_bfe_u32 v80, v79, 24, 7
	s_mov_b32 s21, exec_lo
	v_mov_b32_e32 v23, v9
	v_cmpx_ne_u32_e32 0x7f, v80
	s_cbranch_execz .LBB211_725
; %bb.722:                              ;   in Loop: Header=BB211_490 Depth=1
	v_and_b32_sdwa v5, v79, v46 dst_sel:DWORD dst_unused:UNUSED_PAD src0_sel:BYTE_3 src1_sel:DWORD
	v_lshrrev_b32_e32 v7, 3, v80
	s_mov_b32 s22, exec_lo
	v_cmpx_gt_u32_e32 8, v80
; %bb.723:                              ;   in Loop: Header=BB211_490 Depth=1
	v_ffbh_u32_e32 v7, v5
	v_min_u32_e32 v7, 32, v7
	v_subrev_nc_u32_e32 v9, 28, v7
	v_sub_nc_u32_e32 v7, 29, v7
	v_lshlrev_b64 v[23:24], v9, v[5:6]
	v_and_b32_e32 v5, 7, v23
; %bb.724:                              ;   in Loop: Header=BB211_490 Depth=1
	s_or_b32 exec_lo, exec_lo, s22
	v_lshlrev_b32_sdwa v9, v47, v79 dst_sel:DWORD dst_unused:UNUSED_PAD src0_sel:DWORD src1_sel:BYTE_3
	v_lshlrev_b32_e32 v5, 20, v5
	v_lshl_add_u32 v7, v7, 23, 0x3c000000
	v_mov_b32_e32 v23, v6
	v_and_b32_e32 v9, 0x80000000, v9
	v_or3_b32 v24, v5, v9, v7
.LBB211_725:                            ;   in Loop: Header=BB211_490 Depth=1
	s_or_b32 exec_lo, exec_lo, s21
.LBB211_726:                            ;   in Loop: Header=BB211_490 Depth=1
	s_or_b32 exec_lo, exec_lo, s18
.LBB211_727:                            ;   in Loop: Header=BB211_490 Depth=1
	s_or_b32 exec_lo, exec_lo, s17
	v_or_b32_e32 v5, v20, v18
	v_or_b32_e32 v7, v19, v17
	;; [unrolled: 1-line block ×4, first 2 shown]
	v_mul_f32_e32 v81, s13, v5
	v_mul_f32_e32 v82, s12, v7
	;; [unrolled: 1-line block ×4, first 2 shown]
	s_and_saveexec_b32 s17, vcc_lo
	s_cbranch_execz .LBB211_729
; %bb.728:                              ;   in Loop: Header=BB211_490 Depth=1
	v_cmp_gt_i32_e64 s0, s31, v55
	v_cndmask_b32_e64 v82, 0, v82, s0
	v_cmp_gt_i32_e64 s0, s31, v58
	v_cndmask_b32_e64 v81, 0, v81, s0
	;; [unrolled: 2-line block ×4, first 2 shown]
.LBB211_729:                            ;   in Loop: Header=BB211_490 Depth=1
	s_or_b32 exec_lo, exec_lo, s17
	global_load_dword v83, v[15:16], off offset:896
	v_mov_b32_e32 v19, 0
	v_mov_b32_e32 v17, 0
	;; [unrolled: 1-line block ×4, first 2 shown]
	s_waitcnt vmcnt(0)
	v_cmp_ne_u16_sdwa s0, v83, v6 src0_sel:BYTE_0 src1_sel:DWORD
	s_and_saveexec_b32 s17, s0
	s_cbranch_execz .LBB211_737
; %bb.730:                              ;   in Loop: Header=BB211_490 Depth=1
	v_bfrev_b32_e32 v17, 1
	v_mov_b32_e32 v18, 0
	v_cmp_ne_u16_sdwa s0, v83, v43 src0_sel:BYTE_0 src1_sel:DWORD
	s_and_saveexec_b32 s18, s0
	s_cbranch_execz .LBB211_736
; %bb.731:                              ;   in Loop: Header=BB211_490 Depth=1
	v_mov_b32_e32 v17, 0x7f800001
	v_and_b32_e32 v9, 0x7f, v83
	v_mov_b32_e32 v18, 0
	s_mov_b32 s21, exec_lo
	v_cmpx_ne_u32_e32 0x7f, v9
	s_cbranch_execz .LBB211_735
; %bb.732:                              ;   in Loop: Header=BB211_490 Depth=1
	v_and_b32_e32 v5, 7, v83
	v_lshrrev_b32_e32 v7, 3, v9
	s_mov_b32 s22, exec_lo
	v_cmpx_gt_u32_e32 8, v9
; %bb.733:                              ;   in Loop: Header=BB211_490 Depth=1
	v_ffbh_u32_e32 v7, v5
	v_min_u32_e32 v7, 32, v7
	v_subrev_nc_u32_e32 v9, 28, v7
	v_sub_nc_u32_e32 v7, 29, v7
	v_lshlrev_b64 v[17:18], v9, v[5:6]
	v_and_b32_e32 v5, 7, v17
; %bb.734:                              ;   in Loop: Header=BB211_490 Depth=1
	s_or_b32 exec_lo, exec_lo, s22
	v_lshlrev_b32_e32 v9, 24, v83
	v_lshlrev_b32_e32 v5, 20, v5
	v_lshl_add_u32 v7, v7, 23, 0x3c000000
	v_and_b32_e32 v9, 0x80000000, v9
	v_or3_b32 v5, v5, v9, v7
	v_mov_b32_e32 v18, v6
	v_mov_b32_e32 v17, v5
.LBB211_735:                            ;   in Loop: Header=BB211_490 Depth=1
	s_or_b32 exec_lo, exec_lo, s21
.LBB211_736:                            ;   in Loop: Header=BB211_490 Depth=1
	s_or_b32 exec_lo, exec_lo, s18
.LBB211_737:                            ;   in Loop: Header=BB211_490 Depth=1
	s_or_b32 exec_lo, exec_lo, s17
	v_cmp_ne_u16_sdwa s0, v83, v6 src0_sel:BYTE_1 src1_sel:DWORD
	s_and_saveexec_b32 s17, s0
	s_cbranch_execz .LBB211_745
; %bb.738:                              ;   in Loop: Header=BB211_490 Depth=1
	v_mov_b32_e32 v7, v6
	v_mov_b32_e32 v20, v8
	v_cmp_ne_u16_sdwa s0, v83, v43 src0_sel:BYTE_1 src1_sel:DWORD
	v_mov_b32_e32 v19, v7
	s_and_saveexec_b32 s18, s0
	s_cbranch_execz .LBB211_744
; %bb.739:                              ;   in Loop: Header=BB211_490 Depth=1
	v_and_b32_sdwa v5, v44, v83 dst_sel:DWORD dst_unused:UNUSED_PAD src0_sel:DWORD src1_sel:BYTE_1
	v_mov_b32_e32 v9, v6
	v_mov_b32_e32 v20, v10
	s_mov_b32 s21, exec_lo
	v_and_b32_e32 v21, 0x7f, v5
	v_mov_b32_e32 v19, v9
	v_cmpx_ne_u32_e32 0x7f, v21
	s_cbranch_execz .LBB211_743
; %bb.740:                              ;   in Loop: Header=BB211_490 Depth=1
	v_and_b32_e32 v5, 7, v5
	v_lshrrev_b32_e32 v7, 3, v21
	s_mov_b32 s22, exec_lo
	v_cmpx_gt_u32_e32 8, v21
; %bb.741:                              ;   in Loop: Header=BB211_490 Depth=1
	v_ffbh_u32_e32 v7, v5
	v_min_u32_e32 v7, 32, v7
	v_subrev_nc_u32_e32 v9, 28, v7
	v_sub_nc_u32_e32 v7, 29, v7
	v_lshlrev_b64 v[19:20], v9, v[5:6]
	v_and_b32_e32 v5, 7, v19
; %bb.742:                              ;   in Loop: Header=BB211_490 Depth=1
	s_or_b32 exec_lo, exec_lo, s22
	v_lshlrev_b32_e32 v9, 16, v83
	v_lshlrev_b32_e32 v5, 20, v5
	v_lshl_add_u32 v7, v7, 23, 0x3c000000
	v_mov_b32_e32 v19, v6
	v_and_b32_e32 v9, 0x80000000, v9
	v_or3_b32 v20, v5, v9, v7
.LBB211_743:                            ;   in Loop: Header=BB211_490 Depth=1
	s_or_b32 exec_lo, exec_lo, s21
.LBB211_744:                            ;   in Loop: Header=BB211_490 Depth=1
	s_or_b32 exec_lo, exec_lo, s18
.LBB211_745:                            ;   in Loop: Header=BB211_490 Depth=1
	s_or_b32 exec_lo, exec_lo, s17
	v_mov_b32_e32 v23, 0
	v_mov_b32_e32 v21, 0
	v_and_b32_sdwa v5, v83, v45 dst_sel:DWORD dst_unused:UNUSED_PAD src0_sel:WORD_1 src1_sel:DWORD
	v_mov_b32_e32 v24, 0
	v_mov_b32_e32 v22, 0
	s_mov_b32 s17, exec_lo
	v_cmpx_ne_u16_e32 0, v5
	s_cbranch_execz .LBB211_753
; %bb.746:                              ;   in Loop: Header=BB211_490 Depth=1
	v_bfrev_b32_e32 v21, 1
	v_mov_b32_e32 v22, 0
	s_mov_b32 s18, exec_lo
	v_cmpx_ne_u16_e32 0x80, v5
	s_cbranch_execz .LBB211_752
; %bb.747:                              ;   in Loop: Header=BB211_490 Depth=1
	v_mov_b32_e32 v21, 0x7f800001
	v_bfe_u32 v9, v83, 16, 7
	v_mov_b32_e32 v22, 0
	s_mov_b32 s21, exec_lo
	v_cmpx_ne_u32_e32 0x7f, v9
	s_cbranch_execz .LBB211_751
; %bb.748:                              ;   in Loop: Header=BB211_490 Depth=1
	v_and_b32_sdwa v5, v83, v46 dst_sel:DWORD dst_unused:UNUSED_PAD src0_sel:WORD_1 src1_sel:DWORD
	v_lshrrev_b32_e32 v7, 3, v9
	s_mov_b32 s22, exec_lo
	v_cmpx_gt_u32_e32 8, v9
; %bb.749:                              ;   in Loop: Header=BB211_490 Depth=1
	v_ffbh_u32_e32 v7, v5
	v_min_u32_e32 v7, 32, v7
	v_subrev_nc_u32_e32 v9, 28, v7
	v_sub_nc_u32_e32 v7, 29, v7
	v_lshlrev_b64 v[21:22], v9, v[5:6]
	v_and_b32_e32 v5, 7, v21
; %bb.750:                              ;   in Loop: Header=BB211_490 Depth=1
	s_or_b32 exec_lo, exec_lo, s22
	v_lshlrev_b32_sdwa v9, v47, v83 dst_sel:DWORD dst_unused:UNUSED_PAD src0_sel:DWORD src1_sel:WORD_1
	v_lshlrev_b32_e32 v5, 20, v5
	v_lshl_add_u32 v7, v7, 23, 0x3c000000
	v_and_b32_e32 v9, 0x80000000, v9
	v_or3_b32 v5, v5, v9, v7
	v_mov_b32_e32 v22, v6
	v_mov_b32_e32 v21, v5
.LBB211_751:                            ;   in Loop: Header=BB211_490 Depth=1
	s_or_b32 exec_lo, exec_lo, s21
.LBB211_752:                            ;   in Loop: Header=BB211_490 Depth=1
	s_or_b32 exec_lo, exec_lo, s18
.LBB211_753:                            ;   in Loop: Header=BB211_490 Depth=1
	s_or_b32 exec_lo, exec_lo, s17
	s_mov_b32 s17, exec_lo
	v_cmpx_lt_u32_e32 0xffffff, v83
	s_cbranch_execz .LBB211_761
; %bb.754:                              ;   in Loop: Header=BB211_490 Depth=1
	v_mov_b32_e32 v7, v6
	v_mov_b32_e32 v24, v8
	v_cmp_ne_u32_sdwa s0, v83, v43 src0_sel:BYTE_3 src1_sel:DWORD
	v_mov_b32_e32 v23, v7
	s_and_saveexec_b32 s18, s0
	s_cbranch_execz .LBB211_760
; %bb.755:                              ;   in Loop: Header=BB211_490 Depth=1
	v_mov_b32_e32 v9, v6
	v_mov_b32_e32 v24, v10
	v_bfe_u32 v84, v83, 24, 7
	s_mov_b32 s21, exec_lo
	v_mov_b32_e32 v23, v9
	v_cmpx_ne_u32_e32 0x7f, v84
	s_cbranch_execz .LBB211_759
; %bb.756:                              ;   in Loop: Header=BB211_490 Depth=1
	v_and_b32_sdwa v5, v83, v46 dst_sel:DWORD dst_unused:UNUSED_PAD src0_sel:BYTE_3 src1_sel:DWORD
	v_lshrrev_b32_e32 v7, 3, v84
	s_mov_b32 s22, exec_lo
	v_cmpx_gt_u32_e32 8, v84
; %bb.757:                              ;   in Loop: Header=BB211_490 Depth=1
	v_ffbh_u32_e32 v7, v5
	v_min_u32_e32 v7, 32, v7
	v_subrev_nc_u32_e32 v9, 28, v7
	v_sub_nc_u32_e32 v7, 29, v7
	v_lshlrev_b64 v[23:24], v9, v[5:6]
	v_and_b32_e32 v5, 7, v23
; %bb.758:                              ;   in Loop: Header=BB211_490 Depth=1
	s_or_b32 exec_lo, exec_lo, s22
	v_lshlrev_b32_sdwa v9, v47, v83 dst_sel:DWORD dst_unused:UNUSED_PAD src0_sel:DWORD src1_sel:BYTE_3
	v_lshlrev_b32_e32 v5, 20, v5
	v_lshl_add_u32 v7, v7, 23, 0x3c000000
	v_mov_b32_e32 v23, v6
	v_and_b32_e32 v9, 0x80000000, v9
	v_or3_b32 v24, v5, v9, v7
.LBB211_759:                            ;   in Loop: Header=BB211_490 Depth=1
	s_or_b32 exec_lo, exec_lo, s21
.LBB211_760:                            ;   in Loop: Header=BB211_490 Depth=1
	s_or_b32 exec_lo, exec_lo, s18
.LBB211_761:                            ;   in Loop: Header=BB211_490 Depth=1
	s_or_b32 exec_lo, exec_lo, s17
	v_or_b32_e32 v5, v20, v18
	v_or_b32_e32 v7, v19, v17
	;; [unrolled: 1-line block ×4, first 2 shown]
	v_mul_f32_e32 v85, s13, v5
	v_mul_f32_e32 v86, s12, v7
	v_mul_f32_e32 v84, s12, v9
	v_mul_f32_e32 v83, s13, v17
	s_and_saveexec_b32 s17, vcc_lo
	s_cbranch_execz .LBB211_763
; %bb.762:                              ;   in Loop: Header=BB211_490 Depth=1
	v_cmp_gt_i32_e64 s0, s31, v55
	v_cndmask_b32_e64 v86, 0, v86, s0
	v_cmp_gt_i32_e64 s0, s31, v58
	v_cndmask_b32_e64 v85, 0, v85, s0
	;; [unrolled: 2-line block ×4, first 2 shown]
.LBB211_763:                            ;   in Loop: Header=BB211_490 Depth=1
	s_or_b32 exec_lo, exec_lo, s17
	global_load_dword v87, v[15:16], off offset:1024
	v_mov_b32_e32 v19, 0
	v_mov_b32_e32 v17, 0
	;; [unrolled: 1-line block ×4, first 2 shown]
	s_waitcnt vmcnt(0)
	v_cmp_ne_u16_sdwa s0, v87, v6 src0_sel:BYTE_0 src1_sel:DWORD
	s_and_saveexec_b32 s17, s0
	s_cbranch_execz .LBB211_771
; %bb.764:                              ;   in Loop: Header=BB211_490 Depth=1
	v_bfrev_b32_e32 v17, 1
	v_mov_b32_e32 v18, 0
	v_cmp_ne_u16_sdwa s0, v87, v43 src0_sel:BYTE_0 src1_sel:DWORD
	s_and_saveexec_b32 s18, s0
	s_cbranch_execz .LBB211_770
; %bb.765:                              ;   in Loop: Header=BB211_490 Depth=1
	v_mov_b32_e32 v17, 0x7f800001
	v_and_b32_e32 v9, 0x7f, v87
	v_mov_b32_e32 v18, 0
	s_mov_b32 s21, exec_lo
	v_cmpx_ne_u32_e32 0x7f, v9
	s_cbranch_execz .LBB211_769
; %bb.766:                              ;   in Loop: Header=BB211_490 Depth=1
	v_and_b32_e32 v5, 7, v87
	v_lshrrev_b32_e32 v7, 3, v9
	s_mov_b32 s22, exec_lo
	v_cmpx_gt_u32_e32 8, v9
; %bb.767:                              ;   in Loop: Header=BB211_490 Depth=1
	v_ffbh_u32_e32 v7, v5
	v_min_u32_e32 v7, 32, v7
	v_subrev_nc_u32_e32 v9, 28, v7
	v_sub_nc_u32_e32 v7, 29, v7
	v_lshlrev_b64 v[17:18], v9, v[5:6]
	v_and_b32_e32 v5, 7, v17
; %bb.768:                              ;   in Loop: Header=BB211_490 Depth=1
	s_or_b32 exec_lo, exec_lo, s22
	v_lshlrev_b32_e32 v9, 24, v87
	v_lshlrev_b32_e32 v5, 20, v5
	v_lshl_add_u32 v7, v7, 23, 0x3c000000
	v_and_b32_e32 v9, 0x80000000, v9
	v_or3_b32 v5, v5, v9, v7
	v_mov_b32_e32 v18, v6
	v_mov_b32_e32 v17, v5
.LBB211_769:                            ;   in Loop: Header=BB211_490 Depth=1
	s_or_b32 exec_lo, exec_lo, s21
.LBB211_770:                            ;   in Loop: Header=BB211_490 Depth=1
	s_or_b32 exec_lo, exec_lo, s18
.LBB211_771:                            ;   in Loop: Header=BB211_490 Depth=1
	s_or_b32 exec_lo, exec_lo, s17
	v_cmp_ne_u16_sdwa s0, v87, v6 src0_sel:BYTE_1 src1_sel:DWORD
	s_and_saveexec_b32 s17, s0
	s_cbranch_execz .LBB211_779
; %bb.772:                              ;   in Loop: Header=BB211_490 Depth=1
	v_mov_b32_e32 v7, v6
	v_mov_b32_e32 v20, v8
	v_cmp_ne_u16_sdwa s0, v87, v43 src0_sel:BYTE_1 src1_sel:DWORD
	v_mov_b32_e32 v19, v7
	s_and_saveexec_b32 s18, s0
	s_cbranch_execz .LBB211_778
; %bb.773:                              ;   in Loop: Header=BB211_490 Depth=1
	v_and_b32_sdwa v5, v44, v87 dst_sel:DWORD dst_unused:UNUSED_PAD src0_sel:DWORD src1_sel:BYTE_1
	v_mov_b32_e32 v9, v6
	v_mov_b32_e32 v20, v10
	s_mov_b32 s21, exec_lo
	v_and_b32_e32 v21, 0x7f, v5
	v_mov_b32_e32 v19, v9
	v_cmpx_ne_u32_e32 0x7f, v21
	s_cbranch_execz .LBB211_777
; %bb.774:                              ;   in Loop: Header=BB211_490 Depth=1
	v_and_b32_e32 v5, 7, v5
	v_lshrrev_b32_e32 v7, 3, v21
	s_mov_b32 s22, exec_lo
	v_cmpx_gt_u32_e32 8, v21
; %bb.775:                              ;   in Loop: Header=BB211_490 Depth=1
	v_ffbh_u32_e32 v7, v5
	v_min_u32_e32 v7, 32, v7
	v_subrev_nc_u32_e32 v9, 28, v7
	v_sub_nc_u32_e32 v7, 29, v7
	v_lshlrev_b64 v[19:20], v9, v[5:6]
	v_and_b32_e32 v5, 7, v19
; %bb.776:                              ;   in Loop: Header=BB211_490 Depth=1
	s_or_b32 exec_lo, exec_lo, s22
	v_lshlrev_b32_e32 v9, 16, v87
	v_lshlrev_b32_e32 v5, 20, v5
	v_lshl_add_u32 v7, v7, 23, 0x3c000000
	v_mov_b32_e32 v19, v6
	v_and_b32_e32 v9, 0x80000000, v9
	v_or3_b32 v20, v5, v9, v7
.LBB211_777:                            ;   in Loop: Header=BB211_490 Depth=1
	s_or_b32 exec_lo, exec_lo, s21
.LBB211_778:                            ;   in Loop: Header=BB211_490 Depth=1
	s_or_b32 exec_lo, exec_lo, s18
.LBB211_779:                            ;   in Loop: Header=BB211_490 Depth=1
	s_or_b32 exec_lo, exec_lo, s17
	v_mov_b32_e32 v23, 0
	v_mov_b32_e32 v21, 0
	v_and_b32_sdwa v5, v87, v45 dst_sel:DWORD dst_unused:UNUSED_PAD src0_sel:WORD_1 src1_sel:DWORD
	v_mov_b32_e32 v24, 0
	v_mov_b32_e32 v22, 0
	s_mov_b32 s17, exec_lo
	v_cmpx_ne_u16_e32 0, v5
	s_cbranch_execz .LBB211_787
; %bb.780:                              ;   in Loop: Header=BB211_490 Depth=1
	v_bfrev_b32_e32 v21, 1
	v_mov_b32_e32 v22, 0
	s_mov_b32 s18, exec_lo
	v_cmpx_ne_u16_e32 0x80, v5
	s_cbranch_execz .LBB211_786
; %bb.781:                              ;   in Loop: Header=BB211_490 Depth=1
	v_mov_b32_e32 v21, 0x7f800001
	v_bfe_u32 v9, v87, 16, 7
	v_mov_b32_e32 v22, 0
	s_mov_b32 s21, exec_lo
	v_cmpx_ne_u32_e32 0x7f, v9
	s_cbranch_execz .LBB211_785
; %bb.782:                              ;   in Loop: Header=BB211_490 Depth=1
	v_and_b32_sdwa v5, v87, v46 dst_sel:DWORD dst_unused:UNUSED_PAD src0_sel:WORD_1 src1_sel:DWORD
	v_lshrrev_b32_e32 v7, 3, v9
	s_mov_b32 s22, exec_lo
	v_cmpx_gt_u32_e32 8, v9
; %bb.783:                              ;   in Loop: Header=BB211_490 Depth=1
	v_ffbh_u32_e32 v7, v5
	v_min_u32_e32 v7, 32, v7
	v_subrev_nc_u32_e32 v9, 28, v7
	v_sub_nc_u32_e32 v7, 29, v7
	v_lshlrev_b64 v[21:22], v9, v[5:6]
	v_and_b32_e32 v5, 7, v21
; %bb.784:                              ;   in Loop: Header=BB211_490 Depth=1
	s_or_b32 exec_lo, exec_lo, s22
	v_lshlrev_b32_sdwa v9, v47, v87 dst_sel:DWORD dst_unused:UNUSED_PAD src0_sel:DWORD src1_sel:WORD_1
	v_lshlrev_b32_e32 v5, 20, v5
	v_lshl_add_u32 v7, v7, 23, 0x3c000000
	v_and_b32_e32 v9, 0x80000000, v9
	v_or3_b32 v5, v5, v9, v7
	v_mov_b32_e32 v22, v6
	v_mov_b32_e32 v21, v5
.LBB211_785:                            ;   in Loop: Header=BB211_490 Depth=1
	s_or_b32 exec_lo, exec_lo, s21
.LBB211_786:                            ;   in Loop: Header=BB211_490 Depth=1
	s_or_b32 exec_lo, exec_lo, s18
.LBB211_787:                            ;   in Loop: Header=BB211_490 Depth=1
	s_or_b32 exec_lo, exec_lo, s17
	s_mov_b32 s17, exec_lo
	v_cmpx_lt_u32_e32 0xffffff, v87
	s_cbranch_execz .LBB211_795
; %bb.788:                              ;   in Loop: Header=BB211_490 Depth=1
	v_mov_b32_e32 v7, v6
	v_mov_b32_e32 v24, v8
	v_cmp_ne_u32_sdwa s0, v87, v43 src0_sel:BYTE_3 src1_sel:DWORD
	v_mov_b32_e32 v23, v7
	s_and_saveexec_b32 s18, s0
	s_cbranch_execz .LBB211_794
; %bb.789:                              ;   in Loop: Header=BB211_490 Depth=1
	v_mov_b32_e32 v9, v6
	v_mov_b32_e32 v24, v10
	v_bfe_u32 v88, v87, 24, 7
	s_mov_b32 s21, exec_lo
	v_mov_b32_e32 v23, v9
	v_cmpx_ne_u32_e32 0x7f, v88
	s_cbranch_execz .LBB211_793
; %bb.790:                              ;   in Loop: Header=BB211_490 Depth=1
	v_and_b32_sdwa v5, v87, v46 dst_sel:DWORD dst_unused:UNUSED_PAD src0_sel:BYTE_3 src1_sel:DWORD
	v_lshrrev_b32_e32 v7, 3, v88
	s_mov_b32 s22, exec_lo
	v_cmpx_gt_u32_e32 8, v88
; %bb.791:                              ;   in Loop: Header=BB211_490 Depth=1
	v_ffbh_u32_e32 v7, v5
	v_min_u32_e32 v7, 32, v7
	v_subrev_nc_u32_e32 v9, 28, v7
	v_sub_nc_u32_e32 v7, 29, v7
	v_lshlrev_b64 v[23:24], v9, v[5:6]
	v_and_b32_e32 v5, 7, v23
; %bb.792:                              ;   in Loop: Header=BB211_490 Depth=1
	s_or_b32 exec_lo, exec_lo, s22
	v_lshlrev_b32_sdwa v9, v47, v87 dst_sel:DWORD dst_unused:UNUSED_PAD src0_sel:DWORD src1_sel:BYTE_3
	v_lshlrev_b32_e32 v5, 20, v5
	v_lshl_add_u32 v7, v7, 23, 0x3c000000
	v_mov_b32_e32 v23, v6
	v_and_b32_e32 v9, 0x80000000, v9
	v_or3_b32 v24, v5, v9, v7
.LBB211_793:                            ;   in Loop: Header=BB211_490 Depth=1
	s_or_b32 exec_lo, exec_lo, s21
.LBB211_794:                            ;   in Loop: Header=BB211_490 Depth=1
	s_or_b32 exec_lo, exec_lo, s18
.LBB211_795:                            ;   in Loop: Header=BB211_490 Depth=1
	s_or_b32 exec_lo, exec_lo, s17
	v_or_b32_e32 v5, v20, v18
	v_or_b32_e32 v7, v19, v17
	v_or_b32_e32 v9, v23, v21
	v_or_b32_e32 v17, v24, v22
	v_mul_f32_e32 v89, s13, v5
	v_mul_f32_e32 v90, s12, v7
	;; [unrolled: 1-line block ×4, first 2 shown]
	s_and_saveexec_b32 s17, vcc_lo
	s_cbranch_execz .LBB211_797
; %bb.796:                              ;   in Loop: Header=BB211_490 Depth=1
	v_cmp_gt_i32_e64 s0, s31, v55
	v_cndmask_b32_e64 v90, 0, v90, s0
	v_cmp_gt_i32_e64 s0, s31, v58
	v_cndmask_b32_e64 v89, 0, v89, s0
	;; [unrolled: 2-line block ×4, first 2 shown]
.LBB211_797:                            ;   in Loop: Header=BB211_490 Depth=1
	s_or_b32 exec_lo, exec_lo, s17
	global_load_dword v91, v[15:16], off offset:1152
	v_mov_b32_e32 v19, 0
	v_mov_b32_e32 v17, 0
	;; [unrolled: 1-line block ×4, first 2 shown]
	s_waitcnt vmcnt(0)
	v_cmp_ne_u16_sdwa s0, v91, v6 src0_sel:BYTE_0 src1_sel:DWORD
	s_and_saveexec_b32 s17, s0
	s_cbranch_execz .LBB211_805
; %bb.798:                              ;   in Loop: Header=BB211_490 Depth=1
	v_bfrev_b32_e32 v17, 1
	v_mov_b32_e32 v18, 0
	v_cmp_ne_u16_sdwa s0, v91, v43 src0_sel:BYTE_0 src1_sel:DWORD
	s_and_saveexec_b32 s18, s0
	s_cbranch_execz .LBB211_804
; %bb.799:                              ;   in Loop: Header=BB211_490 Depth=1
	v_mov_b32_e32 v17, 0x7f800001
	v_and_b32_e32 v9, 0x7f, v91
	v_mov_b32_e32 v18, 0
	s_mov_b32 s21, exec_lo
	v_cmpx_ne_u32_e32 0x7f, v9
	s_cbranch_execz .LBB211_803
; %bb.800:                              ;   in Loop: Header=BB211_490 Depth=1
	v_and_b32_e32 v5, 7, v91
	v_lshrrev_b32_e32 v7, 3, v9
	s_mov_b32 s22, exec_lo
	v_cmpx_gt_u32_e32 8, v9
; %bb.801:                              ;   in Loop: Header=BB211_490 Depth=1
	v_ffbh_u32_e32 v7, v5
	v_min_u32_e32 v7, 32, v7
	v_subrev_nc_u32_e32 v9, 28, v7
	v_sub_nc_u32_e32 v7, 29, v7
	v_lshlrev_b64 v[17:18], v9, v[5:6]
	v_and_b32_e32 v5, 7, v17
; %bb.802:                              ;   in Loop: Header=BB211_490 Depth=1
	s_or_b32 exec_lo, exec_lo, s22
	v_lshlrev_b32_e32 v9, 24, v91
	v_lshlrev_b32_e32 v5, 20, v5
	v_lshl_add_u32 v7, v7, 23, 0x3c000000
	v_and_b32_e32 v9, 0x80000000, v9
	v_or3_b32 v5, v5, v9, v7
	v_mov_b32_e32 v18, v6
	v_mov_b32_e32 v17, v5
.LBB211_803:                            ;   in Loop: Header=BB211_490 Depth=1
	s_or_b32 exec_lo, exec_lo, s21
.LBB211_804:                            ;   in Loop: Header=BB211_490 Depth=1
	s_or_b32 exec_lo, exec_lo, s18
.LBB211_805:                            ;   in Loop: Header=BB211_490 Depth=1
	s_or_b32 exec_lo, exec_lo, s17
	v_cmp_ne_u16_sdwa s0, v91, v6 src0_sel:BYTE_1 src1_sel:DWORD
	s_and_saveexec_b32 s17, s0
	s_cbranch_execz .LBB211_813
; %bb.806:                              ;   in Loop: Header=BB211_490 Depth=1
	v_mov_b32_e32 v7, v6
	v_mov_b32_e32 v20, v8
	v_cmp_ne_u16_sdwa s0, v91, v43 src0_sel:BYTE_1 src1_sel:DWORD
	v_mov_b32_e32 v19, v7
	s_and_saveexec_b32 s18, s0
	s_cbranch_execz .LBB211_812
; %bb.807:                              ;   in Loop: Header=BB211_490 Depth=1
	v_and_b32_sdwa v5, v44, v91 dst_sel:DWORD dst_unused:UNUSED_PAD src0_sel:DWORD src1_sel:BYTE_1
	v_mov_b32_e32 v9, v6
	v_mov_b32_e32 v20, v10
	s_mov_b32 s21, exec_lo
	v_and_b32_e32 v21, 0x7f, v5
	v_mov_b32_e32 v19, v9
	v_cmpx_ne_u32_e32 0x7f, v21
	s_cbranch_execz .LBB211_811
; %bb.808:                              ;   in Loop: Header=BB211_490 Depth=1
	v_and_b32_e32 v5, 7, v5
	v_lshrrev_b32_e32 v7, 3, v21
	s_mov_b32 s22, exec_lo
	v_cmpx_gt_u32_e32 8, v21
; %bb.809:                              ;   in Loop: Header=BB211_490 Depth=1
	v_ffbh_u32_e32 v7, v5
	v_min_u32_e32 v7, 32, v7
	v_subrev_nc_u32_e32 v9, 28, v7
	v_sub_nc_u32_e32 v7, 29, v7
	v_lshlrev_b64 v[19:20], v9, v[5:6]
	v_and_b32_e32 v5, 7, v19
; %bb.810:                              ;   in Loop: Header=BB211_490 Depth=1
	s_or_b32 exec_lo, exec_lo, s22
	v_lshlrev_b32_e32 v9, 16, v91
	v_lshlrev_b32_e32 v5, 20, v5
	v_lshl_add_u32 v7, v7, 23, 0x3c000000
	v_mov_b32_e32 v19, v6
	v_and_b32_e32 v9, 0x80000000, v9
	v_or3_b32 v20, v5, v9, v7
.LBB211_811:                            ;   in Loop: Header=BB211_490 Depth=1
	s_or_b32 exec_lo, exec_lo, s21
.LBB211_812:                            ;   in Loop: Header=BB211_490 Depth=1
	s_or_b32 exec_lo, exec_lo, s18
.LBB211_813:                            ;   in Loop: Header=BB211_490 Depth=1
	s_or_b32 exec_lo, exec_lo, s17
	v_mov_b32_e32 v23, 0
	v_mov_b32_e32 v21, 0
	v_and_b32_sdwa v5, v91, v45 dst_sel:DWORD dst_unused:UNUSED_PAD src0_sel:WORD_1 src1_sel:DWORD
	v_mov_b32_e32 v24, 0
	v_mov_b32_e32 v22, 0
	s_mov_b32 s17, exec_lo
	v_cmpx_ne_u16_e32 0, v5
	s_cbranch_execz .LBB211_821
; %bb.814:                              ;   in Loop: Header=BB211_490 Depth=1
	v_bfrev_b32_e32 v21, 1
	v_mov_b32_e32 v22, 0
	s_mov_b32 s18, exec_lo
	v_cmpx_ne_u16_e32 0x80, v5
	s_cbranch_execz .LBB211_820
; %bb.815:                              ;   in Loop: Header=BB211_490 Depth=1
	v_mov_b32_e32 v21, 0x7f800001
	v_bfe_u32 v9, v91, 16, 7
	v_mov_b32_e32 v22, 0
	s_mov_b32 s21, exec_lo
	v_cmpx_ne_u32_e32 0x7f, v9
	s_cbranch_execz .LBB211_819
; %bb.816:                              ;   in Loop: Header=BB211_490 Depth=1
	v_and_b32_sdwa v5, v91, v46 dst_sel:DWORD dst_unused:UNUSED_PAD src0_sel:WORD_1 src1_sel:DWORD
	v_lshrrev_b32_e32 v7, 3, v9
	s_mov_b32 s22, exec_lo
	v_cmpx_gt_u32_e32 8, v9
; %bb.817:                              ;   in Loop: Header=BB211_490 Depth=1
	v_ffbh_u32_e32 v7, v5
	v_min_u32_e32 v7, 32, v7
	v_subrev_nc_u32_e32 v9, 28, v7
	v_sub_nc_u32_e32 v7, 29, v7
	v_lshlrev_b64 v[21:22], v9, v[5:6]
	v_and_b32_e32 v5, 7, v21
; %bb.818:                              ;   in Loop: Header=BB211_490 Depth=1
	s_or_b32 exec_lo, exec_lo, s22
	v_lshlrev_b32_sdwa v9, v47, v91 dst_sel:DWORD dst_unused:UNUSED_PAD src0_sel:DWORD src1_sel:WORD_1
	v_lshlrev_b32_e32 v5, 20, v5
	v_lshl_add_u32 v7, v7, 23, 0x3c000000
	v_and_b32_e32 v9, 0x80000000, v9
	v_or3_b32 v5, v5, v9, v7
	v_mov_b32_e32 v22, v6
	v_mov_b32_e32 v21, v5
.LBB211_819:                            ;   in Loop: Header=BB211_490 Depth=1
	s_or_b32 exec_lo, exec_lo, s21
.LBB211_820:                            ;   in Loop: Header=BB211_490 Depth=1
	s_or_b32 exec_lo, exec_lo, s18
.LBB211_821:                            ;   in Loop: Header=BB211_490 Depth=1
	s_or_b32 exec_lo, exec_lo, s17
	s_mov_b32 s17, exec_lo
	v_cmpx_lt_u32_e32 0xffffff, v91
	s_cbranch_execz .LBB211_829
; %bb.822:                              ;   in Loop: Header=BB211_490 Depth=1
	v_mov_b32_e32 v7, v6
	v_mov_b32_e32 v24, v8
	v_cmp_ne_u32_sdwa s0, v91, v43 src0_sel:BYTE_3 src1_sel:DWORD
	v_mov_b32_e32 v23, v7
	s_and_saveexec_b32 s18, s0
	s_cbranch_execz .LBB211_828
; %bb.823:                              ;   in Loop: Header=BB211_490 Depth=1
	v_mov_b32_e32 v9, v6
	v_mov_b32_e32 v24, v10
	v_bfe_u32 v92, v91, 24, 7
	s_mov_b32 s21, exec_lo
	v_mov_b32_e32 v23, v9
	v_cmpx_ne_u32_e32 0x7f, v92
	s_cbranch_execz .LBB211_827
; %bb.824:                              ;   in Loop: Header=BB211_490 Depth=1
	v_and_b32_sdwa v5, v91, v46 dst_sel:DWORD dst_unused:UNUSED_PAD src0_sel:BYTE_3 src1_sel:DWORD
	v_lshrrev_b32_e32 v7, 3, v92
	s_mov_b32 s22, exec_lo
	v_cmpx_gt_u32_e32 8, v92
; %bb.825:                              ;   in Loop: Header=BB211_490 Depth=1
	v_ffbh_u32_e32 v7, v5
	v_min_u32_e32 v7, 32, v7
	v_subrev_nc_u32_e32 v9, 28, v7
	v_sub_nc_u32_e32 v7, 29, v7
	v_lshlrev_b64 v[23:24], v9, v[5:6]
	v_and_b32_e32 v5, 7, v23
; %bb.826:                              ;   in Loop: Header=BB211_490 Depth=1
	s_or_b32 exec_lo, exec_lo, s22
	v_lshlrev_b32_sdwa v9, v47, v91 dst_sel:DWORD dst_unused:UNUSED_PAD src0_sel:DWORD src1_sel:BYTE_3
	v_lshlrev_b32_e32 v5, 20, v5
	v_lshl_add_u32 v7, v7, 23, 0x3c000000
	v_mov_b32_e32 v23, v6
	v_and_b32_e32 v9, 0x80000000, v9
	v_or3_b32 v24, v5, v9, v7
.LBB211_827:                            ;   in Loop: Header=BB211_490 Depth=1
	s_or_b32 exec_lo, exec_lo, s21
.LBB211_828:                            ;   in Loop: Header=BB211_490 Depth=1
	s_or_b32 exec_lo, exec_lo, s18
.LBB211_829:                            ;   in Loop: Header=BB211_490 Depth=1
	s_or_b32 exec_lo, exec_lo, s17
	v_or_b32_e32 v5, v20, v18
	v_or_b32_e32 v7, v19, v17
	;; [unrolled: 1-line block ×4, first 2 shown]
	v_mul_f32_e32 v93, s13, v5
	v_mul_f32_e32 v94, s12, v7
	;; [unrolled: 1-line block ×4, first 2 shown]
	s_and_saveexec_b32 s17, vcc_lo
	s_cbranch_execz .LBB211_831
; %bb.830:                              ;   in Loop: Header=BB211_490 Depth=1
	v_cmp_gt_i32_e64 s0, s31, v55
	v_cndmask_b32_e64 v94, 0, v94, s0
	v_cmp_gt_i32_e64 s0, s31, v58
	v_cndmask_b32_e64 v93, 0, v93, s0
	;; [unrolled: 2-line block ×4, first 2 shown]
.LBB211_831:                            ;   in Loop: Header=BB211_490 Depth=1
	s_or_b32 exec_lo, exec_lo, s17
	global_load_dword v95, v[15:16], off offset:1280
	v_mov_b32_e32 v19, 0
	v_mov_b32_e32 v17, 0
	;; [unrolled: 1-line block ×4, first 2 shown]
	s_waitcnt vmcnt(0)
	v_cmp_ne_u16_sdwa s0, v95, v6 src0_sel:BYTE_0 src1_sel:DWORD
	s_and_saveexec_b32 s17, s0
	s_cbranch_execz .LBB211_839
; %bb.832:                              ;   in Loop: Header=BB211_490 Depth=1
	v_bfrev_b32_e32 v17, 1
	v_mov_b32_e32 v18, 0
	v_cmp_ne_u16_sdwa s0, v95, v43 src0_sel:BYTE_0 src1_sel:DWORD
	s_and_saveexec_b32 s18, s0
	s_cbranch_execz .LBB211_838
; %bb.833:                              ;   in Loop: Header=BB211_490 Depth=1
	v_mov_b32_e32 v17, 0x7f800001
	v_and_b32_e32 v9, 0x7f, v95
	v_mov_b32_e32 v18, 0
	s_mov_b32 s21, exec_lo
	v_cmpx_ne_u32_e32 0x7f, v9
	s_cbranch_execz .LBB211_837
; %bb.834:                              ;   in Loop: Header=BB211_490 Depth=1
	v_and_b32_e32 v5, 7, v95
	v_lshrrev_b32_e32 v7, 3, v9
	s_mov_b32 s22, exec_lo
	v_cmpx_gt_u32_e32 8, v9
; %bb.835:                              ;   in Loop: Header=BB211_490 Depth=1
	v_ffbh_u32_e32 v7, v5
	v_min_u32_e32 v7, 32, v7
	v_subrev_nc_u32_e32 v9, 28, v7
	v_sub_nc_u32_e32 v7, 29, v7
	v_lshlrev_b64 v[17:18], v9, v[5:6]
	v_and_b32_e32 v5, 7, v17
; %bb.836:                              ;   in Loop: Header=BB211_490 Depth=1
	s_or_b32 exec_lo, exec_lo, s22
	v_lshlrev_b32_e32 v9, 24, v95
	v_lshlrev_b32_e32 v5, 20, v5
	v_lshl_add_u32 v7, v7, 23, 0x3c000000
	v_and_b32_e32 v9, 0x80000000, v9
	v_or3_b32 v5, v5, v9, v7
	v_mov_b32_e32 v18, v6
	v_mov_b32_e32 v17, v5
.LBB211_837:                            ;   in Loop: Header=BB211_490 Depth=1
	s_or_b32 exec_lo, exec_lo, s21
.LBB211_838:                            ;   in Loop: Header=BB211_490 Depth=1
	s_or_b32 exec_lo, exec_lo, s18
.LBB211_839:                            ;   in Loop: Header=BB211_490 Depth=1
	s_or_b32 exec_lo, exec_lo, s17
	v_cmp_ne_u16_sdwa s0, v95, v6 src0_sel:BYTE_1 src1_sel:DWORD
	s_and_saveexec_b32 s17, s0
	s_cbranch_execz .LBB211_847
; %bb.840:                              ;   in Loop: Header=BB211_490 Depth=1
	v_mov_b32_e32 v7, v6
	v_mov_b32_e32 v20, v8
	v_cmp_ne_u16_sdwa s0, v95, v43 src0_sel:BYTE_1 src1_sel:DWORD
	v_mov_b32_e32 v19, v7
	s_and_saveexec_b32 s18, s0
	s_cbranch_execz .LBB211_846
; %bb.841:                              ;   in Loop: Header=BB211_490 Depth=1
	v_and_b32_sdwa v5, v44, v95 dst_sel:DWORD dst_unused:UNUSED_PAD src0_sel:DWORD src1_sel:BYTE_1
	v_mov_b32_e32 v9, v6
	v_mov_b32_e32 v20, v10
	s_mov_b32 s21, exec_lo
	v_and_b32_e32 v21, 0x7f, v5
	v_mov_b32_e32 v19, v9
	v_cmpx_ne_u32_e32 0x7f, v21
	s_cbranch_execz .LBB211_845
; %bb.842:                              ;   in Loop: Header=BB211_490 Depth=1
	v_and_b32_e32 v5, 7, v5
	v_lshrrev_b32_e32 v7, 3, v21
	s_mov_b32 s22, exec_lo
	v_cmpx_gt_u32_e32 8, v21
; %bb.843:                              ;   in Loop: Header=BB211_490 Depth=1
	v_ffbh_u32_e32 v7, v5
	v_min_u32_e32 v7, 32, v7
	v_subrev_nc_u32_e32 v9, 28, v7
	v_sub_nc_u32_e32 v7, 29, v7
	v_lshlrev_b64 v[19:20], v9, v[5:6]
	v_and_b32_e32 v5, 7, v19
; %bb.844:                              ;   in Loop: Header=BB211_490 Depth=1
	s_or_b32 exec_lo, exec_lo, s22
	v_lshlrev_b32_e32 v9, 16, v95
	v_lshlrev_b32_e32 v5, 20, v5
	v_lshl_add_u32 v7, v7, 23, 0x3c000000
	v_mov_b32_e32 v19, v6
	v_and_b32_e32 v9, 0x80000000, v9
	v_or3_b32 v20, v5, v9, v7
.LBB211_845:                            ;   in Loop: Header=BB211_490 Depth=1
	s_or_b32 exec_lo, exec_lo, s21
.LBB211_846:                            ;   in Loop: Header=BB211_490 Depth=1
	s_or_b32 exec_lo, exec_lo, s18
.LBB211_847:                            ;   in Loop: Header=BB211_490 Depth=1
	s_or_b32 exec_lo, exec_lo, s17
	v_mov_b32_e32 v23, 0
	v_mov_b32_e32 v21, 0
	v_and_b32_sdwa v5, v95, v45 dst_sel:DWORD dst_unused:UNUSED_PAD src0_sel:WORD_1 src1_sel:DWORD
	v_mov_b32_e32 v24, 0
	v_mov_b32_e32 v22, 0
	s_mov_b32 s17, exec_lo
	v_cmpx_ne_u16_e32 0, v5
	s_cbranch_execz .LBB211_855
; %bb.848:                              ;   in Loop: Header=BB211_490 Depth=1
	v_bfrev_b32_e32 v21, 1
	v_mov_b32_e32 v22, 0
	s_mov_b32 s18, exec_lo
	v_cmpx_ne_u16_e32 0x80, v5
	s_cbranch_execz .LBB211_854
; %bb.849:                              ;   in Loop: Header=BB211_490 Depth=1
	v_mov_b32_e32 v21, 0x7f800001
	v_bfe_u32 v9, v95, 16, 7
	v_mov_b32_e32 v22, 0
	s_mov_b32 s21, exec_lo
	v_cmpx_ne_u32_e32 0x7f, v9
	s_cbranch_execz .LBB211_853
; %bb.850:                              ;   in Loop: Header=BB211_490 Depth=1
	v_and_b32_sdwa v5, v95, v46 dst_sel:DWORD dst_unused:UNUSED_PAD src0_sel:WORD_1 src1_sel:DWORD
	v_lshrrev_b32_e32 v7, 3, v9
	s_mov_b32 s22, exec_lo
	v_cmpx_gt_u32_e32 8, v9
; %bb.851:                              ;   in Loop: Header=BB211_490 Depth=1
	v_ffbh_u32_e32 v7, v5
	v_min_u32_e32 v7, 32, v7
	v_subrev_nc_u32_e32 v9, 28, v7
	v_sub_nc_u32_e32 v7, 29, v7
	v_lshlrev_b64 v[21:22], v9, v[5:6]
	v_and_b32_e32 v5, 7, v21
; %bb.852:                              ;   in Loop: Header=BB211_490 Depth=1
	s_or_b32 exec_lo, exec_lo, s22
	v_lshlrev_b32_sdwa v9, v47, v95 dst_sel:DWORD dst_unused:UNUSED_PAD src0_sel:DWORD src1_sel:WORD_1
	v_lshlrev_b32_e32 v5, 20, v5
	v_lshl_add_u32 v7, v7, 23, 0x3c000000
	v_and_b32_e32 v9, 0x80000000, v9
	v_or3_b32 v5, v5, v9, v7
	v_mov_b32_e32 v22, v6
	v_mov_b32_e32 v21, v5
.LBB211_853:                            ;   in Loop: Header=BB211_490 Depth=1
	s_or_b32 exec_lo, exec_lo, s21
.LBB211_854:                            ;   in Loop: Header=BB211_490 Depth=1
	s_or_b32 exec_lo, exec_lo, s18
.LBB211_855:                            ;   in Loop: Header=BB211_490 Depth=1
	s_or_b32 exec_lo, exec_lo, s17
	s_mov_b32 s17, exec_lo
	v_cmpx_lt_u32_e32 0xffffff, v95
	s_cbranch_execz .LBB211_863
; %bb.856:                              ;   in Loop: Header=BB211_490 Depth=1
	v_mov_b32_e32 v7, v6
	v_mov_b32_e32 v24, v8
	v_cmp_ne_u32_sdwa s0, v95, v43 src0_sel:BYTE_3 src1_sel:DWORD
	v_mov_b32_e32 v23, v7
	s_and_saveexec_b32 s18, s0
	s_cbranch_execz .LBB211_862
; %bb.857:                              ;   in Loop: Header=BB211_490 Depth=1
	v_mov_b32_e32 v9, v6
	v_mov_b32_e32 v24, v10
	v_bfe_u32 v96, v95, 24, 7
	s_mov_b32 s21, exec_lo
	v_mov_b32_e32 v23, v9
	v_cmpx_ne_u32_e32 0x7f, v96
	s_cbranch_execz .LBB211_861
; %bb.858:                              ;   in Loop: Header=BB211_490 Depth=1
	v_and_b32_sdwa v5, v95, v46 dst_sel:DWORD dst_unused:UNUSED_PAD src0_sel:BYTE_3 src1_sel:DWORD
	v_lshrrev_b32_e32 v7, 3, v96
	s_mov_b32 s22, exec_lo
	v_cmpx_gt_u32_e32 8, v96
; %bb.859:                              ;   in Loop: Header=BB211_490 Depth=1
	v_ffbh_u32_e32 v7, v5
	v_min_u32_e32 v7, 32, v7
	v_subrev_nc_u32_e32 v9, 28, v7
	v_sub_nc_u32_e32 v7, 29, v7
	v_lshlrev_b64 v[23:24], v9, v[5:6]
	v_and_b32_e32 v5, 7, v23
; %bb.860:                              ;   in Loop: Header=BB211_490 Depth=1
	s_or_b32 exec_lo, exec_lo, s22
	v_lshlrev_b32_sdwa v9, v47, v95 dst_sel:DWORD dst_unused:UNUSED_PAD src0_sel:DWORD src1_sel:BYTE_3
	v_lshlrev_b32_e32 v5, 20, v5
	v_lshl_add_u32 v7, v7, 23, 0x3c000000
	v_mov_b32_e32 v23, v6
	v_and_b32_e32 v9, 0x80000000, v9
	v_or3_b32 v24, v5, v9, v7
.LBB211_861:                            ;   in Loop: Header=BB211_490 Depth=1
	s_or_b32 exec_lo, exec_lo, s21
.LBB211_862:                            ;   in Loop: Header=BB211_490 Depth=1
	s_or_b32 exec_lo, exec_lo, s18
.LBB211_863:                            ;   in Loop: Header=BB211_490 Depth=1
	s_or_b32 exec_lo, exec_lo, s17
	v_or_b32_e32 v5, v20, v18
	v_or_b32_e32 v7, v19, v17
	;; [unrolled: 1-line block ×4, first 2 shown]
	v_mul_f32_e32 v97, s13, v5
	v_mul_f32_e32 v98, s12, v7
	;; [unrolled: 1-line block ×4, first 2 shown]
	s_and_saveexec_b32 s17, vcc_lo
	s_cbranch_execz .LBB211_865
; %bb.864:                              ;   in Loop: Header=BB211_490 Depth=1
	v_cmp_gt_i32_e64 s0, s31, v55
	v_cndmask_b32_e64 v98, 0, v98, s0
	v_cmp_gt_i32_e64 s0, s31, v58
	v_cndmask_b32_e64 v97, 0, v97, s0
	;; [unrolled: 2-line block ×4, first 2 shown]
.LBB211_865:                            ;   in Loop: Header=BB211_490 Depth=1
	s_or_b32 exec_lo, exec_lo, s17
	global_load_dword v99, v[15:16], off offset:1408
	v_mov_b32_e32 v19, 0
	v_mov_b32_e32 v17, 0
	;; [unrolled: 1-line block ×4, first 2 shown]
	s_waitcnt vmcnt(0)
	v_cmp_ne_u16_sdwa s0, v99, v6 src0_sel:BYTE_0 src1_sel:DWORD
	s_and_saveexec_b32 s17, s0
	s_cbranch_execz .LBB211_873
; %bb.866:                              ;   in Loop: Header=BB211_490 Depth=1
	v_bfrev_b32_e32 v17, 1
	v_mov_b32_e32 v18, 0
	v_cmp_ne_u16_sdwa s0, v99, v43 src0_sel:BYTE_0 src1_sel:DWORD
	s_and_saveexec_b32 s18, s0
	s_cbranch_execz .LBB211_872
; %bb.867:                              ;   in Loop: Header=BB211_490 Depth=1
	v_mov_b32_e32 v17, 0x7f800001
	v_and_b32_e32 v9, 0x7f, v99
	v_mov_b32_e32 v18, 0
	s_mov_b32 s21, exec_lo
	v_cmpx_ne_u32_e32 0x7f, v9
	s_cbranch_execz .LBB211_871
; %bb.868:                              ;   in Loop: Header=BB211_490 Depth=1
	v_and_b32_e32 v5, 7, v99
	v_lshrrev_b32_e32 v7, 3, v9
	s_mov_b32 s22, exec_lo
	v_cmpx_gt_u32_e32 8, v9
; %bb.869:                              ;   in Loop: Header=BB211_490 Depth=1
	v_ffbh_u32_e32 v7, v5
	v_min_u32_e32 v7, 32, v7
	v_subrev_nc_u32_e32 v9, 28, v7
	v_sub_nc_u32_e32 v7, 29, v7
	v_lshlrev_b64 v[17:18], v9, v[5:6]
	v_and_b32_e32 v5, 7, v17
; %bb.870:                              ;   in Loop: Header=BB211_490 Depth=1
	s_or_b32 exec_lo, exec_lo, s22
	v_lshlrev_b32_e32 v9, 24, v99
	v_lshlrev_b32_e32 v5, 20, v5
	v_lshl_add_u32 v7, v7, 23, 0x3c000000
	v_and_b32_e32 v9, 0x80000000, v9
	v_or3_b32 v5, v5, v9, v7
	v_mov_b32_e32 v18, v6
	v_mov_b32_e32 v17, v5
.LBB211_871:                            ;   in Loop: Header=BB211_490 Depth=1
	s_or_b32 exec_lo, exec_lo, s21
.LBB211_872:                            ;   in Loop: Header=BB211_490 Depth=1
	s_or_b32 exec_lo, exec_lo, s18
.LBB211_873:                            ;   in Loop: Header=BB211_490 Depth=1
	s_or_b32 exec_lo, exec_lo, s17
	v_cmp_ne_u16_sdwa s0, v99, v6 src0_sel:BYTE_1 src1_sel:DWORD
	s_and_saveexec_b32 s17, s0
	s_cbranch_execz .LBB211_881
; %bb.874:                              ;   in Loop: Header=BB211_490 Depth=1
	v_mov_b32_e32 v7, v6
	v_mov_b32_e32 v20, v8
	v_cmp_ne_u16_sdwa s0, v99, v43 src0_sel:BYTE_1 src1_sel:DWORD
	v_mov_b32_e32 v19, v7
	s_and_saveexec_b32 s18, s0
	s_cbranch_execz .LBB211_880
; %bb.875:                              ;   in Loop: Header=BB211_490 Depth=1
	v_and_b32_sdwa v5, v44, v99 dst_sel:DWORD dst_unused:UNUSED_PAD src0_sel:DWORD src1_sel:BYTE_1
	v_mov_b32_e32 v9, v6
	v_mov_b32_e32 v20, v10
	s_mov_b32 s21, exec_lo
	v_and_b32_e32 v21, 0x7f, v5
	v_mov_b32_e32 v19, v9
	v_cmpx_ne_u32_e32 0x7f, v21
	s_cbranch_execz .LBB211_879
; %bb.876:                              ;   in Loop: Header=BB211_490 Depth=1
	v_and_b32_e32 v5, 7, v5
	v_lshrrev_b32_e32 v7, 3, v21
	s_mov_b32 s22, exec_lo
	v_cmpx_gt_u32_e32 8, v21
; %bb.877:                              ;   in Loop: Header=BB211_490 Depth=1
	v_ffbh_u32_e32 v7, v5
	v_min_u32_e32 v7, 32, v7
	v_subrev_nc_u32_e32 v9, 28, v7
	v_sub_nc_u32_e32 v7, 29, v7
	v_lshlrev_b64 v[19:20], v9, v[5:6]
	v_and_b32_e32 v5, 7, v19
; %bb.878:                              ;   in Loop: Header=BB211_490 Depth=1
	s_or_b32 exec_lo, exec_lo, s22
	v_lshlrev_b32_e32 v9, 16, v99
	v_lshlrev_b32_e32 v5, 20, v5
	v_lshl_add_u32 v7, v7, 23, 0x3c000000
	v_mov_b32_e32 v19, v6
	v_and_b32_e32 v9, 0x80000000, v9
	v_or3_b32 v20, v5, v9, v7
.LBB211_879:                            ;   in Loop: Header=BB211_490 Depth=1
	s_or_b32 exec_lo, exec_lo, s21
.LBB211_880:                            ;   in Loop: Header=BB211_490 Depth=1
	s_or_b32 exec_lo, exec_lo, s18
.LBB211_881:                            ;   in Loop: Header=BB211_490 Depth=1
	s_or_b32 exec_lo, exec_lo, s17
	v_mov_b32_e32 v23, 0
	v_mov_b32_e32 v21, 0
	v_and_b32_sdwa v5, v99, v45 dst_sel:DWORD dst_unused:UNUSED_PAD src0_sel:WORD_1 src1_sel:DWORD
	v_mov_b32_e32 v24, 0
	v_mov_b32_e32 v22, 0
	s_mov_b32 s17, exec_lo
	v_cmpx_ne_u16_e32 0, v5
	s_cbranch_execz .LBB211_889
; %bb.882:                              ;   in Loop: Header=BB211_490 Depth=1
	v_bfrev_b32_e32 v21, 1
	v_mov_b32_e32 v22, 0
	s_mov_b32 s18, exec_lo
	v_cmpx_ne_u16_e32 0x80, v5
	s_cbranch_execz .LBB211_888
; %bb.883:                              ;   in Loop: Header=BB211_490 Depth=1
	v_mov_b32_e32 v21, 0x7f800001
	v_bfe_u32 v9, v99, 16, 7
	v_mov_b32_e32 v22, 0
	s_mov_b32 s21, exec_lo
	v_cmpx_ne_u32_e32 0x7f, v9
	s_cbranch_execz .LBB211_887
; %bb.884:                              ;   in Loop: Header=BB211_490 Depth=1
	v_and_b32_sdwa v5, v99, v46 dst_sel:DWORD dst_unused:UNUSED_PAD src0_sel:WORD_1 src1_sel:DWORD
	v_lshrrev_b32_e32 v7, 3, v9
	s_mov_b32 s22, exec_lo
	v_cmpx_gt_u32_e32 8, v9
; %bb.885:                              ;   in Loop: Header=BB211_490 Depth=1
	v_ffbh_u32_e32 v7, v5
	v_min_u32_e32 v7, 32, v7
	v_subrev_nc_u32_e32 v9, 28, v7
	v_sub_nc_u32_e32 v7, 29, v7
	v_lshlrev_b64 v[21:22], v9, v[5:6]
	v_and_b32_e32 v5, 7, v21
; %bb.886:                              ;   in Loop: Header=BB211_490 Depth=1
	s_or_b32 exec_lo, exec_lo, s22
	v_lshlrev_b32_sdwa v9, v47, v99 dst_sel:DWORD dst_unused:UNUSED_PAD src0_sel:DWORD src1_sel:WORD_1
	v_lshlrev_b32_e32 v5, 20, v5
	v_lshl_add_u32 v7, v7, 23, 0x3c000000
	v_and_b32_e32 v9, 0x80000000, v9
	v_or3_b32 v5, v5, v9, v7
	v_mov_b32_e32 v22, v6
	v_mov_b32_e32 v21, v5
.LBB211_887:                            ;   in Loop: Header=BB211_490 Depth=1
	s_or_b32 exec_lo, exec_lo, s21
.LBB211_888:                            ;   in Loop: Header=BB211_490 Depth=1
	s_or_b32 exec_lo, exec_lo, s18
.LBB211_889:                            ;   in Loop: Header=BB211_490 Depth=1
	s_or_b32 exec_lo, exec_lo, s17
	s_mov_b32 s17, exec_lo
	v_cmpx_lt_u32_e32 0xffffff, v99
	s_cbranch_execz .LBB211_897
; %bb.890:                              ;   in Loop: Header=BB211_490 Depth=1
	v_mov_b32_e32 v7, v6
	v_mov_b32_e32 v24, v8
	v_cmp_ne_u32_sdwa s0, v99, v43 src0_sel:BYTE_3 src1_sel:DWORD
	v_mov_b32_e32 v23, v7
	s_and_saveexec_b32 s18, s0
	s_cbranch_execz .LBB211_896
; %bb.891:                              ;   in Loop: Header=BB211_490 Depth=1
	v_mov_b32_e32 v9, v6
	v_mov_b32_e32 v24, v10
	v_bfe_u32 v100, v99, 24, 7
	s_mov_b32 s21, exec_lo
	v_mov_b32_e32 v23, v9
	v_cmpx_ne_u32_e32 0x7f, v100
	s_cbranch_execz .LBB211_895
; %bb.892:                              ;   in Loop: Header=BB211_490 Depth=1
	v_and_b32_sdwa v5, v99, v46 dst_sel:DWORD dst_unused:UNUSED_PAD src0_sel:BYTE_3 src1_sel:DWORD
	v_lshrrev_b32_e32 v7, 3, v100
	s_mov_b32 s22, exec_lo
	v_cmpx_gt_u32_e32 8, v100
; %bb.893:                              ;   in Loop: Header=BB211_490 Depth=1
	v_ffbh_u32_e32 v7, v5
	v_min_u32_e32 v7, 32, v7
	v_subrev_nc_u32_e32 v9, 28, v7
	v_sub_nc_u32_e32 v7, 29, v7
	v_lshlrev_b64 v[23:24], v9, v[5:6]
	v_and_b32_e32 v5, 7, v23
; %bb.894:                              ;   in Loop: Header=BB211_490 Depth=1
	s_or_b32 exec_lo, exec_lo, s22
	v_lshlrev_b32_sdwa v9, v47, v99 dst_sel:DWORD dst_unused:UNUSED_PAD src0_sel:DWORD src1_sel:BYTE_3
	v_lshlrev_b32_e32 v5, 20, v5
	v_lshl_add_u32 v7, v7, 23, 0x3c000000
	v_mov_b32_e32 v23, v6
	v_and_b32_e32 v9, 0x80000000, v9
	v_or3_b32 v24, v5, v9, v7
.LBB211_895:                            ;   in Loop: Header=BB211_490 Depth=1
	s_or_b32 exec_lo, exec_lo, s21
.LBB211_896:                            ;   in Loop: Header=BB211_490 Depth=1
	s_or_b32 exec_lo, exec_lo, s18
.LBB211_897:                            ;   in Loop: Header=BB211_490 Depth=1
	s_or_b32 exec_lo, exec_lo, s17
	v_or_b32_e32 v5, v20, v18
	v_or_b32_e32 v7, v19, v17
	;; [unrolled: 1-line block ×4, first 2 shown]
	v_mul_f32_e32 v101, s13, v5
	v_mul_f32_e32 v102, s12, v7
	;; [unrolled: 1-line block ×4, first 2 shown]
	s_and_saveexec_b32 s17, vcc_lo
	s_cbranch_execz .LBB211_899
; %bb.898:                              ;   in Loop: Header=BB211_490 Depth=1
	v_cmp_gt_i32_e64 s0, s31, v55
	v_cndmask_b32_e64 v102, 0, v102, s0
	v_cmp_gt_i32_e64 s0, s31, v58
	v_cndmask_b32_e64 v101, 0, v101, s0
	;; [unrolled: 2-line block ×4, first 2 shown]
.LBB211_899:                            ;   in Loop: Header=BB211_490 Depth=1
	s_or_b32 exec_lo, exec_lo, s17
	global_load_dword v103, v[15:16], off offset:1536
	v_mov_b32_e32 v19, 0
	v_mov_b32_e32 v17, 0
	;; [unrolled: 1-line block ×4, first 2 shown]
	s_waitcnt vmcnt(0)
	v_cmp_ne_u16_sdwa s0, v103, v6 src0_sel:BYTE_0 src1_sel:DWORD
	s_and_saveexec_b32 s17, s0
	s_cbranch_execz .LBB211_907
; %bb.900:                              ;   in Loop: Header=BB211_490 Depth=1
	v_bfrev_b32_e32 v17, 1
	v_mov_b32_e32 v18, 0
	v_cmp_ne_u16_sdwa s0, v103, v43 src0_sel:BYTE_0 src1_sel:DWORD
	s_and_saveexec_b32 s18, s0
	s_cbranch_execz .LBB211_906
; %bb.901:                              ;   in Loop: Header=BB211_490 Depth=1
	v_mov_b32_e32 v17, 0x7f800001
	v_and_b32_e32 v9, 0x7f, v103
	v_mov_b32_e32 v18, 0
	s_mov_b32 s21, exec_lo
	v_cmpx_ne_u32_e32 0x7f, v9
	s_cbranch_execz .LBB211_905
; %bb.902:                              ;   in Loop: Header=BB211_490 Depth=1
	v_and_b32_e32 v5, 7, v103
	v_lshrrev_b32_e32 v7, 3, v9
	s_mov_b32 s22, exec_lo
	v_cmpx_gt_u32_e32 8, v9
; %bb.903:                              ;   in Loop: Header=BB211_490 Depth=1
	v_ffbh_u32_e32 v7, v5
	v_min_u32_e32 v7, 32, v7
	v_subrev_nc_u32_e32 v9, 28, v7
	v_sub_nc_u32_e32 v7, 29, v7
	v_lshlrev_b64 v[17:18], v9, v[5:6]
	v_and_b32_e32 v5, 7, v17
; %bb.904:                              ;   in Loop: Header=BB211_490 Depth=1
	s_or_b32 exec_lo, exec_lo, s22
	v_lshlrev_b32_e32 v9, 24, v103
	v_lshlrev_b32_e32 v5, 20, v5
	v_lshl_add_u32 v7, v7, 23, 0x3c000000
	v_and_b32_e32 v9, 0x80000000, v9
	v_or3_b32 v5, v5, v9, v7
	v_mov_b32_e32 v18, v6
	v_mov_b32_e32 v17, v5
.LBB211_905:                            ;   in Loop: Header=BB211_490 Depth=1
	s_or_b32 exec_lo, exec_lo, s21
.LBB211_906:                            ;   in Loop: Header=BB211_490 Depth=1
	s_or_b32 exec_lo, exec_lo, s18
.LBB211_907:                            ;   in Loop: Header=BB211_490 Depth=1
	s_or_b32 exec_lo, exec_lo, s17
	v_cmp_ne_u16_sdwa s0, v103, v6 src0_sel:BYTE_1 src1_sel:DWORD
	s_and_saveexec_b32 s17, s0
	s_cbranch_execz .LBB211_915
; %bb.908:                              ;   in Loop: Header=BB211_490 Depth=1
	v_mov_b32_e32 v7, v6
	v_mov_b32_e32 v20, v8
	v_cmp_ne_u16_sdwa s0, v103, v43 src0_sel:BYTE_1 src1_sel:DWORD
	v_mov_b32_e32 v19, v7
	s_and_saveexec_b32 s18, s0
	s_cbranch_execz .LBB211_914
; %bb.909:                              ;   in Loop: Header=BB211_490 Depth=1
	v_and_b32_sdwa v5, v44, v103 dst_sel:DWORD dst_unused:UNUSED_PAD src0_sel:DWORD src1_sel:BYTE_1
	v_mov_b32_e32 v9, v6
	v_mov_b32_e32 v20, v10
	s_mov_b32 s21, exec_lo
	v_and_b32_e32 v21, 0x7f, v5
	v_mov_b32_e32 v19, v9
	v_cmpx_ne_u32_e32 0x7f, v21
	s_cbranch_execz .LBB211_913
; %bb.910:                              ;   in Loop: Header=BB211_490 Depth=1
	v_and_b32_e32 v5, 7, v5
	v_lshrrev_b32_e32 v7, 3, v21
	s_mov_b32 s22, exec_lo
	v_cmpx_gt_u32_e32 8, v21
; %bb.911:                              ;   in Loop: Header=BB211_490 Depth=1
	v_ffbh_u32_e32 v7, v5
	v_min_u32_e32 v7, 32, v7
	v_subrev_nc_u32_e32 v9, 28, v7
	v_sub_nc_u32_e32 v7, 29, v7
	v_lshlrev_b64 v[19:20], v9, v[5:6]
	v_and_b32_e32 v5, 7, v19
; %bb.912:                              ;   in Loop: Header=BB211_490 Depth=1
	s_or_b32 exec_lo, exec_lo, s22
	v_lshlrev_b32_e32 v9, 16, v103
	v_lshlrev_b32_e32 v5, 20, v5
	v_lshl_add_u32 v7, v7, 23, 0x3c000000
	v_mov_b32_e32 v19, v6
	v_and_b32_e32 v9, 0x80000000, v9
	v_or3_b32 v20, v5, v9, v7
.LBB211_913:                            ;   in Loop: Header=BB211_490 Depth=1
	s_or_b32 exec_lo, exec_lo, s21
.LBB211_914:                            ;   in Loop: Header=BB211_490 Depth=1
	s_or_b32 exec_lo, exec_lo, s18
.LBB211_915:                            ;   in Loop: Header=BB211_490 Depth=1
	s_or_b32 exec_lo, exec_lo, s17
	v_mov_b32_e32 v23, 0
	v_mov_b32_e32 v21, 0
	v_and_b32_sdwa v5, v103, v45 dst_sel:DWORD dst_unused:UNUSED_PAD src0_sel:WORD_1 src1_sel:DWORD
	v_mov_b32_e32 v24, 0
	v_mov_b32_e32 v22, 0
	s_mov_b32 s17, exec_lo
	v_cmpx_ne_u16_e32 0, v5
	s_cbranch_execz .LBB211_923
; %bb.916:                              ;   in Loop: Header=BB211_490 Depth=1
	v_bfrev_b32_e32 v21, 1
	v_mov_b32_e32 v22, 0
	s_mov_b32 s18, exec_lo
	v_cmpx_ne_u16_e32 0x80, v5
	s_cbranch_execz .LBB211_922
; %bb.917:                              ;   in Loop: Header=BB211_490 Depth=1
	v_mov_b32_e32 v21, 0x7f800001
	v_bfe_u32 v9, v103, 16, 7
	v_mov_b32_e32 v22, 0
	s_mov_b32 s21, exec_lo
	v_cmpx_ne_u32_e32 0x7f, v9
	s_cbranch_execz .LBB211_921
; %bb.918:                              ;   in Loop: Header=BB211_490 Depth=1
	v_and_b32_sdwa v5, v103, v46 dst_sel:DWORD dst_unused:UNUSED_PAD src0_sel:WORD_1 src1_sel:DWORD
	v_lshrrev_b32_e32 v7, 3, v9
	s_mov_b32 s22, exec_lo
	v_cmpx_gt_u32_e32 8, v9
; %bb.919:                              ;   in Loop: Header=BB211_490 Depth=1
	v_ffbh_u32_e32 v7, v5
	v_min_u32_e32 v7, 32, v7
	v_subrev_nc_u32_e32 v9, 28, v7
	v_sub_nc_u32_e32 v7, 29, v7
	v_lshlrev_b64 v[21:22], v9, v[5:6]
	v_and_b32_e32 v5, 7, v21
; %bb.920:                              ;   in Loop: Header=BB211_490 Depth=1
	s_or_b32 exec_lo, exec_lo, s22
	v_lshlrev_b32_sdwa v9, v47, v103 dst_sel:DWORD dst_unused:UNUSED_PAD src0_sel:DWORD src1_sel:WORD_1
	v_lshlrev_b32_e32 v5, 20, v5
	v_lshl_add_u32 v7, v7, 23, 0x3c000000
	v_and_b32_e32 v9, 0x80000000, v9
	v_or3_b32 v5, v5, v9, v7
	v_mov_b32_e32 v22, v6
	v_mov_b32_e32 v21, v5
.LBB211_921:                            ;   in Loop: Header=BB211_490 Depth=1
	s_or_b32 exec_lo, exec_lo, s21
.LBB211_922:                            ;   in Loop: Header=BB211_490 Depth=1
	s_or_b32 exec_lo, exec_lo, s18
.LBB211_923:                            ;   in Loop: Header=BB211_490 Depth=1
	s_or_b32 exec_lo, exec_lo, s17
	s_mov_b32 s17, exec_lo
	v_cmpx_lt_u32_e32 0xffffff, v103
	s_cbranch_execz .LBB211_931
; %bb.924:                              ;   in Loop: Header=BB211_490 Depth=1
	v_mov_b32_e32 v7, v6
	v_mov_b32_e32 v24, v8
	v_cmp_ne_u32_sdwa s0, v103, v43 src0_sel:BYTE_3 src1_sel:DWORD
	v_mov_b32_e32 v23, v7
	s_and_saveexec_b32 s18, s0
	s_cbranch_execz .LBB211_930
; %bb.925:                              ;   in Loop: Header=BB211_490 Depth=1
	v_mov_b32_e32 v9, v6
	v_mov_b32_e32 v24, v10
	v_bfe_u32 v104, v103, 24, 7
	s_mov_b32 s21, exec_lo
	v_mov_b32_e32 v23, v9
	v_cmpx_ne_u32_e32 0x7f, v104
	s_cbranch_execz .LBB211_929
; %bb.926:                              ;   in Loop: Header=BB211_490 Depth=1
	v_and_b32_sdwa v5, v103, v46 dst_sel:DWORD dst_unused:UNUSED_PAD src0_sel:BYTE_3 src1_sel:DWORD
	v_lshrrev_b32_e32 v7, 3, v104
	s_mov_b32 s22, exec_lo
	v_cmpx_gt_u32_e32 8, v104
; %bb.927:                              ;   in Loop: Header=BB211_490 Depth=1
	v_ffbh_u32_e32 v7, v5
	v_min_u32_e32 v7, 32, v7
	v_subrev_nc_u32_e32 v9, 28, v7
	v_sub_nc_u32_e32 v7, 29, v7
	v_lshlrev_b64 v[23:24], v9, v[5:6]
	v_and_b32_e32 v5, 7, v23
; %bb.928:                              ;   in Loop: Header=BB211_490 Depth=1
	s_or_b32 exec_lo, exec_lo, s22
	v_lshlrev_b32_sdwa v9, v47, v103 dst_sel:DWORD dst_unused:UNUSED_PAD src0_sel:DWORD src1_sel:BYTE_3
	v_lshlrev_b32_e32 v5, 20, v5
	v_lshl_add_u32 v7, v7, 23, 0x3c000000
	v_mov_b32_e32 v23, v6
	v_and_b32_e32 v9, 0x80000000, v9
	v_or3_b32 v24, v5, v9, v7
.LBB211_929:                            ;   in Loop: Header=BB211_490 Depth=1
	s_or_b32 exec_lo, exec_lo, s21
.LBB211_930:                            ;   in Loop: Header=BB211_490 Depth=1
	s_or_b32 exec_lo, exec_lo, s18
.LBB211_931:                            ;   in Loop: Header=BB211_490 Depth=1
	s_or_b32 exec_lo, exec_lo, s17
	v_or_b32_e32 v5, v20, v18
	v_or_b32_e32 v7, v19, v17
	;; [unrolled: 1-line block ×4, first 2 shown]
	v_mul_f32_e32 v103, s13, v5
	v_mul_f32_e32 v104, s12, v7
	;; [unrolled: 1-line block ×4, first 2 shown]
	s_and_saveexec_b32 s17, vcc_lo
	s_cbranch_execz .LBB211_933
; %bb.932:                              ;   in Loop: Header=BB211_490 Depth=1
	v_cmp_gt_i32_e64 s0, s31, v55
	v_cndmask_b32_e64 v104, 0, v104, s0
	v_cmp_gt_i32_e64 s0, s31, v58
	v_cndmask_b32_e64 v103, 0, v103, s0
	;; [unrolled: 2-line block ×4, first 2 shown]
.LBB211_933:                            ;   in Loop: Header=BB211_490 Depth=1
	s_or_b32 exec_lo, exec_lo, s17
	global_load_dword v105, v[15:16], off offset:1664
	v_mov_b32_e32 v17, 0
	v_mov_b32_e32 v15, 0
	;; [unrolled: 1-line block ×4, first 2 shown]
	s_waitcnt vmcnt(0)
	v_cmp_ne_u16_sdwa s0, v105, v6 src0_sel:BYTE_0 src1_sel:DWORD
	s_and_saveexec_b32 s17, s0
	s_cbranch_execz .LBB211_941
; %bb.934:                              ;   in Loop: Header=BB211_490 Depth=1
	v_bfrev_b32_e32 v15, 1
	v_mov_b32_e32 v16, 0
	v_cmp_ne_u16_sdwa s0, v105, v43 src0_sel:BYTE_0 src1_sel:DWORD
	s_and_saveexec_b32 s18, s0
	s_cbranch_execz .LBB211_940
; %bb.935:                              ;   in Loop: Header=BB211_490 Depth=1
	v_mov_b32_e32 v15, 0x7f800001
	v_and_b32_e32 v9, 0x7f, v105
	v_mov_b32_e32 v16, 0
	s_mov_b32 s21, exec_lo
	v_cmpx_ne_u32_e32 0x7f, v9
	s_cbranch_execz .LBB211_939
; %bb.936:                              ;   in Loop: Header=BB211_490 Depth=1
	v_and_b32_e32 v5, 7, v105
	v_lshrrev_b32_e32 v7, 3, v9
	s_mov_b32 s22, exec_lo
	v_cmpx_gt_u32_e32 8, v9
; %bb.937:                              ;   in Loop: Header=BB211_490 Depth=1
	v_ffbh_u32_e32 v7, v5
	v_min_u32_e32 v7, 32, v7
	v_subrev_nc_u32_e32 v9, 28, v7
	v_sub_nc_u32_e32 v7, 29, v7
	v_lshlrev_b64 v[15:16], v9, v[5:6]
	v_and_b32_e32 v5, 7, v15
; %bb.938:                              ;   in Loop: Header=BB211_490 Depth=1
	s_or_b32 exec_lo, exec_lo, s22
	v_lshlrev_b32_e32 v9, 24, v105
	v_lshlrev_b32_e32 v5, 20, v5
	v_lshl_add_u32 v7, v7, 23, 0x3c000000
	v_and_b32_e32 v9, 0x80000000, v9
	v_or3_b32 v5, v5, v9, v7
	v_mov_b32_e32 v16, v6
	v_mov_b32_e32 v15, v5
.LBB211_939:                            ;   in Loop: Header=BB211_490 Depth=1
	s_or_b32 exec_lo, exec_lo, s21
.LBB211_940:                            ;   in Loop: Header=BB211_490 Depth=1
	s_or_b32 exec_lo, exec_lo, s18
.LBB211_941:                            ;   in Loop: Header=BB211_490 Depth=1
	s_or_b32 exec_lo, exec_lo, s17
	v_cmp_ne_u16_sdwa s0, v105, v6 src0_sel:BYTE_1 src1_sel:DWORD
	s_and_saveexec_b32 s17, s0
	s_cbranch_execz .LBB211_949
; %bb.942:                              ;   in Loop: Header=BB211_490 Depth=1
	v_mov_b32_e32 v7, v6
	v_mov_b32_e32 v18, v8
	v_cmp_ne_u16_sdwa s0, v105, v43 src0_sel:BYTE_1 src1_sel:DWORD
	v_mov_b32_e32 v17, v7
	s_and_saveexec_b32 s18, s0
	s_cbranch_execz .LBB211_948
; %bb.943:                              ;   in Loop: Header=BB211_490 Depth=1
	v_and_b32_sdwa v5, v44, v105 dst_sel:DWORD dst_unused:UNUSED_PAD src0_sel:DWORD src1_sel:BYTE_1
	v_mov_b32_e32 v9, v6
	v_mov_b32_e32 v18, v10
	s_mov_b32 s21, exec_lo
	v_and_b32_e32 v19, 0x7f, v5
	v_mov_b32_e32 v17, v9
	v_cmpx_ne_u32_e32 0x7f, v19
	s_cbranch_execz .LBB211_947
; %bb.944:                              ;   in Loop: Header=BB211_490 Depth=1
	v_and_b32_e32 v5, 7, v5
	v_lshrrev_b32_e32 v7, 3, v19
	s_mov_b32 s22, exec_lo
	v_cmpx_gt_u32_e32 8, v19
; %bb.945:                              ;   in Loop: Header=BB211_490 Depth=1
	v_ffbh_u32_e32 v7, v5
	v_min_u32_e32 v7, 32, v7
	v_subrev_nc_u32_e32 v9, 28, v7
	v_sub_nc_u32_e32 v7, 29, v7
	v_lshlrev_b64 v[17:18], v9, v[5:6]
	v_and_b32_e32 v5, 7, v17
; %bb.946:                              ;   in Loop: Header=BB211_490 Depth=1
	s_or_b32 exec_lo, exec_lo, s22
	v_lshlrev_b32_e32 v9, 16, v105
	v_lshlrev_b32_e32 v5, 20, v5
	v_lshl_add_u32 v7, v7, 23, 0x3c000000
	v_mov_b32_e32 v17, v6
	v_and_b32_e32 v9, 0x80000000, v9
	v_or3_b32 v18, v5, v9, v7
.LBB211_947:                            ;   in Loop: Header=BB211_490 Depth=1
	s_or_b32 exec_lo, exec_lo, s21
.LBB211_948:                            ;   in Loop: Header=BB211_490 Depth=1
	s_or_b32 exec_lo, exec_lo, s18
.LBB211_949:                            ;   in Loop: Header=BB211_490 Depth=1
	s_or_b32 exec_lo, exec_lo, s17
	v_mov_b32_e32 v21, 0
	v_mov_b32_e32 v19, 0
	v_and_b32_sdwa v5, v105, v45 dst_sel:DWORD dst_unused:UNUSED_PAD src0_sel:WORD_1 src1_sel:DWORD
	v_mov_b32_e32 v22, 0
	v_mov_b32_e32 v20, 0
	s_mov_b32 s17, exec_lo
	v_cmpx_ne_u16_e32 0, v5
	s_cbranch_execz .LBB211_957
; %bb.950:                              ;   in Loop: Header=BB211_490 Depth=1
	v_bfrev_b32_e32 v19, 1
	v_mov_b32_e32 v20, 0
	s_mov_b32 s18, exec_lo
	v_cmpx_ne_u16_e32 0x80, v5
	s_cbranch_execz .LBB211_956
; %bb.951:                              ;   in Loop: Header=BB211_490 Depth=1
	v_mov_b32_e32 v19, 0x7f800001
	v_bfe_u32 v9, v105, 16, 7
	v_mov_b32_e32 v20, 0
	s_mov_b32 s21, exec_lo
	v_cmpx_ne_u32_e32 0x7f, v9
	s_cbranch_execz .LBB211_955
; %bb.952:                              ;   in Loop: Header=BB211_490 Depth=1
	v_and_b32_sdwa v5, v105, v46 dst_sel:DWORD dst_unused:UNUSED_PAD src0_sel:WORD_1 src1_sel:DWORD
	v_lshrrev_b32_e32 v7, 3, v9
	s_mov_b32 s22, exec_lo
	v_cmpx_gt_u32_e32 8, v9
; %bb.953:                              ;   in Loop: Header=BB211_490 Depth=1
	v_ffbh_u32_e32 v7, v5
	v_min_u32_e32 v7, 32, v7
	v_subrev_nc_u32_e32 v9, 28, v7
	v_sub_nc_u32_e32 v7, 29, v7
	v_lshlrev_b64 v[19:20], v9, v[5:6]
	v_and_b32_e32 v5, 7, v19
; %bb.954:                              ;   in Loop: Header=BB211_490 Depth=1
	s_or_b32 exec_lo, exec_lo, s22
	v_lshlrev_b32_sdwa v9, v47, v105 dst_sel:DWORD dst_unused:UNUSED_PAD src0_sel:DWORD src1_sel:WORD_1
	v_lshlrev_b32_e32 v5, 20, v5
	v_lshl_add_u32 v7, v7, 23, 0x3c000000
	v_and_b32_e32 v9, 0x80000000, v9
	v_or3_b32 v5, v5, v9, v7
	v_mov_b32_e32 v20, v6
	v_mov_b32_e32 v19, v5
.LBB211_955:                            ;   in Loop: Header=BB211_490 Depth=1
	s_or_b32 exec_lo, exec_lo, s21
.LBB211_956:                            ;   in Loop: Header=BB211_490 Depth=1
	s_or_b32 exec_lo, exec_lo, s18
.LBB211_957:                            ;   in Loop: Header=BB211_490 Depth=1
	s_or_b32 exec_lo, exec_lo, s17
	s_mov_b32 s17, exec_lo
	v_cmpx_lt_u32_e32 0xffffff, v105
	s_cbranch_execz .LBB211_965
; %bb.958:                              ;   in Loop: Header=BB211_490 Depth=1
	v_mov_b32_e32 v7, v6
	v_mov_b32_e32 v22, v8
	v_cmp_ne_u32_sdwa s0, v105, v43 src0_sel:BYTE_3 src1_sel:DWORD
	v_mov_b32_e32 v21, v7
	s_and_saveexec_b32 s18, s0
	s_cbranch_execz .LBB211_964
; %bb.959:                              ;   in Loop: Header=BB211_490 Depth=1
	v_mov_b32_e32 v9, v6
	v_mov_b32_e32 v22, v10
	v_bfe_u32 v106, v105, 24, 7
	s_mov_b32 s21, exec_lo
	v_mov_b32_e32 v21, v9
	v_cmpx_ne_u32_e32 0x7f, v106
	s_cbranch_execz .LBB211_963
; %bb.960:                              ;   in Loop: Header=BB211_490 Depth=1
	v_and_b32_sdwa v5, v105, v46 dst_sel:DWORD dst_unused:UNUSED_PAD src0_sel:BYTE_3 src1_sel:DWORD
	v_lshrrev_b32_e32 v7, 3, v106
	s_mov_b32 s22, exec_lo
	v_cmpx_gt_u32_e32 8, v106
; %bb.961:                              ;   in Loop: Header=BB211_490 Depth=1
	v_ffbh_u32_e32 v7, v5
	v_min_u32_e32 v7, 32, v7
	v_subrev_nc_u32_e32 v9, 28, v7
	v_sub_nc_u32_e32 v7, 29, v7
	v_lshlrev_b64 v[21:22], v9, v[5:6]
	v_and_b32_e32 v5, 7, v21
; %bb.962:                              ;   in Loop: Header=BB211_490 Depth=1
	s_or_b32 exec_lo, exec_lo, s22
	v_lshlrev_b32_sdwa v9, v47, v105 dst_sel:DWORD dst_unused:UNUSED_PAD src0_sel:DWORD src1_sel:BYTE_3
	v_lshlrev_b32_e32 v5, 20, v5
	v_lshl_add_u32 v7, v7, 23, 0x3c000000
	v_mov_b32_e32 v21, v6
	v_and_b32_e32 v9, 0x80000000, v9
	v_or3_b32 v22, v5, v9, v7
.LBB211_963:                            ;   in Loop: Header=BB211_490 Depth=1
	s_or_b32 exec_lo, exec_lo, s21
.LBB211_964:                            ;   in Loop: Header=BB211_490 Depth=1
	s_or_b32 exec_lo, exec_lo, s18
.LBB211_965:                            ;   in Loop: Header=BB211_490 Depth=1
	s_or_b32 exec_lo, exec_lo, s17
	v_or_b32_e32 v5, v18, v16
	v_or_b32_e32 v7, v17, v15
	;; [unrolled: 1-line block ×4, first 2 shown]
	v_mul_f32_e32 v9, s13, v5
	v_mul_f32_e32 v15, s12, v7
	;; [unrolled: 1-line block ×4, first 2 shown]
	s_and_saveexec_b32 s0, vcc_lo
	s_cbranch_execz .LBB211_488
; %bb.966:                              ;   in Loop: Header=BB211_490 Depth=1
	v_cmp_gt_i32_e32 vcc_lo, s31, v55
	v_cndmask_b32_e32 v15, 0, v15, vcc_lo
	v_cmp_gt_i32_e32 vcc_lo, s31, v58
	v_cndmask_b32_e32 v9, 0, v9, vcc_lo
	;; [unrolled: 2-line block ×4, first 2 shown]
	s_branch .LBB211_488
.LBB211_967:
	s_or_b32 exec_lo, exec_lo, s5
.LBB211_968:
	s_or_b32 exec_lo, exec_lo, s1
	ds_bpermute_b32 v2, v25, v41
	ds_bpermute_b32 v10, v25, v32
	;; [unrolled: 1-line block ×14, first 2 shown]
	s_mov_b32 s0, exec_lo
	s_waitcnt lgkmcnt(13)
	v_add_f32_e32 v2, v41, v2
	s_waitcnt lgkmcnt(12)
	v_add_f32_e32 v10, v32, v10
	;; [unrolled: 2-line block ×5, first 2 shown]
	ds_bpermute_b32 v16, v26, v2
	ds_bpermute_b32 v24, v26, v10
	s_waitcnt lgkmcnt(10)
	v_add_f32_e32 v5, v37, v5
	s_waitcnt lgkmcnt(9)
	v_add_f32_e32 v6, v36, v6
	;; [unrolled: 2-line block ×3, first 2 shown]
	ds_bpermute_b32 v15, v26, v1
	s_waitcnt lgkmcnt(8)
	v_add_f32_e32 v8, v34, v8
	s_waitcnt lgkmcnt(7)
	v_add_f32_e32 v9, v33, v9
	;; [unrolled: 2-line block ×6, first 2 shown]
	ds_bpermute_b32 v17, v26, v3
	ds_bpermute_b32 v18, v26, v4
	;; [unrolled: 1-line block ×8, first 2 shown]
	s_waitcnt lgkmcnt(10)
	v_add_f32_e32 v2, v2, v16
	s_waitcnt lgkmcnt(9)
	v_add_f32_e32 v10, v10, v24
	s_clause 0x1
	buffer_load_dword v24, off, s[56:59], 0 offset:244
	buffer_load_dword v16, off, s[56:59], 0 offset:240
	ds_bpermute_b32 v28, v26, v12
	ds_bpermute_b32 v29, v26, v13
	;; [unrolled: 1-line block ×3, first 2 shown]
	s_waitcnt lgkmcnt(11)
	v_add_f32_e32 v1, v1, v15
	v_and_b32_e32 v15, 28, v0
	v_lshrrev_b32_e32 v0, 2, v0
	s_waitcnt vmcnt(0) lgkmcnt(0)
	s_waitcnt_vscnt null, 0x0
	s_barrier
	v_add_f32_e32 v3, v3, v17
	v_add_f32_e32 v4, v4, v18
	;; [unrolled: 1-line block ×8, first 2 shown]
	v_add_nc_u32_e32 v15, 0x1e0, v15
	buffer_gl0_inv
	v_add_f32_e32 v12, v12, v28
	v_add_f32_e32 v13, v13, v29
	;; [unrolled: 1-line block ×3, first 2 shown]
	v_and_b32_e32 v17, 0x3c3, v24
	v_mul_u32_u24_e32 v16, 0x1c0, v16
	v_cmpx_eq_u32_e32 64, v17
	s_cbranch_execz .LBB211_970
; %bb.969:
	v_add_nc_u32_e32 v17, v15, v16
	v_add_nc_u32_e32 v18, 0xfffffc80, v17
	v_add_nc_u32_e32 v19, 0xfffffca0, v17
	v_add_nc_u32_e32 v20, 0xfffffcc0, v17
	v_add_nc_u32_e32 v21, 0xfffffce0, v17
	v_add_nc_u32_e32 v22, 0xfffffd00, v17
	v_add_nc_u32_e32 v23, 0xfffffd20, v17
	ds_write_b32 v18, v1
	ds_write_b32 v19, v2
	;; [unrolled: 1-line block ×4, first 2 shown]
	v_add_nc_u32_e32 v18, 0xfffffd40, v17
	v_add_nc_u32_e32 v19, 0xfffffd60, v17
	;; [unrolled: 1-line block ×3, first 2 shown]
	ds_write_b32 v22, v5
	ds_write_b32 v23, v6
	;; [unrolled: 1-line block ×5, first 2 shown]
	v_add_nc_u32_e32 v18, 0xfffffda0, v17
	v_add_nc_u32_e32 v19, 0xfffffdc0, v17
	;; [unrolled: 1-line block ×5, first 2 shown]
	ds_write_b32 v18, v10
	ds_write_b32 v19, v11
	;; [unrolled: 1-line block ×5, first 2 shown]
.LBB211_970:
	s_or_b32 exec_lo, exec_lo, s0
	v_lshlrev_b32_e32 v0, 2, v0
	s_mov_b32 s1, exec_lo
	v_cmp_eq_u32_e32 vcc_lo, 0, v27
	s_waitcnt lgkmcnt(0)
	s_barrier
	v_add3_u32 v0, 0x1e0, v16, v0
	buffer_gl0_inv
	v_cmpx_gt_u32_e32 64, v24
	s_cbranch_execz .LBB211_987
; %bb.971:
	s_and_saveexec_b32 s0, vcc_lo
	s_cbranch_execnz .LBB211_1009
; %bb.972:
	s_or_b32 exec_lo, exec_lo, s0
	s_and_saveexec_b32 s0, vcc_lo
	s_cbranch_execnz .LBB211_1010
.LBB211_973:
	s_or_b32 exec_lo, exec_lo, s0
	s_and_saveexec_b32 s0, vcc_lo
	s_cbranch_execnz .LBB211_1011
.LBB211_974:
	s_or_b32 exec_lo, exec_lo, s0
	s_and_saveexec_b32 s0, vcc_lo
	s_cbranch_execnz .LBB211_1012
.LBB211_975:
	s_or_b32 exec_lo, exec_lo, s0
	s_and_saveexec_b32 s0, vcc_lo
	s_cbranch_execnz .LBB211_1013
.LBB211_976:
	s_or_b32 exec_lo, exec_lo, s0
	s_and_saveexec_b32 s0, vcc_lo
	s_cbranch_execnz .LBB211_1014
.LBB211_977:
	s_or_b32 exec_lo, exec_lo, s0
	s_and_saveexec_b32 s0, vcc_lo
	s_cbranch_execnz .LBB211_1015
.LBB211_978:
	s_or_b32 exec_lo, exec_lo, s0
	s_and_saveexec_b32 s0, vcc_lo
	s_cbranch_execnz .LBB211_1016
.LBB211_979:
	s_or_b32 exec_lo, exec_lo, s0
	s_and_saveexec_b32 s0, vcc_lo
	s_cbranch_execnz .LBB211_1017
.LBB211_980:
	s_or_b32 exec_lo, exec_lo, s0
	s_and_saveexec_b32 s0, vcc_lo
	s_cbranch_execnz .LBB211_1018
.LBB211_981:
	s_or_b32 exec_lo, exec_lo, s0
	s_and_saveexec_b32 s0, vcc_lo
	s_cbranch_execnz .LBB211_1019
.LBB211_982:
	s_or_b32 exec_lo, exec_lo, s0
	s_and_saveexec_b32 s0, vcc_lo
	s_cbranch_execnz .LBB211_1020
.LBB211_983:
	s_or_b32 exec_lo, exec_lo, s0
	s_and_saveexec_b32 s0, vcc_lo
	s_cbranch_execnz .LBB211_1021
.LBB211_984:
	s_or_b32 exec_lo, exec_lo, s0
	s_and_saveexec_b32 s0, vcc_lo
	s_cbranch_execz .LBB211_986
.LBB211_985:
	ds_read_b32 v16, v0 offset:416
	s_waitcnt lgkmcnt(0)
	v_add_f32_e32 v14, v14, v16
.LBB211_986:
	s_or_b32 exec_lo, exec_lo, s0
.LBB211_987:
	s_or_b32 exec_lo, exec_lo, s1
	v_and_b32_e32 v16, 0x3e3, v24
	s_mov_b32 s1, exec_lo
	s_barrier
	buffer_gl0_inv
	v_cmpx_eq_u32_e32 32, v16
	s_cbranch_execz .LBB211_989
; %bb.988:
	ds_write2_b32 v15, v1, v2 offset1:8
	ds_write2_b32 v15, v3, v4 offset0:16 offset1:24
	ds_write2_b32 v15, v5, v6 offset0:32 offset1:40
	;; [unrolled: 1-line block ×6, first 2 shown]
.LBB211_989:
	s_or_b32 exec_lo, exec_lo, s1
	s_mov_b32 s1, exec_lo
	s_waitcnt lgkmcnt(0)
	s_barrier
	buffer_gl0_inv
	v_cmpx_gt_u32_e32 32, v24
	s_cbranch_execz .LBB211_1006
; %bb.990:
	s_and_saveexec_b32 s0, vcc_lo
	s_cbranch_execnz .LBB211_1022
; %bb.991:
	s_or_b32 exec_lo, exec_lo, s0
	s_and_saveexec_b32 s0, vcc_lo
	s_cbranch_execnz .LBB211_1023
.LBB211_992:
	s_or_b32 exec_lo, exec_lo, s0
	s_and_saveexec_b32 s0, vcc_lo
	s_cbranch_execnz .LBB211_1024
.LBB211_993:
	s_or_b32 exec_lo, exec_lo, s0
	s_and_saveexec_b32 s0, vcc_lo
	s_cbranch_execnz .LBB211_1025
.LBB211_994:
	s_or_b32 exec_lo, exec_lo, s0
	s_and_saveexec_b32 s0, vcc_lo
	s_cbranch_execnz .LBB211_1026
.LBB211_995:
	s_or_b32 exec_lo, exec_lo, s0
	s_and_saveexec_b32 s0, vcc_lo
	s_cbranch_execnz .LBB211_1027
.LBB211_996:
	s_or_b32 exec_lo, exec_lo, s0
	s_and_saveexec_b32 s0, vcc_lo
	s_cbranch_execnz .LBB211_1028
.LBB211_997:
	s_or_b32 exec_lo, exec_lo, s0
	s_and_saveexec_b32 s0, vcc_lo
	s_cbranch_execnz .LBB211_1029
.LBB211_998:
	s_or_b32 exec_lo, exec_lo, s0
	s_and_saveexec_b32 s0, vcc_lo
	s_cbranch_execnz .LBB211_1030
.LBB211_999:
	s_or_b32 exec_lo, exec_lo, s0
	s_and_saveexec_b32 s0, vcc_lo
	s_cbranch_execnz .LBB211_1031
.LBB211_1000:
	s_or_b32 exec_lo, exec_lo, s0
	s_and_saveexec_b32 s0, vcc_lo
	s_cbranch_execnz .LBB211_1032
.LBB211_1001:
	s_or_b32 exec_lo, exec_lo, s0
	s_and_saveexec_b32 s0, vcc_lo
	s_cbranch_execnz .LBB211_1033
.LBB211_1002:
	s_or_b32 exec_lo, exec_lo, s0
	s_and_saveexec_b32 s0, vcc_lo
	s_cbranch_execnz .LBB211_1034
.LBB211_1003:
	s_or_b32 exec_lo, exec_lo, s0
	s_and_saveexec_b32 s0, vcc_lo
	s_cbranch_execz .LBB211_1005
.LBB211_1004:
	ds_read_b32 v0, v0 offset:416
	s_waitcnt lgkmcnt(0)
	v_add_f32_e32 v14, v14, v0
.LBB211_1005:
	s_or_b32 exec_lo, exec_lo, s0
.LBB211_1006:
	s_or_b32 exec_lo, exec_lo, s1
	s_barrier
	buffer_gl0_inv
	s_mov_b32 s0, exec_lo
	v_cmpx_eq_u32_e32 0, v16
	s_cbranch_execz .LBB211_1008
; %bb.1007:
	s_mul_i32 s0, s2, 0x70
	s_mul_i32 s2, s7, s10
	s_ashr_i32 s1, s0, 31
	s_lshl_b64 s[0:1], s[0:1], 2
	s_add_u32 s4, s28, s0
	s_addc_u32 s5, s29, s1
	s_ashr_i32 s3, s2, 31
	s_lshl_b64 s[0:1], s[2:3], 2
	s_mul_i32 s2, s8, 0x70
	s_add_u32 s4, s4, s0
	s_addc_u32 s5, s5, s1
	s_ashr_i32 s3, s2, 31
	s_lshl_b64 s[0:1], s[2:3], 2
	s_add_u32 s0, s4, s0
	s_addc_u32 s1, s5, s1
	global_store_dword v24, v1, s[0:1]
	global_store_dword v24, v2, s[0:1] offset:32
	global_store_dword v24, v3, s[0:1] offset:64
	;; [unrolled: 1-line block ×13, first 2 shown]
.LBB211_1008:
	s_endpgm
.LBB211_1009:
	ds_read_b32 v16, v0
	s_waitcnt lgkmcnt(0)
	v_add_f32_e32 v1, v1, v16
	s_or_b32 exec_lo, exec_lo, s0
	s_and_saveexec_b32 s0, vcc_lo
	s_cbranch_execz .LBB211_973
.LBB211_1010:
	ds_read_b32 v16, v0 offset:32
	s_waitcnt lgkmcnt(0)
	v_add_f32_e32 v2, v2, v16
	s_or_b32 exec_lo, exec_lo, s0
	s_and_saveexec_b32 s0, vcc_lo
	s_cbranch_execz .LBB211_974
.LBB211_1011:
	ds_read_b32 v16, v0 offset:64
	s_waitcnt lgkmcnt(0)
	v_add_f32_e32 v3, v3, v16
	s_or_b32 exec_lo, exec_lo, s0
	s_and_saveexec_b32 s0, vcc_lo
	s_cbranch_execz .LBB211_975
.LBB211_1012:
	ds_read_b32 v16, v0 offset:96
	s_waitcnt lgkmcnt(0)
	v_add_f32_e32 v4, v4, v16
	s_or_b32 exec_lo, exec_lo, s0
	s_and_saveexec_b32 s0, vcc_lo
	s_cbranch_execz .LBB211_976
.LBB211_1013:
	ds_read_b32 v16, v0 offset:128
	s_waitcnt lgkmcnt(0)
	v_add_f32_e32 v5, v5, v16
	s_or_b32 exec_lo, exec_lo, s0
	s_and_saveexec_b32 s0, vcc_lo
	s_cbranch_execz .LBB211_977
.LBB211_1014:
	ds_read_b32 v16, v0 offset:160
	s_waitcnt lgkmcnt(0)
	v_add_f32_e32 v6, v6, v16
	s_or_b32 exec_lo, exec_lo, s0
	s_and_saveexec_b32 s0, vcc_lo
	s_cbranch_execz .LBB211_978
.LBB211_1015:
	ds_read_b32 v16, v0 offset:192
	s_waitcnt lgkmcnt(0)
	v_add_f32_e32 v7, v7, v16
	s_or_b32 exec_lo, exec_lo, s0
	s_and_saveexec_b32 s0, vcc_lo
	s_cbranch_execz .LBB211_979
.LBB211_1016:
	ds_read_b32 v16, v0 offset:224
	s_waitcnt lgkmcnt(0)
	v_add_f32_e32 v8, v8, v16
	s_or_b32 exec_lo, exec_lo, s0
	s_and_saveexec_b32 s0, vcc_lo
	s_cbranch_execz .LBB211_980
.LBB211_1017:
	ds_read_b32 v16, v0 offset:256
	s_waitcnt lgkmcnt(0)
	v_add_f32_e32 v9, v9, v16
	s_or_b32 exec_lo, exec_lo, s0
	s_and_saveexec_b32 s0, vcc_lo
	s_cbranch_execz .LBB211_981
.LBB211_1018:
	ds_read_b32 v16, v0 offset:288
	s_waitcnt lgkmcnt(0)
	v_add_f32_e32 v10, v10, v16
	s_or_b32 exec_lo, exec_lo, s0
	s_and_saveexec_b32 s0, vcc_lo
	s_cbranch_execz .LBB211_982
.LBB211_1019:
	ds_read_b32 v16, v0 offset:320
	s_waitcnt lgkmcnt(0)
	v_add_f32_e32 v11, v11, v16
	s_or_b32 exec_lo, exec_lo, s0
	s_and_saveexec_b32 s0, vcc_lo
	s_cbranch_execz .LBB211_983
.LBB211_1020:
	ds_read_b32 v16, v0 offset:352
	s_waitcnt lgkmcnt(0)
	v_add_f32_e32 v12, v12, v16
	s_or_b32 exec_lo, exec_lo, s0
	s_and_saveexec_b32 s0, vcc_lo
	s_cbranch_execz .LBB211_984
.LBB211_1021:
	ds_read_b32 v16, v0 offset:384
	s_waitcnt lgkmcnt(0)
	v_add_f32_e32 v13, v13, v16
	s_or_b32 exec_lo, exec_lo, s0
	s_and_saveexec_b32 s0, vcc_lo
	s_cbranch_execnz .LBB211_985
	s_branch .LBB211_986
.LBB211_1022:
	ds_read_b32 v15, v0
	s_waitcnt lgkmcnt(0)
	v_add_f32_e32 v1, v1, v15
	s_or_b32 exec_lo, exec_lo, s0
	s_and_saveexec_b32 s0, vcc_lo
	s_cbranch_execz .LBB211_992
.LBB211_1023:
	ds_read_b32 v15, v0 offset:32
	s_waitcnt lgkmcnt(0)
	v_add_f32_e32 v2, v2, v15
	s_or_b32 exec_lo, exec_lo, s0
	s_and_saveexec_b32 s0, vcc_lo
	s_cbranch_execz .LBB211_993
.LBB211_1024:
	ds_read_b32 v15, v0 offset:64
	s_waitcnt lgkmcnt(0)
	v_add_f32_e32 v3, v3, v15
	s_or_b32 exec_lo, exec_lo, s0
	s_and_saveexec_b32 s0, vcc_lo
	s_cbranch_execz .LBB211_994
.LBB211_1025:
	ds_read_b32 v15, v0 offset:96
	s_waitcnt lgkmcnt(0)
	v_add_f32_e32 v4, v4, v15
	s_or_b32 exec_lo, exec_lo, s0
	s_and_saveexec_b32 s0, vcc_lo
	s_cbranch_execz .LBB211_995
.LBB211_1026:
	ds_read_b32 v15, v0 offset:128
	s_waitcnt lgkmcnt(0)
	v_add_f32_e32 v5, v5, v15
	s_or_b32 exec_lo, exec_lo, s0
	s_and_saveexec_b32 s0, vcc_lo
	s_cbranch_execz .LBB211_996
.LBB211_1027:
	ds_read_b32 v15, v0 offset:160
	s_waitcnt lgkmcnt(0)
	v_add_f32_e32 v6, v6, v15
	s_or_b32 exec_lo, exec_lo, s0
	s_and_saveexec_b32 s0, vcc_lo
	s_cbranch_execz .LBB211_997
.LBB211_1028:
	ds_read_b32 v15, v0 offset:192
	s_waitcnt lgkmcnt(0)
	v_add_f32_e32 v7, v7, v15
	s_or_b32 exec_lo, exec_lo, s0
	s_and_saveexec_b32 s0, vcc_lo
	s_cbranch_execz .LBB211_998
.LBB211_1029:
	ds_read_b32 v15, v0 offset:224
	s_waitcnt lgkmcnt(0)
	v_add_f32_e32 v8, v8, v15
	s_or_b32 exec_lo, exec_lo, s0
	s_and_saveexec_b32 s0, vcc_lo
	s_cbranch_execz .LBB211_999
.LBB211_1030:
	ds_read_b32 v15, v0 offset:256
	s_waitcnt lgkmcnt(0)
	v_add_f32_e32 v9, v9, v15
	s_or_b32 exec_lo, exec_lo, s0
	s_and_saveexec_b32 s0, vcc_lo
	s_cbranch_execz .LBB211_1000
.LBB211_1031:
	ds_read_b32 v15, v0 offset:288
	s_waitcnt lgkmcnt(0)
	v_add_f32_e32 v10, v10, v15
	s_or_b32 exec_lo, exec_lo, s0
	s_and_saveexec_b32 s0, vcc_lo
	s_cbranch_execz .LBB211_1001
.LBB211_1032:
	ds_read_b32 v15, v0 offset:320
	s_waitcnt lgkmcnt(0)
	v_add_f32_e32 v11, v11, v15
	s_or_b32 exec_lo, exec_lo, s0
	s_and_saveexec_b32 s0, vcc_lo
	s_cbranch_execz .LBB211_1002
.LBB211_1033:
	ds_read_b32 v15, v0 offset:352
	s_waitcnt lgkmcnt(0)
	v_add_f32_e32 v12, v12, v15
	s_or_b32 exec_lo, exec_lo, s0
	s_and_saveexec_b32 s0, vcc_lo
	s_cbranch_execz .LBB211_1003
.LBB211_1034:
	ds_read_b32 v15, v0 offset:384
	s_waitcnt lgkmcnt(0)
	v_add_f32_e32 v13, v13, v15
	s_or_b32 exec_lo, exec_lo, s0
	s_and_saveexec_b32 s0, vcc_lo
	s_cbranch_execnz .LBB211_1004
	s_branch .LBB211_1005
	.section	.rodata,"a",@progbits
	.p2align	6, 0x0
	.amdhsa_kernel _ZN4vllm25paged_attention_v2_kernelIfhLi112ELi16ELi128ELNS_18Fp8KVCacheDataTypeE1ELb1ELi512EEEvPfS2_PT_PKS3_PKT0_S9_ifPKiSB_iPKfiiiSD_SD_iiiii
		.amdhsa_group_segment_fixed_size 480
		.amdhsa_private_segment_fixed_size 256
		.amdhsa_kernarg_size 400
		.amdhsa_user_sgpr_count 6
		.amdhsa_user_sgpr_private_segment_buffer 1
		.amdhsa_user_sgpr_dispatch_ptr 0
		.amdhsa_user_sgpr_queue_ptr 0
		.amdhsa_user_sgpr_kernarg_segment_ptr 1
		.amdhsa_user_sgpr_dispatch_id 0
		.amdhsa_user_sgpr_flat_scratch_init 0
		.amdhsa_user_sgpr_private_segment_size 0
		.amdhsa_wavefront_size32 1
		.amdhsa_uses_dynamic_stack 0
		.amdhsa_system_sgpr_private_segment_wavefront_offset 1
		.amdhsa_system_sgpr_workgroup_id_x 1
		.amdhsa_system_sgpr_workgroup_id_y 1
		.amdhsa_system_sgpr_workgroup_id_z 1
		.amdhsa_system_sgpr_workgroup_info 0
		.amdhsa_system_vgpr_workitem_id 0
		.amdhsa_next_free_vgpr 128
		.amdhsa_next_free_sgpr 60
		.amdhsa_reserve_vcc 1
		.amdhsa_reserve_flat_scratch 0
		.amdhsa_float_round_mode_32 0
		.amdhsa_float_round_mode_16_64 0
		.amdhsa_float_denorm_mode_32 3
		.amdhsa_float_denorm_mode_16_64 3
		.amdhsa_dx10_clamp 1
		.amdhsa_ieee_mode 1
		.amdhsa_fp16_overflow 0
		.amdhsa_workgroup_processor_mode 1
		.amdhsa_memory_ordered 1
		.amdhsa_forward_progress 1
		.amdhsa_shared_vgpr_count 0
		.amdhsa_exception_fp_ieee_invalid_op 0
		.amdhsa_exception_fp_denorm_src 0
		.amdhsa_exception_fp_ieee_div_zero 0
		.amdhsa_exception_fp_ieee_overflow 0
		.amdhsa_exception_fp_ieee_underflow 0
		.amdhsa_exception_fp_ieee_inexact 0
		.amdhsa_exception_int_div_zero 0
	.end_amdhsa_kernel
	.section	.text._ZN4vllm25paged_attention_v2_kernelIfhLi112ELi16ELi128ELNS_18Fp8KVCacheDataTypeE1ELb1ELi512EEEvPfS2_PT_PKS3_PKT0_S9_ifPKiSB_iPKfiiiSD_SD_iiiii,"axG",@progbits,_ZN4vllm25paged_attention_v2_kernelIfhLi112ELi16ELi128ELNS_18Fp8KVCacheDataTypeE1ELb1ELi512EEEvPfS2_PT_PKS3_PKT0_S9_ifPKiSB_iPKfiiiSD_SD_iiiii,comdat
.Lfunc_end211:
	.size	_ZN4vllm25paged_attention_v2_kernelIfhLi112ELi16ELi128ELNS_18Fp8KVCacheDataTypeE1ELb1ELi512EEEvPfS2_PT_PKS3_PKT0_S9_ifPKiSB_iPKfiiiSD_SD_iiiii, .Lfunc_end211-_ZN4vllm25paged_attention_v2_kernelIfhLi112ELi16ELi128ELNS_18Fp8KVCacheDataTypeE1ELb1ELi512EEEvPfS2_PT_PKS3_PKT0_S9_ifPKiSB_iPKfiiiSD_SD_iiiii
                                        ; -- End function
	.set _ZN4vllm25paged_attention_v2_kernelIfhLi112ELi16ELi128ELNS_18Fp8KVCacheDataTypeE1ELb1ELi512EEEvPfS2_PT_PKS3_PKT0_S9_ifPKiSB_iPKfiiiSD_SD_iiiii.num_vgpr, 128
	.set _ZN4vllm25paged_attention_v2_kernelIfhLi112ELi16ELi128ELNS_18Fp8KVCacheDataTypeE1ELb1ELi512EEEvPfS2_PT_PKS3_PKT0_S9_ifPKiSB_iPKfiiiSD_SD_iiiii.num_agpr, 0
	.set _ZN4vllm25paged_attention_v2_kernelIfhLi112ELi16ELi128ELNS_18Fp8KVCacheDataTypeE1ELb1ELi512EEEvPfS2_PT_PKS3_PKT0_S9_ifPKiSB_iPKfiiiSD_SD_iiiii.numbered_sgpr, 60
	.set _ZN4vllm25paged_attention_v2_kernelIfhLi112ELi16ELi128ELNS_18Fp8KVCacheDataTypeE1ELb1ELi512EEEvPfS2_PT_PKS3_PKT0_S9_ifPKiSB_iPKfiiiSD_SD_iiiii.num_named_barrier, 0
	.set _ZN4vllm25paged_attention_v2_kernelIfhLi112ELi16ELi128ELNS_18Fp8KVCacheDataTypeE1ELb1ELi512EEEvPfS2_PT_PKS3_PKT0_S9_ifPKiSB_iPKfiiiSD_SD_iiiii.private_seg_size, 256
	.set _ZN4vllm25paged_attention_v2_kernelIfhLi112ELi16ELi128ELNS_18Fp8KVCacheDataTypeE1ELb1ELi512EEEvPfS2_PT_PKS3_PKT0_S9_ifPKiSB_iPKfiiiSD_SD_iiiii.uses_vcc, 1
	.set _ZN4vllm25paged_attention_v2_kernelIfhLi112ELi16ELi128ELNS_18Fp8KVCacheDataTypeE1ELb1ELi512EEEvPfS2_PT_PKS3_PKT0_S9_ifPKiSB_iPKfiiiSD_SD_iiiii.uses_flat_scratch, 0
	.set _ZN4vllm25paged_attention_v2_kernelIfhLi112ELi16ELi128ELNS_18Fp8KVCacheDataTypeE1ELb1ELi512EEEvPfS2_PT_PKS3_PKT0_S9_ifPKiSB_iPKfiiiSD_SD_iiiii.has_dyn_sized_stack, 0
	.set _ZN4vllm25paged_attention_v2_kernelIfhLi112ELi16ELi128ELNS_18Fp8KVCacheDataTypeE1ELb1ELi512EEEvPfS2_PT_PKS3_PKT0_S9_ifPKiSB_iPKfiiiSD_SD_iiiii.has_recursion, 0
	.set _ZN4vllm25paged_attention_v2_kernelIfhLi112ELi16ELi128ELNS_18Fp8KVCacheDataTypeE1ELb1ELi512EEEvPfS2_PT_PKS3_PKT0_S9_ifPKiSB_iPKfiiiSD_SD_iiiii.has_indirect_call, 0
	.section	.AMDGPU.csdata,"",@progbits
; Kernel info:
; codeLenInByte = 32192
; TotalNumSgprs: 62
; NumVgprs: 128
; ScratchSize: 256
; MemoryBound: 0
; FloatMode: 240
; IeeeMode: 1
; LDSByteSize: 480 bytes/workgroup (compile time only)
; SGPRBlocks: 0
; VGPRBlocks: 15
; NumSGPRsForWavesPerEU: 62
; NumVGPRsForWavesPerEU: 128
; Occupancy: 8
; WaveLimiterHint : 1
; COMPUTE_PGM_RSRC2:SCRATCH_EN: 1
; COMPUTE_PGM_RSRC2:USER_SGPR: 6
; COMPUTE_PGM_RSRC2:TRAP_HANDLER: 0
; COMPUTE_PGM_RSRC2:TGID_X_EN: 1
; COMPUTE_PGM_RSRC2:TGID_Y_EN: 1
; COMPUTE_PGM_RSRC2:TGID_Z_EN: 1
; COMPUTE_PGM_RSRC2:TIDIG_COMP_CNT: 0
	.section	.text._ZN4vllm25paged_attention_v2_kernelIfhLi120ELi16ELi128ELNS_18Fp8KVCacheDataTypeE1ELb1ELi512EEEvPfS2_PT_PKS3_PKT0_S9_ifPKiSB_iPKfiiiSD_SD_iiiii,"axG",@progbits,_ZN4vllm25paged_attention_v2_kernelIfhLi120ELi16ELi128ELNS_18Fp8KVCacheDataTypeE1ELb1ELi512EEEvPfS2_PT_PKS3_PKT0_S9_ifPKiSB_iPKfiiiSD_SD_iiiii,comdat
	.protected	_ZN4vllm25paged_attention_v2_kernelIfhLi120ELi16ELi128ELNS_18Fp8KVCacheDataTypeE1ELb1ELi512EEEvPfS2_PT_PKS3_PKT0_S9_ifPKiSB_iPKfiiiSD_SD_iiiii ; -- Begin function _ZN4vllm25paged_attention_v2_kernelIfhLi120ELi16ELi128ELNS_18Fp8KVCacheDataTypeE1ELb1ELi512EEEvPfS2_PT_PKS3_PKT0_S9_ifPKiSB_iPKfiiiSD_SD_iiiii
	.globl	_ZN4vllm25paged_attention_v2_kernelIfhLi120ELi16ELi128ELNS_18Fp8KVCacheDataTypeE1ELb1ELi512EEEvPfS2_PT_PKS3_PKT0_S9_ifPKiSB_iPKfiiiSD_SD_iiiii
	.p2align	8
	.type	_ZN4vllm25paged_attention_v2_kernelIfhLi120ELi16ELi128ELNS_18Fp8KVCacheDataTypeE1ELb1ELi512EEEvPfS2_PT_PKS3_PKT0_S9_ifPKiSB_iPKfiiiSD_SD_iiiii,@function
_ZN4vllm25paged_attention_v2_kernelIfhLi120ELi16ELi128ELNS_18Fp8KVCacheDataTypeE1ELb1ELi512EEEvPfS2_PT_PKS3_PKT0_S9_ifPKiSB_iPKfiiiSD_SD_iiiii: ; @_ZN4vllm25paged_attention_v2_kernelIfhLi120ELi16ELi128ELNS_18Fp8KVCacheDataTypeE1ELb1ELi512EEEvPfS2_PT_PKS3_PKT0_S9_ifPKiSB_iPKfiiiSD_SD_iiiii
; %bb.0:
	s_mov_b64 s[58:59], s[2:3]
	s_mov_b64 s[56:57], s[0:1]
	s_load_dwordx2 s[0:1], s[4:5], 0x40
	s_add_u32 s56, s56, s9
	s_addc_u32 s57, s57, 0
	s_mov_b32 s30, s7
	s_ashr_i32 s31, s7, 31
	s_lshl_b64 s[2:3], s[30:31], 2
	s_waitcnt lgkmcnt(0)
	s_add_u32 s0, s0, s2
	s_addc_u32 s1, s1, s3
	s_lshl_b32 s42, s8, 9
	s_load_dword s31, s[0:1], 0x0
	s_waitcnt lgkmcnt(0)
	s_cmp_ge_i32 s42, s31
	s_cbranch_scc1 .LBB212_1076
; %bb.1:
	s_clause 0x1
	s_load_dword s9, s[4:5], 0x90
	s_load_dwordx2 s[40:41], s[4:5], 0x30
	v_mov_b32_e32 v113, v0
	s_mov_b32 s43, 0
	s_waitcnt lgkmcnt(0)
	s_abs_i32 s3, s9
	s_abs_i32 s0, s40
	v_cvt_f32_u32_e32 v0, s0
	s_sub_i32 s2, 0, s0
	v_rcp_iflag_f32_e32 v0, v0
	v_mul_f32_e32 v0, 0x4f7ffffe, v0
	v_cvt_u32_f32_e32 v0, v0
	v_readfirstlane_b32 s1, v0
	s_mul_i32 s2, s2, s1
	s_mul_hi_u32 s2, s1, s2
	s_add_i32 s1, s1, s2
	s_xor_b32 s2, s9, s40
	s_mul_hi_u32 s1, s3, s1
	s_ashr_i32 s2, s2, 31
	s_mul_i32 s7, s1, s0
	s_sub_i32 s3, s3, s7
	s_add_i32 s7, s1, 1
	s_sub_i32 s10, s3, s0
	s_cmp_ge_u32 s3, s0
	s_cselect_b32 s1, s7, s1
	s_cselect_b32 s3, s10, s3
	s_add_i32 s7, s1, 1
	s_cmp_ge_u32 s3, s0
	s_cselect_b32 s0, s7, s1
	s_xor_b32 s0, s0, s2
	s_sub_i32 s10, s0, s2
	s_load_dwordx2 s[0:1], s[4:5], 0x50
	s_abs_i32 s2, s10
	v_cvt_f32_u32_e32 v0, s2
	s_sub_i32 s3, 0, s2
	v_rcp_iflag_f32_e32 v0, v0
	v_mul_f32_e32 v0, 0x4f7ffffe, v0
	v_cvt_u32_f32_e32 v0, v0
	v_readfirstlane_b32 s7, v0
	s_mul_i32 s3, s3, s7
	s_mul_hi_u32 s11, s7, s3
	s_abs_i32 s3, s6
	s_add_i32 s7, s7, s11
	s_waitcnt lgkmcnt(0)
	s_cmp_eq_u64 s[0:1], 0
	s_mul_hi_u32 s12, s3, s7
	s_cbranch_scc1 .LBB212_3
; %bb.2:
	s_ashr_i32 s7, s6, 31
	s_lshl_b64 s[14:15], s[6:7], 2
	s_add_u32 s0, s0, s14
	s_addc_u32 s1, s1, s15
	s_load_dword s43, s[0:1], 0x0
.LBB212_3:
	s_load_dwordx4 s[16:19], s[4:5], 0x58
	v_and_b32_e32 v0, 1, v113
	v_lshlrev_b32_e32 v12, 2, v113
	s_ashr_i32 s0, s6, 31
	s_ashr_i32 s1, s10, 31
	s_mul_i32 s10, s6, 0x78
	s_mov_b32 s7, exec_lo
	v_cmpx_gt_u32_e32 60, v113
	s_cbranch_execz .LBB212_5
; %bb.4:
	s_load_dwordx2 s[14:15], s[4:5], 0x18
	s_waitcnt lgkmcnt(0)
	s_mul_i32 s20, s16, s30
	v_lshlrev_b32_e32 v1, 3, v113
	s_ashr_i32 s21, s20, 31
	v_and_b32_e32 v3, 0xff8, v12
	s_lshl_b64 s[20:21], s[20:21], 2
	v_mad_u32_u24 v3, 0xf0, v0, v3
	s_add_u32 s13, s14, s20
	s_addc_u32 s16, s15, s21
	s_ashr_i32 s11, s10, 31
	s_lshl_b64 s[14:15], s[10:11], 2
	s_add_u32 s14, s13, s14
	s_addc_u32 s15, s16, s15
	global_load_dwordx2 v[1:2], v1, s[14:15]
	s_waitcnt vmcnt(0)
	ds_write_b64 v3, v[1:2]
.LBB212_5:
	s_or_b32 exec_lo, exec_lo, s7
	s_load_dwordx4 s[20:23], s[4:5], 0x78
	s_mul_i32 s7, s12, s2
	s_xor_b32 s0, s0, s1
	s_sub_i32 s1, s3, s7
	s_add_i32 s3, s12, 1
	s_sub_i32 s7, s1, s2
	s_cmp_ge_u32 s1, s2
                                        ; implicit-def: $sgpr19
	s_cselect_b32 s3, s3, s12
	s_cselect_b32 s1, s7, s1
	s_add_i32 s7, s3, 1
	s_cmp_ge_u32 s1, s2
	s_mov_b32 s12, -1
	s_cselect_b32 s1, s7, s3
	s_load_dword s3, s[4:5], 0x88
	s_xor_b32 s1, s1, s0
	s_add_i32 s7, s31, -1
	s_sub_i32 s1, s1, s0
	s_abs_i32 s2, s7
	s_waitcnt lgkmcnt(0)
	s_abs_i32 s11, s23
	s_barrier
	v_cvt_f32_u32_e32 v1, s11
	s_sub_i32 s0, 0, s11
	buffer_gl0_inv
	v_rcp_iflag_f32_e32 v1, v1
	v_mul_f32_e32 v1, 0x4f7ffffe, v1
	v_cvt_u32_f32_e32 v1, v1
	v_readfirstlane_b32 s16, v1
	s_mul_i32 s0, s0, s16
	s_mul_hi_u32 s0, s16, s0
	s_add_i32 s16, s16, s0
	s_cmp_lt_i32 s3, 0
	s_mul_hi_u32 s0, s2, s16
	s_cbranch_scc0 .LBB212_7
; %bb.6:
	s_mul_i32 s12, s20, s40
	s_add_i32 s12, s1, s12
	s_mul_i32 s12, s12, s3
	s_sub_i32 s19, 1, s12
	s_mov_b32 s12, 0
.LBB212_7:
	s_load_dwordx2 s[34:35], s[4:5], 0x38
	s_ashr_i32 s33, s7, 31
	s_andn2_b32 vcc_lo, exec_lo, s12
	s_ashr_i32 s23, s23, 31
	s_cbranch_vccnz .LBB212_9
; %bb.8:
	s_mul_i32 s7, s9, s20
	s_add_i32 s7, s7, s6
	s_mul_i32 s3, s7, s3
	s_add_i32 s19, s3, 1
.LBB212_9:
	s_clause 0x5
	s_load_dword s3, s[4:5], 0x48
	s_load_dwordx2 s[38:39], s[4:5], 0x28
	s_load_dwordx4 s[24:27], s[4:5], 0x0
	s_load_dwordx2 s[28:29], s[4:5], 0x10
	s_load_dword s7, s[4:5], 0x98
	s_load_dwordx4 s[12:15], s[4:5], 0x68
	s_mul_i32 s20, s0, s11
	s_xor_b32 s40, s33, s23
	s_sub_i32 s2, s2, s20
	s_add_i32 s33, s0, 1
	v_lshrrev_b32_e32 v114, 5, v113
	v_mov_b32_e32 v3, 0xff7fffff
	s_mul_i32 s18, s1, s18
	v_lshl_add_u32 v40, v114, 4, s42
	s_waitcnt lgkmcnt(0)
	s_mul_i32 s36, s3, s30
	s_sub_i32 s3, s2, s11
	s_ashr_i32 s37, s36, 31
	s_cmp_ge_u32 s2, s11
	s_cselect_b32 s0, s33, s0
	s_cselect_b32 s2, s3, s2
	s_add_i32 s3, s0, 1
	s_cmp_ge_u32 s2, s11
	s_cselect_b32 s0, s3, s0
	s_add_i32 s2, s31, 15
	s_lshl_b32 s44, s8, 5
	s_ashr_i32 s3, s2, 31
	v_or_b32_e32 v49, s44, v114
	s_lshr_b32 s3, s3, 28
	s_add_i32 s2, s2, s3
	s_add_i32 s3, s44, 32
	s_ashr_i32 s33, s2, 4
	s_xor_b32 s2, s0, s40
	s_min_i32 s20, s3, s33
	v_ashrrev_i32_e32 v50, 31, v49
	v_cmp_gt_i32_e64 s0, s20, v49
	s_sub_i32 s40, s2, s40
	s_and_saveexec_b32 s45, s0
	s_cbranch_execz .LBB212_501
; %bb.10:
	s_load_dwordx2 s[2:3], s[4:5], 0x20
	s_sub_i32 s4, s40, s21
	s_ashr_i32 s1, s18, 31
	v_bfe_u32 v8, v113, 1, 4
	v_mov_b32_e32 v7, 0xff7fffff
	buffer_store_dword v12, off, s[56:59], 0 offset:280 ; 4-byte Folded Spill
	buffer_store_dword v113, off, s[56:59], 0 offset:272 ; 4-byte Folded Spill
	;; [unrolled: 1-line block ×4, first 2 shown]
	v_lshlrev_b32_e32 v5, 2, v8
	v_subrev_nc_u32_e32 v6, s31, v8
	v_lshlrev_b32_e32 v7, 4, v8
	v_lshlrev_b32_e32 v4, 1, v0
	buffer_store_dword v8, off, s[56:59], 0 offset:264 ; 4-byte Folded Spill
	v_lshl_or_b32 v5, v114, 6, v5
	v_add_nc_u32_e32 v6, 1, v6
	v_cmp_eq_u32_e32 vcc_lo, 0, v0
	v_mov_b32_e32 v52, 0
	v_mul_u32_u24_e32 v127, 0xf0, v0
	s_waitcnt lgkmcnt(0)
	s_add_u32 s46, s2, s18
	s_addc_u32 s47, s3, s1
	s_abs_i32 s5, s22
	v_add_nc_u32_e32 v81, 0x200, v5
	v_cvt_f32_u32_e32 v1, s5
	s_sub_i32 s2, 0, s5
	buffer_store_dword v6, off, s[56:59], 0 offset:268 ; 4-byte Folded Spill
	v_add_co_u32 v6, s46, s46, v7
	v_rcp_iflag_f32_e32 v3, v1
	v_lshlrev_b64 v[1:2], 2, v[49:50]
	v_add_co_ci_u32_e64 v7, null, s47, 0, s46
	v_cmp_neq_f32_e64 s1, s43, 0
	v_lshl_add_u32 v0, v114, 4, s42
	v_mov_b32_e32 v39, 0x80
	v_bfrev_b32_e32 v80, 1
	v_mov_b32_e32 v22, 0x7f800001
	v_mov_b32_e32 v82, v49
	v_mul_f32_e32 v3, 0x4f7ffffe, v3
	s_mov_b32 s46, 0
	s_mov_b32 s47, s17
	v_cvt_u32_f32_e32 v3, v3
	v_mul_lo_u32 v5, s2, v3
	s_lshl_b64 s[2:3], s[36:37], 2
	s_add_u32 s2, s34, s2
	s_addc_u32 s3, s35, s3
	v_add_co_u32 v57, s2, s2, v1
	v_add_co_ci_u32_e64 v58, null, s3, v2, s2
	v_mul_hi_u32 v5, v3, v5
	v_add_co_u32 v1, s2, v6, v4
	v_add_co_ci_u32_e64 v2, null, 0, v7, s2
	buffer_store_dword v1, off, s[56:59], 0 offset:256 ; 4-byte Folded Spill
	buffer_store_dword v2, off, s[56:59], 0 offset:260 ; 4-byte Folded Spill
	v_add_nc_u32_e32 v1, v3, v5
	buffer_store_dword v1, off, s[56:59], 0 offset:48 ; 4-byte Folded Spill
	s_branch .LBB212_13
.LBB212_11:                             ;   in Loop: Header=BB212_13 Depth=1
	s_or_b32 exec_lo, exec_lo, s48
.LBB212_12:                             ;   in Loop: Header=BB212_13 Depth=1
	s_or_b32 exec_lo, exec_lo, s3
	v_add_nc_u32_e32 v82, 4, v82
	v_add_co_u32 v57, s3, v57, 16
	v_add_co_ci_u32_e64 v58, null, 0, v58, s3
	v_cmp_le_i32_e64 s2, s20, v82
	v_add_nc_u32_e32 v0, 64, v0
	v_add_nc_u32_e32 v81, 0x100, v81
	s_or_b32 s46, s2, s46
	s_andn2_b32 exec_lo, exec_lo, s46
	s_cbranch_execz .LBB212_500
.LBB212_13:                             ; =>This Inner Loop Header: Depth=1
	v_sub_nc_u32_e32 v1, 0, v0
	v_max_i32_e32 v1, v0, v1
	s_waitcnt lgkmcnt(0)
	v_mul_hi_u32 v2, v1, s16
	v_mul_lo_u32 v3, v2, s11
	v_sub_nc_u32_e32 v1, v1, v3
	v_add_nc_u32_e32 v3, 1, v2
	v_subrev_nc_u32_e32 v4, s11, v1
	v_cmp_le_u32_e64 s2, s11, v1
	v_cndmask_b32_e64 v2, v2, v3, s2
	v_cndmask_b32_e64 v1, v1, v4, s2
	v_ashrrev_i32_e32 v3, 31, v0
	v_add_nc_u32_e32 v4, 1, v2
	v_cmp_le_u32_e64 s2, s11, v1
	v_xor_b32_e32 v3, s23, v3
	v_cndmask_b32_e64 v1, v2, v4, s2
	buffer_load_dword v4, off, s[56:59], 0 offset:48 ; 4-byte Folded Reload
	v_xor_b32_e32 v1, v1, v3
	v_sub_nc_u32_e32 v1, v1, v3
	v_add_nc_u32_e32 v2, s19, v1
	v_cmp_ge_i32_e64 s3, s4, v1
	v_sub_nc_u32_e32 v3, 0, v2
	v_max_i32_e32 v3, v2, v3
	v_ashrrev_i32_e32 v2, 31, v2
	s_waitcnt vmcnt(0)
	v_mul_hi_u32 v4, v3, v4
	v_mul_lo_u32 v4, v4, s5
	v_sub_nc_u32_e32 v3, v3, v4
	v_subrev_nc_u32_e32 v4, s5, v3
	v_cmp_le_u32_e64 s2, s5, v3
	v_cndmask_b32_e64 v3, v3, v4, s2
	v_subrev_nc_u32_e32 v4, s5, v3
	v_cmp_le_u32_e64 s2, s5, v3
	v_cndmask_b32_e64 v3, v3, v4, s2
	v_xor_b32_e32 v3, v3, v2
	v_sub_nc_u32_e32 v2, v3, v2
	v_cmp_ne_u32_e64 s2, 0, v2
	s_and_b32 s2, s2, s3
	s_and_saveexec_b32 s3, s2
	s_xor_b32 s2, exec_lo, s3
	s_cbranch_execz .LBB212_17
; %bb.14:                               ;   in Loop: Header=BB212_13 Depth=1
	s_and_saveexec_b32 s3, vcc_lo
; %bb.15:                               ;   in Loop: Header=BB212_13 Depth=1
	v_mov_b32_e32 v1, 0xff7fffff
	ds_write_b32 v81, v1
; %bb.16:                               ;   in Loop: Header=BB212_13 Depth=1
	s_or_b32 exec_lo, exec_lo, s3
.LBB212_17:                             ;   in Loop: Header=BB212_13 Depth=1
	s_andn2_saveexec_b32 s3, s2
	s_cbranch_execz .LBB212_12
; %bb.18:                               ;   in Loop: Header=BB212_13 Depth=1
	global_load_dword v1, v[57:58], off
	s_clause 0x1
	buffer_load_dword v2, off, s[56:59], 0 offset:256
	buffer_load_dword v3, off, s[56:59], 0 offset:260
	v_mov_b32_e32 v46, 0
	v_mov_b32_e32 v43, 0
	v_mov_b32_e32 v47, 0
	v_mov_b32_e32 v44, 0
	s_waitcnt vmcnt(0)
	v_mad_i64_i32 v[71:72], null, v1, s47, v[2:3]
	ds_read_b128 v[3:6], v127
	global_load_ushort v2, v[71:72], off
	s_waitcnt lgkmcnt(0)
	buffer_store_dword v3, off, s[56:59], 0 offset:236 ; 4-byte Folded Spill
	buffer_store_dword v4, off, s[56:59], 0 offset:240 ; 4-byte Folded Spill
	buffer_store_dword v5, off, s[56:59], 0 offset:244 ; 4-byte Folded Spill
	buffer_store_dword v6, off, s[56:59], 0 offset:248 ; 4-byte Folded Spill
	ds_read_b128 v[3:6], v127 offset:16
	s_waitcnt lgkmcnt(0)
	buffer_store_dword v3, off, s[56:59], 0 offset:220 ; 4-byte Folded Spill
	buffer_store_dword v4, off, s[56:59], 0 offset:224 ; 4-byte Folded Spill
	buffer_store_dword v5, off, s[56:59], 0 offset:228 ; 4-byte Folded Spill
	buffer_store_dword v6, off, s[56:59], 0 offset:232 ; 4-byte Folded Spill
	ds_read_b128 v[3:6], v127 offset:32
	;; [unrolled: 6-line block ×9, first 2 shown]
	s_waitcnt lgkmcnt(0)
	buffer_store_dword v3, off, s[56:59], 0 offset:92 ; 4-byte Folded Spill
	buffer_store_dword v4, off, s[56:59], 0 offset:96 ; 4-byte Folded Spill
	;; [unrolled: 1-line block ×4, first 2 shown]
	ds_read_b64 v[3:4], v127 offset:192
	s_waitcnt lgkmcnt(0)
	buffer_store_dword v3, off, s[56:59], 0 offset:52 ; 4-byte Folded Spill
	buffer_store_dword v4, off, s[56:59], 0 offset:56 ; 4-byte Folded Spill
	s_load_dword s48, s[12:13], 0x0
	s_waitcnt vmcnt(0)
	v_and_b32_e32 v1, 0xffff, v2
	v_cmp_ne_u16_sdwa s2, v2, v52 src0_sel:BYTE_0 src1_sel:DWORD
	ds_read_b128 v[2:5], v127 offset:160
	s_waitcnt lgkmcnt(0)
	buffer_store_dword v2, off, s[56:59], 0 offset:76 ; 4-byte Folded Spill
	buffer_store_dword v3, off, s[56:59], 0 offset:80 ; 4-byte Folded Spill
	;; [unrolled: 1-line block ×4, first 2 shown]
	ds_read_b128 v[2:5], v127 offset:176
	s_waitcnt lgkmcnt(0)
	buffer_store_dword v2, off, s[56:59], 0 offset:60 ; 4-byte Folded Spill
	buffer_store_dword v3, off, s[56:59], 0 offset:64 ; 4-byte Folded Spill
	;; [unrolled: 1-line block ×4, first 2 shown]
	s_and_saveexec_b32 s49, s2
	s_cbranch_execz .LBB212_26
; %bb.19:                               ;   in Loop: Header=BB212_13 Depth=1
	v_bfrev_b32_e32 v43, 1
	v_mov_b32_e32 v44, 0
	v_cmp_ne_u16_sdwa s2, v1, v39 src0_sel:BYTE_0 src1_sel:DWORD
	s_and_saveexec_b32 s50, s2
	s_cbranch_execz .LBB212_25
; %bb.20:                               ;   in Loop: Header=BB212_13 Depth=1
	v_mov_b32_e32 v43, 0x7f800001
	v_and_b32_e32 v3, 0x7f, v1
	v_mov_b32_e32 v44, 0
	s_mov_b32 s51, exec_lo
	v_cmpx_ne_u32_e32 0x7f, v3
	s_cbranch_execz .LBB212_24
; %bb.21:                               ;   in Loop: Header=BB212_13 Depth=1
	v_and_b32_e32 v51, 7, v1
	v_lshrrev_b32_e32 v2, 3, v3
	s_mov_b32 s52, exec_lo
	v_cmpx_gt_u32_e32 8, v3
; %bb.22:                               ;   in Loop: Header=BB212_13 Depth=1
	v_ffbh_u32_e32 v2, v51
	v_min_u32_e32 v2, 32, v2
	v_subrev_nc_u32_e32 v3, 28, v2
	v_sub_nc_u32_e32 v2, 29, v2
	v_lshlrev_b64 v[3:4], v3, v[51:52]
	v_and_b32_e32 v51, 7, v3
; %bb.23:                               ;   in Loop: Header=BB212_13 Depth=1
	s_or_b32 exec_lo, exec_lo, s52
	v_lshlrev_b32_e32 v3, 24, v1
	v_lshlrev_b32_e32 v4, 20, v51
	v_lshl_add_u32 v2, v2, 23, 0x3c000000
	v_and_b32_e32 v3, 0x80000000, v3
	v_or3_b32 v51, v4, v3, v2
	v_mov_b32_e32 v43, v51
	v_mov_b32_e32 v44, v52
.LBB212_24:                             ;   in Loop: Header=BB212_13 Depth=1
	s_or_b32 exec_lo, exec_lo, s51
.LBB212_25:                             ;   in Loop: Header=BB212_13 Depth=1
	s_or_b32 exec_lo, exec_lo, s50
.LBB212_26:                             ;   in Loop: Header=BB212_13 Depth=1
	s_or_b32 exec_lo, exec_lo, s49
	v_cmp_ne_u16_sdwa s2, v1, v52 src0_sel:BYTE_1 src1_sel:DWORD
	s_and_saveexec_b32 s49, s2
	s_cbranch_execz .LBB212_34
; %bb.27:                               ;   in Loop: Header=BB212_13 Depth=1
	v_mov_b32_e32 v79, v52
	v_cmp_ne_u16_sdwa s2, v1, v39 src0_sel:BYTE_1 src1_sel:DWORD
	v_mov_b32_e32 v46, v79
	v_mov_b32_e32 v47, v80
	s_and_saveexec_b32 s50, s2
	s_cbranch_execz .LBB212_33
; %bb.28:                               ;   in Loop: Header=BB212_13 Depth=1
	v_mov_b32_e32 v2, 0xffff
	v_mov_b32_e32 v21, v52
	;; [unrolled: 1-line block ×3, first 2 shown]
	s_mov_b32 s51, exec_lo
	v_and_b32_sdwa v2, v2, v1 dst_sel:DWORD dst_unused:UNUSED_PAD src0_sel:DWORD src1_sel:BYTE_1
	v_mov_b32_e32 v46, v21
	v_and_b32_e32 v3, 0x7f, v2
	v_cmpx_ne_u32_e32 0x7f, v3
	s_cbranch_execz .LBB212_32
; %bb.29:                               ;   in Loop: Header=BB212_13 Depth=1
	v_and_b32_e32 v51, 7, v2
	v_lshrrev_b32_e32 v2, 3, v3
	s_mov_b32 s52, exec_lo
	v_cmpx_gt_u32_e32 8, v3
; %bb.30:                               ;   in Loop: Header=BB212_13 Depth=1
	v_ffbh_u32_e32 v2, v51
	v_min_u32_e32 v2, 32, v2
	v_subrev_nc_u32_e32 v3, 28, v2
	v_sub_nc_u32_e32 v2, 29, v2
	v_lshlrev_b64 v[3:4], v3, v[51:52]
	v_and_b32_e32 v51, 7, v3
; %bb.31:                               ;   in Loop: Header=BB212_13 Depth=1
	s_or_b32 exec_lo, exec_lo, s52
	v_lshlrev_b32_e32 v1, 16, v1
	v_lshlrev_b32_e32 v3, 20, v51
	v_lshl_add_u32 v2, v2, 23, 0x3c000000
	v_mov_b32_e32 v46, v52
	v_and_b32_e32 v1, 0x80000000, v1
	v_or3_b32 v47, v3, v1, v2
.LBB212_32:                             ;   in Loop: Header=BB212_13 Depth=1
	s_or_b32 exec_lo, exec_lo, s51
.LBB212_33:                             ;   in Loop: Header=BB212_13 Depth=1
	s_or_b32 exec_lo, exec_lo, s50
.LBB212_34:                             ;   in Loop: Header=BB212_13 Depth=1
	s_or_b32 exec_lo, exec_lo, s49
	global_load_ushort v2, v[71:72], off offset:4
	v_mov_b32_e32 v3, 0
	v_mov_b32_e32 v4, 0
	buffer_store_dword v3, off, s[56:59], 0 offset:8 ; 4-byte Folded Spill
	buffer_store_dword v4, off, s[56:59], 0 offset:12 ; 4-byte Folded Spill
	v_mov_b32_e32 v3, 0
	v_mov_b32_e32 v4, 0
	buffer_store_dword v3, off, s[56:59], 0 ; 4-byte Folded Spill
	buffer_store_dword v4, off, s[56:59], 0 offset:4 ; 4-byte Folded Spill
	s_waitcnt vmcnt(0)
	v_and_b32_e32 v1, 0xffff, v2
	v_cmp_ne_u16_sdwa s2, v2, v52 src0_sel:BYTE_0 src1_sel:DWORD
	s_and_saveexec_b32 s49, s2
	s_cbranch_execz .LBB212_42
; %bb.35:                               ;   in Loop: Header=BB212_13 Depth=1
	v_bfrev_b32_e32 v2, 1
	v_mov_b32_e32 v3, 0
	v_cmp_ne_u16_sdwa s2, v1, v39 src0_sel:BYTE_0 src1_sel:DWORD
	buffer_store_dword v2, off, s[56:59], 0 ; 4-byte Folded Spill
	buffer_store_dword v3, off, s[56:59], 0 offset:4 ; 4-byte Folded Spill
	s_and_saveexec_b32 s50, s2
	s_cbranch_execz .LBB212_41
; %bb.36:                               ;   in Loop: Header=BB212_13 Depth=1
	v_mov_b32_e32 v4, 0x7f800001
	v_and_b32_e32 v3, 0x7f, v1
	v_mov_b32_e32 v5, 0
	s_mov_b32 s51, exec_lo
	buffer_store_dword v4, off, s[56:59], 0 ; 4-byte Folded Spill
	buffer_store_dword v5, off, s[56:59], 0 offset:4 ; 4-byte Folded Spill
	v_cmpx_ne_u32_e32 0x7f, v3
	s_cbranch_execz .LBB212_40
; %bb.37:                               ;   in Loop: Header=BB212_13 Depth=1
	v_and_b32_e32 v51, 7, v1
	v_lshrrev_b32_e32 v2, 3, v3
	s_mov_b32 s52, exec_lo
	v_cmpx_gt_u32_e32 8, v3
; %bb.38:                               ;   in Loop: Header=BB212_13 Depth=1
	v_ffbh_u32_e32 v2, v51
	v_min_u32_e32 v2, 32, v2
	v_subrev_nc_u32_e32 v3, 28, v2
	v_sub_nc_u32_e32 v2, 29, v2
	v_lshlrev_b64 v[3:4], v3, v[51:52]
	v_and_b32_e32 v51, 7, v3
; %bb.39:                               ;   in Loop: Header=BB212_13 Depth=1
	s_or_b32 exec_lo, exec_lo, s52
	v_lshlrev_b32_e32 v3, 24, v1
	v_lshlrev_b32_e32 v4, 20, v51
	v_lshl_add_u32 v2, v2, 23, 0x3c000000
	v_and_b32_e32 v3, 0x80000000, v3
	v_or3_b32 v51, v4, v3, v2
	buffer_store_dword v51, off, s[56:59], 0 ; 4-byte Folded Spill
	buffer_store_dword v52, off, s[56:59], 0 offset:4 ; 4-byte Folded Spill
.LBB212_40:                             ;   in Loop: Header=BB212_13 Depth=1
	s_or_b32 exec_lo, exec_lo, s51
.LBB212_41:                             ;   in Loop: Header=BB212_13 Depth=1
	s_or_b32 exec_lo, exec_lo, s50
.LBB212_42:                             ;   in Loop: Header=BB212_13 Depth=1
	s_or_b32 exec_lo, exec_lo, s49
	v_cmp_ne_u16_sdwa s2, v1, v52 src0_sel:BYTE_1 src1_sel:DWORD
	s_and_saveexec_b32 s49, s2
	s_cbranch_execz .LBB212_50
; %bb.43:                               ;   in Loop: Header=BB212_13 Depth=1
	v_mov_b32_e32 v79, v52
	v_cmp_ne_u16_sdwa s2, v1, v39 src0_sel:BYTE_1 src1_sel:DWORD
	buffer_store_dword v79, off, s[56:59], 0 offset:8 ; 4-byte Folded Spill
	buffer_store_dword v80, off, s[56:59], 0 offset:12 ; 4-byte Folded Spill
	s_and_saveexec_b32 s50, s2
	s_cbranch_execz .LBB212_49
; %bb.44:                               ;   in Loop: Header=BB212_13 Depth=1
	v_mov_b32_e32 v2, 0xffff
	v_mov_b32_e32 v21, v52
	s_mov_b32 s51, exec_lo
	buffer_store_dword v21, off, s[56:59], 0 offset:8 ; 4-byte Folded Spill
	buffer_store_dword v22, off, s[56:59], 0 offset:12 ; 4-byte Folded Spill
	v_and_b32_sdwa v2, v2, v1 dst_sel:DWORD dst_unused:UNUSED_PAD src0_sel:DWORD src1_sel:BYTE_1
	v_and_b32_e32 v3, 0x7f, v2
	v_cmpx_ne_u32_e32 0x7f, v3
	s_cbranch_execz .LBB212_48
; %bb.45:                               ;   in Loop: Header=BB212_13 Depth=1
	v_and_b32_e32 v51, 7, v2
	v_lshrrev_b32_e32 v2, 3, v3
	s_mov_b32 s52, exec_lo
	v_cmpx_gt_u32_e32 8, v3
; %bb.46:                               ;   in Loop: Header=BB212_13 Depth=1
	v_ffbh_u32_e32 v2, v51
	v_min_u32_e32 v2, 32, v2
	v_subrev_nc_u32_e32 v3, 28, v2
	v_sub_nc_u32_e32 v2, 29, v2
	v_lshlrev_b64 v[3:4], v3, v[51:52]
	v_and_b32_e32 v51, 7, v3
; %bb.47:                               ;   in Loop: Header=BB212_13 Depth=1
	s_or_b32 exec_lo, exec_lo, s52
	v_lshlrev_b32_e32 v1, 16, v1
	v_lshlrev_b32_e32 v3, 20, v51
	v_lshl_add_u32 v2, v2, 23, 0x3c000000
	v_and_b32_e32 v1, 0x80000000, v1
	v_or3_b32 v2, v3, v1, v2
	v_mov_b32_e32 v1, v52
	buffer_store_dword v1, off, s[56:59], 0 offset:8 ; 4-byte Folded Spill
	buffer_store_dword v2, off, s[56:59], 0 offset:12 ; 4-byte Folded Spill
.LBB212_48:                             ;   in Loop: Header=BB212_13 Depth=1
	s_or_b32 exec_lo, exec_lo, s51
.LBB212_49:                             ;   in Loop: Header=BB212_13 Depth=1
	s_or_b32 exec_lo, exec_lo, s50
.LBB212_50:                             ;   in Loop: Header=BB212_13 Depth=1
	s_or_b32 exec_lo, exec_lo, s49
	global_load_ushort v2, v[71:72], off offset:8
	v_mov_b32_e32 v3, 0
	v_mov_b32_e32 v4, 0
	buffer_store_dword v3, off, s[56:59], 0 offset:24 ; 4-byte Folded Spill
	buffer_store_dword v4, off, s[56:59], 0 offset:28 ; 4-byte Folded Spill
	v_mov_b32_e32 v3, 0
	v_mov_b32_e32 v4, 0
	buffer_store_dword v3, off, s[56:59], 0 offset:16 ; 4-byte Folded Spill
	buffer_store_dword v4, off, s[56:59], 0 offset:20 ; 4-byte Folded Spill
	s_waitcnt vmcnt(0)
	v_and_b32_e32 v1, 0xffff, v2
	v_cmp_ne_u16_sdwa s2, v2, v52 src0_sel:BYTE_0 src1_sel:DWORD
	s_and_saveexec_b32 s49, s2
	s_cbranch_execz .LBB212_58
; %bb.51:                               ;   in Loop: Header=BB212_13 Depth=1
	v_bfrev_b32_e32 v2, 1
	v_mov_b32_e32 v3, 0
	v_cmp_ne_u16_sdwa s2, v1, v39 src0_sel:BYTE_0 src1_sel:DWORD
	buffer_store_dword v2, off, s[56:59], 0 offset:16 ; 4-byte Folded Spill
	buffer_store_dword v3, off, s[56:59], 0 offset:20 ; 4-byte Folded Spill
	s_and_saveexec_b32 s50, s2
	s_cbranch_execz .LBB212_57
; %bb.52:                               ;   in Loop: Header=BB212_13 Depth=1
	v_mov_b32_e32 v4, 0x7f800001
	v_and_b32_e32 v3, 0x7f, v1
	v_mov_b32_e32 v5, 0
	s_mov_b32 s51, exec_lo
	buffer_store_dword v4, off, s[56:59], 0 offset:16 ; 4-byte Folded Spill
	buffer_store_dword v5, off, s[56:59], 0 offset:20 ; 4-byte Folded Spill
	v_cmpx_ne_u32_e32 0x7f, v3
	s_cbranch_execz .LBB212_56
; %bb.53:                               ;   in Loop: Header=BB212_13 Depth=1
	v_and_b32_e32 v51, 7, v1
	v_lshrrev_b32_e32 v2, 3, v3
	s_mov_b32 s52, exec_lo
	v_cmpx_gt_u32_e32 8, v3
; %bb.54:                               ;   in Loop: Header=BB212_13 Depth=1
	v_ffbh_u32_e32 v2, v51
	v_min_u32_e32 v2, 32, v2
	v_subrev_nc_u32_e32 v3, 28, v2
	v_sub_nc_u32_e32 v2, 29, v2
	v_lshlrev_b64 v[3:4], v3, v[51:52]
	v_and_b32_e32 v51, 7, v3
; %bb.55:                               ;   in Loop: Header=BB212_13 Depth=1
	s_or_b32 exec_lo, exec_lo, s52
	v_lshlrev_b32_e32 v3, 24, v1
	v_lshlrev_b32_e32 v4, 20, v51
	v_lshl_add_u32 v2, v2, 23, 0x3c000000
	v_and_b32_e32 v3, 0x80000000, v3
	v_or3_b32 v51, v4, v3, v2
	buffer_store_dword v51, off, s[56:59], 0 offset:16 ; 4-byte Folded Spill
	buffer_store_dword v52, off, s[56:59], 0 offset:20 ; 4-byte Folded Spill
.LBB212_56:                             ;   in Loop: Header=BB212_13 Depth=1
	s_or_b32 exec_lo, exec_lo, s51
.LBB212_57:                             ;   in Loop: Header=BB212_13 Depth=1
	s_or_b32 exec_lo, exec_lo, s50
.LBB212_58:                             ;   in Loop: Header=BB212_13 Depth=1
	s_or_b32 exec_lo, exec_lo, s49
	v_cmp_ne_u16_sdwa s2, v1, v52 src0_sel:BYTE_1 src1_sel:DWORD
	s_and_saveexec_b32 s49, s2
	s_cbranch_execz .LBB212_66
; %bb.59:                               ;   in Loop: Header=BB212_13 Depth=1
	v_mov_b32_e32 v79, v52
	v_cmp_ne_u16_sdwa s2, v1, v39 src0_sel:BYTE_1 src1_sel:DWORD
	buffer_store_dword v79, off, s[56:59], 0 offset:24 ; 4-byte Folded Spill
	buffer_store_dword v80, off, s[56:59], 0 offset:28 ; 4-byte Folded Spill
	s_and_saveexec_b32 s50, s2
	s_cbranch_execz .LBB212_65
; %bb.60:                               ;   in Loop: Header=BB212_13 Depth=1
	v_mov_b32_e32 v2, 0xffff
	v_mov_b32_e32 v21, v52
	s_mov_b32 s51, exec_lo
	buffer_store_dword v21, off, s[56:59], 0 offset:24 ; 4-byte Folded Spill
	buffer_store_dword v22, off, s[56:59], 0 offset:28 ; 4-byte Folded Spill
	v_and_b32_sdwa v2, v2, v1 dst_sel:DWORD dst_unused:UNUSED_PAD src0_sel:DWORD src1_sel:BYTE_1
	v_and_b32_e32 v3, 0x7f, v2
	v_cmpx_ne_u32_e32 0x7f, v3
	s_cbranch_execz .LBB212_64
; %bb.61:                               ;   in Loop: Header=BB212_13 Depth=1
	v_and_b32_e32 v51, 7, v2
	v_lshrrev_b32_e32 v2, 3, v3
	s_mov_b32 s52, exec_lo
	v_cmpx_gt_u32_e32 8, v3
; %bb.62:                               ;   in Loop: Header=BB212_13 Depth=1
	v_ffbh_u32_e32 v2, v51
	v_min_u32_e32 v2, 32, v2
	v_subrev_nc_u32_e32 v3, 28, v2
	v_sub_nc_u32_e32 v2, 29, v2
	v_lshlrev_b64 v[3:4], v3, v[51:52]
	v_and_b32_e32 v51, 7, v3
; %bb.63:                               ;   in Loop: Header=BB212_13 Depth=1
	s_or_b32 exec_lo, exec_lo, s52
	v_lshlrev_b32_e32 v1, 16, v1
	v_lshlrev_b32_e32 v3, 20, v51
	v_lshl_add_u32 v2, v2, 23, 0x3c000000
	v_and_b32_e32 v1, 0x80000000, v1
	v_or3_b32 v2, v3, v1, v2
	v_mov_b32_e32 v1, v52
	buffer_store_dword v1, off, s[56:59], 0 offset:24 ; 4-byte Folded Spill
	buffer_store_dword v2, off, s[56:59], 0 offset:28 ; 4-byte Folded Spill
.LBB212_64:                             ;   in Loop: Header=BB212_13 Depth=1
	s_or_b32 exec_lo, exec_lo, s51
.LBB212_65:                             ;   in Loop: Header=BB212_13 Depth=1
	s_or_b32 exec_lo, exec_lo, s50
.LBB212_66:                             ;   in Loop: Header=BB212_13 Depth=1
	s_or_b32 exec_lo, exec_lo, s49
	global_load_ushort v2, v[71:72], off offset:12
	v_mov_b32_e32 v37, 0
	v_mov_b32_e32 v3, 0
	;; [unrolled: 1-line block ×4, first 2 shown]
	buffer_store_dword v3, off, s[56:59], 0 offset:32 ; 4-byte Folded Spill
	buffer_store_dword v4, off, s[56:59], 0 offset:36 ; 4-byte Folded Spill
	s_waitcnt vmcnt(0)
	v_and_b32_e32 v1, 0xffff, v2
	v_cmp_ne_u16_sdwa s2, v2, v52 src0_sel:BYTE_0 src1_sel:DWORD
	s_and_saveexec_b32 s49, s2
	s_cbranch_execz .LBB212_74
; %bb.67:                               ;   in Loop: Header=BB212_13 Depth=1
	v_bfrev_b32_e32 v2, 1
	v_mov_b32_e32 v3, 0
	v_cmp_ne_u16_sdwa s2, v1, v39 src0_sel:BYTE_0 src1_sel:DWORD
	buffer_store_dword v2, off, s[56:59], 0 offset:32 ; 4-byte Folded Spill
	buffer_store_dword v3, off, s[56:59], 0 offset:36 ; 4-byte Folded Spill
	s_and_saveexec_b32 s50, s2
	s_cbranch_execz .LBB212_73
; %bb.68:                               ;   in Loop: Header=BB212_13 Depth=1
	v_mov_b32_e32 v4, 0x7f800001
	v_and_b32_e32 v3, 0x7f, v1
	v_mov_b32_e32 v5, 0
	s_mov_b32 s51, exec_lo
	buffer_store_dword v4, off, s[56:59], 0 offset:32 ; 4-byte Folded Spill
	buffer_store_dword v5, off, s[56:59], 0 offset:36 ; 4-byte Folded Spill
	v_cmpx_ne_u32_e32 0x7f, v3
	s_cbranch_execz .LBB212_72
; %bb.69:                               ;   in Loop: Header=BB212_13 Depth=1
	v_and_b32_e32 v51, 7, v1
	v_lshrrev_b32_e32 v2, 3, v3
	s_mov_b32 s52, exec_lo
	v_cmpx_gt_u32_e32 8, v3
; %bb.70:                               ;   in Loop: Header=BB212_13 Depth=1
	v_ffbh_u32_e32 v2, v51
	v_min_u32_e32 v2, 32, v2
	v_subrev_nc_u32_e32 v3, 28, v2
	v_sub_nc_u32_e32 v2, 29, v2
	v_lshlrev_b64 v[3:4], v3, v[51:52]
	v_and_b32_e32 v51, 7, v3
; %bb.71:                               ;   in Loop: Header=BB212_13 Depth=1
	s_or_b32 exec_lo, exec_lo, s52
	v_lshlrev_b32_e32 v3, 24, v1
	v_lshlrev_b32_e32 v4, 20, v51
	v_lshl_add_u32 v2, v2, 23, 0x3c000000
	v_and_b32_e32 v3, 0x80000000, v3
	v_or3_b32 v51, v4, v3, v2
	buffer_store_dword v51, off, s[56:59], 0 offset:32 ; 4-byte Folded Spill
	buffer_store_dword v52, off, s[56:59], 0 offset:36 ; 4-byte Folded Spill
.LBB212_72:                             ;   in Loop: Header=BB212_13 Depth=1
	s_or_b32 exec_lo, exec_lo, s51
.LBB212_73:                             ;   in Loop: Header=BB212_13 Depth=1
	s_or_b32 exec_lo, exec_lo, s50
.LBB212_74:                             ;   in Loop: Header=BB212_13 Depth=1
	s_or_b32 exec_lo, exec_lo, s49
	v_cmp_ne_u16_sdwa s2, v1, v52 src0_sel:BYTE_1 src1_sel:DWORD
	s_and_saveexec_b32 s49, s2
	s_cbranch_execz .LBB212_82
; %bb.75:                               ;   in Loop: Header=BB212_13 Depth=1
	v_mov_b32_e32 v79, v52
	v_cmp_ne_u16_sdwa s2, v1, v39 src0_sel:BYTE_1 src1_sel:DWORD
	v_mov_b32_e32 v37, v79
	v_mov_b32_e32 v38, v80
	s_and_saveexec_b32 s50, s2
	s_cbranch_execz .LBB212_81
; %bb.76:                               ;   in Loop: Header=BB212_13 Depth=1
	v_mov_b32_e32 v2, 0xffff
	v_mov_b32_e32 v21, v52
	v_mov_b32_e32 v38, v22
	s_mov_b32 s51, exec_lo
	v_and_b32_sdwa v2, v2, v1 dst_sel:DWORD dst_unused:UNUSED_PAD src0_sel:DWORD src1_sel:BYTE_1
	v_mov_b32_e32 v37, v21
	v_and_b32_e32 v3, 0x7f, v2
	v_cmpx_ne_u32_e32 0x7f, v3
	s_cbranch_execz .LBB212_80
; %bb.77:                               ;   in Loop: Header=BB212_13 Depth=1
	v_and_b32_e32 v51, 7, v2
	v_lshrrev_b32_e32 v2, 3, v3
	s_mov_b32 s52, exec_lo
	v_cmpx_gt_u32_e32 8, v3
; %bb.78:                               ;   in Loop: Header=BB212_13 Depth=1
	v_ffbh_u32_e32 v2, v51
	v_min_u32_e32 v2, 32, v2
	v_subrev_nc_u32_e32 v3, 28, v2
	v_sub_nc_u32_e32 v2, 29, v2
	v_lshlrev_b64 v[3:4], v3, v[51:52]
	v_and_b32_e32 v51, 7, v3
; %bb.79:                               ;   in Loop: Header=BB212_13 Depth=1
	s_or_b32 exec_lo, exec_lo, s52
	v_lshlrev_b32_e32 v1, 16, v1
	v_lshlrev_b32_e32 v3, 20, v51
	v_lshl_add_u32 v2, v2, 23, 0x3c000000
	v_mov_b32_e32 v37, v52
	v_and_b32_e32 v1, 0x80000000, v1
	v_or3_b32 v38, v3, v1, v2
.LBB212_80:                             ;   in Loop: Header=BB212_13 Depth=1
	s_or_b32 exec_lo, exec_lo, s51
.LBB212_81:                             ;   in Loop: Header=BB212_13 Depth=1
	s_or_b32 exec_lo, exec_lo, s50
.LBB212_82:                             ;   in Loop: Header=BB212_13 Depth=1
	s_or_b32 exec_lo, exec_lo, s49
	global_load_ushort v2, v[71:72], off offset:256
	v_mov_b32_e32 v83, 0
	v_mov_b32_e32 v3, 0
	;; [unrolled: 1-line block ×4, first 2 shown]
	buffer_store_dword v3, off, s[56:59], 0 offset:40 ; 4-byte Folded Spill
	buffer_store_dword v4, off, s[56:59], 0 offset:44 ; 4-byte Folded Spill
	s_waitcnt vmcnt(0)
	v_and_b32_e32 v1, 0xffff, v2
	v_cmp_ne_u16_sdwa s2, v2, v52 src0_sel:BYTE_0 src1_sel:DWORD
	s_and_saveexec_b32 s49, s2
	s_cbranch_execz .LBB212_90
; %bb.83:                               ;   in Loop: Header=BB212_13 Depth=1
	v_bfrev_b32_e32 v2, 1
	v_mov_b32_e32 v3, 0
	v_cmp_ne_u16_sdwa s2, v1, v39 src0_sel:BYTE_0 src1_sel:DWORD
	buffer_store_dword v2, off, s[56:59], 0 offset:40 ; 4-byte Folded Spill
	buffer_store_dword v3, off, s[56:59], 0 offset:44 ; 4-byte Folded Spill
	s_and_saveexec_b32 s50, s2
	s_cbranch_execz .LBB212_89
; %bb.84:                               ;   in Loop: Header=BB212_13 Depth=1
	v_mov_b32_e32 v4, 0x7f800001
	v_and_b32_e32 v3, 0x7f, v1
	v_mov_b32_e32 v5, 0
	s_mov_b32 s51, exec_lo
	buffer_store_dword v4, off, s[56:59], 0 offset:40 ; 4-byte Folded Spill
	buffer_store_dword v5, off, s[56:59], 0 offset:44 ; 4-byte Folded Spill
	v_cmpx_ne_u32_e32 0x7f, v3
	s_cbranch_execz .LBB212_88
; %bb.85:                               ;   in Loop: Header=BB212_13 Depth=1
	v_and_b32_e32 v51, 7, v1
	v_lshrrev_b32_e32 v2, 3, v3
	s_mov_b32 s52, exec_lo
	v_cmpx_gt_u32_e32 8, v3
; %bb.86:                               ;   in Loop: Header=BB212_13 Depth=1
	v_ffbh_u32_e32 v2, v51
	v_min_u32_e32 v2, 32, v2
	v_subrev_nc_u32_e32 v3, 28, v2
	v_sub_nc_u32_e32 v2, 29, v2
	v_lshlrev_b64 v[3:4], v3, v[51:52]
	v_and_b32_e32 v51, 7, v3
; %bb.87:                               ;   in Loop: Header=BB212_13 Depth=1
	s_or_b32 exec_lo, exec_lo, s52
	v_lshlrev_b32_e32 v3, 24, v1
	v_lshlrev_b32_e32 v4, 20, v51
	v_lshl_add_u32 v2, v2, 23, 0x3c000000
	v_and_b32_e32 v3, 0x80000000, v3
	v_or3_b32 v51, v4, v3, v2
	buffer_store_dword v51, off, s[56:59], 0 offset:40 ; 4-byte Folded Spill
	buffer_store_dword v52, off, s[56:59], 0 offset:44 ; 4-byte Folded Spill
.LBB212_88:                             ;   in Loop: Header=BB212_13 Depth=1
	s_or_b32 exec_lo, exec_lo, s51
.LBB212_89:                             ;   in Loop: Header=BB212_13 Depth=1
	s_or_b32 exec_lo, exec_lo, s50
.LBB212_90:                             ;   in Loop: Header=BB212_13 Depth=1
	s_or_b32 exec_lo, exec_lo, s49
	v_cmp_ne_u16_sdwa s2, v1, v52 src0_sel:BYTE_1 src1_sel:DWORD
	s_and_saveexec_b32 s49, s2
	s_cbranch_execz .LBB212_98
; %bb.91:                               ;   in Loop: Header=BB212_13 Depth=1
	v_mov_b32_e32 v79, v52
	v_mov_b32_e32 v84, v80
	v_cmp_ne_u16_sdwa s2, v1, v39 src0_sel:BYTE_1 src1_sel:DWORD
	v_mov_b32_e32 v83, v79
	s_and_saveexec_b32 s50, s2
	s_cbranch_execz .LBB212_97
; %bb.92:                               ;   in Loop: Header=BB212_13 Depth=1
	v_mov_b32_e32 v2, 0xffff
	v_mov_b32_e32 v21, v52
	;; [unrolled: 1-line block ×3, first 2 shown]
	s_mov_b32 s51, exec_lo
	v_and_b32_sdwa v2, v2, v1 dst_sel:DWORD dst_unused:UNUSED_PAD src0_sel:DWORD src1_sel:BYTE_1
	v_mov_b32_e32 v83, v21
	v_and_b32_e32 v3, 0x7f, v2
	v_cmpx_ne_u32_e32 0x7f, v3
	s_cbranch_execz .LBB212_96
; %bb.93:                               ;   in Loop: Header=BB212_13 Depth=1
	v_and_b32_e32 v51, 7, v2
	v_lshrrev_b32_e32 v2, 3, v3
	s_mov_b32 s52, exec_lo
	v_cmpx_gt_u32_e32 8, v3
; %bb.94:                               ;   in Loop: Header=BB212_13 Depth=1
	v_ffbh_u32_e32 v2, v51
	v_min_u32_e32 v2, 32, v2
	v_subrev_nc_u32_e32 v3, 28, v2
	v_sub_nc_u32_e32 v2, 29, v2
	v_lshlrev_b64 v[3:4], v3, v[51:52]
	v_and_b32_e32 v51, 7, v3
; %bb.95:                               ;   in Loop: Header=BB212_13 Depth=1
	s_or_b32 exec_lo, exec_lo, s52
	v_lshlrev_b32_e32 v1, 16, v1
	v_lshlrev_b32_e32 v3, 20, v51
	v_lshl_add_u32 v2, v2, 23, 0x3c000000
	v_mov_b32_e32 v83, v52
	v_and_b32_e32 v1, 0x80000000, v1
	v_or3_b32 v84, v3, v1, v2
.LBB212_96:                             ;   in Loop: Header=BB212_13 Depth=1
	s_or_b32 exec_lo, exec_lo, s51
.LBB212_97:                             ;   in Loop: Header=BB212_13 Depth=1
	s_or_b32 exec_lo, exec_lo, s50
.LBB212_98:                             ;   in Loop: Header=BB212_13 Depth=1
	s_or_b32 exec_lo, exec_lo, s49
	global_load_ushort v2, v[71:72], off offset:260
	v_mov_b32_e32 v87, 0
	v_mov_b32_e32 v85, 0
	;; [unrolled: 1-line block ×4, first 2 shown]
	s_waitcnt vmcnt(0)
	v_and_b32_e32 v1, 0xffff, v2
	v_cmp_ne_u16_sdwa s2, v2, v52 src0_sel:BYTE_0 src1_sel:DWORD
	s_and_saveexec_b32 s49, s2
	s_cbranch_execz .LBB212_106
; %bb.99:                               ;   in Loop: Header=BB212_13 Depth=1
	v_bfrev_b32_e32 v85, 1
	v_mov_b32_e32 v86, 0
	v_cmp_ne_u16_sdwa s2, v1, v39 src0_sel:BYTE_0 src1_sel:DWORD
	s_and_saveexec_b32 s50, s2
	s_cbranch_execz .LBB212_105
; %bb.100:                              ;   in Loop: Header=BB212_13 Depth=1
	v_mov_b32_e32 v85, 0x7f800001
	v_and_b32_e32 v3, 0x7f, v1
	v_mov_b32_e32 v86, 0
	s_mov_b32 s51, exec_lo
	v_cmpx_ne_u32_e32 0x7f, v3
	s_cbranch_execz .LBB212_104
; %bb.101:                              ;   in Loop: Header=BB212_13 Depth=1
	v_and_b32_e32 v51, 7, v1
	v_lshrrev_b32_e32 v2, 3, v3
	s_mov_b32 s52, exec_lo
	v_cmpx_gt_u32_e32 8, v3
; %bb.102:                              ;   in Loop: Header=BB212_13 Depth=1
	v_ffbh_u32_e32 v2, v51
	v_min_u32_e32 v2, 32, v2
	v_subrev_nc_u32_e32 v3, 28, v2
	v_sub_nc_u32_e32 v2, 29, v2
	v_lshlrev_b64 v[3:4], v3, v[51:52]
	v_and_b32_e32 v51, 7, v3
; %bb.103:                              ;   in Loop: Header=BB212_13 Depth=1
	s_or_b32 exec_lo, exec_lo, s52
	v_lshlrev_b32_e32 v3, 24, v1
	v_lshlrev_b32_e32 v4, 20, v51
	v_lshl_add_u32 v2, v2, 23, 0x3c000000
	v_and_b32_e32 v3, 0x80000000, v3
	v_or3_b32 v51, v4, v3, v2
	v_mov_b32_e32 v86, v52
	v_mov_b32_e32 v85, v51
.LBB212_104:                            ;   in Loop: Header=BB212_13 Depth=1
	s_or_b32 exec_lo, exec_lo, s51
.LBB212_105:                            ;   in Loop: Header=BB212_13 Depth=1
	s_or_b32 exec_lo, exec_lo, s50
.LBB212_106:                            ;   in Loop: Header=BB212_13 Depth=1
	s_or_b32 exec_lo, exec_lo, s49
	v_cmp_ne_u16_sdwa s2, v1, v52 src0_sel:BYTE_1 src1_sel:DWORD
	s_and_saveexec_b32 s49, s2
	s_cbranch_execz .LBB212_114
; %bb.107:                              ;   in Loop: Header=BB212_13 Depth=1
	v_mov_b32_e32 v79, v52
	v_mov_b32_e32 v88, v80
	v_cmp_ne_u16_sdwa s2, v1, v39 src0_sel:BYTE_1 src1_sel:DWORD
	v_mov_b32_e32 v87, v79
	s_and_saveexec_b32 s50, s2
	s_cbranch_execz .LBB212_113
; %bb.108:                              ;   in Loop: Header=BB212_13 Depth=1
	v_mov_b32_e32 v2, 0xffff
	v_mov_b32_e32 v21, v52
	v_mov_b32_e32 v88, v22
	s_mov_b32 s51, exec_lo
	v_and_b32_sdwa v2, v2, v1 dst_sel:DWORD dst_unused:UNUSED_PAD src0_sel:DWORD src1_sel:BYTE_1
	v_mov_b32_e32 v87, v21
	v_and_b32_e32 v3, 0x7f, v2
	v_cmpx_ne_u32_e32 0x7f, v3
	s_cbranch_execz .LBB212_112
; %bb.109:                              ;   in Loop: Header=BB212_13 Depth=1
	v_and_b32_e32 v51, 7, v2
	v_lshrrev_b32_e32 v2, 3, v3
	s_mov_b32 s52, exec_lo
	v_cmpx_gt_u32_e32 8, v3
; %bb.110:                              ;   in Loop: Header=BB212_13 Depth=1
	v_ffbh_u32_e32 v2, v51
	v_min_u32_e32 v2, 32, v2
	v_subrev_nc_u32_e32 v3, 28, v2
	v_sub_nc_u32_e32 v2, 29, v2
	v_lshlrev_b64 v[3:4], v3, v[51:52]
	v_and_b32_e32 v51, 7, v3
; %bb.111:                              ;   in Loop: Header=BB212_13 Depth=1
	s_or_b32 exec_lo, exec_lo, s52
	v_lshlrev_b32_e32 v1, 16, v1
	v_lshlrev_b32_e32 v3, 20, v51
	v_lshl_add_u32 v2, v2, 23, 0x3c000000
	v_mov_b32_e32 v87, v52
	v_and_b32_e32 v1, 0x80000000, v1
	v_or3_b32 v88, v3, v1, v2
.LBB212_112:                            ;   in Loop: Header=BB212_13 Depth=1
	s_or_b32 exec_lo, exec_lo, s51
.LBB212_113:                            ;   in Loop: Header=BB212_13 Depth=1
	s_or_b32 exec_lo, exec_lo, s50
.LBB212_114:                            ;   in Loop: Header=BB212_13 Depth=1
	s_or_b32 exec_lo, exec_lo, s49
	global_load_ushort v2, v[71:72], off offset:264
	v_mov_b32_e32 v91, 0
	v_mov_b32_e32 v89, 0
	;; [unrolled: 1-line block ×4, first 2 shown]
	s_waitcnt vmcnt(0)
	v_and_b32_e32 v1, 0xffff, v2
	v_cmp_ne_u16_sdwa s2, v2, v52 src0_sel:BYTE_0 src1_sel:DWORD
	s_and_saveexec_b32 s49, s2
	s_cbranch_execz .LBB212_122
; %bb.115:                              ;   in Loop: Header=BB212_13 Depth=1
	v_bfrev_b32_e32 v89, 1
	v_mov_b32_e32 v90, 0
	v_cmp_ne_u16_sdwa s2, v1, v39 src0_sel:BYTE_0 src1_sel:DWORD
	s_and_saveexec_b32 s50, s2
	s_cbranch_execz .LBB212_121
; %bb.116:                              ;   in Loop: Header=BB212_13 Depth=1
	v_mov_b32_e32 v89, 0x7f800001
	v_and_b32_e32 v3, 0x7f, v1
	v_mov_b32_e32 v90, 0
	s_mov_b32 s51, exec_lo
	v_cmpx_ne_u32_e32 0x7f, v3
	s_cbranch_execz .LBB212_120
; %bb.117:                              ;   in Loop: Header=BB212_13 Depth=1
	v_and_b32_e32 v51, 7, v1
	v_lshrrev_b32_e32 v2, 3, v3
	s_mov_b32 s52, exec_lo
	v_cmpx_gt_u32_e32 8, v3
; %bb.118:                              ;   in Loop: Header=BB212_13 Depth=1
	v_ffbh_u32_e32 v2, v51
	v_min_u32_e32 v2, 32, v2
	v_subrev_nc_u32_e32 v3, 28, v2
	v_sub_nc_u32_e32 v2, 29, v2
	v_lshlrev_b64 v[3:4], v3, v[51:52]
	v_and_b32_e32 v51, 7, v3
; %bb.119:                              ;   in Loop: Header=BB212_13 Depth=1
	s_or_b32 exec_lo, exec_lo, s52
	v_lshlrev_b32_e32 v3, 24, v1
	v_lshlrev_b32_e32 v4, 20, v51
	v_lshl_add_u32 v2, v2, 23, 0x3c000000
	v_and_b32_e32 v3, 0x80000000, v3
	v_or3_b32 v51, v4, v3, v2
	v_mov_b32_e32 v90, v52
	v_mov_b32_e32 v89, v51
.LBB212_120:                            ;   in Loop: Header=BB212_13 Depth=1
	s_or_b32 exec_lo, exec_lo, s51
.LBB212_121:                            ;   in Loop: Header=BB212_13 Depth=1
	s_or_b32 exec_lo, exec_lo, s50
.LBB212_122:                            ;   in Loop: Header=BB212_13 Depth=1
	s_or_b32 exec_lo, exec_lo, s49
	v_cmp_ne_u16_sdwa s2, v1, v52 src0_sel:BYTE_1 src1_sel:DWORD
	s_and_saveexec_b32 s49, s2
	s_cbranch_execz .LBB212_130
; %bb.123:                              ;   in Loop: Header=BB212_13 Depth=1
	v_mov_b32_e32 v79, v52
	v_mov_b32_e32 v92, v80
	v_cmp_ne_u16_sdwa s2, v1, v39 src0_sel:BYTE_1 src1_sel:DWORD
	v_mov_b32_e32 v91, v79
	s_and_saveexec_b32 s50, s2
	s_cbranch_execz .LBB212_129
; %bb.124:                              ;   in Loop: Header=BB212_13 Depth=1
	v_mov_b32_e32 v2, 0xffff
	v_mov_b32_e32 v21, v52
	;; [unrolled: 1-line block ×3, first 2 shown]
	s_mov_b32 s51, exec_lo
	v_and_b32_sdwa v2, v2, v1 dst_sel:DWORD dst_unused:UNUSED_PAD src0_sel:DWORD src1_sel:BYTE_1
	v_mov_b32_e32 v91, v21
	v_and_b32_e32 v3, 0x7f, v2
	v_cmpx_ne_u32_e32 0x7f, v3
	s_cbranch_execz .LBB212_128
; %bb.125:                              ;   in Loop: Header=BB212_13 Depth=1
	v_and_b32_e32 v51, 7, v2
	v_lshrrev_b32_e32 v2, 3, v3
	s_mov_b32 s52, exec_lo
	v_cmpx_gt_u32_e32 8, v3
; %bb.126:                              ;   in Loop: Header=BB212_13 Depth=1
	v_ffbh_u32_e32 v2, v51
	v_min_u32_e32 v2, 32, v2
	v_subrev_nc_u32_e32 v3, 28, v2
	v_sub_nc_u32_e32 v2, 29, v2
	v_lshlrev_b64 v[3:4], v3, v[51:52]
	v_and_b32_e32 v51, 7, v3
; %bb.127:                              ;   in Loop: Header=BB212_13 Depth=1
	s_or_b32 exec_lo, exec_lo, s52
	v_lshlrev_b32_e32 v1, 16, v1
	v_lshlrev_b32_e32 v3, 20, v51
	v_lshl_add_u32 v2, v2, 23, 0x3c000000
	v_mov_b32_e32 v91, v52
	v_and_b32_e32 v1, 0x80000000, v1
	v_or3_b32 v92, v3, v1, v2
.LBB212_128:                            ;   in Loop: Header=BB212_13 Depth=1
	s_or_b32 exec_lo, exec_lo, s51
.LBB212_129:                            ;   in Loop: Header=BB212_13 Depth=1
	s_or_b32 exec_lo, exec_lo, s50
.LBB212_130:                            ;   in Loop: Header=BB212_13 Depth=1
	s_or_b32 exec_lo, exec_lo, s49
	global_load_ushort v2, v[71:72], off offset:268
	v_mov_b32_e32 v95, 0
	v_mov_b32_e32 v93, 0
	;; [unrolled: 1-line block ×4, first 2 shown]
	s_waitcnt vmcnt(0)
	v_and_b32_e32 v1, 0xffff, v2
	v_cmp_ne_u16_sdwa s2, v2, v52 src0_sel:BYTE_0 src1_sel:DWORD
	s_and_saveexec_b32 s49, s2
	s_cbranch_execz .LBB212_138
; %bb.131:                              ;   in Loop: Header=BB212_13 Depth=1
	v_bfrev_b32_e32 v93, 1
	v_mov_b32_e32 v94, 0
	v_cmp_ne_u16_sdwa s2, v1, v39 src0_sel:BYTE_0 src1_sel:DWORD
	s_and_saveexec_b32 s50, s2
	s_cbranch_execz .LBB212_137
; %bb.132:                              ;   in Loop: Header=BB212_13 Depth=1
	v_mov_b32_e32 v93, 0x7f800001
	v_and_b32_e32 v3, 0x7f, v1
	v_mov_b32_e32 v94, 0
	s_mov_b32 s51, exec_lo
	v_cmpx_ne_u32_e32 0x7f, v3
	s_cbranch_execz .LBB212_136
; %bb.133:                              ;   in Loop: Header=BB212_13 Depth=1
	v_and_b32_e32 v51, 7, v1
	v_lshrrev_b32_e32 v2, 3, v3
	s_mov_b32 s52, exec_lo
	v_cmpx_gt_u32_e32 8, v3
; %bb.134:                              ;   in Loop: Header=BB212_13 Depth=1
	v_ffbh_u32_e32 v2, v51
	v_min_u32_e32 v2, 32, v2
	v_subrev_nc_u32_e32 v3, 28, v2
	v_sub_nc_u32_e32 v2, 29, v2
	v_lshlrev_b64 v[3:4], v3, v[51:52]
	v_and_b32_e32 v51, 7, v3
; %bb.135:                              ;   in Loop: Header=BB212_13 Depth=1
	s_or_b32 exec_lo, exec_lo, s52
	v_lshlrev_b32_e32 v3, 24, v1
	v_lshlrev_b32_e32 v4, 20, v51
	v_lshl_add_u32 v2, v2, 23, 0x3c000000
	v_and_b32_e32 v3, 0x80000000, v3
	v_or3_b32 v51, v4, v3, v2
	v_mov_b32_e32 v94, v52
	v_mov_b32_e32 v93, v51
.LBB212_136:                            ;   in Loop: Header=BB212_13 Depth=1
	s_or_b32 exec_lo, exec_lo, s51
.LBB212_137:                            ;   in Loop: Header=BB212_13 Depth=1
	s_or_b32 exec_lo, exec_lo, s50
.LBB212_138:                            ;   in Loop: Header=BB212_13 Depth=1
	s_or_b32 exec_lo, exec_lo, s49
	v_cmp_ne_u16_sdwa s2, v1, v52 src0_sel:BYTE_1 src1_sel:DWORD
	s_and_saveexec_b32 s49, s2
	s_cbranch_execz .LBB212_146
; %bb.139:                              ;   in Loop: Header=BB212_13 Depth=1
	v_mov_b32_e32 v79, v52
	v_mov_b32_e32 v96, v80
	v_cmp_ne_u16_sdwa s2, v1, v39 src0_sel:BYTE_1 src1_sel:DWORD
	v_mov_b32_e32 v95, v79
	s_and_saveexec_b32 s50, s2
	s_cbranch_execz .LBB212_145
; %bb.140:                              ;   in Loop: Header=BB212_13 Depth=1
	v_mov_b32_e32 v2, 0xffff
	v_mov_b32_e32 v21, v52
	;; [unrolled: 1-line block ×3, first 2 shown]
	s_mov_b32 s51, exec_lo
	v_and_b32_sdwa v2, v2, v1 dst_sel:DWORD dst_unused:UNUSED_PAD src0_sel:DWORD src1_sel:BYTE_1
	v_mov_b32_e32 v95, v21
	v_and_b32_e32 v3, 0x7f, v2
	v_cmpx_ne_u32_e32 0x7f, v3
	s_cbranch_execz .LBB212_144
; %bb.141:                              ;   in Loop: Header=BB212_13 Depth=1
	v_and_b32_e32 v51, 7, v2
	v_lshrrev_b32_e32 v2, 3, v3
	s_mov_b32 s52, exec_lo
	v_cmpx_gt_u32_e32 8, v3
; %bb.142:                              ;   in Loop: Header=BB212_13 Depth=1
	v_ffbh_u32_e32 v2, v51
	v_min_u32_e32 v2, 32, v2
	v_subrev_nc_u32_e32 v3, 28, v2
	v_sub_nc_u32_e32 v2, 29, v2
	v_lshlrev_b64 v[3:4], v3, v[51:52]
	v_and_b32_e32 v51, 7, v3
; %bb.143:                              ;   in Loop: Header=BB212_13 Depth=1
	s_or_b32 exec_lo, exec_lo, s52
	v_lshlrev_b32_e32 v1, 16, v1
	v_lshlrev_b32_e32 v3, 20, v51
	v_lshl_add_u32 v2, v2, 23, 0x3c000000
	v_mov_b32_e32 v95, v52
	v_and_b32_e32 v1, 0x80000000, v1
	v_or3_b32 v96, v3, v1, v2
.LBB212_144:                            ;   in Loop: Header=BB212_13 Depth=1
	s_or_b32 exec_lo, exec_lo, s51
.LBB212_145:                            ;   in Loop: Header=BB212_13 Depth=1
	s_or_b32 exec_lo, exec_lo, s50
.LBB212_146:                            ;   in Loop: Header=BB212_13 Depth=1
	s_or_b32 exec_lo, exec_lo, s49
	global_load_ushort v2, v[71:72], off offset:512
	v_mov_b32_e32 v99, 0
	v_mov_b32_e32 v97, 0
	v_mov_b32_e32 v100, 0
	v_mov_b32_e32 v98, 0
	s_waitcnt vmcnt(0)
	v_and_b32_e32 v1, 0xffff, v2
	v_cmp_ne_u16_sdwa s2, v2, v52 src0_sel:BYTE_0 src1_sel:DWORD
	s_and_saveexec_b32 s49, s2
	s_cbranch_execz .LBB212_154
; %bb.147:                              ;   in Loop: Header=BB212_13 Depth=1
	v_bfrev_b32_e32 v97, 1
	v_mov_b32_e32 v98, 0
	v_cmp_ne_u16_sdwa s2, v1, v39 src0_sel:BYTE_0 src1_sel:DWORD
	s_and_saveexec_b32 s50, s2
	s_cbranch_execz .LBB212_153
; %bb.148:                              ;   in Loop: Header=BB212_13 Depth=1
	v_mov_b32_e32 v97, 0x7f800001
	v_and_b32_e32 v3, 0x7f, v1
	v_mov_b32_e32 v98, 0
	s_mov_b32 s51, exec_lo
	v_cmpx_ne_u32_e32 0x7f, v3
	s_cbranch_execz .LBB212_152
; %bb.149:                              ;   in Loop: Header=BB212_13 Depth=1
	v_and_b32_e32 v51, 7, v1
	v_lshrrev_b32_e32 v2, 3, v3
	s_mov_b32 s52, exec_lo
	v_cmpx_gt_u32_e32 8, v3
; %bb.150:                              ;   in Loop: Header=BB212_13 Depth=1
	v_ffbh_u32_e32 v2, v51
	v_min_u32_e32 v2, 32, v2
	v_subrev_nc_u32_e32 v3, 28, v2
	v_sub_nc_u32_e32 v2, 29, v2
	v_lshlrev_b64 v[3:4], v3, v[51:52]
	v_and_b32_e32 v51, 7, v3
; %bb.151:                              ;   in Loop: Header=BB212_13 Depth=1
	s_or_b32 exec_lo, exec_lo, s52
	v_lshlrev_b32_e32 v3, 24, v1
	v_lshlrev_b32_e32 v4, 20, v51
	v_lshl_add_u32 v2, v2, 23, 0x3c000000
	v_and_b32_e32 v3, 0x80000000, v3
	v_or3_b32 v51, v4, v3, v2
	v_mov_b32_e32 v98, v52
	v_mov_b32_e32 v97, v51
.LBB212_152:                            ;   in Loop: Header=BB212_13 Depth=1
	s_or_b32 exec_lo, exec_lo, s51
.LBB212_153:                            ;   in Loop: Header=BB212_13 Depth=1
	s_or_b32 exec_lo, exec_lo, s50
.LBB212_154:                            ;   in Loop: Header=BB212_13 Depth=1
	s_or_b32 exec_lo, exec_lo, s49
	v_cmp_ne_u16_sdwa s2, v1, v52 src0_sel:BYTE_1 src1_sel:DWORD
	s_and_saveexec_b32 s49, s2
	s_cbranch_execz .LBB212_162
; %bb.155:                              ;   in Loop: Header=BB212_13 Depth=1
	v_mov_b32_e32 v79, v52
	v_mov_b32_e32 v100, v80
	v_cmp_ne_u16_sdwa s2, v1, v39 src0_sel:BYTE_1 src1_sel:DWORD
	v_mov_b32_e32 v99, v79
	s_and_saveexec_b32 s50, s2
	s_cbranch_execz .LBB212_161
; %bb.156:                              ;   in Loop: Header=BB212_13 Depth=1
	v_mov_b32_e32 v2, 0xffff
	v_mov_b32_e32 v21, v52
	v_mov_b32_e32 v100, v22
	s_mov_b32 s51, exec_lo
	v_and_b32_sdwa v2, v2, v1 dst_sel:DWORD dst_unused:UNUSED_PAD src0_sel:DWORD src1_sel:BYTE_1
	v_mov_b32_e32 v99, v21
	v_and_b32_e32 v3, 0x7f, v2
	v_cmpx_ne_u32_e32 0x7f, v3
	s_cbranch_execz .LBB212_160
; %bb.157:                              ;   in Loop: Header=BB212_13 Depth=1
	v_and_b32_e32 v51, 7, v2
	v_lshrrev_b32_e32 v2, 3, v3
	s_mov_b32 s52, exec_lo
	v_cmpx_gt_u32_e32 8, v3
; %bb.158:                              ;   in Loop: Header=BB212_13 Depth=1
	v_ffbh_u32_e32 v2, v51
	v_min_u32_e32 v2, 32, v2
	v_subrev_nc_u32_e32 v3, 28, v2
	v_sub_nc_u32_e32 v2, 29, v2
	v_lshlrev_b64 v[3:4], v3, v[51:52]
	v_and_b32_e32 v51, 7, v3
; %bb.159:                              ;   in Loop: Header=BB212_13 Depth=1
	s_or_b32 exec_lo, exec_lo, s52
	v_lshlrev_b32_e32 v1, 16, v1
	v_lshlrev_b32_e32 v3, 20, v51
	v_lshl_add_u32 v2, v2, 23, 0x3c000000
	v_mov_b32_e32 v99, v52
	v_and_b32_e32 v1, 0x80000000, v1
	v_or3_b32 v100, v3, v1, v2
.LBB212_160:                            ;   in Loop: Header=BB212_13 Depth=1
	s_or_b32 exec_lo, exec_lo, s51
.LBB212_161:                            ;   in Loop: Header=BB212_13 Depth=1
	s_or_b32 exec_lo, exec_lo, s50
.LBB212_162:                            ;   in Loop: Header=BB212_13 Depth=1
	s_or_b32 exec_lo, exec_lo, s49
	global_load_ushort v2, v[71:72], off offset:516
	v_mov_b32_e32 v103, 0
	v_mov_b32_e32 v101, 0
	;; [unrolled: 1-line block ×4, first 2 shown]
	s_waitcnt vmcnt(0)
	v_and_b32_e32 v1, 0xffff, v2
	v_cmp_ne_u16_sdwa s2, v2, v52 src0_sel:BYTE_0 src1_sel:DWORD
	s_and_saveexec_b32 s49, s2
	s_cbranch_execz .LBB212_170
; %bb.163:                              ;   in Loop: Header=BB212_13 Depth=1
	v_bfrev_b32_e32 v101, 1
	v_mov_b32_e32 v102, 0
	v_cmp_ne_u16_sdwa s2, v1, v39 src0_sel:BYTE_0 src1_sel:DWORD
	s_and_saveexec_b32 s50, s2
	s_cbranch_execz .LBB212_169
; %bb.164:                              ;   in Loop: Header=BB212_13 Depth=1
	v_mov_b32_e32 v101, 0x7f800001
	v_and_b32_e32 v3, 0x7f, v1
	v_mov_b32_e32 v102, 0
	s_mov_b32 s51, exec_lo
	v_cmpx_ne_u32_e32 0x7f, v3
	s_cbranch_execz .LBB212_168
; %bb.165:                              ;   in Loop: Header=BB212_13 Depth=1
	v_and_b32_e32 v51, 7, v1
	v_lshrrev_b32_e32 v2, 3, v3
	s_mov_b32 s52, exec_lo
	v_cmpx_gt_u32_e32 8, v3
; %bb.166:                              ;   in Loop: Header=BB212_13 Depth=1
	v_ffbh_u32_e32 v2, v51
	v_min_u32_e32 v2, 32, v2
	v_subrev_nc_u32_e32 v3, 28, v2
	v_sub_nc_u32_e32 v2, 29, v2
	v_lshlrev_b64 v[3:4], v3, v[51:52]
	v_and_b32_e32 v51, 7, v3
; %bb.167:                              ;   in Loop: Header=BB212_13 Depth=1
	s_or_b32 exec_lo, exec_lo, s52
	v_lshlrev_b32_e32 v3, 24, v1
	v_lshlrev_b32_e32 v4, 20, v51
	v_lshl_add_u32 v2, v2, 23, 0x3c000000
	v_and_b32_e32 v3, 0x80000000, v3
	v_or3_b32 v51, v4, v3, v2
	v_mov_b32_e32 v102, v52
	v_mov_b32_e32 v101, v51
.LBB212_168:                            ;   in Loop: Header=BB212_13 Depth=1
	s_or_b32 exec_lo, exec_lo, s51
.LBB212_169:                            ;   in Loop: Header=BB212_13 Depth=1
	s_or_b32 exec_lo, exec_lo, s50
.LBB212_170:                            ;   in Loop: Header=BB212_13 Depth=1
	s_or_b32 exec_lo, exec_lo, s49
	v_cmp_ne_u16_sdwa s2, v1, v52 src0_sel:BYTE_1 src1_sel:DWORD
	s_and_saveexec_b32 s49, s2
	s_cbranch_execz .LBB212_178
; %bb.171:                              ;   in Loop: Header=BB212_13 Depth=1
	v_mov_b32_e32 v79, v52
	v_mov_b32_e32 v104, v80
	v_cmp_ne_u16_sdwa s2, v1, v39 src0_sel:BYTE_1 src1_sel:DWORD
	v_mov_b32_e32 v103, v79
	s_and_saveexec_b32 s50, s2
	s_cbranch_execz .LBB212_177
; %bb.172:                              ;   in Loop: Header=BB212_13 Depth=1
	v_mov_b32_e32 v2, 0xffff
	v_mov_b32_e32 v21, v52
	;; [unrolled: 1-line block ×3, first 2 shown]
	s_mov_b32 s51, exec_lo
	v_and_b32_sdwa v2, v2, v1 dst_sel:DWORD dst_unused:UNUSED_PAD src0_sel:DWORD src1_sel:BYTE_1
	v_mov_b32_e32 v103, v21
	v_and_b32_e32 v3, 0x7f, v2
	v_cmpx_ne_u32_e32 0x7f, v3
	s_cbranch_execz .LBB212_176
; %bb.173:                              ;   in Loop: Header=BB212_13 Depth=1
	v_and_b32_e32 v51, 7, v2
	v_lshrrev_b32_e32 v2, 3, v3
	s_mov_b32 s52, exec_lo
	v_cmpx_gt_u32_e32 8, v3
; %bb.174:                              ;   in Loop: Header=BB212_13 Depth=1
	v_ffbh_u32_e32 v2, v51
	v_min_u32_e32 v2, 32, v2
	v_subrev_nc_u32_e32 v3, 28, v2
	v_sub_nc_u32_e32 v2, 29, v2
	v_lshlrev_b64 v[3:4], v3, v[51:52]
	v_and_b32_e32 v51, 7, v3
; %bb.175:                              ;   in Loop: Header=BB212_13 Depth=1
	s_or_b32 exec_lo, exec_lo, s52
	v_lshlrev_b32_e32 v1, 16, v1
	v_lshlrev_b32_e32 v3, 20, v51
	v_lshl_add_u32 v2, v2, 23, 0x3c000000
	v_mov_b32_e32 v103, v52
	v_and_b32_e32 v1, 0x80000000, v1
	v_or3_b32 v104, v3, v1, v2
.LBB212_176:                            ;   in Loop: Header=BB212_13 Depth=1
	s_or_b32 exec_lo, exec_lo, s51
.LBB212_177:                            ;   in Loop: Header=BB212_13 Depth=1
	s_or_b32 exec_lo, exec_lo, s50
.LBB212_178:                            ;   in Loop: Header=BB212_13 Depth=1
	s_or_b32 exec_lo, exec_lo, s49
	global_load_ushort v2, v[71:72], off offset:520
	v_mov_b32_e32 v107, 0
	v_mov_b32_e32 v105, 0
	;; [unrolled: 1-line block ×4, first 2 shown]
	s_waitcnt vmcnt(0)
	v_and_b32_e32 v1, 0xffff, v2
	v_cmp_ne_u16_sdwa s2, v2, v52 src0_sel:BYTE_0 src1_sel:DWORD
	s_and_saveexec_b32 s49, s2
	s_cbranch_execz .LBB212_186
; %bb.179:                              ;   in Loop: Header=BB212_13 Depth=1
	v_bfrev_b32_e32 v105, 1
	v_mov_b32_e32 v106, 0
	v_cmp_ne_u16_sdwa s2, v1, v39 src0_sel:BYTE_0 src1_sel:DWORD
	s_and_saveexec_b32 s50, s2
	s_cbranch_execz .LBB212_185
; %bb.180:                              ;   in Loop: Header=BB212_13 Depth=1
	v_mov_b32_e32 v105, 0x7f800001
	v_and_b32_e32 v3, 0x7f, v1
	v_mov_b32_e32 v106, 0
	s_mov_b32 s51, exec_lo
	v_cmpx_ne_u32_e32 0x7f, v3
	s_cbranch_execz .LBB212_184
; %bb.181:                              ;   in Loop: Header=BB212_13 Depth=1
	v_and_b32_e32 v51, 7, v1
	v_lshrrev_b32_e32 v2, 3, v3
	s_mov_b32 s52, exec_lo
	v_cmpx_gt_u32_e32 8, v3
; %bb.182:                              ;   in Loop: Header=BB212_13 Depth=1
	v_ffbh_u32_e32 v2, v51
	v_min_u32_e32 v2, 32, v2
	v_subrev_nc_u32_e32 v3, 28, v2
	v_sub_nc_u32_e32 v2, 29, v2
	v_lshlrev_b64 v[3:4], v3, v[51:52]
	v_and_b32_e32 v51, 7, v3
; %bb.183:                              ;   in Loop: Header=BB212_13 Depth=1
	s_or_b32 exec_lo, exec_lo, s52
	v_lshlrev_b32_e32 v3, 24, v1
	v_lshlrev_b32_e32 v4, 20, v51
	v_lshl_add_u32 v2, v2, 23, 0x3c000000
	v_and_b32_e32 v3, 0x80000000, v3
	v_or3_b32 v51, v4, v3, v2
	v_mov_b32_e32 v106, v52
	v_mov_b32_e32 v105, v51
.LBB212_184:                            ;   in Loop: Header=BB212_13 Depth=1
	s_or_b32 exec_lo, exec_lo, s51
.LBB212_185:                            ;   in Loop: Header=BB212_13 Depth=1
	s_or_b32 exec_lo, exec_lo, s50
.LBB212_186:                            ;   in Loop: Header=BB212_13 Depth=1
	s_or_b32 exec_lo, exec_lo, s49
	v_cmp_ne_u16_sdwa s2, v1, v52 src0_sel:BYTE_1 src1_sel:DWORD
	s_and_saveexec_b32 s49, s2
	s_cbranch_execz .LBB212_194
; %bb.187:                              ;   in Loop: Header=BB212_13 Depth=1
	v_mov_b32_e32 v79, v52
	v_mov_b32_e32 v108, v80
	v_cmp_ne_u16_sdwa s2, v1, v39 src0_sel:BYTE_1 src1_sel:DWORD
	v_mov_b32_e32 v107, v79
	s_and_saveexec_b32 s50, s2
	s_cbranch_execz .LBB212_193
; %bb.188:                              ;   in Loop: Header=BB212_13 Depth=1
	v_mov_b32_e32 v2, 0xffff
	v_mov_b32_e32 v21, v52
	;; [unrolled: 1-line block ×3, first 2 shown]
	s_mov_b32 s51, exec_lo
	v_and_b32_sdwa v2, v2, v1 dst_sel:DWORD dst_unused:UNUSED_PAD src0_sel:DWORD src1_sel:BYTE_1
	v_mov_b32_e32 v107, v21
	v_and_b32_e32 v3, 0x7f, v2
	v_cmpx_ne_u32_e32 0x7f, v3
	s_cbranch_execz .LBB212_192
; %bb.189:                              ;   in Loop: Header=BB212_13 Depth=1
	v_and_b32_e32 v51, 7, v2
	v_lshrrev_b32_e32 v2, 3, v3
	s_mov_b32 s52, exec_lo
	v_cmpx_gt_u32_e32 8, v3
; %bb.190:                              ;   in Loop: Header=BB212_13 Depth=1
	v_ffbh_u32_e32 v2, v51
	v_min_u32_e32 v2, 32, v2
	v_subrev_nc_u32_e32 v3, 28, v2
	v_sub_nc_u32_e32 v2, 29, v2
	v_lshlrev_b64 v[3:4], v3, v[51:52]
	v_and_b32_e32 v51, 7, v3
; %bb.191:                              ;   in Loop: Header=BB212_13 Depth=1
	s_or_b32 exec_lo, exec_lo, s52
	v_lshlrev_b32_e32 v1, 16, v1
	v_lshlrev_b32_e32 v3, 20, v51
	v_lshl_add_u32 v2, v2, 23, 0x3c000000
	v_mov_b32_e32 v107, v52
	v_and_b32_e32 v1, 0x80000000, v1
	v_or3_b32 v108, v3, v1, v2
.LBB212_192:                            ;   in Loop: Header=BB212_13 Depth=1
	s_or_b32 exec_lo, exec_lo, s51
.LBB212_193:                            ;   in Loop: Header=BB212_13 Depth=1
	s_or_b32 exec_lo, exec_lo, s50
.LBB212_194:                            ;   in Loop: Header=BB212_13 Depth=1
	s_or_b32 exec_lo, exec_lo, s49
	global_load_ushort v2, v[71:72], off offset:524
	v_mov_b32_e32 v111, 0
	v_mov_b32_e32 v109, 0
	;; [unrolled: 1-line block ×4, first 2 shown]
	s_waitcnt vmcnt(0)
	v_and_b32_e32 v1, 0xffff, v2
	v_cmp_ne_u16_sdwa s2, v2, v52 src0_sel:BYTE_0 src1_sel:DWORD
	s_and_saveexec_b32 s49, s2
	s_cbranch_execz .LBB212_202
; %bb.195:                              ;   in Loop: Header=BB212_13 Depth=1
	v_bfrev_b32_e32 v109, 1
	v_mov_b32_e32 v110, 0
	v_cmp_ne_u16_sdwa s2, v1, v39 src0_sel:BYTE_0 src1_sel:DWORD
	s_and_saveexec_b32 s50, s2
	s_cbranch_execz .LBB212_201
; %bb.196:                              ;   in Loop: Header=BB212_13 Depth=1
	v_mov_b32_e32 v109, 0x7f800001
	v_and_b32_e32 v3, 0x7f, v1
	v_mov_b32_e32 v110, 0
	s_mov_b32 s51, exec_lo
	v_cmpx_ne_u32_e32 0x7f, v3
	s_cbranch_execz .LBB212_200
; %bb.197:                              ;   in Loop: Header=BB212_13 Depth=1
	v_and_b32_e32 v51, 7, v1
	v_lshrrev_b32_e32 v2, 3, v3
	s_mov_b32 s52, exec_lo
	v_cmpx_gt_u32_e32 8, v3
; %bb.198:                              ;   in Loop: Header=BB212_13 Depth=1
	v_ffbh_u32_e32 v2, v51
	v_min_u32_e32 v2, 32, v2
	v_subrev_nc_u32_e32 v3, 28, v2
	v_sub_nc_u32_e32 v2, 29, v2
	v_lshlrev_b64 v[3:4], v3, v[51:52]
	v_and_b32_e32 v51, 7, v3
; %bb.199:                              ;   in Loop: Header=BB212_13 Depth=1
	s_or_b32 exec_lo, exec_lo, s52
	v_lshlrev_b32_e32 v3, 24, v1
	v_lshlrev_b32_e32 v4, 20, v51
	v_lshl_add_u32 v2, v2, 23, 0x3c000000
	v_and_b32_e32 v3, 0x80000000, v3
	v_or3_b32 v51, v4, v3, v2
	v_mov_b32_e32 v110, v52
	v_mov_b32_e32 v109, v51
.LBB212_200:                            ;   in Loop: Header=BB212_13 Depth=1
	s_or_b32 exec_lo, exec_lo, s51
.LBB212_201:                            ;   in Loop: Header=BB212_13 Depth=1
	s_or_b32 exec_lo, exec_lo, s50
.LBB212_202:                            ;   in Loop: Header=BB212_13 Depth=1
	s_or_b32 exec_lo, exec_lo, s49
	v_cmp_ne_u16_sdwa s2, v1, v52 src0_sel:BYTE_1 src1_sel:DWORD
	s_and_saveexec_b32 s49, s2
	s_cbranch_execz .LBB212_210
; %bb.203:                              ;   in Loop: Header=BB212_13 Depth=1
	v_mov_b32_e32 v79, v52
	v_mov_b32_e32 v112, v80
	v_cmp_ne_u16_sdwa s2, v1, v39 src0_sel:BYTE_1 src1_sel:DWORD
	v_mov_b32_e32 v111, v79
	s_and_saveexec_b32 s50, s2
	s_cbranch_execz .LBB212_209
; %bb.204:                              ;   in Loop: Header=BB212_13 Depth=1
	v_mov_b32_e32 v2, 0xffff
	v_mov_b32_e32 v21, v52
	;; [unrolled: 1-line block ×3, first 2 shown]
	s_mov_b32 s51, exec_lo
	v_and_b32_sdwa v2, v2, v1 dst_sel:DWORD dst_unused:UNUSED_PAD src0_sel:DWORD src1_sel:BYTE_1
	v_mov_b32_e32 v111, v21
	v_and_b32_e32 v3, 0x7f, v2
	v_cmpx_ne_u32_e32 0x7f, v3
	s_cbranch_execz .LBB212_208
; %bb.205:                              ;   in Loop: Header=BB212_13 Depth=1
	v_and_b32_e32 v51, 7, v2
	v_lshrrev_b32_e32 v2, 3, v3
	s_mov_b32 s52, exec_lo
	v_cmpx_gt_u32_e32 8, v3
; %bb.206:                              ;   in Loop: Header=BB212_13 Depth=1
	v_ffbh_u32_e32 v2, v51
	v_min_u32_e32 v2, 32, v2
	v_subrev_nc_u32_e32 v3, 28, v2
	v_sub_nc_u32_e32 v2, 29, v2
	v_lshlrev_b64 v[3:4], v3, v[51:52]
	v_and_b32_e32 v51, 7, v3
; %bb.207:                              ;   in Loop: Header=BB212_13 Depth=1
	s_or_b32 exec_lo, exec_lo, s52
	v_lshlrev_b32_e32 v1, 16, v1
	v_lshlrev_b32_e32 v3, 20, v51
	v_lshl_add_u32 v2, v2, 23, 0x3c000000
	v_mov_b32_e32 v111, v52
	v_and_b32_e32 v1, 0x80000000, v1
	v_or3_b32 v112, v3, v1, v2
.LBB212_208:                            ;   in Loop: Header=BB212_13 Depth=1
	s_or_b32 exec_lo, exec_lo, s51
.LBB212_209:                            ;   in Loop: Header=BB212_13 Depth=1
	s_or_b32 exec_lo, exec_lo, s50
.LBB212_210:                            ;   in Loop: Header=BB212_13 Depth=1
	s_or_b32 exec_lo, exec_lo, s49
	global_load_ushort v2, v[71:72], off offset:768
	v_mov_b32_e32 v115, 0
	v_mov_b32_e32 v113, 0
	;; [unrolled: 1-line block ×4, first 2 shown]
	s_waitcnt vmcnt(0)
	v_and_b32_e32 v1, 0xffff, v2
	v_cmp_ne_u16_sdwa s2, v2, v52 src0_sel:BYTE_0 src1_sel:DWORD
	s_and_saveexec_b32 s49, s2
	s_cbranch_execz .LBB212_218
; %bb.211:                              ;   in Loop: Header=BB212_13 Depth=1
	v_bfrev_b32_e32 v113, 1
	v_mov_b32_e32 v114, 0
	v_cmp_ne_u16_sdwa s2, v1, v39 src0_sel:BYTE_0 src1_sel:DWORD
	s_and_saveexec_b32 s50, s2
	s_cbranch_execz .LBB212_217
; %bb.212:                              ;   in Loop: Header=BB212_13 Depth=1
	v_mov_b32_e32 v113, 0x7f800001
	v_and_b32_e32 v3, 0x7f, v1
	v_mov_b32_e32 v114, 0
	s_mov_b32 s51, exec_lo
	v_cmpx_ne_u32_e32 0x7f, v3
	s_cbranch_execz .LBB212_216
; %bb.213:                              ;   in Loop: Header=BB212_13 Depth=1
	v_and_b32_e32 v51, 7, v1
	v_lshrrev_b32_e32 v2, 3, v3
	s_mov_b32 s52, exec_lo
	v_cmpx_gt_u32_e32 8, v3
; %bb.214:                              ;   in Loop: Header=BB212_13 Depth=1
	v_ffbh_u32_e32 v2, v51
	v_min_u32_e32 v2, 32, v2
	v_subrev_nc_u32_e32 v3, 28, v2
	v_sub_nc_u32_e32 v2, 29, v2
	v_lshlrev_b64 v[3:4], v3, v[51:52]
	v_and_b32_e32 v51, 7, v3
; %bb.215:                              ;   in Loop: Header=BB212_13 Depth=1
	s_or_b32 exec_lo, exec_lo, s52
	v_lshlrev_b32_e32 v3, 24, v1
	v_lshlrev_b32_e32 v4, 20, v51
	v_lshl_add_u32 v2, v2, 23, 0x3c000000
	v_and_b32_e32 v3, 0x80000000, v3
	v_or3_b32 v51, v4, v3, v2
	v_mov_b32_e32 v114, v52
	v_mov_b32_e32 v113, v51
.LBB212_216:                            ;   in Loop: Header=BB212_13 Depth=1
	s_or_b32 exec_lo, exec_lo, s51
.LBB212_217:                            ;   in Loop: Header=BB212_13 Depth=1
	s_or_b32 exec_lo, exec_lo, s50
.LBB212_218:                            ;   in Loop: Header=BB212_13 Depth=1
	s_or_b32 exec_lo, exec_lo, s49
	v_cmp_ne_u16_sdwa s2, v1, v52 src0_sel:BYTE_1 src1_sel:DWORD
	s_and_saveexec_b32 s49, s2
	s_cbranch_execz .LBB212_226
; %bb.219:                              ;   in Loop: Header=BB212_13 Depth=1
	v_mov_b32_e32 v79, v52
	v_mov_b32_e32 v116, v80
	v_cmp_ne_u16_sdwa s2, v1, v39 src0_sel:BYTE_1 src1_sel:DWORD
	v_mov_b32_e32 v115, v79
	s_and_saveexec_b32 s50, s2
	s_cbranch_execz .LBB212_225
; %bb.220:                              ;   in Loop: Header=BB212_13 Depth=1
	v_mov_b32_e32 v2, 0xffff
	v_mov_b32_e32 v21, v52
	;; [unrolled: 1-line block ×3, first 2 shown]
	s_mov_b32 s51, exec_lo
	v_and_b32_sdwa v2, v2, v1 dst_sel:DWORD dst_unused:UNUSED_PAD src0_sel:DWORD src1_sel:BYTE_1
	v_mov_b32_e32 v115, v21
	v_and_b32_e32 v3, 0x7f, v2
	v_cmpx_ne_u32_e32 0x7f, v3
	s_cbranch_execz .LBB212_224
; %bb.221:                              ;   in Loop: Header=BB212_13 Depth=1
	v_and_b32_e32 v51, 7, v2
	v_lshrrev_b32_e32 v2, 3, v3
	s_mov_b32 s52, exec_lo
	v_cmpx_gt_u32_e32 8, v3
; %bb.222:                              ;   in Loop: Header=BB212_13 Depth=1
	v_ffbh_u32_e32 v2, v51
	v_min_u32_e32 v2, 32, v2
	v_subrev_nc_u32_e32 v3, 28, v2
	v_sub_nc_u32_e32 v2, 29, v2
	v_lshlrev_b64 v[3:4], v3, v[51:52]
	v_and_b32_e32 v51, 7, v3
; %bb.223:                              ;   in Loop: Header=BB212_13 Depth=1
	s_or_b32 exec_lo, exec_lo, s52
	v_lshlrev_b32_e32 v1, 16, v1
	v_lshlrev_b32_e32 v3, 20, v51
	v_lshl_add_u32 v2, v2, 23, 0x3c000000
	v_mov_b32_e32 v115, v52
	v_and_b32_e32 v1, 0x80000000, v1
	v_or3_b32 v116, v3, v1, v2
.LBB212_224:                            ;   in Loop: Header=BB212_13 Depth=1
	s_or_b32 exec_lo, exec_lo, s51
.LBB212_225:                            ;   in Loop: Header=BB212_13 Depth=1
	s_or_b32 exec_lo, exec_lo, s50
.LBB212_226:                            ;   in Loop: Header=BB212_13 Depth=1
	s_or_b32 exec_lo, exec_lo, s49
	global_load_ushort v2, v[71:72], off offset:772
	v_mov_b32_e32 v119, 0
	v_mov_b32_e32 v117, 0
	;; [unrolled: 1-line block ×4, first 2 shown]
	s_waitcnt vmcnt(0)
	v_and_b32_e32 v1, 0xffff, v2
	v_cmp_ne_u16_sdwa s2, v2, v52 src0_sel:BYTE_0 src1_sel:DWORD
	s_and_saveexec_b32 s49, s2
	s_cbranch_execz .LBB212_234
; %bb.227:                              ;   in Loop: Header=BB212_13 Depth=1
	v_bfrev_b32_e32 v117, 1
	v_mov_b32_e32 v118, 0
	v_cmp_ne_u16_sdwa s2, v1, v39 src0_sel:BYTE_0 src1_sel:DWORD
	s_and_saveexec_b32 s50, s2
	s_cbranch_execz .LBB212_233
; %bb.228:                              ;   in Loop: Header=BB212_13 Depth=1
	v_mov_b32_e32 v117, 0x7f800001
	v_and_b32_e32 v3, 0x7f, v1
	v_mov_b32_e32 v118, 0
	s_mov_b32 s51, exec_lo
	v_cmpx_ne_u32_e32 0x7f, v3
	s_cbranch_execz .LBB212_232
; %bb.229:                              ;   in Loop: Header=BB212_13 Depth=1
	v_and_b32_e32 v51, 7, v1
	v_lshrrev_b32_e32 v2, 3, v3
	s_mov_b32 s52, exec_lo
	v_cmpx_gt_u32_e32 8, v3
; %bb.230:                              ;   in Loop: Header=BB212_13 Depth=1
	v_ffbh_u32_e32 v2, v51
	v_min_u32_e32 v2, 32, v2
	v_subrev_nc_u32_e32 v3, 28, v2
	v_sub_nc_u32_e32 v2, 29, v2
	v_lshlrev_b64 v[3:4], v3, v[51:52]
	v_and_b32_e32 v51, 7, v3
; %bb.231:                              ;   in Loop: Header=BB212_13 Depth=1
	s_or_b32 exec_lo, exec_lo, s52
	v_lshlrev_b32_e32 v3, 24, v1
	v_lshlrev_b32_e32 v4, 20, v51
	v_lshl_add_u32 v2, v2, 23, 0x3c000000
	v_and_b32_e32 v3, 0x80000000, v3
	v_or3_b32 v51, v4, v3, v2
	v_mov_b32_e32 v118, v52
	v_mov_b32_e32 v117, v51
.LBB212_232:                            ;   in Loop: Header=BB212_13 Depth=1
	s_or_b32 exec_lo, exec_lo, s51
.LBB212_233:                            ;   in Loop: Header=BB212_13 Depth=1
	s_or_b32 exec_lo, exec_lo, s50
.LBB212_234:                            ;   in Loop: Header=BB212_13 Depth=1
	s_or_b32 exec_lo, exec_lo, s49
	v_cmp_ne_u16_sdwa s2, v1, v52 src0_sel:BYTE_1 src1_sel:DWORD
	s_and_saveexec_b32 s49, s2
	s_cbranch_execz .LBB212_242
; %bb.235:                              ;   in Loop: Header=BB212_13 Depth=1
	v_mov_b32_e32 v79, v52
	v_mov_b32_e32 v120, v80
	v_cmp_ne_u16_sdwa s2, v1, v39 src0_sel:BYTE_1 src1_sel:DWORD
	v_mov_b32_e32 v119, v79
	s_and_saveexec_b32 s50, s2
	s_cbranch_execz .LBB212_241
; %bb.236:                              ;   in Loop: Header=BB212_13 Depth=1
	v_mov_b32_e32 v2, 0xffff
	v_mov_b32_e32 v21, v52
	;; [unrolled: 1-line block ×3, first 2 shown]
	s_mov_b32 s51, exec_lo
	v_and_b32_sdwa v2, v2, v1 dst_sel:DWORD dst_unused:UNUSED_PAD src0_sel:DWORD src1_sel:BYTE_1
	v_mov_b32_e32 v119, v21
	v_and_b32_e32 v3, 0x7f, v2
	v_cmpx_ne_u32_e32 0x7f, v3
	s_cbranch_execz .LBB212_240
; %bb.237:                              ;   in Loop: Header=BB212_13 Depth=1
	v_and_b32_e32 v51, 7, v2
	v_lshrrev_b32_e32 v2, 3, v3
	s_mov_b32 s52, exec_lo
	v_cmpx_gt_u32_e32 8, v3
; %bb.238:                              ;   in Loop: Header=BB212_13 Depth=1
	v_ffbh_u32_e32 v2, v51
	v_min_u32_e32 v2, 32, v2
	v_subrev_nc_u32_e32 v3, 28, v2
	v_sub_nc_u32_e32 v2, 29, v2
	v_lshlrev_b64 v[3:4], v3, v[51:52]
	v_and_b32_e32 v51, 7, v3
; %bb.239:                              ;   in Loop: Header=BB212_13 Depth=1
	s_or_b32 exec_lo, exec_lo, s52
	v_lshlrev_b32_e32 v1, 16, v1
	v_lshlrev_b32_e32 v3, 20, v51
	v_lshl_add_u32 v2, v2, 23, 0x3c000000
	v_mov_b32_e32 v119, v52
	v_and_b32_e32 v1, 0x80000000, v1
	v_or3_b32 v120, v3, v1, v2
.LBB212_240:                            ;   in Loop: Header=BB212_13 Depth=1
	s_or_b32 exec_lo, exec_lo, s51
.LBB212_241:                            ;   in Loop: Header=BB212_13 Depth=1
	s_or_b32 exec_lo, exec_lo, s50
.LBB212_242:                            ;   in Loop: Header=BB212_13 Depth=1
	s_or_b32 exec_lo, exec_lo, s49
	global_load_ushort v2, v[71:72], off offset:776
	v_mov_b32_e32 v123, 0
	v_mov_b32_e32 v121, 0
	;; [unrolled: 1-line block ×4, first 2 shown]
	s_waitcnt vmcnt(0)
	v_and_b32_e32 v1, 0xffff, v2
	v_cmp_ne_u16_sdwa s2, v2, v52 src0_sel:BYTE_0 src1_sel:DWORD
	s_and_saveexec_b32 s49, s2
	s_cbranch_execz .LBB212_250
; %bb.243:                              ;   in Loop: Header=BB212_13 Depth=1
	v_bfrev_b32_e32 v121, 1
	v_mov_b32_e32 v122, 0
	v_cmp_ne_u16_sdwa s2, v1, v39 src0_sel:BYTE_0 src1_sel:DWORD
	s_and_saveexec_b32 s50, s2
	s_cbranch_execz .LBB212_249
; %bb.244:                              ;   in Loop: Header=BB212_13 Depth=1
	v_mov_b32_e32 v121, 0x7f800001
	v_and_b32_e32 v3, 0x7f, v1
	v_mov_b32_e32 v122, 0
	s_mov_b32 s51, exec_lo
	v_cmpx_ne_u32_e32 0x7f, v3
	s_cbranch_execz .LBB212_248
; %bb.245:                              ;   in Loop: Header=BB212_13 Depth=1
	v_and_b32_e32 v51, 7, v1
	v_lshrrev_b32_e32 v2, 3, v3
	s_mov_b32 s52, exec_lo
	v_cmpx_gt_u32_e32 8, v3
; %bb.246:                              ;   in Loop: Header=BB212_13 Depth=1
	v_ffbh_u32_e32 v2, v51
	v_min_u32_e32 v2, 32, v2
	v_subrev_nc_u32_e32 v3, 28, v2
	v_sub_nc_u32_e32 v2, 29, v2
	v_lshlrev_b64 v[3:4], v3, v[51:52]
	v_and_b32_e32 v51, 7, v3
; %bb.247:                              ;   in Loop: Header=BB212_13 Depth=1
	s_or_b32 exec_lo, exec_lo, s52
	v_lshlrev_b32_e32 v3, 24, v1
	v_lshlrev_b32_e32 v4, 20, v51
	v_lshl_add_u32 v2, v2, 23, 0x3c000000
	v_and_b32_e32 v3, 0x80000000, v3
	v_or3_b32 v51, v4, v3, v2
	v_mov_b32_e32 v122, v52
	v_mov_b32_e32 v121, v51
.LBB212_248:                            ;   in Loop: Header=BB212_13 Depth=1
	s_or_b32 exec_lo, exec_lo, s51
.LBB212_249:                            ;   in Loop: Header=BB212_13 Depth=1
	s_or_b32 exec_lo, exec_lo, s50
.LBB212_250:                            ;   in Loop: Header=BB212_13 Depth=1
	s_or_b32 exec_lo, exec_lo, s49
	v_cmp_ne_u16_sdwa s2, v1, v52 src0_sel:BYTE_1 src1_sel:DWORD
	s_and_saveexec_b32 s49, s2
	s_cbranch_execz .LBB212_258
; %bb.251:                              ;   in Loop: Header=BB212_13 Depth=1
	v_mov_b32_e32 v79, v52
	v_mov_b32_e32 v124, v80
	v_cmp_ne_u16_sdwa s2, v1, v39 src0_sel:BYTE_1 src1_sel:DWORD
	v_mov_b32_e32 v123, v79
	s_and_saveexec_b32 s50, s2
	s_cbranch_execz .LBB212_257
; %bb.252:                              ;   in Loop: Header=BB212_13 Depth=1
	v_mov_b32_e32 v2, 0xffff
	v_mov_b32_e32 v21, v52
	;; [unrolled: 1-line block ×3, first 2 shown]
	s_mov_b32 s51, exec_lo
	v_and_b32_sdwa v2, v2, v1 dst_sel:DWORD dst_unused:UNUSED_PAD src0_sel:DWORD src1_sel:BYTE_1
	v_mov_b32_e32 v123, v21
	v_and_b32_e32 v3, 0x7f, v2
	v_cmpx_ne_u32_e32 0x7f, v3
	s_cbranch_execz .LBB212_256
; %bb.253:                              ;   in Loop: Header=BB212_13 Depth=1
	v_and_b32_e32 v51, 7, v2
	v_lshrrev_b32_e32 v2, 3, v3
	s_mov_b32 s52, exec_lo
	v_cmpx_gt_u32_e32 8, v3
; %bb.254:                              ;   in Loop: Header=BB212_13 Depth=1
	v_ffbh_u32_e32 v2, v51
	v_min_u32_e32 v2, 32, v2
	v_subrev_nc_u32_e32 v3, 28, v2
	v_sub_nc_u32_e32 v2, 29, v2
	v_lshlrev_b64 v[3:4], v3, v[51:52]
	v_and_b32_e32 v51, 7, v3
; %bb.255:                              ;   in Loop: Header=BB212_13 Depth=1
	s_or_b32 exec_lo, exec_lo, s52
	v_lshlrev_b32_e32 v1, 16, v1
	v_lshlrev_b32_e32 v3, 20, v51
	v_lshl_add_u32 v2, v2, 23, 0x3c000000
	v_mov_b32_e32 v123, v52
	v_and_b32_e32 v1, 0x80000000, v1
	v_or3_b32 v124, v3, v1, v2
.LBB212_256:                            ;   in Loop: Header=BB212_13 Depth=1
	s_or_b32 exec_lo, exec_lo, s51
.LBB212_257:                            ;   in Loop: Header=BB212_13 Depth=1
	s_or_b32 exec_lo, exec_lo, s50
.LBB212_258:                            ;   in Loop: Header=BB212_13 Depth=1
	s_or_b32 exec_lo, exec_lo, s49
	global_load_ushort v2, v[71:72], off offset:780
	v_mov_b32_e32 v59, 0
	v_mov_b32_e32 v125, 0
	;; [unrolled: 1-line block ×4, first 2 shown]
	s_waitcnt vmcnt(0)
	v_and_b32_e32 v1, 0xffff, v2
	v_cmp_ne_u16_sdwa s2, v2, v52 src0_sel:BYTE_0 src1_sel:DWORD
	s_and_saveexec_b32 s49, s2
	s_cbranch_execz .LBB212_266
; %bb.259:                              ;   in Loop: Header=BB212_13 Depth=1
	v_bfrev_b32_e32 v125, 1
	v_mov_b32_e32 v126, 0
	v_cmp_ne_u16_sdwa s2, v1, v39 src0_sel:BYTE_0 src1_sel:DWORD
	s_and_saveexec_b32 s50, s2
	s_cbranch_execz .LBB212_265
; %bb.260:                              ;   in Loop: Header=BB212_13 Depth=1
	v_mov_b32_e32 v125, 0x7f800001
	v_and_b32_e32 v3, 0x7f, v1
	v_mov_b32_e32 v126, 0
	s_mov_b32 s51, exec_lo
	v_cmpx_ne_u32_e32 0x7f, v3
	s_cbranch_execz .LBB212_264
; %bb.261:                              ;   in Loop: Header=BB212_13 Depth=1
	v_and_b32_e32 v51, 7, v1
	v_lshrrev_b32_e32 v2, 3, v3
	s_mov_b32 s52, exec_lo
	v_cmpx_gt_u32_e32 8, v3
; %bb.262:                              ;   in Loop: Header=BB212_13 Depth=1
	v_ffbh_u32_e32 v2, v51
	v_min_u32_e32 v2, 32, v2
	v_subrev_nc_u32_e32 v3, 28, v2
	v_sub_nc_u32_e32 v2, 29, v2
	v_lshlrev_b64 v[3:4], v3, v[51:52]
	v_and_b32_e32 v51, 7, v3
; %bb.263:                              ;   in Loop: Header=BB212_13 Depth=1
	s_or_b32 exec_lo, exec_lo, s52
	v_lshlrev_b32_e32 v3, 24, v1
	v_lshlrev_b32_e32 v4, 20, v51
	v_lshl_add_u32 v2, v2, 23, 0x3c000000
	v_and_b32_e32 v3, 0x80000000, v3
	v_or3_b32 v51, v4, v3, v2
	v_mov_b32_e32 v126, v52
	v_mov_b32_e32 v125, v51
.LBB212_264:                            ;   in Loop: Header=BB212_13 Depth=1
	s_or_b32 exec_lo, exec_lo, s51
.LBB212_265:                            ;   in Loop: Header=BB212_13 Depth=1
	s_or_b32 exec_lo, exec_lo, s50
.LBB212_266:                            ;   in Loop: Header=BB212_13 Depth=1
	s_or_b32 exec_lo, exec_lo, s49
	v_cmp_ne_u16_sdwa s2, v1, v52 src0_sel:BYTE_1 src1_sel:DWORD
	s_and_saveexec_b32 s49, s2
	s_cbranch_execz .LBB212_274
; %bb.267:                              ;   in Loop: Header=BB212_13 Depth=1
	v_mov_b32_e32 v79, v52
	v_cmp_ne_u16_sdwa s2, v1, v39 src0_sel:BYTE_1 src1_sel:DWORD
	v_mov_b32_e32 v59, v79
	v_mov_b32_e32 v60, v80
	s_and_saveexec_b32 s50, s2
	s_cbranch_execz .LBB212_273
; %bb.268:                              ;   in Loop: Header=BB212_13 Depth=1
	v_mov_b32_e32 v2, 0xffff
	v_mov_b32_e32 v21, v52
	;; [unrolled: 1-line block ×3, first 2 shown]
	s_mov_b32 s51, exec_lo
	v_and_b32_sdwa v2, v2, v1 dst_sel:DWORD dst_unused:UNUSED_PAD src0_sel:DWORD src1_sel:BYTE_1
	v_mov_b32_e32 v59, v21
	v_and_b32_e32 v3, 0x7f, v2
	v_cmpx_ne_u32_e32 0x7f, v3
	s_cbranch_execz .LBB212_272
; %bb.269:                              ;   in Loop: Header=BB212_13 Depth=1
	v_and_b32_e32 v51, 7, v2
	v_lshrrev_b32_e32 v2, 3, v3
	s_mov_b32 s52, exec_lo
	v_cmpx_gt_u32_e32 8, v3
; %bb.270:                              ;   in Loop: Header=BB212_13 Depth=1
	v_ffbh_u32_e32 v2, v51
	v_min_u32_e32 v2, 32, v2
	v_subrev_nc_u32_e32 v3, 28, v2
	v_sub_nc_u32_e32 v2, 29, v2
	v_lshlrev_b64 v[3:4], v3, v[51:52]
	v_and_b32_e32 v51, 7, v3
; %bb.271:                              ;   in Loop: Header=BB212_13 Depth=1
	s_or_b32 exec_lo, exec_lo, s52
	v_lshlrev_b32_e32 v1, 16, v1
	v_lshlrev_b32_e32 v3, 20, v51
	v_lshl_add_u32 v2, v2, 23, 0x3c000000
	v_mov_b32_e32 v59, v52
	v_and_b32_e32 v1, 0x80000000, v1
	v_or3_b32 v60, v3, v1, v2
.LBB212_272:                            ;   in Loop: Header=BB212_13 Depth=1
	s_or_b32 exec_lo, exec_lo, s51
.LBB212_273:                            ;   in Loop: Header=BB212_13 Depth=1
	s_or_b32 exec_lo, exec_lo, s50
.LBB212_274:                            ;   in Loop: Header=BB212_13 Depth=1
	s_or_b32 exec_lo, exec_lo, s49
	global_load_ushort v2, v[71:72], off offset:1024
	v_mov_b32_e32 v63, 0
	v_mov_b32_e32 v61, 0
	;; [unrolled: 1-line block ×4, first 2 shown]
	s_waitcnt vmcnt(0)
	v_and_b32_e32 v1, 0xffff, v2
	v_cmp_ne_u16_sdwa s2, v2, v52 src0_sel:BYTE_0 src1_sel:DWORD
	s_and_saveexec_b32 s49, s2
	s_cbranch_execz .LBB212_282
; %bb.275:                              ;   in Loop: Header=BB212_13 Depth=1
	v_bfrev_b32_e32 v61, 1
	v_mov_b32_e32 v62, 0
	v_cmp_ne_u16_sdwa s2, v1, v39 src0_sel:BYTE_0 src1_sel:DWORD
	s_and_saveexec_b32 s50, s2
	s_cbranch_execz .LBB212_281
; %bb.276:                              ;   in Loop: Header=BB212_13 Depth=1
	v_mov_b32_e32 v61, 0x7f800001
	v_and_b32_e32 v3, 0x7f, v1
	v_mov_b32_e32 v62, 0
	s_mov_b32 s51, exec_lo
	v_cmpx_ne_u32_e32 0x7f, v3
	s_cbranch_execz .LBB212_280
; %bb.277:                              ;   in Loop: Header=BB212_13 Depth=1
	v_and_b32_e32 v51, 7, v1
	v_lshrrev_b32_e32 v2, 3, v3
	s_mov_b32 s52, exec_lo
	v_cmpx_gt_u32_e32 8, v3
; %bb.278:                              ;   in Loop: Header=BB212_13 Depth=1
	v_ffbh_u32_e32 v2, v51
	v_min_u32_e32 v2, 32, v2
	v_subrev_nc_u32_e32 v3, 28, v2
	v_sub_nc_u32_e32 v2, 29, v2
	v_lshlrev_b64 v[3:4], v3, v[51:52]
	v_and_b32_e32 v51, 7, v3
; %bb.279:                              ;   in Loop: Header=BB212_13 Depth=1
	s_or_b32 exec_lo, exec_lo, s52
	v_lshlrev_b32_e32 v3, 24, v1
	v_lshlrev_b32_e32 v4, 20, v51
	v_lshl_add_u32 v2, v2, 23, 0x3c000000
	v_and_b32_e32 v3, 0x80000000, v3
	v_or3_b32 v51, v4, v3, v2
	v_mov_b32_e32 v62, v52
	v_mov_b32_e32 v61, v51
.LBB212_280:                            ;   in Loop: Header=BB212_13 Depth=1
	s_or_b32 exec_lo, exec_lo, s51
.LBB212_281:                            ;   in Loop: Header=BB212_13 Depth=1
	s_or_b32 exec_lo, exec_lo, s50
.LBB212_282:                            ;   in Loop: Header=BB212_13 Depth=1
	s_or_b32 exec_lo, exec_lo, s49
	v_cmp_ne_u16_sdwa s2, v1, v52 src0_sel:BYTE_1 src1_sel:DWORD
	s_and_saveexec_b32 s49, s2
	s_cbranch_execz .LBB212_290
; %bb.283:                              ;   in Loop: Header=BB212_13 Depth=1
	v_mov_b32_e32 v79, v52
	v_cmp_ne_u16_sdwa s2, v1, v39 src0_sel:BYTE_1 src1_sel:DWORD
	v_mov_b32_e32 v63, v79
	v_mov_b32_e32 v64, v80
	s_and_saveexec_b32 s50, s2
	s_cbranch_execz .LBB212_289
; %bb.284:                              ;   in Loop: Header=BB212_13 Depth=1
	v_mov_b32_e32 v2, 0xffff
	v_mov_b32_e32 v21, v52
	;; [unrolled: 1-line block ×3, first 2 shown]
	s_mov_b32 s51, exec_lo
	v_and_b32_sdwa v2, v2, v1 dst_sel:DWORD dst_unused:UNUSED_PAD src0_sel:DWORD src1_sel:BYTE_1
	v_mov_b32_e32 v63, v21
	v_and_b32_e32 v3, 0x7f, v2
	v_cmpx_ne_u32_e32 0x7f, v3
	s_cbranch_execz .LBB212_288
; %bb.285:                              ;   in Loop: Header=BB212_13 Depth=1
	v_and_b32_e32 v51, 7, v2
	v_lshrrev_b32_e32 v2, 3, v3
	s_mov_b32 s52, exec_lo
	v_cmpx_gt_u32_e32 8, v3
; %bb.286:                              ;   in Loop: Header=BB212_13 Depth=1
	v_ffbh_u32_e32 v2, v51
	v_min_u32_e32 v2, 32, v2
	v_subrev_nc_u32_e32 v3, 28, v2
	v_sub_nc_u32_e32 v2, 29, v2
	v_lshlrev_b64 v[3:4], v3, v[51:52]
	v_and_b32_e32 v51, 7, v3
; %bb.287:                              ;   in Loop: Header=BB212_13 Depth=1
	s_or_b32 exec_lo, exec_lo, s52
	v_lshlrev_b32_e32 v1, 16, v1
	v_lshlrev_b32_e32 v3, 20, v51
	v_lshl_add_u32 v2, v2, 23, 0x3c000000
	v_mov_b32_e32 v63, v52
	v_and_b32_e32 v1, 0x80000000, v1
	v_or3_b32 v64, v3, v1, v2
.LBB212_288:                            ;   in Loop: Header=BB212_13 Depth=1
	s_or_b32 exec_lo, exec_lo, s51
.LBB212_289:                            ;   in Loop: Header=BB212_13 Depth=1
	s_or_b32 exec_lo, exec_lo, s50
.LBB212_290:                            ;   in Loop: Header=BB212_13 Depth=1
	s_or_b32 exec_lo, exec_lo, s49
	global_load_ushort v2, v[71:72], off offset:1028
	v_mov_b32_e32 v65, 0
	v_mov_b32_e32 v67, 0
	;; [unrolled: 1-line block ×4, first 2 shown]
	s_waitcnt vmcnt(0)
	v_and_b32_e32 v1, 0xffff, v2
	v_cmp_ne_u16_sdwa s2, v2, v52 src0_sel:BYTE_0 src1_sel:DWORD
	s_and_saveexec_b32 s49, s2
	s_cbranch_execz .LBB212_298
; %bb.291:                              ;   in Loop: Header=BB212_13 Depth=1
	v_bfrev_b32_e32 v67, 1
	v_mov_b32_e32 v68, 0
	v_cmp_ne_u16_sdwa s2, v1, v39 src0_sel:BYTE_0 src1_sel:DWORD
	s_and_saveexec_b32 s50, s2
	s_cbranch_execz .LBB212_297
; %bb.292:                              ;   in Loop: Header=BB212_13 Depth=1
	v_mov_b32_e32 v67, 0x7f800001
	v_and_b32_e32 v3, 0x7f, v1
	v_mov_b32_e32 v68, 0
	s_mov_b32 s51, exec_lo
	v_cmpx_ne_u32_e32 0x7f, v3
	s_cbranch_execz .LBB212_296
; %bb.293:                              ;   in Loop: Header=BB212_13 Depth=1
	v_and_b32_e32 v51, 7, v1
	v_lshrrev_b32_e32 v2, 3, v3
	s_mov_b32 s52, exec_lo
	v_cmpx_gt_u32_e32 8, v3
; %bb.294:                              ;   in Loop: Header=BB212_13 Depth=1
	v_ffbh_u32_e32 v2, v51
	v_min_u32_e32 v2, 32, v2
	v_subrev_nc_u32_e32 v3, 28, v2
	v_sub_nc_u32_e32 v2, 29, v2
	v_lshlrev_b64 v[3:4], v3, v[51:52]
	v_and_b32_e32 v51, 7, v3
; %bb.295:                              ;   in Loop: Header=BB212_13 Depth=1
	s_or_b32 exec_lo, exec_lo, s52
	v_lshlrev_b32_e32 v3, 24, v1
	v_lshlrev_b32_e32 v4, 20, v51
	v_lshl_add_u32 v2, v2, 23, 0x3c000000
	v_and_b32_e32 v3, 0x80000000, v3
	v_or3_b32 v51, v4, v3, v2
	v_mov_b32_e32 v68, v52
	v_mov_b32_e32 v67, v51
.LBB212_296:                            ;   in Loop: Header=BB212_13 Depth=1
	s_or_b32 exec_lo, exec_lo, s51
.LBB212_297:                            ;   in Loop: Header=BB212_13 Depth=1
	s_or_b32 exec_lo, exec_lo, s50
.LBB212_298:                            ;   in Loop: Header=BB212_13 Depth=1
	s_or_b32 exec_lo, exec_lo, s49
	v_cmp_ne_u16_sdwa s2, v1, v52 src0_sel:BYTE_1 src1_sel:DWORD
	s_and_saveexec_b32 s49, s2
	s_cbranch_execz .LBB212_306
; %bb.299:                              ;   in Loop: Header=BB212_13 Depth=1
	v_mov_b32_e32 v79, v52
	v_cmp_ne_u16_sdwa s2, v1, v39 src0_sel:BYTE_1 src1_sel:DWORD
	v_mov_b32_e32 v65, v79
	v_mov_b32_e32 v66, v80
	s_and_saveexec_b32 s50, s2
	s_cbranch_execz .LBB212_305
; %bb.300:                              ;   in Loop: Header=BB212_13 Depth=1
	v_mov_b32_e32 v2, 0xffff
	v_mov_b32_e32 v21, v52
	;; [unrolled: 1-line block ×3, first 2 shown]
	s_mov_b32 s51, exec_lo
	v_and_b32_sdwa v2, v2, v1 dst_sel:DWORD dst_unused:UNUSED_PAD src0_sel:DWORD src1_sel:BYTE_1
	v_mov_b32_e32 v65, v21
	v_and_b32_e32 v3, 0x7f, v2
	v_cmpx_ne_u32_e32 0x7f, v3
	s_cbranch_execz .LBB212_304
; %bb.301:                              ;   in Loop: Header=BB212_13 Depth=1
	v_and_b32_e32 v51, 7, v2
	v_lshrrev_b32_e32 v2, 3, v3
	s_mov_b32 s52, exec_lo
	v_cmpx_gt_u32_e32 8, v3
; %bb.302:                              ;   in Loop: Header=BB212_13 Depth=1
	v_ffbh_u32_e32 v2, v51
	v_min_u32_e32 v2, 32, v2
	v_subrev_nc_u32_e32 v3, 28, v2
	v_sub_nc_u32_e32 v2, 29, v2
	v_lshlrev_b64 v[3:4], v3, v[51:52]
	v_and_b32_e32 v51, 7, v3
; %bb.303:                              ;   in Loop: Header=BB212_13 Depth=1
	s_or_b32 exec_lo, exec_lo, s52
	v_lshlrev_b32_e32 v1, 16, v1
	v_lshlrev_b32_e32 v3, 20, v51
	v_lshl_add_u32 v2, v2, 23, 0x3c000000
	v_mov_b32_e32 v65, v52
	v_and_b32_e32 v1, 0x80000000, v1
	v_or3_b32 v66, v3, v1, v2
.LBB212_304:                            ;   in Loop: Header=BB212_13 Depth=1
	s_or_b32 exec_lo, exec_lo, s51
.LBB212_305:                            ;   in Loop: Header=BB212_13 Depth=1
	s_or_b32 exec_lo, exec_lo, s50
.LBB212_306:                            ;   in Loop: Header=BB212_13 Depth=1
	s_or_b32 exec_lo, exec_lo, s49
	global_load_ushort v2, v[71:72], off offset:1032
	v_mov_b32_e32 v73, 0
	v_mov_b32_e32 v69, 0
	;; [unrolled: 1-line block ×4, first 2 shown]
	s_waitcnt vmcnt(0)
	v_and_b32_e32 v1, 0xffff, v2
	v_cmp_ne_u16_sdwa s2, v2, v52 src0_sel:BYTE_0 src1_sel:DWORD
	s_and_saveexec_b32 s49, s2
	s_cbranch_execz .LBB212_314
; %bb.307:                              ;   in Loop: Header=BB212_13 Depth=1
	v_bfrev_b32_e32 v69, 1
	v_mov_b32_e32 v70, 0
	v_cmp_ne_u16_sdwa s2, v1, v39 src0_sel:BYTE_0 src1_sel:DWORD
	s_and_saveexec_b32 s50, s2
	s_cbranch_execz .LBB212_313
; %bb.308:                              ;   in Loop: Header=BB212_13 Depth=1
	v_mov_b32_e32 v69, 0x7f800001
	v_and_b32_e32 v3, 0x7f, v1
	v_mov_b32_e32 v70, 0
	s_mov_b32 s51, exec_lo
	v_cmpx_ne_u32_e32 0x7f, v3
	s_cbranch_execz .LBB212_312
; %bb.309:                              ;   in Loop: Header=BB212_13 Depth=1
	v_and_b32_e32 v51, 7, v1
	v_lshrrev_b32_e32 v2, 3, v3
	s_mov_b32 s52, exec_lo
	v_cmpx_gt_u32_e32 8, v3
; %bb.310:                              ;   in Loop: Header=BB212_13 Depth=1
	v_ffbh_u32_e32 v2, v51
	v_min_u32_e32 v2, 32, v2
	v_subrev_nc_u32_e32 v3, 28, v2
	v_sub_nc_u32_e32 v2, 29, v2
	v_lshlrev_b64 v[3:4], v3, v[51:52]
	v_and_b32_e32 v51, 7, v3
; %bb.311:                              ;   in Loop: Header=BB212_13 Depth=1
	s_or_b32 exec_lo, exec_lo, s52
	v_lshlrev_b32_e32 v3, 24, v1
	v_lshlrev_b32_e32 v4, 20, v51
	v_lshl_add_u32 v2, v2, 23, 0x3c000000
	v_and_b32_e32 v3, 0x80000000, v3
	v_or3_b32 v51, v4, v3, v2
	v_mov_b32_e32 v70, v52
	v_mov_b32_e32 v69, v51
.LBB212_312:                            ;   in Loop: Header=BB212_13 Depth=1
	s_or_b32 exec_lo, exec_lo, s51
.LBB212_313:                            ;   in Loop: Header=BB212_13 Depth=1
	s_or_b32 exec_lo, exec_lo, s50
.LBB212_314:                            ;   in Loop: Header=BB212_13 Depth=1
	s_or_b32 exec_lo, exec_lo, s49
	v_cmp_ne_u16_sdwa s2, v1, v52 src0_sel:BYTE_1 src1_sel:DWORD
	s_and_saveexec_b32 s49, s2
	s_cbranch_execz .LBB212_322
; %bb.315:                              ;   in Loop: Header=BB212_13 Depth=1
	v_mov_b32_e32 v79, v52
	v_cmp_ne_u16_sdwa s2, v1, v39 src0_sel:BYTE_1 src1_sel:DWORD
	v_mov_b32_e32 v73, v79
	v_mov_b32_e32 v74, v80
	s_and_saveexec_b32 s50, s2
	s_cbranch_execz .LBB212_321
; %bb.316:                              ;   in Loop: Header=BB212_13 Depth=1
	v_mov_b32_e32 v2, 0xffff
	v_mov_b32_e32 v21, v52
	v_mov_b32_e32 v74, v22
	s_mov_b32 s51, exec_lo
	v_and_b32_sdwa v2, v2, v1 dst_sel:DWORD dst_unused:UNUSED_PAD src0_sel:DWORD src1_sel:BYTE_1
	v_mov_b32_e32 v73, v21
	v_and_b32_e32 v3, 0x7f, v2
	v_cmpx_ne_u32_e32 0x7f, v3
	s_cbranch_execz .LBB212_320
; %bb.317:                              ;   in Loop: Header=BB212_13 Depth=1
	v_and_b32_e32 v51, 7, v2
	v_lshrrev_b32_e32 v2, 3, v3
	s_mov_b32 s52, exec_lo
	v_cmpx_gt_u32_e32 8, v3
; %bb.318:                              ;   in Loop: Header=BB212_13 Depth=1
	v_ffbh_u32_e32 v2, v51
	v_min_u32_e32 v2, 32, v2
	v_subrev_nc_u32_e32 v3, 28, v2
	v_sub_nc_u32_e32 v2, 29, v2
	v_lshlrev_b64 v[3:4], v3, v[51:52]
	v_and_b32_e32 v51, 7, v3
; %bb.319:                              ;   in Loop: Header=BB212_13 Depth=1
	s_or_b32 exec_lo, exec_lo, s52
	v_lshlrev_b32_e32 v1, 16, v1
	v_lshlrev_b32_e32 v3, 20, v51
	v_lshl_add_u32 v2, v2, 23, 0x3c000000
	v_mov_b32_e32 v73, v52
	v_and_b32_e32 v1, 0x80000000, v1
	v_or3_b32 v74, v3, v1, v2
.LBB212_320:                            ;   in Loop: Header=BB212_13 Depth=1
	s_or_b32 exec_lo, exec_lo, s51
.LBB212_321:                            ;   in Loop: Header=BB212_13 Depth=1
	s_or_b32 exec_lo, exec_lo, s50
.LBB212_322:                            ;   in Loop: Header=BB212_13 Depth=1
	s_or_b32 exec_lo, exec_lo, s49
	global_load_ushort v1, v[71:72], off offset:1036
	v_mov_b32_e32 v3, 0
	v_mov_b32_e32 v4, 0
	s_waitcnt vmcnt(0)
	v_and_b32_e32 v5, 0xffff, v1
	v_cmp_ne_u16_sdwa s2, v1, v52 src0_sel:BYTE_0 src1_sel:DWORD
	v_mov_b32_e32 v1, 0
	v_mov_b32_e32 v2, 0
	s_and_saveexec_b32 s49, s2
	s_cbranch_execz .LBB212_330
; %bb.323:                              ;   in Loop: Header=BB212_13 Depth=1
	v_bfrev_b32_e32 v1, 1
	v_mov_b32_e32 v2, 0
	v_cmp_ne_u16_sdwa s2, v5, v39 src0_sel:BYTE_0 src1_sel:DWORD
	s_and_saveexec_b32 s50, s2
	s_cbranch_execz .LBB212_329
; %bb.324:                              ;   in Loop: Header=BB212_13 Depth=1
	v_mov_b32_e32 v1, 0x7f800001
	v_and_b32_e32 v6, 0x7f, v5
	v_mov_b32_e32 v2, 0
	s_mov_b32 s51, exec_lo
	v_cmpx_ne_u32_e32 0x7f, v6
	s_cbranch_execz .LBB212_328
; %bb.325:                              ;   in Loop: Header=BB212_13 Depth=1
	v_and_b32_e32 v51, 7, v5
	v_lshrrev_b32_e32 v1, 3, v6
	s_mov_b32 s52, exec_lo
	v_cmpx_gt_u32_e32 8, v6
; %bb.326:                              ;   in Loop: Header=BB212_13 Depth=1
	v_ffbh_u32_e32 v1, v51
	v_min_u32_e32 v1, 32, v1
	v_subrev_nc_u32_e32 v2, 28, v1
	v_sub_nc_u32_e32 v1, 29, v1
	v_lshlrev_b64 v[6:7], v2, v[51:52]
	v_and_b32_e32 v51, 7, v6
; %bb.327:                              ;   in Loop: Header=BB212_13 Depth=1
	s_or_b32 exec_lo, exec_lo, s52
	v_lshlrev_b32_e32 v2, 24, v5
	v_lshlrev_b32_e32 v6, 20, v51
	v_lshl_add_u32 v1, v1, 23, 0x3c000000
	v_and_b32_e32 v2, 0x80000000, v2
	v_or3_b32 v51, v6, v2, v1
	v_mov_b32_e32 v1, v51
	v_mov_b32_e32 v2, v52
.LBB212_328:                            ;   in Loop: Header=BB212_13 Depth=1
	s_or_b32 exec_lo, exec_lo, s51
.LBB212_329:                            ;   in Loop: Header=BB212_13 Depth=1
	s_or_b32 exec_lo, exec_lo, s50
.LBB212_330:                            ;   in Loop: Header=BB212_13 Depth=1
	s_or_b32 exec_lo, exec_lo, s49
	v_cmp_ne_u16_sdwa s2, v5, v52 src0_sel:BYTE_1 src1_sel:DWORD
	s_and_saveexec_b32 s49, s2
	s_cbranch_execz .LBB212_338
; %bb.331:                              ;   in Loop: Header=BB212_13 Depth=1
	v_mov_b32_e32 v79, v52
	v_cmp_ne_u16_sdwa s2, v5, v39 src0_sel:BYTE_1 src1_sel:DWORD
	v_mov_b32_e32 v3, v79
	v_mov_b32_e32 v4, v80
	s_and_saveexec_b32 s50, s2
	s_cbranch_execz .LBB212_337
; %bb.332:                              ;   in Loop: Header=BB212_13 Depth=1
	v_mov_b32_e32 v3, 0xffff
	v_mov_b32_e32 v21, v52
	s_mov_b32 s51, exec_lo
	v_and_b32_sdwa v7, v3, v5 dst_sel:DWORD dst_unused:UNUSED_PAD src0_sel:DWORD src1_sel:BYTE_1
	v_mov_b32_e32 v3, v21
	v_mov_b32_e32 v4, v22
	v_and_b32_e32 v6, 0x7f, v7
	v_cmpx_ne_u32_e32 0x7f, v6
	s_cbranch_execz .LBB212_336
; %bb.333:                              ;   in Loop: Header=BB212_13 Depth=1
	v_and_b32_e32 v51, 7, v7
	v_lshrrev_b32_e32 v3, 3, v6
	s_mov_b32 s52, exec_lo
	v_cmpx_gt_u32_e32 8, v6
; %bb.334:                              ;   in Loop: Header=BB212_13 Depth=1
	v_ffbh_u32_e32 v3, v51
	v_min_u32_e32 v3, 32, v3
	v_subrev_nc_u32_e32 v4, 28, v3
	v_sub_nc_u32_e32 v3, 29, v3
	v_lshlrev_b64 v[6:7], v4, v[51:52]
	v_and_b32_e32 v51, 7, v6
; %bb.335:                              ;   in Loop: Header=BB212_13 Depth=1
	s_or_b32 exec_lo, exec_lo, s52
	v_lshlrev_b32_e32 v4, 16, v5
	v_lshlrev_b32_e32 v5, 20, v51
	v_lshl_add_u32 v3, v3, 23, 0x3c000000
	v_and_b32_e32 v4, 0x80000000, v4
	v_or3_b32 v4, v5, v4, v3
	v_mov_b32_e32 v3, v52
.LBB212_336:                            ;   in Loop: Header=BB212_13 Depth=1
	s_or_b32 exec_lo, exec_lo, s51
.LBB212_337:                            ;   in Loop: Header=BB212_13 Depth=1
	s_or_b32 exec_lo, exec_lo, s50
.LBB212_338:                            ;   in Loop: Header=BB212_13 Depth=1
	s_or_b32 exec_lo, exec_lo, s49
	global_load_ushort v5, v[71:72], off offset:1280
	v_mov_b32_e32 v7, 0
	v_mov_b32_e32 v8, 0
	s_waitcnt vmcnt(0)
	v_and_b32_e32 v9, 0xffff, v5
	v_cmp_ne_u16_sdwa s2, v5, v52 src0_sel:BYTE_0 src1_sel:DWORD
	v_mov_b32_e32 v5, 0
	v_mov_b32_e32 v6, 0
	s_and_saveexec_b32 s49, s2
	s_cbranch_execz .LBB212_346
; %bb.339:                              ;   in Loop: Header=BB212_13 Depth=1
	v_bfrev_b32_e32 v5, 1
	v_mov_b32_e32 v6, 0
	v_cmp_ne_u16_sdwa s2, v9, v39 src0_sel:BYTE_0 src1_sel:DWORD
	s_and_saveexec_b32 s50, s2
	s_cbranch_execz .LBB212_345
; %bb.340:                              ;   in Loop: Header=BB212_13 Depth=1
	v_mov_b32_e32 v5, 0x7f800001
	v_and_b32_e32 v10, 0x7f, v9
	v_mov_b32_e32 v6, 0
	s_mov_b32 s51, exec_lo
	v_cmpx_ne_u32_e32 0x7f, v10
	s_cbranch_execz .LBB212_344
; %bb.341:                              ;   in Loop: Header=BB212_13 Depth=1
	v_and_b32_e32 v51, 7, v9
	v_lshrrev_b32_e32 v5, 3, v10
	s_mov_b32 s52, exec_lo
	v_cmpx_gt_u32_e32 8, v10
; %bb.342:                              ;   in Loop: Header=BB212_13 Depth=1
	v_ffbh_u32_e32 v5, v51
	v_min_u32_e32 v5, 32, v5
	v_subrev_nc_u32_e32 v6, 28, v5
	v_sub_nc_u32_e32 v5, 29, v5
	v_lshlrev_b64 v[10:11], v6, v[51:52]
	v_and_b32_e32 v51, 7, v10
; %bb.343:                              ;   in Loop: Header=BB212_13 Depth=1
	s_or_b32 exec_lo, exec_lo, s52
	v_lshlrev_b32_e32 v6, 24, v9
	v_lshlrev_b32_e32 v10, 20, v51
	v_lshl_add_u32 v5, v5, 23, 0x3c000000
	v_and_b32_e32 v6, 0x80000000, v6
	v_or3_b32 v51, v10, v6, v5
	v_mov_b32_e32 v5, v51
	v_mov_b32_e32 v6, v52
.LBB212_344:                            ;   in Loop: Header=BB212_13 Depth=1
	s_or_b32 exec_lo, exec_lo, s51
.LBB212_345:                            ;   in Loop: Header=BB212_13 Depth=1
	s_or_b32 exec_lo, exec_lo, s50
.LBB212_346:                            ;   in Loop: Header=BB212_13 Depth=1
	s_or_b32 exec_lo, exec_lo, s49
	v_cmp_ne_u16_sdwa s2, v9, v52 src0_sel:BYTE_1 src1_sel:DWORD
	s_and_saveexec_b32 s49, s2
	s_cbranch_execz .LBB212_354
; %bb.347:                              ;   in Loop: Header=BB212_13 Depth=1
	v_mov_b32_e32 v79, v52
	v_cmp_ne_u16_sdwa s2, v9, v39 src0_sel:BYTE_1 src1_sel:DWORD
	v_mov_b32_e32 v7, v79
	v_mov_b32_e32 v8, v80
	s_and_saveexec_b32 s50, s2
	s_cbranch_execz .LBB212_353
; %bb.348:                              ;   in Loop: Header=BB212_13 Depth=1
	v_mov_b32_e32 v7, 0xffff
	v_mov_b32_e32 v21, v52
	s_mov_b32 s51, exec_lo
	v_and_b32_sdwa v11, v7, v9 dst_sel:DWORD dst_unused:UNUSED_PAD src0_sel:DWORD src1_sel:BYTE_1
	v_mov_b32_e32 v7, v21
	v_mov_b32_e32 v8, v22
	v_and_b32_e32 v10, 0x7f, v11
	v_cmpx_ne_u32_e32 0x7f, v10
	s_cbranch_execz .LBB212_352
; %bb.349:                              ;   in Loop: Header=BB212_13 Depth=1
	v_and_b32_e32 v51, 7, v11
	v_lshrrev_b32_e32 v7, 3, v10
	s_mov_b32 s52, exec_lo
	v_cmpx_gt_u32_e32 8, v10
; %bb.350:                              ;   in Loop: Header=BB212_13 Depth=1
	v_ffbh_u32_e32 v7, v51
	v_min_u32_e32 v7, 32, v7
	v_subrev_nc_u32_e32 v8, 28, v7
	v_sub_nc_u32_e32 v7, 29, v7
	v_lshlrev_b64 v[10:11], v8, v[51:52]
	v_and_b32_e32 v51, 7, v10
; %bb.351:                              ;   in Loop: Header=BB212_13 Depth=1
	s_or_b32 exec_lo, exec_lo, s52
	v_lshlrev_b32_e32 v8, 16, v9
	v_lshlrev_b32_e32 v9, 20, v51
	v_lshl_add_u32 v7, v7, 23, 0x3c000000
	v_and_b32_e32 v8, 0x80000000, v8
	v_or3_b32 v8, v9, v8, v7
	v_mov_b32_e32 v7, v52
.LBB212_352:                            ;   in Loop: Header=BB212_13 Depth=1
	s_or_b32 exec_lo, exec_lo, s51
.LBB212_353:                            ;   in Loop: Header=BB212_13 Depth=1
	s_or_b32 exec_lo, exec_lo, s50
.LBB212_354:                            ;   in Loop: Header=BB212_13 Depth=1
	s_or_b32 exec_lo, exec_lo, s49
	global_load_ushort v9, v[71:72], off offset:1284
	v_mov_b32_e32 v11, 0
	v_mov_b32_e32 v12, 0
	s_waitcnt vmcnt(0)
	v_and_b32_e32 v13, 0xffff, v9
	v_cmp_ne_u16_sdwa s2, v9, v52 src0_sel:BYTE_0 src1_sel:DWORD
	v_mov_b32_e32 v9, 0
	v_mov_b32_e32 v10, 0
	s_and_saveexec_b32 s49, s2
	s_cbranch_execz .LBB212_362
; %bb.355:                              ;   in Loop: Header=BB212_13 Depth=1
	v_bfrev_b32_e32 v9, 1
	v_mov_b32_e32 v10, 0
	v_cmp_ne_u16_sdwa s2, v13, v39 src0_sel:BYTE_0 src1_sel:DWORD
	s_and_saveexec_b32 s50, s2
	s_cbranch_execz .LBB212_361
; %bb.356:                              ;   in Loop: Header=BB212_13 Depth=1
	v_mov_b32_e32 v9, 0x7f800001
	v_and_b32_e32 v14, 0x7f, v13
	v_mov_b32_e32 v10, 0
	s_mov_b32 s51, exec_lo
	v_cmpx_ne_u32_e32 0x7f, v14
	s_cbranch_execz .LBB212_360
; %bb.357:                              ;   in Loop: Header=BB212_13 Depth=1
	v_and_b32_e32 v51, 7, v13
	v_lshrrev_b32_e32 v9, 3, v14
	s_mov_b32 s52, exec_lo
	v_cmpx_gt_u32_e32 8, v14
; %bb.358:                              ;   in Loop: Header=BB212_13 Depth=1
	v_ffbh_u32_e32 v9, v51
	v_min_u32_e32 v9, 32, v9
	v_subrev_nc_u32_e32 v10, 28, v9
	v_sub_nc_u32_e32 v9, 29, v9
	v_lshlrev_b64 v[14:15], v10, v[51:52]
	v_and_b32_e32 v51, 7, v14
; %bb.359:                              ;   in Loop: Header=BB212_13 Depth=1
	s_or_b32 exec_lo, exec_lo, s52
	v_lshlrev_b32_e32 v10, 24, v13
	v_lshlrev_b32_e32 v14, 20, v51
	v_lshl_add_u32 v9, v9, 23, 0x3c000000
	v_and_b32_e32 v10, 0x80000000, v10
	v_or3_b32 v51, v14, v10, v9
	v_mov_b32_e32 v9, v51
	v_mov_b32_e32 v10, v52
.LBB212_360:                            ;   in Loop: Header=BB212_13 Depth=1
	s_or_b32 exec_lo, exec_lo, s51
.LBB212_361:                            ;   in Loop: Header=BB212_13 Depth=1
	s_or_b32 exec_lo, exec_lo, s50
.LBB212_362:                            ;   in Loop: Header=BB212_13 Depth=1
	s_or_b32 exec_lo, exec_lo, s49
	v_cmp_ne_u16_sdwa s2, v13, v52 src0_sel:BYTE_1 src1_sel:DWORD
	s_and_saveexec_b32 s49, s2
	s_cbranch_execz .LBB212_370
; %bb.363:                              ;   in Loop: Header=BB212_13 Depth=1
	v_mov_b32_e32 v79, v52
	v_cmp_ne_u16_sdwa s2, v13, v39 src0_sel:BYTE_1 src1_sel:DWORD
	v_mov_b32_e32 v11, v79
	v_mov_b32_e32 v12, v80
	s_and_saveexec_b32 s50, s2
	s_cbranch_execz .LBB212_369
; %bb.364:                              ;   in Loop: Header=BB212_13 Depth=1
	v_mov_b32_e32 v11, 0xffff
	v_mov_b32_e32 v21, v52
	s_mov_b32 s51, exec_lo
	v_and_b32_sdwa v15, v11, v13 dst_sel:DWORD dst_unused:UNUSED_PAD src0_sel:DWORD src1_sel:BYTE_1
	v_mov_b32_e32 v11, v21
	v_mov_b32_e32 v12, v22
	v_and_b32_e32 v14, 0x7f, v15
	v_cmpx_ne_u32_e32 0x7f, v14
	s_cbranch_execz .LBB212_368
; %bb.365:                              ;   in Loop: Header=BB212_13 Depth=1
	v_and_b32_e32 v51, 7, v15
	v_lshrrev_b32_e32 v11, 3, v14
	s_mov_b32 s52, exec_lo
	v_cmpx_gt_u32_e32 8, v14
; %bb.366:                              ;   in Loop: Header=BB212_13 Depth=1
	v_ffbh_u32_e32 v11, v51
	v_min_u32_e32 v11, 32, v11
	v_subrev_nc_u32_e32 v12, 28, v11
	v_sub_nc_u32_e32 v11, 29, v11
	v_lshlrev_b64 v[14:15], v12, v[51:52]
	v_and_b32_e32 v51, 7, v14
; %bb.367:                              ;   in Loop: Header=BB212_13 Depth=1
	s_or_b32 exec_lo, exec_lo, s52
	v_lshlrev_b32_e32 v12, 16, v13
	v_lshlrev_b32_e32 v13, 20, v51
	v_lshl_add_u32 v11, v11, 23, 0x3c000000
	v_and_b32_e32 v12, 0x80000000, v12
	v_or3_b32 v12, v13, v12, v11
	v_mov_b32_e32 v11, v52
.LBB212_368:                            ;   in Loop: Header=BB212_13 Depth=1
	s_or_b32 exec_lo, exec_lo, s51
.LBB212_369:                            ;   in Loop: Header=BB212_13 Depth=1
	s_or_b32 exec_lo, exec_lo, s50
.LBB212_370:                            ;   in Loop: Header=BB212_13 Depth=1
	s_or_b32 exec_lo, exec_lo, s49
	global_load_ushort v13, v[71:72], off offset:1288
	v_mov_b32_e32 v15, 0
	v_mov_b32_e32 v16, 0
	s_waitcnt vmcnt(0)
	v_and_b32_e32 v17, 0xffff, v13
	v_cmp_ne_u16_sdwa s2, v13, v52 src0_sel:BYTE_0 src1_sel:DWORD
	v_mov_b32_e32 v13, 0
	v_mov_b32_e32 v14, 0
	s_and_saveexec_b32 s49, s2
	s_cbranch_execz .LBB212_378
; %bb.371:                              ;   in Loop: Header=BB212_13 Depth=1
	v_bfrev_b32_e32 v13, 1
	v_mov_b32_e32 v14, 0
	v_cmp_ne_u16_sdwa s2, v17, v39 src0_sel:BYTE_0 src1_sel:DWORD
	s_and_saveexec_b32 s50, s2
	s_cbranch_execz .LBB212_377
; %bb.372:                              ;   in Loop: Header=BB212_13 Depth=1
	v_mov_b32_e32 v13, 0x7f800001
	v_and_b32_e32 v18, 0x7f, v17
	v_mov_b32_e32 v14, 0
	s_mov_b32 s51, exec_lo
	v_cmpx_ne_u32_e32 0x7f, v18
	s_cbranch_execz .LBB212_376
; %bb.373:                              ;   in Loop: Header=BB212_13 Depth=1
	v_and_b32_e32 v51, 7, v17
	v_lshrrev_b32_e32 v13, 3, v18
	s_mov_b32 s52, exec_lo
	v_cmpx_gt_u32_e32 8, v18
; %bb.374:                              ;   in Loop: Header=BB212_13 Depth=1
	v_ffbh_u32_e32 v13, v51
	v_min_u32_e32 v13, 32, v13
	v_subrev_nc_u32_e32 v14, 28, v13
	v_sub_nc_u32_e32 v13, 29, v13
	v_lshlrev_b64 v[18:19], v14, v[51:52]
	v_and_b32_e32 v51, 7, v18
; %bb.375:                              ;   in Loop: Header=BB212_13 Depth=1
	s_or_b32 exec_lo, exec_lo, s52
	v_lshlrev_b32_e32 v14, 24, v17
	v_lshlrev_b32_e32 v18, 20, v51
	v_lshl_add_u32 v13, v13, 23, 0x3c000000
	v_and_b32_e32 v14, 0x80000000, v14
	v_or3_b32 v51, v18, v14, v13
	v_mov_b32_e32 v13, v51
	v_mov_b32_e32 v14, v52
.LBB212_376:                            ;   in Loop: Header=BB212_13 Depth=1
	s_or_b32 exec_lo, exec_lo, s51
.LBB212_377:                            ;   in Loop: Header=BB212_13 Depth=1
	s_or_b32 exec_lo, exec_lo, s50
.LBB212_378:                            ;   in Loop: Header=BB212_13 Depth=1
	s_or_b32 exec_lo, exec_lo, s49
	v_cmp_ne_u16_sdwa s2, v17, v52 src0_sel:BYTE_1 src1_sel:DWORD
	s_and_saveexec_b32 s49, s2
	s_cbranch_execz .LBB212_386
; %bb.379:                              ;   in Loop: Header=BB212_13 Depth=1
	v_mov_b32_e32 v79, v52
	v_cmp_ne_u16_sdwa s2, v17, v39 src0_sel:BYTE_1 src1_sel:DWORD
	v_mov_b32_e32 v15, v79
	v_mov_b32_e32 v16, v80
	s_and_saveexec_b32 s50, s2
	s_cbranch_execz .LBB212_385
; %bb.380:                              ;   in Loop: Header=BB212_13 Depth=1
	v_mov_b32_e32 v15, 0xffff
	v_mov_b32_e32 v21, v52
	s_mov_b32 s51, exec_lo
	v_and_b32_sdwa v19, v15, v17 dst_sel:DWORD dst_unused:UNUSED_PAD src0_sel:DWORD src1_sel:BYTE_1
	v_mov_b32_e32 v15, v21
	v_mov_b32_e32 v16, v22
	v_and_b32_e32 v18, 0x7f, v19
	v_cmpx_ne_u32_e32 0x7f, v18
	s_cbranch_execz .LBB212_384
; %bb.381:                              ;   in Loop: Header=BB212_13 Depth=1
	v_and_b32_e32 v51, 7, v19
	v_lshrrev_b32_e32 v15, 3, v18
	s_mov_b32 s52, exec_lo
	v_cmpx_gt_u32_e32 8, v18
; %bb.382:                              ;   in Loop: Header=BB212_13 Depth=1
	v_ffbh_u32_e32 v15, v51
	v_min_u32_e32 v15, 32, v15
	v_subrev_nc_u32_e32 v16, 28, v15
	v_sub_nc_u32_e32 v15, 29, v15
	v_lshlrev_b64 v[18:19], v16, v[51:52]
	v_and_b32_e32 v51, 7, v18
; %bb.383:                              ;   in Loop: Header=BB212_13 Depth=1
	s_or_b32 exec_lo, exec_lo, s52
	v_lshlrev_b32_e32 v16, 16, v17
	v_lshlrev_b32_e32 v17, 20, v51
	v_lshl_add_u32 v15, v15, 23, 0x3c000000
	v_and_b32_e32 v16, 0x80000000, v16
	v_or3_b32 v16, v17, v16, v15
	v_mov_b32_e32 v15, v52
.LBB212_384:                            ;   in Loop: Header=BB212_13 Depth=1
	s_or_b32 exec_lo, exec_lo, s51
.LBB212_385:                            ;   in Loop: Header=BB212_13 Depth=1
	s_or_b32 exec_lo, exec_lo, s50
.LBB212_386:                            ;   in Loop: Header=BB212_13 Depth=1
	s_or_b32 exec_lo, exec_lo, s49
	global_load_ushort v17, v[71:72], off offset:1292
	v_mov_b32_e32 v19, 0
	v_mov_b32_e32 v20, 0
	s_waitcnt vmcnt(0)
	v_and_b32_e32 v23, 0xffff, v17
	v_cmp_ne_u16_sdwa s2, v17, v52 src0_sel:BYTE_0 src1_sel:DWORD
	v_mov_b32_e32 v17, 0
	v_mov_b32_e32 v18, 0
	s_and_saveexec_b32 s49, s2
	s_cbranch_execz .LBB212_394
; %bb.387:                              ;   in Loop: Header=BB212_13 Depth=1
	v_bfrev_b32_e32 v17, 1
	v_mov_b32_e32 v18, 0
	v_cmp_ne_u16_sdwa s2, v23, v39 src0_sel:BYTE_0 src1_sel:DWORD
	s_and_saveexec_b32 s50, s2
	s_cbranch_execz .LBB212_393
; %bb.388:                              ;   in Loop: Header=BB212_13 Depth=1
	v_mov_b32_e32 v17, 0x7f800001
	v_and_b32_e32 v21, 0x7f, v23
	v_mov_b32_e32 v18, 0
	s_mov_b32 s51, exec_lo
	v_cmpx_ne_u32_e32 0x7f, v21
	s_cbranch_execz .LBB212_392
; %bb.389:                              ;   in Loop: Header=BB212_13 Depth=1
	v_and_b32_e32 v51, 7, v23
	v_lshrrev_b32_e32 v17, 3, v21
	s_mov_b32 s52, exec_lo
	v_cmpx_gt_u32_e32 8, v21
; %bb.390:                              ;   in Loop: Header=BB212_13 Depth=1
	v_ffbh_u32_e32 v17, v51
	v_min_u32_e32 v17, 32, v17
	v_subrev_nc_u32_e32 v18, 28, v17
	v_sub_nc_u32_e32 v17, 29, v17
	v_lshlrev_b64 v[24:25], v18, v[51:52]
	v_and_b32_e32 v51, 7, v24
; %bb.391:                              ;   in Loop: Header=BB212_13 Depth=1
	s_or_b32 exec_lo, exec_lo, s52
	v_lshlrev_b32_e32 v18, 24, v23
	v_lshlrev_b32_e32 v21, 20, v51
	v_lshl_add_u32 v17, v17, 23, 0x3c000000
	v_and_b32_e32 v18, 0x80000000, v18
	v_or3_b32 v51, v21, v18, v17
	v_mov_b32_e32 v17, v51
	v_mov_b32_e32 v18, v52
.LBB212_392:                            ;   in Loop: Header=BB212_13 Depth=1
	s_or_b32 exec_lo, exec_lo, s51
.LBB212_393:                            ;   in Loop: Header=BB212_13 Depth=1
	s_or_b32 exec_lo, exec_lo, s50
.LBB212_394:                            ;   in Loop: Header=BB212_13 Depth=1
	s_or_b32 exec_lo, exec_lo, s49
	v_cmp_ne_u16_sdwa s2, v23, v52 src0_sel:BYTE_1 src1_sel:DWORD
	s_and_saveexec_b32 s49, s2
	s_cbranch_execz .LBB212_402
; %bb.395:                              ;   in Loop: Header=BB212_13 Depth=1
	v_mov_b32_e32 v79, v52
	v_cmp_ne_u16_sdwa s2, v23, v39 src0_sel:BYTE_1 src1_sel:DWORD
	v_mov_b32_e32 v19, v79
	v_mov_b32_e32 v20, v80
	s_and_saveexec_b32 s50, s2
	s_cbranch_execz .LBB212_401
; %bb.396:                              ;   in Loop: Header=BB212_13 Depth=1
	v_mov_b32_e32 v19, 0xffff
	v_mov_b32_e32 v21, v52
	s_mov_b32 s51, exec_lo
	v_and_b32_sdwa v25, v19, v23 dst_sel:DWORD dst_unused:UNUSED_PAD src0_sel:DWORD src1_sel:BYTE_1
	v_mov_b32_e32 v19, v21
	v_mov_b32_e32 v20, v22
	v_and_b32_e32 v24, 0x7f, v25
	v_cmpx_ne_u32_e32 0x7f, v24
	s_cbranch_execz .LBB212_400
; %bb.397:                              ;   in Loop: Header=BB212_13 Depth=1
	v_and_b32_e32 v51, 7, v25
	v_lshrrev_b32_e32 v19, 3, v24
	s_mov_b32 s52, exec_lo
	v_cmpx_gt_u32_e32 8, v24
; %bb.398:                              ;   in Loop: Header=BB212_13 Depth=1
	v_ffbh_u32_e32 v19, v51
	v_min_u32_e32 v19, 32, v19
	v_subrev_nc_u32_e32 v20, 28, v19
	v_sub_nc_u32_e32 v19, 29, v19
	v_lshlrev_b64 v[20:21], v20, v[51:52]
	v_and_b32_e32 v51, 7, v20
; %bb.399:                              ;   in Loop: Header=BB212_13 Depth=1
	s_or_b32 exec_lo, exec_lo, s52
	v_lshlrev_b32_e32 v20, 16, v23
	v_lshlrev_b32_e32 v21, 20, v51
	v_lshl_add_u32 v19, v19, 23, 0x3c000000
	v_and_b32_e32 v20, 0x80000000, v20
	v_or3_b32 v20, v21, v20, v19
	v_mov_b32_e32 v19, v52
.LBB212_400:                            ;   in Loop: Header=BB212_13 Depth=1
	s_or_b32 exec_lo, exec_lo, s51
.LBB212_401:                            ;   in Loop: Header=BB212_13 Depth=1
	s_or_b32 exec_lo, exec_lo, s50
.LBB212_402:                            ;   in Loop: Header=BB212_13 Depth=1
	s_or_b32 exec_lo, exec_lo, s49
	global_load_ushort v21, v[71:72], off offset:1536
	v_mov_b32_e32 v55, 0
	v_mov_b32_e32 v77, 0
	;; [unrolled: 1-line block ×4, first 2 shown]
	s_waitcnt vmcnt(0)
	v_and_b32_e32 v23, 0xffff, v21
	v_cmp_ne_u16_sdwa s2, v21, v52 src0_sel:BYTE_0 src1_sel:DWORD
	s_and_saveexec_b32 s49, s2
	s_cbranch_execz .LBB212_410
; %bb.403:                              ;   in Loop: Header=BB212_13 Depth=1
	v_bfrev_b32_e32 v77, 1
	v_mov_b32_e32 v78, 0
	v_cmp_ne_u16_sdwa s2, v23, v39 src0_sel:BYTE_0 src1_sel:DWORD
	s_and_saveexec_b32 s50, s2
	s_cbranch_execz .LBB212_409
; %bb.404:                              ;   in Loop: Header=BB212_13 Depth=1
	v_mov_b32_e32 v77, 0x7f800001
	v_and_b32_e32 v24, 0x7f, v23
	v_mov_b32_e32 v78, 0
	s_mov_b32 s51, exec_lo
	v_cmpx_ne_u32_e32 0x7f, v24
	s_cbranch_execz .LBB212_408
; %bb.405:                              ;   in Loop: Header=BB212_13 Depth=1
	v_and_b32_e32 v51, 7, v23
	v_lshrrev_b32_e32 v21, 3, v24
	s_mov_b32 s52, exec_lo
	v_cmpx_gt_u32_e32 8, v24
; %bb.406:                              ;   in Loop: Header=BB212_13 Depth=1
	v_ffbh_u32_e32 v21, v51
	v_min_u32_e32 v21, 32, v21
	v_subrev_nc_u32_e32 v24, 28, v21
	v_sub_nc_u32_e32 v21, 29, v21
	v_lshlrev_b64 v[24:25], v24, v[51:52]
	v_and_b32_e32 v51, 7, v24
; %bb.407:                              ;   in Loop: Header=BB212_13 Depth=1
	s_or_b32 exec_lo, exec_lo, s52
	v_lshlrev_b32_e32 v24, 24, v23
	v_lshlrev_b32_e32 v25, 20, v51
	v_lshl_add_u32 v21, v21, 23, 0x3c000000
	v_and_b32_e32 v24, 0x80000000, v24
	v_or3_b32 v51, v25, v24, v21
	v_mov_b32_e32 v78, v52
	v_mov_b32_e32 v77, v51
.LBB212_408:                            ;   in Loop: Header=BB212_13 Depth=1
	s_or_b32 exec_lo, exec_lo, s51
.LBB212_409:                            ;   in Loop: Header=BB212_13 Depth=1
	s_or_b32 exec_lo, exec_lo, s50
.LBB212_410:                            ;   in Loop: Header=BB212_13 Depth=1
	s_or_b32 exec_lo, exec_lo, s49
	v_cmp_ne_u16_sdwa s2, v23, v52 src0_sel:BYTE_1 src1_sel:DWORD
	s_and_saveexec_b32 s49, s2
	s_cbranch_execz .LBB212_418
; %bb.411:                              ;   in Loop: Header=BB212_13 Depth=1
	v_mov_b32_e32 v79, v52
	v_cmp_ne_u16_sdwa s2, v23, v39 src0_sel:BYTE_1 src1_sel:DWORD
	v_mov_b32_e32 v55, v79
	v_mov_b32_e32 v56, v80
	s_and_saveexec_b32 s50, s2
	s_cbranch_execz .LBB212_417
; %bb.412:                              ;   in Loop: Header=BB212_13 Depth=1
	v_mov_b32_e32 v21, 0xffff
	s_mov_b32 s51, exec_lo
	v_and_b32_sdwa v25, v21, v23 dst_sel:DWORD dst_unused:UNUSED_PAD src0_sel:DWORD src1_sel:BYTE_1
	v_mov_b32_e32 v21, v52
	v_mov_b32_e32 v56, v22
	v_and_b32_e32 v24, 0x7f, v25
	v_mov_b32_e32 v55, v21
	v_cmpx_ne_u32_e32 0x7f, v24
	s_cbranch_execz .LBB212_416
; %bb.413:                              ;   in Loop: Header=BB212_13 Depth=1
	v_and_b32_e32 v51, 7, v25
	v_lshrrev_b32_e32 v21, 3, v24
	s_mov_b32 s52, exec_lo
	v_cmpx_gt_u32_e32 8, v24
; %bb.414:                              ;   in Loop: Header=BB212_13 Depth=1
	v_ffbh_u32_e32 v21, v51
	v_min_u32_e32 v21, 32, v21
	v_subrev_nc_u32_e32 v24, 28, v21
	v_sub_nc_u32_e32 v21, 29, v21
	v_lshlrev_b64 v[24:25], v24, v[51:52]
	v_and_b32_e32 v51, 7, v24
; %bb.415:                              ;   in Loop: Header=BB212_13 Depth=1
	s_or_b32 exec_lo, exec_lo, s52
	v_lshlrev_b32_e32 v23, 16, v23
	v_lshlrev_b32_e32 v24, 20, v51
	v_lshl_add_u32 v21, v21, 23, 0x3c000000
	v_mov_b32_e32 v55, v52
	v_and_b32_e32 v23, 0x80000000, v23
	v_or3_b32 v56, v24, v23, v21
.LBB212_416:                            ;   in Loop: Header=BB212_13 Depth=1
	s_or_b32 exec_lo, exec_lo, s51
.LBB212_417:                            ;   in Loop: Header=BB212_13 Depth=1
	s_or_b32 exec_lo, exec_lo, s50
.LBB212_418:                            ;   in Loop: Header=BB212_13 Depth=1
	s_or_b32 exec_lo, exec_lo, s49
	global_load_ushort v21, v[71:72], off offset:1540
	v_mov_b32_e32 v75, 0
	v_mov_b32_e32 v23, 0
	;; [unrolled: 1-line block ×4, first 2 shown]
	s_waitcnt vmcnt(0)
	v_and_b32_e32 v25, 0xffff, v21
	v_cmp_ne_u16_sdwa s2, v21, v52 src0_sel:BYTE_0 src1_sel:DWORD
	s_and_saveexec_b32 s49, s2
	s_cbranch_execz .LBB212_426
; %bb.419:                              ;   in Loop: Header=BB212_13 Depth=1
	v_bfrev_b32_e32 v23, 1
	v_mov_b32_e32 v24, 0
	v_cmp_ne_u16_sdwa s2, v25, v39 src0_sel:BYTE_0 src1_sel:DWORD
	s_and_saveexec_b32 s50, s2
	s_cbranch_execz .LBB212_425
; %bb.420:                              ;   in Loop: Header=BB212_13 Depth=1
	v_mov_b32_e32 v23, 0x7f800001
	v_and_b32_e32 v26, 0x7f, v25
	v_mov_b32_e32 v24, 0
	s_mov_b32 s51, exec_lo
	v_cmpx_ne_u32_e32 0x7f, v26
	s_cbranch_execz .LBB212_424
; %bb.421:                              ;   in Loop: Header=BB212_13 Depth=1
	v_and_b32_e32 v51, 7, v25
	v_lshrrev_b32_e32 v21, 3, v26
	s_mov_b32 s52, exec_lo
	v_cmpx_gt_u32_e32 8, v26
; %bb.422:                              ;   in Loop: Header=BB212_13 Depth=1
	v_ffbh_u32_e32 v21, v51
	v_min_u32_e32 v21, 32, v21
	v_subrev_nc_u32_e32 v23, 28, v21
	v_sub_nc_u32_e32 v21, 29, v21
	v_lshlrev_b64 v[23:24], v23, v[51:52]
	v_and_b32_e32 v51, 7, v23
; %bb.423:                              ;   in Loop: Header=BB212_13 Depth=1
	s_or_b32 exec_lo, exec_lo, s52
	v_lshlrev_b32_e32 v23, 24, v25
	v_lshlrev_b32_e32 v24, 20, v51
	v_lshl_add_u32 v21, v21, 23, 0x3c000000
	v_and_b32_e32 v23, 0x80000000, v23
	v_or3_b32 v51, v24, v23, v21
	v_mov_b32_e32 v23, v51
	v_mov_b32_e32 v24, v52
.LBB212_424:                            ;   in Loop: Header=BB212_13 Depth=1
	s_or_b32 exec_lo, exec_lo, s51
.LBB212_425:                            ;   in Loop: Header=BB212_13 Depth=1
	s_or_b32 exec_lo, exec_lo, s50
.LBB212_426:                            ;   in Loop: Header=BB212_13 Depth=1
	s_or_b32 exec_lo, exec_lo, s49
	v_cmp_ne_u16_sdwa s2, v25, v52 src0_sel:BYTE_1 src1_sel:DWORD
	s_and_saveexec_b32 s49, s2
	s_cbranch_execz .LBB212_434
; %bb.427:                              ;   in Loop: Header=BB212_13 Depth=1
	v_mov_b32_e32 v79, v52
	v_cmp_ne_u16_sdwa s2, v25, v39 src0_sel:BYTE_1 src1_sel:DWORD
	v_mov_b32_e32 v75, v79
	v_mov_b32_e32 v76, v80
	s_and_saveexec_b32 s50, s2
	s_cbranch_execz .LBB212_433
; %bb.428:                              ;   in Loop: Header=BB212_13 Depth=1
	v_mov_b32_e32 v21, 0xffff
	s_mov_b32 s51, exec_lo
	v_and_b32_sdwa v27, v21, v25 dst_sel:DWORD dst_unused:UNUSED_PAD src0_sel:DWORD src1_sel:BYTE_1
	v_mov_b32_e32 v21, v52
	v_mov_b32_e32 v76, v22
	v_and_b32_e32 v26, 0x7f, v27
	v_mov_b32_e32 v75, v21
	v_cmpx_ne_u32_e32 0x7f, v26
	s_cbranch_execz .LBB212_432
; %bb.429:                              ;   in Loop: Header=BB212_13 Depth=1
	v_and_b32_e32 v51, 7, v27
	v_lshrrev_b32_e32 v21, 3, v26
	s_mov_b32 s52, exec_lo
	v_cmpx_gt_u32_e32 8, v26
; %bb.430:                              ;   in Loop: Header=BB212_13 Depth=1
	v_ffbh_u32_e32 v21, v51
	v_min_u32_e32 v21, 32, v21
	v_subrev_nc_u32_e32 v26, 28, v21
	v_sub_nc_u32_e32 v21, 29, v21
	v_lshlrev_b64 v[26:27], v26, v[51:52]
	v_and_b32_e32 v51, 7, v26
; %bb.431:                              ;   in Loop: Header=BB212_13 Depth=1
	s_or_b32 exec_lo, exec_lo, s52
	v_lshlrev_b32_e32 v25, 16, v25
	v_lshlrev_b32_e32 v26, 20, v51
	v_lshl_add_u32 v21, v21, 23, 0x3c000000
	v_mov_b32_e32 v75, v52
	v_and_b32_e32 v25, 0x80000000, v25
	v_or3_b32 v76, v26, v25, v21
.LBB212_432:                            ;   in Loop: Header=BB212_13 Depth=1
	s_or_b32 exec_lo, exec_lo, s51
.LBB212_433:                            ;   in Loop: Header=BB212_13 Depth=1
	s_or_b32 exec_lo, exec_lo, s50
.LBB212_434:                            ;   in Loop: Header=BB212_13 Depth=1
	s_or_b32 exec_lo, exec_lo, s49
	global_load_ushort v21, v[71:72], off offset:1544
	v_mov_b32_e32 v31, 0
	v_mov_b32_e32 v29, 0
	;; [unrolled: 1-line block ×4, first 2 shown]
	s_waitcnt vmcnt(0)
	v_and_b32_e32 v25, 0xffff, v21
	v_cmp_ne_u16_sdwa s2, v21, v52 src0_sel:BYTE_0 src1_sel:DWORD
	s_and_saveexec_b32 s49, s2
	s_cbranch_execz .LBB212_442
; %bb.435:                              ;   in Loop: Header=BB212_13 Depth=1
	v_bfrev_b32_e32 v29, 1
	v_mov_b32_e32 v30, 0
	v_cmp_ne_u16_sdwa s2, v25, v39 src0_sel:BYTE_0 src1_sel:DWORD
	s_and_saveexec_b32 s50, s2
	s_cbranch_execz .LBB212_441
; %bb.436:                              ;   in Loop: Header=BB212_13 Depth=1
	v_mov_b32_e32 v29, 0x7f800001
	v_and_b32_e32 v26, 0x7f, v25
	v_mov_b32_e32 v30, 0
	s_mov_b32 s51, exec_lo
	v_cmpx_ne_u32_e32 0x7f, v26
	s_cbranch_execz .LBB212_440
; %bb.437:                              ;   in Loop: Header=BB212_13 Depth=1
	v_and_b32_e32 v51, 7, v25
	v_lshrrev_b32_e32 v21, 3, v26
	s_mov_b32 s52, exec_lo
	v_cmpx_gt_u32_e32 8, v26
; %bb.438:                              ;   in Loop: Header=BB212_13 Depth=1
	v_ffbh_u32_e32 v21, v51
	v_min_u32_e32 v21, 32, v21
	v_subrev_nc_u32_e32 v26, 28, v21
	v_sub_nc_u32_e32 v21, 29, v21
	v_lshlrev_b64 v[26:27], v26, v[51:52]
	v_and_b32_e32 v51, 7, v26
; %bb.439:                              ;   in Loop: Header=BB212_13 Depth=1
	s_or_b32 exec_lo, exec_lo, s52
	v_lshlrev_b32_e32 v26, 24, v25
	v_lshlrev_b32_e32 v27, 20, v51
	v_lshl_add_u32 v21, v21, 23, 0x3c000000
	v_and_b32_e32 v26, 0x80000000, v26
	v_or3_b32 v51, v27, v26, v21
	v_mov_b32_e32 v29, v51
	v_mov_b32_e32 v30, v52
.LBB212_440:                            ;   in Loop: Header=BB212_13 Depth=1
	s_or_b32 exec_lo, exec_lo, s51
.LBB212_441:                            ;   in Loop: Header=BB212_13 Depth=1
	s_or_b32 exec_lo, exec_lo, s50
.LBB212_442:                            ;   in Loop: Header=BB212_13 Depth=1
	s_or_b32 exec_lo, exec_lo, s49
	v_cmp_ne_u16_sdwa s2, v25, v52 src0_sel:BYTE_1 src1_sel:DWORD
	s_and_saveexec_b32 s49, s2
	s_cbranch_execz .LBB212_450
; %bb.443:                              ;   in Loop: Header=BB212_13 Depth=1
	v_mov_b32_e32 v79, v52
	v_cmp_ne_u16_sdwa s2, v25, v39 src0_sel:BYTE_1 src1_sel:DWORD
	v_mov_b32_e32 v31, v79
	v_mov_b32_e32 v32, v80
	s_and_saveexec_b32 s50, s2
	s_cbranch_execz .LBB212_449
; %bb.444:                              ;   in Loop: Header=BB212_13 Depth=1
	v_mov_b32_e32 v21, 0xffff
	s_mov_b32 s51, exec_lo
	v_and_b32_sdwa v27, v21, v25 dst_sel:DWORD dst_unused:UNUSED_PAD src0_sel:DWORD src1_sel:BYTE_1
	v_mov_b32_e32 v21, v52
	v_mov_b32_e32 v32, v22
	v_and_b32_e32 v26, 0x7f, v27
	v_mov_b32_e32 v31, v21
	v_cmpx_ne_u32_e32 0x7f, v26
	s_cbranch_execz .LBB212_448
; %bb.445:                              ;   in Loop: Header=BB212_13 Depth=1
	v_and_b32_e32 v51, 7, v27
	v_lshrrev_b32_e32 v21, 3, v26
	s_mov_b32 s52, exec_lo
	v_cmpx_gt_u32_e32 8, v26
; %bb.446:                              ;   in Loop: Header=BB212_13 Depth=1
	v_ffbh_u32_e32 v21, v51
	v_min_u32_e32 v21, 32, v21
	v_subrev_nc_u32_e32 v26, 28, v21
	v_sub_nc_u32_e32 v21, 29, v21
	v_lshlrev_b64 v[26:27], v26, v[51:52]
	v_and_b32_e32 v51, 7, v26
; %bb.447:                              ;   in Loop: Header=BB212_13 Depth=1
	s_or_b32 exec_lo, exec_lo, s52
	v_lshlrev_b32_e32 v25, 16, v25
	v_lshlrev_b32_e32 v26, 20, v51
	v_lshl_add_u32 v21, v21, 23, 0x3c000000
	v_mov_b32_e32 v31, v52
	v_and_b32_e32 v25, 0x80000000, v25
	v_or3_b32 v32, v26, v25, v21
.LBB212_448:                            ;   in Loop: Header=BB212_13 Depth=1
	s_or_b32 exec_lo, exec_lo, s51
.LBB212_449:                            ;   in Loop: Header=BB212_13 Depth=1
	s_or_b32 exec_lo, exec_lo, s50
.LBB212_450:                            ;   in Loop: Header=BB212_13 Depth=1
	s_or_b32 exec_lo, exec_lo, s49
	global_load_ushort v21, v[71:72], off offset:1548
	v_mov_b32_e32 v35, 0
	v_mov_b32_e32 v33, 0
	;; [unrolled: 1-line block ×4, first 2 shown]
	s_waitcnt vmcnt(0)
	v_and_b32_e32 v25, 0xffff, v21
	v_cmp_ne_u16_sdwa s2, v21, v52 src0_sel:BYTE_0 src1_sel:DWORD
	s_and_saveexec_b32 s49, s2
	s_cbranch_execz .LBB212_458
; %bb.451:                              ;   in Loop: Header=BB212_13 Depth=1
	v_bfrev_b32_e32 v33, 1
	v_mov_b32_e32 v34, 0
	v_cmp_ne_u16_sdwa s2, v25, v39 src0_sel:BYTE_0 src1_sel:DWORD
	s_and_saveexec_b32 s50, s2
	s_cbranch_execz .LBB212_457
; %bb.452:                              ;   in Loop: Header=BB212_13 Depth=1
	v_mov_b32_e32 v33, 0x7f800001
	v_and_b32_e32 v26, 0x7f, v25
	v_mov_b32_e32 v34, 0
	s_mov_b32 s51, exec_lo
	v_cmpx_ne_u32_e32 0x7f, v26
	s_cbranch_execz .LBB212_456
; %bb.453:                              ;   in Loop: Header=BB212_13 Depth=1
	v_and_b32_e32 v51, 7, v25
	v_lshrrev_b32_e32 v21, 3, v26
	s_mov_b32 s52, exec_lo
	v_cmpx_gt_u32_e32 8, v26
; %bb.454:                              ;   in Loop: Header=BB212_13 Depth=1
	v_ffbh_u32_e32 v21, v51
	v_min_u32_e32 v21, 32, v21
	v_subrev_nc_u32_e32 v26, 28, v21
	v_sub_nc_u32_e32 v21, 29, v21
	v_lshlrev_b64 v[26:27], v26, v[51:52]
	v_and_b32_e32 v51, 7, v26
; %bb.455:                              ;   in Loop: Header=BB212_13 Depth=1
	s_or_b32 exec_lo, exec_lo, s52
	v_lshlrev_b32_e32 v26, 24, v25
	v_lshlrev_b32_e32 v27, 20, v51
	v_lshl_add_u32 v21, v21, 23, 0x3c000000
	v_and_b32_e32 v26, 0x80000000, v26
	v_or3_b32 v51, v27, v26, v21
	v_mov_b32_e32 v33, v51
	v_mov_b32_e32 v34, v52
.LBB212_456:                            ;   in Loop: Header=BB212_13 Depth=1
	s_or_b32 exec_lo, exec_lo, s51
.LBB212_457:                            ;   in Loop: Header=BB212_13 Depth=1
	s_or_b32 exec_lo, exec_lo, s50
.LBB212_458:                            ;   in Loop: Header=BB212_13 Depth=1
	s_or_b32 exec_lo, exec_lo, s49
	v_cmp_ne_u16_sdwa s2, v25, v52 src0_sel:BYTE_1 src1_sel:DWORD
	s_and_saveexec_b32 s49, s2
	s_cbranch_execz .LBB212_466
; %bb.459:                              ;   in Loop: Header=BB212_13 Depth=1
	v_mov_b32_e32 v79, v52
	v_cmp_ne_u16_sdwa s2, v25, v39 src0_sel:BYTE_1 src1_sel:DWORD
	v_mov_b32_e32 v35, v79
	v_mov_b32_e32 v36, v80
	s_and_saveexec_b32 s50, s2
	s_cbranch_execz .LBB212_465
; %bb.460:                              ;   in Loop: Header=BB212_13 Depth=1
	v_mov_b32_e32 v21, 0xffff
	s_mov_b32 s51, exec_lo
	v_and_b32_sdwa v27, v21, v25 dst_sel:DWORD dst_unused:UNUSED_PAD src0_sel:DWORD src1_sel:BYTE_1
	v_mov_b32_e32 v21, v52
	v_mov_b32_e32 v36, v22
	v_and_b32_e32 v26, 0x7f, v27
	v_mov_b32_e32 v35, v21
	v_cmpx_ne_u32_e32 0x7f, v26
	s_cbranch_execz .LBB212_464
; %bb.461:                              ;   in Loop: Header=BB212_13 Depth=1
	v_and_b32_e32 v51, 7, v27
	v_lshrrev_b32_e32 v21, 3, v26
	s_mov_b32 s52, exec_lo
	v_cmpx_gt_u32_e32 8, v26
; %bb.462:                              ;   in Loop: Header=BB212_13 Depth=1
	v_ffbh_u32_e32 v21, v51
	v_min_u32_e32 v21, 32, v21
	v_subrev_nc_u32_e32 v26, 28, v21
	v_sub_nc_u32_e32 v21, 29, v21
	v_lshlrev_b64 v[26:27], v26, v[51:52]
	v_and_b32_e32 v51, 7, v26
; %bb.463:                              ;   in Loop: Header=BB212_13 Depth=1
	s_or_b32 exec_lo, exec_lo, s52
	v_lshlrev_b32_e32 v25, 16, v25
	v_lshlrev_b32_e32 v26, 20, v51
	v_lshl_add_u32 v21, v21, 23, 0x3c000000
	v_mov_b32_e32 v35, v52
	v_and_b32_e32 v25, 0x80000000, v25
	v_or3_b32 v36, v26, v25, v21
.LBB212_464:                            ;   in Loop: Header=BB212_13 Depth=1
	s_or_b32 exec_lo, exec_lo, s51
.LBB212_465:                            ;   in Loop: Header=BB212_13 Depth=1
	s_or_b32 exec_lo, exec_lo, s50
.LBB212_466:                            ;   in Loop: Header=BB212_13 Depth=1
	s_or_b32 exec_lo, exec_lo, s49
	global_load_ushort v21, v[71:72], off offset:1792
	v_mov_b32_e32 v53, 0
	v_mov_b32_e32 v25, 0
	;; [unrolled: 1-line block ×4, first 2 shown]
	s_waitcnt vmcnt(0)
	v_and_b32_e32 v27, 0xffff, v21
	v_cmp_ne_u16_sdwa s2, v21, v52 src0_sel:BYTE_0 src1_sel:DWORD
	s_and_saveexec_b32 s49, s2
	s_cbranch_execz .LBB212_474
; %bb.467:                              ;   in Loop: Header=BB212_13 Depth=1
	v_bfrev_b32_e32 v25, 1
	v_mov_b32_e32 v26, 0
	v_cmp_ne_u16_sdwa s2, v27, v39 src0_sel:BYTE_0 src1_sel:DWORD
	s_and_saveexec_b32 s50, s2
	s_cbranch_execz .LBB212_473
; %bb.468:                              ;   in Loop: Header=BB212_13 Depth=1
	v_mov_b32_e32 v25, 0x7f800001
	v_and_b32_e32 v28, 0x7f, v27
	v_mov_b32_e32 v26, 0
	s_mov_b32 s51, exec_lo
	v_cmpx_ne_u32_e32 0x7f, v28
	s_cbranch_execz .LBB212_472
; %bb.469:                              ;   in Loop: Header=BB212_13 Depth=1
	v_and_b32_e32 v51, 7, v27
	v_lshrrev_b32_e32 v21, 3, v28
	s_mov_b32 s52, exec_lo
	v_cmpx_gt_u32_e32 8, v28
; %bb.470:                              ;   in Loop: Header=BB212_13 Depth=1
	v_ffbh_u32_e32 v21, v51
	v_min_u32_e32 v21, 32, v21
	v_subrev_nc_u32_e32 v25, 28, v21
	v_sub_nc_u32_e32 v21, 29, v21
	v_lshlrev_b64 v[25:26], v25, v[51:52]
	v_and_b32_e32 v51, 7, v25
; %bb.471:                              ;   in Loop: Header=BB212_13 Depth=1
	s_or_b32 exec_lo, exec_lo, s52
	v_lshlrev_b32_e32 v25, 24, v27
	v_lshlrev_b32_e32 v26, 20, v51
	v_lshl_add_u32 v21, v21, 23, 0x3c000000
	v_and_b32_e32 v25, 0x80000000, v25
	v_or3_b32 v51, v26, v25, v21
	v_mov_b32_e32 v25, v51
	v_mov_b32_e32 v26, v52
.LBB212_472:                            ;   in Loop: Header=BB212_13 Depth=1
	s_or_b32 exec_lo, exec_lo, s51
.LBB212_473:                            ;   in Loop: Header=BB212_13 Depth=1
	s_or_b32 exec_lo, exec_lo, s50
.LBB212_474:                            ;   in Loop: Header=BB212_13 Depth=1
	s_or_b32 exec_lo, exec_lo, s49
	v_cmp_ne_u16_sdwa s2, v27, v52 src0_sel:BYTE_1 src1_sel:DWORD
	s_and_saveexec_b32 s49, s2
	s_cbranch_execz .LBB212_482
; %bb.475:                              ;   in Loop: Header=BB212_13 Depth=1
	v_mov_b32_e32 v79, v52
	v_cmp_ne_u16_sdwa s2, v27, v39 src0_sel:BYTE_1 src1_sel:DWORD
	v_mov_b32_e32 v53, v79
	v_mov_b32_e32 v54, v80
	s_and_saveexec_b32 s50, s2
	s_cbranch_execz .LBB212_481
; %bb.476:                              ;   in Loop: Header=BB212_13 Depth=1
	v_mov_b32_e32 v21, 0xffff
	s_mov_b32 s51, exec_lo
	v_and_b32_sdwa v41, v21, v27 dst_sel:DWORD dst_unused:UNUSED_PAD src0_sel:DWORD src1_sel:BYTE_1
	v_mov_b32_e32 v21, v52
	v_mov_b32_e32 v54, v22
	v_and_b32_e32 v28, 0x7f, v41
	v_mov_b32_e32 v53, v21
	v_cmpx_ne_u32_e32 0x7f, v28
	s_cbranch_execz .LBB212_480
; %bb.477:                              ;   in Loop: Header=BB212_13 Depth=1
	v_and_b32_e32 v51, 7, v41
	v_lshrrev_b32_e32 v21, 3, v28
	s_mov_b32 s52, exec_lo
	v_cmpx_gt_u32_e32 8, v28
; %bb.478:                              ;   in Loop: Header=BB212_13 Depth=1
	v_ffbh_u32_e32 v21, v51
	v_min_u32_e32 v21, 32, v21
	v_subrev_nc_u32_e32 v28, 28, v21
	v_sub_nc_u32_e32 v21, 29, v21
	v_lshlrev_b64 v[41:42], v28, v[51:52]
	v_and_b32_e32 v51, 7, v41
; %bb.479:                              ;   in Loop: Header=BB212_13 Depth=1
	s_or_b32 exec_lo, exec_lo, s52
	v_lshlrev_b32_e32 v27, 16, v27
	v_lshlrev_b32_e32 v28, 20, v51
	v_lshl_add_u32 v21, v21, 23, 0x3c000000
	v_mov_b32_e32 v53, v52
	v_and_b32_e32 v27, 0x80000000, v27
	v_or3_b32 v54, v28, v27, v21
.LBB212_480:                            ;   in Loop: Header=BB212_13 Depth=1
	s_or_b32 exec_lo, exec_lo, s51
.LBB212_481:                            ;   in Loop: Header=BB212_13 Depth=1
	s_or_b32 exec_lo, exec_lo, s50
.LBB212_482:                            ;   in Loop: Header=BB212_13 Depth=1
	s_or_b32 exec_lo, exec_lo, s49
	global_load_ushort v21, v[71:72], off offset:1796
	v_mov_b32_e32 v71, 0
	v_mov_b32_e32 v27, 0
	;; [unrolled: 1-line block ×4, first 2 shown]
	s_waitcnt vmcnt(0)
	v_and_b32_e32 v41, 0xffff, v21
	v_cmp_ne_u16_sdwa s2, v21, v52 src0_sel:BYTE_0 src1_sel:DWORD
	s_and_saveexec_b32 s49, s2
	s_cbranch_execz .LBB212_490
; %bb.483:                              ;   in Loop: Header=BB212_13 Depth=1
	v_bfrev_b32_e32 v27, 1
	v_mov_b32_e32 v28, 0
	v_cmp_ne_u16_sdwa s2, v41, v39 src0_sel:BYTE_0 src1_sel:DWORD
	s_and_saveexec_b32 s50, s2
	s_cbranch_execz .LBB212_489
; %bb.484:                              ;   in Loop: Header=BB212_13 Depth=1
	v_mov_b32_e32 v27, 0x7f800001
	v_and_b32_e32 v42, 0x7f, v41
	v_mov_b32_e32 v28, 0
	s_mov_b32 s51, exec_lo
	v_cmpx_ne_u32_e32 0x7f, v42
	s_cbranch_execz .LBB212_488
; %bb.485:                              ;   in Loop: Header=BB212_13 Depth=1
	v_and_b32_e32 v51, 7, v41
	v_lshrrev_b32_e32 v21, 3, v42
	s_mov_b32 s52, exec_lo
	v_cmpx_gt_u32_e32 8, v42
; %bb.486:                              ;   in Loop: Header=BB212_13 Depth=1
	v_ffbh_u32_e32 v21, v51
	v_min_u32_e32 v21, 32, v21
	v_subrev_nc_u32_e32 v27, 28, v21
	v_sub_nc_u32_e32 v21, 29, v21
	v_lshlrev_b64 v[27:28], v27, v[51:52]
	v_and_b32_e32 v51, 7, v27
; %bb.487:                              ;   in Loop: Header=BB212_13 Depth=1
	s_or_b32 exec_lo, exec_lo, s52
	v_lshlrev_b32_e32 v27, 24, v41
	v_lshlrev_b32_e32 v28, 20, v51
	v_lshl_add_u32 v21, v21, 23, 0x3c000000
	v_and_b32_e32 v27, 0x80000000, v27
	v_or3_b32 v51, v28, v27, v21
	v_mov_b32_e32 v27, v51
	v_mov_b32_e32 v28, v52
.LBB212_488:                            ;   in Loop: Header=BB212_13 Depth=1
	s_or_b32 exec_lo, exec_lo, s51
.LBB212_489:                            ;   in Loop: Header=BB212_13 Depth=1
	s_or_b32 exec_lo, exec_lo, s50
.LBB212_490:                            ;   in Loop: Header=BB212_13 Depth=1
	s_or_b32 exec_lo, exec_lo, s49
	v_cmp_ne_u16_sdwa s2, v41, v52 src0_sel:BYTE_1 src1_sel:DWORD
	s_and_saveexec_b32 s49, s2
	s_cbranch_execz .LBB212_498
; %bb.491:                              ;   in Loop: Header=BB212_13 Depth=1
	v_mov_b32_e32 v79, v52
	v_cmp_ne_u16_sdwa s2, v41, v39 src0_sel:BYTE_1 src1_sel:DWORD
	v_mov_b32_e32 v71, v79
	v_mov_b32_e32 v72, v80
	s_and_saveexec_b32 s50, s2
	s_cbranch_execz .LBB212_497
; %bb.492:                              ;   in Loop: Header=BB212_13 Depth=1
	v_mov_b32_e32 v21, 0xffff
	v_mov_b32_e32 v45, v44
	;; [unrolled: 1-line block ×3, first 2 shown]
	s_mov_b32 s51, exec_lo
	v_and_b32_sdwa v43, v21, v41 dst_sel:DWORD dst_unused:UNUSED_PAD src0_sel:DWORD src1_sel:BYTE_1
	v_mov_b32_e32 v21, v52
	v_mov_b32_e32 v72, v22
	v_and_b32_e32 v42, 0x7f, v43
	v_mov_b32_e32 v71, v21
	v_cmpx_ne_u32_e32 0x7f, v42
	s_cbranch_execz .LBB212_496
; %bb.493:                              ;   in Loop: Header=BB212_13 Depth=1
	v_and_b32_e32 v51, 7, v43
	v_lshrrev_b32_e32 v21, 3, v42
	s_mov_b32 s52, exec_lo
	v_cmpx_gt_u32_e32 8, v42
; %bb.494:                              ;   in Loop: Header=BB212_13 Depth=1
	v_ffbh_u32_e32 v21, v51
	v_min_u32_e32 v21, 32, v21
	v_subrev_nc_u32_e32 v42, 28, v21
	v_sub_nc_u32_e32 v21, 29, v21
	v_lshlrev_b64 v[42:43], v42, v[51:52]
	v_and_b32_e32 v51, 7, v42
; %bb.495:                              ;   in Loop: Header=BB212_13 Depth=1
	s_or_b32 exec_lo, exec_lo, s52
	v_lshlrev_b32_e32 v41, 16, v41
	v_lshlrev_b32_e32 v42, 20, v51
	v_lshl_add_u32 v21, v21, 23, 0x3c000000
	v_mov_b32_e32 v71, v52
	v_and_b32_e32 v41, 0x80000000, v41
	v_or3_b32 v72, v42, v41, v21
.LBB212_496:                            ;   in Loop: Header=BB212_13 Depth=1
	s_or_b32 exec_lo, exec_lo, s51
	v_mov_b32_e32 v43, v44
	v_mov_b32_e32 v44, v45
.LBB212_497:                            ;   in Loop: Header=BB212_13 Depth=1
	s_or_b32 exec_lo, exec_lo, s50
.LBB212_498:                            ;   in Loop: Header=BB212_13 Depth=1
	s_or_b32 exec_lo, exec_lo, s49
	v_or_b32_e32 v2, v4, v2
	v_or_b32_e32 v3, v3, v1
	;; [unrolled: 1-line block ×5, first 2 shown]
	v_mul_f32_e32 v1, s48, v2
	v_mul_f32_e32 v2, s48, v3
	v_or_b32_e32 v3, v74, v70
	s_clause 0x1
	buffer_load_dword v69, off, s[56:59], 0 offset:40
	buffer_load_dword v70, off, s[56:59], 0 offset:44
	v_or_b32_e32 v31, v31, v29
	v_mul_f32_e32 v51, s48, v41
	v_or_b32_e32 v41, v112, v110
	v_or_b32_e32 v42, v111, v109
	;; [unrolled: 1-line block ×4, first 2 shown]
	v_mul_f32_e32 v29, s48, v30
	v_mul_f32_e32 v30, s48, v31
	v_or_b32_e32 v24, v76, v24
	v_or_b32_e32 v31, v75, v23
	v_mul_f32_e32 v53, s48, v41
	v_mul_f32_e32 v54, s48, v42
	v_or_b32_e32 v41, v108, v106
	v_or_b32_e32 v42, v107, v105
	;; [unrolled: 4-line block ×3, first 2 shown]
	v_or_b32_e32 v14, v16, v14
	v_or_b32_e32 v15, v15, v13
	v_mul_f32_e32 v55, s48, v41
	v_mul_f32_e32 v56, s48, v42
	v_or_b32_e32 v41, v104, v102
	v_or_b32_e32 v42, v103, v101
	v_mul_f32_e32 v13, s48, v14
	v_mul_f32_e32 v14, s48, v15
	v_or_b32_e32 v10, v12, v10
	v_or_b32_e32 v11, v11, v9
	v_or_b32_e32 v15, v60, v126
	v_or_b32_e32 v16, v59, v125
	v_mul_f32_e32 v59, s48, v41
	v_mul_f32_e32 v60, s48, v42
	v_or_b32_e32 v41, v100, v98
	v_or_b32_e32 v42, v99, v97
	v_mul_f32_e32 v9, s48, v10
	v_mul_f32_e32 v10, s48, v11
	v_or_b32_e32 v11, v64, v62
	v_or_b32_e32 v12, v63, v61
	;; [unrolled: 4-line block ×3, first 2 shown]
	v_or_b32_e32 v6, v8, v6
	v_or_b32_e32 v7, v7, v5
	;; [unrolled: 1-line block ×3, first 2 shown]
	v_mul_f32_e32 v63, s48, v41
	v_mul_f32_e32 v64, s48, v42
	v_or_b32_e32 v41, v92, v90
	v_or_b32_e32 v42, v91, v89
	v_mul_f32_e32 v5, s48, v6
	v_mul_f32_e32 v6, s48, v7
	v_or_b32_e32 v7, v66, v68
	v_mul_f32_e32 v65, s48, v41
	v_mul_f32_e32 v66, s48, v42
	v_or_b32_e32 v41, v88, v86
	v_or_b32_e32 v42, v87, v85
	;; [unrolled: 1-line block ×5, first 2 shown]
	v_mul_f32_e32 v67, s48, v41
	v_mul_f32_e32 v68, s48, v42
	v_or_b32_e32 v33, v35, v33
	v_or_b32_e32 v34, v120, v118
	;; [unrolled: 1-line block ×3, first 2 shown]
	v_mul_f32_e32 v36, s48, v36
	v_or_b32_e32 v18, v20, v18
	v_or_b32_e32 v19, v19, v17
	v_mul_f32_e32 v34, s48, v34
	v_mul_f32_e32 v35, s48, v35
	v_or_b32_e32 v20, v123, v121
	v_mul_f32_e32 v17, s48, v18
	v_mul_f32_e32 v18, s48, v19
	;; [unrolled: 3-line block ×3, first 2 shown]
	v_mul_f32_e32 v16, s48, v16
	v_mul_f32_e32 v11, s48, v11
	;; [unrolled: 1-line block ×14, first 2 shown]
	v_or_b32_e32 v28, v72, v28
	v_mul_f32_e32 v28, s48, v28
	s_waitcnt vmcnt(1)
	v_or_b32_e32 v42, v83, v69
	s_waitcnt vmcnt(0)
	v_or_b32_e32 v41, v84, v70
	v_mul_f32_e32 v70, s48, v42
	v_mul_f32_e32 v69, s48, v41
	s_clause 0x1
	buffer_load_dword v41, off, s[56:59], 0 offset:32
	buffer_load_dword v42, off, s[56:59], 0 offset:36
	s_waitcnt vmcnt(1)
	v_or_b32_e32 v37, v37, v41
	s_waitcnt vmcnt(0)
	v_or_b32_e32 v38, v38, v42
	s_clause 0x3
	buffer_load_dword v41, off, s[56:59], 0 offset:16
	buffer_load_dword v42, off, s[56:59], 0 offset:20
	;; [unrolled: 1-line block ×4, first 2 shown]
	v_mul_f32_e32 v74, s48, v37
	v_mul_f32_e32 v73, s48, v38
	s_waitcnt vmcnt(1)
	v_or_b32_e32 v38, v75, v41
	s_waitcnt vmcnt(0)
	v_or_b32_e32 v37, v76, v42
	s_clause 0x3
	buffer_load_dword v41, off, s[56:59], 0
	buffer_load_dword v42, off, s[56:59], 0 offset:4
	buffer_load_dword v77, off, s[56:59], 0 offset:8
	;; [unrolled: 1-line block ×3, first 2 shown]
	v_mul_f32_e32 v76, s48, v38
	v_mul_f32_e32 v75, s48, v37
	s_waitcnt vmcnt(1)
	v_or_b32_e32 v38, v77, v41
	s_waitcnt vmcnt(0)
	v_or_b32_e32 v37, v78, v42
	v_or_b32_e32 v42, v46, v43
	v_mul_f32_e32 v38, s48, v38
	v_mul_f32_e32 v41, s48, v37
	v_or_b32_e32 v37, v47, v44
	s_clause 0x3
	buffer_load_dword v45, off, s[56:59], 0 offset:236
	buffer_load_dword v46, off, s[56:59], 0 offset:240
	;; [unrolled: 1-line block ×4, first 2 shown]
	v_mbcnt_lo_u32_b32 v44, -1, 0
	v_mul_f32_e32 v42, s48, v42
	v_mul_f32_e32 v43, s48, v37
	v_xor_b32_e32 v37, 1, v44
	v_cmp_gt_i32_e64 s2, 32, v37
	v_cndmask_b32_e64 v44, v44, v37, s2
	v_mul_f32_e32 v37, s48, v27
	v_lshlrev_b32_e32 v27, 2, v44
	s_waitcnt vmcnt(1)
	v_mul_f32_e32 v38, v47, v38
	v_fmac_f32_e32 v38, v45, v42
	s_waitcnt vmcnt(0)
	v_mul_f32_e32 v45, v48, v41
	v_fmac_f32_e32 v45, v46, v43
	s_clause 0x3
	buffer_load_dword v41, off, s[56:59], 0 offset:220
	buffer_load_dword v42, off, s[56:59], 0 offset:224
	buffer_load_dword v43, off, s[56:59], 0 offset:228
	buffer_load_dword v44, off, s[56:59], 0 offset:232
	s_waitcnt vmcnt(3)
	v_fmac_f32_e32 v38, v41, v76
	s_waitcnt vmcnt(2)
	v_fmac_f32_e32 v45, v42, v75
	s_waitcnt vmcnt(1)
	v_fmac_f32_e32 v38, v43, v74
	s_waitcnt vmcnt(0)
	v_fmac_f32_e32 v45, v44, v73
	s_clause 0x3
	buffer_load_dword v41, off, s[56:59], 0 offset:204
	buffer_load_dword v42, off, s[56:59], 0 offset:208
	buffer_load_dword v43, off, s[56:59], 0 offset:212
	buffer_load_dword v44, off, s[56:59], 0 offset:216
	s_waitcnt vmcnt(3)
	v_fmac_f32_e32 v38, v41, v70
	s_waitcnt vmcnt(2)
	v_fmac_f32_e32 v45, v42, v69
	s_waitcnt vmcnt(1)
	v_fmac_f32_e32 v38, v43, v68
	s_waitcnt vmcnt(0)
	;; [unrolled: 13-line block ×10, first 2 shown]
	v_fmac_f32_e32 v45, v4, v9
	s_clause 0x3
	buffer_load_dword v1, off, s[56:59], 0 offset:60
	buffer_load_dword v2, off, s[56:59], 0 offset:64
	buffer_load_dword v3, off, s[56:59], 0 offset:68
	buffer_load_dword v4, off, s[56:59], 0 offset:72
	s_waitcnt vmcnt(3)
	v_fmac_f32_e32 v38, v1, v14
	s_waitcnt vmcnt(2)
	v_fmac_f32_e32 v45, v2, v13
	s_clause 0x1
	buffer_load_dword v1, off, s[56:59], 0 offset:52
	buffer_load_dword v2, off, s[56:59], 0 offset:56
	s_waitcnt vmcnt(3)
	v_fmac_f32_e32 v38, v3, v18
	s_waitcnt vmcnt(2)
	v_fmac_f32_e32 v45, v4, v17
	;; [unrolled: 2-line block ×4, first 2 shown]
	ds_read2_b64 v[1:4], v127 offset0:25 offset1:26
	s_waitcnt lgkmcnt(0)
	v_fmac_f32_e32 v38, v24, v1
	v_fmac_f32_e32 v45, v23, v2
	;; [unrolled: 1-line block ×4, first 2 shown]
	ds_read2_b64 v[1:4], v127 offset0:27 offset1:28
	s_waitcnt lgkmcnt(0)
	v_fmac_f32_e32 v38, v33, v1
	v_fmac_f32_e32 v45, v26, v2
	ds_read_b64 v[1:2], v127 offset:232
	v_fmac_f32_e32 v38, v25, v3
	v_fmac_f32_e32 v45, v21, v4
	s_waitcnt lgkmcnt(0)
	v_fmac_f32_e32 v38, v37, v1
	v_fmac_f32_e32 v45, v28, v2
	v_add_f32_e32 v1, v38, v45
	ds_bpermute_b32 v2, v27, v1
	s_and_saveexec_b32 s48, vcc_lo
	s_cbranch_execz .LBB212_11
; %bb.499:                              ;   in Loop: Header=BB212_13 Depth=1
	buffer_load_dword v3, off, s[56:59], 0 offset:268 ; 4-byte Folded Reload
	s_waitcnt lgkmcnt(0)
	v_add_f32_e32 v1, v1, v2
	buffer_load_dword v4, off, s[56:59], 0 offset:252 ; 4-byte Folded Reload
	s_waitcnt vmcnt(1)
	v_add_nc_u32_e32 v3, v3, v0
	v_cvt_f32_i32_e32 v3, v3
	v_mul_f32_e32 v3, s43, v3
	v_cndmask_b32_e64 v2, 0, v3, s1
	v_fmac_f32_e32 v2, s41, v1
	buffer_load_dword v1, off, s[56:59], 0 offset:264 ; 4-byte Folded Reload
	s_waitcnt vmcnt(1)
	v_max_f32_e32 v3, v4, v4
	v_max_f32_e32 v3, v3, v2
	s_waitcnt vmcnt(0)
	v_add_nc_u32_e32 v1, v1, v0
	v_cmp_gt_i32_e64 s2, s31, v1
	v_cndmask_b32_e64 v1, 0, v2, s2
	v_cndmask_b32_e64 v4, v4, v3, s2
	ds_write_b32 v81, v1
	buffer_store_dword v4, off, s[56:59], 0 offset:252 ; 4-byte Folded Spill
	s_branch .LBB212_11
.LBB212_500:
	s_or_b32 exec_lo, exec_lo, s46
	s_clause 0x3
	buffer_load_dword v113, off, s[56:59], 0 offset:272
	buffer_load_dword v114, off, s[56:59], 0 offset:276
	buffer_load_dword v12, off, s[56:59], 0 offset:280
	buffer_load_dword v3, off, s[56:59], 0 offset:252
.LBB212_501:
	s_or_b32 exec_lo, exec_lo, s45
	v_mbcnt_lo_u32_b32 v6, -1, 0
	v_xor_b32_e32 v0, 16, v6
	v_xor_b32_e32 v1, 8, v6
	v_cmp_gt_i32_e32 vcc_lo, 32, v0
	v_cndmask_b32_e32 v0, v6, v0, vcc_lo
	v_cmp_gt_i32_e32 vcc_lo, 32, v1
	s_waitcnt lgkmcnt(0)
	v_lshlrev_b32_e32 v2, 2, v0
	v_cndmask_b32_e32 v1, v6, v1, vcc_lo
	s_waitcnt vmcnt(0)
	ds_bpermute_b32 v0, v2, v3
	v_max_f32_e32 v3, v3, v3
	v_lshlrev_b32_e32 v4, 2, v1
	s_waitcnt lgkmcnt(0)
	v_max_f32_e32 v0, v0, v0
	v_max_f32_e32 v0, v3, v0
	v_xor_b32_e32 v3, 4, v6
	ds_bpermute_b32 v1, v4, v0
	v_cmp_gt_i32_e32 vcc_lo, 32, v3
	v_cndmask_b32_e32 v3, v6, v3, vcc_lo
	v_lshlrev_b32_e32 v5, 2, v3
	v_xor_b32_e32 v3, 2, v6
	v_cmp_gt_i32_e32 vcc_lo, 32, v3
	s_waitcnt lgkmcnt(0)
	v_max_f32_e32 v1, v1, v1
	v_cndmask_b32_e32 v3, v6, v3, vcc_lo
	v_lshlrev_b32_e32 v6, 2, v114
	v_max_f32_e32 v0, v0, v1
	v_lshlrev_b32_e32 v25, 2, v3
	ds_bpermute_b32 v1, v5, v0
	s_waitcnt lgkmcnt(0)
	v_max_f32_e32 v1, v1, v1
	v_max_f32_e32 v1, v0, v1
	v_and_b32_e32 v0, 31, v113
	ds_bpermute_b32 v3, v25, v1
	v_cmp_eq_u32_e32 vcc_lo, 0, v0
	s_and_saveexec_b32 s1, vcc_lo
	s_cbranch_execz .LBB212_503
; %bb.502:
	s_waitcnt lgkmcnt(0)
	v_max_f32_e32 v3, v3, v3
	v_max_f32_e32 v1, v1, v1
	v_max_f32_e32 v1, v1, v3
	ds_write_b32 v6, v1 offset:480
.LBB212_503:
	s_or_b32 exec_lo, exec_lo, s1
	v_cmp_gt_u32_e64 s1, 4, v0
	v_mov_b32_e32 v1, 0xff7fffff
	v_lshlrev_b32_e32 v7, 2, v0
	s_waitcnt lgkmcnt(0)
	s_waitcnt_vscnt null, 0x0
	s_barrier
	buffer_gl0_inv
	s_and_saveexec_b32 s2, s1
; %bb.504:
	ds_read_b32 v1, v7 offset:480
; %bb.505:
	s_or_b32 exec_lo, exec_lo, s2
	s_waitcnt lgkmcnt(0)
	ds_bpermute_b32 v3, v25, v1
	v_mbcnt_lo_u32_b32 v9, -1, 0
	v_max_f32_e32 v1, v1, v1
	v_xor_b32_e32 v8, 1, v9
	v_cmp_gt_i32_e64 s2, 32, v8
	v_cndmask_b32_e64 v8, v9, v8, s2
	s_sub_i32 s2, s20, s44
	s_lshl_b32 s2, s2, 4
	s_waitcnt lgkmcnt(0)
	v_max_f32_e32 v3, v3, v3
	v_lshlrev_b32_e32 v26, 2, v8
	v_mov_b32_e32 v8, 0
	s_add_i32 s2, s2, s42
	s_min_i32 s2, s2, s31
	v_max_f32_e32 v1, v1, v3
	s_sub_i32 s4, s2, s42
	v_cmp_gt_i32_e64 s2, s4, v113
	ds_bpermute_b32 v3, v26, v1
	s_waitcnt lgkmcnt(0)
	v_max_f32_e32 v3, v3, v3
	v_max_f32_e32 v1, v1, v3
	v_lshl_add_u32 v3, v113, 2, 0x200
	ds_bpermute_b32 v1, v8, v1
	s_and_saveexec_b32 s5, s2
	s_cbranch_execz .LBB212_509
; %bb.506:
	v_lshl_add_u32 v9, v113, 2, 0x200
	v_mov_b32_e32 v8, 0
	v_mov_b32_e32 v10, v113
	s_mov_b32 s12, 0
	.p2align	6
.LBB212_507:                            ; =>This Inner Loop Header: Depth=1
	ds_read_b32 v11, v9
	v_add_nc_u32_e32 v10, 0x80, v10
	v_cmp_le_i32_e64 s3, s4, v10
	s_or_b32 s12, s3, s12
	s_waitcnt lgkmcnt(0)
	v_sub_f32_e32 v11, v11, v1
	v_mul_f32_e32 v11, 0x3fb8aa3b, v11
	v_exp_f32_e32 v11, v11
	ds_write_b32 v9, v11
	v_add_f32_e32 v8, v8, v11
	v_add_nc_u32_e32 v9, 0x200, v9
	s_andn2_b32 exec_lo, exec_lo, s12
	s_cbranch_execnz .LBB212_507
; %bb.508:
	s_or_b32 exec_lo, exec_lo, s12
.LBB212_509:
	s_or_b32 exec_lo, exec_lo, s5
	ds_bpermute_b32 v2, v2, v8
	s_waitcnt lgkmcnt(0)
	v_add_f32_e32 v2, v8, v2
	ds_bpermute_b32 v4, v4, v2
	s_waitcnt lgkmcnt(0)
	v_add_f32_e32 v2, v2, v4
	;; [unrolled: 3-line block ×5, first 2 shown]
	s_and_saveexec_b32 s3, vcc_lo
; %bb.510:
	ds_write_b32 v6, v2 offset:496
; %bb.511:
	s_or_b32 exec_lo, exec_lo, s3
	s_waitcnt lgkmcnt(0)
	s_barrier
	buffer_gl0_inv
	s_and_saveexec_b32 s3, s1
; %bb.512:
	ds_read_b32 v2, v7 offset:496
; %bb.513:
	s_or_b32 exec_lo, exec_lo, s3
	s_waitcnt lgkmcnt(0)
	ds_bpermute_b32 v4, v25, v2
	s_waitcnt lgkmcnt(0)
	v_add_f32_e32 v2, v2, v4
	ds_bpermute_b32 v4, v26, v2
	s_waitcnt lgkmcnt(0)
	v_add_f32_e32 v2, v2, v4
	v_mov_b32_e32 v4, 0
	ds_bpermute_b32 v2, v4, v2
	s_and_saveexec_b32 s1, s2
	s_cbranch_execz .LBB212_516
; %bb.514:
	s_waitcnt lgkmcnt(0)
	v_add_f32_e32 v4, 0x358637bd, v2
	s_mov_b32 s2, 0
	v_div_scale_f32 v5, null, v4, v4, 1.0
	v_div_scale_f32 v8, vcc_lo, 1.0, v4, 1.0
	v_rcp_f32_e32 v6, v5
	v_fma_f32 v7, -v5, v6, 1.0
	v_fmac_f32_e32 v6, v7, v6
	v_mul_f32_e32 v7, v8, v6
	v_fma_f32 v9, -v5, v7, v8
	v_fmac_f32_e32 v7, v9, v6
	v_fma_f32 v5, -v5, v7, v8
	v_div_fmas_f32 v5, v5, v6, v7
	v_div_fixup_f32 v4, v5, v4, 1.0
	v_mov_b32_e32 v5, v113
.LBB212_515:                            ; =>This Inner Loop Header: Depth=1
	ds_read_b32 v6, v3
	v_add_nc_u32_e32 v5, 0x80, v5
	v_cmp_le_i32_e32 vcc_lo, s4, v5
	s_or_b32 s2, vcc_lo, s2
	s_waitcnt lgkmcnt(0)
	v_mul_f32_e32 v6, v4, v6
	ds_write_b32 v3, v6
	v_add_nc_u32_e32 v3, 0x200, v3
	s_andn2_b32 exec_lo, exec_lo, s2
	s_cbranch_execnz .LBB212_515
.LBB212_516:
	s_or_b32 exec_lo, exec_lo, s1
	s_mul_i32 s1, s7, s30
	s_waitcnt lgkmcnt(0)
	s_mul_i32 s2, s1, s9
	s_mov_b32 s1, exec_lo
	s_barrier
	buffer_gl0_inv
	v_cmpx_eq_u32_e32 0, v113
	s_cbranch_execz .LBB212_518
; %bb.517:
	s_ashr_i32 s3, s2, 31
	s_mul_i32 s12, s7, s6
	s_lshl_b64 s[4:5], s[2:3], 2
	v_mov_b32_e32 v3, 0
	s_add_u32 s3, s26, s4
	s_addc_u32 s6, s27, s5
	s_ashr_i32 s13, s12, 31
	s_lshl_b64 s[12:13], s[12:13], 2
	s_add_u32 s3, s3, s12
	s_addc_u32 s6, s6, s13
	s_ashr_i32 s9, s8, 31
	s_lshl_b64 s[26:27], s[8:9], 2
	s_add_u32 s42, s3, s26
	s_addc_u32 s43, s6, s27
	s_add_u32 s3, s24, s4
	s_addc_u32 s4, s25, s5
	;; [unrolled: 2-line block ×4, first 2 shown]
	global_store_dword v3, v1, s[42:43]
	global_store_dword v3, v2, s[4:5]
.LBB212_518:
	s_or_b32 exec_lo, exec_lo, s1
	v_mov_b32_e32 v42, 0
	v_and_b32_e32 v27, 3, v113
	v_mov_b32_e32 v43, 0
	v_mov_b32_e32 v41, 0
	;; [unrolled: 1-line block ×14, first 2 shown]
	s_and_saveexec_b32 s1, s0
	s_cbranch_execz .LBB212_1034
; %bb.519:
	s_sub_i32 s3, s40, s21
	s_ashr_i32 s0, s18, 31
	s_add_u32 s5, s38, s18
	s_addc_u32 s0, s39, s0
	s_abs_i32 s4, s22
	v_and_b32_e32 v3, 0x7c, v12
	v_cvt_f32_u32_e32 v1, s4
	s_sub_i32 s6, 0, s4
	v_lshlrev_b32_e32 v5, 4, v27
	s_lshl_b64 s[12:13], s[36:37], 2
	v_add_co_u32 v11, s5, s5, v3
	v_rcp_iflag_f32_e32 v4, v1
	v_lshlrev_b64 v[1:2], 2, v[49:50]
	s_add_i32 s33, s33, -1
	v_lshl_or_b32 v5, v114, 6, v5
	v_and_b32_e32 v44, 12, v12
	v_add_co_ci_u32_e64 v12, null, s0, 0, s5
	s_add_u32 s0, s34, s12
	s_addc_u32 s5, s35, s13
	v_add_co_u32 v13, vcc_lo, s0, v1
	v_mul_f32_e32 v4, 0x4f7ffffe, v4
	v_mov_b32_e32 v6, 0
	v_mov_b32_e32 v45, 0x80
	v_bfrev_b32_e32 v8, 1
	v_mov_b32_e32 v46, 0xffff
	v_cvt_u32_f32_e32 v4, v4
	v_mov_b32_e32 v10, 0x7f800001
	v_mov_b32_e32 v47, 0xff
	;; [unrolled: 1-line block ×4, first 2 shown]
	v_mul_lo_u32 v7, s6, v4
	v_mov_b32_e32 v28, 0
	v_mov_b32_e32 v29, 0
	;; [unrolled: 1-line block ×7, first 2 shown]
	v_mul_hi_u32 v3, v4, v7
	v_add_co_ci_u32_e64 v14, null, s5, v2, vcc_lo
	v_add_nc_u32_e32 v51, 0x200, v5
	v_mov_b32_e32 v35, 0
	v_mov_b32_e32 v36, 0
	;; [unrolled: 1-line block ×4, first 2 shown]
	v_add_nc_u32_e32 v52, v4, v3
	v_mov_b32_e32 v39, 0
	v_mov_b32_e32 v41, 0
	;; [unrolled: 1-line block ×4, first 2 shown]
	s_mov_b32 s6, s17
	s_mov_b32 s5, 0
	s_branch .LBB212_522
.LBB212_520:                            ;   in Loop: Header=BB212_522 Depth=1
	s_or_b32 exec_lo, exec_lo, s0
	v_mul_f32_e32 v16, v1, v110
	v_mul_f32_e32 v17, v1, v108
	;; [unrolled: 1-line block ×5, first 2 shown]
	v_fmac_f32_e32 v16, v2, v109
	v_fmac_f32_e32 v17, v2, v107
	v_fmac_f32_e32 v18, v2, v103
	v_fmac_f32_e32 v19, v2, v99
	v_fmac_f32_e32 v20, v2, v95
	v_fmac_f32_e32 v16, v3, v24
	v_fmac_f32_e32 v17, v3, v106
	v_fmac_f32_e32 v18, v3, v102
	v_fmac_f32_e32 v19, v3, v98
	v_fmac_f32_e32 v20, v3, v94
	v_fmac_f32_e32 v16, v4, v23
	v_fmac_f32_e32 v17, v4, v105
	v_fmac_f32_e32 v18, v4, v101
	v_fmac_f32_e32 v19, v4, v97
	v_fmac_f32_e32 v20, v4, v93
	v_add_f32_e32 v29, v29, v16
	v_add_f32_e32 v30, v30, v17
	;; [unrolled: 1-line block ×4, first 2 shown]
	v_mul_f32_e32 v16, v1, v92
	v_mul_f32_e32 v17, v1, v88
	;; [unrolled: 1-line block ×4, first 2 shown]
	v_add_f32_e32 v33, v33, v20
	v_fmac_f32_e32 v16, v2, v91
	v_fmac_f32_e32 v17, v2, v87
	;; [unrolled: 1-line block ×4, first 2 shown]
	v_mul_f32_e32 v20, v1, v76
	v_fmac_f32_e32 v16, v3, v90
	v_fmac_f32_e32 v17, v3, v86
	;; [unrolled: 1-line block ×10, first 2 shown]
	v_add_f32_e32 v34, v34, v16
	v_add_f32_e32 v35, v35, v17
	;; [unrolled: 1-line block ×4, first 2 shown]
	v_mul_f32_e32 v16, v1, v72
	v_mul_f32_e32 v17, v1, v68
	v_mul_f32_e32 v18, v1, v64
	v_mul_f32_e32 v19, v1, v56
	v_mul_f32_e32 v1, v1, v15
	v_fmac_f32_e32 v16, v2, v71
	v_fmac_f32_e32 v17, v2, v67
	;; [unrolled: 1-line block ×16, first 2 shown]
	v_add_f32_e32 v38, v38, v20
	v_add_f32_e32 v39, v39, v16
	;; [unrolled: 1-line block ×6, first 2 shown]
.LBB212_521:                            ;   in Loop: Header=BB212_522 Depth=1
	s_or_b32 exec_lo, exec_lo, s9
	v_add_nc_u32_e32 v49, 4, v49
	v_add_co_u32 v13, s0, v13, 16
	v_add_co_ci_u32_e64 v14, null, 0, v14, s0
	v_cmp_le_i32_e32 vcc_lo, s20, v49
	v_add_nc_u32_e32 v40, 64, v40
	v_add_nc_u32_e32 v51, 0x100, v51
	s_or_b32 s5, vcc_lo, s5
	s_andn2_b32 exec_lo, exec_lo, s5
	s_cbranch_execz .LBB212_1033
.LBB212_522:                            ; =>This Inner Loop Header: Depth=1
	v_sub_nc_u32_e32 v1, 0, v40
	v_max_i32_e32 v1, v40, v1
	v_mul_hi_u32 v2, v1, s16
	v_mul_lo_u32 v3, v2, s11
	v_sub_nc_u32_e32 v1, v1, v3
	v_add_nc_u32_e32 v3, 1, v2
	v_subrev_nc_u32_e32 v4, s11, v1
	v_cmp_le_u32_e32 vcc_lo, s11, v1
	v_cndmask_b32_e32 v2, v2, v3, vcc_lo
	v_cndmask_b32_e32 v1, v1, v4, vcc_lo
	v_ashrrev_i32_e32 v3, 31, v40
	v_add_nc_u32_e32 v4, 1, v2
	v_cmp_le_u32_e32 vcc_lo, s11, v1
	v_xor_b32_e32 v3, s23, v3
	v_cndmask_b32_e32 v1, v2, v4, vcc_lo
	v_xor_b32_e32 v1, v1, v3
	v_sub_nc_u32_e32 v1, v1, v3
	v_add_nc_u32_e32 v2, s19, v1
	v_cmp_lt_i32_e64 s0, s3, v1
	v_sub_nc_u32_e32 v3, 0, v2
	v_max_i32_e32 v3, v2, v3
	v_ashrrev_i32_e32 v2, 31, v2
	v_mul_hi_u32 v4, v3, v52
	v_mul_lo_u32 v4, v4, s4
	v_sub_nc_u32_e32 v3, v3, v4
	v_subrev_nc_u32_e32 v4, s4, v3
	v_cmp_le_u32_e32 vcc_lo, s4, v3
	v_cndmask_b32_e32 v3, v3, v4, vcc_lo
	v_subrev_nc_u32_e32 v4, s4, v3
	v_cmp_le_u32_e32 vcc_lo, s4, v3
	v_cndmask_b32_e32 v3, v3, v4, vcc_lo
	v_xor_b32_e32 v3, v3, v2
	v_sub_nc_u32_e32 v2, v3, v2
	v_cmp_eq_u32_e32 vcc_lo, 0, v2
	s_or_b32 s0, vcc_lo, s0
	s_and_saveexec_b32 s9, s0
	s_cbranch_execz .LBB212_521
; %bb.523:                              ;   in Loop: Header=BB212_522 Depth=1
	global_load_dword v1, v[13:14], off
	s_load_dword s12, s[14:15], 0x0
	v_mov_b32_e32 v19, 0
	v_mov_b32_e32 v17, 0
	;; [unrolled: 1-line block ×4, first 2 shown]
	s_waitcnt vmcnt(0)
	v_mad_i64_i32 v[15:16], null, v1, s6, v[11:12]
	ds_read_b128 v[1:4], v51
	global_load_dword v53, v[15:16], off
	s_waitcnt vmcnt(0)
	v_cmp_ne_u16_sdwa s13, v53, v6 src0_sel:BYTE_0 src1_sel:DWORD
	s_and_saveexec_b32 s0, s13
	s_cbranch_execz .LBB212_531
; %bb.524:                              ;   in Loop: Header=BB212_522 Depth=1
	v_bfrev_b32_e32 v17, 1
	v_mov_b32_e32 v18, 0
	v_cmp_ne_u16_sdwa s17, v53, v45 src0_sel:BYTE_0 src1_sel:DWORD
	s_and_saveexec_b32 s13, s17
	s_cbranch_execz .LBB212_530
; %bb.525:                              ;   in Loop: Header=BB212_522 Depth=1
	v_mov_b32_e32 v17, 0x7f800001
	v_and_b32_e32 v9, 0x7f, v53
	v_mov_b32_e32 v18, 0
	s_mov_b32 s17, exec_lo
	v_cmpx_ne_u32_e32 0x7f, v9
	s_cbranch_execz .LBB212_529
; %bb.526:                              ;   in Loop: Header=BB212_522 Depth=1
	v_and_b32_e32 v5, 7, v53
	v_lshrrev_b32_e32 v7, 3, v9
	s_mov_b32 s18, exec_lo
	v_cmpx_gt_u32_e32 8, v9
; %bb.527:                              ;   in Loop: Header=BB212_522 Depth=1
	v_ffbh_u32_e32 v7, v5
	v_min_u32_e32 v7, 32, v7
	v_subrev_nc_u32_e32 v9, 28, v7
	v_sub_nc_u32_e32 v7, 29, v7
	v_lshlrev_b64 v[17:18], v9, v[5:6]
	v_and_b32_e32 v5, 7, v17
; %bb.528:                              ;   in Loop: Header=BB212_522 Depth=1
	s_or_b32 exec_lo, exec_lo, s18
	v_lshlrev_b32_e32 v9, 24, v53
	v_lshlrev_b32_e32 v5, 20, v5
	v_lshl_add_u32 v7, v7, 23, 0x3c000000
	v_and_b32_e32 v9, 0x80000000, v9
	v_or3_b32 v5, v5, v9, v7
	v_mov_b32_e32 v18, v6
	v_mov_b32_e32 v17, v5
.LBB212_529:                            ;   in Loop: Header=BB212_522 Depth=1
	s_or_b32 exec_lo, exec_lo, s17
.LBB212_530:                            ;   in Loop: Header=BB212_522 Depth=1
	s_or_b32 exec_lo, exec_lo, s13
.LBB212_531:                            ;   in Loop: Header=BB212_522 Depth=1
	s_or_b32 exec_lo, exec_lo, s0
	v_cmp_ne_u16_sdwa s13, v53, v6 src0_sel:BYTE_1 src1_sel:DWORD
	s_and_saveexec_b32 s0, s13
	s_cbranch_execz .LBB212_539
; %bb.532:                              ;   in Loop: Header=BB212_522 Depth=1
	v_mov_b32_e32 v7, v6
	v_mov_b32_e32 v20, v8
	v_cmp_ne_u16_sdwa s17, v53, v45 src0_sel:BYTE_1 src1_sel:DWORD
	v_mov_b32_e32 v19, v7
	s_and_saveexec_b32 s13, s17
	s_cbranch_execz .LBB212_538
; %bb.533:                              ;   in Loop: Header=BB212_522 Depth=1
	v_and_b32_sdwa v5, v46, v53 dst_sel:DWORD dst_unused:UNUSED_PAD src0_sel:DWORD src1_sel:BYTE_1
	v_mov_b32_e32 v9, v6
	v_mov_b32_e32 v20, v10
	s_mov_b32 s17, exec_lo
	v_and_b32_e32 v21, 0x7f, v5
	v_mov_b32_e32 v19, v9
	v_cmpx_ne_u32_e32 0x7f, v21
	s_cbranch_execz .LBB212_537
; %bb.534:                              ;   in Loop: Header=BB212_522 Depth=1
	v_and_b32_e32 v5, 7, v5
	v_lshrrev_b32_e32 v7, 3, v21
	s_mov_b32 s18, exec_lo
	v_cmpx_gt_u32_e32 8, v21
; %bb.535:                              ;   in Loop: Header=BB212_522 Depth=1
	v_ffbh_u32_e32 v7, v5
	v_min_u32_e32 v7, 32, v7
	v_subrev_nc_u32_e32 v9, 28, v7
	v_sub_nc_u32_e32 v7, 29, v7
	v_lshlrev_b64 v[19:20], v9, v[5:6]
	v_and_b32_e32 v5, 7, v19
; %bb.536:                              ;   in Loop: Header=BB212_522 Depth=1
	s_or_b32 exec_lo, exec_lo, s18
	v_lshlrev_b32_e32 v9, 16, v53
	v_lshlrev_b32_e32 v5, 20, v5
	v_lshl_add_u32 v7, v7, 23, 0x3c000000
	v_mov_b32_e32 v19, v6
	v_and_b32_e32 v9, 0x80000000, v9
	v_or3_b32 v20, v5, v9, v7
.LBB212_537:                            ;   in Loop: Header=BB212_522 Depth=1
	s_or_b32 exec_lo, exec_lo, s17
.LBB212_538:                            ;   in Loop: Header=BB212_522 Depth=1
	s_or_b32 exec_lo, exec_lo, s13
.LBB212_539:                            ;   in Loop: Header=BB212_522 Depth=1
	s_or_b32 exec_lo, exec_lo, s0
	v_mov_b32_e32 v23, 0
	v_mov_b32_e32 v21, 0
	v_and_b32_sdwa v5, v53, v47 dst_sel:DWORD dst_unused:UNUSED_PAD src0_sel:WORD_1 src1_sel:DWORD
	v_mov_b32_e32 v24, 0
	v_mov_b32_e32 v22, 0
	s_mov_b32 s0, exec_lo
	v_cmpx_ne_u16_e32 0, v5
	s_cbranch_execz .LBB212_547
; %bb.540:                              ;   in Loop: Header=BB212_522 Depth=1
	v_bfrev_b32_e32 v21, 1
	v_mov_b32_e32 v22, 0
	s_mov_b32 s13, exec_lo
	v_cmpx_ne_u16_e32 0x80, v5
	s_cbranch_execz .LBB212_546
; %bb.541:                              ;   in Loop: Header=BB212_522 Depth=1
	v_mov_b32_e32 v21, 0x7f800001
	v_bfe_u32 v9, v53, 16, 7
	v_mov_b32_e32 v22, 0
	s_mov_b32 s17, exec_lo
	v_cmpx_ne_u32_e32 0x7f, v9
	s_cbranch_execz .LBB212_545
; %bb.542:                              ;   in Loop: Header=BB212_522 Depth=1
	v_and_b32_sdwa v5, v53, v48 dst_sel:DWORD dst_unused:UNUSED_PAD src0_sel:WORD_1 src1_sel:DWORD
	v_lshrrev_b32_e32 v7, 3, v9
	s_mov_b32 s18, exec_lo
	v_cmpx_gt_u32_e32 8, v9
; %bb.543:                              ;   in Loop: Header=BB212_522 Depth=1
	v_ffbh_u32_e32 v7, v5
	v_min_u32_e32 v7, 32, v7
	v_subrev_nc_u32_e32 v9, 28, v7
	v_sub_nc_u32_e32 v7, 29, v7
	v_lshlrev_b64 v[21:22], v9, v[5:6]
	v_and_b32_e32 v5, 7, v21
; %bb.544:                              ;   in Loop: Header=BB212_522 Depth=1
	s_or_b32 exec_lo, exec_lo, s18
	v_lshlrev_b32_sdwa v9, v50, v53 dst_sel:DWORD dst_unused:UNUSED_PAD src0_sel:DWORD src1_sel:WORD_1
	v_lshlrev_b32_e32 v5, 20, v5
	v_lshl_add_u32 v7, v7, 23, 0x3c000000
	v_and_b32_e32 v9, 0x80000000, v9
	v_or3_b32 v5, v5, v9, v7
	v_mov_b32_e32 v22, v6
	v_mov_b32_e32 v21, v5
.LBB212_545:                            ;   in Loop: Header=BB212_522 Depth=1
	s_or_b32 exec_lo, exec_lo, s17
.LBB212_546:                            ;   in Loop: Header=BB212_522 Depth=1
	s_or_b32 exec_lo, exec_lo, s13
.LBB212_547:                            ;   in Loop: Header=BB212_522 Depth=1
	s_or_b32 exec_lo, exec_lo, s0
	s_mov_b32 s0, exec_lo
	v_cmpx_lt_u32_e32 0xffffff, v53
	s_cbranch_execz .LBB212_555
; %bb.548:                              ;   in Loop: Header=BB212_522 Depth=1
	v_mov_b32_e32 v7, v6
	v_mov_b32_e32 v24, v8
	v_cmp_ne_u32_sdwa s17, v53, v45 src0_sel:BYTE_3 src1_sel:DWORD
	v_mov_b32_e32 v23, v7
	s_and_saveexec_b32 s13, s17
	s_cbranch_execz .LBB212_554
; %bb.549:                              ;   in Loop: Header=BB212_522 Depth=1
	v_mov_b32_e32 v9, v6
	v_mov_b32_e32 v24, v10
	v_bfe_u32 v54, v53, 24, 7
	s_mov_b32 s17, exec_lo
	v_mov_b32_e32 v23, v9
	v_cmpx_ne_u32_e32 0x7f, v54
	s_cbranch_execz .LBB212_553
; %bb.550:                              ;   in Loop: Header=BB212_522 Depth=1
	v_and_b32_sdwa v5, v53, v48 dst_sel:DWORD dst_unused:UNUSED_PAD src0_sel:BYTE_3 src1_sel:DWORD
	v_lshrrev_b32_e32 v7, 3, v54
	s_mov_b32 s18, exec_lo
	v_cmpx_gt_u32_e32 8, v54
; %bb.551:                              ;   in Loop: Header=BB212_522 Depth=1
	v_ffbh_u32_e32 v7, v5
	v_min_u32_e32 v7, 32, v7
	v_subrev_nc_u32_e32 v9, 28, v7
	v_sub_nc_u32_e32 v7, 29, v7
	v_lshlrev_b64 v[23:24], v9, v[5:6]
	v_and_b32_e32 v5, 7, v23
; %bb.552:                              ;   in Loop: Header=BB212_522 Depth=1
	s_or_b32 exec_lo, exec_lo, s18
	v_lshlrev_b32_sdwa v9, v50, v53 dst_sel:DWORD dst_unused:UNUSED_PAD src0_sel:DWORD src1_sel:BYTE_3
	v_lshlrev_b32_e32 v5, 20, v5
	v_lshl_add_u32 v7, v7, 23, 0x3c000000
	v_mov_b32_e32 v23, v6
	v_and_b32_e32 v9, 0x80000000, v9
	v_or3_b32 v24, v5, v9, v7
.LBB212_553:                            ;   in Loop: Header=BB212_522 Depth=1
	s_or_b32 exec_lo, exec_lo, s17
.LBB212_554:                            ;   in Loop: Header=BB212_522 Depth=1
	s_or_b32 exec_lo, exec_lo, s13
.LBB212_555:                            ;   in Loop: Header=BB212_522 Depth=1
	s_or_b32 exec_lo, exec_lo, s0
	v_add_nc_u32_e32 v57, v44, v40
	v_or_b32_e32 v5, v20, v18
	v_or_b32_e32 v7, v19, v17
	;; [unrolled: 1-line block ×4, first 2 shown]
	v_cmp_eq_u32_e32 vcc_lo, s33, v49
	s_waitcnt lgkmcnt(0)
	v_mul_f32_e32 v55, s12, v5
	v_mul_f32_e32 v56, s12, v7
	;; [unrolled: 1-line block ×4, first 2 shown]
	v_add_nc_u32_e32 v60, 1, v57
	v_add_nc_u32_e32 v59, 2, v57
	;; [unrolled: 1-line block ×3, first 2 shown]
	s_and_saveexec_b32 s13, vcc_lo
	s_cbranch_execz .LBB212_557
; %bb.556:                              ;   in Loop: Header=BB212_522 Depth=1
	v_cmp_gt_i32_e64 s0, s31, v57
	v_cndmask_b32_e64 v56, 0, v56, s0
	v_cmp_gt_i32_e64 s0, s31, v60
	v_cndmask_b32_e64 v55, 0, v55, s0
	;; [unrolled: 2-line block ×4, first 2 shown]
.LBB212_557:                            ;   in Loop: Header=BB212_522 Depth=1
	s_or_b32 exec_lo, exec_lo, s13
	global_load_dword v61, v[15:16], off offset:128
	v_mov_b32_e32 v19, 0
	v_mov_b32_e32 v17, 0
	;; [unrolled: 1-line block ×4, first 2 shown]
	s_waitcnt vmcnt(0)
	v_cmp_ne_u16_sdwa s0, v61, v6 src0_sel:BYTE_0 src1_sel:DWORD
	s_and_saveexec_b32 s13, s0
	s_cbranch_execz .LBB212_565
; %bb.558:                              ;   in Loop: Header=BB212_522 Depth=1
	v_bfrev_b32_e32 v17, 1
	v_mov_b32_e32 v18, 0
	v_cmp_ne_u16_sdwa s0, v61, v45 src0_sel:BYTE_0 src1_sel:DWORD
	s_and_saveexec_b32 s17, s0
	s_cbranch_execz .LBB212_564
; %bb.559:                              ;   in Loop: Header=BB212_522 Depth=1
	v_mov_b32_e32 v17, 0x7f800001
	v_and_b32_e32 v9, 0x7f, v61
	v_mov_b32_e32 v18, 0
	s_mov_b32 s18, exec_lo
	v_cmpx_ne_u32_e32 0x7f, v9
	s_cbranch_execz .LBB212_563
; %bb.560:                              ;   in Loop: Header=BB212_522 Depth=1
	v_and_b32_e32 v5, 7, v61
	v_lshrrev_b32_e32 v7, 3, v9
	s_mov_b32 s21, exec_lo
	v_cmpx_gt_u32_e32 8, v9
; %bb.561:                              ;   in Loop: Header=BB212_522 Depth=1
	v_ffbh_u32_e32 v7, v5
	v_min_u32_e32 v7, 32, v7
	v_subrev_nc_u32_e32 v9, 28, v7
	v_sub_nc_u32_e32 v7, 29, v7
	v_lshlrev_b64 v[17:18], v9, v[5:6]
	v_and_b32_e32 v5, 7, v17
; %bb.562:                              ;   in Loop: Header=BB212_522 Depth=1
	s_or_b32 exec_lo, exec_lo, s21
	v_lshlrev_b32_e32 v9, 24, v61
	v_lshlrev_b32_e32 v5, 20, v5
	v_lshl_add_u32 v7, v7, 23, 0x3c000000
	v_and_b32_e32 v9, 0x80000000, v9
	v_or3_b32 v5, v5, v9, v7
	v_mov_b32_e32 v18, v6
	v_mov_b32_e32 v17, v5
.LBB212_563:                            ;   in Loop: Header=BB212_522 Depth=1
	s_or_b32 exec_lo, exec_lo, s18
.LBB212_564:                            ;   in Loop: Header=BB212_522 Depth=1
	s_or_b32 exec_lo, exec_lo, s17
.LBB212_565:                            ;   in Loop: Header=BB212_522 Depth=1
	s_or_b32 exec_lo, exec_lo, s13
	v_cmp_ne_u16_sdwa s0, v61, v6 src0_sel:BYTE_1 src1_sel:DWORD
	s_and_saveexec_b32 s13, s0
	s_cbranch_execz .LBB212_573
; %bb.566:                              ;   in Loop: Header=BB212_522 Depth=1
	v_mov_b32_e32 v7, v6
	v_mov_b32_e32 v20, v8
	v_cmp_ne_u16_sdwa s0, v61, v45 src0_sel:BYTE_1 src1_sel:DWORD
	v_mov_b32_e32 v19, v7
	s_and_saveexec_b32 s17, s0
	s_cbranch_execz .LBB212_572
; %bb.567:                              ;   in Loop: Header=BB212_522 Depth=1
	v_and_b32_sdwa v5, v46, v61 dst_sel:DWORD dst_unused:UNUSED_PAD src0_sel:DWORD src1_sel:BYTE_1
	v_mov_b32_e32 v9, v6
	v_mov_b32_e32 v20, v10
	s_mov_b32 s18, exec_lo
	v_and_b32_e32 v21, 0x7f, v5
	v_mov_b32_e32 v19, v9
	v_cmpx_ne_u32_e32 0x7f, v21
	s_cbranch_execz .LBB212_571
; %bb.568:                              ;   in Loop: Header=BB212_522 Depth=1
	v_and_b32_e32 v5, 7, v5
	v_lshrrev_b32_e32 v7, 3, v21
	s_mov_b32 s21, exec_lo
	v_cmpx_gt_u32_e32 8, v21
; %bb.569:                              ;   in Loop: Header=BB212_522 Depth=1
	v_ffbh_u32_e32 v7, v5
	v_min_u32_e32 v7, 32, v7
	v_subrev_nc_u32_e32 v9, 28, v7
	v_sub_nc_u32_e32 v7, 29, v7
	v_lshlrev_b64 v[19:20], v9, v[5:6]
	v_and_b32_e32 v5, 7, v19
; %bb.570:                              ;   in Loop: Header=BB212_522 Depth=1
	s_or_b32 exec_lo, exec_lo, s21
	v_lshlrev_b32_e32 v9, 16, v61
	v_lshlrev_b32_e32 v5, 20, v5
	v_lshl_add_u32 v7, v7, 23, 0x3c000000
	v_mov_b32_e32 v19, v6
	v_and_b32_e32 v9, 0x80000000, v9
	v_or3_b32 v20, v5, v9, v7
.LBB212_571:                            ;   in Loop: Header=BB212_522 Depth=1
	s_or_b32 exec_lo, exec_lo, s18
.LBB212_572:                            ;   in Loop: Header=BB212_522 Depth=1
	s_or_b32 exec_lo, exec_lo, s17
.LBB212_573:                            ;   in Loop: Header=BB212_522 Depth=1
	s_or_b32 exec_lo, exec_lo, s13
	v_mov_b32_e32 v23, 0
	v_mov_b32_e32 v21, 0
	v_and_b32_sdwa v5, v61, v47 dst_sel:DWORD dst_unused:UNUSED_PAD src0_sel:WORD_1 src1_sel:DWORD
	v_mov_b32_e32 v24, 0
	v_mov_b32_e32 v22, 0
	s_mov_b32 s13, exec_lo
	v_cmpx_ne_u16_e32 0, v5
	s_cbranch_execz .LBB212_581
; %bb.574:                              ;   in Loop: Header=BB212_522 Depth=1
	v_bfrev_b32_e32 v21, 1
	v_mov_b32_e32 v22, 0
	s_mov_b32 s17, exec_lo
	v_cmpx_ne_u16_e32 0x80, v5
	s_cbranch_execz .LBB212_580
; %bb.575:                              ;   in Loop: Header=BB212_522 Depth=1
	v_mov_b32_e32 v21, 0x7f800001
	v_bfe_u32 v9, v61, 16, 7
	v_mov_b32_e32 v22, 0
	s_mov_b32 s18, exec_lo
	v_cmpx_ne_u32_e32 0x7f, v9
	s_cbranch_execz .LBB212_579
; %bb.576:                              ;   in Loop: Header=BB212_522 Depth=1
	v_and_b32_sdwa v5, v61, v48 dst_sel:DWORD dst_unused:UNUSED_PAD src0_sel:WORD_1 src1_sel:DWORD
	v_lshrrev_b32_e32 v7, 3, v9
	s_mov_b32 s21, exec_lo
	v_cmpx_gt_u32_e32 8, v9
; %bb.577:                              ;   in Loop: Header=BB212_522 Depth=1
	v_ffbh_u32_e32 v7, v5
	v_min_u32_e32 v7, 32, v7
	v_subrev_nc_u32_e32 v9, 28, v7
	v_sub_nc_u32_e32 v7, 29, v7
	v_lshlrev_b64 v[21:22], v9, v[5:6]
	v_and_b32_e32 v5, 7, v21
; %bb.578:                              ;   in Loop: Header=BB212_522 Depth=1
	s_or_b32 exec_lo, exec_lo, s21
	v_lshlrev_b32_sdwa v9, v50, v61 dst_sel:DWORD dst_unused:UNUSED_PAD src0_sel:DWORD src1_sel:WORD_1
	v_lshlrev_b32_e32 v5, 20, v5
	v_lshl_add_u32 v7, v7, 23, 0x3c000000
	v_and_b32_e32 v9, 0x80000000, v9
	v_or3_b32 v5, v5, v9, v7
	v_mov_b32_e32 v22, v6
	v_mov_b32_e32 v21, v5
.LBB212_579:                            ;   in Loop: Header=BB212_522 Depth=1
	s_or_b32 exec_lo, exec_lo, s18
.LBB212_580:                            ;   in Loop: Header=BB212_522 Depth=1
	s_or_b32 exec_lo, exec_lo, s17
.LBB212_581:                            ;   in Loop: Header=BB212_522 Depth=1
	s_or_b32 exec_lo, exec_lo, s13
	s_mov_b32 s13, exec_lo
	v_cmpx_lt_u32_e32 0xffffff, v61
	s_cbranch_execz .LBB212_589
; %bb.582:                              ;   in Loop: Header=BB212_522 Depth=1
	v_mov_b32_e32 v7, v6
	v_mov_b32_e32 v24, v8
	v_cmp_ne_u32_sdwa s0, v61, v45 src0_sel:BYTE_3 src1_sel:DWORD
	v_mov_b32_e32 v23, v7
	s_and_saveexec_b32 s17, s0
	s_cbranch_execz .LBB212_588
; %bb.583:                              ;   in Loop: Header=BB212_522 Depth=1
	v_mov_b32_e32 v9, v6
	v_mov_b32_e32 v24, v10
	v_bfe_u32 v62, v61, 24, 7
	s_mov_b32 s18, exec_lo
	v_mov_b32_e32 v23, v9
	v_cmpx_ne_u32_e32 0x7f, v62
	s_cbranch_execz .LBB212_587
; %bb.584:                              ;   in Loop: Header=BB212_522 Depth=1
	v_and_b32_sdwa v5, v61, v48 dst_sel:DWORD dst_unused:UNUSED_PAD src0_sel:BYTE_3 src1_sel:DWORD
	v_lshrrev_b32_e32 v7, 3, v62
	s_mov_b32 s21, exec_lo
	v_cmpx_gt_u32_e32 8, v62
; %bb.585:                              ;   in Loop: Header=BB212_522 Depth=1
	v_ffbh_u32_e32 v7, v5
	v_min_u32_e32 v7, 32, v7
	v_subrev_nc_u32_e32 v9, 28, v7
	v_sub_nc_u32_e32 v7, 29, v7
	v_lshlrev_b64 v[23:24], v9, v[5:6]
	v_and_b32_e32 v5, 7, v23
; %bb.586:                              ;   in Loop: Header=BB212_522 Depth=1
	s_or_b32 exec_lo, exec_lo, s21
	v_lshlrev_b32_sdwa v9, v50, v61 dst_sel:DWORD dst_unused:UNUSED_PAD src0_sel:DWORD src1_sel:BYTE_3
	v_lshlrev_b32_e32 v5, 20, v5
	v_lshl_add_u32 v7, v7, 23, 0x3c000000
	v_mov_b32_e32 v23, v6
	v_and_b32_e32 v9, 0x80000000, v9
	v_or3_b32 v24, v5, v9, v7
.LBB212_587:                            ;   in Loop: Header=BB212_522 Depth=1
	s_or_b32 exec_lo, exec_lo, s18
.LBB212_588:                            ;   in Loop: Header=BB212_522 Depth=1
	s_or_b32 exec_lo, exec_lo, s17
.LBB212_589:                            ;   in Loop: Header=BB212_522 Depth=1
	s_or_b32 exec_lo, exec_lo, s13
	v_or_b32_e32 v5, v20, v18
	v_or_b32_e32 v7, v19, v17
	;; [unrolled: 1-line block ×4, first 2 shown]
	s_mov_b32 s13, s12
	v_mul_f32_e32 v63, s13, v5
	v_mul_f32_e32 v64, s12, v7
	;; [unrolled: 1-line block ×4, first 2 shown]
	s_and_saveexec_b32 s17, vcc_lo
	s_cbranch_execz .LBB212_591
; %bb.590:                              ;   in Loop: Header=BB212_522 Depth=1
	v_cmp_gt_i32_e64 s0, s31, v57
	v_cndmask_b32_e64 v64, 0, v64, s0
	v_cmp_gt_i32_e64 s0, s31, v60
	v_cndmask_b32_e64 v63, 0, v63, s0
	;; [unrolled: 2-line block ×4, first 2 shown]
.LBB212_591:                            ;   in Loop: Header=BB212_522 Depth=1
	s_or_b32 exec_lo, exec_lo, s17
	global_load_dword v65, v[15:16], off offset:256
	v_mov_b32_e32 v19, 0
	v_mov_b32_e32 v17, 0
	;; [unrolled: 1-line block ×4, first 2 shown]
	s_waitcnt vmcnt(0)
	v_cmp_ne_u16_sdwa s0, v65, v6 src0_sel:BYTE_0 src1_sel:DWORD
	s_and_saveexec_b32 s17, s0
	s_cbranch_execz .LBB212_599
; %bb.592:                              ;   in Loop: Header=BB212_522 Depth=1
	v_bfrev_b32_e32 v17, 1
	v_mov_b32_e32 v18, 0
	v_cmp_ne_u16_sdwa s0, v65, v45 src0_sel:BYTE_0 src1_sel:DWORD
	s_and_saveexec_b32 s18, s0
	s_cbranch_execz .LBB212_598
; %bb.593:                              ;   in Loop: Header=BB212_522 Depth=1
	v_mov_b32_e32 v17, 0x7f800001
	v_and_b32_e32 v9, 0x7f, v65
	v_mov_b32_e32 v18, 0
	s_mov_b32 s21, exec_lo
	v_cmpx_ne_u32_e32 0x7f, v9
	s_cbranch_execz .LBB212_597
; %bb.594:                              ;   in Loop: Header=BB212_522 Depth=1
	v_and_b32_e32 v5, 7, v65
	v_lshrrev_b32_e32 v7, 3, v9
	s_mov_b32 s22, exec_lo
	v_cmpx_gt_u32_e32 8, v9
; %bb.595:                              ;   in Loop: Header=BB212_522 Depth=1
	v_ffbh_u32_e32 v7, v5
	v_min_u32_e32 v7, 32, v7
	v_subrev_nc_u32_e32 v9, 28, v7
	v_sub_nc_u32_e32 v7, 29, v7
	v_lshlrev_b64 v[17:18], v9, v[5:6]
	v_and_b32_e32 v5, 7, v17
; %bb.596:                              ;   in Loop: Header=BB212_522 Depth=1
	s_or_b32 exec_lo, exec_lo, s22
	v_lshlrev_b32_e32 v9, 24, v65
	v_lshlrev_b32_e32 v5, 20, v5
	v_lshl_add_u32 v7, v7, 23, 0x3c000000
	v_and_b32_e32 v9, 0x80000000, v9
	v_or3_b32 v5, v5, v9, v7
	v_mov_b32_e32 v18, v6
	v_mov_b32_e32 v17, v5
.LBB212_597:                            ;   in Loop: Header=BB212_522 Depth=1
	s_or_b32 exec_lo, exec_lo, s21
.LBB212_598:                            ;   in Loop: Header=BB212_522 Depth=1
	s_or_b32 exec_lo, exec_lo, s18
.LBB212_599:                            ;   in Loop: Header=BB212_522 Depth=1
	s_or_b32 exec_lo, exec_lo, s17
	v_cmp_ne_u16_sdwa s0, v65, v6 src0_sel:BYTE_1 src1_sel:DWORD
	s_and_saveexec_b32 s17, s0
	s_cbranch_execz .LBB212_607
; %bb.600:                              ;   in Loop: Header=BB212_522 Depth=1
	v_mov_b32_e32 v7, v6
	v_mov_b32_e32 v20, v8
	v_cmp_ne_u16_sdwa s0, v65, v45 src0_sel:BYTE_1 src1_sel:DWORD
	v_mov_b32_e32 v19, v7
	s_and_saveexec_b32 s18, s0
	s_cbranch_execz .LBB212_606
; %bb.601:                              ;   in Loop: Header=BB212_522 Depth=1
	v_and_b32_sdwa v5, v46, v65 dst_sel:DWORD dst_unused:UNUSED_PAD src0_sel:DWORD src1_sel:BYTE_1
	v_mov_b32_e32 v9, v6
	v_mov_b32_e32 v20, v10
	s_mov_b32 s21, exec_lo
	v_and_b32_e32 v21, 0x7f, v5
	v_mov_b32_e32 v19, v9
	v_cmpx_ne_u32_e32 0x7f, v21
	s_cbranch_execz .LBB212_605
; %bb.602:                              ;   in Loop: Header=BB212_522 Depth=1
	v_and_b32_e32 v5, 7, v5
	v_lshrrev_b32_e32 v7, 3, v21
	s_mov_b32 s22, exec_lo
	v_cmpx_gt_u32_e32 8, v21
; %bb.603:                              ;   in Loop: Header=BB212_522 Depth=1
	v_ffbh_u32_e32 v7, v5
	v_min_u32_e32 v7, 32, v7
	v_subrev_nc_u32_e32 v9, 28, v7
	v_sub_nc_u32_e32 v7, 29, v7
	v_lshlrev_b64 v[19:20], v9, v[5:6]
	v_and_b32_e32 v5, 7, v19
; %bb.604:                              ;   in Loop: Header=BB212_522 Depth=1
	s_or_b32 exec_lo, exec_lo, s22
	v_lshlrev_b32_e32 v9, 16, v65
	v_lshlrev_b32_e32 v5, 20, v5
	v_lshl_add_u32 v7, v7, 23, 0x3c000000
	v_mov_b32_e32 v19, v6
	v_and_b32_e32 v9, 0x80000000, v9
	v_or3_b32 v20, v5, v9, v7
.LBB212_605:                            ;   in Loop: Header=BB212_522 Depth=1
	s_or_b32 exec_lo, exec_lo, s21
.LBB212_606:                            ;   in Loop: Header=BB212_522 Depth=1
	s_or_b32 exec_lo, exec_lo, s18
.LBB212_607:                            ;   in Loop: Header=BB212_522 Depth=1
	s_or_b32 exec_lo, exec_lo, s17
	v_mov_b32_e32 v23, 0
	v_mov_b32_e32 v21, 0
	v_and_b32_sdwa v5, v65, v47 dst_sel:DWORD dst_unused:UNUSED_PAD src0_sel:WORD_1 src1_sel:DWORD
	v_mov_b32_e32 v24, 0
	v_mov_b32_e32 v22, 0
	s_mov_b32 s17, exec_lo
	v_cmpx_ne_u16_e32 0, v5
	s_cbranch_execz .LBB212_615
; %bb.608:                              ;   in Loop: Header=BB212_522 Depth=1
	v_bfrev_b32_e32 v21, 1
	v_mov_b32_e32 v22, 0
	s_mov_b32 s18, exec_lo
	v_cmpx_ne_u16_e32 0x80, v5
	s_cbranch_execz .LBB212_614
; %bb.609:                              ;   in Loop: Header=BB212_522 Depth=1
	v_mov_b32_e32 v21, 0x7f800001
	v_bfe_u32 v9, v65, 16, 7
	v_mov_b32_e32 v22, 0
	s_mov_b32 s21, exec_lo
	v_cmpx_ne_u32_e32 0x7f, v9
	s_cbranch_execz .LBB212_613
; %bb.610:                              ;   in Loop: Header=BB212_522 Depth=1
	v_and_b32_sdwa v5, v65, v48 dst_sel:DWORD dst_unused:UNUSED_PAD src0_sel:WORD_1 src1_sel:DWORD
	v_lshrrev_b32_e32 v7, 3, v9
	s_mov_b32 s22, exec_lo
	v_cmpx_gt_u32_e32 8, v9
; %bb.611:                              ;   in Loop: Header=BB212_522 Depth=1
	v_ffbh_u32_e32 v7, v5
	v_min_u32_e32 v7, 32, v7
	v_subrev_nc_u32_e32 v9, 28, v7
	v_sub_nc_u32_e32 v7, 29, v7
	v_lshlrev_b64 v[21:22], v9, v[5:6]
	v_and_b32_e32 v5, 7, v21
; %bb.612:                              ;   in Loop: Header=BB212_522 Depth=1
	s_or_b32 exec_lo, exec_lo, s22
	v_lshlrev_b32_sdwa v9, v50, v65 dst_sel:DWORD dst_unused:UNUSED_PAD src0_sel:DWORD src1_sel:WORD_1
	v_lshlrev_b32_e32 v5, 20, v5
	v_lshl_add_u32 v7, v7, 23, 0x3c000000
	v_and_b32_e32 v9, 0x80000000, v9
	v_or3_b32 v5, v5, v9, v7
	v_mov_b32_e32 v22, v6
	v_mov_b32_e32 v21, v5
.LBB212_613:                            ;   in Loop: Header=BB212_522 Depth=1
	s_or_b32 exec_lo, exec_lo, s21
.LBB212_614:                            ;   in Loop: Header=BB212_522 Depth=1
	s_or_b32 exec_lo, exec_lo, s18
.LBB212_615:                            ;   in Loop: Header=BB212_522 Depth=1
	s_or_b32 exec_lo, exec_lo, s17
	s_mov_b32 s17, exec_lo
	v_cmpx_lt_u32_e32 0xffffff, v65
	s_cbranch_execz .LBB212_623
; %bb.616:                              ;   in Loop: Header=BB212_522 Depth=1
	v_mov_b32_e32 v7, v6
	v_mov_b32_e32 v24, v8
	v_cmp_ne_u32_sdwa s0, v65, v45 src0_sel:BYTE_3 src1_sel:DWORD
	v_mov_b32_e32 v23, v7
	s_and_saveexec_b32 s18, s0
	s_cbranch_execz .LBB212_622
; %bb.617:                              ;   in Loop: Header=BB212_522 Depth=1
	v_mov_b32_e32 v9, v6
	v_mov_b32_e32 v24, v10
	v_bfe_u32 v66, v65, 24, 7
	s_mov_b32 s21, exec_lo
	v_mov_b32_e32 v23, v9
	v_cmpx_ne_u32_e32 0x7f, v66
	s_cbranch_execz .LBB212_621
; %bb.618:                              ;   in Loop: Header=BB212_522 Depth=1
	v_and_b32_sdwa v5, v65, v48 dst_sel:DWORD dst_unused:UNUSED_PAD src0_sel:BYTE_3 src1_sel:DWORD
	v_lshrrev_b32_e32 v7, 3, v66
	s_mov_b32 s22, exec_lo
	v_cmpx_gt_u32_e32 8, v66
; %bb.619:                              ;   in Loop: Header=BB212_522 Depth=1
	v_ffbh_u32_e32 v7, v5
	v_min_u32_e32 v7, 32, v7
	v_subrev_nc_u32_e32 v9, 28, v7
	v_sub_nc_u32_e32 v7, 29, v7
	v_lshlrev_b64 v[23:24], v9, v[5:6]
	v_and_b32_e32 v5, 7, v23
; %bb.620:                              ;   in Loop: Header=BB212_522 Depth=1
	s_or_b32 exec_lo, exec_lo, s22
	v_lshlrev_b32_sdwa v9, v50, v65 dst_sel:DWORD dst_unused:UNUSED_PAD src0_sel:DWORD src1_sel:BYTE_3
	v_lshlrev_b32_e32 v5, 20, v5
	v_lshl_add_u32 v7, v7, 23, 0x3c000000
	v_mov_b32_e32 v23, v6
	v_and_b32_e32 v9, 0x80000000, v9
	v_or3_b32 v24, v5, v9, v7
.LBB212_621:                            ;   in Loop: Header=BB212_522 Depth=1
	s_or_b32 exec_lo, exec_lo, s21
.LBB212_622:                            ;   in Loop: Header=BB212_522 Depth=1
	s_or_b32 exec_lo, exec_lo, s18
.LBB212_623:                            ;   in Loop: Header=BB212_522 Depth=1
	s_or_b32 exec_lo, exec_lo, s17
	v_or_b32_e32 v5, v20, v18
	v_or_b32_e32 v7, v19, v17
	;; [unrolled: 1-line block ×4, first 2 shown]
	v_mul_f32_e32 v67, s13, v5
	v_mul_f32_e32 v68, s12, v7
	;; [unrolled: 1-line block ×4, first 2 shown]
	s_and_saveexec_b32 s17, vcc_lo
	s_cbranch_execz .LBB212_625
; %bb.624:                              ;   in Loop: Header=BB212_522 Depth=1
	v_cmp_gt_i32_e64 s0, s31, v57
	v_cndmask_b32_e64 v68, 0, v68, s0
	v_cmp_gt_i32_e64 s0, s31, v60
	v_cndmask_b32_e64 v67, 0, v67, s0
	;; [unrolled: 2-line block ×4, first 2 shown]
.LBB212_625:                            ;   in Loop: Header=BB212_522 Depth=1
	s_or_b32 exec_lo, exec_lo, s17
	global_load_dword v69, v[15:16], off offset:384
	v_mov_b32_e32 v19, 0
	v_mov_b32_e32 v17, 0
	;; [unrolled: 1-line block ×4, first 2 shown]
	s_waitcnt vmcnt(0)
	v_cmp_ne_u16_sdwa s0, v69, v6 src0_sel:BYTE_0 src1_sel:DWORD
	s_and_saveexec_b32 s17, s0
	s_cbranch_execz .LBB212_633
; %bb.626:                              ;   in Loop: Header=BB212_522 Depth=1
	v_bfrev_b32_e32 v17, 1
	v_mov_b32_e32 v18, 0
	v_cmp_ne_u16_sdwa s0, v69, v45 src0_sel:BYTE_0 src1_sel:DWORD
	s_and_saveexec_b32 s18, s0
	s_cbranch_execz .LBB212_632
; %bb.627:                              ;   in Loop: Header=BB212_522 Depth=1
	v_mov_b32_e32 v17, 0x7f800001
	v_and_b32_e32 v9, 0x7f, v69
	v_mov_b32_e32 v18, 0
	s_mov_b32 s21, exec_lo
	v_cmpx_ne_u32_e32 0x7f, v9
	s_cbranch_execz .LBB212_631
; %bb.628:                              ;   in Loop: Header=BB212_522 Depth=1
	v_and_b32_e32 v5, 7, v69
	v_lshrrev_b32_e32 v7, 3, v9
	s_mov_b32 s22, exec_lo
	v_cmpx_gt_u32_e32 8, v9
; %bb.629:                              ;   in Loop: Header=BB212_522 Depth=1
	v_ffbh_u32_e32 v7, v5
	v_min_u32_e32 v7, 32, v7
	v_subrev_nc_u32_e32 v9, 28, v7
	v_sub_nc_u32_e32 v7, 29, v7
	v_lshlrev_b64 v[17:18], v9, v[5:6]
	v_and_b32_e32 v5, 7, v17
; %bb.630:                              ;   in Loop: Header=BB212_522 Depth=1
	s_or_b32 exec_lo, exec_lo, s22
	v_lshlrev_b32_e32 v9, 24, v69
	v_lshlrev_b32_e32 v5, 20, v5
	v_lshl_add_u32 v7, v7, 23, 0x3c000000
	v_and_b32_e32 v9, 0x80000000, v9
	v_or3_b32 v5, v5, v9, v7
	v_mov_b32_e32 v18, v6
	v_mov_b32_e32 v17, v5
.LBB212_631:                            ;   in Loop: Header=BB212_522 Depth=1
	s_or_b32 exec_lo, exec_lo, s21
.LBB212_632:                            ;   in Loop: Header=BB212_522 Depth=1
	s_or_b32 exec_lo, exec_lo, s18
.LBB212_633:                            ;   in Loop: Header=BB212_522 Depth=1
	s_or_b32 exec_lo, exec_lo, s17
	v_cmp_ne_u16_sdwa s0, v69, v6 src0_sel:BYTE_1 src1_sel:DWORD
	s_and_saveexec_b32 s17, s0
	s_cbranch_execz .LBB212_641
; %bb.634:                              ;   in Loop: Header=BB212_522 Depth=1
	v_mov_b32_e32 v7, v6
	v_mov_b32_e32 v20, v8
	v_cmp_ne_u16_sdwa s0, v69, v45 src0_sel:BYTE_1 src1_sel:DWORD
	v_mov_b32_e32 v19, v7
	s_and_saveexec_b32 s18, s0
	s_cbranch_execz .LBB212_640
; %bb.635:                              ;   in Loop: Header=BB212_522 Depth=1
	v_and_b32_sdwa v5, v46, v69 dst_sel:DWORD dst_unused:UNUSED_PAD src0_sel:DWORD src1_sel:BYTE_1
	v_mov_b32_e32 v9, v6
	v_mov_b32_e32 v20, v10
	s_mov_b32 s21, exec_lo
	v_and_b32_e32 v21, 0x7f, v5
	v_mov_b32_e32 v19, v9
	v_cmpx_ne_u32_e32 0x7f, v21
	s_cbranch_execz .LBB212_639
; %bb.636:                              ;   in Loop: Header=BB212_522 Depth=1
	v_and_b32_e32 v5, 7, v5
	v_lshrrev_b32_e32 v7, 3, v21
	s_mov_b32 s22, exec_lo
	v_cmpx_gt_u32_e32 8, v21
; %bb.637:                              ;   in Loop: Header=BB212_522 Depth=1
	v_ffbh_u32_e32 v7, v5
	v_min_u32_e32 v7, 32, v7
	v_subrev_nc_u32_e32 v9, 28, v7
	v_sub_nc_u32_e32 v7, 29, v7
	v_lshlrev_b64 v[19:20], v9, v[5:6]
	v_and_b32_e32 v5, 7, v19
; %bb.638:                              ;   in Loop: Header=BB212_522 Depth=1
	s_or_b32 exec_lo, exec_lo, s22
	v_lshlrev_b32_e32 v9, 16, v69
	v_lshlrev_b32_e32 v5, 20, v5
	v_lshl_add_u32 v7, v7, 23, 0x3c000000
	v_mov_b32_e32 v19, v6
	v_and_b32_e32 v9, 0x80000000, v9
	v_or3_b32 v20, v5, v9, v7
.LBB212_639:                            ;   in Loop: Header=BB212_522 Depth=1
	s_or_b32 exec_lo, exec_lo, s21
.LBB212_640:                            ;   in Loop: Header=BB212_522 Depth=1
	s_or_b32 exec_lo, exec_lo, s18
.LBB212_641:                            ;   in Loop: Header=BB212_522 Depth=1
	s_or_b32 exec_lo, exec_lo, s17
	v_mov_b32_e32 v23, 0
	v_mov_b32_e32 v21, 0
	v_and_b32_sdwa v5, v69, v47 dst_sel:DWORD dst_unused:UNUSED_PAD src0_sel:WORD_1 src1_sel:DWORD
	v_mov_b32_e32 v24, 0
	v_mov_b32_e32 v22, 0
	s_mov_b32 s17, exec_lo
	v_cmpx_ne_u16_e32 0, v5
	s_cbranch_execz .LBB212_649
; %bb.642:                              ;   in Loop: Header=BB212_522 Depth=1
	v_bfrev_b32_e32 v21, 1
	v_mov_b32_e32 v22, 0
	s_mov_b32 s18, exec_lo
	v_cmpx_ne_u16_e32 0x80, v5
	s_cbranch_execz .LBB212_648
; %bb.643:                              ;   in Loop: Header=BB212_522 Depth=1
	v_mov_b32_e32 v21, 0x7f800001
	v_bfe_u32 v9, v69, 16, 7
	v_mov_b32_e32 v22, 0
	s_mov_b32 s21, exec_lo
	v_cmpx_ne_u32_e32 0x7f, v9
	s_cbranch_execz .LBB212_647
; %bb.644:                              ;   in Loop: Header=BB212_522 Depth=1
	v_and_b32_sdwa v5, v69, v48 dst_sel:DWORD dst_unused:UNUSED_PAD src0_sel:WORD_1 src1_sel:DWORD
	v_lshrrev_b32_e32 v7, 3, v9
	s_mov_b32 s22, exec_lo
	v_cmpx_gt_u32_e32 8, v9
; %bb.645:                              ;   in Loop: Header=BB212_522 Depth=1
	v_ffbh_u32_e32 v7, v5
	v_min_u32_e32 v7, 32, v7
	v_subrev_nc_u32_e32 v9, 28, v7
	v_sub_nc_u32_e32 v7, 29, v7
	v_lshlrev_b64 v[21:22], v9, v[5:6]
	v_and_b32_e32 v5, 7, v21
; %bb.646:                              ;   in Loop: Header=BB212_522 Depth=1
	s_or_b32 exec_lo, exec_lo, s22
	v_lshlrev_b32_sdwa v9, v50, v69 dst_sel:DWORD dst_unused:UNUSED_PAD src0_sel:DWORD src1_sel:WORD_1
	v_lshlrev_b32_e32 v5, 20, v5
	v_lshl_add_u32 v7, v7, 23, 0x3c000000
	v_and_b32_e32 v9, 0x80000000, v9
	v_or3_b32 v5, v5, v9, v7
	v_mov_b32_e32 v22, v6
	v_mov_b32_e32 v21, v5
.LBB212_647:                            ;   in Loop: Header=BB212_522 Depth=1
	s_or_b32 exec_lo, exec_lo, s21
.LBB212_648:                            ;   in Loop: Header=BB212_522 Depth=1
	s_or_b32 exec_lo, exec_lo, s18
.LBB212_649:                            ;   in Loop: Header=BB212_522 Depth=1
	s_or_b32 exec_lo, exec_lo, s17
	s_mov_b32 s17, exec_lo
	v_cmpx_lt_u32_e32 0xffffff, v69
	s_cbranch_execz .LBB212_657
; %bb.650:                              ;   in Loop: Header=BB212_522 Depth=1
	v_mov_b32_e32 v7, v6
	v_mov_b32_e32 v24, v8
	v_cmp_ne_u32_sdwa s0, v69, v45 src0_sel:BYTE_3 src1_sel:DWORD
	v_mov_b32_e32 v23, v7
	s_and_saveexec_b32 s18, s0
	s_cbranch_execz .LBB212_656
; %bb.651:                              ;   in Loop: Header=BB212_522 Depth=1
	v_mov_b32_e32 v9, v6
	v_mov_b32_e32 v24, v10
	v_bfe_u32 v70, v69, 24, 7
	s_mov_b32 s21, exec_lo
	v_mov_b32_e32 v23, v9
	v_cmpx_ne_u32_e32 0x7f, v70
	s_cbranch_execz .LBB212_655
; %bb.652:                              ;   in Loop: Header=BB212_522 Depth=1
	v_and_b32_sdwa v5, v69, v48 dst_sel:DWORD dst_unused:UNUSED_PAD src0_sel:BYTE_3 src1_sel:DWORD
	v_lshrrev_b32_e32 v7, 3, v70
	s_mov_b32 s22, exec_lo
	v_cmpx_gt_u32_e32 8, v70
; %bb.653:                              ;   in Loop: Header=BB212_522 Depth=1
	v_ffbh_u32_e32 v7, v5
	v_min_u32_e32 v7, 32, v7
	v_subrev_nc_u32_e32 v9, 28, v7
	v_sub_nc_u32_e32 v7, 29, v7
	v_lshlrev_b64 v[23:24], v9, v[5:6]
	v_and_b32_e32 v5, 7, v23
; %bb.654:                              ;   in Loop: Header=BB212_522 Depth=1
	s_or_b32 exec_lo, exec_lo, s22
	v_lshlrev_b32_sdwa v9, v50, v69 dst_sel:DWORD dst_unused:UNUSED_PAD src0_sel:DWORD src1_sel:BYTE_3
	v_lshlrev_b32_e32 v5, 20, v5
	v_lshl_add_u32 v7, v7, 23, 0x3c000000
	v_mov_b32_e32 v23, v6
	v_and_b32_e32 v9, 0x80000000, v9
	v_or3_b32 v24, v5, v9, v7
.LBB212_655:                            ;   in Loop: Header=BB212_522 Depth=1
	s_or_b32 exec_lo, exec_lo, s21
.LBB212_656:                            ;   in Loop: Header=BB212_522 Depth=1
	s_or_b32 exec_lo, exec_lo, s18
.LBB212_657:                            ;   in Loop: Header=BB212_522 Depth=1
	s_or_b32 exec_lo, exec_lo, s17
	v_or_b32_e32 v5, v20, v18
	v_or_b32_e32 v7, v19, v17
	v_or_b32_e32 v9, v23, v21
	v_or_b32_e32 v17, v24, v22
	v_mul_f32_e32 v71, s13, v5
	v_mul_f32_e32 v72, s12, v7
	;; [unrolled: 1-line block ×4, first 2 shown]
	s_and_saveexec_b32 s17, vcc_lo
	s_cbranch_execz .LBB212_659
; %bb.658:                              ;   in Loop: Header=BB212_522 Depth=1
	v_cmp_gt_i32_e64 s0, s31, v57
	v_cndmask_b32_e64 v72, 0, v72, s0
	v_cmp_gt_i32_e64 s0, s31, v60
	v_cndmask_b32_e64 v71, 0, v71, s0
	;; [unrolled: 2-line block ×4, first 2 shown]
.LBB212_659:                            ;   in Loop: Header=BB212_522 Depth=1
	s_or_b32 exec_lo, exec_lo, s17
	global_load_dword v73, v[15:16], off offset:512
	v_mov_b32_e32 v19, 0
	v_mov_b32_e32 v17, 0
	;; [unrolled: 1-line block ×4, first 2 shown]
	s_waitcnt vmcnt(0)
	v_cmp_ne_u16_sdwa s0, v73, v6 src0_sel:BYTE_0 src1_sel:DWORD
	s_and_saveexec_b32 s17, s0
	s_cbranch_execz .LBB212_667
; %bb.660:                              ;   in Loop: Header=BB212_522 Depth=1
	v_bfrev_b32_e32 v17, 1
	v_mov_b32_e32 v18, 0
	v_cmp_ne_u16_sdwa s0, v73, v45 src0_sel:BYTE_0 src1_sel:DWORD
	s_and_saveexec_b32 s18, s0
	s_cbranch_execz .LBB212_666
; %bb.661:                              ;   in Loop: Header=BB212_522 Depth=1
	v_mov_b32_e32 v17, 0x7f800001
	v_and_b32_e32 v9, 0x7f, v73
	v_mov_b32_e32 v18, 0
	s_mov_b32 s21, exec_lo
	v_cmpx_ne_u32_e32 0x7f, v9
	s_cbranch_execz .LBB212_665
; %bb.662:                              ;   in Loop: Header=BB212_522 Depth=1
	v_and_b32_e32 v5, 7, v73
	v_lshrrev_b32_e32 v7, 3, v9
	s_mov_b32 s22, exec_lo
	v_cmpx_gt_u32_e32 8, v9
; %bb.663:                              ;   in Loop: Header=BB212_522 Depth=1
	v_ffbh_u32_e32 v7, v5
	v_min_u32_e32 v7, 32, v7
	v_subrev_nc_u32_e32 v9, 28, v7
	v_sub_nc_u32_e32 v7, 29, v7
	v_lshlrev_b64 v[17:18], v9, v[5:6]
	v_and_b32_e32 v5, 7, v17
; %bb.664:                              ;   in Loop: Header=BB212_522 Depth=1
	s_or_b32 exec_lo, exec_lo, s22
	v_lshlrev_b32_e32 v9, 24, v73
	v_lshlrev_b32_e32 v5, 20, v5
	v_lshl_add_u32 v7, v7, 23, 0x3c000000
	v_and_b32_e32 v9, 0x80000000, v9
	v_or3_b32 v5, v5, v9, v7
	v_mov_b32_e32 v18, v6
	v_mov_b32_e32 v17, v5
.LBB212_665:                            ;   in Loop: Header=BB212_522 Depth=1
	s_or_b32 exec_lo, exec_lo, s21
.LBB212_666:                            ;   in Loop: Header=BB212_522 Depth=1
	s_or_b32 exec_lo, exec_lo, s18
.LBB212_667:                            ;   in Loop: Header=BB212_522 Depth=1
	s_or_b32 exec_lo, exec_lo, s17
	v_cmp_ne_u16_sdwa s0, v73, v6 src0_sel:BYTE_1 src1_sel:DWORD
	s_and_saveexec_b32 s17, s0
	s_cbranch_execz .LBB212_675
; %bb.668:                              ;   in Loop: Header=BB212_522 Depth=1
	v_mov_b32_e32 v7, v6
	v_mov_b32_e32 v20, v8
	v_cmp_ne_u16_sdwa s0, v73, v45 src0_sel:BYTE_1 src1_sel:DWORD
	v_mov_b32_e32 v19, v7
	s_and_saveexec_b32 s18, s0
	s_cbranch_execz .LBB212_674
; %bb.669:                              ;   in Loop: Header=BB212_522 Depth=1
	v_and_b32_sdwa v5, v46, v73 dst_sel:DWORD dst_unused:UNUSED_PAD src0_sel:DWORD src1_sel:BYTE_1
	v_mov_b32_e32 v9, v6
	v_mov_b32_e32 v20, v10
	s_mov_b32 s21, exec_lo
	v_and_b32_e32 v21, 0x7f, v5
	v_mov_b32_e32 v19, v9
	v_cmpx_ne_u32_e32 0x7f, v21
	s_cbranch_execz .LBB212_673
; %bb.670:                              ;   in Loop: Header=BB212_522 Depth=1
	v_and_b32_e32 v5, 7, v5
	v_lshrrev_b32_e32 v7, 3, v21
	s_mov_b32 s22, exec_lo
	v_cmpx_gt_u32_e32 8, v21
; %bb.671:                              ;   in Loop: Header=BB212_522 Depth=1
	v_ffbh_u32_e32 v7, v5
	v_min_u32_e32 v7, 32, v7
	v_subrev_nc_u32_e32 v9, 28, v7
	v_sub_nc_u32_e32 v7, 29, v7
	v_lshlrev_b64 v[19:20], v9, v[5:6]
	v_and_b32_e32 v5, 7, v19
; %bb.672:                              ;   in Loop: Header=BB212_522 Depth=1
	s_or_b32 exec_lo, exec_lo, s22
	v_lshlrev_b32_e32 v9, 16, v73
	v_lshlrev_b32_e32 v5, 20, v5
	v_lshl_add_u32 v7, v7, 23, 0x3c000000
	v_mov_b32_e32 v19, v6
	v_and_b32_e32 v9, 0x80000000, v9
	v_or3_b32 v20, v5, v9, v7
.LBB212_673:                            ;   in Loop: Header=BB212_522 Depth=1
	s_or_b32 exec_lo, exec_lo, s21
.LBB212_674:                            ;   in Loop: Header=BB212_522 Depth=1
	s_or_b32 exec_lo, exec_lo, s18
.LBB212_675:                            ;   in Loop: Header=BB212_522 Depth=1
	s_or_b32 exec_lo, exec_lo, s17
	v_mov_b32_e32 v23, 0
	v_mov_b32_e32 v21, 0
	v_and_b32_sdwa v5, v73, v47 dst_sel:DWORD dst_unused:UNUSED_PAD src0_sel:WORD_1 src1_sel:DWORD
	v_mov_b32_e32 v24, 0
	v_mov_b32_e32 v22, 0
	s_mov_b32 s17, exec_lo
	v_cmpx_ne_u16_e32 0, v5
	s_cbranch_execz .LBB212_683
; %bb.676:                              ;   in Loop: Header=BB212_522 Depth=1
	v_bfrev_b32_e32 v21, 1
	v_mov_b32_e32 v22, 0
	s_mov_b32 s18, exec_lo
	v_cmpx_ne_u16_e32 0x80, v5
	s_cbranch_execz .LBB212_682
; %bb.677:                              ;   in Loop: Header=BB212_522 Depth=1
	v_mov_b32_e32 v21, 0x7f800001
	v_bfe_u32 v9, v73, 16, 7
	v_mov_b32_e32 v22, 0
	s_mov_b32 s21, exec_lo
	v_cmpx_ne_u32_e32 0x7f, v9
	s_cbranch_execz .LBB212_681
; %bb.678:                              ;   in Loop: Header=BB212_522 Depth=1
	v_and_b32_sdwa v5, v73, v48 dst_sel:DWORD dst_unused:UNUSED_PAD src0_sel:WORD_1 src1_sel:DWORD
	v_lshrrev_b32_e32 v7, 3, v9
	s_mov_b32 s22, exec_lo
	v_cmpx_gt_u32_e32 8, v9
; %bb.679:                              ;   in Loop: Header=BB212_522 Depth=1
	v_ffbh_u32_e32 v7, v5
	v_min_u32_e32 v7, 32, v7
	v_subrev_nc_u32_e32 v9, 28, v7
	v_sub_nc_u32_e32 v7, 29, v7
	v_lshlrev_b64 v[21:22], v9, v[5:6]
	v_and_b32_e32 v5, 7, v21
; %bb.680:                              ;   in Loop: Header=BB212_522 Depth=1
	s_or_b32 exec_lo, exec_lo, s22
	v_lshlrev_b32_sdwa v9, v50, v73 dst_sel:DWORD dst_unused:UNUSED_PAD src0_sel:DWORD src1_sel:WORD_1
	v_lshlrev_b32_e32 v5, 20, v5
	v_lshl_add_u32 v7, v7, 23, 0x3c000000
	v_and_b32_e32 v9, 0x80000000, v9
	v_or3_b32 v5, v5, v9, v7
	v_mov_b32_e32 v22, v6
	v_mov_b32_e32 v21, v5
.LBB212_681:                            ;   in Loop: Header=BB212_522 Depth=1
	s_or_b32 exec_lo, exec_lo, s21
.LBB212_682:                            ;   in Loop: Header=BB212_522 Depth=1
	s_or_b32 exec_lo, exec_lo, s18
.LBB212_683:                            ;   in Loop: Header=BB212_522 Depth=1
	s_or_b32 exec_lo, exec_lo, s17
	s_mov_b32 s17, exec_lo
	v_cmpx_lt_u32_e32 0xffffff, v73
	s_cbranch_execz .LBB212_691
; %bb.684:                              ;   in Loop: Header=BB212_522 Depth=1
	v_mov_b32_e32 v7, v6
	v_mov_b32_e32 v24, v8
	v_cmp_ne_u32_sdwa s0, v73, v45 src0_sel:BYTE_3 src1_sel:DWORD
	v_mov_b32_e32 v23, v7
	s_and_saveexec_b32 s18, s0
	s_cbranch_execz .LBB212_690
; %bb.685:                              ;   in Loop: Header=BB212_522 Depth=1
	v_mov_b32_e32 v9, v6
	v_mov_b32_e32 v24, v10
	v_bfe_u32 v74, v73, 24, 7
	s_mov_b32 s21, exec_lo
	v_mov_b32_e32 v23, v9
	v_cmpx_ne_u32_e32 0x7f, v74
	s_cbranch_execz .LBB212_689
; %bb.686:                              ;   in Loop: Header=BB212_522 Depth=1
	v_and_b32_sdwa v5, v73, v48 dst_sel:DWORD dst_unused:UNUSED_PAD src0_sel:BYTE_3 src1_sel:DWORD
	v_lshrrev_b32_e32 v7, 3, v74
	s_mov_b32 s22, exec_lo
	v_cmpx_gt_u32_e32 8, v74
; %bb.687:                              ;   in Loop: Header=BB212_522 Depth=1
	v_ffbh_u32_e32 v7, v5
	v_min_u32_e32 v7, 32, v7
	v_subrev_nc_u32_e32 v9, 28, v7
	v_sub_nc_u32_e32 v7, 29, v7
	v_lshlrev_b64 v[23:24], v9, v[5:6]
	v_and_b32_e32 v5, 7, v23
; %bb.688:                              ;   in Loop: Header=BB212_522 Depth=1
	s_or_b32 exec_lo, exec_lo, s22
	v_lshlrev_b32_sdwa v9, v50, v73 dst_sel:DWORD dst_unused:UNUSED_PAD src0_sel:DWORD src1_sel:BYTE_3
	v_lshlrev_b32_e32 v5, 20, v5
	v_lshl_add_u32 v7, v7, 23, 0x3c000000
	v_mov_b32_e32 v23, v6
	v_and_b32_e32 v9, 0x80000000, v9
	v_or3_b32 v24, v5, v9, v7
.LBB212_689:                            ;   in Loop: Header=BB212_522 Depth=1
	s_or_b32 exec_lo, exec_lo, s21
.LBB212_690:                            ;   in Loop: Header=BB212_522 Depth=1
	s_or_b32 exec_lo, exec_lo, s18
.LBB212_691:                            ;   in Loop: Header=BB212_522 Depth=1
	s_or_b32 exec_lo, exec_lo, s17
	v_or_b32_e32 v5, v20, v18
	v_or_b32_e32 v7, v19, v17
	v_or_b32_e32 v9, v23, v21
	v_or_b32_e32 v17, v24, v22
	v_mul_f32_e32 v75, s13, v5
	v_mul_f32_e32 v76, s12, v7
	;; [unrolled: 1-line block ×4, first 2 shown]
	s_and_saveexec_b32 s17, vcc_lo
	s_cbranch_execz .LBB212_693
; %bb.692:                              ;   in Loop: Header=BB212_522 Depth=1
	v_cmp_gt_i32_e64 s0, s31, v57
	v_cndmask_b32_e64 v76, 0, v76, s0
	v_cmp_gt_i32_e64 s0, s31, v60
	v_cndmask_b32_e64 v75, 0, v75, s0
	;; [unrolled: 2-line block ×4, first 2 shown]
.LBB212_693:                            ;   in Loop: Header=BB212_522 Depth=1
	s_or_b32 exec_lo, exec_lo, s17
	global_load_dword v77, v[15:16], off offset:640
	v_mov_b32_e32 v19, 0
	v_mov_b32_e32 v17, 0
	;; [unrolled: 1-line block ×4, first 2 shown]
	s_waitcnt vmcnt(0)
	v_cmp_ne_u16_sdwa s0, v77, v6 src0_sel:BYTE_0 src1_sel:DWORD
	s_and_saveexec_b32 s17, s0
	s_cbranch_execz .LBB212_701
; %bb.694:                              ;   in Loop: Header=BB212_522 Depth=1
	v_bfrev_b32_e32 v17, 1
	v_mov_b32_e32 v18, 0
	v_cmp_ne_u16_sdwa s0, v77, v45 src0_sel:BYTE_0 src1_sel:DWORD
	s_and_saveexec_b32 s18, s0
	s_cbranch_execz .LBB212_700
; %bb.695:                              ;   in Loop: Header=BB212_522 Depth=1
	v_mov_b32_e32 v17, 0x7f800001
	v_and_b32_e32 v9, 0x7f, v77
	v_mov_b32_e32 v18, 0
	s_mov_b32 s21, exec_lo
	v_cmpx_ne_u32_e32 0x7f, v9
	s_cbranch_execz .LBB212_699
; %bb.696:                              ;   in Loop: Header=BB212_522 Depth=1
	v_and_b32_e32 v5, 7, v77
	v_lshrrev_b32_e32 v7, 3, v9
	s_mov_b32 s22, exec_lo
	v_cmpx_gt_u32_e32 8, v9
; %bb.697:                              ;   in Loop: Header=BB212_522 Depth=1
	v_ffbh_u32_e32 v7, v5
	v_min_u32_e32 v7, 32, v7
	v_subrev_nc_u32_e32 v9, 28, v7
	v_sub_nc_u32_e32 v7, 29, v7
	v_lshlrev_b64 v[17:18], v9, v[5:6]
	v_and_b32_e32 v5, 7, v17
; %bb.698:                              ;   in Loop: Header=BB212_522 Depth=1
	s_or_b32 exec_lo, exec_lo, s22
	v_lshlrev_b32_e32 v9, 24, v77
	v_lshlrev_b32_e32 v5, 20, v5
	v_lshl_add_u32 v7, v7, 23, 0x3c000000
	v_and_b32_e32 v9, 0x80000000, v9
	v_or3_b32 v5, v5, v9, v7
	v_mov_b32_e32 v18, v6
	v_mov_b32_e32 v17, v5
.LBB212_699:                            ;   in Loop: Header=BB212_522 Depth=1
	s_or_b32 exec_lo, exec_lo, s21
.LBB212_700:                            ;   in Loop: Header=BB212_522 Depth=1
	s_or_b32 exec_lo, exec_lo, s18
.LBB212_701:                            ;   in Loop: Header=BB212_522 Depth=1
	s_or_b32 exec_lo, exec_lo, s17
	v_cmp_ne_u16_sdwa s0, v77, v6 src0_sel:BYTE_1 src1_sel:DWORD
	s_and_saveexec_b32 s17, s0
	s_cbranch_execz .LBB212_709
; %bb.702:                              ;   in Loop: Header=BB212_522 Depth=1
	v_mov_b32_e32 v7, v6
	v_mov_b32_e32 v20, v8
	v_cmp_ne_u16_sdwa s0, v77, v45 src0_sel:BYTE_1 src1_sel:DWORD
	v_mov_b32_e32 v19, v7
	s_and_saveexec_b32 s18, s0
	s_cbranch_execz .LBB212_708
; %bb.703:                              ;   in Loop: Header=BB212_522 Depth=1
	v_and_b32_sdwa v5, v46, v77 dst_sel:DWORD dst_unused:UNUSED_PAD src0_sel:DWORD src1_sel:BYTE_1
	v_mov_b32_e32 v9, v6
	v_mov_b32_e32 v20, v10
	s_mov_b32 s21, exec_lo
	v_and_b32_e32 v21, 0x7f, v5
	v_mov_b32_e32 v19, v9
	v_cmpx_ne_u32_e32 0x7f, v21
	s_cbranch_execz .LBB212_707
; %bb.704:                              ;   in Loop: Header=BB212_522 Depth=1
	v_and_b32_e32 v5, 7, v5
	v_lshrrev_b32_e32 v7, 3, v21
	s_mov_b32 s22, exec_lo
	v_cmpx_gt_u32_e32 8, v21
; %bb.705:                              ;   in Loop: Header=BB212_522 Depth=1
	v_ffbh_u32_e32 v7, v5
	v_min_u32_e32 v7, 32, v7
	v_subrev_nc_u32_e32 v9, 28, v7
	v_sub_nc_u32_e32 v7, 29, v7
	v_lshlrev_b64 v[19:20], v9, v[5:6]
	v_and_b32_e32 v5, 7, v19
; %bb.706:                              ;   in Loop: Header=BB212_522 Depth=1
	s_or_b32 exec_lo, exec_lo, s22
	v_lshlrev_b32_e32 v9, 16, v77
	v_lshlrev_b32_e32 v5, 20, v5
	v_lshl_add_u32 v7, v7, 23, 0x3c000000
	v_mov_b32_e32 v19, v6
	v_and_b32_e32 v9, 0x80000000, v9
	v_or3_b32 v20, v5, v9, v7
.LBB212_707:                            ;   in Loop: Header=BB212_522 Depth=1
	s_or_b32 exec_lo, exec_lo, s21
.LBB212_708:                            ;   in Loop: Header=BB212_522 Depth=1
	s_or_b32 exec_lo, exec_lo, s18
.LBB212_709:                            ;   in Loop: Header=BB212_522 Depth=1
	s_or_b32 exec_lo, exec_lo, s17
	v_mov_b32_e32 v23, 0
	v_mov_b32_e32 v21, 0
	v_and_b32_sdwa v5, v77, v47 dst_sel:DWORD dst_unused:UNUSED_PAD src0_sel:WORD_1 src1_sel:DWORD
	v_mov_b32_e32 v24, 0
	v_mov_b32_e32 v22, 0
	s_mov_b32 s17, exec_lo
	v_cmpx_ne_u16_e32 0, v5
	s_cbranch_execz .LBB212_717
; %bb.710:                              ;   in Loop: Header=BB212_522 Depth=1
	v_bfrev_b32_e32 v21, 1
	v_mov_b32_e32 v22, 0
	s_mov_b32 s18, exec_lo
	v_cmpx_ne_u16_e32 0x80, v5
	s_cbranch_execz .LBB212_716
; %bb.711:                              ;   in Loop: Header=BB212_522 Depth=1
	v_mov_b32_e32 v21, 0x7f800001
	v_bfe_u32 v9, v77, 16, 7
	v_mov_b32_e32 v22, 0
	s_mov_b32 s21, exec_lo
	v_cmpx_ne_u32_e32 0x7f, v9
	s_cbranch_execz .LBB212_715
; %bb.712:                              ;   in Loop: Header=BB212_522 Depth=1
	v_and_b32_sdwa v5, v77, v48 dst_sel:DWORD dst_unused:UNUSED_PAD src0_sel:WORD_1 src1_sel:DWORD
	v_lshrrev_b32_e32 v7, 3, v9
	s_mov_b32 s22, exec_lo
	v_cmpx_gt_u32_e32 8, v9
; %bb.713:                              ;   in Loop: Header=BB212_522 Depth=1
	v_ffbh_u32_e32 v7, v5
	v_min_u32_e32 v7, 32, v7
	v_subrev_nc_u32_e32 v9, 28, v7
	v_sub_nc_u32_e32 v7, 29, v7
	v_lshlrev_b64 v[21:22], v9, v[5:6]
	v_and_b32_e32 v5, 7, v21
; %bb.714:                              ;   in Loop: Header=BB212_522 Depth=1
	s_or_b32 exec_lo, exec_lo, s22
	v_lshlrev_b32_sdwa v9, v50, v77 dst_sel:DWORD dst_unused:UNUSED_PAD src0_sel:DWORD src1_sel:WORD_1
	v_lshlrev_b32_e32 v5, 20, v5
	v_lshl_add_u32 v7, v7, 23, 0x3c000000
	v_and_b32_e32 v9, 0x80000000, v9
	v_or3_b32 v5, v5, v9, v7
	v_mov_b32_e32 v22, v6
	v_mov_b32_e32 v21, v5
.LBB212_715:                            ;   in Loop: Header=BB212_522 Depth=1
	s_or_b32 exec_lo, exec_lo, s21
.LBB212_716:                            ;   in Loop: Header=BB212_522 Depth=1
	s_or_b32 exec_lo, exec_lo, s18
.LBB212_717:                            ;   in Loop: Header=BB212_522 Depth=1
	s_or_b32 exec_lo, exec_lo, s17
	s_mov_b32 s17, exec_lo
	v_cmpx_lt_u32_e32 0xffffff, v77
	s_cbranch_execz .LBB212_725
; %bb.718:                              ;   in Loop: Header=BB212_522 Depth=1
	v_mov_b32_e32 v7, v6
	v_mov_b32_e32 v24, v8
	v_cmp_ne_u32_sdwa s0, v77, v45 src0_sel:BYTE_3 src1_sel:DWORD
	v_mov_b32_e32 v23, v7
	s_and_saveexec_b32 s18, s0
	s_cbranch_execz .LBB212_724
; %bb.719:                              ;   in Loop: Header=BB212_522 Depth=1
	v_mov_b32_e32 v9, v6
	v_mov_b32_e32 v24, v10
	v_bfe_u32 v78, v77, 24, 7
	s_mov_b32 s21, exec_lo
	v_mov_b32_e32 v23, v9
	v_cmpx_ne_u32_e32 0x7f, v78
	s_cbranch_execz .LBB212_723
; %bb.720:                              ;   in Loop: Header=BB212_522 Depth=1
	v_and_b32_sdwa v5, v77, v48 dst_sel:DWORD dst_unused:UNUSED_PAD src0_sel:BYTE_3 src1_sel:DWORD
	v_lshrrev_b32_e32 v7, 3, v78
	s_mov_b32 s22, exec_lo
	v_cmpx_gt_u32_e32 8, v78
; %bb.721:                              ;   in Loop: Header=BB212_522 Depth=1
	v_ffbh_u32_e32 v7, v5
	v_min_u32_e32 v7, 32, v7
	v_subrev_nc_u32_e32 v9, 28, v7
	v_sub_nc_u32_e32 v7, 29, v7
	v_lshlrev_b64 v[23:24], v9, v[5:6]
	v_and_b32_e32 v5, 7, v23
; %bb.722:                              ;   in Loop: Header=BB212_522 Depth=1
	s_or_b32 exec_lo, exec_lo, s22
	v_lshlrev_b32_sdwa v9, v50, v77 dst_sel:DWORD dst_unused:UNUSED_PAD src0_sel:DWORD src1_sel:BYTE_3
	v_lshlrev_b32_e32 v5, 20, v5
	v_lshl_add_u32 v7, v7, 23, 0x3c000000
	v_mov_b32_e32 v23, v6
	v_and_b32_e32 v9, 0x80000000, v9
	v_or3_b32 v24, v5, v9, v7
.LBB212_723:                            ;   in Loop: Header=BB212_522 Depth=1
	s_or_b32 exec_lo, exec_lo, s21
.LBB212_724:                            ;   in Loop: Header=BB212_522 Depth=1
	s_or_b32 exec_lo, exec_lo, s18
.LBB212_725:                            ;   in Loop: Header=BB212_522 Depth=1
	s_or_b32 exec_lo, exec_lo, s17
	v_or_b32_e32 v5, v20, v18
	v_or_b32_e32 v7, v19, v17
	;; [unrolled: 1-line block ×4, first 2 shown]
	v_mul_f32_e32 v79, s13, v5
	v_mul_f32_e32 v80, s12, v7
	;; [unrolled: 1-line block ×4, first 2 shown]
	s_and_saveexec_b32 s17, vcc_lo
	s_cbranch_execz .LBB212_727
; %bb.726:                              ;   in Loop: Header=BB212_522 Depth=1
	v_cmp_gt_i32_e64 s0, s31, v57
	v_cndmask_b32_e64 v80, 0, v80, s0
	v_cmp_gt_i32_e64 s0, s31, v60
	v_cndmask_b32_e64 v79, 0, v79, s0
	;; [unrolled: 2-line block ×4, first 2 shown]
.LBB212_727:                            ;   in Loop: Header=BB212_522 Depth=1
	s_or_b32 exec_lo, exec_lo, s17
	global_load_dword v81, v[15:16], off offset:768
	v_mov_b32_e32 v19, 0
	v_mov_b32_e32 v17, 0
	;; [unrolled: 1-line block ×4, first 2 shown]
	s_waitcnt vmcnt(0)
	v_cmp_ne_u16_sdwa s0, v81, v6 src0_sel:BYTE_0 src1_sel:DWORD
	s_and_saveexec_b32 s17, s0
	s_cbranch_execz .LBB212_735
; %bb.728:                              ;   in Loop: Header=BB212_522 Depth=1
	v_bfrev_b32_e32 v17, 1
	v_mov_b32_e32 v18, 0
	v_cmp_ne_u16_sdwa s0, v81, v45 src0_sel:BYTE_0 src1_sel:DWORD
	s_and_saveexec_b32 s18, s0
	s_cbranch_execz .LBB212_734
; %bb.729:                              ;   in Loop: Header=BB212_522 Depth=1
	v_mov_b32_e32 v17, 0x7f800001
	v_and_b32_e32 v9, 0x7f, v81
	v_mov_b32_e32 v18, 0
	s_mov_b32 s21, exec_lo
	v_cmpx_ne_u32_e32 0x7f, v9
	s_cbranch_execz .LBB212_733
; %bb.730:                              ;   in Loop: Header=BB212_522 Depth=1
	v_and_b32_e32 v5, 7, v81
	v_lshrrev_b32_e32 v7, 3, v9
	s_mov_b32 s22, exec_lo
	v_cmpx_gt_u32_e32 8, v9
; %bb.731:                              ;   in Loop: Header=BB212_522 Depth=1
	v_ffbh_u32_e32 v7, v5
	v_min_u32_e32 v7, 32, v7
	v_subrev_nc_u32_e32 v9, 28, v7
	v_sub_nc_u32_e32 v7, 29, v7
	v_lshlrev_b64 v[17:18], v9, v[5:6]
	v_and_b32_e32 v5, 7, v17
; %bb.732:                              ;   in Loop: Header=BB212_522 Depth=1
	s_or_b32 exec_lo, exec_lo, s22
	v_lshlrev_b32_e32 v9, 24, v81
	v_lshlrev_b32_e32 v5, 20, v5
	v_lshl_add_u32 v7, v7, 23, 0x3c000000
	v_and_b32_e32 v9, 0x80000000, v9
	v_or3_b32 v5, v5, v9, v7
	v_mov_b32_e32 v18, v6
	v_mov_b32_e32 v17, v5
.LBB212_733:                            ;   in Loop: Header=BB212_522 Depth=1
	s_or_b32 exec_lo, exec_lo, s21
.LBB212_734:                            ;   in Loop: Header=BB212_522 Depth=1
	s_or_b32 exec_lo, exec_lo, s18
.LBB212_735:                            ;   in Loop: Header=BB212_522 Depth=1
	s_or_b32 exec_lo, exec_lo, s17
	v_cmp_ne_u16_sdwa s0, v81, v6 src0_sel:BYTE_1 src1_sel:DWORD
	s_and_saveexec_b32 s17, s0
	s_cbranch_execz .LBB212_743
; %bb.736:                              ;   in Loop: Header=BB212_522 Depth=1
	v_mov_b32_e32 v7, v6
	v_mov_b32_e32 v20, v8
	v_cmp_ne_u16_sdwa s0, v81, v45 src0_sel:BYTE_1 src1_sel:DWORD
	v_mov_b32_e32 v19, v7
	s_and_saveexec_b32 s18, s0
	s_cbranch_execz .LBB212_742
; %bb.737:                              ;   in Loop: Header=BB212_522 Depth=1
	v_and_b32_sdwa v5, v46, v81 dst_sel:DWORD dst_unused:UNUSED_PAD src0_sel:DWORD src1_sel:BYTE_1
	v_mov_b32_e32 v9, v6
	v_mov_b32_e32 v20, v10
	s_mov_b32 s21, exec_lo
	v_and_b32_e32 v21, 0x7f, v5
	v_mov_b32_e32 v19, v9
	v_cmpx_ne_u32_e32 0x7f, v21
	s_cbranch_execz .LBB212_741
; %bb.738:                              ;   in Loop: Header=BB212_522 Depth=1
	v_and_b32_e32 v5, 7, v5
	v_lshrrev_b32_e32 v7, 3, v21
	s_mov_b32 s22, exec_lo
	v_cmpx_gt_u32_e32 8, v21
; %bb.739:                              ;   in Loop: Header=BB212_522 Depth=1
	v_ffbh_u32_e32 v7, v5
	v_min_u32_e32 v7, 32, v7
	v_subrev_nc_u32_e32 v9, 28, v7
	v_sub_nc_u32_e32 v7, 29, v7
	v_lshlrev_b64 v[19:20], v9, v[5:6]
	v_and_b32_e32 v5, 7, v19
; %bb.740:                              ;   in Loop: Header=BB212_522 Depth=1
	s_or_b32 exec_lo, exec_lo, s22
	v_lshlrev_b32_e32 v9, 16, v81
	v_lshlrev_b32_e32 v5, 20, v5
	v_lshl_add_u32 v7, v7, 23, 0x3c000000
	v_mov_b32_e32 v19, v6
	v_and_b32_e32 v9, 0x80000000, v9
	v_or3_b32 v20, v5, v9, v7
.LBB212_741:                            ;   in Loop: Header=BB212_522 Depth=1
	s_or_b32 exec_lo, exec_lo, s21
.LBB212_742:                            ;   in Loop: Header=BB212_522 Depth=1
	s_or_b32 exec_lo, exec_lo, s18
.LBB212_743:                            ;   in Loop: Header=BB212_522 Depth=1
	s_or_b32 exec_lo, exec_lo, s17
	v_mov_b32_e32 v23, 0
	v_mov_b32_e32 v21, 0
	v_and_b32_sdwa v5, v81, v47 dst_sel:DWORD dst_unused:UNUSED_PAD src0_sel:WORD_1 src1_sel:DWORD
	v_mov_b32_e32 v24, 0
	v_mov_b32_e32 v22, 0
	s_mov_b32 s17, exec_lo
	v_cmpx_ne_u16_e32 0, v5
	s_cbranch_execz .LBB212_751
; %bb.744:                              ;   in Loop: Header=BB212_522 Depth=1
	v_bfrev_b32_e32 v21, 1
	v_mov_b32_e32 v22, 0
	s_mov_b32 s18, exec_lo
	v_cmpx_ne_u16_e32 0x80, v5
	s_cbranch_execz .LBB212_750
; %bb.745:                              ;   in Loop: Header=BB212_522 Depth=1
	v_mov_b32_e32 v21, 0x7f800001
	v_bfe_u32 v9, v81, 16, 7
	v_mov_b32_e32 v22, 0
	s_mov_b32 s21, exec_lo
	v_cmpx_ne_u32_e32 0x7f, v9
	s_cbranch_execz .LBB212_749
; %bb.746:                              ;   in Loop: Header=BB212_522 Depth=1
	v_and_b32_sdwa v5, v81, v48 dst_sel:DWORD dst_unused:UNUSED_PAD src0_sel:WORD_1 src1_sel:DWORD
	v_lshrrev_b32_e32 v7, 3, v9
	s_mov_b32 s22, exec_lo
	v_cmpx_gt_u32_e32 8, v9
; %bb.747:                              ;   in Loop: Header=BB212_522 Depth=1
	v_ffbh_u32_e32 v7, v5
	v_min_u32_e32 v7, 32, v7
	v_subrev_nc_u32_e32 v9, 28, v7
	v_sub_nc_u32_e32 v7, 29, v7
	v_lshlrev_b64 v[21:22], v9, v[5:6]
	v_and_b32_e32 v5, 7, v21
; %bb.748:                              ;   in Loop: Header=BB212_522 Depth=1
	s_or_b32 exec_lo, exec_lo, s22
	v_lshlrev_b32_sdwa v9, v50, v81 dst_sel:DWORD dst_unused:UNUSED_PAD src0_sel:DWORD src1_sel:WORD_1
	v_lshlrev_b32_e32 v5, 20, v5
	v_lshl_add_u32 v7, v7, 23, 0x3c000000
	v_and_b32_e32 v9, 0x80000000, v9
	v_or3_b32 v5, v5, v9, v7
	v_mov_b32_e32 v22, v6
	v_mov_b32_e32 v21, v5
.LBB212_749:                            ;   in Loop: Header=BB212_522 Depth=1
	s_or_b32 exec_lo, exec_lo, s21
.LBB212_750:                            ;   in Loop: Header=BB212_522 Depth=1
	s_or_b32 exec_lo, exec_lo, s18
.LBB212_751:                            ;   in Loop: Header=BB212_522 Depth=1
	s_or_b32 exec_lo, exec_lo, s17
	s_mov_b32 s17, exec_lo
	v_cmpx_lt_u32_e32 0xffffff, v81
	s_cbranch_execz .LBB212_759
; %bb.752:                              ;   in Loop: Header=BB212_522 Depth=1
	v_mov_b32_e32 v7, v6
	v_mov_b32_e32 v24, v8
	v_cmp_ne_u32_sdwa s0, v81, v45 src0_sel:BYTE_3 src1_sel:DWORD
	v_mov_b32_e32 v23, v7
	s_and_saveexec_b32 s18, s0
	s_cbranch_execz .LBB212_758
; %bb.753:                              ;   in Loop: Header=BB212_522 Depth=1
	v_mov_b32_e32 v9, v6
	v_mov_b32_e32 v24, v10
	v_bfe_u32 v82, v81, 24, 7
	s_mov_b32 s21, exec_lo
	v_mov_b32_e32 v23, v9
	v_cmpx_ne_u32_e32 0x7f, v82
	s_cbranch_execz .LBB212_757
; %bb.754:                              ;   in Loop: Header=BB212_522 Depth=1
	v_and_b32_sdwa v5, v81, v48 dst_sel:DWORD dst_unused:UNUSED_PAD src0_sel:BYTE_3 src1_sel:DWORD
	v_lshrrev_b32_e32 v7, 3, v82
	s_mov_b32 s22, exec_lo
	v_cmpx_gt_u32_e32 8, v82
; %bb.755:                              ;   in Loop: Header=BB212_522 Depth=1
	v_ffbh_u32_e32 v7, v5
	v_min_u32_e32 v7, 32, v7
	v_subrev_nc_u32_e32 v9, 28, v7
	v_sub_nc_u32_e32 v7, 29, v7
	v_lshlrev_b64 v[23:24], v9, v[5:6]
	v_and_b32_e32 v5, 7, v23
; %bb.756:                              ;   in Loop: Header=BB212_522 Depth=1
	s_or_b32 exec_lo, exec_lo, s22
	v_lshlrev_b32_sdwa v9, v50, v81 dst_sel:DWORD dst_unused:UNUSED_PAD src0_sel:DWORD src1_sel:BYTE_3
	v_lshlrev_b32_e32 v5, 20, v5
	v_lshl_add_u32 v7, v7, 23, 0x3c000000
	v_mov_b32_e32 v23, v6
	v_and_b32_e32 v9, 0x80000000, v9
	v_or3_b32 v24, v5, v9, v7
.LBB212_757:                            ;   in Loop: Header=BB212_522 Depth=1
	s_or_b32 exec_lo, exec_lo, s21
.LBB212_758:                            ;   in Loop: Header=BB212_522 Depth=1
	s_or_b32 exec_lo, exec_lo, s18
.LBB212_759:                            ;   in Loop: Header=BB212_522 Depth=1
	s_or_b32 exec_lo, exec_lo, s17
	v_or_b32_e32 v5, v20, v18
	v_or_b32_e32 v7, v19, v17
	v_or_b32_e32 v9, v23, v21
	v_or_b32_e32 v17, v24, v22
	v_mul_f32_e32 v83, s13, v5
	v_mul_f32_e32 v84, s12, v7
	;; [unrolled: 1-line block ×4, first 2 shown]
	s_and_saveexec_b32 s17, vcc_lo
	s_cbranch_execz .LBB212_761
; %bb.760:                              ;   in Loop: Header=BB212_522 Depth=1
	v_cmp_gt_i32_e64 s0, s31, v57
	v_cndmask_b32_e64 v84, 0, v84, s0
	v_cmp_gt_i32_e64 s0, s31, v60
	v_cndmask_b32_e64 v83, 0, v83, s0
	;; [unrolled: 2-line block ×4, first 2 shown]
.LBB212_761:                            ;   in Loop: Header=BB212_522 Depth=1
	s_or_b32 exec_lo, exec_lo, s17
	global_load_dword v85, v[15:16], off offset:896
	v_mov_b32_e32 v19, 0
	v_mov_b32_e32 v17, 0
	;; [unrolled: 1-line block ×4, first 2 shown]
	s_waitcnt vmcnt(0)
	v_cmp_ne_u16_sdwa s0, v85, v6 src0_sel:BYTE_0 src1_sel:DWORD
	s_and_saveexec_b32 s17, s0
	s_cbranch_execz .LBB212_769
; %bb.762:                              ;   in Loop: Header=BB212_522 Depth=1
	v_bfrev_b32_e32 v17, 1
	v_mov_b32_e32 v18, 0
	v_cmp_ne_u16_sdwa s0, v85, v45 src0_sel:BYTE_0 src1_sel:DWORD
	s_and_saveexec_b32 s18, s0
	s_cbranch_execz .LBB212_768
; %bb.763:                              ;   in Loop: Header=BB212_522 Depth=1
	v_mov_b32_e32 v17, 0x7f800001
	v_and_b32_e32 v9, 0x7f, v85
	v_mov_b32_e32 v18, 0
	s_mov_b32 s21, exec_lo
	v_cmpx_ne_u32_e32 0x7f, v9
	s_cbranch_execz .LBB212_767
; %bb.764:                              ;   in Loop: Header=BB212_522 Depth=1
	v_and_b32_e32 v5, 7, v85
	v_lshrrev_b32_e32 v7, 3, v9
	s_mov_b32 s22, exec_lo
	v_cmpx_gt_u32_e32 8, v9
; %bb.765:                              ;   in Loop: Header=BB212_522 Depth=1
	v_ffbh_u32_e32 v7, v5
	v_min_u32_e32 v7, 32, v7
	v_subrev_nc_u32_e32 v9, 28, v7
	v_sub_nc_u32_e32 v7, 29, v7
	v_lshlrev_b64 v[17:18], v9, v[5:6]
	v_and_b32_e32 v5, 7, v17
; %bb.766:                              ;   in Loop: Header=BB212_522 Depth=1
	s_or_b32 exec_lo, exec_lo, s22
	v_lshlrev_b32_e32 v9, 24, v85
	v_lshlrev_b32_e32 v5, 20, v5
	v_lshl_add_u32 v7, v7, 23, 0x3c000000
	v_and_b32_e32 v9, 0x80000000, v9
	v_or3_b32 v5, v5, v9, v7
	v_mov_b32_e32 v18, v6
	v_mov_b32_e32 v17, v5
.LBB212_767:                            ;   in Loop: Header=BB212_522 Depth=1
	s_or_b32 exec_lo, exec_lo, s21
.LBB212_768:                            ;   in Loop: Header=BB212_522 Depth=1
	s_or_b32 exec_lo, exec_lo, s18
.LBB212_769:                            ;   in Loop: Header=BB212_522 Depth=1
	s_or_b32 exec_lo, exec_lo, s17
	v_cmp_ne_u16_sdwa s0, v85, v6 src0_sel:BYTE_1 src1_sel:DWORD
	s_and_saveexec_b32 s17, s0
	s_cbranch_execz .LBB212_777
; %bb.770:                              ;   in Loop: Header=BB212_522 Depth=1
	v_mov_b32_e32 v7, v6
	v_mov_b32_e32 v20, v8
	v_cmp_ne_u16_sdwa s0, v85, v45 src0_sel:BYTE_1 src1_sel:DWORD
	v_mov_b32_e32 v19, v7
	s_and_saveexec_b32 s18, s0
	s_cbranch_execz .LBB212_776
; %bb.771:                              ;   in Loop: Header=BB212_522 Depth=1
	v_and_b32_sdwa v5, v46, v85 dst_sel:DWORD dst_unused:UNUSED_PAD src0_sel:DWORD src1_sel:BYTE_1
	v_mov_b32_e32 v9, v6
	v_mov_b32_e32 v20, v10
	s_mov_b32 s21, exec_lo
	v_and_b32_e32 v21, 0x7f, v5
	v_mov_b32_e32 v19, v9
	v_cmpx_ne_u32_e32 0x7f, v21
	s_cbranch_execz .LBB212_775
; %bb.772:                              ;   in Loop: Header=BB212_522 Depth=1
	v_and_b32_e32 v5, 7, v5
	v_lshrrev_b32_e32 v7, 3, v21
	s_mov_b32 s22, exec_lo
	v_cmpx_gt_u32_e32 8, v21
; %bb.773:                              ;   in Loop: Header=BB212_522 Depth=1
	v_ffbh_u32_e32 v7, v5
	v_min_u32_e32 v7, 32, v7
	v_subrev_nc_u32_e32 v9, 28, v7
	v_sub_nc_u32_e32 v7, 29, v7
	v_lshlrev_b64 v[19:20], v9, v[5:6]
	v_and_b32_e32 v5, 7, v19
; %bb.774:                              ;   in Loop: Header=BB212_522 Depth=1
	s_or_b32 exec_lo, exec_lo, s22
	v_lshlrev_b32_e32 v9, 16, v85
	v_lshlrev_b32_e32 v5, 20, v5
	v_lshl_add_u32 v7, v7, 23, 0x3c000000
	v_mov_b32_e32 v19, v6
	v_and_b32_e32 v9, 0x80000000, v9
	v_or3_b32 v20, v5, v9, v7
.LBB212_775:                            ;   in Loop: Header=BB212_522 Depth=1
	s_or_b32 exec_lo, exec_lo, s21
.LBB212_776:                            ;   in Loop: Header=BB212_522 Depth=1
	s_or_b32 exec_lo, exec_lo, s18
.LBB212_777:                            ;   in Loop: Header=BB212_522 Depth=1
	s_or_b32 exec_lo, exec_lo, s17
	v_mov_b32_e32 v23, 0
	v_mov_b32_e32 v21, 0
	v_and_b32_sdwa v5, v85, v47 dst_sel:DWORD dst_unused:UNUSED_PAD src0_sel:WORD_1 src1_sel:DWORD
	v_mov_b32_e32 v24, 0
	v_mov_b32_e32 v22, 0
	s_mov_b32 s17, exec_lo
	v_cmpx_ne_u16_e32 0, v5
	s_cbranch_execz .LBB212_785
; %bb.778:                              ;   in Loop: Header=BB212_522 Depth=1
	v_bfrev_b32_e32 v21, 1
	v_mov_b32_e32 v22, 0
	s_mov_b32 s18, exec_lo
	v_cmpx_ne_u16_e32 0x80, v5
	s_cbranch_execz .LBB212_784
; %bb.779:                              ;   in Loop: Header=BB212_522 Depth=1
	v_mov_b32_e32 v21, 0x7f800001
	v_bfe_u32 v9, v85, 16, 7
	v_mov_b32_e32 v22, 0
	s_mov_b32 s21, exec_lo
	v_cmpx_ne_u32_e32 0x7f, v9
	s_cbranch_execz .LBB212_783
; %bb.780:                              ;   in Loop: Header=BB212_522 Depth=1
	v_and_b32_sdwa v5, v85, v48 dst_sel:DWORD dst_unused:UNUSED_PAD src0_sel:WORD_1 src1_sel:DWORD
	v_lshrrev_b32_e32 v7, 3, v9
	s_mov_b32 s22, exec_lo
	v_cmpx_gt_u32_e32 8, v9
; %bb.781:                              ;   in Loop: Header=BB212_522 Depth=1
	v_ffbh_u32_e32 v7, v5
	v_min_u32_e32 v7, 32, v7
	v_subrev_nc_u32_e32 v9, 28, v7
	v_sub_nc_u32_e32 v7, 29, v7
	v_lshlrev_b64 v[21:22], v9, v[5:6]
	v_and_b32_e32 v5, 7, v21
; %bb.782:                              ;   in Loop: Header=BB212_522 Depth=1
	s_or_b32 exec_lo, exec_lo, s22
	v_lshlrev_b32_sdwa v9, v50, v85 dst_sel:DWORD dst_unused:UNUSED_PAD src0_sel:DWORD src1_sel:WORD_1
	v_lshlrev_b32_e32 v5, 20, v5
	v_lshl_add_u32 v7, v7, 23, 0x3c000000
	v_and_b32_e32 v9, 0x80000000, v9
	v_or3_b32 v5, v5, v9, v7
	v_mov_b32_e32 v22, v6
	v_mov_b32_e32 v21, v5
.LBB212_783:                            ;   in Loop: Header=BB212_522 Depth=1
	s_or_b32 exec_lo, exec_lo, s21
.LBB212_784:                            ;   in Loop: Header=BB212_522 Depth=1
	s_or_b32 exec_lo, exec_lo, s18
.LBB212_785:                            ;   in Loop: Header=BB212_522 Depth=1
	s_or_b32 exec_lo, exec_lo, s17
	s_mov_b32 s17, exec_lo
	v_cmpx_lt_u32_e32 0xffffff, v85
	s_cbranch_execz .LBB212_793
; %bb.786:                              ;   in Loop: Header=BB212_522 Depth=1
	v_mov_b32_e32 v7, v6
	v_mov_b32_e32 v24, v8
	v_cmp_ne_u32_sdwa s0, v85, v45 src0_sel:BYTE_3 src1_sel:DWORD
	v_mov_b32_e32 v23, v7
	s_and_saveexec_b32 s18, s0
	s_cbranch_execz .LBB212_792
; %bb.787:                              ;   in Loop: Header=BB212_522 Depth=1
	v_mov_b32_e32 v9, v6
	v_mov_b32_e32 v24, v10
	v_bfe_u32 v86, v85, 24, 7
	s_mov_b32 s21, exec_lo
	v_mov_b32_e32 v23, v9
	v_cmpx_ne_u32_e32 0x7f, v86
	s_cbranch_execz .LBB212_791
; %bb.788:                              ;   in Loop: Header=BB212_522 Depth=1
	v_and_b32_sdwa v5, v85, v48 dst_sel:DWORD dst_unused:UNUSED_PAD src0_sel:BYTE_3 src1_sel:DWORD
	v_lshrrev_b32_e32 v7, 3, v86
	s_mov_b32 s22, exec_lo
	v_cmpx_gt_u32_e32 8, v86
; %bb.789:                              ;   in Loop: Header=BB212_522 Depth=1
	v_ffbh_u32_e32 v7, v5
	v_min_u32_e32 v7, 32, v7
	v_subrev_nc_u32_e32 v9, 28, v7
	v_sub_nc_u32_e32 v7, 29, v7
	v_lshlrev_b64 v[23:24], v9, v[5:6]
	v_and_b32_e32 v5, 7, v23
; %bb.790:                              ;   in Loop: Header=BB212_522 Depth=1
	s_or_b32 exec_lo, exec_lo, s22
	v_lshlrev_b32_sdwa v9, v50, v85 dst_sel:DWORD dst_unused:UNUSED_PAD src0_sel:DWORD src1_sel:BYTE_3
	v_lshlrev_b32_e32 v5, 20, v5
	v_lshl_add_u32 v7, v7, 23, 0x3c000000
	v_mov_b32_e32 v23, v6
	v_and_b32_e32 v9, 0x80000000, v9
	v_or3_b32 v24, v5, v9, v7
.LBB212_791:                            ;   in Loop: Header=BB212_522 Depth=1
	s_or_b32 exec_lo, exec_lo, s21
.LBB212_792:                            ;   in Loop: Header=BB212_522 Depth=1
	s_or_b32 exec_lo, exec_lo, s18
.LBB212_793:                            ;   in Loop: Header=BB212_522 Depth=1
	s_or_b32 exec_lo, exec_lo, s17
	v_or_b32_e32 v5, v20, v18
	v_or_b32_e32 v7, v19, v17
	;; [unrolled: 1-line block ×4, first 2 shown]
	v_mul_f32_e32 v87, s13, v5
	v_mul_f32_e32 v88, s12, v7
	;; [unrolled: 1-line block ×4, first 2 shown]
	s_and_saveexec_b32 s17, vcc_lo
	s_cbranch_execz .LBB212_795
; %bb.794:                              ;   in Loop: Header=BB212_522 Depth=1
	v_cmp_gt_i32_e64 s0, s31, v57
	v_cndmask_b32_e64 v88, 0, v88, s0
	v_cmp_gt_i32_e64 s0, s31, v60
	v_cndmask_b32_e64 v87, 0, v87, s0
	v_cmp_gt_i32_e64 s0, s31, v59
	v_cndmask_b32_e64 v86, 0, v86, s0
	v_cmp_gt_i32_e64 s0, s31, v58
	v_cndmask_b32_e64 v85, 0, v85, s0
.LBB212_795:                            ;   in Loop: Header=BB212_522 Depth=1
	s_or_b32 exec_lo, exec_lo, s17
	global_load_dword v89, v[15:16], off offset:1024
	v_mov_b32_e32 v19, 0
	v_mov_b32_e32 v17, 0
	;; [unrolled: 1-line block ×4, first 2 shown]
	s_waitcnt vmcnt(0)
	v_cmp_ne_u16_sdwa s0, v89, v6 src0_sel:BYTE_0 src1_sel:DWORD
	s_and_saveexec_b32 s17, s0
	s_cbranch_execz .LBB212_803
; %bb.796:                              ;   in Loop: Header=BB212_522 Depth=1
	v_bfrev_b32_e32 v17, 1
	v_mov_b32_e32 v18, 0
	v_cmp_ne_u16_sdwa s0, v89, v45 src0_sel:BYTE_0 src1_sel:DWORD
	s_and_saveexec_b32 s18, s0
	s_cbranch_execz .LBB212_802
; %bb.797:                              ;   in Loop: Header=BB212_522 Depth=1
	v_mov_b32_e32 v17, 0x7f800001
	v_and_b32_e32 v9, 0x7f, v89
	v_mov_b32_e32 v18, 0
	s_mov_b32 s21, exec_lo
	v_cmpx_ne_u32_e32 0x7f, v9
	s_cbranch_execz .LBB212_801
; %bb.798:                              ;   in Loop: Header=BB212_522 Depth=1
	v_and_b32_e32 v5, 7, v89
	v_lshrrev_b32_e32 v7, 3, v9
	s_mov_b32 s22, exec_lo
	v_cmpx_gt_u32_e32 8, v9
; %bb.799:                              ;   in Loop: Header=BB212_522 Depth=1
	v_ffbh_u32_e32 v7, v5
	v_min_u32_e32 v7, 32, v7
	v_subrev_nc_u32_e32 v9, 28, v7
	v_sub_nc_u32_e32 v7, 29, v7
	v_lshlrev_b64 v[17:18], v9, v[5:6]
	v_and_b32_e32 v5, 7, v17
; %bb.800:                              ;   in Loop: Header=BB212_522 Depth=1
	s_or_b32 exec_lo, exec_lo, s22
	v_lshlrev_b32_e32 v9, 24, v89
	v_lshlrev_b32_e32 v5, 20, v5
	v_lshl_add_u32 v7, v7, 23, 0x3c000000
	v_and_b32_e32 v9, 0x80000000, v9
	v_or3_b32 v5, v5, v9, v7
	v_mov_b32_e32 v18, v6
	v_mov_b32_e32 v17, v5
.LBB212_801:                            ;   in Loop: Header=BB212_522 Depth=1
	s_or_b32 exec_lo, exec_lo, s21
.LBB212_802:                            ;   in Loop: Header=BB212_522 Depth=1
	s_or_b32 exec_lo, exec_lo, s18
.LBB212_803:                            ;   in Loop: Header=BB212_522 Depth=1
	s_or_b32 exec_lo, exec_lo, s17
	v_cmp_ne_u16_sdwa s0, v89, v6 src0_sel:BYTE_1 src1_sel:DWORD
	s_and_saveexec_b32 s17, s0
	s_cbranch_execz .LBB212_811
; %bb.804:                              ;   in Loop: Header=BB212_522 Depth=1
	v_mov_b32_e32 v7, v6
	v_mov_b32_e32 v20, v8
	v_cmp_ne_u16_sdwa s0, v89, v45 src0_sel:BYTE_1 src1_sel:DWORD
	v_mov_b32_e32 v19, v7
	s_and_saveexec_b32 s18, s0
	s_cbranch_execz .LBB212_810
; %bb.805:                              ;   in Loop: Header=BB212_522 Depth=1
	v_and_b32_sdwa v5, v46, v89 dst_sel:DWORD dst_unused:UNUSED_PAD src0_sel:DWORD src1_sel:BYTE_1
	v_mov_b32_e32 v9, v6
	v_mov_b32_e32 v20, v10
	s_mov_b32 s21, exec_lo
	v_and_b32_e32 v21, 0x7f, v5
	v_mov_b32_e32 v19, v9
	v_cmpx_ne_u32_e32 0x7f, v21
	s_cbranch_execz .LBB212_809
; %bb.806:                              ;   in Loop: Header=BB212_522 Depth=1
	v_and_b32_e32 v5, 7, v5
	v_lshrrev_b32_e32 v7, 3, v21
	s_mov_b32 s22, exec_lo
	v_cmpx_gt_u32_e32 8, v21
; %bb.807:                              ;   in Loop: Header=BB212_522 Depth=1
	v_ffbh_u32_e32 v7, v5
	v_min_u32_e32 v7, 32, v7
	v_subrev_nc_u32_e32 v9, 28, v7
	v_sub_nc_u32_e32 v7, 29, v7
	v_lshlrev_b64 v[19:20], v9, v[5:6]
	v_and_b32_e32 v5, 7, v19
; %bb.808:                              ;   in Loop: Header=BB212_522 Depth=1
	s_or_b32 exec_lo, exec_lo, s22
	v_lshlrev_b32_e32 v9, 16, v89
	v_lshlrev_b32_e32 v5, 20, v5
	v_lshl_add_u32 v7, v7, 23, 0x3c000000
	v_mov_b32_e32 v19, v6
	v_and_b32_e32 v9, 0x80000000, v9
	v_or3_b32 v20, v5, v9, v7
.LBB212_809:                            ;   in Loop: Header=BB212_522 Depth=1
	s_or_b32 exec_lo, exec_lo, s21
.LBB212_810:                            ;   in Loop: Header=BB212_522 Depth=1
	s_or_b32 exec_lo, exec_lo, s18
.LBB212_811:                            ;   in Loop: Header=BB212_522 Depth=1
	s_or_b32 exec_lo, exec_lo, s17
	v_mov_b32_e32 v23, 0
	v_mov_b32_e32 v21, 0
	v_and_b32_sdwa v5, v89, v47 dst_sel:DWORD dst_unused:UNUSED_PAD src0_sel:WORD_1 src1_sel:DWORD
	v_mov_b32_e32 v24, 0
	v_mov_b32_e32 v22, 0
	s_mov_b32 s17, exec_lo
	v_cmpx_ne_u16_e32 0, v5
	s_cbranch_execz .LBB212_819
; %bb.812:                              ;   in Loop: Header=BB212_522 Depth=1
	v_bfrev_b32_e32 v21, 1
	v_mov_b32_e32 v22, 0
	s_mov_b32 s18, exec_lo
	v_cmpx_ne_u16_e32 0x80, v5
	s_cbranch_execz .LBB212_818
; %bb.813:                              ;   in Loop: Header=BB212_522 Depth=1
	v_mov_b32_e32 v21, 0x7f800001
	v_bfe_u32 v9, v89, 16, 7
	v_mov_b32_e32 v22, 0
	s_mov_b32 s21, exec_lo
	v_cmpx_ne_u32_e32 0x7f, v9
	s_cbranch_execz .LBB212_817
; %bb.814:                              ;   in Loop: Header=BB212_522 Depth=1
	v_and_b32_sdwa v5, v89, v48 dst_sel:DWORD dst_unused:UNUSED_PAD src0_sel:WORD_1 src1_sel:DWORD
	v_lshrrev_b32_e32 v7, 3, v9
	s_mov_b32 s22, exec_lo
	v_cmpx_gt_u32_e32 8, v9
; %bb.815:                              ;   in Loop: Header=BB212_522 Depth=1
	v_ffbh_u32_e32 v7, v5
	v_min_u32_e32 v7, 32, v7
	v_subrev_nc_u32_e32 v9, 28, v7
	v_sub_nc_u32_e32 v7, 29, v7
	v_lshlrev_b64 v[21:22], v9, v[5:6]
	v_and_b32_e32 v5, 7, v21
; %bb.816:                              ;   in Loop: Header=BB212_522 Depth=1
	s_or_b32 exec_lo, exec_lo, s22
	v_lshlrev_b32_sdwa v9, v50, v89 dst_sel:DWORD dst_unused:UNUSED_PAD src0_sel:DWORD src1_sel:WORD_1
	v_lshlrev_b32_e32 v5, 20, v5
	v_lshl_add_u32 v7, v7, 23, 0x3c000000
	v_and_b32_e32 v9, 0x80000000, v9
	v_or3_b32 v5, v5, v9, v7
	v_mov_b32_e32 v22, v6
	v_mov_b32_e32 v21, v5
.LBB212_817:                            ;   in Loop: Header=BB212_522 Depth=1
	s_or_b32 exec_lo, exec_lo, s21
.LBB212_818:                            ;   in Loop: Header=BB212_522 Depth=1
	s_or_b32 exec_lo, exec_lo, s18
.LBB212_819:                            ;   in Loop: Header=BB212_522 Depth=1
	s_or_b32 exec_lo, exec_lo, s17
	s_mov_b32 s17, exec_lo
	v_cmpx_lt_u32_e32 0xffffff, v89
	s_cbranch_execz .LBB212_827
; %bb.820:                              ;   in Loop: Header=BB212_522 Depth=1
	v_mov_b32_e32 v7, v6
	v_mov_b32_e32 v24, v8
	v_cmp_ne_u32_sdwa s0, v89, v45 src0_sel:BYTE_3 src1_sel:DWORD
	v_mov_b32_e32 v23, v7
	s_and_saveexec_b32 s18, s0
	s_cbranch_execz .LBB212_826
; %bb.821:                              ;   in Loop: Header=BB212_522 Depth=1
	v_mov_b32_e32 v9, v6
	v_mov_b32_e32 v24, v10
	v_bfe_u32 v90, v89, 24, 7
	s_mov_b32 s21, exec_lo
	v_mov_b32_e32 v23, v9
	v_cmpx_ne_u32_e32 0x7f, v90
	s_cbranch_execz .LBB212_825
; %bb.822:                              ;   in Loop: Header=BB212_522 Depth=1
	v_and_b32_sdwa v5, v89, v48 dst_sel:DWORD dst_unused:UNUSED_PAD src0_sel:BYTE_3 src1_sel:DWORD
	v_lshrrev_b32_e32 v7, 3, v90
	s_mov_b32 s22, exec_lo
	v_cmpx_gt_u32_e32 8, v90
; %bb.823:                              ;   in Loop: Header=BB212_522 Depth=1
	v_ffbh_u32_e32 v7, v5
	v_min_u32_e32 v7, 32, v7
	v_subrev_nc_u32_e32 v9, 28, v7
	v_sub_nc_u32_e32 v7, 29, v7
	v_lshlrev_b64 v[23:24], v9, v[5:6]
	v_and_b32_e32 v5, 7, v23
; %bb.824:                              ;   in Loop: Header=BB212_522 Depth=1
	s_or_b32 exec_lo, exec_lo, s22
	v_lshlrev_b32_sdwa v9, v50, v89 dst_sel:DWORD dst_unused:UNUSED_PAD src0_sel:DWORD src1_sel:BYTE_3
	v_lshlrev_b32_e32 v5, 20, v5
	v_lshl_add_u32 v7, v7, 23, 0x3c000000
	v_mov_b32_e32 v23, v6
	v_and_b32_e32 v9, 0x80000000, v9
	v_or3_b32 v24, v5, v9, v7
.LBB212_825:                            ;   in Loop: Header=BB212_522 Depth=1
	s_or_b32 exec_lo, exec_lo, s21
.LBB212_826:                            ;   in Loop: Header=BB212_522 Depth=1
	s_or_b32 exec_lo, exec_lo, s18
.LBB212_827:                            ;   in Loop: Header=BB212_522 Depth=1
	s_or_b32 exec_lo, exec_lo, s17
	v_or_b32_e32 v5, v20, v18
	v_or_b32_e32 v7, v19, v17
	;; [unrolled: 1-line block ×4, first 2 shown]
	v_mul_f32_e32 v91, s13, v5
	v_mul_f32_e32 v92, s12, v7
	;; [unrolled: 1-line block ×4, first 2 shown]
	s_and_saveexec_b32 s17, vcc_lo
	s_cbranch_execz .LBB212_829
; %bb.828:                              ;   in Loop: Header=BB212_522 Depth=1
	v_cmp_gt_i32_e64 s0, s31, v57
	v_cndmask_b32_e64 v92, 0, v92, s0
	v_cmp_gt_i32_e64 s0, s31, v60
	v_cndmask_b32_e64 v91, 0, v91, s0
	;; [unrolled: 2-line block ×4, first 2 shown]
.LBB212_829:                            ;   in Loop: Header=BB212_522 Depth=1
	s_or_b32 exec_lo, exec_lo, s17
	global_load_dword v93, v[15:16], off offset:1152
	v_mov_b32_e32 v19, 0
	v_mov_b32_e32 v17, 0
	;; [unrolled: 1-line block ×4, first 2 shown]
	s_waitcnt vmcnt(0)
	v_cmp_ne_u16_sdwa s0, v93, v6 src0_sel:BYTE_0 src1_sel:DWORD
	s_and_saveexec_b32 s17, s0
	s_cbranch_execz .LBB212_837
; %bb.830:                              ;   in Loop: Header=BB212_522 Depth=1
	v_bfrev_b32_e32 v17, 1
	v_mov_b32_e32 v18, 0
	v_cmp_ne_u16_sdwa s0, v93, v45 src0_sel:BYTE_0 src1_sel:DWORD
	s_and_saveexec_b32 s18, s0
	s_cbranch_execz .LBB212_836
; %bb.831:                              ;   in Loop: Header=BB212_522 Depth=1
	v_mov_b32_e32 v17, 0x7f800001
	v_and_b32_e32 v9, 0x7f, v93
	v_mov_b32_e32 v18, 0
	s_mov_b32 s21, exec_lo
	v_cmpx_ne_u32_e32 0x7f, v9
	s_cbranch_execz .LBB212_835
; %bb.832:                              ;   in Loop: Header=BB212_522 Depth=1
	v_and_b32_e32 v5, 7, v93
	v_lshrrev_b32_e32 v7, 3, v9
	s_mov_b32 s22, exec_lo
	v_cmpx_gt_u32_e32 8, v9
; %bb.833:                              ;   in Loop: Header=BB212_522 Depth=1
	v_ffbh_u32_e32 v7, v5
	v_min_u32_e32 v7, 32, v7
	v_subrev_nc_u32_e32 v9, 28, v7
	v_sub_nc_u32_e32 v7, 29, v7
	v_lshlrev_b64 v[17:18], v9, v[5:6]
	v_and_b32_e32 v5, 7, v17
; %bb.834:                              ;   in Loop: Header=BB212_522 Depth=1
	s_or_b32 exec_lo, exec_lo, s22
	v_lshlrev_b32_e32 v9, 24, v93
	v_lshlrev_b32_e32 v5, 20, v5
	v_lshl_add_u32 v7, v7, 23, 0x3c000000
	v_and_b32_e32 v9, 0x80000000, v9
	v_or3_b32 v5, v5, v9, v7
	v_mov_b32_e32 v18, v6
	v_mov_b32_e32 v17, v5
.LBB212_835:                            ;   in Loop: Header=BB212_522 Depth=1
	s_or_b32 exec_lo, exec_lo, s21
.LBB212_836:                            ;   in Loop: Header=BB212_522 Depth=1
	s_or_b32 exec_lo, exec_lo, s18
.LBB212_837:                            ;   in Loop: Header=BB212_522 Depth=1
	s_or_b32 exec_lo, exec_lo, s17
	v_cmp_ne_u16_sdwa s0, v93, v6 src0_sel:BYTE_1 src1_sel:DWORD
	s_and_saveexec_b32 s17, s0
	s_cbranch_execz .LBB212_845
; %bb.838:                              ;   in Loop: Header=BB212_522 Depth=1
	v_mov_b32_e32 v7, v6
	v_mov_b32_e32 v20, v8
	v_cmp_ne_u16_sdwa s0, v93, v45 src0_sel:BYTE_1 src1_sel:DWORD
	v_mov_b32_e32 v19, v7
	s_and_saveexec_b32 s18, s0
	s_cbranch_execz .LBB212_844
; %bb.839:                              ;   in Loop: Header=BB212_522 Depth=1
	v_and_b32_sdwa v5, v46, v93 dst_sel:DWORD dst_unused:UNUSED_PAD src0_sel:DWORD src1_sel:BYTE_1
	v_mov_b32_e32 v9, v6
	v_mov_b32_e32 v20, v10
	s_mov_b32 s21, exec_lo
	v_and_b32_e32 v21, 0x7f, v5
	v_mov_b32_e32 v19, v9
	v_cmpx_ne_u32_e32 0x7f, v21
	s_cbranch_execz .LBB212_843
; %bb.840:                              ;   in Loop: Header=BB212_522 Depth=1
	v_and_b32_e32 v5, 7, v5
	v_lshrrev_b32_e32 v7, 3, v21
	s_mov_b32 s22, exec_lo
	v_cmpx_gt_u32_e32 8, v21
; %bb.841:                              ;   in Loop: Header=BB212_522 Depth=1
	v_ffbh_u32_e32 v7, v5
	v_min_u32_e32 v7, 32, v7
	v_subrev_nc_u32_e32 v9, 28, v7
	v_sub_nc_u32_e32 v7, 29, v7
	v_lshlrev_b64 v[19:20], v9, v[5:6]
	v_and_b32_e32 v5, 7, v19
; %bb.842:                              ;   in Loop: Header=BB212_522 Depth=1
	s_or_b32 exec_lo, exec_lo, s22
	v_lshlrev_b32_e32 v9, 16, v93
	v_lshlrev_b32_e32 v5, 20, v5
	v_lshl_add_u32 v7, v7, 23, 0x3c000000
	v_mov_b32_e32 v19, v6
	v_and_b32_e32 v9, 0x80000000, v9
	v_or3_b32 v20, v5, v9, v7
.LBB212_843:                            ;   in Loop: Header=BB212_522 Depth=1
	s_or_b32 exec_lo, exec_lo, s21
.LBB212_844:                            ;   in Loop: Header=BB212_522 Depth=1
	s_or_b32 exec_lo, exec_lo, s18
.LBB212_845:                            ;   in Loop: Header=BB212_522 Depth=1
	s_or_b32 exec_lo, exec_lo, s17
	v_mov_b32_e32 v23, 0
	v_mov_b32_e32 v21, 0
	v_and_b32_sdwa v5, v93, v47 dst_sel:DWORD dst_unused:UNUSED_PAD src0_sel:WORD_1 src1_sel:DWORD
	v_mov_b32_e32 v24, 0
	v_mov_b32_e32 v22, 0
	s_mov_b32 s17, exec_lo
	v_cmpx_ne_u16_e32 0, v5
	s_cbranch_execz .LBB212_853
; %bb.846:                              ;   in Loop: Header=BB212_522 Depth=1
	v_bfrev_b32_e32 v21, 1
	v_mov_b32_e32 v22, 0
	s_mov_b32 s18, exec_lo
	v_cmpx_ne_u16_e32 0x80, v5
	s_cbranch_execz .LBB212_852
; %bb.847:                              ;   in Loop: Header=BB212_522 Depth=1
	v_mov_b32_e32 v21, 0x7f800001
	v_bfe_u32 v9, v93, 16, 7
	v_mov_b32_e32 v22, 0
	s_mov_b32 s21, exec_lo
	v_cmpx_ne_u32_e32 0x7f, v9
	s_cbranch_execz .LBB212_851
; %bb.848:                              ;   in Loop: Header=BB212_522 Depth=1
	v_and_b32_sdwa v5, v93, v48 dst_sel:DWORD dst_unused:UNUSED_PAD src0_sel:WORD_1 src1_sel:DWORD
	v_lshrrev_b32_e32 v7, 3, v9
	s_mov_b32 s22, exec_lo
	v_cmpx_gt_u32_e32 8, v9
; %bb.849:                              ;   in Loop: Header=BB212_522 Depth=1
	v_ffbh_u32_e32 v7, v5
	v_min_u32_e32 v7, 32, v7
	v_subrev_nc_u32_e32 v9, 28, v7
	v_sub_nc_u32_e32 v7, 29, v7
	v_lshlrev_b64 v[21:22], v9, v[5:6]
	v_and_b32_e32 v5, 7, v21
; %bb.850:                              ;   in Loop: Header=BB212_522 Depth=1
	s_or_b32 exec_lo, exec_lo, s22
	v_lshlrev_b32_sdwa v9, v50, v93 dst_sel:DWORD dst_unused:UNUSED_PAD src0_sel:DWORD src1_sel:WORD_1
	v_lshlrev_b32_e32 v5, 20, v5
	v_lshl_add_u32 v7, v7, 23, 0x3c000000
	v_and_b32_e32 v9, 0x80000000, v9
	v_or3_b32 v5, v5, v9, v7
	v_mov_b32_e32 v22, v6
	v_mov_b32_e32 v21, v5
.LBB212_851:                            ;   in Loop: Header=BB212_522 Depth=1
	s_or_b32 exec_lo, exec_lo, s21
.LBB212_852:                            ;   in Loop: Header=BB212_522 Depth=1
	s_or_b32 exec_lo, exec_lo, s18
.LBB212_853:                            ;   in Loop: Header=BB212_522 Depth=1
	s_or_b32 exec_lo, exec_lo, s17
	s_mov_b32 s17, exec_lo
	v_cmpx_lt_u32_e32 0xffffff, v93
	s_cbranch_execz .LBB212_861
; %bb.854:                              ;   in Loop: Header=BB212_522 Depth=1
	v_mov_b32_e32 v7, v6
	v_mov_b32_e32 v24, v8
	v_cmp_ne_u32_sdwa s0, v93, v45 src0_sel:BYTE_3 src1_sel:DWORD
	v_mov_b32_e32 v23, v7
	s_and_saveexec_b32 s18, s0
	s_cbranch_execz .LBB212_860
; %bb.855:                              ;   in Loop: Header=BB212_522 Depth=1
	v_mov_b32_e32 v9, v6
	v_mov_b32_e32 v24, v10
	v_bfe_u32 v94, v93, 24, 7
	s_mov_b32 s21, exec_lo
	v_mov_b32_e32 v23, v9
	v_cmpx_ne_u32_e32 0x7f, v94
	s_cbranch_execz .LBB212_859
; %bb.856:                              ;   in Loop: Header=BB212_522 Depth=1
	v_and_b32_sdwa v5, v93, v48 dst_sel:DWORD dst_unused:UNUSED_PAD src0_sel:BYTE_3 src1_sel:DWORD
	v_lshrrev_b32_e32 v7, 3, v94
	s_mov_b32 s22, exec_lo
	v_cmpx_gt_u32_e32 8, v94
; %bb.857:                              ;   in Loop: Header=BB212_522 Depth=1
	v_ffbh_u32_e32 v7, v5
	v_min_u32_e32 v7, 32, v7
	v_subrev_nc_u32_e32 v9, 28, v7
	v_sub_nc_u32_e32 v7, 29, v7
	v_lshlrev_b64 v[23:24], v9, v[5:6]
	v_and_b32_e32 v5, 7, v23
; %bb.858:                              ;   in Loop: Header=BB212_522 Depth=1
	s_or_b32 exec_lo, exec_lo, s22
	v_lshlrev_b32_sdwa v9, v50, v93 dst_sel:DWORD dst_unused:UNUSED_PAD src0_sel:DWORD src1_sel:BYTE_3
	v_lshlrev_b32_e32 v5, 20, v5
	v_lshl_add_u32 v7, v7, 23, 0x3c000000
	v_mov_b32_e32 v23, v6
	v_and_b32_e32 v9, 0x80000000, v9
	v_or3_b32 v24, v5, v9, v7
.LBB212_859:                            ;   in Loop: Header=BB212_522 Depth=1
	s_or_b32 exec_lo, exec_lo, s21
.LBB212_860:                            ;   in Loop: Header=BB212_522 Depth=1
	s_or_b32 exec_lo, exec_lo, s18
.LBB212_861:                            ;   in Loop: Header=BB212_522 Depth=1
	s_or_b32 exec_lo, exec_lo, s17
	v_or_b32_e32 v5, v20, v18
	v_or_b32_e32 v7, v19, v17
	;; [unrolled: 1-line block ×4, first 2 shown]
	v_mul_f32_e32 v95, s13, v5
	v_mul_f32_e32 v96, s12, v7
	;; [unrolled: 1-line block ×4, first 2 shown]
	s_and_saveexec_b32 s17, vcc_lo
	s_cbranch_execz .LBB212_863
; %bb.862:                              ;   in Loop: Header=BB212_522 Depth=1
	v_cmp_gt_i32_e64 s0, s31, v57
	v_cndmask_b32_e64 v96, 0, v96, s0
	v_cmp_gt_i32_e64 s0, s31, v60
	v_cndmask_b32_e64 v95, 0, v95, s0
	;; [unrolled: 2-line block ×4, first 2 shown]
.LBB212_863:                            ;   in Loop: Header=BB212_522 Depth=1
	s_or_b32 exec_lo, exec_lo, s17
	global_load_dword v97, v[15:16], off offset:1280
	v_mov_b32_e32 v19, 0
	v_mov_b32_e32 v17, 0
	;; [unrolled: 1-line block ×4, first 2 shown]
	s_waitcnt vmcnt(0)
	v_cmp_ne_u16_sdwa s0, v97, v6 src0_sel:BYTE_0 src1_sel:DWORD
	s_and_saveexec_b32 s17, s0
	s_cbranch_execz .LBB212_871
; %bb.864:                              ;   in Loop: Header=BB212_522 Depth=1
	v_bfrev_b32_e32 v17, 1
	v_mov_b32_e32 v18, 0
	v_cmp_ne_u16_sdwa s0, v97, v45 src0_sel:BYTE_0 src1_sel:DWORD
	s_and_saveexec_b32 s18, s0
	s_cbranch_execz .LBB212_870
; %bb.865:                              ;   in Loop: Header=BB212_522 Depth=1
	v_mov_b32_e32 v17, 0x7f800001
	v_and_b32_e32 v9, 0x7f, v97
	v_mov_b32_e32 v18, 0
	s_mov_b32 s21, exec_lo
	v_cmpx_ne_u32_e32 0x7f, v9
	s_cbranch_execz .LBB212_869
; %bb.866:                              ;   in Loop: Header=BB212_522 Depth=1
	v_and_b32_e32 v5, 7, v97
	v_lshrrev_b32_e32 v7, 3, v9
	s_mov_b32 s22, exec_lo
	v_cmpx_gt_u32_e32 8, v9
; %bb.867:                              ;   in Loop: Header=BB212_522 Depth=1
	v_ffbh_u32_e32 v7, v5
	v_min_u32_e32 v7, 32, v7
	v_subrev_nc_u32_e32 v9, 28, v7
	v_sub_nc_u32_e32 v7, 29, v7
	v_lshlrev_b64 v[17:18], v9, v[5:6]
	v_and_b32_e32 v5, 7, v17
; %bb.868:                              ;   in Loop: Header=BB212_522 Depth=1
	s_or_b32 exec_lo, exec_lo, s22
	v_lshlrev_b32_e32 v9, 24, v97
	v_lshlrev_b32_e32 v5, 20, v5
	v_lshl_add_u32 v7, v7, 23, 0x3c000000
	v_and_b32_e32 v9, 0x80000000, v9
	v_or3_b32 v5, v5, v9, v7
	v_mov_b32_e32 v18, v6
	v_mov_b32_e32 v17, v5
.LBB212_869:                            ;   in Loop: Header=BB212_522 Depth=1
	s_or_b32 exec_lo, exec_lo, s21
.LBB212_870:                            ;   in Loop: Header=BB212_522 Depth=1
	s_or_b32 exec_lo, exec_lo, s18
.LBB212_871:                            ;   in Loop: Header=BB212_522 Depth=1
	s_or_b32 exec_lo, exec_lo, s17
	v_cmp_ne_u16_sdwa s0, v97, v6 src0_sel:BYTE_1 src1_sel:DWORD
	s_and_saveexec_b32 s17, s0
	s_cbranch_execz .LBB212_879
; %bb.872:                              ;   in Loop: Header=BB212_522 Depth=1
	v_mov_b32_e32 v7, v6
	v_mov_b32_e32 v20, v8
	v_cmp_ne_u16_sdwa s0, v97, v45 src0_sel:BYTE_1 src1_sel:DWORD
	v_mov_b32_e32 v19, v7
	s_and_saveexec_b32 s18, s0
	s_cbranch_execz .LBB212_878
; %bb.873:                              ;   in Loop: Header=BB212_522 Depth=1
	v_and_b32_sdwa v5, v46, v97 dst_sel:DWORD dst_unused:UNUSED_PAD src0_sel:DWORD src1_sel:BYTE_1
	v_mov_b32_e32 v9, v6
	v_mov_b32_e32 v20, v10
	s_mov_b32 s21, exec_lo
	v_and_b32_e32 v21, 0x7f, v5
	v_mov_b32_e32 v19, v9
	v_cmpx_ne_u32_e32 0x7f, v21
	s_cbranch_execz .LBB212_877
; %bb.874:                              ;   in Loop: Header=BB212_522 Depth=1
	v_and_b32_e32 v5, 7, v5
	v_lshrrev_b32_e32 v7, 3, v21
	s_mov_b32 s22, exec_lo
	v_cmpx_gt_u32_e32 8, v21
; %bb.875:                              ;   in Loop: Header=BB212_522 Depth=1
	v_ffbh_u32_e32 v7, v5
	v_min_u32_e32 v7, 32, v7
	v_subrev_nc_u32_e32 v9, 28, v7
	v_sub_nc_u32_e32 v7, 29, v7
	v_lshlrev_b64 v[19:20], v9, v[5:6]
	v_and_b32_e32 v5, 7, v19
; %bb.876:                              ;   in Loop: Header=BB212_522 Depth=1
	s_or_b32 exec_lo, exec_lo, s22
	v_lshlrev_b32_e32 v9, 16, v97
	v_lshlrev_b32_e32 v5, 20, v5
	v_lshl_add_u32 v7, v7, 23, 0x3c000000
	v_mov_b32_e32 v19, v6
	v_and_b32_e32 v9, 0x80000000, v9
	v_or3_b32 v20, v5, v9, v7
.LBB212_877:                            ;   in Loop: Header=BB212_522 Depth=1
	s_or_b32 exec_lo, exec_lo, s21
.LBB212_878:                            ;   in Loop: Header=BB212_522 Depth=1
	s_or_b32 exec_lo, exec_lo, s18
.LBB212_879:                            ;   in Loop: Header=BB212_522 Depth=1
	s_or_b32 exec_lo, exec_lo, s17
	v_mov_b32_e32 v23, 0
	v_mov_b32_e32 v21, 0
	v_and_b32_sdwa v5, v97, v47 dst_sel:DWORD dst_unused:UNUSED_PAD src0_sel:WORD_1 src1_sel:DWORD
	v_mov_b32_e32 v24, 0
	v_mov_b32_e32 v22, 0
	s_mov_b32 s17, exec_lo
	v_cmpx_ne_u16_e32 0, v5
	s_cbranch_execz .LBB212_887
; %bb.880:                              ;   in Loop: Header=BB212_522 Depth=1
	v_bfrev_b32_e32 v21, 1
	v_mov_b32_e32 v22, 0
	s_mov_b32 s18, exec_lo
	v_cmpx_ne_u16_e32 0x80, v5
	s_cbranch_execz .LBB212_886
; %bb.881:                              ;   in Loop: Header=BB212_522 Depth=1
	v_mov_b32_e32 v21, 0x7f800001
	v_bfe_u32 v9, v97, 16, 7
	v_mov_b32_e32 v22, 0
	s_mov_b32 s21, exec_lo
	v_cmpx_ne_u32_e32 0x7f, v9
	s_cbranch_execz .LBB212_885
; %bb.882:                              ;   in Loop: Header=BB212_522 Depth=1
	v_and_b32_sdwa v5, v97, v48 dst_sel:DWORD dst_unused:UNUSED_PAD src0_sel:WORD_1 src1_sel:DWORD
	v_lshrrev_b32_e32 v7, 3, v9
	s_mov_b32 s22, exec_lo
	v_cmpx_gt_u32_e32 8, v9
; %bb.883:                              ;   in Loop: Header=BB212_522 Depth=1
	v_ffbh_u32_e32 v7, v5
	v_min_u32_e32 v7, 32, v7
	v_subrev_nc_u32_e32 v9, 28, v7
	v_sub_nc_u32_e32 v7, 29, v7
	v_lshlrev_b64 v[21:22], v9, v[5:6]
	v_and_b32_e32 v5, 7, v21
; %bb.884:                              ;   in Loop: Header=BB212_522 Depth=1
	s_or_b32 exec_lo, exec_lo, s22
	v_lshlrev_b32_sdwa v9, v50, v97 dst_sel:DWORD dst_unused:UNUSED_PAD src0_sel:DWORD src1_sel:WORD_1
	v_lshlrev_b32_e32 v5, 20, v5
	v_lshl_add_u32 v7, v7, 23, 0x3c000000
	v_and_b32_e32 v9, 0x80000000, v9
	v_or3_b32 v5, v5, v9, v7
	v_mov_b32_e32 v22, v6
	v_mov_b32_e32 v21, v5
.LBB212_885:                            ;   in Loop: Header=BB212_522 Depth=1
	s_or_b32 exec_lo, exec_lo, s21
.LBB212_886:                            ;   in Loop: Header=BB212_522 Depth=1
	s_or_b32 exec_lo, exec_lo, s18
.LBB212_887:                            ;   in Loop: Header=BB212_522 Depth=1
	s_or_b32 exec_lo, exec_lo, s17
	s_mov_b32 s17, exec_lo
	v_cmpx_lt_u32_e32 0xffffff, v97
	s_cbranch_execz .LBB212_895
; %bb.888:                              ;   in Loop: Header=BB212_522 Depth=1
	v_mov_b32_e32 v7, v6
	v_mov_b32_e32 v24, v8
	v_cmp_ne_u32_sdwa s0, v97, v45 src0_sel:BYTE_3 src1_sel:DWORD
	v_mov_b32_e32 v23, v7
	s_and_saveexec_b32 s18, s0
	s_cbranch_execz .LBB212_894
; %bb.889:                              ;   in Loop: Header=BB212_522 Depth=1
	v_mov_b32_e32 v9, v6
	v_mov_b32_e32 v24, v10
	v_bfe_u32 v98, v97, 24, 7
	s_mov_b32 s21, exec_lo
	v_mov_b32_e32 v23, v9
	v_cmpx_ne_u32_e32 0x7f, v98
	s_cbranch_execz .LBB212_893
; %bb.890:                              ;   in Loop: Header=BB212_522 Depth=1
	v_and_b32_sdwa v5, v97, v48 dst_sel:DWORD dst_unused:UNUSED_PAD src0_sel:BYTE_3 src1_sel:DWORD
	v_lshrrev_b32_e32 v7, 3, v98
	s_mov_b32 s22, exec_lo
	v_cmpx_gt_u32_e32 8, v98
; %bb.891:                              ;   in Loop: Header=BB212_522 Depth=1
	v_ffbh_u32_e32 v7, v5
	v_min_u32_e32 v7, 32, v7
	v_subrev_nc_u32_e32 v9, 28, v7
	v_sub_nc_u32_e32 v7, 29, v7
	v_lshlrev_b64 v[23:24], v9, v[5:6]
	v_and_b32_e32 v5, 7, v23
; %bb.892:                              ;   in Loop: Header=BB212_522 Depth=1
	s_or_b32 exec_lo, exec_lo, s22
	v_lshlrev_b32_sdwa v9, v50, v97 dst_sel:DWORD dst_unused:UNUSED_PAD src0_sel:DWORD src1_sel:BYTE_3
	v_lshlrev_b32_e32 v5, 20, v5
	v_lshl_add_u32 v7, v7, 23, 0x3c000000
	v_mov_b32_e32 v23, v6
	v_and_b32_e32 v9, 0x80000000, v9
	v_or3_b32 v24, v5, v9, v7
.LBB212_893:                            ;   in Loop: Header=BB212_522 Depth=1
	s_or_b32 exec_lo, exec_lo, s21
.LBB212_894:                            ;   in Loop: Header=BB212_522 Depth=1
	s_or_b32 exec_lo, exec_lo, s18
.LBB212_895:                            ;   in Loop: Header=BB212_522 Depth=1
	s_or_b32 exec_lo, exec_lo, s17
	v_or_b32_e32 v5, v20, v18
	v_or_b32_e32 v7, v19, v17
	;; [unrolled: 1-line block ×4, first 2 shown]
	v_mul_f32_e32 v99, s13, v5
	v_mul_f32_e32 v100, s12, v7
	;; [unrolled: 1-line block ×4, first 2 shown]
	s_and_saveexec_b32 s17, vcc_lo
	s_cbranch_execz .LBB212_897
; %bb.896:                              ;   in Loop: Header=BB212_522 Depth=1
	v_cmp_gt_i32_e64 s0, s31, v57
	v_cndmask_b32_e64 v100, 0, v100, s0
	v_cmp_gt_i32_e64 s0, s31, v60
	v_cndmask_b32_e64 v99, 0, v99, s0
	;; [unrolled: 2-line block ×4, first 2 shown]
.LBB212_897:                            ;   in Loop: Header=BB212_522 Depth=1
	s_or_b32 exec_lo, exec_lo, s17
	global_load_dword v101, v[15:16], off offset:1408
	v_mov_b32_e32 v19, 0
	v_mov_b32_e32 v17, 0
	;; [unrolled: 1-line block ×4, first 2 shown]
	s_waitcnt vmcnt(0)
	v_cmp_ne_u16_sdwa s0, v101, v6 src0_sel:BYTE_0 src1_sel:DWORD
	s_and_saveexec_b32 s17, s0
	s_cbranch_execz .LBB212_905
; %bb.898:                              ;   in Loop: Header=BB212_522 Depth=1
	v_bfrev_b32_e32 v17, 1
	v_mov_b32_e32 v18, 0
	v_cmp_ne_u16_sdwa s0, v101, v45 src0_sel:BYTE_0 src1_sel:DWORD
	s_and_saveexec_b32 s18, s0
	s_cbranch_execz .LBB212_904
; %bb.899:                              ;   in Loop: Header=BB212_522 Depth=1
	v_mov_b32_e32 v17, 0x7f800001
	v_and_b32_e32 v9, 0x7f, v101
	v_mov_b32_e32 v18, 0
	s_mov_b32 s21, exec_lo
	v_cmpx_ne_u32_e32 0x7f, v9
	s_cbranch_execz .LBB212_903
; %bb.900:                              ;   in Loop: Header=BB212_522 Depth=1
	v_and_b32_e32 v5, 7, v101
	v_lshrrev_b32_e32 v7, 3, v9
	s_mov_b32 s22, exec_lo
	v_cmpx_gt_u32_e32 8, v9
; %bb.901:                              ;   in Loop: Header=BB212_522 Depth=1
	v_ffbh_u32_e32 v7, v5
	v_min_u32_e32 v7, 32, v7
	v_subrev_nc_u32_e32 v9, 28, v7
	v_sub_nc_u32_e32 v7, 29, v7
	v_lshlrev_b64 v[17:18], v9, v[5:6]
	v_and_b32_e32 v5, 7, v17
; %bb.902:                              ;   in Loop: Header=BB212_522 Depth=1
	s_or_b32 exec_lo, exec_lo, s22
	v_lshlrev_b32_e32 v9, 24, v101
	v_lshlrev_b32_e32 v5, 20, v5
	v_lshl_add_u32 v7, v7, 23, 0x3c000000
	v_and_b32_e32 v9, 0x80000000, v9
	v_or3_b32 v5, v5, v9, v7
	v_mov_b32_e32 v18, v6
	v_mov_b32_e32 v17, v5
.LBB212_903:                            ;   in Loop: Header=BB212_522 Depth=1
	s_or_b32 exec_lo, exec_lo, s21
.LBB212_904:                            ;   in Loop: Header=BB212_522 Depth=1
	s_or_b32 exec_lo, exec_lo, s18
.LBB212_905:                            ;   in Loop: Header=BB212_522 Depth=1
	s_or_b32 exec_lo, exec_lo, s17
	v_cmp_ne_u16_sdwa s0, v101, v6 src0_sel:BYTE_1 src1_sel:DWORD
	s_and_saveexec_b32 s17, s0
	s_cbranch_execz .LBB212_913
; %bb.906:                              ;   in Loop: Header=BB212_522 Depth=1
	v_mov_b32_e32 v7, v6
	v_mov_b32_e32 v20, v8
	v_cmp_ne_u16_sdwa s0, v101, v45 src0_sel:BYTE_1 src1_sel:DWORD
	v_mov_b32_e32 v19, v7
	s_and_saveexec_b32 s18, s0
	s_cbranch_execz .LBB212_912
; %bb.907:                              ;   in Loop: Header=BB212_522 Depth=1
	v_and_b32_sdwa v5, v46, v101 dst_sel:DWORD dst_unused:UNUSED_PAD src0_sel:DWORD src1_sel:BYTE_1
	v_mov_b32_e32 v9, v6
	v_mov_b32_e32 v20, v10
	s_mov_b32 s21, exec_lo
	v_and_b32_e32 v21, 0x7f, v5
	v_mov_b32_e32 v19, v9
	v_cmpx_ne_u32_e32 0x7f, v21
	s_cbranch_execz .LBB212_911
; %bb.908:                              ;   in Loop: Header=BB212_522 Depth=1
	v_and_b32_e32 v5, 7, v5
	v_lshrrev_b32_e32 v7, 3, v21
	s_mov_b32 s22, exec_lo
	v_cmpx_gt_u32_e32 8, v21
; %bb.909:                              ;   in Loop: Header=BB212_522 Depth=1
	v_ffbh_u32_e32 v7, v5
	v_min_u32_e32 v7, 32, v7
	v_subrev_nc_u32_e32 v9, 28, v7
	v_sub_nc_u32_e32 v7, 29, v7
	v_lshlrev_b64 v[19:20], v9, v[5:6]
	v_and_b32_e32 v5, 7, v19
; %bb.910:                              ;   in Loop: Header=BB212_522 Depth=1
	s_or_b32 exec_lo, exec_lo, s22
	v_lshlrev_b32_e32 v9, 16, v101
	v_lshlrev_b32_e32 v5, 20, v5
	v_lshl_add_u32 v7, v7, 23, 0x3c000000
	v_mov_b32_e32 v19, v6
	v_and_b32_e32 v9, 0x80000000, v9
	v_or3_b32 v20, v5, v9, v7
.LBB212_911:                            ;   in Loop: Header=BB212_522 Depth=1
	s_or_b32 exec_lo, exec_lo, s21
.LBB212_912:                            ;   in Loop: Header=BB212_522 Depth=1
	s_or_b32 exec_lo, exec_lo, s18
.LBB212_913:                            ;   in Loop: Header=BB212_522 Depth=1
	s_or_b32 exec_lo, exec_lo, s17
	v_mov_b32_e32 v23, 0
	v_mov_b32_e32 v21, 0
	v_and_b32_sdwa v5, v101, v47 dst_sel:DWORD dst_unused:UNUSED_PAD src0_sel:WORD_1 src1_sel:DWORD
	v_mov_b32_e32 v24, 0
	v_mov_b32_e32 v22, 0
	s_mov_b32 s17, exec_lo
	v_cmpx_ne_u16_e32 0, v5
	s_cbranch_execz .LBB212_921
; %bb.914:                              ;   in Loop: Header=BB212_522 Depth=1
	v_bfrev_b32_e32 v21, 1
	v_mov_b32_e32 v22, 0
	s_mov_b32 s18, exec_lo
	v_cmpx_ne_u16_e32 0x80, v5
	s_cbranch_execz .LBB212_920
; %bb.915:                              ;   in Loop: Header=BB212_522 Depth=1
	v_mov_b32_e32 v21, 0x7f800001
	v_bfe_u32 v9, v101, 16, 7
	v_mov_b32_e32 v22, 0
	s_mov_b32 s21, exec_lo
	v_cmpx_ne_u32_e32 0x7f, v9
	s_cbranch_execz .LBB212_919
; %bb.916:                              ;   in Loop: Header=BB212_522 Depth=1
	v_and_b32_sdwa v5, v101, v48 dst_sel:DWORD dst_unused:UNUSED_PAD src0_sel:WORD_1 src1_sel:DWORD
	v_lshrrev_b32_e32 v7, 3, v9
	s_mov_b32 s22, exec_lo
	v_cmpx_gt_u32_e32 8, v9
; %bb.917:                              ;   in Loop: Header=BB212_522 Depth=1
	v_ffbh_u32_e32 v7, v5
	v_min_u32_e32 v7, 32, v7
	v_subrev_nc_u32_e32 v9, 28, v7
	v_sub_nc_u32_e32 v7, 29, v7
	v_lshlrev_b64 v[21:22], v9, v[5:6]
	v_and_b32_e32 v5, 7, v21
; %bb.918:                              ;   in Loop: Header=BB212_522 Depth=1
	s_or_b32 exec_lo, exec_lo, s22
	v_lshlrev_b32_sdwa v9, v50, v101 dst_sel:DWORD dst_unused:UNUSED_PAD src0_sel:DWORD src1_sel:WORD_1
	v_lshlrev_b32_e32 v5, 20, v5
	v_lshl_add_u32 v7, v7, 23, 0x3c000000
	v_and_b32_e32 v9, 0x80000000, v9
	v_or3_b32 v5, v5, v9, v7
	v_mov_b32_e32 v22, v6
	v_mov_b32_e32 v21, v5
.LBB212_919:                            ;   in Loop: Header=BB212_522 Depth=1
	s_or_b32 exec_lo, exec_lo, s21
.LBB212_920:                            ;   in Loop: Header=BB212_522 Depth=1
	s_or_b32 exec_lo, exec_lo, s18
.LBB212_921:                            ;   in Loop: Header=BB212_522 Depth=1
	s_or_b32 exec_lo, exec_lo, s17
	s_mov_b32 s17, exec_lo
	v_cmpx_lt_u32_e32 0xffffff, v101
	s_cbranch_execz .LBB212_929
; %bb.922:                              ;   in Loop: Header=BB212_522 Depth=1
	v_mov_b32_e32 v7, v6
	v_mov_b32_e32 v24, v8
	v_cmp_ne_u32_sdwa s0, v101, v45 src0_sel:BYTE_3 src1_sel:DWORD
	v_mov_b32_e32 v23, v7
	s_and_saveexec_b32 s18, s0
	s_cbranch_execz .LBB212_928
; %bb.923:                              ;   in Loop: Header=BB212_522 Depth=1
	v_mov_b32_e32 v9, v6
	v_mov_b32_e32 v24, v10
	v_bfe_u32 v102, v101, 24, 7
	s_mov_b32 s21, exec_lo
	v_mov_b32_e32 v23, v9
	v_cmpx_ne_u32_e32 0x7f, v102
	s_cbranch_execz .LBB212_927
; %bb.924:                              ;   in Loop: Header=BB212_522 Depth=1
	v_and_b32_sdwa v5, v101, v48 dst_sel:DWORD dst_unused:UNUSED_PAD src0_sel:BYTE_3 src1_sel:DWORD
	v_lshrrev_b32_e32 v7, 3, v102
	s_mov_b32 s22, exec_lo
	v_cmpx_gt_u32_e32 8, v102
; %bb.925:                              ;   in Loop: Header=BB212_522 Depth=1
	v_ffbh_u32_e32 v7, v5
	v_min_u32_e32 v7, 32, v7
	v_subrev_nc_u32_e32 v9, 28, v7
	v_sub_nc_u32_e32 v7, 29, v7
	v_lshlrev_b64 v[23:24], v9, v[5:6]
	v_and_b32_e32 v5, 7, v23
; %bb.926:                              ;   in Loop: Header=BB212_522 Depth=1
	s_or_b32 exec_lo, exec_lo, s22
	v_lshlrev_b32_sdwa v9, v50, v101 dst_sel:DWORD dst_unused:UNUSED_PAD src0_sel:DWORD src1_sel:BYTE_3
	v_lshlrev_b32_e32 v5, 20, v5
	v_lshl_add_u32 v7, v7, 23, 0x3c000000
	v_mov_b32_e32 v23, v6
	v_and_b32_e32 v9, 0x80000000, v9
	v_or3_b32 v24, v5, v9, v7
.LBB212_927:                            ;   in Loop: Header=BB212_522 Depth=1
	s_or_b32 exec_lo, exec_lo, s21
.LBB212_928:                            ;   in Loop: Header=BB212_522 Depth=1
	s_or_b32 exec_lo, exec_lo, s18
.LBB212_929:                            ;   in Loop: Header=BB212_522 Depth=1
	s_or_b32 exec_lo, exec_lo, s17
	v_or_b32_e32 v5, v20, v18
	v_or_b32_e32 v7, v19, v17
	v_or_b32_e32 v9, v23, v21
	v_or_b32_e32 v17, v24, v22
	v_mul_f32_e32 v103, s13, v5
	v_mul_f32_e32 v104, s12, v7
	;; [unrolled: 1-line block ×4, first 2 shown]
	s_and_saveexec_b32 s17, vcc_lo
	s_cbranch_execz .LBB212_931
; %bb.930:                              ;   in Loop: Header=BB212_522 Depth=1
	v_cmp_gt_i32_e64 s0, s31, v57
	v_cndmask_b32_e64 v104, 0, v104, s0
	v_cmp_gt_i32_e64 s0, s31, v60
	v_cndmask_b32_e64 v103, 0, v103, s0
	;; [unrolled: 2-line block ×4, first 2 shown]
.LBB212_931:                            ;   in Loop: Header=BB212_522 Depth=1
	s_or_b32 exec_lo, exec_lo, s17
	global_load_dword v105, v[15:16], off offset:1536
	v_mov_b32_e32 v19, 0
	v_mov_b32_e32 v17, 0
	;; [unrolled: 1-line block ×4, first 2 shown]
	s_waitcnt vmcnt(0)
	v_cmp_ne_u16_sdwa s0, v105, v6 src0_sel:BYTE_0 src1_sel:DWORD
	s_and_saveexec_b32 s17, s0
	s_cbranch_execz .LBB212_939
; %bb.932:                              ;   in Loop: Header=BB212_522 Depth=1
	v_bfrev_b32_e32 v17, 1
	v_mov_b32_e32 v18, 0
	v_cmp_ne_u16_sdwa s0, v105, v45 src0_sel:BYTE_0 src1_sel:DWORD
	s_and_saveexec_b32 s18, s0
	s_cbranch_execz .LBB212_938
; %bb.933:                              ;   in Loop: Header=BB212_522 Depth=1
	v_mov_b32_e32 v17, 0x7f800001
	v_and_b32_e32 v9, 0x7f, v105
	v_mov_b32_e32 v18, 0
	s_mov_b32 s21, exec_lo
	v_cmpx_ne_u32_e32 0x7f, v9
	s_cbranch_execz .LBB212_937
; %bb.934:                              ;   in Loop: Header=BB212_522 Depth=1
	v_and_b32_e32 v5, 7, v105
	v_lshrrev_b32_e32 v7, 3, v9
	s_mov_b32 s22, exec_lo
	v_cmpx_gt_u32_e32 8, v9
; %bb.935:                              ;   in Loop: Header=BB212_522 Depth=1
	v_ffbh_u32_e32 v7, v5
	v_min_u32_e32 v7, 32, v7
	v_subrev_nc_u32_e32 v9, 28, v7
	v_sub_nc_u32_e32 v7, 29, v7
	v_lshlrev_b64 v[17:18], v9, v[5:6]
	v_and_b32_e32 v5, 7, v17
; %bb.936:                              ;   in Loop: Header=BB212_522 Depth=1
	s_or_b32 exec_lo, exec_lo, s22
	v_lshlrev_b32_e32 v9, 24, v105
	v_lshlrev_b32_e32 v5, 20, v5
	v_lshl_add_u32 v7, v7, 23, 0x3c000000
	v_and_b32_e32 v9, 0x80000000, v9
	v_or3_b32 v5, v5, v9, v7
	v_mov_b32_e32 v18, v6
	v_mov_b32_e32 v17, v5
.LBB212_937:                            ;   in Loop: Header=BB212_522 Depth=1
	s_or_b32 exec_lo, exec_lo, s21
.LBB212_938:                            ;   in Loop: Header=BB212_522 Depth=1
	s_or_b32 exec_lo, exec_lo, s18
.LBB212_939:                            ;   in Loop: Header=BB212_522 Depth=1
	s_or_b32 exec_lo, exec_lo, s17
	v_cmp_ne_u16_sdwa s0, v105, v6 src0_sel:BYTE_1 src1_sel:DWORD
	s_and_saveexec_b32 s17, s0
	s_cbranch_execz .LBB212_947
; %bb.940:                              ;   in Loop: Header=BB212_522 Depth=1
	v_mov_b32_e32 v7, v6
	v_mov_b32_e32 v20, v8
	v_cmp_ne_u16_sdwa s0, v105, v45 src0_sel:BYTE_1 src1_sel:DWORD
	v_mov_b32_e32 v19, v7
	s_and_saveexec_b32 s18, s0
	s_cbranch_execz .LBB212_946
; %bb.941:                              ;   in Loop: Header=BB212_522 Depth=1
	v_and_b32_sdwa v5, v46, v105 dst_sel:DWORD dst_unused:UNUSED_PAD src0_sel:DWORD src1_sel:BYTE_1
	v_mov_b32_e32 v9, v6
	v_mov_b32_e32 v20, v10
	s_mov_b32 s21, exec_lo
	v_and_b32_e32 v21, 0x7f, v5
	v_mov_b32_e32 v19, v9
	v_cmpx_ne_u32_e32 0x7f, v21
	s_cbranch_execz .LBB212_945
; %bb.942:                              ;   in Loop: Header=BB212_522 Depth=1
	v_and_b32_e32 v5, 7, v5
	v_lshrrev_b32_e32 v7, 3, v21
	s_mov_b32 s22, exec_lo
	v_cmpx_gt_u32_e32 8, v21
; %bb.943:                              ;   in Loop: Header=BB212_522 Depth=1
	v_ffbh_u32_e32 v7, v5
	v_min_u32_e32 v7, 32, v7
	v_subrev_nc_u32_e32 v9, 28, v7
	v_sub_nc_u32_e32 v7, 29, v7
	v_lshlrev_b64 v[19:20], v9, v[5:6]
	v_and_b32_e32 v5, 7, v19
; %bb.944:                              ;   in Loop: Header=BB212_522 Depth=1
	s_or_b32 exec_lo, exec_lo, s22
	v_lshlrev_b32_e32 v9, 16, v105
	v_lshlrev_b32_e32 v5, 20, v5
	v_lshl_add_u32 v7, v7, 23, 0x3c000000
	v_mov_b32_e32 v19, v6
	v_and_b32_e32 v9, 0x80000000, v9
	v_or3_b32 v20, v5, v9, v7
.LBB212_945:                            ;   in Loop: Header=BB212_522 Depth=1
	s_or_b32 exec_lo, exec_lo, s21
.LBB212_946:                            ;   in Loop: Header=BB212_522 Depth=1
	s_or_b32 exec_lo, exec_lo, s18
.LBB212_947:                            ;   in Loop: Header=BB212_522 Depth=1
	s_or_b32 exec_lo, exec_lo, s17
	v_mov_b32_e32 v23, 0
	v_mov_b32_e32 v21, 0
	v_and_b32_sdwa v5, v105, v47 dst_sel:DWORD dst_unused:UNUSED_PAD src0_sel:WORD_1 src1_sel:DWORD
	v_mov_b32_e32 v24, 0
	v_mov_b32_e32 v22, 0
	s_mov_b32 s17, exec_lo
	v_cmpx_ne_u16_e32 0, v5
	s_cbranch_execz .LBB212_955
; %bb.948:                              ;   in Loop: Header=BB212_522 Depth=1
	v_bfrev_b32_e32 v21, 1
	v_mov_b32_e32 v22, 0
	s_mov_b32 s18, exec_lo
	v_cmpx_ne_u16_e32 0x80, v5
	s_cbranch_execz .LBB212_954
; %bb.949:                              ;   in Loop: Header=BB212_522 Depth=1
	v_mov_b32_e32 v21, 0x7f800001
	v_bfe_u32 v9, v105, 16, 7
	v_mov_b32_e32 v22, 0
	s_mov_b32 s21, exec_lo
	v_cmpx_ne_u32_e32 0x7f, v9
	s_cbranch_execz .LBB212_953
; %bb.950:                              ;   in Loop: Header=BB212_522 Depth=1
	v_and_b32_sdwa v5, v105, v48 dst_sel:DWORD dst_unused:UNUSED_PAD src0_sel:WORD_1 src1_sel:DWORD
	v_lshrrev_b32_e32 v7, 3, v9
	s_mov_b32 s22, exec_lo
	v_cmpx_gt_u32_e32 8, v9
; %bb.951:                              ;   in Loop: Header=BB212_522 Depth=1
	v_ffbh_u32_e32 v7, v5
	v_min_u32_e32 v7, 32, v7
	v_subrev_nc_u32_e32 v9, 28, v7
	v_sub_nc_u32_e32 v7, 29, v7
	v_lshlrev_b64 v[21:22], v9, v[5:6]
	v_and_b32_e32 v5, 7, v21
; %bb.952:                              ;   in Loop: Header=BB212_522 Depth=1
	s_or_b32 exec_lo, exec_lo, s22
	v_lshlrev_b32_sdwa v9, v50, v105 dst_sel:DWORD dst_unused:UNUSED_PAD src0_sel:DWORD src1_sel:WORD_1
	v_lshlrev_b32_e32 v5, 20, v5
	v_lshl_add_u32 v7, v7, 23, 0x3c000000
	v_and_b32_e32 v9, 0x80000000, v9
	v_or3_b32 v5, v5, v9, v7
	v_mov_b32_e32 v22, v6
	v_mov_b32_e32 v21, v5
.LBB212_953:                            ;   in Loop: Header=BB212_522 Depth=1
	s_or_b32 exec_lo, exec_lo, s21
.LBB212_954:                            ;   in Loop: Header=BB212_522 Depth=1
	s_or_b32 exec_lo, exec_lo, s18
.LBB212_955:                            ;   in Loop: Header=BB212_522 Depth=1
	s_or_b32 exec_lo, exec_lo, s17
	s_mov_b32 s17, exec_lo
	v_cmpx_lt_u32_e32 0xffffff, v105
	s_cbranch_execz .LBB212_963
; %bb.956:                              ;   in Loop: Header=BB212_522 Depth=1
	v_mov_b32_e32 v7, v6
	v_mov_b32_e32 v24, v8
	v_cmp_ne_u32_sdwa s0, v105, v45 src0_sel:BYTE_3 src1_sel:DWORD
	v_mov_b32_e32 v23, v7
	s_and_saveexec_b32 s18, s0
	s_cbranch_execz .LBB212_962
; %bb.957:                              ;   in Loop: Header=BB212_522 Depth=1
	v_mov_b32_e32 v9, v6
	v_mov_b32_e32 v24, v10
	v_bfe_u32 v106, v105, 24, 7
	s_mov_b32 s21, exec_lo
	v_mov_b32_e32 v23, v9
	v_cmpx_ne_u32_e32 0x7f, v106
	s_cbranch_execz .LBB212_961
; %bb.958:                              ;   in Loop: Header=BB212_522 Depth=1
	v_and_b32_sdwa v5, v105, v48 dst_sel:DWORD dst_unused:UNUSED_PAD src0_sel:BYTE_3 src1_sel:DWORD
	v_lshrrev_b32_e32 v7, 3, v106
	s_mov_b32 s22, exec_lo
	v_cmpx_gt_u32_e32 8, v106
; %bb.959:                              ;   in Loop: Header=BB212_522 Depth=1
	v_ffbh_u32_e32 v7, v5
	v_min_u32_e32 v7, 32, v7
	v_subrev_nc_u32_e32 v9, 28, v7
	v_sub_nc_u32_e32 v7, 29, v7
	v_lshlrev_b64 v[23:24], v9, v[5:6]
	v_and_b32_e32 v5, 7, v23
; %bb.960:                              ;   in Loop: Header=BB212_522 Depth=1
	s_or_b32 exec_lo, exec_lo, s22
	v_lshlrev_b32_sdwa v9, v50, v105 dst_sel:DWORD dst_unused:UNUSED_PAD src0_sel:DWORD src1_sel:BYTE_3
	v_lshlrev_b32_e32 v5, 20, v5
	v_lshl_add_u32 v7, v7, 23, 0x3c000000
	v_mov_b32_e32 v23, v6
	v_and_b32_e32 v9, 0x80000000, v9
	v_or3_b32 v24, v5, v9, v7
.LBB212_961:                            ;   in Loop: Header=BB212_522 Depth=1
	s_or_b32 exec_lo, exec_lo, s21
.LBB212_962:                            ;   in Loop: Header=BB212_522 Depth=1
	s_or_b32 exec_lo, exec_lo, s18
.LBB212_963:                            ;   in Loop: Header=BB212_522 Depth=1
	s_or_b32 exec_lo, exec_lo, s17
	v_or_b32_e32 v5, v20, v18
	v_or_b32_e32 v7, v19, v17
	;; [unrolled: 1-line block ×4, first 2 shown]
	v_mul_f32_e32 v107, s13, v5
	v_mul_f32_e32 v108, s12, v7
	;; [unrolled: 1-line block ×4, first 2 shown]
	s_and_saveexec_b32 s17, vcc_lo
	s_cbranch_execz .LBB212_965
; %bb.964:                              ;   in Loop: Header=BB212_522 Depth=1
	v_cmp_gt_i32_e64 s0, s31, v57
	v_cndmask_b32_e64 v108, 0, v108, s0
	v_cmp_gt_i32_e64 s0, s31, v60
	v_cndmask_b32_e64 v107, 0, v107, s0
	;; [unrolled: 2-line block ×4, first 2 shown]
.LBB212_965:                            ;   in Loop: Header=BB212_522 Depth=1
	s_or_b32 exec_lo, exec_lo, s17
	global_load_dword v109, v[15:16], off offset:1664
	v_mov_b32_e32 v19, 0
	v_mov_b32_e32 v17, 0
	;; [unrolled: 1-line block ×4, first 2 shown]
	s_waitcnt vmcnt(0)
	v_cmp_ne_u16_sdwa s0, v109, v6 src0_sel:BYTE_0 src1_sel:DWORD
	s_and_saveexec_b32 s17, s0
	s_cbranch_execz .LBB212_973
; %bb.966:                              ;   in Loop: Header=BB212_522 Depth=1
	v_bfrev_b32_e32 v17, 1
	v_mov_b32_e32 v18, 0
	v_cmp_ne_u16_sdwa s0, v109, v45 src0_sel:BYTE_0 src1_sel:DWORD
	s_and_saveexec_b32 s18, s0
	s_cbranch_execz .LBB212_972
; %bb.967:                              ;   in Loop: Header=BB212_522 Depth=1
	v_mov_b32_e32 v17, 0x7f800001
	v_and_b32_e32 v9, 0x7f, v109
	v_mov_b32_e32 v18, 0
	s_mov_b32 s21, exec_lo
	v_cmpx_ne_u32_e32 0x7f, v9
	s_cbranch_execz .LBB212_971
; %bb.968:                              ;   in Loop: Header=BB212_522 Depth=1
	v_and_b32_e32 v5, 7, v109
	v_lshrrev_b32_e32 v7, 3, v9
	s_mov_b32 s22, exec_lo
	v_cmpx_gt_u32_e32 8, v9
; %bb.969:                              ;   in Loop: Header=BB212_522 Depth=1
	v_ffbh_u32_e32 v7, v5
	v_min_u32_e32 v7, 32, v7
	v_subrev_nc_u32_e32 v9, 28, v7
	v_sub_nc_u32_e32 v7, 29, v7
	v_lshlrev_b64 v[17:18], v9, v[5:6]
	v_and_b32_e32 v5, 7, v17
; %bb.970:                              ;   in Loop: Header=BB212_522 Depth=1
	s_or_b32 exec_lo, exec_lo, s22
	v_lshlrev_b32_e32 v9, 24, v109
	v_lshlrev_b32_e32 v5, 20, v5
	v_lshl_add_u32 v7, v7, 23, 0x3c000000
	v_and_b32_e32 v9, 0x80000000, v9
	v_or3_b32 v5, v5, v9, v7
	v_mov_b32_e32 v18, v6
	v_mov_b32_e32 v17, v5
.LBB212_971:                            ;   in Loop: Header=BB212_522 Depth=1
	s_or_b32 exec_lo, exec_lo, s21
.LBB212_972:                            ;   in Loop: Header=BB212_522 Depth=1
	s_or_b32 exec_lo, exec_lo, s18
.LBB212_973:                            ;   in Loop: Header=BB212_522 Depth=1
	s_or_b32 exec_lo, exec_lo, s17
	v_cmp_ne_u16_sdwa s0, v109, v6 src0_sel:BYTE_1 src1_sel:DWORD
	s_and_saveexec_b32 s17, s0
	s_cbranch_execz .LBB212_981
; %bb.974:                              ;   in Loop: Header=BB212_522 Depth=1
	v_mov_b32_e32 v7, v6
	v_mov_b32_e32 v20, v8
	v_cmp_ne_u16_sdwa s0, v109, v45 src0_sel:BYTE_1 src1_sel:DWORD
	v_mov_b32_e32 v19, v7
	s_and_saveexec_b32 s18, s0
	s_cbranch_execz .LBB212_980
; %bb.975:                              ;   in Loop: Header=BB212_522 Depth=1
	v_and_b32_sdwa v5, v46, v109 dst_sel:DWORD dst_unused:UNUSED_PAD src0_sel:DWORD src1_sel:BYTE_1
	v_mov_b32_e32 v9, v6
	v_mov_b32_e32 v20, v10
	s_mov_b32 s21, exec_lo
	v_and_b32_e32 v21, 0x7f, v5
	v_mov_b32_e32 v19, v9
	v_cmpx_ne_u32_e32 0x7f, v21
	s_cbranch_execz .LBB212_979
; %bb.976:                              ;   in Loop: Header=BB212_522 Depth=1
	v_and_b32_e32 v5, 7, v5
	v_lshrrev_b32_e32 v7, 3, v21
	s_mov_b32 s22, exec_lo
	v_cmpx_gt_u32_e32 8, v21
; %bb.977:                              ;   in Loop: Header=BB212_522 Depth=1
	v_ffbh_u32_e32 v7, v5
	v_min_u32_e32 v7, 32, v7
	v_subrev_nc_u32_e32 v9, 28, v7
	v_sub_nc_u32_e32 v7, 29, v7
	v_lshlrev_b64 v[19:20], v9, v[5:6]
	v_and_b32_e32 v5, 7, v19
; %bb.978:                              ;   in Loop: Header=BB212_522 Depth=1
	s_or_b32 exec_lo, exec_lo, s22
	v_lshlrev_b32_e32 v9, 16, v109
	v_lshlrev_b32_e32 v5, 20, v5
	v_lshl_add_u32 v7, v7, 23, 0x3c000000
	v_mov_b32_e32 v19, v6
	v_and_b32_e32 v9, 0x80000000, v9
	v_or3_b32 v20, v5, v9, v7
.LBB212_979:                            ;   in Loop: Header=BB212_522 Depth=1
	s_or_b32 exec_lo, exec_lo, s21
.LBB212_980:                            ;   in Loop: Header=BB212_522 Depth=1
	s_or_b32 exec_lo, exec_lo, s18
.LBB212_981:                            ;   in Loop: Header=BB212_522 Depth=1
	s_or_b32 exec_lo, exec_lo, s17
	v_mov_b32_e32 v23, 0
	v_mov_b32_e32 v21, 0
	v_and_b32_sdwa v5, v109, v47 dst_sel:DWORD dst_unused:UNUSED_PAD src0_sel:WORD_1 src1_sel:DWORD
	v_mov_b32_e32 v24, 0
	v_mov_b32_e32 v22, 0
	s_mov_b32 s17, exec_lo
	v_cmpx_ne_u16_e32 0, v5
	s_cbranch_execz .LBB212_989
; %bb.982:                              ;   in Loop: Header=BB212_522 Depth=1
	v_bfrev_b32_e32 v21, 1
	v_mov_b32_e32 v22, 0
	s_mov_b32 s18, exec_lo
	v_cmpx_ne_u16_e32 0x80, v5
	s_cbranch_execz .LBB212_988
; %bb.983:                              ;   in Loop: Header=BB212_522 Depth=1
	v_mov_b32_e32 v21, 0x7f800001
	v_bfe_u32 v9, v109, 16, 7
	v_mov_b32_e32 v22, 0
	s_mov_b32 s21, exec_lo
	v_cmpx_ne_u32_e32 0x7f, v9
	s_cbranch_execz .LBB212_987
; %bb.984:                              ;   in Loop: Header=BB212_522 Depth=1
	v_and_b32_sdwa v5, v109, v48 dst_sel:DWORD dst_unused:UNUSED_PAD src0_sel:WORD_1 src1_sel:DWORD
	v_lshrrev_b32_e32 v7, 3, v9
	s_mov_b32 s22, exec_lo
	v_cmpx_gt_u32_e32 8, v9
; %bb.985:                              ;   in Loop: Header=BB212_522 Depth=1
	v_ffbh_u32_e32 v7, v5
	v_min_u32_e32 v7, 32, v7
	v_subrev_nc_u32_e32 v9, 28, v7
	v_sub_nc_u32_e32 v7, 29, v7
	v_lshlrev_b64 v[21:22], v9, v[5:6]
	v_and_b32_e32 v5, 7, v21
; %bb.986:                              ;   in Loop: Header=BB212_522 Depth=1
	s_or_b32 exec_lo, exec_lo, s22
	v_lshlrev_b32_sdwa v9, v50, v109 dst_sel:DWORD dst_unused:UNUSED_PAD src0_sel:DWORD src1_sel:WORD_1
	v_lshlrev_b32_e32 v5, 20, v5
	v_lshl_add_u32 v7, v7, 23, 0x3c000000
	v_and_b32_e32 v9, 0x80000000, v9
	v_or3_b32 v5, v5, v9, v7
	v_mov_b32_e32 v22, v6
	v_mov_b32_e32 v21, v5
.LBB212_987:                            ;   in Loop: Header=BB212_522 Depth=1
	s_or_b32 exec_lo, exec_lo, s21
.LBB212_988:                            ;   in Loop: Header=BB212_522 Depth=1
	s_or_b32 exec_lo, exec_lo, s18
.LBB212_989:                            ;   in Loop: Header=BB212_522 Depth=1
	s_or_b32 exec_lo, exec_lo, s17
	s_mov_b32 s17, exec_lo
	v_cmpx_lt_u32_e32 0xffffff, v109
	s_cbranch_execz .LBB212_997
; %bb.990:                              ;   in Loop: Header=BB212_522 Depth=1
	v_mov_b32_e32 v7, v6
	v_mov_b32_e32 v24, v8
	v_cmp_ne_u32_sdwa s0, v109, v45 src0_sel:BYTE_3 src1_sel:DWORD
	v_mov_b32_e32 v23, v7
	s_and_saveexec_b32 s18, s0
	s_cbranch_execz .LBB212_996
; %bb.991:                              ;   in Loop: Header=BB212_522 Depth=1
	v_mov_b32_e32 v9, v6
	v_mov_b32_e32 v24, v10
	v_bfe_u32 v110, v109, 24, 7
	s_mov_b32 s21, exec_lo
	v_mov_b32_e32 v23, v9
	v_cmpx_ne_u32_e32 0x7f, v110
	s_cbranch_execz .LBB212_995
; %bb.992:                              ;   in Loop: Header=BB212_522 Depth=1
	v_and_b32_sdwa v5, v109, v48 dst_sel:DWORD dst_unused:UNUSED_PAD src0_sel:BYTE_3 src1_sel:DWORD
	v_lshrrev_b32_e32 v7, 3, v110
	s_mov_b32 s22, exec_lo
	v_cmpx_gt_u32_e32 8, v110
; %bb.993:                              ;   in Loop: Header=BB212_522 Depth=1
	v_ffbh_u32_e32 v7, v5
	v_min_u32_e32 v7, 32, v7
	v_subrev_nc_u32_e32 v9, 28, v7
	v_sub_nc_u32_e32 v7, 29, v7
	v_lshlrev_b64 v[23:24], v9, v[5:6]
	v_and_b32_e32 v5, 7, v23
; %bb.994:                              ;   in Loop: Header=BB212_522 Depth=1
	s_or_b32 exec_lo, exec_lo, s22
	v_lshlrev_b32_sdwa v9, v50, v109 dst_sel:DWORD dst_unused:UNUSED_PAD src0_sel:DWORD src1_sel:BYTE_3
	v_lshlrev_b32_e32 v5, 20, v5
	v_lshl_add_u32 v7, v7, 23, 0x3c000000
	v_mov_b32_e32 v23, v6
	v_and_b32_e32 v9, 0x80000000, v9
	v_or3_b32 v24, v5, v9, v7
.LBB212_995:                            ;   in Loop: Header=BB212_522 Depth=1
	s_or_b32 exec_lo, exec_lo, s21
.LBB212_996:                            ;   in Loop: Header=BB212_522 Depth=1
	s_or_b32 exec_lo, exec_lo, s18
.LBB212_997:                            ;   in Loop: Header=BB212_522 Depth=1
	s_or_b32 exec_lo, exec_lo, s17
	v_or_b32_e32 v5, v20, v18
	v_or_b32_e32 v7, v19, v17
	;; [unrolled: 1-line block ×4, first 2 shown]
	v_mul_f32_e32 v109, s13, v5
	v_mul_f32_e32 v110, s12, v7
	;; [unrolled: 1-line block ×4, first 2 shown]
	s_and_saveexec_b32 s17, vcc_lo
	s_cbranch_execz .LBB212_999
; %bb.998:                              ;   in Loop: Header=BB212_522 Depth=1
	v_cmp_gt_i32_e64 s0, s31, v57
	v_cndmask_b32_e64 v110, 0, v110, s0
	v_cmp_gt_i32_e64 s0, s31, v60
	v_cndmask_b32_e64 v109, 0, v109, s0
	;; [unrolled: 2-line block ×4, first 2 shown]
.LBB212_999:                            ;   in Loop: Header=BB212_522 Depth=1
	s_or_b32 exec_lo, exec_lo, s17
	global_load_dword v111, v[15:16], off offset:1792
	v_mov_b32_e32 v17, 0
	v_mov_b32_e32 v15, 0
	;; [unrolled: 1-line block ×4, first 2 shown]
	s_waitcnt vmcnt(0)
	v_cmp_ne_u16_sdwa s0, v111, v6 src0_sel:BYTE_0 src1_sel:DWORD
	s_and_saveexec_b32 s17, s0
	s_cbranch_execz .LBB212_1007
; %bb.1000:                             ;   in Loop: Header=BB212_522 Depth=1
	v_bfrev_b32_e32 v15, 1
	v_mov_b32_e32 v16, 0
	v_cmp_ne_u16_sdwa s0, v111, v45 src0_sel:BYTE_0 src1_sel:DWORD
	s_and_saveexec_b32 s18, s0
	s_cbranch_execz .LBB212_1006
; %bb.1001:                             ;   in Loop: Header=BB212_522 Depth=1
	v_mov_b32_e32 v15, 0x7f800001
	v_and_b32_e32 v9, 0x7f, v111
	v_mov_b32_e32 v16, 0
	s_mov_b32 s21, exec_lo
	v_cmpx_ne_u32_e32 0x7f, v9
	s_cbranch_execz .LBB212_1005
; %bb.1002:                             ;   in Loop: Header=BB212_522 Depth=1
	v_and_b32_e32 v5, 7, v111
	v_lshrrev_b32_e32 v7, 3, v9
	s_mov_b32 s22, exec_lo
	v_cmpx_gt_u32_e32 8, v9
; %bb.1003:                             ;   in Loop: Header=BB212_522 Depth=1
	v_ffbh_u32_e32 v7, v5
	v_min_u32_e32 v7, 32, v7
	v_subrev_nc_u32_e32 v9, 28, v7
	v_sub_nc_u32_e32 v7, 29, v7
	v_lshlrev_b64 v[15:16], v9, v[5:6]
	v_and_b32_e32 v5, 7, v15
; %bb.1004:                             ;   in Loop: Header=BB212_522 Depth=1
	s_or_b32 exec_lo, exec_lo, s22
	v_lshlrev_b32_e32 v9, 24, v111
	v_lshlrev_b32_e32 v5, 20, v5
	v_lshl_add_u32 v7, v7, 23, 0x3c000000
	v_and_b32_e32 v9, 0x80000000, v9
	v_or3_b32 v5, v5, v9, v7
	v_mov_b32_e32 v16, v6
	v_mov_b32_e32 v15, v5
.LBB212_1005:                           ;   in Loop: Header=BB212_522 Depth=1
	s_or_b32 exec_lo, exec_lo, s21
.LBB212_1006:                           ;   in Loop: Header=BB212_522 Depth=1
	s_or_b32 exec_lo, exec_lo, s18
.LBB212_1007:                           ;   in Loop: Header=BB212_522 Depth=1
	s_or_b32 exec_lo, exec_lo, s17
	v_cmp_ne_u16_sdwa s0, v111, v6 src0_sel:BYTE_1 src1_sel:DWORD
	s_and_saveexec_b32 s17, s0
	s_cbranch_execz .LBB212_1015
; %bb.1008:                             ;   in Loop: Header=BB212_522 Depth=1
	v_mov_b32_e32 v7, v6
	v_mov_b32_e32 v18, v8
	v_cmp_ne_u16_sdwa s0, v111, v45 src0_sel:BYTE_1 src1_sel:DWORD
	v_mov_b32_e32 v17, v7
	s_and_saveexec_b32 s18, s0
	s_cbranch_execz .LBB212_1014
; %bb.1009:                             ;   in Loop: Header=BB212_522 Depth=1
	v_and_b32_sdwa v5, v46, v111 dst_sel:DWORD dst_unused:UNUSED_PAD src0_sel:DWORD src1_sel:BYTE_1
	v_mov_b32_e32 v9, v6
	v_mov_b32_e32 v18, v10
	s_mov_b32 s21, exec_lo
	v_and_b32_e32 v19, 0x7f, v5
	v_mov_b32_e32 v17, v9
	v_cmpx_ne_u32_e32 0x7f, v19
	s_cbranch_execz .LBB212_1013
; %bb.1010:                             ;   in Loop: Header=BB212_522 Depth=1
	v_and_b32_e32 v5, 7, v5
	v_lshrrev_b32_e32 v7, 3, v19
	s_mov_b32 s22, exec_lo
	v_cmpx_gt_u32_e32 8, v19
; %bb.1011:                             ;   in Loop: Header=BB212_522 Depth=1
	v_ffbh_u32_e32 v7, v5
	v_min_u32_e32 v7, 32, v7
	v_subrev_nc_u32_e32 v9, 28, v7
	v_sub_nc_u32_e32 v7, 29, v7
	v_lshlrev_b64 v[17:18], v9, v[5:6]
	v_and_b32_e32 v5, 7, v17
; %bb.1012:                             ;   in Loop: Header=BB212_522 Depth=1
	s_or_b32 exec_lo, exec_lo, s22
	v_lshlrev_b32_e32 v9, 16, v111
	v_lshlrev_b32_e32 v5, 20, v5
	v_lshl_add_u32 v7, v7, 23, 0x3c000000
	v_mov_b32_e32 v17, v6
	v_and_b32_e32 v9, 0x80000000, v9
	v_or3_b32 v18, v5, v9, v7
.LBB212_1013:                           ;   in Loop: Header=BB212_522 Depth=1
	s_or_b32 exec_lo, exec_lo, s21
.LBB212_1014:                           ;   in Loop: Header=BB212_522 Depth=1
	s_or_b32 exec_lo, exec_lo, s18
.LBB212_1015:                           ;   in Loop: Header=BB212_522 Depth=1
	s_or_b32 exec_lo, exec_lo, s17
	v_mov_b32_e32 v21, 0
	v_mov_b32_e32 v19, 0
	v_and_b32_sdwa v5, v111, v47 dst_sel:DWORD dst_unused:UNUSED_PAD src0_sel:WORD_1 src1_sel:DWORD
	v_mov_b32_e32 v22, 0
	v_mov_b32_e32 v20, 0
	s_mov_b32 s17, exec_lo
	v_cmpx_ne_u16_e32 0, v5
	s_cbranch_execz .LBB212_1023
; %bb.1016:                             ;   in Loop: Header=BB212_522 Depth=1
	v_bfrev_b32_e32 v19, 1
	v_mov_b32_e32 v20, 0
	s_mov_b32 s18, exec_lo
	v_cmpx_ne_u16_e32 0x80, v5
	s_cbranch_execz .LBB212_1022
; %bb.1017:                             ;   in Loop: Header=BB212_522 Depth=1
	v_mov_b32_e32 v19, 0x7f800001
	v_bfe_u32 v9, v111, 16, 7
	v_mov_b32_e32 v20, 0
	s_mov_b32 s21, exec_lo
	v_cmpx_ne_u32_e32 0x7f, v9
	s_cbranch_execz .LBB212_1021
; %bb.1018:                             ;   in Loop: Header=BB212_522 Depth=1
	v_and_b32_sdwa v5, v111, v48 dst_sel:DWORD dst_unused:UNUSED_PAD src0_sel:WORD_1 src1_sel:DWORD
	v_lshrrev_b32_e32 v7, 3, v9
	s_mov_b32 s22, exec_lo
	v_cmpx_gt_u32_e32 8, v9
; %bb.1019:                             ;   in Loop: Header=BB212_522 Depth=1
	v_ffbh_u32_e32 v7, v5
	v_min_u32_e32 v7, 32, v7
	v_subrev_nc_u32_e32 v9, 28, v7
	v_sub_nc_u32_e32 v7, 29, v7
	v_lshlrev_b64 v[19:20], v9, v[5:6]
	v_and_b32_e32 v5, 7, v19
; %bb.1020:                             ;   in Loop: Header=BB212_522 Depth=1
	s_or_b32 exec_lo, exec_lo, s22
	v_lshlrev_b32_sdwa v9, v50, v111 dst_sel:DWORD dst_unused:UNUSED_PAD src0_sel:DWORD src1_sel:WORD_1
	v_lshlrev_b32_e32 v5, 20, v5
	v_lshl_add_u32 v7, v7, 23, 0x3c000000
	v_and_b32_e32 v9, 0x80000000, v9
	v_or3_b32 v5, v5, v9, v7
	v_mov_b32_e32 v20, v6
	v_mov_b32_e32 v19, v5
.LBB212_1021:                           ;   in Loop: Header=BB212_522 Depth=1
	s_or_b32 exec_lo, exec_lo, s21
.LBB212_1022:                           ;   in Loop: Header=BB212_522 Depth=1
	s_or_b32 exec_lo, exec_lo, s18
.LBB212_1023:                           ;   in Loop: Header=BB212_522 Depth=1
	s_or_b32 exec_lo, exec_lo, s17
	s_mov_b32 s17, exec_lo
	v_cmpx_lt_u32_e32 0xffffff, v111
	s_cbranch_execz .LBB212_1031
; %bb.1024:                             ;   in Loop: Header=BB212_522 Depth=1
	v_mov_b32_e32 v7, v6
	v_mov_b32_e32 v22, v8
	v_cmp_ne_u32_sdwa s0, v111, v45 src0_sel:BYTE_3 src1_sel:DWORD
	v_mov_b32_e32 v21, v7
	s_and_saveexec_b32 s18, s0
	s_cbranch_execz .LBB212_1030
; %bb.1025:                             ;   in Loop: Header=BB212_522 Depth=1
	v_mov_b32_e32 v9, v6
	v_mov_b32_e32 v22, v10
	v_bfe_u32 v112, v111, 24, 7
	s_mov_b32 s21, exec_lo
	v_mov_b32_e32 v21, v9
	v_cmpx_ne_u32_e32 0x7f, v112
	s_cbranch_execz .LBB212_1029
; %bb.1026:                             ;   in Loop: Header=BB212_522 Depth=1
	v_and_b32_sdwa v5, v111, v48 dst_sel:DWORD dst_unused:UNUSED_PAD src0_sel:BYTE_3 src1_sel:DWORD
	v_lshrrev_b32_e32 v7, 3, v112
	s_mov_b32 s22, exec_lo
	v_cmpx_gt_u32_e32 8, v112
; %bb.1027:                             ;   in Loop: Header=BB212_522 Depth=1
	v_ffbh_u32_e32 v7, v5
	v_min_u32_e32 v7, 32, v7
	v_subrev_nc_u32_e32 v9, 28, v7
	v_sub_nc_u32_e32 v7, 29, v7
	v_lshlrev_b64 v[21:22], v9, v[5:6]
	v_and_b32_e32 v5, 7, v21
; %bb.1028:                             ;   in Loop: Header=BB212_522 Depth=1
	s_or_b32 exec_lo, exec_lo, s22
	v_lshlrev_b32_sdwa v9, v50, v111 dst_sel:DWORD dst_unused:UNUSED_PAD src0_sel:DWORD src1_sel:BYTE_3
	v_lshlrev_b32_e32 v5, 20, v5
	v_lshl_add_u32 v7, v7, 23, 0x3c000000
	v_mov_b32_e32 v21, v6
	v_and_b32_e32 v9, 0x80000000, v9
	v_or3_b32 v22, v5, v9, v7
.LBB212_1029:                           ;   in Loop: Header=BB212_522 Depth=1
	s_or_b32 exec_lo, exec_lo, s21
.LBB212_1030:                           ;   in Loop: Header=BB212_522 Depth=1
	s_or_b32 exec_lo, exec_lo, s18
.LBB212_1031:                           ;   in Loop: Header=BB212_522 Depth=1
	s_or_b32 exec_lo, exec_lo, s17
	v_or_b32_e32 v5, v18, v16
	v_or_b32_e32 v7, v17, v15
	;; [unrolled: 1-line block ×4, first 2 shown]
	v_mul_f32_e32 v9, s13, v5
	v_mul_f32_e32 v15, s12, v7
	;; [unrolled: 1-line block ×4, first 2 shown]
	s_and_saveexec_b32 s0, vcc_lo
	s_cbranch_execz .LBB212_520
; %bb.1032:                             ;   in Loop: Header=BB212_522 Depth=1
	v_cmp_gt_i32_e32 vcc_lo, s31, v57
	v_cndmask_b32_e32 v15, 0, v15, vcc_lo
	v_cmp_gt_i32_e32 vcc_lo, s31, v60
	v_cndmask_b32_e32 v9, 0, v9, vcc_lo
	;; [unrolled: 2-line block ×4, first 2 shown]
	s_branch .LBB212_520
.LBB212_1033:
	s_or_b32 exec_lo, exec_lo, s5
.LBB212_1034:
	s_or_b32 exec_lo, exec_lo, s1
	ds_bpermute_b32 v1, v25, v42
	ds_bpermute_b32 v2, v25, v43
	;; [unrolled: 1-line block ×15, first 2 shown]
	s_mov_b32 s0, exec_lo
	s_waitcnt lgkmcnt(0)
	s_waitcnt_vscnt null, 0x0
	s_barrier
	buffer_gl0_inv
	v_add_f32_e32 v1, v42, v1
	v_add_f32_e32 v2, v43, v2
	;; [unrolled: 1-line block ×7, first 2 shown]
	ds_bpermute_b32 v16, v26, v1
	v_add_f32_e32 v8, v35, v8
	v_add_f32_e32 v9, v34, v9
	;; [unrolled: 1-line block ×8, first 2 shown]
	ds_bpermute_b32 v17, v26, v2
	ds_bpermute_b32 v18, v26, v3
	ds_bpermute_b32 v19, v26, v4
	ds_bpermute_b32 v20, v26, v5
	ds_bpermute_b32 v21, v26, v6
	ds_bpermute_b32 v22, v26, v7
	ds_bpermute_b32 v23, v26, v8
	ds_bpermute_b32 v24, v26, v9
	ds_bpermute_b32 v25, v26, v10
	ds_bpermute_b32 v30, v26, v11
	ds_bpermute_b32 v29, v26, v12
	ds_bpermute_b32 v28, v26, v13
	ds_bpermute_b32 v31, v26, v14
	ds_bpermute_b32 v26, v26, v15
	s_waitcnt lgkmcnt(14)
	v_add_f32_e32 v1, v1, v16
	v_and_b32_e32 v16, 28, v0
	v_lshrrev_b32_e32 v0, 2, v0
	s_waitcnt lgkmcnt(13)
	v_add_f32_e32 v2, v2, v17
	s_waitcnt lgkmcnt(12)
	v_add_f32_e32 v3, v3, v18
	;; [unrolled: 2-line block ×13, first 2 shown]
	v_and_b32_e32 v18, 0x3c3, v113
	s_waitcnt lgkmcnt(0)
	v_add_f32_e32 v15, v15, v26
	v_add_nc_u32_e32 v16, 0x200, v16
	v_mul_u32_u24_e32 v17, 0x1e0, v114
	v_cmpx_eq_u32_e32 64, v18
	s_cbranch_execz .LBB212_1036
; %bb.1035:
	v_add_nc_u32_e32 v18, v16, v17
	v_add_nc_u32_e32 v19, 0xfffffc40, v18
	v_add_nc_u32_e32 v20, 0xfffffc60, v18
	v_add_nc_u32_e32 v21, 0xfffffc80, v18
	v_add_nc_u32_e32 v22, 0xfffffca0, v18
	v_add_nc_u32_e32 v23, 0xfffffcc0, v18
	ds_write_b32 v19, v1
	ds_write_b32 v20, v2
	;; [unrolled: 1-line block ×5, first 2 shown]
	v_add_nc_u32_e32 v19, 0xfffffce0, v18
	v_add_nc_u32_e32 v20, 0xfffffd00, v18
	;; [unrolled: 1-line block ×5, first 2 shown]
	ds_write_b32 v19, v6
	ds_write_b32 v20, v7
	;; [unrolled: 1-line block ×5, first 2 shown]
	v_add_nc_u32_e32 v19, 0xfffffd80, v18
	v_add_nc_u32_e32 v20, 0xfffffda0, v18
	;; [unrolled: 1-line block ×5, first 2 shown]
	ds_write_b32 v19, v11
	ds_write_b32 v20, v12
	;; [unrolled: 1-line block ×5, first 2 shown]
.LBB212_1036:
	s_or_b32 exec_lo, exec_lo, s0
	v_lshlrev_b32_e32 v0, 2, v0
	s_mov_b32 s1, exec_lo
	v_cmp_eq_u32_e32 vcc_lo, 0, v27
	s_waitcnt lgkmcnt(0)
	s_barrier
	v_add3_u32 v0, 0x200, v17, v0
	buffer_gl0_inv
	v_cmpx_gt_u32_e32 64, v113
	s_cbranch_execz .LBB212_1054
; %bb.1037:
	s_and_saveexec_b32 s0, vcc_lo
	s_cbranch_execnz .LBB212_1077
; %bb.1038:
	s_or_b32 exec_lo, exec_lo, s0
	s_and_saveexec_b32 s0, vcc_lo
	s_cbranch_execnz .LBB212_1078
.LBB212_1039:
	s_or_b32 exec_lo, exec_lo, s0
	s_and_saveexec_b32 s0, vcc_lo
	s_cbranch_execnz .LBB212_1079
.LBB212_1040:
	s_or_b32 exec_lo, exec_lo, s0
	s_and_saveexec_b32 s0, vcc_lo
	s_cbranch_execnz .LBB212_1080
.LBB212_1041:
	s_or_b32 exec_lo, exec_lo, s0
	s_and_saveexec_b32 s0, vcc_lo
	s_cbranch_execnz .LBB212_1081
.LBB212_1042:
	s_or_b32 exec_lo, exec_lo, s0
	s_and_saveexec_b32 s0, vcc_lo
	s_cbranch_execnz .LBB212_1082
.LBB212_1043:
	s_or_b32 exec_lo, exec_lo, s0
	s_and_saveexec_b32 s0, vcc_lo
	s_cbranch_execnz .LBB212_1083
.LBB212_1044:
	s_or_b32 exec_lo, exec_lo, s0
	s_and_saveexec_b32 s0, vcc_lo
	s_cbranch_execnz .LBB212_1084
.LBB212_1045:
	s_or_b32 exec_lo, exec_lo, s0
	s_and_saveexec_b32 s0, vcc_lo
	s_cbranch_execnz .LBB212_1085
.LBB212_1046:
	s_or_b32 exec_lo, exec_lo, s0
	s_and_saveexec_b32 s0, vcc_lo
	s_cbranch_execnz .LBB212_1086
.LBB212_1047:
	s_or_b32 exec_lo, exec_lo, s0
	s_and_saveexec_b32 s0, vcc_lo
	s_cbranch_execnz .LBB212_1087
.LBB212_1048:
	s_or_b32 exec_lo, exec_lo, s0
	s_and_saveexec_b32 s0, vcc_lo
	s_cbranch_execnz .LBB212_1088
.LBB212_1049:
	s_or_b32 exec_lo, exec_lo, s0
	s_and_saveexec_b32 s0, vcc_lo
	s_cbranch_execnz .LBB212_1089
.LBB212_1050:
	s_or_b32 exec_lo, exec_lo, s0
	s_and_saveexec_b32 s0, vcc_lo
	s_cbranch_execnz .LBB212_1090
.LBB212_1051:
	s_or_b32 exec_lo, exec_lo, s0
	s_and_saveexec_b32 s0, vcc_lo
	s_cbranch_execz .LBB212_1053
.LBB212_1052:
	ds_read_b32 v17, v0 offset:448
	s_waitcnt lgkmcnt(0)
	v_add_f32_e32 v15, v15, v17
.LBB212_1053:
	s_or_b32 exec_lo, exec_lo, s0
.LBB212_1054:
	s_or_b32 exec_lo, exec_lo, s1
	v_and_b32_e32 v17, 0x3e3, v113
	s_mov_b32 s1, exec_lo
	s_barrier
	buffer_gl0_inv
	v_cmpx_eq_u32_e32 32, v17
	s_cbranch_execz .LBB212_1056
; %bb.1055:
	ds_write2_b32 v16, v1, v2 offset1:8
	ds_write2_b32 v16, v3, v4 offset0:16 offset1:24
	ds_write2_b32 v16, v5, v6 offset0:32 offset1:40
	;; [unrolled: 1-line block ×6, first 2 shown]
	ds_write_b32 v16, v15 offset:448
.LBB212_1056:
	s_or_b32 exec_lo, exec_lo, s1
	s_mov_b32 s1, exec_lo
	s_waitcnt lgkmcnt(0)
	s_barrier
	buffer_gl0_inv
	v_cmpx_gt_u32_e32 32, v113
	s_cbranch_execz .LBB212_1074
; %bb.1057:
	s_and_saveexec_b32 s0, vcc_lo
	s_cbranch_execnz .LBB212_1091
; %bb.1058:
	s_or_b32 exec_lo, exec_lo, s0
	s_and_saveexec_b32 s0, vcc_lo
	s_cbranch_execnz .LBB212_1092
.LBB212_1059:
	s_or_b32 exec_lo, exec_lo, s0
	s_and_saveexec_b32 s0, vcc_lo
	s_cbranch_execnz .LBB212_1093
.LBB212_1060:
	s_or_b32 exec_lo, exec_lo, s0
	s_and_saveexec_b32 s0, vcc_lo
	s_cbranch_execnz .LBB212_1094
.LBB212_1061:
	s_or_b32 exec_lo, exec_lo, s0
	s_and_saveexec_b32 s0, vcc_lo
	s_cbranch_execnz .LBB212_1095
.LBB212_1062:
	s_or_b32 exec_lo, exec_lo, s0
	s_and_saveexec_b32 s0, vcc_lo
	s_cbranch_execnz .LBB212_1096
.LBB212_1063:
	s_or_b32 exec_lo, exec_lo, s0
	s_and_saveexec_b32 s0, vcc_lo
	s_cbranch_execnz .LBB212_1097
.LBB212_1064:
	s_or_b32 exec_lo, exec_lo, s0
	s_and_saveexec_b32 s0, vcc_lo
	s_cbranch_execnz .LBB212_1098
.LBB212_1065:
	s_or_b32 exec_lo, exec_lo, s0
	s_and_saveexec_b32 s0, vcc_lo
	s_cbranch_execnz .LBB212_1099
.LBB212_1066:
	s_or_b32 exec_lo, exec_lo, s0
	s_and_saveexec_b32 s0, vcc_lo
	s_cbranch_execnz .LBB212_1100
.LBB212_1067:
	s_or_b32 exec_lo, exec_lo, s0
	s_and_saveexec_b32 s0, vcc_lo
	s_cbranch_execnz .LBB212_1101
.LBB212_1068:
	s_or_b32 exec_lo, exec_lo, s0
	s_and_saveexec_b32 s0, vcc_lo
	s_cbranch_execnz .LBB212_1102
.LBB212_1069:
	s_or_b32 exec_lo, exec_lo, s0
	s_and_saveexec_b32 s0, vcc_lo
	s_cbranch_execnz .LBB212_1103
.LBB212_1070:
	s_or_b32 exec_lo, exec_lo, s0
	s_and_saveexec_b32 s0, vcc_lo
	s_cbranch_execnz .LBB212_1104
.LBB212_1071:
	s_or_b32 exec_lo, exec_lo, s0
	s_and_saveexec_b32 s0, vcc_lo
	s_cbranch_execz .LBB212_1073
.LBB212_1072:
	ds_read_b32 v0, v0 offset:448
	s_waitcnt lgkmcnt(0)
	v_add_f32_e32 v15, v15, v0
.LBB212_1073:
	s_or_b32 exec_lo, exec_lo, s0
.LBB212_1074:
	s_or_b32 exec_lo, exec_lo, s1
	s_barrier
	buffer_gl0_inv
	s_mov_b32 s0, exec_lo
	v_cmpx_eq_u32_e32 0, v17
	s_cbranch_execz .LBB212_1076
; %bb.1075:
	s_mul_i32 s0, s2, 0x78
	s_mul_i32 s2, s7, s10
	s_ashr_i32 s1, s0, 31
	s_lshl_b64 s[0:1], s[0:1], 2
	s_add_u32 s4, s28, s0
	s_addc_u32 s5, s29, s1
	s_ashr_i32 s3, s2, 31
	s_lshl_b64 s[0:1], s[2:3], 2
	s_mul_i32 s2, s8, 0x78
	s_add_u32 s4, s4, s0
	s_addc_u32 s5, s5, s1
	s_ashr_i32 s3, s2, 31
	s_lshl_b64 s[0:1], s[2:3], 2
	s_add_u32 s0, s4, s0
	s_addc_u32 s1, s5, s1
	global_store_dword v113, v1, s[0:1]
	global_store_dword v113, v2, s[0:1] offset:32
	global_store_dword v113, v3, s[0:1] offset:64
	;; [unrolled: 1-line block ×14, first 2 shown]
.LBB212_1076:
	s_endpgm
.LBB212_1077:
	ds_read_b32 v17, v0
	s_waitcnt lgkmcnt(0)
	v_add_f32_e32 v1, v1, v17
	s_or_b32 exec_lo, exec_lo, s0
	s_and_saveexec_b32 s0, vcc_lo
	s_cbranch_execz .LBB212_1039
.LBB212_1078:
	ds_read_b32 v17, v0 offset:32
	s_waitcnt lgkmcnt(0)
	v_add_f32_e32 v2, v2, v17
	s_or_b32 exec_lo, exec_lo, s0
	s_and_saveexec_b32 s0, vcc_lo
	s_cbranch_execz .LBB212_1040
.LBB212_1079:
	ds_read_b32 v17, v0 offset:64
	s_waitcnt lgkmcnt(0)
	v_add_f32_e32 v3, v3, v17
	s_or_b32 exec_lo, exec_lo, s0
	s_and_saveexec_b32 s0, vcc_lo
	s_cbranch_execz .LBB212_1041
.LBB212_1080:
	ds_read_b32 v17, v0 offset:96
	s_waitcnt lgkmcnt(0)
	v_add_f32_e32 v4, v4, v17
	s_or_b32 exec_lo, exec_lo, s0
	s_and_saveexec_b32 s0, vcc_lo
	s_cbranch_execz .LBB212_1042
.LBB212_1081:
	ds_read_b32 v17, v0 offset:128
	s_waitcnt lgkmcnt(0)
	v_add_f32_e32 v5, v5, v17
	s_or_b32 exec_lo, exec_lo, s0
	s_and_saveexec_b32 s0, vcc_lo
	s_cbranch_execz .LBB212_1043
.LBB212_1082:
	ds_read_b32 v17, v0 offset:160
	s_waitcnt lgkmcnt(0)
	v_add_f32_e32 v6, v6, v17
	s_or_b32 exec_lo, exec_lo, s0
	s_and_saveexec_b32 s0, vcc_lo
	s_cbranch_execz .LBB212_1044
.LBB212_1083:
	ds_read_b32 v17, v0 offset:192
	s_waitcnt lgkmcnt(0)
	v_add_f32_e32 v7, v7, v17
	s_or_b32 exec_lo, exec_lo, s0
	s_and_saveexec_b32 s0, vcc_lo
	s_cbranch_execz .LBB212_1045
.LBB212_1084:
	ds_read_b32 v17, v0 offset:224
	s_waitcnt lgkmcnt(0)
	v_add_f32_e32 v8, v8, v17
	s_or_b32 exec_lo, exec_lo, s0
	s_and_saveexec_b32 s0, vcc_lo
	s_cbranch_execz .LBB212_1046
.LBB212_1085:
	ds_read_b32 v17, v0 offset:256
	s_waitcnt lgkmcnt(0)
	v_add_f32_e32 v9, v9, v17
	s_or_b32 exec_lo, exec_lo, s0
	s_and_saveexec_b32 s0, vcc_lo
	s_cbranch_execz .LBB212_1047
.LBB212_1086:
	ds_read_b32 v17, v0 offset:288
	s_waitcnt lgkmcnt(0)
	v_add_f32_e32 v10, v10, v17
	s_or_b32 exec_lo, exec_lo, s0
	s_and_saveexec_b32 s0, vcc_lo
	s_cbranch_execz .LBB212_1048
.LBB212_1087:
	ds_read_b32 v17, v0 offset:320
	s_waitcnt lgkmcnt(0)
	v_add_f32_e32 v11, v11, v17
	s_or_b32 exec_lo, exec_lo, s0
	s_and_saveexec_b32 s0, vcc_lo
	s_cbranch_execz .LBB212_1049
.LBB212_1088:
	ds_read_b32 v17, v0 offset:352
	s_waitcnt lgkmcnt(0)
	v_add_f32_e32 v12, v12, v17
	s_or_b32 exec_lo, exec_lo, s0
	s_and_saveexec_b32 s0, vcc_lo
	s_cbranch_execz .LBB212_1050
.LBB212_1089:
	ds_read_b32 v17, v0 offset:384
	s_waitcnt lgkmcnt(0)
	v_add_f32_e32 v13, v13, v17
	s_or_b32 exec_lo, exec_lo, s0
	s_and_saveexec_b32 s0, vcc_lo
	s_cbranch_execz .LBB212_1051
.LBB212_1090:
	ds_read_b32 v17, v0 offset:416
	s_waitcnt lgkmcnt(0)
	v_add_f32_e32 v14, v14, v17
	s_or_b32 exec_lo, exec_lo, s0
	s_and_saveexec_b32 s0, vcc_lo
	s_cbranch_execnz .LBB212_1052
	s_branch .LBB212_1053
.LBB212_1091:
	ds_read_b32 v16, v0
	s_waitcnt lgkmcnt(0)
	v_add_f32_e32 v1, v1, v16
	s_or_b32 exec_lo, exec_lo, s0
	s_and_saveexec_b32 s0, vcc_lo
	s_cbranch_execz .LBB212_1059
.LBB212_1092:
	ds_read_b32 v16, v0 offset:32
	s_waitcnt lgkmcnt(0)
	v_add_f32_e32 v2, v2, v16
	s_or_b32 exec_lo, exec_lo, s0
	s_and_saveexec_b32 s0, vcc_lo
	s_cbranch_execz .LBB212_1060
.LBB212_1093:
	ds_read_b32 v16, v0 offset:64
	s_waitcnt lgkmcnt(0)
	v_add_f32_e32 v3, v3, v16
	s_or_b32 exec_lo, exec_lo, s0
	s_and_saveexec_b32 s0, vcc_lo
	s_cbranch_execz .LBB212_1061
.LBB212_1094:
	ds_read_b32 v16, v0 offset:96
	s_waitcnt lgkmcnt(0)
	v_add_f32_e32 v4, v4, v16
	s_or_b32 exec_lo, exec_lo, s0
	s_and_saveexec_b32 s0, vcc_lo
	s_cbranch_execz .LBB212_1062
.LBB212_1095:
	ds_read_b32 v16, v0 offset:128
	s_waitcnt lgkmcnt(0)
	v_add_f32_e32 v5, v5, v16
	s_or_b32 exec_lo, exec_lo, s0
	s_and_saveexec_b32 s0, vcc_lo
	s_cbranch_execz .LBB212_1063
.LBB212_1096:
	ds_read_b32 v16, v0 offset:160
	s_waitcnt lgkmcnt(0)
	v_add_f32_e32 v6, v6, v16
	s_or_b32 exec_lo, exec_lo, s0
	s_and_saveexec_b32 s0, vcc_lo
	s_cbranch_execz .LBB212_1064
.LBB212_1097:
	ds_read_b32 v16, v0 offset:192
	s_waitcnt lgkmcnt(0)
	v_add_f32_e32 v7, v7, v16
	s_or_b32 exec_lo, exec_lo, s0
	s_and_saveexec_b32 s0, vcc_lo
	s_cbranch_execz .LBB212_1065
.LBB212_1098:
	ds_read_b32 v16, v0 offset:224
	s_waitcnt lgkmcnt(0)
	v_add_f32_e32 v8, v8, v16
	s_or_b32 exec_lo, exec_lo, s0
	s_and_saveexec_b32 s0, vcc_lo
	s_cbranch_execz .LBB212_1066
.LBB212_1099:
	ds_read_b32 v16, v0 offset:256
	s_waitcnt lgkmcnt(0)
	v_add_f32_e32 v9, v9, v16
	s_or_b32 exec_lo, exec_lo, s0
	s_and_saveexec_b32 s0, vcc_lo
	s_cbranch_execz .LBB212_1067
.LBB212_1100:
	ds_read_b32 v16, v0 offset:288
	s_waitcnt lgkmcnt(0)
	v_add_f32_e32 v10, v10, v16
	s_or_b32 exec_lo, exec_lo, s0
	s_and_saveexec_b32 s0, vcc_lo
	s_cbranch_execz .LBB212_1068
.LBB212_1101:
	ds_read_b32 v16, v0 offset:320
	s_waitcnt lgkmcnt(0)
	v_add_f32_e32 v11, v11, v16
	s_or_b32 exec_lo, exec_lo, s0
	s_and_saveexec_b32 s0, vcc_lo
	s_cbranch_execz .LBB212_1069
.LBB212_1102:
	ds_read_b32 v16, v0 offset:352
	s_waitcnt lgkmcnt(0)
	v_add_f32_e32 v12, v12, v16
	s_or_b32 exec_lo, exec_lo, s0
	s_and_saveexec_b32 s0, vcc_lo
	s_cbranch_execz .LBB212_1070
.LBB212_1103:
	ds_read_b32 v16, v0 offset:384
	s_waitcnt lgkmcnt(0)
	v_add_f32_e32 v13, v13, v16
	s_or_b32 exec_lo, exec_lo, s0
	s_and_saveexec_b32 s0, vcc_lo
	s_cbranch_execz .LBB212_1071
.LBB212_1104:
	ds_read_b32 v16, v0 offset:416
	s_waitcnt lgkmcnt(0)
	v_add_f32_e32 v14, v14, v16
	s_or_b32 exec_lo, exec_lo, s0
	s_and_saveexec_b32 s0, vcc_lo
	s_cbranch_execnz .LBB212_1072
	s_branch .LBB212_1073
	.section	.rodata,"a",@progbits
	.p2align	6, 0x0
	.amdhsa_kernel _ZN4vllm25paged_attention_v2_kernelIfhLi120ELi16ELi128ELNS_18Fp8KVCacheDataTypeE1ELb1ELi512EEEvPfS2_PT_PKS3_PKT0_S9_ifPKiSB_iPKfiiiSD_SD_iiiii
		.amdhsa_group_segment_fixed_size 512
		.amdhsa_private_segment_fixed_size 288
		.amdhsa_kernarg_size 400
		.amdhsa_user_sgpr_count 6
		.amdhsa_user_sgpr_private_segment_buffer 1
		.amdhsa_user_sgpr_dispatch_ptr 0
		.amdhsa_user_sgpr_queue_ptr 0
		.amdhsa_user_sgpr_kernarg_segment_ptr 1
		.amdhsa_user_sgpr_dispatch_id 0
		.amdhsa_user_sgpr_flat_scratch_init 0
		.amdhsa_user_sgpr_private_segment_size 0
		.amdhsa_wavefront_size32 1
		.amdhsa_uses_dynamic_stack 0
		.amdhsa_system_sgpr_private_segment_wavefront_offset 1
		.amdhsa_system_sgpr_workgroup_id_x 1
		.amdhsa_system_sgpr_workgroup_id_y 1
		.amdhsa_system_sgpr_workgroup_id_z 1
		.amdhsa_system_sgpr_workgroup_info 0
		.amdhsa_system_vgpr_workitem_id 0
		.amdhsa_next_free_vgpr 128
		.amdhsa_next_free_sgpr 60
		.amdhsa_reserve_vcc 1
		.amdhsa_reserve_flat_scratch 0
		.amdhsa_float_round_mode_32 0
		.amdhsa_float_round_mode_16_64 0
		.amdhsa_float_denorm_mode_32 3
		.amdhsa_float_denorm_mode_16_64 3
		.amdhsa_dx10_clamp 1
		.amdhsa_ieee_mode 1
		.amdhsa_fp16_overflow 0
		.amdhsa_workgroup_processor_mode 1
		.amdhsa_memory_ordered 1
		.amdhsa_forward_progress 1
		.amdhsa_shared_vgpr_count 0
		.amdhsa_exception_fp_ieee_invalid_op 0
		.amdhsa_exception_fp_denorm_src 0
		.amdhsa_exception_fp_ieee_div_zero 0
		.amdhsa_exception_fp_ieee_overflow 0
		.amdhsa_exception_fp_ieee_underflow 0
		.amdhsa_exception_fp_ieee_inexact 0
		.amdhsa_exception_int_div_zero 0
	.end_amdhsa_kernel
	.section	.text._ZN4vllm25paged_attention_v2_kernelIfhLi120ELi16ELi128ELNS_18Fp8KVCacheDataTypeE1ELb1ELi512EEEvPfS2_PT_PKS3_PKT0_S9_ifPKiSB_iPKfiiiSD_SD_iiiii,"axG",@progbits,_ZN4vllm25paged_attention_v2_kernelIfhLi120ELi16ELi128ELNS_18Fp8KVCacheDataTypeE1ELb1ELi512EEEvPfS2_PT_PKS3_PKT0_S9_ifPKiSB_iPKfiiiSD_SD_iiiii,comdat
.Lfunc_end212:
	.size	_ZN4vllm25paged_attention_v2_kernelIfhLi120ELi16ELi128ELNS_18Fp8KVCacheDataTypeE1ELb1ELi512EEEvPfS2_PT_PKS3_PKT0_S9_ifPKiSB_iPKfiiiSD_SD_iiiii, .Lfunc_end212-_ZN4vllm25paged_attention_v2_kernelIfhLi120ELi16ELi128ELNS_18Fp8KVCacheDataTypeE1ELb1ELi512EEEvPfS2_PT_PKS3_PKT0_S9_ifPKiSB_iPKfiiiSD_SD_iiiii
                                        ; -- End function
	.set _ZN4vllm25paged_attention_v2_kernelIfhLi120ELi16ELi128ELNS_18Fp8KVCacheDataTypeE1ELb1ELi512EEEvPfS2_PT_PKS3_PKT0_S9_ifPKiSB_iPKfiiiSD_SD_iiiii.num_vgpr, 128
	.set _ZN4vllm25paged_attention_v2_kernelIfhLi120ELi16ELi128ELNS_18Fp8KVCacheDataTypeE1ELb1ELi512EEEvPfS2_PT_PKS3_PKT0_S9_ifPKiSB_iPKfiiiSD_SD_iiiii.num_agpr, 0
	.set _ZN4vllm25paged_attention_v2_kernelIfhLi120ELi16ELi128ELNS_18Fp8KVCacheDataTypeE1ELb1ELi512EEEvPfS2_PT_PKS3_PKT0_S9_ifPKiSB_iPKfiiiSD_SD_iiiii.numbered_sgpr, 60
	.set _ZN4vllm25paged_attention_v2_kernelIfhLi120ELi16ELi128ELNS_18Fp8KVCacheDataTypeE1ELb1ELi512EEEvPfS2_PT_PKS3_PKT0_S9_ifPKiSB_iPKfiiiSD_SD_iiiii.num_named_barrier, 0
	.set _ZN4vllm25paged_attention_v2_kernelIfhLi120ELi16ELi128ELNS_18Fp8KVCacheDataTypeE1ELb1ELi512EEEvPfS2_PT_PKS3_PKT0_S9_ifPKiSB_iPKfiiiSD_SD_iiiii.private_seg_size, 288
	.set _ZN4vllm25paged_attention_v2_kernelIfhLi120ELi16ELi128ELNS_18Fp8KVCacheDataTypeE1ELb1ELi512EEEvPfS2_PT_PKS3_PKT0_S9_ifPKiSB_iPKfiiiSD_SD_iiiii.uses_vcc, 1
	.set _ZN4vllm25paged_attention_v2_kernelIfhLi120ELi16ELi128ELNS_18Fp8KVCacheDataTypeE1ELb1ELi512EEEvPfS2_PT_PKS3_PKT0_S9_ifPKiSB_iPKfiiiSD_SD_iiiii.uses_flat_scratch, 0
	.set _ZN4vllm25paged_attention_v2_kernelIfhLi120ELi16ELi128ELNS_18Fp8KVCacheDataTypeE1ELb1ELi512EEEvPfS2_PT_PKS3_PKT0_S9_ifPKiSB_iPKfiiiSD_SD_iiiii.has_dyn_sized_stack, 0
	.set _ZN4vllm25paged_attention_v2_kernelIfhLi120ELi16ELi128ELNS_18Fp8KVCacheDataTypeE1ELb1ELi512EEEvPfS2_PT_PKS3_PKT0_S9_ifPKiSB_iPKfiiiSD_SD_iiiii.has_recursion, 0
	.set _ZN4vllm25paged_attention_v2_kernelIfhLi120ELi16ELi128ELNS_18Fp8KVCacheDataTypeE1ELb1ELi512EEEvPfS2_PT_PKS3_PKT0_S9_ifPKiSB_iPKfiiiSD_SD_iiiii.has_indirect_call, 0
	.section	.AMDGPU.csdata,"",@progbits
; Kernel info:
; codeLenInByte = 34304
; TotalNumSgprs: 62
; NumVgprs: 128
; ScratchSize: 288
; MemoryBound: 0
; FloatMode: 240
; IeeeMode: 1
; LDSByteSize: 512 bytes/workgroup (compile time only)
; SGPRBlocks: 0
; VGPRBlocks: 15
; NumSGPRsForWavesPerEU: 62
; NumVGPRsForWavesPerEU: 128
; Occupancy: 8
; WaveLimiterHint : 1
; COMPUTE_PGM_RSRC2:SCRATCH_EN: 1
; COMPUTE_PGM_RSRC2:USER_SGPR: 6
; COMPUTE_PGM_RSRC2:TRAP_HANDLER: 0
; COMPUTE_PGM_RSRC2:TGID_X_EN: 1
; COMPUTE_PGM_RSRC2:TGID_Y_EN: 1
; COMPUTE_PGM_RSRC2:TGID_Z_EN: 1
; COMPUTE_PGM_RSRC2:TIDIG_COMP_CNT: 0
	.section	.text._ZN4vllm25paged_attention_v2_kernelIfhLi128ELi16ELi128ELNS_18Fp8KVCacheDataTypeE1ELb1ELi512EEEvPfS2_PT_PKS3_PKT0_S9_ifPKiSB_iPKfiiiSD_SD_iiiii,"axG",@progbits,_ZN4vllm25paged_attention_v2_kernelIfhLi128ELi16ELi128ELNS_18Fp8KVCacheDataTypeE1ELb1ELi512EEEvPfS2_PT_PKS3_PKT0_S9_ifPKiSB_iPKfiiiSD_SD_iiiii,comdat
	.protected	_ZN4vllm25paged_attention_v2_kernelIfhLi128ELi16ELi128ELNS_18Fp8KVCacheDataTypeE1ELb1ELi512EEEvPfS2_PT_PKS3_PKT0_S9_ifPKiSB_iPKfiiiSD_SD_iiiii ; -- Begin function _ZN4vllm25paged_attention_v2_kernelIfhLi128ELi16ELi128ELNS_18Fp8KVCacheDataTypeE1ELb1ELi512EEEvPfS2_PT_PKS3_PKT0_S9_ifPKiSB_iPKfiiiSD_SD_iiiii
	.globl	_ZN4vllm25paged_attention_v2_kernelIfhLi128ELi16ELi128ELNS_18Fp8KVCacheDataTypeE1ELb1ELi512EEEvPfS2_PT_PKS3_PKT0_S9_ifPKiSB_iPKfiiiSD_SD_iiiii
	.p2align	8
	.type	_ZN4vllm25paged_attention_v2_kernelIfhLi128ELi16ELi128ELNS_18Fp8KVCacheDataTypeE1ELb1ELi512EEEvPfS2_PT_PKS3_PKT0_S9_ifPKiSB_iPKfiiiSD_SD_iiiii,@function
_ZN4vllm25paged_attention_v2_kernelIfhLi128ELi16ELi128ELNS_18Fp8KVCacheDataTypeE1ELb1ELi512EEEvPfS2_PT_PKS3_PKT0_S9_ifPKiSB_iPKfiiiSD_SD_iiiii: ; @_ZN4vllm25paged_attention_v2_kernelIfhLi128ELi16ELi128ELNS_18Fp8KVCacheDataTypeE1ELb1ELi512EEEvPfS2_PT_PKS3_PKT0_S9_ifPKiSB_iPKfiiiSD_SD_iiiii
; %bb.0:
	s_mov_b64 s[58:59], s[2:3]
	s_mov_b64 s[56:57], s[0:1]
	s_load_dwordx2 s[0:1], s[4:5], 0x40
	s_add_u32 s56, s56, s9
	s_addc_u32 s57, s57, 0
	s_mov_b32 s30, s7
	s_ashr_i32 s31, s7, 31
	s_lshl_b64 s[2:3], s[30:31], 2
	s_waitcnt lgkmcnt(0)
	s_add_u32 s0, s0, s2
	s_addc_u32 s1, s1, s3
	s_lshl_b32 s42, s8, 9
	s_load_dword s31, s[0:1], 0x0
	s_waitcnt lgkmcnt(0)
	s_cmp_ge_i32 s42, s31
	s_cbranch_scc1 .LBB213_1144
; %bb.1:
	s_clause 0x1
	s_load_dword s9, s[4:5], 0x90
	s_load_dwordx2 s[40:41], s[4:5], 0x30
	v_mov_b32_e32 v44, v0
	s_mov_b32 s43, 0
	s_waitcnt lgkmcnt(0)
	s_abs_i32 s3, s9
	s_abs_i32 s0, s40
	v_cvt_f32_u32_e32 v0, s0
	s_sub_i32 s2, 0, s0
	v_rcp_iflag_f32_e32 v0, v0
	v_mul_f32_e32 v0, 0x4f7ffffe, v0
	v_cvt_u32_f32_e32 v0, v0
	v_readfirstlane_b32 s1, v0
	s_mul_i32 s2, s2, s1
	s_mul_hi_u32 s2, s1, s2
	s_add_i32 s1, s1, s2
	s_xor_b32 s2, s9, s40
	s_mul_hi_u32 s1, s3, s1
	s_ashr_i32 s2, s2, 31
	s_mul_i32 s7, s1, s0
	s_sub_i32 s3, s3, s7
	s_add_i32 s7, s1, 1
	s_sub_i32 s10, s3, s0
	s_cmp_ge_u32 s3, s0
	s_cselect_b32 s1, s7, s1
	s_cselect_b32 s3, s10, s3
	s_add_i32 s7, s1, 1
	s_cmp_ge_u32 s3, s0
	s_cselect_b32 s0, s7, s1
	s_xor_b32 s0, s0, s2
	s_sub_i32 s10, s0, s2
	s_load_dwordx2 s[0:1], s[4:5], 0x50
	s_abs_i32 s2, s10
	v_cvt_f32_u32_e32 v0, s2
	s_sub_i32 s3, 0, s2
	v_rcp_iflag_f32_e32 v0, v0
	v_mul_f32_e32 v0, 0x4f7ffffe, v0
	v_cvt_u32_f32_e32 v0, v0
	v_readfirstlane_b32 s7, v0
	s_mul_i32 s3, s3, s7
	s_mul_hi_u32 s11, s7, s3
	s_abs_i32 s3, s6
	s_add_i32 s7, s7, s11
	s_waitcnt lgkmcnt(0)
	s_cmp_eq_u64 s[0:1], 0
	s_mul_hi_u32 s12, s3, s7
	s_cbranch_scc1 .LBB213_3
; %bb.2:
	s_ashr_i32 s7, s6, 31
	s_lshl_b64 s[14:15], s[6:7], 2
	s_add_u32 s0, s0, s14
	s_addc_u32 s1, s1, s15
	s_load_dword s43, s[0:1], 0x0
.LBB213_3:
	s_load_dwordx4 s[16:19], s[4:5], 0x58
	v_and_b32_e32 v0, 1, v44
	v_cmp_gt_u32_e64 s0, 64, v44
	v_lshlrev_b32_e32 v12, 2, v44
	s_ashr_i32 s1, s6, 31
	s_ashr_i32 s7, s10, 31
	s_lshl_b32 s10, s6, 7
	s_and_saveexec_b32 s13, s0
	s_cbranch_execz .LBB213_5
; %bb.4:
	s_load_dwordx2 s[14:15], s[4:5], 0x18
	s_waitcnt lgkmcnt(0)
	s_mul_i32 s20, s16, s30
	v_lshlrev_b32_e32 v1, 3, v44
	s_ashr_i32 s21, s20, 31
	v_and_b32_e32 v3, 0xff8, v12
	s_lshl_b64 s[20:21], s[20:21], 2
	v_lshl_add_u32 v3, v0, 8, v3
	s_add_u32 s16, s14, s20
	s_addc_u32 s19, s15, s21
	s_ashr_i32 s11, s10, 31
	s_lshl_b64 s[14:15], s[10:11], 2
	s_add_u32 s14, s16, s14
	s_addc_u32 s15, s19, s15
	global_load_dwordx2 v[1:2], v1, s[14:15]
	s_waitcnt vmcnt(0)
	ds_write_b64 v3, v[1:2]
.LBB213_5:
	s_or_b32 exec_lo, exec_lo, s13
	s_load_dwordx4 s[20:23], s[4:5], 0x78
	s_mul_i32 s11, s12, s2
	s_xor_b32 s1, s1, s7
	s_sub_i32 s3, s3, s11
	s_add_i32 s7, s12, 1
	s_sub_i32 s11, s3, s2
	s_cmp_ge_u32 s3, s2
	s_mov_b32 s13, -1
	s_cselect_b32 s7, s7, s12
	s_cselect_b32 s3, s11, s3
	s_add_i32 s11, s7, 1
	s_cmp_ge_u32 s3, s2
                                        ; implicit-def: $sgpr19
	s_cselect_b32 s2, s11, s7
	s_load_dword s7, s[4:5], 0x88
	s_xor_b32 s2, s2, s1
	s_add_i32 s12, s31, -1
	s_sub_i32 s2, s2, s1
	s_abs_i32 s3, s12
	s_waitcnt lgkmcnt(0)
	s_abs_i32 s11, s23
	s_barrier
	v_cvt_f32_u32_e32 v1, s11
	s_sub_i32 s1, 0, s11
	buffer_gl0_inv
	v_rcp_iflag_f32_e32 v1, v1
	v_mul_f32_e32 v1, 0x4f7ffffe, v1
	v_cvt_u32_f32_e32 v1, v1
	v_readfirstlane_b32 s16, v1
	s_mul_i32 s1, s1, s16
	s_mul_hi_u32 s1, s16, s1
	s_add_i32 s16, s16, s1
	s_cmp_lt_i32 s7, 0
	s_mul_hi_u32 s1, s3, s16
	s_cbranch_scc0 .LBB213_7
; %bb.6:
	s_mul_i32 s13, s20, s40
	s_add_i32 s13, s2, s13
	s_mul_i32 s13, s13, s7
	s_sub_i32 s19, 1, s13
	s_mov_b32 s13, 0
.LBB213_7:
	s_load_dwordx2 s[34:35], s[4:5], 0x38
	s_ashr_i32 s33, s12, 31
	s_andn2_b32 vcc_lo, exec_lo, s13
	s_ashr_i32 s23, s23, 31
	s_cbranch_vccnz .LBB213_9
; %bb.8:
	s_mul_i32 s12, s9, s20
	s_add_i32 s12, s12, s6
	s_mul_i32 s7, s12, s7
	s_add_i32 s19, s7, 1
.LBB213_9:
	s_clause 0x5
	s_load_dword s20, s[4:5], 0x48
	s_load_dwordx2 s[38:39], s[4:5], 0x28
	s_load_dwordx4 s[24:27], s[4:5], 0x0
	s_load_dwordx2 s[28:29], s[4:5], 0x10
	s_load_dword s7, s[4:5], 0x98
	s_load_dwordx4 s[12:15], s[4:5], 0x68
	s_xor_b32 s40, s33, s23
	s_mul_i32 s33, s1, s11
	s_add_i32 s44, s1, 1
	s_sub_i32 s3, s3, s33
	v_lshrrev_b32_e32 v118, 5, v44
	v_mov_b32_e32 v86, 0xff7fffff
	v_mbcnt_lo_u32_b32 v85, -1, 0
	s_mul_i32 s18, s2, s18
	v_lshl_add_u32 v127, v118, 4, s42
	s_waitcnt lgkmcnt(0)
	s_mul_i32 s36, s20, s30
	s_sub_i32 s20, s3, s11
	s_ashr_i32 s37, s36, 31
	s_cmp_ge_u32 s3, s11
	s_cselect_b32 s1, s44, s1
	s_cselect_b32 s3, s20, s3
	s_add_i32 s20, s1, 1
	s_cmp_ge_u32 s3, s11
	s_cselect_b32 s1, s20, s1
	s_add_i32 s3, s31, 15
	s_lshl_b32 s44, s8, 5
	s_ashr_i32 s20, s3, 31
	v_or_b32_e32 v49, s44, v118
	s_lshr_b32 s20, s20, 28
	s_add_i32 s3, s3, s20
	s_add_i32 s20, s44, 32
	s_ashr_i32 s33, s3, 4
	s_xor_b32 s3, s1, s40
	s_min_i32 s20, s20, s33
	v_ashrrev_i32_e32 v50, 31, v49
	v_cmp_gt_i32_e64 s1, s20, v49
	s_sub_i32 s40, s3, s40
	s_and_saveexec_b32 s45, s1
	s_cbranch_execz .LBB213_533
; %bb.10:
	s_load_dwordx2 s[2:3], s[4:5], 0x20
	s_sub_i32 s5, s40, s21
	s_ashr_i32 s4, s18, 31
	v_bfe_u32 v7, v44, 1, 4
	v_lshlrev_b32_e32 v4, 1, v0
	buffer_store_dword v12, off, s[56:59], 0 offset:300 ; 4-byte Folded Spill
	buffer_store_dword v44, off, s[56:59], 0 offset:296 ; 4-byte Folded Spill
	;; [unrolled: 1-line block ×3, first 2 shown]
	v_lshlrev_b32_e32 v5, 2, v7
	v_subrev_nc_u32_e32 v6, s31, v7
	v_mov_b32_e32 v82, v7
	v_lshlrev_b32_e32 v7, 4, v7
	v_cmp_eq_u32_e32 vcc_lo, 0, v0
	v_lshl_or_b32 v5, v118, 6, v5
	v_add_nc_u32_e32 v6, 1, v6
	v_mov_b32_e32 v52, 0
	v_lshlrev_b32_e32 v0, 8, v0
	v_lshl_add_u32 v45, v118, 4, s42
	v_add_nc_u32_e32 v48, 0x220, v5
	buffer_store_dword v6, off, s[56:59], 0 offset:292 ; 4-byte Folded Spill
	s_waitcnt lgkmcnt(0)
	s_add_u32 s47, s2, s18
	s_addc_u32 s3, s3, s4
	s_abs_i32 s46, s22
	s_lshl_b64 s[48:49], s[36:37], 2
	v_cvt_f32_u32_e32 v1, s46
	s_sub_i32 s4, 0, s46
	v_cmp_neq_f32_e64 s2, s43, 0
	v_mov_b32_e32 v46, 0x80
	v_bfrev_b32_e32 v54, 1
	v_rcp_iflag_f32_e32 v3, v1
	v_lshlrev_b64 v[1:2], 2, v[49:50]
	v_mov_b32_e32 v34, 0x7f800001
	v_mov_b32_e32 v86, 0xff7fffff
	;; [unrolled: 1-line block ×3, first 2 shown]
	v_mul_f32_e32 v3, 0x4f7ffffe, v3
	v_cvt_u32_f32_e32 v3, v3
	v_mul_lo_u32 v5, s4, v3
	v_add_co_u32 v6, s4, s47, v7
	v_add_co_ci_u32_e64 v7, null, s3, 0, s4
	s_add_u32 s3, s34, s48
	s_addc_u32 s4, s35, s49
	v_add_co_u32 v57, s3, s3, v1
	v_mul_hi_u32 v5, v3, v5
	v_add_co_ci_u32_e64 v58, null, s4, v2, s3
	v_add_co_u32 v1, s3, v6, v4
	v_add_co_ci_u32_e64 v2, null, 0, v7, s3
	buffer_store_dword v1, off, s[56:59], 0 offset:284 ; 4-byte Folded Spill
	buffer_store_dword v2, off, s[56:59], 0 offset:288 ; 4-byte Folded Spill
	v_add_nc_u32_e32 v1, v3, v5
	s_mov_b32 s47, 0
	s_mov_b32 s48, s17
	buffer_store_dword v1, off, s[56:59], 0 offset:80 ; 4-byte Folded Spill
	s_branch .LBB213_13
.LBB213_11:                             ;   in Loop: Header=BB213_13 Depth=1
	s_or_b32 exec_lo, exec_lo, s49
.LBB213_12:                             ;   in Loop: Header=BB213_13 Depth=1
	s_or_b32 exec_lo, exec_lo, s4
	v_add_nc_u32_e32 v47, 4, v47
	v_add_co_u32 v57, s4, v57, 16
	v_add_co_ci_u32_e64 v58, null, 0, v58, s4
	v_cmp_le_i32_e64 s3, s20, v47
	v_add_nc_u32_e32 v45, 64, v45
	v_add_nc_u32_e32 v48, 0x100, v48
	s_or_b32 s47, s3, s47
	s_andn2_b32 exec_lo, exec_lo, s47
	s_cbranch_execz .LBB213_532
.LBB213_13:                             ; =>This Inner Loop Header: Depth=1
	v_sub_nc_u32_e32 v1, 0, v45
	v_max_i32_e32 v1, v45, v1
	s_waitcnt lgkmcnt(0)
	v_mul_hi_u32 v2, v1, s16
	v_mul_lo_u32 v3, v2, s11
	v_sub_nc_u32_e32 v1, v1, v3
	v_add_nc_u32_e32 v3, 1, v2
	v_subrev_nc_u32_e32 v4, s11, v1
	v_cmp_le_u32_e64 s3, s11, v1
	v_cndmask_b32_e64 v2, v2, v3, s3
	v_cndmask_b32_e64 v1, v1, v4, s3
	v_ashrrev_i32_e32 v3, 31, v45
	v_add_nc_u32_e32 v4, 1, v2
	v_cmp_le_u32_e64 s3, s11, v1
	v_xor_b32_e32 v3, s23, v3
	v_cndmask_b32_e64 v1, v2, v4, s3
	buffer_load_dword v4, off, s[56:59], 0 offset:80 ; 4-byte Folded Reload
	v_xor_b32_e32 v1, v1, v3
	v_sub_nc_u32_e32 v1, v1, v3
	v_add_nc_u32_e32 v2, s19, v1
	v_cmp_ge_i32_e64 s4, s5, v1
	v_sub_nc_u32_e32 v3, 0, v2
	v_max_i32_e32 v3, v2, v3
	v_ashrrev_i32_e32 v2, 31, v2
	s_waitcnt vmcnt(0)
	v_mul_hi_u32 v4, v3, v4
	v_mul_lo_u32 v4, v4, s46
	v_sub_nc_u32_e32 v3, v3, v4
	v_subrev_nc_u32_e32 v4, s46, v3
	v_cmp_le_u32_e64 s3, s46, v3
	v_cndmask_b32_e64 v3, v3, v4, s3
	v_subrev_nc_u32_e32 v4, s46, v3
	v_cmp_le_u32_e64 s3, s46, v3
	v_cndmask_b32_e64 v3, v3, v4, s3
	v_xor_b32_e32 v3, v3, v2
	v_sub_nc_u32_e32 v2, v3, v2
	v_cmp_ne_u32_e64 s3, 0, v2
	s_and_b32 s3, s3, s4
	s_and_saveexec_b32 s4, s3
	s_xor_b32 s3, exec_lo, s4
	s_cbranch_execz .LBB213_17
; %bb.14:                               ;   in Loop: Header=BB213_13 Depth=1
	s_and_saveexec_b32 s4, vcc_lo
; %bb.15:                               ;   in Loop: Header=BB213_13 Depth=1
	v_mov_b32_e32 v1, 0xff7fffff
	ds_write_b32 v48, v1
; %bb.16:                               ;   in Loop: Header=BB213_13 Depth=1
	s_or_b32 exec_lo, exec_lo, s4
.LBB213_17:                             ;   in Loop: Header=BB213_13 Depth=1
	s_andn2_saveexec_b32 s4, s3
	s_cbranch_execz .LBB213_12
; %bb.18:                               ;   in Loop: Header=BB213_13 Depth=1
	global_load_dword v1, v[57:58], off
	s_clause 0x1
	buffer_load_dword v2, off, s[56:59], 0 offset:284
	buffer_load_dword v3, off, s[56:59], 0 offset:288
	s_waitcnt vmcnt(0)
	v_mad_i64_i32 v[71:72], null, v1, s48, v[2:3]
	ds_read_b128 v[3:6], v0
	global_load_ushort v2, v[71:72], off
	s_waitcnt lgkmcnt(0)
	buffer_store_dword v3, off, s[56:59], 0 offset:268 ; 4-byte Folded Spill
	buffer_store_dword v4, off, s[56:59], 0 offset:272 ; 4-byte Folded Spill
	buffer_store_dword v5, off, s[56:59], 0 offset:276 ; 4-byte Folded Spill
	buffer_store_dword v6, off, s[56:59], 0 offset:280 ; 4-byte Folded Spill
	ds_read_b128 v[3:6], v0 offset:16
	s_waitcnt lgkmcnt(0)
	buffer_store_dword v3, off, s[56:59], 0 offset:252 ; 4-byte Folded Spill
	buffer_store_dword v4, off, s[56:59], 0 offset:256 ; 4-byte Folded Spill
	buffer_store_dword v5, off, s[56:59], 0 offset:260 ; 4-byte Folded Spill
	buffer_store_dword v6, off, s[56:59], 0 offset:264 ; 4-byte Folded Spill
	ds_read_b128 v[3:6], v0 offset:32
	;; [unrolled: 6-line block ×9, first 2 shown]
	s_waitcnt lgkmcnt(0)
	buffer_store_dword v3, off, s[56:59], 0 offset:124 ; 4-byte Folded Spill
	buffer_store_dword v4, off, s[56:59], 0 offset:128 ; 4-byte Folded Spill
	;; [unrolled: 1-line block ×4, first 2 shown]
	ds_read_b64 v[3:4], v0 offset:192
	s_waitcnt lgkmcnt(0)
	buffer_store_dword v3, off, s[56:59], 0 offset:84 ; 4-byte Folded Spill
	buffer_store_dword v4, off, s[56:59], 0 offset:88 ; 4-byte Folded Spill
	v_mov_b32_e32 v3, 0
	v_mov_b32_e32 v4, 0
	s_load_dword s49, s[12:13], 0x0
	buffer_store_dword v3, off, s[56:59], 0 ; 4-byte Folded Spill
	buffer_store_dword v4, off, s[56:59], 0 offset:4 ; 4-byte Folded Spill
	v_mov_b32_e32 v3, 0
	v_mov_b32_e32 v4, 0
	buffer_store_dword v3, off, s[56:59], 0 offset:72 ; 4-byte Folded Spill
	buffer_store_dword v4, off, s[56:59], 0 offset:76 ; 4-byte Folded Spill
	s_waitcnt vmcnt(0)
	v_and_b32_e32 v1, 0xffff, v2
	v_cmp_ne_u16_sdwa s3, v2, v52 src0_sel:BYTE_0 src1_sel:DWORD
	ds_read_b128 v[2:5], v0 offset:160
	s_waitcnt lgkmcnt(0)
	buffer_store_dword v2, off, s[56:59], 0 offset:108 ; 4-byte Folded Spill
	buffer_store_dword v3, off, s[56:59], 0 offset:112 ; 4-byte Folded Spill
	buffer_store_dword v4, off, s[56:59], 0 offset:116 ; 4-byte Folded Spill
	buffer_store_dword v5, off, s[56:59], 0 offset:120 ; 4-byte Folded Spill
	ds_read_b128 v[2:5], v0 offset:176
	s_waitcnt lgkmcnt(0)
	buffer_store_dword v2, off, s[56:59], 0 offset:92 ; 4-byte Folded Spill
	buffer_store_dword v3, off, s[56:59], 0 offset:96 ; 4-byte Folded Spill
	;; [unrolled: 1-line block ×4, first 2 shown]
	s_and_saveexec_b32 s50, s3
	s_cbranch_execz .LBB213_26
; %bb.19:                               ;   in Loop: Header=BB213_13 Depth=1
	v_bfrev_b32_e32 v4, 1
	v_mov_b32_e32 v5, 0
	v_cmp_ne_u16_sdwa s3, v1, v46 src0_sel:BYTE_0 src1_sel:DWORD
	s_and_saveexec_b32 s51, s3
	s_cbranch_execz .LBB213_25
; %bb.20:                               ;   in Loop: Header=BB213_13 Depth=1
	v_mov_b32_e32 v4, 0x7f800001
	v_and_b32_e32 v3, 0x7f, v1
	v_mov_b32_e32 v5, 0
	s_mov_b32 s52, exec_lo
	v_cmpx_ne_u32_e32 0x7f, v3
	s_cbranch_execz .LBB213_24
; %bb.21:                               ;   in Loop: Header=BB213_13 Depth=1
	v_and_b32_e32 v51, 7, v1
	v_lshrrev_b32_e32 v2, 3, v3
	s_mov_b32 s53, exec_lo
	v_cmpx_gt_u32_e32 8, v3
; %bb.22:                               ;   in Loop: Header=BB213_13 Depth=1
	v_ffbh_u32_e32 v2, v51
	v_min_u32_e32 v2, 32, v2
	v_subrev_nc_u32_e32 v3, 28, v2
	v_sub_nc_u32_e32 v2, 29, v2
	v_lshlrev_b64 v[3:4], v3, v[51:52]
	v_and_b32_e32 v51, 7, v3
; %bb.23:                               ;   in Loop: Header=BB213_13 Depth=1
	s_or_b32 exec_lo, exec_lo, s53
	v_lshlrev_b32_e32 v3, 24, v1
	v_lshlrev_b32_e32 v4, 20, v51
	v_lshl_add_u32 v2, v2, 23, 0x3c000000
	v_and_b32_e32 v3, 0x80000000, v3
	v_or3_b32 v51, v4, v3, v2
	v_mov_b32_e32 v4, v51
	v_mov_b32_e32 v5, v52
.LBB213_24:                             ;   in Loop: Header=BB213_13 Depth=1
	s_or_b32 exec_lo, exec_lo, s52
.LBB213_25:                             ;   in Loop: Header=BB213_13 Depth=1
	s_or_b32 exec_lo, exec_lo, s51
	buffer_store_dword v4, off, s[56:59], 0 offset:72 ; 4-byte Folded Spill
	buffer_store_dword v5, off, s[56:59], 0 offset:76 ; 4-byte Folded Spill
.LBB213_26:                             ;   in Loop: Header=BB213_13 Depth=1
	s_or_b32 exec_lo, exec_lo, s50
	v_cmp_ne_u16_sdwa s3, v1, v52 src0_sel:BYTE_1 src1_sel:DWORD
	s_and_saveexec_b32 s50, s3
	s_cbranch_execz .LBB213_34
; %bb.27:                               ;   in Loop: Header=BB213_13 Depth=1
	v_mov_b32_e32 v53, v52
	v_cmp_ne_u16_sdwa s3, v1, v46 src0_sel:BYTE_1 src1_sel:DWORD
	buffer_store_dword v53, off, s[56:59], 0 ; 4-byte Folded Spill
	buffer_store_dword v54, off, s[56:59], 0 offset:4 ; 4-byte Folded Spill
	s_and_saveexec_b32 s51, s3
	s_cbranch_execz .LBB213_33
; %bb.28:                               ;   in Loop: Header=BB213_13 Depth=1
	v_mov_b32_e32 v2, 0xffff
	v_mov_b32_e32 v33, v52
	s_mov_b32 s52, exec_lo
	buffer_store_dword v33, off, s[56:59], 0 ; 4-byte Folded Spill
	buffer_store_dword v34, off, s[56:59], 0 offset:4 ; 4-byte Folded Spill
	v_and_b32_sdwa v2, v2, v1 dst_sel:DWORD dst_unused:UNUSED_PAD src0_sel:DWORD src1_sel:BYTE_1
	v_and_b32_e32 v3, 0x7f, v2
	v_cmpx_ne_u32_e32 0x7f, v3
	s_cbranch_execz .LBB213_32
; %bb.29:                               ;   in Loop: Header=BB213_13 Depth=1
	v_and_b32_e32 v51, 7, v2
	v_lshrrev_b32_e32 v2, 3, v3
	s_mov_b32 s53, exec_lo
	v_cmpx_gt_u32_e32 8, v3
; %bb.30:                               ;   in Loop: Header=BB213_13 Depth=1
	v_ffbh_u32_e32 v2, v51
	v_min_u32_e32 v2, 32, v2
	v_subrev_nc_u32_e32 v3, 28, v2
	v_sub_nc_u32_e32 v2, 29, v2
	v_lshlrev_b64 v[3:4], v3, v[51:52]
	v_and_b32_e32 v51, 7, v3
; %bb.31:                               ;   in Loop: Header=BB213_13 Depth=1
	s_or_b32 exec_lo, exec_lo, s53
	v_lshlrev_b32_e32 v1, 16, v1
	v_lshlrev_b32_e32 v3, 20, v51
	v_lshl_add_u32 v2, v2, 23, 0x3c000000
	v_and_b32_e32 v1, 0x80000000, v1
	v_or3_b32 v2, v3, v1, v2
	v_mov_b32_e32 v1, v52
	buffer_store_dword v1, off, s[56:59], 0 ; 4-byte Folded Spill
	buffer_store_dword v2, off, s[56:59], 0 offset:4 ; 4-byte Folded Spill
.LBB213_32:                             ;   in Loop: Header=BB213_13 Depth=1
	s_or_b32 exec_lo, exec_lo, s52
.LBB213_33:                             ;   in Loop: Header=BB213_13 Depth=1
	s_or_b32 exec_lo, exec_lo, s51
.LBB213_34:                             ;   in Loop: Header=BB213_13 Depth=1
	s_or_b32 exec_lo, exec_lo, s50
	global_load_ushort v2, v[71:72], off offset:4
	v_mov_b32_e32 v3, 0
	v_mov_b32_e32 v4, 0
	buffer_store_dword v3, off, s[56:59], 0 offset:16 ; 4-byte Folded Spill
	buffer_store_dword v4, off, s[56:59], 0 offset:20 ; 4-byte Folded Spill
	v_mov_b32_e32 v3, 0
	v_mov_b32_e32 v4, 0
	buffer_store_dword v3, off, s[56:59], 0 offset:8 ; 4-byte Folded Spill
	buffer_store_dword v4, off, s[56:59], 0 offset:12 ; 4-byte Folded Spill
	s_waitcnt vmcnt(0)
	v_and_b32_e32 v1, 0xffff, v2
	v_cmp_ne_u16_sdwa s3, v2, v52 src0_sel:BYTE_0 src1_sel:DWORD
	s_and_saveexec_b32 s50, s3
	s_cbranch_execz .LBB213_42
; %bb.35:                               ;   in Loop: Header=BB213_13 Depth=1
	v_bfrev_b32_e32 v2, 1
	v_mov_b32_e32 v3, 0
	v_cmp_ne_u16_sdwa s3, v1, v46 src0_sel:BYTE_0 src1_sel:DWORD
	buffer_store_dword v2, off, s[56:59], 0 offset:8 ; 4-byte Folded Spill
	buffer_store_dword v3, off, s[56:59], 0 offset:12 ; 4-byte Folded Spill
	s_and_saveexec_b32 s51, s3
	s_cbranch_execz .LBB213_41
; %bb.36:                               ;   in Loop: Header=BB213_13 Depth=1
	v_mov_b32_e32 v4, 0x7f800001
	v_and_b32_e32 v3, 0x7f, v1
	v_mov_b32_e32 v5, 0
	s_mov_b32 s52, exec_lo
	buffer_store_dword v4, off, s[56:59], 0 offset:8 ; 4-byte Folded Spill
	buffer_store_dword v5, off, s[56:59], 0 offset:12 ; 4-byte Folded Spill
	v_cmpx_ne_u32_e32 0x7f, v3
	s_cbranch_execz .LBB213_40
; %bb.37:                               ;   in Loop: Header=BB213_13 Depth=1
	v_and_b32_e32 v51, 7, v1
	v_lshrrev_b32_e32 v2, 3, v3
	s_mov_b32 s53, exec_lo
	v_cmpx_gt_u32_e32 8, v3
; %bb.38:                               ;   in Loop: Header=BB213_13 Depth=1
	v_ffbh_u32_e32 v2, v51
	v_min_u32_e32 v2, 32, v2
	v_subrev_nc_u32_e32 v3, 28, v2
	v_sub_nc_u32_e32 v2, 29, v2
	v_lshlrev_b64 v[3:4], v3, v[51:52]
	v_and_b32_e32 v51, 7, v3
; %bb.39:                               ;   in Loop: Header=BB213_13 Depth=1
	s_or_b32 exec_lo, exec_lo, s53
	v_lshlrev_b32_e32 v3, 24, v1
	v_lshlrev_b32_e32 v4, 20, v51
	v_lshl_add_u32 v2, v2, 23, 0x3c000000
	v_and_b32_e32 v3, 0x80000000, v3
	v_or3_b32 v51, v4, v3, v2
	buffer_store_dword v51, off, s[56:59], 0 offset:8 ; 4-byte Folded Spill
	buffer_store_dword v52, off, s[56:59], 0 offset:12 ; 4-byte Folded Spill
.LBB213_40:                             ;   in Loop: Header=BB213_13 Depth=1
	s_or_b32 exec_lo, exec_lo, s52
.LBB213_41:                             ;   in Loop: Header=BB213_13 Depth=1
	s_or_b32 exec_lo, exec_lo, s51
.LBB213_42:                             ;   in Loop: Header=BB213_13 Depth=1
	s_or_b32 exec_lo, exec_lo, s50
	v_cmp_ne_u16_sdwa s3, v1, v52 src0_sel:BYTE_1 src1_sel:DWORD
	s_and_saveexec_b32 s50, s3
	s_cbranch_execz .LBB213_50
; %bb.43:                               ;   in Loop: Header=BB213_13 Depth=1
	v_mov_b32_e32 v53, v52
	v_cmp_ne_u16_sdwa s3, v1, v46 src0_sel:BYTE_1 src1_sel:DWORD
	buffer_store_dword v53, off, s[56:59], 0 offset:16 ; 4-byte Folded Spill
	buffer_store_dword v54, off, s[56:59], 0 offset:20 ; 4-byte Folded Spill
	s_and_saveexec_b32 s51, s3
	s_cbranch_execz .LBB213_49
; %bb.44:                               ;   in Loop: Header=BB213_13 Depth=1
	v_mov_b32_e32 v2, 0xffff
	v_mov_b32_e32 v33, v52
	s_mov_b32 s52, exec_lo
	buffer_store_dword v33, off, s[56:59], 0 offset:16 ; 4-byte Folded Spill
	buffer_store_dword v34, off, s[56:59], 0 offset:20 ; 4-byte Folded Spill
	v_and_b32_sdwa v2, v2, v1 dst_sel:DWORD dst_unused:UNUSED_PAD src0_sel:DWORD src1_sel:BYTE_1
	v_and_b32_e32 v3, 0x7f, v2
	v_cmpx_ne_u32_e32 0x7f, v3
	s_cbranch_execz .LBB213_48
; %bb.45:                               ;   in Loop: Header=BB213_13 Depth=1
	v_and_b32_e32 v51, 7, v2
	v_lshrrev_b32_e32 v2, 3, v3
	s_mov_b32 s53, exec_lo
	v_cmpx_gt_u32_e32 8, v3
; %bb.46:                               ;   in Loop: Header=BB213_13 Depth=1
	v_ffbh_u32_e32 v2, v51
	v_min_u32_e32 v2, 32, v2
	v_subrev_nc_u32_e32 v3, 28, v2
	v_sub_nc_u32_e32 v2, 29, v2
	v_lshlrev_b64 v[3:4], v3, v[51:52]
	v_and_b32_e32 v51, 7, v3
; %bb.47:                               ;   in Loop: Header=BB213_13 Depth=1
	s_or_b32 exec_lo, exec_lo, s53
	v_lshlrev_b32_e32 v1, 16, v1
	v_lshlrev_b32_e32 v3, 20, v51
	v_lshl_add_u32 v2, v2, 23, 0x3c000000
	v_and_b32_e32 v1, 0x80000000, v1
	v_or3_b32 v2, v3, v1, v2
	v_mov_b32_e32 v1, v52
	buffer_store_dword v1, off, s[56:59], 0 offset:16 ; 4-byte Folded Spill
	buffer_store_dword v2, off, s[56:59], 0 offset:20 ; 4-byte Folded Spill
.LBB213_48:                             ;   in Loop: Header=BB213_13 Depth=1
	s_or_b32 exec_lo, exec_lo, s52
.LBB213_49:                             ;   in Loop: Header=BB213_13 Depth=1
	s_or_b32 exec_lo, exec_lo, s51
.LBB213_50:                             ;   in Loop: Header=BB213_13 Depth=1
	s_or_b32 exec_lo, exec_lo, s50
	global_load_ushort v2, v[71:72], off offset:8
	v_mov_b32_e32 v3, 0
	v_mov_b32_e32 v4, 0
	buffer_store_dword v3, off, s[56:59], 0 offset:32 ; 4-byte Folded Spill
	buffer_store_dword v4, off, s[56:59], 0 offset:36 ; 4-byte Folded Spill
	v_mov_b32_e32 v3, 0
	v_mov_b32_e32 v4, 0
	buffer_store_dword v3, off, s[56:59], 0 offset:24 ; 4-byte Folded Spill
	buffer_store_dword v4, off, s[56:59], 0 offset:28 ; 4-byte Folded Spill
	s_waitcnt vmcnt(0)
	v_and_b32_e32 v1, 0xffff, v2
	v_cmp_ne_u16_sdwa s3, v2, v52 src0_sel:BYTE_0 src1_sel:DWORD
	s_and_saveexec_b32 s50, s3
	s_cbranch_execz .LBB213_58
; %bb.51:                               ;   in Loop: Header=BB213_13 Depth=1
	v_bfrev_b32_e32 v2, 1
	v_mov_b32_e32 v3, 0
	v_cmp_ne_u16_sdwa s3, v1, v46 src0_sel:BYTE_0 src1_sel:DWORD
	buffer_store_dword v2, off, s[56:59], 0 offset:24 ; 4-byte Folded Spill
	buffer_store_dword v3, off, s[56:59], 0 offset:28 ; 4-byte Folded Spill
	s_and_saveexec_b32 s51, s3
	s_cbranch_execz .LBB213_57
; %bb.52:                               ;   in Loop: Header=BB213_13 Depth=1
	v_mov_b32_e32 v4, 0x7f800001
	v_and_b32_e32 v3, 0x7f, v1
	v_mov_b32_e32 v5, 0
	s_mov_b32 s52, exec_lo
	buffer_store_dword v4, off, s[56:59], 0 offset:24 ; 4-byte Folded Spill
	buffer_store_dword v5, off, s[56:59], 0 offset:28 ; 4-byte Folded Spill
	v_cmpx_ne_u32_e32 0x7f, v3
	s_cbranch_execz .LBB213_56
; %bb.53:                               ;   in Loop: Header=BB213_13 Depth=1
	v_and_b32_e32 v51, 7, v1
	v_lshrrev_b32_e32 v2, 3, v3
	s_mov_b32 s53, exec_lo
	v_cmpx_gt_u32_e32 8, v3
; %bb.54:                               ;   in Loop: Header=BB213_13 Depth=1
	v_ffbh_u32_e32 v2, v51
	v_min_u32_e32 v2, 32, v2
	v_subrev_nc_u32_e32 v3, 28, v2
	v_sub_nc_u32_e32 v2, 29, v2
	v_lshlrev_b64 v[3:4], v3, v[51:52]
	v_and_b32_e32 v51, 7, v3
; %bb.55:                               ;   in Loop: Header=BB213_13 Depth=1
	s_or_b32 exec_lo, exec_lo, s53
	v_lshlrev_b32_e32 v3, 24, v1
	v_lshlrev_b32_e32 v4, 20, v51
	v_lshl_add_u32 v2, v2, 23, 0x3c000000
	v_and_b32_e32 v3, 0x80000000, v3
	v_or3_b32 v51, v4, v3, v2
	buffer_store_dword v51, off, s[56:59], 0 offset:24 ; 4-byte Folded Spill
	buffer_store_dword v52, off, s[56:59], 0 offset:28 ; 4-byte Folded Spill
.LBB213_56:                             ;   in Loop: Header=BB213_13 Depth=1
	s_or_b32 exec_lo, exec_lo, s52
.LBB213_57:                             ;   in Loop: Header=BB213_13 Depth=1
	s_or_b32 exec_lo, exec_lo, s51
.LBB213_58:                             ;   in Loop: Header=BB213_13 Depth=1
	s_or_b32 exec_lo, exec_lo, s50
	v_cmp_ne_u16_sdwa s3, v1, v52 src0_sel:BYTE_1 src1_sel:DWORD
	s_and_saveexec_b32 s50, s3
	s_cbranch_execz .LBB213_66
; %bb.59:                               ;   in Loop: Header=BB213_13 Depth=1
	v_mov_b32_e32 v53, v52
	v_cmp_ne_u16_sdwa s3, v1, v46 src0_sel:BYTE_1 src1_sel:DWORD
	buffer_store_dword v53, off, s[56:59], 0 offset:32 ; 4-byte Folded Spill
	buffer_store_dword v54, off, s[56:59], 0 offset:36 ; 4-byte Folded Spill
	s_and_saveexec_b32 s51, s3
	s_cbranch_execz .LBB213_65
; %bb.60:                               ;   in Loop: Header=BB213_13 Depth=1
	v_mov_b32_e32 v2, 0xffff
	v_mov_b32_e32 v33, v52
	s_mov_b32 s52, exec_lo
	buffer_store_dword v33, off, s[56:59], 0 offset:32 ; 4-byte Folded Spill
	buffer_store_dword v34, off, s[56:59], 0 offset:36 ; 4-byte Folded Spill
	v_and_b32_sdwa v2, v2, v1 dst_sel:DWORD dst_unused:UNUSED_PAD src0_sel:DWORD src1_sel:BYTE_1
	v_and_b32_e32 v3, 0x7f, v2
	v_cmpx_ne_u32_e32 0x7f, v3
	s_cbranch_execz .LBB213_64
; %bb.61:                               ;   in Loop: Header=BB213_13 Depth=1
	v_and_b32_e32 v51, 7, v2
	v_lshrrev_b32_e32 v2, 3, v3
	s_mov_b32 s53, exec_lo
	v_cmpx_gt_u32_e32 8, v3
; %bb.62:                               ;   in Loop: Header=BB213_13 Depth=1
	v_ffbh_u32_e32 v2, v51
	v_min_u32_e32 v2, 32, v2
	v_subrev_nc_u32_e32 v3, 28, v2
	v_sub_nc_u32_e32 v2, 29, v2
	v_lshlrev_b64 v[3:4], v3, v[51:52]
	v_and_b32_e32 v51, 7, v3
; %bb.63:                               ;   in Loop: Header=BB213_13 Depth=1
	s_or_b32 exec_lo, exec_lo, s53
	v_lshlrev_b32_e32 v1, 16, v1
	v_lshlrev_b32_e32 v3, 20, v51
	v_lshl_add_u32 v2, v2, 23, 0x3c000000
	v_and_b32_e32 v1, 0x80000000, v1
	v_or3_b32 v2, v3, v1, v2
	v_mov_b32_e32 v1, v52
	buffer_store_dword v1, off, s[56:59], 0 offset:32 ; 4-byte Folded Spill
	buffer_store_dword v2, off, s[56:59], 0 offset:36 ; 4-byte Folded Spill
.LBB213_64:                             ;   in Loop: Header=BB213_13 Depth=1
	s_or_b32 exec_lo, exec_lo, s52
.LBB213_65:                             ;   in Loop: Header=BB213_13 Depth=1
	s_or_b32 exec_lo, exec_lo, s51
.LBB213_66:                             ;   in Loop: Header=BB213_13 Depth=1
	s_or_b32 exec_lo, exec_lo, s50
	global_load_ushort v2, v[71:72], off offset:12
	v_mov_b32_e32 v3, 0
	v_mov_b32_e32 v4, 0
	buffer_store_dword v3, off, s[56:59], 0 offset:48 ; 4-byte Folded Spill
	buffer_store_dword v4, off, s[56:59], 0 offset:52 ; 4-byte Folded Spill
	v_mov_b32_e32 v3, 0
	v_mov_b32_e32 v4, 0
	buffer_store_dword v3, off, s[56:59], 0 offset:40 ; 4-byte Folded Spill
	buffer_store_dword v4, off, s[56:59], 0 offset:44 ; 4-byte Folded Spill
	s_waitcnt vmcnt(0)
	v_and_b32_e32 v1, 0xffff, v2
	v_cmp_ne_u16_sdwa s3, v2, v52 src0_sel:BYTE_0 src1_sel:DWORD
	s_and_saveexec_b32 s50, s3
	s_cbranch_execz .LBB213_74
; %bb.67:                               ;   in Loop: Header=BB213_13 Depth=1
	v_bfrev_b32_e32 v2, 1
	v_mov_b32_e32 v3, 0
	v_cmp_ne_u16_sdwa s3, v1, v46 src0_sel:BYTE_0 src1_sel:DWORD
	buffer_store_dword v2, off, s[56:59], 0 offset:40 ; 4-byte Folded Spill
	buffer_store_dword v3, off, s[56:59], 0 offset:44 ; 4-byte Folded Spill
	s_and_saveexec_b32 s51, s3
	s_cbranch_execz .LBB213_73
; %bb.68:                               ;   in Loop: Header=BB213_13 Depth=1
	v_mov_b32_e32 v4, 0x7f800001
	v_and_b32_e32 v3, 0x7f, v1
	v_mov_b32_e32 v5, 0
	s_mov_b32 s52, exec_lo
	buffer_store_dword v4, off, s[56:59], 0 offset:40 ; 4-byte Folded Spill
	buffer_store_dword v5, off, s[56:59], 0 offset:44 ; 4-byte Folded Spill
	v_cmpx_ne_u32_e32 0x7f, v3
	s_cbranch_execz .LBB213_72
; %bb.69:                               ;   in Loop: Header=BB213_13 Depth=1
	v_and_b32_e32 v51, 7, v1
	v_lshrrev_b32_e32 v2, 3, v3
	s_mov_b32 s53, exec_lo
	v_cmpx_gt_u32_e32 8, v3
; %bb.70:                               ;   in Loop: Header=BB213_13 Depth=1
	v_ffbh_u32_e32 v2, v51
	v_min_u32_e32 v2, 32, v2
	v_subrev_nc_u32_e32 v3, 28, v2
	v_sub_nc_u32_e32 v2, 29, v2
	v_lshlrev_b64 v[3:4], v3, v[51:52]
	v_and_b32_e32 v51, 7, v3
; %bb.71:                               ;   in Loop: Header=BB213_13 Depth=1
	s_or_b32 exec_lo, exec_lo, s53
	v_lshlrev_b32_e32 v3, 24, v1
	v_lshlrev_b32_e32 v4, 20, v51
	v_lshl_add_u32 v2, v2, 23, 0x3c000000
	v_and_b32_e32 v3, 0x80000000, v3
	v_or3_b32 v51, v4, v3, v2
	buffer_store_dword v51, off, s[56:59], 0 offset:40 ; 4-byte Folded Spill
	buffer_store_dword v52, off, s[56:59], 0 offset:44 ; 4-byte Folded Spill
.LBB213_72:                             ;   in Loop: Header=BB213_13 Depth=1
	s_or_b32 exec_lo, exec_lo, s52
.LBB213_73:                             ;   in Loop: Header=BB213_13 Depth=1
	s_or_b32 exec_lo, exec_lo, s51
.LBB213_74:                             ;   in Loop: Header=BB213_13 Depth=1
	s_or_b32 exec_lo, exec_lo, s50
	v_cmp_ne_u16_sdwa s3, v1, v52 src0_sel:BYTE_1 src1_sel:DWORD
	s_and_saveexec_b32 s50, s3
	s_cbranch_execz .LBB213_82
; %bb.75:                               ;   in Loop: Header=BB213_13 Depth=1
	v_mov_b32_e32 v53, v52
	v_cmp_ne_u16_sdwa s3, v1, v46 src0_sel:BYTE_1 src1_sel:DWORD
	buffer_store_dword v53, off, s[56:59], 0 offset:48 ; 4-byte Folded Spill
	buffer_store_dword v54, off, s[56:59], 0 offset:52 ; 4-byte Folded Spill
	s_and_saveexec_b32 s51, s3
	s_cbranch_execz .LBB213_81
; %bb.76:                               ;   in Loop: Header=BB213_13 Depth=1
	v_mov_b32_e32 v2, 0xffff
	v_mov_b32_e32 v33, v52
	s_mov_b32 s52, exec_lo
	buffer_store_dword v33, off, s[56:59], 0 offset:48 ; 4-byte Folded Spill
	buffer_store_dword v34, off, s[56:59], 0 offset:52 ; 4-byte Folded Spill
	v_and_b32_sdwa v2, v2, v1 dst_sel:DWORD dst_unused:UNUSED_PAD src0_sel:DWORD src1_sel:BYTE_1
	v_and_b32_e32 v3, 0x7f, v2
	v_cmpx_ne_u32_e32 0x7f, v3
	s_cbranch_execz .LBB213_80
; %bb.77:                               ;   in Loop: Header=BB213_13 Depth=1
	v_and_b32_e32 v51, 7, v2
	v_lshrrev_b32_e32 v2, 3, v3
	s_mov_b32 s53, exec_lo
	v_cmpx_gt_u32_e32 8, v3
; %bb.78:                               ;   in Loop: Header=BB213_13 Depth=1
	v_ffbh_u32_e32 v2, v51
	v_min_u32_e32 v2, 32, v2
	v_subrev_nc_u32_e32 v3, 28, v2
	v_sub_nc_u32_e32 v2, 29, v2
	v_lshlrev_b64 v[3:4], v3, v[51:52]
	v_and_b32_e32 v51, 7, v3
; %bb.79:                               ;   in Loop: Header=BB213_13 Depth=1
	s_or_b32 exec_lo, exec_lo, s53
	v_lshlrev_b32_e32 v1, 16, v1
	v_lshlrev_b32_e32 v3, 20, v51
	v_lshl_add_u32 v2, v2, 23, 0x3c000000
	v_and_b32_e32 v1, 0x80000000, v1
	v_or3_b32 v2, v3, v1, v2
	v_mov_b32_e32 v1, v52
	buffer_store_dword v1, off, s[56:59], 0 offset:48 ; 4-byte Folded Spill
	buffer_store_dword v2, off, s[56:59], 0 offset:52 ; 4-byte Folded Spill
.LBB213_80:                             ;   in Loop: Header=BB213_13 Depth=1
	s_or_b32 exec_lo, exec_lo, s52
.LBB213_81:                             ;   in Loop: Header=BB213_13 Depth=1
	s_or_b32 exec_lo, exec_lo, s51
.LBB213_82:                             ;   in Loop: Header=BB213_13 Depth=1
	s_or_b32 exec_lo, exec_lo, s50
	global_load_ushort v2, v[71:72], off offset:256
	v_mov_b32_e32 v83, 0
	v_mov_b32_e32 v3, 0
	;; [unrolled: 1-line block ×4, first 2 shown]
	buffer_store_dword v3, off, s[56:59], 0 offset:56 ; 4-byte Folded Spill
	buffer_store_dword v4, off, s[56:59], 0 offset:60 ; 4-byte Folded Spill
	s_waitcnt vmcnt(0)
	v_and_b32_e32 v1, 0xffff, v2
	v_cmp_ne_u16_sdwa s3, v2, v52 src0_sel:BYTE_0 src1_sel:DWORD
	s_and_saveexec_b32 s50, s3
	s_cbranch_execz .LBB213_90
; %bb.83:                               ;   in Loop: Header=BB213_13 Depth=1
	v_bfrev_b32_e32 v2, 1
	v_mov_b32_e32 v3, 0
	v_cmp_ne_u16_sdwa s3, v1, v46 src0_sel:BYTE_0 src1_sel:DWORD
	buffer_store_dword v2, off, s[56:59], 0 offset:56 ; 4-byte Folded Spill
	buffer_store_dword v3, off, s[56:59], 0 offset:60 ; 4-byte Folded Spill
	s_and_saveexec_b32 s51, s3
	s_cbranch_execz .LBB213_89
; %bb.84:                               ;   in Loop: Header=BB213_13 Depth=1
	v_mov_b32_e32 v4, 0x7f800001
	v_and_b32_e32 v3, 0x7f, v1
	v_mov_b32_e32 v5, 0
	s_mov_b32 s52, exec_lo
	buffer_store_dword v4, off, s[56:59], 0 offset:56 ; 4-byte Folded Spill
	buffer_store_dword v5, off, s[56:59], 0 offset:60 ; 4-byte Folded Spill
	v_cmpx_ne_u32_e32 0x7f, v3
	s_cbranch_execz .LBB213_88
; %bb.85:                               ;   in Loop: Header=BB213_13 Depth=1
	v_and_b32_e32 v51, 7, v1
	v_lshrrev_b32_e32 v2, 3, v3
	s_mov_b32 s53, exec_lo
	v_cmpx_gt_u32_e32 8, v3
; %bb.86:                               ;   in Loop: Header=BB213_13 Depth=1
	v_ffbh_u32_e32 v2, v51
	v_min_u32_e32 v2, 32, v2
	v_subrev_nc_u32_e32 v3, 28, v2
	v_sub_nc_u32_e32 v2, 29, v2
	v_lshlrev_b64 v[3:4], v3, v[51:52]
	v_and_b32_e32 v51, 7, v3
; %bb.87:                               ;   in Loop: Header=BB213_13 Depth=1
	s_or_b32 exec_lo, exec_lo, s53
	v_lshlrev_b32_e32 v3, 24, v1
	v_lshlrev_b32_e32 v4, 20, v51
	v_lshl_add_u32 v2, v2, 23, 0x3c000000
	v_and_b32_e32 v3, 0x80000000, v3
	v_or3_b32 v51, v4, v3, v2
	buffer_store_dword v51, off, s[56:59], 0 offset:56 ; 4-byte Folded Spill
	buffer_store_dword v52, off, s[56:59], 0 offset:60 ; 4-byte Folded Spill
.LBB213_88:                             ;   in Loop: Header=BB213_13 Depth=1
	s_or_b32 exec_lo, exec_lo, s52
.LBB213_89:                             ;   in Loop: Header=BB213_13 Depth=1
	s_or_b32 exec_lo, exec_lo, s51
.LBB213_90:                             ;   in Loop: Header=BB213_13 Depth=1
	s_or_b32 exec_lo, exec_lo, s50
	v_cmp_ne_u16_sdwa s3, v1, v52 src0_sel:BYTE_1 src1_sel:DWORD
	s_and_saveexec_b32 s50, s3
	s_cbranch_execz .LBB213_98
; %bb.91:                               ;   in Loop: Header=BB213_13 Depth=1
	v_mov_b32_e32 v53, v52
	v_mov_b32_e32 v84, v54
	v_cmp_ne_u16_sdwa s3, v1, v46 src0_sel:BYTE_1 src1_sel:DWORD
	v_mov_b32_e32 v83, v53
	s_and_saveexec_b32 s51, s3
	s_cbranch_execz .LBB213_97
; %bb.92:                               ;   in Loop: Header=BB213_13 Depth=1
	v_mov_b32_e32 v2, 0xffff
	v_mov_b32_e32 v33, v52
	;; [unrolled: 1-line block ×3, first 2 shown]
	s_mov_b32 s52, exec_lo
	v_and_b32_sdwa v2, v2, v1 dst_sel:DWORD dst_unused:UNUSED_PAD src0_sel:DWORD src1_sel:BYTE_1
	v_mov_b32_e32 v83, v33
	v_and_b32_e32 v3, 0x7f, v2
	v_cmpx_ne_u32_e32 0x7f, v3
	s_cbranch_execz .LBB213_96
; %bb.93:                               ;   in Loop: Header=BB213_13 Depth=1
	v_and_b32_e32 v51, 7, v2
	v_lshrrev_b32_e32 v2, 3, v3
	s_mov_b32 s53, exec_lo
	v_cmpx_gt_u32_e32 8, v3
; %bb.94:                               ;   in Loop: Header=BB213_13 Depth=1
	v_ffbh_u32_e32 v2, v51
	v_min_u32_e32 v2, 32, v2
	v_subrev_nc_u32_e32 v3, 28, v2
	v_sub_nc_u32_e32 v2, 29, v2
	v_lshlrev_b64 v[3:4], v3, v[51:52]
	v_and_b32_e32 v51, 7, v3
; %bb.95:                               ;   in Loop: Header=BB213_13 Depth=1
	s_or_b32 exec_lo, exec_lo, s53
	v_lshlrev_b32_e32 v1, 16, v1
	v_lshlrev_b32_e32 v3, 20, v51
	v_lshl_add_u32 v2, v2, 23, 0x3c000000
	v_mov_b32_e32 v83, v52
	v_and_b32_e32 v1, 0x80000000, v1
	v_or3_b32 v84, v3, v1, v2
.LBB213_96:                             ;   in Loop: Header=BB213_13 Depth=1
	s_or_b32 exec_lo, exec_lo, s52
.LBB213_97:                             ;   in Loop: Header=BB213_13 Depth=1
	s_or_b32 exec_lo, exec_lo, s51
.LBB213_98:                             ;   in Loop: Header=BB213_13 Depth=1
	s_or_b32 exec_lo, exec_lo, s50
	global_load_ushort v2, v[71:72], off offset:260
	v_mov_b32_e32 v87, 0
	v_mov_b32_e32 v3, 0
	;; [unrolled: 1-line block ×4, first 2 shown]
	buffer_store_dword v3, off, s[56:59], 0 offset:64 ; 4-byte Folded Spill
	buffer_store_dword v4, off, s[56:59], 0 offset:68 ; 4-byte Folded Spill
	s_waitcnt vmcnt(0)
	v_and_b32_e32 v1, 0xffff, v2
	v_cmp_ne_u16_sdwa s3, v2, v52 src0_sel:BYTE_0 src1_sel:DWORD
	s_and_saveexec_b32 s50, s3
	s_cbranch_execz .LBB213_106
; %bb.99:                               ;   in Loop: Header=BB213_13 Depth=1
	v_bfrev_b32_e32 v2, 1
	v_mov_b32_e32 v3, 0
	v_cmp_ne_u16_sdwa s3, v1, v46 src0_sel:BYTE_0 src1_sel:DWORD
	buffer_store_dword v2, off, s[56:59], 0 offset:64 ; 4-byte Folded Spill
	buffer_store_dword v3, off, s[56:59], 0 offset:68 ; 4-byte Folded Spill
	s_and_saveexec_b32 s51, s3
	s_cbranch_execz .LBB213_105
; %bb.100:                              ;   in Loop: Header=BB213_13 Depth=1
	v_mov_b32_e32 v4, 0x7f800001
	v_and_b32_e32 v3, 0x7f, v1
	v_mov_b32_e32 v5, 0
	s_mov_b32 s52, exec_lo
	buffer_store_dword v4, off, s[56:59], 0 offset:64 ; 4-byte Folded Spill
	buffer_store_dword v5, off, s[56:59], 0 offset:68 ; 4-byte Folded Spill
	v_cmpx_ne_u32_e32 0x7f, v3
	s_cbranch_execz .LBB213_104
; %bb.101:                              ;   in Loop: Header=BB213_13 Depth=1
	v_and_b32_e32 v51, 7, v1
	v_lshrrev_b32_e32 v2, 3, v3
	s_mov_b32 s53, exec_lo
	v_cmpx_gt_u32_e32 8, v3
; %bb.102:                              ;   in Loop: Header=BB213_13 Depth=1
	v_ffbh_u32_e32 v2, v51
	v_min_u32_e32 v2, 32, v2
	v_subrev_nc_u32_e32 v3, 28, v2
	v_sub_nc_u32_e32 v2, 29, v2
	v_lshlrev_b64 v[3:4], v3, v[51:52]
	v_and_b32_e32 v51, 7, v3
; %bb.103:                              ;   in Loop: Header=BB213_13 Depth=1
	s_or_b32 exec_lo, exec_lo, s53
	v_lshlrev_b32_e32 v3, 24, v1
	v_lshlrev_b32_e32 v4, 20, v51
	v_lshl_add_u32 v2, v2, 23, 0x3c000000
	v_and_b32_e32 v3, 0x80000000, v3
	v_or3_b32 v51, v4, v3, v2
	buffer_store_dword v51, off, s[56:59], 0 offset:64 ; 4-byte Folded Spill
	buffer_store_dword v52, off, s[56:59], 0 offset:68 ; 4-byte Folded Spill
.LBB213_104:                            ;   in Loop: Header=BB213_13 Depth=1
	s_or_b32 exec_lo, exec_lo, s52
.LBB213_105:                            ;   in Loop: Header=BB213_13 Depth=1
	s_or_b32 exec_lo, exec_lo, s51
.LBB213_106:                            ;   in Loop: Header=BB213_13 Depth=1
	s_or_b32 exec_lo, exec_lo, s50
	v_cmp_ne_u16_sdwa s3, v1, v52 src0_sel:BYTE_1 src1_sel:DWORD
	s_and_saveexec_b32 s50, s3
	s_cbranch_execz .LBB213_114
; %bb.107:                              ;   in Loop: Header=BB213_13 Depth=1
	v_mov_b32_e32 v53, v52
	v_mov_b32_e32 v88, v54
	v_cmp_ne_u16_sdwa s3, v1, v46 src0_sel:BYTE_1 src1_sel:DWORD
	v_mov_b32_e32 v87, v53
	s_and_saveexec_b32 s51, s3
	s_cbranch_execz .LBB213_113
; %bb.108:                              ;   in Loop: Header=BB213_13 Depth=1
	v_mov_b32_e32 v2, 0xffff
	v_mov_b32_e32 v33, v52
	;; [unrolled: 1-line block ×3, first 2 shown]
	s_mov_b32 s52, exec_lo
	v_and_b32_sdwa v2, v2, v1 dst_sel:DWORD dst_unused:UNUSED_PAD src0_sel:DWORD src1_sel:BYTE_1
	v_mov_b32_e32 v87, v33
	v_and_b32_e32 v3, 0x7f, v2
	v_cmpx_ne_u32_e32 0x7f, v3
	s_cbranch_execz .LBB213_112
; %bb.109:                              ;   in Loop: Header=BB213_13 Depth=1
	v_and_b32_e32 v51, 7, v2
	v_lshrrev_b32_e32 v2, 3, v3
	s_mov_b32 s53, exec_lo
	v_cmpx_gt_u32_e32 8, v3
; %bb.110:                              ;   in Loop: Header=BB213_13 Depth=1
	v_ffbh_u32_e32 v2, v51
	v_min_u32_e32 v2, 32, v2
	v_subrev_nc_u32_e32 v3, 28, v2
	v_sub_nc_u32_e32 v2, 29, v2
	v_lshlrev_b64 v[3:4], v3, v[51:52]
	v_and_b32_e32 v51, 7, v3
; %bb.111:                              ;   in Loop: Header=BB213_13 Depth=1
	s_or_b32 exec_lo, exec_lo, s53
	v_lshlrev_b32_e32 v1, 16, v1
	v_lshlrev_b32_e32 v3, 20, v51
	v_lshl_add_u32 v2, v2, 23, 0x3c000000
	v_mov_b32_e32 v87, v52
	v_and_b32_e32 v1, 0x80000000, v1
	v_or3_b32 v88, v3, v1, v2
.LBB213_112:                            ;   in Loop: Header=BB213_13 Depth=1
	s_or_b32 exec_lo, exec_lo, s52
.LBB213_113:                            ;   in Loop: Header=BB213_13 Depth=1
	s_or_b32 exec_lo, exec_lo, s51
.LBB213_114:                            ;   in Loop: Header=BB213_13 Depth=1
	s_or_b32 exec_lo, exec_lo, s50
	global_load_ushort v2, v[71:72], off offset:264
	v_mov_b32_e32 v91, 0
	v_mov_b32_e32 v89, 0
	v_mov_b32_e32 v92, 0
	v_mov_b32_e32 v90, 0
	s_waitcnt vmcnt(0)
	v_and_b32_e32 v1, 0xffff, v2
	v_cmp_ne_u16_sdwa s3, v2, v52 src0_sel:BYTE_0 src1_sel:DWORD
	s_and_saveexec_b32 s50, s3
	s_cbranch_execz .LBB213_122
; %bb.115:                              ;   in Loop: Header=BB213_13 Depth=1
	v_bfrev_b32_e32 v89, 1
	v_mov_b32_e32 v90, 0
	v_cmp_ne_u16_sdwa s3, v1, v46 src0_sel:BYTE_0 src1_sel:DWORD
	s_and_saveexec_b32 s51, s3
	s_cbranch_execz .LBB213_121
; %bb.116:                              ;   in Loop: Header=BB213_13 Depth=1
	v_mov_b32_e32 v89, 0x7f800001
	v_and_b32_e32 v3, 0x7f, v1
	v_mov_b32_e32 v90, 0
	s_mov_b32 s52, exec_lo
	v_cmpx_ne_u32_e32 0x7f, v3
	s_cbranch_execz .LBB213_120
; %bb.117:                              ;   in Loop: Header=BB213_13 Depth=1
	v_and_b32_e32 v51, 7, v1
	v_lshrrev_b32_e32 v2, 3, v3
	s_mov_b32 s53, exec_lo
	v_cmpx_gt_u32_e32 8, v3
; %bb.118:                              ;   in Loop: Header=BB213_13 Depth=1
	v_ffbh_u32_e32 v2, v51
	v_min_u32_e32 v2, 32, v2
	v_subrev_nc_u32_e32 v3, 28, v2
	v_sub_nc_u32_e32 v2, 29, v2
	v_lshlrev_b64 v[3:4], v3, v[51:52]
	v_and_b32_e32 v51, 7, v3
; %bb.119:                              ;   in Loop: Header=BB213_13 Depth=1
	s_or_b32 exec_lo, exec_lo, s53
	v_lshlrev_b32_e32 v3, 24, v1
	v_lshlrev_b32_e32 v4, 20, v51
	v_lshl_add_u32 v2, v2, 23, 0x3c000000
	v_and_b32_e32 v3, 0x80000000, v3
	v_or3_b32 v51, v4, v3, v2
	v_mov_b32_e32 v90, v52
	v_mov_b32_e32 v89, v51
.LBB213_120:                            ;   in Loop: Header=BB213_13 Depth=1
	s_or_b32 exec_lo, exec_lo, s52
.LBB213_121:                            ;   in Loop: Header=BB213_13 Depth=1
	s_or_b32 exec_lo, exec_lo, s51
.LBB213_122:                            ;   in Loop: Header=BB213_13 Depth=1
	s_or_b32 exec_lo, exec_lo, s50
	v_cmp_ne_u16_sdwa s3, v1, v52 src0_sel:BYTE_1 src1_sel:DWORD
	s_and_saveexec_b32 s50, s3
	s_cbranch_execz .LBB213_130
; %bb.123:                              ;   in Loop: Header=BB213_13 Depth=1
	v_mov_b32_e32 v53, v52
	v_mov_b32_e32 v92, v54
	v_cmp_ne_u16_sdwa s3, v1, v46 src0_sel:BYTE_1 src1_sel:DWORD
	v_mov_b32_e32 v91, v53
	s_and_saveexec_b32 s51, s3
	s_cbranch_execz .LBB213_129
; %bb.124:                              ;   in Loop: Header=BB213_13 Depth=1
	v_mov_b32_e32 v2, 0xffff
	v_mov_b32_e32 v33, v52
	;; [unrolled: 1-line block ×3, first 2 shown]
	s_mov_b32 s52, exec_lo
	v_and_b32_sdwa v2, v2, v1 dst_sel:DWORD dst_unused:UNUSED_PAD src0_sel:DWORD src1_sel:BYTE_1
	v_mov_b32_e32 v91, v33
	v_and_b32_e32 v3, 0x7f, v2
	v_cmpx_ne_u32_e32 0x7f, v3
	s_cbranch_execz .LBB213_128
; %bb.125:                              ;   in Loop: Header=BB213_13 Depth=1
	v_and_b32_e32 v51, 7, v2
	v_lshrrev_b32_e32 v2, 3, v3
	s_mov_b32 s53, exec_lo
	v_cmpx_gt_u32_e32 8, v3
; %bb.126:                              ;   in Loop: Header=BB213_13 Depth=1
	v_ffbh_u32_e32 v2, v51
	v_min_u32_e32 v2, 32, v2
	v_subrev_nc_u32_e32 v3, 28, v2
	v_sub_nc_u32_e32 v2, 29, v2
	v_lshlrev_b64 v[3:4], v3, v[51:52]
	v_and_b32_e32 v51, 7, v3
; %bb.127:                              ;   in Loop: Header=BB213_13 Depth=1
	s_or_b32 exec_lo, exec_lo, s53
	v_lshlrev_b32_e32 v1, 16, v1
	v_lshlrev_b32_e32 v3, 20, v51
	v_lshl_add_u32 v2, v2, 23, 0x3c000000
	v_mov_b32_e32 v91, v52
	v_and_b32_e32 v1, 0x80000000, v1
	v_or3_b32 v92, v3, v1, v2
.LBB213_128:                            ;   in Loop: Header=BB213_13 Depth=1
	s_or_b32 exec_lo, exec_lo, s52
.LBB213_129:                            ;   in Loop: Header=BB213_13 Depth=1
	s_or_b32 exec_lo, exec_lo, s51
.LBB213_130:                            ;   in Loop: Header=BB213_13 Depth=1
	s_or_b32 exec_lo, exec_lo, s50
	global_load_ushort v2, v[71:72], off offset:268
	v_mov_b32_e32 v95, 0
	v_mov_b32_e32 v93, 0
	v_mov_b32_e32 v96, 0
	v_mov_b32_e32 v94, 0
	s_waitcnt vmcnt(0)
	v_and_b32_e32 v1, 0xffff, v2
	v_cmp_ne_u16_sdwa s3, v2, v52 src0_sel:BYTE_0 src1_sel:DWORD
	s_and_saveexec_b32 s50, s3
	s_cbranch_execz .LBB213_138
; %bb.131:                              ;   in Loop: Header=BB213_13 Depth=1
	v_bfrev_b32_e32 v93, 1
	v_mov_b32_e32 v94, 0
	v_cmp_ne_u16_sdwa s3, v1, v46 src0_sel:BYTE_0 src1_sel:DWORD
	s_and_saveexec_b32 s51, s3
	s_cbranch_execz .LBB213_137
; %bb.132:                              ;   in Loop: Header=BB213_13 Depth=1
	v_mov_b32_e32 v93, 0x7f800001
	v_and_b32_e32 v3, 0x7f, v1
	v_mov_b32_e32 v94, 0
	s_mov_b32 s52, exec_lo
	v_cmpx_ne_u32_e32 0x7f, v3
	s_cbranch_execz .LBB213_136
; %bb.133:                              ;   in Loop: Header=BB213_13 Depth=1
	v_and_b32_e32 v51, 7, v1
	v_lshrrev_b32_e32 v2, 3, v3
	s_mov_b32 s53, exec_lo
	v_cmpx_gt_u32_e32 8, v3
; %bb.134:                              ;   in Loop: Header=BB213_13 Depth=1
	v_ffbh_u32_e32 v2, v51
	v_min_u32_e32 v2, 32, v2
	v_subrev_nc_u32_e32 v3, 28, v2
	v_sub_nc_u32_e32 v2, 29, v2
	v_lshlrev_b64 v[3:4], v3, v[51:52]
	v_and_b32_e32 v51, 7, v3
; %bb.135:                              ;   in Loop: Header=BB213_13 Depth=1
	s_or_b32 exec_lo, exec_lo, s53
	v_lshlrev_b32_e32 v3, 24, v1
	v_lshlrev_b32_e32 v4, 20, v51
	v_lshl_add_u32 v2, v2, 23, 0x3c000000
	v_and_b32_e32 v3, 0x80000000, v3
	v_or3_b32 v51, v4, v3, v2
	v_mov_b32_e32 v94, v52
	v_mov_b32_e32 v93, v51
.LBB213_136:                            ;   in Loop: Header=BB213_13 Depth=1
	s_or_b32 exec_lo, exec_lo, s52
.LBB213_137:                            ;   in Loop: Header=BB213_13 Depth=1
	s_or_b32 exec_lo, exec_lo, s51
.LBB213_138:                            ;   in Loop: Header=BB213_13 Depth=1
	s_or_b32 exec_lo, exec_lo, s50
	v_cmp_ne_u16_sdwa s3, v1, v52 src0_sel:BYTE_1 src1_sel:DWORD
	s_and_saveexec_b32 s50, s3
	s_cbranch_execz .LBB213_146
; %bb.139:                              ;   in Loop: Header=BB213_13 Depth=1
	v_mov_b32_e32 v53, v52
	v_mov_b32_e32 v96, v54
	v_cmp_ne_u16_sdwa s3, v1, v46 src0_sel:BYTE_1 src1_sel:DWORD
	v_mov_b32_e32 v95, v53
	s_and_saveexec_b32 s51, s3
	s_cbranch_execz .LBB213_145
; %bb.140:                              ;   in Loop: Header=BB213_13 Depth=1
	v_mov_b32_e32 v2, 0xffff
	v_mov_b32_e32 v33, v52
	;; [unrolled: 1-line block ×3, first 2 shown]
	s_mov_b32 s52, exec_lo
	v_and_b32_sdwa v2, v2, v1 dst_sel:DWORD dst_unused:UNUSED_PAD src0_sel:DWORD src1_sel:BYTE_1
	v_mov_b32_e32 v95, v33
	v_and_b32_e32 v3, 0x7f, v2
	v_cmpx_ne_u32_e32 0x7f, v3
	s_cbranch_execz .LBB213_144
; %bb.141:                              ;   in Loop: Header=BB213_13 Depth=1
	v_and_b32_e32 v51, 7, v2
	v_lshrrev_b32_e32 v2, 3, v3
	s_mov_b32 s53, exec_lo
	v_cmpx_gt_u32_e32 8, v3
; %bb.142:                              ;   in Loop: Header=BB213_13 Depth=1
	v_ffbh_u32_e32 v2, v51
	v_min_u32_e32 v2, 32, v2
	v_subrev_nc_u32_e32 v3, 28, v2
	v_sub_nc_u32_e32 v2, 29, v2
	v_lshlrev_b64 v[3:4], v3, v[51:52]
	v_and_b32_e32 v51, 7, v3
; %bb.143:                              ;   in Loop: Header=BB213_13 Depth=1
	s_or_b32 exec_lo, exec_lo, s53
	v_lshlrev_b32_e32 v1, 16, v1
	v_lshlrev_b32_e32 v3, 20, v51
	v_lshl_add_u32 v2, v2, 23, 0x3c000000
	v_mov_b32_e32 v95, v52
	v_and_b32_e32 v1, 0x80000000, v1
	v_or3_b32 v96, v3, v1, v2
.LBB213_144:                            ;   in Loop: Header=BB213_13 Depth=1
	s_or_b32 exec_lo, exec_lo, s52
.LBB213_145:                            ;   in Loop: Header=BB213_13 Depth=1
	s_or_b32 exec_lo, exec_lo, s51
.LBB213_146:                            ;   in Loop: Header=BB213_13 Depth=1
	s_or_b32 exec_lo, exec_lo, s50
	global_load_ushort v2, v[71:72], off offset:512
	v_mov_b32_e32 v99, 0
	v_mov_b32_e32 v97, 0
	;; [unrolled: 1-line block ×4, first 2 shown]
	s_waitcnt vmcnt(0)
	v_and_b32_e32 v1, 0xffff, v2
	v_cmp_ne_u16_sdwa s3, v2, v52 src0_sel:BYTE_0 src1_sel:DWORD
	s_and_saveexec_b32 s50, s3
	s_cbranch_execz .LBB213_154
; %bb.147:                              ;   in Loop: Header=BB213_13 Depth=1
	v_bfrev_b32_e32 v97, 1
	v_mov_b32_e32 v98, 0
	v_cmp_ne_u16_sdwa s3, v1, v46 src0_sel:BYTE_0 src1_sel:DWORD
	s_and_saveexec_b32 s51, s3
	s_cbranch_execz .LBB213_153
; %bb.148:                              ;   in Loop: Header=BB213_13 Depth=1
	v_mov_b32_e32 v97, 0x7f800001
	v_and_b32_e32 v3, 0x7f, v1
	v_mov_b32_e32 v98, 0
	s_mov_b32 s52, exec_lo
	v_cmpx_ne_u32_e32 0x7f, v3
	s_cbranch_execz .LBB213_152
; %bb.149:                              ;   in Loop: Header=BB213_13 Depth=1
	v_and_b32_e32 v51, 7, v1
	v_lshrrev_b32_e32 v2, 3, v3
	s_mov_b32 s53, exec_lo
	v_cmpx_gt_u32_e32 8, v3
; %bb.150:                              ;   in Loop: Header=BB213_13 Depth=1
	v_ffbh_u32_e32 v2, v51
	v_min_u32_e32 v2, 32, v2
	v_subrev_nc_u32_e32 v3, 28, v2
	v_sub_nc_u32_e32 v2, 29, v2
	v_lshlrev_b64 v[3:4], v3, v[51:52]
	v_and_b32_e32 v51, 7, v3
; %bb.151:                              ;   in Loop: Header=BB213_13 Depth=1
	s_or_b32 exec_lo, exec_lo, s53
	v_lshlrev_b32_e32 v3, 24, v1
	v_lshlrev_b32_e32 v4, 20, v51
	v_lshl_add_u32 v2, v2, 23, 0x3c000000
	v_and_b32_e32 v3, 0x80000000, v3
	v_or3_b32 v51, v4, v3, v2
	v_mov_b32_e32 v98, v52
	v_mov_b32_e32 v97, v51
.LBB213_152:                            ;   in Loop: Header=BB213_13 Depth=1
	s_or_b32 exec_lo, exec_lo, s52
.LBB213_153:                            ;   in Loop: Header=BB213_13 Depth=1
	s_or_b32 exec_lo, exec_lo, s51
.LBB213_154:                            ;   in Loop: Header=BB213_13 Depth=1
	s_or_b32 exec_lo, exec_lo, s50
	v_cmp_ne_u16_sdwa s3, v1, v52 src0_sel:BYTE_1 src1_sel:DWORD
	s_and_saveexec_b32 s50, s3
	s_cbranch_execz .LBB213_162
; %bb.155:                              ;   in Loop: Header=BB213_13 Depth=1
	v_mov_b32_e32 v53, v52
	v_mov_b32_e32 v100, v54
	v_cmp_ne_u16_sdwa s3, v1, v46 src0_sel:BYTE_1 src1_sel:DWORD
	v_mov_b32_e32 v99, v53
	s_and_saveexec_b32 s51, s3
	s_cbranch_execz .LBB213_161
; %bb.156:                              ;   in Loop: Header=BB213_13 Depth=1
	v_mov_b32_e32 v2, 0xffff
	v_mov_b32_e32 v33, v52
	;; [unrolled: 1-line block ×3, first 2 shown]
	s_mov_b32 s52, exec_lo
	v_and_b32_sdwa v2, v2, v1 dst_sel:DWORD dst_unused:UNUSED_PAD src0_sel:DWORD src1_sel:BYTE_1
	v_mov_b32_e32 v99, v33
	v_and_b32_e32 v3, 0x7f, v2
	v_cmpx_ne_u32_e32 0x7f, v3
	s_cbranch_execz .LBB213_160
; %bb.157:                              ;   in Loop: Header=BB213_13 Depth=1
	v_and_b32_e32 v51, 7, v2
	v_lshrrev_b32_e32 v2, 3, v3
	s_mov_b32 s53, exec_lo
	v_cmpx_gt_u32_e32 8, v3
; %bb.158:                              ;   in Loop: Header=BB213_13 Depth=1
	v_ffbh_u32_e32 v2, v51
	v_min_u32_e32 v2, 32, v2
	v_subrev_nc_u32_e32 v3, 28, v2
	v_sub_nc_u32_e32 v2, 29, v2
	v_lshlrev_b64 v[3:4], v3, v[51:52]
	v_and_b32_e32 v51, 7, v3
; %bb.159:                              ;   in Loop: Header=BB213_13 Depth=1
	s_or_b32 exec_lo, exec_lo, s53
	v_lshlrev_b32_e32 v1, 16, v1
	v_lshlrev_b32_e32 v3, 20, v51
	v_lshl_add_u32 v2, v2, 23, 0x3c000000
	v_mov_b32_e32 v99, v52
	v_and_b32_e32 v1, 0x80000000, v1
	v_or3_b32 v100, v3, v1, v2
.LBB213_160:                            ;   in Loop: Header=BB213_13 Depth=1
	s_or_b32 exec_lo, exec_lo, s52
.LBB213_161:                            ;   in Loop: Header=BB213_13 Depth=1
	s_or_b32 exec_lo, exec_lo, s51
.LBB213_162:                            ;   in Loop: Header=BB213_13 Depth=1
	s_or_b32 exec_lo, exec_lo, s50
	global_load_ushort v2, v[71:72], off offset:516
	v_mov_b32_e32 v103, 0
	v_mov_b32_e32 v101, 0
	;; [unrolled: 1-line block ×4, first 2 shown]
	s_waitcnt vmcnt(0)
	v_and_b32_e32 v1, 0xffff, v2
	v_cmp_ne_u16_sdwa s3, v2, v52 src0_sel:BYTE_0 src1_sel:DWORD
	s_and_saveexec_b32 s50, s3
	s_cbranch_execz .LBB213_170
; %bb.163:                              ;   in Loop: Header=BB213_13 Depth=1
	v_bfrev_b32_e32 v101, 1
	v_mov_b32_e32 v102, 0
	v_cmp_ne_u16_sdwa s3, v1, v46 src0_sel:BYTE_0 src1_sel:DWORD
	s_and_saveexec_b32 s51, s3
	s_cbranch_execz .LBB213_169
; %bb.164:                              ;   in Loop: Header=BB213_13 Depth=1
	v_mov_b32_e32 v101, 0x7f800001
	v_and_b32_e32 v3, 0x7f, v1
	v_mov_b32_e32 v102, 0
	s_mov_b32 s52, exec_lo
	v_cmpx_ne_u32_e32 0x7f, v3
	s_cbranch_execz .LBB213_168
; %bb.165:                              ;   in Loop: Header=BB213_13 Depth=1
	v_and_b32_e32 v51, 7, v1
	v_lshrrev_b32_e32 v2, 3, v3
	s_mov_b32 s53, exec_lo
	v_cmpx_gt_u32_e32 8, v3
; %bb.166:                              ;   in Loop: Header=BB213_13 Depth=1
	v_ffbh_u32_e32 v2, v51
	v_min_u32_e32 v2, 32, v2
	v_subrev_nc_u32_e32 v3, 28, v2
	v_sub_nc_u32_e32 v2, 29, v2
	v_lshlrev_b64 v[3:4], v3, v[51:52]
	v_and_b32_e32 v51, 7, v3
; %bb.167:                              ;   in Loop: Header=BB213_13 Depth=1
	s_or_b32 exec_lo, exec_lo, s53
	v_lshlrev_b32_e32 v3, 24, v1
	v_lshlrev_b32_e32 v4, 20, v51
	v_lshl_add_u32 v2, v2, 23, 0x3c000000
	v_and_b32_e32 v3, 0x80000000, v3
	v_or3_b32 v51, v4, v3, v2
	v_mov_b32_e32 v102, v52
	v_mov_b32_e32 v101, v51
.LBB213_168:                            ;   in Loop: Header=BB213_13 Depth=1
	s_or_b32 exec_lo, exec_lo, s52
.LBB213_169:                            ;   in Loop: Header=BB213_13 Depth=1
	s_or_b32 exec_lo, exec_lo, s51
.LBB213_170:                            ;   in Loop: Header=BB213_13 Depth=1
	s_or_b32 exec_lo, exec_lo, s50
	v_cmp_ne_u16_sdwa s3, v1, v52 src0_sel:BYTE_1 src1_sel:DWORD
	s_and_saveexec_b32 s50, s3
	s_cbranch_execz .LBB213_178
; %bb.171:                              ;   in Loop: Header=BB213_13 Depth=1
	v_mov_b32_e32 v53, v52
	v_mov_b32_e32 v104, v54
	v_cmp_ne_u16_sdwa s3, v1, v46 src0_sel:BYTE_1 src1_sel:DWORD
	v_mov_b32_e32 v103, v53
	s_and_saveexec_b32 s51, s3
	s_cbranch_execz .LBB213_177
; %bb.172:                              ;   in Loop: Header=BB213_13 Depth=1
	v_mov_b32_e32 v2, 0xffff
	v_mov_b32_e32 v33, v52
	;; [unrolled: 1-line block ×3, first 2 shown]
	s_mov_b32 s52, exec_lo
	v_and_b32_sdwa v2, v2, v1 dst_sel:DWORD dst_unused:UNUSED_PAD src0_sel:DWORD src1_sel:BYTE_1
	v_mov_b32_e32 v103, v33
	v_and_b32_e32 v3, 0x7f, v2
	v_cmpx_ne_u32_e32 0x7f, v3
	s_cbranch_execz .LBB213_176
; %bb.173:                              ;   in Loop: Header=BB213_13 Depth=1
	v_and_b32_e32 v51, 7, v2
	v_lshrrev_b32_e32 v2, 3, v3
	s_mov_b32 s53, exec_lo
	v_cmpx_gt_u32_e32 8, v3
; %bb.174:                              ;   in Loop: Header=BB213_13 Depth=1
	v_ffbh_u32_e32 v2, v51
	v_min_u32_e32 v2, 32, v2
	v_subrev_nc_u32_e32 v3, 28, v2
	v_sub_nc_u32_e32 v2, 29, v2
	v_lshlrev_b64 v[3:4], v3, v[51:52]
	v_and_b32_e32 v51, 7, v3
; %bb.175:                              ;   in Loop: Header=BB213_13 Depth=1
	s_or_b32 exec_lo, exec_lo, s53
	v_lshlrev_b32_e32 v1, 16, v1
	v_lshlrev_b32_e32 v3, 20, v51
	v_lshl_add_u32 v2, v2, 23, 0x3c000000
	v_mov_b32_e32 v103, v52
	v_and_b32_e32 v1, 0x80000000, v1
	v_or3_b32 v104, v3, v1, v2
.LBB213_176:                            ;   in Loop: Header=BB213_13 Depth=1
	s_or_b32 exec_lo, exec_lo, s52
.LBB213_177:                            ;   in Loop: Header=BB213_13 Depth=1
	s_or_b32 exec_lo, exec_lo, s51
.LBB213_178:                            ;   in Loop: Header=BB213_13 Depth=1
	s_or_b32 exec_lo, exec_lo, s50
	global_load_ushort v2, v[71:72], off offset:520
	v_mov_b32_e32 v107, 0
	v_mov_b32_e32 v105, 0
	;; [unrolled: 1-line block ×4, first 2 shown]
	s_waitcnt vmcnt(0)
	v_and_b32_e32 v1, 0xffff, v2
	v_cmp_ne_u16_sdwa s3, v2, v52 src0_sel:BYTE_0 src1_sel:DWORD
	s_and_saveexec_b32 s50, s3
	s_cbranch_execz .LBB213_186
; %bb.179:                              ;   in Loop: Header=BB213_13 Depth=1
	v_bfrev_b32_e32 v105, 1
	v_mov_b32_e32 v106, 0
	v_cmp_ne_u16_sdwa s3, v1, v46 src0_sel:BYTE_0 src1_sel:DWORD
	s_and_saveexec_b32 s51, s3
	s_cbranch_execz .LBB213_185
; %bb.180:                              ;   in Loop: Header=BB213_13 Depth=1
	v_mov_b32_e32 v105, 0x7f800001
	v_and_b32_e32 v3, 0x7f, v1
	v_mov_b32_e32 v106, 0
	s_mov_b32 s52, exec_lo
	v_cmpx_ne_u32_e32 0x7f, v3
	s_cbranch_execz .LBB213_184
; %bb.181:                              ;   in Loop: Header=BB213_13 Depth=1
	v_and_b32_e32 v51, 7, v1
	v_lshrrev_b32_e32 v2, 3, v3
	s_mov_b32 s53, exec_lo
	v_cmpx_gt_u32_e32 8, v3
; %bb.182:                              ;   in Loop: Header=BB213_13 Depth=1
	v_ffbh_u32_e32 v2, v51
	v_min_u32_e32 v2, 32, v2
	v_subrev_nc_u32_e32 v3, 28, v2
	v_sub_nc_u32_e32 v2, 29, v2
	v_lshlrev_b64 v[3:4], v3, v[51:52]
	v_and_b32_e32 v51, 7, v3
; %bb.183:                              ;   in Loop: Header=BB213_13 Depth=1
	s_or_b32 exec_lo, exec_lo, s53
	v_lshlrev_b32_e32 v3, 24, v1
	v_lshlrev_b32_e32 v4, 20, v51
	v_lshl_add_u32 v2, v2, 23, 0x3c000000
	v_and_b32_e32 v3, 0x80000000, v3
	v_or3_b32 v51, v4, v3, v2
	v_mov_b32_e32 v106, v52
	v_mov_b32_e32 v105, v51
.LBB213_184:                            ;   in Loop: Header=BB213_13 Depth=1
	s_or_b32 exec_lo, exec_lo, s52
.LBB213_185:                            ;   in Loop: Header=BB213_13 Depth=1
	s_or_b32 exec_lo, exec_lo, s51
.LBB213_186:                            ;   in Loop: Header=BB213_13 Depth=1
	s_or_b32 exec_lo, exec_lo, s50
	v_cmp_ne_u16_sdwa s3, v1, v52 src0_sel:BYTE_1 src1_sel:DWORD
	s_and_saveexec_b32 s50, s3
	s_cbranch_execz .LBB213_194
; %bb.187:                              ;   in Loop: Header=BB213_13 Depth=1
	v_mov_b32_e32 v53, v52
	v_mov_b32_e32 v108, v54
	v_cmp_ne_u16_sdwa s3, v1, v46 src0_sel:BYTE_1 src1_sel:DWORD
	v_mov_b32_e32 v107, v53
	s_and_saveexec_b32 s51, s3
	s_cbranch_execz .LBB213_193
; %bb.188:                              ;   in Loop: Header=BB213_13 Depth=1
	v_mov_b32_e32 v2, 0xffff
	v_mov_b32_e32 v33, v52
	;; [unrolled: 1-line block ×3, first 2 shown]
	s_mov_b32 s52, exec_lo
	v_and_b32_sdwa v2, v2, v1 dst_sel:DWORD dst_unused:UNUSED_PAD src0_sel:DWORD src1_sel:BYTE_1
	v_mov_b32_e32 v107, v33
	v_and_b32_e32 v3, 0x7f, v2
	v_cmpx_ne_u32_e32 0x7f, v3
	s_cbranch_execz .LBB213_192
; %bb.189:                              ;   in Loop: Header=BB213_13 Depth=1
	v_and_b32_e32 v51, 7, v2
	v_lshrrev_b32_e32 v2, 3, v3
	s_mov_b32 s53, exec_lo
	v_cmpx_gt_u32_e32 8, v3
; %bb.190:                              ;   in Loop: Header=BB213_13 Depth=1
	v_ffbh_u32_e32 v2, v51
	v_min_u32_e32 v2, 32, v2
	v_subrev_nc_u32_e32 v3, 28, v2
	v_sub_nc_u32_e32 v2, 29, v2
	v_lshlrev_b64 v[3:4], v3, v[51:52]
	v_and_b32_e32 v51, 7, v3
; %bb.191:                              ;   in Loop: Header=BB213_13 Depth=1
	s_or_b32 exec_lo, exec_lo, s53
	v_lshlrev_b32_e32 v1, 16, v1
	v_lshlrev_b32_e32 v3, 20, v51
	v_lshl_add_u32 v2, v2, 23, 0x3c000000
	v_mov_b32_e32 v107, v52
	v_and_b32_e32 v1, 0x80000000, v1
	v_or3_b32 v108, v3, v1, v2
.LBB213_192:                            ;   in Loop: Header=BB213_13 Depth=1
	s_or_b32 exec_lo, exec_lo, s52
.LBB213_193:                            ;   in Loop: Header=BB213_13 Depth=1
	s_or_b32 exec_lo, exec_lo, s51
.LBB213_194:                            ;   in Loop: Header=BB213_13 Depth=1
	s_or_b32 exec_lo, exec_lo, s50
	global_load_ushort v2, v[71:72], off offset:524
	v_mov_b32_e32 v111, 0
	v_mov_b32_e32 v109, 0
	v_mov_b32_e32 v112, 0
	v_mov_b32_e32 v110, 0
	s_waitcnt vmcnt(0)
	v_and_b32_e32 v1, 0xffff, v2
	v_cmp_ne_u16_sdwa s3, v2, v52 src0_sel:BYTE_0 src1_sel:DWORD
	s_and_saveexec_b32 s50, s3
	s_cbranch_execz .LBB213_202
; %bb.195:                              ;   in Loop: Header=BB213_13 Depth=1
	v_bfrev_b32_e32 v109, 1
	v_mov_b32_e32 v110, 0
	v_cmp_ne_u16_sdwa s3, v1, v46 src0_sel:BYTE_0 src1_sel:DWORD
	s_and_saveexec_b32 s51, s3
	s_cbranch_execz .LBB213_201
; %bb.196:                              ;   in Loop: Header=BB213_13 Depth=1
	v_mov_b32_e32 v109, 0x7f800001
	v_and_b32_e32 v3, 0x7f, v1
	v_mov_b32_e32 v110, 0
	s_mov_b32 s52, exec_lo
	v_cmpx_ne_u32_e32 0x7f, v3
	s_cbranch_execz .LBB213_200
; %bb.197:                              ;   in Loop: Header=BB213_13 Depth=1
	v_and_b32_e32 v51, 7, v1
	v_lshrrev_b32_e32 v2, 3, v3
	s_mov_b32 s53, exec_lo
	v_cmpx_gt_u32_e32 8, v3
; %bb.198:                              ;   in Loop: Header=BB213_13 Depth=1
	v_ffbh_u32_e32 v2, v51
	v_min_u32_e32 v2, 32, v2
	v_subrev_nc_u32_e32 v3, 28, v2
	v_sub_nc_u32_e32 v2, 29, v2
	v_lshlrev_b64 v[3:4], v3, v[51:52]
	v_and_b32_e32 v51, 7, v3
; %bb.199:                              ;   in Loop: Header=BB213_13 Depth=1
	s_or_b32 exec_lo, exec_lo, s53
	v_lshlrev_b32_e32 v3, 24, v1
	v_lshlrev_b32_e32 v4, 20, v51
	v_lshl_add_u32 v2, v2, 23, 0x3c000000
	v_and_b32_e32 v3, 0x80000000, v3
	v_or3_b32 v51, v4, v3, v2
	v_mov_b32_e32 v110, v52
	v_mov_b32_e32 v109, v51
.LBB213_200:                            ;   in Loop: Header=BB213_13 Depth=1
	s_or_b32 exec_lo, exec_lo, s52
.LBB213_201:                            ;   in Loop: Header=BB213_13 Depth=1
	s_or_b32 exec_lo, exec_lo, s51
.LBB213_202:                            ;   in Loop: Header=BB213_13 Depth=1
	s_or_b32 exec_lo, exec_lo, s50
	v_cmp_ne_u16_sdwa s3, v1, v52 src0_sel:BYTE_1 src1_sel:DWORD
	s_and_saveexec_b32 s50, s3
	s_cbranch_execz .LBB213_210
; %bb.203:                              ;   in Loop: Header=BB213_13 Depth=1
	v_mov_b32_e32 v53, v52
	v_mov_b32_e32 v112, v54
	v_cmp_ne_u16_sdwa s3, v1, v46 src0_sel:BYTE_1 src1_sel:DWORD
	v_mov_b32_e32 v111, v53
	s_and_saveexec_b32 s51, s3
	s_cbranch_execz .LBB213_209
; %bb.204:                              ;   in Loop: Header=BB213_13 Depth=1
	v_mov_b32_e32 v2, 0xffff
	v_mov_b32_e32 v33, v52
	;; [unrolled: 1-line block ×3, first 2 shown]
	s_mov_b32 s52, exec_lo
	v_and_b32_sdwa v2, v2, v1 dst_sel:DWORD dst_unused:UNUSED_PAD src0_sel:DWORD src1_sel:BYTE_1
	v_mov_b32_e32 v111, v33
	v_and_b32_e32 v3, 0x7f, v2
	v_cmpx_ne_u32_e32 0x7f, v3
	s_cbranch_execz .LBB213_208
; %bb.205:                              ;   in Loop: Header=BB213_13 Depth=1
	v_and_b32_e32 v51, 7, v2
	v_lshrrev_b32_e32 v2, 3, v3
	s_mov_b32 s53, exec_lo
	v_cmpx_gt_u32_e32 8, v3
; %bb.206:                              ;   in Loop: Header=BB213_13 Depth=1
	v_ffbh_u32_e32 v2, v51
	v_min_u32_e32 v2, 32, v2
	v_subrev_nc_u32_e32 v3, 28, v2
	v_sub_nc_u32_e32 v2, 29, v2
	v_lshlrev_b64 v[3:4], v3, v[51:52]
	v_and_b32_e32 v51, 7, v3
; %bb.207:                              ;   in Loop: Header=BB213_13 Depth=1
	s_or_b32 exec_lo, exec_lo, s53
	v_lshlrev_b32_e32 v1, 16, v1
	v_lshlrev_b32_e32 v3, 20, v51
	v_lshl_add_u32 v2, v2, 23, 0x3c000000
	v_mov_b32_e32 v111, v52
	v_and_b32_e32 v1, 0x80000000, v1
	v_or3_b32 v112, v3, v1, v2
.LBB213_208:                            ;   in Loop: Header=BB213_13 Depth=1
	s_or_b32 exec_lo, exec_lo, s52
.LBB213_209:                            ;   in Loop: Header=BB213_13 Depth=1
	s_or_b32 exec_lo, exec_lo, s51
.LBB213_210:                            ;   in Loop: Header=BB213_13 Depth=1
	s_or_b32 exec_lo, exec_lo, s50
	global_load_ushort v2, v[71:72], off offset:768
	v_mov_b32_e32 v115, 0
	v_mov_b32_e32 v113, 0
	v_mov_b32_e32 v116, 0
	v_mov_b32_e32 v114, 0
	s_waitcnt vmcnt(0)
	v_and_b32_e32 v1, 0xffff, v2
	v_cmp_ne_u16_sdwa s3, v2, v52 src0_sel:BYTE_0 src1_sel:DWORD
	s_and_saveexec_b32 s50, s3
	s_cbranch_execz .LBB213_218
; %bb.211:                              ;   in Loop: Header=BB213_13 Depth=1
	v_bfrev_b32_e32 v113, 1
	v_mov_b32_e32 v114, 0
	v_cmp_ne_u16_sdwa s3, v1, v46 src0_sel:BYTE_0 src1_sel:DWORD
	s_and_saveexec_b32 s51, s3
	s_cbranch_execz .LBB213_217
; %bb.212:                              ;   in Loop: Header=BB213_13 Depth=1
	v_mov_b32_e32 v113, 0x7f800001
	v_and_b32_e32 v3, 0x7f, v1
	v_mov_b32_e32 v114, 0
	s_mov_b32 s52, exec_lo
	v_cmpx_ne_u32_e32 0x7f, v3
	s_cbranch_execz .LBB213_216
; %bb.213:                              ;   in Loop: Header=BB213_13 Depth=1
	v_and_b32_e32 v51, 7, v1
	v_lshrrev_b32_e32 v2, 3, v3
	s_mov_b32 s53, exec_lo
	v_cmpx_gt_u32_e32 8, v3
; %bb.214:                              ;   in Loop: Header=BB213_13 Depth=1
	v_ffbh_u32_e32 v2, v51
	v_min_u32_e32 v2, 32, v2
	v_subrev_nc_u32_e32 v3, 28, v2
	v_sub_nc_u32_e32 v2, 29, v2
	v_lshlrev_b64 v[3:4], v3, v[51:52]
	v_and_b32_e32 v51, 7, v3
; %bb.215:                              ;   in Loop: Header=BB213_13 Depth=1
	s_or_b32 exec_lo, exec_lo, s53
	v_lshlrev_b32_e32 v3, 24, v1
	v_lshlrev_b32_e32 v4, 20, v51
	v_lshl_add_u32 v2, v2, 23, 0x3c000000
	v_and_b32_e32 v3, 0x80000000, v3
	v_or3_b32 v51, v4, v3, v2
	v_mov_b32_e32 v114, v52
	v_mov_b32_e32 v113, v51
.LBB213_216:                            ;   in Loop: Header=BB213_13 Depth=1
	s_or_b32 exec_lo, exec_lo, s52
.LBB213_217:                            ;   in Loop: Header=BB213_13 Depth=1
	s_or_b32 exec_lo, exec_lo, s51
.LBB213_218:                            ;   in Loop: Header=BB213_13 Depth=1
	s_or_b32 exec_lo, exec_lo, s50
	v_cmp_ne_u16_sdwa s3, v1, v52 src0_sel:BYTE_1 src1_sel:DWORD
	s_and_saveexec_b32 s50, s3
	s_cbranch_execz .LBB213_226
; %bb.219:                              ;   in Loop: Header=BB213_13 Depth=1
	v_mov_b32_e32 v53, v52
	v_mov_b32_e32 v116, v54
	v_cmp_ne_u16_sdwa s3, v1, v46 src0_sel:BYTE_1 src1_sel:DWORD
	v_mov_b32_e32 v115, v53
	s_and_saveexec_b32 s51, s3
	s_cbranch_execz .LBB213_225
; %bb.220:                              ;   in Loop: Header=BB213_13 Depth=1
	v_mov_b32_e32 v2, 0xffff
	v_mov_b32_e32 v33, v52
	;; [unrolled: 1-line block ×3, first 2 shown]
	s_mov_b32 s52, exec_lo
	v_and_b32_sdwa v2, v2, v1 dst_sel:DWORD dst_unused:UNUSED_PAD src0_sel:DWORD src1_sel:BYTE_1
	v_mov_b32_e32 v115, v33
	v_and_b32_e32 v3, 0x7f, v2
	v_cmpx_ne_u32_e32 0x7f, v3
	s_cbranch_execz .LBB213_224
; %bb.221:                              ;   in Loop: Header=BB213_13 Depth=1
	v_and_b32_e32 v51, 7, v2
	v_lshrrev_b32_e32 v2, 3, v3
	s_mov_b32 s53, exec_lo
	v_cmpx_gt_u32_e32 8, v3
; %bb.222:                              ;   in Loop: Header=BB213_13 Depth=1
	v_ffbh_u32_e32 v2, v51
	v_min_u32_e32 v2, 32, v2
	v_subrev_nc_u32_e32 v3, 28, v2
	v_sub_nc_u32_e32 v2, 29, v2
	v_lshlrev_b64 v[3:4], v3, v[51:52]
	v_and_b32_e32 v51, 7, v3
; %bb.223:                              ;   in Loop: Header=BB213_13 Depth=1
	s_or_b32 exec_lo, exec_lo, s53
	v_lshlrev_b32_e32 v1, 16, v1
	v_lshlrev_b32_e32 v3, 20, v51
	v_lshl_add_u32 v2, v2, 23, 0x3c000000
	v_mov_b32_e32 v115, v52
	v_and_b32_e32 v1, 0x80000000, v1
	v_or3_b32 v116, v3, v1, v2
.LBB213_224:                            ;   in Loop: Header=BB213_13 Depth=1
	s_or_b32 exec_lo, exec_lo, s52
.LBB213_225:                            ;   in Loop: Header=BB213_13 Depth=1
	s_or_b32 exec_lo, exec_lo, s51
.LBB213_226:                            ;   in Loop: Header=BB213_13 Depth=1
	s_or_b32 exec_lo, exec_lo, s50
	global_load_ushort v2, v[71:72], off offset:772
	v_mov_b32_e32 v119, 0
	v_mov_b32_e32 v117, 0
	v_mov_b32_e32 v120, 0
	v_mov_b32_e32 v118, 0
	s_waitcnt vmcnt(0)
	v_and_b32_e32 v1, 0xffff, v2
	v_cmp_ne_u16_sdwa s3, v2, v52 src0_sel:BYTE_0 src1_sel:DWORD
	s_and_saveexec_b32 s50, s3
	s_cbranch_execz .LBB213_234
; %bb.227:                              ;   in Loop: Header=BB213_13 Depth=1
	v_bfrev_b32_e32 v117, 1
	v_mov_b32_e32 v118, 0
	v_cmp_ne_u16_sdwa s3, v1, v46 src0_sel:BYTE_0 src1_sel:DWORD
	s_and_saveexec_b32 s51, s3
	s_cbranch_execz .LBB213_233
; %bb.228:                              ;   in Loop: Header=BB213_13 Depth=1
	v_mov_b32_e32 v117, 0x7f800001
	v_and_b32_e32 v3, 0x7f, v1
	v_mov_b32_e32 v118, 0
	s_mov_b32 s52, exec_lo
	v_cmpx_ne_u32_e32 0x7f, v3
	s_cbranch_execz .LBB213_232
; %bb.229:                              ;   in Loop: Header=BB213_13 Depth=1
	v_and_b32_e32 v51, 7, v1
	v_lshrrev_b32_e32 v2, 3, v3
	s_mov_b32 s53, exec_lo
	v_cmpx_gt_u32_e32 8, v3
; %bb.230:                              ;   in Loop: Header=BB213_13 Depth=1
	v_ffbh_u32_e32 v2, v51
	v_min_u32_e32 v2, 32, v2
	v_subrev_nc_u32_e32 v3, 28, v2
	v_sub_nc_u32_e32 v2, 29, v2
	v_lshlrev_b64 v[3:4], v3, v[51:52]
	v_and_b32_e32 v51, 7, v3
; %bb.231:                              ;   in Loop: Header=BB213_13 Depth=1
	s_or_b32 exec_lo, exec_lo, s53
	v_lshlrev_b32_e32 v3, 24, v1
	v_lshlrev_b32_e32 v4, 20, v51
	v_lshl_add_u32 v2, v2, 23, 0x3c000000
	v_and_b32_e32 v3, 0x80000000, v3
	v_or3_b32 v51, v4, v3, v2
	v_mov_b32_e32 v118, v52
	v_mov_b32_e32 v117, v51
.LBB213_232:                            ;   in Loop: Header=BB213_13 Depth=1
	s_or_b32 exec_lo, exec_lo, s52
.LBB213_233:                            ;   in Loop: Header=BB213_13 Depth=1
	s_or_b32 exec_lo, exec_lo, s51
.LBB213_234:                            ;   in Loop: Header=BB213_13 Depth=1
	s_or_b32 exec_lo, exec_lo, s50
	v_cmp_ne_u16_sdwa s3, v1, v52 src0_sel:BYTE_1 src1_sel:DWORD
	s_and_saveexec_b32 s50, s3
	s_cbranch_execz .LBB213_242
; %bb.235:                              ;   in Loop: Header=BB213_13 Depth=1
	v_mov_b32_e32 v53, v52
	v_mov_b32_e32 v120, v54
	v_cmp_ne_u16_sdwa s3, v1, v46 src0_sel:BYTE_1 src1_sel:DWORD
	v_mov_b32_e32 v119, v53
	s_and_saveexec_b32 s51, s3
	s_cbranch_execz .LBB213_241
; %bb.236:                              ;   in Loop: Header=BB213_13 Depth=1
	v_mov_b32_e32 v2, 0xffff
	v_mov_b32_e32 v33, v52
	;; [unrolled: 1-line block ×3, first 2 shown]
	s_mov_b32 s52, exec_lo
	v_and_b32_sdwa v2, v2, v1 dst_sel:DWORD dst_unused:UNUSED_PAD src0_sel:DWORD src1_sel:BYTE_1
	v_mov_b32_e32 v119, v33
	v_and_b32_e32 v3, 0x7f, v2
	v_cmpx_ne_u32_e32 0x7f, v3
	s_cbranch_execz .LBB213_240
; %bb.237:                              ;   in Loop: Header=BB213_13 Depth=1
	v_and_b32_e32 v51, 7, v2
	v_lshrrev_b32_e32 v2, 3, v3
	s_mov_b32 s53, exec_lo
	v_cmpx_gt_u32_e32 8, v3
; %bb.238:                              ;   in Loop: Header=BB213_13 Depth=1
	v_ffbh_u32_e32 v2, v51
	v_min_u32_e32 v2, 32, v2
	v_subrev_nc_u32_e32 v3, 28, v2
	v_sub_nc_u32_e32 v2, 29, v2
	v_lshlrev_b64 v[3:4], v3, v[51:52]
	v_and_b32_e32 v51, 7, v3
; %bb.239:                              ;   in Loop: Header=BB213_13 Depth=1
	s_or_b32 exec_lo, exec_lo, s53
	v_lshlrev_b32_e32 v1, 16, v1
	v_lshlrev_b32_e32 v3, 20, v51
	v_lshl_add_u32 v2, v2, 23, 0x3c000000
	v_mov_b32_e32 v119, v52
	v_and_b32_e32 v1, 0x80000000, v1
	v_or3_b32 v120, v3, v1, v2
.LBB213_240:                            ;   in Loop: Header=BB213_13 Depth=1
	s_or_b32 exec_lo, exec_lo, s52
.LBB213_241:                            ;   in Loop: Header=BB213_13 Depth=1
	s_or_b32 exec_lo, exec_lo, s51
.LBB213_242:                            ;   in Loop: Header=BB213_13 Depth=1
	s_or_b32 exec_lo, exec_lo, s50
	global_load_ushort v2, v[71:72], off offset:776
	v_mov_b32_e32 v123, 0
	v_mov_b32_e32 v121, 0
	;; [unrolled: 1-line block ×4, first 2 shown]
	s_waitcnt vmcnt(0)
	v_and_b32_e32 v1, 0xffff, v2
	v_cmp_ne_u16_sdwa s3, v2, v52 src0_sel:BYTE_0 src1_sel:DWORD
	s_and_saveexec_b32 s50, s3
	s_cbranch_execz .LBB213_250
; %bb.243:                              ;   in Loop: Header=BB213_13 Depth=1
	v_bfrev_b32_e32 v121, 1
	v_mov_b32_e32 v122, 0
	v_cmp_ne_u16_sdwa s3, v1, v46 src0_sel:BYTE_0 src1_sel:DWORD
	s_and_saveexec_b32 s51, s3
	s_cbranch_execz .LBB213_249
; %bb.244:                              ;   in Loop: Header=BB213_13 Depth=1
	v_mov_b32_e32 v121, 0x7f800001
	v_and_b32_e32 v3, 0x7f, v1
	v_mov_b32_e32 v122, 0
	s_mov_b32 s52, exec_lo
	v_cmpx_ne_u32_e32 0x7f, v3
	s_cbranch_execz .LBB213_248
; %bb.245:                              ;   in Loop: Header=BB213_13 Depth=1
	v_and_b32_e32 v51, 7, v1
	v_lshrrev_b32_e32 v2, 3, v3
	s_mov_b32 s53, exec_lo
	v_cmpx_gt_u32_e32 8, v3
; %bb.246:                              ;   in Loop: Header=BB213_13 Depth=1
	v_ffbh_u32_e32 v2, v51
	v_min_u32_e32 v2, 32, v2
	v_subrev_nc_u32_e32 v3, 28, v2
	v_sub_nc_u32_e32 v2, 29, v2
	v_lshlrev_b64 v[3:4], v3, v[51:52]
	v_and_b32_e32 v51, 7, v3
; %bb.247:                              ;   in Loop: Header=BB213_13 Depth=1
	s_or_b32 exec_lo, exec_lo, s53
	v_lshlrev_b32_e32 v3, 24, v1
	v_lshlrev_b32_e32 v4, 20, v51
	v_lshl_add_u32 v2, v2, 23, 0x3c000000
	v_and_b32_e32 v3, 0x80000000, v3
	v_or3_b32 v51, v4, v3, v2
	v_mov_b32_e32 v122, v52
	v_mov_b32_e32 v121, v51
.LBB213_248:                            ;   in Loop: Header=BB213_13 Depth=1
	s_or_b32 exec_lo, exec_lo, s52
.LBB213_249:                            ;   in Loop: Header=BB213_13 Depth=1
	s_or_b32 exec_lo, exec_lo, s51
.LBB213_250:                            ;   in Loop: Header=BB213_13 Depth=1
	s_or_b32 exec_lo, exec_lo, s50
	v_cmp_ne_u16_sdwa s3, v1, v52 src0_sel:BYTE_1 src1_sel:DWORD
	s_and_saveexec_b32 s50, s3
	s_cbranch_execz .LBB213_258
; %bb.251:                              ;   in Loop: Header=BB213_13 Depth=1
	v_mov_b32_e32 v53, v52
	v_mov_b32_e32 v124, v54
	v_cmp_ne_u16_sdwa s3, v1, v46 src0_sel:BYTE_1 src1_sel:DWORD
	v_mov_b32_e32 v123, v53
	s_and_saveexec_b32 s51, s3
	s_cbranch_execz .LBB213_257
; %bb.252:                              ;   in Loop: Header=BB213_13 Depth=1
	v_mov_b32_e32 v2, 0xffff
	v_mov_b32_e32 v33, v52
	;; [unrolled: 1-line block ×3, first 2 shown]
	s_mov_b32 s52, exec_lo
	v_and_b32_sdwa v2, v2, v1 dst_sel:DWORD dst_unused:UNUSED_PAD src0_sel:DWORD src1_sel:BYTE_1
	v_mov_b32_e32 v123, v33
	v_and_b32_e32 v3, 0x7f, v2
	v_cmpx_ne_u32_e32 0x7f, v3
	s_cbranch_execz .LBB213_256
; %bb.253:                              ;   in Loop: Header=BB213_13 Depth=1
	v_and_b32_e32 v51, 7, v2
	v_lshrrev_b32_e32 v2, 3, v3
	s_mov_b32 s53, exec_lo
	v_cmpx_gt_u32_e32 8, v3
; %bb.254:                              ;   in Loop: Header=BB213_13 Depth=1
	v_ffbh_u32_e32 v2, v51
	v_min_u32_e32 v2, 32, v2
	v_subrev_nc_u32_e32 v3, 28, v2
	v_sub_nc_u32_e32 v2, 29, v2
	v_lshlrev_b64 v[3:4], v3, v[51:52]
	v_and_b32_e32 v51, 7, v3
; %bb.255:                              ;   in Loop: Header=BB213_13 Depth=1
	s_or_b32 exec_lo, exec_lo, s53
	v_lshlrev_b32_e32 v1, 16, v1
	v_lshlrev_b32_e32 v3, 20, v51
	v_lshl_add_u32 v2, v2, 23, 0x3c000000
	v_mov_b32_e32 v123, v52
	v_and_b32_e32 v1, 0x80000000, v1
	v_or3_b32 v124, v3, v1, v2
.LBB213_256:                            ;   in Loop: Header=BB213_13 Depth=1
	s_or_b32 exec_lo, exec_lo, s52
.LBB213_257:                            ;   in Loop: Header=BB213_13 Depth=1
	s_or_b32 exec_lo, exec_lo, s51
.LBB213_258:                            ;   in Loop: Header=BB213_13 Depth=1
	s_or_b32 exec_lo, exec_lo, s50
	global_load_ushort v2, v[71:72], off offset:780
	v_mov_b32_e32 v59, 0
	v_mov_b32_e32 v125, 0
	;; [unrolled: 1-line block ×4, first 2 shown]
	s_waitcnt vmcnt(0)
	v_and_b32_e32 v1, 0xffff, v2
	v_cmp_ne_u16_sdwa s3, v2, v52 src0_sel:BYTE_0 src1_sel:DWORD
	s_and_saveexec_b32 s50, s3
	s_cbranch_execz .LBB213_266
; %bb.259:                              ;   in Loop: Header=BB213_13 Depth=1
	v_bfrev_b32_e32 v125, 1
	v_mov_b32_e32 v126, 0
	v_cmp_ne_u16_sdwa s3, v1, v46 src0_sel:BYTE_0 src1_sel:DWORD
	s_and_saveexec_b32 s51, s3
	s_cbranch_execz .LBB213_265
; %bb.260:                              ;   in Loop: Header=BB213_13 Depth=1
	v_mov_b32_e32 v125, 0x7f800001
	v_and_b32_e32 v3, 0x7f, v1
	v_mov_b32_e32 v126, 0
	s_mov_b32 s52, exec_lo
	v_cmpx_ne_u32_e32 0x7f, v3
	s_cbranch_execz .LBB213_264
; %bb.261:                              ;   in Loop: Header=BB213_13 Depth=1
	v_and_b32_e32 v51, 7, v1
	v_lshrrev_b32_e32 v2, 3, v3
	s_mov_b32 s53, exec_lo
	v_cmpx_gt_u32_e32 8, v3
; %bb.262:                              ;   in Loop: Header=BB213_13 Depth=1
	v_ffbh_u32_e32 v2, v51
	v_min_u32_e32 v2, 32, v2
	v_subrev_nc_u32_e32 v3, 28, v2
	v_sub_nc_u32_e32 v2, 29, v2
	v_lshlrev_b64 v[3:4], v3, v[51:52]
	v_and_b32_e32 v51, 7, v3
; %bb.263:                              ;   in Loop: Header=BB213_13 Depth=1
	s_or_b32 exec_lo, exec_lo, s53
	v_lshlrev_b32_e32 v3, 24, v1
	v_lshlrev_b32_e32 v4, 20, v51
	v_lshl_add_u32 v2, v2, 23, 0x3c000000
	v_and_b32_e32 v3, 0x80000000, v3
	v_or3_b32 v51, v4, v3, v2
	v_mov_b32_e32 v126, v52
	v_mov_b32_e32 v125, v51
.LBB213_264:                            ;   in Loop: Header=BB213_13 Depth=1
	s_or_b32 exec_lo, exec_lo, s52
.LBB213_265:                            ;   in Loop: Header=BB213_13 Depth=1
	s_or_b32 exec_lo, exec_lo, s51
.LBB213_266:                            ;   in Loop: Header=BB213_13 Depth=1
	s_or_b32 exec_lo, exec_lo, s50
	v_cmp_ne_u16_sdwa s3, v1, v52 src0_sel:BYTE_1 src1_sel:DWORD
	s_and_saveexec_b32 s50, s3
	s_cbranch_execz .LBB213_274
; %bb.267:                              ;   in Loop: Header=BB213_13 Depth=1
	v_mov_b32_e32 v53, v52
	v_mov_b32_e32 v60, v54
	v_cmp_ne_u16_sdwa s3, v1, v46 src0_sel:BYTE_1 src1_sel:DWORD
	v_mov_b32_e32 v59, v53
	s_and_saveexec_b32 s51, s3
	s_cbranch_execz .LBB213_273
; %bb.268:                              ;   in Loop: Header=BB213_13 Depth=1
	v_mov_b32_e32 v2, 0xffff
	v_mov_b32_e32 v33, v52
	;; [unrolled: 1-line block ×3, first 2 shown]
	s_mov_b32 s52, exec_lo
	v_and_b32_sdwa v2, v2, v1 dst_sel:DWORD dst_unused:UNUSED_PAD src0_sel:DWORD src1_sel:BYTE_1
	v_mov_b32_e32 v59, v33
	v_and_b32_e32 v3, 0x7f, v2
	v_cmpx_ne_u32_e32 0x7f, v3
	s_cbranch_execz .LBB213_272
; %bb.269:                              ;   in Loop: Header=BB213_13 Depth=1
	v_and_b32_e32 v51, 7, v2
	v_lshrrev_b32_e32 v2, 3, v3
	s_mov_b32 s53, exec_lo
	v_cmpx_gt_u32_e32 8, v3
; %bb.270:                              ;   in Loop: Header=BB213_13 Depth=1
	v_ffbh_u32_e32 v2, v51
	v_min_u32_e32 v2, 32, v2
	v_subrev_nc_u32_e32 v3, 28, v2
	v_sub_nc_u32_e32 v2, 29, v2
	v_lshlrev_b64 v[3:4], v3, v[51:52]
	v_and_b32_e32 v51, 7, v3
; %bb.271:                              ;   in Loop: Header=BB213_13 Depth=1
	s_or_b32 exec_lo, exec_lo, s53
	v_lshlrev_b32_e32 v1, 16, v1
	v_lshlrev_b32_e32 v3, 20, v51
	v_lshl_add_u32 v2, v2, 23, 0x3c000000
	v_mov_b32_e32 v59, v52
	v_and_b32_e32 v1, 0x80000000, v1
	v_or3_b32 v60, v3, v1, v2
.LBB213_272:                            ;   in Loop: Header=BB213_13 Depth=1
	s_or_b32 exec_lo, exec_lo, s52
.LBB213_273:                            ;   in Loop: Header=BB213_13 Depth=1
	s_or_b32 exec_lo, exec_lo, s51
.LBB213_274:                            ;   in Loop: Header=BB213_13 Depth=1
	s_or_b32 exec_lo, exec_lo, s50
	global_load_ushort v2, v[71:72], off offset:1024
	v_mov_b32_e32 v63, 0
	v_mov_b32_e32 v61, 0
	;; [unrolled: 1-line block ×4, first 2 shown]
	s_waitcnt vmcnt(0)
	v_and_b32_e32 v1, 0xffff, v2
	v_cmp_ne_u16_sdwa s3, v2, v52 src0_sel:BYTE_0 src1_sel:DWORD
	s_and_saveexec_b32 s50, s3
	s_cbranch_execz .LBB213_282
; %bb.275:                              ;   in Loop: Header=BB213_13 Depth=1
	v_bfrev_b32_e32 v61, 1
	v_mov_b32_e32 v62, 0
	v_cmp_ne_u16_sdwa s3, v1, v46 src0_sel:BYTE_0 src1_sel:DWORD
	s_and_saveexec_b32 s51, s3
	s_cbranch_execz .LBB213_281
; %bb.276:                              ;   in Loop: Header=BB213_13 Depth=1
	v_mov_b32_e32 v61, 0x7f800001
	v_and_b32_e32 v3, 0x7f, v1
	v_mov_b32_e32 v62, 0
	s_mov_b32 s52, exec_lo
	v_cmpx_ne_u32_e32 0x7f, v3
	s_cbranch_execz .LBB213_280
; %bb.277:                              ;   in Loop: Header=BB213_13 Depth=1
	v_and_b32_e32 v51, 7, v1
	v_lshrrev_b32_e32 v2, 3, v3
	s_mov_b32 s53, exec_lo
	v_cmpx_gt_u32_e32 8, v3
; %bb.278:                              ;   in Loop: Header=BB213_13 Depth=1
	v_ffbh_u32_e32 v2, v51
	v_min_u32_e32 v2, 32, v2
	v_subrev_nc_u32_e32 v3, 28, v2
	v_sub_nc_u32_e32 v2, 29, v2
	v_lshlrev_b64 v[3:4], v3, v[51:52]
	v_and_b32_e32 v51, 7, v3
; %bb.279:                              ;   in Loop: Header=BB213_13 Depth=1
	s_or_b32 exec_lo, exec_lo, s53
	v_lshlrev_b32_e32 v3, 24, v1
	v_lshlrev_b32_e32 v4, 20, v51
	v_lshl_add_u32 v2, v2, 23, 0x3c000000
	v_and_b32_e32 v3, 0x80000000, v3
	v_or3_b32 v51, v4, v3, v2
	v_mov_b32_e32 v62, v52
	v_mov_b32_e32 v61, v51
.LBB213_280:                            ;   in Loop: Header=BB213_13 Depth=1
	s_or_b32 exec_lo, exec_lo, s52
.LBB213_281:                            ;   in Loop: Header=BB213_13 Depth=1
	s_or_b32 exec_lo, exec_lo, s51
.LBB213_282:                            ;   in Loop: Header=BB213_13 Depth=1
	s_or_b32 exec_lo, exec_lo, s50
	v_cmp_ne_u16_sdwa s3, v1, v52 src0_sel:BYTE_1 src1_sel:DWORD
	s_and_saveexec_b32 s50, s3
	s_cbranch_execz .LBB213_290
; %bb.283:                              ;   in Loop: Header=BB213_13 Depth=1
	v_mov_b32_e32 v53, v52
	v_mov_b32_e32 v64, v54
	v_cmp_ne_u16_sdwa s3, v1, v46 src0_sel:BYTE_1 src1_sel:DWORD
	v_mov_b32_e32 v63, v53
	s_and_saveexec_b32 s51, s3
	s_cbranch_execz .LBB213_289
; %bb.284:                              ;   in Loop: Header=BB213_13 Depth=1
	v_mov_b32_e32 v2, 0xffff
	v_mov_b32_e32 v33, v52
	;; [unrolled: 1-line block ×3, first 2 shown]
	s_mov_b32 s52, exec_lo
	v_and_b32_sdwa v2, v2, v1 dst_sel:DWORD dst_unused:UNUSED_PAD src0_sel:DWORD src1_sel:BYTE_1
	v_mov_b32_e32 v63, v33
	v_and_b32_e32 v3, 0x7f, v2
	v_cmpx_ne_u32_e32 0x7f, v3
	s_cbranch_execz .LBB213_288
; %bb.285:                              ;   in Loop: Header=BB213_13 Depth=1
	v_and_b32_e32 v51, 7, v2
	v_lshrrev_b32_e32 v2, 3, v3
	s_mov_b32 s53, exec_lo
	v_cmpx_gt_u32_e32 8, v3
; %bb.286:                              ;   in Loop: Header=BB213_13 Depth=1
	v_ffbh_u32_e32 v2, v51
	v_min_u32_e32 v2, 32, v2
	v_subrev_nc_u32_e32 v3, 28, v2
	v_sub_nc_u32_e32 v2, 29, v2
	v_lshlrev_b64 v[3:4], v3, v[51:52]
	v_and_b32_e32 v51, 7, v3
; %bb.287:                              ;   in Loop: Header=BB213_13 Depth=1
	s_or_b32 exec_lo, exec_lo, s53
	v_lshlrev_b32_e32 v1, 16, v1
	v_lshlrev_b32_e32 v3, 20, v51
	v_lshl_add_u32 v2, v2, 23, 0x3c000000
	v_mov_b32_e32 v63, v52
	v_and_b32_e32 v1, 0x80000000, v1
	v_or3_b32 v64, v3, v1, v2
.LBB213_288:                            ;   in Loop: Header=BB213_13 Depth=1
	s_or_b32 exec_lo, exec_lo, s52
.LBB213_289:                            ;   in Loop: Header=BB213_13 Depth=1
	s_or_b32 exec_lo, exec_lo, s51
.LBB213_290:                            ;   in Loop: Header=BB213_13 Depth=1
	s_or_b32 exec_lo, exec_lo, s50
	global_load_ushort v2, v[71:72], off offset:1028
	v_mov_b32_e32 v65, 0
	v_mov_b32_e32 v67, 0
	v_mov_b32_e32 v66, 0
	v_mov_b32_e32 v68, 0
	s_waitcnt vmcnt(0)
	v_and_b32_e32 v1, 0xffff, v2
	v_cmp_ne_u16_sdwa s3, v2, v52 src0_sel:BYTE_0 src1_sel:DWORD
	s_and_saveexec_b32 s50, s3
	s_cbranch_execz .LBB213_298
; %bb.291:                              ;   in Loop: Header=BB213_13 Depth=1
	v_bfrev_b32_e32 v67, 1
	v_mov_b32_e32 v68, 0
	v_cmp_ne_u16_sdwa s3, v1, v46 src0_sel:BYTE_0 src1_sel:DWORD
	s_and_saveexec_b32 s51, s3
	s_cbranch_execz .LBB213_297
; %bb.292:                              ;   in Loop: Header=BB213_13 Depth=1
	v_mov_b32_e32 v67, 0x7f800001
	v_and_b32_e32 v3, 0x7f, v1
	v_mov_b32_e32 v68, 0
	s_mov_b32 s52, exec_lo
	v_cmpx_ne_u32_e32 0x7f, v3
	s_cbranch_execz .LBB213_296
; %bb.293:                              ;   in Loop: Header=BB213_13 Depth=1
	v_and_b32_e32 v51, 7, v1
	v_lshrrev_b32_e32 v2, 3, v3
	s_mov_b32 s53, exec_lo
	v_cmpx_gt_u32_e32 8, v3
; %bb.294:                              ;   in Loop: Header=BB213_13 Depth=1
	v_ffbh_u32_e32 v2, v51
	v_min_u32_e32 v2, 32, v2
	v_subrev_nc_u32_e32 v3, 28, v2
	v_sub_nc_u32_e32 v2, 29, v2
	v_lshlrev_b64 v[3:4], v3, v[51:52]
	v_and_b32_e32 v51, 7, v3
; %bb.295:                              ;   in Loop: Header=BB213_13 Depth=1
	s_or_b32 exec_lo, exec_lo, s53
	v_lshlrev_b32_e32 v3, 24, v1
	v_lshlrev_b32_e32 v4, 20, v51
	v_lshl_add_u32 v2, v2, 23, 0x3c000000
	v_and_b32_e32 v3, 0x80000000, v3
	v_or3_b32 v51, v4, v3, v2
	v_mov_b32_e32 v68, v52
	v_mov_b32_e32 v67, v51
.LBB213_296:                            ;   in Loop: Header=BB213_13 Depth=1
	s_or_b32 exec_lo, exec_lo, s52
.LBB213_297:                            ;   in Loop: Header=BB213_13 Depth=1
	s_or_b32 exec_lo, exec_lo, s51
.LBB213_298:                            ;   in Loop: Header=BB213_13 Depth=1
	s_or_b32 exec_lo, exec_lo, s50
	v_cmp_ne_u16_sdwa s3, v1, v52 src0_sel:BYTE_1 src1_sel:DWORD
	s_and_saveexec_b32 s50, s3
	s_cbranch_execz .LBB213_306
; %bb.299:                              ;   in Loop: Header=BB213_13 Depth=1
	v_mov_b32_e32 v53, v52
	v_mov_b32_e32 v66, v54
	v_cmp_ne_u16_sdwa s3, v1, v46 src0_sel:BYTE_1 src1_sel:DWORD
	v_mov_b32_e32 v65, v53
	s_and_saveexec_b32 s51, s3
	s_cbranch_execz .LBB213_305
; %bb.300:                              ;   in Loop: Header=BB213_13 Depth=1
	v_mov_b32_e32 v2, 0xffff
	v_mov_b32_e32 v33, v52
	;; [unrolled: 1-line block ×3, first 2 shown]
	s_mov_b32 s52, exec_lo
	v_and_b32_sdwa v2, v2, v1 dst_sel:DWORD dst_unused:UNUSED_PAD src0_sel:DWORD src1_sel:BYTE_1
	v_mov_b32_e32 v65, v33
	v_and_b32_e32 v3, 0x7f, v2
	v_cmpx_ne_u32_e32 0x7f, v3
	s_cbranch_execz .LBB213_304
; %bb.301:                              ;   in Loop: Header=BB213_13 Depth=1
	v_and_b32_e32 v51, 7, v2
	v_lshrrev_b32_e32 v2, 3, v3
	s_mov_b32 s53, exec_lo
	v_cmpx_gt_u32_e32 8, v3
; %bb.302:                              ;   in Loop: Header=BB213_13 Depth=1
	v_ffbh_u32_e32 v2, v51
	v_min_u32_e32 v2, 32, v2
	v_subrev_nc_u32_e32 v3, 28, v2
	v_sub_nc_u32_e32 v2, 29, v2
	v_lshlrev_b64 v[3:4], v3, v[51:52]
	v_and_b32_e32 v51, 7, v3
; %bb.303:                              ;   in Loop: Header=BB213_13 Depth=1
	s_or_b32 exec_lo, exec_lo, s53
	v_lshlrev_b32_e32 v1, 16, v1
	v_lshlrev_b32_e32 v3, 20, v51
	v_lshl_add_u32 v2, v2, 23, 0x3c000000
	v_mov_b32_e32 v65, v52
	v_and_b32_e32 v1, 0x80000000, v1
	v_or3_b32 v66, v3, v1, v2
.LBB213_304:                            ;   in Loop: Header=BB213_13 Depth=1
	s_or_b32 exec_lo, exec_lo, s52
.LBB213_305:                            ;   in Loop: Header=BB213_13 Depth=1
	s_or_b32 exec_lo, exec_lo, s51
.LBB213_306:                            ;   in Loop: Header=BB213_13 Depth=1
	s_or_b32 exec_lo, exec_lo, s50
	global_load_ushort v2, v[71:72], off offset:1032
	v_mov_b32_e32 v73, 0
	v_mov_b32_e32 v69, 0
	;; [unrolled: 1-line block ×4, first 2 shown]
	s_waitcnt vmcnt(0)
	v_and_b32_e32 v1, 0xffff, v2
	v_cmp_ne_u16_sdwa s3, v2, v52 src0_sel:BYTE_0 src1_sel:DWORD
	s_and_saveexec_b32 s50, s3
	s_cbranch_execz .LBB213_314
; %bb.307:                              ;   in Loop: Header=BB213_13 Depth=1
	v_bfrev_b32_e32 v69, 1
	v_mov_b32_e32 v70, 0
	v_cmp_ne_u16_sdwa s3, v1, v46 src0_sel:BYTE_0 src1_sel:DWORD
	s_and_saveexec_b32 s51, s3
	s_cbranch_execz .LBB213_313
; %bb.308:                              ;   in Loop: Header=BB213_13 Depth=1
	v_mov_b32_e32 v69, 0x7f800001
	v_and_b32_e32 v3, 0x7f, v1
	v_mov_b32_e32 v70, 0
	s_mov_b32 s52, exec_lo
	v_cmpx_ne_u32_e32 0x7f, v3
	s_cbranch_execz .LBB213_312
; %bb.309:                              ;   in Loop: Header=BB213_13 Depth=1
	v_and_b32_e32 v51, 7, v1
	v_lshrrev_b32_e32 v2, 3, v3
	s_mov_b32 s53, exec_lo
	v_cmpx_gt_u32_e32 8, v3
; %bb.310:                              ;   in Loop: Header=BB213_13 Depth=1
	v_ffbh_u32_e32 v2, v51
	v_min_u32_e32 v2, 32, v2
	v_subrev_nc_u32_e32 v3, 28, v2
	v_sub_nc_u32_e32 v2, 29, v2
	v_lshlrev_b64 v[3:4], v3, v[51:52]
	v_and_b32_e32 v51, 7, v3
; %bb.311:                              ;   in Loop: Header=BB213_13 Depth=1
	s_or_b32 exec_lo, exec_lo, s53
	v_lshlrev_b32_e32 v3, 24, v1
	v_lshlrev_b32_e32 v4, 20, v51
	v_lshl_add_u32 v2, v2, 23, 0x3c000000
	v_and_b32_e32 v3, 0x80000000, v3
	v_or3_b32 v51, v4, v3, v2
	v_mov_b32_e32 v70, v52
	v_mov_b32_e32 v69, v51
.LBB213_312:                            ;   in Loop: Header=BB213_13 Depth=1
	s_or_b32 exec_lo, exec_lo, s52
.LBB213_313:                            ;   in Loop: Header=BB213_13 Depth=1
	s_or_b32 exec_lo, exec_lo, s51
.LBB213_314:                            ;   in Loop: Header=BB213_13 Depth=1
	s_or_b32 exec_lo, exec_lo, s50
	v_cmp_ne_u16_sdwa s3, v1, v52 src0_sel:BYTE_1 src1_sel:DWORD
	s_and_saveexec_b32 s50, s3
	s_cbranch_execz .LBB213_322
; %bb.315:                              ;   in Loop: Header=BB213_13 Depth=1
	v_mov_b32_e32 v53, v52
	v_mov_b32_e32 v74, v54
	v_cmp_ne_u16_sdwa s3, v1, v46 src0_sel:BYTE_1 src1_sel:DWORD
	v_mov_b32_e32 v73, v53
	s_and_saveexec_b32 s51, s3
	s_cbranch_execz .LBB213_321
; %bb.316:                              ;   in Loop: Header=BB213_13 Depth=1
	v_mov_b32_e32 v2, 0xffff
	v_mov_b32_e32 v33, v52
	;; [unrolled: 1-line block ×3, first 2 shown]
	s_mov_b32 s52, exec_lo
	v_and_b32_sdwa v2, v2, v1 dst_sel:DWORD dst_unused:UNUSED_PAD src0_sel:DWORD src1_sel:BYTE_1
	v_mov_b32_e32 v73, v33
	v_and_b32_e32 v3, 0x7f, v2
	v_cmpx_ne_u32_e32 0x7f, v3
	s_cbranch_execz .LBB213_320
; %bb.317:                              ;   in Loop: Header=BB213_13 Depth=1
	v_and_b32_e32 v51, 7, v2
	v_lshrrev_b32_e32 v2, 3, v3
	s_mov_b32 s53, exec_lo
	v_cmpx_gt_u32_e32 8, v3
; %bb.318:                              ;   in Loop: Header=BB213_13 Depth=1
	v_ffbh_u32_e32 v2, v51
	v_min_u32_e32 v2, 32, v2
	v_subrev_nc_u32_e32 v3, 28, v2
	v_sub_nc_u32_e32 v2, 29, v2
	v_lshlrev_b64 v[3:4], v3, v[51:52]
	v_and_b32_e32 v51, 7, v3
; %bb.319:                              ;   in Loop: Header=BB213_13 Depth=1
	s_or_b32 exec_lo, exec_lo, s53
	v_lshlrev_b32_e32 v1, 16, v1
	v_lshlrev_b32_e32 v3, 20, v51
	v_lshl_add_u32 v2, v2, 23, 0x3c000000
	v_mov_b32_e32 v73, v52
	v_and_b32_e32 v1, 0x80000000, v1
	v_or3_b32 v74, v3, v1, v2
.LBB213_320:                            ;   in Loop: Header=BB213_13 Depth=1
	s_or_b32 exec_lo, exec_lo, s52
.LBB213_321:                            ;   in Loop: Header=BB213_13 Depth=1
	s_or_b32 exec_lo, exec_lo, s51
.LBB213_322:                            ;   in Loop: Header=BB213_13 Depth=1
	s_or_b32 exec_lo, exec_lo, s50
	global_load_ushort v1, v[71:72], off offset:1036
	v_mov_b32_e32 v3, 0
	v_mov_b32_e32 v4, 0
	s_waitcnt vmcnt(0)
	v_and_b32_e32 v5, 0xffff, v1
	v_cmp_ne_u16_sdwa s3, v1, v52 src0_sel:BYTE_0 src1_sel:DWORD
	v_mov_b32_e32 v1, 0
	v_mov_b32_e32 v2, 0
	s_and_saveexec_b32 s50, s3
	s_cbranch_execz .LBB213_330
; %bb.323:                              ;   in Loop: Header=BB213_13 Depth=1
	v_bfrev_b32_e32 v1, 1
	v_mov_b32_e32 v2, 0
	v_cmp_ne_u16_sdwa s3, v5, v46 src0_sel:BYTE_0 src1_sel:DWORD
	s_and_saveexec_b32 s51, s3
	s_cbranch_execz .LBB213_329
; %bb.324:                              ;   in Loop: Header=BB213_13 Depth=1
	v_mov_b32_e32 v1, 0x7f800001
	v_and_b32_e32 v6, 0x7f, v5
	v_mov_b32_e32 v2, 0
	s_mov_b32 s52, exec_lo
	v_cmpx_ne_u32_e32 0x7f, v6
	s_cbranch_execz .LBB213_328
; %bb.325:                              ;   in Loop: Header=BB213_13 Depth=1
	v_and_b32_e32 v51, 7, v5
	v_lshrrev_b32_e32 v1, 3, v6
	s_mov_b32 s53, exec_lo
	v_cmpx_gt_u32_e32 8, v6
; %bb.326:                              ;   in Loop: Header=BB213_13 Depth=1
	v_ffbh_u32_e32 v1, v51
	v_min_u32_e32 v1, 32, v1
	v_subrev_nc_u32_e32 v2, 28, v1
	v_sub_nc_u32_e32 v1, 29, v1
	v_lshlrev_b64 v[6:7], v2, v[51:52]
	v_and_b32_e32 v51, 7, v6
; %bb.327:                              ;   in Loop: Header=BB213_13 Depth=1
	s_or_b32 exec_lo, exec_lo, s53
	v_lshlrev_b32_e32 v2, 24, v5
	v_lshlrev_b32_e32 v6, 20, v51
	v_lshl_add_u32 v1, v1, 23, 0x3c000000
	v_and_b32_e32 v2, 0x80000000, v2
	v_or3_b32 v51, v6, v2, v1
	v_mov_b32_e32 v1, v51
	v_mov_b32_e32 v2, v52
.LBB213_328:                            ;   in Loop: Header=BB213_13 Depth=1
	s_or_b32 exec_lo, exec_lo, s52
.LBB213_329:                            ;   in Loop: Header=BB213_13 Depth=1
	s_or_b32 exec_lo, exec_lo, s51
.LBB213_330:                            ;   in Loop: Header=BB213_13 Depth=1
	s_or_b32 exec_lo, exec_lo, s50
	v_cmp_ne_u16_sdwa s3, v5, v52 src0_sel:BYTE_1 src1_sel:DWORD
	s_and_saveexec_b32 s50, s3
	s_cbranch_execz .LBB213_338
; %bb.331:                              ;   in Loop: Header=BB213_13 Depth=1
	v_mov_b32_e32 v53, v52
	v_cmp_ne_u16_sdwa s3, v5, v46 src0_sel:BYTE_1 src1_sel:DWORD
	v_mov_b32_e32 v3, v53
	v_mov_b32_e32 v4, v54
	s_and_saveexec_b32 s51, s3
	s_cbranch_execz .LBB213_337
; %bb.332:                              ;   in Loop: Header=BB213_13 Depth=1
	v_mov_b32_e32 v3, 0xffff
	v_mov_b32_e32 v33, v52
	s_mov_b32 s52, exec_lo
	v_and_b32_sdwa v7, v3, v5 dst_sel:DWORD dst_unused:UNUSED_PAD src0_sel:DWORD src1_sel:BYTE_1
	v_mov_b32_e32 v3, v33
	v_mov_b32_e32 v4, v34
	v_and_b32_e32 v6, 0x7f, v7
	v_cmpx_ne_u32_e32 0x7f, v6
	s_cbranch_execz .LBB213_336
; %bb.333:                              ;   in Loop: Header=BB213_13 Depth=1
	v_and_b32_e32 v51, 7, v7
	v_lshrrev_b32_e32 v3, 3, v6
	s_mov_b32 s53, exec_lo
	v_cmpx_gt_u32_e32 8, v6
; %bb.334:                              ;   in Loop: Header=BB213_13 Depth=1
	v_ffbh_u32_e32 v3, v51
	v_min_u32_e32 v3, 32, v3
	v_subrev_nc_u32_e32 v4, 28, v3
	v_sub_nc_u32_e32 v3, 29, v3
	v_lshlrev_b64 v[6:7], v4, v[51:52]
	v_and_b32_e32 v51, 7, v6
; %bb.335:                              ;   in Loop: Header=BB213_13 Depth=1
	s_or_b32 exec_lo, exec_lo, s53
	v_lshlrev_b32_e32 v4, 16, v5
	v_lshlrev_b32_e32 v5, 20, v51
	v_lshl_add_u32 v3, v3, 23, 0x3c000000
	v_and_b32_e32 v4, 0x80000000, v4
	v_or3_b32 v4, v5, v4, v3
	v_mov_b32_e32 v3, v52
.LBB213_336:                            ;   in Loop: Header=BB213_13 Depth=1
	s_or_b32 exec_lo, exec_lo, s52
.LBB213_337:                            ;   in Loop: Header=BB213_13 Depth=1
	s_or_b32 exec_lo, exec_lo, s51
.LBB213_338:                            ;   in Loop: Header=BB213_13 Depth=1
	s_or_b32 exec_lo, exec_lo, s50
	global_load_ushort v5, v[71:72], off offset:1280
	v_mov_b32_e32 v7, 0
	v_mov_b32_e32 v8, 0
	s_waitcnt vmcnt(0)
	v_and_b32_e32 v9, 0xffff, v5
	v_cmp_ne_u16_sdwa s3, v5, v52 src0_sel:BYTE_0 src1_sel:DWORD
	v_mov_b32_e32 v5, 0
	v_mov_b32_e32 v6, 0
	s_and_saveexec_b32 s50, s3
	s_cbranch_execz .LBB213_346
; %bb.339:                              ;   in Loop: Header=BB213_13 Depth=1
	v_bfrev_b32_e32 v5, 1
	v_mov_b32_e32 v6, 0
	v_cmp_ne_u16_sdwa s3, v9, v46 src0_sel:BYTE_0 src1_sel:DWORD
	s_and_saveexec_b32 s51, s3
	s_cbranch_execz .LBB213_345
; %bb.340:                              ;   in Loop: Header=BB213_13 Depth=1
	v_mov_b32_e32 v5, 0x7f800001
	v_and_b32_e32 v10, 0x7f, v9
	v_mov_b32_e32 v6, 0
	s_mov_b32 s52, exec_lo
	v_cmpx_ne_u32_e32 0x7f, v10
	s_cbranch_execz .LBB213_344
; %bb.341:                              ;   in Loop: Header=BB213_13 Depth=1
	v_and_b32_e32 v51, 7, v9
	v_lshrrev_b32_e32 v5, 3, v10
	s_mov_b32 s53, exec_lo
	v_cmpx_gt_u32_e32 8, v10
; %bb.342:                              ;   in Loop: Header=BB213_13 Depth=1
	v_ffbh_u32_e32 v5, v51
	v_min_u32_e32 v5, 32, v5
	v_subrev_nc_u32_e32 v6, 28, v5
	v_sub_nc_u32_e32 v5, 29, v5
	v_lshlrev_b64 v[10:11], v6, v[51:52]
	v_and_b32_e32 v51, 7, v10
; %bb.343:                              ;   in Loop: Header=BB213_13 Depth=1
	s_or_b32 exec_lo, exec_lo, s53
	v_lshlrev_b32_e32 v6, 24, v9
	v_lshlrev_b32_e32 v10, 20, v51
	v_lshl_add_u32 v5, v5, 23, 0x3c000000
	v_and_b32_e32 v6, 0x80000000, v6
	v_or3_b32 v51, v10, v6, v5
	v_mov_b32_e32 v5, v51
	v_mov_b32_e32 v6, v52
.LBB213_344:                            ;   in Loop: Header=BB213_13 Depth=1
	s_or_b32 exec_lo, exec_lo, s52
.LBB213_345:                            ;   in Loop: Header=BB213_13 Depth=1
	s_or_b32 exec_lo, exec_lo, s51
.LBB213_346:                            ;   in Loop: Header=BB213_13 Depth=1
	s_or_b32 exec_lo, exec_lo, s50
	v_cmp_ne_u16_sdwa s3, v9, v52 src0_sel:BYTE_1 src1_sel:DWORD
	s_and_saveexec_b32 s50, s3
	s_cbranch_execz .LBB213_354
; %bb.347:                              ;   in Loop: Header=BB213_13 Depth=1
	v_mov_b32_e32 v53, v52
	v_cmp_ne_u16_sdwa s3, v9, v46 src0_sel:BYTE_1 src1_sel:DWORD
	v_mov_b32_e32 v7, v53
	v_mov_b32_e32 v8, v54
	s_and_saveexec_b32 s51, s3
	s_cbranch_execz .LBB213_353
; %bb.348:                              ;   in Loop: Header=BB213_13 Depth=1
	v_mov_b32_e32 v7, 0xffff
	v_mov_b32_e32 v33, v52
	s_mov_b32 s52, exec_lo
	v_and_b32_sdwa v11, v7, v9 dst_sel:DWORD dst_unused:UNUSED_PAD src0_sel:DWORD src1_sel:BYTE_1
	v_mov_b32_e32 v7, v33
	v_mov_b32_e32 v8, v34
	v_and_b32_e32 v10, 0x7f, v11
	v_cmpx_ne_u32_e32 0x7f, v10
	s_cbranch_execz .LBB213_352
; %bb.349:                              ;   in Loop: Header=BB213_13 Depth=1
	v_and_b32_e32 v51, 7, v11
	v_lshrrev_b32_e32 v7, 3, v10
	s_mov_b32 s53, exec_lo
	v_cmpx_gt_u32_e32 8, v10
; %bb.350:                              ;   in Loop: Header=BB213_13 Depth=1
	v_ffbh_u32_e32 v7, v51
	v_min_u32_e32 v7, 32, v7
	v_subrev_nc_u32_e32 v8, 28, v7
	v_sub_nc_u32_e32 v7, 29, v7
	v_lshlrev_b64 v[10:11], v8, v[51:52]
	v_and_b32_e32 v51, 7, v10
; %bb.351:                              ;   in Loop: Header=BB213_13 Depth=1
	s_or_b32 exec_lo, exec_lo, s53
	v_lshlrev_b32_e32 v8, 16, v9
	v_lshlrev_b32_e32 v9, 20, v51
	v_lshl_add_u32 v7, v7, 23, 0x3c000000
	v_and_b32_e32 v8, 0x80000000, v8
	v_or3_b32 v8, v9, v8, v7
	v_mov_b32_e32 v7, v52
.LBB213_352:                            ;   in Loop: Header=BB213_13 Depth=1
	s_or_b32 exec_lo, exec_lo, s52
.LBB213_353:                            ;   in Loop: Header=BB213_13 Depth=1
	s_or_b32 exec_lo, exec_lo, s51
.LBB213_354:                            ;   in Loop: Header=BB213_13 Depth=1
	s_or_b32 exec_lo, exec_lo, s50
	global_load_ushort v9, v[71:72], off offset:1284
	v_mov_b32_e32 v11, 0
	v_mov_b32_e32 v12, 0
	s_waitcnt vmcnt(0)
	v_and_b32_e32 v13, 0xffff, v9
	v_cmp_ne_u16_sdwa s3, v9, v52 src0_sel:BYTE_0 src1_sel:DWORD
	v_mov_b32_e32 v9, 0
	v_mov_b32_e32 v10, 0
	s_and_saveexec_b32 s50, s3
	s_cbranch_execz .LBB213_362
; %bb.355:                              ;   in Loop: Header=BB213_13 Depth=1
	v_bfrev_b32_e32 v9, 1
	v_mov_b32_e32 v10, 0
	v_cmp_ne_u16_sdwa s3, v13, v46 src0_sel:BYTE_0 src1_sel:DWORD
	s_and_saveexec_b32 s51, s3
	s_cbranch_execz .LBB213_361
; %bb.356:                              ;   in Loop: Header=BB213_13 Depth=1
	v_mov_b32_e32 v9, 0x7f800001
	v_and_b32_e32 v14, 0x7f, v13
	v_mov_b32_e32 v10, 0
	s_mov_b32 s52, exec_lo
	v_cmpx_ne_u32_e32 0x7f, v14
	s_cbranch_execz .LBB213_360
; %bb.357:                              ;   in Loop: Header=BB213_13 Depth=1
	v_and_b32_e32 v51, 7, v13
	v_lshrrev_b32_e32 v9, 3, v14
	s_mov_b32 s53, exec_lo
	v_cmpx_gt_u32_e32 8, v14
; %bb.358:                              ;   in Loop: Header=BB213_13 Depth=1
	v_ffbh_u32_e32 v9, v51
	v_min_u32_e32 v9, 32, v9
	v_subrev_nc_u32_e32 v10, 28, v9
	v_sub_nc_u32_e32 v9, 29, v9
	v_lshlrev_b64 v[14:15], v10, v[51:52]
	v_and_b32_e32 v51, 7, v14
; %bb.359:                              ;   in Loop: Header=BB213_13 Depth=1
	s_or_b32 exec_lo, exec_lo, s53
	v_lshlrev_b32_e32 v10, 24, v13
	v_lshlrev_b32_e32 v14, 20, v51
	v_lshl_add_u32 v9, v9, 23, 0x3c000000
	v_and_b32_e32 v10, 0x80000000, v10
	v_or3_b32 v51, v14, v10, v9
	v_mov_b32_e32 v9, v51
	v_mov_b32_e32 v10, v52
.LBB213_360:                            ;   in Loop: Header=BB213_13 Depth=1
	s_or_b32 exec_lo, exec_lo, s52
.LBB213_361:                            ;   in Loop: Header=BB213_13 Depth=1
	s_or_b32 exec_lo, exec_lo, s51
.LBB213_362:                            ;   in Loop: Header=BB213_13 Depth=1
	s_or_b32 exec_lo, exec_lo, s50
	v_cmp_ne_u16_sdwa s3, v13, v52 src0_sel:BYTE_1 src1_sel:DWORD
	s_and_saveexec_b32 s50, s3
	s_cbranch_execz .LBB213_370
; %bb.363:                              ;   in Loop: Header=BB213_13 Depth=1
	v_mov_b32_e32 v53, v52
	v_cmp_ne_u16_sdwa s3, v13, v46 src0_sel:BYTE_1 src1_sel:DWORD
	v_mov_b32_e32 v11, v53
	v_mov_b32_e32 v12, v54
	s_and_saveexec_b32 s51, s3
	s_cbranch_execz .LBB213_369
; %bb.364:                              ;   in Loop: Header=BB213_13 Depth=1
	v_mov_b32_e32 v11, 0xffff
	v_mov_b32_e32 v33, v52
	s_mov_b32 s52, exec_lo
	v_and_b32_sdwa v15, v11, v13 dst_sel:DWORD dst_unused:UNUSED_PAD src0_sel:DWORD src1_sel:BYTE_1
	v_mov_b32_e32 v11, v33
	v_mov_b32_e32 v12, v34
	v_and_b32_e32 v14, 0x7f, v15
	v_cmpx_ne_u32_e32 0x7f, v14
	s_cbranch_execz .LBB213_368
; %bb.365:                              ;   in Loop: Header=BB213_13 Depth=1
	v_and_b32_e32 v51, 7, v15
	v_lshrrev_b32_e32 v11, 3, v14
	s_mov_b32 s53, exec_lo
	v_cmpx_gt_u32_e32 8, v14
; %bb.366:                              ;   in Loop: Header=BB213_13 Depth=1
	v_ffbh_u32_e32 v11, v51
	v_min_u32_e32 v11, 32, v11
	v_subrev_nc_u32_e32 v12, 28, v11
	v_sub_nc_u32_e32 v11, 29, v11
	v_lshlrev_b64 v[14:15], v12, v[51:52]
	v_and_b32_e32 v51, 7, v14
; %bb.367:                              ;   in Loop: Header=BB213_13 Depth=1
	s_or_b32 exec_lo, exec_lo, s53
	v_lshlrev_b32_e32 v12, 16, v13
	v_lshlrev_b32_e32 v13, 20, v51
	v_lshl_add_u32 v11, v11, 23, 0x3c000000
	v_and_b32_e32 v12, 0x80000000, v12
	v_or3_b32 v12, v13, v12, v11
	v_mov_b32_e32 v11, v52
.LBB213_368:                            ;   in Loop: Header=BB213_13 Depth=1
	s_or_b32 exec_lo, exec_lo, s52
.LBB213_369:                            ;   in Loop: Header=BB213_13 Depth=1
	s_or_b32 exec_lo, exec_lo, s51
.LBB213_370:                            ;   in Loop: Header=BB213_13 Depth=1
	s_or_b32 exec_lo, exec_lo, s50
	global_load_ushort v13, v[71:72], off offset:1288
	v_mov_b32_e32 v77, 0
	v_mov_b32_e32 v78, 0
	s_waitcnt vmcnt(0)
	v_and_b32_e32 v15, 0xffff, v13
	v_cmp_ne_u16_sdwa s3, v13, v52 src0_sel:BYTE_0 src1_sel:DWORD
	v_mov_b32_e32 v13, 0
	v_mov_b32_e32 v14, 0
	s_and_saveexec_b32 s50, s3
	s_cbranch_execz .LBB213_378
; %bb.371:                              ;   in Loop: Header=BB213_13 Depth=1
	v_bfrev_b32_e32 v77, 1
	v_mov_b32_e32 v78, 0
	v_cmp_ne_u16_sdwa s3, v15, v46 src0_sel:BYTE_0 src1_sel:DWORD
	s_and_saveexec_b32 s51, s3
	s_cbranch_execz .LBB213_377
; %bb.372:                              ;   in Loop: Header=BB213_13 Depth=1
	v_mov_b32_e32 v77, 0x7f800001
	v_and_b32_e32 v17, 0x7f, v15
	v_mov_b32_e32 v78, 0
	s_mov_b32 s52, exec_lo
	v_cmpx_ne_u32_e32 0x7f, v17
	s_cbranch_execz .LBB213_376
; %bb.373:                              ;   in Loop: Header=BB213_13 Depth=1
	v_and_b32_e32 v51, 7, v15
	v_lshrrev_b32_e32 v16, 3, v17
	s_mov_b32 s53, exec_lo
	v_cmpx_gt_u32_e32 8, v17
; %bb.374:                              ;   in Loop: Header=BB213_13 Depth=1
	v_ffbh_u32_e32 v16, v51
	v_min_u32_e32 v16, 32, v16
	v_subrev_nc_u32_e32 v17, 28, v16
	v_sub_nc_u32_e32 v16, 29, v16
	v_lshlrev_b64 v[17:18], v17, v[51:52]
	v_and_b32_e32 v51, 7, v17
; %bb.375:                              ;   in Loop: Header=BB213_13 Depth=1
	s_or_b32 exec_lo, exec_lo, s53
	v_lshlrev_b32_e32 v17, 24, v15
	v_lshlrev_b32_e32 v18, 20, v51
	v_lshl_add_u32 v16, v16, 23, 0x3c000000
	v_and_b32_e32 v17, 0x80000000, v17
	v_or3_b32 v51, v18, v17, v16
	v_mov_b32_e32 v78, v52
	v_mov_b32_e32 v77, v51
.LBB213_376:                            ;   in Loop: Header=BB213_13 Depth=1
	s_or_b32 exec_lo, exec_lo, s52
.LBB213_377:                            ;   in Loop: Header=BB213_13 Depth=1
	s_or_b32 exec_lo, exec_lo, s51
.LBB213_378:                            ;   in Loop: Header=BB213_13 Depth=1
	s_or_b32 exec_lo, exec_lo, s50
	v_cmp_ne_u16_sdwa s3, v15, v52 src0_sel:BYTE_1 src1_sel:DWORD
	s_and_saveexec_b32 s50, s3
	s_cbranch_execz .LBB213_386
; %bb.379:                              ;   in Loop: Header=BB213_13 Depth=1
	v_mov_b32_e32 v53, v52
	v_cmp_ne_u16_sdwa s3, v15, v46 src0_sel:BYTE_1 src1_sel:DWORD
	v_mov_b32_e32 v13, v53
	v_mov_b32_e32 v14, v54
	s_and_saveexec_b32 s51, s3
	s_cbranch_execz .LBB213_385
; %bb.380:                              ;   in Loop: Header=BB213_13 Depth=1
	v_mov_b32_e32 v13, 0xffff
	v_mov_b32_e32 v33, v52
	s_mov_b32 s52, exec_lo
	v_and_b32_sdwa v17, v13, v15 dst_sel:DWORD dst_unused:UNUSED_PAD src0_sel:DWORD src1_sel:BYTE_1
	v_mov_b32_e32 v13, v33
	v_mov_b32_e32 v14, v34
	v_and_b32_e32 v16, 0x7f, v17
	v_cmpx_ne_u32_e32 0x7f, v16
	s_cbranch_execz .LBB213_384
; %bb.381:                              ;   in Loop: Header=BB213_13 Depth=1
	v_and_b32_e32 v51, 7, v17
	v_lshrrev_b32_e32 v13, 3, v16
	s_mov_b32 s53, exec_lo
	v_cmpx_gt_u32_e32 8, v16
; %bb.382:                              ;   in Loop: Header=BB213_13 Depth=1
	v_ffbh_u32_e32 v13, v51
	v_min_u32_e32 v13, 32, v13
	v_subrev_nc_u32_e32 v14, 28, v13
	v_sub_nc_u32_e32 v13, 29, v13
	v_lshlrev_b64 v[16:17], v14, v[51:52]
	v_and_b32_e32 v51, 7, v16
; %bb.383:                              ;   in Loop: Header=BB213_13 Depth=1
	s_or_b32 exec_lo, exec_lo, s53
	v_lshlrev_b32_e32 v14, 16, v15
	v_lshlrev_b32_e32 v15, 20, v51
	v_lshl_add_u32 v13, v13, 23, 0x3c000000
	v_and_b32_e32 v14, 0x80000000, v14
	v_or3_b32 v14, v15, v14, v13
	v_mov_b32_e32 v13, v52
.LBB213_384:                            ;   in Loop: Header=BB213_13 Depth=1
	s_or_b32 exec_lo, exec_lo, s52
.LBB213_385:                            ;   in Loop: Header=BB213_13 Depth=1
	s_or_b32 exec_lo, exec_lo, s51
.LBB213_386:                            ;   in Loop: Header=BB213_13 Depth=1
	s_or_b32 exec_lo, exec_lo, s50
	global_load_ushort v15, v[71:72], off offset:1292
	v_mov_b32_e32 v17, 0
	v_mov_b32_e32 v18, 0
	s_waitcnt vmcnt(0)
	v_and_b32_e32 v19, 0xffff, v15
	v_cmp_ne_u16_sdwa s3, v15, v52 src0_sel:BYTE_0 src1_sel:DWORD
	v_mov_b32_e32 v15, 0
	v_mov_b32_e32 v16, 0
	s_and_saveexec_b32 s50, s3
	s_cbranch_execz .LBB213_394
; %bb.387:                              ;   in Loop: Header=BB213_13 Depth=1
	v_bfrev_b32_e32 v15, 1
	v_mov_b32_e32 v16, 0
	v_cmp_ne_u16_sdwa s3, v19, v46 src0_sel:BYTE_0 src1_sel:DWORD
	s_and_saveexec_b32 s51, s3
	s_cbranch_execz .LBB213_393
; %bb.388:                              ;   in Loop: Header=BB213_13 Depth=1
	v_mov_b32_e32 v15, 0x7f800001
	v_and_b32_e32 v20, 0x7f, v19
	v_mov_b32_e32 v16, 0
	s_mov_b32 s52, exec_lo
	v_cmpx_ne_u32_e32 0x7f, v20
	s_cbranch_execz .LBB213_392
; %bb.389:                              ;   in Loop: Header=BB213_13 Depth=1
	v_and_b32_e32 v51, 7, v19
	v_lshrrev_b32_e32 v15, 3, v20
	s_mov_b32 s53, exec_lo
	v_cmpx_gt_u32_e32 8, v20
; %bb.390:                              ;   in Loop: Header=BB213_13 Depth=1
	v_ffbh_u32_e32 v15, v51
	v_min_u32_e32 v15, 32, v15
	v_subrev_nc_u32_e32 v16, 28, v15
	v_sub_nc_u32_e32 v15, 29, v15
	v_lshlrev_b64 v[20:21], v16, v[51:52]
	v_and_b32_e32 v51, 7, v20
; %bb.391:                              ;   in Loop: Header=BB213_13 Depth=1
	s_or_b32 exec_lo, exec_lo, s53
	v_lshlrev_b32_e32 v16, 24, v19
	v_lshlrev_b32_e32 v20, 20, v51
	v_lshl_add_u32 v15, v15, 23, 0x3c000000
	v_and_b32_e32 v16, 0x80000000, v16
	v_or3_b32 v51, v20, v16, v15
	v_mov_b32_e32 v15, v51
	v_mov_b32_e32 v16, v52
.LBB213_392:                            ;   in Loop: Header=BB213_13 Depth=1
	s_or_b32 exec_lo, exec_lo, s52
.LBB213_393:                            ;   in Loop: Header=BB213_13 Depth=1
	s_or_b32 exec_lo, exec_lo, s51
.LBB213_394:                            ;   in Loop: Header=BB213_13 Depth=1
	s_or_b32 exec_lo, exec_lo, s50
	v_cmp_ne_u16_sdwa s3, v19, v52 src0_sel:BYTE_1 src1_sel:DWORD
	s_and_saveexec_b32 s50, s3
	s_cbranch_execz .LBB213_402
; %bb.395:                              ;   in Loop: Header=BB213_13 Depth=1
	v_mov_b32_e32 v53, v52
	v_cmp_ne_u16_sdwa s3, v19, v46 src0_sel:BYTE_1 src1_sel:DWORD
	v_mov_b32_e32 v17, v53
	v_mov_b32_e32 v18, v54
	s_and_saveexec_b32 s51, s3
	s_cbranch_execz .LBB213_401
; %bb.396:                              ;   in Loop: Header=BB213_13 Depth=1
	v_mov_b32_e32 v17, 0xffff
	v_mov_b32_e32 v33, v52
	s_mov_b32 s52, exec_lo
	v_and_b32_sdwa v21, v17, v19 dst_sel:DWORD dst_unused:UNUSED_PAD src0_sel:DWORD src1_sel:BYTE_1
	v_mov_b32_e32 v17, v33
	v_mov_b32_e32 v18, v34
	v_and_b32_e32 v20, 0x7f, v21
	v_cmpx_ne_u32_e32 0x7f, v20
	s_cbranch_execz .LBB213_400
; %bb.397:                              ;   in Loop: Header=BB213_13 Depth=1
	v_and_b32_e32 v51, 7, v21
	v_lshrrev_b32_e32 v17, 3, v20
	s_mov_b32 s53, exec_lo
	v_cmpx_gt_u32_e32 8, v20
; %bb.398:                              ;   in Loop: Header=BB213_13 Depth=1
	v_ffbh_u32_e32 v17, v51
	v_min_u32_e32 v17, 32, v17
	v_subrev_nc_u32_e32 v18, 28, v17
	v_sub_nc_u32_e32 v17, 29, v17
	v_lshlrev_b64 v[20:21], v18, v[51:52]
	v_and_b32_e32 v51, 7, v20
; %bb.399:                              ;   in Loop: Header=BB213_13 Depth=1
	s_or_b32 exec_lo, exec_lo, s53
	v_lshlrev_b32_e32 v18, 16, v19
	v_lshlrev_b32_e32 v19, 20, v51
	v_lshl_add_u32 v17, v17, 23, 0x3c000000
	v_and_b32_e32 v18, 0x80000000, v18
	v_or3_b32 v18, v19, v18, v17
	v_mov_b32_e32 v17, v52
.LBB213_400:                            ;   in Loop: Header=BB213_13 Depth=1
	s_or_b32 exec_lo, exec_lo, s52
.LBB213_401:                            ;   in Loop: Header=BB213_13 Depth=1
	s_or_b32 exec_lo, exec_lo, s51
.LBB213_402:                            ;   in Loop: Header=BB213_13 Depth=1
	s_or_b32 exec_lo, exec_lo, s50
	global_load_ushort v19, v[71:72], off offset:1536
	v_mov_b32_e32 v21, 0
	v_mov_b32_e32 v22, 0
	s_waitcnt vmcnt(0)
	v_and_b32_e32 v23, 0xffff, v19
	v_cmp_ne_u16_sdwa s3, v19, v52 src0_sel:BYTE_0 src1_sel:DWORD
	v_mov_b32_e32 v19, 0
	v_mov_b32_e32 v20, 0
	s_and_saveexec_b32 s50, s3
	s_cbranch_execz .LBB213_410
; %bb.403:                              ;   in Loop: Header=BB213_13 Depth=1
	v_bfrev_b32_e32 v19, 1
	v_mov_b32_e32 v20, 0
	v_cmp_ne_u16_sdwa s3, v23, v46 src0_sel:BYTE_0 src1_sel:DWORD
	s_and_saveexec_b32 s51, s3
	s_cbranch_execz .LBB213_409
; %bb.404:                              ;   in Loop: Header=BB213_13 Depth=1
	v_mov_b32_e32 v19, 0x7f800001
	v_and_b32_e32 v24, 0x7f, v23
	v_mov_b32_e32 v20, 0
	s_mov_b32 s52, exec_lo
	v_cmpx_ne_u32_e32 0x7f, v24
	s_cbranch_execz .LBB213_408
; %bb.405:                              ;   in Loop: Header=BB213_13 Depth=1
	v_and_b32_e32 v51, 7, v23
	v_lshrrev_b32_e32 v19, 3, v24
	s_mov_b32 s53, exec_lo
	v_cmpx_gt_u32_e32 8, v24
; %bb.406:                              ;   in Loop: Header=BB213_13 Depth=1
	v_ffbh_u32_e32 v19, v51
	v_min_u32_e32 v19, 32, v19
	v_subrev_nc_u32_e32 v20, 28, v19
	v_sub_nc_u32_e32 v19, 29, v19
	v_lshlrev_b64 v[24:25], v20, v[51:52]
	v_and_b32_e32 v51, 7, v24
; %bb.407:                              ;   in Loop: Header=BB213_13 Depth=1
	s_or_b32 exec_lo, exec_lo, s53
	v_lshlrev_b32_e32 v20, 24, v23
	v_lshlrev_b32_e32 v24, 20, v51
	v_lshl_add_u32 v19, v19, 23, 0x3c000000
	v_and_b32_e32 v20, 0x80000000, v20
	v_or3_b32 v51, v24, v20, v19
	v_mov_b32_e32 v19, v51
	v_mov_b32_e32 v20, v52
.LBB213_408:                            ;   in Loop: Header=BB213_13 Depth=1
	s_or_b32 exec_lo, exec_lo, s52
.LBB213_409:                            ;   in Loop: Header=BB213_13 Depth=1
	s_or_b32 exec_lo, exec_lo, s51
.LBB213_410:                            ;   in Loop: Header=BB213_13 Depth=1
	s_or_b32 exec_lo, exec_lo, s50
	v_cmp_ne_u16_sdwa s3, v23, v52 src0_sel:BYTE_1 src1_sel:DWORD
	s_and_saveexec_b32 s50, s3
	s_cbranch_execz .LBB213_418
; %bb.411:                              ;   in Loop: Header=BB213_13 Depth=1
	v_mov_b32_e32 v53, v52
	v_cmp_ne_u16_sdwa s3, v23, v46 src0_sel:BYTE_1 src1_sel:DWORD
	v_mov_b32_e32 v21, v53
	v_mov_b32_e32 v22, v54
	s_and_saveexec_b32 s51, s3
	s_cbranch_execz .LBB213_417
; %bb.412:                              ;   in Loop: Header=BB213_13 Depth=1
	v_mov_b32_e32 v21, 0xffff
	v_mov_b32_e32 v33, v52
	s_mov_b32 s52, exec_lo
	v_and_b32_sdwa v25, v21, v23 dst_sel:DWORD dst_unused:UNUSED_PAD src0_sel:DWORD src1_sel:BYTE_1
	v_mov_b32_e32 v21, v33
	v_mov_b32_e32 v22, v34
	v_and_b32_e32 v24, 0x7f, v25
	v_cmpx_ne_u32_e32 0x7f, v24
	s_cbranch_execz .LBB213_416
; %bb.413:                              ;   in Loop: Header=BB213_13 Depth=1
	v_and_b32_e32 v51, 7, v25
	v_lshrrev_b32_e32 v21, 3, v24
	s_mov_b32 s53, exec_lo
	v_cmpx_gt_u32_e32 8, v24
; %bb.414:                              ;   in Loop: Header=BB213_13 Depth=1
	v_ffbh_u32_e32 v21, v51
	v_min_u32_e32 v21, 32, v21
	v_subrev_nc_u32_e32 v22, 28, v21
	v_sub_nc_u32_e32 v21, 29, v21
	v_lshlrev_b64 v[24:25], v22, v[51:52]
	v_and_b32_e32 v51, 7, v24
; %bb.415:                              ;   in Loop: Header=BB213_13 Depth=1
	s_or_b32 exec_lo, exec_lo, s53
	v_lshlrev_b32_e32 v22, 16, v23
	v_lshlrev_b32_e32 v23, 20, v51
	v_lshl_add_u32 v21, v21, 23, 0x3c000000
	v_and_b32_e32 v22, 0x80000000, v22
	v_or3_b32 v22, v23, v22, v21
	v_mov_b32_e32 v21, v52
.LBB213_416:                            ;   in Loop: Header=BB213_13 Depth=1
	s_or_b32 exec_lo, exec_lo, s52
.LBB213_417:                            ;   in Loop: Header=BB213_13 Depth=1
	s_or_b32 exec_lo, exec_lo, s51
.LBB213_418:                            ;   in Loop: Header=BB213_13 Depth=1
	s_or_b32 exec_lo, exec_lo, s50
	global_load_ushort v23, v[71:72], off offset:1540
	v_mov_b32_e32 v25, 0
	v_mov_b32_e32 v26, 0
	s_waitcnt vmcnt(0)
	v_and_b32_e32 v27, 0xffff, v23
	v_cmp_ne_u16_sdwa s3, v23, v52 src0_sel:BYTE_0 src1_sel:DWORD
	v_mov_b32_e32 v23, 0
	v_mov_b32_e32 v24, 0
	s_and_saveexec_b32 s50, s3
	s_cbranch_execz .LBB213_426
; %bb.419:                              ;   in Loop: Header=BB213_13 Depth=1
	v_bfrev_b32_e32 v23, 1
	v_mov_b32_e32 v24, 0
	v_cmp_ne_u16_sdwa s3, v27, v46 src0_sel:BYTE_0 src1_sel:DWORD
	s_and_saveexec_b32 s51, s3
	s_cbranch_execz .LBB213_425
; %bb.420:                              ;   in Loop: Header=BB213_13 Depth=1
	v_mov_b32_e32 v23, 0x7f800001
	v_and_b32_e32 v28, 0x7f, v27
	v_mov_b32_e32 v24, 0
	s_mov_b32 s52, exec_lo
	v_cmpx_ne_u32_e32 0x7f, v28
	s_cbranch_execz .LBB213_424
; %bb.421:                              ;   in Loop: Header=BB213_13 Depth=1
	v_and_b32_e32 v51, 7, v27
	v_lshrrev_b32_e32 v23, 3, v28
	s_mov_b32 s53, exec_lo
	v_cmpx_gt_u32_e32 8, v28
; %bb.422:                              ;   in Loop: Header=BB213_13 Depth=1
	v_ffbh_u32_e32 v23, v51
	v_min_u32_e32 v23, 32, v23
	v_subrev_nc_u32_e32 v24, 28, v23
	v_sub_nc_u32_e32 v23, 29, v23
	v_lshlrev_b64 v[28:29], v24, v[51:52]
	v_and_b32_e32 v51, 7, v28
; %bb.423:                              ;   in Loop: Header=BB213_13 Depth=1
	s_or_b32 exec_lo, exec_lo, s53
	v_lshlrev_b32_e32 v24, 24, v27
	v_lshlrev_b32_e32 v28, 20, v51
	v_lshl_add_u32 v23, v23, 23, 0x3c000000
	v_and_b32_e32 v24, 0x80000000, v24
	v_or3_b32 v51, v28, v24, v23
	v_mov_b32_e32 v23, v51
	v_mov_b32_e32 v24, v52
.LBB213_424:                            ;   in Loop: Header=BB213_13 Depth=1
	s_or_b32 exec_lo, exec_lo, s52
.LBB213_425:                            ;   in Loop: Header=BB213_13 Depth=1
	s_or_b32 exec_lo, exec_lo, s51
.LBB213_426:                            ;   in Loop: Header=BB213_13 Depth=1
	s_or_b32 exec_lo, exec_lo, s50
	v_cmp_ne_u16_sdwa s3, v27, v52 src0_sel:BYTE_1 src1_sel:DWORD
	s_and_saveexec_b32 s50, s3
	s_cbranch_execz .LBB213_434
; %bb.427:                              ;   in Loop: Header=BB213_13 Depth=1
	v_mov_b32_e32 v53, v52
	v_cmp_ne_u16_sdwa s3, v27, v46 src0_sel:BYTE_1 src1_sel:DWORD
	v_mov_b32_e32 v25, v53
	v_mov_b32_e32 v26, v54
	s_and_saveexec_b32 s51, s3
	s_cbranch_execz .LBB213_433
; %bb.428:                              ;   in Loop: Header=BB213_13 Depth=1
	v_mov_b32_e32 v25, 0xffff
	v_mov_b32_e32 v33, v52
	s_mov_b32 s52, exec_lo
	v_and_b32_sdwa v29, v25, v27 dst_sel:DWORD dst_unused:UNUSED_PAD src0_sel:DWORD src1_sel:BYTE_1
	v_mov_b32_e32 v25, v33
	v_mov_b32_e32 v26, v34
	v_and_b32_e32 v28, 0x7f, v29
	v_cmpx_ne_u32_e32 0x7f, v28
	s_cbranch_execz .LBB213_432
; %bb.429:                              ;   in Loop: Header=BB213_13 Depth=1
	v_and_b32_e32 v51, 7, v29
	v_lshrrev_b32_e32 v25, 3, v28
	s_mov_b32 s53, exec_lo
	v_cmpx_gt_u32_e32 8, v28
; %bb.430:                              ;   in Loop: Header=BB213_13 Depth=1
	v_ffbh_u32_e32 v25, v51
	v_min_u32_e32 v25, 32, v25
	v_subrev_nc_u32_e32 v26, 28, v25
	v_sub_nc_u32_e32 v25, 29, v25
	v_lshlrev_b64 v[28:29], v26, v[51:52]
	v_and_b32_e32 v51, 7, v28
; %bb.431:                              ;   in Loop: Header=BB213_13 Depth=1
	s_or_b32 exec_lo, exec_lo, s53
	v_lshlrev_b32_e32 v26, 16, v27
	v_lshlrev_b32_e32 v27, 20, v51
	v_lshl_add_u32 v25, v25, 23, 0x3c000000
	v_and_b32_e32 v26, 0x80000000, v26
	v_or3_b32 v26, v27, v26, v25
	v_mov_b32_e32 v25, v52
.LBB213_432:                            ;   in Loop: Header=BB213_13 Depth=1
	s_or_b32 exec_lo, exec_lo, s52
.LBB213_433:                            ;   in Loop: Header=BB213_13 Depth=1
	s_or_b32 exec_lo, exec_lo, s51
.LBB213_434:                            ;   in Loop: Header=BB213_13 Depth=1
	s_or_b32 exec_lo, exec_lo, s50
	global_load_ushort v27, v[71:72], off offset:1544
	v_mov_b32_e32 v55, 0
	v_mov_b32_e32 v56, 0
	s_waitcnt vmcnt(0)
	v_and_b32_e32 v29, 0xffff, v27
	v_cmp_ne_u16_sdwa s3, v27, v52 src0_sel:BYTE_0 src1_sel:DWORD
	v_mov_b32_e32 v27, 0
	v_mov_b32_e32 v28, 0
	s_and_saveexec_b32 s50, s3
	s_cbranch_execz .LBB213_442
; %bb.435:                              ;   in Loop: Header=BB213_13 Depth=1
	v_bfrev_b32_e32 v27, 1
	v_mov_b32_e32 v28, 0
	v_cmp_ne_u16_sdwa s3, v29, v46 src0_sel:BYTE_0 src1_sel:DWORD
	s_and_saveexec_b32 s51, s3
	s_cbranch_execz .LBB213_441
; %bb.436:                              ;   in Loop: Header=BB213_13 Depth=1
	v_mov_b32_e32 v27, 0x7f800001
	v_and_b32_e32 v30, 0x7f, v29
	v_mov_b32_e32 v28, 0
	s_mov_b32 s52, exec_lo
	v_cmpx_ne_u32_e32 0x7f, v30
	s_cbranch_execz .LBB213_440
; %bb.437:                              ;   in Loop: Header=BB213_13 Depth=1
	v_and_b32_e32 v51, 7, v29
	v_lshrrev_b32_e32 v27, 3, v30
	s_mov_b32 s53, exec_lo
	v_cmpx_gt_u32_e32 8, v30
; %bb.438:                              ;   in Loop: Header=BB213_13 Depth=1
	v_ffbh_u32_e32 v27, v51
	v_min_u32_e32 v27, 32, v27
	v_subrev_nc_u32_e32 v28, 28, v27
	v_sub_nc_u32_e32 v27, 29, v27
	v_lshlrev_b64 v[30:31], v28, v[51:52]
	v_and_b32_e32 v51, 7, v30
; %bb.439:                              ;   in Loop: Header=BB213_13 Depth=1
	s_or_b32 exec_lo, exec_lo, s53
	v_lshlrev_b32_e32 v28, 24, v29
	v_lshlrev_b32_e32 v30, 20, v51
	v_lshl_add_u32 v27, v27, 23, 0x3c000000
	v_and_b32_e32 v28, 0x80000000, v28
	v_or3_b32 v51, v30, v28, v27
	v_mov_b32_e32 v27, v51
	v_mov_b32_e32 v28, v52
.LBB213_440:                            ;   in Loop: Header=BB213_13 Depth=1
	s_or_b32 exec_lo, exec_lo, s52
.LBB213_441:                            ;   in Loop: Header=BB213_13 Depth=1
	s_or_b32 exec_lo, exec_lo, s51
.LBB213_442:                            ;   in Loop: Header=BB213_13 Depth=1
	s_or_b32 exec_lo, exec_lo, s50
	v_cmp_ne_u16_sdwa s3, v29, v52 src0_sel:BYTE_1 src1_sel:DWORD
	s_and_saveexec_b32 s50, s3
	s_cbranch_execz .LBB213_450
; %bb.443:                              ;   in Loop: Header=BB213_13 Depth=1
	v_mov_b32_e32 v53, v52
	v_mov_b32_e32 v56, v54
	v_cmp_ne_u16_sdwa s3, v29, v46 src0_sel:BYTE_1 src1_sel:DWORD
	v_mov_b32_e32 v55, v53
	s_and_saveexec_b32 s51, s3
	s_cbranch_execz .LBB213_449
; %bb.444:                              ;   in Loop: Header=BB213_13 Depth=1
	v_mov_b32_e32 v30, 0xffff
	v_mov_b32_e32 v33, v52
	;; [unrolled: 1-line block ×3, first 2 shown]
	s_mov_b32 s52, exec_lo
	v_and_b32_sdwa v30, v30, v29 dst_sel:DWORD dst_unused:UNUSED_PAD src0_sel:DWORD src1_sel:BYTE_1
	v_mov_b32_e32 v55, v33
	v_and_b32_e32 v31, 0x7f, v30
	v_cmpx_ne_u32_e32 0x7f, v31
	s_cbranch_execz .LBB213_448
; %bb.445:                              ;   in Loop: Header=BB213_13 Depth=1
	v_and_b32_e32 v51, 7, v30
	v_lshrrev_b32_e32 v30, 3, v31
	s_mov_b32 s53, exec_lo
	v_cmpx_gt_u32_e32 8, v31
; %bb.446:                              ;   in Loop: Header=BB213_13 Depth=1
	v_ffbh_u32_e32 v30, v51
	v_min_u32_e32 v30, 32, v30
	v_subrev_nc_u32_e32 v31, 28, v30
	v_sub_nc_u32_e32 v30, 29, v30
	v_lshlrev_b64 v[31:32], v31, v[51:52]
	v_and_b32_e32 v51, 7, v31
; %bb.447:                              ;   in Loop: Header=BB213_13 Depth=1
	s_or_b32 exec_lo, exec_lo, s53
	v_lshlrev_b32_e32 v29, 16, v29
	v_lshlrev_b32_e32 v31, 20, v51
	v_lshl_add_u32 v30, v30, 23, 0x3c000000
	v_mov_b32_e32 v55, v52
	v_and_b32_e32 v29, 0x80000000, v29
	v_or3_b32 v56, v31, v29, v30
.LBB213_448:                            ;   in Loop: Header=BB213_13 Depth=1
	s_or_b32 exec_lo, exec_lo, s52
.LBB213_449:                            ;   in Loop: Header=BB213_13 Depth=1
	s_or_b32 exec_lo, exec_lo, s51
.LBB213_450:                            ;   in Loop: Header=BB213_13 Depth=1
	s_or_b32 exec_lo, exec_lo, s50
	global_load_ushort v30, v[71:72], off offset:1548
	v_mov_b32_e32 v75, 0
	v_mov_b32_e32 v31, 0
	;; [unrolled: 1-line block ×4, first 2 shown]
	s_waitcnt vmcnt(0)
	v_and_b32_e32 v29, 0xffff, v30
	v_cmp_ne_u16_sdwa s3, v30, v52 src0_sel:BYTE_0 src1_sel:DWORD
	s_and_saveexec_b32 s50, s3
	s_cbranch_execz .LBB213_458
; %bb.451:                              ;   in Loop: Header=BB213_13 Depth=1
	v_bfrev_b32_e32 v31, 1
	v_mov_b32_e32 v32, 0
	v_cmp_ne_u16_sdwa s3, v29, v46 src0_sel:BYTE_0 src1_sel:DWORD
	s_and_saveexec_b32 s51, s3
	s_cbranch_execz .LBB213_457
; %bb.452:                              ;   in Loop: Header=BB213_13 Depth=1
	v_mov_b32_e32 v31, 0x7f800001
	v_and_b32_e32 v33, 0x7f, v29
	v_mov_b32_e32 v32, 0
	s_mov_b32 s52, exec_lo
	v_cmpx_ne_u32_e32 0x7f, v33
	s_cbranch_execz .LBB213_456
; %bb.453:                              ;   in Loop: Header=BB213_13 Depth=1
	v_and_b32_e32 v51, 7, v29
	v_lshrrev_b32_e32 v30, 3, v33
	s_mov_b32 s53, exec_lo
	v_cmpx_gt_u32_e32 8, v33
; %bb.454:                              ;   in Loop: Header=BB213_13 Depth=1
	v_ffbh_u32_e32 v30, v51
	v_min_u32_e32 v30, 32, v30
	v_subrev_nc_u32_e32 v31, 28, v30
	v_sub_nc_u32_e32 v30, 29, v30
	v_lshlrev_b64 v[31:32], v31, v[51:52]
	v_and_b32_e32 v51, 7, v31
; %bb.455:                              ;   in Loop: Header=BB213_13 Depth=1
	s_or_b32 exec_lo, exec_lo, s53
	v_lshlrev_b32_e32 v31, 24, v29
	v_lshlrev_b32_e32 v32, 20, v51
	v_lshl_add_u32 v30, v30, 23, 0x3c000000
	v_and_b32_e32 v31, 0x80000000, v31
	v_or3_b32 v51, v32, v31, v30
	v_mov_b32_e32 v31, v51
	v_mov_b32_e32 v32, v52
.LBB213_456:                            ;   in Loop: Header=BB213_13 Depth=1
	s_or_b32 exec_lo, exec_lo, s52
.LBB213_457:                            ;   in Loop: Header=BB213_13 Depth=1
	s_or_b32 exec_lo, exec_lo, s51
.LBB213_458:                            ;   in Loop: Header=BB213_13 Depth=1
	s_or_b32 exec_lo, exec_lo, s50
	v_cmp_ne_u16_sdwa s3, v29, v52 src0_sel:BYTE_1 src1_sel:DWORD
	s_and_saveexec_b32 s50, s3
	s_cbranch_execz .LBB213_466
; %bb.459:                              ;   in Loop: Header=BB213_13 Depth=1
	v_mov_b32_e32 v53, v52
	v_mov_b32_e32 v76, v54
	v_cmp_ne_u16_sdwa s3, v29, v46 src0_sel:BYTE_1 src1_sel:DWORD
	v_mov_b32_e32 v75, v53
	s_and_saveexec_b32 s51, s3
	s_cbranch_execz .LBB213_465
; %bb.460:                              ;   in Loop: Header=BB213_13 Depth=1
	v_mov_b32_e32 v30, 0xffff
	v_mov_b32_e32 v33, v52
	v_mov_b32_e32 v76, v34
	s_mov_b32 s52, exec_lo
	v_and_b32_sdwa v30, v30, v29 dst_sel:DWORD dst_unused:UNUSED_PAD src0_sel:DWORD src1_sel:BYTE_1
	v_mov_b32_e32 v75, v33
	v_and_b32_e32 v35, 0x7f, v30
	v_cmpx_ne_u32_e32 0x7f, v35
	s_cbranch_execz .LBB213_464
; %bb.461:                              ;   in Loop: Header=BB213_13 Depth=1
	v_and_b32_e32 v51, 7, v30
	v_lshrrev_b32_e32 v30, 3, v35
	s_mov_b32 s53, exec_lo
	v_cmpx_gt_u32_e32 8, v35
; %bb.462:                              ;   in Loop: Header=BB213_13 Depth=1
	v_ffbh_u32_e32 v30, v51
	v_min_u32_e32 v30, 32, v30
	v_subrev_nc_u32_e32 v33, 28, v30
	v_sub_nc_u32_e32 v30, 29, v30
	v_lshlrev_b64 v[35:36], v33, v[51:52]
	v_and_b32_e32 v51, 7, v35
; %bb.463:                              ;   in Loop: Header=BB213_13 Depth=1
	s_or_b32 exec_lo, exec_lo, s53
	v_lshlrev_b32_e32 v29, 16, v29
	v_lshlrev_b32_e32 v33, 20, v51
	v_lshl_add_u32 v30, v30, 23, 0x3c000000
	v_mov_b32_e32 v75, v52
	v_and_b32_e32 v29, 0x80000000, v29
	v_or3_b32 v76, v33, v29, v30
.LBB213_464:                            ;   in Loop: Header=BB213_13 Depth=1
	s_or_b32 exec_lo, exec_lo, s52
.LBB213_465:                            ;   in Loop: Header=BB213_13 Depth=1
	s_or_b32 exec_lo, exec_lo, s51
.LBB213_466:                            ;   in Loop: Header=BB213_13 Depth=1
	s_or_b32 exec_lo, exec_lo, s50
	global_load_ushort v30, v[71:72], off offset:1792
	v_mov_b32_e32 v79, 0
	v_mov_b32_e32 v35, 0
	;; [unrolled: 1-line block ×4, first 2 shown]
	s_waitcnt vmcnt(0)
	v_and_b32_e32 v29, 0xffff, v30
	v_cmp_ne_u16_sdwa s3, v30, v52 src0_sel:BYTE_0 src1_sel:DWORD
	s_and_saveexec_b32 s50, s3
	s_cbranch_execz .LBB213_474
; %bb.467:                              ;   in Loop: Header=BB213_13 Depth=1
	v_bfrev_b32_e32 v35, 1
	v_mov_b32_e32 v36, 0
	v_cmp_ne_u16_sdwa s3, v29, v46 src0_sel:BYTE_0 src1_sel:DWORD
	s_and_saveexec_b32 s51, s3
	s_cbranch_execz .LBB213_473
; %bb.468:                              ;   in Loop: Header=BB213_13 Depth=1
	v_mov_b32_e32 v35, 0x7f800001
	v_and_b32_e32 v33, 0x7f, v29
	v_mov_b32_e32 v36, 0
	s_mov_b32 s52, exec_lo
	v_cmpx_ne_u32_e32 0x7f, v33
	s_cbranch_execz .LBB213_472
; %bb.469:                              ;   in Loop: Header=BB213_13 Depth=1
	v_and_b32_e32 v51, 7, v29
	v_lshrrev_b32_e32 v30, 3, v33
	s_mov_b32 s53, exec_lo
	v_cmpx_gt_u32_e32 8, v33
; %bb.470:                              ;   in Loop: Header=BB213_13 Depth=1
	v_ffbh_u32_e32 v30, v51
	v_min_u32_e32 v30, 32, v30
	v_subrev_nc_u32_e32 v33, 28, v30
	v_sub_nc_u32_e32 v30, 29, v30
	v_lshlrev_b64 v[35:36], v33, v[51:52]
	v_and_b32_e32 v51, 7, v35
; %bb.471:                              ;   in Loop: Header=BB213_13 Depth=1
	s_or_b32 exec_lo, exec_lo, s53
	v_lshlrev_b32_e32 v33, 24, v29
	v_lshlrev_b32_e32 v35, 20, v51
	v_lshl_add_u32 v30, v30, 23, 0x3c000000
	v_and_b32_e32 v33, 0x80000000, v33
	v_or3_b32 v51, v35, v33, v30
	v_mov_b32_e32 v35, v51
	v_mov_b32_e32 v36, v52
.LBB213_472:                            ;   in Loop: Header=BB213_13 Depth=1
	s_or_b32 exec_lo, exec_lo, s52
.LBB213_473:                            ;   in Loop: Header=BB213_13 Depth=1
	s_or_b32 exec_lo, exec_lo, s51
.LBB213_474:                            ;   in Loop: Header=BB213_13 Depth=1
	s_or_b32 exec_lo, exec_lo, s50
	v_cmp_ne_u16_sdwa s3, v29, v52 src0_sel:BYTE_1 src1_sel:DWORD
	s_and_saveexec_b32 s50, s3
	s_cbranch_execz .LBB213_482
; %bb.475:                              ;   in Loop: Header=BB213_13 Depth=1
	v_mov_b32_e32 v53, v52
	v_mov_b32_e32 v80, v54
	v_cmp_ne_u16_sdwa s3, v29, v46 src0_sel:BYTE_1 src1_sel:DWORD
	v_mov_b32_e32 v79, v53
	s_and_saveexec_b32 s51, s3
	s_cbranch_execz .LBB213_481
; %bb.476:                              ;   in Loop: Header=BB213_13 Depth=1
	v_mov_b32_e32 v30, 0xffff
	v_mov_b32_e32 v33, v52
	;; [unrolled: 1-line block ×3, first 2 shown]
	s_mov_b32 s52, exec_lo
	v_and_b32_sdwa v30, v30, v29 dst_sel:DWORD dst_unused:UNUSED_PAD src0_sel:DWORD src1_sel:BYTE_1
	v_mov_b32_e32 v79, v33
	v_and_b32_e32 v37, 0x7f, v30
	v_cmpx_ne_u32_e32 0x7f, v37
	s_cbranch_execz .LBB213_480
; %bb.477:                              ;   in Loop: Header=BB213_13 Depth=1
	v_and_b32_e32 v51, 7, v30
	v_lshrrev_b32_e32 v30, 3, v37
	s_mov_b32 s53, exec_lo
	v_cmpx_gt_u32_e32 8, v37
; %bb.478:                              ;   in Loop: Header=BB213_13 Depth=1
	v_ffbh_u32_e32 v30, v51
	v_min_u32_e32 v30, 32, v30
	v_subrev_nc_u32_e32 v33, 28, v30
	v_sub_nc_u32_e32 v30, 29, v30
	v_lshlrev_b64 v[37:38], v33, v[51:52]
	v_and_b32_e32 v51, 7, v37
; %bb.479:                              ;   in Loop: Header=BB213_13 Depth=1
	s_or_b32 exec_lo, exec_lo, s53
	v_lshlrev_b32_e32 v29, 16, v29
	v_lshlrev_b32_e32 v33, 20, v51
	v_lshl_add_u32 v30, v30, 23, 0x3c000000
	v_mov_b32_e32 v79, v52
	v_and_b32_e32 v29, 0x80000000, v29
	v_or3_b32 v80, v33, v29, v30
.LBB213_480:                            ;   in Loop: Header=BB213_13 Depth=1
	s_or_b32 exec_lo, exec_lo, s52
.LBB213_481:                            ;   in Loop: Header=BB213_13 Depth=1
	s_or_b32 exec_lo, exec_lo, s51
.LBB213_482:                            ;   in Loop: Header=BB213_13 Depth=1
	s_or_b32 exec_lo, exec_lo, s50
	global_load_ushort v30, v[71:72], off offset:1796
	v_mov_b32_e32 v39, 0
	v_mov_b32_e32 v37, 0
	;; [unrolled: 1-line block ×4, first 2 shown]
	s_waitcnt vmcnt(0)
	v_and_b32_e32 v29, 0xffff, v30
	v_cmp_ne_u16_sdwa s3, v30, v52 src0_sel:BYTE_0 src1_sel:DWORD
	s_and_saveexec_b32 s50, s3
	s_cbranch_execz .LBB213_490
; %bb.483:                              ;   in Loop: Header=BB213_13 Depth=1
	v_bfrev_b32_e32 v37, 1
	v_mov_b32_e32 v38, 0
	v_cmp_ne_u16_sdwa s3, v29, v46 src0_sel:BYTE_0 src1_sel:DWORD
	s_and_saveexec_b32 s51, s3
	s_cbranch_execz .LBB213_489
; %bb.484:                              ;   in Loop: Header=BB213_13 Depth=1
	v_mov_b32_e32 v37, 0x7f800001
	v_and_b32_e32 v33, 0x7f, v29
	v_mov_b32_e32 v38, 0
	s_mov_b32 s52, exec_lo
	v_cmpx_ne_u32_e32 0x7f, v33
	s_cbranch_execz .LBB213_488
; %bb.485:                              ;   in Loop: Header=BB213_13 Depth=1
	v_and_b32_e32 v51, 7, v29
	v_lshrrev_b32_e32 v30, 3, v33
	s_mov_b32 s53, exec_lo
	v_cmpx_gt_u32_e32 8, v33
; %bb.486:                              ;   in Loop: Header=BB213_13 Depth=1
	v_ffbh_u32_e32 v30, v51
	v_min_u32_e32 v30, 32, v30
	v_subrev_nc_u32_e32 v33, 28, v30
	v_sub_nc_u32_e32 v30, 29, v30
	v_lshlrev_b64 v[37:38], v33, v[51:52]
	v_and_b32_e32 v51, 7, v37
; %bb.487:                              ;   in Loop: Header=BB213_13 Depth=1
	s_or_b32 exec_lo, exec_lo, s53
	v_lshlrev_b32_e32 v33, 24, v29
	v_lshlrev_b32_e32 v37, 20, v51
	v_lshl_add_u32 v30, v30, 23, 0x3c000000
	v_and_b32_e32 v33, 0x80000000, v33
	v_or3_b32 v51, v37, v33, v30
	v_mov_b32_e32 v37, v51
	v_mov_b32_e32 v38, v52
.LBB213_488:                            ;   in Loop: Header=BB213_13 Depth=1
	s_or_b32 exec_lo, exec_lo, s52
.LBB213_489:                            ;   in Loop: Header=BB213_13 Depth=1
	s_or_b32 exec_lo, exec_lo, s51
.LBB213_490:                            ;   in Loop: Header=BB213_13 Depth=1
	s_or_b32 exec_lo, exec_lo, s50
	v_cmp_ne_u16_sdwa s3, v29, v52 src0_sel:BYTE_1 src1_sel:DWORD
	s_and_saveexec_b32 s50, s3
	s_cbranch_execz .LBB213_498
; %bb.491:                              ;   in Loop: Header=BB213_13 Depth=1
	v_mov_b32_e32 v53, v52
	v_cmp_ne_u16_sdwa s3, v29, v46 src0_sel:BYTE_1 src1_sel:DWORD
	v_mov_b32_e32 v39, v53
	v_mov_b32_e32 v40, v54
	s_and_saveexec_b32 s51, s3
	s_cbranch_execz .LBB213_497
; %bb.492:                              ;   in Loop: Header=BB213_13 Depth=1
	v_mov_b32_e32 v30, 0xffff
	v_mov_b32_e32 v33, v52
	;; [unrolled: 1-line block ×3, first 2 shown]
	s_mov_b32 s52, exec_lo
	v_and_b32_sdwa v30, v30, v29 dst_sel:DWORD dst_unused:UNUSED_PAD src0_sel:DWORD src1_sel:BYTE_1
	v_mov_b32_e32 v39, v33
	v_and_b32_e32 v41, 0x7f, v30
	v_cmpx_ne_u32_e32 0x7f, v41
	s_cbranch_execz .LBB213_496
; %bb.493:                              ;   in Loop: Header=BB213_13 Depth=1
	v_and_b32_e32 v51, 7, v30
	v_lshrrev_b32_e32 v30, 3, v41
	s_mov_b32 s53, exec_lo
	v_cmpx_gt_u32_e32 8, v41
; %bb.494:                              ;   in Loop: Header=BB213_13 Depth=1
	v_ffbh_u32_e32 v30, v51
	v_min_u32_e32 v30, 32, v30
	v_subrev_nc_u32_e32 v33, 28, v30
	v_sub_nc_u32_e32 v30, 29, v30
	v_lshlrev_b64 v[39:40], v33, v[51:52]
	v_and_b32_e32 v51, 7, v39
; %bb.495:                              ;   in Loop: Header=BB213_13 Depth=1
	s_or_b32 exec_lo, exec_lo, s53
	v_lshlrev_b32_e32 v29, 16, v29
	v_lshlrev_b32_e32 v33, 20, v51
	v_lshl_add_u32 v30, v30, 23, 0x3c000000
	v_mov_b32_e32 v39, v52
	v_and_b32_e32 v29, 0x80000000, v29
	v_or3_b32 v40, v33, v29, v30
.LBB213_496:                            ;   in Loop: Header=BB213_13 Depth=1
	s_or_b32 exec_lo, exec_lo, s52
.LBB213_497:                            ;   in Loop: Header=BB213_13 Depth=1
	s_or_b32 exec_lo, exec_lo, s51
.LBB213_498:                            ;   in Loop: Header=BB213_13 Depth=1
	s_or_b32 exec_lo, exec_lo, s50
	global_load_ushort v30, v[71:72], off offset:1800
	v_mov_b32_e32 v43, 0
	v_mov_b32_e32 v41, 0
	;; [unrolled: 1-line block ×4, first 2 shown]
	s_waitcnt vmcnt(0)
	v_and_b32_e32 v29, 0xffff, v30
	v_cmp_ne_u16_sdwa s3, v30, v52 src0_sel:BYTE_0 src1_sel:DWORD
	s_and_saveexec_b32 s50, s3
	s_cbranch_execz .LBB213_506
; %bb.499:                              ;   in Loop: Header=BB213_13 Depth=1
	v_bfrev_b32_e32 v41, 1
	v_mov_b32_e32 v42, 0
	v_cmp_ne_u16_sdwa s3, v29, v46 src0_sel:BYTE_0 src1_sel:DWORD
	s_and_saveexec_b32 s51, s3
	s_cbranch_execz .LBB213_505
; %bb.500:                              ;   in Loop: Header=BB213_13 Depth=1
	v_mov_b32_e32 v41, 0x7f800001
	v_and_b32_e32 v33, 0x7f, v29
	v_mov_b32_e32 v42, 0
	s_mov_b32 s52, exec_lo
	v_cmpx_ne_u32_e32 0x7f, v33
	s_cbranch_execz .LBB213_504
; %bb.501:                              ;   in Loop: Header=BB213_13 Depth=1
	v_and_b32_e32 v51, 7, v29
	v_lshrrev_b32_e32 v30, 3, v33
	s_mov_b32 s53, exec_lo
	v_cmpx_gt_u32_e32 8, v33
; %bb.502:                              ;   in Loop: Header=BB213_13 Depth=1
	v_ffbh_u32_e32 v30, v51
	v_min_u32_e32 v30, 32, v30
	v_subrev_nc_u32_e32 v33, 28, v30
	v_sub_nc_u32_e32 v30, 29, v30
	v_lshlrev_b64 v[41:42], v33, v[51:52]
	v_and_b32_e32 v51, 7, v41
; %bb.503:                              ;   in Loop: Header=BB213_13 Depth=1
	s_or_b32 exec_lo, exec_lo, s53
	v_lshlrev_b32_e32 v33, 24, v29
	v_lshlrev_b32_e32 v41, 20, v51
	v_lshl_add_u32 v30, v30, 23, 0x3c000000
	v_and_b32_e32 v33, 0x80000000, v33
	v_or3_b32 v51, v41, v33, v30
	v_mov_b32_e32 v41, v51
	v_mov_b32_e32 v42, v52
.LBB213_504:                            ;   in Loop: Header=BB213_13 Depth=1
	s_or_b32 exec_lo, exec_lo, s52
.LBB213_505:                            ;   in Loop: Header=BB213_13 Depth=1
	s_or_b32 exec_lo, exec_lo, s51
.LBB213_506:                            ;   in Loop: Header=BB213_13 Depth=1
	s_or_b32 exec_lo, exec_lo, s50
	v_cmp_ne_u16_sdwa s3, v29, v52 src0_sel:BYTE_1 src1_sel:DWORD
	s_and_saveexec_b32 s50, s3
	s_cbranch_execz .LBB213_514
; %bb.507:                              ;   in Loop: Header=BB213_13 Depth=1
	v_mov_b32_e32 v53, v52
	v_cmp_ne_u16_sdwa s3, v29, v46 src0_sel:BYTE_1 src1_sel:DWORD
	v_mov_b32_e32 v43, v53
	v_mov_b32_e32 v44, v54
	s_and_saveexec_b32 s51, s3
	s_cbranch_execz .LBB213_513
; %bb.508:                              ;   in Loop: Header=BB213_13 Depth=1
	v_mov_b32_e32 v30, 0xffff
	v_mov_b32_e32 v33, v52
	;; [unrolled: 1-line block ×3, first 2 shown]
	s_mov_b32 s52, exec_lo
	v_and_b32_sdwa v30, v30, v29 dst_sel:DWORD dst_unused:UNUSED_PAD src0_sel:DWORD src1_sel:BYTE_1
	v_mov_b32_e32 v43, v33
	v_and_b32_e32 v53, 0x7f, v30
	v_cmpx_ne_u32_e32 0x7f, v53
	s_cbranch_execz .LBB213_512
; %bb.509:                              ;   in Loop: Header=BB213_13 Depth=1
	v_and_b32_e32 v51, 7, v30
	v_lshrrev_b32_e32 v30, 3, v53
	s_mov_b32 s53, exec_lo
	v_cmpx_gt_u32_e32 8, v53
; %bb.510:                              ;   in Loop: Header=BB213_13 Depth=1
	v_ffbh_u32_e32 v30, v51
	v_min_u32_e32 v30, 32, v30
	v_subrev_nc_u32_e32 v33, 28, v30
	v_sub_nc_u32_e32 v30, 29, v30
	v_lshlrev_b64 v[43:44], v33, v[51:52]
	v_and_b32_e32 v51, 7, v43
; %bb.511:                              ;   in Loop: Header=BB213_13 Depth=1
	s_or_b32 exec_lo, exec_lo, s53
	v_lshlrev_b32_e32 v29, 16, v29
	v_lshlrev_b32_e32 v33, 20, v51
	v_lshl_add_u32 v30, v30, 23, 0x3c000000
	v_mov_b32_e32 v43, v52
	v_and_b32_e32 v29, 0x80000000, v29
	v_or3_b32 v44, v33, v29, v30
.LBB213_512:                            ;   in Loop: Header=BB213_13 Depth=1
	s_or_b32 exec_lo, exec_lo, s52
.LBB213_513:                            ;   in Loop: Header=BB213_13 Depth=1
	s_or_b32 exec_lo, exec_lo, s51
.LBB213_514:                            ;   in Loop: Header=BB213_13 Depth=1
	s_or_b32 exec_lo, exec_lo, s50
	global_load_ushort v29, v[71:72], off offset:1804
	v_mov_b32_e32 v71, 0
	v_mov_b32_e32 v72, 0
	s_waitcnt vmcnt(0)
	v_and_b32_e32 v81, 0xffff, v29
	v_cmp_ne_u16_sdwa s3, v29, v52 src0_sel:BYTE_0 src1_sel:DWORD
	v_mov_b32_e32 v29, 0
	v_mov_b32_e32 v30, 0
	s_and_saveexec_b32 s50, s3
	s_cbranch_execz .LBB213_522
; %bb.515:                              ;   in Loop: Header=BB213_13 Depth=1
	v_bfrev_b32_e32 v71, 1
	v_mov_b32_e32 v72, 0
	v_cmp_ne_u16_sdwa s3, v81, v46 src0_sel:BYTE_0 src1_sel:DWORD
	s_and_saveexec_b32 s51, s3
	s_cbranch_execz .LBB213_521
; %bb.516:                              ;   in Loop: Header=BB213_13 Depth=1
	v_mov_b32_e32 v71, 0x7f800001
	v_and_b32_e32 v53, 0x7f, v81
	v_mov_b32_e32 v72, 0
	s_mov_b32 s52, exec_lo
	v_cmpx_ne_u32_e32 0x7f, v53
	s_cbranch_execz .LBB213_520
; %bb.517:                              ;   in Loop: Header=BB213_13 Depth=1
	v_and_b32_e32 v51, 7, v81
	v_lshrrev_b32_e32 v33, 3, v53
	s_mov_b32 s53, exec_lo
	v_cmpx_gt_u32_e32 8, v53
; %bb.518:                              ;   in Loop: Header=BB213_13 Depth=1
	v_ffbh_u32_e32 v33, v51
	v_min_u32_e32 v33, 32, v33
	v_subrev_nc_u32_e32 v53, 28, v33
	v_sub_nc_u32_e32 v33, 29, v33
	v_lshlrev_b64 v[71:72], v53, v[51:52]
	v_and_b32_e32 v51, 7, v71
; %bb.519:                              ;   in Loop: Header=BB213_13 Depth=1
	s_or_b32 exec_lo, exec_lo, s53
	v_lshlrev_b32_e32 v53, 24, v81
	v_lshlrev_b32_e32 v51, 20, v51
	v_lshl_add_u32 v33, v33, 23, 0x3c000000
	v_and_b32_e32 v53, 0x80000000, v53
	v_or3_b32 v51, v51, v53, v33
	v_mov_b32_e32 v72, v52
	v_mov_b32_e32 v71, v51
.LBB213_520:                            ;   in Loop: Header=BB213_13 Depth=1
	s_or_b32 exec_lo, exec_lo, s52
.LBB213_521:                            ;   in Loop: Header=BB213_13 Depth=1
	s_or_b32 exec_lo, exec_lo, s51
.LBB213_522:                            ;   in Loop: Header=BB213_13 Depth=1
	s_or_b32 exec_lo, exec_lo, s50
	v_cmp_ne_u16_sdwa s3, v81, v52 src0_sel:BYTE_1 src1_sel:DWORD
	s_and_saveexec_b32 s50, s3
	s_cbranch_execz .LBB213_530
; %bb.523:                              ;   in Loop: Header=BB213_13 Depth=1
	v_mov_b32_e32 v53, v52
	v_cmp_ne_u16_sdwa s3, v81, v46 src0_sel:BYTE_1 src1_sel:DWORD
	v_mov_b32_e32 v29, v53
	v_mov_b32_e32 v30, v54
	s_and_saveexec_b32 s51, s3
	s_cbranch_execz .LBB213_529
; %bb.524:                              ;   in Loop: Header=BB213_13 Depth=1
	v_mov_b32_e32 v29, 0xffff
	v_mov_b32_e32 v33, v52
	s_mov_b32 s52, exec_lo
	v_and_b32_sdwa v51, v29, v81 dst_sel:DWORD dst_unused:UNUSED_PAD src0_sel:DWORD src1_sel:BYTE_1
	v_mov_b32_e32 v29, v33
	v_mov_b32_e32 v30, v34
	v_and_b32_e32 v53, 0x7f, v51
	v_cmpx_ne_u32_e32 0x7f, v53
	s_cbranch_execz .LBB213_528
; %bb.525:                              ;   in Loop: Header=BB213_13 Depth=1
	v_and_b32_e32 v51, 7, v51
	v_lshrrev_b32_e32 v29, 3, v53
	s_mov_b32 s53, exec_lo
	v_cmpx_gt_u32_e32 8, v53
	s_cbranch_execz .LBB213_527
; %bb.526:                              ;   in Loop: Header=BB213_13 Depth=1
	v_ffbh_u32_e32 v29, v51
	v_mov_b32_e32 v33, v85
	v_mov_b32_e32 v53, v86
	v_min_u32_e32 v29, 32, v29
	v_subrev_nc_u32_e32 v30, 28, v29
	v_sub_nc_u32_e32 v29, 29, v29
	v_lshlrev_b64 v[85:86], v30, v[51:52]
	v_mov_b32_e32 v86, v53
	v_and_b32_e32 v51, 7, v85
	v_mov_b32_e32 v85, v33
.LBB213_527:                            ;   in Loop: Header=BB213_13 Depth=1
	s_or_b32 exec_lo, exec_lo, s53
	v_lshlrev_b32_e32 v30, 16, v81
	v_lshlrev_b32_e32 v33, 20, v51
	v_lshl_add_u32 v29, v29, 23, 0x3c000000
	v_and_b32_e32 v30, 0x80000000, v30
	v_or3_b32 v30, v33, v30, v29
	v_mov_b32_e32 v29, v52
.LBB213_528:                            ;   in Loop: Header=BB213_13 Depth=1
	s_or_b32 exec_lo, exec_lo, s52
.LBB213_529:                            ;   in Loop: Header=BB213_13 Depth=1
	s_or_b32 exec_lo, exec_lo, s51
.LBB213_530:                            ;   in Loop: Header=BB213_13 Depth=1
	s_or_b32 exec_lo, exec_lo, s50
	v_or_b32_e32 v38, v40, v38
	v_or_b32_e32 v39, v39, v37
	;; [unrolled: 1-line block ×5, first 2 shown]
	v_mul_f32_e32 v37, s49, v38
	v_mul_f32_e32 v38, s49, v39
	v_or_b32_e32 v39, v79, v35
	v_mul_f32_e32 v35, s49, v36
	v_or_b32_e32 v17, v17, v15
	;; [unrolled: 2-line block ×4, first 2 shown]
	v_mul_f32_e32 v31, s49, v32
	v_mul_f32_e32 v16, s49, v17
	v_or_b32_e32 v17, v13, v77
	v_mul_f32_e32 v13, s49, v14
	v_mul_f32_e32 v32, s49, v39
	v_or_b32_e32 v39, v55, v27
	v_or_b32_e32 v55, v103, v101
	v_mul_f32_e32 v14, s49, v17
	v_or_b32_e32 v10, v12, v10
	v_or_b32_e32 v11, v11, v9
	;; [unrolled: 1-line block ×3, first 2 shown]
	v_mul_f32_e32 v60, s49, v55
	v_or_b32_e32 v55, v99, v97
	v_mul_f32_e32 v9, s49, v10
	v_mul_f32_e32 v10, s49, v11
	v_or_b32_e32 v11, v64, v62
	v_or_b32_e32 v6, v8, v6
	v_mul_f32_e32 v62, s49, v55
	v_or_b32_e32 v55, v95, v93
	v_or_b32_e32 v7, v7, v5
	;; [unrolled: 1-line block ×3, first 2 shown]
	v_mul_f32_e32 v5, s49, v6
	v_or_b32_e32 v41, v43, v41
	v_mul_f32_e32 v64, s49, v55
	v_or_b32_e32 v55, v91, v89
	;; [unrolled: 2-line block ×3, first 2 shown]
	v_or_b32_e32 v43, v111, v109
	v_or_b32_e32 v33, v44, v42
	v_mul_f32_e32 v66, s49, v55
	s_clause 0x1
	buffer_load_dword v55, off, s[56:59], 0 offset:64
	buffer_load_dword v56, off, s[56:59], 0 offset:68
	v_or_b32_e32 v18, v59, v125
	v_mul_f32_e32 v44, s49, v43
	v_or_b32_e32 v43, v108, v106
	v_or_b32_e32 v12, v63, v61
	;; [unrolled: 1-line block ×5, first 2 shown]
	v_mul_f32_e32 v51, s49, v43
	v_or_b32_e32 v43, v104, v102
	v_or_b32_e32 v4, v73, v69
	v_mul_f32_e32 v1, s49, v2
	v_mul_f32_e32 v2, s49, v3
	v_or_b32_e32 v3, v74, v70
	v_mul_f32_e32 v59, s49, v43
	v_or_b32_e32 v43, v100, v98
	v_or_b32_e32 v29, v29, v71
	;; [unrolled: 1-line block ×5, first 2 shown]
	v_mul_f32_e32 v61, s49, v43
	v_or_b32_e32 v43, v96, v94
	v_mul_f32_e32 v27, s49, v28
	v_mul_f32_e32 v53, s49, v53
	;; [unrolled: 1-line block ×5, first 2 shown]
	v_or_b32_e32 v43, v92, v90
	v_or_b32_e32 v24, v26, v24
	;; [unrolled: 1-line block ×5, first 2 shown]
	v_mul_f32_e32 v65, s49, v43
	v_mul_f32_e32 v23, s49, v24
	;; [unrolled: 1-line block ×3, first 2 shown]
	v_or_b32_e32 v25, v120, v118
	v_or_b32_e32 v26, v119, v117
	v_mul_f32_e32 v39, s49, v39
	v_mul_f32_e32 v40, s49, v40
	v_or_b32_e32 v20, v22, v20
	v_mul_f32_e32 v25, s49, v25
	v_mul_f32_e32 v26, s49, v26
	v_or_b32_e32 v21, v21, v19
	v_or_b32_e32 v22, v123, v121
	v_mul_f32_e32 v19, s49, v20
	v_mul_f32_e32 v17, s49, v17
	;; [unrolled: 1-line block ×4, first 2 shown]
	v_or_b32_e32 v21, v124, v122
	v_mul_f32_e32 v22, s49, v22
	v_mul_f32_e32 v11, s49, v11
	;; [unrolled: 1-line block ×11, first 2 shown]
	s_waitcnt vmcnt(1)
	v_or_b32_e32 v55, v87, v55
	s_waitcnt vmcnt(0)
	v_or_b32_e32 v43, v88, v56
	v_mul_f32_e32 v68, s49, v55
	s_clause 0x1
	buffer_load_dword v55, off, s[56:59], 0 offset:56
	buffer_load_dword v56, off, s[56:59], 0 offset:60
	v_mul_f32_e32 v67, s49, v43
	s_waitcnt vmcnt(1)
	v_or_b32_e32 v55, v83, v55
	s_waitcnt vmcnt(0)
	v_or_b32_e32 v43, v84, v56
	v_mul_f32_e32 v70, s49, v55
	s_clause 0x3
	buffer_load_dword v55, off, s[56:59], 0 offset:40
	buffer_load_dword v56, off, s[56:59], 0 offset:44
	buffer_load_dword v73, off, s[56:59], 0 offset:48
	buffer_load_dword v74, off, s[56:59], 0 offset:52
	v_mul_f32_e32 v69, s49, v43
	s_waitcnt vmcnt(1)
	v_or_b32_e32 v55, v73, v55
	s_waitcnt vmcnt(0)
	v_or_b32_e32 v43, v74, v56
	v_mul_f32_e32 v74, s49, v55
	s_clause 0x3
	buffer_load_dword v55, off, s[56:59], 0 offset:24
	buffer_load_dword v56, off, s[56:59], 0 offset:28
	buffer_load_dword v75, off, s[56:59], 0 offset:32
	buffer_load_dword v76, off, s[56:59], 0 offset:36
	v_mul_f32_e32 v73, s49, v43
	s_waitcnt vmcnt(1)
	v_or_b32_e32 v55, v75, v55
	s_waitcnt vmcnt(0)
	v_or_b32_e32 v43, v76, v56
	v_mul_f32_e32 v76, s49, v55
	s_clause 0x3
	buffer_load_dword v55, off, s[56:59], 0 offset:8
	buffer_load_dword v56, off, s[56:59], 0 offset:12
	buffer_load_dword v77, off, s[56:59], 0 offset:16
	buffer_load_dword v78, off, s[56:59], 0 offset:20
	v_mul_f32_e32 v75, s49, v43
	s_waitcnt vmcnt(1)
	v_or_b32_e32 v55, v77, v55
	s_waitcnt vmcnt(0)
	v_or_b32_e32 v43, v78, v56
	s_clause 0x7
	buffer_load_dword v77, off, s[56:59], 0 offset:72
	buffer_load_dword v78, off, s[56:59], 0 offset:76
	buffer_load_dword v79, off, s[56:59], 0
	buffer_load_dword v80, off, s[56:59], 0 offset:4
	buffer_load_dword v87, off, s[56:59], 0 offset:268
	;; [unrolled: 1-line block ×5, first 2 shown]
	v_mul_f32_e32 v55, s49, v55
	v_mul_f32_e32 v56, s49, v43
	s_waitcnt vmcnt(5)
	v_or_b32_e32 v77, v79, v77
	s_waitcnt vmcnt(4)
	v_or_b32_e32 v43, v80, v78
	s_waitcnt vmcnt(1)
	v_mul_f32_e32 v55, v89, v55
	s_waitcnt vmcnt(0)
	v_mul_f32_e32 v56, v90, v56
	v_mul_f32_e32 v77, s49, v77
	;; [unrolled: 1-line block ×3, first 2 shown]
	v_xor_b32_e32 v43, 1, v85
	v_fmac_f32_e32 v55, v87, v77
	v_fmac_f32_e32 v56, v88, v78
	v_cmp_gt_i32_e64 s3, 32, v43
	v_cndmask_b32_e64 v79, v85, v43, s3
	v_mul_f32_e32 v43, s49, v29
	v_lshlrev_b32_e32 v29, 2, v79
	s_clause 0x3
	buffer_load_dword v77, off, s[56:59], 0 offset:252
	buffer_load_dword v78, off, s[56:59], 0 offset:256
	buffer_load_dword v79, off, s[56:59], 0 offset:260
	buffer_load_dword v80, off, s[56:59], 0 offset:264
	s_waitcnt vmcnt(3)
	v_fmac_f32_e32 v55, v77, v76
	s_waitcnt vmcnt(2)
	v_fmac_f32_e32 v56, v78, v75
	s_waitcnt vmcnt(1)
	v_fmac_f32_e32 v55, v79, v74
	s_waitcnt vmcnt(0)
	v_fmac_f32_e32 v56, v80, v73
	s_clause 0x3
	buffer_load_dword v71, off, s[56:59], 0 offset:236
	buffer_load_dword v72, off, s[56:59], 0 offset:240
	buffer_load_dword v73, off, s[56:59], 0 offset:244
	buffer_load_dword v74, off, s[56:59], 0 offset:248
	s_waitcnt vmcnt(3)
	v_fmac_f32_e32 v55, v71, v70
	s_waitcnt vmcnt(2)
	v_fmac_f32_e32 v56, v72, v69
	s_waitcnt vmcnt(1)
	v_fmac_f32_e32 v55, v73, v68
	s_waitcnt vmcnt(0)
	v_fmac_f32_e32 v56, v74, v67
	;; [unrolled: 13-line block ×10, first 2 shown]
	s_clause 0x3
	buffer_load_dword v1, off, s[56:59], 0 offset:92
	buffer_load_dword v2, off, s[56:59], 0 offset:96
	;; [unrolled: 1-line block ×4, first 2 shown]
	s_waitcnt vmcnt(3)
	v_fmac_f32_e32 v55, v1, v14
	s_waitcnt vmcnt(2)
	v_fmac_f32_e32 v56, v2, v13
	s_clause 0x1
	buffer_load_dword v1, off, s[56:59], 0 offset:84
	buffer_load_dword v2, off, s[56:59], 0 offset:88
	s_waitcnt vmcnt(3)
	v_fmac_f32_e32 v55, v3, v16
	s_waitcnt vmcnt(2)
	v_fmac_f32_e32 v56, v4, v15
	;; [unrolled: 2-line block ×4, first 2 shown]
	ds_read2_b64 v[1:4], v0 offset0:25 offset1:26
	s_waitcnt lgkmcnt(0)
	v_fmac_f32_e32 v55, v24, v1
	v_fmac_f32_e32 v56, v23, v2
	;; [unrolled: 1-line block ×4, first 2 shown]
	ds_read2_b64 v[1:4], v0 offset0:27 offset1:28
	s_waitcnt lgkmcnt(0)
	v_fmac_f32_e32 v55, v32, v1
	v_fmac_f32_e32 v56, v31, v2
	;; [unrolled: 1-line block ×4, first 2 shown]
	ds_read2_b64 v[1:4], v0 offset0:29 offset1:30
	s_waitcnt lgkmcnt(0)
	v_fmac_f32_e32 v55, v38, v1
	v_fmac_f32_e32 v56, v37, v2
	ds_read_b64 v[1:2], v0 offset:248
	v_fmac_f32_e32 v55, v41, v3
	v_fmac_f32_e32 v56, v33, v4
	s_waitcnt lgkmcnt(0)
	v_fmac_f32_e32 v55, v43, v1
	v_fmac_f32_e32 v56, v30, v2
	v_add_f32_e32 v1, v55, v56
	ds_bpermute_b32 v2, v29, v1
	s_and_saveexec_b32 s49, vcc_lo
	s_cbranch_execz .LBB213_11
; %bb.531:                              ;   in Loop: Header=BB213_13 Depth=1
	buffer_load_dword v3, off, s[56:59], 0 offset:292 ; 4-byte Folded Reload
	s_waitcnt lgkmcnt(0)
	v_add_f32_e32 v1, v1, v2
	s_waitcnt vmcnt(0)
	v_add_nc_u32_e32 v3, v3, v45
	v_cvt_f32_i32_e32 v3, v3
	v_mul_f32_e32 v3, s43, v3
	v_cndmask_b32_e64 v2, 0, v3, s2
	v_max_f32_e32 v3, v86, v86
	v_fmac_f32_e32 v2, s41, v1
	v_add_nc_u32_e32 v1, v82, v45
	v_max_f32_e32 v3, v3, v2
	v_cmp_gt_i32_e64 s3, s31, v1
	v_cndmask_b32_e64 v1, 0, v2, s3
	v_cndmask_b32_e64 v86, v86, v3, s3
	ds_write_b32 v48, v1
	s_branch .LBB213_11
.LBB213_532:
	s_or_b32 exec_lo, exec_lo, s47
	s_clause 0x2
	buffer_load_dword v44, off, s[56:59], 0 offset:296
	buffer_load_dword v118, off, s[56:59], 0 offset:304
	;; [unrolled: 1-line block ×3, first 2 shown]
.LBB213_533:
	s_or_b32 exec_lo, exec_lo, s45
	v_xor_b32_e32 v0, 16, v85
	v_xor_b32_e32 v1, 8, v85
	v_max_f32_e32 v3, v86, v86
	s_waitcnt vmcnt(1)
	v_lshlrev_b32_e32 v6, 2, v118
	v_cmp_gt_i32_e32 vcc_lo, 32, v0
	v_cndmask_b32_e32 v0, v85, v0, vcc_lo
	v_cmp_gt_i32_e32 vcc_lo, 32, v1
	s_waitcnt lgkmcnt(0)
	v_lshlrev_b32_e32 v2, 2, v0
	v_cndmask_b32_e32 v1, v85, v1, vcc_lo
	ds_bpermute_b32 v0, v2, v86
	v_lshlrev_b32_e32 v4, 2, v1
	s_waitcnt lgkmcnt(0)
	v_max_f32_e32 v0, v0, v0
	v_max_f32_e32 v0, v3, v0
	v_xor_b32_e32 v3, 4, v85
	ds_bpermute_b32 v1, v4, v0
	v_cmp_gt_i32_e32 vcc_lo, 32, v3
	v_cndmask_b32_e32 v3, v85, v3, vcc_lo
	v_lshlrev_b32_e32 v5, 2, v3
	v_xor_b32_e32 v3, 2, v85
	v_cmp_gt_i32_e32 vcc_lo, 32, v3
	s_waitcnt lgkmcnt(0)
	v_max_f32_e32 v1, v1, v1
	v_cndmask_b32_e32 v3, v85, v3, vcc_lo
	v_max_f32_e32 v0, v0, v1
	v_lshlrev_b32_e32 v25, 2, v3
	ds_bpermute_b32 v1, v5, v0
	s_waitcnt lgkmcnt(0)
	v_max_f32_e32 v1, v1, v1
	v_max_f32_e32 v1, v0, v1
	v_and_b32_e32 v0, 31, v44
	ds_bpermute_b32 v3, v25, v1
	v_cmp_eq_u32_e32 vcc_lo, 0, v0
	s_and_saveexec_b32 s2, vcc_lo
	s_cbranch_execz .LBB213_535
; %bb.534:
	s_waitcnt lgkmcnt(0)
	v_max_f32_e32 v3, v3, v3
	v_max_f32_e32 v1, v1, v1
	;; [unrolled: 1-line block ×3, first 2 shown]
	ds_write_b32 v6, v1 offset:512
.LBB213_535:
	s_or_b32 exec_lo, exec_lo, s2
	v_cmp_gt_u32_e64 s2, 4, v0
	v_mov_b32_e32 v1, 0xff7fffff
	v_lshlrev_b32_e32 v7, 2, v0
	s_waitcnt vmcnt(0) lgkmcnt(0)
	s_waitcnt_vscnt null, 0x0
	s_barrier
	buffer_gl0_inv
	s_and_saveexec_b32 s3, s2
; %bb.536:
	ds_read_b32 v1, v7 offset:512
; %bb.537:
	s_or_b32 exec_lo, exec_lo, s3
	s_waitcnt lgkmcnt(0)
	ds_bpermute_b32 v3, v25, v1
	v_xor_b32_e32 v8, 1, v85
	v_max_f32_e32 v1, v1, v1
	v_cmp_gt_i32_e64 s3, 32, v8
	v_cndmask_b32_e64 v8, v85, v8, s3
	s_sub_i32 s3, s20, s44
	s_lshl_b32 s3, s3, 4
	v_lshlrev_b32_e32 v26, 2, v8
	v_mov_b32_e32 v8, 0
	s_add_i32 s3, s3, s42
	s_min_i32 s3, s3, s31
	s_waitcnt lgkmcnt(0)
	v_max_f32_e32 v3, v3, v3
	s_sub_i32 s5, s3, s42
	v_cmp_gt_i32_e64 s3, s5, v44
	v_max_f32_e32 v1, v1, v3
	ds_bpermute_b32 v3, v26, v1
	s_waitcnt lgkmcnt(0)
	v_max_f32_e32 v3, v3, v3
	v_max_f32_e32 v1, v1, v3
	v_lshl_add_u32 v3, v44, 2, 0x220
	ds_bpermute_b32 v1, v8, v1
	s_and_saveexec_b32 s12, s3
	s_cbranch_execz .LBB213_541
; %bb.538:
	v_lshl_add_u32 v9, v44, 2, 0x220
	v_mov_b32_e32 v8, 0
	v_mov_b32_e32 v10, v44
	s_mov_b32 s13, 0
	.p2align	6
.LBB213_539:                            ; =>This Inner Loop Header: Depth=1
	ds_read_b32 v11, v9
	v_add_nc_u32_e32 v10, 0x80, v10
	v_cmp_le_i32_e64 s4, s5, v10
	s_or_b32 s13, s4, s13
	s_waitcnt lgkmcnt(0)
	v_sub_f32_e32 v11, v11, v1
	v_mul_f32_e32 v11, 0x3fb8aa3b, v11
	v_exp_f32_e32 v11, v11
	ds_write_b32 v9, v11
	v_add_f32_e32 v8, v8, v11
	v_add_nc_u32_e32 v9, 0x200, v9
	s_andn2_b32 exec_lo, exec_lo, s13
	s_cbranch_execnz .LBB213_539
; %bb.540:
	s_or_b32 exec_lo, exec_lo, s13
.LBB213_541:
	s_or_b32 exec_lo, exec_lo, s12
	ds_bpermute_b32 v2, v2, v8
	s_waitcnt lgkmcnt(0)
	v_add_f32_e32 v2, v8, v2
	ds_bpermute_b32 v4, v4, v2
	s_waitcnt lgkmcnt(0)
	v_add_f32_e32 v2, v2, v4
	;; [unrolled: 3-line block ×5, first 2 shown]
	s_and_saveexec_b32 s4, vcc_lo
; %bb.542:
	ds_write_b32 v6, v2 offset:528
; %bb.543:
	s_or_b32 exec_lo, exec_lo, s4
	s_waitcnt lgkmcnt(0)
	s_barrier
	buffer_gl0_inv
	s_and_saveexec_b32 s4, s2
; %bb.544:
	ds_read_b32 v2, v7 offset:528
; %bb.545:
	s_or_b32 exec_lo, exec_lo, s4
	s_waitcnt lgkmcnt(0)
	ds_bpermute_b32 v4, v25, v2
	s_waitcnt lgkmcnt(0)
	v_add_f32_e32 v2, v2, v4
	ds_bpermute_b32 v4, v26, v2
	s_waitcnt lgkmcnt(0)
	v_add_f32_e32 v2, v2, v4
	v_mov_b32_e32 v4, 0
	ds_bpermute_b32 v2, v4, v2
	s_and_saveexec_b32 s2, s3
	s_cbranch_execz .LBB213_548
; %bb.546:
	s_waitcnt lgkmcnt(0)
	v_add_f32_e32 v4, 0x358637bd, v2
	s_mov_b32 s3, 0
	v_div_scale_f32 v5, null, v4, v4, 1.0
	v_div_scale_f32 v8, vcc_lo, 1.0, v4, 1.0
	v_rcp_f32_e32 v6, v5
	v_fma_f32 v7, -v5, v6, 1.0
	v_fmac_f32_e32 v6, v7, v6
	v_mul_f32_e32 v7, v8, v6
	v_fma_f32 v9, -v5, v7, v8
	v_fmac_f32_e32 v7, v9, v6
	v_fma_f32 v5, -v5, v7, v8
	v_div_fmas_f32 v5, v5, v6, v7
	v_div_fixup_f32 v4, v5, v4, 1.0
	v_mov_b32_e32 v5, v44
.LBB213_547:                            ; =>This Inner Loop Header: Depth=1
	ds_read_b32 v6, v3
	v_add_nc_u32_e32 v5, 0x80, v5
	v_cmp_le_i32_e32 vcc_lo, s5, v5
	s_or_b32 s3, vcc_lo, s3
	s_waitcnt lgkmcnt(0)
	v_mul_f32_e32 v6, v4, v6
	ds_write_b32 v3, v6
	v_add_nc_u32_e32 v3, 0x200, v3
	s_andn2_b32 exec_lo, exec_lo, s3
	s_cbranch_execnz .LBB213_547
.LBB213_548:
	s_or_b32 exec_lo, exec_lo, s2
	s_mul_i32 s2, s7, s30
	s_mov_b32 s4, exec_lo
	s_mul_i32 s2, s2, s9
	s_waitcnt lgkmcnt(0)
	s_barrier
	buffer_gl0_inv
	v_cmpx_eq_u32_e32 0, v44
	s_cbranch_execz .LBB213_550
; %bb.549:
	s_ashr_i32 s3, s2, 31
	s_mul_i32 s42, s7, s6
	s_lshl_b64 s[12:13], s[2:3], 2
	v_mov_b32_e32 v3, 0
	s_add_u32 s3, s26, s12
	s_addc_u32 s5, s27, s13
	s_ashr_i32 s43, s42, 31
	s_lshl_b64 s[26:27], s[42:43], 2
	s_add_u32 s3, s3, s26
	s_addc_u32 s5, s5, s27
	s_ashr_i32 s9, s8, 31
	s_lshl_b64 s[42:43], s[8:9], 2
	s_add_u32 s44, s3, s42
	s_addc_u32 s45, s5, s43
	s_add_u32 s3, s24, s12
	s_addc_u32 s5, s25, s13
	;; [unrolled: 2-line block ×4, first 2 shown]
	global_store_dword v3, v1, s[44:45]
	global_store_dword v3, v2, s[12:13]
.LBB213_550:
	s_or_b32 exec_lo, exec_lo, s4
	v_mov_b32_e32 v42, 0
	v_and_b32_e32 v27, 3, v44
	v_mov_b32_e32 v43, 0
	v_mov_b32_e32 v41, 0
	;; [unrolled: 1-line block ×15, first 2 shown]
	s_and_saveexec_b32 s3, s1
	s_cbranch_execz .LBB213_1100
; %bb.551:
	s_sub_i32 s4, s40, s21
	s_ashr_i32 s1, s18, 31
	s_add_u32 s6, s38, s18
	s_addc_u32 s1, s39, s1
	s_abs_i32 s5, s22
	v_and_b32_e32 v3, 0x7c, v12
	v_cvt_f32_u32_e32 v1, s5
	s_sub_i32 s9, 0, s5
	v_lshlrev_b32_e32 v5, 4, v27
	v_mov_b32_e32 v9, v118
	v_add_co_u32 v11, s6, s6, v3
	v_rcp_iflag_f32_e32 v4, v1
	v_lshlrev_b64 v[1:2], 2, v[49:50]
	s_lshl_b64 s[12:13], s[36:37], 2
	s_add_i32 s33, s33, -1
	v_lshl_or_b32 v5, v9, 6, v5
	v_mov_b32_e32 v117, v44
	v_and_b32_e32 v44, 12, v12
	v_add_co_ci_u32_e64 v12, null, s1, 0, s6
	s_add_u32 s1, s34, s12
	v_mul_f32_e32 v4, 0x4f7ffffe, v4
	s_addc_u32 s6, s35, s13
	v_add_co_u32 v13, vcc_lo, s1, v1
	v_mov_b32_e32 v6, 0
	v_cvt_u32_f32_e32 v4, v4
	v_mov_b32_e32 v45, 0x80
	v_bfrev_b32_e32 v8, 1
	v_mov_b32_e32 v46, 0xffff
	v_mov_b32_e32 v10, 0x7f800001
	v_mul_lo_u32 v7, s9, v4
	v_mov_b32_e32 v47, 0xff
	v_mov_b32_e32 v48, 7
	;; [unrolled: 1-line block ×7, first 2 shown]
	v_mul_hi_u32 v3, v4, v7
	v_mov_b32_e32 v32, 0
	v_mov_b32_e32 v33, 0
	;; [unrolled: 1-line block ×3, first 2 shown]
	v_add_co_ci_u32_e64 v14, null, s6, v2, vcc_lo
	v_add_nc_u32_e32 v51, 0x220, v5
	v_mov_b32_e32 v35, 0
	v_add_nc_u32_e32 v52, v4, v3
	v_mov_b32_e32 v36, 0
	v_mov_b32_e32 v37, 0
	;; [unrolled: 1-line block ×8, first 2 shown]
	s_mov_b32 s9, s17
	s_mov_b32 s6, 0
	s_branch .LBB213_554
.LBB213_552:                            ;   in Loop: Header=BB213_554 Depth=1
	s_or_b32 exec_lo, exec_lo, s1
	v_mul_f32_e32 v16, v1, v114
	v_mul_f32_e32 v17, v1, v112
	v_mul_f32_e32 v18, v1, v108
	v_mul_f32_e32 v19, v1, v104
	v_mul_f32_e32 v20, v1, v100
	v_fmac_f32_e32 v16, v2, v113
	v_fmac_f32_e32 v17, v2, v111
	;; [unrolled: 1-line block ×15, first 2 shown]
	v_add_f32_e32 v29, v29, v16
	v_add_f32_e32 v30, v30, v17
	;; [unrolled: 1-line block ×4, first 2 shown]
	v_mul_f32_e32 v16, v1, v92
	v_mul_f32_e32 v17, v1, v88
	;; [unrolled: 1-line block ×5, first 2 shown]
	v_fmac_f32_e32 v16, v2, v91
	v_fmac_f32_e32 v17, v2, v87
	;; [unrolled: 1-line block ×4, first 2 shown]
	v_add_f32_e32 v33, v33, v20
	v_fmac_f32_e32 v16, v3, v90
	v_fmac_f32_e32 v17, v3, v86
	;; [unrolled: 1-line block ×4, first 2 shown]
	v_mul_f32_e32 v20, v1, v76
	v_fmac_f32_e32 v16, v4, v89
	v_fmac_f32_e32 v17, v4, v85
	;; [unrolled: 1-line block ×5, first 2 shown]
	v_add_f32_e32 v35, v35, v16
	v_add_f32_e32 v36, v36, v17
	;; [unrolled: 1-line block ×4, first 2 shown]
	v_mul_f32_e32 v16, v1, v72
	v_mul_f32_e32 v17, v1, v68
	;; [unrolled: 1-line block ×5, first 2 shown]
	v_fmac_f32_e32 v20, v2, v75
	v_fmac_f32_e32 v16, v2, v71
	;; [unrolled: 1-line block ×20, first 2 shown]
	v_add_f32_e32 v34, v34, v21
	v_add_f32_e32 v39, v39, v20
	;; [unrolled: 1-line block ×7, first 2 shown]
.LBB213_553:                            ;   in Loop: Header=BB213_554 Depth=1
	s_or_b32 exec_lo, exec_lo, s12
	v_add_nc_u32_e32 v49, 4, v49
	v_add_co_u32 v13, s1, v13, 16
	v_add_co_ci_u32_e64 v14, null, 0, v14, s1
	v_cmp_le_i32_e32 vcc_lo, s20, v49
	v_add_nc_u32_e32 v127, 64, v127
	v_add_nc_u32_e32 v51, 0x100, v51
	s_or_b32 s6, vcc_lo, s6
	s_andn2_b32 exec_lo, exec_lo, s6
	s_cbranch_execz .LBB213_1099
.LBB213_554:                            ; =>This Inner Loop Header: Depth=1
	v_sub_nc_u32_e32 v1, 0, v127
	v_max_i32_e32 v1, v127, v1
	v_mul_hi_u32 v2, v1, s16
	v_mul_lo_u32 v3, v2, s11
	v_sub_nc_u32_e32 v1, v1, v3
	v_add_nc_u32_e32 v3, 1, v2
	v_subrev_nc_u32_e32 v4, s11, v1
	v_cmp_le_u32_e32 vcc_lo, s11, v1
	v_cndmask_b32_e32 v2, v2, v3, vcc_lo
	v_cndmask_b32_e32 v1, v1, v4, vcc_lo
	v_ashrrev_i32_e32 v3, 31, v127
	v_add_nc_u32_e32 v4, 1, v2
	v_cmp_le_u32_e32 vcc_lo, s11, v1
	v_xor_b32_e32 v3, s23, v3
	v_cndmask_b32_e32 v1, v2, v4, vcc_lo
	v_xor_b32_e32 v1, v1, v3
	v_sub_nc_u32_e32 v1, v1, v3
	v_add_nc_u32_e32 v2, s19, v1
	v_cmp_lt_i32_e64 s1, s4, v1
	v_sub_nc_u32_e32 v3, 0, v2
	v_max_i32_e32 v3, v2, v3
	v_ashrrev_i32_e32 v2, 31, v2
	v_mul_hi_u32 v4, v3, v52
	v_mul_lo_u32 v4, v4, s5
	v_sub_nc_u32_e32 v3, v3, v4
	v_subrev_nc_u32_e32 v4, s5, v3
	v_cmp_le_u32_e32 vcc_lo, s5, v3
	v_cndmask_b32_e32 v3, v3, v4, vcc_lo
	v_subrev_nc_u32_e32 v4, s5, v3
	v_cmp_le_u32_e32 vcc_lo, s5, v3
	v_cndmask_b32_e32 v3, v3, v4, vcc_lo
	v_xor_b32_e32 v3, v3, v2
	v_sub_nc_u32_e32 v2, v3, v2
	v_cmp_eq_u32_e32 vcc_lo, 0, v2
	s_or_b32 s1, vcc_lo, s1
	s_and_saveexec_b32 s12, s1
	s_cbranch_execz .LBB213_553
; %bb.555:                              ;   in Loop: Header=BB213_554 Depth=1
	global_load_dword v1, v[13:14], off
	s_load_dword s13, s[14:15], 0x0
	v_mov_b32_e32 v19, 0
	v_mov_b32_e32 v17, 0
	;; [unrolled: 1-line block ×4, first 2 shown]
	s_waitcnt vmcnt(0)
	v_mad_i64_i32 v[15:16], null, v1, s9, v[11:12]
	ds_read_b128 v[1:4], v51
	global_load_dword v53, v[15:16], off
	s_waitcnt vmcnt(0)
	v_cmp_ne_u16_sdwa s17, v53, v6 src0_sel:BYTE_0 src1_sel:DWORD
	s_and_saveexec_b32 s1, s17
	s_cbranch_execz .LBB213_563
; %bb.556:                              ;   in Loop: Header=BB213_554 Depth=1
	v_bfrev_b32_e32 v17, 1
	v_mov_b32_e32 v18, 0
	v_cmp_ne_u16_sdwa s18, v53, v45 src0_sel:BYTE_0 src1_sel:DWORD
	s_and_saveexec_b32 s17, s18
	s_cbranch_execz .LBB213_562
; %bb.557:                              ;   in Loop: Header=BB213_554 Depth=1
	v_mov_b32_e32 v17, 0x7f800001
	v_and_b32_e32 v9, 0x7f, v53
	v_mov_b32_e32 v18, 0
	s_mov_b32 s18, exec_lo
	v_cmpx_ne_u32_e32 0x7f, v9
	s_cbranch_execz .LBB213_561
; %bb.558:                              ;   in Loop: Header=BB213_554 Depth=1
	v_and_b32_e32 v5, 7, v53
	v_lshrrev_b32_e32 v7, 3, v9
	s_mov_b32 s21, exec_lo
	v_cmpx_gt_u32_e32 8, v9
; %bb.559:                              ;   in Loop: Header=BB213_554 Depth=1
	v_ffbh_u32_e32 v7, v5
	v_min_u32_e32 v7, 32, v7
	v_subrev_nc_u32_e32 v9, 28, v7
	v_sub_nc_u32_e32 v7, 29, v7
	v_lshlrev_b64 v[17:18], v9, v[5:6]
	v_and_b32_e32 v5, 7, v17
; %bb.560:                              ;   in Loop: Header=BB213_554 Depth=1
	s_or_b32 exec_lo, exec_lo, s21
	v_lshlrev_b32_e32 v9, 24, v53
	v_lshlrev_b32_e32 v5, 20, v5
	v_lshl_add_u32 v7, v7, 23, 0x3c000000
	v_and_b32_e32 v9, 0x80000000, v9
	v_or3_b32 v5, v5, v9, v7
	v_mov_b32_e32 v18, v6
	v_mov_b32_e32 v17, v5
.LBB213_561:                            ;   in Loop: Header=BB213_554 Depth=1
	s_or_b32 exec_lo, exec_lo, s18
.LBB213_562:                            ;   in Loop: Header=BB213_554 Depth=1
	s_or_b32 exec_lo, exec_lo, s17
.LBB213_563:                            ;   in Loop: Header=BB213_554 Depth=1
	s_or_b32 exec_lo, exec_lo, s1
	v_cmp_ne_u16_sdwa s17, v53, v6 src0_sel:BYTE_1 src1_sel:DWORD
	s_and_saveexec_b32 s1, s17
	s_cbranch_execz .LBB213_571
; %bb.564:                              ;   in Loop: Header=BB213_554 Depth=1
	v_mov_b32_e32 v7, v6
	v_mov_b32_e32 v20, v8
	v_cmp_ne_u16_sdwa s18, v53, v45 src0_sel:BYTE_1 src1_sel:DWORD
	v_mov_b32_e32 v19, v7
	s_and_saveexec_b32 s17, s18
	s_cbranch_execz .LBB213_570
; %bb.565:                              ;   in Loop: Header=BB213_554 Depth=1
	v_and_b32_sdwa v5, v46, v53 dst_sel:DWORD dst_unused:UNUSED_PAD src0_sel:DWORD src1_sel:BYTE_1
	v_mov_b32_e32 v9, v6
	v_mov_b32_e32 v20, v10
	s_mov_b32 s18, exec_lo
	v_and_b32_e32 v21, 0x7f, v5
	v_mov_b32_e32 v19, v9
	v_cmpx_ne_u32_e32 0x7f, v21
	s_cbranch_execz .LBB213_569
; %bb.566:                              ;   in Loop: Header=BB213_554 Depth=1
	v_and_b32_e32 v5, 7, v5
	v_lshrrev_b32_e32 v7, 3, v21
	s_mov_b32 s21, exec_lo
	v_cmpx_gt_u32_e32 8, v21
; %bb.567:                              ;   in Loop: Header=BB213_554 Depth=1
	v_ffbh_u32_e32 v7, v5
	v_min_u32_e32 v7, 32, v7
	v_subrev_nc_u32_e32 v9, 28, v7
	v_sub_nc_u32_e32 v7, 29, v7
	v_lshlrev_b64 v[19:20], v9, v[5:6]
	v_and_b32_e32 v5, 7, v19
; %bb.568:                              ;   in Loop: Header=BB213_554 Depth=1
	s_or_b32 exec_lo, exec_lo, s21
	v_lshlrev_b32_e32 v9, 16, v53
	v_lshlrev_b32_e32 v5, 20, v5
	v_lshl_add_u32 v7, v7, 23, 0x3c000000
	v_mov_b32_e32 v19, v6
	v_and_b32_e32 v9, 0x80000000, v9
	v_or3_b32 v20, v5, v9, v7
.LBB213_569:                            ;   in Loop: Header=BB213_554 Depth=1
	s_or_b32 exec_lo, exec_lo, s18
.LBB213_570:                            ;   in Loop: Header=BB213_554 Depth=1
	s_or_b32 exec_lo, exec_lo, s17
.LBB213_571:                            ;   in Loop: Header=BB213_554 Depth=1
	s_or_b32 exec_lo, exec_lo, s1
	v_mov_b32_e32 v23, 0
	v_mov_b32_e32 v21, 0
	v_and_b32_sdwa v5, v53, v47 dst_sel:DWORD dst_unused:UNUSED_PAD src0_sel:WORD_1 src1_sel:DWORD
	v_mov_b32_e32 v24, 0
	v_mov_b32_e32 v22, 0
	s_mov_b32 s1, exec_lo
	v_cmpx_ne_u16_e32 0, v5
	s_cbranch_execz .LBB213_579
; %bb.572:                              ;   in Loop: Header=BB213_554 Depth=1
	v_bfrev_b32_e32 v21, 1
	v_mov_b32_e32 v22, 0
	s_mov_b32 s17, exec_lo
	v_cmpx_ne_u16_e32 0x80, v5
	s_cbranch_execz .LBB213_578
; %bb.573:                              ;   in Loop: Header=BB213_554 Depth=1
	v_mov_b32_e32 v21, 0x7f800001
	v_bfe_u32 v9, v53, 16, 7
	v_mov_b32_e32 v22, 0
	s_mov_b32 s18, exec_lo
	v_cmpx_ne_u32_e32 0x7f, v9
	s_cbranch_execz .LBB213_577
; %bb.574:                              ;   in Loop: Header=BB213_554 Depth=1
	v_and_b32_sdwa v5, v53, v48 dst_sel:DWORD dst_unused:UNUSED_PAD src0_sel:WORD_1 src1_sel:DWORD
	v_lshrrev_b32_e32 v7, 3, v9
	s_mov_b32 s21, exec_lo
	v_cmpx_gt_u32_e32 8, v9
; %bb.575:                              ;   in Loop: Header=BB213_554 Depth=1
	v_ffbh_u32_e32 v7, v5
	v_min_u32_e32 v7, 32, v7
	v_subrev_nc_u32_e32 v9, 28, v7
	v_sub_nc_u32_e32 v7, 29, v7
	v_lshlrev_b64 v[21:22], v9, v[5:6]
	v_and_b32_e32 v5, 7, v21
; %bb.576:                              ;   in Loop: Header=BB213_554 Depth=1
	s_or_b32 exec_lo, exec_lo, s21
	v_lshlrev_b32_sdwa v9, v50, v53 dst_sel:DWORD dst_unused:UNUSED_PAD src0_sel:DWORD src1_sel:WORD_1
	v_lshlrev_b32_e32 v5, 20, v5
	v_lshl_add_u32 v7, v7, 23, 0x3c000000
	v_and_b32_e32 v9, 0x80000000, v9
	v_or3_b32 v5, v5, v9, v7
	v_mov_b32_e32 v22, v6
	v_mov_b32_e32 v21, v5
.LBB213_577:                            ;   in Loop: Header=BB213_554 Depth=1
	s_or_b32 exec_lo, exec_lo, s18
.LBB213_578:                            ;   in Loop: Header=BB213_554 Depth=1
	s_or_b32 exec_lo, exec_lo, s17
.LBB213_579:                            ;   in Loop: Header=BB213_554 Depth=1
	s_or_b32 exec_lo, exec_lo, s1
	s_mov_b32 s1, exec_lo
	v_cmpx_lt_u32_e32 0xffffff, v53
	s_cbranch_execz .LBB213_587
; %bb.580:                              ;   in Loop: Header=BB213_554 Depth=1
	v_mov_b32_e32 v7, v6
	v_mov_b32_e32 v24, v8
	v_cmp_ne_u32_sdwa s18, v53, v45 src0_sel:BYTE_3 src1_sel:DWORD
	v_mov_b32_e32 v23, v7
	s_and_saveexec_b32 s17, s18
	s_cbranch_execz .LBB213_586
; %bb.581:                              ;   in Loop: Header=BB213_554 Depth=1
	v_mov_b32_e32 v9, v6
	v_mov_b32_e32 v24, v10
	v_bfe_u32 v54, v53, 24, 7
	s_mov_b32 s18, exec_lo
	v_mov_b32_e32 v23, v9
	v_cmpx_ne_u32_e32 0x7f, v54
	s_cbranch_execz .LBB213_585
; %bb.582:                              ;   in Loop: Header=BB213_554 Depth=1
	v_and_b32_sdwa v5, v53, v48 dst_sel:DWORD dst_unused:UNUSED_PAD src0_sel:BYTE_3 src1_sel:DWORD
	v_lshrrev_b32_e32 v7, 3, v54
	s_mov_b32 s21, exec_lo
	v_cmpx_gt_u32_e32 8, v54
; %bb.583:                              ;   in Loop: Header=BB213_554 Depth=1
	v_ffbh_u32_e32 v7, v5
	v_min_u32_e32 v7, 32, v7
	v_subrev_nc_u32_e32 v9, 28, v7
	v_sub_nc_u32_e32 v7, 29, v7
	v_lshlrev_b64 v[23:24], v9, v[5:6]
	v_and_b32_e32 v5, 7, v23
; %bb.584:                              ;   in Loop: Header=BB213_554 Depth=1
	s_or_b32 exec_lo, exec_lo, s21
	v_lshlrev_b32_sdwa v9, v50, v53 dst_sel:DWORD dst_unused:UNUSED_PAD src0_sel:DWORD src1_sel:BYTE_3
	v_lshlrev_b32_e32 v5, 20, v5
	v_lshl_add_u32 v7, v7, 23, 0x3c000000
	v_mov_b32_e32 v23, v6
	v_and_b32_e32 v9, 0x80000000, v9
	v_or3_b32 v24, v5, v9, v7
.LBB213_585:                            ;   in Loop: Header=BB213_554 Depth=1
	s_or_b32 exec_lo, exec_lo, s18
.LBB213_586:                            ;   in Loop: Header=BB213_554 Depth=1
	s_or_b32 exec_lo, exec_lo, s17
.LBB213_587:                            ;   in Loop: Header=BB213_554 Depth=1
	s_or_b32 exec_lo, exec_lo, s1
	v_add_nc_u32_e32 v57, v44, v127
	v_or_b32_e32 v5, v20, v18
	v_or_b32_e32 v7, v19, v17
	;; [unrolled: 1-line block ×4, first 2 shown]
	v_cmp_eq_u32_e32 vcc_lo, s33, v49
	s_waitcnt lgkmcnt(0)
	v_mul_f32_e32 v55, s13, v5
	v_mul_f32_e32 v56, s13, v7
	;; [unrolled: 1-line block ×4, first 2 shown]
	v_add_nc_u32_e32 v60, 1, v57
	v_add_nc_u32_e32 v59, 2, v57
	v_add_nc_u32_e32 v58, 3, v57
	s_and_saveexec_b32 s17, vcc_lo
	s_cbranch_execz .LBB213_589
; %bb.588:                              ;   in Loop: Header=BB213_554 Depth=1
	v_cmp_gt_i32_e64 s1, s31, v57
	v_cndmask_b32_e64 v56, 0, v56, s1
	v_cmp_gt_i32_e64 s1, s31, v60
	v_cndmask_b32_e64 v55, 0, v55, s1
	;; [unrolled: 2-line block ×4, first 2 shown]
.LBB213_589:                            ;   in Loop: Header=BB213_554 Depth=1
	s_or_b32 exec_lo, exec_lo, s17
	global_load_dword v61, v[15:16], off offset:128
	v_mov_b32_e32 v19, 0
	v_mov_b32_e32 v17, 0
	;; [unrolled: 1-line block ×4, first 2 shown]
	s_waitcnt vmcnt(0)
	v_cmp_ne_u16_sdwa s1, v61, v6 src0_sel:BYTE_0 src1_sel:DWORD
	s_and_saveexec_b32 s17, s1
	s_cbranch_execz .LBB213_597
; %bb.590:                              ;   in Loop: Header=BB213_554 Depth=1
	v_bfrev_b32_e32 v17, 1
	v_mov_b32_e32 v18, 0
	v_cmp_ne_u16_sdwa s1, v61, v45 src0_sel:BYTE_0 src1_sel:DWORD
	s_and_saveexec_b32 s18, s1
	s_cbranch_execz .LBB213_596
; %bb.591:                              ;   in Loop: Header=BB213_554 Depth=1
	v_mov_b32_e32 v17, 0x7f800001
	v_and_b32_e32 v9, 0x7f, v61
	v_mov_b32_e32 v18, 0
	s_mov_b32 s21, exec_lo
	v_cmpx_ne_u32_e32 0x7f, v9
	s_cbranch_execz .LBB213_595
; %bb.592:                              ;   in Loop: Header=BB213_554 Depth=1
	v_and_b32_e32 v5, 7, v61
	v_lshrrev_b32_e32 v7, 3, v9
	s_mov_b32 s22, exec_lo
	v_cmpx_gt_u32_e32 8, v9
; %bb.593:                              ;   in Loop: Header=BB213_554 Depth=1
	v_ffbh_u32_e32 v7, v5
	v_min_u32_e32 v7, 32, v7
	v_subrev_nc_u32_e32 v9, 28, v7
	v_sub_nc_u32_e32 v7, 29, v7
	v_lshlrev_b64 v[17:18], v9, v[5:6]
	v_and_b32_e32 v5, 7, v17
; %bb.594:                              ;   in Loop: Header=BB213_554 Depth=1
	s_or_b32 exec_lo, exec_lo, s22
	v_lshlrev_b32_e32 v9, 24, v61
	v_lshlrev_b32_e32 v5, 20, v5
	v_lshl_add_u32 v7, v7, 23, 0x3c000000
	v_and_b32_e32 v9, 0x80000000, v9
	v_or3_b32 v5, v5, v9, v7
	v_mov_b32_e32 v18, v6
	v_mov_b32_e32 v17, v5
.LBB213_595:                            ;   in Loop: Header=BB213_554 Depth=1
	s_or_b32 exec_lo, exec_lo, s21
.LBB213_596:                            ;   in Loop: Header=BB213_554 Depth=1
	s_or_b32 exec_lo, exec_lo, s18
.LBB213_597:                            ;   in Loop: Header=BB213_554 Depth=1
	s_or_b32 exec_lo, exec_lo, s17
	v_cmp_ne_u16_sdwa s1, v61, v6 src0_sel:BYTE_1 src1_sel:DWORD
	s_and_saveexec_b32 s17, s1
	s_cbranch_execz .LBB213_605
; %bb.598:                              ;   in Loop: Header=BB213_554 Depth=1
	v_mov_b32_e32 v7, v6
	v_mov_b32_e32 v20, v8
	v_cmp_ne_u16_sdwa s1, v61, v45 src0_sel:BYTE_1 src1_sel:DWORD
	v_mov_b32_e32 v19, v7
	s_and_saveexec_b32 s18, s1
	s_cbranch_execz .LBB213_604
; %bb.599:                              ;   in Loop: Header=BB213_554 Depth=1
	v_and_b32_sdwa v5, v46, v61 dst_sel:DWORD dst_unused:UNUSED_PAD src0_sel:DWORD src1_sel:BYTE_1
	v_mov_b32_e32 v9, v6
	v_mov_b32_e32 v20, v10
	s_mov_b32 s21, exec_lo
	v_and_b32_e32 v21, 0x7f, v5
	v_mov_b32_e32 v19, v9
	v_cmpx_ne_u32_e32 0x7f, v21
	s_cbranch_execz .LBB213_603
; %bb.600:                              ;   in Loop: Header=BB213_554 Depth=1
	v_and_b32_e32 v5, 7, v5
	v_lshrrev_b32_e32 v7, 3, v21
	s_mov_b32 s22, exec_lo
	v_cmpx_gt_u32_e32 8, v21
; %bb.601:                              ;   in Loop: Header=BB213_554 Depth=1
	v_ffbh_u32_e32 v7, v5
	v_min_u32_e32 v7, 32, v7
	v_subrev_nc_u32_e32 v9, 28, v7
	v_sub_nc_u32_e32 v7, 29, v7
	v_lshlrev_b64 v[19:20], v9, v[5:6]
	v_and_b32_e32 v5, 7, v19
; %bb.602:                              ;   in Loop: Header=BB213_554 Depth=1
	s_or_b32 exec_lo, exec_lo, s22
	v_lshlrev_b32_e32 v9, 16, v61
	v_lshlrev_b32_e32 v5, 20, v5
	v_lshl_add_u32 v7, v7, 23, 0x3c000000
	v_mov_b32_e32 v19, v6
	v_and_b32_e32 v9, 0x80000000, v9
	v_or3_b32 v20, v5, v9, v7
.LBB213_603:                            ;   in Loop: Header=BB213_554 Depth=1
	s_or_b32 exec_lo, exec_lo, s21
.LBB213_604:                            ;   in Loop: Header=BB213_554 Depth=1
	s_or_b32 exec_lo, exec_lo, s18
.LBB213_605:                            ;   in Loop: Header=BB213_554 Depth=1
	s_or_b32 exec_lo, exec_lo, s17
	v_mov_b32_e32 v23, 0
	v_mov_b32_e32 v21, 0
	v_and_b32_sdwa v5, v61, v47 dst_sel:DWORD dst_unused:UNUSED_PAD src0_sel:WORD_1 src1_sel:DWORD
	v_mov_b32_e32 v24, 0
	v_mov_b32_e32 v22, 0
	s_mov_b32 s17, exec_lo
	v_cmpx_ne_u16_e32 0, v5
	s_cbranch_execz .LBB213_613
; %bb.606:                              ;   in Loop: Header=BB213_554 Depth=1
	v_bfrev_b32_e32 v21, 1
	v_mov_b32_e32 v22, 0
	s_mov_b32 s18, exec_lo
	v_cmpx_ne_u16_e32 0x80, v5
	s_cbranch_execz .LBB213_612
; %bb.607:                              ;   in Loop: Header=BB213_554 Depth=1
	v_mov_b32_e32 v21, 0x7f800001
	v_bfe_u32 v9, v61, 16, 7
	v_mov_b32_e32 v22, 0
	s_mov_b32 s21, exec_lo
	v_cmpx_ne_u32_e32 0x7f, v9
	s_cbranch_execz .LBB213_611
; %bb.608:                              ;   in Loop: Header=BB213_554 Depth=1
	v_and_b32_sdwa v5, v61, v48 dst_sel:DWORD dst_unused:UNUSED_PAD src0_sel:WORD_1 src1_sel:DWORD
	v_lshrrev_b32_e32 v7, 3, v9
	s_mov_b32 s22, exec_lo
	v_cmpx_gt_u32_e32 8, v9
; %bb.609:                              ;   in Loop: Header=BB213_554 Depth=1
	v_ffbh_u32_e32 v7, v5
	v_min_u32_e32 v7, 32, v7
	v_subrev_nc_u32_e32 v9, 28, v7
	v_sub_nc_u32_e32 v7, 29, v7
	v_lshlrev_b64 v[21:22], v9, v[5:6]
	v_and_b32_e32 v5, 7, v21
; %bb.610:                              ;   in Loop: Header=BB213_554 Depth=1
	s_or_b32 exec_lo, exec_lo, s22
	v_lshlrev_b32_sdwa v9, v50, v61 dst_sel:DWORD dst_unused:UNUSED_PAD src0_sel:DWORD src1_sel:WORD_1
	v_lshlrev_b32_e32 v5, 20, v5
	v_lshl_add_u32 v7, v7, 23, 0x3c000000
	v_and_b32_e32 v9, 0x80000000, v9
	v_or3_b32 v5, v5, v9, v7
	v_mov_b32_e32 v22, v6
	v_mov_b32_e32 v21, v5
.LBB213_611:                            ;   in Loop: Header=BB213_554 Depth=1
	s_or_b32 exec_lo, exec_lo, s21
.LBB213_612:                            ;   in Loop: Header=BB213_554 Depth=1
	s_or_b32 exec_lo, exec_lo, s18
.LBB213_613:                            ;   in Loop: Header=BB213_554 Depth=1
	s_or_b32 exec_lo, exec_lo, s17
	s_mov_b32 s17, exec_lo
	v_cmpx_lt_u32_e32 0xffffff, v61
	s_cbranch_execz .LBB213_621
; %bb.614:                              ;   in Loop: Header=BB213_554 Depth=1
	v_mov_b32_e32 v7, v6
	v_mov_b32_e32 v24, v8
	v_cmp_ne_u32_sdwa s1, v61, v45 src0_sel:BYTE_3 src1_sel:DWORD
	v_mov_b32_e32 v23, v7
	s_and_saveexec_b32 s18, s1
	s_cbranch_execz .LBB213_620
; %bb.615:                              ;   in Loop: Header=BB213_554 Depth=1
	v_mov_b32_e32 v9, v6
	v_mov_b32_e32 v24, v10
	v_bfe_u32 v62, v61, 24, 7
	s_mov_b32 s21, exec_lo
	v_mov_b32_e32 v23, v9
	v_cmpx_ne_u32_e32 0x7f, v62
	s_cbranch_execz .LBB213_619
; %bb.616:                              ;   in Loop: Header=BB213_554 Depth=1
	v_and_b32_sdwa v5, v61, v48 dst_sel:DWORD dst_unused:UNUSED_PAD src0_sel:BYTE_3 src1_sel:DWORD
	v_lshrrev_b32_e32 v7, 3, v62
	s_mov_b32 s22, exec_lo
	v_cmpx_gt_u32_e32 8, v62
; %bb.617:                              ;   in Loop: Header=BB213_554 Depth=1
	v_ffbh_u32_e32 v7, v5
	v_min_u32_e32 v7, 32, v7
	v_subrev_nc_u32_e32 v9, 28, v7
	v_sub_nc_u32_e32 v7, 29, v7
	v_lshlrev_b64 v[23:24], v9, v[5:6]
	v_and_b32_e32 v5, 7, v23
; %bb.618:                              ;   in Loop: Header=BB213_554 Depth=1
	s_or_b32 exec_lo, exec_lo, s22
	v_lshlrev_b32_sdwa v9, v50, v61 dst_sel:DWORD dst_unused:UNUSED_PAD src0_sel:DWORD src1_sel:BYTE_3
	v_lshlrev_b32_e32 v5, 20, v5
	v_lshl_add_u32 v7, v7, 23, 0x3c000000
	v_mov_b32_e32 v23, v6
	v_and_b32_e32 v9, 0x80000000, v9
	v_or3_b32 v24, v5, v9, v7
.LBB213_619:                            ;   in Loop: Header=BB213_554 Depth=1
	s_or_b32 exec_lo, exec_lo, s21
.LBB213_620:                            ;   in Loop: Header=BB213_554 Depth=1
	s_or_b32 exec_lo, exec_lo, s18
.LBB213_621:                            ;   in Loop: Header=BB213_554 Depth=1
	s_or_b32 exec_lo, exec_lo, s17
	v_or_b32_e32 v5, v20, v18
	v_or_b32_e32 v7, v19, v17
	;; [unrolled: 1-line block ×4, first 2 shown]
	s_mov_b32 s17, s13
	v_mul_f32_e32 v63, s17, v5
	v_mul_f32_e32 v64, s13, v7
	;; [unrolled: 1-line block ×4, first 2 shown]
	s_and_saveexec_b32 s18, vcc_lo
	s_cbranch_execz .LBB213_623
; %bb.622:                              ;   in Loop: Header=BB213_554 Depth=1
	v_cmp_gt_i32_e64 s1, s31, v57
	v_cndmask_b32_e64 v64, 0, v64, s1
	v_cmp_gt_i32_e64 s1, s31, v60
	v_cndmask_b32_e64 v63, 0, v63, s1
	;; [unrolled: 2-line block ×4, first 2 shown]
.LBB213_623:                            ;   in Loop: Header=BB213_554 Depth=1
	s_or_b32 exec_lo, exec_lo, s18
	global_load_dword v65, v[15:16], off offset:256
	v_mov_b32_e32 v19, 0
	v_mov_b32_e32 v17, 0
	;; [unrolled: 1-line block ×4, first 2 shown]
	s_waitcnt vmcnt(0)
	v_cmp_ne_u16_sdwa s1, v65, v6 src0_sel:BYTE_0 src1_sel:DWORD
	s_and_saveexec_b32 s18, s1
	s_cbranch_execz .LBB213_631
; %bb.624:                              ;   in Loop: Header=BB213_554 Depth=1
	v_bfrev_b32_e32 v17, 1
	v_mov_b32_e32 v18, 0
	v_cmp_ne_u16_sdwa s1, v65, v45 src0_sel:BYTE_0 src1_sel:DWORD
	s_and_saveexec_b32 s21, s1
	s_cbranch_execz .LBB213_630
; %bb.625:                              ;   in Loop: Header=BB213_554 Depth=1
	v_mov_b32_e32 v17, 0x7f800001
	v_and_b32_e32 v9, 0x7f, v65
	v_mov_b32_e32 v18, 0
	s_mov_b32 s22, exec_lo
	v_cmpx_ne_u32_e32 0x7f, v9
	s_cbranch_execz .LBB213_629
; %bb.626:                              ;   in Loop: Header=BB213_554 Depth=1
	v_and_b32_e32 v5, 7, v65
	v_lshrrev_b32_e32 v7, 3, v9
	s_mov_b32 s24, exec_lo
	v_cmpx_gt_u32_e32 8, v9
; %bb.627:                              ;   in Loop: Header=BB213_554 Depth=1
	v_ffbh_u32_e32 v7, v5
	v_min_u32_e32 v7, 32, v7
	v_subrev_nc_u32_e32 v9, 28, v7
	v_sub_nc_u32_e32 v7, 29, v7
	v_lshlrev_b64 v[17:18], v9, v[5:6]
	v_and_b32_e32 v5, 7, v17
; %bb.628:                              ;   in Loop: Header=BB213_554 Depth=1
	s_or_b32 exec_lo, exec_lo, s24
	v_lshlrev_b32_e32 v9, 24, v65
	v_lshlrev_b32_e32 v5, 20, v5
	v_lshl_add_u32 v7, v7, 23, 0x3c000000
	v_and_b32_e32 v9, 0x80000000, v9
	v_or3_b32 v5, v5, v9, v7
	v_mov_b32_e32 v18, v6
	v_mov_b32_e32 v17, v5
.LBB213_629:                            ;   in Loop: Header=BB213_554 Depth=1
	s_or_b32 exec_lo, exec_lo, s22
.LBB213_630:                            ;   in Loop: Header=BB213_554 Depth=1
	s_or_b32 exec_lo, exec_lo, s21
.LBB213_631:                            ;   in Loop: Header=BB213_554 Depth=1
	s_or_b32 exec_lo, exec_lo, s18
	v_cmp_ne_u16_sdwa s1, v65, v6 src0_sel:BYTE_1 src1_sel:DWORD
	s_and_saveexec_b32 s18, s1
	s_cbranch_execz .LBB213_639
; %bb.632:                              ;   in Loop: Header=BB213_554 Depth=1
	v_mov_b32_e32 v7, v6
	v_mov_b32_e32 v20, v8
	v_cmp_ne_u16_sdwa s1, v65, v45 src0_sel:BYTE_1 src1_sel:DWORD
	v_mov_b32_e32 v19, v7
	s_and_saveexec_b32 s21, s1
	s_cbranch_execz .LBB213_638
; %bb.633:                              ;   in Loop: Header=BB213_554 Depth=1
	v_and_b32_sdwa v5, v46, v65 dst_sel:DWORD dst_unused:UNUSED_PAD src0_sel:DWORD src1_sel:BYTE_1
	v_mov_b32_e32 v9, v6
	v_mov_b32_e32 v20, v10
	s_mov_b32 s22, exec_lo
	v_and_b32_e32 v21, 0x7f, v5
	v_mov_b32_e32 v19, v9
	v_cmpx_ne_u32_e32 0x7f, v21
	s_cbranch_execz .LBB213_637
; %bb.634:                              ;   in Loop: Header=BB213_554 Depth=1
	v_and_b32_e32 v5, 7, v5
	v_lshrrev_b32_e32 v7, 3, v21
	s_mov_b32 s24, exec_lo
	v_cmpx_gt_u32_e32 8, v21
; %bb.635:                              ;   in Loop: Header=BB213_554 Depth=1
	v_ffbh_u32_e32 v7, v5
	v_min_u32_e32 v7, 32, v7
	v_subrev_nc_u32_e32 v9, 28, v7
	v_sub_nc_u32_e32 v7, 29, v7
	v_lshlrev_b64 v[19:20], v9, v[5:6]
	v_and_b32_e32 v5, 7, v19
; %bb.636:                              ;   in Loop: Header=BB213_554 Depth=1
	s_or_b32 exec_lo, exec_lo, s24
	v_lshlrev_b32_e32 v9, 16, v65
	v_lshlrev_b32_e32 v5, 20, v5
	v_lshl_add_u32 v7, v7, 23, 0x3c000000
	v_mov_b32_e32 v19, v6
	v_and_b32_e32 v9, 0x80000000, v9
	v_or3_b32 v20, v5, v9, v7
.LBB213_637:                            ;   in Loop: Header=BB213_554 Depth=1
	s_or_b32 exec_lo, exec_lo, s22
.LBB213_638:                            ;   in Loop: Header=BB213_554 Depth=1
	s_or_b32 exec_lo, exec_lo, s21
.LBB213_639:                            ;   in Loop: Header=BB213_554 Depth=1
	s_or_b32 exec_lo, exec_lo, s18
	v_mov_b32_e32 v23, 0
	v_mov_b32_e32 v21, 0
	v_and_b32_sdwa v5, v65, v47 dst_sel:DWORD dst_unused:UNUSED_PAD src0_sel:WORD_1 src1_sel:DWORD
	v_mov_b32_e32 v24, 0
	v_mov_b32_e32 v22, 0
	s_mov_b32 s18, exec_lo
	v_cmpx_ne_u16_e32 0, v5
	s_cbranch_execz .LBB213_647
; %bb.640:                              ;   in Loop: Header=BB213_554 Depth=1
	v_bfrev_b32_e32 v21, 1
	v_mov_b32_e32 v22, 0
	s_mov_b32 s21, exec_lo
	v_cmpx_ne_u16_e32 0x80, v5
	s_cbranch_execz .LBB213_646
; %bb.641:                              ;   in Loop: Header=BB213_554 Depth=1
	v_mov_b32_e32 v21, 0x7f800001
	v_bfe_u32 v9, v65, 16, 7
	v_mov_b32_e32 v22, 0
	s_mov_b32 s22, exec_lo
	v_cmpx_ne_u32_e32 0x7f, v9
	s_cbranch_execz .LBB213_645
; %bb.642:                              ;   in Loop: Header=BB213_554 Depth=1
	v_and_b32_sdwa v5, v65, v48 dst_sel:DWORD dst_unused:UNUSED_PAD src0_sel:WORD_1 src1_sel:DWORD
	v_lshrrev_b32_e32 v7, 3, v9
	s_mov_b32 s24, exec_lo
	v_cmpx_gt_u32_e32 8, v9
; %bb.643:                              ;   in Loop: Header=BB213_554 Depth=1
	v_ffbh_u32_e32 v7, v5
	v_min_u32_e32 v7, 32, v7
	v_subrev_nc_u32_e32 v9, 28, v7
	v_sub_nc_u32_e32 v7, 29, v7
	v_lshlrev_b64 v[21:22], v9, v[5:6]
	v_and_b32_e32 v5, 7, v21
; %bb.644:                              ;   in Loop: Header=BB213_554 Depth=1
	s_or_b32 exec_lo, exec_lo, s24
	v_lshlrev_b32_sdwa v9, v50, v65 dst_sel:DWORD dst_unused:UNUSED_PAD src0_sel:DWORD src1_sel:WORD_1
	v_lshlrev_b32_e32 v5, 20, v5
	v_lshl_add_u32 v7, v7, 23, 0x3c000000
	v_and_b32_e32 v9, 0x80000000, v9
	v_or3_b32 v5, v5, v9, v7
	v_mov_b32_e32 v22, v6
	v_mov_b32_e32 v21, v5
.LBB213_645:                            ;   in Loop: Header=BB213_554 Depth=1
	s_or_b32 exec_lo, exec_lo, s22
.LBB213_646:                            ;   in Loop: Header=BB213_554 Depth=1
	s_or_b32 exec_lo, exec_lo, s21
.LBB213_647:                            ;   in Loop: Header=BB213_554 Depth=1
	s_or_b32 exec_lo, exec_lo, s18
	s_mov_b32 s18, exec_lo
	v_cmpx_lt_u32_e32 0xffffff, v65
	s_cbranch_execz .LBB213_655
; %bb.648:                              ;   in Loop: Header=BB213_554 Depth=1
	v_mov_b32_e32 v7, v6
	v_mov_b32_e32 v24, v8
	v_cmp_ne_u32_sdwa s1, v65, v45 src0_sel:BYTE_3 src1_sel:DWORD
	v_mov_b32_e32 v23, v7
	s_and_saveexec_b32 s21, s1
	s_cbranch_execz .LBB213_654
; %bb.649:                              ;   in Loop: Header=BB213_554 Depth=1
	v_mov_b32_e32 v9, v6
	v_mov_b32_e32 v24, v10
	v_bfe_u32 v66, v65, 24, 7
	s_mov_b32 s22, exec_lo
	v_mov_b32_e32 v23, v9
	v_cmpx_ne_u32_e32 0x7f, v66
	s_cbranch_execz .LBB213_653
; %bb.650:                              ;   in Loop: Header=BB213_554 Depth=1
	v_and_b32_sdwa v5, v65, v48 dst_sel:DWORD dst_unused:UNUSED_PAD src0_sel:BYTE_3 src1_sel:DWORD
	v_lshrrev_b32_e32 v7, 3, v66
	s_mov_b32 s24, exec_lo
	v_cmpx_gt_u32_e32 8, v66
; %bb.651:                              ;   in Loop: Header=BB213_554 Depth=1
	v_ffbh_u32_e32 v7, v5
	v_min_u32_e32 v7, 32, v7
	v_subrev_nc_u32_e32 v9, 28, v7
	v_sub_nc_u32_e32 v7, 29, v7
	v_lshlrev_b64 v[23:24], v9, v[5:6]
	v_and_b32_e32 v5, 7, v23
; %bb.652:                              ;   in Loop: Header=BB213_554 Depth=1
	s_or_b32 exec_lo, exec_lo, s24
	v_lshlrev_b32_sdwa v9, v50, v65 dst_sel:DWORD dst_unused:UNUSED_PAD src0_sel:DWORD src1_sel:BYTE_3
	v_lshlrev_b32_e32 v5, 20, v5
	v_lshl_add_u32 v7, v7, 23, 0x3c000000
	v_mov_b32_e32 v23, v6
	v_and_b32_e32 v9, 0x80000000, v9
	v_or3_b32 v24, v5, v9, v7
.LBB213_653:                            ;   in Loop: Header=BB213_554 Depth=1
	s_or_b32 exec_lo, exec_lo, s22
.LBB213_654:                            ;   in Loop: Header=BB213_554 Depth=1
	s_or_b32 exec_lo, exec_lo, s21
.LBB213_655:                            ;   in Loop: Header=BB213_554 Depth=1
	s_or_b32 exec_lo, exec_lo, s18
	v_or_b32_e32 v5, v20, v18
	v_or_b32_e32 v7, v19, v17
	;; [unrolled: 1-line block ×4, first 2 shown]
	v_mul_f32_e32 v67, s17, v5
	v_mul_f32_e32 v68, s13, v7
	;; [unrolled: 1-line block ×4, first 2 shown]
	s_and_saveexec_b32 s18, vcc_lo
	s_cbranch_execz .LBB213_657
; %bb.656:                              ;   in Loop: Header=BB213_554 Depth=1
	v_cmp_gt_i32_e64 s1, s31, v57
	v_cndmask_b32_e64 v68, 0, v68, s1
	v_cmp_gt_i32_e64 s1, s31, v60
	v_cndmask_b32_e64 v67, 0, v67, s1
	;; [unrolled: 2-line block ×4, first 2 shown]
.LBB213_657:                            ;   in Loop: Header=BB213_554 Depth=1
	s_or_b32 exec_lo, exec_lo, s18
	global_load_dword v69, v[15:16], off offset:384
	v_mov_b32_e32 v19, 0
	v_mov_b32_e32 v17, 0
	;; [unrolled: 1-line block ×4, first 2 shown]
	s_waitcnt vmcnt(0)
	v_cmp_ne_u16_sdwa s1, v69, v6 src0_sel:BYTE_0 src1_sel:DWORD
	s_and_saveexec_b32 s18, s1
	s_cbranch_execz .LBB213_665
; %bb.658:                              ;   in Loop: Header=BB213_554 Depth=1
	v_bfrev_b32_e32 v17, 1
	v_mov_b32_e32 v18, 0
	v_cmp_ne_u16_sdwa s1, v69, v45 src0_sel:BYTE_0 src1_sel:DWORD
	s_and_saveexec_b32 s21, s1
	s_cbranch_execz .LBB213_664
; %bb.659:                              ;   in Loop: Header=BB213_554 Depth=1
	v_mov_b32_e32 v17, 0x7f800001
	v_and_b32_e32 v9, 0x7f, v69
	v_mov_b32_e32 v18, 0
	s_mov_b32 s22, exec_lo
	v_cmpx_ne_u32_e32 0x7f, v9
	s_cbranch_execz .LBB213_663
; %bb.660:                              ;   in Loop: Header=BB213_554 Depth=1
	v_and_b32_e32 v5, 7, v69
	v_lshrrev_b32_e32 v7, 3, v9
	s_mov_b32 s24, exec_lo
	v_cmpx_gt_u32_e32 8, v9
; %bb.661:                              ;   in Loop: Header=BB213_554 Depth=1
	v_ffbh_u32_e32 v7, v5
	v_min_u32_e32 v7, 32, v7
	v_subrev_nc_u32_e32 v9, 28, v7
	v_sub_nc_u32_e32 v7, 29, v7
	v_lshlrev_b64 v[17:18], v9, v[5:6]
	v_and_b32_e32 v5, 7, v17
; %bb.662:                              ;   in Loop: Header=BB213_554 Depth=1
	s_or_b32 exec_lo, exec_lo, s24
	v_lshlrev_b32_e32 v9, 24, v69
	v_lshlrev_b32_e32 v5, 20, v5
	v_lshl_add_u32 v7, v7, 23, 0x3c000000
	v_and_b32_e32 v9, 0x80000000, v9
	v_or3_b32 v5, v5, v9, v7
	v_mov_b32_e32 v18, v6
	v_mov_b32_e32 v17, v5
.LBB213_663:                            ;   in Loop: Header=BB213_554 Depth=1
	s_or_b32 exec_lo, exec_lo, s22
.LBB213_664:                            ;   in Loop: Header=BB213_554 Depth=1
	s_or_b32 exec_lo, exec_lo, s21
.LBB213_665:                            ;   in Loop: Header=BB213_554 Depth=1
	s_or_b32 exec_lo, exec_lo, s18
	v_cmp_ne_u16_sdwa s1, v69, v6 src0_sel:BYTE_1 src1_sel:DWORD
	s_and_saveexec_b32 s18, s1
	s_cbranch_execz .LBB213_673
; %bb.666:                              ;   in Loop: Header=BB213_554 Depth=1
	v_mov_b32_e32 v7, v6
	v_mov_b32_e32 v20, v8
	v_cmp_ne_u16_sdwa s1, v69, v45 src0_sel:BYTE_1 src1_sel:DWORD
	v_mov_b32_e32 v19, v7
	s_and_saveexec_b32 s21, s1
	s_cbranch_execz .LBB213_672
; %bb.667:                              ;   in Loop: Header=BB213_554 Depth=1
	v_and_b32_sdwa v5, v46, v69 dst_sel:DWORD dst_unused:UNUSED_PAD src0_sel:DWORD src1_sel:BYTE_1
	v_mov_b32_e32 v9, v6
	v_mov_b32_e32 v20, v10
	s_mov_b32 s22, exec_lo
	v_and_b32_e32 v21, 0x7f, v5
	v_mov_b32_e32 v19, v9
	v_cmpx_ne_u32_e32 0x7f, v21
	s_cbranch_execz .LBB213_671
; %bb.668:                              ;   in Loop: Header=BB213_554 Depth=1
	v_and_b32_e32 v5, 7, v5
	v_lshrrev_b32_e32 v7, 3, v21
	s_mov_b32 s24, exec_lo
	v_cmpx_gt_u32_e32 8, v21
; %bb.669:                              ;   in Loop: Header=BB213_554 Depth=1
	v_ffbh_u32_e32 v7, v5
	v_min_u32_e32 v7, 32, v7
	v_subrev_nc_u32_e32 v9, 28, v7
	v_sub_nc_u32_e32 v7, 29, v7
	v_lshlrev_b64 v[19:20], v9, v[5:6]
	v_and_b32_e32 v5, 7, v19
; %bb.670:                              ;   in Loop: Header=BB213_554 Depth=1
	s_or_b32 exec_lo, exec_lo, s24
	v_lshlrev_b32_e32 v9, 16, v69
	v_lshlrev_b32_e32 v5, 20, v5
	v_lshl_add_u32 v7, v7, 23, 0x3c000000
	v_mov_b32_e32 v19, v6
	v_and_b32_e32 v9, 0x80000000, v9
	v_or3_b32 v20, v5, v9, v7
.LBB213_671:                            ;   in Loop: Header=BB213_554 Depth=1
	s_or_b32 exec_lo, exec_lo, s22
.LBB213_672:                            ;   in Loop: Header=BB213_554 Depth=1
	s_or_b32 exec_lo, exec_lo, s21
.LBB213_673:                            ;   in Loop: Header=BB213_554 Depth=1
	s_or_b32 exec_lo, exec_lo, s18
	v_mov_b32_e32 v23, 0
	v_mov_b32_e32 v21, 0
	v_and_b32_sdwa v5, v69, v47 dst_sel:DWORD dst_unused:UNUSED_PAD src0_sel:WORD_1 src1_sel:DWORD
	v_mov_b32_e32 v24, 0
	v_mov_b32_e32 v22, 0
	s_mov_b32 s18, exec_lo
	v_cmpx_ne_u16_e32 0, v5
	s_cbranch_execz .LBB213_681
; %bb.674:                              ;   in Loop: Header=BB213_554 Depth=1
	v_bfrev_b32_e32 v21, 1
	v_mov_b32_e32 v22, 0
	s_mov_b32 s21, exec_lo
	v_cmpx_ne_u16_e32 0x80, v5
	s_cbranch_execz .LBB213_680
; %bb.675:                              ;   in Loop: Header=BB213_554 Depth=1
	v_mov_b32_e32 v21, 0x7f800001
	v_bfe_u32 v9, v69, 16, 7
	v_mov_b32_e32 v22, 0
	s_mov_b32 s22, exec_lo
	v_cmpx_ne_u32_e32 0x7f, v9
	s_cbranch_execz .LBB213_679
; %bb.676:                              ;   in Loop: Header=BB213_554 Depth=1
	v_and_b32_sdwa v5, v69, v48 dst_sel:DWORD dst_unused:UNUSED_PAD src0_sel:WORD_1 src1_sel:DWORD
	v_lshrrev_b32_e32 v7, 3, v9
	s_mov_b32 s24, exec_lo
	v_cmpx_gt_u32_e32 8, v9
; %bb.677:                              ;   in Loop: Header=BB213_554 Depth=1
	v_ffbh_u32_e32 v7, v5
	v_min_u32_e32 v7, 32, v7
	v_subrev_nc_u32_e32 v9, 28, v7
	v_sub_nc_u32_e32 v7, 29, v7
	v_lshlrev_b64 v[21:22], v9, v[5:6]
	v_and_b32_e32 v5, 7, v21
; %bb.678:                              ;   in Loop: Header=BB213_554 Depth=1
	s_or_b32 exec_lo, exec_lo, s24
	v_lshlrev_b32_sdwa v9, v50, v69 dst_sel:DWORD dst_unused:UNUSED_PAD src0_sel:DWORD src1_sel:WORD_1
	v_lshlrev_b32_e32 v5, 20, v5
	v_lshl_add_u32 v7, v7, 23, 0x3c000000
	v_and_b32_e32 v9, 0x80000000, v9
	v_or3_b32 v5, v5, v9, v7
	v_mov_b32_e32 v22, v6
	v_mov_b32_e32 v21, v5
.LBB213_679:                            ;   in Loop: Header=BB213_554 Depth=1
	s_or_b32 exec_lo, exec_lo, s22
.LBB213_680:                            ;   in Loop: Header=BB213_554 Depth=1
	s_or_b32 exec_lo, exec_lo, s21
.LBB213_681:                            ;   in Loop: Header=BB213_554 Depth=1
	s_or_b32 exec_lo, exec_lo, s18
	s_mov_b32 s18, exec_lo
	v_cmpx_lt_u32_e32 0xffffff, v69
	s_cbranch_execz .LBB213_689
; %bb.682:                              ;   in Loop: Header=BB213_554 Depth=1
	v_mov_b32_e32 v7, v6
	v_mov_b32_e32 v24, v8
	v_cmp_ne_u32_sdwa s1, v69, v45 src0_sel:BYTE_3 src1_sel:DWORD
	v_mov_b32_e32 v23, v7
	s_and_saveexec_b32 s21, s1
	s_cbranch_execz .LBB213_688
; %bb.683:                              ;   in Loop: Header=BB213_554 Depth=1
	v_mov_b32_e32 v9, v6
	v_mov_b32_e32 v24, v10
	v_bfe_u32 v70, v69, 24, 7
	s_mov_b32 s22, exec_lo
	v_mov_b32_e32 v23, v9
	v_cmpx_ne_u32_e32 0x7f, v70
	s_cbranch_execz .LBB213_687
; %bb.684:                              ;   in Loop: Header=BB213_554 Depth=1
	v_and_b32_sdwa v5, v69, v48 dst_sel:DWORD dst_unused:UNUSED_PAD src0_sel:BYTE_3 src1_sel:DWORD
	v_lshrrev_b32_e32 v7, 3, v70
	s_mov_b32 s24, exec_lo
	v_cmpx_gt_u32_e32 8, v70
; %bb.685:                              ;   in Loop: Header=BB213_554 Depth=1
	v_ffbh_u32_e32 v7, v5
	v_min_u32_e32 v7, 32, v7
	v_subrev_nc_u32_e32 v9, 28, v7
	v_sub_nc_u32_e32 v7, 29, v7
	v_lshlrev_b64 v[23:24], v9, v[5:6]
	v_and_b32_e32 v5, 7, v23
; %bb.686:                              ;   in Loop: Header=BB213_554 Depth=1
	s_or_b32 exec_lo, exec_lo, s24
	v_lshlrev_b32_sdwa v9, v50, v69 dst_sel:DWORD dst_unused:UNUSED_PAD src0_sel:DWORD src1_sel:BYTE_3
	v_lshlrev_b32_e32 v5, 20, v5
	v_lshl_add_u32 v7, v7, 23, 0x3c000000
	v_mov_b32_e32 v23, v6
	v_and_b32_e32 v9, 0x80000000, v9
	v_or3_b32 v24, v5, v9, v7
.LBB213_687:                            ;   in Loop: Header=BB213_554 Depth=1
	s_or_b32 exec_lo, exec_lo, s22
.LBB213_688:                            ;   in Loop: Header=BB213_554 Depth=1
	s_or_b32 exec_lo, exec_lo, s21
.LBB213_689:                            ;   in Loop: Header=BB213_554 Depth=1
	s_or_b32 exec_lo, exec_lo, s18
	v_or_b32_e32 v5, v20, v18
	v_or_b32_e32 v7, v19, v17
	;; [unrolled: 1-line block ×4, first 2 shown]
	v_mul_f32_e32 v71, s17, v5
	v_mul_f32_e32 v72, s13, v7
	;; [unrolled: 1-line block ×4, first 2 shown]
	s_and_saveexec_b32 s18, vcc_lo
	s_cbranch_execz .LBB213_691
; %bb.690:                              ;   in Loop: Header=BB213_554 Depth=1
	v_cmp_gt_i32_e64 s1, s31, v57
	v_cndmask_b32_e64 v72, 0, v72, s1
	v_cmp_gt_i32_e64 s1, s31, v60
	v_cndmask_b32_e64 v71, 0, v71, s1
	;; [unrolled: 2-line block ×4, first 2 shown]
.LBB213_691:                            ;   in Loop: Header=BB213_554 Depth=1
	s_or_b32 exec_lo, exec_lo, s18
	global_load_dword v73, v[15:16], off offset:512
	v_mov_b32_e32 v19, 0
	v_mov_b32_e32 v17, 0
	;; [unrolled: 1-line block ×4, first 2 shown]
	s_waitcnt vmcnt(0)
	v_cmp_ne_u16_sdwa s1, v73, v6 src0_sel:BYTE_0 src1_sel:DWORD
	s_and_saveexec_b32 s18, s1
	s_cbranch_execz .LBB213_699
; %bb.692:                              ;   in Loop: Header=BB213_554 Depth=1
	v_bfrev_b32_e32 v17, 1
	v_mov_b32_e32 v18, 0
	v_cmp_ne_u16_sdwa s1, v73, v45 src0_sel:BYTE_0 src1_sel:DWORD
	s_and_saveexec_b32 s21, s1
	s_cbranch_execz .LBB213_698
; %bb.693:                              ;   in Loop: Header=BB213_554 Depth=1
	v_mov_b32_e32 v17, 0x7f800001
	v_and_b32_e32 v9, 0x7f, v73
	v_mov_b32_e32 v18, 0
	s_mov_b32 s22, exec_lo
	v_cmpx_ne_u32_e32 0x7f, v9
	s_cbranch_execz .LBB213_697
; %bb.694:                              ;   in Loop: Header=BB213_554 Depth=1
	v_and_b32_e32 v5, 7, v73
	v_lshrrev_b32_e32 v7, 3, v9
	s_mov_b32 s24, exec_lo
	v_cmpx_gt_u32_e32 8, v9
; %bb.695:                              ;   in Loop: Header=BB213_554 Depth=1
	v_ffbh_u32_e32 v7, v5
	v_min_u32_e32 v7, 32, v7
	v_subrev_nc_u32_e32 v9, 28, v7
	v_sub_nc_u32_e32 v7, 29, v7
	v_lshlrev_b64 v[17:18], v9, v[5:6]
	v_and_b32_e32 v5, 7, v17
; %bb.696:                              ;   in Loop: Header=BB213_554 Depth=1
	s_or_b32 exec_lo, exec_lo, s24
	v_lshlrev_b32_e32 v9, 24, v73
	v_lshlrev_b32_e32 v5, 20, v5
	v_lshl_add_u32 v7, v7, 23, 0x3c000000
	v_and_b32_e32 v9, 0x80000000, v9
	v_or3_b32 v5, v5, v9, v7
	v_mov_b32_e32 v18, v6
	v_mov_b32_e32 v17, v5
.LBB213_697:                            ;   in Loop: Header=BB213_554 Depth=1
	s_or_b32 exec_lo, exec_lo, s22
.LBB213_698:                            ;   in Loop: Header=BB213_554 Depth=1
	s_or_b32 exec_lo, exec_lo, s21
.LBB213_699:                            ;   in Loop: Header=BB213_554 Depth=1
	s_or_b32 exec_lo, exec_lo, s18
	v_cmp_ne_u16_sdwa s1, v73, v6 src0_sel:BYTE_1 src1_sel:DWORD
	s_and_saveexec_b32 s18, s1
	s_cbranch_execz .LBB213_707
; %bb.700:                              ;   in Loop: Header=BB213_554 Depth=1
	v_mov_b32_e32 v7, v6
	v_mov_b32_e32 v20, v8
	v_cmp_ne_u16_sdwa s1, v73, v45 src0_sel:BYTE_1 src1_sel:DWORD
	v_mov_b32_e32 v19, v7
	s_and_saveexec_b32 s21, s1
	s_cbranch_execz .LBB213_706
; %bb.701:                              ;   in Loop: Header=BB213_554 Depth=1
	v_and_b32_sdwa v5, v46, v73 dst_sel:DWORD dst_unused:UNUSED_PAD src0_sel:DWORD src1_sel:BYTE_1
	v_mov_b32_e32 v9, v6
	v_mov_b32_e32 v20, v10
	s_mov_b32 s22, exec_lo
	v_and_b32_e32 v21, 0x7f, v5
	v_mov_b32_e32 v19, v9
	v_cmpx_ne_u32_e32 0x7f, v21
	s_cbranch_execz .LBB213_705
; %bb.702:                              ;   in Loop: Header=BB213_554 Depth=1
	v_and_b32_e32 v5, 7, v5
	v_lshrrev_b32_e32 v7, 3, v21
	s_mov_b32 s24, exec_lo
	v_cmpx_gt_u32_e32 8, v21
; %bb.703:                              ;   in Loop: Header=BB213_554 Depth=1
	v_ffbh_u32_e32 v7, v5
	v_min_u32_e32 v7, 32, v7
	v_subrev_nc_u32_e32 v9, 28, v7
	v_sub_nc_u32_e32 v7, 29, v7
	v_lshlrev_b64 v[19:20], v9, v[5:6]
	v_and_b32_e32 v5, 7, v19
; %bb.704:                              ;   in Loop: Header=BB213_554 Depth=1
	s_or_b32 exec_lo, exec_lo, s24
	v_lshlrev_b32_e32 v9, 16, v73
	v_lshlrev_b32_e32 v5, 20, v5
	v_lshl_add_u32 v7, v7, 23, 0x3c000000
	v_mov_b32_e32 v19, v6
	v_and_b32_e32 v9, 0x80000000, v9
	v_or3_b32 v20, v5, v9, v7
.LBB213_705:                            ;   in Loop: Header=BB213_554 Depth=1
	s_or_b32 exec_lo, exec_lo, s22
.LBB213_706:                            ;   in Loop: Header=BB213_554 Depth=1
	s_or_b32 exec_lo, exec_lo, s21
.LBB213_707:                            ;   in Loop: Header=BB213_554 Depth=1
	s_or_b32 exec_lo, exec_lo, s18
	v_mov_b32_e32 v23, 0
	v_mov_b32_e32 v21, 0
	v_and_b32_sdwa v5, v73, v47 dst_sel:DWORD dst_unused:UNUSED_PAD src0_sel:WORD_1 src1_sel:DWORD
	v_mov_b32_e32 v24, 0
	v_mov_b32_e32 v22, 0
	s_mov_b32 s18, exec_lo
	v_cmpx_ne_u16_e32 0, v5
	s_cbranch_execz .LBB213_715
; %bb.708:                              ;   in Loop: Header=BB213_554 Depth=1
	v_bfrev_b32_e32 v21, 1
	v_mov_b32_e32 v22, 0
	s_mov_b32 s21, exec_lo
	v_cmpx_ne_u16_e32 0x80, v5
	s_cbranch_execz .LBB213_714
; %bb.709:                              ;   in Loop: Header=BB213_554 Depth=1
	v_mov_b32_e32 v21, 0x7f800001
	v_bfe_u32 v9, v73, 16, 7
	v_mov_b32_e32 v22, 0
	s_mov_b32 s22, exec_lo
	v_cmpx_ne_u32_e32 0x7f, v9
	s_cbranch_execz .LBB213_713
; %bb.710:                              ;   in Loop: Header=BB213_554 Depth=1
	v_and_b32_sdwa v5, v73, v48 dst_sel:DWORD dst_unused:UNUSED_PAD src0_sel:WORD_1 src1_sel:DWORD
	v_lshrrev_b32_e32 v7, 3, v9
	s_mov_b32 s24, exec_lo
	v_cmpx_gt_u32_e32 8, v9
; %bb.711:                              ;   in Loop: Header=BB213_554 Depth=1
	v_ffbh_u32_e32 v7, v5
	v_min_u32_e32 v7, 32, v7
	v_subrev_nc_u32_e32 v9, 28, v7
	v_sub_nc_u32_e32 v7, 29, v7
	v_lshlrev_b64 v[21:22], v9, v[5:6]
	v_and_b32_e32 v5, 7, v21
; %bb.712:                              ;   in Loop: Header=BB213_554 Depth=1
	s_or_b32 exec_lo, exec_lo, s24
	v_lshlrev_b32_sdwa v9, v50, v73 dst_sel:DWORD dst_unused:UNUSED_PAD src0_sel:DWORD src1_sel:WORD_1
	v_lshlrev_b32_e32 v5, 20, v5
	v_lshl_add_u32 v7, v7, 23, 0x3c000000
	v_and_b32_e32 v9, 0x80000000, v9
	v_or3_b32 v5, v5, v9, v7
	v_mov_b32_e32 v22, v6
	v_mov_b32_e32 v21, v5
.LBB213_713:                            ;   in Loop: Header=BB213_554 Depth=1
	s_or_b32 exec_lo, exec_lo, s22
.LBB213_714:                            ;   in Loop: Header=BB213_554 Depth=1
	s_or_b32 exec_lo, exec_lo, s21
.LBB213_715:                            ;   in Loop: Header=BB213_554 Depth=1
	s_or_b32 exec_lo, exec_lo, s18
	s_mov_b32 s18, exec_lo
	v_cmpx_lt_u32_e32 0xffffff, v73
	s_cbranch_execz .LBB213_723
; %bb.716:                              ;   in Loop: Header=BB213_554 Depth=1
	v_mov_b32_e32 v7, v6
	v_mov_b32_e32 v24, v8
	v_cmp_ne_u32_sdwa s1, v73, v45 src0_sel:BYTE_3 src1_sel:DWORD
	v_mov_b32_e32 v23, v7
	s_and_saveexec_b32 s21, s1
	s_cbranch_execz .LBB213_722
; %bb.717:                              ;   in Loop: Header=BB213_554 Depth=1
	v_mov_b32_e32 v9, v6
	v_mov_b32_e32 v24, v10
	v_bfe_u32 v74, v73, 24, 7
	s_mov_b32 s22, exec_lo
	v_mov_b32_e32 v23, v9
	v_cmpx_ne_u32_e32 0x7f, v74
	s_cbranch_execz .LBB213_721
; %bb.718:                              ;   in Loop: Header=BB213_554 Depth=1
	v_and_b32_sdwa v5, v73, v48 dst_sel:DWORD dst_unused:UNUSED_PAD src0_sel:BYTE_3 src1_sel:DWORD
	v_lshrrev_b32_e32 v7, 3, v74
	s_mov_b32 s24, exec_lo
	v_cmpx_gt_u32_e32 8, v74
; %bb.719:                              ;   in Loop: Header=BB213_554 Depth=1
	v_ffbh_u32_e32 v7, v5
	v_min_u32_e32 v7, 32, v7
	v_subrev_nc_u32_e32 v9, 28, v7
	v_sub_nc_u32_e32 v7, 29, v7
	v_lshlrev_b64 v[23:24], v9, v[5:6]
	v_and_b32_e32 v5, 7, v23
; %bb.720:                              ;   in Loop: Header=BB213_554 Depth=1
	s_or_b32 exec_lo, exec_lo, s24
	v_lshlrev_b32_sdwa v9, v50, v73 dst_sel:DWORD dst_unused:UNUSED_PAD src0_sel:DWORD src1_sel:BYTE_3
	v_lshlrev_b32_e32 v5, 20, v5
	v_lshl_add_u32 v7, v7, 23, 0x3c000000
	v_mov_b32_e32 v23, v6
	v_and_b32_e32 v9, 0x80000000, v9
	v_or3_b32 v24, v5, v9, v7
.LBB213_721:                            ;   in Loop: Header=BB213_554 Depth=1
	s_or_b32 exec_lo, exec_lo, s22
.LBB213_722:                            ;   in Loop: Header=BB213_554 Depth=1
	s_or_b32 exec_lo, exec_lo, s21
.LBB213_723:                            ;   in Loop: Header=BB213_554 Depth=1
	s_or_b32 exec_lo, exec_lo, s18
	v_or_b32_e32 v5, v20, v18
	v_or_b32_e32 v7, v19, v17
	;; [unrolled: 1-line block ×4, first 2 shown]
	v_mul_f32_e32 v75, s17, v5
	v_mul_f32_e32 v76, s13, v7
	;; [unrolled: 1-line block ×4, first 2 shown]
	s_and_saveexec_b32 s18, vcc_lo
	s_cbranch_execz .LBB213_725
; %bb.724:                              ;   in Loop: Header=BB213_554 Depth=1
	v_cmp_gt_i32_e64 s1, s31, v57
	v_cndmask_b32_e64 v76, 0, v76, s1
	v_cmp_gt_i32_e64 s1, s31, v60
	v_cndmask_b32_e64 v75, 0, v75, s1
	;; [unrolled: 2-line block ×4, first 2 shown]
.LBB213_725:                            ;   in Loop: Header=BB213_554 Depth=1
	s_or_b32 exec_lo, exec_lo, s18
	global_load_dword v77, v[15:16], off offset:640
	v_mov_b32_e32 v19, 0
	v_mov_b32_e32 v17, 0
	;; [unrolled: 1-line block ×4, first 2 shown]
	s_waitcnt vmcnt(0)
	v_cmp_ne_u16_sdwa s1, v77, v6 src0_sel:BYTE_0 src1_sel:DWORD
	s_and_saveexec_b32 s18, s1
	s_cbranch_execz .LBB213_733
; %bb.726:                              ;   in Loop: Header=BB213_554 Depth=1
	v_bfrev_b32_e32 v17, 1
	v_mov_b32_e32 v18, 0
	v_cmp_ne_u16_sdwa s1, v77, v45 src0_sel:BYTE_0 src1_sel:DWORD
	s_and_saveexec_b32 s21, s1
	s_cbranch_execz .LBB213_732
; %bb.727:                              ;   in Loop: Header=BB213_554 Depth=1
	v_mov_b32_e32 v17, 0x7f800001
	v_and_b32_e32 v9, 0x7f, v77
	v_mov_b32_e32 v18, 0
	s_mov_b32 s22, exec_lo
	v_cmpx_ne_u32_e32 0x7f, v9
	s_cbranch_execz .LBB213_731
; %bb.728:                              ;   in Loop: Header=BB213_554 Depth=1
	v_and_b32_e32 v5, 7, v77
	v_lshrrev_b32_e32 v7, 3, v9
	s_mov_b32 s24, exec_lo
	v_cmpx_gt_u32_e32 8, v9
; %bb.729:                              ;   in Loop: Header=BB213_554 Depth=1
	v_ffbh_u32_e32 v7, v5
	v_min_u32_e32 v7, 32, v7
	v_subrev_nc_u32_e32 v9, 28, v7
	v_sub_nc_u32_e32 v7, 29, v7
	v_lshlrev_b64 v[17:18], v9, v[5:6]
	v_and_b32_e32 v5, 7, v17
; %bb.730:                              ;   in Loop: Header=BB213_554 Depth=1
	s_or_b32 exec_lo, exec_lo, s24
	v_lshlrev_b32_e32 v9, 24, v77
	v_lshlrev_b32_e32 v5, 20, v5
	v_lshl_add_u32 v7, v7, 23, 0x3c000000
	v_and_b32_e32 v9, 0x80000000, v9
	v_or3_b32 v5, v5, v9, v7
	v_mov_b32_e32 v18, v6
	v_mov_b32_e32 v17, v5
.LBB213_731:                            ;   in Loop: Header=BB213_554 Depth=1
	s_or_b32 exec_lo, exec_lo, s22
.LBB213_732:                            ;   in Loop: Header=BB213_554 Depth=1
	s_or_b32 exec_lo, exec_lo, s21
.LBB213_733:                            ;   in Loop: Header=BB213_554 Depth=1
	s_or_b32 exec_lo, exec_lo, s18
	v_cmp_ne_u16_sdwa s1, v77, v6 src0_sel:BYTE_1 src1_sel:DWORD
	s_and_saveexec_b32 s18, s1
	s_cbranch_execz .LBB213_741
; %bb.734:                              ;   in Loop: Header=BB213_554 Depth=1
	v_mov_b32_e32 v7, v6
	v_mov_b32_e32 v20, v8
	v_cmp_ne_u16_sdwa s1, v77, v45 src0_sel:BYTE_1 src1_sel:DWORD
	v_mov_b32_e32 v19, v7
	s_and_saveexec_b32 s21, s1
	s_cbranch_execz .LBB213_740
; %bb.735:                              ;   in Loop: Header=BB213_554 Depth=1
	v_and_b32_sdwa v5, v46, v77 dst_sel:DWORD dst_unused:UNUSED_PAD src0_sel:DWORD src1_sel:BYTE_1
	v_mov_b32_e32 v9, v6
	v_mov_b32_e32 v20, v10
	s_mov_b32 s22, exec_lo
	v_and_b32_e32 v21, 0x7f, v5
	v_mov_b32_e32 v19, v9
	v_cmpx_ne_u32_e32 0x7f, v21
	s_cbranch_execz .LBB213_739
; %bb.736:                              ;   in Loop: Header=BB213_554 Depth=1
	v_and_b32_e32 v5, 7, v5
	v_lshrrev_b32_e32 v7, 3, v21
	s_mov_b32 s24, exec_lo
	v_cmpx_gt_u32_e32 8, v21
; %bb.737:                              ;   in Loop: Header=BB213_554 Depth=1
	v_ffbh_u32_e32 v7, v5
	v_min_u32_e32 v7, 32, v7
	v_subrev_nc_u32_e32 v9, 28, v7
	v_sub_nc_u32_e32 v7, 29, v7
	v_lshlrev_b64 v[19:20], v9, v[5:6]
	v_and_b32_e32 v5, 7, v19
; %bb.738:                              ;   in Loop: Header=BB213_554 Depth=1
	s_or_b32 exec_lo, exec_lo, s24
	v_lshlrev_b32_e32 v9, 16, v77
	v_lshlrev_b32_e32 v5, 20, v5
	v_lshl_add_u32 v7, v7, 23, 0x3c000000
	v_mov_b32_e32 v19, v6
	v_and_b32_e32 v9, 0x80000000, v9
	v_or3_b32 v20, v5, v9, v7
.LBB213_739:                            ;   in Loop: Header=BB213_554 Depth=1
	s_or_b32 exec_lo, exec_lo, s22
.LBB213_740:                            ;   in Loop: Header=BB213_554 Depth=1
	s_or_b32 exec_lo, exec_lo, s21
.LBB213_741:                            ;   in Loop: Header=BB213_554 Depth=1
	s_or_b32 exec_lo, exec_lo, s18
	v_mov_b32_e32 v23, 0
	v_mov_b32_e32 v21, 0
	v_and_b32_sdwa v5, v77, v47 dst_sel:DWORD dst_unused:UNUSED_PAD src0_sel:WORD_1 src1_sel:DWORD
	v_mov_b32_e32 v24, 0
	v_mov_b32_e32 v22, 0
	s_mov_b32 s18, exec_lo
	v_cmpx_ne_u16_e32 0, v5
	s_cbranch_execz .LBB213_749
; %bb.742:                              ;   in Loop: Header=BB213_554 Depth=1
	v_bfrev_b32_e32 v21, 1
	v_mov_b32_e32 v22, 0
	s_mov_b32 s21, exec_lo
	v_cmpx_ne_u16_e32 0x80, v5
	s_cbranch_execz .LBB213_748
; %bb.743:                              ;   in Loop: Header=BB213_554 Depth=1
	v_mov_b32_e32 v21, 0x7f800001
	v_bfe_u32 v9, v77, 16, 7
	v_mov_b32_e32 v22, 0
	s_mov_b32 s22, exec_lo
	v_cmpx_ne_u32_e32 0x7f, v9
	s_cbranch_execz .LBB213_747
; %bb.744:                              ;   in Loop: Header=BB213_554 Depth=1
	v_and_b32_sdwa v5, v77, v48 dst_sel:DWORD dst_unused:UNUSED_PAD src0_sel:WORD_1 src1_sel:DWORD
	v_lshrrev_b32_e32 v7, 3, v9
	s_mov_b32 s24, exec_lo
	v_cmpx_gt_u32_e32 8, v9
; %bb.745:                              ;   in Loop: Header=BB213_554 Depth=1
	v_ffbh_u32_e32 v7, v5
	v_min_u32_e32 v7, 32, v7
	v_subrev_nc_u32_e32 v9, 28, v7
	v_sub_nc_u32_e32 v7, 29, v7
	v_lshlrev_b64 v[21:22], v9, v[5:6]
	v_and_b32_e32 v5, 7, v21
; %bb.746:                              ;   in Loop: Header=BB213_554 Depth=1
	s_or_b32 exec_lo, exec_lo, s24
	v_lshlrev_b32_sdwa v9, v50, v77 dst_sel:DWORD dst_unused:UNUSED_PAD src0_sel:DWORD src1_sel:WORD_1
	v_lshlrev_b32_e32 v5, 20, v5
	v_lshl_add_u32 v7, v7, 23, 0x3c000000
	v_and_b32_e32 v9, 0x80000000, v9
	v_or3_b32 v5, v5, v9, v7
	v_mov_b32_e32 v22, v6
	v_mov_b32_e32 v21, v5
.LBB213_747:                            ;   in Loop: Header=BB213_554 Depth=1
	s_or_b32 exec_lo, exec_lo, s22
.LBB213_748:                            ;   in Loop: Header=BB213_554 Depth=1
	s_or_b32 exec_lo, exec_lo, s21
.LBB213_749:                            ;   in Loop: Header=BB213_554 Depth=1
	s_or_b32 exec_lo, exec_lo, s18
	s_mov_b32 s18, exec_lo
	v_cmpx_lt_u32_e32 0xffffff, v77
	s_cbranch_execz .LBB213_757
; %bb.750:                              ;   in Loop: Header=BB213_554 Depth=1
	v_mov_b32_e32 v7, v6
	v_mov_b32_e32 v24, v8
	v_cmp_ne_u32_sdwa s1, v77, v45 src0_sel:BYTE_3 src1_sel:DWORD
	v_mov_b32_e32 v23, v7
	s_and_saveexec_b32 s21, s1
	s_cbranch_execz .LBB213_756
; %bb.751:                              ;   in Loop: Header=BB213_554 Depth=1
	v_mov_b32_e32 v9, v6
	v_mov_b32_e32 v24, v10
	v_bfe_u32 v78, v77, 24, 7
	s_mov_b32 s22, exec_lo
	v_mov_b32_e32 v23, v9
	v_cmpx_ne_u32_e32 0x7f, v78
	s_cbranch_execz .LBB213_755
; %bb.752:                              ;   in Loop: Header=BB213_554 Depth=1
	v_and_b32_sdwa v5, v77, v48 dst_sel:DWORD dst_unused:UNUSED_PAD src0_sel:BYTE_3 src1_sel:DWORD
	v_lshrrev_b32_e32 v7, 3, v78
	s_mov_b32 s24, exec_lo
	v_cmpx_gt_u32_e32 8, v78
; %bb.753:                              ;   in Loop: Header=BB213_554 Depth=1
	v_ffbh_u32_e32 v7, v5
	v_min_u32_e32 v7, 32, v7
	v_subrev_nc_u32_e32 v9, 28, v7
	v_sub_nc_u32_e32 v7, 29, v7
	v_lshlrev_b64 v[23:24], v9, v[5:6]
	v_and_b32_e32 v5, 7, v23
; %bb.754:                              ;   in Loop: Header=BB213_554 Depth=1
	s_or_b32 exec_lo, exec_lo, s24
	v_lshlrev_b32_sdwa v9, v50, v77 dst_sel:DWORD dst_unused:UNUSED_PAD src0_sel:DWORD src1_sel:BYTE_3
	v_lshlrev_b32_e32 v5, 20, v5
	v_lshl_add_u32 v7, v7, 23, 0x3c000000
	v_mov_b32_e32 v23, v6
	v_and_b32_e32 v9, 0x80000000, v9
	v_or3_b32 v24, v5, v9, v7
.LBB213_755:                            ;   in Loop: Header=BB213_554 Depth=1
	s_or_b32 exec_lo, exec_lo, s22
.LBB213_756:                            ;   in Loop: Header=BB213_554 Depth=1
	s_or_b32 exec_lo, exec_lo, s21
.LBB213_757:                            ;   in Loop: Header=BB213_554 Depth=1
	s_or_b32 exec_lo, exec_lo, s18
	v_or_b32_e32 v5, v20, v18
	v_or_b32_e32 v7, v19, v17
	;; [unrolled: 1-line block ×4, first 2 shown]
	v_mul_f32_e32 v79, s17, v5
	v_mul_f32_e32 v80, s13, v7
	;; [unrolled: 1-line block ×4, first 2 shown]
	s_and_saveexec_b32 s18, vcc_lo
	s_cbranch_execz .LBB213_759
; %bb.758:                              ;   in Loop: Header=BB213_554 Depth=1
	v_cmp_gt_i32_e64 s1, s31, v57
	v_cndmask_b32_e64 v80, 0, v80, s1
	v_cmp_gt_i32_e64 s1, s31, v60
	v_cndmask_b32_e64 v79, 0, v79, s1
	;; [unrolled: 2-line block ×4, first 2 shown]
.LBB213_759:                            ;   in Loop: Header=BB213_554 Depth=1
	s_or_b32 exec_lo, exec_lo, s18
	global_load_dword v81, v[15:16], off offset:768
	v_mov_b32_e32 v19, 0
	v_mov_b32_e32 v17, 0
	;; [unrolled: 1-line block ×4, first 2 shown]
	s_waitcnt vmcnt(0)
	v_cmp_ne_u16_sdwa s1, v81, v6 src0_sel:BYTE_0 src1_sel:DWORD
	s_and_saveexec_b32 s18, s1
	s_cbranch_execz .LBB213_767
; %bb.760:                              ;   in Loop: Header=BB213_554 Depth=1
	v_bfrev_b32_e32 v17, 1
	v_mov_b32_e32 v18, 0
	v_cmp_ne_u16_sdwa s1, v81, v45 src0_sel:BYTE_0 src1_sel:DWORD
	s_and_saveexec_b32 s21, s1
	s_cbranch_execz .LBB213_766
; %bb.761:                              ;   in Loop: Header=BB213_554 Depth=1
	v_mov_b32_e32 v17, 0x7f800001
	v_and_b32_e32 v9, 0x7f, v81
	v_mov_b32_e32 v18, 0
	s_mov_b32 s22, exec_lo
	v_cmpx_ne_u32_e32 0x7f, v9
	s_cbranch_execz .LBB213_765
; %bb.762:                              ;   in Loop: Header=BB213_554 Depth=1
	v_and_b32_e32 v5, 7, v81
	v_lshrrev_b32_e32 v7, 3, v9
	s_mov_b32 s24, exec_lo
	v_cmpx_gt_u32_e32 8, v9
; %bb.763:                              ;   in Loop: Header=BB213_554 Depth=1
	v_ffbh_u32_e32 v7, v5
	v_min_u32_e32 v7, 32, v7
	v_subrev_nc_u32_e32 v9, 28, v7
	v_sub_nc_u32_e32 v7, 29, v7
	v_lshlrev_b64 v[17:18], v9, v[5:6]
	v_and_b32_e32 v5, 7, v17
; %bb.764:                              ;   in Loop: Header=BB213_554 Depth=1
	s_or_b32 exec_lo, exec_lo, s24
	v_lshlrev_b32_e32 v9, 24, v81
	v_lshlrev_b32_e32 v5, 20, v5
	v_lshl_add_u32 v7, v7, 23, 0x3c000000
	v_and_b32_e32 v9, 0x80000000, v9
	v_or3_b32 v5, v5, v9, v7
	v_mov_b32_e32 v18, v6
	v_mov_b32_e32 v17, v5
.LBB213_765:                            ;   in Loop: Header=BB213_554 Depth=1
	s_or_b32 exec_lo, exec_lo, s22
.LBB213_766:                            ;   in Loop: Header=BB213_554 Depth=1
	s_or_b32 exec_lo, exec_lo, s21
.LBB213_767:                            ;   in Loop: Header=BB213_554 Depth=1
	s_or_b32 exec_lo, exec_lo, s18
	v_cmp_ne_u16_sdwa s1, v81, v6 src0_sel:BYTE_1 src1_sel:DWORD
	s_and_saveexec_b32 s18, s1
	s_cbranch_execz .LBB213_775
; %bb.768:                              ;   in Loop: Header=BB213_554 Depth=1
	v_mov_b32_e32 v7, v6
	v_mov_b32_e32 v20, v8
	v_cmp_ne_u16_sdwa s1, v81, v45 src0_sel:BYTE_1 src1_sel:DWORD
	v_mov_b32_e32 v19, v7
	s_and_saveexec_b32 s21, s1
	s_cbranch_execz .LBB213_774
; %bb.769:                              ;   in Loop: Header=BB213_554 Depth=1
	v_and_b32_sdwa v5, v46, v81 dst_sel:DWORD dst_unused:UNUSED_PAD src0_sel:DWORD src1_sel:BYTE_1
	v_mov_b32_e32 v9, v6
	v_mov_b32_e32 v20, v10
	s_mov_b32 s22, exec_lo
	v_and_b32_e32 v21, 0x7f, v5
	v_mov_b32_e32 v19, v9
	v_cmpx_ne_u32_e32 0x7f, v21
	s_cbranch_execz .LBB213_773
; %bb.770:                              ;   in Loop: Header=BB213_554 Depth=1
	v_and_b32_e32 v5, 7, v5
	v_lshrrev_b32_e32 v7, 3, v21
	s_mov_b32 s24, exec_lo
	v_cmpx_gt_u32_e32 8, v21
; %bb.771:                              ;   in Loop: Header=BB213_554 Depth=1
	v_ffbh_u32_e32 v7, v5
	v_min_u32_e32 v7, 32, v7
	v_subrev_nc_u32_e32 v9, 28, v7
	v_sub_nc_u32_e32 v7, 29, v7
	v_lshlrev_b64 v[19:20], v9, v[5:6]
	v_and_b32_e32 v5, 7, v19
; %bb.772:                              ;   in Loop: Header=BB213_554 Depth=1
	s_or_b32 exec_lo, exec_lo, s24
	v_lshlrev_b32_e32 v9, 16, v81
	v_lshlrev_b32_e32 v5, 20, v5
	v_lshl_add_u32 v7, v7, 23, 0x3c000000
	v_mov_b32_e32 v19, v6
	v_and_b32_e32 v9, 0x80000000, v9
	v_or3_b32 v20, v5, v9, v7
.LBB213_773:                            ;   in Loop: Header=BB213_554 Depth=1
	s_or_b32 exec_lo, exec_lo, s22
.LBB213_774:                            ;   in Loop: Header=BB213_554 Depth=1
	s_or_b32 exec_lo, exec_lo, s21
.LBB213_775:                            ;   in Loop: Header=BB213_554 Depth=1
	s_or_b32 exec_lo, exec_lo, s18
	v_mov_b32_e32 v23, 0
	v_mov_b32_e32 v21, 0
	v_and_b32_sdwa v5, v81, v47 dst_sel:DWORD dst_unused:UNUSED_PAD src0_sel:WORD_1 src1_sel:DWORD
	v_mov_b32_e32 v24, 0
	v_mov_b32_e32 v22, 0
	s_mov_b32 s18, exec_lo
	v_cmpx_ne_u16_e32 0, v5
	s_cbranch_execz .LBB213_783
; %bb.776:                              ;   in Loop: Header=BB213_554 Depth=1
	v_bfrev_b32_e32 v21, 1
	v_mov_b32_e32 v22, 0
	s_mov_b32 s21, exec_lo
	v_cmpx_ne_u16_e32 0x80, v5
	s_cbranch_execz .LBB213_782
; %bb.777:                              ;   in Loop: Header=BB213_554 Depth=1
	v_mov_b32_e32 v21, 0x7f800001
	v_bfe_u32 v9, v81, 16, 7
	v_mov_b32_e32 v22, 0
	s_mov_b32 s22, exec_lo
	v_cmpx_ne_u32_e32 0x7f, v9
	s_cbranch_execz .LBB213_781
; %bb.778:                              ;   in Loop: Header=BB213_554 Depth=1
	v_and_b32_sdwa v5, v81, v48 dst_sel:DWORD dst_unused:UNUSED_PAD src0_sel:WORD_1 src1_sel:DWORD
	v_lshrrev_b32_e32 v7, 3, v9
	s_mov_b32 s24, exec_lo
	v_cmpx_gt_u32_e32 8, v9
; %bb.779:                              ;   in Loop: Header=BB213_554 Depth=1
	v_ffbh_u32_e32 v7, v5
	v_min_u32_e32 v7, 32, v7
	v_subrev_nc_u32_e32 v9, 28, v7
	v_sub_nc_u32_e32 v7, 29, v7
	v_lshlrev_b64 v[21:22], v9, v[5:6]
	v_and_b32_e32 v5, 7, v21
; %bb.780:                              ;   in Loop: Header=BB213_554 Depth=1
	s_or_b32 exec_lo, exec_lo, s24
	v_lshlrev_b32_sdwa v9, v50, v81 dst_sel:DWORD dst_unused:UNUSED_PAD src0_sel:DWORD src1_sel:WORD_1
	v_lshlrev_b32_e32 v5, 20, v5
	v_lshl_add_u32 v7, v7, 23, 0x3c000000
	v_and_b32_e32 v9, 0x80000000, v9
	v_or3_b32 v5, v5, v9, v7
	v_mov_b32_e32 v22, v6
	v_mov_b32_e32 v21, v5
.LBB213_781:                            ;   in Loop: Header=BB213_554 Depth=1
	s_or_b32 exec_lo, exec_lo, s22
.LBB213_782:                            ;   in Loop: Header=BB213_554 Depth=1
	s_or_b32 exec_lo, exec_lo, s21
.LBB213_783:                            ;   in Loop: Header=BB213_554 Depth=1
	s_or_b32 exec_lo, exec_lo, s18
	s_mov_b32 s18, exec_lo
	v_cmpx_lt_u32_e32 0xffffff, v81
	s_cbranch_execz .LBB213_791
; %bb.784:                              ;   in Loop: Header=BB213_554 Depth=1
	v_mov_b32_e32 v7, v6
	v_mov_b32_e32 v24, v8
	v_cmp_ne_u32_sdwa s1, v81, v45 src0_sel:BYTE_3 src1_sel:DWORD
	v_mov_b32_e32 v23, v7
	s_and_saveexec_b32 s21, s1
	s_cbranch_execz .LBB213_790
; %bb.785:                              ;   in Loop: Header=BB213_554 Depth=1
	v_mov_b32_e32 v9, v6
	v_mov_b32_e32 v24, v10
	v_bfe_u32 v82, v81, 24, 7
	s_mov_b32 s22, exec_lo
	v_mov_b32_e32 v23, v9
	v_cmpx_ne_u32_e32 0x7f, v82
	s_cbranch_execz .LBB213_789
; %bb.786:                              ;   in Loop: Header=BB213_554 Depth=1
	v_and_b32_sdwa v5, v81, v48 dst_sel:DWORD dst_unused:UNUSED_PAD src0_sel:BYTE_3 src1_sel:DWORD
	v_lshrrev_b32_e32 v7, 3, v82
	s_mov_b32 s24, exec_lo
	v_cmpx_gt_u32_e32 8, v82
; %bb.787:                              ;   in Loop: Header=BB213_554 Depth=1
	v_ffbh_u32_e32 v7, v5
	v_min_u32_e32 v7, 32, v7
	v_subrev_nc_u32_e32 v9, 28, v7
	v_sub_nc_u32_e32 v7, 29, v7
	v_lshlrev_b64 v[23:24], v9, v[5:6]
	v_and_b32_e32 v5, 7, v23
; %bb.788:                              ;   in Loop: Header=BB213_554 Depth=1
	s_or_b32 exec_lo, exec_lo, s24
	v_lshlrev_b32_sdwa v9, v50, v81 dst_sel:DWORD dst_unused:UNUSED_PAD src0_sel:DWORD src1_sel:BYTE_3
	v_lshlrev_b32_e32 v5, 20, v5
	v_lshl_add_u32 v7, v7, 23, 0x3c000000
	v_mov_b32_e32 v23, v6
	v_and_b32_e32 v9, 0x80000000, v9
	v_or3_b32 v24, v5, v9, v7
.LBB213_789:                            ;   in Loop: Header=BB213_554 Depth=1
	s_or_b32 exec_lo, exec_lo, s22
.LBB213_790:                            ;   in Loop: Header=BB213_554 Depth=1
	s_or_b32 exec_lo, exec_lo, s21
.LBB213_791:                            ;   in Loop: Header=BB213_554 Depth=1
	s_or_b32 exec_lo, exec_lo, s18
	v_or_b32_e32 v5, v20, v18
	v_or_b32_e32 v7, v19, v17
	;; [unrolled: 1-line block ×4, first 2 shown]
	v_mul_f32_e32 v83, s17, v5
	v_mul_f32_e32 v84, s13, v7
	;; [unrolled: 1-line block ×4, first 2 shown]
	s_and_saveexec_b32 s18, vcc_lo
	s_cbranch_execz .LBB213_793
; %bb.792:                              ;   in Loop: Header=BB213_554 Depth=1
	v_cmp_gt_i32_e64 s1, s31, v57
	v_cndmask_b32_e64 v84, 0, v84, s1
	v_cmp_gt_i32_e64 s1, s31, v60
	v_cndmask_b32_e64 v83, 0, v83, s1
	v_cmp_gt_i32_e64 s1, s31, v59
	v_cndmask_b32_e64 v82, 0, v82, s1
	v_cmp_gt_i32_e64 s1, s31, v58
	v_cndmask_b32_e64 v81, 0, v81, s1
.LBB213_793:                            ;   in Loop: Header=BB213_554 Depth=1
	s_or_b32 exec_lo, exec_lo, s18
	global_load_dword v85, v[15:16], off offset:896
	v_mov_b32_e32 v19, 0
	v_mov_b32_e32 v17, 0
	;; [unrolled: 1-line block ×4, first 2 shown]
	s_waitcnt vmcnt(0)
	v_cmp_ne_u16_sdwa s1, v85, v6 src0_sel:BYTE_0 src1_sel:DWORD
	s_and_saveexec_b32 s18, s1
	s_cbranch_execz .LBB213_801
; %bb.794:                              ;   in Loop: Header=BB213_554 Depth=1
	v_bfrev_b32_e32 v17, 1
	v_mov_b32_e32 v18, 0
	v_cmp_ne_u16_sdwa s1, v85, v45 src0_sel:BYTE_0 src1_sel:DWORD
	s_and_saveexec_b32 s21, s1
	s_cbranch_execz .LBB213_800
; %bb.795:                              ;   in Loop: Header=BB213_554 Depth=1
	v_mov_b32_e32 v17, 0x7f800001
	v_and_b32_e32 v9, 0x7f, v85
	v_mov_b32_e32 v18, 0
	s_mov_b32 s22, exec_lo
	v_cmpx_ne_u32_e32 0x7f, v9
	s_cbranch_execz .LBB213_799
; %bb.796:                              ;   in Loop: Header=BB213_554 Depth=1
	v_and_b32_e32 v5, 7, v85
	v_lshrrev_b32_e32 v7, 3, v9
	s_mov_b32 s24, exec_lo
	v_cmpx_gt_u32_e32 8, v9
; %bb.797:                              ;   in Loop: Header=BB213_554 Depth=1
	v_ffbh_u32_e32 v7, v5
	v_min_u32_e32 v7, 32, v7
	v_subrev_nc_u32_e32 v9, 28, v7
	v_sub_nc_u32_e32 v7, 29, v7
	v_lshlrev_b64 v[17:18], v9, v[5:6]
	v_and_b32_e32 v5, 7, v17
; %bb.798:                              ;   in Loop: Header=BB213_554 Depth=1
	s_or_b32 exec_lo, exec_lo, s24
	v_lshlrev_b32_e32 v9, 24, v85
	v_lshlrev_b32_e32 v5, 20, v5
	v_lshl_add_u32 v7, v7, 23, 0x3c000000
	v_and_b32_e32 v9, 0x80000000, v9
	v_or3_b32 v5, v5, v9, v7
	v_mov_b32_e32 v18, v6
	v_mov_b32_e32 v17, v5
.LBB213_799:                            ;   in Loop: Header=BB213_554 Depth=1
	s_or_b32 exec_lo, exec_lo, s22
.LBB213_800:                            ;   in Loop: Header=BB213_554 Depth=1
	s_or_b32 exec_lo, exec_lo, s21
.LBB213_801:                            ;   in Loop: Header=BB213_554 Depth=1
	s_or_b32 exec_lo, exec_lo, s18
	v_cmp_ne_u16_sdwa s1, v85, v6 src0_sel:BYTE_1 src1_sel:DWORD
	s_and_saveexec_b32 s18, s1
	s_cbranch_execz .LBB213_809
; %bb.802:                              ;   in Loop: Header=BB213_554 Depth=1
	v_mov_b32_e32 v7, v6
	v_mov_b32_e32 v20, v8
	v_cmp_ne_u16_sdwa s1, v85, v45 src0_sel:BYTE_1 src1_sel:DWORD
	v_mov_b32_e32 v19, v7
	s_and_saveexec_b32 s21, s1
	s_cbranch_execz .LBB213_808
; %bb.803:                              ;   in Loop: Header=BB213_554 Depth=1
	v_and_b32_sdwa v5, v46, v85 dst_sel:DWORD dst_unused:UNUSED_PAD src0_sel:DWORD src1_sel:BYTE_1
	v_mov_b32_e32 v9, v6
	v_mov_b32_e32 v20, v10
	s_mov_b32 s22, exec_lo
	v_and_b32_e32 v21, 0x7f, v5
	v_mov_b32_e32 v19, v9
	v_cmpx_ne_u32_e32 0x7f, v21
	s_cbranch_execz .LBB213_807
; %bb.804:                              ;   in Loop: Header=BB213_554 Depth=1
	v_and_b32_e32 v5, 7, v5
	v_lshrrev_b32_e32 v7, 3, v21
	s_mov_b32 s24, exec_lo
	v_cmpx_gt_u32_e32 8, v21
; %bb.805:                              ;   in Loop: Header=BB213_554 Depth=1
	v_ffbh_u32_e32 v7, v5
	v_min_u32_e32 v7, 32, v7
	v_subrev_nc_u32_e32 v9, 28, v7
	v_sub_nc_u32_e32 v7, 29, v7
	v_lshlrev_b64 v[19:20], v9, v[5:6]
	v_and_b32_e32 v5, 7, v19
; %bb.806:                              ;   in Loop: Header=BB213_554 Depth=1
	s_or_b32 exec_lo, exec_lo, s24
	v_lshlrev_b32_e32 v9, 16, v85
	v_lshlrev_b32_e32 v5, 20, v5
	v_lshl_add_u32 v7, v7, 23, 0x3c000000
	v_mov_b32_e32 v19, v6
	v_and_b32_e32 v9, 0x80000000, v9
	v_or3_b32 v20, v5, v9, v7
.LBB213_807:                            ;   in Loop: Header=BB213_554 Depth=1
	s_or_b32 exec_lo, exec_lo, s22
.LBB213_808:                            ;   in Loop: Header=BB213_554 Depth=1
	s_or_b32 exec_lo, exec_lo, s21
.LBB213_809:                            ;   in Loop: Header=BB213_554 Depth=1
	s_or_b32 exec_lo, exec_lo, s18
	v_mov_b32_e32 v23, 0
	v_mov_b32_e32 v21, 0
	v_and_b32_sdwa v5, v85, v47 dst_sel:DWORD dst_unused:UNUSED_PAD src0_sel:WORD_1 src1_sel:DWORD
	v_mov_b32_e32 v24, 0
	v_mov_b32_e32 v22, 0
	s_mov_b32 s18, exec_lo
	v_cmpx_ne_u16_e32 0, v5
	s_cbranch_execz .LBB213_817
; %bb.810:                              ;   in Loop: Header=BB213_554 Depth=1
	v_bfrev_b32_e32 v21, 1
	v_mov_b32_e32 v22, 0
	s_mov_b32 s21, exec_lo
	v_cmpx_ne_u16_e32 0x80, v5
	s_cbranch_execz .LBB213_816
; %bb.811:                              ;   in Loop: Header=BB213_554 Depth=1
	v_mov_b32_e32 v21, 0x7f800001
	v_bfe_u32 v9, v85, 16, 7
	v_mov_b32_e32 v22, 0
	s_mov_b32 s22, exec_lo
	v_cmpx_ne_u32_e32 0x7f, v9
	s_cbranch_execz .LBB213_815
; %bb.812:                              ;   in Loop: Header=BB213_554 Depth=1
	v_and_b32_sdwa v5, v85, v48 dst_sel:DWORD dst_unused:UNUSED_PAD src0_sel:WORD_1 src1_sel:DWORD
	v_lshrrev_b32_e32 v7, 3, v9
	s_mov_b32 s24, exec_lo
	v_cmpx_gt_u32_e32 8, v9
; %bb.813:                              ;   in Loop: Header=BB213_554 Depth=1
	v_ffbh_u32_e32 v7, v5
	v_min_u32_e32 v7, 32, v7
	v_subrev_nc_u32_e32 v9, 28, v7
	v_sub_nc_u32_e32 v7, 29, v7
	v_lshlrev_b64 v[21:22], v9, v[5:6]
	v_and_b32_e32 v5, 7, v21
; %bb.814:                              ;   in Loop: Header=BB213_554 Depth=1
	s_or_b32 exec_lo, exec_lo, s24
	v_lshlrev_b32_sdwa v9, v50, v85 dst_sel:DWORD dst_unused:UNUSED_PAD src0_sel:DWORD src1_sel:WORD_1
	v_lshlrev_b32_e32 v5, 20, v5
	v_lshl_add_u32 v7, v7, 23, 0x3c000000
	v_and_b32_e32 v9, 0x80000000, v9
	v_or3_b32 v5, v5, v9, v7
	v_mov_b32_e32 v22, v6
	v_mov_b32_e32 v21, v5
.LBB213_815:                            ;   in Loop: Header=BB213_554 Depth=1
	s_or_b32 exec_lo, exec_lo, s22
.LBB213_816:                            ;   in Loop: Header=BB213_554 Depth=1
	s_or_b32 exec_lo, exec_lo, s21
.LBB213_817:                            ;   in Loop: Header=BB213_554 Depth=1
	s_or_b32 exec_lo, exec_lo, s18
	s_mov_b32 s18, exec_lo
	v_cmpx_lt_u32_e32 0xffffff, v85
	s_cbranch_execz .LBB213_825
; %bb.818:                              ;   in Loop: Header=BB213_554 Depth=1
	v_mov_b32_e32 v7, v6
	v_mov_b32_e32 v24, v8
	v_cmp_ne_u32_sdwa s1, v85, v45 src0_sel:BYTE_3 src1_sel:DWORD
	v_mov_b32_e32 v23, v7
	s_and_saveexec_b32 s21, s1
	s_cbranch_execz .LBB213_824
; %bb.819:                              ;   in Loop: Header=BB213_554 Depth=1
	v_mov_b32_e32 v9, v6
	v_mov_b32_e32 v24, v10
	v_bfe_u32 v86, v85, 24, 7
	s_mov_b32 s22, exec_lo
	v_mov_b32_e32 v23, v9
	v_cmpx_ne_u32_e32 0x7f, v86
	s_cbranch_execz .LBB213_823
; %bb.820:                              ;   in Loop: Header=BB213_554 Depth=1
	v_and_b32_sdwa v5, v85, v48 dst_sel:DWORD dst_unused:UNUSED_PAD src0_sel:BYTE_3 src1_sel:DWORD
	v_lshrrev_b32_e32 v7, 3, v86
	s_mov_b32 s24, exec_lo
	v_cmpx_gt_u32_e32 8, v86
; %bb.821:                              ;   in Loop: Header=BB213_554 Depth=1
	v_ffbh_u32_e32 v7, v5
	v_min_u32_e32 v7, 32, v7
	v_subrev_nc_u32_e32 v9, 28, v7
	v_sub_nc_u32_e32 v7, 29, v7
	v_lshlrev_b64 v[23:24], v9, v[5:6]
	v_and_b32_e32 v5, 7, v23
; %bb.822:                              ;   in Loop: Header=BB213_554 Depth=1
	s_or_b32 exec_lo, exec_lo, s24
	v_lshlrev_b32_sdwa v9, v50, v85 dst_sel:DWORD dst_unused:UNUSED_PAD src0_sel:DWORD src1_sel:BYTE_3
	v_lshlrev_b32_e32 v5, 20, v5
	v_lshl_add_u32 v7, v7, 23, 0x3c000000
	v_mov_b32_e32 v23, v6
	v_and_b32_e32 v9, 0x80000000, v9
	v_or3_b32 v24, v5, v9, v7
.LBB213_823:                            ;   in Loop: Header=BB213_554 Depth=1
	s_or_b32 exec_lo, exec_lo, s22
.LBB213_824:                            ;   in Loop: Header=BB213_554 Depth=1
	s_or_b32 exec_lo, exec_lo, s21
.LBB213_825:                            ;   in Loop: Header=BB213_554 Depth=1
	s_or_b32 exec_lo, exec_lo, s18
	v_or_b32_e32 v5, v20, v18
	v_or_b32_e32 v7, v19, v17
	v_or_b32_e32 v9, v23, v21
	v_or_b32_e32 v17, v24, v22
	v_mul_f32_e32 v87, s17, v5
	v_mul_f32_e32 v88, s13, v7
	;; [unrolled: 1-line block ×4, first 2 shown]
	s_and_saveexec_b32 s18, vcc_lo
	s_cbranch_execz .LBB213_827
; %bb.826:                              ;   in Loop: Header=BB213_554 Depth=1
	v_cmp_gt_i32_e64 s1, s31, v57
	v_cndmask_b32_e64 v88, 0, v88, s1
	v_cmp_gt_i32_e64 s1, s31, v60
	v_cndmask_b32_e64 v87, 0, v87, s1
	;; [unrolled: 2-line block ×4, first 2 shown]
.LBB213_827:                            ;   in Loop: Header=BB213_554 Depth=1
	s_or_b32 exec_lo, exec_lo, s18
	global_load_dword v89, v[15:16], off offset:1024
	v_mov_b32_e32 v19, 0
	v_mov_b32_e32 v17, 0
	;; [unrolled: 1-line block ×4, first 2 shown]
	s_waitcnt vmcnt(0)
	v_cmp_ne_u16_sdwa s1, v89, v6 src0_sel:BYTE_0 src1_sel:DWORD
	s_and_saveexec_b32 s18, s1
	s_cbranch_execz .LBB213_835
; %bb.828:                              ;   in Loop: Header=BB213_554 Depth=1
	v_bfrev_b32_e32 v17, 1
	v_mov_b32_e32 v18, 0
	v_cmp_ne_u16_sdwa s1, v89, v45 src0_sel:BYTE_0 src1_sel:DWORD
	s_and_saveexec_b32 s21, s1
	s_cbranch_execz .LBB213_834
; %bb.829:                              ;   in Loop: Header=BB213_554 Depth=1
	v_mov_b32_e32 v17, 0x7f800001
	v_and_b32_e32 v9, 0x7f, v89
	v_mov_b32_e32 v18, 0
	s_mov_b32 s22, exec_lo
	v_cmpx_ne_u32_e32 0x7f, v9
	s_cbranch_execz .LBB213_833
; %bb.830:                              ;   in Loop: Header=BB213_554 Depth=1
	v_and_b32_e32 v5, 7, v89
	v_lshrrev_b32_e32 v7, 3, v9
	s_mov_b32 s24, exec_lo
	v_cmpx_gt_u32_e32 8, v9
; %bb.831:                              ;   in Loop: Header=BB213_554 Depth=1
	v_ffbh_u32_e32 v7, v5
	v_min_u32_e32 v7, 32, v7
	v_subrev_nc_u32_e32 v9, 28, v7
	v_sub_nc_u32_e32 v7, 29, v7
	v_lshlrev_b64 v[17:18], v9, v[5:6]
	v_and_b32_e32 v5, 7, v17
; %bb.832:                              ;   in Loop: Header=BB213_554 Depth=1
	s_or_b32 exec_lo, exec_lo, s24
	v_lshlrev_b32_e32 v9, 24, v89
	v_lshlrev_b32_e32 v5, 20, v5
	v_lshl_add_u32 v7, v7, 23, 0x3c000000
	v_and_b32_e32 v9, 0x80000000, v9
	v_or3_b32 v5, v5, v9, v7
	v_mov_b32_e32 v18, v6
	v_mov_b32_e32 v17, v5
.LBB213_833:                            ;   in Loop: Header=BB213_554 Depth=1
	s_or_b32 exec_lo, exec_lo, s22
.LBB213_834:                            ;   in Loop: Header=BB213_554 Depth=1
	s_or_b32 exec_lo, exec_lo, s21
.LBB213_835:                            ;   in Loop: Header=BB213_554 Depth=1
	s_or_b32 exec_lo, exec_lo, s18
	v_cmp_ne_u16_sdwa s1, v89, v6 src0_sel:BYTE_1 src1_sel:DWORD
	s_and_saveexec_b32 s18, s1
	s_cbranch_execz .LBB213_843
; %bb.836:                              ;   in Loop: Header=BB213_554 Depth=1
	v_mov_b32_e32 v7, v6
	v_mov_b32_e32 v20, v8
	v_cmp_ne_u16_sdwa s1, v89, v45 src0_sel:BYTE_1 src1_sel:DWORD
	v_mov_b32_e32 v19, v7
	s_and_saveexec_b32 s21, s1
	s_cbranch_execz .LBB213_842
; %bb.837:                              ;   in Loop: Header=BB213_554 Depth=1
	v_and_b32_sdwa v5, v46, v89 dst_sel:DWORD dst_unused:UNUSED_PAD src0_sel:DWORD src1_sel:BYTE_1
	v_mov_b32_e32 v9, v6
	v_mov_b32_e32 v20, v10
	s_mov_b32 s22, exec_lo
	v_and_b32_e32 v21, 0x7f, v5
	v_mov_b32_e32 v19, v9
	v_cmpx_ne_u32_e32 0x7f, v21
	s_cbranch_execz .LBB213_841
; %bb.838:                              ;   in Loop: Header=BB213_554 Depth=1
	v_and_b32_e32 v5, 7, v5
	v_lshrrev_b32_e32 v7, 3, v21
	s_mov_b32 s24, exec_lo
	v_cmpx_gt_u32_e32 8, v21
; %bb.839:                              ;   in Loop: Header=BB213_554 Depth=1
	v_ffbh_u32_e32 v7, v5
	v_min_u32_e32 v7, 32, v7
	v_subrev_nc_u32_e32 v9, 28, v7
	v_sub_nc_u32_e32 v7, 29, v7
	v_lshlrev_b64 v[19:20], v9, v[5:6]
	v_and_b32_e32 v5, 7, v19
; %bb.840:                              ;   in Loop: Header=BB213_554 Depth=1
	s_or_b32 exec_lo, exec_lo, s24
	v_lshlrev_b32_e32 v9, 16, v89
	v_lshlrev_b32_e32 v5, 20, v5
	v_lshl_add_u32 v7, v7, 23, 0x3c000000
	v_mov_b32_e32 v19, v6
	v_and_b32_e32 v9, 0x80000000, v9
	v_or3_b32 v20, v5, v9, v7
.LBB213_841:                            ;   in Loop: Header=BB213_554 Depth=1
	s_or_b32 exec_lo, exec_lo, s22
.LBB213_842:                            ;   in Loop: Header=BB213_554 Depth=1
	s_or_b32 exec_lo, exec_lo, s21
.LBB213_843:                            ;   in Loop: Header=BB213_554 Depth=1
	s_or_b32 exec_lo, exec_lo, s18
	v_mov_b32_e32 v23, 0
	v_mov_b32_e32 v21, 0
	v_and_b32_sdwa v5, v89, v47 dst_sel:DWORD dst_unused:UNUSED_PAD src0_sel:WORD_1 src1_sel:DWORD
	v_mov_b32_e32 v24, 0
	v_mov_b32_e32 v22, 0
	s_mov_b32 s18, exec_lo
	v_cmpx_ne_u16_e32 0, v5
	s_cbranch_execz .LBB213_851
; %bb.844:                              ;   in Loop: Header=BB213_554 Depth=1
	v_bfrev_b32_e32 v21, 1
	v_mov_b32_e32 v22, 0
	s_mov_b32 s21, exec_lo
	v_cmpx_ne_u16_e32 0x80, v5
	s_cbranch_execz .LBB213_850
; %bb.845:                              ;   in Loop: Header=BB213_554 Depth=1
	v_mov_b32_e32 v21, 0x7f800001
	v_bfe_u32 v9, v89, 16, 7
	v_mov_b32_e32 v22, 0
	s_mov_b32 s22, exec_lo
	v_cmpx_ne_u32_e32 0x7f, v9
	s_cbranch_execz .LBB213_849
; %bb.846:                              ;   in Loop: Header=BB213_554 Depth=1
	v_and_b32_sdwa v5, v89, v48 dst_sel:DWORD dst_unused:UNUSED_PAD src0_sel:WORD_1 src1_sel:DWORD
	v_lshrrev_b32_e32 v7, 3, v9
	s_mov_b32 s24, exec_lo
	v_cmpx_gt_u32_e32 8, v9
; %bb.847:                              ;   in Loop: Header=BB213_554 Depth=1
	v_ffbh_u32_e32 v7, v5
	v_min_u32_e32 v7, 32, v7
	v_subrev_nc_u32_e32 v9, 28, v7
	v_sub_nc_u32_e32 v7, 29, v7
	v_lshlrev_b64 v[21:22], v9, v[5:6]
	v_and_b32_e32 v5, 7, v21
; %bb.848:                              ;   in Loop: Header=BB213_554 Depth=1
	s_or_b32 exec_lo, exec_lo, s24
	v_lshlrev_b32_sdwa v9, v50, v89 dst_sel:DWORD dst_unused:UNUSED_PAD src0_sel:DWORD src1_sel:WORD_1
	v_lshlrev_b32_e32 v5, 20, v5
	v_lshl_add_u32 v7, v7, 23, 0x3c000000
	v_and_b32_e32 v9, 0x80000000, v9
	v_or3_b32 v5, v5, v9, v7
	v_mov_b32_e32 v22, v6
	v_mov_b32_e32 v21, v5
.LBB213_849:                            ;   in Loop: Header=BB213_554 Depth=1
	s_or_b32 exec_lo, exec_lo, s22
.LBB213_850:                            ;   in Loop: Header=BB213_554 Depth=1
	s_or_b32 exec_lo, exec_lo, s21
.LBB213_851:                            ;   in Loop: Header=BB213_554 Depth=1
	s_or_b32 exec_lo, exec_lo, s18
	s_mov_b32 s18, exec_lo
	v_cmpx_lt_u32_e32 0xffffff, v89
	s_cbranch_execz .LBB213_859
; %bb.852:                              ;   in Loop: Header=BB213_554 Depth=1
	v_mov_b32_e32 v7, v6
	v_mov_b32_e32 v24, v8
	v_cmp_ne_u32_sdwa s1, v89, v45 src0_sel:BYTE_3 src1_sel:DWORD
	v_mov_b32_e32 v23, v7
	s_and_saveexec_b32 s21, s1
	s_cbranch_execz .LBB213_858
; %bb.853:                              ;   in Loop: Header=BB213_554 Depth=1
	v_mov_b32_e32 v9, v6
	v_mov_b32_e32 v24, v10
	v_bfe_u32 v90, v89, 24, 7
	s_mov_b32 s22, exec_lo
	v_mov_b32_e32 v23, v9
	v_cmpx_ne_u32_e32 0x7f, v90
	s_cbranch_execz .LBB213_857
; %bb.854:                              ;   in Loop: Header=BB213_554 Depth=1
	v_and_b32_sdwa v5, v89, v48 dst_sel:DWORD dst_unused:UNUSED_PAD src0_sel:BYTE_3 src1_sel:DWORD
	v_lshrrev_b32_e32 v7, 3, v90
	s_mov_b32 s24, exec_lo
	v_cmpx_gt_u32_e32 8, v90
; %bb.855:                              ;   in Loop: Header=BB213_554 Depth=1
	v_ffbh_u32_e32 v7, v5
	v_min_u32_e32 v7, 32, v7
	v_subrev_nc_u32_e32 v9, 28, v7
	v_sub_nc_u32_e32 v7, 29, v7
	v_lshlrev_b64 v[23:24], v9, v[5:6]
	v_and_b32_e32 v5, 7, v23
; %bb.856:                              ;   in Loop: Header=BB213_554 Depth=1
	s_or_b32 exec_lo, exec_lo, s24
	v_lshlrev_b32_sdwa v9, v50, v89 dst_sel:DWORD dst_unused:UNUSED_PAD src0_sel:DWORD src1_sel:BYTE_3
	v_lshlrev_b32_e32 v5, 20, v5
	v_lshl_add_u32 v7, v7, 23, 0x3c000000
	v_mov_b32_e32 v23, v6
	v_and_b32_e32 v9, 0x80000000, v9
	v_or3_b32 v24, v5, v9, v7
.LBB213_857:                            ;   in Loop: Header=BB213_554 Depth=1
	s_or_b32 exec_lo, exec_lo, s22
.LBB213_858:                            ;   in Loop: Header=BB213_554 Depth=1
	s_or_b32 exec_lo, exec_lo, s21
.LBB213_859:                            ;   in Loop: Header=BB213_554 Depth=1
	s_or_b32 exec_lo, exec_lo, s18
	v_or_b32_e32 v5, v20, v18
	v_or_b32_e32 v7, v19, v17
	;; [unrolled: 1-line block ×4, first 2 shown]
	v_mul_f32_e32 v91, s17, v5
	v_mul_f32_e32 v92, s13, v7
	;; [unrolled: 1-line block ×4, first 2 shown]
	s_and_saveexec_b32 s18, vcc_lo
	s_cbranch_execz .LBB213_861
; %bb.860:                              ;   in Loop: Header=BB213_554 Depth=1
	v_cmp_gt_i32_e64 s1, s31, v57
	v_cndmask_b32_e64 v92, 0, v92, s1
	v_cmp_gt_i32_e64 s1, s31, v60
	v_cndmask_b32_e64 v91, 0, v91, s1
	;; [unrolled: 2-line block ×4, first 2 shown]
.LBB213_861:                            ;   in Loop: Header=BB213_554 Depth=1
	s_or_b32 exec_lo, exec_lo, s18
	global_load_dword v93, v[15:16], off offset:1152
	v_mov_b32_e32 v19, 0
	v_mov_b32_e32 v17, 0
	;; [unrolled: 1-line block ×4, first 2 shown]
	s_waitcnt vmcnt(0)
	v_cmp_ne_u16_sdwa s1, v93, v6 src0_sel:BYTE_0 src1_sel:DWORD
	s_and_saveexec_b32 s18, s1
	s_cbranch_execz .LBB213_869
; %bb.862:                              ;   in Loop: Header=BB213_554 Depth=1
	v_bfrev_b32_e32 v17, 1
	v_mov_b32_e32 v18, 0
	v_cmp_ne_u16_sdwa s1, v93, v45 src0_sel:BYTE_0 src1_sel:DWORD
	s_and_saveexec_b32 s21, s1
	s_cbranch_execz .LBB213_868
; %bb.863:                              ;   in Loop: Header=BB213_554 Depth=1
	v_mov_b32_e32 v17, 0x7f800001
	v_and_b32_e32 v9, 0x7f, v93
	v_mov_b32_e32 v18, 0
	s_mov_b32 s22, exec_lo
	v_cmpx_ne_u32_e32 0x7f, v9
	s_cbranch_execz .LBB213_867
; %bb.864:                              ;   in Loop: Header=BB213_554 Depth=1
	v_and_b32_e32 v5, 7, v93
	v_lshrrev_b32_e32 v7, 3, v9
	s_mov_b32 s24, exec_lo
	v_cmpx_gt_u32_e32 8, v9
; %bb.865:                              ;   in Loop: Header=BB213_554 Depth=1
	v_ffbh_u32_e32 v7, v5
	v_min_u32_e32 v7, 32, v7
	v_subrev_nc_u32_e32 v9, 28, v7
	v_sub_nc_u32_e32 v7, 29, v7
	v_lshlrev_b64 v[17:18], v9, v[5:6]
	v_and_b32_e32 v5, 7, v17
; %bb.866:                              ;   in Loop: Header=BB213_554 Depth=1
	s_or_b32 exec_lo, exec_lo, s24
	v_lshlrev_b32_e32 v9, 24, v93
	v_lshlrev_b32_e32 v5, 20, v5
	v_lshl_add_u32 v7, v7, 23, 0x3c000000
	v_and_b32_e32 v9, 0x80000000, v9
	v_or3_b32 v5, v5, v9, v7
	v_mov_b32_e32 v18, v6
	v_mov_b32_e32 v17, v5
.LBB213_867:                            ;   in Loop: Header=BB213_554 Depth=1
	s_or_b32 exec_lo, exec_lo, s22
.LBB213_868:                            ;   in Loop: Header=BB213_554 Depth=1
	s_or_b32 exec_lo, exec_lo, s21
.LBB213_869:                            ;   in Loop: Header=BB213_554 Depth=1
	s_or_b32 exec_lo, exec_lo, s18
	v_cmp_ne_u16_sdwa s1, v93, v6 src0_sel:BYTE_1 src1_sel:DWORD
	s_and_saveexec_b32 s18, s1
	s_cbranch_execz .LBB213_877
; %bb.870:                              ;   in Loop: Header=BB213_554 Depth=1
	v_mov_b32_e32 v7, v6
	v_mov_b32_e32 v20, v8
	v_cmp_ne_u16_sdwa s1, v93, v45 src0_sel:BYTE_1 src1_sel:DWORD
	v_mov_b32_e32 v19, v7
	s_and_saveexec_b32 s21, s1
	s_cbranch_execz .LBB213_876
; %bb.871:                              ;   in Loop: Header=BB213_554 Depth=1
	v_and_b32_sdwa v5, v46, v93 dst_sel:DWORD dst_unused:UNUSED_PAD src0_sel:DWORD src1_sel:BYTE_1
	v_mov_b32_e32 v9, v6
	v_mov_b32_e32 v20, v10
	s_mov_b32 s22, exec_lo
	v_and_b32_e32 v21, 0x7f, v5
	v_mov_b32_e32 v19, v9
	v_cmpx_ne_u32_e32 0x7f, v21
	s_cbranch_execz .LBB213_875
; %bb.872:                              ;   in Loop: Header=BB213_554 Depth=1
	v_and_b32_e32 v5, 7, v5
	v_lshrrev_b32_e32 v7, 3, v21
	s_mov_b32 s24, exec_lo
	v_cmpx_gt_u32_e32 8, v21
; %bb.873:                              ;   in Loop: Header=BB213_554 Depth=1
	v_ffbh_u32_e32 v7, v5
	v_min_u32_e32 v7, 32, v7
	v_subrev_nc_u32_e32 v9, 28, v7
	v_sub_nc_u32_e32 v7, 29, v7
	v_lshlrev_b64 v[19:20], v9, v[5:6]
	v_and_b32_e32 v5, 7, v19
; %bb.874:                              ;   in Loop: Header=BB213_554 Depth=1
	s_or_b32 exec_lo, exec_lo, s24
	v_lshlrev_b32_e32 v9, 16, v93
	v_lshlrev_b32_e32 v5, 20, v5
	v_lshl_add_u32 v7, v7, 23, 0x3c000000
	v_mov_b32_e32 v19, v6
	v_and_b32_e32 v9, 0x80000000, v9
	v_or3_b32 v20, v5, v9, v7
.LBB213_875:                            ;   in Loop: Header=BB213_554 Depth=1
	s_or_b32 exec_lo, exec_lo, s22
.LBB213_876:                            ;   in Loop: Header=BB213_554 Depth=1
	s_or_b32 exec_lo, exec_lo, s21
.LBB213_877:                            ;   in Loop: Header=BB213_554 Depth=1
	s_or_b32 exec_lo, exec_lo, s18
	v_mov_b32_e32 v23, 0
	v_mov_b32_e32 v21, 0
	v_and_b32_sdwa v5, v93, v47 dst_sel:DWORD dst_unused:UNUSED_PAD src0_sel:WORD_1 src1_sel:DWORD
	v_mov_b32_e32 v24, 0
	v_mov_b32_e32 v22, 0
	s_mov_b32 s18, exec_lo
	v_cmpx_ne_u16_e32 0, v5
	s_cbranch_execz .LBB213_885
; %bb.878:                              ;   in Loop: Header=BB213_554 Depth=1
	v_bfrev_b32_e32 v21, 1
	v_mov_b32_e32 v22, 0
	s_mov_b32 s21, exec_lo
	v_cmpx_ne_u16_e32 0x80, v5
	s_cbranch_execz .LBB213_884
; %bb.879:                              ;   in Loop: Header=BB213_554 Depth=1
	v_mov_b32_e32 v21, 0x7f800001
	v_bfe_u32 v9, v93, 16, 7
	v_mov_b32_e32 v22, 0
	s_mov_b32 s22, exec_lo
	v_cmpx_ne_u32_e32 0x7f, v9
	s_cbranch_execz .LBB213_883
; %bb.880:                              ;   in Loop: Header=BB213_554 Depth=1
	v_and_b32_sdwa v5, v93, v48 dst_sel:DWORD dst_unused:UNUSED_PAD src0_sel:WORD_1 src1_sel:DWORD
	v_lshrrev_b32_e32 v7, 3, v9
	s_mov_b32 s24, exec_lo
	v_cmpx_gt_u32_e32 8, v9
; %bb.881:                              ;   in Loop: Header=BB213_554 Depth=1
	v_ffbh_u32_e32 v7, v5
	v_min_u32_e32 v7, 32, v7
	v_subrev_nc_u32_e32 v9, 28, v7
	v_sub_nc_u32_e32 v7, 29, v7
	v_lshlrev_b64 v[21:22], v9, v[5:6]
	v_and_b32_e32 v5, 7, v21
; %bb.882:                              ;   in Loop: Header=BB213_554 Depth=1
	s_or_b32 exec_lo, exec_lo, s24
	v_lshlrev_b32_sdwa v9, v50, v93 dst_sel:DWORD dst_unused:UNUSED_PAD src0_sel:DWORD src1_sel:WORD_1
	v_lshlrev_b32_e32 v5, 20, v5
	v_lshl_add_u32 v7, v7, 23, 0x3c000000
	v_and_b32_e32 v9, 0x80000000, v9
	v_or3_b32 v5, v5, v9, v7
	v_mov_b32_e32 v22, v6
	v_mov_b32_e32 v21, v5
.LBB213_883:                            ;   in Loop: Header=BB213_554 Depth=1
	s_or_b32 exec_lo, exec_lo, s22
.LBB213_884:                            ;   in Loop: Header=BB213_554 Depth=1
	s_or_b32 exec_lo, exec_lo, s21
.LBB213_885:                            ;   in Loop: Header=BB213_554 Depth=1
	s_or_b32 exec_lo, exec_lo, s18
	s_mov_b32 s18, exec_lo
	v_cmpx_lt_u32_e32 0xffffff, v93
	s_cbranch_execz .LBB213_893
; %bb.886:                              ;   in Loop: Header=BB213_554 Depth=1
	v_mov_b32_e32 v7, v6
	v_mov_b32_e32 v24, v8
	v_cmp_ne_u32_sdwa s1, v93, v45 src0_sel:BYTE_3 src1_sel:DWORD
	v_mov_b32_e32 v23, v7
	s_and_saveexec_b32 s21, s1
	s_cbranch_execz .LBB213_892
; %bb.887:                              ;   in Loop: Header=BB213_554 Depth=1
	v_mov_b32_e32 v9, v6
	v_mov_b32_e32 v24, v10
	v_bfe_u32 v94, v93, 24, 7
	s_mov_b32 s22, exec_lo
	v_mov_b32_e32 v23, v9
	v_cmpx_ne_u32_e32 0x7f, v94
	s_cbranch_execz .LBB213_891
; %bb.888:                              ;   in Loop: Header=BB213_554 Depth=1
	v_and_b32_sdwa v5, v93, v48 dst_sel:DWORD dst_unused:UNUSED_PAD src0_sel:BYTE_3 src1_sel:DWORD
	v_lshrrev_b32_e32 v7, 3, v94
	s_mov_b32 s24, exec_lo
	v_cmpx_gt_u32_e32 8, v94
; %bb.889:                              ;   in Loop: Header=BB213_554 Depth=1
	v_ffbh_u32_e32 v7, v5
	v_min_u32_e32 v7, 32, v7
	v_subrev_nc_u32_e32 v9, 28, v7
	v_sub_nc_u32_e32 v7, 29, v7
	v_lshlrev_b64 v[23:24], v9, v[5:6]
	v_and_b32_e32 v5, 7, v23
; %bb.890:                              ;   in Loop: Header=BB213_554 Depth=1
	s_or_b32 exec_lo, exec_lo, s24
	v_lshlrev_b32_sdwa v9, v50, v93 dst_sel:DWORD dst_unused:UNUSED_PAD src0_sel:DWORD src1_sel:BYTE_3
	v_lshlrev_b32_e32 v5, 20, v5
	v_lshl_add_u32 v7, v7, 23, 0x3c000000
	v_mov_b32_e32 v23, v6
	v_and_b32_e32 v9, 0x80000000, v9
	v_or3_b32 v24, v5, v9, v7
.LBB213_891:                            ;   in Loop: Header=BB213_554 Depth=1
	s_or_b32 exec_lo, exec_lo, s22
.LBB213_892:                            ;   in Loop: Header=BB213_554 Depth=1
	s_or_b32 exec_lo, exec_lo, s21
.LBB213_893:                            ;   in Loop: Header=BB213_554 Depth=1
	s_or_b32 exec_lo, exec_lo, s18
	v_or_b32_e32 v5, v20, v18
	v_or_b32_e32 v7, v19, v17
	v_or_b32_e32 v9, v23, v21
	v_or_b32_e32 v17, v24, v22
	v_mul_f32_e32 v95, s17, v5
	v_mul_f32_e32 v96, s13, v7
	v_mul_f32_e32 v94, s13, v9
	v_mul_f32_e32 v93, s17, v17
	s_and_saveexec_b32 s18, vcc_lo
	s_cbranch_execz .LBB213_895
; %bb.894:                              ;   in Loop: Header=BB213_554 Depth=1
	v_cmp_gt_i32_e64 s1, s31, v57
	v_cndmask_b32_e64 v96, 0, v96, s1
	v_cmp_gt_i32_e64 s1, s31, v60
	v_cndmask_b32_e64 v95, 0, v95, s1
	;; [unrolled: 2-line block ×4, first 2 shown]
.LBB213_895:                            ;   in Loop: Header=BB213_554 Depth=1
	s_or_b32 exec_lo, exec_lo, s18
	global_load_dword v97, v[15:16], off offset:1280
	v_mov_b32_e32 v19, 0
	v_mov_b32_e32 v17, 0
	;; [unrolled: 1-line block ×4, first 2 shown]
	s_waitcnt vmcnt(0)
	v_cmp_ne_u16_sdwa s1, v97, v6 src0_sel:BYTE_0 src1_sel:DWORD
	s_and_saveexec_b32 s18, s1
	s_cbranch_execz .LBB213_903
; %bb.896:                              ;   in Loop: Header=BB213_554 Depth=1
	v_bfrev_b32_e32 v17, 1
	v_mov_b32_e32 v18, 0
	v_cmp_ne_u16_sdwa s1, v97, v45 src0_sel:BYTE_0 src1_sel:DWORD
	s_and_saveexec_b32 s21, s1
	s_cbranch_execz .LBB213_902
; %bb.897:                              ;   in Loop: Header=BB213_554 Depth=1
	v_mov_b32_e32 v17, 0x7f800001
	v_and_b32_e32 v9, 0x7f, v97
	v_mov_b32_e32 v18, 0
	s_mov_b32 s22, exec_lo
	v_cmpx_ne_u32_e32 0x7f, v9
	s_cbranch_execz .LBB213_901
; %bb.898:                              ;   in Loop: Header=BB213_554 Depth=1
	v_and_b32_e32 v5, 7, v97
	v_lshrrev_b32_e32 v7, 3, v9
	s_mov_b32 s24, exec_lo
	v_cmpx_gt_u32_e32 8, v9
; %bb.899:                              ;   in Loop: Header=BB213_554 Depth=1
	v_ffbh_u32_e32 v7, v5
	v_min_u32_e32 v7, 32, v7
	v_subrev_nc_u32_e32 v9, 28, v7
	v_sub_nc_u32_e32 v7, 29, v7
	v_lshlrev_b64 v[17:18], v9, v[5:6]
	v_and_b32_e32 v5, 7, v17
; %bb.900:                              ;   in Loop: Header=BB213_554 Depth=1
	s_or_b32 exec_lo, exec_lo, s24
	v_lshlrev_b32_e32 v9, 24, v97
	v_lshlrev_b32_e32 v5, 20, v5
	v_lshl_add_u32 v7, v7, 23, 0x3c000000
	v_and_b32_e32 v9, 0x80000000, v9
	v_or3_b32 v5, v5, v9, v7
	v_mov_b32_e32 v18, v6
	v_mov_b32_e32 v17, v5
.LBB213_901:                            ;   in Loop: Header=BB213_554 Depth=1
	s_or_b32 exec_lo, exec_lo, s22
.LBB213_902:                            ;   in Loop: Header=BB213_554 Depth=1
	s_or_b32 exec_lo, exec_lo, s21
.LBB213_903:                            ;   in Loop: Header=BB213_554 Depth=1
	s_or_b32 exec_lo, exec_lo, s18
	v_cmp_ne_u16_sdwa s1, v97, v6 src0_sel:BYTE_1 src1_sel:DWORD
	s_and_saveexec_b32 s18, s1
	s_cbranch_execz .LBB213_911
; %bb.904:                              ;   in Loop: Header=BB213_554 Depth=1
	v_mov_b32_e32 v7, v6
	v_mov_b32_e32 v20, v8
	v_cmp_ne_u16_sdwa s1, v97, v45 src0_sel:BYTE_1 src1_sel:DWORD
	v_mov_b32_e32 v19, v7
	s_and_saveexec_b32 s21, s1
	s_cbranch_execz .LBB213_910
; %bb.905:                              ;   in Loop: Header=BB213_554 Depth=1
	v_and_b32_sdwa v5, v46, v97 dst_sel:DWORD dst_unused:UNUSED_PAD src0_sel:DWORD src1_sel:BYTE_1
	v_mov_b32_e32 v9, v6
	v_mov_b32_e32 v20, v10
	s_mov_b32 s22, exec_lo
	v_and_b32_e32 v21, 0x7f, v5
	v_mov_b32_e32 v19, v9
	v_cmpx_ne_u32_e32 0x7f, v21
	s_cbranch_execz .LBB213_909
; %bb.906:                              ;   in Loop: Header=BB213_554 Depth=1
	v_and_b32_e32 v5, 7, v5
	v_lshrrev_b32_e32 v7, 3, v21
	s_mov_b32 s24, exec_lo
	v_cmpx_gt_u32_e32 8, v21
; %bb.907:                              ;   in Loop: Header=BB213_554 Depth=1
	v_ffbh_u32_e32 v7, v5
	v_min_u32_e32 v7, 32, v7
	v_subrev_nc_u32_e32 v9, 28, v7
	v_sub_nc_u32_e32 v7, 29, v7
	v_lshlrev_b64 v[19:20], v9, v[5:6]
	v_and_b32_e32 v5, 7, v19
; %bb.908:                              ;   in Loop: Header=BB213_554 Depth=1
	s_or_b32 exec_lo, exec_lo, s24
	v_lshlrev_b32_e32 v9, 16, v97
	v_lshlrev_b32_e32 v5, 20, v5
	v_lshl_add_u32 v7, v7, 23, 0x3c000000
	v_mov_b32_e32 v19, v6
	v_and_b32_e32 v9, 0x80000000, v9
	v_or3_b32 v20, v5, v9, v7
.LBB213_909:                            ;   in Loop: Header=BB213_554 Depth=1
	s_or_b32 exec_lo, exec_lo, s22
.LBB213_910:                            ;   in Loop: Header=BB213_554 Depth=1
	s_or_b32 exec_lo, exec_lo, s21
.LBB213_911:                            ;   in Loop: Header=BB213_554 Depth=1
	s_or_b32 exec_lo, exec_lo, s18
	v_mov_b32_e32 v23, 0
	v_mov_b32_e32 v21, 0
	v_and_b32_sdwa v5, v97, v47 dst_sel:DWORD dst_unused:UNUSED_PAD src0_sel:WORD_1 src1_sel:DWORD
	v_mov_b32_e32 v24, 0
	v_mov_b32_e32 v22, 0
	s_mov_b32 s18, exec_lo
	v_cmpx_ne_u16_e32 0, v5
	s_cbranch_execz .LBB213_919
; %bb.912:                              ;   in Loop: Header=BB213_554 Depth=1
	v_bfrev_b32_e32 v21, 1
	v_mov_b32_e32 v22, 0
	s_mov_b32 s21, exec_lo
	v_cmpx_ne_u16_e32 0x80, v5
	s_cbranch_execz .LBB213_918
; %bb.913:                              ;   in Loop: Header=BB213_554 Depth=1
	v_mov_b32_e32 v21, 0x7f800001
	v_bfe_u32 v9, v97, 16, 7
	v_mov_b32_e32 v22, 0
	s_mov_b32 s22, exec_lo
	v_cmpx_ne_u32_e32 0x7f, v9
	s_cbranch_execz .LBB213_917
; %bb.914:                              ;   in Loop: Header=BB213_554 Depth=1
	v_and_b32_sdwa v5, v97, v48 dst_sel:DWORD dst_unused:UNUSED_PAD src0_sel:WORD_1 src1_sel:DWORD
	v_lshrrev_b32_e32 v7, 3, v9
	s_mov_b32 s24, exec_lo
	v_cmpx_gt_u32_e32 8, v9
; %bb.915:                              ;   in Loop: Header=BB213_554 Depth=1
	v_ffbh_u32_e32 v7, v5
	v_min_u32_e32 v7, 32, v7
	v_subrev_nc_u32_e32 v9, 28, v7
	v_sub_nc_u32_e32 v7, 29, v7
	v_lshlrev_b64 v[21:22], v9, v[5:6]
	v_and_b32_e32 v5, 7, v21
; %bb.916:                              ;   in Loop: Header=BB213_554 Depth=1
	s_or_b32 exec_lo, exec_lo, s24
	v_lshlrev_b32_sdwa v9, v50, v97 dst_sel:DWORD dst_unused:UNUSED_PAD src0_sel:DWORD src1_sel:WORD_1
	v_lshlrev_b32_e32 v5, 20, v5
	v_lshl_add_u32 v7, v7, 23, 0x3c000000
	v_and_b32_e32 v9, 0x80000000, v9
	v_or3_b32 v5, v5, v9, v7
	v_mov_b32_e32 v22, v6
	v_mov_b32_e32 v21, v5
.LBB213_917:                            ;   in Loop: Header=BB213_554 Depth=1
	s_or_b32 exec_lo, exec_lo, s22
.LBB213_918:                            ;   in Loop: Header=BB213_554 Depth=1
	s_or_b32 exec_lo, exec_lo, s21
.LBB213_919:                            ;   in Loop: Header=BB213_554 Depth=1
	s_or_b32 exec_lo, exec_lo, s18
	s_mov_b32 s18, exec_lo
	v_cmpx_lt_u32_e32 0xffffff, v97
	s_cbranch_execz .LBB213_927
; %bb.920:                              ;   in Loop: Header=BB213_554 Depth=1
	v_mov_b32_e32 v7, v6
	v_mov_b32_e32 v24, v8
	v_cmp_ne_u32_sdwa s1, v97, v45 src0_sel:BYTE_3 src1_sel:DWORD
	v_mov_b32_e32 v23, v7
	s_and_saveexec_b32 s21, s1
	s_cbranch_execz .LBB213_926
; %bb.921:                              ;   in Loop: Header=BB213_554 Depth=1
	v_mov_b32_e32 v9, v6
	v_mov_b32_e32 v24, v10
	v_bfe_u32 v98, v97, 24, 7
	s_mov_b32 s22, exec_lo
	v_mov_b32_e32 v23, v9
	v_cmpx_ne_u32_e32 0x7f, v98
	s_cbranch_execz .LBB213_925
; %bb.922:                              ;   in Loop: Header=BB213_554 Depth=1
	v_and_b32_sdwa v5, v97, v48 dst_sel:DWORD dst_unused:UNUSED_PAD src0_sel:BYTE_3 src1_sel:DWORD
	v_lshrrev_b32_e32 v7, 3, v98
	s_mov_b32 s24, exec_lo
	v_cmpx_gt_u32_e32 8, v98
; %bb.923:                              ;   in Loop: Header=BB213_554 Depth=1
	v_ffbh_u32_e32 v7, v5
	v_min_u32_e32 v7, 32, v7
	v_subrev_nc_u32_e32 v9, 28, v7
	v_sub_nc_u32_e32 v7, 29, v7
	v_lshlrev_b64 v[23:24], v9, v[5:6]
	v_and_b32_e32 v5, 7, v23
; %bb.924:                              ;   in Loop: Header=BB213_554 Depth=1
	s_or_b32 exec_lo, exec_lo, s24
	v_lshlrev_b32_sdwa v9, v50, v97 dst_sel:DWORD dst_unused:UNUSED_PAD src0_sel:DWORD src1_sel:BYTE_3
	v_lshlrev_b32_e32 v5, 20, v5
	v_lshl_add_u32 v7, v7, 23, 0x3c000000
	v_mov_b32_e32 v23, v6
	v_and_b32_e32 v9, 0x80000000, v9
	v_or3_b32 v24, v5, v9, v7
.LBB213_925:                            ;   in Loop: Header=BB213_554 Depth=1
	s_or_b32 exec_lo, exec_lo, s22
.LBB213_926:                            ;   in Loop: Header=BB213_554 Depth=1
	s_or_b32 exec_lo, exec_lo, s21
.LBB213_927:                            ;   in Loop: Header=BB213_554 Depth=1
	s_or_b32 exec_lo, exec_lo, s18
	v_or_b32_e32 v5, v20, v18
	v_or_b32_e32 v7, v19, v17
	;; [unrolled: 1-line block ×4, first 2 shown]
	v_mul_f32_e32 v99, s17, v5
	v_mul_f32_e32 v100, s13, v7
	;; [unrolled: 1-line block ×4, first 2 shown]
	s_and_saveexec_b32 s18, vcc_lo
	s_cbranch_execz .LBB213_929
; %bb.928:                              ;   in Loop: Header=BB213_554 Depth=1
	v_cmp_gt_i32_e64 s1, s31, v57
	v_cndmask_b32_e64 v100, 0, v100, s1
	v_cmp_gt_i32_e64 s1, s31, v60
	v_cndmask_b32_e64 v99, 0, v99, s1
	;; [unrolled: 2-line block ×4, first 2 shown]
.LBB213_929:                            ;   in Loop: Header=BB213_554 Depth=1
	s_or_b32 exec_lo, exec_lo, s18
	global_load_dword v101, v[15:16], off offset:1408
	v_mov_b32_e32 v19, 0
	v_mov_b32_e32 v17, 0
	;; [unrolled: 1-line block ×4, first 2 shown]
	s_waitcnt vmcnt(0)
	v_cmp_ne_u16_sdwa s1, v101, v6 src0_sel:BYTE_0 src1_sel:DWORD
	s_and_saveexec_b32 s18, s1
	s_cbranch_execz .LBB213_937
; %bb.930:                              ;   in Loop: Header=BB213_554 Depth=1
	v_bfrev_b32_e32 v17, 1
	v_mov_b32_e32 v18, 0
	v_cmp_ne_u16_sdwa s1, v101, v45 src0_sel:BYTE_0 src1_sel:DWORD
	s_and_saveexec_b32 s21, s1
	s_cbranch_execz .LBB213_936
; %bb.931:                              ;   in Loop: Header=BB213_554 Depth=1
	v_mov_b32_e32 v17, 0x7f800001
	v_and_b32_e32 v9, 0x7f, v101
	v_mov_b32_e32 v18, 0
	s_mov_b32 s22, exec_lo
	v_cmpx_ne_u32_e32 0x7f, v9
	s_cbranch_execz .LBB213_935
; %bb.932:                              ;   in Loop: Header=BB213_554 Depth=1
	v_and_b32_e32 v5, 7, v101
	v_lshrrev_b32_e32 v7, 3, v9
	s_mov_b32 s24, exec_lo
	v_cmpx_gt_u32_e32 8, v9
; %bb.933:                              ;   in Loop: Header=BB213_554 Depth=1
	v_ffbh_u32_e32 v7, v5
	v_min_u32_e32 v7, 32, v7
	v_subrev_nc_u32_e32 v9, 28, v7
	v_sub_nc_u32_e32 v7, 29, v7
	v_lshlrev_b64 v[17:18], v9, v[5:6]
	v_and_b32_e32 v5, 7, v17
; %bb.934:                              ;   in Loop: Header=BB213_554 Depth=1
	s_or_b32 exec_lo, exec_lo, s24
	v_lshlrev_b32_e32 v9, 24, v101
	v_lshlrev_b32_e32 v5, 20, v5
	v_lshl_add_u32 v7, v7, 23, 0x3c000000
	v_and_b32_e32 v9, 0x80000000, v9
	v_or3_b32 v5, v5, v9, v7
	v_mov_b32_e32 v18, v6
	v_mov_b32_e32 v17, v5
.LBB213_935:                            ;   in Loop: Header=BB213_554 Depth=1
	s_or_b32 exec_lo, exec_lo, s22
.LBB213_936:                            ;   in Loop: Header=BB213_554 Depth=1
	s_or_b32 exec_lo, exec_lo, s21
.LBB213_937:                            ;   in Loop: Header=BB213_554 Depth=1
	s_or_b32 exec_lo, exec_lo, s18
	v_cmp_ne_u16_sdwa s1, v101, v6 src0_sel:BYTE_1 src1_sel:DWORD
	s_and_saveexec_b32 s18, s1
	s_cbranch_execz .LBB213_945
; %bb.938:                              ;   in Loop: Header=BB213_554 Depth=1
	v_mov_b32_e32 v7, v6
	v_mov_b32_e32 v20, v8
	v_cmp_ne_u16_sdwa s1, v101, v45 src0_sel:BYTE_1 src1_sel:DWORD
	v_mov_b32_e32 v19, v7
	s_and_saveexec_b32 s21, s1
	s_cbranch_execz .LBB213_944
; %bb.939:                              ;   in Loop: Header=BB213_554 Depth=1
	v_and_b32_sdwa v5, v46, v101 dst_sel:DWORD dst_unused:UNUSED_PAD src0_sel:DWORD src1_sel:BYTE_1
	v_mov_b32_e32 v9, v6
	v_mov_b32_e32 v20, v10
	s_mov_b32 s22, exec_lo
	v_and_b32_e32 v21, 0x7f, v5
	v_mov_b32_e32 v19, v9
	v_cmpx_ne_u32_e32 0x7f, v21
	s_cbranch_execz .LBB213_943
; %bb.940:                              ;   in Loop: Header=BB213_554 Depth=1
	v_and_b32_e32 v5, 7, v5
	v_lshrrev_b32_e32 v7, 3, v21
	s_mov_b32 s24, exec_lo
	v_cmpx_gt_u32_e32 8, v21
; %bb.941:                              ;   in Loop: Header=BB213_554 Depth=1
	v_ffbh_u32_e32 v7, v5
	v_min_u32_e32 v7, 32, v7
	v_subrev_nc_u32_e32 v9, 28, v7
	v_sub_nc_u32_e32 v7, 29, v7
	v_lshlrev_b64 v[19:20], v9, v[5:6]
	v_and_b32_e32 v5, 7, v19
; %bb.942:                              ;   in Loop: Header=BB213_554 Depth=1
	s_or_b32 exec_lo, exec_lo, s24
	v_lshlrev_b32_e32 v9, 16, v101
	v_lshlrev_b32_e32 v5, 20, v5
	v_lshl_add_u32 v7, v7, 23, 0x3c000000
	v_mov_b32_e32 v19, v6
	v_and_b32_e32 v9, 0x80000000, v9
	v_or3_b32 v20, v5, v9, v7
.LBB213_943:                            ;   in Loop: Header=BB213_554 Depth=1
	s_or_b32 exec_lo, exec_lo, s22
.LBB213_944:                            ;   in Loop: Header=BB213_554 Depth=1
	s_or_b32 exec_lo, exec_lo, s21
.LBB213_945:                            ;   in Loop: Header=BB213_554 Depth=1
	s_or_b32 exec_lo, exec_lo, s18
	v_mov_b32_e32 v23, 0
	v_mov_b32_e32 v21, 0
	v_and_b32_sdwa v5, v101, v47 dst_sel:DWORD dst_unused:UNUSED_PAD src0_sel:WORD_1 src1_sel:DWORD
	v_mov_b32_e32 v24, 0
	v_mov_b32_e32 v22, 0
	s_mov_b32 s18, exec_lo
	v_cmpx_ne_u16_e32 0, v5
	s_cbranch_execz .LBB213_953
; %bb.946:                              ;   in Loop: Header=BB213_554 Depth=1
	v_bfrev_b32_e32 v21, 1
	v_mov_b32_e32 v22, 0
	s_mov_b32 s21, exec_lo
	v_cmpx_ne_u16_e32 0x80, v5
	s_cbranch_execz .LBB213_952
; %bb.947:                              ;   in Loop: Header=BB213_554 Depth=1
	v_mov_b32_e32 v21, 0x7f800001
	v_bfe_u32 v9, v101, 16, 7
	v_mov_b32_e32 v22, 0
	s_mov_b32 s22, exec_lo
	v_cmpx_ne_u32_e32 0x7f, v9
	s_cbranch_execz .LBB213_951
; %bb.948:                              ;   in Loop: Header=BB213_554 Depth=1
	v_and_b32_sdwa v5, v101, v48 dst_sel:DWORD dst_unused:UNUSED_PAD src0_sel:WORD_1 src1_sel:DWORD
	v_lshrrev_b32_e32 v7, 3, v9
	s_mov_b32 s24, exec_lo
	v_cmpx_gt_u32_e32 8, v9
; %bb.949:                              ;   in Loop: Header=BB213_554 Depth=1
	v_ffbh_u32_e32 v7, v5
	v_min_u32_e32 v7, 32, v7
	v_subrev_nc_u32_e32 v9, 28, v7
	v_sub_nc_u32_e32 v7, 29, v7
	v_lshlrev_b64 v[21:22], v9, v[5:6]
	v_and_b32_e32 v5, 7, v21
; %bb.950:                              ;   in Loop: Header=BB213_554 Depth=1
	s_or_b32 exec_lo, exec_lo, s24
	v_lshlrev_b32_sdwa v9, v50, v101 dst_sel:DWORD dst_unused:UNUSED_PAD src0_sel:DWORD src1_sel:WORD_1
	v_lshlrev_b32_e32 v5, 20, v5
	v_lshl_add_u32 v7, v7, 23, 0x3c000000
	v_and_b32_e32 v9, 0x80000000, v9
	v_or3_b32 v5, v5, v9, v7
	v_mov_b32_e32 v22, v6
	v_mov_b32_e32 v21, v5
.LBB213_951:                            ;   in Loop: Header=BB213_554 Depth=1
	s_or_b32 exec_lo, exec_lo, s22
.LBB213_952:                            ;   in Loop: Header=BB213_554 Depth=1
	s_or_b32 exec_lo, exec_lo, s21
.LBB213_953:                            ;   in Loop: Header=BB213_554 Depth=1
	s_or_b32 exec_lo, exec_lo, s18
	s_mov_b32 s18, exec_lo
	v_cmpx_lt_u32_e32 0xffffff, v101
	s_cbranch_execz .LBB213_961
; %bb.954:                              ;   in Loop: Header=BB213_554 Depth=1
	v_mov_b32_e32 v7, v6
	v_mov_b32_e32 v24, v8
	v_cmp_ne_u32_sdwa s1, v101, v45 src0_sel:BYTE_3 src1_sel:DWORD
	v_mov_b32_e32 v23, v7
	s_and_saveexec_b32 s21, s1
	s_cbranch_execz .LBB213_960
; %bb.955:                              ;   in Loop: Header=BB213_554 Depth=1
	v_mov_b32_e32 v9, v6
	v_mov_b32_e32 v24, v10
	v_bfe_u32 v102, v101, 24, 7
	s_mov_b32 s22, exec_lo
	v_mov_b32_e32 v23, v9
	v_cmpx_ne_u32_e32 0x7f, v102
	s_cbranch_execz .LBB213_959
; %bb.956:                              ;   in Loop: Header=BB213_554 Depth=1
	v_and_b32_sdwa v5, v101, v48 dst_sel:DWORD dst_unused:UNUSED_PAD src0_sel:BYTE_3 src1_sel:DWORD
	v_lshrrev_b32_e32 v7, 3, v102
	s_mov_b32 s24, exec_lo
	v_cmpx_gt_u32_e32 8, v102
; %bb.957:                              ;   in Loop: Header=BB213_554 Depth=1
	v_ffbh_u32_e32 v7, v5
	v_min_u32_e32 v7, 32, v7
	v_subrev_nc_u32_e32 v9, 28, v7
	v_sub_nc_u32_e32 v7, 29, v7
	v_lshlrev_b64 v[23:24], v9, v[5:6]
	v_and_b32_e32 v5, 7, v23
; %bb.958:                              ;   in Loop: Header=BB213_554 Depth=1
	s_or_b32 exec_lo, exec_lo, s24
	v_lshlrev_b32_sdwa v9, v50, v101 dst_sel:DWORD dst_unused:UNUSED_PAD src0_sel:DWORD src1_sel:BYTE_3
	v_lshlrev_b32_e32 v5, 20, v5
	v_lshl_add_u32 v7, v7, 23, 0x3c000000
	v_mov_b32_e32 v23, v6
	v_and_b32_e32 v9, 0x80000000, v9
	v_or3_b32 v24, v5, v9, v7
.LBB213_959:                            ;   in Loop: Header=BB213_554 Depth=1
	s_or_b32 exec_lo, exec_lo, s22
.LBB213_960:                            ;   in Loop: Header=BB213_554 Depth=1
	s_or_b32 exec_lo, exec_lo, s21
.LBB213_961:                            ;   in Loop: Header=BB213_554 Depth=1
	s_or_b32 exec_lo, exec_lo, s18
	v_or_b32_e32 v5, v20, v18
	v_or_b32_e32 v7, v19, v17
	;; [unrolled: 1-line block ×4, first 2 shown]
	v_mul_f32_e32 v103, s17, v5
	v_mul_f32_e32 v104, s13, v7
	;; [unrolled: 1-line block ×4, first 2 shown]
	s_and_saveexec_b32 s18, vcc_lo
	s_cbranch_execz .LBB213_963
; %bb.962:                              ;   in Loop: Header=BB213_554 Depth=1
	v_cmp_gt_i32_e64 s1, s31, v57
	v_cndmask_b32_e64 v104, 0, v104, s1
	v_cmp_gt_i32_e64 s1, s31, v60
	v_cndmask_b32_e64 v103, 0, v103, s1
	;; [unrolled: 2-line block ×4, first 2 shown]
.LBB213_963:                            ;   in Loop: Header=BB213_554 Depth=1
	s_or_b32 exec_lo, exec_lo, s18
	global_load_dword v105, v[15:16], off offset:1536
	v_mov_b32_e32 v19, 0
	v_mov_b32_e32 v17, 0
	v_mov_b32_e32 v20, 0
	v_mov_b32_e32 v18, 0
	s_waitcnt vmcnt(0)
	v_cmp_ne_u16_sdwa s1, v105, v6 src0_sel:BYTE_0 src1_sel:DWORD
	s_and_saveexec_b32 s18, s1
	s_cbranch_execz .LBB213_971
; %bb.964:                              ;   in Loop: Header=BB213_554 Depth=1
	v_bfrev_b32_e32 v17, 1
	v_mov_b32_e32 v18, 0
	v_cmp_ne_u16_sdwa s1, v105, v45 src0_sel:BYTE_0 src1_sel:DWORD
	s_and_saveexec_b32 s21, s1
	s_cbranch_execz .LBB213_970
; %bb.965:                              ;   in Loop: Header=BB213_554 Depth=1
	v_mov_b32_e32 v17, 0x7f800001
	v_and_b32_e32 v9, 0x7f, v105
	v_mov_b32_e32 v18, 0
	s_mov_b32 s22, exec_lo
	v_cmpx_ne_u32_e32 0x7f, v9
	s_cbranch_execz .LBB213_969
; %bb.966:                              ;   in Loop: Header=BB213_554 Depth=1
	v_and_b32_e32 v5, 7, v105
	v_lshrrev_b32_e32 v7, 3, v9
	s_mov_b32 s24, exec_lo
	v_cmpx_gt_u32_e32 8, v9
; %bb.967:                              ;   in Loop: Header=BB213_554 Depth=1
	v_ffbh_u32_e32 v7, v5
	v_min_u32_e32 v7, 32, v7
	v_subrev_nc_u32_e32 v9, 28, v7
	v_sub_nc_u32_e32 v7, 29, v7
	v_lshlrev_b64 v[17:18], v9, v[5:6]
	v_and_b32_e32 v5, 7, v17
; %bb.968:                              ;   in Loop: Header=BB213_554 Depth=1
	s_or_b32 exec_lo, exec_lo, s24
	v_lshlrev_b32_e32 v9, 24, v105
	v_lshlrev_b32_e32 v5, 20, v5
	v_lshl_add_u32 v7, v7, 23, 0x3c000000
	v_and_b32_e32 v9, 0x80000000, v9
	v_or3_b32 v5, v5, v9, v7
	v_mov_b32_e32 v18, v6
	v_mov_b32_e32 v17, v5
.LBB213_969:                            ;   in Loop: Header=BB213_554 Depth=1
	s_or_b32 exec_lo, exec_lo, s22
.LBB213_970:                            ;   in Loop: Header=BB213_554 Depth=1
	s_or_b32 exec_lo, exec_lo, s21
.LBB213_971:                            ;   in Loop: Header=BB213_554 Depth=1
	s_or_b32 exec_lo, exec_lo, s18
	v_cmp_ne_u16_sdwa s1, v105, v6 src0_sel:BYTE_1 src1_sel:DWORD
	s_and_saveexec_b32 s18, s1
	s_cbranch_execz .LBB213_979
; %bb.972:                              ;   in Loop: Header=BB213_554 Depth=1
	v_mov_b32_e32 v7, v6
	v_mov_b32_e32 v20, v8
	v_cmp_ne_u16_sdwa s1, v105, v45 src0_sel:BYTE_1 src1_sel:DWORD
	v_mov_b32_e32 v19, v7
	s_and_saveexec_b32 s21, s1
	s_cbranch_execz .LBB213_978
; %bb.973:                              ;   in Loop: Header=BB213_554 Depth=1
	v_and_b32_sdwa v5, v46, v105 dst_sel:DWORD dst_unused:UNUSED_PAD src0_sel:DWORD src1_sel:BYTE_1
	v_mov_b32_e32 v9, v6
	v_mov_b32_e32 v20, v10
	s_mov_b32 s22, exec_lo
	v_and_b32_e32 v21, 0x7f, v5
	v_mov_b32_e32 v19, v9
	v_cmpx_ne_u32_e32 0x7f, v21
	s_cbranch_execz .LBB213_977
; %bb.974:                              ;   in Loop: Header=BB213_554 Depth=1
	v_and_b32_e32 v5, 7, v5
	v_lshrrev_b32_e32 v7, 3, v21
	s_mov_b32 s24, exec_lo
	v_cmpx_gt_u32_e32 8, v21
; %bb.975:                              ;   in Loop: Header=BB213_554 Depth=1
	v_ffbh_u32_e32 v7, v5
	v_min_u32_e32 v7, 32, v7
	v_subrev_nc_u32_e32 v9, 28, v7
	v_sub_nc_u32_e32 v7, 29, v7
	v_lshlrev_b64 v[19:20], v9, v[5:6]
	v_and_b32_e32 v5, 7, v19
; %bb.976:                              ;   in Loop: Header=BB213_554 Depth=1
	s_or_b32 exec_lo, exec_lo, s24
	v_lshlrev_b32_e32 v9, 16, v105
	v_lshlrev_b32_e32 v5, 20, v5
	v_lshl_add_u32 v7, v7, 23, 0x3c000000
	v_mov_b32_e32 v19, v6
	v_and_b32_e32 v9, 0x80000000, v9
	v_or3_b32 v20, v5, v9, v7
.LBB213_977:                            ;   in Loop: Header=BB213_554 Depth=1
	s_or_b32 exec_lo, exec_lo, s22
.LBB213_978:                            ;   in Loop: Header=BB213_554 Depth=1
	s_or_b32 exec_lo, exec_lo, s21
.LBB213_979:                            ;   in Loop: Header=BB213_554 Depth=1
	s_or_b32 exec_lo, exec_lo, s18
	v_mov_b32_e32 v23, 0
	v_mov_b32_e32 v21, 0
	v_and_b32_sdwa v5, v105, v47 dst_sel:DWORD dst_unused:UNUSED_PAD src0_sel:WORD_1 src1_sel:DWORD
	v_mov_b32_e32 v24, 0
	v_mov_b32_e32 v22, 0
	s_mov_b32 s18, exec_lo
	v_cmpx_ne_u16_e32 0, v5
	s_cbranch_execz .LBB213_987
; %bb.980:                              ;   in Loop: Header=BB213_554 Depth=1
	v_bfrev_b32_e32 v21, 1
	v_mov_b32_e32 v22, 0
	s_mov_b32 s21, exec_lo
	v_cmpx_ne_u16_e32 0x80, v5
	s_cbranch_execz .LBB213_986
; %bb.981:                              ;   in Loop: Header=BB213_554 Depth=1
	v_mov_b32_e32 v21, 0x7f800001
	v_bfe_u32 v9, v105, 16, 7
	v_mov_b32_e32 v22, 0
	s_mov_b32 s22, exec_lo
	v_cmpx_ne_u32_e32 0x7f, v9
	s_cbranch_execz .LBB213_985
; %bb.982:                              ;   in Loop: Header=BB213_554 Depth=1
	v_and_b32_sdwa v5, v105, v48 dst_sel:DWORD dst_unused:UNUSED_PAD src0_sel:WORD_1 src1_sel:DWORD
	v_lshrrev_b32_e32 v7, 3, v9
	s_mov_b32 s24, exec_lo
	v_cmpx_gt_u32_e32 8, v9
; %bb.983:                              ;   in Loop: Header=BB213_554 Depth=1
	v_ffbh_u32_e32 v7, v5
	v_min_u32_e32 v7, 32, v7
	v_subrev_nc_u32_e32 v9, 28, v7
	v_sub_nc_u32_e32 v7, 29, v7
	v_lshlrev_b64 v[21:22], v9, v[5:6]
	v_and_b32_e32 v5, 7, v21
; %bb.984:                              ;   in Loop: Header=BB213_554 Depth=1
	s_or_b32 exec_lo, exec_lo, s24
	v_lshlrev_b32_sdwa v9, v50, v105 dst_sel:DWORD dst_unused:UNUSED_PAD src0_sel:DWORD src1_sel:WORD_1
	v_lshlrev_b32_e32 v5, 20, v5
	v_lshl_add_u32 v7, v7, 23, 0x3c000000
	v_and_b32_e32 v9, 0x80000000, v9
	v_or3_b32 v5, v5, v9, v7
	v_mov_b32_e32 v22, v6
	v_mov_b32_e32 v21, v5
.LBB213_985:                            ;   in Loop: Header=BB213_554 Depth=1
	s_or_b32 exec_lo, exec_lo, s22
.LBB213_986:                            ;   in Loop: Header=BB213_554 Depth=1
	s_or_b32 exec_lo, exec_lo, s21
.LBB213_987:                            ;   in Loop: Header=BB213_554 Depth=1
	s_or_b32 exec_lo, exec_lo, s18
	s_mov_b32 s18, exec_lo
	v_cmpx_lt_u32_e32 0xffffff, v105
	s_cbranch_execz .LBB213_995
; %bb.988:                              ;   in Loop: Header=BB213_554 Depth=1
	v_mov_b32_e32 v7, v6
	v_mov_b32_e32 v24, v8
	v_cmp_ne_u32_sdwa s1, v105, v45 src0_sel:BYTE_3 src1_sel:DWORD
	v_mov_b32_e32 v23, v7
	s_and_saveexec_b32 s21, s1
	s_cbranch_execz .LBB213_994
; %bb.989:                              ;   in Loop: Header=BB213_554 Depth=1
	v_mov_b32_e32 v9, v6
	v_mov_b32_e32 v24, v10
	v_bfe_u32 v106, v105, 24, 7
	s_mov_b32 s22, exec_lo
	v_mov_b32_e32 v23, v9
	v_cmpx_ne_u32_e32 0x7f, v106
	s_cbranch_execz .LBB213_993
; %bb.990:                              ;   in Loop: Header=BB213_554 Depth=1
	v_and_b32_sdwa v5, v105, v48 dst_sel:DWORD dst_unused:UNUSED_PAD src0_sel:BYTE_3 src1_sel:DWORD
	v_lshrrev_b32_e32 v7, 3, v106
	s_mov_b32 s24, exec_lo
	v_cmpx_gt_u32_e32 8, v106
; %bb.991:                              ;   in Loop: Header=BB213_554 Depth=1
	v_ffbh_u32_e32 v7, v5
	v_min_u32_e32 v7, 32, v7
	v_subrev_nc_u32_e32 v9, 28, v7
	v_sub_nc_u32_e32 v7, 29, v7
	v_lshlrev_b64 v[23:24], v9, v[5:6]
	v_and_b32_e32 v5, 7, v23
; %bb.992:                              ;   in Loop: Header=BB213_554 Depth=1
	s_or_b32 exec_lo, exec_lo, s24
	v_lshlrev_b32_sdwa v9, v50, v105 dst_sel:DWORD dst_unused:UNUSED_PAD src0_sel:DWORD src1_sel:BYTE_3
	v_lshlrev_b32_e32 v5, 20, v5
	v_lshl_add_u32 v7, v7, 23, 0x3c000000
	v_mov_b32_e32 v23, v6
	v_and_b32_e32 v9, 0x80000000, v9
	v_or3_b32 v24, v5, v9, v7
.LBB213_993:                            ;   in Loop: Header=BB213_554 Depth=1
	s_or_b32 exec_lo, exec_lo, s22
.LBB213_994:                            ;   in Loop: Header=BB213_554 Depth=1
	s_or_b32 exec_lo, exec_lo, s21
.LBB213_995:                            ;   in Loop: Header=BB213_554 Depth=1
	s_or_b32 exec_lo, exec_lo, s18
	v_or_b32_e32 v5, v20, v18
	v_or_b32_e32 v7, v19, v17
	;; [unrolled: 1-line block ×4, first 2 shown]
	v_mul_f32_e32 v107, s17, v5
	v_mul_f32_e32 v108, s13, v7
	;; [unrolled: 1-line block ×4, first 2 shown]
	s_and_saveexec_b32 s18, vcc_lo
	s_cbranch_execz .LBB213_997
; %bb.996:                              ;   in Loop: Header=BB213_554 Depth=1
	v_cmp_gt_i32_e64 s1, s31, v57
	v_cndmask_b32_e64 v108, 0, v108, s1
	v_cmp_gt_i32_e64 s1, s31, v60
	v_cndmask_b32_e64 v107, 0, v107, s1
	;; [unrolled: 2-line block ×4, first 2 shown]
.LBB213_997:                            ;   in Loop: Header=BB213_554 Depth=1
	s_or_b32 exec_lo, exec_lo, s18
	global_load_dword v109, v[15:16], off offset:1664
	v_mov_b32_e32 v19, 0
	v_mov_b32_e32 v17, 0
	;; [unrolled: 1-line block ×4, first 2 shown]
	s_waitcnt vmcnt(0)
	v_cmp_ne_u16_sdwa s1, v109, v6 src0_sel:BYTE_0 src1_sel:DWORD
	s_and_saveexec_b32 s18, s1
	s_cbranch_execz .LBB213_1005
; %bb.998:                              ;   in Loop: Header=BB213_554 Depth=1
	v_bfrev_b32_e32 v17, 1
	v_mov_b32_e32 v18, 0
	v_cmp_ne_u16_sdwa s1, v109, v45 src0_sel:BYTE_0 src1_sel:DWORD
	s_and_saveexec_b32 s21, s1
	s_cbranch_execz .LBB213_1004
; %bb.999:                              ;   in Loop: Header=BB213_554 Depth=1
	v_mov_b32_e32 v17, 0x7f800001
	v_and_b32_e32 v9, 0x7f, v109
	v_mov_b32_e32 v18, 0
	s_mov_b32 s22, exec_lo
	v_cmpx_ne_u32_e32 0x7f, v9
	s_cbranch_execz .LBB213_1003
; %bb.1000:                             ;   in Loop: Header=BB213_554 Depth=1
	v_and_b32_e32 v5, 7, v109
	v_lshrrev_b32_e32 v7, 3, v9
	s_mov_b32 s24, exec_lo
	v_cmpx_gt_u32_e32 8, v9
; %bb.1001:                             ;   in Loop: Header=BB213_554 Depth=1
	v_ffbh_u32_e32 v7, v5
	v_min_u32_e32 v7, 32, v7
	v_subrev_nc_u32_e32 v9, 28, v7
	v_sub_nc_u32_e32 v7, 29, v7
	v_lshlrev_b64 v[17:18], v9, v[5:6]
	v_and_b32_e32 v5, 7, v17
; %bb.1002:                             ;   in Loop: Header=BB213_554 Depth=1
	s_or_b32 exec_lo, exec_lo, s24
	v_lshlrev_b32_e32 v9, 24, v109
	v_lshlrev_b32_e32 v5, 20, v5
	v_lshl_add_u32 v7, v7, 23, 0x3c000000
	v_and_b32_e32 v9, 0x80000000, v9
	v_or3_b32 v5, v5, v9, v7
	v_mov_b32_e32 v18, v6
	v_mov_b32_e32 v17, v5
.LBB213_1003:                           ;   in Loop: Header=BB213_554 Depth=1
	s_or_b32 exec_lo, exec_lo, s22
.LBB213_1004:                           ;   in Loop: Header=BB213_554 Depth=1
	s_or_b32 exec_lo, exec_lo, s21
.LBB213_1005:                           ;   in Loop: Header=BB213_554 Depth=1
	s_or_b32 exec_lo, exec_lo, s18
	v_cmp_ne_u16_sdwa s1, v109, v6 src0_sel:BYTE_1 src1_sel:DWORD
	s_and_saveexec_b32 s18, s1
	s_cbranch_execz .LBB213_1013
; %bb.1006:                             ;   in Loop: Header=BB213_554 Depth=1
	v_mov_b32_e32 v7, v6
	v_mov_b32_e32 v20, v8
	v_cmp_ne_u16_sdwa s1, v109, v45 src0_sel:BYTE_1 src1_sel:DWORD
	v_mov_b32_e32 v19, v7
	s_and_saveexec_b32 s21, s1
	s_cbranch_execz .LBB213_1012
; %bb.1007:                             ;   in Loop: Header=BB213_554 Depth=1
	v_and_b32_sdwa v5, v46, v109 dst_sel:DWORD dst_unused:UNUSED_PAD src0_sel:DWORD src1_sel:BYTE_1
	v_mov_b32_e32 v9, v6
	v_mov_b32_e32 v20, v10
	s_mov_b32 s22, exec_lo
	v_and_b32_e32 v21, 0x7f, v5
	v_mov_b32_e32 v19, v9
	v_cmpx_ne_u32_e32 0x7f, v21
	s_cbranch_execz .LBB213_1011
; %bb.1008:                             ;   in Loop: Header=BB213_554 Depth=1
	v_and_b32_e32 v5, 7, v5
	v_lshrrev_b32_e32 v7, 3, v21
	s_mov_b32 s24, exec_lo
	v_cmpx_gt_u32_e32 8, v21
; %bb.1009:                             ;   in Loop: Header=BB213_554 Depth=1
	v_ffbh_u32_e32 v7, v5
	v_min_u32_e32 v7, 32, v7
	v_subrev_nc_u32_e32 v9, 28, v7
	v_sub_nc_u32_e32 v7, 29, v7
	v_lshlrev_b64 v[19:20], v9, v[5:6]
	v_and_b32_e32 v5, 7, v19
; %bb.1010:                             ;   in Loop: Header=BB213_554 Depth=1
	s_or_b32 exec_lo, exec_lo, s24
	v_lshlrev_b32_e32 v9, 16, v109
	v_lshlrev_b32_e32 v5, 20, v5
	v_lshl_add_u32 v7, v7, 23, 0x3c000000
	v_mov_b32_e32 v19, v6
	v_and_b32_e32 v9, 0x80000000, v9
	v_or3_b32 v20, v5, v9, v7
.LBB213_1011:                           ;   in Loop: Header=BB213_554 Depth=1
	s_or_b32 exec_lo, exec_lo, s22
.LBB213_1012:                           ;   in Loop: Header=BB213_554 Depth=1
	s_or_b32 exec_lo, exec_lo, s21
.LBB213_1013:                           ;   in Loop: Header=BB213_554 Depth=1
	s_or_b32 exec_lo, exec_lo, s18
	v_mov_b32_e32 v23, 0
	v_mov_b32_e32 v21, 0
	v_and_b32_sdwa v5, v109, v47 dst_sel:DWORD dst_unused:UNUSED_PAD src0_sel:WORD_1 src1_sel:DWORD
	v_mov_b32_e32 v24, 0
	v_mov_b32_e32 v22, 0
	s_mov_b32 s18, exec_lo
	v_cmpx_ne_u16_e32 0, v5
	s_cbranch_execz .LBB213_1021
; %bb.1014:                             ;   in Loop: Header=BB213_554 Depth=1
	v_bfrev_b32_e32 v21, 1
	v_mov_b32_e32 v22, 0
	s_mov_b32 s21, exec_lo
	v_cmpx_ne_u16_e32 0x80, v5
	s_cbranch_execz .LBB213_1020
; %bb.1015:                             ;   in Loop: Header=BB213_554 Depth=1
	v_mov_b32_e32 v21, 0x7f800001
	v_bfe_u32 v9, v109, 16, 7
	v_mov_b32_e32 v22, 0
	s_mov_b32 s22, exec_lo
	v_cmpx_ne_u32_e32 0x7f, v9
	s_cbranch_execz .LBB213_1019
; %bb.1016:                             ;   in Loop: Header=BB213_554 Depth=1
	v_and_b32_sdwa v5, v109, v48 dst_sel:DWORD dst_unused:UNUSED_PAD src0_sel:WORD_1 src1_sel:DWORD
	v_lshrrev_b32_e32 v7, 3, v9
	s_mov_b32 s24, exec_lo
	v_cmpx_gt_u32_e32 8, v9
; %bb.1017:                             ;   in Loop: Header=BB213_554 Depth=1
	v_ffbh_u32_e32 v7, v5
	v_min_u32_e32 v7, 32, v7
	v_subrev_nc_u32_e32 v9, 28, v7
	v_sub_nc_u32_e32 v7, 29, v7
	v_lshlrev_b64 v[21:22], v9, v[5:6]
	v_and_b32_e32 v5, 7, v21
; %bb.1018:                             ;   in Loop: Header=BB213_554 Depth=1
	s_or_b32 exec_lo, exec_lo, s24
	v_lshlrev_b32_sdwa v9, v50, v109 dst_sel:DWORD dst_unused:UNUSED_PAD src0_sel:DWORD src1_sel:WORD_1
	v_lshlrev_b32_e32 v5, 20, v5
	v_lshl_add_u32 v7, v7, 23, 0x3c000000
	v_and_b32_e32 v9, 0x80000000, v9
	v_or3_b32 v5, v5, v9, v7
	v_mov_b32_e32 v22, v6
	v_mov_b32_e32 v21, v5
.LBB213_1019:                           ;   in Loop: Header=BB213_554 Depth=1
	s_or_b32 exec_lo, exec_lo, s22
.LBB213_1020:                           ;   in Loop: Header=BB213_554 Depth=1
	s_or_b32 exec_lo, exec_lo, s21
.LBB213_1021:                           ;   in Loop: Header=BB213_554 Depth=1
	s_or_b32 exec_lo, exec_lo, s18
	s_mov_b32 s18, exec_lo
	v_cmpx_lt_u32_e32 0xffffff, v109
	s_cbranch_execz .LBB213_1029
; %bb.1022:                             ;   in Loop: Header=BB213_554 Depth=1
	v_mov_b32_e32 v7, v6
	v_mov_b32_e32 v24, v8
	v_cmp_ne_u32_sdwa s1, v109, v45 src0_sel:BYTE_3 src1_sel:DWORD
	v_mov_b32_e32 v23, v7
	s_and_saveexec_b32 s21, s1
	s_cbranch_execz .LBB213_1028
; %bb.1023:                             ;   in Loop: Header=BB213_554 Depth=1
	v_mov_b32_e32 v9, v6
	v_mov_b32_e32 v24, v10
	v_bfe_u32 v110, v109, 24, 7
	s_mov_b32 s22, exec_lo
	v_mov_b32_e32 v23, v9
	v_cmpx_ne_u32_e32 0x7f, v110
	s_cbranch_execz .LBB213_1027
; %bb.1024:                             ;   in Loop: Header=BB213_554 Depth=1
	v_and_b32_sdwa v5, v109, v48 dst_sel:DWORD dst_unused:UNUSED_PAD src0_sel:BYTE_3 src1_sel:DWORD
	v_lshrrev_b32_e32 v7, 3, v110
	s_mov_b32 s24, exec_lo
	v_cmpx_gt_u32_e32 8, v110
; %bb.1025:                             ;   in Loop: Header=BB213_554 Depth=1
	v_ffbh_u32_e32 v7, v5
	v_min_u32_e32 v7, 32, v7
	v_subrev_nc_u32_e32 v9, 28, v7
	v_sub_nc_u32_e32 v7, 29, v7
	v_lshlrev_b64 v[23:24], v9, v[5:6]
	v_and_b32_e32 v5, 7, v23
; %bb.1026:                             ;   in Loop: Header=BB213_554 Depth=1
	s_or_b32 exec_lo, exec_lo, s24
	v_lshlrev_b32_sdwa v9, v50, v109 dst_sel:DWORD dst_unused:UNUSED_PAD src0_sel:DWORD src1_sel:BYTE_3
	v_lshlrev_b32_e32 v5, 20, v5
	v_lshl_add_u32 v7, v7, 23, 0x3c000000
	v_mov_b32_e32 v23, v6
	v_and_b32_e32 v9, 0x80000000, v9
	v_or3_b32 v24, v5, v9, v7
.LBB213_1027:                           ;   in Loop: Header=BB213_554 Depth=1
	s_or_b32 exec_lo, exec_lo, s22
.LBB213_1028:                           ;   in Loop: Header=BB213_554 Depth=1
	s_or_b32 exec_lo, exec_lo, s21
.LBB213_1029:                           ;   in Loop: Header=BB213_554 Depth=1
	s_or_b32 exec_lo, exec_lo, s18
	v_or_b32_e32 v5, v20, v18
	v_or_b32_e32 v7, v19, v17
	;; [unrolled: 1-line block ×4, first 2 shown]
	v_mul_f32_e32 v111, s17, v5
	v_mul_f32_e32 v112, s13, v7
	;; [unrolled: 1-line block ×4, first 2 shown]
	s_and_saveexec_b32 s18, vcc_lo
	s_cbranch_execz .LBB213_1031
; %bb.1030:                             ;   in Loop: Header=BB213_554 Depth=1
	v_cmp_gt_i32_e64 s1, s31, v57
	v_cndmask_b32_e64 v112, 0, v112, s1
	v_cmp_gt_i32_e64 s1, s31, v60
	v_cndmask_b32_e64 v111, 0, v111, s1
	;; [unrolled: 2-line block ×4, first 2 shown]
.LBB213_1031:                           ;   in Loop: Header=BB213_554 Depth=1
	s_or_b32 exec_lo, exec_lo, s18
	global_load_dword v113, v[15:16], off offset:1792
	v_mov_b32_e32 v19, 0
	v_mov_b32_e32 v17, 0
	;; [unrolled: 1-line block ×4, first 2 shown]
	s_waitcnt vmcnt(0)
	v_cmp_ne_u16_sdwa s1, v113, v6 src0_sel:BYTE_0 src1_sel:DWORD
	s_and_saveexec_b32 s18, s1
	s_cbranch_execz .LBB213_1039
; %bb.1032:                             ;   in Loop: Header=BB213_554 Depth=1
	v_bfrev_b32_e32 v17, 1
	v_mov_b32_e32 v18, 0
	v_cmp_ne_u16_sdwa s1, v113, v45 src0_sel:BYTE_0 src1_sel:DWORD
	s_and_saveexec_b32 s21, s1
	s_cbranch_execz .LBB213_1038
; %bb.1033:                             ;   in Loop: Header=BB213_554 Depth=1
	v_mov_b32_e32 v17, 0x7f800001
	v_and_b32_e32 v9, 0x7f, v113
	v_mov_b32_e32 v18, 0
	s_mov_b32 s22, exec_lo
	v_cmpx_ne_u32_e32 0x7f, v9
	s_cbranch_execz .LBB213_1037
; %bb.1034:                             ;   in Loop: Header=BB213_554 Depth=1
	v_and_b32_e32 v5, 7, v113
	v_lshrrev_b32_e32 v7, 3, v9
	s_mov_b32 s24, exec_lo
	v_cmpx_gt_u32_e32 8, v9
; %bb.1035:                             ;   in Loop: Header=BB213_554 Depth=1
	v_ffbh_u32_e32 v7, v5
	v_min_u32_e32 v7, 32, v7
	v_subrev_nc_u32_e32 v9, 28, v7
	v_sub_nc_u32_e32 v7, 29, v7
	v_lshlrev_b64 v[17:18], v9, v[5:6]
	v_and_b32_e32 v5, 7, v17
; %bb.1036:                             ;   in Loop: Header=BB213_554 Depth=1
	s_or_b32 exec_lo, exec_lo, s24
	v_lshlrev_b32_e32 v9, 24, v113
	v_lshlrev_b32_e32 v5, 20, v5
	v_lshl_add_u32 v7, v7, 23, 0x3c000000
	v_and_b32_e32 v9, 0x80000000, v9
	v_or3_b32 v5, v5, v9, v7
	v_mov_b32_e32 v18, v6
	v_mov_b32_e32 v17, v5
.LBB213_1037:                           ;   in Loop: Header=BB213_554 Depth=1
	s_or_b32 exec_lo, exec_lo, s22
.LBB213_1038:                           ;   in Loop: Header=BB213_554 Depth=1
	s_or_b32 exec_lo, exec_lo, s21
.LBB213_1039:                           ;   in Loop: Header=BB213_554 Depth=1
	s_or_b32 exec_lo, exec_lo, s18
	v_cmp_ne_u16_sdwa s1, v113, v6 src0_sel:BYTE_1 src1_sel:DWORD
	s_and_saveexec_b32 s18, s1
	s_cbranch_execz .LBB213_1047
; %bb.1040:                             ;   in Loop: Header=BB213_554 Depth=1
	v_mov_b32_e32 v7, v6
	v_mov_b32_e32 v20, v8
	v_cmp_ne_u16_sdwa s1, v113, v45 src0_sel:BYTE_1 src1_sel:DWORD
	v_mov_b32_e32 v19, v7
	s_and_saveexec_b32 s21, s1
	s_cbranch_execz .LBB213_1046
; %bb.1041:                             ;   in Loop: Header=BB213_554 Depth=1
	v_and_b32_sdwa v5, v46, v113 dst_sel:DWORD dst_unused:UNUSED_PAD src0_sel:DWORD src1_sel:BYTE_1
	v_mov_b32_e32 v9, v6
	v_mov_b32_e32 v20, v10
	s_mov_b32 s22, exec_lo
	v_and_b32_e32 v21, 0x7f, v5
	v_mov_b32_e32 v19, v9
	v_cmpx_ne_u32_e32 0x7f, v21
	s_cbranch_execz .LBB213_1045
; %bb.1042:                             ;   in Loop: Header=BB213_554 Depth=1
	v_and_b32_e32 v5, 7, v5
	v_lshrrev_b32_e32 v7, 3, v21
	s_mov_b32 s24, exec_lo
	v_cmpx_gt_u32_e32 8, v21
; %bb.1043:                             ;   in Loop: Header=BB213_554 Depth=1
	v_ffbh_u32_e32 v7, v5
	v_min_u32_e32 v7, 32, v7
	v_subrev_nc_u32_e32 v9, 28, v7
	v_sub_nc_u32_e32 v7, 29, v7
	v_lshlrev_b64 v[19:20], v9, v[5:6]
	v_and_b32_e32 v5, 7, v19
; %bb.1044:                             ;   in Loop: Header=BB213_554 Depth=1
	s_or_b32 exec_lo, exec_lo, s24
	v_lshlrev_b32_e32 v9, 16, v113
	v_lshlrev_b32_e32 v5, 20, v5
	v_lshl_add_u32 v7, v7, 23, 0x3c000000
	v_mov_b32_e32 v19, v6
	v_and_b32_e32 v9, 0x80000000, v9
	v_or3_b32 v20, v5, v9, v7
.LBB213_1045:                           ;   in Loop: Header=BB213_554 Depth=1
	s_or_b32 exec_lo, exec_lo, s22
.LBB213_1046:                           ;   in Loop: Header=BB213_554 Depth=1
	s_or_b32 exec_lo, exec_lo, s21
.LBB213_1047:                           ;   in Loop: Header=BB213_554 Depth=1
	s_or_b32 exec_lo, exec_lo, s18
	v_mov_b32_e32 v23, 0
	v_mov_b32_e32 v21, 0
	v_and_b32_sdwa v5, v113, v47 dst_sel:DWORD dst_unused:UNUSED_PAD src0_sel:WORD_1 src1_sel:DWORD
	v_mov_b32_e32 v24, 0
	v_mov_b32_e32 v22, 0
	s_mov_b32 s18, exec_lo
	v_cmpx_ne_u16_e32 0, v5
	s_cbranch_execz .LBB213_1055
; %bb.1048:                             ;   in Loop: Header=BB213_554 Depth=1
	v_bfrev_b32_e32 v21, 1
	v_mov_b32_e32 v22, 0
	s_mov_b32 s21, exec_lo
	v_cmpx_ne_u16_e32 0x80, v5
	s_cbranch_execz .LBB213_1054
; %bb.1049:                             ;   in Loop: Header=BB213_554 Depth=1
	v_mov_b32_e32 v21, 0x7f800001
	v_bfe_u32 v9, v113, 16, 7
	v_mov_b32_e32 v22, 0
	s_mov_b32 s22, exec_lo
	v_cmpx_ne_u32_e32 0x7f, v9
	s_cbranch_execz .LBB213_1053
; %bb.1050:                             ;   in Loop: Header=BB213_554 Depth=1
	v_and_b32_sdwa v5, v113, v48 dst_sel:DWORD dst_unused:UNUSED_PAD src0_sel:WORD_1 src1_sel:DWORD
	v_lshrrev_b32_e32 v7, 3, v9
	s_mov_b32 s24, exec_lo
	v_cmpx_gt_u32_e32 8, v9
; %bb.1051:                             ;   in Loop: Header=BB213_554 Depth=1
	v_ffbh_u32_e32 v7, v5
	v_min_u32_e32 v7, 32, v7
	v_subrev_nc_u32_e32 v9, 28, v7
	v_sub_nc_u32_e32 v7, 29, v7
	v_lshlrev_b64 v[21:22], v9, v[5:6]
	v_and_b32_e32 v5, 7, v21
; %bb.1052:                             ;   in Loop: Header=BB213_554 Depth=1
	s_or_b32 exec_lo, exec_lo, s24
	v_lshlrev_b32_sdwa v9, v50, v113 dst_sel:DWORD dst_unused:UNUSED_PAD src0_sel:DWORD src1_sel:WORD_1
	v_lshlrev_b32_e32 v5, 20, v5
	v_lshl_add_u32 v7, v7, 23, 0x3c000000
	v_and_b32_e32 v9, 0x80000000, v9
	v_or3_b32 v5, v5, v9, v7
	v_mov_b32_e32 v22, v6
	v_mov_b32_e32 v21, v5
.LBB213_1053:                           ;   in Loop: Header=BB213_554 Depth=1
	s_or_b32 exec_lo, exec_lo, s22
.LBB213_1054:                           ;   in Loop: Header=BB213_554 Depth=1
	s_or_b32 exec_lo, exec_lo, s21
.LBB213_1055:                           ;   in Loop: Header=BB213_554 Depth=1
	s_or_b32 exec_lo, exec_lo, s18
	s_mov_b32 s18, exec_lo
	v_cmpx_lt_u32_e32 0xffffff, v113
	s_cbranch_execz .LBB213_1063
; %bb.1056:                             ;   in Loop: Header=BB213_554 Depth=1
	v_mov_b32_e32 v7, v6
	v_mov_b32_e32 v24, v8
	v_cmp_ne_u32_sdwa s1, v113, v45 src0_sel:BYTE_3 src1_sel:DWORD
	v_mov_b32_e32 v23, v7
	s_and_saveexec_b32 s21, s1
	s_cbranch_execz .LBB213_1062
; %bb.1057:                             ;   in Loop: Header=BB213_554 Depth=1
	v_mov_b32_e32 v9, v6
	v_mov_b32_e32 v24, v10
	v_bfe_u32 v114, v113, 24, 7
	s_mov_b32 s22, exec_lo
	v_mov_b32_e32 v23, v9
	v_cmpx_ne_u32_e32 0x7f, v114
	s_cbranch_execz .LBB213_1061
; %bb.1058:                             ;   in Loop: Header=BB213_554 Depth=1
	v_and_b32_sdwa v5, v113, v48 dst_sel:DWORD dst_unused:UNUSED_PAD src0_sel:BYTE_3 src1_sel:DWORD
	v_lshrrev_b32_e32 v7, 3, v114
	s_mov_b32 s24, exec_lo
	v_cmpx_gt_u32_e32 8, v114
; %bb.1059:                             ;   in Loop: Header=BB213_554 Depth=1
	v_ffbh_u32_e32 v7, v5
	v_min_u32_e32 v7, 32, v7
	v_subrev_nc_u32_e32 v9, 28, v7
	v_sub_nc_u32_e32 v7, 29, v7
	v_lshlrev_b64 v[23:24], v9, v[5:6]
	v_and_b32_e32 v5, 7, v23
; %bb.1060:                             ;   in Loop: Header=BB213_554 Depth=1
	s_or_b32 exec_lo, exec_lo, s24
	v_lshlrev_b32_sdwa v9, v50, v113 dst_sel:DWORD dst_unused:UNUSED_PAD src0_sel:DWORD src1_sel:BYTE_3
	v_lshlrev_b32_e32 v5, 20, v5
	v_lshl_add_u32 v7, v7, 23, 0x3c000000
	v_mov_b32_e32 v23, v6
	v_and_b32_e32 v9, 0x80000000, v9
	v_or3_b32 v24, v5, v9, v7
.LBB213_1061:                           ;   in Loop: Header=BB213_554 Depth=1
	s_or_b32 exec_lo, exec_lo, s22
.LBB213_1062:                           ;   in Loop: Header=BB213_554 Depth=1
	s_or_b32 exec_lo, exec_lo, s21
.LBB213_1063:                           ;   in Loop: Header=BB213_554 Depth=1
	s_or_b32 exec_lo, exec_lo, s18
	v_or_b32_e32 v5, v20, v18
	v_or_b32_e32 v7, v19, v17
	;; [unrolled: 1-line block ×4, first 2 shown]
	v_mul_f32_e32 v113, s17, v5
	v_mul_f32_e32 v114, s13, v7
	;; [unrolled: 1-line block ×4, first 2 shown]
	s_and_saveexec_b32 s18, vcc_lo
	s_cbranch_execz .LBB213_1065
; %bb.1064:                             ;   in Loop: Header=BB213_554 Depth=1
	v_cmp_gt_i32_e64 s1, s31, v57
	v_cndmask_b32_e64 v114, 0, v114, s1
	v_cmp_gt_i32_e64 s1, s31, v60
	v_cndmask_b32_e64 v113, 0, v113, s1
	;; [unrolled: 2-line block ×4, first 2 shown]
.LBB213_1065:                           ;   in Loop: Header=BB213_554 Depth=1
	s_or_b32 exec_lo, exec_lo, s18
	global_load_dword v115, v[15:16], off offset:1920
	v_mov_b32_e32 v17, 0
	v_mov_b32_e32 v15, 0
	;; [unrolled: 1-line block ×4, first 2 shown]
	s_waitcnt vmcnt(0)
	v_cmp_ne_u16_sdwa s1, v115, v6 src0_sel:BYTE_0 src1_sel:DWORD
	s_and_saveexec_b32 s18, s1
	s_cbranch_execz .LBB213_1073
; %bb.1066:                             ;   in Loop: Header=BB213_554 Depth=1
	v_bfrev_b32_e32 v15, 1
	v_mov_b32_e32 v16, 0
	v_cmp_ne_u16_sdwa s1, v115, v45 src0_sel:BYTE_0 src1_sel:DWORD
	s_and_saveexec_b32 s21, s1
	s_cbranch_execz .LBB213_1072
; %bb.1067:                             ;   in Loop: Header=BB213_554 Depth=1
	v_mov_b32_e32 v15, 0x7f800001
	v_and_b32_e32 v9, 0x7f, v115
	v_mov_b32_e32 v16, 0
	s_mov_b32 s22, exec_lo
	v_cmpx_ne_u32_e32 0x7f, v9
	s_cbranch_execz .LBB213_1071
; %bb.1068:                             ;   in Loop: Header=BB213_554 Depth=1
	v_and_b32_e32 v5, 7, v115
	v_lshrrev_b32_e32 v7, 3, v9
	s_mov_b32 s24, exec_lo
	v_cmpx_gt_u32_e32 8, v9
; %bb.1069:                             ;   in Loop: Header=BB213_554 Depth=1
	v_ffbh_u32_e32 v7, v5
	v_min_u32_e32 v7, 32, v7
	v_subrev_nc_u32_e32 v9, 28, v7
	v_sub_nc_u32_e32 v7, 29, v7
	v_lshlrev_b64 v[15:16], v9, v[5:6]
	v_and_b32_e32 v5, 7, v15
; %bb.1070:                             ;   in Loop: Header=BB213_554 Depth=1
	s_or_b32 exec_lo, exec_lo, s24
	v_lshlrev_b32_e32 v9, 24, v115
	v_lshlrev_b32_e32 v5, 20, v5
	v_lshl_add_u32 v7, v7, 23, 0x3c000000
	v_and_b32_e32 v9, 0x80000000, v9
	v_or3_b32 v5, v5, v9, v7
	v_mov_b32_e32 v16, v6
	v_mov_b32_e32 v15, v5
.LBB213_1071:                           ;   in Loop: Header=BB213_554 Depth=1
	s_or_b32 exec_lo, exec_lo, s22
.LBB213_1072:                           ;   in Loop: Header=BB213_554 Depth=1
	s_or_b32 exec_lo, exec_lo, s21
.LBB213_1073:                           ;   in Loop: Header=BB213_554 Depth=1
	s_or_b32 exec_lo, exec_lo, s18
	v_cmp_ne_u16_sdwa s1, v115, v6 src0_sel:BYTE_1 src1_sel:DWORD
	s_and_saveexec_b32 s18, s1
	s_cbranch_execz .LBB213_1081
; %bb.1074:                             ;   in Loop: Header=BB213_554 Depth=1
	v_mov_b32_e32 v7, v6
	v_mov_b32_e32 v18, v8
	v_cmp_ne_u16_sdwa s1, v115, v45 src0_sel:BYTE_1 src1_sel:DWORD
	v_mov_b32_e32 v17, v7
	s_and_saveexec_b32 s21, s1
	s_cbranch_execz .LBB213_1080
; %bb.1075:                             ;   in Loop: Header=BB213_554 Depth=1
	v_and_b32_sdwa v5, v46, v115 dst_sel:DWORD dst_unused:UNUSED_PAD src0_sel:DWORD src1_sel:BYTE_1
	v_mov_b32_e32 v9, v6
	v_mov_b32_e32 v18, v10
	s_mov_b32 s22, exec_lo
	v_and_b32_e32 v19, 0x7f, v5
	v_mov_b32_e32 v17, v9
	v_cmpx_ne_u32_e32 0x7f, v19
	s_cbranch_execz .LBB213_1079
; %bb.1076:                             ;   in Loop: Header=BB213_554 Depth=1
	v_and_b32_e32 v5, 7, v5
	v_lshrrev_b32_e32 v7, 3, v19
	s_mov_b32 s24, exec_lo
	v_cmpx_gt_u32_e32 8, v19
; %bb.1077:                             ;   in Loop: Header=BB213_554 Depth=1
	v_ffbh_u32_e32 v7, v5
	v_min_u32_e32 v7, 32, v7
	v_subrev_nc_u32_e32 v9, 28, v7
	v_sub_nc_u32_e32 v7, 29, v7
	v_lshlrev_b64 v[17:18], v9, v[5:6]
	v_and_b32_e32 v5, 7, v17
; %bb.1078:                             ;   in Loop: Header=BB213_554 Depth=1
	s_or_b32 exec_lo, exec_lo, s24
	v_lshlrev_b32_e32 v9, 16, v115
	v_lshlrev_b32_e32 v5, 20, v5
	v_lshl_add_u32 v7, v7, 23, 0x3c000000
	v_mov_b32_e32 v17, v6
	v_and_b32_e32 v9, 0x80000000, v9
	v_or3_b32 v18, v5, v9, v7
.LBB213_1079:                           ;   in Loop: Header=BB213_554 Depth=1
	s_or_b32 exec_lo, exec_lo, s22
.LBB213_1080:                           ;   in Loop: Header=BB213_554 Depth=1
	s_or_b32 exec_lo, exec_lo, s21
.LBB213_1081:                           ;   in Loop: Header=BB213_554 Depth=1
	s_or_b32 exec_lo, exec_lo, s18
	v_mov_b32_e32 v21, 0
	v_mov_b32_e32 v19, 0
	v_and_b32_sdwa v5, v115, v47 dst_sel:DWORD dst_unused:UNUSED_PAD src0_sel:WORD_1 src1_sel:DWORD
	v_mov_b32_e32 v22, 0
	v_mov_b32_e32 v20, 0
	s_mov_b32 s18, exec_lo
	v_cmpx_ne_u16_e32 0, v5
	s_cbranch_execz .LBB213_1089
; %bb.1082:                             ;   in Loop: Header=BB213_554 Depth=1
	v_bfrev_b32_e32 v19, 1
	v_mov_b32_e32 v20, 0
	s_mov_b32 s21, exec_lo
	v_cmpx_ne_u16_e32 0x80, v5
	s_cbranch_execz .LBB213_1088
; %bb.1083:                             ;   in Loop: Header=BB213_554 Depth=1
	v_mov_b32_e32 v19, 0x7f800001
	v_bfe_u32 v9, v115, 16, 7
	v_mov_b32_e32 v20, 0
	s_mov_b32 s22, exec_lo
	v_cmpx_ne_u32_e32 0x7f, v9
	s_cbranch_execz .LBB213_1087
; %bb.1084:                             ;   in Loop: Header=BB213_554 Depth=1
	v_and_b32_sdwa v5, v115, v48 dst_sel:DWORD dst_unused:UNUSED_PAD src0_sel:WORD_1 src1_sel:DWORD
	v_lshrrev_b32_e32 v7, 3, v9
	s_mov_b32 s24, exec_lo
	v_cmpx_gt_u32_e32 8, v9
; %bb.1085:                             ;   in Loop: Header=BB213_554 Depth=1
	v_ffbh_u32_e32 v7, v5
	v_min_u32_e32 v7, 32, v7
	v_subrev_nc_u32_e32 v9, 28, v7
	v_sub_nc_u32_e32 v7, 29, v7
	v_lshlrev_b64 v[19:20], v9, v[5:6]
	v_and_b32_e32 v5, 7, v19
; %bb.1086:                             ;   in Loop: Header=BB213_554 Depth=1
	s_or_b32 exec_lo, exec_lo, s24
	v_lshlrev_b32_sdwa v9, v50, v115 dst_sel:DWORD dst_unused:UNUSED_PAD src0_sel:DWORD src1_sel:WORD_1
	v_lshlrev_b32_e32 v5, 20, v5
	v_lshl_add_u32 v7, v7, 23, 0x3c000000
	v_and_b32_e32 v9, 0x80000000, v9
	v_or3_b32 v5, v5, v9, v7
	v_mov_b32_e32 v20, v6
	v_mov_b32_e32 v19, v5
.LBB213_1087:                           ;   in Loop: Header=BB213_554 Depth=1
	s_or_b32 exec_lo, exec_lo, s22
.LBB213_1088:                           ;   in Loop: Header=BB213_554 Depth=1
	s_or_b32 exec_lo, exec_lo, s21
.LBB213_1089:                           ;   in Loop: Header=BB213_554 Depth=1
	s_or_b32 exec_lo, exec_lo, s18
	s_mov_b32 s18, exec_lo
	v_cmpx_lt_u32_e32 0xffffff, v115
	s_cbranch_execz .LBB213_1097
; %bb.1090:                             ;   in Loop: Header=BB213_554 Depth=1
	v_mov_b32_e32 v7, v6
	v_mov_b32_e32 v22, v8
	v_cmp_ne_u32_sdwa s1, v115, v45 src0_sel:BYTE_3 src1_sel:DWORD
	v_mov_b32_e32 v21, v7
	s_and_saveexec_b32 s21, s1
	s_cbranch_execz .LBB213_1096
; %bb.1091:                             ;   in Loop: Header=BB213_554 Depth=1
	v_mov_b32_e32 v9, v6
	v_mov_b32_e32 v22, v10
	v_bfe_u32 v116, v115, 24, 7
	s_mov_b32 s22, exec_lo
	v_mov_b32_e32 v21, v9
	v_cmpx_ne_u32_e32 0x7f, v116
	s_cbranch_execz .LBB213_1095
; %bb.1092:                             ;   in Loop: Header=BB213_554 Depth=1
	v_and_b32_sdwa v5, v115, v48 dst_sel:DWORD dst_unused:UNUSED_PAD src0_sel:BYTE_3 src1_sel:DWORD
	v_lshrrev_b32_e32 v7, 3, v116
	s_mov_b32 s24, exec_lo
	v_cmpx_gt_u32_e32 8, v116
; %bb.1093:                             ;   in Loop: Header=BB213_554 Depth=1
	v_ffbh_u32_e32 v7, v5
	v_min_u32_e32 v7, 32, v7
	v_subrev_nc_u32_e32 v9, 28, v7
	v_sub_nc_u32_e32 v7, 29, v7
	v_lshlrev_b64 v[21:22], v9, v[5:6]
	v_and_b32_e32 v5, 7, v21
; %bb.1094:                             ;   in Loop: Header=BB213_554 Depth=1
	s_or_b32 exec_lo, exec_lo, s24
	v_lshlrev_b32_sdwa v9, v50, v115 dst_sel:DWORD dst_unused:UNUSED_PAD src0_sel:DWORD src1_sel:BYTE_3
	v_lshlrev_b32_e32 v5, 20, v5
	v_lshl_add_u32 v7, v7, 23, 0x3c000000
	v_mov_b32_e32 v21, v6
	v_and_b32_e32 v9, 0x80000000, v9
	v_or3_b32 v22, v5, v9, v7
.LBB213_1095:                           ;   in Loop: Header=BB213_554 Depth=1
	s_or_b32 exec_lo, exec_lo, s22
.LBB213_1096:                           ;   in Loop: Header=BB213_554 Depth=1
	s_or_b32 exec_lo, exec_lo, s21
.LBB213_1097:                           ;   in Loop: Header=BB213_554 Depth=1
	s_or_b32 exec_lo, exec_lo, s18
	v_or_b32_e32 v5, v18, v16
	v_or_b32_e32 v7, v17, v15
	;; [unrolled: 1-line block ×4, first 2 shown]
	v_mul_f32_e32 v9, s17, v5
	v_mul_f32_e32 v15, s13, v7
	;; [unrolled: 1-line block ×4, first 2 shown]
	s_and_saveexec_b32 s1, vcc_lo
	s_cbranch_execz .LBB213_552
; %bb.1098:                             ;   in Loop: Header=BB213_554 Depth=1
	v_cmp_gt_i32_e32 vcc_lo, s31, v57
	v_cndmask_b32_e32 v15, 0, v15, vcc_lo
	v_cmp_gt_i32_e32 vcc_lo, s31, v60
	v_cndmask_b32_e32 v9, 0, v9, vcc_lo
	;; [unrolled: 2-line block ×4, first 2 shown]
	s_branch .LBB213_552
.LBB213_1099:
	s_or_b32 exec_lo, exec_lo, s6
	v_mov_b32_e32 v44, v117
.LBB213_1100:
	s_or_b32 exec_lo, exec_lo, s3
	ds_bpermute_b32 v1, v25, v42
	ds_bpermute_b32 v2, v25, v43
	ds_bpermute_b32 v3, v25, v41
	ds_bpermute_b32 v4, v25, v40
	ds_bpermute_b32 v5, v25, v39
	ds_bpermute_b32 v6, v25, v38
	ds_bpermute_b32 v7, v25, v37
	ds_bpermute_b32 v8, v25, v36
	ds_bpermute_b32 v9, v25, v35
	ds_bpermute_b32 v10, v25, v34
	ds_bpermute_b32 v11, v25, v33
	ds_bpermute_b32 v12, v25, v32
	ds_bpermute_b32 v13, v25, v31
	ds_bpermute_b32 v14, v25, v30
	ds_bpermute_b32 v15, v25, v29
	ds_bpermute_b32 v16, v25, v28
	s_mov_b32 s1, exec_lo
	s_waitcnt lgkmcnt(0)
	s_waitcnt_vscnt null, 0x0
	s_barrier
	buffer_gl0_inv
	v_add_f32_e32 v1, v42, v1
	v_add_f32_e32 v2, v43, v2
	v_add_f32_e32 v3, v41, v3
	v_add_f32_e32 v4, v40, v4
	v_add_f32_e32 v5, v39, v5
	v_add_f32_e32 v6, v38, v6
	ds_bpermute_b32 v17, v26, v1
	v_add_f32_e32 v7, v37, v7
	v_add_f32_e32 v8, v36, v8
	v_add_f32_e32 v9, v35, v9
	v_add_f32_e32 v10, v34, v10
	v_add_f32_e32 v11, v33, v11
	v_add_f32_e32 v12, v32, v12
	v_add_f32_e32 v13, v31, v13
	v_add_f32_e32 v14, v30, v14
	v_add_f32_e32 v15, v29, v15
	v_add_f32_e32 v16, v28, v16
	ds_bpermute_b32 v18, v26, v2
	ds_bpermute_b32 v19, v26, v3
	;; [unrolled: 1-line block ×15, first 2 shown]
	s_waitcnt lgkmcnt(15)
	v_add_f32_e32 v1, v1, v17
	v_and_b32_e32 v17, 28, v0
	v_lshrrev_b32_e32 v0, 2, v0
	s_waitcnt lgkmcnt(14)
	v_add_f32_e32 v2, v2, v18
	s_waitcnt lgkmcnt(13)
	v_add_f32_e32 v3, v3, v19
	;; [unrolled: 2-line block ×14, first 2 shown]
	v_and_b32_e32 v19, 0x3c3, v44
	s_waitcnt lgkmcnt(0)
	v_add_f32_e32 v16, v16, v26
	v_add_nc_u32_e32 v17, 0x220, v17
	v_lshlrev_b32_e32 v18, 9, v118
	v_cmpx_eq_u32_e32 64, v19
	s_cbranch_execz .LBB213_1102
; %bb.1101:
	v_add_nc_u32_e32 v19, v17, v18
	v_add_nc_u32_e32 v20, 0xfffffc00, v19
	;; [unrolled: 1-line block ×7, first 2 shown]
	ds_write_b32 v20, v1
	ds_write_b32 v21, v2
	ds_write_b32 v22, v3
	ds_write_b32 v23, v4
	ds_write_b32 v24, v5
	ds_write_b32 v25, v6
	v_add_nc_u32_e32 v20, 0xfffffcc0, v19
	v_add_nc_u32_e32 v21, 0xfffffce0, v19
	;; [unrolled: 1-line block ×5, first 2 shown]
	ds_write_b32 v20, v7
	ds_write_b32 v21, v8
	;; [unrolled: 1-line block ×5, first 2 shown]
	v_add_nc_u32_e32 v20, 0xfffffd60, v19
	v_add_nc_u32_e32 v21, 0xfffffd80, v19
	;; [unrolled: 1-line block ×5, first 2 shown]
	ds_write_b32 v20, v12
	ds_write_b32 v21, v13
	ds_write_b32 v22, v14
	ds_write_b32 v23, v15
	ds_write_b32 v19, v16
.LBB213_1102:
	s_or_b32 exec_lo, exec_lo, s1
	v_lshlrev_b32_e32 v0, 2, v0
	v_cmp_eq_u32_e32 vcc_lo, 0, v27
	s_waitcnt lgkmcnt(0)
	s_barrier
	buffer_gl0_inv
	v_add3_u32 v0, 0x220, v18, v0
	s_and_saveexec_b32 s1, s0
	s_cbranch_execz .LBB213_1121
; %bb.1103:
	s_and_saveexec_b32 s0, vcc_lo
	s_cbranch_execnz .LBB213_1145
; %bb.1104:
	s_or_b32 exec_lo, exec_lo, s0
	s_and_saveexec_b32 s0, vcc_lo
	s_cbranch_execnz .LBB213_1146
.LBB213_1105:
	s_or_b32 exec_lo, exec_lo, s0
	s_and_saveexec_b32 s0, vcc_lo
	s_cbranch_execnz .LBB213_1147
.LBB213_1106:
	s_or_b32 exec_lo, exec_lo, s0
	s_and_saveexec_b32 s0, vcc_lo
	s_cbranch_execnz .LBB213_1148
.LBB213_1107:
	s_or_b32 exec_lo, exec_lo, s0
	s_and_saveexec_b32 s0, vcc_lo
	s_cbranch_execnz .LBB213_1149
.LBB213_1108:
	s_or_b32 exec_lo, exec_lo, s0
	s_and_saveexec_b32 s0, vcc_lo
	s_cbranch_execnz .LBB213_1150
.LBB213_1109:
	s_or_b32 exec_lo, exec_lo, s0
	s_and_saveexec_b32 s0, vcc_lo
	s_cbranch_execnz .LBB213_1151
.LBB213_1110:
	s_or_b32 exec_lo, exec_lo, s0
	s_and_saveexec_b32 s0, vcc_lo
	s_cbranch_execnz .LBB213_1152
.LBB213_1111:
	s_or_b32 exec_lo, exec_lo, s0
	s_and_saveexec_b32 s0, vcc_lo
	s_cbranch_execnz .LBB213_1153
.LBB213_1112:
	s_or_b32 exec_lo, exec_lo, s0
	s_and_saveexec_b32 s0, vcc_lo
	s_cbranch_execnz .LBB213_1154
.LBB213_1113:
	s_or_b32 exec_lo, exec_lo, s0
	s_and_saveexec_b32 s0, vcc_lo
	s_cbranch_execnz .LBB213_1155
.LBB213_1114:
	s_or_b32 exec_lo, exec_lo, s0
	s_and_saveexec_b32 s0, vcc_lo
	s_cbranch_execnz .LBB213_1156
.LBB213_1115:
	s_or_b32 exec_lo, exec_lo, s0
	s_and_saveexec_b32 s0, vcc_lo
	s_cbranch_execnz .LBB213_1157
.LBB213_1116:
	s_or_b32 exec_lo, exec_lo, s0
	s_and_saveexec_b32 s0, vcc_lo
	s_cbranch_execnz .LBB213_1158
.LBB213_1117:
	s_or_b32 exec_lo, exec_lo, s0
	s_and_saveexec_b32 s0, vcc_lo
	s_cbranch_execnz .LBB213_1159
.LBB213_1118:
	s_or_b32 exec_lo, exec_lo, s0
	s_and_saveexec_b32 s0, vcc_lo
	s_cbranch_execz .LBB213_1120
.LBB213_1119:
	ds_read_b32 v18, v0 offset:480
	s_waitcnt lgkmcnt(0)
	v_add_f32_e32 v16, v16, v18
.LBB213_1120:
	s_or_b32 exec_lo, exec_lo, s0
.LBB213_1121:
	s_or_b32 exec_lo, exec_lo, s1
	v_and_b32_e32 v18, 0x3e3, v44
	s_mov_b32 s1, exec_lo
	s_barrier
	buffer_gl0_inv
	v_cmpx_eq_u32_e32 32, v18
	s_cbranch_execz .LBB213_1123
; %bb.1122:
	ds_write2_b32 v17, v1, v2 offset1:8
	ds_write2_b32 v17, v3, v4 offset0:16 offset1:24
	ds_write2_b32 v17, v5, v6 offset0:32 offset1:40
	;; [unrolled: 1-line block ×7, first 2 shown]
.LBB213_1123:
	s_or_b32 exec_lo, exec_lo, s1
	s_mov_b32 s1, exec_lo
	s_waitcnt lgkmcnt(0)
	s_barrier
	buffer_gl0_inv
	v_cmpx_gt_u32_e32 32, v44
	s_cbranch_execz .LBB213_1142
; %bb.1124:
	s_and_saveexec_b32 s0, vcc_lo
	s_cbranch_execnz .LBB213_1160
; %bb.1125:
	s_or_b32 exec_lo, exec_lo, s0
	s_and_saveexec_b32 s0, vcc_lo
	s_cbranch_execnz .LBB213_1161
.LBB213_1126:
	s_or_b32 exec_lo, exec_lo, s0
	s_and_saveexec_b32 s0, vcc_lo
	s_cbranch_execnz .LBB213_1162
.LBB213_1127:
	s_or_b32 exec_lo, exec_lo, s0
	s_and_saveexec_b32 s0, vcc_lo
	s_cbranch_execnz .LBB213_1163
.LBB213_1128:
	s_or_b32 exec_lo, exec_lo, s0
	s_and_saveexec_b32 s0, vcc_lo
	s_cbranch_execnz .LBB213_1164
.LBB213_1129:
	s_or_b32 exec_lo, exec_lo, s0
	s_and_saveexec_b32 s0, vcc_lo
	s_cbranch_execnz .LBB213_1165
.LBB213_1130:
	s_or_b32 exec_lo, exec_lo, s0
	s_and_saveexec_b32 s0, vcc_lo
	s_cbranch_execnz .LBB213_1166
.LBB213_1131:
	s_or_b32 exec_lo, exec_lo, s0
	s_and_saveexec_b32 s0, vcc_lo
	s_cbranch_execnz .LBB213_1167
.LBB213_1132:
	s_or_b32 exec_lo, exec_lo, s0
	s_and_saveexec_b32 s0, vcc_lo
	s_cbranch_execnz .LBB213_1168
.LBB213_1133:
	s_or_b32 exec_lo, exec_lo, s0
	s_and_saveexec_b32 s0, vcc_lo
	s_cbranch_execnz .LBB213_1169
.LBB213_1134:
	s_or_b32 exec_lo, exec_lo, s0
	s_and_saveexec_b32 s0, vcc_lo
	s_cbranch_execnz .LBB213_1170
.LBB213_1135:
	s_or_b32 exec_lo, exec_lo, s0
	s_and_saveexec_b32 s0, vcc_lo
	s_cbranch_execnz .LBB213_1171
.LBB213_1136:
	s_or_b32 exec_lo, exec_lo, s0
	s_and_saveexec_b32 s0, vcc_lo
	s_cbranch_execnz .LBB213_1172
.LBB213_1137:
	s_or_b32 exec_lo, exec_lo, s0
	s_and_saveexec_b32 s0, vcc_lo
	s_cbranch_execnz .LBB213_1173
.LBB213_1138:
	s_or_b32 exec_lo, exec_lo, s0
	s_and_saveexec_b32 s0, vcc_lo
	s_cbranch_execnz .LBB213_1174
.LBB213_1139:
	s_or_b32 exec_lo, exec_lo, s0
	s_and_saveexec_b32 s0, vcc_lo
	s_cbranch_execz .LBB213_1141
.LBB213_1140:
	ds_read_b32 v0, v0 offset:480
	s_waitcnt lgkmcnt(0)
	v_add_f32_e32 v16, v16, v0
.LBB213_1141:
	s_or_b32 exec_lo, exec_lo, s0
.LBB213_1142:
	s_or_b32 exec_lo, exec_lo, s1
	s_barrier
	buffer_gl0_inv
	s_mov_b32 s0, exec_lo
	v_cmpx_eq_u32_e32 0, v18
	s_cbranch_execz .LBB213_1144
; %bb.1143:
	s_lshl_b32 s0, s2, 7
	s_mul_i32 s2, s7, s10
	s_ashr_i32 s1, s0, 31
	s_lshl_b64 s[0:1], s[0:1], 2
	s_add_u32 s4, s28, s0
	s_addc_u32 s5, s29, s1
	s_ashr_i32 s3, s2, 31
	s_lshl_b64 s[0:1], s[2:3], 2
	s_add_u32 s2, s4, s0
	s_addc_u32 s3, s5, s1
	s_lshl_b32 s0, s8, 7
	s_ashr_i32 s1, s0, 31
	s_lshl_b64 s[0:1], s[0:1], 2
	s_add_u32 s0, s2, s0
	s_addc_u32 s1, s3, s1
	global_store_dword v44, v1, s[0:1]
	global_store_dword v44, v2, s[0:1] offset:32
	global_store_dword v44, v3, s[0:1] offset:64
	;; [unrolled: 1-line block ×15, first 2 shown]
.LBB213_1144:
	s_endpgm
.LBB213_1145:
	ds_read_b32 v18, v0
	s_waitcnt lgkmcnt(0)
	v_add_f32_e32 v1, v1, v18
	s_or_b32 exec_lo, exec_lo, s0
	s_and_saveexec_b32 s0, vcc_lo
	s_cbranch_execz .LBB213_1105
.LBB213_1146:
	ds_read_b32 v18, v0 offset:32
	s_waitcnt lgkmcnt(0)
	v_add_f32_e32 v2, v2, v18
	s_or_b32 exec_lo, exec_lo, s0
	s_and_saveexec_b32 s0, vcc_lo
	s_cbranch_execz .LBB213_1106
.LBB213_1147:
	ds_read_b32 v18, v0 offset:64
	s_waitcnt lgkmcnt(0)
	v_add_f32_e32 v3, v3, v18
	s_or_b32 exec_lo, exec_lo, s0
	s_and_saveexec_b32 s0, vcc_lo
	s_cbranch_execz .LBB213_1107
.LBB213_1148:
	ds_read_b32 v18, v0 offset:96
	s_waitcnt lgkmcnt(0)
	v_add_f32_e32 v4, v4, v18
	s_or_b32 exec_lo, exec_lo, s0
	s_and_saveexec_b32 s0, vcc_lo
	s_cbranch_execz .LBB213_1108
.LBB213_1149:
	ds_read_b32 v18, v0 offset:128
	s_waitcnt lgkmcnt(0)
	v_add_f32_e32 v5, v5, v18
	s_or_b32 exec_lo, exec_lo, s0
	s_and_saveexec_b32 s0, vcc_lo
	s_cbranch_execz .LBB213_1109
.LBB213_1150:
	ds_read_b32 v18, v0 offset:160
	s_waitcnt lgkmcnt(0)
	v_add_f32_e32 v6, v6, v18
	s_or_b32 exec_lo, exec_lo, s0
	s_and_saveexec_b32 s0, vcc_lo
	s_cbranch_execz .LBB213_1110
.LBB213_1151:
	ds_read_b32 v18, v0 offset:192
	s_waitcnt lgkmcnt(0)
	v_add_f32_e32 v7, v7, v18
	s_or_b32 exec_lo, exec_lo, s0
	s_and_saveexec_b32 s0, vcc_lo
	s_cbranch_execz .LBB213_1111
.LBB213_1152:
	ds_read_b32 v18, v0 offset:224
	s_waitcnt lgkmcnt(0)
	v_add_f32_e32 v8, v8, v18
	s_or_b32 exec_lo, exec_lo, s0
	s_and_saveexec_b32 s0, vcc_lo
	s_cbranch_execz .LBB213_1112
.LBB213_1153:
	ds_read_b32 v18, v0 offset:256
	s_waitcnt lgkmcnt(0)
	v_add_f32_e32 v9, v9, v18
	s_or_b32 exec_lo, exec_lo, s0
	s_and_saveexec_b32 s0, vcc_lo
	s_cbranch_execz .LBB213_1113
.LBB213_1154:
	ds_read_b32 v18, v0 offset:288
	s_waitcnt lgkmcnt(0)
	v_add_f32_e32 v10, v10, v18
	s_or_b32 exec_lo, exec_lo, s0
	s_and_saveexec_b32 s0, vcc_lo
	s_cbranch_execz .LBB213_1114
.LBB213_1155:
	ds_read_b32 v18, v0 offset:320
	s_waitcnt lgkmcnt(0)
	v_add_f32_e32 v11, v11, v18
	s_or_b32 exec_lo, exec_lo, s0
	s_and_saveexec_b32 s0, vcc_lo
	s_cbranch_execz .LBB213_1115
.LBB213_1156:
	ds_read_b32 v18, v0 offset:352
	s_waitcnt lgkmcnt(0)
	v_add_f32_e32 v12, v12, v18
	s_or_b32 exec_lo, exec_lo, s0
	s_and_saveexec_b32 s0, vcc_lo
	s_cbranch_execz .LBB213_1116
.LBB213_1157:
	ds_read_b32 v18, v0 offset:384
	s_waitcnt lgkmcnt(0)
	v_add_f32_e32 v13, v13, v18
	s_or_b32 exec_lo, exec_lo, s0
	s_and_saveexec_b32 s0, vcc_lo
	s_cbranch_execz .LBB213_1117
.LBB213_1158:
	ds_read_b32 v18, v0 offset:416
	s_waitcnt lgkmcnt(0)
	v_add_f32_e32 v14, v14, v18
	s_or_b32 exec_lo, exec_lo, s0
	s_and_saveexec_b32 s0, vcc_lo
	s_cbranch_execz .LBB213_1118
.LBB213_1159:
	ds_read_b32 v18, v0 offset:448
	s_waitcnt lgkmcnt(0)
	v_add_f32_e32 v15, v15, v18
	s_or_b32 exec_lo, exec_lo, s0
	s_and_saveexec_b32 s0, vcc_lo
	s_cbranch_execnz .LBB213_1119
	s_branch .LBB213_1120
.LBB213_1160:
	ds_read_b32 v17, v0
	s_waitcnt lgkmcnt(0)
	v_add_f32_e32 v1, v1, v17
	s_or_b32 exec_lo, exec_lo, s0
	s_and_saveexec_b32 s0, vcc_lo
	s_cbranch_execz .LBB213_1126
.LBB213_1161:
	ds_read_b32 v17, v0 offset:32
	s_waitcnt lgkmcnt(0)
	v_add_f32_e32 v2, v2, v17
	s_or_b32 exec_lo, exec_lo, s0
	s_and_saveexec_b32 s0, vcc_lo
	s_cbranch_execz .LBB213_1127
.LBB213_1162:
	ds_read_b32 v17, v0 offset:64
	s_waitcnt lgkmcnt(0)
	v_add_f32_e32 v3, v3, v17
	s_or_b32 exec_lo, exec_lo, s0
	s_and_saveexec_b32 s0, vcc_lo
	s_cbranch_execz .LBB213_1128
.LBB213_1163:
	ds_read_b32 v17, v0 offset:96
	s_waitcnt lgkmcnt(0)
	v_add_f32_e32 v4, v4, v17
	s_or_b32 exec_lo, exec_lo, s0
	s_and_saveexec_b32 s0, vcc_lo
	s_cbranch_execz .LBB213_1129
.LBB213_1164:
	ds_read_b32 v17, v0 offset:128
	s_waitcnt lgkmcnt(0)
	v_add_f32_e32 v5, v5, v17
	s_or_b32 exec_lo, exec_lo, s0
	s_and_saveexec_b32 s0, vcc_lo
	s_cbranch_execz .LBB213_1130
.LBB213_1165:
	ds_read_b32 v17, v0 offset:160
	s_waitcnt lgkmcnt(0)
	v_add_f32_e32 v6, v6, v17
	s_or_b32 exec_lo, exec_lo, s0
	s_and_saveexec_b32 s0, vcc_lo
	s_cbranch_execz .LBB213_1131
.LBB213_1166:
	ds_read_b32 v17, v0 offset:192
	s_waitcnt lgkmcnt(0)
	v_add_f32_e32 v7, v7, v17
	s_or_b32 exec_lo, exec_lo, s0
	s_and_saveexec_b32 s0, vcc_lo
	s_cbranch_execz .LBB213_1132
.LBB213_1167:
	ds_read_b32 v17, v0 offset:224
	s_waitcnt lgkmcnt(0)
	v_add_f32_e32 v8, v8, v17
	s_or_b32 exec_lo, exec_lo, s0
	s_and_saveexec_b32 s0, vcc_lo
	s_cbranch_execz .LBB213_1133
.LBB213_1168:
	ds_read_b32 v17, v0 offset:256
	s_waitcnt lgkmcnt(0)
	v_add_f32_e32 v9, v9, v17
	s_or_b32 exec_lo, exec_lo, s0
	s_and_saveexec_b32 s0, vcc_lo
	s_cbranch_execz .LBB213_1134
.LBB213_1169:
	ds_read_b32 v17, v0 offset:288
	s_waitcnt lgkmcnt(0)
	v_add_f32_e32 v10, v10, v17
	s_or_b32 exec_lo, exec_lo, s0
	s_and_saveexec_b32 s0, vcc_lo
	s_cbranch_execz .LBB213_1135
.LBB213_1170:
	ds_read_b32 v17, v0 offset:320
	s_waitcnt lgkmcnt(0)
	v_add_f32_e32 v11, v11, v17
	s_or_b32 exec_lo, exec_lo, s0
	s_and_saveexec_b32 s0, vcc_lo
	s_cbranch_execz .LBB213_1136
.LBB213_1171:
	ds_read_b32 v17, v0 offset:352
	s_waitcnt lgkmcnt(0)
	v_add_f32_e32 v12, v12, v17
	s_or_b32 exec_lo, exec_lo, s0
	s_and_saveexec_b32 s0, vcc_lo
	s_cbranch_execz .LBB213_1137
.LBB213_1172:
	ds_read_b32 v17, v0 offset:384
	s_waitcnt lgkmcnt(0)
	v_add_f32_e32 v13, v13, v17
	s_or_b32 exec_lo, exec_lo, s0
	s_and_saveexec_b32 s0, vcc_lo
	s_cbranch_execz .LBB213_1138
.LBB213_1173:
	ds_read_b32 v17, v0 offset:416
	s_waitcnt lgkmcnt(0)
	v_add_f32_e32 v14, v14, v17
	s_or_b32 exec_lo, exec_lo, s0
	s_and_saveexec_b32 s0, vcc_lo
	s_cbranch_execz .LBB213_1139
.LBB213_1174:
	ds_read_b32 v17, v0 offset:448
	s_waitcnt lgkmcnt(0)
	v_add_f32_e32 v15, v15, v17
	s_or_b32 exec_lo, exec_lo, s0
	s_and_saveexec_b32 s0, vcc_lo
	s_cbranch_execnz .LBB213_1140
	s_branch .LBB213_1141
	.section	.rodata,"a",@progbits
	.p2align	6, 0x0
	.amdhsa_kernel _ZN4vllm25paged_attention_v2_kernelIfhLi128ELi16ELi128ELNS_18Fp8KVCacheDataTypeE1ELb1ELi512EEEvPfS2_PT_PKS3_PKT0_S9_ifPKiSB_iPKfiiiSD_SD_iiiii
		.amdhsa_group_segment_fixed_size 544
		.amdhsa_private_segment_fixed_size 312
		.amdhsa_kernarg_size 400
		.amdhsa_user_sgpr_count 6
		.amdhsa_user_sgpr_private_segment_buffer 1
		.amdhsa_user_sgpr_dispatch_ptr 0
		.amdhsa_user_sgpr_queue_ptr 0
		.amdhsa_user_sgpr_kernarg_segment_ptr 1
		.amdhsa_user_sgpr_dispatch_id 0
		.amdhsa_user_sgpr_flat_scratch_init 0
		.amdhsa_user_sgpr_private_segment_size 0
		.amdhsa_wavefront_size32 1
		.amdhsa_uses_dynamic_stack 0
		.amdhsa_system_sgpr_private_segment_wavefront_offset 1
		.amdhsa_system_sgpr_workgroup_id_x 1
		.amdhsa_system_sgpr_workgroup_id_y 1
		.amdhsa_system_sgpr_workgroup_id_z 1
		.amdhsa_system_sgpr_workgroup_info 0
		.amdhsa_system_vgpr_workitem_id 0
		.amdhsa_next_free_vgpr 128
		.amdhsa_next_free_sgpr 60
		.amdhsa_reserve_vcc 1
		.amdhsa_reserve_flat_scratch 0
		.amdhsa_float_round_mode_32 0
		.amdhsa_float_round_mode_16_64 0
		.amdhsa_float_denorm_mode_32 3
		.amdhsa_float_denorm_mode_16_64 3
		.amdhsa_dx10_clamp 1
		.amdhsa_ieee_mode 1
		.amdhsa_fp16_overflow 0
		.amdhsa_workgroup_processor_mode 1
		.amdhsa_memory_ordered 1
		.amdhsa_forward_progress 1
		.amdhsa_shared_vgpr_count 0
		.amdhsa_exception_fp_ieee_invalid_op 0
		.amdhsa_exception_fp_denorm_src 0
		.amdhsa_exception_fp_ieee_div_zero 0
		.amdhsa_exception_fp_ieee_overflow 0
		.amdhsa_exception_fp_ieee_underflow 0
		.amdhsa_exception_fp_ieee_inexact 0
		.amdhsa_exception_int_div_zero 0
	.end_amdhsa_kernel
	.section	.text._ZN4vllm25paged_attention_v2_kernelIfhLi128ELi16ELi128ELNS_18Fp8KVCacheDataTypeE1ELb1ELi512EEEvPfS2_PT_PKS3_PKT0_S9_ifPKiSB_iPKfiiiSD_SD_iiiii,"axG",@progbits,_ZN4vllm25paged_attention_v2_kernelIfhLi128ELi16ELi128ELNS_18Fp8KVCacheDataTypeE1ELb1ELi512EEEvPfS2_PT_PKS3_PKT0_S9_ifPKiSB_iPKfiiiSD_SD_iiiii,comdat
.Lfunc_end213:
	.size	_ZN4vllm25paged_attention_v2_kernelIfhLi128ELi16ELi128ELNS_18Fp8KVCacheDataTypeE1ELb1ELi512EEEvPfS2_PT_PKS3_PKT0_S9_ifPKiSB_iPKfiiiSD_SD_iiiii, .Lfunc_end213-_ZN4vllm25paged_attention_v2_kernelIfhLi128ELi16ELi128ELNS_18Fp8KVCacheDataTypeE1ELb1ELi512EEEvPfS2_PT_PKS3_PKT0_S9_ifPKiSB_iPKfiiiSD_SD_iiiii
                                        ; -- End function
	.set _ZN4vllm25paged_attention_v2_kernelIfhLi128ELi16ELi128ELNS_18Fp8KVCacheDataTypeE1ELb1ELi512EEEvPfS2_PT_PKS3_PKT0_S9_ifPKiSB_iPKfiiiSD_SD_iiiii.num_vgpr, 128
	.set _ZN4vllm25paged_attention_v2_kernelIfhLi128ELi16ELi128ELNS_18Fp8KVCacheDataTypeE1ELb1ELi512EEEvPfS2_PT_PKS3_PKT0_S9_ifPKiSB_iPKfiiiSD_SD_iiiii.num_agpr, 0
	.set _ZN4vllm25paged_attention_v2_kernelIfhLi128ELi16ELi128ELNS_18Fp8KVCacheDataTypeE1ELb1ELi512EEEvPfS2_PT_PKS3_PKT0_S9_ifPKiSB_iPKfiiiSD_SD_iiiii.numbered_sgpr, 60
	.set _ZN4vllm25paged_attention_v2_kernelIfhLi128ELi16ELi128ELNS_18Fp8KVCacheDataTypeE1ELb1ELi512EEEvPfS2_PT_PKS3_PKT0_S9_ifPKiSB_iPKfiiiSD_SD_iiiii.num_named_barrier, 0
	.set _ZN4vllm25paged_attention_v2_kernelIfhLi128ELi16ELi128ELNS_18Fp8KVCacheDataTypeE1ELb1ELi512EEEvPfS2_PT_PKS3_PKT0_S9_ifPKiSB_iPKfiiiSD_SD_iiiii.private_seg_size, 312
	.set _ZN4vllm25paged_attention_v2_kernelIfhLi128ELi16ELi128ELNS_18Fp8KVCacheDataTypeE1ELb1ELi512EEEvPfS2_PT_PKS3_PKT0_S9_ifPKiSB_iPKfiiiSD_SD_iiiii.uses_vcc, 1
	.set _ZN4vllm25paged_attention_v2_kernelIfhLi128ELi16ELi128ELNS_18Fp8KVCacheDataTypeE1ELb1ELi512EEEvPfS2_PT_PKS3_PKT0_S9_ifPKiSB_iPKfiiiSD_SD_iiiii.uses_flat_scratch, 0
	.set _ZN4vllm25paged_attention_v2_kernelIfhLi128ELi16ELi128ELNS_18Fp8KVCacheDataTypeE1ELb1ELi512EEEvPfS2_PT_PKS3_PKT0_S9_ifPKiSB_iPKfiiiSD_SD_iiiii.has_dyn_sized_stack, 0
	.set _ZN4vllm25paged_attention_v2_kernelIfhLi128ELi16ELi128ELNS_18Fp8KVCacheDataTypeE1ELb1ELi512EEEvPfS2_PT_PKS3_PKT0_S9_ifPKiSB_iPKfiiiSD_SD_iiiii.has_recursion, 0
	.set _ZN4vllm25paged_attention_v2_kernelIfhLi128ELi16ELi128ELNS_18Fp8KVCacheDataTypeE1ELb1ELi512EEEvPfS2_PT_PKS3_PKT0_S9_ifPKiSB_iPKfiiiSD_SD_iiiii.has_indirect_call, 0
	.section	.AMDGPU.csdata,"",@progbits
; Kernel info:
; codeLenInByte = 36448
; TotalNumSgprs: 62
; NumVgprs: 128
; ScratchSize: 312
; MemoryBound: 0
; FloatMode: 240
; IeeeMode: 1
; LDSByteSize: 544 bytes/workgroup (compile time only)
; SGPRBlocks: 0
; VGPRBlocks: 15
; NumSGPRsForWavesPerEU: 62
; NumVGPRsForWavesPerEU: 128
; Occupancy: 8
; WaveLimiterHint : 1
; COMPUTE_PGM_RSRC2:SCRATCH_EN: 1
; COMPUTE_PGM_RSRC2:USER_SGPR: 6
; COMPUTE_PGM_RSRC2:TRAP_HANDLER: 0
; COMPUTE_PGM_RSRC2:TGID_X_EN: 1
; COMPUTE_PGM_RSRC2:TGID_Y_EN: 1
; COMPUTE_PGM_RSRC2:TGID_Z_EN: 1
; COMPUTE_PGM_RSRC2:TIDIG_COMP_CNT: 0
	.text
	.p2align	2                               ; -- Begin function _ZN4vllm22paged_attention_kernelIfhLi192ELi16ELi128ELNS_18Fp8KVCacheDataTypeE1ELb1ELi512EEEvPfS2_PT_PKS3_PKT0_S9_ifPKiSB_iPKfiiiSD_SD_iiiii
	.type	_ZN4vllm22paged_attention_kernelIfhLi192ELi16ELi128ELNS_18Fp8KVCacheDataTypeE1ELb1ELi512EEEvPfS2_PT_PKS3_PKT0_S9_ifPKiSB_iPKfiiiSD_SD_iiiii,@function
_ZN4vllm22paged_attention_kernelIfhLi192ELi16ELi128ELNS_18Fp8KVCacheDataTypeE1ELb1ELi512EEEvPfS2_PT_PKS3_PKT0_S9_ifPKiSB_iPKfiiiSD_SD_iiiii: ; @_ZN4vllm22paged_attention_kernelIfhLi192ELi16ELi128ELNS_18Fp8KVCacheDataTypeE1ELb1ELi512EEEvPfS2_PT_PKS3_PKT0_S9_ifPKiSB_iPKfiiiSD_SD_iiiii
; %bb.0:
	s_waitcnt vmcnt(0) expcnt(0) lgkmcnt(0)
	buffer_store_dword v40, off, s[0:3], s32 offset:196 ; 4-byte Folded Spill
	buffer_store_dword v41, off, s[0:3], s32 offset:192 ; 4-byte Folded Spill
	;; [unrolled: 1-line block ×48, first 2 shown]
	s_mov_b32 s18, s13
	s_ashr_i32 s19, s13, 31
	buffer_store_dword v26, off, s[0:3], s32 offset:800 ; 4-byte Folded Spill
	buffer_store_dword v27, off, s[0:3], s32 offset:804 ; 4-byte Folded Spill
	;; [unrolled: 1-line block ×5, first 2 shown]
	s_lshl_b64 s[4:5], s[18:19], 2
	v_mov_b32_e32 v26, v0
	v_add_co_u32 v0, vcc_lo, v16, s4
	v_mov_b32_e32 v25, v1
	v_add_co_ci_u32_e64 v1, null, s5, v17, vcc_lo
	buffer_store_dword v5, off, s[0:3], s32 offset:848 ; 4-byte Folded Spill
	buffer_store_dword v4, off, s[0:3], s32 offset:852 ; 4-byte Folded Spill
	v_mov_b32_e32 v32, v3
	v_mov_b32_e32 v34, v13
	flat_load_dword v27, v[0:1]
	s_clause 0x1
	buffer_load_dword v3, off, s[0:3], s32 offset:4
	buffer_load_dword v4, off, s[0:3], s32
	v_mov_b32_e32 v22, v11
	v_mov_b32_e32 v24, v10
	;; [unrolled: 1-line block ×3, first 2 shown]
	s_lshl_b32 s20, s14, 9
	s_mov_b32 s19, exec_lo
	s_waitcnt vmcnt(2) lgkmcnt(0)
	v_cmpx_lt_i32_e64 s20, v27
	s_cbranch_execz .LBB214_1688
; %bb.1:
	v_sub_nc_u32_e32 v0, 0, v12
	s_clause 0x1
	s_load_dword s4, s[8:9], 0x10
	s_load_dword s5, s[8:9], 0x0
	s_mov_b32 s16, s15
	v_max_i32_e32 v0, v12, v0
	v_cvt_f32_u32_e32 v1, v0
	v_sub_nc_u32_e32 v2, 0, v0
	v_rcp_iflag_f32_e32 v1, v1
	s_waitcnt lgkmcnt(0)
	s_lshr_b32 s4, s4, 16
	s_cmp_lg_u32 s4, 0
	s_cselect_b32 s4, -1, 0
	v_mul_f32_e32 v1, 0x4f7ffffe, v1
	s_cmp_lg_u32 s4, 0
	s_addc_u32 s15, s5, 0
	s_mov_b32 s5, exec_lo
	v_cvt_u32_f32_e32 v1, v1
	s_abs_i32 s4, s15
	v_mul_lo_u32 v2, v2, v1
	v_mul_hi_u32 v2, v1, v2
	v_add_nc_u32_e32 v1, v1, v2
	v_mul_hi_u32 v1, s4, v1
	v_mul_lo_u32 v2, v1, v0
	v_add_nc_u32_e32 v5, 1, v1
	v_sub_nc_u32_e32 v2, s4, v2
	s_abs_i32 s4, s12
	v_sub_nc_u32_e32 v10, v2, v0
	v_cmp_ge_u32_e32 vcc_lo, v2, v0
	v_cndmask_b32_e32 v1, v1, v5, vcc_lo
	v_cndmask_b32_e32 v2, v2, v10, vcc_lo
	v_xor_b32_e32 v5, s15, v12
	v_add_nc_u32_e32 v10, 1, v1
	v_cmp_ge_u32_e32 vcc_lo, v2, v0
	v_ashrrev_i32_e32 v5, 31, v5
	v_cndmask_b32_e32 v0, v1, v10, vcc_lo
	v_xor_b32_e32 v0, v0, v5
	v_sub_nc_u32_e32 v2, v0, v5
	v_sub_nc_u32_e32 v0, 0, v2
	v_max_i32_e32 v5, v2, v0
	v_cvt_f32_u32_e32 v0, v5
	v_sub_nc_u32_e32 v1, 0, v5
	v_rcp_iflag_f32_e32 v0, v0
	v_mul_f32_e32 v0, 0x4f7ffffe, v0
	v_cvt_u32_f32_e32 v0, v0
	v_mul_lo_u32 v1, v1, v0
	v_mul_hi_u32 v1, v0, v1
	v_add_nc_u32_e32 v0, v0, v1
	v_mad_u64_u32 v[0:1], null, s4, v0, 0
	v_mov_b32_e32 v0, 0
	buffer_store_dword v0, off, s[0:3], s32 offset:828 ; 4-byte Folded Spill
	v_cmpx_ne_u64_e32 0, v[19:20]
	s_cbranch_execz .LBB214_3
; %bb.2:
	s_ashr_i32 s13, s12, 31
	s_lshl_b64 s[6:7], s[12:13], 2
	v_add_co_u32 v10, vcc_lo, v19, s6
	v_add_co_ci_u32_e64 v11, null, s7, v20, vcc_lo
	flat_load_dword v0, v[10:11]
	s_waitcnt vmcnt(0) lgkmcnt(0)
	buffer_store_dword v0, off, s[0:3], s32 offset:828 ; 4-byte Folded Spill
.LBB214_3:
	s_or_b32 exec_lo, exec_lo, s5
	v_and_b32_e32 v10, 0x3ff, v31
	v_ashrrev_i32_e32 v0, 31, v2
	v_and_b32_e32 v2, 1, v31
	s_ashr_i32 s5, s12, 31
	s_mul_i32 s10, s12, 0xc0
	v_lshlrev_b32_e32 v19, 2, v10
	s_mov_b32 s6, exec_lo
	buffer_store_dword v10, off, s[0:3], s32 offset:796 ; 4-byte Folded Spill
	v_cmpx_gt_u32_e32 0x60, v10
	s_cbranch_execz .LBB214_5
; %bb.4:
	buffer_load_dword v13, off, s[0:3], s32 offset:796 ; 4-byte Folded Reload
	v_mul_lo_u32 v10, v21, s18
	s_ashr_i32 s11, s10, 31
	s_lshl_b64 s[22:23], s[10:11], 2
	v_ashrrev_i32_e32 v11, 31, v10
	v_lshlrev_b64 v[10:11], 2, v[10:11]
	v_add_co_u32 v6, vcc_lo, v6, v10
	v_add_co_ci_u32_e64 v7, null, v7, v11, vcc_lo
	v_and_b32_e32 v10, 0xff8, v19
	v_add_co_u32 v6, vcc_lo, v6, s22
	v_add_co_ci_u32_e64 v7, null, s23, v7, vcc_lo
	v_mad_u32_u24 v10, 0x180, v2, v10
	s_waitcnt vmcnt(0)
	v_lshlrev_b32_e32 v13, 3, v13
	v_add_co_u32 v6, vcc_lo, v6, v13
	v_add_co_ci_u32_e64 v7, null, 0, v7, vcc_lo
	flat_load_dwordx2 v[6:7], v[6:7]
	s_waitcnt vmcnt(0) lgkmcnt(0)
	ds_write_b64 v10, v[6:7]
.LBB214_5:
	s_or_b32 exec_lo, exec_lo, s6
	s_waitcnt vmcnt(0)
	v_sub_nc_u32_e32 v6, 0, v4
	v_mul_lo_u32 v7, v1, v5
	v_add_nc_u32_e32 v11, 1, v1
	v_max_i32_e32 v124, v4, v6
	v_sub_nc_u32_e32 v7, s4, v7
	v_cvt_f32_u32_e32 v6, v124
	s_mov_b32 s4, exec_lo
	v_sub_nc_u32_e32 v13, v7, v5
	v_rcp_iflag_f32_e32 v6, v6
	v_cmp_ge_u32_e32 vcc_lo, v7, v5
	v_cndmask_b32_e32 v1, v1, v11, vcc_lo
	v_cndmask_b32_e32 v7, v7, v13, vcc_lo
	v_mul_f32_e32 v6, 0x4f7ffffe, v6
	v_add_nc_u32_e32 v11, 1, v1
	v_cmp_ge_u32_e32 vcc_lo, v7, v5
	v_cvt_u32_f32_e32 v10, v6
	v_sub_nc_u32_e32 v6, 0, v124
	v_mul_lo_u32 v16, v6, v10
	v_add_nc_u32_e32 v6, -1, v27
	v_sub_nc_u32_e32 v17, 0, v6
	v_mul_hi_u32 v13, v10, v16
	v_xor_b32_e32 v16, s5, v0
	v_cndmask_b32_e32 v0, v1, v11, vcc_lo
	v_max_i32_e32 v5, v6, v17
	v_xor_b32_e32 v7, v0, v16
	v_add_nc_u32_e32 v1, v10, v13
	buffer_store_dword v1, off, s[0:3], s32 offset:224 ; 4-byte Folded Spill
	v_mad_u64_u32 v[0:1], null, v5, v1, 0
	v_sub_nc_u32_e32 v0, v7, v16
                                        ; implicit-def: $vgpr7
	s_waitcnt lgkmcnt(0)
	s_waitcnt_vscnt null, 0x0
	s_barrier
	buffer_gl0_inv
	buffer_store_dword v7, off, s[0:3], s32 offset:208 ; 4-byte Folded Spill
	buffer_store_dword v8, off, s[0:3], s32 offset:212 ; 4-byte Folded Spill
	v_cmpx_gt_i32_e32 0, v3
	s_xor_b32 s4, exec_lo, s4
	s_cbranch_execz .LBB214_7
; %bb.6:
	v_mad_u64_u32 v[10:11], null, v28, v12, v[0:1]
                                        ; implicit-def: $vgpr28
	v_mul_lo_u32 v3, v10, v3
	v_sub_nc_u32_e32 v3, 1, v3
	buffer_store_dword v3, off, s[0:3], s32 offset:208 ; 4-byte Folded Spill
	buffer_store_dword v4, off, s[0:3], s32 offset:212 ; 4-byte Folded Spill
                                        ; implicit-def: $vgpr3
.LBB214_7:
	s_or_saveexec_b32 s4, s4
	v_ashrrev_i32_e32 v6, 31, v6
	v_ashrrev_i32_e32 v4, 31, v4
	buffer_store_dword v4, off, s[0:3], s32 offset:216 ; 4-byte Folded Spill
	s_xor_b32 exec_lo, exec_lo, s4
	s_cbranch_execz .LBB214_9
; %bb.8:
	v_mad_u64_u32 v[10:11], null, s15, v28, s[12:13]
	v_mad_u64_u32 v[3:4], null, v10, v3, 1
	buffer_store_dword v3, off, s[0:3], s32 offset:208 ; 4-byte Folded Spill
	buffer_store_dword v4, off, s[0:3], s32 offset:212 ; 4-byte Folded Spill
.LBB214_9:
	s_or_b32 exec_lo, exec_lo, s4
	v_mul_lo_u32 v3, v1, v124
	v_add_nc_u32_e32 v7, 1, v1
	s_clause 0x1
	s_load_dword s21, s[8:9], 0x14
	s_load_dword s11, s[8:9], 0x8
	v_add_nc_u32_e32 v4, 15, v27
	s_lshl_b32 s13, s14, 5
	v_mul_lo_u32 v12, v0, v23
	s_add_i32 s4, s13, 32
	v_mov_b32_e32 v20, 0xff7fffff
	v_sub_nc_u32_e32 v5, v5, v3
	v_ashrrev_i32_e32 v10, 31, v4
	v_mul_lo_u32 v3, v18, s18
	v_sub_nc_u32_e32 v18, 0, v30
	v_cmp_ge_u32_e32 vcc_lo, v5, v124
	v_sub_nc_u32_e32 v11, v5, v124
	v_cndmask_b32_e32 v1, v1, v7, vcc_lo
	buffer_load_dword v7, off, s[0:3], s32 offset:216 ; 4-byte Folded Reload
	v_cndmask_b32_e32 v5, v5, v11, vcc_lo
	buffer_load_dword v11, off, s[0:3], s32 offset:796 ; 4-byte Folded Reload
	v_cmp_ge_u32_e32 vcc_lo, v5, v124
	s_waitcnt vmcnt(1)
	v_xor_b32_e32 v6, v6, v7
	v_lshrrev_b32_e32 v7, 28, v10
	v_add_nc_u32_e32 v10, 1, v1
	s_waitcnt vmcnt(0)
	v_lshrrev_b32_e32 v11, 5, v11
	v_add_nc_u32_e32 v4, v4, v7
	v_cndmask_b32_e32 v1, v1, v10, vcc_lo
	v_or_b32_e32 v5, s13, v11
	buffer_store_dword v11, off, s[0:3], s32 offset:844 ; 4-byte Folded Spill
	v_lshl_add_u32 v47, v11, 4, s20
	v_ashrrev_i32_e32 v13, 4, v4
	v_xor_b32_e32 v0, v1, v6
	v_ashrrev_i32_e32 v4, 31, v3
	v_ashrrev_i32_e32 v11, 31, v12
	v_min_i32_e32 v1, s4, v13
	v_sub_nc_u32_e32 v0, v0, v6
	v_ashrrev_i32_e32 v6, 31, v5
	buffer_store_dword v1, off, s[0:3], s32 offset:220 ; 4-byte Folded Spill
	buffer_store_dword v5, off, s[0:3], s32 offset:200 ; 4-byte Folded Spill
	buffer_store_dword v6, off, s[0:3], s32 offset:204 ; 4-byte Folded Spill
	v_lshlrev_b64 v[16:17], 2, v[3:4]
	v_sub_nc_u32_e32 v0, v0, v29
	buffer_store_dword v0, off, s[0:3], s32 offset:228 ; 4-byte Folded Spill
	v_cmp_lt_i32_e64 s4, v5, v1
	s_and_saveexec_b32 s22, s4
	s_cbranch_execz .LBB214_789
; %bb.10:
	v_max_i32_e32 v6, v30, v18
	v_add_co_u32 v4, s5, v8, v12
	buffer_store_dword v13, off, s[0:3], s32 offset:904 ; 4-byte Folded Spill
	buffer_store_dword v19, off, s[0:3], s32 offset:888 ; 4-byte Folded Spill
	;; [unrolled: 1-line block ×11, first 2 shown]
	v_cvt_f32_u32_e32 v0, v6
	buffer_store_dword v11, off, s[0:3], s32 offset:912 ; 4-byte Folded Spill
	buffer_load_dword v1, off, s[0:3], s32 offset:796 ; 4-byte Folded Reload
	v_add_co_ci_u32_e64 v5, null, v9, v11, s5
	v_rcp_iflag_f32_e32 v3, v0
	s_clause 0x2
	buffer_load_dword v0, off, s[0:3], s32 offset:828
	buffer_load_dword v11, off, s[0:3], s32 offset:200
	;; [unrolled: 1-line block ×3, first 2 shown]
	v_lshlrev_b32_e32 v7, 1, v2
	s_ashr_i32 s17, s16, 31
	s_getpc_b64 s[6:7]
	s_add_u32 s6, s6, llvm.amdgcn.dynlds.offset.table@rel32@lo+4
	s_addc_u32 s7, s7, llvm.amdgcn.dynlds.offset.table@rel32@hi+12
	s_lshl_b64 s[8:9], s[16:17], 2
	buffer_load_dword v9, off, s[0:3], s32 offset:844 ; 4-byte Folded Reload
	v_or_b32_e32 v8, 4, v7
	v_mov_b32_e32 v125, v7
	s_add_u32 s8, s6, s8
	v_cmp_eq_u32_e32 vcc_lo, 0, v2
	v_mul_u32_u24_e32 v13, 0x180, v2
	buffer_store_dword v8, off, s[0:3], s32 offset:232 ; 4-byte Folded Spill
	v_or_b32_e32 v8, 8, v7
	v_or_b32_e32 v7, 12, v7
	v_mul_f32_e32 v2, 0x4f7ffffe, v3
	v_mov_b32_e32 v30, v6
	v_sub_nc_u32_e32 v6, 0, v6
	buffer_store_dword v8, off, s[0:3], s32 offset:236 ; 4-byte Folded Spill
	buffer_store_dword v7, off, s[0:3], s32 offset:240 ; 4-byte Folded Spill
	v_cvt_u32_f32_e32 v2, v2
	s_addc_u32 s9, s7, s9
	v_mov_b32_e32 v29, 0
	v_mov_b32_e32 v108, 0x80
	v_bfrev_b32_e32 v40, 1
	v_mul_lo_u32 v6, v6, v2
	v_mov_b32_e32 v61, 0x7f800001
	s_mov_b32 s23, 0
	v_mul_hi_u32 v6, v2, v6
	s_waitcnt vmcnt(4)
	v_bfe_u32 v10, v1, 1, 4
	s_waitcnt vmcnt(2)
	v_mov_b32_e32 v109, v11
	v_cmp_neq_f32_e64 s5, 0, v0
	s_waitcnt vmcnt(1)
	v_lshlrev_b64 v[0:1], 2, v[11:12]
	buffer_store_dword v10, off, s[0:3], s32 offset:832 ; 4-byte Folded Spill
	v_lshlrev_b32_e32 v3, 4, v10
	v_sub_nc_u32_e32 v8, v10, v27
	v_lshlrev_b32_e32 v7, 2, v10
	s_waitcnt vmcnt(0)
	v_lshl_add_u32 v22, v9, 4, s20
	v_add_co_u32 v0, s6, v16, v0
	buffer_store_dword v16, off, s[0:3], s32 offset:892 ; 4-byte Folded Spill
	buffer_store_dword v17, off, s[0:3], s32 offset:896 ; 4-byte Folded Spill
	s_load_dword s17, s[8:9], 0x0
	v_lshl_or_b32 v12, v9, 6, v7
	v_add_co_ci_u32_e64 v1, null, v17, v1, s6
	v_add_co_u32 v3, s6, v4, v3
	v_add_co_ci_u32_e64 v4, null, 0, v5, s6
	buffer_store_dword v3, off, s[0:3], s32 offset:820 ; 4-byte Folded Spill
	buffer_store_dword v4, off, s[0:3], s32 offset:824 ; 4-byte Folded Spill
	v_add_nc_u32_e32 v3, 1, v8
	v_add_co_u32 v118, s6, v14, v0
	v_add_nc_u32_e32 v0, v2, v6
	buffer_store_dword v3, off, s[0:3], s32 offset:836 ; 4-byte Folded Spill
	buffer_store_dword v14, off, s[0:3], s32 offset:860 ; 4-byte Folded Spill
	v_add_co_ci_u32_e64 v119, null, v15, v1, s6
	buffer_store_dword v0, off, s[0:3], s32 offset:592 ; 4-byte Folded Spill
	v_mov_b32_e32 v0, 0xff7fffff
	buffer_store_dword v15, off, s[0:3], s32 offset:856 ; 4-byte Folded Spill
	buffer_store_dword v34, off, s[0:3], s32 offset:840 ; 4-byte Folded Spill
	;; [unrolled: 1-line block ×3, first 2 shown]
	s_branch .LBB214_13
.LBB214_11:                             ;   in Loop: Header=BB214_13 Depth=1
	s_or_b32 exec_lo, exec_lo, s24
.LBB214_12:                             ;   in Loop: Header=BB214_13 Depth=1
	s_or_b32 exec_lo, exec_lo, s7
	buffer_load_dword v0, off, s[0:3], s32 offset:220 ; 4-byte Folded Reload
	v_add_nc_u32_e32 v109, 4, v109
	v_add_co_u32 v118, s7, v118, 16
	v_add_co_ci_u32_e64 v119, null, 0, v119, s7
	v_add_nc_u32_e32 v22, 64, v22
	v_add_nc_u32_e32 v12, 0x100, v12
	s_waitcnt vmcnt(0)
	v_cmp_ge_i32_e64 s6, v109, v0
	s_or_b32 s23, s6, s23
	s_andn2_b32 exec_lo, exec_lo, s23
	s_cbranch_execz .LBB214_788
.LBB214_13:                             ; =>This Inner Loop Header: Depth=1
	s_waitcnt lgkmcnt(0)
	s_clause 0x1
	buffer_load_dword v1, off, s[0:3], s32 offset:224
	buffer_load_dword v4, off, s[0:3], s32 offset:216
	v_sub_nc_u32_e32 v0, 0, v22
	v_max_i32_e32 v0, v22, v0
	s_waitcnt vmcnt(1)
	v_mul_hi_u32 v1, v0, v1
	v_mul_lo_u32 v2, v1, v124
	v_sub_nc_u32_e32 v0, v0, v2
	v_add_nc_u32_e32 v2, 1, v1
	v_sub_nc_u32_e32 v3, v0, v124
	v_cmp_ge_u32_e64 s6, v0, v124
	v_cndmask_b32_e64 v1, v1, v2, s6
	v_cndmask_b32_e64 v0, v0, v3, s6
	v_ashrrev_i32_e32 v2, 31, v22
	v_add_nc_u32_e32 v3, 1, v1
	v_cmp_ge_u32_e64 s6, v0, v124
	s_waitcnt vmcnt(0)
	v_xor_b32_e32 v2, v2, v4
	v_mov_b32_e32 v4, v30
	v_cndmask_b32_e64 v0, v1, v3, s6
	v_xor_b32_e32 v0, v0, v2
	v_sub_nc_u32_e32 v0, v0, v2
	s_clause 0x2
	buffer_load_dword v1, off, s[0:3], s32 offset:208
	buffer_load_dword v2, off, s[0:3], s32 offset:212
	buffer_load_dword v3, off, s[0:3], s32 offset:592
	s_waitcnt vmcnt(2)
	v_add_nc_u32_e32 v1, v0, v1
	s_waitcnt vmcnt(1)
	v_sub_nc_u32_e32 v2, 0, v1
	v_max_i32_e32 v2, v1, v2
	v_ashrrev_i32_e32 v1, 31, v1
	s_waitcnt vmcnt(0)
	v_mul_hi_u32 v3, v2, v3
	v_mul_lo_u32 v3, v3, v4
	v_sub_nc_u32_e32 v2, v2, v3
	v_sub_nc_u32_e32 v3, v2, v4
	v_cmp_ge_u32_e64 s6, v2, v4
	v_cndmask_b32_e64 v2, v2, v3, s6
	v_sub_nc_u32_e32 v3, v2, v4
	v_cmp_ge_u32_e64 s6, v2, v4
	v_cndmask_b32_e64 v2, v2, v3, s6
	v_xor_b32_e32 v2, v2, v1
	v_sub_nc_u32_e32 v1, v2, v1
	v_cmp_ne_u32_e64 s6, 0, v1
	buffer_load_dword v1, off, s[0:3], s32 offset:228 ; 4-byte Folded Reload
	s_waitcnt vmcnt(0)
	v_cmp_le_i32_e64 s7, v0, v1
	s_and_b32 s6, s6, s7
	s_and_saveexec_b32 s7, s6
	s_xor_b32 s6, exec_lo, s7
	s_cbranch_execz .LBB214_17
; %bb.14:                               ;   in Loop: Header=BB214_13 Depth=1
	s_and_saveexec_b32 s7, vcc_lo
	s_cbranch_execz .LBB214_16
; %bb.15:                               ;   in Loop: Header=BB214_13 Depth=1
	s_waitcnt lgkmcnt(0)
	v_add_nc_u32_e32 v0, s17, v12
	v_mov_b32_e32 v1, 0xff7fffff
	ds_write_b32 v0, v1
.LBB214_16:                             ;   in Loop: Header=BB214_13 Depth=1
	s_or_b32 exec_lo, exec_lo, s7
.LBB214_17:                             ;   in Loop: Header=BB214_13 Depth=1
	s_andn2_saveexec_b32 s7, s6
	s_cbranch_execz .LBB214_12
; %bb.18:                               ;   in Loop: Header=BB214_13 Depth=1
	flat_load_dword v0, v[118:119]
	s_clause 0x2
	buffer_load_dword v1, off, s[0:3], s32 offset:588
	buffer_load_dword v2, off, s[0:3], s32 offset:820
	;; [unrolled: 1-line block ×3, first 2 shown]
	v_mov_b32_e32 v18, 0
	v_mov_b32_e32 v19, 0
	s_waitcnt vmcnt(0) lgkmcnt(0)
	v_mad_i64_i32 v[90:91], null, v0, v1, v[2:3]
	v_add_co_u32 v72, s6, v90, v125
	v_add_co_ci_u32_e64 v73, null, 0, v91, s6
	flat_load_ushort v1, v[72:73]
	s_clause 0x1
	buffer_load_dword v2, off, s[0:3], s32 offset:808
	buffer_load_dword v3, off, s[0:3], s32 offset:812
	s_waitcnt vmcnt(2) lgkmcnt(0)
	v_and_b32_e32 v0, 0xffff, v1
	s_waitcnt vmcnt(0)
	flat_load_dword v104, v[2:3]
	ds_read_b128 v[2:5], v13
	v_cmp_ne_u16_sdwa s6, v1, v29 src0_sel:BYTE_0 src1_sel:DWORD
	s_waitcnt lgkmcnt(0)
	buffer_store_dword v2, off, s[0:3], s32 offset:764 ; 4-byte Folded Spill
	buffer_store_dword v3, off, s[0:3], s32 offset:768 ; 4-byte Folded Spill
	buffer_store_dword v4, off, s[0:3], s32 offset:772 ; 4-byte Folded Spill
	buffer_store_dword v5, off, s[0:3], s32 offset:776 ; 4-byte Folded Spill
	ds_read_b128 v[2:5], v13 offset:16
	s_waitcnt lgkmcnt(0)
	buffer_store_dword v2, off, s[0:3], s32 offset:780 ; 4-byte Folded Spill
	buffer_store_dword v3, off, s[0:3], s32 offset:784 ; 4-byte Folded Spill
	buffer_store_dword v4, off, s[0:3], s32 offset:788 ; 4-byte Folded Spill
	buffer_store_dword v5, off, s[0:3], s32 offset:792 ; 4-byte Folded Spill
	ds_read_b128 v[2:5], v13 offset:32
	;; [unrolled: 6-line block ×11, first 2 shown]
	s_waitcnt lgkmcnt(0)
	buffer_store_dword v2, off, s[0:3], s32 offset:604 ; 4-byte Folded Spill
	buffer_store_dword v3, off, s[0:3], s32 offset:608 ; 4-byte Folded Spill
	;; [unrolled: 1-line block ×4, first 2 shown]
	ds_read_b64 v[2:3], v13 offset:192
	s_waitcnt lgkmcnt(0)
	buffer_store_dword v2, off, s[0:3], s32 offset:596 ; 4-byte Folded Spill
	buffer_store_dword v3, off, s[0:3], s32 offset:600 ; 4-byte Folded Spill
	v_mov_b32_e32 v2, 0
	v_mov_b32_e32 v3, 0
	buffer_store_dword v2, off, s[0:3], s32 offset:244 ; 4-byte Folded Spill
	buffer_store_dword v3, off, s[0:3], s32 offset:248 ; 4-byte Folded Spill
	s_and_saveexec_b32 s24, s6
	s_cbranch_execz .LBB214_26
; %bb.19:                               ;   in Loop: Header=BB214_13 Depth=1
	v_bfrev_b32_e32 v1, 1
	v_mov_b32_e32 v2, 0
	v_cmp_ne_u16_sdwa s6, v0, v108 src0_sel:BYTE_0 src1_sel:DWORD
	buffer_store_dword v1, off, s[0:3], s32 offset:244 ; 4-byte Folded Spill
	buffer_store_dword v2, off, s[0:3], s32 offset:248 ; 4-byte Folded Spill
	s_and_saveexec_b32 s25, s6
	s_cbranch_execz .LBB214_25
; %bb.20:                               ;   in Loop: Header=BB214_13 Depth=1
	v_mov_b32_e32 v3, 0x7f800001
	v_and_b32_e32 v2, 0x7f, v0
	v_mov_b32_e32 v4, 0
	s_mov_b32 s26, exec_lo
	buffer_store_dword v3, off, s[0:3], s32 offset:244 ; 4-byte Folded Spill
	buffer_store_dword v4, off, s[0:3], s32 offset:248 ; 4-byte Folded Spill
	v_cmpx_ne_u32_e32 0x7f, v2
	s_cbranch_execz .LBB214_24
; %bb.21:                               ;   in Loop: Header=BB214_13 Depth=1
	v_and_b32_e32 v28, 7, v0
	v_lshrrev_b32_e32 v1, 3, v2
	s_mov_b32 s27, exec_lo
	v_cmpx_gt_u32_e32 8, v2
; %bb.22:                               ;   in Loop: Header=BB214_13 Depth=1
	v_ffbh_u32_e32 v1, v28
	v_min_u32_e32 v1, 32, v1
	v_subrev_nc_u32_e32 v2, 28, v1
	v_sub_nc_u32_e32 v1, 29, v1
	v_lshlrev_b64 v[2:3], v2, v[28:29]
	v_and_b32_e32 v28, 7, v2
; %bb.23:                               ;   in Loop: Header=BB214_13 Depth=1
	s_or_b32 exec_lo, exec_lo, s27
	v_lshlrev_b32_e32 v2, 24, v0
	v_lshlrev_b32_e32 v3, 20, v28
	v_lshl_add_u32 v1, v1, 23, 0x3c000000
	v_and_b32_e32 v2, 0x80000000, v2
	v_or3_b32 v28, v3, v2, v1
	buffer_store_dword v28, off, s[0:3], s32 offset:244 ; 4-byte Folded Spill
	buffer_store_dword v29, off, s[0:3], s32 offset:248 ; 4-byte Folded Spill
.LBB214_24:                             ;   in Loop: Header=BB214_13 Depth=1
	s_or_b32 exec_lo, exec_lo, s26
.LBB214_25:                             ;   in Loop: Header=BB214_13 Depth=1
	s_or_b32 exec_lo, exec_lo, s25
.LBB214_26:                             ;   in Loop: Header=BB214_13 Depth=1
	s_or_b32 exec_lo, exec_lo, s24
	v_cmp_ne_u16_sdwa s6, v0, v29 src0_sel:BYTE_1 src1_sel:DWORD
	s_and_saveexec_b32 s24, s6
	s_cbranch_execz .LBB214_34
; %bb.27:                               ;   in Loop: Header=BB214_13 Depth=1
	v_mov_b32_e32 v39, v29
	v_cmp_ne_u16_sdwa s6, v0, v108 src0_sel:BYTE_1 src1_sel:DWORD
	v_mov_b32_e32 v18, v39
	v_mov_b32_e32 v19, v40
	s_and_saveexec_b32 s25, s6
	s_cbranch_execz .LBB214_33
; %bb.28:                               ;   in Loop: Header=BB214_13 Depth=1
	v_mov_b32_e32 v1, 0xffff
	v_mov_b32_e32 v60, v29
	s_mov_b32 s26, exec_lo
	v_and_b32_sdwa v1, v1, v0 dst_sel:DWORD dst_unused:UNUSED_PAD src0_sel:DWORD src1_sel:BYTE_1
	v_mov_b32_e32 v18, v60
	v_mov_b32_e32 v19, v61
	v_and_b32_e32 v2, 0x7f, v1
	v_cmpx_ne_u32_e32 0x7f, v2
	s_cbranch_execz .LBB214_32
; %bb.29:                               ;   in Loop: Header=BB214_13 Depth=1
	v_and_b32_e32 v28, 7, v1
	v_lshrrev_b32_e32 v1, 3, v2
	s_mov_b32 s27, exec_lo
	v_cmpx_gt_u32_e32 8, v2
; %bb.30:                               ;   in Loop: Header=BB214_13 Depth=1
	v_ffbh_u32_e32 v1, v28
	v_min_u32_e32 v1, 32, v1
	v_subrev_nc_u32_e32 v2, 28, v1
	v_sub_nc_u32_e32 v1, 29, v1
	v_lshlrev_b64 v[2:3], v2, v[28:29]
	v_and_b32_e32 v28, 7, v2
; %bb.31:                               ;   in Loop: Header=BB214_13 Depth=1
	s_or_b32 exec_lo, exec_lo, s27
	v_lshlrev_b32_e32 v0, 16, v0
	v_lshlrev_b32_e32 v2, 20, v28
	v_lshl_add_u32 v1, v1, 23, 0x3c000000
	v_mov_b32_e32 v18, v29
	v_and_b32_e32 v0, 0x80000000, v0
	v_or3_b32 v19, v2, v0, v1
.LBB214_32:                             ;   in Loop: Header=BB214_13 Depth=1
	s_or_b32 exec_lo, exec_lo, s26
.LBB214_33:                             ;   in Loop: Header=BB214_13 Depth=1
	s_or_b32 exec_lo, exec_lo, s25
.LBB214_34:                             ;   in Loop: Header=BB214_13 Depth=1
	s_or_b32 exec_lo, exec_lo, s24
	flat_load_ushort v1, v[72:73] offset:4
	v_mov_b32_e32 v2, 0
	v_mov_b32_e32 v120, 0
	;; [unrolled: 1-line block ×4, first 2 shown]
	buffer_store_dword v2, off, s[0:3], s32 offset:252 ; 4-byte Folded Spill
	buffer_store_dword v3, off, s[0:3], s32 offset:256 ; 4-byte Folded Spill
	s_waitcnt vmcnt(0) lgkmcnt(0)
	v_and_b32_e32 v0, 0xffff, v1
	v_cmp_ne_u16_sdwa s6, v1, v29 src0_sel:BYTE_0 src1_sel:DWORD
	s_and_saveexec_b32 s24, s6
	s_cbranch_execz .LBB214_42
; %bb.35:                               ;   in Loop: Header=BB214_13 Depth=1
	v_bfrev_b32_e32 v120, 1
	v_mov_b32_e32 v121, 0
	v_cmp_ne_u16_sdwa s6, v0, v108 src0_sel:BYTE_0 src1_sel:DWORD
	s_and_saveexec_b32 s25, s6
	s_cbranch_execz .LBB214_41
; %bb.36:                               ;   in Loop: Header=BB214_13 Depth=1
	v_mov_b32_e32 v120, 0x7f800001
	v_and_b32_e32 v2, 0x7f, v0
	v_mov_b32_e32 v121, 0
	s_mov_b32 s26, exec_lo
	v_cmpx_ne_u32_e32 0x7f, v2
	s_cbranch_execz .LBB214_40
; %bb.37:                               ;   in Loop: Header=BB214_13 Depth=1
	v_and_b32_e32 v28, 7, v0
	v_lshrrev_b32_e32 v1, 3, v2
	s_mov_b32 s27, exec_lo
	v_cmpx_gt_u32_e32 8, v2
; %bb.38:                               ;   in Loop: Header=BB214_13 Depth=1
	v_ffbh_u32_e32 v1, v28
	v_min_u32_e32 v1, 32, v1
	v_subrev_nc_u32_e32 v2, 28, v1
	v_sub_nc_u32_e32 v1, 29, v1
	v_lshlrev_b64 v[2:3], v2, v[28:29]
	v_and_b32_e32 v28, 7, v2
; %bb.39:                               ;   in Loop: Header=BB214_13 Depth=1
	s_or_b32 exec_lo, exec_lo, s27
	v_lshlrev_b32_e32 v2, 24, v0
	v_lshlrev_b32_e32 v3, 20, v28
	v_lshl_add_u32 v1, v1, 23, 0x3c000000
	v_and_b32_e32 v2, 0x80000000, v2
	v_or3_b32 v28, v3, v2, v1
	v_mov_b32_e32 v121, v29
	v_mov_b32_e32 v120, v28
.LBB214_40:                             ;   in Loop: Header=BB214_13 Depth=1
	s_or_b32 exec_lo, exec_lo, s26
.LBB214_41:                             ;   in Loop: Header=BB214_13 Depth=1
	s_or_b32 exec_lo, exec_lo, s25
.LBB214_42:                             ;   in Loop: Header=BB214_13 Depth=1
	s_or_b32 exec_lo, exec_lo, s24
	v_cmp_ne_u16_sdwa s6, v0, v29 src0_sel:BYTE_1 src1_sel:DWORD
	s_and_saveexec_b32 s24, s6
	s_cbranch_execz .LBB214_50
; %bb.43:                               ;   in Loop: Header=BB214_13 Depth=1
	v_mov_b32_e32 v39, v29
	v_cmp_ne_u16_sdwa s6, v0, v108 src0_sel:BYTE_1 src1_sel:DWORD
	buffer_store_dword v39, off, s[0:3], s32 offset:252 ; 4-byte Folded Spill
	buffer_store_dword v40, off, s[0:3], s32 offset:256 ; 4-byte Folded Spill
	s_and_saveexec_b32 s25, s6
	s_cbranch_execz .LBB214_49
; %bb.44:                               ;   in Loop: Header=BB214_13 Depth=1
	v_mov_b32_e32 v1, 0xffff
	v_mov_b32_e32 v60, v29
	s_mov_b32 s26, exec_lo
	buffer_store_dword v60, off, s[0:3], s32 offset:252 ; 4-byte Folded Spill
	buffer_store_dword v61, off, s[0:3], s32 offset:256 ; 4-byte Folded Spill
	v_and_b32_sdwa v1, v1, v0 dst_sel:DWORD dst_unused:UNUSED_PAD src0_sel:DWORD src1_sel:BYTE_1
	v_and_b32_e32 v2, 0x7f, v1
	v_cmpx_ne_u32_e32 0x7f, v2
	s_cbranch_execz .LBB214_48
; %bb.45:                               ;   in Loop: Header=BB214_13 Depth=1
	v_and_b32_e32 v28, 7, v1
	v_lshrrev_b32_e32 v1, 3, v2
	s_mov_b32 s27, exec_lo
	v_cmpx_gt_u32_e32 8, v2
; %bb.46:                               ;   in Loop: Header=BB214_13 Depth=1
	v_ffbh_u32_e32 v1, v28
	v_min_u32_e32 v1, 32, v1
	v_subrev_nc_u32_e32 v2, 28, v1
	v_sub_nc_u32_e32 v1, 29, v1
	v_lshlrev_b64 v[2:3], v2, v[28:29]
	v_and_b32_e32 v28, 7, v2
; %bb.47:                               ;   in Loop: Header=BB214_13 Depth=1
	s_or_b32 exec_lo, exec_lo, s27
	v_lshlrev_b32_e32 v0, 16, v0
	v_lshlrev_b32_e32 v2, 20, v28
	v_lshl_add_u32 v1, v1, 23, 0x3c000000
	v_and_b32_e32 v0, 0x80000000, v0
	v_or3_b32 v1, v2, v0, v1
	v_mov_b32_e32 v0, v29
	buffer_store_dword v0, off, s[0:3], s32 offset:252 ; 4-byte Folded Spill
	buffer_store_dword v1, off, s[0:3], s32 offset:256 ; 4-byte Folded Spill
.LBB214_48:                             ;   in Loop: Header=BB214_13 Depth=1
	s_or_b32 exec_lo, exec_lo, s26
.LBB214_49:                             ;   in Loop: Header=BB214_13 Depth=1
	s_or_b32 exec_lo, exec_lo, s25
.LBB214_50:                             ;   in Loop: Header=BB214_13 Depth=1
	s_or_b32 exec_lo, exec_lo, s24
	flat_load_ushort v1, v[72:73] offset:8
	v_mov_b32_e32 v112, 0
	v_mov_b32_e32 v113, 0
	s_waitcnt vmcnt(0) lgkmcnt(0)
	v_and_b32_e32 v0, 0xffff, v1
	v_cmp_ne_u16_sdwa s6, v1, v29 src0_sel:BYTE_0 src1_sel:DWORD
	v_mov_b32_e32 v1, 0
	v_mov_b32_e32 v2, 0
	buffer_store_dword v1, off, s[0:3], s32 offset:260 ; 4-byte Folded Spill
	buffer_store_dword v2, off, s[0:3], s32 offset:264 ; 4-byte Folded Spill
	s_and_saveexec_b32 s24, s6
	s_cbranch_execz .LBB214_58
; %bb.51:                               ;   in Loop: Header=BB214_13 Depth=1
	v_bfrev_b32_e32 v112, 1
	v_mov_b32_e32 v113, 0
	v_cmp_ne_u16_sdwa s6, v0, v108 src0_sel:BYTE_0 src1_sel:DWORD
	s_and_saveexec_b32 s25, s6
	s_cbranch_execz .LBB214_57
; %bb.52:                               ;   in Loop: Header=BB214_13 Depth=1
	v_mov_b32_e32 v112, 0x7f800001
	v_and_b32_e32 v2, 0x7f, v0
	v_mov_b32_e32 v113, 0
	s_mov_b32 s26, exec_lo
	v_cmpx_ne_u32_e32 0x7f, v2
	s_cbranch_execz .LBB214_56
; %bb.53:                               ;   in Loop: Header=BB214_13 Depth=1
	v_and_b32_e32 v28, 7, v0
	v_lshrrev_b32_e32 v1, 3, v2
	s_mov_b32 s27, exec_lo
	v_cmpx_gt_u32_e32 8, v2
; %bb.54:                               ;   in Loop: Header=BB214_13 Depth=1
	v_ffbh_u32_e32 v1, v28
	v_min_u32_e32 v1, 32, v1
	v_subrev_nc_u32_e32 v2, 28, v1
	v_sub_nc_u32_e32 v1, 29, v1
	v_lshlrev_b64 v[2:3], v2, v[28:29]
	v_and_b32_e32 v28, 7, v2
; %bb.55:                               ;   in Loop: Header=BB214_13 Depth=1
	s_or_b32 exec_lo, exec_lo, s27
	v_lshlrev_b32_e32 v2, 24, v0
	v_lshlrev_b32_e32 v3, 20, v28
	v_lshl_add_u32 v1, v1, 23, 0x3c000000
	v_and_b32_e32 v2, 0x80000000, v2
	v_or3_b32 v28, v3, v2, v1
	v_mov_b32_e32 v113, v29
	v_mov_b32_e32 v112, v28
.LBB214_56:                             ;   in Loop: Header=BB214_13 Depth=1
	s_or_b32 exec_lo, exec_lo, s26
.LBB214_57:                             ;   in Loop: Header=BB214_13 Depth=1
	s_or_b32 exec_lo, exec_lo, s25
.LBB214_58:                             ;   in Loop: Header=BB214_13 Depth=1
	s_or_b32 exec_lo, exec_lo, s24
	v_cmp_ne_u16_sdwa s6, v0, v29 src0_sel:BYTE_1 src1_sel:DWORD
	s_and_saveexec_b32 s24, s6
	s_cbranch_execz .LBB214_66
; %bb.59:                               ;   in Loop: Header=BB214_13 Depth=1
	v_mov_b32_e32 v39, v29
	v_cmp_ne_u16_sdwa s6, v0, v108 src0_sel:BYTE_1 src1_sel:DWORD
	buffer_store_dword v39, off, s[0:3], s32 offset:260 ; 4-byte Folded Spill
	buffer_store_dword v40, off, s[0:3], s32 offset:264 ; 4-byte Folded Spill
	s_and_saveexec_b32 s25, s6
	s_cbranch_execz .LBB214_65
; %bb.60:                               ;   in Loop: Header=BB214_13 Depth=1
	v_mov_b32_e32 v1, 0xffff
	v_mov_b32_e32 v60, v29
	s_mov_b32 s26, exec_lo
	buffer_store_dword v60, off, s[0:3], s32 offset:260 ; 4-byte Folded Spill
	buffer_store_dword v61, off, s[0:3], s32 offset:264 ; 4-byte Folded Spill
	v_and_b32_sdwa v1, v1, v0 dst_sel:DWORD dst_unused:UNUSED_PAD src0_sel:DWORD src1_sel:BYTE_1
	v_and_b32_e32 v2, 0x7f, v1
	v_cmpx_ne_u32_e32 0x7f, v2
	s_cbranch_execz .LBB214_64
; %bb.61:                               ;   in Loop: Header=BB214_13 Depth=1
	v_and_b32_e32 v28, 7, v1
	v_lshrrev_b32_e32 v1, 3, v2
	s_mov_b32 s27, exec_lo
	v_cmpx_gt_u32_e32 8, v2
; %bb.62:                               ;   in Loop: Header=BB214_13 Depth=1
	v_ffbh_u32_e32 v1, v28
	v_min_u32_e32 v1, 32, v1
	v_subrev_nc_u32_e32 v2, 28, v1
	v_sub_nc_u32_e32 v1, 29, v1
	v_lshlrev_b64 v[2:3], v2, v[28:29]
	v_and_b32_e32 v28, 7, v2
; %bb.63:                               ;   in Loop: Header=BB214_13 Depth=1
	s_or_b32 exec_lo, exec_lo, s27
	v_lshlrev_b32_e32 v0, 16, v0
	v_lshlrev_b32_e32 v2, 20, v28
	v_lshl_add_u32 v1, v1, 23, 0x3c000000
	v_and_b32_e32 v0, 0x80000000, v0
	v_or3_b32 v1, v2, v0, v1
	v_mov_b32_e32 v0, v29
	buffer_store_dword v0, off, s[0:3], s32 offset:260 ; 4-byte Folded Spill
	buffer_store_dword v1, off, s[0:3], s32 offset:264 ; 4-byte Folded Spill
.LBB214_64:                             ;   in Loop: Header=BB214_13 Depth=1
	s_or_b32 exec_lo, exec_lo, s26
.LBB214_65:                             ;   in Loop: Header=BB214_13 Depth=1
	s_or_b32 exec_lo, exec_lo, s25
.LBB214_66:                             ;   in Loop: Header=BB214_13 Depth=1
	s_or_b32 exec_lo, exec_lo, s24
	flat_load_ushort v1, v[72:73] offset:12
	s_waitcnt vmcnt(0) lgkmcnt(0)
	v_and_b32_e32 v0, 0xffff, v1
	v_cmp_ne_u16_sdwa s6, v1, v29 src0_sel:BYTE_0 src1_sel:DWORD
	v_mov_b32_e32 v1, 0
	v_mov_b32_e32 v2, 0
	buffer_store_dword v1, off, s[0:3], s32 offset:276 ; 4-byte Folded Spill
	buffer_store_dword v2, off, s[0:3], s32 offset:280 ; 4-byte Folded Spill
	v_mov_b32_e32 v1, 0
	v_mov_b32_e32 v2, 0
	buffer_store_dword v1, off, s[0:3], s32 offset:268 ; 4-byte Folded Spill
	buffer_store_dword v2, off, s[0:3], s32 offset:272 ; 4-byte Folded Spill
	s_and_saveexec_b32 s24, s6
	s_cbranch_execz .LBB214_74
; %bb.67:                               ;   in Loop: Header=BB214_13 Depth=1
	v_bfrev_b32_e32 v1, 1
	v_mov_b32_e32 v2, 0
	v_cmp_ne_u16_sdwa s6, v0, v108 src0_sel:BYTE_0 src1_sel:DWORD
	buffer_store_dword v1, off, s[0:3], s32 offset:268 ; 4-byte Folded Spill
	buffer_store_dword v2, off, s[0:3], s32 offset:272 ; 4-byte Folded Spill
	s_and_saveexec_b32 s25, s6
	s_cbranch_execz .LBB214_73
; %bb.68:                               ;   in Loop: Header=BB214_13 Depth=1
	v_mov_b32_e32 v3, 0x7f800001
	v_and_b32_e32 v2, 0x7f, v0
	v_mov_b32_e32 v4, 0
	s_mov_b32 s26, exec_lo
	buffer_store_dword v3, off, s[0:3], s32 offset:268 ; 4-byte Folded Spill
	buffer_store_dword v4, off, s[0:3], s32 offset:272 ; 4-byte Folded Spill
	v_cmpx_ne_u32_e32 0x7f, v2
	s_cbranch_execz .LBB214_72
; %bb.69:                               ;   in Loop: Header=BB214_13 Depth=1
	v_and_b32_e32 v28, 7, v0
	v_lshrrev_b32_e32 v1, 3, v2
	s_mov_b32 s27, exec_lo
	v_cmpx_gt_u32_e32 8, v2
; %bb.70:                               ;   in Loop: Header=BB214_13 Depth=1
	v_ffbh_u32_e32 v1, v28
	v_min_u32_e32 v1, 32, v1
	v_subrev_nc_u32_e32 v2, 28, v1
	v_sub_nc_u32_e32 v1, 29, v1
	v_lshlrev_b64 v[2:3], v2, v[28:29]
	v_and_b32_e32 v28, 7, v2
; %bb.71:                               ;   in Loop: Header=BB214_13 Depth=1
	s_or_b32 exec_lo, exec_lo, s27
	v_lshlrev_b32_e32 v2, 24, v0
	v_lshlrev_b32_e32 v3, 20, v28
	v_lshl_add_u32 v1, v1, 23, 0x3c000000
	v_and_b32_e32 v2, 0x80000000, v2
	v_or3_b32 v28, v3, v2, v1
	buffer_store_dword v28, off, s[0:3], s32 offset:268 ; 4-byte Folded Spill
	buffer_store_dword v29, off, s[0:3], s32 offset:272 ; 4-byte Folded Spill
.LBB214_72:                             ;   in Loop: Header=BB214_13 Depth=1
	s_or_b32 exec_lo, exec_lo, s26
.LBB214_73:                             ;   in Loop: Header=BB214_13 Depth=1
	s_or_b32 exec_lo, exec_lo, s25
.LBB214_74:                             ;   in Loop: Header=BB214_13 Depth=1
	s_or_b32 exec_lo, exec_lo, s24
	v_cmp_ne_u16_sdwa s6, v0, v29 src0_sel:BYTE_1 src1_sel:DWORD
	s_and_saveexec_b32 s24, s6
	s_cbranch_execz .LBB214_82
; %bb.75:                               ;   in Loop: Header=BB214_13 Depth=1
	v_mov_b32_e32 v39, v29
	v_cmp_ne_u16_sdwa s6, v0, v108 src0_sel:BYTE_1 src1_sel:DWORD
	buffer_store_dword v39, off, s[0:3], s32 offset:276 ; 4-byte Folded Spill
	buffer_store_dword v40, off, s[0:3], s32 offset:280 ; 4-byte Folded Spill
	s_and_saveexec_b32 s25, s6
	s_cbranch_execz .LBB214_81
; %bb.76:                               ;   in Loop: Header=BB214_13 Depth=1
	v_mov_b32_e32 v1, 0xffff
	v_mov_b32_e32 v60, v29
	s_mov_b32 s26, exec_lo
	buffer_store_dword v60, off, s[0:3], s32 offset:276 ; 4-byte Folded Spill
	buffer_store_dword v61, off, s[0:3], s32 offset:280 ; 4-byte Folded Spill
	v_and_b32_sdwa v1, v1, v0 dst_sel:DWORD dst_unused:UNUSED_PAD src0_sel:DWORD src1_sel:BYTE_1
	v_and_b32_e32 v2, 0x7f, v1
	v_cmpx_ne_u32_e32 0x7f, v2
	s_cbranch_execz .LBB214_80
; %bb.77:                               ;   in Loop: Header=BB214_13 Depth=1
	v_and_b32_e32 v28, 7, v1
	v_lshrrev_b32_e32 v1, 3, v2
	s_mov_b32 s27, exec_lo
	v_cmpx_gt_u32_e32 8, v2
; %bb.78:                               ;   in Loop: Header=BB214_13 Depth=1
	v_ffbh_u32_e32 v1, v28
	v_min_u32_e32 v1, 32, v1
	v_subrev_nc_u32_e32 v2, 28, v1
	v_sub_nc_u32_e32 v1, 29, v1
	v_lshlrev_b64 v[2:3], v2, v[28:29]
	v_and_b32_e32 v28, 7, v2
; %bb.79:                               ;   in Loop: Header=BB214_13 Depth=1
	s_or_b32 exec_lo, exec_lo, s27
	v_lshlrev_b32_e32 v0, 16, v0
	v_lshlrev_b32_e32 v2, 20, v28
	v_lshl_add_u32 v1, v1, 23, 0x3c000000
	v_and_b32_e32 v0, 0x80000000, v0
	v_or3_b32 v1, v2, v0, v1
	v_mov_b32_e32 v0, v29
	buffer_store_dword v0, off, s[0:3], s32 offset:276 ; 4-byte Folded Spill
	buffer_store_dword v1, off, s[0:3], s32 offset:280 ; 4-byte Folded Spill
.LBB214_80:                             ;   in Loop: Header=BB214_13 Depth=1
	s_or_b32 exec_lo, exec_lo, s26
.LBB214_81:                             ;   in Loop: Header=BB214_13 Depth=1
	s_or_b32 exec_lo, exec_lo, s25
.LBB214_82:                             ;   in Loop: Header=BB214_13 Depth=1
	s_or_b32 exec_lo, exec_lo, s24
	flat_load_ushort v1, v[72:73] offset:256
	s_waitcnt vmcnt(0) lgkmcnt(0)
	v_and_b32_e32 v0, 0xffff, v1
	v_cmp_ne_u16_sdwa s6, v1, v29 src0_sel:BYTE_0 src1_sel:DWORD
	v_mov_b32_e32 v1, 0
	v_mov_b32_e32 v2, 0
	buffer_store_dword v1, off, s[0:3], s32 offset:292 ; 4-byte Folded Spill
	buffer_store_dword v2, off, s[0:3], s32 offset:296 ; 4-byte Folded Spill
	v_mov_b32_e32 v1, 0
	v_mov_b32_e32 v2, 0
	buffer_store_dword v1, off, s[0:3], s32 offset:284 ; 4-byte Folded Spill
	buffer_store_dword v2, off, s[0:3], s32 offset:288 ; 4-byte Folded Spill
	s_and_saveexec_b32 s24, s6
	s_cbranch_execz .LBB214_90
; %bb.83:                               ;   in Loop: Header=BB214_13 Depth=1
	v_bfrev_b32_e32 v1, 1
	v_mov_b32_e32 v2, 0
	v_cmp_ne_u16_sdwa s6, v0, v108 src0_sel:BYTE_0 src1_sel:DWORD
	buffer_store_dword v1, off, s[0:3], s32 offset:284 ; 4-byte Folded Spill
	buffer_store_dword v2, off, s[0:3], s32 offset:288 ; 4-byte Folded Spill
	s_and_saveexec_b32 s25, s6
	s_cbranch_execz .LBB214_89
; %bb.84:                               ;   in Loop: Header=BB214_13 Depth=1
	v_mov_b32_e32 v3, 0x7f800001
	v_and_b32_e32 v2, 0x7f, v0
	v_mov_b32_e32 v4, 0
	s_mov_b32 s26, exec_lo
	buffer_store_dword v3, off, s[0:3], s32 offset:284 ; 4-byte Folded Spill
	buffer_store_dword v4, off, s[0:3], s32 offset:288 ; 4-byte Folded Spill
	v_cmpx_ne_u32_e32 0x7f, v2
	s_cbranch_execz .LBB214_88
; %bb.85:                               ;   in Loop: Header=BB214_13 Depth=1
	v_and_b32_e32 v28, 7, v0
	v_lshrrev_b32_e32 v1, 3, v2
	s_mov_b32 s27, exec_lo
	v_cmpx_gt_u32_e32 8, v2
; %bb.86:                               ;   in Loop: Header=BB214_13 Depth=1
	v_ffbh_u32_e32 v1, v28
	v_min_u32_e32 v1, 32, v1
	v_subrev_nc_u32_e32 v2, 28, v1
	v_sub_nc_u32_e32 v1, 29, v1
	v_lshlrev_b64 v[2:3], v2, v[28:29]
	v_and_b32_e32 v28, 7, v2
; %bb.87:                               ;   in Loop: Header=BB214_13 Depth=1
	s_or_b32 exec_lo, exec_lo, s27
	v_lshlrev_b32_e32 v2, 24, v0
	v_lshlrev_b32_e32 v3, 20, v28
	v_lshl_add_u32 v1, v1, 23, 0x3c000000
	v_and_b32_e32 v2, 0x80000000, v2
	v_or3_b32 v28, v3, v2, v1
	buffer_store_dword v28, off, s[0:3], s32 offset:284 ; 4-byte Folded Spill
	buffer_store_dword v29, off, s[0:3], s32 offset:288 ; 4-byte Folded Spill
.LBB214_88:                             ;   in Loop: Header=BB214_13 Depth=1
	s_or_b32 exec_lo, exec_lo, s26
.LBB214_89:                             ;   in Loop: Header=BB214_13 Depth=1
	s_or_b32 exec_lo, exec_lo, s25
.LBB214_90:                             ;   in Loop: Header=BB214_13 Depth=1
	s_or_b32 exec_lo, exec_lo, s24
	v_cmp_ne_u16_sdwa s6, v0, v29 src0_sel:BYTE_1 src1_sel:DWORD
	s_and_saveexec_b32 s24, s6
	s_cbranch_execz .LBB214_98
; %bb.91:                               ;   in Loop: Header=BB214_13 Depth=1
	v_mov_b32_e32 v39, v29
	v_cmp_ne_u16_sdwa s6, v0, v108 src0_sel:BYTE_1 src1_sel:DWORD
	buffer_store_dword v39, off, s[0:3], s32 offset:292 ; 4-byte Folded Spill
	buffer_store_dword v40, off, s[0:3], s32 offset:296 ; 4-byte Folded Spill
	s_and_saveexec_b32 s25, s6
	s_cbranch_execz .LBB214_97
; %bb.92:                               ;   in Loop: Header=BB214_13 Depth=1
	v_mov_b32_e32 v1, 0xffff
	v_mov_b32_e32 v60, v29
	s_mov_b32 s26, exec_lo
	buffer_store_dword v60, off, s[0:3], s32 offset:292 ; 4-byte Folded Spill
	buffer_store_dword v61, off, s[0:3], s32 offset:296 ; 4-byte Folded Spill
	v_and_b32_sdwa v1, v1, v0 dst_sel:DWORD dst_unused:UNUSED_PAD src0_sel:DWORD src1_sel:BYTE_1
	v_and_b32_e32 v2, 0x7f, v1
	v_cmpx_ne_u32_e32 0x7f, v2
	s_cbranch_execz .LBB214_96
; %bb.93:                               ;   in Loop: Header=BB214_13 Depth=1
	v_and_b32_e32 v28, 7, v1
	v_lshrrev_b32_e32 v1, 3, v2
	s_mov_b32 s27, exec_lo
	v_cmpx_gt_u32_e32 8, v2
; %bb.94:                               ;   in Loop: Header=BB214_13 Depth=1
	v_ffbh_u32_e32 v1, v28
	v_min_u32_e32 v1, 32, v1
	v_subrev_nc_u32_e32 v2, 28, v1
	v_sub_nc_u32_e32 v1, 29, v1
	v_lshlrev_b64 v[2:3], v2, v[28:29]
	v_and_b32_e32 v28, 7, v2
; %bb.95:                               ;   in Loop: Header=BB214_13 Depth=1
	s_or_b32 exec_lo, exec_lo, s27
	v_lshlrev_b32_e32 v0, 16, v0
	v_lshlrev_b32_e32 v2, 20, v28
	v_lshl_add_u32 v1, v1, 23, 0x3c000000
	v_and_b32_e32 v0, 0x80000000, v0
	v_or3_b32 v1, v2, v0, v1
	v_mov_b32_e32 v0, v29
	buffer_store_dword v0, off, s[0:3], s32 offset:292 ; 4-byte Folded Spill
	buffer_store_dword v1, off, s[0:3], s32 offset:296 ; 4-byte Folded Spill
.LBB214_96:                             ;   in Loop: Header=BB214_13 Depth=1
	s_or_b32 exec_lo, exec_lo, s26
.LBB214_97:                             ;   in Loop: Header=BB214_13 Depth=1
	s_or_b32 exec_lo, exec_lo, s25
.LBB214_98:                             ;   in Loop: Header=BB214_13 Depth=1
	s_or_b32 exec_lo, exec_lo, s24
	flat_load_ushort v1, v[72:73] offset:260
	s_waitcnt vmcnt(0) lgkmcnt(0)
	v_and_b32_e32 v0, 0xffff, v1
	v_cmp_ne_u16_sdwa s6, v1, v29 src0_sel:BYTE_0 src1_sel:DWORD
	v_mov_b32_e32 v1, 0
	v_mov_b32_e32 v2, 0
	buffer_store_dword v1, off, s[0:3], s32 offset:308 ; 4-byte Folded Spill
	buffer_store_dword v2, off, s[0:3], s32 offset:312 ; 4-byte Folded Spill
	v_mov_b32_e32 v1, 0
	v_mov_b32_e32 v2, 0
	buffer_store_dword v1, off, s[0:3], s32 offset:300 ; 4-byte Folded Spill
	buffer_store_dword v2, off, s[0:3], s32 offset:304 ; 4-byte Folded Spill
	s_and_saveexec_b32 s24, s6
	s_cbranch_execz .LBB214_106
; %bb.99:                               ;   in Loop: Header=BB214_13 Depth=1
	v_bfrev_b32_e32 v1, 1
	v_mov_b32_e32 v2, 0
	v_cmp_ne_u16_sdwa s6, v0, v108 src0_sel:BYTE_0 src1_sel:DWORD
	buffer_store_dword v1, off, s[0:3], s32 offset:300 ; 4-byte Folded Spill
	buffer_store_dword v2, off, s[0:3], s32 offset:304 ; 4-byte Folded Spill
	s_and_saveexec_b32 s25, s6
	s_cbranch_execz .LBB214_105
; %bb.100:                              ;   in Loop: Header=BB214_13 Depth=1
	v_mov_b32_e32 v3, 0x7f800001
	v_and_b32_e32 v2, 0x7f, v0
	v_mov_b32_e32 v4, 0
	s_mov_b32 s26, exec_lo
	buffer_store_dword v3, off, s[0:3], s32 offset:300 ; 4-byte Folded Spill
	buffer_store_dword v4, off, s[0:3], s32 offset:304 ; 4-byte Folded Spill
	v_cmpx_ne_u32_e32 0x7f, v2
	s_cbranch_execz .LBB214_104
; %bb.101:                              ;   in Loop: Header=BB214_13 Depth=1
	v_and_b32_e32 v28, 7, v0
	v_lshrrev_b32_e32 v1, 3, v2
	s_mov_b32 s27, exec_lo
	v_cmpx_gt_u32_e32 8, v2
; %bb.102:                              ;   in Loop: Header=BB214_13 Depth=1
	v_ffbh_u32_e32 v1, v28
	v_min_u32_e32 v1, 32, v1
	v_subrev_nc_u32_e32 v2, 28, v1
	v_sub_nc_u32_e32 v1, 29, v1
	v_lshlrev_b64 v[2:3], v2, v[28:29]
	v_and_b32_e32 v28, 7, v2
; %bb.103:                              ;   in Loop: Header=BB214_13 Depth=1
	s_or_b32 exec_lo, exec_lo, s27
	v_lshlrev_b32_e32 v2, 24, v0
	v_lshlrev_b32_e32 v3, 20, v28
	v_lshl_add_u32 v1, v1, 23, 0x3c000000
	v_and_b32_e32 v2, 0x80000000, v2
	v_or3_b32 v28, v3, v2, v1
	buffer_store_dword v28, off, s[0:3], s32 offset:300 ; 4-byte Folded Spill
	buffer_store_dword v29, off, s[0:3], s32 offset:304 ; 4-byte Folded Spill
.LBB214_104:                            ;   in Loop: Header=BB214_13 Depth=1
	s_or_b32 exec_lo, exec_lo, s26
.LBB214_105:                            ;   in Loop: Header=BB214_13 Depth=1
	s_or_b32 exec_lo, exec_lo, s25
.LBB214_106:                            ;   in Loop: Header=BB214_13 Depth=1
	s_or_b32 exec_lo, exec_lo, s24
	v_cmp_ne_u16_sdwa s6, v0, v29 src0_sel:BYTE_1 src1_sel:DWORD
	s_and_saveexec_b32 s24, s6
	s_cbranch_execz .LBB214_114
; %bb.107:                              ;   in Loop: Header=BB214_13 Depth=1
	v_mov_b32_e32 v39, v29
	v_cmp_ne_u16_sdwa s6, v0, v108 src0_sel:BYTE_1 src1_sel:DWORD
	buffer_store_dword v39, off, s[0:3], s32 offset:308 ; 4-byte Folded Spill
	buffer_store_dword v40, off, s[0:3], s32 offset:312 ; 4-byte Folded Spill
	s_and_saveexec_b32 s25, s6
	s_cbranch_execz .LBB214_113
; %bb.108:                              ;   in Loop: Header=BB214_13 Depth=1
	v_mov_b32_e32 v1, 0xffff
	v_mov_b32_e32 v60, v29
	s_mov_b32 s26, exec_lo
	buffer_store_dword v60, off, s[0:3], s32 offset:308 ; 4-byte Folded Spill
	buffer_store_dword v61, off, s[0:3], s32 offset:312 ; 4-byte Folded Spill
	v_and_b32_sdwa v1, v1, v0 dst_sel:DWORD dst_unused:UNUSED_PAD src0_sel:DWORD src1_sel:BYTE_1
	v_and_b32_e32 v2, 0x7f, v1
	v_cmpx_ne_u32_e32 0x7f, v2
	s_cbranch_execz .LBB214_112
; %bb.109:                              ;   in Loop: Header=BB214_13 Depth=1
	v_and_b32_e32 v28, 7, v1
	v_lshrrev_b32_e32 v1, 3, v2
	s_mov_b32 s27, exec_lo
	v_cmpx_gt_u32_e32 8, v2
; %bb.110:                              ;   in Loop: Header=BB214_13 Depth=1
	v_ffbh_u32_e32 v1, v28
	v_min_u32_e32 v1, 32, v1
	v_subrev_nc_u32_e32 v2, 28, v1
	v_sub_nc_u32_e32 v1, 29, v1
	v_lshlrev_b64 v[2:3], v2, v[28:29]
	v_and_b32_e32 v28, 7, v2
; %bb.111:                              ;   in Loop: Header=BB214_13 Depth=1
	s_or_b32 exec_lo, exec_lo, s27
	v_lshlrev_b32_e32 v0, 16, v0
	v_lshlrev_b32_e32 v2, 20, v28
	v_lshl_add_u32 v1, v1, 23, 0x3c000000
	v_and_b32_e32 v0, 0x80000000, v0
	v_or3_b32 v1, v2, v0, v1
	v_mov_b32_e32 v0, v29
	buffer_store_dword v0, off, s[0:3], s32 offset:308 ; 4-byte Folded Spill
	buffer_store_dword v1, off, s[0:3], s32 offset:312 ; 4-byte Folded Spill
.LBB214_112:                            ;   in Loop: Header=BB214_13 Depth=1
	s_or_b32 exec_lo, exec_lo, s26
.LBB214_113:                            ;   in Loop: Header=BB214_13 Depth=1
	s_or_b32 exec_lo, exec_lo, s25
.LBB214_114:                            ;   in Loop: Header=BB214_13 Depth=1
	s_or_b32 exec_lo, exec_lo, s24
	flat_load_ushort v1, v[72:73] offset:264
	s_waitcnt vmcnt(0) lgkmcnt(0)
	v_and_b32_e32 v0, 0xffff, v1
	v_cmp_ne_u16_sdwa s6, v1, v29 src0_sel:BYTE_0 src1_sel:DWORD
	v_mov_b32_e32 v1, 0
	v_mov_b32_e32 v2, 0
	buffer_store_dword v1, off, s[0:3], s32 offset:324 ; 4-byte Folded Spill
	buffer_store_dword v2, off, s[0:3], s32 offset:328 ; 4-byte Folded Spill
	v_mov_b32_e32 v1, 0
	v_mov_b32_e32 v2, 0
	buffer_store_dword v1, off, s[0:3], s32 offset:316 ; 4-byte Folded Spill
	buffer_store_dword v2, off, s[0:3], s32 offset:320 ; 4-byte Folded Spill
	s_and_saveexec_b32 s24, s6
	s_cbranch_execz .LBB214_122
; %bb.115:                              ;   in Loop: Header=BB214_13 Depth=1
	v_bfrev_b32_e32 v1, 1
	v_mov_b32_e32 v2, 0
	v_cmp_ne_u16_sdwa s6, v0, v108 src0_sel:BYTE_0 src1_sel:DWORD
	buffer_store_dword v1, off, s[0:3], s32 offset:316 ; 4-byte Folded Spill
	buffer_store_dword v2, off, s[0:3], s32 offset:320 ; 4-byte Folded Spill
	s_and_saveexec_b32 s25, s6
	s_cbranch_execz .LBB214_121
; %bb.116:                              ;   in Loop: Header=BB214_13 Depth=1
	v_mov_b32_e32 v3, 0x7f800001
	v_and_b32_e32 v2, 0x7f, v0
	v_mov_b32_e32 v4, 0
	s_mov_b32 s26, exec_lo
	buffer_store_dword v3, off, s[0:3], s32 offset:316 ; 4-byte Folded Spill
	buffer_store_dword v4, off, s[0:3], s32 offset:320 ; 4-byte Folded Spill
	v_cmpx_ne_u32_e32 0x7f, v2
	s_cbranch_execz .LBB214_120
; %bb.117:                              ;   in Loop: Header=BB214_13 Depth=1
	v_and_b32_e32 v28, 7, v0
	v_lshrrev_b32_e32 v1, 3, v2
	s_mov_b32 s27, exec_lo
	v_cmpx_gt_u32_e32 8, v2
; %bb.118:                              ;   in Loop: Header=BB214_13 Depth=1
	v_ffbh_u32_e32 v1, v28
	v_min_u32_e32 v1, 32, v1
	v_subrev_nc_u32_e32 v2, 28, v1
	v_sub_nc_u32_e32 v1, 29, v1
	v_lshlrev_b64 v[2:3], v2, v[28:29]
	v_and_b32_e32 v28, 7, v2
; %bb.119:                              ;   in Loop: Header=BB214_13 Depth=1
	s_or_b32 exec_lo, exec_lo, s27
	v_lshlrev_b32_e32 v2, 24, v0
	v_lshlrev_b32_e32 v3, 20, v28
	v_lshl_add_u32 v1, v1, 23, 0x3c000000
	v_and_b32_e32 v2, 0x80000000, v2
	v_or3_b32 v28, v3, v2, v1
	buffer_store_dword v28, off, s[0:3], s32 offset:316 ; 4-byte Folded Spill
	buffer_store_dword v29, off, s[0:3], s32 offset:320 ; 4-byte Folded Spill
.LBB214_120:                            ;   in Loop: Header=BB214_13 Depth=1
	s_or_b32 exec_lo, exec_lo, s26
.LBB214_121:                            ;   in Loop: Header=BB214_13 Depth=1
	s_or_b32 exec_lo, exec_lo, s25
.LBB214_122:                            ;   in Loop: Header=BB214_13 Depth=1
	s_or_b32 exec_lo, exec_lo, s24
	v_cmp_ne_u16_sdwa s6, v0, v29 src0_sel:BYTE_1 src1_sel:DWORD
	s_and_saveexec_b32 s24, s6
	s_cbranch_execz .LBB214_130
; %bb.123:                              ;   in Loop: Header=BB214_13 Depth=1
	v_mov_b32_e32 v39, v29
	v_cmp_ne_u16_sdwa s6, v0, v108 src0_sel:BYTE_1 src1_sel:DWORD
	buffer_store_dword v39, off, s[0:3], s32 offset:324 ; 4-byte Folded Spill
	buffer_store_dword v40, off, s[0:3], s32 offset:328 ; 4-byte Folded Spill
	s_and_saveexec_b32 s25, s6
	s_cbranch_execz .LBB214_129
; %bb.124:                              ;   in Loop: Header=BB214_13 Depth=1
	v_mov_b32_e32 v1, 0xffff
	v_mov_b32_e32 v60, v29
	s_mov_b32 s26, exec_lo
	buffer_store_dword v60, off, s[0:3], s32 offset:324 ; 4-byte Folded Spill
	buffer_store_dword v61, off, s[0:3], s32 offset:328 ; 4-byte Folded Spill
	v_and_b32_sdwa v1, v1, v0 dst_sel:DWORD dst_unused:UNUSED_PAD src0_sel:DWORD src1_sel:BYTE_1
	v_and_b32_e32 v2, 0x7f, v1
	v_cmpx_ne_u32_e32 0x7f, v2
	s_cbranch_execz .LBB214_128
; %bb.125:                              ;   in Loop: Header=BB214_13 Depth=1
	v_and_b32_e32 v28, 7, v1
	v_lshrrev_b32_e32 v1, 3, v2
	s_mov_b32 s27, exec_lo
	v_cmpx_gt_u32_e32 8, v2
; %bb.126:                              ;   in Loop: Header=BB214_13 Depth=1
	v_ffbh_u32_e32 v1, v28
	v_min_u32_e32 v1, 32, v1
	v_subrev_nc_u32_e32 v2, 28, v1
	v_sub_nc_u32_e32 v1, 29, v1
	v_lshlrev_b64 v[2:3], v2, v[28:29]
	v_and_b32_e32 v28, 7, v2
; %bb.127:                              ;   in Loop: Header=BB214_13 Depth=1
	s_or_b32 exec_lo, exec_lo, s27
	v_lshlrev_b32_e32 v0, 16, v0
	v_lshlrev_b32_e32 v2, 20, v28
	v_lshl_add_u32 v1, v1, 23, 0x3c000000
	v_and_b32_e32 v0, 0x80000000, v0
	v_or3_b32 v1, v2, v0, v1
	v_mov_b32_e32 v0, v29
	buffer_store_dword v0, off, s[0:3], s32 offset:324 ; 4-byte Folded Spill
	buffer_store_dword v1, off, s[0:3], s32 offset:328 ; 4-byte Folded Spill
.LBB214_128:                            ;   in Loop: Header=BB214_13 Depth=1
	s_or_b32 exec_lo, exec_lo, s26
.LBB214_129:                            ;   in Loop: Header=BB214_13 Depth=1
	s_or_b32 exec_lo, exec_lo, s25
.LBB214_130:                            ;   in Loop: Header=BB214_13 Depth=1
	s_or_b32 exec_lo, exec_lo, s24
	flat_load_ushort v1, v[72:73] offset:268
	s_waitcnt vmcnt(0) lgkmcnt(0)
	v_and_b32_e32 v0, 0xffff, v1
	v_cmp_ne_u16_sdwa s6, v1, v29 src0_sel:BYTE_0 src1_sel:DWORD
	v_mov_b32_e32 v1, 0
	v_mov_b32_e32 v2, 0
	buffer_store_dword v1, off, s[0:3], s32 offset:340 ; 4-byte Folded Spill
	buffer_store_dword v2, off, s[0:3], s32 offset:344 ; 4-byte Folded Spill
	v_mov_b32_e32 v1, 0
	v_mov_b32_e32 v2, 0
	buffer_store_dword v1, off, s[0:3], s32 offset:332 ; 4-byte Folded Spill
	buffer_store_dword v2, off, s[0:3], s32 offset:336 ; 4-byte Folded Spill
	s_and_saveexec_b32 s24, s6
	s_cbranch_execz .LBB214_138
; %bb.131:                              ;   in Loop: Header=BB214_13 Depth=1
	v_bfrev_b32_e32 v1, 1
	v_mov_b32_e32 v2, 0
	v_cmp_ne_u16_sdwa s6, v0, v108 src0_sel:BYTE_0 src1_sel:DWORD
	buffer_store_dword v1, off, s[0:3], s32 offset:332 ; 4-byte Folded Spill
	buffer_store_dword v2, off, s[0:3], s32 offset:336 ; 4-byte Folded Spill
	s_and_saveexec_b32 s25, s6
	s_cbranch_execz .LBB214_137
; %bb.132:                              ;   in Loop: Header=BB214_13 Depth=1
	v_mov_b32_e32 v3, 0x7f800001
	v_and_b32_e32 v2, 0x7f, v0
	v_mov_b32_e32 v4, 0
	s_mov_b32 s26, exec_lo
	buffer_store_dword v3, off, s[0:3], s32 offset:332 ; 4-byte Folded Spill
	buffer_store_dword v4, off, s[0:3], s32 offset:336 ; 4-byte Folded Spill
	v_cmpx_ne_u32_e32 0x7f, v2
	s_cbranch_execz .LBB214_136
; %bb.133:                              ;   in Loop: Header=BB214_13 Depth=1
	v_and_b32_e32 v28, 7, v0
	v_lshrrev_b32_e32 v1, 3, v2
	s_mov_b32 s27, exec_lo
	v_cmpx_gt_u32_e32 8, v2
; %bb.134:                              ;   in Loop: Header=BB214_13 Depth=1
	v_ffbh_u32_e32 v1, v28
	v_min_u32_e32 v1, 32, v1
	v_subrev_nc_u32_e32 v2, 28, v1
	v_sub_nc_u32_e32 v1, 29, v1
	v_lshlrev_b64 v[2:3], v2, v[28:29]
	v_and_b32_e32 v28, 7, v2
; %bb.135:                              ;   in Loop: Header=BB214_13 Depth=1
	s_or_b32 exec_lo, exec_lo, s27
	v_lshlrev_b32_e32 v2, 24, v0
	v_lshlrev_b32_e32 v3, 20, v28
	v_lshl_add_u32 v1, v1, 23, 0x3c000000
	v_and_b32_e32 v2, 0x80000000, v2
	v_or3_b32 v28, v3, v2, v1
	buffer_store_dword v28, off, s[0:3], s32 offset:332 ; 4-byte Folded Spill
	buffer_store_dword v29, off, s[0:3], s32 offset:336 ; 4-byte Folded Spill
.LBB214_136:                            ;   in Loop: Header=BB214_13 Depth=1
	s_or_b32 exec_lo, exec_lo, s26
.LBB214_137:                            ;   in Loop: Header=BB214_13 Depth=1
	s_or_b32 exec_lo, exec_lo, s25
.LBB214_138:                            ;   in Loop: Header=BB214_13 Depth=1
	s_or_b32 exec_lo, exec_lo, s24
	v_cmp_ne_u16_sdwa s6, v0, v29 src0_sel:BYTE_1 src1_sel:DWORD
	s_and_saveexec_b32 s24, s6
	s_cbranch_execz .LBB214_146
; %bb.139:                              ;   in Loop: Header=BB214_13 Depth=1
	v_mov_b32_e32 v39, v29
	v_cmp_ne_u16_sdwa s6, v0, v108 src0_sel:BYTE_1 src1_sel:DWORD
	buffer_store_dword v39, off, s[0:3], s32 offset:340 ; 4-byte Folded Spill
	buffer_store_dword v40, off, s[0:3], s32 offset:344 ; 4-byte Folded Spill
	s_and_saveexec_b32 s25, s6
	s_cbranch_execz .LBB214_145
; %bb.140:                              ;   in Loop: Header=BB214_13 Depth=1
	v_mov_b32_e32 v1, 0xffff
	v_mov_b32_e32 v60, v29
	s_mov_b32 s26, exec_lo
	buffer_store_dword v60, off, s[0:3], s32 offset:340 ; 4-byte Folded Spill
	buffer_store_dword v61, off, s[0:3], s32 offset:344 ; 4-byte Folded Spill
	v_and_b32_sdwa v1, v1, v0 dst_sel:DWORD dst_unused:UNUSED_PAD src0_sel:DWORD src1_sel:BYTE_1
	v_and_b32_e32 v2, 0x7f, v1
	v_cmpx_ne_u32_e32 0x7f, v2
	s_cbranch_execz .LBB214_144
; %bb.141:                              ;   in Loop: Header=BB214_13 Depth=1
	v_and_b32_e32 v28, 7, v1
	v_lshrrev_b32_e32 v1, 3, v2
	s_mov_b32 s27, exec_lo
	v_cmpx_gt_u32_e32 8, v2
; %bb.142:                              ;   in Loop: Header=BB214_13 Depth=1
	v_ffbh_u32_e32 v1, v28
	v_min_u32_e32 v1, 32, v1
	v_subrev_nc_u32_e32 v2, 28, v1
	v_sub_nc_u32_e32 v1, 29, v1
	v_lshlrev_b64 v[2:3], v2, v[28:29]
	v_and_b32_e32 v28, 7, v2
; %bb.143:                              ;   in Loop: Header=BB214_13 Depth=1
	s_or_b32 exec_lo, exec_lo, s27
	v_lshlrev_b32_e32 v0, 16, v0
	v_lshlrev_b32_e32 v2, 20, v28
	v_lshl_add_u32 v1, v1, 23, 0x3c000000
	v_and_b32_e32 v0, 0x80000000, v0
	v_or3_b32 v1, v2, v0, v1
	v_mov_b32_e32 v0, v29
	buffer_store_dword v0, off, s[0:3], s32 offset:340 ; 4-byte Folded Spill
	buffer_store_dword v1, off, s[0:3], s32 offset:344 ; 4-byte Folded Spill
.LBB214_144:                            ;   in Loop: Header=BB214_13 Depth=1
	s_or_b32 exec_lo, exec_lo, s26
.LBB214_145:                            ;   in Loop: Header=BB214_13 Depth=1
	s_or_b32 exec_lo, exec_lo, s25
.LBB214_146:                            ;   in Loop: Header=BB214_13 Depth=1
	s_or_b32 exec_lo, exec_lo, s24
	flat_load_ushort v1, v[72:73] offset:512
	s_waitcnt vmcnt(0) lgkmcnt(0)
	v_and_b32_e32 v0, 0xffff, v1
	v_cmp_ne_u16_sdwa s6, v1, v29 src0_sel:BYTE_0 src1_sel:DWORD
	v_mov_b32_e32 v1, 0
	v_mov_b32_e32 v2, 0
	buffer_store_dword v1, off, s[0:3], s32 offset:356 ; 4-byte Folded Spill
	buffer_store_dword v2, off, s[0:3], s32 offset:360 ; 4-byte Folded Spill
	v_mov_b32_e32 v1, 0
	v_mov_b32_e32 v2, 0
	buffer_store_dword v1, off, s[0:3], s32 offset:348 ; 4-byte Folded Spill
	buffer_store_dword v2, off, s[0:3], s32 offset:352 ; 4-byte Folded Spill
	s_and_saveexec_b32 s24, s6
	s_cbranch_execz .LBB214_154
; %bb.147:                              ;   in Loop: Header=BB214_13 Depth=1
	v_bfrev_b32_e32 v1, 1
	v_mov_b32_e32 v2, 0
	v_cmp_ne_u16_sdwa s6, v0, v108 src0_sel:BYTE_0 src1_sel:DWORD
	buffer_store_dword v1, off, s[0:3], s32 offset:348 ; 4-byte Folded Spill
	buffer_store_dword v2, off, s[0:3], s32 offset:352 ; 4-byte Folded Spill
	s_and_saveexec_b32 s25, s6
	s_cbranch_execz .LBB214_153
; %bb.148:                              ;   in Loop: Header=BB214_13 Depth=1
	v_mov_b32_e32 v3, 0x7f800001
	v_and_b32_e32 v2, 0x7f, v0
	v_mov_b32_e32 v4, 0
	s_mov_b32 s26, exec_lo
	buffer_store_dword v3, off, s[0:3], s32 offset:348 ; 4-byte Folded Spill
	buffer_store_dword v4, off, s[0:3], s32 offset:352 ; 4-byte Folded Spill
	v_cmpx_ne_u32_e32 0x7f, v2
	s_cbranch_execz .LBB214_152
; %bb.149:                              ;   in Loop: Header=BB214_13 Depth=1
	v_and_b32_e32 v28, 7, v0
	v_lshrrev_b32_e32 v1, 3, v2
	s_mov_b32 s27, exec_lo
	v_cmpx_gt_u32_e32 8, v2
; %bb.150:                              ;   in Loop: Header=BB214_13 Depth=1
	v_ffbh_u32_e32 v1, v28
	v_min_u32_e32 v1, 32, v1
	v_subrev_nc_u32_e32 v2, 28, v1
	v_sub_nc_u32_e32 v1, 29, v1
	v_lshlrev_b64 v[2:3], v2, v[28:29]
	v_and_b32_e32 v28, 7, v2
; %bb.151:                              ;   in Loop: Header=BB214_13 Depth=1
	s_or_b32 exec_lo, exec_lo, s27
	v_lshlrev_b32_e32 v2, 24, v0
	v_lshlrev_b32_e32 v3, 20, v28
	v_lshl_add_u32 v1, v1, 23, 0x3c000000
	v_and_b32_e32 v2, 0x80000000, v2
	v_or3_b32 v28, v3, v2, v1
	buffer_store_dword v28, off, s[0:3], s32 offset:348 ; 4-byte Folded Spill
	buffer_store_dword v29, off, s[0:3], s32 offset:352 ; 4-byte Folded Spill
.LBB214_152:                            ;   in Loop: Header=BB214_13 Depth=1
	s_or_b32 exec_lo, exec_lo, s26
.LBB214_153:                            ;   in Loop: Header=BB214_13 Depth=1
	s_or_b32 exec_lo, exec_lo, s25
.LBB214_154:                            ;   in Loop: Header=BB214_13 Depth=1
	s_or_b32 exec_lo, exec_lo, s24
	v_cmp_ne_u16_sdwa s6, v0, v29 src0_sel:BYTE_1 src1_sel:DWORD
	s_and_saveexec_b32 s24, s6
	s_cbranch_execz .LBB214_162
; %bb.155:                              ;   in Loop: Header=BB214_13 Depth=1
	v_mov_b32_e32 v39, v29
	v_cmp_ne_u16_sdwa s6, v0, v108 src0_sel:BYTE_1 src1_sel:DWORD
	buffer_store_dword v39, off, s[0:3], s32 offset:356 ; 4-byte Folded Spill
	buffer_store_dword v40, off, s[0:3], s32 offset:360 ; 4-byte Folded Spill
	s_and_saveexec_b32 s25, s6
	s_cbranch_execz .LBB214_161
; %bb.156:                              ;   in Loop: Header=BB214_13 Depth=1
	v_mov_b32_e32 v1, 0xffff
	v_mov_b32_e32 v60, v29
	s_mov_b32 s26, exec_lo
	buffer_store_dword v60, off, s[0:3], s32 offset:356 ; 4-byte Folded Spill
	buffer_store_dword v61, off, s[0:3], s32 offset:360 ; 4-byte Folded Spill
	v_and_b32_sdwa v1, v1, v0 dst_sel:DWORD dst_unused:UNUSED_PAD src0_sel:DWORD src1_sel:BYTE_1
	v_and_b32_e32 v2, 0x7f, v1
	v_cmpx_ne_u32_e32 0x7f, v2
	s_cbranch_execz .LBB214_160
; %bb.157:                              ;   in Loop: Header=BB214_13 Depth=1
	v_and_b32_e32 v28, 7, v1
	v_lshrrev_b32_e32 v1, 3, v2
	s_mov_b32 s27, exec_lo
	v_cmpx_gt_u32_e32 8, v2
; %bb.158:                              ;   in Loop: Header=BB214_13 Depth=1
	v_ffbh_u32_e32 v1, v28
	v_min_u32_e32 v1, 32, v1
	v_subrev_nc_u32_e32 v2, 28, v1
	v_sub_nc_u32_e32 v1, 29, v1
	v_lshlrev_b64 v[2:3], v2, v[28:29]
	v_and_b32_e32 v28, 7, v2
; %bb.159:                              ;   in Loop: Header=BB214_13 Depth=1
	s_or_b32 exec_lo, exec_lo, s27
	v_lshlrev_b32_e32 v0, 16, v0
	v_lshlrev_b32_e32 v2, 20, v28
	v_lshl_add_u32 v1, v1, 23, 0x3c000000
	v_and_b32_e32 v0, 0x80000000, v0
	v_or3_b32 v1, v2, v0, v1
	v_mov_b32_e32 v0, v29
	buffer_store_dword v0, off, s[0:3], s32 offset:356 ; 4-byte Folded Spill
	buffer_store_dword v1, off, s[0:3], s32 offset:360 ; 4-byte Folded Spill
.LBB214_160:                            ;   in Loop: Header=BB214_13 Depth=1
	s_or_b32 exec_lo, exec_lo, s26
.LBB214_161:                            ;   in Loop: Header=BB214_13 Depth=1
	s_or_b32 exec_lo, exec_lo, s25
.LBB214_162:                            ;   in Loop: Header=BB214_13 Depth=1
	s_or_b32 exec_lo, exec_lo, s24
	flat_load_ushort v1, v[72:73] offset:516
	s_waitcnt vmcnt(0) lgkmcnt(0)
	v_and_b32_e32 v0, 0xffff, v1
	v_cmp_ne_u16_sdwa s6, v1, v29 src0_sel:BYTE_0 src1_sel:DWORD
	v_mov_b32_e32 v1, 0
	v_mov_b32_e32 v2, 0
	buffer_store_dword v1, off, s[0:3], s32 offset:372 ; 4-byte Folded Spill
	buffer_store_dword v2, off, s[0:3], s32 offset:376 ; 4-byte Folded Spill
	v_mov_b32_e32 v1, 0
	v_mov_b32_e32 v2, 0
	buffer_store_dword v1, off, s[0:3], s32 offset:364 ; 4-byte Folded Spill
	buffer_store_dword v2, off, s[0:3], s32 offset:368 ; 4-byte Folded Spill
	s_and_saveexec_b32 s24, s6
	s_cbranch_execz .LBB214_170
; %bb.163:                              ;   in Loop: Header=BB214_13 Depth=1
	v_bfrev_b32_e32 v1, 1
	v_mov_b32_e32 v2, 0
	v_cmp_ne_u16_sdwa s6, v0, v108 src0_sel:BYTE_0 src1_sel:DWORD
	buffer_store_dword v1, off, s[0:3], s32 offset:364 ; 4-byte Folded Spill
	buffer_store_dword v2, off, s[0:3], s32 offset:368 ; 4-byte Folded Spill
	s_and_saveexec_b32 s25, s6
	s_cbranch_execz .LBB214_169
; %bb.164:                              ;   in Loop: Header=BB214_13 Depth=1
	v_mov_b32_e32 v3, 0x7f800001
	v_and_b32_e32 v2, 0x7f, v0
	v_mov_b32_e32 v4, 0
	s_mov_b32 s26, exec_lo
	buffer_store_dword v3, off, s[0:3], s32 offset:364 ; 4-byte Folded Spill
	buffer_store_dword v4, off, s[0:3], s32 offset:368 ; 4-byte Folded Spill
	v_cmpx_ne_u32_e32 0x7f, v2
	s_cbranch_execz .LBB214_168
; %bb.165:                              ;   in Loop: Header=BB214_13 Depth=1
	v_and_b32_e32 v28, 7, v0
	v_lshrrev_b32_e32 v1, 3, v2
	s_mov_b32 s27, exec_lo
	v_cmpx_gt_u32_e32 8, v2
; %bb.166:                              ;   in Loop: Header=BB214_13 Depth=1
	v_ffbh_u32_e32 v1, v28
	v_min_u32_e32 v1, 32, v1
	v_subrev_nc_u32_e32 v2, 28, v1
	v_sub_nc_u32_e32 v1, 29, v1
	v_lshlrev_b64 v[2:3], v2, v[28:29]
	v_and_b32_e32 v28, 7, v2
; %bb.167:                              ;   in Loop: Header=BB214_13 Depth=1
	s_or_b32 exec_lo, exec_lo, s27
	v_lshlrev_b32_e32 v2, 24, v0
	v_lshlrev_b32_e32 v3, 20, v28
	v_lshl_add_u32 v1, v1, 23, 0x3c000000
	v_and_b32_e32 v2, 0x80000000, v2
	v_or3_b32 v28, v3, v2, v1
	buffer_store_dword v28, off, s[0:3], s32 offset:364 ; 4-byte Folded Spill
	buffer_store_dword v29, off, s[0:3], s32 offset:368 ; 4-byte Folded Spill
.LBB214_168:                            ;   in Loop: Header=BB214_13 Depth=1
	s_or_b32 exec_lo, exec_lo, s26
.LBB214_169:                            ;   in Loop: Header=BB214_13 Depth=1
	s_or_b32 exec_lo, exec_lo, s25
.LBB214_170:                            ;   in Loop: Header=BB214_13 Depth=1
	s_or_b32 exec_lo, exec_lo, s24
	v_cmp_ne_u16_sdwa s6, v0, v29 src0_sel:BYTE_1 src1_sel:DWORD
	s_and_saveexec_b32 s24, s6
	s_cbranch_execz .LBB214_178
; %bb.171:                              ;   in Loop: Header=BB214_13 Depth=1
	v_mov_b32_e32 v39, v29
	v_cmp_ne_u16_sdwa s6, v0, v108 src0_sel:BYTE_1 src1_sel:DWORD
	buffer_store_dword v39, off, s[0:3], s32 offset:372 ; 4-byte Folded Spill
	buffer_store_dword v40, off, s[0:3], s32 offset:376 ; 4-byte Folded Spill
	s_and_saveexec_b32 s25, s6
	s_cbranch_execz .LBB214_177
; %bb.172:                              ;   in Loop: Header=BB214_13 Depth=1
	v_mov_b32_e32 v1, 0xffff
	v_mov_b32_e32 v60, v29
	s_mov_b32 s26, exec_lo
	buffer_store_dword v60, off, s[0:3], s32 offset:372 ; 4-byte Folded Spill
	buffer_store_dword v61, off, s[0:3], s32 offset:376 ; 4-byte Folded Spill
	v_and_b32_sdwa v1, v1, v0 dst_sel:DWORD dst_unused:UNUSED_PAD src0_sel:DWORD src1_sel:BYTE_1
	v_and_b32_e32 v2, 0x7f, v1
	v_cmpx_ne_u32_e32 0x7f, v2
	s_cbranch_execz .LBB214_176
; %bb.173:                              ;   in Loop: Header=BB214_13 Depth=1
	v_and_b32_e32 v28, 7, v1
	v_lshrrev_b32_e32 v1, 3, v2
	s_mov_b32 s27, exec_lo
	v_cmpx_gt_u32_e32 8, v2
; %bb.174:                              ;   in Loop: Header=BB214_13 Depth=1
	v_ffbh_u32_e32 v1, v28
	v_min_u32_e32 v1, 32, v1
	v_subrev_nc_u32_e32 v2, 28, v1
	v_sub_nc_u32_e32 v1, 29, v1
	v_lshlrev_b64 v[2:3], v2, v[28:29]
	v_and_b32_e32 v28, 7, v2
; %bb.175:                              ;   in Loop: Header=BB214_13 Depth=1
	s_or_b32 exec_lo, exec_lo, s27
	v_lshlrev_b32_e32 v0, 16, v0
	v_lshlrev_b32_e32 v2, 20, v28
	v_lshl_add_u32 v1, v1, 23, 0x3c000000
	v_and_b32_e32 v0, 0x80000000, v0
	v_or3_b32 v1, v2, v0, v1
	v_mov_b32_e32 v0, v29
	buffer_store_dword v0, off, s[0:3], s32 offset:372 ; 4-byte Folded Spill
	buffer_store_dword v1, off, s[0:3], s32 offset:376 ; 4-byte Folded Spill
.LBB214_176:                            ;   in Loop: Header=BB214_13 Depth=1
	s_or_b32 exec_lo, exec_lo, s26
.LBB214_177:                            ;   in Loop: Header=BB214_13 Depth=1
	s_or_b32 exec_lo, exec_lo, s25
.LBB214_178:                            ;   in Loop: Header=BB214_13 Depth=1
	s_or_b32 exec_lo, exec_lo, s24
	flat_load_ushort v1, v[72:73] offset:520
	s_waitcnt vmcnt(0) lgkmcnt(0)
	v_and_b32_e32 v0, 0xffff, v1
	v_cmp_ne_u16_sdwa s6, v1, v29 src0_sel:BYTE_0 src1_sel:DWORD
	v_mov_b32_e32 v1, 0
	v_mov_b32_e32 v2, 0
	buffer_store_dword v1, off, s[0:3], s32 offset:388 ; 4-byte Folded Spill
	buffer_store_dword v2, off, s[0:3], s32 offset:392 ; 4-byte Folded Spill
	v_mov_b32_e32 v1, 0
	v_mov_b32_e32 v2, 0
	buffer_store_dword v1, off, s[0:3], s32 offset:380 ; 4-byte Folded Spill
	buffer_store_dword v2, off, s[0:3], s32 offset:384 ; 4-byte Folded Spill
	s_and_saveexec_b32 s24, s6
	s_cbranch_execz .LBB214_186
; %bb.179:                              ;   in Loop: Header=BB214_13 Depth=1
	v_bfrev_b32_e32 v1, 1
	v_mov_b32_e32 v2, 0
	v_cmp_ne_u16_sdwa s6, v0, v108 src0_sel:BYTE_0 src1_sel:DWORD
	buffer_store_dword v1, off, s[0:3], s32 offset:380 ; 4-byte Folded Spill
	buffer_store_dword v2, off, s[0:3], s32 offset:384 ; 4-byte Folded Spill
	s_and_saveexec_b32 s25, s6
	s_cbranch_execz .LBB214_185
; %bb.180:                              ;   in Loop: Header=BB214_13 Depth=1
	v_mov_b32_e32 v3, 0x7f800001
	v_and_b32_e32 v2, 0x7f, v0
	v_mov_b32_e32 v4, 0
	s_mov_b32 s26, exec_lo
	buffer_store_dword v3, off, s[0:3], s32 offset:380 ; 4-byte Folded Spill
	buffer_store_dword v4, off, s[0:3], s32 offset:384 ; 4-byte Folded Spill
	v_cmpx_ne_u32_e32 0x7f, v2
	s_cbranch_execz .LBB214_184
; %bb.181:                              ;   in Loop: Header=BB214_13 Depth=1
	v_and_b32_e32 v28, 7, v0
	v_lshrrev_b32_e32 v1, 3, v2
	s_mov_b32 s27, exec_lo
	v_cmpx_gt_u32_e32 8, v2
; %bb.182:                              ;   in Loop: Header=BB214_13 Depth=1
	v_ffbh_u32_e32 v1, v28
	v_min_u32_e32 v1, 32, v1
	v_subrev_nc_u32_e32 v2, 28, v1
	v_sub_nc_u32_e32 v1, 29, v1
	v_lshlrev_b64 v[2:3], v2, v[28:29]
	v_and_b32_e32 v28, 7, v2
; %bb.183:                              ;   in Loop: Header=BB214_13 Depth=1
	s_or_b32 exec_lo, exec_lo, s27
	v_lshlrev_b32_e32 v2, 24, v0
	v_lshlrev_b32_e32 v3, 20, v28
	v_lshl_add_u32 v1, v1, 23, 0x3c000000
	v_and_b32_e32 v2, 0x80000000, v2
	v_or3_b32 v28, v3, v2, v1
	buffer_store_dword v28, off, s[0:3], s32 offset:380 ; 4-byte Folded Spill
	buffer_store_dword v29, off, s[0:3], s32 offset:384 ; 4-byte Folded Spill
.LBB214_184:                            ;   in Loop: Header=BB214_13 Depth=1
	s_or_b32 exec_lo, exec_lo, s26
.LBB214_185:                            ;   in Loop: Header=BB214_13 Depth=1
	s_or_b32 exec_lo, exec_lo, s25
.LBB214_186:                            ;   in Loop: Header=BB214_13 Depth=1
	s_or_b32 exec_lo, exec_lo, s24
	v_cmp_ne_u16_sdwa s6, v0, v29 src0_sel:BYTE_1 src1_sel:DWORD
	s_and_saveexec_b32 s24, s6
	s_cbranch_execz .LBB214_194
; %bb.187:                              ;   in Loop: Header=BB214_13 Depth=1
	v_mov_b32_e32 v39, v29
	v_cmp_ne_u16_sdwa s6, v0, v108 src0_sel:BYTE_1 src1_sel:DWORD
	buffer_store_dword v39, off, s[0:3], s32 offset:388 ; 4-byte Folded Spill
	buffer_store_dword v40, off, s[0:3], s32 offset:392 ; 4-byte Folded Spill
	s_and_saveexec_b32 s25, s6
	s_cbranch_execz .LBB214_193
; %bb.188:                              ;   in Loop: Header=BB214_13 Depth=1
	v_mov_b32_e32 v1, 0xffff
	v_mov_b32_e32 v60, v29
	s_mov_b32 s26, exec_lo
	buffer_store_dword v60, off, s[0:3], s32 offset:388 ; 4-byte Folded Spill
	buffer_store_dword v61, off, s[0:3], s32 offset:392 ; 4-byte Folded Spill
	v_and_b32_sdwa v1, v1, v0 dst_sel:DWORD dst_unused:UNUSED_PAD src0_sel:DWORD src1_sel:BYTE_1
	v_and_b32_e32 v2, 0x7f, v1
	v_cmpx_ne_u32_e32 0x7f, v2
	s_cbranch_execz .LBB214_192
; %bb.189:                              ;   in Loop: Header=BB214_13 Depth=1
	v_and_b32_e32 v28, 7, v1
	v_lshrrev_b32_e32 v1, 3, v2
	s_mov_b32 s27, exec_lo
	v_cmpx_gt_u32_e32 8, v2
; %bb.190:                              ;   in Loop: Header=BB214_13 Depth=1
	v_ffbh_u32_e32 v1, v28
	v_min_u32_e32 v1, 32, v1
	v_subrev_nc_u32_e32 v2, 28, v1
	v_sub_nc_u32_e32 v1, 29, v1
	v_lshlrev_b64 v[2:3], v2, v[28:29]
	v_and_b32_e32 v28, 7, v2
; %bb.191:                              ;   in Loop: Header=BB214_13 Depth=1
	s_or_b32 exec_lo, exec_lo, s27
	v_lshlrev_b32_e32 v0, 16, v0
	v_lshlrev_b32_e32 v2, 20, v28
	v_lshl_add_u32 v1, v1, 23, 0x3c000000
	v_and_b32_e32 v0, 0x80000000, v0
	v_or3_b32 v1, v2, v0, v1
	v_mov_b32_e32 v0, v29
	buffer_store_dword v0, off, s[0:3], s32 offset:388 ; 4-byte Folded Spill
	buffer_store_dword v1, off, s[0:3], s32 offset:392 ; 4-byte Folded Spill
.LBB214_192:                            ;   in Loop: Header=BB214_13 Depth=1
	s_or_b32 exec_lo, exec_lo, s26
.LBB214_193:                            ;   in Loop: Header=BB214_13 Depth=1
	s_or_b32 exec_lo, exec_lo, s25
.LBB214_194:                            ;   in Loop: Header=BB214_13 Depth=1
	s_or_b32 exec_lo, exec_lo, s24
	flat_load_ushort v1, v[72:73] offset:524
	s_waitcnt vmcnt(0) lgkmcnt(0)
	v_and_b32_e32 v0, 0xffff, v1
	v_cmp_ne_u16_sdwa s6, v1, v29 src0_sel:BYTE_0 src1_sel:DWORD
	v_mov_b32_e32 v1, 0
	v_mov_b32_e32 v2, 0
	buffer_store_dword v1, off, s[0:3], s32 offset:404 ; 4-byte Folded Spill
	buffer_store_dword v2, off, s[0:3], s32 offset:408 ; 4-byte Folded Spill
	v_mov_b32_e32 v1, 0
	v_mov_b32_e32 v2, 0
	buffer_store_dword v1, off, s[0:3], s32 offset:396 ; 4-byte Folded Spill
	buffer_store_dword v2, off, s[0:3], s32 offset:400 ; 4-byte Folded Spill
	s_and_saveexec_b32 s24, s6
	s_cbranch_execz .LBB214_202
; %bb.195:                              ;   in Loop: Header=BB214_13 Depth=1
	v_bfrev_b32_e32 v1, 1
	v_mov_b32_e32 v2, 0
	v_cmp_ne_u16_sdwa s6, v0, v108 src0_sel:BYTE_0 src1_sel:DWORD
	buffer_store_dword v1, off, s[0:3], s32 offset:396 ; 4-byte Folded Spill
	buffer_store_dword v2, off, s[0:3], s32 offset:400 ; 4-byte Folded Spill
	s_and_saveexec_b32 s25, s6
	s_cbranch_execz .LBB214_201
; %bb.196:                              ;   in Loop: Header=BB214_13 Depth=1
	v_mov_b32_e32 v3, 0x7f800001
	v_and_b32_e32 v2, 0x7f, v0
	v_mov_b32_e32 v4, 0
	s_mov_b32 s26, exec_lo
	buffer_store_dword v3, off, s[0:3], s32 offset:396 ; 4-byte Folded Spill
	buffer_store_dword v4, off, s[0:3], s32 offset:400 ; 4-byte Folded Spill
	v_cmpx_ne_u32_e32 0x7f, v2
	s_cbranch_execz .LBB214_200
; %bb.197:                              ;   in Loop: Header=BB214_13 Depth=1
	v_and_b32_e32 v28, 7, v0
	v_lshrrev_b32_e32 v1, 3, v2
	s_mov_b32 s27, exec_lo
	v_cmpx_gt_u32_e32 8, v2
; %bb.198:                              ;   in Loop: Header=BB214_13 Depth=1
	v_ffbh_u32_e32 v1, v28
	v_min_u32_e32 v1, 32, v1
	v_subrev_nc_u32_e32 v2, 28, v1
	v_sub_nc_u32_e32 v1, 29, v1
	v_lshlrev_b64 v[2:3], v2, v[28:29]
	v_and_b32_e32 v28, 7, v2
; %bb.199:                              ;   in Loop: Header=BB214_13 Depth=1
	s_or_b32 exec_lo, exec_lo, s27
	v_lshlrev_b32_e32 v2, 24, v0
	v_lshlrev_b32_e32 v3, 20, v28
	v_lshl_add_u32 v1, v1, 23, 0x3c000000
	v_and_b32_e32 v2, 0x80000000, v2
	v_or3_b32 v28, v3, v2, v1
	buffer_store_dword v28, off, s[0:3], s32 offset:396 ; 4-byte Folded Spill
	buffer_store_dword v29, off, s[0:3], s32 offset:400 ; 4-byte Folded Spill
.LBB214_200:                            ;   in Loop: Header=BB214_13 Depth=1
	s_or_b32 exec_lo, exec_lo, s26
.LBB214_201:                            ;   in Loop: Header=BB214_13 Depth=1
	s_or_b32 exec_lo, exec_lo, s25
.LBB214_202:                            ;   in Loop: Header=BB214_13 Depth=1
	s_or_b32 exec_lo, exec_lo, s24
	v_cmp_ne_u16_sdwa s6, v0, v29 src0_sel:BYTE_1 src1_sel:DWORD
	s_and_saveexec_b32 s24, s6
	s_cbranch_execz .LBB214_210
; %bb.203:                              ;   in Loop: Header=BB214_13 Depth=1
	v_mov_b32_e32 v39, v29
	v_cmp_ne_u16_sdwa s6, v0, v108 src0_sel:BYTE_1 src1_sel:DWORD
	buffer_store_dword v39, off, s[0:3], s32 offset:404 ; 4-byte Folded Spill
	buffer_store_dword v40, off, s[0:3], s32 offset:408 ; 4-byte Folded Spill
	s_and_saveexec_b32 s25, s6
	s_cbranch_execz .LBB214_209
; %bb.204:                              ;   in Loop: Header=BB214_13 Depth=1
	v_mov_b32_e32 v1, 0xffff
	v_mov_b32_e32 v60, v29
	s_mov_b32 s26, exec_lo
	buffer_store_dword v60, off, s[0:3], s32 offset:404 ; 4-byte Folded Spill
	buffer_store_dword v61, off, s[0:3], s32 offset:408 ; 4-byte Folded Spill
	v_and_b32_sdwa v1, v1, v0 dst_sel:DWORD dst_unused:UNUSED_PAD src0_sel:DWORD src1_sel:BYTE_1
	v_and_b32_e32 v2, 0x7f, v1
	v_cmpx_ne_u32_e32 0x7f, v2
	s_cbranch_execz .LBB214_208
; %bb.205:                              ;   in Loop: Header=BB214_13 Depth=1
	v_and_b32_e32 v28, 7, v1
	v_lshrrev_b32_e32 v1, 3, v2
	s_mov_b32 s27, exec_lo
	v_cmpx_gt_u32_e32 8, v2
; %bb.206:                              ;   in Loop: Header=BB214_13 Depth=1
	v_ffbh_u32_e32 v1, v28
	v_min_u32_e32 v1, 32, v1
	v_subrev_nc_u32_e32 v2, 28, v1
	v_sub_nc_u32_e32 v1, 29, v1
	v_lshlrev_b64 v[2:3], v2, v[28:29]
	v_and_b32_e32 v28, 7, v2
; %bb.207:                              ;   in Loop: Header=BB214_13 Depth=1
	s_or_b32 exec_lo, exec_lo, s27
	v_lshlrev_b32_e32 v0, 16, v0
	v_lshlrev_b32_e32 v2, 20, v28
	v_lshl_add_u32 v1, v1, 23, 0x3c000000
	v_and_b32_e32 v0, 0x80000000, v0
	v_or3_b32 v1, v2, v0, v1
	v_mov_b32_e32 v0, v29
	buffer_store_dword v0, off, s[0:3], s32 offset:404 ; 4-byte Folded Spill
	buffer_store_dword v1, off, s[0:3], s32 offset:408 ; 4-byte Folded Spill
.LBB214_208:                            ;   in Loop: Header=BB214_13 Depth=1
	s_or_b32 exec_lo, exec_lo, s26
.LBB214_209:                            ;   in Loop: Header=BB214_13 Depth=1
	s_or_b32 exec_lo, exec_lo, s25
.LBB214_210:                            ;   in Loop: Header=BB214_13 Depth=1
	s_or_b32 exec_lo, exec_lo, s24
	flat_load_ushort v1, v[72:73] offset:768
	s_waitcnt vmcnt(0) lgkmcnt(0)
	v_and_b32_e32 v0, 0xffff, v1
	v_cmp_ne_u16_sdwa s6, v1, v29 src0_sel:BYTE_0 src1_sel:DWORD
	v_mov_b32_e32 v1, 0
	v_mov_b32_e32 v2, 0
	buffer_store_dword v1, off, s[0:3], s32 offset:420 ; 4-byte Folded Spill
	buffer_store_dword v2, off, s[0:3], s32 offset:424 ; 4-byte Folded Spill
	v_mov_b32_e32 v1, 0
	v_mov_b32_e32 v2, 0
	buffer_store_dword v1, off, s[0:3], s32 offset:412 ; 4-byte Folded Spill
	buffer_store_dword v2, off, s[0:3], s32 offset:416 ; 4-byte Folded Spill
	s_and_saveexec_b32 s24, s6
	s_cbranch_execz .LBB214_218
; %bb.211:                              ;   in Loop: Header=BB214_13 Depth=1
	v_bfrev_b32_e32 v1, 1
	v_mov_b32_e32 v2, 0
	v_cmp_ne_u16_sdwa s6, v0, v108 src0_sel:BYTE_0 src1_sel:DWORD
	buffer_store_dword v1, off, s[0:3], s32 offset:412 ; 4-byte Folded Spill
	buffer_store_dword v2, off, s[0:3], s32 offset:416 ; 4-byte Folded Spill
	s_and_saveexec_b32 s25, s6
	s_cbranch_execz .LBB214_217
; %bb.212:                              ;   in Loop: Header=BB214_13 Depth=1
	v_mov_b32_e32 v3, 0x7f800001
	v_and_b32_e32 v2, 0x7f, v0
	v_mov_b32_e32 v4, 0
	s_mov_b32 s26, exec_lo
	buffer_store_dword v3, off, s[0:3], s32 offset:412 ; 4-byte Folded Spill
	buffer_store_dword v4, off, s[0:3], s32 offset:416 ; 4-byte Folded Spill
	v_cmpx_ne_u32_e32 0x7f, v2
	s_cbranch_execz .LBB214_216
; %bb.213:                              ;   in Loop: Header=BB214_13 Depth=1
	v_and_b32_e32 v28, 7, v0
	v_lshrrev_b32_e32 v1, 3, v2
	s_mov_b32 s27, exec_lo
	v_cmpx_gt_u32_e32 8, v2
; %bb.214:                              ;   in Loop: Header=BB214_13 Depth=1
	v_ffbh_u32_e32 v1, v28
	v_min_u32_e32 v1, 32, v1
	v_subrev_nc_u32_e32 v2, 28, v1
	v_sub_nc_u32_e32 v1, 29, v1
	v_lshlrev_b64 v[2:3], v2, v[28:29]
	v_and_b32_e32 v28, 7, v2
; %bb.215:                              ;   in Loop: Header=BB214_13 Depth=1
	s_or_b32 exec_lo, exec_lo, s27
	v_lshlrev_b32_e32 v2, 24, v0
	v_lshlrev_b32_e32 v3, 20, v28
	v_lshl_add_u32 v1, v1, 23, 0x3c000000
	v_and_b32_e32 v2, 0x80000000, v2
	v_or3_b32 v28, v3, v2, v1
	buffer_store_dword v28, off, s[0:3], s32 offset:412 ; 4-byte Folded Spill
	buffer_store_dword v29, off, s[0:3], s32 offset:416 ; 4-byte Folded Spill
.LBB214_216:                            ;   in Loop: Header=BB214_13 Depth=1
	s_or_b32 exec_lo, exec_lo, s26
.LBB214_217:                            ;   in Loop: Header=BB214_13 Depth=1
	s_or_b32 exec_lo, exec_lo, s25
.LBB214_218:                            ;   in Loop: Header=BB214_13 Depth=1
	s_or_b32 exec_lo, exec_lo, s24
	v_cmp_ne_u16_sdwa s6, v0, v29 src0_sel:BYTE_1 src1_sel:DWORD
	s_and_saveexec_b32 s24, s6
	s_cbranch_execz .LBB214_226
; %bb.219:                              ;   in Loop: Header=BB214_13 Depth=1
	v_mov_b32_e32 v39, v29
	v_cmp_ne_u16_sdwa s6, v0, v108 src0_sel:BYTE_1 src1_sel:DWORD
	buffer_store_dword v39, off, s[0:3], s32 offset:420 ; 4-byte Folded Spill
	buffer_store_dword v40, off, s[0:3], s32 offset:424 ; 4-byte Folded Spill
	s_and_saveexec_b32 s25, s6
	s_cbranch_execz .LBB214_225
; %bb.220:                              ;   in Loop: Header=BB214_13 Depth=1
	v_mov_b32_e32 v1, 0xffff
	v_mov_b32_e32 v60, v29
	s_mov_b32 s26, exec_lo
	buffer_store_dword v60, off, s[0:3], s32 offset:420 ; 4-byte Folded Spill
	buffer_store_dword v61, off, s[0:3], s32 offset:424 ; 4-byte Folded Spill
	v_and_b32_sdwa v1, v1, v0 dst_sel:DWORD dst_unused:UNUSED_PAD src0_sel:DWORD src1_sel:BYTE_1
	v_and_b32_e32 v2, 0x7f, v1
	v_cmpx_ne_u32_e32 0x7f, v2
	s_cbranch_execz .LBB214_224
; %bb.221:                              ;   in Loop: Header=BB214_13 Depth=1
	v_and_b32_e32 v28, 7, v1
	v_lshrrev_b32_e32 v1, 3, v2
	s_mov_b32 s27, exec_lo
	v_cmpx_gt_u32_e32 8, v2
; %bb.222:                              ;   in Loop: Header=BB214_13 Depth=1
	v_ffbh_u32_e32 v1, v28
	v_min_u32_e32 v1, 32, v1
	v_subrev_nc_u32_e32 v2, 28, v1
	v_sub_nc_u32_e32 v1, 29, v1
	v_lshlrev_b64 v[2:3], v2, v[28:29]
	v_and_b32_e32 v28, 7, v2
; %bb.223:                              ;   in Loop: Header=BB214_13 Depth=1
	s_or_b32 exec_lo, exec_lo, s27
	v_lshlrev_b32_e32 v0, 16, v0
	v_lshlrev_b32_e32 v2, 20, v28
	v_lshl_add_u32 v1, v1, 23, 0x3c000000
	v_and_b32_e32 v0, 0x80000000, v0
	v_or3_b32 v1, v2, v0, v1
	v_mov_b32_e32 v0, v29
	buffer_store_dword v0, off, s[0:3], s32 offset:420 ; 4-byte Folded Spill
	buffer_store_dword v1, off, s[0:3], s32 offset:424 ; 4-byte Folded Spill
.LBB214_224:                            ;   in Loop: Header=BB214_13 Depth=1
	s_or_b32 exec_lo, exec_lo, s26
.LBB214_225:                            ;   in Loop: Header=BB214_13 Depth=1
	s_or_b32 exec_lo, exec_lo, s25
.LBB214_226:                            ;   in Loop: Header=BB214_13 Depth=1
	s_or_b32 exec_lo, exec_lo, s24
	flat_load_ushort v1, v[72:73] offset:772
	s_waitcnt vmcnt(0) lgkmcnt(0)
	v_and_b32_e32 v0, 0xffff, v1
	v_cmp_ne_u16_sdwa s6, v1, v29 src0_sel:BYTE_0 src1_sel:DWORD
	v_mov_b32_e32 v1, 0
	v_mov_b32_e32 v2, 0
	buffer_store_dword v1, off, s[0:3], s32 offset:436 ; 4-byte Folded Spill
	buffer_store_dword v2, off, s[0:3], s32 offset:440 ; 4-byte Folded Spill
	v_mov_b32_e32 v1, 0
	v_mov_b32_e32 v2, 0
	buffer_store_dword v1, off, s[0:3], s32 offset:428 ; 4-byte Folded Spill
	buffer_store_dword v2, off, s[0:3], s32 offset:432 ; 4-byte Folded Spill
	s_and_saveexec_b32 s24, s6
	s_cbranch_execz .LBB214_234
; %bb.227:                              ;   in Loop: Header=BB214_13 Depth=1
	v_bfrev_b32_e32 v1, 1
	v_mov_b32_e32 v2, 0
	v_cmp_ne_u16_sdwa s6, v0, v108 src0_sel:BYTE_0 src1_sel:DWORD
	buffer_store_dword v1, off, s[0:3], s32 offset:428 ; 4-byte Folded Spill
	buffer_store_dword v2, off, s[0:3], s32 offset:432 ; 4-byte Folded Spill
	s_and_saveexec_b32 s25, s6
	s_cbranch_execz .LBB214_233
; %bb.228:                              ;   in Loop: Header=BB214_13 Depth=1
	v_mov_b32_e32 v3, 0x7f800001
	v_and_b32_e32 v2, 0x7f, v0
	v_mov_b32_e32 v4, 0
	s_mov_b32 s26, exec_lo
	buffer_store_dword v3, off, s[0:3], s32 offset:428 ; 4-byte Folded Spill
	buffer_store_dword v4, off, s[0:3], s32 offset:432 ; 4-byte Folded Spill
	v_cmpx_ne_u32_e32 0x7f, v2
	s_cbranch_execz .LBB214_232
; %bb.229:                              ;   in Loop: Header=BB214_13 Depth=1
	v_and_b32_e32 v28, 7, v0
	v_lshrrev_b32_e32 v1, 3, v2
	s_mov_b32 s27, exec_lo
	v_cmpx_gt_u32_e32 8, v2
; %bb.230:                              ;   in Loop: Header=BB214_13 Depth=1
	v_ffbh_u32_e32 v1, v28
	v_min_u32_e32 v1, 32, v1
	v_subrev_nc_u32_e32 v2, 28, v1
	v_sub_nc_u32_e32 v1, 29, v1
	v_lshlrev_b64 v[2:3], v2, v[28:29]
	v_and_b32_e32 v28, 7, v2
; %bb.231:                              ;   in Loop: Header=BB214_13 Depth=1
	s_or_b32 exec_lo, exec_lo, s27
	v_lshlrev_b32_e32 v2, 24, v0
	v_lshlrev_b32_e32 v3, 20, v28
	v_lshl_add_u32 v1, v1, 23, 0x3c000000
	v_and_b32_e32 v2, 0x80000000, v2
	v_or3_b32 v28, v3, v2, v1
	buffer_store_dword v28, off, s[0:3], s32 offset:428 ; 4-byte Folded Spill
	buffer_store_dword v29, off, s[0:3], s32 offset:432 ; 4-byte Folded Spill
.LBB214_232:                            ;   in Loop: Header=BB214_13 Depth=1
	s_or_b32 exec_lo, exec_lo, s26
.LBB214_233:                            ;   in Loop: Header=BB214_13 Depth=1
	s_or_b32 exec_lo, exec_lo, s25
.LBB214_234:                            ;   in Loop: Header=BB214_13 Depth=1
	s_or_b32 exec_lo, exec_lo, s24
	v_cmp_ne_u16_sdwa s6, v0, v29 src0_sel:BYTE_1 src1_sel:DWORD
	s_and_saveexec_b32 s24, s6
	s_cbranch_execz .LBB214_242
; %bb.235:                              ;   in Loop: Header=BB214_13 Depth=1
	v_mov_b32_e32 v39, v29
	v_cmp_ne_u16_sdwa s6, v0, v108 src0_sel:BYTE_1 src1_sel:DWORD
	buffer_store_dword v39, off, s[0:3], s32 offset:436 ; 4-byte Folded Spill
	buffer_store_dword v40, off, s[0:3], s32 offset:440 ; 4-byte Folded Spill
	s_and_saveexec_b32 s25, s6
	s_cbranch_execz .LBB214_241
; %bb.236:                              ;   in Loop: Header=BB214_13 Depth=1
	v_mov_b32_e32 v1, 0xffff
	v_mov_b32_e32 v60, v29
	s_mov_b32 s26, exec_lo
	buffer_store_dword v60, off, s[0:3], s32 offset:436 ; 4-byte Folded Spill
	buffer_store_dword v61, off, s[0:3], s32 offset:440 ; 4-byte Folded Spill
	v_and_b32_sdwa v1, v1, v0 dst_sel:DWORD dst_unused:UNUSED_PAD src0_sel:DWORD src1_sel:BYTE_1
	v_and_b32_e32 v2, 0x7f, v1
	v_cmpx_ne_u32_e32 0x7f, v2
	s_cbranch_execz .LBB214_240
; %bb.237:                              ;   in Loop: Header=BB214_13 Depth=1
	v_and_b32_e32 v28, 7, v1
	v_lshrrev_b32_e32 v1, 3, v2
	s_mov_b32 s27, exec_lo
	v_cmpx_gt_u32_e32 8, v2
; %bb.238:                              ;   in Loop: Header=BB214_13 Depth=1
	v_ffbh_u32_e32 v1, v28
	v_min_u32_e32 v1, 32, v1
	v_subrev_nc_u32_e32 v2, 28, v1
	v_sub_nc_u32_e32 v1, 29, v1
	v_lshlrev_b64 v[2:3], v2, v[28:29]
	v_and_b32_e32 v28, 7, v2
; %bb.239:                              ;   in Loop: Header=BB214_13 Depth=1
	s_or_b32 exec_lo, exec_lo, s27
	v_lshlrev_b32_e32 v0, 16, v0
	v_lshlrev_b32_e32 v2, 20, v28
	v_lshl_add_u32 v1, v1, 23, 0x3c000000
	v_and_b32_e32 v0, 0x80000000, v0
	v_or3_b32 v1, v2, v0, v1
	v_mov_b32_e32 v0, v29
	buffer_store_dword v0, off, s[0:3], s32 offset:436 ; 4-byte Folded Spill
	buffer_store_dword v1, off, s[0:3], s32 offset:440 ; 4-byte Folded Spill
.LBB214_240:                            ;   in Loop: Header=BB214_13 Depth=1
	s_or_b32 exec_lo, exec_lo, s26
.LBB214_241:                            ;   in Loop: Header=BB214_13 Depth=1
	s_or_b32 exec_lo, exec_lo, s25
.LBB214_242:                            ;   in Loop: Header=BB214_13 Depth=1
	s_or_b32 exec_lo, exec_lo, s24
	flat_load_ushort v1, v[72:73] offset:776
	s_waitcnt vmcnt(0) lgkmcnt(0)
	v_and_b32_e32 v0, 0xffff, v1
	v_cmp_ne_u16_sdwa s6, v1, v29 src0_sel:BYTE_0 src1_sel:DWORD
	v_mov_b32_e32 v1, 0
	v_mov_b32_e32 v2, 0
	buffer_store_dword v1, off, s[0:3], s32 offset:452 ; 4-byte Folded Spill
	buffer_store_dword v2, off, s[0:3], s32 offset:456 ; 4-byte Folded Spill
	v_mov_b32_e32 v1, 0
	v_mov_b32_e32 v2, 0
	buffer_store_dword v1, off, s[0:3], s32 offset:444 ; 4-byte Folded Spill
	buffer_store_dword v2, off, s[0:3], s32 offset:448 ; 4-byte Folded Spill
	s_and_saveexec_b32 s24, s6
	s_cbranch_execz .LBB214_250
; %bb.243:                              ;   in Loop: Header=BB214_13 Depth=1
	v_bfrev_b32_e32 v1, 1
	v_mov_b32_e32 v2, 0
	v_cmp_ne_u16_sdwa s6, v0, v108 src0_sel:BYTE_0 src1_sel:DWORD
	buffer_store_dword v1, off, s[0:3], s32 offset:444 ; 4-byte Folded Spill
	buffer_store_dword v2, off, s[0:3], s32 offset:448 ; 4-byte Folded Spill
	s_and_saveexec_b32 s25, s6
	s_cbranch_execz .LBB214_249
; %bb.244:                              ;   in Loop: Header=BB214_13 Depth=1
	v_mov_b32_e32 v3, 0x7f800001
	v_and_b32_e32 v2, 0x7f, v0
	v_mov_b32_e32 v4, 0
	s_mov_b32 s26, exec_lo
	buffer_store_dword v3, off, s[0:3], s32 offset:444 ; 4-byte Folded Spill
	buffer_store_dword v4, off, s[0:3], s32 offset:448 ; 4-byte Folded Spill
	v_cmpx_ne_u32_e32 0x7f, v2
	s_cbranch_execz .LBB214_248
; %bb.245:                              ;   in Loop: Header=BB214_13 Depth=1
	v_and_b32_e32 v28, 7, v0
	v_lshrrev_b32_e32 v1, 3, v2
	s_mov_b32 s27, exec_lo
	v_cmpx_gt_u32_e32 8, v2
; %bb.246:                              ;   in Loop: Header=BB214_13 Depth=1
	v_ffbh_u32_e32 v1, v28
	v_min_u32_e32 v1, 32, v1
	v_subrev_nc_u32_e32 v2, 28, v1
	v_sub_nc_u32_e32 v1, 29, v1
	v_lshlrev_b64 v[2:3], v2, v[28:29]
	v_and_b32_e32 v28, 7, v2
; %bb.247:                              ;   in Loop: Header=BB214_13 Depth=1
	s_or_b32 exec_lo, exec_lo, s27
	v_lshlrev_b32_e32 v2, 24, v0
	v_lshlrev_b32_e32 v3, 20, v28
	v_lshl_add_u32 v1, v1, 23, 0x3c000000
	v_and_b32_e32 v2, 0x80000000, v2
	v_or3_b32 v28, v3, v2, v1
	buffer_store_dword v28, off, s[0:3], s32 offset:444 ; 4-byte Folded Spill
	buffer_store_dword v29, off, s[0:3], s32 offset:448 ; 4-byte Folded Spill
.LBB214_248:                            ;   in Loop: Header=BB214_13 Depth=1
	s_or_b32 exec_lo, exec_lo, s26
.LBB214_249:                            ;   in Loop: Header=BB214_13 Depth=1
	s_or_b32 exec_lo, exec_lo, s25
.LBB214_250:                            ;   in Loop: Header=BB214_13 Depth=1
	s_or_b32 exec_lo, exec_lo, s24
	v_cmp_ne_u16_sdwa s6, v0, v29 src0_sel:BYTE_1 src1_sel:DWORD
	s_and_saveexec_b32 s24, s6
	s_cbranch_execz .LBB214_258
; %bb.251:                              ;   in Loop: Header=BB214_13 Depth=1
	v_mov_b32_e32 v39, v29
	v_cmp_ne_u16_sdwa s6, v0, v108 src0_sel:BYTE_1 src1_sel:DWORD
	buffer_store_dword v39, off, s[0:3], s32 offset:452 ; 4-byte Folded Spill
	buffer_store_dword v40, off, s[0:3], s32 offset:456 ; 4-byte Folded Spill
	s_and_saveexec_b32 s25, s6
	s_cbranch_execz .LBB214_257
; %bb.252:                              ;   in Loop: Header=BB214_13 Depth=1
	v_mov_b32_e32 v1, 0xffff
	v_mov_b32_e32 v60, v29
	s_mov_b32 s26, exec_lo
	buffer_store_dword v60, off, s[0:3], s32 offset:452 ; 4-byte Folded Spill
	buffer_store_dword v61, off, s[0:3], s32 offset:456 ; 4-byte Folded Spill
	v_and_b32_sdwa v1, v1, v0 dst_sel:DWORD dst_unused:UNUSED_PAD src0_sel:DWORD src1_sel:BYTE_1
	v_and_b32_e32 v2, 0x7f, v1
	v_cmpx_ne_u32_e32 0x7f, v2
	s_cbranch_execz .LBB214_256
; %bb.253:                              ;   in Loop: Header=BB214_13 Depth=1
	v_and_b32_e32 v28, 7, v1
	v_lshrrev_b32_e32 v1, 3, v2
	s_mov_b32 s27, exec_lo
	v_cmpx_gt_u32_e32 8, v2
; %bb.254:                              ;   in Loop: Header=BB214_13 Depth=1
	v_ffbh_u32_e32 v1, v28
	v_min_u32_e32 v1, 32, v1
	v_subrev_nc_u32_e32 v2, 28, v1
	v_sub_nc_u32_e32 v1, 29, v1
	v_lshlrev_b64 v[2:3], v2, v[28:29]
	v_and_b32_e32 v28, 7, v2
; %bb.255:                              ;   in Loop: Header=BB214_13 Depth=1
	s_or_b32 exec_lo, exec_lo, s27
	v_lshlrev_b32_e32 v0, 16, v0
	v_lshlrev_b32_e32 v2, 20, v28
	v_lshl_add_u32 v1, v1, 23, 0x3c000000
	v_and_b32_e32 v0, 0x80000000, v0
	v_or3_b32 v1, v2, v0, v1
	v_mov_b32_e32 v0, v29
	buffer_store_dword v0, off, s[0:3], s32 offset:452 ; 4-byte Folded Spill
	buffer_store_dword v1, off, s[0:3], s32 offset:456 ; 4-byte Folded Spill
.LBB214_256:                            ;   in Loop: Header=BB214_13 Depth=1
	s_or_b32 exec_lo, exec_lo, s26
.LBB214_257:                            ;   in Loop: Header=BB214_13 Depth=1
	s_or_b32 exec_lo, exec_lo, s25
.LBB214_258:                            ;   in Loop: Header=BB214_13 Depth=1
	s_or_b32 exec_lo, exec_lo, s24
	flat_load_ushort v1, v[72:73] offset:780
	s_waitcnt vmcnt(0) lgkmcnt(0)
	v_and_b32_e32 v0, 0xffff, v1
	v_cmp_ne_u16_sdwa s6, v1, v29 src0_sel:BYTE_0 src1_sel:DWORD
	v_mov_b32_e32 v1, 0
	v_mov_b32_e32 v2, 0
	buffer_store_dword v1, off, s[0:3], s32 offset:468 ; 4-byte Folded Spill
	buffer_store_dword v2, off, s[0:3], s32 offset:472 ; 4-byte Folded Spill
	v_mov_b32_e32 v1, 0
	v_mov_b32_e32 v2, 0
	buffer_store_dword v1, off, s[0:3], s32 offset:460 ; 4-byte Folded Spill
	buffer_store_dword v2, off, s[0:3], s32 offset:464 ; 4-byte Folded Spill
	s_and_saveexec_b32 s24, s6
	s_cbranch_execz .LBB214_266
; %bb.259:                              ;   in Loop: Header=BB214_13 Depth=1
	v_bfrev_b32_e32 v1, 1
	v_mov_b32_e32 v2, 0
	v_cmp_ne_u16_sdwa s6, v0, v108 src0_sel:BYTE_0 src1_sel:DWORD
	buffer_store_dword v1, off, s[0:3], s32 offset:460 ; 4-byte Folded Spill
	buffer_store_dword v2, off, s[0:3], s32 offset:464 ; 4-byte Folded Spill
	s_and_saveexec_b32 s25, s6
	s_cbranch_execz .LBB214_265
; %bb.260:                              ;   in Loop: Header=BB214_13 Depth=1
	v_mov_b32_e32 v3, 0x7f800001
	v_and_b32_e32 v2, 0x7f, v0
	v_mov_b32_e32 v4, 0
	s_mov_b32 s26, exec_lo
	buffer_store_dword v3, off, s[0:3], s32 offset:460 ; 4-byte Folded Spill
	buffer_store_dword v4, off, s[0:3], s32 offset:464 ; 4-byte Folded Spill
	v_cmpx_ne_u32_e32 0x7f, v2
	s_cbranch_execz .LBB214_264
; %bb.261:                              ;   in Loop: Header=BB214_13 Depth=1
	v_and_b32_e32 v28, 7, v0
	v_lshrrev_b32_e32 v1, 3, v2
	s_mov_b32 s27, exec_lo
	v_cmpx_gt_u32_e32 8, v2
; %bb.262:                              ;   in Loop: Header=BB214_13 Depth=1
	v_ffbh_u32_e32 v1, v28
	v_min_u32_e32 v1, 32, v1
	v_subrev_nc_u32_e32 v2, 28, v1
	v_sub_nc_u32_e32 v1, 29, v1
	v_lshlrev_b64 v[2:3], v2, v[28:29]
	v_and_b32_e32 v28, 7, v2
; %bb.263:                              ;   in Loop: Header=BB214_13 Depth=1
	s_or_b32 exec_lo, exec_lo, s27
	v_lshlrev_b32_e32 v2, 24, v0
	v_lshlrev_b32_e32 v3, 20, v28
	v_lshl_add_u32 v1, v1, 23, 0x3c000000
	v_and_b32_e32 v2, 0x80000000, v2
	v_or3_b32 v28, v3, v2, v1
	buffer_store_dword v28, off, s[0:3], s32 offset:460 ; 4-byte Folded Spill
	buffer_store_dword v29, off, s[0:3], s32 offset:464 ; 4-byte Folded Spill
.LBB214_264:                            ;   in Loop: Header=BB214_13 Depth=1
	s_or_b32 exec_lo, exec_lo, s26
.LBB214_265:                            ;   in Loop: Header=BB214_13 Depth=1
	s_or_b32 exec_lo, exec_lo, s25
.LBB214_266:                            ;   in Loop: Header=BB214_13 Depth=1
	s_or_b32 exec_lo, exec_lo, s24
	v_cmp_ne_u16_sdwa s6, v0, v29 src0_sel:BYTE_1 src1_sel:DWORD
	s_and_saveexec_b32 s24, s6
	s_cbranch_execz .LBB214_274
; %bb.267:                              ;   in Loop: Header=BB214_13 Depth=1
	v_mov_b32_e32 v39, v29
	v_cmp_ne_u16_sdwa s6, v0, v108 src0_sel:BYTE_1 src1_sel:DWORD
	buffer_store_dword v39, off, s[0:3], s32 offset:468 ; 4-byte Folded Spill
	buffer_store_dword v40, off, s[0:3], s32 offset:472 ; 4-byte Folded Spill
	s_and_saveexec_b32 s25, s6
	s_cbranch_execz .LBB214_273
; %bb.268:                              ;   in Loop: Header=BB214_13 Depth=1
	v_mov_b32_e32 v1, 0xffff
	v_mov_b32_e32 v60, v29
	s_mov_b32 s26, exec_lo
	buffer_store_dword v60, off, s[0:3], s32 offset:468 ; 4-byte Folded Spill
	buffer_store_dword v61, off, s[0:3], s32 offset:472 ; 4-byte Folded Spill
	v_and_b32_sdwa v1, v1, v0 dst_sel:DWORD dst_unused:UNUSED_PAD src0_sel:DWORD src1_sel:BYTE_1
	v_and_b32_e32 v2, 0x7f, v1
	v_cmpx_ne_u32_e32 0x7f, v2
	s_cbranch_execz .LBB214_272
; %bb.269:                              ;   in Loop: Header=BB214_13 Depth=1
	v_and_b32_e32 v28, 7, v1
	v_lshrrev_b32_e32 v1, 3, v2
	s_mov_b32 s27, exec_lo
	v_cmpx_gt_u32_e32 8, v2
; %bb.270:                              ;   in Loop: Header=BB214_13 Depth=1
	v_ffbh_u32_e32 v1, v28
	v_min_u32_e32 v1, 32, v1
	v_subrev_nc_u32_e32 v2, 28, v1
	v_sub_nc_u32_e32 v1, 29, v1
	v_lshlrev_b64 v[2:3], v2, v[28:29]
	v_and_b32_e32 v28, 7, v2
; %bb.271:                              ;   in Loop: Header=BB214_13 Depth=1
	s_or_b32 exec_lo, exec_lo, s27
	v_lshlrev_b32_e32 v0, 16, v0
	v_lshlrev_b32_e32 v2, 20, v28
	v_lshl_add_u32 v1, v1, 23, 0x3c000000
	v_and_b32_e32 v0, 0x80000000, v0
	v_or3_b32 v1, v2, v0, v1
	v_mov_b32_e32 v0, v29
	buffer_store_dword v0, off, s[0:3], s32 offset:468 ; 4-byte Folded Spill
	buffer_store_dword v1, off, s[0:3], s32 offset:472 ; 4-byte Folded Spill
.LBB214_272:                            ;   in Loop: Header=BB214_13 Depth=1
	s_or_b32 exec_lo, exec_lo, s26
.LBB214_273:                            ;   in Loop: Header=BB214_13 Depth=1
	s_or_b32 exec_lo, exec_lo, s25
.LBB214_274:                            ;   in Loop: Header=BB214_13 Depth=1
	s_or_b32 exec_lo, exec_lo, s24
	flat_load_ushort v1, v[72:73] offset:1024
	s_waitcnt vmcnt(0) lgkmcnt(0)
	v_and_b32_e32 v0, 0xffff, v1
	v_cmp_ne_u16_sdwa s6, v1, v29 src0_sel:BYTE_0 src1_sel:DWORD
	v_mov_b32_e32 v1, 0
	v_mov_b32_e32 v2, 0
	buffer_store_dword v1, off, s[0:3], s32 offset:484 ; 4-byte Folded Spill
	buffer_store_dword v2, off, s[0:3], s32 offset:488 ; 4-byte Folded Spill
	v_mov_b32_e32 v1, 0
	v_mov_b32_e32 v2, 0
	buffer_store_dword v1, off, s[0:3], s32 offset:476 ; 4-byte Folded Spill
	buffer_store_dword v2, off, s[0:3], s32 offset:480 ; 4-byte Folded Spill
	s_and_saveexec_b32 s24, s6
	s_cbranch_execz .LBB214_282
; %bb.275:                              ;   in Loop: Header=BB214_13 Depth=1
	v_bfrev_b32_e32 v1, 1
	v_mov_b32_e32 v2, 0
	v_cmp_ne_u16_sdwa s6, v0, v108 src0_sel:BYTE_0 src1_sel:DWORD
	buffer_store_dword v1, off, s[0:3], s32 offset:476 ; 4-byte Folded Spill
	buffer_store_dword v2, off, s[0:3], s32 offset:480 ; 4-byte Folded Spill
	s_and_saveexec_b32 s25, s6
	s_cbranch_execz .LBB214_281
; %bb.276:                              ;   in Loop: Header=BB214_13 Depth=1
	v_mov_b32_e32 v3, 0x7f800001
	v_and_b32_e32 v2, 0x7f, v0
	v_mov_b32_e32 v4, 0
	s_mov_b32 s26, exec_lo
	buffer_store_dword v3, off, s[0:3], s32 offset:476 ; 4-byte Folded Spill
	buffer_store_dword v4, off, s[0:3], s32 offset:480 ; 4-byte Folded Spill
	v_cmpx_ne_u32_e32 0x7f, v2
	s_cbranch_execz .LBB214_280
; %bb.277:                              ;   in Loop: Header=BB214_13 Depth=1
	v_and_b32_e32 v28, 7, v0
	v_lshrrev_b32_e32 v1, 3, v2
	s_mov_b32 s27, exec_lo
	v_cmpx_gt_u32_e32 8, v2
; %bb.278:                              ;   in Loop: Header=BB214_13 Depth=1
	v_ffbh_u32_e32 v1, v28
	v_min_u32_e32 v1, 32, v1
	v_subrev_nc_u32_e32 v2, 28, v1
	v_sub_nc_u32_e32 v1, 29, v1
	v_lshlrev_b64 v[2:3], v2, v[28:29]
	v_and_b32_e32 v28, 7, v2
; %bb.279:                              ;   in Loop: Header=BB214_13 Depth=1
	s_or_b32 exec_lo, exec_lo, s27
	v_lshlrev_b32_e32 v2, 24, v0
	v_lshlrev_b32_e32 v3, 20, v28
	v_lshl_add_u32 v1, v1, 23, 0x3c000000
	v_and_b32_e32 v2, 0x80000000, v2
	v_or3_b32 v28, v3, v2, v1
	buffer_store_dword v28, off, s[0:3], s32 offset:476 ; 4-byte Folded Spill
	buffer_store_dword v29, off, s[0:3], s32 offset:480 ; 4-byte Folded Spill
.LBB214_280:                            ;   in Loop: Header=BB214_13 Depth=1
	s_or_b32 exec_lo, exec_lo, s26
.LBB214_281:                            ;   in Loop: Header=BB214_13 Depth=1
	s_or_b32 exec_lo, exec_lo, s25
.LBB214_282:                            ;   in Loop: Header=BB214_13 Depth=1
	s_or_b32 exec_lo, exec_lo, s24
	v_cmp_ne_u16_sdwa s6, v0, v29 src0_sel:BYTE_1 src1_sel:DWORD
	s_and_saveexec_b32 s24, s6
	s_cbranch_execz .LBB214_290
; %bb.283:                              ;   in Loop: Header=BB214_13 Depth=1
	v_mov_b32_e32 v39, v29
	v_cmp_ne_u16_sdwa s6, v0, v108 src0_sel:BYTE_1 src1_sel:DWORD
	buffer_store_dword v39, off, s[0:3], s32 offset:484 ; 4-byte Folded Spill
	buffer_store_dword v40, off, s[0:3], s32 offset:488 ; 4-byte Folded Spill
	s_and_saveexec_b32 s25, s6
	s_cbranch_execz .LBB214_289
; %bb.284:                              ;   in Loop: Header=BB214_13 Depth=1
	v_mov_b32_e32 v1, 0xffff
	v_mov_b32_e32 v60, v29
	s_mov_b32 s26, exec_lo
	buffer_store_dword v60, off, s[0:3], s32 offset:484 ; 4-byte Folded Spill
	buffer_store_dword v61, off, s[0:3], s32 offset:488 ; 4-byte Folded Spill
	v_and_b32_sdwa v1, v1, v0 dst_sel:DWORD dst_unused:UNUSED_PAD src0_sel:DWORD src1_sel:BYTE_1
	v_and_b32_e32 v2, 0x7f, v1
	v_cmpx_ne_u32_e32 0x7f, v2
	s_cbranch_execz .LBB214_288
; %bb.285:                              ;   in Loop: Header=BB214_13 Depth=1
	v_and_b32_e32 v28, 7, v1
	v_lshrrev_b32_e32 v1, 3, v2
	s_mov_b32 s27, exec_lo
	v_cmpx_gt_u32_e32 8, v2
; %bb.286:                              ;   in Loop: Header=BB214_13 Depth=1
	v_ffbh_u32_e32 v1, v28
	v_min_u32_e32 v1, 32, v1
	v_subrev_nc_u32_e32 v2, 28, v1
	v_sub_nc_u32_e32 v1, 29, v1
	v_lshlrev_b64 v[2:3], v2, v[28:29]
	v_and_b32_e32 v28, 7, v2
; %bb.287:                              ;   in Loop: Header=BB214_13 Depth=1
	s_or_b32 exec_lo, exec_lo, s27
	v_lshlrev_b32_e32 v0, 16, v0
	v_lshlrev_b32_e32 v2, 20, v28
	v_lshl_add_u32 v1, v1, 23, 0x3c000000
	v_and_b32_e32 v0, 0x80000000, v0
	v_or3_b32 v1, v2, v0, v1
	v_mov_b32_e32 v0, v29
	buffer_store_dword v0, off, s[0:3], s32 offset:484 ; 4-byte Folded Spill
	buffer_store_dword v1, off, s[0:3], s32 offset:488 ; 4-byte Folded Spill
.LBB214_288:                            ;   in Loop: Header=BB214_13 Depth=1
	s_or_b32 exec_lo, exec_lo, s26
.LBB214_289:                            ;   in Loop: Header=BB214_13 Depth=1
	s_or_b32 exec_lo, exec_lo, s25
.LBB214_290:                            ;   in Loop: Header=BB214_13 Depth=1
	s_or_b32 exec_lo, exec_lo, s24
	flat_load_ushort v1, v[72:73] offset:1028
	s_waitcnt vmcnt(0) lgkmcnt(0)
	v_and_b32_e32 v0, 0xffff, v1
	v_cmp_ne_u16_sdwa s6, v1, v29 src0_sel:BYTE_0 src1_sel:DWORD
	v_mov_b32_e32 v1, 0
	v_mov_b32_e32 v2, 0
	buffer_store_dword v1, off, s[0:3], s32 offset:500 ; 4-byte Folded Spill
	buffer_store_dword v2, off, s[0:3], s32 offset:504 ; 4-byte Folded Spill
	v_mov_b32_e32 v1, 0
	v_mov_b32_e32 v2, 0
	buffer_store_dword v1, off, s[0:3], s32 offset:492 ; 4-byte Folded Spill
	buffer_store_dword v2, off, s[0:3], s32 offset:496 ; 4-byte Folded Spill
	s_and_saveexec_b32 s24, s6
	s_cbranch_execz .LBB214_298
; %bb.291:                              ;   in Loop: Header=BB214_13 Depth=1
	v_bfrev_b32_e32 v1, 1
	v_mov_b32_e32 v2, 0
	v_cmp_ne_u16_sdwa s6, v0, v108 src0_sel:BYTE_0 src1_sel:DWORD
	buffer_store_dword v1, off, s[0:3], s32 offset:492 ; 4-byte Folded Spill
	buffer_store_dword v2, off, s[0:3], s32 offset:496 ; 4-byte Folded Spill
	s_and_saveexec_b32 s25, s6
	s_cbranch_execz .LBB214_297
; %bb.292:                              ;   in Loop: Header=BB214_13 Depth=1
	v_mov_b32_e32 v3, 0x7f800001
	v_and_b32_e32 v2, 0x7f, v0
	v_mov_b32_e32 v4, 0
	s_mov_b32 s26, exec_lo
	buffer_store_dword v3, off, s[0:3], s32 offset:492 ; 4-byte Folded Spill
	buffer_store_dword v4, off, s[0:3], s32 offset:496 ; 4-byte Folded Spill
	v_cmpx_ne_u32_e32 0x7f, v2
	s_cbranch_execz .LBB214_296
; %bb.293:                              ;   in Loop: Header=BB214_13 Depth=1
	v_and_b32_e32 v28, 7, v0
	v_lshrrev_b32_e32 v1, 3, v2
	s_mov_b32 s27, exec_lo
	v_cmpx_gt_u32_e32 8, v2
; %bb.294:                              ;   in Loop: Header=BB214_13 Depth=1
	v_ffbh_u32_e32 v1, v28
	v_min_u32_e32 v1, 32, v1
	v_subrev_nc_u32_e32 v2, 28, v1
	v_sub_nc_u32_e32 v1, 29, v1
	v_lshlrev_b64 v[2:3], v2, v[28:29]
	v_and_b32_e32 v28, 7, v2
; %bb.295:                              ;   in Loop: Header=BB214_13 Depth=1
	s_or_b32 exec_lo, exec_lo, s27
	v_lshlrev_b32_e32 v2, 24, v0
	v_lshlrev_b32_e32 v3, 20, v28
	v_lshl_add_u32 v1, v1, 23, 0x3c000000
	v_and_b32_e32 v2, 0x80000000, v2
	v_or3_b32 v28, v3, v2, v1
	buffer_store_dword v28, off, s[0:3], s32 offset:492 ; 4-byte Folded Spill
	buffer_store_dword v29, off, s[0:3], s32 offset:496 ; 4-byte Folded Spill
.LBB214_296:                            ;   in Loop: Header=BB214_13 Depth=1
	s_or_b32 exec_lo, exec_lo, s26
.LBB214_297:                            ;   in Loop: Header=BB214_13 Depth=1
	s_or_b32 exec_lo, exec_lo, s25
.LBB214_298:                            ;   in Loop: Header=BB214_13 Depth=1
	s_or_b32 exec_lo, exec_lo, s24
	v_cmp_ne_u16_sdwa s6, v0, v29 src0_sel:BYTE_1 src1_sel:DWORD
	s_and_saveexec_b32 s24, s6
	s_cbranch_execz .LBB214_306
; %bb.299:                              ;   in Loop: Header=BB214_13 Depth=1
	v_mov_b32_e32 v39, v29
	v_cmp_ne_u16_sdwa s6, v0, v108 src0_sel:BYTE_1 src1_sel:DWORD
	buffer_store_dword v39, off, s[0:3], s32 offset:500 ; 4-byte Folded Spill
	buffer_store_dword v40, off, s[0:3], s32 offset:504 ; 4-byte Folded Spill
	s_and_saveexec_b32 s25, s6
	s_cbranch_execz .LBB214_305
; %bb.300:                              ;   in Loop: Header=BB214_13 Depth=1
	v_mov_b32_e32 v1, 0xffff
	v_mov_b32_e32 v60, v29
	s_mov_b32 s26, exec_lo
	buffer_store_dword v60, off, s[0:3], s32 offset:500 ; 4-byte Folded Spill
	buffer_store_dword v61, off, s[0:3], s32 offset:504 ; 4-byte Folded Spill
	v_and_b32_sdwa v1, v1, v0 dst_sel:DWORD dst_unused:UNUSED_PAD src0_sel:DWORD src1_sel:BYTE_1
	v_and_b32_e32 v2, 0x7f, v1
	v_cmpx_ne_u32_e32 0x7f, v2
	s_cbranch_execz .LBB214_304
; %bb.301:                              ;   in Loop: Header=BB214_13 Depth=1
	v_and_b32_e32 v28, 7, v1
	v_lshrrev_b32_e32 v1, 3, v2
	s_mov_b32 s27, exec_lo
	v_cmpx_gt_u32_e32 8, v2
; %bb.302:                              ;   in Loop: Header=BB214_13 Depth=1
	v_ffbh_u32_e32 v1, v28
	v_min_u32_e32 v1, 32, v1
	v_subrev_nc_u32_e32 v2, 28, v1
	v_sub_nc_u32_e32 v1, 29, v1
	v_lshlrev_b64 v[2:3], v2, v[28:29]
	v_and_b32_e32 v28, 7, v2
; %bb.303:                              ;   in Loop: Header=BB214_13 Depth=1
	s_or_b32 exec_lo, exec_lo, s27
	v_lshlrev_b32_e32 v0, 16, v0
	v_lshlrev_b32_e32 v2, 20, v28
	v_lshl_add_u32 v1, v1, 23, 0x3c000000
	v_and_b32_e32 v0, 0x80000000, v0
	v_or3_b32 v1, v2, v0, v1
	v_mov_b32_e32 v0, v29
	buffer_store_dword v0, off, s[0:3], s32 offset:500 ; 4-byte Folded Spill
	buffer_store_dword v1, off, s[0:3], s32 offset:504 ; 4-byte Folded Spill
.LBB214_304:                            ;   in Loop: Header=BB214_13 Depth=1
	s_or_b32 exec_lo, exec_lo, s26
.LBB214_305:                            ;   in Loop: Header=BB214_13 Depth=1
	s_or_b32 exec_lo, exec_lo, s25
.LBB214_306:                            ;   in Loop: Header=BB214_13 Depth=1
	s_or_b32 exec_lo, exec_lo, s24
	flat_load_ushort v1, v[72:73] offset:1032
	s_waitcnt vmcnt(0) lgkmcnt(0)
	v_and_b32_e32 v0, 0xffff, v1
	v_cmp_ne_u16_sdwa s6, v1, v29 src0_sel:BYTE_0 src1_sel:DWORD
	v_mov_b32_e32 v1, 0
	v_mov_b32_e32 v2, 0
	buffer_store_dword v1, off, s[0:3], s32 offset:516 ; 4-byte Folded Spill
	buffer_store_dword v2, off, s[0:3], s32 offset:520 ; 4-byte Folded Spill
	v_mov_b32_e32 v1, 0
	v_mov_b32_e32 v2, 0
	buffer_store_dword v1, off, s[0:3], s32 offset:508 ; 4-byte Folded Spill
	buffer_store_dword v2, off, s[0:3], s32 offset:512 ; 4-byte Folded Spill
	s_and_saveexec_b32 s24, s6
	s_cbranch_execz .LBB214_314
; %bb.307:                              ;   in Loop: Header=BB214_13 Depth=1
	v_bfrev_b32_e32 v1, 1
	v_mov_b32_e32 v2, 0
	v_cmp_ne_u16_sdwa s6, v0, v108 src0_sel:BYTE_0 src1_sel:DWORD
	buffer_store_dword v1, off, s[0:3], s32 offset:508 ; 4-byte Folded Spill
	buffer_store_dword v2, off, s[0:3], s32 offset:512 ; 4-byte Folded Spill
	s_and_saveexec_b32 s25, s6
	s_cbranch_execz .LBB214_313
; %bb.308:                              ;   in Loop: Header=BB214_13 Depth=1
	v_mov_b32_e32 v3, 0x7f800001
	v_and_b32_e32 v2, 0x7f, v0
	v_mov_b32_e32 v4, 0
	s_mov_b32 s26, exec_lo
	buffer_store_dword v3, off, s[0:3], s32 offset:508 ; 4-byte Folded Spill
	buffer_store_dword v4, off, s[0:3], s32 offset:512 ; 4-byte Folded Spill
	v_cmpx_ne_u32_e32 0x7f, v2
	s_cbranch_execz .LBB214_312
; %bb.309:                              ;   in Loop: Header=BB214_13 Depth=1
	v_and_b32_e32 v28, 7, v0
	v_lshrrev_b32_e32 v1, 3, v2
	s_mov_b32 s27, exec_lo
	v_cmpx_gt_u32_e32 8, v2
; %bb.310:                              ;   in Loop: Header=BB214_13 Depth=1
	v_ffbh_u32_e32 v1, v28
	v_min_u32_e32 v1, 32, v1
	v_subrev_nc_u32_e32 v2, 28, v1
	v_sub_nc_u32_e32 v1, 29, v1
	v_lshlrev_b64 v[2:3], v2, v[28:29]
	v_and_b32_e32 v28, 7, v2
; %bb.311:                              ;   in Loop: Header=BB214_13 Depth=1
	s_or_b32 exec_lo, exec_lo, s27
	v_lshlrev_b32_e32 v2, 24, v0
	v_lshlrev_b32_e32 v3, 20, v28
	v_lshl_add_u32 v1, v1, 23, 0x3c000000
	v_and_b32_e32 v2, 0x80000000, v2
	v_or3_b32 v28, v3, v2, v1
	buffer_store_dword v28, off, s[0:3], s32 offset:508 ; 4-byte Folded Spill
	buffer_store_dword v29, off, s[0:3], s32 offset:512 ; 4-byte Folded Spill
.LBB214_312:                            ;   in Loop: Header=BB214_13 Depth=1
	s_or_b32 exec_lo, exec_lo, s26
.LBB214_313:                            ;   in Loop: Header=BB214_13 Depth=1
	s_or_b32 exec_lo, exec_lo, s25
.LBB214_314:                            ;   in Loop: Header=BB214_13 Depth=1
	s_or_b32 exec_lo, exec_lo, s24
	v_cmp_ne_u16_sdwa s6, v0, v29 src0_sel:BYTE_1 src1_sel:DWORD
	s_and_saveexec_b32 s24, s6
	s_cbranch_execz .LBB214_322
; %bb.315:                              ;   in Loop: Header=BB214_13 Depth=1
	v_mov_b32_e32 v39, v29
	v_cmp_ne_u16_sdwa s6, v0, v108 src0_sel:BYTE_1 src1_sel:DWORD
	buffer_store_dword v39, off, s[0:3], s32 offset:516 ; 4-byte Folded Spill
	buffer_store_dword v40, off, s[0:3], s32 offset:520 ; 4-byte Folded Spill
	s_and_saveexec_b32 s25, s6
	s_cbranch_execz .LBB214_321
; %bb.316:                              ;   in Loop: Header=BB214_13 Depth=1
	v_mov_b32_e32 v1, 0xffff
	v_mov_b32_e32 v60, v29
	s_mov_b32 s26, exec_lo
	buffer_store_dword v60, off, s[0:3], s32 offset:516 ; 4-byte Folded Spill
	buffer_store_dword v61, off, s[0:3], s32 offset:520 ; 4-byte Folded Spill
	v_and_b32_sdwa v1, v1, v0 dst_sel:DWORD dst_unused:UNUSED_PAD src0_sel:DWORD src1_sel:BYTE_1
	v_and_b32_e32 v2, 0x7f, v1
	v_cmpx_ne_u32_e32 0x7f, v2
	s_cbranch_execz .LBB214_320
; %bb.317:                              ;   in Loop: Header=BB214_13 Depth=1
	v_and_b32_e32 v28, 7, v1
	v_lshrrev_b32_e32 v1, 3, v2
	s_mov_b32 s27, exec_lo
	v_cmpx_gt_u32_e32 8, v2
; %bb.318:                              ;   in Loop: Header=BB214_13 Depth=1
	v_ffbh_u32_e32 v1, v28
	v_min_u32_e32 v1, 32, v1
	v_subrev_nc_u32_e32 v2, 28, v1
	v_sub_nc_u32_e32 v1, 29, v1
	v_lshlrev_b64 v[2:3], v2, v[28:29]
	v_and_b32_e32 v28, 7, v2
; %bb.319:                              ;   in Loop: Header=BB214_13 Depth=1
	s_or_b32 exec_lo, exec_lo, s27
	v_lshlrev_b32_e32 v0, 16, v0
	v_lshlrev_b32_e32 v2, 20, v28
	v_lshl_add_u32 v1, v1, 23, 0x3c000000
	v_and_b32_e32 v0, 0x80000000, v0
	v_or3_b32 v1, v2, v0, v1
	v_mov_b32_e32 v0, v29
	buffer_store_dword v0, off, s[0:3], s32 offset:516 ; 4-byte Folded Spill
	buffer_store_dword v1, off, s[0:3], s32 offset:520 ; 4-byte Folded Spill
.LBB214_320:                            ;   in Loop: Header=BB214_13 Depth=1
	s_or_b32 exec_lo, exec_lo, s26
.LBB214_321:                            ;   in Loop: Header=BB214_13 Depth=1
	s_or_b32 exec_lo, exec_lo, s25
.LBB214_322:                            ;   in Loop: Header=BB214_13 Depth=1
	s_or_b32 exec_lo, exec_lo, s24
	flat_load_ushort v1, v[72:73] offset:1036
	s_waitcnt vmcnt(0) lgkmcnt(0)
	v_and_b32_e32 v0, 0xffff, v1
	v_cmp_ne_u16_sdwa s6, v1, v29 src0_sel:BYTE_0 src1_sel:DWORD
	v_mov_b32_e32 v1, 0
	v_mov_b32_e32 v2, 0
	buffer_store_dword v1, off, s[0:3], s32 offset:532 ; 4-byte Folded Spill
	buffer_store_dword v2, off, s[0:3], s32 offset:536 ; 4-byte Folded Spill
	v_mov_b32_e32 v1, 0
	v_mov_b32_e32 v2, 0
	buffer_store_dword v1, off, s[0:3], s32 offset:524 ; 4-byte Folded Spill
	buffer_store_dword v2, off, s[0:3], s32 offset:528 ; 4-byte Folded Spill
	s_and_saveexec_b32 s24, s6
	s_cbranch_execz .LBB214_330
; %bb.323:                              ;   in Loop: Header=BB214_13 Depth=1
	v_bfrev_b32_e32 v1, 1
	v_mov_b32_e32 v2, 0
	v_cmp_ne_u16_sdwa s6, v0, v108 src0_sel:BYTE_0 src1_sel:DWORD
	buffer_store_dword v1, off, s[0:3], s32 offset:524 ; 4-byte Folded Spill
	buffer_store_dword v2, off, s[0:3], s32 offset:528 ; 4-byte Folded Spill
	s_and_saveexec_b32 s25, s6
	s_cbranch_execz .LBB214_329
; %bb.324:                              ;   in Loop: Header=BB214_13 Depth=1
	v_mov_b32_e32 v3, 0x7f800001
	v_and_b32_e32 v2, 0x7f, v0
	v_mov_b32_e32 v4, 0
	s_mov_b32 s26, exec_lo
	buffer_store_dword v3, off, s[0:3], s32 offset:524 ; 4-byte Folded Spill
	buffer_store_dword v4, off, s[0:3], s32 offset:528 ; 4-byte Folded Spill
	v_cmpx_ne_u32_e32 0x7f, v2
	s_cbranch_execz .LBB214_328
; %bb.325:                              ;   in Loop: Header=BB214_13 Depth=1
	v_and_b32_e32 v28, 7, v0
	v_lshrrev_b32_e32 v1, 3, v2
	s_mov_b32 s27, exec_lo
	v_cmpx_gt_u32_e32 8, v2
; %bb.326:                              ;   in Loop: Header=BB214_13 Depth=1
	v_ffbh_u32_e32 v1, v28
	v_min_u32_e32 v1, 32, v1
	v_subrev_nc_u32_e32 v2, 28, v1
	v_sub_nc_u32_e32 v1, 29, v1
	v_lshlrev_b64 v[2:3], v2, v[28:29]
	v_and_b32_e32 v28, 7, v2
; %bb.327:                              ;   in Loop: Header=BB214_13 Depth=1
	s_or_b32 exec_lo, exec_lo, s27
	v_lshlrev_b32_e32 v2, 24, v0
	v_lshlrev_b32_e32 v3, 20, v28
	v_lshl_add_u32 v1, v1, 23, 0x3c000000
	v_and_b32_e32 v2, 0x80000000, v2
	v_or3_b32 v28, v3, v2, v1
	buffer_store_dword v28, off, s[0:3], s32 offset:524 ; 4-byte Folded Spill
	buffer_store_dword v29, off, s[0:3], s32 offset:528 ; 4-byte Folded Spill
.LBB214_328:                            ;   in Loop: Header=BB214_13 Depth=1
	s_or_b32 exec_lo, exec_lo, s26
.LBB214_329:                            ;   in Loop: Header=BB214_13 Depth=1
	s_or_b32 exec_lo, exec_lo, s25
.LBB214_330:                            ;   in Loop: Header=BB214_13 Depth=1
	s_or_b32 exec_lo, exec_lo, s24
	v_cmp_ne_u16_sdwa s6, v0, v29 src0_sel:BYTE_1 src1_sel:DWORD
	s_and_saveexec_b32 s24, s6
	s_cbranch_execz .LBB214_338
; %bb.331:                              ;   in Loop: Header=BB214_13 Depth=1
	v_mov_b32_e32 v39, v29
	v_cmp_ne_u16_sdwa s6, v0, v108 src0_sel:BYTE_1 src1_sel:DWORD
	buffer_store_dword v39, off, s[0:3], s32 offset:532 ; 4-byte Folded Spill
	buffer_store_dword v40, off, s[0:3], s32 offset:536 ; 4-byte Folded Spill
	s_and_saveexec_b32 s25, s6
	s_cbranch_execz .LBB214_337
; %bb.332:                              ;   in Loop: Header=BB214_13 Depth=1
	v_mov_b32_e32 v1, 0xffff
	v_mov_b32_e32 v60, v29
	s_mov_b32 s26, exec_lo
	buffer_store_dword v60, off, s[0:3], s32 offset:532 ; 4-byte Folded Spill
	buffer_store_dword v61, off, s[0:3], s32 offset:536 ; 4-byte Folded Spill
	v_and_b32_sdwa v1, v1, v0 dst_sel:DWORD dst_unused:UNUSED_PAD src0_sel:DWORD src1_sel:BYTE_1
	v_and_b32_e32 v2, 0x7f, v1
	v_cmpx_ne_u32_e32 0x7f, v2
	s_cbranch_execz .LBB214_336
; %bb.333:                              ;   in Loop: Header=BB214_13 Depth=1
	v_and_b32_e32 v28, 7, v1
	v_lshrrev_b32_e32 v1, 3, v2
	s_mov_b32 s27, exec_lo
	v_cmpx_gt_u32_e32 8, v2
; %bb.334:                              ;   in Loop: Header=BB214_13 Depth=1
	v_ffbh_u32_e32 v1, v28
	v_min_u32_e32 v1, 32, v1
	v_subrev_nc_u32_e32 v2, 28, v1
	v_sub_nc_u32_e32 v1, 29, v1
	v_lshlrev_b64 v[2:3], v2, v[28:29]
	v_and_b32_e32 v28, 7, v2
; %bb.335:                              ;   in Loop: Header=BB214_13 Depth=1
	s_or_b32 exec_lo, exec_lo, s27
	v_lshlrev_b32_e32 v0, 16, v0
	v_lshlrev_b32_e32 v2, 20, v28
	v_lshl_add_u32 v1, v1, 23, 0x3c000000
	v_and_b32_e32 v0, 0x80000000, v0
	v_or3_b32 v1, v2, v0, v1
	v_mov_b32_e32 v0, v29
	buffer_store_dword v0, off, s[0:3], s32 offset:532 ; 4-byte Folded Spill
	buffer_store_dword v1, off, s[0:3], s32 offset:536 ; 4-byte Folded Spill
.LBB214_336:                            ;   in Loop: Header=BB214_13 Depth=1
	s_or_b32 exec_lo, exec_lo, s26
.LBB214_337:                            ;   in Loop: Header=BB214_13 Depth=1
	s_or_b32 exec_lo, exec_lo, s25
.LBB214_338:                            ;   in Loop: Header=BB214_13 Depth=1
	s_or_b32 exec_lo, exec_lo, s24
	flat_load_ushort v1, v[72:73] offset:1280
	s_waitcnt vmcnt(0) lgkmcnt(0)
	v_and_b32_e32 v0, 0xffff, v1
	v_cmp_ne_u16_sdwa s6, v1, v29 src0_sel:BYTE_0 src1_sel:DWORD
	v_mov_b32_e32 v1, 0
	v_mov_b32_e32 v2, 0
	buffer_store_dword v1, off, s[0:3], s32 offset:548 ; 4-byte Folded Spill
	buffer_store_dword v2, off, s[0:3], s32 offset:552 ; 4-byte Folded Spill
	v_mov_b32_e32 v1, 0
	v_mov_b32_e32 v2, 0
	buffer_store_dword v1, off, s[0:3], s32 offset:540 ; 4-byte Folded Spill
	buffer_store_dword v2, off, s[0:3], s32 offset:544 ; 4-byte Folded Spill
	s_and_saveexec_b32 s24, s6
	s_cbranch_execz .LBB214_346
; %bb.339:                              ;   in Loop: Header=BB214_13 Depth=1
	v_bfrev_b32_e32 v1, 1
	v_mov_b32_e32 v2, 0
	v_cmp_ne_u16_sdwa s6, v0, v108 src0_sel:BYTE_0 src1_sel:DWORD
	buffer_store_dword v1, off, s[0:3], s32 offset:540 ; 4-byte Folded Spill
	buffer_store_dword v2, off, s[0:3], s32 offset:544 ; 4-byte Folded Spill
	s_and_saveexec_b32 s25, s6
	s_cbranch_execz .LBB214_345
; %bb.340:                              ;   in Loop: Header=BB214_13 Depth=1
	v_mov_b32_e32 v3, 0x7f800001
	v_and_b32_e32 v2, 0x7f, v0
	v_mov_b32_e32 v4, 0
	s_mov_b32 s26, exec_lo
	buffer_store_dword v3, off, s[0:3], s32 offset:540 ; 4-byte Folded Spill
	buffer_store_dword v4, off, s[0:3], s32 offset:544 ; 4-byte Folded Spill
	v_cmpx_ne_u32_e32 0x7f, v2
	s_cbranch_execz .LBB214_344
; %bb.341:                              ;   in Loop: Header=BB214_13 Depth=1
	v_and_b32_e32 v28, 7, v0
	v_lshrrev_b32_e32 v1, 3, v2
	s_mov_b32 s27, exec_lo
	v_cmpx_gt_u32_e32 8, v2
; %bb.342:                              ;   in Loop: Header=BB214_13 Depth=1
	v_ffbh_u32_e32 v1, v28
	v_min_u32_e32 v1, 32, v1
	v_subrev_nc_u32_e32 v2, 28, v1
	v_sub_nc_u32_e32 v1, 29, v1
	v_lshlrev_b64 v[2:3], v2, v[28:29]
	v_and_b32_e32 v28, 7, v2
; %bb.343:                              ;   in Loop: Header=BB214_13 Depth=1
	s_or_b32 exec_lo, exec_lo, s27
	v_lshlrev_b32_e32 v2, 24, v0
	v_lshlrev_b32_e32 v3, 20, v28
	v_lshl_add_u32 v1, v1, 23, 0x3c000000
	v_and_b32_e32 v2, 0x80000000, v2
	v_or3_b32 v28, v3, v2, v1
	buffer_store_dword v28, off, s[0:3], s32 offset:540 ; 4-byte Folded Spill
	buffer_store_dword v29, off, s[0:3], s32 offset:544 ; 4-byte Folded Spill
.LBB214_344:                            ;   in Loop: Header=BB214_13 Depth=1
	s_or_b32 exec_lo, exec_lo, s26
.LBB214_345:                            ;   in Loop: Header=BB214_13 Depth=1
	s_or_b32 exec_lo, exec_lo, s25
.LBB214_346:                            ;   in Loop: Header=BB214_13 Depth=1
	s_or_b32 exec_lo, exec_lo, s24
	v_cmp_ne_u16_sdwa s6, v0, v29 src0_sel:BYTE_1 src1_sel:DWORD
	s_and_saveexec_b32 s24, s6
	s_cbranch_execz .LBB214_354
; %bb.347:                              ;   in Loop: Header=BB214_13 Depth=1
	v_mov_b32_e32 v39, v29
	v_cmp_ne_u16_sdwa s6, v0, v108 src0_sel:BYTE_1 src1_sel:DWORD
	buffer_store_dword v39, off, s[0:3], s32 offset:548 ; 4-byte Folded Spill
	buffer_store_dword v40, off, s[0:3], s32 offset:552 ; 4-byte Folded Spill
	s_and_saveexec_b32 s25, s6
	s_cbranch_execz .LBB214_353
; %bb.348:                              ;   in Loop: Header=BB214_13 Depth=1
	v_mov_b32_e32 v1, 0xffff
	v_mov_b32_e32 v60, v29
	s_mov_b32 s26, exec_lo
	buffer_store_dword v60, off, s[0:3], s32 offset:548 ; 4-byte Folded Spill
	buffer_store_dword v61, off, s[0:3], s32 offset:552 ; 4-byte Folded Spill
	v_and_b32_sdwa v1, v1, v0 dst_sel:DWORD dst_unused:UNUSED_PAD src0_sel:DWORD src1_sel:BYTE_1
	v_and_b32_e32 v2, 0x7f, v1
	v_cmpx_ne_u32_e32 0x7f, v2
	s_cbranch_execz .LBB214_352
; %bb.349:                              ;   in Loop: Header=BB214_13 Depth=1
	v_and_b32_e32 v28, 7, v1
	v_lshrrev_b32_e32 v1, 3, v2
	s_mov_b32 s27, exec_lo
	v_cmpx_gt_u32_e32 8, v2
; %bb.350:                              ;   in Loop: Header=BB214_13 Depth=1
	v_ffbh_u32_e32 v1, v28
	v_min_u32_e32 v1, 32, v1
	v_subrev_nc_u32_e32 v2, 28, v1
	v_sub_nc_u32_e32 v1, 29, v1
	v_lshlrev_b64 v[2:3], v2, v[28:29]
	v_and_b32_e32 v28, 7, v2
; %bb.351:                              ;   in Loop: Header=BB214_13 Depth=1
	s_or_b32 exec_lo, exec_lo, s27
	v_lshlrev_b32_e32 v0, 16, v0
	v_lshlrev_b32_e32 v2, 20, v28
	v_lshl_add_u32 v1, v1, 23, 0x3c000000
	v_and_b32_e32 v0, 0x80000000, v0
	v_or3_b32 v1, v2, v0, v1
	v_mov_b32_e32 v0, v29
	buffer_store_dword v0, off, s[0:3], s32 offset:548 ; 4-byte Folded Spill
	buffer_store_dword v1, off, s[0:3], s32 offset:552 ; 4-byte Folded Spill
.LBB214_352:                            ;   in Loop: Header=BB214_13 Depth=1
	s_or_b32 exec_lo, exec_lo, s26
.LBB214_353:                            ;   in Loop: Header=BB214_13 Depth=1
	s_or_b32 exec_lo, exec_lo, s25
.LBB214_354:                            ;   in Loop: Header=BB214_13 Depth=1
	s_or_b32 exec_lo, exec_lo, s24
	flat_load_ushort v1, v[72:73] offset:1284
	v_mov_b32_e32 v94, 0
	v_mov_b32_e32 v95, 0
	s_waitcnt vmcnt(0) lgkmcnt(0)
	v_and_b32_e32 v0, 0xffff, v1
	v_cmp_ne_u16_sdwa s6, v1, v29 src0_sel:BYTE_0 src1_sel:DWORD
	v_mov_b32_e32 v1, 0
	v_mov_b32_e32 v2, 0
	buffer_store_dword v1, off, s[0:3], s32 offset:556 ; 4-byte Folded Spill
	buffer_store_dword v2, off, s[0:3], s32 offset:560 ; 4-byte Folded Spill
	s_and_saveexec_b32 s24, s6
	s_cbranch_execz .LBB214_362
; %bb.355:                              ;   in Loop: Header=BB214_13 Depth=1
	v_bfrev_b32_e32 v1, 1
	v_mov_b32_e32 v2, 0
	v_cmp_ne_u16_sdwa s6, v0, v108 src0_sel:BYTE_0 src1_sel:DWORD
	buffer_store_dword v1, off, s[0:3], s32 offset:556 ; 4-byte Folded Spill
	buffer_store_dword v2, off, s[0:3], s32 offset:560 ; 4-byte Folded Spill
	s_and_saveexec_b32 s25, s6
	s_cbranch_execz .LBB214_361
; %bb.356:                              ;   in Loop: Header=BB214_13 Depth=1
	v_mov_b32_e32 v3, 0x7f800001
	v_and_b32_e32 v2, 0x7f, v0
	v_mov_b32_e32 v4, 0
	s_mov_b32 s26, exec_lo
	buffer_store_dword v3, off, s[0:3], s32 offset:556 ; 4-byte Folded Spill
	buffer_store_dword v4, off, s[0:3], s32 offset:560 ; 4-byte Folded Spill
	v_cmpx_ne_u32_e32 0x7f, v2
	s_cbranch_execz .LBB214_360
; %bb.357:                              ;   in Loop: Header=BB214_13 Depth=1
	v_and_b32_e32 v28, 7, v0
	v_lshrrev_b32_e32 v1, 3, v2
	s_mov_b32 s27, exec_lo
	v_cmpx_gt_u32_e32 8, v2
; %bb.358:                              ;   in Loop: Header=BB214_13 Depth=1
	v_ffbh_u32_e32 v1, v28
	v_min_u32_e32 v1, 32, v1
	v_subrev_nc_u32_e32 v2, 28, v1
	v_sub_nc_u32_e32 v1, 29, v1
	v_lshlrev_b64 v[2:3], v2, v[28:29]
	v_and_b32_e32 v28, 7, v2
; %bb.359:                              ;   in Loop: Header=BB214_13 Depth=1
	s_or_b32 exec_lo, exec_lo, s27
	v_lshlrev_b32_e32 v2, 24, v0
	v_lshlrev_b32_e32 v3, 20, v28
	v_lshl_add_u32 v1, v1, 23, 0x3c000000
	v_and_b32_e32 v2, 0x80000000, v2
	v_or3_b32 v28, v3, v2, v1
	buffer_store_dword v28, off, s[0:3], s32 offset:556 ; 4-byte Folded Spill
	buffer_store_dword v29, off, s[0:3], s32 offset:560 ; 4-byte Folded Spill
.LBB214_360:                            ;   in Loop: Header=BB214_13 Depth=1
	s_or_b32 exec_lo, exec_lo, s26
.LBB214_361:                            ;   in Loop: Header=BB214_13 Depth=1
	s_or_b32 exec_lo, exec_lo, s25
.LBB214_362:                            ;   in Loop: Header=BB214_13 Depth=1
	s_or_b32 exec_lo, exec_lo, s24
	v_cmp_ne_u16_sdwa s6, v0, v29 src0_sel:BYTE_1 src1_sel:DWORD
	s_and_saveexec_b32 s24, s6
	s_cbranch_execz .LBB214_370
; %bb.363:                              ;   in Loop: Header=BB214_13 Depth=1
	v_mov_b32_e32 v39, v29
	v_mov_b32_e32 v95, v40
	v_cmp_ne_u16_sdwa s6, v0, v108 src0_sel:BYTE_1 src1_sel:DWORD
	v_mov_b32_e32 v94, v39
	s_and_saveexec_b32 s25, s6
	s_cbranch_execz .LBB214_369
; %bb.364:                              ;   in Loop: Header=BB214_13 Depth=1
	v_mov_b32_e32 v1, 0xffff
	v_mov_b32_e32 v60, v29
	;; [unrolled: 1-line block ×3, first 2 shown]
	s_mov_b32 s26, exec_lo
	v_and_b32_sdwa v1, v1, v0 dst_sel:DWORD dst_unused:UNUSED_PAD src0_sel:DWORD src1_sel:BYTE_1
	v_mov_b32_e32 v94, v60
	v_and_b32_e32 v2, 0x7f, v1
	v_cmpx_ne_u32_e32 0x7f, v2
	s_cbranch_execz .LBB214_368
; %bb.365:                              ;   in Loop: Header=BB214_13 Depth=1
	v_and_b32_e32 v28, 7, v1
	v_lshrrev_b32_e32 v1, 3, v2
	s_mov_b32 s27, exec_lo
	v_cmpx_gt_u32_e32 8, v2
; %bb.366:                              ;   in Loop: Header=BB214_13 Depth=1
	v_ffbh_u32_e32 v1, v28
	v_min_u32_e32 v1, 32, v1
	v_subrev_nc_u32_e32 v2, 28, v1
	v_sub_nc_u32_e32 v1, 29, v1
	v_lshlrev_b64 v[2:3], v2, v[28:29]
	v_and_b32_e32 v28, 7, v2
; %bb.367:                              ;   in Loop: Header=BB214_13 Depth=1
	s_or_b32 exec_lo, exec_lo, s27
	v_lshlrev_b32_e32 v0, 16, v0
	v_lshlrev_b32_e32 v2, 20, v28
	v_lshl_add_u32 v1, v1, 23, 0x3c000000
	v_mov_b32_e32 v94, v29
	v_and_b32_e32 v0, 0x80000000, v0
	v_or3_b32 v95, v2, v0, v1
.LBB214_368:                            ;   in Loop: Header=BB214_13 Depth=1
	s_or_b32 exec_lo, exec_lo, s26
.LBB214_369:                            ;   in Loop: Header=BB214_13 Depth=1
	s_or_b32 exec_lo, exec_lo, s25
.LBB214_370:                            ;   in Loop: Header=BB214_13 Depth=1
	s_or_b32 exec_lo, exec_lo, s24
	flat_load_ushort v1, v[72:73] offset:1288
	s_waitcnt vmcnt(0) lgkmcnt(0)
	v_and_b32_e32 v0, 0xffff, v1
	v_cmp_ne_u16_sdwa s6, v1, v29 src0_sel:BYTE_0 src1_sel:DWORD
	v_mov_b32_e32 v1, 0
	v_mov_b32_e32 v2, 0
	buffer_store_dword v1, off, s[0:3], s32 offset:572 ; 4-byte Folded Spill
	buffer_store_dword v2, off, s[0:3], s32 offset:576 ; 4-byte Folded Spill
	v_mov_b32_e32 v1, 0
	v_mov_b32_e32 v2, 0
	buffer_store_dword v1, off, s[0:3], s32 offset:564 ; 4-byte Folded Spill
	buffer_store_dword v2, off, s[0:3], s32 offset:568 ; 4-byte Folded Spill
	s_and_saveexec_b32 s24, s6
	s_cbranch_execz .LBB214_378
; %bb.371:                              ;   in Loop: Header=BB214_13 Depth=1
	v_bfrev_b32_e32 v1, 1
	v_mov_b32_e32 v2, 0
	v_cmp_ne_u16_sdwa s6, v0, v108 src0_sel:BYTE_0 src1_sel:DWORD
	buffer_store_dword v1, off, s[0:3], s32 offset:564 ; 4-byte Folded Spill
	buffer_store_dword v2, off, s[0:3], s32 offset:568 ; 4-byte Folded Spill
	s_and_saveexec_b32 s25, s6
	s_cbranch_execz .LBB214_377
; %bb.372:                              ;   in Loop: Header=BB214_13 Depth=1
	v_mov_b32_e32 v3, 0x7f800001
	v_and_b32_e32 v2, 0x7f, v0
	v_mov_b32_e32 v4, 0
	s_mov_b32 s26, exec_lo
	buffer_store_dword v3, off, s[0:3], s32 offset:564 ; 4-byte Folded Spill
	buffer_store_dword v4, off, s[0:3], s32 offset:568 ; 4-byte Folded Spill
	v_cmpx_ne_u32_e32 0x7f, v2
	s_cbranch_execz .LBB214_376
; %bb.373:                              ;   in Loop: Header=BB214_13 Depth=1
	v_and_b32_e32 v28, 7, v0
	v_lshrrev_b32_e32 v1, 3, v2
	s_mov_b32 s27, exec_lo
	v_cmpx_gt_u32_e32 8, v2
; %bb.374:                              ;   in Loop: Header=BB214_13 Depth=1
	v_ffbh_u32_e32 v1, v28
	v_min_u32_e32 v1, 32, v1
	v_subrev_nc_u32_e32 v2, 28, v1
	v_sub_nc_u32_e32 v1, 29, v1
	v_lshlrev_b64 v[2:3], v2, v[28:29]
	v_and_b32_e32 v28, 7, v2
; %bb.375:                              ;   in Loop: Header=BB214_13 Depth=1
	s_or_b32 exec_lo, exec_lo, s27
	v_lshlrev_b32_e32 v2, 24, v0
	v_lshlrev_b32_e32 v3, 20, v28
	v_lshl_add_u32 v1, v1, 23, 0x3c000000
	v_and_b32_e32 v2, 0x80000000, v2
	v_or3_b32 v28, v3, v2, v1
	buffer_store_dword v28, off, s[0:3], s32 offset:564 ; 4-byte Folded Spill
	buffer_store_dword v29, off, s[0:3], s32 offset:568 ; 4-byte Folded Spill
.LBB214_376:                            ;   in Loop: Header=BB214_13 Depth=1
	s_or_b32 exec_lo, exec_lo, s26
.LBB214_377:                            ;   in Loop: Header=BB214_13 Depth=1
	s_or_b32 exec_lo, exec_lo, s25
.LBB214_378:                            ;   in Loop: Header=BB214_13 Depth=1
	s_or_b32 exec_lo, exec_lo, s24
	v_cmp_ne_u16_sdwa s6, v0, v29 src0_sel:BYTE_1 src1_sel:DWORD
	s_and_saveexec_b32 s24, s6
	s_cbranch_execz .LBB214_386
; %bb.379:                              ;   in Loop: Header=BB214_13 Depth=1
	v_mov_b32_e32 v39, v29
	v_cmp_ne_u16_sdwa s6, v0, v108 src0_sel:BYTE_1 src1_sel:DWORD
	buffer_store_dword v39, off, s[0:3], s32 offset:572 ; 4-byte Folded Spill
	buffer_store_dword v40, off, s[0:3], s32 offset:576 ; 4-byte Folded Spill
	s_and_saveexec_b32 s25, s6
	s_cbranch_execz .LBB214_385
; %bb.380:                              ;   in Loop: Header=BB214_13 Depth=1
	v_mov_b32_e32 v1, 0xffff
	v_mov_b32_e32 v60, v29
	s_mov_b32 s26, exec_lo
	buffer_store_dword v60, off, s[0:3], s32 offset:572 ; 4-byte Folded Spill
	buffer_store_dword v61, off, s[0:3], s32 offset:576 ; 4-byte Folded Spill
	v_and_b32_sdwa v1, v1, v0 dst_sel:DWORD dst_unused:UNUSED_PAD src0_sel:DWORD src1_sel:BYTE_1
	v_and_b32_e32 v2, 0x7f, v1
	v_cmpx_ne_u32_e32 0x7f, v2
	s_cbranch_execz .LBB214_384
; %bb.381:                              ;   in Loop: Header=BB214_13 Depth=1
	v_and_b32_e32 v28, 7, v1
	v_lshrrev_b32_e32 v1, 3, v2
	s_mov_b32 s27, exec_lo
	v_cmpx_gt_u32_e32 8, v2
; %bb.382:                              ;   in Loop: Header=BB214_13 Depth=1
	v_ffbh_u32_e32 v1, v28
	v_min_u32_e32 v1, 32, v1
	v_subrev_nc_u32_e32 v2, 28, v1
	v_sub_nc_u32_e32 v1, 29, v1
	v_lshlrev_b64 v[2:3], v2, v[28:29]
	v_and_b32_e32 v28, 7, v2
; %bb.383:                              ;   in Loop: Header=BB214_13 Depth=1
	s_or_b32 exec_lo, exec_lo, s27
	v_lshlrev_b32_e32 v0, 16, v0
	v_lshlrev_b32_e32 v2, 20, v28
	v_lshl_add_u32 v1, v1, 23, 0x3c000000
	v_and_b32_e32 v0, 0x80000000, v0
	v_or3_b32 v1, v2, v0, v1
	v_mov_b32_e32 v0, v29
	buffer_store_dword v0, off, s[0:3], s32 offset:572 ; 4-byte Folded Spill
	buffer_store_dword v1, off, s[0:3], s32 offset:576 ; 4-byte Folded Spill
.LBB214_384:                            ;   in Loop: Header=BB214_13 Depth=1
	s_or_b32 exec_lo, exec_lo, s26
.LBB214_385:                            ;   in Loop: Header=BB214_13 Depth=1
	s_or_b32 exec_lo, exec_lo, s25
.LBB214_386:                            ;   in Loop: Header=BB214_13 Depth=1
	s_or_b32 exec_lo, exec_lo, s24
	flat_load_ushort v1, v[72:73] offset:1292
	v_mov_b32_e32 v6, 0
	v_mov_b32_e32 v7, 0
	s_waitcnt vmcnt(0) lgkmcnt(0)
	v_and_b32_e32 v0, 0xffff, v1
	v_cmp_ne_u16_sdwa s6, v1, v29 src0_sel:BYTE_0 src1_sel:DWORD
	v_mov_b32_e32 v1, 0
	v_mov_b32_e32 v2, 0
	buffer_store_dword v1, off, s[0:3], s32 offset:580 ; 4-byte Folded Spill
	buffer_store_dword v2, off, s[0:3], s32 offset:584 ; 4-byte Folded Spill
	s_and_saveexec_b32 s24, s6
	s_cbranch_execz .LBB214_394
; %bb.387:                              ;   in Loop: Header=BB214_13 Depth=1
	v_bfrev_b32_e32 v1, 1
	v_mov_b32_e32 v2, 0
	v_cmp_ne_u16_sdwa s6, v0, v108 src0_sel:BYTE_0 src1_sel:DWORD
	buffer_store_dword v1, off, s[0:3], s32 offset:580 ; 4-byte Folded Spill
	buffer_store_dword v2, off, s[0:3], s32 offset:584 ; 4-byte Folded Spill
	s_and_saveexec_b32 s25, s6
	s_cbranch_execz .LBB214_393
; %bb.388:                              ;   in Loop: Header=BB214_13 Depth=1
	v_mov_b32_e32 v3, 0x7f800001
	v_and_b32_e32 v2, 0x7f, v0
	v_mov_b32_e32 v4, 0
	s_mov_b32 s26, exec_lo
	buffer_store_dword v3, off, s[0:3], s32 offset:580 ; 4-byte Folded Spill
	buffer_store_dword v4, off, s[0:3], s32 offset:584 ; 4-byte Folded Spill
	v_cmpx_ne_u32_e32 0x7f, v2
	s_cbranch_execz .LBB214_392
; %bb.389:                              ;   in Loop: Header=BB214_13 Depth=1
	v_and_b32_e32 v28, 7, v0
	v_lshrrev_b32_e32 v1, 3, v2
	s_mov_b32 s27, exec_lo
	v_cmpx_gt_u32_e32 8, v2
; %bb.390:                              ;   in Loop: Header=BB214_13 Depth=1
	v_ffbh_u32_e32 v1, v28
	v_min_u32_e32 v1, 32, v1
	v_subrev_nc_u32_e32 v2, 28, v1
	v_sub_nc_u32_e32 v1, 29, v1
	v_lshlrev_b64 v[2:3], v2, v[28:29]
	v_and_b32_e32 v28, 7, v2
; %bb.391:                              ;   in Loop: Header=BB214_13 Depth=1
	s_or_b32 exec_lo, exec_lo, s27
	v_lshlrev_b32_e32 v2, 24, v0
	v_lshlrev_b32_e32 v3, 20, v28
	v_lshl_add_u32 v1, v1, 23, 0x3c000000
	v_and_b32_e32 v2, 0x80000000, v2
	v_or3_b32 v28, v3, v2, v1
	buffer_store_dword v28, off, s[0:3], s32 offset:580 ; 4-byte Folded Spill
	buffer_store_dword v29, off, s[0:3], s32 offset:584 ; 4-byte Folded Spill
.LBB214_392:                            ;   in Loop: Header=BB214_13 Depth=1
	s_or_b32 exec_lo, exec_lo, s26
.LBB214_393:                            ;   in Loop: Header=BB214_13 Depth=1
	s_or_b32 exec_lo, exec_lo, s25
.LBB214_394:                            ;   in Loop: Header=BB214_13 Depth=1
	s_or_b32 exec_lo, exec_lo, s24
	v_cmp_ne_u16_sdwa s6, v0, v29 src0_sel:BYTE_1 src1_sel:DWORD
	s_and_saveexec_b32 s24, s6
	s_cbranch_execz .LBB214_402
; %bb.395:                              ;   in Loop: Header=BB214_13 Depth=1
	v_mov_b32_e32 v39, v29
	v_cmp_ne_u16_sdwa s6, v0, v108 src0_sel:BYTE_1 src1_sel:DWORD
	v_mov_b32_e32 v6, v39
	v_mov_b32_e32 v7, v40
	s_and_saveexec_b32 s25, s6
	s_cbranch_execz .LBB214_401
; %bb.396:                              ;   in Loop: Header=BB214_13 Depth=1
	v_mov_b32_e32 v1, 0xffff
	v_mov_b32_e32 v60, v29
	s_mov_b32 s26, exec_lo
	v_and_b32_sdwa v1, v1, v0 dst_sel:DWORD dst_unused:UNUSED_PAD src0_sel:DWORD src1_sel:BYTE_1
	v_mov_b32_e32 v6, v60
	v_mov_b32_e32 v7, v61
	v_and_b32_e32 v2, 0x7f, v1
	v_cmpx_ne_u32_e32 0x7f, v2
	s_cbranch_execz .LBB214_400
; %bb.397:                              ;   in Loop: Header=BB214_13 Depth=1
	v_and_b32_e32 v28, 7, v1
	v_lshrrev_b32_e32 v1, 3, v2
	s_mov_b32 s27, exec_lo
	v_cmpx_gt_u32_e32 8, v2
; %bb.398:                              ;   in Loop: Header=BB214_13 Depth=1
	v_ffbh_u32_e32 v1, v28
	v_min_u32_e32 v1, 32, v1
	v_subrev_nc_u32_e32 v2, 28, v1
	v_sub_nc_u32_e32 v1, 29, v1
	v_lshlrev_b64 v[2:3], v2, v[28:29]
	v_and_b32_e32 v28, 7, v2
; %bb.399:                              ;   in Loop: Header=BB214_13 Depth=1
	s_or_b32 exec_lo, exec_lo, s27
	v_lshlrev_b32_e32 v0, 16, v0
	v_lshlrev_b32_e32 v2, 20, v28
	v_lshl_add_u32 v1, v1, 23, 0x3c000000
	v_mov_b32_e32 v6, v29
	v_and_b32_e32 v0, 0x80000000, v0
	v_or3_b32 v7, v2, v0, v1
.LBB214_400:                            ;   in Loop: Header=BB214_13 Depth=1
	s_or_b32 exec_lo, exec_lo, s26
.LBB214_401:                            ;   in Loop: Header=BB214_13 Depth=1
	s_or_b32 exec_lo, exec_lo, s25
.LBB214_402:                            ;   in Loop: Header=BB214_13 Depth=1
	s_or_b32 exec_lo, exec_lo, s24
	flat_load_ushort v1, v[72:73] offset:1536
	v_mov_b32_e32 v110, 0
	v_mov_b32_e32 v8, 0
	;; [unrolled: 1-line block ×4, first 2 shown]
	s_waitcnt vmcnt(0) lgkmcnt(0)
	v_and_b32_e32 v0, 0xffff, v1
	v_cmp_ne_u16_sdwa s6, v1, v29 src0_sel:BYTE_0 src1_sel:DWORD
	s_and_saveexec_b32 s24, s6
	s_cbranch_execz .LBB214_410
; %bb.403:                              ;   in Loop: Header=BB214_13 Depth=1
	v_bfrev_b32_e32 v8, 1
	v_mov_b32_e32 v9, 0
	v_cmp_ne_u16_sdwa s6, v0, v108 src0_sel:BYTE_0 src1_sel:DWORD
	s_and_saveexec_b32 s25, s6
	s_cbranch_execz .LBB214_409
; %bb.404:                              ;   in Loop: Header=BB214_13 Depth=1
	v_mov_b32_e32 v8, 0x7f800001
	v_and_b32_e32 v2, 0x7f, v0
	v_mov_b32_e32 v9, 0
	s_mov_b32 s26, exec_lo
	v_cmpx_ne_u32_e32 0x7f, v2
	s_cbranch_execz .LBB214_408
; %bb.405:                              ;   in Loop: Header=BB214_13 Depth=1
	v_and_b32_e32 v28, 7, v0
	v_lshrrev_b32_e32 v1, 3, v2
	s_mov_b32 s27, exec_lo
	v_cmpx_gt_u32_e32 8, v2
; %bb.406:                              ;   in Loop: Header=BB214_13 Depth=1
	v_ffbh_u32_e32 v1, v28
	v_min_u32_e32 v1, 32, v1
	v_subrev_nc_u32_e32 v2, 28, v1
	v_sub_nc_u32_e32 v1, 29, v1
	v_lshlrev_b64 v[2:3], v2, v[28:29]
	v_and_b32_e32 v28, 7, v2
; %bb.407:                              ;   in Loop: Header=BB214_13 Depth=1
	s_or_b32 exec_lo, exec_lo, s27
	v_lshlrev_b32_e32 v2, 24, v0
	v_lshlrev_b32_e32 v3, 20, v28
	v_lshl_add_u32 v1, v1, 23, 0x3c000000
	v_and_b32_e32 v2, 0x80000000, v2
	v_or3_b32 v28, v3, v2, v1
	v_mov_b32_e32 v8, v28
	v_mov_b32_e32 v9, v29
.LBB214_408:                            ;   in Loop: Header=BB214_13 Depth=1
	s_or_b32 exec_lo, exec_lo, s26
.LBB214_409:                            ;   in Loop: Header=BB214_13 Depth=1
	s_or_b32 exec_lo, exec_lo, s25
.LBB214_410:                            ;   in Loop: Header=BB214_13 Depth=1
	s_or_b32 exec_lo, exec_lo, s24
	v_cmp_ne_u16_sdwa s6, v0, v29 src0_sel:BYTE_1 src1_sel:DWORD
	s_and_saveexec_b32 s24, s6
	s_cbranch_execz .LBB214_418
; %bb.411:                              ;   in Loop: Header=BB214_13 Depth=1
	v_mov_b32_e32 v39, v29
	v_mov_b32_e32 v111, v40
	v_cmp_ne_u16_sdwa s6, v0, v108 src0_sel:BYTE_1 src1_sel:DWORD
	v_mov_b32_e32 v110, v39
	s_and_saveexec_b32 s25, s6
	s_cbranch_execz .LBB214_417
; %bb.412:                              ;   in Loop: Header=BB214_13 Depth=1
	v_mov_b32_e32 v1, 0xffff
	v_mov_b32_e32 v60, v29
	;; [unrolled: 1-line block ×3, first 2 shown]
	s_mov_b32 s26, exec_lo
	v_and_b32_sdwa v1, v1, v0 dst_sel:DWORD dst_unused:UNUSED_PAD src0_sel:DWORD src1_sel:BYTE_1
	v_mov_b32_e32 v110, v60
	v_and_b32_e32 v2, 0x7f, v1
	v_cmpx_ne_u32_e32 0x7f, v2
	s_cbranch_execz .LBB214_416
; %bb.413:                              ;   in Loop: Header=BB214_13 Depth=1
	v_and_b32_e32 v28, 7, v1
	v_lshrrev_b32_e32 v1, 3, v2
	s_mov_b32 s27, exec_lo
	v_cmpx_gt_u32_e32 8, v2
; %bb.414:                              ;   in Loop: Header=BB214_13 Depth=1
	v_ffbh_u32_e32 v1, v28
	v_min_u32_e32 v1, 32, v1
	v_subrev_nc_u32_e32 v2, 28, v1
	v_sub_nc_u32_e32 v1, 29, v1
	v_lshlrev_b64 v[2:3], v2, v[28:29]
	v_and_b32_e32 v28, 7, v2
; %bb.415:                              ;   in Loop: Header=BB214_13 Depth=1
	s_or_b32 exec_lo, exec_lo, s27
	v_lshlrev_b32_e32 v0, 16, v0
	v_lshlrev_b32_e32 v2, 20, v28
	v_lshl_add_u32 v1, v1, 23, 0x3c000000
	v_mov_b32_e32 v110, v29
	v_and_b32_e32 v0, 0x80000000, v0
	v_or3_b32 v111, v2, v0, v1
.LBB214_416:                            ;   in Loop: Header=BB214_13 Depth=1
	s_or_b32 exec_lo, exec_lo, s26
.LBB214_417:                            ;   in Loop: Header=BB214_13 Depth=1
	s_or_b32 exec_lo, exec_lo, s25
.LBB214_418:                            ;   in Loop: Header=BB214_13 Depth=1
	s_or_b32 exec_lo, exec_lo, s24
	flat_load_ushort v1, v[72:73] offset:1540
	v_mov_b32_e32 v106, 0
	v_mov_b32_e32 v88, 0
	v_mov_b32_e32 v107, 0
	v_mov_b32_e32 v89, 0
	s_waitcnt vmcnt(0) lgkmcnt(0)
	v_and_b32_e32 v0, 0xffff, v1
	v_cmp_ne_u16_sdwa s6, v1, v29 src0_sel:BYTE_0 src1_sel:DWORD
	s_and_saveexec_b32 s24, s6
	s_cbranch_execz .LBB214_426
; %bb.419:                              ;   in Loop: Header=BB214_13 Depth=1
	v_bfrev_b32_e32 v88, 1
	v_mov_b32_e32 v89, 0
	v_cmp_ne_u16_sdwa s6, v0, v108 src0_sel:BYTE_0 src1_sel:DWORD
	s_and_saveexec_b32 s25, s6
	s_cbranch_execz .LBB214_425
; %bb.420:                              ;   in Loop: Header=BB214_13 Depth=1
	v_mov_b32_e32 v88, 0x7f800001
	v_and_b32_e32 v2, 0x7f, v0
	v_mov_b32_e32 v89, 0
	s_mov_b32 s26, exec_lo
	v_cmpx_ne_u32_e32 0x7f, v2
	s_cbranch_execz .LBB214_424
; %bb.421:                              ;   in Loop: Header=BB214_13 Depth=1
	v_and_b32_e32 v28, 7, v0
	v_lshrrev_b32_e32 v1, 3, v2
	s_mov_b32 s27, exec_lo
	v_cmpx_gt_u32_e32 8, v2
; %bb.422:                              ;   in Loop: Header=BB214_13 Depth=1
	v_ffbh_u32_e32 v1, v28
	v_min_u32_e32 v1, 32, v1
	v_subrev_nc_u32_e32 v2, 28, v1
	v_sub_nc_u32_e32 v1, 29, v1
	v_lshlrev_b64 v[2:3], v2, v[28:29]
	v_and_b32_e32 v28, 7, v2
; %bb.423:                              ;   in Loop: Header=BB214_13 Depth=1
	s_or_b32 exec_lo, exec_lo, s27
	v_lshlrev_b32_e32 v2, 24, v0
	v_lshlrev_b32_e32 v3, 20, v28
	v_lshl_add_u32 v1, v1, 23, 0x3c000000
	v_and_b32_e32 v2, 0x80000000, v2
	v_or3_b32 v28, v3, v2, v1
	v_mov_b32_e32 v89, v29
	v_mov_b32_e32 v88, v28
.LBB214_424:                            ;   in Loop: Header=BB214_13 Depth=1
	s_or_b32 exec_lo, exec_lo, s26
.LBB214_425:                            ;   in Loop: Header=BB214_13 Depth=1
	s_or_b32 exec_lo, exec_lo, s25
.LBB214_426:                            ;   in Loop: Header=BB214_13 Depth=1
	s_or_b32 exec_lo, exec_lo, s24
	v_cmp_ne_u16_sdwa s6, v0, v29 src0_sel:BYTE_1 src1_sel:DWORD
	s_and_saveexec_b32 s24, s6
	s_cbranch_execz .LBB214_434
; %bb.427:                              ;   in Loop: Header=BB214_13 Depth=1
	v_mov_b32_e32 v39, v29
	v_mov_b32_e32 v107, v40
	v_cmp_ne_u16_sdwa s6, v0, v108 src0_sel:BYTE_1 src1_sel:DWORD
	v_mov_b32_e32 v106, v39
	s_and_saveexec_b32 s25, s6
	s_cbranch_execz .LBB214_433
; %bb.428:                              ;   in Loop: Header=BB214_13 Depth=1
	v_mov_b32_e32 v1, 0xffff
	v_mov_b32_e32 v60, v29
	;; [unrolled: 1-line block ×3, first 2 shown]
	s_mov_b32 s26, exec_lo
	v_and_b32_sdwa v1, v1, v0 dst_sel:DWORD dst_unused:UNUSED_PAD src0_sel:DWORD src1_sel:BYTE_1
	v_mov_b32_e32 v106, v60
	v_and_b32_e32 v2, 0x7f, v1
	v_cmpx_ne_u32_e32 0x7f, v2
	s_cbranch_execz .LBB214_432
; %bb.429:                              ;   in Loop: Header=BB214_13 Depth=1
	v_and_b32_e32 v28, 7, v1
	v_lshrrev_b32_e32 v1, 3, v2
	s_mov_b32 s27, exec_lo
	v_cmpx_gt_u32_e32 8, v2
; %bb.430:                              ;   in Loop: Header=BB214_13 Depth=1
	v_ffbh_u32_e32 v1, v28
	v_min_u32_e32 v1, 32, v1
	v_subrev_nc_u32_e32 v2, 28, v1
	v_sub_nc_u32_e32 v1, 29, v1
	v_lshlrev_b64 v[2:3], v2, v[28:29]
	v_and_b32_e32 v28, 7, v2
; %bb.431:                              ;   in Loop: Header=BB214_13 Depth=1
	s_or_b32 exec_lo, exec_lo, s27
	v_lshlrev_b32_e32 v0, 16, v0
	v_lshlrev_b32_e32 v2, 20, v28
	v_lshl_add_u32 v1, v1, 23, 0x3c000000
	v_mov_b32_e32 v106, v29
	v_and_b32_e32 v0, 0x80000000, v0
	v_or3_b32 v107, v2, v0, v1
.LBB214_432:                            ;   in Loop: Header=BB214_13 Depth=1
	s_or_b32 exec_lo, exec_lo, s26
.LBB214_433:                            ;   in Loop: Header=BB214_13 Depth=1
	s_or_b32 exec_lo, exec_lo, s25
.LBB214_434:                            ;   in Loop: Header=BB214_13 Depth=1
	s_or_b32 exec_lo, exec_lo, s24
	flat_load_ushort v1, v[72:73] offset:1544
	v_mov_b32_e32 v31, 0
	v_mov_b32_e32 v114, 0
	;; [unrolled: 1-line block ×4, first 2 shown]
	s_waitcnt vmcnt(0) lgkmcnt(0)
	v_and_b32_e32 v0, 0xffff, v1
	v_cmp_ne_u16_sdwa s6, v1, v29 src0_sel:BYTE_0 src1_sel:DWORD
	s_and_saveexec_b32 s24, s6
	s_cbranch_execz .LBB214_442
; %bb.435:                              ;   in Loop: Header=BB214_13 Depth=1
	v_bfrev_b32_e32 v114, 1
	v_mov_b32_e32 v115, 0
	v_cmp_ne_u16_sdwa s6, v0, v108 src0_sel:BYTE_0 src1_sel:DWORD
	s_and_saveexec_b32 s25, s6
	s_cbranch_execz .LBB214_441
; %bb.436:                              ;   in Loop: Header=BB214_13 Depth=1
	v_mov_b32_e32 v114, 0x7f800001
	v_and_b32_e32 v2, 0x7f, v0
	v_mov_b32_e32 v115, 0
	s_mov_b32 s26, exec_lo
	v_cmpx_ne_u32_e32 0x7f, v2
	s_cbranch_execz .LBB214_440
; %bb.437:                              ;   in Loop: Header=BB214_13 Depth=1
	v_and_b32_e32 v28, 7, v0
	v_lshrrev_b32_e32 v1, 3, v2
	s_mov_b32 s27, exec_lo
	v_cmpx_gt_u32_e32 8, v2
; %bb.438:                              ;   in Loop: Header=BB214_13 Depth=1
	v_ffbh_u32_e32 v1, v28
	v_min_u32_e32 v1, 32, v1
	v_subrev_nc_u32_e32 v2, 28, v1
	v_sub_nc_u32_e32 v1, 29, v1
	v_lshlrev_b64 v[2:3], v2, v[28:29]
	v_and_b32_e32 v28, 7, v2
; %bb.439:                              ;   in Loop: Header=BB214_13 Depth=1
	s_or_b32 exec_lo, exec_lo, s27
	v_lshlrev_b32_e32 v2, 24, v0
	v_lshlrev_b32_e32 v3, 20, v28
	v_lshl_add_u32 v1, v1, 23, 0x3c000000
	v_and_b32_e32 v2, 0x80000000, v2
	v_or3_b32 v28, v3, v2, v1
	v_mov_b32_e32 v115, v29
	v_mov_b32_e32 v114, v28
.LBB214_440:                            ;   in Loop: Header=BB214_13 Depth=1
	s_or_b32 exec_lo, exec_lo, s26
.LBB214_441:                            ;   in Loop: Header=BB214_13 Depth=1
	s_or_b32 exec_lo, exec_lo, s25
.LBB214_442:                            ;   in Loop: Header=BB214_13 Depth=1
	s_or_b32 exec_lo, exec_lo, s24
	v_cmp_ne_u16_sdwa s6, v0, v29 src0_sel:BYTE_1 src1_sel:DWORD
	s_and_saveexec_b32 s24, s6
	s_cbranch_execz .LBB214_450
; %bb.443:                              ;   in Loop: Header=BB214_13 Depth=1
	v_mov_b32_e32 v39, v29
	v_cmp_ne_u16_sdwa s6, v0, v108 src0_sel:BYTE_1 src1_sel:DWORD
	v_mov_b32_e32 v31, v39
	v_mov_b32_e32 v32, v40
	s_and_saveexec_b32 s25, s6
	s_cbranch_execz .LBB214_449
; %bb.444:                              ;   in Loop: Header=BB214_13 Depth=1
	v_mov_b32_e32 v1, 0xffff
	v_mov_b32_e32 v60, v29
	s_mov_b32 s26, exec_lo
	v_and_b32_sdwa v1, v1, v0 dst_sel:DWORD dst_unused:UNUSED_PAD src0_sel:DWORD src1_sel:BYTE_1
	v_mov_b32_e32 v31, v60
	v_mov_b32_e32 v32, v61
	v_and_b32_e32 v2, 0x7f, v1
	v_cmpx_ne_u32_e32 0x7f, v2
	s_cbranch_execz .LBB214_448
; %bb.445:                              ;   in Loop: Header=BB214_13 Depth=1
	v_and_b32_e32 v28, 7, v1
	v_lshrrev_b32_e32 v1, 3, v2
	s_mov_b32 s27, exec_lo
	v_cmpx_gt_u32_e32 8, v2
; %bb.446:                              ;   in Loop: Header=BB214_13 Depth=1
	v_ffbh_u32_e32 v1, v28
	v_min_u32_e32 v1, 32, v1
	v_subrev_nc_u32_e32 v2, 28, v1
	v_sub_nc_u32_e32 v1, 29, v1
	v_lshlrev_b64 v[2:3], v2, v[28:29]
	v_and_b32_e32 v28, 7, v2
; %bb.447:                              ;   in Loop: Header=BB214_13 Depth=1
	s_or_b32 exec_lo, exec_lo, s27
	v_lshlrev_b32_e32 v0, 16, v0
	v_lshlrev_b32_e32 v2, 20, v28
	v_lshl_add_u32 v1, v1, 23, 0x3c000000
	v_mov_b32_e32 v31, v29
	v_and_b32_e32 v0, 0x80000000, v0
	v_or3_b32 v32, v2, v0, v1
.LBB214_448:                            ;   in Loop: Header=BB214_13 Depth=1
	s_or_b32 exec_lo, exec_lo, s26
.LBB214_449:                            ;   in Loop: Header=BB214_13 Depth=1
	s_or_b32 exec_lo, exec_lo, s25
.LBB214_450:                            ;   in Loop: Header=BB214_13 Depth=1
	s_or_b32 exec_lo, exec_lo, s24
	flat_load_ushort v1, v[72:73] offset:1548
	v_mov_b32_e32 v35, 0
	v_mov_b32_e32 v33, 0
	;; [unrolled: 1-line block ×4, first 2 shown]
	s_waitcnt vmcnt(0) lgkmcnt(0)
	v_and_b32_e32 v0, 0xffff, v1
	v_cmp_ne_u16_sdwa s6, v1, v29 src0_sel:BYTE_0 src1_sel:DWORD
	s_and_saveexec_b32 s24, s6
	s_cbranch_execz .LBB214_458
; %bb.451:                              ;   in Loop: Header=BB214_13 Depth=1
	v_bfrev_b32_e32 v33, 1
	v_mov_b32_e32 v34, 0
	v_cmp_ne_u16_sdwa s6, v0, v108 src0_sel:BYTE_0 src1_sel:DWORD
	s_and_saveexec_b32 s25, s6
	s_cbranch_execz .LBB214_457
; %bb.452:                              ;   in Loop: Header=BB214_13 Depth=1
	v_mov_b32_e32 v33, 0x7f800001
	v_and_b32_e32 v2, 0x7f, v0
	v_mov_b32_e32 v34, 0
	s_mov_b32 s26, exec_lo
	v_cmpx_ne_u32_e32 0x7f, v2
	s_cbranch_execz .LBB214_456
; %bb.453:                              ;   in Loop: Header=BB214_13 Depth=1
	v_and_b32_e32 v28, 7, v0
	v_lshrrev_b32_e32 v1, 3, v2
	s_mov_b32 s27, exec_lo
	v_cmpx_gt_u32_e32 8, v2
; %bb.454:                              ;   in Loop: Header=BB214_13 Depth=1
	v_ffbh_u32_e32 v1, v28
	v_min_u32_e32 v1, 32, v1
	v_subrev_nc_u32_e32 v2, 28, v1
	v_sub_nc_u32_e32 v1, 29, v1
	v_lshlrev_b64 v[2:3], v2, v[28:29]
	v_and_b32_e32 v28, 7, v2
; %bb.455:                              ;   in Loop: Header=BB214_13 Depth=1
	s_or_b32 exec_lo, exec_lo, s27
	v_lshlrev_b32_e32 v2, 24, v0
	v_lshlrev_b32_e32 v3, 20, v28
	v_lshl_add_u32 v1, v1, 23, 0x3c000000
	v_and_b32_e32 v2, 0x80000000, v2
	v_or3_b32 v28, v3, v2, v1
	v_mov_b32_e32 v34, v29
	v_mov_b32_e32 v33, v28
.LBB214_456:                            ;   in Loop: Header=BB214_13 Depth=1
	s_or_b32 exec_lo, exec_lo, s26
.LBB214_457:                            ;   in Loop: Header=BB214_13 Depth=1
	s_or_b32 exec_lo, exec_lo, s25
.LBB214_458:                            ;   in Loop: Header=BB214_13 Depth=1
	s_or_b32 exec_lo, exec_lo, s24
	v_cmp_ne_u16_sdwa s6, v0, v29 src0_sel:BYTE_1 src1_sel:DWORD
	s_and_saveexec_b32 s24, s6
	s_cbranch_execz .LBB214_466
; %bb.459:                              ;   in Loop: Header=BB214_13 Depth=1
	v_mov_b32_e32 v39, v29
	v_cmp_ne_u16_sdwa s6, v0, v108 src0_sel:BYTE_1 src1_sel:DWORD
	v_mov_b32_e32 v35, v39
	v_mov_b32_e32 v36, v40
	s_and_saveexec_b32 s25, s6
	s_cbranch_execz .LBB214_465
; %bb.460:                              ;   in Loop: Header=BB214_13 Depth=1
	v_mov_b32_e32 v1, 0xffff
	v_mov_b32_e32 v60, v29
	s_mov_b32 s26, exec_lo
	v_and_b32_sdwa v1, v1, v0 dst_sel:DWORD dst_unused:UNUSED_PAD src0_sel:DWORD src1_sel:BYTE_1
	v_mov_b32_e32 v35, v60
	v_mov_b32_e32 v36, v61
	v_and_b32_e32 v2, 0x7f, v1
	v_cmpx_ne_u32_e32 0x7f, v2
	s_cbranch_execz .LBB214_464
; %bb.461:                              ;   in Loop: Header=BB214_13 Depth=1
	v_and_b32_e32 v28, 7, v1
	v_lshrrev_b32_e32 v1, 3, v2
	s_mov_b32 s27, exec_lo
	v_cmpx_gt_u32_e32 8, v2
; %bb.462:                              ;   in Loop: Header=BB214_13 Depth=1
	v_ffbh_u32_e32 v1, v28
	v_min_u32_e32 v1, 32, v1
	v_subrev_nc_u32_e32 v2, 28, v1
	v_sub_nc_u32_e32 v1, 29, v1
	v_lshlrev_b64 v[2:3], v2, v[28:29]
	v_and_b32_e32 v28, 7, v2
; %bb.463:                              ;   in Loop: Header=BB214_13 Depth=1
	s_or_b32 exec_lo, exec_lo, s27
	v_lshlrev_b32_e32 v0, 16, v0
	v_lshlrev_b32_e32 v2, 20, v28
	v_lshl_add_u32 v1, v1, 23, 0x3c000000
	v_mov_b32_e32 v35, v29
	v_and_b32_e32 v0, 0x80000000, v0
	v_or3_b32 v36, v2, v0, v1
.LBB214_464:                            ;   in Loop: Header=BB214_13 Depth=1
	s_or_b32 exec_lo, exec_lo, s26
.LBB214_465:                            ;   in Loop: Header=BB214_13 Depth=1
	s_or_b32 exec_lo, exec_lo, s25
.LBB214_466:                            ;   in Loop: Header=BB214_13 Depth=1
	s_or_b32 exec_lo, exec_lo, s24
	flat_load_ushort v1, v[72:73] offset:1792
	v_mov_b32_e32 v48, 0
	v_mov_b32_e32 v37, 0
	;; [unrolled: 1-line block ×4, first 2 shown]
	s_waitcnt vmcnt(0) lgkmcnt(0)
	v_and_b32_e32 v0, 0xffff, v1
	v_cmp_ne_u16_sdwa s6, v1, v29 src0_sel:BYTE_0 src1_sel:DWORD
	s_and_saveexec_b32 s24, s6
	s_cbranch_execz .LBB214_474
; %bb.467:                              ;   in Loop: Header=BB214_13 Depth=1
	v_bfrev_b32_e32 v37, 1
	v_mov_b32_e32 v38, 0
	v_cmp_ne_u16_sdwa s6, v0, v108 src0_sel:BYTE_0 src1_sel:DWORD
	s_and_saveexec_b32 s25, s6
	s_cbranch_execz .LBB214_473
; %bb.468:                              ;   in Loop: Header=BB214_13 Depth=1
	v_mov_b32_e32 v37, 0x7f800001
	v_and_b32_e32 v2, 0x7f, v0
	v_mov_b32_e32 v38, 0
	s_mov_b32 s26, exec_lo
	v_cmpx_ne_u32_e32 0x7f, v2
	s_cbranch_execz .LBB214_472
; %bb.469:                              ;   in Loop: Header=BB214_13 Depth=1
	v_and_b32_e32 v28, 7, v0
	v_lshrrev_b32_e32 v1, 3, v2
	s_mov_b32 s27, exec_lo
	v_cmpx_gt_u32_e32 8, v2
; %bb.470:                              ;   in Loop: Header=BB214_13 Depth=1
	v_ffbh_u32_e32 v1, v28
	v_min_u32_e32 v1, 32, v1
	v_subrev_nc_u32_e32 v2, 28, v1
	v_sub_nc_u32_e32 v1, 29, v1
	v_lshlrev_b64 v[2:3], v2, v[28:29]
	v_and_b32_e32 v28, 7, v2
; %bb.471:                              ;   in Loop: Header=BB214_13 Depth=1
	s_or_b32 exec_lo, exec_lo, s27
	v_lshlrev_b32_e32 v2, 24, v0
	v_lshlrev_b32_e32 v3, 20, v28
	v_lshl_add_u32 v1, v1, 23, 0x3c000000
	v_and_b32_e32 v2, 0x80000000, v2
	v_or3_b32 v28, v3, v2, v1
	v_mov_b32_e32 v38, v29
	v_mov_b32_e32 v37, v28
.LBB214_472:                            ;   in Loop: Header=BB214_13 Depth=1
	s_or_b32 exec_lo, exec_lo, s26
.LBB214_473:                            ;   in Loop: Header=BB214_13 Depth=1
	s_or_b32 exec_lo, exec_lo, s25
.LBB214_474:                            ;   in Loop: Header=BB214_13 Depth=1
	s_or_b32 exec_lo, exec_lo, s24
	v_cmp_ne_u16_sdwa s6, v0, v29 src0_sel:BYTE_1 src1_sel:DWORD
	s_and_saveexec_b32 s24, s6
	s_cbranch_execz .LBB214_482
; %bb.475:                              ;   in Loop: Header=BB214_13 Depth=1
	v_mov_b32_e32 v39, v29
	v_mov_b32_e32 v49, v40
	v_cmp_ne_u16_sdwa s6, v0, v108 src0_sel:BYTE_1 src1_sel:DWORD
	v_mov_b32_e32 v48, v39
	s_and_saveexec_b32 s25, s6
	s_cbranch_execz .LBB214_481
; %bb.476:                              ;   in Loop: Header=BB214_13 Depth=1
	v_mov_b32_e32 v1, 0xffff
	v_mov_b32_e32 v60, v29
	s_mov_b32 s26, exec_lo
	v_and_b32_sdwa v1, v1, v0 dst_sel:DWORD dst_unused:UNUSED_PAD src0_sel:DWORD src1_sel:BYTE_1
	v_mov_b32_e32 v48, v60
	v_mov_b32_e32 v49, v61
	v_and_b32_e32 v2, 0x7f, v1
	v_cmpx_ne_u32_e32 0x7f, v2
	s_cbranch_execz .LBB214_480
; %bb.477:                              ;   in Loop: Header=BB214_13 Depth=1
	v_and_b32_e32 v28, 7, v1
	v_lshrrev_b32_e32 v1, 3, v2
	s_mov_b32 s27, exec_lo
	v_cmpx_gt_u32_e32 8, v2
; %bb.478:                              ;   in Loop: Header=BB214_13 Depth=1
	v_ffbh_u32_e32 v1, v28
	v_min_u32_e32 v1, 32, v1
	v_subrev_nc_u32_e32 v2, 28, v1
	v_sub_nc_u32_e32 v1, 29, v1
	v_lshlrev_b64 v[2:3], v2, v[28:29]
	v_and_b32_e32 v28, 7, v2
; %bb.479:                              ;   in Loop: Header=BB214_13 Depth=1
	s_or_b32 exec_lo, exec_lo, s27
	v_lshlrev_b32_e32 v0, 16, v0
	v_lshlrev_b32_e32 v2, 20, v28
	v_lshl_add_u32 v1, v1, 23, 0x3c000000
	v_mov_b32_e32 v48, v29
	v_and_b32_e32 v0, 0x80000000, v0
	v_or3_b32 v49, v2, v0, v1
.LBB214_480:                            ;   in Loop: Header=BB214_13 Depth=1
	s_or_b32 exec_lo, exec_lo, s26
.LBB214_481:                            ;   in Loop: Header=BB214_13 Depth=1
	s_or_b32 exec_lo, exec_lo, s25
.LBB214_482:                            ;   in Loop: Header=BB214_13 Depth=1
	s_or_b32 exec_lo, exec_lo, s24
	flat_load_ushort v1, v[72:73] offset:1796
	v_mov_b32_e32 v52, 0
	v_mov_b32_e32 v50, 0
	;; [unrolled: 1-line block ×4, first 2 shown]
	s_waitcnt vmcnt(0) lgkmcnt(0)
	v_and_b32_e32 v0, 0xffff, v1
	v_cmp_ne_u16_sdwa s6, v1, v29 src0_sel:BYTE_0 src1_sel:DWORD
	s_and_saveexec_b32 s24, s6
	s_cbranch_execz .LBB214_490
; %bb.483:                              ;   in Loop: Header=BB214_13 Depth=1
	v_bfrev_b32_e32 v50, 1
	v_mov_b32_e32 v51, 0
	v_cmp_ne_u16_sdwa s6, v0, v108 src0_sel:BYTE_0 src1_sel:DWORD
	s_and_saveexec_b32 s25, s6
	s_cbranch_execz .LBB214_489
; %bb.484:                              ;   in Loop: Header=BB214_13 Depth=1
	v_mov_b32_e32 v50, 0x7f800001
	v_and_b32_e32 v2, 0x7f, v0
	v_mov_b32_e32 v51, 0
	s_mov_b32 s26, exec_lo
	v_cmpx_ne_u32_e32 0x7f, v2
	s_cbranch_execz .LBB214_488
; %bb.485:                              ;   in Loop: Header=BB214_13 Depth=1
	v_and_b32_e32 v28, 7, v0
	v_lshrrev_b32_e32 v1, 3, v2
	s_mov_b32 s27, exec_lo
	v_cmpx_gt_u32_e32 8, v2
; %bb.486:                              ;   in Loop: Header=BB214_13 Depth=1
	v_ffbh_u32_e32 v1, v28
	v_min_u32_e32 v1, 32, v1
	v_subrev_nc_u32_e32 v2, 28, v1
	v_sub_nc_u32_e32 v1, 29, v1
	v_lshlrev_b64 v[2:3], v2, v[28:29]
	v_and_b32_e32 v28, 7, v2
; %bb.487:                              ;   in Loop: Header=BB214_13 Depth=1
	s_or_b32 exec_lo, exec_lo, s27
	v_lshlrev_b32_e32 v2, 24, v0
	v_lshlrev_b32_e32 v3, 20, v28
	v_lshl_add_u32 v1, v1, 23, 0x3c000000
	v_and_b32_e32 v2, 0x80000000, v2
	v_or3_b32 v28, v3, v2, v1
	v_mov_b32_e32 v51, v29
	v_mov_b32_e32 v50, v28
.LBB214_488:                            ;   in Loop: Header=BB214_13 Depth=1
	s_or_b32 exec_lo, exec_lo, s26
.LBB214_489:                            ;   in Loop: Header=BB214_13 Depth=1
	s_or_b32 exec_lo, exec_lo, s25
.LBB214_490:                            ;   in Loop: Header=BB214_13 Depth=1
	s_or_b32 exec_lo, exec_lo, s24
	v_cmp_ne_u16_sdwa s6, v0, v29 src0_sel:BYTE_1 src1_sel:DWORD
	s_and_saveexec_b32 s24, s6
	s_cbranch_execz .LBB214_498
; %bb.491:                              ;   in Loop: Header=BB214_13 Depth=1
	v_mov_b32_e32 v39, v29
	v_mov_b32_e32 v53, v40
	v_cmp_ne_u16_sdwa s6, v0, v108 src0_sel:BYTE_1 src1_sel:DWORD
	v_mov_b32_e32 v52, v39
	s_and_saveexec_b32 s25, s6
	s_cbranch_execz .LBB214_497
; %bb.492:                              ;   in Loop: Header=BB214_13 Depth=1
	v_mov_b32_e32 v1, 0xffff
	v_mov_b32_e32 v60, v29
	s_mov_b32 s26, exec_lo
	v_and_b32_sdwa v1, v1, v0 dst_sel:DWORD dst_unused:UNUSED_PAD src0_sel:DWORD src1_sel:BYTE_1
	v_mov_b32_e32 v52, v60
	v_mov_b32_e32 v53, v61
	v_and_b32_e32 v2, 0x7f, v1
	v_cmpx_ne_u32_e32 0x7f, v2
	s_cbranch_execz .LBB214_496
; %bb.493:                              ;   in Loop: Header=BB214_13 Depth=1
	v_and_b32_e32 v28, 7, v1
	v_lshrrev_b32_e32 v1, 3, v2
	s_mov_b32 s27, exec_lo
	v_cmpx_gt_u32_e32 8, v2
; %bb.494:                              ;   in Loop: Header=BB214_13 Depth=1
	v_ffbh_u32_e32 v1, v28
	v_min_u32_e32 v1, 32, v1
	v_subrev_nc_u32_e32 v2, 28, v1
	v_sub_nc_u32_e32 v1, 29, v1
	v_lshlrev_b64 v[2:3], v2, v[28:29]
	v_and_b32_e32 v28, 7, v2
; %bb.495:                              ;   in Loop: Header=BB214_13 Depth=1
	s_or_b32 exec_lo, exec_lo, s27
	v_lshlrev_b32_e32 v0, 16, v0
	v_lshlrev_b32_e32 v2, 20, v28
	v_lshl_add_u32 v1, v1, 23, 0x3c000000
	v_mov_b32_e32 v52, v29
	v_and_b32_e32 v0, 0x80000000, v0
	v_or3_b32 v53, v2, v0, v1
.LBB214_496:                            ;   in Loop: Header=BB214_13 Depth=1
	s_or_b32 exec_lo, exec_lo, s26
.LBB214_497:                            ;   in Loop: Header=BB214_13 Depth=1
	s_or_b32 exec_lo, exec_lo, s25
.LBB214_498:                            ;   in Loop: Header=BB214_13 Depth=1
	s_or_b32 exec_lo, exec_lo, s24
	flat_load_ushort v1, v[72:73] offset:1800
	v_mov_b32_e32 v64, 0
	v_mov_b32_e32 v54, 0
	;; [unrolled: 1-line block ×4, first 2 shown]
	s_waitcnt vmcnt(0) lgkmcnt(0)
	v_and_b32_e32 v0, 0xffff, v1
	v_cmp_ne_u16_sdwa s6, v1, v29 src0_sel:BYTE_0 src1_sel:DWORD
	s_and_saveexec_b32 s24, s6
	s_cbranch_execz .LBB214_506
; %bb.499:                              ;   in Loop: Header=BB214_13 Depth=1
	v_bfrev_b32_e32 v54, 1
	v_mov_b32_e32 v55, 0
	v_cmp_ne_u16_sdwa s6, v0, v108 src0_sel:BYTE_0 src1_sel:DWORD
	s_and_saveexec_b32 s25, s6
	s_cbranch_execz .LBB214_505
; %bb.500:                              ;   in Loop: Header=BB214_13 Depth=1
	v_mov_b32_e32 v54, 0x7f800001
	v_and_b32_e32 v2, 0x7f, v0
	v_mov_b32_e32 v55, 0
	s_mov_b32 s26, exec_lo
	v_cmpx_ne_u32_e32 0x7f, v2
	s_cbranch_execz .LBB214_504
; %bb.501:                              ;   in Loop: Header=BB214_13 Depth=1
	v_and_b32_e32 v28, 7, v0
	v_lshrrev_b32_e32 v1, 3, v2
	s_mov_b32 s27, exec_lo
	v_cmpx_gt_u32_e32 8, v2
; %bb.502:                              ;   in Loop: Header=BB214_13 Depth=1
	v_ffbh_u32_e32 v1, v28
	v_min_u32_e32 v1, 32, v1
	v_subrev_nc_u32_e32 v2, 28, v1
	v_sub_nc_u32_e32 v1, 29, v1
	v_lshlrev_b64 v[2:3], v2, v[28:29]
	v_and_b32_e32 v28, 7, v2
; %bb.503:                              ;   in Loop: Header=BB214_13 Depth=1
	s_or_b32 exec_lo, exec_lo, s27
	v_lshlrev_b32_e32 v2, 24, v0
	v_lshlrev_b32_e32 v3, 20, v28
	v_lshl_add_u32 v1, v1, 23, 0x3c000000
	v_and_b32_e32 v2, 0x80000000, v2
	v_or3_b32 v28, v3, v2, v1
	v_mov_b32_e32 v55, v29
	v_mov_b32_e32 v54, v28
.LBB214_504:                            ;   in Loop: Header=BB214_13 Depth=1
	s_or_b32 exec_lo, exec_lo, s26
.LBB214_505:                            ;   in Loop: Header=BB214_13 Depth=1
	s_or_b32 exec_lo, exec_lo, s25
.LBB214_506:                            ;   in Loop: Header=BB214_13 Depth=1
	s_or_b32 exec_lo, exec_lo, s24
	v_cmp_ne_u16_sdwa s6, v0, v29 src0_sel:BYTE_1 src1_sel:DWORD
	s_and_saveexec_b32 s24, s6
	s_cbranch_execz .LBB214_514
; %bb.507:                              ;   in Loop: Header=BB214_13 Depth=1
	v_mov_b32_e32 v39, v29
	v_mov_b32_e32 v65, v40
	v_cmp_ne_u16_sdwa s6, v0, v108 src0_sel:BYTE_1 src1_sel:DWORD
	v_mov_b32_e32 v64, v39
	s_and_saveexec_b32 s25, s6
	s_cbranch_execz .LBB214_513
; %bb.508:                              ;   in Loop: Header=BB214_13 Depth=1
	v_mov_b32_e32 v1, 0xffff
	v_mov_b32_e32 v60, v29
	;; [unrolled: 1-line block ×3, first 2 shown]
	s_mov_b32 s26, exec_lo
	v_and_b32_sdwa v1, v1, v0 dst_sel:DWORD dst_unused:UNUSED_PAD src0_sel:DWORD src1_sel:BYTE_1
	v_mov_b32_e32 v64, v60
	v_and_b32_e32 v2, 0x7f, v1
	v_cmpx_ne_u32_e32 0x7f, v2
	s_cbranch_execz .LBB214_512
; %bb.509:                              ;   in Loop: Header=BB214_13 Depth=1
	v_and_b32_e32 v28, 7, v1
	v_lshrrev_b32_e32 v1, 3, v2
	s_mov_b32 s27, exec_lo
	v_cmpx_gt_u32_e32 8, v2
; %bb.510:                              ;   in Loop: Header=BB214_13 Depth=1
	v_ffbh_u32_e32 v1, v28
	v_min_u32_e32 v1, 32, v1
	v_subrev_nc_u32_e32 v2, 28, v1
	v_sub_nc_u32_e32 v1, 29, v1
	v_lshlrev_b64 v[2:3], v2, v[28:29]
	v_and_b32_e32 v28, 7, v2
; %bb.511:                              ;   in Loop: Header=BB214_13 Depth=1
	s_or_b32 exec_lo, exec_lo, s27
	v_lshlrev_b32_e32 v0, 16, v0
	v_lshlrev_b32_e32 v2, 20, v28
	v_lshl_add_u32 v1, v1, 23, 0x3c000000
	v_mov_b32_e32 v64, v29
	v_and_b32_e32 v0, 0x80000000, v0
	v_or3_b32 v65, v2, v0, v1
.LBB214_512:                            ;   in Loop: Header=BB214_13 Depth=1
	s_or_b32 exec_lo, exec_lo, s26
.LBB214_513:                            ;   in Loop: Header=BB214_13 Depth=1
	s_or_b32 exec_lo, exec_lo, s25
.LBB214_514:                            ;   in Loop: Header=BB214_13 Depth=1
	s_or_b32 exec_lo, exec_lo, s24
	flat_load_ushort v1, v[72:73] offset:1804
	v_mov_b32_e32 v72, 0
	v_mov_b32_e32 v66, 0
	;; [unrolled: 1-line block ×4, first 2 shown]
	s_waitcnt vmcnt(0) lgkmcnt(0)
	v_and_b32_e32 v0, 0xffff, v1
	v_cmp_ne_u16_sdwa s6, v1, v29 src0_sel:BYTE_0 src1_sel:DWORD
	s_and_saveexec_b32 s24, s6
	s_cbranch_execz .LBB214_522
; %bb.515:                              ;   in Loop: Header=BB214_13 Depth=1
	v_bfrev_b32_e32 v66, 1
	v_mov_b32_e32 v67, 0
	v_cmp_ne_u16_sdwa s6, v0, v108 src0_sel:BYTE_0 src1_sel:DWORD
	s_and_saveexec_b32 s25, s6
	s_cbranch_execz .LBB214_521
; %bb.516:                              ;   in Loop: Header=BB214_13 Depth=1
	v_mov_b32_e32 v66, 0x7f800001
	v_and_b32_e32 v2, 0x7f, v0
	v_mov_b32_e32 v67, 0
	s_mov_b32 s26, exec_lo
	v_cmpx_ne_u32_e32 0x7f, v2
	s_cbranch_execz .LBB214_520
; %bb.517:                              ;   in Loop: Header=BB214_13 Depth=1
	v_and_b32_e32 v28, 7, v0
	v_lshrrev_b32_e32 v1, 3, v2
	s_mov_b32 s27, exec_lo
	v_cmpx_gt_u32_e32 8, v2
; %bb.518:                              ;   in Loop: Header=BB214_13 Depth=1
	v_ffbh_u32_e32 v1, v28
	v_min_u32_e32 v1, 32, v1
	v_subrev_nc_u32_e32 v2, 28, v1
	v_sub_nc_u32_e32 v1, 29, v1
	v_lshlrev_b64 v[2:3], v2, v[28:29]
	v_and_b32_e32 v28, 7, v2
; %bb.519:                              ;   in Loop: Header=BB214_13 Depth=1
	s_or_b32 exec_lo, exec_lo, s27
	v_lshlrev_b32_e32 v2, 24, v0
	v_lshlrev_b32_e32 v3, 20, v28
	v_lshl_add_u32 v1, v1, 23, 0x3c000000
	v_and_b32_e32 v2, 0x80000000, v2
	v_or3_b32 v28, v3, v2, v1
	v_mov_b32_e32 v67, v29
	v_mov_b32_e32 v66, v28
.LBB214_520:                            ;   in Loop: Header=BB214_13 Depth=1
	s_or_b32 exec_lo, exec_lo, s26
.LBB214_521:                            ;   in Loop: Header=BB214_13 Depth=1
	s_or_b32 exec_lo, exec_lo, s25
.LBB214_522:                            ;   in Loop: Header=BB214_13 Depth=1
	s_or_b32 exec_lo, exec_lo, s24
	v_cmp_ne_u16_sdwa s6, v0, v29 src0_sel:BYTE_1 src1_sel:DWORD
	s_and_saveexec_b32 s24, s6
	s_cbranch_execz .LBB214_530
; %bb.523:                              ;   in Loop: Header=BB214_13 Depth=1
	v_mov_b32_e32 v39, v29
	v_mov_b32_e32 v73, v40
	v_cmp_ne_u16_sdwa s6, v0, v108 src0_sel:BYTE_1 src1_sel:DWORD
	v_mov_b32_e32 v72, v39
	s_and_saveexec_b32 s25, s6
	s_cbranch_execz .LBB214_529
; %bb.524:                              ;   in Loop: Header=BB214_13 Depth=1
	v_mov_b32_e32 v1, 0xffff
	v_mov_b32_e32 v60, v29
	;; [unrolled: 1-line block ×3, first 2 shown]
	s_mov_b32 s26, exec_lo
	v_and_b32_sdwa v1, v1, v0 dst_sel:DWORD dst_unused:UNUSED_PAD src0_sel:DWORD src1_sel:BYTE_1
	v_mov_b32_e32 v72, v60
	v_and_b32_e32 v2, 0x7f, v1
	v_cmpx_ne_u32_e32 0x7f, v2
	s_cbranch_execz .LBB214_528
; %bb.525:                              ;   in Loop: Header=BB214_13 Depth=1
	v_and_b32_e32 v28, 7, v1
	v_lshrrev_b32_e32 v1, 3, v2
	s_mov_b32 s27, exec_lo
	v_cmpx_gt_u32_e32 8, v2
; %bb.526:                              ;   in Loop: Header=BB214_13 Depth=1
	v_ffbh_u32_e32 v1, v28
	v_min_u32_e32 v1, 32, v1
	v_subrev_nc_u32_e32 v2, 28, v1
	v_sub_nc_u32_e32 v1, 29, v1
	v_lshlrev_b64 v[2:3], v2, v[28:29]
	v_and_b32_e32 v28, 7, v2
; %bb.527:                              ;   in Loop: Header=BB214_13 Depth=1
	s_or_b32 exec_lo, exec_lo, s27
	v_lshlrev_b32_e32 v0, 16, v0
	v_lshlrev_b32_e32 v2, 20, v28
	v_lshl_add_u32 v1, v1, 23, 0x3c000000
	v_mov_b32_e32 v72, v29
	v_and_b32_e32 v0, 0x80000000, v0
	v_or3_b32 v73, v2, v0, v1
.LBB214_528:                            ;   in Loop: Header=BB214_13 Depth=1
	s_or_b32 exec_lo, exec_lo, s26
.LBB214_529:                            ;   in Loop: Header=BB214_13 Depth=1
	s_or_b32 exec_lo, exec_lo, s25
.LBB214_530:                            ;   in Loop: Header=BB214_13 Depth=1
	s_or_b32 exec_lo, exec_lo, s24
	v_add_co_u32 v0, s6, 0x800, v90
	v_add_co_ci_u32_e64 v1, null, 0, v91, s6
	v_mov_b32_e32 v68, 0
	v_add_co_u32 v2, s6, v0, v125
	v_add_co_ci_u32_e64 v3, null, 0, v1, s6
	v_mov_b32_e32 v122, 0
	v_mov_b32_e32 v69, 0
	;; [unrolled: 1-line block ×3, first 2 shown]
	flat_load_ushort v3, v[2:3]
	s_waitcnt vmcnt(0) lgkmcnt(0)
	v_and_b32_e32 v2, 0xffff, v3
	v_cmp_ne_u16_sdwa s6, v3, v29 src0_sel:BYTE_0 src1_sel:DWORD
	s_and_saveexec_b32 s24, s6
	s_cbranch_execz .LBB214_538
; %bb.531:                              ;   in Loop: Header=BB214_13 Depth=1
	v_bfrev_b32_e32 v122, 1
	v_mov_b32_e32 v123, 0
	v_cmp_ne_u16_sdwa s6, v2, v108 src0_sel:BYTE_0 src1_sel:DWORD
	s_and_saveexec_b32 s25, s6
	s_cbranch_execz .LBB214_537
; %bb.532:                              ;   in Loop: Header=BB214_13 Depth=1
	v_mov_b32_e32 v122, 0x7f800001
	v_and_b32_e32 v4, 0x7f, v2
	v_mov_b32_e32 v123, 0
	s_mov_b32 s26, exec_lo
	v_cmpx_ne_u32_e32 0x7f, v4
	s_cbranch_execz .LBB214_536
; %bb.533:                              ;   in Loop: Header=BB214_13 Depth=1
	v_and_b32_e32 v28, 7, v2
	v_lshrrev_b32_e32 v3, 3, v4
	s_mov_b32 s27, exec_lo
	v_cmpx_gt_u32_e32 8, v4
; %bb.534:                              ;   in Loop: Header=BB214_13 Depth=1
	v_ffbh_u32_e32 v3, v28
	v_min_u32_e32 v3, 32, v3
	v_subrev_nc_u32_e32 v4, 28, v3
	v_sub_nc_u32_e32 v3, 29, v3
	v_lshlrev_b64 v[4:5], v4, v[28:29]
	v_and_b32_e32 v28, 7, v4
; %bb.535:                              ;   in Loop: Header=BB214_13 Depth=1
	s_or_b32 exec_lo, exec_lo, s27
	v_lshlrev_b32_e32 v4, 24, v2
	v_lshlrev_b32_e32 v5, 20, v28
	v_lshl_add_u32 v3, v3, 23, 0x3c000000
	v_and_b32_e32 v4, 0x80000000, v4
	v_or3_b32 v28, v5, v4, v3
	v_mov_b32_e32 v123, v29
	v_mov_b32_e32 v122, v28
.LBB214_536:                            ;   in Loop: Header=BB214_13 Depth=1
	s_or_b32 exec_lo, exec_lo, s26
.LBB214_537:                            ;   in Loop: Header=BB214_13 Depth=1
	s_or_b32 exec_lo, exec_lo, s25
.LBB214_538:                            ;   in Loop: Header=BB214_13 Depth=1
	s_or_b32 exec_lo, exec_lo, s24
	v_cmp_ne_u16_sdwa s6, v2, v29 src0_sel:BYTE_1 src1_sel:DWORD
	s_and_saveexec_b32 s24, s6
	s_cbranch_execz .LBB214_546
; %bb.539:                              ;   in Loop: Header=BB214_13 Depth=1
	v_mov_b32_e32 v39, v29
	v_mov_b32_e32 v69, v40
	v_cmp_ne_u16_sdwa s6, v2, v108 src0_sel:BYTE_1 src1_sel:DWORD
	v_mov_b32_e32 v68, v39
	s_and_saveexec_b32 s25, s6
	s_cbranch_execz .LBB214_545
; %bb.540:                              ;   in Loop: Header=BB214_13 Depth=1
	v_mov_b32_e32 v3, 0xffff
	v_mov_b32_e32 v60, v29
	;; [unrolled: 1-line block ×3, first 2 shown]
	s_mov_b32 s26, exec_lo
	v_and_b32_sdwa v3, v3, v2 dst_sel:DWORD dst_unused:UNUSED_PAD src0_sel:DWORD src1_sel:BYTE_1
	v_mov_b32_e32 v68, v60
	v_and_b32_e32 v4, 0x7f, v3
	v_cmpx_ne_u32_e32 0x7f, v4
	s_cbranch_execz .LBB214_544
; %bb.541:                              ;   in Loop: Header=BB214_13 Depth=1
	v_and_b32_e32 v28, 7, v3
	v_lshrrev_b32_e32 v3, 3, v4
	s_mov_b32 s27, exec_lo
	v_cmpx_gt_u32_e32 8, v4
; %bb.542:                              ;   in Loop: Header=BB214_13 Depth=1
	v_ffbh_u32_e32 v3, v28
	v_min_u32_e32 v3, 32, v3
	v_subrev_nc_u32_e32 v4, 28, v3
	v_sub_nc_u32_e32 v3, 29, v3
	v_lshlrev_b64 v[4:5], v4, v[28:29]
	v_and_b32_e32 v28, 7, v4
; %bb.543:                              ;   in Loop: Header=BB214_13 Depth=1
	s_or_b32 exec_lo, exec_lo, s27
	v_lshlrev_b32_e32 v2, 16, v2
	v_lshlrev_b32_e32 v4, 20, v28
	v_lshl_add_u32 v3, v3, 23, 0x3c000000
	v_mov_b32_e32 v68, v29
	v_and_b32_e32 v2, 0x80000000, v2
	v_or3_b32 v69, v4, v2, v3
.LBB214_544:                            ;   in Loop: Header=BB214_13 Depth=1
	s_or_b32 exec_lo, exec_lo, s26
.LBB214_545:                            ;   in Loop: Header=BB214_13 Depth=1
	s_or_b32 exec_lo, exec_lo, s25
.LBB214_546:                            ;   in Loop: Header=BB214_13 Depth=1
	s_or_b32 exec_lo, exec_lo, s24
	buffer_load_dword v2, off, s[0:3], s32 offset:232 ; 4-byte Folded Reload
	v_mov_b32_e32 v80, 0
	v_mov_b32_e32 v70, 0
	;; [unrolled: 1-line block ×4, first 2 shown]
	s_waitcnt vmcnt(0)
	v_add_co_u32 v2, s6, v0, v2
	v_add_co_ci_u32_e64 v3, null, 0, v1, s6
	flat_load_ushort v3, v[2:3]
	s_waitcnt vmcnt(0) lgkmcnt(0)
	v_and_b32_e32 v2, 0xffff, v3
	v_cmp_ne_u16_sdwa s6, v3, v29 src0_sel:BYTE_0 src1_sel:DWORD
	s_and_saveexec_b32 s24, s6
	s_cbranch_execz .LBB214_554
; %bb.547:                              ;   in Loop: Header=BB214_13 Depth=1
	v_bfrev_b32_e32 v70, 1
	v_mov_b32_e32 v71, 0
	v_cmp_ne_u16_sdwa s6, v2, v108 src0_sel:BYTE_0 src1_sel:DWORD
	s_and_saveexec_b32 s25, s6
	s_cbranch_execz .LBB214_553
; %bb.548:                              ;   in Loop: Header=BB214_13 Depth=1
	v_mov_b32_e32 v70, 0x7f800001
	v_and_b32_e32 v4, 0x7f, v2
	v_mov_b32_e32 v71, 0
	s_mov_b32 s26, exec_lo
	v_cmpx_ne_u32_e32 0x7f, v4
	s_cbranch_execz .LBB214_552
; %bb.549:                              ;   in Loop: Header=BB214_13 Depth=1
	v_and_b32_e32 v28, 7, v2
	v_lshrrev_b32_e32 v3, 3, v4
	s_mov_b32 s27, exec_lo
	v_cmpx_gt_u32_e32 8, v4
; %bb.550:                              ;   in Loop: Header=BB214_13 Depth=1
	v_ffbh_u32_e32 v3, v28
	v_min_u32_e32 v3, 32, v3
	v_subrev_nc_u32_e32 v4, 28, v3
	v_sub_nc_u32_e32 v3, 29, v3
	v_lshlrev_b64 v[4:5], v4, v[28:29]
	v_and_b32_e32 v28, 7, v4
; %bb.551:                              ;   in Loop: Header=BB214_13 Depth=1
	s_or_b32 exec_lo, exec_lo, s27
	v_lshlrev_b32_e32 v4, 24, v2
	v_lshlrev_b32_e32 v5, 20, v28
	v_lshl_add_u32 v3, v3, 23, 0x3c000000
	v_and_b32_e32 v4, 0x80000000, v4
	v_or3_b32 v28, v5, v4, v3
	v_mov_b32_e32 v71, v29
	v_mov_b32_e32 v70, v28
.LBB214_552:                            ;   in Loop: Header=BB214_13 Depth=1
	s_or_b32 exec_lo, exec_lo, s26
.LBB214_553:                            ;   in Loop: Header=BB214_13 Depth=1
	s_or_b32 exec_lo, exec_lo, s25
.LBB214_554:                            ;   in Loop: Header=BB214_13 Depth=1
	s_or_b32 exec_lo, exec_lo, s24
	v_cmp_ne_u16_sdwa s6, v2, v29 src0_sel:BYTE_1 src1_sel:DWORD
	s_and_saveexec_b32 s24, s6
	s_cbranch_execz .LBB214_562
; %bb.555:                              ;   in Loop: Header=BB214_13 Depth=1
	v_mov_b32_e32 v39, v29
	v_mov_b32_e32 v81, v40
	v_cmp_ne_u16_sdwa s6, v2, v108 src0_sel:BYTE_1 src1_sel:DWORD
	v_mov_b32_e32 v80, v39
	s_and_saveexec_b32 s25, s6
	s_cbranch_execz .LBB214_561
; %bb.556:                              ;   in Loop: Header=BB214_13 Depth=1
	v_mov_b32_e32 v3, 0xffff
	v_mov_b32_e32 v60, v29
	;; [unrolled: 1-line block ×3, first 2 shown]
	s_mov_b32 s26, exec_lo
	v_and_b32_sdwa v3, v3, v2 dst_sel:DWORD dst_unused:UNUSED_PAD src0_sel:DWORD src1_sel:BYTE_1
	v_mov_b32_e32 v80, v60
	v_and_b32_e32 v4, 0x7f, v3
	v_cmpx_ne_u32_e32 0x7f, v4
	s_cbranch_execz .LBB214_560
; %bb.557:                              ;   in Loop: Header=BB214_13 Depth=1
	v_and_b32_e32 v28, 7, v3
	v_lshrrev_b32_e32 v3, 3, v4
	s_mov_b32 s27, exec_lo
	v_cmpx_gt_u32_e32 8, v4
; %bb.558:                              ;   in Loop: Header=BB214_13 Depth=1
	v_ffbh_u32_e32 v3, v28
	v_min_u32_e32 v3, 32, v3
	v_subrev_nc_u32_e32 v4, 28, v3
	v_sub_nc_u32_e32 v3, 29, v3
	v_lshlrev_b64 v[4:5], v4, v[28:29]
	v_and_b32_e32 v28, 7, v4
; %bb.559:                              ;   in Loop: Header=BB214_13 Depth=1
	s_or_b32 exec_lo, exec_lo, s27
	v_lshlrev_b32_e32 v2, 16, v2
	v_lshlrev_b32_e32 v4, 20, v28
	v_lshl_add_u32 v3, v3, 23, 0x3c000000
	v_mov_b32_e32 v80, v29
	v_and_b32_e32 v2, 0x80000000, v2
	v_or3_b32 v81, v4, v2, v3
.LBB214_560:                            ;   in Loop: Header=BB214_13 Depth=1
	s_or_b32 exec_lo, exec_lo, s26
.LBB214_561:                            ;   in Loop: Header=BB214_13 Depth=1
	s_or_b32 exec_lo, exec_lo, s25
.LBB214_562:                            ;   in Loop: Header=BB214_13 Depth=1
	s_or_b32 exec_lo, exec_lo, s24
	buffer_load_dword v2, off, s[0:3], s32 offset:236 ; 4-byte Folded Reload
	v_mov_b32_e32 v84, 0
	v_mov_b32_e32 v82, 0
	v_mov_b32_e32 v85, 0
	v_mov_b32_e32 v83, 0
	s_waitcnt vmcnt(0)
	v_add_co_u32 v2, s6, v0, v2
	v_add_co_ci_u32_e64 v3, null, 0, v1, s6
	flat_load_ushort v3, v[2:3]
	s_waitcnt vmcnt(0) lgkmcnt(0)
	v_and_b32_e32 v2, 0xffff, v3
	v_cmp_ne_u16_sdwa s6, v3, v29 src0_sel:BYTE_0 src1_sel:DWORD
	s_and_saveexec_b32 s24, s6
	s_cbranch_execz .LBB214_570
; %bb.563:                              ;   in Loop: Header=BB214_13 Depth=1
	v_bfrev_b32_e32 v82, 1
	v_mov_b32_e32 v83, 0
	v_cmp_ne_u16_sdwa s6, v2, v108 src0_sel:BYTE_0 src1_sel:DWORD
	s_and_saveexec_b32 s25, s6
	s_cbranch_execz .LBB214_569
; %bb.564:                              ;   in Loop: Header=BB214_13 Depth=1
	v_mov_b32_e32 v82, 0x7f800001
	v_and_b32_e32 v4, 0x7f, v2
	v_mov_b32_e32 v83, 0
	s_mov_b32 s26, exec_lo
	v_cmpx_ne_u32_e32 0x7f, v4
	s_cbranch_execz .LBB214_568
; %bb.565:                              ;   in Loop: Header=BB214_13 Depth=1
	v_and_b32_e32 v28, 7, v2
	v_lshrrev_b32_e32 v3, 3, v4
	s_mov_b32 s27, exec_lo
	v_cmpx_gt_u32_e32 8, v4
; %bb.566:                              ;   in Loop: Header=BB214_13 Depth=1
	v_ffbh_u32_e32 v3, v28
	v_min_u32_e32 v3, 32, v3
	v_subrev_nc_u32_e32 v4, 28, v3
	v_sub_nc_u32_e32 v3, 29, v3
	v_lshlrev_b64 v[4:5], v4, v[28:29]
	v_and_b32_e32 v28, 7, v4
; %bb.567:                              ;   in Loop: Header=BB214_13 Depth=1
	s_or_b32 exec_lo, exec_lo, s27
	v_lshlrev_b32_e32 v4, 24, v2
	v_lshlrev_b32_e32 v5, 20, v28
	v_lshl_add_u32 v3, v3, 23, 0x3c000000
	v_and_b32_e32 v4, 0x80000000, v4
	v_or3_b32 v28, v5, v4, v3
	v_mov_b32_e32 v83, v29
	v_mov_b32_e32 v82, v28
.LBB214_568:                            ;   in Loop: Header=BB214_13 Depth=1
	s_or_b32 exec_lo, exec_lo, s26
.LBB214_569:                            ;   in Loop: Header=BB214_13 Depth=1
	s_or_b32 exec_lo, exec_lo, s25
.LBB214_570:                            ;   in Loop: Header=BB214_13 Depth=1
	s_or_b32 exec_lo, exec_lo, s24
	v_cmp_ne_u16_sdwa s6, v2, v29 src0_sel:BYTE_1 src1_sel:DWORD
	s_and_saveexec_b32 s24, s6
	s_cbranch_execz .LBB214_578
; %bb.571:                              ;   in Loop: Header=BB214_13 Depth=1
	v_mov_b32_e32 v39, v29
	v_mov_b32_e32 v85, v40
	v_cmp_ne_u16_sdwa s6, v2, v108 src0_sel:BYTE_1 src1_sel:DWORD
	v_mov_b32_e32 v84, v39
	s_and_saveexec_b32 s25, s6
	s_cbranch_execz .LBB214_577
; %bb.572:                              ;   in Loop: Header=BB214_13 Depth=1
	v_mov_b32_e32 v3, 0xffff
	v_mov_b32_e32 v60, v29
	v_mov_b32_e32 v85, v61
	s_mov_b32 s26, exec_lo
	v_and_b32_sdwa v3, v3, v2 dst_sel:DWORD dst_unused:UNUSED_PAD src0_sel:DWORD src1_sel:BYTE_1
	v_mov_b32_e32 v84, v60
	v_and_b32_e32 v4, 0x7f, v3
	v_cmpx_ne_u32_e32 0x7f, v4
	s_cbranch_execz .LBB214_576
; %bb.573:                              ;   in Loop: Header=BB214_13 Depth=1
	v_and_b32_e32 v28, 7, v3
	v_lshrrev_b32_e32 v3, 3, v4
	s_mov_b32 s27, exec_lo
	v_cmpx_gt_u32_e32 8, v4
; %bb.574:                              ;   in Loop: Header=BB214_13 Depth=1
	v_ffbh_u32_e32 v3, v28
	v_min_u32_e32 v3, 32, v3
	v_subrev_nc_u32_e32 v4, 28, v3
	v_sub_nc_u32_e32 v3, 29, v3
	v_lshlrev_b64 v[4:5], v4, v[28:29]
	v_and_b32_e32 v28, 7, v4
; %bb.575:                              ;   in Loop: Header=BB214_13 Depth=1
	s_or_b32 exec_lo, exec_lo, s27
	v_lshlrev_b32_e32 v2, 16, v2
	v_lshlrev_b32_e32 v4, 20, v28
	v_lshl_add_u32 v3, v3, 23, 0x3c000000
	v_mov_b32_e32 v84, v29
	v_and_b32_e32 v2, 0x80000000, v2
	v_or3_b32 v85, v4, v2, v3
.LBB214_576:                            ;   in Loop: Header=BB214_13 Depth=1
	s_or_b32 exec_lo, exec_lo, s26
.LBB214_577:                            ;   in Loop: Header=BB214_13 Depth=1
	s_or_b32 exec_lo, exec_lo, s25
.LBB214_578:                            ;   in Loop: Header=BB214_13 Depth=1
	s_or_b32 exec_lo, exec_lo, s24
	buffer_load_dword v2, off, s[0:3], s32 offset:240 ; 4-byte Folded Reload
	v_mov_b32_e32 v96, 0
	v_mov_b32_e32 v86, 0
	;; [unrolled: 1-line block ×4, first 2 shown]
	s_waitcnt vmcnt(0)
	v_add_co_u32 v0, s6, v0, v2
	v_add_co_ci_u32_e64 v1, null, 0, v1, s6
	flat_load_ushort v1, v[0:1]
	s_waitcnt vmcnt(0) lgkmcnt(0)
	v_and_b32_e32 v0, 0xffff, v1
	v_cmp_ne_u16_sdwa s6, v1, v29 src0_sel:BYTE_0 src1_sel:DWORD
	s_and_saveexec_b32 s24, s6
	s_cbranch_execz .LBB214_586
; %bb.579:                              ;   in Loop: Header=BB214_13 Depth=1
	v_bfrev_b32_e32 v86, 1
	v_mov_b32_e32 v87, 0
	v_cmp_ne_u16_sdwa s6, v0, v108 src0_sel:BYTE_0 src1_sel:DWORD
	s_and_saveexec_b32 s25, s6
	s_cbranch_execz .LBB214_585
; %bb.580:                              ;   in Loop: Header=BB214_13 Depth=1
	v_mov_b32_e32 v86, 0x7f800001
	v_and_b32_e32 v2, 0x7f, v0
	v_mov_b32_e32 v87, 0
	s_mov_b32 s26, exec_lo
	v_cmpx_ne_u32_e32 0x7f, v2
	s_cbranch_execz .LBB214_584
; %bb.581:                              ;   in Loop: Header=BB214_13 Depth=1
	v_and_b32_e32 v28, 7, v0
	v_lshrrev_b32_e32 v1, 3, v2
	s_mov_b32 s27, exec_lo
	v_cmpx_gt_u32_e32 8, v2
; %bb.582:                              ;   in Loop: Header=BB214_13 Depth=1
	v_ffbh_u32_e32 v1, v28
	v_min_u32_e32 v1, 32, v1
	v_subrev_nc_u32_e32 v2, 28, v1
	v_sub_nc_u32_e32 v1, 29, v1
	v_lshlrev_b64 v[2:3], v2, v[28:29]
	v_and_b32_e32 v28, 7, v2
; %bb.583:                              ;   in Loop: Header=BB214_13 Depth=1
	s_or_b32 exec_lo, exec_lo, s27
	v_lshlrev_b32_e32 v2, 24, v0
	v_lshlrev_b32_e32 v3, 20, v28
	v_lshl_add_u32 v1, v1, 23, 0x3c000000
	v_and_b32_e32 v2, 0x80000000, v2
	v_or3_b32 v28, v3, v2, v1
	v_mov_b32_e32 v87, v29
	v_mov_b32_e32 v86, v28
.LBB214_584:                            ;   in Loop: Header=BB214_13 Depth=1
	s_or_b32 exec_lo, exec_lo, s26
.LBB214_585:                            ;   in Loop: Header=BB214_13 Depth=1
	s_or_b32 exec_lo, exec_lo, s25
.LBB214_586:                            ;   in Loop: Header=BB214_13 Depth=1
	s_or_b32 exec_lo, exec_lo, s24
	v_cmp_ne_u16_sdwa s6, v0, v29 src0_sel:BYTE_1 src1_sel:DWORD
	s_and_saveexec_b32 s24, s6
	s_cbranch_execz .LBB214_594
; %bb.587:                              ;   in Loop: Header=BB214_13 Depth=1
	v_mov_b32_e32 v39, v29
	v_mov_b32_e32 v97, v40
	v_cmp_ne_u16_sdwa s6, v0, v108 src0_sel:BYTE_1 src1_sel:DWORD
	v_mov_b32_e32 v96, v39
	s_and_saveexec_b32 s25, s6
	s_cbranch_execz .LBB214_593
; %bb.588:                              ;   in Loop: Header=BB214_13 Depth=1
	v_mov_b32_e32 v1, 0xffff
	v_mov_b32_e32 v60, v29
	;; [unrolled: 1-line block ×3, first 2 shown]
	s_mov_b32 s26, exec_lo
	v_and_b32_sdwa v1, v1, v0 dst_sel:DWORD dst_unused:UNUSED_PAD src0_sel:DWORD src1_sel:BYTE_1
	v_mov_b32_e32 v96, v60
	v_and_b32_e32 v2, 0x7f, v1
	v_cmpx_ne_u32_e32 0x7f, v2
	s_cbranch_execz .LBB214_592
; %bb.589:                              ;   in Loop: Header=BB214_13 Depth=1
	v_and_b32_e32 v28, 7, v1
	v_lshrrev_b32_e32 v1, 3, v2
	s_mov_b32 s27, exec_lo
	v_cmpx_gt_u32_e32 8, v2
; %bb.590:                              ;   in Loop: Header=BB214_13 Depth=1
	v_ffbh_u32_e32 v1, v28
	v_min_u32_e32 v1, 32, v1
	v_subrev_nc_u32_e32 v2, 28, v1
	v_sub_nc_u32_e32 v1, 29, v1
	v_lshlrev_b64 v[2:3], v2, v[28:29]
	v_and_b32_e32 v28, 7, v2
; %bb.591:                              ;   in Loop: Header=BB214_13 Depth=1
	s_or_b32 exec_lo, exec_lo, s27
	v_lshlrev_b32_e32 v0, 16, v0
	v_lshlrev_b32_e32 v2, 20, v28
	v_lshl_add_u32 v1, v1, 23, 0x3c000000
	v_mov_b32_e32 v96, v29
	v_and_b32_e32 v0, 0x80000000, v0
	v_or3_b32 v97, v2, v0, v1
.LBB214_592:                            ;   in Loop: Header=BB214_13 Depth=1
	s_or_b32 exec_lo, exec_lo, s26
.LBB214_593:                            ;   in Loop: Header=BB214_13 Depth=1
	s_or_b32 exec_lo, exec_lo, s25
.LBB214_594:                            ;   in Loop: Header=BB214_13 Depth=1
	s_or_b32 exec_lo, exec_lo, s24
	v_add_co_u32 v0, s6, 0x900, v90
	v_add_co_ci_u32_e64 v1, null, 0, v91, s6
	v_mov_b32_e32 v100, 0
	v_add_co_u32 v2, s6, v0, v125
	v_add_co_ci_u32_e64 v3, null, 0, v1, s6
	v_mov_b32_e32 v98, 0
	v_mov_b32_e32 v101, 0
	v_mov_b32_e32 v99, 0
	flat_load_ushort v3, v[2:3]
	s_waitcnt vmcnt(0) lgkmcnt(0)
	v_and_b32_e32 v2, 0xffff, v3
	v_cmp_ne_u16_sdwa s6, v3, v29 src0_sel:BYTE_0 src1_sel:DWORD
	s_and_saveexec_b32 s24, s6
	s_cbranch_execz .LBB214_602
; %bb.595:                              ;   in Loop: Header=BB214_13 Depth=1
	v_bfrev_b32_e32 v98, 1
	v_mov_b32_e32 v99, 0
	v_cmp_ne_u16_sdwa s6, v2, v108 src0_sel:BYTE_0 src1_sel:DWORD
	s_and_saveexec_b32 s25, s6
	s_cbranch_execz .LBB214_601
; %bb.596:                              ;   in Loop: Header=BB214_13 Depth=1
	v_mov_b32_e32 v98, 0x7f800001
	v_and_b32_e32 v4, 0x7f, v2
	v_mov_b32_e32 v99, 0
	s_mov_b32 s26, exec_lo
	v_cmpx_ne_u32_e32 0x7f, v4
	s_cbranch_execz .LBB214_600
; %bb.597:                              ;   in Loop: Header=BB214_13 Depth=1
	v_and_b32_e32 v28, 7, v2
	v_lshrrev_b32_e32 v3, 3, v4
	s_mov_b32 s27, exec_lo
	v_cmpx_gt_u32_e32 8, v4
; %bb.598:                              ;   in Loop: Header=BB214_13 Depth=1
	v_ffbh_u32_e32 v3, v28
	v_min_u32_e32 v3, 32, v3
	v_subrev_nc_u32_e32 v4, 28, v3
	v_sub_nc_u32_e32 v3, 29, v3
	v_lshlrev_b64 v[4:5], v4, v[28:29]
	v_and_b32_e32 v28, 7, v4
; %bb.599:                              ;   in Loop: Header=BB214_13 Depth=1
	s_or_b32 exec_lo, exec_lo, s27
	v_lshlrev_b32_e32 v4, 24, v2
	v_lshlrev_b32_e32 v5, 20, v28
	v_lshl_add_u32 v3, v3, 23, 0x3c000000
	v_and_b32_e32 v4, 0x80000000, v4
	v_or3_b32 v28, v5, v4, v3
	v_mov_b32_e32 v99, v29
	v_mov_b32_e32 v98, v28
.LBB214_600:                            ;   in Loop: Header=BB214_13 Depth=1
	s_or_b32 exec_lo, exec_lo, s26
.LBB214_601:                            ;   in Loop: Header=BB214_13 Depth=1
	s_or_b32 exec_lo, exec_lo, s25
.LBB214_602:                            ;   in Loop: Header=BB214_13 Depth=1
	s_or_b32 exec_lo, exec_lo, s24
	v_cmp_ne_u16_sdwa s6, v2, v29 src0_sel:BYTE_1 src1_sel:DWORD
	s_and_saveexec_b32 s24, s6
	s_cbranch_execz .LBB214_610
; %bb.603:                              ;   in Loop: Header=BB214_13 Depth=1
	v_mov_b32_e32 v39, v29
	v_mov_b32_e32 v101, v40
	v_cmp_ne_u16_sdwa s6, v2, v108 src0_sel:BYTE_1 src1_sel:DWORD
	v_mov_b32_e32 v100, v39
	s_and_saveexec_b32 s25, s6
	s_cbranch_execz .LBB214_609
; %bb.604:                              ;   in Loop: Header=BB214_13 Depth=1
	v_mov_b32_e32 v3, 0xffff
	v_mov_b32_e32 v60, v29
	;; [unrolled: 1-line block ×3, first 2 shown]
	s_mov_b32 s26, exec_lo
	v_and_b32_sdwa v3, v3, v2 dst_sel:DWORD dst_unused:UNUSED_PAD src0_sel:DWORD src1_sel:BYTE_1
	v_mov_b32_e32 v100, v60
	v_and_b32_e32 v4, 0x7f, v3
	v_cmpx_ne_u32_e32 0x7f, v4
	s_cbranch_execz .LBB214_608
; %bb.605:                              ;   in Loop: Header=BB214_13 Depth=1
	v_and_b32_e32 v28, 7, v3
	v_lshrrev_b32_e32 v3, 3, v4
	s_mov_b32 s27, exec_lo
	v_cmpx_gt_u32_e32 8, v4
; %bb.606:                              ;   in Loop: Header=BB214_13 Depth=1
	v_ffbh_u32_e32 v3, v28
	v_min_u32_e32 v3, 32, v3
	v_subrev_nc_u32_e32 v4, 28, v3
	v_sub_nc_u32_e32 v3, 29, v3
	v_lshlrev_b64 v[4:5], v4, v[28:29]
	v_and_b32_e32 v28, 7, v4
; %bb.607:                              ;   in Loop: Header=BB214_13 Depth=1
	s_or_b32 exec_lo, exec_lo, s27
	v_lshlrev_b32_e32 v2, 16, v2
	v_lshlrev_b32_e32 v4, 20, v28
	v_lshl_add_u32 v3, v3, 23, 0x3c000000
	v_mov_b32_e32 v100, v29
	v_and_b32_e32 v2, 0x80000000, v2
	v_or3_b32 v101, v4, v2, v3
.LBB214_608:                            ;   in Loop: Header=BB214_13 Depth=1
	s_or_b32 exec_lo, exec_lo, s26
.LBB214_609:                            ;   in Loop: Header=BB214_13 Depth=1
	s_or_b32 exec_lo, exec_lo, s25
.LBB214_610:                            ;   in Loop: Header=BB214_13 Depth=1
	s_or_b32 exec_lo, exec_lo, s24
	buffer_load_dword v2, off, s[0:3], s32 offset:232 ; 4-byte Folded Reload
	v_mov_b32_e32 v10, 0
	v_mov_b32_e32 v102, 0
	;; [unrolled: 1-line block ×4, first 2 shown]
	s_waitcnt vmcnt(0)
	v_add_co_u32 v2, s6, v0, v2
	v_add_co_ci_u32_e64 v3, null, 0, v1, s6
	flat_load_ushort v3, v[2:3]
	s_waitcnt vmcnt(0) lgkmcnt(0)
	v_and_b32_e32 v2, 0xffff, v3
	v_cmp_ne_u16_sdwa s6, v3, v29 src0_sel:BYTE_0 src1_sel:DWORD
	s_and_saveexec_b32 s24, s6
	s_cbranch_execz .LBB214_618
; %bb.611:                              ;   in Loop: Header=BB214_13 Depth=1
	v_bfrev_b32_e32 v102, 1
	v_mov_b32_e32 v103, 0
	v_cmp_ne_u16_sdwa s6, v2, v108 src0_sel:BYTE_0 src1_sel:DWORD
	s_and_saveexec_b32 s25, s6
	s_cbranch_execz .LBB214_617
; %bb.612:                              ;   in Loop: Header=BB214_13 Depth=1
	v_mov_b32_e32 v102, 0x7f800001
	v_and_b32_e32 v4, 0x7f, v2
	v_mov_b32_e32 v103, 0
	s_mov_b32 s26, exec_lo
	v_cmpx_ne_u32_e32 0x7f, v4
	s_cbranch_execz .LBB214_616
; %bb.613:                              ;   in Loop: Header=BB214_13 Depth=1
	v_and_b32_e32 v28, 7, v2
	v_lshrrev_b32_e32 v3, 3, v4
	s_mov_b32 s27, exec_lo
	v_cmpx_gt_u32_e32 8, v4
; %bb.614:                              ;   in Loop: Header=BB214_13 Depth=1
	v_ffbh_u32_e32 v3, v28
	v_min_u32_e32 v3, 32, v3
	v_subrev_nc_u32_e32 v4, 28, v3
	v_sub_nc_u32_e32 v3, 29, v3
	v_lshlrev_b64 v[4:5], v4, v[28:29]
	v_and_b32_e32 v28, 7, v4
; %bb.615:                              ;   in Loop: Header=BB214_13 Depth=1
	s_or_b32 exec_lo, exec_lo, s27
	v_lshlrev_b32_e32 v4, 24, v2
	v_lshlrev_b32_e32 v5, 20, v28
	v_lshl_add_u32 v3, v3, 23, 0x3c000000
	v_and_b32_e32 v4, 0x80000000, v4
	v_or3_b32 v28, v5, v4, v3
	v_mov_b32_e32 v103, v29
	v_mov_b32_e32 v102, v28
.LBB214_616:                            ;   in Loop: Header=BB214_13 Depth=1
	s_or_b32 exec_lo, exec_lo, s26
.LBB214_617:                            ;   in Loop: Header=BB214_13 Depth=1
	s_or_b32 exec_lo, exec_lo, s25
.LBB214_618:                            ;   in Loop: Header=BB214_13 Depth=1
	s_or_b32 exec_lo, exec_lo, s24
	v_cmp_ne_u16_sdwa s6, v2, v29 src0_sel:BYTE_1 src1_sel:DWORD
	s_and_saveexec_b32 s24, s6
	s_cbranch_execz .LBB214_626
; %bb.619:                              ;   in Loop: Header=BB214_13 Depth=1
	v_mov_b32_e32 v39, v29
	v_cmp_ne_u16_sdwa s6, v2, v108 src0_sel:BYTE_1 src1_sel:DWORD
	v_mov_b32_e32 v10, v39
	v_mov_b32_e32 v11, v40
	s_and_saveexec_b32 s25, s6
	s_cbranch_execz .LBB214_625
; %bb.620:                              ;   in Loop: Header=BB214_13 Depth=1
	v_mov_b32_e32 v3, 0xffff
	v_mov_b32_e32 v60, v29
	s_mov_b32 s26, exec_lo
	v_and_b32_sdwa v3, v3, v2 dst_sel:DWORD dst_unused:UNUSED_PAD src0_sel:DWORD src1_sel:BYTE_1
	v_mov_b32_e32 v10, v60
	v_mov_b32_e32 v11, v61
	v_and_b32_e32 v4, 0x7f, v3
	v_cmpx_ne_u32_e32 0x7f, v4
	s_cbranch_execz .LBB214_624
; %bb.621:                              ;   in Loop: Header=BB214_13 Depth=1
	v_and_b32_e32 v28, 7, v3
	v_lshrrev_b32_e32 v3, 3, v4
	s_mov_b32 s27, exec_lo
	v_cmpx_gt_u32_e32 8, v4
; %bb.622:                              ;   in Loop: Header=BB214_13 Depth=1
	v_ffbh_u32_e32 v3, v28
	v_min_u32_e32 v3, 32, v3
	v_subrev_nc_u32_e32 v4, 28, v3
	v_sub_nc_u32_e32 v3, 29, v3
	v_lshlrev_b64 v[4:5], v4, v[28:29]
	v_and_b32_e32 v28, 7, v4
; %bb.623:                              ;   in Loop: Header=BB214_13 Depth=1
	s_or_b32 exec_lo, exec_lo, s27
	v_lshlrev_b32_e32 v2, 16, v2
	v_lshlrev_b32_e32 v4, 20, v28
	v_lshl_add_u32 v3, v3, 23, 0x3c000000
	v_mov_b32_e32 v10, v29
	v_and_b32_e32 v2, 0x80000000, v2
	v_or3_b32 v11, v4, v2, v3
.LBB214_624:                            ;   in Loop: Header=BB214_13 Depth=1
	s_or_b32 exec_lo, exec_lo, s26
.LBB214_625:                            ;   in Loop: Header=BB214_13 Depth=1
	s_or_b32 exec_lo, exec_lo, s25
.LBB214_626:                            ;   in Loop: Header=BB214_13 Depth=1
	s_or_b32 exec_lo, exec_lo, s24
	buffer_load_dword v2, off, s[0:3], s32 offset:236 ; 4-byte Folded Reload
	v_mov_b32_e32 v14, 0
	v_mov_b32_e32 v15, 0
	s_waitcnt vmcnt(0)
	v_add_co_u32 v2, s6, v0, v2
	v_add_co_ci_u32_e64 v3, null, 0, v1, s6
	flat_load_ushort v2, v[2:3]
	s_waitcnt vmcnt(0) lgkmcnt(0)
	v_and_b32_e32 v4, 0xffff, v2
	v_cmp_ne_u16_sdwa s6, v2, v29 src0_sel:BYTE_0 src1_sel:DWORD
	v_mov_b32_e32 v2, 0
	v_mov_b32_e32 v3, 0
	s_and_saveexec_b32 s24, s6
	s_cbranch_execz .LBB214_634
; %bb.627:                              ;   in Loop: Header=BB214_13 Depth=1
	v_bfrev_b32_e32 v14, 1
	v_mov_b32_e32 v15, 0
	v_cmp_ne_u16_sdwa s6, v4, v108 src0_sel:BYTE_0 src1_sel:DWORD
	s_and_saveexec_b32 s25, s6
	s_cbranch_execz .LBB214_633
; %bb.628:                              ;   in Loop: Header=BB214_13 Depth=1
	v_mov_b32_e32 v14, 0x7f800001
	v_and_b32_e32 v20, 0x7f, v4
	v_mov_b32_e32 v15, 0
	s_mov_b32 s26, exec_lo
	v_cmpx_ne_u32_e32 0x7f, v20
	s_cbranch_execz .LBB214_632
; %bb.629:                              ;   in Loop: Header=BB214_13 Depth=1
	v_and_b32_e32 v28, 7, v4
	v_lshrrev_b32_e32 v5, 3, v20
	s_mov_b32 s27, exec_lo
	v_cmpx_gt_u32_e32 8, v20
; %bb.630:                              ;   in Loop: Header=BB214_13 Depth=1
	v_ffbh_u32_e32 v5, v28
	v_min_u32_e32 v5, 32, v5
	v_subrev_nc_u32_e32 v14, 28, v5
	v_sub_nc_u32_e32 v5, 29, v5
	v_lshlrev_b64 v[14:15], v14, v[28:29]
	v_and_b32_e32 v28, 7, v14
; %bb.631:                              ;   in Loop: Header=BB214_13 Depth=1
	s_or_b32 exec_lo, exec_lo, s27
	v_lshlrev_b32_e32 v14, 24, v4
	v_lshlrev_b32_e32 v15, 20, v28
	v_lshl_add_u32 v5, v5, 23, 0x3c000000
	v_and_b32_e32 v14, 0x80000000, v14
	v_or3_b32 v28, v15, v14, v5
	v_mov_b32_e32 v14, v28
	v_mov_b32_e32 v15, v29
.LBB214_632:                            ;   in Loop: Header=BB214_13 Depth=1
	s_or_b32 exec_lo, exec_lo, s26
.LBB214_633:                            ;   in Loop: Header=BB214_13 Depth=1
	s_or_b32 exec_lo, exec_lo, s25
.LBB214_634:                            ;   in Loop: Header=BB214_13 Depth=1
	s_or_b32 exec_lo, exec_lo, s24
	v_cmp_ne_u16_sdwa s6, v4, v29 src0_sel:BYTE_1 src1_sel:DWORD
	s_and_saveexec_b32 s24, s6
	s_cbranch_execz .LBB214_642
; %bb.635:                              ;   in Loop: Header=BB214_13 Depth=1
	v_mov_b32_e32 v39, v29
	v_cmp_ne_u16_sdwa s6, v4, v108 src0_sel:BYTE_1 src1_sel:DWORD
	v_mov_b32_e32 v2, v39
	v_mov_b32_e32 v3, v40
	s_and_saveexec_b32 s25, s6
	s_cbranch_execz .LBB214_641
; %bb.636:                              ;   in Loop: Header=BB214_13 Depth=1
	v_mov_b32_e32 v2, 0xffff
	v_mov_b32_e32 v60, v29
	s_mov_b32 s26, exec_lo
	v_and_b32_sdwa v20, v2, v4 dst_sel:DWORD dst_unused:UNUSED_PAD src0_sel:DWORD src1_sel:BYTE_1
	v_mov_b32_e32 v2, v60
	v_mov_b32_e32 v3, v61
	v_and_b32_e32 v5, 0x7f, v20
	v_cmpx_ne_u32_e32 0x7f, v5
	s_cbranch_execz .LBB214_640
; %bb.637:                              ;   in Loop: Header=BB214_13 Depth=1
	v_and_b32_e32 v28, 7, v20
	v_lshrrev_b32_e32 v2, 3, v5
	s_mov_b32 s27, exec_lo
	v_cmpx_gt_u32_e32 8, v5
; %bb.638:                              ;   in Loop: Header=BB214_13 Depth=1
	v_ffbh_u32_e32 v2, v28
	v_min_u32_e32 v2, 32, v2
	v_subrev_nc_u32_e32 v3, 28, v2
	v_sub_nc_u32_e32 v2, 29, v2
	v_lshlrev_b64 v[20:21], v3, v[28:29]
	v_and_b32_e32 v28, 7, v20
; %bb.639:                              ;   in Loop: Header=BB214_13 Depth=1
	s_or_b32 exec_lo, exec_lo, s27
	v_lshlrev_b32_e32 v3, 16, v4
	v_lshlrev_b32_e32 v4, 20, v28
	v_lshl_add_u32 v2, v2, 23, 0x3c000000
	v_and_b32_e32 v3, 0x80000000, v3
	v_or3_b32 v3, v4, v3, v2
	v_mov_b32_e32 v2, v29
.LBB214_640:                            ;   in Loop: Header=BB214_13 Depth=1
	s_or_b32 exec_lo, exec_lo, s26
.LBB214_641:                            ;   in Loop: Header=BB214_13 Depth=1
	s_or_b32 exec_lo, exec_lo, s25
.LBB214_642:                            ;   in Loop: Header=BB214_13 Depth=1
	s_or_b32 exec_lo, exec_lo, s24
	buffer_load_dword v4, off, s[0:3], s32 offset:240 ; 4-byte Folded Reload
	v_mov_b32_e32 v116, 0
	v_mov_b32_e32 v117, 0
	s_waitcnt vmcnt(0)
	v_add_co_u32 v0, s6, v0, v4
	v_add_co_ci_u32_e64 v1, null, 0, v1, s6
	flat_load_ushort v0, v[0:1]
	s_waitcnt vmcnt(0) lgkmcnt(0)
	v_and_b32_e32 v4, 0xffff, v0
	v_cmp_ne_u16_sdwa s6, v0, v29 src0_sel:BYTE_0 src1_sel:DWORD
	v_mov_b32_e32 v0, 0
	v_mov_b32_e32 v1, 0
	s_and_saveexec_b32 s24, s6
	s_cbranch_execz .LBB214_650
; %bb.643:                              ;   in Loop: Header=BB214_13 Depth=1
	v_bfrev_b32_e32 v116, 1
	v_mov_b32_e32 v117, 0
	v_cmp_ne_u16_sdwa s6, v4, v108 src0_sel:BYTE_0 src1_sel:DWORD
	s_and_saveexec_b32 s25, s6
	s_cbranch_execz .LBB214_649
; %bb.644:                              ;   in Loop: Header=BB214_13 Depth=1
	v_mov_b32_e32 v116, 0x7f800001
	v_and_b32_e32 v20, 0x7f, v4
	v_mov_b32_e32 v117, 0
	s_mov_b32 s26, exec_lo
	v_cmpx_ne_u32_e32 0x7f, v20
	s_cbranch_execz .LBB214_648
; %bb.645:                              ;   in Loop: Header=BB214_13 Depth=1
	v_and_b32_e32 v28, 7, v4
	v_lshrrev_b32_e32 v5, 3, v20
	s_mov_b32 s27, exec_lo
	v_cmpx_gt_u32_e32 8, v20
; %bb.646:                              ;   in Loop: Header=BB214_13 Depth=1
	v_ffbh_u32_e32 v5, v28
	v_min_u32_e32 v5, 32, v5
	v_subrev_nc_u32_e32 v20, 28, v5
	v_sub_nc_u32_e32 v5, 29, v5
	v_lshlrev_b64 v[20:21], v20, v[28:29]
	v_and_b32_e32 v28, 7, v20
; %bb.647:                              ;   in Loop: Header=BB214_13 Depth=1
	s_or_b32 exec_lo, exec_lo, s27
	v_lshlrev_b32_e32 v20, 24, v4
	v_lshlrev_b32_e32 v21, 20, v28
	v_lshl_add_u32 v5, v5, 23, 0x3c000000
	v_and_b32_e32 v20, 0x80000000, v20
	v_or3_b32 v28, v21, v20, v5
	v_mov_b32_e32 v117, v29
	v_mov_b32_e32 v116, v28
.LBB214_648:                            ;   in Loop: Header=BB214_13 Depth=1
	s_or_b32 exec_lo, exec_lo, s26
.LBB214_649:                            ;   in Loop: Header=BB214_13 Depth=1
	s_or_b32 exec_lo, exec_lo, s25
.LBB214_650:                            ;   in Loop: Header=BB214_13 Depth=1
	s_or_b32 exec_lo, exec_lo, s24
	v_cmp_ne_u16_sdwa s6, v4, v29 src0_sel:BYTE_1 src1_sel:DWORD
	s_and_saveexec_b32 s24, s6
	s_cbranch_execz .LBB214_658
; %bb.651:                              ;   in Loop: Header=BB214_13 Depth=1
	v_mov_b32_e32 v39, v29
	v_cmp_ne_u16_sdwa s6, v4, v108 src0_sel:BYTE_1 src1_sel:DWORD
	v_mov_b32_e32 v0, v39
	v_mov_b32_e32 v1, v40
	s_and_saveexec_b32 s25, s6
	s_cbranch_execz .LBB214_657
; %bb.652:                              ;   in Loop: Header=BB214_13 Depth=1
	v_mov_b32_e32 v0, 0xffff
	v_mov_b32_e32 v60, v29
	s_mov_b32 s26, exec_lo
	v_and_b32_sdwa v20, v0, v4 dst_sel:DWORD dst_unused:UNUSED_PAD src0_sel:DWORD src1_sel:BYTE_1
	v_mov_b32_e32 v0, v60
	v_mov_b32_e32 v1, v61
	v_and_b32_e32 v5, 0x7f, v20
	v_cmpx_ne_u32_e32 0x7f, v5
	s_cbranch_execz .LBB214_656
; %bb.653:                              ;   in Loop: Header=BB214_13 Depth=1
	v_and_b32_e32 v28, 7, v20
	v_lshrrev_b32_e32 v0, 3, v5
	s_mov_b32 s27, exec_lo
	v_cmpx_gt_u32_e32 8, v5
; %bb.654:                              ;   in Loop: Header=BB214_13 Depth=1
	v_ffbh_u32_e32 v0, v28
	v_min_u32_e32 v0, 32, v0
	v_subrev_nc_u32_e32 v1, 28, v0
	v_sub_nc_u32_e32 v0, 29, v0
	v_lshlrev_b64 v[20:21], v1, v[28:29]
	v_and_b32_e32 v28, 7, v20
; %bb.655:                              ;   in Loop: Header=BB214_13 Depth=1
	s_or_b32 exec_lo, exec_lo, s27
	v_lshlrev_b32_e32 v1, 16, v4
	v_lshlrev_b32_e32 v4, 20, v28
	v_lshl_add_u32 v0, v0, 23, 0x3c000000
	v_and_b32_e32 v1, 0x80000000, v1
	v_or3_b32 v1, v4, v1, v0
	v_mov_b32_e32 v0, v29
.LBB214_656:                            ;   in Loop: Header=BB214_13 Depth=1
	s_or_b32 exec_lo, exec_lo, s26
.LBB214_657:                            ;   in Loop: Header=BB214_13 Depth=1
	s_or_b32 exec_lo, exec_lo, s25
.LBB214_658:                            ;   in Loop: Header=BB214_13 Depth=1
	s_or_b32 exec_lo, exec_lo, s24
	v_add_co_u32 v41, s6, 0xa00, v90
	v_add_co_ci_u32_e64 v42, null, 0, v91, s6
	v_mov_b32_e32 v126, 0
	v_add_co_u32 v4, s6, v41, v125
	v_add_co_ci_u32_e64 v5, null, 0, v42, s6
	v_mov_b32_e32 v127, 0
	flat_load_ushort v4, v[4:5]
	s_waitcnt vmcnt(0) lgkmcnt(0)
	v_and_b32_e32 v20, 0xffff, v4
	v_cmp_ne_u16_sdwa s6, v4, v29 src0_sel:BYTE_0 src1_sel:DWORD
	v_mov_b32_e32 v4, 0
	v_mov_b32_e32 v5, 0
	s_and_saveexec_b32 s24, s6
	s_cbranch_execz .LBB214_666
; %bb.659:                              ;   in Loop: Header=BB214_13 Depth=1
	v_bfrev_b32_e32 v126, 1
	v_mov_b32_e32 v127, 0
	v_cmp_ne_u16_sdwa s6, v20, v108 src0_sel:BYTE_0 src1_sel:DWORD
	s_and_saveexec_b32 s25, s6
	s_cbranch_execz .LBB214_665
; %bb.660:                              ;   in Loop: Header=BB214_13 Depth=1
	v_mov_b32_e32 v126, 0x7f800001
	v_and_b32_e32 v23, 0x7f, v20
	v_mov_b32_e32 v127, 0
	s_mov_b32 s26, exec_lo
	v_cmpx_ne_u32_e32 0x7f, v23
	s_cbranch_execz .LBB214_664
; %bb.661:                              ;   in Loop: Header=BB214_13 Depth=1
	v_and_b32_e32 v28, 7, v20
	v_lshrrev_b32_e32 v21, 3, v23
	s_mov_b32 s27, exec_lo
	v_cmpx_gt_u32_e32 8, v23
; %bb.662:                              ;   in Loop: Header=BB214_13 Depth=1
	v_ffbh_u32_e32 v21, v28
	v_min_u32_e32 v21, 32, v21
	v_subrev_nc_u32_e32 v23, 28, v21
	v_sub_nc_u32_e32 v21, 29, v21
	v_lshlrev_b64 v[23:24], v23, v[28:29]
	v_and_b32_e32 v28, 7, v23
; %bb.663:                              ;   in Loop: Header=BB214_13 Depth=1
	s_or_b32 exec_lo, exec_lo, s27
	v_lshlrev_b32_e32 v23, 24, v20
	v_lshlrev_b32_e32 v24, 20, v28
	v_lshl_add_u32 v21, v21, 23, 0x3c000000
	v_and_b32_e32 v23, 0x80000000, v23
	v_or3_b32 v28, v24, v23, v21
	v_mov_b32_e32 v127, v29
	v_mov_b32_e32 v126, v28
.LBB214_664:                            ;   in Loop: Header=BB214_13 Depth=1
	s_or_b32 exec_lo, exec_lo, s26
.LBB214_665:                            ;   in Loop: Header=BB214_13 Depth=1
	s_or_b32 exec_lo, exec_lo, s25
.LBB214_666:                            ;   in Loop: Header=BB214_13 Depth=1
	s_or_b32 exec_lo, exec_lo, s24
	v_cmp_ne_u16_sdwa s6, v20, v29 src0_sel:BYTE_1 src1_sel:DWORD
	s_and_saveexec_b32 s24, s6
	s_cbranch_execz .LBB214_674
; %bb.667:                              ;   in Loop: Header=BB214_13 Depth=1
	v_mov_b32_e32 v39, v29
	v_cmp_ne_u16_sdwa s6, v20, v108 src0_sel:BYTE_1 src1_sel:DWORD
	v_mov_b32_e32 v4, v39
	v_mov_b32_e32 v5, v40
	s_and_saveexec_b32 s25, s6
	s_cbranch_execz .LBB214_673
; %bb.668:                              ;   in Loop: Header=BB214_13 Depth=1
	v_mov_b32_e32 v4, 0xffff
	v_mov_b32_e32 v60, v29
	s_mov_b32 s26, exec_lo
	v_and_b32_sdwa v23, v4, v20 dst_sel:DWORD dst_unused:UNUSED_PAD src0_sel:DWORD src1_sel:BYTE_1
	v_mov_b32_e32 v4, v60
	v_mov_b32_e32 v5, v61
	v_and_b32_e32 v21, 0x7f, v23
	v_cmpx_ne_u32_e32 0x7f, v21
	s_cbranch_execz .LBB214_672
; %bb.669:                              ;   in Loop: Header=BB214_13 Depth=1
	v_and_b32_e32 v28, 7, v23
	v_lshrrev_b32_e32 v4, 3, v21
	s_mov_b32 s27, exec_lo
	v_cmpx_gt_u32_e32 8, v21
; %bb.670:                              ;   in Loop: Header=BB214_13 Depth=1
	v_ffbh_u32_e32 v4, v28
	v_min_u32_e32 v4, 32, v4
	v_subrev_nc_u32_e32 v5, 28, v4
	v_sub_nc_u32_e32 v4, 29, v4
	v_lshlrev_b64 v[23:24], v5, v[28:29]
	v_and_b32_e32 v28, 7, v23
; %bb.671:                              ;   in Loop: Header=BB214_13 Depth=1
	s_or_b32 exec_lo, exec_lo, s27
	v_lshlrev_b32_e32 v5, 16, v20
	v_lshlrev_b32_e32 v20, 20, v28
	v_lshl_add_u32 v4, v4, 23, 0x3c000000
	v_and_b32_e32 v5, 0x80000000, v5
	v_or3_b32 v5, v20, v5, v4
	v_mov_b32_e32 v4, v29
.LBB214_672:                            ;   in Loop: Header=BB214_13 Depth=1
	s_or_b32 exec_lo, exec_lo, s26
.LBB214_673:                            ;   in Loop: Header=BB214_13 Depth=1
	s_or_b32 exec_lo, exec_lo, s25
.LBB214_674:                            ;   in Loop: Header=BB214_13 Depth=1
	s_or_b32 exec_lo, exec_lo, s24
	buffer_load_dword v20, off, s[0:3], s32 offset:232 ; 4-byte Folded Reload
	v_mov_b32_e32 v76, 0
	v_mov_b32_e32 v77, 0
	s_waitcnt vmcnt(0)
	v_add_co_u32 v20, s6, v41, v20
	v_add_co_ci_u32_e64 v21, null, 0, v42, s6
	flat_load_ushort v20, v[20:21]
	s_waitcnt vmcnt(0) lgkmcnt(0)
	v_and_b32_e32 v23, 0xffff, v20
	v_cmp_ne_u16_sdwa s6, v20, v29 src0_sel:BYTE_0 src1_sel:DWORD
	v_mov_b32_e32 v20, 0
	v_mov_b32_e32 v21, 0
	s_and_saveexec_b32 s24, s6
	s_cbranch_execz .LBB214_682
; %bb.675:                              ;   in Loop: Header=BB214_13 Depth=1
	v_bfrev_b32_e32 v76, 1
	v_mov_b32_e32 v77, 0
	v_cmp_ne_u16_sdwa s6, v23, v108 src0_sel:BYTE_0 src1_sel:DWORD
	s_and_saveexec_b32 s25, s6
	s_cbranch_execz .LBB214_681
; %bb.676:                              ;   in Loop: Header=BB214_13 Depth=1
	v_mov_b32_e32 v76, 0x7f800001
	v_and_b32_e32 v25, 0x7f, v23
	v_mov_b32_e32 v77, 0
	s_mov_b32 s26, exec_lo
	v_cmpx_ne_u32_e32 0x7f, v25
	s_cbranch_execz .LBB214_680
; %bb.677:                              ;   in Loop: Header=BB214_13 Depth=1
	v_and_b32_e32 v28, 7, v23
	v_lshrrev_b32_e32 v24, 3, v25
	s_mov_b32 s27, exec_lo
	v_cmpx_gt_u32_e32 8, v25
; %bb.678:                              ;   in Loop: Header=BB214_13 Depth=1
	v_ffbh_u32_e32 v24, v28
	v_min_u32_e32 v24, 32, v24
	v_subrev_nc_u32_e32 v25, 28, v24
	v_sub_nc_u32_e32 v24, 29, v24
	v_lshlrev_b64 v[25:26], v25, v[28:29]
	v_and_b32_e32 v28, 7, v25
; %bb.679:                              ;   in Loop: Header=BB214_13 Depth=1
	s_or_b32 exec_lo, exec_lo, s27
	v_lshlrev_b32_e32 v25, 24, v23
	v_lshlrev_b32_e32 v26, 20, v28
	v_lshl_add_u32 v24, v24, 23, 0x3c000000
	v_and_b32_e32 v25, 0x80000000, v25
	v_or3_b32 v28, v26, v25, v24
	v_mov_b32_e32 v77, v29
	v_mov_b32_e32 v76, v28
.LBB214_680:                            ;   in Loop: Header=BB214_13 Depth=1
	s_or_b32 exec_lo, exec_lo, s26
.LBB214_681:                            ;   in Loop: Header=BB214_13 Depth=1
	s_or_b32 exec_lo, exec_lo, s25
.LBB214_682:                            ;   in Loop: Header=BB214_13 Depth=1
	s_or_b32 exec_lo, exec_lo, s24
	v_cmp_ne_u16_sdwa s6, v23, v29 src0_sel:BYTE_1 src1_sel:DWORD
	s_and_saveexec_b32 s24, s6
	s_cbranch_execz .LBB214_690
; %bb.683:                              ;   in Loop: Header=BB214_13 Depth=1
	v_mov_b32_e32 v39, v29
	v_cmp_ne_u16_sdwa s6, v23, v108 src0_sel:BYTE_1 src1_sel:DWORD
	v_mov_b32_e32 v20, v39
	v_mov_b32_e32 v21, v40
	s_and_saveexec_b32 s25, s6
	s_cbranch_execz .LBB214_689
; %bb.684:                              ;   in Loop: Header=BB214_13 Depth=1
	v_mov_b32_e32 v20, 0xffff
	v_mov_b32_e32 v60, v29
	s_mov_b32 s26, exec_lo
	v_and_b32_sdwa v25, v20, v23 dst_sel:DWORD dst_unused:UNUSED_PAD src0_sel:DWORD src1_sel:BYTE_1
	v_mov_b32_e32 v20, v60
	v_mov_b32_e32 v21, v61
	v_and_b32_e32 v24, 0x7f, v25
	v_cmpx_ne_u32_e32 0x7f, v24
	s_cbranch_execz .LBB214_688
; %bb.685:                              ;   in Loop: Header=BB214_13 Depth=1
	v_and_b32_e32 v28, 7, v25
	v_lshrrev_b32_e32 v20, 3, v24
	s_mov_b32 s27, exec_lo
	v_cmpx_gt_u32_e32 8, v24
; %bb.686:                              ;   in Loop: Header=BB214_13 Depth=1
	v_ffbh_u32_e32 v20, v28
	v_min_u32_e32 v20, 32, v20
	v_subrev_nc_u32_e32 v21, 28, v20
	v_sub_nc_u32_e32 v20, 29, v20
	v_lshlrev_b64 v[24:25], v21, v[28:29]
	v_and_b32_e32 v28, 7, v24
; %bb.687:                              ;   in Loop: Header=BB214_13 Depth=1
	s_or_b32 exec_lo, exec_lo, s27
	v_lshlrev_b32_e32 v21, 16, v23
	v_lshlrev_b32_e32 v23, 20, v28
	v_lshl_add_u32 v20, v20, 23, 0x3c000000
	v_and_b32_e32 v21, 0x80000000, v21
	v_or3_b32 v21, v23, v21, v20
	v_mov_b32_e32 v20, v29
.LBB214_688:                            ;   in Loop: Header=BB214_13 Depth=1
	s_or_b32 exec_lo, exec_lo, s26
.LBB214_689:                            ;   in Loop: Header=BB214_13 Depth=1
	s_or_b32 exec_lo, exec_lo, s25
.LBB214_690:                            ;   in Loop: Header=BB214_13 Depth=1
	s_or_b32 exec_lo, exec_lo, s24
	buffer_load_dword v23, off, s[0:3], s32 offset:236 ; 4-byte Folded Reload
	v_mov_b32_e32 v25, 0
	v_mov_b32_e32 v26, 0
	s_waitcnt vmcnt(0)
	v_add_co_u32 v23, s6, v41, v23
	v_add_co_ci_u32_e64 v24, null, 0, v42, s6
	flat_load_ushort v23, v[23:24]
	s_waitcnt vmcnt(0) lgkmcnt(0)
	v_and_b32_e32 v43, 0xffff, v23
	v_cmp_ne_u16_sdwa s6, v23, v29 src0_sel:BYTE_0 src1_sel:DWORD
	v_mov_b32_e32 v23, 0
	v_mov_b32_e32 v24, 0
	s_and_saveexec_b32 s24, s6
	s_cbranch_execz .LBB214_698
; %bb.691:                              ;   in Loop: Header=BB214_13 Depth=1
	v_bfrev_b32_e32 v25, 1
	v_mov_b32_e32 v26, 0
	v_cmp_ne_u16_sdwa s6, v43, v108 src0_sel:BYTE_0 src1_sel:DWORD
	s_and_saveexec_b32 s25, s6
	s_cbranch_execz .LBB214_697
; %bb.692:                              ;   in Loop: Header=BB214_13 Depth=1
	v_mov_b32_e32 v25, 0x7f800001
	v_and_b32_e32 v39, 0x7f, v43
	v_mov_b32_e32 v26, 0
	s_mov_b32 s26, exec_lo
	v_cmpx_ne_u32_e32 0x7f, v39
	s_cbranch_execz .LBB214_696
; %bb.693:                              ;   in Loop: Header=BB214_13 Depth=1
	v_and_b32_e32 v28, 7, v43
	v_lshrrev_b32_e32 v25, 3, v39
	s_mov_b32 s27, exec_lo
	v_cmpx_gt_u32_e32 8, v39
; %bb.694:                              ;   in Loop: Header=BB214_13 Depth=1
	v_ffbh_u32_e32 v25, v28
	v_min_u32_e32 v25, 32, v25
	v_subrev_nc_u32_e32 v26, 28, v25
	v_sub_nc_u32_e32 v25, 29, v25
	v_lshlrev_b64 v[44:45], v26, v[28:29]
	v_and_b32_e32 v28, 7, v44
; %bb.695:                              ;   in Loop: Header=BB214_13 Depth=1
	s_or_b32 exec_lo, exec_lo, s27
	v_lshlrev_b32_e32 v26, 24, v43
	v_lshlrev_b32_e32 v28, 20, v28
	v_lshl_add_u32 v25, v25, 23, 0x3c000000
	v_and_b32_e32 v26, 0x80000000, v26
	v_or3_b32 v28, v28, v26, v25
	v_mov_b32_e32 v25, v28
	v_mov_b32_e32 v26, v29
.LBB214_696:                            ;   in Loop: Header=BB214_13 Depth=1
	s_or_b32 exec_lo, exec_lo, s26
.LBB214_697:                            ;   in Loop: Header=BB214_13 Depth=1
	s_or_b32 exec_lo, exec_lo, s25
.LBB214_698:                            ;   in Loop: Header=BB214_13 Depth=1
	s_or_b32 exec_lo, exec_lo, s24
	v_cmp_ne_u16_sdwa s6, v43, v29 src0_sel:BYTE_1 src1_sel:DWORD
	s_and_saveexec_b32 s24, s6
	s_cbranch_execz .LBB214_706
; %bb.699:                              ;   in Loop: Header=BB214_13 Depth=1
	v_mov_b32_e32 v39, v29
	v_cmp_ne_u16_sdwa s6, v43, v108 src0_sel:BYTE_1 src1_sel:DWORD
	v_mov_b32_e32 v23, v39
	v_mov_b32_e32 v24, v40
	s_and_saveexec_b32 s25, s6
	s_cbranch_execz .LBB214_705
; %bb.700:                              ;   in Loop: Header=BB214_13 Depth=1
	v_mov_b32_e32 v23, 0xffff
	v_mov_b32_e32 v60, v29
	s_mov_b32 s26, exec_lo
	v_and_b32_sdwa v28, v23, v43 dst_sel:DWORD dst_unused:UNUSED_PAD src0_sel:DWORD src1_sel:BYTE_1
	v_mov_b32_e32 v23, v60
	v_mov_b32_e32 v24, v61
	v_and_b32_e32 v39, 0x7f, v28
	v_cmpx_ne_u32_e32 0x7f, v39
	s_cbranch_execz .LBB214_704
; %bb.701:                              ;   in Loop: Header=BB214_13 Depth=1
	v_and_b32_e32 v28, 7, v28
	v_lshrrev_b32_e32 v23, 3, v39
	s_mov_b32 s27, exec_lo
	v_cmpx_gt_u32_e32 8, v39
; %bb.702:                              ;   in Loop: Header=BB214_13 Depth=1
	v_ffbh_u32_e32 v23, v28
	v_min_u32_e32 v23, 32, v23
	v_subrev_nc_u32_e32 v24, 28, v23
	v_sub_nc_u32_e32 v23, 29, v23
	v_lshlrev_b64 v[44:45], v24, v[28:29]
	v_and_b32_e32 v28, 7, v44
; %bb.703:                              ;   in Loop: Header=BB214_13 Depth=1
	s_or_b32 exec_lo, exec_lo, s27
	v_lshlrev_b32_e32 v24, 16, v43
	v_lshlrev_b32_e32 v28, 20, v28
	v_lshl_add_u32 v23, v23, 23, 0x3c000000
	v_and_b32_e32 v24, 0x80000000, v24
	v_or3_b32 v24, v28, v24, v23
	v_mov_b32_e32 v23, v29
.LBB214_704:                            ;   in Loop: Header=BB214_13 Depth=1
	s_or_b32 exec_lo, exec_lo, s26
.LBB214_705:                            ;   in Loop: Header=BB214_13 Depth=1
	s_or_b32 exec_lo, exec_lo, s25
.LBB214_706:                            ;   in Loop: Header=BB214_13 Depth=1
	s_or_b32 exec_lo, exec_lo, s24
	buffer_load_dword v28, off, s[0:3], s32 offset:240 ; 4-byte Folded Reload
	v_mov_b32_e32 v74, 0
	v_mov_b32_e32 v43, 0
	;; [unrolled: 1-line block ×4, first 2 shown]
	s_waitcnt vmcnt(0)
	v_add_co_u32 v41, s6, v41, v28
	v_add_co_ci_u32_e64 v42, null, 0, v42, s6
	flat_load_ushort v28, v[41:42]
	s_waitcnt vmcnt(0) lgkmcnt(0)
	v_and_b32_e32 v41, 0xffff, v28
	v_cmp_ne_u16_sdwa s6, v28, v29 src0_sel:BYTE_0 src1_sel:DWORD
	s_and_saveexec_b32 s24, s6
	s_cbranch_execz .LBB214_714
; %bb.707:                              ;   in Loop: Header=BB214_13 Depth=1
	v_bfrev_b32_e32 v43, 1
	v_mov_b32_e32 v44, 0
	v_cmp_ne_u16_sdwa s6, v41, v108 src0_sel:BYTE_0 src1_sel:DWORD
	s_and_saveexec_b32 s25, s6
	s_cbranch_execz .LBB214_713
; %bb.708:                              ;   in Loop: Header=BB214_13 Depth=1
	v_mov_b32_e32 v43, 0x7f800001
	v_and_b32_e32 v42, 0x7f, v41
	v_mov_b32_e32 v44, 0
	s_mov_b32 s26, exec_lo
	v_cmpx_ne_u32_e32 0x7f, v42
	s_cbranch_execz .LBB214_712
; %bb.709:                              ;   in Loop: Header=BB214_13 Depth=1
	v_and_b32_e32 v28, 7, v41
	v_lshrrev_b32_e32 v39, 3, v42
	s_mov_b32 s27, exec_lo
	v_cmpx_gt_u32_e32 8, v42
; %bb.710:                              ;   in Loop: Header=BB214_13 Depth=1
	v_ffbh_u32_e32 v39, v28
	v_min_u32_e32 v39, 32, v39
	v_subrev_nc_u32_e32 v42, 28, v39
	v_sub_nc_u32_e32 v39, 29, v39
	v_lshlrev_b64 v[42:43], v42, v[28:29]
	v_and_b32_e32 v28, 7, v42
; %bb.711:                              ;   in Loop: Header=BB214_13 Depth=1
	s_or_b32 exec_lo, exec_lo, s27
	v_lshlrev_b32_e32 v42, 24, v41
	v_lshlrev_b32_e32 v28, 20, v28
	v_lshl_add_u32 v39, v39, 23, 0x3c000000
	v_and_b32_e32 v42, 0x80000000, v42
	v_or3_b32 v28, v28, v42, v39
	v_mov_b32_e32 v44, v29
	v_mov_b32_e32 v43, v28
.LBB214_712:                            ;   in Loop: Header=BB214_13 Depth=1
	s_or_b32 exec_lo, exec_lo, s26
.LBB214_713:                            ;   in Loop: Header=BB214_13 Depth=1
	s_or_b32 exec_lo, exec_lo, s25
.LBB214_714:                            ;   in Loop: Header=BB214_13 Depth=1
	s_or_b32 exec_lo, exec_lo, s24
	v_cmp_ne_u16_sdwa s6, v41, v29 src0_sel:BYTE_1 src1_sel:DWORD
	s_and_saveexec_b32 s24, s6
	s_cbranch_execz .LBB214_722
; %bb.715:                              ;   in Loop: Header=BB214_13 Depth=1
	v_mov_b32_e32 v39, v29
	v_mov_b32_e32 v75, v40
	v_cmp_ne_u16_sdwa s6, v41, v108 src0_sel:BYTE_1 src1_sel:DWORD
	v_mov_b32_e32 v74, v39
	s_and_saveexec_b32 s25, s6
	s_cbranch_execz .LBB214_721
; %bb.716:                              ;   in Loop: Header=BB214_13 Depth=1
	v_mov_b32_e32 v28, 0xffff
	v_mov_b32_e32 v60, v29
	v_mov_b32_e32 v75, v61
	s_mov_b32 s26, exec_lo
	v_and_b32_sdwa v28, v28, v41 dst_sel:DWORD dst_unused:UNUSED_PAD src0_sel:DWORD src1_sel:BYTE_1
	v_mov_b32_e32 v74, v60
	v_and_b32_e32 v42, 0x7f, v28
	v_cmpx_ne_u32_e32 0x7f, v42
	s_cbranch_execz .LBB214_720
; %bb.717:                              ;   in Loop: Header=BB214_13 Depth=1
	v_and_b32_e32 v28, 7, v28
	v_lshrrev_b32_e32 v39, 3, v42
	s_mov_b32 s27, exec_lo
	v_cmpx_gt_u32_e32 8, v42
; %bb.718:                              ;   in Loop: Header=BB214_13 Depth=1
	v_ffbh_u32_e32 v39, v28
	v_min_u32_e32 v39, 32, v39
	v_subrev_nc_u32_e32 v42, 28, v39
	v_sub_nc_u32_e32 v39, 29, v39
	v_lshlrev_b64 v[45:46], v42, v[28:29]
	v_and_b32_e32 v28, 7, v45
; %bb.719:                              ;   in Loop: Header=BB214_13 Depth=1
	s_or_b32 exec_lo, exec_lo, s27
	v_lshlrev_b32_e32 v41, 16, v41
	v_lshlrev_b32_e32 v28, 20, v28
	v_lshl_add_u32 v39, v39, 23, 0x3c000000
	v_mov_b32_e32 v74, v29
	v_and_b32_e32 v41, 0x80000000, v41
	v_or3_b32 v75, v28, v41, v39
.LBB214_720:                            ;   in Loop: Header=BB214_13 Depth=1
	s_or_b32 exec_lo, exec_lo, s26
.LBB214_721:                            ;   in Loop: Header=BB214_13 Depth=1
	s_or_b32 exec_lo, exec_lo, s25
.LBB214_722:                            ;   in Loop: Header=BB214_13 Depth=1
	s_or_b32 exec_lo, exec_lo, s24
	v_add_co_u32 v62, s6, 0xb00, v90
	v_add_co_ci_u32_e64 v63, null, 0, v91, s6
	v_mov_b32_e32 v58, 0
	v_add_co_u32 v41, s6, v62, v125
	v_add_co_ci_u32_e64 v42, null, 0, v63, s6
	v_mov_b32_e32 v90, 0
	v_mov_b32_e32 v59, 0
	;; [unrolled: 1-line block ×3, first 2 shown]
	flat_load_ushort v28, v[41:42]
	s_waitcnt vmcnt(0) lgkmcnt(0)
	v_and_b32_e32 v41, 0xffff, v28
	v_cmp_ne_u16_sdwa s6, v28, v29 src0_sel:BYTE_0 src1_sel:DWORD
	s_and_saveexec_b32 s24, s6
	s_cbranch_execz .LBB214_730
; %bb.723:                              ;   in Loop: Header=BB214_13 Depth=1
	v_bfrev_b32_e32 v90, 1
	v_mov_b32_e32 v91, 0
	v_cmp_ne_u16_sdwa s6, v41, v108 src0_sel:BYTE_0 src1_sel:DWORD
	s_and_saveexec_b32 s25, s6
	s_cbranch_execz .LBB214_729
; %bb.724:                              ;   in Loop: Header=BB214_13 Depth=1
	v_mov_b32_e32 v90, 0x7f800001
	v_and_b32_e32 v42, 0x7f, v41
	v_mov_b32_e32 v91, 0
	s_mov_b32 s26, exec_lo
	v_cmpx_ne_u32_e32 0x7f, v42
	s_cbranch_execz .LBB214_728
; %bb.725:                              ;   in Loop: Header=BB214_13 Depth=1
	v_and_b32_e32 v28, 7, v41
	v_lshrrev_b32_e32 v39, 3, v42
	s_mov_b32 s27, exec_lo
	v_cmpx_gt_u32_e32 8, v42
; %bb.726:                              ;   in Loop: Header=BB214_13 Depth=1
	v_ffbh_u32_e32 v39, v28
	v_min_u32_e32 v39, 32, v39
	v_subrev_nc_u32_e32 v42, 28, v39
	v_sub_nc_u32_e32 v39, 29, v39
	v_lshlrev_b64 v[45:46], v42, v[28:29]
	v_and_b32_e32 v28, 7, v45
; %bb.727:                              ;   in Loop: Header=BB214_13 Depth=1
	s_or_b32 exec_lo, exec_lo, s27
	v_lshlrev_b32_e32 v42, 24, v41
	v_lshlrev_b32_e32 v28, 20, v28
	v_lshl_add_u32 v39, v39, 23, 0x3c000000
	v_and_b32_e32 v42, 0x80000000, v42
	v_or3_b32 v28, v28, v42, v39
	v_mov_b32_e32 v91, v29
	v_mov_b32_e32 v90, v28
.LBB214_728:                            ;   in Loop: Header=BB214_13 Depth=1
	s_or_b32 exec_lo, exec_lo, s26
.LBB214_729:                            ;   in Loop: Header=BB214_13 Depth=1
	s_or_b32 exec_lo, exec_lo, s25
.LBB214_730:                            ;   in Loop: Header=BB214_13 Depth=1
	s_or_b32 exec_lo, exec_lo, s24
	v_cmp_ne_u16_sdwa s6, v41, v29 src0_sel:BYTE_1 src1_sel:DWORD
	s_and_saveexec_b32 s24, s6
	s_cbranch_execz .LBB214_738
; %bb.731:                              ;   in Loop: Header=BB214_13 Depth=1
	v_mov_b32_e32 v39, v29
	v_mov_b32_e32 v59, v40
	v_cmp_ne_u16_sdwa s6, v41, v108 src0_sel:BYTE_1 src1_sel:DWORD
	v_mov_b32_e32 v58, v39
	s_and_saveexec_b32 s25, s6
	s_cbranch_execz .LBB214_737
; %bb.732:                              ;   in Loop: Header=BB214_13 Depth=1
	v_mov_b32_e32 v28, 0xffff
	v_mov_b32_e32 v60, v29
	s_mov_b32 s26, exec_lo
	v_and_b32_sdwa v28, v28, v41 dst_sel:DWORD dst_unused:UNUSED_PAD src0_sel:DWORD src1_sel:BYTE_1
	v_mov_b32_e32 v58, v60
	v_mov_b32_e32 v59, v61
	v_and_b32_e32 v42, 0x7f, v28
	v_cmpx_ne_u32_e32 0x7f, v42
	s_cbranch_execz .LBB214_736
; %bb.733:                              ;   in Loop: Header=BB214_13 Depth=1
	v_and_b32_e32 v28, 7, v28
	v_lshrrev_b32_e32 v39, 3, v42
	s_mov_b32 s27, exec_lo
	v_cmpx_gt_u32_e32 8, v42
; %bb.734:                              ;   in Loop: Header=BB214_13 Depth=1
	v_ffbh_u32_e32 v39, v28
	v_min_u32_e32 v39, 32, v39
	v_subrev_nc_u32_e32 v42, 28, v39
	v_sub_nc_u32_e32 v39, 29, v39
	v_lshlrev_b64 v[45:46], v42, v[28:29]
	v_and_b32_e32 v28, 7, v45
; %bb.735:                              ;   in Loop: Header=BB214_13 Depth=1
	s_or_b32 exec_lo, exec_lo, s27
	v_lshlrev_b32_e32 v41, 16, v41
	v_lshlrev_b32_e32 v28, 20, v28
	v_lshl_add_u32 v39, v39, 23, 0x3c000000
	v_mov_b32_e32 v58, v29
	v_and_b32_e32 v41, 0x80000000, v41
	v_or3_b32 v59, v28, v41, v39
.LBB214_736:                            ;   in Loop: Header=BB214_13 Depth=1
	s_or_b32 exec_lo, exec_lo, s26
.LBB214_737:                            ;   in Loop: Header=BB214_13 Depth=1
	s_or_b32 exec_lo, exec_lo, s25
.LBB214_738:                            ;   in Loop: Header=BB214_13 Depth=1
	s_or_b32 exec_lo, exec_lo, s24
	buffer_load_dword v28, off, s[0:3], s32 offset:232 ; 4-byte Folded Reload
	v_mov_b32_e32 v45, 0
	v_mov_b32_e32 v46, 0
	s_waitcnt vmcnt(0)
	v_add_co_u32 v41, s6, v62, v28
	v_add_co_ci_u32_e64 v42, null, 0, v63, s6
	flat_load_ushort v28, v[41:42]
	v_mov_b32_e32 v41, 0
	v_mov_b32_e32 v42, 0
	s_waitcnt vmcnt(0) lgkmcnt(0)
	v_and_b32_e32 v56, 0xffff, v28
	v_cmp_ne_u16_sdwa s6, v28, v29 src0_sel:BYTE_0 src1_sel:DWORD
	s_and_saveexec_b32 s24, s6
	s_cbranch_execz .LBB214_746
; %bb.739:                              ;   in Loop: Header=BB214_13 Depth=1
	v_bfrev_b32_e32 v45, 1
	v_mov_b32_e32 v46, 0
	v_cmp_ne_u16_sdwa s6, v56, v108 src0_sel:BYTE_0 src1_sel:DWORD
	s_and_saveexec_b32 s25, s6
	s_cbranch_execz .LBB214_745
; %bb.740:                              ;   in Loop: Header=BB214_13 Depth=1
	v_mov_b32_e32 v45, 0x7f800001
	v_and_b32_e32 v57, 0x7f, v56
	v_mov_b32_e32 v46, 0
	s_mov_b32 s26, exec_lo
	v_cmpx_ne_u32_e32 0x7f, v57
	s_cbranch_execz .LBB214_744
; %bb.741:                              ;   in Loop: Header=BB214_13 Depth=1
	v_and_b32_e32 v28, 7, v56
	v_lshrrev_b32_e32 v39, 3, v57
	s_mov_b32 s27, exec_lo
	v_cmpx_gt_u32_e32 8, v57
; %bb.742:                              ;   in Loop: Header=BB214_13 Depth=1
	v_ffbh_u32_e32 v39, v28
	v_min_u32_e32 v39, 32, v39
	v_subrev_nc_u32_e32 v45, 28, v39
	v_sub_nc_u32_e32 v39, 29, v39
	v_lshlrev_b64 v[45:46], v45, v[28:29]
	v_and_b32_e32 v28, 7, v45
; %bb.743:                              ;   in Loop: Header=BB214_13 Depth=1
	s_or_b32 exec_lo, exec_lo, s27
	v_lshlrev_b32_e32 v45, 24, v56
	v_lshlrev_b32_e32 v28, 20, v28
	v_lshl_add_u32 v39, v39, 23, 0x3c000000
	v_and_b32_e32 v45, 0x80000000, v45
	v_or3_b32 v28, v28, v45, v39
	v_mov_b32_e32 v46, v29
	v_mov_b32_e32 v45, v28
.LBB214_744:                            ;   in Loop: Header=BB214_13 Depth=1
	s_or_b32 exec_lo, exec_lo, s26
.LBB214_745:                            ;   in Loop: Header=BB214_13 Depth=1
	s_or_b32 exec_lo, exec_lo, s25
.LBB214_746:                            ;   in Loop: Header=BB214_13 Depth=1
	s_or_b32 exec_lo, exec_lo, s24
	v_cmp_ne_u16_sdwa s6, v56, v29 src0_sel:BYTE_1 src1_sel:DWORD
	s_and_saveexec_b32 s24, s6
	s_cbranch_execz .LBB214_754
; %bb.747:                              ;   in Loop: Header=BB214_13 Depth=1
	v_mov_b32_e32 v39, v29
	v_mov_b32_e32 v42, v40
	v_cmp_ne_u16_sdwa s6, v56, v108 src0_sel:BYTE_1 src1_sel:DWORD
	v_mov_b32_e32 v41, v39
	s_and_saveexec_b32 s25, s6
	s_cbranch_execz .LBB214_753
; %bb.748:                              ;   in Loop: Header=BB214_13 Depth=1
	v_mov_b32_e32 v28, 0xffff
	v_mov_b32_e32 v60, v29
	s_mov_b32 s26, exec_lo
	v_and_b32_sdwa v28, v28, v56 dst_sel:DWORD dst_unused:UNUSED_PAD src0_sel:DWORD src1_sel:BYTE_1
	v_mov_b32_e32 v41, v60
	v_mov_b32_e32 v42, v61
	v_and_b32_e32 v57, 0x7f, v28
	v_cmpx_ne_u32_e32 0x7f, v57
	s_cbranch_execz .LBB214_752
; %bb.749:                              ;   in Loop: Header=BB214_13 Depth=1
	v_and_b32_e32 v28, 7, v28
	v_lshrrev_b32_e32 v39, 3, v57
	s_mov_b32 s27, exec_lo
	v_cmpx_gt_u32_e32 8, v57
; %bb.750:                              ;   in Loop: Header=BB214_13 Depth=1
	v_ffbh_u32_e32 v39, v28
	v_min_u32_e32 v39, 32, v39
	v_subrev_nc_u32_e32 v41, 28, v39
	v_sub_nc_u32_e32 v39, 29, v39
	v_lshlrev_b64 v[41:42], v41, v[28:29]
	v_and_b32_e32 v28, 7, v41
; %bb.751:                              ;   in Loop: Header=BB214_13 Depth=1
	s_or_b32 exec_lo, exec_lo, s27
	v_lshlrev_b32_e32 v41, 16, v56
	v_lshlrev_b32_e32 v28, 20, v28
	v_lshl_add_u32 v39, v39, 23, 0x3c000000
	v_and_b32_e32 v41, 0x80000000, v41
	v_or3_b32 v42, v28, v41, v39
	v_mov_b32_e32 v41, v29
.LBB214_752:                            ;   in Loop: Header=BB214_13 Depth=1
	s_or_b32 exec_lo, exec_lo, s26
.LBB214_753:                            ;   in Loop: Header=BB214_13 Depth=1
	s_or_b32 exec_lo, exec_lo, s25
.LBB214_754:                            ;   in Loop: Header=BB214_13 Depth=1
	s_or_b32 exec_lo, exec_lo, s24
	buffer_load_dword v28, off, s[0:3], s32 offset:236 ; 4-byte Folded Reload
	v_mov_b32_e32 v92, 0
	v_mov_b32_e32 v93, 0
	s_waitcnt vmcnt(0)
	v_add_co_u32 v56, s6, v62, v28
	v_add_co_ci_u32_e64 v57, null, 0, v63, s6
	flat_load_ushort v28, v[56:57]
	v_mov_b32_e32 v56, 0
	v_mov_b32_e32 v57, 0
	s_waitcnt vmcnt(0) lgkmcnt(0)
	v_and_b32_e32 v78, 0xffff, v28
	v_cmp_ne_u16_sdwa s6, v28, v29 src0_sel:BYTE_0 src1_sel:DWORD
	s_and_saveexec_b32 s24, s6
	s_cbranch_execz .LBB214_762
; %bb.755:                              ;   in Loop: Header=BB214_13 Depth=1
	v_bfrev_b32_e32 v92, 1
	v_mov_b32_e32 v93, 0
	v_cmp_ne_u16_sdwa s6, v78, v108 src0_sel:BYTE_0 src1_sel:DWORD
	s_and_saveexec_b32 s25, s6
	s_cbranch_execz .LBB214_761
; %bb.756:                              ;   in Loop: Header=BB214_13 Depth=1
	v_mov_b32_e32 v92, 0x7f800001
	v_and_b32_e32 v60, 0x7f, v78
	v_mov_b32_e32 v93, 0
	s_mov_b32 s26, exec_lo
	v_cmpx_ne_u32_e32 0x7f, v60
	s_cbranch_execz .LBB214_760
; %bb.757:                              ;   in Loop: Header=BB214_13 Depth=1
	v_and_b32_e32 v28, 7, v78
	v_lshrrev_b32_e32 v39, 3, v60
	s_mov_b32 s27, exec_lo
	v_cmpx_gt_u32_e32 8, v60
; %bb.758:                              ;   in Loop: Header=BB214_13 Depth=1
	v_ffbh_u32_e32 v39, v28
	v_min_u32_e32 v39, 32, v39
	v_subrev_nc_u32_e32 v60, 28, v39
	v_sub_nc_u32_e32 v39, 29, v39
	v_lshlrev_b64 v[92:93], v60, v[28:29]
	v_and_b32_e32 v28, 7, v92
; %bb.759:                              ;   in Loop: Header=BB214_13 Depth=1
	s_or_b32 exec_lo, exec_lo, s27
	v_lshlrev_b32_e32 v60, 24, v78
	v_lshlrev_b32_e32 v28, 20, v28
	v_lshl_add_u32 v39, v39, 23, 0x3c000000
	v_and_b32_e32 v60, 0x80000000, v60
	v_or3_b32 v28, v28, v60, v39
	v_mov_b32_e32 v93, v29
	v_mov_b32_e32 v92, v28
.LBB214_760:                            ;   in Loop: Header=BB214_13 Depth=1
	s_or_b32 exec_lo, exec_lo, s26
.LBB214_761:                            ;   in Loop: Header=BB214_13 Depth=1
	s_or_b32 exec_lo, exec_lo, s25
.LBB214_762:                            ;   in Loop: Header=BB214_13 Depth=1
	s_or_b32 exec_lo, exec_lo, s24
	v_cmp_ne_u16_sdwa s6, v78, v29 src0_sel:BYTE_1 src1_sel:DWORD
	s_and_saveexec_b32 s24, s6
	s_cbranch_execz .LBB214_770
; %bb.763:                              ;   in Loop: Header=BB214_13 Depth=1
	v_mov_b32_e32 v39, v29
	v_mov_b32_e32 v57, v40
	v_cmp_ne_u16_sdwa s6, v78, v108 src0_sel:BYTE_1 src1_sel:DWORD
	v_mov_b32_e32 v56, v39
	s_and_saveexec_b32 s25, s6
	s_cbranch_execz .LBB214_769
; %bb.764:                              ;   in Loop: Header=BB214_13 Depth=1
	v_mov_b32_e32 v28, 0xffff
	v_mov_b32_e32 v60, v29
	s_mov_b32 s26, exec_lo
	v_and_b32_sdwa v28, v28, v78 dst_sel:DWORD dst_unused:UNUSED_PAD src0_sel:DWORD src1_sel:BYTE_1
	v_mov_b32_e32 v56, v60
	v_mov_b32_e32 v57, v61
	v_and_b32_e32 v79, 0x7f, v28
	v_cmpx_ne_u32_e32 0x7f, v79
	s_cbranch_execz .LBB214_768
; %bb.765:                              ;   in Loop: Header=BB214_13 Depth=1
	v_and_b32_e32 v28, 7, v28
	v_lshrrev_b32_e32 v39, 3, v79
	s_mov_b32 s27, exec_lo
	v_cmpx_gt_u32_e32 8, v79
; %bb.766:                              ;   in Loop: Header=BB214_13 Depth=1
	v_ffbh_u32_e32 v39, v28
	v_min_u32_e32 v39, 32, v39
	v_subrev_nc_u32_e32 v56, 28, v39
	v_sub_nc_u32_e32 v39, 29, v39
	v_lshlrev_b64 v[56:57], v56, v[28:29]
	v_and_b32_e32 v28, 7, v56
; %bb.767:                              ;   in Loop: Header=BB214_13 Depth=1
	s_or_b32 exec_lo, exec_lo, s27
	v_lshlrev_b32_e32 v56, 16, v78
	v_lshlrev_b32_e32 v28, 20, v28
	v_lshl_add_u32 v39, v39, 23, 0x3c000000
	v_and_b32_e32 v56, 0x80000000, v56
	v_or3_b32 v57, v28, v56, v39
	v_mov_b32_e32 v56, v29
.LBB214_768:                            ;   in Loop: Header=BB214_13 Depth=1
	s_or_b32 exec_lo, exec_lo, s26
.LBB214_769:                            ;   in Loop: Header=BB214_13 Depth=1
	s_or_b32 exec_lo, exec_lo, s25
.LBB214_770:                            ;   in Loop: Header=BB214_13 Depth=1
	s_or_b32 exec_lo, exec_lo, s24
	buffer_load_dword v28, off, s[0:3], s32 offset:240 ; 4-byte Folded Reload
	v_mov_b32_e32 v78, 0
	v_mov_b32_e32 v79, 0
	s_waitcnt vmcnt(0)
	v_add_co_u32 v62, s6, v62, v28
	v_add_co_ci_u32_e64 v63, null, 0, v63, s6
	flat_load_ushort v28, v[62:63]
	v_mov_b32_e32 v62, 0
	v_mov_b32_e32 v63, 0
	s_waitcnt vmcnt(0) lgkmcnt(0)
	v_and_b32_e32 v105, 0xffff, v28
	v_cmp_ne_u16_sdwa s6, v28, v29 src0_sel:BYTE_0 src1_sel:DWORD
	s_and_saveexec_b32 s24, s6
	s_cbranch_execz .LBB214_778
; %bb.771:                              ;   in Loop: Header=BB214_13 Depth=1
	v_bfrev_b32_e32 v78, 1
	v_mov_b32_e32 v79, 0
	v_cmp_ne_u16_sdwa s6, v105, v108 src0_sel:BYTE_0 src1_sel:DWORD
	s_and_saveexec_b32 s25, s6
	s_cbranch_execz .LBB214_777
; %bb.772:                              ;   in Loop: Header=BB214_13 Depth=1
	v_mov_b32_e32 v78, 0x7f800001
	v_and_b32_e32 v60, 0x7f, v105
	v_mov_b32_e32 v79, 0
	s_mov_b32 s26, exec_lo
	v_cmpx_ne_u32_e32 0x7f, v60
	s_cbranch_execz .LBB214_776
; %bb.773:                              ;   in Loop: Header=BB214_13 Depth=1
	v_and_b32_e32 v28, 7, v105
	v_lshrrev_b32_e32 v39, 3, v60
	s_mov_b32 s27, exec_lo
	v_cmpx_gt_u32_e32 8, v60
; %bb.774:                              ;   in Loop: Header=BB214_13 Depth=1
	v_ffbh_u32_e32 v39, v28
	v_min_u32_e32 v39, 32, v39
	v_subrev_nc_u32_e32 v60, 28, v39
	v_sub_nc_u32_e32 v39, 29, v39
	v_lshlrev_b64 v[78:79], v60, v[28:29]
	v_and_b32_e32 v28, 7, v78
; %bb.775:                              ;   in Loop: Header=BB214_13 Depth=1
	s_or_b32 exec_lo, exec_lo, s27
	v_lshlrev_b32_e32 v60, 24, v105
	v_lshlrev_b32_e32 v28, 20, v28
	v_lshl_add_u32 v39, v39, 23, 0x3c000000
	v_and_b32_e32 v60, 0x80000000, v60
	v_or3_b32 v28, v28, v60, v39
	v_mov_b32_e32 v79, v29
	v_mov_b32_e32 v78, v28
.LBB214_776:                            ;   in Loop: Header=BB214_13 Depth=1
	s_or_b32 exec_lo, exec_lo, s26
.LBB214_777:                            ;   in Loop: Header=BB214_13 Depth=1
	s_or_b32 exec_lo, exec_lo, s25
.LBB214_778:                            ;   in Loop: Header=BB214_13 Depth=1
	s_or_b32 exec_lo, exec_lo, s24
	v_cmp_ne_u16_sdwa s6, v105, v29 src0_sel:BYTE_1 src1_sel:DWORD
	s_and_saveexec_b32 s24, s6
	s_cbranch_execz .LBB214_786
; %bb.779:                              ;   in Loop: Header=BB214_13 Depth=1
	v_mov_b32_e32 v39, v29
	v_mov_b32_e32 v63, v40
	v_cmp_ne_u16_sdwa s6, v105, v108 src0_sel:BYTE_1 src1_sel:DWORD
	v_mov_b32_e32 v62, v39
	s_and_saveexec_b32 s25, s6
	s_cbranch_execz .LBB214_785
; %bb.780:                              ;   in Loop: Header=BB214_13 Depth=1
	v_mov_b32_e32 v28, 0xffff
	v_mov_b32_e32 v60, v29
	;; [unrolled: 1-line block ×5, first 2 shown]
	v_and_b32_sdwa v28, v28, v105 dst_sel:DWORD dst_unused:UNUSED_PAD src0_sel:DWORD src1_sel:BYTE_1
	v_mov_b32_e32 v62, v60
	s_mov_b32 s26, exec_lo
	v_and_b32_e32 v120, 0x7f, v28
	v_cmpx_ne_u32_e32 0x7f, v120
	s_cbranch_execz .LBB214_784
; %bb.781:                              ;   in Loop: Header=BB214_13 Depth=1
	v_and_b32_e32 v28, 7, v28
	v_lshrrev_b32_e32 v39, 3, v120
	s_mov_b32 s27, exec_lo
	v_cmpx_gt_u32_e32 8, v120
; %bb.782:                              ;   in Loop: Header=BB214_13 Depth=1
	v_ffbh_u32_e32 v39, v28
	v_min_u32_e32 v39, 32, v39
	v_subrev_nc_u32_e32 v60, 28, v39
	v_sub_nc_u32_e32 v39, 29, v39
	v_lshlrev_b64 v[62:63], v60, v[28:29]
	v_and_b32_e32 v28, 7, v62
; %bb.783:                              ;   in Loop: Header=BB214_13 Depth=1
	s_or_b32 exec_lo, exec_lo, s27
	v_lshlrev_b32_e32 v60, 16, v105
	v_lshlrev_b32_e32 v28, 20, v28
	v_lshl_add_u32 v39, v39, 23, 0x3c000000
	v_mov_b32_e32 v62, v29
	v_and_b32_e32 v60, 0x80000000, v60
	v_or3_b32 v63, v28, v60, v39
.LBB214_784:                            ;   in Loop: Header=BB214_13 Depth=1
	s_or_b32 exec_lo, exec_lo, s26
	v_mov_b32_e32 v121, v17
	v_mov_b32_e32 v120, v16
.LBB214_785:                            ;   in Loop: Header=BB214_13 Depth=1
	s_or_b32 exec_lo, exec_lo, s25
.LBB214_786:                            ;   in Loop: Header=BB214_13 Depth=1
	s_or_b32 exec_lo, exec_lo, s24
	s_clause 0x1
	buffer_load_dword v16, off, s[0:3], s32 offset:252
	buffer_load_dword v17, off, s[0:3], s32 offset:256
	v_or_b32_e32 v116, v0, v116
	v_or_b32_e32 v0, v35, v33
	;; [unrolled: 1-line block ×6, first 2 shown]
	v_mul_f32_e32 v0, v104, v0
	v_or_b32_e32 v35, v64, v54
	v_or_b32_e32 v51, v69, v123
	;; [unrolled: 1-line block ×3, first 2 shown]
	v_mul_f32_e32 v26, v104, v26
	v_or_b32_e32 v14, v100, v98
	v_mul_f32_e32 v35, v104, v35
	v_or_b32_e32 v10, v10, v102
	v_or_b32_e32 v4, v4, v126
	;; [unrolled: 1-line block ×3, first 2 shown]
	v_mul_f32_e32 v14, v104, v14
	v_mul_f32_e32 v4, v104, v4
	;; [unrolled: 1-line block ×3, first 2 shown]
	s_waitcnt vmcnt(1)
	v_or_b32_e32 v28, v16, v120
	s_waitcnt vmcnt(0)
	v_or_b32_e32 v39, v17, v121
	s_clause 0x1
	buffer_load_dword v16, off, s[0:3], s32 offset:244
	buffer_load_dword v17, off, s[0:3], s32 offset:248
	v_mul_f32_e32 v28, v104, v28
	v_mul_f32_e32 v39, v104, v39
	s_waitcnt vmcnt(1)
	v_or_b32_e32 v105, v18, v16
	s_waitcnt vmcnt(0)
	v_or_b32_e32 v60, v19, v17
	s_clause 0x3
	buffer_load_dword v16, off, s[0:3], s32 offset:764
	buffer_load_dword v17, off, s[0:3], s32 offset:768
	buffer_load_dword v18, off, s[0:3], s32 offset:772
	buffer_load_dword v19, off, s[0:3], s32 offset:776
	v_mul_f32_e32 v105, v104, v105
	v_mul_f32_e32 v60, v104, v60
	s_waitcnt vmcnt(1)
	v_mul_f32_e32 v28, v18, v28
	s_waitcnt vmcnt(0)
	v_mul_f32_e32 v39, v19, v39
	v_fmac_f32_e32 v28, v16, v105
	v_fmac_f32_e32 v39, v17, v60
	s_clause 0x3
	buffer_load_dword v16, off, s[0:3], s32 offset:268
	buffer_load_dword v17, off, s[0:3], s32 offset:272
	;; [unrolled: 1-line block ×4, first 2 shown]
	s_waitcnt vmcnt(1)
	v_or_b32_e32 v105, v18, v16
	s_waitcnt vmcnt(0)
	v_or_b32_e32 v60, v19, v17
	s_clause 0x1
	buffer_load_dword v16, off, s[0:3], s32 offset:260
	buffer_load_dword v17, off, s[0:3], s32 offset:264
	v_mul_f32_e32 v105, v104, v105
	v_mul_f32_e32 v60, v104, v60
	s_waitcnt vmcnt(1)
	v_or_b32_e32 v120, v16, v112
	s_waitcnt vmcnt(0)
	v_or_b32_e32 v121, v17, v113
	s_clause 0x3
	buffer_load_dword v16, off, s[0:3], s32 offset:780
	buffer_load_dword v17, off, s[0:3], s32 offset:784
	buffer_load_dword v18, off, s[0:3], s32 offset:788
	buffer_load_dword v19, off, s[0:3], s32 offset:792
	v_mul_f32_e32 v120, v104, v120
	s_waitcnt vmcnt(3)
	v_fmac_f32_e32 v28, v16, v120
	v_mul_f32_e32 v120, v104, v121
	s_waitcnt vmcnt(1)
	v_fmac_f32_e32 v28, v18, v105
	v_fmac_f32_e32 v39, v17, v120
	s_waitcnt vmcnt(0)
	v_fmac_f32_e32 v39, v19, v60
	s_clause 0x3
	buffer_load_dword v16, off, s[0:3], s32 offset:300
	buffer_load_dword v17, off, s[0:3], s32 offset:304
	buffer_load_dword v18, off, s[0:3], s32 offset:308
	buffer_load_dword v19, off, s[0:3], s32 offset:312
	s_waitcnt vmcnt(1)
	v_or_b32_e32 v105, v18, v16
	s_waitcnt vmcnt(0)
	v_or_b32_e32 v60, v19, v17
	s_clause 0x3
	buffer_load_dword v16, off, s[0:3], s32 offset:284
	buffer_load_dword v17, off, s[0:3], s32 offset:288
	buffer_load_dword v18, off, s[0:3], s32 offset:292
	buffer_load_dword v19, off, s[0:3], s32 offset:296
	v_mul_f32_e32 v105, v104, v105
	v_mul_f32_e32 v60, v104, v60
	s_waitcnt vmcnt(1)
	v_or_b32_e32 v120, v18, v16
	s_waitcnt vmcnt(0)
	v_or_b32_e32 v121, v19, v17
	s_clause 0x3
	buffer_load_dword v16, off, s[0:3], s32 offset:732
	buffer_load_dword v17, off, s[0:3], s32 offset:736
	buffer_load_dword v18, off, s[0:3], s32 offset:740
	buffer_load_dword v19, off, s[0:3], s32 offset:744
	v_mul_f32_e32 v120, v104, v120
	s_waitcnt vmcnt(3)
	v_fmac_f32_e32 v28, v16, v120
	v_mul_f32_e32 v120, v104, v121
	s_waitcnt vmcnt(1)
	v_fmac_f32_e32 v28, v18, v105
	v_fmac_f32_e32 v39, v17, v120
	s_waitcnt vmcnt(0)
	v_fmac_f32_e32 v39, v19, v60
	s_clause 0x3
	buffer_load_dword v16, off, s[0:3], s32 offset:332
	buffer_load_dword v17, off, s[0:3], s32 offset:336
	buffer_load_dword v18, off, s[0:3], s32 offset:340
	buffer_load_dword v19, off, s[0:3], s32 offset:344
	s_waitcnt vmcnt(1)
	v_or_b32_e32 v105, v18, v16
	s_waitcnt vmcnt(0)
	v_or_b32_e32 v60, v19, v17
	s_clause 0x3
	buffer_load_dword v16, off, s[0:3], s32 offset:316
	buffer_load_dword v17, off, s[0:3], s32 offset:320
	;; [unrolled: 34-line block ×9, first 2 shown]
	v_mul_f32_e32 v112, v104, v112
	s_waitcnt vmcnt(1)
	v_or_b32_e32 v60, v94, v16
	s_waitcnt vmcnt(0)
	v_or_b32_e32 v94, v95, v17
	s_clause 0x3
	buffer_load_dword v16, off, s[0:3], s32 offset:620
	buffer_load_dword v17, off, s[0:3], s32 offset:624
	buffer_load_dword v18, off, s[0:3], s32 offset:628
	buffer_load_dword v19, off, s[0:3], s32 offset:632
	s_waitcnt vmcnt(3)
	v_fmac_f32_e32 v28, v16, v112
	v_mul_f32_e32 v112, v104, v113
	s_waitcnt vmcnt(2)
	v_fmac_f32_e32 v39, v17, v112
	s_clause 0x1
	buffer_load_dword v16, off, s[0:3], s32 offset:580
	buffer_load_dword v17, off, s[0:3], s32 offset:584
	v_mul_f32_e32 v112, v104, v60
	s_waitcnt vmcnt(3)
	v_fmac_f32_e32 v28, v18, v112
	v_mul_f32_e32 v112, v104, v94
	s_waitcnt vmcnt(2)
	v_fmac_f32_e32 v39, v19, v112
	s_waitcnt vmcnt(1)
	v_or_b32_e32 v6, v6, v16
	s_waitcnt vmcnt(0)
	v_or_b32_e32 v7, v7, v17
	s_clause 0x3
	buffer_load_dword v16, off, s[0:3], s32 offset:564
	buffer_load_dword v17, off, s[0:3], s32 offset:568
	;; [unrolled: 1-line block ×4, first 2 shown]
	v_mul_f32_e32 v6, v104, v6
	s_waitcnt vmcnt(1)
	v_or_b32_e32 v112, v18, v16
	s_waitcnt vmcnt(0)
	v_or_b32_e32 v113, v19, v17
	s_clause 0x3
	buffer_load_dword v16, off, s[0:3], s32 offset:604
	buffer_load_dword v17, off, s[0:3], s32 offset:608
	;; [unrolled: 1-line block ×4, first 2 shown]
	v_mul_f32_e32 v112, v104, v112
	s_waitcnt vmcnt(3)
	v_fmac_f32_e32 v28, v16, v112
	v_mul_f32_e32 v112, v104, v113
	v_or_b32_e32 v16, v107, v89
	s_waitcnt vmcnt(1)
	v_fmac_f32_e32 v28, v18, v6
	v_fmac_f32_e32 v39, v17, v112
	v_or_b32_e32 v17, v31, v114
	v_or_b32_e32 v18, v32, v115
	s_clause 0x1
	buffer_load_dword v31, off, s[0:3], s32 offset:596
	buffer_load_dword v32, off, s[0:3], s32 offset:600
	v_mul_f32_e32 v6, v104, v7
	v_or_b32_e32 v7, v111, v9
	s_waitcnt vmcnt(2)
	v_fmac_f32_e32 v39, v19, v6
	v_or_b32_e32 v6, v110, v8
	v_or_b32_e32 v8, v106, v88
	v_mul_f32_e32 v6, v104, v6
	v_mul_f32_e32 v19, v104, v8
	s_waitcnt vmcnt(1)
	v_fmac_f32_e32 v28, v31, v6
	v_mul_f32_e32 v6, v104, v7
	v_or_b32_e32 v31, v52, v50
	v_or_b32_e32 v50, v80, v70
	s_waitcnt vmcnt(0)
	v_fmac_f32_e32 v39, v32, v6
	ds_read2_b64 v[6:9], v13 offset0:25 offset1:26
	ds_read2_b64 v[112:115], v13 offset0:27 offset1:28
	v_mul_f32_e32 v36, v104, v31
	ds_read2_b64 v[31:34], v13 offset0:31 offset1:32
	s_waitcnt lgkmcnt(2)
	v_fmac_f32_e32 v28, v6, v19
	v_mul_f32_e32 v6, v104, v16
	v_or_b32_e32 v19, v49, v38
	v_or_b32_e32 v49, v84, v82
	;; [unrolled: 1-line block ×3, first 2 shown]
	v_fmac_f32_e32 v39, v7, v6
	v_mul_f32_e32 v6, v104, v17
	v_mul_f32_e32 v49, v104, v49
	v_or_b32_e32 v17, v74, v43
	v_or_b32_e32 v7, v57, v93
	v_fmac_f32_e32 v28, v8, v6
	v_mul_f32_e32 v6, v104, v18
	v_or_b32_e32 v18, v48, v37
	v_or_b32_e32 v8, v42, v46
	;; [unrolled: 1-line block ×3, first 2 shown]
	s_waitcnt lgkmcnt(1)
	v_fmac_f32_e32 v28, v112, v0
	v_fmac_f32_e32 v39, v9, v6
	v_mul_f32_e32 v0, v104, v1
	v_or_b32_e32 v9, v41, v45
	v_or_b32_e32 v41, v21, v77
	;; [unrolled: 1-line block ×4, first 2 shown]
	v_fmac_f32_e32 v39, v113, v0
	v_mul_f32_e32 v0, v104, v18
	v_or_b32_e32 v48, v59, v91
	v_or_b32_e32 v6, v56, v92
	v_mul_f32_e32 v1, v104, v1
	v_fmac_f32_e32 v28, v114, v0
	v_mul_f32_e32 v0, v104, v19
	ds_read2_b64 v[18:21], v13 offset0:29 offset1:30
	v_fmac_f32_e32 v39, v115, v0
	v_or_b32_e32 v0, v97, v87
	v_mul_f32_e32 v0, v104, v0
	s_waitcnt lgkmcnt(0)
	v_fmac_f32_e32 v28, v18, v36
	v_mul_f32_e32 v18, v104, v37
	v_fmac_f32_e32 v39, v19, v26
	v_or_b32_e32 v26, v72, v66
	v_or_b32_e32 v36, v68, v122
	v_fmac_f32_e32 v28, v20, v35
	v_or_b32_e32 v35, v73, v67
	v_fmac_f32_e32 v39, v21, v18
	ds_read2_b64 v[18:21], v13 offset0:33 offset1:34
	v_mul_f32_e32 v26, v104, v26
	v_mul_f32_e32 v52, v104, v36
	;; [unrolled: 1-line block ×3, first 2 shown]
	ds_read2_b64 v[35:38], v13 offset0:35 offset1:36
	v_fmac_f32_e32 v28, v31, v26
	v_or_b32_e32 v26, v81, v71
	v_mul_f32_e32 v31, v104, v50
	v_mul_f32_e32 v50, v104, v51
	v_fmac_f32_e32 v39, v32, v53
	v_fmac_f32_e32 v28, v33, v52
	v_or_b32_e32 v51, v85, v83
	v_mul_f32_e32 v26, v104, v26
	v_fmac_f32_e32 v39, v34, v50
	s_waitcnt lgkmcnt(1)
	v_fmac_f32_e32 v28, v18, v31
	ds_read2_b64 v[31:34], v13 offset0:37 offset1:38
	v_mul_f32_e32 v18, v104, v51
	v_fmac_f32_e32 v39, v19, v26
	v_or_b32_e32 v26, v101, v99
	v_fmac_f32_e32 v28, v20, v49
	v_fmac_f32_e32 v39, v21, v18
	ds_read2_b64 v[18:21], v13 offset0:39 offset1:40
	s_waitcnt lgkmcnt(2)
	v_fmac_f32_e32 v28, v35, v1
	v_or_b32_e32 v1, v11, v103
	v_mul_f32_e32 v11, v104, v26
	v_fmac_f32_e32 v39, v36, v0
	v_mul_f32_e32 v0, v104, v10
	v_fmac_f32_e32 v28, v37, v14
	v_or_b32_e32 v10, v3, v15
	v_mul_f32_e32 v14, v104, v1
	v_fmac_f32_e32 v39, v38, v11
	v_mul_f32_e32 v11, v104, v2
	s_waitcnt lgkmcnt(1)
	v_fmac_f32_e32 v28, v31, v0
	ds_read2_b64 v[0:3], v13 offset0:41 offset1:42
	v_mul_f32_e32 v10, v104, v10
	v_fmac_f32_e32 v39, v32, v14
	v_mul_f32_e32 v14, v104, v116
	v_fmac_f32_e32 v28, v33, v11
	;; [unrolled: 2-line block ×3, first 2 shown]
	ds_read2_b64 v[31:34], v13 offset0:43 offset1:44
	s_waitcnt lgkmcnt(2)
	v_fmac_f32_e32 v28, v18, v14
	v_or_b32_e32 v10, v23, v25
	v_fmac_f32_e32 v39, v19, v11
	v_mul_f32_e32 v11, v104, v42
	v_fmac_f32_e32 v28, v20, v4
	v_mul_f32_e32 v4, v104, v41
	v_mul_f32_e32 v10, v104, v10
	v_fmac_f32_e32 v39, v21, v5
	ds_read2_b64 v[18:21], v13 offset0:45 offset1:46
	v_mul_f32_e32 v5, v104, v24
	s_waitcnt lgkmcnt(2)
	v_fmac_f32_e32 v28, v0, v11
	v_or_b32_e32 v0, v58, v90
	v_fmac_f32_e32 v39, v1, v4
	v_mul_f32_e32 v1, v104, v17
	v_fmac_f32_e32 v28, v2, v10
	v_mul_f32_e32 v2, v104, v16
	;; [unrolled: 2-line block ×3, first 2 shown]
	v_mul_f32_e32 v3, v104, v48
	s_waitcnt lgkmcnt(1)
	v_fmac_f32_e32 v28, v31, v1
	ds_read_b64 v[0:1], v13 offset:376
	v_fmac_f32_e32 v39, v32, v2
	v_mul_f32_e32 v2, v104, v7
	v_mul_f32_e32 v7, v104, v9
	v_fmac_f32_e32 v28, v33, v4
	v_mul_f32_e32 v5, v104, v8
	v_fmac_f32_e32 v39, v34, v3
	v_mul_f32_e32 v3, v104, v6
	v_or_b32_e32 v4, v63, v79
	s_waitcnt lgkmcnt(1)
	v_fmac_f32_e32 v28, v18, v7
	v_mbcnt_lo_u32_b32 v7, -1, 0
	v_or_b32_e32 v6, v62, v78
	v_fmac_f32_e32 v39, v19, v5
	v_mul_f32_e32 v4, v104, v4
	v_fmac_f32_e32 v28, v20, v3
	v_xor_b32_e32 v5, 1, v7
	v_mul_f32_e32 v6, v104, v6
	v_fmac_f32_e32 v39, v21, v2
	v_cmp_gt_i32_e64 s6, 32, v5
	s_waitcnt lgkmcnt(0)
	v_fmac_f32_e32 v28, v0, v6
	v_fmac_f32_e32 v39, v1, v4
	v_cndmask_b32_e64 v2, v7, v5, s6
	v_add_f32_e32 v0, v28, v39
	v_lshlrev_b32_e32 v1, 2, v2
	ds_bpermute_b32 v1, v1, v0
	s_and_saveexec_b32 s24, vcc_lo
	s_cbranch_execz .LBB214_11
; %bb.787:                              ;   in Loop: Header=BB214_13 Depth=1
	s_clause 0x1
	buffer_load_dword v2, off, s[0:3], s32 offset:836
	buffer_load_dword v3, off, s[0:3], s32 offset:828
	s_waitcnt lgkmcnt(0)
	v_add_f32_e32 v0, v0, v1
	s_load_dword s25, s[8:9], 0x0
	s_waitcnt vmcnt(1)
	v_add_nc_u32_e32 v2, v2, v22
	v_cvt_f32_i32_e32 v2, v2
	s_waitcnt vmcnt(0)
	v_mul_f32_e32 v2, v3, v2
	buffer_load_dword v3, off, s[0:3], s32 offset:840 ; 4-byte Folded Reload
	v_cndmask_b32_e64 v1, 0, v2, s5
	buffer_load_dword v2, off, s[0:3], s32 offset:832 ; 4-byte Folded Reload
	s_waitcnt vmcnt(1)
	v_fmac_f32_e32 v1, v3, v0
	buffer_load_dword v3, off, s[0:3], s32 offset:816 ; 4-byte Folded Reload
	s_waitcnt vmcnt(1)
	v_add_nc_u32_e32 v2, v2, v22
	v_cmp_lt_i32_e64 s6, v2, v27
	s_waitcnt lgkmcnt(0)
	v_add_nc_u32_e32 v2, s25, v12
	s_waitcnt vmcnt(0)
	v_max_f32_e32 v0, v3, v3
	v_max_f32_e32 v0, v0, v1
	v_cndmask_b32_e64 v1, 0, v1, s6
	v_cndmask_b32_e64 v3, v3, v0, s6
	ds_write_b32 v2, v1
	buffer_store_dword v3, off, s[0:3], s32 offset:816 ; 4-byte Folded Spill
	s_branch .LBB214_11
.LBB214_788:
	s_or_b32 exec_lo, exec_lo, s23
	s_clause 0x10
	buffer_load_dword v15, off, s[0:3], s32 offset:856
	buffer_load_dword v14, off, s[0:3], s32 offset:860
	;; [unrolled: 1-line block ×17, first 2 shown]
.LBB214_789:
	s_or_b32 exec_lo, exec_lo, s22
	v_mbcnt_lo_u32_b32 v6, -1, 0
	s_waitcnt vmcnt(0)
	v_max_f32_e32 v4, v20, v20
	s_waitcnt lgkmcnt(0)
	s_lshr_b32 s8, s21, 16
	v_xor_b32_e32 v0, 16, v6
	v_xor_b32_e32 v1, 8, v6
	;; [unrolled: 1-line block ×3, first 2 shown]
	v_cmp_gt_i32_e32 vcc_lo, 32, v0
	v_cndmask_b32_e32 v0, v6, v0, vcc_lo
	v_cmp_gt_i32_e32 vcc_lo, 32, v1
	v_lshlrev_b32_e32 v2, 2, v0
	v_cndmask_b32_e32 v1, v6, v1, vcc_lo
	ds_bpermute_b32 v0, v2, v20
	v_lshlrev_b32_e32 v3, 2, v1
	s_waitcnt lgkmcnt(0)
	v_max_f32_e32 v0, v0, v0
	v_max_f32_e32 v0, v4, v0
	v_xor_b32_e32 v4, 4, v6
	ds_bpermute_b32 v1, v3, v0
	v_cmp_gt_i32_e32 vcc_lo, 32, v4
	v_cndmask_b32_e32 v4, v6, v4, vcc_lo
	v_cmp_gt_i32_e32 vcc_lo, 32, v5
	v_lshlrev_b32_e32 v4, 2, v4
	v_cndmask_b32_e32 v5, v6, v5, vcc_lo
	v_lshlrev_b32_e32 v28, 2, v5
	buffer_load_dword v5, off, s[0:3], s32 offset:796 ; 4-byte Folded Reload
	s_waitcnt lgkmcnt(0)
	v_max_f32_e32 v1, v1, v1
	v_max_f32_e32 v0, v0, v1
	ds_bpermute_b32 v1, v4, v0
	s_waitcnt lgkmcnt(0)
	v_max_f32_e32 v1, v1, v1
	v_max_f32_e32 v0, v0, v1
	ds_bpermute_b32 v1, v28, v0
	s_waitcnt vmcnt(0)
	v_and_b32_e32 v53, 31, v5
	buffer_load_dword v5, off, s[0:3], s32 offset:844 ; 4-byte Folded Reload
	v_cmp_eq_u32_e32 vcc_lo, 0, v53
	s_waitcnt vmcnt(0)
	v_lshlrev_b32_e32 v5, 2, v5
	s_and_saveexec_b32 s5, vcc_lo
	s_cbranch_execz .LBB214_791
; %bb.790:
	s_waitcnt lgkmcnt(0)
	v_max_f32_e32 v1, v1, v1
	v_max_f32_e32 v0, v0, v0
	;; [unrolled: 1-line block ×3, first 2 shown]
	ds_write_b32 v5, v0 offset:768
.LBB214_791:
	s_or_b32 exec_lo, exec_lo, s5
	v_cmp_gt_u32_e64 s5, 4, v53
	v_mov_b32_e32 v0, 0xff7fffff
	v_lshlrev_b32_e32 v6, 2, v53
	s_waitcnt lgkmcnt(0)
	s_waitcnt_vscnt null, 0x0
	s_barrier
	buffer_gl0_inv
	s_and_saveexec_b32 s6, s5
; %bb.792:
	ds_read_b32 v0, v6 offset:768
; %bb.793:
	s_or_b32 exec_lo, exec_lo, s6
	v_mbcnt_lo_u32_b32 v125, -1, 0
	s_waitcnt lgkmcnt(0)
	ds_bpermute_b32 v1, v28, v0
	v_max_f32_e32 v0, v0, v0
	v_xor_b32_e32 v7, 1, v125
	v_cmp_gt_i32_e64 s6, 32, v7
	v_cndmask_b32_e64 v7, v125, v7, s6
	v_lshlrev_b32_e32 v29, 2, v7
	buffer_load_dword v7, off, s[0:3], s32 offset:220 ; 4-byte Folded Reload
	s_waitcnt lgkmcnt(0)
	v_max_f32_e32 v1, v1, v1
	v_max_f32_e32 v0, v0, v1
	ds_bpermute_b32 v1, v29, v0
	s_waitcnt lgkmcnt(0)
	v_max_f32_e32 v1, v1, v1
	v_max_f32_e32 v0, v0, v1
	s_waitcnt vmcnt(0)
	v_subrev_nc_u32_e32 v8, s13, v7
	v_mov_b32_e32 v7, 0
	v_lshl_add_u32 v1, v8, 4, s20
	buffer_load_dword v8, off, s[0:3], s32 offset:796 ; 4-byte Folded Reload
	ds_bpermute_b32 v0, v7, v0
	v_min_i32_e32 v1, v1, v27
	v_subrev_nc_u32_e32 v1, s20, v1
	s_waitcnt vmcnt(0)
	v_cmp_lt_i32_e64 s6, v8, v1
	s_and_saveexec_b32 s9, s6
	s_cbranch_execz .LBB214_797
; %bb.794:
	buffer_load_dword v9, off, s[0:3], s32 offset:796 ; 4-byte Folded Reload
	s_getpc_b64 s[20:21]
	s_add_u32 s20, s20, llvm.amdgcn.dynlds.offset.table@rel32@lo+4
	s_addc_u32 s21, s21, llvm.amdgcn.dynlds.offset.table@rel32@hi+12
	s_ashr_i32 s17, s16, 31
	v_mov_b32_e32 v7, 0
	s_lshl_b64 s[22:23], s[16:17], 2
	s_mov_b32 s13, 0
	s_add_u32 s20, s20, s22
	s_addc_u32 s21, s21, s23
	s_load_dword s7, s[20:21], 0x0
	s_waitcnt vmcnt(0) lgkmcnt(0)
	v_lshl_add_u32 v8, v9, 2, s7
	.p2align	6
.LBB214_795:                            ; =>This Inner Loop Header: Depth=1
	ds_read_b32 v10, v8
	v_add_nc_u32_e32 v9, 0x80, v9
	v_cmp_ge_i32_e64 s7, v9, v1
	s_or_b32 s13, s7, s13
	s_waitcnt lgkmcnt(0)
	v_sub_f32_e32 v10, v10, v0
	v_mul_f32_e32 v10, 0x3fb8aa3b, v10
	v_exp_f32_e32 v10, v10
	ds_write_b32 v8, v10
	v_add_f32_e32 v7, v7, v10
	v_add_nc_u32_e32 v8, 0x200, v8
	s_andn2_b32 exec_lo, exec_lo, s13
	s_cbranch_execnz .LBB214_795
; %bb.796:
	s_or_b32 exec_lo, exec_lo, s13
.LBB214_797:
	s_or_b32 exec_lo, exec_lo, s9
	ds_bpermute_b32 v2, v2, v7
	s_waitcnt lgkmcnt(0)
	v_add_f32_e32 v2, v7, v2
	ds_bpermute_b32 v3, v3, v2
	s_waitcnt lgkmcnt(0)
	v_add_f32_e32 v2, v2, v3
	;; [unrolled: 3-line block ×5, first 2 shown]
	s_and_saveexec_b32 s7, vcc_lo
; %bb.798:
	ds_write_b32 v5, v2 offset:784
; %bb.799:
	s_or_b32 exec_lo, exec_lo, s7
	s_waitcnt lgkmcnt(0)
	s_barrier
	buffer_gl0_inv
	s_and_saveexec_b32 s7, s5
; %bb.800:
	ds_read_b32 v2, v6 offset:784
; %bb.801:
	s_or_b32 exec_lo, exec_lo, s7
	s_waitcnt lgkmcnt(0)
	ds_bpermute_b32 v3, v28, v2
	s_waitcnt lgkmcnt(0)
	v_add_f32_e32 v2, v2, v3
	ds_bpermute_b32 v3, v29, v2
	s_waitcnt lgkmcnt(0)
	v_add_f32_e32 v2, v2, v3
	v_mov_b32_e32 v3, 0
	ds_bpermute_b32 v2, v3, v2
	s_and_saveexec_b32 s5, s6
	s_cbranch_execz .LBB214_804
; %bb.802:
	s_waitcnt lgkmcnt(0)
	v_add_f32_e32 v4, 0x358637bd, v2
	s_getpc_b64 s[6:7]
	s_add_u32 s6, s6, llvm.amdgcn.dynlds.offset.table@rel32@lo+4
	s_addc_u32 s7, s7, llvm.amdgcn.dynlds.offset.table@rel32@hi+12
	s_ashr_i32 s17, s16, 31
	s_lshl_b64 s[20:21], s[16:17], 2
	v_div_scale_f32 v3, null, v4, v4, 1.0
	v_div_scale_f32 v7, vcc_lo, 1.0, v4, 1.0
	s_add_u32 s6, s6, s20
	v_rcp_f32_e32 v5, v3
	s_addc_u32 s7, s7, s21
	s_load_dword s6, s[6:7], 0x0
	v_fma_f32 v6, -v3, v5, 1.0
	v_fmac_f32_e32 v5, v6, v5
	v_mul_f32_e32 v6, v7, v5
	v_fma_f32 v8, -v3, v6, v7
	v_fmac_f32_e32 v6, v8, v5
	v_fma_f32 v3, -v3, v6, v7
	v_div_fmas_f32 v5, v3, v5, v6
	buffer_load_dword v6, off, s[0:3], s32 offset:796 ; 4-byte Folded Reload
	v_div_fixup_f32 v4, v5, v4, 1.0
	s_waitcnt vmcnt(0) lgkmcnt(0)
	v_lshl_add_u32 v3, v6, 2, s6
	v_mov_b32_e32 v5, v6
	s_mov_b32 s6, 0
.LBB214_803:                            ; =>This Inner Loop Header: Depth=1
	ds_read_b32 v6, v3
	v_add_nc_u32_e32 v5, 0x80, v5
	v_cmp_ge_i32_e32 vcc_lo, v5, v1
	s_or_b32 s6, vcc_lo, s6
	s_waitcnt lgkmcnt(0)
	v_mul_f32_e32 v6, v4, v6
	ds_write_b32 v3, v6
	v_add_nc_u32_e32 v3, 0x200, v3
	s_andn2_b32 exec_lo, exec_lo, s6
	s_cbranch_execnz .LBB214_803
.LBB214_804:
	s_or_b32 exec_lo, exec_lo, s5
	s_waitcnt lgkmcnt(0)
	buffer_load_dword v1, off, s[0:3], s32 offset:796 ; 4-byte Folded Reload
	s_and_b32 s5, 0xffff, s8
	s_mov_b32 s8, exec_lo
	s_cmp_lg_u32 s5, 0
	s_barrier
	s_cselect_b32 s5, -1, 0
	s_waitcnt vmcnt(0)
	buffer_gl0_inv
	s_cmp_lg_u32 s5, 0
	s_addc_u32 s5, s11, 0
	s_mul_i32 s6, s5, s18
	s_mul_i32 s6, s6, s15
	v_cmpx_eq_u32_e32 0, v1
	s_cbranch_execz .LBB214_806
; %bb.805:
	s_ashr_i32 s7, s6, 31
	s_mul_i32 s12, s5, s12
	s_lshl_b64 s[20:21], s[6:7], 2
	s_ashr_i32 s13, s12, 31
	v_add_co_u32 v1, vcc_lo, v33, s20
	v_add_co_ci_u32_e64 v3, null, s21, v32, vcc_lo
	s_lshl_b64 s[12:13], s[12:13], 2
	s_ashr_i32 s15, s14, 31
	v_add_co_u32 v1, vcc_lo, v1, s12
	v_add_co_ci_u32_e64 v4, null, s13, v3, vcc_lo
	v_add_co_u32 v3, vcc_lo, v26, s20
	v_add_co_ci_u32_e64 v5, null, s21, v25, vcc_lo
	s_lshl_b64 s[20:21], s[14:15], 2
	v_add_co_u32 v6, vcc_lo, v3, s12
	v_add_co_ci_u32_e64 v7, null, s13, v5, vcc_lo
	v_add_co_u32 v3, vcc_lo, v1, s20
	v_add_co_ci_u32_e64 v4, null, s21, v4, vcc_lo
	;; [unrolled: 2-line block ×3, first 2 shown]
	flat_store_dword v[3:4], v0
	flat_store_dword v[5:6], v2
.LBB214_806:
	s_or_b32 exec_lo, exec_lo, s8
	buffer_load_dword v0, off, s[0:3], s32 offset:796 ; 4-byte Folded Reload
	s_ashr_i32 s17, s16, 31
	s_getpc_b64 s[8:9]
	s_add_u32 s8, s8, llvm.amdgcn.dynlds.offset.table@rel32@lo+4
	s_addc_u32 s9, s9, llvm.amdgcn.dynlds.offset.table@rel32@hi+12
	s_lshl_b64 s[12:13], s[16:17], 2
	v_mov_b32_e32 v55, 0
	v_mov_b32_e32 v64, 0
	;; [unrolled: 1-line block ×24, first 2 shown]
	s_add_u32 s8, s8, s12
	s_addc_u32 s9, s9, s13
	s_waitcnt vmcnt(0)
	v_and_b32_e32 v54, 3, v0
	s_and_saveexec_b32 s7, s4
	s_cbranch_execz .LBB214_1628
; %bb.807:
	v_max_i32_e32 v70, v30, v18
	v_and_b32_e32 v1, 12, v19
	buffer_store_dword v53, off, s[0:3], s32 offset:444 ; 4-byte Folded Spill
	s_load_dword s4, s[8:9], 0x0
	v_mov_b32_e32 v10, 0
	v_cvt_f32_u32_e32 v0, v70
	buffer_store_dword v1, off, s[0:3], s32 offset:420 ; 4-byte Folded Spill
	v_add_co_u32 v3, vcc_lo, v24, v12
	v_and_b32_e32 v5, 0x7c, v19
	v_rcp_iflag_f32_e32 v2, v0
	v_add_nc_u32_e32 v0, -1, v13
	v_add_co_ci_u32_e64 v4, null, v22, v11, vcc_lo
	v_add_co_u32 v3, vcc_lo, v3, v5
	buffer_store_dword v0, off, s[0:3], s32 offset:428 ; 4-byte Folded Spill
	s_clause 0x1
	buffer_load_dword v0, off, s[0:3], s32 offset:200
	buffer_load_dword v1, off, s[0:3], s32 offset:204
	buffer_store_dword v10, off, s[0:3], s32 offset:236 ; 4-byte Folded Spill
	v_mov_b32_e32 v10, 0
	v_add_co_ci_u32_e64 v4, null, 0, v4, vcc_lo
	buffer_store_dword v54, off, s[0:3], s32 offset:452 ; 4-byte Folded Spill
	v_mul_f32_e32 v2, 0x4f7ffffe, v2
	buffer_store_dword v10, off, s[0:3], s32 offset:240 ; 4-byte Folded Spill
	v_mov_b32_e32 v10, 0
	v_sub_nc_u32_e32 v8, 0, v70
	v_lshlrev_b32_e32 v6, 4, v54
	v_cvt_u32_f32_e32 v2, v2
	v_mov_b32_e32 v7, 0
	buffer_store_dword v10, off, s[0:3], s32 offset:244 ; 4-byte Folded Spill
	v_mov_b32_e32 v10, 0
	v_mov_b32_e32 v81, 0x80
	v_mul_lo_u32 v8, v8, v2
	v_bfrev_b32_e32 v9, 1
	v_mov_b32_e32 v11, 0x7f800001
	buffer_store_dword v10, off, s[0:3], s32 offset:252 ; 4-byte Folded Spill
	v_mov_b32_e32 v10, 0
	v_mov_b32_e32 v83, 0xff
	;; [unrolled: 1-line block ×4, first 2 shown]
	s_mov_b32 s11, 0
	buffer_store_dword v10, off, s[0:3], s32 offset:260 ; 4-byte Folded Spill
	buffer_store_dword v3, off, s[0:3], s32 offset:436 ; 4-byte Folded Spill
	;; [unrolled: 1-line block ×3, first 2 shown]
	buffer_load_dword v4, off, s[0:3], s32 offset:844 ; 4-byte Folded Reload
	v_mul_hi_u32 v3, v2, v8
	s_waitcnt vmcnt(1)
	v_lshlrev_b64 v[0:1], 2, v[0:1]
	v_add_co_u32 v0, vcc_lo, v16, v0
	v_add_co_ci_u32_e64 v1, null, v17, v1, vcc_lo
	v_add_co_u32 v14, vcc_lo, v14, v0
	v_add_nc_u32_e32 v0, v2, v3
	v_add_co_ci_u32_e64 v15, null, v15, v1, vcc_lo
	buffer_store_dword v0, off, s[0:3], s32 offset:404 ; 4-byte Folded Spill
	v_mov_b32_e32 v0, 0
	buffer_store_dword v0, off, s[0:3], s32 offset:268 ; 4-byte Folded Spill
	v_mov_b32_e32 v0, 0
	s_waitcnt vmcnt(0)
	v_lshl_or_b32 v4, v4, 6, v6
	buffer_store_dword v0, off, s[0:3], s32 offset:276 ; 4-byte Folded Spill
	v_mov_b32_e32 v0, 0
	s_waitcnt lgkmcnt(0)
	v_add_nc_u32_e32 v86, s4, v4
	buffer_store_dword v0, off, s[0:3], s32 offset:284 ; 4-byte Folded Spill
	v_mov_b32_e32 v0, 0
	buffer_store_dword v0, off, s[0:3], s32 offset:292 ; 4-byte Folded Spill
	v_mov_b32_e32 v0, 0
	;; [unrolled: 2-line block ×14, first 2 shown]
	buffer_store_dword v0, off, s[0:3], s32 offset:388 ; 4-byte Folded Spill
	s_branch .LBB214_810
.LBB214_808:                            ;   in Loop: Header=BB214_810 Depth=1
	s_or_b32 exec_lo, exec_lo, s4
	buffer_load_dword v19, off, s[0:3], s32 offset:236 ; 4-byte Folded Reload
	v_mul_f32_e32 v10, v1, v84
	v_mul_f32_e32 v16, v1, v69
	;; [unrolled: 1-line block ×4, first 2 shown]
	v_fmac_f32_e32 v10, v0, v82
	v_fmac_f32_e32 v16, v0, v68
	;; [unrolled: 1-line block ×12, first 2 shown]
	s_waitcnt vmcnt(0)
	v_add_f32_e32 v19, v19, v10
	buffer_load_dword v10, off, s[0:3], s32 offset:240 ; 4-byte Folded Reload
	buffer_store_dword v19, off, s[0:3], s32 offset:236 ; 4-byte Folded Spill
	v_mul_f32_e32 v19, v1, v71
	v_fmac_f32_e32 v19, v0, v26
	v_fmac_f32_e32 v19, v2, v31
	;; [unrolled: 1-line block ×3, first 2 shown]
	s_waitcnt vmcnt(0)
	v_add_f32_e32 v10, v10, v16
	v_mul_f32_e32 v16, v1, v37
	buffer_store_dword v10, off, s[0:3], s32 offset:240 ; 4-byte Folded Spill
	buffer_load_dword v10, off, s[0:3], s32 offset:244 ; 4-byte Folded Reload
	v_fmac_f32_e32 v16, v0, v36
	v_fmac_f32_e32 v16, v2, v35
	;; [unrolled: 1-line block ×3, first 2 shown]
	s_waitcnt vmcnt(0)
	v_add_f32_e32 v10, v10, v17
	v_mul_f32_e32 v17, v1, v33
	buffer_store_dword v10, off, s[0:3], s32 offset:244 ; 4-byte Folded Spill
	buffer_load_dword v10, off, s[0:3], s32 offset:252 ; 4-byte Folded Reload
	v_fmac_f32_e32 v17, v0, v32
	v_fmac_f32_e32 v17, v2, v13
	v_mul_f32_e32 v13, v1, v110
	v_fmac_f32_e32 v17, v3, v12
	buffer_load_dword v12, off, s[0:3], s32 offset:260 ; 4-byte Folded Reload
	v_fmac_f32_e32 v13, v0, v109
	v_fmac_f32_e32 v13, v2, v108
	;; [unrolled: 1-line block ×3, first 2 shown]
	s_waitcnt vmcnt(1)
	v_add_f32_e32 v10, v10, v18
	v_mul_f32_e32 v18, v1, v87
	buffer_store_dword v10, off, s[0:3], s32 offset:252 ; 4-byte Folded Spill
	v_mul_f32_e32 v10, v1, v49
	v_fmac_f32_e32 v18, v0, v25
	v_fmac_f32_e32 v10, v0, v48
	;; [unrolled: 1-line block ×6, first 2 shown]
	s_waitcnt vmcnt(0)
	v_add_f32_e32 v12, v12, v10
	buffer_load_dword v10, off, s[0:3], s32 offset:268 ; 4-byte Folded Reload
	buffer_store_dword v12, off, s[0:3], s32 offset:260 ; 4-byte Folded Spill
	v_mul_f32_e32 v12, v1, v122
	v_fmac_f32_e32 v12, v0, v121
	v_fmac_f32_e32 v12, v2, v120
	;; [unrolled: 1-line block ×3, first 2 shown]
	s_waitcnt vmcnt(0)
	v_add_f32_e32 v10, v10, v16
	v_mul_f32_e32 v16, v1, v106
	buffer_store_dword v10, off, s[0:3], s32 offset:268 ; 4-byte Folded Spill
	buffer_load_dword v10, off, s[0:3], s32 offset:276 ; 4-byte Folded Reload
	v_fmac_f32_e32 v16, v0, v105
	v_fmac_f32_e32 v16, v2, v104
	;; [unrolled: 1-line block ×3, first 2 shown]
	s_waitcnt vmcnt(0)
	v_add_f32_e32 v10, v10, v17
	v_mul_f32_e32 v17, v1, v94
	buffer_store_dword v10, off, s[0:3], s32 offset:276 ; 4-byte Folded Spill
	buffer_load_dword v10, off, s[0:3], s32 offset:284 ; 4-byte Folded Reload
	v_fmac_f32_e32 v17, v0, v93
	v_fmac_f32_e32 v17, v2, v92
	;; [unrolled: 1-line block ×3, first 2 shown]
	s_waitcnt vmcnt(0)
	v_add_f32_e32 v10, v10, v18
	buffer_load_dword v18, off, s[0:3], s32 offset:300 ; 4-byte Folded Reload
	buffer_store_dword v10, off, s[0:3], s32 offset:284 ; 4-byte Folded Spill
	buffer_load_dword v10, off, s[0:3], s32 offset:292 ; 4-byte Folded Reload
	s_waitcnt vmcnt(0)
	v_add_f32_e32 v10, v10, v19
	buffer_store_dword v10, off, s[0:3], s32 offset:292 ; 4-byte Folded Spill
	v_mul_f32_e32 v10, v1, v126
	v_fmac_f32_e32 v10, v0, v125
	v_fmac_f32_e32 v10, v2, v30
	;; [unrolled: 1-line block ×3, first 2 shown]
	v_add_f32_e32 v18, v18, v10
	buffer_load_dword v10, off, s[0:3], s32 offset:308 ; 4-byte Folded Reload
	buffer_store_dword v18, off, s[0:3], s32 offset:300 ; 4-byte Folded Spill
	buffer_load_dword v18, off, s[0:3], s32 offset:340 ; 4-byte Folded Reload
	s_waitcnt vmcnt(1)
	v_add_f32_e32 v10, v10, v12
	v_mul_f32_e32 v12, v1, v78
	buffer_store_dword v10, off, s[0:3], s32 offset:308 ; 4-byte Folded Spill
	buffer_load_dword v10, off, s[0:3], s32 offset:316 ; 4-byte Folded Reload
	v_fmac_f32_e32 v12, v0, v77
	v_fmac_f32_e32 v12, v2, v76
	v_fmac_f32_e32 v12, v3, v75
	s_waitcnt vmcnt(0)
	v_add_f32_e32 v10, v10, v13
	v_mul_f32_e32 v13, v1, v74
	buffer_store_dword v10, off, s[0:3], s32 offset:316 ; 4-byte Folded Spill
	buffer_load_dword v10, off, s[0:3], s32 offset:324 ; 4-byte Folded Reload
	v_fmac_f32_e32 v13, v0, v73
	v_fmac_f32_e32 v13, v2, v72
	v_fmac_f32_e32 v13, v3, v63
	;; [unrolled: 8-line block ×3, first 2 shown]
	s_waitcnt vmcnt(0)
	v_add_f32_e32 v10, v10, v17
	v_mul_f32_e32 v17, v1, v58
	buffer_store_dword v10, off, s[0:3], s32 offset:332 ; 4-byte Folded Spill
	v_mul_f32_e32 v10, v1, v90
	v_fmac_f32_e32 v17, v0, v57
	v_fmac_f32_e32 v10, v0, v89
	;; [unrolled: 1-line block ×6, first 2 shown]
	v_add_f32_e32 v18, v18, v10
	buffer_load_dword v10, off, s[0:3], s32 offset:348 ; 4-byte Folded Reload
	buffer_store_dword v18, off, s[0:3], s32 offset:340 ; 4-byte Folded Spill
	s_waitcnt vmcnt(0)
	v_add_f32_e32 v10, v10, v12
	v_mul_f32_e32 v12, v1, v41
	buffer_store_dword v10, off, s[0:3], s32 offset:348 ; 4-byte Folded Spill
	buffer_load_dword v10, off, s[0:3], s32 offset:356 ; 4-byte Folded Reload
	v_fmac_f32_e32 v12, v0, v40
	v_fmac_f32_e32 v12, v2, v119
	;; [unrolled: 1-line block ×3, first 2 shown]
	s_waitcnt vmcnt(0)
	v_add_f32_e32 v10, v10, v13
	v_mul_f32_e32 v13, v1, v117
	buffer_store_dword v10, off, s[0:3], s32 offset:356 ; 4-byte Folded Spill
	buffer_load_dword v10, off, s[0:3], s32 offset:364 ; 4-byte Folded Reload
	v_fmac_f32_e32 v13, v0, v116
	v_fmac_f32_e32 v13, v2, v115
	v_fmac_f32_e32 v13, v3, v114
	s_waitcnt vmcnt(0)
	v_add_f32_e32 v10, v10, v16
	v_mul_f32_e32 v16, v1, v100
	buffer_store_dword v10, off, s[0:3], s32 offset:364 ; 4-byte Folded Spill
	buffer_load_dword v10, off, s[0:3], s32 offset:372 ; 4-byte Folded Reload
	v_fmac_f32_e32 v16, v0, v99
	s_waitcnt vmcnt(0)
	v_add_f32_e32 v10, v10, v17
	buffer_store_dword v10, off, s[0:3], s32 offset:372 ; 4-byte Folded Spill
	v_mul_f32_e32 v10, v1, v45
	v_mul_f32_e32 v1, v1, v8
	v_fmac_f32_e32 v10, v0, v44
	v_fmac_f32_e32 v1, v0, v6
	buffer_load_dword v0, off, s[0:3], s32 offset:232 ; 4-byte Folded Reload
	v_fmac_f32_e32 v10, v2, v43
	v_fmac_f32_e32 v1, v2, v5
	buffer_load_dword v5, off, s[0:3], s32 offset:412 ; 4-byte Folded Reload
	v_fmac_f32_e32 v10, v3, v42
	v_fmac_f32_e32 v1, v3, v4
	v_add_f32_e32 v98, v98, v1
	s_waitcnt vmcnt(1)
	v_fmac_f32_e32 v16, v2, v0
	buffer_load_dword v0, off, s[0:3], s32 offset:380 ; 4-byte Folded Reload
	v_fmac_f32_e32 v16, v3, v88
	s_waitcnt vmcnt(1)
	v_add_f32_e32 v5, v5, v10
	s_waitcnt vmcnt(0)
	v_add_f32_e32 v0, v0, v12
	buffer_store_dword v0, off, s[0:3], s32 offset:380 ; 4-byte Folded Spill
	buffer_load_dword v0, off, s[0:3], s32 offset:396 ; 4-byte Folded Reload
	s_waitcnt vmcnt(0)
	v_add_f32_e32 v0, v0, v13
	buffer_store_dword v0, off, s[0:3], s32 offset:396 ; 4-byte Folded Spill
	buffer_load_dword v0, off, s[0:3], s32 offset:388 ; 4-byte Folded Reload
	s_waitcnt vmcnt(0)
	v_add_f32_e32 v0, v0, v16
	buffer_store_dword v0, off, s[0:3], s32 offset:388 ; 4-byte Folded Spill
.LBB214_809:                            ;   in Loop: Header=BB214_810 Depth=1
	s_or_b32 exec_lo, exec_lo, s12
	s_clause 0x1
	buffer_load_dword v0, off, s[0:3], s32 offset:200
	buffer_load_dword v1, off, s[0:3], s32 offset:204
	v_add_co_u32 v14, s4, v14, 16
	v_add_co_ci_u32_e64 v15, null, 0, v15, s4
	v_add_nc_u32_e32 v47, 64, v47
	v_add_nc_u32_e32 v86, 0x100, v86
	s_waitcnt vmcnt(1)
	v_mov_b32_e32 v2, v0
	buffer_load_dword v0, off, s[0:3], s32 offset:220 ; 4-byte Folded Reload
	v_add_nc_u32_e32 v2, 4, v2
	s_waitcnt vmcnt(1)
	v_mov_b32_e32 v1, v2
	buffer_store_dword v1, off, s[0:3], s32 offset:200 ; 4-byte Folded Spill
	buffer_store_dword v2, off, s[0:3], s32 offset:204 ; 4-byte Folded Spill
	s_waitcnt vmcnt(0)
	v_cmp_ge_i32_e32 vcc_lo, v2, v0
	s_or_b32 s11, vcc_lo, s11
	s_andn2_b32 exec_lo, exec_lo, s11
	s_cbranch_execz .LBB214_1627
.LBB214_810:                            ; =>This Inner Loop Header: Depth=1
	s_clause 0x1
	buffer_load_dword v1, off, s[0:3], s32 offset:224
	buffer_load_dword v4, off, s[0:3], s32 offset:216
	v_sub_nc_u32_e32 v0, 0, v47
	v_max_i32_e32 v0, v47, v0
	s_waitcnt vmcnt(1)
	v_mul_hi_u32 v1, v0, v1
	v_mul_lo_u32 v2, v1, v124
	v_sub_nc_u32_e32 v0, v0, v2
	v_add_nc_u32_e32 v2, 1, v1
	v_sub_nc_u32_e32 v3, v0, v124
	v_cmp_ge_u32_e32 vcc_lo, v0, v124
	v_cndmask_b32_e32 v1, v1, v2, vcc_lo
	v_cndmask_b32_e32 v0, v0, v3, vcc_lo
	v_ashrrev_i32_e32 v2, 31, v47
	v_add_nc_u32_e32 v3, 1, v1
	v_cmp_ge_u32_e32 vcc_lo, v0, v124
	s_waitcnt vmcnt(0)
	v_xor_b32_e32 v2, v2, v4
	v_cndmask_b32_e32 v0, v1, v3, vcc_lo
	v_xor_b32_e32 v0, v0, v2
	v_sub_nc_u32_e32 v0, v0, v2
	s_clause 0x2
	buffer_load_dword v1, off, s[0:3], s32 offset:208
	buffer_load_dword v2, off, s[0:3], s32 offset:212
	;; [unrolled: 1-line block ×3, first 2 shown]
	s_waitcnt vmcnt(2)
	v_add_nc_u32_e32 v1, v0, v1
	s_waitcnt vmcnt(1)
	v_sub_nc_u32_e32 v2, 0, v1
	v_max_i32_e32 v2, v1, v2
	v_ashrrev_i32_e32 v1, 31, v1
	s_waitcnt vmcnt(0)
	v_mul_hi_u32 v3, v2, v3
	v_mul_lo_u32 v3, v3, v70
	v_sub_nc_u32_e32 v2, v2, v3
	v_sub_nc_u32_e32 v3, v2, v70
	v_cmp_ge_u32_e32 vcc_lo, v2, v70
	v_cndmask_b32_e32 v2, v2, v3, vcc_lo
	v_sub_nc_u32_e32 v3, v2, v70
	v_cmp_ge_u32_e32 vcc_lo, v2, v70
	v_cndmask_b32_e32 v2, v2, v3, vcc_lo
	v_xor_b32_e32 v2, v2, v1
	v_sub_nc_u32_e32 v1, v2, v1
	v_cmp_eq_u32_e32 vcc_lo, 0, v1
	buffer_load_dword v1, off, s[0:3], s32 offset:228 ; 4-byte Folded Reload
	s_waitcnt vmcnt(0)
	v_cmp_gt_i32_e64 s4, v0, v1
	s_or_b32 s4, vcc_lo, s4
	s_and_saveexec_b32 s12, s4
	s_cbranch_execz .LBB214_809
; %bb.811:                              ;   in Loop: Header=BB214_810 Depth=1
	buffer_store_dword v5, off, s[0:3], s32 offset:412 ; 4-byte Folded Spill
	flat_load_dword v0, v[14:15]
	s_clause 0x2
	buffer_load_dword v1, off, s[0:3], s32 offset:588
	buffer_load_dword v2, off, s[0:3], s32 offset:436
	;; [unrolled: 1-line block ×3, first 2 shown]
	v_mov_b32_e32 v18, 0
	v_mov_b32_e32 v16, 0
	;; [unrolled: 1-line block ×4, first 2 shown]
	s_waitcnt vmcnt(0) lgkmcnt(0)
	v_mad_i64_i32 v[4:5], null, v0, v1, v[2:3]
	flat_load_dword v12, v[4:5]
	s_clause 0x1
	buffer_load_dword v0, off, s[0:3], s32 offset:800
	buffer_load_dword v1, off, s[0:3], s32 offset:804
	s_waitcnt vmcnt(2) lgkmcnt(0)
	v_cmp_ne_u16_sdwa s13, v12, v7 src0_sel:BYTE_0 src1_sel:DWORD
	s_waitcnt vmcnt(0)
	flat_load_dword v96, v[0:1]
	ds_read_b128 v[0:3], v86
	s_and_saveexec_b32 s4, s13
	s_cbranch_execz .LBB214_819
; %bb.812:                              ;   in Loop: Header=BB214_810 Depth=1
	v_bfrev_b32_e32 v16, 1
	v_mov_b32_e32 v17, 0
	v_cmp_ne_u16_sdwa s15, v12, v81 src0_sel:BYTE_0 src1_sel:DWORD
	s_and_saveexec_b32 s13, s15
	s_cbranch_execz .LBB214_818
; %bb.813:                              ;   in Loop: Header=BB214_810 Depth=1
	v_mov_b32_e32 v16, 0x7f800001
	v_and_b32_e32 v10, 0x7f, v12
	v_mov_b32_e32 v17, 0
	s_mov_b32 s15, exec_lo
	v_cmpx_ne_u32_e32 0x7f, v10
	s_cbranch_execz .LBB214_817
; %bb.814:                              ;   in Loop: Header=BB214_810 Depth=1
	v_and_b32_e32 v6, 7, v12
	v_lshrrev_b32_e32 v8, 3, v10
	s_mov_b32 s16, exec_lo
	v_cmpx_gt_u32_e32 8, v10
; %bb.815:                              ;   in Loop: Header=BB214_810 Depth=1
	v_ffbh_u32_e32 v8, v6
	v_min_u32_e32 v8, 32, v8
	v_subrev_nc_u32_e32 v10, 28, v8
	v_sub_nc_u32_e32 v8, 29, v8
	v_lshlrev_b64 v[16:17], v10, v[6:7]
	v_and_b32_e32 v6, 7, v16
; %bb.816:                              ;   in Loop: Header=BB214_810 Depth=1
	s_or_b32 exec_lo, exec_lo, s16
	v_lshlrev_b32_e32 v10, 24, v12
	v_lshlrev_b32_e32 v6, 20, v6
	v_lshl_add_u32 v8, v8, 23, 0x3c000000
	v_and_b32_e32 v10, 0x80000000, v10
	v_or3_b32 v6, v6, v10, v8
	v_mov_b32_e32 v17, v7
	v_mov_b32_e32 v16, v6
.LBB214_817:                            ;   in Loop: Header=BB214_810 Depth=1
	s_or_b32 exec_lo, exec_lo, s15
.LBB214_818:                            ;   in Loop: Header=BB214_810 Depth=1
	s_or_b32 exec_lo, exec_lo, s13
.LBB214_819:                            ;   in Loop: Header=BB214_810 Depth=1
	s_or_b32 exec_lo, exec_lo, s4
	v_cmp_ne_u16_sdwa s13, v12, v7 src0_sel:BYTE_1 src1_sel:DWORD
	s_and_saveexec_b32 s4, s13
	s_cbranch_execz .LBB214_827
; %bb.820:                              ;   in Loop: Header=BB214_810 Depth=1
	v_mov_b32_e32 v8, v7
	v_mov_b32_e32 v19, v9
	v_cmp_ne_u16_sdwa s15, v12, v81 src0_sel:BYTE_1 src1_sel:DWORD
	v_mov_b32_e32 v18, v8
	s_and_saveexec_b32 s13, s15
	s_cbranch_execz .LBB214_826
; %bb.821:                              ;   in Loop: Header=BB214_810 Depth=1
	v_mov_b32_e32 v6, 0xffff
	v_mov_b32_e32 v10, v7
	;; [unrolled: 1-line block ×3, first 2 shown]
	s_mov_b32 s15, exec_lo
	v_and_b32_sdwa v6, v6, v12 dst_sel:DWORD dst_unused:UNUSED_PAD src0_sel:DWORD src1_sel:BYTE_1
	v_mov_b32_e32 v18, v10
	v_and_b32_e32 v13, 0x7f, v6
	v_cmpx_ne_u32_e32 0x7f, v13
	s_cbranch_execz .LBB214_825
; %bb.822:                              ;   in Loop: Header=BB214_810 Depth=1
	v_and_b32_e32 v6, 7, v6
	v_lshrrev_b32_e32 v8, 3, v13
	s_mov_b32 s16, exec_lo
	v_cmpx_gt_u32_e32 8, v13
; %bb.823:                              ;   in Loop: Header=BB214_810 Depth=1
	v_ffbh_u32_e32 v8, v6
	v_min_u32_e32 v8, 32, v8
	v_subrev_nc_u32_e32 v10, 28, v8
	v_sub_nc_u32_e32 v8, 29, v8
	v_lshlrev_b64 v[18:19], v10, v[6:7]
	v_and_b32_e32 v6, 7, v18
; %bb.824:                              ;   in Loop: Header=BB214_810 Depth=1
	s_or_b32 exec_lo, exec_lo, s16
	v_lshlrev_b32_e32 v10, 16, v12
	v_lshlrev_b32_e32 v6, 20, v6
	v_lshl_add_u32 v8, v8, 23, 0x3c000000
	v_mov_b32_e32 v18, v7
	v_and_b32_e32 v10, 0x80000000, v10
	v_or3_b32 v19, v6, v10, v8
.LBB214_825:                            ;   in Loop: Header=BB214_810 Depth=1
	s_or_b32 exec_lo, exec_lo, s15
.LBB214_826:                            ;   in Loop: Header=BB214_810 Depth=1
	s_or_b32 exec_lo, exec_lo, s13
.LBB214_827:                            ;   in Loop: Header=BB214_810 Depth=1
	s_or_b32 exec_lo, exec_lo, s4
	v_mov_b32_e32 v22, 0
	v_mov_b32_e32 v20, 0
	v_and_b32_sdwa v6, v12, v83 dst_sel:DWORD dst_unused:UNUSED_PAD src0_sel:WORD_1 src1_sel:DWORD
	v_mov_b32_e32 v23, 0
	v_mov_b32_e32 v21, 0
	s_mov_b32 s4, exec_lo
	v_cmpx_ne_u16_e32 0, v6
	s_cbranch_execz .LBB214_835
; %bb.828:                              ;   in Loop: Header=BB214_810 Depth=1
	v_bfrev_b32_e32 v20, 1
	v_mov_b32_e32 v21, 0
	s_mov_b32 s13, exec_lo
	v_cmpx_ne_u16_e32 0x80, v6
	s_cbranch_execz .LBB214_834
; %bb.829:                              ;   in Loop: Header=BB214_810 Depth=1
	v_mov_b32_e32 v20, 0x7f800001
	v_bfe_u32 v10, v12, 16, 7
	v_mov_b32_e32 v21, 0
	s_mov_b32 s15, exec_lo
	v_cmpx_ne_u32_e32 0x7f, v10
	s_cbranch_execz .LBB214_833
; %bb.830:                              ;   in Loop: Header=BB214_810 Depth=1
	v_mov_b32_e32 v6, 7
	v_lshrrev_b32_e32 v8, 3, v10
	s_mov_b32 s16, exec_lo
	v_and_b32_sdwa v6, v12, v6 dst_sel:DWORD dst_unused:UNUSED_PAD src0_sel:WORD_1 src1_sel:DWORD
	v_cmpx_gt_u32_e32 8, v10
; %bb.831:                              ;   in Loop: Header=BB214_810 Depth=1
	v_ffbh_u32_e32 v8, v6
	v_min_u32_e32 v8, 32, v8
	v_subrev_nc_u32_e32 v10, 28, v8
	v_sub_nc_u32_e32 v8, 29, v8
	v_lshlrev_b64 v[20:21], v10, v[6:7]
	v_and_b32_e32 v6, 7, v20
; %bb.832:                              ;   in Loop: Header=BB214_810 Depth=1
	s_or_b32 exec_lo, exec_lo, s16
	v_mov_b32_e32 v10, 24
	v_lshlrev_b32_e32 v6, 20, v6
	v_lshl_add_u32 v8, v8, 23, 0x3c000000
	v_lshlrev_b32_sdwa v10, v10, v12 dst_sel:DWORD dst_unused:UNUSED_PAD src0_sel:DWORD src1_sel:WORD_1
	v_and_b32_e32 v10, 0x80000000, v10
	v_or3_b32 v6, v6, v10, v8
	v_mov_b32_e32 v21, v7
	v_mov_b32_e32 v20, v6
.LBB214_833:                            ;   in Loop: Header=BB214_810 Depth=1
	s_or_b32 exec_lo, exec_lo, s15
.LBB214_834:                            ;   in Loop: Header=BB214_810 Depth=1
	s_or_b32 exec_lo, exec_lo, s13
.LBB214_835:                            ;   in Loop: Header=BB214_810 Depth=1
	s_or_b32 exec_lo, exec_lo, s4
	s_mov_b32 s4, exec_lo
	v_cmpx_lt_u32_e32 0xffffff, v12
	s_cbranch_execz .LBB214_843
; %bb.836:                              ;   in Loop: Header=BB214_810 Depth=1
	v_mov_b32_e32 v8, v7
	v_mov_b32_e32 v23, v9
	v_cmp_ne_u32_sdwa s15, v12, v81 src0_sel:BYTE_3 src1_sel:DWORD
	v_mov_b32_e32 v22, v8
	s_and_saveexec_b32 s13, s15
	s_cbranch_execz .LBB214_842
; %bb.837:                              ;   in Loop: Header=BB214_810 Depth=1
	v_mov_b32_e32 v10, v7
	v_mov_b32_e32 v23, v11
	v_bfe_u32 v13, v12, 24, 7
	s_mov_b32 s15, exec_lo
	v_mov_b32_e32 v22, v10
	v_cmpx_ne_u32_e32 0x7f, v13
	s_cbranch_execz .LBB214_841
; %bb.838:                              ;   in Loop: Header=BB214_810 Depth=1
	v_mov_b32_e32 v6, 7
	v_lshrrev_b32_e32 v8, 3, v13
	s_mov_b32 s16, exec_lo
	v_and_b32_sdwa v6, v12, v6 dst_sel:DWORD dst_unused:UNUSED_PAD src0_sel:BYTE_3 src1_sel:DWORD
	v_cmpx_gt_u32_e32 8, v13
; %bb.839:                              ;   in Loop: Header=BB214_810 Depth=1
	v_ffbh_u32_e32 v8, v6
	v_min_u32_e32 v8, 32, v8
	v_subrev_nc_u32_e32 v10, 28, v8
	v_sub_nc_u32_e32 v8, 29, v8
	v_lshlrev_b64 v[22:23], v10, v[6:7]
	v_and_b32_e32 v6, 7, v22
; %bb.840:                              ;   in Loop: Header=BB214_810 Depth=1
	s_or_b32 exec_lo, exec_lo, s16
	v_mov_b32_e32 v10, 24
	v_lshlrev_b32_e32 v6, 20, v6
	v_lshl_add_u32 v8, v8, 23, 0x3c000000
	v_mov_b32_e32 v22, v7
	v_lshlrev_b32_sdwa v10, v10, v12 dst_sel:DWORD dst_unused:UNUSED_PAD src0_sel:DWORD src1_sel:BYTE_3
	v_and_b32_e32 v10, 0x80000000, v10
	v_or3_b32 v23, v6, v10, v8
.LBB214_841:                            ;   in Loop: Header=BB214_810 Depth=1
	s_or_b32 exec_lo, exec_lo, s15
.LBB214_842:                            ;   in Loop: Header=BB214_810 Depth=1
	s_or_b32 exec_lo, exec_lo, s13
.LBB214_843:                            ;   in Loop: Header=BB214_810 Depth=1
	s_or_b32 exec_lo, exec_lo, s4
	buffer_load_dword v6, off, s[0:3], s32 offset:420 ; 4-byte Folded Reload
	v_or_b32_e32 v8, v18, v16
	v_or_b32_e32 v10, v22, v20
	;; [unrolled: 1-line block ×3, first 2 shown]
	s_waitcnt vmcnt(1) lgkmcnt(1)
	v_mul_f32_e32 v99, v96, v8
	v_mul_f32_e32 v88, v96, v12
	s_waitcnt vmcnt(0)
	v_add_nc_u32_e32 v101, v6, v47
	v_or_b32_e32 v6, v19, v17
	s_clause 0x2
	buffer_load_dword v13, off, s[0:3], s32 offset:428
	buffer_load_dword v16, off, s[0:3], s32 offset:200
	;; [unrolled: 1-line block ×3, first 2 shown]
	v_add_nc_u32_e32 v113, 1, v101
	v_mul_f32_e32 v100, v96, v6
	v_mul_f32_e32 v6, v96, v10
	v_add_nc_u32_e32 v103, 2, v101
	v_add_nc_u32_e32 v102, 3, v101
	buffer_store_dword v6, off, s[0:3], s32 offset:232 ; 4-byte Folded Spill
	s_waitcnt vmcnt(1)
	v_cmp_eq_u32_e32 vcc_lo, v13, v16
	s_and_saveexec_b32 s13, vcc_lo
	s_cbranch_execz .LBB214_845
; %bb.844:                              ;   in Loop: Header=BB214_810 Depth=1
	buffer_load_dword v6, off, s[0:3], s32 offset:232 ; 4-byte Folded Reload
	v_cmp_lt_i32_e64 s4, v101, v27
	v_cndmask_b32_e64 v99, 0, v99, s4
	v_cmp_lt_i32_e64 s4, v113, v27
	v_cndmask_b32_e64 v100, 0, v100, s4
	v_cmp_lt_i32_e64 s4, v103, v27
	s_waitcnt vmcnt(0)
	v_cndmask_b32_e64 v6, 0, v6, s4
	v_cmp_lt_i32_e64 s4, v102, v27
	buffer_store_dword v6, off, s[0:3], s32 offset:232 ; 4-byte Folded Spill
	v_cndmask_b32_e64 v88, 0, v88, s4
.LBB214_845:                            ;   in Loop: Header=BB214_810 Depth=1
	s_or_b32 exec_lo, exec_lo, s13
	flat_load_dword v12, v[4:5] offset:128
	v_mov_b32_e32 v18, 0
	s_waitcnt vmcnt(1)
	v_mov_b32_e32 v16, 0
	v_mov_b32_e32 v19, 0
	;; [unrolled: 1-line block ×3, first 2 shown]
	s_waitcnt vmcnt(0) lgkmcnt(0)
	v_cmp_ne_u16_sdwa s4, v12, v7 src0_sel:BYTE_0 src1_sel:DWORD
	s_and_saveexec_b32 s13, s4
	s_cbranch_execz .LBB214_853
; %bb.846:                              ;   in Loop: Header=BB214_810 Depth=1
	v_bfrev_b32_e32 v16, 1
	v_mov_b32_e32 v17, 0
	v_cmp_ne_u16_sdwa s4, v12, v81 src0_sel:BYTE_0 src1_sel:DWORD
	s_and_saveexec_b32 s15, s4
	s_cbranch_execz .LBB214_852
; %bb.847:                              ;   in Loop: Header=BB214_810 Depth=1
	v_mov_b32_e32 v16, 0x7f800001
	v_and_b32_e32 v10, 0x7f, v12
	v_mov_b32_e32 v17, 0
	s_mov_b32 s16, exec_lo
	v_cmpx_ne_u32_e32 0x7f, v10
	s_cbranch_execz .LBB214_851
; %bb.848:                              ;   in Loop: Header=BB214_810 Depth=1
	v_and_b32_e32 v6, 7, v12
	v_lshrrev_b32_e32 v8, 3, v10
	s_mov_b32 s17, exec_lo
	v_cmpx_gt_u32_e32 8, v10
; %bb.849:                              ;   in Loop: Header=BB214_810 Depth=1
	v_ffbh_u32_e32 v8, v6
	v_min_u32_e32 v8, 32, v8
	v_subrev_nc_u32_e32 v10, 28, v8
	v_sub_nc_u32_e32 v8, 29, v8
	v_lshlrev_b64 v[16:17], v10, v[6:7]
	v_and_b32_e32 v6, 7, v16
; %bb.850:                              ;   in Loop: Header=BB214_810 Depth=1
	s_or_b32 exec_lo, exec_lo, s17
	v_lshlrev_b32_e32 v10, 24, v12
	v_lshlrev_b32_e32 v6, 20, v6
	v_lshl_add_u32 v8, v8, 23, 0x3c000000
	v_and_b32_e32 v10, 0x80000000, v10
	v_or3_b32 v6, v6, v10, v8
	v_mov_b32_e32 v17, v7
	v_mov_b32_e32 v16, v6
.LBB214_851:                            ;   in Loop: Header=BB214_810 Depth=1
	s_or_b32 exec_lo, exec_lo, s16
.LBB214_852:                            ;   in Loop: Header=BB214_810 Depth=1
	s_or_b32 exec_lo, exec_lo, s15
.LBB214_853:                            ;   in Loop: Header=BB214_810 Depth=1
	s_or_b32 exec_lo, exec_lo, s13
	v_cmp_ne_u16_sdwa s4, v12, v7 src0_sel:BYTE_1 src1_sel:DWORD
	s_and_saveexec_b32 s13, s4
	s_cbranch_execz .LBB214_861
; %bb.854:                              ;   in Loop: Header=BB214_810 Depth=1
	v_mov_b32_e32 v8, v7
	v_mov_b32_e32 v19, v9
	v_cmp_ne_u16_sdwa s4, v12, v81 src0_sel:BYTE_1 src1_sel:DWORD
	v_mov_b32_e32 v18, v8
	s_and_saveexec_b32 s15, s4
	s_cbranch_execz .LBB214_860
; %bb.855:                              ;   in Loop: Header=BB214_810 Depth=1
	v_mov_b32_e32 v6, 0xffff
	v_mov_b32_e32 v10, v7
	;; [unrolled: 1-line block ×3, first 2 shown]
	s_mov_b32 s16, exec_lo
	v_and_b32_sdwa v6, v6, v12 dst_sel:DWORD dst_unused:UNUSED_PAD src0_sel:DWORD src1_sel:BYTE_1
	v_mov_b32_e32 v18, v10
	v_and_b32_e32 v13, 0x7f, v6
	v_cmpx_ne_u32_e32 0x7f, v13
	s_cbranch_execz .LBB214_859
; %bb.856:                              ;   in Loop: Header=BB214_810 Depth=1
	v_and_b32_e32 v6, 7, v6
	v_lshrrev_b32_e32 v8, 3, v13
	s_mov_b32 s17, exec_lo
	v_cmpx_gt_u32_e32 8, v13
; %bb.857:                              ;   in Loop: Header=BB214_810 Depth=1
	v_ffbh_u32_e32 v8, v6
	v_min_u32_e32 v8, 32, v8
	v_subrev_nc_u32_e32 v10, 28, v8
	v_sub_nc_u32_e32 v8, 29, v8
	v_lshlrev_b64 v[18:19], v10, v[6:7]
	v_and_b32_e32 v6, 7, v18
; %bb.858:                              ;   in Loop: Header=BB214_810 Depth=1
	s_or_b32 exec_lo, exec_lo, s17
	v_lshlrev_b32_e32 v10, 16, v12
	v_lshlrev_b32_e32 v6, 20, v6
	v_lshl_add_u32 v8, v8, 23, 0x3c000000
	v_mov_b32_e32 v18, v7
	v_and_b32_e32 v10, 0x80000000, v10
	v_or3_b32 v19, v6, v10, v8
.LBB214_859:                            ;   in Loop: Header=BB214_810 Depth=1
	s_or_b32 exec_lo, exec_lo, s16
.LBB214_860:                            ;   in Loop: Header=BB214_810 Depth=1
	s_or_b32 exec_lo, exec_lo, s15
.LBB214_861:                            ;   in Loop: Header=BB214_810 Depth=1
	s_or_b32 exec_lo, exec_lo, s13
	v_mov_b32_e32 v22, 0
	v_mov_b32_e32 v20, 0
	v_and_b32_sdwa v6, v12, v83 dst_sel:DWORD dst_unused:UNUSED_PAD src0_sel:WORD_1 src1_sel:DWORD
	v_mov_b32_e32 v23, 0
	v_mov_b32_e32 v21, 0
	s_mov_b32 s13, exec_lo
	v_cmpx_ne_u16_e32 0, v6
	s_cbranch_execz .LBB214_869
; %bb.862:                              ;   in Loop: Header=BB214_810 Depth=1
	v_bfrev_b32_e32 v20, 1
	v_mov_b32_e32 v21, 0
	s_mov_b32 s15, exec_lo
	v_cmpx_ne_u16_e32 0x80, v6
	s_cbranch_execz .LBB214_868
; %bb.863:                              ;   in Loop: Header=BB214_810 Depth=1
	v_mov_b32_e32 v20, 0x7f800001
	v_bfe_u32 v10, v12, 16, 7
	v_mov_b32_e32 v21, 0
	s_mov_b32 s16, exec_lo
	v_cmpx_ne_u32_e32 0x7f, v10
	s_cbranch_execz .LBB214_867
; %bb.864:                              ;   in Loop: Header=BB214_810 Depth=1
	v_mov_b32_e32 v6, 7
	v_lshrrev_b32_e32 v8, 3, v10
	s_mov_b32 s17, exec_lo
	v_and_b32_sdwa v6, v12, v6 dst_sel:DWORD dst_unused:UNUSED_PAD src0_sel:WORD_1 src1_sel:DWORD
	v_cmpx_gt_u32_e32 8, v10
; %bb.865:                              ;   in Loop: Header=BB214_810 Depth=1
	v_ffbh_u32_e32 v8, v6
	v_min_u32_e32 v8, 32, v8
	v_subrev_nc_u32_e32 v10, 28, v8
	v_sub_nc_u32_e32 v8, 29, v8
	v_lshlrev_b64 v[20:21], v10, v[6:7]
	v_and_b32_e32 v6, 7, v20
; %bb.866:                              ;   in Loop: Header=BB214_810 Depth=1
	s_or_b32 exec_lo, exec_lo, s17
	v_mov_b32_e32 v10, 24
	v_lshlrev_b32_e32 v6, 20, v6
	v_lshl_add_u32 v8, v8, 23, 0x3c000000
	v_lshlrev_b32_sdwa v10, v10, v12 dst_sel:DWORD dst_unused:UNUSED_PAD src0_sel:DWORD src1_sel:WORD_1
	v_and_b32_e32 v10, 0x80000000, v10
	v_or3_b32 v6, v6, v10, v8
	v_mov_b32_e32 v21, v7
	v_mov_b32_e32 v20, v6
.LBB214_867:                            ;   in Loop: Header=BB214_810 Depth=1
	s_or_b32 exec_lo, exec_lo, s16
.LBB214_868:                            ;   in Loop: Header=BB214_810 Depth=1
	s_or_b32 exec_lo, exec_lo, s15
.LBB214_869:                            ;   in Loop: Header=BB214_810 Depth=1
	s_or_b32 exec_lo, exec_lo, s13
	s_mov_b32 s13, exec_lo
	v_cmpx_lt_u32_e32 0xffffff, v12
	s_cbranch_execz .LBB214_877
; %bb.870:                              ;   in Loop: Header=BB214_810 Depth=1
	v_mov_b32_e32 v8, v7
	v_mov_b32_e32 v23, v9
	v_cmp_ne_u32_sdwa s4, v12, v81 src0_sel:BYTE_3 src1_sel:DWORD
	v_mov_b32_e32 v22, v8
	s_and_saveexec_b32 s15, s4
	s_cbranch_execz .LBB214_876
; %bb.871:                              ;   in Loop: Header=BB214_810 Depth=1
	v_mov_b32_e32 v10, v7
	v_mov_b32_e32 v23, v11
	v_bfe_u32 v13, v12, 24, 7
	s_mov_b32 s16, exec_lo
	v_mov_b32_e32 v22, v10
	v_cmpx_ne_u32_e32 0x7f, v13
	s_cbranch_execz .LBB214_875
; %bb.872:                              ;   in Loop: Header=BB214_810 Depth=1
	v_mov_b32_e32 v6, 7
	v_lshrrev_b32_e32 v8, 3, v13
	s_mov_b32 s17, exec_lo
	v_and_b32_sdwa v6, v12, v6 dst_sel:DWORD dst_unused:UNUSED_PAD src0_sel:BYTE_3 src1_sel:DWORD
	v_cmpx_gt_u32_e32 8, v13
; %bb.873:                              ;   in Loop: Header=BB214_810 Depth=1
	v_ffbh_u32_e32 v8, v6
	v_min_u32_e32 v8, 32, v8
	v_subrev_nc_u32_e32 v10, 28, v8
	v_sub_nc_u32_e32 v8, 29, v8
	v_lshlrev_b64 v[22:23], v10, v[6:7]
	v_and_b32_e32 v6, 7, v22
; %bb.874:                              ;   in Loop: Header=BB214_810 Depth=1
	s_or_b32 exec_lo, exec_lo, s17
	v_mov_b32_e32 v10, 24
	v_lshlrev_b32_e32 v6, 20, v6
	v_lshl_add_u32 v8, v8, 23, 0x3c000000
	v_mov_b32_e32 v22, v7
	v_lshlrev_b32_sdwa v10, v10, v12 dst_sel:DWORD dst_unused:UNUSED_PAD src0_sel:DWORD src1_sel:BYTE_3
	v_and_b32_e32 v10, 0x80000000, v10
	v_or3_b32 v23, v6, v10, v8
.LBB214_875:                            ;   in Loop: Header=BB214_810 Depth=1
	s_or_b32 exec_lo, exec_lo, s16
.LBB214_876:                            ;   in Loop: Header=BB214_810 Depth=1
	s_or_b32 exec_lo, exec_lo, s15
.LBB214_877:                            ;   in Loop: Header=BB214_810 Depth=1
	s_or_b32 exec_lo, exec_lo, s13
	v_or_b32_e32 v6, v19, v17
	v_or_b32_e32 v8, v18, v16
	;; [unrolled: 1-line block ×4, first 2 shown]
	v_mul_f32_e32 v117, v96, v6
	v_mul_f32_e32 v116, v96, v8
	;; [unrolled: 1-line block ×4, first 2 shown]
	s_and_saveexec_b32 s13, vcc_lo
	s_cbranch_execz .LBB214_879
; %bb.878:                              ;   in Loop: Header=BB214_810 Depth=1
	v_cmp_lt_i32_e64 s4, v101, v27
	v_cndmask_b32_e64 v116, 0, v116, s4
	v_cmp_lt_i32_e64 s4, v113, v27
	v_cndmask_b32_e64 v117, 0, v117, s4
	;; [unrolled: 2-line block ×4, first 2 shown]
.LBB214_879:                            ;   in Loop: Header=BB214_810 Depth=1
	s_or_b32 exec_lo, exec_lo, s13
	flat_load_dword v12, v[4:5] offset:256
	v_mov_b32_e32 v18, 0
	v_mov_b32_e32 v16, 0
	v_mov_b32_e32 v19, 0
	v_mov_b32_e32 v17, 0
	s_waitcnt vmcnt(0) lgkmcnt(0)
	v_cmp_ne_u16_sdwa s4, v12, v7 src0_sel:BYTE_0 src1_sel:DWORD
	s_and_saveexec_b32 s13, s4
	s_cbranch_execz .LBB214_887
; %bb.880:                              ;   in Loop: Header=BB214_810 Depth=1
	v_bfrev_b32_e32 v16, 1
	v_mov_b32_e32 v17, 0
	v_cmp_ne_u16_sdwa s4, v12, v81 src0_sel:BYTE_0 src1_sel:DWORD
	s_and_saveexec_b32 s15, s4
	s_cbranch_execz .LBB214_886
; %bb.881:                              ;   in Loop: Header=BB214_810 Depth=1
	v_mov_b32_e32 v16, 0x7f800001
	v_and_b32_e32 v10, 0x7f, v12
	v_mov_b32_e32 v17, 0
	s_mov_b32 s16, exec_lo
	v_cmpx_ne_u32_e32 0x7f, v10
	s_cbranch_execz .LBB214_885
; %bb.882:                              ;   in Loop: Header=BB214_810 Depth=1
	v_and_b32_e32 v6, 7, v12
	v_lshrrev_b32_e32 v8, 3, v10
	s_mov_b32 s17, exec_lo
	v_cmpx_gt_u32_e32 8, v10
; %bb.883:                              ;   in Loop: Header=BB214_810 Depth=1
	v_ffbh_u32_e32 v8, v6
	v_min_u32_e32 v8, 32, v8
	v_subrev_nc_u32_e32 v10, 28, v8
	v_sub_nc_u32_e32 v8, 29, v8
	v_lshlrev_b64 v[16:17], v10, v[6:7]
	v_and_b32_e32 v6, 7, v16
; %bb.884:                              ;   in Loop: Header=BB214_810 Depth=1
	s_or_b32 exec_lo, exec_lo, s17
	v_lshlrev_b32_e32 v10, 24, v12
	v_lshlrev_b32_e32 v6, 20, v6
	v_lshl_add_u32 v8, v8, 23, 0x3c000000
	v_and_b32_e32 v10, 0x80000000, v10
	v_or3_b32 v6, v6, v10, v8
	v_mov_b32_e32 v17, v7
	v_mov_b32_e32 v16, v6
.LBB214_885:                            ;   in Loop: Header=BB214_810 Depth=1
	s_or_b32 exec_lo, exec_lo, s16
.LBB214_886:                            ;   in Loop: Header=BB214_810 Depth=1
	s_or_b32 exec_lo, exec_lo, s15
.LBB214_887:                            ;   in Loop: Header=BB214_810 Depth=1
	s_or_b32 exec_lo, exec_lo, s13
	v_cmp_ne_u16_sdwa s4, v12, v7 src0_sel:BYTE_1 src1_sel:DWORD
	s_and_saveexec_b32 s13, s4
	s_cbranch_execz .LBB214_895
; %bb.888:                              ;   in Loop: Header=BB214_810 Depth=1
	v_mov_b32_e32 v8, v7
	v_mov_b32_e32 v19, v9
	v_cmp_ne_u16_sdwa s4, v12, v81 src0_sel:BYTE_1 src1_sel:DWORD
	v_mov_b32_e32 v18, v8
	s_and_saveexec_b32 s15, s4
	s_cbranch_execz .LBB214_894
; %bb.889:                              ;   in Loop: Header=BB214_810 Depth=1
	v_mov_b32_e32 v6, 0xffff
	v_mov_b32_e32 v10, v7
	;; [unrolled: 1-line block ×3, first 2 shown]
	s_mov_b32 s16, exec_lo
	v_and_b32_sdwa v6, v6, v12 dst_sel:DWORD dst_unused:UNUSED_PAD src0_sel:DWORD src1_sel:BYTE_1
	v_mov_b32_e32 v18, v10
	v_and_b32_e32 v13, 0x7f, v6
	v_cmpx_ne_u32_e32 0x7f, v13
	s_cbranch_execz .LBB214_893
; %bb.890:                              ;   in Loop: Header=BB214_810 Depth=1
	v_and_b32_e32 v6, 7, v6
	v_lshrrev_b32_e32 v8, 3, v13
	s_mov_b32 s17, exec_lo
	v_cmpx_gt_u32_e32 8, v13
; %bb.891:                              ;   in Loop: Header=BB214_810 Depth=1
	v_ffbh_u32_e32 v8, v6
	v_min_u32_e32 v8, 32, v8
	v_subrev_nc_u32_e32 v10, 28, v8
	v_sub_nc_u32_e32 v8, 29, v8
	v_lshlrev_b64 v[18:19], v10, v[6:7]
	v_and_b32_e32 v6, 7, v18
; %bb.892:                              ;   in Loop: Header=BB214_810 Depth=1
	s_or_b32 exec_lo, exec_lo, s17
	v_lshlrev_b32_e32 v10, 16, v12
	v_lshlrev_b32_e32 v6, 20, v6
	v_lshl_add_u32 v8, v8, 23, 0x3c000000
	v_mov_b32_e32 v18, v7
	v_and_b32_e32 v10, 0x80000000, v10
	v_or3_b32 v19, v6, v10, v8
.LBB214_893:                            ;   in Loop: Header=BB214_810 Depth=1
	s_or_b32 exec_lo, exec_lo, s16
.LBB214_894:                            ;   in Loop: Header=BB214_810 Depth=1
	s_or_b32 exec_lo, exec_lo, s15
.LBB214_895:                            ;   in Loop: Header=BB214_810 Depth=1
	s_or_b32 exec_lo, exec_lo, s13
	v_mov_b32_e32 v22, 0
	v_mov_b32_e32 v20, 0
	v_and_b32_sdwa v6, v12, v83 dst_sel:DWORD dst_unused:UNUSED_PAD src0_sel:WORD_1 src1_sel:DWORD
	v_mov_b32_e32 v23, 0
	v_mov_b32_e32 v21, 0
	s_mov_b32 s13, exec_lo
	v_cmpx_ne_u16_e32 0, v6
	s_cbranch_execz .LBB214_903
; %bb.896:                              ;   in Loop: Header=BB214_810 Depth=1
	v_bfrev_b32_e32 v20, 1
	v_mov_b32_e32 v21, 0
	s_mov_b32 s15, exec_lo
	v_cmpx_ne_u16_e32 0x80, v6
	s_cbranch_execz .LBB214_902
; %bb.897:                              ;   in Loop: Header=BB214_810 Depth=1
	v_mov_b32_e32 v20, 0x7f800001
	v_bfe_u32 v10, v12, 16, 7
	v_mov_b32_e32 v21, 0
	s_mov_b32 s16, exec_lo
	v_cmpx_ne_u32_e32 0x7f, v10
	s_cbranch_execz .LBB214_901
; %bb.898:                              ;   in Loop: Header=BB214_810 Depth=1
	v_mov_b32_e32 v6, 7
	v_lshrrev_b32_e32 v8, 3, v10
	s_mov_b32 s17, exec_lo
	v_and_b32_sdwa v6, v12, v6 dst_sel:DWORD dst_unused:UNUSED_PAD src0_sel:WORD_1 src1_sel:DWORD
	v_cmpx_gt_u32_e32 8, v10
; %bb.899:                              ;   in Loop: Header=BB214_810 Depth=1
	v_ffbh_u32_e32 v8, v6
	v_min_u32_e32 v8, 32, v8
	v_subrev_nc_u32_e32 v10, 28, v8
	v_sub_nc_u32_e32 v8, 29, v8
	v_lshlrev_b64 v[20:21], v10, v[6:7]
	v_and_b32_e32 v6, 7, v20
; %bb.900:                              ;   in Loop: Header=BB214_810 Depth=1
	s_or_b32 exec_lo, exec_lo, s17
	v_mov_b32_e32 v10, 24
	v_lshlrev_b32_e32 v6, 20, v6
	v_lshl_add_u32 v8, v8, 23, 0x3c000000
	v_lshlrev_b32_sdwa v10, v10, v12 dst_sel:DWORD dst_unused:UNUSED_PAD src0_sel:DWORD src1_sel:WORD_1
	v_and_b32_e32 v10, 0x80000000, v10
	v_or3_b32 v6, v6, v10, v8
	v_mov_b32_e32 v21, v7
	v_mov_b32_e32 v20, v6
.LBB214_901:                            ;   in Loop: Header=BB214_810 Depth=1
	s_or_b32 exec_lo, exec_lo, s16
.LBB214_902:                            ;   in Loop: Header=BB214_810 Depth=1
	s_or_b32 exec_lo, exec_lo, s15
.LBB214_903:                            ;   in Loop: Header=BB214_810 Depth=1
	s_or_b32 exec_lo, exec_lo, s13
	s_mov_b32 s13, exec_lo
	v_cmpx_lt_u32_e32 0xffffff, v12
	s_cbranch_execz .LBB214_911
; %bb.904:                              ;   in Loop: Header=BB214_810 Depth=1
	v_mov_b32_e32 v8, v7
	v_mov_b32_e32 v23, v9
	v_cmp_ne_u32_sdwa s4, v12, v81 src0_sel:BYTE_3 src1_sel:DWORD
	v_mov_b32_e32 v22, v8
	s_and_saveexec_b32 s15, s4
	s_cbranch_execz .LBB214_910
; %bb.905:                              ;   in Loop: Header=BB214_810 Depth=1
	v_mov_b32_e32 v10, v7
	v_mov_b32_e32 v23, v11
	v_bfe_u32 v13, v12, 24, 7
	s_mov_b32 s16, exec_lo
	v_mov_b32_e32 v22, v10
	v_cmpx_ne_u32_e32 0x7f, v13
	s_cbranch_execz .LBB214_909
; %bb.906:                              ;   in Loop: Header=BB214_810 Depth=1
	v_mov_b32_e32 v6, 7
	v_lshrrev_b32_e32 v8, 3, v13
	s_mov_b32 s17, exec_lo
	v_and_b32_sdwa v6, v12, v6 dst_sel:DWORD dst_unused:UNUSED_PAD src0_sel:BYTE_3 src1_sel:DWORD
	v_cmpx_gt_u32_e32 8, v13
; %bb.907:                              ;   in Loop: Header=BB214_810 Depth=1
	v_ffbh_u32_e32 v8, v6
	v_min_u32_e32 v8, 32, v8
	v_subrev_nc_u32_e32 v10, 28, v8
	v_sub_nc_u32_e32 v8, 29, v8
	v_lshlrev_b64 v[22:23], v10, v[6:7]
	v_and_b32_e32 v6, 7, v22
; %bb.908:                              ;   in Loop: Header=BB214_810 Depth=1
	s_or_b32 exec_lo, exec_lo, s17
	v_mov_b32_e32 v10, 24
	v_lshlrev_b32_e32 v6, 20, v6
	v_lshl_add_u32 v8, v8, 23, 0x3c000000
	v_mov_b32_e32 v22, v7
	v_lshlrev_b32_sdwa v10, v10, v12 dst_sel:DWORD dst_unused:UNUSED_PAD src0_sel:DWORD src1_sel:BYTE_3
	v_and_b32_e32 v10, 0x80000000, v10
	v_or3_b32 v23, v6, v10, v8
.LBB214_909:                            ;   in Loop: Header=BB214_810 Depth=1
	s_or_b32 exec_lo, exec_lo, s16
.LBB214_910:                            ;   in Loop: Header=BB214_810 Depth=1
	s_or_b32 exec_lo, exec_lo, s15
.LBB214_911:                            ;   in Loop: Header=BB214_810 Depth=1
	s_or_b32 exec_lo, exec_lo, s13
	v_or_b32_e32 v6, v19, v17
	v_or_b32_e32 v8, v18, v16
	v_or_b32_e32 v10, v22, v20
	v_or_b32_e32 v12, v23, v21
	v_mul_f32_e32 v41, v96, v6
	v_mul_f32_e32 v40, v96, v8
	;; [unrolled: 1-line block ×4, first 2 shown]
	s_and_saveexec_b32 s13, vcc_lo
	s_cbranch_execz .LBB214_913
; %bb.912:                              ;   in Loop: Header=BB214_810 Depth=1
	v_cmp_lt_i32_e64 s4, v101, v27
	v_cndmask_b32_e64 v40, 0, v40, s4
	v_cmp_lt_i32_e64 s4, v113, v27
	v_cndmask_b32_e64 v41, 0, v41, s4
	;; [unrolled: 2-line block ×4, first 2 shown]
.LBB214_913:                            ;   in Loop: Header=BB214_810 Depth=1
	s_or_b32 exec_lo, exec_lo, s13
	flat_load_dword v12, v[4:5] offset:384
	v_mov_b32_e32 v18, 0
	v_mov_b32_e32 v16, 0
	;; [unrolled: 1-line block ×4, first 2 shown]
	s_waitcnt vmcnt(0) lgkmcnt(0)
	v_cmp_ne_u16_sdwa s4, v12, v7 src0_sel:BYTE_0 src1_sel:DWORD
	s_and_saveexec_b32 s13, s4
	s_cbranch_execz .LBB214_921
; %bb.914:                              ;   in Loop: Header=BB214_810 Depth=1
	v_bfrev_b32_e32 v16, 1
	v_mov_b32_e32 v17, 0
	v_cmp_ne_u16_sdwa s4, v12, v81 src0_sel:BYTE_0 src1_sel:DWORD
	s_and_saveexec_b32 s15, s4
	s_cbranch_execz .LBB214_920
; %bb.915:                              ;   in Loop: Header=BB214_810 Depth=1
	v_mov_b32_e32 v16, 0x7f800001
	v_and_b32_e32 v10, 0x7f, v12
	v_mov_b32_e32 v17, 0
	s_mov_b32 s16, exec_lo
	v_cmpx_ne_u32_e32 0x7f, v10
	s_cbranch_execz .LBB214_919
; %bb.916:                              ;   in Loop: Header=BB214_810 Depth=1
	v_and_b32_e32 v6, 7, v12
	v_lshrrev_b32_e32 v8, 3, v10
	s_mov_b32 s17, exec_lo
	v_cmpx_gt_u32_e32 8, v10
; %bb.917:                              ;   in Loop: Header=BB214_810 Depth=1
	v_ffbh_u32_e32 v8, v6
	v_min_u32_e32 v8, 32, v8
	v_subrev_nc_u32_e32 v10, 28, v8
	v_sub_nc_u32_e32 v8, 29, v8
	v_lshlrev_b64 v[16:17], v10, v[6:7]
	v_and_b32_e32 v6, 7, v16
; %bb.918:                              ;   in Loop: Header=BB214_810 Depth=1
	s_or_b32 exec_lo, exec_lo, s17
	v_lshlrev_b32_e32 v10, 24, v12
	v_lshlrev_b32_e32 v6, 20, v6
	v_lshl_add_u32 v8, v8, 23, 0x3c000000
	v_and_b32_e32 v10, 0x80000000, v10
	v_or3_b32 v6, v6, v10, v8
	v_mov_b32_e32 v17, v7
	v_mov_b32_e32 v16, v6
.LBB214_919:                            ;   in Loop: Header=BB214_810 Depth=1
	s_or_b32 exec_lo, exec_lo, s16
.LBB214_920:                            ;   in Loop: Header=BB214_810 Depth=1
	s_or_b32 exec_lo, exec_lo, s15
.LBB214_921:                            ;   in Loop: Header=BB214_810 Depth=1
	s_or_b32 exec_lo, exec_lo, s13
	v_cmp_ne_u16_sdwa s4, v12, v7 src0_sel:BYTE_1 src1_sel:DWORD
	s_and_saveexec_b32 s13, s4
	s_cbranch_execz .LBB214_929
; %bb.922:                              ;   in Loop: Header=BB214_810 Depth=1
	v_mov_b32_e32 v8, v7
	v_mov_b32_e32 v19, v9
	v_cmp_ne_u16_sdwa s4, v12, v81 src0_sel:BYTE_1 src1_sel:DWORD
	v_mov_b32_e32 v18, v8
	s_and_saveexec_b32 s15, s4
	s_cbranch_execz .LBB214_928
; %bb.923:                              ;   in Loop: Header=BB214_810 Depth=1
	v_mov_b32_e32 v6, 0xffff
	v_mov_b32_e32 v10, v7
	;; [unrolled: 1-line block ×3, first 2 shown]
	s_mov_b32 s16, exec_lo
	v_and_b32_sdwa v6, v6, v12 dst_sel:DWORD dst_unused:UNUSED_PAD src0_sel:DWORD src1_sel:BYTE_1
	v_mov_b32_e32 v18, v10
	v_and_b32_e32 v13, 0x7f, v6
	v_cmpx_ne_u32_e32 0x7f, v13
	s_cbranch_execz .LBB214_927
; %bb.924:                              ;   in Loop: Header=BB214_810 Depth=1
	v_and_b32_e32 v6, 7, v6
	v_lshrrev_b32_e32 v8, 3, v13
	s_mov_b32 s17, exec_lo
	v_cmpx_gt_u32_e32 8, v13
; %bb.925:                              ;   in Loop: Header=BB214_810 Depth=1
	v_ffbh_u32_e32 v8, v6
	v_min_u32_e32 v8, 32, v8
	v_subrev_nc_u32_e32 v10, 28, v8
	v_sub_nc_u32_e32 v8, 29, v8
	v_lshlrev_b64 v[18:19], v10, v[6:7]
	v_and_b32_e32 v6, 7, v18
; %bb.926:                              ;   in Loop: Header=BB214_810 Depth=1
	s_or_b32 exec_lo, exec_lo, s17
	v_lshlrev_b32_e32 v10, 16, v12
	v_lshlrev_b32_e32 v6, 20, v6
	v_lshl_add_u32 v8, v8, 23, 0x3c000000
	v_mov_b32_e32 v18, v7
	v_and_b32_e32 v10, 0x80000000, v10
	v_or3_b32 v19, v6, v10, v8
.LBB214_927:                            ;   in Loop: Header=BB214_810 Depth=1
	s_or_b32 exec_lo, exec_lo, s16
.LBB214_928:                            ;   in Loop: Header=BB214_810 Depth=1
	s_or_b32 exec_lo, exec_lo, s15
.LBB214_929:                            ;   in Loop: Header=BB214_810 Depth=1
	s_or_b32 exec_lo, exec_lo, s13
	v_mov_b32_e32 v22, 0
	v_mov_b32_e32 v20, 0
	v_and_b32_sdwa v6, v12, v83 dst_sel:DWORD dst_unused:UNUSED_PAD src0_sel:WORD_1 src1_sel:DWORD
	v_mov_b32_e32 v23, 0
	v_mov_b32_e32 v21, 0
	s_mov_b32 s13, exec_lo
	v_cmpx_ne_u16_e32 0, v6
	s_cbranch_execz .LBB214_937
; %bb.930:                              ;   in Loop: Header=BB214_810 Depth=1
	v_bfrev_b32_e32 v20, 1
	v_mov_b32_e32 v21, 0
	s_mov_b32 s15, exec_lo
	v_cmpx_ne_u16_e32 0x80, v6
	s_cbranch_execz .LBB214_936
; %bb.931:                              ;   in Loop: Header=BB214_810 Depth=1
	v_mov_b32_e32 v20, 0x7f800001
	v_bfe_u32 v10, v12, 16, 7
	v_mov_b32_e32 v21, 0
	s_mov_b32 s16, exec_lo
	v_cmpx_ne_u32_e32 0x7f, v10
	s_cbranch_execz .LBB214_935
; %bb.932:                              ;   in Loop: Header=BB214_810 Depth=1
	v_mov_b32_e32 v6, 7
	v_lshrrev_b32_e32 v8, 3, v10
	s_mov_b32 s17, exec_lo
	v_and_b32_sdwa v6, v12, v6 dst_sel:DWORD dst_unused:UNUSED_PAD src0_sel:WORD_1 src1_sel:DWORD
	v_cmpx_gt_u32_e32 8, v10
; %bb.933:                              ;   in Loop: Header=BB214_810 Depth=1
	v_ffbh_u32_e32 v8, v6
	v_min_u32_e32 v8, 32, v8
	v_subrev_nc_u32_e32 v10, 28, v8
	v_sub_nc_u32_e32 v8, 29, v8
	v_lshlrev_b64 v[20:21], v10, v[6:7]
	v_and_b32_e32 v6, 7, v20
; %bb.934:                              ;   in Loop: Header=BB214_810 Depth=1
	s_or_b32 exec_lo, exec_lo, s17
	v_mov_b32_e32 v10, 24
	v_lshlrev_b32_e32 v6, 20, v6
	v_lshl_add_u32 v8, v8, 23, 0x3c000000
	v_lshlrev_b32_sdwa v10, v10, v12 dst_sel:DWORD dst_unused:UNUSED_PAD src0_sel:DWORD src1_sel:WORD_1
	v_and_b32_e32 v10, 0x80000000, v10
	v_or3_b32 v6, v6, v10, v8
	v_mov_b32_e32 v21, v7
	v_mov_b32_e32 v20, v6
.LBB214_935:                            ;   in Loop: Header=BB214_810 Depth=1
	s_or_b32 exec_lo, exec_lo, s16
.LBB214_936:                            ;   in Loop: Header=BB214_810 Depth=1
	s_or_b32 exec_lo, exec_lo, s15
.LBB214_937:                            ;   in Loop: Header=BB214_810 Depth=1
	s_or_b32 exec_lo, exec_lo, s13
	s_mov_b32 s13, exec_lo
	v_cmpx_lt_u32_e32 0xffffff, v12
	s_cbranch_execz .LBB214_945
; %bb.938:                              ;   in Loop: Header=BB214_810 Depth=1
	v_mov_b32_e32 v8, v7
	v_mov_b32_e32 v23, v9
	v_cmp_ne_u32_sdwa s4, v12, v81 src0_sel:BYTE_3 src1_sel:DWORD
	v_mov_b32_e32 v22, v8
	s_and_saveexec_b32 s15, s4
	s_cbranch_execz .LBB214_944
; %bb.939:                              ;   in Loop: Header=BB214_810 Depth=1
	v_mov_b32_e32 v10, v7
	v_mov_b32_e32 v23, v11
	v_bfe_u32 v13, v12, 24, 7
	s_mov_b32 s16, exec_lo
	v_mov_b32_e32 v22, v10
	v_cmpx_ne_u32_e32 0x7f, v13
	s_cbranch_execz .LBB214_943
; %bb.940:                              ;   in Loop: Header=BB214_810 Depth=1
	v_mov_b32_e32 v6, 7
	v_lshrrev_b32_e32 v8, 3, v13
	s_mov_b32 s17, exec_lo
	v_and_b32_sdwa v6, v12, v6 dst_sel:DWORD dst_unused:UNUSED_PAD src0_sel:BYTE_3 src1_sel:DWORD
	v_cmpx_gt_u32_e32 8, v13
; %bb.941:                              ;   in Loop: Header=BB214_810 Depth=1
	v_ffbh_u32_e32 v8, v6
	v_min_u32_e32 v8, 32, v8
	v_subrev_nc_u32_e32 v10, 28, v8
	v_sub_nc_u32_e32 v8, 29, v8
	v_lshlrev_b64 v[22:23], v10, v[6:7]
	v_and_b32_e32 v6, 7, v22
; %bb.942:                              ;   in Loop: Header=BB214_810 Depth=1
	s_or_b32 exec_lo, exec_lo, s17
	v_mov_b32_e32 v10, 24
	v_lshlrev_b32_e32 v6, 20, v6
	v_lshl_add_u32 v8, v8, 23, 0x3c000000
	v_mov_b32_e32 v22, v7
	v_lshlrev_b32_sdwa v10, v10, v12 dst_sel:DWORD dst_unused:UNUSED_PAD src0_sel:DWORD src1_sel:BYTE_3
	v_and_b32_e32 v10, 0x80000000, v10
	v_or3_b32 v23, v6, v10, v8
.LBB214_943:                            ;   in Loop: Header=BB214_810 Depth=1
	s_or_b32 exec_lo, exec_lo, s16
.LBB214_944:                            ;   in Loop: Header=BB214_810 Depth=1
	s_or_b32 exec_lo, exec_lo, s15
.LBB214_945:                            ;   in Loop: Header=BB214_810 Depth=1
	s_or_b32 exec_lo, exec_lo, s13
	v_or_b32_e32 v6, v19, v17
	v_or_b32_e32 v8, v18, v16
	;; [unrolled: 1-line block ×4, first 2 shown]
	v_mul_f32_e32 v45, v96, v6
	v_mul_f32_e32 v44, v96, v8
	;; [unrolled: 1-line block ×4, first 2 shown]
	s_and_saveexec_b32 s13, vcc_lo
	s_cbranch_execz .LBB214_947
; %bb.946:                              ;   in Loop: Header=BB214_810 Depth=1
	v_cmp_lt_i32_e64 s4, v101, v27
	v_cndmask_b32_e64 v44, 0, v44, s4
	v_cmp_lt_i32_e64 s4, v113, v27
	v_cndmask_b32_e64 v45, 0, v45, s4
	;; [unrolled: 2-line block ×4, first 2 shown]
.LBB214_947:                            ;   in Loop: Header=BB214_810 Depth=1
	s_or_b32 exec_lo, exec_lo, s13
	flat_load_dword v12, v[4:5] offset:512
	v_mov_b32_e32 v18, 0
	v_mov_b32_e32 v16, 0
	;; [unrolled: 1-line block ×4, first 2 shown]
	s_waitcnt vmcnt(0) lgkmcnt(0)
	v_cmp_ne_u16_sdwa s4, v12, v7 src0_sel:BYTE_0 src1_sel:DWORD
	s_and_saveexec_b32 s13, s4
	s_cbranch_execz .LBB214_955
; %bb.948:                              ;   in Loop: Header=BB214_810 Depth=1
	v_bfrev_b32_e32 v16, 1
	v_mov_b32_e32 v17, 0
	v_cmp_ne_u16_sdwa s4, v12, v81 src0_sel:BYTE_0 src1_sel:DWORD
	s_and_saveexec_b32 s15, s4
	s_cbranch_execz .LBB214_954
; %bb.949:                              ;   in Loop: Header=BB214_810 Depth=1
	v_mov_b32_e32 v16, 0x7f800001
	v_and_b32_e32 v10, 0x7f, v12
	v_mov_b32_e32 v17, 0
	s_mov_b32 s16, exec_lo
	v_cmpx_ne_u32_e32 0x7f, v10
	s_cbranch_execz .LBB214_953
; %bb.950:                              ;   in Loop: Header=BB214_810 Depth=1
	v_and_b32_e32 v6, 7, v12
	v_lshrrev_b32_e32 v8, 3, v10
	s_mov_b32 s17, exec_lo
	v_cmpx_gt_u32_e32 8, v10
; %bb.951:                              ;   in Loop: Header=BB214_810 Depth=1
	v_ffbh_u32_e32 v8, v6
	v_min_u32_e32 v8, 32, v8
	v_subrev_nc_u32_e32 v10, 28, v8
	v_sub_nc_u32_e32 v8, 29, v8
	v_lshlrev_b64 v[16:17], v10, v[6:7]
	v_and_b32_e32 v6, 7, v16
; %bb.952:                              ;   in Loop: Header=BB214_810 Depth=1
	s_or_b32 exec_lo, exec_lo, s17
	v_lshlrev_b32_e32 v10, 24, v12
	v_lshlrev_b32_e32 v6, 20, v6
	v_lshl_add_u32 v8, v8, 23, 0x3c000000
	v_and_b32_e32 v10, 0x80000000, v10
	v_or3_b32 v6, v6, v10, v8
	v_mov_b32_e32 v17, v7
	v_mov_b32_e32 v16, v6
.LBB214_953:                            ;   in Loop: Header=BB214_810 Depth=1
	s_or_b32 exec_lo, exec_lo, s16
.LBB214_954:                            ;   in Loop: Header=BB214_810 Depth=1
	s_or_b32 exec_lo, exec_lo, s15
.LBB214_955:                            ;   in Loop: Header=BB214_810 Depth=1
	s_or_b32 exec_lo, exec_lo, s13
	v_cmp_ne_u16_sdwa s4, v12, v7 src0_sel:BYTE_1 src1_sel:DWORD
	s_and_saveexec_b32 s13, s4
	s_cbranch_execz .LBB214_963
; %bb.956:                              ;   in Loop: Header=BB214_810 Depth=1
	v_mov_b32_e32 v8, v7
	v_mov_b32_e32 v19, v9
	v_cmp_ne_u16_sdwa s4, v12, v81 src0_sel:BYTE_1 src1_sel:DWORD
	v_mov_b32_e32 v18, v8
	s_and_saveexec_b32 s15, s4
	s_cbranch_execz .LBB214_962
; %bb.957:                              ;   in Loop: Header=BB214_810 Depth=1
	v_mov_b32_e32 v6, 0xffff
	v_mov_b32_e32 v10, v7
	;; [unrolled: 1-line block ×3, first 2 shown]
	s_mov_b32 s16, exec_lo
	v_and_b32_sdwa v6, v6, v12 dst_sel:DWORD dst_unused:UNUSED_PAD src0_sel:DWORD src1_sel:BYTE_1
	v_mov_b32_e32 v18, v10
	v_and_b32_e32 v13, 0x7f, v6
	v_cmpx_ne_u32_e32 0x7f, v13
	s_cbranch_execz .LBB214_961
; %bb.958:                              ;   in Loop: Header=BB214_810 Depth=1
	v_and_b32_e32 v6, 7, v6
	v_lshrrev_b32_e32 v8, 3, v13
	s_mov_b32 s17, exec_lo
	v_cmpx_gt_u32_e32 8, v13
; %bb.959:                              ;   in Loop: Header=BB214_810 Depth=1
	v_ffbh_u32_e32 v8, v6
	v_min_u32_e32 v8, 32, v8
	v_subrev_nc_u32_e32 v10, 28, v8
	v_sub_nc_u32_e32 v8, 29, v8
	v_lshlrev_b64 v[18:19], v10, v[6:7]
	v_and_b32_e32 v6, 7, v18
; %bb.960:                              ;   in Loop: Header=BB214_810 Depth=1
	s_or_b32 exec_lo, exec_lo, s17
	v_lshlrev_b32_e32 v10, 16, v12
	v_lshlrev_b32_e32 v6, 20, v6
	v_lshl_add_u32 v8, v8, 23, 0x3c000000
	v_mov_b32_e32 v18, v7
	v_and_b32_e32 v10, 0x80000000, v10
	v_or3_b32 v19, v6, v10, v8
.LBB214_961:                            ;   in Loop: Header=BB214_810 Depth=1
	s_or_b32 exec_lo, exec_lo, s16
.LBB214_962:                            ;   in Loop: Header=BB214_810 Depth=1
	s_or_b32 exec_lo, exec_lo, s15
.LBB214_963:                            ;   in Loop: Header=BB214_810 Depth=1
	s_or_b32 exec_lo, exec_lo, s13
	v_mov_b32_e32 v22, 0
	v_mov_b32_e32 v20, 0
	v_and_b32_sdwa v6, v12, v83 dst_sel:DWORD dst_unused:UNUSED_PAD src0_sel:WORD_1 src1_sel:DWORD
	v_mov_b32_e32 v23, 0
	v_mov_b32_e32 v21, 0
	s_mov_b32 s13, exec_lo
	v_cmpx_ne_u16_e32 0, v6
	s_cbranch_execz .LBB214_971
; %bb.964:                              ;   in Loop: Header=BB214_810 Depth=1
	v_bfrev_b32_e32 v20, 1
	v_mov_b32_e32 v21, 0
	s_mov_b32 s15, exec_lo
	v_cmpx_ne_u16_e32 0x80, v6
	s_cbranch_execz .LBB214_970
; %bb.965:                              ;   in Loop: Header=BB214_810 Depth=1
	v_mov_b32_e32 v20, 0x7f800001
	v_bfe_u32 v10, v12, 16, 7
	v_mov_b32_e32 v21, 0
	s_mov_b32 s16, exec_lo
	v_cmpx_ne_u32_e32 0x7f, v10
	s_cbranch_execz .LBB214_969
; %bb.966:                              ;   in Loop: Header=BB214_810 Depth=1
	v_mov_b32_e32 v6, 7
	v_lshrrev_b32_e32 v8, 3, v10
	s_mov_b32 s17, exec_lo
	v_and_b32_sdwa v6, v12, v6 dst_sel:DWORD dst_unused:UNUSED_PAD src0_sel:WORD_1 src1_sel:DWORD
	v_cmpx_gt_u32_e32 8, v10
; %bb.967:                              ;   in Loop: Header=BB214_810 Depth=1
	v_ffbh_u32_e32 v8, v6
	v_min_u32_e32 v8, 32, v8
	v_subrev_nc_u32_e32 v10, 28, v8
	v_sub_nc_u32_e32 v8, 29, v8
	v_lshlrev_b64 v[20:21], v10, v[6:7]
	v_and_b32_e32 v6, 7, v20
; %bb.968:                              ;   in Loop: Header=BB214_810 Depth=1
	s_or_b32 exec_lo, exec_lo, s17
	v_mov_b32_e32 v10, 24
	v_lshlrev_b32_e32 v6, 20, v6
	v_lshl_add_u32 v8, v8, 23, 0x3c000000
	v_lshlrev_b32_sdwa v10, v10, v12 dst_sel:DWORD dst_unused:UNUSED_PAD src0_sel:DWORD src1_sel:WORD_1
	v_and_b32_e32 v10, 0x80000000, v10
	v_or3_b32 v6, v6, v10, v8
	v_mov_b32_e32 v21, v7
	v_mov_b32_e32 v20, v6
.LBB214_969:                            ;   in Loop: Header=BB214_810 Depth=1
	s_or_b32 exec_lo, exec_lo, s16
.LBB214_970:                            ;   in Loop: Header=BB214_810 Depth=1
	s_or_b32 exec_lo, exec_lo, s15
.LBB214_971:                            ;   in Loop: Header=BB214_810 Depth=1
	s_or_b32 exec_lo, exec_lo, s13
	s_mov_b32 s13, exec_lo
	v_cmpx_lt_u32_e32 0xffffff, v12
	s_cbranch_execz .LBB214_979
; %bb.972:                              ;   in Loop: Header=BB214_810 Depth=1
	v_mov_b32_e32 v8, v7
	v_mov_b32_e32 v23, v9
	v_cmp_ne_u32_sdwa s4, v12, v81 src0_sel:BYTE_3 src1_sel:DWORD
	v_mov_b32_e32 v22, v8
	s_and_saveexec_b32 s15, s4
	s_cbranch_execz .LBB214_978
; %bb.973:                              ;   in Loop: Header=BB214_810 Depth=1
	v_mov_b32_e32 v10, v7
	v_mov_b32_e32 v23, v11
	v_bfe_u32 v13, v12, 24, 7
	s_mov_b32 s16, exec_lo
	v_mov_b32_e32 v22, v10
	v_cmpx_ne_u32_e32 0x7f, v13
	s_cbranch_execz .LBB214_977
; %bb.974:                              ;   in Loop: Header=BB214_810 Depth=1
	v_mov_b32_e32 v6, 7
	v_lshrrev_b32_e32 v8, 3, v13
	s_mov_b32 s17, exec_lo
	v_and_b32_sdwa v6, v12, v6 dst_sel:DWORD dst_unused:UNUSED_PAD src0_sel:BYTE_3 src1_sel:DWORD
	v_cmpx_gt_u32_e32 8, v13
; %bb.975:                              ;   in Loop: Header=BB214_810 Depth=1
	v_ffbh_u32_e32 v8, v6
	v_min_u32_e32 v8, 32, v8
	v_subrev_nc_u32_e32 v10, 28, v8
	v_sub_nc_u32_e32 v8, 29, v8
	v_lshlrev_b64 v[22:23], v10, v[6:7]
	v_and_b32_e32 v6, 7, v22
; %bb.976:                              ;   in Loop: Header=BB214_810 Depth=1
	s_or_b32 exec_lo, exec_lo, s17
	v_mov_b32_e32 v10, 24
	v_lshlrev_b32_e32 v6, 20, v6
	v_lshl_add_u32 v8, v8, 23, 0x3c000000
	v_mov_b32_e32 v22, v7
	v_lshlrev_b32_sdwa v10, v10, v12 dst_sel:DWORD dst_unused:UNUSED_PAD src0_sel:DWORD src1_sel:BYTE_3
	v_and_b32_e32 v10, 0x80000000, v10
	v_or3_b32 v23, v6, v10, v8
.LBB214_977:                            ;   in Loop: Header=BB214_810 Depth=1
	s_or_b32 exec_lo, exec_lo, s16
.LBB214_978:                            ;   in Loop: Header=BB214_810 Depth=1
	s_or_b32 exec_lo, exec_lo, s15
.LBB214_979:                            ;   in Loop: Header=BB214_810 Depth=1
	s_or_b32 exec_lo, exec_lo, s13
	v_or_b32_e32 v6, v19, v17
	v_or_b32_e32 v8, v18, v16
	;; [unrolled: 1-line block ×4, first 2 shown]
	v_mul_f32_e32 v58, v96, v6
	v_mul_f32_e32 v57, v96, v8
	;; [unrolled: 1-line block ×4, first 2 shown]
	s_and_saveexec_b32 s13, vcc_lo
	s_cbranch_execz .LBB214_981
; %bb.980:                              ;   in Loop: Header=BB214_810 Depth=1
	v_cmp_lt_i32_e64 s4, v101, v27
	v_cndmask_b32_e64 v57, 0, v57, s4
	v_cmp_lt_i32_e64 s4, v113, v27
	v_cndmask_b32_e64 v58, 0, v58, s4
	;; [unrolled: 2-line block ×4, first 2 shown]
.LBB214_981:                            ;   in Loop: Header=BB214_810 Depth=1
	s_or_b32 exec_lo, exec_lo, s13
	flat_load_dword v12, v[4:5] offset:640
	v_mov_b32_e32 v18, 0
	v_mov_b32_e32 v16, 0
	;; [unrolled: 1-line block ×4, first 2 shown]
	s_waitcnt vmcnt(0) lgkmcnt(0)
	v_cmp_ne_u16_sdwa s4, v12, v7 src0_sel:BYTE_0 src1_sel:DWORD
	s_and_saveexec_b32 s13, s4
	s_cbranch_execz .LBB214_989
; %bb.982:                              ;   in Loop: Header=BB214_810 Depth=1
	v_bfrev_b32_e32 v16, 1
	v_mov_b32_e32 v17, 0
	v_cmp_ne_u16_sdwa s4, v12, v81 src0_sel:BYTE_0 src1_sel:DWORD
	s_and_saveexec_b32 s15, s4
	s_cbranch_execz .LBB214_988
; %bb.983:                              ;   in Loop: Header=BB214_810 Depth=1
	v_mov_b32_e32 v16, 0x7f800001
	v_and_b32_e32 v10, 0x7f, v12
	v_mov_b32_e32 v17, 0
	s_mov_b32 s16, exec_lo
	v_cmpx_ne_u32_e32 0x7f, v10
	s_cbranch_execz .LBB214_987
; %bb.984:                              ;   in Loop: Header=BB214_810 Depth=1
	v_and_b32_e32 v6, 7, v12
	v_lshrrev_b32_e32 v8, 3, v10
	s_mov_b32 s17, exec_lo
	v_cmpx_gt_u32_e32 8, v10
; %bb.985:                              ;   in Loop: Header=BB214_810 Depth=1
	v_ffbh_u32_e32 v8, v6
	v_min_u32_e32 v8, 32, v8
	v_subrev_nc_u32_e32 v10, 28, v8
	v_sub_nc_u32_e32 v8, 29, v8
	v_lshlrev_b64 v[16:17], v10, v[6:7]
	v_and_b32_e32 v6, 7, v16
; %bb.986:                              ;   in Loop: Header=BB214_810 Depth=1
	s_or_b32 exec_lo, exec_lo, s17
	v_lshlrev_b32_e32 v10, 24, v12
	v_lshlrev_b32_e32 v6, 20, v6
	v_lshl_add_u32 v8, v8, 23, 0x3c000000
	v_and_b32_e32 v10, 0x80000000, v10
	v_or3_b32 v6, v6, v10, v8
	v_mov_b32_e32 v17, v7
	v_mov_b32_e32 v16, v6
.LBB214_987:                            ;   in Loop: Header=BB214_810 Depth=1
	s_or_b32 exec_lo, exec_lo, s16
.LBB214_988:                            ;   in Loop: Header=BB214_810 Depth=1
	s_or_b32 exec_lo, exec_lo, s15
.LBB214_989:                            ;   in Loop: Header=BB214_810 Depth=1
	s_or_b32 exec_lo, exec_lo, s13
	v_cmp_ne_u16_sdwa s4, v12, v7 src0_sel:BYTE_1 src1_sel:DWORD
	s_and_saveexec_b32 s13, s4
	s_cbranch_execz .LBB214_997
; %bb.990:                              ;   in Loop: Header=BB214_810 Depth=1
	v_mov_b32_e32 v8, v7
	v_mov_b32_e32 v19, v9
	v_cmp_ne_u16_sdwa s4, v12, v81 src0_sel:BYTE_1 src1_sel:DWORD
	v_mov_b32_e32 v18, v8
	s_and_saveexec_b32 s15, s4
	s_cbranch_execz .LBB214_996
; %bb.991:                              ;   in Loop: Header=BB214_810 Depth=1
	v_mov_b32_e32 v6, 0xffff
	v_mov_b32_e32 v10, v7
	;; [unrolled: 1-line block ×3, first 2 shown]
	s_mov_b32 s16, exec_lo
	v_and_b32_sdwa v6, v6, v12 dst_sel:DWORD dst_unused:UNUSED_PAD src0_sel:DWORD src1_sel:BYTE_1
	v_mov_b32_e32 v18, v10
	v_and_b32_e32 v13, 0x7f, v6
	v_cmpx_ne_u32_e32 0x7f, v13
	s_cbranch_execz .LBB214_995
; %bb.992:                              ;   in Loop: Header=BB214_810 Depth=1
	v_and_b32_e32 v6, 7, v6
	v_lshrrev_b32_e32 v8, 3, v13
	s_mov_b32 s17, exec_lo
	v_cmpx_gt_u32_e32 8, v13
; %bb.993:                              ;   in Loop: Header=BB214_810 Depth=1
	v_ffbh_u32_e32 v8, v6
	v_min_u32_e32 v8, 32, v8
	v_subrev_nc_u32_e32 v10, 28, v8
	v_sub_nc_u32_e32 v8, 29, v8
	v_lshlrev_b64 v[18:19], v10, v[6:7]
	v_and_b32_e32 v6, 7, v18
; %bb.994:                              ;   in Loop: Header=BB214_810 Depth=1
	s_or_b32 exec_lo, exec_lo, s17
	v_lshlrev_b32_e32 v10, 16, v12
	v_lshlrev_b32_e32 v6, 20, v6
	v_lshl_add_u32 v8, v8, 23, 0x3c000000
	v_mov_b32_e32 v18, v7
	v_and_b32_e32 v10, 0x80000000, v10
	v_or3_b32 v19, v6, v10, v8
.LBB214_995:                            ;   in Loop: Header=BB214_810 Depth=1
	s_or_b32 exec_lo, exec_lo, s16
.LBB214_996:                            ;   in Loop: Header=BB214_810 Depth=1
	s_or_b32 exec_lo, exec_lo, s15
.LBB214_997:                            ;   in Loop: Header=BB214_810 Depth=1
	s_or_b32 exec_lo, exec_lo, s13
	v_mov_b32_e32 v22, 0
	v_mov_b32_e32 v20, 0
	v_and_b32_sdwa v6, v12, v83 dst_sel:DWORD dst_unused:UNUSED_PAD src0_sel:WORD_1 src1_sel:DWORD
	v_mov_b32_e32 v23, 0
	v_mov_b32_e32 v21, 0
	s_mov_b32 s13, exec_lo
	v_cmpx_ne_u16_e32 0, v6
	s_cbranch_execz .LBB214_1005
; %bb.998:                              ;   in Loop: Header=BB214_810 Depth=1
	v_bfrev_b32_e32 v20, 1
	v_mov_b32_e32 v21, 0
	s_mov_b32 s15, exec_lo
	v_cmpx_ne_u16_e32 0x80, v6
	s_cbranch_execz .LBB214_1004
; %bb.999:                              ;   in Loop: Header=BB214_810 Depth=1
	v_mov_b32_e32 v20, 0x7f800001
	v_bfe_u32 v10, v12, 16, 7
	v_mov_b32_e32 v21, 0
	s_mov_b32 s16, exec_lo
	v_cmpx_ne_u32_e32 0x7f, v10
	s_cbranch_execz .LBB214_1003
; %bb.1000:                             ;   in Loop: Header=BB214_810 Depth=1
	v_mov_b32_e32 v6, 7
	v_lshrrev_b32_e32 v8, 3, v10
	s_mov_b32 s17, exec_lo
	v_and_b32_sdwa v6, v12, v6 dst_sel:DWORD dst_unused:UNUSED_PAD src0_sel:WORD_1 src1_sel:DWORD
	v_cmpx_gt_u32_e32 8, v10
; %bb.1001:                             ;   in Loop: Header=BB214_810 Depth=1
	v_ffbh_u32_e32 v8, v6
	v_min_u32_e32 v8, 32, v8
	v_subrev_nc_u32_e32 v10, 28, v8
	v_sub_nc_u32_e32 v8, 29, v8
	v_lshlrev_b64 v[20:21], v10, v[6:7]
	v_and_b32_e32 v6, 7, v20
; %bb.1002:                             ;   in Loop: Header=BB214_810 Depth=1
	s_or_b32 exec_lo, exec_lo, s17
	v_mov_b32_e32 v10, 24
	v_lshlrev_b32_e32 v6, 20, v6
	v_lshl_add_u32 v8, v8, 23, 0x3c000000
	v_lshlrev_b32_sdwa v10, v10, v12 dst_sel:DWORD dst_unused:UNUSED_PAD src0_sel:DWORD src1_sel:WORD_1
	v_and_b32_e32 v10, 0x80000000, v10
	v_or3_b32 v6, v6, v10, v8
	v_mov_b32_e32 v21, v7
	v_mov_b32_e32 v20, v6
.LBB214_1003:                           ;   in Loop: Header=BB214_810 Depth=1
	s_or_b32 exec_lo, exec_lo, s16
.LBB214_1004:                           ;   in Loop: Header=BB214_810 Depth=1
	s_or_b32 exec_lo, exec_lo, s15
.LBB214_1005:                           ;   in Loop: Header=BB214_810 Depth=1
	s_or_b32 exec_lo, exec_lo, s13
	s_mov_b32 s13, exec_lo
	v_cmpx_lt_u32_e32 0xffffff, v12
	s_cbranch_execz .LBB214_1013
; %bb.1006:                             ;   in Loop: Header=BB214_810 Depth=1
	v_mov_b32_e32 v8, v7
	v_mov_b32_e32 v23, v9
	v_cmp_ne_u32_sdwa s4, v12, v81 src0_sel:BYTE_3 src1_sel:DWORD
	v_mov_b32_e32 v22, v8
	s_and_saveexec_b32 s15, s4
	s_cbranch_execz .LBB214_1012
; %bb.1007:                             ;   in Loop: Header=BB214_810 Depth=1
	v_mov_b32_e32 v10, v7
	v_mov_b32_e32 v23, v11
	v_bfe_u32 v13, v12, 24, 7
	s_mov_b32 s16, exec_lo
	v_mov_b32_e32 v22, v10
	v_cmpx_ne_u32_e32 0x7f, v13
	s_cbranch_execz .LBB214_1011
; %bb.1008:                             ;   in Loop: Header=BB214_810 Depth=1
	v_mov_b32_e32 v6, 7
	v_lshrrev_b32_e32 v8, 3, v13
	s_mov_b32 s17, exec_lo
	v_and_b32_sdwa v6, v12, v6 dst_sel:DWORD dst_unused:UNUSED_PAD src0_sel:BYTE_3 src1_sel:DWORD
	v_cmpx_gt_u32_e32 8, v13
; %bb.1009:                             ;   in Loop: Header=BB214_810 Depth=1
	v_ffbh_u32_e32 v8, v6
	v_min_u32_e32 v8, 32, v8
	v_subrev_nc_u32_e32 v10, 28, v8
	v_sub_nc_u32_e32 v8, 29, v8
	v_lshlrev_b64 v[22:23], v10, v[6:7]
	v_and_b32_e32 v6, 7, v22
; %bb.1010:                             ;   in Loop: Header=BB214_810 Depth=1
	s_or_b32 exec_lo, exec_lo, s17
	v_mov_b32_e32 v10, 24
	v_lshlrev_b32_e32 v6, 20, v6
	v_lshl_add_u32 v8, v8, 23, 0x3c000000
	v_mov_b32_e32 v22, v7
	v_lshlrev_b32_sdwa v10, v10, v12 dst_sel:DWORD dst_unused:UNUSED_PAD src0_sel:DWORD src1_sel:BYTE_3
	v_and_b32_e32 v10, 0x80000000, v10
	v_or3_b32 v23, v6, v10, v8
.LBB214_1011:                           ;   in Loop: Header=BB214_810 Depth=1
	s_or_b32 exec_lo, exec_lo, s16
.LBB214_1012:                           ;   in Loop: Header=BB214_810 Depth=1
	s_or_b32 exec_lo, exec_lo, s15
.LBB214_1013:                           ;   in Loop: Header=BB214_810 Depth=1
	s_or_b32 exec_lo, exec_lo, s13
	v_or_b32_e32 v6, v19, v17
	v_or_b32_e32 v8, v18, v16
	;; [unrolled: 1-line block ×4, first 2 shown]
	v_mul_f32_e32 v62, v96, v6
	v_mul_f32_e32 v61, v96, v8
	;; [unrolled: 1-line block ×4, first 2 shown]
	s_and_saveexec_b32 s13, vcc_lo
	s_cbranch_execz .LBB214_1015
; %bb.1014:                             ;   in Loop: Header=BB214_810 Depth=1
	v_cmp_lt_i32_e64 s4, v101, v27
	v_cndmask_b32_e64 v61, 0, v61, s4
	v_cmp_lt_i32_e64 s4, v113, v27
	v_cndmask_b32_e64 v62, 0, v62, s4
	;; [unrolled: 2-line block ×4, first 2 shown]
.LBB214_1015:                           ;   in Loop: Header=BB214_810 Depth=1
	s_or_b32 exec_lo, exec_lo, s13
	flat_load_dword v12, v[4:5] offset:768
	v_mov_b32_e32 v18, 0
	v_mov_b32_e32 v16, 0
	;; [unrolled: 1-line block ×4, first 2 shown]
	s_waitcnt vmcnt(0) lgkmcnt(0)
	v_cmp_ne_u16_sdwa s4, v12, v7 src0_sel:BYTE_0 src1_sel:DWORD
	s_and_saveexec_b32 s13, s4
	s_cbranch_execz .LBB214_1023
; %bb.1016:                             ;   in Loop: Header=BB214_810 Depth=1
	v_bfrev_b32_e32 v16, 1
	v_mov_b32_e32 v17, 0
	v_cmp_ne_u16_sdwa s4, v12, v81 src0_sel:BYTE_0 src1_sel:DWORD
	s_and_saveexec_b32 s15, s4
	s_cbranch_execz .LBB214_1022
; %bb.1017:                             ;   in Loop: Header=BB214_810 Depth=1
	v_mov_b32_e32 v16, 0x7f800001
	v_and_b32_e32 v10, 0x7f, v12
	v_mov_b32_e32 v17, 0
	s_mov_b32 s16, exec_lo
	v_cmpx_ne_u32_e32 0x7f, v10
	s_cbranch_execz .LBB214_1021
; %bb.1018:                             ;   in Loop: Header=BB214_810 Depth=1
	v_and_b32_e32 v6, 7, v12
	v_lshrrev_b32_e32 v8, 3, v10
	s_mov_b32 s17, exec_lo
	v_cmpx_gt_u32_e32 8, v10
; %bb.1019:                             ;   in Loop: Header=BB214_810 Depth=1
	v_ffbh_u32_e32 v8, v6
	v_min_u32_e32 v8, 32, v8
	v_subrev_nc_u32_e32 v10, 28, v8
	v_sub_nc_u32_e32 v8, 29, v8
	v_lshlrev_b64 v[16:17], v10, v[6:7]
	v_and_b32_e32 v6, 7, v16
; %bb.1020:                             ;   in Loop: Header=BB214_810 Depth=1
	s_or_b32 exec_lo, exec_lo, s17
	v_lshlrev_b32_e32 v10, 24, v12
	v_lshlrev_b32_e32 v6, 20, v6
	v_lshl_add_u32 v8, v8, 23, 0x3c000000
	v_and_b32_e32 v10, 0x80000000, v10
	v_or3_b32 v6, v6, v10, v8
	v_mov_b32_e32 v17, v7
	v_mov_b32_e32 v16, v6
.LBB214_1021:                           ;   in Loop: Header=BB214_810 Depth=1
	s_or_b32 exec_lo, exec_lo, s16
.LBB214_1022:                           ;   in Loop: Header=BB214_810 Depth=1
	s_or_b32 exec_lo, exec_lo, s15
.LBB214_1023:                           ;   in Loop: Header=BB214_810 Depth=1
	s_or_b32 exec_lo, exec_lo, s13
	v_cmp_ne_u16_sdwa s4, v12, v7 src0_sel:BYTE_1 src1_sel:DWORD
	s_and_saveexec_b32 s13, s4
	s_cbranch_execz .LBB214_1031
; %bb.1024:                             ;   in Loop: Header=BB214_810 Depth=1
	v_mov_b32_e32 v8, v7
	v_mov_b32_e32 v19, v9
	v_cmp_ne_u16_sdwa s4, v12, v81 src0_sel:BYTE_1 src1_sel:DWORD
	v_mov_b32_e32 v18, v8
	s_and_saveexec_b32 s15, s4
	s_cbranch_execz .LBB214_1030
; %bb.1025:                             ;   in Loop: Header=BB214_810 Depth=1
	v_mov_b32_e32 v6, 0xffff
	v_mov_b32_e32 v10, v7
	;; [unrolled: 1-line block ×3, first 2 shown]
	s_mov_b32 s16, exec_lo
	v_and_b32_sdwa v6, v6, v12 dst_sel:DWORD dst_unused:UNUSED_PAD src0_sel:DWORD src1_sel:BYTE_1
	v_mov_b32_e32 v18, v10
	v_and_b32_e32 v13, 0x7f, v6
	v_cmpx_ne_u32_e32 0x7f, v13
	s_cbranch_execz .LBB214_1029
; %bb.1026:                             ;   in Loop: Header=BB214_810 Depth=1
	v_and_b32_e32 v6, 7, v6
	v_lshrrev_b32_e32 v8, 3, v13
	s_mov_b32 s17, exec_lo
	v_cmpx_gt_u32_e32 8, v13
; %bb.1027:                             ;   in Loop: Header=BB214_810 Depth=1
	v_ffbh_u32_e32 v8, v6
	v_min_u32_e32 v8, 32, v8
	v_subrev_nc_u32_e32 v10, 28, v8
	v_sub_nc_u32_e32 v8, 29, v8
	v_lshlrev_b64 v[18:19], v10, v[6:7]
	v_and_b32_e32 v6, 7, v18
; %bb.1028:                             ;   in Loop: Header=BB214_810 Depth=1
	s_or_b32 exec_lo, exec_lo, s17
	v_lshlrev_b32_e32 v10, 16, v12
	v_lshlrev_b32_e32 v6, 20, v6
	v_lshl_add_u32 v8, v8, 23, 0x3c000000
	v_mov_b32_e32 v18, v7
	v_and_b32_e32 v10, 0x80000000, v10
	v_or3_b32 v19, v6, v10, v8
.LBB214_1029:                           ;   in Loop: Header=BB214_810 Depth=1
	s_or_b32 exec_lo, exec_lo, s16
.LBB214_1030:                           ;   in Loop: Header=BB214_810 Depth=1
	s_or_b32 exec_lo, exec_lo, s15
.LBB214_1031:                           ;   in Loop: Header=BB214_810 Depth=1
	s_or_b32 exec_lo, exec_lo, s13
	v_mov_b32_e32 v22, 0
	v_mov_b32_e32 v20, 0
	v_and_b32_sdwa v6, v12, v83 dst_sel:DWORD dst_unused:UNUSED_PAD src0_sel:WORD_1 src1_sel:DWORD
	v_mov_b32_e32 v23, 0
	v_mov_b32_e32 v21, 0
	s_mov_b32 s13, exec_lo
	v_cmpx_ne_u16_e32 0, v6
	s_cbranch_execz .LBB214_1039
; %bb.1032:                             ;   in Loop: Header=BB214_810 Depth=1
	v_bfrev_b32_e32 v20, 1
	v_mov_b32_e32 v21, 0
	s_mov_b32 s15, exec_lo
	v_cmpx_ne_u16_e32 0x80, v6
	s_cbranch_execz .LBB214_1038
; %bb.1033:                             ;   in Loop: Header=BB214_810 Depth=1
	v_mov_b32_e32 v20, 0x7f800001
	v_bfe_u32 v10, v12, 16, 7
	v_mov_b32_e32 v21, 0
	s_mov_b32 s16, exec_lo
	v_cmpx_ne_u32_e32 0x7f, v10
	s_cbranch_execz .LBB214_1037
; %bb.1034:                             ;   in Loop: Header=BB214_810 Depth=1
	v_mov_b32_e32 v6, 7
	v_lshrrev_b32_e32 v8, 3, v10
	s_mov_b32 s17, exec_lo
	v_and_b32_sdwa v6, v12, v6 dst_sel:DWORD dst_unused:UNUSED_PAD src0_sel:WORD_1 src1_sel:DWORD
	v_cmpx_gt_u32_e32 8, v10
; %bb.1035:                             ;   in Loop: Header=BB214_810 Depth=1
	v_ffbh_u32_e32 v8, v6
	v_min_u32_e32 v8, 32, v8
	v_subrev_nc_u32_e32 v10, 28, v8
	v_sub_nc_u32_e32 v8, 29, v8
	v_lshlrev_b64 v[20:21], v10, v[6:7]
	v_and_b32_e32 v6, 7, v20
; %bb.1036:                             ;   in Loop: Header=BB214_810 Depth=1
	s_or_b32 exec_lo, exec_lo, s17
	v_mov_b32_e32 v10, 24
	v_lshlrev_b32_e32 v6, 20, v6
	v_lshl_add_u32 v8, v8, 23, 0x3c000000
	v_lshlrev_b32_sdwa v10, v10, v12 dst_sel:DWORD dst_unused:UNUSED_PAD src0_sel:DWORD src1_sel:WORD_1
	v_and_b32_e32 v10, 0x80000000, v10
	v_or3_b32 v6, v6, v10, v8
	v_mov_b32_e32 v21, v7
	v_mov_b32_e32 v20, v6
.LBB214_1037:                           ;   in Loop: Header=BB214_810 Depth=1
	s_or_b32 exec_lo, exec_lo, s16
.LBB214_1038:                           ;   in Loop: Header=BB214_810 Depth=1
	s_or_b32 exec_lo, exec_lo, s15
.LBB214_1039:                           ;   in Loop: Header=BB214_810 Depth=1
	s_or_b32 exec_lo, exec_lo, s13
	s_mov_b32 s13, exec_lo
	v_cmpx_lt_u32_e32 0xffffff, v12
	s_cbranch_execz .LBB214_1047
; %bb.1040:                             ;   in Loop: Header=BB214_810 Depth=1
	v_mov_b32_e32 v8, v7
	v_mov_b32_e32 v23, v9
	v_cmp_ne_u32_sdwa s4, v12, v81 src0_sel:BYTE_3 src1_sel:DWORD
	v_mov_b32_e32 v22, v8
	s_and_saveexec_b32 s15, s4
	s_cbranch_execz .LBB214_1046
; %bb.1041:                             ;   in Loop: Header=BB214_810 Depth=1
	v_mov_b32_e32 v10, v7
	v_mov_b32_e32 v23, v11
	v_bfe_u32 v13, v12, 24, 7
	s_mov_b32 s16, exec_lo
	v_mov_b32_e32 v22, v10
	v_cmpx_ne_u32_e32 0x7f, v13
	s_cbranch_execz .LBB214_1045
; %bb.1042:                             ;   in Loop: Header=BB214_810 Depth=1
	v_mov_b32_e32 v6, 7
	v_lshrrev_b32_e32 v8, 3, v13
	s_mov_b32 s17, exec_lo
	v_and_b32_sdwa v6, v12, v6 dst_sel:DWORD dst_unused:UNUSED_PAD src0_sel:BYTE_3 src1_sel:DWORD
	v_cmpx_gt_u32_e32 8, v13
; %bb.1043:                             ;   in Loop: Header=BB214_810 Depth=1
	v_ffbh_u32_e32 v8, v6
	v_min_u32_e32 v8, 32, v8
	v_subrev_nc_u32_e32 v10, 28, v8
	v_sub_nc_u32_e32 v8, 29, v8
	v_lshlrev_b64 v[22:23], v10, v[6:7]
	v_and_b32_e32 v6, 7, v22
; %bb.1044:                             ;   in Loop: Header=BB214_810 Depth=1
	s_or_b32 exec_lo, exec_lo, s17
	v_mov_b32_e32 v10, 24
	v_lshlrev_b32_e32 v6, 20, v6
	v_lshl_add_u32 v8, v8, 23, 0x3c000000
	v_mov_b32_e32 v22, v7
	v_lshlrev_b32_sdwa v10, v10, v12 dst_sel:DWORD dst_unused:UNUSED_PAD src0_sel:DWORD src1_sel:BYTE_3
	v_and_b32_e32 v10, 0x80000000, v10
	v_or3_b32 v23, v6, v10, v8
.LBB214_1045:                           ;   in Loop: Header=BB214_810 Depth=1
	s_or_b32 exec_lo, exec_lo, s16
.LBB214_1046:                           ;   in Loop: Header=BB214_810 Depth=1
	s_or_b32 exec_lo, exec_lo, s15
.LBB214_1047:                           ;   in Loop: Header=BB214_810 Depth=1
	s_or_b32 exec_lo, exec_lo, s13
	v_or_b32_e32 v6, v19, v17
	v_or_b32_e32 v8, v18, v16
	;; [unrolled: 1-line block ×4, first 2 shown]
	v_mul_f32_e32 v74, v96, v6
	v_mul_f32_e32 v73, v96, v8
	;; [unrolled: 1-line block ×4, first 2 shown]
	s_and_saveexec_b32 s13, vcc_lo
	s_cbranch_execz .LBB214_1049
; %bb.1048:                             ;   in Loop: Header=BB214_810 Depth=1
	v_cmp_lt_i32_e64 s4, v101, v27
	v_cndmask_b32_e64 v73, 0, v73, s4
	v_cmp_lt_i32_e64 s4, v113, v27
	v_cndmask_b32_e64 v74, 0, v74, s4
	v_cmp_lt_i32_e64 s4, v103, v27
	v_cndmask_b32_e64 v72, 0, v72, s4
	v_cmp_lt_i32_e64 s4, v102, v27
	v_cndmask_b32_e64 v63, 0, v63, s4
.LBB214_1049:                           ;   in Loop: Header=BB214_810 Depth=1
	s_or_b32 exec_lo, exec_lo, s13
	flat_load_dword v12, v[4:5] offset:896
	v_mov_b32_e32 v18, 0
	v_mov_b32_e32 v16, 0
	;; [unrolled: 1-line block ×4, first 2 shown]
	s_waitcnt vmcnt(0) lgkmcnt(0)
	v_cmp_ne_u16_sdwa s4, v12, v7 src0_sel:BYTE_0 src1_sel:DWORD
	s_and_saveexec_b32 s13, s4
	s_cbranch_execz .LBB214_1057
; %bb.1050:                             ;   in Loop: Header=BB214_810 Depth=1
	v_bfrev_b32_e32 v16, 1
	v_mov_b32_e32 v17, 0
	v_cmp_ne_u16_sdwa s4, v12, v81 src0_sel:BYTE_0 src1_sel:DWORD
	s_and_saveexec_b32 s15, s4
	s_cbranch_execz .LBB214_1056
; %bb.1051:                             ;   in Loop: Header=BB214_810 Depth=1
	v_mov_b32_e32 v16, 0x7f800001
	v_and_b32_e32 v10, 0x7f, v12
	v_mov_b32_e32 v17, 0
	s_mov_b32 s16, exec_lo
	v_cmpx_ne_u32_e32 0x7f, v10
	s_cbranch_execz .LBB214_1055
; %bb.1052:                             ;   in Loop: Header=BB214_810 Depth=1
	v_and_b32_e32 v6, 7, v12
	v_lshrrev_b32_e32 v8, 3, v10
	s_mov_b32 s17, exec_lo
	v_cmpx_gt_u32_e32 8, v10
; %bb.1053:                             ;   in Loop: Header=BB214_810 Depth=1
	v_ffbh_u32_e32 v8, v6
	v_min_u32_e32 v8, 32, v8
	v_subrev_nc_u32_e32 v10, 28, v8
	v_sub_nc_u32_e32 v8, 29, v8
	v_lshlrev_b64 v[16:17], v10, v[6:7]
	v_and_b32_e32 v6, 7, v16
; %bb.1054:                             ;   in Loop: Header=BB214_810 Depth=1
	s_or_b32 exec_lo, exec_lo, s17
	v_lshlrev_b32_e32 v10, 24, v12
	v_lshlrev_b32_e32 v6, 20, v6
	v_lshl_add_u32 v8, v8, 23, 0x3c000000
	v_and_b32_e32 v10, 0x80000000, v10
	v_or3_b32 v6, v6, v10, v8
	v_mov_b32_e32 v17, v7
	v_mov_b32_e32 v16, v6
.LBB214_1055:                           ;   in Loop: Header=BB214_810 Depth=1
	s_or_b32 exec_lo, exec_lo, s16
.LBB214_1056:                           ;   in Loop: Header=BB214_810 Depth=1
	s_or_b32 exec_lo, exec_lo, s15
.LBB214_1057:                           ;   in Loop: Header=BB214_810 Depth=1
	s_or_b32 exec_lo, exec_lo, s13
	v_cmp_ne_u16_sdwa s4, v12, v7 src0_sel:BYTE_1 src1_sel:DWORD
	s_and_saveexec_b32 s13, s4
	s_cbranch_execz .LBB214_1065
; %bb.1058:                             ;   in Loop: Header=BB214_810 Depth=1
	v_mov_b32_e32 v8, v7
	v_mov_b32_e32 v19, v9
	v_cmp_ne_u16_sdwa s4, v12, v81 src0_sel:BYTE_1 src1_sel:DWORD
	v_mov_b32_e32 v18, v8
	s_and_saveexec_b32 s15, s4
	s_cbranch_execz .LBB214_1064
; %bb.1059:                             ;   in Loop: Header=BB214_810 Depth=1
	v_mov_b32_e32 v6, 0xffff
	v_mov_b32_e32 v10, v7
	;; [unrolled: 1-line block ×3, first 2 shown]
	s_mov_b32 s16, exec_lo
	v_and_b32_sdwa v6, v6, v12 dst_sel:DWORD dst_unused:UNUSED_PAD src0_sel:DWORD src1_sel:BYTE_1
	v_mov_b32_e32 v18, v10
	v_and_b32_e32 v13, 0x7f, v6
	v_cmpx_ne_u32_e32 0x7f, v13
	s_cbranch_execz .LBB214_1063
; %bb.1060:                             ;   in Loop: Header=BB214_810 Depth=1
	v_and_b32_e32 v6, 7, v6
	v_lshrrev_b32_e32 v8, 3, v13
	s_mov_b32 s17, exec_lo
	v_cmpx_gt_u32_e32 8, v13
; %bb.1061:                             ;   in Loop: Header=BB214_810 Depth=1
	v_ffbh_u32_e32 v8, v6
	v_min_u32_e32 v8, 32, v8
	v_subrev_nc_u32_e32 v10, 28, v8
	v_sub_nc_u32_e32 v8, 29, v8
	v_lshlrev_b64 v[18:19], v10, v[6:7]
	v_and_b32_e32 v6, 7, v18
; %bb.1062:                             ;   in Loop: Header=BB214_810 Depth=1
	s_or_b32 exec_lo, exec_lo, s17
	v_lshlrev_b32_e32 v10, 16, v12
	v_lshlrev_b32_e32 v6, 20, v6
	v_lshl_add_u32 v8, v8, 23, 0x3c000000
	v_mov_b32_e32 v18, v7
	v_and_b32_e32 v10, 0x80000000, v10
	v_or3_b32 v19, v6, v10, v8
.LBB214_1063:                           ;   in Loop: Header=BB214_810 Depth=1
	s_or_b32 exec_lo, exec_lo, s16
.LBB214_1064:                           ;   in Loop: Header=BB214_810 Depth=1
	s_or_b32 exec_lo, exec_lo, s15
.LBB214_1065:                           ;   in Loop: Header=BB214_810 Depth=1
	s_or_b32 exec_lo, exec_lo, s13
	v_mov_b32_e32 v22, 0
	v_mov_b32_e32 v20, 0
	v_and_b32_sdwa v6, v12, v83 dst_sel:DWORD dst_unused:UNUSED_PAD src0_sel:WORD_1 src1_sel:DWORD
	v_mov_b32_e32 v23, 0
	v_mov_b32_e32 v21, 0
	s_mov_b32 s13, exec_lo
	v_cmpx_ne_u16_e32 0, v6
	s_cbranch_execz .LBB214_1073
; %bb.1066:                             ;   in Loop: Header=BB214_810 Depth=1
	v_bfrev_b32_e32 v20, 1
	v_mov_b32_e32 v21, 0
	s_mov_b32 s15, exec_lo
	v_cmpx_ne_u16_e32 0x80, v6
	s_cbranch_execz .LBB214_1072
; %bb.1067:                             ;   in Loop: Header=BB214_810 Depth=1
	v_mov_b32_e32 v20, 0x7f800001
	v_bfe_u32 v10, v12, 16, 7
	v_mov_b32_e32 v21, 0
	s_mov_b32 s16, exec_lo
	v_cmpx_ne_u32_e32 0x7f, v10
	s_cbranch_execz .LBB214_1071
; %bb.1068:                             ;   in Loop: Header=BB214_810 Depth=1
	v_mov_b32_e32 v6, 7
	v_lshrrev_b32_e32 v8, 3, v10
	s_mov_b32 s17, exec_lo
	v_and_b32_sdwa v6, v12, v6 dst_sel:DWORD dst_unused:UNUSED_PAD src0_sel:WORD_1 src1_sel:DWORD
	v_cmpx_gt_u32_e32 8, v10
; %bb.1069:                             ;   in Loop: Header=BB214_810 Depth=1
	v_ffbh_u32_e32 v8, v6
	v_min_u32_e32 v8, 32, v8
	v_subrev_nc_u32_e32 v10, 28, v8
	v_sub_nc_u32_e32 v8, 29, v8
	v_lshlrev_b64 v[20:21], v10, v[6:7]
	v_and_b32_e32 v6, 7, v20
; %bb.1070:                             ;   in Loop: Header=BB214_810 Depth=1
	s_or_b32 exec_lo, exec_lo, s17
	v_mov_b32_e32 v10, 24
	v_lshlrev_b32_e32 v6, 20, v6
	v_lshl_add_u32 v8, v8, 23, 0x3c000000
	v_lshlrev_b32_sdwa v10, v10, v12 dst_sel:DWORD dst_unused:UNUSED_PAD src0_sel:DWORD src1_sel:WORD_1
	v_and_b32_e32 v10, 0x80000000, v10
	v_or3_b32 v6, v6, v10, v8
	v_mov_b32_e32 v21, v7
	v_mov_b32_e32 v20, v6
.LBB214_1071:                           ;   in Loop: Header=BB214_810 Depth=1
	s_or_b32 exec_lo, exec_lo, s16
.LBB214_1072:                           ;   in Loop: Header=BB214_810 Depth=1
	s_or_b32 exec_lo, exec_lo, s15
.LBB214_1073:                           ;   in Loop: Header=BB214_810 Depth=1
	s_or_b32 exec_lo, exec_lo, s13
	s_mov_b32 s13, exec_lo
	v_cmpx_lt_u32_e32 0xffffff, v12
	s_cbranch_execz .LBB214_1081
; %bb.1074:                             ;   in Loop: Header=BB214_810 Depth=1
	v_mov_b32_e32 v8, v7
	v_mov_b32_e32 v23, v9
	v_cmp_ne_u32_sdwa s4, v12, v81 src0_sel:BYTE_3 src1_sel:DWORD
	v_mov_b32_e32 v22, v8
	s_and_saveexec_b32 s15, s4
	s_cbranch_execz .LBB214_1080
; %bb.1075:                             ;   in Loop: Header=BB214_810 Depth=1
	v_mov_b32_e32 v10, v7
	v_mov_b32_e32 v23, v11
	v_bfe_u32 v13, v12, 24, 7
	s_mov_b32 s16, exec_lo
	v_mov_b32_e32 v22, v10
	v_cmpx_ne_u32_e32 0x7f, v13
	s_cbranch_execz .LBB214_1079
; %bb.1076:                             ;   in Loop: Header=BB214_810 Depth=1
	v_mov_b32_e32 v6, 7
	v_lshrrev_b32_e32 v8, 3, v13
	s_mov_b32 s17, exec_lo
	v_and_b32_sdwa v6, v12, v6 dst_sel:DWORD dst_unused:UNUSED_PAD src0_sel:BYTE_3 src1_sel:DWORD
	v_cmpx_gt_u32_e32 8, v13
; %bb.1077:                             ;   in Loop: Header=BB214_810 Depth=1
	v_ffbh_u32_e32 v8, v6
	v_min_u32_e32 v8, 32, v8
	v_subrev_nc_u32_e32 v10, 28, v8
	v_sub_nc_u32_e32 v8, 29, v8
	v_lshlrev_b64 v[22:23], v10, v[6:7]
	v_and_b32_e32 v6, 7, v22
; %bb.1078:                             ;   in Loop: Header=BB214_810 Depth=1
	s_or_b32 exec_lo, exec_lo, s17
	v_mov_b32_e32 v10, 24
	v_lshlrev_b32_e32 v6, 20, v6
	v_lshl_add_u32 v8, v8, 23, 0x3c000000
	v_mov_b32_e32 v22, v7
	v_lshlrev_b32_sdwa v10, v10, v12 dst_sel:DWORD dst_unused:UNUSED_PAD src0_sel:DWORD src1_sel:BYTE_3
	v_and_b32_e32 v10, 0x80000000, v10
	v_or3_b32 v23, v6, v10, v8
.LBB214_1079:                           ;   in Loop: Header=BB214_810 Depth=1
	s_or_b32 exec_lo, exec_lo, s16
.LBB214_1080:                           ;   in Loop: Header=BB214_810 Depth=1
	s_or_b32 exec_lo, exec_lo, s15
.LBB214_1081:                           ;   in Loop: Header=BB214_810 Depth=1
	s_or_b32 exec_lo, exec_lo, s13
	v_or_b32_e32 v6, v19, v17
	v_or_b32_e32 v8, v18, v16
	;; [unrolled: 1-line block ×4, first 2 shown]
	v_mul_f32_e32 v78, v96, v6
	v_mul_f32_e32 v77, v96, v8
	;; [unrolled: 1-line block ×4, first 2 shown]
	s_and_saveexec_b32 s13, vcc_lo
	s_cbranch_execz .LBB214_1083
; %bb.1082:                             ;   in Loop: Header=BB214_810 Depth=1
	v_cmp_lt_i32_e64 s4, v101, v27
	v_cndmask_b32_e64 v77, 0, v77, s4
	v_cmp_lt_i32_e64 s4, v113, v27
	v_cndmask_b32_e64 v78, 0, v78, s4
	;; [unrolled: 2-line block ×4, first 2 shown]
.LBB214_1083:                           ;   in Loop: Header=BB214_810 Depth=1
	s_or_b32 exec_lo, exec_lo, s13
	flat_load_dword v12, v[4:5] offset:1024
	v_mov_b32_e32 v18, 0
	v_mov_b32_e32 v16, 0
	;; [unrolled: 1-line block ×4, first 2 shown]
	s_waitcnt vmcnt(0) lgkmcnt(0)
	v_cmp_ne_u16_sdwa s4, v12, v7 src0_sel:BYTE_0 src1_sel:DWORD
	s_and_saveexec_b32 s13, s4
	s_cbranch_execz .LBB214_1091
; %bb.1084:                             ;   in Loop: Header=BB214_810 Depth=1
	v_bfrev_b32_e32 v16, 1
	v_mov_b32_e32 v17, 0
	v_cmp_ne_u16_sdwa s4, v12, v81 src0_sel:BYTE_0 src1_sel:DWORD
	s_and_saveexec_b32 s15, s4
	s_cbranch_execz .LBB214_1090
; %bb.1085:                             ;   in Loop: Header=BB214_810 Depth=1
	v_mov_b32_e32 v16, 0x7f800001
	v_and_b32_e32 v10, 0x7f, v12
	v_mov_b32_e32 v17, 0
	s_mov_b32 s16, exec_lo
	v_cmpx_ne_u32_e32 0x7f, v10
	s_cbranch_execz .LBB214_1089
; %bb.1086:                             ;   in Loop: Header=BB214_810 Depth=1
	v_and_b32_e32 v6, 7, v12
	v_lshrrev_b32_e32 v8, 3, v10
	s_mov_b32 s17, exec_lo
	v_cmpx_gt_u32_e32 8, v10
; %bb.1087:                             ;   in Loop: Header=BB214_810 Depth=1
	v_ffbh_u32_e32 v8, v6
	v_min_u32_e32 v8, 32, v8
	v_subrev_nc_u32_e32 v10, 28, v8
	v_sub_nc_u32_e32 v8, 29, v8
	v_lshlrev_b64 v[16:17], v10, v[6:7]
	v_and_b32_e32 v6, 7, v16
; %bb.1088:                             ;   in Loop: Header=BB214_810 Depth=1
	s_or_b32 exec_lo, exec_lo, s17
	v_lshlrev_b32_e32 v10, 24, v12
	v_lshlrev_b32_e32 v6, 20, v6
	v_lshl_add_u32 v8, v8, 23, 0x3c000000
	v_and_b32_e32 v10, 0x80000000, v10
	v_or3_b32 v6, v6, v10, v8
	v_mov_b32_e32 v17, v7
	v_mov_b32_e32 v16, v6
.LBB214_1089:                           ;   in Loop: Header=BB214_810 Depth=1
	s_or_b32 exec_lo, exec_lo, s16
.LBB214_1090:                           ;   in Loop: Header=BB214_810 Depth=1
	s_or_b32 exec_lo, exec_lo, s15
.LBB214_1091:                           ;   in Loop: Header=BB214_810 Depth=1
	s_or_b32 exec_lo, exec_lo, s13
	v_cmp_ne_u16_sdwa s4, v12, v7 src0_sel:BYTE_1 src1_sel:DWORD
	s_and_saveexec_b32 s13, s4
	s_cbranch_execz .LBB214_1099
; %bb.1092:                             ;   in Loop: Header=BB214_810 Depth=1
	v_mov_b32_e32 v8, v7
	v_mov_b32_e32 v19, v9
	v_cmp_ne_u16_sdwa s4, v12, v81 src0_sel:BYTE_1 src1_sel:DWORD
	v_mov_b32_e32 v18, v8
	s_and_saveexec_b32 s15, s4
	s_cbranch_execz .LBB214_1098
; %bb.1093:                             ;   in Loop: Header=BB214_810 Depth=1
	v_mov_b32_e32 v6, 0xffff
	v_mov_b32_e32 v10, v7
	v_mov_b32_e32 v19, v11
	s_mov_b32 s16, exec_lo
	v_and_b32_sdwa v6, v6, v12 dst_sel:DWORD dst_unused:UNUSED_PAD src0_sel:DWORD src1_sel:BYTE_1
	v_mov_b32_e32 v18, v10
	v_and_b32_e32 v13, 0x7f, v6
	v_cmpx_ne_u32_e32 0x7f, v13
	s_cbranch_execz .LBB214_1097
; %bb.1094:                             ;   in Loop: Header=BB214_810 Depth=1
	v_and_b32_e32 v6, 7, v6
	v_lshrrev_b32_e32 v8, 3, v13
	s_mov_b32 s17, exec_lo
	v_cmpx_gt_u32_e32 8, v13
; %bb.1095:                             ;   in Loop: Header=BB214_810 Depth=1
	v_ffbh_u32_e32 v8, v6
	v_min_u32_e32 v8, 32, v8
	v_subrev_nc_u32_e32 v10, 28, v8
	v_sub_nc_u32_e32 v8, 29, v8
	v_lshlrev_b64 v[18:19], v10, v[6:7]
	v_and_b32_e32 v6, 7, v18
; %bb.1096:                             ;   in Loop: Header=BB214_810 Depth=1
	s_or_b32 exec_lo, exec_lo, s17
	v_lshlrev_b32_e32 v10, 16, v12
	v_lshlrev_b32_e32 v6, 20, v6
	v_lshl_add_u32 v8, v8, 23, 0x3c000000
	v_mov_b32_e32 v18, v7
	v_and_b32_e32 v10, 0x80000000, v10
	v_or3_b32 v19, v6, v10, v8
.LBB214_1097:                           ;   in Loop: Header=BB214_810 Depth=1
	s_or_b32 exec_lo, exec_lo, s16
.LBB214_1098:                           ;   in Loop: Header=BB214_810 Depth=1
	s_or_b32 exec_lo, exec_lo, s15
.LBB214_1099:                           ;   in Loop: Header=BB214_810 Depth=1
	s_or_b32 exec_lo, exec_lo, s13
	v_mov_b32_e32 v22, 0
	v_mov_b32_e32 v20, 0
	v_and_b32_sdwa v6, v12, v83 dst_sel:DWORD dst_unused:UNUSED_PAD src0_sel:WORD_1 src1_sel:DWORD
	v_mov_b32_e32 v23, 0
	v_mov_b32_e32 v21, 0
	s_mov_b32 s13, exec_lo
	v_cmpx_ne_u16_e32 0, v6
	s_cbranch_execz .LBB214_1107
; %bb.1100:                             ;   in Loop: Header=BB214_810 Depth=1
	v_bfrev_b32_e32 v20, 1
	v_mov_b32_e32 v21, 0
	s_mov_b32 s15, exec_lo
	v_cmpx_ne_u16_e32 0x80, v6
	s_cbranch_execz .LBB214_1106
; %bb.1101:                             ;   in Loop: Header=BB214_810 Depth=1
	v_mov_b32_e32 v20, 0x7f800001
	v_bfe_u32 v10, v12, 16, 7
	v_mov_b32_e32 v21, 0
	s_mov_b32 s16, exec_lo
	v_cmpx_ne_u32_e32 0x7f, v10
	s_cbranch_execz .LBB214_1105
; %bb.1102:                             ;   in Loop: Header=BB214_810 Depth=1
	v_mov_b32_e32 v6, 7
	v_lshrrev_b32_e32 v8, 3, v10
	s_mov_b32 s17, exec_lo
	v_and_b32_sdwa v6, v12, v6 dst_sel:DWORD dst_unused:UNUSED_PAD src0_sel:WORD_1 src1_sel:DWORD
	v_cmpx_gt_u32_e32 8, v10
; %bb.1103:                             ;   in Loop: Header=BB214_810 Depth=1
	v_ffbh_u32_e32 v8, v6
	v_min_u32_e32 v8, 32, v8
	v_subrev_nc_u32_e32 v10, 28, v8
	v_sub_nc_u32_e32 v8, 29, v8
	v_lshlrev_b64 v[20:21], v10, v[6:7]
	v_and_b32_e32 v6, 7, v20
; %bb.1104:                             ;   in Loop: Header=BB214_810 Depth=1
	s_or_b32 exec_lo, exec_lo, s17
	v_mov_b32_e32 v10, 24
	v_lshlrev_b32_e32 v6, 20, v6
	v_lshl_add_u32 v8, v8, 23, 0x3c000000
	v_lshlrev_b32_sdwa v10, v10, v12 dst_sel:DWORD dst_unused:UNUSED_PAD src0_sel:DWORD src1_sel:WORD_1
	v_and_b32_e32 v10, 0x80000000, v10
	v_or3_b32 v6, v6, v10, v8
	v_mov_b32_e32 v21, v7
	v_mov_b32_e32 v20, v6
.LBB214_1105:                           ;   in Loop: Header=BB214_810 Depth=1
	s_or_b32 exec_lo, exec_lo, s16
.LBB214_1106:                           ;   in Loop: Header=BB214_810 Depth=1
	s_or_b32 exec_lo, exec_lo, s15
.LBB214_1107:                           ;   in Loop: Header=BB214_810 Depth=1
	s_or_b32 exec_lo, exec_lo, s13
	s_mov_b32 s13, exec_lo
	v_cmpx_lt_u32_e32 0xffffff, v12
	s_cbranch_execz .LBB214_1115
; %bb.1108:                             ;   in Loop: Header=BB214_810 Depth=1
	v_mov_b32_e32 v8, v7
	v_mov_b32_e32 v23, v9
	v_cmp_ne_u32_sdwa s4, v12, v81 src0_sel:BYTE_3 src1_sel:DWORD
	v_mov_b32_e32 v22, v8
	s_and_saveexec_b32 s15, s4
	s_cbranch_execz .LBB214_1114
; %bb.1109:                             ;   in Loop: Header=BB214_810 Depth=1
	v_mov_b32_e32 v10, v7
	v_mov_b32_e32 v23, v11
	v_bfe_u32 v13, v12, 24, 7
	s_mov_b32 s16, exec_lo
	v_mov_b32_e32 v22, v10
	v_cmpx_ne_u32_e32 0x7f, v13
	s_cbranch_execz .LBB214_1113
; %bb.1110:                             ;   in Loop: Header=BB214_810 Depth=1
	v_mov_b32_e32 v6, 7
	v_lshrrev_b32_e32 v8, 3, v13
	s_mov_b32 s17, exec_lo
	v_and_b32_sdwa v6, v12, v6 dst_sel:DWORD dst_unused:UNUSED_PAD src0_sel:BYTE_3 src1_sel:DWORD
	v_cmpx_gt_u32_e32 8, v13
; %bb.1111:                             ;   in Loop: Header=BB214_810 Depth=1
	v_ffbh_u32_e32 v8, v6
	v_min_u32_e32 v8, 32, v8
	v_subrev_nc_u32_e32 v10, 28, v8
	v_sub_nc_u32_e32 v8, 29, v8
	v_lshlrev_b64 v[22:23], v10, v[6:7]
	v_and_b32_e32 v6, 7, v22
; %bb.1112:                             ;   in Loop: Header=BB214_810 Depth=1
	s_or_b32 exec_lo, exec_lo, s17
	v_mov_b32_e32 v10, 24
	v_lshlrev_b32_e32 v6, 20, v6
	v_lshl_add_u32 v8, v8, 23, 0x3c000000
	v_mov_b32_e32 v22, v7
	v_lshlrev_b32_sdwa v10, v10, v12 dst_sel:DWORD dst_unused:UNUSED_PAD src0_sel:DWORD src1_sel:BYTE_3
	v_and_b32_e32 v10, 0x80000000, v10
	v_or3_b32 v23, v6, v10, v8
.LBB214_1113:                           ;   in Loop: Header=BB214_810 Depth=1
	s_or_b32 exec_lo, exec_lo, s16
.LBB214_1114:                           ;   in Loop: Header=BB214_810 Depth=1
	s_or_b32 exec_lo, exec_lo, s15
.LBB214_1115:                           ;   in Loop: Header=BB214_810 Depth=1
	s_or_b32 exec_lo, exec_lo, s13
	v_or_b32_e32 v6, v19, v17
	v_or_b32_e32 v8, v18, v16
	;; [unrolled: 1-line block ×4, first 2 shown]
	v_mul_f32_e32 v90, v96, v6
	v_mul_f32_e32 v89, v96, v8
	;; [unrolled: 1-line block ×4, first 2 shown]
	s_and_saveexec_b32 s13, vcc_lo
	s_cbranch_execz .LBB214_1117
; %bb.1116:                             ;   in Loop: Header=BB214_810 Depth=1
	v_cmp_lt_i32_e64 s4, v101, v27
	v_cndmask_b32_e64 v89, 0, v89, s4
	v_cmp_lt_i32_e64 s4, v113, v27
	v_cndmask_b32_e64 v90, 0, v90, s4
	;; [unrolled: 2-line block ×4, first 2 shown]
.LBB214_1117:                           ;   in Loop: Header=BB214_810 Depth=1
	s_or_b32 exec_lo, exec_lo, s13
	flat_load_dword v12, v[4:5] offset:1152
	v_mov_b32_e32 v18, 0
	v_mov_b32_e32 v16, 0
	;; [unrolled: 1-line block ×4, first 2 shown]
	s_waitcnt vmcnt(0) lgkmcnt(0)
	v_cmp_ne_u16_sdwa s4, v12, v7 src0_sel:BYTE_0 src1_sel:DWORD
	s_and_saveexec_b32 s13, s4
	s_cbranch_execz .LBB214_1125
; %bb.1118:                             ;   in Loop: Header=BB214_810 Depth=1
	v_bfrev_b32_e32 v16, 1
	v_mov_b32_e32 v17, 0
	v_cmp_ne_u16_sdwa s4, v12, v81 src0_sel:BYTE_0 src1_sel:DWORD
	s_and_saveexec_b32 s15, s4
	s_cbranch_execz .LBB214_1124
; %bb.1119:                             ;   in Loop: Header=BB214_810 Depth=1
	v_mov_b32_e32 v16, 0x7f800001
	v_and_b32_e32 v10, 0x7f, v12
	v_mov_b32_e32 v17, 0
	s_mov_b32 s16, exec_lo
	v_cmpx_ne_u32_e32 0x7f, v10
	s_cbranch_execz .LBB214_1123
; %bb.1120:                             ;   in Loop: Header=BB214_810 Depth=1
	v_and_b32_e32 v6, 7, v12
	v_lshrrev_b32_e32 v8, 3, v10
	s_mov_b32 s17, exec_lo
	v_cmpx_gt_u32_e32 8, v10
; %bb.1121:                             ;   in Loop: Header=BB214_810 Depth=1
	v_ffbh_u32_e32 v8, v6
	v_min_u32_e32 v8, 32, v8
	v_subrev_nc_u32_e32 v10, 28, v8
	v_sub_nc_u32_e32 v8, 29, v8
	v_lshlrev_b64 v[16:17], v10, v[6:7]
	v_and_b32_e32 v6, 7, v16
; %bb.1122:                             ;   in Loop: Header=BB214_810 Depth=1
	s_or_b32 exec_lo, exec_lo, s17
	v_lshlrev_b32_e32 v10, 24, v12
	v_lshlrev_b32_e32 v6, 20, v6
	v_lshl_add_u32 v8, v8, 23, 0x3c000000
	v_and_b32_e32 v10, 0x80000000, v10
	v_or3_b32 v6, v6, v10, v8
	v_mov_b32_e32 v17, v7
	v_mov_b32_e32 v16, v6
.LBB214_1123:                           ;   in Loop: Header=BB214_810 Depth=1
	s_or_b32 exec_lo, exec_lo, s16
.LBB214_1124:                           ;   in Loop: Header=BB214_810 Depth=1
	s_or_b32 exec_lo, exec_lo, s15
.LBB214_1125:                           ;   in Loop: Header=BB214_810 Depth=1
	s_or_b32 exec_lo, exec_lo, s13
	v_cmp_ne_u16_sdwa s4, v12, v7 src0_sel:BYTE_1 src1_sel:DWORD
	s_and_saveexec_b32 s13, s4
	s_cbranch_execz .LBB214_1133
; %bb.1126:                             ;   in Loop: Header=BB214_810 Depth=1
	v_mov_b32_e32 v8, v7
	v_mov_b32_e32 v19, v9
	v_cmp_ne_u16_sdwa s4, v12, v81 src0_sel:BYTE_1 src1_sel:DWORD
	v_mov_b32_e32 v18, v8
	s_and_saveexec_b32 s15, s4
	s_cbranch_execz .LBB214_1132
; %bb.1127:                             ;   in Loop: Header=BB214_810 Depth=1
	v_mov_b32_e32 v6, 0xffff
	v_mov_b32_e32 v10, v7
	;; [unrolled: 1-line block ×3, first 2 shown]
	s_mov_b32 s16, exec_lo
	v_and_b32_sdwa v6, v6, v12 dst_sel:DWORD dst_unused:UNUSED_PAD src0_sel:DWORD src1_sel:BYTE_1
	v_mov_b32_e32 v18, v10
	v_and_b32_e32 v13, 0x7f, v6
	v_cmpx_ne_u32_e32 0x7f, v13
	s_cbranch_execz .LBB214_1131
; %bb.1128:                             ;   in Loop: Header=BB214_810 Depth=1
	v_and_b32_e32 v6, 7, v6
	v_lshrrev_b32_e32 v8, 3, v13
	s_mov_b32 s17, exec_lo
	v_cmpx_gt_u32_e32 8, v13
; %bb.1129:                             ;   in Loop: Header=BB214_810 Depth=1
	v_ffbh_u32_e32 v8, v6
	v_min_u32_e32 v8, 32, v8
	v_subrev_nc_u32_e32 v10, 28, v8
	v_sub_nc_u32_e32 v8, 29, v8
	v_lshlrev_b64 v[18:19], v10, v[6:7]
	v_and_b32_e32 v6, 7, v18
; %bb.1130:                             ;   in Loop: Header=BB214_810 Depth=1
	s_or_b32 exec_lo, exec_lo, s17
	v_lshlrev_b32_e32 v10, 16, v12
	v_lshlrev_b32_e32 v6, 20, v6
	v_lshl_add_u32 v8, v8, 23, 0x3c000000
	v_mov_b32_e32 v18, v7
	v_and_b32_e32 v10, 0x80000000, v10
	v_or3_b32 v19, v6, v10, v8
.LBB214_1131:                           ;   in Loop: Header=BB214_810 Depth=1
	s_or_b32 exec_lo, exec_lo, s16
.LBB214_1132:                           ;   in Loop: Header=BB214_810 Depth=1
	s_or_b32 exec_lo, exec_lo, s15
.LBB214_1133:                           ;   in Loop: Header=BB214_810 Depth=1
	s_or_b32 exec_lo, exec_lo, s13
	v_mov_b32_e32 v22, 0
	v_mov_b32_e32 v20, 0
	v_and_b32_sdwa v6, v12, v83 dst_sel:DWORD dst_unused:UNUSED_PAD src0_sel:WORD_1 src1_sel:DWORD
	v_mov_b32_e32 v23, 0
	v_mov_b32_e32 v21, 0
	s_mov_b32 s13, exec_lo
	v_cmpx_ne_u16_e32 0, v6
	s_cbranch_execz .LBB214_1141
; %bb.1134:                             ;   in Loop: Header=BB214_810 Depth=1
	v_bfrev_b32_e32 v20, 1
	v_mov_b32_e32 v21, 0
	s_mov_b32 s15, exec_lo
	v_cmpx_ne_u16_e32 0x80, v6
	s_cbranch_execz .LBB214_1140
; %bb.1135:                             ;   in Loop: Header=BB214_810 Depth=1
	v_mov_b32_e32 v20, 0x7f800001
	v_bfe_u32 v10, v12, 16, 7
	v_mov_b32_e32 v21, 0
	s_mov_b32 s16, exec_lo
	v_cmpx_ne_u32_e32 0x7f, v10
	s_cbranch_execz .LBB214_1139
; %bb.1136:                             ;   in Loop: Header=BB214_810 Depth=1
	v_mov_b32_e32 v6, 7
	v_lshrrev_b32_e32 v8, 3, v10
	s_mov_b32 s17, exec_lo
	v_and_b32_sdwa v6, v12, v6 dst_sel:DWORD dst_unused:UNUSED_PAD src0_sel:WORD_1 src1_sel:DWORD
	v_cmpx_gt_u32_e32 8, v10
; %bb.1137:                             ;   in Loop: Header=BB214_810 Depth=1
	v_ffbh_u32_e32 v8, v6
	v_min_u32_e32 v8, 32, v8
	v_subrev_nc_u32_e32 v10, 28, v8
	v_sub_nc_u32_e32 v8, 29, v8
	v_lshlrev_b64 v[20:21], v10, v[6:7]
	v_and_b32_e32 v6, 7, v20
; %bb.1138:                             ;   in Loop: Header=BB214_810 Depth=1
	s_or_b32 exec_lo, exec_lo, s17
	v_mov_b32_e32 v10, 24
	v_lshlrev_b32_e32 v6, 20, v6
	v_lshl_add_u32 v8, v8, 23, 0x3c000000
	v_lshlrev_b32_sdwa v10, v10, v12 dst_sel:DWORD dst_unused:UNUSED_PAD src0_sel:DWORD src1_sel:WORD_1
	v_and_b32_e32 v10, 0x80000000, v10
	v_or3_b32 v6, v6, v10, v8
	v_mov_b32_e32 v21, v7
	v_mov_b32_e32 v20, v6
.LBB214_1139:                           ;   in Loop: Header=BB214_810 Depth=1
	s_or_b32 exec_lo, exec_lo, s16
.LBB214_1140:                           ;   in Loop: Header=BB214_810 Depth=1
	s_or_b32 exec_lo, exec_lo, s15
.LBB214_1141:                           ;   in Loop: Header=BB214_810 Depth=1
	s_or_b32 exec_lo, exec_lo, s13
	s_mov_b32 s13, exec_lo
	v_cmpx_lt_u32_e32 0xffffff, v12
	s_cbranch_execz .LBB214_1149
; %bb.1142:                             ;   in Loop: Header=BB214_810 Depth=1
	v_mov_b32_e32 v8, v7
	v_mov_b32_e32 v23, v9
	v_cmp_ne_u32_sdwa s4, v12, v81 src0_sel:BYTE_3 src1_sel:DWORD
	v_mov_b32_e32 v22, v8
	s_and_saveexec_b32 s15, s4
	s_cbranch_execz .LBB214_1148
; %bb.1143:                             ;   in Loop: Header=BB214_810 Depth=1
	v_mov_b32_e32 v10, v7
	v_mov_b32_e32 v23, v11
	v_bfe_u32 v13, v12, 24, 7
	s_mov_b32 s16, exec_lo
	v_mov_b32_e32 v22, v10
	v_cmpx_ne_u32_e32 0x7f, v13
	s_cbranch_execz .LBB214_1147
; %bb.1144:                             ;   in Loop: Header=BB214_810 Depth=1
	v_mov_b32_e32 v6, 7
	v_lshrrev_b32_e32 v8, 3, v13
	s_mov_b32 s17, exec_lo
	v_and_b32_sdwa v6, v12, v6 dst_sel:DWORD dst_unused:UNUSED_PAD src0_sel:BYTE_3 src1_sel:DWORD
	v_cmpx_gt_u32_e32 8, v13
; %bb.1145:                             ;   in Loop: Header=BB214_810 Depth=1
	v_ffbh_u32_e32 v8, v6
	v_min_u32_e32 v8, 32, v8
	v_subrev_nc_u32_e32 v10, 28, v8
	v_sub_nc_u32_e32 v8, 29, v8
	v_lshlrev_b64 v[22:23], v10, v[6:7]
	v_and_b32_e32 v6, 7, v22
; %bb.1146:                             ;   in Loop: Header=BB214_810 Depth=1
	s_or_b32 exec_lo, exec_lo, s17
	v_mov_b32_e32 v10, 24
	v_lshlrev_b32_e32 v6, 20, v6
	v_lshl_add_u32 v8, v8, 23, 0x3c000000
	v_mov_b32_e32 v22, v7
	v_lshlrev_b32_sdwa v10, v10, v12 dst_sel:DWORD dst_unused:UNUSED_PAD src0_sel:DWORD src1_sel:BYTE_3
	v_and_b32_e32 v10, 0x80000000, v10
	v_or3_b32 v23, v6, v10, v8
.LBB214_1147:                           ;   in Loop: Header=BB214_810 Depth=1
	s_or_b32 exec_lo, exec_lo, s16
.LBB214_1148:                           ;   in Loop: Header=BB214_810 Depth=1
	s_or_b32 exec_lo, exec_lo, s15
.LBB214_1149:                           ;   in Loop: Header=BB214_810 Depth=1
	s_or_b32 exec_lo, exec_lo, s13
	v_or_b32_e32 v6, v19, v17
	v_or_b32_e32 v8, v18, v16
	;; [unrolled: 1-line block ×4, first 2 shown]
	v_mul_f32_e32 v94, v96, v6
	v_mul_f32_e32 v93, v96, v8
	;; [unrolled: 1-line block ×4, first 2 shown]
	s_and_saveexec_b32 s13, vcc_lo
	s_cbranch_execz .LBB214_1151
; %bb.1150:                             ;   in Loop: Header=BB214_810 Depth=1
	v_cmp_lt_i32_e64 s4, v101, v27
	v_cndmask_b32_e64 v93, 0, v93, s4
	v_cmp_lt_i32_e64 s4, v113, v27
	v_cndmask_b32_e64 v94, 0, v94, s4
	;; [unrolled: 2-line block ×4, first 2 shown]
.LBB214_1151:                           ;   in Loop: Header=BB214_810 Depth=1
	s_or_b32 exec_lo, exec_lo, s13
	flat_load_dword v12, v[4:5] offset:1280
	v_mov_b32_e32 v18, 0
	v_mov_b32_e32 v16, 0
	;; [unrolled: 1-line block ×4, first 2 shown]
	s_waitcnt vmcnt(0) lgkmcnt(0)
	v_cmp_ne_u16_sdwa s4, v12, v7 src0_sel:BYTE_0 src1_sel:DWORD
	s_and_saveexec_b32 s13, s4
	s_cbranch_execz .LBB214_1159
; %bb.1152:                             ;   in Loop: Header=BB214_810 Depth=1
	v_bfrev_b32_e32 v16, 1
	v_mov_b32_e32 v17, 0
	v_cmp_ne_u16_sdwa s4, v12, v81 src0_sel:BYTE_0 src1_sel:DWORD
	s_and_saveexec_b32 s15, s4
	s_cbranch_execz .LBB214_1158
; %bb.1153:                             ;   in Loop: Header=BB214_810 Depth=1
	v_mov_b32_e32 v16, 0x7f800001
	v_and_b32_e32 v10, 0x7f, v12
	v_mov_b32_e32 v17, 0
	s_mov_b32 s16, exec_lo
	v_cmpx_ne_u32_e32 0x7f, v10
	s_cbranch_execz .LBB214_1157
; %bb.1154:                             ;   in Loop: Header=BB214_810 Depth=1
	v_and_b32_e32 v6, 7, v12
	v_lshrrev_b32_e32 v8, 3, v10
	s_mov_b32 s17, exec_lo
	v_cmpx_gt_u32_e32 8, v10
; %bb.1155:                             ;   in Loop: Header=BB214_810 Depth=1
	v_ffbh_u32_e32 v8, v6
	v_min_u32_e32 v8, 32, v8
	v_subrev_nc_u32_e32 v10, 28, v8
	v_sub_nc_u32_e32 v8, 29, v8
	v_lshlrev_b64 v[16:17], v10, v[6:7]
	v_and_b32_e32 v6, 7, v16
; %bb.1156:                             ;   in Loop: Header=BB214_810 Depth=1
	s_or_b32 exec_lo, exec_lo, s17
	v_lshlrev_b32_e32 v10, 24, v12
	v_lshlrev_b32_e32 v6, 20, v6
	v_lshl_add_u32 v8, v8, 23, 0x3c000000
	v_and_b32_e32 v10, 0x80000000, v10
	v_or3_b32 v6, v6, v10, v8
	v_mov_b32_e32 v17, v7
	v_mov_b32_e32 v16, v6
.LBB214_1157:                           ;   in Loop: Header=BB214_810 Depth=1
	s_or_b32 exec_lo, exec_lo, s16
.LBB214_1158:                           ;   in Loop: Header=BB214_810 Depth=1
	s_or_b32 exec_lo, exec_lo, s15
.LBB214_1159:                           ;   in Loop: Header=BB214_810 Depth=1
	s_or_b32 exec_lo, exec_lo, s13
	v_cmp_ne_u16_sdwa s4, v12, v7 src0_sel:BYTE_1 src1_sel:DWORD
	s_and_saveexec_b32 s13, s4
	s_cbranch_execz .LBB214_1167
; %bb.1160:                             ;   in Loop: Header=BB214_810 Depth=1
	v_mov_b32_e32 v8, v7
	v_mov_b32_e32 v19, v9
	v_cmp_ne_u16_sdwa s4, v12, v81 src0_sel:BYTE_1 src1_sel:DWORD
	v_mov_b32_e32 v18, v8
	s_and_saveexec_b32 s15, s4
	s_cbranch_execz .LBB214_1166
; %bb.1161:                             ;   in Loop: Header=BB214_810 Depth=1
	v_mov_b32_e32 v6, 0xffff
	v_mov_b32_e32 v10, v7
	;; [unrolled: 1-line block ×3, first 2 shown]
	s_mov_b32 s16, exec_lo
	v_and_b32_sdwa v6, v6, v12 dst_sel:DWORD dst_unused:UNUSED_PAD src0_sel:DWORD src1_sel:BYTE_1
	v_mov_b32_e32 v18, v10
	v_and_b32_e32 v13, 0x7f, v6
	v_cmpx_ne_u32_e32 0x7f, v13
	s_cbranch_execz .LBB214_1165
; %bb.1162:                             ;   in Loop: Header=BB214_810 Depth=1
	v_and_b32_e32 v6, 7, v6
	v_lshrrev_b32_e32 v8, 3, v13
	s_mov_b32 s17, exec_lo
	v_cmpx_gt_u32_e32 8, v13
; %bb.1163:                             ;   in Loop: Header=BB214_810 Depth=1
	v_ffbh_u32_e32 v8, v6
	v_min_u32_e32 v8, 32, v8
	v_subrev_nc_u32_e32 v10, 28, v8
	v_sub_nc_u32_e32 v8, 29, v8
	v_lshlrev_b64 v[18:19], v10, v[6:7]
	v_and_b32_e32 v6, 7, v18
; %bb.1164:                             ;   in Loop: Header=BB214_810 Depth=1
	s_or_b32 exec_lo, exec_lo, s17
	v_lshlrev_b32_e32 v10, 16, v12
	v_lshlrev_b32_e32 v6, 20, v6
	v_lshl_add_u32 v8, v8, 23, 0x3c000000
	v_mov_b32_e32 v18, v7
	v_and_b32_e32 v10, 0x80000000, v10
	v_or3_b32 v19, v6, v10, v8
.LBB214_1165:                           ;   in Loop: Header=BB214_810 Depth=1
	s_or_b32 exec_lo, exec_lo, s16
.LBB214_1166:                           ;   in Loop: Header=BB214_810 Depth=1
	s_or_b32 exec_lo, exec_lo, s15
.LBB214_1167:                           ;   in Loop: Header=BB214_810 Depth=1
	s_or_b32 exec_lo, exec_lo, s13
	v_mov_b32_e32 v22, 0
	v_mov_b32_e32 v20, 0
	v_and_b32_sdwa v6, v12, v83 dst_sel:DWORD dst_unused:UNUSED_PAD src0_sel:WORD_1 src1_sel:DWORD
	v_mov_b32_e32 v23, 0
	v_mov_b32_e32 v21, 0
	s_mov_b32 s13, exec_lo
	v_cmpx_ne_u16_e32 0, v6
	s_cbranch_execz .LBB214_1175
; %bb.1168:                             ;   in Loop: Header=BB214_810 Depth=1
	v_bfrev_b32_e32 v20, 1
	v_mov_b32_e32 v21, 0
	s_mov_b32 s15, exec_lo
	v_cmpx_ne_u16_e32 0x80, v6
	s_cbranch_execz .LBB214_1174
; %bb.1169:                             ;   in Loop: Header=BB214_810 Depth=1
	v_mov_b32_e32 v20, 0x7f800001
	v_bfe_u32 v10, v12, 16, 7
	v_mov_b32_e32 v21, 0
	s_mov_b32 s16, exec_lo
	v_cmpx_ne_u32_e32 0x7f, v10
	s_cbranch_execz .LBB214_1173
; %bb.1170:                             ;   in Loop: Header=BB214_810 Depth=1
	v_mov_b32_e32 v6, 7
	v_lshrrev_b32_e32 v8, 3, v10
	s_mov_b32 s17, exec_lo
	v_and_b32_sdwa v6, v12, v6 dst_sel:DWORD dst_unused:UNUSED_PAD src0_sel:WORD_1 src1_sel:DWORD
	v_cmpx_gt_u32_e32 8, v10
; %bb.1171:                             ;   in Loop: Header=BB214_810 Depth=1
	v_ffbh_u32_e32 v8, v6
	v_min_u32_e32 v8, 32, v8
	v_subrev_nc_u32_e32 v10, 28, v8
	v_sub_nc_u32_e32 v8, 29, v8
	v_lshlrev_b64 v[20:21], v10, v[6:7]
	v_and_b32_e32 v6, 7, v20
; %bb.1172:                             ;   in Loop: Header=BB214_810 Depth=1
	s_or_b32 exec_lo, exec_lo, s17
	v_mov_b32_e32 v10, 24
	v_lshlrev_b32_e32 v6, 20, v6
	v_lshl_add_u32 v8, v8, 23, 0x3c000000
	v_lshlrev_b32_sdwa v10, v10, v12 dst_sel:DWORD dst_unused:UNUSED_PAD src0_sel:DWORD src1_sel:WORD_1
	v_and_b32_e32 v10, 0x80000000, v10
	v_or3_b32 v6, v6, v10, v8
	v_mov_b32_e32 v21, v7
	v_mov_b32_e32 v20, v6
.LBB214_1173:                           ;   in Loop: Header=BB214_810 Depth=1
	s_or_b32 exec_lo, exec_lo, s16
.LBB214_1174:                           ;   in Loop: Header=BB214_810 Depth=1
	s_or_b32 exec_lo, exec_lo, s15
.LBB214_1175:                           ;   in Loop: Header=BB214_810 Depth=1
	s_or_b32 exec_lo, exec_lo, s13
	s_mov_b32 s13, exec_lo
	v_cmpx_lt_u32_e32 0xffffff, v12
	s_cbranch_execz .LBB214_1183
; %bb.1176:                             ;   in Loop: Header=BB214_810 Depth=1
	v_mov_b32_e32 v8, v7
	v_mov_b32_e32 v23, v9
	v_cmp_ne_u32_sdwa s4, v12, v81 src0_sel:BYTE_3 src1_sel:DWORD
	v_mov_b32_e32 v22, v8
	s_and_saveexec_b32 s15, s4
	s_cbranch_execz .LBB214_1182
; %bb.1177:                             ;   in Loop: Header=BB214_810 Depth=1
	v_mov_b32_e32 v10, v7
	v_mov_b32_e32 v23, v11
	v_bfe_u32 v13, v12, 24, 7
	s_mov_b32 s16, exec_lo
	v_mov_b32_e32 v22, v10
	v_cmpx_ne_u32_e32 0x7f, v13
	s_cbranch_execz .LBB214_1181
; %bb.1178:                             ;   in Loop: Header=BB214_810 Depth=1
	v_mov_b32_e32 v6, 7
	v_lshrrev_b32_e32 v8, 3, v13
	s_mov_b32 s17, exec_lo
	v_and_b32_sdwa v6, v12, v6 dst_sel:DWORD dst_unused:UNUSED_PAD src0_sel:BYTE_3 src1_sel:DWORD
	v_cmpx_gt_u32_e32 8, v13
; %bb.1179:                             ;   in Loop: Header=BB214_810 Depth=1
	v_ffbh_u32_e32 v8, v6
	v_min_u32_e32 v8, 32, v8
	v_subrev_nc_u32_e32 v10, 28, v8
	v_sub_nc_u32_e32 v8, 29, v8
	v_lshlrev_b64 v[22:23], v10, v[6:7]
	v_and_b32_e32 v6, 7, v22
; %bb.1180:                             ;   in Loop: Header=BB214_810 Depth=1
	s_or_b32 exec_lo, exec_lo, s17
	v_mov_b32_e32 v10, 24
	v_lshlrev_b32_e32 v6, 20, v6
	v_lshl_add_u32 v8, v8, 23, 0x3c000000
	v_mov_b32_e32 v22, v7
	v_lshlrev_b32_sdwa v10, v10, v12 dst_sel:DWORD dst_unused:UNUSED_PAD src0_sel:DWORD src1_sel:BYTE_3
	v_and_b32_e32 v10, 0x80000000, v10
	v_or3_b32 v23, v6, v10, v8
.LBB214_1181:                           ;   in Loop: Header=BB214_810 Depth=1
	s_or_b32 exec_lo, exec_lo, s16
.LBB214_1182:                           ;   in Loop: Header=BB214_810 Depth=1
	s_or_b32 exec_lo, exec_lo, s15
.LBB214_1183:                           ;   in Loop: Header=BB214_810 Depth=1
	s_or_b32 exec_lo, exec_lo, s13
	v_or_b32_e32 v6, v19, v17
	v_or_b32_e32 v8, v18, v16
	;; [unrolled: 1-line block ×4, first 2 shown]
	v_mul_f32_e32 v106, v96, v6
	v_mul_f32_e32 v105, v96, v8
	v_mul_f32_e32 v104, v96, v10
	v_mul_f32_e32 v95, v96, v12
	s_and_saveexec_b32 s13, vcc_lo
	s_cbranch_execz .LBB214_1185
; %bb.1184:                             ;   in Loop: Header=BB214_810 Depth=1
	v_cmp_lt_i32_e64 s4, v101, v27
	v_cndmask_b32_e64 v105, 0, v105, s4
	v_cmp_lt_i32_e64 s4, v113, v27
	v_cndmask_b32_e64 v106, 0, v106, s4
	;; [unrolled: 2-line block ×4, first 2 shown]
.LBB214_1185:                           ;   in Loop: Header=BB214_810 Depth=1
	s_or_b32 exec_lo, exec_lo, s13
	flat_load_dword v12, v[4:5] offset:1408
	v_mov_b32_e32 v18, 0
	v_mov_b32_e32 v16, 0
	;; [unrolled: 1-line block ×4, first 2 shown]
	s_waitcnt vmcnt(0) lgkmcnt(0)
	v_cmp_ne_u16_sdwa s4, v12, v7 src0_sel:BYTE_0 src1_sel:DWORD
	s_and_saveexec_b32 s13, s4
	s_cbranch_execz .LBB214_1193
; %bb.1186:                             ;   in Loop: Header=BB214_810 Depth=1
	v_bfrev_b32_e32 v16, 1
	v_mov_b32_e32 v17, 0
	v_cmp_ne_u16_sdwa s4, v12, v81 src0_sel:BYTE_0 src1_sel:DWORD
	s_and_saveexec_b32 s15, s4
	s_cbranch_execz .LBB214_1192
; %bb.1187:                             ;   in Loop: Header=BB214_810 Depth=1
	v_mov_b32_e32 v16, 0x7f800001
	v_and_b32_e32 v10, 0x7f, v12
	v_mov_b32_e32 v17, 0
	s_mov_b32 s16, exec_lo
	v_cmpx_ne_u32_e32 0x7f, v10
	s_cbranch_execz .LBB214_1191
; %bb.1188:                             ;   in Loop: Header=BB214_810 Depth=1
	v_and_b32_e32 v6, 7, v12
	v_lshrrev_b32_e32 v8, 3, v10
	s_mov_b32 s17, exec_lo
	v_cmpx_gt_u32_e32 8, v10
; %bb.1189:                             ;   in Loop: Header=BB214_810 Depth=1
	v_ffbh_u32_e32 v8, v6
	v_min_u32_e32 v8, 32, v8
	v_subrev_nc_u32_e32 v10, 28, v8
	v_sub_nc_u32_e32 v8, 29, v8
	v_lshlrev_b64 v[16:17], v10, v[6:7]
	v_and_b32_e32 v6, 7, v16
; %bb.1190:                             ;   in Loop: Header=BB214_810 Depth=1
	s_or_b32 exec_lo, exec_lo, s17
	v_lshlrev_b32_e32 v10, 24, v12
	v_lshlrev_b32_e32 v6, 20, v6
	v_lshl_add_u32 v8, v8, 23, 0x3c000000
	v_and_b32_e32 v10, 0x80000000, v10
	v_or3_b32 v6, v6, v10, v8
	v_mov_b32_e32 v17, v7
	v_mov_b32_e32 v16, v6
.LBB214_1191:                           ;   in Loop: Header=BB214_810 Depth=1
	s_or_b32 exec_lo, exec_lo, s16
.LBB214_1192:                           ;   in Loop: Header=BB214_810 Depth=1
	s_or_b32 exec_lo, exec_lo, s15
.LBB214_1193:                           ;   in Loop: Header=BB214_810 Depth=1
	s_or_b32 exec_lo, exec_lo, s13
	v_cmp_ne_u16_sdwa s4, v12, v7 src0_sel:BYTE_1 src1_sel:DWORD
	s_and_saveexec_b32 s13, s4
	s_cbranch_execz .LBB214_1201
; %bb.1194:                             ;   in Loop: Header=BB214_810 Depth=1
	v_mov_b32_e32 v8, v7
	v_mov_b32_e32 v19, v9
	v_cmp_ne_u16_sdwa s4, v12, v81 src0_sel:BYTE_1 src1_sel:DWORD
	v_mov_b32_e32 v18, v8
	s_and_saveexec_b32 s15, s4
	s_cbranch_execz .LBB214_1200
; %bb.1195:                             ;   in Loop: Header=BB214_810 Depth=1
	v_mov_b32_e32 v6, 0xffff
	v_mov_b32_e32 v10, v7
	;; [unrolled: 1-line block ×3, first 2 shown]
	s_mov_b32 s16, exec_lo
	v_and_b32_sdwa v6, v6, v12 dst_sel:DWORD dst_unused:UNUSED_PAD src0_sel:DWORD src1_sel:BYTE_1
	v_mov_b32_e32 v18, v10
	v_and_b32_e32 v13, 0x7f, v6
	v_cmpx_ne_u32_e32 0x7f, v13
	s_cbranch_execz .LBB214_1199
; %bb.1196:                             ;   in Loop: Header=BB214_810 Depth=1
	v_and_b32_e32 v6, 7, v6
	v_lshrrev_b32_e32 v8, 3, v13
	s_mov_b32 s17, exec_lo
	v_cmpx_gt_u32_e32 8, v13
; %bb.1197:                             ;   in Loop: Header=BB214_810 Depth=1
	v_ffbh_u32_e32 v8, v6
	v_min_u32_e32 v8, 32, v8
	v_subrev_nc_u32_e32 v10, 28, v8
	v_sub_nc_u32_e32 v8, 29, v8
	v_lshlrev_b64 v[18:19], v10, v[6:7]
	v_and_b32_e32 v6, 7, v18
; %bb.1198:                             ;   in Loop: Header=BB214_810 Depth=1
	s_or_b32 exec_lo, exec_lo, s17
	v_lshlrev_b32_e32 v10, 16, v12
	v_lshlrev_b32_e32 v6, 20, v6
	v_lshl_add_u32 v8, v8, 23, 0x3c000000
	v_mov_b32_e32 v18, v7
	v_and_b32_e32 v10, 0x80000000, v10
	v_or3_b32 v19, v6, v10, v8
.LBB214_1199:                           ;   in Loop: Header=BB214_810 Depth=1
	s_or_b32 exec_lo, exec_lo, s16
.LBB214_1200:                           ;   in Loop: Header=BB214_810 Depth=1
	s_or_b32 exec_lo, exec_lo, s15
.LBB214_1201:                           ;   in Loop: Header=BB214_810 Depth=1
	s_or_b32 exec_lo, exec_lo, s13
	v_mov_b32_e32 v22, 0
	v_mov_b32_e32 v20, 0
	v_and_b32_sdwa v6, v12, v83 dst_sel:DWORD dst_unused:UNUSED_PAD src0_sel:WORD_1 src1_sel:DWORD
	v_mov_b32_e32 v23, 0
	v_mov_b32_e32 v21, 0
	s_mov_b32 s13, exec_lo
	v_cmpx_ne_u16_e32 0, v6
	s_cbranch_execz .LBB214_1209
; %bb.1202:                             ;   in Loop: Header=BB214_810 Depth=1
	v_bfrev_b32_e32 v20, 1
	v_mov_b32_e32 v21, 0
	s_mov_b32 s15, exec_lo
	v_cmpx_ne_u16_e32 0x80, v6
	s_cbranch_execz .LBB214_1208
; %bb.1203:                             ;   in Loop: Header=BB214_810 Depth=1
	v_mov_b32_e32 v20, 0x7f800001
	v_bfe_u32 v10, v12, 16, 7
	v_mov_b32_e32 v21, 0
	s_mov_b32 s16, exec_lo
	v_cmpx_ne_u32_e32 0x7f, v10
	s_cbranch_execz .LBB214_1207
; %bb.1204:                             ;   in Loop: Header=BB214_810 Depth=1
	v_mov_b32_e32 v6, 7
	v_lshrrev_b32_e32 v8, 3, v10
	s_mov_b32 s17, exec_lo
	v_and_b32_sdwa v6, v12, v6 dst_sel:DWORD dst_unused:UNUSED_PAD src0_sel:WORD_1 src1_sel:DWORD
	v_cmpx_gt_u32_e32 8, v10
; %bb.1205:                             ;   in Loop: Header=BB214_810 Depth=1
	v_ffbh_u32_e32 v8, v6
	v_min_u32_e32 v8, 32, v8
	v_subrev_nc_u32_e32 v10, 28, v8
	v_sub_nc_u32_e32 v8, 29, v8
	v_lshlrev_b64 v[20:21], v10, v[6:7]
	v_and_b32_e32 v6, 7, v20
; %bb.1206:                             ;   in Loop: Header=BB214_810 Depth=1
	s_or_b32 exec_lo, exec_lo, s17
	v_mov_b32_e32 v10, 24
	v_lshlrev_b32_e32 v6, 20, v6
	v_lshl_add_u32 v8, v8, 23, 0x3c000000
	v_lshlrev_b32_sdwa v10, v10, v12 dst_sel:DWORD dst_unused:UNUSED_PAD src0_sel:DWORD src1_sel:WORD_1
	v_and_b32_e32 v10, 0x80000000, v10
	v_or3_b32 v6, v6, v10, v8
	v_mov_b32_e32 v21, v7
	v_mov_b32_e32 v20, v6
.LBB214_1207:                           ;   in Loop: Header=BB214_810 Depth=1
	s_or_b32 exec_lo, exec_lo, s16
.LBB214_1208:                           ;   in Loop: Header=BB214_810 Depth=1
	s_or_b32 exec_lo, exec_lo, s15
.LBB214_1209:                           ;   in Loop: Header=BB214_810 Depth=1
	s_or_b32 exec_lo, exec_lo, s13
	s_mov_b32 s13, exec_lo
	v_cmpx_lt_u32_e32 0xffffff, v12
	s_cbranch_execz .LBB214_1217
; %bb.1210:                             ;   in Loop: Header=BB214_810 Depth=1
	v_mov_b32_e32 v8, v7
	v_mov_b32_e32 v23, v9
	v_cmp_ne_u32_sdwa s4, v12, v81 src0_sel:BYTE_3 src1_sel:DWORD
	v_mov_b32_e32 v22, v8
	s_and_saveexec_b32 s15, s4
	s_cbranch_execz .LBB214_1216
; %bb.1211:                             ;   in Loop: Header=BB214_810 Depth=1
	v_mov_b32_e32 v10, v7
	v_mov_b32_e32 v23, v11
	v_bfe_u32 v13, v12, 24, 7
	s_mov_b32 s16, exec_lo
	v_mov_b32_e32 v22, v10
	v_cmpx_ne_u32_e32 0x7f, v13
	s_cbranch_execz .LBB214_1215
; %bb.1212:                             ;   in Loop: Header=BB214_810 Depth=1
	v_mov_b32_e32 v6, 7
	v_lshrrev_b32_e32 v8, 3, v13
	s_mov_b32 s17, exec_lo
	v_and_b32_sdwa v6, v12, v6 dst_sel:DWORD dst_unused:UNUSED_PAD src0_sel:BYTE_3 src1_sel:DWORD
	v_cmpx_gt_u32_e32 8, v13
; %bb.1213:                             ;   in Loop: Header=BB214_810 Depth=1
	v_ffbh_u32_e32 v8, v6
	v_min_u32_e32 v8, 32, v8
	v_subrev_nc_u32_e32 v10, 28, v8
	v_sub_nc_u32_e32 v8, 29, v8
	v_lshlrev_b64 v[22:23], v10, v[6:7]
	v_and_b32_e32 v6, 7, v22
; %bb.1214:                             ;   in Loop: Header=BB214_810 Depth=1
	s_or_b32 exec_lo, exec_lo, s17
	v_mov_b32_e32 v10, 24
	v_lshlrev_b32_e32 v6, 20, v6
	v_lshl_add_u32 v8, v8, 23, 0x3c000000
	v_mov_b32_e32 v22, v7
	v_lshlrev_b32_sdwa v10, v10, v12 dst_sel:DWORD dst_unused:UNUSED_PAD src0_sel:DWORD src1_sel:BYTE_3
	v_and_b32_e32 v10, 0x80000000, v10
	v_or3_b32 v23, v6, v10, v8
.LBB214_1215:                           ;   in Loop: Header=BB214_810 Depth=1
	s_or_b32 exec_lo, exec_lo, s16
.LBB214_1216:                           ;   in Loop: Header=BB214_810 Depth=1
	s_or_b32 exec_lo, exec_lo, s15
.LBB214_1217:                           ;   in Loop: Header=BB214_810 Depth=1
	s_or_b32 exec_lo, exec_lo, s13
	v_or_b32_e32 v6, v19, v17
	v_or_b32_e32 v8, v18, v16
	;; [unrolled: 1-line block ×4, first 2 shown]
	v_mul_f32_e32 v110, v96, v6
	v_mul_f32_e32 v109, v96, v8
	;; [unrolled: 1-line block ×4, first 2 shown]
	s_and_saveexec_b32 s13, vcc_lo
	s_cbranch_execz .LBB214_1219
; %bb.1218:                             ;   in Loop: Header=BB214_810 Depth=1
	v_cmp_lt_i32_e64 s4, v101, v27
	v_cndmask_b32_e64 v109, 0, v109, s4
	v_cmp_lt_i32_e64 s4, v113, v27
	v_cndmask_b32_e64 v110, 0, v110, s4
	;; [unrolled: 2-line block ×4, first 2 shown]
.LBB214_1219:                           ;   in Loop: Header=BB214_810 Depth=1
	s_or_b32 exec_lo, exec_lo, s13
	flat_load_dword v12, v[4:5] offset:1536
	v_mov_b32_e32 v18, 0
	v_mov_b32_e32 v16, 0
	v_mov_b32_e32 v19, 0
	v_mov_b32_e32 v17, 0
	s_waitcnt vmcnt(0) lgkmcnt(0)
	v_cmp_ne_u16_sdwa s4, v12, v7 src0_sel:BYTE_0 src1_sel:DWORD
	s_and_saveexec_b32 s13, s4
	s_cbranch_execz .LBB214_1227
; %bb.1220:                             ;   in Loop: Header=BB214_810 Depth=1
	v_bfrev_b32_e32 v16, 1
	v_mov_b32_e32 v17, 0
	v_cmp_ne_u16_sdwa s4, v12, v81 src0_sel:BYTE_0 src1_sel:DWORD
	s_and_saveexec_b32 s15, s4
	s_cbranch_execz .LBB214_1226
; %bb.1221:                             ;   in Loop: Header=BB214_810 Depth=1
	v_mov_b32_e32 v16, 0x7f800001
	v_and_b32_e32 v10, 0x7f, v12
	v_mov_b32_e32 v17, 0
	s_mov_b32 s16, exec_lo
	v_cmpx_ne_u32_e32 0x7f, v10
	s_cbranch_execz .LBB214_1225
; %bb.1222:                             ;   in Loop: Header=BB214_810 Depth=1
	v_and_b32_e32 v6, 7, v12
	v_lshrrev_b32_e32 v8, 3, v10
	s_mov_b32 s17, exec_lo
	v_cmpx_gt_u32_e32 8, v10
; %bb.1223:                             ;   in Loop: Header=BB214_810 Depth=1
	v_ffbh_u32_e32 v8, v6
	v_min_u32_e32 v8, 32, v8
	v_subrev_nc_u32_e32 v10, 28, v8
	v_sub_nc_u32_e32 v8, 29, v8
	v_lshlrev_b64 v[16:17], v10, v[6:7]
	v_and_b32_e32 v6, 7, v16
; %bb.1224:                             ;   in Loop: Header=BB214_810 Depth=1
	s_or_b32 exec_lo, exec_lo, s17
	v_lshlrev_b32_e32 v10, 24, v12
	v_lshlrev_b32_e32 v6, 20, v6
	v_lshl_add_u32 v8, v8, 23, 0x3c000000
	v_and_b32_e32 v10, 0x80000000, v10
	v_or3_b32 v6, v6, v10, v8
	v_mov_b32_e32 v17, v7
	v_mov_b32_e32 v16, v6
.LBB214_1225:                           ;   in Loop: Header=BB214_810 Depth=1
	s_or_b32 exec_lo, exec_lo, s16
.LBB214_1226:                           ;   in Loop: Header=BB214_810 Depth=1
	s_or_b32 exec_lo, exec_lo, s15
.LBB214_1227:                           ;   in Loop: Header=BB214_810 Depth=1
	s_or_b32 exec_lo, exec_lo, s13
	v_cmp_ne_u16_sdwa s4, v12, v7 src0_sel:BYTE_1 src1_sel:DWORD
	s_and_saveexec_b32 s13, s4
	s_cbranch_execz .LBB214_1235
; %bb.1228:                             ;   in Loop: Header=BB214_810 Depth=1
	v_mov_b32_e32 v8, v7
	v_mov_b32_e32 v19, v9
	v_cmp_ne_u16_sdwa s4, v12, v81 src0_sel:BYTE_1 src1_sel:DWORD
	v_mov_b32_e32 v18, v8
	s_and_saveexec_b32 s15, s4
	s_cbranch_execz .LBB214_1234
; %bb.1229:                             ;   in Loop: Header=BB214_810 Depth=1
	v_mov_b32_e32 v6, 0xffff
	v_mov_b32_e32 v10, v7
	;; [unrolled: 1-line block ×3, first 2 shown]
	s_mov_b32 s16, exec_lo
	v_and_b32_sdwa v6, v6, v12 dst_sel:DWORD dst_unused:UNUSED_PAD src0_sel:DWORD src1_sel:BYTE_1
	v_mov_b32_e32 v18, v10
	v_and_b32_e32 v13, 0x7f, v6
	v_cmpx_ne_u32_e32 0x7f, v13
	s_cbranch_execz .LBB214_1233
; %bb.1230:                             ;   in Loop: Header=BB214_810 Depth=1
	v_and_b32_e32 v6, 7, v6
	v_lshrrev_b32_e32 v8, 3, v13
	s_mov_b32 s17, exec_lo
	v_cmpx_gt_u32_e32 8, v13
; %bb.1231:                             ;   in Loop: Header=BB214_810 Depth=1
	v_ffbh_u32_e32 v8, v6
	v_min_u32_e32 v8, 32, v8
	v_subrev_nc_u32_e32 v10, 28, v8
	v_sub_nc_u32_e32 v8, 29, v8
	v_lshlrev_b64 v[18:19], v10, v[6:7]
	v_and_b32_e32 v6, 7, v18
; %bb.1232:                             ;   in Loop: Header=BB214_810 Depth=1
	s_or_b32 exec_lo, exec_lo, s17
	v_lshlrev_b32_e32 v10, 16, v12
	v_lshlrev_b32_e32 v6, 20, v6
	v_lshl_add_u32 v8, v8, 23, 0x3c000000
	v_mov_b32_e32 v18, v7
	v_and_b32_e32 v10, 0x80000000, v10
	v_or3_b32 v19, v6, v10, v8
.LBB214_1233:                           ;   in Loop: Header=BB214_810 Depth=1
	s_or_b32 exec_lo, exec_lo, s16
.LBB214_1234:                           ;   in Loop: Header=BB214_810 Depth=1
	s_or_b32 exec_lo, exec_lo, s15
.LBB214_1235:                           ;   in Loop: Header=BB214_810 Depth=1
	s_or_b32 exec_lo, exec_lo, s13
	v_mov_b32_e32 v20, 0
	v_mov_b32_e32 v22, 0
	v_and_b32_sdwa v6, v12, v83 dst_sel:DWORD dst_unused:UNUSED_PAD src0_sel:WORD_1 src1_sel:DWORD
	v_mov_b32_e32 v21, 0
	v_mov_b32_e32 v23, 0
	s_mov_b32 s13, exec_lo
	v_cmpx_ne_u16_e32 0, v6
	s_cbranch_execz .LBB214_1243
; %bb.1236:                             ;   in Loop: Header=BB214_810 Depth=1
	v_bfrev_b32_e32 v22, 1
	v_mov_b32_e32 v23, 0
	s_mov_b32 s15, exec_lo
	v_cmpx_ne_u16_e32 0x80, v6
	s_cbranch_execz .LBB214_1242
; %bb.1237:                             ;   in Loop: Header=BB214_810 Depth=1
	v_mov_b32_e32 v22, 0x7f800001
	v_bfe_u32 v10, v12, 16, 7
	v_mov_b32_e32 v23, 0
	s_mov_b32 s16, exec_lo
	v_cmpx_ne_u32_e32 0x7f, v10
	s_cbranch_execz .LBB214_1241
; %bb.1238:                             ;   in Loop: Header=BB214_810 Depth=1
	v_mov_b32_e32 v6, 7
	v_lshrrev_b32_e32 v8, 3, v10
	s_mov_b32 s17, exec_lo
	v_and_b32_sdwa v6, v12, v6 dst_sel:DWORD dst_unused:UNUSED_PAD src0_sel:WORD_1 src1_sel:DWORD
	v_cmpx_gt_u32_e32 8, v10
; %bb.1239:                             ;   in Loop: Header=BB214_810 Depth=1
	v_ffbh_u32_e32 v8, v6
	v_min_u32_e32 v8, 32, v8
	v_subrev_nc_u32_e32 v10, 28, v8
	v_sub_nc_u32_e32 v8, 29, v8
	v_lshlrev_b64 v[22:23], v10, v[6:7]
	v_and_b32_e32 v6, 7, v22
; %bb.1240:                             ;   in Loop: Header=BB214_810 Depth=1
	s_or_b32 exec_lo, exec_lo, s17
	v_mov_b32_e32 v10, 24
	v_lshlrev_b32_e32 v6, 20, v6
	v_lshl_add_u32 v8, v8, 23, 0x3c000000
	v_lshlrev_b32_sdwa v10, v10, v12 dst_sel:DWORD dst_unused:UNUSED_PAD src0_sel:DWORD src1_sel:WORD_1
	v_and_b32_e32 v10, 0x80000000, v10
	v_or3_b32 v6, v6, v10, v8
	v_mov_b32_e32 v23, v7
	v_mov_b32_e32 v22, v6
.LBB214_1241:                           ;   in Loop: Header=BB214_810 Depth=1
	s_or_b32 exec_lo, exec_lo, s16
.LBB214_1242:                           ;   in Loop: Header=BB214_810 Depth=1
	s_or_b32 exec_lo, exec_lo, s15
.LBB214_1243:                           ;   in Loop: Header=BB214_810 Depth=1
	s_or_b32 exec_lo, exec_lo, s13
	s_mov_b32 s13, exec_lo
	v_cmpx_lt_u32_e32 0xffffff, v12
	s_cbranch_execz .LBB214_1251
; %bb.1244:                             ;   in Loop: Header=BB214_810 Depth=1
	v_mov_b32_e32 v8, v7
	v_mov_b32_e32 v21, v9
	v_cmp_ne_u32_sdwa s4, v12, v81 src0_sel:BYTE_3 src1_sel:DWORD
	v_mov_b32_e32 v20, v8
	s_and_saveexec_b32 s15, s4
	s_cbranch_execz .LBB214_1250
; %bb.1245:                             ;   in Loop: Header=BB214_810 Depth=1
	v_mov_b32_e32 v10, v7
	v_mov_b32_e32 v21, v11
	v_bfe_u32 v13, v12, 24, 7
	s_mov_b32 s16, exec_lo
	v_mov_b32_e32 v20, v10
	v_cmpx_ne_u32_e32 0x7f, v13
	s_cbranch_execz .LBB214_1249
; %bb.1246:                             ;   in Loop: Header=BB214_810 Depth=1
	v_mov_b32_e32 v6, 7
	v_lshrrev_b32_e32 v8, 3, v13
	s_mov_b32 s17, exec_lo
	v_and_b32_sdwa v6, v12, v6 dst_sel:DWORD dst_unused:UNUSED_PAD src0_sel:BYTE_3 src1_sel:DWORD
	v_cmpx_gt_u32_e32 8, v13
; %bb.1247:                             ;   in Loop: Header=BB214_810 Depth=1
	v_ffbh_u32_e32 v8, v6
	v_min_u32_e32 v8, 32, v8
	v_subrev_nc_u32_e32 v10, 28, v8
	v_sub_nc_u32_e32 v8, 29, v8
	v_lshlrev_b64 v[20:21], v10, v[6:7]
	v_and_b32_e32 v6, 7, v20
; %bb.1248:                             ;   in Loop: Header=BB214_810 Depth=1
	s_or_b32 exec_lo, exec_lo, s17
	v_mov_b32_e32 v10, 24
	v_lshlrev_b32_e32 v6, 20, v6
	v_lshl_add_u32 v8, v8, 23, 0x3c000000
	v_mov_b32_e32 v20, v7
	v_lshlrev_b32_sdwa v10, v10, v12 dst_sel:DWORD dst_unused:UNUSED_PAD src0_sel:DWORD src1_sel:BYTE_3
	v_and_b32_e32 v10, 0x80000000, v10
	v_or3_b32 v21, v6, v10, v8
.LBB214_1249:                           ;   in Loop: Header=BB214_810 Depth=1
	s_or_b32 exec_lo, exec_lo, s16
.LBB214_1250:                           ;   in Loop: Header=BB214_810 Depth=1
	s_or_b32 exec_lo, exec_lo, s15
.LBB214_1251:                           ;   in Loop: Header=BB214_810 Depth=1
	s_or_b32 exec_lo, exec_lo, s13
	v_or_b32_e32 v6, v19, v17
	v_or_b32_e32 v8, v18, v16
	;; [unrolled: 1-line block ×4, first 2 shown]
	v_mul_f32_e32 v122, v96, v6
	v_mul_f32_e32 v121, v96, v8
	;; [unrolled: 1-line block ×4, first 2 shown]
	s_and_saveexec_b32 s13, vcc_lo
	s_cbranch_execz .LBB214_1253
; %bb.1252:                             ;   in Loop: Header=BB214_810 Depth=1
	v_cmp_lt_i32_e64 s4, v101, v27
	v_cndmask_b32_e64 v121, 0, v121, s4
	v_cmp_lt_i32_e64 s4, v113, v27
	v_cndmask_b32_e64 v122, 0, v122, s4
	;; [unrolled: 2-line block ×4, first 2 shown]
.LBB214_1253:                           ;   in Loop: Header=BB214_810 Depth=1
	s_or_b32 exec_lo, exec_lo, s13
	flat_load_dword v12, v[4:5] offset:1664
	v_mov_b32_e32 v18, 0
	v_mov_b32_e32 v16, 0
	v_mov_b32_e32 v19, 0
	v_mov_b32_e32 v17, 0
	s_waitcnt vmcnt(0) lgkmcnt(0)
	v_cmp_ne_u16_sdwa s4, v12, v7 src0_sel:BYTE_0 src1_sel:DWORD
	s_and_saveexec_b32 s13, s4
	s_cbranch_execz .LBB214_1261
; %bb.1254:                             ;   in Loop: Header=BB214_810 Depth=1
	v_bfrev_b32_e32 v16, 1
	v_mov_b32_e32 v17, 0
	v_cmp_ne_u16_sdwa s4, v12, v81 src0_sel:BYTE_0 src1_sel:DWORD
	s_and_saveexec_b32 s15, s4
	s_cbranch_execz .LBB214_1260
; %bb.1255:                             ;   in Loop: Header=BB214_810 Depth=1
	v_mov_b32_e32 v16, 0x7f800001
	v_and_b32_e32 v10, 0x7f, v12
	v_mov_b32_e32 v17, 0
	s_mov_b32 s16, exec_lo
	v_cmpx_ne_u32_e32 0x7f, v10
	s_cbranch_execz .LBB214_1259
; %bb.1256:                             ;   in Loop: Header=BB214_810 Depth=1
	v_and_b32_e32 v6, 7, v12
	v_lshrrev_b32_e32 v8, 3, v10
	s_mov_b32 s17, exec_lo
	v_cmpx_gt_u32_e32 8, v10
; %bb.1257:                             ;   in Loop: Header=BB214_810 Depth=1
	v_ffbh_u32_e32 v8, v6
	v_min_u32_e32 v8, 32, v8
	v_subrev_nc_u32_e32 v10, 28, v8
	v_sub_nc_u32_e32 v8, 29, v8
	v_lshlrev_b64 v[16:17], v10, v[6:7]
	v_and_b32_e32 v6, 7, v16
; %bb.1258:                             ;   in Loop: Header=BB214_810 Depth=1
	s_or_b32 exec_lo, exec_lo, s17
	v_lshlrev_b32_e32 v10, 24, v12
	v_lshlrev_b32_e32 v6, 20, v6
	v_lshl_add_u32 v8, v8, 23, 0x3c000000
	v_and_b32_e32 v10, 0x80000000, v10
	v_or3_b32 v6, v6, v10, v8
	v_mov_b32_e32 v17, v7
	v_mov_b32_e32 v16, v6
.LBB214_1259:                           ;   in Loop: Header=BB214_810 Depth=1
	s_or_b32 exec_lo, exec_lo, s16
.LBB214_1260:                           ;   in Loop: Header=BB214_810 Depth=1
	s_or_b32 exec_lo, exec_lo, s15
.LBB214_1261:                           ;   in Loop: Header=BB214_810 Depth=1
	s_or_b32 exec_lo, exec_lo, s13
	v_cmp_ne_u16_sdwa s4, v12, v7 src0_sel:BYTE_1 src1_sel:DWORD
	s_and_saveexec_b32 s13, s4
	s_cbranch_execz .LBB214_1269
; %bb.1262:                             ;   in Loop: Header=BB214_810 Depth=1
	v_mov_b32_e32 v8, v7
	v_mov_b32_e32 v19, v9
	v_cmp_ne_u16_sdwa s4, v12, v81 src0_sel:BYTE_1 src1_sel:DWORD
	v_mov_b32_e32 v18, v8
	s_and_saveexec_b32 s15, s4
	s_cbranch_execz .LBB214_1268
; %bb.1263:                             ;   in Loop: Header=BB214_810 Depth=1
	v_mov_b32_e32 v6, 0xffff
	v_mov_b32_e32 v10, v7
	;; [unrolled: 1-line block ×3, first 2 shown]
	s_mov_b32 s16, exec_lo
	v_and_b32_sdwa v6, v6, v12 dst_sel:DWORD dst_unused:UNUSED_PAD src0_sel:DWORD src1_sel:BYTE_1
	v_mov_b32_e32 v18, v10
	v_and_b32_e32 v13, 0x7f, v6
	v_cmpx_ne_u32_e32 0x7f, v13
	s_cbranch_execz .LBB214_1267
; %bb.1264:                             ;   in Loop: Header=BB214_810 Depth=1
	v_and_b32_e32 v6, 7, v6
	v_lshrrev_b32_e32 v8, 3, v13
	s_mov_b32 s17, exec_lo
	v_cmpx_gt_u32_e32 8, v13
; %bb.1265:                             ;   in Loop: Header=BB214_810 Depth=1
	v_ffbh_u32_e32 v8, v6
	v_min_u32_e32 v8, 32, v8
	v_subrev_nc_u32_e32 v10, 28, v8
	v_sub_nc_u32_e32 v8, 29, v8
	v_lshlrev_b64 v[18:19], v10, v[6:7]
	v_and_b32_e32 v6, 7, v18
; %bb.1266:                             ;   in Loop: Header=BB214_810 Depth=1
	s_or_b32 exec_lo, exec_lo, s17
	v_lshlrev_b32_e32 v10, 16, v12
	v_lshlrev_b32_e32 v6, 20, v6
	v_lshl_add_u32 v8, v8, 23, 0x3c000000
	v_mov_b32_e32 v18, v7
	v_and_b32_e32 v10, 0x80000000, v10
	v_or3_b32 v19, v6, v10, v8
.LBB214_1267:                           ;   in Loop: Header=BB214_810 Depth=1
	s_or_b32 exec_lo, exec_lo, s16
.LBB214_1268:                           ;   in Loop: Header=BB214_810 Depth=1
	s_or_b32 exec_lo, exec_lo, s15
.LBB214_1269:                           ;   in Loop: Header=BB214_810 Depth=1
	s_or_b32 exec_lo, exec_lo, s13
	v_mov_b32_e32 v20, 0
	v_mov_b32_e32 v22, 0
	v_and_b32_sdwa v6, v12, v83 dst_sel:DWORD dst_unused:UNUSED_PAD src0_sel:WORD_1 src1_sel:DWORD
	v_mov_b32_e32 v21, 0
	v_mov_b32_e32 v23, 0
	s_mov_b32 s13, exec_lo
	v_cmpx_ne_u16_e32 0, v6
	s_cbranch_execz .LBB214_1277
; %bb.1270:                             ;   in Loop: Header=BB214_810 Depth=1
	v_bfrev_b32_e32 v22, 1
	v_mov_b32_e32 v23, 0
	s_mov_b32 s15, exec_lo
	v_cmpx_ne_u16_e32 0x80, v6
	s_cbranch_execz .LBB214_1276
; %bb.1271:                             ;   in Loop: Header=BB214_810 Depth=1
	v_mov_b32_e32 v22, 0x7f800001
	v_bfe_u32 v10, v12, 16, 7
	v_mov_b32_e32 v23, 0
	s_mov_b32 s16, exec_lo
	v_cmpx_ne_u32_e32 0x7f, v10
	s_cbranch_execz .LBB214_1275
; %bb.1272:                             ;   in Loop: Header=BB214_810 Depth=1
	v_mov_b32_e32 v6, 7
	v_lshrrev_b32_e32 v8, 3, v10
	s_mov_b32 s17, exec_lo
	v_and_b32_sdwa v6, v12, v6 dst_sel:DWORD dst_unused:UNUSED_PAD src0_sel:WORD_1 src1_sel:DWORD
	v_cmpx_gt_u32_e32 8, v10
; %bb.1273:                             ;   in Loop: Header=BB214_810 Depth=1
	v_ffbh_u32_e32 v8, v6
	v_min_u32_e32 v8, 32, v8
	v_subrev_nc_u32_e32 v10, 28, v8
	v_sub_nc_u32_e32 v8, 29, v8
	v_lshlrev_b64 v[22:23], v10, v[6:7]
	v_and_b32_e32 v6, 7, v22
; %bb.1274:                             ;   in Loop: Header=BB214_810 Depth=1
	s_or_b32 exec_lo, exec_lo, s17
	v_mov_b32_e32 v10, 24
	v_lshlrev_b32_e32 v6, 20, v6
	v_lshl_add_u32 v8, v8, 23, 0x3c000000
	v_lshlrev_b32_sdwa v10, v10, v12 dst_sel:DWORD dst_unused:UNUSED_PAD src0_sel:DWORD src1_sel:WORD_1
	v_and_b32_e32 v10, 0x80000000, v10
	v_or3_b32 v6, v6, v10, v8
	v_mov_b32_e32 v23, v7
	v_mov_b32_e32 v22, v6
.LBB214_1275:                           ;   in Loop: Header=BB214_810 Depth=1
	s_or_b32 exec_lo, exec_lo, s16
.LBB214_1276:                           ;   in Loop: Header=BB214_810 Depth=1
	s_or_b32 exec_lo, exec_lo, s15
.LBB214_1277:                           ;   in Loop: Header=BB214_810 Depth=1
	s_or_b32 exec_lo, exec_lo, s13
	s_mov_b32 s13, exec_lo
	v_cmpx_lt_u32_e32 0xffffff, v12
	s_cbranch_execz .LBB214_1285
; %bb.1278:                             ;   in Loop: Header=BB214_810 Depth=1
	v_mov_b32_e32 v8, v7
	v_mov_b32_e32 v21, v9
	v_cmp_ne_u32_sdwa s4, v12, v81 src0_sel:BYTE_3 src1_sel:DWORD
	v_mov_b32_e32 v20, v8
	s_and_saveexec_b32 s15, s4
	s_cbranch_execz .LBB214_1284
; %bb.1279:                             ;   in Loop: Header=BB214_810 Depth=1
	v_mov_b32_e32 v10, v7
	v_mov_b32_e32 v21, v11
	v_bfe_u32 v13, v12, 24, 7
	s_mov_b32 s16, exec_lo
	v_mov_b32_e32 v20, v10
	v_cmpx_ne_u32_e32 0x7f, v13
	s_cbranch_execz .LBB214_1283
; %bb.1280:                             ;   in Loop: Header=BB214_810 Depth=1
	v_mov_b32_e32 v6, 7
	v_lshrrev_b32_e32 v8, 3, v13
	s_mov_b32 s17, exec_lo
	v_and_b32_sdwa v6, v12, v6 dst_sel:DWORD dst_unused:UNUSED_PAD src0_sel:BYTE_3 src1_sel:DWORD
	v_cmpx_gt_u32_e32 8, v13
; %bb.1281:                             ;   in Loop: Header=BB214_810 Depth=1
	v_ffbh_u32_e32 v8, v6
	v_min_u32_e32 v8, 32, v8
	v_subrev_nc_u32_e32 v10, 28, v8
	v_sub_nc_u32_e32 v8, 29, v8
	v_lshlrev_b64 v[20:21], v10, v[6:7]
	v_and_b32_e32 v6, 7, v20
; %bb.1282:                             ;   in Loop: Header=BB214_810 Depth=1
	s_or_b32 exec_lo, exec_lo, s17
	v_mov_b32_e32 v10, 24
	v_lshlrev_b32_e32 v6, 20, v6
	v_lshl_add_u32 v8, v8, 23, 0x3c000000
	v_mov_b32_e32 v20, v7
	v_lshlrev_b32_sdwa v10, v10, v12 dst_sel:DWORD dst_unused:UNUSED_PAD src0_sel:DWORD src1_sel:BYTE_3
	v_and_b32_e32 v10, 0x80000000, v10
	v_or3_b32 v21, v6, v10, v8
.LBB214_1283:                           ;   in Loop: Header=BB214_810 Depth=1
	s_or_b32 exec_lo, exec_lo, s16
.LBB214_1284:                           ;   in Loop: Header=BB214_810 Depth=1
	s_or_b32 exec_lo, exec_lo, s15
.LBB214_1285:                           ;   in Loop: Header=BB214_810 Depth=1
	s_or_b32 exec_lo, exec_lo, s13
	v_or_b32_e32 v6, v19, v17
	v_or_b32_e32 v8, v18, v16
	;; [unrolled: 1-line block ×4, first 2 shown]
	v_mul_f32_e32 v126, v96, v6
	v_mul_f32_e32 v125, v96, v8
	;; [unrolled: 1-line block ×4, first 2 shown]
	s_and_saveexec_b32 s13, vcc_lo
	s_cbranch_execz .LBB214_1287
; %bb.1286:                             ;   in Loop: Header=BB214_810 Depth=1
	v_cmp_lt_i32_e64 s4, v101, v27
	v_cndmask_b32_e64 v125, 0, v125, s4
	v_cmp_lt_i32_e64 s4, v113, v27
	v_cndmask_b32_e64 v126, 0, v126, s4
	;; [unrolled: 2-line block ×4, first 2 shown]
.LBB214_1287:                           ;   in Loop: Header=BB214_810 Depth=1
	s_or_b32 exec_lo, exec_lo, s13
	flat_load_dword v12, v[4:5] offset:1792
	v_mov_b32_e32 v18, 0
	v_mov_b32_e32 v16, 0
	;; [unrolled: 1-line block ×4, first 2 shown]
	s_waitcnt vmcnt(0) lgkmcnt(0)
	v_cmp_ne_u16_sdwa s4, v12, v7 src0_sel:BYTE_0 src1_sel:DWORD
	s_and_saveexec_b32 s13, s4
	s_cbranch_execz .LBB214_1295
; %bb.1288:                             ;   in Loop: Header=BB214_810 Depth=1
	v_bfrev_b32_e32 v16, 1
	v_mov_b32_e32 v17, 0
	v_cmp_ne_u16_sdwa s4, v12, v81 src0_sel:BYTE_0 src1_sel:DWORD
	s_and_saveexec_b32 s15, s4
	s_cbranch_execz .LBB214_1294
; %bb.1289:                             ;   in Loop: Header=BB214_810 Depth=1
	v_mov_b32_e32 v16, 0x7f800001
	v_and_b32_e32 v10, 0x7f, v12
	v_mov_b32_e32 v17, 0
	s_mov_b32 s16, exec_lo
	v_cmpx_ne_u32_e32 0x7f, v10
	s_cbranch_execz .LBB214_1293
; %bb.1290:                             ;   in Loop: Header=BB214_810 Depth=1
	v_and_b32_e32 v6, 7, v12
	v_lshrrev_b32_e32 v8, 3, v10
	s_mov_b32 s17, exec_lo
	v_cmpx_gt_u32_e32 8, v10
; %bb.1291:                             ;   in Loop: Header=BB214_810 Depth=1
	v_ffbh_u32_e32 v8, v6
	v_min_u32_e32 v8, 32, v8
	v_subrev_nc_u32_e32 v10, 28, v8
	v_sub_nc_u32_e32 v8, 29, v8
	v_lshlrev_b64 v[16:17], v10, v[6:7]
	v_and_b32_e32 v6, 7, v16
; %bb.1292:                             ;   in Loop: Header=BB214_810 Depth=1
	s_or_b32 exec_lo, exec_lo, s17
	v_lshlrev_b32_e32 v10, 24, v12
	v_lshlrev_b32_e32 v6, 20, v6
	v_lshl_add_u32 v8, v8, 23, 0x3c000000
	v_and_b32_e32 v10, 0x80000000, v10
	v_or3_b32 v6, v6, v10, v8
	v_mov_b32_e32 v17, v7
	v_mov_b32_e32 v16, v6
.LBB214_1293:                           ;   in Loop: Header=BB214_810 Depth=1
	s_or_b32 exec_lo, exec_lo, s16
.LBB214_1294:                           ;   in Loop: Header=BB214_810 Depth=1
	s_or_b32 exec_lo, exec_lo, s15
.LBB214_1295:                           ;   in Loop: Header=BB214_810 Depth=1
	s_or_b32 exec_lo, exec_lo, s13
	v_cmp_ne_u16_sdwa s4, v12, v7 src0_sel:BYTE_1 src1_sel:DWORD
	s_and_saveexec_b32 s13, s4
	s_cbranch_execz .LBB214_1303
; %bb.1296:                             ;   in Loop: Header=BB214_810 Depth=1
	v_mov_b32_e32 v8, v7
	v_mov_b32_e32 v19, v9
	v_cmp_ne_u16_sdwa s4, v12, v81 src0_sel:BYTE_1 src1_sel:DWORD
	v_mov_b32_e32 v18, v8
	s_and_saveexec_b32 s15, s4
	s_cbranch_execz .LBB214_1302
; %bb.1297:                             ;   in Loop: Header=BB214_810 Depth=1
	v_mov_b32_e32 v6, 0xffff
	v_mov_b32_e32 v10, v7
	;; [unrolled: 1-line block ×3, first 2 shown]
	s_mov_b32 s16, exec_lo
	v_and_b32_sdwa v6, v6, v12 dst_sel:DWORD dst_unused:UNUSED_PAD src0_sel:DWORD src1_sel:BYTE_1
	v_mov_b32_e32 v18, v10
	v_and_b32_e32 v13, 0x7f, v6
	v_cmpx_ne_u32_e32 0x7f, v13
	s_cbranch_execz .LBB214_1301
; %bb.1298:                             ;   in Loop: Header=BB214_810 Depth=1
	v_and_b32_e32 v6, 7, v6
	v_lshrrev_b32_e32 v8, 3, v13
	s_mov_b32 s17, exec_lo
	v_cmpx_gt_u32_e32 8, v13
; %bb.1299:                             ;   in Loop: Header=BB214_810 Depth=1
	v_ffbh_u32_e32 v8, v6
	v_min_u32_e32 v8, 32, v8
	v_subrev_nc_u32_e32 v10, 28, v8
	v_sub_nc_u32_e32 v8, 29, v8
	v_lshlrev_b64 v[18:19], v10, v[6:7]
	v_and_b32_e32 v6, 7, v18
; %bb.1300:                             ;   in Loop: Header=BB214_810 Depth=1
	s_or_b32 exec_lo, exec_lo, s17
	v_lshlrev_b32_e32 v10, 16, v12
	v_lshlrev_b32_e32 v6, 20, v6
	v_lshl_add_u32 v8, v8, 23, 0x3c000000
	v_mov_b32_e32 v18, v7
	v_and_b32_e32 v10, 0x80000000, v10
	v_or3_b32 v19, v6, v10, v8
.LBB214_1301:                           ;   in Loop: Header=BB214_810 Depth=1
	s_or_b32 exec_lo, exec_lo, s16
.LBB214_1302:                           ;   in Loop: Header=BB214_810 Depth=1
	s_or_b32 exec_lo, exec_lo, s15
.LBB214_1303:                           ;   in Loop: Header=BB214_810 Depth=1
	s_or_b32 exec_lo, exec_lo, s13
	v_mov_b32_e32 v20, 0
	v_mov_b32_e32 v22, 0
	v_and_b32_sdwa v6, v12, v83 dst_sel:DWORD dst_unused:UNUSED_PAD src0_sel:WORD_1 src1_sel:DWORD
	v_mov_b32_e32 v21, 0
	v_mov_b32_e32 v23, 0
	s_mov_b32 s13, exec_lo
	v_cmpx_ne_u16_e32 0, v6
	s_cbranch_execz .LBB214_1311
; %bb.1304:                             ;   in Loop: Header=BB214_810 Depth=1
	v_bfrev_b32_e32 v22, 1
	v_mov_b32_e32 v23, 0
	s_mov_b32 s15, exec_lo
	v_cmpx_ne_u16_e32 0x80, v6
	s_cbranch_execz .LBB214_1310
; %bb.1305:                             ;   in Loop: Header=BB214_810 Depth=1
	v_mov_b32_e32 v22, 0x7f800001
	v_bfe_u32 v10, v12, 16, 7
	v_mov_b32_e32 v23, 0
	s_mov_b32 s16, exec_lo
	v_cmpx_ne_u32_e32 0x7f, v10
	s_cbranch_execz .LBB214_1309
; %bb.1306:                             ;   in Loop: Header=BB214_810 Depth=1
	v_mov_b32_e32 v6, 7
	v_lshrrev_b32_e32 v8, 3, v10
	s_mov_b32 s17, exec_lo
	v_and_b32_sdwa v6, v12, v6 dst_sel:DWORD dst_unused:UNUSED_PAD src0_sel:WORD_1 src1_sel:DWORD
	v_cmpx_gt_u32_e32 8, v10
; %bb.1307:                             ;   in Loop: Header=BB214_810 Depth=1
	v_ffbh_u32_e32 v8, v6
	v_min_u32_e32 v8, 32, v8
	v_subrev_nc_u32_e32 v10, 28, v8
	v_sub_nc_u32_e32 v8, 29, v8
	v_lshlrev_b64 v[22:23], v10, v[6:7]
	v_and_b32_e32 v6, 7, v22
; %bb.1308:                             ;   in Loop: Header=BB214_810 Depth=1
	s_or_b32 exec_lo, exec_lo, s17
	v_mov_b32_e32 v10, 24
	v_lshlrev_b32_e32 v6, 20, v6
	v_lshl_add_u32 v8, v8, 23, 0x3c000000
	v_lshlrev_b32_sdwa v10, v10, v12 dst_sel:DWORD dst_unused:UNUSED_PAD src0_sel:DWORD src1_sel:WORD_1
	v_and_b32_e32 v10, 0x80000000, v10
	v_or3_b32 v6, v6, v10, v8
	v_mov_b32_e32 v23, v7
	v_mov_b32_e32 v22, v6
.LBB214_1309:                           ;   in Loop: Header=BB214_810 Depth=1
	s_or_b32 exec_lo, exec_lo, s16
.LBB214_1310:                           ;   in Loop: Header=BB214_810 Depth=1
	s_or_b32 exec_lo, exec_lo, s15
.LBB214_1311:                           ;   in Loop: Header=BB214_810 Depth=1
	s_or_b32 exec_lo, exec_lo, s13
	s_mov_b32 s13, exec_lo
	v_cmpx_lt_u32_e32 0xffffff, v12
	s_cbranch_execz .LBB214_1319
; %bb.1312:                             ;   in Loop: Header=BB214_810 Depth=1
	v_mov_b32_e32 v8, v7
	v_mov_b32_e32 v21, v9
	v_cmp_ne_u32_sdwa s4, v12, v81 src0_sel:BYTE_3 src1_sel:DWORD
	v_mov_b32_e32 v20, v8
	s_and_saveexec_b32 s15, s4
	s_cbranch_execz .LBB214_1318
; %bb.1313:                             ;   in Loop: Header=BB214_810 Depth=1
	v_mov_b32_e32 v10, v7
	v_mov_b32_e32 v21, v11
	v_bfe_u32 v13, v12, 24, 7
	s_mov_b32 s16, exec_lo
	v_mov_b32_e32 v20, v10
	v_cmpx_ne_u32_e32 0x7f, v13
	s_cbranch_execz .LBB214_1317
; %bb.1314:                             ;   in Loop: Header=BB214_810 Depth=1
	v_mov_b32_e32 v6, 7
	v_lshrrev_b32_e32 v8, 3, v13
	s_mov_b32 s17, exec_lo
	v_and_b32_sdwa v6, v12, v6 dst_sel:DWORD dst_unused:UNUSED_PAD src0_sel:BYTE_3 src1_sel:DWORD
	v_cmpx_gt_u32_e32 8, v13
; %bb.1315:                             ;   in Loop: Header=BB214_810 Depth=1
	v_ffbh_u32_e32 v8, v6
	v_min_u32_e32 v8, 32, v8
	v_subrev_nc_u32_e32 v10, 28, v8
	v_sub_nc_u32_e32 v8, 29, v8
	v_lshlrev_b64 v[20:21], v10, v[6:7]
	v_and_b32_e32 v6, 7, v20
; %bb.1316:                             ;   in Loop: Header=BB214_810 Depth=1
	s_or_b32 exec_lo, exec_lo, s17
	v_mov_b32_e32 v10, 24
	v_lshlrev_b32_e32 v6, 20, v6
	v_lshl_add_u32 v8, v8, 23, 0x3c000000
	v_mov_b32_e32 v20, v7
	v_lshlrev_b32_sdwa v10, v10, v12 dst_sel:DWORD dst_unused:UNUSED_PAD src0_sel:DWORD src1_sel:BYTE_3
	v_and_b32_e32 v10, 0x80000000, v10
	v_or3_b32 v21, v6, v10, v8
.LBB214_1317:                           ;   in Loop: Header=BB214_810 Depth=1
	s_or_b32 exec_lo, exec_lo, s16
.LBB214_1318:                           ;   in Loop: Header=BB214_810 Depth=1
	s_or_b32 exec_lo, exec_lo, s15
.LBB214_1319:                           ;   in Loop: Header=BB214_810 Depth=1
	s_or_b32 exec_lo, exec_lo, s13
	v_or_b32_e32 v6, v19, v17
	v_or_b32_e32 v8, v18, v16
	v_or_b32_e32 v10, v20, v22
	v_or_b32_e32 v12, v21, v23
	v_mul_f32_e32 v71, v96, v6
	v_mul_f32_e32 v26, v96, v8
	;; [unrolled: 1-line block ×4, first 2 shown]
	s_and_saveexec_b32 s13, vcc_lo
	s_cbranch_execz .LBB214_1321
; %bb.1320:                             ;   in Loop: Header=BB214_810 Depth=1
	v_cmp_lt_i32_e64 s4, v101, v27
	v_cndmask_b32_e64 v26, 0, v26, s4
	v_cmp_lt_i32_e64 s4, v113, v27
	v_cndmask_b32_e64 v71, 0, v71, s4
	;; [unrolled: 2-line block ×4, first 2 shown]
.LBB214_1321:                           ;   in Loop: Header=BB214_810 Depth=1
	s_or_b32 exec_lo, exec_lo, s13
	flat_load_dword v12, v[4:5] offset:1920
	v_mov_b32_e32 v18, 0
	v_mov_b32_e32 v16, 0
	;; [unrolled: 1-line block ×4, first 2 shown]
	s_waitcnt vmcnt(0) lgkmcnt(0)
	v_cmp_ne_u16_sdwa s4, v12, v7 src0_sel:BYTE_0 src1_sel:DWORD
	s_and_saveexec_b32 s13, s4
	s_cbranch_execz .LBB214_1329
; %bb.1322:                             ;   in Loop: Header=BB214_810 Depth=1
	v_bfrev_b32_e32 v16, 1
	v_mov_b32_e32 v17, 0
	v_cmp_ne_u16_sdwa s4, v12, v81 src0_sel:BYTE_0 src1_sel:DWORD
	s_and_saveexec_b32 s15, s4
	s_cbranch_execz .LBB214_1328
; %bb.1323:                             ;   in Loop: Header=BB214_810 Depth=1
	v_mov_b32_e32 v16, 0x7f800001
	v_and_b32_e32 v10, 0x7f, v12
	v_mov_b32_e32 v17, 0
	s_mov_b32 s16, exec_lo
	v_cmpx_ne_u32_e32 0x7f, v10
	s_cbranch_execz .LBB214_1327
; %bb.1324:                             ;   in Loop: Header=BB214_810 Depth=1
	v_and_b32_e32 v6, 7, v12
	v_lshrrev_b32_e32 v8, 3, v10
	s_mov_b32 s17, exec_lo
	v_cmpx_gt_u32_e32 8, v10
; %bb.1325:                             ;   in Loop: Header=BB214_810 Depth=1
	v_ffbh_u32_e32 v8, v6
	v_min_u32_e32 v8, 32, v8
	v_subrev_nc_u32_e32 v10, 28, v8
	v_sub_nc_u32_e32 v8, 29, v8
	v_lshlrev_b64 v[16:17], v10, v[6:7]
	v_and_b32_e32 v6, 7, v16
; %bb.1326:                             ;   in Loop: Header=BB214_810 Depth=1
	s_or_b32 exec_lo, exec_lo, s17
	v_lshlrev_b32_e32 v10, 24, v12
	v_lshlrev_b32_e32 v6, 20, v6
	v_lshl_add_u32 v8, v8, 23, 0x3c000000
	v_and_b32_e32 v10, 0x80000000, v10
	v_or3_b32 v6, v6, v10, v8
	v_mov_b32_e32 v17, v7
	v_mov_b32_e32 v16, v6
.LBB214_1327:                           ;   in Loop: Header=BB214_810 Depth=1
	s_or_b32 exec_lo, exec_lo, s16
.LBB214_1328:                           ;   in Loop: Header=BB214_810 Depth=1
	s_or_b32 exec_lo, exec_lo, s15
.LBB214_1329:                           ;   in Loop: Header=BB214_810 Depth=1
	s_or_b32 exec_lo, exec_lo, s13
	v_cmp_ne_u16_sdwa s4, v12, v7 src0_sel:BYTE_1 src1_sel:DWORD
	s_and_saveexec_b32 s13, s4
	s_cbranch_execz .LBB214_1337
; %bb.1330:                             ;   in Loop: Header=BB214_810 Depth=1
	v_mov_b32_e32 v8, v7
	v_mov_b32_e32 v19, v9
	v_cmp_ne_u16_sdwa s4, v12, v81 src0_sel:BYTE_1 src1_sel:DWORD
	v_mov_b32_e32 v18, v8
	s_and_saveexec_b32 s15, s4
	s_cbranch_execz .LBB214_1336
; %bb.1331:                             ;   in Loop: Header=BB214_810 Depth=1
	v_mov_b32_e32 v6, 0xffff
	v_mov_b32_e32 v10, v7
	;; [unrolled: 1-line block ×3, first 2 shown]
	s_mov_b32 s16, exec_lo
	v_and_b32_sdwa v6, v6, v12 dst_sel:DWORD dst_unused:UNUSED_PAD src0_sel:DWORD src1_sel:BYTE_1
	v_mov_b32_e32 v18, v10
	v_and_b32_e32 v13, 0x7f, v6
	v_cmpx_ne_u32_e32 0x7f, v13
	s_cbranch_execz .LBB214_1335
; %bb.1332:                             ;   in Loop: Header=BB214_810 Depth=1
	v_and_b32_e32 v6, 7, v6
	v_lshrrev_b32_e32 v8, 3, v13
	s_mov_b32 s17, exec_lo
	v_cmpx_gt_u32_e32 8, v13
; %bb.1333:                             ;   in Loop: Header=BB214_810 Depth=1
	v_ffbh_u32_e32 v8, v6
	v_min_u32_e32 v8, 32, v8
	v_subrev_nc_u32_e32 v10, 28, v8
	v_sub_nc_u32_e32 v8, 29, v8
	v_lshlrev_b64 v[18:19], v10, v[6:7]
	v_and_b32_e32 v6, 7, v18
; %bb.1334:                             ;   in Loop: Header=BB214_810 Depth=1
	s_or_b32 exec_lo, exec_lo, s17
	v_lshlrev_b32_e32 v10, 16, v12
	v_lshlrev_b32_e32 v6, 20, v6
	v_lshl_add_u32 v8, v8, 23, 0x3c000000
	v_mov_b32_e32 v18, v7
	v_and_b32_e32 v10, 0x80000000, v10
	v_or3_b32 v19, v6, v10, v8
.LBB214_1335:                           ;   in Loop: Header=BB214_810 Depth=1
	s_or_b32 exec_lo, exec_lo, s16
.LBB214_1336:                           ;   in Loop: Header=BB214_810 Depth=1
	s_or_b32 exec_lo, exec_lo, s15
.LBB214_1337:                           ;   in Loop: Header=BB214_810 Depth=1
	s_or_b32 exec_lo, exec_lo, s13
	v_mov_b32_e32 v20, 0
	v_mov_b32_e32 v22, 0
	v_and_b32_sdwa v6, v12, v83 dst_sel:DWORD dst_unused:UNUSED_PAD src0_sel:WORD_1 src1_sel:DWORD
	v_mov_b32_e32 v21, 0
	v_mov_b32_e32 v23, 0
	s_mov_b32 s13, exec_lo
	v_cmpx_ne_u16_e32 0, v6
	s_cbranch_execz .LBB214_1345
; %bb.1338:                             ;   in Loop: Header=BB214_810 Depth=1
	v_bfrev_b32_e32 v22, 1
	v_mov_b32_e32 v23, 0
	s_mov_b32 s15, exec_lo
	v_cmpx_ne_u16_e32 0x80, v6
	s_cbranch_execz .LBB214_1344
; %bb.1339:                             ;   in Loop: Header=BB214_810 Depth=1
	v_mov_b32_e32 v22, 0x7f800001
	v_bfe_u32 v10, v12, 16, 7
	v_mov_b32_e32 v23, 0
	s_mov_b32 s16, exec_lo
	v_cmpx_ne_u32_e32 0x7f, v10
	s_cbranch_execz .LBB214_1343
; %bb.1340:                             ;   in Loop: Header=BB214_810 Depth=1
	v_mov_b32_e32 v6, 7
	v_lshrrev_b32_e32 v8, 3, v10
	s_mov_b32 s17, exec_lo
	v_and_b32_sdwa v6, v12, v6 dst_sel:DWORD dst_unused:UNUSED_PAD src0_sel:WORD_1 src1_sel:DWORD
	v_cmpx_gt_u32_e32 8, v10
; %bb.1341:                             ;   in Loop: Header=BB214_810 Depth=1
	v_ffbh_u32_e32 v8, v6
	v_min_u32_e32 v8, 32, v8
	v_subrev_nc_u32_e32 v10, 28, v8
	v_sub_nc_u32_e32 v8, 29, v8
	v_lshlrev_b64 v[22:23], v10, v[6:7]
	v_and_b32_e32 v6, 7, v22
; %bb.1342:                             ;   in Loop: Header=BB214_810 Depth=1
	s_or_b32 exec_lo, exec_lo, s17
	v_mov_b32_e32 v10, 24
	v_lshlrev_b32_e32 v6, 20, v6
	v_lshl_add_u32 v8, v8, 23, 0x3c000000
	v_lshlrev_b32_sdwa v10, v10, v12 dst_sel:DWORD dst_unused:UNUSED_PAD src0_sel:DWORD src1_sel:WORD_1
	v_and_b32_e32 v10, 0x80000000, v10
	v_or3_b32 v6, v6, v10, v8
	v_mov_b32_e32 v23, v7
	v_mov_b32_e32 v22, v6
.LBB214_1343:                           ;   in Loop: Header=BB214_810 Depth=1
	s_or_b32 exec_lo, exec_lo, s16
.LBB214_1344:                           ;   in Loop: Header=BB214_810 Depth=1
	s_or_b32 exec_lo, exec_lo, s15
.LBB214_1345:                           ;   in Loop: Header=BB214_810 Depth=1
	s_or_b32 exec_lo, exec_lo, s13
	s_mov_b32 s13, exec_lo
	v_cmpx_lt_u32_e32 0xffffff, v12
	s_cbranch_execz .LBB214_1353
; %bb.1346:                             ;   in Loop: Header=BB214_810 Depth=1
	v_mov_b32_e32 v8, v7
	v_mov_b32_e32 v21, v9
	v_cmp_ne_u32_sdwa s4, v12, v81 src0_sel:BYTE_3 src1_sel:DWORD
	v_mov_b32_e32 v20, v8
	s_and_saveexec_b32 s15, s4
	s_cbranch_execz .LBB214_1352
; %bb.1347:                             ;   in Loop: Header=BB214_810 Depth=1
	v_mov_b32_e32 v10, v7
	v_mov_b32_e32 v21, v11
	v_bfe_u32 v13, v12, 24, 7
	s_mov_b32 s16, exec_lo
	v_mov_b32_e32 v20, v10
	v_cmpx_ne_u32_e32 0x7f, v13
	s_cbranch_execz .LBB214_1351
; %bb.1348:                             ;   in Loop: Header=BB214_810 Depth=1
	v_mov_b32_e32 v6, 7
	v_lshrrev_b32_e32 v8, 3, v13
	s_mov_b32 s17, exec_lo
	v_and_b32_sdwa v6, v12, v6 dst_sel:DWORD dst_unused:UNUSED_PAD src0_sel:BYTE_3 src1_sel:DWORD
	v_cmpx_gt_u32_e32 8, v13
; %bb.1349:                             ;   in Loop: Header=BB214_810 Depth=1
	v_ffbh_u32_e32 v8, v6
	v_min_u32_e32 v8, 32, v8
	v_subrev_nc_u32_e32 v10, 28, v8
	v_sub_nc_u32_e32 v8, 29, v8
	v_lshlrev_b64 v[20:21], v10, v[6:7]
	v_and_b32_e32 v6, 7, v20
; %bb.1350:                             ;   in Loop: Header=BB214_810 Depth=1
	s_or_b32 exec_lo, exec_lo, s17
	v_mov_b32_e32 v10, 24
	v_lshlrev_b32_e32 v6, 20, v6
	v_lshl_add_u32 v8, v8, 23, 0x3c000000
	v_mov_b32_e32 v20, v7
	v_lshlrev_b32_sdwa v10, v10, v12 dst_sel:DWORD dst_unused:UNUSED_PAD src0_sel:DWORD src1_sel:BYTE_3
	v_and_b32_e32 v10, 0x80000000, v10
	v_or3_b32 v21, v6, v10, v8
.LBB214_1351:                           ;   in Loop: Header=BB214_810 Depth=1
	s_or_b32 exec_lo, exec_lo, s16
.LBB214_1352:                           ;   in Loop: Header=BB214_810 Depth=1
	s_or_b32 exec_lo, exec_lo, s15
.LBB214_1353:                           ;   in Loop: Header=BB214_810 Depth=1
	s_or_b32 exec_lo, exec_lo, s13
	v_or_b32_e32 v6, v19, v17
	v_or_b32_e32 v8, v18, v16
	;; [unrolled: 1-line block ×4, first 2 shown]
	v_mul_f32_e32 v87, v96, v6
	v_mul_f32_e32 v25, v96, v8
	;; [unrolled: 1-line block ×4, first 2 shown]
	s_and_saveexec_b32 s13, vcc_lo
	s_cbranch_execz .LBB214_1355
; %bb.1354:                             ;   in Loop: Header=BB214_810 Depth=1
	v_cmp_lt_i32_e64 s4, v101, v27
	v_cndmask_b32_e64 v25, 0, v25, s4
	v_cmp_lt_i32_e64 s4, v113, v27
	v_cndmask_b32_e64 v87, 0, v87, s4
	;; [unrolled: 2-line block ×4, first 2 shown]
.LBB214_1355:                           ;   in Loop: Header=BB214_810 Depth=1
	s_or_b32 exec_lo, exec_lo, s13
	v_add_co_u32 v4, s4, 0x800, v4
	v_add_co_ci_u32_e64 v5, null, 0, v5, s4
	v_mov_b32_e32 v18, 0
	v_mov_b32_e32 v16, 0
	v_mov_b32_e32 v19, 0
	flat_load_dword v12, v[4:5]
	v_mov_b32_e32 v17, 0
	s_waitcnt vmcnt(0) lgkmcnt(0)
	v_cmp_ne_u16_sdwa s4, v12, v7 src0_sel:BYTE_0 src1_sel:DWORD
	s_and_saveexec_b32 s13, s4
	s_cbranch_execz .LBB214_1363
; %bb.1356:                             ;   in Loop: Header=BB214_810 Depth=1
	v_bfrev_b32_e32 v16, 1
	v_mov_b32_e32 v17, 0
	v_cmp_ne_u16_sdwa s4, v12, v81 src0_sel:BYTE_0 src1_sel:DWORD
	s_and_saveexec_b32 s15, s4
	s_cbranch_execz .LBB214_1362
; %bb.1357:                             ;   in Loop: Header=BB214_810 Depth=1
	v_mov_b32_e32 v16, 0x7f800001
	v_and_b32_e32 v10, 0x7f, v12
	v_mov_b32_e32 v17, 0
	s_mov_b32 s16, exec_lo
	v_cmpx_ne_u32_e32 0x7f, v10
	s_cbranch_execz .LBB214_1361
; %bb.1358:                             ;   in Loop: Header=BB214_810 Depth=1
	v_and_b32_e32 v6, 7, v12
	v_lshrrev_b32_e32 v8, 3, v10
	s_mov_b32 s17, exec_lo
	v_cmpx_gt_u32_e32 8, v10
; %bb.1359:                             ;   in Loop: Header=BB214_810 Depth=1
	v_ffbh_u32_e32 v8, v6
	v_min_u32_e32 v8, 32, v8
	v_subrev_nc_u32_e32 v10, 28, v8
	v_sub_nc_u32_e32 v8, 29, v8
	v_lshlrev_b64 v[16:17], v10, v[6:7]
	v_and_b32_e32 v6, 7, v16
; %bb.1360:                             ;   in Loop: Header=BB214_810 Depth=1
	s_or_b32 exec_lo, exec_lo, s17
	v_lshlrev_b32_e32 v10, 24, v12
	v_lshlrev_b32_e32 v6, 20, v6
	v_lshl_add_u32 v8, v8, 23, 0x3c000000
	v_and_b32_e32 v10, 0x80000000, v10
	v_or3_b32 v6, v6, v10, v8
	v_mov_b32_e32 v17, v7
	v_mov_b32_e32 v16, v6
.LBB214_1361:                           ;   in Loop: Header=BB214_810 Depth=1
	s_or_b32 exec_lo, exec_lo, s16
.LBB214_1362:                           ;   in Loop: Header=BB214_810 Depth=1
	s_or_b32 exec_lo, exec_lo, s15
.LBB214_1363:                           ;   in Loop: Header=BB214_810 Depth=1
	s_or_b32 exec_lo, exec_lo, s13
	v_cmp_ne_u16_sdwa s4, v12, v7 src0_sel:BYTE_1 src1_sel:DWORD
	s_and_saveexec_b32 s13, s4
	s_cbranch_execz .LBB214_1371
; %bb.1364:                             ;   in Loop: Header=BB214_810 Depth=1
	v_mov_b32_e32 v8, v7
	v_mov_b32_e32 v19, v9
	v_cmp_ne_u16_sdwa s4, v12, v81 src0_sel:BYTE_1 src1_sel:DWORD
	v_mov_b32_e32 v18, v8
	s_and_saveexec_b32 s15, s4
	s_cbranch_execz .LBB214_1370
; %bb.1365:                             ;   in Loop: Header=BB214_810 Depth=1
	v_mov_b32_e32 v6, 0xffff
	v_mov_b32_e32 v10, v7
	;; [unrolled: 1-line block ×3, first 2 shown]
	s_mov_b32 s16, exec_lo
	v_and_b32_sdwa v6, v6, v12 dst_sel:DWORD dst_unused:UNUSED_PAD src0_sel:DWORD src1_sel:BYTE_1
	v_mov_b32_e32 v18, v10
	v_and_b32_e32 v13, 0x7f, v6
	v_cmpx_ne_u32_e32 0x7f, v13
	s_cbranch_execz .LBB214_1369
; %bb.1366:                             ;   in Loop: Header=BB214_810 Depth=1
	v_and_b32_e32 v6, 7, v6
	v_lshrrev_b32_e32 v8, 3, v13
	s_mov_b32 s17, exec_lo
	v_cmpx_gt_u32_e32 8, v13
; %bb.1367:                             ;   in Loop: Header=BB214_810 Depth=1
	v_ffbh_u32_e32 v8, v6
	v_min_u32_e32 v8, 32, v8
	v_subrev_nc_u32_e32 v10, 28, v8
	v_sub_nc_u32_e32 v8, 29, v8
	v_lshlrev_b64 v[18:19], v10, v[6:7]
	v_and_b32_e32 v6, 7, v18
; %bb.1368:                             ;   in Loop: Header=BB214_810 Depth=1
	s_or_b32 exec_lo, exec_lo, s17
	v_lshlrev_b32_e32 v10, 16, v12
	v_lshlrev_b32_e32 v6, 20, v6
	v_lshl_add_u32 v8, v8, 23, 0x3c000000
	v_mov_b32_e32 v18, v7
	v_and_b32_e32 v10, 0x80000000, v10
	v_or3_b32 v19, v6, v10, v8
.LBB214_1369:                           ;   in Loop: Header=BB214_810 Depth=1
	s_or_b32 exec_lo, exec_lo, s16
.LBB214_1370:                           ;   in Loop: Header=BB214_810 Depth=1
	s_or_b32 exec_lo, exec_lo, s15
.LBB214_1371:                           ;   in Loop: Header=BB214_810 Depth=1
	s_or_b32 exec_lo, exec_lo, s13
	v_mov_b32_e32 v20, 0
	v_mov_b32_e32 v22, 0
	v_and_b32_sdwa v6, v12, v83 dst_sel:DWORD dst_unused:UNUSED_PAD src0_sel:WORD_1 src1_sel:DWORD
	v_mov_b32_e32 v21, 0
	v_mov_b32_e32 v23, 0
	s_mov_b32 s13, exec_lo
	v_cmpx_ne_u16_e32 0, v6
	s_cbranch_execz .LBB214_1379
; %bb.1372:                             ;   in Loop: Header=BB214_810 Depth=1
	v_bfrev_b32_e32 v22, 1
	v_mov_b32_e32 v23, 0
	s_mov_b32 s15, exec_lo
	v_cmpx_ne_u16_e32 0x80, v6
	s_cbranch_execz .LBB214_1378
; %bb.1373:                             ;   in Loop: Header=BB214_810 Depth=1
	v_mov_b32_e32 v22, 0x7f800001
	v_bfe_u32 v10, v12, 16, 7
	v_mov_b32_e32 v23, 0
	s_mov_b32 s16, exec_lo
	v_cmpx_ne_u32_e32 0x7f, v10
	s_cbranch_execz .LBB214_1377
; %bb.1374:                             ;   in Loop: Header=BB214_810 Depth=1
	v_mov_b32_e32 v6, 7
	v_lshrrev_b32_e32 v8, 3, v10
	s_mov_b32 s17, exec_lo
	v_and_b32_sdwa v6, v12, v6 dst_sel:DWORD dst_unused:UNUSED_PAD src0_sel:WORD_1 src1_sel:DWORD
	v_cmpx_gt_u32_e32 8, v10
; %bb.1375:                             ;   in Loop: Header=BB214_810 Depth=1
	v_ffbh_u32_e32 v8, v6
	v_min_u32_e32 v8, 32, v8
	v_subrev_nc_u32_e32 v10, 28, v8
	v_sub_nc_u32_e32 v8, 29, v8
	v_lshlrev_b64 v[22:23], v10, v[6:7]
	v_and_b32_e32 v6, 7, v22
; %bb.1376:                             ;   in Loop: Header=BB214_810 Depth=1
	s_or_b32 exec_lo, exec_lo, s17
	v_mov_b32_e32 v10, 24
	v_lshlrev_b32_e32 v6, 20, v6
	v_lshl_add_u32 v8, v8, 23, 0x3c000000
	v_lshlrev_b32_sdwa v10, v10, v12 dst_sel:DWORD dst_unused:UNUSED_PAD src0_sel:DWORD src1_sel:WORD_1
	v_and_b32_e32 v10, 0x80000000, v10
	v_or3_b32 v6, v6, v10, v8
	v_mov_b32_e32 v23, v7
	v_mov_b32_e32 v22, v6
.LBB214_1377:                           ;   in Loop: Header=BB214_810 Depth=1
	s_or_b32 exec_lo, exec_lo, s16
.LBB214_1378:                           ;   in Loop: Header=BB214_810 Depth=1
	s_or_b32 exec_lo, exec_lo, s15
.LBB214_1379:                           ;   in Loop: Header=BB214_810 Depth=1
	s_or_b32 exec_lo, exec_lo, s13
	s_mov_b32 s13, exec_lo
	v_cmpx_lt_u32_e32 0xffffff, v12
	s_cbranch_execz .LBB214_1387
; %bb.1380:                             ;   in Loop: Header=BB214_810 Depth=1
	v_mov_b32_e32 v8, v7
	v_mov_b32_e32 v21, v9
	v_cmp_ne_u32_sdwa s4, v12, v81 src0_sel:BYTE_3 src1_sel:DWORD
	v_mov_b32_e32 v20, v8
	s_and_saveexec_b32 s15, s4
	s_cbranch_execz .LBB214_1386
; %bb.1381:                             ;   in Loop: Header=BB214_810 Depth=1
	v_mov_b32_e32 v10, v7
	v_mov_b32_e32 v21, v11
	v_bfe_u32 v13, v12, 24, 7
	s_mov_b32 s16, exec_lo
	v_mov_b32_e32 v20, v10
	v_cmpx_ne_u32_e32 0x7f, v13
	s_cbranch_execz .LBB214_1385
; %bb.1382:                             ;   in Loop: Header=BB214_810 Depth=1
	v_mov_b32_e32 v6, 7
	v_lshrrev_b32_e32 v8, 3, v13
	s_mov_b32 s17, exec_lo
	v_and_b32_sdwa v6, v12, v6 dst_sel:DWORD dst_unused:UNUSED_PAD src0_sel:BYTE_3 src1_sel:DWORD
	v_cmpx_gt_u32_e32 8, v13
; %bb.1383:                             ;   in Loop: Header=BB214_810 Depth=1
	v_ffbh_u32_e32 v8, v6
	v_min_u32_e32 v8, 32, v8
	v_subrev_nc_u32_e32 v10, 28, v8
	v_sub_nc_u32_e32 v8, 29, v8
	v_lshlrev_b64 v[20:21], v10, v[6:7]
	v_and_b32_e32 v6, 7, v20
; %bb.1384:                             ;   in Loop: Header=BB214_810 Depth=1
	s_or_b32 exec_lo, exec_lo, s17
	v_mov_b32_e32 v10, 24
	v_lshlrev_b32_e32 v6, 20, v6
	v_lshl_add_u32 v8, v8, 23, 0x3c000000
	v_mov_b32_e32 v20, v7
	v_lshlrev_b32_sdwa v10, v10, v12 dst_sel:DWORD dst_unused:UNUSED_PAD src0_sel:DWORD src1_sel:BYTE_3
	v_and_b32_e32 v10, 0x80000000, v10
	v_or3_b32 v21, v6, v10, v8
.LBB214_1385:                           ;   in Loop: Header=BB214_810 Depth=1
	s_or_b32 exec_lo, exec_lo, s16
.LBB214_1386:                           ;   in Loop: Header=BB214_810 Depth=1
	s_or_b32 exec_lo, exec_lo, s15
.LBB214_1387:                           ;   in Loop: Header=BB214_810 Depth=1
	s_or_b32 exec_lo, exec_lo, s13
	v_or_b32_e32 v6, v19, v17
	v_or_b32_e32 v8, v18, v16
	;; [unrolled: 1-line block ×4, first 2 shown]
	v_mul_f32_e32 v33, v96, v6
	v_mul_f32_e32 v32, v96, v8
	;; [unrolled: 1-line block ×4, first 2 shown]
	s_and_saveexec_b32 s13, vcc_lo
	s_cbranch_execz .LBB214_1389
; %bb.1388:                             ;   in Loop: Header=BB214_810 Depth=1
	v_cmp_lt_i32_e64 s4, v101, v27
	v_cndmask_b32_e64 v32, 0, v32, s4
	v_cmp_lt_i32_e64 s4, v113, v27
	v_cndmask_b32_e64 v33, 0, v33, s4
	;; [unrolled: 2-line block ×4, first 2 shown]
.LBB214_1389:                           ;   in Loop: Header=BB214_810 Depth=1
	s_or_b32 exec_lo, exec_lo, s13
	flat_load_dword v34, v[4:5] offset:128
	v_mov_b32_e32 v18, 0
	v_mov_b32_e32 v16, 0
	;; [unrolled: 1-line block ×4, first 2 shown]
	s_waitcnt vmcnt(0) lgkmcnt(0)
	v_cmp_ne_u16_sdwa s4, v34, v7 src0_sel:BYTE_0 src1_sel:DWORD
	s_and_saveexec_b32 s13, s4
	s_cbranch_execz .LBB214_1397
; %bb.1390:                             ;   in Loop: Header=BB214_810 Depth=1
	v_bfrev_b32_e32 v16, 1
	v_mov_b32_e32 v17, 0
	v_cmp_ne_u16_sdwa s4, v34, v81 src0_sel:BYTE_0 src1_sel:DWORD
	s_and_saveexec_b32 s15, s4
	s_cbranch_execz .LBB214_1396
; %bb.1391:                             ;   in Loop: Header=BB214_810 Depth=1
	v_mov_b32_e32 v16, 0x7f800001
	v_and_b32_e32 v10, 0x7f, v34
	v_mov_b32_e32 v17, 0
	s_mov_b32 s16, exec_lo
	v_cmpx_ne_u32_e32 0x7f, v10
	s_cbranch_execz .LBB214_1395
; %bb.1392:                             ;   in Loop: Header=BB214_810 Depth=1
	v_and_b32_e32 v6, 7, v34
	v_lshrrev_b32_e32 v8, 3, v10
	s_mov_b32 s17, exec_lo
	v_cmpx_gt_u32_e32 8, v10
; %bb.1393:                             ;   in Loop: Header=BB214_810 Depth=1
	v_ffbh_u32_e32 v8, v6
	v_min_u32_e32 v8, 32, v8
	v_subrev_nc_u32_e32 v10, 28, v8
	v_sub_nc_u32_e32 v8, 29, v8
	v_lshlrev_b64 v[16:17], v10, v[6:7]
	v_and_b32_e32 v6, 7, v16
; %bb.1394:                             ;   in Loop: Header=BB214_810 Depth=1
	s_or_b32 exec_lo, exec_lo, s17
	v_lshlrev_b32_e32 v10, 24, v34
	v_lshlrev_b32_e32 v6, 20, v6
	v_lshl_add_u32 v8, v8, 23, 0x3c000000
	v_and_b32_e32 v10, 0x80000000, v10
	v_or3_b32 v6, v6, v10, v8
	v_mov_b32_e32 v17, v7
	v_mov_b32_e32 v16, v6
.LBB214_1395:                           ;   in Loop: Header=BB214_810 Depth=1
	s_or_b32 exec_lo, exec_lo, s16
.LBB214_1396:                           ;   in Loop: Header=BB214_810 Depth=1
	s_or_b32 exec_lo, exec_lo, s15
.LBB214_1397:                           ;   in Loop: Header=BB214_810 Depth=1
	s_or_b32 exec_lo, exec_lo, s13
	v_cmp_ne_u16_sdwa s4, v34, v7 src0_sel:BYTE_1 src1_sel:DWORD
	s_and_saveexec_b32 s13, s4
	s_cbranch_execz .LBB214_1405
; %bb.1398:                             ;   in Loop: Header=BB214_810 Depth=1
	v_mov_b32_e32 v8, v7
	v_mov_b32_e32 v19, v9
	v_cmp_ne_u16_sdwa s4, v34, v81 src0_sel:BYTE_1 src1_sel:DWORD
	v_mov_b32_e32 v18, v8
	s_and_saveexec_b32 s15, s4
	s_cbranch_execz .LBB214_1404
; %bb.1399:                             ;   in Loop: Header=BB214_810 Depth=1
	v_mov_b32_e32 v6, 0xffff
	v_mov_b32_e32 v10, v7
	;; [unrolled: 1-line block ×3, first 2 shown]
	s_mov_b32 s16, exec_lo
	v_and_b32_sdwa v6, v6, v34 dst_sel:DWORD dst_unused:UNUSED_PAD src0_sel:DWORD src1_sel:BYTE_1
	v_mov_b32_e32 v18, v10
	v_and_b32_e32 v20, 0x7f, v6
	v_cmpx_ne_u32_e32 0x7f, v20
	s_cbranch_execz .LBB214_1403
; %bb.1400:                             ;   in Loop: Header=BB214_810 Depth=1
	v_and_b32_e32 v6, 7, v6
	v_lshrrev_b32_e32 v8, 3, v20
	s_mov_b32 s17, exec_lo
	v_cmpx_gt_u32_e32 8, v20
; %bb.1401:                             ;   in Loop: Header=BB214_810 Depth=1
	v_ffbh_u32_e32 v8, v6
	v_min_u32_e32 v8, 32, v8
	v_subrev_nc_u32_e32 v10, 28, v8
	v_sub_nc_u32_e32 v8, 29, v8
	v_lshlrev_b64 v[18:19], v10, v[6:7]
	v_and_b32_e32 v6, 7, v18
; %bb.1402:                             ;   in Loop: Header=BB214_810 Depth=1
	s_or_b32 exec_lo, exec_lo, s17
	v_lshlrev_b32_e32 v10, 16, v34
	v_lshlrev_b32_e32 v6, 20, v6
	v_lshl_add_u32 v8, v8, 23, 0x3c000000
	v_mov_b32_e32 v18, v7
	v_and_b32_e32 v10, 0x80000000, v10
	v_or3_b32 v19, v6, v10, v8
.LBB214_1403:                           ;   in Loop: Header=BB214_810 Depth=1
	s_or_b32 exec_lo, exec_lo, s16
.LBB214_1404:                           ;   in Loop: Header=BB214_810 Depth=1
	s_or_b32 exec_lo, exec_lo, s15
.LBB214_1405:                           ;   in Loop: Header=BB214_810 Depth=1
	s_or_b32 exec_lo, exec_lo, s13
	v_mov_b32_e32 v20, 0
	v_mov_b32_e32 v22, 0
	v_and_b32_sdwa v6, v34, v83 dst_sel:DWORD dst_unused:UNUSED_PAD src0_sel:WORD_1 src1_sel:DWORD
	v_mov_b32_e32 v21, 0
	v_mov_b32_e32 v23, 0
	s_mov_b32 s13, exec_lo
	v_cmpx_ne_u16_e32 0, v6
	s_cbranch_execz .LBB214_1413
; %bb.1406:                             ;   in Loop: Header=BB214_810 Depth=1
	v_bfrev_b32_e32 v22, 1
	v_mov_b32_e32 v23, 0
	s_mov_b32 s15, exec_lo
	v_cmpx_ne_u16_e32 0x80, v6
	s_cbranch_execz .LBB214_1412
; %bb.1407:                             ;   in Loop: Header=BB214_810 Depth=1
	v_mov_b32_e32 v22, 0x7f800001
	v_bfe_u32 v10, v34, 16, 7
	v_mov_b32_e32 v23, 0
	s_mov_b32 s16, exec_lo
	v_cmpx_ne_u32_e32 0x7f, v10
	s_cbranch_execz .LBB214_1411
; %bb.1408:                             ;   in Loop: Header=BB214_810 Depth=1
	v_mov_b32_e32 v6, 7
	v_lshrrev_b32_e32 v8, 3, v10
	s_mov_b32 s17, exec_lo
	v_and_b32_sdwa v6, v34, v6 dst_sel:DWORD dst_unused:UNUSED_PAD src0_sel:WORD_1 src1_sel:DWORD
	v_cmpx_gt_u32_e32 8, v10
; %bb.1409:                             ;   in Loop: Header=BB214_810 Depth=1
	v_ffbh_u32_e32 v8, v6
	v_min_u32_e32 v8, 32, v8
	v_subrev_nc_u32_e32 v10, 28, v8
	v_sub_nc_u32_e32 v8, 29, v8
	v_lshlrev_b64 v[22:23], v10, v[6:7]
	v_and_b32_e32 v6, 7, v22
; %bb.1410:                             ;   in Loop: Header=BB214_810 Depth=1
	s_or_b32 exec_lo, exec_lo, s17
	v_mov_b32_e32 v10, 24
	v_lshlrev_b32_e32 v6, 20, v6
	v_lshl_add_u32 v8, v8, 23, 0x3c000000
	v_lshlrev_b32_sdwa v10, v10, v34 dst_sel:DWORD dst_unused:UNUSED_PAD src0_sel:DWORD src1_sel:WORD_1
	v_and_b32_e32 v10, 0x80000000, v10
	v_or3_b32 v6, v6, v10, v8
	v_mov_b32_e32 v23, v7
	v_mov_b32_e32 v22, v6
.LBB214_1411:                           ;   in Loop: Header=BB214_810 Depth=1
	s_or_b32 exec_lo, exec_lo, s16
.LBB214_1412:                           ;   in Loop: Header=BB214_810 Depth=1
	s_or_b32 exec_lo, exec_lo, s15
.LBB214_1413:                           ;   in Loop: Header=BB214_810 Depth=1
	s_or_b32 exec_lo, exec_lo, s13
	s_mov_b32 s13, exec_lo
	v_cmpx_lt_u32_e32 0xffffff, v34
	s_cbranch_execz .LBB214_1421
; %bb.1414:                             ;   in Loop: Header=BB214_810 Depth=1
	v_mov_b32_e32 v8, v7
	v_mov_b32_e32 v21, v9
	v_cmp_ne_u32_sdwa s4, v34, v81 src0_sel:BYTE_3 src1_sel:DWORD
	v_mov_b32_e32 v20, v8
	s_and_saveexec_b32 s15, s4
	s_cbranch_execz .LBB214_1420
; %bb.1415:                             ;   in Loop: Header=BB214_810 Depth=1
	v_mov_b32_e32 v10, v7
	v_mov_b32_e32 v21, v11
	v_bfe_u32 v35, v34, 24, 7
	s_mov_b32 s16, exec_lo
	v_mov_b32_e32 v20, v10
	v_cmpx_ne_u32_e32 0x7f, v35
	s_cbranch_execz .LBB214_1419
; %bb.1416:                             ;   in Loop: Header=BB214_810 Depth=1
	v_mov_b32_e32 v6, 7
	v_lshrrev_b32_e32 v8, 3, v35
	s_mov_b32 s17, exec_lo
	v_and_b32_sdwa v6, v34, v6 dst_sel:DWORD dst_unused:UNUSED_PAD src0_sel:BYTE_3 src1_sel:DWORD
	v_cmpx_gt_u32_e32 8, v35
; %bb.1417:                             ;   in Loop: Header=BB214_810 Depth=1
	v_ffbh_u32_e32 v8, v6
	v_min_u32_e32 v8, 32, v8
	v_subrev_nc_u32_e32 v10, 28, v8
	v_sub_nc_u32_e32 v8, 29, v8
	v_lshlrev_b64 v[20:21], v10, v[6:7]
	v_and_b32_e32 v6, 7, v20
; %bb.1418:                             ;   in Loop: Header=BB214_810 Depth=1
	s_or_b32 exec_lo, exec_lo, s17
	v_mov_b32_e32 v10, 24
	v_lshlrev_b32_e32 v6, 20, v6
	v_lshl_add_u32 v8, v8, 23, 0x3c000000
	v_mov_b32_e32 v20, v7
	v_lshlrev_b32_sdwa v10, v10, v34 dst_sel:DWORD dst_unused:UNUSED_PAD src0_sel:DWORD src1_sel:BYTE_3
	v_and_b32_e32 v10, 0x80000000, v10
	v_or3_b32 v21, v6, v10, v8
.LBB214_1419:                           ;   in Loop: Header=BB214_810 Depth=1
	s_or_b32 exec_lo, exec_lo, s16
.LBB214_1420:                           ;   in Loop: Header=BB214_810 Depth=1
	s_or_b32 exec_lo, exec_lo, s15
.LBB214_1421:                           ;   in Loop: Header=BB214_810 Depth=1
	s_or_b32 exec_lo, exec_lo, s13
	v_or_b32_e32 v6, v19, v17
	v_or_b32_e32 v8, v18, v16
	v_or_b32_e32 v10, v20, v22
	v_or_b32_e32 v16, v21, v23
	v_mul_f32_e32 v37, v96, v6
	v_mul_f32_e32 v36, v96, v8
	;; [unrolled: 1-line block ×4, first 2 shown]
	s_and_saveexec_b32 s13, vcc_lo
	s_cbranch_execz .LBB214_1423
; %bb.1422:                             ;   in Loop: Header=BB214_810 Depth=1
	v_cmp_lt_i32_e64 s4, v101, v27
	v_cndmask_b32_e64 v36, 0, v36, s4
	v_cmp_lt_i32_e64 s4, v113, v27
	v_cndmask_b32_e64 v37, 0, v37, s4
	;; [unrolled: 2-line block ×4, first 2 shown]
.LBB214_1423:                           ;   in Loop: Header=BB214_810 Depth=1
	s_or_b32 exec_lo, exec_lo, s13
	flat_load_dword v38, v[4:5] offset:256
	v_mov_b32_e32 v18, 0
	v_mov_b32_e32 v16, 0
	;; [unrolled: 1-line block ×4, first 2 shown]
	s_waitcnt vmcnt(0) lgkmcnt(0)
	v_cmp_ne_u16_sdwa s4, v38, v7 src0_sel:BYTE_0 src1_sel:DWORD
	s_and_saveexec_b32 s13, s4
	s_cbranch_execz .LBB214_1431
; %bb.1424:                             ;   in Loop: Header=BB214_810 Depth=1
	v_bfrev_b32_e32 v16, 1
	v_mov_b32_e32 v17, 0
	v_cmp_ne_u16_sdwa s4, v38, v81 src0_sel:BYTE_0 src1_sel:DWORD
	s_and_saveexec_b32 s15, s4
	s_cbranch_execz .LBB214_1430
; %bb.1425:                             ;   in Loop: Header=BB214_810 Depth=1
	v_mov_b32_e32 v16, 0x7f800001
	v_and_b32_e32 v10, 0x7f, v38
	v_mov_b32_e32 v17, 0
	s_mov_b32 s16, exec_lo
	v_cmpx_ne_u32_e32 0x7f, v10
	s_cbranch_execz .LBB214_1429
; %bb.1426:                             ;   in Loop: Header=BB214_810 Depth=1
	v_and_b32_e32 v6, 7, v38
	v_lshrrev_b32_e32 v8, 3, v10
	s_mov_b32 s17, exec_lo
	v_cmpx_gt_u32_e32 8, v10
; %bb.1427:                             ;   in Loop: Header=BB214_810 Depth=1
	v_ffbh_u32_e32 v8, v6
	v_min_u32_e32 v8, 32, v8
	v_subrev_nc_u32_e32 v10, 28, v8
	v_sub_nc_u32_e32 v8, 29, v8
	v_lshlrev_b64 v[16:17], v10, v[6:7]
	v_and_b32_e32 v6, 7, v16
; %bb.1428:                             ;   in Loop: Header=BB214_810 Depth=1
	s_or_b32 exec_lo, exec_lo, s17
	v_lshlrev_b32_e32 v10, 24, v38
	v_lshlrev_b32_e32 v6, 20, v6
	v_lshl_add_u32 v8, v8, 23, 0x3c000000
	v_and_b32_e32 v10, 0x80000000, v10
	v_or3_b32 v6, v6, v10, v8
	v_mov_b32_e32 v17, v7
	v_mov_b32_e32 v16, v6
.LBB214_1429:                           ;   in Loop: Header=BB214_810 Depth=1
	s_or_b32 exec_lo, exec_lo, s16
.LBB214_1430:                           ;   in Loop: Header=BB214_810 Depth=1
	s_or_b32 exec_lo, exec_lo, s15
.LBB214_1431:                           ;   in Loop: Header=BB214_810 Depth=1
	s_or_b32 exec_lo, exec_lo, s13
	v_cmp_ne_u16_sdwa s4, v38, v7 src0_sel:BYTE_1 src1_sel:DWORD
	s_and_saveexec_b32 s13, s4
	s_cbranch_execz .LBB214_1439
; %bb.1432:                             ;   in Loop: Header=BB214_810 Depth=1
	v_mov_b32_e32 v8, v7
	v_mov_b32_e32 v19, v9
	v_cmp_ne_u16_sdwa s4, v38, v81 src0_sel:BYTE_1 src1_sel:DWORD
	v_mov_b32_e32 v18, v8
	s_and_saveexec_b32 s15, s4
	s_cbranch_execz .LBB214_1438
; %bb.1433:                             ;   in Loop: Header=BB214_810 Depth=1
	v_mov_b32_e32 v6, 0xffff
	v_mov_b32_e32 v10, v7
	;; [unrolled: 1-line block ×3, first 2 shown]
	s_mov_b32 s16, exec_lo
	v_and_b32_sdwa v6, v6, v38 dst_sel:DWORD dst_unused:UNUSED_PAD src0_sel:DWORD src1_sel:BYTE_1
	v_mov_b32_e32 v18, v10
	v_and_b32_e32 v20, 0x7f, v6
	v_cmpx_ne_u32_e32 0x7f, v20
	s_cbranch_execz .LBB214_1437
; %bb.1434:                             ;   in Loop: Header=BB214_810 Depth=1
	v_and_b32_e32 v6, 7, v6
	v_lshrrev_b32_e32 v8, 3, v20
	s_mov_b32 s17, exec_lo
	v_cmpx_gt_u32_e32 8, v20
; %bb.1435:                             ;   in Loop: Header=BB214_810 Depth=1
	v_ffbh_u32_e32 v8, v6
	v_min_u32_e32 v8, 32, v8
	v_subrev_nc_u32_e32 v10, 28, v8
	v_sub_nc_u32_e32 v8, 29, v8
	v_lshlrev_b64 v[18:19], v10, v[6:7]
	v_and_b32_e32 v6, 7, v18
; %bb.1436:                             ;   in Loop: Header=BB214_810 Depth=1
	s_or_b32 exec_lo, exec_lo, s17
	v_lshlrev_b32_e32 v10, 16, v38
	v_lshlrev_b32_e32 v6, 20, v6
	v_lshl_add_u32 v8, v8, 23, 0x3c000000
	v_mov_b32_e32 v18, v7
	v_and_b32_e32 v10, 0x80000000, v10
	v_or3_b32 v19, v6, v10, v8
.LBB214_1437:                           ;   in Loop: Header=BB214_810 Depth=1
	s_or_b32 exec_lo, exec_lo, s16
.LBB214_1438:                           ;   in Loop: Header=BB214_810 Depth=1
	s_or_b32 exec_lo, exec_lo, s15
.LBB214_1439:                           ;   in Loop: Header=BB214_810 Depth=1
	s_or_b32 exec_lo, exec_lo, s13
	v_mov_b32_e32 v20, 0
	v_mov_b32_e32 v22, 0
	v_and_b32_sdwa v6, v38, v83 dst_sel:DWORD dst_unused:UNUSED_PAD src0_sel:WORD_1 src1_sel:DWORD
	v_mov_b32_e32 v21, 0
	v_mov_b32_e32 v23, 0
	s_mov_b32 s13, exec_lo
	v_cmpx_ne_u16_e32 0, v6
	s_cbranch_execz .LBB214_1447
; %bb.1440:                             ;   in Loop: Header=BB214_810 Depth=1
	v_bfrev_b32_e32 v22, 1
	v_mov_b32_e32 v23, 0
	s_mov_b32 s15, exec_lo
	v_cmpx_ne_u16_e32 0x80, v6
	s_cbranch_execz .LBB214_1446
; %bb.1441:                             ;   in Loop: Header=BB214_810 Depth=1
	v_mov_b32_e32 v22, 0x7f800001
	v_bfe_u32 v10, v38, 16, 7
	v_mov_b32_e32 v23, 0
	s_mov_b32 s16, exec_lo
	v_cmpx_ne_u32_e32 0x7f, v10
	s_cbranch_execz .LBB214_1445
; %bb.1442:                             ;   in Loop: Header=BB214_810 Depth=1
	v_mov_b32_e32 v6, 7
	v_lshrrev_b32_e32 v8, 3, v10
	s_mov_b32 s17, exec_lo
	v_and_b32_sdwa v6, v38, v6 dst_sel:DWORD dst_unused:UNUSED_PAD src0_sel:WORD_1 src1_sel:DWORD
	v_cmpx_gt_u32_e32 8, v10
; %bb.1443:                             ;   in Loop: Header=BB214_810 Depth=1
	v_ffbh_u32_e32 v8, v6
	v_min_u32_e32 v8, 32, v8
	v_subrev_nc_u32_e32 v10, 28, v8
	v_sub_nc_u32_e32 v8, 29, v8
	v_lshlrev_b64 v[22:23], v10, v[6:7]
	v_and_b32_e32 v6, 7, v22
; %bb.1444:                             ;   in Loop: Header=BB214_810 Depth=1
	s_or_b32 exec_lo, exec_lo, s17
	v_mov_b32_e32 v10, 24
	v_lshlrev_b32_e32 v6, 20, v6
	v_lshl_add_u32 v8, v8, 23, 0x3c000000
	v_lshlrev_b32_sdwa v10, v10, v38 dst_sel:DWORD dst_unused:UNUSED_PAD src0_sel:DWORD src1_sel:WORD_1
	v_and_b32_e32 v10, 0x80000000, v10
	v_or3_b32 v6, v6, v10, v8
	v_mov_b32_e32 v23, v7
	v_mov_b32_e32 v22, v6
.LBB214_1445:                           ;   in Loop: Header=BB214_810 Depth=1
	s_or_b32 exec_lo, exec_lo, s16
.LBB214_1446:                           ;   in Loop: Header=BB214_810 Depth=1
	s_or_b32 exec_lo, exec_lo, s15
.LBB214_1447:                           ;   in Loop: Header=BB214_810 Depth=1
	s_or_b32 exec_lo, exec_lo, s13
	s_mov_b32 s13, exec_lo
	v_cmpx_lt_u32_e32 0xffffff, v38
	s_cbranch_execz .LBB214_1455
; %bb.1448:                             ;   in Loop: Header=BB214_810 Depth=1
	v_mov_b32_e32 v8, v7
	v_mov_b32_e32 v21, v9
	v_cmp_ne_u32_sdwa s4, v38, v81 src0_sel:BYTE_3 src1_sel:DWORD
	v_mov_b32_e32 v20, v8
	s_and_saveexec_b32 s15, s4
	s_cbranch_execz .LBB214_1454
; %bb.1449:                             ;   in Loop: Header=BB214_810 Depth=1
	v_mov_b32_e32 v10, v7
	v_mov_b32_e32 v21, v11
	v_bfe_u32 v39, v38, 24, 7
	s_mov_b32 s16, exec_lo
	v_mov_b32_e32 v20, v10
	v_cmpx_ne_u32_e32 0x7f, v39
	s_cbranch_execz .LBB214_1453
; %bb.1450:                             ;   in Loop: Header=BB214_810 Depth=1
	v_mov_b32_e32 v6, 7
	v_lshrrev_b32_e32 v8, 3, v39
	s_mov_b32 s17, exec_lo
	v_and_b32_sdwa v6, v38, v6 dst_sel:DWORD dst_unused:UNUSED_PAD src0_sel:BYTE_3 src1_sel:DWORD
	v_cmpx_gt_u32_e32 8, v39
; %bb.1451:                             ;   in Loop: Header=BB214_810 Depth=1
	v_ffbh_u32_e32 v8, v6
	v_min_u32_e32 v8, 32, v8
	v_subrev_nc_u32_e32 v10, 28, v8
	v_sub_nc_u32_e32 v8, 29, v8
	v_lshlrev_b64 v[20:21], v10, v[6:7]
	v_and_b32_e32 v6, 7, v20
; %bb.1452:                             ;   in Loop: Header=BB214_810 Depth=1
	s_or_b32 exec_lo, exec_lo, s17
	v_mov_b32_e32 v10, 24
	v_lshlrev_b32_e32 v6, 20, v6
	v_lshl_add_u32 v8, v8, 23, 0x3c000000
	v_mov_b32_e32 v20, v7
	v_lshlrev_b32_sdwa v10, v10, v38 dst_sel:DWORD dst_unused:UNUSED_PAD src0_sel:DWORD src1_sel:BYTE_3
	v_and_b32_e32 v10, 0x80000000, v10
	v_or3_b32 v21, v6, v10, v8
.LBB214_1453:                           ;   in Loop: Header=BB214_810 Depth=1
	s_or_b32 exec_lo, exec_lo, s16
.LBB214_1454:                           ;   in Loop: Header=BB214_810 Depth=1
	s_or_b32 exec_lo, exec_lo, s15
.LBB214_1455:                           ;   in Loop: Header=BB214_810 Depth=1
	s_or_b32 exec_lo, exec_lo, s13
	v_or_b32_e32 v6, v19, v17
	v_or_b32_e32 v8, v18, v16
	;; [unrolled: 1-line block ×4, first 2 shown]
	v_mul_f32_e32 v49, v96, v6
	v_mul_f32_e32 v48, v96, v8
	;; [unrolled: 1-line block ×4, first 2 shown]
	s_and_saveexec_b32 s13, vcc_lo
	s_cbranch_execz .LBB214_1457
; %bb.1456:                             ;   in Loop: Header=BB214_810 Depth=1
	v_cmp_lt_i32_e64 s4, v101, v27
	v_cndmask_b32_e64 v48, 0, v48, s4
	v_cmp_lt_i32_e64 s4, v113, v27
	v_cndmask_b32_e64 v49, 0, v49, s4
	;; [unrolled: 2-line block ×4, first 2 shown]
.LBB214_1457:                           ;   in Loop: Header=BB214_810 Depth=1
	s_or_b32 exec_lo, exec_lo, s13
	flat_load_dword v50, v[4:5] offset:384
	v_mov_b32_e32 v18, 0
	v_mov_b32_e32 v16, 0
	;; [unrolled: 1-line block ×4, first 2 shown]
	s_waitcnt vmcnt(0) lgkmcnt(0)
	v_cmp_ne_u16_sdwa s4, v50, v7 src0_sel:BYTE_0 src1_sel:DWORD
	s_and_saveexec_b32 s13, s4
	s_cbranch_execz .LBB214_1465
; %bb.1458:                             ;   in Loop: Header=BB214_810 Depth=1
	v_bfrev_b32_e32 v16, 1
	v_mov_b32_e32 v17, 0
	v_cmp_ne_u16_sdwa s4, v50, v81 src0_sel:BYTE_0 src1_sel:DWORD
	s_and_saveexec_b32 s15, s4
	s_cbranch_execz .LBB214_1464
; %bb.1459:                             ;   in Loop: Header=BB214_810 Depth=1
	v_mov_b32_e32 v16, 0x7f800001
	v_and_b32_e32 v10, 0x7f, v50
	v_mov_b32_e32 v17, 0
	s_mov_b32 s16, exec_lo
	v_cmpx_ne_u32_e32 0x7f, v10
	s_cbranch_execz .LBB214_1463
; %bb.1460:                             ;   in Loop: Header=BB214_810 Depth=1
	v_and_b32_e32 v6, 7, v50
	v_lshrrev_b32_e32 v8, 3, v10
	s_mov_b32 s17, exec_lo
	v_cmpx_gt_u32_e32 8, v10
; %bb.1461:                             ;   in Loop: Header=BB214_810 Depth=1
	v_ffbh_u32_e32 v8, v6
	v_min_u32_e32 v8, 32, v8
	v_subrev_nc_u32_e32 v10, 28, v8
	v_sub_nc_u32_e32 v8, 29, v8
	v_lshlrev_b64 v[16:17], v10, v[6:7]
	v_and_b32_e32 v6, 7, v16
; %bb.1462:                             ;   in Loop: Header=BB214_810 Depth=1
	s_or_b32 exec_lo, exec_lo, s17
	v_lshlrev_b32_e32 v10, 24, v50
	v_lshlrev_b32_e32 v6, 20, v6
	v_lshl_add_u32 v8, v8, 23, 0x3c000000
	v_and_b32_e32 v10, 0x80000000, v10
	v_or3_b32 v6, v6, v10, v8
	v_mov_b32_e32 v17, v7
	v_mov_b32_e32 v16, v6
.LBB214_1463:                           ;   in Loop: Header=BB214_810 Depth=1
	s_or_b32 exec_lo, exec_lo, s16
.LBB214_1464:                           ;   in Loop: Header=BB214_810 Depth=1
	s_or_b32 exec_lo, exec_lo, s15
.LBB214_1465:                           ;   in Loop: Header=BB214_810 Depth=1
	s_or_b32 exec_lo, exec_lo, s13
	v_cmp_ne_u16_sdwa s4, v50, v7 src0_sel:BYTE_1 src1_sel:DWORD
	s_and_saveexec_b32 s13, s4
	s_cbranch_execz .LBB214_1473
; %bb.1466:                             ;   in Loop: Header=BB214_810 Depth=1
	v_mov_b32_e32 v8, v7
	v_mov_b32_e32 v19, v9
	v_cmp_ne_u16_sdwa s4, v50, v81 src0_sel:BYTE_1 src1_sel:DWORD
	v_mov_b32_e32 v18, v8
	s_and_saveexec_b32 s15, s4
	s_cbranch_execz .LBB214_1472
; %bb.1467:                             ;   in Loop: Header=BB214_810 Depth=1
	v_mov_b32_e32 v6, 0xffff
	v_mov_b32_e32 v10, v7
	v_mov_b32_e32 v19, v11
	s_mov_b32 s16, exec_lo
	v_and_b32_sdwa v6, v6, v50 dst_sel:DWORD dst_unused:UNUSED_PAD src0_sel:DWORD src1_sel:BYTE_1
	v_mov_b32_e32 v18, v10
	v_and_b32_e32 v20, 0x7f, v6
	v_cmpx_ne_u32_e32 0x7f, v20
	s_cbranch_execz .LBB214_1471
; %bb.1468:                             ;   in Loop: Header=BB214_810 Depth=1
	v_and_b32_e32 v6, 7, v6
	v_lshrrev_b32_e32 v8, 3, v20
	s_mov_b32 s17, exec_lo
	v_cmpx_gt_u32_e32 8, v20
; %bb.1469:                             ;   in Loop: Header=BB214_810 Depth=1
	v_ffbh_u32_e32 v8, v6
	v_min_u32_e32 v8, 32, v8
	v_subrev_nc_u32_e32 v10, 28, v8
	v_sub_nc_u32_e32 v8, 29, v8
	v_lshlrev_b64 v[18:19], v10, v[6:7]
	v_and_b32_e32 v6, 7, v18
; %bb.1470:                             ;   in Loop: Header=BB214_810 Depth=1
	s_or_b32 exec_lo, exec_lo, s17
	v_lshlrev_b32_e32 v10, 16, v50
	v_lshlrev_b32_e32 v6, 20, v6
	v_lshl_add_u32 v8, v8, 23, 0x3c000000
	v_mov_b32_e32 v18, v7
	v_and_b32_e32 v10, 0x80000000, v10
	v_or3_b32 v19, v6, v10, v8
.LBB214_1471:                           ;   in Loop: Header=BB214_810 Depth=1
	s_or_b32 exec_lo, exec_lo, s16
.LBB214_1472:                           ;   in Loop: Header=BB214_810 Depth=1
	s_or_b32 exec_lo, exec_lo, s15
.LBB214_1473:                           ;   in Loop: Header=BB214_810 Depth=1
	s_or_b32 exec_lo, exec_lo, s13
	v_mov_b32_e32 v20, 0
	v_mov_b32_e32 v22, 0
	v_and_b32_sdwa v6, v50, v83 dst_sel:DWORD dst_unused:UNUSED_PAD src0_sel:WORD_1 src1_sel:DWORD
	v_mov_b32_e32 v21, 0
	v_mov_b32_e32 v23, 0
	s_mov_b32 s13, exec_lo
	v_cmpx_ne_u16_e32 0, v6
	s_cbranch_execz .LBB214_1481
; %bb.1474:                             ;   in Loop: Header=BB214_810 Depth=1
	v_bfrev_b32_e32 v22, 1
	v_mov_b32_e32 v23, 0
	s_mov_b32 s15, exec_lo
	v_cmpx_ne_u16_e32 0x80, v6
	s_cbranch_execz .LBB214_1480
; %bb.1475:                             ;   in Loop: Header=BB214_810 Depth=1
	v_mov_b32_e32 v22, 0x7f800001
	v_bfe_u32 v10, v50, 16, 7
	v_mov_b32_e32 v23, 0
	s_mov_b32 s16, exec_lo
	v_cmpx_ne_u32_e32 0x7f, v10
	s_cbranch_execz .LBB214_1479
; %bb.1476:                             ;   in Loop: Header=BB214_810 Depth=1
	v_mov_b32_e32 v6, 7
	v_lshrrev_b32_e32 v8, 3, v10
	s_mov_b32 s17, exec_lo
	v_and_b32_sdwa v6, v50, v6 dst_sel:DWORD dst_unused:UNUSED_PAD src0_sel:WORD_1 src1_sel:DWORD
	v_cmpx_gt_u32_e32 8, v10
; %bb.1477:                             ;   in Loop: Header=BB214_810 Depth=1
	v_ffbh_u32_e32 v8, v6
	v_min_u32_e32 v8, 32, v8
	v_subrev_nc_u32_e32 v10, 28, v8
	v_sub_nc_u32_e32 v8, 29, v8
	v_lshlrev_b64 v[22:23], v10, v[6:7]
	v_and_b32_e32 v6, 7, v22
; %bb.1478:                             ;   in Loop: Header=BB214_810 Depth=1
	s_or_b32 exec_lo, exec_lo, s17
	v_mov_b32_e32 v10, 24
	v_lshlrev_b32_e32 v6, 20, v6
	v_lshl_add_u32 v8, v8, 23, 0x3c000000
	v_lshlrev_b32_sdwa v10, v10, v50 dst_sel:DWORD dst_unused:UNUSED_PAD src0_sel:DWORD src1_sel:WORD_1
	v_and_b32_e32 v10, 0x80000000, v10
	v_or3_b32 v6, v6, v10, v8
	v_mov_b32_e32 v23, v7
	v_mov_b32_e32 v22, v6
.LBB214_1479:                           ;   in Loop: Header=BB214_810 Depth=1
	s_or_b32 exec_lo, exec_lo, s16
.LBB214_1480:                           ;   in Loop: Header=BB214_810 Depth=1
	s_or_b32 exec_lo, exec_lo, s15
.LBB214_1481:                           ;   in Loop: Header=BB214_810 Depth=1
	s_or_b32 exec_lo, exec_lo, s13
	s_mov_b32 s13, exec_lo
	v_cmpx_lt_u32_e32 0xffffff, v50
	s_cbranch_execz .LBB214_1489
; %bb.1482:                             ;   in Loop: Header=BB214_810 Depth=1
	v_mov_b32_e32 v8, v7
	v_mov_b32_e32 v21, v9
	v_cmp_ne_u32_sdwa s4, v50, v81 src0_sel:BYTE_3 src1_sel:DWORD
	v_mov_b32_e32 v20, v8
	s_and_saveexec_b32 s15, s4
	s_cbranch_execz .LBB214_1488
; %bb.1483:                             ;   in Loop: Header=BB214_810 Depth=1
	v_mov_b32_e32 v10, v7
	v_mov_b32_e32 v21, v11
	v_bfe_u32 v51, v50, 24, 7
	s_mov_b32 s16, exec_lo
	v_mov_b32_e32 v20, v10
	v_cmpx_ne_u32_e32 0x7f, v51
	s_cbranch_execz .LBB214_1487
; %bb.1484:                             ;   in Loop: Header=BB214_810 Depth=1
	v_mov_b32_e32 v6, 7
	v_lshrrev_b32_e32 v8, 3, v51
	s_mov_b32 s17, exec_lo
	v_and_b32_sdwa v6, v50, v6 dst_sel:DWORD dst_unused:UNUSED_PAD src0_sel:BYTE_3 src1_sel:DWORD
	v_cmpx_gt_u32_e32 8, v51
; %bb.1485:                             ;   in Loop: Header=BB214_810 Depth=1
	v_ffbh_u32_e32 v8, v6
	v_min_u32_e32 v8, 32, v8
	v_subrev_nc_u32_e32 v10, 28, v8
	v_sub_nc_u32_e32 v8, 29, v8
	v_lshlrev_b64 v[20:21], v10, v[6:7]
	v_and_b32_e32 v6, 7, v20
; %bb.1486:                             ;   in Loop: Header=BB214_810 Depth=1
	s_or_b32 exec_lo, exec_lo, s17
	v_mov_b32_e32 v10, 24
	v_lshlrev_b32_e32 v6, 20, v6
	v_lshl_add_u32 v8, v8, 23, 0x3c000000
	v_mov_b32_e32 v20, v7
	v_lshlrev_b32_sdwa v10, v10, v50 dst_sel:DWORD dst_unused:UNUSED_PAD src0_sel:DWORD src1_sel:BYTE_3
	v_and_b32_e32 v10, 0x80000000, v10
	v_or3_b32 v21, v6, v10, v8
.LBB214_1487:                           ;   in Loop: Header=BB214_810 Depth=1
	s_or_b32 exec_lo, exec_lo, s16
.LBB214_1488:                           ;   in Loop: Header=BB214_810 Depth=1
	s_or_b32 exec_lo, exec_lo, s15
.LBB214_1489:                           ;   in Loop: Header=BB214_810 Depth=1
	s_or_b32 exec_lo, exec_lo, s13
	v_or_b32_e32 v6, v19, v17
	v_or_b32_e32 v8, v18, v16
	;; [unrolled: 1-line block ×4, first 2 shown]
	v_mul_f32_e32 v53, v96, v6
	v_mul_f32_e32 v52, v96, v8
	;; [unrolled: 1-line block ×4, first 2 shown]
	s_and_saveexec_b32 s13, vcc_lo
	s_cbranch_execz .LBB214_1491
; %bb.1490:                             ;   in Loop: Header=BB214_810 Depth=1
	v_cmp_lt_i32_e64 s4, v101, v27
	v_cndmask_b32_e64 v52, 0, v52, s4
	v_cmp_lt_i32_e64 s4, v113, v27
	v_cndmask_b32_e64 v53, 0, v53, s4
	;; [unrolled: 2-line block ×4, first 2 shown]
.LBB214_1491:                           ;   in Loop: Header=BB214_810 Depth=1
	s_or_b32 exec_lo, exec_lo, s13
	flat_load_dword v54, v[4:5] offset:512
	v_mov_b32_e32 v18, 0
	v_mov_b32_e32 v16, 0
	;; [unrolled: 1-line block ×4, first 2 shown]
	s_waitcnt vmcnt(0) lgkmcnt(0)
	v_cmp_ne_u16_sdwa s4, v54, v7 src0_sel:BYTE_0 src1_sel:DWORD
	s_and_saveexec_b32 s13, s4
	s_cbranch_execz .LBB214_1499
; %bb.1492:                             ;   in Loop: Header=BB214_810 Depth=1
	v_bfrev_b32_e32 v16, 1
	v_mov_b32_e32 v17, 0
	v_cmp_ne_u16_sdwa s4, v54, v81 src0_sel:BYTE_0 src1_sel:DWORD
	s_and_saveexec_b32 s15, s4
	s_cbranch_execz .LBB214_1498
; %bb.1493:                             ;   in Loop: Header=BB214_810 Depth=1
	v_mov_b32_e32 v16, 0x7f800001
	v_and_b32_e32 v10, 0x7f, v54
	v_mov_b32_e32 v17, 0
	s_mov_b32 s16, exec_lo
	v_cmpx_ne_u32_e32 0x7f, v10
	s_cbranch_execz .LBB214_1497
; %bb.1494:                             ;   in Loop: Header=BB214_810 Depth=1
	v_and_b32_e32 v6, 7, v54
	v_lshrrev_b32_e32 v8, 3, v10
	s_mov_b32 s17, exec_lo
	v_cmpx_gt_u32_e32 8, v10
; %bb.1495:                             ;   in Loop: Header=BB214_810 Depth=1
	v_ffbh_u32_e32 v8, v6
	v_min_u32_e32 v8, 32, v8
	v_subrev_nc_u32_e32 v10, 28, v8
	v_sub_nc_u32_e32 v8, 29, v8
	v_lshlrev_b64 v[16:17], v10, v[6:7]
	v_and_b32_e32 v6, 7, v16
; %bb.1496:                             ;   in Loop: Header=BB214_810 Depth=1
	s_or_b32 exec_lo, exec_lo, s17
	v_lshlrev_b32_e32 v10, 24, v54
	v_lshlrev_b32_e32 v6, 20, v6
	v_lshl_add_u32 v8, v8, 23, 0x3c000000
	v_and_b32_e32 v10, 0x80000000, v10
	v_or3_b32 v6, v6, v10, v8
	v_mov_b32_e32 v17, v7
	v_mov_b32_e32 v16, v6
.LBB214_1497:                           ;   in Loop: Header=BB214_810 Depth=1
	s_or_b32 exec_lo, exec_lo, s16
.LBB214_1498:                           ;   in Loop: Header=BB214_810 Depth=1
	s_or_b32 exec_lo, exec_lo, s15
.LBB214_1499:                           ;   in Loop: Header=BB214_810 Depth=1
	s_or_b32 exec_lo, exec_lo, s13
	v_cmp_ne_u16_sdwa s4, v54, v7 src0_sel:BYTE_1 src1_sel:DWORD
	s_and_saveexec_b32 s13, s4
	s_cbranch_execz .LBB214_1507
; %bb.1500:                             ;   in Loop: Header=BB214_810 Depth=1
	v_mov_b32_e32 v8, v7
	v_mov_b32_e32 v19, v9
	v_cmp_ne_u16_sdwa s4, v54, v81 src0_sel:BYTE_1 src1_sel:DWORD
	v_mov_b32_e32 v18, v8
	s_and_saveexec_b32 s15, s4
	s_cbranch_execz .LBB214_1506
; %bb.1501:                             ;   in Loop: Header=BB214_810 Depth=1
	v_mov_b32_e32 v6, 0xffff
	v_mov_b32_e32 v10, v7
	;; [unrolled: 1-line block ×3, first 2 shown]
	s_mov_b32 s16, exec_lo
	v_and_b32_sdwa v6, v6, v54 dst_sel:DWORD dst_unused:UNUSED_PAD src0_sel:DWORD src1_sel:BYTE_1
	v_mov_b32_e32 v18, v10
	v_and_b32_e32 v20, 0x7f, v6
	v_cmpx_ne_u32_e32 0x7f, v20
	s_cbranch_execz .LBB214_1505
; %bb.1502:                             ;   in Loop: Header=BB214_810 Depth=1
	v_and_b32_e32 v6, 7, v6
	v_lshrrev_b32_e32 v8, 3, v20
	s_mov_b32 s17, exec_lo
	v_cmpx_gt_u32_e32 8, v20
; %bb.1503:                             ;   in Loop: Header=BB214_810 Depth=1
	v_ffbh_u32_e32 v8, v6
	v_min_u32_e32 v8, 32, v8
	v_subrev_nc_u32_e32 v10, 28, v8
	v_sub_nc_u32_e32 v8, 29, v8
	v_lshlrev_b64 v[18:19], v10, v[6:7]
	v_and_b32_e32 v6, 7, v18
; %bb.1504:                             ;   in Loop: Header=BB214_810 Depth=1
	s_or_b32 exec_lo, exec_lo, s17
	v_lshlrev_b32_e32 v10, 16, v54
	v_lshlrev_b32_e32 v6, 20, v6
	v_lshl_add_u32 v8, v8, 23, 0x3c000000
	v_mov_b32_e32 v18, v7
	v_and_b32_e32 v10, 0x80000000, v10
	v_or3_b32 v19, v6, v10, v8
.LBB214_1505:                           ;   in Loop: Header=BB214_810 Depth=1
	s_or_b32 exec_lo, exec_lo, s16
.LBB214_1506:                           ;   in Loop: Header=BB214_810 Depth=1
	s_or_b32 exec_lo, exec_lo, s15
.LBB214_1507:                           ;   in Loop: Header=BB214_810 Depth=1
	s_or_b32 exec_lo, exec_lo, s13
	v_mov_b32_e32 v20, 0
	v_mov_b32_e32 v22, 0
	v_and_b32_sdwa v6, v54, v83 dst_sel:DWORD dst_unused:UNUSED_PAD src0_sel:WORD_1 src1_sel:DWORD
	v_mov_b32_e32 v21, 0
	v_mov_b32_e32 v23, 0
	s_mov_b32 s13, exec_lo
	v_cmpx_ne_u16_e32 0, v6
	s_cbranch_execz .LBB214_1515
; %bb.1508:                             ;   in Loop: Header=BB214_810 Depth=1
	v_bfrev_b32_e32 v22, 1
	v_mov_b32_e32 v23, 0
	s_mov_b32 s15, exec_lo
	v_cmpx_ne_u16_e32 0x80, v6
	s_cbranch_execz .LBB214_1514
; %bb.1509:                             ;   in Loop: Header=BB214_810 Depth=1
	v_mov_b32_e32 v22, 0x7f800001
	v_bfe_u32 v10, v54, 16, 7
	v_mov_b32_e32 v23, 0
	s_mov_b32 s16, exec_lo
	v_cmpx_ne_u32_e32 0x7f, v10
	s_cbranch_execz .LBB214_1513
; %bb.1510:                             ;   in Loop: Header=BB214_810 Depth=1
	v_mov_b32_e32 v6, 7
	v_lshrrev_b32_e32 v8, 3, v10
	s_mov_b32 s17, exec_lo
	v_and_b32_sdwa v6, v54, v6 dst_sel:DWORD dst_unused:UNUSED_PAD src0_sel:WORD_1 src1_sel:DWORD
	v_cmpx_gt_u32_e32 8, v10
; %bb.1511:                             ;   in Loop: Header=BB214_810 Depth=1
	v_ffbh_u32_e32 v8, v6
	v_min_u32_e32 v8, 32, v8
	v_subrev_nc_u32_e32 v10, 28, v8
	v_sub_nc_u32_e32 v8, 29, v8
	v_lshlrev_b64 v[22:23], v10, v[6:7]
	v_and_b32_e32 v6, 7, v22
; %bb.1512:                             ;   in Loop: Header=BB214_810 Depth=1
	s_or_b32 exec_lo, exec_lo, s17
	v_mov_b32_e32 v10, 24
	v_lshlrev_b32_e32 v6, 20, v6
	v_lshl_add_u32 v8, v8, 23, 0x3c000000
	v_lshlrev_b32_sdwa v10, v10, v54 dst_sel:DWORD dst_unused:UNUSED_PAD src0_sel:DWORD src1_sel:WORD_1
	v_and_b32_e32 v10, 0x80000000, v10
	v_or3_b32 v6, v6, v10, v8
	v_mov_b32_e32 v23, v7
	v_mov_b32_e32 v22, v6
.LBB214_1513:                           ;   in Loop: Header=BB214_810 Depth=1
	s_or_b32 exec_lo, exec_lo, s16
.LBB214_1514:                           ;   in Loop: Header=BB214_810 Depth=1
	s_or_b32 exec_lo, exec_lo, s15
.LBB214_1515:                           ;   in Loop: Header=BB214_810 Depth=1
	s_or_b32 exec_lo, exec_lo, s13
	s_mov_b32 s13, exec_lo
	v_cmpx_lt_u32_e32 0xffffff, v54
	s_cbranch_execz .LBB214_1523
; %bb.1516:                             ;   in Loop: Header=BB214_810 Depth=1
	v_mov_b32_e32 v8, v7
	v_mov_b32_e32 v21, v9
	v_cmp_ne_u32_sdwa s4, v54, v81 src0_sel:BYTE_3 src1_sel:DWORD
	v_mov_b32_e32 v20, v8
	s_and_saveexec_b32 s15, s4
	s_cbranch_execz .LBB214_1522
; %bb.1517:                             ;   in Loop: Header=BB214_810 Depth=1
	v_mov_b32_e32 v10, v7
	v_mov_b32_e32 v21, v11
	v_bfe_u32 v55, v54, 24, 7
	s_mov_b32 s16, exec_lo
	v_mov_b32_e32 v20, v10
	v_cmpx_ne_u32_e32 0x7f, v55
	s_cbranch_execz .LBB214_1521
; %bb.1518:                             ;   in Loop: Header=BB214_810 Depth=1
	v_mov_b32_e32 v6, 7
	v_lshrrev_b32_e32 v8, 3, v55
	s_mov_b32 s17, exec_lo
	v_and_b32_sdwa v6, v54, v6 dst_sel:DWORD dst_unused:UNUSED_PAD src0_sel:BYTE_3 src1_sel:DWORD
	v_cmpx_gt_u32_e32 8, v55
; %bb.1519:                             ;   in Loop: Header=BB214_810 Depth=1
	v_ffbh_u32_e32 v8, v6
	v_min_u32_e32 v8, 32, v8
	v_subrev_nc_u32_e32 v10, 28, v8
	v_sub_nc_u32_e32 v8, 29, v8
	v_lshlrev_b64 v[20:21], v10, v[6:7]
	v_and_b32_e32 v6, 7, v20
; %bb.1520:                             ;   in Loop: Header=BB214_810 Depth=1
	s_or_b32 exec_lo, exec_lo, s17
	v_mov_b32_e32 v10, 24
	v_lshlrev_b32_e32 v6, 20, v6
	v_lshl_add_u32 v8, v8, 23, 0x3c000000
	v_mov_b32_e32 v20, v7
	v_lshlrev_b32_sdwa v10, v10, v54 dst_sel:DWORD dst_unused:UNUSED_PAD src0_sel:DWORD src1_sel:BYTE_3
	v_and_b32_e32 v10, 0x80000000, v10
	v_or3_b32 v21, v6, v10, v8
.LBB214_1521:                           ;   in Loop: Header=BB214_810 Depth=1
	s_or_b32 exec_lo, exec_lo, s16
.LBB214_1522:                           ;   in Loop: Header=BB214_810 Depth=1
	s_or_b32 exec_lo, exec_lo, s15
.LBB214_1523:                           ;   in Loop: Header=BB214_810 Depth=1
	s_or_b32 exec_lo, exec_lo, s13
	v_or_b32_e32 v6, v19, v17
	v_or_b32_e32 v8, v18, v16
	;; [unrolled: 1-line block ×4, first 2 shown]
	v_mul_f32_e32 v65, v96, v6
	v_mul_f32_e32 v64, v96, v8
	;; [unrolled: 1-line block ×4, first 2 shown]
	s_and_saveexec_b32 s13, vcc_lo
	s_cbranch_execz .LBB214_1525
; %bb.1524:                             ;   in Loop: Header=BB214_810 Depth=1
	v_cmp_lt_i32_e64 s4, v101, v27
	v_cndmask_b32_e64 v64, 0, v64, s4
	v_cmp_lt_i32_e64 s4, v113, v27
	v_cndmask_b32_e64 v65, 0, v65, s4
	;; [unrolled: 2-line block ×4, first 2 shown]
.LBB214_1525:                           ;   in Loop: Header=BB214_810 Depth=1
	s_or_b32 exec_lo, exec_lo, s13
	flat_load_dword v66, v[4:5] offset:640
	v_mov_b32_e32 v18, 0
	v_mov_b32_e32 v16, 0
	;; [unrolled: 1-line block ×4, first 2 shown]
	s_waitcnt vmcnt(0) lgkmcnt(0)
	v_cmp_ne_u16_sdwa s4, v66, v7 src0_sel:BYTE_0 src1_sel:DWORD
	s_and_saveexec_b32 s13, s4
	s_cbranch_execz .LBB214_1533
; %bb.1526:                             ;   in Loop: Header=BB214_810 Depth=1
	v_bfrev_b32_e32 v16, 1
	v_mov_b32_e32 v17, 0
	v_cmp_ne_u16_sdwa s4, v66, v81 src0_sel:BYTE_0 src1_sel:DWORD
	s_and_saveexec_b32 s15, s4
	s_cbranch_execz .LBB214_1532
; %bb.1527:                             ;   in Loop: Header=BB214_810 Depth=1
	v_mov_b32_e32 v16, 0x7f800001
	v_and_b32_e32 v10, 0x7f, v66
	v_mov_b32_e32 v17, 0
	s_mov_b32 s16, exec_lo
	v_cmpx_ne_u32_e32 0x7f, v10
	s_cbranch_execz .LBB214_1531
; %bb.1528:                             ;   in Loop: Header=BB214_810 Depth=1
	v_and_b32_e32 v6, 7, v66
	v_lshrrev_b32_e32 v8, 3, v10
	s_mov_b32 s17, exec_lo
	v_cmpx_gt_u32_e32 8, v10
; %bb.1529:                             ;   in Loop: Header=BB214_810 Depth=1
	v_ffbh_u32_e32 v8, v6
	v_min_u32_e32 v8, 32, v8
	v_subrev_nc_u32_e32 v10, 28, v8
	v_sub_nc_u32_e32 v8, 29, v8
	v_lshlrev_b64 v[16:17], v10, v[6:7]
	v_and_b32_e32 v6, 7, v16
; %bb.1530:                             ;   in Loop: Header=BB214_810 Depth=1
	s_or_b32 exec_lo, exec_lo, s17
	v_lshlrev_b32_e32 v10, 24, v66
	v_lshlrev_b32_e32 v6, 20, v6
	v_lshl_add_u32 v8, v8, 23, 0x3c000000
	v_and_b32_e32 v10, 0x80000000, v10
	v_or3_b32 v6, v6, v10, v8
	v_mov_b32_e32 v17, v7
	v_mov_b32_e32 v16, v6
.LBB214_1531:                           ;   in Loop: Header=BB214_810 Depth=1
	s_or_b32 exec_lo, exec_lo, s16
.LBB214_1532:                           ;   in Loop: Header=BB214_810 Depth=1
	s_or_b32 exec_lo, exec_lo, s15
.LBB214_1533:                           ;   in Loop: Header=BB214_810 Depth=1
	s_or_b32 exec_lo, exec_lo, s13
	v_cmp_ne_u16_sdwa s4, v66, v7 src0_sel:BYTE_1 src1_sel:DWORD
	s_and_saveexec_b32 s13, s4
	s_cbranch_execz .LBB214_1541
; %bb.1534:                             ;   in Loop: Header=BB214_810 Depth=1
	v_mov_b32_e32 v8, v7
	v_mov_b32_e32 v19, v9
	v_cmp_ne_u16_sdwa s4, v66, v81 src0_sel:BYTE_1 src1_sel:DWORD
	v_mov_b32_e32 v18, v8
	s_and_saveexec_b32 s15, s4
	s_cbranch_execz .LBB214_1540
; %bb.1535:                             ;   in Loop: Header=BB214_810 Depth=1
	v_mov_b32_e32 v6, 0xffff
	v_mov_b32_e32 v10, v7
	v_mov_b32_e32 v19, v11
	s_mov_b32 s16, exec_lo
	v_and_b32_sdwa v6, v6, v66 dst_sel:DWORD dst_unused:UNUSED_PAD src0_sel:DWORD src1_sel:BYTE_1
	v_mov_b32_e32 v18, v10
	v_and_b32_e32 v20, 0x7f, v6
	v_cmpx_ne_u32_e32 0x7f, v20
	s_cbranch_execz .LBB214_1539
; %bb.1536:                             ;   in Loop: Header=BB214_810 Depth=1
	v_and_b32_e32 v6, 7, v6
	v_lshrrev_b32_e32 v8, 3, v20
	s_mov_b32 s17, exec_lo
	v_cmpx_gt_u32_e32 8, v20
; %bb.1537:                             ;   in Loop: Header=BB214_810 Depth=1
	v_ffbh_u32_e32 v8, v6
	v_min_u32_e32 v8, 32, v8
	v_subrev_nc_u32_e32 v10, 28, v8
	v_sub_nc_u32_e32 v8, 29, v8
	v_lshlrev_b64 v[18:19], v10, v[6:7]
	v_and_b32_e32 v6, 7, v18
; %bb.1538:                             ;   in Loop: Header=BB214_810 Depth=1
	s_or_b32 exec_lo, exec_lo, s17
	v_lshlrev_b32_e32 v10, 16, v66
	v_lshlrev_b32_e32 v6, 20, v6
	v_lshl_add_u32 v8, v8, 23, 0x3c000000
	v_mov_b32_e32 v18, v7
	v_and_b32_e32 v10, 0x80000000, v10
	v_or3_b32 v19, v6, v10, v8
.LBB214_1539:                           ;   in Loop: Header=BB214_810 Depth=1
	s_or_b32 exec_lo, exec_lo, s16
.LBB214_1540:                           ;   in Loop: Header=BB214_810 Depth=1
	s_or_b32 exec_lo, exec_lo, s15
.LBB214_1541:                           ;   in Loop: Header=BB214_810 Depth=1
	s_or_b32 exec_lo, exec_lo, s13
	v_mov_b32_e32 v20, 0
	v_mov_b32_e32 v22, 0
	v_and_b32_sdwa v6, v66, v83 dst_sel:DWORD dst_unused:UNUSED_PAD src0_sel:WORD_1 src1_sel:DWORD
	v_mov_b32_e32 v21, 0
	v_mov_b32_e32 v23, 0
	s_mov_b32 s13, exec_lo
	v_cmpx_ne_u16_e32 0, v6
	s_cbranch_execz .LBB214_1549
; %bb.1542:                             ;   in Loop: Header=BB214_810 Depth=1
	v_bfrev_b32_e32 v22, 1
	v_mov_b32_e32 v23, 0
	s_mov_b32 s15, exec_lo
	v_cmpx_ne_u16_e32 0x80, v6
	s_cbranch_execz .LBB214_1548
; %bb.1543:                             ;   in Loop: Header=BB214_810 Depth=1
	v_mov_b32_e32 v22, 0x7f800001
	v_bfe_u32 v10, v66, 16, 7
	v_mov_b32_e32 v23, 0
	s_mov_b32 s16, exec_lo
	v_cmpx_ne_u32_e32 0x7f, v10
	s_cbranch_execz .LBB214_1547
; %bb.1544:                             ;   in Loop: Header=BB214_810 Depth=1
	v_mov_b32_e32 v6, 7
	v_lshrrev_b32_e32 v8, 3, v10
	s_mov_b32 s17, exec_lo
	v_and_b32_sdwa v6, v66, v6 dst_sel:DWORD dst_unused:UNUSED_PAD src0_sel:WORD_1 src1_sel:DWORD
	v_cmpx_gt_u32_e32 8, v10
; %bb.1545:                             ;   in Loop: Header=BB214_810 Depth=1
	v_ffbh_u32_e32 v8, v6
	v_min_u32_e32 v8, 32, v8
	v_subrev_nc_u32_e32 v10, 28, v8
	v_sub_nc_u32_e32 v8, 29, v8
	v_lshlrev_b64 v[22:23], v10, v[6:7]
	v_and_b32_e32 v6, 7, v22
; %bb.1546:                             ;   in Loop: Header=BB214_810 Depth=1
	s_or_b32 exec_lo, exec_lo, s17
	v_mov_b32_e32 v10, 24
	v_lshlrev_b32_e32 v6, 20, v6
	v_lshl_add_u32 v8, v8, 23, 0x3c000000
	v_lshlrev_b32_sdwa v10, v10, v66 dst_sel:DWORD dst_unused:UNUSED_PAD src0_sel:DWORD src1_sel:WORD_1
	v_and_b32_e32 v10, 0x80000000, v10
	v_or3_b32 v6, v6, v10, v8
	v_mov_b32_e32 v23, v7
	v_mov_b32_e32 v22, v6
.LBB214_1547:                           ;   in Loop: Header=BB214_810 Depth=1
	s_or_b32 exec_lo, exec_lo, s16
.LBB214_1548:                           ;   in Loop: Header=BB214_810 Depth=1
	s_or_b32 exec_lo, exec_lo, s15
.LBB214_1549:                           ;   in Loop: Header=BB214_810 Depth=1
	s_or_b32 exec_lo, exec_lo, s13
	s_mov_b32 s13, exec_lo
	v_cmpx_lt_u32_e32 0xffffff, v66
	s_cbranch_execz .LBB214_1557
; %bb.1550:                             ;   in Loop: Header=BB214_810 Depth=1
	v_mov_b32_e32 v8, v7
	v_mov_b32_e32 v21, v9
	v_cmp_ne_u32_sdwa s4, v66, v81 src0_sel:BYTE_3 src1_sel:DWORD
	v_mov_b32_e32 v20, v8
	s_and_saveexec_b32 s15, s4
	s_cbranch_execz .LBB214_1556
; %bb.1551:                             ;   in Loop: Header=BB214_810 Depth=1
	v_mov_b32_e32 v10, v7
	v_mov_b32_e32 v21, v11
	v_bfe_u32 v67, v66, 24, 7
	s_mov_b32 s16, exec_lo
	v_mov_b32_e32 v20, v10
	v_cmpx_ne_u32_e32 0x7f, v67
	s_cbranch_execz .LBB214_1555
; %bb.1552:                             ;   in Loop: Header=BB214_810 Depth=1
	v_mov_b32_e32 v6, 7
	v_lshrrev_b32_e32 v8, 3, v67
	s_mov_b32 s17, exec_lo
	v_and_b32_sdwa v6, v66, v6 dst_sel:DWORD dst_unused:UNUSED_PAD src0_sel:BYTE_3 src1_sel:DWORD
	v_cmpx_gt_u32_e32 8, v67
; %bb.1553:                             ;   in Loop: Header=BB214_810 Depth=1
	v_ffbh_u32_e32 v8, v6
	v_min_u32_e32 v8, 32, v8
	v_subrev_nc_u32_e32 v10, 28, v8
	v_sub_nc_u32_e32 v8, 29, v8
	v_lshlrev_b64 v[20:21], v10, v[6:7]
	v_and_b32_e32 v6, 7, v20
; %bb.1554:                             ;   in Loop: Header=BB214_810 Depth=1
	s_or_b32 exec_lo, exec_lo, s17
	v_mov_b32_e32 v10, 24
	v_lshlrev_b32_e32 v6, 20, v6
	v_lshl_add_u32 v8, v8, 23, 0x3c000000
	v_mov_b32_e32 v20, v7
	v_lshlrev_b32_sdwa v10, v10, v66 dst_sel:DWORD dst_unused:UNUSED_PAD src0_sel:DWORD src1_sel:BYTE_3
	v_and_b32_e32 v10, 0x80000000, v10
	v_or3_b32 v21, v6, v10, v8
.LBB214_1555:                           ;   in Loop: Header=BB214_810 Depth=1
	s_or_b32 exec_lo, exec_lo, s16
.LBB214_1556:                           ;   in Loop: Header=BB214_810 Depth=1
	s_or_b32 exec_lo, exec_lo, s15
.LBB214_1557:                           ;   in Loop: Header=BB214_810 Depth=1
	s_or_b32 exec_lo, exec_lo, s13
	v_or_b32_e32 v6, v19, v17
	v_or_b32_e32 v8, v18, v16
	;; [unrolled: 1-line block ×4, first 2 shown]
	v_mul_f32_e32 v69, v96, v6
	v_mul_f32_e32 v68, v96, v8
	;; [unrolled: 1-line block ×4, first 2 shown]
	s_and_saveexec_b32 s13, vcc_lo
	s_cbranch_execz .LBB214_1559
; %bb.1558:                             ;   in Loop: Header=BB214_810 Depth=1
	v_cmp_lt_i32_e64 s4, v101, v27
	v_cndmask_b32_e64 v68, 0, v68, s4
	v_cmp_lt_i32_e64 s4, v113, v27
	v_cndmask_b32_e64 v69, 0, v69, s4
	v_cmp_lt_i32_e64 s4, v103, v27
	v_cndmask_b32_e64 v67, 0, v67, s4
	v_cmp_lt_i32_e64 s4, v102, v27
	v_cndmask_b32_e64 v66, 0, v66, s4
.LBB214_1559:                           ;   in Loop: Header=BB214_810 Depth=1
	s_or_b32 exec_lo, exec_lo, s13
	flat_load_dword v82, v[4:5] offset:768
	v_mov_b32_e32 v18, 0
	v_mov_b32_e32 v16, 0
	;; [unrolled: 1-line block ×4, first 2 shown]
	s_waitcnt vmcnt(0) lgkmcnt(0)
	v_cmp_ne_u16_sdwa s4, v82, v7 src0_sel:BYTE_0 src1_sel:DWORD
	s_and_saveexec_b32 s13, s4
	s_cbranch_execz .LBB214_1567
; %bb.1560:                             ;   in Loop: Header=BB214_810 Depth=1
	v_bfrev_b32_e32 v16, 1
	v_mov_b32_e32 v17, 0
	v_cmp_ne_u16_sdwa s4, v82, v81 src0_sel:BYTE_0 src1_sel:DWORD
	s_and_saveexec_b32 s15, s4
	s_cbranch_execz .LBB214_1566
; %bb.1561:                             ;   in Loop: Header=BB214_810 Depth=1
	v_mov_b32_e32 v16, 0x7f800001
	v_and_b32_e32 v10, 0x7f, v82
	v_mov_b32_e32 v17, 0
	s_mov_b32 s16, exec_lo
	v_cmpx_ne_u32_e32 0x7f, v10
	s_cbranch_execz .LBB214_1565
; %bb.1562:                             ;   in Loop: Header=BB214_810 Depth=1
	v_and_b32_e32 v6, 7, v82
	v_lshrrev_b32_e32 v8, 3, v10
	s_mov_b32 s17, exec_lo
	v_cmpx_gt_u32_e32 8, v10
; %bb.1563:                             ;   in Loop: Header=BB214_810 Depth=1
	v_ffbh_u32_e32 v8, v6
	v_min_u32_e32 v8, 32, v8
	v_subrev_nc_u32_e32 v10, 28, v8
	v_sub_nc_u32_e32 v8, 29, v8
	v_lshlrev_b64 v[16:17], v10, v[6:7]
	v_and_b32_e32 v6, 7, v16
; %bb.1564:                             ;   in Loop: Header=BB214_810 Depth=1
	s_or_b32 exec_lo, exec_lo, s17
	v_lshlrev_b32_e32 v10, 24, v82
	v_lshlrev_b32_e32 v6, 20, v6
	v_lshl_add_u32 v8, v8, 23, 0x3c000000
	v_and_b32_e32 v10, 0x80000000, v10
	v_or3_b32 v6, v6, v10, v8
	v_mov_b32_e32 v17, v7
	v_mov_b32_e32 v16, v6
.LBB214_1565:                           ;   in Loop: Header=BB214_810 Depth=1
	s_or_b32 exec_lo, exec_lo, s16
.LBB214_1566:                           ;   in Loop: Header=BB214_810 Depth=1
	s_or_b32 exec_lo, exec_lo, s15
.LBB214_1567:                           ;   in Loop: Header=BB214_810 Depth=1
	s_or_b32 exec_lo, exec_lo, s13
	v_cmp_ne_u16_sdwa s4, v82, v7 src0_sel:BYTE_1 src1_sel:DWORD
	s_and_saveexec_b32 s13, s4
	s_cbranch_execz .LBB214_1575
; %bb.1568:                             ;   in Loop: Header=BB214_810 Depth=1
	v_mov_b32_e32 v8, v7
	v_mov_b32_e32 v19, v9
	v_cmp_ne_u16_sdwa s4, v82, v81 src0_sel:BYTE_1 src1_sel:DWORD
	v_mov_b32_e32 v18, v8
	s_and_saveexec_b32 s15, s4
	s_cbranch_execz .LBB214_1574
; %bb.1569:                             ;   in Loop: Header=BB214_810 Depth=1
	v_mov_b32_e32 v6, 0xffff
	v_mov_b32_e32 v10, v7
	;; [unrolled: 1-line block ×3, first 2 shown]
	s_mov_b32 s16, exec_lo
	v_and_b32_sdwa v6, v6, v82 dst_sel:DWORD dst_unused:UNUSED_PAD src0_sel:DWORD src1_sel:BYTE_1
	v_mov_b32_e32 v18, v10
	v_and_b32_e32 v20, 0x7f, v6
	v_cmpx_ne_u32_e32 0x7f, v20
	s_cbranch_execz .LBB214_1573
; %bb.1570:                             ;   in Loop: Header=BB214_810 Depth=1
	v_and_b32_e32 v6, 7, v6
	v_lshrrev_b32_e32 v8, 3, v20
	s_mov_b32 s17, exec_lo
	v_cmpx_gt_u32_e32 8, v20
; %bb.1571:                             ;   in Loop: Header=BB214_810 Depth=1
	v_ffbh_u32_e32 v8, v6
	v_min_u32_e32 v8, 32, v8
	v_subrev_nc_u32_e32 v10, 28, v8
	v_sub_nc_u32_e32 v8, 29, v8
	v_lshlrev_b64 v[18:19], v10, v[6:7]
	v_and_b32_e32 v6, 7, v18
; %bb.1572:                             ;   in Loop: Header=BB214_810 Depth=1
	s_or_b32 exec_lo, exec_lo, s17
	v_lshlrev_b32_e32 v10, 16, v82
	v_lshlrev_b32_e32 v6, 20, v6
	v_lshl_add_u32 v8, v8, 23, 0x3c000000
	v_mov_b32_e32 v18, v7
	v_and_b32_e32 v10, 0x80000000, v10
	v_or3_b32 v19, v6, v10, v8
.LBB214_1573:                           ;   in Loop: Header=BB214_810 Depth=1
	s_or_b32 exec_lo, exec_lo, s16
.LBB214_1574:                           ;   in Loop: Header=BB214_810 Depth=1
	s_or_b32 exec_lo, exec_lo, s15
.LBB214_1575:                           ;   in Loop: Header=BB214_810 Depth=1
	s_or_b32 exec_lo, exec_lo, s13
	v_mov_b32_e32 v20, 0
	v_mov_b32_e32 v22, 0
	v_and_b32_sdwa v6, v82, v83 dst_sel:DWORD dst_unused:UNUSED_PAD src0_sel:WORD_1 src1_sel:DWORD
	v_mov_b32_e32 v21, 0
	v_mov_b32_e32 v23, 0
	s_mov_b32 s13, exec_lo
	v_cmpx_ne_u16_e32 0, v6
	s_cbranch_execz .LBB214_1583
; %bb.1576:                             ;   in Loop: Header=BB214_810 Depth=1
	v_bfrev_b32_e32 v22, 1
	v_mov_b32_e32 v23, 0
	s_mov_b32 s15, exec_lo
	v_cmpx_ne_u16_e32 0x80, v6
	s_cbranch_execz .LBB214_1582
; %bb.1577:                             ;   in Loop: Header=BB214_810 Depth=1
	v_mov_b32_e32 v22, 0x7f800001
	v_bfe_u32 v10, v82, 16, 7
	v_mov_b32_e32 v23, 0
	s_mov_b32 s16, exec_lo
	v_cmpx_ne_u32_e32 0x7f, v10
	s_cbranch_execz .LBB214_1581
; %bb.1578:                             ;   in Loop: Header=BB214_810 Depth=1
	v_mov_b32_e32 v6, 7
	v_lshrrev_b32_e32 v8, 3, v10
	s_mov_b32 s17, exec_lo
	v_and_b32_sdwa v6, v82, v6 dst_sel:DWORD dst_unused:UNUSED_PAD src0_sel:WORD_1 src1_sel:DWORD
	v_cmpx_gt_u32_e32 8, v10
; %bb.1579:                             ;   in Loop: Header=BB214_810 Depth=1
	v_ffbh_u32_e32 v8, v6
	v_min_u32_e32 v8, 32, v8
	v_subrev_nc_u32_e32 v10, 28, v8
	v_sub_nc_u32_e32 v8, 29, v8
	v_lshlrev_b64 v[22:23], v10, v[6:7]
	v_and_b32_e32 v6, 7, v22
; %bb.1580:                             ;   in Loop: Header=BB214_810 Depth=1
	s_or_b32 exec_lo, exec_lo, s17
	v_mov_b32_e32 v10, 24
	v_lshlrev_b32_e32 v6, 20, v6
	v_lshl_add_u32 v8, v8, 23, 0x3c000000
	v_lshlrev_b32_sdwa v10, v10, v82 dst_sel:DWORD dst_unused:UNUSED_PAD src0_sel:DWORD src1_sel:WORD_1
	v_and_b32_e32 v10, 0x80000000, v10
	v_or3_b32 v6, v6, v10, v8
	v_mov_b32_e32 v23, v7
	v_mov_b32_e32 v22, v6
.LBB214_1581:                           ;   in Loop: Header=BB214_810 Depth=1
	s_or_b32 exec_lo, exec_lo, s16
.LBB214_1582:                           ;   in Loop: Header=BB214_810 Depth=1
	s_or_b32 exec_lo, exec_lo, s15
.LBB214_1583:                           ;   in Loop: Header=BB214_810 Depth=1
	s_or_b32 exec_lo, exec_lo, s13
	s_mov_b32 s13, exec_lo
	v_cmpx_lt_u32_e32 0xffffff, v82
	s_cbranch_execz .LBB214_1591
; %bb.1584:                             ;   in Loop: Header=BB214_810 Depth=1
	v_mov_b32_e32 v8, v7
	v_mov_b32_e32 v21, v9
	v_cmp_ne_u32_sdwa s4, v82, v81 src0_sel:BYTE_3 src1_sel:DWORD
	v_mov_b32_e32 v20, v8
	s_and_saveexec_b32 s15, s4
	s_cbranch_execz .LBB214_1590
; %bb.1585:                             ;   in Loop: Header=BB214_810 Depth=1
	v_mov_b32_e32 v10, v7
	v_mov_b32_e32 v21, v11
	v_bfe_u32 v84, v82, 24, 7
	s_mov_b32 s16, exec_lo
	v_mov_b32_e32 v20, v10
	v_cmpx_ne_u32_e32 0x7f, v84
	s_cbranch_execz .LBB214_1589
; %bb.1586:                             ;   in Loop: Header=BB214_810 Depth=1
	v_mov_b32_e32 v6, 7
	v_lshrrev_b32_e32 v8, 3, v84
	s_mov_b32 s17, exec_lo
	v_and_b32_sdwa v6, v82, v6 dst_sel:DWORD dst_unused:UNUSED_PAD src0_sel:BYTE_3 src1_sel:DWORD
	v_cmpx_gt_u32_e32 8, v84
; %bb.1587:                             ;   in Loop: Header=BB214_810 Depth=1
	v_ffbh_u32_e32 v8, v6
	v_min_u32_e32 v8, 32, v8
	v_subrev_nc_u32_e32 v10, 28, v8
	v_sub_nc_u32_e32 v8, 29, v8
	v_lshlrev_b64 v[20:21], v10, v[6:7]
	v_and_b32_e32 v6, 7, v20
; %bb.1588:                             ;   in Loop: Header=BB214_810 Depth=1
	s_or_b32 exec_lo, exec_lo, s17
	v_mov_b32_e32 v10, 24
	v_lshlrev_b32_e32 v6, 20, v6
	v_lshl_add_u32 v8, v8, 23, 0x3c000000
	v_mov_b32_e32 v20, v7
	v_lshlrev_b32_sdwa v10, v10, v82 dst_sel:DWORD dst_unused:UNUSED_PAD src0_sel:DWORD src1_sel:BYTE_3
	v_and_b32_e32 v10, 0x80000000, v10
	v_or3_b32 v21, v6, v10, v8
.LBB214_1589:                           ;   in Loop: Header=BB214_810 Depth=1
	s_or_b32 exec_lo, exec_lo, s16
.LBB214_1590:                           ;   in Loop: Header=BB214_810 Depth=1
	s_or_b32 exec_lo, exec_lo, s15
.LBB214_1591:                           ;   in Loop: Header=BB214_810 Depth=1
	s_or_b32 exec_lo, exec_lo, s13
	v_or_b32_e32 v6, v19, v17
	v_or_b32_e32 v8, v18, v16
	;; [unrolled: 1-line block ×4, first 2 shown]
	v_mul_f32_e32 v84, v96, v6
	v_mul_f32_e32 v82, v96, v8
	;; [unrolled: 1-line block ×4, first 2 shown]
	s_and_saveexec_b32 s13, vcc_lo
	s_cbranch_execz .LBB214_1593
; %bb.1592:                             ;   in Loop: Header=BB214_810 Depth=1
	v_cmp_lt_i32_e64 s4, v101, v27
	v_cndmask_b32_e64 v82, 0, v82, s4
	v_cmp_lt_i32_e64 s4, v113, v27
	v_cndmask_b32_e64 v84, 0, v84, s4
	;; [unrolled: 2-line block ×4, first 2 shown]
.LBB214_1593:                           ;   in Loop: Header=BB214_810 Depth=1
	s_or_b32 exec_lo, exec_lo, s13
	flat_load_dword v85, v[4:5] offset:896
	v_mov_b32_e32 v16, 0
	v_mov_b32_e32 v4, 0
	;; [unrolled: 1-line block ×4, first 2 shown]
	s_waitcnt vmcnt(0) lgkmcnt(0)
	v_cmp_ne_u16_sdwa s4, v85, v7 src0_sel:BYTE_0 src1_sel:DWORD
	s_and_saveexec_b32 s13, s4
	s_cbranch_execz .LBB214_1601
; %bb.1594:                             ;   in Loop: Header=BB214_810 Depth=1
	v_bfrev_b32_e32 v4, 1
	v_mov_b32_e32 v5, 0
	v_cmp_ne_u16_sdwa s4, v85, v81 src0_sel:BYTE_0 src1_sel:DWORD
	s_and_saveexec_b32 s15, s4
	s_cbranch_execz .LBB214_1600
; %bb.1595:                             ;   in Loop: Header=BB214_810 Depth=1
	v_mov_b32_e32 v4, 0x7f800001
	v_and_b32_e32 v8, 0x7f, v85
	v_mov_b32_e32 v5, 0
	s_mov_b32 s16, exec_lo
	v_cmpx_ne_u32_e32 0x7f, v8
	s_cbranch_execz .LBB214_1599
; %bb.1596:                             ;   in Loop: Header=BB214_810 Depth=1
	v_and_b32_e32 v6, 7, v85
	v_lshrrev_b32_e32 v4, 3, v8
	s_mov_b32 s17, exec_lo
	v_cmpx_gt_u32_e32 8, v8
; %bb.1597:                             ;   in Loop: Header=BB214_810 Depth=1
	v_ffbh_u32_e32 v4, v6
	v_min_u32_e32 v4, 32, v4
	v_subrev_nc_u32_e32 v5, 28, v4
	v_sub_nc_u32_e32 v4, 29, v4
	v_lshlrev_b64 v[5:6], v5, v[6:7]
	v_and_b32_e32 v6, 7, v5
; %bb.1598:                             ;   in Loop: Header=BB214_810 Depth=1
	s_or_b32 exec_lo, exec_lo, s17
	v_lshlrev_b32_e32 v5, 24, v85
	v_lshlrev_b32_e32 v6, 20, v6
	v_lshl_add_u32 v4, v4, 23, 0x3c000000
	v_and_b32_e32 v5, 0x80000000, v5
	v_or3_b32 v6, v6, v5, v4
	v_mov_b32_e32 v4, v6
	v_mov_b32_e32 v5, v7
.LBB214_1599:                           ;   in Loop: Header=BB214_810 Depth=1
	s_or_b32 exec_lo, exec_lo, s16
.LBB214_1600:                           ;   in Loop: Header=BB214_810 Depth=1
	s_or_b32 exec_lo, exec_lo, s15
.LBB214_1601:                           ;   in Loop: Header=BB214_810 Depth=1
	s_or_b32 exec_lo, exec_lo, s13
	v_cmp_ne_u16_sdwa s4, v85, v7 src0_sel:BYTE_1 src1_sel:DWORD
	s_and_saveexec_b32 s13, s4
	s_cbranch_execz .LBB214_1609
; %bb.1602:                             ;   in Loop: Header=BB214_810 Depth=1
	v_mov_b32_e32 v8, v7
	v_mov_b32_e32 v17, v9
	v_cmp_ne_u16_sdwa s4, v85, v81 src0_sel:BYTE_1 src1_sel:DWORD
	v_mov_b32_e32 v16, v8
	s_and_saveexec_b32 s15, s4
	s_cbranch_execz .LBB214_1608
; %bb.1603:                             ;   in Loop: Header=BB214_810 Depth=1
	v_mov_b32_e32 v6, 0xffff
	v_mov_b32_e32 v10, v7
	;; [unrolled: 1-line block ×3, first 2 shown]
	s_mov_b32 s16, exec_lo
	v_and_b32_sdwa v6, v6, v85 dst_sel:DWORD dst_unused:UNUSED_PAD src0_sel:DWORD src1_sel:BYTE_1
	v_mov_b32_e32 v16, v10
	v_and_b32_e32 v18, 0x7f, v6
	v_cmpx_ne_u32_e32 0x7f, v18
	s_cbranch_execz .LBB214_1607
; %bb.1604:                             ;   in Loop: Header=BB214_810 Depth=1
	v_and_b32_e32 v6, 7, v6
	v_lshrrev_b32_e32 v8, 3, v18
	s_mov_b32 s17, exec_lo
	v_cmpx_gt_u32_e32 8, v18
; %bb.1605:                             ;   in Loop: Header=BB214_810 Depth=1
	v_ffbh_u32_e32 v8, v6
	v_min_u32_e32 v8, 32, v8
	v_subrev_nc_u32_e32 v10, 28, v8
	v_sub_nc_u32_e32 v8, 29, v8
	v_lshlrev_b64 v[16:17], v10, v[6:7]
	v_and_b32_e32 v6, 7, v16
; %bb.1606:                             ;   in Loop: Header=BB214_810 Depth=1
	s_or_b32 exec_lo, exec_lo, s17
	v_lshlrev_b32_e32 v10, 16, v85
	v_lshlrev_b32_e32 v6, 20, v6
	v_lshl_add_u32 v8, v8, 23, 0x3c000000
	v_mov_b32_e32 v16, v7
	v_and_b32_e32 v10, 0x80000000, v10
	v_or3_b32 v17, v6, v10, v8
.LBB214_1607:                           ;   in Loop: Header=BB214_810 Depth=1
	s_or_b32 exec_lo, exec_lo, s16
.LBB214_1608:                           ;   in Loop: Header=BB214_810 Depth=1
	s_or_b32 exec_lo, exec_lo, s15
.LBB214_1609:                           ;   in Loop: Header=BB214_810 Depth=1
	s_or_b32 exec_lo, exec_lo, s13
	v_mov_b32_e32 v18, 0
	v_mov_b32_e32 v20, 0
	v_and_b32_sdwa v6, v85, v83 dst_sel:DWORD dst_unused:UNUSED_PAD src0_sel:WORD_1 src1_sel:DWORD
	v_mov_b32_e32 v19, 0
	v_mov_b32_e32 v21, 0
	s_mov_b32 s13, exec_lo
	v_cmpx_ne_u16_e32 0, v6
	s_cbranch_execz .LBB214_1617
; %bb.1610:                             ;   in Loop: Header=BB214_810 Depth=1
	v_bfrev_b32_e32 v20, 1
	v_mov_b32_e32 v21, 0
	s_mov_b32 s15, exec_lo
	v_cmpx_ne_u16_e32 0x80, v6
	s_cbranch_execz .LBB214_1616
; %bb.1611:                             ;   in Loop: Header=BB214_810 Depth=1
	v_mov_b32_e32 v20, 0x7f800001
	v_bfe_u32 v10, v85, 16, 7
	v_mov_b32_e32 v21, 0
	s_mov_b32 s16, exec_lo
	v_cmpx_ne_u32_e32 0x7f, v10
	s_cbranch_execz .LBB214_1615
; %bb.1612:                             ;   in Loop: Header=BB214_810 Depth=1
	v_mov_b32_e32 v6, 7
	v_lshrrev_b32_e32 v8, 3, v10
	s_mov_b32 s17, exec_lo
	v_and_b32_sdwa v6, v85, v6 dst_sel:DWORD dst_unused:UNUSED_PAD src0_sel:WORD_1 src1_sel:DWORD
	v_cmpx_gt_u32_e32 8, v10
; %bb.1613:                             ;   in Loop: Header=BB214_810 Depth=1
	v_ffbh_u32_e32 v8, v6
	v_min_u32_e32 v8, 32, v8
	v_subrev_nc_u32_e32 v10, 28, v8
	v_sub_nc_u32_e32 v8, 29, v8
	v_lshlrev_b64 v[20:21], v10, v[6:7]
	v_and_b32_e32 v6, 7, v20
; %bb.1614:                             ;   in Loop: Header=BB214_810 Depth=1
	s_or_b32 exec_lo, exec_lo, s17
	v_mov_b32_e32 v10, 24
	v_lshlrev_b32_e32 v6, 20, v6
	v_lshl_add_u32 v8, v8, 23, 0x3c000000
	v_lshlrev_b32_sdwa v10, v10, v85 dst_sel:DWORD dst_unused:UNUSED_PAD src0_sel:DWORD src1_sel:WORD_1
	v_and_b32_e32 v10, 0x80000000, v10
	v_or3_b32 v6, v6, v10, v8
	v_mov_b32_e32 v21, v7
	v_mov_b32_e32 v20, v6
.LBB214_1615:                           ;   in Loop: Header=BB214_810 Depth=1
	s_or_b32 exec_lo, exec_lo, s16
.LBB214_1616:                           ;   in Loop: Header=BB214_810 Depth=1
	s_or_b32 exec_lo, exec_lo, s15
.LBB214_1617:                           ;   in Loop: Header=BB214_810 Depth=1
	s_or_b32 exec_lo, exec_lo, s13
	s_mov_b32 s13, exec_lo
	v_cmpx_lt_u32_e32 0xffffff, v85
	s_cbranch_execz .LBB214_1625
; %bb.1618:                             ;   in Loop: Header=BB214_810 Depth=1
	v_mov_b32_e32 v8, v7
	v_mov_b32_e32 v19, v9
	v_cmp_ne_u32_sdwa s4, v85, v81 src0_sel:BYTE_3 src1_sel:DWORD
	v_mov_b32_e32 v18, v8
	s_and_saveexec_b32 s15, s4
	s_cbranch_execz .LBB214_1624
; %bb.1619:                             ;   in Loop: Header=BB214_810 Depth=1
	v_mov_b32_e32 v10, v7
	v_mov_b32_e32 v19, v11
	v_bfe_u32 v97, v85, 24, 7
	s_mov_b32 s16, exec_lo
	v_mov_b32_e32 v18, v10
	v_cmpx_ne_u32_e32 0x7f, v97
	s_cbranch_execz .LBB214_1623
; %bb.1620:                             ;   in Loop: Header=BB214_810 Depth=1
	v_mov_b32_e32 v6, 7
	v_lshrrev_b32_e32 v8, 3, v97
	s_mov_b32 s17, exec_lo
	v_and_b32_sdwa v6, v85, v6 dst_sel:DWORD dst_unused:UNUSED_PAD src0_sel:BYTE_3 src1_sel:DWORD
	v_cmpx_gt_u32_e32 8, v97
; %bb.1621:                             ;   in Loop: Header=BB214_810 Depth=1
	v_ffbh_u32_e32 v8, v6
	v_min_u32_e32 v8, 32, v8
	v_subrev_nc_u32_e32 v10, 28, v8
	v_sub_nc_u32_e32 v8, 29, v8
	v_lshlrev_b64 v[18:19], v10, v[6:7]
	v_and_b32_e32 v6, 7, v18
; %bb.1622:                             ;   in Loop: Header=BB214_810 Depth=1
	s_or_b32 exec_lo, exec_lo, s17
	v_mov_b32_e32 v10, 24
	v_lshlrev_b32_e32 v6, 20, v6
	v_lshl_add_u32 v8, v8, 23, 0x3c000000
	v_mov_b32_e32 v18, v7
	v_lshlrev_b32_sdwa v10, v10, v85 dst_sel:DWORD dst_unused:UNUSED_PAD src0_sel:DWORD src1_sel:BYTE_3
	v_and_b32_e32 v10, 0x80000000, v10
	v_or3_b32 v19, v6, v10, v8
.LBB214_1623:                           ;   in Loop: Header=BB214_810 Depth=1
	s_or_b32 exec_lo, exec_lo, s16
.LBB214_1624:                           ;   in Loop: Header=BB214_810 Depth=1
	s_or_b32 exec_lo, exec_lo, s15
.LBB214_1625:                           ;   in Loop: Header=BB214_810 Depth=1
	s_or_b32 exec_lo, exec_lo, s13
	v_or_b32_e32 v5, v17, v5
	v_or_b32_e32 v4, v16, v4
	;; [unrolled: 1-line block ×4, first 2 shown]
	v_mul_f32_e32 v8, v96, v5
	v_mul_f32_e32 v6, v96, v4
	;; [unrolled: 1-line block ×4, first 2 shown]
	s_and_saveexec_b32 s4, vcc_lo
	s_cbranch_execz .LBB214_808
; %bb.1626:                             ;   in Loop: Header=BB214_810 Depth=1
	v_cmp_lt_i32_e32 vcc_lo, v101, v27
	v_cndmask_b32_e32 v6, 0, v6, vcc_lo
	v_cmp_lt_i32_e32 vcc_lo, v113, v27
	v_cndmask_b32_e32 v8, 0, v8, vcc_lo
	;; [unrolled: 2-line block ×4, first 2 shown]
	s_branch .LBB214_808
.LBB214_1627:
	s_or_b32 exec_lo, exec_lo, s11
	s_clause 0x17
	buffer_load_dword v53, off, s[0:3], s32 offset:444
	buffer_load_dword v54, off, s[0:3], s32 offset:452
	;; [unrolled: 1-line block ×24, first 2 shown]
.LBB214_1628:
	s_or_b32 exec_lo, exec_lo, s7
	s_waitcnt vmcnt(1)
	ds_bpermute_b32 v0, v28, v55
	ds_bpermute_b32 v2, v28, v26
	;; [unrolled: 1-line block ×4, first 2 shown]
	v_mov_b32_e32 v11, v5
	ds_bpermute_b32 v5, v28, v21
	ds_bpermute_b32 v7, v28, v10
	;; [unrolled: 1-line block ×5, first 2 shown]
	s_waitcnt vmcnt(0) lgkmcnt(0)
	s_waitcnt_vscnt null, 0x0
	s_barrier
	buffer_gl0_inv
	ds_bpermute_b32 v6, v28, v20
	ds_bpermute_b32 v1, v28, v64
	;; [unrolled: 1-line block ×5, first 2 shown]
	s_load_dword s4, s[8:9], 0x0
	s_mov_b32 s7, exec_lo
	v_add_f32_e32 v0, v55, v0
	v_add_f32_e32 v2, v26, v2
	ds_bpermute_b32 v26, v28, v31
	v_add_f32_e32 v4, v23, v4
	ds_bpermute_b32 v23, v28, v34
	v_add_f32_e32 v5, v21, v5
	v_add_f32_e32 v7, v10, v7
	ds_bpermute_b32 v10, v29, v0
	v_add_f32_e32 v8, v25, v8
	ds_bpermute_b32 v25, v28, v32
	ds_bpermute_b32 v15, v29, v5
	v_add_f32_e32 v3, v11, v3
	ds_bpermute_b32 v21, v28, v48
	v_add_f32_e32 v22, v35, v22
	s_waitcnt lgkmcnt(0)
	v_add_f32_e32 v6, v20, v6
	ds_bpermute_b32 v14, v29, v4
	ds_bpermute_b32 v13, v29, v3
	;; [unrolled: 1-line block ×3, first 2 shown]
	v_add_f32_e32 v1, v64, v1
	ds_bpermute_b32 v16, v29, v6
	ds_bpermute_b32 v12, v29, v2
	;; [unrolled: 1-line block ×3, first 2 shown]
	v_add_f32_e32 v26, v31, v26
	ds_bpermute_b32 v11, v29, v1
	v_add_f32_e32 v23, v34, v23
	v_add_f32_e32 v9, v52, v9
	;; [unrolled: 1-line block ×5, first 2 shown]
	ds_bpermute_b32 v18, v28, v98
	v_add_f32_e32 v5, v5, v15
	ds_bpermute_b32 v15, v28, v37
	v_add_f32_e32 v25, v32, v25
	ds_bpermute_b32 v32, v29, v23
	ds_bpermute_b32 v35, v29, v26
	s_waitcnt lgkmcnt(10)
	v_add_f32_e32 v4, v4, v14
	s_waitcnt lgkmcnt(9)
	v_add_f32_e32 v3, v3, v13
	v_add_f32_e32 v13, v48, v21
	s_waitcnt lgkmcnt(8)
	v_add_f32_e32 v7, v7, v17
	s_waitcnt lgkmcnt(7)
	v_add_f32_e32 v6, v6, v16
	ds_bpermute_b32 v14, v28, v36
	ds_bpermute_b32 v16, v28, v38
	;; [unrolled: 1-line block ×3, first 2 shown]
	s_waitcnt lgkmcnt(7)
	v_add_f32_e32 v1, v1, v11
	v_add_f32_e32 v2, v2, v12
	;; [unrolled: 1-line block ×4, first 2 shown]
	ds_bpermute_b32 v34, v29, v25
	ds_bpermute_b32 v27, v29, v8
	s_waitcnt lgkmcnt(8)
	v_add_f32_e32 v48, v98, v18
	ds_bpermute_b32 v19, v29, v9
	s_waitcnt lgkmcnt(8)
	v_add_f32_e32 v37, v37, v15
	;; [unrolled: 3-line block ×3, first 2 shown]
	s_waitcnt lgkmcnt(7)
	v_add_f32_e32 v18, v26, v35
	s_clause 0x1
	buffer_load_dword v23, off, s[0:3], s32 offset:796
	buffer_load_dword v26, off, s[0:3], s32 offset:844
	ds_bpermute_b32 v21, v29, v11
	ds_bpermute_b32 v28, v29, v12
	;; [unrolled: 1-line block ×3, first 2 shown]
	s_waitcnt lgkmcnt(9)
	v_add_f32_e32 v36, v36, v14
	s_waitcnt lgkmcnt(8)
	v_add_f32_e32 v38, v38, v16
	;; [unrolled: 2-line block ×3, first 2 shown]
	ds_bpermute_b32 v31, v29, v22
	ds_bpermute_b32 v33, v29, v24
	;; [unrolled: 1-line block ×7, first 2 shown]
	s_waitcnt lgkmcnt(13)
	v_add_f32_e32 v17, v25, v34
	v_and_b32_e32 v25, 28, v53
	s_waitcnt lgkmcnt(12)
	v_add_f32_e32 v8, v8, v27
	s_waitcnt lgkmcnt(11)
	v_add_f32_e32 v9, v9, v19
	;; [unrolled: 2-line block ×3, first 2 shown]
	v_add_nc_u32_e32 v25, s4, v25
	s_waitcnt lgkmcnt(9)
	v_add_f32_e32 v11, v11, v21
	s_waitcnt lgkmcnt(8)
	v_add_f32_e32 v12, v12, v28
	;; [unrolled: 2-line block ×9, first 2 shown]
	v_lshrrev_b32_e32 v24, 2, v53
	s_waitcnt vmcnt(1)
	v_and_b32_e32 v27, 0x3c3, v23
	s_waitcnt lgkmcnt(0)
	v_add_f32_e32 v23, v48, v29
	s_waitcnt vmcnt(0)
	v_mul_u32_u24_e32 v26, 0x300, v26
	v_cmpx_eq_u32_e32 64, v27
	s_cbranch_execz .LBB214_1630
; %bb.1629:
	v_add_nc_u32_e32 v27, v25, v26
	v_add_nc_u32_e32 v28, 0xfffffa00, v27
	;; [unrolled: 1-line block ×7, first 2 shown]
	ds_write_b32 v28, v0
	ds_write_b32 v29, v1
	;; [unrolled: 1-line block ×4, first 2 shown]
	v_add_nc_u32_e32 v28, 0xfffffac0, v27
	v_add_nc_u32_e32 v29, 0xfffffae0, v27
	v_add_nc_u32_e32 v30, 0xfffffb00, v27
	ds_write_b32 v32, v4
	ds_write_b32 v33, v5
	ds_write_b32 v28, v6
	ds_write_b32 v29, v7
	ds_write_b32 v30, v8
	v_add_nc_u32_e32 v28, 0xfffffb20, v27
	v_add_nc_u32_e32 v29, 0xfffffb40, v27
	v_add_nc_u32_e32 v30, 0xfffffb60, v27
	v_add_nc_u32_e32 v31, 0xfffffb80, v27
	v_add_nc_u32_e32 v32, 0xfffffba0, v27
	ds_write_b32 v28, v9
	ds_write_b32 v29, v10
	ds_write_b32 v30, v11
	ds_write_b32 v31, v12
	ds_write_b32 v32, v13
	v_add_nc_u32_e32 v28, 0xfffffbc0, v27
	v_add_nc_u32_e32 v29, 0xfffffbe0, v27
	;; [unrolled: 10-line block ×3, first 2 shown]
	v_add_nc_u32_e32 v30, 0xfffffca0, v27
	v_add_nc_u32_e32 v31, 0xfffffcc0, v27
	;; [unrolled: 1-line block ×3, first 2 shown]
	ds_write_b32 v28, v19
	ds_write_b32 v29, v20
	;; [unrolled: 1-line block ×5, first 2 shown]
.LBB214_1630:
	s_or_b32 exec_lo, exec_lo, s7
	v_lshlrev_b32_e32 v24, 2, v24
	s_mov_b32 s7, exec_lo
	v_cmp_eq_u32_e32 vcc_lo, 0, v54
	v_add3_u32 v24, s4, v26, v24
	buffer_load_dword v26, off, s[0:3], s32 offset:796 ; 4-byte Folded Reload
	s_waitcnt vmcnt(0) lgkmcnt(0)
	s_barrier
	buffer_gl0_inv
	v_cmpx_gt_u32_e32 64, v26
	s_cbranch_execz .LBB214_1657
; %bb.1631:
	s_and_saveexec_b32 s4, vcc_lo
	s_cbranch_execnz .LBB214_1689
; %bb.1632:
	s_or_b32 exec_lo, exec_lo, s4
	s_and_saveexec_b32 s4, vcc_lo
	s_cbranch_execnz .LBB214_1690
.LBB214_1633:
	s_or_b32 exec_lo, exec_lo, s4
	s_and_saveexec_b32 s4, vcc_lo
	s_cbranch_execnz .LBB214_1691
.LBB214_1634:
	s_or_b32 exec_lo, exec_lo, s4
	s_and_saveexec_b32 s4, vcc_lo
	s_cbranch_execnz .LBB214_1692
.LBB214_1635:
	s_or_b32 exec_lo, exec_lo, s4
	s_and_saveexec_b32 s4, vcc_lo
	s_cbranch_execnz .LBB214_1693
.LBB214_1636:
	s_or_b32 exec_lo, exec_lo, s4
	s_and_saveexec_b32 s4, vcc_lo
	s_cbranch_execnz .LBB214_1694
.LBB214_1637:
	s_or_b32 exec_lo, exec_lo, s4
	s_and_saveexec_b32 s4, vcc_lo
	s_cbranch_execnz .LBB214_1695
.LBB214_1638:
	s_or_b32 exec_lo, exec_lo, s4
	s_and_saveexec_b32 s4, vcc_lo
	s_cbranch_execnz .LBB214_1696
.LBB214_1639:
	s_or_b32 exec_lo, exec_lo, s4
	s_and_saveexec_b32 s4, vcc_lo
	s_cbranch_execnz .LBB214_1697
.LBB214_1640:
	s_or_b32 exec_lo, exec_lo, s4
	s_and_saveexec_b32 s4, vcc_lo
	s_cbranch_execnz .LBB214_1698
.LBB214_1641:
	s_or_b32 exec_lo, exec_lo, s4
	s_and_saveexec_b32 s4, vcc_lo
	s_cbranch_execnz .LBB214_1699
.LBB214_1642:
	s_or_b32 exec_lo, exec_lo, s4
	s_and_saveexec_b32 s4, vcc_lo
	s_cbranch_execnz .LBB214_1700
.LBB214_1643:
	s_or_b32 exec_lo, exec_lo, s4
	s_and_saveexec_b32 s4, vcc_lo
	s_cbranch_execnz .LBB214_1701
.LBB214_1644:
	s_or_b32 exec_lo, exec_lo, s4
	s_and_saveexec_b32 s4, vcc_lo
	s_cbranch_execnz .LBB214_1702
.LBB214_1645:
	s_or_b32 exec_lo, exec_lo, s4
	s_and_saveexec_b32 s4, vcc_lo
	s_cbranch_execnz .LBB214_1703
.LBB214_1646:
	s_or_b32 exec_lo, exec_lo, s4
	s_and_saveexec_b32 s4, vcc_lo
	s_cbranch_execnz .LBB214_1704
.LBB214_1647:
	s_or_b32 exec_lo, exec_lo, s4
	s_and_saveexec_b32 s4, vcc_lo
	s_cbranch_execnz .LBB214_1705
.LBB214_1648:
	s_or_b32 exec_lo, exec_lo, s4
	s_and_saveexec_b32 s4, vcc_lo
	s_cbranch_execnz .LBB214_1706
.LBB214_1649:
	s_or_b32 exec_lo, exec_lo, s4
	s_and_saveexec_b32 s4, vcc_lo
	s_cbranch_execnz .LBB214_1707
.LBB214_1650:
	s_or_b32 exec_lo, exec_lo, s4
	s_and_saveexec_b32 s4, vcc_lo
	s_cbranch_execnz .LBB214_1708
.LBB214_1651:
	s_or_b32 exec_lo, exec_lo, s4
	s_and_saveexec_b32 s4, vcc_lo
	s_cbranch_execnz .LBB214_1709
.LBB214_1652:
	s_or_b32 exec_lo, exec_lo, s4
	s_and_saveexec_b32 s4, vcc_lo
	s_cbranch_execnz .LBB214_1710
.LBB214_1653:
	s_or_b32 exec_lo, exec_lo, s4
	s_and_saveexec_b32 s4, vcc_lo
	s_cbranch_execnz .LBB214_1711
.LBB214_1654:
	s_or_b32 exec_lo, exec_lo, s4
	s_and_saveexec_b32 s4, vcc_lo
	s_cbranch_execz .LBB214_1656
.LBB214_1655:
	ds_read_b32 v26, v24 offset:736
	s_waitcnt lgkmcnt(0)
	v_add_f32_e32 v23, v26, v23
.LBB214_1656:
	s_or_b32 exec_lo, exec_lo, s4
.LBB214_1657:
	s_or_b32 exec_lo, exec_lo, s7
	buffer_load_dword v26, off, s[0:3], s32 offset:796 ; 4-byte Folded Reload
	s_mov_b32 s7, exec_lo
	s_waitcnt vmcnt(0)
	s_barrier
	buffer_gl0_inv
	v_and_b32_e32 v26, 0x3e3, v26
	v_cmpx_eq_u32_e32 32, v26
	s_cbranch_execz .LBB214_1659
; %bb.1658:
	ds_write2_b32 v25, v0, v1 offset1:8
	ds_write2_b32 v25, v2, v3 offset0:16 offset1:24
	ds_write2_b32 v25, v4, v5 offset0:32 offset1:40
	;; [unrolled: 1-line block ×11, first 2 shown]
.LBB214_1659:
	s_or_b32 exec_lo, exec_lo, s7
	buffer_load_dword v25, off, s[0:3], s32 offset:796 ; 4-byte Folded Reload
	s_mov_b32 s7, exec_lo
	s_waitcnt vmcnt(0) lgkmcnt(0)
	s_barrier
	buffer_gl0_inv
	v_cmpx_gt_u32_e32 32, v25
	s_cbranch_execz .LBB214_1686
; %bb.1660:
	s_and_saveexec_b32 s4, vcc_lo
	s_cbranch_execnz .LBB214_1712
; %bb.1661:
	s_or_b32 exec_lo, exec_lo, s4
	s_and_saveexec_b32 s4, vcc_lo
	s_cbranch_execnz .LBB214_1713
.LBB214_1662:
	s_or_b32 exec_lo, exec_lo, s4
	s_and_saveexec_b32 s4, vcc_lo
	s_cbranch_execnz .LBB214_1714
.LBB214_1663:
	s_or_b32 exec_lo, exec_lo, s4
	s_and_saveexec_b32 s4, vcc_lo
	s_cbranch_execnz .LBB214_1715
.LBB214_1664:
	s_or_b32 exec_lo, exec_lo, s4
	s_and_saveexec_b32 s4, vcc_lo
	s_cbranch_execnz .LBB214_1716
.LBB214_1665:
	s_or_b32 exec_lo, exec_lo, s4
	s_and_saveexec_b32 s4, vcc_lo
	s_cbranch_execnz .LBB214_1717
.LBB214_1666:
	s_or_b32 exec_lo, exec_lo, s4
	s_and_saveexec_b32 s4, vcc_lo
	s_cbranch_execnz .LBB214_1718
.LBB214_1667:
	s_or_b32 exec_lo, exec_lo, s4
	s_and_saveexec_b32 s4, vcc_lo
	s_cbranch_execnz .LBB214_1719
.LBB214_1668:
	s_or_b32 exec_lo, exec_lo, s4
	s_and_saveexec_b32 s4, vcc_lo
	s_cbranch_execnz .LBB214_1720
.LBB214_1669:
	s_or_b32 exec_lo, exec_lo, s4
	s_and_saveexec_b32 s4, vcc_lo
	s_cbranch_execnz .LBB214_1721
.LBB214_1670:
	s_or_b32 exec_lo, exec_lo, s4
	s_and_saveexec_b32 s4, vcc_lo
	s_cbranch_execnz .LBB214_1722
.LBB214_1671:
	s_or_b32 exec_lo, exec_lo, s4
	s_and_saveexec_b32 s4, vcc_lo
	s_cbranch_execnz .LBB214_1723
.LBB214_1672:
	s_or_b32 exec_lo, exec_lo, s4
	s_and_saveexec_b32 s4, vcc_lo
	s_cbranch_execnz .LBB214_1724
.LBB214_1673:
	s_or_b32 exec_lo, exec_lo, s4
	s_and_saveexec_b32 s4, vcc_lo
	s_cbranch_execnz .LBB214_1725
.LBB214_1674:
	s_or_b32 exec_lo, exec_lo, s4
	s_and_saveexec_b32 s4, vcc_lo
	s_cbranch_execnz .LBB214_1726
.LBB214_1675:
	s_or_b32 exec_lo, exec_lo, s4
	s_and_saveexec_b32 s4, vcc_lo
	s_cbranch_execnz .LBB214_1727
.LBB214_1676:
	s_or_b32 exec_lo, exec_lo, s4
	s_and_saveexec_b32 s4, vcc_lo
	s_cbranch_execnz .LBB214_1728
.LBB214_1677:
	s_or_b32 exec_lo, exec_lo, s4
	s_and_saveexec_b32 s4, vcc_lo
	s_cbranch_execnz .LBB214_1729
.LBB214_1678:
	s_or_b32 exec_lo, exec_lo, s4
	s_and_saveexec_b32 s4, vcc_lo
	s_cbranch_execnz .LBB214_1730
.LBB214_1679:
	s_or_b32 exec_lo, exec_lo, s4
	s_and_saveexec_b32 s4, vcc_lo
	s_cbranch_execnz .LBB214_1731
.LBB214_1680:
	s_or_b32 exec_lo, exec_lo, s4
	s_and_saveexec_b32 s4, vcc_lo
	s_cbranch_execnz .LBB214_1732
.LBB214_1681:
	s_or_b32 exec_lo, exec_lo, s4
	s_and_saveexec_b32 s4, vcc_lo
	s_cbranch_execnz .LBB214_1733
.LBB214_1682:
	s_or_b32 exec_lo, exec_lo, s4
	s_and_saveexec_b32 s4, vcc_lo
	s_cbranch_execnz .LBB214_1734
.LBB214_1683:
	s_or_b32 exec_lo, exec_lo, s4
	s_and_saveexec_b32 s4, vcc_lo
	s_cbranch_execz .LBB214_1685
.LBB214_1684:
	ds_read_b32 v24, v24 offset:736
	s_waitcnt lgkmcnt(0)
	v_add_f32_e32 v23, v24, v23
.LBB214_1685:
	s_or_b32 exec_lo, exec_lo, s4
.LBB214_1686:
	s_or_b32 exec_lo, exec_lo, s7
	v_cmp_eq_u32_e32 vcc_lo, 0, v26
	s_barrier
	buffer_gl0_inv
	s_and_b32 exec_lo, exec_lo, vcc_lo
	s_cbranch_execz .LBB214_1688
; %bb.1687:
	s_clause 0x2
	buffer_load_dword v24, off, s[0:3], s32 offset:852
	buffer_load_dword v25, off, s[0:3], s32 offset:848
	buffer_load_dword v26, off, s[0:3], s32 offset:796
	s_mulk_i32 s6, 0xc0
	s_mul_i32 s4, s10, s5
	s_ashr_i32 s7, s6, 31
	s_ashr_i32 s5, s4, 31
	s_lshl_b64 s[6:7], s[6:7], 2
	s_lshl_b64 s[4:5], s[4:5], 2
	s_waitcnt vmcnt(2)
	v_add_co_u32 v24, vcc_lo, v24, s6
	s_waitcnt vmcnt(1)
	v_add_co_ci_u32_e64 v25, null, s7, v25, vcc_lo
	s_mul_i32 s6, s14, 0xc0
	v_add_co_u32 v24, vcc_lo, v24, s4
	s_ashr_i32 s7, s6, 31
	v_add_co_ci_u32_e64 v25, null, s5, v25, vcc_lo
	s_lshl_b64 s[4:5], s[6:7], 2
	v_add_co_u32 v24, vcc_lo, v24, s4
	v_add_co_ci_u32_e64 v25, null, s5, v25, vcc_lo
	s_waitcnt vmcnt(0)
	v_add_co_u32 v24, vcc_lo, v24, v26
	v_add_co_ci_u32_e64 v25, null, 0, v25, vcc_lo
	flat_store_dword v[24:25], v0
	flat_store_dword v[24:25], v1 offset:32
	flat_store_dword v[24:25], v2 offset:64
	;; [unrolled: 1-line block ×23, first 2 shown]
.LBB214_1688:
	s_or_b32 exec_lo, exec_lo, s19
	s_clause 0x2f
	buffer_load_dword v127, off, s[0:3], s32 offset:8
	buffer_load_dword v126, off, s[0:3], s32 offset:12
	;; [unrolled: 1-line block ×48, first 2 shown]
	s_waitcnt vmcnt(0) lgkmcnt(0)
	s_setpc_b64 s[30:31]
.LBB214_1689:
	ds_read_b32 v26, v24
	s_waitcnt lgkmcnt(0)
	v_add_f32_e32 v0, v26, v0
	s_or_b32 exec_lo, exec_lo, s4
	s_and_saveexec_b32 s4, vcc_lo
	s_cbranch_execz .LBB214_1633
.LBB214_1690:
	ds_read_b32 v26, v24 offset:32
	s_waitcnt lgkmcnt(0)
	v_add_f32_e32 v1, v26, v1
	s_or_b32 exec_lo, exec_lo, s4
	s_and_saveexec_b32 s4, vcc_lo
	s_cbranch_execz .LBB214_1634
.LBB214_1691:
	ds_read_b32 v26, v24 offset:64
	s_waitcnt lgkmcnt(0)
	v_add_f32_e32 v2, v26, v2
	s_or_b32 exec_lo, exec_lo, s4
	s_and_saveexec_b32 s4, vcc_lo
	s_cbranch_execz .LBB214_1635
.LBB214_1692:
	ds_read_b32 v26, v24 offset:96
	s_waitcnt lgkmcnt(0)
	v_add_f32_e32 v3, v26, v3
	s_or_b32 exec_lo, exec_lo, s4
	s_and_saveexec_b32 s4, vcc_lo
	s_cbranch_execz .LBB214_1636
.LBB214_1693:
	ds_read_b32 v26, v24 offset:128
	s_waitcnt lgkmcnt(0)
	v_add_f32_e32 v4, v26, v4
	s_or_b32 exec_lo, exec_lo, s4
	s_and_saveexec_b32 s4, vcc_lo
	s_cbranch_execz .LBB214_1637
.LBB214_1694:
	ds_read_b32 v26, v24 offset:160
	s_waitcnt lgkmcnt(0)
	v_add_f32_e32 v5, v26, v5
	s_or_b32 exec_lo, exec_lo, s4
	s_and_saveexec_b32 s4, vcc_lo
	s_cbranch_execz .LBB214_1638
.LBB214_1695:
	ds_read_b32 v26, v24 offset:192
	s_waitcnt lgkmcnt(0)
	v_add_f32_e32 v6, v26, v6
	s_or_b32 exec_lo, exec_lo, s4
	s_and_saveexec_b32 s4, vcc_lo
	s_cbranch_execz .LBB214_1639
.LBB214_1696:
	ds_read_b32 v26, v24 offset:224
	s_waitcnt lgkmcnt(0)
	v_add_f32_e32 v7, v26, v7
	s_or_b32 exec_lo, exec_lo, s4
	s_and_saveexec_b32 s4, vcc_lo
	s_cbranch_execz .LBB214_1640
.LBB214_1697:
	ds_read_b32 v26, v24 offset:256
	s_waitcnt lgkmcnt(0)
	v_add_f32_e32 v8, v26, v8
	s_or_b32 exec_lo, exec_lo, s4
	s_and_saveexec_b32 s4, vcc_lo
	s_cbranch_execz .LBB214_1641
.LBB214_1698:
	ds_read_b32 v26, v24 offset:288
	s_waitcnt lgkmcnt(0)
	v_add_f32_e32 v9, v26, v9
	s_or_b32 exec_lo, exec_lo, s4
	s_and_saveexec_b32 s4, vcc_lo
	s_cbranch_execz .LBB214_1642
.LBB214_1699:
	ds_read_b32 v26, v24 offset:320
	s_waitcnt lgkmcnt(0)
	v_add_f32_e32 v10, v26, v10
	s_or_b32 exec_lo, exec_lo, s4
	s_and_saveexec_b32 s4, vcc_lo
	s_cbranch_execz .LBB214_1643
.LBB214_1700:
	ds_read_b32 v26, v24 offset:352
	s_waitcnt lgkmcnt(0)
	v_add_f32_e32 v11, v26, v11
	s_or_b32 exec_lo, exec_lo, s4
	s_and_saveexec_b32 s4, vcc_lo
	s_cbranch_execz .LBB214_1644
.LBB214_1701:
	ds_read_b32 v26, v24 offset:384
	s_waitcnt lgkmcnt(0)
	v_add_f32_e32 v12, v26, v12
	s_or_b32 exec_lo, exec_lo, s4
	s_and_saveexec_b32 s4, vcc_lo
	s_cbranch_execz .LBB214_1645
.LBB214_1702:
	ds_read_b32 v26, v24 offset:416
	s_waitcnt lgkmcnt(0)
	v_add_f32_e32 v13, v26, v13
	s_or_b32 exec_lo, exec_lo, s4
	s_and_saveexec_b32 s4, vcc_lo
	s_cbranch_execz .LBB214_1646
.LBB214_1703:
	ds_read_b32 v26, v24 offset:448
	s_waitcnt lgkmcnt(0)
	v_add_f32_e32 v14, v26, v14
	s_or_b32 exec_lo, exec_lo, s4
	s_and_saveexec_b32 s4, vcc_lo
	s_cbranch_execz .LBB214_1647
.LBB214_1704:
	ds_read_b32 v26, v24 offset:480
	s_waitcnt lgkmcnt(0)
	v_add_f32_e32 v15, v26, v15
	s_or_b32 exec_lo, exec_lo, s4
	s_and_saveexec_b32 s4, vcc_lo
	s_cbranch_execz .LBB214_1648
.LBB214_1705:
	ds_read_b32 v26, v24 offset:512
	s_waitcnt lgkmcnt(0)
	v_add_f32_e32 v16, v26, v16
	s_or_b32 exec_lo, exec_lo, s4
	s_and_saveexec_b32 s4, vcc_lo
	s_cbranch_execz .LBB214_1649
.LBB214_1706:
	ds_read_b32 v26, v24 offset:544
	s_waitcnt lgkmcnt(0)
	v_add_f32_e32 v17, v26, v17
	s_or_b32 exec_lo, exec_lo, s4
	s_and_saveexec_b32 s4, vcc_lo
	s_cbranch_execz .LBB214_1650
.LBB214_1707:
	ds_read_b32 v26, v24 offset:576
	s_waitcnt lgkmcnt(0)
	v_add_f32_e32 v18, v26, v18
	s_or_b32 exec_lo, exec_lo, s4
	s_and_saveexec_b32 s4, vcc_lo
	s_cbranch_execz .LBB214_1651
.LBB214_1708:
	ds_read_b32 v26, v24 offset:608
	s_waitcnt lgkmcnt(0)
	v_add_f32_e32 v19, v26, v19
	s_or_b32 exec_lo, exec_lo, s4
	s_and_saveexec_b32 s4, vcc_lo
	s_cbranch_execz .LBB214_1652
.LBB214_1709:
	ds_read_b32 v26, v24 offset:640
	s_waitcnt lgkmcnt(0)
	v_add_f32_e32 v20, v26, v20
	s_or_b32 exec_lo, exec_lo, s4
	s_and_saveexec_b32 s4, vcc_lo
	s_cbranch_execz .LBB214_1653
.LBB214_1710:
	ds_read_b32 v26, v24 offset:672
	s_waitcnt lgkmcnt(0)
	v_add_f32_e32 v21, v26, v21
	s_or_b32 exec_lo, exec_lo, s4
	s_and_saveexec_b32 s4, vcc_lo
	s_cbranch_execz .LBB214_1654
.LBB214_1711:
	ds_read_b32 v26, v24 offset:704
	s_waitcnt lgkmcnt(0)
	v_add_f32_e32 v22, v26, v22
	s_or_b32 exec_lo, exec_lo, s4
	s_and_saveexec_b32 s4, vcc_lo
	s_cbranch_execnz .LBB214_1655
	s_branch .LBB214_1656
.LBB214_1712:
	ds_read_b32 v25, v24
	s_waitcnt lgkmcnt(0)
	v_add_f32_e32 v0, v25, v0
	s_or_b32 exec_lo, exec_lo, s4
	s_and_saveexec_b32 s4, vcc_lo
	s_cbranch_execz .LBB214_1662
.LBB214_1713:
	ds_read_b32 v25, v24 offset:32
	s_waitcnt lgkmcnt(0)
	v_add_f32_e32 v1, v25, v1
	s_or_b32 exec_lo, exec_lo, s4
	s_and_saveexec_b32 s4, vcc_lo
	s_cbranch_execz .LBB214_1663
.LBB214_1714:
	ds_read_b32 v25, v24 offset:64
	s_waitcnt lgkmcnt(0)
	v_add_f32_e32 v2, v25, v2
	s_or_b32 exec_lo, exec_lo, s4
	s_and_saveexec_b32 s4, vcc_lo
	s_cbranch_execz .LBB214_1664
.LBB214_1715:
	ds_read_b32 v25, v24 offset:96
	s_waitcnt lgkmcnt(0)
	v_add_f32_e32 v3, v25, v3
	s_or_b32 exec_lo, exec_lo, s4
	s_and_saveexec_b32 s4, vcc_lo
	s_cbranch_execz .LBB214_1665
.LBB214_1716:
	ds_read_b32 v25, v24 offset:128
	s_waitcnt lgkmcnt(0)
	v_add_f32_e32 v4, v25, v4
	s_or_b32 exec_lo, exec_lo, s4
	s_and_saveexec_b32 s4, vcc_lo
	s_cbranch_execz .LBB214_1666
.LBB214_1717:
	ds_read_b32 v25, v24 offset:160
	s_waitcnt lgkmcnt(0)
	v_add_f32_e32 v5, v25, v5
	s_or_b32 exec_lo, exec_lo, s4
	s_and_saveexec_b32 s4, vcc_lo
	s_cbranch_execz .LBB214_1667
.LBB214_1718:
	ds_read_b32 v25, v24 offset:192
	s_waitcnt lgkmcnt(0)
	v_add_f32_e32 v6, v25, v6
	s_or_b32 exec_lo, exec_lo, s4
	s_and_saveexec_b32 s4, vcc_lo
	s_cbranch_execz .LBB214_1668
.LBB214_1719:
	ds_read_b32 v25, v24 offset:224
	s_waitcnt lgkmcnt(0)
	v_add_f32_e32 v7, v25, v7
	s_or_b32 exec_lo, exec_lo, s4
	s_and_saveexec_b32 s4, vcc_lo
	s_cbranch_execz .LBB214_1669
.LBB214_1720:
	ds_read_b32 v25, v24 offset:256
	s_waitcnt lgkmcnt(0)
	v_add_f32_e32 v8, v25, v8
	s_or_b32 exec_lo, exec_lo, s4
	s_and_saveexec_b32 s4, vcc_lo
	s_cbranch_execz .LBB214_1670
.LBB214_1721:
	ds_read_b32 v25, v24 offset:288
	s_waitcnt lgkmcnt(0)
	v_add_f32_e32 v9, v25, v9
	s_or_b32 exec_lo, exec_lo, s4
	s_and_saveexec_b32 s4, vcc_lo
	s_cbranch_execz .LBB214_1671
.LBB214_1722:
	ds_read_b32 v25, v24 offset:320
	s_waitcnt lgkmcnt(0)
	v_add_f32_e32 v10, v25, v10
	s_or_b32 exec_lo, exec_lo, s4
	s_and_saveexec_b32 s4, vcc_lo
	s_cbranch_execz .LBB214_1672
.LBB214_1723:
	ds_read_b32 v25, v24 offset:352
	s_waitcnt lgkmcnt(0)
	v_add_f32_e32 v11, v25, v11
	s_or_b32 exec_lo, exec_lo, s4
	s_and_saveexec_b32 s4, vcc_lo
	s_cbranch_execz .LBB214_1673
.LBB214_1724:
	ds_read_b32 v25, v24 offset:384
	s_waitcnt lgkmcnt(0)
	v_add_f32_e32 v12, v25, v12
	s_or_b32 exec_lo, exec_lo, s4
	s_and_saveexec_b32 s4, vcc_lo
	s_cbranch_execz .LBB214_1674
.LBB214_1725:
	ds_read_b32 v25, v24 offset:416
	s_waitcnt lgkmcnt(0)
	v_add_f32_e32 v13, v25, v13
	s_or_b32 exec_lo, exec_lo, s4
	s_and_saveexec_b32 s4, vcc_lo
	s_cbranch_execz .LBB214_1675
.LBB214_1726:
	ds_read_b32 v25, v24 offset:448
	s_waitcnt lgkmcnt(0)
	v_add_f32_e32 v14, v25, v14
	s_or_b32 exec_lo, exec_lo, s4
	s_and_saveexec_b32 s4, vcc_lo
	s_cbranch_execz .LBB214_1676
.LBB214_1727:
	ds_read_b32 v25, v24 offset:480
	s_waitcnt lgkmcnt(0)
	v_add_f32_e32 v15, v25, v15
	s_or_b32 exec_lo, exec_lo, s4
	s_and_saveexec_b32 s4, vcc_lo
	s_cbranch_execz .LBB214_1677
.LBB214_1728:
	ds_read_b32 v25, v24 offset:512
	s_waitcnt lgkmcnt(0)
	v_add_f32_e32 v16, v25, v16
	s_or_b32 exec_lo, exec_lo, s4
	s_and_saveexec_b32 s4, vcc_lo
	s_cbranch_execz .LBB214_1678
.LBB214_1729:
	ds_read_b32 v25, v24 offset:544
	s_waitcnt lgkmcnt(0)
	v_add_f32_e32 v17, v25, v17
	s_or_b32 exec_lo, exec_lo, s4
	s_and_saveexec_b32 s4, vcc_lo
	s_cbranch_execz .LBB214_1679
.LBB214_1730:
	ds_read_b32 v25, v24 offset:576
	s_waitcnt lgkmcnt(0)
	v_add_f32_e32 v18, v25, v18
	s_or_b32 exec_lo, exec_lo, s4
	s_and_saveexec_b32 s4, vcc_lo
	s_cbranch_execz .LBB214_1680
.LBB214_1731:
	ds_read_b32 v25, v24 offset:608
	s_waitcnt lgkmcnt(0)
	v_add_f32_e32 v19, v25, v19
	s_or_b32 exec_lo, exec_lo, s4
	s_and_saveexec_b32 s4, vcc_lo
	s_cbranch_execz .LBB214_1681
.LBB214_1732:
	ds_read_b32 v25, v24 offset:640
	s_waitcnt lgkmcnt(0)
	v_add_f32_e32 v20, v25, v20
	s_or_b32 exec_lo, exec_lo, s4
	s_and_saveexec_b32 s4, vcc_lo
	s_cbranch_execz .LBB214_1682
.LBB214_1733:
	ds_read_b32 v25, v24 offset:672
	s_waitcnt lgkmcnt(0)
	v_add_f32_e32 v21, v25, v21
	s_or_b32 exec_lo, exec_lo, s4
	s_and_saveexec_b32 s4, vcc_lo
	s_cbranch_execz .LBB214_1683
.LBB214_1734:
	ds_read_b32 v25, v24 offset:704
	s_waitcnt lgkmcnt(0)
	v_add_f32_e32 v22, v25, v22
	s_or_b32 exec_lo, exec_lo, s4
	s_and_saveexec_b32 s4, vcc_lo
	s_cbranch_execnz .LBB214_1684
	s_branch .LBB214_1685
.Lfunc_end214:
	.size	_ZN4vllm22paged_attention_kernelIfhLi192ELi16ELi128ELNS_18Fp8KVCacheDataTypeE1ELb1ELi512EEEvPfS2_PT_PKS3_PKT0_S9_ifPKiSB_iPKfiiiSD_SD_iiiii, .Lfunc_end214-_ZN4vllm22paged_attention_kernelIfhLi192ELi16ELi128ELNS_18Fp8KVCacheDataTypeE1ELb1ELi512EEEvPfS2_PT_PKS3_PKT0_S9_ifPKiSB_iPKfiiiSD_SD_iiiii
                                        ; -- End function
	.set .L_ZN4vllm22paged_attention_kernelIfhLi192ELi16ELi128ELNS_18Fp8KVCacheDataTypeE1ELb1ELi512EEEvPfS2_PT_PKS3_PKT0_S9_ifPKiSB_iPKfiiiSD_SD_iiiii.num_vgpr, 128
	.set .L_ZN4vllm22paged_attention_kernelIfhLi192ELi16ELi128ELNS_18Fp8KVCacheDataTypeE1ELb1ELi512EEEvPfS2_PT_PKS3_PKT0_S9_ifPKiSB_iPKfiiiSD_SD_iiiii.num_agpr, 0
	.set .L_ZN4vllm22paged_attention_kernelIfhLi192ELi16ELi128ELNS_18Fp8KVCacheDataTypeE1ELb1ELi512EEEvPfS2_PT_PKS3_PKT0_S9_ifPKiSB_iPKfiiiSD_SD_iiiii.numbered_sgpr, 33
	.set .L_ZN4vllm22paged_attention_kernelIfhLi192ELi16ELi128ELNS_18Fp8KVCacheDataTypeE1ELb1ELi512EEEvPfS2_PT_PKS3_PKT0_S9_ifPKiSB_iPKfiiiSD_SD_iiiii.num_named_barrier, 0
	.set .L_ZN4vllm22paged_attention_kernelIfhLi192ELi16ELi128ELNS_18Fp8KVCacheDataTypeE1ELb1ELi512EEEvPfS2_PT_PKS3_PKT0_S9_ifPKiSB_iPKfiiiSD_SD_iiiii.private_seg_size, 924
	.set .L_ZN4vllm22paged_attention_kernelIfhLi192ELi16ELi128ELNS_18Fp8KVCacheDataTypeE1ELb1ELi512EEEvPfS2_PT_PKS3_PKT0_S9_ifPKiSB_iPKfiiiSD_SD_iiiii.uses_vcc, 1
	.set .L_ZN4vllm22paged_attention_kernelIfhLi192ELi16ELi128ELNS_18Fp8KVCacheDataTypeE1ELb1ELi512EEEvPfS2_PT_PKS3_PKT0_S9_ifPKiSB_iPKfiiiSD_SD_iiiii.uses_flat_scratch, 0
	.set .L_ZN4vllm22paged_attention_kernelIfhLi192ELi16ELi128ELNS_18Fp8KVCacheDataTypeE1ELb1ELi512EEEvPfS2_PT_PKS3_PKT0_S9_ifPKiSB_iPKfiiiSD_SD_iiiii.has_dyn_sized_stack, 0
	.set .L_ZN4vllm22paged_attention_kernelIfhLi192ELi16ELi128ELNS_18Fp8KVCacheDataTypeE1ELb1ELi512EEEvPfS2_PT_PKS3_PKT0_S9_ifPKiSB_iPKfiiiSD_SD_iiiii.has_recursion, 0
	.set .L_ZN4vllm22paged_attention_kernelIfhLi192ELi16ELi128ELNS_18Fp8KVCacheDataTypeE1ELb1ELi512EEEvPfS2_PT_PKS3_PKT0_S9_ifPKiSB_iPKfiiiSD_SD_iiiii.has_indirect_call, 0
	.section	.AMDGPU.csdata,"",@progbits
; Function info:
; codeLenInByte = 58880
; TotalNumSgprs: 35
; NumVgprs: 128
; ScratchSize: 924
; MemoryBound: 0
	.section	.text._ZN4vllm25paged_attention_v2_kernelIfhLi192ELi16ELi128ELNS_18Fp8KVCacheDataTypeE1ELb1ELi512EEEvPfS2_PT_PKS3_PKT0_S9_ifPKiSB_iPKfiiiSD_SD_iiiii,"axG",@progbits,_ZN4vllm25paged_attention_v2_kernelIfhLi192ELi16ELi128ELNS_18Fp8KVCacheDataTypeE1ELb1ELi512EEEvPfS2_PT_PKS3_PKT0_S9_ifPKiSB_iPKfiiiSD_SD_iiiii,comdat
	.protected	_ZN4vllm25paged_attention_v2_kernelIfhLi192ELi16ELi128ELNS_18Fp8KVCacheDataTypeE1ELb1ELi512EEEvPfS2_PT_PKS3_PKT0_S9_ifPKiSB_iPKfiiiSD_SD_iiiii ; -- Begin function _ZN4vllm25paged_attention_v2_kernelIfhLi192ELi16ELi128ELNS_18Fp8KVCacheDataTypeE1ELb1ELi512EEEvPfS2_PT_PKS3_PKT0_S9_ifPKiSB_iPKfiiiSD_SD_iiiii
	.globl	_ZN4vllm25paged_attention_v2_kernelIfhLi192ELi16ELi128ELNS_18Fp8KVCacheDataTypeE1ELb1ELi512EEEvPfS2_PT_PKS3_PKT0_S9_ifPKiSB_iPKfiiiSD_SD_iiiii
	.p2align	8
	.type	_ZN4vllm25paged_attention_v2_kernelIfhLi192ELi16ELi128ELNS_18Fp8KVCacheDataTypeE1ELb1ELi512EEEvPfS2_PT_PKS3_PKT0_S9_ifPKiSB_iPKfiiiSD_SD_iiiii,@function
_ZN4vllm25paged_attention_v2_kernelIfhLi192ELi16ELi128ELNS_18Fp8KVCacheDataTypeE1ELb1ELi512EEEvPfS2_PT_PKS3_PKT0_S9_ifPKiSB_iPKfiiiSD_SD_iiiii: ; @_ZN4vllm25paged_attention_v2_kernelIfhLi192ELi16ELi128ELNS_18Fp8KVCacheDataTypeE1ELb1ELi512EEEvPfS2_PT_PKS3_PKT0_S9_ifPKiSB_iPKfiiiSD_SD_iiiii
; %bb.0:
	s_mov_b32 s14, s8
	s_clause 0x7
	s_load_dwordx4 s[36:39], s[4:5], 0x78
	s_load_dword s8, s[4:5], 0x88
	s_load_dwordx8 s[40:47], s[4:5], 0x0
	s_load_dwordx8 s[24:31], s[4:5], 0x20
	s_load_dwordx2 s[10:11], s[4:5], 0x40
	s_load_dwordx2 s[34:35], s[4:5], 0x50
	s_load_dword s13, s[4:5], 0x48
	s_load_dwordx8 s[16:23], s[4:5], 0x58
	s_add_u32 s0, s0, s9
	s_mov_b32 s32, 0
	s_addc_u32 s1, s1, 0
	v_mov_b32_e32 v31, v0
	s_mov_b32 s12, s6
	s_mov_b32 s15, 23
	s_waitcnt lgkmcnt(0)
	v_mov_b32_e32 v1, s39
	v_mov_b32_e32 v2, s8
	v_mov_b32_e32 v0, s40
	v_mov_b32_e32 v3, s43
	buffer_store_dword v1, off, s[0:3], s32
	buffer_store_dword v2, off, s[0:3], s32 offset:4
	v_mov_b32_e32 v1, s41
	v_mov_b32_e32 v2, s42
	;; [unrolled: 1-line block ×29, first 2 shown]
	s_add_u32 s8, s4, 0x90
	s_addc_u32 s9, s5, 0
	s_getpc_b64 s[4:5]
	s_add_u32 s4, s4, _ZN4vllm22paged_attention_kernelIfhLi192ELi16ELi128ELNS_18Fp8KVCacheDataTypeE1ELb1ELi512EEEvPfS2_PT_PKS3_PKT0_S9_ifPKiSB_iPKfiiiSD_SD_iiiii@rel32@lo+4
	s_addc_u32 s5, s5, _ZN4vllm22paged_attention_kernelIfhLi192ELi16ELi128ELNS_18Fp8KVCacheDataTypeE1ELb1ELi512EEEvPfS2_PT_PKS3_PKT0_S9_ifPKiSB_iPKfiiiSD_SD_iiiii@rel32@hi+12
	s_mov_b32 s13, s7
	s_swappc_b64 s[30:31], s[4:5]
	s_endpgm
	.section	.rodata,"a",@progbits
	.p2align	6, 0x0
	.amdhsa_kernel _ZN4vllm25paged_attention_v2_kernelIfhLi192ELi16ELi128ELNS_18Fp8KVCacheDataTypeE1ELb1ELi512EEEvPfS2_PT_PKS3_PKT0_S9_ifPKiSB_iPKfiiiSD_SD_iiiii
		.amdhsa_group_segment_fixed_size 800
		.amdhsa_private_segment_fixed_size 924
		.amdhsa_kernarg_size 400
		.amdhsa_user_sgpr_count 6
		.amdhsa_user_sgpr_private_segment_buffer 1
		.amdhsa_user_sgpr_dispatch_ptr 0
		.amdhsa_user_sgpr_queue_ptr 0
		.amdhsa_user_sgpr_kernarg_segment_ptr 1
		.amdhsa_user_sgpr_dispatch_id 0
		.amdhsa_user_sgpr_flat_scratch_init 0
		.amdhsa_user_sgpr_private_segment_size 0
		.amdhsa_wavefront_size32 1
		.amdhsa_uses_dynamic_stack 0
		.amdhsa_system_sgpr_private_segment_wavefront_offset 1
		.amdhsa_system_sgpr_workgroup_id_x 1
		.amdhsa_system_sgpr_workgroup_id_y 1
		.amdhsa_system_sgpr_workgroup_id_z 1
		.amdhsa_system_sgpr_workgroup_info 0
		.amdhsa_system_vgpr_workitem_id 0
		.amdhsa_next_free_vgpr 128
		.amdhsa_next_free_sgpr 48
		.amdhsa_reserve_vcc 1
		.amdhsa_reserve_flat_scratch 0
		.amdhsa_float_round_mode_32 0
		.amdhsa_float_round_mode_16_64 0
		.amdhsa_float_denorm_mode_32 3
		.amdhsa_float_denorm_mode_16_64 3
		.amdhsa_dx10_clamp 1
		.amdhsa_ieee_mode 1
		.amdhsa_fp16_overflow 0
		.amdhsa_workgroup_processor_mode 1
		.amdhsa_memory_ordered 1
		.amdhsa_forward_progress 1
		.amdhsa_shared_vgpr_count 0
		.amdhsa_exception_fp_ieee_invalid_op 0
		.amdhsa_exception_fp_denorm_src 0
		.amdhsa_exception_fp_ieee_div_zero 0
		.amdhsa_exception_fp_ieee_overflow 0
		.amdhsa_exception_fp_ieee_underflow 0
		.amdhsa_exception_fp_ieee_inexact 0
		.amdhsa_exception_int_div_zero 0
	.end_amdhsa_kernel
	.section	.text._ZN4vllm25paged_attention_v2_kernelIfhLi192ELi16ELi128ELNS_18Fp8KVCacheDataTypeE1ELb1ELi512EEEvPfS2_PT_PKS3_PKT0_S9_ifPKiSB_iPKfiiiSD_SD_iiiii,"axG",@progbits,_ZN4vllm25paged_attention_v2_kernelIfhLi192ELi16ELi128ELNS_18Fp8KVCacheDataTypeE1ELb1ELi512EEEvPfS2_PT_PKS3_PKT0_S9_ifPKiSB_iPKfiiiSD_SD_iiiii,comdat
.Lfunc_end215:
	.size	_ZN4vllm25paged_attention_v2_kernelIfhLi192ELi16ELi128ELNS_18Fp8KVCacheDataTypeE1ELb1ELi512EEEvPfS2_PT_PKS3_PKT0_S9_ifPKiSB_iPKfiiiSD_SD_iiiii, .Lfunc_end215-_ZN4vllm25paged_attention_v2_kernelIfhLi192ELi16ELi128ELNS_18Fp8KVCacheDataTypeE1ELb1ELi512EEEvPfS2_PT_PKS3_PKT0_S9_ifPKiSB_iPKfiiiSD_SD_iiiii
                                        ; -- End function
	.set _ZN4vllm25paged_attention_v2_kernelIfhLi192ELi16ELi128ELNS_18Fp8KVCacheDataTypeE1ELb1ELi512EEEvPfS2_PT_PKS3_PKT0_S9_ifPKiSB_iPKfiiiSD_SD_iiiii.num_vgpr, max(32, .L_ZN4vllm22paged_attention_kernelIfhLi192ELi16ELi128ELNS_18Fp8KVCacheDataTypeE1ELb1ELi512EEEvPfS2_PT_PKS3_PKT0_S9_ifPKiSB_iPKfiiiSD_SD_iiiii.num_vgpr)
	.set _ZN4vllm25paged_attention_v2_kernelIfhLi192ELi16ELi128ELNS_18Fp8KVCacheDataTypeE1ELb1ELi512EEEvPfS2_PT_PKS3_PKT0_S9_ifPKiSB_iPKfiiiSD_SD_iiiii.num_agpr, max(0, .L_ZN4vllm22paged_attention_kernelIfhLi192ELi16ELi128ELNS_18Fp8KVCacheDataTypeE1ELb1ELi512EEEvPfS2_PT_PKS3_PKT0_S9_ifPKiSB_iPKfiiiSD_SD_iiiii.num_agpr)
	.set _ZN4vllm25paged_attention_v2_kernelIfhLi192ELi16ELi128ELNS_18Fp8KVCacheDataTypeE1ELb1ELi512EEEvPfS2_PT_PKS3_PKT0_S9_ifPKiSB_iPKfiiiSD_SD_iiiii.numbered_sgpr, max(48, .L_ZN4vllm22paged_attention_kernelIfhLi192ELi16ELi128ELNS_18Fp8KVCacheDataTypeE1ELb1ELi512EEEvPfS2_PT_PKS3_PKT0_S9_ifPKiSB_iPKfiiiSD_SD_iiiii.numbered_sgpr)
	.set _ZN4vllm25paged_attention_v2_kernelIfhLi192ELi16ELi128ELNS_18Fp8KVCacheDataTypeE1ELb1ELi512EEEvPfS2_PT_PKS3_PKT0_S9_ifPKiSB_iPKfiiiSD_SD_iiiii.num_named_barrier, max(0, .L_ZN4vllm22paged_attention_kernelIfhLi192ELi16ELi128ELNS_18Fp8KVCacheDataTypeE1ELb1ELi512EEEvPfS2_PT_PKS3_PKT0_S9_ifPKiSB_iPKfiiiSD_SD_iiiii.num_named_barrier)
	.set _ZN4vllm25paged_attention_v2_kernelIfhLi192ELi16ELi128ELNS_18Fp8KVCacheDataTypeE1ELb1ELi512EEEvPfS2_PT_PKS3_PKT0_S9_ifPKiSB_iPKfiiiSD_SD_iiiii.private_seg_size, 0+max(.L_ZN4vllm22paged_attention_kernelIfhLi192ELi16ELi128ELNS_18Fp8KVCacheDataTypeE1ELb1ELi512EEEvPfS2_PT_PKS3_PKT0_S9_ifPKiSB_iPKfiiiSD_SD_iiiii.private_seg_size)
	.set _ZN4vllm25paged_attention_v2_kernelIfhLi192ELi16ELi128ELNS_18Fp8KVCacheDataTypeE1ELb1ELi512EEEvPfS2_PT_PKS3_PKT0_S9_ifPKiSB_iPKfiiiSD_SD_iiiii.uses_vcc, or(1, .L_ZN4vllm22paged_attention_kernelIfhLi192ELi16ELi128ELNS_18Fp8KVCacheDataTypeE1ELb1ELi512EEEvPfS2_PT_PKS3_PKT0_S9_ifPKiSB_iPKfiiiSD_SD_iiiii.uses_vcc)
	.set _ZN4vllm25paged_attention_v2_kernelIfhLi192ELi16ELi128ELNS_18Fp8KVCacheDataTypeE1ELb1ELi512EEEvPfS2_PT_PKS3_PKT0_S9_ifPKiSB_iPKfiiiSD_SD_iiiii.uses_flat_scratch, or(0, .L_ZN4vllm22paged_attention_kernelIfhLi192ELi16ELi128ELNS_18Fp8KVCacheDataTypeE1ELb1ELi512EEEvPfS2_PT_PKS3_PKT0_S9_ifPKiSB_iPKfiiiSD_SD_iiiii.uses_flat_scratch)
	.set _ZN4vllm25paged_attention_v2_kernelIfhLi192ELi16ELi128ELNS_18Fp8KVCacheDataTypeE1ELb1ELi512EEEvPfS2_PT_PKS3_PKT0_S9_ifPKiSB_iPKfiiiSD_SD_iiiii.has_dyn_sized_stack, or(0, .L_ZN4vllm22paged_attention_kernelIfhLi192ELi16ELi128ELNS_18Fp8KVCacheDataTypeE1ELb1ELi512EEEvPfS2_PT_PKS3_PKT0_S9_ifPKiSB_iPKfiiiSD_SD_iiiii.has_dyn_sized_stack)
	.set _ZN4vllm25paged_attention_v2_kernelIfhLi192ELi16ELi128ELNS_18Fp8KVCacheDataTypeE1ELb1ELi512EEEvPfS2_PT_PKS3_PKT0_S9_ifPKiSB_iPKfiiiSD_SD_iiiii.has_recursion, or(0, .L_ZN4vllm22paged_attention_kernelIfhLi192ELi16ELi128ELNS_18Fp8KVCacheDataTypeE1ELb1ELi512EEEvPfS2_PT_PKS3_PKT0_S9_ifPKiSB_iPKfiiiSD_SD_iiiii.has_recursion)
	.set _ZN4vllm25paged_attention_v2_kernelIfhLi192ELi16ELi128ELNS_18Fp8KVCacheDataTypeE1ELb1ELi512EEEvPfS2_PT_PKS3_PKT0_S9_ifPKiSB_iPKfiiiSD_SD_iiiii.has_indirect_call, or(0, .L_ZN4vllm22paged_attention_kernelIfhLi192ELi16ELi128ELNS_18Fp8KVCacheDataTypeE1ELb1ELi512EEEvPfS2_PT_PKS3_PKT0_S9_ifPKiSB_iPKfiiiSD_SD_iiiii.has_indirect_call)
	.section	.AMDGPU.csdata,"",@progbits
; Kernel info:
; codeLenInByte = 292
; TotalNumSgprs: 50
; NumVgprs: 128
; ScratchSize: 924
; MemoryBound: 0
; FloatMode: 240
; IeeeMode: 1
; LDSByteSize: 800 bytes/workgroup (compile time only)
; SGPRBlocks: 0
; VGPRBlocks: 15
; NumSGPRsForWavesPerEU: 50
; NumVGPRsForWavesPerEU: 128
; Occupancy: 8
; WaveLimiterHint : 1
; COMPUTE_PGM_RSRC2:SCRATCH_EN: 1
; COMPUTE_PGM_RSRC2:USER_SGPR: 6
; COMPUTE_PGM_RSRC2:TRAP_HANDLER: 0
; COMPUTE_PGM_RSRC2:TGID_X_EN: 1
; COMPUTE_PGM_RSRC2:TGID_Y_EN: 1
; COMPUTE_PGM_RSRC2:TGID_Z_EN: 1
; COMPUTE_PGM_RSRC2:TIDIG_COMP_CNT: 0
	.text
	.p2align	2                               ; -- Begin function _ZN4vllm22paged_attention_kernelIfhLi256ELi16ELi128ELNS_18Fp8KVCacheDataTypeE1ELb1ELi512EEEvPfS2_PT_PKS3_PKT0_S9_ifPKiSB_iPKfiiiSD_SD_iiiii
	.type	_ZN4vllm22paged_attention_kernelIfhLi256ELi16ELi128ELNS_18Fp8KVCacheDataTypeE1ELb1ELi512EEEvPfS2_PT_PKS3_PKT0_S9_ifPKiSB_iPKfiiiSD_SD_iiiii,@function
_ZN4vllm22paged_attention_kernelIfhLi256ELi16ELi128ELNS_18Fp8KVCacheDataTypeE1ELb1ELi512EEEvPfS2_PT_PKS3_PKT0_S9_ifPKiSB_iPKfiiiSD_SD_iiiii: ; @_ZN4vllm22paged_attention_kernelIfhLi256ELi16ELi128ELNS_18Fp8KVCacheDataTypeE1ELb1ELi512EEEvPfS2_PT_PKS3_PKT0_S9_ifPKiSB_iPKfiiiSD_SD_iiiii
; %bb.0:
	s_waitcnt vmcnt(0) expcnt(0) lgkmcnt(0)
	buffer_store_dword v40, off, s[0:3], s32 offset:196 ; 4-byte Folded Spill
	buffer_store_dword v41, off, s[0:3], s32 offset:192 ; 4-byte Folded Spill
	;; [unrolled: 1-line block ×48, first 2 shown]
	s_mov_b32 s18, s13
	s_ashr_i32 s19, s13, 31
	buffer_store_dword v26, off, s[0:3], s32 offset:1068 ; 4-byte Folded Spill
	buffer_store_dword v27, off, s[0:3], s32 offset:1072 ; 4-byte Folded Spill
	;; [unrolled: 1-line block ×6, first 2 shown]
	s_lshl_b64 s[4:5], s[18:19], 2
	v_mov_b32_e32 v26, v0
	v_add_co_u32 v0, vcc_lo, v16, s4
	v_mov_b32_e32 v25, v1
	v_add_co_ci_u32_e64 v1, null, s5, v17, vcc_lo
	buffer_store_dword v5, off, s[0:3], s32 offset:1116 ; 4-byte Folded Spill
	buffer_store_dword v4, off, s[0:3], s32 offset:1120 ; 4-byte Folded Spill
	v_mov_b32_e32 v32, v3
	v_mov_b32_e32 v22, v11
	flat_load_dword v27, v[0:1]
	s_clause 0x1
	buffer_load_dword v3, off, s[0:3], s32 offset:4
	buffer_load_dword v4, off, s[0:3], s32
	v_mov_b32_e32 v24, v10
	v_mov_b32_e32 v33, v2
	s_lshl_b32 s20, s14, 9
	s_mov_b32 s19, exec_lo
	s_waitcnt vmcnt(2) lgkmcnt(0)
	v_cmpx_lt_i32_e64 s20, v27
	s_cbranch_execz .LBB216_2232
; %bb.1:
	v_sub_nc_u32_e32 v0, 0, v12
	s_clause 0x1
	s_load_dword s4, s[8:9], 0x10
	s_load_dword s5, s[8:9], 0x0
	s_mov_b32 s16, s15
	v_max_i32_e32 v0, v12, v0
	v_cvt_f32_u32_e32 v1, v0
	v_sub_nc_u32_e32 v2, 0, v0
	v_rcp_iflag_f32_e32 v1, v1
	s_waitcnt lgkmcnt(0)
	s_lshr_b32 s4, s4, 16
	s_cmp_lg_u32 s4, 0
	s_cselect_b32 s4, -1, 0
	v_mul_f32_e32 v1, 0x4f7ffffe, v1
	s_cmp_lg_u32 s4, 0
	s_addc_u32 s15, s5, 0
	s_mov_b32 s5, exec_lo
	v_cvt_u32_f32_e32 v1, v1
	s_abs_i32 s4, s15
	v_mul_lo_u32 v2, v2, v1
	v_mul_hi_u32 v2, v1, v2
	v_add_nc_u32_e32 v1, v1, v2
	v_mul_hi_u32 v1, s4, v1
	v_mul_lo_u32 v2, v1, v0
	v_add_nc_u32_e32 v5, 1, v1
	v_sub_nc_u32_e32 v2, s4, v2
	s_abs_i32 s4, s12
	v_sub_nc_u32_e32 v10, v2, v0
	v_cmp_ge_u32_e32 vcc_lo, v2, v0
	v_cndmask_b32_e32 v1, v1, v5, vcc_lo
	v_cndmask_b32_e32 v2, v2, v10, vcc_lo
	v_xor_b32_e32 v5, s15, v12
	v_add_nc_u32_e32 v10, 1, v1
	v_cmp_ge_u32_e32 vcc_lo, v2, v0
	v_ashrrev_i32_e32 v5, 31, v5
	v_cndmask_b32_e32 v0, v1, v10, vcc_lo
	v_xor_b32_e32 v0, v0, v5
	v_sub_nc_u32_e32 v2, v0, v5
	v_sub_nc_u32_e32 v0, 0, v2
	v_max_i32_e32 v5, v2, v0
	v_cvt_f32_u32_e32 v0, v5
	v_sub_nc_u32_e32 v1, 0, v5
	v_rcp_iflag_f32_e32 v0, v0
	v_mul_f32_e32 v0, 0x4f7ffffe, v0
	v_cvt_u32_f32_e32 v0, v0
	v_mul_lo_u32 v1, v1, v0
	v_mul_hi_u32 v1, v0, v1
	v_add_nc_u32_e32 v0, v0, v1
	v_mad_u64_u32 v[0:1], null, s4, v0, 0
	v_mov_b32_e32 v0, 0
	buffer_store_dword v0, off, s[0:3], s32 offset:1100 ; 4-byte Folded Spill
	v_cmpx_ne_u64_e32 0, v[19:20]
	s_cbranch_execz .LBB216_3
; %bb.2:
	s_ashr_i32 s13, s12, 31
	s_lshl_b64 s[6:7], s[12:13], 2
	v_add_co_u32 v10, vcc_lo, v19, s6
	v_add_co_ci_u32_e64 v11, null, s7, v20, vcc_lo
	flat_load_dword v0, v[10:11]
	s_waitcnt vmcnt(0) lgkmcnt(0)
	buffer_store_dword v0, off, s[0:3], s32 offset:1100 ; 4-byte Folded Spill
.LBB216_3:
	s_or_b32 exec_lo, exec_lo, s5
	v_and_b32_e32 v10, 0x3ff, v31
	v_ashrrev_i32_e32 v0, 31, v2
	v_and_b32_e32 v2, 1, v31
	s_ashr_i32 s5, s12, 31
	s_lshl_b32 s10, s12, 8
	v_lshlrev_b32_e32 v19, 2, v10
	s_mov_b32 s6, exec_lo
	buffer_store_dword v10, off, s[0:3], s32 offset:1064 ; 4-byte Folded Spill
	v_cmpx_gt_u32_e32 0x80, v10
	s_cbranch_execz .LBB216_5
; %bb.4:
	buffer_load_dword v13, off, s[0:3], s32 offset:1064 ; 4-byte Folded Reload
	v_mul_lo_u32 v10, v21, s18
	s_ashr_i32 s11, s10, 31
	s_lshl_b64 s[22:23], s[10:11], 2
	v_ashrrev_i32_e32 v11, 31, v10
	v_lshlrev_b64 v[10:11], 2, v[10:11]
	v_add_co_u32 v6, vcc_lo, v6, v10
	v_add_co_ci_u32_e64 v7, null, v7, v11, vcc_lo
	v_and_b32_e32 v10, 0xff8, v19
	v_add_co_u32 v6, vcc_lo, v6, s22
	v_add_co_ci_u32_e64 v7, null, s23, v7, vcc_lo
	v_lshl_add_u32 v10, v2, 9, v10
	s_waitcnt vmcnt(0)
	v_lshlrev_b32_e32 v13, 3, v13
	v_add_co_u32 v6, vcc_lo, v6, v13
	v_add_co_ci_u32_e64 v7, null, 0, v7, vcc_lo
	flat_load_dwordx2 v[6:7], v[6:7]
	s_waitcnt vmcnt(0) lgkmcnt(0)
	ds_write_b64 v10, v[6:7]
.LBB216_5:
	s_or_b32 exec_lo, exec_lo, s6
	s_waitcnt vmcnt(0)
	v_sub_nc_u32_e32 v6, 0, v4
	v_mul_lo_u32 v7, v1, v5
	v_max_i32_e32 v11, v4, v6
	v_sub_nc_u32_e32 v7, s4, v7
	v_cvt_f32_u32_e32 v6, v11
	buffer_store_dword v11, off, s[0:3], s32 offset:224 ; 4-byte Folded Spill
	s_mov_b32 s4, exec_lo
	v_sub_nc_u32_e32 v13, v7, v5
	v_rcp_iflag_f32_e32 v6, v6
	v_cmp_ge_u32_e32 vcc_lo, v7, v5
	v_cndmask_b32_e32 v7, v7, v13, vcc_lo
	v_mul_f32_e32 v6, 0x4f7ffffe, v6
	v_cvt_u32_f32_e32 v10, v6
	v_sub_nc_u32_e32 v6, 0, v11
	v_add_nc_u32_e32 v11, 1, v1
	v_mul_lo_u32 v16, v6, v10
	v_cndmask_b32_e32 v1, v1, v11, vcc_lo
	v_add_nc_u32_e32 v6, -1, v27
	v_cmp_ge_u32_e32 vcc_lo, v7, v5
	v_add_nc_u32_e32 v11, 1, v1
	v_sub_nc_u32_e32 v17, 0, v6
	v_mul_hi_u32 v13, v10, v16
	v_xor_b32_e32 v16, s5, v0
	v_cndmask_b32_e32 v0, v1, v11, vcc_lo
	v_max_i32_e32 v5, v6, v17
	v_xor_b32_e32 v7, v0, v16
	v_add_nc_u32_e32 v1, v10, v13
	buffer_store_dword v1, off, s[0:3], s32 offset:244 ; 4-byte Folded Spill
	v_mad_u64_u32 v[0:1], null, v5, v1, 0
	v_sub_nc_u32_e32 v0, v7, v16
                                        ; implicit-def: $vgpr7
	s_waitcnt lgkmcnt(0)
	s_waitcnt_vscnt null, 0x0
	s_barrier
	buffer_gl0_inv
	buffer_store_dword v7, off, s[0:3], s32 offset:228 ; 4-byte Folded Spill
	buffer_store_dword v8, off, s[0:3], s32 offset:232 ; 4-byte Folded Spill
	v_cmpx_gt_i32_e32 0, v3
	s_xor_b32 s4, exec_lo, s4
	s_cbranch_execz .LBB216_7
; %bb.6:
	v_mad_u64_u32 v[10:11], null, v28, v12, v[0:1]
                                        ; implicit-def: $vgpr28
	v_mul_lo_u32 v3, v10, v3
	v_sub_nc_u32_e32 v3, 1, v3
	buffer_store_dword v3, off, s[0:3], s32 offset:228 ; 4-byte Folded Spill
	buffer_store_dword v4, off, s[0:3], s32 offset:232 ; 4-byte Folded Spill
                                        ; implicit-def: $vgpr3
.LBB216_7:
	s_or_saveexec_b32 s4, s4
	v_ashrrev_i32_e32 v6, 31, v6
	v_ashrrev_i32_e32 v4, 31, v4
	buffer_store_dword v4, off, s[0:3], s32 offset:236 ; 4-byte Folded Spill
	s_xor_b32 exec_lo, exec_lo, s4
	s_cbranch_execz .LBB216_9
; %bb.8:
	v_mad_u64_u32 v[10:11], null, s15, v28, s[12:13]
	v_mad_u64_u32 v[3:4], null, v10, v3, 1
	buffer_store_dword v3, off, s[0:3], s32 offset:228 ; 4-byte Folded Spill
	buffer_store_dword v4, off, s[0:3], s32 offset:232 ; 4-byte Folded Spill
.LBB216_9:
	s_or_b32 exec_lo, exec_lo, s4
	buffer_load_dword v12, off, s[0:3], s32 offset:224 ; 4-byte Folded Reload
	v_add_nc_u32_e32 v7, 1, v1
	s_clause 0x1
	s_load_dword s21, s[8:9], 0x14
	s_load_dword s11, s[8:9], 0x8
	v_add_nc_u32_e32 v4, 15, v27
	s_lshl_b32 s13, s14, 5
	v_mov_b32_e32 v20, 0xff7fffff
	s_add_i32 s4, s13, 32
	v_ashrrev_i32_e32 v10, 31, v4
	s_waitcnt vmcnt(0)
	v_mul_lo_u32 v3, v1, v12
	v_sub_nc_u32_e32 v5, v5, v3
	v_mul_lo_u32 v3, v18, s18
	v_sub_nc_u32_e32 v18, 0, v30
	v_cmp_ge_u32_e32 vcc_lo, v5, v12
	v_sub_nc_u32_e32 v11, v5, v12
	v_cndmask_b32_e32 v1, v1, v7, vcc_lo
	buffer_load_dword v7, off, s[0:3], s32 offset:236 ; 4-byte Folded Reload
	v_cndmask_b32_e32 v5, v5, v11, vcc_lo
	buffer_load_dword v11, off, s[0:3], s32 offset:1064 ; 4-byte Folded Reload
	v_cmp_ge_u32_e32 vcc_lo, v5, v12
	v_mul_lo_u32 v12, v0, v23
	s_waitcnt vmcnt(1)
	v_xor_b32_e32 v6, v6, v7
	v_lshrrev_b32_e32 v7, 28, v10
	v_add_nc_u32_e32 v10, 1, v1
	s_waitcnt vmcnt(0)
	v_lshrrev_b32_e32 v11, 5, v11
	v_add_nc_u32_e32 v4, v4, v7
	v_cndmask_b32_e32 v1, v1, v10, vcc_lo
	v_or_b32_e32 v5, s13, v11
	buffer_store_dword v11, off, s[0:3], s32 offset:1112 ; 4-byte Folded Spill
	v_ashrrev_i32_e32 v13, 4, v4
	v_xor_b32_e32 v0, v1, v6
	v_lshl_add_u32 v1, v11, 4, s20
	v_ashrrev_i32_e32 v4, 31, v3
	v_ashrrev_i32_e32 v11, 31, v12
	v_sub_nc_u32_e32 v0, v0, v6
	v_ashrrev_i32_e32 v6, 31, v5
	buffer_store_dword v1, off, s[0:3], s32 offset:1124 ; 4-byte Folded Spill
	v_min_i32_e32 v1, s4, v13
	buffer_store_dword v5, off, s[0:3], s32 offset:216 ; 4-byte Folded Spill
	buffer_store_dword v6, off, s[0:3], s32 offset:220 ; 4-byte Folded Spill
	;; [unrolled: 1-line block ×3, first 2 shown]
	v_lshlrev_b64 v[16:17], 2, v[3:4]
	v_sub_nc_u32_e32 v0, v0, v29
	buffer_store_dword v0, off, s[0:3], s32 offset:248 ; 4-byte Folded Spill
	v_cmp_lt_i32_e64 s4, v5, v1
	s_and_saveexec_b32 s22, s4
	s_cbranch_execz .LBB216_1045
; %bb.10:
	v_max_i32_e32 v6, v30, v18
	v_add_co_u32 v4, s5, v8, v12
	buffer_store_dword v13, off, s[0:3], s32 offset:1180 ; 4-byte Folded Spill
	buffer_store_dword v19, off, s[0:3], s32 offset:1164 ; 4-byte Folded Spill
	;; [unrolled: 1-line block ×11, first 2 shown]
	v_cvt_f32_u32_e32 v0, v6
	buffer_store_dword v11, off, s[0:3], s32 offset:1188 ; 4-byte Folded Spill
	buffer_load_dword v1, off, s[0:3], s32 offset:1064 ; 4-byte Folded Reload
	v_add_co_ci_u32_e64 v5, null, v9, v11, s5
	v_rcp_iflag_f32_e32 v3, v0
	s_clause 0x2
	buffer_load_dword v0, off, s[0:3], s32 offset:1100
	buffer_load_dword v10, off, s[0:3], s32 offset:216
	;; [unrolled: 1-line block ×3, first 2 shown]
	v_lshlrev_b32_e32 v7, 1, v2
	buffer_load_dword v9, off, s[0:3], s32 offset:1112 ; 4-byte Folded Reload
	buffer_store_dword v6, off, s[0:3], s32 offset:872 ; 4-byte Folded Spill
	s_ashr_i32 s17, s16, 31
	s_getpc_b64 s[6:7]
	s_add_u32 s6, s6, llvm.amdgcn.dynlds.offset.table@rel32@lo+4
	s_addc_u32 s7, s7, llvm.amdgcn.dynlds.offset.table@rel32@hi+12
	v_or_b32_e32 v8, 4, v7
	s_lshl_b64 s[8:9], s[16:17], 2
	v_cmp_eq_u32_e32 vcc_lo, 0, v2
	s_add_u32 s8, s6, s8
	v_lshlrev_b32_e32 v13, 9, v2
	buffer_store_dword v8, off, s[0:3], s32 offset:204 ; 4-byte Folded Spill
	v_or_b32_e32 v8, 8, v7
	buffer_store_dword v8, off, s[0:3], s32 offset:208 ; 4-byte Folded Spill
	buffer_store_dword v7, off, s[0:3], s32 offset:200 ; 4-byte Folded Spill
	v_or_b32_e32 v7, 12, v7
	v_mul_f32_e32 v2, 0x4f7ffffe, v3
	v_sub_nc_u32_e32 v6, 0, v6
	s_addc_u32 s9, s7, s9
	v_mov_b32_e32 v29, 0
	buffer_store_dword v7, off, s[0:3], s32 offset:212 ; 4-byte Folded Spill
	v_cvt_u32_f32_e32 v2, v2
	v_mov_b32_e32 v64, 0x80
	v_bfrev_b32_e32 v40, 1
	v_mov_b32_e32 v53, 0x7f800001
	s_mov_b32 s23, 0
	v_mul_lo_u32 v6, v6, v2
	v_mul_hi_u32 v6, v2, v6
	s_waitcnt vmcnt(4)
	v_bfe_u32 v18, v1, 1, 4
	s_waitcnt vmcnt(2)
	v_mov_b32_e32 v65, v10
	v_cmp_neq_f32_e64 s5, 0, v0
	s_waitcnt vmcnt(1)
	v_lshlrev_b64 v[0:1], 2, v[10:11]
	buffer_store_dword v18, off, s[0:3], s32 offset:1104 ; 4-byte Folded Spill
	v_lshlrev_b32_e32 v3, 4, v18
	v_sub_nc_u32_e32 v8, v18, v27
	v_lshlrev_b32_e32 v7, 2, v18
	s_waitcnt vmcnt(0)
	v_lshl_add_u32 v22, v9, 4, s20
	v_add_co_u32 v0, s6, v16, v0
	buffer_store_dword v16, off, s[0:3], s32 offset:1168 ; 4-byte Folded Spill
	buffer_store_dword v17, off, s[0:3], s32 offset:1172 ; 4-byte Folded Spill
	s_load_dword s17, s[8:9], 0x0
	v_lshl_or_b32 v30, v9, 6, v7
	v_add_co_ci_u32_e64 v1, null, v17, v1, s6
	v_add_co_u32 v3, s6, v4, v3
	v_add_co_ci_u32_e64 v4, null, 0, v5, s6
	buffer_store_dword v3, off, s[0:3], s32 offset:1088 ; 4-byte Folded Spill
	buffer_store_dword v4, off, s[0:3], s32 offset:1092 ; 4-byte Folded Spill
	v_add_nc_u32_e32 v3, 1, v8
	v_add_co_u32 v118, s6, v14, v0
	v_add_nc_u32_e32 v0, v2, v6
	buffer_store_dword v3, off, s[0:3], s32 offset:1108 ; 4-byte Folded Spill
	buffer_store_dword v14, off, s[0:3], s32 offset:1132 ; 4-byte Folded Spill
	v_add_co_ci_u32_e64 v119, null, v15, v1, s6
	buffer_store_dword v0, off, s[0:3], s32 offset:876 ; 4-byte Folded Spill
	v_mov_b32_e32 v0, 0xff7fffff
	buffer_store_dword v15, off, s[0:3], s32 offset:1128 ; 4-byte Folded Spill
	buffer_store_dword v0, off, s[0:3], s32 offset:1084 ; 4-byte Folded Spill
	s_branch .LBB216_13
.LBB216_11:                             ;   in Loop: Header=BB216_13 Depth=1
	s_or_b32 exec_lo, exec_lo, s24
.LBB216_12:                             ;   in Loop: Header=BB216_13 Depth=1
	s_or_b32 exec_lo, exec_lo, s7
	buffer_load_dword v0, off, s[0:3], s32 offset:240 ; 4-byte Folded Reload
	v_add_nc_u32_e32 v65, 4, v65
	v_add_co_u32 v118, s7, v118, 16
	v_add_co_ci_u32_e64 v119, null, 0, v119, s7
	v_add_nc_u32_e32 v22, 64, v22
	v_add_nc_u32_e32 v30, 0x100, v30
	s_waitcnt vmcnt(0)
	v_cmp_ge_i32_e64 s6, v65, v0
	s_or_b32 s23, s6, s23
	s_andn2_b32 exec_lo, exec_lo, s23
	s_cbranch_execz .LBB216_1044
.LBB216_13:                             ; =>This Inner Loop Header: Depth=1
	s_waitcnt lgkmcnt(0)
	s_clause 0x2
	buffer_load_dword v1, off, s[0:3], s32 offset:244
	buffer_load_dword v4, off, s[0:3], s32 offset:224
	;; [unrolled: 1-line block ×3, first 2 shown]
	v_sub_nc_u32_e32 v0, 0, v22
	v_max_i32_e32 v0, v22, v0
	s_waitcnt vmcnt(2)
	v_mul_hi_u32 v1, v0, v1
	s_waitcnt vmcnt(1)
	v_mul_lo_u32 v2, v1, v4
	v_sub_nc_u32_e32 v0, v0, v2
	v_add_nc_u32_e32 v2, 1, v1
	v_sub_nc_u32_e32 v3, v0, v4
	v_cmp_ge_u32_e64 s6, v0, v4
	v_cndmask_b32_e64 v1, v1, v2, s6
	v_cndmask_b32_e64 v0, v0, v3, s6
	v_ashrrev_i32_e32 v2, 31, v22
	v_add_nc_u32_e32 v3, 1, v1
	v_cmp_ge_u32_e64 s6, v0, v4
	s_waitcnt vmcnt(0)
	v_xor_b32_e32 v2, v2, v5
	v_cndmask_b32_e64 v0, v1, v3, s6
	v_xor_b32_e32 v0, v0, v2
	v_sub_nc_u32_e32 v0, v0, v2
	s_clause 0x3
	buffer_load_dword v1, off, s[0:3], s32 offset:228
	buffer_load_dword v2, off, s[0:3], s32 offset:232
	buffer_load_dword v3, off, s[0:3], s32 offset:876
	buffer_load_dword v4, off, s[0:3], s32 offset:872
	s_waitcnt vmcnt(3)
	v_add_nc_u32_e32 v1, v0, v1
	s_waitcnt vmcnt(2)
	v_sub_nc_u32_e32 v2, 0, v1
	v_max_i32_e32 v2, v1, v2
	v_ashrrev_i32_e32 v1, 31, v1
	s_waitcnt vmcnt(1)
	v_mul_hi_u32 v3, v2, v3
	s_waitcnt vmcnt(0)
	v_mul_lo_u32 v3, v3, v4
	v_sub_nc_u32_e32 v2, v2, v3
	v_sub_nc_u32_e32 v3, v2, v4
	v_cmp_ge_u32_e64 s6, v2, v4
	v_cndmask_b32_e64 v2, v2, v3, s6
	v_sub_nc_u32_e32 v3, v2, v4
	v_cmp_ge_u32_e64 s6, v2, v4
	v_cndmask_b32_e64 v2, v2, v3, s6
	v_xor_b32_e32 v2, v2, v1
	v_sub_nc_u32_e32 v1, v2, v1
	v_cmp_ne_u32_e64 s6, 0, v1
	buffer_load_dword v1, off, s[0:3], s32 offset:248 ; 4-byte Folded Reload
	s_waitcnt vmcnt(0)
	v_cmp_le_i32_e64 s7, v0, v1
	s_and_b32 s6, s6, s7
	s_and_saveexec_b32 s7, s6
	s_xor_b32 s6, exec_lo, s7
	s_cbranch_execz .LBB216_17
; %bb.14:                               ;   in Loop: Header=BB216_13 Depth=1
	s_and_saveexec_b32 s7, vcc_lo
	s_cbranch_execz .LBB216_16
; %bb.15:                               ;   in Loop: Header=BB216_13 Depth=1
	s_waitcnt lgkmcnt(0)
	v_add_nc_u32_e32 v0, s17, v30
	v_mov_b32_e32 v1, 0xff7fffff
	ds_write_b32 v0, v1
.LBB216_16:                             ;   in Loop: Header=BB216_13 Depth=1
	s_or_b32 exec_lo, exec_lo, s7
.LBB216_17:                             ;   in Loop: Header=BB216_13 Depth=1
	s_andn2_saveexec_b32 s7, s6
	s_cbranch_execz .LBB216_12
; %bb.18:                               ;   in Loop: Header=BB216_13 Depth=1
	flat_load_dword v0, v[118:119]
	s_clause 0x2
	buffer_load_dword v1, off, s[0:3], s32 offset:852
	buffer_load_dword v2, off, s[0:3], s32 offset:1088
	;; [unrolled: 1-line block ×3, first 2 shown]
	v_mov_b32_e32 v82, 0
	v_mov_b32_e32 v83, 0
	s_waitcnt vmcnt(0) lgkmcnt(0)
	v_mad_i64_i32 v[94:95], null, v0, v1, v[2:3]
	buffer_load_dword v0, off, s[0:3], s32 offset:200 ; 4-byte Folded Reload
	s_waitcnt vmcnt(0)
	v_add_co_u32 v33, s6, v94, v0
	v_add_co_ci_u32_e64 v34, null, 0, v95, s6
	flat_load_ushort v1, v[33:34]
	s_clause 0x1
	buffer_load_dword v2, off, s[0:3], s32 offset:1076
	buffer_load_dword v3, off, s[0:3], s32 offset:1080
	s_waitcnt vmcnt(2) lgkmcnt(0)
	v_and_b32_e32 v0, 0xffff, v1
	s_waitcnt vmcnt(0)
	flat_load_dword v68, v[2:3]
	ds_read_b128 v[2:5], v13
	v_cmp_ne_u16_sdwa s6, v1, v29 src0_sel:BYTE_0 src1_sel:DWORD
	s_waitcnt lgkmcnt(0)
	buffer_store_dword v2, off, s[0:3], s32 offset:1048 ; 4-byte Folded Spill
	buffer_store_dword v3, off, s[0:3], s32 offset:1052 ; 4-byte Folded Spill
	buffer_store_dword v4, off, s[0:3], s32 offset:1056 ; 4-byte Folded Spill
	buffer_store_dword v5, off, s[0:3], s32 offset:1060 ; 4-byte Folded Spill
	ds_read_b128 v[2:5], v13 offset:16
	s_waitcnt lgkmcnt(0)
	buffer_store_dword v2, off, s[0:3], s32 offset:1000 ; 4-byte Folded Spill
	buffer_store_dword v3, off, s[0:3], s32 offset:1004 ; 4-byte Folded Spill
	buffer_store_dword v4, off, s[0:3], s32 offset:1008 ; 4-byte Folded Spill
	buffer_store_dword v5, off, s[0:3], s32 offset:1012 ; 4-byte Folded Spill
	ds_read_b128 v[2:5], v13 offset:32
	;; [unrolled: 6-line block ×11, first 2 shown]
	s_waitcnt lgkmcnt(0)
	buffer_store_dword v2, off, s[0:3], s32 offset:880 ; 4-byte Folded Spill
	buffer_store_dword v3, off, s[0:3], s32 offset:884 ; 4-byte Folded Spill
	;; [unrolled: 1-line block ×4, first 2 shown]
	ds_read_b64 v[2:3], v13 offset:192
	s_waitcnt lgkmcnt(0)
	buffer_store_dword v2, off, s[0:3], s32 offset:896 ; 4-byte Folded Spill
	buffer_store_dword v3, off, s[0:3], s32 offset:900 ; 4-byte Folded Spill
	v_mov_b32_e32 v2, 0
	v_mov_b32_e32 v3, 0
	buffer_store_dword v2, off, s[0:3], s32 offset:252 ; 4-byte Folded Spill
	buffer_store_dword v3, off, s[0:3], s32 offset:256 ; 4-byte Folded Spill
	s_and_saveexec_b32 s24, s6
	s_cbranch_execz .LBB216_26
; %bb.19:                               ;   in Loop: Header=BB216_13 Depth=1
	v_bfrev_b32_e32 v82, 1
	v_mov_b32_e32 v83, 0
	v_cmp_ne_u16_sdwa s6, v0, v64 src0_sel:BYTE_0 src1_sel:DWORD
	s_and_saveexec_b32 s25, s6
	s_cbranch_execz .LBB216_25
; %bb.20:                               ;   in Loop: Header=BB216_13 Depth=1
	v_mov_b32_e32 v82, 0x7f800001
	v_and_b32_e32 v2, 0x7f, v0
	v_mov_b32_e32 v83, 0
	s_mov_b32 s26, exec_lo
	v_cmpx_ne_u32_e32 0x7f, v2
	s_cbranch_execz .LBB216_24
; %bb.21:                               ;   in Loop: Header=BB216_13 Depth=1
	v_and_b32_e32 v28, 7, v0
	v_lshrrev_b32_e32 v1, 3, v2
	s_mov_b32 s27, exec_lo
	v_cmpx_gt_u32_e32 8, v2
; %bb.22:                               ;   in Loop: Header=BB216_13 Depth=1
	v_ffbh_u32_e32 v1, v28
	v_min_u32_e32 v1, 32, v1
	v_subrev_nc_u32_e32 v2, 28, v1
	v_sub_nc_u32_e32 v1, 29, v1
	v_lshlrev_b64 v[2:3], v2, v[28:29]
	v_and_b32_e32 v28, 7, v2
; %bb.23:                               ;   in Loop: Header=BB216_13 Depth=1
	s_or_b32 exec_lo, exec_lo, s27
	v_lshlrev_b32_e32 v2, 24, v0
	v_lshlrev_b32_e32 v3, 20, v28
	v_lshl_add_u32 v1, v1, 23, 0x3c000000
	v_and_b32_e32 v2, 0x80000000, v2
	v_or3_b32 v28, v3, v2, v1
	v_mov_b32_e32 v83, v29
	v_mov_b32_e32 v82, v28
.LBB216_24:                             ;   in Loop: Header=BB216_13 Depth=1
	s_or_b32 exec_lo, exec_lo, s26
.LBB216_25:                             ;   in Loop: Header=BB216_13 Depth=1
	s_or_b32 exec_lo, exec_lo, s25
.LBB216_26:                             ;   in Loop: Header=BB216_13 Depth=1
	s_or_b32 exec_lo, exec_lo, s24
	v_cmp_ne_u16_sdwa s6, v0, v29 src0_sel:BYTE_1 src1_sel:DWORD
	s_and_saveexec_b32 s24, s6
	s_cbranch_execz .LBB216_34
; %bb.27:                               ;   in Loop: Header=BB216_13 Depth=1
	v_mov_b32_e32 v39, v29
	v_cmp_ne_u16_sdwa s6, v0, v64 src0_sel:BYTE_1 src1_sel:DWORD
	buffer_store_dword v39, off, s[0:3], s32 offset:252 ; 4-byte Folded Spill
	buffer_store_dword v40, off, s[0:3], s32 offset:256 ; 4-byte Folded Spill
	s_and_saveexec_b32 s25, s6
	s_cbranch_execz .LBB216_33
; %bb.28:                               ;   in Loop: Header=BB216_13 Depth=1
	v_mov_b32_e32 v1, 0xffff
	v_mov_b32_e32 v52, v29
	s_mov_b32 s26, exec_lo
	buffer_store_dword v52, off, s[0:3], s32 offset:252 ; 4-byte Folded Spill
	buffer_store_dword v53, off, s[0:3], s32 offset:256 ; 4-byte Folded Spill
	v_and_b32_sdwa v1, v1, v0 dst_sel:DWORD dst_unused:UNUSED_PAD src0_sel:DWORD src1_sel:BYTE_1
	v_and_b32_e32 v2, 0x7f, v1
	v_cmpx_ne_u32_e32 0x7f, v2
	s_cbranch_execz .LBB216_32
; %bb.29:                               ;   in Loop: Header=BB216_13 Depth=1
	v_and_b32_e32 v28, 7, v1
	v_lshrrev_b32_e32 v1, 3, v2
	s_mov_b32 s27, exec_lo
	v_cmpx_gt_u32_e32 8, v2
; %bb.30:                               ;   in Loop: Header=BB216_13 Depth=1
	v_ffbh_u32_e32 v1, v28
	v_min_u32_e32 v1, 32, v1
	v_subrev_nc_u32_e32 v2, 28, v1
	v_sub_nc_u32_e32 v1, 29, v1
	v_lshlrev_b64 v[2:3], v2, v[28:29]
	v_and_b32_e32 v28, 7, v2
; %bb.31:                               ;   in Loop: Header=BB216_13 Depth=1
	s_or_b32 exec_lo, exec_lo, s27
	v_lshlrev_b32_e32 v0, 16, v0
	v_lshlrev_b32_e32 v2, 20, v28
	v_lshl_add_u32 v1, v1, 23, 0x3c000000
	v_and_b32_e32 v0, 0x80000000, v0
	v_or3_b32 v1, v2, v0, v1
	v_mov_b32_e32 v0, v29
	buffer_store_dword v0, off, s[0:3], s32 offset:252 ; 4-byte Folded Spill
	buffer_store_dword v1, off, s[0:3], s32 offset:256 ; 4-byte Folded Spill
.LBB216_32:                             ;   in Loop: Header=BB216_13 Depth=1
	s_or_b32 exec_lo, exec_lo, s26
.LBB216_33:                             ;   in Loop: Header=BB216_13 Depth=1
	s_or_b32 exec_lo, exec_lo, s25
.LBB216_34:                             ;   in Loop: Header=BB216_13 Depth=1
	s_or_b32 exec_lo, exec_lo, s24
	flat_load_ushort v1, v[33:34] offset:4
	v_mov_b32_e32 v2, 0
	v_mov_b32_e32 v80, 0
	;; [unrolled: 1-line block ×4, first 2 shown]
	buffer_store_dword v2, off, s[0:3], s32 offset:260 ; 4-byte Folded Spill
	buffer_store_dword v3, off, s[0:3], s32 offset:264 ; 4-byte Folded Spill
	s_waitcnt vmcnt(0) lgkmcnt(0)
	v_and_b32_e32 v0, 0xffff, v1
	v_cmp_ne_u16_sdwa s6, v1, v29 src0_sel:BYTE_0 src1_sel:DWORD
	s_and_saveexec_b32 s24, s6
	s_cbranch_execz .LBB216_42
; %bb.35:                               ;   in Loop: Header=BB216_13 Depth=1
	v_bfrev_b32_e32 v80, 1
	v_mov_b32_e32 v81, 0
	v_cmp_ne_u16_sdwa s6, v0, v64 src0_sel:BYTE_0 src1_sel:DWORD
	s_and_saveexec_b32 s25, s6
	s_cbranch_execz .LBB216_41
; %bb.36:                               ;   in Loop: Header=BB216_13 Depth=1
	v_mov_b32_e32 v80, 0x7f800001
	v_and_b32_e32 v2, 0x7f, v0
	v_mov_b32_e32 v81, 0
	s_mov_b32 s26, exec_lo
	v_cmpx_ne_u32_e32 0x7f, v2
	s_cbranch_execz .LBB216_40
; %bb.37:                               ;   in Loop: Header=BB216_13 Depth=1
	v_and_b32_e32 v28, 7, v0
	v_lshrrev_b32_e32 v1, 3, v2
	s_mov_b32 s27, exec_lo
	v_cmpx_gt_u32_e32 8, v2
; %bb.38:                               ;   in Loop: Header=BB216_13 Depth=1
	v_ffbh_u32_e32 v1, v28
	v_min_u32_e32 v1, 32, v1
	v_subrev_nc_u32_e32 v2, 28, v1
	v_sub_nc_u32_e32 v1, 29, v1
	v_lshlrev_b64 v[2:3], v2, v[28:29]
	v_and_b32_e32 v28, 7, v2
; %bb.39:                               ;   in Loop: Header=BB216_13 Depth=1
	s_or_b32 exec_lo, exec_lo, s27
	v_lshlrev_b32_e32 v2, 24, v0
	v_lshlrev_b32_e32 v3, 20, v28
	v_lshl_add_u32 v1, v1, 23, 0x3c000000
	v_and_b32_e32 v2, 0x80000000, v2
	v_or3_b32 v28, v3, v2, v1
	v_mov_b32_e32 v81, v29
	v_mov_b32_e32 v80, v28
.LBB216_40:                             ;   in Loop: Header=BB216_13 Depth=1
	s_or_b32 exec_lo, exec_lo, s26
.LBB216_41:                             ;   in Loop: Header=BB216_13 Depth=1
	s_or_b32 exec_lo, exec_lo, s25
.LBB216_42:                             ;   in Loop: Header=BB216_13 Depth=1
	s_or_b32 exec_lo, exec_lo, s24
	v_cmp_ne_u16_sdwa s6, v0, v29 src0_sel:BYTE_1 src1_sel:DWORD
	s_and_saveexec_b32 s24, s6
	s_cbranch_execz .LBB216_50
; %bb.43:                               ;   in Loop: Header=BB216_13 Depth=1
	v_mov_b32_e32 v39, v29
	v_cmp_ne_u16_sdwa s6, v0, v64 src0_sel:BYTE_1 src1_sel:DWORD
	buffer_store_dword v39, off, s[0:3], s32 offset:260 ; 4-byte Folded Spill
	buffer_store_dword v40, off, s[0:3], s32 offset:264 ; 4-byte Folded Spill
	s_and_saveexec_b32 s25, s6
	s_cbranch_execz .LBB216_49
; %bb.44:                               ;   in Loop: Header=BB216_13 Depth=1
	v_mov_b32_e32 v1, 0xffff
	v_mov_b32_e32 v52, v29
	s_mov_b32 s26, exec_lo
	buffer_store_dword v52, off, s[0:3], s32 offset:260 ; 4-byte Folded Spill
	buffer_store_dword v53, off, s[0:3], s32 offset:264 ; 4-byte Folded Spill
	v_and_b32_sdwa v1, v1, v0 dst_sel:DWORD dst_unused:UNUSED_PAD src0_sel:DWORD src1_sel:BYTE_1
	v_and_b32_e32 v2, 0x7f, v1
	v_cmpx_ne_u32_e32 0x7f, v2
	s_cbranch_execz .LBB216_48
; %bb.45:                               ;   in Loop: Header=BB216_13 Depth=1
	v_and_b32_e32 v28, 7, v1
	v_lshrrev_b32_e32 v1, 3, v2
	s_mov_b32 s27, exec_lo
	v_cmpx_gt_u32_e32 8, v2
; %bb.46:                               ;   in Loop: Header=BB216_13 Depth=1
	v_ffbh_u32_e32 v1, v28
	v_min_u32_e32 v1, 32, v1
	v_subrev_nc_u32_e32 v2, 28, v1
	v_sub_nc_u32_e32 v1, 29, v1
	v_lshlrev_b64 v[2:3], v2, v[28:29]
	v_and_b32_e32 v28, 7, v2
; %bb.47:                               ;   in Loop: Header=BB216_13 Depth=1
	s_or_b32 exec_lo, exec_lo, s27
	v_lshlrev_b32_e32 v0, 16, v0
	v_lshlrev_b32_e32 v2, 20, v28
	v_lshl_add_u32 v1, v1, 23, 0x3c000000
	v_and_b32_e32 v0, 0x80000000, v0
	v_or3_b32 v1, v2, v0, v1
	v_mov_b32_e32 v0, v29
	buffer_store_dword v0, off, s[0:3], s32 offset:260 ; 4-byte Folded Spill
	buffer_store_dword v1, off, s[0:3], s32 offset:264 ; 4-byte Folded Spill
.LBB216_48:                             ;   in Loop: Header=BB216_13 Depth=1
	s_or_b32 exec_lo, exec_lo, s26
.LBB216_49:                             ;   in Loop: Header=BB216_13 Depth=1
	s_or_b32 exec_lo, exec_lo, s25
.LBB216_50:                             ;   in Loop: Header=BB216_13 Depth=1
	s_or_b32 exec_lo, exec_lo, s24
	flat_load_ushort v1, v[33:34] offset:8
	v_mov_b32_e32 v84, 0
	v_mov_b32_e32 v85, 0
	s_waitcnt vmcnt(0) lgkmcnt(0)
	v_and_b32_e32 v0, 0xffff, v1
	v_cmp_ne_u16_sdwa s6, v1, v29 src0_sel:BYTE_0 src1_sel:DWORD
	v_mov_b32_e32 v1, 0
	v_mov_b32_e32 v2, 0
	buffer_store_dword v1, off, s[0:3], s32 offset:348 ; 4-byte Folded Spill
	buffer_store_dword v2, off, s[0:3], s32 offset:352 ; 4-byte Folded Spill
	s_and_saveexec_b32 s24, s6
	s_cbranch_execz .LBB216_58
; %bb.51:                               ;   in Loop: Header=BB216_13 Depth=1
	v_bfrev_b32_e32 v84, 1
	v_mov_b32_e32 v85, 0
	v_cmp_ne_u16_sdwa s6, v0, v64 src0_sel:BYTE_0 src1_sel:DWORD
	s_and_saveexec_b32 s25, s6
	s_cbranch_execz .LBB216_57
; %bb.52:                               ;   in Loop: Header=BB216_13 Depth=1
	v_mov_b32_e32 v84, 0x7f800001
	v_and_b32_e32 v2, 0x7f, v0
	v_mov_b32_e32 v85, 0
	s_mov_b32 s26, exec_lo
	v_cmpx_ne_u32_e32 0x7f, v2
	s_cbranch_execz .LBB216_56
; %bb.53:                               ;   in Loop: Header=BB216_13 Depth=1
	v_and_b32_e32 v28, 7, v0
	v_lshrrev_b32_e32 v1, 3, v2
	s_mov_b32 s27, exec_lo
	v_cmpx_gt_u32_e32 8, v2
; %bb.54:                               ;   in Loop: Header=BB216_13 Depth=1
	v_ffbh_u32_e32 v1, v28
	v_min_u32_e32 v1, 32, v1
	v_subrev_nc_u32_e32 v2, 28, v1
	v_sub_nc_u32_e32 v1, 29, v1
	v_lshlrev_b64 v[2:3], v2, v[28:29]
	v_and_b32_e32 v28, 7, v2
; %bb.55:                               ;   in Loop: Header=BB216_13 Depth=1
	s_or_b32 exec_lo, exec_lo, s27
	v_lshlrev_b32_e32 v2, 24, v0
	v_lshlrev_b32_e32 v3, 20, v28
	v_lshl_add_u32 v1, v1, 23, 0x3c000000
	v_and_b32_e32 v2, 0x80000000, v2
	v_or3_b32 v28, v3, v2, v1
	v_mov_b32_e32 v85, v29
	v_mov_b32_e32 v84, v28
.LBB216_56:                             ;   in Loop: Header=BB216_13 Depth=1
	s_or_b32 exec_lo, exec_lo, s26
.LBB216_57:                             ;   in Loop: Header=BB216_13 Depth=1
	s_or_b32 exec_lo, exec_lo, s25
.LBB216_58:                             ;   in Loop: Header=BB216_13 Depth=1
	s_or_b32 exec_lo, exec_lo, s24
	v_cmp_ne_u16_sdwa s6, v0, v29 src0_sel:BYTE_1 src1_sel:DWORD
	s_and_saveexec_b32 s24, s6
	s_cbranch_execz .LBB216_66
; %bb.59:                               ;   in Loop: Header=BB216_13 Depth=1
	v_mov_b32_e32 v39, v29
	v_cmp_ne_u16_sdwa s6, v0, v64 src0_sel:BYTE_1 src1_sel:DWORD
	buffer_store_dword v39, off, s[0:3], s32 offset:348 ; 4-byte Folded Spill
	buffer_store_dword v40, off, s[0:3], s32 offset:352 ; 4-byte Folded Spill
	s_and_saveexec_b32 s25, s6
	s_cbranch_execz .LBB216_65
; %bb.60:                               ;   in Loop: Header=BB216_13 Depth=1
	v_mov_b32_e32 v1, 0xffff
	v_mov_b32_e32 v52, v29
	s_mov_b32 s26, exec_lo
	buffer_store_dword v52, off, s[0:3], s32 offset:348 ; 4-byte Folded Spill
	buffer_store_dword v53, off, s[0:3], s32 offset:352 ; 4-byte Folded Spill
	v_and_b32_sdwa v1, v1, v0 dst_sel:DWORD dst_unused:UNUSED_PAD src0_sel:DWORD src1_sel:BYTE_1
	v_and_b32_e32 v2, 0x7f, v1
	v_cmpx_ne_u32_e32 0x7f, v2
	s_cbranch_execz .LBB216_64
; %bb.61:                               ;   in Loop: Header=BB216_13 Depth=1
	v_and_b32_e32 v28, 7, v1
	v_lshrrev_b32_e32 v1, 3, v2
	s_mov_b32 s27, exec_lo
	v_cmpx_gt_u32_e32 8, v2
; %bb.62:                               ;   in Loop: Header=BB216_13 Depth=1
	v_ffbh_u32_e32 v1, v28
	v_min_u32_e32 v1, 32, v1
	v_subrev_nc_u32_e32 v2, 28, v1
	v_sub_nc_u32_e32 v1, 29, v1
	v_lshlrev_b64 v[2:3], v2, v[28:29]
	v_and_b32_e32 v28, 7, v2
; %bb.63:                               ;   in Loop: Header=BB216_13 Depth=1
	s_or_b32 exec_lo, exec_lo, s27
	v_lshlrev_b32_e32 v0, 16, v0
	v_lshlrev_b32_e32 v2, 20, v28
	v_lshl_add_u32 v1, v1, 23, 0x3c000000
	v_and_b32_e32 v0, 0x80000000, v0
	v_or3_b32 v1, v2, v0, v1
	v_mov_b32_e32 v0, v29
	buffer_store_dword v0, off, s[0:3], s32 offset:348 ; 4-byte Folded Spill
	buffer_store_dword v1, off, s[0:3], s32 offset:352 ; 4-byte Folded Spill
.LBB216_64:                             ;   in Loop: Header=BB216_13 Depth=1
	s_or_b32 exec_lo, exec_lo, s26
.LBB216_65:                             ;   in Loop: Header=BB216_13 Depth=1
	s_or_b32 exec_lo, exec_lo, s25
.LBB216_66:                             ;   in Loop: Header=BB216_13 Depth=1
	s_or_b32 exec_lo, exec_lo, s24
	flat_load_ushort v1, v[33:34] offset:12
	s_waitcnt vmcnt(0) lgkmcnt(0)
	v_and_b32_e32 v0, 0xffff, v1
	v_cmp_ne_u16_sdwa s6, v1, v29 src0_sel:BYTE_0 src1_sel:DWORD
	v_mov_b32_e32 v1, 0
	v_mov_b32_e32 v2, 0
	buffer_store_dword v1, off, s[0:3], s32 offset:276 ; 4-byte Folded Spill
	buffer_store_dword v2, off, s[0:3], s32 offset:280 ; 4-byte Folded Spill
	v_mov_b32_e32 v1, 0
	v_mov_b32_e32 v2, 0
	buffer_store_dword v1, off, s[0:3], s32 offset:268 ; 4-byte Folded Spill
	buffer_store_dword v2, off, s[0:3], s32 offset:272 ; 4-byte Folded Spill
	s_and_saveexec_b32 s24, s6
	s_cbranch_execz .LBB216_74
; %bb.67:                               ;   in Loop: Header=BB216_13 Depth=1
	v_bfrev_b32_e32 v1, 1
	v_mov_b32_e32 v2, 0
	v_cmp_ne_u16_sdwa s6, v0, v64 src0_sel:BYTE_0 src1_sel:DWORD
	buffer_store_dword v1, off, s[0:3], s32 offset:268 ; 4-byte Folded Spill
	buffer_store_dword v2, off, s[0:3], s32 offset:272 ; 4-byte Folded Spill
	s_and_saveexec_b32 s25, s6
	s_cbranch_execz .LBB216_73
; %bb.68:                               ;   in Loop: Header=BB216_13 Depth=1
	v_mov_b32_e32 v3, 0x7f800001
	v_and_b32_e32 v2, 0x7f, v0
	v_mov_b32_e32 v4, 0
	s_mov_b32 s26, exec_lo
	buffer_store_dword v3, off, s[0:3], s32 offset:268 ; 4-byte Folded Spill
	buffer_store_dword v4, off, s[0:3], s32 offset:272 ; 4-byte Folded Spill
	v_cmpx_ne_u32_e32 0x7f, v2
	s_cbranch_execz .LBB216_72
; %bb.69:                               ;   in Loop: Header=BB216_13 Depth=1
	v_and_b32_e32 v28, 7, v0
	v_lshrrev_b32_e32 v1, 3, v2
	s_mov_b32 s27, exec_lo
	v_cmpx_gt_u32_e32 8, v2
; %bb.70:                               ;   in Loop: Header=BB216_13 Depth=1
	v_ffbh_u32_e32 v1, v28
	v_min_u32_e32 v1, 32, v1
	v_subrev_nc_u32_e32 v2, 28, v1
	v_sub_nc_u32_e32 v1, 29, v1
	v_lshlrev_b64 v[2:3], v2, v[28:29]
	v_and_b32_e32 v28, 7, v2
; %bb.71:                               ;   in Loop: Header=BB216_13 Depth=1
	s_or_b32 exec_lo, exec_lo, s27
	v_lshlrev_b32_e32 v2, 24, v0
	v_lshlrev_b32_e32 v3, 20, v28
	v_lshl_add_u32 v1, v1, 23, 0x3c000000
	v_and_b32_e32 v2, 0x80000000, v2
	v_or3_b32 v28, v3, v2, v1
	buffer_store_dword v28, off, s[0:3], s32 offset:268 ; 4-byte Folded Spill
	buffer_store_dword v29, off, s[0:3], s32 offset:272 ; 4-byte Folded Spill
.LBB216_72:                             ;   in Loop: Header=BB216_13 Depth=1
	s_or_b32 exec_lo, exec_lo, s26
.LBB216_73:                             ;   in Loop: Header=BB216_13 Depth=1
	s_or_b32 exec_lo, exec_lo, s25
.LBB216_74:                             ;   in Loop: Header=BB216_13 Depth=1
	s_or_b32 exec_lo, exec_lo, s24
	v_cmp_ne_u16_sdwa s6, v0, v29 src0_sel:BYTE_1 src1_sel:DWORD
	s_and_saveexec_b32 s24, s6
	s_cbranch_execz .LBB216_82
; %bb.75:                               ;   in Loop: Header=BB216_13 Depth=1
	v_mov_b32_e32 v39, v29
	v_cmp_ne_u16_sdwa s6, v0, v64 src0_sel:BYTE_1 src1_sel:DWORD
	buffer_store_dword v39, off, s[0:3], s32 offset:276 ; 4-byte Folded Spill
	buffer_store_dword v40, off, s[0:3], s32 offset:280 ; 4-byte Folded Spill
	s_and_saveexec_b32 s25, s6
	s_cbranch_execz .LBB216_81
; %bb.76:                               ;   in Loop: Header=BB216_13 Depth=1
	v_mov_b32_e32 v1, 0xffff
	v_mov_b32_e32 v52, v29
	s_mov_b32 s26, exec_lo
	buffer_store_dword v52, off, s[0:3], s32 offset:276 ; 4-byte Folded Spill
	buffer_store_dword v53, off, s[0:3], s32 offset:280 ; 4-byte Folded Spill
	v_and_b32_sdwa v1, v1, v0 dst_sel:DWORD dst_unused:UNUSED_PAD src0_sel:DWORD src1_sel:BYTE_1
	v_and_b32_e32 v2, 0x7f, v1
	v_cmpx_ne_u32_e32 0x7f, v2
	s_cbranch_execz .LBB216_80
; %bb.77:                               ;   in Loop: Header=BB216_13 Depth=1
	v_and_b32_e32 v28, 7, v1
	v_lshrrev_b32_e32 v1, 3, v2
	s_mov_b32 s27, exec_lo
	v_cmpx_gt_u32_e32 8, v2
; %bb.78:                               ;   in Loop: Header=BB216_13 Depth=1
	v_ffbh_u32_e32 v1, v28
	v_min_u32_e32 v1, 32, v1
	v_subrev_nc_u32_e32 v2, 28, v1
	v_sub_nc_u32_e32 v1, 29, v1
	v_lshlrev_b64 v[2:3], v2, v[28:29]
	v_and_b32_e32 v28, 7, v2
; %bb.79:                               ;   in Loop: Header=BB216_13 Depth=1
	s_or_b32 exec_lo, exec_lo, s27
	v_lshlrev_b32_e32 v0, 16, v0
	v_lshlrev_b32_e32 v2, 20, v28
	v_lshl_add_u32 v1, v1, 23, 0x3c000000
	v_and_b32_e32 v0, 0x80000000, v0
	v_or3_b32 v1, v2, v0, v1
	v_mov_b32_e32 v0, v29
	buffer_store_dword v0, off, s[0:3], s32 offset:276 ; 4-byte Folded Spill
	buffer_store_dword v1, off, s[0:3], s32 offset:280 ; 4-byte Folded Spill
.LBB216_80:                             ;   in Loop: Header=BB216_13 Depth=1
	s_or_b32 exec_lo, exec_lo, s26
.LBB216_81:                             ;   in Loop: Header=BB216_13 Depth=1
	s_or_b32 exec_lo, exec_lo, s25
.LBB216_82:                             ;   in Loop: Header=BB216_13 Depth=1
	s_or_b32 exec_lo, exec_lo, s24
	flat_load_ushort v1, v[33:34] offset:256
	s_waitcnt vmcnt(0) lgkmcnt(0)
	v_and_b32_e32 v0, 0xffff, v1
	v_cmp_ne_u16_sdwa s6, v1, v29 src0_sel:BYTE_0 src1_sel:DWORD
	v_mov_b32_e32 v1, 0
	v_mov_b32_e32 v2, 0
	buffer_store_dword v1, off, s[0:3], s32 offset:292 ; 4-byte Folded Spill
	buffer_store_dword v2, off, s[0:3], s32 offset:296 ; 4-byte Folded Spill
	v_mov_b32_e32 v1, 0
	v_mov_b32_e32 v2, 0
	buffer_store_dword v1, off, s[0:3], s32 offset:284 ; 4-byte Folded Spill
	buffer_store_dword v2, off, s[0:3], s32 offset:288 ; 4-byte Folded Spill
	s_and_saveexec_b32 s24, s6
	s_cbranch_execz .LBB216_90
; %bb.83:                               ;   in Loop: Header=BB216_13 Depth=1
	v_bfrev_b32_e32 v1, 1
	v_mov_b32_e32 v2, 0
	v_cmp_ne_u16_sdwa s6, v0, v64 src0_sel:BYTE_0 src1_sel:DWORD
	buffer_store_dword v1, off, s[0:3], s32 offset:284 ; 4-byte Folded Spill
	buffer_store_dword v2, off, s[0:3], s32 offset:288 ; 4-byte Folded Spill
	s_and_saveexec_b32 s25, s6
	s_cbranch_execz .LBB216_89
; %bb.84:                               ;   in Loop: Header=BB216_13 Depth=1
	v_mov_b32_e32 v3, 0x7f800001
	v_and_b32_e32 v2, 0x7f, v0
	v_mov_b32_e32 v4, 0
	s_mov_b32 s26, exec_lo
	buffer_store_dword v3, off, s[0:3], s32 offset:284 ; 4-byte Folded Spill
	buffer_store_dword v4, off, s[0:3], s32 offset:288 ; 4-byte Folded Spill
	v_cmpx_ne_u32_e32 0x7f, v2
	s_cbranch_execz .LBB216_88
; %bb.85:                               ;   in Loop: Header=BB216_13 Depth=1
	v_and_b32_e32 v28, 7, v0
	v_lshrrev_b32_e32 v1, 3, v2
	s_mov_b32 s27, exec_lo
	v_cmpx_gt_u32_e32 8, v2
; %bb.86:                               ;   in Loop: Header=BB216_13 Depth=1
	v_ffbh_u32_e32 v1, v28
	v_min_u32_e32 v1, 32, v1
	v_subrev_nc_u32_e32 v2, 28, v1
	v_sub_nc_u32_e32 v1, 29, v1
	v_lshlrev_b64 v[2:3], v2, v[28:29]
	v_and_b32_e32 v28, 7, v2
; %bb.87:                               ;   in Loop: Header=BB216_13 Depth=1
	s_or_b32 exec_lo, exec_lo, s27
	v_lshlrev_b32_e32 v2, 24, v0
	v_lshlrev_b32_e32 v3, 20, v28
	v_lshl_add_u32 v1, v1, 23, 0x3c000000
	v_and_b32_e32 v2, 0x80000000, v2
	v_or3_b32 v28, v3, v2, v1
	buffer_store_dword v28, off, s[0:3], s32 offset:284 ; 4-byte Folded Spill
	buffer_store_dword v29, off, s[0:3], s32 offset:288 ; 4-byte Folded Spill
.LBB216_88:                             ;   in Loop: Header=BB216_13 Depth=1
	s_or_b32 exec_lo, exec_lo, s26
.LBB216_89:                             ;   in Loop: Header=BB216_13 Depth=1
	s_or_b32 exec_lo, exec_lo, s25
.LBB216_90:                             ;   in Loop: Header=BB216_13 Depth=1
	s_or_b32 exec_lo, exec_lo, s24
	v_cmp_ne_u16_sdwa s6, v0, v29 src0_sel:BYTE_1 src1_sel:DWORD
	s_and_saveexec_b32 s24, s6
	s_cbranch_execz .LBB216_98
; %bb.91:                               ;   in Loop: Header=BB216_13 Depth=1
	v_mov_b32_e32 v39, v29
	v_cmp_ne_u16_sdwa s6, v0, v64 src0_sel:BYTE_1 src1_sel:DWORD
	buffer_store_dword v39, off, s[0:3], s32 offset:292 ; 4-byte Folded Spill
	buffer_store_dword v40, off, s[0:3], s32 offset:296 ; 4-byte Folded Spill
	s_and_saveexec_b32 s25, s6
	s_cbranch_execz .LBB216_97
; %bb.92:                               ;   in Loop: Header=BB216_13 Depth=1
	v_mov_b32_e32 v1, 0xffff
	v_mov_b32_e32 v52, v29
	s_mov_b32 s26, exec_lo
	buffer_store_dword v52, off, s[0:3], s32 offset:292 ; 4-byte Folded Spill
	buffer_store_dword v53, off, s[0:3], s32 offset:296 ; 4-byte Folded Spill
	v_and_b32_sdwa v1, v1, v0 dst_sel:DWORD dst_unused:UNUSED_PAD src0_sel:DWORD src1_sel:BYTE_1
	v_and_b32_e32 v2, 0x7f, v1
	v_cmpx_ne_u32_e32 0x7f, v2
	s_cbranch_execz .LBB216_96
; %bb.93:                               ;   in Loop: Header=BB216_13 Depth=1
	v_and_b32_e32 v28, 7, v1
	v_lshrrev_b32_e32 v1, 3, v2
	s_mov_b32 s27, exec_lo
	v_cmpx_gt_u32_e32 8, v2
; %bb.94:                               ;   in Loop: Header=BB216_13 Depth=1
	v_ffbh_u32_e32 v1, v28
	v_min_u32_e32 v1, 32, v1
	v_subrev_nc_u32_e32 v2, 28, v1
	v_sub_nc_u32_e32 v1, 29, v1
	v_lshlrev_b64 v[2:3], v2, v[28:29]
	v_and_b32_e32 v28, 7, v2
; %bb.95:                               ;   in Loop: Header=BB216_13 Depth=1
	s_or_b32 exec_lo, exec_lo, s27
	v_lshlrev_b32_e32 v0, 16, v0
	v_lshlrev_b32_e32 v2, 20, v28
	v_lshl_add_u32 v1, v1, 23, 0x3c000000
	v_and_b32_e32 v0, 0x80000000, v0
	v_or3_b32 v1, v2, v0, v1
	v_mov_b32_e32 v0, v29
	buffer_store_dword v0, off, s[0:3], s32 offset:292 ; 4-byte Folded Spill
	buffer_store_dword v1, off, s[0:3], s32 offset:296 ; 4-byte Folded Spill
.LBB216_96:                             ;   in Loop: Header=BB216_13 Depth=1
	s_or_b32 exec_lo, exec_lo, s26
.LBB216_97:                             ;   in Loop: Header=BB216_13 Depth=1
	s_or_b32 exec_lo, exec_lo, s25
.LBB216_98:                             ;   in Loop: Header=BB216_13 Depth=1
	s_or_b32 exec_lo, exec_lo, s24
	flat_load_ushort v1, v[33:34] offset:260
	s_waitcnt vmcnt(0) lgkmcnt(0)
	v_and_b32_e32 v0, 0xffff, v1
	v_cmp_ne_u16_sdwa s6, v1, v29 src0_sel:BYTE_0 src1_sel:DWORD
	v_mov_b32_e32 v1, 0
	v_mov_b32_e32 v2, 0
	buffer_store_dword v1, off, s[0:3], s32 offset:308 ; 4-byte Folded Spill
	buffer_store_dword v2, off, s[0:3], s32 offset:312 ; 4-byte Folded Spill
	v_mov_b32_e32 v1, 0
	v_mov_b32_e32 v2, 0
	buffer_store_dword v1, off, s[0:3], s32 offset:300 ; 4-byte Folded Spill
	buffer_store_dword v2, off, s[0:3], s32 offset:304 ; 4-byte Folded Spill
	s_and_saveexec_b32 s24, s6
	s_cbranch_execz .LBB216_106
; %bb.99:                               ;   in Loop: Header=BB216_13 Depth=1
	v_bfrev_b32_e32 v1, 1
	v_mov_b32_e32 v2, 0
	v_cmp_ne_u16_sdwa s6, v0, v64 src0_sel:BYTE_0 src1_sel:DWORD
	buffer_store_dword v1, off, s[0:3], s32 offset:300 ; 4-byte Folded Spill
	buffer_store_dword v2, off, s[0:3], s32 offset:304 ; 4-byte Folded Spill
	s_and_saveexec_b32 s25, s6
	s_cbranch_execz .LBB216_105
; %bb.100:                              ;   in Loop: Header=BB216_13 Depth=1
	v_mov_b32_e32 v3, 0x7f800001
	v_and_b32_e32 v2, 0x7f, v0
	v_mov_b32_e32 v4, 0
	s_mov_b32 s26, exec_lo
	buffer_store_dword v3, off, s[0:3], s32 offset:300 ; 4-byte Folded Spill
	buffer_store_dword v4, off, s[0:3], s32 offset:304 ; 4-byte Folded Spill
	v_cmpx_ne_u32_e32 0x7f, v2
	s_cbranch_execz .LBB216_104
; %bb.101:                              ;   in Loop: Header=BB216_13 Depth=1
	v_and_b32_e32 v28, 7, v0
	v_lshrrev_b32_e32 v1, 3, v2
	s_mov_b32 s27, exec_lo
	v_cmpx_gt_u32_e32 8, v2
; %bb.102:                              ;   in Loop: Header=BB216_13 Depth=1
	v_ffbh_u32_e32 v1, v28
	v_min_u32_e32 v1, 32, v1
	v_subrev_nc_u32_e32 v2, 28, v1
	v_sub_nc_u32_e32 v1, 29, v1
	v_lshlrev_b64 v[2:3], v2, v[28:29]
	v_and_b32_e32 v28, 7, v2
; %bb.103:                              ;   in Loop: Header=BB216_13 Depth=1
	s_or_b32 exec_lo, exec_lo, s27
	v_lshlrev_b32_e32 v2, 24, v0
	v_lshlrev_b32_e32 v3, 20, v28
	v_lshl_add_u32 v1, v1, 23, 0x3c000000
	v_and_b32_e32 v2, 0x80000000, v2
	v_or3_b32 v28, v3, v2, v1
	buffer_store_dword v28, off, s[0:3], s32 offset:300 ; 4-byte Folded Spill
	buffer_store_dword v29, off, s[0:3], s32 offset:304 ; 4-byte Folded Spill
.LBB216_104:                            ;   in Loop: Header=BB216_13 Depth=1
	s_or_b32 exec_lo, exec_lo, s26
.LBB216_105:                            ;   in Loop: Header=BB216_13 Depth=1
	s_or_b32 exec_lo, exec_lo, s25
.LBB216_106:                            ;   in Loop: Header=BB216_13 Depth=1
	s_or_b32 exec_lo, exec_lo, s24
	v_cmp_ne_u16_sdwa s6, v0, v29 src0_sel:BYTE_1 src1_sel:DWORD
	s_and_saveexec_b32 s24, s6
	s_cbranch_execz .LBB216_114
; %bb.107:                              ;   in Loop: Header=BB216_13 Depth=1
	v_mov_b32_e32 v39, v29
	v_cmp_ne_u16_sdwa s6, v0, v64 src0_sel:BYTE_1 src1_sel:DWORD
	buffer_store_dword v39, off, s[0:3], s32 offset:308 ; 4-byte Folded Spill
	buffer_store_dword v40, off, s[0:3], s32 offset:312 ; 4-byte Folded Spill
	s_and_saveexec_b32 s25, s6
	s_cbranch_execz .LBB216_113
; %bb.108:                              ;   in Loop: Header=BB216_13 Depth=1
	v_mov_b32_e32 v1, 0xffff
	v_mov_b32_e32 v52, v29
	s_mov_b32 s26, exec_lo
	buffer_store_dword v52, off, s[0:3], s32 offset:308 ; 4-byte Folded Spill
	buffer_store_dword v53, off, s[0:3], s32 offset:312 ; 4-byte Folded Spill
	v_and_b32_sdwa v1, v1, v0 dst_sel:DWORD dst_unused:UNUSED_PAD src0_sel:DWORD src1_sel:BYTE_1
	v_and_b32_e32 v2, 0x7f, v1
	v_cmpx_ne_u32_e32 0x7f, v2
	s_cbranch_execz .LBB216_112
; %bb.109:                              ;   in Loop: Header=BB216_13 Depth=1
	v_and_b32_e32 v28, 7, v1
	v_lshrrev_b32_e32 v1, 3, v2
	s_mov_b32 s27, exec_lo
	v_cmpx_gt_u32_e32 8, v2
; %bb.110:                              ;   in Loop: Header=BB216_13 Depth=1
	v_ffbh_u32_e32 v1, v28
	v_min_u32_e32 v1, 32, v1
	v_subrev_nc_u32_e32 v2, 28, v1
	v_sub_nc_u32_e32 v1, 29, v1
	v_lshlrev_b64 v[2:3], v2, v[28:29]
	v_and_b32_e32 v28, 7, v2
; %bb.111:                              ;   in Loop: Header=BB216_13 Depth=1
	s_or_b32 exec_lo, exec_lo, s27
	v_lshlrev_b32_e32 v0, 16, v0
	v_lshlrev_b32_e32 v2, 20, v28
	v_lshl_add_u32 v1, v1, 23, 0x3c000000
	v_and_b32_e32 v0, 0x80000000, v0
	v_or3_b32 v1, v2, v0, v1
	v_mov_b32_e32 v0, v29
	buffer_store_dword v0, off, s[0:3], s32 offset:308 ; 4-byte Folded Spill
	buffer_store_dword v1, off, s[0:3], s32 offset:312 ; 4-byte Folded Spill
.LBB216_112:                            ;   in Loop: Header=BB216_13 Depth=1
	s_or_b32 exec_lo, exec_lo, s26
.LBB216_113:                            ;   in Loop: Header=BB216_13 Depth=1
	s_or_b32 exec_lo, exec_lo, s25
.LBB216_114:                            ;   in Loop: Header=BB216_13 Depth=1
	s_or_b32 exec_lo, exec_lo, s24
	flat_load_ushort v1, v[33:34] offset:264
	s_waitcnt vmcnt(0) lgkmcnt(0)
	v_and_b32_e32 v0, 0xffff, v1
	v_cmp_ne_u16_sdwa s6, v1, v29 src0_sel:BYTE_0 src1_sel:DWORD
	v_mov_b32_e32 v1, 0
	v_mov_b32_e32 v2, 0
	buffer_store_dword v1, off, s[0:3], s32 offset:324 ; 4-byte Folded Spill
	buffer_store_dword v2, off, s[0:3], s32 offset:328 ; 4-byte Folded Spill
	v_mov_b32_e32 v1, 0
	v_mov_b32_e32 v2, 0
	buffer_store_dword v1, off, s[0:3], s32 offset:316 ; 4-byte Folded Spill
	buffer_store_dword v2, off, s[0:3], s32 offset:320 ; 4-byte Folded Spill
	s_and_saveexec_b32 s24, s6
	s_cbranch_execz .LBB216_122
; %bb.115:                              ;   in Loop: Header=BB216_13 Depth=1
	v_bfrev_b32_e32 v1, 1
	v_mov_b32_e32 v2, 0
	v_cmp_ne_u16_sdwa s6, v0, v64 src0_sel:BYTE_0 src1_sel:DWORD
	buffer_store_dword v1, off, s[0:3], s32 offset:316 ; 4-byte Folded Spill
	buffer_store_dword v2, off, s[0:3], s32 offset:320 ; 4-byte Folded Spill
	s_and_saveexec_b32 s25, s6
	s_cbranch_execz .LBB216_121
; %bb.116:                              ;   in Loop: Header=BB216_13 Depth=1
	v_mov_b32_e32 v3, 0x7f800001
	v_and_b32_e32 v2, 0x7f, v0
	v_mov_b32_e32 v4, 0
	s_mov_b32 s26, exec_lo
	buffer_store_dword v3, off, s[0:3], s32 offset:316 ; 4-byte Folded Spill
	buffer_store_dword v4, off, s[0:3], s32 offset:320 ; 4-byte Folded Spill
	v_cmpx_ne_u32_e32 0x7f, v2
	s_cbranch_execz .LBB216_120
; %bb.117:                              ;   in Loop: Header=BB216_13 Depth=1
	v_and_b32_e32 v28, 7, v0
	v_lshrrev_b32_e32 v1, 3, v2
	s_mov_b32 s27, exec_lo
	v_cmpx_gt_u32_e32 8, v2
; %bb.118:                              ;   in Loop: Header=BB216_13 Depth=1
	v_ffbh_u32_e32 v1, v28
	v_min_u32_e32 v1, 32, v1
	v_subrev_nc_u32_e32 v2, 28, v1
	v_sub_nc_u32_e32 v1, 29, v1
	v_lshlrev_b64 v[2:3], v2, v[28:29]
	v_and_b32_e32 v28, 7, v2
; %bb.119:                              ;   in Loop: Header=BB216_13 Depth=1
	s_or_b32 exec_lo, exec_lo, s27
	v_lshlrev_b32_e32 v2, 24, v0
	v_lshlrev_b32_e32 v3, 20, v28
	v_lshl_add_u32 v1, v1, 23, 0x3c000000
	v_and_b32_e32 v2, 0x80000000, v2
	v_or3_b32 v28, v3, v2, v1
	buffer_store_dword v28, off, s[0:3], s32 offset:316 ; 4-byte Folded Spill
	buffer_store_dword v29, off, s[0:3], s32 offset:320 ; 4-byte Folded Spill
.LBB216_120:                            ;   in Loop: Header=BB216_13 Depth=1
	s_or_b32 exec_lo, exec_lo, s26
.LBB216_121:                            ;   in Loop: Header=BB216_13 Depth=1
	s_or_b32 exec_lo, exec_lo, s25
.LBB216_122:                            ;   in Loop: Header=BB216_13 Depth=1
	s_or_b32 exec_lo, exec_lo, s24
	v_cmp_ne_u16_sdwa s6, v0, v29 src0_sel:BYTE_1 src1_sel:DWORD
	s_and_saveexec_b32 s24, s6
	s_cbranch_execz .LBB216_130
; %bb.123:                              ;   in Loop: Header=BB216_13 Depth=1
	v_mov_b32_e32 v39, v29
	v_cmp_ne_u16_sdwa s6, v0, v64 src0_sel:BYTE_1 src1_sel:DWORD
	buffer_store_dword v39, off, s[0:3], s32 offset:324 ; 4-byte Folded Spill
	buffer_store_dword v40, off, s[0:3], s32 offset:328 ; 4-byte Folded Spill
	s_and_saveexec_b32 s25, s6
	s_cbranch_execz .LBB216_129
; %bb.124:                              ;   in Loop: Header=BB216_13 Depth=1
	v_mov_b32_e32 v1, 0xffff
	v_mov_b32_e32 v52, v29
	s_mov_b32 s26, exec_lo
	buffer_store_dword v52, off, s[0:3], s32 offset:324 ; 4-byte Folded Spill
	buffer_store_dword v53, off, s[0:3], s32 offset:328 ; 4-byte Folded Spill
	v_and_b32_sdwa v1, v1, v0 dst_sel:DWORD dst_unused:UNUSED_PAD src0_sel:DWORD src1_sel:BYTE_1
	v_and_b32_e32 v2, 0x7f, v1
	v_cmpx_ne_u32_e32 0x7f, v2
	s_cbranch_execz .LBB216_128
; %bb.125:                              ;   in Loop: Header=BB216_13 Depth=1
	v_and_b32_e32 v28, 7, v1
	v_lshrrev_b32_e32 v1, 3, v2
	s_mov_b32 s27, exec_lo
	v_cmpx_gt_u32_e32 8, v2
; %bb.126:                              ;   in Loop: Header=BB216_13 Depth=1
	v_ffbh_u32_e32 v1, v28
	v_min_u32_e32 v1, 32, v1
	v_subrev_nc_u32_e32 v2, 28, v1
	v_sub_nc_u32_e32 v1, 29, v1
	v_lshlrev_b64 v[2:3], v2, v[28:29]
	v_and_b32_e32 v28, 7, v2
; %bb.127:                              ;   in Loop: Header=BB216_13 Depth=1
	s_or_b32 exec_lo, exec_lo, s27
	v_lshlrev_b32_e32 v0, 16, v0
	v_lshlrev_b32_e32 v2, 20, v28
	v_lshl_add_u32 v1, v1, 23, 0x3c000000
	v_and_b32_e32 v0, 0x80000000, v0
	v_or3_b32 v1, v2, v0, v1
	v_mov_b32_e32 v0, v29
	buffer_store_dword v0, off, s[0:3], s32 offset:324 ; 4-byte Folded Spill
	buffer_store_dword v1, off, s[0:3], s32 offset:328 ; 4-byte Folded Spill
.LBB216_128:                            ;   in Loop: Header=BB216_13 Depth=1
	s_or_b32 exec_lo, exec_lo, s26
.LBB216_129:                            ;   in Loop: Header=BB216_13 Depth=1
	s_or_b32 exec_lo, exec_lo, s25
.LBB216_130:                            ;   in Loop: Header=BB216_13 Depth=1
	s_or_b32 exec_lo, exec_lo, s24
	flat_load_ushort v1, v[33:34] offset:268
	s_waitcnt vmcnt(0) lgkmcnt(0)
	v_and_b32_e32 v0, 0xffff, v1
	v_cmp_ne_u16_sdwa s6, v1, v29 src0_sel:BYTE_0 src1_sel:DWORD
	v_mov_b32_e32 v1, 0
	v_mov_b32_e32 v2, 0
	buffer_store_dword v1, off, s[0:3], s32 offset:340 ; 4-byte Folded Spill
	buffer_store_dword v2, off, s[0:3], s32 offset:344 ; 4-byte Folded Spill
	v_mov_b32_e32 v1, 0
	v_mov_b32_e32 v2, 0
	buffer_store_dword v1, off, s[0:3], s32 offset:332 ; 4-byte Folded Spill
	buffer_store_dword v2, off, s[0:3], s32 offset:336 ; 4-byte Folded Spill
	s_and_saveexec_b32 s24, s6
	s_cbranch_execz .LBB216_138
; %bb.131:                              ;   in Loop: Header=BB216_13 Depth=1
	v_bfrev_b32_e32 v1, 1
	v_mov_b32_e32 v2, 0
	v_cmp_ne_u16_sdwa s6, v0, v64 src0_sel:BYTE_0 src1_sel:DWORD
	buffer_store_dword v1, off, s[0:3], s32 offset:332 ; 4-byte Folded Spill
	buffer_store_dword v2, off, s[0:3], s32 offset:336 ; 4-byte Folded Spill
	s_and_saveexec_b32 s25, s6
	s_cbranch_execz .LBB216_137
; %bb.132:                              ;   in Loop: Header=BB216_13 Depth=1
	v_mov_b32_e32 v3, 0x7f800001
	v_and_b32_e32 v2, 0x7f, v0
	v_mov_b32_e32 v4, 0
	s_mov_b32 s26, exec_lo
	buffer_store_dword v3, off, s[0:3], s32 offset:332 ; 4-byte Folded Spill
	buffer_store_dword v4, off, s[0:3], s32 offset:336 ; 4-byte Folded Spill
	v_cmpx_ne_u32_e32 0x7f, v2
	s_cbranch_execz .LBB216_136
; %bb.133:                              ;   in Loop: Header=BB216_13 Depth=1
	v_and_b32_e32 v28, 7, v0
	v_lshrrev_b32_e32 v1, 3, v2
	s_mov_b32 s27, exec_lo
	v_cmpx_gt_u32_e32 8, v2
; %bb.134:                              ;   in Loop: Header=BB216_13 Depth=1
	v_ffbh_u32_e32 v1, v28
	v_min_u32_e32 v1, 32, v1
	v_subrev_nc_u32_e32 v2, 28, v1
	v_sub_nc_u32_e32 v1, 29, v1
	v_lshlrev_b64 v[2:3], v2, v[28:29]
	v_and_b32_e32 v28, 7, v2
; %bb.135:                              ;   in Loop: Header=BB216_13 Depth=1
	s_or_b32 exec_lo, exec_lo, s27
	v_lshlrev_b32_e32 v2, 24, v0
	v_lshlrev_b32_e32 v3, 20, v28
	v_lshl_add_u32 v1, v1, 23, 0x3c000000
	v_and_b32_e32 v2, 0x80000000, v2
	v_or3_b32 v28, v3, v2, v1
	buffer_store_dword v28, off, s[0:3], s32 offset:332 ; 4-byte Folded Spill
	buffer_store_dword v29, off, s[0:3], s32 offset:336 ; 4-byte Folded Spill
.LBB216_136:                            ;   in Loop: Header=BB216_13 Depth=1
	s_or_b32 exec_lo, exec_lo, s26
.LBB216_137:                            ;   in Loop: Header=BB216_13 Depth=1
	s_or_b32 exec_lo, exec_lo, s25
.LBB216_138:                            ;   in Loop: Header=BB216_13 Depth=1
	s_or_b32 exec_lo, exec_lo, s24
	v_cmp_ne_u16_sdwa s6, v0, v29 src0_sel:BYTE_1 src1_sel:DWORD
	s_and_saveexec_b32 s24, s6
	s_cbranch_execz .LBB216_146
; %bb.139:                              ;   in Loop: Header=BB216_13 Depth=1
	v_mov_b32_e32 v39, v29
	v_cmp_ne_u16_sdwa s6, v0, v64 src0_sel:BYTE_1 src1_sel:DWORD
	buffer_store_dword v39, off, s[0:3], s32 offset:340 ; 4-byte Folded Spill
	buffer_store_dword v40, off, s[0:3], s32 offset:344 ; 4-byte Folded Spill
	s_and_saveexec_b32 s25, s6
	s_cbranch_execz .LBB216_145
; %bb.140:                              ;   in Loop: Header=BB216_13 Depth=1
	v_mov_b32_e32 v1, 0xffff
	v_mov_b32_e32 v52, v29
	s_mov_b32 s26, exec_lo
	buffer_store_dword v52, off, s[0:3], s32 offset:340 ; 4-byte Folded Spill
	buffer_store_dword v53, off, s[0:3], s32 offset:344 ; 4-byte Folded Spill
	v_and_b32_sdwa v1, v1, v0 dst_sel:DWORD dst_unused:UNUSED_PAD src0_sel:DWORD src1_sel:BYTE_1
	v_and_b32_e32 v2, 0x7f, v1
	v_cmpx_ne_u32_e32 0x7f, v2
	s_cbranch_execz .LBB216_144
; %bb.141:                              ;   in Loop: Header=BB216_13 Depth=1
	v_and_b32_e32 v28, 7, v1
	v_lshrrev_b32_e32 v1, 3, v2
	s_mov_b32 s27, exec_lo
	v_cmpx_gt_u32_e32 8, v2
; %bb.142:                              ;   in Loop: Header=BB216_13 Depth=1
	v_ffbh_u32_e32 v1, v28
	v_min_u32_e32 v1, 32, v1
	v_subrev_nc_u32_e32 v2, 28, v1
	v_sub_nc_u32_e32 v1, 29, v1
	v_lshlrev_b64 v[2:3], v2, v[28:29]
	v_and_b32_e32 v28, 7, v2
; %bb.143:                              ;   in Loop: Header=BB216_13 Depth=1
	s_or_b32 exec_lo, exec_lo, s27
	v_lshlrev_b32_e32 v0, 16, v0
	v_lshlrev_b32_e32 v2, 20, v28
	v_lshl_add_u32 v1, v1, 23, 0x3c000000
	v_and_b32_e32 v0, 0x80000000, v0
	v_or3_b32 v1, v2, v0, v1
	v_mov_b32_e32 v0, v29
	buffer_store_dword v0, off, s[0:3], s32 offset:340 ; 4-byte Folded Spill
	buffer_store_dword v1, off, s[0:3], s32 offset:344 ; 4-byte Folded Spill
.LBB216_144:                            ;   in Loop: Header=BB216_13 Depth=1
	s_or_b32 exec_lo, exec_lo, s26
.LBB216_145:                            ;   in Loop: Header=BB216_13 Depth=1
	s_or_b32 exec_lo, exec_lo, s25
.LBB216_146:                            ;   in Loop: Header=BB216_13 Depth=1
	s_or_b32 exec_lo, exec_lo, s24
	flat_load_ushort v1, v[33:34] offset:512
	v_mov_b32_e32 v86, 0
	v_mov_b32_e32 v87, 0
	s_waitcnt vmcnt(0) lgkmcnt(0)
	v_and_b32_e32 v0, 0xffff, v1
	v_cmp_ne_u16_sdwa s6, v1, v29 src0_sel:BYTE_0 src1_sel:DWORD
	v_mov_b32_e32 v1, 0
	v_mov_b32_e32 v2, 0
	buffer_store_dword v1, off, s[0:3], s32 offset:356 ; 4-byte Folded Spill
	buffer_store_dword v2, off, s[0:3], s32 offset:360 ; 4-byte Folded Spill
	s_and_saveexec_b32 s24, s6
	s_cbranch_execz .LBB216_154
; %bb.147:                              ;   in Loop: Header=BB216_13 Depth=1
	v_bfrev_b32_e32 v86, 1
	v_mov_b32_e32 v87, 0
	v_cmp_ne_u16_sdwa s6, v0, v64 src0_sel:BYTE_0 src1_sel:DWORD
	s_and_saveexec_b32 s25, s6
	s_cbranch_execz .LBB216_153
; %bb.148:                              ;   in Loop: Header=BB216_13 Depth=1
	v_mov_b32_e32 v86, 0x7f800001
	v_and_b32_e32 v2, 0x7f, v0
	v_mov_b32_e32 v87, 0
	s_mov_b32 s26, exec_lo
	v_cmpx_ne_u32_e32 0x7f, v2
	s_cbranch_execz .LBB216_152
; %bb.149:                              ;   in Loop: Header=BB216_13 Depth=1
	v_and_b32_e32 v28, 7, v0
	v_lshrrev_b32_e32 v1, 3, v2
	s_mov_b32 s27, exec_lo
	v_cmpx_gt_u32_e32 8, v2
; %bb.150:                              ;   in Loop: Header=BB216_13 Depth=1
	v_ffbh_u32_e32 v1, v28
	v_min_u32_e32 v1, 32, v1
	v_subrev_nc_u32_e32 v2, 28, v1
	v_sub_nc_u32_e32 v1, 29, v1
	v_lshlrev_b64 v[2:3], v2, v[28:29]
	v_and_b32_e32 v28, 7, v2
; %bb.151:                              ;   in Loop: Header=BB216_13 Depth=1
	s_or_b32 exec_lo, exec_lo, s27
	v_lshlrev_b32_e32 v2, 24, v0
	v_lshlrev_b32_e32 v3, 20, v28
	v_lshl_add_u32 v1, v1, 23, 0x3c000000
	v_and_b32_e32 v2, 0x80000000, v2
	v_or3_b32 v28, v3, v2, v1
	v_mov_b32_e32 v87, v29
	v_mov_b32_e32 v86, v28
.LBB216_152:                            ;   in Loop: Header=BB216_13 Depth=1
	s_or_b32 exec_lo, exec_lo, s26
.LBB216_153:                            ;   in Loop: Header=BB216_13 Depth=1
	s_or_b32 exec_lo, exec_lo, s25
.LBB216_154:                            ;   in Loop: Header=BB216_13 Depth=1
	s_or_b32 exec_lo, exec_lo, s24
	v_cmp_ne_u16_sdwa s6, v0, v29 src0_sel:BYTE_1 src1_sel:DWORD
	s_and_saveexec_b32 s24, s6
	s_cbranch_execz .LBB216_162
; %bb.155:                              ;   in Loop: Header=BB216_13 Depth=1
	v_mov_b32_e32 v39, v29
	v_cmp_ne_u16_sdwa s6, v0, v64 src0_sel:BYTE_1 src1_sel:DWORD
	buffer_store_dword v39, off, s[0:3], s32 offset:356 ; 4-byte Folded Spill
	buffer_store_dword v40, off, s[0:3], s32 offset:360 ; 4-byte Folded Spill
	s_and_saveexec_b32 s25, s6
	s_cbranch_execz .LBB216_161
; %bb.156:                              ;   in Loop: Header=BB216_13 Depth=1
	v_mov_b32_e32 v1, 0xffff
	v_mov_b32_e32 v52, v29
	s_mov_b32 s26, exec_lo
	buffer_store_dword v52, off, s[0:3], s32 offset:356 ; 4-byte Folded Spill
	buffer_store_dword v53, off, s[0:3], s32 offset:360 ; 4-byte Folded Spill
	v_and_b32_sdwa v1, v1, v0 dst_sel:DWORD dst_unused:UNUSED_PAD src0_sel:DWORD src1_sel:BYTE_1
	v_and_b32_e32 v2, 0x7f, v1
	v_cmpx_ne_u32_e32 0x7f, v2
	s_cbranch_execz .LBB216_160
; %bb.157:                              ;   in Loop: Header=BB216_13 Depth=1
	v_and_b32_e32 v28, 7, v1
	v_lshrrev_b32_e32 v1, 3, v2
	s_mov_b32 s27, exec_lo
	v_cmpx_gt_u32_e32 8, v2
; %bb.158:                              ;   in Loop: Header=BB216_13 Depth=1
	v_ffbh_u32_e32 v1, v28
	v_min_u32_e32 v1, 32, v1
	v_subrev_nc_u32_e32 v2, 28, v1
	v_sub_nc_u32_e32 v1, 29, v1
	v_lshlrev_b64 v[2:3], v2, v[28:29]
	v_and_b32_e32 v28, 7, v2
; %bb.159:                              ;   in Loop: Header=BB216_13 Depth=1
	s_or_b32 exec_lo, exec_lo, s27
	v_lshlrev_b32_e32 v0, 16, v0
	v_lshlrev_b32_e32 v2, 20, v28
	v_lshl_add_u32 v1, v1, 23, 0x3c000000
	v_and_b32_e32 v0, 0x80000000, v0
	v_or3_b32 v1, v2, v0, v1
	v_mov_b32_e32 v0, v29
	buffer_store_dword v0, off, s[0:3], s32 offset:356 ; 4-byte Folded Spill
	buffer_store_dword v1, off, s[0:3], s32 offset:360 ; 4-byte Folded Spill
.LBB216_160:                            ;   in Loop: Header=BB216_13 Depth=1
	s_or_b32 exec_lo, exec_lo, s26
.LBB216_161:                            ;   in Loop: Header=BB216_13 Depth=1
	s_or_b32 exec_lo, exec_lo, s25
.LBB216_162:                            ;   in Loop: Header=BB216_13 Depth=1
	s_or_b32 exec_lo, exec_lo, s24
	flat_load_ushort v1, v[33:34] offset:516
	s_waitcnt vmcnt(0) lgkmcnt(0)
	v_and_b32_e32 v0, 0xffff, v1
	v_cmp_ne_u16_sdwa s6, v1, v29 src0_sel:BYTE_0 src1_sel:DWORD
	v_mov_b32_e32 v1, 0
	v_mov_b32_e32 v2, 0
	buffer_store_dword v1, off, s[0:3], s32 offset:372 ; 4-byte Folded Spill
	buffer_store_dword v2, off, s[0:3], s32 offset:376 ; 4-byte Folded Spill
	v_mov_b32_e32 v1, 0
	v_mov_b32_e32 v2, 0
	buffer_store_dword v1, off, s[0:3], s32 offset:364 ; 4-byte Folded Spill
	buffer_store_dword v2, off, s[0:3], s32 offset:368 ; 4-byte Folded Spill
	s_and_saveexec_b32 s24, s6
	s_cbranch_execz .LBB216_170
; %bb.163:                              ;   in Loop: Header=BB216_13 Depth=1
	v_bfrev_b32_e32 v1, 1
	v_mov_b32_e32 v2, 0
	v_cmp_ne_u16_sdwa s6, v0, v64 src0_sel:BYTE_0 src1_sel:DWORD
	buffer_store_dword v1, off, s[0:3], s32 offset:364 ; 4-byte Folded Spill
	buffer_store_dword v2, off, s[0:3], s32 offset:368 ; 4-byte Folded Spill
	s_and_saveexec_b32 s25, s6
	s_cbranch_execz .LBB216_169
; %bb.164:                              ;   in Loop: Header=BB216_13 Depth=1
	v_mov_b32_e32 v3, 0x7f800001
	v_and_b32_e32 v2, 0x7f, v0
	v_mov_b32_e32 v4, 0
	s_mov_b32 s26, exec_lo
	buffer_store_dword v3, off, s[0:3], s32 offset:364 ; 4-byte Folded Spill
	buffer_store_dword v4, off, s[0:3], s32 offset:368 ; 4-byte Folded Spill
	v_cmpx_ne_u32_e32 0x7f, v2
	s_cbranch_execz .LBB216_168
; %bb.165:                              ;   in Loop: Header=BB216_13 Depth=1
	v_and_b32_e32 v28, 7, v0
	v_lshrrev_b32_e32 v1, 3, v2
	s_mov_b32 s27, exec_lo
	v_cmpx_gt_u32_e32 8, v2
; %bb.166:                              ;   in Loop: Header=BB216_13 Depth=1
	v_ffbh_u32_e32 v1, v28
	v_min_u32_e32 v1, 32, v1
	v_subrev_nc_u32_e32 v2, 28, v1
	v_sub_nc_u32_e32 v1, 29, v1
	v_lshlrev_b64 v[2:3], v2, v[28:29]
	v_and_b32_e32 v28, 7, v2
; %bb.167:                              ;   in Loop: Header=BB216_13 Depth=1
	s_or_b32 exec_lo, exec_lo, s27
	v_lshlrev_b32_e32 v2, 24, v0
	v_lshlrev_b32_e32 v3, 20, v28
	v_lshl_add_u32 v1, v1, 23, 0x3c000000
	v_and_b32_e32 v2, 0x80000000, v2
	v_or3_b32 v28, v3, v2, v1
	buffer_store_dword v28, off, s[0:3], s32 offset:364 ; 4-byte Folded Spill
	buffer_store_dword v29, off, s[0:3], s32 offset:368 ; 4-byte Folded Spill
.LBB216_168:                            ;   in Loop: Header=BB216_13 Depth=1
	s_or_b32 exec_lo, exec_lo, s26
.LBB216_169:                            ;   in Loop: Header=BB216_13 Depth=1
	s_or_b32 exec_lo, exec_lo, s25
.LBB216_170:                            ;   in Loop: Header=BB216_13 Depth=1
	s_or_b32 exec_lo, exec_lo, s24
	v_cmp_ne_u16_sdwa s6, v0, v29 src0_sel:BYTE_1 src1_sel:DWORD
	s_and_saveexec_b32 s24, s6
	s_cbranch_execz .LBB216_178
; %bb.171:                              ;   in Loop: Header=BB216_13 Depth=1
	v_mov_b32_e32 v39, v29
	v_cmp_ne_u16_sdwa s6, v0, v64 src0_sel:BYTE_1 src1_sel:DWORD
	buffer_store_dword v39, off, s[0:3], s32 offset:372 ; 4-byte Folded Spill
	buffer_store_dword v40, off, s[0:3], s32 offset:376 ; 4-byte Folded Spill
	s_and_saveexec_b32 s25, s6
	s_cbranch_execz .LBB216_177
; %bb.172:                              ;   in Loop: Header=BB216_13 Depth=1
	v_mov_b32_e32 v1, 0xffff
	v_mov_b32_e32 v52, v29
	s_mov_b32 s26, exec_lo
	buffer_store_dword v52, off, s[0:3], s32 offset:372 ; 4-byte Folded Spill
	buffer_store_dword v53, off, s[0:3], s32 offset:376 ; 4-byte Folded Spill
	v_and_b32_sdwa v1, v1, v0 dst_sel:DWORD dst_unused:UNUSED_PAD src0_sel:DWORD src1_sel:BYTE_1
	v_and_b32_e32 v2, 0x7f, v1
	v_cmpx_ne_u32_e32 0x7f, v2
	s_cbranch_execz .LBB216_176
; %bb.173:                              ;   in Loop: Header=BB216_13 Depth=1
	v_and_b32_e32 v28, 7, v1
	v_lshrrev_b32_e32 v1, 3, v2
	s_mov_b32 s27, exec_lo
	v_cmpx_gt_u32_e32 8, v2
; %bb.174:                              ;   in Loop: Header=BB216_13 Depth=1
	v_ffbh_u32_e32 v1, v28
	v_min_u32_e32 v1, 32, v1
	v_subrev_nc_u32_e32 v2, 28, v1
	v_sub_nc_u32_e32 v1, 29, v1
	v_lshlrev_b64 v[2:3], v2, v[28:29]
	v_and_b32_e32 v28, 7, v2
; %bb.175:                              ;   in Loop: Header=BB216_13 Depth=1
	s_or_b32 exec_lo, exec_lo, s27
	v_lshlrev_b32_e32 v0, 16, v0
	v_lshlrev_b32_e32 v2, 20, v28
	v_lshl_add_u32 v1, v1, 23, 0x3c000000
	v_and_b32_e32 v0, 0x80000000, v0
	v_or3_b32 v1, v2, v0, v1
	v_mov_b32_e32 v0, v29
	buffer_store_dword v0, off, s[0:3], s32 offset:372 ; 4-byte Folded Spill
	buffer_store_dword v1, off, s[0:3], s32 offset:376 ; 4-byte Folded Spill
.LBB216_176:                            ;   in Loop: Header=BB216_13 Depth=1
	s_or_b32 exec_lo, exec_lo, s26
.LBB216_177:                            ;   in Loop: Header=BB216_13 Depth=1
	s_or_b32 exec_lo, exec_lo, s25
.LBB216_178:                            ;   in Loop: Header=BB216_13 Depth=1
	s_or_b32 exec_lo, exec_lo, s24
	flat_load_ushort v1, v[33:34] offset:520
	s_waitcnt vmcnt(0) lgkmcnt(0)
	v_and_b32_e32 v0, 0xffff, v1
	v_cmp_ne_u16_sdwa s6, v1, v29 src0_sel:BYTE_0 src1_sel:DWORD
	v_mov_b32_e32 v1, 0
	v_mov_b32_e32 v2, 0
	buffer_store_dword v1, off, s[0:3], s32 offset:388 ; 4-byte Folded Spill
	buffer_store_dword v2, off, s[0:3], s32 offset:392 ; 4-byte Folded Spill
	v_mov_b32_e32 v1, 0
	v_mov_b32_e32 v2, 0
	buffer_store_dword v1, off, s[0:3], s32 offset:380 ; 4-byte Folded Spill
	buffer_store_dword v2, off, s[0:3], s32 offset:384 ; 4-byte Folded Spill
	s_and_saveexec_b32 s24, s6
	s_cbranch_execz .LBB216_186
; %bb.179:                              ;   in Loop: Header=BB216_13 Depth=1
	v_bfrev_b32_e32 v1, 1
	v_mov_b32_e32 v2, 0
	v_cmp_ne_u16_sdwa s6, v0, v64 src0_sel:BYTE_0 src1_sel:DWORD
	buffer_store_dword v1, off, s[0:3], s32 offset:380 ; 4-byte Folded Spill
	buffer_store_dword v2, off, s[0:3], s32 offset:384 ; 4-byte Folded Spill
	s_and_saveexec_b32 s25, s6
	s_cbranch_execz .LBB216_185
; %bb.180:                              ;   in Loop: Header=BB216_13 Depth=1
	v_mov_b32_e32 v3, 0x7f800001
	v_and_b32_e32 v2, 0x7f, v0
	v_mov_b32_e32 v4, 0
	s_mov_b32 s26, exec_lo
	buffer_store_dword v3, off, s[0:3], s32 offset:380 ; 4-byte Folded Spill
	buffer_store_dword v4, off, s[0:3], s32 offset:384 ; 4-byte Folded Spill
	v_cmpx_ne_u32_e32 0x7f, v2
	s_cbranch_execz .LBB216_184
; %bb.181:                              ;   in Loop: Header=BB216_13 Depth=1
	v_and_b32_e32 v28, 7, v0
	v_lshrrev_b32_e32 v1, 3, v2
	s_mov_b32 s27, exec_lo
	v_cmpx_gt_u32_e32 8, v2
; %bb.182:                              ;   in Loop: Header=BB216_13 Depth=1
	v_ffbh_u32_e32 v1, v28
	v_min_u32_e32 v1, 32, v1
	v_subrev_nc_u32_e32 v2, 28, v1
	v_sub_nc_u32_e32 v1, 29, v1
	v_lshlrev_b64 v[2:3], v2, v[28:29]
	v_and_b32_e32 v28, 7, v2
; %bb.183:                              ;   in Loop: Header=BB216_13 Depth=1
	s_or_b32 exec_lo, exec_lo, s27
	v_lshlrev_b32_e32 v2, 24, v0
	v_lshlrev_b32_e32 v3, 20, v28
	v_lshl_add_u32 v1, v1, 23, 0x3c000000
	v_and_b32_e32 v2, 0x80000000, v2
	v_or3_b32 v28, v3, v2, v1
	buffer_store_dword v28, off, s[0:3], s32 offset:380 ; 4-byte Folded Spill
	buffer_store_dword v29, off, s[0:3], s32 offset:384 ; 4-byte Folded Spill
.LBB216_184:                            ;   in Loop: Header=BB216_13 Depth=1
	s_or_b32 exec_lo, exec_lo, s26
.LBB216_185:                            ;   in Loop: Header=BB216_13 Depth=1
	s_or_b32 exec_lo, exec_lo, s25
.LBB216_186:                            ;   in Loop: Header=BB216_13 Depth=1
	s_or_b32 exec_lo, exec_lo, s24
	v_cmp_ne_u16_sdwa s6, v0, v29 src0_sel:BYTE_1 src1_sel:DWORD
	s_and_saveexec_b32 s24, s6
	s_cbranch_execz .LBB216_194
; %bb.187:                              ;   in Loop: Header=BB216_13 Depth=1
	v_mov_b32_e32 v39, v29
	v_cmp_ne_u16_sdwa s6, v0, v64 src0_sel:BYTE_1 src1_sel:DWORD
	buffer_store_dword v39, off, s[0:3], s32 offset:388 ; 4-byte Folded Spill
	buffer_store_dword v40, off, s[0:3], s32 offset:392 ; 4-byte Folded Spill
	s_and_saveexec_b32 s25, s6
	s_cbranch_execz .LBB216_193
; %bb.188:                              ;   in Loop: Header=BB216_13 Depth=1
	v_mov_b32_e32 v1, 0xffff
	v_mov_b32_e32 v52, v29
	s_mov_b32 s26, exec_lo
	buffer_store_dword v52, off, s[0:3], s32 offset:388 ; 4-byte Folded Spill
	buffer_store_dword v53, off, s[0:3], s32 offset:392 ; 4-byte Folded Spill
	v_and_b32_sdwa v1, v1, v0 dst_sel:DWORD dst_unused:UNUSED_PAD src0_sel:DWORD src1_sel:BYTE_1
	v_and_b32_e32 v2, 0x7f, v1
	v_cmpx_ne_u32_e32 0x7f, v2
	s_cbranch_execz .LBB216_192
; %bb.189:                              ;   in Loop: Header=BB216_13 Depth=1
	v_and_b32_e32 v28, 7, v1
	v_lshrrev_b32_e32 v1, 3, v2
	s_mov_b32 s27, exec_lo
	v_cmpx_gt_u32_e32 8, v2
; %bb.190:                              ;   in Loop: Header=BB216_13 Depth=1
	v_ffbh_u32_e32 v1, v28
	v_min_u32_e32 v1, 32, v1
	v_subrev_nc_u32_e32 v2, 28, v1
	v_sub_nc_u32_e32 v1, 29, v1
	v_lshlrev_b64 v[2:3], v2, v[28:29]
	v_and_b32_e32 v28, 7, v2
; %bb.191:                              ;   in Loop: Header=BB216_13 Depth=1
	s_or_b32 exec_lo, exec_lo, s27
	v_lshlrev_b32_e32 v0, 16, v0
	v_lshlrev_b32_e32 v2, 20, v28
	v_lshl_add_u32 v1, v1, 23, 0x3c000000
	v_and_b32_e32 v0, 0x80000000, v0
	v_or3_b32 v1, v2, v0, v1
	v_mov_b32_e32 v0, v29
	buffer_store_dword v0, off, s[0:3], s32 offset:388 ; 4-byte Folded Spill
	buffer_store_dword v1, off, s[0:3], s32 offset:392 ; 4-byte Folded Spill
.LBB216_192:                            ;   in Loop: Header=BB216_13 Depth=1
	s_or_b32 exec_lo, exec_lo, s26
.LBB216_193:                            ;   in Loop: Header=BB216_13 Depth=1
	s_or_b32 exec_lo, exec_lo, s25
.LBB216_194:                            ;   in Loop: Header=BB216_13 Depth=1
	s_or_b32 exec_lo, exec_lo, s24
	flat_load_ushort v1, v[33:34] offset:524
	s_waitcnt vmcnt(0) lgkmcnt(0)
	v_and_b32_e32 v0, 0xffff, v1
	v_cmp_ne_u16_sdwa s6, v1, v29 src0_sel:BYTE_0 src1_sel:DWORD
	v_mov_b32_e32 v1, 0
	v_mov_b32_e32 v2, 0
	buffer_store_dword v1, off, s[0:3], s32 offset:404 ; 4-byte Folded Spill
	buffer_store_dword v2, off, s[0:3], s32 offset:408 ; 4-byte Folded Spill
	v_mov_b32_e32 v1, 0
	v_mov_b32_e32 v2, 0
	buffer_store_dword v1, off, s[0:3], s32 offset:396 ; 4-byte Folded Spill
	buffer_store_dword v2, off, s[0:3], s32 offset:400 ; 4-byte Folded Spill
	s_and_saveexec_b32 s24, s6
	s_cbranch_execz .LBB216_202
; %bb.195:                              ;   in Loop: Header=BB216_13 Depth=1
	v_bfrev_b32_e32 v1, 1
	v_mov_b32_e32 v2, 0
	v_cmp_ne_u16_sdwa s6, v0, v64 src0_sel:BYTE_0 src1_sel:DWORD
	buffer_store_dword v1, off, s[0:3], s32 offset:396 ; 4-byte Folded Spill
	buffer_store_dword v2, off, s[0:3], s32 offset:400 ; 4-byte Folded Spill
	s_and_saveexec_b32 s25, s6
	s_cbranch_execz .LBB216_201
; %bb.196:                              ;   in Loop: Header=BB216_13 Depth=1
	v_mov_b32_e32 v3, 0x7f800001
	v_and_b32_e32 v2, 0x7f, v0
	v_mov_b32_e32 v4, 0
	s_mov_b32 s26, exec_lo
	buffer_store_dword v3, off, s[0:3], s32 offset:396 ; 4-byte Folded Spill
	buffer_store_dword v4, off, s[0:3], s32 offset:400 ; 4-byte Folded Spill
	v_cmpx_ne_u32_e32 0x7f, v2
	s_cbranch_execz .LBB216_200
; %bb.197:                              ;   in Loop: Header=BB216_13 Depth=1
	v_and_b32_e32 v28, 7, v0
	v_lshrrev_b32_e32 v1, 3, v2
	s_mov_b32 s27, exec_lo
	v_cmpx_gt_u32_e32 8, v2
; %bb.198:                              ;   in Loop: Header=BB216_13 Depth=1
	v_ffbh_u32_e32 v1, v28
	v_min_u32_e32 v1, 32, v1
	v_subrev_nc_u32_e32 v2, 28, v1
	v_sub_nc_u32_e32 v1, 29, v1
	v_lshlrev_b64 v[2:3], v2, v[28:29]
	v_and_b32_e32 v28, 7, v2
; %bb.199:                              ;   in Loop: Header=BB216_13 Depth=1
	s_or_b32 exec_lo, exec_lo, s27
	v_lshlrev_b32_e32 v2, 24, v0
	v_lshlrev_b32_e32 v3, 20, v28
	v_lshl_add_u32 v1, v1, 23, 0x3c000000
	v_and_b32_e32 v2, 0x80000000, v2
	v_or3_b32 v28, v3, v2, v1
	buffer_store_dword v28, off, s[0:3], s32 offset:396 ; 4-byte Folded Spill
	buffer_store_dword v29, off, s[0:3], s32 offset:400 ; 4-byte Folded Spill
.LBB216_200:                            ;   in Loop: Header=BB216_13 Depth=1
	s_or_b32 exec_lo, exec_lo, s26
.LBB216_201:                            ;   in Loop: Header=BB216_13 Depth=1
	s_or_b32 exec_lo, exec_lo, s25
.LBB216_202:                            ;   in Loop: Header=BB216_13 Depth=1
	s_or_b32 exec_lo, exec_lo, s24
	v_cmp_ne_u16_sdwa s6, v0, v29 src0_sel:BYTE_1 src1_sel:DWORD
	s_and_saveexec_b32 s24, s6
	s_cbranch_execz .LBB216_210
; %bb.203:                              ;   in Loop: Header=BB216_13 Depth=1
	v_mov_b32_e32 v39, v29
	v_cmp_ne_u16_sdwa s6, v0, v64 src0_sel:BYTE_1 src1_sel:DWORD
	buffer_store_dword v39, off, s[0:3], s32 offset:404 ; 4-byte Folded Spill
	buffer_store_dword v40, off, s[0:3], s32 offset:408 ; 4-byte Folded Spill
	s_and_saveexec_b32 s25, s6
	s_cbranch_execz .LBB216_209
; %bb.204:                              ;   in Loop: Header=BB216_13 Depth=1
	v_mov_b32_e32 v1, 0xffff
	v_mov_b32_e32 v52, v29
	s_mov_b32 s26, exec_lo
	buffer_store_dword v52, off, s[0:3], s32 offset:404 ; 4-byte Folded Spill
	buffer_store_dword v53, off, s[0:3], s32 offset:408 ; 4-byte Folded Spill
	v_and_b32_sdwa v1, v1, v0 dst_sel:DWORD dst_unused:UNUSED_PAD src0_sel:DWORD src1_sel:BYTE_1
	v_and_b32_e32 v2, 0x7f, v1
	v_cmpx_ne_u32_e32 0x7f, v2
	s_cbranch_execz .LBB216_208
; %bb.205:                              ;   in Loop: Header=BB216_13 Depth=1
	v_and_b32_e32 v28, 7, v1
	v_lshrrev_b32_e32 v1, 3, v2
	s_mov_b32 s27, exec_lo
	v_cmpx_gt_u32_e32 8, v2
; %bb.206:                              ;   in Loop: Header=BB216_13 Depth=1
	v_ffbh_u32_e32 v1, v28
	v_min_u32_e32 v1, 32, v1
	v_subrev_nc_u32_e32 v2, 28, v1
	v_sub_nc_u32_e32 v1, 29, v1
	v_lshlrev_b64 v[2:3], v2, v[28:29]
	v_and_b32_e32 v28, 7, v2
; %bb.207:                              ;   in Loop: Header=BB216_13 Depth=1
	s_or_b32 exec_lo, exec_lo, s27
	v_lshlrev_b32_e32 v0, 16, v0
	v_lshlrev_b32_e32 v2, 20, v28
	v_lshl_add_u32 v1, v1, 23, 0x3c000000
	v_and_b32_e32 v0, 0x80000000, v0
	v_or3_b32 v1, v2, v0, v1
	v_mov_b32_e32 v0, v29
	buffer_store_dword v0, off, s[0:3], s32 offset:404 ; 4-byte Folded Spill
	buffer_store_dword v1, off, s[0:3], s32 offset:408 ; 4-byte Folded Spill
.LBB216_208:                            ;   in Loop: Header=BB216_13 Depth=1
	s_or_b32 exec_lo, exec_lo, s26
.LBB216_209:                            ;   in Loop: Header=BB216_13 Depth=1
	s_or_b32 exec_lo, exec_lo, s25
.LBB216_210:                            ;   in Loop: Header=BB216_13 Depth=1
	s_or_b32 exec_lo, exec_lo, s24
	flat_load_ushort v1, v[33:34] offset:768
	s_waitcnt vmcnt(0) lgkmcnt(0)
	v_and_b32_e32 v0, 0xffff, v1
	v_cmp_ne_u16_sdwa s6, v1, v29 src0_sel:BYTE_0 src1_sel:DWORD
	v_mov_b32_e32 v1, 0
	v_mov_b32_e32 v2, 0
	buffer_store_dword v1, off, s[0:3], s32 offset:420 ; 4-byte Folded Spill
	buffer_store_dword v2, off, s[0:3], s32 offset:424 ; 4-byte Folded Spill
	v_mov_b32_e32 v1, 0
	v_mov_b32_e32 v2, 0
	buffer_store_dword v1, off, s[0:3], s32 offset:412 ; 4-byte Folded Spill
	buffer_store_dword v2, off, s[0:3], s32 offset:416 ; 4-byte Folded Spill
	s_and_saveexec_b32 s24, s6
	s_cbranch_execz .LBB216_218
; %bb.211:                              ;   in Loop: Header=BB216_13 Depth=1
	v_bfrev_b32_e32 v1, 1
	v_mov_b32_e32 v2, 0
	v_cmp_ne_u16_sdwa s6, v0, v64 src0_sel:BYTE_0 src1_sel:DWORD
	buffer_store_dword v1, off, s[0:3], s32 offset:412 ; 4-byte Folded Spill
	buffer_store_dword v2, off, s[0:3], s32 offset:416 ; 4-byte Folded Spill
	s_and_saveexec_b32 s25, s6
	s_cbranch_execz .LBB216_217
; %bb.212:                              ;   in Loop: Header=BB216_13 Depth=1
	v_mov_b32_e32 v3, 0x7f800001
	v_and_b32_e32 v2, 0x7f, v0
	v_mov_b32_e32 v4, 0
	s_mov_b32 s26, exec_lo
	buffer_store_dword v3, off, s[0:3], s32 offset:412 ; 4-byte Folded Spill
	buffer_store_dword v4, off, s[0:3], s32 offset:416 ; 4-byte Folded Spill
	v_cmpx_ne_u32_e32 0x7f, v2
	s_cbranch_execz .LBB216_216
; %bb.213:                              ;   in Loop: Header=BB216_13 Depth=1
	v_and_b32_e32 v28, 7, v0
	v_lshrrev_b32_e32 v1, 3, v2
	s_mov_b32 s27, exec_lo
	v_cmpx_gt_u32_e32 8, v2
; %bb.214:                              ;   in Loop: Header=BB216_13 Depth=1
	v_ffbh_u32_e32 v1, v28
	v_min_u32_e32 v1, 32, v1
	v_subrev_nc_u32_e32 v2, 28, v1
	v_sub_nc_u32_e32 v1, 29, v1
	v_lshlrev_b64 v[2:3], v2, v[28:29]
	v_and_b32_e32 v28, 7, v2
; %bb.215:                              ;   in Loop: Header=BB216_13 Depth=1
	s_or_b32 exec_lo, exec_lo, s27
	v_lshlrev_b32_e32 v2, 24, v0
	v_lshlrev_b32_e32 v3, 20, v28
	v_lshl_add_u32 v1, v1, 23, 0x3c000000
	v_and_b32_e32 v2, 0x80000000, v2
	v_or3_b32 v28, v3, v2, v1
	buffer_store_dword v28, off, s[0:3], s32 offset:412 ; 4-byte Folded Spill
	buffer_store_dword v29, off, s[0:3], s32 offset:416 ; 4-byte Folded Spill
.LBB216_216:                            ;   in Loop: Header=BB216_13 Depth=1
	s_or_b32 exec_lo, exec_lo, s26
.LBB216_217:                            ;   in Loop: Header=BB216_13 Depth=1
	s_or_b32 exec_lo, exec_lo, s25
.LBB216_218:                            ;   in Loop: Header=BB216_13 Depth=1
	s_or_b32 exec_lo, exec_lo, s24
	v_cmp_ne_u16_sdwa s6, v0, v29 src0_sel:BYTE_1 src1_sel:DWORD
	s_and_saveexec_b32 s24, s6
	s_cbranch_execz .LBB216_226
; %bb.219:                              ;   in Loop: Header=BB216_13 Depth=1
	v_mov_b32_e32 v39, v29
	v_cmp_ne_u16_sdwa s6, v0, v64 src0_sel:BYTE_1 src1_sel:DWORD
	buffer_store_dword v39, off, s[0:3], s32 offset:420 ; 4-byte Folded Spill
	buffer_store_dword v40, off, s[0:3], s32 offset:424 ; 4-byte Folded Spill
	s_and_saveexec_b32 s25, s6
	s_cbranch_execz .LBB216_225
; %bb.220:                              ;   in Loop: Header=BB216_13 Depth=1
	v_mov_b32_e32 v1, 0xffff
	v_mov_b32_e32 v52, v29
	s_mov_b32 s26, exec_lo
	buffer_store_dword v52, off, s[0:3], s32 offset:420 ; 4-byte Folded Spill
	buffer_store_dword v53, off, s[0:3], s32 offset:424 ; 4-byte Folded Spill
	v_and_b32_sdwa v1, v1, v0 dst_sel:DWORD dst_unused:UNUSED_PAD src0_sel:DWORD src1_sel:BYTE_1
	v_and_b32_e32 v2, 0x7f, v1
	v_cmpx_ne_u32_e32 0x7f, v2
	s_cbranch_execz .LBB216_224
; %bb.221:                              ;   in Loop: Header=BB216_13 Depth=1
	v_and_b32_e32 v28, 7, v1
	v_lshrrev_b32_e32 v1, 3, v2
	s_mov_b32 s27, exec_lo
	v_cmpx_gt_u32_e32 8, v2
; %bb.222:                              ;   in Loop: Header=BB216_13 Depth=1
	v_ffbh_u32_e32 v1, v28
	v_min_u32_e32 v1, 32, v1
	v_subrev_nc_u32_e32 v2, 28, v1
	v_sub_nc_u32_e32 v1, 29, v1
	v_lshlrev_b64 v[2:3], v2, v[28:29]
	v_and_b32_e32 v28, 7, v2
; %bb.223:                              ;   in Loop: Header=BB216_13 Depth=1
	s_or_b32 exec_lo, exec_lo, s27
	v_lshlrev_b32_e32 v0, 16, v0
	v_lshlrev_b32_e32 v2, 20, v28
	v_lshl_add_u32 v1, v1, 23, 0x3c000000
	v_and_b32_e32 v0, 0x80000000, v0
	v_or3_b32 v1, v2, v0, v1
	v_mov_b32_e32 v0, v29
	buffer_store_dword v0, off, s[0:3], s32 offset:420 ; 4-byte Folded Spill
	buffer_store_dword v1, off, s[0:3], s32 offset:424 ; 4-byte Folded Spill
.LBB216_224:                            ;   in Loop: Header=BB216_13 Depth=1
	s_or_b32 exec_lo, exec_lo, s26
.LBB216_225:                            ;   in Loop: Header=BB216_13 Depth=1
	s_or_b32 exec_lo, exec_lo, s25
.LBB216_226:                            ;   in Loop: Header=BB216_13 Depth=1
	s_or_b32 exec_lo, exec_lo, s24
	flat_load_ushort v1, v[33:34] offset:772
	s_waitcnt vmcnt(0) lgkmcnt(0)
	v_and_b32_e32 v0, 0xffff, v1
	v_cmp_ne_u16_sdwa s6, v1, v29 src0_sel:BYTE_0 src1_sel:DWORD
	v_mov_b32_e32 v1, 0
	v_mov_b32_e32 v2, 0
	buffer_store_dword v1, off, s[0:3], s32 offset:436 ; 4-byte Folded Spill
	buffer_store_dword v2, off, s[0:3], s32 offset:440 ; 4-byte Folded Spill
	v_mov_b32_e32 v1, 0
	v_mov_b32_e32 v2, 0
	buffer_store_dword v1, off, s[0:3], s32 offset:428 ; 4-byte Folded Spill
	buffer_store_dword v2, off, s[0:3], s32 offset:432 ; 4-byte Folded Spill
	s_and_saveexec_b32 s24, s6
	s_cbranch_execz .LBB216_234
; %bb.227:                              ;   in Loop: Header=BB216_13 Depth=1
	v_bfrev_b32_e32 v1, 1
	v_mov_b32_e32 v2, 0
	v_cmp_ne_u16_sdwa s6, v0, v64 src0_sel:BYTE_0 src1_sel:DWORD
	buffer_store_dword v1, off, s[0:3], s32 offset:428 ; 4-byte Folded Spill
	buffer_store_dword v2, off, s[0:3], s32 offset:432 ; 4-byte Folded Spill
	s_and_saveexec_b32 s25, s6
	s_cbranch_execz .LBB216_233
; %bb.228:                              ;   in Loop: Header=BB216_13 Depth=1
	v_mov_b32_e32 v3, 0x7f800001
	v_and_b32_e32 v2, 0x7f, v0
	v_mov_b32_e32 v4, 0
	s_mov_b32 s26, exec_lo
	buffer_store_dword v3, off, s[0:3], s32 offset:428 ; 4-byte Folded Spill
	buffer_store_dword v4, off, s[0:3], s32 offset:432 ; 4-byte Folded Spill
	v_cmpx_ne_u32_e32 0x7f, v2
	s_cbranch_execz .LBB216_232
; %bb.229:                              ;   in Loop: Header=BB216_13 Depth=1
	v_and_b32_e32 v28, 7, v0
	v_lshrrev_b32_e32 v1, 3, v2
	s_mov_b32 s27, exec_lo
	v_cmpx_gt_u32_e32 8, v2
; %bb.230:                              ;   in Loop: Header=BB216_13 Depth=1
	v_ffbh_u32_e32 v1, v28
	v_min_u32_e32 v1, 32, v1
	v_subrev_nc_u32_e32 v2, 28, v1
	v_sub_nc_u32_e32 v1, 29, v1
	v_lshlrev_b64 v[2:3], v2, v[28:29]
	v_and_b32_e32 v28, 7, v2
; %bb.231:                              ;   in Loop: Header=BB216_13 Depth=1
	s_or_b32 exec_lo, exec_lo, s27
	v_lshlrev_b32_e32 v2, 24, v0
	v_lshlrev_b32_e32 v3, 20, v28
	v_lshl_add_u32 v1, v1, 23, 0x3c000000
	v_and_b32_e32 v2, 0x80000000, v2
	v_or3_b32 v28, v3, v2, v1
	buffer_store_dword v28, off, s[0:3], s32 offset:428 ; 4-byte Folded Spill
	buffer_store_dword v29, off, s[0:3], s32 offset:432 ; 4-byte Folded Spill
.LBB216_232:                            ;   in Loop: Header=BB216_13 Depth=1
	s_or_b32 exec_lo, exec_lo, s26
.LBB216_233:                            ;   in Loop: Header=BB216_13 Depth=1
	s_or_b32 exec_lo, exec_lo, s25
.LBB216_234:                            ;   in Loop: Header=BB216_13 Depth=1
	s_or_b32 exec_lo, exec_lo, s24
	v_cmp_ne_u16_sdwa s6, v0, v29 src0_sel:BYTE_1 src1_sel:DWORD
	s_and_saveexec_b32 s24, s6
	s_cbranch_execz .LBB216_242
; %bb.235:                              ;   in Loop: Header=BB216_13 Depth=1
	v_mov_b32_e32 v39, v29
	v_cmp_ne_u16_sdwa s6, v0, v64 src0_sel:BYTE_1 src1_sel:DWORD
	buffer_store_dword v39, off, s[0:3], s32 offset:436 ; 4-byte Folded Spill
	buffer_store_dword v40, off, s[0:3], s32 offset:440 ; 4-byte Folded Spill
	s_and_saveexec_b32 s25, s6
	s_cbranch_execz .LBB216_241
; %bb.236:                              ;   in Loop: Header=BB216_13 Depth=1
	v_mov_b32_e32 v1, 0xffff
	v_mov_b32_e32 v52, v29
	s_mov_b32 s26, exec_lo
	buffer_store_dword v52, off, s[0:3], s32 offset:436 ; 4-byte Folded Spill
	buffer_store_dword v53, off, s[0:3], s32 offset:440 ; 4-byte Folded Spill
	v_and_b32_sdwa v1, v1, v0 dst_sel:DWORD dst_unused:UNUSED_PAD src0_sel:DWORD src1_sel:BYTE_1
	v_and_b32_e32 v2, 0x7f, v1
	v_cmpx_ne_u32_e32 0x7f, v2
	s_cbranch_execz .LBB216_240
; %bb.237:                              ;   in Loop: Header=BB216_13 Depth=1
	v_and_b32_e32 v28, 7, v1
	v_lshrrev_b32_e32 v1, 3, v2
	s_mov_b32 s27, exec_lo
	v_cmpx_gt_u32_e32 8, v2
; %bb.238:                              ;   in Loop: Header=BB216_13 Depth=1
	v_ffbh_u32_e32 v1, v28
	v_min_u32_e32 v1, 32, v1
	v_subrev_nc_u32_e32 v2, 28, v1
	v_sub_nc_u32_e32 v1, 29, v1
	v_lshlrev_b64 v[2:3], v2, v[28:29]
	v_and_b32_e32 v28, 7, v2
; %bb.239:                              ;   in Loop: Header=BB216_13 Depth=1
	s_or_b32 exec_lo, exec_lo, s27
	v_lshlrev_b32_e32 v0, 16, v0
	v_lshlrev_b32_e32 v2, 20, v28
	v_lshl_add_u32 v1, v1, 23, 0x3c000000
	v_and_b32_e32 v0, 0x80000000, v0
	v_or3_b32 v1, v2, v0, v1
	v_mov_b32_e32 v0, v29
	buffer_store_dword v0, off, s[0:3], s32 offset:436 ; 4-byte Folded Spill
	buffer_store_dword v1, off, s[0:3], s32 offset:440 ; 4-byte Folded Spill
.LBB216_240:                            ;   in Loop: Header=BB216_13 Depth=1
	s_or_b32 exec_lo, exec_lo, s26
.LBB216_241:                            ;   in Loop: Header=BB216_13 Depth=1
	s_or_b32 exec_lo, exec_lo, s25
.LBB216_242:                            ;   in Loop: Header=BB216_13 Depth=1
	s_or_b32 exec_lo, exec_lo, s24
	flat_load_ushort v1, v[33:34] offset:776
	s_waitcnt vmcnt(0) lgkmcnt(0)
	v_and_b32_e32 v0, 0xffff, v1
	v_cmp_ne_u16_sdwa s6, v1, v29 src0_sel:BYTE_0 src1_sel:DWORD
	v_mov_b32_e32 v1, 0
	v_mov_b32_e32 v2, 0
	buffer_store_dword v1, off, s[0:3], s32 offset:452 ; 4-byte Folded Spill
	buffer_store_dword v2, off, s[0:3], s32 offset:456 ; 4-byte Folded Spill
	v_mov_b32_e32 v1, 0
	v_mov_b32_e32 v2, 0
	buffer_store_dword v1, off, s[0:3], s32 offset:444 ; 4-byte Folded Spill
	buffer_store_dword v2, off, s[0:3], s32 offset:448 ; 4-byte Folded Spill
	s_and_saveexec_b32 s24, s6
	s_cbranch_execz .LBB216_250
; %bb.243:                              ;   in Loop: Header=BB216_13 Depth=1
	v_bfrev_b32_e32 v1, 1
	v_mov_b32_e32 v2, 0
	v_cmp_ne_u16_sdwa s6, v0, v64 src0_sel:BYTE_0 src1_sel:DWORD
	buffer_store_dword v1, off, s[0:3], s32 offset:444 ; 4-byte Folded Spill
	buffer_store_dword v2, off, s[0:3], s32 offset:448 ; 4-byte Folded Spill
	s_and_saveexec_b32 s25, s6
	s_cbranch_execz .LBB216_249
; %bb.244:                              ;   in Loop: Header=BB216_13 Depth=1
	v_mov_b32_e32 v3, 0x7f800001
	v_and_b32_e32 v2, 0x7f, v0
	v_mov_b32_e32 v4, 0
	s_mov_b32 s26, exec_lo
	buffer_store_dword v3, off, s[0:3], s32 offset:444 ; 4-byte Folded Spill
	buffer_store_dword v4, off, s[0:3], s32 offset:448 ; 4-byte Folded Spill
	v_cmpx_ne_u32_e32 0x7f, v2
	s_cbranch_execz .LBB216_248
; %bb.245:                              ;   in Loop: Header=BB216_13 Depth=1
	v_and_b32_e32 v28, 7, v0
	v_lshrrev_b32_e32 v1, 3, v2
	s_mov_b32 s27, exec_lo
	v_cmpx_gt_u32_e32 8, v2
; %bb.246:                              ;   in Loop: Header=BB216_13 Depth=1
	v_ffbh_u32_e32 v1, v28
	v_min_u32_e32 v1, 32, v1
	v_subrev_nc_u32_e32 v2, 28, v1
	v_sub_nc_u32_e32 v1, 29, v1
	v_lshlrev_b64 v[2:3], v2, v[28:29]
	v_and_b32_e32 v28, 7, v2
; %bb.247:                              ;   in Loop: Header=BB216_13 Depth=1
	s_or_b32 exec_lo, exec_lo, s27
	v_lshlrev_b32_e32 v2, 24, v0
	v_lshlrev_b32_e32 v3, 20, v28
	v_lshl_add_u32 v1, v1, 23, 0x3c000000
	v_and_b32_e32 v2, 0x80000000, v2
	v_or3_b32 v28, v3, v2, v1
	buffer_store_dword v28, off, s[0:3], s32 offset:444 ; 4-byte Folded Spill
	buffer_store_dword v29, off, s[0:3], s32 offset:448 ; 4-byte Folded Spill
.LBB216_248:                            ;   in Loop: Header=BB216_13 Depth=1
	s_or_b32 exec_lo, exec_lo, s26
.LBB216_249:                            ;   in Loop: Header=BB216_13 Depth=1
	s_or_b32 exec_lo, exec_lo, s25
.LBB216_250:                            ;   in Loop: Header=BB216_13 Depth=1
	s_or_b32 exec_lo, exec_lo, s24
	v_cmp_ne_u16_sdwa s6, v0, v29 src0_sel:BYTE_1 src1_sel:DWORD
	s_and_saveexec_b32 s24, s6
	s_cbranch_execz .LBB216_258
; %bb.251:                              ;   in Loop: Header=BB216_13 Depth=1
	v_mov_b32_e32 v39, v29
	v_cmp_ne_u16_sdwa s6, v0, v64 src0_sel:BYTE_1 src1_sel:DWORD
	buffer_store_dword v39, off, s[0:3], s32 offset:452 ; 4-byte Folded Spill
	buffer_store_dword v40, off, s[0:3], s32 offset:456 ; 4-byte Folded Spill
	s_and_saveexec_b32 s25, s6
	s_cbranch_execz .LBB216_257
; %bb.252:                              ;   in Loop: Header=BB216_13 Depth=1
	v_mov_b32_e32 v1, 0xffff
	v_mov_b32_e32 v52, v29
	s_mov_b32 s26, exec_lo
	buffer_store_dword v52, off, s[0:3], s32 offset:452 ; 4-byte Folded Spill
	buffer_store_dword v53, off, s[0:3], s32 offset:456 ; 4-byte Folded Spill
	v_and_b32_sdwa v1, v1, v0 dst_sel:DWORD dst_unused:UNUSED_PAD src0_sel:DWORD src1_sel:BYTE_1
	v_and_b32_e32 v2, 0x7f, v1
	v_cmpx_ne_u32_e32 0x7f, v2
	s_cbranch_execz .LBB216_256
; %bb.253:                              ;   in Loop: Header=BB216_13 Depth=1
	v_and_b32_e32 v28, 7, v1
	v_lshrrev_b32_e32 v1, 3, v2
	s_mov_b32 s27, exec_lo
	v_cmpx_gt_u32_e32 8, v2
; %bb.254:                              ;   in Loop: Header=BB216_13 Depth=1
	v_ffbh_u32_e32 v1, v28
	v_min_u32_e32 v1, 32, v1
	v_subrev_nc_u32_e32 v2, 28, v1
	v_sub_nc_u32_e32 v1, 29, v1
	v_lshlrev_b64 v[2:3], v2, v[28:29]
	v_and_b32_e32 v28, 7, v2
; %bb.255:                              ;   in Loop: Header=BB216_13 Depth=1
	s_or_b32 exec_lo, exec_lo, s27
	v_lshlrev_b32_e32 v0, 16, v0
	v_lshlrev_b32_e32 v2, 20, v28
	v_lshl_add_u32 v1, v1, 23, 0x3c000000
	v_and_b32_e32 v0, 0x80000000, v0
	v_or3_b32 v1, v2, v0, v1
	v_mov_b32_e32 v0, v29
	buffer_store_dword v0, off, s[0:3], s32 offset:452 ; 4-byte Folded Spill
	buffer_store_dword v1, off, s[0:3], s32 offset:456 ; 4-byte Folded Spill
.LBB216_256:                            ;   in Loop: Header=BB216_13 Depth=1
	s_or_b32 exec_lo, exec_lo, s26
.LBB216_257:                            ;   in Loop: Header=BB216_13 Depth=1
	s_or_b32 exec_lo, exec_lo, s25
.LBB216_258:                            ;   in Loop: Header=BB216_13 Depth=1
	s_or_b32 exec_lo, exec_lo, s24
	flat_load_ushort v1, v[33:34] offset:780
	s_waitcnt vmcnt(0) lgkmcnt(0)
	v_and_b32_e32 v0, 0xffff, v1
	v_cmp_ne_u16_sdwa s6, v1, v29 src0_sel:BYTE_0 src1_sel:DWORD
	v_mov_b32_e32 v1, 0
	v_mov_b32_e32 v2, 0
	buffer_store_dword v1, off, s[0:3], s32 offset:468 ; 4-byte Folded Spill
	buffer_store_dword v2, off, s[0:3], s32 offset:472 ; 4-byte Folded Spill
	v_mov_b32_e32 v1, 0
	v_mov_b32_e32 v2, 0
	buffer_store_dword v1, off, s[0:3], s32 offset:460 ; 4-byte Folded Spill
	buffer_store_dword v2, off, s[0:3], s32 offset:464 ; 4-byte Folded Spill
	s_and_saveexec_b32 s24, s6
	s_cbranch_execz .LBB216_266
; %bb.259:                              ;   in Loop: Header=BB216_13 Depth=1
	v_bfrev_b32_e32 v1, 1
	v_mov_b32_e32 v2, 0
	v_cmp_ne_u16_sdwa s6, v0, v64 src0_sel:BYTE_0 src1_sel:DWORD
	buffer_store_dword v1, off, s[0:3], s32 offset:460 ; 4-byte Folded Spill
	buffer_store_dword v2, off, s[0:3], s32 offset:464 ; 4-byte Folded Spill
	s_and_saveexec_b32 s25, s6
	s_cbranch_execz .LBB216_265
; %bb.260:                              ;   in Loop: Header=BB216_13 Depth=1
	v_mov_b32_e32 v3, 0x7f800001
	v_and_b32_e32 v2, 0x7f, v0
	v_mov_b32_e32 v4, 0
	s_mov_b32 s26, exec_lo
	buffer_store_dword v3, off, s[0:3], s32 offset:460 ; 4-byte Folded Spill
	buffer_store_dword v4, off, s[0:3], s32 offset:464 ; 4-byte Folded Spill
	v_cmpx_ne_u32_e32 0x7f, v2
	s_cbranch_execz .LBB216_264
; %bb.261:                              ;   in Loop: Header=BB216_13 Depth=1
	v_and_b32_e32 v28, 7, v0
	v_lshrrev_b32_e32 v1, 3, v2
	s_mov_b32 s27, exec_lo
	v_cmpx_gt_u32_e32 8, v2
; %bb.262:                              ;   in Loop: Header=BB216_13 Depth=1
	v_ffbh_u32_e32 v1, v28
	v_min_u32_e32 v1, 32, v1
	v_subrev_nc_u32_e32 v2, 28, v1
	v_sub_nc_u32_e32 v1, 29, v1
	v_lshlrev_b64 v[2:3], v2, v[28:29]
	v_and_b32_e32 v28, 7, v2
; %bb.263:                              ;   in Loop: Header=BB216_13 Depth=1
	s_or_b32 exec_lo, exec_lo, s27
	v_lshlrev_b32_e32 v2, 24, v0
	v_lshlrev_b32_e32 v3, 20, v28
	v_lshl_add_u32 v1, v1, 23, 0x3c000000
	v_and_b32_e32 v2, 0x80000000, v2
	v_or3_b32 v28, v3, v2, v1
	buffer_store_dword v28, off, s[0:3], s32 offset:460 ; 4-byte Folded Spill
	buffer_store_dword v29, off, s[0:3], s32 offset:464 ; 4-byte Folded Spill
.LBB216_264:                            ;   in Loop: Header=BB216_13 Depth=1
	s_or_b32 exec_lo, exec_lo, s26
.LBB216_265:                            ;   in Loop: Header=BB216_13 Depth=1
	s_or_b32 exec_lo, exec_lo, s25
.LBB216_266:                            ;   in Loop: Header=BB216_13 Depth=1
	s_or_b32 exec_lo, exec_lo, s24
	v_cmp_ne_u16_sdwa s6, v0, v29 src0_sel:BYTE_1 src1_sel:DWORD
	s_and_saveexec_b32 s24, s6
	s_cbranch_execz .LBB216_274
; %bb.267:                              ;   in Loop: Header=BB216_13 Depth=1
	v_mov_b32_e32 v39, v29
	v_cmp_ne_u16_sdwa s6, v0, v64 src0_sel:BYTE_1 src1_sel:DWORD
	buffer_store_dword v39, off, s[0:3], s32 offset:468 ; 4-byte Folded Spill
	buffer_store_dword v40, off, s[0:3], s32 offset:472 ; 4-byte Folded Spill
	s_and_saveexec_b32 s25, s6
	s_cbranch_execz .LBB216_273
; %bb.268:                              ;   in Loop: Header=BB216_13 Depth=1
	v_mov_b32_e32 v1, 0xffff
	v_mov_b32_e32 v52, v29
	s_mov_b32 s26, exec_lo
	buffer_store_dword v52, off, s[0:3], s32 offset:468 ; 4-byte Folded Spill
	buffer_store_dword v53, off, s[0:3], s32 offset:472 ; 4-byte Folded Spill
	v_and_b32_sdwa v1, v1, v0 dst_sel:DWORD dst_unused:UNUSED_PAD src0_sel:DWORD src1_sel:BYTE_1
	v_and_b32_e32 v2, 0x7f, v1
	v_cmpx_ne_u32_e32 0x7f, v2
	s_cbranch_execz .LBB216_272
; %bb.269:                              ;   in Loop: Header=BB216_13 Depth=1
	v_and_b32_e32 v28, 7, v1
	v_lshrrev_b32_e32 v1, 3, v2
	s_mov_b32 s27, exec_lo
	v_cmpx_gt_u32_e32 8, v2
; %bb.270:                              ;   in Loop: Header=BB216_13 Depth=1
	v_ffbh_u32_e32 v1, v28
	v_min_u32_e32 v1, 32, v1
	v_subrev_nc_u32_e32 v2, 28, v1
	v_sub_nc_u32_e32 v1, 29, v1
	v_lshlrev_b64 v[2:3], v2, v[28:29]
	v_and_b32_e32 v28, 7, v2
; %bb.271:                              ;   in Loop: Header=BB216_13 Depth=1
	s_or_b32 exec_lo, exec_lo, s27
	v_lshlrev_b32_e32 v0, 16, v0
	v_lshlrev_b32_e32 v2, 20, v28
	v_lshl_add_u32 v1, v1, 23, 0x3c000000
	v_and_b32_e32 v0, 0x80000000, v0
	v_or3_b32 v1, v2, v0, v1
	v_mov_b32_e32 v0, v29
	buffer_store_dword v0, off, s[0:3], s32 offset:468 ; 4-byte Folded Spill
	buffer_store_dword v1, off, s[0:3], s32 offset:472 ; 4-byte Folded Spill
.LBB216_272:                            ;   in Loop: Header=BB216_13 Depth=1
	s_or_b32 exec_lo, exec_lo, s26
.LBB216_273:                            ;   in Loop: Header=BB216_13 Depth=1
	s_or_b32 exec_lo, exec_lo, s25
.LBB216_274:                            ;   in Loop: Header=BB216_13 Depth=1
	s_or_b32 exec_lo, exec_lo, s24
	flat_load_ushort v1, v[33:34] offset:1024
	s_waitcnt vmcnt(0) lgkmcnt(0)
	v_and_b32_e32 v0, 0xffff, v1
	v_cmp_ne_u16_sdwa s6, v1, v29 src0_sel:BYTE_0 src1_sel:DWORD
	v_mov_b32_e32 v1, 0
	v_mov_b32_e32 v2, 0
	buffer_store_dword v1, off, s[0:3], s32 offset:484 ; 4-byte Folded Spill
	buffer_store_dword v2, off, s[0:3], s32 offset:488 ; 4-byte Folded Spill
	v_mov_b32_e32 v1, 0
	v_mov_b32_e32 v2, 0
	buffer_store_dword v1, off, s[0:3], s32 offset:476 ; 4-byte Folded Spill
	buffer_store_dword v2, off, s[0:3], s32 offset:480 ; 4-byte Folded Spill
	s_and_saveexec_b32 s24, s6
	s_cbranch_execz .LBB216_282
; %bb.275:                              ;   in Loop: Header=BB216_13 Depth=1
	v_bfrev_b32_e32 v1, 1
	v_mov_b32_e32 v2, 0
	v_cmp_ne_u16_sdwa s6, v0, v64 src0_sel:BYTE_0 src1_sel:DWORD
	buffer_store_dword v1, off, s[0:3], s32 offset:476 ; 4-byte Folded Spill
	buffer_store_dword v2, off, s[0:3], s32 offset:480 ; 4-byte Folded Spill
	s_and_saveexec_b32 s25, s6
	s_cbranch_execz .LBB216_281
; %bb.276:                              ;   in Loop: Header=BB216_13 Depth=1
	v_mov_b32_e32 v3, 0x7f800001
	v_and_b32_e32 v2, 0x7f, v0
	v_mov_b32_e32 v4, 0
	s_mov_b32 s26, exec_lo
	buffer_store_dword v3, off, s[0:3], s32 offset:476 ; 4-byte Folded Spill
	buffer_store_dword v4, off, s[0:3], s32 offset:480 ; 4-byte Folded Spill
	v_cmpx_ne_u32_e32 0x7f, v2
	s_cbranch_execz .LBB216_280
; %bb.277:                              ;   in Loop: Header=BB216_13 Depth=1
	v_and_b32_e32 v28, 7, v0
	v_lshrrev_b32_e32 v1, 3, v2
	s_mov_b32 s27, exec_lo
	v_cmpx_gt_u32_e32 8, v2
; %bb.278:                              ;   in Loop: Header=BB216_13 Depth=1
	v_ffbh_u32_e32 v1, v28
	v_min_u32_e32 v1, 32, v1
	v_subrev_nc_u32_e32 v2, 28, v1
	v_sub_nc_u32_e32 v1, 29, v1
	v_lshlrev_b64 v[2:3], v2, v[28:29]
	v_and_b32_e32 v28, 7, v2
; %bb.279:                              ;   in Loop: Header=BB216_13 Depth=1
	s_or_b32 exec_lo, exec_lo, s27
	v_lshlrev_b32_e32 v2, 24, v0
	v_lshlrev_b32_e32 v3, 20, v28
	v_lshl_add_u32 v1, v1, 23, 0x3c000000
	v_and_b32_e32 v2, 0x80000000, v2
	v_or3_b32 v28, v3, v2, v1
	buffer_store_dword v28, off, s[0:3], s32 offset:476 ; 4-byte Folded Spill
	buffer_store_dword v29, off, s[0:3], s32 offset:480 ; 4-byte Folded Spill
.LBB216_280:                            ;   in Loop: Header=BB216_13 Depth=1
	s_or_b32 exec_lo, exec_lo, s26
.LBB216_281:                            ;   in Loop: Header=BB216_13 Depth=1
	s_or_b32 exec_lo, exec_lo, s25
.LBB216_282:                            ;   in Loop: Header=BB216_13 Depth=1
	s_or_b32 exec_lo, exec_lo, s24
	v_cmp_ne_u16_sdwa s6, v0, v29 src0_sel:BYTE_1 src1_sel:DWORD
	s_and_saveexec_b32 s24, s6
	s_cbranch_execz .LBB216_290
; %bb.283:                              ;   in Loop: Header=BB216_13 Depth=1
	v_mov_b32_e32 v39, v29
	v_cmp_ne_u16_sdwa s6, v0, v64 src0_sel:BYTE_1 src1_sel:DWORD
	buffer_store_dword v39, off, s[0:3], s32 offset:484 ; 4-byte Folded Spill
	buffer_store_dword v40, off, s[0:3], s32 offset:488 ; 4-byte Folded Spill
	s_and_saveexec_b32 s25, s6
	s_cbranch_execz .LBB216_289
; %bb.284:                              ;   in Loop: Header=BB216_13 Depth=1
	v_mov_b32_e32 v1, 0xffff
	v_mov_b32_e32 v52, v29
	s_mov_b32 s26, exec_lo
	buffer_store_dword v52, off, s[0:3], s32 offset:484 ; 4-byte Folded Spill
	buffer_store_dword v53, off, s[0:3], s32 offset:488 ; 4-byte Folded Spill
	v_and_b32_sdwa v1, v1, v0 dst_sel:DWORD dst_unused:UNUSED_PAD src0_sel:DWORD src1_sel:BYTE_1
	v_and_b32_e32 v2, 0x7f, v1
	v_cmpx_ne_u32_e32 0x7f, v2
	s_cbranch_execz .LBB216_288
; %bb.285:                              ;   in Loop: Header=BB216_13 Depth=1
	v_and_b32_e32 v28, 7, v1
	v_lshrrev_b32_e32 v1, 3, v2
	s_mov_b32 s27, exec_lo
	v_cmpx_gt_u32_e32 8, v2
; %bb.286:                              ;   in Loop: Header=BB216_13 Depth=1
	v_ffbh_u32_e32 v1, v28
	v_min_u32_e32 v1, 32, v1
	v_subrev_nc_u32_e32 v2, 28, v1
	v_sub_nc_u32_e32 v1, 29, v1
	v_lshlrev_b64 v[2:3], v2, v[28:29]
	v_and_b32_e32 v28, 7, v2
; %bb.287:                              ;   in Loop: Header=BB216_13 Depth=1
	s_or_b32 exec_lo, exec_lo, s27
	v_lshlrev_b32_e32 v0, 16, v0
	v_lshlrev_b32_e32 v2, 20, v28
	v_lshl_add_u32 v1, v1, 23, 0x3c000000
	v_and_b32_e32 v0, 0x80000000, v0
	v_or3_b32 v1, v2, v0, v1
	v_mov_b32_e32 v0, v29
	buffer_store_dword v0, off, s[0:3], s32 offset:484 ; 4-byte Folded Spill
	buffer_store_dword v1, off, s[0:3], s32 offset:488 ; 4-byte Folded Spill
.LBB216_288:                            ;   in Loop: Header=BB216_13 Depth=1
	s_or_b32 exec_lo, exec_lo, s26
.LBB216_289:                            ;   in Loop: Header=BB216_13 Depth=1
	s_or_b32 exec_lo, exec_lo, s25
.LBB216_290:                            ;   in Loop: Header=BB216_13 Depth=1
	s_or_b32 exec_lo, exec_lo, s24
	flat_load_ushort v1, v[33:34] offset:1028
	s_waitcnt vmcnt(0) lgkmcnt(0)
	v_and_b32_e32 v0, 0xffff, v1
	v_cmp_ne_u16_sdwa s6, v1, v29 src0_sel:BYTE_0 src1_sel:DWORD
	v_mov_b32_e32 v1, 0
	v_mov_b32_e32 v2, 0
	buffer_store_dword v1, off, s[0:3], s32 offset:500 ; 4-byte Folded Spill
	buffer_store_dword v2, off, s[0:3], s32 offset:504 ; 4-byte Folded Spill
	v_mov_b32_e32 v1, 0
	v_mov_b32_e32 v2, 0
	buffer_store_dword v1, off, s[0:3], s32 offset:492 ; 4-byte Folded Spill
	buffer_store_dword v2, off, s[0:3], s32 offset:496 ; 4-byte Folded Spill
	s_and_saveexec_b32 s24, s6
	s_cbranch_execz .LBB216_298
; %bb.291:                              ;   in Loop: Header=BB216_13 Depth=1
	v_bfrev_b32_e32 v1, 1
	v_mov_b32_e32 v2, 0
	v_cmp_ne_u16_sdwa s6, v0, v64 src0_sel:BYTE_0 src1_sel:DWORD
	buffer_store_dword v1, off, s[0:3], s32 offset:492 ; 4-byte Folded Spill
	buffer_store_dword v2, off, s[0:3], s32 offset:496 ; 4-byte Folded Spill
	s_and_saveexec_b32 s25, s6
	s_cbranch_execz .LBB216_297
; %bb.292:                              ;   in Loop: Header=BB216_13 Depth=1
	v_mov_b32_e32 v3, 0x7f800001
	v_and_b32_e32 v2, 0x7f, v0
	v_mov_b32_e32 v4, 0
	s_mov_b32 s26, exec_lo
	buffer_store_dword v3, off, s[0:3], s32 offset:492 ; 4-byte Folded Spill
	buffer_store_dword v4, off, s[0:3], s32 offset:496 ; 4-byte Folded Spill
	v_cmpx_ne_u32_e32 0x7f, v2
	s_cbranch_execz .LBB216_296
; %bb.293:                              ;   in Loop: Header=BB216_13 Depth=1
	v_and_b32_e32 v28, 7, v0
	v_lshrrev_b32_e32 v1, 3, v2
	s_mov_b32 s27, exec_lo
	v_cmpx_gt_u32_e32 8, v2
; %bb.294:                              ;   in Loop: Header=BB216_13 Depth=1
	v_ffbh_u32_e32 v1, v28
	v_min_u32_e32 v1, 32, v1
	v_subrev_nc_u32_e32 v2, 28, v1
	v_sub_nc_u32_e32 v1, 29, v1
	v_lshlrev_b64 v[2:3], v2, v[28:29]
	v_and_b32_e32 v28, 7, v2
; %bb.295:                              ;   in Loop: Header=BB216_13 Depth=1
	s_or_b32 exec_lo, exec_lo, s27
	v_lshlrev_b32_e32 v2, 24, v0
	v_lshlrev_b32_e32 v3, 20, v28
	v_lshl_add_u32 v1, v1, 23, 0x3c000000
	v_and_b32_e32 v2, 0x80000000, v2
	v_or3_b32 v28, v3, v2, v1
	buffer_store_dword v28, off, s[0:3], s32 offset:492 ; 4-byte Folded Spill
	buffer_store_dword v29, off, s[0:3], s32 offset:496 ; 4-byte Folded Spill
.LBB216_296:                            ;   in Loop: Header=BB216_13 Depth=1
	s_or_b32 exec_lo, exec_lo, s26
.LBB216_297:                            ;   in Loop: Header=BB216_13 Depth=1
	s_or_b32 exec_lo, exec_lo, s25
.LBB216_298:                            ;   in Loop: Header=BB216_13 Depth=1
	s_or_b32 exec_lo, exec_lo, s24
	v_cmp_ne_u16_sdwa s6, v0, v29 src0_sel:BYTE_1 src1_sel:DWORD
	s_and_saveexec_b32 s24, s6
	s_cbranch_execz .LBB216_306
; %bb.299:                              ;   in Loop: Header=BB216_13 Depth=1
	v_mov_b32_e32 v39, v29
	v_cmp_ne_u16_sdwa s6, v0, v64 src0_sel:BYTE_1 src1_sel:DWORD
	buffer_store_dword v39, off, s[0:3], s32 offset:500 ; 4-byte Folded Spill
	buffer_store_dword v40, off, s[0:3], s32 offset:504 ; 4-byte Folded Spill
	s_and_saveexec_b32 s25, s6
	s_cbranch_execz .LBB216_305
; %bb.300:                              ;   in Loop: Header=BB216_13 Depth=1
	v_mov_b32_e32 v1, 0xffff
	v_mov_b32_e32 v52, v29
	s_mov_b32 s26, exec_lo
	buffer_store_dword v52, off, s[0:3], s32 offset:500 ; 4-byte Folded Spill
	buffer_store_dword v53, off, s[0:3], s32 offset:504 ; 4-byte Folded Spill
	v_and_b32_sdwa v1, v1, v0 dst_sel:DWORD dst_unused:UNUSED_PAD src0_sel:DWORD src1_sel:BYTE_1
	v_and_b32_e32 v2, 0x7f, v1
	v_cmpx_ne_u32_e32 0x7f, v2
	s_cbranch_execz .LBB216_304
; %bb.301:                              ;   in Loop: Header=BB216_13 Depth=1
	v_and_b32_e32 v28, 7, v1
	v_lshrrev_b32_e32 v1, 3, v2
	s_mov_b32 s27, exec_lo
	v_cmpx_gt_u32_e32 8, v2
; %bb.302:                              ;   in Loop: Header=BB216_13 Depth=1
	v_ffbh_u32_e32 v1, v28
	v_min_u32_e32 v1, 32, v1
	v_subrev_nc_u32_e32 v2, 28, v1
	v_sub_nc_u32_e32 v1, 29, v1
	v_lshlrev_b64 v[2:3], v2, v[28:29]
	v_and_b32_e32 v28, 7, v2
; %bb.303:                              ;   in Loop: Header=BB216_13 Depth=1
	s_or_b32 exec_lo, exec_lo, s27
	v_lshlrev_b32_e32 v0, 16, v0
	v_lshlrev_b32_e32 v2, 20, v28
	v_lshl_add_u32 v1, v1, 23, 0x3c000000
	v_and_b32_e32 v0, 0x80000000, v0
	v_or3_b32 v1, v2, v0, v1
	v_mov_b32_e32 v0, v29
	buffer_store_dword v0, off, s[0:3], s32 offset:500 ; 4-byte Folded Spill
	buffer_store_dword v1, off, s[0:3], s32 offset:504 ; 4-byte Folded Spill
.LBB216_304:                            ;   in Loop: Header=BB216_13 Depth=1
	s_or_b32 exec_lo, exec_lo, s26
.LBB216_305:                            ;   in Loop: Header=BB216_13 Depth=1
	s_or_b32 exec_lo, exec_lo, s25
.LBB216_306:                            ;   in Loop: Header=BB216_13 Depth=1
	s_or_b32 exec_lo, exec_lo, s24
	flat_load_ushort v1, v[33:34] offset:1032
	s_waitcnt vmcnt(0) lgkmcnt(0)
	v_and_b32_e32 v0, 0xffff, v1
	v_cmp_ne_u16_sdwa s6, v1, v29 src0_sel:BYTE_0 src1_sel:DWORD
	v_mov_b32_e32 v1, 0
	v_mov_b32_e32 v2, 0
	buffer_store_dword v1, off, s[0:3], s32 offset:516 ; 4-byte Folded Spill
	buffer_store_dword v2, off, s[0:3], s32 offset:520 ; 4-byte Folded Spill
	v_mov_b32_e32 v1, 0
	v_mov_b32_e32 v2, 0
	buffer_store_dword v1, off, s[0:3], s32 offset:508 ; 4-byte Folded Spill
	buffer_store_dword v2, off, s[0:3], s32 offset:512 ; 4-byte Folded Spill
	s_and_saveexec_b32 s24, s6
	s_cbranch_execz .LBB216_314
; %bb.307:                              ;   in Loop: Header=BB216_13 Depth=1
	v_bfrev_b32_e32 v1, 1
	v_mov_b32_e32 v2, 0
	v_cmp_ne_u16_sdwa s6, v0, v64 src0_sel:BYTE_0 src1_sel:DWORD
	buffer_store_dword v1, off, s[0:3], s32 offset:508 ; 4-byte Folded Spill
	buffer_store_dword v2, off, s[0:3], s32 offset:512 ; 4-byte Folded Spill
	s_and_saveexec_b32 s25, s6
	s_cbranch_execz .LBB216_313
; %bb.308:                              ;   in Loop: Header=BB216_13 Depth=1
	v_mov_b32_e32 v3, 0x7f800001
	v_and_b32_e32 v2, 0x7f, v0
	v_mov_b32_e32 v4, 0
	s_mov_b32 s26, exec_lo
	buffer_store_dword v3, off, s[0:3], s32 offset:508 ; 4-byte Folded Spill
	buffer_store_dword v4, off, s[0:3], s32 offset:512 ; 4-byte Folded Spill
	v_cmpx_ne_u32_e32 0x7f, v2
	s_cbranch_execz .LBB216_312
; %bb.309:                              ;   in Loop: Header=BB216_13 Depth=1
	v_and_b32_e32 v28, 7, v0
	v_lshrrev_b32_e32 v1, 3, v2
	s_mov_b32 s27, exec_lo
	v_cmpx_gt_u32_e32 8, v2
; %bb.310:                              ;   in Loop: Header=BB216_13 Depth=1
	v_ffbh_u32_e32 v1, v28
	v_min_u32_e32 v1, 32, v1
	v_subrev_nc_u32_e32 v2, 28, v1
	v_sub_nc_u32_e32 v1, 29, v1
	v_lshlrev_b64 v[2:3], v2, v[28:29]
	v_and_b32_e32 v28, 7, v2
; %bb.311:                              ;   in Loop: Header=BB216_13 Depth=1
	s_or_b32 exec_lo, exec_lo, s27
	v_lshlrev_b32_e32 v2, 24, v0
	v_lshlrev_b32_e32 v3, 20, v28
	v_lshl_add_u32 v1, v1, 23, 0x3c000000
	v_and_b32_e32 v2, 0x80000000, v2
	v_or3_b32 v28, v3, v2, v1
	buffer_store_dword v28, off, s[0:3], s32 offset:508 ; 4-byte Folded Spill
	buffer_store_dword v29, off, s[0:3], s32 offset:512 ; 4-byte Folded Spill
.LBB216_312:                            ;   in Loop: Header=BB216_13 Depth=1
	s_or_b32 exec_lo, exec_lo, s26
.LBB216_313:                            ;   in Loop: Header=BB216_13 Depth=1
	s_or_b32 exec_lo, exec_lo, s25
.LBB216_314:                            ;   in Loop: Header=BB216_13 Depth=1
	s_or_b32 exec_lo, exec_lo, s24
	v_cmp_ne_u16_sdwa s6, v0, v29 src0_sel:BYTE_1 src1_sel:DWORD
	s_and_saveexec_b32 s24, s6
	s_cbranch_execz .LBB216_322
; %bb.315:                              ;   in Loop: Header=BB216_13 Depth=1
	v_mov_b32_e32 v39, v29
	v_cmp_ne_u16_sdwa s6, v0, v64 src0_sel:BYTE_1 src1_sel:DWORD
	buffer_store_dword v39, off, s[0:3], s32 offset:516 ; 4-byte Folded Spill
	buffer_store_dword v40, off, s[0:3], s32 offset:520 ; 4-byte Folded Spill
	s_and_saveexec_b32 s25, s6
	s_cbranch_execz .LBB216_321
; %bb.316:                              ;   in Loop: Header=BB216_13 Depth=1
	v_mov_b32_e32 v1, 0xffff
	v_mov_b32_e32 v52, v29
	s_mov_b32 s26, exec_lo
	buffer_store_dword v52, off, s[0:3], s32 offset:516 ; 4-byte Folded Spill
	buffer_store_dword v53, off, s[0:3], s32 offset:520 ; 4-byte Folded Spill
	v_and_b32_sdwa v1, v1, v0 dst_sel:DWORD dst_unused:UNUSED_PAD src0_sel:DWORD src1_sel:BYTE_1
	v_and_b32_e32 v2, 0x7f, v1
	v_cmpx_ne_u32_e32 0x7f, v2
	s_cbranch_execz .LBB216_320
; %bb.317:                              ;   in Loop: Header=BB216_13 Depth=1
	v_and_b32_e32 v28, 7, v1
	v_lshrrev_b32_e32 v1, 3, v2
	s_mov_b32 s27, exec_lo
	v_cmpx_gt_u32_e32 8, v2
; %bb.318:                              ;   in Loop: Header=BB216_13 Depth=1
	v_ffbh_u32_e32 v1, v28
	v_min_u32_e32 v1, 32, v1
	v_subrev_nc_u32_e32 v2, 28, v1
	v_sub_nc_u32_e32 v1, 29, v1
	v_lshlrev_b64 v[2:3], v2, v[28:29]
	v_and_b32_e32 v28, 7, v2
; %bb.319:                              ;   in Loop: Header=BB216_13 Depth=1
	s_or_b32 exec_lo, exec_lo, s27
	v_lshlrev_b32_e32 v0, 16, v0
	v_lshlrev_b32_e32 v2, 20, v28
	v_lshl_add_u32 v1, v1, 23, 0x3c000000
	v_and_b32_e32 v0, 0x80000000, v0
	v_or3_b32 v1, v2, v0, v1
	v_mov_b32_e32 v0, v29
	buffer_store_dword v0, off, s[0:3], s32 offset:516 ; 4-byte Folded Spill
	buffer_store_dword v1, off, s[0:3], s32 offset:520 ; 4-byte Folded Spill
.LBB216_320:                            ;   in Loop: Header=BB216_13 Depth=1
	s_or_b32 exec_lo, exec_lo, s26
.LBB216_321:                            ;   in Loop: Header=BB216_13 Depth=1
	s_or_b32 exec_lo, exec_lo, s25
.LBB216_322:                            ;   in Loop: Header=BB216_13 Depth=1
	s_or_b32 exec_lo, exec_lo, s24
	flat_load_ushort v1, v[33:34] offset:1036
	s_waitcnt vmcnt(0) lgkmcnt(0)
	v_and_b32_e32 v0, 0xffff, v1
	v_cmp_ne_u16_sdwa s6, v1, v29 src0_sel:BYTE_0 src1_sel:DWORD
	v_mov_b32_e32 v1, 0
	v_mov_b32_e32 v2, 0
	buffer_store_dword v1, off, s[0:3], s32 offset:532 ; 4-byte Folded Spill
	buffer_store_dword v2, off, s[0:3], s32 offset:536 ; 4-byte Folded Spill
	v_mov_b32_e32 v1, 0
	v_mov_b32_e32 v2, 0
	buffer_store_dword v1, off, s[0:3], s32 offset:524 ; 4-byte Folded Spill
	buffer_store_dword v2, off, s[0:3], s32 offset:528 ; 4-byte Folded Spill
	s_and_saveexec_b32 s24, s6
	s_cbranch_execz .LBB216_330
; %bb.323:                              ;   in Loop: Header=BB216_13 Depth=1
	v_bfrev_b32_e32 v1, 1
	v_mov_b32_e32 v2, 0
	v_cmp_ne_u16_sdwa s6, v0, v64 src0_sel:BYTE_0 src1_sel:DWORD
	buffer_store_dword v1, off, s[0:3], s32 offset:524 ; 4-byte Folded Spill
	buffer_store_dword v2, off, s[0:3], s32 offset:528 ; 4-byte Folded Spill
	s_and_saveexec_b32 s25, s6
	s_cbranch_execz .LBB216_329
; %bb.324:                              ;   in Loop: Header=BB216_13 Depth=1
	v_mov_b32_e32 v3, 0x7f800001
	v_and_b32_e32 v2, 0x7f, v0
	v_mov_b32_e32 v4, 0
	s_mov_b32 s26, exec_lo
	buffer_store_dword v3, off, s[0:3], s32 offset:524 ; 4-byte Folded Spill
	buffer_store_dword v4, off, s[0:3], s32 offset:528 ; 4-byte Folded Spill
	v_cmpx_ne_u32_e32 0x7f, v2
	s_cbranch_execz .LBB216_328
; %bb.325:                              ;   in Loop: Header=BB216_13 Depth=1
	v_and_b32_e32 v28, 7, v0
	v_lshrrev_b32_e32 v1, 3, v2
	s_mov_b32 s27, exec_lo
	v_cmpx_gt_u32_e32 8, v2
; %bb.326:                              ;   in Loop: Header=BB216_13 Depth=1
	v_ffbh_u32_e32 v1, v28
	v_min_u32_e32 v1, 32, v1
	v_subrev_nc_u32_e32 v2, 28, v1
	v_sub_nc_u32_e32 v1, 29, v1
	v_lshlrev_b64 v[2:3], v2, v[28:29]
	v_and_b32_e32 v28, 7, v2
; %bb.327:                              ;   in Loop: Header=BB216_13 Depth=1
	s_or_b32 exec_lo, exec_lo, s27
	v_lshlrev_b32_e32 v2, 24, v0
	v_lshlrev_b32_e32 v3, 20, v28
	v_lshl_add_u32 v1, v1, 23, 0x3c000000
	v_and_b32_e32 v2, 0x80000000, v2
	v_or3_b32 v28, v3, v2, v1
	buffer_store_dword v28, off, s[0:3], s32 offset:524 ; 4-byte Folded Spill
	buffer_store_dword v29, off, s[0:3], s32 offset:528 ; 4-byte Folded Spill
.LBB216_328:                            ;   in Loop: Header=BB216_13 Depth=1
	s_or_b32 exec_lo, exec_lo, s26
.LBB216_329:                            ;   in Loop: Header=BB216_13 Depth=1
	s_or_b32 exec_lo, exec_lo, s25
.LBB216_330:                            ;   in Loop: Header=BB216_13 Depth=1
	s_or_b32 exec_lo, exec_lo, s24
	v_cmp_ne_u16_sdwa s6, v0, v29 src0_sel:BYTE_1 src1_sel:DWORD
	s_and_saveexec_b32 s24, s6
	s_cbranch_execz .LBB216_338
; %bb.331:                              ;   in Loop: Header=BB216_13 Depth=1
	v_mov_b32_e32 v39, v29
	v_cmp_ne_u16_sdwa s6, v0, v64 src0_sel:BYTE_1 src1_sel:DWORD
	buffer_store_dword v39, off, s[0:3], s32 offset:532 ; 4-byte Folded Spill
	buffer_store_dword v40, off, s[0:3], s32 offset:536 ; 4-byte Folded Spill
	s_and_saveexec_b32 s25, s6
	s_cbranch_execz .LBB216_337
; %bb.332:                              ;   in Loop: Header=BB216_13 Depth=1
	v_mov_b32_e32 v1, 0xffff
	v_mov_b32_e32 v52, v29
	s_mov_b32 s26, exec_lo
	buffer_store_dword v52, off, s[0:3], s32 offset:532 ; 4-byte Folded Spill
	buffer_store_dword v53, off, s[0:3], s32 offset:536 ; 4-byte Folded Spill
	v_and_b32_sdwa v1, v1, v0 dst_sel:DWORD dst_unused:UNUSED_PAD src0_sel:DWORD src1_sel:BYTE_1
	v_and_b32_e32 v2, 0x7f, v1
	v_cmpx_ne_u32_e32 0x7f, v2
	s_cbranch_execz .LBB216_336
; %bb.333:                              ;   in Loop: Header=BB216_13 Depth=1
	v_and_b32_e32 v28, 7, v1
	v_lshrrev_b32_e32 v1, 3, v2
	s_mov_b32 s27, exec_lo
	v_cmpx_gt_u32_e32 8, v2
; %bb.334:                              ;   in Loop: Header=BB216_13 Depth=1
	v_ffbh_u32_e32 v1, v28
	v_min_u32_e32 v1, 32, v1
	v_subrev_nc_u32_e32 v2, 28, v1
	v_sub_nc_u32_e32 v1, 29, v1
	v_lshlrev_b64 v[2:3], v2, v[28:29]
	v_and_b32_e32 v28, 7, v2
; %bb.335:                              ;   in Loop: Header=BB216_13 Depth=1
	s_or_b32 exec_lo, exec_lo, s27
	v_lshlrev_b32_e32 v0, 16, v0
	v_lshlrev_b32_e32 v2, 20, v28
	v_lshl_add_u32 v1, v1, 23, 0x3c000000
	v_and_b32_e32 v0, 0x80000000, v0
	v_or3_b32 v1, v2, v0, v1
	v_mov_b32_e32 v0, v29
	buffer_store_dword v0, off, s[0:3], s32 offset:532 ; 4-byte Folded Spill
	buffer_store_dword v1, off, s[0:3], s32 offset:536 ; 4-byte Folded Spill
.LBB216_336:                            ;   in Loop: Header=BB216_13 Depth=1
	s_or_b32 exec_lo, exec_lo, s26
.LBB216_337:                            ;   in Loop: Header=BB216_13 Depth=1
	s_or_b32 exec_lo, exec_lo, s25
.LBB216_338:                            ;   in Loop: Header=BB216_13 Depth=1
	s_or_b32 exec_lo, exec_lo, s24
	flat_load_ushort v1, v[33:34] offset:1280
	s_waitcnt vmcnt(0) lgkmcnt(0)
	v_and_b32_e32 v0, 0xffff, v1
	v_cmp_ne_u16_sdwa s6, v1, v29 src0_sel:BYTE_0 src1_sel:DWORD
	v_mov_b32_e32 v1, 0
	v_mov_b32_e32 v2, 0
	buffer_store_dword v1, off, s[0:3], s32 offset:548 ; 4-byte Folded Spill
	buffer_store_dword v2, off, s[0:3], s32 offset:552 ; 4-byte Folded Spill
	v_mov_b32_e32 v1, 0
	v_mov_b32_e32 v2, 0
	buffer_store_dword v1, off, s[0:3], s32 offset:540 ; 4-byte Folded Spill
	buffer_store_dword v2, off, s[0:3], s32 offset:544 ; 4-byte Folded Spill
	s_and_saveexec_b32 s24, s6
	s_cbranch_execz .LBB216_346
; %bb.339:                              ;   in Loop: Header=BB216_13 Depth=1
	v_bfrev_b32_e32 v1, 1
	v_mov_b32_e32 v2, 0
	v_cmp_ne_u16_sdwa s6, v0, v64 src0_sel:BYTE_0 src1_sel:DWORD
	buffer_store_dword v1, off, s[0:3], s32 offset:540 ; 4-byte Folded Spill
	buffer_store_dword v2, off, s[0:3], s32 offset:544 ; 4-byte Folded Spill
	s_and_saveexec_b32 s25, s6
	s_cbranch_execz .LBB216_345
; %bb.340:                              ;   in Loop: Header=BB216_13 Depth=1
	v_mov_b32_e32 v3, 0x7f800001
	v_and_b32_e32 v2, 0x7f, v0
	v_mov_b32_e32 v4, 0
	s_mov_b32 s26, exec_lo
	buffer_store_dword v3, off, s[0:3], s32 offset:540 ; 4-byte Folded Spill
	buffer_store_dword v4, off, s[0:3], s32 offset:544 ; 4-byte Folded Spill
	v_cmpx_ne_u32_e32 0x7f, v2
	s_cbranch_execz .LBB216_344
; %bb.341:                              ;   in Loop: Header=BB216_13 Depth=1
	v_and_b32_e32 v28, 7, v0
	v_lshrrev_b32_e32 v1, 3, v2
	s_mov_b32 s27, exec_lo
	v_cmpx_gt_u32_e32 8, v2
; %bb.342:                              ;   in Loop: Header=BB216_13 Depth=1
	v_ffbh_u32_e32 v1, v28
	v_min_u32_e32 v1, 32, v1
	v_subrev_nc_u32_e32 v2, 28, v1
	v_sub_nc_u32_e32 v1, 29, v1
	v_lshlrev_b64 v[2:3], v2, v[28:29]
	v_and_b32_e32 v28, 7, v2
; %bb.343:                              ;   in Loop: Header=BB216_13 Depth=1
	s_or_b32 exec_lo, exec_lo, s27
	v_lshlrev_b32_e32 v2, 24, v0
	v_lshlrev_b32_e32 v3, 20, v28
	v_lshl_add_u32 v1, v1, 23, 0x3c000000
	v_and_b32_e32 v2, 0x80000000, v2
	v_or3_b32 v28, v3, v2, v1
	buffer_store_dword v28, off, s[0:3], s32 offset:540 ; 4-byte Folded Spill
	buffer_store_dword v29, off, s[0:3], s32 offset:544 ; 4-byte Folded Spill
.LBB216_344:                            ;   in Loop: Header=BB216_13 Depth=1
	s_or_b32 exec_lo, exec_lo, s26
.LBB216_345:                            ;   in Loop: Header=BB216_13 Depth=1
	s_or_b32 exec_lo, exec_lo, s25
.LBB216_346:                            ;   in Loop: Header=BB216_13 Depth=1
	s_or_b32 exec_lo, exec_lo, s24
	v_cmp_ne_u16_sdwa s6, v0, v29 src0_sel:BYTE_1 src1_sel:DWORD
	s_and_saveexec_b32 s24, s6
	s_cbranch_execz .LBB216_354
; %bb.347:                              ;   in Loop: Header=BB216_13 Depth=1
	v_mov_b32_e32 v39, v29
	v_cmp_ne_u16_sdwa s6, v0, v64 src0_sel:BYTE_1 src1_sel:DWORD
	buffer_store_dword v39, off, s[0:3], s32 offset:548 ; 4-byte Folded Spill
	buffer_store_dword v40, off, s[0:3], s32 offset:552 ; 4-byte Folded Spill
	s_and_saveexec_b32 s25, s6
	s_cbranch_execz .LBB216_353
; %bb.348:                              ;   in Loop: Header=BB216_13 Depth=1
	v_mov_b32_e32 v1, 0xffff
	v_mov_b32_e32 v52, v29
	s_mov_b32 s26, exec_lo
	buffer_store_dword v52, off, s[0:3], s32 offset:548 ; 4-byte Folded Spill
	buffer_store_dword v53, off, s[0:3], s32 offset:552 ; 4-byte Folded Spill
	v_and_b32_sdwa v1, v1, v0 dst_sel:DWORD dst_unused:UNUSED_PAD src0_sel:DWORD src1_sel:BYTE_1
	v_and_b32_e32 v2, 0x7f, v1
	v_cmpx_ne_u32_e32 0x7f, v2
	s_cbranch_execz .LBB216_352
; %bb.349:                              ;   in Loop: Header=BB216_13 Depth=1
	v_and_b32_e32 v28, 7, v1
	v_lshrrev_b32_e32 v1, 3, v2
	s_mov_b32 s27, exec_lo
	v_cmpx_gt_u32_e32 8, v2
; %bb.350:                              ;   in Loop: Header=BB216_13 Depth=1
	v_ffbh_u32_e32 v1, v28
	v_min_u32_e32 v1, 32, v1
	v_subrev_nc_u32_e32 v2, 28, v1
	v_sub_nc_u32_e32 v1, 29, v1
	v_lshlrev_b64 v[2:3], v2, v[28:29]
	v_and_b32_e32 v28, 7, v2
; %bb.351:                              ;   in Loop: Header=BB216_13 Depth=1
	s_or_b32 exec_lo, exec_lo, s27
	v_lshlrev_b32_e32 v0, 16, v0
	v_lshlrev_b32_e32 v2, 20, v28
	v_lshl_add_u32 v1, v1, 23, 0x3c000000
	v_and_b32_e32 v0, 0x80000000, v0
	v_or3_b32 v1, v2, v0, v1
	v_mov_b32_e32 v0, v29
	buffer_store_dword v0, off, s[0:3], s32 offset:548 ; 4-byte Folded Spill
	buffer_store_dword v1, off, s[0:3], s32 offset:552 ; 4-byte Folded Spill
.LBB216_352:                            ;   in Loop: Header=BB216_13 Depth=1
	s_or_b32 exec_lo, exec_lo, s26
.LBB216_353:                            ;   in Loop: Header=BB216_13 Depth=1
	s_or_b32 exec_lo, exec_lo, s25
.LBB216_354:                            ;   in Loop: Header=BB216_13 Depth=1
	s_or_b32 exec_lo, exec_lo, s24
	flat_load_ushort v1, v[33:34] offset:1284
	s_waitcnt vmcnt(0) lgkmcnt(0)
	v_and_b32_e32 v0, 0xffff, v1
	v_cmp_ne_u16_sdwa s6, v1, v29 src0_sel:BYTE_0 src1_sel:DWORD
	v_mov_b32_e32 v1, 0
	v_mov_b32_e32 v2, 0
	buffer_store_dword v1, off, s[0:3], s32 offset:564 ; 4-byte Folded Spill
	buffer_store_dword v2, off, s[0:3], s32 offset:568 ; 4-byte Folded Spill
	v_mov_b32_e32 v1, 0
	v_mov_b32_e32 v2, 0
	buffer_store_dword v1, off, s[0:3], s32 offset:556 ; 4-byte Folded Spill
	buffer_store_dword v2, off, s[0:3], s32 offset:560 ; 4-byte Folded Spill
	s_and_saveexec_b32 s24, s6
	s_cbranch_execz .LBB216_362
; %bb.355:                              ;   in Loop: Header=BB216_13 Depth=1
	v_bfrev_b32_e32 v1, 1
	v_mov_b32_e32 v2, 0
	v_cmp_ne_u16_sdwa s6, v0, v64 src0_sel:BYTE_0 src1_sel:DWORD
	buffer_store_dword v1, off, s[0:3], s32 offset:556 ; 4-byte Folded Spill
	buffer_store_dword v2, off, s[0:3], s32 offset:560 ; 4-byte Folded Spill
	s_and_saveexec_b32 s25, s6
	s_cbranch_execz .LBB216_361
; %bb.356:                              ;   in Loop: Header=BB216_13 Depth=1
	v_mov_b32_e32 v3, 0x7f800001
	v_and_b32_e32 v2, 0x7f, v0
	v_mov_b32_e32 v4, 0
	s_mov_b32 s26, exec_lo
	buffer_store_dword v3, off, s[0:3], s32 offset:556 ; 4-byte Folded Spill
	buffer_store_dword v4, off, s[0:3], s32 offset:560 ; 4-byte Folded Spill
	v_cmpx_ne_u32_e32 0x7f, v2
	s_cbranch_execz .LBB216_360
; %bb.357:                              ;   in Loop: Header=BB216_13 Depth=1
	v_and_b32_e32 v28, 7, v0
	v_lshrrev_b32_e32 v1, 3, v2
	s_mov_b32 s27, exec_lo
	v_cmpx_gt_u32_e32 8, v2
; %bb.358:                              ;   in Loop: Header=BB216_13 Depth=1
	v_ffbh_u32_e32 v1, v28
	v_min_u32_e32 v1, 32, v1
	v_subrev_nc_u32_e32 v2, 28, v1
	v_sub_nc_u32_e32 v1, 29, v1
	v_lshlrev_b64 v[2:3], v2, v[28:29]
	v_and_b32_e32 v28, 7, v2
; %bb.359:                              ;   in Loop: Header=BB216_13 Depth=1
	s_or_b32 exec_lo, exec_lo, s27
	v_lshlrev_b32_e32 v2, 24, v0
	v_lshlrev_b32_e32 v3, 20, v28
	v_lshl_add_u32 v1, v1, 23, 0x3c000000
	v_and_b32_e32 v2, 0x80000000, v2
	v_or3_b32 v28, v3, v2, v1
	buffer_store_dword v28, off, s[0:3], s32 offset:556 ; 4-byte Folded Spill
	buffer_store_dword v29, off, s[0:3], s32 offset:560 ; 4-byte Folded Spill
.LBB216_360:                            ;   in Loop: Header=BB216_13 Depth=1
	s_or_b32 exec_lo, exec_lo, s26
.LBB216_361:                            ;   in Loop: Header=BB216_13 Depth=1
	s_or_b32 exec_lo, exec_lo, s25
.LBB216_362:                            ;   in Loop: Header=BB216_13 Depth=1
	s_or_b32 exec_lo, exec_lo, s24
	v_cmp_ne_u16_sdwa s6, v0, v29 src0_sel:BYTE_1 src1_sel:DWORD
	s_and_saveexec_b32 s24, s6
	s_cbranch_execz .LBB216_370
; %bb.363:                              ;   in Loop: Header=BB216_13 Depth=1
	v_mov_b32_e32 v39, v29
	v_cmp_ne_u16_sdwa s6, v0, v64 src0_sel:BYTE_1 src1_sel:DWORD
	buffer_store_dword v39, off, s[0:3], s32 offset:564 ; 4-byte Folded Spill
	buffer_store_dword v40, off, s[0:3], s32 offset:568 ; 4-byte Folded Spill
	s_and_saveexec_b32 s25, s6
	s_cbranch_execz .LBB216_369
; %bb.364:                              ;   in Loop: Header=BB216_13 Depth=1
	v_mov_b32_e32 v1, 0xffff
	v_mov_b32_e32 v52, v29
	s_mov_b32 s26, exec_lo
	buffer_store_dword v52, off, s[0:3], s32 offset:564 ; 4-byte Folded Spill
	buffer_store_dword v53, off, s[0:3], s32 offset:568 ; 4-byte Folded Spill
	v_and_b32_sdwa v1, v1, v0 dst_sel:DWORD dst_unused:UNUSED_PAD src0_sel:DWORD src1_sel:BYTE_1
	v_and_b32_e32 v2, 0x7f, v1
	v_cmpx_ne_u32_e32 0x7f, v2
	s_cbranch_execz .LBB216_368
; %bb.365:                              ;   in Loop: Header=BB216_13 Depth=1
	v_and_b32_e32 v28, 7, v1
	v_lshrrev_b32_e32 v1, 3, v2
	s_mov_b32 s27, exec_lo
	v_cmpx_gt_u32_e32 8, v2
; %bb.366:                              ;   in Loop: Header=BB216_13 Depth=1
	v_ffbh_u32_e32 v1, v28
	v_min_u32_e32 v1, 32, v1
	v_subrev_nc_u32_e32 v2, 28, v1
	v_sub_nc_u32_e32 v1, 29, v1
	v_lshlrev_b64 v[2:3], v2, v[28:29]
	v_and_b32_e32 v28, 7, v2
; %bb.367:                              ;   in Loop: Header=BB216_13 Depth=1
	s_or_b32 exec_lo, exec_lo, s27
	v_lshlrev_b32_e32 v0, 16, v0
	v_lshlrev_b32_e32 v2, 20, v28
	v_lshl_add_u32 v1, v1, 23, 0x3c000000
	v_and_b32_e32 v0, 0x80000000, v0
	v_or3_b32 v1, v2, v0, v1
	v_mov_b32_e32 v0, v29
	buffer_store_dword v0, off, s[0:3], s32 offset:564 ; 4-byte Folded Spill
	buffer_store_dword v1, off, s[0:3], s32 offset:568 ; 4-byte Folded Spill
.LBB216_368:                            ;   in Loop: Header=BB216_13 Depth=1
	s_or_b32 exec_lo, exec_lo, s26
.LBB216_369:                            ;   in Loop: Header=BB216_13 Depth=1
	s_or_b32 exec_lo, exec_lo, s25
.LBB216_370:                            ;   in Loop: Header=BB216_13 Depth=1
	s_or_b32 exec_lo, exec_lo, s24
	flat_load_ushort v1, v[33:34] offset:1288
	s_waitcnt vmcnt(0) lgkmcnt(0)
	v_and_b32_e32 v0, 0xffff, v1
	v_cmp_ne_u16_sdwa s6, v1, v29 src0_sel:BYTE_0 src1_sel:DWORD
	v_mov_b32_e32 v1, 0
	v_mov_b32_e32 v2, 0
	buffer_store_dword v1, off, s[0:3], s32 offset:580 ; 4-byte Folded Spill
	buffer_store_dword v2, off, s[0:3], s32 offset:584 ; 4-byte Folded Spill
	v_mov_b32_e32 v1, 0
	v_mov_b32_e32 v2, 0
	buffer_store_dword v1, off, s[0:3], s32 offset:572 ; 4-byte Folded Spill
	buffer_store_dword v2, off, s[0:3], s32 offset:576 ; 4-byte Folded Spill
	s_and_saveexec_b32 s24, s6
	s_cbranch_execz .LBB216_378
; %bb.371:                              ;   in Loop: Header=BB216_13 Depth=1
	v_bfrev_b32_e32 v1, 1
	v_mov_b32_e32 v2, 0
	v_cmp_ne_u16_sdwa s6, v0, v64 src0_sel:BYTE_0 src1_sel:DWORD
	buffer_store_dword v1, off, s[0:3], s32 offset:572 ; 4-byte Folded Spill
	buffer_store_dword v2, off, s[0:3], s32 offset:576 ; 4-byte Folded Spill
	s_and_saveexec_b32 s25, s6
	s_cbranch_execz .LBB216_377
; %bb.372:                              ;   in Loop: Header=BB216_13 Depth=1
	v_mov_b32_e32 v3, 0x7f800001
	v_and_b32_e32 v2, 0x7f, v0
	v_mov_b32_e32 v4, 0
	s_mov_b32 s26, exec_lo
	buffer_store_dword v3, off, s[0:3], s32 offset:572 ; 4-byte Folded Spill
	buffer_store_dword v4, off, s[0:3], s32 offset:576 ; 4-byte Folded Spill
	v_cmpx_ne_u32_e32 0x7f, v2
	s_cbranch_execz .LBB216_376
; %bb.373:                              ;   in Loop: Header=BB216_13 Depth=1
	v_and_b32_e32 v28, 7, v0
	v_lshrrev_b32_e32 v1, 3, v2
	s_mov_b32 s27, exec_lo
	v_cmpx_gt_u32_e32 8, v2
; %bb.374:                              ;   in Loop: Header=BB216_13 Depth=1
	v_ffbh_u32_e32 v1, v28
	v_min_u32_e32 v1, 32, v1
	v_subrev_nc_u32_e32 v2, 28, v1
	v_sub_nc_u32_e32 v1, 29, v1
	v_lshlrev_b64 v[2:3], v2, v[28:29]
	v_and_b32_e32 v28, 7, v2
; %bb.375:                              ;   in Loop: Header=BB216_13 Depth=1
	s_or_b32 exec_lo, exec_lo, s27
	v_lshlrev_b32_e32 v2, 24, v0
	v_lshlrev_b32_e32 v3, 20, v28
	v_lshl_add_u32 v1, v1, 23, 0x3c000000
	v_and_b32_e32 v2, 0x80000000, v2
	v_or3_b32 v28, v3, v2, v1
	buffer_store_dword v28, off, s[0:3], s32 offset:572 ; 4-byte Folded Spill
	buffer_store_dword v29, off, s[0:3], s32 offset:576 ; 4-byte Folded Spill
.LBB216_376:                            ;   in Loop: Header=BB216_13 Depth=1
	s_or_b32 exec_lo, exec_lo, s26
.LBB216_377:                            ;   in Loop: Header=BB216_13 Depth=1
	s_or_b32 exec_lo, exec_lo, s25
.LBB216_378:                            ;   in Loop: Header=BB216_13 Depth=1
	s_or_b32 exec_lo, exec_lo, s24
	v_cmp_ne_u16_sdwa s6, v0, v29 src0_sel:BYTE_1 src1_sel:DWORD
	s_and_saveexec_b32 s24, s6
	s_cbranch_execz .LBB216_386
; %bb.379:                              ;   in Loop: Header=BB216_13 Depth=1
	v_mov_b32_e32 v39, v29
	v_cmp_ne_u16_sdwa s6, v0, v64 src0_sel:BYTE_1 src1_sel:DWORD
	buffer_store_dword v39, off, s[0:3], s32 offset:580 ; 4-byte Folded Spill
	buffer_store_dword v40, off, s[0:3], s32 offset:584 ; 4-byte Folded Spill
	s_and_saveexec_b32 s25, s6
	s_cbranch_execz .LBB216_385
; %bb.380:                              ;   in Loop: Header=BB216_13 Depth=1
	v_mov_b32_e32 v1, 0xffff
	v_mov_b32_e32 v52, v29
	s_mov_b32 s26, exec_lo
	buffer_store_dword v52, off, s[0:3], s32 offset:580 ; 4-byte Folded Spill
	buffer_store_dword v53, off, s[0:3], s32 offset:584 ; 4-byte Folded Spill
	v_and_b32_sdwa v1, v1, v0 dst_sel:DWORD dst_unused:UNUSED_PAD src0_sel:DWORD src1_sel:BYTE_1
	v_and_b32_e32 v2, 0x7f, v1
	v_cmpx_ne_u32_e32 0x7f, v2
	s_cbranch_execz .LBB216_384
; %bb.381:                              ;   in Loop: Header=BB216_13 Depth=1
	v_and_b32_e32 v28, 7, v1
	v_lshrrev_b32_e32 v1, 3, v2
	s_mov_b32 s27, exec_lo
	v_cmpx_gt_u32_e32 8, v2
; %bb.382:                              ;   in Loop: Header=BB216_13 Depth=1
	v_ffbh_u32_e32 v1, v28
	v_min_u32_e32 v1, 32, v1
	v_subrev_nc_u32_e32 v2, 28, v1
	v_sub_nc_u32_e32 v1, 29, v1
	v_lshlrev_b64 v[2:3], v2, v[28:29]
	v_and_b32_e32 v28, 7, v2
; %bb.383:                              ;   in Loop: Header=BB216_13 Depth=1
	s_or_b32 exec_lo, exec_lo, s27
	v_lshlrev_b32_e32 v0, 16, v0
	v_lshlrev_b32_e32 v2, 20, v28
	v_lshl_add_u32 v1, v1, 23, 0x3c000000
	v_and_b32_e32 v0, 0x80000000, v0
	v_or3_b32 v1, v2, v0, v1
	v_mov_b32_e32 v0, v29
	buffer_store_dword v0, off, s[0:3], s32 offset:580 ; 4-byte Folded Spill
	buffer_store_dword v1, off, s[0:3], s32 offset:584 ; 4-byte Folded Spill
.LBB216_384:                            ;   in Loop: Header=BB216_13 Depth=1
	s_or_b32 exec_lo, exec_lo, s26
.LBB216_385:                            ;   in Loop: Header=BB216_13 Depth=1
	s_or_b32 exec_lo, exec_lo, s25
.LBB216_386:                            ;   in Loop: Header=BB216_13 Depth=1
	s_or_b32 exec_lo, exec_lo, s24
	flat_load_ushort v1, v[33:34] offset:1292
	s_waitcnt vmcnt(0) lgkmcnt(0)
	v_and_b32_e32 v0, 0xffff, v1
	v_cmp_ne_u16_sdwa s6, v1, v29 src0_sel:BYTE_0 src1_sel:DWORD
	v_mov_b32_e32 v1, 0
	v_mov_b32_e32 v2, 0
	buffer_store_dword v1, off, s[0:3], s32 offset:596 ; 4-byte Folded Spill
	buffer_store_dword v2, off, s[0:3], s32 offset:600 ; 4-byte Folded Spill
	v_mov_b32_e32 v1, 0
	v_mov_b32_e32 v2, 0
	buffer_store_dword v1, off, s[0:3], s32 offset:588 ; 4-byte Folded Spill
	buffer_store_dword v2, off, s[0:3], s32 offset:592 ; 4-byte Folded Spill
	s_and_saveexec_b32 s24, s6
	s_cbranch_execz .LBB216_394
; %bb.387:                              ;   in Loop: Header=BB216_13 Depth=1
	v_bfrev_b32_e32 v1, 1
	v_mov_b32_e32 v2, 0
	v_cmp_ne_u16_sdwa s6, v0, v64 src0_sel:BYTE_0 src1_sel:DWORD
	buffer_store_dword v1, off, s[0:3], s32 offset:588 ; 4-byte Folded Spill
	buffer_store_dword v2, off, s[0:3], s32 offset:592 ; 4-byte Folded Spill
	s_and_saveexec_b32 s25, s6
	s_cbranch_execz .LBB216_393
; %bb.388:                              ;   in Loop: Header=BB216_13 Depth=1
	v_mov_b32_e32 v3, 0x7f800001
	v_and_b32_e32 v2, 0x7f, v0
	v_mov_b32_e32 v4, 0
	s_mov_b32 s26, exec_lo
	buffer_store_dword v3, off, s[0:3], s32 offset:588 ; 4-byte Folded Spill
	buffer_store_dword v4, off, s[0:3], s32 offset:592 ; 4-byte Folded Spill
	v_cmpx_ne_u32_e32 0x7f, v2
	s_cbranch_execz .LBB216_392
; %bb.389:                              ;   in Loop: Header=BB216_13 Depth=1
	v_and_b32_e32 v28, 7, v0
	v_lshrrev_b32_e32 v1, 3, v2
	s_mov_b32 s27, exec_lo
	v_cmpx_gt_u32_e32 8, v2
; %bb.390:                              ;   in Loop: Header=BB216_13 Depth=1
	v_ffbh_u32_e32 v1, v28
	v_min_u32_e32 v1, 32, v1
	v_subrev_nc_u32_e32 v2, 28, v1
	v_sub_nc_u32_e32 v1, 29, v1
	v_lshlrev_b64 v[2:3], v2, v[28:29]
	v_and_b32_e32 v28, 7, v2
; %bb.391:                              ;   in Loop: Header=BB216_13 Depth=1
	s_or_b32 exec_lo, exec_lo, s27
	v_lshlrev_b32_e32 v2, 24, v0
	v_lshlrev_b32_e32 v3, 20, v28
	v_lshl_add_u32 v1, v1, 23, 0x3c000000
	v_and_b32_e32 v2, 0x80000000, v2
	v_or3_b32 v28, v3, v2, v1
	buffer_store_dword v28, off, s[0:3], s32 offset:588 ; 4-byte Folded Spill
	buffer_store_dword v29, off, s[0:3], s32 offset:592 ; 4-byte Folded Spill
.LBB216_392:                            ;   in Loop: Header=BB216_13 Depth=1
	s_or_b32 exec_lo, exec_lo, s26
.LBB216_393:                            ;   in Loop: Header=BB216_13 Depth=1
	s_or_b32 exec_lo, exec_lo, s25
.LBB216_394:                            ;   in Loop: Header=BB216_13 Depth=1
	s_or_b32 exec_lo, exec_lo, s24
	v_cmp_ne_u16_sdwa s6, v0, v29 src0_sel:BYTE_1 src1_sel:DWORD
	s_and_saveexec_b32 s24, s6
	s_cbranch_execz .LBB216_402
; %bb.395:                              ;   in Loop: Header=BB216_13 Depth=1
	v_mov_b32_e32 v39, v29
	v_cmp_ne_u16_sdwa s6, v0, v64 src0_sel:BYTE_1 src1_sel:DWORD
	buffer_store_dword v39, off, s[0:3], s32 offset:596 ; 4-byte Folded Spill
	buffer_store_dword v40, off, s[0:3], s32 offset:600 ; 4-byte Folded Spill
	s_and_saveexec_b32 s25, s6
	s_cbranch_execz .LBB216_401
; %bb.396:                              ;   in Loop: Header=BB216_13 Depth=1
	v_mov_b32_e32 v1, 0xffff
	v_mov_b32_e32 v52, v29
	s_mov_b32 s26, exec_lo
	buffer_store_dword v52, off, s[0:3], s32 offset:596 ; 4-byte Folded Spill
	buffer_store_dword v53, off, s[0:3], s32 offset:600 ; 4-byte Folded Spill
	v_and_b32_sdwa v1, v1, v0 dst_sel:DWORD dst_unused:UNUSED_PAD src0_sel:DWORD src1_sel:BYTE_1
	v_and_b32_e32 v2, 0x7f, v1
	v_cmpx_ne_u32_e32 0x7f, v2
	s_cbranch_execz .LBB216_400
; %bb.397:                              ;   in Loop: Header=BB216_13 Depth=1
	v_and_b32_e32 v28, 7, v1
	v_lshrrev_b32_e32 v1, 3, v2
	s_mov_b32 s27, exec_lo
	v_cmpx_gt_u32_e32 8, v2
; %bb.398:                              ;   in Loop: Header=BB216_13 Depth=1
	v_ffbh_u32_e32 v1, v28
	v_min_u32_e32 v1, 32, v1
	v_subrev_nc_u32_e32 v2, 28, v1
	v_sub_nc_u32_e32 v1, 29, v1
	v_lshlrev_b64 v[2:3], v2, v[28:29]
	v_and_b32_e32 v28, 7, v2
; %bb.399:                              ;   in Loop: Header=BB216_13 Depth=1
	s_or_b32 exec_lo, exec_lo, s27
	v_lshlrev_b32_e32 v0, 16, v0
	v_lshlrev_b32_e32 v2, 20, v28
	v_lshl_add_u32 v1, v1, 23, 0x3c000000
	v_and_b32_e32 v0, 0x80000000, v0
	v_or3_b32 v1, v2, v0, v1
	v_mov_b32_e32 v0, v29
	buffer_store_dword v0, off, s[0:3], s32 offset:596 ; 4-byte Folded Spill
	buffer_store_dword v1, off, s[0:3], s32 offset:600 ; 4-byte Folded Spill
.LBB216_400:                            ;   in Loop: Header=BB216_13 Depth=1
	s_or_b32 exec_lo, exec_lo, s26
.LBB216_401:                            ;   in Loop: Header=BB216_13 Depth=1
	s_or_b32 exec_lo, exec_lo, s25
.LBB216_402:                            ;   in Loop: Header=BB216_13 Depth=1
	s_or_b32 exec_lo, exec_lo, s24
	flat_load_ushort v1, v[33:34] offset:1536
	s_waitcnt vmcnt(0) lgkmcnt(0)
	v_and_b32_e32 v0, 0xffff, v1
	v_cmp_ne_u16_sdwa s6, v1, v29 src0_sel:BYTE_0 src1_sel:DWORD
	v_mov_b32_e32 v1, 0
	v_mov_b32_e32 v2, 0
	buffer_store_dword v1, off, s[0:3], s32 offset:612 ; 4-byte Folded Spill
	buffer_store_dword v2, off, s[0:3], s32 offset:616 ; 4-byte Folded Spill
	v_mov_b32_e32 v1, 0
	v_mov_b32_e32 v2, 0
	buffer_store_dword v1, off, s[0:3], s32 offset:604 ; 4-byte Folded Spill
	buffer_store_dword v2, off, s[0:3], s32 offset:608 ; 4-byte Folded Spill
	s_and_saveexec_b32 s24, s6
	s_cbranch_execz .LBB216_410
; %bb.403:                              ;   in Loop: Header=BB216_13 Depth=1
	v_bfrev_b32_e32 v1, 1
	v_mov_b32_e32 v2, 0
	v_cmp_ne_u16_sdwa s6, v0, v64 src0_sel:BYTE_0 src1_sel:DWORD
	buffer_store_dword v1, off, s[0:3], s32 offset:604 ; 4-byte Folded Spill
	buffer_store_dword v2, off, s[0:3], s32 offset:608 ; 4-byte Folded Spill
	s_and_saveexec_b32 s25, s6
	s_cbranch_execz .LBB216_409
; %bb.404:                              ;   in Loop: Header=BB216_13 Depth=1
	v_mov_b32_e32 v3, 0x7f800001
	v_and_b32_e32 v2, 0x7f, v0
	v_mov_b32_e32 v4, 0
	s_mov_b32 s26, exec_lo
	buffer_store_dword v3, off, s[0:3], s32 offset:604 ; 4-byte Folded Spill
	buffer_store_dword v4, off, s[0:3], s32 offset:608 ; 4-byte Folded Spill
	v_cmpx_ne_u32_e32 0x7f, v2
	s_cbranch_execz .LBB216_408
; %bb.405:                              ;   in Loop: Header=BB216_13 Depth=1
	v_and_b32_e32 v28, 7, v0
	v_lshrrev_b32_e32 v1, 3, v2
	s_mov_b32 s27, exec_lo
	v_cmpx_gt_u32_e32 8, v2
; %bb.406:                              ;   in Loop: Header=BB216_13 Depth=1
	v_ffbh_u32_e32 v1, v28
	v_min_u32_e32 v1, 32, v1
	v_subrev_nc_u32_e32 v2, 28, v1
	v_sub_nc_u32_e32 v1, 29, v1
	v_lshlrev_b64 v[2:3], v2, v[28:29]
	v_and_b32_e32 v28, 7, v2
; %bb.407:                              ;   in Loop: Header=BB216_13 Depth=1
	s_or_b32 exec_lo, exec_lo, s27
	v_lshlrev_b32_e32 v2, 24, v0
	v_lshlrev_b32_e32 v3, 20, v28
	v_lshl_add_u32 v1, v1, 23, 0x3c000000
	v_and_b32_e32 v2, 0x80000000, v2
	v_or3_b32 v28, v3, v2, v1
	buffer_store_dword v28, off, s[0:3], s32 offset:604 ; 4-byte Folded Spill
	buffer_store_dword v29, off, s[0:3], s32 offset:608 ; 4-byte Folded Spill
.LBB216_408:                            ;   in Loop: Header=BB216_13 Depth=1
	s_or_b32 exec_lo, exec_lo, s26
.LBB216_409:                            ;   in Loop: Header=BB216_13 Depth=1
	s_or_b32 exec_lo, exec_lo, s25
.LBB216_410:                            ;   in Loop: Header=BB216_13 Depth=1
	s_or_b32 exec_lo, exec_lo, s24
	v_cmp_ne_u16_sdwa s6, v0, v29 src0_sel:BYTE_1 src1_sel:DWORD
	s_and_saveexec_b32 s24, s6
	s_cbranch_execz .LBB216_418
; %bb.411:                              ;   in Loop: Header=BB216_13 Depth=1
	v_mov_b32_e32 v39, v29
	v_cmp_ne_u16_sdwa s6, v0, v64 src0_sel:BYTE_1 src1_sel:DWORD
	buffer_store_dword v39, off, s[0:3], s32 offset:612 ; 4-byte Folded Spill
	buffer_store_dword v40, off, s[0:3], s32 offset:616 ; 4-byte Folded Spill
	s_and_saveexec_b32 s25, s6
	s_cbranch_execz .LBB216_417
; %bb.412:                              ;   in Loop: Header=BB216_13 Depth=1
	v_mov_b32_e32 v1, 0xffff
	v_mov_b32_e32 v52, v29
	s_mov_b32 s26, exec_lo
	buffer_store_dword v52, off, s[0:3], s32 offset:612 ; 4-byte Folded Spill
	buffer_store_dword v53, off, s[0:3], s32 offset:616 ; 4-byte Folded Spill
	v_and_b32_sdwa v1, v1, v0 dst_sel:DWORD dst_unused:UNUSED_PAD src0_sel:DWORD src1_sel:BYTE_1
	v_and_b32_e32 v2, 0x7f, v1
	v_cmpx_ne_u32_e32 0x7f, v2
	s_cbranch_execz .LBB216_416
; %bb.413:                              ;   in Loop: Header=BB216_13 Depth=1
	v_and_b32_e32 v28, 7, v1
	v_lshrrev_b32_e32 v1, 3, v2
	s_mov_b32 s27, exec_lo
	v_cmpx_gt_u32_e32 8, v2
; %bb.414:                              ;   in Loop: Header=BB216_13 Depth=1
	v_ffbh_u32_e32 v1, v28
	v_min_u32_e32 v1, 32, v1
	v_subrev_nc_u32_e32 v2, 28, v1
	v_sub_nc_u32_e32 v1, 29, v1
	v_lshlrev_b64 v[2:3], v2, v[28:29]
	v_and_b32_e32 v28, 7, v2
; %bb.415:                              ;   in Loop: Header=BB216_13 Depth=1
	s_or_b32 exec_lo, exec_lo, s27
	v_lshlrev_b32_e32 v0, 16, v0
	v_lshlrev_b32_e32 v2, 20, v28
	v_lshl_add_u32 v1, v1, 23, 0x3c000000
	v_and_b32_e32 v0, 0x80000000, v0
	v_or3_b32 v1, v2, v0, v1
	v_mov_b32_e32 v0, v29
	buffer_store_dword v0, off, s[0:3], s32 offset:612 ; 4-byte Folded Spill
	buffer_store_dword v1, off, s[0:3], s32 offset:616 ; 4-byte Folded Spill
.LBB216_416:                            ;   in Loop: Header=BB216_13 Depth=1
	s_or_b32 exec_lo, exec_lo, s26
.LBB216_417:                            ;   in Loop: Header=BB216_13 Depth=1
	s_or_b32 exec_lo, exec_lo, s25
.LBB216_418:                            ;   in Loop: Header=BB216_13 Depth=1
	s_or_b32 exec_lo, exec_lo, s24
	flat_load_ushort v1, v[33:34] offset:1540
	s_waitcnt vmcnt(0) lgkmcnt(0)
	v_and_b32_e32 v0, 0xffff, v1
	v_cmp_ne_u16_sdwa s6, v1, v29 src0_sel:BYTE_0 src1_sel:DWORD
	v_mov_b32_e32 v1, 0
	v_mov_b32_e32 v2, 0
	buffer_store_dword v1, off, s[0:3], s32 offset:628 ; 4-byte Folded Spill
	buffer_store_dword v2, off, s[0:3], s32 offset:632 ; 4-byte Folded Spill
	v_mov_b32_e32 v1, 0
	v_mov_b32_e32 v2, 0
	buffer_store_dword v1, off, s[0:3], s32 offset:620 ; 4-byte Folded Spill
	buffer_store_dword v2, off, s[0:3], s32 offset:624 ; 4-byte Folded Spill
	s_and_saveexec_b32 s24, s6
	s_cbranch_execz .LBB216_426
; %bb.419:                              ;   in Loop: Header=BB216_13 Depth=1
	v_bfrev_b32_e32 v1, 1
	v_mov_b32_e32 v2, 0
	v_cmp_ne_u16_sdwa s6, v0, v64 src0_sel:BYTE_0 src1_sel:DWORD
	buffer_store_dword v1, off, s[0:3], s32 offset:620 ; 4-byte Folded Spill
	buffer_store_dword v2, off, s[0:3], s32 offset:624 ; 4-byte Folded Spill
	s_and_saveexec_b32 s25, s6
	s_cbranch_execz .LBB216_425
; %bb.420:                              ;   in Loop: Header=BB216_13 Depth=1
	v_mov_b32_e32 v3, 0x7f800001
	v_and_b32_e32 v2, 0x7f, v0
	v_mov_b32_e32 v4, 0
	s_mov_b32 s26, exec_lo
	buffer_store_dword v3, off, s[0:3], s32 offset:620 ; 4-byte Folded Spill
	buffer_store_dword v4, off, s[0:3], s32 offset:624 ; 4-byte Folded Spill
	v_cmpx_ne_u32_e32 0x7f, v2
	s_cbranch_execz .LBB216_424
; %bb.421:                              ;   in Loop: Header=BB216_13 Depth=1
	v_and_b32_e32 v28, 7, v0
	v_lshrrev_b32_e32 v1, 3, v2
	s_mov_b32 s27, exec_lo
	v_cmpx_gt_u32_e32 8, v2
; %bb.422:                              ;   in Loop: Header=BB216_13 Depth=1
	v_ffbh_u32_e32 v1, v28
	v_min_u32_e32 v1, 32, v1
	v_subrev_nc_u32_e32 v2, 28, v1
	v_sub_nc_u32_e32 v1, 29, v1
	v_lshlrev_b64 v[2:3], v2, v[28:29]
	v_and_b32_e32 v28, 7, v2
; %bb.423:                              ;   in Loop: Header=BB216_13 Depth=1
	s_or_b32 exec_lo, exec_lo, s27
	v_lshlrev_b32_e32 v2, 24, v0
	v_lshlrev_b32_e32 v3, 20, v28
	v_lshl_add_u32 v1, v1, 23, 0x3c000000
	v_and_b32_e32 v2, 0x80000000, v2
	v_or3_b32 v28, v3, v2, v1
	buffer_store_dword v28, off, s[0:3], s32 offset:620 ; 4-byte Folded Spill
	buffer_store_dword v29, off, s[0:3], s32 offset:624 ; 4-byte Folded Spill
.LBB216_424:                            ;   in Loop: Header=BB216_13 Depth=1
	s_or_b32 exec_lo, exec_lo, s26
.LBB216_425:                            ;   in Loop: Header=BB216_13 Depth=1
	s_or_b32 exec_lo, exec_lo, s25
.LBB216_426:                            ;   in Loop: Header=BB216_13 Depth=1
	s_or_b32 exec_lo, exec_lo, s24
	v_cmp_ne_u16_sdwa s6, v0, v29 src0_sel:BYTE_1 src1_sel:DWORD
	s_and_saveexec_b32 s24, s6
	s_cbranch_execz .LBB216_434
; %bb.427:                              ;   in Loop: Header=BB216_13 Depth=1
	v_mov_b32_e32 v39, v29
	v_cmp_ne_u16_sdwa s6, v0, v64 src0_sel:BYTE_1 src1_sel:DWORD
	buffer_store_dword v39, off, s[0:3], s32 offset:628 ; 4-byte Folded Spill
	buffer_store_dword v40, off, s[0:3], s32 offset:632 ; 4-byte Folded Spill
	s_and_saveexec_b32 s25, s6
	s_cbranch_execz .LBB216_433
; %bb.428:                              ;   in Loop: Header=BB216_13 Depth=1
	v_mov_b32_e32 v1, 0xffff
	v_mov_b32_e32 v52, v29
	s_mov_b32 s26, exec_lo
	buffer_store_dword v52, off, s[0:3], s32 offset:628 ; 4-byte Folded Spill
	buffer_store_dword v53, off, s[0:3], s32 offset:632 ; 4-byte Folded Spill
	v_and_b32_sdwa v1, v1, v0 dst_sel:DWORD dst_unused:UNUSED_PAD src0_sel:DWORD src1_sel:BYTE_1
	v_and_b32_e32 v2, 0x7f, v1
	v_cmpx_ne_u32_e32 0x7f, v2
	s_cbranch_execz .LBB216_432
; %bb.429:                              ;   in Loop: Header=BB216_13 Depth=1
	v_and_b32_e32 v28, 7, v1
	v_lshrrev_b32_e32 v1, 3, v2
	s_mov_b32 s27, exec_lo
	v_cmpx_gt_u32_e32 8, v2
; %bb.430:                              ;   in Loop: Header=BB216_13 Depth=1
	v_ffbh_u32_e32 v1, v28
	v_min_u32_e32 v1, 32, v1
	v_subrev_nc_u32_e32 v2, 28, v1
	v_sub_nc_u32_e32 v1, 29, v1
	v_lshlrev_b64 v[2:3], v2, v[28:29]
	v_and_b32_e32 v28, 7, v2
; %bb.431:                              ;   in Loop: Header=BB216_13 Depth=1
	s_or_b32 exec_lo, exec_lo, s27
	v_lshlrev_b32_e32 v0, 16, v0
	v_lshlrev_b32_e32 v2, 20, v28
	v_lshl_add_u32 v1, v1, 23, 0x3c000000
	v_and_b32_e32 v0, 0x80000000, v0
	v_or3_b32 v1, v2, v0, v1
	v_mov_b32_e32 v0, v29
	buffer_store_dword v0, off, s[0:3], s32 offset:628 ; 4-byte Folded Spill
	buffer_store_dword v1, off, s[0:3], s32 offset:632 ; 4-byte Folded Spill
.LBB216_432:                            ;   in Loop: Header=BB216_13 Depth=1
	s_or_b32 exec_lo, exec_lo, s26
.LBB216_433:                            ;   in Loop: Header=BB216_13 Depth=1
	s_or_b32 exec_lo, exec_lo, s25
.LBB216_434:                            ;   in Loop: Header=BB216_13 Depth=1
	s_or_b32 exec_lo, exec_lo, s24
	flat_load_ushort v1, v[33:34] offset:1544
	s_waitcnt vmcnt(0) lgkmcnt(0)
	v_and_b32_e32 v0, 0xffff, v1
	v_cmp_ne_u16_sdwa s6, v1, v29 src0_sel:BYTE_0 src1_sel:DWORD
	v_mov_b32_e32 v1, 0
	v_mov_b32_e32 v2, 0
	buffer_store_dword v1, off, s[0:3], s32 offset:644 ; 4-byte Folded Spill
	buffer_store_dword v2, off, s[0:3], s32 offset:648 ; 4-byte Folded Spill
	v_mov_b32_e32 v1, 0
	v_mov_b32_e32 v2, 0
	buffer_store_dword v1, off, s[0:3], s32 offset:636 ; 4-byte Folded Spill
	buffer_store_dword v2, off, s[0:3], s32 offset:640 ; 4-byte Folded Spill
	s_and_saveexec_b32 s24, s6
	s_cbranch_execz .LBB216_442
; %bb.435:                              ;   in Loop: Header=BB216_13 Depth=1
	v_bfrev_b32_e32 v1, 1
	v_mov_b32_e32 v2, 0
	v_cmp_ne_u16_sdwa s6, v0, v64 src0_sel:BYTE_0 src1_sel:DWORD
	buffer_store_dword v1, off, s[0:3], s32 offset:636 ; 4-byte Folded Spill
	buffer_store_dword v2, off, s[0:3], s32 offset:640 ; 4-byte Folded Spill
	s_and_saveexec_b32 s25, s6
	s_cbranch_execz .LBB216_441
; %bb.436:                              ;   in Loop: Header=BB216_13 Depth=1
	v_mov_b32_e32 v3, 0x7f800001
	v_and_b32_e32 v2, 0x7f, v0
	v_mov_b32_e32 v4, 0
	s_mov_b32 s26, exec_lo
	buffer_store_dword v3, off, s[0:3], s32 offset:636 ; 4-byte Folded Spill
	buffer_store_dword v4, off, s[0:3], s32 offset:640 ; 4-byte Folded Spill
	v_cmpx_ne_u32_e32 0x7f, v2
	s_cbranch_execz .LBB216_440
; %bb.437:                              ;   in Loop: Header=BB216_13 Depth=1
	v_and_b32_e32 v28, 7, v0
	v_lshrrev_b32_e32 v1, 3, v2
	s_mov_b32 s27, exec_lo
	v_cmpx_gt_u32_e32 8, v2
; %bb.438:                              ;   in Loop: Header=BB216_13 Depth=1
	v_ffbh_u32_e32 v1, v28
	v_min_u32_e32 v1, 32, v1
	v_subrev_nc_u32_e32 v2, 28, v1
	v_sub_nc_u32_e32 v1, 29, v1
	v_lshlrev_b64 v[2:3], v2, v[28:29]
	v_and_b32_e32 v28, 7, v2
; %bb.439:                              ;   in Loop: Header=BB216_13 Depth=1
	s_or_b32 exec_lo, exec_lo, s27
	v_lshlrev_b32_e32 v2, 24, v0
	v_lshlrev_b32_e32 v3, 20, v28
	v_lshl_add_u32 v1, v1, 23, 0x3c000000
	v_and_b32_e32 v2, 0x80000000, v2
	v_or3_b32 v28, v3, v2, v1
	buffer_store_dword v28, off, s[0:3], s32 offset:636 ; 4-byte Folded Spill
	buffer_store_dword v29, off, s[0:3], s32 offset:640 ; 4-byte Folded Spill
.LBB216_440:                            ;   in Loop: Header=BB216_13 Depth=1
	s_or_b32 exec_lo, exec_lo, s26
.LBB216_441:                            ;   in Loop: Header=BB216_13 Depth=1
	s_or_b32 exec_lo, exec_lo, s25
.LBB216_442:                            ;   in Loop: Header=BB216_13 Depth=1
	s_or_b32 exec_lo, exec_lo, s24
	v_cmp_ne_u16_sdwa s6, v0, v29 src0_sel:BYTE_1 src1_sel:DWORD
	s_and_saveexec_b32 s24, s6
	s_cbranch_execz .LBB216_450
; %bb.443:                              ;   in Loop: Header=BB216_13 Depth=1
	v_mov_b32_e32 v39, v29
	v_cmp_ne_u16_sdwa s6, v0, v64 src0_sel:BYTE_1 src1_sel:DWORD
	buffer_store_dword v39, off, s[0:3], s32 offset:644 ; 4-byte Folded Spill
	buffer_store_dword v40, off, s[0:3], s32 offset:648 ; 4-byte Folded Spill
	s_and_saveexec_b32 s25, s6
	s_cbranch_execz .LBB216_449
; %bb.444:                              ;   in Loop: Header=BB216_13 Depth=1
	v_mov_b32_e32 v1, 0xffff
	v_mov_b32_e32 v52, v29
	s_mov_b32 s26, exec_lo
	buffer_store_dword v52, off, s[0:3], s32 offset:644 ; 4-byte Folded Spill
	buffer_store_dword v53, off, s[0:3], s32 offset:648 ; 4-byte Folded Spill
	v_and_b32_sdwa v1, v1, v0 dst_sel:DWORD dst_unused:UNUSED_PAD src0_sel:DWORD src1_sel:BYTE_1
	v_and_b32_e32 v2, 0x7f, v1
	v_cmpx_ne_u32_e32 0x7f, v2
	s_cbranch_execz .LBB216_448
; %bb.445:                              ;   in Loop: Header=BB216_13 Depth=1
	v_and_b32_e32 v28, 7, v1
	v_lshrrev_b32_e32 v1, 3, v2
	s_mov_b32 s27, exec_lo
	v_cmpx_gt_u32_e32 8, v2
; %bb.446:                              ;   in Loop: Header=BB216_13 Depth=1
	v_ffbh_u32_e32 v1, v28
	v_min_u32_e32 v1, 32, v1
	v_subrev_nc_u32_e32 v2, 28, v1
	v_sub_nc_u32_e32 v1, 29, v1
	v_lshlrev_b64 v[2:3], v2, v[28:29]
	v_and_b32_e32 v28, 7, v2
; %bb.447:                              ;   in Loop: Header=BB216_13 Depth=1
	s_or_b32 exec_lo, exec_lo, s27
	v_lshlrev_b32_e32 v0, 16, v0
	v_lshlrev_b32_e32 v2, 20, v28
	v_lshl_add_u32 v1, v1, 23, 0x3c000000
	v_and_b32_e32 v0, 0x80000000, v0
	v_or3_b32 v1, v2, v0, v1
	v_mov_b32_e32 v0, v29
	buffer_store_dword v0, off, s[0:3], s32 offset:644 ; 4-byte Folded Spill
	buffer_store_dword v1, off, s[0:3], s32 offset:648 ; 4-byte Folded Spill
.LBB216_448:                            ;   in Loop: Header=BB216_13 Depth=1
	s_or_b32 exec_lo, exec_lo, s26
.LBB216_449:                            ;   in Loop: Header=BB216_13 Depth=1
	s_or_b32 exec_lo, exec_lo, s25
.LBB216_450:                            ;   in Loop: Header=BB216_13 Depth=1
	s_or_b32 exec_lo, exec_lo, s24
	flat_load_ushort v1, v[33:34] offset:1548
	s_waitcnt vmcnt(0) lgkmcnt(0)
	v_and_b32_e32 v0, 0xffff, v1
	v_cmp_ne_u16_sdwa s6, v1, v29 src0_sel:BYTE_0 src1_sel:DWORD
	v_mov_b32_e32 v1, 0
	v_mov_b32_e32 v2, 0
	buffer_store_dword v1, off, s[0:3], s32 offset:660 ; 4-byte Folded Spill
	buffer_store_dword v2, off, s[0:3], s32 offset:664 ; 4-byte Folded Spill
	v_mov_b32_e32 v1, 0
	v_mov_b32_e32 v2, 0
	buffer_store_dword v1, off, s[0:3], s32 offset:652 ; 4-byte Folded Spill
	buffer_store_dword v2, off, s[0:3], s32 offset:656 ; 4-byte Folded Spill
	s_and_saveexec_b32 s24, s6
	s_cbranch_execz .LBB216_458
; %bb.451:                              ;   in Loop: Header=BB216_13 Depth=1
	v_bfrev_b32_e32 v1, 1
	v_mov_b32_e32 v2, 0
	v_cmp_ne_u16_sdwa s6, v0, v64 src0_sel:BYTE_0 src1_sel:DWORD
	buffer_store_dword v1, off, s[0:3], s32 offset:652 ; 4-byte Folded Spill
	buffer_store_dword v2, off, s[0:3], s32 offset:656 ; 4-byte Folded Spill
	s_and_saveexec_b32 s25, s6
	s_cbranch_execz .LBB216_457
; %bb.452:                              ;   in Loop: Header=BB216_13 Depth=1
	v_mov_b32_e32 v3, 0x7f800001
	v_and_b32_e32 v2, 0x7f, v0
	v_mov_b32_e32 v4, 0
	s_mov_b32 s26, exec_lo
	buffer_store_dword v3, off, s[0:3], s32 offset:652 ; 4-byte Folded Spill
	buffer_store_dword v4, off, s[0:3], s32 offset:656 ; 4-byte Folded Spill
	v_cmpx_ne_u32_e32 0x7f, v2
	s_cbranch_execz .LBB216_456
; %bb.453:                              ;   in Loop: Header=BB216_13 Depth=1
	v_and_b32_e32 v28, 7, v0
	v_lshrrev_b32_e32 v1, 3, v2
	s_mov_b32 s27, exec_lo
	v_cmpx_gt_u32_e32 8, v2
; %bb.454:                              ;   in Loop: Header=BB216_13 Depth=1
	v_ffbh_u32_e32 v1, v28
	v_min_u32_e32 v1, 32, v1
	v_subrev_nc_u32_e32 v2, 28, v1
	v_sub_nc_u32_e32 v1, 29, v1
	v_lshlrev_b64 v[2:3], v2, v[28:29]
	v_and_b32_e32 v28, 7, v2
; %bb.455:                              ;   in Loop: Header=BB216_13 Depth=1
	s_or_b32 exec_lo, exec_lo, s27
	v_lshlrev_b32_e32 v2, 24, v0
	v_lshlrev_b32_e32 v3, 20, v28
	v_lshl_add_u32 v1, v1, 23, 0x3c000000
	v_and_b32_e32 v2, 0x80000000, v2
	v_or3_b32 v28, v3, v2, v1
	buffer_store_dword v28, off, s[0:3], s32 offset:652 ; 4-byte Folded Spill
	buffer_store_dword v29, off, s[0:3], s32 offset:656 ; 4-byte Folded Spill
.LBB216_456:                            ;   in Loop: Header=BB216_13 Depth=1
	s_or_b32 exec_lo, exec_lo, s26
.LBB216_457:                            ;   in Loop: Header=BB216_13 Depth=1
	s_or_b32 exec_lo, exec_lo, s25
.LBB216_458:                            ;   in Loop: Header=BB216_13 Depth=1
	s_or_b32 exec_lo, exec_lo, s24
	v_cmp_ne_u16_sdwa s6, v0, v29 src0_sel:BYTE_1 src1_sel:DWORD
	s_and_saveexec_b32 s24, s6
	s_cbranch_execz .LBB216_466
; %bb.459:                              ;   in Loop: Header=BB216_13 Depth=1
	v_mov_b32_e32 v39, v29
	v_cmp_ne_u16_sdwa s6, v0, v64 src0_sel:BYTE_1 src1_sel:DWORD
	buffer_store_dword v39, off, s[0:3], s32 offset:660 ; 4-byte Folded Spill
	buffer_store_dword v40, off, s[0:3], s32 offset:664 ; 4-byte Folded Spill
	s_and_saveexec_b32 s25, s6
	s_cbranch_execz .LBB216_465
; %bb.460:                              ;   in Loop: Header=BB216_13 Depth=1
	v_mov_b32_e32 v1, 0xffff
	v_mov_b32_e32 v52, v29
	s_mov_b32 s26, exec_lo
	buffer_store_dword v52, off, s[0:3], s32 offset:660 ; 4-byte Folded Spill
	buffer_store_dword v53, off, s[0:3], s32 offset:664 ; 4-byte Folded Spill
	v_and_b32_sdwa v1, v1, v0 dst_sel:DWORD dst_unused:UNUSED_PAD src0_sel:DWORD src1_sel:BYTE_1
	v_and_b32_e32 v2, 0x7f, v1
	v_cmpx_ne_u32_e32 0x7f, v2
	s_cbranch_execz .LBB216_464
; %bb.461:                              ;   in Loop: Header=BB216_13 Depth=1
	v_and_b32_e32 v28, 7, v1
	v_lshrrev_b32_e32 v1, 3, v2
	s_mov_b32 s27, exec_lo
	v_cmpx_gt_u32_e32 8, v2
; %bb.462:                              ;   in Loop: Header=BB216_13 Depth=1
	v_ffbh_u32_e32 v1, v28
	v_min_u32_e32 v1, 32, v1
	v_subrev_nc_u32_e32 v2, 28, v1
	v_sub_nc_u32_e32 v1, 29, v1
	v_lshlrev_b64 v[2:3], v2, v[28:29]
	v_and_b32_e32 v28, 7, v2
; %bb.463:                              ;   in Loop: Header=BB216_13 Depth=1
	s_or_b32 exec_lo, exec_lo, s27
	v_lshlrev_b32_e32 v0, 16, v0
	v_lshlrev_b32_e32 v2, 20, v28
	v_lshl_add_u32 v1, v1, 23, 0x3c000000
	v_and_b32_e32 v0, 0x80000000, v0
	v_or3_b32 v1, v2, v0, v1
	v_mov_b32_e32 v0, v29
	buffer_store_dword v0, off, s[0:3], s32 offset:660 ; 4-byte Folded Spill
	buffer_store_dword v1, off, s[0:3], s32 offset:664 ; 4-byte Folded Spill
.LBB216_464:                            ;   in Loop: Header=BB216_13 Depth=1
	s_or_b32 exec_lo, exec_lo, s26
.LBB216_465:                            ;   in Loop: Header=BB216_13 Depth=1
	s_or_b32 exec_lo, exec_lo, s25
.LBB216_466:                            ;   in Loop: Header=BB216_13 Depth=1
	s_or_b32 exec_lo, exec_lo, s24
	flat_load_ushort v1, v[33:34] offset:1792
	s_waitcnt vmcnt(0) lgkmcnt(0)
	v_and_b32_e32 v0, 0xffff, v1
	v_cmp_ne_u16_sdwa s6, v1, v29 src0_sel:BYTE_0 src1_sel:DWORD
	v_mov_b32_e32 v1, 0
	v_mov_b32_e32 v2, 0
	buffer_store_dword v1, off, s[0:3], s32 offset:676 ; 4-byte Folded Spill
	buffer_store_dword v2, off, s[0:3], s32 offset:680 ; 4-byte Folded Spill
	v_mov_b32_e32 v1, 0
	v_mov_b32_e32 v2, 0
	buffer_store_dword v1, off, s[0:3], s32 offset:668 ; 4-byte Folded Spill
	buffer_store_dword v2, off, s[0:3], s32 offset:672 ; 4-byte Folded Spill
	s_and_saveexec_b32 s24, s6
	s_cbranch_execz .LBB216_474
; %bb.467:                              ;   in Loop: Header=BB216_13 Depth=1
	v_bfrev_b32_e32 v1, 1
	v_mov_b32_e32 v2, 0
	v_cmp_ne_u16_sdwa s6, v0, v64 src0_sel:BYTE_0 src1_sel:DWORD
	buffer_store_dword v1, off, s[0:3], s32 offset:668 ; 4-byte Folded Spill
	buffer_store_dword v2, off, s[0:3], s32 offset:672 ; 4-byte Folded Spill
	s_and_saveexec_b32 s25, s6
	s_cbranch_execz .LBB216_473
; %bb.468:                              ;   in Loop: Header=BB216_13 Depth=1
	v_mov_b32_e32 v3, 0x7f800001
	v_and_b32_e32 v2, 0x7f, v0
	v_mov_b32_e32 v4, 0
	s_mov_b32 s26, exec_lo
	buffer_store_dword v3, off, s[0:3], s32 offset:668 ; 4-byte Folded Spill
	buffer_store_dword v4, off, s[0:3], s32 offset:672 ; 4-byte Folded Spill
	v_cmpx_ne_u32_e32 0x7f, v2
	s_cbranch_execz .LBB216_472
; %bb.469:                              ;   in Loop: Header=BB216_13 Depth=1
	v_and_b32_e32 v28, 7, v0
	v_lshrrev_b32_e32 v1, 3, v2
	s_mov_b32 s27, exec_lo
	v_cmpx_gt_u32_e32 8, v2
; %bb.470:                              ;   in Loop: Header=BB216_13 Depth=1
	v_ffbh_u32_e32 v1, v28
	v_min_u32_e32 v1, 32, v1
	v_subrev_nc_u32_e32 v2, 28, v1
	v_sub_nc_u32_e32 v1, 29, v1
	v_lshlrev_b64 v[2:3], v2, v[28:29]
	v_and_b32_e32 v28, 7, v2
; %bb.471:                              ;   in Loop: Header=BB216_13 Depth=1
	s_or_b32 exec_lo, exec_lo, s27
	v_lshlrev_b32_e32 v2, 24, v0
	v_lshlrev_b32_e32 v3, 20, v28
	v_lshl_add_u32 v1, v1, 23, 0x3c000000
	v_and_b32_e32 v2, 0x80000000, v2
	v_or3_b32 v28, v3, v2, v1
	buffer_store_dword v28, off, s[0:3], s32 offset:668 ; 4-byte Folded Spill
	buffer_store_dword v29, off, s[0:3], s32 offset:672 ; 4-byte Folded Spill
.LBB216_472:                            ;   in Loop: Header=BB216_13 Depth=1
	s_or_b32 exec_lo, exec_lo, s26
.LBB216_473:                            ;   in Loop: Header=BB216_13 Depth=1
	s_or_b32 exec_lo, exec_lo, s25
.LBB216_474:                            ;   in Loop: Header=BB216_13 Depth=1
	s_or_b32 exec_lo, exec_lo, s24
	v_cmp_ne_u16_sdwa s6, v0, v29 src0_sel:BYTE_1 src1_sel:DWORD
	s_and_saveexec_b32 s24, s6
	s_cbranch_execz .LBB216_482
; %bb.475:                              ;   in Loop: Header=BB216_13 Depth=1
	v_mov_b32_e32 v39, v29
	v_cmp_ne_u16_sdwa s6, v0, v64 src0_sel:BYTE_1 src1_sel:DWORD
	buffer_store_dword v39, off, s[0:3], s32 offset:676 ; 4-byte Folded Spill
	buffer_store_dword v40, off, s[0:3], s32 offset:680 ; 4-byte Folded Spill
	s_and_saveexec_b32 s25, s6
	s_cbranch_execz .LBB216_481
; %bb.476:                              ;   in Loop: Header=BB216_13 Depth=1
	v_mov_b32_e32 v1, 0xffff
	v_mov_b32_e32 v52, v29
	s_mov_b32 s26, exec_lo
	buffer_store_dword v52, off, s[0:3], s32 offset:676 ; 4-byte Folded Spill
	buffer_store_dword v53, off, s[0:3], s32 offset:680 ; 4-byte Folded Spill
	v_and_b32_sdwa v1, v1, v0 dst_sel:DWORD dst_unused:UNUSED_PAD src0_sel:DWORD src1_sel:BYTE_1
	v_and_b32_e32 v2, 0x7f, v1
	v_cmpx_ne_u32_e32 0x7f, v2
	s_cbranch_execz .LBB216_480
; %bb.477:                              ;   in Loop: Header=BB216_13 Depth=1
	v_and_b32_e32 v28, 7, v1
	v_lshrrev_b32_e32 v1, 3, v2
	s_mov_b32 s27, exec_lo
	v_cmpx_gt_u32_e32 8, v2
; %bb.478:                              ;   in Loop: Header=BB216_13 Depth=1
	v_ffbh_u32_e32 v1, v28
	v_min_u32_e32 v1, 32, v1
	v_subrev_nc_u32_e32 v2, 28, v1
	v_sub_nc_u32_e32 v1, 29, v1
	v_lshlrev_b64 v[2:3], v2, v[28:29]
	v_and_b32_e32 v28, 7, v2
; %bb.479:                              ;   in Loop: Header=BB216_13 Depth=1
	s_or_b32 exec_lo, exec_lo, s27
	v_lshlrev_b32_e32 v0, 16, v0
	v_lshlrev_b32_e32 v2, 20, v28
	v_lshl_add_u32 v1, v1, 23, 0x3c000000
	v_and_b32_e32 v0, 0x80000000, v0
	v_or3_b32 v1, v2, v0, v1
	v_mov_b32_e32 v0, v29
	buffer_store_dword v0, off, s[0:3], s32 offset:676 ; 4-byte Folded Spill
	buffer_store_dword v1, off, s[0:3], s32 offset:680 ; 4-byte Folded Spill
.LBB216_480:                            ;   in Loop: Header=BB216_13 Depth=1
	s_or_b32 exec_lo, exec_lo, s26
.LBB216_481:                            ;   in Loop: Header=BB216_13 Depth=1
	s_or_b32 exec_lo, exec_lo, s25
.LBB216_482:                            ;   in Loop: Header=BB216_13 Depth=1
	s_or_b32 exec_lo, exec_lo, s24
	flat_load_ushort v1, v[33:34] offset:1796
	s_waitcnt vmcnt(0) lgkmcnt(0)
	v_and_b32_e32 v0, 0xffff, v1
	v_cmp_ne_u16_sdwa s6, v1, v29 src0_sel:BYTE_0 src1_sel:DWORD
	v_mov_b32_e32 v1, 0
	v_mov_b32_e32 v2, 0
	buffer_store_dword v1, off, s[0:3], s32 offset:692 ; 4-byte Folded Spill
	buffer_store_dword v2, off, s[0:3], s32 offset:696 ; 4-byte Folded Spill
	v_mov_b32_e32 v1, 0
	v_mov_b32_e32 v2, 0
	buffer_store_dword v1, off, s[0:3], s32 offset:684 ; 4-byte Folded Spill
	buffer_store_dword v2, off, s[0:3], s32 offset:688 ; 4-byte Folded Spill
	s_and_saveexec_b32 s24, s6
	s_cbranch_execz .LBB216_490
; %bb.483:                              ;   in Loop: Header=BB216_13 Depth=1
	v_bfrev_b32_e32 v1, 1
	v_mov_b32_e32 v2, 0
	v_cmp_ne_u16_sdwa s6, v0, v64 src0_sel:BYTE_0 src1_sel:DWORD
	buffer_store_dword v1, off, s[0:3], s32 offset:684 ; 4-byte Folded Spill
	buffer_store_dword v2, off, s[0:3], s32 offset:688 ; 4-byte Folded Spill
	s_and_saveexec_b32 s25, s6
	s_cbranch_execz .LBB216_489
; %bb.484:                              ;   in Loop: Header=BB216_13 Depth=1
	v_mov_b32_e32 v3, 0x7f800001
	v_and_b32_e32 v2, 0x7f, v0
	v_mov_b32_e32 v4, 0
	s_mov_b32 s26, exec_lo
	buffer_store_dword v3, off, s[0:3], s32 offset:684 ; 4-byte Folded Spill
	buffer_store_dword v4, off, s[0:3], s32 offset:688 ; 4-byte Folded Spill
	v_cmpx_ne_u32_e32 0x7f, v2
	s_cbranch_execz .LBB216_488
; %bb.485:                              ;   in Loop: Header=BB216_13 Depth=1
	v_and_b32_e32 v28, 7, v0
	v_lshrrev_b32_e32 v1, 3, v2
	s_mov_b32 s27, exec_lo
	v_cmpx_gt_u32_e32 8, v2
; %bb.486:                              ;   in Loop: Header=BB216_13 Depth=1
	v_ffbh_u32_e32 v1, v28
	v_min_u32_e32 v1, 32, v1
	v_subrev_nc_u32_e32 v2, 28, v1
	v_sub_nc_u32_e32 v1, 29, v1
	v_lshlrev_b64 v[2:3], v2, v[28:29]
	v_and_b32_e32 v28, 7, v2
; %bb.487:                              ;   in Loop: Header=BB216_13 Depth=1
	s_or_b32 exec_lo, exec_lo, s27
	v_lshlrev_b32_e32 v2, 24, v0
	v_lshlrev_b32_e32 v3, 20, v28
	v_lshl_add_u32 v1, v1, 23, 0x3c000000
	v_and_b32_e32 v2, 0x80000000, v2
	v_or3_b32 v28, v3, v2, v1
	buffer_store_dword v28, off, s[0:3], s32 offset:684 ; 4-byte Folded Spill
	buffer_store_dword v29, off, s[0:3], s32 offset:688 ; 4-byte Folded Spill
.LBB216_488:                            ;   in Loop: Header=BB216_13 Depth=1
	s_or_b32 exec_lo, exec_lo, s26
.LBB216_489:                            ;   in Loop: Header=BB216_13 Depth=1
	s_or_b32 exec_lo, exec_lo, s25
.LBB216_490:                            ;   in Loop: Header=BB216_13 Depth=1
	s_or_b32 exec_lo, exec_lo, s24
	v_cmp_ne_u16_sdwa s6, v0, v29 src0_sel:BYTE_1 src1_sel:DWORD
	s_and_saveexec_b32 s24, s6
	s_cbranch_execz .LBB216_498
; %bb.491:                              ;   in Loop: Header=BB216_13 Depth=1
	v_mov_b32_e32 v39, v29
	v_cmp_ne_u16_sdwa s6, v0, v64 src0_sel:BYTE_1 src1_sel:DWORD
	buffer_store_dword v39, off, s[0:3], s32 offset:692 ; 4-byte Folded Spill
	buffer_store_dword v40, off, s[0:3], s32 offset:696 ; 4-byte Folded Spill
	s_and_saveexec_b32 s25, s6
	s_cbranch_execz .LBB216_497
; %bb.492:                              ;   in Loop: Header=BB216_13 Depth=1
	v_mov_b32_e32 v1, 0xffff
	v_mov_b32_e32 v52, v29
	s_mov_b32 s26, exec_lo
	buffer_store_dword v52, off, s[0:3], s32 offset:692 ; 4-byte Folded Spill
	buffer_store_dword v53, off, s[0:3], s32 offset:696 ; 4-byte Folded Spill
	v_and_b32_sdwa v1, v1, v0 dst_sel:DWORD dst_unused:UNUSED_PAD src0_sel:DWORD src1_sel:BYTE_1
	v_and_b32_e32 v2, 0x7f, v1
	v_cmpx_ne_u32_e32 0x7f, v2
	s_cbranch_execz .LBB216_496
; %bb.493:                              ;   in Loop: Header=BB216_13 Depth=1
	v_and_b32_e32 v28, 7, v1
	v_lshrrev_b32_e32 v1, 3, v2
	s_mov_b32 s27, exec_lo
	v_cmpx_gt_u32_e32 8, v2
; %bb.494:                              ;   in Loop: Header=BB216_13 Depth=1
	v_ffbh_u32_e32 v1, v28
	v_min_u32_e32 v1, 32, v1
	v_subrev_nc_u32_e32 v2, 28, v1
	v_sub_nc_u32_e32 v1, 29, v1
	v_lshlrev_b64 v[2:3], v2, v[28:29]
	v_and_b32_e32 v28, 7, v2
; %bb.495:                              ;   in Loop: Header=BB216_13 Depth=1
	s_or_b32 exec_lo, exec_lo, s27
	v_lshlrev_b32_e32 v0, 16, v0
	v_lshlrev_b32_e32 v2, 20, v28
	v_lshl_add_u32 v1, v1, 23, 0x3c000000
	v_and_b32_e32 v0, 0x80000000, v0
	v_or3_b32 v1, v2, v0, v1
	v_mov_b32_e32 v0, v29
	buffer_store_dword v0, off, s[0:3], s32 offset:692 ; 4-byte Folded Spill
	buffer_store_dword v1, off, s[0:3], s32 offset:696 ; 4-byte Folded Spill
.LBB216_496:                            ;   in Loop: Header=BB216_13 Depth=1
	s_or_b32 exec_lo, exec_lo, s26
.LBB216_497:                            ;   in Loop: Header=BB216_13 Depth=1
	s_or_b32 exec_lo, exec_lo, s25
.LBB216_498:                            ;   in Loop: Header=BB216_13 Depth=1
	s_or_b32 exec_lo, exec_lo, s24
	flat_load_ushort v1, v[33:34] offset:1800
	s_waitcnt vmcnt(0) lgkmcnt(0)
	v_and_b32_e32 v0, 0xffff, v1
	v_cmp_ne_u16_sdwa s6, v1, v29 src0_sel:BYTE_0 src1_sel:DWORD
	v_mov_b32_e32 v1, 0
	v_mov_b32_e32 v2, 0
	buffer_store_dword v1, off, s[0:3], s32 offset:708 ; 4-byte Folded Spill
	buffer_store_dword v2, off, s[0:3], s32 offset:712 ; 4-byte Folded Spill
	v_mov_b32_e32 v1, 0
	v_mov_b32_e32 v2, 0
	buffer_store_dword v1, off, s[0:3], s32 offset:700 ; 4-byte Folded Spill
	buffer_store_dword v2, off, s[0:3], s32 offset:704 ; 4-byte Folded Spill
	s_and_saveexec_b32 s24, s6
	s_cbranch_execz .LBB216_506
; %bb.499:                              ;   in Loop: Header=BB216_13 Depth=1
	v_bfrev_b32_e32 v1, 1
	v_mov_b32_e32 v2, 0
	v_cmp_ne_u16_sdwa s6, v0, v64 src0_sel:BYTE_0 src1_sel:DWORD
	buffer_store_dword v1, off, s[0:3], s32 offset:700 ; 4-byte Folded Spill
	buffer_store_dword v2, off, s[0:3], s32 offset:704 ; 4-byte Folded Spill
	s_and_saveexec_b32 s25, s6
	s_cbranch_execz .LBB216_505
; %bb.500:                              ;   in Loop: Header=BB216_13 Depth=1
	v_mov_b32_e32 v3, 0x7f800001
	v_and_b32_e32 v2, 0x7f, v0
	v_mov_b32_e32 v4, 0
	s_mov_b32 s26, exec_lo
	buffer_store_dword v3, off, s[0:3], s32 offset:700 ; 4-byte Folded Spill
	buffer_store_dword v4, off, s[0:3], s32 offset:704 ; 4-byte Folded Spill
	v_cmpx_ne_u32_e32 0x7f, v2
	s_cbranch_execz .LBB216_504
; %bb.501:                              ;   in Loop: Header=BB216_13 Depth=1
	v_and_b32_e32 v28, 7, v0
	v_lshrrev_b32_e32 v1, 3, v2
	s_mov_b32 s27, exec_lo
	v_cmpx_gt_u32_e32 8, v2
; %bb.502:                              ;   in Loop: Header=BB216_13 Depth=1
	v_ffbh_u32_e32 v1, v28
	v_min_u32_e32 v1, 32, v1
	v_subrev_nc_u32_e32 v2, 28, v1
	v_sub_nc_u32_e32 v1, 29, v1
	v_lshlrev_b64 v[2:3], v2, v[28:29]
	v_and_b32_e32 v28, 7, v2
; %bb.503:                              ;   in Loop: Header=BB216_13 Depth=1
	s_or_b32 exec_lo, exec_lo, s27
	v_lshlrev_b32_e32 v2, 24, v0
	v_lshlrev_b32_e32 v3, 20, v28
	v_lshl_add_u32 v1, v1, 23, 0x3c000000
	v_and_b32_e32 v2, 0x80000000, v2
	v_or3_b32 v28, v3, v2, v1
	buffer_store_dword v28, off, s[0:3], s32 offset:700 ; 4-byte Folded Spill
	buffer_store_dword v29, off, s[0:3], s32 offset:704 ; 4-byte Folded Spill
.LBB216_504:                            ;   in Loop: Header=BB216_13 Depth=1
	s_or_b32 exec_lo, exec_lo, s26
.LBB216_505:                            ;   in Loop: Header=BB216_13 Depth=1
	s_or_b32 exec_lo, exec_lo, s25
.LBB216_506:                            ;   in Loop: Header=BB216_13 Depth=1
	s_or_b32 exec_lo, exec_lo, s24
	v_cmp_ne_u16_sdwa s6, v0, v29 src0_sel:BYTE_1 src1_sel:DWORD
	s_and_saveexec_b32 s24, s6
	s_cbranch_execz .LBB216_514
; %bb.507:                              ;   in Loop: Header=BB216_13 Depth=1
	v_mov_b32_e32 v39, v29
	v_cmp_ne_u16_sdwa s6, v0, v64 src0_sel:BYTE_1 src1_sel:DWORD
	buffer_store_dword v39, off, s[0:3], s32 offset:708 ; 4-byte Folded Spill
	buffer_store_dword v40, off, s[0:3], s32 offset:712 ; 4-byte Folded Spill
	s_and_saveexec_b32 s25, s6
	s_cbranch_execz .LBB216_513
; %bb.508:                              ;   in Loop: Header=BB216_13 Depth=1
	v_mov_b32_e32 v1, 0xffff
	v_mov_b32_e32 v52, v29
	s_mov_b32 s26, exec_lo
	buffer_store_dword v52, off, s[0:3], s32 offset:708 ; 4-byte Folded Spill
	buffer_store_dword v53, off, s[0:3], s32 offset:712 ; 4-byte Folded Spill
	v_and_b32_sdwa v1, v1, v0 dst_sel:DWORD dst_unused:UNUSED_PAD src0_sel:DWORD src1_sel:BYTE_1
	v_and_b32_e32 v2, 0x7f, v1
	v_cmpx_ne_u32_e32 0x7f, v2
	s_cbranch_execz .LBB216_512
; %bb.509:                              ;   in Loop: Header=BB216_13 Depth=1
	v_and_b32_e32 v28, 7, v1
	v_lshrrev_b32_e32 v1, 3, v2
	s_mov_b32 s27, exec_lo
	v_cmpx_gt_u32_e32 8, v2
; %bb.510:                              ;   in Loop: Header=BB216_13 Depth=1
	v_ffbh_u32_e32 v1, v28
	v_min_u32_e32 v1, 32, v1
	v_subrev_nc_u32_e32 v2, 28, v1
	v_sub_nc_u32_e32 v1, 29, v1
	v_lshlrev_b64 v[2:3], v2, v[28:29]
	v_and_b32_e32 v28, 7, v2
; %bb.511:                              ;   in Loop: Header=BB216_13 Depth=1
	s_or_b32 exec_lo, exec_lo, s27
	v_lshlrev_b32_e32 v0, 16, v0
	v_lshlrev_b32_e32 v2, 20, v28
	v_lshl_add_u32 v1, v1, 23, 0x3c000000
	v_and_b32_e32 v0, 0x80000000, v0
	v_or3_b32 v1, v2, v0, v1
	v_mov_b32_e32 v0, v29
	buffer_store_dword v0, off, s[0:3], s32 offset:708 ; 4-byte Folded Spill
	buffer_store_dword v1, off, s[0:3], s32 offset:712 ; 4-byte Folded Spill
.LBB216_512:                            ;   in Loop: Header=BB216_13 Depth=1
	s_or_b32 exec_lo, exec_lo, s26
.LBB216_513:                            ;   in Loop: Header=BB216_13 Depth=1
	s_or_b32 exec_lo, exec_lo, s25
.LBB216_514:                            ;   in Loop: Header=BB216_13 Depth=1
	s_or_b32 exec_lo, exec_lo, s24
	flat_load_ushort v1, v[33:34] offset:1804
	s_waitcnt vmcnt(0) lgkmcnt(0)
	v_and_b32_e32 v0, 0xffff, v1
	v_cmp_ne_u16_sdwa s6, v1, v29 src0_sel:BYTE_0 src1_sel:DWORD
	v_mov_b32_e32 v1, 0
	v_mov_b32_e32 v2, 0
	buffer_store_dword v1, off, s[0:3], s32 offset:724 ; 4-byte Folded Spill
	buffer_store_dword v2, off, s[0:3], s32 offset:728 ; 4-byte Folded Spill
	v_mov_b32_e32 v1, 0
	v_mov_b32_e32 v2, 0
	buffer_store_dword v1, off, s[0:3], s32 offset:716 ; 4-byte Folded Spill
	buffer_store_dword v2, off, s[0:3], s32 offset:720 ; 4-byte Folded Spill
	s_and_saveexec_b32 s24, s6
	s_cbranch_execz .LBB216_522
; %bb.515:                              ;   in Loop: Header=BB216_13 Depth=1
	v_bfrev_b32_e32 v1, 1
	v_mov_b32_e32 v2, 0
	v_cmp_ne_u16_sdwa s6, v0, v64 src0_sel:BYTE_0 src1_sel:DWORD
	buffer_store_dword v1, off, s[0:3], s32 offset:716 ; 4-byte Folded Spill
	buffer_store_dword v2, off, s[0:3], s32 offset:720 ; 4-byte Folded Spill
	s_and_saveexec_b32 s25, s6
	s_cbranch_execz .LBB216_521
; %bb.516:                              ;   in Loop: Header=BB216_13 Depth=1
	v_mov_b32_e32 v3, 0x7f800001
	v_and_b32_e32 v2, 0x7f, v0
	v_mov_b32_e32 v4, 0
	s_mov_b32 s26, exec_lo
	buffer_store_dword v3, off, s[0:3], s32 offset:716 ; 4-byte Folded Spill
	buffer_store_dword v4, off, s[0:3], s32 offset:720 ; 4-byte Folded Spill
	v_cmpx_ne_u32_e32 0x7f, v2
	s_cbranch_execz .LBB216_520
; %bb.517:                              ;   in Loop: Header=BB216_13 Depth=1
	v_and_b32_e32 v28, 7, v0
	v_lshrrev_b32_e32 v1, 3, v2
	s_mov_b32 s27, exec_lo
	v_cmpx_gt_u32_e32 8, v2
; %bb.518:                              ;   in Loop: Header=BB216_13 Depth=1
	v_ffbh_u32_e32 v1, v28
	v_min_u32_e32 v1, 32, v1
	v_subrev_nc_u32_e32 v2, 28, v1
	v_sub_nc_u32_e32 v1, 29, v1
	v_lshlrev_b64 v[2:3], v2, v[28:29]
	v_and_b32_e32 v28, 7, v2
; %bb.519:                              ;   in Loop: Header=BB216_13 Depth=1
	s_or_b32 exec_lo, exec_lo, s27
	v_lshlrev_b32_e32 v2, 24, v0
	v_lshlrev_b32_e32 v3, 20, v28
	v_lshl_add_u32 v1, v1, 23, 0x3c000000
	v_and_b32_e32 v2, 0x80000000, v2
	v_or3_b32 v28, v3, v2, v1
	buffer_store_dword v28, off, s[0:3], s32 offset:716 ; 4-byte Folded Spill
	buffer_store_dword v29, off, s[0:3], s32 offset:720 ; 4-byte Folded Spill
.LBB216_520:                            ;   in Loop: Header=BB216_13 Depth=1
	s_or_b32 exec_lo, exec_lo, s26
.LBB216_521:                            ;   in Loop: Header=BB216_13 Depth=1
	s_or_b32 exec_lo, exec_lo, s25
.LBB216_522:                            ;   in Loop: Header=BB216_13 Depth=1
	s_or_b32 exec_lo, exec_lo, s24
	v_cmp_ne_u16_sdwa s6, v0, v29 src0_sel:BYTE_1 src1_sel:DWORD
	s_and_saveexec_b32 s24, s6
	s_cbranch_execz .LBB216_530
; %bb.523:                              ;   in Loop: Header=BB216_13 Depth=1
	v_mov_b32_e32 v39, v29
	v_cmp_ne_u16_sdwa s6, v0, v64 src0_sel:BYTE_1 src1_sel:DWORD
	buffer_store_dword v39, off, s[0:3], s32 offset:724 ; 4-byte Folded Spill
	buffer_store_dword v40, off, s[0:3], s32 offset:728 ; 4-byte Folded Spill
	s_and_saveexec_b32 s25, s6
	s_cbranch_execz .LBB216_529
; %bb.524:                              ;   in Loop: Header=BB216_13 Depth=1
	v_mov_b32_e32 v1, 0xffff
	v_mov_b32_e32 v52, v29
	s_mov_b32 s26, exec_lo
	buffer_store_dword v52, off, s[0:3], s32 offset:724 ; 4-byte Folded Spill
	buffer_store_dword v53, off, s[0:3], s32 offset:728 ; 4-byte Folded Spill
	v_and_b32_sdwa v1, v1, v0 dst_sel:DWORD dst_unused:UNUSED_PAD src0_sel:DWORD src1_sel:BYTE_1
	v_and_b32_e32 v2, 0x7f, v1
	v_cmpx_ne_u32_e32 0x7f, v2
	s_cbranch_execz .LBB216_528
; %bb.525:                              ;   in Loop: Header=BB216_13 Depth=1
	v_and_b32_e32 v28, 7, v1
	v_lshrrev_b32_e32 v1, 3, v2
	s_mov_b32 s27, exec_lo
	v_cmpx_gt_u32_e32 8, v2
; %bb.526:                              ;   in Loop: Header=BB216_13 Depth=1
	v_ffbh_u32_e32 v1, v28
	v_min_u32_e32 v1, 32, v1
	v_subrev_nc_u32_e32 v2, 28, v1
	v_sub_nc_u32_e32 v1, 29, v1
	v_lshlrev_b64 v[2:3], v2, v[28:29]
	v_and_b32_e32 v28, 7, v2
; %bb.527:                              ;   in Loop: Header=BB216_13 Depth=1
	s_or_b32 exec_lo, exec_lo, s27
	v_lshlrev_b32_e32 v0, 16, v0
	v_lshlrev_b32_e32 v2, 20, v28
	v_lshl_add_u32 v1, v1, 23, 0x3c000000
	v_and_b32_e32 v0, 0x80000000, v0
	v_or3_b32 v1, v2, v0, v1
	v_mov_b32_e32 v0, v29
	buffer_store_dword v0, off, s[0:3], s32 offset:724 ; 4-byte Folded Spill
	buffer_store_dword v1, off, s[0:3], s32 offset:728 ; 4-byte Folded Spill
.LBB216_528:                            ;   in Loop: Header=BB216_13 Depth=1
	s_or_b32 exec_lo, exec_lo, s26
.LBB216_529:                            ;   in Loop: Header=BB216_13 Depth=1
	s_or_b32 exec_lo, exec_lo, s25
.LBB216_530:                            ;   in Loop: Header=BB216_13 Depth=1
	s_or_b32 exec_lo, exec_lo, s24
	buffer_load_dword v2, off, s[0:3], s32 offset:200 ; 4-byte Folded Reload
	v_add_co_u32 v0, s6, 0x800, v94
	v_add_co_ci_u32_e64 v1, null, 0, v95, s6
	s_waitcnt vmcnt(0)
	v_add_co_u32 v2, s6, v0, v2
	v_add_co_ci_u32_e64 v3, null, 0, v1, s6
	flat_load_ushort v3, v[2:3]
	s_waitcnt vmcnt(0) lgkmcnt(0)
	v_and_b32_e32 v2, 0xffff, v3
	v_cmp_ne_u16_sdwa s6, v3, v29 src0_sel:BYTE_0 src1_sel:DWORD
	v_mov_b32_e32 v3, 0
	v_mov_b32_e32 v4, 0
	buffer_store_dword v3, off, s[0:3], s32 offset:740 ; 4-byte Folded Spill
	buffer_store_dword v4, off, s[0:3], s32 offset:744 ; 4-byte Folded Spill
	v_mov_b32_e32 v3, 0
	v_mov_b32_e32 v4, 0
	buffer_store_dword v3, off, s[0:3], s32 offset:732 ; 4-byte Folded Spill
	buffer_store_dword v4, off, s[0:3], s32 offset:736 ; 4-byte Folded Spill
	s_and_saveexec_b32 s24, s6
	s_cbranch_execz .LBB216_538
; %bb.531:                              ;   in Loop: Header=BB216_13 Depth=1
	v_bfrev_b32_e32 v3, 1
	v_mov_b32_e32 v4, 0
	v_cmp_ne_u16_sdwa s6, v2, v64 src0_sel:BYTE_0 src1_sel:DWORD
	buffer_store_dword v3, off, s[0:3], s32 offset:732 ; 4-byte Folded Spill
	buffer_store_dword v4, off, s[0:3], s32 offset:736 ; 4-byte Folded Spill
	s_and_saveexec_b32 s25, s6
	s_cbranch_execz .LBB216_537
; %bb.532:                              ;   in Loop: Header=BB216_13 Depth=1
	v_mov_b32_e32 v5, 0x7f800001
	v_and_b32_e32 v4, 0x7f, v2
	v_mov_b32_e32 v6, 0
	s_mov_b32 s26, exec_lo
	buffer_store_dword v5, off, s[0:3], s32 offset:732 ; 4-byte Folded Spill
	buffer_store_dword v6, off, s[0:3], s32 offset:736 ; 4-byte Folded Spill
	v_cmpx_ne_u32_e32 0x7f, v4
	s_cbranch_execz .LBB216_536
; %bb.533:                              ;   in Loop: Header=BB216_13 Depth=1
	v_and_b32_e32 v28, 7, v2
	v_lshrrev_b32_e32 v3, 3, v4
	s_mov_b32 s27, exec_lo
	v_cmpx_gt_u32_e32 8, v4
; %bb.534:                              ;   in Loop: Header=BB216_13 Depth=1
	v_ffbh_u32_e32 v3, v28
	v_min_u32_e32 v3, 32, v3
	v_subrev_nc_u32_e32 v4, 28, v3
	v_sub_nc_u32_e32 v3, 29, v3
	v_lshlrev_b64 v[4:5], v4, v[28:29]
	v_and_b32_e32 v28, 7, v4
; %bb.535:                              ;   in Loop: Header=BB216_13 Depth=1
	s_or_b32 exec_lo, exec_lo, s27
	v_lshlrev_b32_e32 v4, 24, v2
	v_lshlrev_b32_e32 v5, 20, v28
	v_lshl_add_u32 v3, v3, 23, 0x3c000000
	v_and_b32_e32 v4, 0x80000000, v4
	v_or3_b32 v28, v5, v4, v3
	buffer_store_dword v28, off, s[0:3], s32 offset:732 ; 4-byte Folded Spill
	buffer_store_dword v29, off, s[0:3], s32 offset:736 ; 4-byte Folded Spill
.LBB216_536:                            ;   in Loop: Header=BB216_13 Depth=1
	s_or_b32 exec_lo, exec_lo, s26
.LBB216_537:                            ;   in Loop: Header=BB216_13 Depth=1
	s_or_b32 exec_lo, exec_lo, s25
.LBB216_538:                            ;   in Loop: Header=BB216_13 Depth=1
	s_or_b32 exec_lo, exec_lo, s24
	v_cmp_ne_u16_sdwa s6, v2, v29 src0_sel:BYTE_1 src1_sel:DWORD
	s_and_saveexec_b32 s24, s6
	s_cbranch_execz .LBB216_546
; %bb.539:                              ;   in Loop: Header=BB216_13 Depth=1
	v_mov_b32_e32 v39, v29
	v_cmp_ne_u16_sdwa s6, v2, v64 src0_sel:BYTE_1 src1_sel:DWORD
	buffer_store_dword v39, off, s[0:3], s32 offset:740 ; 4-byte Folded Spill
	buffer_store_dword v40, off, s[0:3], s32 offset:744 ; 4-byte Folded Spill
	s_and_saveexec_b32 s25, s6
	s_cbranch_execz .LBB216_545
; %bb.540:                              ;   in Loop: Header=BB216_13 Depth=1
	v_mov_b32_e32 v3, 0xffff
	v_mov_b32_e32 v52, v29
	s_mov_b32 s26, exec_lo
	buffer_store_dword v52, off, s[0:3], s32 offset:740 ; 4-byte Folded Spill
	buffer_store_dword v53, off, s[0:3], s32 offset:744 ; 4-byte Folded Spill
	v_and_b32_sdwa v3, v3, v2 dst_sel:DWORD dst_unused:UNUSED_PAD src0_sel:DWORD src1_sel:BYTE_1
	v_and_b32_e32 v4, 0x7f, v3
	v_cmpx_ne_u32_e32 0x7f, v4
	s_cbranch_execz .LBB216_544
; %bb.541:                              ;   in Loop: Header=BB216_13 Depth=1
	v_and_b32_e32 v28, 7, v3
	v_lshrrev_b32_e32 v3, 3, v4
	s_mov_b32 s27, exec_lo
	v_cmpx_gt_u32_e32 8, v4
; %bb.542:                              ;   in Loop: Header=BB216_13 Depth=1
	v_ffbh_u32_e32 v3, v28
	v_min_u32_e32 v3, 32, v3
	v_subrev_nc_u32_e32 v4, 28, v3
	v_sub_nc_u32_e32 v3, 29, v3
	v_lshlrev_b64 v[4:5], v4, v[28:29]
	v_and_b32_e32 v28, 7, v4
; %bb.543:                              ;   in Loop: Header=BB216_13 Depth=1
	s_or_b32 exec_lo, exec_lo, s27
	v_lshlrev_b32_e32 v2, 16, v2
	v_lshlrev_b32_e32 v4, 20, v28
	v_lshl_add_u32 v3, v3, 23, 0x3c000000
	v_and_b32_e32 v2, 0x80000000, v2
	v_or3_b32 v3, v4, v2, v3
	v_mov_b32_e32 v2, v29
	buffer_store_dword v2, off, s[0:3], s32 offset:740 ; 4-byte Folded Spill
	buffer_store_dword v3, off, s[0:3], s32 offset:744 ; 4-byte Folded Spill
.LBB216_544:                            ;   in Loop: Header=BB216_13 Depth=1
	s_or_b32 exec_lo, exec_lo, s26
.LBB216_545:                            ;   in Loop: Header=BB216_13 Depth=1
	s_or_b32 exec_lo, exec_lo, s25
.LBB216_546:                            ;   in Loop: Header=BB216_13 Depth=1
	s_or_b32 exec_lo, exec_lo, s24
	buffer_load_dword v2, off, s[0:3], s32 offset:204 ; 4-byte Folded Reload
	s_waitcnt vmcnt(0)
	v_add_co_u32 v2, s6, v0, v2
	v_add_co_ci_u32_e64 v3, null, 0, v1, s6
	flat_load_ushort v3, v[2:3]
	s_waitcnt vmcnt(0) lgkmcnt(0)
	v_and_b32_e32 v2, 0xffff, v3
	v_cmp_ne_u16_sdwa s6, v3, v29 src0_sel:BYTE_0 src1_sel:DWORD
	v_mov_b32_e32 v3, 0
	v_mov_b32_e32 v4, 0
	buffer_store_dword v3, off, s[0:3], s32 offset:756 ; 4-byte Folded Spill
	buffer_store_dword v4, off, s[0:3], s32 offset:760 ; 4-byte Folded Spill
	v_mov_b32_e32 v3, 0
	v_mov_b32_e32 v4, 0
	buffer_store_dword v3, off, s[0:3], s32 offset:748 ; 4-byte Folded Spill
	buffer_store_dword v4, off, s[0:3], s32 offset:752 ; 4-byte Folded Spill
	s_and_saveexec_b32 s24, s6
	s_cbranch_execz .LBB216_554
; %bb.547:                              ;   in Loop: Header=BB216_13 Depth=1
	v_bfrev_b32_e32 v3, 1
	v_mov_b32_e32 v4, 0
	v_cmp_ne_u16_sdwa s6, v2, v64 src0_sel:BYTE_0 src1_sel:DWORD
	buffer_store_dword v3, off, s[0:3], s32 offset:748 ; 4-byte Folded Spill
	buffer_store_dword v4, off, s[0:3], s32 offset:752 ; 4-byte Folded Spill
	s_and_saveexec_b32 s25, s6
	s_cbranch_execz .LBB216_553
; %bb.548:                              ;   in Loop: Header=BB216_13 Depth=1
	v_mov_b32_e32 v5, 0x7f800001
	v_and_b32_e32 v4, 0x7f, v2
	v_mov_b32_e32 v6, 0
	s_mov_b32 s26, exec_lo
	buffer_store_dword v5, off, s[0:3], s32 offset:748 ; 4-byte Folded Spill
	buffer_store_dword v6, off, s[0:3], s32 offset:752 ; 4-byte Folded Spill
	v_cmpx_ne_u32_e32 0x7f, v4
	s_cbranch_execz .LBB216_552
; %bb.549:                              ;   in Loop: Header=BB216_13 Depth=1
	v_and_b32_e32 v28, 7, v2
	v_lshrrev_b32_e32 v3, 3, v4
	s_mov_b32 s27, exec_lo
	v_cmpx_gt_u32_e32 8, v4
; %bb.550:                              ;   in Loop: Header=BB216_13 Depth=1
	v_ffbh_u32_e32 v3, v28
	v_min_u32_e32 v3, 32, v3
	v_subrev_nc_u32_e32 v4, 28, v3
	v_sub_nc_u32_e32 v3, 29, v3
	v_lshlrev_b64 v[4:5], v4, v[28:29]
	v_and_b32_e32 v28, 7, v4
; %bb.551:                              ;   in Loop: Header=BB216_13 Depth=1
	s_or_b32 exec_lo, exec_lo, s27
	v_lshlrev_b32_e32 v4, 24, v2
	v_lshlrev_b32_e32 v5, 20, v28
	v_lshl_add_u32 v3, v3, 23, 0x3c000000
	v_and_b32_e32 v4, 0x80000000, v4
	v_or3_b32 v28, v5, v4, v3
	buffer_store_dword v28, off, s[0:3], s32 offset:748 ; 4-byte Folded Spill
	buffer_store_dword v29, off, s[0:3], s32 offset:752 ; 4-byte Folded Spill
.LBB216_552:                            ;   in Loop: Header=BB216_13 Depth=1
	s_or_b32 exec_lo, exec_lo, s26
.LBB216_553:                            ;   in Loop: Header=BB216_13 Depth=1
	s_or_b32 exec_lo, exec_lo, s25
.LBB216_554:                            ;   in Loop: Header=BB216_13 Depth=1
	s_or_b32 exec_lo, exec_lo, s24
	v_cmp_ne_u16_sdwa s6, v2, v29 src0_sel:BYTE_1 src1_sel:DWORD
	s_and_saveexec_b32 s24, s6
	s_cbranch_execz .LBB216_562
; %bb.555:                              ;   in Loop: Header=BB216_13 Depth=1
	v_mov_b32_e32 v39, v29
	v_cmp_ne_u16_sdwa s6, v2, v64 src0_sel:BYTE_1 src1_sel:DWORD
	buffer_store_dword v39, off, s[0:3], s32 offset:756 ; 4-byte Folded Spill
	buffer_store_dword v40, off, s[0:3], s32 offset:760 ; 4-byte Folded Spill
	s_and_saveexec_b32 s25, s6
	s_cbranch_execz .LBB216_561
; %bb.556:                              ;   in Loop: Header=BB216_13 Depth=1
	v_mov_b32_e32 v3, 0xffff
	v_mov_b32_e32 v52, v29
	s_mov_b32 s26, exec_lo
	buffer_store_dword v52, off, s[0:3], s32 offset:756 ; 4-byte Folded Spill
	buffer_store_dword v53, off, s[0:3], s32 offset:760 ; 4-byte Folded Spill
	v_and_b32_sdwa v3, v3, v2 dst_sel:DWORD dst_unused:UNUSED_PAD src0_sel:DWORD src1_sel:BYTE_1
	v_and_b32_e32 v4, 0x7f, v3
	v_cmpx_ne_u32_e32 0x7f, v4
	s_cbranch_execz .LBB216_560
; %bb.557:                              ;   in Loop: Header=BB216_13 Depth=1
	v_and_b32_e32 v28, 7, v3
	v_lshrrev_b32_e32 v3, 3, v4
	s_mov_b32 s27, exec_lo
	v_cmpx_gt_u32_e32 8, v4
; %bb.558:                              ;   in Loop: Header=BB216_13 Depth=1
	v_ffbh_u32_e32 v3, v28
	v_min_u32_e32 v3, 32, v3
	v_subrev_nc_u32_e32 v4, 28, v3
	v_sub_nc_u32_e32 v3, 29, v3
	v_lshlrev_b64 v[4:5], v4, v[28:29]
	v_and_b32_e32 v28, 7, v4
; %bb.559:                              ;   in Loop: Header=BB216_13 Depth=1
	s_or_b32 exec_lo, exec_lo, s27
	v_lshlrev_b32_e32 v2, 16, v2
	v_lshlrev_b32_e32 v4, 20, v28
	v_lshl_add_u32 v3, v3, 23, 0x3c000000
	v_and_b32_e32 v2, 0x80000000, v2
	v_or3_b32 v3, v4, v2, v3
	v_mov_b32_e32 v2, v29
	buffer_store_dword v2, off, s[0:3], s32 offset:756 ; 4-byte Folded Spill
	buffer_store_dword v3, off, s[0:3], s32 offset:760 ; 4-byte Folded Spill
.LBB216_560:                            ;   in Loop: Header=BB216_13 Depth=1
	s_or_b32 exec_lo, exec_lo, s26
.LBB216_561:                            ;   in Loop: Header=BB216_13 Depth=1
	s_or_b32 exec_lo, exec_lo, s25
.LBB216_562:                            ;   in Loop: Header=BB216_13 Depth=1
	s_or_b32 exec_lo, exec_lo, s24
	buffer_load_dword v2, off, s[0:3], s32 offset:208 ; 4-byte Folded Reload
	s_waitcnt vmcnt(0)
	v_add_co_u32 v2, s6, v0, v2
	v_add_co_ci_u32_e64 v3, null, 0, v1, s6
	flat_load_ushort v3, v[2:3]
	s_waitcnt vmcnt(0) lgkmcnt(0)
	v_and_b32_e32 v2, 0xffff, v3
	v_cmp_ne_u16_sdwa s6, v3, v29 src0_sel:BYTE_0 src1_sel:DWORD
	v_mov_b32_e32 v3, 0
	v_mov_b32_e32 v4, 0
	buffer_store_dword v3, off, s[0:3], s32 offset:788 ; 4-byte Folded Spill
	buffer_store_dword v4, off, s[0:3], s32 offset:792 ; 4-byte Folded Spill
	v_mov_b32_e32 v3, 0
	v_mov_b32_e32 v4, 0
	buffer_store_dword v3, off, s[0:3], s32 offset:780 ; 4-byte Folded Spill
	buffer_store_dword v4, off, s[0:3], s32 offset:784 ; 4-byte Folded Spill
	s_and_saveexec_b32 s24, s6
	s_cbranch_execz .LBB216_570
; %bb.563:                              ;   in Loop: Header=BB216_13 Depth=1
	v_bfrev_b32_e32 v3, 1
	v_mov_b32_e32 v4, 0
	v_cmp_ne_u16_sdwa s6, v2, v64 src0_sel:BYTE_0 src1_sel:DWORD
	buffer_store_dword v3, off, s[0:3], s32 offset:780 ; 4-byte Folded Spill
	buffer_store_dword v4, off, s[0:3], s32 offset:784 ; 4-byte Folded Spill
	s_and_saveexec_b32 s25, s6
	s_cbranch_execz .LBB216_569
; %bb.564:                              ;   in Loop: Header=BB216_13 Depth=1
	v_mov_b32_e32 v5, 0x7f800001
	v_and_b32_e32 v4, 0x7f, v2
	v_mov_b32_e32 v6, 0
	s_mov_b32 s26, exec_lo
	buffer_store_dword v5, off, s[0:3], s32 offset:780 ; 4-byte Folded Spill
	buffer_store_dword v6, off, s[0:3], s32 offset:784 ; 4-byte Folded Spill
	v_cmpx_ne_u32_e32 0x7f, v4
	s_cbranch_execz .LBB216_568
; %bb.565:                              ;   in Loop: Header=BB216_13 Depth=1
	v_and_b32_e32 v28, 7, v2
	v_lshrrev_b32_e32 v3, 3, v4
	s_mov_b32 s27, exec_lo
	v_cmpx_gt_u32_e32 8, v4
; %bb.566:                              ;   in Loop: Header=BB216_13 Depth=1
	v_ffbh_u32_e32 v3, v28
	v_min_u32_e32 v3, 32, v3
	v_subrev_nc_u32_e32 v4, 28, v3
	v_sub_nc_u32_e32 v3, 29, v3
	v_lshlrev_b64 v[4:5], v4, v[28:29]
	v_and_b32_e32 v28, 7, v4
; %bb.567:                              ;   in Loop: Header=BB216_13 Depth=1
	s_or_b32 exec_lo, exec_lo, s27
	v_lshlrev_b32_e32 v4, 24, v2
	v_lshlrev_b32_e32 v5, 20, v28
	v_lshl_add_u32 v3, v3, 23, 0x3c000000
	v_and_b32_e32 v4, 0x80000000, v4
	v_or3_b32 v28, v5, v4, v3
	buffer_store_dword v28, off, s[0:3], s32 offset:780 ; 4-byte Folded Spill
	buffer_store_dword v29, off, s[0:3], s32 offset:784 ; 4-byte Folded Spill
.LBB216_568:                            ;   in Loop: Header=BB216_13 Depth=1
	s_or_b32 exec_lo, exec_lo, s26
.LBB216_569:                            ;   in Loop: Header=BB216_13 Depth=1
	s_or_b32 exec_lo, exec_lo, s25
.LBB216_570:                            ;   in Loop: Header=BB216_13 Depth=1
	s_or_b32 exec_lo, exec_lo, s24
	v_cmp_ne_u16_sdwa s6, v2, v29 src0_sel:BYTE_1 src1_sel:DWORD
	s_and_saveexec_b32 s24, s6
	s_cbranch_execz .LBB216_578
; %bb.571:                              ;   in Loop: Header=BB216_13 Depth=1
	v_mov_b32_e32 v39, v29
	v_cmp_ne_u16_sdwa s6, v2, v64 src0_sel:BYTE_1 src1_sel:DWORD
	buffer_store_dword v39, off, s[0:3], s32 offset:788 ; 4-byte Folded Spill
	buffer_store_dword v40, off, s[0:3], s32 offset:792 ; 4-byte Folded Spill
	s_and_saveexec_b32 s25, s6
	s_cbranch_execz .LBB216_577
; %bb.572:                              ;   in Loop: Header=BB216_13 Depth=1
	v_mov_b32_e32 v3, 0xffff
	v_mov_b32_e32 v52, v29
	s_mov_b32 s26, exec_lo
	buffer_store_dword v52, off, s[0:3], s32 offset:788 ; 4-byte Folded Spill
	buffer_store_dword v53, off, s[0:3], s32 offset:792 ; 4-byte Folded Spill
	v_and_b32_sdwa v3, v3, v2 dst_sel:DWORD dst_unused:UNUSED_PAD src0_sel:DWORD src1_sel:BYTE_1
	v_and_b32_e32 v4, 0x7f, v3
	v_cmpx_ne_u32_e32 0x7f, v4
	s_cbranch_execz .LBB216_576
; %bb.573:                              ;   in Loop: Header=BB216_13 Depth=1
	v_and_b32_e32 v28, 7, v3
	v_lshrrev_b32_e32 v3, 3, v4
	s_mov_b32 s27, exec_lo
	v_cmpx_gt_u32_e32 8, v4
; %bb.574:                              ;   in Loop: Header=BB216_13 Depth=1
	v_ffbh_u32_e32 v3, v28
	v_min_u32_e32 v3, 32, v3
	v_subrev_nc_u32_e32 v4, 28, v3
	v_sub_nc_u32_e32 v3, 29, v3
	v_lshlrev_b64 v[4:5], v4, v[28:29]
	v_and_b32_e32 v28, 7, v4
; %bb.575:                              ;   in Loop: Header=BB216_13 Depth=1
	s_or_b32 exec_lo, exec_lo, s27
	v_lshlrev_b32_e32 v2, 16, v2
	v_lshlrev_b32_e32 v4, 20, v28
	v_lshl_add_u32 v3, v3, 23, 0x3c000000
	v_and_b32_e32 v2, 0x80000000, v2
	v_or3_b32 v3, v4, v2, v3
	v_mov_b32_e32 v2, v29
	buffer_store_dword v2, off, s[0:3], s32 offset:788 ; 4-byte Folded Spill
	buffer_store_dword v3, off, s[0:3], s32 offset:792 ; 4-byte Folded Spill
.LBB216_576:                            ;   in Loop: Header=BB216_13 Depth=1
	s_or_b32 exec_lo, exec_lo, s26
.LBB216_577:                            ;   in Loop: Header=BB216_13 Depth=1
	s_or_b32 exec_lo, exec_lo, s25
.LBB216_578:                            ;   in Loop: Header=BB216_13 Depth=1
	s_or_b32 exec_lo, exec_lo, s24
	buffer_load_dword v2, off, s[0:3], s32 offset:212 ; 4-byte Folded Reload
	s_waitcnt vmcnt(0)
	v_add_co_u32 v0, s6, v0, v2
	v_add_co_ci_u32_e64 v1, null, 0, v1, s6
	flat_load_ushort v1, v[0:1]
	s_waitcnt vmcnt(0) lgkmcnt(0)
	v_and_b32_e32 v0, 0xffff, v1
	v_cmp_ne_u16_sdwa s6, v1, v29 src0_sel:BYTE_0 src1_sel:DWORD
	v_mov_b32_e32 v1, 0
	v_mov_b32_e32 v2, 0
	buffer_store_dword v1, off, s[0:3], s32 offset:772 ; 4-byte Folded Spill
	buffer_store_dword v2, off, s[0:3], s32 offset:776 ; 4-byte Folded Spill
	v_mov_b32_e32 v1, 0
	v_mov_b32_e32 v2, 0
	buffer_store_dword v1, off, s[0:3], s32 offset:764 ; 4-byte Folded Spill
	buffer_store_dword v2, off, s[0:3], s32 offset:768 ; 4-byte Folded Spill
	s_and_saveexec_b32 s24, s6
	s_cbranch_execz .LBB216_586
; %bb.579:                              ;   in Loop: Header=BB216_13 Depth=1
	v_bfrev_b32_e32 v1, 1
	v_mov_b32_e32 v2, 0
	v_cmp_ne_u16_sdwa s6, v0, v64 src0_sel:BYTE_0 src1_sel:DWORD
	buffer_store_dword v1, off, s[0:3], s32 offset:764 ; 4-byte Folded Spill
	buffer_store_dword v2, off, s[0:3], s32 offset:768 ; 4-byte Folded Spill
	s_and_saveexec_b32 s25, s6
	s_cbranch_execz .LBB216_585
; %bb.580:                              ;   in Loop: Header=BB216_13 Depth=1
	v_mov_b32_e32 v3, 0x7f800001
	v_and_b32_e32 v2, 0x7f, v0
	v_mov_b32_e32 v4, 0
	s_mov_b32 s26, exec_lo
	buffer_store_dword v3, off, s[0:3], s32 offset:764 ; 4-byte Folded Spill
	buffer_store_dword v4, off, s[0:3], s32 offset:768 ; 4-byte Folded Spill
	v_cmpx_ne_u32_e32 0x7f, v2
	s_cbranch_execz .LBB216_584
; %bb.581:                              ;   in Loop: Header=BB216_13 Depth=1
	v_and_b32_e32 v28, 7, v0
	v_lshrrev_b32_e32 v1, 3, v2
	s_mov_b32 s27, exec_lo
	v_cmpx_gt_u32_e32 8, v2
; %bb.582:                              ;   in Loop: Header=BB216_13 Depth=1
	v_ffbh_u32_e32 v1, v28
	v_min_u32_e32 v1, 32, v1
	v_subrev_nc_u32_e32 v2, 28, v1
	v_sub_nc_u32_e32 v1, 29, v1
	v_lshlrev_b64 v[2:3], v2, v[28:29]
	v_and_b32_e32 v28, 7, v2
; %bb.583:                              ;   in Loop: Header=BB216_13 Depth=1
	s_or_b32 exec_lo, exec_lo, s27
	v_lshlrev_b32_e32 v2, 24, v0
	v_lshlrev_b32_e32 v3, 20, v28
	v_lshl_add_u32 v1, v1, 23, 0x3c000000
	v_and_b32_e32 v2, 0x80000000, v2
	v_or3_b32 v28, v3, v2, v1
	buffer_store_dword v28, off, s[0:3], s32 offset:764 ; 4-byte Folded Spill
	buffer_store_dword v29, off, s[0:3], s32 offset:768 ; 4-byte Folded Spill
.LBB216_584:                            ;   in Loop: Header=BB216_13 Depth=1
	s_or_b32 exec_lo, exec_lo, s26
.LBB216_585:                            ;   in Loop: Header=BB216_13 Depth=1
	s_or_b32 exec_lo, exec_lo, s25
.LBB216_586:                            ;   in Loop: Header=BB216_13 Depth=1
	s_or_b32 exec_lo, exec_lo, s24
	v_cmp_ne_u16_sdwa s6, v0, v29 src0_sel:BYTE_1 src1_sel:DWORD
	s_and_saveexec_b32 s24, s6
	s_cbranch_execz .LBB216_594
; %bb.587:                              ;   in Loop: Header=BB216_13 Depth=1
	v_mov_b32_e32 v39, v29
	v_cmp_ne_u16_sdwa s6, v0, v64 src0_sel:BYTE_1 src1_sel:DWORD
	buffer_store_dword v39, off, s[0:3], s32 offset:772 ; 4-byte Folded Spill
	buffer_store_dword v40, off, s[0:3], s32 offset:776 ; 4-byte Folded Spill
	s_and_saveexec_b32 s25, s6
	s_cbranch_execz .LBB216_593
; %bb.588:                              ;   in Loop: Header=BB216_13 Depth=1
	v_mov_b32_e32 v1, 0xffff
	v_mov_b32_e32 v52, v29
	s_mov_b32 s26, exec_lo
	buffer_store_dword v52, off, s[0:3], s32 offset:772 ; 4-byte Folded Spill
	buffer_store_dword v53, off, s[0:3], s32 offset:776 ; 4-byte Folded Spill
	v_and_b32_sdwa v1, v1, v0 dst_sel:DWORD dst_unused:UNUSED_PAD src0_sel:DWORD src1_sel:BYTE_1
	v_and_b32_e32 v2, 0x7f, v1
	v_cmpx_ne_u32_e32 0x7f, v2
	s_cbranch_execz .LBB216_592
; %bb.589:                              ;   in Loop: Header=BB216_13 Depth=1
	v_and_b32_e32 v28, 7, v1
	v_lshrrev_b32_e32 v1, 3, v2
	s_mov_b32 s27, exec_lo
	v_cmpx_gt_u32_e32 8, v2
; %bb.590:                              ;   in Loop: Header=BB216_13 Depth=1
	v_ffbh_u32_e32 v1, v28
	v_min_u32_e32 v1, 32, v1
	v_subrev_nc_u32_e32 v2, 28, v1
	v_sub_nc_u32_e32 v1, 29, v1
	v_lshlrev_b64 v[2:3], v2, v[28:29]
	v_and_b32_e32 v28, 7, v2
; %bb.591:                              ;   in Loop: Header=BB216_13 Depth=1
	s_or_b32 exec_lo, exec_lo, s27
	v_lshlrev_b32_e32 v0, 16, v0
	v_lshlrev_b32_e32 v2, 20, v28
	v_lshl_add_u32 v1, v1, 23, 0x3c000000
	v_and_b32_e32 v0, 0x80000000, v0
	v_or3_b32 v1, v2, v0, v1
	v_mov_b32_e32 v0, v29
	buffer_store_dword v0, off, s[0:3], s32 offset:772 ; 4-byte Folded Spill
	buffer_store_dword v1, off, s[0:3], s32 offset:776 ; 4-byte Folded Spill
.LBB216_592:                            ;   in Loop: Header=BB216_13 Depth=1
	s_or_b32 exec_lo, exec_lo, s26
.LBB216_593:                            ;   in Loop: Header=BB216_13 Depth=1
	s_or_b32 exec_lo, exec_lo, s25
.LBB216_594:                            ;   in Loop: Header=BB216_13 Depth=1
	s_or_b32 exec_lo, exec_lo, s24
	buffer_load_dword v0, off, s[0:3], s32 offset:200 ; 4-byte Folded Reload
	v_add_co_u32 v2, s6, 0x900, v94
	v_add_co_ci_u32_e64 v3, null, 0, v95, s6
	v_mov_b32_e32 v4, 0
	v_mov_b32_e32 v5, 0
	s_waitcnt vmcnt(0)
	v_add_co_u32 v0, s6, v2, v0
	v_add_co_ci_u32_e64 v1, null, 0, v3, s6
	flat_load_ushort v1, v[0:1]
	buffer_store_dword v4, off, s[0:3], s32 offset:804 ; 4-byte Folded Spill
	buffer_store_dword v5, off, s[0:3], s32 offset:808 ; 4-byte Folded Spill
	v_mov_b32_e32 v4, 0
	v_mov_b32_e32 v5, 0
	buffer_store_dword v4, off, s[0:3], s32 offset:796 ; 4-byte Folded Spill
	buffer_store_dword v5, off, s[0:3], s32 offset:800 ; 4-byte Folded Spill
	s_waitcnt vmcnt(0) lgkmcnt(0)
	v_and_b32_e32 v0, 0xffff, v1
	v_cmp_ne_u16_sdwa s6, v1, v29 src0_sel:BYTE_0 src1_sel:DWORD
	s_and_saveexec_b32 s24, s6
	s_cbranch_execz .LBB216_602
; %bb.595:                              ;   in Loop: Header=BB216_13 Depth=1
	v_bfrev_b32_e32 v4, 1
	v_mov_b32_e32 v5, 0
	v_cmp_ne_u16_sdwa s6, v0, v64 src0_sel:BYTE_0 src1_sel:DWORD
	buffer_store_dword v4, off, s[0:3], s32 offset:796 ; 4-byte Folded Spill
	buffer_store_dword v5, off, s[0:3], s32 offset:800 ; 4-byte Folded Spill
	s_and_saveexec_b32 s25, s6
	s_cbranch_execz .LBB216_601
; %bb.596:                              ;   in Loop: Header=BB216_13 Depth=1
	v_mov_b32_e32 v5, 0x7f800001
	v_and_b32_e32 v4, 0x7f, v0
	v_mov_b32_e32 v6, 0
	s_mov_b32 s26, exec_lo
	buffer_store_dword v5, off, s[0:3], s32 offset:796 ; 4-byte Folded Spill
	buffer_store_dword v6, off, s[0:3], s32 offset:800 ; 4-byte Folded Spill
	v_cmpx_ne_u32_e32 0x7f, v4
	s_cbranch_execz .LBB216_600
; %bb.597:                              ;   in Loop: Header=BB216_13 Depth=1
	v_and_b32_e32 v28, 7, v0
	v_lshrrev_b32_e32 v1, 3, v4
	s_mov_b32 s27, exec_lo
	v_cmpx_gt_u32_e32 8, v4
; %bb.598:                              ;   in Loop: Header=BB216_13 Depth=1
	v_ffbh_u32_e32 v1, v28
	v_min_u32_e32 v1, 32, v1
	v_subrev_nc_u32_e32 v4, 28, v1
	v_sub_nc_u32_e32 v1, 29, v1
	v_lshlrev_b64 v[4:5], v4, v[28:29]
	v_and_b32_e32 v28, 7, v4
; %bb.599:                              ;   in Loop: Header=BB216_13 Depth=1
	s_or_b32 exec_lo, exec_lo, s27
	v_lshlrev_b32_e32 v4, 24, v0
	v_lshlrev_b32_e32 v5, 20, v28
	v_lshl_add_u32 v1, v1, 23, 0x3c000000
	v_and_b32_e32 v4, 0x80000000, v4
	v_or3_b32 v28, v5, v4, v1
	buffer_store_dword v28, off, s[0:3], s32 offset:796 ; 4-byte Folded Spill
	buffer_store_dword v29, off, s[0:3], s32 offset:800 ; 4-byte Folded Spill
.LBB216_600:                            ;   in Loop: Header=BB216_13 Depth=1
	s_or_b32 exec_lo, exec_lo, s26
.LBB216_601:                            ;   in Loop: Header=BB216_13 Depth=1
	s_or_b32 exec_lo, exec_lo, s25
.LBB216_602:                            ;   in Loop: Header=BB216_13 Depth=1
	s_or_b32 exec_lo, exec_lo, s24
	v_cmp_ne_u16_sdwa s6, v0, v29 src0_sel:BYTE_1 src1_sel:DWORD
	s_and_saveexec_b32 s24, s6
	s_cbranch_execz .LBB216_610
; %bb.603:                              ;   in Loop: Header=BB216_13 Depth=1
	v_mov_b32_e32 v39, v29
	v_cmp_ne_u16_sdwa s6, v0, v64 src0_sel:BYTE_1 src1_sel:DWORD
	buffer_store_dword v39, off, s[0:3], s32 offset:804 ; 4-byte Folded Spill
	buffer_store_dword v40, off, s[0:3], s32 offset:808 ; 4-byte Folded Spill
	s_and_saveexec_b32 s25, s6
	s_cbranch_execz .LBB216_609
; %bb.604:                              ;   in Loop: Header=BB216_13 Depth=1
	v_mov_b32_e32 v1, 0xffff
	v_mov_b32_e32 v52, v29
	s_mov_b32 s26, exec_lo
	buffer_store_dword v52, off, s[0:3], s32 offset:804 ; 4-byte Folded Spill
	buffer_store_dword v53, off, s[0:3], s32 offset:808 ; 4-byte Folded Spill
	v_and_b32_sdwa v1, v1, v0 dst_sel:DWORD dst_unused:UNUSED_PAD src0_sel:DWORD src1_sel:BYTE_1
	v_and_b32_e32 v4, 0x7f, v1
	v_cmpx_ne_u32_e32 0x7f, v4
	s_cbranch_execz .LBB216_608
; %bb.605:                              ;   in Loop: Header=BB216_13 Depth=1
	v_and_b32_e32 v28, 7, v1
	v_lshrrev_b32_e32 v1, 3, v4
	s_mov_b32 s27, exec_lo
	v_cmpx_gt_u32_e32 8, v4
; %bb.606:                              ;   in Loop: Header=BB216_13 Depth=1
	v_ffbh_u32_e32 v1, v28
	v_min_u32_e32 v1, 32, v1
	v_subrev_nc_u32_e32 v4, 28, v1
	v_sub_nc_u32_e32 v1, 29, v1
	v_lshlrev_b64 v[4:5], v4, v[28:29]
	v_and_b32_e32 v28, 7, v4
; %bb.607:                              ;   in Loop: Header=BB216_13 Depth=1
	s_or_b32 exec_lo, exec_lo, s27
	v_lshlrev_b32_e32 v0, 16, v0
	v_lshlrev_b32_e32 v4, 20, v28
	v_lshl_add_u32 v1, v1, 23, 0x3c000000
	v_and_b32_e32 v0, 0x80000000, v0
	v_or3_b32 v1, v4, v0, v1
	v_mov_b32_e32 v0, v29
	buffer_store_dword v0, off, s[0:3], s32 offset:804 ; 4-byte Folded Spill
	buffer_store_dword v1, off, s[0:3], s32 offset:808 ; 4-byte Folded Spill
.LBB216_608:                            ;   in Loop: Header=BB216_13 Depth=1
	s_or_b32 exec_lo, exec_lo, s26
.LBB216_609:                            ;   in Loop: Header=BB216_13 Depth=1
	s_or_b32 exec_lo, exec_lo, s25
.LBB216_610:                            ;   in Loop: Header=BB216_13 Depth=1
	s_or_b32 exec_lo, exec_lo, s24
	buffer_load_dword v0, off, s[0:3], s32 offset:204 ; 4-byte Folded Reload
	v_mov_b32_e32 v4, 0
	v_mov_b32_e32 v5, 0
	s_waitcnt vmcnt(0)
	v_add_co_u32 v0, s6, v2, v0
	v_add_co_ci_u32_e64 v1, null, 0, v3, s6
	flat_load_ushort v1, v[0:1]
	buffer_store_dword v4, off, s[0:3], s32 offset:836 ; 4-byte Folded Spill
	buffer_store_dword v5, off, s[0:3], s32 offset:840 ; 4-byte Folded Spill
	v_mov_b32_e32 v4, 0
	v_mov_b32_e32 v5, 0
	buffer_store_dword v4, off, s[0:3], s32 offset:828 ; 4-byte Folded Spill
	buffer_store_dword v5, off, s[0:3], s32 offset:832 ; 4-byte Folded Spill
	s_waitcnt vmcnt(0) lgkmcnt(0)
	v_and_b32_e32 v0, 0xffff, v1
	v_cmp_ne_u16_sdwa s6, v1, v29 src0_sel:BYTE_0 src1_sel:DWORD
	s_and_saveexec_b32 s24, s6
	s_cbranch_execz .LBB216_618
; %bb.611:                              ;   in Loop: Header=BB216_13 Depth=1
	v_bfrev_b32_e32 v4, 1
	v_mov_b32_e32 v5, 0
	v_cmp_ne_u16_sdwa s6, v0, v64 src0_sel:BYTE_0 src1_sel:DWORD
	buffer_store_dword v4, off, s[0:3], s32 offset:828 ; 4-byte Folded Spill
	buffer_store_dword v5, off, s[0:3], s32 offset:832 ; 4-byte Folded Spill
	s_and_saveexec_b32 s25, s6
	s_cbranch_execz .LBB216_617
; %bb.612:                              ;   in Loop: Header=BB216_13 Depth=1
	v_mov_b32_e32 v5, 0x7f800001
	v_and_b32_e32 v4, 0x7f, v0
	v_mov_b32_e32 v6, 0
	s_mov_b32 s26, exec_lo
	buffer_store_dword v5, off, s[0:3], s32 offset:828 ; 4-byte Folded Spill
	buffer_store_dword v6, off, s[0:3], s32 offset:832 ; 4-byte Folded Spill
	v_cmpx_ne_u32_e32 0x7f, v4
	s_cbranch_execz .LBB216_616
; %bb.613:                              ;   in Loop: Header=BB216_13 Depth=1
	v_and_b32_e32 v28, 7, v0
	v_lshrrev_b32_e32 v1, 3, v4
	s_mov_b32 s27, exec_lo
	v_cmpx_gt_u32_e32 8, v4
; %bb.614:                              ;   in Loop: Header=BB216_13 Depth=1
	v_ffbh_u32_e32 v1, v28
	v_min_u32_e32 v1, 32, v1
	v_subrev_nc_u32_e32 v4, 28, v1
	v_sub_nc_u32_e32 v1, 29, v1
	v_lshlrev_b64 v[4:5], v4, v[28:29]
	v_and_b32_e32 v28, 7, v4
; %bb.615:                              ;   in Loop: Header=BB216_13 Depth=1
	s_or_b32 exec_lo, exec_lo, s27
	v_lshlrev_b32_e32 v4, 24, v0
	v_lshlrev_b32_e32 v5, 20, v28
	v_lshl_add_u32 v1, v1, 23, 0x3c000000
	v_and_b32_e32 v4, 0x80000000, v4
	v_or3_b32 v28, v5, v4, v1
	buffer_store_dword v28, off, s[0:3], s32 offset:828 ; 4-byte Folded Spill
	buffer_store_dword v29, off, s[0:3], s32 offset:832 ; 4-byte Folded Spill
.LBB216_616:                            ;   in Loop: Header=BB216_13 Depth=1
	s_or_b32 exec_lo, exec_lo, s26
.LBB216_617:                            ;   in Loop: Header=BB216_13 Depth=1
	s_or_b32 exec_lo, exec_lo, s25
.LBB216_618:                            ;   in Loop: Header=BB216_13 Depth=1
	s_or_b32 exec_lo, exec_lo, s24
	v_cmp_ne_u16_sdwa s6, v0, v29 src0_sel:BYTE_1 src1_sel:DWORD
	s_and_saveexec_b32 s24, s6
	s_cbranch_execz .LBB216_626
; %bb.619:                              ;   in Loop: Header=BB216_13 Depth=1
	v_mov_b32_e32 v39, v29
	v_cmp_ne_u16_sdwa s6, v0, v64 src0_sel:BYTE_1 src1_sel:DWORD
	buffer_store_dword v39, off, s[0:3], s32 offset:836 ; 4-byte Folded Spill
	buffer_store_dword v40, off, s[0:3], s32 offset:840 ; 4-byte Folded Spill
	s_and_saveexec_b32 s25, s6
	s_cbranch_execz .LBB216_625
; %bb.620:                              ;   in Loop: Header=BB216_13 Depth=1
	v_mov_b32_e32 v1, 0xffff
	v_mov_b32_e32 v52, v29
	s_mov_b32 s26, exec_lo
	buffer_store_dword v52, off, s[0:3], s32 offset:836 ; 4-byte Folded Spill
	buffer_store_dword v53, off, s[0:3], s32 offset:840 ; 4-byte Folded Spill
	v_and_b32_sdwa v1, v1, v0 dst_sel:DWORD dst_unused:UNUSED_PAD src0_sel:DWORD src1_sel:BYTE_1
	v_and_b32_e32 v4, 0x7f, v1
	v_cmpx_ne_u32_e32 0x7f, v4
	s_cbranch_execz .LBB216_624
; %bb.621:                              ;   in Loop: Header=BB216_13 Depth=1
	v_and_b32_e32 v28, 7, v1
	v_lshrrev_b32_e32 v1, 3, v4
	s_mov_b32 s27, exec_lo
	v_cmpx_gt_u32_e32 8, v4
; %bb.622:                              ;   in Loop: Header=BB216_13 Depth=1
	v_ffbh_u32_e32 v1, v28
	v_min_u32_e32 v1, 32, v1
	v_subrev_nc_u32_e32 v4, 28, v1
	v_sub_nc_u32_e32 v1, 29, v1
	v_lshlrev_b64 v[4:5], v4, v[28:29]
	v_and_b32_e32 v28, 7, v4
; %bb.623:                              ;   in Loop: Header=BB216_13 Depth=1
	s_or_b32 exec_lo, exec_lo, s27
	v_lshlrev_b32_e32 v0, 16, v0
	v_lshlrev_b32_e32 v4, 20, v28
	v_lshl_add_u32 v1, v1, 23, 0x3c000000
	v_and_b32_e32 v0, 0x80000000, v0
	v_or3_b32 v1, v4, v0, v1
	v_mov_b32_e32 v0, v29
	buffer_store_dword v0, off, s[0:3], s32 offset:836 ; 4-byte Folded Spill
	buffer_store_dword v1, off, s[0:3], s32 offset:840 ; 4-byte Folded Spill
.LBB216_624:                            ;   in Loop: Header=BB216_13 Depth=1
	s_or_b32 exec_lo, exec_lo, s26
.LBB216_625:                            ;   in Loop: Header=BB216_13 Depth=1
	s_or_b32 exec_lo, exec_lo, s25
.LBB216_626:                            ;   in Loop: Header=BB216_13 Depth=1
	s_or_b32 exec_lo, exec_lo, s24
	buffer_load_dword v0, off, s[0:3], s32 offset:208 ; 4-byte Folded Reload
	s_waitcnt vmcnt(0)
	v_add_co_u32 v0, s6, v2, v0
	v_add_co_ci_u32_e64 v1, null, 0, v3, s6
	flat_load_ushort v0, v[0:1]
	s_waitcnt vmcnt(0) lgkmcnt(0)
	v_and_b32_e32 v4, 0xffff, v0
	v_cmp_ne_u16_sdwa s6, v0, v29 src0_sel:BYTE_0 src1_sel:DWORD
	v_mov_b32_e32 v0, 0
	v_mov_b32_e32 v1, 0
	buffer_store_dword v0, off, s[0:3], s32 offset:820 ; 4-byte Folded Spill
	buffer_store_dword v1, off, s[0:3], s32 offset:824 ; 4-byte Folded Spill
	v_mov_b32_e32 v0, 0
	v_mov_b32_e32 v1, 0
	buffer_store_dword v0, off, s[0:3], s32 offset:812 ; 4-byte Folded Spill
	buffer_store_dword v1, off, s[0:3], s32 offset:816 ; 4-byte Folded Spill
	s_and_saveexec_b32 s24, s6
	s_cbranch_execz .LBB216_634
; %bb.627:                              ;   in Loop: Header=BB216_13 Depth=1
	v_bfrev_b32_e32 v0, 1
	v_mov_b32_e32 v1, 0
	v_cmp_ne_u16_sdwa s6, v4, v64 src0_sel:BYTE_0 src1_sel:DWORD
	buffer_store_dword v0, off, s[0:3], s32 offset:812 ; 4-byte Folded Spill
	buffer_store_dword v1, off, s[0:3], s32 offset:816 ; 4-byte Folded Spill
	s_and_saveexec_b32 s25, s6
	s_cbranch_execz .LBB216_633
; %bb.628:                              ;   in Loop: Header=BB216_13 Depth=1
	v_mov_b32_e32 v0, 0x7f800001
	v_and_b32_e32 v6, 0x7f, v4
	v_mov_b32_e32 v1, 0
	s_mov_b32 s26, exec_lo
	buffer_store_dword v0, off, s[0:3], s32 offset:812 ; 4-byte Folded Spill
	buffer_store_dword v1, off, s[0:3], s32 offset:816 ; 4-byte Folded Spill
	v_cmpx_ne_u32_e32 0x7f, v6
	s_cbranch_execz .LBB216_632
; %bb.629:                              ;   in Loop: Header=BB216_13 Depth=1
	v_and_b32_e32 v28, 7, v4
	v_lshrrev_b32_e32 v5, 3, v6
	s_mov_b32 s27, exec_lo
	v_cmpx_gt_u32_e32 8, v6
; %bb.630:                              ;   in Loop: Header=BB216_13 Depth=1
	v_ffbh_u32_e32 v0, v28
	v_min_u32_e32 v5, 32, v0
	v_subrev_nc_u32_e32 v0, 28, v5
	v_sub_nc_u32_e32 v5, 29, v5
	v_lshlrev_b64 v[0:1], v0, v[28:29]
	v_and_b32_e32 v28, 7, v0
; %bb.631:                              ;   in Loop: Header=BB216_13 Depth=1
	s_or_b32 exec_lo, exec_lo, s27
	v_lshlrev_b32_e32 v0, 24, v4
	v_lshlrev_b32_e32 v1, 20, v28
	v_lshl_add_u32 v5, v5, 23, 0x3c000000
	v_and_b32_e32 v0, 0x80000000, v0
	v_or3_b32 v28, v1, v0, v5
	buffer_store_dword v28, off, s[0:3], s32 offset:812 ; 4-byte Folded Spill
	buffer_store_dword v29, off, s[0:3], s32 offset:816 ; 4-byte Folded Spill
.LBB216_632:                            ;   in Loop: Header=BB216_13 Depth=1
	s_or_b32 exec_lo, exec_lo, s26
.LBB216_633:                            ;   in Loop: Header=BB216_13 Depth=1
	s_or_b32 exec_lo, exec_lo, s25
.LBB216_634:                            ;   in Loop: Header=BB216_13 Depth=1
	s_or_b32 exec_lo, exec_lo, s24
	v_cmp_ne_u16_sdwa s6, v4, v29 src0_sel:BYTE_1 src1_sel:DWORD
	s_and_saveexec_b32 s24, s6
	s_cbranch_execz .LBB216_642
; %bb.635:                              ;   in Loop: Header=BB216_13 Depth=1
	v_mov_b32_e32 v39, v29
	v_cmp_ne_u16_sdwa s6, v4, v64 src0_sel:BYTE_1 src1_sel:DWORD
	buffer_store_dword v39, off, s[0:3], s32 offset:820 ; 4-byte Folded Spill
	buffer_store_dword v40, off, s[0:3], s32 offset:824 ; 4-byte Folded Spill
	s_and_saveexec_b32 s25, s6
	s_cbranch_execz .LBB216_641
; %bb.636:                              ;   in Loop: Header=BB216_13 Depth=1
	v_mov_b32_e32 v0, 0xffff
	v_mov_b32_e32 v52, v29
	s_mov_b32 s26, exec_lo
	buffer_store_dword v52, off, s[0:3], s32 offset:820 ; 4-byte Folded Spill
	buffer_store_dword v53, off, s[0:3], s32 offset:824 ; 4-byte Folded Spill
	v_and_b32_sdwa v6, v0, v4 dst_sel:DWORD dst_unused:UNUSED_PAD src0_sel:DWORD src1_sel:BYTE_1
	v_and_b32_e32 v5, 0x7f, v6
	v_cmpx_ne_u32_e32 0x7f, v5
	s_cbranch_execz .LBB216_640
; %bb.637:                              ;   in Loop: Header=BB216_13 Depth=1
	v_and_b32_e32 v28, 7, v6
	v_lshrrev_b32_e32 v0, 3, v5
	s_mov_b32 s27, exec_lo
	v_cmpx_gt_u32_e32 8, v5
; %bb.638:                              ;   in Loop: Header=BB216_13 Depth=1
	v_ffbh_u32_e32 v0, v28
	v_min_u32_e32 v0, 32, v0
	v_subrev_nc_u32_e32 v1, 28, v0
	v_sub_nc_u32_e32 v0, 29, v0
	v_lshlrev_b64 v[5:6], v1, v[28:29]
	v_and_b32_e32 v28, 7, v5
; %bb.639:                              ;   in Loop: Header=BB216_13 Depth=1
	s_or_b32 exec_lo, exec_lo, s27
	v_lshlrev_b32_e32 v1, 16, v4
	v_lshlrev_b32_e32 v4, 20, v28
	v_lshl_add_u32 v0, v0, 23, 0x3c000000
	v_and_b32_e32 v1, 0x80000000, v1
	v_or3_b32 v1, v4, v1, v0
	v_mov_b32_e32 v0, v29
	buffer_store_dword v0, off, s[0:3], s32 offset:820 ; 4-byte Folded Spill
	buffer_store_dword v1, off, s[0:3], s32 offset:824 ; 4-byte Folded Spill
.LBB216_640:                            ;   in Loop: Header=BB216_13 Depth=1
	s_or_b32 exec_lo, exec_lo, s26
.LBB216_641:                            ;   in Loop: Header=BB216_13 Depth=1
	s_or_b32 exec_lo, exec_lo, s25
.LBB216_642:                            ;   in Loop: Header=BB216_13 Depth=1
	s_or_b32 exec_lo, exec_lo, s24
	buffer_load_dword v0, off, s[0:3], s32 offset:212 ; 4-byte Folded Reload
	v_mov_b32_e32 v100, 0
	v_mov_b32_e32 v70, 0
	;; [unrolled: 1-line block ×4, first 2 shown]
	s_waitcnt vmcnt(0)
	v_add_co_u32 v0, s6, v2, v0
	v_add_co_ci_u32_e64 v1, null, 0, v3, s6
	flat_load_ushort v0, v[0:1]
	s_waitcnt vmcnt(0) lgkmcnt(0)
	v_and_b32_e32 v2, 0xffff, v0
	v_cmp_ne_u16_sdwa s6, v0, v29 src0_sel:BYTE_0 src1_sel:DWORD
	s_and_saveexec_b32 s24, s6
	s_cbranch_execz .LBB216_650
; %bb.643:                              ;   in Loop: Header=BB216_13 Depth=1
	v_bfrev_b32_e32 v70, 1
	v_mov_b32_e32 v71, 0
	v_cmp_ne_u16_sdwa s6, v2, v64 src0_sel:BYTE_0 src1_sel:DWORD
	s_and_saveexec_b32 s25, s6
	s_cbranch_execz .LBB216_649
; %bb.644:                              ;   in Loop: Header=BB216_13 Depth=1
	v_mov_b32_e32 v70, 0x7f800001
	v_and_b32_e32 v4, 0x7f, v2
	v_mov_b32_e32 v71, 0
	s_mov_b32 s26, exec_lo
	v_cmpx_ne_u32_e32 0x7f, v4
	s_cbranch_execz .LBB216_648
; %bb.645:                              ;   in Loop: Header=BB216_13 Depth=1
	v_and_b32_e32 v28, 7, v2
	v_lshrrev_b32_e32 v3, 3, v4
	s_mov_b32 s27, exec_lo
	v_cmpx_gt_u32_e32 8, v4
; %bb.646:                              ;   in Loop: Header=BB216_13 Depth=1
	v_ffbh_u32_e32 v0, v28
	v_min_u32_e32 v3, 32, v0
	v_subrev_nc_u32_e32 v0, 28, v3
	v_sub_nc_u32_e32 v3, 29, v3
	v_lshlrev_b64 v[0:1], v0, v[28:29]
	v_and_b32_e32 v28, 7, v0
; %bb.647:                              ;   in Loop: Header=BB216_13 Depth=1
	s_or_b32 exec_lo, exec_lo, s27
	v_lshlrev_b32_e32 v0, 24, v2
	v_lshlrev_b32_e32 v1, 20, v28
	v_lshl_add_u32 v3, v3, 23, 0x3c000000
	v_and_b32_e32 v0, 0x80000000, v0
	v_or3_b32 v28, v1, v0, v3
	v_mov_b32_e32 v71, v29
	v_mov_b32_e32 v70, v28
.LBB216_648:                            ;   in Loop: Header=BB216_13 Depth=1
	s_or_b32 exec_lo, exec_lo, s26
.LBB216_649:                            ;   in Loop: Header=BB216_13 Depth=1
	s_or_b32 exec_lo, exec_lo, s25
.LBB216_650:                            ;   in Loop: Header=BB216_13 Depth=1
	s_or_b32 exec_lo, exec_lo, s24
	v_cmp_ne_u16_sdwa s6, v2, v29 src0_sel:BYTE_1 src1_sel:DWORD
	s_and_saveexec_b32 s24, s6
	s_cbranch_execz .LBB216_658
; %bb.651:                              ;   in Loop: Header=BB216_13 Depth=1
	v_mov_b32_e32 v39, v29
	v_mov_b32_e32 v101, v40
	v_cmp_ne_u16_sdwa s6, v2, v64 src0_sel:BYTE_1 src1_sel:DWORD
	v_mov_b32_e32 v100, v39
	s_and_saveexec_b32 s25, s6
	s_cbranch_execz .LBB216_657
; %bb.652:                              ;   in Loop: Header=BB216_13 Depth=1
	v_mov_b32_e32 v0, 0xffff
	v_mov_b32_e32 v52, v29
	;; [unrolled: 1-line block ×3, first 2 shown]
	s_mov_b32 s26, exec_lo
	v_and_b32_sdwa v3, v0, v2 dst_sel:DWORD dst_unused:UNUSED_PAD src0_sel:DWORD src1_sel:BYTE_1
	v_mov_b32_e32 v100, v52
	v_and_b32_e32 v4, 0x7f, v3
	v_cmpx_ne_u32_e32 0x7f, v4
	s_cbranch_execz .LBB216_656
; %bb.653:                              ;   in Loop: Header=BB216_13 Depth=1
	v_and_b32_e32 v28, 7, v3
	v_lshrrev_b32_e32 v3, 3, v4
	s_mov_b32 s27, exec_lo
	v_cmpx_gt_u32_e32 8, v4
; %bb.654:                              ;   in Loop: Header=BB216_13 Depth=1
	v_ffbh_u32_e32 v0, v28
	v_min_u32_e32 v3, 32, v0
	v_subrev_nc_u32_e32 v0, 28, v3
	v_sub_nc_u32_e32 v3, 29, v3
	v_lshlrev_b64 v[0:1], v0, v[28:29]
	v_and_b32_e32 v28, 7, v0
; %bb.655:                              ;   in Loop: Header=BB216_13 Depth=1
	s_or_b32 exec_lo, exec_lo, s27
	v_lshlrev_b32_e32 v0, 16, v2
	v_lshlrev_b32_e32 v1, 20, v28
	v_lshl_add_u32 v2, v3, 23, 0x3c000000
	v_mov_b32_e32 v100, v29
	v_and_b32_e32 v0, 0x80000000, v0
	v_or3_b32 v101, v1, v0, v2
.LBB216_656:                            ;   in Loop: Header=BB216_13 Depth=1
	s_or_b32 exec_lo, exec_lo, s26
.LBB216_657:                            ;   in Loop: Header=BB216_13 Depth=1
	s_or_b32 exec_lo, exec_lo, s25
.LBB216_658:                            ;   in Loop: Header=BB216_13 Depth=1
	s_or_b32 exec_lo, exec_lo, s24
	buffer_load_dword v0, off, s[0:3], s32 offset:200 ; 4-byte Folded Reload
	v_add_co_u32 v2, s6, 0xa00, v94
	v_add_co_ci_u32_e64 v3, null, 0, v95, s6
	v_mov_b32_e32 v102, 0
	v_mov_b32_e32 v103, 0
	s_waitcnt vmcnt(0)
	v_add_co_u32 v0, s6, v2, v0
	v_add_co_ci_u32_e64 v1, null, 0, v3, s6
	flat_load_ushort v0, v[0:1]
	s_waitcnt vmcnt(0) lgkmcnt(0)
	v_and_b32_e32 v4, 0xffff, v0
	v_cmp_ne_u16_sdwa s6, v0, v29 src0_sel:BYTE_0 src1_sel:DWORD
	v_mov_b32_e32 v0, 0
	v_mov_b32_e32 v1, 0
	s_and_saveexec_b32 s24, s6
	s_cbranch_execz .LBB216_666
; %bb.659:                              ;   in Loop: Header=BB216_13 Depth=1
	v_bfrev_b32_e32 v0, 1
	v_mov_b32_e32 v1, 0
	v_cmp_ne_u16_sdwa s6, v4, v64 src0_sel:BYTE_0 src1_sel:DWORD
	s_and_saveexec_b32 s25, s6
	s_cbranch_execz .LBB216_665
; %bb.660:                              ;   in Loop: Header=BB216_13 Depth=1
	v_mov_b32_e32 v0, 0x7f800001
	v_and_b32_e32 v6, 0x7f, v4
	v_mov_b32_e32 v1, 0
	s_mov_b32 s26, exec_lo
	v_cmpx_ne_u32_e32 0x7f, v6
	s_cbranch_execz .LBB216_664
; %bb.661:                              ;   in Loop: Header=BB216_13 Depth=1
	v_and_b32_e32 v28, 7, v4
	v_lshrrev_b32_e32 v5, 3, v6
	s_mov_b32 s27, exec_lo
	v_cmpx_gt_u32_e32 8, v6
; %bb.662:                              ;   in Loop: Header=BB216_13 Depth=1
	v_ffbh_u32_e32 v0, v28
	v_min_u32_e32 v5, 32, v0
	v_subrev_nc_u32_e32 v0, 28, v5
	v_sub_nc_u32_e32 v5, 29, v5
	v_lshlrev_b64 v[0:1], v0, v[28:29]
	v_and_b32_e32 v28, 7, v0
; %bb.663:                              ;   in Loop: Header=BB216_13 Depth=1
	s_or_b32 exec_lo, exec_lo, s27
	v_lshlrev_b32_e32 v0, 24, v4
	v_lshlrev_b32_e32 v1, 20, v28
	v_lshl_add_u32 v5, v5, 23, 0x3c000000
	v_and_b32_e32 v0, 0x80000000, v0
	v_or3_b32 v28, v1, v0, v5
	v_mov_b32_e32 v0, v28
	v_mov_b32_e32 v1, v29
.LBB216_664:                            ;   in Loop: Header=BB216_13 Depth=1
	s_or_b32 exec_lo, exec_lo, s26
.LBB216_665:                            ;   in Loop: Header=BB216_13 Depth=1
	s_or_b32 exec_lo, exec_lo, s25
.LBB216_666:                            ;   in Loop: Header=BB216_13 Depth=1
	s_or_b32 exec_lo, exec_lo, s24
	v_cmp_ne_u16_sdwa s6, v4, v29 src0_sel:BYTE_1 src1_sel:DWORD
	s_and_saveexec_b32 s24, s6
	s_cbranch_execz .LBB216_674
; %bb.667:                              ;   in Loop: Header=BB216_13 Depth=1
	v_mov_b32_e32 v39, v29
	v_mov_b32_e32 v103, v40
	v_cmp_ne_u16_sdwa s6, v4, v64 src0_sel:BYTE_1 src1_sel:DWORD
	v_mov_b32_e32 v102, v39
	s_and_saveexec_b32 s25, s6
	s_cbranch_execz .LBB216_673
; %bb.668:                              ;   in Loop: Header=BB216_13 Depth=1
	v_mov_b32_e32 v5, 0xffff
	v_mov_b32_e32 v52, v29
	;; [unrolled: 1-line block ×3, first 2 shown]
	s_mov_b32 s26, exec_lo
	v_and_b32_sdwa v5, v5, v4 dst_sel:DWORD dst_unused:UNUSED_PAD src0_sel:DWORD src1_sel:BYTE_1
	v_mov_b32_e32 v102, v52
	v_and_b32_e32 v6, 0x7f, v5
	v_cmpx_ne_u32_e32 0x7f, v6
	s_cbranch_execz .LBB216_672
; %bb.669:                              ;   in Loop: Header=BB216_13 Depth=1
	v_and_b32_e32 v28, 7, v5
	v_lshrrev_b32_e32 v5, 3, v6
	s_mov_b32 s27, exec_lo
	v_cmpx_gt_u32_e32 8, v6
; %bb.670:                              ;   in Loop: Header=BB216_13 Depth=1
	v_ffbh_u32_e32 v5, v28
	v_min_u32_e32 v5, 32, v5
	v_subrev_nc_u32_e32 v6, 28, v5
	v_sub_nc_u32_e32 v5, 29, v5
	v_lshlrev_b64 v[6:7], v6, v[28:29]
	v_and_b32_e32 v28, 7, v6
; %bb.671:                              ;   in Loop: Header=BB216_13 Depth=1
	s_or_b32 exec_lo, exec_lo, s27
	v_lshlrev_b32_e32 v4, 16, v4
	v_lshlrev_b32_e32 v6, 20, v28
	v_lshl_add_u32 v5, v5, 23, 0x3c000000
	v_mov_b32_e32 v102, v29
	v_and_b32_e32 v4, 0x80000000, v4
	v_or3_b32 v103, v6, v4, v5
.LBB216_672:                            ;   in Loop: Header=BB216_13 Depth=1
	s_or_b32 exec_lo, exec_lo, s26
.LBB216_673:                            ;   in Loop: Header=BB216_13 Depth=1
	s_or_b32 exec_lo, exec_lo, s25
.LBB216_674:                            ;   in Loop: Header=BB216_13 Depth=1
	s_or_b32 exec_lo, exec_lo, s24
	buffer_load_dword v4, off, s[0:3], s32 offset:204 ; 4-byte Folded Reload
	v_mov_b32_e32 v23, 0
	v_mov_b32_e32 v24, 0
	s_waitcnt vmcnt(0)
	v_add_co_u32 v4, s6, v2, v4
	v_add_co_ci_u32_e64 v5, null, 0, v3, s6
	flat_load_ushort v5, v[4:5]
	s_waitcnt vmcnt(0) lgkmcnt(0)
	v_and_b32_e32 v4, 0xffff, v5
	v_cmp_ne_u16_sdwa s6, v5, v29 src0_sel:BYTE_0 src1_sel:DWORD
	v_mov_b32_e32 v5, 0
	v_mov_b32_e32 v6, 0
	buffer_store_dword v5, off, s[0:3], s32 offset:844 ; 4-byte Folded Spill
	buffer_store_dword v6, off, s[0:3], s32 offset:848 ; 4-byte Folded Spill
	s_and_saveexec_b32 s24, s6
	s_cbranch_execz .LBB216_682
; %bb.675:                              ;   in Loop: Header=BB216_13 Depth=1
	v_bfrev_b32_e32 v5, 1
	v_mov_b32_e32 v6, 0
	v_cmp_ne_u16_sdwa s6, v4, v64 src0_sel:BYTE_0 src1_sel:DWORD
	buffer_store_dword v5, off, s[0:3], s32 offset:844 ; 4-byte Folded Spill
	buffer_store_dword v6, off, s[0:3], s32 offset:848 ; 4-byte Folded Spill
	s_and_saveexec_b32 s25, s6
	s_cbranch_execz .LBB216_681
; %bb.676:                              ;   in Loop: Header=BB216_13 Depth=1
	v_mov_b32_e32 v7, 0x7f800001
	v_and_b32_e32 v6, 0x7f, v4
	v_mov_b32_e32 v8, 0
	s_mov_b32 s26, exec_lo
	buffer_store_dword v7, off, s[0:3], s32 offset:844 ; 4-byte Folded Spill
	buffer_store_dword v8, off, s[0:3], s32 offset:848 ; 4-byte Folded Spill
	v_cmpx_ne_u32_e32 0x7f, v6
	s_cbranch_execz .LBB216_680
; %bb.677:                              ;   in Loop: Header=BB216_13 Depth=1
	v_and_b32_e32 v28, 7, v4
	v_lshrrev_b32_e32 v5, 3, v6
	s_mov_b32 s27, exec_lo
	v_cmpx_gt_u32_e32 8, v6
; %bb.678:                              ;   in Loop: Header=BB216_13 Depth=1
	v_ffbh_u32_e32 v5, v28
	v_min_u32_e32 v5, 32, v5
	v_subrev_nc_u32_e32 v6, 28, v5
	v_sub_nc_u32_e32 v5, 29, v5
	v_lshlrev_b64 v[6:7], v6, v[28:29]
	v_and_b32_e32 v28, 7, v6
; %bb.679:                              ;   in Loop: Header=BB216_13 Depth=1
	s_or_b32 exec_lo, exec_lo, s27
	v_lshlrev_b32_e32 v6, 24, v4
	v_lshlrev_b32_e32 v7, 20, v28
	v_lshl_add_u32 v5, v5, 23, 0x3c000000
	v_and_b32_e32 v6, 0x80000000, v6
	v_or3_b32 v28, v7, v6, v5
	buffer_store_dword v28, off, s[0:3], s32 offset:844 ; 4-byte Folded Spill
	buffer_store_dword v29, off, s[0:3], s32 offset:848 ; 4-byte Folded Spill
.LBB216_680:                            ;   in Loop: Header=BB216_13 Depth=1
	s_or_b32 exec_lo, exec_lo, s26
.LBB216_681:                            ;   in Loop: Header=BB216_13 Depth=1
	s_or_b32 exec_lo, exec_lo, s25
.LBB216_682:                            ;   in Loop: Header=BB216_13 Depth=1
	s_or_b32 exec_lo, exec_lo, s24
	v_cmp_ne_u16_sdwa s6, v4, v29 src0_sel:BYTE_1 src1_sel:DWORD
	s_and_saveexec_b32 s24, s6
	s_cbranch_execz .LBB216_690
; %bb.683:                              ;   in Loop: Header=BB216_13 Depth=1
	v_mov_b32_e32 v39, v29
	v_cmp_ne_u16_sdwa s6, v4, v64 src0_sel:BYTE_1 src1_sel:DWORD
	v_mov_b32_e32 v23, v39
	v_mov_b32_e32 v24, v40
	s_and_saveexec_b32 s25, s6
	s_cbranch_execz .LBB216_689
; %bb.684:                              ;   in Loop: Header=BB216_13 Depth=1
	v_mov_b32_e32 v5, 0xffff
	v_mov_b32_e32 v52, v29
	s_mov_b32 s26, exec_lo
	v_and_b32_sdwa v5, v5, v4 dst_sel:DWORD dst_unused:UNUSED_PAD src0_sel:DWORD src1_sel:BYTE_1
	v_mov_b32_e32 v23, v52
	v_mov_b32_e32 v24, v53
	v_and_b32_e32 v6, 0x7f, v5
	v_cmpx_ne_u32_e32 0x7f, v6
	s_cbranch_execz .LBB216_688
; %bb.685:                              ;   in Loop: Header=BB216_13 Depth=1
	v_and_b32_e32 v28, 7, v5
	v_lshrrev_b32_e32 v5, 3, v6
	s_mov_b32 s27, exec_lo
	v_cmpx_gt_u32_e32 8, v6
; %bb.686:                              ;   in Loop: Header=BB216_13 Depth=1
	v_ffbh_u32_e32 v5, v28
	v_min_u32_e32 v5, 32, v5
	v_subrev_nc_u32_e32 v6, 28, v5
	v_sub_nc_u32_e32 v5, 29, v5
	v_lshlrev_b64 v[6:7], v6, v[28:29]
	v_and_b32_e32 v28, 7, v6
; %bb.687:                              ;   in Loop: Header=BB216_13 Depth=1
	s_or_b32 exec_lo, exec_lo, s27
	v_lshlrev_b32_e32 v4, 16, v4
	v_lshlrev_b32_e32 v6, 20, v28
	v_lshl_add_u32 v5, v5, 23, 0x3c000000
	v_mov_b32_e32 v23, v29
	v_and_b32_e32 v4, 0x80000000, v4
	v_or3_b32 v24, v6, v4, v5
.LBB216_688:                            ;   in Loop: Header=BB216_13 Depth=1
	s_or_b32 exec_lo, exec_lo, s26
.LBB216_689:                            ;   in Loop: Header=BB216_13 Depth=1
	s_or_b32 exec_lo, exec_lo, s25
.LBB216_690:                            ;   in Loop: Header=BB216_13 Depth=1
	s_or_b32 exec_lo, exec_lo, s24
	buffer_load_dword v4, off, s[0:3], s32 offset:208 ; 4-byte Folded Reload
	v_mov_b32_e32 v58, 0
	v_mov_b32_e32 v14, 0
	;; [unrolled: 1-line block ×4, first 2 shown]
	s_waitcnt vmcnt(0)
	v_add_co_u32 v4, s6, v2, v4
	v_add_co_ci_u32_e64 v5, null, 0, v3, s6
	flat_load_ushort v5, v[4:5]
	s_waitcnt vmcnt(0) lgkmcnt(0)
	v_and_b32_e32 v4, 0xffff, v5
	v_cmp_ne_u16_sdwa s6, v5, v29 src0_sel:BYTE_0 src1_sel:DWORD
	s_and_saveexec_b32 s24, s6
	s_cbranch_execz .LBB216_698
; %bb.691:                              ;   in Loop: Header=BB216_13 Depth=1
	v_bfrev_b32_e32 v14, 1
	v_mov_b32_e32 v15, 0
	v_cmp_ne_u16_sdwa s6, v4, v64 src0_sel:BYTE_0 src1_sel:DWORD
	s_and_saveexec_b32 s25, s6
	s_cbranch_execz .LBB216_697
; %bb.692:                              ;   in Loop: Header=BB216_13 Depth=1
	v_mov_b32_e32 v14, 0x7f800001
	v_and_b32_e32 v6, 0x7f, v4
	v_mov_b32_e32 v15, 0
	s_mov_b32 s26, exec_lo
	v_cmpx_ne_u32_e32 0x7f, v6
	s_cbranch_execz .LBB216_696
; %bb.693:                              ;   in Loop: Header=BB216_13 Depth=1
	v_and_b32_e32 v28, 7, v4
	v_lshrrev_b32_e32 v5, 3, v6
	s_mov_b32 s27, exec_lo
	v_cmpx_gt_u32_e32 8, v6
; %bb.694:                              ;   in Loop: Header=BB216_13 Depth=1
	v_ffbh_u32_e32 v5, v28
	v_min_u32_e32 v5, 32, v5
	v_subrev_nc_u32_e32 v6, 28, v5
	v_sub_nc_u32_e32 v5, 29, v5
	v_lshlrev_b64 v[6:7], v6, v[28:29]
	v_and_b32_e32 v28, 7, v6
; %bb.695:                              ;   in Loop: Header=BB216_13 Depth=1
	s_or_b32 exec_lo, exec_lo, s27
	v_lshlrev_b32_e32 v6, 24, v4
	v_lshlrev_b32_e32 v7, 20, v28
	v_lshl_add_u32 v5, v5, 23, 0x3c000000
	v_and_b32_e32 v6, 0x80000000, v6
	v_or3_b32 v28, v7, v6, v5
	v_mov_b32_e32 v14, v28
	v_mov_b32_e32 v15, v29
.LBB216_696:                            ;   in Loop: Header=BB216_13 Depth=1
	s_or_b32 exec_lo, exec_lo, s26
.LBB216_697:                            ;   in Loop: Header=BB216_13 Depth=1
	s_or_b32 exec_lo, exec_lo, s25
.LBB216_698:                            ;   in Loop: Header=BB216_13 Depth=1
	s_or_b32 exec_lo, exec_lo, s24
	v_cmp_ne_u16_sdwa s6, v4, v29 src0_sel:BYTE_1 src1_sel:DWORD
	s_and_saveexec_b32 s24, s6
	s_cbranch_execz .LBB216_706
; %bb.699:                              ;   in Loop: Header=BB216_13 Depth=1
	v_mov_b32_e32 v39, v29
	v_mov_b32_e32 v59, v40
	v_cmp_ne_u16_sdwa s6, v4, v64 src0_sel:BYTE_1 src1_sel:DWORD
	v_mov_b32_e32 v58, v39
	s_and_saveexec_b32 s25, s6
	s_cbranch_execz .LBB216_705
; %bb.700:                              ;   in Loop: Header=BB216_13 Depth=1
	v_mov_b32_e32 v5, 0xffff
	v_mov_b32_e32 v52, v29
	;; [unrolled: 1-line block ×3, first 2 shown]
	s_mov_b32 s26, exec_lo
	v_and_b32_sdwa v5, v5, v4 dst_sel:DWORD dst_unused:UNUSED_PAD src0_sel:DWORD src1_sel:BYTE_1
	v_mov_b32_e32 v58, v52
	v_and_b32_e32 v6, 0x7f, v5
	v_cmpx_ne_u32_e32 0x7f, v6
	s_cbranch_execz .LBB216_704
; %bb.701:                              ;   in Loop: Header=BB216_13 Depth=1
	v_and_b32_e32 v28, 7, v5
	v_lshrrev_b32_e32 v5, 3, v6
	s_mov_b32 s27, exec_lo
	v_cmpx_gt_u32_e32 8, v6
; %bb.702:                              ;   in Loop: Header=BB216_13 Depth=1
	v_ffbh_u32_e32 v5, v28
	v_min_u32_e32 v5, 32, v5
	v_subrev_nc_u32_e32 v6, 28, v5
	v_sub_nc_u32_e32 v5, 29, v5
	v_lshlrev_b64 v[6:7], v6, v[28:29]
	v_and_b32_e32 v28, 7, v6
; %bb.703:                              ;   in Loop: Header=BB216_13 Depth=1
	s_or_b32 exec_lo, exec_lo, s27
	v_lshlrev_b32_e32 v4, 16, v4
	v_lshlrev_b32_e32 v6, 20, v28
	v_lshl_add_u32 v5, v5, 23, 0x3c000000
	v_mov_b32_e32 v58, v29
	v_and_b32_e32 v4, 0x80000000, v4
	v_or3_b32 v59, v6, v4, v5
.LBB216_704:                            ;   in Loop: Header=BB216_13 Depth=1
	s_or_b32 exec_lo, exec_lo, s26
.LBB216_705:                            ;   in Loop: Header=BB216_13 Depth=1
	s_or_b32 exec_lo, exec_lo, s25
.LBB216_706:                            ;   in Loop: Header=BB216_13 Depth=1
	s_or_b32 exec_lo, exec_lo, s24
	buffer_load_dword v4, off, s[0:3], s32 offset:212 ; 4-byte Folded Reload
	v_mov_b32_e32 v56, 0
	v_mov_b32_e32 v43, 0
	;; [unrolled: 1-line block ×4, first 2 shown]
	s_waitcnt vmcnt(0)
	v_add_co_u32 v2, s6, v2, v4
	v_add_co_ci_u32_e64 v3, null, 0, v3, s6
	flat_load_ushort v3, v[2:3]
	s_waitcnt vmcnt(0) lgkmcnt(0)
	v_and_b32_e32 v2, 0xffff, v3
	v_cmp_ne_u16_sdwa s6, v3, v29 src0_sel:BYTE_0 src1_sel:DWORD
	s_and_saveexec_b32 s24, s6
	s_cbranch_execz .LBB216_714
; %bb.707:                              ;   in Loop: Header=BB216_13 Depth=1
	v_bfrev_b32_e32 v43, 1
	v_mov_b32_e32 v44, 0
	v_cmp_ne_u16_sdwa s6, v2, v64 src0_sel:BYTE_0 src1_sel:DWORD
	s_and_saveexec_b32 s25, s6
	s_cbranch_execz .LBB216_713
; %bb.708:                              ;   in Loop: Header=BB216_13 Depth=1
	v_mov_b32_e32 v43, 0x7f800001
	v_and_b32_e32 v4, 0x7f, v2
	v_mov_b32_e32 v44, 0
	s_mov_b32 s26, exec_lo
	v_cmpx_ne_u32_e32 0x7f, v4
	s_cbranch_execz .LBB216_712
; %bb.709:                              ;   in Loop: Header=BB216_13 Depth=1
	v_and_b32_e32 v28, 7, v2
	v_lshrrev_b32_e32 v3, 3, v4
	s_mov_b32 s27, exec_lo
	v_cmpx_gt_u32_e32 8, v4
; %bb.710:                              ;   in Loop: Header=BB216_13 Depth=1
	v_ffbh_u32_e32 v3, v28
	v_min_u32_e32 v3, 32, v3
	v_subrev_nc_u32_e32 v4, 28, v3
	v_sub_nc_u32_e32 v3, 29, v3
	v_lshlrev_b64 v[4:5], v4, v[28:29]
	v_and_b32_e32 v28, 7, v4
; %bb.711:                              ;   in Loop: Header=BB216_13 Depth=1
	s_or_b32 exec_lo, exec_lo, s27
	v_lshlrev_b32_e32 v4, 24, v2
	v_lshlrev_b32_e32 v5, 20, v28
	v_lshl_add_u32 v3, v3, 23, 0x3c000000
	v_and_b32_e32 v4, 0x80000000, v4
	v_or3_b32 v28, v5, v4, v3
	v_mov_b32_e32 v44, v29
	v_mov_b32_e32 v43, v28
.LBB216_712:                            ;   in Loop: Header=BB216_13 Depth=1
	s_or_b32 exec_lo, exec_lo, s26
.LBB216_713:                            ;   in Loop: Header=BB216_13 Depth=1
	s_or_b32 exec_lo, exec_lo, s25
.LBB216_714:                            ;   in Loop: Header=BB216_13 Depth=1
	s_or_b32 exec_lo, exec_lo, s24
	v_cmp_ne_u16_sdwa s6, v2, v29 src0_sel:BYTE_1 src1_sel:DWORD
	s_and_saveexec_b32 s24, s6
	s_cbranch_execz .LBB216_722
; %bb.715:                              ;   in Loop: Header=BB216_13 Depth=1
	v_mov_b32_e32 v39, v29
	v_mov_b32_e32 v57, v40
	v_cmp_ne_u16_sdwa s6, v2, v64 src0_sel:BYTE_1 src1_sel:DWORD
	v_mov_b32_e32 v56, v39
	s_and_saveexec_b32 s25, s6
	s_cbranch_execz .LBB216_721
; %bb.716:                              ;   in Loop: Header=BB216_13 Depth=1
	v_mov_b32_e32 v3, 0xffff
	v_mov_b32_e32 v52, v29
	v_mov_b32_e32 v57, v53
	s_mov_b32 s26, exec_lo
	v_and_b32_sdwa v3, v3, v2 dst_sel:DWORD dst_unused:UNUSED_PAD src0_sel:DWORD src1_sel:BYTE_1
	v_mov_b32_e32 v56, v52
	v_and_b32_e32 v4, 0x7f, v3
	v_cmpx_ne_u32_e32 0x7f, v4
	s_cbranch_execz .LBB216_720
; %bb.717:                              ;   in Loop: Header=BB216_13 Depth=1
	v_and_b32_e32 v28, 7, v3
	v_lshrrev_b32_e32 v3, 3, v4
	s_mov_b32 s27, exec_lo
	v_cmpx_gt_u32_e32 8, v4
; %bb.718:                              ;   in Loop: Header=BB216_13 Depth=1
	v_ffbh_u32_e32 v3, v28
	v_min_u32_e32 v3, 32, v3
	v_subrev_nc_u32_e32 v4, 28, v3
	v_sub_nc_u32_e32 v3, 29, v3
	v_lshlrev_b64 v[4:5], v4, v[28:29]
	v_and_b32_e32 v28, 7, v4
; %bb.719:                              ;   in Loop: Header=BB216_13 Depth=1
	s_or_b32 exec_lo, exec_lo, s27
	v_lshlrev_b32_e32 v2, 16, v2
	v_lshlrev_b32_e32 v4, 20, v28
	v_lshl_add_u32 v3, v3, 23, 0x3c000000
	v_mov_b32_e32 v56, v29
	v_and_b32_e32 v2, 0x80000000, v2
	v_or3_b32 v57, v4, v2, v3
.LBB216_720:                            ;   in Loop: Header=BB216_13 Depth=1
	s_or_b32 exec_lo, exec_lo, s26
.LBB216_721:                            ;   in Loop: Header=BB216_13 Depth=1
	s_or_b32 exec_lo, exec_lo, s25
.LBB216_722:                            ;   in Loop: Header=BB216_13 Depth=1
	s_or_b32 exec_lo, exec_lo, s24
	buffer_load_dword v4, off, s[0:3], s32 offset:200 ; 4-byte Folded Reload
	v_add_co_u32 v2, s6, 0xb00, v94
	v_add_co_ci_u32_e64 v3, null, 0, v95, s6
	v_mov_b32_e32 v74, 0
	v_mov_b32_e32 v20, 0
	;; [unrolled: 1-line block ×4, first 2 shown]
	s_waitcnt vmcnt(0)
	v_add_co_u32 v4, s6, v2, v4
	v_add_co_ci_u32_e64 v5, null, 0, v3, s6
	flat_load_ushort v5, v[4:5]
	s_waitcnt vmcnt(0) lgkmcnt(0)
	v_and_b32_e32 v4, 0xffff, v5
	v_cmp_ne_u16_sdwa s6, v5, v29 src0_sel:BYTE_0 src1_sel:DWORD
	s_and_saveexec_b32 s24, s6
	s_cbranch_execz .LBB216_730
; %bb.723:                              ;   in Loop: Header=BB216_13 Depth=1
	v_bfrev_b32_e32 v20, 1
	v_mov_b32_e32 v21, 0
	v_cmp_ne_u16_sdwa s6, v4, v64 src0_sel:BYTE_0 src1_sel:DWORD
	s_and_saveexec_b32 s25, s6
	s_cbranch_execz .LBB216_729
; %bb.724:                              ;   in Loop: Header=BB216_13 Depth=1
	v_mov_b32_e32 v20, 0x7f800001
	v_and_b32_e32 v6, 0x7f, v4
	v_mov_b32_e32 v21, 0
	s_mov_b32 s26, exec_lo
	v_cmpx_ne_u32_e32 0x7f, v6
	s_cbranch_execz .LBB216_728
; %bb.725:                              ;   in Loop: Header=BB216_13 Depth=1
	v_and_b32_e32 v28, 7, v4
	v_lshrrev_b32_e32 v5, 3, v6
	s_mov_b32 s27, exec_lo
	v_cmpx_gt_u32_e32 8, v6
; %bb.726:                              ;   in Loop: Header=BB216_13 Depth=1
	v_ffbh_u32_e32 v5, v28
	v_min_u32_e32 v5, 32, v5
	v_subrev_nc_u32_e32 v6, 28, v5
	v_sub_nc_u32_e32 v5, 29, v5
	v_lshlrev_b64 v[6:7], v6, v[28:29]
	v_and_b32_e32 v28, 7, v6
; %bb.727:                              ;   in Loop: Header=BB216_13 Depth=1
	s_or_b32 exec_lo, exec_lo, s27
	v_lshlrev_b32_e32 v6, 24, v4
	v_lshlrev_b32_e32 v7, 20, v28
	v_lshl_add_u32 v5, v5, 23, 0x3c000000
	v_and_b32_e32 v6, 0x80000000, v6
	v_or3_b32 v28, v7, v6, v5
	v_mov_b32_e32 v20, v28
	v_mov_b32_e32 v21, v29
.LBB216_728:                            ;   in Loop: Header=BB216_13 Depth=1
	s_or_b32 exec_lo, exec_lo, s26
.LBB216_729:                            ;   in Loop: Header=BB216_13 Depth=1
	s_or_b32 exec_lo, exec_lo, s25
.LBB216_730:                            ;   in Loop: Header=BB216_13 Depth=1
	s_or_b32 exec_lo, exec_lo, s24
	v_cmp_ne_u16_sdwa s6, v4, v29 src0_sel:BYTE_1 src1_sel:DWORD
	s_and_saveexec_b32 s24, s6
	s_cbranch_execz .LBB216_738
; %bb.731:                              ;   in Loop: Header=BB216_13 Depth=1
	v_mov_b32_e32 v39, v29
	v_mov_b32_e32 v75, v40
	v_cmp_ne_u16_sdwa s6, v4, v64 src0_sel:BYTE_1 src1_sel:DWORD
	v_mov_b32_e32 v74, v39
	s_and_saveexec_b32 s25, s6
	s_cbranch_execz .LBB216_737
; %bb.732:                              ;   in Loop: Header=BB216_13 Depth=1
	v_mov_b32_e32 v5, 0xffff
	v_mov_b32_e32 v52, v29
	;; [unrolled: 1-line block ×3, first 2 shown]
	s_mov_b32 s26, exec_lo
	v_and_b32_sdwa v5, v5, v4 dst_sel:DWORD dst_unused:UNUSED_PAD src0_sel:DWORD src1_sel:BYTE_1
	v_mov_b32_e32 v74, v52
	v_and_b32_e32 v6, 0x7f, v5
	v_cmpx_ne_u32_e32 0x7f, v6
	s_cbranch_execz .LBB216_736
; %bb.733:                              ;   in Loop: Header=BB216_13 Depth=1
	v_and_b32_e32 v28, 7, v5
	v_lshrrev_b32_e32 v5, 3, v6
	s_mov_b32 s27, exec_lo
	v_cmpx_gt_u32_e32 8, v6
; %bb.734:                              ;   in Loop: Header=BB216_13 Depth=1
	v_ffbh_u32_e32 v5, v28
	v_min_u32_e32 v5, 32, v5
	v_subrev_nc_u32_e32 v6, 28, v5
	v_sub_nc_u32_e32 v5, 29, v5
	v_lshlrev_b64 v[6:7], v6, v[28:29]
	v_and_b32_e32 v28, 7, v6
; %bb.735:                              ;   in Loop: Header=BB216_13 Depth=1
	s_or_b32 exec_lo, exec_lo, s27
	v_lshlrev_b32_e32 v4, 16, v4
	v_lshlrev_b32_e32 v6, 20, v28
	v_lshl_add_u32 v5, v5, 23, 0x3c000000
	v_mov_b32_e32 v74, v29
	v_and_b32_e32 v4, 0x80000000, v4
	v_or3_b32 v75, v6, v4, v5
.LBB216_736:                            ;   in Loop: Header=BB216_13 Depth=1
	s_or_b32 exec_lo, exec_lo, s26
.LBB216_737:                            ;   in Loop: Header=BB216_13 Depth=1
	s_or_b32 exec_lo, exec_lo, s25
.LBB216_738:                            ;   in Loop: Header=BB216_13 Depth=1
	s_or_b32 exec_lo, exec_lo, s24
	buffer_load_dword v4, off, s[0:3], s32 offset:204 ; 4-byte Folded Reload
	v_mov_b32_e32 v60, 0
	v_mov_b32_e32 v45, 0
	;; [unrolled: 1-line block ×4, first 2 shown]
	s_waitcnt vmcnt(0)
	v_add_co_u32 v4, s6, v2, v4
	v_add_co_ci_u32_e64 v5, null, 0, v3, s6
	flat_load_ushort v5, v[4:5]
	s_waitcnt vmcnt(0) lgkmcnt(0)
	v_and_b32_e32 v4, 0xffff, v5
	v_cmp_ne_u16_sdwa s6, v5, v29 src0_sel:BYTE_0 src1_sel:DWORD
	s_and_saveexec_b32 s24, s6
	s_cbranch_execz .LBB216_746
; %bb.739:                              ;   in Loop: Header=BB216_13 Depth=1
	v_bfrev_b32_e32 v45, 1
	v_mov_b32_e32 v46, 0
	v_cmp_ne_u16_sdwa s6, v4, v64 src0_sel:BYTE_0 src1_sel:DWORD
	s_and_saveexec_b32 s25, s6
	s_cbranch_execz .LBB216_745
; %bb.740:                              ;   in Loop: Header=BB216_13 Depth=1
	v_mov_b32_e32 v45, 0x7f800001
	v_and_b32_e32 v6, 0x7f, v4
	v_mov_b32_e32 v46, 0
	s_mov_b32 s26, exec_lo
	v_cmpx_ne_u32_e32 0x7f, v6
	s_cbranch_execz .LBB216_744
; %bb.741:                              ;   in Loop: Header=BB216_13 Depth=1
	v_and_b32_e32 v28, 7, v4
	v_lshrrev_b32_e32 v5, 3, v6
	s_mov_b32 s27, exec_lo
	v_cmpx_gt_u32_e32 8, v6
; %bb.742:                              ;   in Loop: Header=BB216_13 Depth=1
	v_ffbh_u32_e32 v5, v28
	v_min_u32_e32 v5, 32, v5
	v_subrev_nc_u32_e32 v6, 28, v5
	v_sub_nc_u32_e32 v5, 29, v5
	v_lshlrev_b64 v[6:7], v6, v[28:29]
	v_and_b32_e32 v28, 7, v6
; %bb.743:                              ;   in Loop: Header=BB216_13 Depth=1
	s_or_b32 exec_lo, exec_lo, s27
	v_lshlrev_b32_e32 v6, 24, v4
	v_lshlrev_b32_e32 v7, 20, v28
	v_lshl_add_u32 v5, v5, 23, 0x3c000000
	v_and_b32_e32 v6, 0x80000000, v6
	v_or3_b32 v28, v7, v6, v5
	v_mov_b32_e32 v46, v29
	v_mov_b32_e32 v45, v28
.LBB216_744:                            ;   in Loop: Header=BB216_13 Depth=1
	s_or_b32 exec_lo, exec_lo, s26
.LBB216_745:                            ;   in Loop: Header=BB216_13 Depth=1
	s_or_b32 exec_lo, exec_lo, s25
.LBB216_746:                            ;   in Loop: Header=BB216_13 Depth=1
	s_or_b32 exec_lo, exec_lo, s24
	v_cmp_ne_u16_sdwa s6, v4, v29 src0_sel:BYTE_1 src1_sel:DWORD
	s_and_saveexec_b32 s24, s6
	s_cbranch_execz .LBB216_754
; %bb.747:                              ;   in Loop: Header=BB216_13 Depth=1
	v_mov_b32_e32 v39, v29
	v_mov_b32_e32 v61, v40
	v_cmp_ne_u16_sdwa s6, v4, v64 src0_sel:BYTE_1 src1_sel:DWORD
	v_mov_b32_e32 v60, v39
	s_and_saveexec_b32 s25, s6
	s_cbranch_execz .LBB216_753
; %bb.748:                              ;   in Loop: Header=BB216_13 Depth=1
	v_mov_b32_e32 v5, 0xffff
	v_mov_b32_e32 v52, v29
	;; [unrolled: 1-line block ×3, first 2 shown]
	s_mov_b32 s26, exec_lo
	v_and_b32_sdwa v5, v5, v4 dst_sel:DWORD dst_unused:UNUSED_PAD src0_sel:DWORD src1_sel:BYTE_1
	v_mov_b32_e32 v60, v52
	v_and_b32_e32 v6, 0x7f, v5
	v_cmpx_ne_u32_e32 0x7f, v6
	s_cbranch_execz .LBB216_752
; %bb.749:                              ;   in Loop: Header=BB216_13 Depth=1
	v_and_b32_e32 v28, 7, v5
	v_lshrrev_b32_e32 v5, 3, v6
	s_mov_b32 s27, exec_lo
	v_cmpx_gt_u32_e32 8, v6
; %bb.750:                              ;   in Loop: Header=BB216_13 Depth=1
	v_ffbh_u32_e32 v5, v28
	v_min_u32_e32 v5, 32, v5
	v_subrev_nc_u32_e32 v6, 28, v5
	v_sub_nc_u32_e32 v5, 29, v5
	v_lshlrev_b64 v[6:7], v6, v[28:29]
	v_and_b32_e32 v28, 7, v6
; %bb.751:                              ;   in Loop: Header=BB216_13 Depth=1
	s_or_b32 exec_lo, exec_lo, s27
	v_lshlrev_b32_e32 v4, 16, v4
	v_lshlrev_b32_e32 v6, 20, v28
	v_lshl_add_u32 v5, v5, 23, 0x3c000000
	v_mov_b32_e32 v60, v29
	v_and_b32_e32 v4, 0x80000000, v4
	v_or3_b32 v61, v6, v4, v5
.LBB216_752:                            ;   in Loop: Header=BB216_13 Depth=1
	s_or_b32 exec_lo, exec_lo, s26
.LBB216_753:                            ;   in Loop: Header=BB216_13 Depth=1
	s_or_b32 exec_lo, exec_lo, s25
.LBB216_754:                            ;   in Loop: Header=BB216_13 Depth=1
	s_or_b32 exec_lo, exec_lo, s24
	buffer_load_dword v4, off, s[0:3], s32 offset:208 ; 4-byte Folded Reload
	v_mov_b32_e32 v72, 0
	v_mov_b32_e32 v62, 0
	;; [unrolled: 1-line block ×4, first 2 shown]
	s_waitcnt vmcnt(0)
	v_add_co_u32 v4, s6, v2, v4
	v_add_co_ci_u32_e64 v5, null, 0, v3, s6
	flat_load_ushort v5, v[4:5]
	s_waitcnt vmcnt(0) lgkmcnt(0)
	v_and_b32_e32 v4, 0xffff, v5
	v_cmp_ne_u16_sdwa s6, v5, v29 src0_sel:BYTE_0 src1_sel:DWORD
	s_and_saveexec_b32 s24, s6
	s_cbranch_execz .LBB216_762
; %bb.755:                              ;   in Loop: Header=BB216_13 Depth=1
	v_bfrev_b32_e32 v62, 1
	v_mov_b32_e32 v63, 0
	v_cmp_ne_u16_sdwa s6, v4, v64 src0_sel:BYTE_0 src1_sel:DWORD
	s_and_saveexec_b32 s25, s6
	s_cbranch_execz .LBB216_761
; %bb.756:                              ;   in Loop: Header=BB216_13 Depth=1
	v_mov_b32_e32 v62, 0x7f800001
	v_and_b32_e32 v6, 0x7f, v4
	v_mov_b32_e32 v63, 0
	s_mov_b32 s26, exec_lo
	v_cmpx_ne_u32_e32 0x7f, v6
	s_cbranch_execz .LBB216_760
; %bb.757:                              ;   in Loop: Header=BB216_13 Depth=1
	v_and_b32_e32 v28, 7, v4
	v_lshrrev_b32_e32 v5, 3, v6
	s_mov_b32 s27, exec_lo
	v_cmpx_gt_u32_e32 8, v6
; %bb.758:                              ;   in Loop: Header=BB216_13 Depth=1
	v_ffbh_u32_e32 v5, v28
	v_min_u32_e32 v5, 32, v5
	v_subrev_nc_u32_e32 v6, 28, v5
	v_sub_nc_u32_e32 v5, 29, v5
	v_lshlrev_b64 v[6:7], v6, v[28:29]
	v_and_b32_e32 v28, 7, v6
; %bb.759:                              ;   in Loop: Header=BB216_13 Depth=1
	s_or_b32 exec_lo, exec_lo, s27
	v_lshlrev_b32_e32 v6, 24, v4
	v_lshlrev_b32_e32 v7, 20, v28
	v_lshl_add_u32 v5, v5, 23, 0x3c000000
	v_and_b32_e32 v6, 0x80000000, v6
	v_or3_b32 v28, v7, v6, v5
	v_mov_b32_e32 v63, v29
	v_mov_b32_e32 v62, v28
.LBB216_760:                            ;   in Loop: Header=BB216_13 Depth=1
	s_or_b32 exec_lo, exec_lo, s26
.LBB216_761:                            ;   in Loop: Header=BB216_13 Depth=1
	s_or_b32 exec_lo, exec_lo, s25
.LBB216_762:                            ;   in Loop: Header=BB216_13 Depth=1
	s_or_b32 exec_lo, exec_lo, s24
	v_cmp_ne_u16_sdwa s6, v4, v29 src0_sel:BYTE_1 src1_sel:DWORD
	s_and_saveexec_b32 s24, s6
	s_cbranch_execz .LBB216_770
; %bb.763:                              ;   in Loop: Header=BB216_13 Depth=1
	v_mov_b32_e32 v39, v29
	v_mov_b32_e32 v73, v40
	v_cmp_ne_u16_sdwa s6, v4, v64 src0_sel:BYTE_1 src1_sel:DWORD
	v_mov_b32_e32 v72, v39
	s_and_saveexec_b32 s25, s6
	s_cbranch_execz .LBB216_769
; %bb.764:                              ;   in Loop: Header=BB216_13 Depth=1
	v_mov_b32_e32 v5, 0xffff
	v_mov_b32_e32 v52, v29
	;; [unrolled: 1-line block ×3, first 2 shown]
	s_mov_b32 s26, exec_lo
	v_and_b32_sdwa v5, v5, v4 dst_sel:DWORD dst_unused:UNUSED_PAD src0_sel:DWORD src1_sel:BYTE_1
	v_mov_b32_e32 v72, v52
	v_and_b32_e32 v6, 0x7f, v5
	v_cmpx_ne_u32_e32 0x7f, v6
	s_cbranch_execz .LBB216_768
; %bb.765:                              ;   in Loop: Header=BB216_13 Depth=1
	v_and_b32_e32 v28, 7, v5
	v_lshrrev_b32_e32 v5, 3, v6
	s_mov_b32 s27, exec_lo
	v_cmpx_gt_u32_e32 8, v6
; %bb.766:                              ;   in Loop: Header=BB216_13 Depth=1
	v_ffbh_u32_e32 v5, v28
	v_min_u32_e32 v5, 32, v5
	v_subrev_nc_u32_e32 v6, 28, v5
	v_sub_nc_u32_e32 v5, 29, v5
	v_lshlrev_b64 v[6:7], v6, v[28:29]
	v_and_b32_e32 v28, 7, v6
; %bb.767:                              ;   in Loop: Header=BB216_13 Depth=1
	s_or_b32 exec_lo, exec_lo, s27
	v_lshlrev_b32_e32 v4, 16, v4
	v_lshlrev_b32_e32 v6, 20, v28
	v_lshl_add_u32 v5, v5, 23, 0x3c000000
	v_mov_b32_e32 v72, v29
	v_and_b32_e32 v4, 0x80000000, v4
	v_or3_b32 v73, v6, v4, v5
.LBB216_768:                            ;   in Loop: Header=BB216_13 Depth=1
	s_or_b32 exec_lo, exec_lo, s26
.LBB216_769:                            ;   in Loop: Header=BB216_13 Depth=1
	s_or_b32 exec_lo, exec_lo, s25
.LBB216_770:                            ;   in Loop: Header=BB216_13 Depth=1
	s_or_b32 exec_lo, exec_lo, s24
	buffer_load_dword v4, off, s[0:3], s32 offset:212 ; 4-byte Folded Reload
	v_mov_b32_e32 v120, 0
	v_mov_b32_e32 v90, 0
	;; [unrolled: 1-line block ×4, first 2 shown]
	s_waitcnt vmcnt(0)
	v_add_co_u32 v2, s6, v2, v4
	v_add_co_ci_u32_e64 v3, null, 0, v3, s6
	flat_load_ushort v3, v[2:3]
	s_waitcnt vmcnt(0) lgkmcnt(0)
	v_and_b32_e32 v2, 0xffff, v3
	v_cmp_ne_u16_sdwa s6, v3, v29 src0_sel:BYTE_0 src1_sel:DWORD
	s_and_saveexec_b32 s24, s6
	s_cbranch_execz .LBB216_778
; %bb.771:                              ;   in Loop: Header=BB216_13 Depth=1
	v_bfrev_b32_e32 v90, 1
	v_mov_b32_e32 v91, 0
	v_cmp_ne_u16_sdwa s6, v2, v64 src0_sel:BYTE_0 src1_sel:DWORD
	s_and_saveexec_b32 s25, s6
	s_cbranch_execz .LBB216_777
; %bb.772:                              ;   in Loop: Header=BB216_13 Depth=1
	v_mov_b32_e32 v90, 0x7f800001
	v_and_b32_e32 v4, 0x7f, v2
	v_mov_b32_e32 v91, 0
	s_mov_b32 s26, exec_lo
	v_cmpx_ne_u32_e32 0x7f, v4
	s_cbranch_execz .LBB216_776
; %bb.773:                              ;   in Loop: Header=BB216_13 Depth=1
	v_and_b32_e32 v28, 7, v2
	v_lshrrev_b32_e32 v3, 3, v4
	s_mov_b32 s27, exec_lo
	v_cmpx_gt_u32_e32 8, v4
; %bb.774:                              ;   in Loop: Header=BB216_13 Depth=1
	v_ffbh_u32_e32 v3, v28
	v_min_u32_e32 v3, 32, v3
	v_subrev_nc_u32_e32 v4, 28, v3
	v_sub_nc_u32_e32 v3, 29, v3
	v_lshlrev_b64 v[4:5], v4, v[28:29]
	v_and_b32_e32 v28, 7, v4
; %bb.775:                              ;   in Loop: Header=BB216_13 Depth=1
	s_or_b32 exec_lo, exec_lo, s27
	v_lshlrev_b32_e32 v4, 24, v2
	v_lshlrev_b32_e32 v5, 20, v28
	v_lshl_add_u32 v3, v3, 23, 0x3c000000
	v_and_b32_e32 v4, 0x80000000, v4
	v_or3_b32 v28, v5, v4, v3
	v_mov_b32_e32 v91, v29
	v_mov_b32_e32 v90, v28
.LBB216_776:                            ;   in Loop: Header=BB216_13 Depth=1
	s_or_b32 exec_lo, exec_lo, s26
.LBB216_777:                            ;   in Loop: Header=BB216_13 Depth=1
	s_or_b32 exec_lo, exec_lo, s25
.LBB216_778:                            ;   in Loop: Header=BB216_13 Depth=1
	s_or_b32 exec_lo, exec_lo, s24
	v_cmp_ne_u16_sdwa s6, v2, v29 src0_sel:BYTE_1 src1_sel:DWORD
	s_and_saveexec_b32 s24, s6
	s_cbranch_execz .LBB216_786
; %bb.779:                              ;   in Loop: Header=BB216_13 Depth=1
	v_mov_b32_e32 v39, v29
	v_mov_b32_e32 v121, v40
	v_cmp_ne_u16_sdwa s6, v2, v64 src0_sel:BYTE_1 src1_sel:DWORD
	v_mov_b32_e32 v120, v39
	s_and_saveexec_b32 s25, s6
	s_cbranch_execz .LBB216_785
; %bb.780:                              ;   in Loop: Header=BB216_13 Depth=1
	v_mov_b32_e32 v3, 0xffff
	v_mov_b32_e32 v52, v29
	;; [unrolled: 1-line block ×3, first 2 shown]
	s_mov_b32 s26, exec_lo
	v_and_b32_sdwa v3, v3, v2 dst_sel:DWORD dst_unused:UNUSED_PAD src0_sel:DWORD src1_sel:BYTE_1
	v_mov_b32_e32 v120, v52
	v_and_b32_e32 v4, 0x7f, v3
	v_cmpx_ne_u32_e32 0x7f, v4
	s_cbranch_execz .LBB216_784
; %bb.781:                              ;   in Loop: Header=BB216_13 Depth=1
	v_and_b32_e32 v28, 7, v3
	v_lshrrev_b32_e32 v3, 3, v4
	s_mov_b32 s27, exec_lo
	v_cmpx_gt_u32_e32 8, v4
; %bb.782:                              ;   in Loop: Header=BB216_13 Depth=1
	v_ffbh_u32_e32 v3, v28
	v_min_u32_e32 v3, 32, v3
	v_subrev_nc_u32_e32 v4, 28, v3
	v_sub_nc_u32_e32 v3, 29, v3
	v_lshlrev_b64 v[4:5], v4, v[28:29]
	v_and_b32_e32 v28, 7, v4
; %bb.783:                              ;   in Loop: Header=BB216_13 Depth=1
	s_or_b32 exec_lo, exec_lo, s27
	v_lshlrev_b32_e32 v2, 16, v2
	v_lshlrev_b32_e32 v4, 20, v28
	v_lshl_add_u32 v3, v3, 23, 0x3c000000
	v_mov_b32_e32 v120, v29
	v_and_b32_e32 v2, 0x80000000, v2
	v_or3_b32 v121, v4, v2, v3
.LBB216_784:                            ;   in Loop: Header=BB216_13 Depth=1
	s_or_b32 exec_lo, exec_lo, s26
.LBB216_785:                            ;   in Loop: Header=BB216_13 Depth=1
	s_or_b32 exec_lo, exec_lo, s25
.LBB216_786:                            ;   in Loop: Header=BB216_13 Depth=1
	s_or_b32 exec_lo, exec_lo, s24
	buffer_load_dword v4, off, s[0:3], s32 offset:200 ; 4-byte Folded Reload
	v_add_co_u32 v2, s6, 0xc00, v94
	v_add_co_ci_u32_e64 v3, null, 0, v95, s6
	v_mov_b32_e32 v76, 0
	v_mov_b32_e32 v78, 0
	;; [unrolled: 1-line block ×4, first 2 shown]
	s_waitcnt vmcnt(0)
	v_add_co_u32 v4, s6, v2, v4
	v_add_co_ci_u32_e64 v5, null, 0, v3, s6
	flat_load_ushort v5, v[4:5]
	s_waitcnt vmcnt(0) lgkmcnt(0)
	v_and_b32_e32 v4, 0xffff, v5
	v_cmp_ne_u16_sdwa s6, v5, v29 src0_sel:BYTE_0 src1_sel:DWORD
	s_and_saveexec_b32 s24, s6
	s_cbranch_execz .LBB216_794
; %bb.787:                              ;   in Loop: Header=BB216_13 Depth=1
	v_bfrev_b32_e32 v78, 1
	v_mov_b32_e32 v79, 0
	v_cmp_ne_u16_sdwa s6, v4, v64 src0_sel:BYTE_0 src1_sel:DWORD
	s_and_saveexec_b32 s25, s6
	s_cbranch_execz .LBB216_793
; %bb.788:                              ;   in Loop: Header=BB216_13 Depth=1
	v_mov_b32_e32 v78, 0x7f800001
	v_and_b32_e32 v6, 0x7f, v4
	v_mov_b32_e32 v79, 0
	s_mov_b32 s26, exec_lo
	v_cmpx_ne_u32_e32 0x7f, v6
	s_cbranch_execz .LBB216_792
; %bb.789:                              ;   in Loop: Header=BB216_13 Depth=1
	v_and_b32_e32 v28, 7, v4
	v_lshrrev_b32_e32 v5, 3, v6
	s_mov_b32 s27, exec_lo
	v_cmpx_gt_u32_e32 8, v6
; %bb.790:                              ;   in Loop: Header=BB216_13 Depth=1
	v_ffbh_u32_e32 v5, v28
	v_min_u32_e32 v5, 32, v5
	v_subrev_nc_u32_e32 v6, 28, v5
	v_sub_nc_u32_e32 v5, 29, v5
	v_lshlrev_b64 v[6:7], v6, v[28:29]
	v_and_b32_e32 v28, 7, v6
; %bb.791:                              ;   in Loop: Header=BB216_13 Depth=1
	s_or_b32 exec_lo, exec_lo, s27
	v_lshlrev_b32_e32 v6, 24, v4
	v_lshlrev_b32_e32 v7, 20, v28
	v_lshl_add_u32 v5, v5, 23, 0x3c000000
	v_and_b32_e32 v6, 0x80000000, v6
	v_or3_b32 v28, v7, v6, v5
	v_mov_b32_e32 v79, v29
	v_mov_b32_e32 v78, v28
.LBB216_792:                            ;   in Loop: Header=BB216_13 Depth=1
	s_or_b32 exec_lo, exec_lo, s26
.LBB216_793:                            ;   in Loop: Header=BB216_13 Depth=1
	s_or_b32 exec_lo, exec_lo, s25
.LBB216_794:                            ;   in Loop: Header=BB216_13 Depth=1
	s_or_b32 exec_lo, exec_lo, s24
	v_cmp_ne_u16_sdwa s6, v4, v29 src0_sel:BYTE_1 src1_sel:DWORD
	s_and_saveexec_b32 s24, s6
	s_cbranch_execz .LBB216_802
; %bb.795:                              ;   in Loop: Header=BB216_13 Depth=1
	v_mov_b32_e32 v39, v29
	v_mov_b32_e32 v77, v40
	v_cmp_ne_u16_sdwa s6, v4, v64 src0_sel:BYTE_1 src1_sel:DWORD
	v_mov_b32_e32 v76, v39
	s_and_saveexec_b32 s25, s6
	s_cbranch_execz .LBB216_801
; %bb.796:                              ;   in Loop: Header=BB216_13 Depth=1
	v_mov_b32_e32 v5, 0xffff
	v_mov_b32_e32 v52, v29
	;; [unrolled: 1-line block ×3, first 2 shown]
	s_mov_b32 s26, exec_lo
	v_and_b32_sdwa v5, v5, v4 dst_sel:DWORD dst_unused:UNUSED_PAD src0_sel:DWORD src1_sel:BYTE_1
	v_mov_b32_e32 v76, v52
	v_and_b32_e32 v6, 0x7f, v5
	v_cmpx_ne_u32_e32 0x7f, v6
	s_cbranch_execz .LBB216_800
; %bb.797:                              ;   in Loop: Header=BB216_13 Depth=1
	v_and_b32_e32 v28, 7, v5
	v_lshrrev_b32_e32 v5, 3, v6
	s_mov_b32 s27, exec_lo
	v_cmpx_gt_u32_e32 8, v6
; %bb.798:                              ;   in Loop: Header=BB216_13 Depth=1
	v_ffbh_u32_e32 v5, v28
	v_min_u32_e32 v5, 32, v5
	v_subrev_nc_u32_e32 v6, 28, v5
	v_sub_nc_u32_e32 v5, 29, v5
	v_lshlrev_b64 v[6:7], v6, v[28:29]
	v_and_b32_e32 v28, 7, v6
; %bb.799:                              ;   in Loop: Header=BB216_13 Depth=1
	s_or_b32 exec_lo, exec_lo, s27
	v_lshlrev_b32_e32 v4, 16, v4
	v_lshlrev_b32_e32 v6, 20, v28
	v_lshl_add_u32 v5, v5, 23, 0x3c000000
	v_mov_b32_e32 v76, v29
	v_and_b32_e32 v4, 0x80000000, v4
	v_or3_b32 v77, v6, v4, v5
.LBB216_800:                            ;   in Loop: Header=BB216_13 Depth=1
	s_or_b32 exec_lo, exec_lo, s26
.LBB216_801:                            ;   in Loop: Header=BB216_13 Depth=1
	s_or_b32 exec_lo, exec_lo, s25
.LBB216_802:                            ;   in Loop: Header=BB216_13 Depth=1
	s_or_b32 exec_lo, exec_lo, s24
	buffer_load_dword v4, off, s[0:3], s32 offset:204 ; 4-byte Folded Reload
	v_mov_b32_e32 v108, 0
	v_mov_b32_e32 v104, 0
	;; [unrolled: 1-line block ×4, first 2 shown]
	s_waitcnt vmcnt(0)
	v_add_co_u32 v4, s6, v2, v4
	v_add_co_ci_u32_e64 v5, null, 0, v3, s6
	flat_load_ushort v5, v[4:5]
	s_waitcnt vmcnt(0) lgkmcnt(0)
	v_and_b32_e32 v4, 0xffff, v5
	v_cmp_ne_u16_sdwa s6, v5, v29 src0_sel:BYTE_0 src1_sel:DWORD
	s_and_saveexec_b32 s24, s6
	s_cbranch_execz .LBB216_810
; %bb.803:                              ;   in Loop: Header=BB216_13 Depth=1
	v_bfrev_b32_e32 v104, 1
	v_mov_b32_e32 v105, 0
	v_cmp_ne_u16_sdwa s6, v4, v64 src0_sel:BYTE_0 src1_sel:DWORD
	s_and_saveexec_b32 s25, s6
	s_cbranch_execz .LBB216_809
; %bb.804:                              ;   in Loop: Header=BB216_13 Depth=1
	v_mov_b32_e32 v104, 0x7f800001
	v_and_b32_e32 v6, 0x7f, v4
	v_mov_b32_e32 v105, 0
	s_mov_b32 s26, exec_lo
	v_cmpx_ne_u32_e32 0x7f, v6
	s_cbranch_execz .LBB216_808
; %bb.805:                              ;   in Loop: Header=BB216_13 Depth=1
	v_and_b32_e32 v28, 7, v4
	v_lshrrev_b32_e32 v5, 3, v6
	s_mov_b32 s27, exec_lo
	v_cmpx_gt_u32_e32 8, v6
; %bb.806:                              ;   in Loop: Header=BB216_13 Depth=1
	v_ffbh_u32_e32 v5, v28
	v_min_u32_e32 v5, 32, v5
	v_subrev_nc_u32_e32 v6, 28, v5
	v_sub_nc_u32_e32 v5, 29, v5
	v_lshlrev_b64 v[6:7], v6, v[28:29]
	v_and_b32_e32 v28, 7, v6
; %bb.807:                              ;   in Loop: Header=BB216_13 Depth=1
	s_or_b32 exec_lo, exec_lo, s27
	v_lshlrev_b32_e32 v6, 24, v4
	v_lshlrev_b32_e32 v7, 20, v28
	v_lshl_add_u32 v5, v5, 23, 0x3c000000
	v_and_b32_e32 v6, 0x80000000, v6
	v_or3_b32 v28, v7, v6, v5
	v_mov_b32_e32 v105, v29
	v_mov_b32_e32 v104, v28
.LBB216_808:                            ;   in Loop: Header=BB216_13 Depth=1
	s_or_b32 exec_lo, exec_lo, s26
.LBB216_809:                            ;   in Loop: Header=BB216_13 Depth=1
	s_or_b32 exec_lo, exec_lo, s25
.LBB216_810:                            ;   in Loop: Header=BB216_13 Depth=1
	s_or_b32 exec_lo, exec_lo, s24
	v_cmp_ne_u16_sdwa s6, v4, v29 src0_sel:BYTE_1 src1_sel:DWORD
	s_and_saveexec_b32 s24, s6
	s_cbranch_execz .LBB216_818
; %bb.811:                              ;   in Loop: Header=BB216_13 Depth=1
	v_mov_b32_e32 v39, v29
	v_mov_b32_e32 v109, v40
	v_cmp_ne_u16_sdwa s6, v4, v64 src0_sel:BYTE_1 src1_sel:DWORD
	v_mov_b32_e32 v108, v39
	s_and_saveexec_b32 s25, s6
	s_cbranch_execz .LBB216_817
; %bb.812:                              ;   in Loop: Header=BB216_13 Depth=1
	v_mov_b32_e32 v5, 0xffff
	v_mov_b32_e32 v52, v29
	;; [unrolled: 1-line block ×3, first 2 shown]
	s_mov_b32 s26, exec_lo
	v_and_b32_sdwa v5, v5, v4 dst_sel:DWORD dst_unused:UNUSED_PAD src0_sel:DWORD src1_sel:BYTE_1
	v_mov_b32_e32 v108, v52
	v_and_b32_e32 v6, 0x7f, v5
	v_cmpx_ne_u32_e32 0x7f, v6
	s_cbranch_execz .LBB216_816
; %bb.813:                              ;   in Loop: Header=BB216_13 Depth=1
	v_and_b32_e32 v28, 7, v5
	v_lshrrev_b32_e32 v5, 3, v6
	s_mov_b32 s27, exec_lo
	v_cmpx_gt_u32_e32 8, v6
; %bb.814:                              ;   in Loop: Header=BB216_13 Depth=1
	v_ffbh_u32_e32 v5, v28
	v_min_u32_e32 v5, 32, v5
	v_subrev_nc_u32_e32 v6, 28, v5
	v_sub_nc_u32_e32 v5, 29, v5
	v_lshlrev_b64 v[6:7], v6, v[28:29]
	v_and_b32_e32 v28, 7, v6
; %bb.815:                              ;   in Loop: Header=BB216_13 Depth=1
	s_or_b32 exec_lo, exec_lo, s27
	v_lshlrev_b32_e32 v4, 16, v4
	v_lshlrev_b32_e32 v6, 20, v28
	v_lshl_add_u32 v5, v5, 23, 0x3c000000
	v_mov_b32_e32 v108, v29
	v_and_b32_e32 v4, 0x80000000, v4
	v_or3_b32 v109, v6, v4, v5
.LBB216_816:                            ;   in Loop: Header=BB216_13 Depth=1
	s_or_b32 exec_lo, exec_lo, s26
.LBB216_817:                            ;   in Loop: Header=BB216_13 Depth=1
	s_or_b32 exec_lo, exec_lo, s25
.LBB216_818:                            ;   in Loop: Header=BB216_13 Depth=1
	s_or_b32 exec_lo, exec_lo, s24
	buffer_load_dword v4, off, s[0:3], s32 offset:208 ; 4-byte Folded Reload
	v_mov_b32_e32 v88, 0
	v_mov_b32_e32 v124, 0
	;; [unrolled: 1-line block ×4, first 2 shown]
	s_waitcnt vmcnt(0)
	v_add_co_u32 v4, s6, v2, v4
	v_add_co_ci_u32_e64 v5, null, 0, v3, s6
	flat_load_ushort v5, v[4:5]
	s_waitcnt vmcnt(0) lgkmcnt(0)
	v_and_b32_e32 v4, 0xffff, v5
	v_cmp_ne_u16_sdwa s6, v5, v29 src0_sel:BYTE_0 src1_sel:DWORD
	s_and_saveexec_b32 s24, s6
	s_cbranch_execz .LBB216_826
; %bb.819:                              ;   in Loop: Header=BB216_13 Depth=1
	v_bfrev_b32_e32 v124, 1
	v_mov_b32_e32 v125, 0
	v_cmp_ne_u16_sdwa s6, v4, v64 src0_sel:BYTE_0 src1_sel:DWORD
	s_and_saveexec_b32 s25, s6
	s_cbranch_execz .LBB216_825
; %bb.820:                              ;   in Loop: Header=BB216_13 Depth=1
	v_mov_b32_e32 v124, 0x7f800001
	v_and_b32_e32 v6, 0x7f, v4
	v_mov_b32_e32 v125, 0
	s_mov_b32 s26, exec_lo
	v_cmpx_ne_u32_e32 0x7f, v6
	s_cbranch_execz .LBB216_824
; %bb.821:                              ;   in Loop: Header=BB216_13 Depth=1
	v_and_b32_e32 v28, 7, v4
	v_lshrrev_b32_e32 v5, 3, v6
	s_mov_b32 s27, exec_lo
	v_cmpx_gt_u32_e32 8, v6
; %bb.822:                              ;   in Loop: Header=BB216_13 Depth=1
	v_ffbh_u32_e32 v5, v28
	v_min_u32_e32 v5, 32, v5
	v_subrev_nc_u32_e32 v6, 28, v5
	v_sub_nc_u32_e32 v5, 29, v5
	v_lshlrev_b64 v[6:7], v6, v[28:29]
	v_and_b32_e32 v28, 7, v6
; %bb.823:                              ;   in Loop: Header=BB216_13 Depth=1
	s_or_b32 exec_lo, exec_lo, s27
	v_lshlrev_b32_e32 v6, 24, v4
	v_lshlrev_b32_e32 v7, 20, v28
	v_lshl_add_u32 v5, v5, 23, 0x3c000000
	v_and_b32_e32 v6, 0x80000000, v6
	v_or3_b32 v28, v7, v6, v5
	v_mov_b32_e32 v125, v29
	v_mov_b32_e32 v124, v28
.LBB216_824:                            ;   in Loop: Header=BB216_13 Depth=1
	s_or_b32 exec_lo, exec_lo, s26
.LBB216_825:                            ;   in Loop: Header=BB216_13 Depth=1
	s_or_b32 exec_lo, exec_lo, s25
.LBB216_826:                            ;   in Loop: Header=BB216_13 Depth=1
	s_or_b32 exec_lo, exec_lo, s24
	v_cmp_ne_u16_sdwa s6, v4, v29 src0_sel:BYTE_1 src1_sel:DWORD
	s_and_saveexec_b32 s24, s6
	s_cbranch_execz .LBB216_834
; %bb.827:                              ;   in Loop: Header=BB216_13 Depth=1
	v_mov_b32_e32 v39, v29
	v_mov_b32_e32 v89, v40
	v_cmp_ne_u16_sdwa s6, v4, v64 src0_sel:BYTE_1 src1_sel:DWORD
	v_mov_b32_e32 v88, v39
	s_and_saveexec_b32 s25, s6
	s_cbranch_execz .LBB216_833
; %bb.828:                              ;   in Loop: Header=BB216_13 Depth=1
	v_mov_b32_e32 v5, 0xffff
	v_mov_b32_e32 v52, v29
	;; [unrolled: 1-line block ×3, first 2 shown]
	s_mov_b32 s26, exec_lo
	v_and_b32_sdwa v5, v5, v4 dst_sel:DWORD dst_unused:UNUSED_PAD src0_sel:DWORD src1_sel:BYTE_1
	v_mov_b32_e32 v88, v52
	v_and_b32_e32 v6, 0x7f, v5
	v_cmpx_ne_u32_e32 0x7f, v6
	s_cbranch_execz .LBB216_832
; %bb.829:                              ;   in Loop: Header=BB216_13 Depth=1
	v_and_b32_e32 v28, 7, v5
	v_lshrrev_b32_e32 v5, 3, v6
	s_mov_b32 s27, exec_lo
	v_cmpx_gt_u32_e32 8, v6
; %bb.830:                              ;   in Loop: Header=BB216_13 Depth=1
	v_ffbh_u32_e32 v5, v28
	v_min_u32_e32 v5, 32, v5
	v_subrev_nc_u32_e32 v6, 28, v5
	v_sub_nc_u32_e32 v5, 29, v5
	v_lshlrev_b64 v[6:7], v6, v[28:29]
	v_and_b32_e32 v28, 7, v6
; %bb.831:                              ;   in Loop: Header=BB216_13 Depth=1
	s_or_b32 exec_lo, exec_lo, s27
	v_lshlrev_b32_e32 v4, 16, v4
	v_lshlrev_b32_e32 v6, 20, v28
	v_lshl_add_u32 v5, v5, 23, 0x3c000000
	v_mov_b32_e32 v88, v29
	v_and_b32_e32 v4, 0x80000000, v4
	v_or3_b32 v89, v6, v4, v5
.LBB216_832:                            ;   in Loop: Header=BB216_13 Depth=1
	s_or_b32 exec_lo, exec_lo, s26
.LBB216_833:                            ;   in Loop: Header=BB216_13 Depth=1
	s_or_b32 exec_lo, exec_lo, s25
.LBB216_834:                            ;   in Loop: Header=BB216_13 Depth=1
	s_or_b32 exec_lo, exec_lo, s24
	buffer_load_dword v4, off, s[0:3], s32 offset:212 ; 4-byte Folded Reload
	v_mov_b32_e32 v126, 0
	v_mov_b32_e32 v127, 0
	s_waitcnt vmcnt(0)
	v_add_co_u32 v2, s6, v2, v4
	v_add_co_ci_u32_e64 v3, null, 0, v3, s6
	flat_load_ushort v2, v[2:3]
	s_waitcnt vmcnt(0) lgkmcnt(0)
	v_and_b32_e32 v4, 0xffff, v2
	v_cmp_ne_u16_sdwa s6, v2, v29 src0_sel:BYTE_0 src1_sel:DWORD
	v_mov_b32_e32 v2, 0
	v_mov_b32_e32 v3, 0
	s_and_saveexec_b32 s24, s6
	s_cbranch_execz .LBB216_842
; %bb.835:                              ;   in Loop: Header=BB216_13 Depth=1
	v_bfrev_b32_e32 v2, 1
	v_mov_b32_e32 v3, 0
	v_cmp_ne_u16_sdwa s6, v4, v64 src0_sel:BYTE_0 src1_sel:DWORD
	s_and_saveexec_b32 s25, s6
	s_cbranch_execz .LBB216_841
; %bb.836:                              ;   in Loop: Header=BB216_13 Depth=1
	v_mov_b32_e32 v2, 0x7f800001
	v_and_b32_e32 v5, 0x7f, v4
	v_mov_b32_e32 v3, 0
	s_mov_b32 s26, exec_lo
	v_cmpx_ne_u32_e32 0x7f, v5
	s_cbranch_execz .LBB216_840
; %bb.837:                              ;   in Loop: Header=BB216_13 Depth=1
	v_and_b32_e32 v28, 7, v4
	v_lshrrev_b32_e32 v2, 3, v5
	s_mov_b32 s27, exec_lo
	v_cmpx_gt_u32_e32 8, v5
; %bb.838:                              ;   in Loop: Header=BB216_13 Depth=1
	v_ffbh_u32_e32 v2, v28
	v_min_u32_e32 v2, 32, v2
	v_subrev_nc_u32_e32 v3, 28, v2
	v_sub_nc_u32_e32 v2, 29, v2
	v_lshlrev_b64 v[5:6], v3, v[28:29]
	v_and_b32_e32 v28, 7, v5
; %bb.839:                              ;   in Loop: Header=BB216_13 Depth=1
	s_or_b32 exec_lo, exec_lo, s27
	v_lshlrev_b32_e32 v3, 24, v4
	v_lshlrev_b32_e32 v5, 20, v28
	v_lshl_add_u32 v2, v2, 23, 0x3c000000
	v_and_b32_e32 v3, 0x80000000, v3
	v_or3_b32 v28, v5, v3, v2
	v_mov_b32_e32 v2, v28
	v_mov_b32_e32 v3, v29
.LBB216_840:                            ;   in Loop: Header=BB216_13 Depth=1
	s_or_b32 exec_lo, exec_lo, s26
.LBB216_841:                            ;   in Loop: Header=BB216_13 Depth=1
	s_or_b32 exec_lo, exec_lo, s25
.LBB216_842:                            ;   in Loop: Header=BB216_13 Depth=1
	s_or_b32 exec_lo, exec_lo, s24
	v_cmp_ne_u16_sdwa s6, v4, v29 src0_sel:BYTE_1 src1_sel:DWORD
	s_and_saveexec_b32 s24, s6
	s_cbranch_execz .LBB216_850
; %bb.843:                              ;   in Loop: Header=BB216_13 Depth=1
	v_mov_b32_e32 v39, v29
	v_mov_b32_e32 v127, v40
	v_cmp_ne_u16_sdwa s6, v4, v64 src0_sel:BYTE_1 src1_sel:DWORD
	v_mov_b32_e32 v126, v39
	s_and_saveexec_b32 s25, s6
	s_cbranch_execz .LBB216_849
; %bb.844:                              ;   in Loop: Header=BB216_13 Depth=1
	v_mov_b32_e32 v5, 0xffff
	v_mov_b32_e32 v52, v29
	;; [unrolled: 1-line block ×3, first 2 shown]
	s_mov_b32 s26, exec_lo
	v_and_b32_sdwa v5, v5, v4 dst_sel:DWORD dst_unused:UNUSED_PAD src0_sel:DWORD src1_sel:BYTE_1
	v_mov_b32_e32 v126, v52
	v_and_b32_e32 v6, 0x7f, v5
	v_cmpx_ne_u32_e32 0x7f, v6
	s_cbranch_execz .LBB216_848
; %bb.845:                              ;   in Loop: Header=BB216_13 Depth=1
	v_and_b32_e32 v28, 7, v5
	v_lshrrev_b32_e32 v5, 3, v6
	s_mov_b32 s27, exec_lo
	v_cmpx_gt_u32_e32 8, v6
; %bb.846:                              ;   in Loop: Header=BB216_13 Depth=1
	v_ffbh_u32_e32 v5, v28
	v_min_u32_e32 v5, 32, v5
	v_subrev_nc_u32_e32 v6, 28, v5
	v_sub_nc_u32_e32 v5, 29, v5
	v_lshlrev_b64 v[6:7], v6, v[28:29]
	v_and_b32_e32 v28, 7, v6
; %bb.847:                              ;   in Loop: Header=BB216_13 Depth=1
	s_or_b32 exec_lo, exec_lo, s27
	v_lshlrev_b32_e32 v4, 16, v4
	v_lshlrev_b32_e32 v6, 20, v28
	v_lshl_add_u32 v5, v5, 23, 0x3c000000
	v_mov_b32_e32 v126, v29
	v_and_b32_e32 v4, 0x80000000, v4
	v_or3_b32 v127, v6, v4, v5
.LBB216_848:                            ;   in Loop: Header=BB216_13 Depth=1
	s_or_b32 exec_lo, exec_lo, s26
.LBB216_849:                            ;   in Loop: Header=BB216_13 Depth=1
	s_or_b32 exec_lo, exec_lo, s25
.LBB216_850:                            ;   in Loop: Header=BB216_13 Depth=1
	s_or_b32 exec_lo, exec_lo, s24
	buffer_load_dword v4, off, s[0:3], s32 offset:200 ; 4-byte Folded Reload
	v_add_co_u32 v6, s6, 0xd00, v94
	v_add_co_ci_u32_e64 v7, null, 0, v95, s6
	v_mov_b32_e32 v92, 0
	v_mov_b32_e32 v114, 0
	;; [unrolled: 1-line block ×4, first 2 shown]
	s_waitcnt vmcnt(0)
	v_add_co_u32 v4, s6, v6, v4
	v_add_co_ci_u32_e64 v5, null, 0, v7, s6
	flat_load_ushort v5, v[4:5]
	s_waitcnt vmcnt(0) lgkmcnt(0)
	v_and_b32_e32 v4, 0xffff, v5
	v_cmp_ne_u16_sdwa s6, v5, v29 src0_sel:BYTE_0 src1_sel:DWORD
	s_and_saveexec_b32 s24, s6
	s_cbranch_execz .LBB216_858
; %bb.851:                              ;   in Loop: Header=BB216_13 Depth=1
	v_bfrev_b32_e32 v114, 1
	v_mov_b32_e32 v115, 0
	v_cmp_ne_u16_sdwa s6, v4, v64 src0_sel:BYTE_0 src1_sel:DWORD
	s_and_saveexec_b32 s25, s6
	s_cbranch_execz .LBB216_857
; %bb.852:                              ;   in Loop: Header=BB216_13 Depth=1
	v_mov_b32_e32 v114, 0x7f800001
	v_and_b32_e32 v8, 0x7f, v4
	v_mov_b32_e32 v115, 0
	s_mov_b32 s26, exec_lo
	v_cmpx_ne_u32_e32 0x7f, v8
	s_cbranch_execz .LBB216_856
; %bb.853:                              ;   in Loop: Header=BB216_13 Depth=1
	v_and_b32_e32 v28, 7, v4
	v_lshrrev_b32_e32 v5, 3, v8
	s_mov_b32 s27, exec_lo
	v_cmpx_gt_u32_e32 8, v8
; %bb.854:                              ;   in Loop: Header=BB216_13 Depth=1
	v_ffbh_u32_e32 v5, v28
	v_min_u32_e32 v5, 32, v5
	v_subrev_nc_u32_e32 v8, 28, v5
	v_sub_nc_u32_e32 v5, 29, v5
	v_lshlrev_b64 v[8:9], v8, v[28:29]
	v_and_b32_e32 v28, 7, v8
; %bb.855:                              ;   in Loop: Header=BB216_13 Depth=1
	s_or_b32 exec_lo, exec_lo, s27
	v_lshlrev_b32_e32 v8, 24, v4
	v_lshlrev_b32_e32 v9, 20, v28
	v_lshl_add_u32 v5, v5, 23, 0x3c000000
	v_and_b32_e32 v8, 0x80000000, v8
	v_or3_b32 v28, v9, v8, v5
	v_mov_b32_e32 v115, v29
	v_mov_b32_e32 v114, v28
.LBB216_856:                            ;   in Loop: Header=BB216_13 Depth=1
	s_or_b32 exec_lo, exec_lo, s26
.LBB216_857:                            ;   in Loop: Header=BB216_13 Depth=1
	s_or_b32 exec_lo, exec_lo, s25
.LBB216_858:                            ;   in Loop: Header=BB216_13 Depth=1
	s_or_b32 exec_lo, exec_lo, s24
	v_cmp_ne_u16_sdwa s6, v4, v29 src0_sel:BYTE_1 src1_sel:DWORD
	s_and_saveexec_b32 s24, s6
	s_cbranch_execz .LBB216_866
; %bb.859:                              ;   in Loop: Header=BB216_13 Depth=1
	v_mov_b32_e32 v39, v29
	v_mov_b32_e32 v93, v40
	v_cmp_ne_u16_sdwa s6, v4, v64 src0_sel:BYTE_1 src1_sel:DWORD
	v_mov_b32_e32 v92, v39
	s_and_saveexec_b32 s25, s6
	s_cbranch_execz .LBB216_865
; %bb.860:                              ;   in Loop: Header=BB216_13 Depth=1
	v_mov_b32_e32 v5, 0xffff
	v_mov_b32_e32 v52, v29
	;; [unrolled: 1-line block ×3, first 2 shown]
	s_mov_b32 s26, exec_lo
	v_and_b32_sdwa v5, v5, v4 dst_sel:DWORD dst_unused:UNUSED_PAD src0_sel:DWORD src1_sel:BYTE_1
	v_mov_b32_e32 v92, v52
	v_and_b32_e32 v8, 0x7f, v5
	v_cmpx_ne_u32_e32 0x7f, v8
	s_cbranch_execz .LBB216_864
; %bb.861:                              ;   in Loop: Header=BB216_13 Depth=1
	v_and_b32_e32 v28, 7, v5
	v_lshrrev_b32_e32 v5, 3, v8
	s_mov_b32 s27, exec_lo
	v_cmpx_gt_u32_e32 8, v8
; %bb.862:                              ;   in Loop: Header=BB216_13 Depth=1
	v_ffbh_u32_e32 v5, v28
	v_min_u32_e32 v5, 32, v5
	v_subrev_nc_u32_e32 v8, 28, v5
	v_sub_nc_u32_e32 v5, 29, v5
	v_lshlrev_b64 v[8:9], v8, v[28:29]
	v_and_b32_e32 v28, 7, v8
; %bb.863:                              ;   in Loop: Header=BB216_13 Depth=1
	s_or_b32 exec_lo, exec_lo, s27
	v_lshlrev_b32_e32 v4, 16, v4
	v_lshlrev_b32_e32 v8, 20, v28
	v_lshl_add_u32 v5, v5, 23, 0x3c000000
	v_mov_b32_e32 v92, v29
	v_and_b32_e32 v4, 0x80000000, v4
	v_or3_b32 v93, v8, v4, v5
.LBB216_864:                            ;   in Loop: Header=BB216_13 Depth=1
	s_or_b32 exec_lo, exec_lo, s26
.LBB216_865:                            ;   in Loop: Header=BB216_13 Depth=1
	s_or_b32 exec_lo, exec_lo, s25
.LBB216_866:                            ;   in Loop: Header=BB216_13 Depth=1
	s_or_b32 exec_lo, exec_lo, s24
	buffer_load_dword v4, off, s[0:3], s32 offset:204 ; 4-byte Folded Reload
	v_mov_b32_e32 v106, 0
	v_mov_b32_e32 v10, 0
	;; [unrolled: 1-line block ×4, first 2 shown]
	s_waitcnt vmcnt(0)
	v_add_co_u32 v4, s6, v6, v4
	v_add_co_ci_u32_e64 v5, null, 0, v7, s6
	flat_load_ushort v5, v[4:5]
	s_waitcnt vmcnt(0) lgkmcnt(0)
	v_and_b32_e32 v4, 0xffff, v5
	v_cmp_ne_u16_sdwa s6, v5, v29 src0_sel:BYTE_0 src1_sel:DWORD
	s_and_saveexec_b32 s24, s6
	s_cbranch_execz .LBB216_874
; %bb.867:                              ;   in Loop: Header=BB216_13 Depth=1
	v_bfrev_b32_e32 v10, 1
	v_mov_b32_e32 v11, 0
	v_cmp_ne_u16_sdwa s6, v4, v64 src0_sel:BYTE_0 src1_sel:DWORD
	s_and_saveexec_b32 s25, s6
	s_cbranch_execz .LBB216_873
; %bb.868:                              ;   in Loop: Header=BB216_13 Depth=1
	v_mov_b32_e32 v10, 0x7f800001
	v_and_b32_e32 v8, 0x7f, v4
	v_mov_b32_e32 v11, 0
	s_mov_b32 s26, exec_lo
	v_cmpx_ne_u32_e32 0x7f, v8
	s_cbranch_execz .LBB216_872
; %bb.869:                              ;   in Loop: Header=BB216_13 Depth=1
	v_and_b32_e32 v28, 7, v4
	v_lshrrev_b32_e32 v5, 3, v8
	s_mov_b32 s27, exec_lo
	v_cmpx_gt_u32_e32 8, v8
; %bb.870:                              ;   in Loop: Header=BB216_13 Depth=1
	v_ffbh_u32_e32 v5, v28
	v_min_u32_e32 v5, 32, v5
	v_subrev_nc_u32_e32 v8, 28, v5
	v_sub_nc_u32_e32 v5, 29, v5
	v_lshlrev_b64 v[8:9], v8, v[28:29]
	v_and_b32_e32 v28, 7, v8
; %bb.871:                              ;   in Loop: Header=BB216_13 Depth=1
	s_or_b32 exec_lo, exec_lo, s27
	v_lshlrev_b32_e32 v8, 24, v4
	v_lshlrev_b32_e32 v9, 20, v28
	v_lshl_add_u32 v5, v5, 23, 0x3c000000
	v_and_b32_e32 v8, 0x80000000, v8
	v_or3_b32 v28, v9, v8, v5
	v_mov_b32_e32 v10, v28
	v_mov_b32_e32 v11, v29
.LBB216_872:                            ;   in Loop: Header=BB216_13 Depth=1
	s_or_b32 exec_lo, exec_lo, s26
.LBB216_873:                            ;   in Loop: Header=BB216_13 Depth=1
	s_or_b32 exec_lo, exec_lo, s25
.LBB216_874:                            ;   in Loop: Header=BB216_13 Depth=1
	s_or_b32 exec_lo, exec_lo, s24
	v_cmp_ne_u16_sdwa s6, v4, v29 src0_sel:BYTE_1 src1_sel:DWORD
	s_and_saveexec_b32 s24, s6
	s_cbranch_execz .LBB216_882
; %bb.875:                              ;   in Loop: Header=BB216_13 Depth=1
	v_mov_b32_e32 v39, v29
	v_mov_b32_e32 v107, v40
	v_cmp_ne_u16_sdwa s6, v4, v64 src0_sel:BYTE_1 src1_sel:DWORD
	v_mov_b32_e32 v106, v39
	s_and_saveexec_b32 s25, s6
	s_cbranch_execz .LBB216_881
; %bb.876:                              ;   in Loop: Header=BB216_13 Depth=1
	v_mov_b32_e32 v5, 0xffff
	v_mov_b32_e32 v52, v29
	;; [unrolled: 1-line block ×3, first 2 shown]
	s_mov_b32 s26, exec_lo
	v_and_b32_sdwa v5, v5, v4 dst_sel:DWORD dst_unused:UNUSED_PAD src0_sel:DWORD src1_sel:BYTE_1
	v_mov_b32_e32 v106, v52
	v_and_b32_e32 v8, 0x7f, v5
	v_cmpx_ne_u32_e32 0x7f, v8
	s_cbranch_execz .LBB216_880
; %bb.877:                              ;   in Loop: Header=BB216_13 Depth=1
	v_and_b32_e32 v28, 7, v5
	v_lshrrev_b32_e32 v5, 3, v8
	s_mov_b32 s27, exec_lo
	v_cmpx_gt_u32_e32 8, v8
; %bb.878:                              ;   in Loop: Header=BB216_13 Depth=1
	v_ffbh_u32_e32 v5, v28
	v_min_u32_e32 v5, 32, v5
	v_subrev_nc_u32_e32 v8, 28, v5
	v_sub_nc_u32_e32 v5, 29, v5
	v_lshlrev_b64 v[8:9], v8, v[28:29]
	v_and_b32_e32 v28, 7, v8
; %bb.879:                              ;   in Loop: Header=BB216_13 Depth=1
	s_or_b32 exec_lo, exec_lo, s27
	v_lshlrev_b32_e32 v4, 16, v4
	v_lshlrev_b32_e32 v8, 20, v28
	v_lshl_add_u32 v5, v5, 23, 0x3c000000
	v_mov_b32_e32 v106, v29
	v_and_b32_e32 v4, 0x80000000, v4
	v_or3_b32 v107, v8, v4, v5
.LBB216_880:                            ;   in Loop: Header=BB216_13 Depth=1
	s_or_b32 exec_lo, exec_lo, s26
.LBB216_881:                            ;   in Loop: Header=BB216_13 Depth=1
	s_or_b32 exec_lo, exec_lo, s25
.LBB216_882:                            ;   in Loop: Header=BB216_13 Depth=1
	s_or_b32 exec_lo, exec_lo, s24
	buffer_load_dword v4, off, s[0:3], s32 offset:208 ; 4-byte Folded Reload
	v_mov_b32_e32 v110, 0
	v_mov_b32_e32 v111, 0
	s_waitcnt vmcnt(0)
	v_add_co_u32 v4, s6, v6, v4
	v_add_co_ci_u32_e64 v5, null, 0, v7, s6
	flat_load_ushort v4, v[4:5]
	s_waitcnt vmcnt(0) lgkmcnt(0)
	v_and_b32_e32 v8, 0xffff, v4
	v_cmp_ne_u16_sdwa s6, v4, v29 src0_sel:BYTE_0 src1_sel:DWORD
	v_mov_b32_e32 v4, 0
	v_mov_b32_e32 v5, 0
	s_and_saveexec_b32 s24, s6
	s_cbranch_execz .LBB216_890
; %bb.883:                              ;   in Loop: Header=BB216_13 Depth=1
	v_bfrev_b32_e32 v110, 1
	v_mov_b32_e32 v111, 0
	v_cmp_ne_u16_sdwa s6, v8, v64 src0_sel:BYTE_0 src1_sel:DWORD
	s_and_saveexec_b32 s25, s6
	s_cbranch_execz .LBB216_889
; %bb.884:                              ;   in Loop: Header=BB216_13 Depth=1
	v_mov_b32_e32 v110, 0x7f800001
	v_and_b32_e32 v16, 0x7f, v8
	v_mov_b32_e32 v111, 0
	s_mov_b32 s26, exec_lo
	v_cmpx_ne_u32_e32 0x7f, v16
	s_cbranch_execz .LBB216_888
; %bb.885:                              ;   in Loop: Header=BB216_13 Depth=1
	v_and_b32_e32 v28, 7, v8
	v_lshrrev_b32_e32 v9, 3, v16
	s_mov_b32 s27, exec_lo
	v_cmpx_gt_u32_e32 8, v16
; %bb.886:                              ;   in Loop: Header=BB216_13 Depth=1
	v_ffbh_u32_e32 v9, v28
	v_min_u32_e32 v9, 32, v9
	v_subrev_nc_u32_e32 v16, 28, v9
	v_sub_nc_u32_e32 v9, 29, v9
	v_lshlrev_b64 v[16:17], v16, v[28:29]
	v_and_b32_e32 v28, 7, v16
; %bb.887:                              ;   in Loop: Header=BB216_13 Depth=1
	s_or_b32 exec_lo, exec_lo, s27
	v_lshlrev_b32_e32 v16, 24, v8
	v_lshlrev_b32_e32 v17, 20, v28
	v_lshl_add_u32 v9, v9, 23, 0x3c000000
	v_and_b32_e32 v16, 0x80000000, v16
	v_or3_b32 v28, v17, v16, v9
	v_mov_b32_e32 v111, v29
	v_mov_b32_e32 v110, v28
.LBB216_888:                            ;   in Loop: Header=BB216_13 Depth=1
	s_or_b32 exec_lo, exec_lo, s26
.LBB216_889:                            ;   in Loop: Header=BB216_13 Depth=1
	s_or_b32 exec_lo, exec_lo, s25
.LBB216_890:                            ;   in Loop: Header=BB216_13 Depth=1
	s_or_b32 exec_lo, exec_lo, s24
	v_cmp_ne_u16_sdwa s6, v8, v29 src0_sel:BYTE_1 src1_sel:DWORD
	s_and_saveexec_b32 s24, s6
	s_cbranch_execz .LBB216_898
; %bb.891:                              ;   in Loop: Header=BB216_13 Depth=1
	v_mov_b32_e32 v39, v29
	v_cmp_ne_u16_sdwa s6, v8, v64 src0_sel:BYTE_1 src1_sel:DWORD
	v_mov_b32_e32 v4, v39
	v_mov_b32_e32 v5, v40
	s_and_saveexec_b32 s25, s6
	s_cbranch_execz .LBB216_897
; %bb.892:                              ;   in Loop: Header=BB216_13 Depth=1
	v_mov_b32_e32 v4, 0xffff
	v_mov_b32_e32 v52, v29
	s_mov_b32 s26, exec_lo
	v_and_b32_sdwa v16, v4, v8 dst_sel:DWORD dst_unused:UNUSED_PAD src0_sel:DWORD src1_sel:BYTE_1
	v_mov_b32_e32 v4, v52
	v_mov_b32_e32 v5, v53
	v_and_b32_e32 v9, 0x7f, v16
	v_cmpx_ne_u32_e32 0x7f, v9
	s_cbranch_execz .LBB216_896
; %bb.893:                              ;   in Loop: Header=BB216_13 Depth=1
	v_and_b32_e32 v28, 7, v16
	v_lshrrev_b32_e32 v4, 3, v9
	s_mov_b32 s27, exec_lo
	v_cmpx_gt_u32_e32 8, v9
; %bb.894:                              ;   in Loop: Header=BB216_13 Depth=1
	v_ffbh_u32_e32 v4, v28
	v_min_u32_e32 v4, 32, v4
	v_subrev_nc_u32_e32 v5, 28, v4
	v_sub_nc_u32_e32 v4, 29, v4
	v_lshlrev_b64 v[16:17], v5, v[28:29]
	v_and_b32_e32 v28, 7, v16
; %bb.895:                              ;   in Loop: Header=BB216_13 Depth=1
	s_or_b32 exec_lo, exec_lo, s27
	v_lshlrev_b32_e32 v5, 16, v8
	v_lshlrev_b32_e32 v8, 20, v28
	v_lshl_add_u32 v4, v4, 23, 0x3c000000
	v_and_b32_e32 v5, 0x80000000, v5
	v_or3_b32 v5, v8, v5, v4
	v_mov_b32_e32 v4, v29
.LBB216_896:                            ;   in Loop: Header=BB216_13 Depth=1
	s_or_b32 exec_lo, exec_lo, s26
.LBB216_897:                            ;   in Loop: Header=BB216_13 Depth=1
	s_or_b32 exec_lo, exec_lo, s25
.LBB216_898:                            ;   in Loop: Header=BB216_13 Depth=1
	s_or_b32 exec_lo, exec_lo, s24
	buffer_load_dword v8, off, s[0:3], s32 offset:212 ; 4-byte Folded Reload
	v_mov_b32_e32 v116, 0
	v_mov_b32_e32 v117, 0
	s_waitcnt vmcnt(0)
	v_add_co_u32 v6, s6, v6, v8
	v_add_co_ci_u32_e64 v7, null, 0, v7, s6
	v_mov_b32_e32 v8, 0
	v_mov_b32_e32 v9, 0
	flat_load_ushort v7, v[6:7]
	s_waitcnt vmcnt(0) lgkmcnt(0)
	v_and_b32_e32 v6, 0xffff, v7
	v_cmp_ne_u16_sdwa s6, v7, v29 src0_sel:BYTE_0 src1_sel:DWORD
	s_and_saveexec_b32 s24, s6
	s_cbranch_execz .LBB216_906
; %bb.899:                              ;   in Loop: Header=BB216_13 Depth=1
	v_bfrev_b32_e32 v8, 1
	v_mov_b32_e32 v9, 0
	v_cmp_ne_u16_sdwa s6, v6, v64 src0_sel:BYTE_0 src1_sel:DWORD
	s_and_saveexec_b32 s25, s6
	s_cbranch_execz .LBB216_905
; %bb.900:                              ;   in Loop: Header=BB216_13 Depth=1
	v_mov_b32_e32 v8, 0x7f800001
	v_and_b32_e32 v16, 0x7f, v6
	v_mov_b32_e32 v9, 0
	s_mov_b32 s26, exec_lo
	v_cmpx_ne_u32_e32 0x7f, v16
	s_cbranch_execz .LBB216_904
; %bb.901:                              ;   in Loop: Header=BB216_13 Depth=1
	v_and_b32_e32 v28, 7, v6
	v_lshrrev_b32_e32 v7, 3, v16
	s_mov_b32 s27, exec_lo
	v_cmpx_gt_u32_e32 8, v16
; %bb.902:                              ;   in Loop: Header=BB216_13 Depth=1
	v_ffbh_u32_e32 v7, v28
	v_min_u32_e32 v7, 32, v7
	v_subrev_nc_u32_e32 v8, 28, v7
	v_sub_nc_u32_e32 v7, 29, v7
	v_lshlrev_b64 v[8:9], v8, v[28:29]
	v_and_b32_e32 v28, 7, v8
; %bb.903:                              ;   in Loop: Header=BB216_13 Depth=1
	s_or_b32 exec_lo, exec_lo, s27
	v_lshlrev_b32_e32 v8, 24, v6
	v_lshlrev_b32_e32 v9, 20, v28
	v_lshl_add_u32 v7, v7, 23, 0x3c000000
	v_and_b32_e32 v8, 0x80000000, v8
	v_or3_b32 v28, v9, v8, v7
	v_mov_b32_e32 v8, v28
	v_mov_b32_e32 v9, v29
.LBB216_904:                            ;   in Loop: Header=BB216_13 Depth=1
	s_or_b32 exec_lo, exec_lo, s26
.LBB216_905:                            ;   in Loop: Header=BB216_13 Depth=1
	s_or_b32 exec_lo, exec_lo, s25
.LBB216_906:                            ;   in Loop: Header=BB216_13 Depth=1
	s_or_b32 exec_lo, exec_lo, s24
	v_cmp_ne_u16_sdwa s6, v6, v29 src0_sel:BYTE_1 src1_sel:DWORD
	s_and_saveexec_b32 s24, s6
	s_cbranch_execz .LBB216_914
; %bb.907:                              ;   in Loop: Header=BB216_13 Depth=1
	v_mov_b32_e32 v39, v29
	v_mov_b32_e32 v117, v40
	v_cmp_ne_u16_sdwa s6, v6, v64 src0_sel:BYTE_1 src1_sel:DWORD
	v_mov_b32_e32 v116, v39
	s_and_saveexec_b32 s25, s6
	s_cbranch_execz .LBB216_913
; %bb.908:                              ;   in Loop: Header=BB216_13 Depth=1
	v_mov_b32_e32 v7, 0xffff
	v_mov_b32_e32 v52, v29
	;; [unrolled: 1-line block ×3, first 2 shown]
	s_mov_b32 s26, exec_lo
	v_and_b32_sdwa v7, v7, v6 dst_sel:DWORD dst_unused:UNUSED_PAD src0_sel:DWORD src1_sel:BYTE_1
	v_mov_b32_e32 v116, v52
	v_and_b32_e32 v16, 0x7f, v7
	v_cmpx_ne_u32_e32 0x7f, v16
	s_cbranch_execz .LBB216_912
; %bb.909:                              ;   in Loop: Header=BB216_13 Depth=1
	v_and_b32_e32 v28, 7, v7
	v_lshrrev_b32_e32 v7, 3, v16
	s_mov_b32 s27, exec_lo
	v_cmpx_gt_u32_e32 8, v16
; %bb.910:                              ;   in Loop: Header=BB216_13 Depth=1
	v_ffbh_u32_e32 v7, v28
	v_min_u32_e32 v7, 32, v7
	v_subrev_nc_u32_e32 v16, 28, v7
	v_sub_nc_u32_e32 v7, 29, v7
	v_lshlrev_b64 v[16:17], v16, v[28:29]
	v_and_b32_e32 v28, 7, v16
; %bb.911:                              ;   in Loop: Header=BB216_13 Depth=1
	s_or_b32 exec_lo, exec_lo, s27
	v_lshlrev_b32_e32 v6, 16, v6
	v_lshlrev_b32_e32 v16, 20, v28
	v_lshl_add_u32 v7, v7, 23, 0x3c000000
	v_mov_b32_e32 v116, v29
	v_and_b32_e32 v6, 0x80000000, v6
	v_or3_b32 v117, v16, v6, v7
.LBB216_912:                            ;   in Loop: Header=BB216_13 Depth=1
	s_or_b32 exec_lo, exec_lo, s26
.LBB216_913:                            ;   in Loop: Header=BB216_13 Depth=1
	s_or_b32 exec_lo, exec_lo, s25
.LBB216_914:                            ;   in Loop: Header=BB216_13 Depth=1
	s_or_b32 exec_lo, exec_lo, s24
	buffer_load_dword v6, off, s[0:3], s32 offset:200 ; 4-byte Folded Reload
	v_add_co_u32 v31, s6, 0xe00, v94
	v_add_co_ci_u32_e64 v32, null, 0, v95, s6
	v_mov_b32_e32 v122, 0
	v_mov_b32_e32 v123, 0
	s_waitcnt vmcnt(0)
	v_add_co_u32 v6, s6, v31, v6
	v_add_co_ci_u32_e64 v7, null, 0, v32, s6
	flat_load_ushort v6, v[6:7]
	s_waitcnt vmcnt(0) lgkmcnt(0)
	v_and_b32_e32 v16, 0xffff, v6
	v_cmp_ne_u16_sdwa s6, v6, v29 src0_sel:BYTE_0 src1_sel:DWORD
	v_mov_b32_e32 v6, 0
	v_mov_b32_e32 v7, 0
	s_and_saveexec_b32 s24, s6
	s_cbranch_execz .LBB216_922
; %bb.915:                              ;   in Loop: Header=BB216_13 Depth=1
	v_bfrev_b32_e32 v6, 1
	v_mov_b32_e32 v7, 0
	v_cmp_ne_u16_sdwa s6, v16, v64 src0_sel:BYTE_0 src1_sel:DWORD
	s_and_saveexec_b32 s25, s6
	s_cbranch_execz .LBB216_921
; %bb.916:                              ;   in Loop: Header=BB216_13 Depth=1
	v_mov_b32_e32 v6, 0x7f800001
	v_and_b32_e32 v17, 0x7f, v16
	v_mov_b32_e32 v7, 0
	s_mov_b32 s26, exec_lo
	v_cmpx_ne_u32_e32 0x7f, v17
	s_cbranch_execz .LBB216_920
; %bb.917:                              ;   in Loop: Header=BB216_13 Depth=1
	v_and_b32_e32 v28, 7, v16
	v_lshrrev_b32_e32 v6, 3, v17
	s_mov_b32 s27, exec_lo
	v_cmpx_gt_u32_e32 8, v17
; %bb.918:                              ;   in Loop: Header=BB216_13 Depth=1
	v_ffbh_u32_e32 v6, v28
	v_min_u32_e32 v6, 32, v6
	v_subrev_nc_u32_e32 v7, 28, v6
	v_sub_nc_u32_e32 v6, 29, v6
	v_lshlrev_b64 v[17:18], v7, v[28:29]
	v_and_b32_e32 v28, 7, v17
; %bb.919:                              ;   in Loop: Header=BB216_13 Depth=1
	s_or_b32 exec_lo, exec_lo, s27
	v_lshlrev_b32_e32 v7, 24, v16
	v_lshlrev_b32_e32 v17, 20, v28
	v_lshl_add_u32 v6, v6, 23, 0x3c000000
	v_and_b32_e32 v7, 0x80000000, v7
	v_or3_b32 v28, v17, v7, v6
	v_mov_b32_e32 v6, v28
	v_mov_b32_e32 v7, v29
.LBB216_920:                            ;   in Loop: Header=BB216_13 Depth=1
	s_or_b32 exec_lo, exec_lo, s26
.LBB216_921:                            ;   in Loop: Header=BB216_13 Depth=1
	s_or_b32 exec_lo, exec_lo, s25
.LBB216_922:                            ;   in Loop: Header=BB216_13 Depth=1
	s_or_b32 exec_lo, exec_lo, s24
	v_cmp_ne_u16_sdwa s6, v16, v29 src0_sel:BYTE_1 src1_sel:DWORD
	s_and_saveexec_b32 s24, s6
	s_cbranch_execz .LBB216_930
; %bb.923:                              ;   in Loop: Header=BB216_13 Depth=1
	v_mov_b32_e32 v39, v29
	v_mov_b32_e32 v123, v40
	v_cmp_ne_u16_sdwa s6, v16, v64 src0_sel:BYTE_1 src1_sel:DWORD
	v_mov_b32_e32 v122, v39
	s_and_saveexec_b32 s25, s6
	s_cbranch_execz .LBB216_929
; %bb.924:                              ;   in Loop: Header=BB216_13 Depth=1
	v_mov_b32_e32 v12, 0xffff
	v_mov_b32_e32 v52, v29
	;; [unrolled: 1-line block ×3, first 2 shown]
	s_mov_b32 s26, exec_lo
	v_and_b32_sdwa v17, v12, v16 dst_sel:DWORD dst_unused:UNUSED_PAD src0_sel:DWORD src1_sel:BYTE_1
	v_mov_b32_e32 v122, v52
	v_and_b32_e32 v18, 0x7f, v17
	v_cmpx_ne_u32_e32 0x7f, v18
	s_cbranch_execz .LBB216_928
; %bb.925:                              ;   in Loop: Header=BB216_13 Depth=1
	v_and_b32_e32 v28, 7, v17
	v_lshrrev_b32_e32 v17, 3, v18
	s_mov_b32 s27, exec_lo
	v_cmpx_gt_u32_e32 8, v18
; %bb.926:                              ;   in Loop: Header=BB216_13 Depth=1
	v_ffbh_u32_e32 v17, v28
	v_min_u32_e32 v17, 32, v17
	v_subrev_nc_u32_e32 v18, 28, v17
	v_sub_nc_u32_e32 v17, 29, v17
	v_lshlrev_b64 v[18:19], v18, v[28:29]
	v_and_b32_e32 v28, 7, v18
; %bb.927:                              ;   in Loop: Header=BB216_13 Depth=1
	s_or_b32 exec_lo, exec_lo, s27
	v_lshlrev_b32_e32 v16, 16, v16
	v_lshlrev_b32_e32 v18, 20, v28
	v_lshl_add_u32 v17, v17, 23, 0x3c000000
	v_mov_b32_e32 v122, v29
	v_and_b32_e32 v16, 0x80000000, v16
	v_or3_b32 v123, v18, v16, v17
.LBB216_928:                            ;   in Loop: Header=BB216_13 Depth=1
	s_or_b32 exec_lo, exec_lo, s26
.LBB216_929:                            ;   in Loop: Header=BB216_13 Depth=1
	s_or_b32 exec_lo, exec_lo, s25
.LBB216_930:                            ;   in Loop: Header=BB216_13 Depth=1
	s_or_b32 exec_lo, exec_lo, s24
	buffer_load_dword v12, off, s[0:3], s32 offset:204 ; 4-byte Folded Reload
	v_mov_b32_e32 v33, 0
	v_mov_b32_e32 v34, 0
	s_waitcnt vmcnt(0)
	v_add_co_u32 v16, s6, v31, v12
	v_add_co_ci_u32_e64 v17, null, 0, v32, s6
	flat_load_ushort v16, v[16:17]
	s_waitcnt vmcnt(0) lgkmcnt(0)
	v_and_b32_e32 v18, 0xffff, v16
	v_cmp_ne_u16_sdwa s6, v16, v29 src0_sel:BYTE_0 src1_sel:DWORD
	v_mov_b32_e32 v16, 0
	v_mov_b32_e32 v17, 0
	s_and_saveexec_b32 s24, s6
	s_cbranch_execz .LBB216_938
; %bb.931:                              ;   in Loop: Header=BB216_13 Depth=1
	v_bfrev_b32_e32 v33, 1
	v_mov_b32_e32 v34, 0
	v_cmp_ne_u16_sdwa s6, v18, v64 src0_sel:BYTE_0 src1_sel:DWORD
	s_and_saveexec_b32 s25, s6
	s_cbranch_execz .LBB216_937
; %bb.932:                              ;   in Loop: Header=BB216_13 Depth=1
	v_mov_b32_e32 v33, 0x7f800001
	v_and_b32_e32 v25, 0x7f, v18
	v_mov_b32_e32 v34, 0
	s_mov_b32 s26, exec_lo
	v_cmpx_ne_u32_e32 0x7f, v25
	s_cbranch_execz .LBB216_936
; %bb.933:                              ;   in Loop: Header=BB216_13 Depth=1
	v_and_b32_e32 v28, 7, v18
	v_lshrrev_b32_e32 v19, 3, v25
	s_mov_b32 s27, exec_lo
	v_cmpx_gt_u32_e32 8, v25
; %bb.934:                              ;   in Loop: Header=BB216_13 Depth=1
	v_ffbh_u32_e32 v19, v28
	v_min_u32_e32 v19, 32, v19
	v_subrev_nc_u32_e32 v25, 28, v19
	v_sub_nc_u32_e32 v19, 29, v19
	v_lshlrev_b64 v[25:26], v25, v[28:29]
	v_and_b32_e32 v28, 7, v25
; %bb.935:                              ;   in Loop: Header=BB216_13 Depth=1
	s_or_b32 exec_lo, exec_lo, s27
	v_lshlrev_b32_e32 v25, 24, v18
	v_lshlrev_b32_e32 v26, 20, v28
	v_lshl_add_u32 v19, v19, 23, 0x3c000000
	v_and_b32_e32 v25, 0x80000000, v25
	v_or3_b32 v28, v26, v25, v19
	v_mov_b32_e32 v34, v29
	v_mov_b32_e32 v33, v28
.LBB216_936:                            ;   in Loop: Header=BB216_13 Depth=1
	s_or_b32 exec_lo, exec_lo, s26
.LBB216_937:                            ;   in Loop: Header=BB216_13 Depth=1
	s_or_b32 exec_lo, exec_lo, s25
.LBB216_938:                            ;   in Loop: Header=BB216_13 Depth=1
	s_or_b32 exec_lo, exec_lo, s24
	v_cmp_ne_u16_sdwa s6, v18, v29 src0_sel:BYTE_1 src1_sel:DWORD
	s_and_saveexec_b32 s24, s6
	s_cbranch_execz .LBB216_946
; %bb.939:                              ;   in Loop: Header=BB216_13 Depth=1
	v_mov_b32_e32 v39, v29
	v_cmp_ne_u16_sdwa s6, v18, v64 src0_sel:BYTE_1 src1_sel:DWORD
	v_mov_b32_e32 v16, v39
	v_mov_b32_e32 v17, v40
	s_and_saveexec_b32 s25, s6
	s_cbranch_execz .LBB216_945
; %bb.940:                              ;   in Loop: Header=BB216_13 Depth=1
	v_mov_b32_e32 v12, 0xffff
	v_mov_b32_e32 v52, v29
	s_mov_b32 s26, exec_lo
	v_and_b32_sdwa v25, v12, v18 dst_sel:DWORD dst_unused:UNUSED_PAD src0_sel:DWORD src1_sel:BYTE_1
	v_mov_b32_e32 v16, v52
	v_mov_b32_e32 v17, v53
	v_and_b32_e32 v19, 0x7f, v25
	v_cmpx_ne_u32_e32 0x7f, v19
	s_cbranch_execz .LBB216_944
; %bb.941:                              ;   in Loop: Header=BB216_13 Depth=1
	v_and_b32_e32 v28, 7, v25
	v_lshrrev_b32_e32 v16, 3, v19
	s_mov_b32 s27, exec_lo
	v_cmpx_gt_u32_e32 8, v19
; %bb.942:                              ;   in Loop: Header=BB216_13 Depth=1
	v_ffbh_u32_e32 v16, v28
	v_min_u32_e32 v16, 32, v16
	v_subrev_nc_u32_e32 v17, 28, v16
	v_sub_nc_u32_e32 v16, 29, v16
	v_lshlrev_b64 v[25:26], v17, v[28:29]
	v_and_b32_e32 v28, 7, v25
; %bb.943:                              ;   in Loop: Header=BB216_13 Depth=1
	s_or_b32 exec_lo, exec_lo, s27
	v_lshlrev_b32_e32 v17, 16, v18
	v_lshlrev_b32_e32 v18, 20, v28
	v_lshl_add_u32 v16, v16, 23, 0x3c000000
	v_and_b32_e32 v17, 0x80000000, v17
	v_or3_b32 v17, v18, v17, v16
	v_mov_b32_e32 v16, v29
.LBB216_944:                            ;   in Loop: Header=BB216_13 Depth=1
	s_or_b32 exec_lo, exec_lo, s26
.LBB216_945:                            ;   in Loop: Header=BB216_13 Depth=1
	s_or_b32 exec_lo, exec_lo, s25
.LBB216_946:                            ;   in Loop: Header=BB216_13 Depth=1
	s_or_b32 exec_lo, exec_lo, s24
	buffer_load_dword v12, off, s[0:3], s32 offset:208 ; 4-byte Folded Reload
	v_mov_b32_e32 v25, 0
	v_mov_b32_e32 v26, 0
	s_waitcnt vmcnt(0)
	v_add_co_u32 v18, s6, v31, v12
	v_add_co_ci_u32_e64 v19, null, 0, v32, s6
	flat_load_ushort v18, v[18:19]
	s_waitcnt vmcnt(0) lgkmcnt(0)
	v_and_b32_e32 v35, 0xffff, v18
	v_cmp_ne_u16_sdwa s6, v18, v29 src0_sel:BYTE_0 src1_sel:DWORD
	v_mov_b32_e32 v18, 0
	v_mov_b32_e32 v19, 0
	s_and_saveexec_b32 s24, s6
	s_cbranch_execz .LBB216_954
; %bb.947:                              ;   in Loop: Header=BB216_13 Depth=1
	v_bfrev_b32_e32 v18, 1
	v_mov_b32_e32 v19, 0
	v_cmp_ne_u16_sdwa s6, v35, v64 src0_sel:BYTE_0 src1_sel:DWORD
	s_and_saveexec_b32 s25, s6
	s_cbranch_execz .LBB216_953
; %bb.948:                              ;   in Loop: Header=BB216_13 Depth=1
	v_mov_b32_e32 v18, 0x7f800001
	v_and_b32_e32 v36, 0x7f, v35
	v_mov_b32_e32 v19, 0
	s_mov_b32 s26, exec_lo
	v_cmpx_ne_u32_e32 0x7f, v36
	s_cbranch_execz .LBB216_952
; %bb.949:                              ;   in Loop: Header=BB216_13 Depth=1
	v_and_b32_e32 v28, 7, v35
	v_lshrrev_b32_e32 v18, 3, v36
	s_mov_b32 s27, exec_lo
	v_cmpx_gt_u32_e32 8, v36
; %bb.950:                              ;   in Loop: Header=BB216_13 Depth=1
	v_ffbh_u32_e32 v18, v28
	v_min_u32_e32 v18, 32, v18
	v_subrev_nc_u32_e32 v19, 28, v18
	v_sub_nc_u32_e32 v18, 29, v18
	v_lshlrev_b64 v[36:37], v19, v[28:29]
	v_and_b32_e32 v28, 7, v36
; %bb.951:                              ;   in Loop: Header=BB216_13 Depth=1
	s_or_b32 exec_lo, exec_lo, s27
	v_lshlrev_b32_e32 v19, 24, v35
	v_lshlrev_b32_e32 v28, 20, v28
	v_lshl_add_u32 v18, v18, 23, 0x3c000000
	v_and_b32_e32 v19, 0x80000000, v19
	v_or3_b32 v28, v28, v19, v18
	v_mov_b32_e32 v18, v28
	v_mov_b32_e32 v19, v29
.LBB216_952:                            ;   in Loop: Header=BB216_13 Depth=1
	s_or_b32 exec_lo, exec_lo, s26
.LBB216_953:                            ;   in Loop: Header=BB216_13 Depth=1
	s_or_b32 exec_lo, exec_lo, s25
.LBB216_954:                            ;   in Loop: Header=BB216_13 Depth=1
	s_or_b32 exec_lo, exec_lo, s24
	v_cmp_ne_u16_sdwa s6, v35, v29 src0_sel:BYTE_1 src1_sel:DWORD
	s_and_saveexec_b32 s24, s6
	s_cbranch_execz .LBB216_962
; %bb.955:                              ;   in Loop: Header=BB216_13 Depth=1
	v_mov_b32_e32 v39, v29
	v_cmp_ne_u16_sdwa s6, v35, v64 src0_sel:BYTE_1 src1_sel:DWORD
	v_mov_b32_e32 v25, v39
	v_mov_b32_e32 v26, v40
	s_and_saveexec_b32 s25, s6
	s_cbranch_execz .LBB216_961
; %bb.956:                              ;   in Loop: Header=BB216_13 Depth=1
	v_mov_b32_e32 v12, 0xffff
	v_mov_b32_e32 v52, v29
	s_mov_b32 s26, exec_lo
	v_and_b32_sdwa v28, v12, v35 dst_sel:DWORD dst_unused:UNUSED_PAD src0_sel:DWORD src1_sel:BYTE_1
	v_mov_b32_e32 v25, v52
	v_mov_b32_e32 v26, v53
	v_and_b32_e32 v36, 0x7f, v28
	v_cmpx_ne_u32_e32 0x7f, v36
	s_cbranch_execz .LBB216_960
; %bb.957:                              ;   in Loop: Header=BB216_13 Depth=1
	v_and_b32_e32 v28, 7, v28
	v_lshrrev_b32_e32 v25, 3, v36
	s_mov_b32 s27, exec_lo
	v_cmpx_gt_u32_e32 8, v36
; %bb.958:                              ;   in Loop: Header=BB216_13 Depth=1
	v_ffbh_u32_e32 v25, v28
	v_min_u32_e32 v25, 32, v25
	v_subrev_nc_u32_e32 v26, 28, v25
	v_sub_nc_u32_e32 v25, 29, v25
	v_lshlrev_b64 v[36:37], v26, v[28:29]
	v_and_b32_e32 v28, 7, v36
; %bb.959:                              ;   in Loop: Header=BB216_13 Depth=1
	s_or_b32 exec_lo, exec_lo, s27
	v_lshlrev_b32_e32 v26, 16, v35
	v_lshlrev_b32_e32 v28, 20, v28
	v_lshl_add_u32 v25, v25, 23, 0x3c000000
	v_and_b32_e32 v26, 0x80000000, v26
	v_or3_b32 v26, v28, v26, v25
	v_mov_b32_e32 v25, v29
.LBB216_960:                            ;   in Loop: Header=BB216_13 Depth=1
	s_or_b32 exec_lo, exec_lo, s26
.LBB216_961:                            ;   in Loop: Header=BB216_13 Depth=1
	s_or_b32 exec_lo, exec_lo, s25
.LBB216_962:                            ;   in Loop: Header=BB216_13 Depth=1
	s_or_b32 exec_lo, exec_lo, s24
	buffer_load_dword v12, off, s[0:3], s32 offset:212 ; 4-byte Folded Reload
	v_mov_b32_e32 v37, 0
	v_mov_b32_e32 v38, 0
	s_waitcnt vmcnt(0)
	v_add_co_u32 v31, s6, v31, v12
	v_add_co_ci_u32_e64 v32, null, 0, v32, s6
	flat_load_ushort v28, v[31:32]
	v_mov_b32_e32 v31, 0
	v_mov_b32_e32 v32, 0
	s_waitcnt vmcnt(0) lgkmcnt(0)
	v_and_b32_e32 v35, 0xffff, v28
	v_cmp_ne_u16_sdwa s6, v28, v29 src0_sel:BYTE_0 src1_sel:DWORD
	s_and_saveexec_b32 s24, s6
	s_cbranch_execz .LBB216_970
; %bb.963:                              ;   in Loop: Header=BB216_13 Depth=1
	v_bfrev_b32_e32 v37, 1
	v_mov_b32_e32 v38, 0
	v_cmp_ne_u16_sdwa s6, v35, v64 src0_sel:BYTE_0 src1_sel:DWORD
	s_and_saveexec_b32 s25, s6
	s_cbranch_execz .LBB216_969
; %bb.964:                              ;   in Loop: Header=BB216_13 Depth=1
	v_mov_b32_e32 v37, 0x7f800001
	v_and_b32_e32 v39, 0x7f, v35
	v_mov_b32_e32 v38, 0
	s_mov_b32 s26, exec_lo
	v_cmpx_ne_u32_e32 0x7f, v39
	s_cbranch_execz .LBB216_968
; %bb.965:                              ;   in Loop: Header=BB216_13 Depth=1
	v_and_b32_e32 v28, 7, v35
	v_lshrrev_b32_e32 v36, 3, v39
	s_mov_b32 s27, exec_lo
	v_cmpx_gt_u32_e32 8, v39
; %bb.966:                              ;   in Loop: Header=BB216_13 Depth=1
	v_ffbh_u32_e32 v36, v28
	v_min_u32_e32 v36, 32, v36
	v_subrev_nc_u32_e32 v37, 28, v36
	v_sub_nc_u32_e32 v36, 29, v36
	v_lshlrev_b64 v[37:38], v37, v[28:29]
	v_and_b32_e32 v28, 7, v37
; %bb.967:                              ;   in Loop: Header=BB216_13 Depth=1
	s_or_b32 exec_lo, exec_lo, s27
	v_lshlrev_b32_e32 v37, 24, v35
	v_lshlrev_b32_e32 v28, 20, v28
	v_lshl_add_u32 v36, v36, 23, 0x3c000000
	v_and_b32_e32 v37, 0x80000000, v37
	v_or3_b32 v28, v28, v37, v36
	v_mov_b32_e32 v38, v29
	v_mov_b32_e32 v37, v28
.LBB216_968:                            ;   in Loop: Header=BB216_13 Depth=1
	s_or_b32 exec_lo, exec_lo, s26
.LBB216_969:                            ;   in Loop: Header=BB216_13 Depth=1
	s_or_b32 exec_lo, exec_lo, s25
.LBB216_970:                            ;   in Loop: Header=BB216_13 Depth=1
	s_or_b32 exec_lo, exec_lo, s24
	v_cmp_ne_u16_sdwa s6, v35, v29 src0_sel:BYTE_1 src1_sel:DWORD
	s_and_saveexec_b32 s24, s6
	s_cbranch_execz .LBB216_978
; %bb.971:                              ;   in Loop: Header=BB216_13 Depth=1
	v_mov_b32_e32 v39, v29
	v_cmp_ne_u16_sdwa s6, v35, v64 src0_sel:BYTE_1 src1_sel:DWORD
	v_mov_b32_e32 v31, v39
	v_mov_b32_e32 v32, v40
	s_and_saveexec_b32 s25, s6
	s_cbranch_execz .LBB216_977
; %bb.972:                              ;   in Loop: Header=BB216_13 Depth=1
	v_mov_b32_e32 v12, 0xffff
	v_mov_b32_e32 v52, v29
	s_mov_b32 s26, exec_lo
	v_and_b32_sdwa v28, v12, v35 dst_sel:DWORD dst_unused:UNUSED_PAD src0_sel:DWORD src1_sel:BYTE_1
	v_mov_b32_e32 v31, v52
	v_mov_b32_e32 v32, v53
	v_and_b32_e32 v36, 0x7f, v28
	v_cmpx_ne_u32_e32 0x7f, v36
	s_cbranch_execz .LBB216_976
; %bb.973:                              ;   in Loop: Header=BB216_13 Depth=1
	v_and_b32_e32 v28, 7, v28
	v_lshrrev_b32_e32 v31, 3, v36
	s_mov_b32 s27, exec_lo
	v_cmpx_gt_u32_e32 8, v36
; %bb.974:                              ;   in Loop: Header=BB216_13 Depth=1
	v_ffbh_u32_e32 v31, v28
	v_min_u32_e32 v31, 32, v31
	v_subrev_nc_u32_e32 v32, 28, v31
	v_sub_nc_u32_e32 v31, 29, v31
	v_lshlrev_b64 v[48:49], v32, v[28:29]
	v_and_b32_e32 v28, 7, v48
; %bb.975:                              ;   in Loop: Header=BB216_13 Depth=1
	s_or_b32 exec_lo, exec_lo, s27
	v_lshlrev_b32_e32 v32, 16, v35
	v_lshlrev_b32_e32 v28, 20, v28
	v_lshl_add_u32 v31, v31, 23, 0x3c000000
	v_and_b32_e32 v32, 0x80000000, v32
	v_or3_b32 v32, v28, v32, v31
	v_mov_b32_e32 v31, v29
.LBB216_976:                            ;   in Loop: Header=BB216_13 Depth=1
	s_or_b32 exec_lo, exec_lo, s26
.LBB216_977:                            ;   in Loop: Header=BB216_13 Depth=1
	s_or_b32 exec_lo, exec_lo, s25
.LBB216_978:                            ;   in Loop: Header=BB216_13 Depth=1
	s_or_b32 exec_lo, exec_lo, s24
	buffer_load_dword v12, off, s[0:3], s32 offset:200 ; 4-byte Folded Reload
	v_add_co_u32 v35, s6, 0xf00, v94
	v_add_co_ci_u32_e64 v36, null, 0, v95, s6
	v_mov_b32_e32 v112, 0
	v_mov_b32_e32 v94, 0
	;; [unrolled: 1-line block ×4, first 2 shown]
	s_waitcnt vmcnt(0)
	v_add_co_u32 v48, s6, v35, v12
	v_add_co_ci_u32_e64 v49, null, 0, v36, s6
	flat_load_ushort v28, v[48:49]
	s_waitcnt vmcnt(0) lgkmcnt(0)
	v_and_b32_e32 v48, 0xffff, v28
	v_cmp_ne_u16_sdwa s6, v28, v29 src0_sel:BYTE_0 src1_sel:DWORD
	s_and_saveexec_b32 s24, s6
	s_cbranch_execz .LBB216_986
; %bb.979:                              ;   in Loop: Header=BB216_13 Depth=1
	v_bfrev_b32_e32 v94, 1
	v_mov_b32_e32 v95, 0
	v_cmp_ne_u16_sdwa s6, v48, v64 src0_sel:BYTE_0 src1_sel:DWORD
	s_and_saveexec_b32 s25, s6
	s_cbranch_execz .LBB216_985
; %bb.980:                              ;   in Loop: Header=BB216_13 Depth=1
	v_mov_b32_e32 v94, 0x7f800001
	v_and_b32_e32 v49, 0x7f, v48
	v_mov_b32_e32 v95, 0
	s_mov_b32 s26, exec_lo
	v_cmpx_ne_u32_e32 0x7f, v49
	s_cbranch_execz .LBB216_984
; %bb.981:                              ;   in Loop: Header=BB216_13 Depth=1
	v_and_b32_e32 v28, 7, v48
	v_lshrrev_b32_e32 v39, 3, v49
	s_mov_b32 s27, exec_lo
	v_cmpx_gt_u32_e32 8, v49
; %bb.982:                              ;   in Loop: Header=BB216_13 Depth=1
	v_ffbh_u32_e32 v39, v28
	v_min_u32_e32 v39, 32, v39
	v_subrev_nc_u32_e32 v49, 28, v39
	v_sub_nc_u32_e32 v39, 29, v39
	v_lshlrev_b64 v[49:50], v49, v[28:29]
	v_and_b32_e32 v28, 7, v49
; %bb.983:                              ;   in Loop: Header=BB216_13 Depth=1
	s_or_b32 exec_lo, exec_lo, s27
	v_lshlrev_b32_e32 v49, 24, v48
	v_lshlrev_b32_e32 v28, 20, v28
	v_lshl_add_u32 v39, v39, 23, 0x3c000000
	v_and_b32_e32 v49, 0x80000000, v49
	v_or3_b32 v28, v28, v49, v39
	v_mov_b32_e32 v95, v29
	v_mov_b32_e32 v94, v28
.LBB216_984:                            ;   in Loop: Header=BB216_13 Depth=1
	s_or_b32 exec_lo, exec_lo, s26
.LBB216_985:                            ;   in Loop: Header=BB216_13 Depth=1
	s_or_b32 exec_lo, exec_lo, s25
.LBB216_986:                            ;   in Loop: Header=BB216_13 Depth=1
	s_or_b32 exec_lo, exec_lo, s24
	v_cmp_ne_u16_sdwa s6, v48, v29 src0_sel:BYTE_1 src1_sel:DWORD
	s_and_saveexec_b32 s24, s6
	s_cbranch_execz .LBB216_994
; %bb.987:                              ;   in Loop: Header=BB216_13 Depth=1
	v_mov_b32_e32 v39, v29
	v_mov_b32_e32 v113, v40
	v_cmp_ne_u16_sdwa s6, v48, v64 src0_sel:BYTE_1 src1_sel:DWORD
	v_mov_b32_e32 v112, v39
	s_and_saveexec_b32 s25, s6
	s_cbranch_execz .LBB216_993
; %bb.988:                              ;   in Loop: Header=BB216_13 Depth=1
	v_mov_b32_e32 v12, 0xffff
	v_mov_b32_e32 v52, v29
	;; [unrolled: 1-line block ×3, first 2 shown]
	s_mov_b32 s26, exec_lo
	v_and_b32_sdwa v28, v12, v48 dst_sel:DWORD dst_unused:UNUSED_PAD src0_sel:DWORD src1_sel:BYTE_1
	v_mov_b32_e32 v112, v52
	v_and_b32_e32 v49, 0x7f, v28
	v_cmpx_ne_u32_e32 0x7f, v49
	s_cbranch_execz .LBB216_992
; %bb.989:                              ;   in Loop: Header=BB216_13 Depth=1
	v_and_b32_e32 v28, 7, v28
	v_lshrrev_b32_e32 v39, 3, v49
	s_mov_b32 s27, exec_lo
	v_cmpx_gt_u32_e32 8, v49
; %bb.990:                              ;   in Loop: Header=BB216_13 Depth=1
	v_ffbh_u32_e32 v39, v28
	v_min_u32_e32 v39, 32, v39
	v_subrev_nc_u32_e32 v49, 28, v39
	v_sub_nc_u32_e32 v39, 29, v39
	v_lshlrev_b64 v[49:50], v49, v[28:29]
	v_and_b32_e32 v28, 7, v49
; %bb.991:                              ;   in Loop: Header=BB216_13 Depth=1
	s_or_b32 exec_lo, exec_lo, s27
	v_lshlrev_b32_e32 v48, 16, v48
	v_lshlrev_b32_e32 v28, 20, v28
	v_lshl_add_u32 v39, v39, 23, 0x3c000000
	v_mov_b32_e32 v112, v29
	v_and_b32_e32 v48, 0x80000000, v48
	v_or3_b32 v113, v28, v48, v39
.LBB216_992:                            ;   in Loop: Header=BB216_13 Depth=1
	s_or_b32 exec_lo, exec_lo, s26
.LBB216_993:                            ;   in Loop: Header=BB216_13 Depth=1
	s_or_b32 exec_lo, exec_lo, s25
.LBB216_994:                            ;   in Loop: Header=BB216_13 Depth=1
	s_or_b32 exec_lo, exec_lo, s24
	buffer_load_dword v12, off, s[0:3], s32 offset:204 ; 4-byte Folded Reload
	v_mov_b32_e32 v54, 0
	v_mov_b32_e32 v55, 0
	s_waitcnt vmcnt(0)
	v_add_co_u32 v48, s6, v35, v12
	v_add_co_ci_u32_e64 v49, null, 0, v36, s6
	flat_load_ushort v28, v[48:49]
	v_mov_b32_e32 v48, 0
	v_mov_b32_e32 v49, 0
	s_waitcnt vmcnt(0) lgkmcnt(0)
	v_and_b32_e32 v50, 0xffff, v28
	v_cmp_ne_u16_sdwa s6, v28, v29 src0_sel:BYTE_0 src1_sel:DWORD
	s_and_saveexec_b32 s24, s6
	s_cbranch_execz .LBB216_1002
; %bb.995:                              ;   in Loop: Header=BB216_13 Depth=1
	v_bfrev_b32_e32 v54, 1
	v_mov_b32_e32 v55, 0
	v_cmp_ne_u16_sdwa s6, v50, v64 src0_sel:BYTE_0 src1_sel:DWORD
	s_and_saveexec_b32 s25, s6
	s_cbranch_execz .LBB216_1001
; %bb.996:                              ;   in Loop: Header=BB216_13 Depth=1
	v_mov_b32_e32 v54, 0x7f800001
	v_and_b32_e32 v51, 0x7f, v50
	v_mov_b32_e32 v55, 0
	s_mov_b32 s26, exec_lo
	v_cmpx_ne_u32_e32 0x7f, v51
	s_cbranch_execz .LBB216_1000
; %bb.997:                              ;   in Loop: Header=BB216_13 Depth=1
	v_and_b32_e32 v28, 7, v50
	v_lshrrev_b32_e32 v39, 3, v51
	s_mov_b32 s27, exec_lo
	v_cmpx_gt_u32_e32 8, v51
; %bb.998:                              ;   in Loop: Header=BB216_13 Depth=1
	v_ffbh_u32_e32 v39, v28
	v_min_u32_e32 v39, 32, v39
	v_subrev_nc_u32_e32 v51, 28, v39
	v_sub_nc_u32_e32 v39, 29, v39
	v_lshlrev_b64 v[51:52], v51, v[28:29]
	v_and_b32_e32 v28, 7, v51
; %bb.999:                              ;   in Loop: Header=BB216_13 Depth=1
	s_or_b32 exec_lo, exec_lo, s27
	v_lshlrev_b32_e32 v51, 24, v50
	v_lshlrev_b32_e32 v28, 20, v28
	v_lshl_add_u32 v39, v39, 23, 0x3c000000
	v_and_b32_e32 v51, 0x80000000, v51
	v_or3_b32 v28, v28, v51, v39
	v_mov_b32_e32 v55, v29
	v_mov_b32_e32 v54, v28
.LBB216_1000:                           ;   in Loop: Header=BB216_13 Depth=1
	s_or_b32 exec_lo, exec_lo, s26
.LBB216_1001:                           ;   in Loop: Header=BB216_13 Depth=1
	s_or_b32 exec_lo, exec_lo, s25
.LBB216_1002:                           ;   in Loop: Header=BB216_13 Depth=1
	s_or_b32 exec_lo, exec_lo, s24
	v_cmp_ne_u16_sdwa s6, v50, v29 src0_sel:BYTE_1 src1_sel:DWORD
	s_and_saveexec_b32 s24, s6
	s_cbranch_execz .LBB216_1010
; %bb.1003:                             ;   in Loop: Header=BB216_13 Depth=1
	v_mov_b32_e32 v39, v29
	v_mov_b32_e32 v49, v40
	v_cmp_ne_u16_sdwa s6, v50, v64 src0_sel:BYTE_1 src1_sel:DWORD
	v_mov_b32_e32 v48, v39
	s_and_saveexec_b32 s25, s6
	s_cbranch_execz .LBB216_1009
; %bb.1004:                             ;   in Loop: Header=BB216_13 Depth=1
	v_mov_b32_e32 v12, 0xffff
	v_mov_b32_e32 v52, v29
	s_mov_b32 s26, exec_lo
	v_and_b32_sdwa v28, v12, v50 dst_sel:DWORD dst_unused:UNUSED_PAD src0_sel:DWORD src1_sel:BYTE_1
	v_mov_b32_e32 v48, v52
	v_mov_b32_e32 v49, v53
	v_and_b32_e32 v51, 0x7f, v28
	v_cmpx_ne_u32_e32 0x7f, v51
	s_cbranch_execz .LBB216_1008
; %bb.1005:                             ;   in Loop: Header=BB216_13 Depth=1
	v_and_b32_e32 v28, 7, v28
	v_lshrrev_b32_e32 v39, 3, v51
	s_mov_b32 s27, exec_lo
	v_cmpx_gt_u32_e32 8, v51
; %bb.1006:                             ;   in Loop: Header=BB216_13 Depth=1
	v_ffbh_u32_e32 v39, v28
	v_min_u32_e32 v39, 32, v39
	v_subrev_nc_u32_e32 v48, 28, v39
	v_sub_nc_u32_e32 v39, 29, v39
	v_lshlrev_b64 v[48:49], v48, v[28:29]
	v_and_b32_e32 v28, 7, v48
; %bb.1007:                             ;   in Loop: Header=BB216_13 Depth=1
	s_or_b32 exec_lo, exec_lo, s27
	v_lshlrev_b32_e32 v48, 16, v50
	v_lshlrev_b32_e32 v28, 20, v28
	v_lshl_add_u32 v39, v39, 23, 0x3c000000
	v_and_b32_e32 v48, 0x80000000, v48
	v_or3_b32 v49, v28, v48, v39
	v_mov_b32_e32 v48, v29
.LBB216_1008:                           ;   in Loop: Header=BB216_13 Depth=1
	s_or_b32 exec_lo, exec_lo, s26
.LBB216_1009:                           ;   in Loop: Header=BB216_13 Depth=1
	s_or_b32 exec_lo, exec_lo, s25
.LBB216_1010:                           ;   in Loop: Header=BB216_13 Depth=1
	s_or_b32 exec_lo, exec_lo, s24
	buffer_load_dword v12, off, s[0:3], s32 offset:208 ; 4-byte Folded Reload
	v_mov_b32_e32 v66, 0
	v_mov_b32_e32 v67, 0
	s_waitcnt vmcnt(0)
	v_add_co_u32 v50, s6, v35, v12
	v_add_co_ci_u32_e64 v51, null, 0, v36, s6
	flat_load_ushort v28, v[50:51]
	v_mov_b32_e32 v50, 0
	v_mov_b32_e32 v51, 0
	s_waitcnt vmcnt(0) lgkmcnt(0)
	v_and_b32_e32 v69, 0xffff, v28
	v_cmp_ne_u16_sdwa s6, v28, v29 src0_sel:BYTE_0 src1_sel:DWORD
	s_and_saveexec_b32 s24, s6
	s_cbranch_execz .LBB216_1018
; %bb.1011:                             ;   in Loop: Header=BB216_13 Depth=1
	v_bfrev_b32_e32 v66, 1
	v_mov_b32_e32 v67, 0
	v_cmp_ne_u16_sdwa s6, v69, v64 src0_sel:BYTE_0 src1_sel:DWORD
	s_and_saveexec_b32 s25, s6
	s_cbranch_execz .LBB216_1017
; %bb.1012:                             ;   in Loop: Header=BB216_13 Depth=1
	v_mov_b32_e32 v66, 0x7f800001
	v_and_b32_e32 v52, 0x7f, v69
	v_mov_b32_e32 v67, 0
	s_mov_b32 s26, exec_lo
	v_cmpx_ne_u32_e32 0x7f, v52
	s_cbranch_execz .LBB216_1016
; %bb.1013:                             ;   in Loop: Header=BB216_13 Depth=1
	v_and_b32_e32 v28, 7, v69
	v_lshrrev_b32_e32 v39, 3, v52
	s_mov_b32 s27, exec_lo
	v_cmpx_gt_u32_e32 8, v52
; %bb.1014:                             ;   in Loop: Header=BB216_13 Depth=1
	v_ffbh_u32_e32 v39, v28
	v_min_u32_e32 v39, 32, v39
	v_subrev_nc_u32_e32 v52, 28, v39
	v_sub_nc_u32_e32 v39, 29, v39
	v_lshlrev_b64 v[66:67], v52, v[28:29]
	v_and_b32_e32 v28, 7, v66
; %bb.1015:                             ;   in Loop: Header=BB216_13 Depth=1
	s_or_b32 exec_lo, exec_lo, s27
	v_lshlrev_b32_e32 v52, 24, v69
	v_lshlrev_b32_e32 v28, 20, v28
	v_lshl_add_u32 v39, v39, 23, 0x3c000000
	v_and_b32_e32 v52, 0x80000000, v52
	v_or3_b32 v28, v28, v52, v39
	v_mov_b32_e32 v67, v29
	v_mov_b32_e32 v66, v28
.LBB216_1016:                           ;   in Loop: Header=BB216_13 Depth=1
	s_or_b32 exec_lo, exec_lo, s26
.LBB216_1017:                           ;   in Loop: Header=BB216_13 Depth=1
	s_or_b32 exec_lo, exec_lo, s25
.LBB216_1018:                           ;   in Loop: Header=BB216_13 Depth=1
	s_or_b32 exec_lo, exec_lo, s24
	v_cmp_ne_u16_sdwa s6, v69, v29 src0_sel:BYTE_1 src1_sel:DWORD
	s_and_saveexec_b32 s24, s6
	s_cbranch_execz .LBB216_1026
; %bb.1019:                             ;   in Loop: Header=BB216_13 Depth=1
	v_mov_b32_e32 v39, v29
	v_mov_b32_e32 v51, v40
	v_cmp_ne_u16_sdwa s6, v69, v64 src0_sel:BYTE_1 src1_sel:DWORD
	v_mov_b32_e32 v50, v39
	s_and_saveexec_b32 s25, s6
	s_cbranch_execz .LBB216_1025
; %bb.1020:                             ;   in Loop: Header=BB216_13 Depth=1
	v_mov_b32_e32 v12, 0xffff
	v_mov_b32_e32 v52, v29
	s_mov_b32 s26, exec_lo
	v_and_b32_sdwa v28, v12, v69 dst_sel:DWORD dst_unused:UNUSED_PAD src0_sel:DWORD src1_sel:BYTE_1
	v_mov_b32_e32 v50, v52
	v_mov_b32_e32 v51, v53
	v_and_b32_e32 v41, 0x7f, v28
	v_cmpx_ne_u32_e32 0x7f, v41
	s_cbranch_execz .LBB216_1024
; %bb.1021:                             ;   in Loop: Header=BB216_13 Depth=1
	v_and_b32_e32 v28, 7, v28
	v_lshrrev_b32_e32 v39, 3, v41
	s_mov_b32 s27, exec_lo
	v_cmpx_gt_u32_e32 8, v41
; %bb.1022:                             ;   in Loop: Header=BB216_13 Depth=1
	v_ffbh_u32_e32 v39, v28
	v_min_u32_e32 v39, 32, v39
	v_subrev_nc_u32_e32 v50, 28, v39
	v_sub_nc_u32_e32 v39, 29, v39
	v_lshlrev_b64 v[50:51], v50, v[28:29]
	v_and_b32_e32 v28, 7, v50
; %bb.1023:                             ;   in Loop: Header=BB216_13 Depth=1
	s_or_b32 exec_lo, exec_lo, s27
	v_lshlrev_b32_e32 v50, 16, v69
	v_lshlrev_b32_e32 v28, 20, v28
	v_lshl_add_u32 v39, v39, 23, 0x3c000000
	v_and_b32_e32 v50, 0x80000000, v50
	v_or3_b32 v51, v28, v50, v39
	v_mov_b32_e32 v50, v29
.LBB216_1024:                           ;   in Loop: Header=BB216_13 Depth=1
	s_or_b32 exec_lo, exec_lo, s26
.LBB216_1025:                           ;   in Loop: Header=BB216_13 Depth=1
	s_or_b32 exec_lo, exec_lo, s25
.LBB216_1026:                           ;   in Loop: Header=BB216_13 Depth=1
	s_or_b32 exec_lo, exec_lo, s24
	buffer_load_dword v12, off, s[0:3], s32 offset:212 ; 4-byte Folded Reload
	v_mov_b32_e32 v41, 0
	v_mov_b32_e32 v42, 0
	s_waitcnt vmcnt(0)
	v_add_co_u32 v35, s6, v35, v12
	v_add_co_ci_u32_e64 v36, null, 0, v36, s6
	flat_load_ushort v28, v[35:36]
	v_mov_b32_e32 v35, 0
	v_mov_b32_e32 v36, 0
	s_waitcnt vmcnt(0) lgkmcnt(0)
	v_and_b32_e32 v69, 0xffff, v28
	v_cmp_ne_u16_sdwa s6, v28, v29 src0_sel:BYTE_0 src1_sel:DWORD
	s_and_saveexec_b32 s24, s6
	s_cbranch_execz .LBB216_1034
; %bb.1027:                             ;   in Loop: Header=BB216_13 Depth=1
	v_bfrev_b32_e32 v35, 1
	v_mov_b32_e32 v36, 0
	v_cmp_ne_u16_sdwa s6, v69, v64 src0_sel:BYTE_0 src1_sel:DWORD
	s_and_saveexec_b32 s25, s6
	s_cbranch_execz .LBB216_1033
; %bb.1028:                             ;   in Loop: Header=BB216_13 Depth=1
	v_mov_b32_e32 v35, 0x7f800001
	v_and_b32_e32 v39, 0x7f, v69
	v_mov_b32_e32 v36, 0
	s_mov_b32 s26, exec_lo
	v_cmpx_ne_u32_e32 0x7f, v39
	s_cbranch_execz .LBB216_1032
; %bb.1029:                             ;   in Loop: Header=BB216_13 Depth=1
	v_and_b32_e32 v28, 7, v69
	v_lshrrev_b32_e32 v35, 3, v39
	s_mov_b32 s27, exec_lo
	v_cmpx_gt_u32_e32 8, v39
	s_cbranch_execz .LBB216_1031
; %bb.1030:                             ;   in Loop: Header=BB216_13 Depth=1
	v_ffbh_u32_e32 v35, v28
	v_mov_b32_e32 v97, v81
	v_mov_b32_e32 v96, v80
	v_min_u32_e32 v35, 32, v35
	v_subrev_nc_u32_e32 v36, 28, v35
	v_sub_nc_u32_e32 v35, 29, v35
	v_lshlrev_b64 v[80:81], v36, v[28:29]
	v_and_b32_e32 v28, 7, v80
	v_mov_b32_e32 v80, v96
	v_mov_b32_e32 v81, v97
.LBB216_1031:                           ;   in Loop: Header=BB216_13 Depth=1
	s_or_b32 exec_lo, exec_lo, s27
	v_lshlrev_b32_e32 v36, 24, v69
	v_lshlrev_b32_e32 v28, 20, v28
	v_lshl_add_u32 v35, v35, 23, 0x3c000000
	v_and_b32_e32 v36, 0x80000000, v36
	v_or3_b32 v28, v28, v36, v35
	v_mov_b32_e32 v36, v29
	v_mov_b32_e32 v35, v28
.LBB216_1032:                           ;   in Loop: Header=BB216_13 Depth=1
	s_or_b32 exec_lo, exec_lo, s26
.LBB216_1033:                           ;   in Loop: Header=BB216_13 Depth=1
	s_or_b32 exec_lo, exec_lo, s25
.LBB216_1034:                           ;   in Loop: Header=BB216_13 Depth=1
	s_or_b32 exec_lo, exec_lo, s24
	v_cmp_ne_u16_sdwa s6, v69, v29 src0_sel:BYTE_1 src1_sel:DWORD
	s_and_saveexec_b32 s24, s6
	s_cbranch_execz .LBB216_1042
; %bb.1035:                             ;   in Loop: Header=BB216_13 Depth=1
	v_mov_b32_e32 v39, v29
	v_mov_b32_e32 v42, v40
	v_cmp_ne_u16_sdwa s6, v69, v64 src0_sel:BYTE_1 src1_sel:DWORD
	v_mov_b32_e32 v41, v39
	s_and_saveexec_b32 s25, s6
	s_cbranch_execz .LBB216_1041
; %bb.1036:                             ;   in Loop: Header=BB216_13 Depth=1
	v_mov_b32_e32 v99, v81
	v_mov_b32_e32 v97, v83
	;; [unrolled: 1-line block ×4, first 2 shown]
	s_clause 0x3
	buffer_load_dword v80, off, s[0:3], s32 offset:856
	buffer_load_dword v81, off, s[0:3], s32 offset:860
	;; [unrolled: 1-line block ×4, first 2 shown]
	v_mov_b32_e32 v12, 0xffff
	v_mov_b32_e32 v52, v29
	s_mov_b32 s26, exec_lo
	v_and_b32_sdwa v28, v12, v69 dst_sel:DWORD dst_unused:UNUSED_PAD src0_sel:DWORD src1_sel:BYTE_1
	v_mov_b32_e32 v41, v52
	v_mov_b32_e32 v42, v53
	s_waitcnt vmcnt(1)
	v_and_b32_e32 v82, 0x7f, v28
	v_cmpx_ne_u32_e32 0x7f, v82
	s_cbranch_execz .LBB216_1040
; %bb.1037:                             ;   in Loop: Header=BB216_13 Depth=1
	v_and_b32_e32 v28, 7, v28
	v_lshrrev_b32_e32 v39, 3, v82
	s_mov_b32 s27, exec_lo
	v_cmpx_gt_u32_e32 8, v82
; %bb.1038:                             ;   in Loop: Header=BB216_13 Depth=1
	v_ffbh_u32_e32 v39, v28
	v_min_u32_e32 v39, 32, v39
	v_subrev_nc_u32_e32 v52, 28, v39
	v_sub_nc_u32_e32 v39, 29, v39
	v_lshlrev_b64 v[80:81], v52, v[28:29]
	v_and_b32_e32 v28, 7, v80
; %bb.1039:                             ;   in Loop: Header=BB216_13 Depth=1
	s_or_b32 exec_lo, exec_lo, s27
	v_lshlrev_b32_e32 v52, 16, v69
	v_lshlrev_b32_e32 v28, 20, v28
	v_lshl_add_u32 v39, v39, 23, 0x3c000000
	v_mov_b32_e32 v41, v29
	v_and_b32_e32 v52, 0x80000000, v52
	v_or3_b32 v42, v28, v52, v39
.LBB216_1040:                           ;   in Loop: Header=BB216_13 Depth=1
	s_or_b32 exec_lo, exec_lo, s26
	s_waitcnt vmcnt(0)
	v_mov_b32_e32 v82, v96
	v_mov_b32_e32 v80, v98
	v_mov_b32_e32 v83, v97
	v_mov_b32_e32 v81, v99
.LBB216_1041:                           ;   in Loop: Header=BB216_13 Depth=1
	s_or_b32 exec_lo, exec_lo, s25
.LBB216_1042:                           ;   in Loop: Header=BB216_13 Depth=1
	s_or_b32 exec_lo, exec_lo, s24
	s_clause 0x1
	buffer_load_dword v96, off, s[0:3], s32 offset:260
	buffer_load_dword v97, off, s[0:3], s32 offset:264
	v_or_b32_e32 v51, v51, v67
	v_or_b32_e32 v50, v50, v66
	;; [unrolled: 1-line block ×14, first 2 shown]
	v_mul_f32_e32 v55, v68, v55
	v_or_b32_e32 v1, v103, v1
	v_or_b32_e32 v14, v58, v14
	;; [unrolled: 1-line block ×3, first 2 shown]
	v_mul_f32_e32 v0, v68, v0
	v_or_b32_e32 v31, v31, v37
	v_mul_f32_e32 v1, v68, v1
	v_or_b32_e32 v37, v120, v90
	v_or_b32_e32 v17, v17, v34
	;; [unrolled: 1-line block ×8, first 2 shown]
	v_mul_f32_e32 v3, v68, v3
	s_waitcnt vmcnt(1)
	v_or_b32_e32 v28, v96, v80
	s_waitcnt vmcnt(0)
	v_or_b32_e32 v39, v97, v81
	s_clause 0x1
	buffer_load_dword v80, off, s[0:3], s32 offset:252
	buffer_load_dword v81, off, s[0:3], s32 offset:256
	v_mul_f32_e32 v28, v68, v28
	v_mul_f32_e32 v39, v68, v39
	s_waitcnt vmcnt(1)
	v_or_b32_e32 v69, v80, v82
	s_waitcnt vmcnt(0)
	v_or_b32_e32 v52, v81, v83
	s_clause 0x3
	buffer_load_dword v80, off, s[0:3], s32 offset:1048
	buffer_load_dword v81, off, s[0:3], s32 offset:1052
	;; [unrolled: 1-line block ×4, first 2 shown]
	v_mul_f32_e32 v69, v68, v69
	v_mul_f32_e32 v52, v68, v52
	s_waitcnt vmcnt(1)
	v_mul_f32_e32 v28, v82, v28
	s_waitcnt vmcnt(0)
	v_mul_f32_e32 v39, v83, v39
	v_fmac_f32_e32 v28, v80, v69
	v_fmac_f32_e32 v39, v81, v52
	s_clause 0x3
	buffer_load_dword v80, off, s[0:3], s32 offset:268
	buffer_load_dword v81, off, s[0:3], s32 offset:272
	;; [unrolled: 1-line block ×4, first 2 shown]
	s_waitcnt vmcnt(1)
	v_or_b32_e32 v69, v82, v80
	s_waitcnt vmcnt(0)
	v_or_b32_e32 v52, v83, v81
	s_clause 0x1
	buffer_load_dword v80, off, s[0:3], s32 offset:348
	buffer_load_dword v81, off, s[0:3], s32 offset:352
	v_mul_f32_e32 v69, v68, v69
	v_mul_f32_e32 v52, v68, v52
	s_waitcnt vmcnt(1)
	v_or_b32_e32 v80, v80, v84
	s_waitcnt vmcnt(0)
	v_or_b32_e32 v81, v81, v85
	s_clause 0x3
	buffer_load_dword v82, off, s[0:3], s32 offset:1000
	buffer_load_dword v83, off, s[0:3], s32 offset:1004
	;; [unrolled: 1-line block ×4, first 2 shown]
	v_mul_f32_e32 v80, v68, v80
	s_waitcnt vmcnt(3)
	v_fmac_f32_e32 v28, v82, v80
	v_mul_f32_e32 v80, v68, v81
	s_waitcnt vmcnt(1)
	v_fmac_f32_e32 v28, v84, v69
	v_fmac_f32_e32 v39, v83, v80
	s_clause 0x3
	buffer_load_dword v80, off, s[0:3], s32 offset:300
	buffer_load_dword v81, off, s[0:3], s32 offset:304
	;; [unrolled: 1-line block ×4, first 2 shown]
	s_waitcnt vmcnt(4)
	v_fmac_f32_e32 v39, v85, v52
	s_waitcnt vmcnt(1)
	v_or_b32_e32 v69, v82, v80
	s_waitcnt vmcnt(0)
	v_or_b32_e32 v52, v83, v81
	s_clause 0x3
	buffer_load_dword v80, off, s[0:3], s32 offset:284
	buffer_load_dword v81, off, s[0:3], s32 offset:288
	;; [unrolled: 1-line block ×4, first 2 shown]
	v_mul_f32_e32 v69, v68, v69
	v_mul_f32_e32 v52, v68, v52
	s_waitcnt vmcnt(1)
	v_or_b32_e32 v80, v82, v80
	s_waitcnt vmcnt(0)
	v_or_b32_e32 v81, v83, v81
	s_clause 0x3
	buffer_load_dword v82, off, s[0:3], s32 offset:1032
	buffer_load_dword v83, off, s[0:3], s32 offset:1036
	;; [unrolled: 1-line block ×4, first 2 shown]
	v_mul_f32_e32 v80, v68, v80
	s_waitcnt vmcnt(3)
	v_fmac_f32_e32 v28, v82, v80
	v_mul_f32_e32 v80, v68, v81
	s_waitcnt vmcnt(1)
	v_fmac_f32_e32 v28, v84, v69
	v_fmac_f32_e32 v39, v83, v80
	s_clause 0x3
	buffer_load_dword v80, off, s[0:3], s32 offset:332
	buffer_load_dword v81, off, s[0:3], s32 offset:336
	;; [unrolled: 1-line block ×4, first 2 shown]
	s_waitcnt vmcnt(4)
	v_fmac_f32_e32 v39, v85, v52
	s_waitcnt vmcnt(1)
	v_or_b32_e32 v69, v82, v80
	s_waitcnt vmcnt(0)
	v_or_b32_e32 v52, v83, v81
	s_clause 0x7
	buffer_load_dword v80, off, s[0:3], s32 offset:316
	buffer_load_dword v81, off, s[0:3], s32 offset:320
	;; [unrolled: 1-line block ×8, first 2 shown]
	v_mul_f32_e32 v69, v68, v69
	v_mul_f32_e32 v52, v68, v52
	s_waitcnt vmcnt(5)
	v_or_b32_e32 v80, v82, v80
	s_waitcnt vmcnt(4)
	v_or_b32_e32 v81, v83, v81
	v_mul_f32_e32 v80, v68, v80
	s_waitcnt vmcnt(3)
	v_fmac_f32_e32 v28, v96, v80
	v_mul_f32_e32 v80, v68, v81
	s_waitcnt vmcnt(1)
	v_fmac_f32_e32 v28, v98, v69
	v_fmac_f32_e32 v39, v97, v80
	s_clause 0x3
	buffer_load_dword v80, off, s[0:3], s32 offset:364
	buffer_load_dword v81, off, s[0:3], s32 offset:368
	buffer_load_dword v82, off, s[0:3], s32 offset:372
	buffer_load_dword v83, off, s[0:3], s32 offset:376
	s_waitcnt vmcnt(4)
	v_fmac_f32_e32 v39, v99, v52
	s_waitcnt vmcnt(1)
	v_or_b32_e32 v69, v82, v80
	s_waitcnt vmcnt(0)
	v_or_b32_e32 v52, v83, v81
	s_clause 0x5
	buffer_load_dword v80, off, s[0:3], s32 offset:356
	buffer_load_dword v81, off, s[0:3], s32 offset:360
	;; [unrolled: 1-line block ×6, first 2 shown]
	v_mul_f32_e32 v69, v68, v69
	v_mul_f32_e32 v52, v68, v52
	s_waitcnt vmcnt(5)
	v_or_b32_e32 v80, v80, v86
	s_waitcnt vmcnt(4)
	v_or_b32_e32 v81, v81, v87
	v_mul_f32_e32 v80, v68, v80
	s_waitcnt vmcnt(3)
	v_fmac_f32_e32 v28, v82, v80
	v_mul_f32_e32 v80, v68, v81
	s_waitcnt vmcnt(1)
	v_fmac_f32_e32 v28, v84, v69
	v_fmac_f32_e32 v39, v83, v80
	s_clause 0x3
	buffer_load_dword v80, off, s[0:3], s32 offset:396
	buffer_load_dword v81, off, s[0:3], s32 offset:400
	buffer_load_dword v82, off, s[0:3], s32 offset:404
	buffer_load_dword v83, off, s[0:3], s32 offset:408
	s_waitcnt vmcnt(4)
	v_fmac_f32_e32 v39, v85, v52
	s_waitcnt vmcnt(1)
	v_or_b32_e32 v69, v82, v80
	s_waitcnt vmcnt(0)
	v_or_b32_e32 v52, v83, v81
	s_clause 0x3
	buffer_load_dword v80, off, s[0:3], s32 offset:380
	buffer_load_dword v81, off, s[0:3], s32 offset:384
	buffer_load_dword v82, off, s[0:3], s32 offset:388
	buffer_load_dword v83, off, s[0:3], s32 offset:392
	v_mul_f32_e32 v69, v68, v69
	v_mul_f32_e32 v52, v68, v52
	s_waitcnt vmcnt(1)
	v_or_b32_e32 v80, v82, v80
	s_waitcnt vmcnt(0)
	v_or_b32_e32 v81, v83, v81
	s_clause 0x3
	buffer_load_dword v82, off, s[0:3], s32 offset:952
	buffer_load_dword v83, off, s[0:3], s32 offset:956
	buffer_load_dword v84, off, s[0:3], s32 offset:960
	buffer_load_dword v85, off, s[0:3], s32 offset:964
	v_mul_f32_e32 v80, v68, v80
	s_waitcnt vmcnt(3)
	v_fmac_f32_e32 v28, v82, v80
	v_mul_f32_e32 v80, v68, v81
	s_waitcnt vmcnt(1)
	v_fmac_f32_e32 v28, v84, v69
	v_fmac_f32_e32 v39, v83, v80
	s_clause 0x3
	buffer_load_dword v80, off, s[0:3], s32 offset:428
	buffer_load_dword v81, off, s[0:3], s32 offset:432
	buffer_load_dword v82, off, s[0:3], s32 offset:436
	buffer_load_dword v83, off, s[0:3], s32 offset:440
	s_waitcnt vmcnt(4)
	v_fmac_f32_e32 v39, v85, v52
	s_waitcnt vmcnt(1)
	v_or_b32_e32 v69, v82, v80
	s_waitcnt vmcnt(0)
	v_or_b32_e32 v52, v83, v81
	s_clause 0x3
	buffer_load_dword v80, off, s[0:3], s32 offset:412
	buffer_load_dword v81, off, s[0:3], s32 offset:416
	buffer_load_dword v82, off, s[0:3], s32 offset:420
	buffer_load_dword v83, off, s[0:3], s32 offset:424
	v_mul_f32_e32 v69, v68, v69
	v_mul_f32_e32 v52, v68, v52
	s_waitcnt vmcnt(1)
	v_or_b32_e32 v80, v82, v80
	s_waitcnt vmcnt(0)
	v_or_b32_e32 v81, v83, v81
	s_clause 0x3
	buffer_load_dword v82, off, s[0:3], s32 offset:984
	buffer_load_dword v83, off, s[0:3], s32 offset:988
	buffer_load_dword v84, off, s[0:3], s32 offset:992
	buffer_load_dword v85, off, s[0:3], s32 offset:996
	v_mul_f32_e32 v80, v68, v80
	s_waitcnt vmcnt(3)
	v_fmac_f32_e32 v28, v82, v80
	v_mul_f32_e32 v80, v68, v81
	s_waitcnt vmcnt(1)
	v_fmac_f32_e32 v28, v84, v69
	v_fmac_f32_e32 v39, v83, v80
	s_clause 0x3
	buffer_load_dword v80, off, s[0:3], s32 offset:460
	buffer_load_dword v81, off, s[0:3], s32 offset:464
	buffer_load_dword v82, off, s[0:3], s32 offset:468
	buffer_load_dword v83, off, s[0:3], s32 offset:472
	s_waitcnt vmcnt(4)
	v_fmac_f32_e32 v39, v85, v52
	s_waitcnt vmcnt(1)
	v_or_b32_e32 v69, v82, v80
	s_waitcnt vmcnt(0)
	v_or_b32_e32 v52, v83, v81
	s_clause 0x3
	buffer_load_dword v80, off, s[0:3], s32 offset:444
	buffer_load_dword v81, off, s[0:3], s32 offset:448
	buffer_load_dword v82, off, s[0:3], s32 offset:452
	buffer_load_dword v83, off, s[0:3], s32 offset:456
	v_mul_f32_e32 v69, v68, v69
	v_mul_f32_e32 v52, v68, v52
	s_waitcnt vmcnt(1)
	v_or_b32_e32 v80, v82, v80
	s_waitcnt vmcnt(0)
	v_or_b32_e32 v81, v83, v81
	s_clause 0x7
	buffer_load_dword v96, off, s[0:3], s32 offset:856
	buffer_load_dword v97, off, s[0:3], s32 offset:860
	buffer_load_dword v98, off, s[0:3], s32 offset:864
	buffer_load_dword v99, off, s[0:3], s32 offset:868
	buffer_load_dword v82, off, s[0:3], s32 offset:936
	buffer_load_dword v83, off, s[0:3], s32 offset:940
	buffer_load_dword v84, off, s[0:3], s32 offset:944
	buffer_load_dword v85, off, s[0:3], s32 offset:948
	v_mul_f32_e32 v80, v68, v80
	s_waitcnt vmcnt(3)
	v_fmac_f32_e32 v28, v82, v80
	v_mul_f32_e32 v80, v68, v81
	s_waitcnt vmcnt(1)
	v_fmac_f32_e32 v28, v84, v69
	v_fmac_f32_e32 v39, v83, v80
	s_clause 0x3
	buffer_load_dword v80, off, s[0:3], s32 offset:492
	buffer_load_dword v81, off, s[0:3], s32 offset:496
	;; [unrolled: 1-line block ×4, first 2 shown]
	s_waitcnt vmcnt(4)
	v_fmac_f32_e32 v39, v85, v52
	s_waitcnt vmcnt(1)
	v_or_b32_e32 v69, v82, v80
	s_waitcnt vmcnt(0)
	v_or_b32_e32 v52, v83, v81
	s_clause 0x3
	buffer_load_dword v80, off, s[0:3], s32 offset:476
	buffer_load_dword v81, off, s[0:3], s32 offset:480
	;; [unrolled: 1-line block ×4, first 2 shown]
	v_mul_f32_e32 v69, v68, v69
	v_mul_f32_e32 v52, v68, v52
	s_waitcnt vmcnt(1)
	v_or_b32_e32 v80, v82, v80
	s_waitcnt vmcnt(0)
	v_or_b32_e32 v81, v83, v81
	s_clause 0x3
	buffer_load_dword v82, off, s[0:3], s32 offset:920
	buffer_load_dword v83, off, s[0:3], s32 offset:924
	buffer_load_dword v84, off, s[0:3], s32 offset:928
	buffer_load_dword v85, off, s[0:3], s32 offset:932
	v_mul_f32_e32 v80, v68, v80
	s_waitcnt vmcnt(3)
	v_fmac_f32_e32 v28, v82, v80
	v_mul_f32_e32 v80, v68, v81
	s_waitcnt vmcnt(1)
	v_fmac_f32_e32 v28, v84, v69
	v_fmac_f32_e32 v39, v83, v80
	s_clause 0x3
	buffer_load_dword v80, off, s[0:3], s32 offset:524
	buffer_load_dword v81, off, s[0:3], s32 offset:528
	;; [unrolled: 1-line block ×4, first 2 shown]
	s_waitcnt vmcnt(4)
	v_fmac_f32_e32 v39, v85, v52
	s_waitcnt vmcnt(1)
	v_or_b32_e32 v69, v82, v80
	s_waitcnt vmcnt(0)
	v_or_b32_e32 v52, v83, v81
	s_clause 0x3
	buffer_load_dword v80, off, s[0:3], s32 offset:508
	buffer_load_dword v81, off, s[0:3], s32 offset:512
	;; [unrolled: 1-line block ×4, first 2 shown]
	v_mul_f32_e32 v69, v68, v69
	v_mul_f32_e32 v52, v68, v52
	s_waitcnt vmcnt(1)
	v_or_b32_e32 v80, v82, v80
	s_waitcnt vmcnt(0)
	v_or_b32_e32 v81, v83, v81
	s_clause 0x3
	buffer_load_dword v82, off, s[0:3], s32 offset:904
	buffer_load_dword v83, off, s[0:3], s32 offset:908
	;; [unrolled: 1-line block ×4, first 2 shown]
	v_mul_f32_e32 v80, v68, v80
	s_waitcnt vmcnt(3)
	v_fmac_f32_e32 v28, v82, v80
	v_mul_f32_e32 v80, v68, v81
	s_waitcnt vmcnt(1)
	v_fmac_f32_e32 v28, v84, v69
	v_fmac_f32_e32 v39, v83, v80
	s_clause 0x3
	buffer_load_dword v80, off, s[0:3], s32 offset:556
	buffer_load_dword v81, off, s[0:3], s32 offset:560
	;; [unrolled: 1-line block ×4, first 2 shown]
	s_waitcnt vmcnt(4)
	v_fmac_f32_e32 v39, v85, v52
	s_waitcnt vmcnt(1)
	v_or_b32_e32 v69, v82, v80
	s_waitcnt vmcnt(0)
	v_or_b32_e32 v52, v83, v81
	s_clause 0x3
	buffer_load_dword v80, off, s[0:3], s32 offset:540
	buffer_load_dword v81, off, s[0:3], s32 offset:544
	;; [unrolled: 1-line block ×4, first 2 shown]
	v_mul_f32_e32 v69, v68, v69
	v_mul_f32_e32 v52, v68, v52
	s_waitcnt vmcnt(1)
	v_or_b32_e32 v80, v82, v80
	s_waitcnt vmcnt(0)
	v_or_b32_e32 v81, v83, v81
	v_mul_f32_e32 v80, v68, v80
	v_fmac_f32_e32 v28, v96, v80
	v_mul_f32_e32 v80, v68, v81
	v_fmac_f32_e32 v28, v98, v69
	v_fmac_f32_e32 v39, v97, v80
	s_clause 0x3
	buffer_load_dword v80, off, s[0:3], s32 offset:588
	buffer_load_dword v81, off, s[0:3], s32 offset:592
	;; [unrolled: 1-line block ×4, first 2 shown]
	v_fmac_f32_e32 v39, v99, v52
	s_waitcnt vmcnt(1)
	v_or_b32_e32 v69, v82, v80
	s_waitcnt vmcnt(0)
	v_or_b32_e32 v52, v83, v81
	s_clause 0x3
	buffer_load_dword v80, off, s[0:3], s32 offset:572
	buffer_load_dword v81, off, s[0:3], s32 offset:576
	;; [unrolled: 1-line block ×4, first 2 shown]
	v_mul_f32_e32 v69, v68, v69
	v_mul_f32_e32 v52, v68, v52
	s_waitcnt vmcnt(1)
	v_or_b32_e32 v80, v82, v80
	s_waitcnt vmcnt(0)
	v_or_b32_e32 v81, v83, v81
	s_clause 0x3
	buffer_load_dword v82, off, s[0:3], s32 offset:880
	buffer_load_dword v83, off, s[0:3], s32 offset:884
	buffer_load_dword v84, off, s[0:3], s32 offset:888
	buffer_load_dword v85, off, s[0:3], s32 offset:892
	v_mul_f32_e32 v80, v68, v80
	s_waitcnt vmcnt(3)
	v_fmac_f32_e32 v28, v82, v80
	v_mul_f32_e32 v80, v68, v81
	s_waitcnt vmcnt(1)
	v_fmac_f32_e32 v28, v84, v69
	v_fmac_f32_e32 v39, v83, v80
	s_clause 0x3
	buffer_load_dword v80, off, s[0:3], s32 offset:636
	buffer_load_dword v81, off, s[0:3], s32 offset:640
	;; [unrolled: 1-line block ×4, first 2 shown]
	s_waitcnt vmcnt(4)
	v_fmac_f32_e32 v39, v85, v52
	s_waitcnt vmcnt(1)
	v_or_b32_e32 v69, v82, v80
	s_waitcnt vmcnt(0)
	v_or_b32_e32 v52, v83, v81
	s_clause 0x3
	buffer_load_dword v80, off, s[0:3], s32 offset:620
	buffer_load_dword v81, off, s[0:3], s32 offset:624
	;; [unrolled: 1-line block ×4, first 2 shown]
	s_waitcnt vmcnt(1)
	v_or_b32_e32 v80, v82, v80
	s_waitcnt vmcnt(0)
	v_or_b32_e32 v12, v83, v81
	s_clause 0x3
	buffer_load_dword v81, off, s[0:3], s32 offset:604
	buffer_load_dword v82, off, s[0:3], s32 offset:608
	buffer_load_dword v83, off, s[0:3], s32 offset:612
	buffer_load_dword v84, off, s[0:3], s32 offset:616
	v_mul_f32_e32 v47, v68, v80
	v_mul_f32_e32 v12, v68, v12
	s_waitcnt vmcnt(1)
	v_or_b32_e32 v81, v83, v81
	s_waitcnt vmcnt(0)
	v_or_b32_e32 v82, v84, v82
	s_clause 0x1
	buffer_load_dword v83, off, s[0:3], s32 offset:896
	buffer_load_dword v84, off, s[0:3], s32 offset:900
	v_mul_f32_e32 v81, v68, v81
	s_waitcnt vmcnt(1)
	v_fmac_f32_e32 v28, v83, v81
	v_mul_f32_e32 v81, v68, v82
	s_waitcnt vmcnt(0)
	v_fmac_f32_e32 v39, v84, v81
	ds_read2_b64 v[80:83], v13 offset0:25 offset1:26
	ds_read2_b64 v[84:87], v13 offset0:27 offset1:28
	s_waitcnt lgkmcnt(1)
	v_fmac_f32_e32 v39, v81, v12
	v_mul_f32_e32 v12, v68, v69
	s_clause 0x3
	buffer_load_dword v66, off, s[0:3], s32 offset:828
	buffer_load_dword v67, off, s[0:3], s32 offset:832
	;; [unrolled: 1-line block ×4, first 2 shown]
	v_fmac_f32_e32 v28, v80, v47
	v_fmac_f32_e32 v28, v82, v12
	v_mul_f32_e32 v12, v68, v52
	v_or_b32_e32 v52, v56, v43
	v_or_b32_e32 v43, v60, v45
	v_fmac_f32_e32 v39, v83, v12
	s_waitcnt vmcnt(1)
	v_or_b32_e32 v66, v69, v66
	s_waitcnt vmcnt(0)
	v_or_b32_e32 v12, v70, v67
	s_clause 0x3
	buffer_load_dword v69, off, s[0:3], s32 offset:780
	buffer_load_dword v70, off, s[0:3], s32 offset:784
	buffer_load_dword v80, off, s[0:3], s32 offset:788
	buffer_load_dword v81, off, s[0:3], s32 offset:792
	v_mul_f32_e32 v66, v68, v66
	v_mul_f32_e32 v12, v68, v12
	s_waitcnt vmcnt(1)
	v_or_b32_e32 v69, v80, v69
	s_waitcnt vmcnt(0)
	v_or_b32_e32 v67, v81, v70
	s_clause 0x3
	buffer_load_dword v80, off, s[0:3], s32 offset:748
	buffer_load_dword v81, off, s[0:3], s32 offset:752
	buffer_load_dword v82, off, s[0:3], s32 offset:756
	buffer_load_dword v83, off, s[0:3], s32 offset:760
	v_mul_f32_e32 v69, v68, v69
	v_mul_f32_e32 v67, v68, v67
	;; [unrolled: 11-line block ×3, first 2 shown]
	s_waitcnt vmcnt(1)
	v_or_b32_e32 v99, v82, v80
	s_waitcnt vmcnt(0)
	v_or_b32_e32 v98, v83, v81
	s_clause 0x3
	buffer_load_dword v80, off, s[0:3], s32 offset:700
	buffer_load_dword v81, off, s[0:3], s32 offset:704
	;; [unrolled: 1-line block ×4, first 2 shown]
	v_mul_f32_e32 v99, v68, v99
	s_waitcnt vmcnt(1)
	v_or_b32_e32 v101, v82, v80
	s_waitcnt vmcnt(0)
	v_or_b32_e32 v100, v83, v81
	s_clause 0x3
	buffer_load_dword v80, off, s[0:3], s32 offset:684
	buffer_load_dword v81, off, s[0:3], s32 offset:688
	;; [unrolled: 1-line block ×4, first 2 shown]
	s_waitcnt vmcnt(1)
	v_or_b32_e32 v116, v82, v80
	s_waitcnt vmcnt(0)
	v_or_b32_e32 v2, v83, v81
	s_clause 0x3
	buffer_load_dword v80, off, s[0:3], s32 offset:668
	buffer_load_dword v81, off, s[0:3], s32 offset:672
	;; [unrolled: 1-line block ×4, first 2 shown]
	v_mul_f32_e32 v116, v68, v116
	s_waitcnt vmcnt(1)
	v_or_b32_e32 v80, v82, v80
	s_waitcnt vmcnt(0)
	v_or_b32_e32 v117, v83, v81
	s_clause 0x3
	buffer_load_dword v81, off, s[0:3], s32 offset:652
	buffer_load_dword v82, off, s[0:3], s32 offset:656
	;; [unrolled: 1-line block ×4, first 2 shown]
	v_mul_f32_e32 v80, v68, v80
	s_waitcnt vmcnt(1)
	v_or_b32_e32 v81, v96, v81
	s_waitcnt vmcnt(0)
	v_or_b32_e32 v82, v97, v82
	v_mul_f32_e32 v81, v68, v81
	v_mul_f32_e32 v82, v68, v82
	s_waitcnt lgkmcnt(0)
	v_fmac_f32_e32 v28, v84, v81
	v_fmac_f32_e32 v39, v85, v82
	v_mul_f32_e32 v84, v68, v117
	v_mul_f32_e32 v117, v68, v2
	v_or_b32_e32 v2, v113, v95
	v_fmac_f32_e32 v28, v86, v80
	ds_read2_b64 v[80:83], v13 offset0:29 offset1:30
	v_fmac_f32_e32 v39, v87, v84
	ds_read2_b64 v[84:87], v13 offset0:31 offset1:32
	v_or_b32_e32 v113, v92, v114
	v_or_b32_e32 v114, v88, v124
	v_mul_f32_e32 v2, v68, v2
	s_waitcnt lgkmcnt(1)
	v_fmac_f32_e32 v28, v80, v116
	v_fmac_f32_e32 v39, v81, v117
	s_clause 0x3
	buffer_load_dword v96, off, s[0:3], s32 offset:716
	buffer_load_dword v97, off, s[0:3], s32 offset:720
	;; [unrolled: 1-line block ×4, first 2 shown]
	v_mul_f32_e32 v80, v68, v101
	v_mul_f32_e32 v81, v68, v100
	v_fmac_f32_e32 v28, v82, v80
	v_fmac_f32_e32 v39, v83, v81
	ds_read2_b64 v[80:83], v13 offset0:33 offset1:34
	s_waitcnt vmcnt(1)
	v_or_b32_e32 v100, v116, v96
	s_waitcnt vmcnt(0)
	v_or_b32_e32 v26, v117, v97
	v_or_b32_e32 v117, v72, v62
	;; [unrolled: 1-line block ×3, first 2 shown]
	v_mul_f32_e32 v100, v68, v100
	v_mul_f32_e32 v26, v68, v26
	s_waitcnt lgkmcnt(1)
	v_fmac_f32_e32 v28, v84, v100
	v_fmac_f32_e32 v39, v85, v26
	v_mul_f32_e32 v84, v68, v98
	v_or_b32_e32 v26, v76, v78
	v_fmac_f32_e32 v28, v86, v99
	v_fmac_f32_e32 v39, v87, v84
	ds_read2_b64 v[84:87], v13 offset0:35 offset1:36
	s_waitcnt lgkmcnt(1)
	v_fmac_f32_e32 v28, v80, v71
	v_fmac_f32_e32 v39, v81, v70
	;; [unrolled: 1-line block ×3, first 2 shown]
	s_clause 0x3
	buffer_load_dword v69, off, s[0:3], s32 offset:764
	buffer_load_dword v70, off, s[0:3], s32 offset:768
	;; [unrolled: 1-line block ×4, first 2 shown]
	v_fmac_f32_e32 v39, v83, v67
	ds_read2_b64 v[80:83], v13 offset0:37 offset1:38
	s_clause 0x5
	buffer_load_dword v98, off, s[0:3], s32 offset:796
	buffer_load_dword v99, off, s[0:3], s32 offset:800
	;; [unrolled: 1-line block ×6, first 2 shown]
	s_waitcnt vmcnt(7)
	v_or_b32_e32 v69, v96, v69
	s_waitcnt vmcnt(6)
	v_or_b32_e32 v70, v97, v70
	;; [unrolled: 2-line block ×4, first 2 shown]
	ds_read2_b64 v[98:101], v13 offset0:39 offset1:40
	s_clause 0x3
	buffer_load_dword v96, off, s[0:3], s32 offset:812
	buffer_load_dword v97, off, s[0:3], s32 offset:816
	;; [unrolled: 1-line block ×4, first 2 shown]
	v_mul_f32_e32 v69, v68, v69
	v_mul_f32_e32 v67, v68, v67
	;; [unrolled: 1-line block ×4, first 2 shown]
	s_waitcnt vmcnt(5)
	v_or_b32_e32 v23, v23, v56
	s_waitcnt lgkmcnt(2)
	v_fmac_f32_e32 v28, v84, v69
	s_waitcnt vmcnt(4)
	v_or_b32_e32 v24, v24, v57
	v_fmac_f32_e32 v39, v85, v70
	v_mul_f32_e32 v23, v68, v23
	v_fmac_f32_e32 v28, v86, v67
	v_fmac_f32_e32 v39, v87, v71
	ds_read2_b64 v[84:87], v13 offset0:41 offset1:42
	s_waitcnt lgkmcnt(2)
	v_fmac_f32_e32 v28, v80, v66
	v_fmac_f32_e32 v39, v81, v12
	v_mul_f32_e32 v12, v68, v54
	s_waitcnt vmcnt(1)
	v_or_b32_e32 v69, v44, v96
	s_waitcnt vmcnt(0)
	v_or_b32_e32 v67, v45, v97
	v_mul_f32_e32 v69, v68, v69
	v_mul_f32_e32 v66, v68, v67
	v_fmac_f32_e32 v28, v82, v69
	v_fmac_f32_e32 v39, v83, v66
	ds_read2_b64 v[80:83], v13 offset0:43 offset1:44
	s_waitcnt lgkmcnt(2)
	v_fmac_f32_e32 v28, v98, v55
	v_fmac_f32_e32 v39, v99, v12
	v_mul_f32_e32 v12, v68, v14
	v_mul_f32_e32 v14, v68, v24
	ds_read2_b64 v[96:99], v13 offset0:45 offset1:46
	v_fmac_f32_e32 v28, v100, v0
	v_or_b32_e32 v0, v59, v15
	v_fmac_f32_e32 v39, v101, v1
	v_mul_f32_e32 v1, v68, v52
	v_mul_f32_e32 v15, v68, v38
	s_waitcnt lgkmcnt(2)
	v_fmac_f32_e32 v28, v84, v23
	v_mul_f32_e32 v0, v68, v0
	v_fmac_f32_e32 v39, v85, v14
	v_mul_f32_e32 v14, v68, v20
	v_fmac_f32_e32 v28, v86, v12
	v_or_b32_e32 v12, v75, v21
	v_fmac_f32_e32 v39, v87, v0
	ds_read2_b64 v[84:87], v13 offset0:47 offset1:48
	v_or_b32_e32 v0, v61, v46
	s_waitcnt lgkmcnt(2)
	v_fmac_f32_e32 v28, v80, v1
	v_mul_f32_e32 v1, v68, v43
	v_mul_f32_e32 v12, v68, v12
	v_fmac_f32_e32 v39, v81, v15
	v_mul_f32_e32 v15, v68, v117
	v_fmac_f32_e32 v28, v82, v14
	v_or_b32_e32 v14, v73, v63
	v_mul_f32_e32 v0, v68, v0
	v_fmac_f32_e32 v39, v83, v12
	ds_read2_b64 v[80:83], v13 offset0:49 offset1:50
	s_waitcnt lgkmcnt(2)
	v_fmac_f32_e32 v28, v96, v1
	v_mul_f32_e32 v1, v68, v37
	v_mul_f32_e32 v12, v68, v14
	v_fmac_f32_e32 v39, v97, v0
	v_or_b32_e32 v0, v77, v79
	v_fmac_f32_e32 v28, v98, v15
	v_mul_f32_e32 v14, v68, v26
	v_mul_f32_e32 v15, v68, v34
	v_fmac_f32_e32 v39, v99, v12
	ds_read2_b64 v[96:99], v13 offset0:51 offset1:52
	s_waitcnt lgkmcnt(2)
	v_fmac_f32_e32 v28, v84, v1
	v_or_b32_e32 v1, v109, v105
	v_mul_f32_e32 v12, v68, v116
	v_mul_f32_e32 v0, v68, v0
	v_fmac_f32_e32 v39, v85, v15
	v_fmac_f32_e32 v28, v86, v14
	v_or_b32_e32 v14, v89, v125
	v_mul_f32_e32 v15, v68, v114
	v_mul_f32_e32 v1, v68, v1
	v_fmac_f32_e32 v39, v87, v0
	s_waitcnt lgkmcnt(1)
	v_fmac_f32_e32 v28, v80, v12
	ds_read2_b64 v[84:87], v13 offset0:53 offset1:54
	v_mul_f32_e32 v0, v68, v33
	v_mul_f32_e32 v12, v68, v14
	v_fmac_f32_e32 v39, v81, v1
	v_fmac_f32_e32 v28, v82, v15
	v_or_b32_e32 v1, v93, v115
	v_mul_f32_e32 v14, v68, v113
	v_fmac_f32_e32 v39, v83, v12
	s_waitcnt lgkmcnt(1)
	v_fmac_f32_e32 v28, v96, v0
	ds_read2_b64 v[80:83], v13 offset0:55 offset1:56
	v_or_b32_e32 v0, v107, v11
	v_mul_f32_e32 v1, v68, v1
	v_fmac_f32_e32 v39, v97, v3
	v_mul_f32_e32 v3, v68, v10
	v_fmac_f32_e32 v28, v98, v14
	v_mul_f32_e32 v0, v68, v0
	v_mul_f32_e32 v11, v68, v17
	v_fmac_f32_e32 v39, v99, v1
	v_mul_f32_e32 v1, v68, v4
	s_waitcnt lgkmcnt(1)
	v_fmac_f32_e32 v28, v84, v3
	ds_read2_b64 v[96:99], v13 offset0:57 offset1:58
	v_mul_f32_e32 v3, v68, v5
	v_fmac_f32_e32 v39, v85, v0
	v_mul_f32_e32 v0, v68, v8
	v_fmac_f32_e32 v28, v86, v1
	v_or_b32_e32 v1, v123, v7
	v_mul_f32_e32 v7, v68, v9
	v_fmac_f32_e32 v39, v87, v3
	v_mul_f32_e32 v8, v68, v6
	s_waitcnt lgkmcnt(1)
	v_fmac_f32_e32 v28, v80, v0
	ds_read2_b64 v[3:6], v13 offset0:59 offset1:60
	v_mul_f32_e32 v0, v68, v1
	v_fmac_f32_e32 v39, v81, v7
	v_or_b32_e32 v1, v25, v18
	v_mul_f32_e32 v7, v68, v16
	v_fmac_f32_e32 v28, v82, v8
	v_mul_f32_e32 v12, v68, v31
	v_fmac_f32_e32 v39, v83, v0
	v_mul_f32_e32 v1, v68, v1
	v_mul_f32_e32 v0, v68, v19
	s_waitcnt lgkmcnt(1)
	v_fmac_f32_e32 v28, v96, v7
	ds_read2_b64 v[7:10], v13 offset0:61 offset1:62
	v_fmac_f32_e32 v39, v97, v11
	v_or_b32_e32 v11, v112, v94
	v_mul_f32_e32 v14, v68, v32
	v_fmac_f32_e32 v28, v98, v1
	v_fmac_f32_e32 v39, v99, v0
	v_mul_f32_e32 v11, v68, v11
	ds_read_b64 v[0:1], v13 offset:504
	s_waitcnt lgkmcnt(2)
	v_fmac_f32_e32 v28, v3, v12
	v_mul_f32_e32 v12, v68, v48
	v_fmac_f32_e32 v39, v4, v14
	v_mul_f32_e32 v4, v68, v49
	v_mul_f32_e32 v3, v68, v51
	v_fmac_f32_e32 v28, v5, v11
	v_or_b32_e32 v5, v42, v36
	v_fmac_f32_e32 v39, v6, v2
	v_mul_f32_e32 v2, v68, v50
	v_or_b32_e32 v6, v41, v35
	s_waitcnt lgkmcnt(1)
	v_fmac_f32_e32 v28, v7, v12
	v_mbcnt_lo_u32_b32 v7, -1, 0
	v_fmac_f32_e32 v39, v8, v4
	v_mul_f32_e32 v5, v68, v5
	v_mul_f32_e32 v6, v68, v6
	v_fmac_f32_e32 v28, v9, v2
	v_xor_b32_e32 v4, 1, v7
	v_fmac_f32_e32 v39, v10, v3
	s_waitcnt lgkmcnt(0)
	v_fmac_f32_e32 v28, v0, v6
	v_cmp_gt_i32_e64 s6, 32, v4
	v_fmac_f32_e32 v39, v1, v5
	v_cndmask_b32_e64 v2, v7, v4, s6
	v_add_f32_e32 v0, v28, v39
	v_lshlrev_b32_e32 v1, 2, v2
	ds_bpermute_b32 v1, v1, v0
	s_and_saveexec_b32 s24, vcc_lo
	s_cbranch_execz .LBB216_11
; %bb.1043:                             ;   in Loop: Header=BB216_13 Depth=1
	s_clause 0x1
	buffer_load_dword v2, off, s[0:3], s32 offset:1108
	buffer_load_dword v3, off, s[0:3], s32 offset:1100
	s_waitcnt lgkmcnt(0)
	v_add_f32_e32 v0, v0, v1
	s_load_dword s25, s[8:9], 0x0
	s_waitcnt vmcnt(1)
	v_add_nc_u32_e32 v2, v2, v22
	v_cvt_f32_i32_e32 v2, v2
	s_waitcnt vmcnt(0)
	v_mul_f32_e32 v2, v3, v2
	buffer_load_dword v3, off, s[0:3], s32 offset:1096 ; 4-byte Folded Reload
	v_cndmask_b32_e64 v1, 0, v2, s5
	buffer_load_dword v2, off, s[0:3], s32 offset:1104 ; 4-byte Folded Reload
	s_waitcnt vmcnt(1)
	v_fmac_f32_e32 v1, v3, v0
	buffer_load_dword v3, off, s[0:3], s32 offset:1084 ; 4-byte Folded Reload
	s_waitcnt vmcnt(1)
	v_add_nc_u32_e32 v2, v2, v22
	v_cmp_lt_i32_e64 s6, v2, v27
	s_waitcnt lgkmcnt(0)
	v_add_nc_u32_e32 v2, s25, v30
	s_waitcnt vmcnt(0)
	v_max_f32_e32 v0, v3, v3
	v_max_f32_e32 v0, v0, v1
	v_cndmask_b32_e64 v1, 0, v1, s6
	v_cndmask_b32_e64 v3, v3, v0, s6
	ds_write_b32 v2, v1
	buffer_store_dword v3, off, s[0:3], s32 offset:1084 ; 4-byte Folded Spill
	s_branch .LBB216_11
.LBB216_1044:
	s_or_b32 exec_lo, exec_lo, s23
	s_clause 0x10
	buffer_load_dword v15, off, s[0:3], s32 offset:1128
	buffer_load_dword v14, off, s[0:3], s32 offset:1132
	;; [unrolled: 1-line block ×17, first 2 shown]
.LBB216_1045:
	s_or_b32 exec_lo, exec_lo, s22
	v_mbcnt_lo_u32_b32 v6, -1, 0
	s_waitcnt vmcnt(0)
	v_max_f32_e32 v4, v20, v20
	s_waitcnt lgkmcnt(0)
	s_lshr_b32 s8, s21, 16
	v_xor_b32_e32 v0, 16, v6
	v_xor_b32_e32 v1, 8, v6
	;; [unrolled: 1-line block ×3, first 2 shown]
	v_cmp_gt_i32_e32 vcc_lo, 32, v0
	v_cndmask_b32_e32 v0, v6, v0, vcc_lo
	v_cmp_gt_i32_e32 vcc_lo, 32, v1
	v_lshlrev_b32_e32 v2, 2, v0
	v_cndmask_b32_e32 v1, v6, v1, vcc_lo
	ds_bpermute_b32 v0, v2, v20
	v_lshlrev_b32_e32 v3, 2, v1
	s_waitcnt lgkmcnt(0)
	v_max_f32_e32 v0, v0, v0
	v_max_f32_e32 v0, v4, v0
	v_xor_b32_e32 v4, 4, v6
	ds_bpermute_b32 v1, v3, v0
	v_cmp_gt_i32_e32 vcc_lo, 32, v4
	v_cndmask_b32_e32 v4, v6, v4, vcc_lo
	v_cmp_gt_i32_e32 vcc_lo, 32, v5
	v_lshlrev_b32_e32 v4, 2, v4
	v_cndmask_b32_e32 v5, v6, v5, vcc_lo
	v_lshlrev_b32_e32 v28, 2, v5
	buffer_load_dword v5, off, s[0:3], s32 offset:1064 ; 4-byte Folded Reload
	s_waitcnt lgkmcnt(0)
	v_max_f32_e32 v1, v1, v1
	v_max_f32_e32 v0, v0, v1
	ds_bpermute_b32 v1, v4, v0
	s_waitcnt lgkmcnt(0)
	v_max_f32_e32 v1, v1, v1
	v_max_f32_e32 v0, v0, v1
	ds_bpermute_b32 v1, v28, v0
	s_waitcnt vmcnt(0)
	v_and_b32_e32 v65, 31, v5
	buffer_load_dword v5, off, s[0:3], s32 offset:1112 ; 4-byte Folded Reload
	v_cmp_eq_u32_e32 vcc_lo, 0, v65
	s_waitcnt vmcnt(0)
	v_lshlrev_b32_e32 v5, 2, v5
	s_and_saveexec_b32 s5, vcc_lo
	s_cbranch_execz .LBB216_1047
; %bb.1046:
	s_waitcnt lgkmcnt(0)
	v_max_f32_e32 v1, v1, v1
	v_max_f32_e32 v0, v0, v0
	v_max_f32_e32 v0, v0, v1
	ds_write_b32 v5, v0 offset:1024
.LBB216_1047:
	s_or_b32 exec_lo, exec_lo, s5
	v_cmp_gt_u32_e64 s5, 4, v65
	v_mov_b32_e32 v0, 0xff7fffff
	v_lshlrev_b32_e32 v6, 2, v65
	s_waitcnt lgkmcnt(0)
	s_waitcnt_vscnt null, 0x0
	s_barrier
	buffer_gl0_inv
	s_and_saveexec_b32 s6, s5
; %bb.1048:
	ds_read_b32 v0, v6 offset:1024
; %bb.1049:
	s_or_b32 exec_lo, exec_lo, s6
	v_mbcnt_lo_u32_b32 v8, -1, 0
	s_waitcnt lgkmcnt(0)
	ds_bpermute_b32 v1, v28, v0
	v_max_f32_e32 v0, v0, v0
	v_xor_b32_e32 v7, 1, v8
	v_cmp_gt_i32_e64 s6, 32, v7
	v_cndmask_b32_e64 v7, v8, v7, s6
	v_lshlrev_b32_e32 v29, 2, v7
	buffer_load_dword v7, off, s[0:3], s32 offset:240 ; 4-byte Folded Reload
	s_waitcnt lgkmcnt(0)
	v_max_f32_e32 v1, v1, v1
	v_max_f32_e32 v0, v0, v1
	ds_bpermute_b32 v1, v29, v0
	s_waitcnt lgkmcnt(0)
	v_max_f32_e32 v1, v1, v1
	v_max_f32_e32 v0, v0, v1
	s_waitcnt vmcnt(0)
	v_subrev_nc_u32_e32 v8, s13, v7
	v_mov_b32_e32 v7, 0
	v_lshl_add_u32 v1, v8, 4, s20
	buffer_load_dword v8, off, s[0:3], s32 offset:1064 ; 4-byte Folded Reload
	ds_bpermute_b32 v0, v7, v0
	v_min_i32_e32 v1, v1, v27
	v_subrev_nc_u32_e32 v1, s20, v1
	s_waitcnt vmcnt(0)
	v_cmp_lt_i32_e64 s6, v8, v1
	s_and_saveexec_b32 s9, s6
	s_cbranch_execz .LBB216_1053
; %bb.1050:
	buffer_load_dword v9, off, s[0:3], s32 offset:1064 ; 4-byte Folded Reload
	s_getpc_b64 s[20:21]
	s_add_u32 s20, s20, llvm.amdgcn.dynlds.offset.table@rel32@lo+4
	s_addc_u32 s21, s21, llvm.amdgcn.dynlds.offset.table@rel32@hi+12
	s_ashr_i32 s17, s16, 31
	v_mov_b32_e32 v7, 0
	s_lshl_b64 s[22:23], s[16:17], 2
	s_mov_b32 s13, 0
	s_add_u32 s20, s20, s22
	s_addc_u32 s21, s21, s23
	s_load_dword s7, s[20:21], 0x0
	s_waitcnt vmcnt(0) lgkmcnt(0)
	v_lshl_add_u32 v8, v9, 2, s7
	.p2align	6
.LBB216_1051:                           ; =>This Inner Loop Header: Depth=1
	ds_read_b32 v10, v8
	v_add_nc_u32_e32 v9, 0x80, v9
	v_cmp_ge_i32_e64 s7, v9, v1
	s_or_b32 s13, s7, s13
	s_waitcnt lgkmcnt(0)
	v_sub_f32_e32 v10, v10, v0
	v_mul_f32_e32 v10, 0x3fb8aa3b, v10
	v_exp_f32_e32 v10, v10
	ds_write_b32 v8, v10
	v_add_f32_e32 v7, v7, v10
	v_add_nc_u32_e32 v8, 0x200, v8
	s_andn2_b32 exec_lo, exec_lo, s13
	s_cbranch_execnz .LBB216_1051
; %bb.1052:
	s_or_b32 exec_lo, exec_lo, s13
.LBB216_1053:
	s_or_b32 exec_lo, exec_lo, s9
	ds_bpermute_b32 v2, v2, v7
	s_waitcnt lgkmcnt(0)
	v_add_f32_e32 v2, v7, v2
	ds_bpermute_b32 v3, v3, v2
	s_waitcnt lgkmcnt(0)
	v_add_f32_e32 v2, v2, v3
	;; [unrolled: 3-line block ×5, first 2 shown]
	s_and_saveexec_b32 s7, vcc_lo
; %bb.1054:
	ds_write_b32 v5, v2 offset:1040
; %bb.1055:
	s_or_b32 exec_lo, exec_lo, s7
	s_waitcnt lgkmcnt(0)
	s_barrier
	buffer_gl0_inv
	s_and_saveexec_b32 s7, s5
; %bb.1056:
	ds_read_b32 v2, v6 offset:1040
; %bb.1057:
	s_or_b32 exec_lo, exec_lo, s7
	s_waitcnt lgkmcnt(0)
	ds_bpermute_b32 v3, v28, v2
	s_waitcnt lgkmcnt(0)
	v_add_f32_e32 v2, v2, v3
	ds_bpermute_b32 v3, v29, v2
	s_waitcnt lgkmcnt(0)
	v_add_f32_e32 v2, v2, v3
	v_mov_b32_e32 v3, 0
	ds_bpermute_b32 v2, v3, v2
	s_and_saveexec_b32 s5, s6
	s_cbranch_execz .LBB216_1060
; %bb.1058:
	s_waitcnt lgkmcnt(0)
	v_add_f32_e32 v4, 0x358637bd, v2
	s_getpc_b64 s[6:7]
	s_add_u32 s6, s6, llvm.amdgcn.dynlds.offset.table@rel32@lo+4
	s_addc_u32 s7, s7, llvm.amdgcn.dynlds.offset.table@rel32@hi+12
	s_ashr_i32 s17, s16, 31
	s_lshl_b64 s[20:21], s[16:17], 2
	v_div_scale_f32 v3, null, v4, v4, 1.0
	v_div_scale_f32 v7, vcc_lo, 1.0, v4, 1.0
	s_add_u32 s6, s6, s20
	v_rcp_f32_e32 v5, v3
	s_addc_u32 s7, s7, s21
	s_load_dword s6, s[6:7], 0x0
	v_fma_f32 v6, -v3, v5, 1.0
	v_fmac_f32_e32 v5, v6, v5
	v_mul_f32_e32 v6, v7, v5
	v_fma_f32 v8, -v3, v6, v7
	v_fmac_f32_e32 v6, v8, v5
	v_fma_f32 v3, -v3, v6, v7
	v_div_fmas_f32 v5, v3, v5, v6
	buffer_load_dword v6, off, s[0:3], s32 offset:1064 ; 4-byte Folded Reload
	v_div_fixup_f32 v4, v5, v4, 1.0
	s_waitcnt vmcnt(0) lgkmcnt(0)
	v_lshl_add_u32 v3, v6, 2, s6
	v_mov_b32_e32 v5, v6
	s_mov_b32 s6, 0
.LBB216_1059:                           ; =>This Inner Loop Header: Depth=1
	ds_read_b32 v6, v3
	v_add_nc_u32_e32 v5, 0x80, v5
	v_cmp_ge_i32_e32 vcc_lo, v5, v1
	s_or_b32 s6, vcc_lo, s6
	s_waitcnt lgkmcnt(0)
	v_mul_f32_e32 v6, v4, v6
	ds_write_b32 v3, v6
	v_add_nc_u32_e32 v3, 0x200, v3
	s_andn2_b32 exec_lo, exec_lo, s6
	s_cbranch_execnz .LBB216_1059
.LBB216_1060:
	s_or_b32 exec_lo, exec_lo, s5
	s_waitcnt lgkmcnt(0)
	buffer_load_dword v1, off, s[0:3], s32 offset:1064 ; 4-byte Folded Reload
	s_and_b32 s5, 0xffff, s8
	s_mov_b32 s8, exec_lo
	s_cmp_lg_u32 s5, 0
	s_barrier
	s_cselect_b32 s5, -1, 0
	s_waitcnt vmcnt(0)
	buffer_gl0_inv
	s_cmp_lg_u32 s5, 0
	s_addc_u32 s5, s11, 0
	s_mul_i32 s6, s5, s18
	s_mul_i32 s6, s6, s15
	v_cmpx_eq_u32_e32 0, v1
	s_cbranch_execz .LBB216_1062
; %bb.1061:
	s_ashr_i32 s7, s6, 31
	s_mul_i32 s12, s5, s12
	s_lshl_b64 s[20:21], s[6:7], 2
	s_ashr_i32 s13, s12, 31
	v_add_co_u32 v1, vcc_lo, v33, s20
	v_add_co_ci_u32_e64 v3, null, s21, v32, vcc_lo
	s_lshl_b64 s[12:13], s[12:13], 2
	s_ashr_i32 s15, s14, 31
	v_add_co_u32 v1, vcc_lo, v1, s12
	v_add_co_ci_u32_e64 v4, null, s13, v3, vcc_lo
	v_add_co_u32 v3, vcc_lo, v26, s20
	v_add_co_ci_u32_e64 v5, null, s21, v25, vcc_lo
	s_lshl_b64 s[20:21], s[14:15], 2
	v_add_co_u32 v6, vcc_lo, v3, s12
	v_add_co_ci_u32_e64 v7, null, s13, v5, vcc_lo
	v_add_co_u32 v3, vcc_lo, v1, s20
	v_add_co_ci_u32_e64 v4, null, s21, v4, vcc_lo
	;; [unrolled: 2-line block ×3, first 2 shown]
	flat_store_dword v[3:4], v0
	flat_store_dword v[5:6], v2
.LBB216_1062:
	s_or_b32 exec_lo, exec_lo, s8
	buffer_load_dword v0, off, s[0:3], s32 offset:1064 ; 4-byte Folded Reload
	s_ashr_i32 s17, s16, 31
	s_getpc_b64 s[8:9]
	s_add_u32 s8, s8, llvm.amdgcn.dynlds.offset.table@rel32@lo+4
	s_addc_u32 s9, s9, llvm.amdgcn.dynlds.offset.table@rel32@hi+12
	s_lshl_b64 s[12:13], s[16:17], 2
	v_mov_b32_e32 v80, 0
	v_mov_b32_e32 v81, 0
	v_mov_b32_e32 v71, 0
	v_mov_b32_e32 v6, 0
	v_mov_b32_e32 v70, 0
	v_mov_b32_e32 v69, 0
	v_mov_b32_e32 v68, 0
	v_mov_b32_e32 v67, 0
	v_mov_b32_e32 v64, 0
	v_mov_b32_e32 v32, 0
	v_mov_b32_e32 v31, 0
	v_mov_b32_e32 v25, 0
	v_mov_b32_e32 v23, 0
	v_mov_b32_e32 v26, 0
	v_mov_b32_e32 v21, 0
	v_mov_b32_e32 v20, 0
	v_mov_b32_e32 v38, 0
	v_mov_b32_e32 v37, 0
	v_mov_b32_e32 v36, 0
	v_mov_b32_e32 v35, 0
	v_mov_b32_e32 v34, 0
	v_mov_b32_e32 v33, 0
	v_mov_b32_e32 v51, 0
	v_mov_b32_e32 v50, 0
	v_mov_b32_e32 v49, 0
	v_mov_b32_e32 v48, 0
	v_mov_b32_e32 v39, 0
	v_mov_b32_e32 v55, 0
	v_mov_b32_e32 v54, 0
	v_mov_b32_e32 v53, 0
	v_mov_b32_e32 v52, 0
	v_mov_b32_e32 v104, 0
	s_add_u32 s8, s8, s12
	s_addc_u32 s9, s9, s13
	s_waitcnt vmcnt(0)
	v_and_b32_e32 v66, 3, v0
	s_and_saveexec_b32 s7, s4
	s_cbranch_execz .LBB216_2156
; %bb.1063:
	v_max_i32_e32 v87, v30, v18
	v_and_b32_e32 v1, 12, v19
	buffer_store_dword v65, off, s[0:3], s32 offset:772 ; 4-byte Folded Spill
	s_load_dword s4, s[8:9], 0x0
	v_mov_b32_e32 v5, 0
	v_cvt_f32_u32_e32 v0, v87
	buffer_store_dword v1, off, s[0:3], s32 offset:732 ; 4-byte Folded Spill
	v_lshlrev_b32_e32 v3, 4, v66
	v_sub_nc_u32_e32 v4, 0, v87
	v_mov_b32_e32 v9, 0
	v_rcp_iflag_f32_e32 v2, v0
	v_add_co_u32 v0, vcc_lo, v24, v12
	v_add_co_ci_u32_e64 v1, null, v22, v11, vcc_lo
	v_mov_b32_e32 v100, 0x80
	v_bfrev_b32_e32 v11, 1
	buffer_store_dword v0, off, s[0:3], s32 offset:740 ; 4-byte Folded Spill
	buffer_store_dword v1, off, s[0:3], s32 offset:744 ; 4-byte Folded Spill
	v_and_b32_e32 v0, 0x7c, v19
	v_mul_f32_e32 v2, 0x4f7ffffe, v2
	v_mov_b32_e32 v102, 0xff
	v_mov_b32_e32 v104, 0
	;; [unrolled: 1-line block ×3, first 2 shown]
	buffer_store_dword v0, off, s[0:3], s32 offset:748 ; 4-byte Folded Spill
	v_add_nc_u32_e32 v0, -1, v13
	v_cvt_u32_f32_e32 v2, v2
	v_mov_b32_e32 v13, 0x7f800001
	v_mov_b32_e32 v21, 0
	v_mov_b32_e32 v6, 0
	buffer_store_dword v0, off, s[0:3], s32 offset:756 ; 4-byte Folded Spill
	v_or_b32_e32 v0, 0xf80, v19
	v_mul_lo_u32 v4, v4, v2
	s_mov_b32 s11, 0
	buffer_store_dword v0, off, s[0:3], s32 offset:764 ; 4-byte Folded Spill
	s_clause 0x1
	buffer_load_dword v0, off, s[0:3], s32 offset:216
	buffer_load_dword v1, off, s[0:3], s32 offset:220
	buffer_store_dword v5, off, s[0:3], s32 offset:476 ; 4-byte Folded Spill
	v_mov_b32_e32 v5, 0
	v_mul_hi_u32 v4, v2, v4
	buffer_store_dword v66, off, s[0:3], s32 offset:780 ; 4-byte Folded Spill
	buffer_store_dword v5, off, s[0:3], s32 offset:484 ; 4-byte Folded Spill
	v_mov_b32_e32 v5, 0
	buffer_store_dword v5, off, s[0:3], s32 offset:492 ; 4-byte Folded Spill
	v_mov_b32_e32 v5, 0
	;; [unrolled: 2-line block ×6, first 2 shown]
	buffer_store_dword v5, off, s[0:3], s32 offset:532 ; 4-byte Folded Spill
	buffer_load_dword v5, off, s[0:3], s32 offset:1112 ; 4-byte Folded Reload
	s_waitcnt vmcnt(1)
	v_lshlrev_b64 v[0:1], 2, v[0:1]
	v_add_co_u32 v0, vcc_lo, v16, v0
	v_add_co_ci_u32_e64 v1, null, v17, v1, vcc_lo
	v_add_co_u32 v14, vcc_lo, v14, v0
	v_add_nc_u32_e32 v0, v2, v4
	v_add_co_ci_u32_e64 v15, null, v15, v1, vcc_lo
	buffer_store_dword v0, off, s[0:3], s32 offset:700 ; 4-byte Folded Spill
	v_mov_b32_e32 v0, 0
	buffer_store_dword v0, off, s[0:3], s32 offset:540 ; 4-byte Folded Spill
	v_mov_b32_e32 v0, 0
	;; [unrolled: 2-line block ×5, first 2 shown]
	s_waitcnt vmcnt(0)
	v_lshl_or_b32 v3, v5, 6, v3
	buffer_load_dword v5, off, s[0:3], s32 offset:1124 ; 4-byte Folded Reload
	buffer_store_dword v0, off, s[0:3], s32 offset:572 ; 4-byte Folded Spill
	v_mov_b32_e32 v0, 0
	s_waitcnt lgkmcnt(0)
	v_add_nc_u32_e32 v113, s4, v3
	buffer_store_dword v0, off, s[0:3], s32 offset:580 ; 4-byte Folded Spill
	v_mov_b32_e32 v0, 0
	buffer_store_dword v0, off, s[0:3], s32 offset:588 ; 4-byte Folded Spill
	v_mov_b32_e32 v0, 0
	;; [unrolled: 2-line block ×14, first 2 shown]
	buffer_store_dword v0, off, s[0:3], s32 offset:684 ; 4-byte Folded Spill
	s_branch .LBB216_1066
.LBB216_1064:                           ;   in Loop: Header=BB216_1066 Depth=1
	s_or_b32 exec_lo, exec_lo, s4
	v_mul_f32_e32 v12, v1, v93
	v_mul_f32_e32 v16, v1, v103
	;; [unrolled: 1-line block ×5, first 2 shown]
	v_fmac_f32_e32 v12, v0, v112
	v_fmac_f32_e32 v16, v0, v101
	;; [unrolled: 1-line block ×11, first 2 shown]
	buffer_load_dword v22, off, s[0:3], s32 offset:476 ; 4-byte Folded Reload
	v_fmac_f32_e32 v16, v3, v24
	v_fmac_f32_e32 v17, v3, v89
	;; [unrolled: 1-line block ×4, first 2 shown]
	v_mul_f32_e32 v20, v1, v72
	v_mul_f32_e32 v21, v1, v60
	v_fmac_f32_e32 v20, v0, v63
	v_fmac_f32_e32 v21, v0, v59
	;; [unrolled: 1-line block ×6, first 2 shown]
	s_waitcnt vmcnt(0)
	v_add_f32_e32 v22, v22, v12
	buffer_load_dword v12, off, s[0:3], s32 offset:484 ; 4-byte Folded Reload
	buffer_store_dword v22, off, s[0:3], s32 offset:476 ; 4-byte Folded Spill
	s_waitcnt vmcnt(0)
	v_add_f32_e32 v12, v12, v16
	v_mul_f32_e32 v16, v1, v118
	buffer_store_dword v12, off, s[0:3], s32 offset:484 ; 4-byte Folded Spill
	buffer_load_dword v12, off, s[0:3], s32 offset:492 ; 4-byte Folded Reload
	v_fmac_f32_e32 v16, v0, v117
	v_fmac_f32_e32 v16, v2, v116
	v_fmac_f32_e32 v16, v3, v115
	s_waitcnt vmcnt(0)
	v_add_f32_e32 v12, v12, v17
	v_mul_f32_e32 v17, v1, v86
	buffer_store_dword v12, off, s[0:3], s32 offset:492 ; 4-byte Folded Spill
	buffer_load_dword v12, off, s[0:3], s32 offset:500 ; 4-byte Folded Reload
	v_fmac_f32_e32 v17, v0, v85
	v_fmac_f32_e32 v17, v2, v84
	v_fmac_f32_e32 v17, v3, v83
	;; [unrolled: 8-line block ×4, first 2 shown]
	s_waitcnt vmcnt(0)
	v_add_f32_e32 v12, v12, v20
	buffer_load_dword v20, off, s[0:3], s32 offset:532 ; 4-byte Folded Reload
	buffer_store_dword v12, off, s[0:3], s32 offset:516 ; 4-byte Folded Spill
	buffer_load_dword v12, off, s[0:3], s32 offset:524 ; 4-byte Folded Reload
	s_waitcnt vmcnt(0)
	v_add_f32_e32 v12, v12, v21
	buffer_load_dword v21, off, s[0:3], s32 offset:716 ; 4-byte Folded Reload
	buffer_store_dword v12, off, s[0:3], s32 offset:524 ; 4-byte Folded Spill
	v_mul_f32_e32 v12, v1, v56
	v_fmac_f32_e32 v12, v0, v46
	v_fmac_f32_e32 v12, v2, v45
	;; [unrolled: 1-line block ×3, first 2 shown]
	v_add_f32_e32 v20, v20, v12
	buffer_load_dword v12, off, s[0:3], s32 offset:540 ; 4-byte Folded Reload
	buffer_store_dword v20, off, s[0:3], s32 offset:532 ; 4-byte Folded Spill
	buffer_load_dword v20, off, s[0:3], s32 offset:572 ; 4-byte Folded Reload
	s_waitcnt vmcnt(1)
	v_add_f32_e32 v12, v12, v16
	v_mul_f32_e32 v16, v1, v55
	buffer_store_dword v12, off, s[0:3], s32 offset:540 ; 4-byte Folded Spill
	buffer_load_dword v12, off, s[0:3], s32 offset:548 ; 4-byte Folded Reload
	v_fmac_f32_e32 v16, v0, v54
	v_fmac_f32_e32 v16, v2, v53
	v_fmac_f32_e32 v16, v3, v52
	s_waitcnt vmcnt(0)
	v_add_f32_e32 v12, v12, v17
	v_mul_f32_e32 v17, v1, v51
	buffer_store_dword v12, off, s[0:3], s32 offset:548 ; 4-byte Folded Spill
	buffer_load_dword v12, off, s[0:3], s32 offset:556 ; 4-byte Folded Reload
	v_fmac_f32_e32 v17, v0, v50
	v_fmac_f32_e32 v17, v2, v49
	v_fmac_f32_e32 v17, v3, v48
	;; [unrolled: 8-line block ×3, first 2 shown]
	s_waitcnt vmcnt(0)
	v_add_f32_e32 v12, v12, v19
	v_mul_f32_e32 v19, v1, v35
	buffer_store_dword v12, off, s[0:3], s32 offset:564 ; 4-byte Folded Spill
	v_mul_f32_e32 v12, v1, v66
	v_fmac_f32_e32 v19, v0, v34
	v_fmac_f32_e32 v12, v0, v65
	;; [unrolled: 1-line block ×6, first 2 shown]
	v_add_f32_e32 v20, v20, v12
	buffer_load_dword v12, off, s[0:3], s32 offset:580 ; 4-byte Folded Reload
	buffer_store_dword v20, off, s[0:3], s32 offset:572 ; 4-byte Folded Spill
	buffer_load_dword v20, off, s[0:3], s32 offset:708 ; 4-byte Folded Reload
	s_waitcnt vmcnt(1)
	v_add_f32_e32 v12, v12, v16
	v_mul_f32_e32 v16, v1, v98
	buffer_store_dword v12, off, s[0:3], s32 offset:580 ; 4-byte Folded Spill
	buffer_load_dword v12, off, s[0:3], s32 offset:588 ; 4-byte Folded Reload
	v_fmac_f32_e32 v16, v0, v97
	s_waitcnt vmcnt(1)
	v_add_f32_e32 v20, v20, v18
	v_mul_f32_e32 v18, v1, v124
	v_fmac_f32_e32 v16, v2, v96
	v_fmac_f32_e32 v18, v0, v123
	;; [unrolled: 1-line block ×5, first 2 shown]
	s_waitcnt vmcnt(0)
	v_add_f32_e32 v12, v12, v17
	v_mul_f32_e32 v17, v1, v31
	buffer_store_dword v12, off, s[0:3], s32 offset:588 ; 4-byte Folded Spill
	v_mul_f32_e32 v12, v1, v114
	v_fmac_f32_e32 v17, v0, v127
	v_fmac_f32_e32 v12, v0, v7
	v_fmac_f32_e32 v17, v2, v126
	buffer_load_dword v7, off, s[0:3], s32 offset:468 ; 4-byte Folded Reload
	v_fmac_f32_e32 v12, v2, v6
	buffer_load_dword v6, off, s[0:3], s32 offset:596 ; 4-byte Folded Reload
	v_fmac_f32_e32 v17, v3, v125
	v_fmac_f32_e32 v12, v3, v99
	s_waitcnt vmcnt(0)
	v_add_f32_e32 v6, v6, v12
	buffer_load_dword v12, off, s[0:3], s32 offset:436 ; 4-byte Folded Reload
	buffer_store_dword v6, off, s[0:3], s32 offset:596 ; 4-byte Folded Spill
	buffer_load_dword v6, off, s[0:3], s32 offset:604 ; 4-byte Folded Reload
	s_waitcnt vmcnt(0)
	v_add_f32_e32 v6, v6, v16
	buffer_load_dword v16, off, s[0:3], s32 offset:404 ; 4-byte Folded Reload
	buffer_store_dword v6, off, s[0:3], s32 offset:604 ; 4-byte Folded Spill
	buffer_load_dword v6, off, s[0:3], s32 offset:612 ; 4-byte Folded Reload
	;; [unrolled: 5-line block ×3, first 2 shown]
	s_waitcnt vmcnt(0)
	v_add_f32_e32 v6, v6, v18
	buffer_load_dword v18, off, s[0:3], s32 offset:460 ; 4-byte Folded Reload
	v_mul_f32_e32 v7, v1, v7
	buffer_store_dword v6, off, s[0:3], s32 offset:620 ; 4-byte Folded Spill
	buffer_load_dword v6, off, s[0:3], s32 offset:628 ; 4-byte Folded Reload
	s_waitcnt vmcnt(1)
	v_fmac_f32_e32 v7, v0, v18
	buffer_load_dword v18, off, s[0:3], s32 offset:428 ; 4-byte Folded Reload
	v_mul_f32_e32 v12, v1, v12
	s_waitcnt vmcnt(0)
	v_fmac_f32_e32 v12, v0, v18
	buffer_load_dword v18, off, s[0:3], s32 offset:396 ; 4-byte Folded Reload
	v_mul_f32_e32 v16, v1, v16
	;; [unrolled: 4-line block ×3, first 2 shown]
	s_waitcnt vmcnt(0)
	v_fmac_f32_e32 v17, v0, v18
	buffer_load_dword v18, off, s[0:3], s32 offset:452 ; 4-byte Folded Reload
	s_waitcnt vmcnt(0)
	v_fmac_f32_e32 v7, v2, v18
	buffer_load_dword v18, off, s[0:3], s32 offset:420 ; 4-byte Folded Reload
	;; [unrolled: 3-line block ×4, first 2 shown]
	v_add_f32_e32 v21, v21, v19
	v_mul_f32_e32 v19, v1, v120
	v_fmac_f32_e32 v19, v0, v111
	v_fmac_f32_e32 v19, v2, v110
	;; [unrolled: 1-line block ×3, first 2 shown]
	s_waitcnt vmcnt(0)
	v_fmac_f32_e32 v17, v2, v18
	buffer_load_dword v18, off, s[0:3], s32 offset:444 ; 4-byte Folded Reload
	s_waitcnt vmcnt(0)
	v_fmac_f32_e32 v7, v3, v18
	buffer_load_dword v18, off, s[0:3], s32 offset:412 ; 4-byte Folded Reload
	;; [unrolled: 3-line block ×4, first 2 shown]
	v_add_f32_e32 v6, v6, v19
	buffer_store_dword v6, off, s[0:3], s32 offset:628 ; 4-byte Folded Spill
	v_mul_f32_e32 v6, v1, v108
	v_fmac_f32_e32 v6, v0, v107
	v_fmac_f32_e32 v6, v2, v106
	;; [unrolled: 1-line block ×3, first 2 shown]
	s_waitcnt vmcnt(0)
	v_fmac_f32_e32 v17, v3, v18
	buffer_load_dword v18, off, s[0:3], s32 offset:636 ; 4-byte Folded Reload
	s_waitcnt vmcnt(0)
	v_add_f32_e32 v18, v18, v6
	buffer_load_dword v6, off, s[0:3], s32 offset:644 ; 4-byte Folded Reload
	buffer_store_dword v18, off, s[0:3], s32 offset:636 ; 4-byte Folded Spill
	s_waitcnt vmcnt(0)
	v_add_f32_e32 v6, v6, v7
	buffer_load_dword v7, off, s[0:3], s32 offset:308 ; 4-byte Folded Reload
	buffer_store_dword v6, off, s[0:3], s32 offset:644 ; 4-byte Folded Spill
	buffer_load_dword v6, off, s[0:3], s32 offset:652 ; 4-byte Folded Reload
	s_waitcnt vmcnt(0)
	v_add_f32_e32 v6, v6, v12
	buffer_load_dword v12, off, s[0:3], s32 offset:276 ; 4-byte Folded Reload
	v_mul_f32_e32 v7, v1, v7
	buffer_store_dword v6, off, s[0:3], s32 offset:652 ; 4-byte Folded Spill
	buffer_load_dword v6, off, s[0:3], s32 offset:660 ; 4-byte Folded Reload
	s_waitcnt vmcnt(0)
	v_add_f32_e32 v6, v6, v16
	buffer_load_dword v16, off, s[0:3], s32 offset:212 ; 4-byte Folded Reload
	v_mul_f32_e32 v12, v1, v12
	buffer_store_dword v6, off, s[0:3], s32 offset:660 ; 4-byte Folded Spill
	buffer_load_dword v6, off, s[0:3], s32 offset:668 ; 4-byte Folded Reload
	s_waitcnt vmcnt(1)
	v_mul_f32_e32 v16, v1, v16
	s_waitcnt vmcnt(0)
	v_add_f32_e32 v6, v6, v17
	buffer_store_dword v6, off, s[0:3], s32 offset:668 ; 4-byte Folded Spill
	buffer_load_dword v6, off, s[0:3], s32 offset:340 ; 4-byte Folded Reload
	s_waitcnt vmcnt(0)
	v_mul_f32_e32 v6, v1, v6
	v_mul_f32_e32 v1, v1, v10
	buffer_load_dword v10, off, s[0:3], s32 offset:332 ; 4-byte Folded Reload
	v_fmac_f32_e32 v1, v0, v8
	v_fmac_f32_e32 v1, v2, v5
	;; [unrolled: 1-line block ×3, first 2 shown]
	v_add_f32_e32 v104, v104, v1
	s_waitcnt vmcnt(0)
	v_fmac_f32_e32 v6, v0, v10
	buffer_load_dword v10, off, s[0:3], s32 offset:300 ; 4-byte Folded Reload
	s_waitcnt vmcnt(0)
	v_fmac_f32_e32 v7, v0, v10
	buffer_load_dword v10, off, s[0:3], s32 offset:268 ; 4-byte Folded Reload
	;; [unrolled: 3-line block ×12, first 2 shown]
	s_waitcnt vmcnt(0)
	v_add_f32_e32 v6, v0, v6
	buffer_load_dword v0, off, s[0:3], s32 offset:676 ; 4-byte Folded Reload
	s_waitcnt vmcnt(0)
	v_add_f32_e32 v0, v0, v7
	buffer_store_dword v0, off, s[0:3], s32 offset:676 ; 4-byte Folded Spill
	buffer_load_dword v0, off, s[0:3], s32 offset:692 ; 4-byte Folded Reload
	s_waitcnt vmcnt(0)
	v_add_f32_e32 v0, v0, v12
	buffer_store_dword v0, off, s[0:3], s32 offset:692 ; 4-byte Folded Spill
	;; [unrolled: 4-line block ×3, first 2 shown]
.LBB216_1065:                           ;   in Loop: Header=BB216_1066 Depth=1
	s_or_b32 exec_lo, exec_lo, s12
	s_clause 0x1
	buffer_load_dword v0, off, s[0:3], s32 offset:216
	buffer_load_dword v1, off, s[0:3], s32 offset:220
	v_mov_b32_e32 v5, v47
	v_add_co_u32 v14, s4, v14, 16
	v_add_co_ci_u32_e64 v15, null, 0, v15, s4
	v_add_nc_u32_e32 v5, 64, v5
	v_add_nc_u32_e32 v113, 0x100, v113
	s_waitcnt vmcnt(0)
	v_mov_b32_e32 v1, v0
	v_add_nc_u32_e32 v1, 4, v1
	v_mov_b32_e32 v0, v1
	buffer_store_dword v0, off, s[0:3], s32 offset:216 ; 4-byte Folded Spill
	buffer_store_dword v1, off, s[0:3], s32 offset:220 ; 4-byte Folded Spill
	buffer_load_dword v0, off, s[0:3], s32 offset:240 ; 4-byte Folded Reload
	s_waitcnt vmcnt(0)
	v_cmp_ge_i32_e32 vcc_lo, v1, v0
	s_or_b32 s11, vcc_lo, s11
	s_andn2_b32 exec_lo, exec_lo, s11
	s_cbranch_execz .LBB216_2155
.LBB216_1066:                           ; =>This Inner Loop Header: Depth=1
	s_clause 0x1
	buffer_load_dword v1, off, s[0:3], s32 offset:244
	buffer_load_dword v4, off, s[0:3], s32 offset:224
	s_waitcnt vmcnt(2)
	v_sub_nc_u32_e32 v0, 0, v5
	v_mov_b32_e32 v47, v5
	v_max_i32_e32 v0, v5, v0
	s_waitcnt vmcnt(1)
	v_mul_hi_u32 v1, v0, v1
	s_waitcnt vmcnt(0)
	v_mul_lo_u32 v2, v1, v4
	v_sub_nc_u32_e32 v0, v0, v2
	v_add_nc_u32_e32 v2, 1, v1
	v_cmp_ge_u32_e32 vcc_lo, v0, v4
	v_sub_nc_u32_e32 v3, v0, v4
	v_cndmask_b32_e32 v1, v1, v2, vcc_lo
	v_ashrrev_i32_e32 v2, 31, v5
	buffer_load_dword v5, off, s[0:3], s32 offset:236 ; 4-byte Folded Reload
	v_cndmask_b32_e32 v0, v0, v3, vcc_lo
	v_add_nc_u32_e32 v3, 1, v1
	v_cmp_ge_u32_e32 vcc_lo, v0, v4
	v_cndmask_b32_e32 v0, v1, v3, vcc_lo
	s_waitcnt vmcnt(0)
	v_xor_b32_e32 v2, v2, v5
	v_xor_b32_e32 v0, v0, v2
	v_sub_nc_u32_e32 v0, v0, v2
	s_clause 0x2
	buffer_load_dword v1, off, s[0:3], s32 offset:228
	buffer_load_dword v2, off, s[0:3], s32 offset:232
	;; [unrolled: 1-line block ×3, first 2 shown]
	s_waitcnt vmcnt(2)
	v_add_nc_u32_e32 v1, v0, v1
	s_waitcnt vmcnt(1)
	v_sub_nc_u32_e32 v2, 0, v1
	v_max_i32_e32 v2, v1, v2
	v_ashrrev_i32_e32 v1, 31, v1
	s_waitcnt vmcnt(0)
	v_mul_hi_u32 v3, v2, v3
	v_mul_lo_u32 v3, v3, v87
	v_sub_nc_u32_e32 v2, v2, v3
	v_sub_nc_u32_e32 v3, v2, v87
	v_cmp_ge_u32_e32 vcc_lo, v2, v87
	v_cndmask_b32_e32 v2, v2, v3, vcc_lo
	v_sub_nc_u32_e32 v3, v2, v87
	v_cmp_ge_u32_e32 vcc_lo, v2, v87
	v_cndmask_b32_e32 v2, v2, v3, vcc_lo
	v_xor_b32_e32 v2, v2, v1
	v_sub_nc_u32_e32 v1, v2, v1
	v_cmp_eq_u32_e32 vcc_lo, 0, v1
	buffer_load_dword v1, off, s[0:3], s32 offset:248 ; 4-byte Folded Reload
	s_waitcnt vmcnt(0)
	v_cmp_gt_i32_e64 s4, v0, v1
	s_or_b32 s4, vcc_lo, s4
	s_and_saveexec_b32 s12, s4
	s_cbranch_execz .LBB216_1065
; %bb.1067:                             ;   in Loop: Header=BB216_1066 Depth=1
	buffer_store_dword v6, off, s[0:3], s32 offset:724 ; 4-byte Folded Spill
	buffer_store_dword v21, off, s[0:3], s32 offset:716 ; 4-byte Folded Spill
	;; [unrolled: 1-line block ×3, first 2 shown]
	flat_load_dword v0, v[14:15]
	s_clause 0x2
	buffer_load_dword v1, off, s[0:3], s32 offset:852
	buffer_load_dword v2, off, s[0:3], s32 offset:740
	;; [unrolled: 1-line block ×3, first 2 shown]
	v_mov_b32_e32 v20, 0
	v_mov_b32_e32 v18, 0
	;; [unrolled: 1-line block ×4, first 2 shown]
	s_waitcnt vmcnt(0) lgkmcnt(0)
	v_mad_i64_i32 v[16:17], null, v0, v1, v[2:3]
	buffer_load_dword v0, off, s[0:3], s32 offset:748 ; 4-byte Folded Reload
	s_waitcnt vmcnt(0)
	v_add_co_u32 v4, vcc_lo, v16, v0
	v_add_co_ci_u32_e64 v5, null, 0, v17, vcc_lo
	flat_load_dword v6, v[4:5]
	s_clause 0x1
	buffer_load_dword v0, off, s[0:3], s32 offset:1068
	buffer_load_dword v1, off, s[0:3], s32 offset:1072
	s_waitcnt vmcnt(2) lgkmcnt(0)
	v_cmp_ne_u16_sdwa s13, v6, v9 src0_sel:BYTE_0 src1_sel:DWORD
	s_waitcnt vmcnt(0)
	flat_load_dword v119, v[0:1]
	ds_read_b128 v[0:3], v113
	s_and_saveexec_b32 s4, s13
	s_cbranch_execz .LBB216_1075
; %bb.1068:                             ;   in Loop: Header=BB216_1066 Depth=1
	v_bfrev_b32_e32 v18, 1
	v_mov_b32_e32 v19, 0
	v_cmp_ne_u16_sdwa s15, v6, v100 src0_sel:BYTE_0 src1_sel:DWORD
	s_and_saveexec_b32 s13, s15
	s_cbranch_execz .LBB216_1074
; %bb.1069:                             ;   in Loop: Header=BB216_1066 Depth=1
	v_mov_b32_e32 v18, 0x7f800001
	v_and_b32_e32 v10, 0x7f, v6
	v_mov_b32_e32 v19, 0
	s_mov_b32 s15, exec_lo
	v_cmpx_ne_u32_e32 0x7f, v10
	s_cbranch_execz .LBB216_1073
; %bb.1070:                             ;   in Loop: Header=BB216_1066 Depth=1
	v_and_b32_e32 v8, 7, v6
	v_lshrrev_b32_e32 v7, 3, v10
	s_mov_b32 s16, exec_lo
	v_cmpx_gt_u32_e32 8, v10
; %bb.1071:                             ;   in Loop: Header=BB216_1066 Depth=1
	v_ffbh_u32_e32 v7, v8
	v_min_u32_e32 v7, 32, v7
	v_subrev_nc_u32_e32 v10, 28, v7
	v_sub_nc_u32_e32 v7, 29, v7
	v_lshlrev_b64 v[18:19], v10, v[8:9]
	v_and_b32_e32 v8, 7, v18
; %bb.1072:                             ;   in Loop: Header=BB216_1066 Depth=1
	s_or_b32 exec_lo, exec_lo, s16
	v_lshlrev_b32_e32 v10, 24, v6
	v_lshlrev_b32_e32 v8, 20, v8
	v_lshl_add_u32 v7, v7, 23, 0x3c000000
	v_and_b32_e32 v10, 0x80000000, v10
	v_or3_b32 v8, v8, v10, v7
	v_mov_b32_e32 v19, v9
	v_mov_b32_e32 v18, v8
.LBB216_1073:                           ;   in Loop: Header=BB216_1066 Depth=1
	s_or_b32 exec_lo, exec_lo, s15
.LBB216_1074:                           ;   in Loop: Header=BB216_1066 Depth=1
	s_or_b32 exec_lo, exec_lo, s13
.LBB216_1075:                           ;   in Loop: Header=BB216_1066 Depth=1
	s_or_b32 exec_lo, exec_lo, s4
	v_cmp_ne_u16_sdwa s13, v6, v9 src0_sel:BYTE_1 src1_sel:DWORD
	s_and_saveexec_b32 s4, s13
	s_cbranch_execz .LBB216_1083
; %bb.1076:                             ;   in Loop: Header=BB216_1066 Depth=1
	v_mov_b32_e32 v10, v9
	v_mov_b32_e32 v21, v11
	v_cmp_ne_u16_sdwa s15, v6, v100 src0_sel:BYTE_1 src1_sel:DWORD
	v_mov_b32_e32 v20, v10
	s_and_saveexec_b32 s13, s15
	s_cbranch_execz .LBB216_1082
; %bb.1077:                             ;   in Loop: Header=BB216_1066 Depth=1
	v_mov_b32_e32 v7, 0xffff
	v_mov_b32_e32 v12, v9
	;; [unrolled: 1-line block ×3, first 2 shown]
	s_mov_b32 s15, exec_lo
	v_and_b32_sdwa v7, v7, v6 dst_sel:DWORD dst_unused:UNUSED_PAD src0_sel:DWORD src1_sel:BYTE_1
	v_mov_b32_e32 v20, v12
	v_and_b32_e32 v10, 0x7f, v7
	v_cmpx_ne_u32_e32 0x7f, v10
	s_cbranch_execz .LBB216_1081
; %bb.1078:                             ;   in Loop: Header=BB216_1066 Depth=1
	v_and_b32_e32 v8, 7, v7
	v_lshrrev_b32_e32 v7, 3, v10
	s_mov_b32 s16, exec_lo
	v_cmpx_gt_u32_e32 8, v10
; %bb.1079:                             ;   in Loop: Header=BB216_1066 Depth=1
	v_ffbh_u32_e32 v7, v8
	v_min_u32_e32 v7, 32, v7
	v_subrev_nc_u32_e32 v10, 28, v7
	v_sub_nc_u32_e32 v7, 29, v7
	v_lshlrev_b64 v[20:21], v10, v[8:9]
	v_and_b32_e32 v8, 7, v20
; %bb.1080:                             ;   in Loop: Header=BB216_1066 Depth=1
	s_or_b32 exec_lo, exec_lo, s16
	v_lshlrev_b32_e32 v10, 16, v6
	v_lshlrev_b32_e32 v8, 20, v8
	v_lshl_add_u32 v7, v7, 23, 0x3c000000
	v_mov_b32_e32 v20, v9
	v_and_b32_e32 v10, 0x80000000, v10
	v_or3_b32 v21, v8, v10, v7
.LBB216_1081:                           ;   in Loop: Header=BB216_1066 Depth=1
	s_or_b32 exec_lo, exec_lo, s15
.LBB216_1082:                           ;   in Loop: Header=BB216_1066 Depth=1
	s_or_b32 exec_lo, exec_lo, s13
.LBB216_1083:                           ;   in Loop: Header=BB216_1066 Depth=1
	s_or_b32 exec_lo, exec_lo, s4
	v_mov_b32_e32 v24, 0
	v_mov_b32_e32 v22, 0
	v_and_b32_sdwa v7, v6, v102 dst_sel:DWORD dst_unused:UNUSED_PAD src0_sel:WORD_1 src1_sel:DWORD
	v_mov_b32_e32 v25, 0
	v_mov_b32_e32 v23, 0
	s_mov_b32 s4, exec_lo
	v_cmpx_ne_u16_e32 0, v7
	s_cbranch_execz .LBB216_1091
; %bb.1084:                             ;   in Loop: Header=BB216_1066 Depth=1
	v_bfrev_b32_e32 v22, 1
	v_mov_b32_e32 v23, 0
	s_mov_b32 s13, exec_lo
	v_cmpx_ne_u16_e32 0x80, v7
	s_cbranch_execz .LBB216_1090
; %bb.1085:                             ;   in Loop: Header=BB216_1066 Depth=1
	v_mov_b32_e32 v22, 0x7f800001
	v_bfe_u32 v10, v6, 16, 7
	v_mov_b32_e32 v23, 0
	s_mov_b32 s15, exec_lo
	v_cmpx_ne_u32_e32 0x7f, v10
	s_cbranch_execz .LBB216_1089
; %bb.1086:                             ;   in Loop: Header=BB216_1066 Depth=1
	v_mov_b32_e32 v7, 7
	s_mov_b32 s16, exec_lo
	v_and_b32_sdwa v8, v6, v7 dst_sel:DWORD dst_unused:UNUSED_PAD src0_sel:WORD_1 src1_sel:DWORD
	v_lshrrev_b32_e32 v7, 3, v10
	v_cmpx_gt_u32_e32 8, v10
; %bb.1087:                             ;   in Loop: Header=BB216_1066 Depth=1
	v_ffbh_u32_e32 v7, v8
	v_min_u32_e32 v7, 32, v7
	v_subrev_nc_u32_e32 v10, 28, v7
	v_sub_nc_u32_e32 v7, 29, v7
	v_lshlrev_b64 v[22:23], v10, v[8:9]
	v_and_b32_e32 v8, 7, v22
; %bb.1088:                             ;   in Loop: Header=BB216_1066 Depth=1
	s_or_b32 exec_lo, exec_lo, s16
	v_mov_b32_e32 v10, 24
	v_lshlrev_b32_e32 v8, 20, v8
	v_lshl_add_u32 v7, v7, 23, 0x3c000000
	v_lshlrev_b32_sdwa v10, v10, v6 dst_sel:DWORD dst_unused:UNUSED_PAD src0_sel:DWORD src1_sel:WORD_1
	v_and_b32_e32 v10, 0x80000000, v10
	v_or3_b32 v8, v8, v10, v7
	v_mov_b32_e32 v23, v9
	v_mov_b32_e32 v22, v8
.LBB216_1089:                           ;   in Loop: Header=BB216_1066 Depth=1
	s_or_b32 exec_lo, exec_lo, s15
.LBB216_1090:                           ;   in Loop: Header=BB216_1066 Depth=1
	s_or_b32 exec_lo, exec_lo, s13
.LBB216_1091:                           ;   in Loop: Header=BB216_1066 Depth=1
	s_or_b32 exec_lo, exec_lo, s4
	s_mov_b32 s4, exec_lo
	v_cmpx_lt_u32_e32 0xffffff, v6
	s_cbranch_execz .LBB216_1099
; %bb.1092:                             ;   in Loop: Header=BB216_1066 Depth=1
	v_mov_b32_e32 v10, v9
	v_mov_b32_e32 v25, v11
	v_cmp_ne_u32_sdwa s15, v6, v100 src0_sel:BYTE_3 src1_sel:DWORD
	v_mov_b32_e32 v24, v10
	s_and_saveexec_b32 s13, s15
	s_cbranch_execz .LBB216_1098
; %bb.1093:                             ;   in Loop: Header=BB216_1066 Depth=1
	v_mov_b32_e32 v12, v9
	v_mov_b32_e32 v25, v13
	v_bfe_u32 v10, v6, 24, 7
	s_mov_b32 s15, exec_lo
	v_mov_b32_e32 v24, v12
	v_cmpx_ne_u32_e32 0x7f, v10
	s_cbranch_execz .LBB216_1097
; %bb.1094:                             ;   in Loop: Header=BB216_1066 Depth=1
	v_mov_b32_e32 v7, 7
	s_mov_b32 s16, exec_lo
	v_and_b32_sdwa v8, v6, v7 dst_sel:DWORD dst_unused:UNUSED_PAD src0_sel:BYTE_3 src1_sel:DWORD
	v_lshrrev_b32_e32 v7, 3, v10
	v_cmpx_gt_u32_e32 8, v10
; %bb.1095:                             ;   in Loop: Header=BB216_1066 Depth=1
	v_ffbh_u32_e32 v7, v8
	v_min_u32_e32 v7, 32, v7
	v_subrev_nc_u32_e32 v10, 28, v7
	v_sub_nc_u32_e32 v7, 29, v7
	v_lshlrev_b64 v[24:25], v10, v[8:9]
	v_and_b32_e32 v8, 7, v24
; %bb.1096:                             ;   in Loop: Header=BB216_1066 Depth=1
	s_or_b32 exec_lo, exec_lo, s16
	v_mov_b32_e32 v10, 24
	v_lshlrev_b32_e32 v8, 20, v8
	v_lshl_add_u32 v7, v7, 23, 0x3c000000
	v_mov_b32_e32 v24, v9
	v_lshlrev_b32_sdwa v6, v10, v6 dst_sel:DWORD dst_unused:UNUSED_PAD src0_sel:DWORD src1_sel:BYTE_3
	v_and_b32_e32 v6, 0x80000000, v6
	v_or3_b32 v25, v8, v6, v7
.LBB216_1097:                           ;   in Loop: Header=BB216_1066 Depth=1
	s_or_b32 exec_lo, exec_lo, s15
.LBB216_1098:                           ;   in Loop: Header=BB216_1066 Depth=1
	s_or_b32 exec_lo, exec_lo, s13
.LBB216_1099:                           ;   in Loop: Header=BB216_1066 Depth=1
	s_or_b32 exec_lo, exec_lo, s4
	buffer_load_dword v6, off, s[0:3], s32 offset:732 ; 4-byte Folded Reload
	v_or_b32_e32 v7, v20, v18
	v_or_b32_e32 v8, v24, v22
	;; [unrolled: 1-line block ×3, first 2 shown]
	s_waitcnt vmcnt(0)
	v_add_nc_u32_e32 v40, v6, v47
	v_or_b32_e32 v6, v21, v19
	s_clause 0x2
	buffer_load_dword v18, off, s[0:3], s32 offset:216
	buffer_load_dword v19, off, s[0:3], s32 offset:220
	;; [unrolled: 1-line block ×3, first 2 shown]
	v_add_nc_u32_e32 v43, 1, v40
	s_waitcnt lgkmcnt(1)
	v_mul_f32_e32 v6, v119, v6
	v_add_nc_u32_e32 v42, 2, v40
	v_add_nc_u32_e32 v41, 3, v40
	buffer_store_dword v6, off, s[0:3], s32 offset:212 ; 4-byte Folded Spill
	v_mul_f32_e32 v6, v119, v7
	buffer_store_dword v6, off, s[0:3], s32 offset:208 ; 4-byte Folded Spill
	v_mul_f32_e32 v6, v119, v8
	;; [unrolled: 2-line block ×3, first 2 shown]
	buffer_store_dword v6, off, s[0:3], s32 offset:200 ; 4-byte Folded Spill
	s_waitcnt vmcnt(0)
	v_cmp_eq_u32_e32 vcc_lo, v12, v18
	s_and_saveexec_b32 s13, vcc_lo
	s_cbranch_execz .LBB216_1101
; %bb.1100:                             ;   in Loop: Header=BB216_1066 Depth=1
	buffer_load_dword v6, off, s[0:3], s32 offset:208 ; 4-byte Folded Reload
	v_cmp_lt_i32_e64 s4, v40, v27
	s_waitcnt vmcnt(0)
	v_cndmask_b32_e64 v6, 0, v6, s4
	v_cmp_lt_i32_e64 s4, v43, v27
	buffer_store_dword v6, off, s[0:3], s32 offset:208 ; 4-byte Folded Spill
	buffer_load_dword v6, off, s[0:3], s32 offset:212 ; 4-byte Folded Reload
	s_waitcnt vmcnt(0)
	v_cndmask_b32_e64 v6, 0, v6, s4
	v_cmp_lt_i32_e64 s4, v42, v27
	buffer_store_dword v6, off, s[0:3], s32 offset:212 ; 4-byte Folded Spill
	buffer_load_dword v6, off, s[0:3], s32 offset:204 ; 4-byte Folded Reload
	;; [unrolled: 5-line block ×3, first 2 shown]
	s_waitcnt vmcnt(0)
	v_cndmask_b32_e64 v6, 0, v6, s4
	buffer_store_dword v6, off, s[0:3], s32 offset:200 ; 4-byte Folded Spill
.LBB216_1101:                           ;   in Loop: Header=BB216_1066 Depth=1
	s_or_b32 exec_lo, exec_lo, s13
	flat_load_dword v6, v[4:5] offset:128
	v_mov_b32_e32 v20, 0
	v_mov_b32_e32 v18, 0
	;; [unrolled: 1-line block ×4, first 2 shown]
	s_waitcnt vmcnt(0) lgkmcnt(0)
	v_cmp_ne_u16_sdwa s4, v6, v9 src0_sel:BYTE_0 src1_sel:DWORD
	s_and_saveexec_b32 s13, s4
	s_cbranch_execz .LBB216_1109
; %bb.1102:                             ;   in Loop: Header=BB216_1066 Depth=1
	v_bfrev_b32_e32 v18, 1
	v_mov_b32_e32 v19, 0
	v_cmp_ne_u16_sdwa s4, v6, v100 src0_sel:BYTE_0 src1_sel:DWORD
	s_and_saveexec_b32 s15, s4
	s_cbranch_execz .LBB216_1108
; %bb.1103:                             ;   in Loop: Header=BB216_1066 Depth=1
	v_mov_b32_e32 v18, 0x7f800001
	v_and_b32_e32 v10, 0x7f, v6
	v_mov_b32_e32 v19, 0
	s_mov_b32 s16, exec_lo
	v_cmpx_ne_u32_e32 0x7f, v10
	s_cbranch_execz .LBB216_1107
; %bb.1104:                             ;   in Loop: Header=BB216_1066 Depth=1
	v_and_b32_e32 v8, 7, v6
	v_lshrrev_b32_e32 v7, 3, v10
	s_mov_b32 s17, exec_lo
	v_cmpx_gt_u32_e32 8, v10
; %bb.1105:                             ;   in Loop: Header=BB216_1066 Depth=1
	v_ffbh_u32_e32 v7, v8
	v_min_u32_e32 v7, 32, v7
	v_subrev_nc_u32_e32 v10, 28, v7
	v_sub_nc_u32_e32 v7, 29, v7
	v_lshlrev_b64 v[18:19], v10, v[8:9]
	v_and_b32_e32 v8, 7, v18
; %bb.1106:                             ;   in Loop: Header=BB216_1066 Depth=1
	s_or_b32 exec_lo, exec_lo, s17
	v_lshlrev_b32_e32 v10, 24, v6
	v_lshlrev_b32_e32 v8, 20, v8
	v_lshl_add_u32 v7, v7, 23, 0x3c000000
	v_and_b32_e32 v10, 0x80000000, v10
	v_or3_b32 v8, v8, v10, v7
	v_mov_b32_e32 v19, v9
	v_mov_b32_e32 v18, v8
.LBB216_1107:                           ;   in Loop: Header=BB216_1066 Depth=1
	s_or_b32 exec_lo, exec_lo, s16
.LBB216_1108:                           ;   in Loop: Header=BB216_1066 Depth=1
	s_or_b32 exec_lo, exec_lo, s15
.LBB216_1109:                           ;   in Loop: Header=BB216_1066 Depth=1
	s_or_b32 exec_lo, exec_lo, s13
	v_cmp_ne_u16_sdwa s4, v6, v9 src0_sel:BYTE_1 src1_sel:DWORD
	s_and_saveexec_b32 s13, s4
	s_cbranch_execz .LBB216_1117
; %bb.1110:                             ;   in Loop: Header=BB216_1066 Depth=1
	v_mov_b32_e32 v10, v9
	v_mov_b32_e32 v21, v11
	v_cmp_ne_u16_sdwa s4, v6, v100 src0_sel:BYTE_1 src1_sel:DWORD
	v_mov_b32_e32 v20, v10
	s_and_saveexec_b32 s15, s4
	s_cbranch_execz .LBB216_1116
; %bb.1111:                             ;   in Loop: Header=BB216_1066 Depth=1
	v_mov_b32_e32 v7, 0xffff
	v_mov_b32_e32 v12, v9
	;; [unrolled: 1-line block ×3, first 2 shown]
	s_mov_b32 s16, exec_lo
	v_and_b32_sdwa v7, v7, v6 dst_sel:DWORD dst_unused:UNUSED_PAD src0_sel:DWORD src1_sel:BYTE_1
	v_mov_b32_e32 v20, v12
	v_and_b32_e32 v10, 0x7f, v7
	v_cmpx_ne_u32_e32 0x7f, v10
	s_cbranch_execz .LBB216_1115
; %bb.1112:                             ;   in Loop: Header=BB216_1066 Depth=1
	v_and_b32_e32 v8, 7, v7
	v_lshrrev_b32_e32 v7, 3, v10
	s_mov_b32 s17, exec_lo
	v_cmpx_gt_u32_e32 8, v10
; %bb.1113:                             ;   in Loop: Header=BB216_1066 Depth=1
	v_ffbh_u32_e32 v7, v8
	v_min_u32_e32 v7, 32, v7
	v_subrev_nc_u32_e32 v10, 28, v7
	v_sub_nc_u32_e32 v7, 29, v7
	v_lshlrev_b64 v[20:21], v10, v[8:9]
	v_and_b32_e32 v8, 7, v20
; %bb.1114:                             ;   in Loop: Header=BB216_1066 Depth=1
	s_or_b32 exec_lo, exec_lo, s17
	v_lshlrev_b32_e32 v10, 16, v6
	v_lshlrev_b32_e32 v8, 20, v8
	v_lshl_add_u32 v7, v7, 23, 0x3c000000
	v_mov_b32_e32 v20, v9
	v_and_b32_e32 v10, 0x80000000, v10
	v_or3_b32 v21, v8, v10, v7
.LBB216_1115:                           ;   in Loop: Header=BB216_1066 Depth=1
	s_or_b32 exec_lo, exec_lo, s16
.LBB216_1116:                           ;   in Loop: Header=BB216_1066 Depth=1
	s_or_b32 exec_lo, exec_lo, s15
.LBB216_1117:                           ;   in Loop: Header=BB216_1066 Depth=1
	s_or_b32 exec_lo, exec_lo, s13
	v_mov_b32_e32 v24, 0
	v_mov_b32_e32 v22, 0
	v_and_b32_sdwa v7, v6, v102 dst_sel:DWORD dst_unused:UNUSED_PAD src0_sel:WORD_1 src1_sel:DWORD
	v_mov_b32_e32 v25, 0
	v_mov_b32_e32 v23, 0
	s_mov_b32 s13, exec_lo
	v_cmpx_ne_u16_e32 0, v7
	s_cbranch_execz .LBB216_1125
; %bb.1118:                             ;   in Loop: Header=BB216_1066 Depth=1
	v_bfrev_b32_e32 v22, 1
	v_mov_b32_e32 v23, 0
	s_mov_b32 s15, exec_lo
	v_cmpx_ne_u16_e32 0x80, v7
	s_cbranch_execz .LBB216_1124
; %bb.1119:                             ;   in Loop: Header=BB216_1066 Depth=1
	v_mov_b32_e32 v22, 0x7f800001
	v_bfe_u32 v10, v6, 16, 7
	v_mov_b32_e32 v23, 0
	s_mov_b32 s16, exec_lo
	v_cmpx_ne_u32_e32 0x7f, v10
	s_cbranch_execz .LBB216_1123
; %bb.1120:                             ;   in Loop: Header=BB216_1066 Depth=1
	v_mov_b32_e32 v7, 7
	s_mov_b32 s17, exec_lo
	v_and_b32_sdwa v8, v6, v7 dst_sel:DWORD dst_unused:UNUSED_PAD src0_sel:WORD_1 src1_sel:DWORD
	v_lshrrev_b32_e32 v7, 3, v10
	v_cmpx_gt_u32_e32 8, v10
; %bb.1121:                             ;   in Loop: Header=BB216_1066 Depth=1
	v_ffbh_u32_e32 v7, v8
	v_min_u32_e32 v7, 32, v7
	v_subrev_nc_u32_e32 v10, 28, v7
	v_sub_nc_u32_e32 v7, 29, v7
	v_lshlrev_b64 v[22:23], v10, v[8:9]
	v_and_b32_e32 v8, 7, v22
; %bb.1122:                             ;   in Loop: Header=BB216_1066 Depth=1
	s_or_b32 exec_lo, exec_lo, s17
	v_mov_b32_e32 v10, 24
	v_lshlrev_b32_e32 v8, 20, v8
	v_lshl_add_u32 v7, v7, 23, 0x3c000000
	v_lshlrev_b32_sdwa v10, v10, v6 dst_sel:DWORD dst_unused:UNUSED_PAD src0_sel:DWORD src1_sel:WORD_1
	v_and_b32_e32 v10, 0x80000000, v10
	v_or3_b32 v8, v8, v10, v7
	v_mov_b32_e32 v23, v9
	v_mov_b32_e32 v22, v8
.LBB216_1123:                           ;   in Loop: Header=BB216_1066 Depth=1
	s_or_b32 exec_lo, exec_lo, s16
.LBB216_1124:                           ;   in Loop: Header=BB216_1066 Depth=1
	s_or_b32 exec_lo, exec_lo, s15
.LBB216_1125:                           ;   in Loop: Header=BB216_1066 Depth=1
	s_or_b32 exec_lo, exec_lo, s13
	s_mov_b32 s13, exec_lo
	v_cmpx_lt_u32_e32 0xffffff, v6
	s_cbranch_execz .LBB216_1133
; %bb.1126:                             ;   in Loop: Header=BB216_1066 Depth=1
	v_mov_b32_e32 v10, v9
	v_mov_b32_e32 v25, v11
	v_cmp_ne_u32_sdwa s4, v6, v100 src0_sel:BYTE_3 src1_sel:DWORD
	v_mov_b32_e32 v24, v10
	s_and_saveexec_b32 s15, s4
	s_cbranch_execz .LBB216_1132
; %bb.1127:                             ;   in Loop: Header=BB216_1066 Depth=1
	v_mov_b32_e32 v12, v9
	v_mov_b32_e32 v25, v13
	v_bfe_u32 v10, v6, 24, 7
	s_mov_b32 s16, exec_lo
	v_mov_b32_e32 v24, v12
	v_cmpx_ne_u32_e32 0x7f, v10
	s_cbranch_execz .LBB216_1131
; %bb.1128:                             ;   in Loop: Header=BB216_1066 Depth=1
	v_mov_b32_e32 v7, 7
	s_mov_b32 s17, exec_lo
	v_and_b32_sdwa v8, v6, v7 dst_sel:DWORD dst_unused:UNUSED_PAD src0_sel:BYTE_3 src1_sel:DWORD
	v_lshrrev_b32_e32 v7, 3, v10
	v_cmpx_gt_u32_e32 8, v10
; %bb.1129:                             ;   in Loop: Header=BB216_1066 Depth=1
	v_ffbh_u32_e32 v7, v8
	v_min_u32_e32 v7, 32, v7
	v_subrev_nc_u32_e32 v10, 28, v7
	v_sub_nc_u32_e32 v7, 29, v7
	v_lshlrev_b64 v[24:25], v10, v[8:9]
	v_and_b32_e32 v8, 7, v24
; %bb.1130:                             ;   in Loop: Header=BB216_1066 Depth=1
	s_or_b32 exec_lo, exec_lo, s17
	v_mov_b32_e32 v10, 24
	v_lshlrev_b32_e32 v8, 20, v8
	v_lshl_add_u32 v7, v7, 23, 0x3c000000
	v_mov_b32_e32 v24, v9
	v_lshlrev_b32_sdwa v6, v10, v6 dst_sel:DWORD dst_unused:UNUSED_PAD src0_sel:DWORD src1_sel:BYTE_3
	v_and_b32_e32 v6, 0x80000000, v6
	v_or3_b32 v25, v8, v6, v7
.LBB216_1131:                           ;   in Loop: Header=BB216_1066 Depth=1
	s_or_b32 exec_lo, exec_lo, s16
.LBB216_1132:                           ;   in Loop: Header=BB216_1066 Depth=1
	s_or_b32 exec_lo, exec_lo, s15
.LBB216_1133:                           ;   in Loop: Header=BB216_1066 Depth=1
	s_or_b32 exec_lo, exec_lo, s13
	v_or_b32_e32 v6, v21, v19
	v_or_b32_e32 v7, v20, v18
	;; [unrolled: 1-line block ×4, first 2 shown]
	v_mul_f32_e32 v6, v119, v6
	buffer_store_dword v6, off, s[0:3], s32 offset:276 ; 4-byte Folded Spill
	v_mul_f32_e32 v6, v119, v7
	buffer_store_dword v6, off, s[0:3], s32 offset:268 ; 4-byte Folded Spill
	;; [unrolled: 2-line block ×4, first 2 shown]
	s_and_saveexec_b32 s13, vcc_lo
	s_cbranch_execz .LBB216_1135
; %bb.1134:                             ;   in Loop: Header=BB216_1066 Depth=1
	buffer_load_dword v6, off, s[0:3], s32 offset:268 ; 4-byte Folded Reload
	v_cmp_lt_i32_e64 s4, v40, v27
	s_waitcnt vmcnt(0)
	v_cndmask_b32_e64 v6, 0, v6, s4
	v_cmp_lt_i32_e64 s4, v43, v27
	buffer_store_dword v6, off, s[0:3], s32 offset:268 ; 4-byte Folded Spill
	buffer_load_dword v6, off, s[0:3], s32 offset:276 ; 4-byte Folded Reload
	s_waitcnt vmcnt(0)
	v_cndmask_b32_e64 v6, 0, v6, s4
	v_cmp_lt_i32_e64 s4, v42, v27
	buffer_store_dword v6, off, s[0:3], s32 offset:276 ; 4-byte Folded Spill
	buffer_load_dword v6, off, s[0:3], s32 offset:260 ; 4-byte Folded Reload
	;; [unrolled: 5-line block ×3, first 2 shown]
	s_waitcnt vmcnt(0)
	v_cndmask_b32_e64 v6, 0, v6, s4
	buffer_store_dword v6, off, s[0:3], s32 offset:252 ; 4-byte Folded Spill
.LBB216_1135:                           ;   in Loop: Header=BB216_1066 Depth=1
	s_or_b32 exec_lo, exec_lo, s13
	flat_load_dword v6, v[4:5] offset:256
	v_mov_b32_e32 v20, 0
	v_mov_b32_e32 v18, 0
	;; [unrolled: 1-line block ×4, first 2 shown]
	s_waitcnt vmcnt(0) lgkmcnt(0)
	v_cmp_ne_u16_sdwa s4, v6, v9 src0_sel:BYTE_0 src1_sel:DWORD
	s_and_saveexec_b32 s13, s4
	s_cbranch_execz .LBB216_1143
; %bb.1136:                             ;   in Loop: Header=BB216_1066 Depth=1
	v_bfrev_b32_e32 v18, 1
	v_mov_b32_e32 v19, 0
	v_cmp_ne_u16_sdwa s4, v6, v100 src0_sel:BYTE_0 src1_sel:DWORD
	s_and_saveexec_b32 s15, s4
	s_cbranch_execz .LBB216_1142
; %bb.1137:                             ;   in Loop: Header=BB216_1066 Depth=1
	v_mov_b32_e32 v18, 0x7f800001
	v_and_b32_e32 v10, 0x7f, v6
	v_mov_b32_e32 v19, 0
	s_mov_b32 s16, exec_lo
	v_cmpx_ne_u32_e32 0x7f, v10
	s_cbranch_execz .LBB216_1141
; %bb.1138:                             ;   in Loop: Header=BB216_1066 Depth=1
	v_and_b32_e32 v8, 7, v6
	v_lshrrev_b32_e32 v7, 3, v10
	s_mov_b32 s17, exec_lo
	v_cmpx_gt_u32_e32 8, v10
; %bb.1139:                             ;   in Loop: Header=BB216_1066 Depth=1
	v_ffbh_u32_e32 v7, v8
	v_min_u32_e32 v7, 32, v7
	v_subrev_nc_u32_e32 v10, 28, v7
	v_sub_nc_u32_e32 v7, 29, v7
	v_lshlrev_b64 v[18:19], v10, v[8:9]
	v_and_b32_e32 v8, 7, v18
; %bb.1140:                             ;   in Loop: Header=BB216_1066 Depth=1
	s_or_b32 exec_lo, exec_lo, s17
	v_lshlrev_b32_e32 v10, 24, v6
	v_lshlrev_b32_e32 v8, 20, v8
	v_lshl_add_u32 v7, v7, 23, 0x3c000000
	v_and_b32_e32 v10, 0x80000000, v10
	v_or3_b32 v8, v8, v10, v7
	v_mov_b32_e32 v19, v9
	v_mov_b32_e32 v18, v8
.LBB216_1141:                           ;   in Loop: Header=BB216_1066 Depth=1
	s_or_b32 exec_lo, exec_lo, s16
.LBB216_1142:                           ;   in Loop: Header=BB216_1066 Depth=1
	s_or_b32 exec_lo, exec_lo, s15
.LBB216_1143:                           ;   in Loop: Header=BB216_1066 Depth=1
	s_or_b32 exec_lo, exec_lo, s13
	v_cmp_ne_u16_sdwa s4, v6, v9 src0_sel:BYTE_1 src1_sel:DWORD
	s_and_saveexec_b32 s13, s4
	s_cbranch_execz .LBB216_1151
; %bb.1144:                             ;   in Loop: Header=BB216_1066 Depth=1
	v_mov_b32_e32 v10, v9
	v_mov_b32_e32 v21, v11
	v_cmp_ne_u16_sdwa s4, v6, v100 src0_sel:BYTE_1 src1_sel:DWORD
	v_mov_b32_e32 v20, v10
	s_and_saveexec_b32 s15, s4
	s_cbranch_execz .LBB216_1150
; %bb.1145:                             ;   in Loop: Header=BB216_1066 Depth=1
	v_mov_b32_e32 v7, 0xffff
	v_mov_b32_e32 v12, v9
	;; [unrolled: 1-line block ×3, first 2 shown]
	s_mov_b32 s16, exec_lo
	v_and_b32_sdwa v7, v7, v6 dst_sel:DWORD dst_unused:UNUSED_PAD src0_sel:DWORD src1_sel:BYTE_1
	v_mov_b32_e32 v20, v12
	v_and_b32_e32 v10, 0x7f, v7
	v_cmpx_ne_u32_e32 0x7f, v10
	s_cbranch_execz .LBB216_1149
; %bb.1146:                             ;   in Loop: Header=BB216_1066 Depth=1
	v_and_b32_e32 v8, 7, v7
	v_lshrrev_b32_e32 v7, 3, v10
	s_mov_b32 s17, exec_lo
	v_cmpx_gt_u32_e32 8, v10
; %bb.1147:                             ;   in Loop: Header=BB216_1066 Depth=1
	v_ffbh_u32_e32 v7, v8
	v_min_u32_e32 v7, 32, v7
	v_subrev_nc_u32_e32 v10, 28, v7
	v_sub_nc_u32_e32 v7, 29, v7
	v_lshlrev_b64 v[20:21], v10, v[8:9]
	v_and_b32_e32 v8, 7, v20
; %bb.1148:                             ;   in Loop: Header=BB216_1066 Depth=1
	s_or_b32 exec_lo, exec_lo, s17
	v_lshlrev_b32_e32 v10, 16, v6
	v_lshlrev_b32_e32 v8, 20, v8
	v_lshl_add_u32 v7, v7, 23, 0x3c000000
	v_mov_b32_e32 v20, v9
	v_and_b32_e32 v10, 0x80000000, v10
	v_or3_b32 v21, v8, v10, v7
.LBB216_1149:                           ;   in Loop: Header=BB216_1066 Depth=1
	s_or_b32 exec_lo, exec_lo, s16
.LBB216_1150:                           ;   in Loop: Header=BB216_1066 Depth=1
	s_or_b32 exec_lo, exec_lo, s15
.LBB216_1151:                           ;   in Loop: Header=BB216_1066 Depth=1
	s_or_b32 exec_lo, exec_lo, s13
	v_mov_b32_e32 v24, 0
	v_mov_b32_e32 v22, 0
	v_and_b32_sdwa v7, v6, v102 dst_sel:DWORD dst_unused:UNUSED_PAD src0_sel:WORD_1 src1_sel:DWORD
	v_mov_b32_e32 v25, 0
	v_mov_b32_e32 v23, 0
	s_mov_b32 s13, exec_lo
	v_cmpx_ne_u16_e32 0, v7
	s_cbranch_execz .LBB216_1159
; %bb.1152:                             ;   in Loop: Header=BB216_1066 Depth=1
	v_bfrev_b32_e32 v22, 1
	v_mov_b32_e32 v23, 0
	s_mov_b32 s15, exec_lo
	v_cmpx_ne_u16_e32 0x80, v7
	s_cbranch_execz .LBB216_1158
; %bb.1153:                             ;   in Loop: Header=BB216_1066 Depth=1
	v_mov_b32_e32 v22, 0x7f800001
	v_bfe_u32 v10, v6, 16, 7
	v_mov_b32_e32 v23, 0
	s_mov_b32 s16, exec_lo
	v_cmpx_ne_u32_e32 0x7f, v10
	s_cbranch_execz .LBB216_1157
; %bb.1154:                             ;   in Loop: Header=BB216_1066 Depth=1
	v_mov_b32_e32 v7, 7
	s_mov_b32 s17, exec_lo
	v_and_b32_sdwa v8, v6, v7 dst_sel:DWORD dst_unused:UNUSED_PAD src0_sel:WORD_1 src1_sel:DWORD
	v_lshrrev_b32_e32 v7, 3, v10
	v_cmpx_gt_u32_e32 8, v10
; %bb.1155:                             ;   in Loop: Header=BB216_1066 Depth=1
	v_ffbh_u32_e32 v7, v8
	v_min_u32_e32 v7, 32, v7
	v_subrev_nc_u32_e32 v10, 28, v7
	v_sub_nc_u32_e32 v7, 29, v7
	v_lshlrev_b64 v[22:23], v10, v[8:9]
	v_and_b32_e32 v8, 7, v22
; %bb.1156:                             ;   in Loop: Header=BB216_1066 Depth=1
	s_or_b32 exec_lo, exec_lo, s17
	v_mov_b32_e32 v10, 24
	v_lshlrev_b32_e32 v8, 20, v8
	v_lshl_add_u32 v7, v7, 23, 0x3c000000
	v_lshlrev_b32_sdwa v10, v10, v6 dst_sel:DWORD dst_unused:UNUSED_PAD src0_sel:DWORD src1_sel:WORD_1
	v_and_b32_e32 v10, 0x80000000, v10
	v_or3_b32 v8, v8, v10, v7
	v_mov_b32_e32 v23, v9
	v_mov_b32_e32 v22, v8
.LBB216_1157:                           ;   in Loop: Header=BB216_1066 Depth=1
	s_or_b32 exec_lo, exec_lo, s16
.LBB216_1158:                           ;   in Loop: Header=BB216_1066 Depth=1
	s_or_b32 exec_lo, exec_lo, s15
.LBB216_1159:                           ;   in Loop: Header=BB216_1066 Depth=1
	s_or_b32 exec_lo, exec_lo, s13
	s_mov_b32 s13, exec_lo
	v_cmpx_lt_u32_e32 0xffffff, v6
	s_cbranch_execz .LBB216_1167
; %bb.1160:                             ;   in Loop: Header=BB216_1066 Depth=1
	v_mov_b32_e32 v10, v9
	v_mov_b32_e32 v25, v11
	v_cmp_ne_u32_sdwa s4, v6, v100 src0_sel:BYTE_3 src1_sel:DWORD
	v_mov_b32_e32 v24, v10
	s_and_saveexec_b32 s15, s4
	s_cbranch_execz .LBB216_1166
; %bb.1161:                             ;   in Loop: Header=BB216_1066 Depth=1
	v_mov_b32_e32 v12, v9
	v_mov_b32_e32 v25, v13
	v_bfe_u32 v10, v6, 24, 7
	s_mov_b32 s16, exec_lo
	v_mov_b32_e32 v24, v12
	v_cmpx_ne_u32_e32 0x7f, v10
	s_cbranch_execz .LBB216_1165
; %bb.1162:                             ;   in Loop: Header=BB216_1066 Depth=1
	v_mov_b32_e32 v7, 7
	s_mov_b32 s17, exec_lo
	v_and_b32_sdwa v8, v6, v7 dst_sel:DWORD dst_unused:UNUSED_PAD src0_sel:BYTE_3 src1_sel:DWORD
	v_lshrrev_b32_e32 v7, 3, v10
	v_cmpx_gt_u32_e32 8, v10
; %bb.1163:                             ;   in Loop: Header=BB216_1066 Depth=1
	v_ffbh_u32_e32 v7, v8
	v_min_u32_e32 v7, 32, v7
	v_subrev_nc_u32_e32 v10, 28, v7
	v_sub_nc_u32_e32 v7, 29, v7
	v_lshlrev_b64 v[24:25], v10, v[8:9]
	v_and_b32_e32 v8, 7, v24
; %bb.1164:                             ;   in Loop: Header=BB216_1066 Depth=1
	s_or_b32 exec_lo, exec_lo, s17
	v_mov_b32_e32 v10, 24
	v_lshlrev_b32_e32 v8, 20, v8
	v_lshl_add_u32 v7, v7, 23, 0x3c000000
	v_mov_b32_e32 v24, v9
	v_lshlrev_b32_sdwa v6, v10, v6 dst_sel:DWORD dst_unused:UNUSED_PAD src0_sel:DWORD src1_sel:BYTE_3
	v_and_b32_e32 v6, 0x80000000, v6
	v_or3_b32 v25, v8, v6, v7
.LBB216_1165:                           ;   in Loop: Header=BB216_1066 Depth=1
	s_or_b32 exec_lo, exec_lo, s16
.LBB216_1166:                           ;   in Loop: Header=BB216_1066 Depth=1
	s_or_b32 exec_lo, exec_lo, s15
.LBB216_1167:                           ;   in Loop: Header=BB216_1066 Depth=1
	s_or_b32 exec_lo, exec_lo, s13
	v_or_b32_e32 v6, v21, v19
	v_or_b32_e32 v7, v20, v18
	;; [unrolled: 1-line block ×4, first 2 shown]
	v_mul_f32_e32 v6, v119, v6
	buffer_store_dword v6, off, s[0:3], s32 offset:308 ; 4-byte Folded Spill
	v_mul_f32_e32 v6, v119, v7
	buffer_store_dword v6, off, s[0:3], s32 offset:300 ; 4-byte Folded Spill
	;; [unrolled: 2-line block ×4, first 2 shown]
	s_and_saveexec_b32 s13, vcc_lo
	s_cbranch_execz .LBB216_1169
; %bb.1168:                             ;   in Loop: Header=BB216_1066 Depth=1
	buffer_load_dword v6, off, s[0:3], s32 offset:300 ; 4-byte Folded Reload
	v_cmp_lt_i32_e64 s4, v40, v27
	s_waitcnt vmcnt(0)
	v_cndmask_b32_e64 v6, 0, v6, s4
	v_cmp_lt_i32_e64 s4, v43, v27
	buffer_store_dword v6, off, s[0:3], s32 offset:300 ; 4-byte Folded Spill
	buffer_load_dword v6, off, s[0:3], s32 offset:308 ; 4-byte Folded Reload
	s_waitcnt vmcnt(0)
	v_cndmask_b32_e64 v6, 0, v6, s4
	v_cmp_lt_i32_e64 s4, v42, v27
	buffer_store_dword v6, off, s[0:3], s32 offset:308 ; 4-byte Folded Spill
	buffer_load_dword v6, off, s[0:3], s32 offset:292 ; 4-byte Folded Reload
	;; [unrolled: 5-line block ×3, first 2 shown]
	s_waitcnt vmcnt(0)
	v_cndmask_b32_e64 v6, 0, v6, s4
	buffer_store_dword v6, off, s[0:3], s32 offset:284 ; 4-byte Folded Spill
.LBB216_1169:                           ;   in Loop: Header=BB216_1066 Depth=1
	s_or_b32 exec_lo, exec_lo, s13
	flat_load_dword v6, v[4:5] offset:384
	v_mov_b32_e32 v20, 0
	v_mov_b32_e32 v18, 0
	;; [unrolled: 1-line block ×4, first 2 shown]
	s_waitcnt vmcnt(0) lgkmcnt(0)
	v_cmp_ne_u16_sdwa s4, v6, v9 src0_sel:BYTE_0 src1_sel:DWORD
	s_and_saveexec_b32 s13, s4
	s_cbranch_execz .LBB216_1177
; %bb.1170:                             ;   in Loop: Header=BB216_1066 Depth=1
	v_bfrev_b32_e32 v18, 1
	v_mov_b32_e32 v19, 0
	v_cmp_ne_u16_sdwa s4, v6, v100 src0_sel:BYTE_0 src1_sel:DWORD
	s_and_saveexec_b32 s15, s4
	s_cbranch_execz .LBB216_1176
; %bb.1171:                             ;   in Loop: Header=BB216_1066 Depth=1
	v_mov_b32_e32 v18, 0x7f800001
	v_and_b32_e32 v10, 0x7f, v6
	v_mov_b32_e32 v19, 0
	s_mov_b32 s16, exec_lo
	v_cmpx_ne_u32_e32 0x7f, v10
	s_cbranch_execz .LBB216_1175
; %bb.1172:                             ;   in Loop: Header=BB216_1066 Depth=1
	v_and_b32_e32 v8, 7, v6
	v_lshrrev_b32_e32 v7, 3, v10
	s_mov_b32 s17, exec_lo
	v_cmpx_gt_u32_e32 8, v10
; %bb.1173:                             ;   in Loop: Header=BB216_1066 Depth=1
	v_ffbh_u32_e32 v7, v8
	v_min_u32_e32 v7, 32, v7
	v_subrev_nc_u32_e32 v10, 28, v7
	v_sub_nc_u32_e32 v7, 29, v7
	v_lshlrev_b64 v[18:19], v10, v[8:9]
	v_and_b32_e32 v8, 7, v18
; %bb.1174:                             ;   in Loop: Header=BB216_1066 Depth=1
	s_or_b32 exec_lo, exec_lo, s17
	v_lshlrev_b32_e32 v10, 24, v6
	v_lshlrev_b32_e32 v8, 20, v8
	v_lshl_add_u32 v7, v7, 23, 0x3c000000
	v_and_b32_e32 v10, 0x80000000, v10
	v_or3_b32 v8, v8, v10, v7
	v_mov_b32_e32 v19, v9
	v_mov_b32_e32 v18, v8
.LBB216_1175:                           ;   in Loop: Header=BB216_1066 Depth=1
	s_or_b32 exec_lo, exec_lo, s16
.LBB216_1176:                           ;   in Loop: Header=BB216_1066 Depth=1
	s_or_b32 exec_lo, exec_lo, s15
.LBB216_1177:                           ;   in Loop: Header=BB216_1066 Depth=1
	s_or_b32 exec_lo, exec_lo, s13
	v_cmp_ne_u16_sdwa s4, v6, v9 src0_sel:BYTE_1 src1_sel:DWORD
	s_and_saveexec_b32 s13, s4
	s_cbranch_execz .LBB216_1185
; %bb.1178:                             ;   in Loop: Header=BB216_1066 Depth=1
	v_mov_b32_e32 v10, v9
	v_mov_b32_e32 v21, v11
	v_cmp_ne_u16_sdwa s4, v6, v100 src0_sel:BYTE_1 src1_sel:DWORD
	v_mov_b32_e32 v20, v10
	s_and_saveexec_b32 s15, s4
	s_cbranch_execz .LBB216_1184
; %bb.1179:                             ;   in Loop: Header=BB216_1066 Depth=1
	v_mov_b32_e32 v7, 0xffff
	v_mov_b32_e32 v12, v9
	;; [unrolled: 1-line block ×3, first 2 shown]
	s_mov_b32 s16, exec_lo
	v_and_b32_sdwa v7, v7, v6 dst_sel:DWORD dst_unused:UNUSED_PAD src0_sel:DWORD src1_sel:BYTE_1
	v_mov_b32_e32 v20, v12
	v_and_b32_e32 v10, 0x7f, v7
	v_cmpx_ne_u32_e32 0x7f, v10
	s_cbranch_execz .LBB216_1183
; %bb.1180:                             ;   in Loop: Header=BB216_1066 Depth=1
	v_and_b32_e32 v8, 7, v7
	v_lshrrev_b32_e32 v7, 3, v10
	s_mov_b32 s17, exec_lo
	v_cmpx_gt_u32_e32 8, v10
; %bb.1181:                             ;   in Loop: Header=BB216_1066 Depth=1
	v_ffbh_u32_e32 v7, v8
	v_min_u32_e32 v7, 32, v7
	v_subrev_nc_u32_e32 v10, 28, v7
	v_sub_nc_u32_e32 v7, 29, v7
	v_lshlrev_b64 v[20:21], v10, v[8:9]
	v_and_b32_e32 v8, 7, v20
; %bb.1182:                             ;   in Loop: Header=BB216_1066 Depth=1
	s_or_b32 exec_lo, exec_lo, s17
	v_lshlrev_b32_e32 v10, 16, v6
	v_lshlrev_b32_e32 v8, 20, v8
	v_lshl_add_u32 v7, v7, 23, 0x3c000000
	v_mov_b32_e32 v20, v9
	v_and_b32_e32 v10, 0x80000000, v10
	v_or3_b32 v21, v8, v10, v7
.LBB216_1183:                           ;   in Loop: Header=BB216_1066 Depth=1
	s_or_b32 exec_lo, exec_lo, s16
.LBB216_1184:                           ;   in Loop: Header=BB216_1066 Depth=1
	s_or_b32 exec_lo, exec_lo, s15
.LBB216_1185:                           ;   in Loop: Header=BB216_1066 Depth=1
	s_or_b32 exec_lo, exec_lo, s13
	v_mov_b32_e32 v24, 0
	v_mov_b32_e32 v22, 0
	v_and_b32_sdwa v7, v6, v102 dst_sel:DWORD dst_unused:UNUSED_PAD src0_sel:WORD_1 src1_sel:DWORD
	v_mov_b32_e32 v25, 0
	v_mov_b32_e32 v23, 0
	s_mov_b32 s13, exec_lo
	v_cmpx_ne_u16_e32 0, v7
	s_cbranch_execz .LBB216_1193
; %bb.1186:                             ;   in Loop: Header=BB216_1066 Depth=1
	v_bfrev_b32_e32 v22, 1
	v_mov_b32_e32 v23, 0
	s_mov_b32 s15, exec_lo
	v_cmpx_ne_u16_e32 0x80, v7
	s_cbranch_execz .LBB216_1192
; %bb.1187:                             ;   in Loop: Header=BB216_1066 Depth=1
	v_mov_b32_e32 v22, 0x7f800001
	v_bfe_u32 v10, v6, 16, 7
	v_mov_b32_e32 v23, 0
	s_mov_b32 s16, exec_lo
	v_cmpx_ne_u32_e32 0x7f, v10
	s_cbranch_execz .LBB216_1191
; %bb.1188:                             ;   in Loop: Header=BB216_1066 Depth=1
	v_mov_b32_e32 v7, 7
	s_mov_b32 s17, exec_lo
	v_and_b32_sdwa v8, v6, v7 dst_sel:DWORD dst_unused:UNUSED_PAD src0_sel:WORD_1 src1_sel:DWORD
	v_lshrrev_b32_e32 v7, 3, v10
	v_cmpx_gt_u32_e32 8, v10
; %bb.1189:                             ;   in Loop: Header=BB216_1066 Depth=1
	v_ffbh_u32_e32 v7, v8
	v_min_u32_e32 v7, 32, v7
	v_subrev_nc_u32_e32 v10, 28, v7
	v_sub_nc_u32_e32 v7, 29, v7
	v_lshlrev_b64 v[22:23], v10, v[8:9]
	v_and_b32_e32 v8, 7, v22
; %bb.1190:                             ;   in Loop: Header=BB216_1066 Depth=1
	s_or_b32 exec_lo, exec_lo, s17
	v_mov_b32_e32 v10, 24
	v_lshlrev_b32_e32 v8, 20, v8
	v_lshl_add_u32 v7, v7, 23, 0x3c000000
	v_lshlrev_b32_sdwa v10, v10, v6 dst_sel:DWORD dst_unused:UNUSED_PAD src0_sel:DWORD src1_sel:WORD_1
	v_and_b32_e32 v10, 0x80000000, v10
	v_or3_b32 v8, v8, v10, v7
	v_mov_b32_e32 v23, v9
	v_mov_b32_e32 v22, v8
.LBB216_1191:                           ;   in Loop: Header=BB216_1066 Depth=1
	s_or_b32 exec_lo, exec_lo, s16
.LBB216_1192:                           ;   in Loop: Header=BB216_1066 Depth=1
	s_or_b32 exec_lo, exec_lo, s15
.LBB216_1193:                           ;   in Loop: Header=BB216_1066 Depth=1
	s_or_b32 exec_lo, exec_lo, s13
	s_mov_b32 s13, exec_lo
	v_cmpx_lt_u32_e32 0xffffff, v6
	s_cbranch_execz .LBB216_1201
; %bb.1194:                             ;   in Loop: Header=BB216_1066 Depth=1
	v_mov_b32_e32 v10, v9
	v_mov_b32_e32 v25, v11
	v_cmp_ne_u32_sdwa s4, v6, v100 src0_sel:BYTE_3 src1_sel:DWORD
	v_mov_b32_e32 v24, v10
	s_and_saveexec_b32 s15, s4
	s_cbranch_execz .LBB216_1200
; %bb.1195:                             ;   in Loop: Header=BB216_1066 Depth=1
	v_mov_b32_e32 v12, v9
	v_mov_b32_e32 v25, v13
	v_bfe_u32 v10, v6, 24, 7
	s_mov_b32 s16, exec_lo
	v_mov_b32_e32 v24, v12
	v_cmpx_ne_u32_e32 0x7f, v10
	s_cbranch_execz .LBB216_1199
; %bb.1196:                             ;   in Loop: Header=BB216_1066 Depth=1
	v_mov_b32_e32 v7, 7
	s_mov_b32 s17, exec_lo
	v_and_b32_sdwa v8, v6, v7 dst_sel:DWORD dst_unused:UNUSED_PAD src0_sel:BYTE_3 src1_sel:DWORD
	v_lshrrev_b32_e32 v7, 3, v10
	v_cmpx_gt_u32_e32 8, v10
; %bb.1197:                             ;   in Loop: Header=BB216_1066 Depth=1
	v_ffbh_u32_e32 v7, v8
	v_min_u32_e32 v7, 32, v7
	v_subrev_nc_u32_e32 v10, 28, v7
	v_sub_nc_u32_e32 v7, 29, v7
	v_lshlrev_b64 v[24:25], v10, v[8:9]
	v_and_b32_e32 v8, 7, v24
; %bb.1198:                             ;   in Loop: Header=BB216_1066 Depth=1
	s_or_b32 exec_lo, exec_lo, s17
	v_mov_b32_e32 v10, 24
	v_lshlrev_b32_e32 v8, 20, v8
	v_lshl_add_u32 v7, v7, 23, 0x3c000000
	v_mov_b32_e32 v24, v9
	v_lshlrev_b32_sdwa v6, v10, v6 dst_sel:DWORD dst_unused:UNUSED_PAD src0_sel:DWORD src1_sel:BYTE_3
	v_and_b32_e32 v6, 0x80000000, v6
	v_or3_b32 v25, v8, v6, v7
.LBB216_1199:                           ;   in Loop: Header=BB216_1066 Depth=1
	s_or_b32 exec_lo, exec_lo, s16
.LBB216_1200:                           ;   in Loop: Header=BB216_1066 Depth=1
	s_or_b32 exec_lo, exec_lo, s15
.LBB216_1201:                           ;   in Loop: Header=BB216_1066 Depth=1
	s_or_b32 exec_lo, exec_lo, s13
	v_or_b32_e32 v6, v21, v19
	v_or_b32_e32 v7, v20, v18
	;; [unrolled: 1-line block ×4, first 2 shown]
	v_mul_f32_e32 v6, v119, v6
	buffer_store_dword v6, off, s[0:3], s32 offset:340 ; 4-byte Folded Spill
	v_mul_f32_e32 v6, v119, v7
	buffer_store_dword v6, off, s[0:3], s32 offset:332 ; 4-byte Folded Spill
	;; [unrolled: 2-line block ×4, first 2 shown]
	s_and_saveexec_b32 s13, vcc_lo
	s_cbranch_execz .LBB216_1203
; %bb.1202:                             ;   in Loop: Header=BB216_1066 Depth=1
	buffer_load_dword v6, off, s[0:3], s32 offset:332 ; 4-byte Folded Reload
	v_cmp_lt_i32_e64 s4, v40, v27
	s_waitcnt vmcnt(0)
	v_cndmask_b32_e64 v6, 0, v6, s4
	v_cmp_lt_i32_e64 s4, v43, v27
	buffer_store_dword v6, off, s[0:3], s32 offset:332 ; 4-byte Folded Spill
	buffer_load_dword v6, off, s[0:3], s32 offset:340 ; 4-byte Folded Reload
	s_waitcnt vmcnt(0)
	v_cndmask_b32_e64 v6, 0, v6, s4
	v_cmp_lt_i32_e64 s4, v42, v27
	buffer_store_dword v6, off, s[0:3], s32 offset:340 ; 4-byte Folded Spill
	buffer_load_dword v6, off, s[0:3], s32 offset:324 ; 4-byte Folded Reload
	;; [unrolled: 5-line block ×3, first 2 shown]
	s_waitcnt vmcnt(0)
	v_cndmask_b32_e64 v6, 0, v6, s4
	buffer_store_dword v6, off, s[0:3], s32 offset:316 ; 4-byte Folded Spill
.LBB216_1203:                           ;   in Loop: Header=BB216_1066 Depth=1
	s_or_b32 exec_lo, exec_lo, s13
	flat_load_dword v6, v[4:5] offset:512
	v_mov_b32_e32 v20, 0
	v_mov_b32_e32 v18, 0
	v_mov_b32_e32 v21, 0
	v_mov_b32_e32 v19, 0
	s_waitcnt vmcnt(0) lgkmcnt(0)
	v_cmp_ne_u16_sdwa s4, v6, v9 src0_sel:BYTE_0 src1_sel:DWORD
	s_and_saveexec_b32 s13, s4
	s_cbranch_execz .LBB216_1211
; %bb.1204:                             ;   in Loop: Header=BB216_1066 Depth=1
	v_bfrev_b32_e32 v18, 1
	v_mov_b32_e32 v19, 0
	v_cmp_ne_u16_sdwa s4, v6, v100 src0_sel:BYTE_0 src1_sel:DWORD
	s_and_saveexec_b32 s15, s4
	s_cbranch_execz .LBB216_1210
; %bb.1205:                             ;   in Loop: Header=BB216_1066 Depth=1
	v_mov_b32_e32 v18, 0x7f800001
	v_and_b32_e32 v10, 0x7f, v6
	v_mov_b32_e32 v19, 0
	s_mov_b32 s16, exec_lo
	v_cmpx_ne_u32_e32 0x7f, v10
	s_cbranch_execz .LBB216_1209
; %bb.1206:                             ;   in Loop: Header=BB216_1066 Depth=1
	v_and_b32_e32 v8, 7, v6
	v_lshrrev_b32_e32 v7, 3, v10
	s_mov_b32 s17, exec_lo
	v_cmpx_gt_u32_e32 8, v10
; %bb.1207:                             ;   in Loop: Header=BB216_1066 Depth=1
	v_ffbh_u32_e32 v7, v8
	v_min_u32_e32 v7, 32, v7
	v_subrev_nc_u32_e32 v10, 28, v7
	v_sub_nc_u32_e32 v7, 29, v7
	v_lshlrev_b64 v[18:19], v10, v[8:9]
	v_and_b32_e32 v8, 7, v18
; %bb.1208:                             ;   in Loop: Header=BB216_1066 Depth=1
	s_or_b32 exec_lo, exec_lo, s17
	v_lshlrev_b32_e32 v10, 24, v6
	v_lshlrev_b32_e32 v8, 20, v8
	v_lshl_add_u32 v7, v7, 23, 0x3c000000
	v_and_b32_e32 v10, 0x80000000, v10
	v_or3_b32 v8, v8, v10, v7
	v_mov_b32_e32 v19, v9
	v_mov_b32_e32 v18, v8
.LBB216_1209:                           ;   in Loop: Header=BB216_1066 Depth=1
	s_or_b32 exec_lo, exec_lo, s16
.LBB216_1210:                           ;   in Loop: Header=BB216_1066 Depth=1
	s_or_b32 exec_lo, exec_lo, s15
.LBB216_1211:                           ;   in Loop: Header=BB216_1066 Depth=1
	s_or_b32 exec_lo, exec_lo, s13
	v_cmp_ne_u16_sdwa s4, v6, v9 src0_sel:BYTE_1 src1_sel:DWORD
	s_and_saveexec_b32 s13, s4
	s_cbranch_execz .LBB216_1219
; %bb.1212:                             ;   in Loop: Header=BB216_1066 Depth=1
	v_mov_b32_e32 v10, v9
	v_mov_b32_e32 v21, v11
	v_cmp_ne_u16_sdwa s4, v6, v100 src0_sel:BYTE_1 src1_sel:DWORD
	v_mov_b32_e32 v20, v10
	s_and_saveexec_b32 s15, s4
	s_cbranch_execz .LBB216_1218
; %bb.1213:                             ;   in Loop: Header=BB216_1066 Depth=1
	v_mov_b32_e32 v7, 0xffff
	v_mov_b32_e32 v12, v9
	;; [unrolled: 1-line block ×3, first 2 shown]
	s_mov_b32 s16, exec_lo
	v_and_b32_sdwa v7, v7, v6 dst_sel:DWORD dst_unused:UNUSED_PAD src0_sel:DWORD src1_sel:BYTE_1
	v_mov_b32_e32 v20, v12
	v_and_b32_e32 v10, 0x7f, v7
	v_cmpx_ne_u32_e32 0x7f, v10
	s_cbranch_execz .LBB216_1217
; %bb.1214:                             ;   in Loop: Header=BB216_1066 Depth=1
	v_and_b32_e32 v8, 7, v7
	v_lshrrev_b32_e32 v7, 3, v10
	s_mov_b32 s17, exec_lo
	v_cmpx_gt_u32_e32 8, v10
; %bb.1215:                             ;   in Loop: Header=BB216_1066 Depth=1
	v_ffbh_u32_e32 v7, v8
	v_min_u32_e32 v7, 32, v7
	v_subrev_nc_u32_e32 v10, 28, v7
	v_sub_nc_u32_e32 v7, 29, v7
	v_lshlrev_b64 v[20:21], v10, v[8:9]
	v_and_b32_e32 v8, 7, v20
; %bb.1216:                             ;   in Loop: Header=BB216_1066 Depth=1
	s_or_b32 exec_lo, exec_lo, s17
	v_lshlrev_b32_e32 v10, 16, v6
	v_lshlrev_b32_e32 v8, 20, v8
	v_lshl_add_u32 v7, v7, 23, 0x3c000000
	v_mov_b32_e32 v20, v9
	v_and_b32_e32 v10, 0x80000000, v10
	v_or3_b32 v21, v8, v10, v7
.LBB216_1217:                           ;   in Loop: Header=BB216_1066 Depth=1
	s_or_b32 exec_lo, exec_lo, s16
.LBB216_1218:                           ;   in Loop: Header=BB216_1066 Depth=1
	s_or_b32 exec_lo, exec_lo, s15
.LBB216_1219:                           ;   in Loop: Header=BB216_1066 Depth=1
	s_or_b32 exec_lo, exec_lo, s13
	v_mov_b32_e32 v24, 0
	v_mov_b32_e32 v22, 0
	v_and_b32_sdwa v7, v6, v102 dst_sel:DWORD dst_unused:UNUSED_PAD src0_sel:WORD_1 src1_sel:DWORD
	v_mov_b32_e32 v25, 0
	v_mov_b32_e32 v23, 0
	s_mov_b32 s13, exec_lo
	v_cmpx_ne_u16_e32 0, v7
	s_cbranch_execz .LBB216_1227
; %bb.1220:                             ;   in Loop: Header=BB216_1066 Depth=1
	v_bfrev_b32_e32 v22, 1
	v_mov_b32_e32 v23, 0
	s_mov_b32 s15, exec_lo
	v_cmpx_ne_u16_e32 0x80, v7
	s_cbranch_execz .LBB216_1226
; %bb.1221:                             ;   in Loop: Header=BB216_1066 Depth=1
	v_mov_b32_e32 v22, 0x7f800001
	v_bfe_u32 v10, v6, 16, 7
	v_mov_b32_e32 v23, 0
	s_mov_b32 s16, exec_lo
	v_cmpx_ne_u32_e32 0x7f, v10
	s_cbranch_execz .LBB216_1225
; %bb.1222:                             ;   in Loop: Header=BB216_1066 Depth=1
	v_mov_b32_e32 v7, 7
	s_mov_b32 s17, exec_lo
	v_and_b32_sdwa v8, v6, v7 dst_sel:DWORD dst_unused:UNUSED_PAD src0_sel:WORD_1 src1_sel:DWORD
	v_lshrrev_b32_e32 v7, 3, v10
	v_cmpx_gt_u32_e32 8, v10
; %bb.1223:                             ;   in Loop: Header=BB216_1066 Depth=1
	v_ffbh_u32_e32 v7, v8
	v_min_u32_e32 v7, 32, v7
	v_subrev_nc_u32_e32 v10, 28, v7
	v_sub_nc_u32_e32 v7, 29, v7
	v_lshlrev_b64 v[22:23], v10, v[8:9]
	v_and_b32_e32 v8, 7, v22
; %bb.1224:                             ;   in Loop: Header=BB216_1066 Depth=1
	s_or_b32 exec_lo, exec_lo, s17
	v_mov_b32_e32 v10, 24
	v_lshlrev_b32_e32 v8, 20, v8
	v_lshl_add_u32 v7, v7, 23, 0x3c000000
	v_lshlrev_b32_sdwa v10, v10, v6 dst_sel:DWORD dst_unused:UNUSED_PAD src0_sel:DWORD src1_sel:WORD_1
	v_and_b32_e32 v10, 0x80000000, v10
	v_or3_b32 v8, v8, v10, v7
	v_mov_b32_e32 v23, v9
	v_mov_b32_e32 v22, v8
.LBB216_1225:                           ;   in Loop: Header=BB216_1066 Depth=1
	s_or_b32 exec_lo, exec_lo, s16
.LBB216_1226:                           ;   in Loop: Header=BB216_1066 Depth=1
	s_or_b32 exec_lo, exec_lo, s15
.LBB216_1227:                           ;   in Loop: Header=BB216_1066 Depth=1
	s_or_b32 exec_lo, exec_lo, s13
	s_mov_b32 s13, exec_lo
	v_cmpx_lt_u32_e32 0xffffff, v6
	s_cbranch_execz .LBB216_1235
; %bb.1228:                             ;   in Loop: Header=BB216_1066 Depth=1
	v_mov_b32_e32 v10, v9
	v_mov_b32_e32 v25, v11
	v_cmp_ne_u32_sdwa s4, v6, v100 src0_sel:BYTE_3 src1_sel:DWORD
	v_mov_b32_e32 v24, v10
	s_and_saveexec_b32 s15, s4
	s_cbranch_execz .LBB216_1234
; %bb.1229:                             ;   in Loop: Header=BB216_1066 Depth=1
	v_mov_b32_e32 v12, v9
	v_mov_b32_e32 v25, v13
	v_bfe_u32 v10, v6, 24, 7
	s_mov_b32 s16, exec_lo
	v_mov_b32_e32 v24, v12
	v_cmpx_ne_u32_e32 0x7f, v10
	s_cbranch_execz .LBB216_1233
; %bb.1230:                             ;   in Loop: Header=BB216_1066 Depth=1
	v_mov_b32_e32 v7, 7
	s_mov_b32 s17, exec_lo
	v_and_b32_sdwa v8, v6, v7 dst_sel:DWORD dst_unused:UNUSED_PAD src0_sel:BYTE_3 src1_sel:DWORD
	v_lshrrev_b32_e32 v7, 3, v10
	v_cmpx_gt_u32_e32 8, v10
; %bb.1231:                             ;   in Loop: Header=BB216_1066 Depth=1
	v_ffbh_u32_e32 v7, v8
	v_min_u32_e32 v7, 32, v7
	v_subrev_nc_u32_e32 v10, 28, v7
	v_sub_nc_u32_e32 v7, 29, v7
	v_lshlrev_b64 v[24:25], v10, v[8:9]
	v_and_b32_e32 v8, 7, v24
; %bb.1232:                             ;   in Loop: Header=BB216_1066 Depth=1
	s_or_b32 exec_lo, exec_lo, s17
	v_mov_b32_e32 v10, 24
	v_lshlrev_b32_e32 v8, 20, v8
	v_lshl_add_u32 v7, v7, 23, 0x3c000000
	v_mov_b32_e32 v24, v9
	v_lshlrev_b32_sdwa v6, v10, v6 dst_sel:DWORD dst_unused:UNUSED_PAD src0_sel:DWORD src1_sel:BYTE_3
	v_and_b32_e32 v6, 0x80000000, v6
	v_or3_b32 v25, v8, v6, v7
.LBB216_1233:                           ;   in Loop: Header=BB216_1066 Depth=1
	s_or_b32 exec_lo, exec_lo, s16
.LBB216_1234:                           ;   in Loop: Header=BB216_1066 Depth=1
	s_or_b32 exec_lo, exec_lo, s15
.LBB216_1235:                           ;   in Loop: Header=BB216_1066 Depth=1
	s_or_b32 exec_lo, exec_lo, s13
	v_or_b32_e32 v6, v21, v19
	v_or_b32_e32 v7, v20, v18
	;; [unrolled: 1-line block ×4, first 2 shown]
	v_mul_f32_e32 v6, v119, v6
	buffer_store_dword v6, off, s[0:3], s32 offset:372 ; 4-byte Folded Spill
	v_mul_f32_e32 v6, v119, v7
	buffer_store_dword v6, off, s[0:3], s32 offset:364 ; 4-byte Folded Spill
	;; [unrolled: 2-line block ×4, first 2 shown]
	s_and_saveexec_b32 s13, vcc_lo
	s_cbranch_execz .LBB216_1237
; %bb.1236:                             ;   in Loop: Header=BB216_1066 Depth=1
	buffer_load_dword v6, off, s[0:3], s32 offset:364 ; 4-byte Folded Reload
	v_cmp_lt_i32_e64 s4, v40, v27
	s_waitcnt vmcnt(0)
	v_cndmask_b32_e64 v6, 0, v6, s4
	v_cmp_lt_i32_e64 s4, v43, v27
	buffer_store_dword v6, off, s[0:3], s32 offset:364 ; 4-byte Folded Spill
	buffer_load_dword v6, off, s[0:3], s32 offset:372 ; 4-byte Folded Reload
	s_waitcnt vmcnt(0)
	v_cndmask_b32_e64 v6, 0, v6, s4
	v_cmp_lt_i32_e64 s4, v42, v27
	buffer_store_dword v6, off, s[0:3], s32 offset:372 ; 4-byte Folded Spill
	buffer_load_dword v6, off, s[0:3], s32 offset:356 ; 4-byte Folded Reload
	;; [unrolled: 5-line block ×3, first 2 shown]
	s_waitcnt vmcnt(0)
	v_cndmask_b32_e64 v6, 0, v6, s4
	buffer_store_dword v6, off, s[0:3], s32 offset:348 ; 4-byte Folded Spill
.LBB216_1237:                           ;   in Loop: Header=BB216_1066 Depth=1
	s_or_b32 exec_lo, exec_lo, s13
	flat_load_dword v6, v[4:5] offset:640
	v_mov_b32_e32 v20, 0
	v_mov_b32_e32 v18, 0
	;; [unrolled: 1-line block ×4, first 2 shown]
	s_waitcnt vmcnt(0) lgkmcnt(0)
	v_cmp_ne_u16_sdwa s4, v6, v9 src0_sel:BYTE_0 src1_sel:DWORD
	s_and_saveexec_b32 s13, s4
	s_cbranch_execz .LBB216_1245
; %bb.1238:                             ;   in Loop: Header=BB216_1066 Depth=1
	v_bfrev_b32_e32 v18, 1
	v_mov_b32_e32 v19, 0
	v_cmp_ne_u16_sdwa s4, v6, v100 src0_sel:BYTE_0 src1_sel:DWORD
	s_and_saveexec_b32 s15, s4
	s_cbranch_execz .LBB216_1244
; %bb.1239:                             ;   in Loop: Header=BB216_1066 Depth=1
	v_mov_b32_e32 v18, 0x7f800001
	v_and_b32_e32 v10, 0x7f, v6
	v_mov_b32_e32 v19, 0
	s_mov_b32 s16, exec_lo
	v_cmpx_ne_u32_e32 0x7f, v10
	s_cbranch_execz .LBB216_1243
; %bb.1240:                             ;   in Loop: Header=BB216_1066 Depth=1
	v_and_b32_e32 v8, 7, v6
	v_lshrrev_b32_e32 v7, 3, v10
	s_mov_b32 s17, exec_lo
	v_cmpx_gt_u32_e32 8, v10
; %bb.1241:                             ;   in Loop: Header=BB216_1066 Depth=1
	v_ffbh_u32_e32 v7, v8
	v_min_u32_e32 v7, 32, v7
	v_subrev_nc_u32_e32 v10, 28, v7
	v_sub_nc_u32_e32 v7, 29, v7
	v_lshlrev_b64 v[18:19], v10, v[8:9]
	v_and_b32_e32 v8, 7, v18
; %bb.1242:                             ;   in Loop: Header=BB216_1066 Depth=1
	s_or_b32 exec_lo, exec_lo, s17
	v_lshlrev_b32_e32 v10, 24, v6
	v_lshlrev_b32_e32 v8, 20, v8
	v_lshl_add_u32 v7, v7, 23, 0x3c000000
	v_and_b32_e32 v10, 0x80000000, v10
	v_or3_b32 v8, v8, v10, v7
	v_mov_b32_e32 v19, v9
	v_mov_b32_e32 v18, v8
.LBB216_1243:                           ;   in Loop: Header=BB216_1066 Depth=1
	s_or_b32 exec_lo, exec_lo, s16
.LBB216_1244:                           ;   in Loop: Header=BB216_1066 Depth=1
	s_or_b32 exec_lo, exec_lo, s15
.LBB216_1245:                           ;   in Loop: Header=BB216_1066 Depth=1
	s_or_b32 exec_lo, exec_lo, s13
	v_cmp_ne_u16_sdwa s4, v6, v9 src0_sel:BYTE_1 src1_sel:DWORD
	s_and_saveexec_b32 s13, s4
	s_cbranch_execz .LBB216_1253
; %bb.1246:                             ;   in Loop: Header=BB216_1066 Depth=1
	v_mov_b32_e32 v10, v9
	v_mov_b32_e32 v21, v11
	v_cmp_ne_u16_sdwa s4, v6, v100 src0_sel:BYTE_1 src1_sel:DWORD
	v_mov_b32_e32 v20, v10
	s_and_saveexec_b32 s15, s4
	s_cbranch_execz .LBB216_1252
; %bb.1247:                             ;   in Loop: Header=BB216_1066 Depth=1
	v_mov_b32_e32 v7, 0xffff
	v_mov_b32_e32 v12, v9
	;; [unrolled: 1-line block ×3, first 2 shown]
	s_mov_b32 s16, exec_lo
	v_and_b32_sdwa v7, v7, v6 dst_sel:DWORD dst_unused:UNUSED_PAD src0_sel:DWORD src1_sel:BYTE_1
	v_mov_b32_e32 v20, v12
	v_and_b32_e32 v10, 0x7f, v7
	v_cmpx_ne_u32_e32 0x7f, v10
	s_cbranch_execz .LBB216_1251
; %bb.1248:                             ;   in Loop: Header=BB216_1066 Depth=1
	v_and_b32_e32 v8, 7, v7
	v_lshrrev_b32_e32 v7, 3, v10
	s_mov_b32 s17, exec_lo
	v_cmpx_gt_u32_e32 8, v10
; %bb.1249:                             ;   in Loop: Header=BB216_1066 Depth=1
	v_ffbh_u32_e32 v7, v8
	v_min_u32_e32 v7, 32, v7
	v_subrev_nc_u32_e32 v10, 28, v7
	v_sub_nc_u32_e32 v7, 29, v7
	v_lshlrev_b64 v[20:21], v10, v[8:9]
	v_and_b32_e32 v8, 7, v20
; %bb.1250:                             ;   in Loop: Header=BB216_1066 Depth=1
	s_or_b32 exec_lo, exec_lo, s17
	v_lshlrev_b32_e32 v10, 16, v6
	v_lshlrev_b32_e32 v8, 20, v8
	v_lshl_add_u32 v7, v7, 23, 0x3c000000
	v_mov_b32_e32 v20, v9
	v_and_b32_e32 v10, 0x80000000, v10
	v_or3_b32 v21, v8, v10, v7
.LBB216_1251:                           ;   in Loop: Header=BB216_1066 Depth=1
	s_or_b32 exec_lo, exec_lo, s16
.LBB216_1252:                           ;   in Loop: Header=BB216_1066 Depth=1
	s_or_b32 exec_lo, exec_lo, s15
.LBB216_1253:                           ;   in Loop: Header=BB216_1066 Depth=1
	s_or_b32 exec_lo, exec_lo, s13
	v_mov_b32_e32 v24, 0
	v_mov_b32_e32 v22, 0
	v_and_b32_sdwa v7, v6, v102 dst_sel:DWORD dst_unused:UNUSED_PAD src0_sel:WORD_1 src1_sel:DWORD
	v_mov_b32_e32 v25, 0
	v_mov_b32_e32 v23, 0
	s_mov_b32 s13, exec_lo
	v_cmpx_ne_u16_e32 0, v7
	s_cbranch_execz .LBB216_1261
; %bb.1254:                             ;   in Loop: Header=BB216_1066 Depth=1
	v_bfrev_b32_e32 v22, 1
	v_mov_b32_e32 v23, 0
	s_mov_b32 s15, exec_lo
	v_cmpx_ne_u16_e32 0x80, v7
	s_cbranch_execz .LBB216_1260
; %bb.1255:                             ;   in Loop: Header=BB216_1066 Depth=1
	v_mov_b32_e32 v22, 0x7f800001
	v_bfe_u32 v10, v6, 16, 7
	v_mov_b32_e32 v23, 0
	s_mov_b32 s16, exec_lo
	v_cmpx_ne_u32_e32 0x7f, v10
	s_cbranch_execz .LBB216_1259
; %bb.1256:                             ;   in Loop: Header=BB216_1066 Depth=1
	v_mov_b32_e32 v7, 7
	s_mov_b32 s17, exec_lo
	v_and_b32_sdwa v8, v6, v7 dst_sel:DWORD dst_unused:UNUSED_PAD src0_sel:WORD_1 src1_sel:DWORD
	v_lshrrev_b32_e32 v7, 3, v10
	v_cmpx_gt_u32_e32 8, v10
; %bb.1257:                             ;   in Loop: Header=BB216_1066 Depth=1
	v_ffbh_u32_e32 v7, v8
	v_min_u32_e32 v7, 32, v7
	v_subrev_nc_u32_e32 v10, 28, v7
	v_sub_nc_u32_e32 v7, 29, v7
	v_lshlrev_b64 v[22:23], v10, v[8:9]
	v_and_b32_e32 v8, 7, v22
; %bb.1258:                             ;   in Loop: Header=BB216_1066 Depth=1
	s_or_b32 exec_lo, exec_lo, s17
	v_mov_b32_e32 v10, 24
	v_lshlrev_b32_e32 v8, 20, v8
	v_lshl_add_u32 v7, v7, 23, 0x3c000000
	v_lshlrev_b32_sdwa v10, v10, v6 dst_sel:DWORD dst_unused:UNUSED_PAD src0_sel:DWORD src1_sel:WORD_1
	v_and_b32_e32 v10, 0x80000000, v10
	v_or3_b32 v8, v8, v10, v7
	v_mov_b32_e32 v23, v9
	v_mov_b32_e32 v22, v8
.LBB216_1259:                           ;   in Loop: Header=BB216_1066 Depth=1
	s_or_b32 exec_lo, exec_lo, s16
.LBB216_1260:                           ;   in Loop: Header=BB216_1066 Depth=1
	s_or_b32 exec_lo, exec_lo, s15
.LBB216_1261:                           ;   in Loop: Header=BB216_1066 Depth=1
	s_or_b32 exec_lo, exec_lo, s13
	s_mov_b32 s13, exec_lo
	v_cmpx_lt_u32_e32 0xffffff, v6
	s_cbranch_execz .LBB216_1269
; %bb.1262:                             ;   in Loop: Header=BB216_1066 Depth=1
	v_mov_b32_e32 v10, v9
	v_mov_b32_e32 v25, v11
	v_cmp_ne_u32_sdwa s4, v6, v100 src0_sel:BYTE_3 src1_sel:DWORD
	v_mov_b32_e32 v24, v10
	s_and_saveexec_b32 s15, s4
	s_cbranch_execz .LBB216_1268
; %bb.1263:                             ;   in Loop: Header=BB216_1066 Depth=1
	v_mov_b32_e32 v12, v9
	v_mov_b32_e32 v25, v13
	v_bfe_u32 v10, v6, 24, 7
	s_mov_b32 s16, exec_lo
	v_mov_b32_e32 v24, v12
	v_cmpx_ne_u32_e32 0x7f, v10
	s_cbranch_execz .LBB216_1267
; %bb.1264:                             ;   in Loop: Header=BB216_1066 Depth=1
	v_mov_b32_e32 v7, 7
	s_mov_b32 s17, exec_lo
	v_and_b32_sdwa v8, v6, v7 dst_sel:DWORD dst_unused:UNUSED_PAD src0_sel:BYTE_3 src1_sel:DWORD
	v_lshrrev_b32_e32 v7, 3, v10
	v_cmpx_gt_u32_e32 8, v10
; %bb.1265:                             ;   in Loop: Header=BB216_1066 Depth=1
	v_ffbh_u32_e32 v7, v8
	v_min_u32_e32 v7, 32, v7
	v_subrev_nc_u32_e32 v10, 28, v7
	v_sub_nc_u32_e32 v7, 29, v7
	v_lshlrev_b64 v[24:25], v10, v[8:9]
	v_and_b32_e32 v8, 7, v24
; %bb.1266:                             ;   in Loop: Header=BB216_1066 Depth=1
	s_or_b32 exec_lo, exec_lo, s17
	v_mov_b32_e32 v10, 24
	v_lshlrev_b32_e32 v8, 20, v8
	v_lshl_add_u32 v7, v7, 23, 0x3c000000
	v_mov_b32_e32 v24, v9
	v_lshlrev_b32_sdwa v6, v10, v6 dst_sel:DWORD dst_unused:UNUSED_PAD src0_sel:DWORD src1_sel:BYTE_3
	v_and_b32_e32 v6, 0x80000000, v6
	v_or3_b32 v25, v8, v6, v7
.LBB216_1267:                           ;   in Loop: Header=BB216_1066 Depth=1
	s_or_b32 exec_lo, exec_lo, s16
.LBB216_1268:                           ;   in Loop: Header=BB216_1066 Depth=1
	s_or_b32 exec_lo, exec_lo, s15
.LBB216_1269:                           ;   in Loop: Header=BB216_1066 Depth=1
	s_or_b32 exec_lo, exec_lo, s13
	v_or_b32_e32 v6, v21, v19
	v_or_b32_e32 v7, v20, v18
	;; [unrolled: 1-line block ×4, first 2 shown]
	v_mul_f32_e32 v6, v119, v6
	buffer_store_dword v6, off, s[0:3], s32 offset:404 ; 4-byte Folded Spill
	v_mul_f32_e32 v6, v119, v7
	buffer_store_dword v6, off, s[0:3], s32 offset:396 ; 4-byte Folded Spill
	;; [unrolled: 2-line block ×4, first 2 shown]
	s_and_saveexec_b32 s13, vcc_lo
	s_cbranch_execz .LBB216_1271
; %bb.1270:                             ;   in Loop: Header=BB216_1066 Depth=1
	buffer_load_dword v6, off, s[0:3], s32 offset:396 ; 4-byte Folded Reload
	v_cmp_lt_i32_e64 s4, v40, v27
	s_waitcnt vmcnt(0)
	v_cndmask_b32_e64 v6, 0, v6, s4
	v_cmp_lt_i32_e64 s4, v43, v27
	buffer_store_dword v6, off, s[0:3], s32 offset:396 ; 4-byte Folded Spill
	buffer_load_dword v6, off, s[0:3], s32 offset:404 ; 4-byte Folded Reload
	s_waitcnt vmcnt(0)
	v_cndmask_b32_e64 v6, 0, v6, s4
	v_cmp_lt_i32_e64 s4, v42, v27
	buffer_store_dword v6, off, s[0:3], s32 offset:404 ; 4-byte Folded Spill
	buffer_load_dword v6, off, s[0:3], s32 offset:388 ; 4-byte Folded Reload
	;; [unrolled: 5-line block ×3, first 2 shown]
	s_waitcnt vmcnt(0)
	v_cndmask_b32_e64 v6, 0, v6, s4
	buffer_store_dword v6, off, s[0:3], s32 offset:380 ; 4-byte Folded Spill
.LBB216_1271:                           ;   in Loop: Header=BB216_1066 Depth=1
	s_or_b32 exec_lo, exec_lo, s13
	flat_load_dword v6, v[4:5] offset:768
	v_mov_b32_e32 v20, 0
	v_mov_b32_e32 v18, 0
	;; [unrolled: 1-line block ×4, first 2 shown]
	s_waitcnt vmcnt(0) lgkmcnt(0)
	v_cmp_ne_u16_sdwa s4, v6, v9 src0_sel:BYTE_0 src1_sel:DWORD
	s_and_saveexec_b32 s13, s4
	s_cbranch_execz .LBB216_1279
; %bb.1272:                             ;   in Loop: Header=BB216_1066 Depth=1
	v_bfrev_b32_e32 v18, 1
	v_mov_b32_e32 v19, 0
	v_cmp_ne_u16_sdwa s4, v6, v100 src0_sel:BYTE_0 src1_sel:DWORD
	s_and_saveexec_b32 s15, s4
	s_cbranch_execz .LBB216_1278
; %bb.1273:                             ;   in Loop: Header=BB216_1066 Depth=1
	v_mov_b32_e32 v18, 0x7f800001
	v_and_b32_e32 v10, 0x7f, v6
	v_mov_b32_e32 v19, 0
	s_mov_b32 s16, exec_lo
	v_cmpx_ne_u32_e32 0x7f, v10
	s_cbranch_execz .LBB216_1277
; %bb.1274:                             ;   in Loop: Header=BB216_1066 Depth=1
	v_and_b32_e32 v8, 7, v6
	v_lshrrev_b32_e32 v7, 3, v10
	s_mov_b32 s17, exec_lo
	v_cmpx_gt_u32_e32 8, v10
; %bb.1275:                             ;   in Loop: Header=BB216_1066 Depth=1
	v_ffbh_u32_e32 v7, v8
	v_min_u32_e32 v7, 32, v7
	v_subrev_nc_u32_e32 v10, 28, v7
	v_sub_nc_u32_e32 v7, 29, v7
	v_lshlrev_b64 v[18:19], v10, v[8:9]
	v_and_b32_e32 v8, 7, v18
; %bb.1276:                             ;   in Loop: Header=BB216_1066 Depth=1
	s_or_b32 exec_lo, exec_lo, s17
	v_lshlrev_b32_e32 v10, 24, v6
	v_lshlrev_b32_e32 v8, 20, v8
	v_lshl_add_u32 v7, v7, 23, 0x3c000000
	v_and_b32_e32 v10, 0x80000000, v10
	v_or3_b32 v8, v8, v10, v7
	v_mov_b32_e32 v19, v9
	v_mov_b32_e32 v18, v8
.LBB216_1277:                           ;   in Loop: Header=BB216_1066 Depth=1
	s_or_b32 exec_lo, exec_lo, s16
.LBB216_1278:                           ;   in Loop: Header=BB216_1066 Depth=1
	s_or_b32 exec_lo, exec_lo, s15
.LBB216_1279:                           ;   in Loop: Header=BB216_1066 Depth=1
	s_or_b32 exec_lo, exec_lo, s13
	v_cmp_ne_u16_sdwa s4, v6, v9 src0_sel:BYTE_1 src1_sel:DWORD
	s_and_saveexec_b32 s13, s4
	s_cbranch_execz .LBB216_1287
; %bb.1280:                             ;   in Loop: Header=BB216_1066 Depth=1
	v_mov_b32_e32 v10, v9
	v_mov_b32_e32 v21, v11
	v_cmp_ne_u16_sdwa s4, v6, v100 src0_sel:BYTE_1 src1_sel:DWORD
	v_mov_b32_e32 v20, v10
	s_and_saveexec_b32 s15, s4
	s_cbranch_execz .LBB216_1286
; %bb.1281:                             ;   in Loop: Header=BB216_1066 Depth=1
	v_mov_b32_e32 v7, 0xffff
	v_mov_b32_e32 v12, v9
	;; [unrolled: 1-line block ×3, first 2 shown]
	s_mov_b32 s16, exec_lo
	v_and_b32_sdwa v7, v7, v6 dst_sel:DWORD dst_unused:UNUSED_PAD src0_sel:DWORD src1_sel:BYTE_1
	v_mov_b32_e32 v20, v12
	v_and_b32_e32 v10, 0x7f, v7
	v_cmpx_ne_u32_e32 0x7f, v10
	s_cbranch_execz .LBB216_1285
; %bb.1282:                             ;   in Loop: Header=BB216_1066 Depth=1
	v_and_b32_e32 v8, 7, v7
	v_lshrrev_b32_e32 v7, 3, v10
	s_mov_b32 s17, exec_lo
	v_cmpx_gt_u32_e32 8, v10
; %bb.1283:                             ;   in Loop: Header=BB216_1066 Depth=1
	v_ffbh_u32_e32 v7, v8
	v_min_u32_e32 v7, 32, v7
	v_subrev_nc_u32_e32 v10, 28, v7
	v_sub_nc_u32_e32 v7, 29, v7
	v_lshlrev_b64 v[20:21], v10, v[8:9]
	v_and_b32_e32 v8, 7, v20
; %bb.1284:                             ;   in Loop: Header=BB216_1066 Depth=1
	s_or_b32 exec_lo, exec_lo, s17
	v_lshlrev_b32_e32 v10, 16, v6
	v_lshlrev_b32_e32 v8, 20, v8
	v_lshl_add_u32 v7, v7, 23, 0x3c000000
	v_mov_b32_e32 v20, v9
	v_and_b32_e32 v10, 0x80000000, v10
	v_or3_b32 v21, v8, v10, v7
.LBB216_1285:                           ;   in Loop: Header=BB216_1066 Depth=1
	s_or_b32 exec_lo, exec_lo, s16
.LBB216_1286:                           ;   in Loop: Header=BB216_1066 Depth=1
	s_or_b32 exec_lo, exec_lo, s15
.LBB216_1287:                           ;   in Loop: Header=BB216_1066 Depth=1
	s_or_b32 exec_lo, exec_lo, s13
	v_mov_b32_e32 v24, 0
	v_mov_b32_e32 v22, 0
	v_and_b32_sdwa v7, v6, v102 dst_sel:DWORD dst_unused:UNUSED_PAD src0_sel:WORD_1 src1_sel:DWORD
	v_mov_b32_e32 v25, 0
	v_mov_b32_e32 v23, 0
	s_mov_b32 s13, exec_lo
	v_cmpx_ne_u16_e32 0, v7
	s_cbranch_execz .LBB216_1295
; %bb.1288:                             ;   in Loop: Header=BB216_1066 Depth=1
	v_bfrev_b32_e32 v22, 1
	v_mov_b32_e32 v23, 0
	s_mov_b32 s15, exec_lo
	v_cmpx_ne_u16_e32 0x80, v7
	s_cbranch_execz .LBB216_1294
; %bb.1289:                             ;   in Loop: Header=BB216_1066 Depth=1
	v_mov_b32_e32 v22, 0x7f800001
	v_bfe_u32 v10, v6, 16, 7
	v_mov_b32_e32 v23, 0
	s_mov_b32 s16, exec_lo
	v_cmpx_ne_u32_e32 0x7f, v10
	s_cbranch_execz .LBB216_1293
; %bb.1290:                             ;   in Loop: Header=BB216_1066 Depth=1
	v_mov_b32_e32 v7, 7
	s_mov_b32 s17, exec_lo
	v_and_b32_sdwa v8, v6, v7 dst_sel:DWORD dst_unused:UNUSED_PAD src0_sel:WORD_1 src1_sel:DWORD
	v_lshrrev_b32_e32 v7, 3, v10
	v_cmpx_gt_u32_e32 8, v10
; %bb.1291:                             ;   in Loop: Header=BB216_1066 Depth=1
	v_ffbh_u32_e32 v7, v8
	v_min_u32_e32 v7, 32, v7
	v_subrev_nc_u32_e32 v10, 28, v7
	v_sub_nc_u32_e32 v7, 29, v7
	v_lshlrev_b64 v[22:23], v10, v[8:9]
	v_and_b32_e32 v8, 7, v22
; %bb.1292:                             ;   in Loop: Header=BB216_1066 Depth=1
	s_or_b32 exec_lo, exec_lo, s17
	v_mov_b32_e32 v10, 24
	v_lshlrev_b32_e32 v8, 20, v8
	v_lshl_add_u32 v7, v7, 23, 0x3c000000
	v_lshlrev_b32_sdwa v10, v10, v6 dst_sel:DWORD dst_unused:UNUSED_PAD src0_sel:DWORD src1_sel:WORD_1
	v_and_b32_e32 v10, 0x80000000, v10
	v_or3_b32 v8, v8, v10, v7
	v_mov_b32_e32 v23, v9
	v_mov_b32_e32 v22, v8
.LBB216_1293:                           ;   in Loop: Header=BB216_1066 Depth=1
	s_or_b32 exec_lo, exec_lo, s16
.LBB216_1294:                           ;   in Loop: Header=BB216_1066 Depth=1
	s_or_b32 exec_lo, exec_lo, s15
.LBB216_1295:                           ;   in Loop: Header=BB216_1066 Depth=1
	s_or_b32 exec_lo, exec_lo, s13
	s_mov_b32 s13, exec_lo
	v_cmpx_lt_u32_e32 0xffffff, v6
	s_cbranch_execz .LBB216_1303
; %bb.1296:                             ;   in Loop: Header=BB216_1066 Depth=1
	v_mov_b32_e32 v10, v9
	v_mov_b32_e32 v25, v11
	v_cmp_ne_u32_sdwa s4, v6, v100 src0_sel:BYTE_3 src1_sel:DWORD
	v_mov_b32_e32 v24, v10
	s_and_saveexec_b32 s15, s4
	s_cbranch_execz .LBB216_1302
; %bb.1297:                             ;   in Loop: Header=BB216_1066 Depth=1
	v_mov_b32_e32 v12, v9
	v_mov_b32_e32 v25, v13
	v_bfe_u32 v10, v6, 24, 7
	s_mov_b32 s16, exec_lo
	v_mov_b32_e32 v24, v12
	v_cmpx_ne_u32_e32 0x7f, v10
	s_cbranch_execz .LBB216_1301
; %bb.1298:                             ;   in Loop: Header=BB216_1066 Depth=1
	v_mov_b32_e32 v7, 7
	s_mov_b32 s17, exec_lo
	v_and_b32_sdwa v8, v6, v7 dst_sel:DWORD dst_unused:UNUSED_PAD src0_sel:BYTE_3 src1_sel:DWORD
	v_lshrrev_b32_e32 v7, 3, v10
	v_cmpx_gt_u32_e32 8, v10
; %bb.1299:                             ;   in Loop: Header=BB216_1066 Depth=1
	v_ffbh_u32_e32 v7, v8
	v_min_u32_e32 v7, 32, v7
	v_subrev_nc_u32_e32 v10, 28, v7
	v_sub_nc_u32_e32 v7, 29, v7
	v_lshlrev_b64 v[24:25], v10, v[8:9]
	v_and_b32_e32 v8, 7, v24
; %bb.1300:                             ;   in Loop: Header=BB216_1066 Depth=1
	s_or_b32 exec_lo, exec_lo, s17
	v_mov_b32_e32 v10, 24
	v_lshlrev_b32_e32 v8, 20, v8
	v_lshl_add_u32 v7, v7, 23, 0x3c000000
	v_mov_b32_e32 v24, v9
	v_lshlrev_b32_sdwa v6, v10, v6 dst_sel:DWORD dst_unused:UNUSED_PAD src0_sel:DWORD src1_sel:BYTE_3
	v_and_b32_e32 v6, 0x80000000, v6
	v_or3_b32 v25, v8, v6, v7
.LBB216_1301:                           ;   in Loop: Header=BB216_1066 Depth=1
	s_or_b32 exec_lo, exec_lo, s16
.LBB216_1302:                           ;   in Loop: Header=BB216_1066 Depth=1
	s_or_b32 exec_lo, exec_lo, s15
.LBB216_1303:                           ;   in Loop: Header=BB216_1066 Depth=1
	s_or_b32 exec_lo, exec_lo, s13
	v_or_b32_e32 v6, v21, v19
	v_or_b32_e32 v7, v20, v18
	;; [unrolled: 1-line block ×4, first 2 shown]
	v_mul_f32_e32 v6, v119, v6
	buffer_store_dword v6, off, s[0:3], s32 offset:436 ; 4-byte Folded Spill
	v_mul_f32_e32 v6, v119, v7
	buffer_store_dword v6, off, s[0:3], s32 offset:428 ; 4-byte Folded Spill
	;; [unrolled: 2-line block ×4, first 2 shown]
	s_and_saveexec_b32 s13, vcc_lo
	s_cbranch_execz .LBB216_1305
; %bb.1304:                             ;   in Loop: Header=BB216_1066 Depth=1
	buffer_load_dword v6, off, s[0:3], s32 offset:428 ; 4-byte Folded Reload
	v_cmp_lt_i32_e64 s4, v40, v27
	s_waitcnt vmcnt(0)
	v_cndmask_b32_e64 v6, 0, v6, s4
	v_cmp_lt_i32_e64 s4, v43, v27
	buffer_store_dword v6, off, s[0:3], s32 offset:428 ; 4-byte Folded Spill
	buffer_load_dword v6, off, s[0:3], s32 offset:436 ; 4-byte Folded Reload
	s_waitcnt vmcnt(0)
	v_cndmask_b32_e64 v6, 0, v6, s4
	v_cmp_lt_i32_e64 s4, v42, v27
	buffer_store_dword v6, off, s[0:3], s32 offset:436 ; 4-byte Folded Spill
	buffer_load_dword v6, off, s[0:3], s32 offset:420 ; 4-byte Folded Reload
	;; [unrolled: 5-line block ×3, first 2 shown]
	s_waitcnt vmcnt(0)
	v_cndmask_b32_e64 v6, 0, v6, s4
	buffer_store_dword v6, off, s[0:3], s32 offset:412 ; 4-byte Folded Spill
.LBB216_1305:                           ;   in Loop: Header=BB216_1066 Depth=1
	s_or_b32 exec_lo, exec_lo, s13
	flat_load_dword v6, v[4:5] offset:896
	v_mov_b32_e32 v20, 0
	v_mov_b32_e32 v18, 0
	;; [unrolled: 1-line block ×4, first 2 shown]
	s_waitcnt vmcnt(0) lgkmcnt(0)
	v_cmp_ne_u16_sdwa s4, v6, v9 src0_sel:BYTE_0 src1_sel:DWORD
	s_and_saveexec_b32 s13, s4
	s_cbranch_execz .LBB216_1313
; %bb.1306:                             ;   in Loop: Header=BB216_1066 Depth=1
	v_bfrev_b32_e32 v18, 1
	v_mov_b32_e32 v19, 0
	v_cmp_ne_u16_sdwa s4, v6, v100 src0_sel:BYTE_0 src1_sel:DWORD
	s_and_saveexec_b32 s15, s4
	s_cbranch_execz .LBB216_1312
; %bb.1307:                             ;   in Loop: Header=BB216_1066 Depth=1
	v_mov_b32_e32 v18, 0x7f800001
	v_and_b32_e32 v10, 0x7f, v6
	v_mov_b32_e32 v19, 0
	s_mov_b32 s16, exec_lo
	v_cmpx_ne_u32_e32 0x7f, v10
	s_cbranch_execz .LBB216_1311
; %bb.1308:                             ;   in Loop: Header=BB216_1066 Depth=1
	v_and_b32_e32 v8, 7, v6
	v_lshrrev_b32_e32 v7, 3, v10
	s_mov_b32 s17, exec_lo
	v_cmpx_gt_u32_e32 8, v10
; %bb.1309:                             ;   in Loop: Header=BB216_1066 Depth=1
	v_ffbh_u32_e32 v7, v8
	v_min_u32_e32 v7, 32, v7
	v_subrev_nc_u32_e32 v10, 28, v7
	v_sub_nc_u32_e32 v7, 29, v7
	v_lshlrev_b64 v[18:19], v10, v[8:9]
	v_and_b32_e32 v8, 7, v18
; %bb.1310:                             ;   in Loop: Header=BB216_1066 Depth=1
	s_or_b32 exec_lo, exec_lo, s17
	v_lshlrev_b32_e32 v10, 24, v6
	v_lshlrev_b32_e32 v8, 20, v8
	v_lshl_add_u32 v7, v7, 23, 0x3c000000
	v_and_b32_e32 v10, 0x80000000, v10
	v_or3_b32 v8, v8, v10, v7
	v_mov_b32_e32 v19, v9
	v_mov_b32_e32 v18, v8
.LBB216_1311:                           ;   in Loop: Header=BB216_1066 Depth=1
	s_or_b32 exec_lo, exec_lo, s16
.LBB216_1312:                           ;   in Loop: Header=BB216_1066 Depth=1
	s_or_b32 exec_lo, exec_lo, s15
.LBB216_1313:                           ;   in Loop: Header=BB216_1066 Depth=1
	s_or_b32 exec_lo, exec_lo, s13
	v_cmp_ne_u16_sdwa s4, v6, v9 src0_sel:BYTE_1 src1_sel:DWORD
	s_and_saveexec_b32 s13, s4
	s_cbranch_execz .LBB216_1321
; %bb.1314:                             ;   in Loop: Header=BB216_1066 Depth=1
	v_mov_b32_e32 v10, v9
	v_mov_b32_e32 v21, v11
	v_cmp_ne_u16_sdwa s4, v6, v100 src0_sel:BYTE_1 src1_sel:DWORD
	v_mov_b32_e32 v20, v10
	s_and_saveexec_b32 s15, s4
	s_cbranch_execz .LBB216_1320
; %bb.1315:                             ;   in Loop: Header=BB216_1066 Depth=1
	v_mov_b32_e32 v7, 0xffff
	v_mov_b32_e32 v12, v9
	;; [unrolled: 1-line block ×3, first 2 shown]
	s_mov_b32 s16, exec_lo
	v_and_b32_sdwa v7, v7, v6 dst_sel:DWORD dst_unused:UNUSED_PAD src0_sel:DWORD src1_sel:BYTE_1
	v_mov_b32_e32 v20, v12
	v_and_b32_e32 v10, 0x7f, v7
	v_cmpx_ne_u32_e32 0x7f, v10
	s_cbranch_execz .LBB216_1319
; %bb.1316:                             ;   in Loop: Header=BB216_1066 Depth=1
	v_and_b32_e32 v8, 7, v7
	v_lshrrev_b32_e32 v7, 3, v10
	s_mov_b32 s17, exec_lo
	v_cmpx_gt_u32_e32 8, v10
; %bb.1317:                             ;   in Loop: Header=BB216_1066 Depth=1
	v_ffbh_u32_e32 v7, v8
	v_min_u32_e32 v7, 32, v7
	v_subrev_nc_u32_e32 v10, 28, v7
	v_sub_nc_u32_e32 v7, 29, v7
	v_lshlrev_b64 v[20:21], v10, v[8:9]
	v_and_b32_e32 v8, 7, v20
; %bb.1318:                             ;   in Loop: Header=BB216_1066 Depth=1
	s_or_b32 exec_lo, exec_lo, s17
	v_lshlrev_b32_e32 v10, 16, v6
	v_lshlrev_b32_e32 v8, 20, v8
	v_lshl_add_u32 v7, v7, 23, 0x3c000000
	v_mov_b32_e32 v20, v9
	v_and_b32_e32 v10, 0x80000000, v10
	v_or3_b32 v21, v8, v10, v7
.LBB216_1319:                           ;   in Loop: Header=BB216_1066 Depth=1
	s_or_b32 exec_lo, exec_lo, s16
.LBB216_1320:                           ;   in Loop: Header=BB216_1066 Depth=1
	s_or_b32 exec_lo, exec_lo, s15
.LBB216_1321:                           ;   in Loop: Header=BB216_1066 Depth=1
	s_or_b32 exec_lo, exec_lo, s13
	v_mov_b32_e32 v24, 0
	v_mov_b32_e32 v22, 0
	v_and_b32_sdwa v7, v6, v102 dst_sel:DWORD dst_unused:UNUSED_PAD src0_sel:WORD_1 src1_sel:DWORD
	v_mov_b32_e32 v25, 0
	v_mov_b32_e32 v23, 0
	s_mov_b32 s13, exec_lo
	v_cmpx_ne_u16_e32 0, v7
	s_cbranch_execz .LBB216_1329
; %bb.1322:                             ;   in Loop: Header=BB216_1066 Depth=1
	v_bfrev_b32_e32 v22, 1
	v_mov_b32_e32 v23, 0
	s_mov_b32 s15, exec_lo
	v_cmpx_ne_u16_e32 0x80, v7
	s_cbranch_execz .LBB216_1328
; %bb.1323:                             ;   in Loop: Header=BB216_1066 Depth=1
	v_mov_b32_e32 v22, 0x7f800001
	v_bfe_u32 v10, v6, 16, 7
	v_mov_b32_e32 v23, 0
	s_mov_b32 s16, exec_lo
	v_cmpx_ne_u32_e32 0x7f, v10
	s_cbranch_execz .LBB216_1327
; %bb.1324:                             ;   in Loop: Header=BB216_1066 Depth=1
	v_mov_b32_e32 v7, 7
	s_mov_b32 s17, exec_lo
	v_and_b32_sdwa v8, v6, v7 dst_sel:DWORD dst_unused:UNUSED_PAD src0_sel:WORD_1 src1_sel:DWORD
	v_lshrrev_b32_e32 v7, 3, v10
	v_cmpx_gt_u32_e32 8, v10
; %bb.1325:                             ;   in Loop: Header=BB216_1066 Depth=1
	v_ffbh_u32_e32 v7, v8
	v_min_u32_e32 v7, 32, v7
	v_subrev_nc_u32_e32 v10, 28, v7
	v_sub_nc_u32_e32 v7, 29, v7
	v_lshlrev_b64 v[22:23], v10, v[8:9]
	v_and_b32_e32 v8, 7, v22
; %bb.1326:                             ;   in Loop: Header=BB216_1066 Depth=1
	s_or_b32 exec_lo, exec_lo, s17
	v_mov_b32_e32 v10, 24
	v_lshlrev_b32_e32 v8, 20, v8
	v_lshl_add_u32 v7, v7, 23, 0x3c000000
	v_lshlrev_b32_sdwa v10, v10, v6 dst_sel:DWORD dst_unused:UNUSED_PAD src0_sel:DWORD src1_sel:WORD_1
	v_and_b32_e32 v10, 0x80000000, v10
	v_or3_b32 v8, v8, v10, v7
	v_mov_b32_e32 v23, v9
	v_mov_b32_e32 v22, v8
.LBB216_1327:                           ;   in Loop: Header=BB216_1066 Depth=1
	s_or_b32 exec_lo, exec_lo, s16
.LBB216_1328:                           ;   in Loop: Header=BB216_1066 Depth=1
	s_or_b32 exec_lo, exec_lo, s15
.LBB216_1329:                           ;   in Loop: Header=BB216_1066 Depth=1
	s_or_b32 exec_lo, exec_lo, s13
	s_mov_b32 s13, exec_lo
	v_cmpx_lt_u32_e32 0xffffff, v6
	s_cbranch_execz .LBB216_1337
; %bb.1330:                             ;   in Loop: Header=BB216_1066 Depth=1
	v_mov_b32_e32 v10, v9
	v_mov_b32_e32 v25, v11
	v_cmp_ne_u32_sdwa s4, v6, v100 src0_sel:BYTE_3 src1_sel:DWORD
	v_mov_b32_e32 v24, v10
	s_and_saveexec_b32 s15, s4
	s_cbranch_execz .LBB216_1336
; %bb.1331:                             ;   in Loop: Header=BB216_1066 Depth=1
	v_mov_b32_e32 v12, v9
	v_mov_b32_e32 v25, v13
	v_bfe_u32 v10, v6, 24, 7
	s_mov_b32 s16, exec_lo
	v_mov_b32_e32 v24, v12
	v_cmpx_ne_u32_e32 0x7f, v10
	s_cbranch_execz .LBB216_1335
; %bb.1332:                             ;   in Loop: Header=BB216_1066 Depth=1
	v_mov_b32_e32 v7, 7
	s_mov_b32 s17, exec_lo
	v_and_b32_sdwa v8, v6, v7 dst_sel:DWORD dst_unused:UNUSED_PAD src0_sel:BYTE_3 src1_sel:DWORD
	v_lshrrev_b32_e32 v7, 3, v10
	v_cmpx_gt_u32_e32 8, v10
; %bb.1333:                             ;   in Loop: Header=BB216_1066 Depth=1
	v_ffbh_u32_e32 v7, v8
	v_min_u32_e32 v7, 32, v7
	v_subrev_nc_u32_e32 v10, 28, v7
	v_sub_nc_u32_e32 v7, 29, v7
	v_lshlrev_b64 v[24:25], v10, v[8:9]
	v_and_b32_e32 v8, 7, v24
; %bb.1334:                             ;   in Loop: Header=BB216_1066 Depth=1
	s_or_b32 exec_lo, exec_lo, s17
	v_mov_b32_e32 v10, 24
	v_lshlrev_b32_e32 v8, 20, v8
	v_lshl_add_u32 v7, v7, 23, 0x3c000000
	v_mov_b32_e32 v24, v9
	v_lshlrev_b32_sdwa v6, v10, v6 dst_sel:DWORD dst_unused:UNUSED_PAD src0_sel:DWORD src1_sel:BYTE_3
	v_and_b32_e32 v6, 0x80000000, v6
	v_or3_b32 v25, v8, v6, v7
.LBB216_1335:                           ;   in Loop: Header=BB216_1066 Depth=1
	s_or_b32 exec_lo, exec_lo, s16
.LBB216_1336:                           ;   in Loop: Header=BB216_1066 Depth=1
	s_or_b32 exec_lo, exec_lo, s15
.LBB216_1337:                           ;   in Loop: Header=BB216_1066 Depth=1
	s_or_b32 exec_lo, exec_lo, s13
	v_or_b32_e32 v6, v21, v19
	v_or_b32_e32 v7, v20, v18
	;; [unrolled: 1-line block ×4, first 2 shown]
	v_mul_f32_e32 v6, v119, v6
	buffer_store_dword v6, off, s[0:3], s32 offset:468 ; 4-byte Folded Spill
	v_mul_f32_e32 v6, v119, v7
	buffer_store_dword v6, off, s[0:3], s32 offset:460 ; 4-byte Folded Spill
	;; [unrolled: 2-line block ×4, first 2 shown]
	s_and_saveexec_b32 s13, vcc_lo
	s_cbranch_execz .LBB216_1339
; %bb.1338:                             ;   in Loop: Header=BB216_1066 Depth=1
	buffer_load_dword v6, off, s[0:3], s32 offset:460 ; 4-byte Folded Reload
	v_cmp_lt_i32_e64 s4, v40, v27
	s_waitcnt vmcnt(0)
	v_cndmask_b32_e64 v6, 0, v6, s4
	v_cmp_lt_i32_e64 s4, v43, v27
	buffer_store_dword v6, off, s[0:3], s32 offset:460 ; 4-byte Folded Spill
	buffer_load_dword v6, off, s[0:3], s32 offset:468 ; 4-byte Folded Reload
	s_waitcnt vmcnt(0)
	v_cndmask_b32_e64 v6, 0, v6, s4
	v_cmp_lt_i32_e64 s4, v42, v27
	buffer_store_dword v6, off, s[0:3], s32 offset:468 ; 4-byte Folded Spill
	buffer_load_dword v6, off, s[0:3], s32 offset:452 ; 4-byte Folded Reload
	;; [unrolled: 5-line block ×3, first 2 shown]
	s_waitcnt vmcnt(0)
	v_cndmask_b32_e64 v6, 0, v6, s4
	buffer_store_dword v6, off, s[0:3], s32 offset:444 ; 4-byte Folded Spill
.LBB216_1339:                           ;   in Loop: Header=BB216_1066 Depth=1
	s_or_b32 exec_lo, exec_lo, s13
	flat_load_dword v6, v[4:5] offset:1024
	v_mov_b32_e32 v20, 0
	v_mov_b32_e32 v18, 0
	;; [unrolled: 1-line block ×4, first 2 shown]
	s_waitcnt vmcnt(0) lgkmcnt(0)
	v_cmp_ne_u16_sdwa s4, v6, v9 src0_sel:BYTE_0 src1_sel:DWORD
	s_and_saveexec_b32 s13, s4
	s_cbranch_execz .LBB216_1347
; %bb.1340:                             ;   in Loop: Header=BB216_1066 Depth=1
	v_bfrev_b32_e32 v18, 1
	v_mov_b32_e32 v19, 0
	v_cmp_ne_u16_sdwa s4, v6, v100 src0_sel:BYTE_0 src1_sel:DWORD
	s_and_saveexec_b32 s15, s4
	s_cbranch_execz .LBB216_1346
; %bb.1341:                             ;   in Loop: Header=BB216_1066 Depth=1
	v_mov_b32_e32 v18, 0x7f800001
	v_and_b32_e32 v10, 0x7f, v6
	v_mov_b32_e32 v19, 0
	s_mov_b32 s16, exec_lo
	v_cmpx_ne_u32_e32 0x7f, v10
	s_cbranch_execz .LBB216_1345
; %bb.1342:                             ;   in Loop: Header=BB216_1066 Depth=1
	v_and_b32_e32 v8, 7, v6
	v_lshrrev_b32_e32 v7, 3, v10
	s_mov_b32 s17, exec_lo
	v_cmpx_gt_u32_e32 8, v10
; %bb.1343:                             ;   in Loop: Header=BB216_1066 Depth=1
	v_ffbh_u32_e32 v7, v8
	v_min_u32_e32 v7, 32, v7
	v_subrev_nc_u32_e32 v10, 28, v7
	v_sub_nc_u32_e32 v7, 29, v7
	v_lshlrev_b64 v[18:19], v10, v[8:9]
	v_and_b32_e32 v8, 7, v18
; %bb.1344:                             ;   in Loop: Header=BB216_1066 Depth=1
	s_or_b32 exec_lo, exec_lo, s17
	v_lshlrev_b32_e32 v10, 24, v6
	v_lshlrev_b32_e32 v8, 20, v8
	v_lshl_add_u32 v7, v7, 23, 0x3c000000
	v_and_b32_e32 v10, 0x80000000, v10
	v_or3_b32 v8, v8, v10, v7
	v_mov_b32_e32 v19, v9
	v_mov_b32_e32 v18, v8
.LBB216_1345:                           ;   in Loop: Header=BB216_1066 Depth=1
	s_or_b32 exec_lo, exec_lo, s16
.LBB216_1346:                           ;   in Loop: Header=BB216_1066 Depth=1
	s_or_b32 exec_lo, exec_lo, s15
.LBB216_1347:                           ;   in Loop: Header=BB216_1066 Depth=1
	s_or_b32 exec_lo, exec_lo, s13
	v_cmp_ne_u16_sdwa s4, v6, v9 src0_sel:BYTE_1 src1_sel:DWORD
	s_and_saveexec_b32 s13, s4
	s_cbranch_execz .LBB216_1355
; %bb.1348:                             ;   in Loop: Header=BB216_1066 Depth=1
	v_mov_b32_e32 v10, v9
	v_mov_b32_e32 v21, v11
	v_cmp_ne_u16_sdwa s4, v6, v100 src0_sel:BYTE_1 src1_sel:DWORD
	v_mov_b32_e32 v20, v10
	s_and_saveexec_b32 s15, s4
	s_cbranch_execz .LBB216_1354
; %bb.1349:                             ;   in Loop: Header=BB216_1066 Depth=1
	v_mov_b32_e32 v7, 0xffff
	v_mov_b32_e32 v12, v9
	;; [unrolled: 1-line block ×3, first 2 shown]
	s_mov_b32 s16, exec_lo
	v_and_b32_sdwa v7, v7, v6 dst_sel:DWORD dst_unused:UNUSED_PAD src0_sel:DWORD src1_sel:BYTE_1
	v_mov_b32_e32 v20, v12
	v_and_b32_e32 v10, 0x7f, v7
	v_cmpx_ne_u32_e32 0x7f, v10
	s_cbranch_execz .LBB216_1353
; %bb.1350:                             ;   in Loop: Header=BB216_1066 Depth=1
	v_and_b32_e32 v8, 7, v7
	v_lshrrev_b32_e32 v7, 3, v10
	s_mov_b32 s17, exec_lo
	v_cmpx_gt_u32_e32 8, v10
; %bb.1351:                             ;   in Loop: Header=BB216_1066 Depth=1
	v_ffbh_u32_e32 v7, v8
	v_min_u32_e32 v7, 32, v7
	v_subrev_nc_u32_e32 v10, 28, v7
	v_sub_nc_u32_e32 v7, 29, v7
	v_lshlrev_b64 v[20:21], v10, v[8:9]
	v_and_b32_e32 v8, 7, v20
; %bb.1352:                             ;   in Loop: Header=BB216_1066 Depth=1
	s_or_b32 exec_lo, exec_lo, s17
	v_lshlrev_b32_e32 v10, 16, v6
	v_lshlrev_b32_e32 v8, 20, v8
	v_lshl_add_u32 v7, v7, 23, 0x3c000000
	v_mov_b32_e32 v20, v9
	v_and_b32_e32 v10, 0x80000000, v10
	v_or3_b32 v21, v8, v10, v7
.LBB216_1353:                           ;   in Loop: Header=BB216_1066 Depth=1
	s_or_b32 exec_lo, exec_lo, s16
.LBB216_1354:                           ;   in Loop: Header=BB216_1066 Depth=1
	s_or_b32 exec_lo, exec_lo, s15
.LBB216_1355:                           ;   in Loop: Header=BB216_1066 Depth=1
	s_or_b32 exec_lo, exec_lo, s13
	v_mov_b32_e32 v24, 0
	v_mov_b32_e32 v22, 0
	v_and_b32_sdwa v7, v6, v102 dst_sel:DWORD dst_unused:UNUSED_PAD src0_sel:WORD_1 src1_sel:DWORD
	v_mov_b32_e32 v25, 0
	v_mov_b32_e32 v23, 0
	s_mov_b32 s13, exec_lo
	v_cmpx_ne_u16_e32 0, v7
	s_cbranch_execz .LBB216_1363
; %bb.1356:                             ;   in Loop: Header=BB216_1066 Depth=1
	v_bfrev_b32_e32 v22, 1
	v_mov_b32_e32 v23, 0
	s_mov_b32 s15, exec_lo
	v_cmpx_ne_u16_e32 0x80, v7
	s_cbranch_execz .LBB216_1362
; %bb.1357:                             ;   in Loop: Header=BB216_1066 Depth=1
	v_mov_b32_e32 v22, 0x7f800001
	v_bfe_u32 v10, v6, 16, 7
	v_mov_b32_e32 v23, 0
	s_mov_b32 s16, exec_lo
	v_cmpx_ne_u32_e32 0x7f, v10
	s_cbranch_execz .LBB216_1361
; %bb.1358:                             ;   in Loop: Header=BB216_1066 Depth=1
	v_mov_b32_e32 v7, 7
	s_mov_b32 s17, exec_lo
	v_and_b32_sdwa v8, v6, v7 dst_sel:DWORD dst_unused:UNUSED_PAD src0_sel:WORD_1 src1_sel:DWORD
	v_lshrrev_b32_e32 v7, 3, v10
	v_cmpx_gt_u32_e32 8, v10
; %bb.1359:                             ;   in Loop: Header=BB216_1066 Depth=1
	v_ffbh_u32_e32 v7, v8
	v_min_u32_e32 v7, 32, v7
	v_subrev_nc_u32_e32 v10, 28, v7
	v_sub_nc_u32_e32 v7, 29, v7
	v_lshlrev_b64 v[22:23], v10, v[8:9]
	v_and_b32_e32 v8, 7, v22
; %bb.1360:                             ;   in Loop: Header=BB216_1066 Depth=1
	s_or_b32 exec_lo, exec_lo, s17
	v_mov_b32_e32 v10, 24
	v_lshlrev_b32_e32 v8, 20, v8
	v_lshl_add_u32 v7, v7, 23, 0x3c000000
	v_lshlrev_b32_sdwa v10, v10, v6 dst_sel:DWORD dst_unused:UNUSED_PAD src0_sel:DWORD src1_sel:WORD_1
	v_and_b32_e32 v10, 0x80000000, v10
	v_or3_b32 v8, v8, v10, v7
	v_mov_b32_e32 v23, v9
	v_mov_b32_e32 v22, v8
.LBB216_1361:                           ;   in Loop: Header=BB216_1066 Depth=1
	s_or_b32 exec_lo, exec_lo, s16
.LBB216_1362:                           ;   in Loop: Header=BB216_1066 Depth=1
	s_or_b32 exec_lo, exec_lo, s15
.LBB216_1363:                           ;   in Loop: Header=BB216_1066 Depth=1
	s_or_b32 exec_lo, exec_lo, s13
	s_mov_b32 s13, exec_lo
	v_cmpx_lt_u32_e32 0xffffff, v6
	s_cbranch_execz .LBB216_1371
; %bb.1364:                             ;   in Loop: Header=BB216_1066 Depth=1
	v_mov_b32_e32 v10, v9
	v_mov_b32_e32 v25, v11
	v_cmp_ne_u32_sdwa s4, v6, v100 src0_sel:BYTE_3 src1_sel:DWORD
	v_mov_b32_e32 v24, v10
	s_and_saveexec_b32 s15, s4
	s_cbranch_execz .LBB216_1370
; %bb.1365:                             ;   in Loop: Header=BB216_1066 Depth=1
	v_mov_b32_e32 v12, v9
	v_mov_b32_e32 v25, v13
	v_bfe_u32 v10, v6, 24, 7
	s_mov_b32 s16, exec_lo
	v_mov_b32_e32 v24, v12
	v_cmpx_ne_u32_e32 0x7f, v10
	s_cbranch_execz .LBB216_1369
; %bb.1366:                             ;   in Loop: Header=BB216_1066 Depth=1
	v_mov_b32_e32 v7, 7
	s_mov_b32 s17, exec_lo
	v_and_b32_sdwa v8, v6, v7 dst_sel:DWORD dst_unused:UNUSED_PAD src0_sel:BYTE_3 src1_sel:DWORD
	v_lshrrev_b32_e32 v7, 3, v10
	v_cmpx_gt_u32_e32 8, v10
; %bb.1367:                             ;   in Loop: Header=BB216_1066 Depth=1
	v_ffbh_u32_e32 v7, v8
	v_min_u32_e32 v7, 32, v7
	v_subrev_nc_u32_e32 v10, 28, v7
	v_sub_nc_u32_e32 v7, 29, v7
	v_lshlrev_b64 v[24:25], v10, v[8:9]
	v_and_b32_e32 v8, 7, v24
; %bb.1368:                             ;   in Loop: Header=BB216_1066 Depth=1
	s_or_b32 exec_lo, exec_lo, s17
	v_mov_b32_e32 v10, 24
	v_lshlrev_b32_e32 v8, 20, v8
	v_lshl_add_u32 v7, v7, 23, 0x3c000000
	v_mov_b32_e32 v24, v9
	v_lshlrev_b32_sdwa v6, v10, v6 dst_sel:DWORD dst_unused:UNUSED_PAD src0_sel:DWORD src1_sel:BYTE_3
	v_and_b32_e32 v6, 0x80000000, v6
	v_or3_b32 v25, v8, v6, v7
.LBB216_1369:                           ;   in Loop: Header=BB216_1066 Depth=1
	s_or_b32 exec_lo, exec_lo, s16
.LBB216_1370:                           ;   in Loop: Header=BB216_1066 Depth=1
	s_or_b32 exec_lo, exec_lo, s15
.LBB216_1371:                           ;   in Loop: Header=BB216_1066 Depth=1
	s_or_b32 exec_lo, exec_lo, s13
	v_or_b32_e32 v6, v21, v19
	v_or_b32_e32 v7, v20, v18
	;; [unrolled: 1-line block ×4, first 2 shown]
	v_mul_f32_e32 v108, v119, v6
	v_mul_f32_e32 v107, v119, v7
	;; [unrolled: 1-line block ×4, first 2 shown]
	s_and_saveexec_b32 s13, vcc_lo
	s_cbranch_execz .LBB216_1373
; %bb.1372:                             ;   in Loop: Header=BB216_1066 Depth=1
	v_cmp_lt_i32_e64 s4, v40, v27
	v_cndmask_b32_e64 v107, 0, v107, s4
	v_cmp_lt_i32_e64 s4, v43, v27
	v_cndmask_b32_e64 v108, 0, v108, s4
	;; [unrolled: 2-line block ×4, first 2 shown]
.LBB216_1373:                           ;   in Loop: Header=BB216_1066 Depth=1
	s_or_b32 exec_lo, exec_lo, s13
	flat_load_dword v6, v[4:5] offset:1152
	v_mov_b32_e32 v20, 0
	v_mov_b32_e32 v18, 0
	;; [unrolled: 1-line block ×4, first 2 shown]
	s_waitcnt vmcnt(0) lgkmcnt(0)
	v_cmp_ne_u16_sdwa s4, v6, v9 src0_sel:BYTE_0 src1_sel:DWORD
	s_and_saveexec_b32 s13, s4
	s_cbranch_execz .LBB216_1381
; %bb.1374:                             ;   in Loop: Header=BB216_1066 Depth=1
	v_bfrev_b32_e32 v18, 1
	v_mov_b32_e32 v19, 0
	v_cmp_ne_u16_sdwa s4, v6, v100 src0_sel:BYTE_0 src1_sel:DWORD
	s_and_saveexec_b32 s15, s4
	s_cbranch_execz .LBB216_1380
; %bb.1375:                             ;   in Loop: Header=BB216_1066 Depth=1
	v_mov_b32_e32 v18, 0x7f800001
	v_and_b32_e32 v10, 0x7f, v6
	v_mov_b32_e32 v19, 0
	s_mov_b32 s16, exec_lo
	v_cmpx_ne_u32_e32 0x7f, v10
	s_cbranch_execz .LBB216_1379
; %bb.1376:                             ;   in Loop: Header=BB216_1066 Depth=1
	v_and_b32_e32 v8, 7, v6
	v_lshrrev_b32_e32 v7, 3, v10
	s_mov_b32 s17, exec_lo
	v_cmpx_gt_u32_e32 8, v10
; %bb.1377:                             ;   in Loop: Header=BB216_1066 Depth=1
	v_ffbh_u32_e32 v7, v8
	v_min_u32_e32 v7, 32, v7
	v_subrev_nc_u32_e32 v10, 28, v7
	v_sub_nc_u32_e32 v7, 29, v7
	v_lshlrev_b64 v[18:19], v10, v[8:9]
	v_and_b32_e32 v8, 7, v18
; %bb.1378:                             ;   in Loop: Header=BB216_1066 Depth=1
	s_or_b32 exec_lo, exec_lo, s17
	v_lshlrev_b32_e32 v10, 24, v6
	v_lshlrev_b32_e32 v8, 20, v8
	v_lshl_add_u32 v7, v7, 23, 0x3c000000
	v_and_b32_e32 v10, 0x80000000, v10
	v_or3_b32 v8, v8, v10, v7
	v_mov_b32_e32 v19, v9
	v_mov_b32_e32 v18, v8
.LBB216_1379:                           ;   in Loop: Header=BB216_1066 Depth=1
	s_or_b32 exec_lo, exec_lo, s16
.LBB216_1380:                           ;   in Loop: Header=BB216_1066 Depth=1
	s_or_b32 exec_lo, exec_lo, s15
.LBB216_1381:                           ;   in Loop: Header=BB216_1066 Depth=1
	s_or_b32 exec_lo, exec_lo, s13
	v_cmp_ne_u16_sdwa s4, v6, v9 src0_sel:BYTE_1 src1_sel:DWORD
	s_and_saveexec_b32 s13, s4
	s_cbranch_execz .LBB216_1389
; %bb.1382:                             ;   in Loop: Header=BB216_1066 Depth=1
	v_mov_b32_e32 v10, v9
	v_mov_b32_e32 v21, v11
	v_cmp_ne_u16_sdwa s4, v6, v100 src0_sel:BYTE_1 src1_sel:DWORD
	v_mov_b32_e32 v20, v10
	s_and_saveexec_b32 s15, s4
	s_cbranch_execz .LBB216_1388
; %bb.1383:                             ;   in Loop: Header=BB216_1066 Depth=1
	v_mov_b32_e32 v7, 0xffff
	v_mov_b32_e32 v12, v9
	;; [unrolled: 1-line block ×3, first 2 shown]
	s_mov_b32 s16, exec_lo
	v_and_b32_sdwa v7, v7, v6 dst_sel:DWORD dst_unused:UNUSED_PAD src0_sel:DWORD src1_sel:BYTE_1
	v_mov_b32_e32 v20, v12
	v_and_b32_e32 v10, 0x7f, v7
	v_cmpx_ne_u32_e32 0x7f, v10
	s_cbranch_execz .LBB216_1387
; %bb.1384:                             ;   in Loop: Header=BB216_1066 Depth=1
	v_and_b32_e32 v8, 7, v7
	v_lshrrev_b32_e32 v7, 3, v10
	s_mov_b32 s17, exec_lo
	v_cmpx_gt_u32_e32 8, v10
; %bb.1385:                             ;   in Loop: Header=BB216_1066 Depth=1
	v_ffbh_u32_e32 v7, v8
	v_min_u32_e32 v7, 32, v7
	v_subrev_nc_u32_e32 v10, 28, v7
	v_sub_nc_u32_e32 v7, 29, v7
	v_lshlrev_b64 v[20:21], v10, v[8:9]
	v_and_b32_e32 v8, 7, v20
; %bb.1386:                             ;   in Loop: Header=BB216_1066 Depth=1
	s_or_b32 exec_lo, exec_lo, s17
	v_lshlrev_b32_e32 v10, 16, v6
	v_lshlrev_b32_e32 v8, 20, v8
	v_lshl_add_u32 v7, v7, 23, 0x3c000000
	v_mov_b32_e32 v20, v9
	v_and_b32_e32 v10, 0x80000000, v10
	v_or3_b32 v21, v8, v10, v7
.LBB216_1387:                           ;   in Loop: Header=BB216_1066 Depth=1
	s_or_b32 exec_lo, exec_lo, s16
.LBB216_1388:                           ;   in Loop: Header=BB216_1066 Depth=1
	s_or_b32 exec_lo, exec_lo, s15
.LBB216_1389:                           ;   in Loop: Header=BB216_1066 Depth=1
	s_or_b32 exec_lo, exec_lo, s13
	v_mov_b32_e32 v22, 0
	v_mov_b32_e32 v24, 0
	v_and_b32_sdwa v7, v6, v102 dst_sel:DWORD dst_unused:UNUSED_PAD src0_sel:WORD_1 src1_sel:DWORD
	v_mov_b32_e32 v23, 0
	v_mov_b32_e32 v25, 0
	s_mov_b32 s13, exec_lo
	v_cmpx_ne_u16_e32 0, v7
	s_cbranch_execz .LBB216_1397
; %bb.1390:                             ;   in Loop: Header=BB216_1066 Depth=1
	v_bfrev_b32_e32 v24, 1
	v_mov_b32_e32 v25, 0
	s_mov_b32 s15, exec_lo
	v_cmpx_ne_u16_e32 0x80, v7
	s_cbranch_execz .LBB216_1396
; %bb.1391:                             ;   in Loop: Header=BB216_1066 Depth=1
	v_mov_b32_e32 v24, 0x7f800001
	v_bfe_u32 v10, v6, 16, 7
	v_mov_b32_e32 v25, 0
	s_mov_b32 s16, exec_lo
	v_cmpx_ne_u32_e32 0x7f, v10
	s_cbranch_execz .LBB216_1395
; %bb.1392:                             ;   in Loop: Header=BB216_1066 Depth=1
	v_mov_b32_e32 v7, 7
	s_mov_b32 s17, exec_lo
	v_and_b32_sdwa v8, v6, v7 dst_sel:DWORD dst_unused:UNUSED_PAD src0_sel:WORD_1 src1_sel:DWORD
	v_lshrrev_b32_e32 v7, 3, v10
	v_cmpx_gt_u32_e32 8, v10
; %bb.1393:                             ;   in Loop: Header=BB216_1066 Depth=1
	v_ffbh_u32_e32 v7, v8
	v_min_u32_e32 v7, 32, v7
	v_subrev_nc_u32_e32 v10, 28, v7
	v_sub_nc_u32_e32 v7, 29, v7
	v_lshlrev_b64 v[24:25], v10, v[8:9]
	v_and_b32_e32 v8, 7, v24
; %bb.1394:                             ;   in Loop: Header=BB216_1066 Depth=1
	s_or_b32 exec_lo, exec_lo, s17
	v_mov_b32_e32 v10, 24
	v_lshlrev_b32_e32 v8, 20, v8
	v_lshl_add_u32 v7, v7, 23, 0x3c000000
	v_lshlrev_b32_sdwa v10, v10, v6 dst_sel:DWORD dst_unused:UNUSED_PAD src0_sel:DWORD src1_sel:WORD_1
	v_and_b32_e32 v10, 0x80000000, v10
	v_or3_b32 v8, v8, v10, v7
	v_mov_b32_e32 v25, v9
	v_mov_b32_e32 v24, v8
.LBB216_1395:                           ;   in Loop: Header=BB216_1066 Depth=1
	s_or_b32 exec_lo, exec_lo, s16
.LBB216_1396:                           ;   in Loop: Header=BB216_1066 Depth=1
	s_or_b32 exec_lo, exec_lo, s15
.LBB216_1397:                           ;   in Loop: Header=BB216_1066 Depth=1
	s_or_b32 exec_lo, exec_lo, s13
	s_mov_b32 s13, exec_lo
	v_cmpx_lt_u32_e32 0xffffff, v6
	s_cbranch_execz .LBB216_1405
; %bb.1398:                             ;   in Loop: Header=BB216_1066 Depth=1
	v_mov_b32_e32 v10, v9
	v_mov_b32_e32 v23, v11
	v_cmp_ne_u32_sdwa s4, v6, v100 src0_sel:BYTE_3 src1_sel:DWORD
	v_mov_b32_e32 v22, v10
	s_and_saveexec_b32 s15, s4
	s_cbranch_execz .LBB216_1404
; %bb.1399:                             ;   in Loop: Header=BB216_1066 Depth=1
	v_mov_b32_e32 v12, v9
	v_mov_b32_e32 v23, v13
	v_bfe_u32 v10, v6, 24, 7
	s_mov_b32 s16, exec_lo
	v_mov_b32_e32 v22, v12
	v_cmpx_ne_u32_e32 0x7f, v10
	s_cbranch_execz .LBB216_1403
; %bb.1400:                             ;   in Loop: Header=BB216_1066 Depth=1
	v_mov_b32_e32 v7, 7
	s_mov_b32 s17, exec_lo
	v_and_b32_sdwa v8, v6, v7 dst_sel:DWORD dst_unused:UNUSED_PAD src0_sel:BYTE_3 src1_sel:DWORD
	v_lshrrev_b32_e32 v7, 3, v10
	v_cmpx_gt_u32_e32 8, v10
; %bb.1401:                             ;   in Loop: Header=BB216_1066 Depth=1
	v_ffbh_u32_e32 v7, v8
	v_min_u32_e32 v7, 32, v7
	v_subrev_nc_u32_e32 v10, 28, v7
	v_sub_nc_u32_e32 v7, 29, v7
	v_lshlrev_b64 v[22:23], v10, v[8:9]
	v_and_b32_e32 v8, 7, v22
; %bb.1402:                             ;   in Loop: Header=BB216_1066 Depth=1
	s_or_b32 exec_lo, exec_lo, s17
	v_mov_b32_e32 v10, 24
	v_lshlrev_b32_e32 v8, 20, v8
	v_lshl_add_u32 v7, v7, 23, 0x3c000000
	v_mov_b32_e32 v22, v9
	v_lshlrev_b32_sdwa v6, v10, v6 dst_sel:DWORD dst_unused:UNUSED_PAD src0_sel:DWORD src1_sel:BYTE_3
	v_and_b32_e32 v6, 0x80000000, v6
	v_or3_b32 v23, v8, v6, v7
.LBB216_1403:                           ;   in Loop: Header=BB216_1066 Depth=1
	s_or_b32 exec_lo, exec_lo, s16
.LBB216_1404:                           ;   in Loop: Header=BB216_1066 Depth=1
	s_or_b32 exec_lo, exec_lo, s15
.LBB216_1405:                           ;   in Loop: Header=BB216_1066 Depth=1
	s_or_b32 exec_lo, exec_lo, s13
	v_or_b32_e32 v6, v21, v19
	v_or_b32_e32 v7, v20, v18
	;; [unrolled: 1-line block ×4, first 2 shown]
	v_mul_f32_e32 v120, v119, v6
	v_mul_f32_e32 v111, v119, v7
	;; [unrolled: 1-line block ×4, first 2 shown]
	s_and_saveexec_b32 s13, vcc_lo
	s_cbranch_execz .LBB216_1407
; %bb.1406:                             ;   in Loop: Header=BB216_1066 Depth=1
	v_cmp_lt_i32_e64 s4, v40, v27
	v_cndmask_b32_e64 v111, 0, v111, s4
	v_cmp_lt_i32_e64 s4, v43, v27
	v_cndmask_b32_e64 v120, 0, v120, s4
	;; [unrolled: 2-line block ×4, first 2 shown]
.LBB216_1407:                           ;   in Loop: Header=BB216_1066 Depth=1
	s_or_b32 exec_lo, exec_lo, s13
	flat_load_dword v6, v[4:5] offset:1280
	v_mov_b32_e32 v20, 0
	v_mov_b32_e32 v18, 0
	;; [unrolled: 1-line block ×4, first 2 shown]
	s_waitcnt vmcnt(0) lgkmcnt(0)
	v_cmp_ne_u16_sdwa s4, v6, v9 src0_sel:BYTE_0 src1_sel:DWORD
	s_and_saveexec_b32 s13, s4
	s_cbranch_execz .LBB216_1415
; %bb.1408:                             ;   in Loop: Header=BB216_1066 Depth=1
	v_bfrev_b32_e32 v18, 1
	v_mov_b32_e32 v19, 0
	v_cmp_ne_u16_sdwa s4, v6, v100 src0_sel:BYTE_0 src1_sel:DWORD
	s_and_saveexec_b32 s15, s4
	s_cbranch_execz .LBB216_1414
; %bb.1409:                             ;   in Loop: Header=BB216_1066 Depth=1
	v_mov_b32_e32 v18, 0x7f800001
	v_and_b32_e32 v10, 0x7f, v6
	v_mov_b32_e32 v19, 0
	s_mov_b32 s16, exec_lo
	v_cmpx_ne_u32_e32 0x7f, v10
	s_cbranch_execz .LBB216_1413
; %bb.1410:                             ;   in Loop: Header=BB216_1066 Depth=1
	v_and_b32_e32 v8, 7, v6
	v_lshrrev_b32_e32 v7, 3, v10
	s_mov_b32 s17, exec_lo
	v_cmpx_gt_u32_e32 8, v10
; %bb.1411:                             ;   in Loop: Header=BB216_1066 Depth=1
	v_ffbh_u32_e32 v7, v8
	v_min_u32_e32 v7, 32, v7
	v_subrev_nc_u32_e32 v10, 28, v7
	v_sub_nc_u32_e32 v7, 29, v7
	v_lshlrev_b64 v[18:19], v10, v[8:9]
	v_and_b32_e32 v8, 7, v18
; %bb.1412:                             ;   in Loop: Header=BB216_1066 Depth=1
	s_or_b32 exec_lo, exec_lo, s17
	v_lshlrev_b32_e32 v10, 24, v6
	v_lshlrev_b32_e32 v8, 20, v8
	v_lshl_add_u32 v7, v7, 23, 0x3c000000
	v_and_b32_e32 v10, 0x80000000, v10
	v_or3_b32 v8, v8, v10, v7
	v_mov_b32_e32 v19, v9
	v_mov_b32_e32 v18, v8
.LBB216_1413:                           ;   in Loop: Header=BB216_1066 Depth=1
	s_or_b32 exec_lo, exec_lo, s16
.LBB216_1414:                           ;   in Loop: Header=BB216_1066 Depth=1
	s_or_b32 exec_lo, exec_lo, s15
.LBB216_1415:                           ;   in Loop: Header=BB216_1066 Depth=1
	s_or_b32 exec_lo, exec_lo, s13
	v_cmp_ne_u16_sdwa s4, v6, v9 src0_sel:BYTE_1 src1_sel:DWORD
	s_and_saveexec_b32 s13, s4
	s_cbranch_execz .LBB216_1423
; %bb.1416:                             ;   in Loop: Header=BB216_1066 Depth=1
	v_mov_b32_e32 v10, v9
	v_mov_b32_e32 v21, v11
	v_cmp_ne_u16_sdwa s4, v6, v100 src0_sel:BYTE_1 src1_sel:DWORD
	v_mov_b32_e32 v20, v10
	s_and_saveexec_b32 s15, s4
	s_cbranch_execz .LBB216_1422
; %bb.1417:                             ;   in Loop: Header=BB216_1066 Depth=1
	v_mov_b32_e32 v7, 0xffff
	v_mov_b32_e32 v12, v9
	;; [unrolled: 1-line block ×3, first 2 shown]
	s_mov_b32 s16, exec_lo
	v_and_b32_sdwa v7, v7, v6 dst_sel:DWORD dst_unused:UNUSED_PAD src0_sel:DWORD src1_sel:BYTE_1
	v_mov_b32_e32 v20, v12
	v_and_b32_e32 v10, 0x7f, v7
	v_cmpx_ne_u32_e32 0x7f, v10
	s_cbranch_execz .LBB216_1421
; %bb.1418:                             ;   in Loop: Header=BB216_1066 Depth=1
	v_and_b32_e32 v8, 7, v7
	v_lshrrev_b32_e32 v7, 3, v10
	s_mov_b32 s17, exec_lo
	v_cmpx_gt_u32_e32 8, v10
; %bb.1419:                             ;   in Loop: Header=BB216_1066 Depth=1
	v_ffbh_u32_e32 v7, v8
	v_min_u32_e32 v7, 32, v7
	v_subrev_nc_u32_e32 v10, 28, v7
	v_sub_nc_u32_e32 v7, 29, v7
	v_lshlrev_b64 v[20:21], v10, v[8:9]
	v_and_b32_e32 v8, 7, v20
; %bb.1420:                             ;   in Loop: Header=BB216_1066 Depth=1
	s_or_b32 exec_lo, exec_lo, s17
	v_lshlrev_b32_e32 v10, 16, v6
	v_lshlrev_b32_e32 v8, 20, v8
	v_lshl_add_u32 v7, v7, 23, 0x3c000000
	v_mov_b32_e32 v20, v9
	v_and_b32_e32 v10, 0x80000000, v10
	v_or3_b32 v21, v8, v10, v7
.LBB216_1421:                           ;   in Loop: Header=BB216_1066 Depth=1
	s_or_b32 exec_lo, exec_lo, s16
.LBB216_1422:                           ;   in Loop: Header=BB216_1066 Depth=1
	s_or_b32 exec_lo, exec_lo, s15
.LBB216_1423:                           ;   in Loop: Header=BB216_1066 Depth=1
	s_or_b32 exec_lo, exec_lo, s13
	v_mov_b32_e32 v22, 0
	v_mov_b32_e32 v24, 0
	v_and_b32_sdwa v7, v6, v102 dst_sel:DWORD dst_unused:UNUSED_PAD src0_sel:WORD_1 src1_sel:DWORD
	v_mov_b32_e32 v23, 0
	v_mov_b32_e32 v25, 0
	s_mov_b32 s13, exec_lo
	v_cmpx_ne_u16_e32 0, v7
	s_cbranch_execz .LBB216_1431
; %bb.1424:                             ;   in Loop: Header=BB216_1066 Depth=1
	v_bfrev_b32_e32 v24, 1
	v_mov_b32_e32 v25, 0
	s_mov_b32 s15, exec_lo
	v_cmpx_ne_u16_e32 0x80, v7
	s_cbranch_execz .LBB216_1430
; %bb.1425:                             ;   in Loop: Header=BB216_1066 Depth=1
	v_mov_b32_e32 v24, 0x7f800001
	v_bfe_u32 v10, v6, 16, 7
	v_mov_b32_e32 v25, 0
	s_mov_b32 s16, exec_lo
	v_cmpx_ne_u32_e32 0x7f, v10
	s_cbranch_execz .LBB216_1429
; %bb.1426:                             ;   in Loop: Header=BB216_1066 Depth=1
	v_mov_b32_e32 v7, 7
	s_mov_b32 s17, exec_lo
	v_and_b32_sdwa v8, v6, v7 dst_sel:DWORD dst_unused:UNUSED_PAD src0_sel:WORD_1 src1_sel:DWORD
	v_lshrrev_b32_e32 v7, 3, v10
	v_cmpx_gt_u32_e32 8, v10
; %bb.1427:                             ;   in Loop: Header=BB216_1066 Depth=1
	v_ffbh_u32_e32 v7, v8
	v_min_u32_e32 v7, 32, v7
	v_subrev_nc_u32_e32 v10, 28, v7
	v_sub_nc_u32_e32 v7, 29, v7
	v_lshlrev_b64 v[24:25], v10, v[8:9]
	v_and_b32_e32 v8, 7, v24
; %bb.1428:                             ;   in Loop: Header=BB216_1066 Depth=1
	s_or_b32 exec_lo, exec_lo, s17
	v_mov_b32_e32 v10, 24
	v_lshlrev_b32_e32 v8, 20, v8
	v_lshl_add_u32 v7, v7, 23, 0x3c000000
	v_lshlrev_b32_sdwa v10, v10, v6 dst_sel:DWORD dst_unused:UNUSED_PAD src0_sel:DWORD src1_sel:WORD_1
	v_and_b32_e32 v10, 0x80000000, v10
	v_or3_b32 v8, v8, v10, v7
	v_mov_b32_e32 v25, v9
	v_mov_b32_e32 v24, v8
.LBB216_1429:                           ;   in Loop: Header=BB216_1066 Depth=1
	s_or_b32 exec_lo, exec_lo, s16
.LBB216_1430:                           ;   in Loop: Header=BB216_1066 Depth=1
	s_or_b32 exec_lo, exec_lo, s15
.LBB216_1431:                           ;   in Loop: Header=BB216_1066 Depth=1
	s_or_b32 exec_lo, exec_lo, s13
	s_mov_b32 s13, exec_lo
	v_cmpx_lt_u32_e32 0xffffff, v6
	s_cbranch_execz .LBB216_1439
; %bb.1432:                             ;   in Loop: Header=BB216_1066 Depth=1
	v_mov_b32_e32 v10, v9
	v_mov_b32_e32 v23, v11
	v_cmp_ne_u32_sdwa s4, v6, v100 src0_sel:BYTE_3 src1_sel:DWORD
	v_mov_b32_e32 v22, v10
	s_and_saveexec_b32 s15, s4
	s_cbranch_execz .LBB216_1438
; %bb.1433:                             ;   in Loop: Header=BB216_1066 Depth=1
	v_mov_b32_e32 v12, v9
	v_mov_b32_e32 v23, v13
	v_bfe_u32 v10, v6, 24, 7
	s_mov_b32 s16, exec_lo
	v_mov_b32_e32 v22, v12
	v_cmpx_ne_u32_e32 0x7f, v10
	s_cbranch_execz .LBB216_1437
; %bb.1434:                             ;   in Loop: Header=BB216_1066 Depth=1
	v_mov_b32_e32 v7, 7
	s_mov_b32 s17, exec_lo
	v_and_b32_sdwa v8, v6, v7 dst_sel:DWORD dst_unused:UNUSED_PAD src0_sel:BYTE_3 src1_sel:DWORD
	v_lshrrev_b32_e32 v7, 3, v10
	v_cmpx_gt_u32_e32 8, v10
; %bb.1435:                             ;   in Loop: Header=BB216_1066 Depth=1
	v_ffbh_u32_e32 v7, v8
	v_min_u32_e32 v7, 32, v7
	v_subrev_nc_u32_e32 v10, 28, v7
	v_sub_nc_u32_e32 v7, 29, v7
	v_lshlrev_b64 v[22:23], v10, v[8:9]
	v_and_b32_e32 v8, 7, v22
; %bb.1436:                             ;   in Loop: Header=BB216_1066 Depth=1
	s_or_b32 exec_lo, exec_lo, s17
	v_mov_b32_e32 v10, 24
	v_lshlrev_b32_e32 v8, 20, v8
	v_lshl_add_u32 v7, v7, 23, 0x3c000000
	v_mov_b32_e32 v22, v9
	v_lshlrev_b32_sdwa v6, v10, v6 dst_sel:DWORD dst_unused:UNUSED_PAD src0_sel:DWORD src1_sel:BYTE_3
	v_and_b32_e32 v6, 0x80000000, v6
	v_or3_b32 v23, v8, v6, v7
.LBB216_1437:                           ;   in Loop: Header=BB216_1066 Depth=1
	s_or_b32 exec_lo, exec_lo, s16
.LBB216_1438:                           ;   in Loop: Header=BB216_1066 Depth=1
	s_or_b32 exec_lo, exec_lo, s15
.LBB216_1439:                           ;   in Loop: Header=BB216_1066 Depth=1
	s_or_b32 exec_lo, exec_lo, s13
	v_or_b32_e32 v6, v21, v19
	v_or_b32_e32 v7, v20, v18
	v_or_b32_e32 v8, v22, v24
	v_or_b32_e32 v10, v23, v25
	v_mul_f32_e32 v124, v119, v6
	v_mul_f32_e32 v123, v119, v7
	;; [unrolled: 1-line block ×4, first 2 shown]
	s_and_saveexec_b32 s13, vcc_lo
	s_cbranch_execz .LBB216_1441
; %bb.1440:                             ;   in Loop: Header=BB216_1066 Depth=1
	v_cmp_lt_i32_e64 s4, v40, v27
	v_cndmask_b32_e64 v123, 0, v123, s4
	v_cmp_lt_i32_e64 s4, v43, v27
	v_cndmask_b32_e64 v124, 0, v124, s4
	v_cmp_lt_i32_e64 s4, v42, v27
	v_cndmask_b32_e64 v122, 0, v122, s4
	v_cmp_lt_i32_e64 s4, v41, v27
	v_cndmask_b32_e64 v121, 0, v121, s4
.LBB216_1441:                           ;   in Loop: Header=BB216_1066 Depth=1
	s_or_b32 exec_lo, exec_lo, s13
	flat_load_dword v6, v[4:5] offset:1408
	v_mov_b32_e32 v20, 0
	v_mov_b32_e32 v18, 0
	;; [unrolled: 1-line block ×4, first 2 shown]
	s_waitcnt vmcnt(0) lgkmcnt(0)
	v_cmp_ne_u16_sdwa s4, v6, v9 src0_sel:BYTE_0 src1_sel:DWORD
	s_and_saveexec_b32 s13, s4
	s_cbranch_execz .LBB216_1449
; %bb.1442:                             ;   in Loop: Header=BB216_1066 Depth=1
	v_bfrev_b32_e32 v18, 1
	v_mov_b32_e32 v19, 0
	v_cmp_ne_u16_sdwa s4, v6, v100 src0_sel:BYTE_0 src1_sel:DWORD
	s_and_saveexec_b32 s15, s4
	s_cbranch_execz .LBB216_1448
; %bb.1443:                             ;   in Loop: Header=BB216_1066 Depth=1
	v_mov_b32_e32 v18, 0x7f800001
	v_and_b32_e32 v10, 0x7f, v6
	v_mov_b32_e32 v19, 0
	s_mov_b32 s16, exec_lo
	v_cmpx_ne_u32_e32 0x7f, v10
	s_cbranch_execz .LBB216_1447
; %bb.1444:                             ;   in Loop: Header=BB216_1066 Depth=1
	v_and_b32_e32 v8, 7, v6
	v_lshrrev_b32_e32 v7, 3, v10
	s_mov_b32 s17, exec_lo
	v_cmpx_gt_u32_e32 8, v10
; %bb.1445:                             ;   in Loop: Header=BB216_1066 Depth=1
	v_ffbh_u32_e32 v7, v8
	v_min_u32_e32 v7, 32, v7
	v_subrev_nc_u32_e32 v10, 28, v7
	v_sub_nc_u32_e32 v7, 29, v7
	v_lshlrev_b64 v[18:19], v10, v[8:9]
	v_and_b32_e32 v8, 7, v18
; %bb.1446:                             ;   in Loop: Header=BB216_1066 Depth=1
	s_or_b32 exec_lo, exec_lo, s17
	v_lshlrev_b32_e32 v10, 24, v6
	v_lshlrev_b32_e32 v8, 20, v8
	v_lshl_add_u32 v7, v7, 23, 0x3c000000
	v_and_b32_e32 v10, 0x80000000, v10
	v_or3_b32 v8, v8, v10, v7
	v_mov_b32_e32 v19, v9
	v_mov_b32_e32 v18, v8
.LBB216_1447:                           ;   in Loop: Header=BB216_1066 Depth=1
	s_or_b32 exec_lo, exec_lo, s16
.LBB216_1448:                           ;   in Loop: Header=BB216_1066 Depth=1
	s_or_b32 exec_lo, exec_lo, s15
.LBB216_1449:                           ;   in Loop: Header=BB216_1066 Depth=1
	s_or_b32 exec_lo, exec_lo, s13
	v_cmp_ne_u16_sdwa s4, v6, v9 src0_sel:BYTE_1 src1_sel:DWORD
	s_and_saveexec_b32 s13, s4
	s_cbranch_execz .LBB216_1457
; %bb.1450:                             ;   in Loop: Header=BB216_1066 Depth=1
	v_mov_b32_e32 v10, v9
	v_mov_b32_e32 v21, v11
	v_cmp_ne_u16_sdwa s4, v6, v100 src0_sel:BYTE_1 src1_sel:DWORD
	v_mov_b32_e32 v20, v10
	s_and_saveexec_b32 s15, s4
	s_cbranch_execz .LBB216_1456
; %bb.1451:                             ;   in Loop: Header=BB216_1066 Depth=1
	v_mov_b32_e32 v7, 0xffff
	v_mov_b32_e32 v12, v9
	;; [unrolled: 1-line block ×3, first 2 shown]
	s_mov_b32 s16, exec_lo
	v_and_b32_sdwa v7, v7, v6 dst_sel:DWORD dst_unused:UNUSED_PAD src0_sel:DWORD src1_sel:BYTE_1
	v_mov_b32_e32 v20, v12
	v_and_b32_e32 v10, 0x7f, v7
	v_cmpx_ne_u32_e32 0x7f, v10
	s_cbranch_execz .LBB216_1455
; %bb.1452:                             ;   in Loop: Header=BB216_1066 Depth=1
	v_and_b32_e32 v8, 7, v7
	v_lshrrev_b32_e32 v7, 3, v10
	s_mov_b32 s17, exec_lo
	v_cmpx_gt_u32_e32 8, v10
; %bb.1453:                             ;   in Loop: Header=BB216_1066 Depth=1
	v_ffbh_u32_e32 v7, v8
	v_min_u32_e32 v7, 32, v7
	v_subrev_nc_u32_e32 v10, 28, v7
	v_sub_nc_u32_e32 v7, 29, v7
	v_lshlrev_b64 v[20:21], v10, v[8:9]
	v_and_b32_e32 v8, 7, v20
; %bb.1454:                             ;   in Loop: Header=BB216_1066 Depth=1
	s_or_b32 exec_lo, exec_lo, s17
	v_lshlrev_b32_e32 v10, 16, v6
	v_lshlrev_b32_e32 v8, 20, v8
	v_lshl_add_u32 v7, v7, 23, 0x3c000000
	v_mov_b32_e32 v20, v9
	v_and_b32_e32 v10, 0x80000000, v10
	v_or3_b32 v21, v8, v10, v7
.LBB216_1455:                           ;   in Loop: Header=BB216_1066 Depth=1
	s_or_b32 exec_lo, exec_lo, s16
.LBB216_1456:                           ;   in Loop: Header=BB216_1066 Depth=1
	s_or_b32 exec_lo, exec_lo, s15
.LBB216_1457:                           ;   in Loop: Header=BB216_1066 Depth=1
	s_or_b32 exec_lo, exec_lo, s13
	v_mov_b32_e32 v22, 0
	v_mov_b32_e32 v24, 0
	v_and_b32_sdwa v7, v6, v102 dst_sel:DWORD dst_unused:UNUSED_PAD src0_sel:WORD_1 src1_sel:DWORD
	v_mov_b32_e32 v23, 0
	v_mov_b32_e32 v25, 0
	s_mov_b32 s13, exec_lo
	v_cmpx_ne_u16_e32 0, v7
	s_cbranch_execz .LBB216_1465
; %bb.1458:                             ;   in Loop: Header=BB216_1066 Depth=1
	v_bfrev_b32_e32 v24, 1
	v_mov_b32_e32 v25, 0
	s_mov_b32 s15, exec_lo
	v_cmpx_ne_u16_e32 0x80, v7
	s_cbranch_execz .LBB216_1464
; %bb.1459:                             ;   in Loop: Header=BB216_1066 Depth=1
	v_mov_b32_e32 v24, 0x7f800001
	v_bfe_u32 v10, v6, 16, 7
	v_mov_b32_e32 v25, 0
	s_mov_b32 s16, exec_lo
	v_cmpx_ne_u32_e32 0x7f, v10
	s_cbranch_execz .LBB216_1463
; %bb.1460:                             ;   in Loop: Header=BB216_1066 Depth=1
	v_mov_b32_e32 v7, 7
	s_mov_b32 s17, exec_lo
	v_and_b32_sdwa v8, v6, v7 dst_sel:DWORD dst_unused:UNUSED_PAD src0_sel:WORD_1 src1_sel:DWORD
	v_lshrrev_b32_e32 v7, 3, v10
	v_cmpx_gt_u32_e32 8, v10
; %bb.1461:                             ;   in Loop: Header=BB216_1066 Depth=1
	v_ffbh_u32_e32 v7, v8
	v_min_u32_e32 v7, 32, v7
	v_subrev_nc_u32_e32 v10, 28, v7
	v_sub_nc_u32_e32 v7, 29, v7
	v_lshlrev_b64 v[24:25], v10, v[8:9]
	v_and_b32_e32 v8, 7, v24
; %bb.1462:                             ;   in Loop: Header=BB216_1066 Depth=1
	s_or_b32 exec_lo, exec_lo, s17
	v_mov_b32_e32 v10, 24
	v_lshlrev_b32_e32 v8, 20, v8
	v_lshl_add_u32 v7, v7, 23, 0x3c000000
	v_lshlrev_b32_sdwa v10, v10, v6 dst_sel:DWORD dst_unused:UNUSED_PAD src0_sel:DWORD src1_sel:WORD_1
	v_and_b32_e32 v10, 0x80000000, v10
	v_or3_b32 v8, v8, v10, v7
	v_mov_b32_e32 v25, v9
	v_mov_b32_e32 v24, v8
.LBB216_1463:                           ;   in Loop: Header=BB216_1066 Depth=1
	s_or_b32 exec_lo, exec_lo, s16
.LBB216_1464:                           ;   in Loop: Header=BB216_1066 Depth=1
	s_or_b32 exec_lo, exec_lo, s15
.LBB216_1465:                           ;   in Loop: Header=BB216_1066 Depth=1
	s_or_b32 exec_lo, exec_lo, s13
	s_mov_b32 s13, exec_lo
	v_cmpx_lt_u32_e32 0xffffff, v6
	s_cbranch_execz .LBB216_1473
; %bb.1466:                             ;   in Loop: Header=BB216_1066 Depth=1
	v_mov_b32_e32 v10, v9
	v_mov_b32_e32 v23, v11
	v_cmp_ne_u32_sdwa s4, v6, v100 src0_sel:BYTE_3 src1_sel:DWORD
	v_mov_b32_e32 v22, v10
	s_and_saveexec_b32 s15, s4
	s_cbranch_execz .LBB216_1472
; %bb.1467:                             ;   in Loop: Header=BB216_1066 Depth=1
	v_mov_b32_e32 v12, v9
	v_mov_b32_e32 v23, v13
	v_bfe_u32 v10, v6, 24, 7
	s_mov_b32 s16, exec_lo
	v_mov_b32_e32 v22, v12
	v_cmpx_ne_u32_e32 0x7f, v10
	s_cbranch_execz .LBB216_1471
; %bb.1468:                             ;   in Loop: Header=BB216_1066 Depth=1
	v_mov_b32_e32 v7, 7
	s_mov_b32 s17, exec_lo
	v_and_b32_sdwa v8, v6, v7 dst_sel:DWORD dst_unused:UNUSED_PAD src0_sel:BYTE_3 src1_sel:DWORD
	v_lshrrev_b32_e32 v7, 3, v10
	v_cmpx_gt_u32_e32 8, v10
; %bb.1469:                             ;   in Loop: Header=BB216_1066 Depth=1
	v_ffbh_u32_e32 v7, v8
	v_min_u32_e32 v7, 32, v7
	v_subrev_nc_u32_e32 v10, 28, v7
	v_sub_nc_u32_e32 v7, 29, v7
	v_lshlrev_b64 v[22:23], v10, v[8:9]
	v_and_b32_e32 v8, 7, v22
; %bb.1470:                             ;   in Loop: Header=BB216_1066 Depth=1
	s_or_b32 exec_lo, exec_lo, s17
	v_mov_b32_e32 v10, 24
	v_lshlrev_b32_e32 v8, 20, v8
	v_lshl_add_u32 v7, v7, 23, 0x3c000000
	v_mov_b32_e32 v22, v9
	v_lshlrev_b32_sdwa v6, v10, v6 dst_sel:DWORD dst_unused:UNUSED_PAD src0_sel:DWORD src1_sel:BYTE_3
	v_and_b32_e32 v6, 0x80000000, v6
	v_or3_b32 v23, v8, v6, v7
.LBB216_1471:                           ;   in Loop: Header=BB216_1066 Depth=1
	s_or_b32 exec_lo, exec_lo, s16
.LBB216_1472:                           ;   in Loop: Header=BB216_1066 Depth=1
	s_or_b32 exec_lo, exec_lo, s15
.LBB216_1473:                           ;   in Loop: Header=BB216_1066 Depth=1
	s_or_b32 exec_lo, exec_lo, s13
	v_or_b32_e32 v6, v21, v19
	v_or_b32_e32 v7, v20, v18
	;; [unrolled: 1-line block ×4, first 2 shown]
	v_mul_f32_e32 v31, v119, v6
	v_mul_f32_e32 v127, v119, v7
	;; [unrolled: 1-line block ×4, first 2 shown]
	s_and_saveexec_b32 s13, vcc_lo
	s_cbranch_execz .LBB216_1475
; %bb.1474:                             ;   in Loop: Header=BB216_1066 Depth=1
	v_cmp_lt_i32_e64 s4, v40, v27
	v_cndmask_b32_e64 v127, 0, v127, s4
	v_cmp_lt_i32_e64 s4, v43, v27
	v_cndmask_b32_e64 v31, 0, v31, s4
	;; [unrolled: 2-line block ×4, first 2 shown]
.LBB216_1475:                           ;   in Loop: Header=BB216_1066 Depth=1
	s_or_b32 exec_lo, exec_lo, s13
	flat_load_dword v6, v[4:5] offset:1536
	v_mov_b32_e32 v20, 0
	v_mov_b32_e32 v18, 0
	;; [unrolled: 1-line block ×4, first 2 shown]
	s_waitcnt vmcnt(0) lgkmcnt(0)
	v_cmp_ne_u16_sdwa s4, v6, v9 src0_sel:BYTE_0 src1_sel:DWORD
	s_and_saveexec_b32 s13, s4
	s_cbranch_execz .LBB216_1483
; %bb.1476:                             ;   in Loop: Header=BB216_1066 Depth=1
	v_bfrev_b32_e32 v18, 1
	v_mov_b32_e32 v19, 0
	v_cmp_ne_u16_sdwa s4, v6, v100 src0_sel:BYTE_0 src1_sel:DWORD
	s_and_saveexec_b32 s15, s4
	s_cbranch_execz .LBB216_1482
; %bb.1477:                             ;   in Loop: Header=BB216_1066 Depth=1
	v_mov_b32_e32 v18, 0x7f800001
	v_and_b32_e32 v10, 0x7f, v6
	v_mov_b32_e32 v19, 0
	s_mov_b32 s16, exec_lo
	v_cmpx_ne_u32_e32 0x7f, v10
	s_cbranch_execz .LBB216_1481
; %bb.1478:                             ;   in Loop: Header=BB216_1066 Depth=1
	v_and_b32_e32 v8, 7, v6
	v_lshrrev_b32_e32 v7, 3, v10
	s_mov_b32 s17, exec_lo
	v_cmpx_gt_u32_e32 8, v10
; %bb.1479:                             ;   in Loop: Header=BB216_1066 Depth=1
	v_ffbh_u32_e32 v7, v8
	v_min_u32_e32 v7, 32, v7
	v_subrev_nc_u32_e32 v10, 28, v7
	v_sub_nc_u32_e32 v7, 29, v7
	v_lshlrev_b64 v[18:19], v10, v[8:9]
	v_and_b32_e32 v8, 7, v18
; %bb.1480:                             ;   in Loop: Header=BB216_1066 Depth=1
	s_or_b32 exec_lo, exec_lo, s17
	v_lshlrev_b32_e32 v10, 24, v6
	v_lshlrev_b32_e32 v8, 20, v8
	v_lshl_add_u32 v7, v7, 23, 0x3c000000
	v_and_b32_e32 v10, 0x80000000, v10
	v_or3_b32 v8, v8, v10, v7
	v_mov_b32_e32 v19, v9
	v_mov_b32_e32 v18, v8
.LBB216_1481:                           ;   in Loop: Header=BB216_1066 Depth=1
	s_or_b32 exec_lo, exec_lo, s16
.LBB216_1482:                           ;   in Loop: Header=BB216_1066 Depth=1
	s_or_b32 exec_lo, exec_lo, s15
.LBB216_1483:                           ;   in Loop: Header=BB216_1066 Depth=1
	s_or_b32 exec_lo, exec_lo, s13
	v_cmp_ne_u16_sdwa s4, v6, v9 src0_sel:BYTE_1 src1_sel:DWORD
	s_and_saveexec_b32 s13, s4
	s_cbranch_execz .LBB216_1491
; %bb.1484:                             ;   in Loop: Header=BB216_1066 Depth=1
	v_mov_b32_e32 v10, v9
	v_mov_b32_e32 v21, v11
	v_cmp_ne_u16_sdwa s4, v6, v100 src0_sel:BYTE_1 src1_sel:DWORD
	v_mov_b32_e32 v20, v10
	s_and_saveexec_b32 s15, s4
	s_cbranch_execz .LBB216_1490
; %bb.1485:                             ;   in Loop: Header=BB216_1066 Depth=1
	v_mov_b32_e32 v7, 0xffff
	v_mov_b32_e32 v12, v9
	;; [unrolled: 1-line block ×3, first 2 shown]
	s_mov_b32 s16, exec_lo
	v_and_b32_sdwa v7, v7, v6 dst_sel:DWORD dst_unused:UNUSED_PAD src0_sel:DWORD src1_sel:BYTE_1
	v_mov_b32_e32 v20, v12
	v_and_b32_e32 v10, 0x7f, v7
	v_cmpx_ne_u32_e32 0x7f, v10
	s_cbranch_execz .LBB216_1489
; %bb.1486:                             ;   in Loop: Header=BB216_1066 Depth=1
	v_and_b32_e32 v8, 7, v7
	v_lshrrev_b32_e32 v7, 3, v10
	s_mov_b32 s17, exec_lo
	v_cmpx_gt_u32_e32 8, v10
; %bb.1487:                             ;   in Loop: Header=BB216_1066 Depth=1
	v_ffbh_u32_e32 v7, v8
	v_min_u32_e32 v7, 32, v7
	v_subrev_nc_u32_e32 v10, 28, v7
	v_sub_nc_u32_e32 v7, 29, v7
	v_lshlrev_b64 v[20:21], v10, v[8:9]
	v_and_b32_e32 v8, 7, v20
; %bb.1488:                             ;   in Loop: Header=BB216_1066 Depth=1
	s_or_b32 exec_lo, exec_lo, s17
	v_lshlrev_b32_e32 v10, 16, v6
	v_lshlrev_b32_e32 v8, 20, v8
	v_lshl_add_u32 v7, v7, 23, 0x3c000000
	v_mov_b32_e32 v20, v9
	v_and_b32_e32 v10, 0x80000000, v10
	v_or3_b32 v21, v8, v10, v7
.LBB216_1489:                           ;   in Loop: Header=BB216_1066 Depth=1
	s_or_b32 exec_lo, exec_lo, s16
.LBB216_1490:                           ;   in Loop: Header=BB216_1066 Depth=1
	s_or_b32 exec_lo, exec_lo, s15
.LBB216_1491:                           ;   in Loop: Header=BB216_1066 Depth=1
	s_or_b32 exec_lo, exec_lo, s13
	v_mov_b32_e32 v22, 0
	v_mov_b32_e32 v24, 0
	v_and_b32_sdwa v7, v6, v102 dst_sel:DWORD dst_unused:UNUSED_PAD src0_sel:WORD_1 src1_sel:DWORD
	v_mov_b32_e32 v23, 0
	v_mov_b32_e32 v25, 0
	s_mov_b32 s13, exec_lo
	v_cmpx_ne_u16_e32 0, v7
	s_cbranch_execz .LBB216_1499
; %bb.1492:                             ;   in Loop: Header=BB216_1066 Depth=1
	v_bfrev_b32_e32 v24, 1
	v_mov_b32_e32 v25, 0
	s_mov_b32 s15, exec_lo
	v_cmpx_ne_u16_e32 0x80, v7
	s_cbranch_execz .LBB216_1498
; %bb.1493:                             ;   in Loop: Header=BB216_1066 Depth=1
	v_mov_b32_e32 v24, 0x7f800001
	v_bfe_u32 v10, v6, 16, 7
	v_mov_b32_e32 v25, 0
	s_mov_b32 s16, exec_lo
	v_cmpx_ne_u32_e32 0x7f, v10
	s_cbranch_execz .LBB216_1497
; %bb.1494:                             ;   in Loop: Header=BB216_1066 Depth=1
	v_mov_b32_e32 v7, 7
	s_mov_b32 s17, exec_lo
	v_and_b32_sdwa v8, v6, v7 dst_sel:DWORD dst_unused:UNUSED_PAD src0_sel:WORD_1 src1_sel:DWORD
	v_lshrrev_b32_e32 v7, 3, v10
	v_cmpx_gt_u32_e32 8, v10
; %bb.1495:                             ;   in Loop: Header=BB216_1066 Depth=1
	v_ffbh_u32_e32 v7, v8
	v_min_u32_e32 v7, 32, v7
	v_subrev_nc_u32_e32 v10, 28, v7
	v_sub_nc_u32_e32 v7, 29, v7
	v_lshlrev_b64 v[24:25], v10, v[8:9]
	v_and_b32_e32 v8, 7, v24
; %bb.1496:                             ;   in Loop: Header=BB216_1066 Depth=1
	s_or_b32 exec_lo, exec_lo, s17
	v_mov_b32_e32 v10, 24
	v_lshlrev_b32_e32 v8, 20, v8
	v_lshl_add_u32 v7, v7, 23, 0x3c000000
	v_lshlrev_b32_sdwa v10, v10, v6 dst_sel:DWORD dst_unused:UNUSED_PAD src0_sel:DWORD src1_sel:WORD_1
	v_and_b32_e32 v10, 0x80000000, v10
	v_or3_b32 v8, v8, v10, v7
	v_mov_b32_e32 v25, v9
	v_mov_b32_e32 v24, v8
.LBB216_1497:                           ;   in Loop: Header=BB216_1066 Depth=1
	s_or_b32 exec_lo, exec_lo, s16
.LBB216_1498:                           ;   in Loop: Header=BB216_1066 Depth=1
	s_or_b32 exec_lo, exec_lo, s15
.LBB216_1499:                           ;   in Loop: Header=BB216_1066 Depth=1
	s_or_b32 exec_lo, exec_lo, s13
	s_mov_b32 s13, exec_lo
	v_cmpx_lt_u32_e32 0xffffff, v6
	s_cbranch_execz .LBB216_1507
; %bb.1500:                             ;   in Loop: Header=BB216_1066 Depth=1
	v_mov_b32_e32 v10, v9
	v_mov_b32_e32 v23, v11
	v_cmp_ne_u32_sdwa s4, v6, v100 src0_sel:BYTE_3 src1_sel:DWORD
	v_mov_b32_e32 v22, v10
	s_and_saveexec_b32 s15, s4
	s_cbranch_execz .LBB216_1506
; %bb.1501:                             ;   in Loop: Header=BB216_1066 Depth=1
	v_mov_b32_e32 v12, v9
	v_mov_b32_e32 v23, v13
	v_bfe_u32 v10, v6, 24, 7
	s_mov_b32 s16, exec_lo
	v_mov_b32_e32 v22, v12
	v_cmpx_ne_u32_e32 0x7f, v10
	s_cbranch_execz .LBB216_1505
; %bb.1502:                             ;   in Loop: Header=BB216_1066 Depth=1
	v_mov_b32_e32 v7, 7
	s_mov_b32 s17, exec_lo
	v_and_b32_sdwa v8, v6, v7 dst_sel:DWORD dst_unused:UNUSED_PAD src0_sel:BYTE_3 src1_sel:DWORD
	v_lshrrev_b32_e32 v7, 3, v10
	v_cmpx_gt_u32_e32 8, v10
; %bb.1503:                             ;   in Loop: Header=BB216_1066 Depth=1
	v_ffbh_u32_e32 v7, v8
	v_min_u32_e32 v7, 32, v7
	v_subrev_nc_u32_e32 v10, 28, v7
	v_sub_nc_u32_e32 v7, 29, v7
	v_lshlrev_b64 v[22:23], v10, v[8:9]
	v_and_b32_e32 v8, 7, v22
; %bb.1504:                             ;   in Loop: Header=BB216_1066 Depth=1
	s_or_b32 exec_lo, exec_lo, s17
	v_mov_b32_e32 v10, 24
	v_lshlrev_b32_e32 v8, 20, v8
	v_lshl_add_u32 v7, v7, 23, 0x3c000000
	v_mov_b32_e32 v22, v9
	v_lshlrev_b32_sdwa v6, v10, v6 dst_sel:DWORD dst_unused:UNUSED_PAD src0_sel:DWORD src1_sel:BYTE_3
	v_and_b32_e32 v6, 0x80000000, v6
	v_or3_b32 v23, v8, v6, v7
.LBB216_1505:                           ;   in Loop: Header=BB216_1066 Depth=1
	s_or_b32 exec_lo, exec_lo, s16
.LBB216_1506:                           ;   in Loop: Header=BB216_1066 Depth=1
	s_or_b32 exec_lo, exec_lo, s15
.LBB216_1507:                           ;   in Loop: Header=BB216_1066 Depth=1
	s_or_b32 exec_lo, exec_lo, s13
	v_or_b32_e32 v6, v21, v19
	v_or_b32_e32 v7, v20, v18
	;; [unrolled: 1-line block ×4, first 2 shown]
	v_mul_f32_e32 v98, v119, v6
	v_mul_f32_e32 v97, v119, v7
	v_mul_f32_e32 v96, v119, v8
	v_mul_f32_e32 v26, v119, v10
	s_and_saveexec_b32 s13, vcc_lo
	s_cbranch_execz .LBB216_1509
; %bb.1508:                             ;   in Loop: Header=BB216_1066 Depth=1
	v_cmp_lt_i32_e64 s4, v40, v27
	v_cndmask_b32_e64 v97, 0, v97, s4
	v_cmp_lt_i32_e64 s4, v43, v27
	v_cndmask_b32_e64 v98, 0, v98, s4
	;; [unrolled: 2-line block ×4, first 2 shown]
.LBB216_1509:                           ;   in Loop: Header=BB216_1066 Depth=1
	s_or_b32 exec_lo, exec_lo, s13
	flat_load_dword v6, v[4:5] offset:1664
	v_mov_b32_e32 v20, 0
	v_mov_b32_e32 v18, 0
	;; [unrolled: 1-line block ×4, first 2 shown]
	s_waitcnt vmcnt(0) lgkmcnt(0)
	v_cmp_ne_u16_sdwa s4, v6, v9 src0_sel:BYTE_0 src1_sel:DWORD
	s_and_saveexec_b32 s13, s4
	s_cbranch_execz .LBB216_1517
; %bb.1510:                             ;   in Loop: Header=BB216_1066 Depth=1
	v_bfrev_b32_e32 v18, 1
	v_mov_b32_e32 v19, 0
	v_cmp_ne_u16_sdwa s4, v6, v100 src0_sel:BYTE_0 src1_sel:DWORD
	s_and_saveexec_b32 s15, s4
	s_cbranch_execz .LBB216_1516
; %bb.1511:                             ;   in Loop: Header=BB216_1066 Depth=1
	v_mov_b32_e32 v18, 0x7f800001
	v_and_b32_e32 v10, 0x7f, v6
	v_mov_b32_e32 v19, 0
	s_mov_b32 s16, exec_lo
	v_cmpx_ne_u32_e32 0x7f, v10
	s_cbranch_execz .LBB216_1515
; %bb.1512:                             ;   in Loop: Header=BB216_1066 Depth=1
	v_and_b32_e32 v8, 7, v6
	v_lshrrev_b32_e32 v7, 3, v10
	s_mov_b32 s17, exec_lo
	v_cmpx_gt_u32_e32 8, v10
; %bb.1513:                             ;   in Loop: Header=BB216_1066 Depth=1
	v_ffbh_u32_e32 v7, v8
	v_min_u32_e32 v7, 32, v7
	v_subrev_nc_u32_e32 v10, 28, v7
	v_sub_nc_u32_e32 v7, 29, v7
	v_lshlrev_b64 v[18:19], v10, v[8:9]
	v_and_b32_e32 v8, 7, v18
; %bb.1514:                             ;   in Loop: Header=BB216_1066 Depth=1
	s_or_b32 exec_lo, exec_lo, s17
	v_lshlrev_b32_e32 v10, 24, v6
	v_lshlrev_b32_e32 v8, 20, v8
	v_lshl_add_u32 v7, v7, 23, 0x3c000000
	v_and_b32_e32 v10, 0x80000000, v10
	v_or3_b32 v8, v8, v10, v7
	v_mov_b32_e32 v19, v9
	v_mov_b32_e32 v18, v8
.LBB216_1515:                           ;   in Loop: Header=BB216_1066 Depth=1
	s_or_b32 exec_lo, exec_lo, s16
.LBB216_1516:                           ;   in Loop: Header=BB216_1066 Depth=1
	s_or_b32 exec_lo, exec_lo, s15
.LBB216_1517:                           ;   in Loop: Header=BB216_1066 Depth=1
	s_or_b32 exec_lo, exec_lo, s13
	v_cmp_ne_u16_sdwa s4, v6, v9 src0_sel:BYTE_1 src1_sel:DWORD
	s_and_saveexec_b32 s13, s4
	s_cbranch_execz .LBB216_1525
; %bb.1518:                             ;   in Loop: Header=BB216_1066 Depth=1
	v_mov_b32_e32 v10, v9
	v_mov_b32_e32 v21, v11
	v_cmp_ne_u16_sdwa s4, v6, v100 src0_sel:BYTE_1 src1_sel:DWORD
	v_mov_b32_e32 v20, v10
	s_and_saveexec_b32 s15, s4
	s_cbranch_execz .LBB216_1524
; %bb.1519:                             ;   in Loop: Header=BB216_1066 Depth=1
	v_mov_b32_e32 v7, 0xffff
	v_mov_b32_e32 v12, v9
	;; [unrolled: 1-line block ×3, first 2 shown]
	s_mov_b32 s16, exec_lo
	v_and_b32_sdwa v7, v7, v6 dst_sel:DWORD dst_unused:UNUSED_PAD src0_sel:DWORD src1_sel:BYTE_1
	v_mov_b32_e32 v20, v12
	v_and_b32_e32 v10, 0x7f, v7
	v_cmpx_ne_u32_e32 0x7f, v10
	s_cbranch_execz .LBB216_1523
; %bb.1520:                             ;   in Loop: Header=BB216_1066 Depth=1
	v_and_b32_e32 v8, 7, v7
	v_lshrrev_b32_e32 v7, 3, v10
	s_mov_b32 s17, exec_lo
	v_cmpx_gt_u32_e32 8, v10
; %bb.1521:                             ;   in Loop: Header=BB216_1066 Depth=1
	v_ffbh_u32_e32 v7, v8
	v_min_u32_e32 v7, 32, v7
	v_subrev_nc_u32_e32 v10, 28, v7
	v_sub_nc_u32_e32 v7, 29, v7
	v_lshlrev_b64 v[20:21], v10, v[8:9]
	v_and_b32_e32 v8, 7, v20
; %bb.1522:                             ;   in Loop: Header=BB216_1066 Depth=1
	s_or_b32 exec_lo, exec_lo, s17
	v_lshlrev_b32_e32 v10, 16, v6
	v_lshlrev_b32_e32 v8, 20, v8
	v_lshl_add_u32 v7, v7, 23, 0x3c000000
	v_mov_b32_e32 v20, v9
	v_and_b32_e32 v10, 0x80000000, v10
	v_or3_b32 v21, v8, v10, v7
.LBB216_1523:                           ;   in Loop: Header=BB216_1066 Depth=1
	s_or_b32 exec_lo, exec_lo, s16
.LBB216_1524:                           ;   in Loop: Header=BB216_1066 Depth=1
	s_or_b32 exec_lo, exec_lo, s15
.LBB216_1525:                           ;   in Loop: Header=BB216_1066 Depth=1
	s_or_b32 exec_lo, exec_lo, s13
	v_mov_b32_e32 v22, 0
	v_mov_b32_e32 v24, 0
	v_and_b32_sdwa v7, v6, v102 dst_sel:DWORD dst_unused:UNUSED_PAD src0_sel:WORD_1 src1_sel:DWORD
	v_mov_b32_e32 v23, 0
	v_mov_b32_e32 v25, 0
	s_mov_b32 s13, exec_lo
	v_cmpx_ne_u16_e32 0, v7
	s_cbranch_execz .LBB216_1533
; %bb.1526:                             ;   in Loop: Header=BB216_1066 Depth=1
	v_bfrev_b32_e32 v24, 1
	v_mov_b32_e32 v25, 0
	s_mov_b32 s15, exec_lo
	v_cmpx_ne_u16_e32 0x80, v7
	s_cbranch_execz .LBB216_1532
; %bb.1527:                             ;   in Loop: Header=BB216_1066 Depth=1
	v_mov_b32_e32 v24, 0x7f800001
	v_bfe_u32 v10, v6, 16, 7
	v_mov_b32_e32 v25, 0
	s_mov_b32 s16, exec_lo
	v_cmpx_ne_u32_e32 0x7f, v10
	s_cbranch_execz .LBB216_1531
; %bb.1528:                             ;   in Loop: Header=BB216_1066 Depth=1
	v_mov_b32_e32 v7, 7
	s_mov_b32 s17, exec_lo
	v_and_b32_sdwa v8, v6, v7 dst_sel:DWORD dst_unused:UNUSED_PAD src0_sel:WORD_1 src1_sel:DWORD
	v_lshrrev_b32_e32 v7, 3, v10
	v_cmpx_gt_u32_e32 8, v10
; %bb.1529:                             ;   in Loop: Header=BB216_1066 Depth=1
	v_ffbh_u32_e32 v7, v8
	v_min_u32_e32 v7, 32, v7
	v_subrev_nc_u32_e32 v10, 28, v7
	v_sub_nc_u32_e32 v7, 29, v7
	v_lshlrev_b64 v[24:25], v10, v[8:9]
	v_and_b32_e32 v8, 7, v24
; %bb.1530:                             ;   in Loop: Header=BB216_1066 Depth=1
	s_or_b32 exec_lo, exec_lo, s17
	v_mov_b32_e32 v10, 24
	v_lshlrev_b32_e32 v8, 20, v8
	v_lshl_add_u32 v7, v7, 23, 0x3c000000
	v_lshlrev_b32_sdwa v10, v10, v6 dst_sel:DWORD dst_unused:UNUSED_PAD src0_sel:DWORD src1_sel:WORD_1
	v_and_b32_e32 v10, 0x80000000, v10
	v_or3_b32 v8, v8, v10, v7
	v_mov_b32_e32 v25, v9
	v_mov_b32_e32 v24, v8
.LBB216_1531:                           ;   in Loop: Header=BB216_1066 Depth=1
	s_or_b32 exec_lo, exec_lo, s16
.LBB216_1532:                           ;   in Loop: Header=BB216_1066 Depth=1
	s_or_b32 exec_lo, exec_lo, s15
.LBB216_1533:                           ;   in Loop: Header=BB216_1066 Depth=1
	s_or_b32 exec_lo, exec_lo, s13
	s_mov_b32 s13, exec_lo
	v_cmpx_lt_u32_e32 0xffffff, v6
	s_cbranch_execz .LBB216_1541
; %bb.1534:                             ;   in Loop: Header=BB216_1066 Depth=1
	v_mov_b32_e32 v10, v9
	v_mov_b32_e32 v23, v11
	v_cmp_ne_u32_sdwa s4, v6, v100 src0_sel:BYTE_3 src1_sel:DWORD
	v_mov_b32_e32 v22, v10
	s_and_saveexec_b32 s15, s4
	s_cbranch_execz .LBB216_1540
; %bb.1535:                             ;   in Loop: Header=BB216_1066 Depth=1
	v_mov_b32_e32 v12, v9
	v_mov_b32_e32 v23, v13
	v_bfe_u32 v10, v6, 24, 7
	s_mov_b32 s16, exec_lo
	v_mov_b32_e32 v22, v12
	v_cmpx_ne_u32_e32 0x7f, v10
	s_cbranch_execz .LBB216_1539
; %bb.1536:                             ;   in Loop: Header=BB216_1066 Depth=1
	v_mov_b32_e32 v7, 7
	s_mov_b32 s17, exec_lo
	v_and_b32_sdwa v8, v6, v7 dst_sel:DWORD dst_unused:UNUSED_PAD src0_sel:BYTE_3 src1_sel:DWORD
	v_lshrrev_b32_e32 v7, 3, v10
	v_cmpx_gt_u32_e32 8, v10
; %bb.1537:                             ;   in Loop: Header=BB216_1066 Depth=1
	v_ffbh_u32_e32 v7, v8
	v_min_u32_e32 v7, 32, v7
	v_subrev_nc_u32_e32 v10, 28, v7
	v_sub_nc_u32_e32 v7, 29, v7
	v_lshlrev_b64 v[22:23], v10, v[8:9]
	v_and_b32_e32 v8, 7, v22
; %bb.1538:                             ;   in Loop: Header=BB216_1066 Depth=1
	s_or_b32 exec_lo, exec_lo, s17
	v_mov_b32_e32 v10, 24
	v_lshlrev_b32_e32 v8, 20, v8
	v_lshl_add_u32 v7, v7, 23, 0x3c000000
	v_mov_b32_e32 v22, v9
	v_lshlrev_b32_sdwa v6, v10, v6 dst_sel:DWORD dst_unused:UNUSED_PAD src0_sel:DWORD src1_sel:BYTE_3
	v_and_b32_e32 v6, 0x80000000, v6
	v_or3_b32 v23, v8, v6, v7
.LBB216_1539:                           ;   in Loop: Header=BB216_1066 Depth=1
	s_or_b32 exec_lo, exec_lo, s16
.LBB216_1540:                           ;   in Loop: Header=BB216_1066 Depth=1
	s_or_b32 exec_lo, exec_lo, s15
.LBB216_1541:                           ;   in Loop: Header=BB216_1066 Depth=1
	s_or_b32 exec_lo, exec_lo, s13
	v_or_b32_e32 v6, v21, v19
	v_or_b32_e32 v7, v20, v18
	;; [unrolled: 1-line block ×4, first 2 shown]
	v_mul_f32_e32 v114, v119, v6
	v_mul_f32_e32 v7, v119, v7
	;; [unrolled: 1-line block ×4, first 2 shown]
	s_and_saveexec_b32 s13, vcc_lo
	s_cbranch_execz .LBB216_1543
; %bb.1542:                             ;   in Loop: Header=BB216_1066 Depth=1
	v_cmp_lt_i32_e64 s4, v40, v27
	v_cndmask_b32_e64 v7, 0, v7, s4
	v_cmp_lt_i32_e64 s4, v43, v27
	v_cndmask_b32_e64 v114, 0, v114, s4
	;; [unrolled: 2-line block ×4, first 2 shown]
.LBB216_1543:                           ;   in Loop: Header=BB216_1066 Depth=1
	s_or_b32 exec_lo, exec_lo, s13
	flat_load_dword v30, v[4:5] offset:1792
	v_mov_b32_e32 v20, 0
	v_mov_b32_e32 v18, 0
	;; [unrolled: 1-line block ×4, first 2 shown]
	s_waitcnt vmcnt(0) lgkmcnt(0)
	v_cmp_ne_u16_sdwa s4, v30, v9 src0_sel:BYTE_0 src1_sel:DWORD
	s_and_saveexec_b32 s13, s4
	s_cbranch_execz .LBB216_1551
; %bb.1544:                             ;   in Loop: Header=BB216_1066 Depth=1
	v_bfrev_b32_e32 v18, 1
	v_mov_b32_e32 v19, 0
	v_cmp_ne_u16_sdwa s4, v30, v100 src0_sel:BYTE_0 src1_sel:DWORD
	s_and_saveexec_b32 s15, s4
	s_cbranch_execz .LBB216_1550
; %bb.1545:                             ;   in Loop: Header=BB216_1066 Depth=1
	v_mov_b32_e32 v18, 0x7f800001
	v_and_b32_e32 v12, 0x7f, v30
	v_mov_b32_e32 v19, 0
	s_mov_b32 s16, exec_lo
	v_cmpx_ne_u32_e32 0x7f, v12
	s_cbranch_execz .LBB216_1549
; %bb.1546:                             ;   in Loop: Header=BB216_1066 Depth=1
	v_and_b32_e32 v8, 7, v30
	v_lshrrev_b32_e32 v10, 3, v12
	s_mov_b32 s17, exec_lo
	v_cmpx_gt_u32_e32 8, v12
; %bb.1547:                             ;   in Loop: Header=BB216_1066 Depth=1
	v_ffbh_u32_e32 v10, v8
	v_min_u32_e32 v10, 32, v10
	v_subrev_nc_u32_e32 v12, 28, v10
	v_sub_nc_u32_e32 v10, 29, v10
	v_lshlrev_b64 v[18:19], v12, v[8:9]
	v_and_b32_e32 v8, 7, v18
; %bb.1548:                             ;   in Loop: Header=BB216_1066 Depth=1
	s_or_b32 exec_lo, exec_lo, s17
	v_lshlrev_b32_e32 v12, 24, v30
	v_lshlrev_b32_e32 v8, 20, v8
	v_lshl_add_u32 v10, v10, 23, 0x3c000000
	v_and_b32_e32 v12, 0x80000000, v12
	v_or3_b32 v8, v8, v12, v10
	v_mov_b32_e32 v19, v9
	v_mov_b32_e32 v18, v8
.LBB216_1549:                           ;   in Loop: Header=BB216_1066 Depth=1
	s_or_b32 exec_lo, exec_lo, s16
.LBB216_1550:                           ;   in Loop: Header=BB216_1066 Depth=1
	s_or_b32 exec_lo, exec_lo, s15
.LBB216_1551:                           ;   in Loop: Header=BB216_1066 Depth=1
	s_or_b32 exec_lo, exec_lo, s13
	v_cmp_ne_u16_sdwa s4, v30, v9 src0_sel:BYTE_1 src1_sel:DWORD
	s_and_saveexec_b32 s13, s4
	s_cbranch_execz .LBB216_1559
; %bb.1552:                             ;   in Loop: Header=BB216_1066 Depth=1
	v_mov_b32_e32 v10, v9
	v_mov_b32_e32 v21, v11
	v_cmp_ne_u16_sdwa s4, v30, v100 src0_sel:BYTE_1 src1_sel:DWORD
	v_mov_b32_e32 v20, v10
	s_and_saveexec_b32 s15, s4
	s_cbranch_execz .LBB216_1558
; %bb.1553:                             ;   in Loop: Header=BB216_1066 Depth=1
	v_mov_b32_e32 v8, 0xffff
	v_mov_b32_e32 v12, v9
	;; [unrolled: 1-line block ×3, first 2 shown]
	s_mov_b32 s16, exec_lo
	v_and_b32_sdwa v8, v8, v30 dst_sel:DWORD dst_unused:UNUSED_PAD src0_sel:DWORD src1_sel:BYTE_1
	v_mov_b32_e32 v20, v12
	v_and_b32_e32 v22, 0x7f, v8
	v_cmpx_ne_u32_e32 0x7f, v22
	s_cbranch_execz .LBB216_1557
; %bb.1554:                             ;   in Loop: Header=BB216_1066 Depth=1
	v_and_b32_e32 v8, 7, v8
	v_lshrrev_b32_e32 v10, 3, v22
	s_mov_b32 s17, exec_lo
	v_cmpx_gt_u32_e32 8, v22
; %bb.1555:                             ;   in Loop: Header=BB216_1066 Depth=1
	v_ffbh_u32_e32 v10, v8
	v_min_u32_e32 v10, 32, v10
	v_subrev_nc_u32_e32 v12, 28, v10
	v_sub_nc_u32_e32 v10, 29, v10
	v_lshlrev_b64 v[20:21], v12, v[8:9]
	v_and_b32_e32 v8, 7, v20
; %bb.1556:                             ;   in Loop: Header=BB216_1066 Depth=1
	s_or_b32 exec_lo, exec_lo, s17
	v_lshlrev_b32_e32 v12, 16, v30
	v_lshlrev_b32_e32 v8, 20, v8
	v_lshl_add_u32 v10, v10, 23, 0x3c000000
	v_mov_b32_e32 v20, v9
	v_and_b32_e32 v12, 0x80000000, v12
	v_or3_b32 v21, v8, v12, v10
.LBB216_1557:                           ;   in Loop: Header=BB216_1066 Depth=1
	s_or_b32 exec_lo, exec_lo, s16
.LBB216_1558:                           ;   in Loop: Header=BB216_1066 Depth=1
	s_or_b32 exec_lo, exec_lo, s15
.LBB216_1559:                           ;   in Loop: Header=BB216_1066 Depth=1
	s_or_b32 exec_lo, exec_lo, s13
	v_mov_b32_e32 v22, 0
	v_mov_b32_e32 v24, 0
	v_and_b32_sdwa v8, v30, v102 dst_sel:DWORD dst_unused:UNUSED_PAD src0_sel:WORD_1 src1_sel:DWORD
	v_mov_b32_e32 v23, 0
	v_mov_b32_e32 v25, 0
	s_mov_b32 s13, exec_lo
	v_cmpx_ne_u16_e32 0, v8
	s_cbranch_execz .LBB216_1567
; %bb.1560:                             ;   in Loop: Header=BB216_1066 Depth=1
	v_bfrev_b32_e32 v24, 1
	v_mov_b32_e32 v25, 0
	s_mov_b32 s15, exec_lo
	v_cmpx_ne_u16_e32 0x80, v8
	s_cbranch_execz .LBB216_1566
; %bb.1561:                             ;   in Loop: Header=BB216_1066 Depth=1
	v_mov_b32_e32 v24, 0x7f800001
	v_bfe_u32 v12, v30, 16, 7
	v_mov_b32_e32 v25, 0
	s_mov_b32 s16, exec_lo
	v_cmpx_ne_u32_e32 0x7f, v12
	s_cbranch_execz .LBB216_1565
; %bb.1562:                             ;   in Loop: Header=BB216_1066 Depth=1
	v_mov_b32_e32 v8, 7
	v_lshrrev_b32_e32 v10, 3, v12
	s_mov_b32 s17, exec_lo
	v_and_b32_sdwa v8, v30, v8 dst_sel:DWORD dst_unused:UNUSED_PAD src0_sel:WORD_1 src1_sel:DWORD
	v_cmpx_gt_u32_e32 8, v12
; %bb.1563:                             ;   in Loop: Header=BB216_1066 Depth=1
	v_ffbh_u32_e32 v10, v8
	v_min_u32_e32 v10, 32, v10
	v_subrev_nc_u32_e32 v12, 28, v10
	v_sub_nc_u32_e32 v10, 29, v10
	v_lshlrev_b64 v[24:25], v12, v[8:9]
	v_and_b32_e32 v8, 7, v24
; %bb.1564:                             ;   in Loop: Header=BB216_1066 Depth=1
	s_or_b32 exec_lo, exec_lo, s17
	v_mov_b32_e32 v12, 24
	v_lshlrev_b32_e32 v8, 20, v8
	v_lshl_add_u32 v10, v10, 23, 0x3c000000
	v_lshlrev_b32_sdwa v12, v12, v30 dst_sel:DWORD dst_unused:UNUSED_PAD src0_sel:DWORD src1_sel:WORD_1
	v_and_b32_e32 v12, 0x80000000, v12
	v_or3_b32 v8, v8, v12, v10
	v_mov_b32_e32 v25, v9
	v_mov_b32_e32 v24, v8
.LBB216_1565:                           ;   in Loop: Header=BB216_1066 Depth=1
	s_or_b32 exec_lo, exec_lo, s16
.LBB216_1566:                           ;   in Loop: Header=BB216_1066 Depth=1
	s_or_b32 exec_lo, exec_lo, s15
.LBB216_1567:                           ;   in Loop: Header=BB216_1066 Depth=1
	s_or_b32 exec_lo, exec_lo, s13
	s_mov_b32 s13, exec_lo
	v_cmpx_lt_u32_e32 0xffffff, v30
	s_cbranch_execz .LBB216_1575
; %bb.1568:                             ;   in Loop: Header=BB216_1066 Depth=1
	v_mov_b32_e32 v10, v9
	v_mov_b32_e32 v23, v11
	v_cmp_ne_u32_sdwa s4, v30, v100 src0_sel:BYTE_3 src1_sel:DWORD
	v_mov_b32_e32 v22, v10
	s_and_saveexec_b32 s15, s4
	s_cbranch_execz .LBB216_1574
; %bb.1569:                             ;   in Loop: Header=BB216_1066 Depth=1
	v_mov_b32_e32 v12, v9
	v_mov_b32_e32 v23, v13
	v_bfe_u32 v32, v30, 24, 7
	s_mov_b32 s16, exec_lo
	v_mov_b32_e32 v22, v12
	v_cmpx_ne_u32_e32 0x7f, v32
	s_cbranch_execz .LBB216_1573
; %bb.1570:                             ;   in Loop: Header=BB216_1066 Depth=1
	v_mov_b32_e32 v8, 7
	v_lshrrev_b32_e32 v10, 3, v32
	s_mov_b32 s17, exec_lo
	v_and_b32_sdwa v8, v30, v8 dst_sel:DWORD dst_unused:UNUSED_PAD src0_sel:BYTE_3 src1_sel:DWORD
	v_cmpx_gt_u32_e32 8, v32
; %bb.1571:                             ;   in Loop: Header=BB216_1066 Depth=1
	v_ffbh_u32_e32 v10, v8
	v_min_u32_e32 v10, 32, v10
	v_subrev_nc_u32_e32 v12, 28, v10
	v_sub_nc_u32_e32 v10, 29, v10
	v_lshlrev_b64 v[22:23], v12, v[8:9]
	v_and_b32_e32 v8, 7, v22
; %bb.1572:                             ;   in Loop: Header=BB216_1066 Depth=1
	s_or_b32 exec_lo, exec_lo, s17
	v_mov_b32_e32 v12, 24
	v_lshlrev_b32_e32 v8, 20, v8
	v_lshl_add_u32 v10, v10, 23, 0x3c000000
	v_mov_b32_e32 v22, v9
	v_lshlrev_b32_sdwa v12, v12, v30 dst_sel:DWORD dst_unused:UNUSED_PAD src0_sel:DWORD src1_sel:BYTE_3
	v_and_b32_e32 v12, 0x80000000, v12
	v_or3_b32 v23, v8, v12, v10
.LBB216_1573:                           ;   in Loop: Header=BB216_1066 Depth=1
	s_or_b32 exec_lo, exec_lo, s16
.LBB216_1574:                           ;   in Loop: Header=BB216_1066 Depth=1
	s_or_b32 exec_lo, exec_lo, s15
.LBB216_1575:                           ;   in Loop: Header=BB216_1066 Depth=1
	s_or_b32 exec_lo, exec_lo, s13
	v_or_b32_e32 v8, v21, v19
	v_or_b32_e32 v10, v20, v18
	;; [unrolled: 1-line block ×4, first 2 shown]
	v_mul_f32_e32 v35, v119, v8
	v_mul_f32_e32 v34, v119, v10
	;; [unrolled: 1-line block ×4, first 2 shown]
	s_and_saveexec_b32 s13, vcc_lo
	s_cbranch_execz .LBB216_1577
; %bb.1576:                             ;   in Loop: Header=BB216_1066 Depth=1
	v_cmp_lt_i32_e64 s4, v40, v27
	v_cndmask_b32_e64 v34, 0, v34, s4
	v_cmp_lt_i32_e64 s4, v43, v27
	v_cndmask_b32_e64 v35, 0, v35, s4
	;; [unrolled: 2-line block ×4, first 2 shown]
.LBB216_1577:                           ;   in Loop: Header=BB216_1066 Depth=1
	s_or_b32 exec_lo, exec_lo, s13
	flat_load_dword v30, v[4:5] offset:1920
	v_mov_b32_e32 v20, 0
	v_mov_b32_e32 v18, 0
	;; [unrolled: 1-line block ×4, first 2 shown]
	s_waitcnt vmcnt(0) lgkmcnt(0)
	v_cmp_ne_u16_sdwa s4, v30, v9 src0_sel:BYTE_0 src1_sel:DWORD
	s_and_saveexec_b32 s13, s4
	s_cbranch_execz .LBB216_1585
; %bb.1578:                             ;   in Loop: Header=BB216_1066 Depth=1
	v_bfrev_b32_e32 v18, 1
	v_mov_b32_e32 v19, 0
	v_cmp_ne_u16_sdwa s4, v30, v100 src0_sel:BYTE_0 src1_sel:DWORD
	s_and_saveexec_b32 s15, s4
	s_cbranch_execz .LBB216_1584
; %bb.1579:                             ;   in Loop: Header=BB216_1066 Depth=1
	v_mov_b32_e32 v18, 0x7f800001
	v_and_b32_e32 v12, 0x7f, v30
	v_mov_b32_e32 v19, 0
	s_mov_b32 s16, exec_lo
	v_cmpx_ne_u32_e32 0x7f, v12
	s_cbranch_execz .LBB216_1583
; %bb.1580:                             ;   in Loop: Header=BB216_1066 Depth=1
	v_and_b32_e32 v8, 7, v30
	v_lshrrev_b32_e32 v10, 3, v12
	s_mov_b32 s17, exec_lo
	v_cmpx_gt_u32_e32 8, v12
; %bb.1581:                             ;   in Loop: Header=BB216_1066 Depth=1
	v_ffbh_u32_e32 v10, v8
	v_min_u32_e32 v10, 32, v10
	v_subrev_nc_u32_e32 v12, 28, v10
	v_sub_nc_u32_e32 v10, 29, v10
	v_lshlrev_b64 v[18:19], v12, v[8:9]
	v_and_b32_e32 v8, 7, v18
; %bb.1582:                             ;   in Loop: Header=BB216_1066 Depth=1
	s_or_b32 exec_lo, exec_lo, s17
	v_lshlrev_b32_e32 v12, 24, v30
	v_lshlrev_b32_e32 v8, 20, v8
	v_lshl_add_u32 v10, v10, 23, 0x3c000000
	v_and_b32_e32 v12, 0x80000000, v12
	v_or3_b32 v8, v8, v12, v10
	v_mov_b32_e32 v19, v9
	v_mov_b32_e32 v18, v8
.LBB216_1583:                           ;   in Loop: Header=BB216_1066 Depth=1
	s_or_b32 exec_lo, exec_lo, s16
.LBB216_1584:                           ;   in Loop: Header=BB216_1066 Depth=1
	s_or_b32 exec_lo, exec_lo, s15
.LBB216_1585:                           ;   in Loop: Header=BB216_1066 Depth=1
	s_or_b32 exec_lo, exec_lo, s13
	v_cmp_ne_u16_sdwa s4, v30, v9 src0_sel:BYTE_1 src1_sel:DWORD
	s_and_saveexec_b32 s13, s4
	s_cbranch_execz .LBB216_1593
; %bb.1586:                             ;   in Loop: Header=BB216_1066 Depth=1
	v_mov_b32_e32 v10, v9
	v_mov_b32_e32 v21, v11
	v_cmp_ne_u16_sdwa s4, v30, v100 src0_sel:BYTE_1 src1_sel:DWORD
	v_mov_b32_e32 v20, v10
	s_and_saveexec_b32 s15, s4
	s_cbranch_execz .LBB216_1592
; %bb.1587:                             ;   in Loop: Header=BB216_1066 Depth=1
	v_mov_b32_e32 v8, 0xffff
	v_mov_b32_e32 v12, v9
	;; [unrolled: 1-line block ×3, first 2 shown]
	s_mov_b32 s16, exec_lo
	v_and_b32_sdwa v8, v8, v30 dst_sel:DWORD dst_unused:UNUSED_PAD src0_sel:DWORD src1_sel:BYTE_1
	v_mov_b32_e32 v20, v12
	v_and_b32_e32 v22, 0x7f, v8
	v_cmpx_ne_u32_e32 0x7f, v22
	s_cbranch_execz .LBB216_1591
; %bb.1588:                             ;   in Loop: Header=BB216_1066 Depth=1
	v_and_b32_e32 v8, 7, v8
	v_lshrrev_b32_e32 v10, 3, v22
	s_mov_b32 s17, exec_lo
	v_cmpx_gt_u32_e32 8, v22
; %bb.1589:                             ;   in Loop: Header=BB216_1066 Depth=1
	v_ffbh_u32_e32 v10, v8
	v_min_u32_e32 v10, 32, v10
	v_subrev_nc_u32_e32 v12, 28, v10
	v_sub_nc_u32_e32 v10, 29, v10
	v_lshlrev_b64 v[20:21], v12, v[8:9]
	v_and_b32_e32 v8, 7, v20
; %bb.1590:                             ;   in Loop: Header=BB216_1066 Depth=1
	s_or_b32 exec_lo, exec_lo, s17
	v_lshlrev_b32_e32 v12, 16, v30
	v_lshlrev_b32_e32 v8, 20, v8
	v_lshl_add_u32 v10, v10, 23, 0x3c000000
	v_mov_b32_e32 v20, v9
	v_and_b32_e32 v12, 0x80000000, v12
	v_or3_b32 v21, v8, v12, v10
.LBB216_1591:                           ;   in Loop: Header=BB216_1066 Depth=1
	s_or_b32 exec_lo, exec_lo, s16
.LBB216_1592:                           ;   in Loop: Header=BB216_1066 Depth=1
	s_or_b32 exec_lo, exec_lo, s15
.LBB216_1593:                           ;   in Loop: Header=BB216_1066 Depth=1
	s_or_b32 exec_lo, exec_lo, s13
	v_mov_b32_e32 v22, 0
	v_mov_b32_e32 v24, 0
	v_and_b32_sdwa v8, v30, v102 dst_sel:DWORD dst_unused:UNUSED_PAD src0_sel:WORD_1 src1_sel:DWORD
	v_mov_b32_e32 v23, 0
	v_mov_b32_e32 v25, 0
	s_mov_b32 s13, exec_lo
	v_cmpx_ne_u16_e32 0, v8
	s_cbranch_execz .LBB216_1601
; %bb.1594:                             ;   in Loop: Header=BB216_1066 Depth=1
	v_bfrev_b32_e32 v24, 1
	v_mov_b32_e32 v25, 0
	s_mov_b32 s15, exec_lo
	v_cmpx_ne_u16_e32 0x80, v8
	s_cbranch_execz .LBB216_1600
; %bb.1595:                             ;   in Loop: Header=BB216_1066 Depth=1
	v_mov_b32_e32 v24, 0x7f800001
	v_bfe_u32 v12, v30, 16, 7
	v_mov_b32_e32 v25, 0
	s_mov_b32 s16, exec_lo
	v_cmpx_ne_u32_e32 0x7f, v12
	s_cbranch_execz .LBB216_1599
; %bb.1596:                             ;   in Loop: Header=BB216_1066 Depth=1
	v_mov_b32_e32 v8, 7
	v_lshrrev_b32_e32 v10, 3, v12
	s_mov_b32 s17, exec_lo
	v_and_b32_sdwa v8, v30, v8 dst_sel:DWORD dst_unused:UNUSED_PAD src0_sel:WORD_1 src1_sel:DWORD
	v_cmpx_gt_u32_e32 8, v12
; %bb.1597:                             ;   in Loop: Header=BB216_1066 Depth=1
	v_ffbh_u32_e32 v10, v8
	v_min_u32_e32 v10, 32, v10
	v_subrev_nc_u32_e32 v12, 28, v10
	v_sub_nc_u32_e32 v10, 29, v10
	v_lshlrev_b64 v[24:25], v12, v[8:9]
	v_and_b32_e32 v8, 7, v24
; %bb.1598:                             ;   in Loop: Header=BB216_1066 Depth=1
	s_or_b32 exec_lo, exec_lo, s17
	v_mov_b32_e32 v12, 24
	v_lshlrev_b32_e32 v8, 20, v8
	v_lshl_add_u32 v10, v10, 23, 0x3c000000
	v_lshlrev_b32_sdwa v12, v12, v30 dst_sel:DWORD dst_unused:UNUSED_PAD src0_sel:DWORD src1_sel:WORD_1
	v_and_b32_e32 v12, 0x80000000, v12
	v_or3_b32 v8, v8, v12, v10
	v_mov_b32_e32 v25, v9
	v_mov_b32_e32 v24, v8
.LBB216_1599:                           ;   in Loop: Header=BB216_1066 Depth=1
	s_or_b32 exec_lo, exec_lo, s16
.LBB216_1600:                           ;   in Loop: Header=BB216_1066 Depth=1
	s_or_b32 exec_lo, exec_lo, s15
.LBB216_1601:                           ;   in Loop: Header=BB216_1066 Depth=1
	s_or_b32 exec_lo, exec_lo, s13
	s_mov_b32 s13, exec_lo
	v_cmpx_lt_u32_e32 0xffffff, v30
	s_cbranch_execz .LBB216_1609
; %bb.1602:                             ;   in Loop: Header=BB216_1066 Depth=1
	v_mov_b32_e32 v10, v9
	v_mov_b32_e32 v23, v11
	v_cmp_ne_u32_sdwa s4, v30, v100 src0_sel:BYTE_3 src1_sel:DWORD
	v_mov_b32_e32 v22, v10
	s_and_saveexec_b32 s15, s4
	s_cbranch_execz .LBB216_1608
; %bb.1603:                             ;   in Loop: Header=BB216_1066 Depth=1
	v_mov_b32_e32 v12, v9
	v_mov_b32_e32 v23, v13
	v_bfe_u32 v36, v30, 24, 7
	s_mov_b32 s16, exec_lo
	v_mov_b32_e32 v22, v12
	v_cmpx_ne_u32_e32 0x7f, v36
	s_cbranch_execz .LBB216_1607
; %bb.1604:                             ;   in Loop: Header=BB216_1066 Depth=1
	v_mov_b32_e32 v8, 7
	v_lshrrev_b32_e32 v10, 3, v36
	s_mov_b32 s17, exec_lo
	v_and_b32_sdwa v8, v30, v8 dst_sel:DWORD dst_unused:UNUSED_PAD src0_sel:BYTE_3 src1_sel:DWORD
	v_cmpx_gt_u32_e32 8, v36
; %bb.1605:                             ;   in Loop: Header=BB216_1066 Depth=1
	v_ffbh_u32_e32 v10, v8
	v_min_u32_e32 v10, 32, v10
	v_subrev_nc_u32_e32 v12, 28, v10
	v_sub_nc_u32_e32 v10, 29, v10
	v_lshlrev_b64 v[22:23], v12, v[8:9]
	v_and_b32_e32 v8, 7, v22
; %bb.1606:                             ;   in Loop: Header=BB216_1066 Depth=1
	s_or_b32 exec_lo, exec_lo, s17
	v_mov_b32_e32 v12, 24
	v_lshlrev_b32_e32 v8, 20, v8
	v_lshl_add_u32 v10, v10, 23, 0x3c000000
	v_mov_b32_e32 v22, v9
	v_lshlrev_b32_sdwa v12, v12, v30 dst_sel:DWORD dst_unused:UNUSED_PAD src0_sel:DWORD src1_sel:BYTE_3
	v_and_b32_e32 v12, 0x80000000, v12
	v_or3_b32 v23, v8, v12, v10
.LBB216_1607:                           ;   in Loop: Header=BB216_1066 Depth=1
	s_or_b32 exec_lo, exec_lo, s16
.LBB216_1608:                           ;   in Loop: Header=BB216_1066 Depth=1
	s_or_b32 exec_lo, exec_lo, s15
.LBB216_1609:                           ;   in Loop: Header=BB216_1066 Depth=1
	s_or_b32 exec_lo, exec_lo, s13
	v_or_b32_e32 v8, v21, v19
	v_or_b32_e32 v10, v20, v18
	v_or_b32_e32 v12, v22, v24
	v_or_b32_e32 v18, v23, v25
	v_mul_f32_e32 v39, v119, v8
	v_mul_f32_e32 v38, v119, v10
	;; [unrolled: 1-line block ×4, first 2 shown]
	s_and_saveexec_b32 s13, vcc_lo
	s_cbranch_execz .LBB216_1611
; %bb.1610:                             ;   in Loop: Header=BB216_1066 Depth=1
	v_cmp_lt_i32_e64 s4, v40, v27
	v_cndmask_b32_e64 v38, 0, v38, s4
	v_cmp_lt_i32_e64 s4, v43, v27
	v_cndmask_b32_e64 v39, 0, v39, s4
	;; [unrolled: 2-line block ×4, first 2 shown]
.LBB216_1611:                           ;   in Loop: Header=BB216_1066 Depth=1
	s_or_b32 exec_lo, exec_lo, s13
	v_add_co_u32 v4, s4, 0x800, v4
	v_add_co_ci_u32_e64 v5, null, 0, v5, s4
	v_mov_b32_e32 v20, 0
	v_mov_b32_e32 v18, 0
	;; [unrolled: 1-line block ×3, first 2 shown]
	flat_load_dword v30, v[4:5]
	v_mov_b32_e32 v19, 0
	s_waitcnt vmcnt(0) lgkmcnt(0)
	v_cmp_ne_u16_sdwa s4, v30, v9 src0_sel:BYTE_0 src1_sel:DWORD
	s_and_saveexec_b32 s13, s4
	s_cbranch_execz .LBB216_1619
; %bb.1612:                             ;   in Loop: Header=BB216_1066 Depth=1
	v_bfrev_b32_e32 v18, 1
	v_mov_b32_e32 v19, 0
	v_cmp_ne_u16_sdwa s4, v30, v100 src0_sel:BYTE_0 src1_sel:DWORD
	s_and_saveexec_b32 s15, s4
	s_cbranch_execz .LBB216_1618
; %bb.1613:                             ;   in Loop: Header=BB216_1066 Depth=1
	v_mov_b32_e32 v18, 0x7f800001
	v_and_b32_e32 v12, 0x7f, v30
	v_mov_b32_e32 v19, 0
	s_mov_b32 s16, exec_lo
	v_cmpx_ne_u32_e32 0x7f, v12
	s_cbranch_execz .LBB216_1617
; %bb.1614:                             ;   in Loop: Header=BB216_1066 Depth=1
	v_and_b32_e32 v8, 7, v30
	v_lshrrev_b32_e32 v10, 3, v12
	s_mov_b32 s17, exec_lo
	v_cmpx_gt_u32_e32 8, v12
; %bb.1615:                             ;   in Loop: Header=BB216_1066 Depth=1
	v_ffbh_u32_e32 v10, v8
	v_min_u32_e32 v10, 32, v10
	v_subrev_nc_u32_e32 v12, 28, v10
	v_sub_nc_u32_e32 v10, 29, v10
	v_lshlrev_b64 v[18:19], v12, v[8:9]
	v_and_b32_e32 v8, 7, v18
; %bb.1616:                             ;   in Loop: Header=BB216_1066 Depth=1
	s_or_b32 exec_lo, exec_lo, s17
	v_lshlrev_b32_e32 v12, 24, v30
	v_lshlrev_b32_e32 v8, 20, v8
	v_lshl_add_u32 v10, v10, 23, 0x3c000000
	v_and_b32_e32 v12, 0x80000000, v12
	v_or3_b32 v8, v8, v12, v10
	v_mov_b32_e32 v19, v9
	v_mov_b32_e32 v18, v8
.LBB216_1617:                           ;   in Loop: Header=BB216_1066 Depth=1
	s_or_b32 exec_lo, exec_lo, s16
.LBB216_1618:                           ;   in Loop: Header=BB216_1066 Depth=1
	s_or_b32 exec_lo, exec_lo, s15
.LBB216_1619:                           ;   in Loop: Header=BB216_1066 Depth=1
	s_or_b32 exec_lo, exec_lo, s13
	v_cmp_ne_u16_sdwa s4, v30, v9 src0_sel:BYTE_1 src1_sel:DWORD
	s_and_saveexec_b32 s13, s4
	s_cbranch_execz .LBB216_1627
; %bb.1620:                             ;   in Loop: Header=BB216_1066 Depth=1
	v_mov_b32_e32 v10, v9
	v_mov_b32_e32 v21, v11
	v_cmp_ne_u16_sdwa s4, v30, v100 src0_sel:BYTE_1 src1_sel:DWORD
	v_mov_b32_e32 v20, v10
	s_and_saveexec_b32 s15, s4
	s_cbranch_execz .LBB216_1626
; %bb.1621:                             ;   in Loop: Header=BB216_1066 Depth=1
	v_mov_b32_e32 v8, 0xffff
	v_mov_b32_e32 v12, v9
	;; [unrolled: 1-line block ×3, first 2 shown]
	s_mov_b32 s16, exec_lo
	v_and_b32_sdwa v8, v8, v30 dst_sel:DWORD dst_unused:UNUSED_PAD src0_sel:DWORD src1_sel:BYTE_1
	v_mov_b32_e32 v20, v12
	v_and_b32_e32 v22, 0x7f, v8
	v_cmpx_ne_u32_e32 0x7f, v22
	s_cbranch_execz .LBB216_1625
; %bb.1622:                             ;   in Loop: Header=BB216_1066 Depth=1
	v_and_b32_e32 v8, 7, v8
	v_lshrrev_b32_e32 v10, 3, v22
	s_mov_b32 s17, exec_lo
	v_cmpx_gt_u32_e32 8, v22
; %bb.1623:                             ;   in Loop: Header=BB216_1066 Depth=1
	v_ffbh_u32_e32 v10, v8
	v_min_u32_e32 v10, 32, v10
	v_subrev_nc_u32_e32 v12, 28, v10
	v_sub_nc_u32_e32 v10, 29, v10
	v_lshlrev_b64 v[20:21], v12, v[8:9]
	v_and_b32_e32 v8, 7, v20
; %bb.1624:                             ;   in Loop: Header=BB216_1066 Depth=1
	s_or_b32 exec_lo, exec_lo, s17
	v_lshlrev_b32_e32 v12, 16, v30
	v_lshlrev_b32_e32 v8, 20, v8
	v_lshl_add_u32 v10, v10, 23, 0x3c000000
	v_mov_b32_e32 v20, v9
	v_and_b32_e32 v12, 0x80000000, v12
	v_or3_b32 v21, v8, v12, v10
.LBB216_1625:                           ;   in Loop: Header=BB216_1066 Depth=1
	s_or_b32 exec_lo, exec_lo, s16
.LBB216_1626:                           ;   in Loop: Header=BB216_1066 Depth=1
	s_or_b32 exec_lo, exec_lo, s15
.LBB216_1627:                           ;   in Loop: Header=BB216_1066 Depth=1
	s_or_b32 exec_lo, exec_lo, s13
	v_mov_b32_e32 v22, 0
	v_mov_b32_e32 v24, 0
	v_and_b32_sdwa v8, v30, v102 dst_sel:DWORD dst_unused:UNUSED_PAD src0_sel:WORD_1 src1_sel:DWORD
	v_mov_b32_e32 v23, 0
	v_mov_b32_e32 v25, 0
	s_mov_b32 s13, exec_lo
	v_cmpx_ne_u16_e32 0, v8
	s_cbranch_execz .LBB216_1635
; %bb.1628:                             ;   in Loop: Header=BB216_1066 Depth=1
	v_bfrev_b32_e32 v24, 1
	v_mov_b32_e32 v25, 0
	s_mov_b32 s15, exec_lo
	v_cmpx_ne_u16_e32 0x80, v8
	s_cbranch_execz .LBB216_1634
; %bb.1629:                             ;   in Loop: Header=BB216_1066 Depth=1
	v_mov_b32_e32 v24, 0x7f800001
	v_bfe_u32 v12, v30, 16, 7
	v_mov_b32_e32 v25, 0
	s_mov_b32 s16, exec_lo
	v_cmpx_ne_u32_e32 0x7f, v12
	s_cbranch_execz .LBB216_1633
; %bb.1630:                             ;   in Loop: Header=BB216_1066 Depth=1
	v_mov_b32_e32 v8, 7
	v_lshrrev_b32_e32 v10, 3, v12
	s_mov_b32 s17, exec_lo
	v_and_b32_sdwa v8, v30, v8 dst_sel:DWORD dst_unused:UNUSED_PAD src0_sel:WORD_1 src1_sel:DWORD
	v_cmpx_gt_u32_e32 8, v12
; %bb.1631:                             ;   in Loop: Header=BB216_1066 Depth=1
	v_ffbh_u32_e32 v10, v8
	v_min_u32_e32 v10, 32, v10
	v_subrev_nc_u32_e32 v12, 28, v10
	v_sub_nc_u32_e32 v10, 29, v10
	v_lshlrev_b64 v[24:25], v12, v[8:9]
	v_and_b32_e32 v8, 7, v24
; %bb.1632:                             ;   in Loop: Header=BB216_1066 Depth=1
	s_or_b32 exec_lo, exec_lo, s17
	v_mov_b32_e32 v12, 24
	v_lshlrev_b32_e32 v8, 20, v8
	v_lshl_add_u32 v10, v10, 23, 0x3c000000
	v_lshlrev_b32_sdwa v12, v12, v30 dst_sel:DWORD dst_unused:UNUSED_PAD src0_sel:DWORD src1_sel:WORD_1
	v_and_b32_e32 v12, 0x80000000, v12
	v_or3_b32 v8, v8, v12, v10
	v_mov_b32_e32 v25, v9
	v_mov_b32_e32 v24, v8
.LBB216_1633:                           ;   in Loop: Header=BB216_1066 Depth=1
	s_or_b32 exec_lo, exec_lo, s16
.LBB216_1634:                           ;   in Loop: Header=BB216_1066 Depth=1
	s_or_b32 exec_lo, exec_lo, s15
.LBB216_1635:                           ;   in Loop: Header=BB216_1066 Depth=1
	s_or_b32 exec_lo, exec_lo, s13
	s_mov_b32 s13, exec_lo
	v_cmpx_lt_u32_e32 0xffffff, v30
	s_cbranch_execz .LBB216_1643
; %bb.1636:                             ;   in Loop: Header=BB216_1066 Depth=1
	v_mov_b32_e32 v10, v9
	v_mov_b32_e32 v23, v11
	v_cmp_ne_u32_sdwa s4, v30, v100 src0_sel:BYTE_3 src1_sel:DWORD
	v_mov_b32_e32 v22, v10
	s_and_saveexec_b32 s15, s4
	s_cbranch_execz .LBB216_1642
; %bb.1637:                             ;   in Loop: Header=BB216_1066 Depth=1
	v_mov_b32_e32 v12, v9
	v_mov_b32_e32 v23, v13
	v_bfe_u32 v48, v30, 24, 7
	s_mov_b32 s16, exec_lo
	v_mov_b32_e32 v22, v12
	v_cmpx_ne_u32_e32 0x7f, v48
	s_cbranch_execz .LBB216_1641
; %bb.1638:                             ;   in Loop: Header=BB216_1066 Depth=1
	v_mov_b32_e32 v8, 7
	v_lshrrev_b32_e32 v10, 3, v48
	s_mov_b32 s17, exec_lo
	v_and_b32_sdwa v8, v30, v8 dst_sel:DWORD dst_unused:UNUSED_PAD src0_sel:BYTE_3 src1_sel:DWORD
	v_cmpx_gt_u32_e32 8, v48
; %bb.1639:                             ;   in Loop: Header=BB216_1066 Depth=1
	v_ffbh_u32_e32 v10, v8
	v_min_u32_e32 v10, 32, v10
	v_subrev_nc_u32_e32 v12, 28, v10
	v_sub_nc_u32_e32 v10, 29, v10
	v_lshlrev_b64 v[22:23], v12, v[8:9]
	v_and_b32_e32 v8, 7, v22
; %bb.1640:                             ;   in Loop: Header=BB216_1066 Depth=1
	s_or_b32 exec_lo, exec_lo, s17
	v_mov_b32_e32 v12, 24
	v_lshlrev_b32_e32 v8, 20, v8
	v_lshl_add_u32 v10, v10, 23, 0x3c000000
	v_mov_b32_e32 v22, v9
	v_lshlrev_b32_sdwa v12, v12, v30 dst_sel:DWORD dst_unused:UNUSED_PAD src0_sel:DWORD src1_sel:BYTE_3
	v_and_b32_e32 v12, 0x80000000, v12
	v_or3_b32 v23, v8, v12, v10
.LBB216_1641:                           ;   in Loop: Header=BB216_1066 Depth=1
	s_or_b32 exec_lo, exec_lo, s16
.LBB216_1642:                           ;   in Loop: Header=BB216_1066 Depth=1
	s_or_b32 exec_lo, exec_lo, s15
.LBB216_1643:                           ;   in Loop: Header=BB216_1066 Depth=1
	s_or_b32 exec_lo, exec_lo, s13
	v_or_b32_e32 v8, v21, v19
	v_or_b32_e32 v10, v20, v18
	;; [unrolled: 1-line block ×4, first 2 shown]
	v_mul_f32_e32 v51, v119, v8
	v_mul_f32_e32 v50, v119, v10
	;; [unrolled: 1-line block ×4, first 2 shown]
	s_and_saveexec_b32 s13, vcc_lo
	s_cbranch_execz .LBB216_1645
; %bb.1644:                             ;   in Loop: Header=BB216_1066 Depth=1
	v_cmp_lt_i32_e64 s4, v40, v27
	v_cndmask_b32_e64 v50, 0, v50, s4
	v_cmp_lt_i32_e64 s4, v43, v27
	v_cndmask_b32_e64 v51, 0, v51, s4
	;; [unrolled: 2-line block ×4, first 2 shown]
.LBB216_1645:                           ;   in Loop: Header=BB216_1066 Depth=1
	s_or_b32 exec_lo, exec_lo, s13
	flat_load_dword v30, v[4:5] offset:128
	v_mov_b32_e32 v20, 0
	v_mov_b32_e32 v18, 0
	;; [unrolled: 1-line block ×4, first 2 shown]
	s_waitcnt vmcnt(0) lgkmcnt(0)
	v_cmp_ne_u16_sdwa s4, v30, v9 src0_sel:BYTE_0 src1_sel:DWORD
	s_and_saveexec_b32 s13, s4
	s_cbranch_execz .LBB216_1653
; %bb.1646:                             ;   in Loop: Header=BB216_1066 Depth=1
	v_bfrev_b32_e32 v18, 1
	v_mov_b32_e32 v19, 0
	v_cmp_ne_u16_sdwa s4, v30, v100 src0_sel:BYTE_0 src1_sel:DWORD
	s_and_saveexec_b32 s15, s4
	s_cbranch_execz .LBB216_1652
; %bb.1647:                             ;   in Loop: Header=BB216_1066 Depth=1
	v_mov_b32_e32 v18, 0x7f800001
	v_and_b32_e32 v12, 0x7f, v30
	v_mov_b32_e32 v19, 0
	s_mov_b32 s16, exec_lo
	v_cmpx_ne_u32_e32 0x7f, v12
	s_cbranch_execz .LBB216_1651
; %bb.1648:                             ;   in Loop: Header=BB216_1066 Depth=1
	v_and_b32_e32 v8, 7, v30
	v_lshrrev_b32_e32 v10, 3, v12
	s_mov_b32 s17, exec_lo
	v_cmpx_gt_u32_e32 8, v12
; %bb.1649:                             ;   in Loop: Header=BB216_1066 Depth=1
	v_ffbh_u32_e32 v10, v8
	v_min_u32_e32 v10, 32, v10
	v_subrev_nc_u32_e32 v12, 28, v10
	v_sub_nc_u32_e32 v10, 29, v10
	v_lshlrev_b64 v[18:19], v12, v[8:9]
	v_and_b32_e32 v8, 7, v18
; %bb.1650:                             ;   in Loop: Header=BB216_1066 Depth=1
	s_or_b32 exec_lo, exec_lo, s17
	v_lshlrev_b32_e32 v12, 24, v30
	v_lshlrev_b32_e32 v8, 20, v8
	v_lshl_add_u32 v10, v10, 23, 0x3c000000
	v_and_b32_e32 v12, 0x80000000, v12
	v_or3_b32 v8, v8, v12, v10
	v_mov_b32_e32 v19, v9
	v_mov_b32_e32 v18, v8
.LBB216_1651:                           ;   in Loop: Header=BB216_1066 Depth=1
	s_or_b32 exec_lo, exec_lo, s16
.LBB216_1652:                           ;   in Loop: Header=BB216_1066 Depth=1
	s_or_b32 exec_lo, exec_lo, s15
.LBB216_1653:                           ;   in Loop: Header=BB216_1066 Depth=1
	s_or_b32 exec_lo, exec_lo, s13
	v_cmp_ne_u16_sdwa s4, v30, v9 src0_sel:BYTE_1 src1_sel:DWORD
	s_and_saveexec_b32 s13, s4
	s_cbranch_execz .LBB216_1661
; %bb.1654:                             ;   in Loop: Header=BB216_1066 Depth=1
	v_mov_b32_e32 v10, v9
	v_mov_b32_e32 v21, v11
	v_cmp_ne_u16_sdwa s4, v30, v100 src0_sel:BYTE_1 src1_sel:DWORD
	v_mov_b32_e32 v20, v10
	s_and_saveexec_b32 s15, s4
	s_cbranch_execz .LBB216_1660
; %bb.1655:                             ;   in Loop: Header=BB216_1066 Depth=1
	v_mov_b32_e32 v8, 0xffff
	v_mov_b32_e32 v12, v9
	;; [unrolled: 1-line block ×3, first 2 shown]
	s_mov_b32 s16, exec_lo
	v_and_b32_sdwa v8, v8, v30 dst_sel:DWORD dst_unused:UNUSED_PAD src0_sel:DWORD src1_sel:BYTE_1
	v_mov_b32_e32 v20, v12
	v_and_b32_e32 v22, 0x7f, v8
	v_cmpx_ne_u32_e32 0x7f, v22
	s_cbranch_execz .LBB216_1659
; %bb.1656:                             ;   in Loop: Header=BB216_1066 Depth=1
	v_and_b32_e32 v8, 7, v8
	v_lshrrev_b32_e32 v10, 3, v22
	s_mov_b32 s17, exec_lo
	v_cmpx_gt_u32_e32 8, v22
; %bb.1657:                             ;   in Loop: Header=BB216_1066 Depth=1
	v_ffbh_u32_e32 v10, v8
	v_min_u32_e32 v10, 32, v10
	v_subrev_nc_u32_e32 v12, 28, v10
	v_sub_nc_u32_e32 v10, 29, v10
	v_lshlrev_b64 v[20:21], v12, v[8:9]
	v_and_b32_e32 v8, 7, v20
; %bb.1658:                             ;   in Loop: Header=BB216_1066 Depth=1
	s_or_b32 exec_lo, exec_lo, s17
	v_lshlrev_b32_e32 v12, 16, v30
	v_lshlrev_b32_e32 v8, 20, v8
	v_lshl_add_u32 v10, v10, 23, 0x3c000000
	v_mov_b32_e32 v20, v9
	v_and_b32_e32 v12, 0x80000000, v12
	v_or3_b32 v21, v8, v12, v10
.LBB216_1659:                           ;   in Loop: Header=BB216_1066 Depth=1
	s_or_b32 exec_lo, exec_lo, s16
.LBB216_1660:                           ;   in Loop: Header=BB216_1066 Depth=1
	s_or_b32 exec_lo, exec_lo, s15
.LBB216_1661:                           ;   in Loop: Header=BB216_1066 Depth=1
	s_or_b32 exec_lo, exec_lo, s13
	v_mov_b32_e32 v22, 0
	v_mov_b32_e32 v24, 0
	v_and_b32_sdwa v8, v30, v102 dst_sel:DWORD dst_unused:UNUSED_PAD src0_sel:WORD_1 src1_sel:DWORD
	v_mov_b32_e32 v23, 0
	v_mov_b32_e32 v25, 0
	s_mov_b32 s13, exec_lo
	v_cmpx_ne_u16_e32 0, v8
	s_cbranch_execz .LBB216_1669
; %bb.1662:                             ;   in Loop: Header=BB216_1066 Depth=1
	v_bfrev_b32_e32 v24, 1
	v_mov_b32_e32 v25, 0
	s_mov_b32 s15, exec_lo
	v_cmpx_ne_u16_e32 0x80, v8
	s_cbranch_execz .LBB216_1668
; %bb.1663:                             ;   in Loop: Header=BB216_1066 Depth=1
	v_mov_b32_e32 v24, 0x7f800001
	v_bfe_u32 v12, v30, 16, 7
	v_mov_b32_e32 v25, 0
	s_mov_b32 s16, exec_lo
	v_cmpx_ne_u32_e32 0x7f, v12
	s_cbranch_execz .LBB216_1667
; %bb.1664:                             ;   in Loop: Header=BB216_1066 Depth=1
	v_mov_b32_e32 v8, 7
	v_lshrrev_b32_e32 v10, 3, v12
	s_mov_b32 s17, exec_lo
	v_and_b32_sdwa v8, v30, v8 dst_sel:DWORD dst_unused:UNUSED_PAD src0_sel:WORD_1 src1_sel:DWORD
	v_cmpx_gt_u32_e32 8, v12
; %bb.1665:                             ;   in Loop: Header=BB216_1066 Depth=1
	v_ffbh_u32_e32 v10, v8
	v_min_u32_e32 v10, 32, v10
	v_subrev_nc_u32_e32 v12, 28, v10
	v_sub_nc_u32_e32 v10, 29, v10
	v_lshlrev_b64 v[24:25], v12, v[8:9]
	v_and_b32_e32 v8, 7, v24
; %bb.1666:                             ;   in Loop: Header=BB216_1066 Depth=1
	s_or_b32 exec_lo, exec_lo, s17
	v_mov_b32_e32 v12, 24
	v_lshlrev_b32_e32 v8, 20, v8
	v_lshl_add_u32 v10, v10, 23, 0x3c000000
	v_lshlrev_b32_sdwa v12, v12, v30 dst_sel:DWORD dst_unused:UNUSED_PAD src0_sel:DWORD src1_sel:WORD_1
	v_and_b32_e32 v12, 0x80000000, v12
	v_or3_b32 v8, v8, v12, v10
	v_mov_b32_e32 v25, v9
	v_mov_b32_e32 v24, v8
.LBB216_1667:                           ;   in Loop: Header=BB216_1066 Depth=1
	s_or_b32 exec_lo, exec_lo, s16
.LBB216_1668:                           ;   in Loop: Header=BB216_1066 Depth=1
	s_or_b32 exec_lo, exec_lo, s15
.LBB216_1669:                           ;   in Loop: Header=BB216_1066 Depth=1
	s_or_b32 exec_lo, exec_lo, s13
	s_mov_b32 s13, exec_lo
	v_cmpx_lt_u32_e32 0xffffff, v30
	s_cbranch_execz .LBB216_1677
; %bb.1670:                             ;   in Loop: Header=BB216_1066 Depth=1
	v_mov_b32_e32 v10, v9
	v_mov_b32_e32 v23, v11
	v_cmp_ne_u32_sdwa s4, v30, v100 src0_sel:BYTE_3 src1_sel:DWORD
	v_mov_b32_e32 v22, v10
	s_and_saveexec_b32 s15, s4
	s_cbranch_execz .LBB216_1676
; %bb.1671:                             ;   in Loop: Header=BB216_1066 Depth=1
	v_mov_b32_e32 v12, v9
	v_mov_b32_e32 v23, v13
	v_bfe_u32 v52, v30, 24, 7
	s_mov_b32 s16, exec_lo
	v_mov_b32_e32 v22, v12
	v_cmpx_ne_u32_e32 0x7f, v52
	s_cbranch_execz .LBB216_1675
; %bb.1672:                             ;   in Loop: Header=BB216_1066 Depth=1
	v_mov_b32_e32 v8, 7
	v_lshrrev_b32_e32 v10, 3, v52
	s_mov_b32 s17, exec_lo
	v_and_b32_sdwa v8, v30, v8 dst_sel:DWORD dst_unused:UNUSED_PAD src0_sel:BYTE_3 src1_sel:DWORD
	v_cmpx_gt_u32_e32 8, v52
; %bb.1673:                             ;   in Loop: Header=BB216_1066 Depth=1
	v_ffbh_u32_e32 v10, v8
	v_min_u32_e32 v10, 32, v10
	v_subrev_nc_u32_e32 v12, 28, v10
	v_sub_nc_u32_e32 v10, 29, v10
	v_lshlrev_b64 v[22:23], v12, v[8:9]
	v_and_b32_e32 v8, 7, v22
; %bb.1674:                             ;   in Loop: Header=BB216_1066 Depth=1
	s_or_b32 exec_lo, exec_lo, s17
	v_mov_b32_e32 v12, 24
	v_lshlrev_b32_e32 v8, 20, v8
	v_lshl_add_u32 v10, v10, 23, 0x3c000000
	v_mov_b32_e32 v22, v9
	v_lshlrev_b32_sdwa v12, v12, v30 dst_sel:DWORD dst_unused:UNUSED_PAD src0_sel:DWORD src1_sel:BYTE_3
	v_and_b32_e32 v12, 0x80000000, v12
	v_or3_b32 v23, v8, v12, v10
.LBB216_1675:                           ;   in Loop: Header=BB216_1066 Depth=1
	s_or_b32 exec_lo, exec_lo, s16
.LBB216_1676:                           ;   in Loop: Header=BB216_1066 Depth=1
	s_or_b32 exec_lo, exec_lo, s15
.LBB216_1677:                           ;   in Loop: Header=BB216_1066 Depth=1
	s_or_b32 exec_lo, exec_lo, s13
	v_or_b32_e32 v8, v21, v19
	v_or_b32_e32 v10, v20, v18
	;; [unrolled: 1-line block ×4, first 2 shown]
	v_mul_f32_e32 v55, v119, v8
	v_mul_f32_e32 v54, v119, v10
	;; [unrolled: 1-line block ×4, first 2 shown]
	s_and_saveexec_b32 s13, vcc_lo
	s_cbranch_execz .LBB216_1679
; %bb.1678:                             ;   in Loop: Header=BB216_1066 Depth=1
	v_cmp_lt_i32_e64 s4, v40, v27
	v_cndmask_b32_e64 v54, 0, v54, s4
	v_cmp_lt_i32_e64 s4, v43, v27
	v_cndmask_b32_e64 v55, 0, v55, s4
	;; [unrolled: 2-line block ×4, first 2 shown]
.LBB216_1679:                           ;   in Loop: Header=BB216_1066 Depth=1
	s_or_b32 exec_lo, exec_lo, s13
	flat_load_dword v30, v[4:5] offset:256
	v_mov_b32_e32 v20, 0
	v_mov_b32_e32 v18, 0
	;; [unrolled: 1-line block ×4, first 2 shown]
	s_waitcnt vmcnt(0) lgkmcnt(0)
	v_cmp_ne_u16_sdwa s4, v30, v9 src0_sel:BYTE_0 src1_sel:DWORD
	s_and_saveexec_b32 s13, s4
	s_cbranch_execz .LBB216_1687
; %bb.1680:                             ;   in Loop: Header=BB216_1066 Depth=1
	v_bfrev_b32_e32 v18, 1
	v_mov_b32_e32 v19, 0
	v_cmp_ne_u16_sdwa s4, v30, v100 src0_sel:BYTE_0 src1_sel:DWORD
	s_and_saveexec_b32 s15, s4
	s_cbranch_execz .LBB216_1686
; %bb.1681:                             ;   in Loop: Header=BB216_1066 Depth=1
	v_mov_b32_e32 v18, 0x7f800001
	v_and_b32_e32 v12, 0x7f, v30
	v_mov_b32_e32 v19, 0
	s_mov_b32 s16, exec_lo
	v_cmpx_ne_u32_e32 0x7f, v12
	s_cbranch_execz .LBB216_1685
; %bb.1682:                             ;   in Loop: Header=BB216_1066 Depth=1
	v_and_b32_e32 v8, 7, v30
	v_lshrrev_b32_e32 v10, 3, v12
	s_mov_b32 s17, exec_lo
	v_cmpx_gt_u32_e32 8, v12
; %bb.1683:                             ;   in Loop: Header=BB216_1066 Depth=1
	v_ffbh_u32_e32 v10, v8
	v_min_u32_e32 v10, 32, v10
	v_subrev_nc_u32_e32 v12, 28, v10
	v_sub_nc_u32_e32 v10, 29, v10
	v_lshlrev_b64 v[18:19], v12, v[8:9]
	v_and_b32_e32 v8, 7, v18
; %bb.1684:                             ;   in Loop: Header=BB216_1066 Depth=1
	s_or_b32 exec_lo, exec_lo, s17
	v_lshlrev_b32_e32 v12, 24, v30
	v_lshlrev_b32_e32 v8, 20, v8
	v_lshl_add_u32 v10, v10, 23, 0x3c000000
	v_and_b32_e32 v12, 0x80000000, v12
	v_or3_b32 v8, v8, v12, v10
	v_mov_b32_e32 v19, v9
	v_mov_b32_e32 v18, v8
.LBB216_1685:                           ;   in Loop: Header=BB216_1066 Depth=1
	s_or_b32 exec_lo, exec_lo, s16
.LBB216_1686:                           ;   in Loop: Header=BB216_1066 Depth=1
	s_or_b32 exec_lo, exec_lo, s15
.LBB216_1687:                           ;   in Loop: Header=BB216_1066 Depth=1
	s_or_b32 exec_lo, exec_lo, s13
	v_cmp_ne_u16_sdwa s4, v30, v9 src0_sel:BYTE_1 src1_sel:DWORD
	s_and_saveexec_b32 s13, s4
	s_cbranch_execz .LBB216_1695
; %bb.1688:                             ;   in Loop: Header=BB216_1066 Depth=1
	v_mov_b32_e32 v10, v9
	v_mov_b32_e32 v21, v11
	v_cmp_ne_u16_sdwa s4, v30, v100 src0_sel:BYTE_1 src1_sel:DWORD
	v_mov_b32_e32 v20, v10
	s_and_saveexec_b32 s15, s4
	s_cbranch_execz .LBB216_1694
; %bb.1689:                             ;   in Loop: Header=BB216_1066 Depth=1
	v_mov_b32_e32 v8, 0xffff
	v_mov_b32_e32 v12, v9
	;; [unrolled: 1-line block ×3, first 2 shown]
	s_mov_b32 s16, exec_lo
	v_and_b32_sdwa v8, v8, v30 dst_sel:DWORD dst_unused:UNUSED_PAD src0_sel:DWORD src1_sel:BYTE_1
	v_mov_b32_e32 v20, v12
	v_and_b32_e32 v22, 0x7f, v8
	v_cmpx_ne_u32_e32 0x7f, v22
	s_cbranch_execz .LBB216_1693
; %bb.1690:                             ;   in Loop: Header=BB216_1066 Depth=1
	v_and_b32_e32 v8, 7, v8
	v_lshrrev_b32_e32 v10, 3, v22
	s_mov_b32 s17, exec_lo
	v_cmpx_gt_u32_e32 8, v22
; %bb.1691:                             ;   in Loop: Header=BB216_1066 Depth=1
	v_ffbh_u32_e32 v10, v8
	v_min_u32_e32 v10, 32, v10
	v_subrev_nc_u32_e32 v12, 28, v10
	v_sub_nc_u32_e32 v10, 29, v10
	v_lshlrev_b64 v[20:21], v12, v[8:9]
	v_and_b32_e32 v8, 7, v20
; %bb.1692:                             ;   in Loop: Header=BB216_1066 Depth=1
	s_or_b32 exec_lo, exec_lo, s17
	v_lshlrev_b32_e32 v12, 16, v30
	v_lshlrev_b32_e32 v8, 20, v8
	v_lshl_add_u32 v10, v10, 23, 0x3c000000
	v_mov_b32_e32 v20, v9
	v_and_b32_e32 v12, 0x80000000, v12
	v_or3_b32 v21, v8, v12, v10
.LBB216_1693:                           ;   in Loop: Header=BB216_1066 Depth=1
	s_or_b32 exec_lo, exec_lo, s16
.LBB216_1694:                           ;   in Loop: Header=BB216_1066 Depth=1
	s_or_b32 exec_lo, exec_lo, s15
.LBB216_1695:                           ;   in Loop: Header=BB216_1066 Depth=1
	s_or_b32 exec_lo, exec_lo, s13
	v_mov_b32_e32 v22, 0
	v_mov_b32_e32 v24, 0
	v_and_b32_sdwa v8, v30, v102 dst_sel:DWORD dst_unused:UNUSED_PAD src0_sel:WORD_1 src1_sel:DWORD
	v_mov_b32_e32 v23, 0
	v_mov_b32_e32 v25, 0
	s_mov_b32 s13, exec_lo
	v_cmpx_ne_u16_e32 0, v8
	s_cbranch_execz .LBB216_1703
; %bb.1696:                             ;   in Loop: Header=BB216_1066 Depth=1
	v_bfrev_b32_e32 v24, 1
	v_mov_b32_e32 v25, 0
	s_mov_b32 s15, exec_lo
	v_cmpx_ne_u16_e32 0x80, v8
	s_cbranch_execz .LBB216_1702
; %bb.1697:                             ;   in Loop: Header=BB216_1066 Depth=1
	v_mov_b32_e32 v24, 0x7f800001
	v_bfe_u32 v12, v30, 16, 7
	v_mov_b32_e32 v25, 0
	s_mov_b32 s16, exec_lo
	v_cmpx_ne_u32_e32 0x7f, v12
	s_cbranch_execz .LBB216_1701
; %bb.1698:                             ;   in Loop: Header=BB216_1066 Depth=1
	v_mov_b32_e32 v8, 7
	v_lshrrev_b32_e32 v10, 3, v12
	s_mov_b32 s17, exec_lo
	v_and_b32_sdwa v8, v30, v8 dst_sel:DWORD dst_unused:UNUSED_PAD src0_sel:WORD_1 src1_sel:DWORD
	v_cmpx_gt_u32_e32 8, v12
; %bb.1699:                             ;   in Loop: Header=BB216_1066 Depth=1
	v_ffbh_u32_e32 v10, v8
	v_min_u32_e32 v10, 32, v10
	v_subrev_nc_u32_e32 v12, 28, v10
	v_sub_nc_u32_e32 v10, 29, v10
	v_lshlrev_b64 v[24:25], v12, v[8:9]
	v_and_b32_e32 v8, 7, v24
; %bb.1700:                             ;   in Loop: Header=BB216_1066 Depth=1
	s_or_b32 exec_lo, exec_lo, s17
	v_mov_b32_e32 v12, 24
	v_lshlrev_b32_e32 v8, 20, v8
	v_lshl_add_u32 v10, v10, 23, 0x3c000000
	v_lshlrev_b32_sdwa v12, v12, v30 dst_sel:DWORD dst_unused:UNUSED_PAD src0_sel:DWORD src1_sel:WORD_1
	v_and_b32_e32 v12, 0x80000000, v12
	v_or3_b32 v8, v8, v12, v10
	v_mov_b32_e32 v25, v9
	v_mov_b32_e32 v24, v8
.LBB216_1701:                           ;   in Loop: Header=BB216_1066 Depth=1
	s_or_b32 exec_lo, exec_lo, s16
.LBB216_1702:                           ;   in Loop: Header=BB216_1066 Depth=1
	s_or_b32 exec_lo, exec_lo, s15
.LBB216_1703:                           ;   in Loop: Header=BB216_1066 Depth=1
	s_or_b32 exec_lo, exec_lo, s13
	s_mov_b32 s13, exec_lo
	v_cmpx_lt_u32_e32 0xffffff, v30
	s_cbranch_execz .LBB216_1711
; %bb.1704:                             ;   in Loop: Header=BB216_1066 Depth=1
	v_mov_b32_e32 v10, v9
	v_mov_b32_e32 v23, v11
	v_cmp_ne_u32_sdwa s4, v30, v100 src0_sel:BYTE_3 src1_sel:DWORD
	v_mov_b32_e32 v22, v10
	s_and_saveexec_b32 s15, s4
	s_cbranch_execz .LBB216_1710
; %bb.1705:                             ;   in Loop: Header=BB216_1066 Depth=1
	v_mov_b32_e32 v12, v9
	v_mov_b32_e32 v23, v13
	v_bfe_u32 v64, v30, 24, 7
	s_mov_b32 s16, exec_lo
	v_mov_b32_e32 v22, v12
	v_cmpx_ne_u32_e32 0x7f, v64
	s_cbranch_execz .LBB216_1709
; %bb.1706:                             ;   in Loop: Header=BB216_1066 Depth=1
	v_mov_b32_e32 v8, 7
	v_lshrrev_b32_e32 v10, 3, v64
	s_mov_b32 s17, exec_lo
	v_and_b32_sdwa v8, v30, v8 dst_sel:DWORD dst_unused:UNUSED_PAD src0_sel:BYTE_3 src1_sel:DWORD
	v_cmpx_gt_u32_e32 8, v64
; %bb.1707:                             ;   in Loop: Header=BB216_1066 Depth=1
	v_ffbh_u32_e32 v10, v8
	v_min_u32_e32 v10, 32, v10
	v_subrev_nc_u32_e32 v12, 28, v10
	v_sub_nc_u32_e32 v10, 29, v10
	v_lshlrev_b64 v[22:23], v12, v[8:9]
	v_and_b32_e32 v8, 7, v22
; %bb.1708:                             ;   in Loop: Header=BB216_1066 Depth=1
	s_or_b32 exec_lo, exec_lo, s17
	v_mov_b32_e32 v12, 24
	v_lshlrev_b32_e32 v8, 20, v8
	v_lshl_add_u32 v10, v10, 23, 0x3c000000
	v_mov_b32_e32 v22, v9
	v_lshlrev_b32_sdwa v12, v12, v30 dst_sel:DWORD dst_unused:UNUSED_PAD src0_sel:DWORD src1_sel:BYTE_3
	v_and_b32_e32 v12, 0x80000000, v12
	v_or3_b32 v23, v8, v12, v10
.LBB216_1709:                           ;   in Loop: Header=BB216_1066 Depth=1
	s_or_b32 exec_lo, exec_lo, s16
.LBB216_1710:                           ;   in Loop: Header=BB216_1066 Depth=1
	s_or_b32 exec_lo, exec_lo, s15
.LBB216_1711:                           ;   in Loop: Header=BB216_1066 Depth=1
	s_or_b32 exec_lo, exec_lo, s13
	v_or_b32_e32 v8, v21, v19
	v_or_b32_e32 v10, v20, v18
	;; [unrolled: 1-line block ×4, first 2 shown]
	v_mul_f32_e32 v66, v119, v8
	v_mul_f32_e32 v65, v119, v10
	;; [unrolled: 1-line block ×4, first 2 shown]
	s_and_saveexec_b32 s13, vcc_lo
	s_cbranch_execz .LBB216_1713
; %bb.1712:                             ;   in Loop: Header=BB216_1066 Depth=1
	v_cmp_lt_i32_e64 s4, v40, v27
	v_cndmask_b32_e64 v65, 0, v65, s4
	v_cmp_lt_i32_e64 s4, v43, v27
	v_cndmask_b32_e64 v66, 0, v66, s4
	;; [unrolled: 2-line block ×4, first 2 shown]
.LBB216_1713:                           ;   in Loop: Header=BB216_1066 Depth=1
	s_or_b32 exec_lo, exec_lo, s13
	flat_load_dword v67, v[4:5] offset:384
	v_mov_b32_e32 v20, 0
	v_mov_b32_e32 v18, 0
	;; [unrolled: 1-line block ×4, first 2 shown]
	s_waitcnt vmcnt(0) lgkmcnt(0)
	v_cmp_ne_u16_sdwa s4, v67, v9 src0_sel:BYTE_0 src1_sel:DWORD
	s_and_saveexec_b32 s13, s4
	s_cbranch_execz .LBB216_1721
; %bb.1714:                             ;   in Loop: Header=BB216_1066 Depth=1
	v_bfrev_b32_e32 v18, 1
	v_mov_b32_e32 v19, 0
	v_cmp_ne_u16_sdwa s4, v67, v100 src0_sel:BYTE_0 src1_sel:DWORD
	s_and_saveexec_b32 s15, s4
	s_cbranch_execz .LBB216_1720
; %bb.1715:                             ;   in Loop: Header=BB216_1066 Depth=1
	v_mov_b32_e32 v18, 0x7f800001
	v_and_b32_e32 v12, 0x7f, v67
	v_mov_b32_e32 v19, 0
	s_mov_b32 s16, exec_lo
	v_cmpx_ne_u32_e32 0x7f, v12
	s_cbranch_execz .LBB216_1719
; %bb.1716:                             ;   in Loop: Header=BB216_1066 Depth=1
	v_and_b32_e32 v8, 7, v67
	v_lshrrev_b32_e32 v10, 3, v12
	s_mov_b32 s17, exec_lo
	v_cmpx_gt_u32_e32 8, v12
; %bb.1717:                             ;   in Loop: Header=BB216_1066 Depth=1
	v_ffbh_u32_e32 v10, v8
	v_min_u32_e32 v10, 32, v10
	v_subrev_nc_u32_e32 v12, 28, v10
	v_sub_nc_u32_e32 v10, 29, v10
	v_lshlrev_b64 v[18:19], v12, v[8:9]
	v_and_b32_e32 v8, 7, v18
; %bb.1718:                             ;   in Loop: Header=BB216_1066 Depth=1
	s_or_b32 exec_lo, exec_lo, s17
	v_lshlrev_b32_e32 v12, 24, v67
	v_lshlrev_b32_e32 v8, 20, v8
	v_lshl_add_u32 v10, v10, 23, 0x3c000000
	v_and_b32_e32 v12, 0x80000000, v12
	v_or3_b32 v8, v8, v12, v10
	v_mov_b32_e32 v19, v9
	v_mov_b32_e32 v18, v8
.LBB216_1719:                           ;   in Loop: Header=BB216_1066 Depth=1
	s_or_b32 exec_lo, exec_lo, s16
.LBB216_1720:                           ;   in Loop: Header=BB216_1066 Depth=1
	s_or_b32 exec_lo, exec_lo, s15
.LBB216_1721:                           ;   in Loop: Header=BB216_1066 Depth=1
	s_or_b32 exec_lo, exec_lo, s13
	v_cmp_ne_u16_sdwa s4, v67, v9 src0_sel:BYTE_1 src1_sel:DWORD
	s_and_saveexec_b32 s13, s4
	s_cbranch_execz .LBB216_1729
; %bb.1722:                             ;   in Loop: Header=BB216_1066 Depth=1
	v_mov_b32_e32 v10, v9
	v_mov_b32_e32 v21, v11
	v_cmp_ne_u16_sdwa s4, v67, v100 src0_sel:BYTE_1 src1_sel:DWORD
	v_mov_b32_e32 v20, v10
	s_and_saveexec_b32 s15, s4
	s_cbranch_execz .LBB216_1728
; %bb.1723:                             ;   in Loop: Header=BB216_1066 Depth=1
	v_mov_b32_e32 v8, 0xffff
	v_mov_b32_e32 v12, v9
	;; [unrolled: 1-line block ×3, first 2 shown]
	s_mov_b32 s16, exec_lo
	v_and_b32_sdwa v8, v8, v67 dst_sel:DWORD dst_unused:UNUSED_PAD src0_sel:DWORD src1_sel:BYTE_1
	v_mov_b32_e32 v20, v12
	v_and_b32_e32 v22, 0x7f, v8
	v_cmpx_ne_u32_e32 0x7f, v22
	s_cbranch_execz .LBB216_1727
; %bb.1724:                             ;   in Loop: Header=BB216_1066 Depth=1
	v_and_b32_e32 v8, 7, v8
	v_lshrrev_b32_e32 v10, 3, v22
	s_mov_b32 s17, exec_lo
	v_cmpx_gt_u32_e32 8, v22
; %bb.1725:                             ;   in Loop: Header=BB216_1066 Depth=1
	v_ffbh_u32_e32 v10, v8
	v_min_u32_e32 v10, 32, v10
	v_subrev_nc_u32_e32 v12, 28, v10
	v_sub_nc_u32_e32 v10, 29, v10
	v_lshlrev_b64 v[20:21], v12, v[8:9]
	v_and_b32_e32 v8, 7, v20
; %bb.1726:                             ;   in Loop: Header=BB216_1066 Depth=1
	s_or_b32 exec_lo, exec_lo, s17
	v_lshlrev_b32_e32 v12, 16, v67
	v_lshlrev_b32_e32 v8, 20, v8
	v_lshl_add_u32 v10, v10, 23, 0x3c000000
	v_mov_b32_e32 v20, v9
	v_and_b32_e32 v12, 0x80000000, v12
	v_or3_b32 v21, v8, v12, v10
.LBB216_1727:                           ;   in Loop: Header=BB216_1066 Depth=1
	s_or_b32 exec_lo, exec_lo, s16
.LBB216_1728:                           ;   in Loop: Header=BB216_1066 Depth=1
	s_or_b32 exec_lo, exec_lo, s15
.LBB216_1729:                           ;   in Loop: Header=BB216_1066 Depth=1
	s_or_b32 exec_lo, exec_lo, s13
	v_mov_b32_e32 v22, 0
	v_mov_b32_e32 v24, 0
	v_and_b32_sdwa v8, v67, v102 dst_sel:DWORD dst_unused:UNUSED_PAD src0_sel:WORD_1 src1_sel:DWORD
	v_mov_b32_e32 v23, 0
	v_mov_b32_e32 v25, 0
	s_mov_b32 s13, exec_lo
	v_cmpx_ne_u16_e32 0, v8
	s_cbranch_execz .LBB216_1737
; %bb.1730:                             ;   in Loop: Header=BB216_1066 Depth=1
	v_bfrev_b32_e32 v24, 1
	v_mov_b32_e32 v25, 0
	s_mov_b32 s15, exec_lo
	v_cmpx_ne_u16_e32 0x80, v8
	s_cbranch_execz .LBB216_1736
; %bb.1731:                             ;   in Loop: Header=BB216_1066 Depth=1
	v_mov_b32_e32 v24, 0x7f800001
	v_bfe_u32 v12, v67, 16, 7
	v_mov_b32_e32 v25, 0
	s_mov_b32 s16, exec_lo
	v_cmpx_ne_u32_e32 0x7f, v12
	s_cbranch_execz .LBB216_1735
; %bb.1732:                             ;   in Loop: Header=BB216_1066 Depth=1
	v_mov_b32_e32 v8, 7
	v_lshrrev_b32_e32 v10, 3, v12
	s_mov_b32 s17, exec_lo
	v_and_b32_sdwa v8, v67, v8 dst_sel:DWORD dst_unused:UNUSED_PAD src0_sel:WORD_1 src1_sel:DWORD
	v_cmpx_gt_u32_e32 8, v12
; %bb.1733:                             ;   in Loop: Header=BB216_1066 Depth=1
	v_ffbh_u32_e32 v10, v8
	v_min_u32_e32 v10, 32, v10
	v_subrev_nc_u32_e32 v12, 28, v10
	v_sub_nc_u32_e32 v10, 29, v10
	v_lshlrev_b64 v[24:25], v12, v[8:9]
	v_and_b32_e32 v8, 7, v24
; %bb.1734:                             ;   in Loop: Header=BB216_1066 Depth=1
	s_or_b32 exec_lo, exec_lo, s17
	v_mov_b32_e32 v12, 24
	v_lshlrev_b32_e32 v8, 20, v8
	v_lshl_add_u32 v10, v10, 23, 0x3c000000
	v_lshlrev_b32_sdwa v12, v12, v67 dst_sel:DWORD dst_unused:UNUSED_PAD src0_sel:DWORD src1_sel:WORD_1
	v_and_b32_e32 v12, 0x80000000, v12
	v_or3_b32 v8, v8, v12, v10
	v_mov_b32_e32 v25, v9
	v_mov_b32_e32 v24, v8
.LBB216_1735:                           ;   in Loop: Header=BB216_1066 Depth=1
	s_or_b32 exec_lo, exec_lo, s16
.LBB216_1736:                           ;   in Loop: Header=BB216_1066 Depth=1
	s_or_b32 exec_lo, exec_lo, s15
.LBB216_1737:                           ;   in Loop: Header=BB216_1066 Depth=1
	s_or_b32 exec_lo, exec_lo, s13
	s_mov_b32 s13, exec_lo
	v_cmpx_lt_u32_e32 0xffffff, v67
	s_cbranch_execz .LBB216_1745
; %bb.1738:                             ;   in Loop: Header=BB216_1066 Depth=1
	v_mov_b32_e32 v10, v9
	v_mov_b32_e32 v23, v11
	v_cmp_ne_u32_sdwa s4, v67, v100 src0_sel:BYTE_3 src1_sel:DWORD
	v_mov_b32_e32 v22, v10
	s_and_saveexec_b32 s15, s4
	s_cbranch_execz .LBB216_1744
; %bb.1739:                             ;   in Loop: Header=BB216_1066 Depth=1
	v_mov_b32_e32 v12, v9
	v_mov_b32_e32 v23, v13
	v_bfe_u32 v68, v67, 24, 7
	s_mov_b32 s16, exec_lo
	v_mov_b32_e32 v22, v12
	v_cmpx_ne_u32_e32 0x7f, v68
	s_cbranch_execz .LBB216_1743
; %bb.1740:                             ;   in Loop: Header=BB216_1066 Depth=1
	v_mov_b32_e32 v8, 7
	v_lshrrev_b32_e32 v10, 3, v68
	s_mov_b32 s17, exec_lo
	v_and_b32_sdwa v8, v67, v8 dst_sel:DWORD dst_unused:UNUSED_PAD src0_sel:BYTE_3 src1_sel:DWORD
	v_cmpx_gt_u32_e32 8, v68
; %bb.1741:                             ;   in Loop: Header=BB216_1066 Depth=1
	v_ffbh_u32_e32 v10, v8
	v_min_u32_e32 v10, 32, v10
	v_subrev_nc_u32_e32 v12, 28, v10
	v_sub_nc_u32_e32 v10, 29, v10
	v_lshlrev_b64 v[22:23], v12, v[8:9]
	v_and_b32_e32 v8, 7, v22
; %bb.1742:                             ;   in Loop: Header=BB216_1066 Depth=1
	s_or_b32 exec_lo, exec_lo, s17
	v_mov_b32_e32 v12, 24
	v_lshlrev_b32_e32 v8, 20, v8
	v_lshl_add_u32 v10, v10, 23, 0x3c000000
	v_mov_b32_e32 v22, v9
	v_lshlrev_b32_sdwa v12, v12, v67 dst_sel:DWORD dst_unused:UNUSED_PAD src0_sel:DWORD src1_sel:BYTE_3
	v_and_b32_e32 v12, 0x80000000, v12
	v_or3_b32 v23, v8, v12, v10
.LBB216_1743:                           ;   in Loop: Header=BB216_1066 Depth=1
	s_or_b32 exec_lo, exec_lo, s16
.LBB216_1744:                           ;   in Loop: Header=BB216_1066 Depth=1
	s_or_b32 exec_lo, exec_lo, s15
.LBB216_1745:                           ;   in Loop: Header=BB216_1066 Depth=1
	s_or_b32 exec_lo, exec_lo, s13
	v_or_b32_e32 v8, v21, v19
	v_or_b32_e32 v10, v20, v18
	;; [unrolled: 1-line block ×4, first 2 shown]
	v_mul_f32_e32 v70, v119, v8
	v_mul_f32_e32 v69, v119, v10
	;; [unrolled: 1-line block ×4, first 2 shown]
	s_and_saveexec_b32 s13, vcc_lo
	s_cbranch_execz .LBB216_1747
; %bb.1746:                             ;   in Loop: Header=BB216_1066 Depth=1
	v_cmp_lt_i32_e64 s4, v40, v27
	v_cndmask_b32_e64 v69, 0, v69, s4
	v_cmp_lt_i32_e64 s4, v43, v27
	v_cndmask_b32_e64 v70, 0, v70, s4
	;; [unrolled: 2-line block ×4, first 2 shown]
.LBB216_1747:                           ;   in Loop: Header=BB216_1066 Depth=1
	s_or_b32 exec_lo, exec_lo, s13
	flat_load_dword v71, v[4:5] offset:512
	v_mov_b32_e32 v20, 0
	v_mov_b32_e32 v18, 0
	;; [unrolled: 1-line block ×4, first 2 shown]
	s_waitcnt vmcnt(0) lgkmcnt(0)
	v_cmp_ne_u16_sdwa s4, v71, v9 src0_sel:BYTE_0 src1_sel:DWORD
	s_and_saveexec_b32 s13, s4
	s_cbranch_execz .LBB216_1755
; %bb.1748:                             ;   in Loop: Header=BB216_1066 Depth=1
	v_bfrev_b32_e32 v18, 1
	v_mov_b32_e32 v19, 0
	v_cmp_ne_u16_sdwa s4, v71, v100 src0_sel:BYTE_0 src1_sel:DWORD
	s_and_saveexec_b32 s15, s4
	s_cbranch_execz .LBB216_1754
; %bb.1749:                             ;   in Loop: Header=BB216_1066 Depth=1
	v_mov_b32_e32 v18, 0x7f800001
	v_and_b32_e32 v12, 0x7f, v71
	v_mov_b32_e32 v19, 0
	s_mov_b32 s16, exec_lo
	v_cmpx_ne_u32_e32 0x7f, v12
	s_cbranch_execz .LBB216_1753
; %bb.1750:                             ;   in Loop: Header=BB216_1066 Depth=1
	v_and_b32_e32 v8, 7, v71
	v_lshrrev_b32_e32 v10, 3, v12
	s_mov_b32 s17, exec_lo
	v_cmpx_gt_u32_e32 8, v12
; %bb.1751:                             ;   in Loop: Header=BB216_1066 Depth=1
	v_ffbh_u32_e32 v10, v8
	v_min_u32_e32 v10, 32, v10
	v_subrev_nc_u32_e32 v12, 28, v10
	v_sub_nc_u32_e32 v10, 29, v10
	v_lshlrev_b64 v[18:19], v12, v[8:9]
	v_and_b32_e32 v8, 7, v18
; %bb.1752:                             ;   in Loop: Header=BB216_1066 Depth=1
	s_or_b32 exec_lo, exec_lo, s17
	v_lshlrev_b32_e32 v12, 24, v71
	v_lshlrev_b32_e32 v8, 20, v8
	v_lshl_add_u32 v10, v10, 23, 0x3c000000
	v_and_b32_e32 v12, 0x80000000, v12
	v_or3_b32 v8, v8, v12, v10
	v_mov_b32_e32 v19, v9
	v_mov_b32_e32 v18, v8
.LBB216_1753:                           ;   in Loop: Header=BB216_1066 Depth=1
	s_or_b32 exec_lo, exec_lo, s16
.LBB216_1754:                           ;   in Loop: Header=BB216_1066 Depth=1
	s_or_b32 exec_lo, exec_lo, s15
.LBB216_1755:                           ;   in Loop: Header=BB216_1066 Depth=1
	s_or_b32 exec_lo, exec_lo, s13
	v_cmp_ne_u16_sdwa s4, v71, v9 src0_sel:BYTE_1 src1_sel:DWORD
	s_and_saveexec_b32 s13, s4
	s_cbranch_execz .LBB216_1763
; %bb.1756:                             ;   in Loop: Header=BB216_1066 Depth=1
	v_mov_b32_e32 v10, v9
	v_mov_b32_e32 v21, v11
	v_cmp_ne_u16_sdwa s4, v71, v100 src0_sel:BYTE_1 src1_sel:DWORD
	v_mov_b32_e32 v20, v10
	s_and_saveexec_b32 s15, s4
	s_cbranch_execz .LBB216_1762
; %bb.1757:                             ;   in Loop: Header=BB216_1066 Depth=1
	v_mov_b32_e32 v8, 0xffff
	v_mov_b32_e32 v12, v9
	;; [unrolled: 1-line block ×3, first 2 shown]
	s_mov_b32 s16, exec_lo
	v_and_b32_sdwa v8, v8, v71 dst_sel:DWORD dst_unused:UNUSED_PAD src0_sel:DWORD src1_sel:BYTE_1
	v_mov_b32_e32 v20, v12
	v_and_b32_e32 v22, 0x7f, v8
	v_cmpx_ne_u32_e32 0x7f, v22
	s_cbranch_execz .LBB216_1761
; %bb.1758:                             ;   in Loop: Header=BB216_1066 Depth=1
	v_and_b32_e32 v8, 7, v8
	v_lshrrev_b32_e32 v10, 3, v22
	s_mov_b32 s17, exec_lo
	v_cmpx_gt_u32_e32 8, v22
; %bb.1759:                             ;   in Loop: Header=BB216_1066 Depth=1
	v_ffbh_u32_e32 v10, v8
	v_min_u32_e32 v10, 32, v10
	v_subrev_nc_u32_e32 v12, 28, v10
	v_sub_nc_u32_e32 v10, 29, v10
	v_lshlrev_b64 v[20:21], v12, v[8:9]
	v_and_b32_e32 v8, 7, v20
; %bb.1760:                             ;   in Loop: Header=BB216_1066 Depth=1
	s_or_b32 exec_lo, exec_lo, s17
	v_lshlrev_b32_e32 v12, 16, v71
	v_lshlrev_b32_e32 v8, 20, v8
	v_lshl_add_u32 v10, v10, 23, 0x3c000000
	v_mov_b32_e32 v20, v9
	v_and_b32_e32 v12, 0x80000000, v12
	v_or3_b32 v21, v8, v12, v10
.LBB216_1761:                           ;   in Loop: Header=BB216_1066 Depth=1
	s_or_b32 exec_lo, exec_lo, s16
.LBB216_1762:                           ;   in Loop: Header=BB216_1066 Depth=1
	s_or_b32 exec_lo, exec_lo, s15
.LBB216_1763:                           ;   in Loop: Header=BB216_1066 Depth=1
	s_or_b32 exec_lo, exec_lo, s13
	v_mov_b32_e32 v22, 0
	v_mov_b32_e32 v24, 0
	v_and_b32_sdwa v8, v71, v102 dst_sel:DWORD dst_unused:UNUSED_PAD src0_sel:WORD_1 src1_sel:DWORD
	v_mov_b32_e32 v23, 0
	v_mov_b32_e32 v25, 0
	s_mov_b32 s13, exec_lo
	v_cmpx_ne_u16_e32 0, v8
	s_cbranch_execz .LBB216_1771
; %bb.1764:                             ;   in Loop: Header=BB216_1066 Depth=1
	v_bfrev_b32_e32 v24, 1
	v_mov_b32_e32 v25, 0
	s_mov_b32 s15, exec_lo
	v_cmpx_ne_u16_e32 0x80, v8
	s_cbranch_execz .LBB216_1770
; %bb.1765:                             ;   in Loop: Header=BB216_1066 Depth=1
	v_mov_b32_e32 v24, 0x7f800001
	v_bfe_u32 v12, v71, 16, 7
	v_mov_b32_e32 v25, 0
	s_mov_b32 s16, exec_lo
	v_cmpx_ne_u32_e32 0x7f, v12
	s_cbranch_execz .LBB216_1769
; %bb.1766:                             ;   in Loop: Header=BB216_1066 Depth=1
	v_mov_b32_e32 v8, 7
	v_lshrrev_b32_e32 v10, 3, v12
	s_mov_b32 s17, exec_lo
	v_and_b32_sdwa v8, v71, v8 dst_sel:DWORD dst_unused:UNUSED_PAD src0_sel:WORD_1 src1_sel:DWORD
	v_cmpx_gt_u32_e32 8, v12
; %bb.1767:                             ;   in Loop: Header=BB216_1066 Depth=1
	v_ffbh_u32_e32 v10, v8
	v_min_u32_e32 v10, 32, v10
	v_subrev_nc_u32_e32 v12, 28, v10
	v_sub_nc_u32_e32 v10, 29, v10
	v_lshlrev_b64 v[24:25], v12, v[8:9]
	v_and_b32_e32 v8, 7, v24
; %bb.1768:                             ;   in Loop: Header=BB216_1066 Depth=1
	s_or_b32 exec_lo, exec_lo, s17
	v_mov_b32_e32 v12, 24
	v_lshlrev_b32_e32 v8, 20, v8
	v_lshl_add_u32 v10, v10, 23, 0x3c000000
	v_lshlrev_b32_sdwa v12, v12, v71 dst_sel:DWORD dst_unused:UNUSED_PAD src0_sel:DWORD src1_sel:WORD_1
	v_and_b32_e32 v12, 0x80000000, v12
	v_or3_b32 v8, v8, v12, v10
	v_mov_b32_e32 v25, v9
	v_mov_b32_e32 v24, v8
.LBB216_1769:                           ;   in Loop: Header=BB216_1066 Depth=1
	s_or_b32 exec_lo, exec_lo, s16
.LBB216_1770:                           ;   in Loop: Header=BB216_1066 Depth=1
	s_or_b32 exec_lo, exec_lo, s15
.LBB216_1771:                           ;   in Loop: Header=BB216_1066 Depth=1
	s_or_b32 exec_lo, exec_lo, s13
	s_mov_b32 s13, exec_lo
	v_cmpx_lt_u32_e32 0xffffff, v71
	s_cbranch_execz .LBB216_1779
; %bb.1772:                             ;   in Loop: Header=BB216_1066 Depth=1
	v_mov_b32_e32 v10, v9
	v_mov_b32_e32 v23, v11
	v_cmp_ne_u32_sdwa s4, v71, v100 src0_sel:BYTE_3 src1_sel:DWORD
	v_mov_b32_e32 v22, v10
	s_and_saveexec_b32 s15, s4
	s_cbranch_execz .LBB216_1778
; %bb.1773:                             ;   in Loop: Header=BB216_1066 Depth=1
	v_mov_b32_e32 v12, v9
	v_mov_b32_e32 v23, v13
	v_bfe_u32 v80, v71, 24, 7
	s_mov_b32 s16, exec_lo
	v_mov_b32_e32 v22, v12
	v_cmpx_ne_u32_e32 0x7f, v80
	s_cbranch_execz .LBB216_1777
; %bb.1774:                             ;   in Loop: Header=BB216_1066 Depth=1
	v_mov_b32_e32 v8, 7
	v_lshrrev_b32_e32 v10, 3, v80
	s_mov_b32 s17, exec_lo
	v_and_b32_sdwa v8, v71, v8 dst_sel:DWORD dst_unused:UNUSED_PAD src0_sel:BYTE_3 src1_sel:DWORD
	v_cmpx_gt_u32_e32 8, v80
; %bb.1775:                             ;   in Loop: Header=BB216_1066 Depth=1
	v_ffbh_u32_e32 v10, v8
	v_min_u32_e32 v10, 32, v10
	v_subrev_nc_u32_e32 v12, 28, v10
	v_sub_nc_u32_e32 v10, 29, v10
	v_lshlrev_b64 v[22:23], v12, v[8:9]
	v_and_b32_e32 v8, 7, v22
; %bb.1776:                             ;   in Loop: Header=BB216_1066 Depth=1
	s_or_b32 exec_lo, exec_lo, s17
	v_mov_b32_e32 v12, 24
	v_lshlrev_b32_e32 v8, 20, v8
	v_lshl_add_u32 v10, v10, 23, 0x3c000000
	v_mov_b32_e32 v22, v9
	v_lshlrev_b32_sdwa v12, v12, v71 dst_sel:DWORD dst_unused:UNUSED_PAD src0_sel:DWORD src1_sel:BYTE_3
	v_and_b32_e32 v12, 0x80000000, v12
	v_or3_b32 v23, v8, v12, v10
.LBB216_1777:                           ;   in Loop: Header=BB216_1066 Depth=1
	s_or_b32 exec_lo, exec_lo, s16
.LBB216_1778:                           ;   in Loop: Header=BB216_1066 Depth=1
	s_or_b32 exec_lo, exec_lo, s15
.LBB216_1779:                           ;   in Loop: Header=BB216_1066 Depth=1
	s_or_b32 exec_lo, exec_lo, s13
	v_or_b32_e32 v8, v21, v19
	v_or_b32_e32 v10, v20, v18
	;; [unrolled: 1-line block ×4, first 2 shown]
	v_mul_f32_e32 v82, v119, v8
	v_mul_f32_e32 v81, v119, v10
	;; [unrolled: 1-line block ×4, first 2 shown]
	s_and_saveexec_b32 s13, vcc_lo
	s_cbranch_execz .LBB216_1781
; %bb.1780:                             ;   in Loop: Header=BB216_1066 Depth=1
	v_cmp_lt_i32_e64 s4, v40, v27
	v_cndmask_b32_e64 v81, 0, v81, s4
	v_cmp_lt_i32_e64 s4, v43, v27
	v_cndmask_b32_e64 v82, 0, v82, s4
	v_cmp_lt_i32_e64 s4, v42, v27
	v_cndmask_b32_e64 v80, 0, v80, s4
	v_cmp_lt_i32_e64 s4, v41, v27
	v_cndmask_b32_e64 v71, 0, v71, s4
.LBB216_1781:                           ;   in Loop: Header=BB216_1066 Depth=1
	s_or_b32 exec_lo, exec_lo, s13
	flat_load_dword v83, v[4:5] offset:640
	v_mov_b32_e32 v20, 0
	v_mov_b32_e32 v18, 0
	;; [unrolled: 1-line block ×4, first 2 shown]
	s_waitcnt vmcnt(0) lgkmcnt(0)
	v_cmp_ne_u16_sdwa s4, v83, v9 src0_sel:BYTE_0 src1_sel:DWORD
	s_and_saveexec_b32 s13, s4
	s_cbranch_execz .LBB216_1789
; %bb.1782:                             ;   in Loop: Header=BB216_1066 Depth=1
	v_bfrev_b32_e32 v18, 1
	v_mov_b32_e32 v19, 0
	v_cmp_ne_u16_sdwa s4, v83, v100 src0_sel:BYTE_0 src1_sel:DWORD
	s_and_saveexec_b32 s15, s4
	s_cbranch_execz .LBB216_1788
; %bb.1783:                             ;   in Loop: Header=BB216_1066 Depth=1
	v_mov_b32_e32 v18, 0x7f800001
	v_and_b32_e32 v12, 0x7f, v83
	v_mov_b32_e32 v19, 0
	s_mov_b32 s16, exec_lo
	v_cmpx_ne_u32_e32 0x7f, v12
	s_cbranch_execz .LBB216_1787
; %bb.1784:                             ;   in Loop: Header=BB216_1066 Depth=1
	v_and_b32_e32 v8, 7, v83
	v_lshrrev_b32_e32 v10, 3, v12
	s_mov_b32 s17, exec_lo
	v_cmpx_gt_u32_e32 8, v12
; %bb.1785:                             ;   in Loop: Header=BB216_1066 Depth=1
	v_ffbh_u32_e32 v10, v8
	v_min_u32_e32 v10, 32, v10
	v_subrev_nc_u32_e32 v12, 28, v10
	v_sub_nc_u32_e32 v10, 29, v10
	v_lshlrev_b64 v[18:19], v12, v[8:9]
	v_and_b32_e32 v8, 7, v18
; %bb.1786:                             ;   in Loop: Header=BB216_1066 Depth=1
	s_or_b32 exec_lo, exec_lo, s17
	v_lshlrev_b32_e32 v12, 24, v83
	v_lshlrev_b32_e32 v8, 20, v8
	v_lshl_add_u32 v10, v10, 23, 0x3c000000
	v_and_b32_e32 v12, 0x80000000, v12
	v_or3_b32 v8, v8, v12, v10
	v_mov_b32_e32 v19, v9
	v_mov_b32_e32 v18, v8
.LBB216_1787:                           ;   in Loop: Header=BB216_1066 Depth=1
	s_or_b32 exec_lo, exec_lo, s16
.LBB216_1788:                           ;   in Loop: Header=BB216_1066 Depth=1
	s_or_b32 exec_lo, exec_lo, s15
.LBB216_1789:                           ;   in Loop: Header=BB216_1066 Depth=1
	s_or_b32 exec_lo, exec_lo, s13
	v_cmp_ne_u16_sdwa s4, v83, v9 src0_sel:BYTE_1 src1_sel:DWORD
	s_and_saveexec_b32 s13, s4
	s_cbranch_execz .LBB216_1797
; %bb.1790:                             ;   in Loop: Header=BB216_1066 Depth=1
	v_mov_b32_e32 v10, v9
	v_mov_b32_e32 v21, v11
	v_cmp_ne_u16_sdwa s4, v83, v100 src0_sel:BYTE_1 src1_sel:DWORD
	v_mov_b32_e32 v20, v10
	s_and_saveexec_b32 s15, s4
	s_cbranch_execz .LBB216_1796
; %bb.1791:                             ;   in Loop: Header=BB216_1066 Depth=1
	v_mov_b32_e32 v8, 0xffff
	v_mov_b32_e32 v12, v9
	;; [unrolled: 1-line block ×3, first 2 shown]
	s_mov_b32 s16, exec_lo
	v_and_b32_sdwa v8, v8, v83 dst_sel:DWORD dst_unused:UNUSED_PAD src0_sel:DWORD src1_sel:BYTE_1
	v_mov_b32_e32 v20, v12
	v_and_b32_e32 v22, 0x7f, v8
	v_cmpx_ne_u32_e32 0x7f, v22
	s_cbranch_execz .LBB216_1795
; %bb.1792:                             ;   in Loop: Header=BB216_1066 Depth=1
	v_and_b32_e32 v8, 7, v8
	v_lshrrev_b32_e32 v10, 3, v22
	s_mov_b32 s17, exec_lo
	v_cmpx_gt_u32_e32 8, v22
; %bb.1793:                             ;   in Loop: Header=BB216_1066 Depth=1
	v_ffbh_u32_e32 v10, v8
	v_min_u32_e32 v10, 32, v10
	v_subrev_nc_u32_e32 v12, 28, v10
	v_sub_nc_u32_e32 v10, 29, v10
	v_lshlrev_b64 v[20:21], v12, v[8:9]
	v_and_b32_e32 v8, 7, v20
; %bb.1794:                             ;   in Loop: Header=BB216_1066 Depth=1
	s_or_b32 exec_lo, exec_lo, s17
	v_lshlrev_b32_e32 v12, 16, v83
	v_lshlrev_b32_e32 v8, 20, v8
	v_lshl_add_u32 v10, v10, 23, 0x3c000000
	v_mov_b32_e32 v20, v9
	v_and_b32_e32 v12, 0x80000000, v12
	v_or3_b32 v21, v8, v12, v10
.LBB216_1795:                           ;   in Loop: Header=BB216_1066 Depth=1
	s_or_b32 exec_lo, exec_lo, s16
.LBB216_1796:                           ;   in Loop: Header=BB216_1066 Depth=1
	s_or_b32 exec_lo, exec_lo, s15
.LBB216_1797:                           ;   in Loop: Header=BB216_1066 Depth=1
	s_or_b32 exec_lo, exec_lo, s13
	v_mov_b32_e32 v22, 0
	v_mov_b32_e32 v24, 0
	v_and_b32_sdwa v8, v83, v102 dst_sel:DWORD dst_unused:UNUSED_PAD src0_sel:WORD_1 src1_sel:DWORD
	v_mov_b32_e32 v23, 0
	v_mov_b32_e32 v25, 0
	s_mov_b32 s13, exec_lo
	v_cmpx_ne_u16_e32 0, v8
	s_cbranch_execz .LBB216_1805
; %bb.1798:                             ;   in Loop: Header=BB216_1066 Depth=1
	v_bfrev_b32_e32 v24, 1
	v_mov_b32_e32 v25, 0
	s_mov_b32 s15, exec_lo
	v_cmpx_ne_u16_e32 0x80, v8
	s_cbranch_execz .LBB216_1804
; %bb.1799:                             ;   in Loop: Header=BB216_1066 Depth=1
	v_mov_b32_e32 v24, 0x7f800001
	v_bfe_u32 v12, v83, 16, 7
	v_mov_b32_e32 v25, 0
	s_mov_b32 s16, exec_lo
	v_cmpx_ne_u32_e32 0x7f, v12
	s_cbranch_execz .LBB216_1803
; %bb.1800:                             ;   in Loop: Header=BB216_1066 Depth=1
	v_mov_b32_e32 v8, 7
	v_lshrrev_b32_e32 v10, 3, v12
	s_mov_b32 s17, exec_lo
	v_and_b32_sdwa v8, v83, v8 dst_sel:DWORD dst_unused:UNUSED_PAD src0_sel:WORD_1 src1_sel:DWORD
	v_cmpx_gt_u32_e32 8, v12
; %bb.1801:                             ;   in Loop: Header=BB216_1066 Depth=1
	v_ffbh_u32_e32 v10, v8
	v_min_u32_e32 v10, 32, v10
	v_subrev_nc_u32_e32 v12, 28, v10
	v_sub_nc_u32_e32 v10, 29, v10
	v_lshlrev_b64 v[24:25], v12, v[8:9]
	v_and_b32_e32 v8, 7, v24
; %bb.1802:                             ;   in Loop: Header=BB216_1066 Depth=1
	s_or_b32 exec_lo, exec_lo, s17
	v_mov_b32_e32 v12, 24
	v_lshlrev_b32_e32 v8, 20, v8
	v_lshl_add_u32 v10, v10, 23, 0x3c000000
	v_lshlrev_b32_sdwa v12, v12, v83 dst_sel:DWORD dst_unused:UNUSED_PAD src0_sel:DWORD src1_sel:WORD_1
	v_and_b32_e32 v12, 0x80000000, v12
	v_or3_b32 v8, v8, v12, v10
	v_mov_b32_e32 v25, v9
	v_mov_b32_e32 v24, v8
.LBB216_1803:                           ;   in Loop: Header=BB216_1066 Depth=1
	s_or_b32 exec_lo, exec_lo, s16
.LBB216_1804:                           ;   in Loop: Header=BB216_1066 Depth=1
	s_or_b32 exec_lo, exec_lo, s15
.LBB216_1805:                           ;   in Loop: Header=BB216_1066 Depth=1
	s_or_b32 exec_lo, exec_lo, s13
	s_mov_b32 s13, exec_lo
	v_cmpx_lt_u32_e32 0xffffff, v83
	s_cbranch_execz .LBB216_1813
; %bb.1806:                             ;   in Loop: Header=BB216_1066 Depth=1
	v_mov_b32_e32 v10, v9
	v_mov_b32_e32 v23, v11
	v_cmp_ne_u32_sdwa s4, v83, v100 src0_sel:BYTE_3 src1_sel:DWORD
	v_mov_b32_e32 v22, v10
	s_and_saveexec_b32 s15, s4
	s_cbranch_execz .LBB216_1812
; %bb.1807:                             ;   in Loop: Header=BB216_1066 Depth=1
	v_mov_b32_e32 v12, v9
	v_mov_b32_e32 v23, v13
	v_bfe_u32 v84, v83, 24, 7
	s_mov_b32 s16, exec_lo
	v_mov_b32_e32 v22, v12
	v_cmpx_ne_u32_e32 0x7f, v84
	s_cbranch_execz .LBB216_1811
; %bb.1808:                             ;   in Loop: Header=BB216_1066 Depth=1
	v_mov_b32_e32 v8, 7
	v_lshrrev_b32_e32 v10, 3, v84
	s_mov_b32 s17, exec_lo
	v_and_b32_sdwa v8, v83, v8 dst_sel:DWORD dst_unused:UNUSED_PAD src0_sel:BYTE_3 src1_sel:DWORD
	v_cmpx_gt_u32_e32 8, v84
; %bb.1809:                             ;   in Loop: Header=BB216_1066 Depth=1
	v_ffbh_u32_e32 v10, v8
	v_min_u32_e32 v10, 32, v10
	v_subrev_nc_u32_e32 v12, 28, v10
	v_sub_nc_u32_e32 v10, 29, v10
	v_lshlrev_b64 v[22:23], v12, v[8:9]
	v_and_b32_e32 v8, 7, v22
; %bb.1810:                             ;   in Loop: Header=BB216_1066 Depth=1
	s_or_b32 exec_lo, exec_lo, s17
	v_mov_b32_e32 v12, 24
	v_lshlrev_b32_e32 v8, 20, v8
	v_lshl_add_u32 v10, v10, 23, 0x3c000000
	v_mov_b32_e32 v22, v9
	v_lshlrev_b32_sdwa v12, v12, v83 dst_sel:DWORD dst_unused:UNUSED_PAD src0_sel:DWORD src1_sel:BYTE_3
	v_and_b32_e32 v12, 0x80000000, v12
	v_or3_b32 v23, v8, v12, v10
.LBB216_1811:                           ;   in Loop: Header=BB216_1066 Depth=1
	s_or_b32 exec_lo, exec_lo, s16
.LBB216_1812:                           ;   in Loop: Header=BB216_1066 Depth=1
	s_or_b32 exec_lo, exec_lo, s15
.LBB216_1813:                           ;   in Loop: Header=BB216_1066 Depth=1
	s_or_b32 exec_lo, exec_lo, s13
	v_or_b32_e32 v8, v21, v19
	v_or_b32_e32 v10, v20, v18
	;; [unrolled: 1-line block ×4, first 2 shown]
	v_mul_f32_e32 v86, v119, v8
	v_mul_f32_e32 v85, v119, v10
	;; [unrolled: 1-line block ×4, first 2 shown]
	s_and_saveexec_b32 s13, vcc_lo
	s_cbranch_execz .LBB216_1815
; %bb.1814:                             ;   in Loop: Header=BB216_1066 Depth=1
	v_cmp_lt_i32_e64 s4, v40, v27
	v_cndmask_b32_e64 v85, 0, v85, s4
	v_cmp_lt_i32_e64 s4, v43, v27
	v_cndmask_b32_e64 v86, 0, v86, s4
	;; [unrolled: 2-line block ×4, first 2 shown]
.LBB216_1815:                           ;   in Loop: Header=BB216_1066 Depth=1
	s_or_b32 exec_lo, exec_lo, s13
	flat_load_dword v101, v[4:5] offset:768
	v_mov_b32_e32 v20, 0
	v_mov_b32_e32 v18, 0
	;; [unrolled: 1-line block ×4, first 2 shown]
	s_waitcnt vmcnt(0) lgkmcnt(0)
	v_cmp_ne_u16_sdwa s4, v101, v9 src0_sel:BYTE_0 src1_sel:DWORD
	s_and_saveexec_b32 s13, s4
	s_cbranch_execz .LBB216_1823
; %bb.1816:                             ;   in Loop: Header=BB216_1066 Depth=1
	v_bfrev_b32_e32 v18, 1
	v_mov_b32_e32 v19, 0
	v_cmp_ne_u16_sdwa s4, v101, v100 src0_sel:BYTE_0 src1_sel:DWORD
	s_and_saveexec_b32 s15, s4
	s_cbranch_execz .LBB216_1822
; %bb.1817:                             ;   in Loop: Header=BB216_1066 Depth=1
	v_mov_b32_e32 v18, 0x7f800001
	v_and_b32_e32 v12, 0x7f, v101
	v_mov_b32_e32 v19, 0
	s_mov_b32 s16, exec_lo
	v_cmpx_ne_u32_e32 0x7f, v12
	s_cbranch_execz .LBB216_1821
; %bb.1818:                             ;   in Loop: Header=BB216_1066 Depth=1
	v_and_b32_e32 v8, 7, v101
	v_lshrrev_b32_e32 v10, 3, v12
	s_mov_b32 s17, exec_lo
	v_cmpx_gt_u32_e32 8, v12
; %bb.1819:                             ;   in Loop: Header=BB216_1066 Depth=1
	v_ffbh_u32_e32 v10, v8
	v_min_u32_e32 v10, 32, v10
	v_subrev_nc_u32_e32 v12, 28, v10
	v_sub_nc_u32_e32 v10, 29, v10
	v_lshlrev_b64 v[18:19], v12, v[8:9]
	v_and_b32_e32 v8, 7, v18
; %bb.1820:                             ;   in Loop: Header=BB216_1066 Depth=1
	s_or_b32 exec_lo, exec_lo, s17
	v_lshlrev_b32_e32 v12, 24, v101
	v_lshlrev_b32_e32 v8, 20, v8
	v_lshl_add_u32 v10, v10, 23, 0x3c000000
	v_and_b32_e32 v12, 0x80000000, v12
	v_or3_b32 v8, v8, v12, v10
	v_mov_b32_e32 v19, v9
	v_mov_b32_e32 v18, v8
.LBB216_1821:                           ;   in Loop: Header=BB216_1066 Depth=1
	s_or_b32 exec_lo, exec_lo, s16
.LBB216_1822:                           ;   in Loop: Header=BB216_1066 Depth=1
	s_or_b32 exec_lo, exec_lo, s15
.LBB216_1823:                           ;   in Loop: Header=BB216_1066 Depth=1
	s_or_b32 exec_lo, exec_lo, s13
	v_cmp_ne_u16_sdwa s4, v101, v9 src0_sel:BYTE_1 src1_sel:DWORD
	s_and_saveexec_b32 s13, s4
	s_cbranch_execz .LBB216_1831
; %bb.1824:                             ;   in Loop: Header=BB216_1066 Depth=1
	v_mov_b32_e32 v10, v9
	v_mov_b32_e32 v21, v11
	v_cmp_ne_u16_sdwa s4, v101, v100 src0_sel:BYTE_1 src1_sel:DWORD
	v_mov_b32_e32 v20, v10
	s_and_saveexec_b32 s15, s4
	s_cbranch_execz .LBB216_1830
; %bb.1825:                             ;   in Loop: Header=BB216_1066 Depth=1
	v_mov_b32_e32 v8, 0xffff
	v_mov_b32_e32 v12, v9
	;; [unrolled: 1-line block ×3, first 2 shown]
	s_mov_b32 s16, exec_lo
	v_and_b32_sdwa v8, v8, v101 dst_sel:DWORD dst_unused:UNUSED_PAD src0_sel:DWORD src1_sel:BYTE_1
	v_mov_b32_e32 v20, v12
	v_and_b32_e32 v22, 0x7f, v8
	v_cmpx_ne_u32_e32 0x7f, v22
	s_cbranch_execz .LBB216_1829
; %bb.1826:                             ;   in Loop: Header=BB216_1066 Depth=1
	v_and_b32_e32 v8, 7, v8
	v_lshrrev_b32_e32 v10, 3, v22
	s_mov_b32 s17, exec_lo
	v_cmpx_gt_u32_e32 8, v22
; %bb.1827:                             ;   in Loop: Header=BB216_1066 Depth=1
	v_ffbh_u32_e32 v10, v8
	v_min_u32_e32 v10, 32, v10
	v_subrev_nc_u32_e32 v12, 28, v10
	v_sub_nc_u32_e32 v10, 29, v10
	v_lshlrev_b64 v[20:21], v12, v[8:9]
	v_and_b32_e32 v8, 7, v20
; %bb.1828:                             ;   in Loop: Header=BB216_1066 Depth=1
	s_or_b32 exec_lo, exec_lo, s17
	v_lshlrev_b32_e32 v12, 16, v101
	v_lshlrev_b32_e32 v8, 20, v8
	v_lshl_add_u32 v10, v10, 23, 0x3c000000
	v_mov_b32_e32 v20, v9
	v_and_b32_e32 v12, 0x80000000, v12
	v_or3_b32 v21, v8, v12, v10
.LBB216_1829:                           ;   in Loop: Header=BB216_1066 Depth=1
	s_or_b32 exec_lo, exec_lo, s16
.LBB216_1830:                           ;   in Loop: Header=BB216_1066 Depth=1
	s_or_b32 exec_lo, exec_lo, s15
.LBB216_1831:                           ;   in Loop: Header=BB216_1066 Depth=1
	s_or_b32 exec_lo, exec_lo, s13
	v_mov_b32_e32 v22, 0
	v_mov_b32_e32 v24, 0
	v_and_b32_sdwa v8, v101, v102 dst_sel:DWORD dst_unused:UNUSED_PAD src0_sel:WORD_1 src1_sel:DWORD
	v_mov_b32_e32 v23, 0
	v_mov_b32_e32 v25, 0
	s_mov_b32 s13, exec_lo
	v_cmpx_ne_u16_e32 0, v8
	s_cbranch_execz .LBB216_1839
; %bb.1832:                             ;   in Loop: Header=BB216_1066 Depth=1
	v_bfrev_b32_e32 v24, 1
	v_mov_b32_e32 v25, 0
	s_mov_b32 s15, exec_lo
	v_cmpx_ne_u16_e32 0x80, v8
	s_cbranch_execz .LBB216_1838
; %bb.1833:                             ;   in Loop: Header=BB216_1066 Depth=1
	v_mov_b32_e32 v24, 0x7f800001
	v_bfe_u32 v12, v101, 16, 7
	v_mov_b32_e32 v25, 0
	s_mov_b32 s16, exec_lo
	v_cmpx_ne_u32_e32 0x7f, v12
	s_cbranch_execz .LBB216_1837
; %bb.1834:                             ;   in Loop: Header=BB216_1066 Depth=1
	v_mov_b32_e32 v8, 7
	v_lshrrev_b32_e32 v10, 3, v12
	s_mov_b32 s17, exec_lo
	v_and_b32_sdwa v8, v101, v8 dst_sel:DWORD dst_unused:UNUSED_PAD src0_sel:WORD_1 src1_sel:DWORD
	v_cmpx_gt_u32_e32 8, v12
; %bb.1835:                             ;   in Loop: Header=BB216_1066 Depth=1
	v_ffbh_u32_e32 v10, v8
	v_min_u32_e32 v10, 32, v10
	v_subrev_nc_u32_e32 v12, 28, v10
	v_sub_nc_u32_e32 v10, 29, v10
	v_lshlrev_b64 v[24:25], v12, v[8:9]
	v_and_b32_e32 v8, 7, v24
; %bb.1836:                             ;   in Loop: Header=BB216_1066 Depth=1
	s_or_b32 exec_lo, exec_lo, s17
	v_mov_b32_e32 v12, 24
	v_lshlrev_b32_e32 v8, 20, v8
	v_lshl_add_u32 v10, v10, 23, 0x3c000000
	v_lshlrev_b32_sdwa v12, v12, v101 dst_sel:DWORD dst_unused:UNUSED_PAD src0_sel:DWORD src1_sel:WORD_1
	v_and_b32_e32 v12, 0x80000000, v12
	v_or3_b32 v8, v8, v12, v10
	v_mov_b32_e32 v25, v9
	v_mov_b32_e32 v24, v8
.LBB216_1837:                           ;   in Loop: Header=BB216_1066 Depth=1
	s_or_b32 exec_lo, exec_lo, s16
.LBB216_1838:                           ;   in Loop: Header=BB216_1066 Depth=1
	s_or_b32 exec_lo, exec_lo, s15
.LBB216_1839:                           ;   in Loop: Header=BB216_1066 Depth=1
	s_or_b32 exec_lo, exec_lo, s13
	s_mov_b32 s13, exec_lo
	v_cmpx_lt_u32_e32 0xffffff, v101
	s_cbranch_execz .LBB216_1847
; %bb.1840:                             ;   in Loop: Header=BB216_1066 Depth=1
	v_mov_b32_e32 v10, v9
	v_mov_b32_e32 v23, v11
	v_cmp_ne_u32_sdwa s4, v101, v100 src0_sel:BYTE_3 src1_sel:DWORD
	v_mov_b32_e32 v22, v10
	s_and_saveexec_b32 s15, s4
	s_cbranch_execz .LBB216_1846
; %bb.1841:                             ;   in Loop: Header=BB216_1066 Depth=1
	v_mov_b32_e32 v12, v9
	v_mov_b32_e32 v23, v13
	v_bfe_u32 v103, v101, 24, 7
	s_mov_b32 s16, exec_lo
	v_mov_b32_e32 v22, v12
	v_cmpx_ne_u32_e32 0x7f, v103
	s_cbranch_execz .LBB216_1845
; %bb.1842:                             ;   in Loop: Header=BB216_1066 Depth=1
	v_mov_b32_e32 v8, 7
	v_lshrrev_b32_e32 v10, 3, v103
	s_mov_b32 s17, exec_lo
	v_and_b32_sdwa v8, v101, v8 dst_sel:DWORD dst_unused:UNUSED_PAD src0_sel:BYTE_3 src1_sel:DWORD
	v_cmpx_gt_u32_e32 8, v103
; %bb.1843:                             ;   in Loop: Header=BB216_1066 Depth=1
	v_ffbh_u32_e32 v10, v8
	v_min_u32_e32 v10, 32, v10
	v_subrev_nc_u32_e32 v12, 28, v10
	v_sub_nc_u32_e32 v10, 29, v10
	v_lshlrev_b64 v[22:23], v12, v[8:9]
	v_and_b32_e32 v8, 7, v22
; %bb.1844:                             ;   in Loop: Header=BB216_1066 Depth=1
	s_or_b32 exec_lo, exec_lo, s17
	v_mov_b32_e32 v12, 24
	v_lshlrev_b32_e32 v8, 20, v8
	v_lshl_add_u32 v10, v10, 23, 0x3c000000
	v_mov_b32_e32 v22, v9
	v_lshlrev_b32_sdwa v12, v12, v101 dst_sel:DWORD dst_unused:UNUSED_PAD src0_sel:DWORD src1_sel:BYTE_3
	v_and_b32_e32 v12, 0x80000000, v12
	v_or3_b32 v23, v8, v12, v10
.LBB216_1845:                           ;   in Loop: Header=BB216_1066 Depth=1
	s_or_b32 exec_lo, exec_lo, s16
.LBB216_1846:                           ;   in Loop: Header=BB216_1066 Depth=1
	s_or_b32 exec_lo, exec_lo, s15
.LBB216_1847:                           ;   in Loop: Header=BB216_1066 Depth=1
	s_or_b32 exec_lo, exec_lo, s13
	v_or_b32_e32 v8, v21, v19
	v_or_b32_e32 v10, v20, v18
	;; [unrolled: 1-line block ×4, first 2 shown]
	v_mul_f32_e32 v118, v119, v8
	v_mul_f32_e32 v117, v119, v10
	;; [unrolled: 1-line block ×4, first 2 shown]
	s_and_saveexec_b32 s13, vcc_lo
	s_cbranch_execz .LBB216_1849
; %bb.1848:                             ;   in Loop: Header=BB216_1066 Depth=1
	v_cmp_lt_i32_e64 s4, v40, v27
	v_cndmask_b32_e64 v117, 0, v117, s4
	v_cmp_lt_i32_e64 s4, v43, v27
	v_cndmask_b32_e64 v118, 0, v118, s4
	;; [unrolled: 2-line block ×4, first 2 shown]
.LBB216_1849:                           ;   in Loop: Header=BB216_1066 Depth=1
	s_or_b32 exec_lo, exec_lo, s13
	flat_load_dword v101, v[4:5] offset:896
	v_mov_b32_e32 v20, 0
	v_mov_b32_e32 v18, 0
	;; [unrolled: 1-line block ×4, first 2 shown]
	s_waitcnt vmcnt(0) lgkmcnt(0)
	v_cmp_ne_u16_sdwa s4, v101, v9 src0_sel:BYTE_0 src1_sel:DWORD
	s_and_saveexec_b32 s13, s4
	s_cbranch_execz .LBB216_1857
; %bb.1850:                             ;   in Loop: Header=BB216_1066 Depth=1
	v_bfrev_b32_e32 v18, 1
	v_mov_b32_e32 v19, 0
	v_cmp_ne_u16_sdwa s4, v101, v100 src0_sel:BYTE_0 src1_sel:DWORD
	s_and_saveexec_b32 s15, s4
	s_cbranch_execz .LBB216_1856
; %bb.1851:                             ;   in Loop: Header=BB216_1066 Depth=1
	v_mov_b32_e32 v18, 0x7f800001
	v_and_b32_e32 v12, 0x7f, v101
	v_mov_b32_e32 v19, 0
	s_mov_b32 s16, exec_lo
	v_cmpx_ne_u32_e32 0x7f, v12
	s_cbranch_execz .LBB216_1855
; %bb.1852:                             ;   in Loop: Header=BB216_1066 Depth=1
	v_and_b32_e32 v8, 7, v101
	v_lshrrev_b32_e32 v10, 3, v12
	s_mov_b32 s17, exec_lo
	v_cmpx_gt_u32_e32 8, v12
; %bb.1853:                             ;   in Loop: Header=BB216_1066 Depth=1
	v_ffbh_u32_e32 v10, v8
	v_min_u32_e32 v10, 32, v10
	v_subrev_nc_u32_e32 v12, 28, v10
	v_sub_nc_u32_e32 v10, 29, v10
	v_lshlrev_b64 v[18:19], v12, v[8:9]
	v_and_b32_e32 v8, 7, v18
; %bb.1854:                             ;   in Loop: Header=BB216_1066 Depth=1
	s_or_b32 exec_lo, exec_lo, s17
	v_lshlrev_b32_e32 v12, 24, v101
	v_lshlrev_b32_e32 v8, 20, v8
	v_lshl_add_u32 v10, v10, 23, 0x3c000000
	v_and_b32_e32 v12, 0x80000000, v12
	v_or3_b32 v8, v8, v12, v10
	v_mov_b32_e32 v19, v9
	v_mov_b32_e32 v18, v8
.LBB216_1855:                           ;   in Loop: Header=BB216_1066 Depth=1
	s_or_b32 exec_lo, exec_lo, s16
.LBB216_1856:                           ;   in Loop: Header=BB216_1066 Depth=1
	s_or_b32 exec_lo, exec_lo, s15
.LBB216_1857:                           ;   in Loop: Header=BB216_1066 Depth=1
	s_or_b32 exec_lo, exec_lo, s13
	v_cmp_ne_u16_sdwa s4, v101, v9 src0_sel:BYTE_1 src1_sel:DWORD
	s_and_saveexec_b32 s13, s4
	s_cbranch_execz .LBB216_1865
; %bb.1858:                             ;   in Loop: Header=BB216_1066 Depth=1
	v_mov_b32_e32 v10, v9
	v_mov_b32_e32 v21, v11
	v_cmp_ne_u16_sdwa s4, v101, v100 src0_sel:BYTE_1 src1_sel:DWORD
	v_mov_b32_e32 v20, v10
	s_and_saveexec_b32 s15, s4
	s_cbranch_execz .LBB216_1864
; %bb.1859:                             ;   in Loop: Header=BB216_1066 Depth=1
	v_mov_b32_e32 v8, 0xffff
	v_mov_b32_e32 v12, v9
	;; [unrolled: 1-line block ×3, first 2 shown]
	s_mov_b32 s16, exec_lo
	v_and_b32_sdwa v8, v8, v101 dst_sel:DWORD dst_unused:UNUSED_PAD src0_sel:DWORD src1_sel:BYTE_1
	v_mov_b32_e32 v20, v12
	v_and_b32_e32 v22, 0x7f, v8
	v_cmpx_ne_u32_e32 0x7f, v22
	s_cbranch_execz .LBB216_1863
; %bb.1860:                             ;   in Loop: Header=BB216_1066 Depth=1
	v_and_b32_e32 v8, 7, v8
	v_lshrrev_b32_e32 v10, 3, v22
	s_mov_b32 s17, exec_lo
	v_cmpx_gt_u32_e32 8, v22
; %bb.1861:                             ;   in Loop: Header=BB216_1066 Depth=1
	v_ffbh_u32_e32 v10, v8
	v_min_u32_e32 v10, 32, v10
	v_subrev_nc_u32_e32 v12, 28, v10
	v_sub_nc_u32_e32 v10, 29, v10
	v_lshlrev_b64 v[20:21], v12, v[8:9]
	v_and_b32_e32 v8, 7, v20
; %bb.1862:                             ;   in Loop: Header=BB216_1066 Depth=1
	s_or_b32 exec_lo, exec_lo, s17
	v_lshlrev_b32_e32 v12, 16, v101
	v_lshlrev_b32_e32 v8, 20, v8
	v_lshl_add_u32 v10, v10, 23, 0x3c000000
	v_mov_b32_e32 v20, v9
	v_and_b32_e32 v12, 0x80000000, v12
	v_or3_b32 v21, v8, v12, v10
.LBB216_1863:                           ;   in Loop: Header=BB216_1066 Depth=1
	s_or_b32 exec_lo, exec_lo, s16
.LBB216_1864:                           ;   in Loop: Header=BB216_1066 Depth=1
	s_or_b32 exec_lo, exec_lo, s15
.LBB216_1865:                           ;   in Loop: Header=BB216_1066 Depth=1
	s_or_b32 exec_lo, exec_lo, s13
	v_mov_b32_e32 v22, 0
	v_mov_b32_e32 v24, 0
	v_and_b32_sdwa v8, v101, v102 dst_sel:DWORD dst_unused:UNUSED_PAD src0_sel:WORD_1 src1_sel:DWORD
	v_mov_b32_e32 v23, 0
	v_mov_b32_e32 v25, 0
	s_mov_b32 s13, exec_lo
	v_cmpx_ne_u16_e32 0, v8
	s_cbranch_execz .LBB216_1873
; %bb.1866:                             ;   in Loop: Header=BB216_1066 Depth=1
	v_bfrev_b32_e32 v24, 1
	v_mov_b32_e32 v25, 0
	s_mov_b32 s15, exec_lo
	v_cmpx_ne_u16_e32 0x80, v8
	s_cbranch_execz .LBB216_1872
; %bb.1867:                             ;   in Loop: Header=BB216_1066 Depth=1
	v_mov_b32_e32 v24, 0x7f800001
	v_bfe_u32 v12, v101, 16, 7
	v_mov_b32_e32 v25, 0
	s_mov_b32 s16, exec_lo
	v_cmpx_ne_u32_e32 0x7f, v12
	s_cbranch_execz .LBB216_1871
; %bb.1868:                             ;   in Loop: Header=BB216_1066 Depth=1
	v_mov_b32_e32 v8, 7
	v_lshrrev_b32_e32 v10, 3, v12
	s_mov_b32 s17, exec_lo
	v_and_b32_sdwa v8, v101, v8 dst_sel:DWORD dst_unused:UNUSED_PAD src0_sel:WORD_1 src1_sel:DWORD
	v_cmpx_gt_u32_e32 8, v12
; %bb.1869:                             ;   in Loop: Header=BB216_1066 Depth=1
	v_ffbh_u32_e32 v10, v8
	v_min_u32_e32 v10, 32, v10
	v_subrev_nc_u32_e32 v12, 28, v10
	v_sub_nc_u32_e32 v10, 29, v10
	v_lshlrev_b64 v[24:25], v12, v[8:9]
	v_and_b32_e32 v8, 7, v24
; %bb.1870:                             ;   in Loop: Header=BB216_1066 Depth=1
	s_or_b32 exec_lo, exec_lo, s17
	v_mov_b32_e32 v12, 24
	v_lshlrev_b32_e32 v8, 20, v8
	v_lshl_add_u32 v10, v10, 23, 0x3c000000
	v_lshlrev_b32_sdwa v12, v12, v101 dst_sel:DWORD dst_unused:UNUSED_PAD src0_sel:DWORD src1_sel:WORD_1
	v_and_b32_e32 v12, 0x80000000, v12
	v_or3_b32 v8, v8, v12, v10
	v_mov_b32_e32 v25, v9
	v_mov_b32_e32 v24, v8
.LBB216_1871:                           ;   in Loop: Header=BB216_1066 Depth=1
	s_or_b32 exec_lo, exec_lo, s16
.LBB216_1872:                           ;   in Loop: Header=BB216_1066 Depth=1
	s_or_b32 exec_lo, exec_lo, s15
.LBB216_1873:                           ;   in Loop: Header=BB216_1066 Depth=1
	s_or_b32 exec_lo, exec_lo, s13
	s_mov_b32 s13, exec_lo
	v_cmpx_lt_u32_e32 0xffffff, v101
	s_cbranch_execz .LBB216_1881
; %bb.1874:                             ;   in Loop: Header=BB216_1066 Depth=1
	v_mov_b32_e32 v10, v9
	v_mov_b32_e32 v23, v11
	v_cmp_ne_u32_sdwa s4, v101, v100 src0_sel:BYTE_3 src1_sel:DWORD
	v_mov_b32_e32 v22, v10
	s_and_saveexec_b32 s15, s4
	s_cbranch_execz .LBB216_1880
; %bb.1875:                             ;   in Loop: Header=BB216_1066 Depth=1
	v_mov_b32_e32 v12, v9
	v_mov_b32_e32 v23, v13
	v_bfe_u32 v103, v101, 24, 7
	s_mov_b32 s16, exec_lo
	v_mov_b32_e32 v22, v12
	v_cmpx_ne_u32_e32 0x7f, v103
	s_cbranch_execz .LBB216_1879
; %bb.1876:                             ;   in Loop: Header=BB216_1066 Depth=1
	v_mov_b32_e32 v8, 7
	v_lshrrev_b32_e32 v10, 3, v103
	s_mov_b32 s17, exec_lo
	v_and_b32_sdwa v8, v101, v8 dst_sel:DWORD dst_unused:UNUSED_PAD src0_sel:BYTE_3 src1_sel:DWORD
	v_cmpx_gt_u32_e32 8, v103
; %bb.1877:                             ;   in Loop: Header=BB216_1066 Depth=1
	v_ffbh_u32_e32 v10, v8
	v_min_u32_e32 v10, 32, v10
	v_subrev_nc_u32_e32 v12, 28, v10
	v_sub_nc_u32_e32 v10, 29, v10
	v_lshlrev_b64 v[22:23], v12, v[8:9]
	v_and_b32_e32 v8, 7, v22
; %bb.1878:                             ;   in Loop: Header=BB216_1066 Depth=1
	s_or_b32 exec_lo, exec_lo, s17
	v_mov_b32_e32 v12, 24
	v_lshlrev_b32_e32 v8, 20, v8
	v_lshl_add_u32 v10, v10, 23, 0x3c000000
	v_mov_b32_e32 v22, v9
	v_lshlrev_b32_sdwa v12, v12, v101 dst_sel:DWORD dst_unused:UNUSED_PAD src0_sel:DWORD src1_sel:BYTE_3
	v_and_b32_e32 v12, 0x80000000, v12
	v_or3_b32 v23, v8, v12, v10
.LBB216_1879:                           ;   in Loop: Header=BB216_1066 Depth=1
	s_or_b32 exec_lo, exec_lo, s16
.LBB216_1880:                           ;   in Loop: Header=BB216_1066 Depth=1
	s_or_b32 exec_lo, exec_lo, s15
.LBB216_1881:                           ;   in Loop: Header=BB216_1066 Depth=1
	s_or_b32 exec_lo, exec_lo, s13
	v_or_b32_e32 v8, v21, v19
	v_or_b32_e32 v10, v20, v18
	;; [unrolled: 1-line block ×4, first 2 shown]
	v_mul_f32_e32 v56, v119, v8
	v_mul_f32_e32 v46, v119, v10
	;; [unrolled: 1-line block ×4, first 2 shown]
	s_and_saveexec_b32 s13, vcc_lo
	s_cbranch_execz .LBB216_1883
; %bb.1882:                             ;   in Loop: Header=BB216_1066 Depth=1
	v_cmp_lt_i32_e64 s4, v40, v27
	v_cndmask_b32_e64 v46, 0, v46, s4
	v_cmp_lt_i32_e64 s4, v43, v27
	v_cndmask_b32_e64 v56, 0, v56, s4
	;; [unrolled: 2-line block ×4, first 2 shown]
.LBB216_1883:                           ;   in Loop: Header=BB216_1066 Depth=1
	s_or_b32 exec_lo, exec_lo, s13
	flat_load_dword v101, v[4:5] offset:1024
	v_mov_b32_e32 v20, 0
	v_mov_b32_e32 v18, 0
	;; [unrolled: 1-line block ×4, first 2 shown]
	s_waitcnt vmcnt(0) lgkmcnt(0)
	v_cmp_ne_u16_sdwa s4, v101, v9 src0_sel:BYTE_0 src1_sel:DWORD
	s_and_saveexec_b32 s13, s4
	s_cbranch_execz .LBB216_1891
; %bb.1884:                             ;   in Loop: Header=BB216_1066 Depth=1
	v_bfrev_b32_e32 v18, 1
	v_mov_b32_e32 v19, 0
	v_cmp_ne_u16_sdwa s4, v101, v100 src0_sel:BYTE_0 src1_sel:DWORD
	s_and_saveexec_b32 s15, s4
	s_cbranch_execz .LBB216_1890
; %bb.1885:                             ;   in Loop: Header=BB216_1066 Depth=1
	v_mov_b32_e32 v18, 0x7f800001
	v_and_b32_e32 v12, 0x7f, v101
	v_mov_b32_e32 v19, 0
	s_mov_b32 s16, exec_lo
	v_cmpx_ne_u32_e32 0x7f, v12
	s_cbranch_execz .LBB216_1889
; %bb.1886:                             ;   in Loop: Header=BB216_1066 Depth=1
	v_and_b32_e32 v8, 7, v101
	v_lshrrev_b32_e32 v10, 3, v12
	s_mov_b32 s17, exec_lo
	v_cmpx_gt_u32_e32 8, v12
; %bb.1887:                             ;   in Loop: Header=BB216_1066 Depth=1
	v_ffbh_u32_e32 v10, v8
	v_min_u32_e32 v10, 32, v10
	v_subrev_nc_u32_e32 v12, 28, v10
	v_sub_nc_u32_e32 v10, 29, v10
	v_lshlrev_b64 v[18:19], v12, v[8:9]
	v_and_b32_e32 v8, 7, v18
; %bb.1888:                             ;   in Loop: Header=BB216_1066 Depth=1
	s_or_b32 exec_lo, exec_lo, s17
	v_lshlrev_b32_e32 v12, 24, v101
	v_lshlrev_b32_e32 v8, 20, v8
	v_lshl_add_u32 v10, v10, 23, 0x3c000000
	v_and_b32_e32 v12, 0x80000000, v12
	v_or3_b32 v8, v8, v12, v10
	v_mov_b32_e32 v19, v9
	v_mov_b32_e32 v18, v8
.LBB216_1889:                           ;   in Loop: Header=BB216_1066 Depth=1
	s_or_b32 exec_lo, exec_lo, s16
.LBB216_1890:                           ;   in Loop: Header=BB216_1066 Depth=1
	s_or_b32 exec_lo, exec_lo, s15
.LBB216_1891:                           ;   in Loop: Header=BB216_1066 Depth=1
	s_or_b32 exec_lo, exec_lo, s13
	v_cmp_ne_u16_sdwa s4, v101, v9 src0_sel:BYTE_1 src1_sel:DWORD
	s_and_saveexec_b32 s13, s4
	s_cbranch_execz .LBB216_1899
; %bb.1892:                             ;   in Loop: Header=BB216_1066 Depth=1
	v_mov_b32_e32 v10, v9
	v_mov_b32_e32 v21, v11
	v_cmp_ne_u16_sdwa s4, v101, v100 src0_sel:BYTE_1 src1_sel:DWORD
	v_mov_b32_e32 v20, v10
	s_and_saveexec_b32 s15, s4
	s_cbranch_execz .LBB216_1898
; %bb.1893:                             ;   in Loop: Header=BB216_1066 Depth=1
	v_mov_b32_e32 v8, 0xffff
	v_mov_b32_e32 v12, v9
	;; [unrolled: 1-line block ×3, first 2 shown]
	s_mov_b32 s16, exec_lo
	v_and_b32_sdwa v8, v8, v101 dst_sel:DWORD dst_unused:UNUSED_PAD src0_sel:DWORD src1_sel:BYTE_1
	v_mov_b32_e32 v20, v12
	v_and_b32_e32 v22, 0x7f, v8
	v_cmpx_ne_u32_e32 0x7f, v22
	s_cbranch_execz .LBB216_1897
; %bb.1894:                             ;   in Loop: Header=BB216_1066 Depth=1
	v_and_b32_e32 v8, 7, v8
	v_lshrrev_b32_e32 v10, 3, v22
	s_mov_b32 s17, exec_lo
	v_cmpx_gt_u32_e32 8, v22
; %bb.1895:                             ;   in Loop: Header=BB216_1066 Depth=1
	v_ffbh_u32_e32 v10, v8
	v_min_u32_e32 v10, 32, v10
	v_subrev_nc_u32_e32 v12, 28, v10
	v_sub_nc_u32_e32 v10, 29, v10
	v_lshlrev_b64 v[20:21], v12, v[8:9]
	v_and_b32_e32 v8, 7, v20
; %bb.1896:                             ;   in Loop: Header=BB216_1066 Depth=1
	s_or_b32 exec_lo, exec_lo, s17
	v_lshlrev_b32_e32 v12, 16, v101
	v_lshlrev_b32_e32 v8, 20, v8
	v_lshl_add_u32 v10, v10, 23, 0x3c000000
	v_mov_b32_e32 v20, v9
	v_and_b32_e32 v12, 0x80000000, v12
	v_or3_b32 v21, v8, v12, v10
.LBB216_1897:                           ;   in Loop: Header=BB216_1066 Depth=1
	s_or_b32 exec_lo, exec_lo, s16
.LBB216_1898:                           ;   in Loop: Header=BB216_1066 Depth=1
	s_or_b32 exec_lo, exec_lo, s15
.LBB216_1899:                           ;   in Loop: Header=BB216_1066 Depth=1
	s_or_b32 exec_lo, exec_lo, s13
	v_mov_b32_e32 v22, 0
	v_mov_b32_e32 v24, 0
	v_and_b32_sdwa v8, v101, v102 dst_sel:DWORD dst_unused:UNUSED_PAD src0_sel:WORD_1 src1_sel:DWORD
	v_mov_b32_e32 v23, 0
	v_mov_b32_e32 v25, 0
	s_mov_b32 s13, exec_lo
	v_cmpx_ne_u16_e32 0, v8
	s_cbranch_execz .LBB216_1907
; %bb.1900:                             ;   in Loop: Header=BB216_1066 Depth=1
	v_bfrev_b32_e32 v24, 1
	v_mov_b32_e32 v25, 0
	s_mov_b32 s15, exec_lo
	v_cmpx_ne_u16_e32 0x80, v8
	s_cbranch_execz .LBB216_1906
; %bb.1901:                             ;   in Loop: Header=BB216_1066 Depth=1
	v_mov_b32_e32 v24, 0x7f800001
	v_bfe_u32 v12, v101, 16, 7
	v_mov_b32_e32 v25, 0
	s_mov_b32 s16, exec_lo
	v_cmpx_ne_u32_e32 0x7f, v12
	s_cbranch_execz .LBB216_1905
; %bb.1902:                             ;   in Loop: Header=BB216_1066 Depth=1
	v_mov_b32_e32 v8, 7
	v_lshrrev_b32_e32 v10, 3, v12
	s_mov_b32 s17, exec_lo
	v_and_b32_sdwa v8, v101, v8 dst_sel:DWORD dst_unused:UNUSED_PAD src0_sel:WORD_1 src1_sel:DWORD
	v_cmpx_gt_u32_e32 8, v12
; %bb.1903:                             ;   in Loop: Header=BB216_1066 Depth=1
	v_ffbh_u32_e32 v10, v8
	v_min_u32_e32 v10, 32, v10
	v_subrev_nc_u32_e32 v12, 28, v10
	v_sub_nc_u32_e32 v10, 29, v10
	v_lshlrev_b64 v[24:25], v12, v[8:9]
	v_and_b32_e32 v8, 7, v24
; %bb.1904:                             ;   in Loop: Header=BB216_1066 Depth=1
	s_or_b32 exec_lo, exec_lo, s17
	v_mov_b32_e32 v12, 24
	v_lshlrev_b32_e32 v8, 20, v8
	v_lshl_add_u32 v10, v10, 23, 0x3c000000
	v_lshlrev_b32_sdwa v12, v12, v101 dst_sel:DWORD dst_unused:UNUSED_PAD src0_sel:DWORD src1_sel:WORD_1
	v_and_b32_e32 v12, 0x80000000, v12
	v_or3_b32 v8, v8, v12, v10
	v_mov_b32_e32 v25, v9
	v_mov_b32_e32 v24, v8
.LBB216_1905:                           ;   in Loop: Header=BB216_1066 Depth=1
	s_or_b32 exec_lo, exec_lo, s16
.LBB216_1906:                           ;   in Loop: Header=BB216_1066 Depth=1
	s_or_b32 exec_lo, exec_lo, s15
.LBB216_1907:                           ;   in Loop: Header=BB216_1066 Depth=1
	s_or_b32 exec_lo, exec_lo, s13
	s_mov_b32 s13, exec_lo
	v_cmpx_lt_u32_e32 0xffffff, v101
	s_cbranch_execz .LBB216_1915
; %bb.1908:                             ;   in Loop: Header=BB216_1066 Depth=1
	v_mov_b32_e32 v10, v9
	v_mov_b32_e32 v23, v11
	v_cmp_ne_u32_sdwa s4, v101, v100 src0_sel:BYTE_3 src1_sel:DWORD
	v_mov_b32_e32 v22, v10
	s_and_saveexec_b32 s15, s4
	s_cbranch_execz .LBB216_1914
; %bb.1909:                             ;   in Loop: Header=BB216_1066 Depth=1
	v_mov_b32_e32 v12, v9
	v_mov_b32_e32 v23, v13
	v_bfe_u32 v103, v101, 24, 7
	s_mov_b32 s16, exec_lo
	v_mov_b32_e32 v22, v12
	v_cmpx_ne_u32_e32 0x7f, v103
	s_cbranch_execz .LBB216_1913
; %bb.1910:                             ;   in Loop: Header=BB216_1066 Depth=1
	v_mov_b32_e32 v8, 7
	v_lshrrev_b32_e32 v10, 3, v103
	s_mov_b32 s17, exec_lo
	v_and_b32_sdwa v8, v101, v8 dst_sel:DWORD dst_unused:UNUSED_PAD src0_sel:BYTE_3 src1_sel:DWORD
	v_cmpx_gt_u32_e32 8, v103
; %bb.1911:                             ;   in Loop: Header=BB216_1066 Depth=1
	v_ffbh_u32_e32 v10, v8
	v_min_u32_e32 v10, 32, v10
	v_subrev_nc_u32_e32 v12, 28, v10
	v_sub_nc_u32_e32 v10, 29, v10
	v_lshlrev_b64 v[22:23], v12, v[8:9]
	v_and_b32_e32 v8, 7, v22
; %bb.1912:                             ;   in Loop: Header=BB216_1066 Depth=1
	s_or_b32 exec_lo, exec_lo, s17
	v_mov_b32_e32 v12, 24
	v_lshlrev_b32_e32 v8, 20, v8
	v_lshl_add_u32 v10, v10, 23, 0x3c000000
	v_mov_b32_e32 v22, v9
	v_lshlrev_b32_sdwa v12, v12, v101 dst_sel:DWORD dst_unused:UNUSED_PAD src0_sel:DWORD src1_sel:BYTE_3
	v_and_b32_e32 v12, 0x80000000, v12
	v_or3_b32 v23, v8, v12, v10
.LBB216_1913:                           ;   in Loop: Header=BB216_1066 Depth=1
	s_or_b32 exec_lo, exec_lo, s16
.LBB216_1914:                           ;   in Loop: Header=BB216_1066 Depth=1
	s_or_b32 exec_lo, exec_lo, s15
.LBB216_1915:                           ;   in Loop: Header=BB216_1066 Depth=1
	s_or_b32 exec_lo, exec_lo, s13
	v_or_b32_e32 v8, v21, v19
	v_or_b32_e32 v10, v20, v18
	;; [unrolled: 1-line block ×4, first 2 shown]
	v_mul_f32_e32 v60, v119, v8
	v_mul_f32_e32 v59, v119, v10
	;; [unrolled: 1-line block ×4, first 2 shown]
	s_and_saveexec_b32 s13, vcc_lo
	s_cbranch_execz .LBB216_1917
; %bb.1916:                             ;   in Loop: Header=BB216_1066 Depth=1
	v_cmp_lt_i32_e64 s4, v40, v27
	v_cndmask_b32_e64 v59, 0, v59, s4
	v_cmp_lt_i32_e64 s4, v43, v27
	v_cndmask_b32_e64 v60, 0, v60, s4
	v_cmp_lt_i32_e64 s4, v42, v27
	v_cndmask_b32_e64 v58, 0, v58, s4
	v_cmp_lt_i32_e64 s4, v41, v27
	v_cndmask_b32_e64 v57, 0, v57, s4
.LBB216_1917:                           ;   in Loop: Header=BB216_1066 Depth=1
	s_or_b32 exec_lo, exec_lo, s13
	flat_load_dword v101, v[4:5] offset:1152
	v_mov_b32_e32 v20, 0
	v_mov_b32_e32 v18, 0
	;; [unrolled: 1-line block ×4, first 2 shown]
	s_waitcnt vmcnt(0) lgkmcnt(0)
	v_cmp_ne_u16_sdwa s4, v101, v9 src0_sel:BYTE_0 src1_sel:DWORD
	s_and_saveexec_b32 s13, s4
	s_cbranch_execz .LBB216_1925
; %bb.1918:                             ;   in Loop: Header=BB216_1066 Depth=1
	v_bfrev_b32_e32 v18, 1
	v_mov_b32_e32 v19, 0
	v_cmp_ne_u16_sdwa s4, v101, v100 src0_sel:BYTE_0 src1_sel:DWORD
	s_and_saveexec_b32 s15, s4
	s_cbranch_execz .LBB216_1924
; %bb.1919:                             ;   in Loop: Header=BB216_1066 Depth=1
	v_mov_b32_e32 v18, 0x7f800001
	v_and_b32_e32 v12, 0x7f, v101
	v_mov_b32_e32 v19, 0
	s_mov_b32 s16, exec_lo
	v_cmpx_ne_u32_e32 0x7f, v12
	s_cbranch_execz .LBB216_1923
; %bb.1920:                             ;   in Loop: Header=BB216_1066 Depth=1
	v_and_b32_e32 v8, 7, v101
	v_lshrrev_b32_e32 v10, 3, v12
	s_mov_b32 s17, exec_lo
	v_cmpx_gt_u32_e32 8, v12
; %bb.1921:                             ;   in Loop: Header=BB216_1066 Depth=1
	v_ffbh_u32_e32 v10, v8
	v_min_u32_e32 v10, 32, v10
	v_subrev_nc_u32_e32 v12, 28, v10
	v_sub_nc_u32_e32 v10, 29, v10
	v_lshlrev_b64 v[18:19], v12, v[8:9]
	v_and_b32_e32 v8, 7, v18
; %bb.1922:                             ;   in Loop: Header=BB216_1066 Depth=1
	s_or_b32 exec_lo, exec_lo, s17
	v_lshlrev_b32_e32 v12, 24, v101
	v_lshlrev_b32_e32 v8, 20, v8
	v_lshl_add_u32 v10, v10, 23, 0x3c000000
	v_and_b32_e32 v12, 0x80000000, v12
	v_or3_b32 v8, v8, v12, v10
	v_mov_b32_e32 v19, v9
	v_mov_b32_e32 v18, v8
.LBB216_1923:                           ;   in Loop: Header=BB216_1066 Depth=1
	s_or_b32 exec_lo, exec_lo, s16
.LBB216_1924:                           ;   in Loop: Header=BB216_1066 Depth=1
	s_or_b32 exec_lo, exec_lo, s15
.LBB216_1925:                           ;   in Loop: Header=BB216_1066 Depth=1
	s_or_b32 exec_lo, exec_lo, s13
	v_cmp_ne_u16_sdwa s4, v101, v9 src0_sel:BYTE_1 src1_sel:DWORD
	s_and_saveexec_b32 s13, s4
	s_cbranch_execz .LBB216_1933
; %bb.1926:                             ;   in Loop: Header=BB216_1066 Depth=1
	v_mov_b32_e32 v10, v9
	v_mov_b32_e32 v21, v11
	v_cmp_ne_u16_sdwa s4, v101, v100 src0_sel:BYTE_1 src1_sel:DWORD
	v_mov_b32_e32 v20, v10
	s_and_saveexec_b32 s15, s4
	s_cbranch_execz .LBB216_1932
; %bb.1927:                             ;   in Loop: Header=BB216_1066 Depth=1
	v_mov_b32_e32 v8, 0xffff
	v_mov_b32_e32 v12, v9
	;; [unrolled: 1-line block ×3, first 2 shown]
	s_mov_b32 s16, exec_lo
	v_and_b32_sdwa v8, v8, v101 dst_sel:DWORD dst_unused:UNUSED_PAD src0_sel:DWORD src1_sel:BYTE_1
	v_mov_b32_e32 v20, v12
	v_and_b32_e32 v22, 0x7f, v8
	v_cmpx_ne_u32_e32 0x7f, v22
	s_cbranch_execz .LBB216_1931
; %bb.1928:                             ;   in Loop: Header=BB216_1066 Depth=1
	v_and_b32_e32 v8, 7, v8
	v_lshrrev_b32_e32 v10, 3, v22
	s_mov_b32 s17, exec_lo
	v_cmpx_gt_u32_e32 8, v22
; %bb.1929:                             ;   in Loop: Header=BB216_1066 Depth=1
	v_ffbh_u32_e32 v10, v8
	v_min_u32_e32 v10, 32, v10
	v_subrev_nc_u32_e32 v12, 28, v10
	v_sub_nc_u32_e32 v10, 29, v10
	v_lshlrev_b64 v[20:21], v12, v[8:9]
	v_and_b32_e32 v8, 7, v20
; %bb.1930:                             ;   in Loop: Header=BB216_1066 Depth=1
	s_or_b32 exec_lo, exec_lo, s17
	v_lshlrev_b32_e32 v12, 16, v101
	v_lshlrev_b32_e32 v8, 20, v8
	v_lshl_add_u32 v10, v10, 23, 0x3c000000
	v_mov_b32_e32 v20, v9
	v_and_b32_e32 v12, 0x80000000, v12
	v_or3_b32 v21, v8, v12, v10
.LBB216_1931:                           ;   in Loop: Header=BB216_1066 Depth=1
	s_or_b32 exec_lo, exec_lo, s16
.LBB216_1932:                           ;   in Loop: Header=BB216_1066 Depth=1
	s_or_b32 exec_lo, exec_lo, s15
.LBB216_1933:                           ;   in Loop: Header=BB216_1066 Depth=1
	s_or_b32 exec_lo, exec_lo, s13
	v_mov_b32_e32 v22, 0
	v_mov_b32_e32 v24, 0
	v_and_b32_sdwa v8, v101, v102 dst_sel:DWORD dst_unused:UNUSED_PAD src0_sel:WORD_1 src1_sel:DWORD
	v_mov_b32_e32 v23, 0
	v_mov_b32_e32 v25, 0
	s_mov_b32 s13, exec_lo
	v_cmpx_ne_u16_e32 0, v8
	s_cbranch_execz .LBB216_1941
; %bb.1934:                             ;   in Loop: Header=BB216_1066 Depth=1
	v_bfrev_b32_e32 v24, 1
	v_mov_b32_e32 v25, 0
	s_mov_b32 s15, exec_lo
	v_cmpx_ne_u16_e32 0x80, v8
	s_cbranch_execz .LBB216_1940
; %bb.1935:                             ;   in Loop: Header=BB216_1066 Depth=1
	v_mov_b32_e32 v24, 0x7f800001
	v_bfe_u32 v12, v101, 16, 7
	v_mov_b32_e32 v25, 0
	s_mov_b32 s16, exec_lo
	v_cmpx_ne_u32_e32 0x7f, v12
	s_cbranch_execz .LBB216_1939
; %bb.1936:                             ;   in Loop: Header=BB216_1066 Depth=1
	v_mov_b32_e32 v8, 7
	v_lshrrev_b32_e32 v10, 3, v12
	s_mov_b32 s17, exec_lo
	v_and_b32_sdwa v8, v101, v8 dst_sel:DWORD dst_unused:UNUSED_PAD src0_sel:WORD_1 src1_sel:DWORD
	v_cmpx_gt_u32_e32 8, v12
; %bb.1937:                             ;   in Loop: Header=BB216_1066 Depth=1
	v_ffbh_u32_e32 v10, v8
	v_min_u32_e32 v10, 32, v10
	v_subrev_nc_u32_e32 v12, 28, v10
	v_sub_nc_u32_e32 v10, 29, v10
	v_lshlrev_b64 v[24:25], v12, v[8:9]
	v_and_b32_e32 v8, 7, v24
; %bb.1938:                             ;   in Loop: Header=BB216_1066 Depth=1
	s_or_b32 exec_lo, exec_lo, s17
	v_mov_b32_e32 v12, 24
	v_lshlrev_b32_e32 v8, 20, v8
	v_lshl_add_u32 v10, v10, 23, 0x3c000000
	v_lshlrev_b32_sdwa v12, v12, v101 dst_sel:DWORD dst_unused:UNUSED_PAD src0_sel:DWORD src1_sel:WORD_1
	v_and_b32_e32 v12, 0x80000000, v12
	v_or3_b32 v8, v8, v12, v10
	v_mov_b32_e32 v25, v9
	v_mov_b32_e32 v24, v8
.LBB216_1939:                           ;   in Loop: Header=BB216_1066 Depth=1
	s_or_b32 exec_lo, exec_lo, s16
.LBB216_1940:                           ;   in Loop: Header=BB216_1066 Depth=1
	s_or_b32 exec_lo, exec_lo, s15
.LBB216_1941:                           ;   in Loop: Header=BB216_1066 Depth=1
	s_or_b32 exec_lo, exec_lo, s13
	s_mov_b32 s13, exec_lo
	v_cmpx_lt_u32_e32 0xffffff, v101
	s_cbranch_execz .LBB216_1949
; %bb.1942:                             ;   in Loop: Header=BB216_1066 Depth=1
	v_mov_b32_e32 v10, v9
	v_mov_b32_e32 v23, v11
	v_cmp_ne_u32_sdwa s4, v101, v100 src0_sel:BYTE_3 src1_sel:DWORD
	v_mov_b32_e32 v22, v10
	s_and_saveexec_b32 s15, s4
	s_cbranch_execz .LBB216_1948
; %bb.1943:                             ;   in Loop: Header=BB216_1066 Depth=1
	v_mov_b32_e32 v12, v9
	v_mov_b32_e32 v23, v13
	v_bfe_u32 v103, v101, 24, 7
	s_mov_b32 s16, exec_lo
	v_mov_b32_e32 v22, v12
	v_cmpx_ne_u32_e32 0x7f, v103
	s_cbranch_execz .LBB216_1947
; %bb.1944:                             ;   in Loop: Header=BB216_1066 Depth=1
	v_mov_b32_e32 v8, 7
	v_lshrrev_b32_e32 v10, 3, v103
	s_mov_b32 s17, exec_lo
	v_and_b32_sdwa v8, v101, v8 dst_sel:DWORD dst_unused:UNUSED_PAD src0_sel:BYTE_3 src1_sel:DWORD
	v_cmpx_gt_u32_e32 8, v103
; %bb.1945:                             ;   in Loop: Header=BB216_1066 Depth=1
	v_ffbh_u32_e32 v10, v8
	v_min_u32_e32 v10, 32, v10
	v_subrev_nc_u32_e32 v12, 28, v10
	v_sub_nc_u32_e32 v10, 29, v10
	v_lshlrev_b64 v[22:23], v12, v[8:9]
	v_and_b32_e32 v8, 7, v22
; %bb.1946:                             ;   in Loop: Header=BB216_1066 Depth=1
	s_or_b32 exec_lo, exec_lo, s17
	v_mov_b32_e32 v12, 24
	v_lshlrev_b32_e32 v8, 20, v8
	v_lshl_add_u32 v10, v10, 23, 0x3c000000
	v_mov_b32_e32 v22, v9
	v_lshlrev_b32_sdwa v12, v12, v101 dst_sel:DWORD dst_unused:UNUSED_PAD src0_sel:DWORD src1_sel:BYTE_3
	v_and_b32_e32 v12, 0x80000000, v12
	v_or3_b32 v23, v8, v12, v10
.LBB216_1947:                           ;   in Loop: Header=BB216_1066 Depth=1
	s_or_b32 exec_lo, exec_lo, s16
.LBB216_1948:                           ;   in Loop: Header=BB216_1066 Depth=1
	s_or_b32 exec_lo, exec_lo, s15
.LBB216_1949:                           ;   in Loop: Header=BB216_1066 Depth=1
	s_or_b32 exec_lo, exec_lo, s13
	v_or_b32_e32 v8, v21, v19
	v_or_b32_e32 v10, v20, v18
	;; [unrolled: 1-line block ×4, first 2 shown]
	v_mul_f32_e32 v72, v119, v8
	v_mul_f32_e32 v63, v119, v10
	;; [unrolled: 1-line block ×4, first 2 shown]
	s_and_saveexec_b32 s13, vcc_lo
	s_cbranch_execz .LBB216_1951
; %bb.1950:                             ;   in Loop: Header=BB216_1066 Depth=1
	v_cmp_lt_i32_e64 s4, v40, v27
	v_cndmask_b32_e64 v63, 0, v63, s4
	v_cmp_lt_i32_e64 s4, v43, v27
	v_cndmask_b32_e64 v72, 0, v72, s4
	v_cmp_lt_i32_e64 s4, v42, v27
	v_cndmask_b32_e64 v62, 0, v62, s4
	v_cmp_lt_i32_e64 s4, v41, v27
	v_cndmask_b32_e64 v61, 0, v61, s4
.LBB216_1951:                           ;   in Loop: Header=BB216_1066 Depth=1
	s_or_b32 exec_lo, exec_lo, s13
	flat_load_dword v101, v[4:5] offset:1280
	v_mov_b32_e32 v20, 0
	v_mov_b32_e32 v18, 0
	;; [unrolled: 1-line block ×4, first 2 shown]
	s_waitcnt vmcnt(0) lgkmcnt(0)
	v_cmp_ne_u16_sdwa s4, v101, v9 src0_sel:BYTE_0 src1_sel:DWORD
	s_and_saveexec_b32 s13, s4
	s_cbranch_execz .LBB216_1959
; %bb.1952:                             ;   in Loop: Header=BB216_1066 Depth=1
	v_bfrev_b32_e32 v18, 1
	v_mov_b32_e32 v19, 0
	v_cmp_ne_u16_sdwa s4, v101, v100 src0_sel:BYTE_0 src1_sel:DWORD
	s_and_saveexec_b32 s15, s4
	s_cbranch_execz .LBB216_1958
; %bb.1953:                             ;   in Loop: Header=BB216_1066 Depth=1
	v_mov_b32_e32 v18, 0x7f800001
	v_and_b32_e32 v12, 0x7f, v101
	v_mov_b32_e32 v19, 0
	s_mov_b32 s16, exec_lo
	v_cmpx_ne_u32_e32 0x7f, v12
	s_cbranch_execz .LBB216_1957
; %bb.1954:                             ;   in Loop: Header=BB216_1066 Depth=1
	v_and_b32_e32 v8, 7, v101
	v_lshrrev_b32_e32 v10, 3, v12
	s_mov_b32 s17, exec_lo
	v_cmpx_gt_u32_e32 8, v12
; %bb.1955:                             ;   in Loop: Header=BB216_1066 Depth=1
	v_ffbh_u32_e32 v10, v8
	v_min_u32_e32 v10, 32, v10
	v_subrev_nc_u32_e32 v12, 28, v10
	v_sub_nc_u32_e32 v10, 29, v10
	v_lshlrev_b64 v[18:19], v12, v[8:9]
	v_and_b32_e32 v8, 7, v18
; %bb.1956:                             ;   in Loop: Header=BB216_1066 Depth=1
	s_or_b32 exec_lo, exec_lo, s17
	v_lshlrev_b32_e32 v12, 24, v101
	v_lshlrev_b32_e32 v8, 20, v8
	v_lshl_add_u32 v10, v10, 23, 0x3c000000
	v_and_b32_e32 v12, 0x80000000, v12
	v_or3_b32 v8, v8, v12, v10
	v_mov_b32_e32 v19, v9
	v_mov_b32_e32 v18, v8
.LBB216_1957:                           ;   in Loop: Header=BB216_1066 Depth=1
	s_or_b32 exec_lo, exec_lo, s16
.LBB216_1958:                           ;   in Loop: Header=BB216_1066 Depth=1
	s_or_b32 exec_lo, exec_lo, s15
.LBB216_1959:                           ;   in Loop: Header=BB216_1066 Depth=1
	s_or_b32 exec_lo, exec_lo, s13
	v_cmp_ne_u16_sdwa s4, v101, v9 src0_sel:BYTE_1 src1_sel:DWORD
	s_and_saveexec_b32 s13, s4
	s_cbranch_execz .LBB216_1967
; %bb.1960:                             ;   in Loop: Header=BB216_1066 Depth=1
	v_mov_b32_e32 v10, v9
	v_mov_b32_e32 v21, v11
	v_cmp_ne_u16_sdwa s4, v101, v100 src0_sel:BYTE_1 src1_sel:DWORD
	v_mov_b32_e32 v20, v10
	s_and_saveexec_b32 s15, s4
	s_cbranch_execz .LBB216_1966
; %bb.1961:                             ;   in Loop: Header=BB216_1066 Depth=1
	v_mov_b32_e32 v8, 0xffff
	v_mov_b32_e32 v12, v9
	;; [unrolled: 1-line block ×3, first 2 shown]
	s_mov_b32 s16, exec_lo
	v_and_b32_sdwa v8, v8, v101 dst_sel:DWORD dst_unused:UNUSED_PAD src0_sel:DWORD src1_sel:BYTE_1
	v_mov_b32_e32 v20, v12
	v_and_b32_e32 v22, 0x7f, v8
	v_cmpx_ne_u32_e32 0x7f, v22
	s_cbranch_execz .LBB216_1965
; %bb.1962:                             ;   in Loop: Header=BB216_1066 Depth=1
	v_and_b32_e32 v8, 7, v8
	v_lshrrev_b32_e32 v10, 3, v22
	s_mov_b32 s17, exec_lo
	v_cmpx_gt_u32_e32 8, v22
; %bb.1963:                             ;   in Loop: Header=BB216_1066 Depth=1
	v_ffbh_u32_e32 v10, v8
	v_min_u32_e32 v10, 32, v10
	v_subrev_nc_u32_e32 v12, 28, v10
	v_sub_nc_u32_e32 v10, 29, v10
	v_lshlrev_b64 v[20:21], v12, v[8:9]
	v_and_b32_e32 v8, 7, v20
; %bb.1964:                             ;   in Loop: Header=BB216_1066 Depth=1
	s_or_b32 exec_lo, exec_lo, s17
	v_lshlrev_b32_e32 v12, 16, v101
	v_lshlrev_b32_e32 v8, 20, v8
	v_lshl_add_u32 v10, v10, 23, 0x3c000000
	v_mov_b32_e32 v20, v9
	v_and_b32_e32 v12, 0x80000000, v12
	v_or3_b32 v21, v8, v12, v10
.LBB216_1965:                           ;   in Loop: Header=BB216_1066 Depth=1
	s_or_b32 exec_lo, exec_lo, s16
.LBB216_1966:                           ;   in Loop: Header=BB216_1066 Depth=1
	s_or_b32 exec_lo, exec_lo, s15
.LBB216_1967:                           ;   in Loop: Header=BB216_1066 Depth=1
	s_or_b32 exec_lo, exec_lo, s13
	v_mov_b32_e32 v22, 0
	v_mov_b32_e32 v24, 0
	v_and_b32_sdwa v8, v101, v102 dst_sel:DWORD dst_unused:UNUSED_PAD src0_sel:WORD_1 src1_sel:DWORD
	v_mov_b32_e32 v23, 0
	v_mov_b32_e32 v25, 0
	s_mov_b32 s13, exec_lo
	v_cmpx_ne_u16_e32 0, v8
	s_cbranch_execz .LBB216_1975
; %bb.1968:                             ;   in Loop: Header=BB216_1066 Depth=1
	v_bfrev_b32_e32 v24, 1
	v_mov_b32_e32 v25, 0
	s_mov_b32 s15, exec_lo
	v_cmpx_ne_u16_e32 0x80, v8
	s_cbranch_execz .LBB216_1974
; %bb.1969:                             ;   in Loop: Header=BB216_1066 Depth=1
	v_mov_b32_e32 v24, 0x7f800001
	v_bfe_u32 v12, v101, 16, 7
	v_mov_b32_e32 v25, 0
	s_mov_b32 s16, exec_lo
	v_cmpx_ne_u32_e32 0x7f, v12
	s_cbranch_execz .LBB216_1973
; %bb.1970:                             ;   in Loop: Header=BB216_1066 Depth=1
	v_mov_b32_e32 v8, 7
	v_lshrrev_b32_e32 v10, 3, v12
	s_mov_b32 s17, exec_lo
	v_and_b32_sdwa v8, v101, v8 dst_sel:DWORD dst_unused:UNUSED_PAD src0_sel:WORD_1 src1_sel:DWORD
	v_cmpx_gt_u32_e32 8, v12
; %bb.1971:                             ;   in Loop: Header=BB216_1066 Depth=1
	v_ffbh_u32_e32 v10, v8
	v_min_u32_e32 v10, 32, v10
	v_subrev_nc_u32_e32 v12, 28, v10
	v_sub_nc_u32_e32 v10, 29, v10
	v_lshlrev_b64 v[24:25], v12, v[8:9]
	v_and_b32_e32 v8, 7, v24
; %bb.1972:                             ;   in Loop: Header=BB216_1066 Depth=1
	s_or_b32 exec_lo, exec_lo, s17
	v_mov_b32_e32 v12, 24
	v_lshlrev_b32_e32 v8, 20, v8
	v_lshl_add_u32 v10, v10, 23, 0x3c000000
	v_lshlrev_b32_sdwa v12, v12, v101 dst_sel:DWORD dst_unused:UNUSED_PAD src0_sel:DWORD src1_sel:WORD_1
	v_and_b32_e32 v12, 0x80000000, v12
	v_or3_b32 v8, v8, v12, v10
	v_mov_b32_e32 v25, v9
	v_mov_b32_e32 v24, v8
.LBB216_1973:                           ;   in Loop: Header=BB216_1066 Depth=1
	s_or_b32 exec_lo, exec_lo, s16
.LBB216_1974:                           ;   in Loop: Header=BB216_1066 Depth=1
	s_or_b32 exec_lo, exec_lo, s15
.LBB216_1975:                           ;   in Loop: Header=BB216_1066 Depth=1
	s_or_b32 exec_lo, exec_lo, s13
	s_mov_b32 s13, exec_lo
	v_cmpx_lt_u32_e32 0xffffff, v101
	s_cbranch_execz .LBB216_1983
; %bb.1976:                             ;   in Loop: Header=BB216_1066 Depth=1
	v_mov_b32_e32 v10, v9
	v_mov_b32_e32 v23, v11
	v_cmp_ne_u32_sdwa s4, v101, v100 src0_sel:BYTE_3 src1_sel:DWORD
	v_mov_b32_e32 v22, v10
	s_and_saveexec_b32 s15, s4
	s_cbranch_execz .LBB216_1982
; %bb.1977:                             ;   in Loop: Header=BB216_1066 Depth=1
	v_mov_b32_e32 v12, v9
	v_mov_b32_e32 v23, v13
	v_bfe_u32 v103, v101, 24, 7
	s_mov_b32 s16, exec_lo
	v_mov_b32_e32 v22, v12
	v_cmpx_ne_u32_e32 0x7f, v103
	s_cbranch_execz .LBB216_1981
; %bb.1978:                             ;   in Loop: Header=BB216_1066 Depth=1
	v_mov_b32_e32 v8, 7
	v_lshrrev_b32_e32 v10, 3, v103
	s_mov_b32 s17, exec_lo
	v_and_b32_sdwa v8, v101, v8 dst_sel:DWORD dst_unused:UNUSED_PAD src0_sel:BYTE_3 src1_sel:DWORD
	v_cmpx_gt_u32_e32 8, v103
; %bb.1979:                             ;   in Loop: Header=BB216_1066 Depth=1
	v_ffbh_u32_e32 v10, v8
	v_min_u32_e32 v10, 32, v10
	v_subrev_nc_u32_e32 v12, 28, v10
	v_sub_nc_u32_e32 v10, 29, v10
	v_lshlrev_b64 v[22:23], v12, v[8:9]
	v_and_b32_e32 v8, 7, v22
; %bb.1980:                             ;   in Loop: Header=BB216_1066 Depth=1
	s_or_b32 exec_lo, exec_lo, s17
	v_mov_b32_e32 v12, 24
	v_lshlrev_b32_e32 v8, 20, v8
	v_lshl_add_u32 v10, v10, 23, 0x3c000000
	v_mov_b32_e32 v22, v9
	v_lshlrev_b32_sdwa v12, v12, v101 dst_sel:DWORD dst_unused:UNUSED_PAD src0_sel:DWORD src1_sel:BYTE_3
	v_and_b32_e32 v12, 0x80000000, v12
	v_or3_b32 v23, v8, v12, v10
.LBB216_1981:                           ;   in Loop: Header=BB216_1066 Depth=1
	s_or_b32 exec_lo, exec_lo, s16
.LBB216_1982:                           ;   in Loop: Header=BB216_1066 Depth=1
	s_or_b32 exec_lo, exec_lo, s15
.LBB216_1983:                           ;   in Loop: Header=BB216_1066 Depth=1
	s_or_b32 exec_lo, exec_lo, s13
	v_or_b32_e32 v8, v21, v19
	v_or_b32_e32 v10, v20, v18
	;; [unrolled: 1-line block ×4, first 2 shown]
	v_mul_f32_e32 v76, v119, v8
	v_mul_f32_e32 v75, v119, v10
	;; [unrolled: 1-line block ×4, first 2 shown]
	s_and_saveexec_b32 s13, vcc_lo
	s_cbranch_execz .LBB216_1985
; %bb.1984:                             ;   in Loop: Header=BB216_1066 Depth=1
	v_cmp_lt_i32_e64 s4, v40, v27
	v_cndmask_b32_e64 v75, 0, v75, s4
	v_cmp_lt_i32_e64 s4, v43, v27
	v_cndmask_b32_e64 v76, 0, v76, s4
	;; [unrolled: 2-line block ×4, first 2 shown]
.LBB216_1985:                           ;   in Loop: Header=BB216_1066 Depth=1
	s_or_b32 exec_lo, exec_lo, s13
	flat_load_dword v101, v[4:5] offset:1408
	v_mov_b32_e32 v20, 0
	v_mov_b32_e32 v18, 0
	v_mov_b32_e32 v21, 0
	v_mov_b32_e32 v19, 0
	s_waitcnt vmcnt(0) lgkmcnt(0)
	v_cmp_ne_u16_sdwa s4, v101, v9 src0_sel:BYTE_0 src1_sel:DWORD
	s_and_saveexec_b32 s13, s4
	s_cbranch_execz .LBB216_1993
; %bb.1986:                             ;   in Loop: Header=BB216_1066 Depth=1
	v_bfrev_b32_e32 v18, 1
	v_mov_b32_e32 v19, 0
	v_cmp_ne_u16_sdwa s4, v101, v100 src0_sel:BYTE_0 src1_sel:DWORD
	s_and_saveexec_b32 s15, s4
	s_cbranch_execz .LBB216_1992
; %bb.1987:                             ;   in Loop: Header=BB216_1066 Depth=1
	v_mov_b32_e32 v18, 0x7f800001
	v_and_b32_e32 v12, 0x7f, v101
	v_mov_b32_e32 v19, 0
	s_mov_b32 s16, exec_lo
	v_cmpx_ne_u32_e32 0x7f, v12
	s_cbranch_execz .LBB216_1991
; %bb.1988:                             ;   in Loop: Header=BB216_1066 Depth=1
	v_and_b32_e32 v8, 7, v101
	v_lshrrev_b32_e32 v10, 3, v12
	s_mov_b32 s17, exec_lo
	v_cmpx_gt_u32_e32 8, v12
; %bb.1989:                             ;   in Loop: Header=BB216_1066 Depth=1
	v_ffbh_u32_e32 v10, v8
	v_min_u32_e32 v10, 32, v10
	v_subrev_nc_u32_e32 v12, 28, v10
	v_sub_nc_u32_e32 v10, 29, v10
	v_lshlrev_b64 v[18:19], v12, v[8:9]
	v_and_b32_e32 v8, 7, v18
; %bb.1990:                             ;   in Loop: Header=BB216_1066 Depth=1
	s_or_b32 exec_lo, exec_lo, s17
	v_lshlrev_b32_e32 v12, 24, v101
	v_lshlrev_b32_e32 v8, 20, v8
	v_lshl_add_u32 v10, v10, 23, 0x3c000000
	v_and_b32_e32 v12, 0x80000000, v12
	v_or3_b32 v8, v8, v12, v10
	v_mov_b32_e32 v19, v9
	v_mov_b32_e32 v18, v8
.LBB216_1991:                           ;   in Loop: Header=BB216_1066 Depth=1
	s_or_b32 exec_lo, exec_lo, s16
.LBB216_1992:                           ;   in Loop: Header=BB216_1066 Depth=1
	s_or_b32 exec_lo, exec_lo, s15
.LBB216_1993:                           ;   in Loop: Header=BB216_1066 Depth=1
	s_or_b32 exec_lo, exec_lo, s13
	v_cmp_ne_u16_sdwa s4, v101, v9 src0_sel:BYTE_1 src1_sel:DWORD
	s_and_saveexec_b32 s13, s4
	s_cbranch_execz .LBB216_2001
; %bb.1994:                             ;   in Loop: Header=BB216_1066 Depth=1
	v_mov_b32_e32 v10, v9
	v_mov_b32_e32 v21, v11
	v_cmp_ne_u16_sdwa s4, v101, v100 src0_sel:BYTE_1 src1_sel:DWORD
	v_mov_b32_e32 v20, v10
	s_and_saveexec_b32 s15, s4
	s_cbranch_execz .LBB216_2000
; %bb.1995:                             ;   in Loop: Header=BB216_1066 Depth=1
	v_mov_b32_e32 v8, 0xffff
	v_mov_b32_e32 v12, v9
	;; [unrolled: 1-line block ×3, first 2 shown]
	s_mov_b32 s16, exec_lo
	v_and_b32_sdwa v8, v8, v101 dst_sel:DWORD dst_unused:UNUSED_PAD src0_sel:DWORD src1_sel:BYTE_1
	v_mov_b32_e32 v20, v12
	v_and_b32_e32 v22, 0x7f, v8
	v_cmpx_ne_u32_e32 0x7f, v22
	s_cbranch_execz .LBB216_1999
; %bb.1996:                             ;   in Loop: Header=BB216_1066 Depth=1
	v_and_b32_e32 v8, 7, v8
	v_lshrrev_b32_e32 v10, 3, v22
	s_mov_b32 s17, exec_lo
	v_cmpx_gt_u32_e32 8, v22
; %bb.1997:                             ;   in Loop: Header=BB216_1066 Depth=1
	v_ffbh_u32_e32 v10, v8
	v_min_u32_e32 v10, 32, v10
	v_subrev_nc_u32_e32 v12, 28, v10
	v_sub_nc_u32_e32 v10, 29, v10
	v_lshlrev_b64 v[20:21], v12, v[8:9]
	v_and_b32_e32 v8, 7, v20
; %bb.1998:                             ;   in Loop: Header=BB216_1066 Depth=1
	s_or_b32 exec_lo, exec_lo, s17
	v_lshlrev_b32_e32 v12, 16, v101
	v_lshlrev_b32_e32 v8, 20, v8
	v_lshl_add_u32 v10, v10, 23, 0x3c000000
	v_mov_b32_e32 v20, v9
	v_and_b32_e32 v12, 0x80000000, v12
	v_or3_b32 v21, v8, v12, v10
.LBB216_1999:                           ;   in Loop: Header=BB216_1066 Depth=1
	s_or_b32 exec_lo, exec_lo, s16
.LBB216_2000:                           ;   in Loop: Header=BB216_1066 Depth=1
	s_or_b32 exec_lo, exec_lo, s15
.LBB216_2001:                           ;   in Loop: Header=BB216_1066 Depth=1
	s_or_b32 exec_lo, exec_lo, s13
	v_mov_b32_e32 v22, 0
	v_mov_b32_e32 v24, 0
	v_and_b32_sdwa v8, v101, v102 dst_sel:DWORD dst_unused:UNUSED_PAD src0_sel:WORD_1 src1_sel:DWORD
	v_mov_b32_e32 v23, 0
	v_mov_b32_e32 v25, 0
	s_mov_b32 s13, exec_lo
	v_cmpx_ne_u16_e32 0, v8
	s_cbranch_execz .LBB216_2009
; %bb.2002:                             ;   in Loop: Header=BB216_1066 Depth=1
	v_bfrev_b32_e32 v24, 1
	v_mov_b32_e32 v25, 0
	s_mov_b32 s15, exec_lo
	v_cmpx_ne_u16_e32 0x80, v8
	s_cbranch_execz .LBB216_2008
; %bb.2003:                             ;   in Loop: Header=BB216_1066 Depth=1
	v_mov_b32_e32 v24, 0x7f800001
	v_bfe_u32 v12, v101, 16, 7
	v_mov_b32_e32 v25, 0
	s_mov_b32 s16, exec_lo
	v_cmpx_ne_u32_e32 0x7f, v12
	s_cbranch_execz .LBB216_2007
; %bb.2004:                             ;   in Loop: Header=BB216_1066 Depth=1
	v_mov_b32_e32 v8, 7
	v_lshrrev_b32_e32 v10, 3, v12
	s_mov_b32 s17, exec_lo
	v_and_b32_sdwa v8, v101, v8 dst_sel:DWORD dst_unused:UNUSED_PAD src0_sel:WORD_1 src1_sel:DWORD
	v_cmpx_gt_u32_e32 8, v12
; %bb.2005:                             ;   in Loop: Header=BB216_1066 Depth=1
	v_ffbh_u32_e32 v10, v8
	v_min_u32_e32 v10, 32, v10
	v_subrev_nc_u32_e32 v12, 28, v10
	v_sub_nc_u32_e32 v10, 29, v10
	v_lshlrev_b64 v[24:25], v12, v[8:9]
	v_and_b32_e32 v8, 7, v24
; %bb.2006:                             ;   in Loop: Header=BB216_1066 Depth=1
	s_or_b32 exec_lo, exec_lo, s17
	v_mov_b32_e32 v12, 24
	v_lshlrev_b32_e32 v8, 20, v8
	v_lshl_add_u32 v10, v10, 23, 0x3c000000
	v_lshlrev_b32_sdwa v12, v12, v101 dst_sel:DWORD dst_unused:UNUSED_PAD src0_sel:DWORD src1_sel:WORD_1
	v_and_b32_e32 v12, 0x80000000, v12
	v_or3_b32 v8, v8, v12, v10
	v_mov_b32_e32 v25, v9
	v_mov_b32_e32 v24, v8
.LBB216_2007:                           ;   in Loop: Header=BB216_1066 Depth=1
	s_or_b32 exec_lo, exec_lo, s16
.LBB216_2008:                           ;   in Loop: Header=BB216_1066 Depth=1
	s_or_b32 exec_lo, exec_lo, s15
.LBB216_2009:                           ;   in Loop: Header=BB216_1066 Depth=1
	s_or_b32 exec_lo, exec_lo, s13
	s_mov_b32 s13, exec_lo
	v_cmpx_lt_u32_e32 0xffffff, v101
	s_cbranch_execz .LBB216_2017
; %bb.2010:                             ;   in Loop: Header=BB216_1066 Depth=1
	v_mov_b32_e32 v10, v9
	v_mov_b32_e32 v23, v11
	v_cmp_ne_u32_sdwa s4, v101, v100 src0_sel:BYTE_3 src1_sel:DWORD
	v_mov_b32_e32 v22, v10
	s_and_saveexec_b32 s15, s4
	s_cbranch_execz .LBB216_2016
; %bb.2011:                             ;   in Loop: Header=BB216_1066 Depth=1
	v_mov_b32_e32 v12, v9
	v_mov_b32_e32 v23, v13
	v_bfe_u32 v103, v101, 24, 7
	s_mov_b32 s16, exec_lo
	v_mov_b32_e32 v22, v12
	v_cmpx_ne_u32_e32 0x7f, v103
	s_cbranch_execz .LBB216_2015
; %bb.2012:                             ;   in Loop: Header=BB216_1066 Depth=1
	v_mov_b32_e32 v8, 7
	v_lshrrev_b32_e32 v10, 3, v103
	s_mov_b32 s17, exec_lo
	v_and_b32_sdwa v8, v101, v8 dst_sel:DWORD dst_unused:UNUSED_PAD src0_sel:BYTE_3 src1_sel:DWORD
	v_cmpx_gt_u32_e32 8, v103
; %bb.2013:                             ;   in Loop: Header=BB216_1066 Depth=1
	v_ffbh_u32_e32 v10, v8
	v_min_u32_e32 v10, 32, v10
	v_subrev_nc_u32_e32 v12, 28, v10
	v_sub_nc_u32_e32 v10, 29, v10
	v_lshlrev_b64 v[22:23], v12, v[8:9]
	v_and_b32_e32 v8, 7, v22
; %bb.2014:                             ;   in Loop: Header=BB216_1066 Depth=1
	s_or_b32 exec_lo, exec_lo, s17
	v_mov_b32_e32 v12, 24
	v_lshlrev_b32_e32 v8, 20, v8
	v_lshl_add_u32 v10, v10, 23, 0x3c000000
	v_mov_b32_e32 v22, v9
	v_lshlrev_b32_sdwa v12, v12, v101 dst_sel:DWORD dst_unused:UNUSED_PAD src0_sel:DWORD src1_sel:BYTE_3
	v_and_b32_e32 v12, 0x80000000, v12
	v_or3_b32 v23, v8, v12, v10
.LBB216_2015:                           ;   in Loop: Header=BB216_1066 Depth=1
	s_or_b32 exec_lo, exec_lo, s16
.LBB216_2016:                           ;   in Loop: Header=BB216_1066 Depth=1
	s_or_b32 exec_lo, exec_lo, s15
.LBB216_2017:                           ;   in Loop: Header=BB216_1066 Depth=1
	s_or_b32 exec_lo, exec_lo, s13
	v_or_b32_e32 v8, v21, v19
	v_or_b32_e32 v10, v20, v18
	;; [unrolled: 1-line block ×4, first 2 shown]
	v_mul_f32_e32 v88, v119, v8
	v_mul_f32_e32 v79, v119, v10
	;; [unrolled: 1-line block ×4, first 2 shown]
	s_and_saveexec_b32 s13, vcc_lo
	s_cbranch_execz .LBB216_2019
; %bb.2018:                             ;   in Loop: Header=BB216_1066 Depth=1
	v_cmp_lt_i32_e64 s4, v40, v27
	v_cndmask_b32_e64 v79, 0, v79, s4
	v_cmp_lt_i32_e64 s4, v43, v27
	v_cndmask_b32_e64 v88, 0, v88, s4
	v_cmp_lt_i32_e64 s4, v42, v27
	v_cndmask_b32_e64 v78, 0, v78, s4
	v_cmp_lt_i32_e64 s4, v41, v27
	v_cndmask_b32_e64 v77, 0, v77, s4
.LBB216_2019:                           ;   in Loop: Header=BB216_1066 Depth=1
	s_or_b32 exec_lo, exec_lo, s13
	flat_load_dword v101, v[4:5] offset:1536
	v_mov_b32_e32 v20, 0
	v_mov_b32_e32 v18, 0
	;; [unrolled: 1-line block ×4, first 2 shown]
	s_waitcnt vmcnt(0) lgkmcnt(0)
	v_cmp_ne_u16_sdwa s4, v101, v9 src0_sel:BYTE_0 src1_sel:DWORD
	s_and_saveexec_b32 s13, s4
	s_cbranch_execz .LBB216_2027
; %bb.2020:                             ;   in Loop: Header=BB216_1066 Depth=1
	v_bfrev_b32_e32 v18, 1
	v_mov_b32_e32 v19, 0
	v_cmp_ne_u16_sdwa s4, v101, v100 src0_sel:BYTE_0 src1_sel:DWORD
	s_and_saveexec_b32 s15, s4
	s_cbranch_execz .LBB216_2026
; %bb.2021:                             ;   in Loop: Header=BB216_1066 Depth=1
	v_mov_b32_e32 v18, 0x7f800001
	v_and_b32_e32 v12, 0x7f, v101
	v_mov_b32_e32 v19, 0
	s_mov_b32 s16, exec_lo
	v_cmpx_ne_u32_e32 0x7f, v12
	s_cbranch_execz .LBB216_2025
; %bb.2022:                             ;   in Loop: Header=BB216_1066 Depth=1
	v_and_b32_e32 v8, 7, v101
	v_lshrrev_b32_e32 v10, 3, v12
	s_mov_b32 s17, exec_lo
	v_cmpx_gt_u32_e32 8, v12
; %bb.2023:                             ;   in Loop: Header=BB216_1066 Depth=1
	v_ffbh_u32_e32 v10, v8
	v_min_u32_e32 v10, 32, v10
	v_subrev_nc_u32_e32 v12, 28, v10
	v_sub_nc_u32_e32 v10, 29, v10
	v_lshlrev_b64 v[18:19], v12, v[8:9]
	v_and_b32_e32 v8, 7, v18
; %bb.2024:                             ;   in Loop: Header=BB216_1066 Depth=1
	s_or_b32 exec_lo, exec_lo, s17
	v_lshlrev_b32_e32 v12, 24, v101
	v_lshlrev_b32_e32 v8, 20, v8
	v_lshl_add_u32 v10, v10, 23, 0x3c000000
	v_and_b32_e32 v12, 0x80000000, v12
	v_or3_b32 v8, v8, v12, v10
	v_mov_b32_e32 v19, v9
	v_mov_b32_e32 v18, v8
.LBB216_2025:                           ;   in Loop: Header=BB216_1066 Depth=1
	s_or_b32 exec_lo, exec_lo, s16
.LBB216_2026:                           ;   in Loop: Header=BB216_1066 Depth=1
	s_or_b32 exec_lo, exec_lo, s15
.LBB216_2027:                           ;   in Loop: Header=BB216_1066 Depth=1
	s_or_b32 exec_lo, exec_lo, s13
	v_cmp_ne_u16_sdwa s4, v101, v9 src0_sel:BYTE_1 src1_sel:DWORD
	s_and_saveexec_b32 s13, s4
	s_cbranch_execz .LBB216_2035
; %bb.2028:                             ;   in Loop: Header=BB216_1066 Depth=1
	v_mov_b32_e32 v10, v9
	v_mov_b32_e32 v21, v11
	v_cmp_ne_u16_sdwa s4, v101, v100 src0_sel:BYTE_1 src1_sel:DWORD
	v_mov_b32_e32 v20, v10
	s_and_saveexec_b32 s15, s4
	s_cbranch_execz .LBB216_2034
; %bb.2029:                             ;   in Loop: Header=BB216_1066 Depth=1
	v_mov_b32_e32 v8, 0xffff
	v_mov_b32_e32 v12, v9
	;; [unrolled: 1-line block ×3, first 2 shown]
	s_mov_b32 s16, exec_lo
	v_and_b32_sdwa v8, v8, v101 dst_sel:DWORD dst_unused:UNUSED_PAD src0_sel:DWORD src1_sel:BYTE_1
	v_mov_b32_e32 v20, v12
	v_and_b32_e32 v22, 0x7f, v8
	v_cmpx_ne_u32_e32 0x7f, v22
	s_cbranch_execz .LBB216_2033
; %bb.2030:                             ;   in Loop: Header=BB216_1066 Depth=1
	v_and_b32_e32 v8, 7, v8
	v_lshrrev_b32_e32 v10, 3, v22
	s_mov_b32 s17, exec_lo
	v_cmpx_gt_u32_e32 8, v22
; %bb.2031:                             ;   in Loop: Header=BB216_1066 Depth=1
	v_ffbh_u32_e32 v10, v8
	v_min_u32_e32 v10, 32, v10
	v_subrev_nc_u32_e32 v12, 28, v10
	v_sub_nc_u32_e32 v10, 29, v10
	v_lshlrev_b64 v[20:21], v12, v[8:9]
	v_and_b32_e32 v8, 7, v20
; %bb.2032:                             ;   in Loop: Header=BB216_1066 Depth=1
	s_or_b32 exec_lo, exec_lo, s17
	v_lshlrev_b32_e32 v12, 16, v101
	v_lshlrev_b32_e32 v8, 20, v8
	v_lshl_add_u32 v10, v10, 23, 0x3c000000
	v_mov_b32_e32 v20, v9
	v_and_b32_e32 v12, 0x80000000, v12
	v_or3_b32 v21, v8, v12, v10
.LBB216_2033:                           ;   in Loop: Header=BB216_1066 Depth=1
	s_or_b32 exec_lo, exec_lo, s16
.LBB216_2034:                           ;   in Loop: Header=BB216_1066 Depth=1
	s_or_b32 exec_lo, exec_lo, s15
.LBB216_2035:                           ;   in Loop: Header=BB216_1066 Depth=1
	s_or_b32 exec_lo, exec_lo, s13
	v_mov_b32_e32 v22, 0
	v_mov_b32_e32 v24, 0
	v_and_b32_sdwa v8, v101, v102 dst_sel:DWORD dst_unused:UNUSED_PAD src0_sel:WORD_1 src1_sel:DWORD
	v_mov_b32_e32 v23, 0
	v_mov_b32_e32 v25, 0
	s_mov_b32 s13, exec_lo
	v_cmpx_ne_u16_e32 0, v8
	s_cbranch_execz .LBB216_2043
; %bb.2036:                             ;   in Loop: Header=BB216_1066 Depth=1
	v_bfrev_b32_e32 v24, 1
	v_mov_b32_e32 v25, 0
	s_mov_b32 s15, exec_lo
	v_cmpx_ne_u16_e32 0x80, v8
	s_cbranch_execz .LBB216_2042
; %bb.2037:                             ;   in Loop: Header=BB216_1066 Depth=1
	v_mov_b32_e32 v24, 0x7f800001
	v_bfe_u32 v12, v101, 16, 7
	v_mov_b32_e32 v25, 0
	s_mov_b32 s16, exec_lo
	v_cmpx_ne_u32_e32 0x7f, v12
	s_cbranch_execz .LBB216_2041
; %bb.2038:                             ;   in Loop: Header=BB216_1066 Depth=1
	v_mov_b32_e32 v8, 7
	v_lshrrev_b32_e32 v10, 3, v12
	s_mov_b32 s17, exec_lo
	v_and_b32_sdwa v8, v101, v8 dst_sel:DWORD dst_unused:UNUSED_PAD src0_sel:WORD_1 src1_sel:DWORD
	v_cmpx_gt_u32_e32 8, v12
; %bb.2039:                             ;   in Loop: Header=BB216_1066 Depth=1
	v_ffbh_u32_e32 v10, v8
	v_min_u32_e32 v10, 32, v10
	v_subrev_nc_u32_e32 v12, 28, v10
	v_sub_nc_u32_e32 v10, 29, v10
	v_lshlrev_b64 v[24:25], v12, v[8:9]
	v_and_b32_e32 v8, 7, v24
; %bb.2040:                             ;   in Loop: Header=BB216_1066 Depth=1
	s_or_b32 exec_lo, exec_lo, s17
	v_mov_b32_e32 v12, 24
	v_lshlrev_b32_e32 v8, 20, v8
	v_lshl_add_u32 v10, v10, 23, 0x3c000000
	v_lshlrev_b32_sdwa v12, v12, v101 dst_sel:DWORD dst_unused:UNUSED_PAD src0_sel:DWORD src1_sel:WORD_1
	v_and_b32_e32 v12, 0x80000000, v12
	v_or3_b32 v8, v8, v12, v10
	v_mov_b32_e32 v25, v9
	v_mov_b32_e32 v24, v8
.LBB216_2041:                           ;   in Loop: Header=BB216_1066 Depth=1
	s_or_b32 exec_lo, exec_lo, s16
.LBB216_2042:                           ;   in Loop: Header=BB216_1066 Depth=1
	s_or_b32 exec_lo, exec_lo, s15
.LBB216_2043:                           ;   in Loop: Header=BB216_1066 Depth=1
	s_or_b32 exec_lo, exec_lo, s13
	s_mov_b32 s13, exec_lo
	v_cmpx_lt_u32_e32 0xffffff, v101
	s_cbranch_execz .LBB216_2051
; %bb.2044:                             ;   in Loop: Header=BB216_1066 Depth=1
	v_mov_b32_e32 v10, v9
	v_mov_b32_e32 v23, v11
	v_cmp_ne_u32_sdwa s4, v101, v100 src0_sel:BYTE_3 src1_sel:DWORD
	v_mov_b32_e32 v22, v10
	s_and_saveexec_b32 s15, s4
	s_cbranch_execz .LBB216_2050
; %bb.2045:                             ;   in Loop: Header=BB216_1066 Depth=1
	v_mov_b32_e32 v12, v9
	v_mov_b32_e32 v23, v13
	v_bfe_u32 v103, v101, 24, 7
	s_mov_b32 s16, exec_lo
	v_mov_b32_e32 v22, v12
	v_cmpx_ne_u32_e32 0x7f, v103
	s_cbranch_execz .LBB216_2049
; %bb.2046:                             ;   in Loop: Header=BB216_1066 Depth=1
	v_mov_b32_e32 v8, 7
	v_lshrrev_b32_e32 v10, 3, v103
	s_mov_b32 s17, exec_lo
	v_and_b32_sdwa v8, v101, v8 dst_sel:DWORD dst_unused:UNUSED_PAD src0_sel:BYTE_3 src1_sel:DWORD
	v_cmpx_gt_u32_e32 8, v103
; %bb.2047:                             ;   in Loop: Header=BB216_1066 Depth=1
	v_ffbh_u32_e32 v10, v8
	v_min_u32_e32 v10, 32, v10
	v_subrev_nc_u32_e32 v12, 28, v10
	v_sub_nc_u32_e32 v10, 29, v10
	v_lshlrev_b64 v[22:23], v12, v[8:9]
	v_and_b32_e32 v8, 7, v22
; %bb.2048:                             ;   in Loop: Header=BB216_1066 Depth=1
	s_or_b32 exec_lo, exec_lo, s17
	v_mov_b32_e32 v12, 24
	v_lshlrev_b32_e32 v8, 20, v8
	v_lshl_add_u32 v10, v10, 23, 0x3c000000
	v_mov_b32_e32 v22, v9
	v_lshlrev_b32_sdwa v12, v12, v101 dst_sel:DWORD dst_unused:UNUSED_PAD src0_sel:DWORD src1_sel:BYTE_3
	v_and_b32_e32 v12, 0x80000000, v12
	v_or3_b32 v23, v8, v12, v10
.LBB216_2049:                           ;   in Loop: Header=BB216_1066 Depth=1
	s_or_b32 exec_lo, exec_lo, s16
.LBB216_2050:                           ;   in Loop: Header=BB216_1066 Depth=1
	s_or_b32 exec_lo, exec_lo, s15
.LBB216_2051:                           ;   in Loop: Header=BB216_1066 Depth=1
	s_or_b32 exec_lo, exec_lo, s13
	v_or_b32_e32 v8, v21, v19
	v_or_b32_e32 v10, v20, v18
	v_or_b32_e32 v12, v22, v24
	v_or_b32_e32 v18, v23, v25
	v_mul_f32_e32 v92, v119, v8
	v_mul_f32_e32 v91, v119, v10
	;; [unrolled: 1-line block ×4, first 2 shown]
	s_and_saveexec_b32 s13, vcc_lo
	s_cbranch_execz .LBB216_2053
; %bb.2052:                             ;   in Loop: Header=BB216_1066 Depth=1
	v_cmp_lt_i32_e64 s4, v40, v27
	v_cndmask_b32_e64 v91, 0, v91, s4
	v_cmp_lt_i32_e64 s4, v43, v27
	v_cndmask_b32_e64 v92, 0, v92, s4
	;; [unrolled: 2-line block ×4, first 2 shown]
.LBB216_2053:                           ;   in Loop: Header=BB216_1066 Depth=1
	s_or_b32 exec_lo, exec_lo, s13
	flat_load_dword v101, v[4:5] offset:1664
	v_mov_b32_e32 v20, 0
	v_mov_b32_e32 v18, 0
	;; [unrolled: 1-line block ×4, first 2 shown]
	s_waitcnt vmcnt(0) lgkmcnt(0)
	v_cmp_ne_u16_sdwa s4, v101, v9 src0_sel:BYTE_0 src1_sel:DWORD
	s_and_saveexec_b32 s13, s4
	s_cbranch_execz .LBB216_2061
; %bb.2054:                             ;   in Loop: Header=BB216_1066 Depth=1
	v_bfrev_b32_e32 v18, 1
	v_mov_b32_e32 v19, 0
	v_cmp_ne_u16_sdwa s4, v101, v100 src0_sel:BYTE_0 src1_sel:DWORD
	s_and_saveexec_b32 s15, s4
	s_cbranch_execz .LBB216_2060
; %bb.2055:                             ;   in Loop: Header=BB216_1066 Depth=1
	v_mov_b32_e32 v18, 0x7f800001
	v_and_b32_e32 v12, 0x7f, v101
	v_mov_b32_e32 v19, 0
	s_mov_b32 s16, exec_lo
	v_cmpx_ne_u32_e32 0x7f, v12
	s_cbranch_execz .LBB216_2059
; %bb.2056:                             ;   in Loop: Header=BB216_1066 Depth=1
	v_and_b32_e32 v8, 7, v101
	v_lshrrev_b32_e32 v10, 3, v12
	s_mov_b32 s17, exec_lo
	v_cmpx_gt_u32_e32 8, v12
; %bb.2057:                             ;   in Loop: Header=BB216_1066 Depth=1
	v_ffbh_u32_e32 v10, v8
	v_min_u32_e32 v10, 32, v10
	v_subrev_nc_u32_e32 v12, 28, v10
	v_sub_nc_u32_e32 v10, 29, v10
	v_lshlrev_b64 v[18:19], v12, v[8:9]
	v_and_b32_e32 v8, 7, v18
; %bb.2058:                             ;   in Loop: Header=BB216_1066 Depth=1
	s_or_b32 exec_lo, exec_lo, s17
	v_lshlrev_b32_e32 v12, 24, v101
	v_lshlrev_b32_e32 v8, 20, v8
	v_lshl_add_u32 v10, v10, 23, 0x3c000000
	v_and_b32_e32 v12, 0x80000000, v12
	v_or3_b32 v8, v8, v12, v10
	v_mov_b32_e32 v19, v9
	v_mov_b32_e32 v18, v8
.LBB216_2059:                           ;   in Loop: Header=BB216_1066 Depth=1
	s_or_b32 exec_lo, exec_lo, s16
.LBB216_2060:                           ;   in Loop: Header=BB216_1066 Depth=1
	s_or_b32 exec_lo, exec_lo, s15
.LBB216_2061:                           ;   in Loop: Header=BB216_1066 Depth=1
	s_or_b32 exec_lo, exec_lo, s13
	v_cmp_ne_u16_sdwa s4, v101, v9 src0_sel:BYTE_1 src1_sel:DWORD
	s_and_saveexec_b32 s13, s4
	s_cbranch_execz .LBB216_2069
; %bb.2062:                             ;   in Loop: Header=BB216_1066 Depth=1
	v_mov_b32_e32 v10, v9
	v_mov_b32_e32 v21, v11
	v_cmp_ne_u16_sdwa s4, v101, v100 src0_sel:BYTE_1 src1_sel:DWORD
	v_mov_b32_e32 v20, v10
	s_and_saveexec_b32 s15, s4
	s_cbranch_execz .LBB216_2068
; %bb.2063:                             ;   in Loop: Header=BB216_1066 Depth=1
	v_mov_b32_e32 v8, 0xffff
	v_mov_b32_e32 v12, v9
	;; [unrolled: 1-line block ×3, first 2 shown]
	s_mov_b32 s16, exec_lo
	v_and_b32_sdwa v8, v8, v101 dst_sel:DWORD dst_unused:UNUSED_PAD src0_sel:DWORD src1_sel:BYTE_1
	v_mov_b32_e32 v20, v12
	v_and_b32_e32 v22, 0x7f, v8
	v_cmpx_ne_u32_e32 0x7f, v22
	s_cbranch_execz .LBB216_2067
; %bb.2064:                             ;   in Loop: Header=BB216_1066 Depth=1
	v_and_b32_e32 v8, 7, v8
	v_lshrrev_b32_e32 v10, 3, v22
	s_mov_b32 s17, exec_lo
	v_cmpx_gt_u32_e32 8, v22
; %bb.2065:                             ;   in Loop: Header=BB216_1066 Depth=1
	v_ffbh_u32_e32 v10, v8
	v_min_u32_e32 v10, 32, v10
	v_subrev_nc_u32_e32 v12, 28, v10
	v_sub_nc_u32_e32 v10, 29, v10
	v_lshlrev_b64 v[20:21], v12, v[8:9]
	v_and_b32_e32 v8, 7, v20
; %bb.2066:                             ;   in Loop: Header=BB216_1066 Depth=1
	s_or_b32 exec_lo, exec_lo, s17
	v_lshlrev_b32_e32 v12, 16, v101
	v_lshlrev_b32_e32 v8, 20, v8
	v_lshl_add_u32 v10, v10, 23, 0x3c000000
	v_mov_b32_e32 v20, v9
	v_and_b32_e32 v12, 0x80000000, v12
	v_or3_b32 v21, v8, v12, v10
.LBB216_2067:                           ;   in Loop: Header=BB216_1066 Depth=1
	s_or_b32 exec_lo, exec_lo, s16
.LBB216_2068:                           ;   in Loop: Header=BB216_1066 Depth=1
	s_or_b32 exec_lo, exec_lo, s15
.LBB216_2069:                           ;   in Loop: Header=BB216_1066 Depth=1
	s_or_b32 exec_lo, exec_lo, s13
	v_mov_b32_e32 v22, 0
	v_mov_b32_e32 v24, 0
	v_and_b32_sdwa v8, v101, v102 dst_sel:DWORD dst_unused:UNUSED_PAD src0_sel:WORD_1 src1_sel:DWORD
	v_mov_b32_e32 v23, 0
	v_mov_b32_e32 v25, 0
	s_mov_b32 s13, exec_lo
	v_cmpx_ne_u16_e32 0, v8
	s_cbranch_execz .LBB216_2077
; %bb.2070:                             ;   in Loop: Header=BB216_1066 Depth=1
	v_bfrev_b32_e32 v24, 1
	v_mov_b32_e32 v25, 0
	s_mov_b32 s15, exec_lo
	v_cmpx_ne_u16_e32 0x80, v8
	s_cbranch_execz .LBB216_2076
; %bb.2071:                             ;   in Loop: Header=BB216_1066 Depth=1
	v_mov_b32_e32 v24, 0x7f800001
	v_bfe_u32 v12, v101, 16, 7
	v_mov_b32_e32 v25, 0
	s_mov_b32 s16, exec_lo
	v_cmpx_ne_u32_e32 0x7f, v12
	s_cbranch_execz .LBB216_2075
; %bb.2072:                             ;   in Loop: Header=BB216_1066 Depth=1
	v_mov_b32_e32 v8, 7
	v_lshrrev_b32_e32 v10, 3, v12
	s_mov_b32 s17, exec_lo
	v_and_b32_sdwa v8, v101, v8 dst_sel:DWORD dst_unused:UNUSED_PAD src0_sel:WORD_1 src1_sel:DWORD
	v_cmpx_gt_u32_e32 8, v12
; %bb.2073:                             ;   in Loop: Header=BB216_1066 Depth=1
	v_ffbh_u32_e32 v10, v8
	v_min_u32_e32 v10, 32, v10
	v_subrev_nc_u32_e32 v12, 28, v10
	v_sub_nc_u32_e32 v10, 29, v10
	v_lshlrev_b64 v[24:25], v12, v[8:9]
	v_and_b32_e32 v8, 7, v24
; %bb.2074:                             ;   in Loop: Header=BB216_1066 Depth=1
	s_or_b32 exec_lo, exec_lo, s17
	v_mov_b32_e32 v12, 24
	v_lshlrev_b32_e32 v8, 20, v8
	v_lshl_add_u32 v10, v10, 23, 0x3c000000
	v_lshlrev_b32_sdwa v12, v12, v101 dst_sel:DWORD dst_unused:UNUSED_PAD src0_sel:DWORD src1_sel:WORD_1
	v_and_b32_e32 v12, 0x80000000, v12
	v_or3_b32 v8, v8, v12, v10
	v_mov_b32_e32 v25, v9
	v_mov_b32_e32 v24, v8
.LBB216_2075:                           ;   in Loop: Header=BB216_1066 Depth=1
	s_or_b32 exec_lo, exec_lo, s16
.LBB216_2076:                           ;   in Loop: Header=BB216_1066 Depth=1
	s_or_b32 exec_lo, exec_lo, s15
.LBB216_2077:                           ;   in Loop: Header=BB216_1066 Depth=1
	s_or_b32 exec_lo, exec_lo, s13
	s_mov_b32 s13, exec_lo
	v_cmpx_lt_u32_e32 0xffffff, v101
	s_cbranch_execz .LBB216_2085
; %bb.2078:                             ;   in Loop: Header=BB216_1066 Depth=1
	v_mov_b32_e32 v10, v9
	v_mov_b32_e32 v23, v11
	v_cmp_ne_u32_sdwa s4, v101, v100 src0_sel:BYTE_3 src1_sel:DWORD
	v_mov_b32_e32 v22, v10
	s_and_saveexec_b32 s15, s4
	s_cbranch_execz .LBB216_2084
; %bb.2079:                             ;   in Loop: Header=BB216_1066 Depth=1
	v_mov_b32_e32 v12, v9
	v_mov_b32_e32 v23, v13
	v_bfe_u32 v103, v101, 24, 7
	s_mov_b32 s16, exec_lo
	v_mov_b32_e32 v22, v12
	v_cmpx_ne_u32_e32 0x7f, v103
	s_cbranch_execz .LBB216_2083
; %bb.2080:                             ;   in Loop: Header=BB216_1066 Depth=1
	v_mov_b32_e32 v8, 7
	v_lshrrev_b32_e32 v10, 3, v103
	s_mov_b32 s17, exec_lo
	v_and_b32_sdwa v8, v101, v8 dst_sel:DWORD dst_unused:UNUSED_PAD src0_sel:BYTE_3 src1_sel:DWORD
	v_cmpx_gt_u32_e32 8, v103
; %bb.2081:                             ;   in Loop: Header=BB216_1066 Depth=1
	v_ffbh_u32_e32 v10, v8
	v_min_u32_e32 v10, 32, v10
	v_subrev_nc_u32_e32 v12, 28, v10
	v_sub_nc_u32_e32 v10, 29, v10
	v_lshlrev_b64 v[22:23], v12, v[8:9]
	v_and_b32_e32 v8, 7, v22
; %bb.2082:                             ;   in Loop: Header=BB216_1066 Depth=1
	s_or_b32 exec_lo, exec_lo, s17
	v_mov_b32_e32 v12, 24
	v_lshlrev_b32_e32 v8, 20, v8
	v_lshl_add_u32 v10, v10, 23, 0x3c000000
	v_mov_b32_e32 v22, v9
	v_lshlrev_b32_sdwa v12, v12, v101 dst_sel:DWORD dst_unused:UNUSED_PAD src0_sel:DWORD src1_sel:BYTE_3
	v_and_b32_e32 v12, 0x80000000, v12
	v_or3_b32 v23, v8, v12, v10
.LBB216_2083:                           ;   in Loop: Header=BB216_1066 Depth=1
	s_or_b32 exec_lo, exec_lo, s16
.LBB216_2084:                           ;   in Loop: Header=BB216_1066 Depth=1
	s_or_b32 exec_lo, exec_lo, s15
.LBB216_2085:                           ;   in Loop: Header=BB216_1066 Depth=1
	s_or_b32 exec_lo, exec_lo, s13
	v_or_b32_e32 v8, v21, v19
	v_or_b32_e32 v10, v20, v18
	;; [unrolled: 1-line block ×4, first 2 shown]
	v_mul_f32_e32 v103, v119, v8
	v_mul_f32_e32 v101, v119, v10
	;; [unrolled: 1-line block ×4, first 2 shown]
	s_and_saveexec_b32 s13, vcc_lo
	s_cbranch_execz .LBB216_2087
; %bb.2086:                             ;   in Loop: Header=BB216_1066 Depth=1
	v_cmp_lt_i32_e64 s4, v40, v27
	v_cndmask_b32_e64 v101, 0, v101, s4
	v_cmp_lt_i32_e64 s4, v43, v27
	v_cndmask_b32_e64 v103, 0, v103, s4
	;; [unrolled: 2-line block ×4, first 2 shown]
.LBB216_2087:                           ;   in Loop: Header=BB216_1066 Depth=1
	s_or_b32 exec_lo, exec_lo, s13
	flat_load_dword v112, v[4:5] offset:1792
	v_mov_b32_e32 v18, 0
	v_mov_b32_e32 v4, 0
	;; [unrolled: 1-line block ×4, first 2 shown]
	s_waitcnt vmcnt(0) lgkmcnt(0)
	v_cmp_ne_u16_sdwa s4, v112, v9 src0_sel:BYTE_0 src1_sel:DWORD
	s_and_saveexec_b32 s13, s4
	s_cbranch_execz .LBB216_2095
; %bb.2088:                             ;   in Loop: Header=BB216_1066 Depth=1
	v_bfrev_b32_e32 v4, 1
	v_mov_b32_e32 v5, 0
	v_cmp_ne_u16_sdwa s4, v112, v100 src0_sel:BYTE_0 src1_sel:DWORD
	s_and_saveexec_b32 s15, s4
	s_cbranch_execz .LBB216_2094
; %bb.2089:                             ;   in Loop: Header=BB216_1066 Depth=1
	v_mov_b32_e32 v4, 0x7f800001
	v_and_b32_e32 v10, 0x7f, v112
	v_mov_b32_e32 v5, 0
	s_mov_b32 s16, exec_lo
	v_cmpx_ne_u32_e32 0x7f, v10
	s_cbranch_execz .LBB216_2093
; %bb.2090:                             ;   in Loop: Header=BB216_1066 Depth=1
	v_and_b32_e32 v8, 7, v112
	v_lshrrev_b32_e32 v4, 3, v10
	s_mov_b32 s17, exec_lo
	v_cmpx_gt_u32_e32 8, v10
; %bb.2091:                             ;   in Loop: Header=BB216_1066 Depth=1
	v_ffbh_u32_e32 v4, v8
	v_min_u32_e32 v4, 32, v4
	v_subrev_nc_u32_e32 v5, 28, v4
	v_sub_nc_u32_e32 v4, 29, v4
	v_lshlrev_b64 v[20:21], v5, v[8:9]
	v_and_b32_e32 v8, 7, v20
; %bb.2092:                             ;   in Loop: Header=BB216_1066 Depth=1
	s_or_b32 exec_lo, exec_lo, s17
	v_lshlrev_b32_e32 v5, 24, v112
	v_lshlrev_b32_e32 v8, 20, v8
	v_lshl_add_u32 v4, v4, 23, 0x3c000000
	v_and_b32_e32 v5, 0x80000000, v5
	v_or3_b32 v8, v8, v5, v4
	v_mov_b32_e32 v4, v8
	v_mov_b32_e32 v5, v9
.LBB216_2093:                           ;   in Loop: Header=BB216_1066 Depth=1
	s_or_b32 exec_lo, exec_lo, s16
.LBB216_2094:                           ;   in Loop: Header=BB216_1066 Depth=1
	s_or_b32 exec_lo, exec_lo, s15
.LBB216_2095:                           ;   in Loop: Header=BB216_1066 Depth=1
	s_or_b32 exec_lo, exec_lo, s13
	v_cmp_ne_u16_sdwa s4, v112, v9 src0_sel:BYTE_1 src1_sel:DWORD
	s_and_saveexec_b32 s13, s4
	s_cbranch_execz .LBB216_2103
; %bb.2096:                             ;   in Loop: Header=BB216_1066 Depth=1
	v_mov_b32_e32 v10, v9
	v_mov_b32_e32 v19, v11
	v_cmp_ne_u16_sdwa s4, v112, v100 src0_sel:BYTE_1 src1_sel:DWORD
	v_mov_b32_e32 v18, v10
	s_and_saveexec_b32 s15, s4
	s_cbranch_execz .LBB216_2102
; %bb.2097:                             ;   in Loop: Header=BB216_1066 Depth=1
	v_mov_b32_e32 v8, 0xffff
	v_mov_b32_e32 v12, v9
	;; [unrolled: 1-line block ×3, first 2 shown]
	s_mov_b32 s16, exec_lo
	v_and_b32_sdwa v8, v8, v112 dst_sel:DWORD dst_unused:UNUSED_PAD src0_sel:DWORD src1_sel:BYTE_1
	v_mov_b32_e32 v18, v12
	v_and_b32_e32 v20, 0x7f, v8
	v_cmpx_ne_u32_e32 0x7f, v20
	s_cbranch_execz .LBB216_2101
; %bb.2098:                             ;   in Loop: Header=BB216_1066 Depth=1
	v_and_b32_e32 v8, 7, v8
	v_lshrrev_b32_e32 v10, 3, v20
	s_mov_b32 s17, exec_lo
	v_cmpx_gt_u32_e32 8, v20
; %bb.2099:                             ;   in Loop: Header=BB216_1066 Depth=1
	v_ffbh_u32_e32 v10, v8
	v_min_u32_e32 v10, 32, v10
	v_subrev_nc_u32_e32 v12, 28, v10
	v_sub_nc_u32_e32 v10, 29, v10
	v_lshlrev_b64 v[18:19], v12, v[8:9]
	v_and_b32_e32 v8, 7, v18
; %bb.2100:                             ;   in Loop: Header=BB216_1066 Depth=1
	s_or_b32 exec_lo, exec_lo, s17
	v_lshlrev_b32_e32 v12, 16, v112
	v_lshlrev_b32_e32 v8, 20, v8
	v_lshl_add_u32 v10, v10, 23, 0x3c000000
	v_mov_b32_e32 v18, v9
	v_and_b32_e32 v12, 0x80000000, v12
	v_or3_b32 v19, v8, v12, v10
.LBB216_2101:                           ;   in Loop: Header=BB216_1066 Depth=1
	s_or_b32 exec_lo, exec_lo, s16
.LBB216_2102:                           ;   in Loop: Header=BB216_1066 Depth=1
	s_or_b32 exec_lo, exec_lo, s15
.LBB216_2103:                           ;   in Loop: Header=BB216_1066 Depth=1
	s_or_b32 exec_lo, exec_lo, s13
	v_mov_b32_e32 v20, 0
	v_mov_b32_e32 v22, 0
	v_and_b32_sdwa v8, v112, v102 dst_sel:DWORD dst_unused:UNUSED_PAD src0_sel:WORD_1 src1_sel:DWORD
	v_mov_b32_e32 v21, 0
	v_mov_b32_e32 v23, 0
	s_mov_b32 s13, exec_lo
	v_cmpx_ne_u16_e32 0, v8
	s_cbranch_execz .LBB216_2111
; %bb.2104:                             ;   in Loop: Header=BB216_1066 Depth=1
	v_bfrev_b32_e32 v22, 1
	v_mov_b32_e32 v23, 0
	s_mov_b32 s15, exec_lo
	v_cmpx_ne_u16_e32 0x80, v8
	s_cbranch_execz .LBB216_2110
; %bb.2105:                             ;   in Loop: Header=BB216_1066 Depth=1
	v_mov_b32_e32 v22, 0x7f800001
	v_bfe_u32 v12, v112, 16, 7
	v_mov_b32_e32 v23, 0
	s_mov_b32 s16, exec_lo
	v_cmpx_ne_u32_e32 0x7f, v12
	s_cbranch_execz .LBB216_2109
; %bb.2106:                             ;   in Loop: Header=BB216_1066 Depth=1
	v_mov_b32_e32 v8, 7
	v_lshrrev_b32_e32 v10, 3, v12
	s_mov_b32 s17, exec_lo
	v_and_b32_sdwa v8, v112, v8 dst_sel:DWORD dst_unused:UNUSED_PAD src0_sel:WORD_1 src1_sel:DWORD
	v_cmpx_gt_u32_e32 8, v12
; %bb.2107:                             ;   in Loop: Header=BB216_1066 Depth=1
	v_ffbh_u32_e32 v10, v8
	v_min_u32_e32 v10, 32, v10
	v_subrev_nc_u32_e32 v12, 28, v10
	v_sub_nc_u32_e32 v10, 29, v10
	v_lshlrev_b64 v[22:23], v12, v[8:9]
	v_and_b32_e32 v8, 7, v22
; %bb.2108:                             ;   in Loop: Header=BB216_1066 Depth=1
	s_or_b32 exec_lo, exec_lo, s17
	v_mov_b32_e32 v12, 24
	v_lshlrev_b32_e32 v8, 20, v8
	v_lshl_add_u32 v10, v10, 23, 0x3c000000
	v_lshlrev_b32_sdwa v12, v12, v112 dst_sel:DWORD dst_unused:UNUSED_PAD src0_sel:DWORD src1_sel:WORD_1
	v_and_b32_e32 v12, 0x80000000, v12
	v_or3_b32 v8, v8, v12, v10
	v_mov_b32_e32 v23, v9
	v_mov_b32_e32 v22, v8
.LBB216_2109:                           ;   in Loop: Header=BB216_1066 Depth=1
	s_or_b32 exec_lo, exec_lo, s16
.LBB216_2110:                           ;   in Loop: Header=BB216_1066 Depth=1
	s_or_b32 exec_lo, exec_lo, s15
.LBB216_2111:                           ;   in Loop: Header=BB216_1066 Depth=1
	s_or_b32 exec_lo, exec_lo, s13
	s_mov_b32 s13, exec_lo
	v_cmpx_lt_u32_e32 0xffffff, v112
	s_cbranch_execz .LBB216_2119
; %bb.2112:                             ;   in Loop: Header=BB216_1066 Depth=1
	v_mov_b32_e32 v10, v9
	v_mov_b32_e32 v21, v11
	v_cmp_ne_u32_sdwa s4, v112, v100 src0_sel:BYTE_3 src1_sel:DWORD
	v_mov_b32_e32 v20, v10
	s_and_saveexec_b32 s15, s4
	s_cbranch_execz .LBB216_2118
; %bb.2113:                             ;   in Loop: Header=BB216_1066 Depth=1
	v_mov_b32_e32 v12, v9
	v_mov_b32_e32 v21, v13
	v_bfe_u32 v93, v112, 24, 7
	s_mov_b32 s16, exec_lo
	v_mov_b32_e32 v20, v12
	v_cmpx_ne_u32_e32 0x7f, v93
	s_cbranch_execz .LBB216_2117
; %bb.2114:                             ;   in Loop: Header=BB216_1066 Depth=1
	v_mov_b32_e32 v8, 7
	v_lshrrev_b32_e32 v10, 3, v93
	s_mov_b32 s17, exec_lo
	v_and_b32_sdwa v8, v112, v8 dst_sel:DWORD dst_unused:UNUSED_PAD src0_sel:BYTE_3 src1_sel:DWORD
	v_cmpx_gt_u32_e32 8, v93
; %bb.2115:                             ;   in Loop: Header=BB216_1066 Depth=1
	v_ffbh_u32_e32 v10, v8
	v_min_u32_e32 v10, 32, v10
	v_subrev_nc_u32_e32 v12, 28, v10
	v_sub_nc_u32_e32 v10, 29, v10
	v_lshlrev_b64 v[20:21], v12, v[8:9]
	v_and_b32_e32 v8, 7, v20
; %bb.2116:                             ;   in Loop: Header=BB216_1066 Depth=1
	s_or_b32 exec_lo, exec_lo, s17
	v_mov_b32_e32 v12, 24
	v_lshlrev_b32_e32 v8, 20, v8
	v_lshl_add_u32 v10, v10, 23, 0x3c000000
	v_mov_b32_e32 v20, v9
	v_lshlrev_b32_sdwa v12, v12, v112 dst_sel:DWORD dst_unused:UNUSED_PAD src0_sel:DWORD src1_sel:BYTE_3
	v_and_b32_e32 v12, 0x80000000, v12
	v_or3_b32 v21, v8, v12, v10
.LBB216_2117:                           ;   in Loop: Header=BB216_1066 Depth=1
	s_or_b32 exec_lo, exec_lo, s16
.LBB216_2118:                           ;   in Loop: Header=BB216_1066 Depth=1
	s_or_b32 exec_lo, exec_lo, s15
.LBB216_2119:                           ;   in Loop: Header=BB216_1066 Depth=1
	s_or_b32 exec_lo, exec_lo, s13
	v_or_b32_e32 v5, v19, v5
	v_or_b32_e32 v4, v18, v4
	;; [unrolled: 1-line block ×4, first 2 shown]
	v_mul_f32_e32 v93, v119, v5
	v_mul_f32_e32 v112, v119, v4
	;; [unrolled: 1-line block ×4, first 2 shown]
	s_and_saveexec_b32 s13, vcc_lo
	s_cbranch_execz .LBB216_2121
; %bb.2120:                             ;   in Loop: Header=BB216_1066 Depth=1
	v_cmp_lt_i32_e64 s4, v40, v27
	v_cndmask_b32_e64 v112, 0, v112, s4
	v_cmp_lt_i32_e64 s4, v43, v27
	v_cndmask_b32_e64 v93, 0, v93, s4
	;; [unrolled: 2-line block ×4, first 2 shown]
.LBB216_2121:                           ;   in Loop: Header=BB216_1066 Depth=1
	s_or_b32 exec_lo, exec_lo, s13
	buffer_load_dword v4, off, s[0:3], s32 offset:764 ; 4-byte Folded Reload
	s_waitcnt vmcnt(0)
	v_add_co_u32 v4, s4, v16, v4
	v_add_co_ci_u32_e64 v5, null, 0, v17, s4
	v_mov_b32_e32 v16, 0
	v_mov_b32_e32 v17, 0
	flat_load_dword v94, v[4:5]
	v_mov_b32_e32 v4, 0
	v_mov_b32_e32 v5, 0
	s_waitcnt vmcnt(0) lgkmcnt(0)
	v_cmp_ne_u16_sdwa s4, v94, v9 src0_sel:BYTE_0 src1_sel:DWORD
	s_and_saveexec_b32 s13, s4
	s_cbranch_execz .LBB216_2129
; %bb.2122:                             ;   in Loop: Header=BB216_1066 Depth=1
	v_bfrev_b32_e32 v4, 1
	v_mov_b32_e32 v5, 0
	v_cmp_ne_u16_sdwa s4, v94, v100 src0_sel:BYTE_0 src1_sel:DWORD
	s_and_saveexec_b32 s15, s4
	s_cbranch_execz .LBB216_2128
; %bb.2123:                             ;   in Loop: Header=BB216_1066 Depth=1
	v_mov_b32_e32 v4, 0x7f800001
	v_and_b32_e32 v10, 0x7f, v94
	v_mov_b32_e32 v5, 0
	s_mov_b32 s16, exec_lo
	v_cmpx_ne_u32_e32 0x7f, v10
	s_cbranch_execz .LBB216_2127
; %bb.2124:                             ;   in Loop: Header=BB216_1066 Depth=1
	v_and_b32_e32 v8, 7, v94
	v_lshrrev_b32_e32 v4, 3, v10
	s_mov_b32 s17, exec_lo
	v_cmpx_gt_u32_e32 8, v10
; %bb.2125:                             ;   in Loop: Header=BB216_1066 Depth=1
	v_ffbh_u32_e32 v4, v8
	v_min_u32_e32 v4, 32, v4
	v_subrev_nc_u32_e32 v5, 28, v4
	v_sub_nc_u32_e32 v4, 29, v4
	v_lshlrev_b64 v[18:19], v5, v[8:9]
	v_and_b32_e32 v8, 7, v18
; %bb.2126:                             ;   in Loop: Header=BB216_1066 Depth=1
	s_or_b32 exec_lo, exec_lo, s17
	v_lshlrev_b32_e32 v5, 24, v94
	v_lshlrev_b32_e32 v8, 20, v8
	v_lshl_add_u32 v4, v4, 23, 0x3c000000
	v_and_b32_e32 v5, 0x80000000, v5
	v_or3_b32 v8, v8, v5, v4
	v_mov_b32_e32 v4, v8
	v_mov_b32_e32 v5, v9
.LBB216_2127:                           ;   in Loop: Header=BB216_1066 Depth=1
	s_or_b32 exec_lo, exec_lo, s16
.LBB216_2128:                           ;   in Loop: Header=BB216_1066 Depth=1
	s_or_b32 exec_lo, exec_lo, s15
.LBB216_2129:                           ;   in Loop: Header=BB216_1066 Depth=1
	s_or_b32 exec_lo, exec_lo, s13
	v_cmp_ne_u16_sdwa s4, v94, v9 src0_sel:BYTE_1 src1_sel:DWORD
	s_and_saveexec_b32 s13, s4
	s_cbranch_execz .LBB216_2137
; %bb.2130:                             ;   in Loop: Header=BB216_1066 Depth=1
	v_mov_b32_e32 v10, v9
	v_mov_b32_e32 v17, v11
	v_cmp_ne_u16_sdwa s4, v94, v100 src0_sel:BYTE_1 src1_sel:DWORD
	v_mov_b32_e32 v16, v10
	s_and_saveexec_b32 s15, s4
	s_cbranch_execz .LBB216_2136
; %bb.2131:                             ;   in Loop: Header=BB216_1066 Depth=1
	v_mov_b32_e32 v8, 0xffff
	v_mov_b32_e32 v12, v9
	;; [unrolled: 1-line block ×3, first 2 shown]
	s_mov_b32 s16, exec_lo
	v_and_b32_sdwa v8, v8, v94 dst_sel:DWORD dst_unused:UNUSED_PAD src0_sel:DWORD src1_sel:BYTE_1
	v_mov_b32_e32 v16, v12
	v_and_b32_e32 v18, 0x7f, v8
	v_cmpx_ne_u32_e32 0x7f, v18
	s_cbranch_execz .LBB216_2135
; %bb.2132:                             ;   in Loop: Header=BB216_1066 Depth=1
	v_and_b32_e32 v8, 7, v8
	v_lshrrev_b32_e32 v10, 3, v18
	s_mov_b32 s17, exec_lo
	v_cmpx_gt_u32_e32 8, v18
; %bb.2133:                             ;   in Loop: Header=BB216_1066 Depth=1
	v_ffbh_u32_e32 v10, v8
	v_min_u32_e32 v10, 32, v10
	v_subrev_nc_u32_e32 v12, 28, v10
	v_sub_nc_u32_e32 v10, 29, v10
	v_lshlrev_b64 v[16:17], v12, v[8:9]
	v_and_b32_e32 v8, 7, v16
; %bb.2134:                             ;   in Loop: Header=BB216_1066 Depth=1
	s_or_b32 exec_lo, exec_lo, s17
	v_lshlrev_b32_e32 v12, 16, v94
	v_lshlrev_b32_e32 v8, 20, v8
	v_lshl_add_u32 v10, v10, 23, 0x3c000000
	v_mov_b32_e32 v16, v9
	v_and_b32_e32 v12, 0x80000000, v12
	v_or3_b32 v17, v8, v12, v10
.LBB216_2135:                           ;   in Loop: Header=BB216_1066 Depth=1
	s_or_b32 exec_lo, exec_lo, s16
.LBB216_2136:                           ;   in Loop: Header=BB216_1066 Depth=1
	s_or_b32 exec_lo, exec_lo, s15
.LBB216_2137:                           ;   in Loop: Header=BB216_1066 Depth=1
	s_or_b32 exec_lo, exec_lo, s13
	v_mov_b32_e32 v18, 0
	v_mov_b32_e32 v20, 0
	v_and_b32_sdwa v8, v94, v102 dst_sel:DWORD dst_unused:UNUSED_PAD src0_sel:WORD_1 src1_sel:DWORD
	v_mov_b32_e32 v19, 0
	v_mov_b32_e32 v21, 0
	s_mov_b32 s13, exec_lo
	v_cmpx_ne_u16_e32 0, v8
	s_cbranch_execz .LBB216_2145
; %bb.2138:                             ;   in Loop: Header=BB216_1066 Depth=1
	v_bfrev_b32_e32 v20, 1
	v_mov_b32_e32 v21, 0
	s_mov_b32 s15, exec_lo
	v_cmpx_ne_u16_e32 0x80, v8
	s_cbranch_execz .LBB216_2144
; %bb.2139:                             ;   in Loop: Header=BB216_1066 Depth=1
	v_mov_b32_e32 v20, 0x7f800001
	v_bfe_u32 v12, v94, 16, 7
	v_mov_b32_e32 v21, 0
	s_mov_b32 s16, exec_lo
	v_cmpx_ne_u32_e32 0x7f, v12
	s_cbranch_execz .LBB216_2143
; %bb.2140:                             ;   in Loop: Header=BB216_1066 Depth=1
	v_mov_b32_e32 v8, 7
	v_lshrrev_b32_e32 v10, 3, v12
	s_mov_b32 s17, exec_lo
	v_and_b32_sdwa v8, v94, v8 dst_sel:DWORD dst_unused:UNUSED_PAD src0_sel:WORD_1 src1_sel:DWORD
	v_cmpx_gt_u32_e32 8, v12
; %bb.2141:                             ;   in Loop: Header=BB216_1066 Depth=1
	v_ffbh_u32_e32 v10, v8
	v_min_u32_e32 v10, 32, v10
	v_subrev_nc_u32_e32 v12, 28, v10
	v_sub_nc_u32_e32 v10, 29, v10
	v_lshlrev_b64 v[20:21], v12, v[8:9]
	v_and_b32_e32 v8, 7, v20
; %bb.2142:                             ;   in Loop: Header=BB216_1066 Depth=1
	s_or_b32 exec_lo, exec_lo, s17
	v_mov_b32_e32 v12, 24
	v_lshlrev_b32_e32 v8, 20, v8
	v_lshl_add_u32 v10, v10, 23, 0x3c000000
	v_lshlrev_b32_sdwa v12, v12, v94 dst_sel:DWORD dst_unused:UNUSED_PAD src0_sel:DWORD src1_sel:WORD_1
	v_and_b32_e32 v12, 0x80000000, v12
	v_or3_b32 v8, v8, v12, v10
	v_mov_b32_e32 v21, v9
	v_mov_b32_e32 v20, v8
.LBB216_2143:                           ;   in Loop: Header=BB216_1066 Depth=1
	s_or_b32 exec_lo, exec_lo, s16
.LBB216_2144:                           ;   in Loop: Header=BB216_1066 Depth=1
	s_or_b32 exec_lo, exec_lo, s15
.LBB216_2145:                           ;   in Loop: Header=BB216_1066 Depth=1
	s_or_b32 exec_lo, exec_lo, s13
	s_mov_b32 s13, exec_lo
	v_cmpx_lt_u32_e32 0xffffff, v94
	s_cbranch_execz .LBB216_2153
; %bb.2146:                             ;   in Loop: Header=BB216_1066 Depth=1
	v_mov_b32_e32 v10, v9
	v_mov_b32_e32 v19, v11
	v_cmp_ne_u32_sdwa s4, v94, v100 src0_sel:BYTE_3 src1_sel:DWORD
	v_mov_b32_e32 v18, v10
	s_and_saveexec_b32 s15, s4
	s_cbranch_execz .LBB216_2152
; %bb.2147:                             ;   in Loop: Header=BB216_1066 Depth=1
	v_mov_b32_e32 v12, v9
	v_mov_b32_e32 v19, v13
	v_bfe_u32 v95, v94, 24, 7
	s_mov_b32 s16, exec_lo
	v_mov_b32_e32 v18, v12
	v_cmpx_ne_u32_e32 0x7f, v95
	s_cbranch_execz .LBB216_2151
; %bb.2148:                             ;   in Loop: Header=BB216_1066 Depth=1
	v_mov_b32_e32 v8, 7
	v_lshrrev_b32_e32 v10, 3, v95
	s_mov_b32 s17, exec_lo
	v_and_b32_sdwa v8, v94, v8 dst_sel:DWORD dst_unused:UNUSED_PAD src0_sel:BYTE_3 src1_sel:DWORD
	v_cmpx_gt_u32_e32 8, v95
; %bb.2149:                             ;   in Loop: Header=BB216_1066 Depth=1
	v_ffbh_u32_e32 v10, v8
	v_min_u32_e32 v10, 32, v10
	v_subrev_nc_u32_e32 v12, 28, v10
	v_sub_nc_u32_e32 v10, 29, v10
	v_lshlrev_b64 v[18:19], v12, v[8:9]
	v_and_b32_e32 v8, 7, v18
; %bb.2150:                             ;   in Loop: Header=BB216_1066 Depth=1
	s_or_b32 exec_lo, exec_lo, s17
	v_mov_b32_e32 v12, 24
	v_lshlrev_b32_e32 v8, 20, v8
	v_lshl_add_u32 v10, v10, 23, 0x3c000000
	v_mov_b32_e32 v18, v9
	v_lshlrev_b32_sdwa v12, v12, v94 dst_sel:DWORD dst_unused:UNUSED_PAD src0_sel:DWORD src1_sel:BYTE_3
	v_and_b32_e32 v12, 0x80000000, v12
	v_or3_b32 v19, v8, v12, v10
.LBB216_2151:                           ;   in Loop: Header=BB216_1066 Depth=1
	s_or_b32 exec_lo, exec_lo, s16
.LBB216_2152:                           ;   in Loop: Header=BB216_1066 Depth=1
	s_or_b32 exec_lo, exec_lo, s15
.LBB216_2153:                           ;   in Loop: Header=BB216_1066 Depth=1
	s_or_b32 exec_lo, exec_lo, s13
	v_or_b32_e32 v5, v17, v5
	v_or_b32_e32 v4, v16, v4
	;; [unrolled: 1-line block ×4, first 2 shown]
	v_mul_f32_e32 v10, v119, v5
	v_mul_f32_e32 v8, v119, v4
	;; [unrolled: 1-line block ×4, first 2 shown]
	s_and_saveexec_b32 s4, vcc_lo
	s_cbranch_execz .LBB216_1064
; %bb.2154:                             ;   in Loop: Header=BB216_1066 Depth=1
	v_cmp_lt_i32_e32 vcc_lo, v40, v27
	v_cndmask_b32_e32 v8, 0, v8, vcc_lo
	v_cmp_lt_i32_e32 vcc_lo, v43, v27
	v_cndmask_b32_e32 v10, 0, v10, vcc_lo
	;; [unrolled: 2-line block ×4, first 2 shown]
	s_branch .LBB216_1064
.LBB216_2155:
	s_or_b32 exec_lo, exec_lo, s11
	s_clause 0x1d
	buffer_load_dword v65, off, s[0:3], s32 offset:772
	buffer_load_dword v66, off, s[0:3], s32 offset:780
	;; [unrolled: 1-line block ×30, first 2 shown]
.LBB216_2156:
	s_or_b32 exec_lo, exec_lo, s7
	ds_bpermute_b32 v3, v28, v6
	v_mov_b32_e32 v16, v6
	s_waitcnt vmcnt(5)
	ds_bpermute_b32 v6, v28, v68
	s_waitcnt vmcnt(1)
	ds_bpermute_b32 v0, v28, v80
	ds_bpermute_b32 v2, v28, v71
	;; [unrolled: 1-line block ×3, first 2 shown]
	s_waitcnt vmcnt(0)
	ds_bpermute_b32 v1, v28, v81
	ds_bpermute_b32 v4, v28, v70
	;; [unrolled: 1-line block ×11, first 2 shown]
	v_mov_b32_e32 v24, v20
	s_waitcnt lgkmcnt(0)
	s_waitcnt_vscnt null, 0x0
	s_barrier
	v_add_f32_e32 v3, v16, v3
	buffer_gl0_inv
	v_add_f32_e32 v6, v68, v6
	v_add_f32_e32 v0, v80, v0
	;; [unrolled: 1-line block ×4, first 2 shown]
	v_mov_b32_e32 v25, v21
	ds_bpermute_b32 v22, v29, v6
	v_add_f32_e32 v1, v81, v1
	v_add_f32_e32 v4, v70, v4
	;; [unrolled: 1-line block ×4, first 2 shown]
	ds_bpermute_b32 v16, v29, v0
	v_add_f32_e32 v8, v64, v8
	v_add_f32_e32 v9, v32, v9
	;; [unrolled: 1-line block ×3, first 2 shown]
	ds_bpermute_b32 v18, v29, v2
	v_add_f32_e32 v13, v26, v13
	v_add_f32_e32 v14, v25, v14
	ds_bpermute_b32 v17, v29, v1
	v_add_f32_e32 v12, v23, v12
	ds_bpermute_b32 v19, v29, v3
	ds_bpermute_b32 v20, v29, v4
	ds_bpermute_b32 v21, v29, v5
	ds_bpermute_b32 v23, v29, v7
	v_add_f32_e32 v15, v24, v15
	ds_bpermute_b32 v24, v29, v8
	ds_bpermute_b32 v25, v29, v9
	ds_bpermute_b32 v26, v29, v10
	ds_bpermute_b32 v27, v29, v11
	ds_bpermute_b32 v30, v29, v13
	ds_bpermute_b32 v31, v29, v14
	s_waitcnt lgkmcnt(13)
	v_add_f32_e32 v6, v6, v22
	ds_bpermute_b32 v22, v28, v33
	ds_bpermute_b32 v32, v29, v15
	s_waitcnt lgkmcnt(14)
	v_add_f32_e32 v0, v0, v16
	ds_bpermute_b32 v16, v28, v38
	s_waitcnt lgkmcnt(14)
	v_add_f32_e32 v2, v2, v18
	;; [unrolled: 3-line block ×4, first 2 shown]
	s_waitcnt lgkmcnt(13)
	v_add_f32_e32 v4, v4, v20
	s_waitcnt lgkmcnt(12)
	v_add_f32_e32 v5, v5, v21
	;; [unrolled: 2-line block ×3, first 2 shown]
	ds_bpermute_b32 v19, v28, v36
	ds_bpermute_b32 v20, v28, v35
	;; [unrolled: 1-line block ×3, first 2 shown]
	s_waitcnt lgkmcnt(13)
	v_add_f32_e32 v8, v8, v24
	s_waitcnt lgkmcnt(12)
	v_add_f32_e32 v9, v9, v25
	;; [unrolled: 2-line block ×6, first 2 shown]
	ds_bpermute_b32 v23, v28, v51
	ds_bpermute_b32 v24, v28, v50
	;; [unrolled: 1-line block ×5, first 2 shown]
	s_waitcnt lgkmcnt(12)
	v_add_f32_e32 v22, v33, v22
	ds_bpermute_b32 v30, v28, v55
	ds_bpermute_b32 v31, v28, v54
	;; [unrolled: 1-line block ×3, first 2 shown]
	s_waitcnt lgkmcnt(14)
	v_add_f32_e32 v15, v15, v32
	ds_bpermute_b32 v32, v28, v53
	ds_bpermute_b32 v28, v28, v104
	s_waitcnt lgkmcnt(15)
	v_add_f32_e32 v16, v38, v16
	s_waitcnt lgkmcnt(14)
	v_add_f32_e32 v18, v37, v18
	;; [unrolled: 2-line block ×5, first 2 shown]
	ds_bpermute_b32 v17, v29, v16
	s_waitcnt lgkmcnt(11)
	v_add_f32_e32 v21, v34, v21
	ds_bpermute_b32 v34, v29, v18
	s_waitcnt lgkmcnt(11)
	v_add_f32_e32 v23, v51, v23
	s_waitcnt lgkmcnt(10)
	v_add_f32_e32 v24, v50, v24
	s_waitcnt lgkmcnt(9)
	v_add_f32_e32 v25, v49, v25
	s_waitcnt lgkmcnt(8)
	v_add_f32_e32 v26, v48, v26
	s_waitcnt lgkmcnt(7)
	v_add_f32_e32 v27, v39, v27
	ds_bpermute_b32 v35, v29, v19
	s_waitcnt lgkmcnt(7)
	v_add_f32_e32 v30, v55, v30
	s_waitcnt lgkmcnt(6)
	v_add_f32_e32 v31, v54, v31
	;; [unrolled: 2-line block ×3, first 2 shown]
	ds_bpermute_b32 v36, v29, v20
	ds_bpermute_b32 v37, v29, v21
	;; [unrolled: 1-line block ×8, first 2 shown]
	s_waitcnt lgkmcnt(12)
	v_add_f32_e32 v32, v53, v32
	s_waitcnt lgkmcnt(11)
	v_add_f32_e32 v52, v104, v28
	ds_bpermute_b32 v28, v29, v30
	ds_bpermute_b32 v53, v29, v31
	;; [unrolled: 1-line block ×3, first 2 shown]
	s_load_dword s4, s[8:9], 0x0
	s_waitcnt lgkmcnt(0)
	v_add_f32_e32 v16, v16, v17
	v_add_f32_e32 v17, v18, v34
	v_and_b32_e32 v34, 28, v65
	v_add_f32_e32 v18, v19, v35
	ds_bpermute_b32 v54, v29, v32
	ds_bpermute_b32 v64, v29, v52
	v_add_f32_e32 v19, v20, v36
	v_add_f32_e32 v20, v21, v37
	;; [unrolled: 1-line block ×8, first 2 shown]
	s_mov_b32 s7, exec_lo
	v_add_f32_e32 v27, v30, v28
	v_add_f32_e32 v28, v31, v53
	;; [unrolled: 1-line block ×3, first 2 shown]
	buffer_load_dword v31, off, s[0:3], s32 offset:1064 ; 4-byte Folded Reload
	v_add_nc_u32_e32 v33, s4, v34
	buffer_load_dword v34, off, s[0:3], s32 offset:1112 ; 4-byte Folded Reload
	s_waitcnt lgkmcnt(1)
	v_add_f32_e32 v29, v32, v54
	v_lshrrev_b32_e32 v32, 2, v65
	s_waitcnt vmcnt(1)
	v_and_b32_e32 v35, 0x3c3, v31
	s_waitcnt lgkmcnt(0)
	v_add_f32_e32 v31, v52, v64
	s_waitcnt vmcnt(0)
	v_lshlrev_b32_e32 v34, 10, v34
	v_cmpx_eq_u32_e32 64, v35
	s_cbranch_execz .LBB216_2158
; %bb.2157:
	v_add_nc_u32_e32 v35, v33, v34
	v_add_nc_u32_e32 v36, 0xfffff800, v35
	;; [unrolled: 1-line block ×8, first 2 shown]
	ds_write_b32 v36, v0
	ds_write_b32 v37, v1
	;; [unrolled: 1-line block ×7, first 2 shown]
	v_add_nc_u32_e32 v36, 0xfffff8e0, v35
	v_add_nc_u32_e32 v37, 0xfffff900, v35
	v_add_nc_u32_e32 v38, 0xfffff920, v35
	v_add_nc_u32_e32 v39, 0xfffff940, v35
	v_add_nc_u32_e32 v48, 0xfffff960, v35
	ds_write_b32 v36, v7
	ds_write_b32 v37, v8
	ds_write_b32 v38, v9
	ds_write_b32 v39, v10
	ds_write_b32 v48, v11
	v_add_nc_u32_e32 v36, 0xfffff980, v35
	v_add_nc_u32_e32 v37, 0xfffff9a0, v35
	v_add_nc_u32_e32 v38, 0xfffff9c0, v35
	v_add_nc_u32_e32 v39, 0xfffff9e0, v35
	v_add_nc_u32_e32 v48, 0xfffffa00, v35
	ds_write_b32 v36, v12
	ds_write_b32 v37, v13
	ds_write_b32 v38, v14
	ds_write_b32 v39, v15
	ds_write_b32 v48, v16
	;; [unrolled: 10-line block ×5, first 2 shown]
.LBB216_2158:
	s_or_b32 exec_lo, exec_lo, s7
	v_lshlrev_b32_e32 v32, 2, v32
	s_mov_b32 s7, exec_lo
	v_cmp_eq_u32_e32 vcc_lo, 0, v66
	v_add3_u32 v32, s4, v34, v32
	buffer_load_dword v34, off, s[0:3], s32 offset:1064 ; 4-byte Folded Reload
	s_waitcnt vmcnt(0) lgkmcnt(0)
	s_barrier
	buffer_gl0_inv
	v_cmpx_gt_u32_e32 64, v34
	s_cbranch_execz .LBB216_2193
; %bb.2159:
	s_and_saveexec_b32 s4, vcc_lo
	s_cbranch_execnz .LBB216_2233
; %bb.2160:
	s_or_b32 exec_lo, exec_lo, s4
	s_and_saveexec_b32 s4, vcc_lo
	s_cbranch_execnz .LBB216_2234
.LBB216_2161:
	s_or_b32 exec_lo, exec_lo, s4
	s_and_saveexec_b32 s4, vcc_lo
	s_cbranch_execnz .LBB216_2235
.LBB216_2162:
	s_or_b32 exec_lo, exec_lo, s4
	s_and_saveexec_b32 s4, vcc_lo
	s_cbranch_execnz .LBB216_2236
.LBB216_2163:
	s_or_b32 exec_lo, exec_lo, s4
	s_and_saveexec_b32 s4, vcc_lo
	s_cbranch_execnz .LBB216_2237
.LBB216_2164:
	s_or_b32 exec_lo, exec_lo, s4
	s_and_saveexec_b32 s4, vcc_lo
	s_cbranch_execnz .LBB216_2238
.LBB216_2165:
	s_or_b32 exec_lo, exec_lo, s4
	s_and_saveexec_b32 s4, vcc_lo
	s_cbranch_execnz .LBB216_2239
.LBB216_2166:
	s_or_b32 exec_lo, exec_lo, s4
	s_and_saveexec_b32 s4, vcc_lo
	s_cbranch_execnz .LBB216_2240
.LBB216_2167:
	s_or_b32 exec_lo, exec_lo, s4
	s_and_saveexec_b32 s4, vcc_lo
	s_cbranch_execnz .LBB216_2241
.LBB216_2168:
	s_or_b32 exec_lo, exec_lo, s4
	s_and_saveexec_b32 s4, vcc_lo
	s_cbranch_execnz .LBB216_2242
.LBB216_2169:
	s_or_b32 exec_lo, exec_lo, s4
	s_and_saveexec_b32 s4, vcc_lo
	s_cbranch_execnz .LBB216_2243
.LBB216_2170:
	s_or_b32 exec_lo, exec_lo, s4
	s_and_saveexec_b32 s4, vcc_lo
	s_cbranch_execnz .LBB216_2244
.LBB216_2171:
	s_or_b32 exec_lo, exec_lo, s4
	s_and_saveexec_b32 s4, vcc_lo
	s_cbranch_execnz .LBB216_2245
.LBB216_2172:
	s_or_b32 exec_lo, exec_lo, s4
	s_and_saveexec_b32 s4, vcc_lo
	s_cbranch_execnz .LBB216_2246
.LBB216_2173:
	s_or_b32 exec_lo, exec_lo, s4
	s_and_saveexec_b32 s4, vcc_lo
	s_cbranch_execnz .LBB216_2247
.LBB216_2174:
	s_or_b32 exec_lo, exec_lo, s4
	s_and_saveexec_b32 s4, vcc_lo
	s_cbranch_execnz .LBB216_2248
.LBB216_2175:
	s_or_b32 exec_lo, exec_lo, s4
	s_and_saveexec_b32 s4, vcc_lo
	s_cbranch_execnz .LBB216_2249
.LBB216_2176:
	s_or_b32 exec_lo, exec_lo, s4
	s_and_saveexec_b32 s4, vcc_lo
	s_cbranch_execnz .LBB216_2250
.LBB216_2177:
	s_or_b32 exec_lo, exec_lo, s4
	s_and_saveexec_b32 s4, vcc_lo
	s_cbranch_execnz .LBB216_2251
.LBB216_2178:
	s_or_b32 exec_lo, exec_lo, s4
	s_and_saveexec_b32 s4, vcc_lo
	s_cbranch_execnz .LBB216_2252
.LBB216_2179:
	s_or_b32 exec_lo, exec_lo, s4
	s_and_saveexec_b32 s4, vcc_lo
	s_cbranch_execnz .LBB216_2253
.LBB216_2180:
	s_or_b32 exec_lo, exec_lo, s4
	s_and_saveexec_b32 s4, vcc_lo
	s_cbranch_execnz .LBB216_2254
.LBB216_2181:
	s_or_b32 exec_lo, exec_lo, s4
	s_and_saveexec_b32 s4, vcc_lo
	s_cbranch_execnz .LBB216_2255
.LBB216_2182:
	s_or_b32 exec_lo, exec_lo, s4
	s_and_saveexec_b32 s4, vcc_lo
	s_cbranch_execnz .LBB216_2256
.LBB216_2183:
	s_or_b32 exec_lo, exec_lo, s4
	s_and_saveexec_b32 s4, vcc_lo
	s_cbranch_execnz .LBB216_2257
.LBB216_2184:
	s_or_b32 exec_lo, exec_lo, s4
	s_and_saveexec_b32 s4, vcc_lo
	s_cbranch_execnz .LBB216_2258
.LBB216_2185:
	s_or_b32 exec_lo, exec_lo, s4
	s_and_saveexec_b32 s4, vcc_lo
	s_cbranch_execnz .LBB216_2259
.LBB216_2186:
	s_or_b32 exec_lo, exec_lo, s4
	s_and_saveexec_b32 s4, vcc_lo
	s_cbranch_execnz .LBB216_2260
.LBB216_2187:
	s_or_b32 exec_lo, exec_lo, s4
	s_and_saveexec_b32 s4, vcc_lo
	s_cbranch_execnz .LBB216_2261
.LBB216_2188:
	s_or_b32 exec_lo, exec_lo, s4
	s_and_saveexec_b32 s4, vcc_lo
	s_cbranch_execnz .LBB216_2262
.LBB216_2189:
	s_or_b32 exec_lo, exec_lo, s4
	s_and_saveexec_b32 s4, vcc_lo
	s_cbranch_execnz .LBB216_2263
.LBB216_2190:
	s_or_b32 exec_lo, exec_lo, s4
	s_and_saveexec_b32 s4, vcc_lo
	s_cbranch_execz .LBB216_2192
.LBB216_2191:
	ds_read_b32 v34, v32 offset:992
	s_waitcnt lgkmcnt(0)
	v_add_f32_e32 v31, v34, v31
.LBB216_2192:
	s_or_b32 exec_lo, exec_lo, s4
.LBB216_2193:
	s_or_b32 exec_lo, exec_lo, s7
	buffer_load_dword v34, off, s[0:3], s32 offset:1064 ; 4-byte Folded Reload
	s_mov_b32 s7, exec_lo
	s_waitcnt vmcnt(0)
	s_barrier
	buffer_gl0_inv
	v_and_b32_e32 v34, 0x3e3, v34
	v_cmpx_eq_u32_e32 32, v34
	s_cbranch_execz .LBB216_2195
; %bb.2194:
	ds_write2_b32 v33, v0, v1 offset1:8
	ds_write2_b32 v33, v2, v3 offset0:16 offset1:24
	ds_write2_b32 v33, v4, v5 offset0:32 offset1:40
	;; [unrolled: 1-line block ×15, first 2 shown]
.LBB216_2195:
	s_or_b32 exec_lo, exec_lo, s7
	buffer_load_dword v33, off, s[0:3], s32 offset:1064 ; 4-byte Folded Reload
	s_mov_b32 s7, exec_lo
	s_waitcnt vmcnt(0) lgkmcnt(0)
	s_barrier
	buffer_gl0_inv
	v_cmpx_gt_u32_e32 32, v33
	s_cbranch_execz .LBB216_2230
; %bb.2196:
	s_and_saveexec_b32 s4, vcc_lo
	s_cbranch_execnz .LBB216_2264
; %bb.2197:
	s_or_b32 exec_lo, exec_lo, s4
	s_and_saveexec_b32 s4, vcc_lo
	s_cbranch_execnz .LBB216_2265
.LBB216_2198:
	s_or_b32 exec_lo, exec_lo, s4
	s_and_saveexec_b32 s4, vcc_lo
	s_cbranch_execnz .LBB216_2266
.LBB216_2199:
	s_or_b32 exec_lo, exec_lo, s4
	s_and_saveexec_b32 s4, vcc_lo
	s_cbranch_execnz .LBB216_2267
.LBB216_2200:
	s_or_b32 exec_lo, exec_lo, s4
	s_and_saveexec_b32 s4, vcc_lo
	s_cbranch_execnz .LBB216_2268
.LBB216_2201:
	s_or_b32 exec_lo, exec_lo, s4
	s_and_saveexec_b32 s4, vcc_lo
	s_cbranch_execnz .LBB216_2269
.LBB216_2202:
	s_or_b32 exec_lo, exec_lo, s4
	s_and_saveexec_b32 s4, vcc_lo
	s_cbranch_execnz .LBB216_2270
.LBB216_2203:
	s_or_b32 exec_lo, exec_lo, s4
	s_and_saveexec_b32 s4, vcc_lo
	s_cbranch_execnz .LBB216_2271
.LBB216_2204:
	s_or_b32 exec_lo, exec_lo, s4
	s_and_saveexec_b32 s4, vcc_lo
	s_cbranch_execnz .LBB216_2272
.LBB216_2205:
	s_or_b32 exec_lo, exec_lo, s4
	s_and_saveexec_b32 s4, vcc_lo
	s_cbranch_execnz .LBB216_2273
.LBB216_2206:
	s_or_b32 exec_lo, exec_lo, s4
	s_and_saveexec_b32 s4, vcc_lo
	s_cbranch_execnz .LBB216_2274
.LBB216_2207:
	s_or_b32 exec_lo, exec_lo, s4
	s_and_saveexec_b32 s4, vcc_lo
	s_cbranch_execnz .LBB216_2275
.LBB216_2208:
	s_or_b32 exec_lo, exec_lo, s4
	s_and_saveexec_b32 s4, vcc_lo
	s_cbranch_execnz .LBB216_2276
.LBB216_2209:
	s_or_b32 exec_lo, exec_lo, s4
	s_and_saveexec_b32 s4, vcc_lo
	s_cbranch_execnz .LBB216_2277
.LBB216_2210:
	s_or_b32 exec_lo, exec_lo, s4
	s_and_saveexec_b32 s4, vcc_lo
	s_cbranch_execnz .LBB216_2278
.LBB216_2211:
	s_or_b32 exec_lo, exec_lo, s4
	s_and_saveexec_b32 s4, vcc_lo
	s_cbranch_execnz .LBB216_2279
.LBB216_2212:
	s_or_b32 exec_lo, exec_lo, s4
	s_and_saveexec_b32 s4, vcc_lo
	s_cbranch_execnz .LBB216_2280
.LBB216_2213:
	s_or_b32 exec_lo, exec_lo, s4
	s_and_saveexec_b32 s4, vcc_lo
	s_cbranch_execnz .LBB216_2281
.LBB216_2214:
	s_or_b32 exec_lo, exec_lo, s4
	s_and_saveexec_b32 s4, vcc_lo
	s_cbranch_execnz .LBB216_2282
.LBB216_2215:
	s_or_b32 exec_lo, exec_lo, s4
	s_and_saveexec_b32 s4, vcc_lo
	s_cbranch_execnz .LBB216_2283
.LBB216_2216:
	s_or_b32 exec_lo, exec_lo, s4
	s_and_saveexec_b32 s4, vcc_lo
	s_cbranch_execnz .LBB216_2284
.LBB216_2217:
	s_or_b32 exec_lo, exec_lo, s4
	s_and_saveexec_b32 s4, vcc_lo
	s_cbranch_execnz .LBB216_2285
.LBB216_2218:
	s_or_b32 exec_lo, exec_lo, s4
	s_and_saveexec_b32 s4, vcc_lo
	s_cbranch_execnz .LBB216_2286
.LBB216_2219:
	s_or_b32 exec_lo, exec_lo, s4
	s_and_saveexec_b32 s4, vcc_lo
	s_cbranch_execnz .LBB216_2287
.LBB216_2220:
	s_or_b32 exec_lo, exec_lo, s4
	s_and_saveexec_b32 s4, vcc_lo
	s_cbranch_execnz .LBB216_2288
.LBB216_2221:
	s_or_b32 exec_lo, exec_lo, s4
	s_and_saveexec_b32 s4, vcc_lo
	s_cbranch_execnz .LBB216_2289
.LBB216_2222:
	s_or_b32 exec_lo, exec_lo, s4
	s_and_saveexec_b32 s4, vcc_lo
	s_cbranch_execnz .LBB216_2290
.LBB216_2223:
	s_or_b32 exec_lo, exec_lo, s4
	s_and_saveexec_b32 s4, vcc_lo
	s_cbranch_execnz .LBB216_2291
.LBB216_2224:
	s_or_b32 exec_lo, exec_lo, s4
	s_and_saveexec_b32 s4, vcc_lo
	s_cbranch_execnz .LBB216_2292
.LBB216_2225:
	s_or_b32 exec_lo, exec_lo, s4
	s_and_saveexec_b32 s4, vcc_lo
	s_cbranch_execnz .LBB216_2293
.LBB216_2226:
	s_or_b32 exec_lo, exec_lo, s4
	s_and_saveexec_b32 s4, vcc_lo
	s_cbranch_execnz .LBB216_2294
.LBB216_2227:
	s_or_b32 exec_lo, exec_lo, s4
	s_and_saveexec_b32 s4, vcc_lo
	s_cbranch_execz .LBB216_2229
.LBB216_2228:
	ds_read_b32 v32, v32 offset:992
	s_waitcnt lgkmcnt(0)
	v_add_f32_e32 v31, v32, v31
.LBB216_2229:
	s_or_b32 exec_lo, exec_lo, s4
.LBB216_2230:
	s_or_b32 exec_lo, exec_lo, s7
	v_cmp_eq_u32_e32 vcc_lo, 0, v34
	s_barrier
	buffer_gl0_inv
	s_and_b32 exec_lo, exec_lo, vcc_lo
	s_cbranch_execz .LBB216_2232
; %bb.2231:
	s_clause 0x2
	buffer_load_dword v32, off, s[0:3], s32 offset:1120
	buffer_load_dword v33, off, s[0:3], s32 offset:1116
	;; [unrolled: 1-line block ×3, first 2 shown]
	s_lshl_b32 s6, s6, 8
	s_mul_i32 s4, s10, s5
	s_ashr_i32 s7, s6, 31
	s_ashr_i32 s5, s4, 31
	s_lshl_b64 s[6:7], s[6:7], 2
	s_lshl_b64 s[4:5], s[4:5], 2
	s_waitcnt vmcnt(2)
	v_add_co_u32 v32, vcc_lo, v32, s6
	s_waitcnt vmcnt(1)
	v_add_co_ci_u32_e64 v33, null, s7, v33, vcc_lo
	s_lshl_b32 s6, s14, 8
	v_add_co_u32 v32, vcc_lo, v32, s4
	s_ashr_i32 s7, s6, 31
	v_add_co_ci_u32_e64 v33, null, s5, v33, vcc_lo
	s_lshl_b64 s[4:5], s[6:7], 2
	v_add_co_u32 v32, vcc_lo, v32, s4
	v_add_co_ci_u32_e64 v33, null, s5, v33, vcc_lo
	s_waitcnt vmcnt(0)
	v_add_co_u32 v32, vcc_lo, v32, v34
	v_add_co_ci_u32_e64 v33, null, 0, v33, vcc_lo
	flat_store_dword v[32:33], v0
	flat_store_dword v[32:33], v1 offset:32
	flat_store_dword v[32:33], v2 offset:64
	;; [unrolled: 1-line block ×31, first 2 shown]
.LBB216_2232:
	s_or_b32 exec_lo, exec_lo, s19
	s_clause 0x2f
	buffer_load_dword v127, off, s[0:3], s32 offset:8
	buffer_load_dword v126, off, s[0:3], s32 offset:12
	;; [unrolled: 1-line block ×48, first 2 shown]
	s_waitcnt vmcnt(0) lgkmcnt(0)
	s_setpc_b64 s[30:31]
.LBB216_2233:
	ds_read_b32 v34, v32
	s_waitcnt lgkmcnt(0)
	v_add_f32_e32 v0, v34, v0
	s_or_b32 exec_lo, exec_lo, s4
	s_and_saveexec_b32 s4, vcc_lo
	s_cbranch_execz .LBB216_2161
.LBB216_2234:
	ds_read_b32 v34, v32 offset:32
	s_waitcnt lgkmcnt(0)
	v_add_f32_e32 v1, v34, v1
	s_or_b32 exec_lo, exec_lo, s4
	s_and_saveexec_b32 s4, vcc_lo
	s_cbranch_execz .LBB216_2162
.LBB216_2235:
	ds_read_b32 v34, v32 offset:64
	s_waitcnt lgkmcnt(0)
	v_add_f32_e32 v2, v34, v2
	s_or_b32 exec_lo, exec_lo, s4
	s_and_saveexec_b32 s4, vcc_lo
	s_cbranch_execz .LBB216_2163
.LBB216_2236:
	ds_read_b32 v34, v32 offset:96
	s_waitcnt lgkmcnt(0)
	v_add_f32_e32 v3, v34, v3
	s_or_b32 exec_lo, exec_lo, s4
	s_and_saveexec_b32 s4, vcc_lo
	s_cbranch_execz .LBB216_2164
.LBB216_2237:
	ds_read_b32 v34, v32 offset:128
	s_waitcnt lgkmcnt(0)
	v_add_f32_e32 v4, v34, v4
	s_or_b32 exec_lo, exec_lo, s4
	s_and_saveexec_b32 s4, vcc_lo
	s_cbranch_execz .LBB216_2165
.LBB216_2238:
	ds_read_b32 v34, v32 offset:160
	s_waitcnt lgkmcnt(0)
	v_add_f32_e32 v5, v34, v5
	s_or_b32 exec_lo, exec_lo, s4
	s_and_saveexec_b32 s4, vcc_lo
	s_cbranch_execz .LBB216_2166
.LBB216_2239:
	ds_read_b32 v34, v32 offset:192
	s_waitcnt lgkmcnt(0)
	v_add_f32_e32 v6, v34, v6
	s_or_b32 exec_lo, exec_lo, s4
	s_and_saveexec_b32 s4, vcc_lo
	s_cbranch_execz .LBB216_2167
.LBB216_2240:
	ds_read_b32 v34, v32 offset:224
	s_waitcnt lgkmcnt(0)
	v_add_f32_e32 v7, v34, v7
	s_or_b32 exec_lo, exec_lo, s4
	s_and_saveexec_b32 s4, vcc_lo
	s_cbranch_execz .LBB216_2168
.LBB216_2241:
	ds_read_b32 v34, v32 offset:256
	s_waitcnt lgkmcnt(0)
	v_add_f32_e32 v8, v34, v8
	s_or_b32 exec_lo, exec_lo, s4
	s_and_saveexec_b32 s4, vcc_lo
	s_cbranch_execz .LBB216_2169
.LBB216_2242:
	ds_read_b32 v34, v32 offset:288
	s_waitcnt lgkmcnt(0)
	v_add_f32_e32 v9, v34, v9
	s_or_b32 exec_lo, exec_lo, s4
	s_and_saveexec_b32 s4, vcc_lo
	s_cbranch_execz .LBB216_2170
.LBB216_2243:
	ds_read_b32 v34, v32 offset:320
	s_waitcnt lgkmcnt(0)
	v_add_f32_e32 v10, v34, v10
	s_or_b32 exec_lo, exec_lo, s4
	s_and_saveexec_b32 s4, vcc_lo
	s_cbranch_execz .LBB216_2171
.LBB216_2244:
	ds_read_b32 v34, v32 offset:352
	s_waitcnt lgkmcnt(0)
	v_add_f32_e32 v11, v34, v11
	s_or_b32 exec_lo, exec_lo, s4
	s_and_saveexec_b32 s4, vcc_lo
	s_cbranch_execz .LBB216_2172
.LBB216_2245:
	ds_read_b32 v34, v32 offset:384
	s_waitcnt lgkmcnt(0)
	v_add_f32_e32 v12, v34, v12
	s_or_b32 exec_lo, exec_lo, s4
	s_and_saveexec_b32 s4, vcc_lo
	s_cbranch_execz .LBB216_2173
.LBB216_2246:
	ds_read_b32 v34, v32 offset:416
	s_waitcnt lgkmcnt(0)
	v_add_f32_e32 v13, v34, v13
	s_or_b32 exec_lo, exec_lo, s4
	s_and_saveexec_b32 s4, vcc_lo
	s_cbranch_execz .LBB216_2174
.LBB216_2247:
	ds_read_b32 v34, v32 offset:448
	s_waitcnt lgkmcnt(0)
	v_add_f32_e32 v14, v34, v14
	s_or_b32 exec_lo, exec_lo, s4
	s_and_saveexec_b32 s4, vcc_lo
	s_cbranch_execz .LBB216_2175
.LBB216_2248:
	ds_read_b32 v34, v32 offset:480
	s_waitcnt lgkmcnt(0)
	v_add_f32_e32 v15, v34, v15
	s_or_b32 exec_lo, exec_lo, s4
	s_and_saveexec_b32 s4, vcc_lo
	s_cbranch_execz .LBB216_2176
.LBB216_2249:
	ds_read_b32 v34, v32 offset:512
	s_waitcnt lgkmcnt(0)
	v_add_f32_e32 v16, v34, v16
	s_or_b32 exec_lo, exec_lo, s4
	s_and_saveexec_b32 s4, vcc_lo
	s_cbranch_execz .LBB216_2177
.LBB216_2250:
	ds_read_b32 v34, v32 offset:544
	s_waitcnt lgkmcnt(0)
	v_add_f32_e32 v17, v34, v17
	s_or_b32 exec_lo, exec_lo, s4
	s_and_saveexec_b32 s4, vcc_lo
	s_cbranch_execz .LBB216_2178
.LBB216_2251:
	ds_read_b32 v34, v32 offset:576
	s_waitcnt lgkmcnt(0)
	v_add_f32_e32 v18, v34, v18
	s_or_b32 exec_lo, exec_lo, s4
	s_and_saveexec_b32 s4, vcc_lo
	s_cbranch_execz .LBB216_2179
.LBB216_2252:
	ds_read_b32 v34, v32 offset:608
	s_waitcnt lgkmcnt(0)
	v_add_f32_e32 v19, v34, v19
	s_or_b32 exec_lo, exec_lo, s4
	s_and_saveexec_b32 s4, vcc_lo
	s_cbranch_execz .LBB216_2180
.LBB216_2253:
	ds_read_b32 v34, v32 offset:640
	s_waitcnt lgkmcnt(0)
	v_add_f32_e32 v20, v34, v20
	s_or_b32 exec_lo, exec_lo, s4
	s_and_saveexec_b32 s4, vcc_lo
	s_cbranch_execz .LBB216_2181
.LBB216_2254:
	ds_read_b32 v34, v32 offset:672
	s_waitcnt lgkmcnt(0)
	v_add_f32_e32 v21, v34, v21
	s_or_b32 exec_lo, exec_lo, s4
	s_and_saveexec_b32 s4, vcc_lo
	s_cbranch_execz .LBB216_2182
.LBB216_2255:
	ds_read_b32 v34, v32 offset:704
	s_waitcnt lgkmcnt(0)
	v_add_f32_e32 v22, v34, v22
	s_or_b32 exec_lo, exec_lo, s4
	s_and_saveexec_b32 s4, vcc_lo
	s_cbranch_execz .LBB216_2183
.LBB216_2256:
	ds_read_b32 v34, v32 offset:736
	s_waitcnt lgkmcnt(0)
	v_add_f32_e32 v23, v34, v23
	s_or_b32 exec_lo, exec_lo, s4
	s_and_saveexec_b32 s4, vcc_lo
	s_cbranch_execz .LBB216_2184
.LBB216_2257:
	ds_read_b32 v34, v32 offset:768
	s_waitcnt lgkmcnt(0)
	v_add_f32_e32 v24, v34, v24
	s_or_b32 exec_lo, exec_lo, s4
	s_and_saveexec_b32 s4, vcc_lo
	s_cbranch_execz .LBB216_2185
.LBB216_2258:
	ds_read_b32 v34, v32 offset:800
	s_waitcnt lgkmcnt(0)
	v_add_f32_e32 v25, v34, v25
	s_or_b32 exec_lo, exec_lo, s4
	s_and_saveexec_b32 s4, vcc_lo
	s_cbranch_execz .LBB216_2186
.LBB216_2259:
	ds_read_b32 v34, v32 offset:832
	s_waitcnt lgkmcnt(0)
	v_add_f32_e32 v26, v34, v26
	s_or_b32 exec_lo, exec_lo, s4
	s_and_saveexec_b32 s4, vcc_lo
	s_cbranch_execz .LBB216_2187
.LBB216_2260:
	ds_read_b32 v34, v32 offset:864
	s_waitcnt lgkmcnt(0)
	v_add_f32_e32 v27, v34, v27
	s_or_b32 exec_lo, exec_lo, s4
	s_and_saveexec_b32 s4, vcc_lo
	s_cbranch_execz .LBB216_2188
.LBB216_2261:
	ds_read_b32 v34, v32 offset:896
	s_waitcnt lgkmcnt(0)
	v_add_f32_e32 v28, v34, v28
	s_or_b32 exec_lo, exec_lo, s4
	s_and_saveexec_b32 s4, vcc_lo
	s_cbranch_execz .LBB216_2189
.LBB216_2262:
	ds_read_b32 v34, v32 offset:928
	s_waitcnt lgkmcnt(0)
	v_add_f32_e32 v29, v34, v29
	s_or_b32 exec_lo, exec_lo, s4
	s_and_saveexec_b32 s4, vcc_lo
	s_cbranch_execz .LBB216_2190
.LBB216_2263:
	ds_read_b32 v34, v32 offset:960
	s_waitcnt lgkmcnt(0)
	v_add_f32_e32 v30, v34, v30
	s_or_b32 exec_lo, exec_lo, s4
	s_and_saveexec_b32 s4, vcc_lo
	s_cbranch_execnz .LBB216_2191
	s_branch .LBB216_2192
.LBB216_2264:
	ds_read_b32 v33, v32
	s_waitcnt lgkmcnt(0)
	v_add_f32_e32 v0, v33, v0
	s_or_b32 exec_lo, exec_lo, s4
	s_and_saveexec_b32 s4, vcc_lo
	s_cbranch_execz .LBB216_2198
.LBB216_2265:
	ds_read_b32 v33, v32 offset:32
	s_waitcnt lgkmcnt(0)
	v_add_f32_e32 v1, v33, v1
	s_or_b32 exec_lo, exec_lo, s4
	s_and_saveexec_b32 s4, vcc_lo
	s_cbranch_execz .LBB216_2199
.LBB216_2266:
	ds_read_b32 v33, v32 offset:64
	s_waitcnt lgkmcnt(0)
	v_add_f32_e32 v2, v33, v2
	s_or_b32 exec_lo, exec_lo, s4
	s_and_saveexec_b32 s4, vcc_lo
	s_cbranch_execz .LBB216_2200
.LBB216_2267:
	ds_read_b32 v33, v32 offset:96
	s_waitcnt lgkmcnt(0)
	v_add_f32_e32 v3, v33, v3
	s_or_b32 exec_lo, exec_lo, s4
	s_and_saveexec_b32 s4, vcc_lo
	s_cbranch_execz .LBB216_2201
.LBB216_2268:
	ds_read_b32 v33, v32 offset:128
	s_waitcnt lgkmcnt(0)
	v_add_f32_e32 v4, v33, v4
	s_or_b32 exec_lo, exec_lo, s4
	s_and_saveexec_b32 s4, vcc_lo
	s_cbranch_execz .LBB216_2202
.LBB216_2269:
	ds_read_b32 v33, v32 offset:160
	s_waitcnt lgkmcnt(0)
	v_add_f32_e32 v5, v33, v5
	s_or_b32 exec_lo, exec_lo, s4
	s_and_saveexec_b32 s4, vcc_lo
	s_cbranch_execz .LBB216_2203
.LBB216_2270:
	ds_read_b32 v33, v32 offset:192
	s_waitcnt lgkmcnt(0)
	v_add_f32_e32 v6, v33, v6
	s_or_b32 exec_lo, exec_lo, s4
	s_and_saveexec_b32 s4, vcc_lo
	s_cbranch_execz .LBB216_2204
.LBB216_2271:
	ds_read_b32 v33, v32 offset:224
	s_waitcnt lgkmcnt(0)
	v_add_f32_e32 v7, v33, v7
	s_or_b32 exec_lo, exec_lo, s4
	s_and_saveexec_b32 s4, vcc_lo
	s_cbranch_execz .LBB216_2205
.LBB216_2272:
	ds_read_b32 v33, v32 offset:256
	s_waitcnt lgkmcnt(0)
	v_add_f32_e32 v8, v33, v8
	s_or_b32 exec_lo, exec_lo, s4
	s_and_saveexec_b32 s4, vcc_lo
	s_cbranch_execz .LBB216_2206
.LBB216_2273:
	ds_read_b32 v33, v32 offset:288
	s_waitcnt lgkmcnt(0)
	v_add_f32_e32 v9, v33, v9
	s_or_b32 exec_lo, exec_lo, s4
	s_and_saveexec_b32 s4, vcc_lo
	s_cbranch_execz .LBB216_2207
.LBB216_2274:
	ds_read_b32 v33, v32 offset:320
	s_waitcnt lgkmcnt(0)
	v_add_f32_e32 v10, v33, v10
	s_or_b32 exec_lo, exec_lo, s4
	s_and_saveexec_b32 s4, vcc_lo
	s_cbranch_execz .LBB216_2208
.LBB216_2275:
	ds_read_b32 v33, v32 offset:352
	s_waitcnt lgkmcnt(0)
	v_add_f32_e32 v11, v33, v11
	s_or_b32 exec_lo, exec_lo, s4
	s_and_saveexec_b32 s4, vcc_lo
	s_cbranch_execz .LBB216_2209
.LBB216_2276:
	ds_read_b32 v33, v32 offset:384
	s_waitcnt lgkmcnt(0)
	v_add_f32_e32 v12, v33, v12
	s_or_b32 exec_lo, exec_lo, s4
	s_and_saveexec_b32 s4, vcc_lo
	s_cbranch_execz .LBB216_2210
.LBB216_2277:
	ds_read_b32 v33, v32 offset:416
	s_waitcnt lgkmcnt(0)
	v_add_f32_e32 v13, v33, v13
	s_or_b32 exec_lo, exec_lo, s4
	s_and_saveexec_b32 s4, vcc_lo
	s_cbranch_execz .LBB216_2211
.LBB216_2278:
	ds_read_b32 v33, v32 offset:448
	s_waitcnt lgkmcnt(0)
	v_add_f32_e32 v14, v33, v14
	s_or_b32 exec_lo, exec_lo, s4
	s_and_saveexec_b32 s4, vcc_lo
	s_cbranch_execz .LBB216_2212
.LBB216_2279:
	ds_read_b32 v33, v32 offset:480
	s_waitcnt lgkmcnt(0)
	v_add_f32_e32 v15, v33, v15
	s_or_b32 exec_lo, exec_lo, s4
	s_and_saveexec_b32 s4, vcc_lo
	s_cbranch_execz .LBB216_2213
.LBB216_2280:
	ds_read_b32 v33, v32 offset:512
	s_waitcnt lgkmcnt(0)
	v_add_f32_e32 v16, v33, v16
	s_or_b32 exec_lo, exec_lo, s4
	s_and_saveexec_b32 s4, vcc_lo
	s_cbranch_execz .LBB216_2214
.LBB216_2281:
	ds_read_b32 v33, v32 offset:544
	s_waitcnt lgkmcnt(0)
	v_add_f32_e32 v17, v33, v17
	s_or_b32 exec_lo, exec_lo, s4
	s_and_saveexec_b32 s4, vcc_lo
	s_cbranch_execz .LBB216_2215
.LBB216_2282:
	ds_read_b32 v33, v32 offset:576
	s_waitcnt lgkmcnt(0)
	v_add_f32_e32 v18, v33, v18
	s_or_b32 exec_lo, exec_lo, s4
	s_and_saveexec_b32 s4, vcc_lo
	s_cbranch_execz .LBB216_2216
.LBB216_2283:
	ds_read_b32 v33, v32 offset:608
	s_waitcnt lgkmcnt(0)
	v_add_f32_e32 v19, v33, v19
	s_or_b32 exec_lo, exec_lo, s4
	s_and_saveexec_b32 s4, vcc_lo
	s_cbranch_execz .LBB216_2217
.LBB216_2284:
	ds_read_b32 v33, v32 offset:640
	s_waitcnt lgkmcnt(0)
	v_add_f32_e32 v20, v33, v20
	s_or_b32 exec_lo, exec_lo, s4
	s_and_saveexec_b32 s4, vcc_lo
	s_cbranch_execz .LBB216_2218
.LBB216_2285:
	ds_read_b32 v33, v32 offset:672
	s_waitcnt lgkmcnt(0)
	v_add_f32_e32 v21, v33, v21
	s_or_b32 exec_lo, exec_lo, s4
	s_and_saveexec_b32 s4, vcc_lo
	s_cbranch_execz .LBB216_2219
.LBB216_2286:
	ds_read_b32 v33, v32 offset:704
	s_waitcnt lgkmcnt(0)
	v_add_f32_e32 v22, v33, v22
	s_or_b32 exec_lo, exec_lo, s4
	s_and_saveexec_b32 s4, vcc_lo
	s_cbranch_execz .LBB216_2220
.LBB216_2287:
	ds_read_b32 v33, v32 offset:736
	s_waitcnt lgkmcnt(0)
	v_add_f32_e32 v23, v33, v23
	s_or_b32 exec_lo, exec_lo, s4
	s_and_saveexec_b32 s4, vcc_lo
	s_cbranch_execz .LBB216_2221
.LBB216_2288:
	ds_read_b32 v33, v32 offset:768
	s_waitcnt lgkmcnt(0)
	v_add_f32_e32 v24, v33, v24
	s_or_b32 exec_lo, exec_lo, s4
	s_and_saveexec_b32 s4, vcc_lo
	s_cbranch_execz .LBB216_2222
.LBB216_2289:
	ds_read_b32 v33, v32 offset:800
	s_waitcnt lgkmcnt(0)
	v_add_f32_e32 v25, v33, v25
	s_or_b32 exec_lo, exec_lo, s4
	s_and_saveexec_b32 s4, vcc_lo
	s_cbranch_execz .LBB216_2223
.LBB216_2290:
	ds_read_b32 v33, v32 offset:832
	s_waitcnt lgkmcnt(0)
	v_add_f32_e32 v26, v33, v26
	s_or_b32 exec_lo, exec_lo, s4
	s_and_saveexec_b32 s4, vcc_lo
	s_cbranch_execz .LBB216_2224
.LBB216_2291:
	ds_read_b32 v33, v32 offset:864
	s_waitcnt lgkmcnt(0)
	v_add_f32_e32 v27, v33, v27
	s_or_b32 exec_lo, exec_lo, s4
	s_and_saveexec_b32 s4, vcc_lo
	s_cbranch_execz .LBB216_2225
.LBB216_2292:
	ds_read_b32 v33, v32 offset:896
	s_waitcnt lgkmcnt(0)
	v_add_f32_e32 v28, v33, v28
	s_or_b32 exec_lo, exec_lo, s4
	s_and_saveexec_b32 s4, vcc_lo
	s_cbranch_execz .LBB216_2226
.LBB216_2293:
	ds_read_b32 v33, v32 offset:928
	s_waitcnt lgkmcnt(0)
	v_add_f32_e32 v29, v33, v29
	s_or_b32 exec_lo, exec_lo, s4
	s_and_saveexec_b32 s4, vcc_lo
	s_cbranch_execz .LBB216_2227
.LBB216_2294:
	ds_read_b32 v33, v32 offset:960
	s_waitcnt lgkmcnt(0)
	v_add_f32_e32 v30, v33, v30
	s_or_b32 exec_lo, exec_lo, s4
	s_and_saveexec_b32 s4, vcc_lo
	s_cbranch_execnz .LBB216_2228
	s_branch .LBB216_2229
.Lfunc_end216:
	.size	_ZN4vllm22paged_attention_kernelIfhLi256ELi16ELi128ELNS_18Fp8KVCacheDataTypeE1ELb1ELi512EEEvPfS2_PT_PKS3_PKT0_S9_ifPKiSB_iPKfiiiSD_SD_iiiii, .Lfunc_end216-_ZN4vllm22paged_attention_kernelIfhLi256ELi16ELi128ELNS_18Fp8KVCacheDataTypeE1ELb1ELi512EEEvPfS2_PT_PKS3_PKT0_S9_ifPKiSB_iPKfiiiSD_SD_iiiii
                                        ; -- End function
	.set .L_ZN4vllm22paged_attention_kernelIfhLi256ELi16ELi128ELNS_18Fp8KVCacheDataTypeE1ELb1ELi512EEEvPfS2_PT_PKS3_PKT0_S9_ifPKiSB_iPKfiiiSD_SD_iiiii.num_vgpr, 128
	.set .L_ZN4vllm22paged_attention_kernelIfhLi256ELi16ELi128ELNS_18Fp8KVCacheDataTypeE1ELb1ELi512EEEvPfS2_PT_PKS3_PKT0_S9_ifPKiSB_iPKfiiiSD_SD_iiiii.num_agpr, 0
	.set .L_ZN4vllm22paged_attention_kernelIfhLi256ELi16ELi128ELNS_18Fp8KVCacheDataTypeE1ELb1ELi512EEEvPfS2_PT_PKS3_PKT0_S9_ifPKiSB_iPKfiiiSD_SD_iiiii.numbered_sgpr, 33
	.set .L_ZN4vllm22paged_attention_kernelIfhLi256ELi16ELi128ELNS_18Fp8KVCacheDataTypeE1ELb1ELi512EEEvPfS2_PT_PKS3_PKT0_S9_ifPKiSB_iPKfiiiSD_SD_iiiii.num_named_barrier, 0
	.set .L_ZN4vllm22paged_attention_kernelIfhLi256ELi16ELi128ELNS_18Fp8KVCacheDataTypeE1ELb1ELi512EEEvPfS2_PT_PKS3_PKT0_S9_ifPKiSB_iPKfiiiSD_SD_iiiii.private_seg_size, 1196
	.set .L_ZN4vllm22paged_attention_kernelIfhLi256ELi16ELi128ELNS_18Fp8KVCacheDataTypeE1ELb1ELi512EEEvPfS2_PT_PKS3_PKT0_S9_ifPKiSB_iPKfiiiSD_SD_iiiii.uses_vcc, 1
	.set .L_ZN4vllm22paged_attention_kernelIfhLi256ELi16ELi128ELNS_18Fp8KVCacheDataTypeE1ELb1ELi512EEEvPfS2_PT_PKS3_PKT0_S9_ifPKiSB_iPKfiiiSD_SD_iiiii.uses_flat_scratch, 0
	.set .L_ZN4vllm22paged_attention_kernelIfhLi256ELi16ELi128ELNS_18Fp8KVCacheDataTypeE1ELb1ELi512EEEvPfS2_PT_PKS3_PKT0_S9_ifPKiSB_iPKfiiiSD_SD_iiiii.has_dyn_sized_stack, 0
	.set .L_ZN4vllm22paged_attention_kernelIfhLi256ELi16ELi128ELNS_18Fp8KVCacheDataTypeE1ELb1ELi512EEEvPfS2_PT_PKS3_PKT0_S9_ifPKiSB_iPKfiiiSD_SD_iiiii.has_recursion, 0
	.set .L_ZN4vllm22paged_attention_kernelIfhLi256ELi16ELi128ELNS_18Fp8KVCacheDataTypeE1ELb1ELi512EEEvPfS2_PT_PKS3_PKT0_S9_ifPKiSB_iPKfiiiSD_SD_iiiii.has_indirect_call, 0
	.section	.AMDGPU.csdata,"",@progbits
; Function info:
; codeLenInByte = 79252
; TotalNumSgprs: 35
; NumVgprs: 128
; ScratchSize: 1196
; MemoryBound: 0
	.section	.text._ZN4vllm25paged_attention_v2_kernelIfhLi256ELi16ELi128ELNS_18Fp8KVCacheDataTypeE1ELb1ELi512EEEvPfS2_PT_PKS3_PKT0_S9_ifPKiSB_iPKfiiiSD_SD_iiiii,"axG",@progbits,_ZN4vllm25paged_attention_v2_kernelIfhLi256ELi16ELi128ELNS_18Fp8KVCacheDataTypeE1ELb1ELi512EEEvPfS2_PT_PKS3_PKT0_S9_ifPKiSB_iPKfiiiSD_SD_iiiii,comdat
	.protected	_ZN4vllm25paged_attention_v2_kernelIfhLi256ELi16ELi128ELNS_18Fp8KVCacheDataTypeE1ELb1ELi512EEEvPfS2_PT_PKS3_PKT0_S9_ifPKiSB_iPKfiiiSD_SD_iiiii ; -- Begin function _ZN4vllm25paged_attention_v2_kernelIfhLi256ELi16ELi128ELNS_18Fp8KVCacheDataTypeE1ELb1ELi512EEEvPfS2_PT_PKS3_PKT0_S9_ifPKiSB_iPKfiiiSD_SD_iiiii
	.globl	_ZN4vllm25paged_attention_v2_kernelIfhLi256ELi16ELi128ELNS_18Fp8KVCacheDataTypeE1ELb1ELi512EEEvPfS2_PT_PKS3_PKT0_S9_ifPKiSB_iPKfiiiSD_SD_iiiii
	.p2align	8
	.type	_ZN4vllm25paged_attention_v2_kernelIfhLi256ELi16ELi128ELNS_18Fp8KVCacheDataTypeE1ELb1ELi512EEEvPfS2_PT_PKS3_PKT0_S9_ifPKiSB_iPKfiiiSD_SD_iiiii,@function
_ZN4vllm25paged_attention_v2_kernelIfhLi256ELi16ELi128ELNS_18Fp8KVCacheDataTypeE1ELb1ELi512EEEvPfS2_PT_PKS3_PKT0_S9_ifPKiSB_iPKfiiiSD_SD_iiiii: ; @_ZN4vllm25paged_attention_v2_kernelIfhLi256ELi16ELi128ELNS_18Fp8KVCacheDataTypeE1ELb1ELi512EEEvPfS2_PT_PKS3_PKT0_S9_ifPKiSB_iPKfiiiSD_SD_iiiii
; %bb.0:
	s_mov_b32 s14, s8
	s_clause 0x7
	s_load_dwordx4 s[36:39], s[4:5], 0x78
	s_load_dword s8, s[4:5], 0x88
	s_load_dwordx8 s[40:47], s[4:5], 0x0
	s_load_dwordx8 s[24:31], s[4:5], 0x20
	s_load_dwordx2 s[10:11], s[4:5], 0x40
	s_load_dwordx2 s[34:35], s[4:5], 0x50
	s_load_dword s13, s[4:5], 0x48
	s_load_dwordx8 s[16:23], s[4:5], 0x58
	s_add_u32 s0, s0, s9
	s_mov_b32 s32, 0
	s_addc_u32 s1, s1, 0
	v_mov_b32_e32 v31, v0
	s_mov_b32 s12, s6
	s_mov_b32 s15, 27
	s_waitcnt lgkmcnt(0)
	v_mov_b32_e32 v1, s39
	v_mov_b32_e32 v2, s8
	;; [unrolled: 1-line block ×4, first 2 shown]
	buffer_store_dword v1, off, s[0:3], s32
	buffer_store_dword v2, off, s[0:3], s32 offset:4
	v_mov_b32_e32 v1, s41
	v_mov_b32_e32 v2, s42
	;; [unrolled: 1-line block ×29, first 2 shown]
	s_add_u32 s8, s4, 0x90
	s_addc_u32 s9, s5, 0
	s_getpc_b64 s[4:5]
	s_add_u32 s4, s4, _ZN4vllm22paged_attention_kernelIfhLi256ELi16ELi128ELNS_18Fp8KVCacheDataTypeE1ELb1ELi512EEEvPfS2_PT_PKS3_PKT0_S9_ifPKiSB_iPKfiiiSD_SD_iiiii@rel32@lo+4
	s_addc_u32 s5, s5, _ZN4vllm22paged_attention_kernelIfhLi256ELi16ELi128ELNS_18Fp8KVCacheDataTypeE1ELb1ELi512EEEvPfS2_PT_PKS3_PKT0_S9_ifPKiSB_iPKfiiiSD_SD_iiiii@rel32@hi+12
	s_mov_b32 s13, s7
	s_swappc_b64 s[30:31], s[4:5]
	s_endpgm
	.section	.rodata,"a",@progbits
	.p2align	6, 0x0
	.amdhsa_kernel _ZN4vllm25paged_attention_v2_kernelIfhLi256ELi16ELi128ELNS_18Fp8KVCacheDataTypeE1ELb1ELi512EEEvPfS2_PT_PKS3_PKT0_S9_ifPKiSB_iPKfiiiSD_SD_iiiii
		.amdhsa_group_segment_fixed_size 1056
		.amdhsa_private_segment_fixed_size 1196
		.amdhsa_kernarg_size 400
		.amdhsa_user_sgpr_count 6
		.amdhsa_user_sgpr_private_segment_buffer 1
		.amdhsa_user_sgpr_dispatch_ptr 0
		.amdhsa_user_sgpr_queue_ptr 0
		.amdhsa_user_sgpr_kernarg_segment_ptr 1
		.amdhsa_user_sgpr_dispatch_id 0
		.amdhsa_user_sgpr_flat_scratch_init 0
		.amdhsa_user_sgpr_private_segment_size 0
		.amdhsa_wavefront_size32 1
		.amdhsa_uses_dynamic_stack 0
		.amdhsa_system_sgpr_private_segment_wavefront_offset 1
		.amdhsa_system_sgpr_workgroup_id_x 1
		.amdhsa_system_sgpr_workgroup_id_y 1
		.amdhsa_system_sgpr_workgroup_id_z 1
		.amdhsa_system_sgpr_workgroup_info 0
		.amdhsa_system_vgpr_workitem_id 0
		.amdhsa_next_free_vgpr 128
		.amdhsa_next_free_sgpr 48
		.amdhsa_reserve_vcc 1
		.amdhsa_reserve_flat_scratch 0
		.amdhsa_float_round_mode_32 0
		.amdhsa_float_round_mode_16_64 0
		.amdhsa_float_denorm_mode_32 3
		.amdhsa_float_denorm_mode_16_64 3
		.amdhsa_dx10_clamp 1
		.amdhsa_ieee_mode 1
		.amdhsa_fp16_overflow 0
		.amdhsa_workgroup_processor_mode 1
		.amdhsa_memory_ordered 1
		.amdhsa_forward_progress 1
		.amdhsa_shared_vgpr_count 0
		.amdhsa_exception_fp_ieee_invalid_op 0
		.amdhsa_exception_fp_denorm_src 0
		.amdhsa_exception_fp_ieee_div_zero 0
		.amdhsa_exception_fp_ieee_overflow 0
		.amdhsa_exception_fp_ieee_underflow 0
		.amdhsa_exception_fp_ieee_inexact 0
		.amdhsa_exception_int_div_zero 0
	.end_amdhsa_kernel
	.section	.text._ZN4vllm25paged_attention_v2_kernelIfhLi256ELi16ELi128ELNS_18Fp8KVCacheDataTypeE1ELb1ELi512EEEvPfS2_PT_PKS3_PKT0_S9_ifPKiSB_iPKfiiiSD_SD_iiiii,"axG",@progbits,_ZN4vllm25paged_attention_v2_kernelIfhLi256ELi16ELi128ELNS_18Fp8KVCacheDataTypeE1ELb1ELi512EEEvPfS2_PT_PKS3_PKT0_S9_ifPKiSB_iPKfiiiSD_SD_iiiii,comdat
.Lfunc_end217:
	.size	_ZN4vllm25paged_attention_v2_kernelIfhLi256ELi16ELi128ELNS_18Fp8KVCacheDataTypeE1ELb1ELi512EEEvPfS2_PT_PKS3_PKT0_S9_ifPKiSB_iPKfiiiSD_SD_iiiii, .Lfunc_end217-_ZN4vllm25paged_attention_v2_kernelIfhLi256ELi16ELi128ELNS_18Fp8KVCacheDataTypeE1ELb1ELi512EEEvPfS2_PT_PKS3_PKT0_S9_ifPKiSB_iPKfiiiSD_SD_iiiii
                                        ; -- End function
	.set _ZN4vllm25paged_attention_v2_kernelIfhLi256ELi16ELi128ELNS_18Fp8KVCacheDataTypeE1ELb1ELi512EEEvPfS2_PT_PKS3_PKT0_S9_ifPKiSB_iPKfiiiSD_SD_iiiii.num_vgpr, max(32, .L_ZN4vllm22paged_attention_kernelIfhLi256ELi16ELi128ELNS_18Fp8KVCacheDataTypeE1ELb1ELi512EEEvPfS2_PT_PKS3_PKT0_S9_ifPKiSB_iPKfiiiSD_SD_iiiii.num_vgpr)
	.set _ZN4vllm25paged_attention_v2_kernelIfhLi256ELi16ELi128ELNS_18Fp8KVCacheDataTypeE1ELb1ELi512EEEvPfS2_PT_PKS3_PKT0_S9_ifPKiSB_iPKfiiiSD_SD_iiiii.num_agpr, max(0, .L_ZN4vllm22paged_attention_kernelIfhLi256ELi16ELi128ELNS_18Fp8KVCacheDataTypeE1ELb1ELi512EEEvPfS2_PT_PKS3_PKT0_S9_ifPKiSB_iPKfiiiSD_SD_iiiii.num_agpr)
	.set _ZN4vllm25paged_attention_v2_kernelIfhLi256ELi16ELi128ELNS_18Fp8KVCacheDataTypeE1ELb1ELi512EEEvPfS2_PT_PKS3_PKT0_S9_ifPKiSB_iPKfiiiSD_SD_iiiii.numbered_sgpr, max(48, .L_ZN4vllm22paged_attention_kernelIfhLi256ELi16ELi128ELNS_18Fp8KVCacheDataTypeE1ELb1ELi512EEEvPfS2_PT_PKS3_PKT0_S9_ifPKiSB_iPKfiiiSD_SD_iiiii.numbered_sgpr)
	.set _ZN4vllm25paged_attention_v2_kernelIfhLi256ELi16ELi128ELNS_18Fp8KVCacheDataTypeE1ELb1ELi512EEEvPfS2_PT_PKS3_PKT0_S9_ifPKiSB_iPKfiiiSD_SD_iiiii.num_named_barrier, max(0, .L_ZN4vllm22paged_attention_kernelIfhLi256ELi16ELi128ELNS_18Fp8KVCacheDataTypeE1ELb1ELi512EEEvPfS2_PT_PKS3_PKT0_S9_ifPKiSB_iPKfiiiSD_SD_iiiii.num_named_barrier)
	.set _ZN4vllm25paged_attention_v2_kernelIfhLi256ELi16ELi128ELNS_18Fp8KVCacheDataTypeE1ELb1ELi512EEEvPfS2_PT_PKS3_PKT0_S9_ifPKiSB_iPKfiiiSD_SD_iiiii.private_seg_size, 0+max(.L_ZN4vllm22paged_attention_kernelIfhLi256ELi16ELi128ELNS_18Fp8KVCacheDataTypeE1ELb1ELi512EEEvPfS2_PT_PKS3_PKT0_S9_ifPKiSB_iPKfiiiSD_SD_iiiii.private_seg_size)
	.set _ZN4vllm25paged_attention_v2_kernelIfhLi256ELi16ELi128ELNS_18Fp8KVCacheDataTypeE1ELb1ELi512EEEvPfS2_PT_PKS3_PKT0_S9_ifPKiSB_iPKfiiiSD_SD_iiiii.uses_vcc, or(1, .L_ZN4vllm22paged_attention_kernelIfhLi256ELi16ELi128ELNS_18Fp8KVCacheDataTypeE1ELb1ELi512EEEvPfS2_PT_PKS3_PKT0_S9_ifPKiSB_iPKfiiiSD_SD_iiiii.uses_vcc)
	.set _ZN4vllm25paged_attention_v2_kernelIfhLi256ELi16ELi128ELNS_18Fp8KVCacheDataTypeE1ELb1ELi512EEEvPfS2_PT_PKS3_PKT0_S9_ifPKiSB_iPKfiiiSD_SD_iiiii.uses_flat_scratch, or(0, .L_ZN4vllm22paged_attention_kernelIfhLi256ELi16ELi128ELNS_18Fp8KVCacheDataTypeE1ELb1ELi512EEEvPfS2_PT_PKS3_PKT0_S9_ifPKiSB_iPKfiiiSD_SD_iiiii.uses_flat_scratch)
	.set _ZN4vllm25paged_attention_v2_kernelIfhLi256ELi16ELi128ELNS_18Fp8KVCacheDataTypeE1ELb1ELi512EEEvPfS2_PT_PKS3_PKT0_S9_ifPKiSB_iPKfiiiSD_SD_iiiii.has_dyn_sized_stack, or(0, .L_ZN4vllm22paged_attention_kernelIfhLi256ELi16ELi128ELNS_18Fp8KVCacheDataTypeE1ELb1ELi512EEEvPfS2_PT_PKS3_PKT0_S9_ifPKiSB_iPKfiiiSD_SD_iiiii.has_dyn_sized_stack)
	.set _ZN4vllm25paged_attention_v2_kernelIfhLi256ELi16ELi128ELNS_18Fp8KVCacheDataTypeE1ELb1ELi512EEEvPfS2_PT_PKS3_PKT0_S9_ifPKiSB_iPKfiiiSD_SD_iiiii.has_recursion, or(0, .L_ZN4vllm22paged_attention_kernelIfhLi256ELi16ELi128ELNS_18Fp8KVCacheDataTypeE1ELb1ELi512EEEvPfS2_PT_PKS3_PKT0_S9_ifPKiSB_iPKfiiiSD_SD_iiiii.has_recursion)
	.set _ZN4vllm25paged_attention_v2_kernelIfhLi256ELi16ELi128ELNS_18Fp8KVCacheDataTypeE1ELb1ELi512EEEvPfS2_PT_PKS3_PKT0_S9_ifPKiSB_iPKfiiiSD_SD_iiiii.has_indirect_call, or(0, .L_ZN4vllm22paged_attention_kernelIfhLi256ELi16ELi128ELNS_18Fp8KVCacheDataTypeE1ELb1ELi512EEEvPfS2_PT_PKS3_PKT0_S9_ifPKiSB_iPKfiiiSD_SD_iiiii.has_indirect_call)
	.section	.AMDGPU.csdata,"",@progbits
; Kernel info:
; codeLenInByte = 292
; TotalNumSgprs: 50
; NumVgprs: 128
; ScratchSize: 1196
; MemoryBound: 0
; FloatMode: 240
; IeeeMode: 1
; LDSByteSize: 1056 bytes/workgroup (compile time only)
; SGPRBlocks: 0
; VGPRBlocks: 15
; NumSGPRsForWavesPerEU: 50
; NumVGPRsForWavesPerEU: 128
; Occupancy: 8
; WaveLimiterHint : 1
; COMPUTE_PGM_RSRC2:SCRATCH_EN: 1
; COMPUTE_PGM_RSRC2:USER_SGPR: 6
; COMPUTE_PGM_RSRC2:TRAP_HANDLER: 0
; COMPUTE_PGM_RSRC2:TGID_X_EN: 1
; COMPUTE_PGM_RSRC2:TGID_Y_EN: 1
; COMPUTE_PGM_RSRC2:TGID_Z_EN: 1
; COMPUTE_PGM_RSRC2:TIDIG_COMP_CNT: 0
	.section	.text._ZN4vllm25paged_attention_v2_kernelIfhLi32ELi16ELi128ELNS_18Fp8KVCacheDataTypeE1ELb0ELi512EEEvPfS2_PT_PKS3_PKT0_S9_ifPKiSB_iPKfiiiSD_SD_iiiii,"axG",@progbits,_ZN4vllm25paged_attention_v2_kernelIfhLi32ELi16ELi128ELNS_18Fp8KVCacheDataTypeE1ELb0ELi512EEEvPfS2_PT_PKS3_PKT0_S9_ifPKiSB_iPKfiiiSD_SD_iiiii,comdat
	.protected	_ZN4vllm25paged_attention_v2_kernelIfhLi32ELi16ELi128ELNS_18Fp8KVCacheDataTypeE1ELb0ELi512EEEvPfS2_PT_PKS3_PKT0_S9_ifPKiSB_iPKfiiiSD_SD_iiiii ; -- Begin function _ZN4vllm25paged_attention_v2_kernelIfhLi32ELi16ELi128ELNS_18Fp8KVCacheDataTypeE1ELb0ELi512EEEvPfS2_PT_PKS3_PKT0_S9_ifPKiSB_iPKfiiiSD_SD_iiiii
	.globl	_ZN4vllm25paged_attention_v2_kernelIfhLi32ELi16ELi128ELNS_18Fp8KVCacheDataTypeE1ELb0ELi512EEEvPfS2_PT_PKS3_PKT0_S9_ifPKiSB_iPKfiiiSD_SD_iiiii
	.p2align	8
	.type	_ZN4vllm25paged_attention_v2_kernelIfhLi32ELi16ELi128ELNS_18Fp8KVCacheDataTypeE1ELb0ELi512EEEvPfS2_PT_PKS3_PKT0_S9_ifPKiSB_iPKfiiiSD_SD_iiiii,@function
_ZN4vllm25paged_attention_v2_kernelIfhLi32ELi16ELi128ELNS_18Fp8KVCacheDataTypeE1ELb0ELi512EEEvPfS2_PT_PKS3_PKT0_S9_ifPKiSB_iPKfiiiSD_SD_iiiii: ; @_ZN4vllm25paged_attention_v2_kernelIfhLi32ELi16ELi128ELNS_18Fp8KVCacheDataTypeE1ELb0ELi512EEEvPfS2_PT_PKS3_PKT0_S9_ifPKiSB_iPKfiiiSD_SD_iiiii
; %bb.0:
	s_load_dwordx2 s[0:1], s[4:5], 0x40
	s_mov_b32 s26, s7
	s_ashr_i32 s27, s7, 31
	s_lshl_b64 s[2:3], s[26:27], 2
	s_waitcnt lgkmcnt(0)
	s_add_u32 s0, s0, s2
	s_addc_u32 s1, s1, s3
	s_lshl_b32 s33, s8, 9
	s_load_dword s27, s[0:1], 0x0
	s_waitcnt lgkmcnt(0)
	s_cmp_ge_i32 s33, s27
	s_cbranch_scc1 .LBB218_318
; %bb.1:
	s_clause 0x1
	s_load_dword s9, s[4:5], 0x90
	s_load_dwordx2 s[36:37], s[4:5], 0x30
	s_waitcnt lgkmcnt(0)
	s_abs_i32 s3, s9
	s_abs_i32 s0, s36
	v_cvt_f32_u32_e32 v1, s0
	s_sub_i32 s2, 0, s0
	v_rcp_iflag_f32_e32 v1, v1
	v_mul_f32_e32 v1, 0x4f7ffffe, v1
	v_cvt_u32_f32_e32 v1, v1
	v_readfirstlane_b32 s1, v1
	s_mul_i32 s2, s2, s1
	s_mul_hi_u32 s2, s1, s2
	s_add_i32 s1, s1, s2
	s_xor_b32 s2, s9, s36
	s_mul_hi_u32 s1, s3, s1
	s_ashr_i32 s2, s2, 31
	s_mul_i32 s7, s1, s0
	s_mov_b32 s36, 0
	s_sub_i32 s3, s3, s7
	s_add_i32 s7, s1, 1
	s_sub_i32 s10, s3, s0
	s_cmp_ge_u32 s3, s0
	s_cselect_b32 s1, s7, s1
	s_cselect_b32 s3, s10, s3
	s_add_i32 s7, s1, 1
	s_cmp_ge_u32 s3, s0
	s_cselect_b32 s0, s7, s1
	s_abs_i32 s16, s6
	s_xor_b32 s0, s0, s2
	s_sub_i32 s10, s0, s2
	s_load_dwordx2 s[0:1], s[4:5], 0x50
	s_abs_i32 s2, s10
	v_cvt_f32_u32_e32 v1, s2
	s_sub_i32 s7, 0, s2
	v_rcp_iflag_f32_e32 v1, v1
	v_mul_f32_e32 v1, 0x4f7ffffe, v1
	v_cvt_u32_f32_e32 v1, v1
	v_readfirstlane_b32 s3, v1
	s_mul_i32 s7, s7, s3
	s_mul_hi_u32 s7, s3, s7
	s_add_i32 s3, s3, s7
	s_waitcnt lgkmcnt(0)
	s_cmp_eq_u64 s[0:1], 0
	s_mul_hi_u32 s3, s16, s3
	s_cbranch_scc1 .LBB218_3
; %bb.2:
	s_ashr_i32 s7, s6, 31
	s_lshl_b64 s[12:13], s[6:7], 2
	s_add_u32 s0, s0, s12
	s_addc_u32 s1, s1, s13
	s_load_dword s36, s[0:1], 0x0
.LBB218_3:
	s_load_dwordx4 s[12:15], s[4:5], 0x58
	v_and_b32_e32 v1, 1, v0
	v_lshlrev_b32_e32 v62, 2, v0
	s_ashr_i32 s0, s6, 31
	s_ashr_i32 s1, s10, 31
	s_lshl_b32 s10, s6, 5
	s_mov_b32 s7, exec_lo
	v_cmpx_gt_u32_e32 16, v0
	s_cbranch_execz .LBB218_5
; %bb.4:
	s_load_dwordx2 s[18:19], s[4:5], 0x18
	s_waitcnt lgkmcnt(0)
	s_mul_i32 s20, s12, s26
	v_lshlrev_b32_e32 v2, 3, v0
	s_ashr_i32 s21, s20, 31
	v_and_b32_e32 v4, 0xff8, v62
	s_lshl_b64 s[20:21], s[20:21], 2
	v_lshl_add_u32 v4, v1, 6, v4
	s_add_u32 s12, s18, s20
	s_addc_u32 s15, s19, s21
	s_ashr_i32 s11, s10, 31
	s_lshl_b64 s[18:19], s[10:11], 2
	s_add_u32 s18, s12, s18
	s_addc_u32 s19, s15, s19
	global_load_dwordx2 v[2:3], v2, s[18:19]
	s_waitcnt vmcnt(0)
	ds_write_b64 v4, v[2:3]
.LBB218_5:
	s_or_b32 exec_lo, exec_lo, s7
	s_add_i32 s7, s27, 15
	s_clause 0x1
	s_load_dwordx2 s[28:29], s[4:5], 0x38
	s_load_dword s17, s[4:5], 0x48
	s_ashr_i32 s11, s7, 31
	s_waitcnt lgkmcnt(0)
	s_lshl_b32 s12, s8, 5
	s_lshr_b32 s11, s11, 28
	s_xor_b32 s0, s0, s1
	s_add_i32 s7, s7, s11
	s_add_i32 s1, s12, 32
	s_ashr_i32 s15, s7, 4
	s_mul_i32 s7, s3, s2
	s_min_i32 s11, s1, s15
	s_sub_i32 s1, s16, s7
	s_add_i32 s7, s3, 1
	s_sub_i32 s16, s1, s2
	s_cmp_ge_u32 s1, s2
	v_lshrrev_b32_e32 v61, 5, v0
	s_cselect_b32 s3, s7, s3
	s_cselect_b32 s1, s16, s1
	s_add_i32 s7, s3, 1
	s_cmp_ge_u32 s1, s2
	v_or_b32_e32 v17, s12, v61
	s_cselect_b32 s1, s7, s3
	v_mbcnt_lo_u32_b32 v63, -1, 0
	s_xor_b32 s1, s1, s0
	s_mul_i32 s30, s17, s26
	s_sub_i32 s1, s1, s0
	v_cmp_gt_i32_e64 s0, s11, v17
	s_ashr_i32 s31, s30, 31
	s_mov_b32 s2, exec_lo
	s_barrier
	buffer_gl0_inv
                                        ; implicit-def: $vgpr20
                                        ; implicit-def: $vgpr64
	v_cmpx_le_i32_e64 s11, v17
	s_xor_b32 s2, exec_lo, s2
; %bb.6:
	v_mov_b32_e32 v20, 0
	v_mbcnt_lo_u32_b32 v63, -1, 0
	v_mov_b32_e32 v64, 32
                                        ; implicit-def: $vgpr1
; %bb.7:
	s_or_saveexec_b32 s38, s2
	s_clause 0x4
	s_load_dwordx4 s[20:23], s[4:5], 0x0
	s_load_dwordx2 s[24:25], s[4:5], 0x10
	s_load_dword s7, s[4:5], 0x98
	s_load_dwordx2 s[34:35], s[4:5], 0x28
	s_load_dwordx4 s[16:19], s[4:5], 0x68
	v_mov_b32_e32 v65, 0xff7fffff
	v_ashrrev_i32_e32 v18, 31, v17
	s_mul_i32 s14, s1, s14
	s_xor_b32 exec_lo, exec_lo, s38
	s_cbranch_execz .LBB218_141
; %bb.8:
	s_load_dwordx2 s[4:5], s[4:5], 0x20
	v_xor_b32_e32 v2, 1, v63
	v_bfe_u32 v19, v0, 1, 4
	v_lshlrev_b32_e32 v13, 6, v1
	s_ashr_i32 s3, s14, 31
	v_lshlrev_b32_e32 v21, 1, v1
	v_cmp_gt_i32_e64 s2, 32, v2
	v_lshlrev_b32_e32 v22, 4, v19
	v_cmp_eq_u32_e32 vcc_lo, 0, v1
	v_lshlrev_b32_e32 v24, 4, v61
	v_lshlrev_b32_e32 v25, 2, v19
	v_cndmask_b32_e64 v23, v63, v2, s2
	ds_read_b128 v[1:4], v13
	ds_read_b128 v[5:8], v13 offset:16
	ds_read_b128 v[9:12], v13 offset:32
	;; [unrolled: 1-line block ×3, first 2 shown]
	v_mov_b32_e32 v20, 0
	v_add3_u32 v67, s33, v24, v19
	v_lshl_or_b32 v25, v61, 6, v25
	v_lshlrev_b32_e32 v66, 2, v23
	v_mov_b32_e32 v64, 32
	v_cmp_neq_f32_e64 s1, s36, 0
	v_mov_b32_e32 v65, 0xff7fffff
	s_waitcnt lgkmcnt(0)
	s_add_u32 s2, s4, s14
	s_load_dword s4, s[16:17], 0x0
	s_addc_u32 s3, s5, s3
	v_add_co_u32 v22, s2, s2, v22
	v_add_co_ci_u32_e64 v23, null, s3, 0, s2
	s_sub_i32 s5, 1, s27
	v_add_co_u32 v21, s2, v22, v21
	v_add_co_ci_u32_e64 v22, null, 0, v23, s2
	v_lshlrev_b64 v[23:24], 2, v[17:18]
	s_lshl_b64 s[2:3], s[30:31], 2
	v_add_nc_u32_e32 v68, 0xa0, v25
	s_add_u32 s2, s28, s2
	s_addc_u32 s3, s29, s3
	v_mov_b32_e32 v69, 0x80
	v_add_co_u32 v23, s2, s2, v23
	v_add_co_ci_u32_e64 v24, null, s3, v24, s2
	v_bfrev_b32_e32 v26, 1
	v_mov_b32_e32 v70, 0xffff
	v_mov_b32_e32 v28, 0x7f800001
	;; [unrolled: 1-line block ×3, first 2 shown]
	s_mov_b32 s17, s13
	s_mov_b32 s16, 0
	s_waitcnt lgkmcnt(0)
	s_mov_b32 s39, s4
	s_branch .LBB218_10
.LBB218_9:                              ;   in Loop: Header=BB218_10 Depth=1
	s_or_b32 exec_lo, exec_lo, s3
	v_add_nc_u32_e32 v71, 4, v71
	v_add_co_u32 v23, s3, v23, 16
	v_add_nc_u32_e32 v67, 64, v67
	v_add_nc_u32_e32 v68, 0x100, v68
	v_cmp_le_i32_e64 s2, s11, v71
	v_add_co_ci_u32_e64 v24, null, 0, v24, s3
	s_or_b32 s16, s2, s16
	s_andn2_b32 exec_lo, exec_lo, s16
	s_cbranch_execz .LBB218_140
.LBB218_10:                             ; =>This Inner Loop Header: Depth=1
	global_load_dword v19, v[23:24], off
	v_mov_b32_e32 v31, 0
	v_mov_b32_e32 v29, 0
	;; [unrolled: 1-line block ×4, first 2 shown]
	s_waitcnt vmcnt(0)
	v_mad_i64_i32 v[33:34], null, v19, s17, v[21:22]
	global_load_ushort v19, v[33:34], off
	s_waitcnt vmcnt(0)
	v_and_b32_e32 v35, 0xffff, v19
	v_cmp_ne_u16_sdwa s2, v19, v20 src0_sel:BYTE_0 src1_sel:DWORD
	s_and_saveexec_b32 s3, s2
	s_cbranch_execz .LBB218_18
; %bb.11:                               ;   in Loop: Header=BB218_10 Depth=1
	v_bfrev_b32_e32 v29, 1
	v_mov_b32_e32 v30, 0
	v_cmp_ne_u16_sdwa s2, v35, v69 src0_sel:BYTE_0 src1_sel:DWORD
	s_and_saveexec_b32 s40, s2
	s_cbranch_execz .LBB218_17
; %bb.12:                               ;   in Loop: Header=BB218_10 Depth=1
	v_mov_b32_e32 v29, 0x7f800001
	v_and_b32_e32 v27, 0x7f, v35
	v_mov_b32_e32 v30, 0
	s_mov_b32 s41, exec_lo
	v_cmpx_ne_u32_e32 0x7f, v27
	s_cbranch_execz .LBB218_16
; %bb.13:                               ;   in Loop: Header=BB218_10 Depth=1
	v_and_b32_e32 v19, 7, v35
	s_waitcnt lgkmcnt(0)
	v_lshrrev_b32_e32 v25, 3, v27
	s_mov_b32 s42, exec_lo
	v_cmpx_gt_u32_e32 8, v27
; %bb.14:                               ;   in Loop: Header=BB218_10 Depth=1
	v_ffbh_u32_e32 v25, v19
	v_min_u32_e32 v25, 32, v25
	v_subrev_nc_u32_e32 v27, 28, v25
	v_sub_nc_u32_e32 v25, 29, v25
	v_lshlrev_b64 v[29:30], v27, v[19:20]
	v_and_b32_e32 v19, 7, v29
; %bb.15:                               ;   in Loop: Header=BB218_10 Depth=1
	s_or_b32 exec_lo, exec_lo, s42
	v_lshlrev_b32_e32 v27, 24, v35
	v_lshlrev_b32_e32 v19, 20, v19
	v_lshl_add_u32 v25, v25, 23, 0x3c000000
	v_and_b32_e32 v27, 0x80000000, v27
	v_or3_b32 v19, v19, v27, v25
	v_mov_b32_e32 v30, v20
	v_mov_b32_e32 v29, v19
.LBB218_16:                             ;   in Loop: Header=BB218_10 Depth=1
	s_or_b32 exec_lo, exec_lo, s41
.LBB218_17:                             ;   in Loop: Header=BB218_10 Depth=1
	s_or_b32 exec_lo, exec_lo, s40
.LBB218_18:                             ;   in Loop: Header=BB218_10 Depth=1
	s_or_b32 exec_lo, exec_lo, s3
	v_cmp_ne_u16_sdwa s2, v35, v20 src0_sel:BYTE_1 src1_sel:DWORD
	s_and_saveexec_b32 s3, s2
	s_cbranch_execz .LBB218_26
; %bb.19:                               ;   in Loop: Header=BB218_10 Depth=1
	s_waitcnt lgkmcnt(0)
	v_mov_b32_e32 v25, v20
	v_mov_b32_e32 v32, v26
	v_cmp_ne_u16_sdwa s2, v35, v69 src0_sel:BYTE_1 src1_sel:DWORD
	v_mov_b32_e32 v31, v25
	s_and_saveexec_b32 s40, s2
	s_cbranch_execz .LBB218_25
; %bb.20:                               ;   in Loop: Header=BB218_10 Depth=1
	v_and_b32_sdwa v19, v70, v35 dst_sel:DWORD dst_unused:UNUSED_PAD src0_sel:DWORD src1_sel:BYTE_1
	v_mov_b32_e32 v27, v20
	v_mov_b32_e32 v32, v28
	s_mov_b32 s41, exec_lo
	v_and_b32_e32 v36, 0x7f, v19
	v_mov_b32_e32 v31, v27
	v_cmpx_ne_u32_e32 0x7f, v36
	s_cbranch_execz .LBB218_24
; %bb.21:                               ;   in Loop: Header=BB218_10 Depth=1
	v_and_b32_e32 v19, 7, v19
	v_lshrrev_b32_e32 v25, 3, v36
	s_mov_b32 s42, exec_lo
	v_cmpx_gt_u32_e32 8, v36
; %bb.22:                               ;   in Loop: Header=BB218_10 Depth=1
	v_ffbh_u32_e32 v25, v19
	v_min_u32_e32 v25, 32, v25
	v_subrev_nc_u32_e32 v27, 28, v25
	v_sub_nc_u32_e32 v25, 29, v25
	v_lshlrev_b64 v[31:32], v27, v[19:20]
	v_and_b32_e32 v19, 7, v31
; %bb.23:                               ;   in Loop: Header=BB218_10 Depth=1
	s_or_b32 exec_lo, exec_lo, s42
	v_lshlrev_b32_e32 v27, 16, v35
	v_lshlrev_b32_e32 v19, 20, v19
	v_lshl_add_u32 v25, v25, 23, 0x3c000000
	v_mov_b32_e32 v31, v20
	v_and_b32_e32 v27, 0x80000000, v27
	v_or3_b32 v32, v19, v27, v25
.LBB218_24:                             ;   in Loop: Header=BB218_10 Depth=1
	s_or_b32 exec_lo, exec_lo, s41
.LBB218_25:                             ;   in Loop: Header=BB218_10 Depth=1
	s_or_b32 exec_lo, exec_lo, s40
.LBB218_26:                             ;   in Loop: Header=BB218_10 Depth=1
	s_or_b32 exec_lo, exec_lo, s3
	global_load_ushort v19, v[33:34], off offset:4
	v_mov_b32_e32 v37, 0
	v_mov_b32_e32 v35, 0
	;; [unrolled: 1-line block ×4, first 2 shown]
	s_waitcnt vmcnt(0)
	v_and_b32_e32 v39, 0xffff, v19
	v_cmp_ne_u16_sdwa s2, v19, v20 src0_sel:BYTE_0 src1_sel:DWORD
	s_and_saveexec_b32 s3, s2
	s_cbranch_execz .LBB218_34
; %bb.27:                               ;   in Loop: Header=BB218_10 Depth=1
	v_bfrev_b32_e32 v35, 1
	v_mov_b32_e32 v36, 0
	v_cmp_ne_u16_sdwa s2, v39, v69 src0_sel:BYTE_0 src1_sel:DWORD
	s_and_saveexec_b32 s40, s2
	s_cbranch_execz .LBB218_33
; %bb.28:                               ;   in Loop: Header=BB218_10 Depth=1
	v_mov_b32_e32 v35, 0x7f800001
	v_and_b32_e32 v27, 0x7f, v39
	v_mov_b32_e32 v36, 0
	s_mov_b32 s41, exec_lo
	v_cmpx_ne_u32_e32 0x7f, v27
	s_cbranch_execz .LBB218_32
; %bb.29:                               ;   in Loop: Header=BB218_10 Depth=1
	v_and_b32_e32 v19, 7, v39
	s_waitcnt lgkmcnt(0)
	v_lshrrev_b32_e32 v25, 3, v27
	s_mov_b32 s42, exec_lo
	v_cmpx_gt_u32_e32 8, v27
; %bb.30:                               ;   in Loop: Header=BB218_10 Depth=1
	v_ffbh_u32_e32 v25, v19
	v_min_u32_e32 v25, 32, v25
	v_subrev_nc_u32_e32 v27, 28, v25
	v_sub_nc_u32_e32 v25, 29, v25
	v_lshlrev_b64 v[35:36], v27, v[19:20]
	v_and_b32_e32 v19, 7, v35
; %bb.31:                               ;   in Loop: Header=BB218_10 Depth=1
	s_or_b32 exec_lo, exec_lo, s42
	v_lshlrev_b32_e32 v27, 24, v39
	v_lshlrev_b32_e32 v19, 20, v19
	v_lshl_add_u32 v25, v25, 23, 0x3c000000
	v_and_b32_e32 v27, 0x80000000, v27
	v_or3_b32 v19, v19, v27, v25
	v_mov_b32_e32 v36, v20
	v_mov_b32_e32 v35, v19
.LBB218_32:                             ;   in Loop: Header=BB218_10 Depth=1
	s_or_b32 exec_lo, exec_lo, s41
.LBB218_33:                             ;   in Loop: Header=BB218_10 Depth=1
	s_or_b32 exec_lo, exec_lo, s40
.LBB218_34:                             ;   in Loop: Header=BB218_10 Depth=1
	s_or_b32 exec_lo, exec_lo, s3
	v_cmp_ne_u16_sdwa s2, v39, v20 src0_sel:BYTE_1 src1_sel:DWORD
	s_and_saveexec_b32 s3, s2
	s_cbranch_execz .LBB218_42
; %bb.35:                               ;   in Loop: Header=BB218_10 Depth=1
	s_waitcnt lgkmcnt(0)
	v_mov_b32_e32 v25, v20
	v_mov_b32_e32 v38, v26
	v_cmp_ne_u16_sdwa s2, v39, v69 src0_sel:BYTE_1 src1_sel:DWORD
	v_mov_b32_e32 v37, v25
	s_and_saveexec_b32 s40, s2
	s_cbranch_execz .LBB218_41
; %bb.36:                               ;   in Loop: Header=BB218_10 Depth=1
	v_and_b32_sdwa v19, v70, v39 dst_sel:DWORD dst_unused:UNUSED_PAD src0_sel:DWORD src1_sel:BYTE_1
	v_mov_b32_e32 v27, v20
	v_mov_b32_e32 v38, v28
	s_mov_b32 s41, exec_lo
	v_and_b32_e32 v40, 0x7f, v19
	v_mov_b32_e32 v37, v27
	v_cmpx_ne_u32_e32 0x7f, v40
	s_cbranch_execz .LBB218_40
; %bb.37:                               ;   in Loop: Header=BB218_10 Depth=1
	v_and_b32_e32 v19, 7, v19
	v_lshrrev_b32_e32 v25, 3, v40
	s_mov_b32 s42, exec_lo
	v_cmpx_gt_u32_e32 8, v40
; %bb.38:                               ;   in Loop: Header=BB218_10 Depth=1
	v_ffbh_u32_e32 v25, v19
	v_min_u32_e32 v25, 32, v25
	v_subrev_nc_u32_e32 v27, 28, v25
	v_sub_nc_u32_e32 v25, 29, v25
	v_lshlrev_b64 v[37:38], v27, v[19:20]
	v_and_b32_e32 v19, 7, v37
; %bb.39:                               ;   in Loop: Header=BB218_10 Depth=1
	s_or_b32 exec_lo, exec_lo, s42
	v_lshlrev_b32_e32 v27, 16, v39
	v_lshlrev_b32_e32 v19, 20, v19
	v_lshl_add_u32 v25, v25, 23, 0x3c000000
	v_mov_b32_e32 v37, v20
	v_and_b32_e32 v27, 0x80000000, v27
	v_or3_b32 v38, v19, v27, v25
.LBB218_40:                             ;   in Loop: Header=BB218_10 Depth=1
	s_or_b32 exec_lo, exec_lo, s41
.LBB218_41:                             ;   in Loop: Header=BB218_10 Depth=1
	s_or_b32 exec_lo, exec_lo, s40
.LBB218_42:                             ;   in Loop: Header=BB218_10 Depth=1
	s_or_b32 exec_lo, exec_lo, s3
	global_load_ushort v19, v[33:34], off offset:8
	v_mov_b32_e32 v41, 0
	v_mov_b32_e32 v39, 0
	;; [unrolled: 1-line block ×4, first 2 shown]
	s_waitcnt vmcnt(0)
	v_and_b32_e32 v43, 0xffff, v19
	v_cmp_ne_u16_sdwa s2, v19, v20 src0_sel:BYTE_0 src1_sel:DWORD
	s_and_saveexec_b32 s3, s2
	s_cbranch_execz .LBB218_50
; %bb.43:                               ;   in Loop: Header=BB218_10 Depth=1
	v_bfrev_b32_e32 v39, 1
	v_mov_b32_e32 v40, 0
	v_cmp_ne_u16_sdwa s2, v43, v69 src0_sel:BYTE_0 src1_sel:DWORD
	s_and_saveexec_b32 s40, s2
	s_cbranch_execz .LBB218_49
; %bb.44:                               ;   in Loop: Header=BB218_10 Depth=1
	v_mov_b32_e32 v39, 0x7f800001
	v_and_b32_e32 v27, 0x7f, v43
	v_mov_b32_e32 v40, 0
	s_mov_b32 s41, exec_lo
	v_cmpx_ne_u32_e32 0x7f, v27
	s_cbranch_execz .LBB218_48
; %bb.45:                               ;   in Loop: Header=BB218_10 Depth=1
	v_and_b32_e32 v19, 7, v43
	s_waitcnt lgkmcnt(0)
	v_lshrrev_b32_e32 v25, 3, v27
	s_mov_b32 s42, exec_lo
	v_cmpx_gt_u32_e32 8, v27
; %bb.46:                               ;   in Loop: Header=BB218_10 Depth=1
	v_ffbh_u32_e32 v25, v19
	v_min_u32_e32 v25, 32, v25
	v_subrev_nc_u32_e32 v27, 28, v25
	v_sub_nc_u32_e32 v25, 29, v25
	v_lshlrev_b64 v[39:40], v27, v[19:20]
	v_and_b32_e32 v19, 7, v39
; %bb.47:                               ;   in Loop: Header=BB218_10 Depth=1
	s_or_b32 exec_lo, exec_lo, s42
	v_lshlrev_b32_e32 v27, 24, v43
	v_lshlrev_b32_e32 v19, 20, v19
	v_lshl_add_u32 v25, v25, 23, 0x3c000000
	v_and_b32_e32 v27, 0x80000000, v27
	v_or3_b32 v19, v19, v27, v25
	v_mov_b32_e32 v40, v20
	v_mov_b32_e32 v39, v19
.LBB218_48:                             ;   in Loop: Header=BB218_10 Depth=1
	s_or_b32 exec_lo, exec_lo, s41
.LBB218_49:                             ;   in Loop: Header=BB218_10 Depth=1
	s_or_b32 exec_lo, exec_lo, s40
.LBB218_50:                             ;   in Loop: Header=BB218_10 Depth=1
	s_or_b32 exec_lo, exec_lo, s3
	v_cmp_ne_u16_sdwa s2, v43, v20 src0_sel:BYTE_1 src1_sel:DWORD
	s_and_saveexec_b32 s3, s2
	s_cbranch_execz .LBB218_58
; %bb.51:                               ;   in Loop: Header=BB218_10 Depth=1
	s_waitcnt lgkmcnt(0)
	v_mov_b32_e32 v25, v20
	v_mov_b32_e32 v42, v26
	v_cmp_ne_u16_sdwa s2, v43, v69 src0_sel:BYTE_1 src1_sel:DWORD
	v_mov_b32_e32 v41, v25
	s_and_saveexec_b32 s40, s2
	s_cbranch_execz .LBB218_57
; %bb.52:                               ;   in Loop: Header=BB218_10 Depth=1
	v_and_b32_sdwa v19, v70, v43 dst_sel:DWORD dst_unused:UNUSED_PAD src0_sel:DWORD src1_sel:BYTE_1
	v_mov_b32_e32 v27, v20
	v_mov_b32_e32 v42, v28
	s_mov_b32 s41, exec_lo
	v_and_b32_e32 v44, 0x7f, v19
	v_mov_b32_e32 v41, v27
	v_cmpx_ne_u32_e32 0x7f, v44
	s_cbranch_execz .LBB218_56
; %bb.53:                               ;   in Loop: Header=BB218_10 Depth=1
	v_and_b32_e32 v19, 7, v19
	v_lshrrev_b32_e32 v25, 3, v44
	s_mov_b32 s42, exec_lo
	v_cmpx_gt_u32_e32 8, v44
; %bb.54:                               ;   in Loop: Header=BB218_10 Depth=1
	v_ffbh_u32_e32 v25, v19
	v_min_u32_e32 v25, 32, v25
	v_subrev_nc_u32_e32 v27, 28, v25
	v_sub_nc_u32_e32 v25, 29, v25
	v_lshlrev_b64 v[41:42], v27, v[19:20]
	v_and_b32_e32 v19, 7, v41
; %bb.55:                               ;   in Loop: Header=BB218_10 Depth=1
	s_or_b32 exec_lo, exec_lo, s42
	v_lshlrev_b32_e32 v27, 16, v43
	v_lshlrev_b32_e32 v19, 20, v19
	v_lshl_add_u32 v25, v25, 23, 0x3c000000
	v_mov_b32_e32 v41, v20
	v_and_b32_e32 v27, 0x80000000, v27
	v_or3_b32 v42, v19, v27, v25
.LBB218_56:                             ;   in Loop: Header=BB218_10 Depth=1
	s_or_b32 exec_lo, exec_lo, s41
.LBB218_57:                             ;   in Loop: Header=BB218_10 Depth=1
	s_or_b32 exec_lo, exec_lo, s40
.LBB218_58:                             ;   in Loop: Header=BB218_10 Depth=1
	s_or_b32 exec_lo, exec_lo, s3
	global_load_ushort v19, v[33:34], off offset:12
	v_mov_b32_e32 v45, 0
	v_mov_b32_e32 v43, 0
	;; [unrolled: 1-line block ×4, first 2 shown]
	s_waitcnt vmcnt(0)
	v_and_b32_e32 v47, 0xffff, v19
	v_cmp_ne_u16_sdwa s2, v19, v20 src0_sel:BYTE_0 src1_sel:DWORD
	s_and_saveexec_b32 s3, s2
	s_cbranch_execz .LBB218_66
; %bb.59:                               ;   in Loop: Header=BB218_10 Depth=1
	v_bfrev_b32_e32 v43, 1
	v_mov_b32_e32 v44, 0
	v_cmp_ne_u16_sdwa s2, v47, v69 src0_sel:BYTE_0 src1_sel:DWORD
	s_and_saveexec_b32 s40, s2
	s_cbranch_execz .LBB218_65
; %bb.60:                               ;   in Loop: Header=BB218_10 Depth=1
	v_mov_b32_e32 v43, 0x7f800001
	v_and_b32_e32 v27, 0x7f, v47
	v_mov_b32_e32 v44, 0
	s_mov_b32 s41, exec_lo
	v_cmpx_ne_u32_e32 0x7f, v27
	s_cbranch_execz .LBB218_64
; %bb.61:                               ;   in Loop: Header=BB218_10 Depth=1
	v_and_b32_e32 v19, 7, v47
	s_waitcnt lgkmcnt(0)
	v_lshrrev_b32_e32 v25, 3, v27
	s_mov_b32 s42, exec_lo
	v_cmpx_gt_u32_e32 8, v27
; %bb.62:                               ;   in Loop: Header=BB218_10 Depth=1
	v_ffbh_u32_e32 v25, v19
	v_min_u32_e32 v25, 32, v25
	v_subrev_nc_u32_e32 v27, 28, v25
	v_sub_nc_u32_e32 v25, 29, v25
	v_lshlrev_b64 v[43:44], v27, v[19:20]
	v_and_b32_e32 v19, 7, v43
; %bb.63:                               ;   in Loop: Header=BB218_10 Depth=1
	s_or_b32 exec_lo, exec_lo, s42
	v_lshlrev_b32_e32 v27, 24, v47
	v_lshlrev_b32_e32 v19, 20, v19
	v_lshl_add_u32 v25, v25, 23, 0x3c000000
	v_and_b32_e32 v27, 0x80000000, v27
	v_or3_b32 v19, v19, v27, v25
	v_mov_b32_e32 v44, v20
	v_mov_b32_e32 v43, v19
.LBB218_64:                             ;   in Loop: Header=BB218_10 Depth=1
	s_or_b32 exec_lo, exec_lo, s41
.LBB218_65:                             ;   in Loop: Header=BB218_10 Depth=1
	s_or_b32 exec_lo, exec_lo, s40
.LBB218_66:                             ;   in Loop: Header=BB218_10 Depth=1
	s_or_b32 exec_lo, exec_lo, s3
	v_cmp_ne_u16_sdwa s2, v47, v20 src0_sel:BYTE_1 src1_sel:DWORD
	s_and_saveexec_b32 s3, s2
	s_cbranch_execz .LBB218_74
; %bb.67:                               ;   in Loop: Header=BB218_10 Depth=1
	s_waitcnt lgkmcnt(0)
	v_mov_b32_e32 v25, v20
	v_mov_b32_e32 v46, v26
	v_cmp_ne_u16_sdwa s2, v47, v69 src0_sel:BYTE_1 src1_sel:DWORD
	v_mov_b32_e32 v45, v25
	s_and_saveexec_b32 s40, s2
	s_cbranch_execz .LBB218_73
; %bb.68:                               ;   in Loop: Header=BB218_10 Depth=1
	v_and_b32_sdwa v19, v70, v47 dst_sel:DWORD dst_unused:UNUSED_PAD src0_sel:DWORD src1_sel:BYTE_1
	v_mov_b32_e32 v27, v20
	v_mov_b32_e32 v46, v28
	s_mov_b32 s41, exec_lo
	v_and_b32_e32 v48, 0x7f, v19
	v_mov_b32_e32 v45, v27
	v_cmpx_ne_u32_e32 0x7f, v48
	s_cbranch_execz .LBB218_72
; %bb.69:                               ;   in Loop: Header=BB218_10 Depth=1
	v_and_b32_e32 v19, 7, v19
	v_lshrrev_b32_e32 v25, 3, v48
	s_mov_b32 s42, exec_lo
	v_cmpx_gt_u32_e32 8, v48
; %bb.70:                               ;   in Loop: Header=BB218_10 Depth=1
	v_ffbh_u32_e32 v25, v19
	v_min_u32_e32 v25, 32, v25
	v_subrev_nc_u32_e32 v27, 28, v25
	v_sub_nc_u32_e32 v25, 29, v25
	v_lshlrev_b64 v[45:46], v27, v[19:20]
	v_and_b32_e32 v19, 7, v45
; %bb.71:                               ;   in Loop: Header=BB218_10 Depth=1
	s_or_b32 exec_lo, exec_lo, s42
	v_lshlrev_b32_e32 v27, 16, v47
	v_lshlrev_b32_e32 v19, 20, v19
	v_lshl_add_u32 v25, v25, 23, 0x3c000000
	v_mov_b32_e32 v45, v20
	v_and_b32_e32 v27, 0x80000000, v27
	v_or3_b32 v46, v19, v27, v25
.LBB218_72:                             ;   in Loop: Header=BB218_10 Depth=1
	s_or_b32 exec_lo, exec_lo, s41
.LBB218_73:                             ;   in Loop: Header=BB218_10 Depth=1
	s_or_b32 exec_lo, exec_lo, s40
.LBB218_74:                             ;   in Loop: Header=BB218_10 Depth=1
	s_or_b32 exec_lo, exec_lo, s3
	global_load_ushort v19, v[33:34], off offset:256
	v_mov_b32_e32 v49, 0
	v_mov_b32_e32 v47, 0
	;; [unrolled: 1-line block ×4, first 2 shown]
	s_waitcnt vmcnt(0)
	v_and_b32_e32 v51, 0xffff, v19
	v_cmp_ne_u16_sdwa s2, v19, v20 src0_sel:BYTE_0 src1_sel:DWORD
	s_and_saveexec_b32 s3, s2
	s_cbranch_execz .LBB218_82
; %bb.75:                               ;   in Loop: Header=BB218_10 Depth=1
	v_bfrev_b32_e32 v47, 1
	v_mov_b32_e32 v48, 0
	v_cmp_ne_u16_sdwa s2, v51, v69 src0_sel:BYTE_0 src1_sel:DWORD
	s_and_saveexec_b32 s40, s2
	s_cbranch_execz .LBB218_81
; %bb.76:                               ;   in Loop: Header=BB218_10 Depth=1
	v_mov_b32_e32 v47, 0x7f800001
	v_and_b32_e32 v27, 0x7f, v51
	v_mov_b32_e32 v48, 0
	s_mov_b32 s41, exec_lo
	v_cmpx_ne_u32_e32 0x7f, v27
	s_cbranch_execz .LBB218_80
; %bb.77:                               ;   in Loop: Header=BB218_10 Depth=1
	v_and_b32_e32 v19, 7, v51
	s_waitcnt lgkmcnt(0)
	v_lshrrev_b32_e32 v25, 3, v27
	s_mov_b32 s42, exec_lo
	v_cmpx_gt_u32_e32 8, v27
; %bb.78:                               ;   in Loop: Header=BB218_10 Depth=1
	v_ffbh_u32_e32 v25, v19
	v_min_u32_e32 v25, 32, v25
	v_subrev_nc_u32_e32 v27, 28, v25
	v_sub_nc_u32_e32 v25, 29, v25
	v_lshlrev_b64 v[47:48], v27, v[19:20]
	v_and_b32_e32 v19, 7, v47
; %bb.79:                               ;   in Loop: Header=BB218_10 Depth=1
	s_or_b32 exec_lo, exec_lo, s42
	v_lshlrev_b32_e32 v27, 24, v51
	v_lshlrev_b32_e32 v19, 20, v19
	v_lshl_add_u32 v25, v25, 23, 0x3c000000
	v_and_b32_e32 v27, 0x80000000, v27
	v_or3_b32 v19, v19, v27, v25
	v_mov_b32_e32 v48, v20
	v_mov_b32_e32 v47, v19
.LBB218_80:                             ;   in Loop: Header=BB218_10 Depth=1
	s_or_b32 exec_lo, exec_lo, s41
.LBB218_81:                             ;   in Loop: Header=BB218_10 Depth=1
	s_or_b32 exec_lo, exec_lo, s40
.LBB218_82:                             ;   in Loop: Header=BB218_10 Depth=1
	s_or_b32 exec_lo, exec_lo, s3
	v_cmp_ne_u16_sdwa s2, v51, v20 src0_sel:BYTE_1 src1_sel:DWORD
	s_and_saveexec_b32 s3, s2
	s_cbranch_execz .LBB218_90
; %bb.83:                               ;   in Loop: Header=BB218_10 Depth=1
	s_waitcnt lgkmcnt(0)
	v_mov_b32_e32 v25, v20
	v_mov_b32_e32 v50, v26
	v_cmp_ne_u16_sdwa s2, v51, v69 src0_sel:BYTE_1 src1_sel:DWORD
	v_mov_b32_e32 v49, v25
	s_and_saveexec_b32 s40, s2
	s_cbranch_execz .LBB218_89
; %bb.84:                               ;   in Loop: Header=BB218_10 Depth=1
	v_and_b32_sdwa v19, v70, v51 dst_sel:DWORD dst_unused:UNUSED_PAD src0_sel:DWORD src1_sel:BYTE_1
	v_mov_b32_e32 v27, v20
	v_mov_b32_e32 v50, v28
	s_mov_b32 s41, exec_lo
	v_and_b32_e32 v52, 0x7f, v19
	v_mov_b32_e32 v49, v27
	v_cmpx_ne_u32_e32 0x7f, v52
	s_cbranch_execz .LBB218_88
; %bb.85:                               ;   in Loop: Header=BB218_10 Depth=1
	v_and_b32_e32 v19, 7, v19
	v_lshrrev_b32_e32 v25, 3, v52
	s_mov_b32 s42, exec_lo
	v_cmpx_gt_u32_e32 8, v52
; %bb.86:                               ;   in Loop: Header=BB218_10 Depth=1
	v_ffbh_u32_e32 v25, v19
	v_min_u32_e32 v25, 32, v25
	v_subrev_nc_u32_e32 v27, 28, v25
	v_sub_nc_u32_e32 v25, 29, v25
	v_lshlrev_b64 v[49:50], v27, v[19:20]
	v_and_b32_e32 v19, 7, v49
; %bb.87:                               ;   in Loop: Header=BB218_10 Depth=1
	s_or_b32 exec_lo, exec_lo, s42
	v_lshlrev_b32_e32 v27, 16, v51
	v_lshlrev_b32_e32 v19, 20, v19
	v_lshl_add_u32 v25, v25, 23, 0x3c000000
	v_mov_b32_e32 v49, v20
	v_and_b32_e32 v27, 0x80000000, v27
	v_or3_b32 v50, v19, v27, v25
.LBB218_88:                             ;   in Loop: Header=BB218_10 Depth=1
	s_or_b32 exec_lo, exec_lo, s41
.LBB218_89:                             ;   in Loop: Header=BB218_10 Depth=1
	s_or_b32 exec_lo, exec_lo, s40
.LBB218_90:                             ;   in Loop: Header=BB218_10 Depth=1
	s_or_b32 exec_lo, exec_lo, s3
	global_load_ushort v19, v[33:34], off offset:260
	v_mov_b32_e32 v53, 0
	v_mov_b32_e32 v51, 0
	;; [unrolled: 1-line block ×4, first 2 shown]
	s_waitcnt vmcnt(0)
	v_and_b32_e32 v55, 0xffff, v19
	v_cmp_ne_u16_sdwa s2, v19, v20 src0_sel:BYTE_0 src1_sel:DWORD
	s_and_saveexec_b32 s3, s2
	s_cbranch_execz .LBB218_98
; %bb.91:                               ;   in Loop: Header=BB218_10 Depth=1
	v_bfrev_b32_e32 v51, 1
	v_mov_b32_e32 v52, 0
	v_cmp_ne_u16_sdwa s2, v55, v69 src0_sel:BYTE_0 src1_sel:DWORD
	s_and_saveexec_b32 s40, s2
	s_cbranch_execz .LBB218_97
; %bb.92:                               ;   in Loop: Header=BB218_10 Depth=1
	v_mov_b32_e32 v51, 0x7f800001
	v_and_b32_e32 v27, 0x7f, v55
	v_mov_b32_e32 v52, 0
	s_mov_b32 s41, exec_lo
	v_cmpx_ne_u32_e32 0x7f, v27
	s_cbranch_execz .LBB218_96
; %bb.93:                               ;   in Loop: Header=BB218_10 Depth=1
	v_and_b32_e32 v19, 7, v55
	s_waitcnt lgkmcnt(0)
	v_lshrrev_b32_e32 v25, 3, v27
	s_mov_b32 s42, exec_lo
	v_cmpx_gt_u32_e32 8, v27
; %bb.94:                               ;   in Loop: Header=BB218_10 Depth=1
	v_ffbh_u32_e32 v25, v19
	v_min_u32_e32 v25, 32, v25
	v_subrev_nc_u32_e32 v27, 28, v25
	v_sub_nc_u32_e32 v25, 29, v25
	v_lshlrev_b64 v[51:52], v27, v[19:20]
	v_and_b32_e32 v19, 7, v51
; %bb.95:                               ;   in Loop: Header=BB218_10 Depth=1
	s_or_b32 exec_lo, exec_lo, s42
	v_lshlrev_b32_e32 v27, 24, v55
	v_lshlrev_b32_e32 v19, 20, v19
	v_lshl_add_u32 v25, v25, 23, 0x3c000000
	v_and_b32_e32 v27, 0x80000000, v27
	v_or3_b32 v19, v19, v27, v25
	v_mov_b32_e32 v52, v20
	v_mov_b32_e32 v51, v19
.LBB218_96:                             ;   in Loop: Header=BB218_10 Depth=1
	s_or_b32 exec_lo, exec_lo, s41
.LBB218_97:                             ;   in Loop: Header=BB218_10 Depth=1
	s_or_b32 exec_lo, exec_lo, s40
.LBB218_98:                             ;   in Loop: Header=BB218_10 Depth=1
	s_or_b32 exec_lo, exec_lo, s3
	v_cmp_ne_u16_sdwa s2, v55, v20 src0_sel:BYTE_1 src1_sel:DWORD
	s_and_saveexec_b32 s3, s2
	s_cbranch_execz .LBB218_106
; %bb.99:                               ;   in Loop: Header=BB218_10 Depth=1
	s_waitcnt lgkmcnt(0)
	v_mov_b32_e32 v25, v20
	v_mov_b32_e32 v54, v26
	v_cmp_ne_u16_sdwa s2, v55, v69 src0_sel:BYTE_1 src1_sel:DWORD
	v_mov_b32_e32 v53, v25
	s_and_saveexec_b32 s40, s2
	s_cbranch_execz .LBB218_105
; %bb.100:                              ;   in Loop: Header=BB218_10 Depth=1
	v_and_b32_sdwa v19, v70, v55 dst_sel:DWORD dst_unused:UNUSED_PAD src0_sel:DWORD src1_sel:BYTE_1
	v_mov_b32_e32 v27, v20
	v_mov_b32_e32 v54, v28
	s_mov_b32 s41, exec_lo
	v_and_b32_e32 v56, 0x7f, v19
	v_mov_b32_e32 v53, v27
	v_cmpx_ne_u32_e32 0x7f, v56
	s_cbranch_execz .LBB218_104
; %bb.101:                              ;   in Loop: Header=BB218_10 Depth=1
	v_and_b32_e32 v19, 7, v19
	v_lshrrev_b32_e32 v25, 3, v56
	s_mov_b32 s42, exec_lo
	v_cmpx_gt_u32_e32 8, v56
; %bb.102:                              ;   in Loop: Header=BB218_10 Depth=1
	v_ffbh_u32_e32 v25, v19
	v_min_u32_e32 v25, 32, v25
	v_subrev_nc_u32_e32 v27, 28, v25
	v_sub_nc_u32_e32 v25, 29, v25
	v_lshlrev_b64 v[53:54], v27, v[19:20]
	v_and_b32_e32 v19, 7, v53
; %bb.103:                              ;   in Loop: Header=BB218_10 Depth=1
	s_or_b32 exec_lo, exec_lo, s42
	v_lshlrev_b32_e32 v27, 16, v55
	v_lshlrev_b32_e32 v19, 20, v19
	v_lshl_add_u32 v25, v25, 23, 0x3c000000
	v_mov_b32_e32 v53, v20
	v_and_b32_e32 v27, 0x80000000, v27
	v_or3_b32 v54, v19, v27, v25
.LBB218_104:                            ;   in Loop: Header=BB218_10 Depth=1
	s_or_b32 exec_lo, exec_lo, s41
.LBB218_105:                            ;   in Loop: Header=BB218_10 Depth=1
	s_or_b32 exec_lo, exec_lo, s40
.LBB218_106:                            ;   in Loop: Header=BB218_10 Depth=1
	s_or_b32 exec_lo, exec_lo, s3
	global_load_ushort v19, v[33:34], off offset:264
	v_mov_b32_e32 v57, 0
	v_mov_b32_e32 v55, 0
	;; [unrolled: 1-line block ×4, first 2 shown]
	s_waitcnt vmcnt(0)
	v_and_b32_e32 v59, 0xffff, v19
	v_cmp_ne_u16_sdwa s2, v19, v20 src0_sel:BYTE_0 src1_sel:DWORD
	s_and_saveexec_b32 s3, s2
	s_cbranch_execz .LBB218_114
; %bb.107:                              ;   in Loop: Header=BB218_10 Depth=1
	v_bfrev_b32_e32 v55, 1
	v_mov_b32_e32 v56, 0
	v_cmp_ne_u16_sdwa s2, v59, v69 src0_sel:BYTE_0 src1_sel:DWORD
	s_and_saveexec_b32 s40, s2
	s_cbranch_execz .LBB218_113
; %bb.108:                              ;   in Loop: Header=BB218_10 Depth=1
	v_mov_b32_e32 v55, 0x7f800001
	v_and_b32_e32 v27, 0x7f, v59
	v_mov_b32_e32 v56, 0
	s_mov_b32 s41, exec_lo
	v_cmpx_ne_u32_e32 0x7f, v27
	s_cbranch_execz .LBB218_112
; %bb.109:                              ;   in Loop: Header=BB218_10 Depth=1
	v_and_b32_e32 v19, 7, v59
	s_waitcnt lgkmcnt(0)
	v_lshrrev_b32_e32 v25, 3, v27
	s_mov_b32 s42, exec_lo
	v_cmpx_gt_u32_e32 8, v27
; %bb.110:                              ;   in Loop: Header=BB218_10 Depth=1
	v_ffbh_u32_e32 v25, v19
	v_min_u32_e32 v25, 32, v25
	v_subrev_nc_u32_e32 v27, 28, v25
	v_sub_nc_u32_e32 v25, 29, v25
	v_lshlrev_b64 v[55:56], v27, v[19:20]
	v_and_b32_e32 v19, 7, v55
; %bb.111:                              ;   in Loop: Header=BB218_10 Depth=1
	s_or_b32 exec_lo, exec_lo, s42
	v_lshlrev_b32_e32 v27, 24, v59
	v_lshlrev_b32_e32 v19, 20, v19
	v_lshl_add_u32 v25, v25, 23, 0x3c000000
	v_and_b32_e32 v27, 0x80000000, v27
	v_or3_b32 v19, v19, v27, v25
	v_mov_b32_e32 v56, v20
	v_mov_b32_e32 v55, v19
.LBB218_112:                            ;   in Loop: Header=BB218_10 Depth=1
	s_or_b32 exec_lo, exec_lo, s41
.LBB218_113:                            ;   in Loop: Header=BB218_10 Depth=1
	s_or_b32 exec_lo, exec_lo, s40
.LBB218_114:                            ;   in Loop: Header=BB218_10 Depth=1
	s_or_b32 exec_lo, exec_lo, s3
	v_cmp_ne_u16_sdwa s2, v59, v20 src0_sel:BYTE_1 src1_sel:DWORD
	s_and_saveexec_b32 s3, s2
	s_cbranch_execz .LBB218_122
; %bb.115:                              ;   in Loop: Header=BB218_10 Depth=1
	s_waitcnt lgkmcnt(0)
	v_mov_b32_e32 v25, v20
	v_mov_b32_e32 v58, v26
	v_cmp_ne_u16_sdwa s2, v59, v69 src0_sel:BYTE_1 src1_sel:DWORD
	v_mov_b32_e32 v57, v25
	s_and_saveexec_b32 s40, s2
	s_cbranch_execz .LBB218_121
; %bb.116:                              ;   in Loop: Header=BB218_10 Depth=1
	v_and_b32_sdwa v19, v70, v59 dst_sel:DWORD dst_unused:UNUSED_PAD src0_sel:DWORD src1_sel:BYTE_1
	v_mov_b32_e32 v27, v20
	v_mov_b32_e32 v58, v28
	s_mov_b32 s41, exec_lo
	v_and_b32_e32 v60, 0x7f, v19
	v_mov_b32_e32 v57, v27
	v_cmpx_ne_u32_e32 0x7f, v60
	s_cbranch_execz .LBB218_120
; %bb.117:                              ;   in Loop: Header=BB218_10 Depth=1
	v_and_b32_e32 v19, 7, v19
	v_lshrrev_b32_e32 v25, 3, v60
	s_mov_b32 s42, exec_lo
	v_cmpx_gt_u32_e32 8, v60
; %bb.118:                              ;   in Loop: Header=BB218_10 Depth=1
	v_ffbh_u32_e32 v25, v19
	v_min_u32_e32 v25, 32, v25
	v_subrev_nc_u32_e32 v27, 28, v25
	v_sub_nc_u32_e32 v25, 29, v25
	v_lshlrev_b64 v[57:58], v27, v[19:20]
	v_and_b32_e32 v19, 7, v57
; %bb.119:                              ;   in Loop: Header=BB218_10 Depth=1
	s_or_b32 exec_lo, exec_lo, s42
	v_lshlrev_b32_e32 v27, 16, v59
	v_lshlrev_b32_e32 v19, 20, v19
	v_lshl_add_u32 v25, v25, 23, 0x3c000000
	v_mov_b32_e32 v57, v20
	v_and_b32_e32 v27, 0x80000000, v27
	v_or3_b32 v58, v19, v27, v25
.LBB218_120:                            ;   in Loop: Header=BB218_10 Depth=1
	s_or_b32 exec_lo, exec_lo, s41
.LBB218_121:                            ;   in Loop: Header=BB218_10 Depth=1
	s_or_b32 exec_lo, exec_lo, s40
.LBB218_122:                            ;   in Loop: Header=BB218_10 Depth=1
	s_or_b32 exec_lo, exec_lo, s3
	global_load_ushort v19, v[33:34], off offset:268
	v_mov_b32_e32 v59, 0
	v_mov_b32_e32 v33, 0
	v_mov_b32_e32 v60, 0
	v_mov_b32_e32 v34, 0
	s_waitcnt vmcnt(0)
	v_and_b32_e32 v72, 0xffff, v19
	v_cmp_ne_u16_sdwa s2, v19, v20 src0_sel:BYTE_0 src1_sel:DWORD
	s_and_saveexec_b32 s3, s2
	s_cbranch_execz .LBB218_130
; %bb.123:                              ;   in Loop: Header=BB218_10 Depth=1
	v_bfrev_b32_e32 v33, 1
	v_mov_b32_e32 v34, 0
	v_cmp_ne_u16_sdwa s2, v72, v69 src0_sel:BYTE_0 src1_sel:DWORD
	s_and_saveexec_b32 s40, s2
	s_cbranch_execz .LBB218_129
; %bb.124:                              ;   in Loop: Header=BB218_10 Depth=1
	v_mov_b32_e32 v33, 0x7f800001
	v_and_b32_e32 v27, 0x7f, v72
	v_mov_b32_e32 v34, 0
	s_mov_b32 s41, exec_lo
	v_cmpx_ne_u32_e32 0x7f, v27
	s_cbranch_execz .LBB218_128
; %bb.125:                              ;   in Loop: Header=BB218_10 Depth=1
	v_and_b32_e32 v19, 7, v72
	s_waitcnt lgkmcnt(0)
	v_lshrrev_b32_e32 v25, 3, v27
	s_mov_b32 s42, exec_lo
	v_cmpx_gt_u32_e32 8, v27
; %bb.126:                              ;   in Loop: Header=BB218_10 Depth=1
	v_ffbh_u32_e32 v25, v19
	v_min_u32_e32 v25, 32, v25
	v_subrev_nc_u32_e32 v27, 28, v25
	v_sub_nc_u32_e32 v25, 29, v25
	v_lshlrev_b64 v[33:34], v27, v[19:20]
	v_and_b32_e32 v19, 7, v33
; %bb.127:                              ;   in Loop: Header=BB218_10 Depth=1
	s_or_b32 exec_lo, exec_lo, s42
	v_lshlrev_b32_e32 v27, 24, v72
	v_lshlrev_b32_e32 v19, 20, v19
	v_lshl_add_u32 v25, v25, 23, 0x3c000000
	v_and_b32_e32 v27, 0x80000000, v27
	v_or3_b32 v19, v19, v27, v25
	v_mov_b32_e32 v34, v20
	v_mov_b32_e32 v33, v19
.LBB218_128:                            ;   in Loop: Header=BB218_10 Depth=1
	s_or_b32 exec_lo, exec_lo, s41
.LBB218_129:                            ;   in Loop: Header=BB218_10 Depth=1
	s_or_b32 exec_lo, exec_lo, s40
.LBB218_130:                            ;   in Loop: Header=BB218_10 Depth=1
	s_or_b32 exec_lo, exec_lo, s3
	v_cmp_ne_u16_sdwa s2, v72, v20 src0_sel:BYTE_1 src1_sel:DWORD
	s_and_saveexec_b32 s3, s2
	s_cbranch_execz .LBB218_138
; %bb.131:                              ;   in Loop: Header=BB218_10 Depth=1
	s_waitcnt lgkmcnt(0)
	v_mov_b32_e32 v25, v20
	v_mov_b32_e32 v60, v26
	v_cmp_ne_u16_sdwa s2, v72, v69 src0_sel:BYTE_1 src1_sel:DWORD
	v_mov_b32_e32 v59, v25
	s_and_saveexec_b32 s40, s2
	s_cbranch_execz .LBB218_137
; %bb.132:                              ;   in Loop: Header=BB218_10 Depth=1
	v_and_b32_sdwa v19, v70, v72 dst_sel:DWORD dst_unused:UNUSED_PAD src0_sel:DWORD src1_sel:BYTE_1
	v_mov_b32_e32 v27, v20
	v_mov_b32_e32 v60, v28
	s_mov_b32 s41, exec_lo
	v_and_b32_e32 v73, 0x7f, v19
	v_mov_b32_e32 v59, v27
	v_cmpx_ne_u32_e32 0x7f, v73
	s_cbranch_execz .LBB218_136
; %bb.133:                              ;   in Loop: Header=BB218_10 Depth=1
	v_and_b32_e32 v19, 7, v19
	v_lshrrev_b32_e32 v25, 3, v73
	s_mov_b32 s42, exec_lo
	v_cmpx_gt_u32_e32 8, v73
; %bb.134:                              ;   in Loop: Header=BB218_10 Depth=1
	v_ffbh_u32_e32 v25, v19
	v_min_u32_e32 v25, 32, v25
	v_subrev_nc_u32_e32 v27, 28, v25
	v_sub_nc_u32_e32 v25, 29, v25
	v_lshlrev_b64 v[59:60], v27, v[19:20]
	v_and_b32_e32 v19, 7, v59
; %bb.135:                              ;   in Loop: Header=BB218_10 Depth=1
	s_or_b32 exec_lo, exec_lo, s42
	v_lshlrev_b32_e32 v27, 16, v72
	v_lshlrev_b32_e32 v19, 20, v19
	v_lshl_add_u32 v25, v25, 23, 0x3c000000
	v_mov_b32_e32 v59, v20
	v_and_b32_e32 v27, 0x80000000, v27
	v_or3_b32 v60, v19, v27, v25
.LBB218_136:                            ;   in Loop: Header=BB218_10 Depth=1
	s_or_b32 exec_lo, exec_lo, s41
.LBB218_137:                            ;   in Loop: Header=BB218_10 Depth=1
	s_or_b32 exec_lo, exec_lo, s40
.LBB218_138:                            ;   in Loop: Header=BB218_10 Depth=1
	s_or_b32 exec_lo, exec_lo, s3
	v_or_b32_e32 v35, v37, v35
	v_or_b32_e32 v36, v38, v36
	v_or_b32_e32 v30, v32, v30
	v_or_b32_e32 v29, v31, v29
	v_or_b32_e32 v37, v42, v40
	v_mul_f32_e32 v31, s4, v35
	v_mul_f32_e32 v32, s39, v36
	v_or_b32_e32 v35, v41, v39
	v_mul_f32_e32 v30, s39, v30
	v_mul_f32_e32 v29, s4, v29
	v_mul_f32_e32 v31, v3, v31
	v_mul_f32_e32 v32, v4, v32
	v_or_b32_e32 v44, v46, v44
	v_or_b32_e32 v36, v45, v43
	v_mul_f32_e32 v37, s39, v37
	v_mul_f32_e32 v35, s4, v35
	v_fmac_f32_e32 v31, v1, v29
	v_fmac_f32_e32 v32, v2, v30
	v_or_b32_e32 v48, v50, v48
	v_or_b32_e32 v29, v49, v47
	v_mul_f32_e32 v30, s39, v44
	v_mul_f32_e32 v36, s4, v36
	v_fmac_f32_e32 v31, v5, v35
	v_fmac_f32_e32 v32, v6, v37
	;; [unrolled: 6-line block ×3, first 2 shown]
	v_or_b32_e32 v19, v58, v56
	s_waitcnt lgkmcnt(0)
	v_or_b32_e32 v25, v57, v55
	v_mul_f32_e32 v27, s39, v27
	v_mul_f32_e32 v30, s4, v35
	v_fmac_f32_e32 v31, v9, v29
	v_fmac_f32_e32 v32, v10, v37
	v_mul_f32_e32 v19, s39, v19
	v_mul_f32_e32 v25, s4, v25
	v_or_b32_e32 v29, v60, v34
	v_or_b32_e32 v33, v59, v33
	v_fmac_f32_e32 v31, v11, v30
	v_fmac_f32_e32 v32, v12, v27
	v_mul_f32_e32 v27, s39, v29
	v_mul_f32_e32 v29, s4, v33
	v_fmac_f32_e32 v31, v13, v25
	v_fmac_f32_e32 v32, v14, v19
	;; [unrolled: 1-line block ×4, first 2 shown]
	v_add_f32_e32 v19, v31, v32
	ds_bpermute_b32 v25, v66, v19
	s_and_saveexec_b32 s3, vcc_lo
	s_cbranch_execz .LBB218_9
; %bb.139:                              ;   in Loop: Header=BB218_10 Depth=1
	v_add_nc_u32_e32 v27, s5, v67
	s_waitcnt lgkmcnt(0)
	v_add_f32_e32 v19, v19, v25
	v_cmp_gt_i32_e64 s2, s27, v67
	v_cvt_f32_i32_e32 v27, v27
	v_mul_f32_e32 v27, s36, v27
	v_cndmask_b32_e64 v25, 0, v27, s1
	v_max_f32_e32 v27, v65, v65
	v_fmac_f32_e32 v25, s37, v19
	v_max_f32_e32 v19, v27, v25
	v_cndmask_b32_e64 v25, 0, v25, s2
	v_cndmask_b32_e64 v65, v65, v19, s2
	ds_write_b32 v68, v25
	s_branch .LBB218_9
.LBB218_140:
	s_or_b32 exec_lo, exec_lo, s16
.LBB218_141:
	s_or_b32 exec_lo, exec_lo, s38
	v_xor_b32_e32 v1, 16, v63
	v_xor_b32_e32 v3, 8, v63
	v_max_f32_e32 v5, v65, v65
	v_xor_b32_e32 v6, 2, v63
	v_and_b32_e32 v26, 31, v0
	v_cmp_lt_i32_e32 vcc_lo, v1, v64
	v_cndmask_b32_e32 v1, v63, v1, vcc_lo
	v_cmp_lt_i32_e32 vcc_lo, v3, v64
	v_lshlrev_b32_e32 v2, 2, v1
	v_cndmask_b32_e32 v3, v63, v3, vcc_lo
	ds_bpermute_b32 v1, v2, v65
	v_lshlrev_b32_e32 v4, 2, v3
	s_waitcnt lgkmcnt(0)
	v_max_f32_e32 v1, v1, v1
	v_max_f32_e32 v1, v5, v1
	v_xor_b32_e32 v5, 4, v63
	ds_bpermute_b32 v3, v4, v1
	v_cmp_lt_i32_e32 vcc_lo, v5, v64
	v_cndmask_b32_e32 v5, v63, v5, vcc_lo
	v_cmp_lt_i32_e32 vcc_lo, v6, v64
	v_lshlrev_b32_e32 v5, 2, v5
	v_cndmask_b32_e32 v6, v63, v6, vcc_lo
	v_cmp_eq_u32_e32 vcc_lo, 0, v26
	v_lshlrev_b32_e32 v27, 2, v6
	v_lshlrev_b32_e32 v6, 2, v61
	s_waitcnt lgkmcnt(0)
	v_max_f32_e32 v3, v3, v3
	v_max_f32_e32 v1, v1, v3
	ds_bpermute_b32 v3, v5, v1
	s_waitcnt lgkmcnt(0)
	v_max_f32_e32 v3, v3, v3
	v_max_f32_e32 v1, v1, v3
	ds_bpermute_b32 v3, v27, v1
	s_and_saveexec_b32 s1, vcc_lo
	s_cbranch_execz .LBB218_143
; %bb.142:
	s_waitcnt lgkmcnt(0)
	v_max_f32_e32 v3, v3, v3
	v_max_f32_e32 v1, v1, v1
	;; [unrolled: 1-line block ×3, first 2 shown]
	ds_write_b32 v6, v1 offset:128
.LBB218_143:
	s_or_b32 exec_lo, exec_lo, s1
	v_cmp_gt_u32_e64 s1, 4, v26
	v_mov_b32_e32 v1, 0xff7fffff
	v_lshlrev_b32_e32 v7, 2, v26
	s_waitcnt lgkmcnt(0)
	s_barrier
	buffer_gl0_inv
	s_and_saveexec_b32 s2, s1
; %bb.144:
	ds_read_b32 v1, v7 offset:128
; %bb.145:
	s_or_b32 exec_lo, exec_lo, s2
	s_waitcnt lgkmcnt(0)
	ds_bpermute_b32 v3, v27, v1
	v_xor_b32_e32 v8, 1, v63
	v_max_f32_e32 v1, v1, v1
	v_cmp_lt_i32_e64 s2, v8, v64
	v_cndmask_b32_e64 v8, v63, v8, s2
	s_sub_i32 s2, s11, s12
	s_lshl_b32 s2, s2, 4
	v_lshlrev_b32_e32 v28, 2, v8
	s_add_i32 s2, s2, s33
	v_mov_b32_e32 v8, 0
	s_min_i32 s2, s2, s27
	s_waitcnt lgkmcnt(0)
	v_max_f32_e32 v3, v3, v3
	s_sub_i32 s4, s2, s33
	v_cmp_gt_i32_e64 s2, s4, v0
	v_max_f32_e32 v1, v1, v3
	ds_bpermute_b32 v3, v28, v1
	s_waitcnt lgkmcnt(0)
	v_max_f32_e32 v3, v3, v3
	v_max_f32_e32 v1, v1, v3
	v_lshlrev_b32_e32 v3, 2, v20
	ds_bpermute_b32 v1, v3, v1
	v_lshl_add_u32 v3, v0, 2, 0xa0
	s_and_saveexec_b32 s5, s2
	s_cbranch_execz .LBB218_149
; %bb.146:
	v_lshl_add_u32 v9, v0, 2, 0xa0
	v_mov_b32_e32 v8, 0
	v_mov_b32_e32 v10, v0
	s_mov_b32 s16, 0
	.p2align	6
.LBB218_147:                            ; =>This Inner Loop Header: Depth=1
	ds_read_b32 v11, v9
	v_add_nc_u32_e32 v10, 0x80, v10
	v_cmp_le_i32_e64 s3, s4, v10
	s_or_b32 s16, s3, s16
	s_waitcnt lgkmcnt(0)
	v_sub_f32_e32 v11, v11, v1
	v_mul_f32_e32 v11, 0x3fb8aa3b, v11
	v_exp_f32_e32 v11, v11
	ds_write_b32 v9, v11
	v_add_f32_e32 v8, v8, v11
	v_add_nc_u32_e32 v9, 0x200, v9
	s_andn2_b32 exec_lo, exec_lo, s16
	s_cbranch_execnz .LBB218_147
; %bb.148:
	s_or_b32 exec_lo, exec_lo, s16
.LBB218_149:
	s_or_b32 exec_lo, exec_lo, s5
	ds_bpermute_b32 v2, v2, v8
	s_waitcnt lgkmcnt(0)
	v_add_f32_e32 v2, v8, v2
	ds_bpermute_b32 v4, v4, v2
	s_waitcnt lgkmcnt(0)
	v_add_f32_e32 v2, v2, v4
	;; [unrolled: 3-line block ×5, first 2 shown]
	s_and_saveexec_b32 s3, vcc_lo
; %bb.150:
	ds_write_b32 v6, v2 offset:144
; %bb.151:
	s_or_b32 exec_lo, exec_lo, s3
	s_waitcnt lgkmcnt(0)
	s_barrier
	buffer_gl0_inv
	s_and_saveexec_b32 s3, s1
; %bb.152:
	ds_read_b32 v2, v7 offset:144
; %bb.153:
	s_or_b32 exec_lo, exec_lo, s3
	s_waitcnt lgkmcnt(0)
	ds_bpermute_b32 v4, v27, v2
	v_lshlrev_b32_e32 v5, 2, v63
	s_waitcnt lgkmcnt(0)
	v_add_f32_e32 v2, v2, v4
	ds_bpermute_b32 v4, v28, v2
	s_waitcnt lgkmcnt(0)
	v_add_f32_e32 v2, v2, v4
	v_and_b32_e32 v4, 0xffffff80, v5
	ds_bpermute_b32 v2, v4, v2
	s_and_saveexec_b32 s1, s2
	s_cbranch_execz .LBB218_156
; %bb.154:
	s_waitcnt lgkmcnt(0)
	v_add_f32_e32 v4, 0x358637bd, v2
	s_mov_b32 s2, 0
	v_div_scale_f32 v5, null, v4, v4, 1.0
	v_div_scale_f32 v8, vcc_lo, 1.0, v4, 1.0
	v_rcp_f32_e32 v6, v5
	v_fma_f32 v7, -v5, v6, 1.0
	v_fmac_f32_e32 v6, v7, v6
	v_mul_f32_e32 v7, v8, v6
	v_fma_f32 v9, -v5, v7, v8
	v_fmac_f32_e32 v7, v9, v6
	v_fma_f32 v5, -v5, v7, v8
	v_div_fmas_f32 v5, v5, v6, v7
	v_div_fixup_f32 v4, v5, v4, 1.0
	v_mov_b32_e32 v5, v0
.LBB218_155:                            ; =>This Inner Loop Header: Depth=1
	ds_read_b32 v6, v3
	v_add_nc_u32_e32 v5, 0x80, v5
	v_cmp_le_i32_e32 vcc_lo, s4, v5
	s_or_b32 s2, vcc_lo, s2
	s_waitcnt lgkmcnt(0)
	v_mul_f32_e32 v6, v4, v6
	ds_write_b32 v3, v6
	v_add_nc_u32_e32 v3, 0x200, v3
	s_andn2_b32 exec_lo, exec_lo, s2
	s_cbranch_execnz .LBB218_155
.LBB218_156:
	s_or_b32 exec_lo, exec_lo, s1
	s_mul_i32 s1, s7, s26
	s_waitcnt lgkmcnt(0)
	s_mul_i32 s2, s1, s9
	s_mov_b32 s1, exec_lo
	s_barrier
	buffer_gl0_inv
	v_cmpx_eq_u32_e32 0, v0
	s_cbranch_execz .LBB218_158
; %bb.157:
	s_ashr_i32 s3, s2, 31
	s_mul_i32 s16, s7, s6
	s_lshl_b64 s[4:5], s[2:3], 2
	v_mov_b32_e32 v3, 0
	s_add_u32 s3, s22, s4
	s_addc_u32 s6, s23, s5
	s_ashr_i32 s17, s16, 31
	s_lshl_b64 s[16:17], s[16:17], 2
	s_add_u32 s3, s3, s16
	s_addc_u32 s6, s6, s17
	s_ashr_i32 s9, s8, 31
	s_lshl_b64 s[8:9], s[8:9], 2
	s_add_u32 s22, s3, s8
	s_addc_u32 s23, s6, s9
	s_add_u32 s3, s20, s4
	s_addc_u32 s4, s21, s5
	;; [unrolled: 2-line block ×4, first 2 shown]
	global_store_dword v3, v1, s[22:23]
	global_store_dword v3, v2, s[4:5]
.LBB218_158:
	s_or_b32 exec_lo, exec_lo, s1
	v_mov_b32_e32 v31, 0
	v_and_b32_e32 v29, 3, v0
	v_mov_b32_e32 v33, 0
	v_mov_b32_e32 v32, 0
	;; [unrolled: 1-line block ×3, first 2 shown]
	s_and_saveexec_b32 s1, s0
	s_cbranch_execz .LBB218_298
; %bb.159:
	s_load_dword s3, s[18:19], 0x0
	v_and_b32_e32 v1, 12, v62
	v_and_b32_e32 v2, 0x7c, v62
	v_lshl_add_u32 v4, v61, 4, s33
	s_ashr_i32 s0, s14, 31
	s_add_u32 s4, s34, s14
	v_lshlrev_b32_e32 v3, 4, v29
	s_addc_u32 s0, s35, s0
	v_add_co_u32 v7, s4, s4, v2
	v_add3_u32 v34, v4, v1, 3
	v_lshlrev_b64 v[1:2], 2, v[17:18]
	v_add_co_ci_u32_e64 v8, null, s0, 0, s4
	s_lshl_b64 s[4:5], s[30:31], 2
	s_add_i32 s15, s15, -1
	v_lshl_or_b32 v3, v61, 6, v3
	s_add_u32 s0, s28, s4
	s_addc_u32 s4, s29, s5
	v_add_co_u32 v9, vcc_lo, s0, v1
	v_mov_b32_e32 v6, 0
	v_add_nc_u32_e32 v35, 0xa0, v3
	v_add_co_ci_u32_e64 v10, null, s4, v2, vcc_lo
	v_mov_b32_e32 v36, 0x80
	v_bfrev_b32_e32 v12, 1
	v_mov_b32_e32 v37, 0xffff
	v_mov_b32_e32 v14, 0x7f800001
	;; [unrolled: 1-line block ×9, first 2 shown]
	s_mov_b32 s4, s13
	s_waitcnt lgkmcnt(0)
	s_mov_b32 s6, s3
	s_mov_b32 s5, 0
	s_branch .LBB218_161
.LBB218_160:                            ;   in Loop: Header=BB218_161 Depth=1
	s_or_b32 exec_lo, exec_lo, s0
	s_waitcnt lgkmcnt(0)
	v_mul_f32_e32 v16, v1, v53
	v_mul_f32_e32 v18, v1, v51
	;; [unrolled: 1-line block ×4, first 2 shown]
	v_add_nc_u32_e32 v17, 4, v17
	v_fmac_f32_e32 v16, v2, v52
	v_fmac_f32_e32 v18, v2, v50
	;; [unrolled: 1-line block ×4, first 2 shown]
	v_cmp_le_i32_e32 vcc_lo, s11, v17
	v_fmac_f32_e32 v16, v3, v25
	v_fmac_f32_e32 v18, v3, v49
	;; [unrolled: 1-line block ×4, first 2 shown]
	v_add_co_u32 v9, s0, v9, 16
	v_fmac_f32_e32 v16, v4, v24
	v_fmac_f32_e32 v18, v4, v48
	;; [unrolled: 1-line block ×4, first 2 shown]
	v_add_nc_u32_e32 v34, 64, v34
	v_add_f32_e32 v32, v32, v16
	v_add_f32_e32 v33, v33, v18
	v_add_f32_e32 v31, v31, v19
	v_add_f32_e32 v30, v30, v1
	v_add_nc_u32_e32 v35, 0x100, v35
	v_add_co_ci_u32_e64 v10, null, 0, v10, s0
	s_or_b32 s5, vcc_lo, s5
	s_andn2_b32 exec_lo, exec_lo, s5
	s_cbranch_execz .LBB218_297
.LBB218_161:                            ; =>This Inner Loop Header: Depth=1
	global_load_dword v1, v[9:10], off
	v_mov_b32_e32 v20, 0
	v_mov_b32_e32 v18, 0
	;; [unrolled: 1-line block ×4, first 2 shown]
	s_waitcnt vmcnt(0)
	v_mad_i64_i32 v[15:16], null, v1, s4, v[7:8]
	ds_read_b128 v[1:4], v35
	global_load_dword v41, v[15:16], off
	s_waitcnt vmcnt(0)
	v_cmp_ne_u16_sdwa s8, v41, v6 src0_sel:BYTE_0 src1_sel:DWORD
	s_and_saveexec_b32 s0, s8
	s_cbranch_execz .LBB218_169
; %bb.162:                              ;   in Loop: Header=BB218_161 Depth=1
	v_bfrev_b32_e32 v18, 1
	v_mov_b32_e32 v19, 0
	v_cmp_ne_u16_sdwa s9, v41, v36 src0_sel:BYTE_0 src1_sel:DWORD
	s_and_saveexec_b32 s8, s9
	s_cbranch_execz .LBB218_168
; %bb.163:                              ;   in Loop: Header=BB218_161 Depth=1
	v_mov_b32_e32 v18, 0x7f800001
	v_and_b32_e32 v13, 0x7f, v41
	v_mov_b32_e32 v19, 0
	s_mov_b32 s9, exec_lo
	v_cmpx_ne_u32_e32 0x7f, v13
	s_cbranch_execz .LBB218_167
; %bb.164:                              ;   in Loop: Header=BB218_161 Depth=1
	v_and_b32_e32 v5, 7, v41
	v_lshrrev_b32_e32 v11, 3, v13
	s_mov_b32 s13, exec_lo
	v_cmpx_gt_u32_e32 8, v13
; %bb.165:                              ;   in Loop: Header=BB218_161 Depth=1
	v_ffbh_u32_e32 v11, v5
	v_min_u32_e32 v11, 32, v11
	v_subrev_nc_u32_e32 v13, 28, v11
	v_sub_nc_u32_e32 v11, 29, v11
	v_lshlrev_b64 v[18:19], v13, v[5:6]
	v_and_b32_e32 v5, 7, v18
; %bb.166:                              ;   in Loop: Header=BB218_161 Depth=1
	s_or_b32 exec_lo, exec_lo, s13
	v_lshlrev_b32_e32 v13, 24, v41
	v_lshlrev_b32_e32 v5, 20, v5
	v_lshl_add_u32 v11, v11, 23, 0x3c000000
	v_and_b32_e32 v13, 0x80000000, v13
	v_or3_b32 v5, v5, v13, v11
	v_mov_b32_e32 v19, v6
	v_mov_b32_e32 v18, v5
.LBB218_167:                            ;   in Loop: Header=BB218_161 Depth=1
	s_or_b32 exec_lo, exec_lo, s9
.LBB218_168:                            ;   in Loop: Header=BB218_161 Depth=1
	s_or_b32 exec_lo, exec_lo, s8
.LBB218_169:                            ;   in Loop: Header=BB218_161 Depth=1
	s_or_b32 exec_lo, exec_lo, s0
	v_cmp_ne_u16_sdwa s8, v41, v6 src0_sel:BYTE_1 src1_sel:DWORD
	s_and_saveexec_b32 s0, s8
	s_cbranch_execz .LBB218_177
; %bb.170:                              ;   in Loop: Header=BB218_161 Depth=1
	v_mov_b32_e32 v11, v6
	v_mov_b32_e32 v21, v12
	v_cmp_ne_u16_sdwa s9, v41, v36 src0_sel:BYTE_1 src1_sel:DWORD
	v_mov_b32_e32 v20, v11
	s_and_saveexec_b32 s8, s9
	s_cbranch_execz .LBB218_176
; %bb.171:                              ;   in Loop: Header=BB218_161 Depth=1
	v_and_b32_sdwa v5, v37, v41 dst_sel:DWORD dst_unused:UNUSED_PAD src0_sel:DWORD src1_sel:BYTE_1
	v_mov_b32_e32 v13, v6
	v_mov_b32_e32 v21, v14
	s_mov_b32 s9, exec_lo
	v_and_b32_e32 v22, 0x7f, v5
	v_mov_b32_e32 v20, v13
	v_cmpx_ne_u32_e32 0x7f, v22
	s_cbranch_execz .LBB218_175
; %bb.172:                              ;   in Loop: Header=BB218_161 Depth=1
	v_and_b32_e32 v5, 7, v5
	v_lshrrev_b32_e32 v11, 3, v22
	s_mov_b32 s13, exec_lo
	v_cmpx_gt_u32_e32 8, v22
; %bb.173:                              ;   in Loop: Header=BB218_161 Depth=1
	v_ffbh_u32_e32 v11, v5
	v_min_u32_e32 v11, 32, v11
	v_subrev_nc_u32_e32 v13, 28, v11
	v_sub_nc_u32_e32 v11, 29, v11
	v_lshlrev_b64 v[20:21], v13, v[5:6]
	v_and_b32_e32 v5, 7, v20
; %bb.174:                              ;   in Loop: Header=BB218_161 Depth=1
	s_or_b32 exec_lo, exec_lo, s13
	v_lshlrev_b32_e32 v13, 16, v41
	v_lshlrev_b32_e32 v5, 20, v5
	v_lshl_add_u32 v11, v11, 23, 0x3c000000
	v_mov_b32_e32 v20, v6
	v_and_b32_e32 v13, 0x80000000, v13
	v_or3_b32 v21, v5, v13, v11
.LBB218_175:                            ;   in Loop: Header=BB218_161 Depth=1
	s_or_b32 exec_lo, exec_lo, s9
.LBB218_176:                            ;   in Loop: Header=BB218_161 Depth=1
	s_or_b32 exec_lo, exec_lo, s8
.LBB218_177:                            ;   in Loop: Header=BB218_161 Depth=1
	s_or_b32 exec_lo, exec_lo, s0
	v_mov_b32_e32 v24, 0
	v_mov_b32_e32 v22, 0
	v_and_b32_sdwa v5, v41, v38 dst_sel:DWORD dst_unused:UNUSED_PAD src0_sel:WORD_1 src1_sel:DWORD
	v_mov_b32_e32 v25, 0
	v_mov_b32_e32 v23, 0
	s_mov_b32 s0, exec_lo
	v_cmpx_ne_u16_e32 0, v5
	s_cbranch_execz .LBB218_185
; %bb.178:                              ;   in Loop: Header=BB218_161 Depth=1
	v_bfrev_b32_e32 v22, 1
	v_mov_b32_e32 v23, 0
	s_mov_b32 s8, exec_lo
	v_cmpx_ne_u16_e32 0x80, v5
	s_cbranch_execz .LBB218_184
; %bb.179:                              ;   in Loop: Header=BB218_161 Depth=1
	v_mov_b32_e32 v22, 0x7f800001
	v_bfe_u32 v13, v41, 16, 7
	v_mov_b32_e32 v23, 0
	s_mov_b32 s9, exec_lo
	v_cmpx_ne_u32_e32 0x7f, v13
	s_cbranch_execz .LBB218_183
; %bb.180:                              ;   in Loop: Header=BB218_161 Depth=1
	v_and_b32_sdwa v5, v41, v39 dst_sel:DWORD dst_unused:UNUSED_PAD src0_sel:WORD_1 src1_sel:DWORD
	v_lshrrev_b32_e32 v11, 3, v13
	s_mov_b32 s13, exec_lo
	v_cmpx_gt_u32_e32 8, v13
; %bb.181:                              ;   in Loop: Header=BB218_161 Depth=1
	v_ffbh_u32_e32 v11, v5
	v_min_u32_e32 v11, 32, v11
	v_subrev_nc_u32_e32 v13, 28, v11
	v_sub_nc_u32_e32 v11, 29, v11
	v_lshlrev_b64 v[22:23], v13, v[5:6]
	v_and_b32_e32 v5, 7, v22
; %bb.182:                              ;   in Loop: Header=BB218_161 Depth=1
	s_or_b32 exec_lo, exec_lo, s13
	v_lshlrev_b32_sdwa v13, v40, v41 dst_sel:DWORD dst_unused:UNUSED_PAD src0_sel:DWORD src1_sel:WORD_1
	v_lshlrev_b32_e32 v5, 20, v5
	v_lshl_add_u32 v11, v11, 23, 0x3c000000
	v_and_b32_e32 v13, 0x80000000, v13
	v_or3_b32 v5, v5, v13, v11
	v_mov_b32_e32 v23, v6
	v_mov_b32_e32 v22, v5
.LBB218_183:                            ;   in Loop: Header=BB218_161 Depth=1
	s_or_b32 exec_lo, exec_lo, s9
.LBB218_184:                            ;   in Loop: Header=BB218_161 Depth=1
	s_or_b32 exec_lo, exec_lo, s8
.LBB218_185:                            ;   in Loop: Header=BB218_161 Depth=1
	s_or_b32 exec_lo, exec_lo, s0
	s_mov_b32 s0, exec_lo
	v_cmpx_lt_u32_e32 0xffffff, v41
	s_cbranch_execz .LBB218_193
; %bb.186:                              ;   in Loop: Header=BB218_161 Depth=1
	v_mov_b32_e32 v11, v6
	v_mov_b32_e32 v25, v12
	v_cmp_ne_u32_sdwa s9, v41, v36 src0_sel:BYTE_3 src1_sel:DWORD
	v_mov_b32_e32 v24, v11
	s_and_saveexec_b32 s8, s9
	s_cbranch_execz .LBB218_192
; %bb.187:                              ;   in Loop: Header=BB218_161 Depth=1
	v_mov_b32_e32 v13, v6
	v_mov_b32_e32 v25, v14
	v_bfe_u32 v42, v41, 24, 7
	s_mov_b32 s9, exec_lo
	v_mov_b32_e32 v24, v13
	v_cmpx_ne_u32_e32 0x7f, v42
	s_cbranch_execz .LBB218_191
; %bb.188:                              ;   in Loop: Header=BB218_161 Depth=1
	v_and_b32_sdwa v5, v41, v39 dst_sel:DWORD dst_unused:UNUSED_PAD src0_sel:BYTE_3 src1_sel:DWORD
	v_lshrrev_b32_e32 v11, 3, v42
	s_mov_b32 s13, exec_lo
	v_cmpx_gt_u32_e32 8, v42
; %bb.189:                              ;   in Loop: Header=BB218_161 Depth=1
	v_ffbh_u32_e32 v11, v5
	v_min_u32_e32 v11, 32, v11
	v_subrev_nc_u32_e32 v13, 28, v11
	v_sub_nc_u32_e32 v11, 29, v11
	v_lshlrev_b64 v[24:25], v13, v[5:6]
	v_and_b32_e32 v5, 7, v24
; %bb.190:                              ;   in Loop: Header=BB218_161 Depth=1
	s_or_b32 exec_lo, exec_lo, s13
	v_lshlrev_b32_sdwa v13, v40, v41 dst_sel:DWORD dst_unused:UNUSED_PAD src0_sel:DWORD src1_sel:BYTE_3
	v_lshlrev_b32_e32 v5, 20, v5
	v_lshl_add_u32 v11, v11, 23, 0x3c000000
	v_mov_b32_e32 v24, v6
	v_and_b32_e32 v13, 0x80000000, v13
	v_or3_b32 v25, v5, v13, v11
.LBB218_191:                            ;   in Loop: Header=BB218_161 Depth=1
	s_or_b32 exec_lo, exec_lo, s9
.LBB218_192:                            ;   in Loop: Header=BB218_161 Depth=1
	s_or_b32 exec_lo, exec_lo, s8
.LBB218_193:                            ;   in Loop: Header=BB218_161 Depth=1
	s_or_b32 exec_lo, exec_lo, s0
	v_or_b32_e32 v5, v21, v19
	v_or_b32_e32 v11, v20, v18
	;; [unrolled: 1-line block ×4, first 2 shown]
	v_add_nc_u32_e32 v45, -3, v34
	v_cmp_eq_u32_e32 vcc_lo, s15, v17
	v_mul_f32_e32 v43, s6, v5
	v_mul_f32_e32 v44, s3, v11
	;; [unrolled: 1-line block ×4, first 2 shown]
	v_add_nc_u32_e32 v47, -2, v34
	v_add_nc_u32_e32 v46, -1, v34
	s_and_saveexec_b32 s8, vcc_lo
	s_cbranch_execz .LBB218_195
; %bb.194:                              ;   in Loop: Header=BB218_161 Depth=1
	v_cmp_gt_i32_e64 s0, s27, v45
	v_cndmask_b32_e64 v44, 0, v44, s0
	v_cmp_gt_i32_e64 s0, s27, v47
	v_cndmask_b32_e64 v43, 0, v43, s0
	;; [unrolled: 2-line block ×4, first 2 shown]
.LBB218_195:                            ;   in Loop: Header=BB218_161 Depth=1
	s_or_b32 exec_lo, exec_lo, s8
	global_load_dword v48, v[15:16], off offset:128
	v_mov_b32_e32 v20, 0
	v_mov_b32_e32 v18, 0
	;; [unrolled: 1-line block ×4, first 2 shown]
	s_waitcnt vmcnt(0)
	v_cmp_ne_u16_sdwa s0, v48, v6 src0_sel:BYTE_0 src1_sel:DWORD
	s_and_saveexec_b32 s8, s0
	s_cbranch_execz .LBB218_203
; %bb.196:                              ;   in Loop: Header=BB218_161 Depth=1
	v_bfrev_b32_e32 v18, 1
	v_mov_b32_e32 v19, 0
	v_cmp_ne_u16_sdwa s0, v48, v36 src0_sel:BYTE_0 src1_sel:DWORD
	s_and_saveexec_b32 s9, s0
	s_cbranch_execz .LBB218_202
; %bb.197:                              ;   in Loop: Header=BB218_161 Depth=1
	v_mov_b32_e32 v18, 0x7f800001
	v_and_b32_e32 v13, 0x7f, v48
	v_mov_b32_e32 v19, 0
	s_mov_b32 s13, exec_lo
	v_cmpx_ne_u32_e32 0x7f, v13
	s_cbranch_execz .LBB218_201
; %bb.198:                              ;   in Loop: Header=BB218_161 Depth=1
	v_and_b32_e32 v5, 7, v48
	v_lshrrev_b32_e32 v11, 3, v13
	s_mov_b32 s14, exec_lo
	v_cmpx_gt_u32_e32 8, v13
; %bb.199:                              ;   in Loop: Header=BB218_161 Depth=1
	v_ffbh_u32_e32 v11, v5
	v_min_u32_e32 v11, 32, v11
	v_subrev_nc_u32_e32 v13, 28, v11
	v_sub_nc_u32_e32 v11, 29, v11
	v_lshlrev_b64 v[18:19], v13, v[5:6]
	v_and_b32_e32 v5, 7, v18
; %bb.200:                              ;   in Loop: Header=BB218_161 Depth=1
	s_or_b32 exec_lo, exec_lo, s14
	v_lshlrev_b32_e32 v13, 24, v48
	v_lshlrev_b32_e32 v5, 20, v5
	v_lshl_add_u32 v11, v11, 23, 0x3c000000
	v_and_b32_e32 v13, 0x80000000, v13
	v_or3_b32 v5, v5, v13, v11
	v_mov_b32_e32 v19, v6
	v_mov_b32_e32 v18, v5
.LBB218_201:                            ;   in Loop: Header=BB218_161 Depth=1
	s_or_b32 exec_lo, exec_lo, s13
.LBB218_202:                            ;   in Loop: Header=BB218_161 Depth=1
	s_or_b32 exec_lo, exec_lo, s9
.LBB218_203:                            ;   in Loop: Header=BB218_161 Depth=1
	s_or_b32 exec_lo, exec_lo, s8
	v_cmp_ne_u16_sdwa s0, v48, v6 src0_sel:BYTE_1 src1_sel:DWORD
	s_and_saveexec_b32 s8, s0
	s_cbranch_execz .LBB218_211
; %bb.204:                              ;   in Loop: Header=BB218_161 Depth=1
	v_mov_b32_e32 v11, v6
	v_mov_b32_e32 v21, v12
	v_cmp_ne_u16_sdwa s0, v48, v36 src0_sel:BYTE_1 src1_sel:DWORD
	v_mov_b32_e32 v20, v11
	s_and_saveexec_b32 s9, s0
	s_cbranch_execz .LBB218_210
; %bb.205:                              ;   in Loop: Header=BB218_161 Depth=1
	v_and_b32_sdwa v5, v37, v48 dst_sel:DWORD dst_unused:UNUSED_PAD src0_sel:DWORD src1_sel:BYTE_1
	v_mov_b32_e32 v13, v6
	v_mov_b32_e32 v21, v14
	s_mov_b32 s13, exec_lo
	v_and_b32_e32 v22, 0x7f, v5
	v_mov_b32_e32 v20, v13
	v_cmpx_ne_u32_e32 0x7f, v22
	s_cbranch_execz .LBB218_209
; %bb.206:                              ;   in Loop: Header=BB218_161 Depth=1
	v_and_b32_e32 v5, 7, v5
	v_lshrrev_b32_e32 v11, 3, v22
	s_mov_b32 s14, exec_lo
	v_cmpx_gt_u32_e32 8, v22
; %bb.207:                              ;   in Loop: Header=BB218_161 Depth=1
	v_ffbh_u32_e32 v11, v5
	v_min_u32_e32 v11, 32, v11
	v_subrev_nc_u32_e32 v13, 28, v11
	v_sub_nc_u32_e32 v11, 29, v11
	v_lshlrev_b64 v[20:21], v13, v[5:6]
	v_and_b32_e32 v5, 7, v20
; %bb.208:                              ;   in Loop: Header=BB218_161 Depth=1
	s_or_b32 exec_lo, exec_lo, s14
	v_lshlrev_b32_e32 v13, 16, v48
	v_lshlrev_b32_e32 v5, 20, v5
	v_lshl_add_u32 v11, v11, 23, 0x3c000000
	v_mov_b32_e32 v20, v6
	v_and_b32_e32 v13, 0x80000000, v13
	v_or3_b32 v21, v5, v13, v11
.LBB218_209:                            ;   in Loop: Header=BB218_161 Depth=1
	s_or_b32 exec_lo, exec_lo, s13
.LBB218_210:                            ;   in Loop: Header=BB218_161 Depth=1
	s_or_b32 exec_lo, exec_lo, s9
.LBB218_211:                            ;   in Loop: Header=BB218_161 Depth=1
	s_or_b32 exec_lo, exec_lo, s8
	v_mov_b32_e32 v24, 0
	v_mov_b32_e32 v22, 0
	v_and_b32_sdwa v5, v48, v38 dst_sel:DWORD dst_unused:UNUSED_PAD src0_sel:WORD_1 src1_sel:DWORD
	v_mov_b32_e32 v25, 0
	v_mov_b32_e32 v23, 0
	s_mov_b32 s8, exec_lo
	v_cmpx_ne_u16_e32 0, v5
	s_cbranch_execz .LBB218_219
; %bb.212:                              ;   in Loop: Header=BB218_161 Depth=1
	v_bfrev_b32_e32 v22, 1
	v_mov_b32_e32 v23, 0
	s_mov_b32 s9, exec_lo
	v_cmpx_ne_u16_e32 0x80, v5
	s_cbranch_execz .LBB218_218
; %bb.213:                              ;   in Loop: Header=BB218_161 Depth=1
	v_mov_b32_e32 v22, 0x7f800001
	v_bfe_u32 v13, v48, 16, 7
	v_mov_b32_e32 v23, 0
	s_mov_b32 s13, exec_lo
	v_cmpx_ne_u32_e32 0x7f, v13
	s_cbranch_execz .LBB218_217
; %bb.214:                              ;   in Loop: Header=BB218_161 Depth=1
	v_and_b32_sdwa v5, v48, v39 dst_sel:DWORD dst_unused:UNUSED_PAD src0_sel:WORD_1 src1_sel:DWORD
	v_lshrrev_b32_e32 v11, 3, v13
	s_mov_b32 s14, exec_lo
	v_cmpx_gt_u32_e32 8, v13
; %bb.215:                              ;   in Loop: Header=BB218_161 Depth=1
	v_ffbh_u32_e32 v11, v5
	v_min_u32_e32 v11, 32, v11
	v_subrev_nc_u32_e32 v13, 28, v11
	v_sub_nc_u32_e32 v11, 29, v11
	v_lshlrev_b64 v[22:23], v13, v[5:6]
	v_and_b32_e32 v5, 7, v22
; %bb.216:                              ;   in Loop: Header=BB218_161 Depth=1
	s_or_b32 exec_lo, exec_lo, s14
	v_lshlrev_b32_sdwa v13, v40, v48 dst_sel:DWORD dst_unused:UNUSED_PAD src0_sel:DWORD src1_sel:WORD_1
	v_lshlrev_b32_e32 v5, 20, v5
	v_lshl_add_u32 v11, v11, 23, 0x3c000000
	v_and_b32_e32 v13, 0x80000000, v13
	v_or3_b32 v5, v5, v13, v11
	v_mov_b32_e32 v23, v6
	v_mov_b32_e32 v22, v5
.LBB218_217:                            ;   in Loop: Header=BB218_161 Depth=1
	s_or_b32 exec_lo, exec_lo, s13
.LBB218_218:                            ;   in Loop: Header=BB218_161 Depth=1
	s_or_b32 exec_lo, exec_lo, s9
.LBB218_219:                            ;   in Loop: Header=BB218_161 Depth=1
	s_or_b32 exec_lo, exec_lo, s8
	s_mov_b32 s8, exec_lo
	v_cmpx_lt_u32_e32 0xffffff, v48
	s_cbranch_execz .LBB218_227
; %bb.220:                              ;   in Loop: Header=BB218_161 Depth=1
	v_mov_b32_e32 v11, v6
	v_mov_b32_e32 v25, v12
	v_cmp_ne_u32_sdwa s0, v48, v36 src0_sel:BYTE_3 src1_sel:DWORD
	v_mov_b32_e32 v24, v11
	s_and_saveexec_b32 s9, s0
	s_cbranch_execz .LBB218_226
; %bb.221:                              ;   in Loop: Header=BB218_161 Depth=1
	v_mov_b32_e32 v13, v6
	v_mov_b32_e32 v25, v14
	v_bfe_u32 v49, v48, 24, 7
	s_mov_b32 s13, exec_lo
	v_mov_b32_e32 v24, v13
	v_cmpx_ne_u32_e32 0x7f, v49
	s_cbranch_execz .LBB218_225
; %bb.222:                              ;   in Loop: Header=BB218_161 Depth=1
	v_and_b32_sdwa v5, v48, v39 dst_sel:DWORD dst_unused:UNUSED_PAD src0_sel:BYTE_3 src1_sel:DWORD
	v_lshrrev_b32_e32 v11, 3, v49
	s_mov_b32 s14, exec_lo
	v_cmpx_gt_u32_e32 8, v49
; %bb.223:                              ;   in Loop: Header=BB218_161 Depth=1
	v_ffbh_u32_e32 v11, v5
	v_min_u32_e32 v11, 32, v11
	v_subrev_nc_u32_e32 v13, 28, v11
	v_sub_nc_u32_e32 v11, 29, v11
	v_lshlrev_b64 v[24:25], v13, v[5:6]
	v_and_b32_e32 v5, 7, v24
; %bb.224:                              ;   in Loop: Header=BB218_161 Depth=1
	s_or_b32 exec_lo, exec_lo, s14
	v_lshlrev_b32_sdwa v13, v40, v48 dst_sel:DWORD dst_unused:UNUSED_PAD src0_sel:DWORD src1_sel:BYTE_3
	v_lshlrev_b32_e32 v5, 20, v5
	v_lshl_add_u32 v11, v11, 23, 0x3c000000
	v_mov_b32_e32 v24, v6
	v_and_b32_e32 v13, 0x80000000, v13
	v_or3_b32 v25, v5, v13, v11
.LBB218_225:                            ;   in Loop: Header=BB218_161 Depth=1
	s_or_b32 exec_lo, exec_lo, s13
.LBB218_226:                            ;   in Loop: Header=BB218_161 Depth=1
	s_or_b32 exec_lo, exec_lo, s9
.LBB218_227:                            ;   in Loop: Header=BB218_161 Depth=1
	s_or_b32 exec_lo, exec_lo, s8
	v_or_b32_e32 v5, v21, v19
	v_or_b32_e32 v11, v20, v18
	;; [unrolled: 1-line block ×4, first 2 shown]
	v_mul_f32_e32 v50, s6, v5
	v_mul_f32_e32 v51, s3, v11
	;; [unrolled: 1-line block ×4, first 2 shown]
	s_and_saveexec_b32 s8, vcc_lo
	s_cbranch_execz .LBB218_229
; %bb.228:                              ;   in Loop: Header=BB218_161 Depth=1
	v_cmp_gt_i32_e64 s0, s27, v45
	v_cndmask_b32_e64 v51, 0, v51, s0
	v_cmp_gt_i32_e64 s0, s27, v47
	v_cndmask_b32_e64 v50, 0, v50, s0
	;; [unrolled: 2-line block ×4, first 2 shown]
.LBB218_229:                            ;   in Loop: Header=BB218_161 Depth=1
	s_or_b32 exec_lo, exec_lo, s8
	global_load_dword v52, v[15:16], off offset:256
	v_mov_b32_e32 v20, 0
	v_mov_b32_e32 v18, 0
	;; [unrolled: 1-line block ×4, first 2 shown]
	s_waitcnt vmcnt(0)
	v_cmp_ne_u16_sdwa s0, v52, v6 src0_sel:BYTE_0 src1_sel:DWORD
	s_and_saveexec_b32 s8, s0
	s_cbranch_execz .LBB218_237
; %bb.230:                              ;   in Loop: Header=BB218_161 Depth=1
	v_bfrev_b32_e32 v18, 1
	v_mov_b32_e32 v19, 0
	v_cmp_ne_u16_sdwa s0, v52, v36 src0_sel:BYTE_0 src1_sel:DWORD
	s_and_saveexec_b32 s9, s0
	s_cbranch_execz .LBB218_236
; %bb.231:                              ;   in Loop: Header=BB218_161 Depth=1
	v_mov_b32_e32 v18, 0x7f800001
	v_and_b32_e32 v13, 0x7f, v52
	v_mov_b32_e32 v19, 0
	s_mov_b32 s13, exec_lo
	v_cmpx_ne_u32_e32 0x7f, v13
	s_cbranch_execz .LBB218_235
; %bb.232:                              ;   in Loop: Header=BB218_161 Depth=1
	v_and_b32_e32 v5, 7, v52
	v_lshrrev_b32_e32 v11, 3, v13
	s_mov_b32 s14, exec_lo
	v_cmpx_gt_u32_e32 8, v13
; %bb.233:                              ;   in Loop: Header=BB218_161 Depth=1
	v_ffbh_u32_e32 v11, v5
	v_min_u32_e32 v11, 32, v11
	v_subrev_nc_u32_e32 v13, 28, v11
	v_sub_nc_u32_e32 v11, 29, v11
	v_lshlrev_b64 v[18:19], v13, v[5:6]
	v_and_b32_e32 v5, 7, v18
; %bb.234:                              ;   in Loop: Header=BB218_161 Depth=1
	s_or_b32 exec_lo, exec_lo, s14
	v_lshlrev_b32_e32 v13, 24, v52
	v_lshlrev_b32_e32 v5, 20, v5
	v_lshl_add_u32 v11, v11, 23, 0x3c000000
	v_and_b32_e32 v13, 0x80000000, v13
	v_or3_b32 v5, v5, v13, v11
	v_mov_b32_e32 v19, v6
	v_mov_b32_e32 v18, v5
.LBB218_235:                            ;   in Loop: Header=BB218_161 Depth=1
	s_or_b32 exec_lo, exec_lo, s13
.LBB218_236:                            ;   in Loop: Header=BB218_161 Depth=1
	s_or_b32 exec_lo, exec_lo, s9
.LBB218_237:                            ;   in Loop: Header=BB218_161 Depth=1
	s_or_b32 exec_lo, exec_lo, s8
	v_cmp_ne_u16_sdwa s0, v52, v6 src0_sel:BYTE_1 src1_sel:DWORD
	s_and_saveexec_b32 s8, s0
	s_cbranch_execz .LBB218_245
; %bb.238:                              ;   in Loop: Header=BB218_161 Depth=1
	v_mov_b32_e32 v11, v6
	v_mov_b32_e32 v21, v12
	v_cmp_ne_u16_sdwa s0, v52, v36 src0_sel:BYTE_1 src1_sel:DWORD
	v_mov_b32_e32 v20, v11
	s_and_saveexec_b32 s9, s0
	s_cbranch_execz .LBB218_244
; %bb.239:                              ;   in Loop: Header=BB218_161 Depth=1
	v_and_b32_sdwa v5, v37, v52 dst_sel:DWORD dst_unused:UNUSED_PAD src0_sel:DWORD src1_sel:BYTE_1
	v_mov_b32_e32 v13, v6
	v_mov_b32_e32 v21, v14
	s_mov_b32 s13, exec_lo
	v_and_b32_e32 v22, 0x7f, v5
	v_mov_b32_e32 v20, v13
	v_cmpx_ne_u32_e32 0x7f, v22
	s_cbranch_execz .LBB218_243
; %bb.240:                              ;   in Loop: Header=BB218_161 Depth=1
	v_and_b32_e32 v5, 7, v5
	v_lshrrev_b32_e32 v11, 3, v22
	s_mov_b32 s14, exec_lo
	v_cmpx_gt_u32_e32 8, v22
; %bb.241:                              ;   in Loop: Header=BB218_161 Depth=1
	v_ffbh_u32_e32 v11, v5
	v_min_u32_e32 v11, 32, v11
	v_subrev_nc_u32_e32 v13, 28, v11
	v_sub_nc_u32_e32 v11, 29, v11
	v_lshlrev_b64 v[20:21], v13, v[5:6]
	v_and_b32_e32 v5, 7, v20
; %bb.242:                              ;   in Loop: Header=BB218_161 Depth=1
	s_or_b32 exec_lo, exec_lo, s14
	v_lshlrev_b32_e32 v13, 16, v52
	v_lshlrev_b32_e32 v5, 20, v5
	v_lshl_add_u32 v11, v11, 23, 0x3c000000
	v_mov_b32_e32 v20, v6
	v_and_b32_e32 v13, 0x80000000, v13
	v_or3_b32 v21, v5, v13, v11
.LBB218_243:                            ;   in Loop: Header=BB218_161 Depth=1
	s_or_b32 exec_lo, exec_lo, s13
.LBB218_244:                            ;   in Loop: Header=BB218_161 Depth=1
	s_or_b32 exec_lo, exec_lo, s9
.LBB218_245:                            ;   in Loop: Header=BB218_161 Depth=1
	s_or_b32 exec_lo, exec_lo, s8
	v_mov_b32_e32 v24, 0
	v_mov_b32_e32 v22, 0
	v_and_b32_sdwa v5, v52, v38 dst_sel:DWORD dst_unused:UNUSED_PAD src0_sel:WORD_1 src1_sel:DWORD
	v_mov_b32_e32 v25, 0
	v_mov_b32_e32 v23, 0
	s_mov_b32 s8, exec_lo
	v_cmpx_ne_u16_e32 0, v5
	s_cbranch_execz .LBB218_253
; %bb.246:                              ;   in Loop: Header=BB218_161 Depth=1
	v_bfrev_b32_e32 v22, 1
	v_mov_b32_e32 v23, 0
	s_mov_b32 s9, exec_lo
	v_cmpx_ne_u16_e32 0x80, v5
	s_cbranch_execz .LBB218_252
; %bb.247:                              ;   in Loop: Header=BB218_161 Depth=1
	v_mov_b32_e32 v22, 0x7f800001
	v_bfe_u32 v13, v52, 16, 7
	v_mov_b32_e32 v23, 0
	s_mov_b32 s13, exec_lo
	v_cmpx_ne_u32_e32 0x7f, v13
	s_cbranch_execz .LBB218_251
; %bb.248:                              ;   in Loop: Header=BB218_161 Depth=1
	v_and_b32_sdwa v5, v52, v39 dst_sel:DWORD dst_unused:UNUSED_PAD src0_sel:WORD_1 src1_sel:DWORD
	v_lshrrev_b32_e32 v11, 3, v13
	s_mov_b32 s14, exec_lo
	v_cmpx_gt_u32_e32 8, v13
; %bb.249:                              ;   in Loop: Header=BB218_161 Depth=1
	v_ffbh_u32_e32 v11, v5
	v_min_u32_e32 v11, 32, v11
	v_subrev_nc_u32_e32 v13, 28, v11
	v_sub_nc_u32_e32 v11, 29, v11
	v_lshlrev_b64 v[22:23], v13, v[5:6]
	v_and_b32_e32 v5, 7, v22
; %bb.250:                              ;   in Loop: Header=BB218_161 Depth=1
	s_or_b32 exec_lo, exec_lo, s14
	v_lshlrev_b32_sdwa v13, v40, v52 dst_sel:DWORD dst_unused:UNUSED_PAD src0_sel:DWORD src1_sel:WORD_1
	v_lshlrev_b32_e32 v5, 20, v5
	v_lshl_add_u32 v11, v11, 23, 0x3c000000
	v_and_b32_e32 v13, 0x80000000, v13
	v_or3_b32 v5, v5, v13, v11
	v_mov_b32_e32 v23, v6
	v_mov_b32_e32 v22, v5
.LBB218_251:                            ;   in Loop: Header=BB218_161 Depth=1
	s_or_b32 exec_lo, exec_lo, s13
.LBB218_252:                            ;   in Loop: Header=BB218_161 Depth=1
	s_or_b32 exec_lo, exec_lo, s9
.LBB218_253:                            ;   in Loop: Header=BB218_161 Depth=1
	s_or_b32 exec_lo, exec_lo, s8
	s_mov_b32 s8, exec_lo
	v_cmpx_lt_u32_e32 0xffffff, v52
	s_cbranch_execz .LBB218_261
; %bb.254:                              ;   in Loop: Header=BB218_161 Depth=1
	v_mov_b32_e32 v11, v6
	v_mov_b32_e32 v25, v12
	v_cmp_ne_u32_sdwa s0, v52, v36 src0_sel:BYTE_3 src1_sel:DWORD
	v_mov_b32_e32 v24, v11
	s_and_saveexec_b32 s9, s0
	s_cbranch_execz .LBB218_260
; %bb.255:                              ;   in Loop: Header=BB218_161 Depth=1
	v_mov_b32_e32 v13, v6
	v_mov_b32_e32 v25, v14
	v_bfe_u32 v53, v52, 24, 7
	s_mov_b32 s13, exec_lo
	v_mov_b32_e32 v24, v13
	v_cmpx_ne_u32_e32 0x7f, v53
	s_cbranch_execz .LBB218_259
; %bb.256:                              ;   in Loop: Header=BB218_161 Depth=1
	v_and_b32_sdwa v5, v52, v39 dst_sel:DWORD dst_unused:UNUSED_PAD src0_sel:BYTE_3 src1_sel:DWORD
	v_lshrrev_b32_e32 v11, 3, v53
	s_mov_b32 s14, exec_lo
	v_cmpx_gt_u32_e32 8, v53
; %bb.257:                              ;   in Loop: Header=BB218_161 Depth=1
	v_ffbh_u32_e32 v11, v5
	v_min_u32_e32 v11, 32, v11
	v_subrev_nc_u32_e32 v13, 28, v11
	v_sub_nc_u32_e32 v11, 29, v11
	v_lshlrev_b64 v[24:25], v13, v[5:6]
	v_and_b32_e32 v5, 7, v24
; %bb.258:                              ;   in Loop: Header=BB218_161 Depth=1
	s_or_b32 exec_lo, exec_lo, s14
	v_lshlrev_b32_sdwa v13, v40, v52 dst_sel:DWORD dst_unused:UNUSED_PAD src0_sel:DWORD src1_sel:BYTE_3
	v_lshlrev_b32_e32 v5, 20, v5
	v_lshl_add_u32 v11, v11, 23, 0x3c000000
	v_mov_b32_e32 v24, v6
	v_and_b32_e32 v13, 0x80000000, v13
	v_or3_b32 v25, v5, v13, v11
.LBB218_259:                            ;   in Loop: Header=BB218_161 Depth=1
	s_or_b32 exec_lo, exec_lo, s13
.LBB218_260:                            ;   in Loop: Header=BB218_161 Depth=1
	s_or_b32 exec_lo, exec_lo, s9
.LBB218_261:                            ;   in Loop: Header=BB218_161 Depth=1
	s_or_b32 exec_lo, exec_lo, s8
	v_or_b32_e32 v5, v21, v19
	v_or_b32_e32 v11, v20, v18
	;; [unrolled: 1-line block ×4, first 2 shown]
	v_mul_f32_e32 v52, s6, v5
	v_mul_f32_e32 v53, s3, v11
	;; [unrolled: 1-line block ×4, first 2 shown]
	s_and_saveexec_b32 s8, vcc_lo
	s_cbranch_execz .LBB218_263
; %bb.262:                              ;   in Loop: Header=BB218_161 Depth=1
	v_cmp_gt_i32_e64 s0, s27, v45
	v_cndmask_b32_e64 v53, 0, v53, s0
	v_cmp_gt_i32_e64 s0, s27, v47
	v_cndmask_b32_e64 v52, 0, v52, s0
	;; [unrolled: 2-line block ×4, first 2 shown]
.LBB218_263:                            ;   in Loop: Header=BB218_161 Depth=1
	s_or_b32 exec_lo, exec_lo, s8
	global_load_dword v54, v[15:16], off offset:384
	v_mov_b32_e32 v18, 0
	v_mov_b32_e32 v15, 0
	;; [unrolled: 1-line block ×4, first 2 shown]
	s_waitcnt vmcnt(0)
	v_cmp_ne_u16_sdwa s0, v54, v6 src0_sel:BYTE_0 src1_sel:DWORD
	s_and_saveexec_b32 s8, s0
	s_cbranch_execz .LBB218_271
; %bb.264:                              ;   in Loop: Header=BB218_161 Depth=1
	v_bfrev_b32_e32 v15, 1
	v_mov_b32_e32 v16, 0
	v_cmp_ne_u16_sdwa s0, v54, v36 src0_sel:BYTE_0 src1_sel:DWORD
	s_and_saveexec_b32 s9, s0
	s_cbranch_execz .LBB218_270
; %bb.265:                              ;   in Loop: Header=BB218_161 Depth=1
	v_mov_b32_e32 v15, 0x7f800001
	v_and_b32_e32 v13, 0x7f, v54
	v_mov_b32_e32 v16, 0
	s_mov_b32 s13, exec_lo
	v_cmpx_ne_u32_e32 0x7f, v13
	s_cbranch_execz .LBB218_269
; %bb.266:                              ;   in Loop: Header=BB218_161 Depth=1
	v_and_b32_e32 v5, 7, v54
	v_lshrrev_b32_e32 v11, 3, v13
	s_mov_b32 s14, exec_lo
	v_cmpx_gt_u32_e32 8, v13
; %bb.267:                              ;   in Loop: Header=BB218_161 Depth=1
	v_ffbh_u32_e32 v11, v5
	v_min_u32_e32 v11, 32, v11
	v_subrev_nc_u32_e32 v13, 28, v11
	v_sub_nc_u32_e32 v11, 29, v11
	v_lshlrev_b64 v[15:16], v13, v[5:6]
	v_and_b32_e32 v5, 7, v15
; %bb.268:                              ;   in Loop: Header=BB218_161 Depth=1
	s_or_b32 exec_lo, exec_lo, s14
	v_lshlrev_b32_e32 v13, 24, v54
	v_lshlrev_b32_e32 v5, 20, v5
	v_lshl_add_u32 v11, v11, 23, 0x3c000000
	v_and_b32_e32 v13, 0x80000000, v13
	v_or3_b32 v5, v5, v13, v11
	v_mov_b32_e32 v16, v6
	v_mov_b32_e32 v15, v5
.LBB218_269:                            ;   in Loop: Header=BB218_161 Depth=1
	s_or_b32 exec_lo, exec_lo, s13
.LBB218_270:                            ;   in Loop: Header=BB218_161 Depth=1
	s_or_b32 exec_lo, exec_lo, s9
.LBB218_271:                            ;   in Loop: Header=BB218_161 Depth=1
	s_or_b32 exec_lo, exec_lo, s8
	v_cmp_ne_u16_sdwa s0, v54, v6 src0_sel:BYTE_1 src1_sel:DWORD
	s_and_saveexec_b32 s8, s0
	s_cbranch_execz .LBB218_279
; %bb.272:                              ;   in Loop: Header=BB218_161 Depth=1
	v_mov_b32_e32 v11, v6
	v_mov_b32_e32 v19, v12
	v_cmp_ne_u16_sdwa s0, v54, v36 src0_sel:BYTE_1 src1_sel:DWORD
	v_mov_b32_e32 v18, v11
	s_and_saveexec_b32 s9, s0
	s_cbranch_execz .LBB218_278
; %bb.273:                              ;   in Loop: Header=BB218_161 Depth=1
	v_and_b32_sdwa v5, v37, v54 dst_sel:DWORD dst_unused:UNUSED_PAD src0_sel:DWORD src1_sel:BYTE_1
	v_mov_b32_e32 v13, v6
	v_mov_b32_e32 v19, v14
	s_mov_b32 s13, exec_lo
	v_and_b32_e32 v20, 0x7f, v5
	v_mov_b32_e32 v18, v13
	v_cmpx_ne_u32_e32 0x7f, v20
	s_cbranch_execz .LBB218_277
; %bb.274:                              ;   in Loop: Header=BB218_161 Depth=1
	v_and_b32_e32 v5, 7, v5
	v_lshrrev_b32_e32 v11, 3, v20
	s_mov_b32 s14, exec_lo
	v_cmpx_gt_u32_e32 8, v20
; %bb.275:                              ;   in Loop: Header=BB218_161 Depth=1
	v_ffbh_u32_e32 v11, v5
	v_min_u32_e32 v11, 32, v11
	v_subrev_nc_u32_e32 v13, 28, v11
	v_sub_nc_u32_e32 v11, 29, v11
	v_lshlrev_b64 v[18:19], v13, v[5:6]
	v_and_b32_e32 v5, 7, v18
; %bb.276:                              ;   in Loop: Header=BB218_161 Depth=1
	s_or_b32 exec_lo, exec_lo, s14
	v_lshlrev_b32_e32 v13, 16, v54
	v_lshlrev_b32_e32 v5, 20, v5
	v_lshl_add_u32 v11, v11, 23, 0x3c000000
	v_mov_b32_e32 v18, v6
	v_and_b32_e32 v13, 0x80000000, v13
	v_or3_b32 v19, v5, v13, v11
.LBB218_277:                            ;   in Loop: Header=BB218_161 Depth=1
	s_or_b32 exec_lo, exec_lo, s13
.LBB218_278:                            ;   in Loop: Header=BB218_161 Depth=1
	s_or_b32 exec_lo, exec_lo, s9
.LBB218_279:                            ;   in Loop: Header=BB218_161 Depth=1
	s_or_b32 exec_lo, exec_lo, s8
	v_mov_b32_e32 v22, 0
	v_mov_b32_e32 v20, 0
	v_and_b32_sdwa v5, v54, v38 dst_sel:DWORD dst_unused:UNUSED_PAD src0_sel:WORD_1 src1_sel:DWORD
	v_mov_b32_e32 v23, 0
	v_mov_b32_e32 v21, 0
	s_mov_b32 s8, exec_lo
	v_cmpx_ne_u16_e32 0, v5
	s_cbranch_execz .LBB218_287
; %bb.280:                              ;   in Loop: Header=BB218_161 Depth=1
	v_bfrev_b32_e32 v20, 1
	v_mov_b32_e32 v21, 0
	s_mov_b32 s9, exec_lo
	v_cmpx_ne_u16_e32 0x80, v5
	s_cbranch_execz .LBB218_286
; %bb.281:                              ;   in Loop: Header=BB218_161 Depth=1
	v_mov_b32_e32 v20, 0x7f800001
	v_bfe_u32 v13, v54, 16, 7
	v_mov_b32_e32 v21, 0
	s_mov_b32 s13, exec_lo
	v_cmpx_ne_u32_e32 0x7f, v13
	s_cbranch_execz .LBB218_285
; %bb.282:                              ;   in Loop: Header=BB218_161 Depth=1
	v_and_b32_sdwa v5, v54, v39 dst_sel:DWORD dst_unused:UNUSED_PAD src0_sel:WORD_1 src1_sel:DWORD
	v_lshrrev_b32_e32 v11, 3, v13
	s_mov_b32 s14, exec_lo
	v_cmpx_gt_u32_e32 8, v13
; %bb.283:                              ;   in Loop: Header=BB218_161 Depth=1
	v_ffbh_u32_e32 v11, v5
	v_min_u32_e32 v11, 32, v11
	v_subrev_nc_u32_e32 v13, 28, v11
	v_sub_nc_u32_e32 v11, 29, v11
	v_lshlrev_b64 v[20:21], v13, v[5:6]
	v_and_b32_e32 v5, 7, v20
; %bb.284:                              ;   in Loop: Header=BB218_161 Depth=1
	s_or_b32 exec_lo, exec_lo, s14
	v_lshlrev_b32_sdwa v13, v40, v54 dst_sel:DWORD dst_unused:UNUSED_PAD src0_sel:DWORD src1_sel:WORD_1
	v_lshlrev_b32_e32 v5, 20, v5
	v_lshl_add_u32 v11, v11, 23, 0x3c000000
	v_and_b32_e32 v13, 0x80000000, v13
	v_or3_b32 v5, v5, v13, v11
	v_mov_b32_e32 v21, v6
	v_mov_b32_e32 v20, v5
.LBB218_285:                            ;   in Loop: Header=BB218_161 Depth=1
	s_or_b32 exec_lo, exec_lo, s13
.LBB218_286:                            ;   in Loop: Header=BB218_161 Depth=1
	s_or_b32 exec_lo, exec_lo, s9
.LBB218_287:                            ;   in Loop: Header=BB218_161 Depth=1
	s_or_b32 exec_lo, exec_lo, s8
	s_mov_b32 s8, exec_lo
	v_cmpx_lt_u32_e32 0xffffff, v54
	s_cbranch_execz .LBB218_295
; %bb.288:                              ;   in Loop: Header=BB218_161 Depth=1
	v_mov_b32_e32 v11, v6
	v_mov_b32_e32 v23, v12
	v_cmp_ne_u32_sdwa s0, v54, v36 src0_sel:BYTE_3 src1_sel:DWORD
	v_mov_b32_e32 v22, v11
	s_and_saveexec_b32 s9, s0
	s_cbranch_execz .LBB218_294
; %bb.289:                              ;   in Loop: Header=BB218_161 Depth=1
	v_mov_b32_e32 v13, v6
	v_mov_b32_e32 v23, v14
	v_bfe_u32 v55, v54, 24, 7
	s_mov_b32 s13, exec_lo
	v_mov_b32_e32 v22, v13
	v_cmpx_ne_u32_e32 0x7f, v55
	s_cbranch_execz .LBB218_293
; %bb.290:                              ;   in Loop: Header=BB218_161 Depth=1
	v_and_b32_sdwa v5, v54, v39 dst_sel:DWORD dst_unused:UNUSED_PAD src0_sel:BYTE_3 src1_sel:DWORD
	v_lshrrev_b32_e32 v11, 3, v55
	s_mov_b32 s14, exec_lo
	v_cmpx_gt_u32_e32 8, v55
; %bb.291:                              ;   in Loop: Header=BB218_161 Depth=1
	v_ffbh_u32_e32 v11, v5
	v_min_u32_e32 v11, 32, v11
	v_subrev_nc_u32_e32 v13, 28, v11
	v_sub_nc_u32_e32 v11, 29, v11
	v_lshlrev_b64 v[22:23], v13, v[5:6]
	v_and_b32_e32 v5, 7, v22
; %bb.292:                              ;   in Loop: Header=BB218_161 Depth=1
	s_or_b32 exec_lo, exec_lo, s14
	v_lshlrev_b32_sdwa v13, v40, v54 dst_sel:DWORD dst_unused:UNUSED_PAD src0_sel:DWORD src1_sel:BYTE_3
	v_lshlrev_b32_e32 v5, 20, v5
	v_lshl_add_u32 v11, v11, 23, 0x3c000000
	v_mov_b32_e32 v22, v6
	v_and_b32_e32 v13, 0x80000000, v13
	v_or3_b32 v23, v5, v13, v11
.LBB218_293:                            ;   in Loop: Header=BB218_161 Depth=1
	s_or_b32 exec_lo, exec_lo, s13
.LBB218_294:                            ;   in Loop: Header=BB218_161 Depth=1
	s_or_b32 exec_lo, exec_lo, s9
.LBB218_295:                            ;   in Loop: Header=BB218_161 Depth=1
	s_or_b32 exec_lo, exec_lo, s8
	v_or_b32_e32 v5, v19, v16
	v_or_b32_e32 v11, v18, v15
	;; [unrolled: 1-line block ×4, first 2 shown]
	v_mul_f32_e32 v13, s6, v5
	v_mul_f32_e32 v15, s3, v11
	;; [unrolled: 1-line block ×4, first 2 shown]
	s_and_saveexec_b32 s0, vcc_lo
	s_cbranch_execz .LBB218_160
; %bb.296:                              ;   in Loop: Header=BB218_161 Depth=1
	v_cmp_gt_i32_e32 vcc_lo, s27, v45
	v_cndmask_b32_e32 v15, 0, v15, vcc_lo
	v_cmp_gt_i32_e32 vcc_lo, s27, v47
	v_cndmask_b32_e32 v13, 0, v13, vcc_lo
	;; [unrolled: 2-line block ×4, first 2 shown]
	s_branch .LBB218_160
.LBB218_297:
	s_or_b32 exec_lo, exec_lo, s5
.LBB218_298:
	s_or_b32 exec_lo, exec_lo, s1
	ds_bpermute_b32 v1, v27, v31
	ds_bpermute_b32 v2, v27, v33
	;; [unrolled: 1-line block ×4, first 2 shown]
	v_and_b32_e32 v6, 28, v26
	v_lshrrev_b32_e32 v5, 2, v26
	v_and_b32_e32 v11, 0x3c3, v0
	s_mov_b32 s0, exec_lo
	s_waitcnt lgkmcnt(0)
	s_waitcnt_vscnt null, 0x0
	v_add_nc_u32_e32 v6, 0xa0, v6
	s_barrier
	buffer_gl0_inv
	v_add_f32_e32 v1, v31, v1
	v_add_f32_e32 v2, v33, v2
	;; [unrolled: 1-line block ×4, first 2 shown]
	ds_bpermute_b32 v7, v28, v1
	ds_bpermute_b32 v8, v28, v2
	;; [unrolled: 1-line block ×4, first 2 shown]
	s_waitcnt lgkmcnt(3)
	v_add_f32_e32 v1, v1, v7
	s_waitcnt lgkmcnt(2)
	v_add_f32_e32 v2, v2, v8
	;; [unrolled: 2-line block ×4, first 2 shown]
	v_cmpx_eq_u32_e32 64, v11
	s_cbranch_execz .LBB218_300
; %bb.299:
	v_lshl_add_u32 v7, v61, 7, v6
	v_add_nc_u32_e32 v8, 0xffffff00, v7
	v_add_nc_u32_e32 v9, 0xffffff20, v7
	;; [unrolled: 1-line block ×4, first 2 shown]
	ds_write_b32 v8, v1
	ds_write_b32 v9, v2
	;; [unrolled: 1-line block ×4, first 2 shown]
.LBB218_300:
	s_or_b32 exec_lo, exec_lo, s0
	v_and_b32_e32 v7, 0x3e0, v0
	v_lshlrev_b32_e32 v5, 2, v5
	s_mov_b32 s1, exec_lo
	v_cmp_eq_u32_e32 vcc_lo, 0, v29
	s_waitcnt lgkmcnt(0)
	v_lshlrev_b32_e32 v7, 2, v7
	s_barrier
	buffer_gl0_inv
	v_add3_u32 v5, 0xa0, v7, v5
	v_cmpx_gt_u32_e32 64, v0
	s_cbranch_execz .LBB218_307
; %bb.301:
	s_and_saveexec_b32 s0, vcc_lo
	s_cbranch_execnz .LBB218_319
; %bb.302:
	s_or_b32 exec_lo, exec_lo, s0
	s_and_saveexec_b32 s0, vcc_lo
	s_cbranch_execnz .LBB218_320
.LBB218_303:
	s_or_b32 exec_lo, exec_lo, s0
	s_and_saveexec_b32 s0, vcc_lo
	s_cbranch_execnz .LBB218_321
.LBB218_304:
	s_or_b32 exec_lo, exec_lo, s0
	s_and_saveexec_b32 s0, vcc_lo
	s_cbranch_execz .LBB218_306
.LBB218_305:
	ds_read_b32 v7, v5 offset:96
	s_waitcnt lgkmcnt(0)
	v_add_f32_e32 v4, v4, v7
.LBB218_306:
	s_or_b32 exec_lo, exec_lo, s0
.LBB218_307:
	s_or_b32 exec_lo, exec_lo, s1
	v_and_b32_e32 v7, 0x3e3, v0
	s_mov_b32 s1, exec_lo
	s_barrier
	buffer_gl0_inv
	v_cmpx_eq_u32_e32 32, v7
	s_cbranch_execz .LBB218_309
; %bb.308:
	ds_write2_b32 v6, v1, v2 offset1:8
	ds_write2_b32 v6, v3, v4 offset0:16 offset1:24
.LBB218_309:
	s_or_b32 exec_lo, exec_lo, s1
	s_mov_b32 s1, exec_lo
	s_waitcnt lgkmcnt(0)
	s_barrier
	buffer_gl0_inv
	v_cmpx_gt_u32_e32 32, v0
	s_cbranch_execz .LBB218_316
; %bb.310:
	s_and_saveexec_b32 s0, vcc_lo
	s_cbranch_execnz .LBB218_322
; %bb.311:
	s_or_b32 exec_lo, exec_lo, s0
	s_and_saveexec_b32 s0, vcc_lo
	s_cbranch_execnz .LBB218_323
.LBB218_312:
	s_or_b32 exec_lo, exec_lo, s0
	s_and_saveexec_b32 s0, vcc_lo
	s_cbranch_execnz .LBB218_324
.LBB218_313:
	s_or_b32 exec_lo, exec_lo, s0
	s_and_saveexec_b32 s0, vcc_lo
	s_cbranch_execz .LBB218_315
.LBB218_314:
	ds_read_b32 v5, v5 offset:96
	s_waitcnt lgkmcnt(0)
	v_add_f32_e32 v4, v4, v5
.LBB218_315:
	s_or_b32 exec_lo, exec_lo, s0
.LBB218_316:
	s_or_b32 exec_lo, exec_lo, s1
	s_barrier
	buffer_gl0_inv
	s_mov_b32 s0, exec_lo
	v_cmpx_eq_u32_e32 0, v7
	s_cbranch_execz .LBB218_318
; %bb.317:
	s_lshl_b32 s0, s2, 5
	s_mul_i32 s2, s7, s10
	s_ashr_i32 s1, s0, 31
	s_lshl_b64 s[0:1], s[0:1], 2
	s_add_u32 s4, s24, s0
	s_addc_u32 s5, s25, s1
	s_ashr_i32 s3, s2, 31
	s_lshl_b64 s[0:1], s[2:3], 2
	s_add_u32 s2, s4, s0
	s_addc_u32 s3, s5, s1
	;; [unrolled: 4-line block ×3, first 2 shown]
	global_store_dword v0, v1, s[0:1]
	global_store_dword v0, v2, s[0:1] offset:32
	global_store_dword v0, v3, s[0:1] offset:64
	;; [unrolled: 1-line block ×3, first 2 shown]
.LBB218_318:
	s_endpgm
.LBB218_319:
	ds_read_b32 v7, v5
	s_waitcnt lgkmcnt(0)
	v_add_f32_e32 v1, v1, v7
	s_or_b32 exec_lo, exec_lo, s0
	s_and_saveexec_b32 s0, vcc_lo
	s_cbranch_execz .LBB218_303
.LBB218_320:
	ds_read_b32 v7, v5 offset:32
	s_waitcnt lgkmcnt(0)
	v_add_f32_e32 v2, v2, v7
	s_or_b32 exec_lo, exec_lo, s0
	s_and_saveexec_b32 s0, vcc_lo
	s_cbranch_execz .LBB218_304
.LBB218_321:
	ds_read_b32 v7, v5 offset:64
	s_waitcnt lgkmcnt(0)
	v_add_f32_e32 v3, v3, v7
	s_or_b32 exec_lo, exec_lo, s0
	s_and_saveexec_b32 s0, vcc_lo
	s_cbranch_execnz .LBB218_305
	s_branch .LBB218_306
.LBB218_322:
	ds_read_b32 v6, v5
	s_waitcnt lgkmcnt(0)
	v_add_f32_e32 v1, v1, v6
	s_or_b32 exec_lo, exec_lo, s0
	s_and_saveexec_b32 s0, vcc_lo
	s_cbranch_execz .LBB218_312
.LBB218_323:
	ds_read_b32 v6, v5 offset:32
	s_waitcnt lgkmcnt(0)
	v_add_f32_e32 v2, v2, v6
	s_or_b32 exec_lo, exec_lo, s0
	s_and_saveexec_b32 s0, vcc_lo
	s_cbranch_execz .LBB218_313
.LBB218_324:
	ds_read_b32 v6, v5 offset:64
	s_waitcnt lgkmcnt(0)
	v_add_f32_e32 v3, v3, v6
	s_or_b32 exec_lo, exec_lo, s0
	s_and_saveexec_b32 s0, vcc_lo
	s_cbranch_execnz .LBB218_314
	s_branch .LBB218_315
	.section	.rodata,"a",@progbits
	.p2align	6, 0x0
	.amdhsa_kernel _ZN4vllm25paged_attention_v2_kernelIfhLi32ELi16ELi128ELNS_18Fp8KVCacheDataTypeE1ELb0ELi512EEEvPfS2_PT_PKS3_PKT0_S9_ifPKiSB_iPKfiiiSD_SD_iiiii
		.amdhsa_group_segment_fixed_size 160
		.amdhsa_private_segment_fixed_size 0
		.amdhsa_kernarg_size 400
		.amdhsa_user_sgpr_count 6
		.amdhsa_user_sgpr_private_segment_buffer 1
		.amdhsa_user_sgpr_dispatch_ptr 0
		.amdhsa_user_sgpr_queue_ptr 0
		.amdhsa_user_sgpr_kernarg_segment_ptr 1
		.amdhsa_user_sgpr_dispatch_id 0
		.amdhsa_user_sgpr_flat_scratch_init 0
		.amdhsa_user_sgpr_private_segment_size 0
		.amdhsa_wavefront_size32 1
		.amdhsa_uses_dynamic_stack 0
		.amdhsa_system_sgpr_private_segment_wavefront_offset 0
		.amdhsa_system_sgpr_workgroup_id_x 1
		.amdhsa_system_sgpr_workgroup_id_y 1
		.amdhsa_system_sgpr_workgroup_id_z 1
		.amdhsa_system_sgpr_workgroup_info 0
		.amdhsa_system_vgpr_workitem_id 0
		.amdhsa_next_free_vgpr 74
		.amdhsa_next_free_sgpr 43
		.amdhsa_reserve_vcc 1
		.amdhsa_reserve_flat_scratch 0
		.amdhsa_float_round_mode_32 0
		.amdhsa_float_round_mode_16_64 0
		.amdhsa_float_denorm_mode_32 3
		.amdhsa_float_denorm_mode_16_64 3
		.amdhsa_dx10_clamp 1
		.amdhsa_ieee_mode 1
		.amdhsa_fp16_overflow 0
		.amdhsa_workgroup_processor_mode 1
		.amdhsa_memory_ordered 1
		.amdhsa_forward_progress 1
		.amdhsa_shared_vgpr_count 0
		.amdhsa_exception_fp_ieee_invalid_op 0
		.amdhsa_exception_fp_denorm_src 0
		.amdhsa_exception_fp_ieee_div_zero 0
		.amdhsa_exception_fp_ieee_overflow 0
		.amdhsa_exception_fp_ieee_underflow 0
		.amdhsa_exception_fp_ieee_inexact 0
		.amdhsa_exception_int_div_zero 0
	.end_amdhsa_kernel
	.section	.text._ZN4vllm25paged_attention_v2_kernelIfhLi32ELi16ELi128ELNS_18Fp8KVCacheDataTypeE1ELb0ELi512EEEvPfS2_PT_PKS3_PKT0_S9_ifPKiSB_iPKfiiiSD_SD_iiiii,"axG",@progbits,_ZN4vllm25paged_attention_v2_kernelIfhLi32ELi16ELi128ELNS_18Fp8KVCacheDataTypeE1ELb0ELi512EEEvPfS2_PT_PKS3_PKT0_S9_ifPKiSB_iPKfiiiSD_SD_iiiii,comdat
.Lfunc_end218:
	.size	_ZN4vllm25paged_attention_v2_kernelIfhLi32ELi16ELi128ELNS_18Fp8KVCacheDataTypeE1ELb0ELi512EEEvPfS2_PT_PKS3_PKT0_S9_ifPKiSB_iPKfiiiSD_SD_iiiii, .Lfunc_end218-_ZN4vllm25paged_attention_v2_kernelIfhLi32ELi16ELi128ELNS_18Fp8KVCacheDataTypeE1ELb0ELi512EEEvPfS2_PT_PKS3_PKT0_S9_ifPKiSB_iPKfiiiSD_SD_iiiii
                                        ; -- End function
	.set _ZN4vllm25paged_attention_v2_kernelIfhLi32ELi16ELi128ELNS_18Fp8KVCacheDataTypeE1ELb0ELi512EEEvPfS2_PT_PKS3_PKT0_S9_ifPKiSB_iPKfiiiSD_SD_iiiii.num_vgpr, 74
	.set _ZN4vllm25paged_attention_v2_kernelIfhLi32ELi16ELi128ELNS_18Fp8KVCacheDataTypeE1ELb0ELi512EEEvPfS2_PT_PKS3_PKT0_S9_ifPKiSB_iPKfiiiSD_SD_iiiii.num_agpr, 0
	.set _ZN4vllm25paged_attention_v2_kernelIfhLi32ELi16ELi128ELNS_18Fp8KVCacheDataTypeE1ELb0ELi512EEEvPfS2_PT_PKS3_PKT0_S9_ifPKiSB_iPKfiiiSD_SD_iiiii.numbered_sgpr, 43
	.set _ZN4vllm25paged_attention_v2_kernelIfhLi32ELi16ELi128ELNS_18Fp8KVCacheDataTypeE1ELb0ELi512EEEvPfS2_PT_PKS3_PKT0_S9_ifPKiSB_iPKfiiiSD_SD_iiiii.num_named_barrier, 0
	.set _ZN4vllm25paged_attention_v2_kernelIfhLi32ELi16ELi128ELNS_18Fp8KVCacheDataTypeE1ELb0ELi512EEEvPfS2_PT_PKS3_PKT0_S9_ifPKiSB_iPKfiiiSD_SD_iiiii.private_seg_size, 0
	.set _ZN4vllm25paged_attention_v2_kernelIfhLi32ELi16ELi128ELNS_18Fp8KVCacheDataTypeE1ELb0ELi512EEEvPfS2_PT_PKS3_PKT0_S9_ifPKiSB_iPKfiiiSD_SD_iiiii.uses_vcc, 1
	.set _ZN4vllm25paged_attention_v2_kernelIfhLi32ELi16ELi128ELNS_18Fp8KVCacheDataTypeE1ELb0ELi512EEEvPfS2_PT_PKS3_PKT0_S9_ifPKiSB_iPKfiiiSD_SD_iiiii.uses_flat_scratch, 0
	.set _ZN4vllm25paged_attention_v2_kernelIfhLi32ELi16ELi128ELNS_18Fp8KVCacheDataTypeE1ELb0ELi512EEEvPfS2_PT_PKS3_PKT0_S9_ifPKiSB_iPKfiiiSD_SD_iiiii.has_dyn_sized_stack, 0
	.set _ZN4vllm25paged_attention_v2_kernelIfhLi32ELi16ELi128ELNS_18Fp8KVCacheDataTypeE1ELb0ELi512EEEvPfS2_PT_PKS3_PKT0_S9_ifPKiSB_iPKfiiiSD_SD_iiiii.has_recursion, 0
	.set _ZN4vllm25paged_attention_v2_kernelIfhLi32ELi16ELi128ELNS_18Fp8KVCacheDataTypeE1ELb0ELi512EEEvPfS2_PT_PKS3_PKT0_S9_ifPKiSB_iPKfiiiSD_SD_iiiii.has_indirect_call, 0
	.section	.AMDGPU.csdata,"",@progbits
; Kernel info:
; codeLenInByte = 10424
; TotalNumSgprs: 45
; NumVgprs: 74
; ScratchSize: 0
; MemoryBound: 0
; FloatMode: 240
; IeeeMode: 1
; LDSByteSize: 160 bytes/workgroup (compile time only)
; SGPRBlocks: 0
; VGPRBlocks: 9
; NumSGPRsForWavesPerEU: 45
; NumVGPRsForWavesPerEU: 74
; Occupancy: 12
; WaveLimiterHint : 1
; COMPUTE_PGM_RSRC2:SCRATCH_EN: 0
; COMPUTE_PGM_RSRC2:USER_SGPR: 6
; COMPUTE_PGM_RSRC2:TRAP_HANDLER: 0
; COMPUTE_PGM_RSRC2:TGID_X_EN: 1
; COMPUTE_PGM_RSRC2:TGID_Y_EN: 1
; COMPUTE_PGM_RSRC2:TGID_Z_EN: 1
; COMPUTE_PGM_RSRC2:TIDIG_COMP_CNT: 0
	.section	.text._ZN4vllm25paged_attention_v2_kernelIfhLi64ELi16ELi128ELNS_18Fp8KVCacheDataTypeE1ELb0ELi512EEEvPfS2_PT_PKS3_PKT0_S9_ifPKiSB_iPKfiiiSD_SD_iiiii,"axG",@progbits,_ZN4vllm25paged_attention_v2_kernelIfhLi64ELi16ELi128ELNS_18Fp8KVCacheDataTypeE1ELb0ELi512EEEvPfS2_PT_PKS3_PKT0_S9_ifPKiSB_iPKfiiiSD_SD_iiiii,comdat
	.protected	_ZN4vllm25paged_attention_v2_kernelIfhLi64ELi16ELi128ELNS_18Fp8KVCacheDataTypeE1ELb0ELi512EEEvPfS2_PT_PKS3_PKT0_S9_ifPKiSB_iPKfiiiSD_SD_iiiii ; -- Begin function _ZN4vllm25paged_attention_v2_kernelIfhLi64ELi16ELi128ELNS_18Fp8KVCacheDataTypeE1ELb0ELi512EEEvPfS2_PT_PKS3_PKT0_S9_ifPKiSB_iPKfiiiSD_SD_iiiii
	.globl	_ZN4vllm25paged_attention_v2_kernelIfhLi64ELi16ELi128ELNS_18Fp8KVCacheDataTypeE1ELb0ELi512EEEvPfS2_PT_PKS3_PKT0_S9_ifPKiSB_iPKfiiiSD_SD_iiiii
	.p2align	8
	.type	_ZN4vllm25paged_attention_v2_kernelIfhLi64ELi16ELi128ELNS_18Fp8KVCacheDataTypeE1ELb0ELi512EEEvPfS2_PT_PKS3_PKT0_S9_ifPKiSB_iPKfiiiSD_SD_iiiii,@function
_ZN4vllm25paged_attention_v2_kernelIfhLi64ELi16ELi128ELNS_18Fp8KVCacheDataTypeE1ELb0ELi512EEEvPfS2_PT_PKS3_PKT0_S9_ifPKiSB_iPKfiiiSD_SD_iiiii: ; @_ZN4vllm25paged_attention_v2_kernelIfhLi64ELi16ELi128ELNS_18Fp8KVCacheDataTypeE1ELb0ELi512EEEvPfS2_PT_PKS3_PKT0_S9_ifPKiSB_iPKfiiiSD_SD_iiiii
; %bb.0:
	s_load_dwordx2 s[0:1], s[4:5], 0x40
	s_mov_b32 s26, s7
	s_ashr_i32 s27, s7, 31
	s_lshl_b64 s[2:3], s[26:27], 2
	s_waitcnt lgkmcnt(0)
	s_add_u32 s0, s0, s2
	s_addc_u32 s1, s1, s3
	s_lshl_b32 s33, s8, 9
	s_load_dword s27, s[0:1], 0x0
	s_waitcnt lgkmcnt(0)
	s_cmp_ge_i32 s33, s27
	s_cbranch_scc1 .LBB219_590
; %bb.1:
	s_clause 0x1
	s_load_dword s9, s[4:5], 0x90
	s_load_dwordx2 s[36:37], s[4:5], 0x30
	s_waitcnt lgkmcnt(0)
	s_abs_i32 s3, s9
	s_abs_i32 s0, s36
	v_cvt_f32_u32_e32 v1, s0
	s_sub_i32 s2, 0, s0
	v_rcp_iflag_f32_e32 v1, v1
	v_mul_f32_e32 v1, 0x4f7ffffe, v1
	v_cvt_u32_f32_e32 v1, v1
	v_readfirstlane_b32 s1, v1
	s_mul_i32 s2, s2, s1
	s_mul_hi_u32 s2, s1, s2
	s_add_i32 s1, s1, s2
	s_xor_b32 s2, s9, s36
	s_mul_hi_u32 s1, s3, s1
	s_ashr_i32 s2, s2, 31
	s_mul_i32 s7, s1, s0
	s_mov_b32 s36, 0
	s_sub_i32 s3, s3, s7
	s_add_i32 s7, s1, 1
	s_sub_i32 s10, s3, s0
	s_cmp_ge_u32 s3, s0
	s_cselect_b32 s1, s7, s1
	s_cselect_b32 s3, s10, s3
	s_add_i32 s7, s1, 1
	s_cmp_ge_u32 s3, s0
	s_cselect_b32 s0, s7, s1
	s_abs_i32 s16, s6
	s_xor_b32 s0, s0, s2
	s_sub_i32 s10, s0, s2
	s_load_dwordx2 s[0:1], s[4:5], 0x50
	s_abs_i32 s2, s10
	v_cvt_f32_u32_e32 v1, s2
	s_sub_i32 s7, 0, s2
	v_rcp_iflag_f32_e32 v1, v1
	v_mul_f32_e32 v1, 0x4f7ffffe, v1
	v_cvt_u32_f32_e32 v1, v1
	v_readfirstlane_b32 s3, v1
	s_mul_i32 s7, s7, s3
	s_mul_hi_u32 s7, s3, s7
	s_add_i32 s3, s3, s7
	s_waitcnt lgkmcnt(0)
	s_cmp_eq_u64 s[0:1], 0
	s_mul_hi_u32 s3, s16, s3
	s_cbranch_scc1 .LBB219_3
; %bb.2:
	s_ashr_i32 s7, s6, 31
	s_lshl_b64 s[12:13], s[6:7], 2
	s_add_u32 s0, s0, s12
	s_addc_u32 s1, s1, s13
	s_load_dword s36, s[0:1], 0x0
.LBB219_3:
	s_load_dwordx4 s[12:15], s[4:5], 0x58
	v_and_b32_e32 v35, 1, v0
	v_cmp_gt_u32_e64 s0, 32, v0
	v_lshlrev_b32_e32 v110, 2, v0
	s_ashr_i32 s1, s6, 31
	s_ashr_i32 s7, s10, 31
	s_lshl_b32 s10, s6, 6
	s_waitcnt lgkmcnt(0)
	s_and_saveexec_b32 s15, s0
	s_cbranch_execz .LBB219_5
; %bb.4:
	s_load_dwordx2 s[18:19], s[4:5], 0x18
	s_mul_i32 s20, s12, s26
	v_lshlrev_b32_e32 v1, 3, v0
	s_ashr_i32 s21, s20, 31
	v_and_b32_e32 v3, 0xff8, v110
	s_lshl_b64 s[20:21], s[20:21], 2
	v_lshl_add_u32 v3, v35, 7, v3
	s_waitcnt lgkmcnt(0)
	s_add_u32 s12, s18, s20
	s_addc_u32 s17, s19, s21
	s_ashr_i32 s11, s10, 31
	s_lshl_b64 s[18:19], s[10:11], 2
	s_add_u32 s18, s12, s18
	s_addc_u32 s19, s17, s19
	global_load_dwordx2 v[1:2], v1, s[18:19]
	s_waitcnt vmcnt(0)
	ds_write_b64 v3, v[1:2]
.LBB219_5:
	s_or_b32 exec_lo, exec_lo, s15
	s_add_i32 s11, s27, 15
	s_lshl_b32 s15, s8, 5
	s_ashr_i32 s12, s11, 31
	s_xor_b32 s1, s1, s7
	s_lshr_b32 s12, s12, 28
	s_add_i32 s7, s15, 32
	s_add_i32 s11, s11, s12
	s_mul_i32 s17, s3, s2
	s_ashr_i32 s12, s11, 4
	s_sub_i32 s16, s16, s17
	s_min_i32 s11, s7, s12
	s_clause 0x1
	s_load_dwordx2 s[28:29], s[4:5], 0x38
	s_load_dword s7, s[4:5], 0x48
	s_add_i32 s17, s3, 1
	s_sub_i32 s18, s16, s2
	s_cmp_ge_u32 s16, s2
	v_lshrrev_b32_e32 v109, 5, v0
	s_cselect_b32 s3, s17, s3
	s_cselect_b32 s16, s18, s16
	s_add_i32 s17, s3, 1
	s_cmp_ge_u32 s16, s2
	v_or_b32_e32 v33, s15, v109
	s_cselect_b32 s2, s17, s3
	v_mbcnt_lo_u32_b32 v111, -1, 0
	s_xor_b32 s2, s2, s1
	s_mov_b32 s3, exec_lo
	s_sub_i32 s2, s2, s1
	v_cmp_gt_i32_e64 s1, s11, v33
	s_waitcnt lgkmcnt(0)
	s_barrier
	buffer_gl0_inv
                                        ; implicit-def: $vgpr36
                                        ; implicit-def: $vgpr112
	s_mul_i32 s30, s7, s26
	s_ashr_i32 s31, s30, 31
	v_cmpx_le_i32_e64 s11, v33
	s_xor_b32 s3, exec_lo, s3
; %bb.6:
	v_mov_b32_e32 v36, 0
	v_mbcnt_lo_u32_b32 v111, -1, 0
	v_mov_b32_e32 v112, 32
                                        ; implicit-def: $vgpr35
; %bb.7:
	s_or_saveexec_b32 s38, s3
	s_clause 0x4
	s_load_dwordx4 s[20:23], s[4:5], 0x0
	s_load_dwordx2 s[24:25], s[4:5], 0x10
	s_load_dword s7, s[4:5], 0x98
	s_load_dwordx2 s[34:35], s[4:5], 0x28
	s_load_dwordx4 s[16:19], s[4:5], 0x68
	v_mov_b32_e32 v113, 0xff7fffff
	v_ashrrev_i32_e32 v34, 31, v33
	s_mul_i32 s14, s2, s14
	s_xor_b32 exec_lo, exec_lo, s38
	s_cbranch_execz .LBB219_269
; %bb.8:
	s_load_dwordx2 s[2:3], s[4:5], 0x20
	v_lshlrev_b32_e32 v29, 7, v35
	v_bfe_u32 v39, v0, 1, 4
	v_xor_b32_e32 v38, 1, v111
	s_ashr_i32 s4, s14, 31
	ds_read_b128 v[1:4], v29
	ds_read_b128 v[5:8], v29 offset:16
	ds_read_b128 v[9:12], v29 offset:32
	;; [unrolled: 1-line block ×7, first 2 shown]
	v_lshlrev_b32_e32 v40, 4, v39
	v_cmp_gt_i32_e32 vcc_lo, 32, v38
	s_waitcnt lgkmcnt(0)
	s_load_dword s5, s[16:17], 0x0
	v_lshlrev_b32_e32 v37, 1, v35
	v_lshlrev_b32_e32 v42, 2, v39
	v_mov_b32_e32 v36, 0
	v_cndmask_b32_e32 v38, v111, v38, vcc_lo
	v_cmp_eq_u32_e32 vcc_lo, 0, v35
	v_lshlrev_b32_e32 v35, 4, v109
	v_mov_b32_e32 v112, 32
	v_mov_b32_e32 v113, 0xff7fffff
	v_lshlrev_b32_e32 v114, 2, v38
	v_mov_b32_e32 v117, 0x80
	s_add_u32 s2, s2, s14
	s_addc_u32 s3, s3, s4
	v_add_co_u32 v40, s2, s2, v40
	v_add_co_ci_u32_e64 v41, null, s3, 0, s2
	v_add3_u32 v115, s33, v35, v39
	v_add_co_u32 v37, s3, v40, v37
	v_lshlrev_b64 v[39:40], 2, v[33:34]
	s_lshl_b64 s[40:41], s[30:31], 2
	v_add_co_ci_u32_e64 v38, null, 0, v41, s3
	v_lshl_or_b32 v41, v109, 6, v42
	s_sub_i32 s16, 1, s27
	s_add_u32 s3, s28, s40
	s_addc_u32 s4, s29, s41
	v_add_co_u32 v39, s3, s3, v39
	v_cmp_neq_f32_e64 s2, s36, 0
	v_add_nc_u32_e32 v116, 0x120, v41
	v_add_co_ci_u32_e64 v40, null, s4, v40, s3
	v_bfrev_b32_e32 v42, 1
	v_mov_b32_e32 v118, 0xffff
	v_mov_b32_e32 v44, 0x7f800001
	;; [unrolled: 1-line block ×3, first 2 shown]
	s_mov_b32 s39, s13
	s_mov_b32 s17, 0
	s_waitcnt lgkmcnt(0)
	s_mov_b32 s40, s5
	s_branch .LBB219_10
.LBB219_9:                              ;   in Loop: Header=BB219_10 Depth=1
	s_or_b32 exec_lo, exec_lo, s4
	v_add_nc_u32_e32 v119, 4, v119
	v_add_co_u32 v39, s4, v39, 16
	v_add_nc_u32_e32 v115, 64, v115
	v_add_nc_u32_e32 v116, 0x100, v116
	v_cmp_le_i32_e64 s3, s11, v119
	v_add_co_ci_u32_e64 v40, null, 0, v40, s4
	s_or_b32 s17, s3, s17
	s_andn2_b32 exec_lo, exec_lo, s17
	s_cbranch_execz .LBB219_268
.LBB219_10:                             ; =>This Inner Loop Header: Depth=1
	global_load_dword v35, v[39:40], off
	v_mov_b32_e32 v47, 0
	v_mov_b32_e32 v45, 0
	;; [unrolled: 1-line block ×4, first 2 shown]
	s_waitcnt vmcnt(0)
	v_mad_i64_i32 v[53:54], null, v35, s39, v[37:38]
	global_load_ushort v35, v[53:54], off
	s_waitcnt vmcnt(0)
	v_and_b32_e32 v49, 0xffff, v35
	v_cmp_ne_u16_sdwa s3, v35, v36 src0_sel:BYTE_0 src1_sel:DWORD
	s_and_saveexec_b32 s4, s3
	s_cbranch_execz .LBB219_18
; %bb.11:                               ;   in Loop: Header=BB219_10 Depth=1
	v_bfrev_b32_e32 v45, 1
	v_mov_b32_e32 v46, 0
	v_cmp_ne_u16_sdwa s3, v49, v117 src0_sel:BYTE_0 src1_sel:DWORD
	s_and_saveexec_b32 s41, s3
	s_cbranch_execz .LBB219_17
; %bb.12:                               ;   in Loop: Header=BB219_10 Depth=1
	v_mov_b32_e32 v45, 0x7f800001
	v_and_b32_e32 v43, 0x7f, v49
	v_mov_b32_e32 v46, 0
	s_mov_b32 s42, exec_lo
	v_cmpx_ne_u32_e32 0x7f, v43
	s_cbranch_execz .LBB219_16
; %bb.13:                               ;   in Loop: Header=BB219_10 Depth=1
	v_and_b32_e32 v35, 7, v49
	s_waitcnt lgkmcnt(0)
	v_lshrrev_b32_e32 v41, 3, v43
	s_mov_b32 s43, exec_lo
	v_cmpx_gt_u32_e32 8, v43
; %bb.14:                               ;   in Loop: Header=BB219_10 Depth=1
	v_ffbh_u32_e32 v41, v35
	v_min_u32_e32 v41, 32, v41
	v_subrev_nc_u32_e32 v43, 28, v41
	v_sub_nc_u32_e32 v41, 29, v41
	v_lshlrev_b64 v[45:46], v43, v[35:36]
	v_and_b32_e32 v35, 7, v45
; %bb.15:                               ;   in Loop: Header=BB219_10 Depth=1
	s_or_b32 exec_lo, exec_lo, s43
	v_lshlrev_b32_e32 v43, 24, v49
	v_lshlrev_b32_e32 v35, 20, v35
	v_lshl_add_u32 v41, v41, 23, 0x3c000000
	v_and_b32_e32 v43, 0x80000000, v43
	v_or3_b32 v35, v35, v43, v41
	v_mov_b32_e32 v46, v36
	v_mov_b32_e32 v45, v35
.LBB219_16:                             ;   in Loop: Header=BB219_10 Depth=1
	s_or_b32 exec_lo, exec_lo, s42
.LBB219_17:                             ;   in Loop: Header=BB219_10 Depth=1
	s_or_b32 exec_lo, exec_lo, s41
.LBB219_18:                             ;   in Loop: Header=BB219_10 Depth=1
	s_or_b32 exec_lo, exec_lo, s4
	v_cmp_ne_u16_sdwa s3, v49, v36 src0_sel:BYTE_1 src1_sel:DWORD
	s_and_saveexec_b32 s4, s3
	s_cbranch_execz .LBB219_26
; %bb.19:                               ;   in Loop: Header=BB219_10 Depth=1
	s_waitcnt lgkmcnt(0)
	v_mov_b32_e32 v41, v36
	v_mov_b32_e32 v48, v42
	v_cmp_ne_u16_sdwa s3, v49, v117 src0_sel:BYTE_1 src1_sel:DWORD
	v_mov_b32_e32 v47, v41
	s_and_saveexec_b32 s41, s3
	s_cbranch_execz .LBB219_25
; %bb.20:                               ;   in Loop: Header=BB219_10 Depth=1
	v_and_b32_sdwa v35, v118, v49 dst_sel:DWORD dst_unused:UNUSED_PAD src0_sel:DWORD src1_sel:BYTE_1
	v_mov_b32_e32 v43, v36
	v_mov_b32_e32 v48, v44
	s_mov_b32 s42, exec_lo
	v_and_b32_e32 v50, 0x7f, v35
	v_mov_b32_e32 v47, v43
	v_cmpx_ne_u32_e32 0x7f, v50
	s_cbranch_execz .LBB219_24
; %bb.21:                               ;   in Loop: Header=BB219_10 Depth=1
	v_and_b32_e32 v35, 7, v35
	v_lshrrev_b32_e32 v41, 3, v50
	s_mov_b32 s43, exec_lo
	v_cmpx_gt_u32_e32 8, v50
; %bb.22:                               ;   in Loop: Header=BB219_10 Depth=1
	v_ffbh_u32_e32 v41, v35
	v_min_u32_e32 v41, 32, v41
	v_subrev_nc_u32_e32 v43, 28, v41
	v_sub_nc_u32_e32 v41, 29, v41
	v_lshlrev_b64 v[47:48], v43, v[35:36]
	v_and_b32_e32 v35, 7, v47
; %bb.23:                               ;   in Loop: Header=BB219_10 Depth=1
	s_or_b32 exec_lo, exec_lo, s43
	v_lshlrev_b32_e32 v43, 16, v49
	v_lshlrev_b32_e32 v35, 20, v35
	v_lshl_add_u32 v41, v41, 23, 0x3c000000
	v_mov_b32_e32 v47, v36
	v_and_b32_e32 v43, 0x80000000, v43
	v_or3_b32 v48, v35, v43, v41
.LBB219_24:                             ;   in Loop: Header=BB219_10 Depth=1
	s_or_b32 exec_lo, exec_lo, s42
.LBB219_25:                             ;   in Loop: Header=BB219_10 Depth=1
	s_or_b32 exec_lo, exec_lo, s41
.LBB219_26:                             ;   in Loop: Header=BB219_10 Depth=1
	s_or_b32 exec_lo, exec_lo, s4
	global_load_ushort v35, v[53:54], off offset:4
	v_mov_b32_e32 v51, 0
	v_mov_b32_e32 v49, 0
	v_mov_b32_e32 v52, 0
	v_mov_b32_e32 v50, 0
	s_waitcnt vmcnt(0)
	v_and_b32_e32 v55, 0xffff, v35
	v_cmp_ne_u16_sdwa s3, v35, v36 src0_sel:BYTE_0 src1_sel:DWORD
	s_and_saveexec_b32 s4, s3
	s_cbranch_execz .LBB219_34
; %bb.27:                               ;   in Loop: Header=BB219_10 Depth=1
	v_bfrev_b32_e32 v49, 1
	v_mov_b32_e32 v50, 0
	v_cmp_ne_u16_sdwa s3, v55, v117 src0_sel:BYTE_0 src1_sel:DWORD
	s_and_saveexec_b32 s41, s3
	s_cbranch_execz .LBB219_33
; %bb.28:                               ;   in Loop: Header=BB219_10 Depth=1
	v_mov_b32_e32 v49, 0x7f800001
	v_and_b32_e32 v43, 0x7f, v55
	v_mov_b32_e32 v50, 0
	s_mov_b32 s42, exec_lo
	v_cmpx_ne_u32_e32 0x7f, v43
	s_cbranch_execz .LBB219_32
; %bb.29:                               ;   in Loop: Header=BB219_10 Depth=1
	v_and_b32_e32 v35, 7, v55
	s_waitcnt lgkmcnt(0)
	v_lshrrev_b32_e32 v41, 3, v43
	s_mov_b32 s43, exec_lo
	v_cmpx_gt_u32_e32 8, v43
; %bb.30:                               ;   in Loop: Header=BB219_10 Depth=1
	v_ffbh_u32_e32 v41, v35
	v_min_u32_e32 v41, 32, v41
	v_subrev_nc_u32_e32 v43, 28, v41
	v_sub_nc_u32_e32 v41, 29, v41
	v_lshlrev_b64 v[49:50], v43, v[35:36]
	v_and_b32_e32 v35, 7, v49
; %bb.31:                               ;   in Loop: Header=BB219_10 Depth=1
	s_or_b32 exec_lo, exec_lo, s43
	v_lshlrev_b32_e32 v43, 24, v55
	v_lshlrev_b32_e32 v35, 20, v35
	v_lshl_add_u32 v41, v41, 23, 0x3c000000
	v_and_b32_e32 v43, 0x80000000, v43
	v_or3_b32 v35, v35, v43, v41
	v_mov_b32_e32 v50, v36
	v_mov_b32_e32 v49, v35
.LBB219_32:                             ;   in Loop: Header=BB219_10 Depth=1
	s_or_b32 exec_lo, exec_lo, s42
.LBB219_33:                             ;   in Loop: Header=BB219_10 Depth=1
	s_or_b32 exec_lo, exec_lo, s41
.LBB219_34:                             ;   in Loop: Header=BB219_10 Depth=1
	s_or_b32 exec_lo, exec_lo, s4
	v_cmp_ne_u16_sdwa s3, v55, v36 src0_sel:BYTE_1 src1_sel:DWORD
	s_and_saveexec_b32 s4, s3
	s_cbranch_execz .LBB219_42
; %bb.35:                               ;   in Loop: Header=BB219_10 Depth=1
	s_waitcnt lgkmcnt(0)
	v_mov_b32_e32 v41, v36
	v_mov_b32_e32 v52, v42
	v_cmp_ne_u16_sdwa s3, v55, v117 src0_sel:BYTE_1 src1_sel:DWORD
	v_mov_b32_e32 v51, v41
	s_and_saveexec_b32 s41, s3
	s_cbranch_execz .LBB219_41
; %bb.36:                               ;   in Loop: Header=BB219_10 Depth=1
	v_and_b32_sdwa v35, v118, v55 dst_sel:DWORD dst_unused:UNUSED_PAD src0_sel:DWORD src1_sel:BYTE_1
	v_mov_b32_e32 v43, v36
	v_mov_b32_e32 v52, v44
	s_mov_b32 s42, exec_lo
	v_and_b32_e32 v56, 0x7f, v35
	v_mov_b32_e32 v51, v43
	v_cmpx_ne_u32_e32 0x7f, v56
	s_cbranch_execz .LBB219_40
; %bb.37:                               ;   in Loop: Header=BB219_10 Depth=1
	v_and_b32_e32 v35, 7, v35
	v_lshrrev_b32_e32 v41, 3, v56
	s_mov_b32 s43, exec_lo
	v_cmpx_gt_u32_e32 8, v56
; %bb.38:                               ;   in Loop: Header=BB219_10 Depth=1
	v_ffbh_u32_e32 v41, v35
	v_min_u32_e32 v41, 32, v41
	v_subrev_nc_u32_e32 v43, 28, v41
	v_sub_nc_u32_e32 v41, 29, v41
	v_lshlrev_b64 v[51:52], v43, v[35:36]
	v_and_b32_e32 v35, 7, v51
; %bb.39:                               ;   in Loop: Header=BB219_10 Depth=1
	s_or_b32 exec_lo, exec_lo, s43
	v_lshlrev_b32_e32 v43, 16, v55
	v_lshlrev_b32_e32 v35, 20, v35
	v_lshl_add_u32 v41, v41, 23, 0x3c000000
	v_mov_b32_e32 v51, v36
	v_and_b32_e32 v43, 0x80000000, v43
	v_or3_b32 v52, v35, v43, v41
.LBB219_40:                             ;   in Loop: Header=BB219_10 Depth=1
	s_or_b32 exec_lo, exec_lo, s42
.LBB219_41:                             ;   in Loop: Header=BB219_10 Depth=1
	s_or_b32 exec_lo, exec_lo, s41
.LBB219_42:                             ;   in Loop: Header=BB219_10 Depth=1
	s_or_b32 exec_lo, exec_lo, s4
	global_load_ushort v35, v[53:54], off offset:8
	v_mov_b32_e32 v57, 0
	v_mov_b32_e32 v55, 0
	;; [unrolled: 1-line block ×4, first 2 shown]
	s_waitcnt vmcnt(0)
	v_and_b32_e32 v59, 0xffff, v35
	v_cmp_ne_u16_sdwa s3, v35, v36 src0_sel:BYTE_0 src1_sel:DWORD
	s_and_saveexec_b32 s4, s3
	s_cbranch_execz .LBB219_50
; %bb.43:                               ;   in Loop: Header=BB219_10 Depth=1
	v_bfrev_b32_e32 v55, 1
	v_mov_b32_e32 v56, 0
	v_cmp_ne_u16_sdwa s3, v59, v117 src0_sel:BYTE_0 src1_sel:DWORD
	s_and_saveexec_b32 s41, s3
	s_cbranch_execz .LBB219_49
; %bb.44:                               ;   in Loop: Header=BB219_10 Depth=1
	v_mov_b32_e32 v55, 0x7f800001
	v_and_b32_e32 v43, 0x7f, v59
	v_mov_b32_e32 v56, 0
	s_mov_b32 s42, exec_lo
	v_cmpx_ne_u32_e32 0x7f, v43
	s_cbranch_execz .LBB219_48
; %bb.45:                               ;   in Loop: Header=BB219_10 Depth=1
	v_and_b32_e32 v35, 7, v59
	s_waitcnt lgkmcnt(0)
	v_lshrrev_b32_e32 v41, 3, v43
	s_mov_b32 s43, exec_lo
	v_cmpx_gt_u32_e32 8, v43
; %bb.46:                               ;   in Loop: Header=BB219_10 Depth=1
	v_ffbh_u32_e32 v41, v35
	v_min_u32_e32 v41, 32, v41
	v_subrev_nc_u32_e32 v43, 28, v41
	v_sub_nc_u32_e32 v41, 29, v41
	v_lshlrev_b64 v[55:56], v43, v[35:36]
	v_and_b32_e32 v35, 7, v55
; %bb.47:                               ;   in Loop: Header=BB219_10 Depth=1
	s_or_b32 exec_lo, exec_lo, s43
	v_lshlrev_b32_e32 v43, 24, v59
	v_lshlrev_b32_e32 v35, 20, v35
	v_lshl_add_u32 v41, v41, 23, 0x3c000000
	v_and_b32_e32 v43, 0x80000000, v43
	v_or3_b32 v35, v35, v43, v41
	v_mov_b32_e32 v56, v36
	v_mov_b32_e32 v55, v35
.LBB219_48:                             ;   in Loop: Header=BB219_10 Depth=1
	s_or_b32 exec_lo, exec_lo, s42
.LBB219_49:                             ;   in Loop: Header=BB219_10 Depth=1
	s_or_b32 exec_lo, exec_lo, s41
.LBB219_50:                             ;   in Loop: Header=BB219_10 Depth=1
	s_or_b32 exec_lo, exec_lo, s4
	v_cmp_ne_u16_sdwa s3, v59, v36 src0_sel:BYTE_1 src1_sel:DWORD
	s_and_saveexec_b32 s4, s3
	s_cbranch_execz .LBB219_58
; %bb.51:                               ;   in Loop: Header=BB219_10 Depth=1
	s_waitcnt lgkmcnt(0)
	v_mov_b32_e32 v41, v36
	v_mov_b32_e32 v58, v42
	v_cmp_ne_u16_sdwa s3, v59, v117 src0_sel:BYTE_1 src1_sel:DWORD
	v_mov_b32_e32 v57, v41
	s_and_saveexec_b32 s41, s3
	s_cbranch_execz .LBB219_57
; %bb.52:                               ;   in Loop: Header=BB219_10 Depth=1
	v_and_b32_sdwa v35, v118, v59 dst_sel:DWORD dst_unused:UNUSED_PAD src0_sel:DWORD src1_sel:BYTE_1
	v_mov_b32_e32 v43, v36
	v_mov_b32_e32 v58, v44
	s_mov_b32 s42, exec_lo
	v_and_b32_e32 v60, 0x7f, v35
	v_mov_b32_e32 v57, v43
	v_cmpx_ne_u32_e32 0x7f, v60
	s_cbranch_execz .LBB219_56
; %bb.53:                               ;   in Loop: Header=BB219_10 Depth=1
	v_and_b32_e32 v35, 7, v35
	v_lshrrev_b32_e32 v41, 3, v60
	s_mov_b32 s43, exec_lo
	v_cmpx_gt_u32_e32 8, v60
; %bb.54:                               ;   in Loop: Header=BB219_10 Depth=1
	v_ffbh_u32_e32 v41, v35
	v_min_u32_e32 v41, 32, v41
	v_subrev_nc_u32_e32 v43, 28, v41
	v_sub_nc_u32_e32 v41, 29, v41
	v_lshlrev_b64 v[57:58], v43, v[35:36]
	v_and_b32_e32 v35, 7, v57
; %bb.55:                               ;   in Loop: Header=BB219_10 Depth=1
	s_or_b32 exec_lo, exec_lo, s43
	v_lshlrev_b32_e32 v43, 16, v59
	v_lshlrev_b32_e32 v35, 20, v35
	v_lshl_add_u32 v41, v41, 23, 0x3c000000
	v_mov_b32_e32 v57, v36
	v_and_b32_e32 v43, 0x80000000, v43
	v_or3_b32 v58, v35, v43, v41
.LBB219_56:                             ;   in Loop: Header=BB219_10 Depth=1
	s_or_b32 exec_lo, exec_lo, s42
.LBB219_57:                             ;   in Loop: Header=BB219_10 Depth=1
	s_or_b32 exec_lo, exec_lo, s41
.LBB219_58:                             ;   in Loop: Header=BB219_10 Depth=1
	s_or_b32 exec_lo, exec_lo, s4
	global_load_ushort v35, v[53:54], off offset:12
	v_mov_b32_e32 v61, 0
	v_mov_b32_e32 v59, 0
	;; [unrolled: 1-line block ×4, first 2 shown]
	s_waitcnt vmcnt(0)
	v_and_b32_e32 v63, 0xffff, v35
	v_cmp_ne_u16_sdwa s3, v35, v36 src0_sel:BYTE_0 src1_sel:DWORD
	s_and_saveexec_b32 s4, s3
	s_cbranch_execz .LBB219_66
; %bb.59:                               ;   in Loop: Header=BB219_10 Depth=1
	v_bfrev_b32_e32 v59, 1
	v_mov_b32_e32 v60, 0
	v_cmp_ne_u16_sdwa s3, v63, v117 src0_sel:BYTE_0 src1_sel:DWORD
	s_and_saveexec_b32 s41, s3
	s_cbranch_execz .LBB219_65
; %bb.60:                               ;   in Loop: Header=BB219_10 Depth=1
	v_mov_b32_e32 v59, 0x7f800001
	v_and_b32_e32 v43, 0x7f, v63
	v_mov_b32_e32 v60, 0
	s_mov_b32 s42, exec_lo
	v_cmpx_ne_u32_e32 0x7f, v43
	s_cbranch_execz .LBB219_64
; %bb.61:                               ;   in Loop: Header=BB219_10 Depth=1
	v_and_b32_e32 v35, 7, v63
	s_waitcnt lgkmcnt(0)
	v_lshrrev_b32_e32 v41, 3, v43
	s_mov_b32 s43, exec_lo
	v_cmpx_gt_u32_e32 8, v43
; %bb.62:                               ;   in Loop: Header=BB219_10 Depth=1
	v_ffbh_u32_e32 v41, v35
	v_min_u32_e32 v41, 32, v41
	v_subrev_nc_u32_e32 v43, 28, v41
	v_sub_nc_u32_e32 v41, 29, v41
	v_lshlrev_b64 v[59:60], v43, v[35:36]
	v_and_b32_e32 v35, 7, v59
; %bb.63:                               ;   in Loop: Header=BB219_10 Depth=1
	s_or_b32 exec_lo, exec_lo, s43
	v_lshlrev_b32_e32 v43, 24, v63
	v_lshlrev_b32_e32 v35, 20, v35
	v_lshl_add_u32 v41, v41, 23, 0x3c000000
	v_and_b32_e32 v43, 0x80000000, v43
	v_or3_b32 v35, v35, v43, v41
	v_mov_b32_e32 v60, v36
	v_mov_b32_e32 v59, v35
.LBB219_64:                             ;   in Loop: Header=BB219_10 Depth=1
	s_or_b32 exec_lo, exec_lo, s42
.LBB219_65:                             ;   in Loop: Header=BB219_10 Depth=1
	s_or_b32 exec_lo, exec_lo, s41
.LBB219_66:                             ;   in Loop: Header=BB219_10 Depth=1
	s_or_b32 exec_lo, exec_lo, s4
	v_cmp_ne_u16_sdwa s3, v63, v36 src0_sel:BYTE_1 src1_sel:DWORD
	s_and_saveexec_b32 s4, s3
	s_cbranch_execz .LBB219_74
; %bb.67:                               ;   in Loop: Header=BB219_10 Depth=1
	s_waitcnt lgkmcnt(0)
	v_mov_b32_e32 v41, v36
	v_mov_b32_e32 v62, v42
	v_cmp_ne_u16_sdwa s3, v63, v117 src0_sel:BYTE_1 src1_sel:DWORD
	v_mov_b32_e32 v61, v41
	s_and_saveexec_b32 s41, s3
	s_cbranch_execz .LBB219_73
; %bb.68:                               ;   in Loop: Header=BB219_10 Depth=1
	v_and_b32_sdwa v35, v118, v63 dst_sel:DWORD dst_unused:UNUSED_PAD src0_sel:DWORD src1_sel:BYTE_1
	v_mov_b32_e32 v43, v36
	v_mov_b32_e32 v62, v44
	s_mov_b32 s42, exec_lo
	v_and_b32_e32 v64, 0x7f, v35
	v_mov_b32_e32 v61, v43
	v_cmpx_ne_u32_e32 0x7f, v64
	s_cbranch_execz .LBB219_72
; %bb.69:                               ;   in Loop: Header=BB219_10 Depth=1
	v_and_b32_e32 v35, 7, v35
	v_lshrrev_b32_e32 v41, 3, v64
	s_mov_b32 s43, exec_lo
	v_cmpx_gt_u32_e32 8, v64
; %bb.70:                               ;   in Loop: Header=BB219_10 Depth=1
	v_ffbh_u32_e32 v41, v35
	v_min_u32_e32 v41, 32, v41
	v_subrev_nc_u32_e32 v43, 28, v41
	v_sub_nc_u32_e32 v41, 29, v41
	v_lshlrev_b64 v[61:62], v43, v[35:36]
	v_and_b32_e32 v35, 7, v61
; %bb.71:                               ;   in Loop: Header=BB219_10 Depth=1
	s_or_b32 exec_lo, exec_lo, s43
	v_lshlrev_b32_e32 v43, 16, v63
	v_lshlrev_b32_e32 v35, 20, v35
	v_lshl_add_u32 v41, v41, 23, 0x3c000000
	v_mov_b32_e32 v61, v36
	v_and_b32_e32 v43, 0x80000000, v43
	v_or3_b32 v62, v35, v43, v41
.LBB219_72:                             ;   in Loop: Header=BB219_10 Depth=1
	s_or_b32 exec_lo, exec_lo, s42
.LBB219_73:                             ;   in Loop: Header=BB219_10 Depth=1
	s_or_b32 exec_lo, exec_lo, s41
.LBB219_74:                             ;   in Loop: Header=BB219_10 Depth=1
	s_or_b32 exec_lo, exec_lo, s4
	global_load_ushort v35, v[53:54], off offset:256
	v_mov_b32_e32 v65, 0
	v_mov_b32_e32 v63, 0
	;; [unrolled: 1-line block ×4, first 2 shown]
	s_waitcnt vmcnt(0)
	v_and_b32_e32 v67, 0xffff, v35
	v_cmp_ne_u16_sdwa s3, v35, v36 src0_sel:BYTE_0 src1_sel:DWORD
	s_and_saveexec_b32 s4, s3
	s_cbranch_execz .LBB219_82
; %bb.75:                               ;   in Loop: Header=BB219_10 Depth=1
	v_bfrev_b32_e32 v63, 1
	v_mov_b32_e32 v64, 0
	v_cmp_ne_u16_sdwa s3, v67, v117 src0_sel:BYTE_0 src1_sel:DWORD
	s_and_saveexec_b32 s41, s3
	s_cbranch_execz .LBB219_81
; %bb.76:                               ;   in Loop: Header=BB219_10 Depth=1
	v_mov_b32_e32 v63, 0x7f800001
	v_and_b32_e32 v43, 0x7f, v67
	v_mov_b32_e32 v64, 0
	s_mov_b32 s42, exec_lo
	v_cmpx_ne_u32_e32 0x7f, v43
	s_cbranch_execz .LBB219_80
; %bb.77:                               ;   in Loop: Header=BB219_10 Depth=1
	v_and_b32_e32 v35, 7, v67
	s_waitcnt lgkmcnt(0)
	v_lshrrev_b32_e32 v41, 3, v43
	s_mov_b32 s43, exec_lo
	v_cmpx_gt_u32_e32 8, v43
; %bb.78:                               ;   in Loop: Header=BB219_10 Depth=1
	v_ffbh_u32_e32 v41, v35
	v_min_u32_e32 v41, 32, v41
	v_subrev_nc_u32_e32 v43, 28, v41
	v_sub_nc_u32_e32 v41, 29, v41
	v_lshlrev_b64 v[63:64], v43, v[35:36]
	v_and_b32_e32 v35, 7, v63
; %bb.79:                               ;   in Loop: Header=BB219_10 Depth=1
	s_or_b32 exec_lo, exec_lo, s43
	v_lshlrev_b32_e32 v43, 24, v67
	v_lshlrev_b32_e32 v35, 20, v35
	v_lshl_add_u32 v41, v41, 23, 0x3c000000
	v_and_b32_e32 v43, 0x80000000, v43
	v_or3_b32 v35, v35, v43, v41
	v_mov_b32_e32 v64, v36
	v_mov_b32_e32 v63, v35
.LBB219_80:                             ;   in Loop: Header=BB219_10 Depth=1
	s_or_b32 exec_lo, exec_lo, s42
.LBB219_81:                             ;   in Loop: Header=BB219_10 Depth=1
	s_or_b32 exec_lo, exec_lo, s41
.LBB219_82:                             ;   in Loop: Header=BB219_10 Depth=1
	s_or_b32 exec_lo, exec_lo, s4
	v_cmp_ne_u16_sdwa s3, v67, v36 src0_sel:BYTE_1 src1_sel:DWORD
	s_and_saveexec_b32 s4, s3
	s_cbranch_execz .LBB219_90
; %bb.83:                               ;   in Loop: Header=BB219_10 Depth=1
	s_waitcnt lgkmcnt(0)
	v_mov_b32_e32 v41, v36
	v_mov_b32_e32 v66, v42
	v_cmp_ne_u16_sdwa s3, v67, v117 src0_sel:BYTE_1 src1_sel:DWORD
	v_mov_b32_e32 v65, v41
	s_and_saveexec_b32 s41, s3
	s_cbranch_execz .LBB219_89
; %bb.84:                               ;   in Loop: Header=BB219_10 Depth=1
	v_and_b32_sdwa v35, v118, v67 dst_sel:DWORD dst_unused:UNUSED_PAD src0_sel:DWORD src1_sel:BYTE_1
	v_mov_b32_e32 v43, v36
	v_mov_b32_e32 v66, v44
	s_mov_b32 s42, exec_lo
	v_and_b32_e32 v68, 0x7f, v35
	v_mov_b32_e32 v65, v43
	v_cmpx_ne_u32_e32 0x7f, v68
	s_cbranch_execz .LBB219_88
; %bb.85:                               ;   in Loop: Header=BB219_10 Depth=1
	v_and_b32_e32 v35, 7, v35
	v_lshrrev_b32_e32 v41, 3, v68
	s_mov_b32 s43, exec_lo
	v_cmpx_gt_u32_e32 8, v68
; %bb.86:                               ;   in Loop: Header=BB219_10 Depth=1
	v_ffbh_u32_e32 v41, v35
	v_min_u32_e32 v41, 32, v41
	v_subrev_nc_u32_e32 v43, 28, v41
	v_sub_nc_u32_e32 v41, 29, v41
	v_lshlrev_b64 v[65:66], v43, v[35:36]
	v_and_b32_e32 v35, 7, v65
; %bb.87:                               ;   in Loop: Header=BB219_10 Depth=1
	s_or_b32 exec_lo, exec_lo, s43
	v_lshlrev_b32_e32 v43, 16, v67
	v_lshlrev_b32_e32 v35, 20, v35
	v_lshl_add_u32 v41, v41, 23, 0x3c000000
	v_mov_b32_e32 v65, v36
	v_and_b32_e32 v43, 0x80000000, v43
	v_or3_b32 v66, v35, v43, v41
.LBB219_88:                             ;   in Loop: Header=BB219_10 Depth=1
	s_or_b32 exec_lo, exec_lo, s42
.LBB219_89:                             ;   in Loop: Header=BB219_10 Depth=1
	s_or_b32 exec_lo, exec_lo, s41
.LBB219_90:                             ;   in Loop: Header=BB219_10 Depth=1
	s_or_b32 exec_lo, exec_lo, s4
	global_load_ushort v35, v[53:54], off offset:260
	v_mov_b32_e32 v69, 0
	v_mov_b32_e32 v67, 0
	;; [unrolled: 1-line block ×4, first 2 shown]
	s_waitcnt vmcnt(0)
	v_and_b32_e32 v71, 0xffff, v35
	v_cmp_ne_u16_sdwa s3, v35, v36 src0_sel:BYTE_0 src1_sel:DWORD
	s_and_saveexec_b32 s4, s3
	s_cbranch_execz .LBB219_98
; %bb.91:                               ;   in Loop: Header=BB219_10 Depth=1
	v_bfrev_b32_e32 v67, 1
	v_mov_b32_e32 v68, 0
	v_cmp_ne_u16_sdwa s3, v71, v117 src0_sel:BYTE_0 src1_sel:DWORD
	s_and_saveexec_b32 s41, s3
	s_cbranch_execz .LBB219_97
; %bb.92:                               ;   in Loop: Header=BB219_10 Depth=1
	v_mov_b32_e32 v67, 0x7f800001
	v_and_b32_e32 v43, 0x7f, v71
	v_mov_b32_e32 v68, 0
	s_mov_b32 s42, exec_lo
	v_cmpx_ne_u32_e32 0x7f, v43
	s_cbranch_execz .LBB219_96
; %bb.93:                               ;   in Loop: Header=BB219_10 Depth=1
	v_and_b32_e32 v35, 7, v71
	s_waitcnt lgkmcnt(0)
	v_lshrrev_b32_e32 v41, 3, v43
	s_mov_b32 s43, exec_lo
	v_cmpx_gt_u32_e32 8, v43
; %bb.94:                               ;   in Loop: Header=BB219_10 Depth=1
	v_ffbh_u32_e32 v41, v35
	v_min_u32_e32 v41, 32, v41
	v_subrev_nc_u32_e32 v43, 28, v41
	v_sub_nc_u32_e32 v41, 29, v41
	v_lshlrev_b64 v[67:68], v43, v[35:36]
	v_and_b32_e32 v35, 7, v67
; %bb.95:                               ;   in Loop: Header=BB219_10 Depth=1
	s_or_b32 exec_lo, exec_lo, s43
	v_lshlrev_b32_e32 v43, 24, v71
	v_lshlrev_b32_e32 v35, 20, v35
	v_lshl_add_u32 v41, v41, 23, 0x3c000000
	v_and_b32_e32 v43, 0x80000000, v43
	v_or3_b32 v35, v35, v43, v41
	v_mov_b32_e32 v68, v36
	v_mov_b32_e32 v67, v35
.LBB219_96:                             ;   in Loop: Header=BB219_10 Depth=1
	s_or_b32 exec_lo, exec_lo, s42
.LBB219_97:                             ;   in Loop: Header=BB219_10 Depth=1
	s_or_b32 exec_lo, exec_lo, s41
.LBB219_98:                             ;   in Loop: Header=BB219_10 Depth=1
	s_or_b32 exec_lo, exec_lo, s4
	v_cmp_ne_u16_sdwa s3, v71, v36 src0_sel:BYTE_1 src1_sel:DWORD
	s_and_saveexec_b32 s4, s3
	s_cbranch_execz .LBB219_106
; %bb.99:                               ;   in Loop: Header=BB219_10 Depth=1
	s_waitcnt lgkmcnt(0)
	v_mov_b32_e32 v41, v36
	v_mov_b32_e32 v70, v42
	v_cmp_ne_u16_sdwa s3, v71, v117 src0_sel:BYTE_1 src1_sel:DWORD
	v_mov_b32_e32 v69, v41
	s_and_saveexec_b32 s41, s3
	s_cbranch_execz .LBB219_105
; %bb.100:                              ;   in Loop: Header=BB219_10 Depth=1
	v_and_b32_sdwa v35, v118, v71 dst_sel:DWORD dst_unused:UNUSED_PAD src0_sel:DWORD src1_sel:BYTE_1
	v_mov_b32_e32 v43, v36
	v_mov_b32_e32 v70, v44
	s_mov_b32 s42, exec_lo
	v_and_b32_e32 v72, 0x7f, v35
	v_mov_b32_e32 v69, v43
	v_cmpx_ne_u32_e32 0x7f, v72
	s_cbranch_execz .LBB219_104
; %bb.101:                              ;   in Loop: Header=BB219_10 Depth=1
	v_and_b32_e32 v35, 7, v35
	v_lshrrev_b32_e32 v41, 3, v72
	s_mov_b32 s43, exec_lo
	v_cmpx_gt_u32_e32 8, v72
; %bb.102:                              ;   in Loop: Header=BB219_10 Depth=1
	v_ffbh_u32_e32 v41, v35
	v_min_u32_e32 v41, 32, v41
	v_subrev_nc_u32_e32 v43, 28, v41
	v_sub_nc_u32_e32 v41, 29, v41
	v_lshlrev_b64 v[69:70], v43, v[35:36]
	v_and_b32_e32 v35, 7, v69
; %bb.103:                              ;   in Loop: Header=BB219_10 Depth=1
	s_or_b32 exec_lo, exec_lo, s43
	v_lshlrev_b32_e32 v43, 16, v71
	v_lshlrev_b32_e32 v35, 20, v35
	v_lshl_add_u32 v41, v41, 23, 0x3c000000
	v_mov_b32_e32 v69, v36
	v_and_b32_e32 v43, 0x80000000, v43
	v_or3_b32 v70, v35, v43, v41
.LBB219_104:                            ;   in Loop: Header=BB219_10 Depth=1
	s_or_b32 exec_lo, exec_lo, s42
.LBB219_105:                            ;   in Loop: Header=BB219_10 Depth=1
	s_or_b32 exec_lo, exec_lo, s41
.LBB219_106:                            ;   in Loop: Header=BB219_10 Depth=1
	s_or_b32 exec_lo, exec_lo, s4
	global_load_ushort v35, v[53:54], off offset:264
	v_mov_b32_e32 v73, 0
	v_mov_b32_e32 v71, 0
	;; [unrolled: 1-line block ×4, first 2 shown]
	s_waitcnt vmcnt(0)
	v_and_b32_e32 v75, 0xffff, v35
	v_cmp_ne_u16_sdwa s3, v35, v36 src0_sel:BYTE_0 src1_sel:DWORD
	s_and_saveexec_b32 s4, s3
	s_cbranch_execz .LBB219_114
; %bb.107:                              ;   in Loop: Header=BB219_10 Depth=1
	v_bfrev_b32_e32 v71, 1
	v_mov_b32_e32 v72, 0
	v_cmp_ne_u16_sdwa s3, v75, v117 src0_sel:BYTE_0 src1_sel:DWORD
	s_and_saveexec_b32 s41, s3
	s_cbranch_execz .LBB219_113
; %bb.108:                              ;   in Loop: Header=BB219_10 Depth=1
	v_mov_b32_e32 v71, 0x7f800001
	v_and_b32_e32 v43, 0x7f, v75
	v_mov_b32_e32 v72, 0
	s_mov_b32 s42, exec_lo
	v_cmpx_ne_u32_e32 0x7f, v43
	s_cbranch_execz .LBB219_112
; %bb.109:                              ;   in Loop: Header=BB219_10 Depth=1
	v_and_b32_e32 v35, 7, v75
	s_waitcnt lgkmcnt(0)
	v_lshrrev_b32_e32 v41, 3, v43
	s_mov_b32 s43, exec_lo
	v_cmpx_gt_u32_e32 8, v43
; %bb.110:                              ;   in Loop: Header=BB219_10 Depth=1
	v_ffbh_u32_e32 v41, v35
	v_min_u32_e32 v41, 32, v41
	v_subrev_nc_u32_e32 v43, 28, v41
	v_sub_nc_u32_e32 v41, 29, v41
	v_lshlrev_b64 v[71:72], v43, v[35:36]
	v_and_b32_e32 v35, 7, v71
; %bb.111:                              ;   in Loop: Header=BB219_10 Depth=1
	s_or_b32 exec_lo, exec_lo, s43
	v_lshlrev_b32_e32 v43, 24, v75
	v_lshlrev_b32_e32 v35, 20, v35
	v_lshl_add_u32 v41, v41, 23, 0x3c000000
	v_and_b32_e32 v43, 0x80000000, v43
	v_or3_b32 v35, v35, v43, v41
	v_mov_b32_e32 v72, v36
	v_mov_b32_e32 v71, v35
.LBB219_112:                            ;   in Loop: Header=BB219_10 Depth=1
	s_or_b32 exec_lo, exec_lo, s42
.LBB219_113:                            ;   in Loop: Header=BB219_10 Depth=1
	s_or_b32 exec_lo, exec_lo, s41
.LBB219_114:                            ;   in Loop: Header=BB219_10 Depth=1
	s_or_b32 exec_lo, exec_lo, s4
	v_cmp_ne_u16_sdwa s3, v75, v36 src0_sel:BYTE_1 src1_sel:DWORD
	s_and_saveexec_b32 s4, s3
	s_cbranch_execz .LBB219_122
; %bb.115:                              ;   in Loop: Header=BB219_10 Depth=1
	s_waitcnt lgkmcnt(0)
	v_mov_b32_e32 v41, v36
	v_mov_b32_e32 v74, v42
	v_cmp_ne_u16_sdwa s3, v75, v117 src0_sel:BYTE_1 src1_sel:DWORD
	v_mov_b32_e32 v73, v41
	s_and_saveexec_b32 s41, s3
	s_cbranch_execz .LBB219_121
; %bb.116:                              ;   in Loop: Header=BB219_10 Depth=1
	v_and_b32_sdwa v35, v118, v75 dst_sel:DWORD dst_unused:UNUSED_PAD src0_sel:DWORD src1_sel:BYTE_1
	v_mov_b32_e32 v43, v36
	v_mov_b32_e32 v74, v44
	s_mov_b32 s42, exec_lo
	v_and_b32_e32 v76, 0x7f, v35
	v_mov_b32_e32 v73, v43
	v_cmpx_ne_u32_e32 0x7f, v76
	s_cbranch_execz .LBB219_120
; %bb.117:                              ;   in Loop: Header=BB219_10 Depth=1
	v_and_b32_e32 v35, 7, v35
	v_lshrrev_b32_e32 v41, 3, v76
	s_mov_b32 s43, exec_lo
	v_cmpx_gt_u32_e32 8, v76
; %bb.118:                              ;   in Loop: Header=BB219_10 Depth=1
	v_ffbh_u32_e32 v41, v35
	v_min_u32_e32 v41, 32, v41
	v_subrev_nc_u32_e32 v43, 28, v41
	v_sub_nc_u32_e32 v41, 29, v41
	v_lshlrev_b64 v[73:74], v43, v[35:36]
	v_and_b32_e32 v35, 7, v73
; %bb.119:                              ;   in Loop: Header=BB219_10 Depth=1
	s_or_b32 exec_lo, exec_lo, s43
	v_lshlrev_b32_e32 v43, 16, v75
	v_lshlrev_b32_e32 v35, 20, v35
	v_lshl_add_u32 v41, v41, 23, 0x3c000000
	v_mov_b32_e32 v73, v36
	v_and_b32_e32 v43, 0x80000000, v43
	v_or3_b32 v74, v35, v43, v41
.LBB219_120:                            ;   in Loop: Header=BB219_10 Depth=1
	s_or_b32 exec_lo, exec_lo, s42
.LBB219_121:                            ;   in Loop: Header=BB219_10 Depth=1
	s_or_b32 exec_lo, exec_lo, s41
.LBB219_122:                            ;   in Loop: Header=BB219_10 Depth=1
	s_or_b32 exec_lo, exec_lo, s4
	global_load_ushort v35, v[53:54], off offset:268
	v_mov_b32_e32 v77, 0
	v_mov_b32_e32 v75, 0
	;; [unrolled: 1-line block ×4, first 2 shown]
	s_waitcnt vmcnt(0)
	v_and_b32_e32 v79, 0xffff, v35
	v_cmp_ne_u16_sdwa s3, v35, v36 src0_sel:BYTE_0 src1_sel:DWORD
	s_and_saveexec_b32 s4, s3
	s_cbranch_execz .LBB219_130
; %bb.123:                              ;   in Loop: Header=BB219_10 Depth=1
	v_bfrev_b32_e32 v75, 1
	v_mov_b32_e32 v76, 0
	v_cmp_ne_u16_sdwa s3, v79, v117 src0_sel:BYTE_0 src1_sel:DWORD
	s_and_saveexec_b32 s41, s3
	s_cbranch_execz .LBB219_129
; %bb.124:                              ;   in Loop: Header=BB219_10 Depth=1
	v_mov_b32_e32 v75, 0x7f800001
	v_and_b32_e32 v43, 0x7f, v79
	v_mov_b32_e32 v76, 0
	s_mov_b32 s42, exec_lo
	v_cmpx_ne_u32_e32 0x7f, v43
	s_cbranch_execz .LBB219_128
; %bb.125:                              ;   in Loop: Header=BB219_10 Depth=1
	v_and_b32_e32 v35, 7, v79
	s_waitcnt lgkmcnt(0)
	v_lshrrev_b32_e32 v41, 3, v43
	s_mov_b32 s43, exec_lo
	v_cmpx_gt_u32_e32 8, v43
; %bb.126:                              ;   in Loop: Header=BB219_10 Depth=1
	v_ffbh_u32_e32 v41, v35
	v_min_u32_e32 v41, 32, v41
	v_subrev_nc_u32_e32 v43, 28, v41
	v_sub_nc_u32_e32 v41, 29, v41
	v_lshlrev_b64 v[75:76], v43, v[35:36]
	v_and_b32_e32 v35, 7, v75
; %bb.127:                              ;   in Loop: Header=BB219_10 Depth=1
	s_or_b32 exec_lo, exec_lo, s43
	v_lshlrev_b32_e32 v43, 24, v79
	v_lshlrev_b32_e32 v35, 20, v35
	v_lshl_add_u32 v41, v41, 23, 0x3c000000
	v_and_b32_e32 v43, 0x80000000, v43
	v_or3_b32 v35, v35, v43, v41
	v_mov_b32_e32 v76, v36
	v_mov_b32_e32 v75, v35
.LBB219_128:                            ;   in Loop: Header=BB219_10 Depth=1
	s_or_b32 exec_lo, exec_lo, s42
.LBB219_129:                            ;   in Loop: Header=BB219_10 Depth=1
	s_or_b32 exec_lo, exec_lo, s41
.LBB219_130:                            ;   in Loop: Header=BB219_10 Depth=1
	s_or_b32 exec_lo, exec_lo, s4
	v_cmp_ne_u16_sdwa s3, v79, v36 src0_sel:BYTE_1 src1_sel:DWORD
	s_and_saveexec_b32 s4, s3
	s_cbranch_execz .LBB219_138
; %bb.131:                              ;   in Loop: Header=BB219_10 Depth=1
	s_waitcnt lgkmcnt(0)
	v_mov_b32_e32 v41, v36
	v_mov_b32_e32 v78, v42
	v_cmp_ne_u16_sdwa s3, v79, v117 src0_sel:BYTE_1 src1_sel:DWORD
	v_mov_b32_e32 v77, v41
	s_and_saveexec_b32 s41, s3
	s_cbranch_execz .LBB219_137
; %bb.132:                              ;   in Loop: Header=BB219_10 Depth=1
	v_and_b32_sdwa v35, v118, v79 dst_sel:DWORD dst_unused:UNUSED_PAD src0_sel:DWORD src1_sel:BYTE_1
	v_mov_b32_e32 v43, v36
	v_mov_b32_e32 v78, v44
	s_mov_b32 s42, exec_lo
	v_and_b32_e32 v80, 0x7f, v35
	v_mov_b32_e32 v77, v43
	v_cmpx_ne_u32_e32 0x7f, v80
	s_cbranch_execz .LBB219_136
; %bb.133:                              ;   in Loop: Header=BB219_10 Depth=1
	v_and_b32_e32 v35, 7, v35
	v_lshrrev_b32_e32 v41, 3, v80
	s_mov_b32 s43, exec_lo
	v_cmpx_gt_u32_e32 8, v80
; %bb.134:                              ;   in Loop: Header=BB219_10 Depth=1
	v_ffbh_u32_e32 v41, v35
	v_min_u32_e32 v41, 32, v41
	v_subrev_nc_u32_e32 v43, 28, v41
	v_sub_nc_u32_e32 v41, 29, v41
	v_lshlrev_b64 v[77:78], v43, v[35:36]
	v_and_b32_e32 v35, 7, v77
; %bb.135:                              ;   in Loop: Header=BB219_10 Depth=1
	s_or_b32 exec_lo, exec_lo, s43
	v_lshlrev_b32_e32 v43, 16, v79
	v_lshlrev_b32_e32 v35, 20, v35
	v_lshl_add_u32 v41, v41, 23, 0x3c000000
	v_mov_b32_e32 v77, v36
	v_and_b32_e32 v43, 0x80000000, v43
	v_or3_b32 v78, v35, v43, v41
.LBB219_136:                            ;   in Loop: Header=BB219_10 Depth=1
	s_or_b32 exec_lo, exec_lo, s42
.LBB219_137:                            ;   in Loop: Header=BB219_10 Depth=1
	s_or_b32 exec_lo, exec_lo, s41
.LBB219_138:                            ;   in Loop: Header=BB219_10 Depth=1
	s_or_b32 exec_lo, exec_lo, s4
	global_load_ushort v35, v[53:54], off offset:512
	v_mov_b32_e32 v81, 0
	v_mov_b32_e32 v79, 0
	;; [unrolled: 1-line block ×4, first 2 shown]
	s_waitcnt vmcnt(0)
	v_and_b32_e32 v83, 0xffff, v35
	v_cmp_ne_u16_sdwa s3, v35, v36 src0_sel:BYTE_0 src1_sel:DWORD
	s_and_saveexec_b32 s4, s3
	s_cbranch_execz .LBB219_146
; %bb.139:                              ;   in Loop: Header=BB219_10 Depth=1
	v_bfrev_b32_e32 v79, 1
	v_mov_b32_e32 v80, 0
	v_cmp_ne_u16_sdwa s3, v83, v117 src0_sel:BYTE_0 src1_sel:DWORD
	s_and_saveexec_b32 s41, s3
	s_cbranch_execz .LBB219_145
; %bb.140:                              ;   in Loop: Header=BB219_10 Depth=1
	v_mov_b32_e32 v79, 0x7f800001
	v_and_b32_e32 v43, 0x7f, v83
	v_mov_b32_e32 v80, 0
	s_mov_b32 s42, exec_lo
	v_cmpx_ne_u32_e32 0x7f, v43
	s_cbranch_execz .LBB219_144
; %bb.141:                              ;   in Loop: Header=BB219_10 Depth=1
	v_and_b32_e32 v35, 7, v83
	s_waitcnt lgkmcnt(0)
	v_lshrrev_b32_e32 v41, 3, v43
	s_mov_b32 s43, exec_lo
	v_cmpx_gt_u32_e32 8, v43
; %bb.142:                              ;   in Loop: Header=BB219_10 Depth=1
	v_ffbh_u32_e32 v41, v35
	v_min_u32_e32 v41, 32, v41
	v_subrev_nc_u32_e32 v43, 28, v41
	v_sub_nc_u32_e32 v41, 29, v41
	v_lshlrev_b64 v[79:80], v43, v[35:36]
	v_and_b32_e32 v35, 7, v79
; %bb.143:                              ;   in Loop: Header=BB219_10 Depth=1
	s_or_b32 exec_lo, exec_lo, s43
	v_lshlrev_b32_e32 v43, 24, v83
	v_lshlrev_b32_e32 v35, 20, v35
	v_lshl_add_u32 v41, v41, 23, 0x3c000000
	v_and_b32_e32 v43, 0x80000000, v43
	v_or3_b32 v35, v35, v43, v41
	v_mov_b32_e32 v80, v36
	v_mov_b32_e32 v79, v35
.LBB219_144:                            ;   in Loop: Header=BB219_10 Depth=1
	s_or_b32 exec_lo, exec_lo, s42
.LBB219_145:                            ;   in Loop: Header=BB219_10 Depth=1
	s_or_b32 exec_lo, exec_lo, s41
.LBB219_146:                            ;   in Loop: Header=BB219_10 Depth=1
	s_or_b32 exec_lo, exec_lo, s4
	v_cmp_ne_u16_sdwa s3, v83, v36 src0_sel:BYTE_1 src1_sel:DWORD
	s_and_saveexec_b32 s4, s3
	s_cbranch_execz .LBB219_154
; %bb.147:                              ;   in Loop: Header=BB219_10 Depth=1
	s_waitcnt lgkmcnt(0)
	v_mov_b32_e32 v41, v36
	v_mov_b32_e32 v82, v42
	v_cmp_ne_u16_sdwa s3, v83, v117 src0_sel:BYTE_1 src1_sel:DWORD
	v_mov_b32_e32 v81, v41
	s_and_saveexec_b32 s41, s3
	s_cbranch_execz .LBB219_153
; %bb.148:                              ;   in Loop: Header=BB219_10 Depth=1
	v_and_b32_sdwa v35, v118, v83 dst_sel:DWORD dst_unused:UNUSED_PAD src0_sel:DWORD src1_sel:BYTE_1
	v_mov_b32_e32 v43, v36
	v_mov_b32_e32 v82, v44
	s_mov_b32 s42, exec_lo
	v_and_b32_e32 v84, 0x7f, v35
	v_mov_b32_e32 v81, v43
	v_cmpx_ne_u32_e32 0x7f, v84
	s_cbranch_execz .LBB219_152
; %bb.149:                              ;   in Loop: Header=BB219_10 Depth=1
	v_and_b32_e32 v35, 7, v35
	v_lshrrev_b32_e32 v41, 3, v84
	s_mov_b32 s43, exec_lo
	v_cmpx_gt_u32_e32 8, v84
; %bb.150:                              ;   in Loop: Header=BB219_10 Depth=1
	v_ffbh_u32_e32 v41, v35
	v_min_u32_e32 v41, 32, v41
	v_subrev_nc_u32_e32 v43, 28, v41
	v_sub_nc_u32_e32 v41, 29, v41
	v_lshlrev_b64 v[81:82], v43, v[35:36]
	v_and_b32_e32 v35, 7, v81
; %bb.151:                              ;   in Loop: Header=BB219_10 Depth=1
	s_or_b32 exec_lo, exec_lo, s43
	v_lshlrev_b32_e32 v43, 16, v83
	v_lshlrev_b32_e32 v35, 20, v35
	v_lshl_add_u32 v41, v41, 23, 0x3c000000
	v_mov_b32_e32 v81, v36
	v_and_b32_e32 v43, 0x80000000, v43
	v_or3_b32 v82, v35, v43, v41
.LBB219_152:                            ;   in Loop: Header=BB219_10 Depth=1
	s_or_b32 exec_lo, exec_lo, s42
.LBB219_153:                            ;   in Loop: Header=BB219_10 Depth=1
	s_or_b32 exec_lo, exec_lo, s41
.LBB219_154:                            ;   in Loop: Header=BB219_10 Depth=1
	s_or_b32 exec_lo, exec_lo, s4
	global_load_ushort v35, v[53:54], off offset:516
	v_mov_b32_e32 v85, 0
	v_mov_b32_e32 v83, 0
	;; [unrolled: 1-line block ×4, first 2 shown]
	s_waitcnt vmcnt(0)
	v_and_b32_e32 v87, 0xffff, v35
	v_cmp_ne_u16_sdwa s3, v35, v36 src0_sel:BYTE_0 src1_sel:DWORD
	s_and_saveexec_b32 s4, s3
	s_cbranch_execz .LBB219_162
; %bb.155:                              ;   in Loop: Header=BB219_10 Depth=1
	v_bfrev_b32_e32 v83, 1
	v_mov_b32_e32 v84, 0
	v_cmp_ne_u16_sdwa s3, v87, v117 src0_sel:BYTE_0 src1_sel:DWORD
	s_and_saveexec_b32 s41, s3
	s_cbranch_execz .LBB219_161
; %bb.156:                              ;   in Loop: Header=BB219_10 Depth=1
	v_mov_b32_e32 v83, 0x7f800001
	v_and_b32_e32 v43, 0x7f, v87
	v_mov_b32_e32 v84, 0
	s_mov_b32 s42, exec_lo
	v_cmpx_ne_u32_e32 0x7f, v43
	s_cbranch_execz .LBB219_160
; %bb.157:                              ;   in Loop: Header=BB219_10 Depth=1
	v_and_b32_e32 v35, 7, v87
	s_waitcnt lgkmcnt(0)
	v_lshrrev_b32_e32 v41, 3, v43
	s_mov_b32 s43, exec_lo
	v_cmpx_gt_u32_e32 8, v43
; %bb.158:                              ;   in Loop: Header=BB219_10 Depth=1
	v_ffbh_u32_e32 v41, v35
	v_min_u32_e32 v41, 32, v41
	v_subrev_nc_u32_e32 v43, 28, v41
	v_sub_nc_u32_e32 v41, 29, v41
	v_lshlrev_b64 v[83:84], v43, v[35:36]
	v_and_b32_e32 v35, 7, v83
; %bb.159:                              ;   in Loop: Header=BB219_10 Depth=1
	s_or_b32 exec_lo, exec_lo, s43
	v_lshlrev_b32_e32 v43, 24, v87
	v_lshlrev_b32_e32 v35, 20, v35
	v_lshl_add_u32 v41, v41, 23, 0x3c000000
	v_and_b32_e32 v43, 0x80000000, v43
	v_or3_b32 v35, v35, v43, v41
	v_mov_b32_e32 v84, v36
	v_mov_b32_e32 v83, v35
.LBB219_160:                            ;   in Loop: Header=BB219_10 Depth=1
	s_or_b32 exec_lo, exec_lo, s42
.LBB219_161:                            ;   in Loop: Header=BB219_10 Depth=1
	s_or_b32 exec_lo, exec_lo, s41
.LBB219_162:                            ;   in Loop: Header=BB219_10 Depth=1
	s_or_b32 exec_lo, exec_lo, s4
	v_cmp_ne_u16_sdwa s3, v87, v36 src0_sel:BYTE_1 src1_sel:DWORD
	s_and_saveexec_b32 s4, s3
	s_cbranch_execz .LBB219_170
; %bb.163:                              ;   in Loop: Header=BB219_10 Depth=1
	s_waitcnt lgkmcnt(0)
	v_mov_b32_e32 v41, v36
	v_mov_b32_e32 v86, v42
	v_cmp_ne_u16_sdwa s3, v87, v117 src0_sel:BYTE_1 src1_sel:DWORD
	v_mov_b32_e32 v85, v41
	s_and_saveexec_b32 s41, s3
	s_cbranch_execz .LBB219_169
; %bb.164:                              ;   in Loop: Header=BB219_10 Depth=1
	v_and_b32_sdwa v35, v118, v87 dst_sel:DWORD dst_unused:UNUSED_PAD src0_sel:DWORD src1_sel:BYTE_1
	v_mov_b32_e32 v43, v36
	v_mov_b32_e32 v86, v44
	s_mov_b32 s42, exec_lo
	v_and_b32_e32 v88, 0x7f, v35
	v_mov_b32_e32 v85, v43
	v_cmpx_ne_u32_e32 0x7f, v88
	s_cbranch_execz .LBB219_168
; %bb.165:                              ;   in Loop: Header=BB219_10 Depth=1
	v_and_b32_e32 v35, 7, v35
	v_lshrrev_b32_e32 v41, 3, v88
	s_mov_b32 s43, exec_lo
	v_cmpx_gt_u32_e32 8, v88
; %bb.166:                              ;   in Loop: Header=BB219_10 Depth=1
	v_ffbh_u32_e32 v41, v35
	v_min_u32_e32 v41, 32, v41
	v_subrev_nc_u32_e32 v43, 28, v41
	v_sub_nc_u32_e32 v41, 29, v41
	v_lshlrev_b64 v[85:86], v43, v[35:36]
	v_and_b32_e32 v35, 7, v85
; %bb.167:                              ;   in Loop: Header=BB219_10 Depth=1
	s_or_b32 exec_lo, exec_lo, s43
	v_lshlrev_b32_e32 v43, 16, v87
	v_lshlrev_b32_e32 v35, 20, v35
	v_lshl_add_u32 v41, v41, 23, 0x3c000000
	v_mov_b32_e32 v85, v36
	v_and_b32_e32 v43, 0x80000000, v43
	v_or3_b32 v86, v35, v43, v41
.LBB219_168:                            ;   in Loop: Header=BB219_10 Depth=1
	s_or_b32 exec_lo, exec_lo, s42
.LBB219_169:                            ;   in Loop: Header=BB219_10 Depth=1
	s_or_b32 exec_lo, exec_lo, s41
.LBB219_170:                            ;   in Loop: Header=BB219_10 Depth=1
	s_or_b32 exec_lo, exec_lo, s4
	global_load_ushort v35, v[53:54], off offset:520
	v_mov_b32_e32 v89, 0
	v_mov_b32_e32 v87, 0
	;; [unrolled: 1-line block ×4, first 2 shown]
	s_waitcnt vmcnt(0)
	v_and_b32_e32 v91, 0xffff, v35
	v_cmp_ne_u16_sdwa s3, v35, v36 src0_sel:BYTE_0 src1_sel:DWORD
	s_and_saveexec_b32 s4, s3
	s_cbranch_execz .LBB219_178
; %bb.171:                              ;   in Loop: Header=BB219_10 Depth=1
	v_bfrev_b32_e32 v87, 1
	v_mov_b32_e32 v88, 0
	v_cmp_ne_u16_sdwa s3, v91, v117 src0_sel:BYTE_0 src1_sel:DWORD
	s_and_saveexec_b32 s41, s3
	s_cbranch_execz .LBB219_177
; %bb.172:                              ;   in Loop: Header=BB219_10 Depth=1
	v_mov_b32_e32 v87, 0x7f800001
	v_and_b32_e32 v43, 0x7f, v91
	v_mov_b32_e32 v88, 0
	s_mov_b32 s42, exec_lo
	v_cmpx_ne_u32_e32 0x7f, v43
	s_cbranch_execz .LBB219_176
; %bb.173:                              ;   in Loop: Header=BB219_10 Depth=1
	v_and_b32_e32 v35, 7, v91
	s_waitcnt lgkmcnt(0)
	v_lshrrev_b32_e32 v41, 3, v43
	s_mov_b32 s43, exec_lo
	v_cmpx_gt_u32_e32 8, v43
; %bb.174:                              ;   in Loop: Header=BB219_10 Depth=1
	v_ffbh_u32_e32 v41, v35
	v_min_u32_e32 v41, 32, v41
	v_subrev_nc_u32_e32 v43, 28, v41
	v_sub_nc_u32_e32 v41, 29, v41
	v_lshlrev_b64 v[87:88], v43, v[35:36]
	v_and_b32_e32 v35, 7, v87
; %bb.175:                              ;   in Loop: Header=BB219_10 Depth=1
	s_or_b32 exec_lo, exec_lo, s43
	v_lshlrev_b32_e32 v43, 24, v91
	v_lshlrev_b32_e32 v35, 20, v35
	v_lshl_add_u32 v41, v41, 23, 0x3c000000
	v_and_b32_e32 v43, 0x80000000, v43
	v_or3_b32 v35, v35, v43, v41
	v_mov_b32_e32 v88, v36
	v_mov_b32_e32 v87, v35
.LBB219_176:                            ;   in Loop: Header=BB219_10 Depth=1
	s_or_b32 exec_lo, exec_lo, s42
.LBB219_177:                            ;   in Loop: Header=BB219_10 Depth=1
	s_or_b32 exec_lo, exec_lo, s41
.LBB219_178:                            ;   in Loop: Header=BB219_10 Depth=1
	s_or_b32 exec_lo, exec_lo, s4
	v_cmp_ne_u16_sdwa s3, v91, v36 src0_sel:BYTE_1 src1_sel:DWORD
	s_and_saveexec_b32 s4, s3
	s_cbranch_execz .LBB219_186
; %bb.179:                              ;   in Loop: Header=BB219_10 Depth=1
	s_waitcnt lgkmcnt(0)
	v_mov_b32_e32 v41, v36
	v_mov_b32_e32 v90, v42
	v_cmp_ne_u16_sdwa s3, v91, v117 src0_sel:BYTE_1 src1_sel:DWORD
	v_mov_b32_e32 v89, v41
	s_and_saveexec_b32 s41, s3
	s_cbranch_execz .LBB219_185
; %bb.180:                              ;   in Loop: Header=BB219_10 Depth=1
	v_and_b32_sdwa v35, v118, v91 dst_sel:DWORD dst_unused:UNUSED_PAD src0_sel:DWORD src1_sel:BYTE_1
	v_mov_b32_e32 v43, v36
	v_mov_b32_e32 v90, v44
	s_mov_b32 s42, exec_lo
	v_and_b32_e32 v92, 0x7f, v35
	v_mov_b32_e32 v89, v43
	v_cmpx_ne_u32_e32 0x7f, v92
	s_cbranch_execz .LBB219_184
; %bb.181:                              ;   in Loop: Header=BB219_10 Depth=1
	v_and_b32_e32 v35, 7, v35
	v_lshrrev_b32_e32 v41, 3, v92
	s_mov_b32 s43, exec_lo
	v_cmpx_gt_u32_e32 8, v92
; %bb.182:                              ;   in Loop: Header=BB219_10 Depth=1
	v_ffbh_u32_e32 v41, v35
	v_min_u32_e32 v41, 32, v41
	v_subrev_nc_u32_e32 v43, 28, v41
	v_sub_nc_u32_e32 v41, 29, v41
	v_lshlrev_b64 v[89:90], v43, v[35:36]
	v_and_b32_e32 v35, 7, v89
; %bb.183:                              ;   in Loop: Header=BB219_10 Depth=1
	s_or_b32 exec_lo, exec_lo, s43
	v_lshlrev_b32_e32 v43, 16, v91
	v_lshlrev_b32_e32 v35, 20, v35
	v_lshl_add_u32 v41, v41, 23, 0x3c000000
	v_mov_b32_e32 v89, v36
	v_and_b32_e32 v43, 0x80000000, v43
	v_or3_b32 v90, v35, v43, v41
.LBB219_184:                            ;   in Loop: Header=BB219_10 Depth=1
	s_or_b32 exec_lo, exec_lo, s42
.LBB219_185:                            ;   in Loop: Header=BB219_10 Depth=1
	s_or_b32 exec_lo, exec_lo, s41
.LBB219_186:                            ;   in Loop: Header=BB219_10 Depth=1
	s_or_b32 exec_lo, exec_lo, s4
	global_load_ushort v35, v[53:54], off offset:524
	v_mov_b32_e32 v93, 0
	v_mov_b32_e32 v91, 0
	;; [unrolled: 1-line block ×4, first 2 shown]
	s_waitcnt vmcnt(0)
	v_and_b32_e32 v95, 0xffff, v35
	v_cmp_ne_u16_sdwa s3, v35, v36 src0_sel:BYTE_0 src1_sel:DWORD
	s_and_saveexec_b32 s4, s3
	s_cbranch_execz .LBB219_194
; %bb.187:                              ;   in Loop: Header=BB219_10 Depth=1
	v_bfrev_b32_e32 v91, 1
	v_mov_b32_e32 v92, 0
	v_cmp_ne_u16_sdwa s3, v95, v117 src0_sel:BYTE_0 src1_sel:DWORD
	s_and_saveexec_b32 s41, s3
	s_cbranch_execz .LBB219_193
; %bb.188:                              ;   in Loop: Header=BB219_10 Depth=1
	v_mov_b32_e32 v91, 0x7f800001
	v_and_b32_e32 v43, 0x7f, v95
	v_mov_b32_e32 v92, 0
	s_mov_b32 s42, exec_lo
	v_cmpx_ne_u32_e32 0x7f, v43
	s_cbranch_execz .LBB219_192
; %bb.189:                              ;   in Loop: Header=BB219_10 Depth=1
	v_and_b32_e32 v35, 7, v95
	s_waitcnt lgkmcnt(0)
	v_lshrrev_b32_e32 v41, 3, v43
	s_mov_b32 s43, exec_lo
	v_cmpx_gt_u32_e32 8, v43
; %bb.190:                              ;   in Loop: Header=BB219_10 Depth=1
	v_ffbh_u32_e32 v41, v35
	v_min_u32_e32 v41, 32, v41
	v_subrev_nc_u32_e32 v43, 28, v41
	v_sub_nc_u32_e32 v41, 29, v41
	v_lshlrev_b64 v[91:92], v43, v[35:36]
	v_and_b32_e32 v35, 7, v91
; %bb.191:                              ;   in Loop: Header=BB219_10 Depth=1
	s_or_b32 exec_lo, exec_lo, s43
	v_lshlrev_b32_e32 v43, 24, v95
	v_lshlrev_b32_e32 v35, 20, v35
	v_lshl_add_u32 v41, v41, 23, 0x3c000000
	v_and_b32_e32 v43, 0x80000000, v43
	v_or3_b32 v35, v35, v43, v41
	v_mov_b32_e32 v92, v36
	v_mov_b32_e32 v91, v35
.LBB219_192:                            ;   in Loop: Header=BB219_10 Depth=1
	s_or_b32 exec_lo, exec_lo, s42
.LBB219_193:                            ;   in Loop: Header=BB219_10 Depth=1
	s_or_b32 exec_lo, exec_lo, s41
.LBB219_194:                            ;   in Loop: Header=BB219_10 Depth=1
	s_or_b32 exec_lo, exec_lo, s4
	v_cmp_ne_u16_sdwa s3, v95, v36 src0_sel:BYTE_1 src1_sel:DWORD
	s_and_saveexec_b32 s4, s3
	s_cbranch_execz .LBB219_202
; %bb.195:                              ;   in Loop: Header=BB219_10 Depth=1
	s_waitcnt lgkmcnt(0)
	v_mov_b32_e32 v41, v36
	v_mov_b32_e32 v94, v42
	v_cmp_ne_u16_sdwa s3, v95, v117 src0_sel:BYTE_1 src1_sel:DWORD
	v_mov_b32_e32 v93, v41
	s_and_saveexec_b32 s41, s3
	s_cbranch_execz .LBB219_201
; %bb.196:                              ;   in Loop: Header=BB219_10 Depth=1
	v_and_b32_sdwa v35, v118, v95 dst_sel:DWORD dst_unused:UNUSED_PAD src0_sel:DWORD src1_sel:BYTE_1
	v_mov_b32_e32 v43, v36
	v_mov_b32_e32 v94, v44
	s_mov_b32 s42, exec_lo
	v_and_b32_e32 v96, 0x7f, v35
	v_mov_b32_e32 v93, v43
	v_cmpx_ne_u32_e32 0x7f, v96
	s_cbranch_execz .LBB219_200
; %bb.197:                              ;   in Loop: Header=BB219_10 Depth=1
	v_and_b32_e32 v35, 7, v35
	v_lshrrev_b32_e32 v41, 3, v96
	s_mov_b32 s43, exec_lo
	v_cmpx_gt_u32_e32 8, v96
; %bb.198:                              ;   in Loop: Header=BB219_10 Depth=1
	v_ffbh_u32_e32 v41, v35
	v_min_u32_e32 v41, 32, v41
	v_subrev_nc_u32_e32 v43, 28, v41
	v_sub_nc_u32_e32 v41, 29, v41
	v_lshlrev_b64 v[93:94], v43, v[35:36]
	v_and_b32_e32 v35, 7, v93
; %bb.199:                              ;   in Loop: Header=BB219_10 Depth=1
	s_or_b32 exec_lo, exec_lo, s43
	v_lshlrev_b32_e32 v43, 16, v95
	v_lshlrev_b32_e32 v35, 20, v35
	v_lshl_add_u32 v41, v41, 23, 0x3c000000
	v_mov_b32_e32 v93, v36
	v_and_b32_e32 v43, 0x80000000, v43
	v_or3_b32 v94, v35, v43, v41
.LBB219_200:                            ;   in Loop: Header=BB219_10 Depth=1
	s_or_b32 exec_lo, exec_lo, s42
.LBB219_201:                            ;   in Loop: Header=BB219_10 Depth=1
	s_or_b32 exec_lo, exec_lo, s41
.LBB219_202:                            ;   in Loop: Header=BB219_10 Depth=1
	s_or_b32 exec_lo, exec_lo, s4
	global_load_ushort v35, v[53:54], off offset:768
	v_mov_b32_e32 v97, 0
	v_mov_b32_e32 v95, 0
	;; [unrolled: 1-line block ×4, first 2 shown]
	s_waitcnt vmcnt(0)
	v_and_b32_e32 v99, 0xffff, v35
	v_cmp_ne_u16_sdwa s3, v35, v36 src0_sel:BYTE_0 src1_sel:DWORD
	s_and_saveexec_b32 s4, s3
	s_cbranch_execz .LBB219_210
; %bb.203:                              ;   in Loop: Header=BB219_10 Depth=1
	v_bfrev_b32_e32 v95, 1
	v_mov_b32_e32 v96, 0
	v_cmp_ne_u16_sdwa s3, v99, v117 src0_sel:BYTE_0 src1_sel:DWORD
	s_and_saveexec_b32 s41, s3
	s_cbranch_execz .LBB219_209
; %bb.204:                              ;   in Loop: Header=BB219_10 Depth=1
	v_mov_b32_e32 v95, 0x7f800001
	v_and_b32_e32 v43, 0x7f, v99
	v_mov_b32_e32 v96, 0
	s_mov_b32 s42, exec_lo
	v_cmpx_ne_u32_e32 0x7f, v43
	s_cbranch_execz .LBB219_208
; %bb.205:                              ;   in Loop: Header=BB219_10 Depth=1
	v_and_b32_e32 v35, 7, v99
	s_waitcnt lgkmcnt(0)
	v_lshrrev_b32_e32 v41, 3, v43
	s_mov_b32 s43, exec_lo
	v_cmpx_gt_u32_e32 8, v43
; %bb.206:                              ;   in Loop: Header=BB219_10 Depth=1
	v_ffbh_u32_e32 v41, v35
	v_min_u32_e32 v41, 32, v41
	v_subrev_nc_u32_e32 v43, 28, v41
	v_sub_nc_u32_e32 v41, 29, v41
	v_lshlrev_b64 v[95:96], v43, v[35:36]
	v_and_b32_e32 v35, 7, v95
; %bb.207:                              ;   in Loop: Header=BB219_10 Depth=1
	s_or_b32 exec_lo, exec_lo, s43
	v_lshlrev_b32_e32 v43, 24, v99
	v_lshlrev_b32_e32 v35, 20, v35
	v_lshl_add_u32 v41, v41, 23, 0x3c000000
	v_and_b32_e32 v43, 0x80000000, v43
	v_or3_b32 v35, v35, v43, v41
	v_mov_b32_e32 v96, v36
	v_mov_b32_e32 v95, v35
.LBB219_208:                            ;   in Loop: Header=BB219_10 Depth=1
	s_or_b32 exec_lo, exec_lo, s42
.LBB219_209:                            ;   in Loop: Header=BB219_10 Depth=1
	s_or_b32 exec_lo, exec_lo, s41
.LBB219_210:                            ;   in Loop: Header=BB219_10 Depth=1
	s_or_b32 exec_lo, exec_lo, s4
	v_cmp_ne_u16_sdwa s3, v99, v36 src0_sel:BYTE_1 src1_sel:DWORD
	s_and_saveexec_b32 s4, s3
	s_cbranch_execz .LBB219_218
; %bb.211:                              ;   in Loop: Header=BB219_10 Depth=1
	s_waitcnt lgkmcnt(0)
	v_mov_b32_e32 v41, v36
	v_mov_b32_e32 v98, v42
	v_cmp_ne_u16_sdwa s3, v99, v117 src0_sel:BYTE_1 src1_sel:DWORD
	v_mov_b32_e32 v97, v41
	s_and_saveexec_b32 s41, s3
	s_cbranch_execz .LBB219_217
; %bb.212:                              ;   in Loop: Header=BB219_10 Depth=1
	v_and_b32_sdwa v35, v118, v99 dst_sel:DWORD dst_unused:UNUSED_PAD src0_sel:DWORD src1_sel:BYTE_1
	v_mov_b32_e32 v43, v36
	v_mov_b32_e32 v98, v44
	s_mov_b32 s42, exec_lo
	v_and_b32_e32 v100, 0x7f, v35
	v_mov_b32_e32 v97, v43
	v_cmpx_ne_u32_e32 0x7f, v100
	s_cbranch_execz .LBB219_216
; %bb.213:                              ;   in Loop: Header=BB219_10 Depth=1
	v_and_b32_e32 v35, 7, v35
	v_lshrrev_b32_e32 v41, 3, v100
	s_mov_b32 s43, exec_lo
	v_cmpx_gt_u32_e32 8, v100
; %bb.214:                              ;   in Loop: Header=BB219_10 Depth=1
	v_ffbh_u32_e32 v41, v35
	v_min_u32_e32 v41, 32, v41
	v_subrev_nc_u32_e32 v43, 28, v41
	v_sub_nc_u32_e32 v41, 29, v41
	v_lshlrev_b64 v[97:98], v43, v[35:36]
	v_and_b32_e32 v35, 7, v97
; %bb.215:                              ;   in Loop: Header=BB219_10 Depth=1
	s_or_b32 exec_lo, exec_lo, s43
	v_lshlrev_b32_e32 v43, 16, v99
	v_lshlrev_b32_e32 v35, 20, v35
	v_lshl_add_u32 v41, v41, 23, 0x3c000000
	v_mov_b32_e32 v97, v36
	v_and_b32_e32 v43, 0x80000000, v43
	v_or3_b32 v98, v35, v43, v41
.LBB219_216:                            ;   in Loop: Header=BB219_10 Depth=1
	s_or_b32 exec_lo, exec_lo, s42
.LBB219_217:                            ;   in Loop: Header=BB219_10 Depth=1
	s_or_b32 exec_lo, exec_lo, s41
.LBB219_218:                            ;   in Loop: Header=BB219_10 Depth=1
	s_or_b32 exec_lo, exec_lo, s4
	global_load_ushort v35, v[53:54], off offset:772
	v_mov_b32_e32 v101, 0
	v_mov_b32_e32 v99, 0
	v_mov_b32_e32 v102, 0
	v_mov_b32_e32 v100, 0
	s_waitcnt vmcnt(0)
	v_and_b32_e32 v103, 0xffff, v35
	v_cmp_ne_u16_sdwa s3, v35, v36 src0_sel:BYTE_0 src1_sel:DWORD
	s_and_saveexec_b32 s4, s3
	s_cbranch_execz .LBB219_226
; %bb.219:                              ;   in Loop: Header=BB219_10 Depth=1
	v_bfrev_b32_e32 v99, 1
	v_mov_b32_e32 v100, 0
	v_cmp_ne_u16_sdwa s3, v103, v117 src0_sel:BYTE_0 src1_sel:DWORD
	s_and_saveexec_b32 s41, s3
	s_cbranch_execz .LBB219_225
; %bb.220:                              ;   in Loop: Header=BB219_10 Depth=1
	v_mov_b32_e32 v99, 0x7f800001
	v_and_b32_e32 v43, 0x7f, v103
	v_mov_b32_e32 v100, 0
	s_mov_b32 s42, exec_lo
	v_cmpx_ne_u32_e32 0x7f, v43
	s_cbranch_execz .LBB219_224
; %bb.221:                              ;   in Loop: Header=BB219_10 Depth=1
	v_and_b32_e32 v35, 7, v103
	s_waitcnt lgkmcnt(0)
	v_lshrrev_b32_e32 v41, 3, v43
	s_mov_b32 s43, exec_lo
	v_cmpx_gt_u32_e32 8, v43
; %bb.222:                              ;   in Loop: Header=BB219_10 Depth=1
	v_ffbh_u32_e32 v41, v35
	v_min_u32_e32 v41, 32, v41
	v_subrev_nc_u32_e32 v43, 28, v41
	v_sub_nc_u32_e32 v41, 29, v41
	v_lshlrev_b64 v[99:100], v43, v[35:36]
	v_and_b32_e32 v35, 7, v99
; %bb.223:                              ;   in Loop: Header=BB219_10 Depth=1
	s_or_b32 exec_lo, exec_lo, s43
	v_lshlrev_b32_e32 v43, 24, v103
	v_lshlrev_b32_e32 v35, 20, v35
	v_lshl_add_u32 v41, v41, 23, 0x3c000000
	v_and_b32_e32 v43, 0x80000000, v43
	v_or3_b32 v35, v35, v43, v41
	v_mov_b32_e32 v100, v36
	v_mov_b32_e32 v99, v35
.LBB219_224:                            ;   in Loop: Header=BB219_10 Depth=1
	s_or_b32 exec_lo, exec_lo, s42
.LBB219_225:                            ;   in Loop: Header=BB219_10 Depth=1
	s_or_b32 exec_lo, exec_lo, s41
.LBB219_226:                            ;   in Loop: Header=BB219_10 Depth=1
	s_or_b32 exec_lo, exec_lo, s4
	v_cmp_ne_u16_sdwa s3, v103, v36 src0_sel:BYTE_1 src1_sel:DWORD
	s_and_saveexec_b32 s4, s3
	s_cbranch_execz .LBB219_234
; %bb.227:                              ;   in Loop: Header=BB219_10 Depth=1
	s_waitcnt lgkmcnt(0)
	v_mov_b32_e32 v41, v36
	v_mov_b32_e32 v102, v42
	v_cmp_ne_u16_sdwa s3, v103, v117 src0_sel:BYTE_1 src1_sel:DWORD
	v_mov_b32_e32 v101, v41
	s_and_saveexec_b32 s41, s3
	s_cbranch_execz .LBB219_233
; %bb.228:                              ;   in Loop: Header=BB219_10 Depth=1
	v_and_b32_sdwa v35, v118, v103 dst_sel:DWORD dst_unused:UNUSED_PAD src0_sel:DWORD src1_sel:BYTE_1
	v_mov_b32_e32 v43, v36
	v_mov_b32_e32 v102, v44
	s_mov_b32 s42, exec_lo
	v_and_b32_e32 v104, 0x7f, v35
	v_mov_b32_e32 v101, v43
	v_cmpx_ne_u32_e32 0x7f, v104
	s_cbranch_execz .LBB219_232
; %bb.229:                              ;   in Loop: Header=BB219_10 Depth=1
	v_and_b32_e32 v35, 7, v35
	v_lshrrev_b32_e32 v41, 3, v104
	s_mov_b32 s43, exec_lo
	v_cmpx_gt_u32_e32 8, v104
; %bb.230:                              ;   in Loop: Header=BB219_10 Depth=1
	v_ffbh_u32_e32 v41, v35
	v_min_u32_e32 v41, 32, v41
	v_subrev_nc_u32_e32 v43, 28, v41
	v_sub_nc_u32_e32 v41, 29, v41
	v_lshlrev_b64 v[101:102], v43, v[35:36]
	v_and_b32_e32 v35, 7, v101
; %bb.231:                              ;   in Loop: Header=BB219_10 Depth=1
	s_or_b32 exec_lo, exec_lo, s43
	v_lshlrev_b32_e32 v43, 16, v103
	v_lshlrev_b32_e32 v35, 20, v35
	v_lshl_add_u32 v41, v41, 23, 0x3c000000
	v_mov_b32_e32 v101, v36
	v_and_b32_e32 v43, 0x80000000, v43
	v_or3_b32 v102, v35, v43, v41
.LBB219_232:                            ;   in Loop: Header=BB219_10 Depth=1
	s_or_b32 exec_lo, exec_lo, s42
.LBB219_233:                            ;   in Loop: Header=BB219_10 Depth=1
	s_or_b32 exec_lo, exec_lo, s41
.LBB219_234:                            ;   in Loop: Header=BB219_10 Depth=1
	s_or_b32 exec_lo, exec_lo, s4
	global_load_ushort v35, v[53:54], off offset:776
	v_mov_b32_e32 v105, 0
	v_mov_b32_e32 v103, 0
	;; [unrolled: 1-line block ×4, first 2 shown]
	s_waitcnt vmcnt(0)
	v_and_b32_e32 v107, 0xffff, v35
	v_cmp_ne_u16_sdwa s3, v35, v36 src0_sel:BYTE_0 src1_sel:DWORD
	s_and_saveexec_b32 s4, s3
	s_cbranch_execz .LBB219_242
; %bb.235:                              ;   in Loop: Header=BB219_10 Depth=1
	v_bfrev_b32_e32 v103, 1
	v_mov_b32_e32 v104, 0
	v_cmp_ne_u16_sdwa s3, v107, v117 src0_sel:BYTE_0 src1_sel:DWORD
	s_and_saveexec_b32 s41, s3
	s_cbranch_execz .LBB219_241
; %bb.236:                              ;   in Loop: Header=BB219_10 Depth=1
	v_mov_b32_e32 v103, 0x7f800001
	v_and_b32_e32 v43, 0x7f, v107
	v_mov_b32_e32 v104, 0
	s_mov_b32 s42, exec_lo
	v_cmpx_ne_u32_e32 0x7f, v43
	s_cbranch_execz .LBB219_240
; %bb.237:                              ;   in Loop: Header=BB219_10 Depth=1
	v_and_b32_e32 v35, 7, v107
	s_waitcnt lgkmcnt(0)
	v_lshrrev_b32_e32 v41, 3, v43
	s_mov_b32 s43, exec_lo
	v_cmpx_gt_u32_e32 8, v43
; %bb.238:                              ;   in Loop: Header=BB219_10 Depth=1
	v_ffbh_u32_e32 v41, v35
	v_min_u32_e32 v41, 32, v41
	v_subrev_nc_u32_e32 v43, 28, v41
	v_sub_nc_u32_e32 v41, 29, v41
	v_lshlrev_b64 v[103:104], v43, v[35:36]
	v_and_b32_e32 v35, 7, v103
; %bb.239:                              ;   in Loop: Header=BB219_10 Depth=1
	s_or_b32 exec_lo, exec_lo, s43
	v_lshlrev_b32_e32 v43, 24, v107
	v_lshlrev_b32_e32 v35, 20, v35
	v_lshl_add_u32 v41, v41, 23, 0x3c000000
	v_and_b32_e32 v43, 0x80000000, v43
	v_or3_b32 v35, v35, v43, v41
	v_mov_b32_e32 v104, v36
	v_mov_b32_e32 v103, v35
.LBB219_240:                            ;   in Loop: Header=BB219_10 Depth=1
	s_or_b32 exec_lo, exec_lo, s42
.LBB219_241:                            ;   in Loop: Header=BB219_10 Depth=1
	s_or_b32 exec_lo, exec_lo, s41
.LBB219_242:                            ;   in Loop: Header=BB219_10 Depth=1
	s_or_b32 exec_lo, exec_lo, s4
	v_cmp_ne_u16_sdwa s3, v107, v36 src0_sel:BYTE_1 src1_sel:DWORD
	s_and_saveexec_b32 s4, s3
	s_cbranch_execz .LBB219_250
; %bb.243:                              ;   in Loop: Header=BB219_10 Depth=1
	s_waitcnt lgkmcnt(0)
	v_mov_b32_e32 v41, v36
	v_mov_b32_e32 v106, v42
	v_cmp_ne_u16_sdwa s3, v107, v117 src0_sel:BYTE_1 src1_sel:DWORD
	v_mov_b32_e32 v105, v41
	s_and_saveexec_b32 s41, s3
	s_cbranch_execz .LBB219_249
; %bb.244:                              ;   in Loop: Header=BB219_10 Depth=1
	v_and_b32_sdwa v35, v118, v107 dst_sel:DWORD dst_unused:UNUSED_PAD src0_sel:DWORD src1_sel:BYTE_1
	v_mov_b32_e32 v43, v36
	v_mov_b32_e32 v106, v44
	s_mov_b32 s42, exec_lo
	v_and_b32_e32 v108, 0x7f, v35
	v_mov_b32_e32 v105, v43
	v_cmpx_ne_u32_e32 0x7f, v108
	s_cbranch_execz .LBB219_248
; %bb.245:                              ;   in Loop: Header=BB219_10 Depth=1
	v_and_b32_e32 v35, 7, v35
	v_lshrrev_b32_e32 v41, 3, v108
	s_mov_b32 s43, exec_lo
	v_cmpx_gt_u32_e32 8, v108
; %bb.246:                              ;   in Loop: Header=BB219_10 Depth=1
	v_ffbh_u32_e32 v41, v35
	v_min_u32_e32 v41, 32, v41
	v_subrev_nc_u32_e32 v43, 28, v41
	v_sub_nc_u32_e32 v41, 29, v41
	v_lshlrev_b64 v[105:106], v43, v[35:36]
	v_and_b32_e32 v35, 7, v105
; %bb.247:                              ;   in Loop: Header=BB219_10 Depth=1
	s_or_b32 exec_lo, exec_lo, s43
	v_lshlrev_b32_e32 v43, 16, v107
	v_lshlrev_b32_e32 v35, 20, v35
	v_lshl_add_u32 v41, v41, 23, 0x3c000000
	v_mov_b32_e32 v105, v36
	v_and_b32_e32 v43, 0x80000000, v43
	v_or3_b32 v106, v35, v43, v41
.LBB219_248:                            ;   in Loop: Header=BB219_10 Depth=1
	s_or_b32 exec_lo, exec_lo, s42
.LBB219_249:                            ;   in Loop: Header=BB219_10 Depth=1
	s_or_b32 exec_lo, exec_lo, s41
.LBB219_250:                            ;   in Loop: Header=BB219_10 Depth=1
	s_or_b32 exec_lo, exec_lo, s4
	global_load_ushort v35, v[53:54], off offset:780
	v_mov_b32_e32 v107, 0
	v_mov_b32_e32 v53, 0
	;; [unrolled: 1-line block ×4, first 2 shown]
	s_waitcnt vmcnt(0)
	v_and_b32_e32 v120, 0xffff, v35
	v_cmp_ne_u16_sdwa s3, v35, v36 src0_sel:BYTE_0 src1_sel:DWORD
	s_and_saveexec_b32 s4, s3
	s_cbranch_execz .LBB219_258
; %bb.251:                              ;   in Loop: Header=BB219_10 Depth=1
	v_bfrev_b32_e32 v53, 1
	v_mov_b32_e32 v54, 0
	v_cmp_ne_u16_sdwa s3, v120, v117 src0_sel:BYTE_0 src1_sel:DWORD
	s_and_saveexec_b32 s41, s3
	s_cbranch_execz .LBB219_257
; %bb.252:                              ;   in Loop: Header=BB219_10 Depth=1
	v_mov_b32_e32 v53, 0x7f800001
	v_and_b32_e32 v43, 0x7f, v120
	v_mov_b32_e32 v54, 0
	s_mov_b32 s42, exec_lo
	v_cmpx_ne_u32_e32 0x7f, v43
	s_cbranch_execz .LBB219_256
; %bb.253:                              ;   in Loop: Header=BB219_10 Depth=1
	v_and_b32_e32 v35, 7, v120
	s_waitcnt lgkmcnt(0)
	v_lshrrev_b32_e32 v41, 3, v43
	s_mov_b32 s43, exec_lo
	v_cmpx_gt_u32_e32 8, v43
; %bb.254:                              ;   in Loop: Header=BB219_10 Depth=1
	v_ffbh_u32_e32 v41, v35
	v_min_u32_e32 v41, 32, v41
	v_subrev_nc_u32_e32 v43, 28, v41
	v_sub_nc_u32_e32 v41, 29, v41
	v_lshlrev_b64 v[53:54], v43, v[35:36]
	v_and_b32_e32 v35, 7, v53
; %bb.255:                              ;   in Loop: Header=BB219_10 Depth=1
	s_or_b32 exec_lo, exec_lo, s43
	v_lshlrev_b32_e32 v43, 24, v120
	v_lshlrev_b32_e32 v35, 20, v35
	v_lshl_add_u32 v41, v41, 23, 0x3c000000
	v_and_b32_e32 v43, 0x80000000, v43
	v_or3_b32 v35, v35, v43, v41
	v_mov_b32_e32 v54, v36
	v_mov_b32_e32 v53, v35
.LBB219_256:                            ;   in Loop: Header=BB219_10 Depth=1
	s_or_b32 exec_lo, exec_lo, s42
.LBB219_257:                            ;   in Loop: Header=BB219_10 Depth=1
	s_or_b32 exec_lo, exec_lo, s41
.LBB219_258:                            ;   in Loop: Header=BB219_10 Depth=1
	s_or_b32 exec_lo, exec_lo, s4
	v_cmp_ne_u16_sdwa s3, v120, v36 src0_sel:BYTE_1 src1_sel:DWORD
	s_and_saveexec_b32 s4, s3
	s_cbranch_execz .LBB219_266
; %bb.259:                              ;   in Loop: Header=BB219_10 Depth=1
	s_waitcnt lgkmcnt(0)
	v_mov_b32_e32 v41, v36
	v_mov_b32_e32 v108, v42
	v_cmp_ne_u16_sdwa s3, v120, v117 src0_sel:BYTE_1 src1_sel:DWORD
	v_mov_b32_e32 v107, v41
	s_and_saveexec_b32 s41, s3
	s_cbranch_execz .LBB219_265
; %bb.260:                              ;   in Loop: Header=BB219_10 Depth=1
	v_and_b32_sdwa v35, v118, v120 dst_sel:DWORD dst_unused:UNUSED_PAD src0_sel:DWORD src1_sel:BYTE_1
	v_mov_b32_e32 v43, v36
	v_mov_b32_e32 v108, v44
	s_mov_b32 s42, exec_lo
	v_and_b32_e32 v121, 0x7f, v35
	v_mov_b32_e32 v107, v43
	v_cmpx_ne_u32_e32 0x7f, v121
	s_cbranch_execz .LBB219_264
; %bb.261:                              ;   in Loop: Header=BB219_10 Depth=1
	v_and_b32_e32 v35, 7, v35
	v_lshrrev_b32_e32 v41, 3, v121
	s_mov_b32 s43, exec_lo
	v_cmpx_gt_u32_e32 8, v121
; %bb.262:                              ;   in Loop: Header=BB219_10 Depth=1
	v_ffbh_u32_e32 v41, v35
	v_min_u32_e32 v41, 32, v41
	v_subrev_nc_u32_e32 v43, 28, v41
	v_sub_nc_u32_e32 v41, 29, v41
	v_lshlrev_b64 v[107:108], v43, v[35:36]
	v_and_b32_e32 v35, 7, v107
; %bb.263:                              ;   in Loop: Header=BB219_10 Depth=1
	s_or_b32 exec_lo, exec_lo, s43
	v_lshlrev_b32_e32 v43, 16, v120
	v_lshlrev_b32_e32 v35, 20, v35
	v_lshl_add_u32 v41, v41, 23, 0x3c000000
	v_mov_b32_e32 v107, v36
	v_and_b32_e32 v43, 0x80000000, v43
	v_or3_b32 v108, v35, v43, v41
.LBB219_264:                            ;   in Loop: Header=BB219_10 Depth=1
	s_or_b32 exec_lo, exec_lo, s42
.LBB219_265:                            ;   in Loop: Header=BB219_10 Depth=1
	s_or_b32 exec_lo, exec_lo, s41
.LBB219_266:                            ;   in Loop: Header=BB219_10 Depth=1
	s_or_b32 exec_lo, exec_lo, s4
	v_or_b32_e32 v49, v51, v49
	v_or_b32_e32 v50, v52, v50
	;; [unrolled: 1-line block ×5, first 2 shown]
	v_mul_f32_e32 v47, s5, v49
	v_mul_f32_e32 v48, s40, v50
	v_or_b32_e32 v49, v57, v55
	v_mul_f32_e32 v46, s40, v46
	v_mul_f32_e32 v45, s5, v45
	;; [unrolled: 1-line block ×4, first 2 shown]
	v_or_b32_e32 v60, v62, v60
	v_or_b32_e32 v50, v61, v59
	v_mul_f32_e32 v51, s40, v51
	v_mul_f32_e32 v49, s5, v49
	v_fmac_f32_e32 v47, v1, v45
	v_fmac_f32_e32 v48, v2, v46
	v_or_b32_e32 v64, v66, v64
	v_or_b32_e32 v45, v65, v63
	v_mul_f32_e32 v46, s40, v60
	v_mul_f32_e32 v50, s5, v50
	v_fmac_f32_e32 v47, v5, v49
	v_fmac_f32_e32 v48, v6, v51
	;; [unrolled: 6-line block ×11, first 2 shown]
	v_or_b32_e32 v35, v106, v104
	s_waitcnt lgkmcnt(0)
	v_or_b32_e32 v41, v105, v103
	v_mul_f32_e32 v43, s40, v43
	v_mul_f32_e32 v45, s5, v45
	v_fmac_f32_e32 v47, v25, v46
	v_fmac_f32_e32 v48, v26, v51
	v_mul_f32_e32 v35, s40, v35
	v_mul_f32_e32 v41, s5, v41
	v_or_b32_e32 v46, v108, v54
	v_or_b32_e32 v49, v107, v53
	v_fmac_f32_e32 v47, v27, v45
	v_fmac_f32_e32 v48, v28, v43
	v_mul_f32_e32 v43, s40, v46
	v_mul_f32_e32 v45, s5, v49
	v_fmac_f32_e32 v47, v29, v41
	v_fmac_f32_e32 v48, v30, v35
	;; [unrolled: 1-line block ×4, first 2 shown]
	v_add_f32_e32 v35, v47, v48
	ds_bpermute_b32 v41, v114, v35
	s_and_saveexec_b32 s4, vcc_lo
	s_cbranch_execz .LBB219_9
; %bb.267:                              ;   in Loop: Header=BB219_10 Depth=1
	v_add_nc_u32_e32 v43, s16, v115
	s_waitcnt lgkmcnt(0)
	v_add_f32_e32 v35, v35, v41
	v_cmp_gt_i32_e64 s3, s27, v115
	v_cvt_f32_i32_e32 v43, v43
	v_mul_f32_e32 v43, s36, v43
	v_cndmask_b32_e64 v41, 0, v43, s2
	v_max_f32_e32 v43, v113, v113
	v_fmac_f32_e32 v41, s37, v35
	v_max_f32_e32 v35, v43, v41
	v_cndmask_b32_e64 v41, 0, v41, s3
	v_cndmask_b32_e64 v113, v113, v35, s3
	ds_write_b32 v116, v41
	s_branch .LBB219_9
.LBB219_268:
	s_or_b32 exec_lo, exec_lo, s17
.LBB219_269:
	s_or_b32 exec_lo, exec_lo, s38
	v_xor_b32_e32 v1, 16, v111
	v_xor_b32_e32 v3, 8, v111
	v_max_f32_e32 v5, v113, v113
	v_xor_b32_e32 v6, 2, v111
	v_and_b32_e32 v25, 31, v0
	v_cmp_lt_i32_e32 vcc_lo, v1, v112
	v_cndmask_b32_e32 v1, v111, v1, vcc_lo
	v_cmp_lt_i32_e32 vcc_lo, v3, v112
	v_lshlrev_b32_e32 v2, 2, v1
	v_cndmask_b32_e32 v3, v111, v3, vcc_lo
	ds_bpermute_b32 v1, v2, v113
	v_lshlrev_b32_e32 v4, 2, v3
	s_waitcnt lgkmcnt(0)
	v_max_f32_e32 v1, v1, v1
	v_max_f32_e32 v1, v5, v1
	v_xor_b32_e32 v5, 4, v111
	ds_bpermute_b32 v3, v4, v1
	v_cmp_lt_i32_e32 vcc_lo, v5, v112
	v_cndmask_b32_e32 v5, v111, v5, vcc_lo
	v_cmp_lt_i32_e32 vcc_lo, v6, v112
	v_lshlrev_b32_e32 v5, 2, v5
	v_cndmask_b32_e32 v6, v111, v6, vcc_lo
	v_cmp_eq_u32_e32 vcc_lo, 0, v25
	v_lshlrev_b32_e32 v26, 2, v6
	v_lshlrev_b32_e32 v6, 2, v109
	s_waitcnt lgkmcnt(0)
	v_max_f32_e32 v3, v3, v3
	v_max_f32_e32 v1, v1, v3
	ds_bpermute_b32 v3, v5, v1
	s_waitcnt lgkmcnt(0)
	v_max_f32_e32 v3, v3, v3
	v_max_f32_e32 v1, v1, v3
	ds_bpermute_b32 v3, v26, v1
	s_and_saveexec_b32 s2, vcc_lo
	s_cbranch_execz .LBB219_271
; %bb.270:
	s_waitcnt lgkmcnt(0)
	v_max_f32_e32 v3, v3, v3
	v_max_f32_e32 v1, v1, v1
	;; [unrolled: 1-line block ×3, first 2 shown]
	ds_write_b32 v6, v1 offset:256
.LBB219_271:
	s_or_b32 exec_lo, exec_lo, s2
	v_cmp_gt_u32_e64 s2, 4, v25
	v_mov_b32_e32 v1, 0xff7fffff
	v_lshlrev_b32_e32 v7, 2, v25
	s_waitcnt lgkmcnt(0)
	s_barrier
	buffer_gl0_inv
	s_and_saveexec_b32 s3, s2
; %bb.272:
	ds_read_b32 v1, v7 offset:256
; %bb.273:
	s_or_b32 exec_lo, exec_lo, s3
	s_waitcnt lgkmcnt(0)
	ds_bpermute_b32 v3, v26, v1
	v_xor_b32_e32 v8, 1, v111
	v_max_f32_e32 v1, v1, v1
	v_cmp_lt_i32_e64 s3, v8, v112
	v_cndmask_b32_e64 v8, v111, v8, s3
	s_sub_i32 s3, s11, s15
	s_lshl_b32 s3, s3, 4
	v_lshlrev_b32_e32 v27, 2, v8
	s_add_i32 s3, s3, s33
	v_mov_b32_e32 v8, 0
	s_min_i32 s3, s3, s27
	s_waitcnt lgkmcnt(0)
	v_max_f32_e32 v3, v3, v3
	s_sub_i32 s5, s3, s33
	v_cmp_gt_i32_e64 s3, s5, v0
	v_max_f32_e32 v1, v1, v3
	ds_bpermute_b32 v3, v27, v1
	s_waitcnt lgkmcnt(0)
	v_max_f32_e32 v3, v3, v3
	v_max_f32_e32 v1, v1, v3
	v_lshlrev_b32_e32 v3, 2, v36
	ds_bpermute_b32 v1, v3, v1
	v_lshl_add_u32 v3, v0, 2, 0x120
	s_and_saveexec_b32 s15, s3
	s_cbranch_execz .LBB219_277
; %bb.274:
	v_lshl_add_u32 v9, v0, 2, 0x120
	v_mov_b32_e32 v8, 0
	v_mov_b32_e32 v10, v0
	s_mov_b32 s16, 0
	.p2align	6
.LBB219_275:                            ; =>This Inner Loop Header: Depth=1
	ds_read_b32 v11, v9
	v_add_nc_u32_e32 v10, 0x80, v10
	v_cmp_le_i32_e64 s4, s5, v10
	s_or_b32 s16, s4, s16
	s_waitcnt lgkmcnt(0)
	v_sub_f32_e32 v11, v11, v1
	v_mul_f32_e32 v11, 0x3fb8aa3b, v11
	v_exp_f32_e32 v11, v11
	ds_write_b32 v9, v11
	v_add_f32_e32 v8, v8, v11
	v_add_nc_u32_e32 v9, 0x200, v9
	s_andn2_b32 exec_lo, exec_lo, s16
	s_cbranch_execnz .LBB219_275
; %bb.276:
	s_or_b32 exec_lo, exec_lo, s16
.LBB219_277:
	s_or_b32 exec_lo, exec_lo, s15
	ds_bpermute_b32 v2, v2, v8
	s_waitcnt lgkmcnt(0)
	v_add_f32_e32 v2, v8, v2
	ds_bpermute_b32 v4, v4, v2
	s_waitcnt lgkmcnt(0)
	v_add_f32_e32 v2, v2, v4
	;; [unrolled: 3-line block ×5, first 2 shown]
	s_and_saveexec_b32 s4, vcc_lo
; %bb.278:
	ds_write_b32 v6, v2 offset:272
; %bb.279:
	s_or_b32 exec_lo, exec_lo, s4
	s_waitcnt lgkmcnt(0)
	s_barrier
	buffer_gl0_inv
	s_and_saveexec_b32 s4, s2
; %bb.280:
	ds_read_b32 v2, v7 offset:272
; %bb.281:
	s_or_b32 exec_lo, exec_lo, s4
	s_waitcnt lgkmcnt(0)
	ds_bpermute_b32 v4, v26, v2
	v_lshlrev_b32_e32 v5, 2, v111
	s_waitcnt lgkmcnt(0)
	v_add_f32_e32 v2, v2, v4
	ds_bpermute_b32 v4, v27, v2
	s_waitcnt lgkmcnt(0)
	v_add_f32_e32 v2, v2, v4
	v_and_b32_e32 v4, 0xffffff80, v5
	ds_bpermute_b32 v2, v4, v2
	s_and_saveexec_b32 s2, s3
	s_cbranch_execz .LBB219_284
; %bb.282:
	s_waitcnt lgkmcnt(0)
	v_add_f32_e32 v4, 0x358637bd, v2
	s_mov_b32 s3, 0
	v_div_scale_f32 v5, null, v4, v4, 1.0
	v_div_scale_f32 v8, vcc_lo, 1.0, v4, 1.0
	v_rcp_f32_e32 v6, v5
	v_fma_f32 v7, -v5, v6, 1.0
	v_fmac_f32_e32 v6, v7, v6
	v_mul_f32_e32 v7, v8, v6
	v_fma_f32 v9, -v5, v7, v8
	v_fmac_f32_e32 v7, v9, v6
	v_fma_f32 v5, -v5, v7, v8
	v_div_fmas_f32 v5, v5, v6, v7
	v_div_fixup_f32 v4, v5, v4, 1.0
	v_mov_b32_e32 v5, v0
.LBB219_283:                            ; =>This Inner Loop Header: Depth=1
	ds_read_b32 v6, v3
	v_add_nc_u32_e32 v5, 0x80, v5
	v_cmp_le_i32_e32 vcc_lo, s5, v5
	s_or_b32 s3, vcc_lo, s3
	s_waitcnt lgkmcnt(0)
	v_mul_f32_e32 v6, v4, v6
	ds_write_b32 v3, v6
	v_add_nc_u32_e32 v3, 0x200, v3
	s_andn2_b32 exec_lo, exec_lo, s3
	s_cbranch_execnz .LBB219_283
.LBB219_284:
	s_or_b32 exec_lo, exec_lo, s2
	s_mul_i32 s2, s7, s26
	s_mov_b32 s4, exec_lo
	s_mul_i32 s2, s2, s9
	s_waitcnt lgkmcnt(0)
	s_barrier
	buffer_gl0_inv
	v_cmpx_eq_u32_e32 0, v0
	s_cbranch_execz .LBB219_286
; %bb.285:
	s_ashr_i32 s3, s2, 31
	s_mul_i32 s36, s7, s6
	s_lshl_b64 s[16:17], s[2:3], 2
	v_mov_b32_e32 v3, 0
	s_add_u32 s3, s22, s16
	s_addc_u32 s5, s23, s17
	s_ashr_i32 s37, s36, 31
	s_lshl_b64 s[22:23], s[36:37], 2
	s_add_u32 s3, s3, s22
	s_addc_u32 s5, s5, s23
	s_ashr_i32 s9, s8, 31
	s_lshl_b64 s[36:37], s[8:9], 2
	s_add_u32 s38, s3, s36
	s_addc_u32 s39, s5, s37
	s_add_u32 s3, s20, s16
	s_addc_u32 s5, s21, s17
	;; [unrolled: 2-line block ×4, first 2 shown]
	global_store_dword v3, v1, s[38:39]
	global_store_dword v3, v2, s[16:17]
.LBB219_286:
	s_or_b32 exec_lo, exec_lo, s4
	v_mov_b32_e32 v36, 0
	v_and_b32_e32 v28, 3, v0
	v_mov_b32_e32 v38, 0
	v_mov_b32_e32 v37, 0
	;; [unrolled: 1-line block ×7, first 2 shown]
	s_and_saveexec_b32 s3, s1
	s_cbranch_execz .LBB219_562
; %bb.287:
	s_load_dword s4, s[18:19], 0x0
	v_and_b32_e32 v1, 12, v110
	v_and_b32_e32 v2, 0x7c, v110
	v_lshl_add_u32 v4, v109, 4, s33
	s_ashr_i32 s1, s14, 31
	s_add_u32 s5, s34, s14
	v_lshlrev_b32_e32 v3, 4, v28
	v_add_co_u32 v7, s5, s5, v2
	v_add3_u32 v39, v4, v1, 3
	v_lshlrev_b64 v[1:2], 2, v[33:34]
	s_addc_u32 s1, s35, s1
	s_lshl_b64 s[14:15], s[30:31], 2
	s_add_i32 s12, s12, -1
	v_lshl_or_b32 v3, v109, 6, v3
	v_add_co_ci_u32_e64 v8, null, s1, 0, s5
	s_add_u32 s1, s28, s14
	s_addc_u32 s5, s29, s15
	v_add_co_u32 v9, vcc_lo, s1, v1
	v_mov_b32_e32 v6, 0
	v_add_nc_u32_e32 v34, 0x120, v3
	v_add_co_ci_u32_e64 v10, null, s5, v2, vcc_lo
	v_mov_b32_e32 v40, 0x80
	v_bfrev_b32_e32 v12, 1
	v_mov_b32_e32 v41, 0xffff
	v_mov_b32_e32 v14, 0x7f800001
	;; [unrolled: 1-line block ×13, first 2 shown]
	s_mov_b32 s5, s13
	s_waitcnt lgkmcnt(0)
	s_mov_b32 s9, s4
	s_mov_b32 s6, 0
	s_branch .LBB219_289
.LBB219_288:                            ;   in Loop: Header=BB219_289 Depth=1
	s_or_b32 exec_lo, exec_lo, s1
	s_waitcnt lgkmcnt(0)
	v_mul_f32_e32 v16, v1, v73
	v_mul_f32_e32 v17, v1, v71
	;; [unrolled: 1-line block ×8, first 2 shown]
	v_fmac_f32_e32 v16, v2, v72
	v_fmac_f32_e32 v17, v2, v70
	;; [unrolled: 1-line block ×16, first 2 shown]
	v_add_nc_u32_e32 v33, 4, v33
	v_fmac_f32_e32 v16, v4, v23
	v_fmac_f32_e32 v17, v4, v68
	;; [unrolled: 1-line block ×8, first 2 shown]
	v_cmp_le_i32_e32 vcc_lo, s11, v33
	v_add_co_u32 v9, s1, v9, 16
	v_add_f32_e32 v30, v30, v16
	v_add_f32_e32 v31, v31, v17
	;; [unrolled: 1-line block ×8, first 2 shown]
	v_add_nc_u32_e32 v39, 64, v39
	v_add_nc_u32_e32 v34, 0x100, v34
	v_add_co_ci_u32_e64 v10, null, 0, v10, s1
	s_or_b32 s6, vcc_lo, s6
	s_andn2_b32 exec_lo, exec_lo, s6
	s_cbranch_execz .LBB219_561
.LBB219_289:                            ; =>This Inner Loop Header: Depth=1
	global_load_dword v1, v[9:10], off
	v_mov_b32_e32 v19, 0
	v_mov_b32_e32 v17, 0
	v_mov_b32_e32 v20, 0
	v_mov_b32_e32 v18, 0
	s_waitcnt vmcnt(0)
	v_mad_i64_i32 v[15:16], null, v1, s5, v[7:8]
	ds_read_b128 v[1:4], v34
	global_load_dword v45, v[15:16], off
	s_waitcnt vmcnt(0)
	v_cmp_ne_u16_sdwa s13, v45, v6 src0_sel:BYTE_0 src1_sel:DWORD
	s_and_saveexec_b32 s1, s13
	s_cbranch_execz .LBB219_297
; %bb.290:                              ;   in Loop: Header=BB219_289 Depth=1
	v_bfrev_b32_e32 v17, 1
	v_mov_b32_e32 v18, 0
	v_cmp_ne_u16_sdwa s14, v45, v40 src0_sel:BYTE_0 src1_sel:DWORD
	s_and_saveexec_b32 s13, s14
	s_cbranch_execz .LBB219_296
; %bb.291:                              ;   in Loop: Header=BB219_289 Depth=1
	v_mov_b32_e32 v17, 0x7f800001
	v_and_b32_e32 v13, 0x7f, v45
	v_mov_b32_e32 v18, 0
	s_mov_b32 s14, exec_lo
	v_cmpx_ne_u32_e32 0x7f, v13
	s_cbranch_execz .LBB219_295
; %bb.292:                              ;   in Loop: Header=BB219_289 Depth=1
	v_and_b32_e32 v5, 7, v45
	v_lshrrev_b32_e32 v11, 3, v13
	s_mov_b32 s15, exec_lo
	v_cmpx_gt_u32_e32 8, v13
; %bb.293:                              ;   in Loop: Header=BB219_289 Depth=1
	v_ffbh_u32_e32 v11, v5
	v_min_u32_e32 v11, 32, v11
	v_subrev_nc_u32_e32 v13, 28, v11
	v_sub_nc_u32_e32 v11, 29, v11
	v_lshlrev_b64 v[17:18], v13, v[5:6]
	v_and_b32_e32 v5, 7, v17
; %bb.294:                              ;   in Loop: Header=BB219_289 Depth=1
	s_or_b32 exec_lo, exec_lo, s15
	v_lshlrev_b32_e32 v13, 24, v45
	v_lshlrev_b32_e32 v5, 20, v5
	v_lshl_add_u32 v11, v11, 23, 0x3c000000
	v_and_b32_e32 v13, 0x80000000, v13
	v_or3_b32 v5, v5, v13, v11
	v_mov_b32_e32 v18, v6
	v_mov_b32_e32 v17, v5
.LBB219_295:                            ;   in Loop: Header=BB219_289 Depth=1
	s_or_b32 exec_lo, exec_lo, s14
.LBB219_296:                            ;   in Loop: Header=BB219_289 Depth=1
	s_or_b32 exec_lo, exec_lo, s13
.LBB219_297:                            ;   in Loop: Header=BB219_289 Depth=1
	s_or_b32 exec_lo, exec_lo, s1
	v_cmp_ne_u16_sdwa s13, v45, v6 src0_sel:BYTE_1 src1_sel:DWORD
	s_and_saveexec_b32 s1, s13
	s_cbranch_execz .LBB219_305
; %bb.298:                              ;   in Loop: Header=BB219_289 Depth=1
	v_mov_b32_e32 v11, v6
	v_mov_b32_e32 v20, v12
	v_cmp_ne_u16_sdwa s14, v45, v40 src0_sel:BYTE_1 src1_sel:DWORD
	v_mov_b32_e32 v19, v11
	s_and_saveexec_b32 s13, s14
	s_cbranch_execz .LBB219_304
; %bb.299:                              ;   in Loop: Header=BB219_289 Depth=1
	v_and_b32_sdwa v5, v41, v45 dst_sel:DWORD dst_unused:UNUSED_PAD src0_sel:DWORD src1_sel:BYTE_1
	v_mov_b32_e32 v13, v6
	v_mov_b32_e32 v20, v14
	s_mov_b32 s14, exec_lo
	v_and_b32_e32 v21, 0x7f, v5
	v_mov_b32_e32 v19, v13
	v_cmpx_ne_u32_e32 0x7f, v21
	s_cbranch_execz .LBB219_303
; %bb.300:                              ;   in Loop: Header=BB219_289 Depth=1
	v_and_b32_e32 v5, 7, v5
	v_lshrrev_b32_e32 v11, 3, v21
	s_mov_b32 s15, exec_lo
	v_cmpx_gt_u32_e32 8, v21
; %bb.301:                              ;   in Loop: Header=BB219_289 Depth=1
	v_ffbh_u32_e32 v11, v5
	v_min_u32_e32 v11, 32, v11
	v_subrev_nc_u32_e32 v13, 28, v11
	v_sub_nc_u32_e32 v11, 29, v11
	v_lshlrev_b64 v[19:20], v13, v[5:6]
	v_and_b32_e32 v5, 7, v19
; %bb.302:                              ;   in Loop: Header=BB219_289 Depth=1
	s_or_b32 exec_lo, exec_lo, s15
	v_lshlrev_b32_e32 v13, 16, v45
	v_lshlrev_b32_e32 v5, 20, v5
	v_lshl_add_u32 v11, v11, 23, 0x3c000000
	v_mov_b32_e32 v19, v6
	v_and_b32_e32 v13, 0x80000000, v13
	v_or3_b32 v20, v5, v13, v11
.LBB219_303:                            ;   in Loop: Header=BB219_289 Depth=1
	s_or_b32 exec_lo, exec_lo, s14
.LBB219_304:                            ;   in Loop: Header=BB219_289 Depth=1
	s_or_b32 exec_lo, exec_lo, s13
.LBB219_305:                            ;   in Loop: Header=BB219_289 Depth=1
	s_or_b32 exec_lo, exec_lo, s1
	v_mov_b32_e32 v23, 0
	v_mov_b32_e32 v21, 0
	v_and_b32_sdwa v5, v45, v42 dst_sel:DWORD dst_unused:UNUSED_PAD src0_sel:WORD_1 src1_sel:DWORD
	v_mov_b32_e32 v24, 0
	v_mov_b32_e32 v22, 0
	s_mov_b32 s1, exec_lo
	v_cmpx_ne_u16_e32 0, v5
	s_cbranch_execz .LBB219_313
; %bb.306:                              ;   in Loop: Header=BB219_289 Depth=1
	v_bfrev_b32_e32 v21, 1
	v_mov_b32_e32 v22, 0
	s_mov_b32 s13, exec_lo
	v_cmpx_ne_u16_e32 0x80, v5
	s_cbranch_execz .LBB219_312
; %bb.307:                              ;   in Loop: Header=BB219_289 Depth=1
	v_mov_b32_e32 v21, 0x7f800001
	v_bfe_u32 v13, v45, 16, 7
	v_mov_b32_e32 v22, 0
	s_mov_b32 s14, exec_lo
	v_cmpx_ne_u32_e32 0x7f, v13
	s_cbranch_execz .LBB219_311
; %bb.308:                              ;   in Loop: Header=BB219_289 Depth=1
	v_and_b32_sdwa v5, v45, v43 dst_sel:DWORD dst_unused:UNUSED_PAD src0_sel:WORD_1 src1_sel:DWORD
	v_lshrrev_b32_e32 v11, 3, v13
	s_mov_b32 s15, exec_lo
	v_cmpx_gt_u32_e32 8, v13
; %bb.309:                              ;   in Loop: Header=BB219_289 Depth=1
	v_ffbh_u32_e32 v11, v5
	v_min_u32_e32 v11, 32, v11
	v_subrev_nc_u32_e32 v13, 28, v11
	v_sub_nc_u32_e32 v11, 29, v11
	v_lshlrev_b64 v[21:22], v13, v[5:6]
	v_and_b32_e32 v5, 7, v21
; %bb.310:                              ;   in Loop: Header=BB219_289 Depth=1
	s_or_b32 exec_lo, exec_lo, s15
	v_lshlrev_b32_sdwa v13, v44, v45 dst_sel:DWORD dst_unused:UNUSED_PAD src0_sel:DWORD src1_sel:WORD_1
	v_lshlrev_b32_e32 v5, 20, v5
	v_lshl_add_u32 v11, v11, 23, 0x3c000000
	v_and_b32_e32 v13, 0x80000000, v13
	v_or3_b32 v5, v5, v13, v11
	v_mov_b32_e32 v22, v6
	v_mov_b32_e32 v21, v5
.LBB219_311:                            ;   in Loop: Header=BB219_289 Depth=1
	s_or_b32 exec_lo, exec_lo, s14
.LBB219_312:                            ;   in Loop: Header=BB219_289 Depth=1
	s_or_b32 exec_lo, exec_lo, s13
.LBB219_313:                            ;   in Loop: Header=BB219_289 Depth=1
	s_or_b32 exec_lo, exec_lo, s1
	s_mov_b32 s1, exec_lo
	v_cmpx_lt_u32_e32 0xffffff, v45
	s_cbranch_execz .LBB219_321
; %bb.314:                              ;   in Loop: Header=BB219_289 Depth=1
	v_mov_b32_e32 v11, v6
	v_mov_b32_e32 v24, v12
	v_cmp_ne_u32_sdwa s14, v45, v40 src0_sel:BYTE_3 src1_sel:DWORD
	v_mov_b32_e32 v23, v11
	s_and_saveexec_b32 s13, s14
	s_cbranch_execz .LBB219_320
; %bb.315:                              ;   in Loop: Header=BB219_289 Depth=1
	v_mov_b32_e32 v13, v6
	v_mov_b32_e32 v24, v14
	v_bfe_u32 v46, v45, 24, 7
	s_mov_b32 s14, exec_lo
	v_mov_b32_e32 v23, v13
	v_cmpx_ne_u32_e32 0x7f, v46
	s_cbranch_execz .LBB219_319
; %bb.316:                              ;   in Loop: Header=BB219_289 Depth=1
	v_and_b32_sdwa v5, v45, v43 dst_sel:DWORD dst_unused:UNUSED_PAD src0_sel:BYTE_3 src1_sel:DWORD
	v_lshrrev_b32_e32 v11, 3, v46
	s_mov_b32 s15, exec_lo
	v_cmpx_gt_u32_e32 8, v46
; %bb.317:                              ;   in Loop: Header=BB219_289 Depth=1
	v_ffbh_u32_e32 v11, v5
	v_min_u32_e32 v11, 32, v11
	v_subrev_nc_u32_e32 v13, 28, v11
	v_sub_nc_u32_e32 v11, 29, v11
	v_lshlrev_b64 v[23:24], v13, v[5:6]
	v_and_b32_e32 v5, 7, v23
; %bb.318:                              ;   in Loop: Header=BB219_289 Depth=1
	s_or_b32 exec_lo, exec_lo, s15
	v_lshlrev_b32_sdwa v13, v44, v45 dst_sel:DWORD dst_unused:UNUSED_PAD src0_sel:DWORD src1_sel:BYTE_3
	v_lshlrev_b32_e32 v5, 20, v5
	v_lshl_add_u32 v11, v11, 23, 0x3c000000
	v_mov_b32_e32 v23, v6
	v_and_b32_e32 v13, 0x80000000, v13
	v_or3_b32 v24, v5, v13, v11
.LBB219_319:                            ;   in Loop: Header=BB219_289 Depth=1
	s_or_b32 exec_lo, exec_lo, s14
.LBB219_320:                            ;   in Loop: Header=BB219_289 Depth=1
	s_or_b32 exec_lo, exec_lo, s13
.LBB219_321:                            ;   in Loop: Header=BB219_289 Depth=1
	s_or_b32 exec_lo, exec_lo, s1
	v_or_b32_e32 v5, v20, v18
	v_or_b32_e32 v11, v19, v17
	;; [unrolled: 1-line block ×4, first 2 shown]
	v_add_nc_u32_e32 v49, -3, v39
	v_cmp_eq_u32_e32 vcc_lo, s12, v33
	v_mul_f32_e32 v47, s9, v5
	v_mul_f32_e32 v48, s4, v11
	;; [unrolled: 1-line block ×4, first 2 shown]
	v_add_nc_u32_e32 v51, -2, v39
	v_add_nc_u32_e32 v50, -1, v39
	s_and_saveexec_b32 s13, vcc_lo
	s_cbranch_execz .LBB219_323
; %bb.322:                              ;   in Loop: Header=BB219_289 Depth=1
	v_cmp_gt_i32_e64 s1, s27, v49
	v_cndmask_b32_e64 v48, 0, v48, s1
	v_cmp_gt_i32_e64 s1, s27, v51
	v_cndmask_b32_e64 v47, 0, v47, s1
	v_cmp_gt_i32_e64 s1, s27, v50
	v_cndmask_b32_e64 v46, 0, v46, s1
	v_cmp_gt_i32_e64 s1, s27, v39
	v_cndmask_b32_e64 v45, 0, v45, s1
.LBB219_323:                            ;   in Loop: Header=BB219_289 Depth=1
	s_or_b32 exec_lo, exec_lo, s13
	global_load_dword v52, v[15:16], off offset:128
	v_mov_b32_e32 v19, 0
	v_mov_b32_e32 v17, 0
	;; [unrolled: 1-line block ×4, first 2 shown]
	s_waitcnt vmcnt(0)
	v_cmp_ne_u16_sdwa s1, v52, v6 src0_sel:BYTE_0 src1_sel:DWORD
	s_and_saveexec_b32 s13, s1
	s_cbranch_execz .LBB219_331
; %bb.324:                              ;   in Loop: Header=BB219_289 Depth=1
	v_bfrev_b32_e32 v17, 1
	v_mov_b32_e32 v18, 0
	v_cmp_ne_u16_sdwa s1, v52, v40 src0_sel:BYTE_0 src1_sel:DWORD
	s_and_saveexec_b32 s14, s1
	s_cbranch_execz .LBB219_330
; %bb.325:                              ;   in Loop: Header=BB219_289 Depth=1
	v_mov_b32_e32 v17, 0x7f800001
	v_and_b32_e32 v13, 0x7f, v52
	v_mov_b32_e32 v18, 0
	s_mov_b32 s15, exec_lo
	v_cmpx_ne_u32_e32 0x7f, v13
	s_cbranch_execz .LBB219_329
; %bb.326:                              ;   in Loop: Header=BB219_289 Depth=1
	v_and_b32_e32 v5, 7, v52
	v_lshrrev_b32_e32 v11, 3, v13
	s_mov_b32 s16, exec_lo
	v_cmpx_gt_u32_e32 8, v13
; %bb.327:                              ;   in Loop: Header=BB219_289 Depth=1
	v_ffbh_u32_e32 v11, v5
	v_min_u32_e32 v11, 32, v11
	v_subrev_nc_u32_e32 v13, 28, v11
	v_sub_nc_u32_e32 v11, 29, v11
	v_lshlrev_b64 v[17:18], v13, v[5:6]
	v_and_b32_e32 v5, 7, v17
; %bb.328:                              ;   in Loop: Header=BB219_289 Depth=1
	s_or_b32 exec_lo, exec_lo, s16
	v_lshlrev_b32_e32 v13, 24, v52
	v_lshlrev_b32_e32 v5, 20, v5
	v_lshl_add_u32 v11, v11, 23, 0x3c000000
	v_and_b32_e32 v13, 0x80000000, v13
	v_or3_b32 v5, v5, v13, v11
	v_mov_b32_e32 v18, v6
	v_mov_b32_e32 v17, v5
.LBB219_329:                            ;   in Loop: Header=BB219_289 Depth=1
	s_or_b32 exec_lo, exec_lo, s15
.LBB219_330:                            ;   in Loop: Header=BB219_289 Depth=1
	s_or_b32 exec_lo, exec_lo, s14
.LBB219_331:                            ;   in Loop: Header=BB219_289 Depth=1
	s_or_b32 exec_lo, exec_lo, s13
	v_cmp_ne_u16_sdwa s1, v52, v6 src0_sel:BYTE_1 src1_sel:DWORD
	s_and_saveexec_b32 s13, s1
	s_cbranch_execz .LBB219_339
; %bb.332:                              ;   in Loop: Header=BB219_289 Depth=1
	v_mov_b32_e32 v11, v6
	v_mov_b32_e32 v20, v12
	v_cmp_ne_u16_sdwa s1, v52, v40 src0_sel:BYTE_1 src1_sel:DWORD
	v_mov_b32_e32 v19, v11
	s_and_saveexec_b32 s14, s1
	s_cbranch_execz .LBB219_338
; %bb.333:                              ;   in Loop: Header=BB219_289 Depth=1
	v_and_b32_sdwa v5, v41, v52 dst_sel:DWORD dst_unused:UNUSED_PAD src0_sel:DWORD src1_sel:BYTE_1
	v_mov_b32_e32 v13, v6
	v_mov_b32_e32 v20, v14
	s_mov_b32 s15, exec_lo
	v_and_b32_e32 v21, 0x7f, v5
	v_mov_b32_e32 v19, v13
	v_cmpx_ne_u32_e32 0x7f, v21
	s_cbranch_execz .LBB219_337
; %bb.334:                              ;   in Loop: Header=BB219_289 Depth=1
	v_and_b32_e32 v5, 7, v5
	v_lshrrev_b32_e32 v11, 3, v21
	s_mov_b32 s16, exec_lo
	v_cmpx_gt_u32_e32 8, v21
; %bb.335:                              ;   in Loop: Header=BB219_289 Depth=1
	v_ffbh_u32_e32 v11, v5
	v_min_u32_e32 v11, 32, v11
	v_subrev_nc_u32_e32 v13, 28, v11
	v_sub_nc_u32_e32 v11, 29, v11
	v_lshlrev_b64 v[19:20], v13, v[5:6]
	v_and_b32_e32 v5, 7, v19
; %bb.336:                              ;   in Loop: Header=BB219_289 Depth=1
	s_or_b32 exec_lo, exec_lo, s16
	v_lshlrev_b32_e32 v13, 16, v52
	v_lshlrev_b32_e32 v5, 20, v5
	v_lshl_add_u32 v11, v11, 23, 0x3c000000
	v_mov_b32_e32 v19, v6
	v_and_b32_e32 v13, 0x80000000, v13
	v_or3_b32 v20, v5, v13, v11
.LBB219_337:                            ;   in Loop: Header=BB219_289 Depth=1
	s_or_b32 exec_lo, exec_lo, s15
.LBB219_338:                            ;   in Loop: Header=BB219_289 Depth=1
	s_or_b32 exec_lo, exec_lo, s14
.LBB219_339:                            ;   in Loop: Header=BB219_289 Depth=1
	s_or_b32 exec_lo, exec_lo, s13
	v_mov_b32_e32 v23, 0
	v_mov_b32_e32 v21, 0
	v_and_b32_sdwa v5, v52, v42 dst_sel:DWORD dst_unused:UNUSED_PAD src0_sel:WORD_1 src1_sel:DWORD
	v_mov_b32_e32 v24, 0
	v_mov_b32_e32 v22, 0
	s_mov_b32 s13, exec_lo
	v_cmpx_ne_u16_e32 0, v5
	s_cbranch_execz .LBB219_347
; %bb.340:                              ;   in Loop: Header=BB219_289 Depth=1
	v_bfrev_b32_e32 v21, 1
	v_mov_b32_e32 v22, 0
	s_mov_b32 s14, exec_lo
	v_cmpx_ne_u16_e32 0x80, v5
	s_cbranch_execz .LBB219_346
; %bb.341:                              ;   in Loop: Header=BB219_289 Depth=1
	v_mov_b32_e32 v21, 0x7f800001
	v_bfe_u32 v13, v52, 16, 7
	v_mov_b32_e32 v22, 0
	s_mov_b32 s15, exec_lo
	v_cmpx_ne_u32_e32 0x7f, v13
	s_cbranch_execz .LBB219_345
; %bb.342:                              ;   in Loop: Header=BB219_289 Depth=1
	v_and_b32_sdwa v5, v52, v43 dst_sel:DWORD dst_unused:UNUSED_PAD src0_sel:WORD_1 src1_sel:DWORD
	v_lshrrev_b32_e32 v11, 3, v13
	s_mov_b32 s16, exec_lo
	v_cmpx_gt_u32_e32 8, v13
; %bb.343:                              ;   in Loop: Header=BB219_289 Depth=1
	v_ffbh_u32_e32 v11, v5
	v_min_u32_e32 v11, 32, v11
	v_subrev_nc_u32_e32 v13, 28, v11
	v_sub_nc_u32_e32 v11, 29, v11
	v_lshlrev_b64 v[21:22], v13, v[5:6]
	v_and_b32_e32 v5, 7, v21
; %bb.344:                              ;   in Loop: Header=BB219_289 Depth=1
	s_or_b32 exec_lo, exec_lo, s16
	v_lshlrev_b32_sdwa v13, v44, v52 dst_sel:DWORD dst_unused:UNUSED_PAD src0_sel:DWORD src1_sel:WORD_1
	v_lshlrev_b32_e32 v5, 20, v5
	v_lshl_add_u32 v11, v11, 23, 0x3c000000
	v_and_b32_e32 v13, 0x80000000, v13
	v_or3_b32 v5, v5, v13, v11
	v_mov_b32_e32 v22, v6
	v_mov_b32_e32 v21, v5
.LBB219_345:                            ;   in Loop: Header=BB219_289 Depth=1
	s_or_b32 exec_lo, exec_lo, s15
.LBB219_346:                            ;   in Loop: Header=BB219_289 Depth=1
	s_or_b32 exec_lo, exec_lo, s14
.LBB219_347:                            ;   in Loop: Header=BB219_289 Depth=1
	s_or_b32 exec_lo, exec_lo, s13
	s_mov_b32 s13, exec_lo
	v_cmpx_lt_u32_e32 0xffffff, v52
	s_cbranch_execz .LBB219_355
; %bb.348:                              ;   in Loop: Header=BB219_289 Depth=1
	v_mov_b32_e32 v11, v6
	v_mov_b32_e32 v24, v12
	v_cmp_ne_u32_sdwa s1, v52, v40 src0_sel:BYTE_3 src1_sel:DWORD
	v_mov_b32_e32 v23, v11
	s_and_saveexec_b32 s14, s1
	s_cbranch_execz .LBB219_354
; %bb.349:                              ;   in Loop: Header=BB219_289 Depth=1
	v_mov_b32_e32 v13, v6
	v_mov_b32_e32 v24, v14
	v_bfe_u32 v53, v52, 24, 7
	s_mov_b32 s15, exec_lo
	v_mov_b32_e32 v23, v13
	v_cmpx_ne_u32_e32 0x7f, v53
	s_cbranch_execz .LBB219_353
; %bb.350:                              ;   in Loop: Header=BB219_289 Depth=1
	v_and_b32_sdwa v5, v52, v43 dst_sel:DWORD dst_unused:UNUSED_PAD src0_sel:BYTE_3 src1_sel:DWORD
	v_lshrrev_b32_e32 v11, 3, v53
	s_mov_b32 s16, exec_lo
	v_cmpx_gt_u32_e32 8, v53
; %bb.351:                              ;   in Loop: Header=BB219_289 Depth=1
	v_ffbh_u32_e32 v11, v5
	v_min_u32_e32 v11, 32, v11
	v_subrev_nc_u32_e32 v13, 28, v11
	v_sub_nc_u32_e32 v11, 29, v11
	v_lshlrev_b64 v[23:24], v13, v[5:6]
	v_and_b32_e32 v5, 7, v23
; %bb.352:                              ;   in Loop: Header=BB219_289 Depth=1
	s_or_b32 exec_lo, exec_lo, s16
	v_lshlrev_b32_sdwa v13, v44, v52 dst_sel:DWORD dst_unused:UNUSED_PAD src0_sel:DWORD src1_sel:BYTE_3
	v_lshlrev_b32_e32 v5, 20, v5
	v_lshl_add_u32 v11, v11, 23, 0x3c000000
	v_mov_b32_e32 v23, v6
	v_and_b32_e32 v13, 0x80000000, v13
	v_or3_b32 v24, v5, v13, v11
.LBB219_353:                            ;   in Loop: Header=BB219_289 Depth=1
	s_or_b32 exec_lo, exec_lo, s15
.LBB219_354:                            ;   in Loop: Header=BB219_289 Depth=1
	s_or_b32 exec_lo, exec_lo, s14
.LBB219_355:                            ;   in Loop: Header=BB219_289 Depth=1
	s_or_b32 exec_lo, exec_lo, s13
	v_or_b32_e32 v5, v20, v18
	v_or_b32_e32 v11, v19, v17
	;; [unrolled: 1-line block ×4, first 2 shown]
	v_mul_f32_e32 v54, s9, v5
	v_mul_f32_e32 v55, s4, v11
	;; [unrolled: 1-line block ×4, first 2 shown]
	s_and_saveexec_b32 s13, vcc_lo
	s_cbranch_execz .LBB219_357
; %bb.356:                              ;   in Loop: Header=BB219_289 Depth=1
	v_cmp_gt_i32_e64 s1, s27, v49
	v_cndmask_b32_e64 v55, 0, v55, s1
	v_cmp_gt_i32_e64 s1, s27, v51
	v_cndmask_b32_e64 v54, 0, v54, s1
	;; [unrolled: 2-line block ×4, first 2 shown]
.LBB219_357:                            ;   in Loop: Header=BB219_289 Depth=1
	s_or_b32 exec_lo, exec_lo, s13
	global_load_dword v56, v[15:16], off offset:256
	v_mov_b32_e32 v19, 0
	v_mov_b32_e32 v17, 0
	;; [unrolled: 1-line block ×4, first 2 shown]
	s_waitcnt vmcnt(0)
	v_cmp_ne_u16_sdwa s1, v56, v6 src0_sel:BYTE_0 src1_sel:DWORD
	s_and_saveexec_b32 s13, s1
	s_cbranch_execz .LBB219_365
; %bb.358:                              ;   in Loop: Header=BB219_289 Depth=1
	v_bfrev_b32_e32 v17, 1
	v_mov_b32_e32 v18, 0
	v_cmp_ne_u16_sdwa s1, v56, v40 src0_sel:BYTE_0 src1_sel:DWORD
	s_and_saveexec_b32 s14, s1
	s_cbranch_execz .LBB219_364
; %bb.359:                              ;   in Loop: Header=BB219_289 Depth=1
	v_mov_b32_e32 v17, 0x7f800001
	v_and_b32_e32 v13, 0x7f, v56
	v_mov_b32_e32 v18, 0
	s_mov_b32 s15, exec_lo
	v_cmpx_ne_u32_e32 0x7f, v13
	s_cbranch_execz .LBB219_363
; %bb.360:                              ;   in Loop: Header=BB219_289 Depth=1
	v_and_b32_e32 v5, 7, v56
	v_lshrrev_b32_e32 v11, 3, v13
	s_mov_b32 s16, exec_lo
	v_cmpx_gt_u32_e32 8, v13
; %bb.361:                              ;   in Loop: Header=BB219_289 Depth=1
	v_ffbh_u32_e32 v11, v5
	v_min_u32_e32 v11, 32, v11
	v_subrev_nc_u32_e32 v13, 28, v11
	v_sub_nc_u32_e32 v11, 29, v11
	v_lshlrev_b64 v[17:18], v13, v[5:6]
	v_and_b32_e32 v5, 7, v17
; %bb.362:                              ;   in Loop: Header=BB219_289 Depth=1
	s_or_b32 exec_lo, exec_lo, s16
	v_lshlrev_b32_e32 v13, 24, v56
	v_lshlrev_b32_e32 v5, 20, v5
	v_lshl_add_u32 v11, v11, 23, 0x3c000000
	v_and_b32_e32 v13, 0x80000000, v13
	v_or3_b32 v5, v5, v13, v11
	v_mov_b32_e32 v18, v6
	v_mov_b32_e32 v17, v5
.LBB219_363:                            ;   in Loop: Header=BB219_289 Depth=1
	s_or_b32 exec_lo, exec_lo, s15
.LBB219_364:                            ;   in Loop: Header=BB219_289 Depth=1
	s_or_b32 exec_lo, exec_lo, s14
.LBB219_365:                            ;   in Loop: Header=BB219_289 Depth=1
	s_or_b32 exec_lo, exec_lo, s13
	v_cmp_ne_u16_sdwa s1, v56, v6 src0_sel:BYTE_1 src1_sel:DWORD
	s_and_saveexec_b32 s13, s1
	s_cbranch_execz .LBB219_373
; %bb.366:                              ;   in Loop: Header=BB219_289 Depth=1
	v_mov_b32_e32 v11, v6
	v_mov_b32_e32 v20, v12
	v_cmp_ne_u16_sdwa s1, v56, v40 src0_sel:BYTE_1 src1_sel:DWORD
	v_mov_b32_e32 v19, v11
	s_and_saveexec_b32 s14, s1
	s_cbranch_execz .LBB219_372
; %bb.367:                              ;   in Loop: Header=BB219_289 Depth=1
	v_and_b32_sdwa v5, v41, v56 dst_sel:DWORD dst_unused:UNUSED_PAD src0_sel:DWORD src1_sel:BYTE_1
	v_mov_b32_e32 v13, v6
	v_mov_b32_e32 v20, v14
	s_mov_b32 s15, exec_lo
	v_and_b32_e32 v21, 0x7f, v5
	v_mov_b32_e32 v19, v13
	v_cmpx_ne_u32_e32 0x7f, v21
	s_cbranch_execz .LBB219_371
; %bb.368:                              ;   in Loop: Header=BB219_289 Depth=1
	v_and_b32_e32 v5, 7, v5
	v_lshrrev_b32_e32 v11, 3, v21
	s_mov_b32 s16, exec_lo
	v_cmpx_gt_u32_e32 8, v21
; %bb.369:                              ;   in Loop: Header=BB219_289 Depth=1
	v_ffbh_u32_e32 v11, v5
	v_min_u32_e32 v11, 32, v11
	v_subrev_nc_u32_e32 v13, 28, v11
	v_sub_nc_u32_e32 v11, 29, v11
	v_lshlrev_b64 v[19:20], v13, v[5:6]
	v_and_b32_e32 v5, 7, v19
; %bb.370:                              ;   in Loop: Header=BB219_289 Depth=1
	s_or_b32 exec_lo, exec_lo, s16
	v_lshlrev_b32_e32 v13, 16, v56
	v_lshlrev_b32_e32 v5, 20, v5
	v_lshl_add_u32 v11, v11, 23, 0x3c000000
	v_mov_b32_e32 v19, v6
	v_and_b32_e32 v13, 0x80000000, v13
	v_or3_b32 v20, v5, v13, v11
.LBB219_371:                            ;   in Loop: Header=BB219_289 Depth=1
	s_or_b32 exec_lo, exec_lo, s15
.LBB219_372:                            ;   in Loop: Header=BB219_289 Depth=1
	s_or_b32 exec_lo, exec_lo, s14
.LBB219_373:                            ;   in Loop: Header=BB219_289 Depth=1
	s_or_b32 exec_lo, exec_lo, s13
	v_mov_b32_e32 v23, 0
	v_mov_b32_e32 v21, 0
	v_and_b32_sdwa v5, v56, v42 dst_sel:DWORD dst_unused:UNUSED_PAD src0_sel:WORD_1 src1_sel:DWORD
	v_mov_b32_e32 v24, 0
	v_mov_b32_e32 v22, 0
	s_mov_b32 s13, exec_lo
	v_cmpx_ne_u16_e32 0, v5
	s_cbranch_execz .LBB219_381
; %bb.374:                              ;   in Loop: Header=BB219_289 Depth=1
	v_bfrev_b32_e32 v21, 1
	v_mov_b32_e32 v22, 0
	s_mov_b32 s14, exec_lo
	v_cmpx_ne_u16_e32 0x80, v5
	s_cbranch_execz .LBB219_380
; %bb.375:                              ;   in Loop: Header=BB219_289 Depth=1
	v_mov_b32_e32 v21, 0x7f800001
	v_bfe_u32 v13, v56, 16, 7
	v_mov_b32_e32 v22, 0
	s_mov_b32 s15, exec_lo
	v_cmpx_ne_u32_e32 0x7f, v13
	s_cbranch_execz .LBB219_379
; %bb.376:                              ;   in Loop: Header=BB219_289 Depth=1
	v_and_b32_sdwa v5, v56, v43 dst_sel:DWORD dst_unused:UNUSED_PAD src0_sel:WORD_1 src1_sel:DWORD
	v_lshrrev_b32_e32 v11, 3, v13
	s_mov_b32 s16, exec_lo
	v_cmpx_gt_u32_e32 8, v13
; %bb.377:                              ;   in Loop: Header=BB219_289 Depth=1
	v_ffbh_u32_e32 v11, v5
	v_min_u32_e32 v11, 32, v11
	v_subrev_nc_u32_e32 v13, 28, v11
	v_sub_nc_u32_e32 v11, 29, v11
	v_lshlrev_b64 v[21:22], v13, v[5:6]
	v_and_b32_e32 v5, 7, v21
; %bb.378:                              ;   in Loop: Header=BB219_289 Depth=1
	s_or_b32 exec_lo, exec_lo, s16
	v_lshlrev_b32_sdwa v13, v44, v56 dst_sel:DWORD dst_unused:UNUSED_PAD src0_sel:DWORD src1_sel:WORD_1
	v_lshlrev_b32_e32 v5, 20, v5
	v_lshl_add_u32 v11, v11, 23, 0x3c000000
	v_and_b32_e32 v13, 0x80000000, v13
	v_or3_b32 v5, v5, v13, v11
	v_mov_b32_e32 v22, v6
	v_mov_b32_e32 v21, v5
.LBB219_379:                            ;   in Loop: Header=BB219_289 Depth=1
	s_or_b32 exec_lo, exec_lo, s15
.LBB219_380:                            ;   in Loop: Header=BB219_289 Depth=1
	s_or_b32 exec_lo, exec_lo, s14
.LBB219_381:                            ;   in Loop: Header=BB219_289 Depth=1
	s_or_b32 exec_lo, exec_lo, s13
	s_mov_b32 s13, exec_lo
	v_cmpx_lt_u32_e32 0xffffff, v56
	s_cbranch_execz .LBB219_389
; %bb.382:                              ;   in Loop: Header=BB219_289 Depth=1
	v_mov_b32_e32 v11, v6
	v_mov_b32_e32 v24, v12
	v_cmp_ne_u32_sdwa s1, v56, v40 src0_sel:BYTE_3 src1_sel:DWORD
	v_mov_b32_e32 v23, v11
	s_and_saveexec_b32 s14, s1
	s_cbranch_execz .LBB219_388
; %bb.383:                              ;   in Loop: Header=BB219_289 Depth=1
	v_mov_b32_e32 v13, v6
	v_mov_b32_e32 v24, v14
	v_bfe_u32 v57, v56, 24, 7
	s_mov_b32 s15, exec_lo
	v_mov_b32_e32 v23, v13
	v_cmpx_ne_u32_e32 0x7f, v57
	s_cbranch_execz .LBB219_387
; %bb.384:                              ;   in Loop: Header=BB219_289 Depth=1
	v_and_b32_sdwa v5, v56, v43 dst_sel:DWORD dst_unused:UNUSED_PAD src0_sel:BYTE_3 src1_sel:DWORD
	v_lshrrev_b32_e32 v11, 3, v57
	s_mov_b32 s16, exec_lo
	v_cmpx_gt_u32_e32 8, v57
; %bb.385:                              ;   in Loop: Header=BB219_289 Depth=1
	v_ffbh_u32_e32 v11, v5
	v_min_u32_e32 v11, 32, v11
	v_subrev_nc_u32_e32 v13, 28, v11
	v_sub_nc_u32_e32 v11, 29, v11
	v_lshlrev_b64 v[23:24], v13, v[5:6]
	v_and_b32_e32 v5, 7, v23
; %bb.386:                              ;   in Loop: Header=BB219_289 Depth=1
	s_or_b32 exec_lo, exec_lo, s16
	v_lshlrev_b32_sdwa v13, v44, v56 dst_sel:DWORD dst_unused:UNUSED_PAD src0_sel:DWORD src1_sel:BYTE_3
	v_lshlrev_b32_e32 v5, 20, v5
	v_lshl_add_u32 v11, v11, 23, 0x3c000000
	v_mov_b32_e32 v23, v6
	v_and_b32_e32 v13, 0x80000000, v13
	v_or3_b32 v24, v5, v13, v11
.LBB219_387:                            ;   in Loop: Header=BB219_289 Depth=1
	s_or_b32 exec_lo, exec_lo, s15
.LBB219_388:                            ;   in Loop: Header=BB219_289 Depth=1
	s_or_b32 exec_lo, exec_lo, s14
.LBB219_389:                            ;   in Loop: Header=BB219_289 Depth=1
	s_or_b32 exec_lo, exec_lo, s13
	v_or_b32_e32 v5, v20, v18
	v_or_b32_e32 v11, v19, v17
	;; [unrolled: 1-line block ×4, first 2 shown]
	v_mul_f32_e32 v58, s9, v5
	v_mul_f32_e32 v59, s4, v11
	;; [unrolled: 1-line block ×4, first 2 shown]
	s_and_saveexec_b32 s13, vcc_lo
	s_cbranch_execz .LBB219_391
; %bb.390:                              ;   in Loop: Header=BB219_289 Depth=1
	v_cmp_gt_i32_e64 s1, s27, v49
	v_cndmask_b32_e64 v59, 0, v59, s1
	v_cmp_gt_i32_e64 s1, s27, v51
	v_cndmask_b32_e64 v58, 0, v58, s1
	;; [unrolled: 2-line block ×4, first 2 shown]
.LBB219_391:                            ;   in Loop: Header=BB219_289 Depth=1
	s_or_b32 exec_lo, exec_lo, s13
	global_load_dword v60, v[15:16], off offset:384
	v_mov_b32_e32 v19, 0
	v_mov_b32_e32 v17, 0
	;; [unrolled: 1-line block ×4, first 2 shown]
	s_waitcnt vmcnt(0)
	v_cmp_ne_u16_sdwa s1, v60, v6 src0_sel:BYTE_0 src1_sel:DWORD
	s_and_saveexec_b32 s13, s1
	s_cbranch_execz .LBB219_399
; %bb.392:                              ;   in Loop: Header=BB219_289 Depth=1
	v_bfrev_b32_e32 v17, 1
	v_mov_b32_e32 v18, 0
	v_cmp_ne_u16_sdwa s1, v60, v40 src0_sel:BYTE_0 src1_sel:DWORD
	s_and_saveexec_b32 s14, s1
	s_cbranch_execz .LBB219_398
; %bb.393:                              ;   in Loop: Header=BB219_289 Depth=1
	v_mov_b32_e32 v17, 0x7f800001
	v_and_b32_e32 v13, 0x7f, v60
	v_mov_b32_e32 v18, 0
	s_mov_b32 s15, exec_lo
	v_cmpx_ne_u32_e32 0x7f, v13
	s_cbranch_execz .LBB219_397
; %bb.394:                              ;   in Loop: Header=BB219_289 Depth=1
	v_and_b32_e32 v5, 7, v60
	v_lshrrev_b32_e32 v11, 3, v13
	s_mov_b32 s16, exec_lo
	v_cmpx_gt_u32_e32 8, v13
; %bb.395:                              ;   in Loop: Header=BB219_289 Depth=1
	v_ffbh_u32_e32 v11, v5
	v_min_u32_e32 v11, 32, v11
	v_subrev_nc_u32_e32 v13, 28, v11
	v_sub_nc_u32_e32 v11, 29, v11
	v_lshlrev_b64 v[17:18], v13, v[5:6]
	v_and_b32_e32 v5, 7, v17
; %bb.396:                              ;   in Loop: Header=BB219_289 Depth=1
	s_or_b32 exec_lo, exec_lo, s16
	v_lshlrev_b32_e32 v13, 24, v60
	v_lshlrev_b32_e32 v5, 20, v5
	v_lshl_add_u32 v11, v11, 23, 0x3c000000
	v_and_b32_e32 v13, 0x80000000, v13
	v_or3_b32 v5, v5, v13, v11
	v_mov_b32_e32 v18, v6
	v_mov_b32_e32 v17, v5
.LBB219_397:                            ;   in Loop: Header=BB219_289 Depth=1
	s_or_b32 exec_lo, exec_lo, s15
.LBB219_398:                            ;   in Loop: Header=BB219_289 Depth=1
	s_or_b32 exec_lo, exec_lo, s14
.LBB219_399:                            ;   in Loop: Header=BB219_289 Depth=1
	s_or_b32 exec_lo, exec_lo, s13
	v_cmp_ne_u16_sdwa s1, v60, v6 src0_sel:BYTE_1 src1_sel:DWORD
	s_and_saveexec_b32 s13, s1
	s_cbranch_execz .LBB219_407
; %bb.400:                              ;   in Loop: Header=BB219_289 Depth=1
	v_mov_b32_e32 v11, v6
	v_mov_b32_e32 v20, v12
	v_cmp_ne_u16_sdwa s1, v60, v40 src0_sel:BYTE_1 src1_sel:DWORD
	v_mov_b32_e32 v19, v11
	s_and_saveexec_b32 s14, s1
	s_cbranch_execz .LBB219_406
; %bb.401:                              ;   in Loop: Header=BB219_289 Depth=1
	v_and_b32_sdwa v5, v41, v60 dst_sel:DWORD dst_unused:UNUSED_PAD src0_sel:DWORD src1_sel:BYTE_1
	v_mov_b32_e32 v13, v6
	v_mov_b32_e32 v20, v14
	s_mov_b32 s15, exec_lo
	v_and_b32_e32 v21, 0x7f, v5
	v_mov_b32_e32 v19, v13
	v_cmpx_ne_u32_e32 0x7f, v21
	s_cbranch_execz .LBB219_405
; %bb.402:                              ;   in Loop: Header=BB219_289 Depth=1
	v_and_b32_e32 v5, 7, v5
	v_lshrrev_b32_e32 v11, 3, v21
	s_mov_b32 s16, exec_lo
	v_cmpx_gt_u32_e32 8, v21
; %bb.403:                              ;   in Loop: Header=BB219_289 Depth=1
	v_ffbh_u32_e32 v11, v5
	v_min_u32_e32 v11, 32, v11
	v_subrev_nc_u32_e32 v13, 28, v11
	v_sub_nc_u32_e32 v11, 29, v11
	v_lshlrev_b64 v[19:20], v13, v[5:6]
	v_and_b32_e32 v5, 7, v19
; %bb.404:                              ;   in Loop: Header=BB219_289 Depth=1
	s_or_b32 exec_lo, exec_lo, s16
	v_lshlrev_b32_e32 v13, 16, v60
	v_lshlrev_b32_e32 v5, 20, v5
	v_lshl_add_u32 v11, v11, 23, 0x3c000000
	v_mov_b32_e32 v19, v6
	v_and_b32_e32 v13, 0x80000000, v13
	v_or3_b32 v20, v5, v13, v11
.LBB219_405:                            ;   in Loop: Header=BB219_289 Depth=1
	s_or_b32 exec_lo, exec_lo, s15
.LBB219_406:                            ;   in Loop: Header=BB219_289 Depth=1
	s_or_b32 exec_lo, exec_lo, s14
.LBB219_407:                            ;   in Loop: Header=BB219_289 Depth=1
	s_or_b32 exec_lo, exec_lo, s13
	v_mov_b32_e32 v23, 0
	v_mov_b32_e32 v21, 0
	v_and_b32_sdwa v5, v60, v42 dst_sel:DWORD dst_unused:UNUSED_PAD src0_sel:WORD_1 src1_sel:DWORD
	v_mov_b32_e32 v24, 0
	v_mov_b32_e32 v22, 0
	s_mov_b32 s13, exec_lo
	v_cmpx_ne_u16_e32 0, v5
	s_cbranch_execz .LBB219_415
; %bb.408:                              ;   in Loop: Header=BB219_289 Depth=1
	v_bfrev_b32_e32 v21, 1
	v_mov_b32_e32 v22, 0
	s_mov_b32 s14, exec_lo
	v_cmpx_ne_u16_e32 0x80, v5
	s_cbranch_execz .LBB219_414
; %bb.409:                              ;   in Loop: Header=BB219_289 Depth=1
	v_mov_b32_e32 v21, 0x7f800001
	v_bfe_u32 v13, v60, 16, 7
	v_mov_b32_e32 v22, 0
	s_mov_b32 s15, exec_lo
	v_cmpx_ne_u32_e32 0x7f, v13
	s_cbranch_execz .LBB219_413
; %bb.410:                              ;   in Loop: Header=BB219_289 Depth=1
	v_and_b32_sdwa v5, v60, v43 dst_sel:DWORD dst_unused:UNUSED_PAD src0_sel:WORD_1 src1_sel:DWORD
	v_lshrrev_b32_e32 v11, 3, v13
	s_mov_b32 s16, exec_lo
	v_cmpx_gt_u32_e32 8, v13
; %bb.411:                              ;   in Loop: Header=BB219_289 Depth=1
	v_ffbh_u32_e32 v11, v5
	v_min_u32_e32 v11, 32, v11
	v_subrev_nc_u32_e32 v13, 28, v11
	v_sub_nc_u32_e32 v11, 29, v11
	v_lshlrev_b64 v[21:22], v13, v[5:6]
	v_and_b32_e32 v5, 7, v21
; %bb.412:                              ;   in Loop: Header=BB219_289 Depth=1
	s_or_b32 exec_lo, exec_lo, s16
	v_lshlrev_b32_sdwa v13, v44, v60 dst_sel:DWORD dst_unused:UNUSED_PAD src0_sel:DWORD src1_sel:WORD_1
	v_lshlrev_b32_e32 v5, 20, v5
	v_lshl_add_u32 v11, v11, 23, 0x3c000000
	v_and_b32_e32 v13, 0x80000000, v13
	v_or3_b32 v5, v5, v13, v11
	v_mov_b32_e32 v22, v6
	v_mov_b32_e32 v21, v5
.LBB219_413:                            ;   in Loop: Header=BB219_289 Depth=1
	s_or_b32 exec_lo, exec_lo, s15
.LBB219_414:                            ;   in Loop: Header=BB219_289 Depth=1
	s_or_b32 exec_lo, exec_lo, s14
.LBB219_415:                            ;   in Loop: Header=BB219_289 Depth=1
	s_or_b32 exec_lo, exec_lo, s13
	s_mov_b32 s13, exec_lo
	v_cmpx_lt_u32_e32 0xffffff, v60
	s_cbranch_execz .LBB219_423
; %bb.416:                              ;   in Loop: Header=BB219_289 Depth=1
	v_mov_b32_e32 v11, v6
	v_mov_b32_e32 v24, v12
	v_cmp_ne_u32_sdwa s1, v60, v40 src0_sel:BYTE_3 src1_sel:DWORD
	v_mov_b32_e32 v23, v11
	s_and_saveexec_b32 s14, s1
	s_cbranch_execz .LBB219_422
; %bb.417:                              ;   in Loop: Header=BB219_289 Depth=1
	v_mov_b32_e32 v13, v6
	v_mov_b32_e32 v24, v14
	v_bfe_u32 v61, v60, 24, 7
	s_mov_b32 s15, exec_lo
	v_mov_b32_e32 v23, v13
	v_cmpx_ne_u32_e32 0x7f, v61
	s_cbranch_execz .LBB219_421
; %bb.418:                              ;   in Loop: Header=BB219_289 Depth=1
	v_and_b32_sdwa v5, v60, v43 dst_sel:DWORD dst_unused:UNUSED_PAD src0_sel:BYTE_3 src1_sel:DWORD
	v_lshrrev_b32_e32 v11, 3, v61
	s_mov_b32 s16, exec_lo
	v_cmpx_gt_u32_e32 8, v61
; %bb.419:                              ;   in Loop: Header=BB219_289 Depth=1
	v_ffbh_u32_e32 v11, v5
	v_min_u32_e32 v11, 32, v11
	v_subrev_nc_u32_e32 v13, 28, v11
	v_sub_nc_u32_e32 v11, 29, v11
	v_lshlrev_b64 v[23:24], v13, v[5:6]
	v_and_b32_e32 v5, 7, v23
; %bb.420:                              ;   in Loop: Header=BB219_289 Depth=1
	s_or_b32 exec_lo, exec_lo, s16
	v_lshlrev_b32_sdwa v13, v44, v60 dst_sel:DWORD dst_unused:UNUSED_PAD src0_sel:DWORD src1_sel:BYTE_3
	v_lshlrev_b32_e32 v5, 20, v5
	v_lshl_add_u32 v11, v11, 23, 0x3c000000
	v_mov_b32_e32 v23, v6
	v_and_b32_e32 v13, 0x80000000, v13
	v_or3_b32 v24, v5, v13, v11
.LBB219_421:                            ;   in Loop: Header=BB219_289 Depth=1
	s_or_b32 exec_lo, exec_lo, s15
.LBB219_422:                            ;   in Loop: Header=BB219_289 Depth=1
	s_or_b32 exec_lo, exec_lo, s14
.LBB219_423:                            ;   in Loop: Header=BB219_289 Depth=1
	s_or_b32 exec_lo, exec_lo, s13
	v_or_b32_e32 v5, v20, v18
	v_or_b32_e32 v11, v19, v17
	;; [unrolled: 1-line block ×4, first 2 shown]
	v_mul_f32_e32 v62, s9, v5
	v_mul_f32_e32 v63, s4, v11
	;; [unrolled: 1-line block ×4, first 2 shown]
	s_and_saveexec_b32 s13, vcc_lo
	s_cbranch_execz .LBB219_425
; %bb.424:                              ;   in Loop: Header=BB219_289 Depth=1
	v_cmp_gt_i32_e64 s1, s27, v49
	v_cndmask_b32_e64 v63, 0, v63, s1
	v_cmp_gt_i32_e64 s1, s27, v51
	v_cndmask_b32_e64 v62, 0, v62, s1
	;; [unrolled: 2-line block ×4, first 2 shown]
.LBB219_425:                            ;   in Loop: Header=BB219_289 Depth=1
	s_or_b32 exec_lo, exec_lo, s13
	global_load_dword v64, v[15:16], off offset:512
	v_mov_b32_e32 v19, 0
	v_mov_b32_e32 v17, 0
	;; [unrolled: 1-line block ×4, first 2 shown]
	s_waitcnt vmcnt(0)
	v_cmp_ne_u16_sdwa s1, v64, v6 src0_sel:BYTE_0 src1_sel:DWORD
	s_and_saveexec_b32 s13, s1
	s_cbranch_execz .LBB219_433
; %bb.426:                              ;   in Loop: Header=BB219_289 Depth=1
	v_bfrev_b32_e32 v17, 1
	v_mov_b32_e32 v18, 0
	v_cmp_ne_u16_sdwa s1, v64, v40 src0_sel:BYTE_0 src1_sel:DWORD
	s_and_saveexec_b32 s14, s1
	s_cbranch_execz .LBB219_432
; %bb.427:                              ;   in Loop: Header=BB219_289 Depth=1
	v_mov_b32_e32 v17, 0x7f800001
	v_and_b32_e32 v13, 0x7f, v64
	v_mov_b32_e32 v18, 0
	s_mov_b32 s15, exec_lo
	v_cmpx_ne_u32_e32 0x7f, v13
	s_cbranch_execz .LBB219_431
; %bb.428:                              ;   in Loop: Header=BB219_289 Depth=1
	v_and_b32_e32 v5, 7, v64
	v_lshrrev_b32_e32 v11, 3, v13
	s_mov_b32 s16, exec_lo
	v_cmpx_gt_u32_e32 8, v13
; %bb.429:                              ;   in Loop: Header=BB219_289 Depth=1
	v_ffbh_u32_e32 v11, v5
	v_min_u32_e32 v11, 32, v11
	v_subrev_nc_u32_e32 v13, 28, v11
	v_sub_nc_u32_e32 v11, 29, v11
	v_lshlrev_b64 v[17:18], v13, v[5:6]
	v_and_b32_e32 v5, 7, v17
; %bb.430:                              ;   in Loop: Header=BB219_289 Depth=1
	s_or_b32 exec_lo, exec_lo, s16
	v_lshlrev_b32_e32 v13, 24, v64
	v_lshlrev_b32_e32 v5, 20, v5
	v_lshl_add_u32 v11, v11, 23, 0x3c000000
	v_and_b32_e32 v13, 0x80000000, v13
	v_or3_b32 v5, v5, v13, v11
	v_mov_b32_e32 v18, v6
	v_mov_b32_e32 v17, v5
.LBB219_431:                            ;   in Loop: Header=BB219_289 Depth=1
	s_or_b32 exec_lo, exec_lo, s15
.LBB219_432:                            ;   in Loop: Header=BB219_289 Depth=1
	s_or_b32 exec_lo, exec_lo, s14
.LBB219_433:                            ;   in Loop: Header=BB219_289 Depth=1
	s_or_b32 exec_lo, exec_lo, s13
	v_cmp_ne_u16_sdwa s1, v64, v6 src0_sel:BYTE_1 src1_sel:DWORD
	s_and_saveexec_b32 s13, s1
	s_cbranch_execz .LBB219_441
; %bb.434:                              ;   in Loop: Header=BB219_289 Depth=1
	v_mov_b32_e32 v11, v6
	v_mov_b32_e32 v20, v12
	v_cmp_ne_u16_sdwa s1, v64, v40 src0_sel:BYTE_1 src1_sel:DWORD
	v_mov_b32_e32 v19, v11
	s_and_saveexec_b32 s14, s1
	s_cbranch_execz .LBB219_440
; %bb.435:                              ;   in Loop: Header=BB219_289 Depth=1
	v_and_b32_sdwa v5, v41, v64 dst_sel:DWORD dst_unused:UNUSED_PAD src0_sel:DWORD src1_sel:BYTE_1
	v_mov_b32_e32 v13, v6
	v_mov_b32_e32 v20, v14
	s_mov_b32 s15, exec_lo
	v_and_b32_e32 v21, 0x7f, v5
	v_mov_b32_e32 v19, v13
	v_cmpx_ne_u32_e32 0x7f, v21
	s_cbranch_execz .LBB219_439
; %bb.436:                              ;   in Loop: Header=BB219_289 Depth=1
	v_and_b32_e32 v5, 7, v5
	v_lshrrev_b32_e32 v11, 3, v21
	s_mov_b32 s16, exec_lo
	v_cmpx_gt_u32_e32 8, v21
; %bb.437:                              ;   in Loop: Header=BB219_289 Depth=1
	v_ffbh_u32_e32 v11, v5
	v_min_u32_e32 v11, 32, v11
	v_subrev_nc_u32_e32 v13, 28, v11
	v_sub_nc_u32_e32 v11, 29, v11
	v_lshlrev_b64 v[19:20], v13, v[5:6]
	v_and_b32_e32 v5, 7, v19
; %bb.438:                              ;   in Loop: Header=BB219_289 Depth=1
	s_or_b32 exec_lo, exec_lo, s16
	v_lshlrev_b32_e32 v13, 16, v64
	v_lshlrev_b32_e32 v5, 20, v5
	v_lshl_add_u32 v11, v11, 23, 0x3c000000
	v_mov_b32_e32 v19, v6
	v_and_b32_e32 v13, 0x80000000, v13
	v_or3_b32 v20, v5, v13, v11
.LBB219_439:                            ;   in Loop: Header=BB219_289 Depth=1
	s_or_b32 exec_lo, exec_lo, s15
.LBB219_440:                            ;   in Loop: Header=BB219_289 Depth=1
	s_or_b32 exec_lo, exec_lo, s14
.LBB219_441:                            ;   in Loop: Header=BB219_289 Depth=1
	s_or_b32 exec_lo, exec_lo, s13
	v_mov_b32_e32 v23, 0
	v_mov_b32_e32 v21, 0
	v_and_b32_sdwa v5, v64, v42 dst_sel:DWORD dst_unused:UNUSED_PAD src0_sel:WORD_1 src1_sel:DWORD
	v_mov_b32_e32 v24, 0
	v_mov_b32_e32 v22, 0
	s_mov_b32 s13, exec_lo
	v_cmpx_ne_u16_e32 0, v5
	s_cbranch_execz .LBB219_449
; %bb.442:                              ;   in Loop: Header=BB219_289 Depth=1
	v_bfrev_b32_e32 v21, 1
	v_mov_b32_e32 v22, 0
	s_mov_b32 s14, exec_lo
	v_cmpx_ne_u16_e32 0x80, v5
	s_cbranch_execz .LBB219_448
; %bb.443:                              ;   in Loop: Header=BB219_289 Depth=1
	v_mov_b32_e32 v21, 0x7f800001
	v_bfe_u32 v13, v64, 16, 7
	v_mov_b32_e32 v22, 0
	s_mov_b32 s15, exec_lo
	v_cmpx_ne_u32_e32 0x7f, v13
	s_cbranch_execz .LBB219_447
; %bb.444:                              ;   in Loop: Header=BB219_289 Depth=1
	v_and_b32_sdwa v5, v64, v43 dst_sel:DWORD dst_unused:UNUSED_PAD src0_sel:WORD_1 src1_sel:DWORD
	v_lshrrev_b32_e32 v11, 3, v13
	s_mov_b32 s16, exec_lo
	v_cmpx_gt_u32_e32 8, v13
; %bb.445:                              ;   in Loop: Header=BB219_289 Depth=1
	v_ffbh_u32_e32 v11, v5
	v_min_u32_e32 v11, 32, v11
	v_subrev_nc_u32_e32 v13, 28, v11
	v_sub_nc_u32_e32 v11, 29, v11
	v_lshlrev_b64 v[21:22], v13, v[5:6]
	v_and_b32_e32 v5, 7, v21
; %bb.446:                              ;   in Loop: Header=BB219_289 Depth=1
	s_or_b32 exec_lo, exec_lo, s16
	v_lshlrev_b32_sdwa v13, v44, v64 dst_sel:DWORD dst_unused:UNUSED_PAD src0_sel:DWORD src1_sel:WORD_1
	v_lshlrev_b32_e32 v5, 20, v5
	v_lshl_add_u32 v11, v11, 23, 0x3c000000
	v_and_b32_e32 v13, 0x80000000, v13
	v_or3_b32 v5, v5, v13, v11
	v_mov_b32_e32 v22, v6
	v_mov_b32_e32 v21, v5
.LBB219_447:                            ;   in Loop: Header=BB219_289 Depth=1
	s_or_b32 exec_lo, exec_lo, s15
.LBB219_448:                            ;   in Loop: Header=BB219_289 Depth=1
	s_or_b32 exec_lo, exec_lo, s14
.LBB219_449:                            ;   in Loop: Header=BB219_289 Depth=1
	s_or_b32 exec_lo, exec_lo, s13
	s_mov_b32 s13, exec_lo
	v_cmpx_lt_u32_e32 0xffffff, v64
	s_cbranch_execz .LBB219_457
; %bb.450:                              ;   in Loop: Header=BB219_289 Depth=1
	v_mov_b32_e32 v11, v6
	v_mov_b32_e32 v24, v12
	v_cmp_ne_u32_sdwa s1, v64, v40 src0_sel:BYTE_3 src1_sel:DWORD
	v_mov_b32_e32 v23, v11
	s_and_saveexec_b32 s14, s1
	s_cbranch_execz .LBB219_456
; %bb.451:                              ;   in Loop: Header=BB219_289 Depth=1
	v_mov_b32_e32 v13, v6
	v_mov_b32_e32 v24, v14
	v_bfe_u32 v65, v64, 24, 7
	s_mov_b32 s15, exec_lo
	v_mov_b32_e32 v23, v13
	v_cmpx_ne_u32_e32 0x7f, v65
	s_cbranch_execz .LBB219_455
; %bb.452:                              ;   in Loop: Header=BB219_289 Depth=1
	v_and_b32_sdwa v5, v64, v43 dst_sel:DWORD dst_unused:UNUSED_PAD src0_sel:BYTE_3 src1_sel:DWORD
	v_lshrrev_b32_e32 v11, 3, v65
	s_mov_b32 s16, exec_lo
	v_cmpx_gt_u32_e32 8, v65
; %bb.453:                              ;   in Loop: Header=BB219_289 Depth=1
	v_ffbh_u32_e32 v11, v5
	v_min_u32_e32 v11, 32, v11
	v_subrev_nc_u32_e32 v13, 28, v11
	v_sub_nc_u32_e32 v11, 29, v11
	v_lshlrev_b64 v[23:24], v13, v[5:6]
	v_and_b32_e32 v5, 7, v23
; %bb.454:                              ;   in Loop: Header=BB219_289 Depth=1
	s_or_b32 exec_lo, exec_lo, s16
	v_lshlrev_b32_sdwa v13, v44, v64 dst_sel:DWORD dst_unused:UNUSED_PAD src0_sel:DWORD src1_sel:BYTE_3
	v_lshlrev_b32_e32 v5, 20, v5
	v_lshl_add_u32 v11, v11, 23, 0x3c000000
	v_mov_b32_e32 v23, v6
	v_and_b32_e32 v13, 0x80000000, v13
	v_or3_b32 v24, v5, v13, v11
.LBB219_455:                            ;   in Loop: Header=BB219_289 Depth=1
	s_or_b32 exec_lo, exec_lo, s15
.LBB219_456:                            ;   in Loop: Header=BB219_289 Depth=1
	s_or_b32 exec_lo, exec_lo, s14
.LBB219_457:                            ;   in Loop: Header=BB219_289 Depth=1
	s_or_b32 exec_lo, exec_lo, s13
	v_or_b32_e32 v5, v20, v18
	v_or_b32_e32 v11, v19, v17
	;; [unrolled: 1-line block ×4, first 2 shown]
	v_mul_f32_e32 v66, s9, v5
	v_mul_f32_e32 v67, s4, v11
	;; [unrolled: 1-line block ×4, first 2 shown]
	s_and_saveexec_b32 s13, vcc_lo
	s_cbranch_execz .LBB219_459
; %bb.458:                              ;   in Loop: Header=BB219_289 Depth=1
	v_cmp_gt_i32_e64 s1, s27, v49
	v_cndmask_b32_e64 v67, 0, v67, s1
	v_cmp_gt_i32_e64 s1, s27, v51
	v_cndmask_b32_e64 v66, 0, v66, s1
	v_cmp_gt_i32_e64 s1, s27, v50
	v_cndmask_b32_e64 v65, 0, v65, s1
	v_cmp_gt_i32_e64 s1, s27, v39
	v_cndmask_b32_e64 v64, 0, v64, s1
.LBB219_459:                            ;   in Loop: Header=BB219_289 Depth=1
	s_or_b32 exec_lo, exec_lo, s13
	global_load_dword v68, v[15:16], off offset:640
	v_mov_b32_e32 v19, 0
	v_mov_b32_e32 v17, 0
	;; [unrolled: 1-line block ×4, first 2 shown]
	s_waitcnt vmcnt(0)
	v_cmp_ne_u16_sdwa s1, v68, v6 src0_sel:BYTE_0 src1_sel:DWORD
	s_and_saveexec_b32 s13, s1
	s_cbranch_execz .LBB219_467
; %bb.460:                              ;   in Loop: Header=BB219_289 Depth=1
	v_bfrev_b32_e32 v17, 1
	v_mov_b32_e32 v18, 0
	v_cmp_ne_u16_sdwa s1, v68, v40 src0_sel:BYTE_0 src1_sel:DWORD
	s_and_saveexec_b32 s14, s1
	s_cbranch_execz .LBB219_466
; %bb.461:                              ;   in Loop: Header=BB219_289 Depth=1
	v_mov_b32_e32 v17, 0x7f800001
	v_and_b32_e32 v13, 0x7f, v68
	v_mov_b32_e32 v18, 0
	s_mov_b32 s15, exec_lo
	v_cmpx_ne_u32_e32 0x7f, v13
	s_cbranch_execz .LBB219_465
; %bb.462:                              ;   in Loop: Header=BB219_289 Depth=1
	v_and_b32_e32 v5, 7, v68
	v_lshrrev_b32_e32 v11, 3, v13
	s_mov_b32 s16, exec_lo
	v_cmpx_gt_u32_e32 8, v13
; %bb.463:                              ;   in Loop: Header=BB219_289 Depth=1
	v_ffbh_u32_e32 v11, v5
	v_min_u32_e32 v11, 32, v11
	v_subrev_nc_u32_e32 v13, 28, v11
	v_sub_nc_u32_e32 v11, 29, v11
	v_lshlrev_b64 v[17:18], v13, v[5:6]
	v_and_b32_e32 v5, 7, v17
; %bb.464:                              ;   in Loop: Header=BB219_289 Depth=1
	s_or_b32 exec_lo, exec_lo, s16
	v_lshlrev_b32_e32 v13, 24, v68
	v_lshlrev_b32_e32 v5, 20, v5
	v_lshl_add_u32 v11, v11, 23, 0x3c000000
	v_and_b32_e32 v13, 0x80000000, v13
	v_or3_b32 v5, v5, v13, v11
	v_mov_b32_e32 v18, v6
	v_mov_b32_e32 v17, v5
.LBB219_465:                            ;   in Loop: Header=BB219_289 Depth=1
	s_or_b32 exec_lo, exec_lo, s15
.LBB219_466:                            ;   in Loop: Header=BB219_289 Depth=1
	s_or_b32 exec_lo, exec_lo, s14
.LBB219_467:                            ;   in Loop: Header=BB219_289 Depth=1
	s_or_b32 exec_lo, exec_lo, s13
	v_cmp_ne_u16_sdwa s1, v68, v6 src0_sel:BYTE_1 src1_sel:DWORD
	s_and_saveexec_b32 s13, s1
	s_cbranch_execz .LBB219_475
; %bb.468:                              ;   in Loop: Header=BB219_289 Depth=1
	v_mov_b32_e32 v11, v6
	v_mov_b32_e32 v20, v12
	v_cmp_ne_u16_sdwa s1, v68, v40 src0_sel:BYTE_1 src1_sel:DWORD
	v_mov_b32_e32 v19, v11
	s_and_saveexec_b32 s14, s1
	s_cbranch_execz .LBB219_474
; %bb.469:                              ;   in Loop: Header=BB219_289 Depth=1
	v_and_b32_sdwa v5, v41, v68 dst_sel:DWORD dst_unused:UNUSED_PAD src0_sel:DWORD src1_sel:BYTE_1
	v_mov_b32_e32 v13, v6
	v_mov_b32_e32 v20, v14
	s_mov_b32 s15, exec_lo
	v_and_b32_e32 v21, 0x7f, v5
	v_mov_b32_e32 v19, v13
	v_cmpx_ne_u32_e32 0x7f, v21
	s_cbranch_execz .LBB219_473
; %bb.470:                              ;   in Loop: Header=BB219_289 Depth=1
	v_and_b32_e32 v5, 7, v5
	v_lshrrev_b32_e32 v11, 3, v21
	s_mov_b32 s16, exec_lo
	v_cmpx_gt_u32_e32 8, v21
; %bb.471:                              ;   in Loop: Header=BB219_289 Depth=1
	v_ffbh_u32_e32 v11, v5
	v_min_u32_e32 v11, 32, v11
	v_subrev_nc_u32_e32 v13, 28, v11
	v_sub_nc_u32_e32 v11, 29, v11
	v_lshlrev_b64 v[19:20], v13, v[5:6]
	v_and_b32_e32 v5, 7, v19
; %bb.472:                              ;   in Loop: Header=BB219_289 Depth=1
	s_or_b32 exec_lo, exec_lo, s16
	v_lshlrev_b32_e32 v13, 16, v68
	v_lshlrev_b32_e32 v5, 20, v5
	v_lshl_add_u32 v11, v11, 23, 0x3c000000
	v_mov_b32_e32 v19, v6
	v_and_b32_e32 v13, 0x80000000, v13
	v_or3_b32 v20, v5, v13, v11
.LBB219_473:                            ;   in Loop: Header=BB219_289 Depth=1
	s_or_b32 exec_lo, exec_lo, s15
.LBB219_474:                            ;   in Loop: Header=BB219_289 Depth=1
	s_or_b32 exec_lo, exec_lo, s14
.LBB219_475:                            ;   in Loop: Header=BB219_289 Depth=1
	s_or_b32 exec_lo, exec_lo, s13
	v_mov_b32_e32 v23, 0
	v_mov_b32_e32 v21, 0
	v_and_b32_sdwa v5, v68, v42 dst_sel:DWORD dst_unused:UNUSED_PAD src0_sel:WORD_1 src1_sel:DWORD
	v_mov_b32_e32 v24, 0
	v_mov_b32_e32 v22, 0
	s_mov_b32 s13, exec_lo
	v_cmpx_ne_u16_e32 0, v5
	s_cbranch_execz .LBB219_483
; %bb.476:                              ;   in Loop: Header=BB219_289 Depth=1
	v_bfrev_b32_e32 v21, 1
	v_mov_b32_e32 v22, 0
	s_mov_b32 s14, exec_lo
	v_cmpx_ne_u16_e32 0x80, v5
	s_cbranch_execz .LBB219_482
; %bb.477:                              ;   in Loop: Header=BB219_289 Depth=1
	v_mov_b32_e32 v21, 0x7f800001
	v_bfe_u32 v13, v68, 16, 7
	v_mov_b32_e32 v22, 0
	s_mov_b32 s15, exec_lo
	v_cmpx_ne_u32_e32 0x7f, v13
	s_cbranch_execz .LBB219_481
; %bb.478:                              ;   in Loop: Header=BB219_289 Depth=1
	v_and_b32_sdwa v5, v68, v43 dst_sel:DWORD dst_unused:UNUSED_PAD src0_sel:WORD_1 src1_sel:DWORD
	v_lshrrev_b32_e32 v11, 3, v13
	s_mov_b32 s16, exec_lo
	v_cmpx_gt_u32_e32 8, v13
; %bb.479:                              ;   in Loop: Header=BB219_289 Depth=1
	v_ffbh_u32_e32 v11, v5
	v_min_u32_e32 v11, 32, v11
	v_subrev_nc_u32_e32 v13, 28, v11
	v_sub_nc_u32_e32 v11, 29, v11
	v_lshlrev_b64 v[21:22], v13, v[5:6]
	v_and_b32_e32 v5, 7, v21
; %bb.480:                              ;   in Loop: Header=BB219_289 Depth=1
	s_or_b32 exec_lo, exec_lo, s16
	v_lshlrev_b32_sdwa v13, v44, v68 dst_sel:DWORD dst_unused:UNUSED_PAD src0_sel:DWORD src1_sel:WORD_1
	v_lshlrev_b32_e32 v5, 20, v5
	v_lshl_add_u32 v11, v11, 23, 0x3c000000
	v_and_b32_e32 v13, 0x80000000, v13
	v_or3_b32 v5, v5, v13, v11
	v_mov_b32_e32 v22, v6
	v_mov_b32_e32 v21, v5
.LBB219_481:                            ;   in Loop: Header=BB219_289 Depth=1
	s_or_b32 exec_lo, exec_lo, s15
.LBB219_482:                            ;   in Loop: Header=BB219_289 Depth=1
	s_or_b32 exec_lo, exec_lo, s14
.LBB219_483:                            ;   in Loop: Header=BB219_289 Depth=1
	s_or_b32 exec_lo, exec_lo, s13
	s_mov_b32 s13, exec_lo
	v_cmpx_lt_u32_e32 0xffffff, v68
	s_cbranch_execz .LBB219_491
; %bb.484:                              ;   in Loop: Header=BB219_289 Depth=1
	v_mov_b32_e32 v11, v6
	v_mov_b32_e32 v24, v12
	v_cmp_ne_u32_sdwa s1, v68, v40 src0_sel:BYTE_3 src1_sel:DWORD
	v_mov_b32_e32 v23, v11
	s_and_saveexec_b32 s14, s1
	s_cbranch_execz .LBB219_490
; %bb.485:                              ;   in Loop: Header=BB219_289 Depth=1
	v_mov_b32_e32 v13, v6
	v_mov_b32_e32 v24, v14
	v_bfe_u32 v69, v68, 24, 7
	s_mov_b32 s15, exec_lo
	v_mov_b32_e32 v23, v13
	v_cmpx_ne_u32_e32 0x7f, v69
	s_cbranch_execz .LBB219_489
; %bb.486:                              ;   in Loop: Header=BB219_289 Depth=1
	v_and_b32_sdwa v5, v68, v43 dst_sel:DWORD dst_unused:UNUSED_PAD src0_sel:BYTE_3 src1_sel:DWORD
	v_lshrrev_b32_e32 v11, 3, v69
	s_mov_b32 s16, exec_lo
	v_cmpx_gt_u32_e32 8, v69
; %bb.487:                              ;   in Loop: Header=BB219_289 Depth=1
	v_ffbh_u32_e32 v11, v5
	v_min_u32_e32 v11, 32, v11
	v_subrev_nc_u32_e32 v13, 28, v11
	v_sub_nc_u32_e32 v11, 29, v11
	v_lshlrev_b64 v[23:24], v13, v[5:6]
	v_and_b32_e32 v5, 7, v23
; %bb.488:                              ;   in Loop: Header=BB219_289 Depth=1
	s_or_b32 exec_lo, exec_lo, s16
	v_lshlrev_b32_sdwa v13, v44, v68 dst_sel:DWORD dst_unused:UNUSED_PAD src0_sel:DWORD src1_sel:BYTE_3
	v_lshlrev_b32_e32 v5, 20, v5
	v_lshl_add_u32 v11, v11, 23, 0x3c000000
	v_mov_b32_e32 v23, v6
	v_and_b32_e32 v13, 0x80000000, v13
	v_or3_b32 v24, v5, v13, v11
.LBB219_489:                            ;   in Loop: Header=BB219_289 Depth=1
	s_or_b32 exec_lo, exec_lo, s15
.LBB219_490:                            ;   in Loop: Header=BB219_289 Depth=1
	s_or_b32 exec_lo, exec_lo, s14
.LBB219_491:                            ;   in Loop: Header=BB219_289 Depth=1
	s_or_b32 exec_lo, exec_lo, s13
	v_or_b32_e32 v5, v20, v18
	v_or_b32_e32 v11, v19, v17
	;; [unrolled: 1-line block ×4, first 2 shown]
	v_mul_f32_e32 v70, s9, v5
	v_mul_f32_e32 v71, s4, v11
	v_mul_f32_e32 v69, s4, v13
	v_mul_f32_e32 v68, s9, v17
	s_and_saveexec_b32 s13, vcc_lo
	s_cbranch_execz .LBB219_493
; %bb.492:                              ;   in Loop: Header=BB219_289 Depth=1
	v_cmp_gt_i32_e64 s1, s27, v49
	v_cndmask_b32_e64 v71, 0, v71, s1
	v_cmp_gt_i32_e64 s1, s27, v51
	v_cndmask_b32_e64 v70, 0, v70, s1
	;; [unrolled: 2-line block ×4, first 2 shown]
.LBB219_493:                            ;   in Loop: Header=BB219_289 Depth=1
	s_or_b32 exec_lo, exec_lo, s13
	global_load_dword v72, v[15:16], off offset:768
	v_mov_b32_e32 v19, 0
	v_mov_b32_e32 v17, 0
	;; [unrolled: 1-line block ×4, first 2 shown]
	s_waitcnt vmcnt(0)
	v_cmp_ne_u16_sdwa s1, v72, v6 src0_sel:BYTE_0 src1_sel:DWORD
	s_and_saveexec_b32 s13, s1
	s_cbranch_execz .LBB219_501
; %bb.494:                              ;   in Loop: Header=BB219_289 Depth=1
	v_bfrev_b32_e32 v17, 1
	v_mov_b32_e32 v18, 0
	v_cmp_ne_u16_sdwa s1, v72, v40 src0_sel:BYTE_0 src1_sel:DWORD
	s_and_saveexec_b32 s14, s1
	s_cbranch_execz .LBB219_500
; %bb.495:                              ;   in Loop: Header=BB219_289 Depth=1
	v_mov_b32_e32 v17, 0x7f800001
	v_and_b32_e32 v13, 0x7f, v72
	v_mov_b32_e32 v18, 0
	s_mov_b32 s15, exec_lo
	v_cmpx_ne_u32_e32 0x7f, v13
	s_cbranch_execz .LBB219_499
; %bb.496:                              ;   in Loop: Header=BB219_289 Depth=1
	v_and_b32_e32 v5, 7, v72
	v_lshrrev_b32_e32 v11, 3, v13
	s_mov_b32 s16, exec_lo
	v_cmpx_gt_u32_e32 8, v13
; %bb.497:                              ;   in Loop: Header=BB219_289 Depth=1
	v_ffbh_u32_e32 v11, v5
	v_min_u32_e32 v11, 32, v11
	v_subrev_nc_u32_e32 v13, 28, v11
	v_sub_nc_u32_e32 v11, 29, v11
	v_lshlrev_b64 v[17:18], v13, v[5:6]
	v_and_b32_e32 v5, 7, v17
; %bb.498:                              ;   in Loop: Header=BB219_289 Depth=1
	s_or_b32 exec_lo, exec_lo, s16
	v_lshlrev_b32_e32 v13, 24, v72
	v_lshlrev_b32_e32 v5, 20, v5
	v_lshl_add_u32 v11, v11, 23, 0x3c000000
	v_and_b32_e32 v13, 0x80000000, v13
	v_or3_b32 v5, v5, v13, v11
	v_mov_b32_e32 v18, v6
	v_mov_b32_e32 v17, v5
.LBB219_499:                            ;   in Loop: Header=BB219_289 Depth=1
	s_or_b32 exec_lo, exec_lo, s15
.LBB219_500:                            ;   in Loop: Header=BB219_289 Depth=1
	s_or_b32 exec_lo, exec_lo, s14
.LBB219_501:                            ;   in Loop: Header=BB219_289 Depth=1
	s_or_b32 exec_lo, exec_lo, s13
	v_cmp_ne_u16_sdwa s1, v72, v6 src0_sel:BYTE_1 src1_sel:DWORD
	s_and_saveexec_b32 s13, s1
	s_cbranch_execz .LBB219_509
; %bb.502:                              ;   in Loop: Header=BB219_289 Depth=1
	v_mov_b32_e32 v11, v6
	v_mov_b32_e32 v20, v12
	v_cmp_ne_u16_sdwa s1, v72, v40 src0_sel:BYTE_1 src1_sel:DWORD
	v_mov_b32_e32 v19, v11
	s_and_saveexec_b32 s14, s1
	s_cbranch_execz .LBB219_508
; %bb.503:                              ;   in Loop: Header=BB219_289 Depth=1
	v_and_b32_sdwa v5, v41, v72 dst_sel:DWORD dst_unused:UNUSED_PAD src0_sel:DWORD src1_sel:BYTE_1
	v_mov_b32_e32 v13, v6
	v_mov_b32_e32 v20, v14
	s_mov_b32 s15, exec_lo
	v_and_b32_e32 v21, 0x7f, v5
	v_mov_b32_e32 v19, v13
	v_cmpx_ne_u32_e32 0x7f, v21
	s_cbranch_execz .LBB219_507
; %bb.504:                              ;   in Loop: Header=BB219_289 Depth=1
	v_and_b32_e32 v5, 7, v5
	v_lshrrev_b32_e32 v11, 3, v21
	s_mov_b32 s16, exec_lo
	v_cmpx_gt_u32_e32 8, v21
; %bb.505:                              ;   in Loop: Header=BB219_289 Depth=1
	v_ffbh_u32_e32 v11, v5
	v_min_u32_e32 v11, 32, v11
	v_subrev_nc_u32_e32 v13, 28, v11
	v_sub_nc_u32_e32 v11, 29, v11
	v_lshlrev_b64 v[19:20], v13, v[5:6]
	v_and_b32_e32 v5, 7, v19
; %bb.506:                              ;   in Loop: Header=BB219_289 Depth=1
	s_or_b32 exec_lo, exec_lo, s16
	v_lshlrev_b32_e32 v13, 16, v72
	v_lshlrev_b32_e32 v5, 20, v5
	v_lshl_add_u32 v11, v11, 23, 0x3c000000
	v_mov_b32_e32 v19, v6
	v_and_b32_e32 v13, 0x80000000, v13
	v_or3_b32 v20, v5, v13, v11
.LBB219_507:                            ;   in Loop: Header=BB219_289 Depth=1
	s_or_b32 exec_lo, exec_lo, s15
.LBB219_508:                            ;   in Loop: Header=BB219_289 Depth=1
	s_or_b32 exec_lo, exec_lo, s14
.LBB219_509:                            ;   in Loop: Header=BB219_289 Depth=1
	s_or_b32 exec_lo, exec_lo, s13
	v_mov_b32_e32 v23, 0
	v_mov_b32_e32 v21, 0
	v_and_b32_sdwa v5, v72, v42 dst_sel:DWORD dst_unused:UNUSED_PAD src0_sel:WORD_1 src1_sel:DWORD
	v_mov_b32_e32 v24, 0
	v_mov_b32_e32 v22, 0
	s_mov_b32 s13, exec_lo
	v_cmpx_ne_u16_e32 0, v5
	s_cbranch_execz .LBB219_517
; %bb.510:                              ;   in Loop: Header=BB219_289 Depth=1
	v_bfrev_b32_e32 v21, 1
	v_mov_b32_e32 v22, 0
	s_mov_b32 s14, exec_lo
	v_cmpx_ne_u16_e32 0x80, v5
	s_cbranch_execz .LBB219_516
; %bb.511:                              ;   in Loop: Header=BB219_289 Depth=1
	v_mov_b32_e32 v21, 0x7f800001
	v_bfe_u32 v13, v72, 16, 7
	v_mov_b32_e32 v22, 0
	s_mov_b32 s15, exec_lo
	v_cmpx_ne_u32_e32 0x7f, v13
	s_cbranch_execz .LBB219_515
; %bb.512:                              ;   in Loop: Header=BB219_289 Depth=1
	v_and_b32_sdwa v5, v72, v43 dst_sel:DWORD dst_unused:UNUSED_PAD src0_sel:WORD_1 src1_sel:DWORD
	v_lshrrev_b32_e32 v11, 3, v13
	s_mov_b32 s16, exec_lo
	v_cmpx_gt_u32_e32 8, v13
; %bb.513:                              ;   in Loop: Header=BB219_289 Depth=1
	v_ffbh_u32_e32 v11, v5
	v_min_u32_e32 v11, 32, v11
	v_subrev_nc_u32_e32 v13, 28, v11
	v_sub_nc_u32_e32 v11, 29, v11
	v_lshlrev_b64 v[21:22], v13, v[5:6]
	v_and_b32_e32 v5, 7, v21
; %bb.514:                              ;   in Loop: Header=BB219_289 Depth=1
	s_or_b32 exec_lo, exec_lo, s16
	v_lshlrev_b32_sdwa v13, v44, v72 dst_sel:DWORD dst_unused:UNUSED_PAD src0_sel:DWORD src1_sel:WORD_1
	v_lshlrev_b32_e32 v5, 20, v5
	v_lshl_add_u32 v11, v11, 23, 0x3c000000
	v_and_b32_e32 v13, 0x80000000, v13
	v_or3_b32 v5, v5, v13, v11
	v_mov_b32_e32 v22, v6
	v_mov_b32_e32 v21, v5
.LBB219_515:                            ;   in Loop: Header=BB219_289 Depth=1
	s_or_b32 exec_lo, exec_lo, s15
.LBB219_516:                            ;   in Loop: Header=BB219_289 Depth=1
	s_or_b32 exec_lo, exec_lo, s14
.LBB219_517:                            ;   in Loop: Header=BB219_289 Depth=1
	s_or_b32 exec_lo, exec_lo, s13
	s_mov_b32 s13, exec_lo
	v_cmpx_lt_u32_e32 0xffffff, v72
	s_cbranch_execz .LBB219_525
; %bb.518:                              ;   in Loop: Header=BB219_289 Depth=1
	v_mov_b32_e32 v11, v6
	v_mov_b32_e32 v24, v12
	v_cmp_ne_u32_sdwa s1, v72, v40 src0_sel:BYTE_3 src1_sel:DWORD
	v_mov_b32_e32 v23, v11
	s_and_saveexec_b32 s14, s1
	s_cbranch_execz .LBB219_524
; %bb.519:                              ;   in Loop: Header=BB219_289 Depth=1
	v_mov_b32_e32 v13, v6
	v_mov_b32_e32 v24, v14
	v_bfe_u32 v73, v72, 24, 7
	s_mov_b32 s15, exec_lo
	v_mov_b32_e32 v23, v13
	v_cmpx_ne_u32_e32 0x7f, v73
	s_cbranch_execz .LBB219_523
; %bb.520:                              ;   in Loop: Header=BB219_289 Depth=1
	v_and_b32_sdwa v5, v72, v43 dst_sel:DWORD dst_unused:UNUSED_PAD src0_sel:BYTE_3 src1_sel:DWORD
	v_lshrrev_b32_e32 v11, 3, v73
	s_mov_b32 s16, exec_lo
	v_cmpx_gt_u32_e32 8, v73
; %bb.521:                              ;   in Loop: Header=BB219_289 Depth=1
	v_ffbh_u32_e32 v11, v5
	v_min_u32_e32 v11, 32, v11
	v_subrev_nc_u32_e32 v13, 28, v11
	v_sub_nc_u32_e32 v11, 29, v11
	v_lshlrev_b64 v[23:24], v13, v[5:6]
	v_and_b32_e32 v5, 7, v23
; %bb.522:                              ;   in Loop: Header=BB219_289 Depth=1
	s_or_b32 exec_lo, exec_lo, s16
	v_lshlrev_b32_sdwa v13, v44, v72 dst_sel:DWORD dst_unused:UNUSED_PAD src0_sel:DWORD src1_sel:BYTE_3
	v_lshlrev_b32_e32 v5, 20, v5
	v_lshl_add_u32 v11, v11, 23, 0x3c000000
	v_mov_b32_e32 v23, v6
	v_and_b32_e32 v13, 0x80000000, v13
	v_or3_b32 v24, v5, v13, v11
.LBB219_523:                            ;   in Loop: Header=BB219_289 Depth=1
	s_or_b32 exec_lo, exec_lo, s15
.LBB219_524:                            ;   in Loop: Header=BB219_289 Depth=1
	s_or_b32 exec_lo, exec_lo, s14
.LBB219_525:                            ;   in Loop: Header=BB219_289 Depth=1
	s_or_b32 exec_lo, exec_lo, s13
	v_or_b32_e32 v5, v20, v18
	v_or_b32_e32 v11, v19, v17
	;; [unrolled: 1-line block ×4, first 2 shown]
	v_mul_f32_e32 v72, s9, v5
	v_mul_f32_e32 v73, s4, v11
	;; [unrolled: 1-line block ×4, first 2 shown]
	s_and_saveexec_b32 s13, vcc_lo
	s_cbranch_execz .LBB219_527
; %bb.526:                              ;   in Loop: Header=BB219_289 Depth=1
	v_cmp_gt_i32_e64 s1, s27, v49
	v_cndmask_b32_e64 v73, 0, v73, s1
	v_cmp_gt_i32_e64 s1, s27, v51
	v_cndmask_b32_e64 v72, 0, v72, s1
	;; [unrolled: 2-line block ×4, first 2 shown]
.LBB219_527:                            ;   in Loop: Header=BB219_289 Depth=1
	s_or_b32 exec_lo, exec_lo, s13
	global_load_dword v74, v[15:16], off offset:896
	v_mov_b32_e32 v17, 0
	v_mov_b32_e32 v15, 0
	;; [unrolled: 1-line block ×4, first 2 shown]
	s_waitcnt vmcnt(0)
	v_cmp_ne_u16_sdwa s1, v74, v6 src0_sel:BYTE_0 src1_sel:DWORD
	s_and_saveexec_b32 s13, s1
	s_cbranch_execz .LBB219_535
; %bb.528:                              ;   in Loop: Header=BB219_289 Depth=1
	v_bfrev_b32_e32 v15, 1
	v_mov_b32_e32 v16, 0
	v_cmp_ne_u16_sdwa s1, v74, v40 src0_sel:BYTE_0 src1_sel:DWORD
	s_and_saveexec_b32 s14, s1
	s_cbranch_execz .LBB219_534
; %bb.529:                              ;   in Loop: Header=BB219_289 Depth=1
	v_mov_b32_e32 v15, 0x7f800001
	v_and_b32_e32 v13, 0x7f, v74
	v_mov_b32_e32 v16, 0
	s_mov_b32 s15, exec_lo
	v_cmpx_ne_u32_e32 0x7f, v13
	s_cbranch_execz .LBB219_533
; %bb.530:                              ;   in Loop: Header=BB219_289 Depth=1
	v_and_b32_e32 v5, 7, v74
	v_lshrrev_b32_e32 v11, 3, v13
	s_mov_b32 s16, exec_lo
	v_cmpx_gt_u32_e32 8, v13
; %bb.531:                              ;   in Loop: Header=BB219_289 Depth=1
	v_ffbh_u32_e32 v11, v5
	v_min_u32_e32 v11, 32, v11
	v_subrev_nc_u32_e32 v13, 28, v11
	v_sub_nc_u32_e32 v11, 29, v11
	v_lshlrev_b64 v[15:16], v13, v[5:6]
	v_and_b32_e32 v5, 7, v15
; %bb.532:                              ;   in Loop: Header=BB219_289 Depth=1
	s_or_b32 exec_lo, exec_lo, s16
	v_lshlrev_b32_e32 v13, 24, v74
	v_lshlrev_b32_e32 v5, 20, v5
	v_lshl_add_u32 v11, v11, 23, 0x3c000000
	v_and_b32_e32 v13, 0x80000000, v13
	v_or3_b32 v5, v5, v13, v11
	v_mov_b32_e32 v16, v6
	v_mov_b32_e32 v15, v5
.LBB219_533:                            ;   in Loop: Header=BB219_289 Depth=1
	s_or_b32 exec_lo, exec_lo, s15
.LBB219_534:                            ;   in Loop: Header=BB219_289 Depth=1
	s_or_b32 exec_lo, exec_lo, s14
.LBB219_535:                            ;   in Loop: Header=BB219_289 Depth=1
	s_or_b32 exec_lo, exec_lo, s13
	v_cmp_ne_u16_sdwa s1, v74, v6 src0_sel:BYTE_1 src1_sel:DWORD
	s_and_saveexec_b32 s13, s1
	s_cbranch_execz .LBB219_543
; %bb.536:                              ;   in Loop: Header=BB219_289 Depth=1
	v_mov_b32_e32 v11, v6
	v_mov_b32_e32 v18, v12
	v_cmp_ne_u16_sdwa s1, v74, v40 src0_sel:BYTE_1 src1_sel:DWORD
	v_mov_b32_e32 v17, v11
	s_and_saveexec_b32 s14, s1
	s_cbranch_execz .LBB219_542
; %bb.537:                              ;   in Loop: Header=BB219_289 Depth=1
	v_and_b32_sdwa v5, v41, v74 dst_sel:DWORD dst_unused:UNUSED_PAD src0_sel:DWORD src1_sel:BYTE_1
	v_mov_b32_e32 v13, v6
	v_mov_b32_e32 v18, v14
	s_mov_b32 s15, exec_lo
	v_and_b32_e32 v19, 0x7f, v5
	v_mov_b32_e32 v17, v13
	v_cmpx_ne_u32_e32 0x7f, v19
	s_cbranch_execz .LBB219_541
; %bb.538:                              ;   in Loop: Header=BB219_289 Depth=1
	v_and_b32_e32 v5, 7, v5
	v_lshrrev_b32_e32 v11, 3, v19
	s_mov_b32 s16, exec_lo
	v_cmpx_gt_u32_e32 8, v19
; %bb.539:                              ;   in Loop: Header=BB219_289 Depth=1
	v_ffbh_u32_e32 v11, v5
	v_min_u32_e32 v11, 32, v11
	v_subrev_nc_u32_e32 v13, 28, v11
	v_sub_nc_u32_e32 v11, 29, v11
	v_lshlrev_b64 v[17:18], v13, v[5:6]
	v_and_b32_e32 v5, 7, v17
; %bb.540:                              ;   in Loop: Header=BB219_289 Depth=1
	s_or_b32 exec_lo, exec_lo, s16
	v_lshlrev_b32_e32 v13, 16, v74
	v_lshlrev_b32_e32 v5, 20, v5
	v_lshl_add_u32 v11, v11, 23, 0x3c000000
	v_mov_b32_e32 v17, v6
	v_and_b32_e32 v13, 0x80000000, v13
	v_or3_b32 v18, v5, v13, v11
.LBB219_541:                            ;   in Loop: Header=BB219_289 Depth=1
	s_or_b32 exec_lo, exec_lo, s15
.LBB219_542:                            ;   in Loop: Header=BB219_289 Depth=1
	s_or_b32 exec_lo, exec_lo, s14
.LBB219_543:                            ;   in Loop: Header=BB219_289 Depth=1
	s_or_b32 exec_lo, exec_lo, s13
	v_mov_b32_e32 v21, 0
	v_mov_b32_e32 v19, 0
	v_and_b32_sdwa v5, v74, v42 dst_sel:DWORD dst_unused:UNUSED_PAD src0_sel:WORD_1 src1_sel:DWORD
	v_mov_b32_e32 v22, 0
	v_mov_b32_e32 v20, 0
	s_mov_b32 s13, exec_lo
	v_cmpx_ne_u16_e32 0, v5
	s_cbranch_execz .LBB219_551
; %bb.544:                              ;   in Loop: Header=BB219_289 Depth=1
	v_bfrev_b32_e32 v19, 1
	v_mov_b32_e32 v20, 0
	s_mov_b32 s14, exec_lo
	v_cmpx_ne_u16_e32 0x80, v5
	s_cbranch_execz .LBB219_550
; %bb.545:                              ;   in Loop: Header=BB219_289 Depth=1
	v_mov_b32_e32 v19, 0x7f800001
	v_bfe_u32 v13, v74, 16, 7
	v_mov_b32_e32 v20, 0
	s_mov_b32 s15, exec_lo
	v_cmpx_ne_u32_e32 0x7f, v13
	s_cbranch_execz .LBB219_549
; %bb.546:                              ;   in Loop: Header=BB219_289 Depth=1
	v_and_b32_sdwa v5, v74, v43 dst_sel:DWORD dst_unused:UNUSED_PAD src0_sel:WORD_1 src1_sel:DWORD
	v_lshrrev_b32_e32 v11, 3, v13
	s_mov_b32 s16, exec_lo
	v_cmpx_gt_u32_e32 8, v13
; %bb.547:                              ;   in Loop: Header=BB219_289 Depth=1
	v_ffbh_u32_e32 v11, v5
	v_min_u32_e32 v11, 32, v11
	v_subrev_nc_u32_e32 v13, 28, v11
	v_sub_nc_u32_e32 v11, 29, v11
	v_lshlrev_b64 v[19:20], v13, v[5:6]
	v_and_b32_e32 v5, 7, v19
; %bb.548:                              ;   in Loop: Header=BB219_289 Depth=1
	s_or_b32 exec_lo, exec_lo, s16
	v_lshlrev_b32_sdwa v13, v44, v74 dst_sel:DWORD dst_unused:UNUSED_PAD src0_sel:DWORD src1_sel:WORD_1
	v_lshlrev_b32_e32 v5, 20, v5
	v_lshl_add_u32 v11, v11, 23, 0x3c000000
	v_and_b32_e32 v13, 0x80000000, v13
	v_or3_b32 v5, v5, v13, v11
	v_mov_b32_e32 v20, v6
	v_mov_b32_e32 v19, v5
.LBB219_549:                            ;   in Loop: Header=BB219_289 Depth=1
	s_or_b32 exec_lo, exec_lo, s15
.LBB219_550:                            ;   in Loop: Header=BB219_289 Depth=1
	s_or_b32 exec_lo, exec_lo, s14
.LBB219_551:                            ;   in Loop: Header=BB219_289 Depth=1
	s_or_b32 exec_lo, exec_lo, s13
	s_mov_b32 s13, exec_lo
	v_cmpx_lt_u32_e32 0xffffff, v74
	s_cbranch_execz .LBB219_559
; %bb.552:                              ;   in Loop: Header=BB219_289 Depth=1
	v_mov_b32_e32 v11, v6
	v_mov_b32_e32 v22, v12
	v_cmp_ne_u32_sdwa s1, v74, v40 src0_sel:BYTE_3 src1_sel:DWORD
	v_mov_b32_e32 v21, v11
	s_and_saveexec_b32 s14, s1
	s_cbranch_execz .LBB219_558
; %bb.553:                              ;   in Loop: Header=BB219_289 Depth=1
	v_mov_b32_e32 v13, v6
	v_mov_b32_e32 v22, v14
	v_bfe_u32 v75, v74, 24, 7
	s_mov_b32 s15, exec_lo
	v_mov_b32_e32 v21, v13
	v_cmpx_ne_u32_e32 0x7f, v75
	s_cbranch_execz .LBB219_557
; %bb.554:                              ;   in Loop: Header=BB219_289 Depth=1
	v_and_b32_sdwa v5, v74, v43 dst_sel:DWORD dst_unused:UNUSED_PAD src0_sel:BYTE_3 src1_sel:DWORD
	v_lshrrev_b32_e32 v11, 3, v75
	s_mov_b32 s16, exec_lo
	v_cmpx_gt_u32_e32 8, v75
; %bb.555:                              ;   in Loop: Header=BB219_289 Depth=1
	v_ffbh_u32_e32 v11, v5
	v_min_u32_e32 v11, 32, v11
	v_subrev_nc_u32_e32 v13, 28, v11
	v_sub_nc_u32_e32 v11, 29, v11
	v_lshlrev_b64 v[21:22], v13, v[5:6]
	v_and_b32_e32 v5, 7, v21
; %bb.556:                              ;   in Loop: Header=BB219_289 Depth=1
	s_or_b32 exec_lo, exec_lo, s16
	v_lshlrev_b32_sdwa v13, v44, v74 dst_sel:DWORD dst_unused:UNUSED_PAD src0_sel:DWORD src1_sel:BYTE_3
	v_lshlrev_b32_e32 v5, 20, v5
	v_lshl_add_u32 v11, v11, 23, 0x3c000000
	v_mov_b32_e32 v21, v6
	v_and_b32_e32 v13, 0x80000000, v13
	v_or3_b32 v22, v5, v13, v11
.LBB219_557:                            ;   in Loop: Header=BB219_289 Depth=1
	s_or_b32 exec_lo, exec_lo, s15
.LBB219_558:                            ;   in Loop: Header=BB219_289 Depth=1
	s_or_b32 exec_lo, exec_lo, s14
.LBB219_559:                            ;   in Loop: Header=BB219_289 Depth=1
	s_or_b32 exec_lo, exec_lo, s13
	v_or_b32_e32 v5, v18, v16
	v_or_b32_e32 v11, v17, v15
	;; [unrolled: 1-line block ×4, first 2 shown]
	v_mul_f32_e32 v13, s9, v5
	v_mul_f32_e32 v15, s4, v11
	;; [unrolled: 1-line block ×4, first 2 shown]
	s_and_saveexec_b32 s1, vcc_lo
	s_cbranch_execz .LBB219_288
; %bb.560:                              ;   in Loop: Header=BB219_289 Depth=1
	v_cmp_gt_i32_e32 vcc_lo, s27, v49
	v_cndmask_b32_e32 v15, 0, v15, vcc_lo
	v_cmp_gt_i32_e32 vcc_lo, s27, v51
	v_cndmask_b32_e32 v13, 0, v13, vcc_lo
	;; [unrolled: 2-line block ×4, first 2 shown]
	s_branch .LBB219_288
.LBB219_561:
	s_or_b32 exec_lo, exec_lo, s6
.LBB219_562:
	s_or_b32 exec_lo, exec_lo, s3
	ds_bpermute_b32 v1, v26, v36
	ds_bpermute_b32 v2, v26, v38
	;; [unrolled: 1-line block ×8, first 2 shown]
	v_and_b32_e32 v10, 28, v25
	v_lshrrev_b32_e32 v9, 2, v25
	v_lshlrev_b32_e32 v11, 8, v109
	v_and_b32_e32 v20, 0x3c3, v0
	s_mov_b32 s1, exec_lo
	v_add_nc_u32_e32 v10, 0x120, v10
	s_waitcnt lgkmcnt(0)
	s_waitcnt_vscnt null, 0x0
	s_barrier
	buffer_gl0_inv
	v_add_f32_e32 v1, v36, v1
	v_add_f32_e32 v2, v38, v2
	;; [unrolled: 1-line block ×8, first 2 shown]
	ds_bpermute_b32 v12, v27, v1
	ds_bpermute_b32 v13, v27, v2
	;; [unrolled: 1-line block ×8, first 2 shown]
	s_waitcnt lgkmcnt(7)
	v_add_f32_e32 v1, v1, v12
	s_waitcnt lgkmcnt(6)
	v_add_f32_e32 v2, v2, v13
	;; [unrolled: 2-line block ×8, first 2 shown]
	v_cmpx_eq_u32_e32 64, v20
	s_cbranch_execz .LBB219_564
; %bb.563:
	v_add_nc_u32_e32 v12, v10, v11
	v_add_nc_u32_e32 v13, 0xfffffe00, v12
	;; [unrolled: 1-line block ×9, first 2 shown]
	ds_write_b32 v13, v1
	ds_write_b32 v14, v2
	;; [unrolled: 1-line block ×8, first 2 shown]
.LBB219_564:
	s_or_b32 exec_lo, exec_lo, s1
	v_lshlrev_b32_e32 v9, 2, v9
	s_mov_b32 s3, exec_lo
	v_cmp_eq_u32_e32 vcc_lo, 0, v28
	s_waitcnt lgkmcnt(0)
	s_barrier
	v_add3_u32 v9, 0x120, v11, v9
	buffer_gl0_inv
	v_cmpx_gt_u32_e32 64, v0
	s_cbranch_execz .LBB219_575
; %bb.565:
	s_and_saveexec_b32 s1, vcc_lo
	s_cbranch_execnz .LBB219_591
; %bb.566:
	s_or_b32 exec_lo, exec_lo, s1
	s_and_saveexec_b32 s1, vcc_lo
	s_cbranch_execnz .LBB219_592
.LBB219_567:
	s_or_b32 exec_lo, exec_lo, s1
	s_and_saveexec_b32 s1, vcc_lo
	s_cbranch_execnz .LBB219_593
.LBB219_568:
	s_or_b32 exec_lo, exec_lo, s1
	s_and_saveexec_b32 s1, vcc_lo
	s_cbranch_execnz .LBB219_594
.LBB219_569:
	s_or_b32 exec_lo, exec_lo, s1
	s_and_saveexec_b32 s1, vcc_lo
	s_cbranch_execnz .LBB219_595
.LBB219_570:
	s_or_b32 exec_lo, exec_lo, s1
	s_and_saveexec_b32 s1, vcc_lo
	s_cbranch_execnz .LBB219_596
.LBB219_571:
	s_or_b32 exec_lo, exec_lo, s1
	s_and_saveexec_b32 s1, vcc_lo
	s_cbranch_execnz .LBB219_597
.LBB219_572:
	s_or_b32 exec_lo, exec_lo, s1
	s_and_saveexec_b32 s1, vcc_lo
	s_cbranch_execz .LBB219_574
.LBB219_573:
	ds_read_b32 v11, v9 offset:224
	s_waitcnt lgkmcnt(0)
	v_add_f32_e32 v8, v8, v11
.LBB219_574:
	s_or_b32 exec_lo, exec_lo, s1
.LBB219_575:
	s_or_b32 exec_lo, exec_lo, s3
	v_and_b32_e32 v11, 0x3e3, v0
	s_mov_b32 s3, exec_lo
	s_barrier
	buffer_gl0_inv
	v_cmpx_eq_u32_e32 32, v11
	s_cbranch_execz .LBB219_577
; %bb.576:
	ds_write2_b32 v10, v1, v2 offset1:8
	ds_write2_b32 v10, v3, v4 offset0:16 offset1:24
	ds_write2_b32 v10, v5, v6 offset0:32 offset1:40
	;; [unrolled: 1-line block ×3, first 2 shown]
.LBB219_577:
	s_or_b32 exec_lo, exec_lo, s3
	s_waitcnt lgkmcnt(0)
	s_barrier
	buffer_gl0_inv
	s_and_saveexec_b32 s1, s0
	s_cbranch_execz .LBB219_588
; %bb.578:
	s_and_saveexec_b32 s0, vcc_lo
	s_cbranch_execnz .LBB219_598
; %bb.579:
	s_or_b32 exec_lo, exec_lo, s0
	s_and_saveexec_b32 s0, vcc_lo
	s_cbranch_execnz .LBB219_599
.LBB219_580:
	s_or_b32 exec_lo, exec_lo, s0
	s_and_saveexec_b32 s0, vcc_lo
	s_cbranch_execnz .LBB219_600
.LBB219_581:
	s_or_b32 exec_lo, exec_lo, s0
	s_and_saveexec_b32 s0, vcc_lo
	s_cbranch_execnz .LBB219_601
.LBB219_582:
	s_or_b32 exec_lo, exec_lo, s0
	s_and_saveexec_b32 s0, vcc_lo
	s_cbranch_execnz .LBB219_602
.LBB219_583:
	s_or_b32 exec_lo, exec_lo, s0
	s_and_saveexec_b32 s0, vcc_lo
	s_cbranch_execnz .LBB219_603
.LBB219_584:
	s_or_b32 exec_lo, exec_lo, s0
	s_and_saveexec_b32 s0, vcc_lo
	s_cbranch_execnz .LBB219_604
.LBB219_585:
	s_or_b32 exec_lo, exec_lo, s0
	s_and_saveexec_b32 s0, vcc_lo
	s_cbranch_execz .LBB219_587
.LBB219_586:
	ds_read_b32 v9, v9 offset:224
	s_waitcnt lgkmcnt(0)
	v_add_f32_e32 v8, v8, v9
.LBB219_587:
	s_or_b32 exec_lo, exec_lo, s0
.LBB219_588:
	s_or_b32 exec_lo, exec_lo, s1
	s_barrier
	buffer_gl0_inv
	s_mov_b32 s0, exec_lo
	v_cmpx_eq_u32_e32 0, v11
	s_cbranch_execz .LBB219_590
; %bb.589:
	s_lshl_b32 s0, s2, 6
	s_mul_i32 s2, s7, s10
	s_ashr_i32 s1, s0, 31
	s_lshl_b64 s[0:1], s[0:1], 2
	s_add_u32 s4, s24, s0
	s_addc_u32 s5, s25, s1
	s_ashr_i32 s3, s2, 31
	s_lshl_b64 s[0:1], s[2:3], 2
	s_add_u32 s2, s4, s0
	s_addc_u32 s3, s5, s1
	s_lshl_b32 s0, s8, 6
	s_ashr_i32 s1, s0, 31
	s_lshl_b64 s[0:1], s[0:1], 2
	s_add_u32 s0, s2, s0
	s_addc_u32 s1, s3, s1
	global_store_dword v0, v1, s[0:1]
	global_store_dword v0, v2, s[0:1] offset:32
	global_store_dword v0, v3, s[0:1] offset:64
	;; [unrolled: 1-line block ×7, first 2 shown]
.LBB219_590:
	s_endpgm
.LBB219_591:
	ds_read_b32 v11, v9
	s_waitcnt lgkmcnt(0)
	v_add_f32_e32 v1, v1, v11
	s_or_b32 exec_lo, exec_lo, s1
	s_and_saveexec_b32 s1, vcc_lo
	s_cbranch_execz .LBB219_567
.LBB219_592:
	ds_read_b32 v11, v9 offset:32
	s_waitcnt lgkmcnt(0)
	v_add_f32_e32 v2, v2, v11
	s_or_b32 exec_lo, exec_lo, s1
	s_and_saveexec_b32 s1, vcc_lo
	s_cbranch_execz .LBB219_568
.LBB219_593:
	ds_read_b32 v11, v9 offset:64
	s_waitcnt lgkmcnt(0)
	v_add_f32_e32 v3, v3, v11
	s_or_b32 exec_lo, exec_lo, s1
	s_and_saveexec_b32 s1, vcc_lo
	s_cbranch_execz .LBB219_569
.LBB219_594:
	ds_read_b32 v11, v9 offset:96
	s_waitcnt lgkmcnt(0)
	v_add_f32_e32 v4, v4, v11
	s_or_b32 exec_lo, exec_lo, s1
	s_and_saveexec_b32 s1, vcc_lo
	s_cbranch_execz .LBB219_570
.LBB219_595:
	ds_read_b32 v11, v9 offset:128
	s_waitcnt lgkmcnt(0)
	v_add_f32_e32 v5, v5, v11
	s_or_b32 exec_lo, exec_lo, s1
	s_and_saveexec_b32 s1, vcc_lo
	s_cbranch_execz .LBB219_571
.LBB219_596:
	ds_read_b32 v11, v9 offset:160
	s_waitcnt lgkmcnt(0)
	v_add_f32_e32 v6, v6, v11
	s_or_b32 exec_lo, exec_lo, s1
	s_and_saveexec_b32 s1, vcc_lo
	s_cbranch_execz .LBB219_572
.LBB219_597:
	ds_read_b32 v11, v9 offset:192
	s_waitcnt lgkmcnt(0)
	v_add_f32_e32 v7, v7, v11
	s_or_b32 exec_lo, exec_lo, s1
	s_and_saveexec_b32 s1, vcc_lo
	s_cbranch_execnz .LBB219_573
	s_branch .LBB219_574
.LBB219_598:
	ds_read_b32 v10, v9
	s_waitcnt lgkmcnt(0)
	v_add_f32_e32 v1, v1, v10
	s_or_b32 exec_lo, exec_lo, s0
	s_and_saveexec_b32 s0, vcc_lo
	s_cbranch_execz .LBB219_580
.LBB219_599:
	ds_read_b32 v10, v9 offset:32
	s_waitcnt lgkmcnt(0)
	v_add_f32_e32 v2, v2, v10
	s_or_b32 exec_lo, exec_lo, s0
	s_and_saveexec_b32 s0, vcc_lo
	s_cbranch_execz .LBB219_581
.LBB219_600:
	ds_read_b32 v10, v9 offset:64
	s_waitcnt lgkmcnt(0)
	v_add_f32_e32 v3, v3, v10
	s_or_b32 exec_lo, exec_lo, s0
	s_and_saveexec_b32 s0, vcc_lo
	s_cbranch_execz .LBB219_582
.LBB219_601:
	ds_read_b32 v10, v9 offset:96
	s_waitcnt lgkmcnt(0)
	v_add_f32_e32 v4, v4, v10
	s_or_b32 exec_lo, exec_lo, s0
	s_and_saveexec_b32 s0, vcc_lo
	s_cbranch_execz .LBB219_583
.LBB219_602:
	ds_read_b32 v10, v9 offset:128
	s_waitcnt lgkmcnt(0)
	v_add_f32_e32 v5, v5, v10
	s_or_b32 exec_lo, exec_lo, s0
	s_and_saveexec_b32 s0, vcc_lo
	s_cbranch_execz .LBB219_584
.LBB219_603:
	ds_read_b32 v10, v9 offset:160
	s_waitcnt lgkmcnt(0)
	v_add_f32_e32 v6, v6, v10
	s_or_b32 exec_lo, exec_lo, s0
	s_and_saveexec_b32 s0, vcc_lo
	s_cbranch_execz .LBB219_585
.LBB219_604:
	ds_read_b32 v10, v9 offset:192
	s_waitcnt lgkmcnt(0)
	v_add_f32_e32 v7, v7, v10
	s_or_b32 exec_lo, exec_lo, s0
	s_and_saveexec_b32 s0, vcc_lo
	s_cbranch_execnz .LBB219_586
	s_branch .LBB219_587
	.section	.rodata,"a",@progbits
	.p2align	6, 0x0
	.amdhsa_kernel _ZN4vllm25paged_attention_v2_kernelIfhLi64ELi16ELi128ELNS_18Fp8KVCacheDataTypeE1ELb0ELi512EEEvPfS2_PT_PKS3_PKT0_S9_ifPKiSB_iPKfiiiSD_SD_iiiii
		.amdhsa_group_segment_fixed_size 288
		.amdhsa_private_segment_fixed_size 0
		.amdhsa_kernarg_size 400
		.amdhsa_user_sgpr_count 6
		.amdhsa_user_sgpr_private_segment_buffer 1
		.amdhsa_user_sgpr_dispatch_ptr 0
		.amdhsa_user_sgpr_queue_ptr 0
		.amdhsa_user_sgpr_kernarg_segment_ptr 1
		.amdhsa_user_sgpr_dispatch_id 0
		.amdhsa_user_sgpr_flat_scratch_init 0
		.amdhsa_user_sgpr_private_segment_size 0
		.amdhsa_wavefront_size32 1
		.amdhsa_uses_dynamic_stack 0
		.amdhsa_system_sgpr_private_segment_wavefront_offset 0
		.amdhsa_system_sgpr_workgroup_id_x 1
		.amdhsa_system_sgpr_workgroup_id_y 1
		.amdhsa_system_sgpr_workgroup_id_z 1
		.amdhsa_system_sgpr_workgroup_info 0
		.amdhsa_system_vgpr_workitem_id 0
		.amdhsa_next_free_vgpr 122
		.amdhsa_next_free_sgpr 44
		.amdhsa_reserve_vcc 1
		.amdhsa_reserve_flat_scratch 0
		.amdhsa_float_round_mode_32 0
		.amdhsa_float_round_mode_16_64 0
		.amdhsa_float_denorm_mode_32 3
		.amdhsa_float_denorm_mode_16_64 3
		.amdhsa_dx10_clamp 1
		.amdhsa_ieee_mode 1
		.amdhsa_fp16_overflow 0
		.amdhsa_workgroup_processor_mode 1
		.amdhsa_memory_ordered 1
		.amdhsa_forward_progress 1
		.amdhsa_shared_vgpr_count 0
		.amdhsa_exception_fp_ieee_invalid_op 0
		.amdhsa_exception_fp_denorm_src 0
		.amdhsa_exception_fp_ieee_div_zero 0
		.amdhsa_exception_fp_ieee_overflow 0
		.amdhsa_exception_fp_ieee_underflow 0
		.amdhsa_exception_fp_ieee_inexact 0
		.amdhsa_exception_int_div_zero 0
	.end_amdhsa_kernel
	.section	.text._ZN4vllm25paged_attention_v2_kernelIfhLi64ELi16ELi128ELNS_18Fp8KVCacheDataTypeE1ELb0ELi512EEEvPfS2_PT_PKS3_PKT0_S9_ifPKiSB_iPKfiiiSD_SD_iiiii,"axG",@progbits,_ZN4vllm25paged_attention_v2_kernelIfhLi64ELi16ELi128ELNS_18Fp8KVCacheDataTypeE1ELb0ELi512EEEvPfS2_PT_PKS3_PKT0_S9_ifPKiSB_iPKfiiiSD_SD_iiiii,comdat
.Lfunc_end219:
	.size	_ZN4vllm25paged_attention_v2_kernelIfhLi64ELi16ELi128ELNS_18Fp8KVCacheDataTypeE1ELb0ELi512EEEvPfS2_PT_PKS3_PKT0_S9_ifPKiSB_iPKfiiiSD_SD_iiiii, .Lfunc_end219-_ZN4vllm25paged_attention_v2_kernelIfhLi64ELi16ELi128ELNS_18Fp8KVCacheDataTypeE1ELb0ELi512EEEvPfS2_PT_PKS3_PKT0_S9_ifPKiSB_iPKfiiiSD_SD_iiiii
                                        ; -- End function
	.set _ZN4vllm25paged_attention_v2_kernelIfhLi64ELi16ELi128ELNS_18Fp8KVCacheDataTypeE1ELb0ELi512EEEvPfS2_PT_PKS3_PKT0_S9_ifPKiSB_iPKfiiiSD_SD_iiiii.num_vgpr, 122
	.set _ZN4vllm25paged_attention_v2_kernelIfhLi64ELi16ELi128ELNS_18Fp8KVCacheDataTypeE1ELb0ELi512EEEvPfS2_PT_PKS3_PKT0_S9_ifPKiSB_iPKfiiiSD_SD_iiiii.num_agpr, 0
	.set _ZN4vllm25paged_attention_v2_kernelIfhLi64ELi16ELi128ELNS_18Fp8KVCacheDataTypeE1ELb0ELi512EEEvPfS2_PT_PKS3_PKT0_S9_ifPKiSB_iPKfiiiSD_SD_iiiii.numbered_sgpr, 44
	.set _ZN4vllm25paged_attention_v2_kernelIfhLi64ELi16ELi128ELNS_18Fp8KVCacheDataTypeE1ELb0ELi512EEEvPfS2_PT_PKS3_PKT0_S9_ifPKiSB_iPKfiiiSD_SD_iiiii.num_named_barrier, 0
	.set _ZN4vllm25paged_attention_v2_kernelIfhLi64ELi16ELi128ELNS_18Fp8KVCacheDataTypeE1ELb0ELi512EEEvPfS2_PT_PKS3_PKT0_S9_ifPKiSB_iPKfiiiSD_SD_iiiii.private_seg_size, 0
	.set _ZN4vllm25paged_attention_v2_kernelIfhLi64ELi16ELi128ELNS_18Fp8KVCacheDataTypeE1ELb0ELi512EEEvPfS2_PT_PKS3_PKT0_S9_ifPKiSB_iPKfiiiSD_SD_iiiii.uses_vcc, 1
	.set _ZN4vllm25paged_attention_v2_kernelIfhLi64ELi16ELi128ELNS_18Fp8KVCacheDataTypeE1ELb0ELi512EEEvPfS2_PT_PKS3_PKT0_S9_ifPKiSB_iPKfiiiSD_SD_iiiii.uses_flat_scratch, 0
	.set _ZN4vllm25paged_attention_v2_kernelIfhLi64ELi16ELi128ELNS_18Fp8KVCacheDataTypeE1ELb0ELi512EEEvPfS2_PT_PKS3_PKT0_S9_ifPKiSB_iPKfiiiSD_SD_iiiii.has_dyn_sized_stack, 0
	.set _ZN4vllm25paged_attention_v2_kernelIfhLi64ELi16ELi128ELNS_18Fp8KVCacheDataTypeE1ELb0ELi512EEEvPfS2_PT_PKS3_PKT0_S9_ifPKiSB_iPKfiiiSD_SD_iiiii.has_recursion, 0
	.set _ZN4vllm25paged_attention_v2_kernelIfhLi64ELi16ELi128ELNS_18Fp8KVCacheDataTypeE1ELb0ELi512EEEvPfS2_PT_PKS3_PKT0_S9_ifPKiSB_iPKfiiiSD_SD_iiiii.has_indirect_call, 0
	.section	.AMDGPU.csdata,"",@progbits
; Kernel info:
; codeLenInByte = 18188
; TotalNumSgprs: 46
; NumVgprs: 122
; ScratchSize: 0
; MemoryBound: 0
; FloatMode: 240
; IeeeMode: 1
; LDSByteSize: 288 bytes/workgroup (compile time only)
; SGPRBlocks: 0
; VGPRBlocks: 15
; NumSGPRsForWavesPerEU: 46
; NumVGPRsForWavesPerEU: 122
; Occupancy: 8
; WaveLimiterHint : 1
; COMPUTE_PGM_RSRC2:SCRATCH_EN: 0
; COMPUTE_PGM_RSRC2:USER_SGPR: 6
; COMPUTE_PGM_RSRC2:TRAP_HANDLER: 0
; COMPUTE_PGM_RSRC2:TGID_X_EN: 1
; COMPUTE_PGM_RSRC2:TGID_Y_EN: 1
; COMPUTE_PGM_RSRC2:TGID_Z_EN: 1
; COMPUTE_PGM_RSRC2:TIDIG_COMP_CNT: 0
	.section	.text._ZN4vllm25paged_attention_v2_kernelIfhLi80ELi16ELi128ELNS_18Fp8KVCacheDataTypeE1ELb0ELi512EEEvPfS2_PT_PKS3_PKT0_S9_ifPKiSB_iPKfiiiSD_SD_iiiii,"axG",@progbits,_ZN4vllm25paged_attention_v2_kernelIfhLi80ELi16ELi128ELNS_18Fp8KVCacheDataTypeE1ELb0ELi512EEEvPfS2_PT_PKS3_PKT0_S9_ifPKiSB_iPKfiiiSD_SD_iiiii,comdat
	.protected	_ZN4vllm25paged_attention_v2_kernelIfhLi80ELi16ELi128ELNS_18Fp8KVCacheDataTypeE1ELb0ELi512EEEvPfS2_PT_PKS3_PKT0_S9_ifPKiSB_iPKfiiiSD_SD_iiiii ; -- Begin function _ZN4vllm25paged_attention_v2_kernelIfhLi80ELi16ELi128ELNS_18Fp8KVCacheDataTypeE1ELb0ELi512EEEvPfS2_PT_PKS3_PKT0_S9_ifPKiSB_iPKfiiiSD_SD_iiiii
	.globl	_ZN4vllm25paged_attention_v2_kernelIfhLi80ELi16ELi128ELNS_18Fp8KVCacheDataTypeE1ELb0ELi512EEEvPfS2_PT_PKS3_PKT0_S9_ifPKiSB_iPKfiiiSD_SD_iiiii
	.p2align	8
	.type	_ZN4vllm25paged_attention_v2_kernelIfhLi80ELi16ELi128ELNS_18Fp8KVCacheDataTypeE1ELb0ELi512EEEvPfS2_PT_PKS3_PKT0_S9_ifPKiSB_iPKfiiiSD_SD_iiiii,@function
_ZN4vllm25paged_attention_v2_kernelIfhLi80ELi16ELi128ELNS_18Fp8KVCacheDataTypeE1ELb0ELi512EEEvPfS2_PT_PKS3_PKT0_S9_ifPKiSB_iPKfiiiSD_SD_iiiii: ; @_ZN4vllm25paged_attention_v2_kernelIfhLi80ELi16ELi128ELNS_18Fp8KVCacheDataTypeE1ELb0ELi512EEEvPfS2_PT_PKS3_PKT0_S9_ifPKiSB_iPKfiiiSD_SD_iiiii
; %bb.0:
	s_mov_b64 s[46:47], s[2:3]
	s_mov_b64 s[44:45], s[0:1]
	s_load_dwordx2 s[0:1], s[4:5], 0x40
	s_add_u32 s44, s44, s9
	s_addc_u32 s45, s45, 0
	s_mov_b32 s26, s7
	s_ashr_i32 s27, s7, 31
	s_lshl_b64 s[2:3], s[26:27], 2
	s_waitcnt lgkmcnt(0)
	s_add_u32 s0, s0, s2
	s_addc_u32 s1, s1, s3
	s_lshl_b32 s33, s8, 9
	s_load_dword s27, s[0:1], 0x0
	s_waitcnt lgkmcnt(0)
	s_cmp_ge_i32 s33, s27
	s_cbranch_scc1 .LBB220_726
; %bb.1:
	s_clause 0x1
	s_load_dword s9, s[4:5], 0x90
	s_load_dwordx2 s[36:37], s[4:5], 0x30
	v_mov_b32_e32 v85, v0
	s_waitcnt lgkmcnt(0)
	s_abs_i32 s3, s9
	s_abs_i32 s0, s36
	v_cvt_f32_u32_e32 v0, s0
	s_sub_i32 s2, 0, s0
	v_rcp_iflag_f32_e32 v0, v0
	v_mul_f32_e32 v0, 0x4f7ffffe, v0
	v_cvt_u32_f32_e32 v0, v0
	v_readfirstlane_b32 s1, v0
	s_mul_i32 s2, s2, s1
	s_mul_hi_u32 s2, s1, s2
	s_add_i32 s1, s1, s2
	s_xor_b32 s2, s9, s36
	s_mul_hi_u32 s1, s3, s1
	s_ashr_i32 s2, s2, 31
	s_mul_i32 s7, s1, s0
	s_mov_b32 s36, 0
	s_sub_i32 s3, s3, s7
	s_add_i32 s7, s1, 1
	s_sub_i32 s10, s3, s0
	s_cmp_ge_u32 s3, s0
	s_cselect_b32 s1, s7, s1
	s_cselect_b32 s3, s10, s3
	s_add_i32 s7, s1, 1
	s_cmp_ge_u32 s3, s0
	s_cselect_b32 s0, s7, s1
	s_abs_i32 s16, s6
	s_xor_b32 s0, s0, s2
	s_sub_i32 s10, s0, s2
	s_load_dwordx2 s[0:1], s[4:5], 0x50
	s_abs_i32 s2, s10
	v_cvt_f32_u32_e32 v0, s2
	s_sub_i32 s7, 0, s2
	v_rcp_iflag_f32_e32 v0, v0
	v_mul_f32_e32 v0, 0x4f7ffffe, v0
	v_cvt_u32_f32_e32 v0, v0
	v_readfirstlane_b32 s3, v0
	s_mul_i32 s7, s7, s3
	s_mul_hi_u32 s7, s3, s7
	s_add_i32 s3, s3, s7
	s_waitcnt lgkmcnt(0)
	s_cmp_eq_u64 s[0:1], 0
	s_mul_hi_u32 s3, s16, s3
	s_cbranch_scc1 .LBB220_3
; %bb.2:
	s_ashr_i32 s7, s6, 31
	s_lshl_b64 s[12:13], s[6:7], 2
	s_add_u32 s0, s0, s12
	s_addc_u32 s1, s1, s13
	s_load_dword s36, s[0:1], 0x0
.LBB220_3:
	s_load_dwordx4 s[12:15], s[4:5], 0x58
	v_and_b32_e32 v0, 1, v85
	v_lshlrev_b32_e32 v11, 2, v85
	s_ashr_i32 s0, s6, 31
	s_ashr_i32 s1, s10, 31
	s_mul_i32 s10, s6, 0x50
	s_mov_b32 s7, exec_lo
	v_cmpx_gt_u32_e32 40, v85
	s_cbranch_execz .LBB220_5
; %bb.4:
	s_load_dwordx2 s[18:19], s[4:5], 0x18
	s_waitcnt lgkmcnt(0)
	s_mul_i32 s20, s12, s26
	v_lshlrev_b32_e32 v1, 3, v85
	s_ashr_i32 s21, s20, 31
	v_and_b32_e32 v3, 0xff8, v11
	s_lshl_b64 s[20:21], s[20:21], 2
	v_mad_u32_u24 v3, 0xa0, v0, v3
	s_add_u32 s12, s18, s20
	s_addc_u32 s15, s19, s21
	s_ashr_i32 s11, s10, 31
	s_lshl_b64 s[18:19], s[10:11], 2
	s_add_u32 s18, s12, s18
	s_addc_u32 s19, s15, s19
	global_load_dwordx2 v[1:2], v1, s[18:19]
	s_waitcnt vmcnt(0)
	ds_write_b64 v3, v[1:2]
.LBB220_5:
	s_or_b32 exec_lo, exec_lo, s7
	s_add_i32 s7, s27, 15
	s_clause 0x1
	s_load_dwordx2 s[28:29], s[4:5], 0x38
	s_load_dword s17, s[4:5], 0x48
	s_ashr_i32 s11, s7, 31
	s_waitcnt lgkmcnt(0)
	s_lshl_b32 s15, s8, 5
	s_lshr_b32 s11, s11, 28
	s_xor_b32 s0, s0, s1
	s_add_i32 s7, s7, s11
	s_add_i32 s1, s15, 32
	s_ashr_i32 s12, s7, 4
	s_mul_i32 s7, s3, s2
	s_min_i32 s11, s1, s12
	s_sub_i32 s1, s16, s7
	s_add_i32 s7, s3, 1
	s_sub_i32 s16, s1, s2
	s_cmp_ge_u32 s1, s2
	v_lshrrev_b32_e32 v86, 5, v85
	s_cselect_b32 s3, s7, s3
	s_cselect_b32 s1, s16, s1
	s_add_i32 s7, s3, 1
	s_cmp_ge_u32 s1, s2
	v_or_b32_e32 v41, s15, v86
	s_cselect_b32 s1, s7, s3
	v_mbcnt_lo_u32_b32 v28, -1, 0
	s_xor_b32 s1, s1, s0
	s_mul_i32 s30, s17, s26
	s_sub_i32 s1, s1, s0
	v_cmp_gt_i32_e64 s0, s11, v41
	s_ashr_i32 s31, s30, 31
	s_mov_b32 s2, exec_lo
	s_barrier
	buffer_gl0_inv
                                        ; implicit-def: $vgpr44
                                        ; implicit-def: $vgpr8
	v_cmpx_le_i32_e64 s11, v41
	s_xor_b32 s2, exec_lo, s2
; %bb.6:
	v_mov_b32_e32 v44, 0
	v_mbcnt_lo_u32_b32 v28, -1, 0
	v_mov_b32_e32 v8, 32
                                        ; implicit-def: $vgpr0
; %bb.7:
	s_or_saveexec_b32 s38, s2
	s_clause 0x4
	s_load_dwordx4 s[20:23], s[4:5], 0x0
	s_load_dwordx2 s[24:25], s[4:5], 0x10
	s_load_dword s7, s[4:5], 0x98
	s_load_dwordx2 s[34:35], s[4:5], 0x28
	s_load_dwordx4 s[16:19], s[4:5], 0x68
	v_mov_b32_e32 v3, 0xff7fffff
	v_ashrrev_i32_e32 v42, 31, v41
	s_mul_i32 s14, s1, s14
	s_xor_b32 exec_lo, exec_lo, s38
	s_cbranch_execz .LBB220_333
; %bb.8:
	v_mul_u32_u24_e32 v2, 0xa0, v0
	s_load_dwordx2 s[2:3], s[4:5], 0x20
	buffer_store_dword v11, off, s[44:47], 0 offset:56 ; 4-byte Folded Spill
	buffer_store_dword v85, off, s[44:47], 0 offset:48 ; 4-byte Folded Spill
	s_waitcnt lgkmcnt(0)
	s_load_dword s4, s[16:17], 0x0
	ds_read_b128 v[6:9], v2
	v_bfe_u32 v1, v85, 1, 4
	v_xor_b32_e32 v4, 1, v28
	s_ashr_i32 s1, s14, 31
	v_lshlrev_b32_e32 v3, 1, v0
	v_mov_b32_e32 v44, 0
	v_lshlrev_b32_e32 v5, 4, v1
	v_cmp_gt_i32_e32 vcc_lo, 32, v4
	v_bfrev_b32_e32 v56, 1
	v_mov_b32_e32 v52, 0x7f800001
	s_mov_b32 s17, s13
	s_mov_b32 s16, 0
	v_cndmask_b32_e32 v4, v28, v4, vcc_lo
	v_cmp_eq_u32_e32 vcc_lo, 0, v0
	v_lshlrev_b32_e32 v0, 4, v86
	s_waitcnt lgkmcnt(0)
	buffer_store_dword v6, off, s[44:47], 0 offset:4 ; 4-byte Folded Spill
	buffer_store_dword v7, off, s[44:47], 0 offset:8 ; 4-byte Folded Spill
	buffer_store_dword v8, off, s[44:47], 0 offset:12 ; 4-byte Folded Spill
	buffer_store_dword v9, off, s[44:47], 0 offset:16 ; 4-byte Folded Spill
	ds_read_b128 v[6:9], v2 offset:16
	s_add_u32 s2, s2, s14
	s_addc_u32 s1, s3, s1
	v_add_co_u32 v5, s2, s2, v5
	v_lshlrev_b32_e32 v4, 2, v4
	v_add3_u32 v127, s33, v0, v1
	s_sub_i32 s5, 1, s27
	s_mov_b32 s39, s4
	s_waitcnt lgkmcnt(0)
	buffer_store_dword v6, off, s[44:47], 0 offset:20 ; 4-byte Folded Spill
	buffer_store_dword v7, off, s[44:47], 0 offset:24 ; 4-byte Folded Spill
	;; [unrolled: 1-line block ×4, first 2 shown]
	v_add_co_ci_u32_e64 v6, null, s1, 0, s2
	v_add_co_u32 v5, s2, v5, v3
	ds_read_b128 v[9:12], v2 offset:32
	ds_read_b128 v[13:16], v2 offset:48
	;; [unrolled: 1-line block ×4, first 2 shown]
	v_add_co_ci_u32_e64 v6, null, 0, v6, s2
	buffer_store_dword v28, off, s[44:47], 0 offset:60 ; 4-byte Folded Spill
	ds_read_b128 v[25:28], v2 offset:96
	ds_read_b128 v[29:32], v2 offset:112
	buffer_store_dword v4, off, s[44:47], 0 offset:36 ; 4-byte Folded Spill
	buffer_store_dword v5, off, s[44:47], 0 offset:40 ; 4-byte Folded Spill
	;; [unrolled: 1-line block ×4, first 2 shown]
	ds_read_b128 v[33:36], v2 offset:128
	ds_read_b128 v[37:40], v2 offset:144
	v_lshlrev_b32_e32 v4, 2, v1
	v_lshlrev_b64 v[1:2], 2, v[41:42]
	s_lshl_b64 s[2:3], s[30:31], 2
	v_cmp_neq_f32_e64 s1, s36, 0
	s_add_u32 s2, s28, s2
	v_lshl_or_b32 v3, v86, 6, v4
	s_addc_u32 s3, s29, s3
	v_add_co_u32 v47, s2, s2, v1
	v_add_co_ci_u32_e64 v48, null, s3, v2, s2
	v_add_nc_u32_e32 v0, 0x160, v3
	v_mov_b32_e32 v1, 0xff7fffff
	v_mov_b32_e32 v5, 0x80
	;; [unrolled: 1-line block ×4, first 2 shown]
	buffer_store_dword v1, off, s[44:47], 0 ; 4-byte Folded Spill
	s_branch .LBB220_10
.LBB220_9:                              ;   in Loop: Header=BB220_10 Depth=1
	s_or_b32 exec_lo, exec_lo, s3
	v_add_nc_u32_e32 v7, 4, v7
	v_add_co_u32 v47, s3, v47, 16
	v_add_nc_u32_e32 v127, 64, v127
	v_add_nc_u32_e32 v0, 0x100, v0
	v_cmp_le_i32_e64 s2, s11, v7
	v_add_co_ci_u32_e64 v48, null, 0, v48, s3
	s_or_b32 s16, s2, s16
	s_andn2_b32 exec_lo, exec_lo, s16
	s_cbranch_execz .LBB220_332
.LBB220_10:                             ; =>This Inner Loop Header: Depth=1
	global_load_dword v1, v[47:48], off
	s_waitcnt lgkmcnt(0)
	s_clause 0x1
	buffer_load_dword v2, off, s[44:47], 0 offset:40
	buffer_load_dword v3, off, s[44:47], 0 offset:44
	v_mov_b32_e32 v45, 0
	v_mov_b32_e32 v53, 0
	;; [unrolled: 1-line block ×4, first 2 shown]
	s_waitcnt vmcnt(0)
	v_mad_i64_i32 v[61:62], null, v1, s17, v[2:3]
	global_load_ushort v2, v[61:62], off
	s_waitcnt vmcnt(0)
	v_and_b32_e32 v1, 0xffff, v2
	v_cmp_ne_u16_sdwa s2, v2, v44 src0_sel:BYTE_0 src1_sel:DWORD
	s_and_saveexec_b32 s3, s2
	s_cbranch_execz .LBB220_18
; %bb.11:                               ;   in Loop: Header=BB220_10 Depth=1
	v_bfrev_b32_e32 v53, 1
	v_mov_b32_e32 v54, 0
	v_cmp_ne_u16_sdwa s2, v1, v5 src0_sel:BYTE_0 src1_sel:DWORD
	s_and_saveexec_b32 s40, s2
	s_cbranch_execz .LBB220_17
; %bb.12:                               ;   in Loop: Header=BB220_10 Depth=1
	v_mov_b32_e32 v53, 0x7f800001
	v_and_b32_e32 v3, 0x7f, v1
	v_mov_b32_e32 v54, 0
	s_mov_b32 s41, exec_lo
	v_cmpx_ne_u32_e32 0x7f, v3
	s_cbranch_execz .LBB220_16
; %bb.13:                               ;   in Loop: Header=BB220_10 Depth=1
	v_and_b32_e32 v43, 7, v1
	v_lshrrev_b32_e32 v2, 3, v3
	s_mov_b32 s42, exec_lo
	v_cmpx_gt_u32_e32 8, v3
; %bb.14:                               ;   in Loop: Header=BB220_10 Depth=1
	v_ffbh_u32_e32 v2, v43
	v_min_u32_e32 v2, 32, v2
	v_subrev_nc_u32_e32 v3, 28, v2
	v_sub_nc_u32_e32 v2, 29, v2
	v_lshlrev_b64 v[3:4], v3, v[43:44]
	v_and_b32_e32 v43, 7, v3
; %bb.15:                               ;   in Loop: Header=BB220_10 Depth=1
	s_or_b32 exec_lo, exec_lo, s42
	v_lshlrev_b32_e32 v3, 24, v1
	v_lshlrev_b32_e32 v4, 20, v43
	v_lshl_add_u32 v2, v2, 23, 0x3c000000
	v_and_b32_e32 v3, 0x80000000, v3
	v_or3_b32 v43, v4, v3, v2
	v_mov_b32_e32 v54, v44
	v_mov_b32_e32 v53, v43
.LBB220_16:                             ;   in Loop: Header=BB220_10 Depth=1
	s_or_b32 exec_lo, exec_lo, s41
.LBB220_17:                             ;   in Loop: Header=BB220_10 Depth=1
	s_or_b32 exec_lo, exec_lo, s40
.LBB220_18:                             ;   in Loop: Header=BB220_10 Depth=1
	s_or_b32 exec_lo, exec_lo, s3
	v_cmp_ne_u16_sdwa s2, v1, v44 src0_sel:BYTE_1 src1_sel:DWORD
	s_and_saveexec_b32 s3, s2
	s_cbranch_execz .LBB220_26
; %bb.19:                               ;   in Loop: Header=BB220_10 Depth=1
	v_mov_b32_e32 v55, v44
	v_cmp_ne_u16_sdwa s2, v1, v5 src0_sel:BYTE_1 src1_sel:DWORD
	v_mov_b32_e32 v45, v55
	v_mov_b32_e32 v46, v56
	s_and_saveexec_b32 s40, s2
	s_cbranch_execz .LBB220_25
; %bb.20:                               ;   in Loop: Header=BB220_10 Depth=1
	v_mov_b32_e32 v51, v44
	v_and_b32_sdwa v2, v6, v1 dst_sel:DWORD dst_unused:UNUSED_PAD src0_sel:DWORD src1_sel:BYTE_1
	s_mov_b32 s41, exec_lo
	v_mov_b32_e32 v45, v51
	v_and_b32_e32 v3, 0x7f, v2
	v_mov_b32_e32 v46, v52
	v_cmpx_ne_u32_e32 0x7f, v3
	s_cbranch_execz .LBB220_24
; %bb.21:                               ;   in Loop: Header=BB220_10 Depth=1
	v_and_b32_e32 v43, 7, v2
	v_lshrrev_b32_e32 v2, 3, v3
	s_mov_b32 s42, exec_lo
	v_cmpx_gt_u32_e32 8, v3
; %bb.22:                               ;   in Loop: Header=BB220_10 Depth=1
	v_ffbh_u32_e32 v2, v43
	v_min_u32_e32 v2, 32, v2
	v_subrev_nc_u32_e32 v3, 28, v2
	v_sub_nc_u32_e32 v2, 29, v2
	v_lshlrev_b64 v[3:4], v3, v[43:44]
	v_and_b32_e32 v43, 7, v3
; %bb.23:                               ;   in Loop: Header=BB220_10 Depth=1
	s_or_b32 exec_lo, exec_lo, s42
	v_lshlrev_b32_e32 v1, 16, v1
	v_lshlrev_b32_e32 v3, 20, v43
	v_lshl_add_u32 v2, v2, 23, 0x3c000000
	v_mov_b32_e32 v45, v44
	v_and_b32_e32 v1, 0x80000000, v1
	v_or3_b32 v46, v3, v1, v2
.LBB220_24:                             ;   in Loop: Header=BB220_10 Depth=1
	s_or_b32 exec_lo, exec_lo, s41
.LBB220_25:                             ;   in Loop: Header=BB220_10 Depth=1
	s_or_b32 exec_lo, exec_lo, s40
.LBB220_26:                             ;   in Loop: Header=BB220_10 Depth=1
	s_or_b32 exec_lo, exec_lo, s3
	global_load_ushort v2, v[61:62], off offset:4
	v_mov_b32_e32 v59, 0
	v_mov_b32_e32 v57, 0
	;; [unrolled: 1-line block ×4, first 2 shown]
	s_waitcnt vmcnt(0)
	v_and_b32_e32 v1, 0xffff, v2
	v_cmp_ne_u16_sdwa s2, v2, v44 src0_sel:BYTE_0 src1_sel:DWORD
	s_and_saveexec_b32 s3, s2
	s_cbranch_execz .LBB220_34
; %bb.27:                               ;   in Loop: Header=BB220_10 Depth=1
	v_bfrev_b32_e32 v57, 1
	v_mov_b32_e32 v58, 0
	v_cmp_ne_u16_sdwa s2, v1, v5 src0_sel:BYTE_0 src1_sel:DWORD
	s_and_saveexec_b32 s40, s2
	s_cbranch_execz .LBB220_33
; %bb.28:                               ;   in Loop: Header=BB220_10 Depth=1
	v_mov_b32_e32 v57, 0x7f800001
	v_and_b32_e32 v3, 0x7f, v1
	v_mov_b32_e32 v58, 0
	s_mov_b32 s41, exec_lo
	v_cmpx_ne_u32_e32 0x7f, v3
	s_cbranch_execz .LBB220_32
; %bb.29:                               ;   in Loop: Header=BB220_10 Depth=1
	v_and_b32_e32 v43, 7, v1
	v_lshrrev_b32_e32 v2, 3, v3
	s_mov_b32 s42, exec_lo
	v_cmpx_gt_u32_e32 8, v3
; %bb.30:                               ;   in Loop: Header=BB220_10 Depth=1
	v_ffbh_u32_e32 v2, v43
	v_min_u32_e32 v2, 32, v2
	v_subrev_nc_u32_e32 v3, 28, v2
	v_sub_nc_u32_e32 v2, 29, v2
	v_lshlrev_b64 v[3:4], v3, v[43:44]
	v_and_b32_e32 v43, 7, v3
; %bb.31:                               ;   in Loop: Header=BB220_10 Depth=1
	s_or_b32 exec_lo, exec_lo, s42
	v_lshlrev_b32_e32 v3, 24, v1
	v_lshlrev_b32_e32 v4, 20, v43
	v_lshl_add_u32 v2, v2, 23, 0x3c000000
	v_and_b32_e32 v3, 0x80000000, v3
	v_or3_b32 v43, v4, v3, v2
	v_mov_b32_e32 v58, v44
	v_mov_b32_e32 v57, v43
.LBB220_32:                             ;   in Loop: Header=BB220_10 Depth=1
	s_or_b32 exec_lo, exec_lo, s41
.LBB220_33:                             ;   in Loop: Header=BB220_10 Depth=1
	s_or_b32 exec_lo, exec_lo, s40
.LBB220_34:                             ;   in Loop: Header=BB220_10 Depth=1
	s_or_b32 exec_lo, exec_lo, s3
	v_cmp_ne_u16_sdwa s2, v1, v44 src0_sel:BYTE_1 src1_sel:DWORD
	s_and_saveexec_b32 s3, s2
	s_cbranch_execz .LBB220_42
; %bb.35:                               ;   in Loop: Header=BB220_10 Depth=1
	v_mov_b32_e32 v55, v44
	v_mov_b32_e32 v60, v56
	v_cmp_ne_u16_sdwa s2, v1, v5 src0_sel:BYTE_1 src1_sel:DWORD
	v_mov_b32_e32 v59, v55
	s_and_saveexec_b32 s40, s2
	s_cbranch_execz .LBB220_41
; %bb.36:                               ;   in Loop: Header=BB220_10 Depth=1
	v_and_b32_sdwa v2, v6, v1 dst_sel:DWORD dst_unused:UNUSED_PAD src0_sel:DWORD src1_sel:BYTE_1
	v_mov_b32_e32 v51, v44
	v_mov_b32_e32 v60, v52
	s_mov_b32 s41, exec_lo
	v_and_b32_e32 v3, 0x7f, v2
	v_mov_b32_e32 v59, v51
	v_cmpx_ne_u32_e32 0x7f, v3
	s_cbranch_execz .LBB220_40
; %bb.37:                               ;   in Loop: Header=BB220_10 Depth=1
	v_and_b32_e32 v43, 7, v2
	v_lshrrev_b32_e32 v2, 3, v3
	s_mov_b32 s42, exec_lo
	v_cmpx_gt_u32_e32 8, v3
; %bb.38:                               ;   in Loop: Header=BB220_10 Depth=1
	v_ffbh_u32_e32 v2, v43
	v_min_u32_e32 v2, 32, v2
	v_subrev_nc_u32_e32 v3, 28, v2
	v_sub_nc_u32_e32 v2, 29, v2
	v_lshlrev_b64 v[3:4], v3, v[43:44]
	v_and_b32_e32 v43, 7, v3
; %bb.39:                               ;   in Loop: Header=BB220_10 Depth=1
	s_or_b32 exec_lo, exec_lo, s42
	v_lshlrev_b32_e32 v1, 16, v1
	v_lshlrev_b32_e32 v3, 20, v43
	v_lshl_add_u32 v2, v2, 23, 0x3c000000
	v_mov_b32_e32 v59, v44
	v_and_b32_e32 v1, 0x80000000, v1
	v_or3_b32 v60, v3, v1, v2
.LBB220_40:                             ;   in Loop: Header=BB220_10 Depth=1
	s_or_b32 exec_lo, exec_lo, s41
.LBB220_41:                             ;   in Loop: Header=BB220_10 Depth=1
	s_or_b32 exec_lo, exec_lo, s40
.LBB220_42:                             ;   in Loop: Header=BB220_10 Depth=1
	s_or_b32 exec_lo, exec_lo, s3
	global_load_ushort v2, v[61:62], off offset:8
	v_mov_b32_e32 v65, 0
	v_mov_b32_e32 v63, 0
	;; [unrolled: 1-line block ×4, first 2 shown]
	s_waitcnt vmcnt(0)
	v_and_b32_e32 v1, 0xffff, v2
	v_cmp_ne_u16_sdwa s2, v2, v44 src0_sel:BYTE_0 src1_sel:DWORD
	s_and_saveexec_b32 s3, s2
	s_cbranch_execz .LBB220_50
; %bb.43:                               ;   in Loop: Header=BB220_10 Depth=1
	v_bfrev_b32_e32 v63, 1
	v_mov_b32_e32 v64, 0
	v_cmp_ne_u16_sdwa s2, v1, v5 src0_sel:BYTE_0 src1_sel:DWORD
	s_and_saveexec_b32 s40, s2
	s_cbranch_execz .LBB220_49
; %bb.44:                               ;   in Loop: Header=BB220_10 Depth=1
	v_mov_b32_e32 v63, 0x7f800001
	v_and_b32_e32 v3, 0x7f, v1
	v_mov_b32_e32 v64, 0
	s_mov_b32 s41, exec_lo
	v_cmpx_ne_u32_e32 0x7f, v3
	s_cbranch_execz .LBB220_48
; %bb.45:                               ;   in Loop: Header=BB220_10 Depth=1
	v_and_b32_e32 v43, 7, v1
	v_lshrrev_b32_e32 v2, 3, v3
	s_mov_b32 s42, exec_lo
	v_cmpx_gt_u32_e32 8, v3
; %bb.46:                               ;   in Loop: Header=BB220_10 Depth=1
	v_ffbh_u32_e32 v2, v43
	v_min_u32_e32 v2, 32, v2
	v_subrev_nc_u32_e32 v3, 28, v2
	v_sub_nc_u32_e32 v2, 29, v2
	v_lshlrev_b64 v[3:4], v3, v[43:44]
	v_and_b32_e32 v43, 7, v3
; %bb.47:                               ;   in Loop: Header=BB220_10 Depth=1
	s_or_b32 exec_lo, exec_lo, s42
	v_lshlrev_b32_e32 v3, 24, v1
	v_lshlrev_b32_e32 v4, 20, v43
	v_lshl_add_u32 v2, v2, 23, 0x3c000000
	v_and_b32_e32 v3, 0x80000000, v3
	v_or3_b32 v43, v4, v3, v2
	v_mov_b32_e32 v64, v44
	v_mov_b32_e32 v63, v43
.LBB220_48:                             ;   in Loop: Header=BB220_10 Depth=1
	s_or_b32 exec_lo, exec_lo, s41
.LBB220_49:                             ;   in Loop: Header=BB220_10 Depth=1
	s_or_b32 exec_lo, exec_lo, s40
.LBB220_50:                             ;   in Loop: Header=BB220_10 Depth=1
	s_or_b32 exec_lo, exec_lo, s3
	v_cmp_ne_u16_sdwa s2, v1, v44 src0_sel:BYTE_1 src1_sel:DWORD
	s_and_saveexec_b32 s3, s2
	s_cbranch_execz .LBB220_58
; %bb.51:                               ;   in Loop: Header=BB220_10 Depth=1
	v_mov_b32_e32 v55, v44
	v_mov_b32_e32 v66, v56
	v_cmp_ne_u16_sdwa s2, v1, v5 src0_sel:BYTE_1 src1_sel:DWORD
	v_mov_b32_e32 v65, v55
	s_and_saveexec_b32 s40, s2
	s_cbranch_execz .LBB220_57
; %bb.52:                               ;   in Loop: Header=BB220_10 Depth=1
	v_and_b32_sdwa v2, v6, v1 dst_sel:DWORD dst_unused:UNUSED_PAD src0_sel:DWORD src1_sel:BYTE_1
	v_mov_b32_e32 v51, v44
	v_mov_b32_e32 v66, v52
	s_mov_b32 s41, exec_lo
	v_and_b32_e32 v3, 0x7f, v2
	v_mov_b32_e32 v65, v51
	v_cmpx_ne_u32_e32 0x7f, v3
	s_cbranch_execz .LBB220_56
; %bb.53:                               ;   in Loop: Header=BB220_10 Depth=1
	v_and_b32_e32 v43, 7, v2
	v_lshrrev_b32_e32 v2, 3, v3
	s_mov_b32 s42, exec_lo
	v_cmpx_gt_u32_e32 8, v3
; %bb.54:                               ;   in Loop: Header=BB220_10 Depth=1
	v_ffbh_u32_e32 v2, v43
	v_min_u32_e32 v2, 32, v2
	v_subrev_nc_u32_e32 v3, 28, v2
	v_sub_nc_u32_e32 v2, 29, v2
	v_lshlrev_b64 v[3:4], v3, v[43:44]
	v_and_b32_e32 v43, 7, v3
; %bb.55:                               ;   in Loop: Header=BB220_10 Depth=1
	s_or_b32 exec_lo, exec_lo, s42
	v_lshlrev_b32_e32 v1, 16, v1
	v_lshlrev_b32_e32 v3, 20, v43
	v_lshl_add_u32 v2, v2, 23, 0x3c000000
	v_mov_b32_e32 v65, v44
	v_and_b32_e32 v1, 0x80000000, v1
	v_or3_b32 v66, v3, v1, v2
.LBB220_56:                             ;   in Loop: Header=BB220_10 Depth=1
	s_or_b32 exec_lo, exec_lo, s41
.LBB220_57:                             ;   in Loop: Header=BB220_10 Depth=1
	s_or_b32 exec_lo, exec_lo, s40
.LBB220_58:                             ;   in Loop: Header=BB220_10 Depth=1
	s_or_b32 exec_lo, exec_lo, s3
	global_load_ushort v2, v[61:62], off offset:12
	v_mov_b32_e32 v69, 0
	v_mov_b32_e32 v67, 0
	;; [unrolled: 1-line block ×4, first 2 shown]
	s_waitcnt vmcnt(0)
	v_and_b32_e32 v1, 0xffff, v2
	v_cmp_ne_u16_sdwa s2, v2, v44 src0_sel:BYTE_0 src1_sel:DWORD
	s_and_saveexec_b32 s3, s2
	s_cbranch_execz .LBB220_66
; %bb.59:                               ;   in Loop: Header=BB220_10 Depth=1
	v_bfrev_b32_e32 v67, 1
	v_mov_b32_e32 v68, 0
	v_cmp_ne_u16_sdwa s2, v1, v5 src0_sel:BYTE_0 src1_sel:DWORD
	s_and_saveexec_b32 s40, s2
	s_cbranch_execz .LBB220_65
; %bb.60:                               ;   in Loop: Header=BB220_10 Depth=1
	v_mov_b32_e32 v67, 0x7f800001
	v_and_b32_e32 v3, 0x7f, v1
	v_mov_b32_e32 v68, 0
	s_mov_b32 s41, exec_lo
	v_cmpx_ne_u32_e32 0x7f, v3
	s_cbranch_execz .LBB220_64
; %bb.61:                               ;   in Loop: Header=BB220_10 Depth=1
	v_and_b32_e32 v43, 7, v1
	v_lshrrev_b32_e32 v2, 3, v3
	s_mov_b32 s42, exec_lo
	v_cmpx_gt_u32_e32 8, v3
; %bb.62:                               ;   in Loop: Header=BB220_10 Depth=1
	v_ffbh_u32_e32 v2, v43
	v_min_u32_e32 v2, 32, v2
	v_subrev_nc_u32_e32 v3, 28, v2
	v_sub_nc_u32_e32 v2, 29, v2
	v_lshlrev_b64 v[3:4], v3, v[43:44]
	v_and_b32_e32 v43, 7, v3
; %bb.63:                               ;   in Loop: Header=BB220_10 Depth=1
	s_or_b32 exec_lo, exec_lo, s42
	v_lshlrev_b32_e32 v3, 24, v1
	v_lshlrev_b32_e32 v4, 20, v43
	v_lshl_add_u32 v2, v2, 23, 0x3c000000
	v_and_b32_e32 v3, 0x80000000, v3
	v_or3_b32 v43, v4, v3, v2
	v_mov_b32_e32 v68, v44
	v_mov_b32_e32 v67, v43
.LBB220_64:                             ;   in Loop: Header=BB220_10 Depth=1
	s_or_b32 exec_lo, exec_lo, s41
.LBB220_65:                             ;   in Loop: Header=BB220_10 Depth=1
	s_or_b32 exec_lo, exec_lo, s40
.LBB220_66:                             ;   in Loop: Header=BB220_10 Depth=1
	s_or_b32 exec_lo, exec_lo, s3
	v_cmp_ne_u16_sdwa s2, v1, v44 src0_sel:BYTE_1 src1_sel:DWORD
	s_and_saveexec_b32 s3, s2
	s_cbranch_execz .LBB220_74
; %bb.67:                               ;   in Loop: Header=BB220_10 Depth=1
	v_mov_b32_e32 v55, v44
	v_mov_b32_e32 v70, v56
	v_cmp_ne_u16_sdwa s2, v1, v5 src0_sel:BYTE_1 src1_sel:DWORD
	v_mov_b32_e32 v69, v55
	s_and_saveexec_b32 s40, s2
	s_cbranch_execz .LBB220_73
; %bb.68:                               ;   in Loop: Header=BB220_10 Depth=1
	v_and_b32_sdwa v2, v6, v1 dst_sel:DWORD dst_unused:UNUSED_PAD src0_sel:DWORD src1_sel:BYTE_1
	v_mov_b32_e32 v51, v44
	v_mov_b32_e32 v70, v52
	s_mov_b32 s41, exec_lo
	v_and_b32_e32 v3, 0x7f, v2
	v_mov_b32_e32 v69, v51
	v_cmpx_ne_u32_e32 0x7f, v3
	s_cbranch_execz .LBB220_72
; %bb.69:                               ;   in Loop: Header=BB220_10 Depth=1
	v_and_b32_e32 v43, 7, v2
	v_lshrrev_b32_e32 v2, 3, v3
	s_mov_b32 s42, exec_lo
	v_cmpx_gt_u32_e32 8, v3
; %bb.70:                               ;   in Loop: Header=BB220_10 Depth=1
	v_ffbh_u32_e32 v2, v43
	v_min_u32_e32 v2, 32, v2
	v_subrev_nc_u32_e32 v3, 28, v2
	v_sub_nc_u32_e32 v2, 29, v2
	v_lshlrev_b64 v[3:4], v3, v[43:44]
	v_and_b32_e32 v43, 7, v3
; %bb.71:                               ;   in Loop: Header=BB220_10 Depth=1
	s_or_b32 exec_lo, exec_lo, s42
	v_lshlrev_b32_e32 v1, 16, v1
	v_lshlrev_b32_e32 v3, 20, v43
	v_lshl_add_u32 v2, v2, 23, 0x3c000000
	v_mov_b32_e32 v69, v44
	v_and_b32_e32 v1, 0x80000000, v1
	v_or3_b32 v70, v3, v1, v2
.LBB220_72:                             ;   in Loop: Header=BB220_10 Depth=1
	s_or_b32 exec_lo, exec_lo, s41
.LBB220_73:                             ;   in Loop: Header=BB220_10 Depth=1
	s_or_b32 exec_lo, exec_lo, s40
.LBB220_74:                             ;   in Loop: Header=BB220_10 Depth=1
	s_or_b32 exec_lo, exec_lo, s3
	global_load_ushort v2, v[61:62], off offset:256
	v_mov_b32_e32 v73, 0
	v_mov_b32_e32 v71, 0
	v_mov_b32_e32 v74, 0
	v_mov_b32_e32 v72, 0
	s_waitcnt vmcnt(0)
	v_and_b32_e32 v1, 0xffff, v2
	v_cmp_ne_u16_sdwa s2, v2, v44 src0_sel:BYTE_0 src1_sel:DWORD
	s_and_saveexec_b32 s3, s2
	s_cbranch_execz .LBB220_82
; %bb.75:                               ;   in Loop: Header=BB220_10 Depth=1
	v_bfrev_b32_e32 v71, 1
	v_mov_b32_e32 v72, 0
	v_cmp_ne_u16_sdwa s2, v1, v5 src0_sel:BYTE_0 src1_sel:DWORD
	s_and_saveexec_b32 s40, s2
	s_cbranch_execz .LBB220_81
; %bb.76:                               ;   in Loop: Header=BB220_10 Depth=1
	v_mov_b32_e32 v71, 0x7f800001
	v_and_b32_e32 v3, 0x7f, v1
	v_mov_b32_e32 v72, 0
	s_mov_b32 s41, exec_lo
	v_cmpx_ne_u32_e32 0x7f, v3
	s_cbranch_execz .LBB220_80
; %bb.77:                               ;   in Loop: Header=BB220_10 Depth=1
	v_and_b32_e32 v43, 7, v1
	v_lshrrev_b32_e32 v2, 3, v3
	s_mov_b32 s42, exec_lo
	v_cmpx_gt_u32_e32 8, v3
; %bb.78:                               ;   in Loop: Header=BB220_10 Depth=1
	v_ffbh_u32_e32 v2, v43
	v_min_u32_e32 v2, 32, v2
	v_subrev_nc_u32_e32 v3, 28, v2
	v_sub_nc_u32_e32 v2, 29, v2
	v_lshlrev_b64 v[3:4], v3, v[43:44]
	v_and_b32_e32 v43, 7, v3
; %bb.79:                               ;   in Loop: Header=BB220_10 Depth=1
	s_or_b32 exec_lo, exec_lo, s42
	v_lshlrev_b32_e32 v3, 24, v1
	v_lshlrev_b32_e32 v4, 20, v43
	v_lshl_add_u32 v2, v2, 23, 0x3c000000
	v_and_b32_e32 v3, 0x80000000, v3
	v_or3_b32 v43, v4, v3, v2
	v_mov_b32_e32 v72, v44
	v_mov_b32_e32 v71, v43
.LBB220_80:                             ;   in Loop: Header=BB220_10 Depth=1
	s_or_b32 exec_lo, exec_lo, s41
.LBB220_81:                             ;   in Loop: Header=BB220_10 Depth=1
	s_or_b32 exec_lo, exec_lo, s40
.LBB220_82:                             ;   in Loop: Header=BB220_10 Depth=1
	s_or_b32 exec_lo, exec_lo, s3
	v_cmp_ne_u16_sdwa s2, v1, v44 src0_sel:BYTE_1 src1_sel:DWORD
	s_and_saveexec_b32 s3, s2
	s_cbranch_execz .LBB220_90
; %bb.83:                               ;   in Loop: Header=BB220_10 Depth=1
	v_mov_b32_e32 v55, v44
	v_mov_b32_e32 v74, v56
	v_cmp_ne_u16_sdwa s2, v1, v5 src0_sel:BYTE_1 src1_sel:DWORD
	v_mov_b32_e32 v73, v55
	s_and_saveexec_b32 s40, s2
	s_cbranch_execz .LBB220_89
; %bb.84:                               ;   in Loop: Header=BB220_10 Depth=1
	v_and_b32_sdwa v2, v6, v1 dst_sel:DWORD dst_unused:UNUSED_PAD src0_sel:DWORD src1_sel:BYTE_1
	v_mov_b32_e32 v51, v44
	v_mov_b32_e32 v74, v52
	s_mov_b32 s41, exec_lo
	v_and_b32_e32 v3, 0x7f, v2
	v_mov_b32_e32 v73, v51
	v_cmpx_ne_u32_e32 0x7f, v3
	s_cbranch_execz .LBB220_88
; %bb.85:                               ;   in Loop: Header=BB220_10 Depth=1
	v_and_b32_e32 v43, 7, v2
	v_lshrrev_b32_e32 v2, 3, v3
	s_mov_b32 s42, exec_lo
	v_cmpx_gt_u32_e32 8, v3
; %bb.86:                               ;   in Loop: Header=BB220_10 Depth=1
	v_ffbh_u32_e32 v2, v43
	v_min_u32_e32 v2, 32, v2
	v_subrev_nc_u32_e32 v3, 28, v2
	v_sub_nc_u32_e32 v2, 29, v2
	v_lshlrev_b64 v[3:4], v3, v[43:44]
	v_and_b32_e32 v43, 7, v3
; %bb.87:                               ;   in Loop: Header=BB220_10 Depth=1
	s_or_b32 exec_lo, exec_lo, s42
	v_lshlrev_b32_e32 v1, 16, v1
	v_lshlrev_b32_e32 v3, 20, v43
	v_lshl_add_u32 v2, v2, 23, 0x3c000000
	v_mov_b32_e32 v73, v44
	v_and_b32_e32 v1, 0x80000000, v1
	v_or3_b32 v74, v3, v1, v2
.LBB220_88:                             ;   in Loop: Header=BB220_10 Depth=1
	s_or_b32 exec_lo, exec_lo, s41
.LBB220_89:                             ;   in Loop: Header=BB220_10 Depth=1
	s_or_b32 exec_lo, exec_lo, s40
.LBB220_90:                             ;   in Loop: Header=BB220_10 Depth=1
	s_or_b32 exec_lo, exec_lo, s3
	global_load_ushort v2, v[61:62], off offset:260
	v_mov_b32_e32 v77, 0
	v_mov_b32_e32 v75, 0
	;; [unrolled: 1-line block ×4, first 2 shown]
	s_waitcnt vmcnt(0)
	v_and_b32_e32 v1, 0xffff, v2
	v_cmp_ne_u16_sdwa s2, v2, v44 src0_sel:BYTE_0 src1_sel:DWORD
	s_and_saveexec_b32 s3, s2
	s_cbranch_execz .LBB220_98
; %bb.91:                               ;   in Loop: Header=BB220_10 Depth=1
	v_bfrev_b32_e32 v75, 1
	v_mov_b32_e32 v76, 0
	v_cmp_ne_u16_sdwa s2, v1, v5 src0_sel:BYTE_0 src1_sel:DWORD
	s_and_saveexec_b32 s40, s2
	s_cbranch_execz .LBB220_97
; %bb.92:                               ;   in Loop: Header=BB220_10 Depth=1
	v_mov_b32_e32 v75, 0x7f800001
	v_and_b32_e32 v3, 0x7f, v1
	v_mov_b32_e32 v76, 0
	s_mov_b32 s41, exec_lo
	v_cmpx_ne_u32_e32 0x7f, v3
	s_cbranch_execz .LBB220_96
; %bb.93:                               ;   in Loop: Header=BB220_10 Depth=1
	v_and_b32_e32 v43, 7, v1
	v_lshrrev_b32_e32 v2, 3, v3
	s_mov_b32 s42, exec_lo
	v_cmpx_gt_u32_e32 8, v3
; %bb.94:                               ;   in Loop: Header=BB220_10 Depth=1
	v_ffbh_u32_e32 v2, v43
	v_min_u32_e32 v2, 32, v2
	v_subrev_nc_u32_e32 v3, 28, v2
	v_sub_nc_u32_e32 v2, 29, v2
	v_lshlrev_b64 v[3:4], v3, v[43:44]
	v_and_b32_e32 v43, 7, v3
; %bb.95:                               ;   in Loop: Header=BB220_10 Depth=1
	s_or_b32 exec_lo, exec_lo, s42
	v_lshlrev_b32_e32 v3, 24, v1
	v_lshlrev_b32_e32 v4, 20, v43
	v_lshl_add_u32 v2, v2, 23, 0x3c000000
	v_and_b32_e32 v3, 0x80000000, v3
	v_or3_b32 v43, v4, v3, v2
	v_mov_b32_e32 v76, v44
	v_mov_b32_e32 v75, v43
.LBB220_96:                             ;   in Loop: Header=BB220_10 Depth=1
	s_or_b32 exec_lo, exec_lo, s41
.LBB220_97:                             ;   in Loop: Header=BB220_10 Depth=1
	s_or_b32 exec_lo, exec_lo, s40
.LBB220_98:                             ;   in Loop: Header=BB220_10 Depth=1
	s_or_b32 exec_lo, exec_lo, s3
	v_cmp_ne_u16_sdwa s2, v1, v44 src0_sel:BYTE_1 src1_sel:DWORD
	s_and_saveexec_b32 s3, s2
	s_cbranch_execz .LBB220_106
; %bb.99:                               ;   in Loop: Header=BB220_10 Depth=1
	v_mov_b32_e32 v55, v44
	v_mov_b32_e32 v78, v56
	v_cmp_ne_u16_sdwa s2, v1, v5 src0_sel:BYTE_1 src1_sel:DWORD
	v_mov_b32_e32 v77, v55
	s_and_saveexec_b32 s40, s2
	s_cbranch_execz .LBB220_105
; %bb.100:                              ;   in Loop: Header=BB220_10 Depth=1
	v_and_b32_sdwa v2, v6, v1 dst_sel:DWORD dst_unused:UNUSED_PAD src0_sel:DWORD src1_sel:BYTE_1
	v_mov_b32_e32 v51, v44
	v_mov_b32_e32 v78, v52
	s_mov_b32 s41, exec_lo
	v_and_b32_e32 v3, 0x7f, v2
	v_mov_b32_e32 v77, v51
	v_cmpx_ne_u32_e32 0x7f, v3
	s_cbranch_execz .LBB220_104
; %bb.101:                              ;   in Loop: Header=BB220_10 Depth=1
	v_and_b32_e32 v43, 7, v2
	v_lshrrev_b32_e32 v2, 3, v3
	s_mov_b32 s42, exec_lo
	v_cmpx_gt_u32_e32 8, v3
; %bb.102:                              ;   in Loop: Header=BB220_10 Depth=1
	v_ffbh_u32_e32 v2, v43
	v_min_u32_e32 v2, 32, v2
	v_subrev_nc_u32_e32 v3, 28, v2
	v_sub_nc_u32_e32 v2, 29, v2
	v_lshlrev_b64 v[3:4], v3, v[43:44]
	v_and_b32_e32 v43, 7, v3
; %bb.103:                              ;   in Loop: Header=BB220_10 Depth=1
	s_or_b32 exec_lo, exec_lo, s42
	v_lshlrev_b32_e32 v1, 16, v1
	v_lshlrev_b32_e32 v3, 20, v43
	v_lshl_add_u32 v2, v2, 23, 0x3c000000
	v_mov_b32_e32 v77, v44
	v_and_b32_e32 v1, 0x80000000, v1
	v_or3_b32 v78, v3, v1, v2
.LBB220_104:                            ;   in Loop: Header=BB220_10 Depth=1
	s_or_b32 exec_lo, exec_lo, s41
.LBB220_105:                            ;   in Loop: Header=BB220_10 Depth=1
	s_or_b32 exec_lo, exec_lo, s40
.LBB220_106:                            ;   in Loop: Header=BB220_10 Depth=1
	s_or_b32 exec_lo, exec_lo, s3
	global_load_ushort v2, v[61:62], off offset:264
	v_mov_b32_e32 v81, 0
	v_mov_b32_e32 v79, 0
	;; [unrolled: 1-line block ×4, first 2 shown]
	s_waitcnt vmcnt(0)
	v_and_b32_e32 v1, 0xffff, v2
	v_cmp_ne_u16_sdwa s2, v2, v44 src0_sel:BYTE_0 src1_sel:DWORD
	s_and_saveexec_b32 s3, s2
	s_cbranch_execz .LBB220_114
; %bb.107:                              ;   in Loop: Header=BB220_10 Depth=1
	v_bfrev_b32_e32 v79, 1
	v_mov_b32_e32 v80, 0
	v_cmp_ne_u16_sdwa s2, v1, v5 src0_sel:BYTE_0 src1_sel:DWORD
	s_and_saveexec_b32 s40, s2
	s_cbranch_execz .LBB220_113
; %bb.108:                              ;   in Loop: Header=BB220_10 Depth=1
	v_mov_b32_e32 v79, 0x7f800001
	v_and_b32_e32 v3, 0x7f, v1
	v_mov_b32_e32 v80, 0
	s_mov_b32 s41, exec_lo
	v_cmpx_ne_u32_e32 0x7f, v3
	s_cbranch_execz .LBB220_112
; %bb.109:                              ;   in Loop: Header=BB220_10 Depth=1
	v_and_b32_e32 v43, 7, v1
	v_lshrrev_b32_e32 v2, 3, v3
	s_mov_b32 s42, exec_lo
	v_cmpx_gt_u32_e32 8, v3
; %bb.110:                              ;   in Loop: Header=BB220_10 Depth=1
	v_ffbh_u32_e32 v2, v43
	v_min_u32_e32 v2, 32, v2
	v_subrev_nc_u32_e32 v3, 28, v2
	v_sub_nc_u32_e32 v2, 29, v2
	v_lshlrev_b64 v[3:4], v3, v[43:44]
	v_and_b32_e32 v43, 7, v3
; %bb.111:                              ;   in Loop: Header=BB220_10 Depth=1
	s_or_b32 exec_lo, exec_lo, s42
	v_lshlrev_b32_e32 v3, 24, v1
	v_lshlrev_b32_e32 v4, 20, v43
	v_lshl_add_u32 v2, v2, 23, 0x3c000000
	v_and_b32_e32 v3, 0x80000000, v3
	v_or3_b32 v43, v4, v3, v2
	v_mov_b32_e32 v80, v44
	v_mov_b32_e32 v79, v43
.LBB220_112:                            ;   in Loop: Header=BB220_10 Depth=1
	s_or_b32 exec_lo, exec_lo, s41
.LBB220_113:                            ;   in Loop: Header=BB220_10 Depth=1
	s_or_b32 exec_lo, exec_lo, s40
.LBB220_114:                            ;   in Loop: Header=BB220_10 Depth=1
	s_or_b32 exec_lo, exec_lo, s3
	v_cmp_ne_u16_sdwa s2, v1, v44 src0_sel:BYTE_1 src1_sel:DWORD
	s_and_saveexec_b32 s3, s2
	s_cbranch_execz .LBB220_122
; %bb.115:                              ;   in Loop: Header=BB220_10 Depth=1
	v_mov_b32_e32 v55, v44
	v_mov_b32_e32 v82, v56
	v_cmp_ne_u16_sdwa s2, v1, v5 src0_sel:BYTE_1 src1_sel:DWORD
	v_mov_b32_e32 v81, v55
	s_and_saveexec_b32 s40, s2
	s_cbranch_execz .LBB220_121
; %bb.116:                              ;   in Loop: Header=BB220_10 Depth=1
	v_and_b32_sdwa v2, v6, v1 dst_sel:DWORD dst_unused:UNUSED_PAD src0_sel:DWORD src1_sel:BYTE_1
	v_mov_b32_e32 v51, v44
	v_mov_b32_e32 v82, v52
	s_mov_b32 s41, exec_lo
	v_and_b32_e32 v3, 0x7f, v2
	v_mov_b32_e32 v81, v51
	v_cmpx_ne_u32_e32 0x7f, v3
	s_cbranch_execz .LBB220_120
; %bb.117:                              ;   in Loop: Header=BB220_10 Depth=1
	v_and_b32_e32 v43, 7, v2
	v_lshrrev_b32_e32 v2, 3, v3
	s_mov_b32 s42, exec_lo
	v_cmpx_gt_u32_e32 8, v3
; %bb.118:                              ;   in Loop: Header=BB220_10 Depth=1
	v_ffbh_u32_e32 v2, v43
	v_min_u32_e32 v2, 32, v2
	v_subrev_nc_u32_e32 v3, 28, v2
	v_sub_nc_u32_e32 v2, 29, v2
	v_lshlrev_b64 v[3:4], v3, v[43:44]
	v_and_b32_e32 v43, 7, v3
; %bb.119:                              ;   in Loop: Header=BB220_10 Depth=1
	s_or_b32 exec_lo, exec_lo, s42
	v_lshlrev_b32_e32 v1, 16, v1
	v_lshlrev_b32_e32 v3, 20, v43
	v_lshl_add_u32 v2, v2, 23, 0x3c000000
	v_mov_b32_e32 v81, v44
	v_and_b32_e32 v1, 0x80000000, v1
	v_or3_b32 v82, v3, v1, v2
.LBB220_120:                            ;   in Loop: Header=BB220_10 Depth=1
	s_or_b32 exec_lo, exec_lo, s41
.LBB220_121:                            ;   in Loop: Header=BB220_10 Depth=1
	s_or_b32 exec_lo, exec_lo, s40
.LBB220_122:                            ;   in Loop: Header=BB220_10 Depth=1
	s_or_b32 exec_lo, exec_lo, s3
	global_load_ushort v2, v[61:62], off offset:268
	v_mov_b32_e32 v85, 0
	v_mov_b32_e32 v83, 0
	;; [unrolled: 1-line block ×4, first 2 shown]
	s_waitcnt vmcnt(0)
	v_and_b32_e32 v1, 0xffff, v2
	v_cmp_ne_u16_sdwa s2, v2, v44 src0_sel:BYTE_0 src1_sel:DWORD
	s_and_saveexec_b32 s3, s2
	s_cbranch_execz .LBB220_130
; %bb.123:                              ;   in Loop: Header=BB220_10 Depth=1
	v_bfrev_b32_e32 v83, 1
	v_mov_b32_e32 v84, 0
	v_cmp_ne_u16_sdwa s2, v1, v5 src0_sel:BYTE_0 src1_sel:DWORD
	s_and_saveexec_b32 s40, s2
	s_cbranch_execz .LBB220_129
; %bb.124:                              ;   in Loop: Header=BB220_10 Depth=1
	v_mov_b32_e32 v83, 0x7f800001
	v_and_b32_e32 v3, 0x7f, v1
	v_mov_b32_e32 v84, 0
	s_mov_b32 s41, exec_lo
	v_cmpx_ne_u32_e32 0x7f, v3
	s_cbranch_execz .LBB220_128
; %bb.125:                              ;   in Loop: Header=BB220_10 Depth=1
	v_and_b32_e32 v43, 7, v1
	v_lshrrev_b32_e32 v2, 3, v3
	s_mov_b32 s42, exec_lo
	v_cmpx_gt_u32_e32 8, v3
; %bb.126:                              ;   in Loop: Header=BB220_10 Depth=1
	v_ffbh_u32_e32 v2, v43
	v_min_u32_e32 v2, 32, v2
	v_subrev_nc_u32_e32 v3, 28, v2
	v_sub_nc_u32_e32 v2, 29, v2
	v_lshlrev_b64 v[3:4], v3, v[43:44]
	v_and_b32_e32 v43, 7, v3
; %bb.127:                              ;   in Loop: Header=BB220_10 Depth=1
	s_or_b32 exec_lo, exec_lo, s42
	v_lshlrev_b32_e32 v3, 24, v1
	v_lshlrev_b32_e32 v4, 20, v43
	v_lshl_add_u32 v2, v2, 23, 0x3c000000
	v_and_b32_e32 v3, 0x80000000, v3
	v_or3_b32 v43, v4, v3, v2
	v_mov_b32_e32 v84, v44
	v_mov_b32_e32 v83, v43
.LBB220_128:                            ;   in Loop: Header=BB220_10 Depth=1
	s_or_b32 exec_lo, exec_lo, s41
.LBB220_129:                            ;   in Loop: Header=BB220_10 Depth=1
	s_or_b32 exec_lo, exec_lo, s40
.LBB220_130:                            ;   in Loop: Header=BB220_10 Depth=1
	s_or_b32 exec_lo, exec_lo, s3
	v_cmp_ne_u16_sdwa s2, v1, v44 src0_sel:BYTE_1 src1_sel:DWORD
	s_and_saveexec_b32 s3, s2
	s_cbranch_execz .LBB220_138
; %bb.131:                              ;   in Loop: Header=BB220_10 Depth=1
	v_mov_b32_e32 v55, v44
	v_mov_b32_e32 v86, v56
	v_cmp_ne_u16_sdwa s2, v1, v5 src0_sel:BYTE_1 src1_sel:DWORD
	v_mov_b32_e32 v85, v55
	s_and_saveexec_b32 s40, s2
	s_cbranch_execz .LBB220_137
; %bb.132:                              ;   in Loop: Header=BB220_10 Depth=1
	v_and_b32_sdwa v2, v6, v1 dst_sel:DWORD dst_unused:UNUSED_PAD src0_sel:DWORD src1_sel:BYTE_1
	v_mov_b32_e32 v51, v44
	v_mov_b32_e32 v86, v52
	s_mov_b32 s41, exec_lo
	v_and_b32_e32 v3, 0x7f, v2
	v_mov_b32_e32 v85, v51
	v_cmpx_ne_u32_e32 0x7f, v3
	s_cbranch_execz .LBB220_136
; %bb.133:                              ;   in Loop: Header=BB220_10 Depth=1
	v_and_b32_e32 v43, 7, v2
	v_lshrrev_b32_e32 v2, 3, v3
	s_mov_b32 s42, exec_lo
	v_cmpx_gt_u32_e32 8, v3
; %bb.134:                              ;   in Loop: Header=BB220_10 Depth=1
	v_ffbh_u32_e32 v2, v43
	v_min_u32_e32 v2, 32, v2
	v_subrev_nc_u32_e32 v3, 28, v2
	v_sub_nc_u32_e32 v2, 29, v2
	v_lshlrev_b64 v[3:4], v3, v[43:44]
	v_and_b32_e32 v43, 7, v3
; %bb.135:                              ;   in Loop: Header=BB220_10 Depth=1
	s_or_b32 exec_lo, exec_lo, s42
	v_lshlrev_b32_e32 v1, 16, v1
	v_lshlrev_b32_e32 v3, 20, v43
	v_lshl_add_u32 v2, v2, 23, 0x3c000000
	v_mov_b32_e32 v85, v44
	v_and_b32_e32 v1, 0x80000000, v1
	v_or3_b32 v86, v3, v1, v2
.LBB220_136:                            ;   in Loop: Header=BB220_10 Depth=1
	s_or_b32 exec_lo, exec_lo, s41
.LBB220_137:                            ;   in Loop: Header=BB220_10 Depth=1
	s_or_b32 exec_lo, exec_lo, s40
.LBB220_138:                            ;   in Loop: Header=BB220_10 Depth=1
	s_or_b32 exec_lo, exec_lo, s3
	global_load_ushort v2, v[61:62], off offset:512
	v_mov_b32_e32 v89, 0
	v_mov_b32_e32 v87, 0
	;; [unrolled: 1-line block ×4, first 2 shown]
	s_waitcnt vmcnt(0)
	v_and_b32_e32 v1, 0xffff, v2
	v_cmp_ne_u16_sdwa s2, v2, v44 src0_sel:BYTE_0 src1_sel:DWORD
	s_and_saveexec_b32 s3, s2
	s_cbranch_execz .LBB220_146
; %bb.139:                              ;   in Loop: Header=BB220_10 Depth=1
	v_bfrev_b32_e32 v87, 1
	v_mov_b32_e32 v88, 0
	v_cmp_ne_u16_sdwa s2, v1, v5 src0_sel:BYTE_0 src1_sel:DWORD
	s_and_saveexec_b32 s40, s2
	s_cbranch_execz .LBB220_145
; %bb.140:                              ;   in Loop: Header=BB220_10 Depth=1
	v_mov_b32_e32 v87, 0x7f800001
	v_and_b32_e32 v3, 0x7f, v1
	v_mov_b32_e32 v88, 0
	s_mov_b32 s41, exec_lo
	v_cmpx_ne_u32_e32 0x7f, v3
	s_cbranch_execz .LBB220_144
; %bb.141:                              ;   in Loop: Header=BB220_10 Depth=1
	v_and_b32_e32 v43, 7, v1
	v_lshrrev_b32_e32 v2, 3, v3
	s_mov_b32 s42, exec_lo
	v_cmpx_gt_u32_e32 8, v3
; %bb.142:                              ;   in Loop: Header=BB220_10 Depth=1
	v_ffbh_u32_e32 v2, v43
	v_min_u32_e32 v2, 32, v2
	v_subrev_nc_u32_e32 v3, 28, v2
	v_sub_nc_u32_e32 v2, 29, v2
	v_lshlrev_b64 v[3:4], v3, v[43:44]
	v_and_b32_e32 v43, 7, v3
; %bb.143:                              ;   in Loop: Header=BB220_10 Depth=1
	s_or_b32 exec_lo, exec_lo, s42
	v_lshlrev_b32_e32 v3, 24, v1
	v_lshlrev_b32_e32 v4, 20, v43
	v_lshl_add_u32 v2, v2, 23, 0x3c000000
	v_and_b32_e32 v3, 0x80000000, v3
	v_or3_b32 v43, v4, v3, v2
	v_mov_b32_e32 v88, v44
	v_mov_b32_e32 v87, v43
.LBB220_144:                            ;   in Loop: Header=BB220_10 Depth=1
	s_or_b32 exec_lo, exec_lo, s41
.LBB220_145:                            ;   in Loop: Header=BB220_10 Depth=1
	s_or_b32 exec_lo, exec_lo, s40
.LBB220_146:                            ;   in Loop: Header=BB220_10 Depth=1
	s_or_b32 exec_lo, exec_lo, s3
	v_cmp_ne_u16_sdwa s2, v1, v44 src0_sel:BYTE_1 src1_sel:DWORD
	s_and_saveexec_b32 s3, s2
	s_cbranch_execz .LBB220_154
; %bb.147:                              ;   in Loop: Header=BB220_10 Depth=1
	v_mov_b32_e32 v55, v44
	v_mov_b32_e32 v90, v56
	v_cmp_ne_u16_sdwa s2, v1, v5 src0_sel:BYTE_1 src1_sel:DWORD
	v_mov_b32_e32 v89, v55
	s_and_saveexec_b32 s40, s2
	s_cbranch_execz .LBB220_153
; %bb.148:                              ;   in Loop: Header=BB220_10 Depth=1
	v_and_b32_sdwa v2, v6, v1 dst_sel:DWORD dst_unused:UNUSED_PAD src0_sel:DWORD src1_sel:BYTE_1
	v_mov_b32_e32 v51, v44
	v_mov_b32_e32 v90, v52
	s_mov_b32 s41, exec_lo
	v_and_b32_e32 v3, 0x7f, v2
	v_mov_b32_e32 v89, v51
	v_cmpx_ne_u32_e32 0x7f, v3
	s_cbranch_execz .LBB220_152
; %bb.149:                              ;   in Loop: Header=BB220_10 Depth=1
	v_and_b32_e32 v43, 7, v2
	v_lshrrev_b32_e32 v2, 3, v3
	s_mov_b32 s42, exec_lo
	v_cmpx_gt_u32_e32 8, v3
; %bb.150:                              ;   in Loop: Header=BB220_10 Depth=1
	v_ffbh_u32_e32 v2, v43
	v_min_u32_e32 v2, 32, v2
	v_subrev_nc_u32_e32 v3, 28, v2
	v_sub_nc_u32_e32 v2, 29, v2
	v_lshlrev_b64 v[3:4], v3, v[43:44]
	v_and_b32_e32 v43, 7, v3
; %bb.151:                              ;   in Loop: Header=BB220_10 Depth=1
	s_or_b32 exec_lo, exec_lo, s42
	v_lshlrev_b32_e32 v1, 16, v1
	v_lshlrev_b32_e32 v3, 20, v43
	v_lshl_add_u32 v2, v2, 23, 0x3c000000
	v_mov_b32_e32 v89, v44
	v_and_b32_e32 v1, 0x80000000, v1
	v_or3_b32 v90, v3, v1, v2
.LBB220_152:                            ;   in Loop: Header=BB220_10 Depth=1
	s_or_b32 exec_lo, exec_lo, s41
.LBB220_153:                            ;   in Loop: Header=BB220_10 Depth=1
	s_or_b32 exec_lo, exec_lo, s40
.LBB220_154:                            ;   in Loop: Header=BB220_10 Depth=1
	s_or_b32 exec_lo, exec_lo, s3
	global_load_ushort v2, v[61:62], off offset:516
	v_mov_b32_e32 v93, 0
	v_mov_b32_e32 v91, 0
	;; [unrolled: 1-line block ×4, first 2 shown]
	s_waitcnt vmcnt(0)
	v_and_b32_e32 v1, 0xffff, v2
	v_cmp_ne_u16_sdwa s2, v2, v44 src0_sel:BYTE_0 src1_sel:DWORD
	s_and_saveexec_b32 s3, s2
	s_cbranch_execz .LBB220_162
; %bb.155:                              ;   in Loop: Header=BB220_10 Depth=1
	v_bfrev_b32_e32 v91, 1
	v_mov_b32_e32 v92, 0
	v_cmp_ne_u16_sdwa s2, v1, v5 src0_sel:BYTE_0 src1_sel:DWORD
	s_and_saveexec_b32 s40, s2
	s_cbranch_execz .LBB220_161
; %bb.156:                              ;   in Loop: Header=BB220_10 Depth=1
	v_mov_b32_e32 v91, 0x7f800001
	v_and_b32_e32 v3, 0x7f, v1
	v_mov_b32_e32 v92, 0
	s_mov_b32 s41, exec_lo
	v_cmpx_ne_u32_e32 0x7f, v3
	s_cbranch_execz .LBB220_160
; %bb.157:                              ;   in Loop: Header=BB220_10 Depth=1
	v_and_b32_e32 v43, 7, v1
	v_lshrrev_b32_e32 v2, 3, v3
	s_mov_b32 s42, exec_lo
	v_cmpx_gt_u32_e32 8, v3
; %bb.158:                              ;   in Loop: Header=BB220_10 Depth=1
	v_ffbh_u32_e32 v2, v43
	v_min_u32_e32 v2, 32, v2
	v_subrev_nc_u32_e32 v3, 28, v2
	v_sub_nc_u32_e32 v2, 29, v2
	v_lshlrev_b64 v[3:4], v3, v[43:44]
	v_and_b32_e32 v43, 7, v3
; %bb.159:                              ;   in Loop: Header=BB220_10 Depth=1
	s_or_b32 exec_lo, exec_lo, s42
	v_lshlrev_b32_e32 v3, 24, v1
	v_lshlrev_b32_e32 v4, 20, v43
	v_lshl_add_u32 v2, v2, 23, 0x3c000000
	v_and_b32_e32 v3, 0x80000000, v3
	v_or3_b32 v43, v4, v3, v2
	v_mov_b32_e32 v92, v44
	v_mov_b32_e32 v91, v43
.LBB220_160:                            ;   in Loop: Header=BB220_10 Depth=1
	s_or_b32 exec_lo, exec_lo, s41
.LBB220_161:                            ;   in Loop: Header=BB220_10 Depth=1
	s_or_b32 exec_lo, exec_lo, s40
.LBB220_162:                            ;   in Loop: Header=BB220_10 Depth=1
	s_or_b32 exec_lo, exec_lo, s3
	v_cmp_ne_u16_sdwa s2, v1, v44 src0_sel:BYTE_1 src1_sel:DWORD
	s_and_saveexec_b32 s3, s2
	s_cbranch_execz .LBB220_170
; %bb.163:                              ;   in Loop: Header=BB220_10 Depth=1
	v_mov_b32_e32 v55, v44
	v_mov_b32_e32 v94, v56
	v_cmp_ne_u16_sdwa s2, v1, v5 src0_sel:BYTE_1 src1_sel:DWORD
	v_mov_b32_e32 v93, v55
	s_and_saveexec_b32 s40, s2
	s_cbranch_execz .LBB220_169
; %bb.164:                              ;   in Loop: Header=BB220_10 Depth=1
	v_and_b32_sdwa v2, v6, v1 dst_sel:DWORD dst_unused:UNUSED_PAD src0_sel:DWORD src1_sel:BYTE_1
	v_mov_b32_e32 v51, v44
	v_mov_b32_e32 v94, v52
	s_mov_b32 s41, exec_lo
	v_and_b32_e32 v3, 0x7f, v2
	v_mov_b32_e32 v93, v51
	v_cmpx_ne_u32_e32 0x7f, v3
	s_cbranch_execz .LBB220_168
; %bb.165:                              ;   in Loop: Header=BB220_10 Depth=1
	v_and_b32_e32 v43, 7, v2
	v_lshrrev_b32_e32 v2, 3, v3
	s_mov_b32 s42, exec_lo
	v_cmpx_gt_u32_e32 8, v3
; %bb.166:                              ;   in Loop: Header=BB220_10 Depth=1
	v_ffbh_u32_e32 v2, v43
	v_min_u32_e32 v2, 32, v2
	v_subrev_nc_u32_e32 v3, 28, v2
	v_sub_nc_u32_e32 v2, 29, v2
	v_lshlrev_b64 v[3:4], v3, v[43:44]
	v_and_b32_e32 v43, 7, v3
; %bb.167:                              ;   in Loop: Header=BB220_10 Depth=1
	s_or_b32 exec_lo, exec_lo, s42
	v_lshlrev_b32_e32 v1, 16, v1
	v_lshlrev_b32_e32 v3, 20, v43
	v_lshl_add_u32 v2, v2, 23, 0x3c000000
	v_mov_b32_e32 v93, v44
	v_and_b32_e32 v1, 0x80000000, v1
	v_or3_b32 v94, v3, v1, v2
.LBB220_168:                            ;   in Loop: Header=BB220_10 Depth=1
	s_or_b32 exec_lo, exec_lo, s41
.LBB220_169:                            ;   in Loop: Header=BB220_10 Depth=1
	s_or_b32 exec_lo, exec_lo, s40
.LBB220_170:                            ;   in Loop: Header=BB220_10 Depth=1
	s_or_b32 exec_lo, exec_lo, s3
	global_load_ushort v2, v[61:62], off offset:520
	v_mov_b32_e32 v97, 0
	v_mov_b32_e32 v95, 0
	;; [unrolled: 1-line block ×4, first 2 shown]
	s_waitcnt vmcnt(0)
	v_and_b32_e32 v1, 0xffff, v2
	v_cmp_ne_u16_sdwa s2, v2, v44 src0_sel:BYTE_0 src1_sel:DWORD
	s_and_saveexec_b32 s3, s2
	s_cbranch_execz .LBB220_178
; %bb.171:                              ;   in Loop: Header=BB220_10 Depth=1
	v_bfrev_b32_e32 v95, 1
	v_mov_b32_e32 v96, 0
	v_cmp_ne_u16_sdwa s2, v1, v5 src0_sel:BYTE_0 src1_sel:DWORD
	s_and_saveexec_b32 s40, s2
	s_cbranch_execz .LBB220_177
; %bb.172:                              ;   in Loop: Header=BB220_10 Depth=1
	v_mov_b32_e32 v95, 0x7f800001
	v_and_b32_e32 v3, 0x7f, v1
	v_mov_b32_e32 v96, 0
	s_mov_b32 s41, exec_lo
	v_cmpx_ne_u32_e32 0x7f, v3
	s_cbranch_execz .LBB220_176
; %bb.173:                              ;   in Loop: Header=BB220_10 Depth=1
	v_and_b32_e32 v43, 7, v1
	v_lshrrev_b32_e32 v2, 3, v3
	s_mov_b32 s42, exec_lo
	v_cmpx_gt_u32_e32 8, v3
; %bb.174:                              ;   in Loop: Header=BB220_10 Depth=1
	v_ffbh_u32_e32 v2, v43
	v_min_u32_e32 v2, 32, v2
	v_subrev_nc_u32_e32 v3, 28, v2
	v_sub_nc_u32_e32 v2, 29, v2
	v_lshlrev_b64 v[3:4], v3, v[43:44]
	v_and_b32_e32 v43, 7, v3
; %bb.175:                              ;   in Loop: Header=BB220_10 Depth=1
	s_or_b32 exec_lo, exec_lo, s42
	v_lshlrev_b32_e32 v3, 24, v1
	v_lshlrev_b32_e32 v4, 20, v43
	v_lshl_add_u32 v2, v2, 23, 0x3c000000
	v_and_b32_e32 v3, 0x80000000, v3
	v_or3_b32 v43, v4, v3, v2
	v_mov_b32_e32 v96, v44
	v_mov_b32_e32 v95, v43
.LBB220_176:                            ;   in Loop: Header=BB220_10 Depth=1
	s_or_b32 exec_lo, exec_lo, s41
.LBB220_177:                            ;   in Loop: Header=BB220_10 Depth=1
	s_or_b32 exec_lo, exec_lo, s40
.LBB220_178:                            ;   in Loop: Header=BB220_10 Depth=1
	s_or_b32 exec_lo, exec_lo, s3
	v_cmp_ne_u16_sdwa s2, v1, v44 src0_sel:BYTE_1 src1_sel:DWORD
	s_and_saveexec_b32 s3, s2
	s_cbranch_execz .LBB220_186
; %bb.179:                              ;   in Loop: Header=BB220_10 Depth=1
	v_mov_b32_e32 v55, v44
	v_mov_b32_e32 v98, v56
	v_cmp_ne_u16_sdwa s2, v1, v5 src0_sel:BYTE_1 src1_sel:DWORD
	v_mov_b32_e32 v97, v55
	s_and_saveexec_b32 s40, s2
	s_cbranch_execz .LBB220_185
; %bb.180:                              ;   in Loop: Header=BB220_10 Depth=1
	v_and_b32_sdwa v2, v6, v1 dst_sel:DWORD dst_unused:UNUSED_PAD src0_sel:DWORD src1_sel:BYTE_1
	v_mov_b32_e32 v51, v44
	v_mov_b32_e32 v98, v52
	s_mov_b32 s41, exec_lo
	v_and_b32_e32 v3, 0x7f, v2
	v_mov_b32_e32 v97, v51
	v_cmpx_ne_u32_e32 0x7f, v3
	s_cbranch_execz .LBB220_184
; %bb.181:                              ;   in Loop: Header=BB220_10 Depth=1
	v_and_b32_e32 v43, 7, v2
	v_lshrrev_b32_e32 v2, 3, v3
	s_mov_b32 s42, exec_lo
	v_cmpx_gt_u32_e32 8, v3
; %bb.182:                              ;   in Loop: Header=BB220_10 Depth=1
	v_ffbh_u32_e32 v2, v43
	v_min_u32_e32 v2, 32, v2
	v_subrev_nc_u32_e32 v3, 28, v2
	v_sub_nc_u32_e32 v2, 29, v2
	v_lshlrev_b64 v[3:4], v3, v[43:44]
	v_and_b32_e32 v43, 7, v3
; %bb.183:                              ;   in Loop: Header=BB220_10 Depth=1
	s_or_b32 exec_lo, exec_lo, s42
	v_lshlrev_b32_e32 v1, 16, v1
	v_lshlrev_b32_e32 v3, 20, v43
	v_lshl_add_u32 v2, v2, 23, 0x3c000000
	v_mov_b32_e32 v97, v44
	v_and_b32_e32 v1, 0x80000000, v1
	v_or3_b32 v98, v3, v1, v2
.LBB220_184:                            ;   in Loop: Header=BB220_10 Depth=1
	s_or_b32 exec_lo, exec_lo, s41
.LBB220_185:                            ;   in Loop: Header=BB220_10 Depth=1
	s_or_b32 exec_lo, exec_lo, s40
.LBB220_186:                            ;   in Loop: Header=BB220_10 Depth=1
	s_or_b32 exec_lo, exec_lo, s3
	global_load_ushort v2, v[61:62], off offset:524
	v_mov_b32_e32 v101, 0
	v_mov_b32_e32 v99, 0
	;; [unrolled: 1-line block ×4, first 2 shown]
	s_waitcnt vmcnt(0)
	v_and_b32_e32 v1, 0xffff, v2
	v_cmp_ne_u16_sdwa s2, v2, v44 src0_sel:BYTE_0 src1_sel:DWORD
	s_and_saveexec_b32 s3, s2
	s_cbranch_execz .LBB220_194
; %bb.187:                              ;   in Loop: Header=BB220_10 Depth=1
	v_bfrev_b32_e32 v99, 1
	v_mov_b32_e32 v100, 0
	v_cmp_ne_u16_sdwa s2, v1, v5 src0_sel:BYTE_0 src1_sel:DWORD
	s_and_saveexec_b32 s40, s2
	s_cbranch_execz .LBB220_193
; %bb.188:                              ;   in Loop: Header=BB220_10 Depth=1
	v_mov_b32_e32 v99, 0x7f800001
	v_and_b32_e32 v3, 0x7f, v1
	v_mov_b32_e32 v100, 0
	s_mov_b32 s41, exec_lo
	v_cmpx_ne_u32_e32 0x7f, v3
	s_cbranch_execz .LBB220_192
; %bb.189:                              ;   in Loop: Header=BB220_10 Depth=1
	v_and_b32_e32 v43, 7, v1
	v_lshrrev_b32_e32 v2, 3, v3
	s_mov_b32 s42, exec_lo
	v_cmpx_gt_u32_e32 8, v3
; %bb.190:                              ;   in Loop: Header=BB220_10 Depth=1
	v_ffbh_u32_e32 v2, v43
	v_min_u32_e32 v2, 32, v2
	v_subrev_nc_u32_e32 v3, 28, v2
	v_sub_nc_u32_e32 v2, 29, v2
	v_lshlrev_b64 v[3:4], v3, v[43:44]
	v_and_b32_e32 v43, 7, v3
; %bb.191:                              ;   in Loop: Header=BB220_10 Depth=1
	s_or_b32 exec_lo, exec_lo, s42
	v_lshlrev_b32_e32 v3, 24, v1
	v_lshlrev_b32_e32 v4, 20, v43
	v_lshl_add_u32 v2, v2, 23, 0x3c000000
	v_and_b32_e32 v3, 0x80000000, v3
	v_or3_b32 v43, v4, v3, v2
	v_mov_b32_e32 v100, v44
	v_mov_b32_e32 v99, v43
.LBB220_192:                            ;   in Loop: Header=BB220_10 Depth=1
	s_or_b32 exec_lo, exec_lo, s41
.LBB220_193:                            ;   in Loop: Header=BB220_10 Depth=1
	s_or_b32 exec_lo, exec_lo, s40
.LBB220_194:                            ;   in Loop: Header=BB220_10 Depth=1
	s_or_b32 exec_lo, exec_lo, s3
	v_cmp_ne_u16_sdwa s2, v1, v44 src0_sel:BYTE_1 src1_sel:DWORD
	s_and_saveexec_b32 s3, s2
	s_cbranch_execz .LBB220_202
; %bb.195:                              ;   in Loop: Header=BB220_10 Depth=1
	v_mov_b32_e32 v55, v44
	v_mov_b32_e32 v102, v56
	v_cmp_ne_u16_sdwa s2, v1, v5 src0_sel:BYTE_1 src1_sel:DWORD
	v_mov_b32_e32 v101, v55
	s_and_saveexec_b32 s40, s2
	s_cbranch_execz .LBB220_201
; %bb.196:                              ;   in Loop: Header=BB220_10 Depth=1
	v_and_b32_sdwa v2, v6, v1 dst_sel:DWORD dst_unused:UNUSED_PAD src0_sel:DWORD src1_sel:BYTE_1
	v_mov_b32_e32 v51, v44
	v_mov_b32_e32 v102, v52
	s_mov_b32 s41, exec_lo
	v_and_b32_e32 v3, 0x7f, v2
	v_mov_b32_e32 v101, v51
	v_cmpx_ne_u32_e32 0x7f, v3
	s_cbranch_execz .LBB220_200
; %bb.197:                              ;   in Loop: Header=BB220_10 Depth=1
	v_and_b32_e32 v43, 7, v2
	v_lshrrev_b32_e32 v2, 3, v3
	s_mov_b32 s42, exec_lo
	v_cmpx_gt_u32_e32 8, v3
; %bb.198:                              ;   in Loop: Header=BB220_10 Depth=1
	v_ffbh_u32_e32 v2, v43
	v_min_u32_e32 v2, 32, v2
	v_subrev_nc_u32_e32 v3, 28, v2
	v_sub_nc_u32_e32 v2, 29, v2
	v_lshlrev_b64 v[3:4], v3, v[43:44]
	v_and_b32_e32 v43, 7, v3
; %bb.199:                              ;   in Loop: Header=BB220_10 Depth=1
	s_or_b32 exec_lo, exec_lo, s42
	v_lshlrev_b32_e32 v1, 16, v1
	v_lshlrev_b32_e32 v3, 20, v43
	v_lshl_add_u32 v2, v2, 23, 0x3c000000
	v_mov_b32_e32 v101, v44
	v_and_b32_e32 v1, 0x80000000, v1
	v_or3_b32 v102, v3, v1, v2
.LBB220_200:                            ;   in Loop: Header=BB220_10 Depth=1
	s_or_b32 exec_lo, exec_lo, s41
.LBB220_201:                            ;   in Loop: Header=BB220_10 Depth=1
	s_or_b32 exec_lo, exec_lo, s40
.LBB220_202:                            ;   in Loop: Header=BB220_10 Depth=1
	s_or_b32 exec_lo, exec_lo, s3
	global_load_ushort v2, v[61:62], off offset:768
	v_mov_b32_e32 v105, 0
	v_mov_b32_e32 v103, 0
	;; [unrolled: 1-line block ×4, first 2 shown]
	s_waitcnt vmcnt(0)
	v_and_b32_e32 v1, 0xffff, v2
	v_cmp_ne_u16_sdwa s2, v2, v44 src0_sel:BYTE_0 src1_sel:DWORD
	s_and_saveexec_b32 s3, s2
	s_cbranch_execz .LBB220_210
; %bb.203:                              ;   in Loop: Header=BB220_10 Depth=1
	v_bfrev_b32_e32 v103, 1
	v_mov_b32_e32 v104, 0
	v_cmp_ne_u16_sdwa s2, v1, v5 src0_sel:BYTE_0 src1_sel:DWORD
	s_and_saveexec_b32 s40, s2
	s_cbranch_execz .LBB220_209
; %bb.204:                              ;   in Loop: Header=BB220_10 Depth=1
	v_mov_b32_e32 v103, 0x7f800001
	v_and_b32_e32 v3, 0x7f, v1
	v_mov_b32_e32 v104, 0
	s_mov_b32 s41, exec_lo
	v_cmpx_ne_u32_e32 0x7f, v3
	s_cbranch_execz .LBB220_208
; %bb.205:                              ;   in Loop: Header=BB220_10 Depth=1
	v_and_b32_e32 v43, 7, v1
	v_lshrrev_b32_e32 v2, 3, v3
	s_mov_b32 s42, exec_lo
	v_cmpx_gt_u32_e32 8, v3
; %bb.206:                              ;   in Loop: Header=BB220_10 Depth=1
	v_ffbh_u32_e32 v2, v43
	v_min_u32_e32 v2, 32, v2
	v_subrev_nc_u32_e32 v3, 28, v2
	v_sub_nc_u32_e32 v2, 29, v2
	v_lshlrev_b64 v[3:4], v3, v[43:44]
	v_and_b32_e32 v43, 7, v3
; %bb.207:                              ;   in Loop: Header=BB220_10 Depth=1
	s_or_b32 exec_lo, exec_lo, s42
	v_lshlrev_b32_e32 v3, 24, v1
	v_lshlrev_b32_e32 v4, 20, v43
	v_lshl_add_u32 v2, v2, 23, 0x3c000000
	v_and_b32_e32 v3, 0x80000000, v3
	v_or3_b32 v43, v4, v3, v2
	v_mov_b32_e32 v104, v44
	v_mov_b32_e32 v103, v43
.LBB220_208:                            ;   in Loop: Header=BB220_10 Depth=1
	s_or_b32 exec_lo, exec_lo, s41
.LBB220_209:                            ;   in Loop: Header=BB220_10 Depth=1
	s_or_b32 exec_lo, exec_lo, s40
.LBB220_210:                            ;   in Loop: Header=BB220_10 Depth=1
	s_or_b32 exec_lo, exec_lo, s3
	v_cmp_ne_u16_sdwa s2, v1, v44 src0_sel:BYTE_1 src1_sel:DWORD
	s_and_saveexec_b32 s3, s2
	s_cbranch_execz .LBB220_218
; %bb.211:                              ;   in Loop: Header=BB220_10 Depth=1
	v_mov_b32_e32 v55, v44
	v_mov_b32_e32 v106, v56
	v_cmp_ne_u16_sdwa s2, v1, v5 src0_sel:BYTE_1 src1_sel:DWORD
	v_mov_b32_e32 v105, v55
	s_and_saveexec_b32 s40, s2
	s_cbranch_execz .LBB220_217
; %bb.212:                              ;   in Loop: Header=BB220_10 Depth=1
	v_and_b32_sdwa v2, v6, v1 dst_sel:DWORD dst_unused:UNUSED_PAD src0_sel:DWORD src1_sel:BYTE_1
	v_mov_b32_e32 v51, v44
	v_mov_b32_e32 v106, v52
	s_mov_b32 s41, exec_lo
	v_and_b32_e32 v3, 0x7f, v2
	v_mov_b32_e32 v105, v51
	v_cmpx_ne_u32_e32 0x7f, v3
	s_cbranch_execz .LBB220_216
; %bb.213:                              ;   in Loop: Header=BB220_10 Depth=1
	v_and_b32_e32 v43, 7, v2
	v_lshrrev_b32_e32 v2, 3, v3
	s_mov_b32 s42, exec_lo
	v_cmpx_gt_u32_e32 8, v3
; %bb.214:                              ;   in Loop: Header=BB220_10 Depth=1
	v_ffbh_u32_e32 v2, v43
	v_min_u32_e32 v2, 32, v2
	v_subrev_nc_u32_e32 v3, 28, v2
	v_sub_nc_u32_e32 v2, 29, v2
	v_lshlrev_b64 v[3:4], v3, v[43:44]
	v_and_b32_e32 v43, 7, v3
; %bb.215:                              ;   in Loop: Header=BB220_10 Depth=1
	s_or_b32 exec_lo, exec_lo, s42
	v_lshlrev_b32_e32 v1, 16, v1
	v_lshlrev_b32_e32 v3, 20, v43
	v_lshl_add_u32 v2, v2, 23, 0x3c000000
	v_mov_b32_e32 v105, v44
	v_and_b32_e32 v1, 0x80000000, v1
	v_or3_b32 v106, v3, v1, v2
.LBB220_216:                            ;   in Loop: Header=BB220_10 Depth=1
	s_or_b32 exec_lo, exec_lo, s41
.LBB220_217:                            ;   in Loop: Header=BB220_10 Depth=1
	s_or_b32 exec_lo, exec_lo, s40
.LBB220_218:                            ;   in Loop: Header=BB220_10 Depth=1
	s_or_b32 exec_lo, exec_lo, s3
	global_load_ushort v2, v[61:62], off offset:772
	v_mov_b32_e32 v109, 0
	v_mov_b32_e32 v107, 0
	;; [unrolled: 1-line block ×4, first 2 shown]
	s_waitcnt vmcnt(0)
	v_and_b32_e32 v1, 0xffff, v2
	v_cmp_ne_u16_sdwa s2, v2, v44 src0_sel:BYTE_0 src1_sel:DWORD
	s_and_saveexec_b32 s3, s2
	s_cbranch_execz .LBB220_226
; %bb.219:                              ;   in Loop: Header=BB220_10 Depth=1
	v_bfrev_b32_e32 v107, 1
	v_mov_b32_e32 v108, 0
	v_cmp_ne_u16_sdwa s2, v1, v5 src0_sel:BYTE_0 src1_sel:DWORD
	s_and_saveexec_b32 s40, s2
	s_cbranch_execz .LBB220_225
; %bb.220:                              ;   in Loop: Header=BB220_10 Depth=1
	v_mov_b32_e32 v107, 0x7f800001
	v_and_b32_e32 v3, 0x7f, v1
	v_mov_b32_e32 v108, 0
	s_mov_b32 s41, exec_lo
	v_cmpx_ne_u32_e32 0x7f, v3
	s_cbranch_execz .LBB220_224
; %bb.221:                              ;   in Loop: Header=BB220_10 Depth=1
	v_and_b32_e32 v43, 7, v1
	v_lshrrev_b32_e32 v2, 3, v3
	s_mov_b32 s42, exec_lo
	v_cmpx_gt_u32_e32 8, v3
; %bb.222:                              ;   in Loop: Header=BB220_10 Depth=1
	v_ffbh_u32_e32 v2, v43
	v_min_u32_e32 v2, 32, v2
	v_subrev_nc_u32_e32 v3, 28, v2
	v_sub_nc_u32_e32 v2, 29, v2
	v_lshlrev_b64 v[3:4], v3, v[43:44]
	v_and_b32_e32 v43, 7, v3
; %bb.223:                              ;   in Loop: Header=BB220_10 Depth=1
	s_or_b32 exec_lo, exec_lo, s42
	v_lshlrev_b32_e32 v3, 24, v1
	v_lshlrev_b32_e32 v4, 20, v43
	v_lshl_add_u32 v2, v2, 23, 0x3c000000
	v_and_b32_e32 v3, 0x80000000, v3
	v_or3_b32 v43, v4, v3, v2
	v_mov_b32_e32 v108, v44
	v_mov_b32_e32 v107, v43
.LBB220_224:                            ;   in Loop: Header=BB220_10 Depth=1
	s_or_b32 exec_lo, exec_lo, s41
.LBB220_225:                            ;   in Loop: Header=BB220_10 Depth=1
	s_or_b32 exec_lo, exec_lo, s40
.LBB220_226:                            ;   in Loop: Header=BB220_10 Depth=1
	s_or_b32 exec_lo, exec_lo, s3
	v_cmp_ne_u16_sdwa s2, v1, v44 src0_sel:BYTE_1 src1_sel:DWORD
	s_and_saveexec_b32 s3, s2
	s_cbranch_execz .LBB220_234
; %bb.227:                              ;   in Loop: Header=BB220_10 Depth=1
	v_mov_b32_e32 v55, v44
	v_mov_b32_e32 v110, v56
	v_cmp_ne_u16_sdwa s2, v1, v5 src0_sel:BYTE_1 src1_sel:DWORD
	v_mov_b32_e32 v109, v55
	s_and_saveexec_b32 s40, s2
	s_cbranch_execz .LBB220_233
; %bb.228:                              ;   in Loop: Header=BB220_10 Depth=1
	v_and_b32_sdwa v2, v6, v1 dst_sel:DWORD dst_unused:UNUSED_PAD src0_sel:DWORD src1_sel:BYTE_1
	v_mov_b32_e32 v51, v44
	v_mov_b32_e32 v110, v52
	s_mov_b32 s41, exec_lo
	v_and_b32_e32 v3, 0x7f, v2
	v_mov_b32_e32 v109, v51
	v_cmpx_ne_u32_e32 0x7f, v3
	s_cbranch_execz .LBB220_232
; %bb.229:                              ;   in Loop: Header=BB220_10 Depth=1
	v_and_b32_e32 v43, 7, v2
	v_lshrrev_b32_e32 v2, 3, v3
	s_mov_b32 s42, exec_lo
	v_cmpx_gt_u32_e32 8, v3
; %bb.230:                              ;   in Loop: Header=BB220_10 Depth=1
	v_ffbh_u32_e32 v2, v43
	v_min_u32_e32 v2, 32, v2
	v_subrev_nc_u32_e32 v3, 28, v2
	v_sub_nc_u32_e32 v2, 29, v2
	v_lshlrev_b64 v[3:4], v3, v[43:44]
	v_and_b32_e32 v43, 7, v3
; %bb.231:                              ;   in Loop: Header=BB220_10 Depth=1
	s_or_b32 exec_lo, exec_lo, s42
	v_lshlrev_b32_e32 v1, 16, v1
	v_lshlrev_b32_e32 v3, 20, v43
	v_lshl_add_u32 v2, v2, 23, 0x3c000000
	v_mov_b32_e32 v109, v44
	v_and_b32_e32 v1, 0x80000000, v1
	v_or3_b32 v110, v3, v1, v2
.LBB220_232:                            ;   in Loop: Header=BB220_10 Depth=1
	s_or_b32 exec_lo, exec_lo, s41
.LBB220_233:                            ;   in Loop: Header=BB220_10 Depth=1
	s_or_b32 exec_lo, exec_lo, s40
.LBB220_234:                            ;   in Loop: Header=BB220_10 Depth=1
	s_or_b32 exec_lo, exec_lo, s3
	global_load_ushort v2, v[61:62], off offset:776
	v_mov_b32_e32 v113, 0
	v_mov_b32_e32 v111, 0
	;; [unrolled: 1-line block ×4, first 2 shown]
	s_waitcnt vmcnt(0)
	v_and_b32_e32 v1, 0xffff, v2
	v_cmp_ne_u16_sdwa s2, v2, v44 src0_sel:BYTE_0 src1_sel:DWORD
	s_and_saveexec_b32 s3, s2
	s_cbranch_execz .LBB220_242
; %bb.235:                              ;   in Loop: Header=BB220_10 Depth=1
	v_bfrev_b32_e32 v111, 1
	v_mov_b32_e32 v112, 0
	v_cmp_ne_u16_sdwa s2, v1, v5 src0_sel:BYTE_0 src1_sel:DWORD
	s_and_saveexec_b32 s40, s2
	s_cbranch_execz .LBB220_241
; %bb.236:                              ;   in Loop: Header=BB220_10 Depth=1
	v_mov_b32_e32 v111, 0x7f800001
	v_and_b32_e32 v3, 0x7f, v1
	v_mov_b32_e32 v112, 0
	s_mov_b32 s41, exec_lo
	v_cmpx_ne_u32_e32 0x7f, v3
	s_cbranch_execz .LBB220_240
; %bb.237:                              ;   in Loop: Header=BB220_10 Depth=1
	v_and_b32_e32 v43, 7, v1
	v_lshrrev_b32_e32 v2, 3, v3
	s_mov_b32 s42, exec_lo
	v_cmpx_gt_u32_e32 8, v3
; %bb.238:                              ;   in Loop: Header=BB220_10 Depth=1
	v_ffbh_u32_e32 v2, v43
	v_min_u32_e32 v2, 32, v2
	v_subrev_nc_u32_e32 v3, 28, v2
	v_sub_nc_u32_e32 v2, 29, v2
	v_lshlrev_b64 v[3:4], v3, v[43:44]
	v_and_b32_e32 v43, 7, v3
; %bb.239:                              ;   in Loop: Header=BB220_10 Depth=1
	s_or_b32 exec_lo, exec_lo, s42
	v_lshlrev_b32_e32 v3, 24, v1
	v_lshlrev_b32_e32 v4, 20, v43
	v_lshl_add_u32 v2, v2, 23, 0x3c000000
	v_and_b32_e32 v3, 0x80000000, v3
	v_or3_b32 v43, v4, v3, v2
	v_mov_b32_e32 v112, v44
	v_mov_b32_e32 v111, v43
.LBB220_240:                            ;   in Loop: Header=BB220_10 Depth=1
	s_or_b32 exec_lo, exec_lo, s41
.LBB220_241:                            ;   in Loop: Header=BB220_10 Depth=1
	s_or_b32 exec_lo, exec_lo, s40
.LBB220_242:                            ;   in Loop: Header=BB220_10 Depth=1
	s_or_b32 exec_lo, exec_lo, s3
	v_cmp_ne_u16_sdwa s2, v1, v44 src0_sel:BYTE_1 src1_sel:DWORD
	s_and_saveexec_b32 s3, s2
	s_cbranch_execz .LBB220_250
; %bb.243:                              ;   in Loop: Header=BB220_10 Depth=1
	v_mov_b32_e32 v55, v44
	v_mov_b32_e32 v114, v56
	v_cmp_ne_u16_sdwa s2, v1, v5 src0_sel:BYTE_1 src1_sel:DWORD
	v_mov_b32_e32 v113, v55
	s_and_saveexec_b32 s40, s2
	s_cbranch_execz .LBB220_249
; %bb.244:                              ;   in Loop: Header=BB220_10 Depth=1
	v_and_b32_sdwa v2, v6, v1 dst_sel:DWORD dst_unused:UNUSED_PAD src0_sel:DWORD src1_sel:BYTE_1
	v_mov_b32_e32 v51, v44
	v_mov_b32_e32 v114, v52
	s_mov_b32 s41, exec_lo
	v_and_b32_e32 v3, 0x7f, v2
	v_mov_b32_e32 v113, v51
	v_cmpx_ne_u32_e32 0x7f, v3
	s_cbranch_execz .LBB220_248
; %bb.245:                              ;   in Loop: Header=BB220_10 Depth=1
	v_and_b32_e32 v43, 7, v2
	v_lshrrev_b32_e32 v2, 3, v3
	s_mov_b32 s42, exec_lo
	v_cmpx_gt_u32_e32 8, v3
; %bb.246:                              ;   in Loop: Header=BB220_10 Depth=1
	v_ffbh_u32_e32 v2, v43
	v_min_u32_e32 v2, 32, v2
	v_subrev_nc_u32_e32 v3, 28, v2
	v_sub_nc_u32_e32 v2, 29, v2
	v_lshlrev_b64 v[3:4], v3, v[43:44]
	v_and_b32_e32 v43, 7, v3
; %bb.247:                              ;   in Loop: Header=BB220_10 Depth=1
	s_or_b32 exec_lo, exec_lo, s42
	v_lshlrev_b32_e32 v1, 16, v1
	v_lshlrev_b32_e32 v3, 20, v43
	v_lshl_add_u32 v2, v2, 23, 0x3c000000
	v_mov_b32_e32 v113, v44
	v_and_b32_e32 v1, 0x80000000, v1
	v_or3_b32 v114, v3, v1, v2
.LBB220_248:                            ;   in Loop: Header=BB220_10 Depth=1
	s_or_b32 exec_lo, exec_lo, s41
.LBB220_249:                            ;   in Loop: Header=BB220_10 Depth=1
	s_or_b32 exec_lo, exec_lo, s40
.LBB220_250:                            ;   in Loop: Header=BB220_10 Depth=1
	s_or_b32 exec_lo, exec_lo, s3
	global_load_ushort v2, v[61:62], off offset:780
	v_mov_b32_e32 v117, 0
	v_mov_b32_e32 v115, 0
	;; [unrolled: 1-line block ×4, first 2 shown]
	s_waitcnt vmcnt(0)
	v_and_b32_e32 v1, 0xffff, v2
	v_cmp_ne_u16_sdwa s2, v2, v44 src0_sel:BYTE_0 src1_sel:DWORD
	s_and_saveexec_b32 s3, s2
	s_cbranch_execz .LBB220_258
; %bb.251:                              ;   in Loop: Header=BB220_10 Depth=1
	v_bfrev_b32_e32 v115, 1
	v_mov_b32_e32 v116, 0
	v_cmp_ne_u16_sdwa s2, v1, v5 src0_sel:BYTE_0 src1_sel:DWORD
	s_and_saveexec_b32 s40, s2
	s_cbranch_execz .LBB220_257
; %bb.252:                              ;   in Loop: Header=BB220_10 Depth=1
	v_mov_b32_e32 v115, 0x7f800001
	v_and_b32_e32 v3, 0x7f, v1
	v_mov_b32_e32 v116, 0
	s_mov_b32 s41, exec_lo
	v_cmpx_ne_u32_e32 0x7f, v3
	s_cbranch_execz .LBB220_256
; %bb.253:                              ;   in Loop: Header=BB220_10 Depth=1
	v_and_b32_e32 v43, 7, v1
	v_lshrrev_b32_e32 v2, 3, v3
	s_mov_b32 s42, exec_lo
	v_cmpx_gt_u32_e32 8, v3
; %bb.254:                              ;   in Loop: Header=BB220_10 Depth=1
	v_ffbh_u32_e32 v2, v43
	v_min_u32_e32 v2, 32, v2
	v_subrev_nc_u32_e32 v3, 28, v2
	v_sub_nc_u32_e32 v2, 29, v2
	v_lshlrev_b64 v[3:4], v3, v[43:44]
	v_and_b32_e32 v43, 7, v3
; %bb.255:                              ;   in Loop: Header=BB220_10 Depth=1
	s_or_b32 exec_lo, exec_lo, s42
	v_lshlrev_b32_e32 v3, 24, v1
	v_lshlrev_b32_e32 v4, 20, v43
	v_lshl_add_u32 v2, v2, 23, 0x3c000000
	v_and_b32_e32 v3, 0x80000000, v3
	v_or3_b32 v43, v4, v3, v2
	v_mov_b32_e32 v116, v44
	v_mov_b32_e32 v115, v43
.LBB220_256:                            ;   in Loop: Header=BB220_10 Depth=1
	s_or_b32 exec_lo, exec_lo, s41
.LBB220_257:                            ;   in Loop: Header=BB220_10 Depth=1
	s_or_b32 exec_lo, exec_lo, s40
.LBB220_258:                            ;   in Loop: Header=BB220_10 Depth=1
	s_or_b32 exec_lo, exec_lo, s3
	v_cmp_ne_u16_sdwa s2, v1, v44 src0_sel:BYTE_1 src1_sel:DWORD
	s_and_saveexec_b32 s3, s2
	s_cbranch_execz .LBB220_266
; %bb.259:                              ;   in Loop: Header=BB220_10 Depth=1
	v_mov_b32_e32 v55, v44
	v_mov_b32_e32 v118, v56
	v_cmp_ne_u16_sdwa s2, v1, v5 src0_sel:BYTE_1 src1_sel:DWORD
	v_mov_b32_e32 v117, v55
	s_and_saveexec_b32 s40, s2
	s_cbranch_execz .LBB220_265
; %bb.260:                              ;   in Loop: Header=BB220_10 Depth=1
	v_and_b32_sdwa v2, v6, v1 dst_sel:DWORD dst_unused:UNUSED_PAD src0_sel:DWORD src1_sel:BYTE_1
	v_mov_b32_e32 v51, v44
	v_mov_b32_e32 v118, v52
	s_mov_b32 s41, exec_lo
	v_and_b32_e32 v3, 0x7f, v2
	v_mov_b32_e32 v117, v51
	v_cmpx_ne_u32_e32 0x7f, v3
	s_cbranch_execz .LBB220_264
; %bb.261:                              ;   in Loop: Header=BB220_10 Depth=1
	v_and_b32_e32 v43, 7, v2
	v_lshrrev_b32_e32 v2, 3, v3
	s_mov_b32 s42, exec_lo
	v_cmpx_gt_u32_e32 8, v3
; %bb.262:                              ;   in Loop: Header=BB220_10 Depth=1
	v_ffbh_u32_e32 v2, v43
	v_min_u32_e32 v2, 32, v2
	v_subrev_nc_u32_e32 v3, 28, v2
	v_sub_nc_u32_e32 v2, 29, v2
	v_lshlrev_b64 v[3:4], v3, v[43:44]
	v_and_b32_e32 v43, 7, v3
; %bb.263:                              ;   in Loop: Header=BB220_10 Depth=1
	s_or_b32 exec_lo, exec_lo, s42
	v_lshlrev_b32_e32 v1, 16, v1
	v_lshlrev_b32_e32 v3, 20, v43
	v_lshl_add_u32 v2, v2, 23, 0x3c000000
	v_mov_b32_e32 v117, v44
	v_and_b32_e32 v1, 0x80000000, v1
	v_or3_b32 v118, v3, v1, v2
.LBB220_264:                            ;   in Loop: Header=BB220_10 Depth=1
	s_or_b32 exec_lo, exec_lo, s41
.LBB220_265:                            ;   in Loop: Header=BB220_10 Depth=1
	s_or_b32 exec_lo, exec_lo, s40
.LBB220_266:                            ;   in Loop: Header=BB220_10 Depth=1
	s_or_b32 exec_lo, exec_lo, s3
	global_load_ushort v2, v[61:62], off offset:1024
	v_mov_b32_e32 v121, 0
	v_mov_b32_e32 v119, 0
	;; [unrolled: 1-line block ×4, first 2 shown]
	s_waitcnt vmcnt(0)
	v_and_b32_e32 v1, 0xffff, v2
	v_cmp_ne_u16_sdwa s2, v2, v44 src0_sel:BYTE_0 src1_sel:DWORD
	s_and_saveexec_b32 s3, s2
	s_cbranch_execz .LBB220_274
; %bb.267:                              ;   in Loop: Header=BB220_10 Depth=1
	v_bfrev_b32_e32 v119, 1
	v_mov_b32_e32 v120, 0
	v_cmp_ne_u16_sdwa s2, v1, v5 src0_sel:BYTE_0 src1_sel:DWORD
	s_and_saveexec_b32 s40, s2
	s_cbranch_execz .LBB220_273
; %bb.268:                              ;   in Loop: Header=BB220_10 Depth=1
	v_mov_b32_e32 v119, 0x7f800001
	v_and_b32_e32 v3, 0x7f, v1
	v_mov_b32_e32 v120, 0
	s_mov_b32 s41, exec_lo
	v_cmpx_ne_u32_e32 0x7f, v3
	s_cbranch_execz .LBB220_272
; %bb.269:                              ;   in Loop: Header=BB220_10 Depth=1
	v_and_b32_e32 v43, 7, v1
	v_lshrrev_b32_e32 v2, 3, v3
	s_mov_b32 s42, exec_lo
	v_cmpx_gt_u32_e32 8, v3
; %bb.270:                              ;   in Loop: Header=BB220_10 Depth=1
	v_ffbh_u32_e32 v2, v43
	v_min_u32_e32 v2, 32, v2
	v_subrev_nc_u32_e32 v3, 28, v2
	v_sub_nc_u32_e32 v2, 29, v2
	v_lshlrev_b64 v[3:4], v3, v[43:44]
	v_and_b32_e32 v43, 7, v3
; %bb.271:                              ;   in Loop: Header=BB220_10 Depth=1
	s_or_b32 exec_lo, exec_lo, s42
	v_lshlrev_b32_e32 v3, 24, v1
	v_lshlrev_b32_e32 v4, 20, v43
	v_lshl_add_u32 v2, v2, 23, 0x3c000000
	v_and_b32_e32 v3, 0x80000000, v3
	v_or3_b32 v43, v4, v3, v2
	v_mov_b32_e32 v120, v44
	v_mov_b32_e32 v119, v43
.LBB220_272:                            ;   in Loop: Header=BB220_10 Depth=1
	s_or_b32 exec_lo, exec_lo, s41
.LBB220_273:                            ;   in Loop: Header=BB220_10 Depth=1
	s_or_b32 exec_lo, exec_lo, s40
.LBB220_274:                            ;   in Loop: Header=BB220_10 Depth=1
	s_or_b32 exec_lo, exec_lo, s3
	v_cmp_ne_u16_sdwa s2, v1, v44 src0_sel:BYTE_1 src1_sel:DWORD
	s_and_saveexec_b32 s3, s2
	s_cbranch_execz .LBB220_282
; %bb.275:                              ;   in Loop: Header=BB220_10 Depth=1
	v_mov_b32_e32 v55, v44
	v_mov_b32_e32 v122, v56
	v_cmp_ne_u16_sdwa s2, v1, v5 src0_sel:BYTE_1 src1_sel:DWORD
	v_mov_b32_e32 v121, v55
	s_and_saveexec_b32 s40, s2
	s_cbranch_execz .LBB220_281
; %bb.276:                              ;   in Loop: Header=BB220_10 Depth=1
	v_and_b32_sdwa v2, v6, v1 dst_sel:DWORD dst_unused:UNUSED_PAD src0_sel:DWORD src1_sel:BYTE_1
	v_mov_b32_e32 v51, v44
	v_mov_b32_e32 v122, v52
	s_mov_b32 s41, exec_lo
	v_and_b32_e32 v3, 0x7f, v2
	v_mov_b32_e32 v121, v51
	v_cmpx_ne_u32_e32 0x7f, v3
	s_cbranch_execz .LBB220_280
; %bb.277:                              ;   in Loop: Header=BB220_10 Depth=1
	v_and_b32_e32 v43, 7, v2
	v_lshrrev_b32_e32 v2, 3, v3
	s_mov_b32 s42, exec_lo
	v_cmpx_gt_u32_e32 8, v3
; %bb.278:                              ;   in Loop: Header=BB220_10 Depth=1
	v_ffbh_u32_e32 v2, v43
	v_min_u32_e32 v2, 32, v2
	v_subrev_nc_u32_e32 v3, 28, v2
	v_sub_nc_u32_e32 v2, 29, v2
	v_lshlrev_b64 v[3:4], v3, v[43:44]
	v_and_b32_e32 v43, 7, v3
; %bb.279:                              ;   in Loop: Header=BB220_10 Depth=1
	s_or_b32 exec_lo, exec_lo, s42
	v_lshlrev_b32_e32 v1, 16, v1
	v_lshlrev_b32_e32 v3, 20, v43
	v_lshl_add_u32 v2, v2, 23, 0x3c000000
	v_mov_b32_e32 v121, v44
	v_and_b32_e32 v1, 0x80000000, v1
	v_or3_b32 v122, v3, v1, v2
.LBB220_280:                            ;   in Loop: Header=BB220_10 Depth=1
	s_or_b32 exec_lo, exec_lo, s41
.LBB220_281:                            ;   in Loop: Header=BB220_10 Depth=1
	s_or_b32 exec_lo, exec_lo, s40
.LBB220_282:                            ;   in Loop: Header=BB220_10 Depth=1
	s_or_b32 exec_lo, exec_lo, s3
	global_load_ushort v2, v[61:62], off offset:1028
	v_mov_b32_e32 v125, 0
	v_mov_b32_e32 v123, 0
	;; [unrolled: 1-line block ×4, first 2 shown]
	s_waitcnt vmcnt(0)
	v_and_b32_e32 v1, 0xffff, v2
	v_cmp_ne_u16_sdwa s2, v2, v44 src0_sel:BYTE_0 src1_sel:DWORD
	s_and_saveexec_b32 s3, s2
	s_cbranch_execz .LBB220_290
; %bb.283:                              ;   in Loop: Header=BB220_10 Depth=1
	v_bfrev_b32_e32 v123, 1
	v_mov_b32_e32 v124, 0
	v_cmp_ne_u16_sdwa s2, v1, v5 src0_sel:BYTE_0 src1_sel:DWORD
	s_and_saveexec_b32 s40, s2
	s_cbranch_execz .LBB220_289
; %bb.284:                              ;   in Loop: Header=BB220_10 Depth=1
	v_mov_b32_e32 v123, 0x7f800001
	v_and_b32_e32 v3, 0x7f, v1
	v_mov_b32_e32 v124, 0
	s_mov_b32 s41, exec_lo
	v_cmpx_ne_u32_e32 0x7f, v3
	s_cbranch_execz .LBB220_288
; %bb.285:                              ;   in Loop: Header=BB220_10 Depth=1
	v_and_b32_e32 v43, 7, v1
	v_lshrrev_b32_e32 v2, 3, v3
	s_mov_b32 s42, exec_lo
	v_cmpx_gt_u32_e32 8, v3
; %bb.286:                              ;   in Loop: Header=BB220_10 Depth=1
	v_ffbh_u32_e32 v2, v43
	v_min_u32_e32 v2, 32, v2
	v_subrev_nc_u32_e32 v3, 28, v2
	v_sub_nc_u32_e32 v2, 29, v2
	v_lshlrev_b64 v[3:4], v3, v[43:44]
	v_and_b32_e32 v43, 7, v3
; %bb.287:                              ;   in Loop: Header=BB220_10 Depth=1
	s_or_b32 exec_lo, exec_lo, s42
	v_lshlrev_b32_e32 v3, 24, v1
	v_lshlrev_b32_e32 v4, 20, v43
	v_lshl_add_u32 v2, v2, 23, 0x3c000000
	v_and_b32_e32 v3, 0x80000000, v3
	v_or3_b32 v43, v4, v3, v2
	v_mov_b32_e32 v124, v44
	v_mov_b32_e32 v123, v43
.LBB220_288:                            ;   in Loop: Header=BB220_10 Depth=1
	s_or_b32 exec_lo, exec_lo, s41
.LBB220_289:                            ;   in Loop: Header=BB220_10 Depth=1
	s_or_b32 exec_lo, exec_lo, s40
.LBB220_290:                            ;   in Loop: Header=BB220_10 Depth=1
	s_or_b32 exec_lo, exec_lo, s3
	v_cmp_ne_u16_sdwa s2, v1, v44 src0_sel:BYTE_1 src1_sel:DWORD
	s_and_saveexec_b32 s3, s2
	s_cbranch_execz .LBB220_298
; %bb.291:                              ;   in Loop: Header=BB220_10 Depth=1
	v_mov_b32_e32 v55, v44
	v_mov_b32_e32 v126, v56
	v_cmp_ne_u16_sdwa s2, v1, v5 src0_sel:BYTE_1 src1_sel:DWORD
	v_mov_b32_e32 v125, v55
	s_and_saveexec_b32 s40, s2
	s_cbranch_execz .LBB220_297
; %bb.292:                              ;   in Loop: Header=BB220_10 Depth=1
	v_and_b32_sdwa v2, v6, v1 dst_sel:DWORD dst_unused:UNUSED_PAD src0_sel:DWORD src1_sel:BYTE_1
	v_mov_b32_e32 v51, v44
	v_mov_b32_e32 v126, v52
	s_mov_b32 s41, exec_lo
	v_and_b32_e32 v3, 0x7f, v2
	v_mov_b32_e32 v125, v51
	v_cmpx_ne_u32_e32 0x7f, v3
	s_cbranch_execz .LBB220_296
; %bb.293:                              ;   in Loop: Header=BB220_10 Depth=1
	v_and_b32_e32 v43, 7, v2
	v_lshrrev_b32_e32 v2, 3, v3
	s_mov_b32 s42, exec_lo
	v_cmpx_gt_u32_e32 8, v3
; %bb.294:                              ;   in Loop: Header=BB220_10 Depth=1
	v_ffbh_u32_e32 v2, v43
	v_min_u32_e32 v2, 32, v2
	v_subrev_nc_u32_e32 v3, 28, v2
	v_sub_nc_u32_e32 v2, 29, v2
	v_lshlrev_b64 v[3:4], v3, v[43:44]
	v_and_b32_e32 v43, 7, v3
; %bb.295:                              ;   in Loop: Header=BB220_10 Depth=1
	s_or_b32 exec_lo, exec_lo, s42
	v_lshlrev_b32_e32 v1, 16, v1
	v_lshlrev_b32_e32 v3, 20, v43
	v_lshl_add_u32 v2, v2, 23, 0x3c000000
	v_mov_b32_e32 v125, v44
	v_and_b32_e32 v1, 0x80000000, v1
	v_or3_b32 v126, v3, v1, v2
.LBB220_296:                            ;   in Loop: Header=BB220_10 Depth=1
	s_or_b32 exec_lo, exec_lo, s41
.LBB220_297:                            ;   in Loop: Header=BB220_10 Depth=1
	s_or_b32 exec_lo, exec_lo, s40
.LBB220_298:                            ;   in Loop: Header=BB220_10 Depth=1
	s_or_b32 exec_lo, exec_lo, s3
	global_load_ushort v1, v[61:62], off offset:1032
	v_mov_b32_e32 v3, 0
	v_mov_b32_e32 v4, 0
	s_waitcnt vmcnt(0)
	v_and_b32_e32 v8, 0xffff, v1
	v_cmp_ne_u16_sdwa s2, v1, v44 src0_sel:BYTE_0 src1_sel:DWORD
	v_mov_b32_e32 v1, 0
	v_mov_b32_e32 v2, 0
	s_and_saveexec_b32 s3, s2
	s_cbranch_execz .LBB220_306
; %bb.299:                              ;   in Loop: Header=BB220_10 Depth=1
	v_bfrev_b32_e32 v1, 1
	v_mov_b32_e32 v2, 0
	v_cmp_ne_u16_sdwa s2, v8, v5 src0_sel:BYTE_0 src1_sel:DWORD
	s_and_saveexec_b32 s40, s2
	s_cbranch_execz .LBB220_305
; %bb.300:                              ;   in Loop: Header=BB220_10 Depth=1
	v_mov_b32_e32 v1, 0x7f800001
	v_and_b32_e32 v49, 0x7f, v8
	v_mov_b32_e32 v2, 0
	s_mov_b32 s41, exec_lo
	v_cmpx_ne_u32_e32 0x7f, v49
	s_cbranch_execz .LBB220_304
; %bb.301:                              ;   in Loop: Header=BB220_10 Depth=1
	v_and_b32_e32 v43, 7, v8
	v_lshrrev_b32_e32 v1, 3, v49
	s_mov_b32 s42, exec_lo
	v_cmpx_gt_u32_e32 8, v49
; %bb.302:                              ;   in Loop: Header=BB220_10 Depth=1
	v_ffbh_u32_e32 v1, v43
	v_min_u32_e32 v1, 32, v1
	v_subrev_nc_u32_e32 v2, 28, v1
	v_sub_nc_u32_e32 v1, 29, v1
	v_lshlrev_b64 v[49:50], v2, v[43:44]
	v_and_b32_e32 v43, 7, v49
; %bb.303:                              ;   in Loop: Header=BB220_10 Depth=1
	s_or_b32 exec_lo, exec_lo, s42
	v_lshlrev_b32_e32 v2, 24, v8
	v_lshlrev_b32_e32 v43, 20, v43
	v_lshl_add_u32 v1, v1, 23, 0x3c000000
	v_and_b32_e32 v2, 0x80000000, v2
	v_or3_b32 v43, v43, v2, v1
	v_mov_b32_e32 v1, v43
	v_mov_b32_e32 v2, v44
.LBB220_304:                            ;   in Loop: Header=BB220_10 Depth=1
	s_or_b32 exec_lo, exec_lo, s41
.LBB220_305:                            ;   in Loop: Header=BB220_10 Depth=1
	s_or_b32 exec_lo, exec_lo, s40
.LBB220_306:                            ;   in Loop: Header=BB220_10 Depth=1
	s_or_b32 exec_lo, exec_lo, s3
	v_cmp_ne_u16_sdwa s2, v8, v44 src0_sel:BYTE_1 src1_sel:DWORD
	s_and_saveexec_b32 s3, s2
	s_cbranch_execz .LBB220_314
; %bb.307:                              ;   in Loop: Header=BB220_10 Depth=1
	v_mov_b32_e32 v55, v44
	v_cmp_ne_u16_sdwa s2, v8, v5 src0_sel:BYTE_1 src1_sel:DWORD
	v_mov_b32_e32 v3, v55
	v_mov_b32_e32 v4, v56
	s_and_saveexec_b32 s40, s2
	s_cbranch_execz .LBB220_313
; %bb.308:                              ;   in Loop: Header=BB220_10 Depth=1
	v_mov_b32_e32 v51, v44
	v_and_b32_sdwa v43, v6, v8 dst_sel:DWORD dst_unused:UNUSED_PAD src0_sel:DWORD src1_sel:BYTE_1
	s_mov_b32 s41, exec_lo
	v_mov_b32_e32 v3, v51
	v_and_b32_e32 v49, 0x7f, v43
	v_mov_b32_e32 v4, v52
	v_cmpx_ne_u32_e32 0x7f, v49
	s_cbranch_execz .LBB220_312
; %bb.309:                              ;   in Loop: Header=BB220_10 Depth=1
	v_and_b32_e32 v43, 7, v43
	v_lshrrev_b32_e32 v3, 3, v49
	s_mov_b32 s42, exec_lo
	v_cmpx_gt_u32_e32 8, v49
; %bb.310:                              ;   in Loop: Header=BB220_10 Depth=1
	v_ffbh_u32_e32 v3, v43
	v_min_u32_e32 v3, 32, v3
	v_subrev_nc_u32_e32 v4, 28, v3
	v_sub_nc_u32_e32 v3, 29, v3
	v_lshlrev_b64 v[49:50], v4, v[43:44]
	v_and_b32_e32 v43, 7, v49
; %bb.311:                              ;   in Loop: Header=BB220_10 Depth=1
	s_or_b32 exec_lo, exec_lo, s42
	v_lshlrev_b32_e32 v4, 16, v8
	v_lshlrev_b32_e32 v8, 20, v43
	v_lshl_add_u32 v3, v3, 23, 0x3c000000
	v_and_b32_e32 v4, 0x80000000, v4
	v_or3_b32 v4, v8, v4, v3
	v_mov_b32_e32 v3, v44
.LBB220_312:                            ;   in Loop: Header=BB220_10 Depth=1
	s_or_b32 exec_lo, exec_lo, s41
.LBB220_313:                            ;   in Loop: Header=BB220_10 Depth=1
	s_or_b32 exec_lo, exec_lo, s40
.LBB220_314:                            ;   in Loop: Header=BB220_10 Depth=1
	s_or_b32 exec_lo, exec_lo, s3
	global_load_ushort v43, v[61:62], off offset:1036
	v_mov_b32_e32 v49, 0
	v_mov_b32_e32 v61, 0
	;; [unrolled: 1-line block ×4, first 2 shown]
	s_waitcnt vmcnt(0)
	v_and_b32_e32 v8, 0xffff, v43
	v_cmp_ne_u16_sdwa s2, v43, v44 src0_sel:BYTE_0 src1_sel:DWORD
	s_and_saveexec_b32 s3, s2
	s_cbranch_execz .LBB220_322
; %bb.315:                              ;   in Loop: Header=BB220_10 Depth=1
	v_bfrev_b32_e32 v61, 1
	v_mov_b32_e32 v62, 0
	v_cmp_ne_u16_sdwa s2, v8, v5 src0_sel:BYTE_0 src1_sel:DWORD
	s_and_saveexec_b32 s40, s2
	s_cbranch_execz .LBB220_321
; %bb.316:                              ;   in Loop: Header=BB220_10 Depth=1
	v_mov_b32_e32 v61, 0x7f800001
	v_and_b32_e32 v55, 0x7f, v8
	v_mov_b32_e32 v62, 0
	s_mov_b32 s41, exec_lo
	v_cmpx_ne_u32_e32 0x7f, v55
	s_cbranch_execz .LBB220_320
; %bb.317:                              ;   in Loop: Header=BB220_10 Depth=1
	v_and_b32_e32 v43, 7, v8
	v_lshrrev_b32_e32 v51, 3, v55
	s_mov_b32 s42, exec_lo
	v_cmpx_gt_u32_e32 8, v55
; %bb.318:                              ;   in Loop: Header=BB220_10 Depth=1
	v_ffbh_u32_e32 v51, v43
	v_min_u32_e32 v51, 32, v51
	v_subrev_nc_u32_e32 v55, 28, v51
	v_sub_nc_u32_e32 v51, 29, v51
	v_lshlrev_b64 v[61:62], v55, v[43:44]
	v_and_b32_e32 v43, 7, v61
; %bb.319:                              ;   in Loop: Header=BB220_10 Depth=1
	s_or_b32 exec_lo, exec_lo, s42
	v_lshlrev_b32_e32 v55, 24, v8
	v_lshlrev_b32_e32 v43, 20, v43
	v_lshl_add_u32 v51, v51, 23, 0x3c000000
	v_and_b32_e32 v55, 0x80000000, v55
	v_or3_b32 v43, v43, v55, v51
	v_mov_b32_e32 v62, v44
	v_mov_b32_e32 v61, v43
.LBB220_320:                            ;   in Loop: Header=BB220_10 Depth=1
	s_or_b32 exec_lo, exec_lo, s41
.LBB220_321:                            ;   in Loop: Header=BB220_10 Depth=1
	s_or_b32 exec_lo, exec_lo, s40
.LBB220_322:                            ;   in Loop: Header=BB220_10 Depth=1
	s_or_b32 exec_lo, exec_lo, s3
	v_cmp_ne_u16_sdwa s2, v8, v44 src0_sel:BYTE_1 src1_sel:DWORD
	s_and_saveexec_b32 s3, s2
	s_cbranch_execz .LBB220_330
; %bb.323:                              ;   in Loop: Header=BB220_10 Depth=1
	v_mov_b32_e32 v55, v44
	v_cmp_ne_u16_sdwa s2, v8, v5 src0_sel:BYTE_1 src1_sel:DWORD
	v_mov_b32_e32 v49, v55
	v_mov_b32_e32 v50, v56
	s_and_saveexec_b32 s40, s2
	s_cbranch_execz .LBB220_329
; %bb.324:                              ;   in Loop: Header=BB220_10 Depth=1
	v_mov_b32_e32 v51, v44
	v_and_b32_sdwa v43, v6, v8 dst_sel:DWORD dst_unused:UNUSED_PAD src0_sel:DWORD src1_sel:BYTE_1
	s_mov_b32 s41, exec_lo
	v_mov_b32_e32 v49, v51
	v_and_b32_e32 v55, 0x7f, v43
	v_mov_b32_e32 v50, v52
	v_cmpx_ne_u32_e32 0x7f, v55
	s_cbranch_execz .LBB220_328
; %bb.325:                              ;   in Loop: Header=BB220_10 Depth=1
	v_and_b32_e32 v43, 7, v43
	v_lshrrev_b32_e32 v49, 3, v55
	s_mov_b32 s42, exec_lo
	v_cmpx_gt_u32_e32 8, v55
; %bb.326:                              ;   in Loop: Header=BB220_10 Depth=1
	v_ffbh_u32_e32 v49, v43
	v_min_u32_e32 v49, 32, v49
	v_subrev_nc_u32_e32 v50, 28, v49
	v_sub_nc_u32_e32 v49, 29, v49
	v_lshlrev_b64 v[50:51], v50, v[43:44]
	v_and_b32_e32 v43, 7, v50
; %bb.327:                              ;   in Loop: Header=BB220_10 Depth=1
	s_or_b32 exec_lo, exec_lo, s42
	v_lshlrev_b32_e32 v8, 16, v8
	v_lshlrev_b32_e32 v43, 20, v43
	v_lshl_add_u32 v49, v49, 23, 0x3c000000
	v_and_b32_e32 v8, 0x80000000, v8
	v_or3_b32 v50, v43, v8, v49
	v_mov_b32_e32 v49, v44
.LBB220_328:                            ;   in Loop: Header=BB220_10 Depth=1
	s_or_b32 exec_lo, exec_lo, s41
.LBB220_329:                            ;   in Loop: Header=BB220_10 Depth=1
	s_or_b32 exec_lo, exec_lo, s40
.LBB220_330:                            ;   in Loop: Header=BB220_10 Depth=1
	s_or_b32 exec_lo, exec_lo, s3
	v_or_b32_e32 v8, v66, v64
	v_or_b32_e32 v43, v65, v63
	;; [unrolled: 1-line block ×6, first 2 shown]
	s_clause 0x3
	buffer_load_dword v85, off, s[44:47], 0 offset:4
	buffer_load_dword v86, off, s[44:47], 0 offset:8
	;; [unrolled: 1-line block ×4, first 2 shown]
	v_or_b32_e32 v51, v59, v57
	v_or_b32_e32 v45, v45, v53
	;; [unrolled: 1-line block ×5, first 2 shown]
	v_mul_f32_e32 v51, s4, v51
	v_mul_f32_e32 v45, s4, v45
	v_or_b32_e32 v1, v3, v1
	v_mul_f32_e32 v46, s39, v46
	v_or_b32_e32 v3, v70, v68
	v_or_b32_e32 v4, v69, v67
	v_mul_f32_e32 v43, s4, v43
	v_mul_f32_e32 v8, s39, v8
	v_or_b32_e32 v54, v73, v71
	v_mul_f32_e32 v3, s39, v3
	v_mul_f32_e32 v4, s4, v4
	v_or_b32_e32 v53, v74, v72
	v_or_b32_e32 v58, v77, v75
	;; [unrolled: 1-line block ×22, first 2 shown]
	v_mul_f32_e32 v1, s4, v1
	v_or_b32_e32 v83, v126, v124
	v_or_b32_e32 v49, v49, v61
	;; [unrolled: 1-line block ×3, first 2 shown]
	s_waitcnt vmcnt(1)
	v_mul_f32_e32 v51, v87, v51
	v_fmac_f32_e32 v51, v85, v45
	v_mul_f32_e32 v45, s39, v55
	s_waitcnt vmcnt(0)
	v_mul_f32_e32 v45, v88, v45
	v_fmac_f32_e32 v45, v86, v46
	s_clause 0x3
	buffer_load_dword v85, off, s[44:47], 0 offset:20
	buffer_load_dword v86, off, s[44:47], 0 offset:24
	;; [unrolled: 1-line block ×4, first 2 shown]
	s_waitcnt vmcnt(3)
	v_fmac_f32_e32 v51, v85, v43
	s_waitcnt vmcnt(2)
	v_fmac_f32_e32 v45, v86, v8
	;; [unrolled: 2-line block ×4, first 2 shown]
	v_mul_f32_e32 v3, s4, v54
	s_waitcnt lgkmcnt(7)
	v_fmac_f32_e32 v51, v9, v3
	v_mul_f32_e32 v3, s39, v53
	v_fmac_f32_e32 v45, v10, v3
	v_mul_f32_e32 v3, s4, v58
	v_fmac_f32_e32 v51, v11, v3
	v_mul_f32_e32 v3, s39, v57
	v_fmac_f32_e32 v45, v12, v3
	v_mul_f32_e32 v3, s4, v60
	s_waitcnt lgkmcnt(6)
	v_fmac_f32_e32 v51, v13, v3
	v_mul_f32_e32 v3, s39, v59
	v_fmac_f32_e32 v45, v14, v3
	v_mul_f32_e32 v3, s4, v64
	v_fmac_f32_e32 v51, v15, v3
	v_mul_f32_e32 v3, s39, v63
	v_fmac_f32_e32 v45, v16, v3
	;; [unrolled: 9-line block ×6, first 2 shown]
	v_mul_f32_e32 v3, s4, v82
	s_waitcnt lgkmcnt(1)
	v_fmac_f32_e32 v51, v33, v3
	v_mul_f32_e32 v3, s39, v81
	v_fmac_f32_e32 v45, v34, v3
	v_mul_f32_e32 v3, s4, v84
	;; [unrolled: 2-line block ×3, first 2 shown]
	s_waitcnt lgkmcnt(0)
	v_fmac_f32_e32 v51, v37, v1
	v_mul_f32_e32 v1, s39, v2
	buffer_load_dword v2, off, s[44:47], 0 offset:36 ; 4-byte Folded Reload
	v_fmac_f32_e32 v45, v36, v3
	v_fmac_f32_e32 v45, v38, v1
	v_mul_f32_e32 v1, s4, v49
	v_fmac_f32_e32 v51, v39, v1
	v_mul_f32_e32 v1, s39, v50
	v_fmac_f32_e32 v45, v40, v1
	v_add_f32_e32 v1, v51, v45
	s_waitcnt vmcnt(0)
	ds_bpermute_b32 v2, v2, v1
	s_and_saveexec_b32 s3, vcc_lo
	s_cbranch_execz .LBB220_9
; %bb.331:                              ;   in Loop: Header=BB220_10 Depth=1
	buffer_load_dword v4, off, s[44:47], 0  ; 4-byte Folded Reload
	v_add_nc_u32_e32 v3, s5, v127
	s_waitcnt lgkmcnt(0)
	v_add_f32_e32 v1, v1, v2
	v_cmp_gt_i32_e64 s2, s27, v127
	v_cvt_f32_i32_e32 v3, v3
	v_mul_f32_e32 v3, s36, v3
	v_cndmask_b32_e64 v2, 0, v3, s1
	v_fmac_f32_e32 v2, s37, v1
	s_waitcnt vmcnt(0)
	v_max_f32_e32 v3, v4, v4
	v_max_f32_e32 v1, v3, v2
	v_cndmask_b32_e64 v2, 0, v2, s2
	v_cndmask_b32_e64 v4, v4, v1, s2
	ds_write_b32 v0, v2
	buffer_store_dword v4, off, s[44:47], 0 ; 4-byte Folded Spill
	s_branch .LBB220_9
.LBB220_332:
	s_or_b32 exec_lo, exec_lo, s16
	s_clause 0x4
	buffer_load_dword v85, off, s[44:47], 0 offset:48
	buffer_load_dword v86, off, s[44:47], 0 offset:52
	buffer_load_dword v11, off, s[44:47], 0 offset:56
	buffer_load_dword v28, off, s[44:47], 0 offset:60
	buffer_load_dword v3, off, s[44:47], 0
	v_mov_b32_e32 v8, 32
.LBB220_333:
	s_or_b32 exec_lo, exec_lo, s38
	s_waitcnt vmcnt(1)
	v_xor_b32_e32 v0, 16, v28
	s_waitcnt lgkmcnt(0)
	v_xor_b32_e32 v2, 8, v28
	s_waitcnt vmcnt(0)
	v_max_f32_e32 v4, v3, v3
	v_xor_b32_e32 v5, 2, v28
	v_and_b32_e32 v25, 31, v85
	v_cmp_lt_i32_e32 vcc_lo, v0, v8
	v_cndmask_b32_e32 v0, v28, v0, vcc_lo
	v_cmp_lt_i32_e32 vcc_lo, v2, v8
	v_lshlrev_b32_e32 v1, 2, v0
	v_cndmask_b32_e32 v2, v28, v2, vcc_lo
	ds_bpermute_b32 v0, v1, v3
	v_lshlrev_b32_e32 v3, 2, v2
	s_waitcnt lgkmcnt(0)
	v_max_f32_e32 v0, v0, v0
	v_max_f32_e32 v0, v4, v0
	v_xor_b32_e32 v4, 4, v28
	ds_bpermute_b32 v2, v3, v0
	v_cmp_lt_i32_e32 vcc_lo, v4, v8
	v_cndmask_b32_e32 v4, v28, v4, vcc_lo
	v_cmp_lt_i32_e32 vcc_lo, v5, v8
	v_lshlrev_b32_e32 v4, 2, v4
	v_cndmask_b32_e32 v5, v28, v5, vcc_lo
	v_cmp_eq_u32_e32 vcc_lo, 0, v25
	v_lshlrev_b32_e32 v26, 2, v5
	v_lshlrev_b32_e32 v5, 2, v86
	s_waitcnt lgkmcnt(0)
	v_max_f32_e32 v2, v2, v2
	v_max_f32_e32 v0, v0, v2
	ds_bpermute_b32 v2, v4, v0
	s_waitcnt lgkmcnt(0)
	v_max_f32_e32 v2, v2, v2
	v_max_f32_e32 v0, v0, v2
	ds_bpermute_b32 v2, v26, v0
	s_and_saveexec_b32 s1, vcc_lo
	s_cbranch_execz .LBB220_335
; %bb.334:
	s_waitcnt lgkmcnt(0)
	v_max_f32_e32 v2, v2, v2
	v_max_f32_e32 v0, v0, v0
	;; [unrolled: 1-line block ×3, first 2 shown]
	ds_write_b32 v5, v0 offset:320
.LBB220_335:
	s_or_b32 exec_lo, exec_lo, s1
	v_cmp_gt_u32_e64 s1, 4, v25
	v_mov_b32_e32 v0, 0xff7fffff
	v_lshlrev_b32_e32 v6, 2, v25
	s_waitcnt lgkmcnt(0)
	s_waitcnt_vscnt null, 0x0
	s_barrier
	buffer_gl0_inv
	s_and_saveexec_b32 s2, s1
; %bb.336:
	ds_read_b32 v0, v6 offset:320
; %bb.337:
	s_or_b32 exec_lo, exec_lo, s2
	s_waitcnt lgkmcnt(0)
	ds_bpermute_b32 v2, v26, v0
	v_xor_b32_e32 v7, 1, v28
	v_max_f32_e32 v0, v0, v0
	v_cmp_lt_i32_e64 s2, v7, v8
	v_cndmask_b32_e64 v7, v28, v7, s2
	s_sub_i32 s2, s11, s15
	s_lshl_b32 s2, s2, 4
	v_lshlrev_b32_e32 v27, 2, v7
	s_add_i32 s2, s2, s33
	v_mov_b32_e32 v7, 0
	s_min_i32 s2, s2, s27
	s_waitcnt lgkmcnt(0)
	v_max_f32_e32 v2, v2, v2
	s_sub_i32 s4, s2, s33
	v_cmp_gt_i32_e64 s2, s4, v85
	v_max_f32_e32 v0, v0, v2
	ds_bpermute_b32 v2, v27, v0
	s_waitcnt lgkmcnt(0)
	v_max_f32_e32 v2, v2, v2
	v_max_f32_e32 v0, v0, v2
	v_lshlrev_b32_e32 v2, 2, v44
	ds_bpermute_b32 v0, v2, v0
	v_lshl_add_u32 v2, v85, 2, 0x160
	s_and_saveexec_b32 s5, s2
	s_cbranch_execz .LBB220_341
; %bb.338:
	v_lshl_add_u32 v8, v85, 2, 0x160
	v_mov_b32_e32 v7, 0
	v_mov_b32_e32 v9, v85
	s_mov_b32 s15, 0
	.p2align	6
.LBB220_339:                            ; =>This Inner Loop Header: Depth=1
	ds_read_b32 v10, v8
	v_add_nc_u32_e32 v9, 0x80, v9
	v_cmp_le_i32_e64 s3, s4, v9
	s_or_b32 s15, s3, s15
	s_waitcnt lgkmcnt(0)
	v_sub_f32_e32 v10, v10, v0
	v_mul_f32_e32 v10, 0x3fb8aa3b, v10
	v_exp_f32_e32 v10, v10
	ds_write_b32 v8, v10
	v_add_f32_e32 v7, v7, v10
	v_add_nc_u32_e32 v8, 0x200, v8
	s_andn2_b32 exec_lo, exec_lo, s15
	s_cbranch_execnz .LBB220_339
; %bb.340:
	s_or_b32 exec_lo, exec_lo, s15
.LBB220_341:
	s_or_b32 exec_lo, exec_lo, s5
	ds_bpermute_b32 v1, v1, v7
	s_waitcnt lgkmcnt(0)
	v_add_f32_e32 v1, v7, v1
	ds_bpermute_b32 v3, v3, v1
	s_waitcnt lgkmcnt(0)
	v_add_f32_e32 v1, v1, v3
	;; [unrolled: 3-line block ×5, first 2 shown]
	s_and_saveexec_b32 s3, vcc_lo
; %bb.342:
	ds_write_b32 v5, v1 offset:336
; %bb.343:
	s_or_b32 exec_lo, exec_lo, s3
	s_waitcnt lgkmcnt(0)
	s_barrier
	buffer_gl0_inv
	s_and_saveexec_b32 s3, s1
; %bb.344:
	ds_read_b32 v1, v6 offset:336
; %bb.345:
	s_or_b32 exec_lo, exec_lo, s3
	s_waitcnt lgkmcnt(0)
	ds_bpermute_b32 v3, v26, v1
	v_lshlrev_b32_e32 v4, 2, v28
	s_waitcnt lgkmcnt(0)
	v_add_f32_e32 v1, v1, v3
	ds_bpermute_b32 v3, v27, v1
	s_waitcnt lgkmcnt(0)
	v_add_f32_e32 v1, v1, v3
	v_and_b32_e32 v3, 0xffffff80, v4
	ds_bpermute_b32 v1, v3, v1
	s_and_saveexec_b32 s1, s2
	s_cbranch_execz .LBB220_348
; %bb.346:
	s_waitcnt lgkmcnt(0)
	v_add_f32_e32 v3, 0x358637bd, v1
	s_mov_b32 s2, 0
	v_div_scale_f32 v4, null, v3, v3, 1.0
	v_div_scale_f32 v7, vcc_lo, 1.0, v3, 1.0
	v_rcp_f32_e32 v5, v4
	v_fma_f32 v6, -v4, v5, 1.0
	v_fmac_f32_e32 v5, v6, v5
	v_mul_f32_e32 v6, v7, v5
	v_fma_f32 v8, -v4, v6, v7
	v_fmac_f32_e32 v6, v8, v5
	v_fma_f32 v4, -v4, v6, v7
	v_div_fmas_f32 v4, v4, v5, v6
	v_div_fixup_f32 v3, v4, v3, 1.0
	v_mov_b32_e32 v4, v85
.LBB220_347:                            ; =>This Inner Loop Header: Depth=1
	ds_read_b32 v5, v2
	v_add_nc_u32_e32 v4, 0x80, v4
	v_cmp_le_i32_e32 vcc_lo, s4, v4
	s_or_b32 s2, vcc_lo, s2
	s_waitcnt lgkmcnt(0)
	v_mul_f32_e32 v5, v3, v5
	ds_write_b32 v2, v5
	v_add_nc_u32_e32 v2, 0x200, v2
	s_andn2_b32 exec_lo, exec_lo, s2
	s_cbranch_execnz .LBB220_347
.LBB220_348:
	s_or_b32 exec_lo, exec_lo, s1
	s_mul_i32 s1, s7, s26
	s_waitcnt lgkmcnt(0)
	s_mul_i32 s2, s1, s9
	s_mov_b32 s1, exec_lo
	s_barrier
	buffer_gl0_inv
	v_cmpx_eq_u32_e32 0, v85
	s_cbranch_execz .LBB220_350
; %bb.349:
	s_ashr_i32 s3, s2, 31
	s_mul_i32 s16, s7, s6
	s_lshl_b64 s[4:5], s[2:3], 2
	v_mov_b32_e32 v2, 0
	s_add_u32 s3, s22, s4
	s_addc_u32 s6, s23, s5
	s_ashr_i32 s17, s16, 31
	s_lshl_b64 s[16:17], s[16:17], 2
	s_add_u32 s3, s3, s16
	s_addc_u32 s6, s6, s17
	s_ashr_i32 s9, s8, 31
	s_lshl_b64 s[22:23], s[8:9], 2
	s_add_u32 s36, s3, s22
	s_addc_u32 s37, s6, s23
	s_add_u32 s3, s20, s4
	s_addc_u32 s4, s21, s5
	;; [unrolled: 2-line block ×4, first 2 shown]
	global_store_dword v2, v0, s[36:37]
	global_store_dword v2, v1, s[4:5]
.LBB220_350:
	s_or_b32 exec_lo, exec_lo, s1
	v_mov_b32_e32 v35, 0
	v_and_b32_e32 v28, 3, v85
	v_mov_b32_e32 v37, 0
	v_mov_b32_e32 v36, 0
	;; [unrolled: 1-line block ×9, first 2 shown]
	s_and_saveexec_b32 s1, s0
	s_cbranch_execz .LBB220_694
; %bb.351:
	s_load_dword s3, s[18:19], 0x0
	v_and_b32_e32 v0, 12, v11
	v_and_b32_e32 v1, 0x7c, v11
	v_lshl_add_u32 v3, v86, 4, s33
	s_ashr_i32 s0, s14, 31
	s_add_u32 s4, s34, s14
	v_lshlrev_b32_e32 v2, 4, v28
	s_addc_u32 s0, s35, s0
	v_add_co_u32 v7, s4, s4, v1
	v_add3_u32 v38, v3, v0, 3
	v_lshlrev_b64 v[0:1], 2, v[41:42]
	v_add_co_ci_u32_e64 v8, null, s0, 0, s4
	s_lshl_b64 s[4:5], s[30:31], 2
	s_add_i32 s12, s12, -1
	v_lshl_or_b32 v2, v86, 6, v2
	s_add_u32 s0, s28, s4
	s_addc_u32 s4, s29, s5
	v_add_co_u32 v9, vcc_lo, s0, v0
	v_mov_b32_e32 v6, 0
	v_add_nc_u32_e32 v39, 0x160, v2
	v_add_co_ci_u32_e64 v10, null, s4, v1, vcc_lo
	v_mov_b32_e32 v40, 0x80
	v_bfrev_b32_e32 v12, 1
	v_mov_b32_e32 v42, 0xffff
	v_mov_b32_e32 v14, 0x7f800001
	;; [unrolled: 1-line block ×15, first 2 shown]
	s_mov_b32 s4, s13
	s_waitcnt lgkmcnt(0)
	s_mov_b32 s6, s3
	s_mov_b32 s5, 0
	s_branch .LBB220_353
.LBB220_352:                            ;   in Loop: Header=BB220_353 Depth=1
	s_or_b32 exec_lo, exec_lo, s0
	s_waitcnt lgkmcnt(0)
	v_mul_f32_e32 v16, v1, v82
	v_mul_f32_e32 v17, v1, v80
	;; [unrolled: 1-line block ×5, first 2 shown]
	v_fmac_f32_e32 v16, v2, v81
	v_fmac_f32_e32 v17, v2, v79
	;; [unrolled: 1-line block ×14, first 2 shown]
	v_add_nc_u32_e32 v41, 4, v41
	v_add_f32_e32 v29, v29, v16
	v_add_f32_e32 v30, v30, v17
	;; [unrolled: 1-line block ×3, first 2 shown]
	v_mul_f32_e32 v16, v1, v64
	v_add_f32_e32 v32, v32, v19
	v_mul_f32_e32 v17, v1, v60
	v_mul_f32_e32 v18, v1, v56
	;; [unrolled: 1-line block ×4, first 2 shown]
	v_fmac_f32_e32 v16, v2, v63
	v_fmac_f32_e32 v17, v2, v59
	;; [unrolled: 1-line block ×16, first 2 shown]
	v_cmp_le_i32_e32 vcc_lo, s11, v41
	v_add_co_u32 v9, s0, v9, 16
	v_add_f32_e32 v33, v33, v20
	v_add_f32_e32 v34, v34, v16
	;; [unrolled: 1-line block ×6, first 2 shown]
	v_add_nc_u32_e32 v38, 64, v38
	v_add_nc_u32_e32 v39, 0x100, v39
	v_add_co_ci_u32_e64 v10, null, 0, v10, s0
	s_or_b32 s5, vcc_lo, s5
	s_andn2_b32 exec_lo, exec_lo, s5
	s_cbranch_execz .LBB220_693
.LBB220_353:                            ; =>This Inner Loop Header: Depth=1
	global_load_dword v1, v[9:10], off
	v_mov_b32_e32 v19, 0
	v_mov_b32_e32 v17, 0
	;; [unrolled: 1-line block ×4, first 2 shown]
	s_waitcnt vmcnt(0)
	v_mad_i64_i32 v[15:16], null, v1, s4, v[7:8]
	ds_read_b128 v[1:4], v39
	global_load_dword v46, v[15:16], off
	s_waitcnt vmcnt(0)
	v_cmp_ne_u16_sdwa s9, v46, v6 src0_sel:BYTE_0 src1_sel:DWORD
	s_and_saveexec_b32 s0, s9
	s_cbranch_execz .LBB220_361
; %bb.354:                              ;   in Loop: Header=BB220_353 Depth=1
	v_bfrev_b32_e32 v17, 1
	v_mov_b32_e32 v18, 0
	v_cmp_ne_u16_sdwa s13, v46, v40 src0_sel:BYTE_0 src1_sel:DWORD
	s_and_saveexec_b32 s9, s13
	s_cbranch_execz .LBB220_360
; %bb.355:                              ;   in Loop: Header=BB220_353 Depth=1
	v_mov_b32_e32 v17, 0x7f800001
	v_and_b32_e32 v13, 0x7f, v46
	v_mov_b32_e32 v18, 0
	s_mov_b32 s13, exec_lo
	v_cmpx_ne_u32_e32 0x7f, v13
	s_cbranch_execz .LBB220_359
; %bb.356:                              ;   in Loop: Header=BB220_353 Depth=1
	v_and_b32_e32 v5, 7, v46
	v_lshrrev_b32_e32 v11, 3, v13
	s_mov_b32 s14, exec_lo
	v_cmpx_gt_u32_e32 8, v13
; %bb.357:                              ;   in Loop: Header=BB220_353 Depth=1
	v_ffbh_u32_e32 v11, v5
	v_min_u32_e32 v11, 32, v11
	v_subrev_nc_u32_e32 v13, 28, v11
	v_sub_nc_u32_e32 v11, 29, v11
	v_lshlrev_b64 v[17:18], v13, v[5:6]
	v_and_b32_e32 v5, 7, v17
; %bb.358:                              ;   in Loop: Header=BB220_353 Depth=1
	s_or_b32 exec_lo, exec_lo, s14
	v_lshlrev_b32_e32 v13, 24, v46
	v_lshlrev_b32_e32 v5, 20, v5
	v_lshl_add_u32 v11, v11, 23, 0x3c000000
	v_and_b32_e32 v13, 0x80000000, v13
	v_or3_b32 v5, v5, v13, v11
	v_mov_b32_e32 v18, v6
	v_mov_b32_e32 v17, v5
.LBB220_359:                            ;   in Loop: Header=BB220_353 Depth=1
	s_or_b32 exec_lo, exec_lo, s13
.LBB220_360:                            ;   in Loop: Header=BB220_353 Depth=1
	s_or_b32 exec_lo, exec_lo, s9
.LBB220_361:                            ;   in Loop: Header=BB220_353 Depth=1
	s_or_b32 exec_lo, exec_lo, s0
	v_cmp_ne_u16_sdwa s9, v46, v6 src0_sel:BYTE_1 src1_sel:DWORD
	s_and_saveexec_b32 s0, s9
	s_cbranch_execz .LBB220_369
; %bb.362:                              ;   in Loop: Header=BB220_353 Depth=1
	v_mov_b32_e32 v11, v6
	v_mov_b32_e32 v20, v12
	v_cmp_ne_u16_sdwa s13, v46, v40 src0_sel:BYTE_1 src1_sel:DWORD
	v_mov_b32_e32 v19, v11
	s_and_saveexec_b32 s9, s13
	s_cbranch_execz .LBB220_368
; %bb.363:                              ;   in Loop: Header=BB220_353 Depth=1
	v_and_b32_sdwa v5, v42, v46 dst_sel:DWORD dst_unused:UNUSED_PAD src0_sel:DWORD src1_sel:BYTE_1
	v_mov_b32_e32 v13, v6
	v_mov_b32_e32 v20, v14
	s_mov_b32 s13, exec_lo
	v_and_b32_e32 v21, 0x7f, v5
	v_mov_b32_e32 v19, v13
	v_cmpx_ne_u32_e32 0x7f, v21
	s_cbranch_execz .LBB220_367
; %bb.364:                              ;   in Loop: Header=BB220_353 Depth=1
	v_and_b32_e32 v5, 7, v5
	v_lshrrev_b32_e32 v11, 3, v21
	s_mov_b32 s14, exec_lo
	v_cmpx_gt_u32_e32 8, v21
; %bb.365:                              ;   in Loop: Header=BB220_353 Depth=1
	v_ffbh_u32_e32 v11, v5
	v_min_u32_e32 v11, 32, v11
	v_subrev_nc_u32_e32 v13, 28, v11
	v_sub_nc_u32_e32 v11, 29, v11
	v_lshlrev_b64 v[19:20], v13, v[5:6]
	v_and_b32_e32 v5, 7, v19
; %bb.366:                              ;   in Loop: Header=BB220_353 Depth=1
	s_or_b32 exec_lo, exec_lo, s14
	v_lshlrev_b32_e32 v13, 16, v46
	v_lshlrev_b32_e32 v5, 20, v5
	v_lshl_add_u32 v11, v11, 23, 0x3c000000
	v_mov_b32_e32 v19, v6
	v_and_b32_e32 v13, 0x80000000, v13
	v_or3_b32 v20, v5, v13, v11
.LBB220_367:                            ;   in Loop: Header=BB220_353 Depth=1
	s_or_b32 exec_lo, exec_lo, s13
.LBB220_368:                            ;   in Loop: Header=BB220_353 Depth=1
	s_or_b32 exec_lo, exec_lo, s9
.LBB220_369:                            ;   in Loop: Header=BB220_353 Depth=1
	s_or_b32 exec_lo, exec_lo, s0
	v_mov_b32_e32 v23, 0
	v_mov_b32_e32 v21, 0
	v_and_b32_sdwa v5, v46, v43 dst_sel:DWORD dst_unused:UNUSED_PAD src0_sel:WORD_1 src1_sel:DWORD
	v_mov_b32_e32 v24, 0
	v_mov_b32_e32 v22, 0
	s_mov_b32 s0, exec_lo
	v_cmpx_ne_u16_e32 0, v5
	s_cbranch_execz .LBB220_377
; %bb.370:                              ;   in Loop: Header=BB220_353 Depth=1
	v_bfrev_b32_e32 v21, 1
	v_mov_b32_e32 v22, 0
	s_mov_b32 s9, exec_lo
	v_cmpx_ne_u16_e32 0x80, v5
	s_cbranch_execz .LBB220_376
; %bb.371:                              ;   in Loop: Header=BB220_353 Depth=1
	v_mov_b32_e32 v21, 0x7f800001
	v_bfe_u32 v13, v46, 16, 7
	v_mov_b32_e32 v22, 0
	s_mov_b32 s13, exec_lo
	v_cmpx_ne_u32_e32 0x7f, v13
	s_cbranch_execz .LBB220_375
; %bb.372:                              ;   in Loop: Header=BB220_353 Depth=1
	v_and_b32_sdwa v5, v46, v44 dst_sel:DWORD dst_unused:UNUSED_PAD src0_sel:WORD_1 src1_sel:DWORD
	v_lshrrev_b32_e32 v11, 3, v13
	s_mov_b32 s14, exec_lo
	v_cmpx_gt_u32_e32 8, v13
; %bb.373:                              ;   in Loop: Header=BB220_353 Depth=1
	v_ffbh_u32_e32 v11, v5
	v_min_u32_e32 v11, 32, v11
	v_subrev_nc_u32_e32 v13, 28, v11
	v_sub_nc_u32_e32 v11, 29, v11
	v_lshlrev_b64 v[21:22], v13, v[5:6]
	v_and_b32_e32 v5, 7, v21
; %bb.374:                              ;   in Loop: Header=BB220_353 Depth=1
	s_or_b32 exec_lo, exec_lo, s14
	v_lshlrev_b32_sdwa v13, v45, v46 dst_sel:DWORD dst_unused:UNUSED_PAD src0_sel:DWORD src1_sel:WORD_1
	v_lshlrev_b32_e32 v5, 20, v5
	v_lshl_add_u32 v11, v11, 23, 0x3c000000
	v_and_b32_e32 v13, 0x80000000, v13
	v_or3_b32 v5, v5, v13, v11
	v_mov_b32_e32 v22, v6
	v_mov_b32_e32 v21, v5
.LBB220_375:                            ;   in Loop: Header=BB220_353 Depth=1
	s_or_b32 exec_lo, exec_lo, s13
.LBB220_376:                            ;   in Loop: Header=BB220_353 Depth=1
	s_or_b32 exec_lo, exec_lo, s9
.LBB220_377:                            ;   in Loop: Header=BB220_353 Depth=1
	s_or_b32 exec_lo, exec_lo, s0
	s_mov_b32 s0, exec_lo
	v_cmpx_lt_u32_e32 0xffffff, v46
	s_cbranch_execz .LBB220_385
; %bb.378:                              ;   in Loop: Header=BB220_353 Depth=1
	v_mov_b32_e32 v11, v6
	v_mov_b32_e32 v24, v12
	v_cmp_ne_u32_sdwa s13, v46, v40 src0_sel:BYTE_3 src1_sel:DWORD
	v_mov_b32_e32 v23, v11
	s_and_saveexec_b32 s9, s13
	s_cbranch_execz .LBB220_384
; %bb.379:                              ;   in Loop: Header=BB220_353 Depth=1
	v_mov_b32_e32 v13, v6
	v_mov_b32_e32 v24, v14
	v_bfe_u32 v47, v46, 24, 7
	s_mov_b32 s13, exec_lo
	v_mov_b32_e32 v23, v13
	v_cmpx_ne_u32_e32 0x7f, v47
	s_cbranch_execz .LBB220_383
; %bb.380:                              ;   in Loop: Header=BB220_353 Depth=1
	v_and_b32_sdwa v5, v46, v44 dst_sel:DWORD dst_unused:UNUSED_PAD src0_sel:BYTE_3 src1_sel:DWORD
	v_lshrrev_b32_e32 v11, 3, v47
	s_mov_b32 s14, exec_lo
	v_cmpx_gt_u32_e32 8, v47
; %bb.381:                              ;   in Loop: Header=BB220_353 Depth=1
	v_ffbh_u32_e32 v11, v5
	v_min_u32_e32 v11, 32, v11
	v_subrev_nc_u32_e32 v13, 28, v11
	v_sub_nc_u32_e32 v11, 29, v11
	v_lshlrev_b64 v[23:24], v13, v[5:6]
	v_and_b32_e32 v5, 7, v23
; %bb.382:                              ;   in Loop: Header=BB220_353 Depth=1
	s_or_b32 exec_lo, exec_lo, s14
	v_lshlrev_b32_sdwa v13, v45, v46 dst_sel:DWORD dst_unused:UNUSED_PAD src0_sel:DWORD src1_sel:BYTE_3
	v_lshlrev_b32_e32 v5, 20, v5
	v_lshl_add_u32 v11, v11, 23, 0x3c000000
	v_mov_b32_e32 v23, v6
	v_and_b32_e32 v13, 0x80000000, v13
	v_or3_b32 v24, v5, v13, v11
.LBB220_383:                            ;   in Loop: Header=BB220_353 Depth=1
	s_or_b32 exec_lo, exec_lo, s13
.LBB220_384:                            ;   in Loop: Header=BB220_353 Depth=1
	s_or_b32 exec_lo, exec_lo, s9
.LBB220_385:                            ;   in Loop: Header=BB220_353 Depth=1
	s_or_b32 exec_lo, exec_lo, s0
	v_or_b32_e32 v5, v20, v18
	v_or_b32_e32 v11, v19, v17
	;; [unrolled: 1-line block ×4, first 2 shown]
	v_add_nc_u32_e32 v50, -3, v38
	v_cmp_eq_u32_e32 vcc_lo, s12, v41
	v_mul_f32_e32 v48, s6, v5
	v_mul_f32_e32 v49, s3, v11
	;; [unrolled: 1-line block ×4, first 2 shown]
	v_add_nc_u32_e32 v52, -2, v38
	v_add_nc_u32_e32 v51, -1, v38
	s_and_saveexec_b32 s9, vcc_lo
	s_cbranch_execz .LBB220_387
; %bb.386:                              ;   in Loop: Header=BB220_353 Depth=1
	v_cmp_gt_i32_e64 s0, s27, v50
	v_cndmask_b32_e64 v49, 0, v49, s0
	v_cmp_gt_i32_e64 s0, s27, v52
	v_cndmask_b32_e64 v48, 0, v48, s0
	;; [unrolled: 2-line block ×4, first 2 shown]
.LBB220_387:                            ;   in Loop: Header=BB220_353 Depth=1
	s_or_b32 exec_lo, exec_lo, s9
	global_load_dword v53, v[15:16], off offset:128
	v_mov_b32_e32 v19, 0
	v_mov_b32_e32 v17, 0
	;; [unrolled: 1-line block ×4, first 2 shown]
	s_waitcnt vmcnt(0)
	v_cmp_ne_u16_sdwa s0, v53, v6 src0_sel:BYTE_0 src1_sel:DWORD
	s_and_saveexec_b32 s9, s0
	s_cbranch_execz .LBB220_395
; %bb.388:                              ;   in Loop: Header=BB220_353 Depth=1
	v_bfrev_b32_e32 v17, 1
	v_mov_b32_e32 v18, 0
	v_cmp_ne_u16_sdwa s0, v53, v40 src0_sel:BYTE_0 src1_sel:DWORD
	s_and_saveexec_b32 s13, s0
	s_cbranch_execz .LBB220_394
; %bb.389:                              ;   in Loop: Header=BB220_353 Depth=1
	v_mov_b32_e32 v17, 0x7f800001
	v_and_b32_e32 v13, 0x7f, v53
	v_mov_b32_e32 v18, 0
	s_mov_b32 s14, exec_lo
	v_cmpx_ne_u32_e32 0x7f, v13
	s_cbranch_execz .LBB220_393
; %bb.390:                              ;   in Loop: Header=BB220_353 Depth=1
	v_and_b32_e32 v5, 7, v53
	v_lshrrev_b32_e32 v11, 3, v13
	s_mov_b32 s15, exec_lo
	v_cmpx_gt_u32_e32 8, v13
; %bb.391:                              ;   in Loop: Header=BB220_353 Depth=1
	v_ffbh_u32_e32 v11, v5
	v_min_u32_e32 v11, 32, v11
	v_subrev_nc_u32_e32 v13, 28, v11
	v_sub_nc_u32_e32 v11, 29, v11
	v_lshlrev_b64 v[17:18], v13, v[5:6]
	v_and_b32_e32 v5, 7, v17
; %bb.392:                              ;   in Loop: Header=BB220_353 Depth=1
	s_or_b32 exec_lo, exec_lo, s15
	v_lshlrev_b32_e32 v13, 24, v53
	v_lshlrev_b32_e32 v5, 20, v5
	v_lshl_add_u32 v11, v11, 23, 0x3c000000
	v_and_b32_e32 v13, 0x80000000, v13
	v_or3_b32 v5, v5, v13, v11
	v_mov_b32_e32 v18, v6
	v_mov_b32_e32 v17, v5
.LBB220_393:                            ;   in Loop: Header=BB220_353 Depth=1
	s_or_b32 exec_lo, exec_lo, s14
.LBB220_394:                            ;   in Loop: Header=BB220_353 Depth=1
	s_or_b32 exec_lo, exec_lo, s13
.LBB220_395:                            ;   in Loop: Header=BB220_353 Depth=1
	s_or_b32 exec_lo, exec_lo, s9
	v_cmp_ne_u16_sdwa s0, v53, v6 src0_sel:BYTE_1 src1_sel:DWORD
	s_and_saveexec_b32 s9, s0
	s_cbranch_execz .LBB220_403
; %bb.396:                              ;   in Loop: Header=BB220_353 Depth=1
	v_mov_b32_e32 v11, v6
	v_mov_b32_e32 v20, v12
	v_cmp_ne_u16_sdwa s0, v53, v40 src0_sel:BYTE_1 src1_sel:DWORD
	v_mov_b32_e32 v19, v11
	s_and_saveexec_b32 s13, s0
	s_cbranch_execz .LBB220_402
; %bb.397:                              ;   in Loop: Header=BB220_353 Depth=1
	v_and_b32_sdwa v5, v42, v53 dst_sel:DWORD dst_unused:UNUSED_PAD src0_sel:DWORD src1_sel:BYTE_1
	v_mov_b32_e32 v13, v6
	v_mov_b32_e32 v20, v14
	s_mov_b32 s14, exec_lo
	v_and_b32_e32 v21, 0x7f, v5
	v_mov_b32_e32 v19, v13
	v_cmpx_ne_u32_e32 0x7f, v21
	s_cbranch_execz .LBB220_401
; %bb.398:                              ;   in Loop: Header=BB220_353 Depth=1
	v_and_b32_e32 v5, 7, v5
	v_lshrrev_b32_e32 v11, 3, v21
	s_mov_b32 s15, exec_lo
	v_cmpx_gt_u32_e32 8, v21
; %bb.399:                              ;   in Loop: Header=BB220_353 Depth=1
	v_ffbh_u32_e32 v11, v5
	v_min_u32_e32 v11, 32, v11
	v_subrev_nc_u32_e32 v13, 28, v11
	v_sub_nc_u32_e32 v11, 29, v11
	v_lshlrev_b64 v[19:20], v13, v[5:6]
	v_and_b32_e32 v5, 7, v19
; %bb.400:                              ;   in Loop: Header=BB220_353 Depth=1
	s_or_b32 exec_lo, exec_lo, s15
	v_lshlrev_b32_e32 v13, 16, v53
	v_lshlrev_b32_e32 v5, 20, v5
	v_lshl_add_u32 v11, v11, 23, 0x3c000000
	v_mov_b32_e32 v19, v6
	v_and_b32_e32 v13, 0x80000000, v13
	v_or3_b32 v20, v5, v13, v11
.LBB220_401:                            ;   in Loop: Header=BB220_353 Depth=1
	s_or_b32 exec_lo, exec_lo, s14
.LBB220_402:                            ;   in Loop: Header=BB220_353 Depth=1
	s_or_b32 exec_lo, exec_lo, s13
.LBB220_403:                            ;   in Loop: Header=BB220_353 Depth=1
	s_or_b32 exec_lo, exec_lo, s9
	v_mov_b32_e32 v23, 0
	v_mov_b32_e32 v21, 0
	v_and_b32_sdwa v5, v53, v43 dst_sel:DWORD dst_unused:UNUSED_PAD src0_sel:WORD_1 src1_sel:DWORD
	v_mov_b32_e32 v24, 0
	v_mov_b32_e32 v22, 0
	s_mov_b32 s9, exec_lo
	v_cmpx_ne_u16_e32 0, v5
	s_cbranch_execz .LBB220_411
; %bb.404:                              ;   in Loop: Header=BB220_353 Depth=1
	v_bfrev_b32_e32 v21, 1
	v_mov_b32_e32 v22, 0
	s_mov_b32 s13, exec_lo
	v_cmpx_ne_u16_e32 0x80, v5
	s_cbranch_execz .LBB220_410
; %bb.405:                              ;   in Loop: Header=BB220_353 Depth=1
	v_mov_b32_e32 v21, 0x7f800001
	v_bfe_u32 v13, v53, 16, 7
	v_mov_b32_e32 v22, 0
	s_mov_b32 s14, exec_lo
	v_cmpx_ne_u32_e32 0x7f, v13
	s_cbranch_execz .LBB220_409
; %bb.406:                              ;   in Loop: Header=BB220_353 Depth=1
	v_and_b32_sdwa v5, v53, v44 dst_sel:DWORD dst_unused:UNUSED_PAD src0_sel:WORD_1 src1_sel:DWORD
	v_lshrrev_b32_e32 v11, 3, v13
	s_mov_b32 s15, exec_lo
	v_cmpx_gt_u32_e32 8, v13
; %bb.407:                              ;   in Loop: Header=BB220_353 Depth=1
	v_ffbh_u32_e32 v11, v5
	v_min_u32_e32 v11, 32, v11
	v_subrev_nc_u32_e32 v13, 28, v11
	v_sub_nc_u32_e32 v11, 29, v11
	v_lshlrev_b64 v[21:22], v13, v[5:6]
	v_and_b32_e32 v5, 7, v21
; %bb.408:                              ;   in Loop: Header=BB220_353 Depth=1
	s_or_b32 exec_lo, exec_lo, s15
	v_lshlrev_b32_sdwa v13, v45, v53 dst_sel:DWORD dst_unused:UNUSED_PAD src0_sel:DWORD src1_sel:WORD_1
	v_lshlrev_b32_e32 v5, 20, v5
	v_lshl_add_u32 v11, v11, 23, 0x3c000000
	v_and_b32_e32 v13, 0x80000000, v13
	v_or3_b32 v5, v5, v13, v11
	v_mov_b32_e32 v22, v6
	v_mov_b32_e32 v21, v5
.LBB220_409:                            ;   in Loop: Header=BB220_353 Depth=1
	s_or_b32 exec_lo, exec_lo, s14
.LBB220_410:                            ;   in Loop: Header=BB220_353 Depth=1
	s_or_b32 exec_lo, exec_lo, s13
.LBB220_411:                            ;   in Loop: Header=BB220_353 Depth=1
	s_or_b32 exec_lo, exec_lo, s9
	s_mov_b32 s9, exec_lo
	v_cmpx_lt_u32_e32 0xffffff, v53
	s_cbranch_execz .LBB220_419
; %bb.412:                              ;   in Loop: Header=BB220_353 Depth=1
	v_mov_b32_e32 v11, v6
	v_mov_b32_e32 v24, v12
	v_cmp_ne_u32_sdwa s0, v53, v40 src0_sel:BYTE_3 src1_sel:DWORD
	v_mov_b32_e32 v23, v11
	s_and_saveexec_b32 s13, s0
	s_cbranch_execz .LBB220_418
; %bb.413:                              ;   in Loop: Header=BB220_353 Depth=1
	v_mov_b32_e32 v13, v6
	v_mov_b32_e32 v24, v14
	v_bfe_u32 v54, v53, 24, 7
	s_mov_b32 s14, exec_lo
	v_mov_b32_e32 v23, v13
	v_cmpx_ne_u32_e32 0x7f, v54
	s_cbranch_execz .LBB220_417
; %bb.414:                              ;   in Loop: Header=BB220_353 Depth=1
	v_and_b32_sdwa v5, v53, v44 dst_sel:DWORD dst_unused:UNUSED_PAD src0_sel:BYTE_3 src1_sel:DWORD
	v_lshrrev_b32_e32 v11, 3, v54
	s_mov_b32 s15, exec_lo
	v_cmpx_gt_u32_e32 8, v54
; %bb.415:                              ;   in Loop: Header=BB220_353 Depth=1
	v_ffbh_u32_e32 v11, v5
	v_min_u32_e32 v11, 32, v11
	v_subrev_nc_u32_e32 v13, 28, v11
	v_sub_nc_u32_e32 v11, 29, v11
	v_lshlrev_b64 v[23:24], v13, v[5:6]
	v_and_b32_e32 v5, 7, v23
; %bb.416:                              ;   in Loop: Header=BB220_353 Depth=1
	s_or_b32 exec_lo, exec_lo, s15
	v_lshlrev_b32_sdwa v13, v45, v53 dst_sel:DWORD dst_unused:UNUSED_PAD src0_sel:DWORD src1_sel:BYTE_3
	v_lshlrev_b32_e32 v5, 20, v5
	v_lshl_add_u32 v11, v11, 23, 0x3c000000
	v_mov_b32_e32 v23, v6
	v_and_b32_e32 v13, 0x80000000, v13
	v_or3_b32 v24, v5, v13, v11
.LBB220_417:                            ;   in Loop: Header=BB220_353 Depth=1
	s_or_b32 exec_lo, exec_lo, s14
.LBB220_418:                            ;   in Loop: Header=BB220_353 Depth=1
	s_or_b32 exec_lo, exec_lo, s13
.LBB220_419:                            ;   in Loop: Header=BB220_353 Depth=1
	s_or_b32 exec_lo, exec_lo, s9
	v_or_b32_e32 v5, v20, v18
	v_or_b32_e32 v11, v19, v17
	;; [unrolled: 1-line block ×4, first 2 shown]
	v_mul_f32_e32 v55, s6, v5
	v_mul_f32_e32 v56, s3, v11
	;; [unrolled: 1-line block ×4, first 2 shown]
	s_and_saveexec_b32 s9, vcc_lo
	s_cbranch_execz .LBB220_421
; %bb.420:                              ;   in Loop: Header=BB220_353 Depth=1
	v_cmp_gt_i32_e64 s0, s27, v50
	v_cndmask_b32_e64 v56, 0, v56, s0
	v_cmp_gt_i32_e64 s0, s27, v52
	v_cndmask_b32_e64 v55, 0, v55, s0
	;; [unrolled: 2-line block ×4, first 2 shown]
.LBB220_421:                            ;   in Loop: Header=BB220_353 Depth=1
	s_or_b32 exec_lo, exec_lo, s9
	global_load_dword v57, v[15:16], off offset:256
	v_mov_b32_e32 v19, 0
	v_mov_b32_e32 v17, 0
	v_mov_b32_e32 v20, 0
	v_mov_b32_e32 v18, 0
	s_waitcnt vmcnt(0)
	v_cmp_ne_u16_sdwa s0, v57, v6 src0_sel:BYTE_0 src1_sel:DWORD
	s_and_saveexec_b32 s9, s0
	s_cbranch_execz .LBB220_429
; %bb.422:                              ;   in Loop: Header=BB220_353 Depth=1
	v_bfrev_b32_e32 v17, 1
	v_mov_b32_e32 v18, 0
	v_cmp_ne_u16_sdwa s0, v57, v40 src0_sel:BYTE_0 src1_sel:DWORD
	s_and_saveexec_b32 s13, s0
	s_cbranch_execz .LBB220_428
; %bb.423:                              ;   in Loop: Header=BB220_353 Depth=1
	v_mov_b32_e32 v17, 0x7f800001
	v_and_b32_e32 v13, 0x7f, v57
	v_mov_b32_e32 v18, 0
	s_mov_b32 s14, exec_lo
	v_cmpx_ne_u32_e32 0x7f, v13
	s_cbranch_execz .LBB220_427
; %bb.424:                              ;   in Loop: Header=BB220_353 Depth=1
	v_and_b32_e32 v5, 7, v57
	v_lshrrev_b32_e32 v11, 3, v13
	s_mov_b32 s15, exec_lo
	v_cmpx_gt_u32_e32 8, v13
; %bb.425:                              ;   in Loop: Header=BB220_353 Depth=1
	v_ffbh_u32_e32 v11, v5
	v_min_u32_e32 v11, 32, v11
	v_subrev_nc_u32_e32 v13, 28, v11
	v_sub_nc_u32_e32 v11, 29, v11
	v_lshlrev_b64 v[17:18], v13, v[5:6]
	v_and_b32_e32 v5, 7, v17
; %bb.426:                              ;   in Loop: Header=BB220_353 Depth=1
	s_or_b32 exec_lo, exec_lo, s15
	v_lshlrev_b32_e32 v13, 24, v57
	v_lshlrev_b32_e32 v5, 20, v5
	v_lshl_add_u32 v11, v11, 23, 0x3c000000
	v_and_b32_e32 v13, 0x80000000, v13
	v_or3_b32 v5, v5, v13, v11
	v_mov_b32_e32 v18, v6
	v_mov_b32_e32 v17, v5
.LBB220_427:                            ;   in Loop: Header=BB220_353 Depth=1
	s_or_b32 exec_lo, exec_lo, s14
.LBB220_428:                            ;   in Loop: Header=BB220_353 Depth=1
	s_or_b32 exec_lo, exec_lo, s13
.LBB220_429:                            ;   in Loop: Header=BB220_353 Depth=1
	s_or_b32 exec_lo, exec_lo, s9
	v_cmp_ne_u16_sdwa s0, v57, v6 src0_sel:BYTE_1 src1_sel:DWORD
	s_and_saveexec_b32 s9, s0
	s_cbranch_execz .LBB220_437
; %bb.430:                              ;   in Loop: Header=BB220_353 Depth=1
	v_mov_b32_e32 v11, v6
	v_mov_b32_e32 v20, v12
	v_cmp_ne_u16_sdwa s0, v57, v40 src0_sel:BYTE_1 src1_sel:DWORD
	v_mov_b32_e32 v19, v11
	s_and_saveexec_b32 s13, s0
	s_cbranch_execz .LBB220_436
; %bb.431:                              ;   in Loop: Header=BB220_353 Depth=1
	v_and_b32_sdwa v5, v42, v57 dst_sel:DWORD dst_unused:UNUSED_PAD src0_sel:DWORD src1_sel:BYTE_1
	v_mov_b32_e32 v13, v6
	v_mov_b32_e32 v20, v14
	s_mov_b32 s14, exec_lo
	v_and_b32_e32 v21, 0x7f, v5
	v_mov_b32_e32 v19, v13
	v_cmpx_ne_u32_e32 0x7f, v21
	s_cbranch_execz .LBB220_435
; %bb.432:                              ;   in Loop: Header=BB220_353 Depth=1
	v_and_b32_e32 v5, 7, v5
	v_lshrrev_b32_e32 v11, 3, v21
	s_mov_b32 s15, exec_lo
	v_cmpx_gt_u32_e32 8, v21
; %bb.433:                              ;   in Loop: Header=BB220_353 Depth=1
	v_ffbh_u32_e32 v11, v5
	v_min_u32_e32 v11, 32, v11
	v_subrev_nc_u32_e32 v13, 28, v11
	v_sub_nc_u32_e32 v11, 29, v11
	v_lshlrev_b64 v[19:20], v13, v[5:6]
	v_and_b32_e32 v5, 7, v19
; %bb.434:                              ;   in Loop: Header=BB220_353 Depth=1
	s_or_b32 exec_lo, exec_lo, s15
	v_lshlrev_b32_e32 v13, 16, v57
	v_lshlrev_b32_e32 v5, 20, v5
	v_lshl_add_u32 v11, v11, 23, 0x3c000000
	v_mov_b32_e32 v19, v6
	v_and_b32_e32 v13, 0x80000000, v13
	v_or3_b32 v20, v5, v13, v11
.LBB220_435:                            ;   in Loop: Header=BB220_353 Depth=1
	s_or_b32 exec_lo, exec_lo, s14
.LBB220_436:                            ;   in Loop: Header=BB220_353 Depth=1
	s_or_b32 exec_lo, exec_lo, s13
.LBB220_437:                            ;   in Loop: Header=BB220_353 Depth=1
	s_or_b32 exec_lo, exec_lo, s9
	v_mov_b32_e32 v23, 0
	v_mov_b32_e32 v21, 0
	v_and_b32_sdwa v5, v57, v43 dst_sel:DWORD dst_unused:UNUSED_PAD src0_sel:WORD_1 src1_sel:DWORD
	v_mov_b32_e32 v24, 0
	v_mov_b32_e32 v22, 0
	s_mov_b32 s9, exec_lo
	v_cmpx_ne_u16_e32 0, v5
	s_cbranch_execz .LBB220_445
; %bb.438:                              ;   in Loop: Header=BB220_353 Depth=1
	v_bfrev_b32_e32 v21, 1
	v_mov_b32_e32 v22, 0
	s_mov_b32 s13, exec_lo
	v_cmpx_ne_u16_e32 0x80, v5
	s_cbranch_execz .LBB220_444
; %bb.439:                              ;   in Loop: Header=BB220_353 Depth=1
	v_mov_b32_e32 v21, 0x7f800001
	v_bfe_u32 v13, v57, 16, 7
	v_mov_b32_e32 v22, 0
	s_mov_b32 s14, exec_lo
	v_cmpx_ne_u32_e32 0x7f, v13
	s_cbranch_execz .LBB220_443
; %bb.440:                              ;   in Loop: Header=BB220_353 Depth=1
	v_and_b32_sdwa v5, v57, v44 dst_sel:DWORD dst_unused:UNUSED_PAD src0_sel:WORD_1 src1_sel:DWORD
	v_lshrrev_b32_e32 v11, 3, v13
	s_mov_b32 s15, exec_lo
	v_cmpx_gt_u32_e32 8, v13
; %bb.441:                              ;   in Loop: Header=BB220_353 Depth=1
	v_ffbh_u32_e32 v11, v5
	v_min_u32_e32 v11, 32, v11
	v_subrev_nc_u32_e32 v13, 28, v11
	v_sub_nc_u32_e32 v11, 29, v11
	v_lshlrev_b64 v[21:22], v13, v[5:6]
	v_and_b32_e32 v5, 7, v21
; %bb.442:                              ;   in Loop: Header=BB220_353 Depth=1
	s_or_b32 exec_lo, exec_lo, s15
	v_lshlrev_b32_sdwa v13, v45, v57 dst_sel:DWORD dst_unused:UNUSED_PAD src0_sel:DWORD src1_sel:WORD_1
	v_lshlrev_b32_e32 v5, 20, v5
	v_lshl_add_u32 v11, v11, 23, 0x3c000000
	v_and_b32_e32 v13, 0x80000000, v13
	v_or3_b32 v5, v5, v13, v11
	v_mov_b32_e32 v22, v6
	v_mov_b32_e32 v21, v5
.LBB220_443:                            ;   in Loop: Header=BB220_353 Depth=1
	s_or_b32 exec_lo, exec_lo, s14
.LBB220_444:                            ;   in Loop: Header=BB220_353 Depth=1
	s_or_b32 exec_lo, exec_lo, s13
.LBB220_445:                            ;   in Loop: Header=BB220_353 Depth=1
	s_or_b32 exec_lo, exec_lo, s9
	s_mov_b32 s9, exec_lo
	v_cmpx_lt_u32_e32 0xffffff, v57
	s_cbranch_execz .LBB220_453
; %bb.446:                              ;   in Loop: Header=BB220_353 Depth=1
	v_mov_b32_e32 v11, v6
	v_mov_b32_e32 v24, v12
	v_cmp_ne_u32_sdwa s0, v57, v40 src0_sel:BYTE_3 src1_sel:DWORD
	v_mov_b32_e32 v23, v11
	s_and_saveexec_b32 s13, s0
	s_cbranch_execz .LBB220_452
; %bb.447:                              ;   in Loop: Header=BB220_353 Depth=1
	v_mov_b32_e32 v13, v6
	v_mov_b32_e32 v24, v14
	v_bfe_u32 v58, v57, 24, 7
	s_mov_b32 s14, exec_lo
	v_mov_b32_e32 v23, v13
	v_cmpx_ne_u32_e32 0x7f, v58
	s_cbranch_execz .LBB220_451
; %bb.448:                              ;   in Loop: Header=BB220_353 Depth=1
	v_and_b32_sdwa v5, v57, v44 dst_sel:DWORD dst_unused:UNUSED_PAD src0_sel:BYTE_3 src1_sel:DWORD
	v_lshrrev_b32_e32 v11, 3, v58
	s_mov_b32 s15, exec_lo
	v_cmpx_gt_u32_e32 8, v58
; %bb.449:                              ;   in Loop: Header=BB220_353 Depth=1
	v_ffbh_u32_e32 v11, v5
	v_min_u32_e32 v11, 32, v11
	v_subrev_nc_u32_e32 v13, 28, v11
	v_sub_nc_u32_e32 v11, 29, v11
	v_lshlrev_b64 v[23:24], v13, v[5:6]
	v_and_b32_e32 v5, 7, v23
; %bb.450:                              ;   in Loop: Header=BB220_353 Depth=1
	s_or_b32 exec_lo, exec_lo, s15
	v_lshlrev_b32_sdwa v13, v45, v57 dst_sel:DWORD dst_unused:UNUSED_PAD src0_sel:DWORD src1_sel:BYTE_3
	v_lshlrev_b32_e32 v5, 20, v5
	v_lshl_add_u32 v11, v11, 23, 0x3c000000
	v_mov_b32_e32 v23, v6
	v_and_b32_e32 v13, 0x80000000, v13
	v_or3_b32 v24, v5, v13, v11
.LBB220_451:                            ;   in Loop: Header=BB220_353 Depth=1
	s_or_b32 exec_lo, exec_lo, s14
.LBB220_452:                            ;   in Loop: Header=BB220_353 Depth=1
	s_or_b32 exec_lo, exec_lo, s13
.LBB220_453:                            ;   in Loop: Header=BB220_353 Depth=1
	s_or_b32 exec_lo, exec_lo, s9
	v_or_b32_e32 v5, v20, v18
	v_or_b32_e32 v11, v19, v17
	;; [unrolled: 1-line block ×4, first 2 shown]
	v_mul_f32_e32 v59, s6, v5
	v_mul_f32_e32 v60, s3, v11
	v_mul_f32_e32 v58, s3, v13
	v_mul_f32_e32 v57, s6, v17
	s_and_saveexec_b32 s9, vcc_lo
	s_cbranch_execz .LBB220_455
; %bb.454:                              ;   in Loop: Header=BB220_353 Depth=1
	v_cmp_gt_i32_e64 s0, s27, v50
	v_cndmask_b32_e64 v60, 0, v60, s0
	v_cmp_gt_i32_e64 s0, s27, v52
	v_cndmask_b32_e64 v59, 0, v59, s0
	;; [unrolled: 2-line block ×4, first 2 shown]
.LBB220_455:                            ;   in Loop: Header=BB220_353 Depth=1
	s_or_b32 exec_lo, exec_lo, s9
	global_load_dword v61, v[15:16], off offset:384
	v_mov_b32_e32 v19, 0
	v_mov_b32_e32 v17, 0
	;; [unrolled: 1-line block ×4, first 2 shown]
	s_waitcnt vmcnt(0)
	v_cmp_ne_u16_sdwa s0, v61, v6 src0_sel:BYTE_0 src1_sel:DWORD
	s_and_saveexec_b32 s9, s0
	s_cbranch_execz .LBB220_463
; %bb.456:                              ;   in Loop: Header=BB220_353 Depth=1
	v_bfrev_b32_e32 v17, 1
	v_mov_b32_e32 v18, 0
	v_cmp_ne_u16_sdwa s0, v61, v40 src0_sel:BYTE_0 src1_sel:DWORD
	s_and_saveexec_b32 s13, s0
	s_cbranch_execz .LBB220_462
; %bb.457:                              ;   in Loop: Header=BB220_353 Depth=1
	v_mov_b32_e32 v17, 0x7f800001
	v_and_b32_e32 v13, 0x7f, v61
	v_mov_b32_e32 v18, 0
	s_mov_b32 s14, exec_lo
	v_cmpx_ne_u32_e32 0x7f, v13
	s_cbranch_execz .LBB220_461
; %bb.458:                              ;   in Loop: Header=BB220_353 Depth=1
	v_and_b32_e32 v5, 7, v61
	v_lshrrev_b32_e32 v11, 3, v13
	s_mov_b32 s15, exec_lo
	v_cmpx_gt_u32_e32 8, v13
; %bb.459:                              ;   in Loop: Header=BB220_353 Depth=1
	v_ffbh_u32_e32 v11, v5
	v_min_u32_e32 v11, 32, v11
	v_subrev_nc_u32_e32 v13, 28, v11
	v_sub_nc_u32_e32 v11, 29, v11
	v_lshlrev_b64 v[17:18], v13, v[5:6]
	v_and_b32_e32 v5, 7, v17
; %bb.460:                              ;   in Loop: Header=BB220_353 Depth=1
	s_or_b32 exec_lo, exec_lo, s15
	v_lshlrev_b32_e32 v13, 24, v61
	v_lshlrev_b32_e32 v5, 20, v5
	v_lshl_add_u32 v11, v11, 23, 0x3c000000
	v_and_b32_e32 v13, 0x80000000, v13
	v_or3_b32 v5, v5, v13, v11
	v_mov_b32_e32 v18, v6
	v_mov_b32_e32 v17, v5
.LBB220_461:                            ;   in Loop: Header=BB220_353 Depth=1
	s_or_b32 exec_lo, exec_lo, s14
.LBB220_462:                            ;   in Loop: Header=BB220_353 Depth=1
	s_or_b32 exec_lo, exec_lo, s13
.LBB220_463:                            ;   in Loop: Header=BB220_353 Depth=1
	s_or_b32 exec_lo, exec_lo, s9
	v_cmp_ne_u16_sdwa s0, v61, v6 src0_sel:BYTE_1 src1_sel:DWORD
	s_and_saveexec_b32 s9, s0
	s_cbranch_execz .LBB220_471
; %bb.464:                              ;   in Loop: Header=BB220_353 Depth=1
	v_mov_b32_e32 v11, v6
	v_mov_b32_e32 v20, v12
	v_cmp_ne_u16_sdwa s0, v61, v40 src0_sel:BYTE_1 src1_sel:DWORD
	v_mov_b32_e32 v19, v11
	s_and_saveexec_b32 s13, s0
	s_cbranch_execz .LBB220_470
; %bb.465:                              ;   in Loop: Header=BB220_353 Depth=1
	v_and_b32_sdwa v5, v42, v61 dst_sel:DWORD dst_unused:UNUSED_PAD src0_sel:DWORD src1_sel:BYTE_1
	v_mov_b32_e32 v13, v6
	v_mov_b32_e32 v20, v14
	s_mov_b32 s14, exec_lo
	v_and_b32_e32 v21, 0x7f, v5
	v_mov_b32_e32 v19, v13
	v_cmpx_ne_u32_e32 0x7f, v21
	s_cbranch_execz .LBB220_469
; %bb.466:                              ;   in Loop: Header=BB220_353 Depth=1
	v_and_b32_e32 v5, 7, v5
	v_lshrrev_b32_e32 v11, 3, v21
	s_mov_b32 s15, exec_lo
	v_cmpx_gt_u32_e32 8, v21
; %bb.467:                              ;   in Loop: Header=BB220_353 Depth=1
	v_ffbh_u32_e32 v11, v5
	v_min_u32_e32 v11, 32, v11
	v_subrev_nc_u32_e32 v13, 28, v11
	v_sub_nc_u32_e32 v11, 29, v11
	v_lshlrev_b64 v[19:20], v13, v[5:6]
	v_and_b32_e32 v5, 7, v19
; %bb.468:                              ;   in Loop: Header=BB220_353 Depth=1
	s_or_b32 exec_lo, exec_lo, s15
	v_lshlrev_b32_e32 v13, 16, v61
	v_lshlrev_b32_e32 v5, 20, v5
	v_lshl_add_u32 v11, v11, 23, 0x3c000000
	v_mov_b32_e32 v19, v6
	v_and_b32_e32 v13, 0x80000000, v13
	v_or3_b32 v20, v5, v13, v11
.LBB220_469:                            ;   in Loop: Header=BB220_353 Depth=1
	s_or_b32 exec_lo, exec_lo, s14
.LBB220_470:                            ;   in Loop: Header=BB220_353 Depth=1
	s_or_b32 exec_lo, exec_lo, s13
.LBB220_471:                            ;   in Loop: Header=BB220_353 Depth=1
	s_or_b32 exec_lo, exec_lo, s9
	v_mov_b32_e32 v23, 0
	v_mov_b32_e32 v21, 0
	v_and_b32_sdwa v5, v61, v43 dst_sel:DWORD dst_unused:UNUSED_PAD src0_sel:WORD_1 src1_sel:DWORD
	v_mov_b32_e32 v24, 0
	v_mov_b32_e32 v22, 0
	s_mov_b32 s9, exec_lo
	v_cmpx_ne_u16_e32 0, v5
	s_cbranch_execz .LBB220_479
; %bb.472:                              ;   in Loop: Header=BB220_353 Depth=1
	v_bfrev_b32_e32 v21, 1
	v_mov_b32_e32 v22, 0
	s_mov_b32 s13, exec_lo
	v_cmpx_ne_u16_e32 0x80, v5
	s_cbranch_execz .LBB220_478
; %bb.473:                              ;   in Loop: Header=BB220_353 Depth=1
	v_mov_b32_e32 v21, 0x7f800001
	v_bfe_u32 v13, v61, 16, 7
	v_mov_b32_e32 v22, 0
	s_mov_b32 s14, exec_lo
	v_cmpx_ne_u32_e32 0x7f, v13
	s_cbranch_execz .LBB220_477
; %bb.474:                              ;   in Loop: Header=BB220_353 Depth=1
	v_and_b32_sdwa v5, v61, v44 dst_sel:DWORD dst_unused:UNUSED_PAD src0_sel:WORD_1 src1_sel:DWORD
	v_lshrrev_b32_e32 v11, 3, v13
	s_mov_b32 s15, exec_lo
	v_cmpx_gt_u32_e32 8, v13
; %bb.475:                              ;   in Loop: Header=BB220_353 Depth=1
	v_ffbh_u32_e32 v11, v5
	v_min_u32_e32 v11, 32, v11
	v_subrev_nc_u32_e32 v13, 28, v11
	v_sub_nc_u32_e32 v11, 29, v11
	v_lshlrev_b64 v[21:22], v13, v[5:6]
	v_and_b32_e32 v5, 7, v21
; %bb.476:                              ;   in Loop: Header=BB220_353 Depth=1
	s_or_b32 exec_lo, exec_lo, s15
	v_lshlrev_b32_sdwa v13, v45, v61 dst_sel:DWORD dst_unused:UNUSED_PAD src0_sel:DWORD src1_sel:WORD_1
	v_lshlrev_b32_e32 v5, 20, v5
	v_lshl_add_u32 v11, v11, 23, 0x3c000000
	v_and_b32_e32 v13, 0x80000000, v13
	v_or3_b32 v5, v5, v13, v11
	v_mov_b32_e32 v22, v6
	v_mov_b32_e32 v21, v5
.LBB220_477:                            ;   in Loop: Header=BB220_353 Depth=1
	s_or_b32 exec_lo, exec_lo, s14
.LBB220_478:                            ;   in Loop: Header=BB220_353 Depth=1
	s_or_b32 exec_lo, exec_lo, s13
.LBB220_479:                            ;   in Loop: Header=BB220_353 Depth=1
	s_or_b32 exec_lo, exec_lo, s9
	s_mov_b32 s9, exec_lo
	v_cmpx_lt_u32_e32 0xffffff, v61
	s_cbranch_execz .LBB220_487
; %bb.480:                              ;   in Loop: Header=BB220_353 Depth=1
	v_mov_b32_e32 v11, v6
	v_mov_b32_e32 v24, v12
	v_cmp_ne_u32_sdwa s0, v61, v40 src0_sel:BYTE_3 src1_sel:DWORD
	v_mov_b32_e32 v23, v11
	s_and_saveexec_b32 s13, s0
	s_cbranch_execz .LBB220_486
; %bb.481:                              ;   in Loop: Header=BB220_353 Depth=1
	v_mov_b32_e32 v13, v6
	v_mov_b32_e32 v24, v14
	v_bfe_u32 v62, v61, 24, 7
	s_mov_b32 s14, exec_lo
	v_mov_b32_e32 v23, v13
	v_cmpx_ne_u32_e32 0x7f, v62
	s_cbranch_execz .LBB220_485
; %bb.482:                              ;   in Loop: Header=BB220_353 Depth=1
	v_and_b32_sdwa v5, v61, v44 dst_sel:DWORD dst_unused:UNUSED_PAD src0_sel:BYTE_3 src1_sel:DWORD
	v_lshrrev_b32_e32 v11, 3, v62
	s_mov_b32 s15, exec_lo
	v_cmpx_gt_u32_e32 8, v62
; %bb.483:                              ;   in Loop: Header=BB220_353 Depth=1
	v_ffbh_u32_e32 v11, v5
	v_min_u32_e32 v11, 32, v11
	v_subrev_nc_u32_e32 v13, 28, v11
	v_sub_nc_u32_e32 v11, 29, v11
	v_lshlrev_b64 v[23:24], v13, v[5:6]
	v_and_b32_e32 v5, 7, v23
; %bb.484:                              ;   in Loop: Header=BB220_353 Depth=1
	s_or_b32 exec_lo, exec_lo, s15
	v_lshlrev_b32_sdwa v13, v45, v61 dst_sel:DWORD dst_unused:UNUSED_PAD src0_sel:DWORD src1_sel:BYTE_3
	v_lshlrev_b32_e32 v5, 20, v5
	v_lshl_add_u32 v11, v11, 23, 0x3c000000
	v_mov_b32_e32 v23, v6
	v_and_b32_e32 v13, 0x80000000, v13
	v_or3_b32 v24, v5, v13, v11
.LBB220_485:                            ;   in Loop: Header=BB220_353 Depth=1
	s_or_b32 exec_lo, exec_lo, s14
.LBB220_486:                            ;   in Loop: Header=BB220_353 Depth=1
	s_or_b32 exec_lo, exec_lo, s13
.LBB220_487:                            ;   in Loop: Header=BB220_353 Depth=1
	s_or_b32 exec_lo, exec_lo, s9
	v_or_b32_e32 v5, v20, v18
	v_or_b32_e32 v11, v19, v17
	;; [unrolled: 1-line block ×4, first 2 shown]
	v_mul_f32_e32 v63, s6, v5
	v_mul_f32_e32 v64, s3, v11
	;; [unrolled: 1-line block ×4, first 2 shown]
	s_and_saveexec_b32 s9, vcc_lo
	s_cbranch_execz .LBB220_489
; %bb.488:                              ;   in Loop: Header=BB220_353 Depth=1
	v_cmp_gt_i32_e64 s0, s27, v50
	v_cndmask_b32_e64 v64, 0, v64, s0
	v_cmp_gt_i32_e64 s0, s27, v52
	v_cndmask_b32_e64 v63, 0, v63, s0
	v_cmp_gt_i32_e64 s0, s27, v51
	v_cndmask_b32_e64 v62, 0, v62, s0
	v_cmp_gt_i32_e64 s0, s27, v38
	v_cndmask_b32_e64 v61, 0, v61, s0
.LBB220_489:                            ;   in Loop: Header=BB220_353 Depth=1
	s_or_b32 exec_lo, exec_lo, s9
	global_load_dword v65, v[15:16], off offset:512
	v_mov_b32_e32 v19, 0
	v_mov_b32_e32 v17, 0
	v_mov_b32_e32 v20, 0
	v_mov_b32_e32 v18, 0
	s_waitcnt vmcnt(0)
	v_cmp_ne_u16_sdwa s0, v65, v6 src0_sel:BYTE_0 src1_sel:DWORD
	s_and_saveexec_b32 s9, s0
	s_cbranch_execz .LBB220_497
; %bb.490:                              ;   in Loop: Header=BB220_353 Depth=1
	v_bfrev_b32_e32 v17, 1
	v_mov_b32_e32 v18, 0
	v_cmp_ne_u16_sdwa s0, v65, v40 src0_sel:BYTE_0 src1_sel:DWORD
	s_and_saveexec_b32 s13, s0
	s_cbranch_execz .LBB220_496
; %bb.491:                              ;   in Loop: Header=BB220_353 Depth=1
	v_mov_b32_e32 v17, 0x7f800001
	v_and_b32_e32 v13, 0x7f, v65
	v_mov_b32_e32 v18, 0
	s_mov_b32 s14, exec_lo
	v_cmpx_ne_u32_e32 0x7f, v13
	s_cbranch_execz .LBB220_495
; %bb.492:                              ;   in Loop: Header=BB220_353 Depth=1
	v_and_b32_e32 v5, 7, v65
	v_lshrrev_b32_e32 v11, 3, v13
	s_mov_b32 s15, exec_lo
	v_cmpx_gt_u32_e32 8, v13
; %bb.493:                              ;   in Loop: Header=BB220_353 Depth=1
	v_ffbh_u32_e32 v11, v5
	v_min_u32_e32 v11, 32, v11
	v_subrev_nc_u32_e32 v13, 28, v11
	v_sub_nc_u32_e32 v11, 29, v11
	v_lshlrev_b64 v[17:18], v13, v[5:6]
	v_and_b32_e32 v5, 7, v17
; %bb.494:                              ;   in Loop: Header=BB220_353 Depth=1
	s_or_b32 exec_lo, exec_lo, s15
	v_lshlrev_b32_e32 v13, 24, v65
	v_lshlrev_b32_e32 v5, 20, v5
	v_lshl_add_u32 v11, v11, 23, 0x3c000000
	v_and_b32_e32 v13, 0x80000000, v13
	v_or3_b32 v5, v5, v13, v11
	v_mov_b32_e32 v18, v6
	v_mov_b32_e32 v17, v5
.LBB220_495:                            ;   in Loop: Header=BB220_353 Depth=1
	s_or_b32 exec_lo, exec_lo, s14
.LBB220_496:                            ;   in Loop: Header=BB220_353 Depth=1
	s_or_b32 exec_lo, exec_lo, s13
.LBB220_497:                            ;   in Loop: Header=BB220_353 Depth=1
	s_or_b32 exec_lo, exec_lo, s9
	v_cmp_ne_u16_sdwa s0, v65, v6 src0_sel:BYTE_1 src1_sel:DWORD
	s_and_saveexec_b32 s9, s0
	s_cbranch_execz .LBB220_505
; %bb.498:                              ;   in Loop: Header=BB220_353 Depth=1
	v_mov_b32_e32 v11, v6
	v_mov_b32_e32 v20, v12
	v_cmp_ne_u16_sdwa s0, v65, v40 src0_sel:BYTE_1 src1_sel:DWORD
	v_mov_b32_e32 v19, v11
	s_and_saveexec_b32 s13, s0
	s_cbranch_execz .LBB220_504
; %bb.499:                              ;   in Loop: Header=BB220_353 Depth=1
	v_and_b32_sdwa v5, v42, v65 dst_sel:DWORD dst_unused:UNUSED_PAD src0_sel:DWORD src1_sel:BYTE_1
	v_mov_b32_e32 v13, v6
	v_mov_b32_e32 v20, v14
	s_mov_b32 s14, exec_lo
	v_and_b32_e32 v21, 0x7f, v5
	v_mov_b32_e32 v19, v13
	v_cmpx_ne_u32_e32 0x7f, v21
	s_cbranch_execz .LBB220_503
; %bb.500:                              ;   in Loop: Header=BB220_353 Depth=1
	v_and_b32_e32 v5, 7, v5
	v_lshrrev_b32_e32 v11, 3, v21
	s_mov_b32 s15, exec_lo
	v_cmpx_gt_u32_e32 8, v21
; %bb.501:                              ;   in Loop: Header=BB220_353 Depth=1
	v_ffbh_u32_e32 v11, v5
	v_min_u32_e32 v11, 32, v11
	v_subrev_nc_u32_e32 v13, 28, v11
	v_sub_nc_u32_e32 v11, 29, v11
	v_lshlrev_b64 v[19:20], v13, v[5:6]
	v_and_b32_e32 v5, 7, v19
; %bb.502:                              ;   in Loop: Header=BB220_353 Depth=1
	s_or_b32 exec_lo, exec_lo, s15
	v_lshlrev_b32_e32 v13, 16, v65
	v_lshlrev_b32_e32 v5, 20, v5
	v_lshl_add_u32 v11, v11, 23, 0x3c000000
	v_mov_b32_e32 v19, v6
	v_and_b32_e32 v13, 0x80000000, v13
	v_or3_b32 v20, v5, v13, v11
.LBB220_503:                            ;   in Loop: Header=BB220_353 Depth=1
	s_or_b32 exec_lo, exec_lo, s14
.LBB220_504:                            ;   in Loop: Header=BB220_353 Depth=1
	s_or_b32 exec_lo, exec_lo, s13
.LBB220_505:                            ;   in Loop: Header=BB220_353 Depth=1
	s_or_b32 exec_lo, exec_lo, s9
	v_mov_b32_e32 v23, 0
	v_mov_b32_e32 v21, 0
	v_and_b32_sdwa v5, v65, v43 dst_sel:DWORD dst_unused:UNUSED_PAD src0_sel:WORD_1 src1_sel:DWORD
	v_mov_b32_e32 v24, 0
	v_mov_b32_e32 v22, 0
	s_mov_b32 s9, exec_lo
	v_cmpx_ne_u16_e32 0, v5
	s_cbranch_execz .LBB220_513
; %bb.506:                              ;   in Loop: Header=BB220_353 Depth=1
	v_bfrev_b32_e32 v21, 1
	v_mov_b32_e32 v22, 0
	s_mov_b32 s13, exec_lo
	v_cmpx_ne_u16_e32 0x80, v5
	s_cbranch_execz .LBB220_512
; %bb.507:                              ;   in Loop: Header=BB220_353 Depth=1
	v_mov_b32_e32 v21, 0x7f800001
	v_bfe_u32 v13, v65, 16, 7
	v_mov_b32_e32 v22, 0
	s_mov_b32 s14, exec_lo
	v_cmpx_ne_u32_e32 0x7f, v13
	s_cbranch_execz .LBB220_511
; %bb.508:                              ;   in Loop: Header=BB220_353 Depth=1
	v_and_b32_sdwa v5, v65, v44 dst_sel:DWORD dst_unused:UNUSED_PAD src0_sel:WORD_1 src1_sel:DWORD
	v_lshrrev_b32_e32 v11, 3, v13
	s_mov_b32 s15, exec_lo
	v_cmpx_gt_u32_e32 8, v13
; %bb.509:                              ;   in Loop: Header=BB220_353 Depth=1
	v_ffbh_u32_e32 v11, v5
	v_min_u32_e32 v11, 32, v11
	v_subrev_nc_u32_e32 v13, 28, v11
	v_sub_nc_u32_e32 v11, 29, v11
	v_lshlrev_b64 v[21:22], v13, v[5:6]
	v_and_b32_e32 v5, 7, v21
; %bb.510:                              ;   in Loop: Header=BB220_353 Depth=1
	s_or_b32 exec_lo, exec_lo, s15
	v_lshlrev_b32_sdwa v13, v45, v65 dst_sel:DWORD dst_unused:UNUSED_PAD src0_sel:DWORD src1_sel:WORD_1
	v_lshlrev_b32_e32 v5, 20, v5
	v_lshl_add_u32 v11, v11, 23, 0x3c000000
	v_and_b32_e32 v13, 0x80000000, v13
	v_or3_b32 v5, v5, v13, v11
	v_mov_b32_e32 v22, v6
	v_mov_b32_e32 v21, v5
.LBB220_511:                            ;   in Loop: Header=BB220_353 Depth=1
	s_or_b32 exec_lo, exec_lo, s14
.LBB220_512:                            ;   in Loop: Header=BB220_353 Depth=1
	s_or_b32 exec_lo, exec_lo, s13
.LBB220_513:                            ;   in Loop: Header=BB220_353 Depth=1
	s_or_b32 exec_lo, exec_lo, s9
	s_mov_b32 s9, exec_lo
	v_cmpx_lt_u32_e32 0xffffff, v65
	s_cbranch_execz .LBB220_521
; %bb.514:                              ;   in Loop: Header=BB220_353 Depth=1
	v_mov_b32_e32 v11, v6
	v_mov_b32_e32 v24, v12
	v_cmp_ne_u32_sdwa s0, v65, v40 src0_sel:BYTE_3 src1_sel:DWORD
	v_mov_b32_e32 v23, v11
	s_and_saveexec_b32 s13, s0
	s_cbranch_execz .LBB220_520
; %bb.515:                              ;   in Loop: Header=BB220_353 Depth=1
	v_mov_b32_e32 v13, v6
	v_mov_b32_e32 v24, v14
	v_bfe_u32 v66, v65, 24, 7
	s_mov_b32 s14, exec_lo
	v_mov_b32_e32 v23, v13
	v_cmpx_ne_u32_e32 0x7f, v66
	s_cbranch_execz .LBB220_519
; %bb.516:                              ;   in Loop: Header=BB220_353 Depth=1
	v_and_b32_sdwa v5, v65, v44 dst_sel:DWORD dst_unused:UNUSED_PAD src0_sel:BYTE_3 src1_sel:DWORD
	v_lshrrev_b32_e32 v11, 3, v66
	s_mov_b32 s15, exec_lo
	v_cmpx_gt_u32_e32 8, v66
; %bb.517:                              ;   in Loop: Header=BB220_353 Depth=1
	v_ffbh_u32_e32 v11, v5
	v_min_u32_e32 v11, 32, v11
	v_subrev_nc_u32_e32 v13, 28, v11
	v_sub_nc_u32_e32 v11, 29, v11
	v_lshlrev_b64 v[23:24], v13, v[5:6]
	v_and_b32_e32 v5, 7, v23
; %bb.518:                              ;   in Loop: Header=BB220_353 Depth=1
	s_or_b32 exec_lo, exec_lo, s15
	v_lshlrev_b32_sdwa v13, v45, v65 dst_sel:DWORD dst_unused:UNUSED_PAD src0_sel:DWORD src1_sel:BYTE_3
	v_lshlrev_b32_e32 v5, 20, v5
	v_lshl_add_u32 v11, v11, 23, 0x3c000000
	v_mov_b32_e32 v23, v6
	v_and_b32_e32 v13, 0x80000000, v13
	v_or3_b32 v24, v5, v13, v11
.LBB220_519:                            ;   in Loop: Header=BB220_353 Depth=1
	s_or_b32 exec_lo, exec_lo, s14
.LBB220_520:                            ;   in Loop: Header=BB220_353 Depth=1
	s_or_b32 exec_lo, exec_lo, s13
.LBB220_521:                            ;   in Loop: Header=BB220_353 Depth=1
	s_or_b32 exec_lo, exec_lo, s9
	v_or_b32_e32 v5, v20, v18
	v_or_b32_e32 v11, v19, v17
	;; [unrolled: 1-line block ×4, first 2 shown]
	v_mul_f32_e32 v67, s6, v5
	v_mul_f32_e32 v68, s3, v11
	;; [unrolled: 1-line block ×4, first 2 shown]
	s_and_saveexec_b32 s9, vcc_lo
	s_cbranch_execz .LBB220_523
; %bb.522:                              ;   in Loop: Header=BB220_353 Depth=1
	v_cmp_gt_i32_e64 s0, s27, v50
	v_cndmask_b32_e64 v68, 0, v68, s0
	v_cmp_gt_i32_e64 s0, s27, v52
	v_cndmask_b32_e64 v67, 0, v67, s0
	;; [unrolled: 2-line block ×4, first 2 shown]
.LBB220_523:                            ;   in Loop: Header=BB220_353 Depth=1
	s_or_b32 exec_lo, exec_lo, s9
	global_load_dword v69, v[15:16], off offset:640
	v_mov_b32_e32 v19, 0
	v_mov_b32_e32 v17, 0
	;; [unrolled: 1-line block ×4, first 2 shown]
	s_waitcnt vmcnt(0)
	v_cmp_ne_u16_sdwa s0, v69, v6 src0_sel:BYTE_0 src1_sel:DWORD
	s_and_saveexec_b32 s9, s0
	s_cbranch_execz .LBB220_531
; %bb.524:                              ;   in Loop: Header=BB220_353 Depth=1
	v_bfrev_b32_e32 v17, 1
	v_mov_b32_e32 v18, 0
	v_cmp_ne_u16_sdwa s0, v69, v40 src0_sel:BYTE_0 src1_sel:DWORD
	s_and_saveexec_b32 s13, s0
	s_cbranch_execz .LBB220_530
; %bb.525:                              ;   in Loop: Header=BB220_353 Depth=1
	v_mov_b32_e32 v17, 0x7f800001
	v_and_b32_e32 v13, 0x7f, v69
	v_mov_b32_e32 v18, 0
	s_mov_b32 s14, exec_lo
	v_cmpx_ne_u32_e32 0x7f, v13
	s_cbranch_execz .LBB220_529
; %bb.526:                              ;   in Loop: Header=BB220_353 Depth=1
	v_and_b32_e32 v5, 7, v69
	v_lshrrev_b32_e32 v11, 3, v13
	s_mov_b32 s15, exec_lo
	v_cmpx_gt_u32_e32 8, v13
; %bb.527:                              ;   in Loop: Header=BB220_353 Depth=1
	v_ffbh_u32_e32 v11, v5
	v_min_u32_e32 v11, 32, v11
	v_subrev_nc_u32_e32 v13, 28, v11
	v_sub_nc_u32_e32 v11, 29, v11
	v_lshlrev_b64 v[17:18], v13, v[5:6]
	v_and_b32_e32 v5, 7, v17
; %bb.528:                              ;   in Loop: Header=BB220_353 Depth=1
	s_or_b32 exec_lo, exec_lo, s15
	v_lshlrev_b32_e32 v13, 24, v69
	v_lshlrev_b32_e32 v5, 20, v5
	v_lshl_add_u32 v11, v11, 23, 0x3c000000
	v_and_b32_e32 v13, 0x80000000, v13
	v_or3_b32 v5, v5, v13, v11
	v_mov_b32_e32 v18, v6
	v_mov_b32_e32 v17, v5
.LBB220_529:                            ;   in Loop: Header=BB220_353 Depth=1
	s_or_b32 exec_lo, exec_lo, s14
.LBB220_530:                            ;   in Loop: Header=BB220_353 Depth=1
	s_or_b32 exec_lo, exec_lo, s13
.LBB220_531:                            ;   in Loop: Header=BB220_353 Depth=1
	s_or_b32 exec_lo, exec_lo, s9
	v_cmp_ne_u16_sdwa s0, v69, v6 src0_sel:BYTE_1 src1_sel:DWORD
	s_and_saveexec_b32 s9, s0
	s_cbranch_execz .LBB220_539
; %bb.532:                              ;   in Loop: Header=BB220_353 Depth=1
	v_mov_b32_e32 v11, v6
	v_mov_b32_e32 v20, v12
	v_cmp_ne_u16_sdwa s0, v69, v40 src0_sel:BYTE_1 src1_sel:DWORD
	v_mov_b32_e32 v19, v11
	s_and_saveexec_b32 s13, s0
	s_cbranch_execz .LBB220_538
; %bb.533:                              ;   in Loop: Header=BB220_353 Depth=1
	v_and_b32_sdwa v5, v42, v69 dst_sel:DWORD dst_unused:UNUSED_PAD src0_sel:DWORD src1_sel:BYTE_1
	v_mov_b32_e32 v13, v6
	v_mov_b32_e32 v20, v14
	s_mov_b32 s14, exec_lo
	v_and_b32_e32 v21, 0x7f, v5
	v_mov_b32_e32 v19, v13
	v_cmpx_ne_u32_e32 0x7f, v21
	s_cbranch_execz .LBB220_537
; %bb.534:                              ;   in Loop: Header=BB220_353 Depth=1
	v_and_b32_e32 v5, 7, v5
	v_lshrrev_b32_e32 v11, 3, v21
	s_mov_b32 s15, exec_lo
	v_cmpx_gt_u32_e32 8, v21
; %bb.535:                              ;   in Loop: Header=BB220_353 Depth=1
	v_ffbh_u32_e32 v11, v5
	v_min_u32_e32 v11, 32, v11
	v_subrev_nc_u32_e32 v13, 28, v11
	v_sub_nc_u32_e32 v11, 29, v11
	v_lshlrev_b64 v[19:20], v13, v[5:6]
	v_and_b32_e32 v5, 7, v19
; %bb.536:                              ;   in Loop: Header=BB220_353 Depth=1
	s_or_b32 exec_lo, exec_lo, s15
	v_lshlrev_b32_e32 v13, 16, v69
	v_lshlrev_b32_e32 v5, 20, v5
	v_lshl_add_u32 v11, v11, 23, 0x3c000000
	v_mov_b32_e32 v19, v6
	v_and_b32_e32 v13, 0x80000000, v13
	v_or3_b32 v20, v5, v13, v11
.LBB220_537:                            ;   in Loop: Header=BB220_353 Depth=1
	s_or_b32 exec_lo, exec_lo, s14
.LBB220_538:                            ;   in Loop: Header=BB220_353 Depth=1
	s_or_b32 exec_lo, exec_lo, s13
.LBB220_539:                            ;   in Loop: Header=BB220_353 Depth=1
	s_or_b32 exec_lo, exec_lo, s9
	v_mov_b32_e32 v23, 0
	v_mov_b32_e32 v21, 0
	v_and_b32_sdwa v5, v69, v43 dst_sel:DWORD dst_unused:UNUSED_PAD src0_sel:WORD_1 src1_sel:DWORD
	v_mov_b32_e32 v24, 0
	v_mov_b32_e32 v22, 0
	s_mov_b32 s9, exec_lo
	v_cmpx_ne_u16_e32 0, v5
	s_cbranch_execz .LBB220_547
; %bb.540:                              ;   in Loop: Header=BB220_353 Depth=1
	v_bfrev_b32_e32 v21, 1
	v_mov_b32_e32 v22, 0
	s_mov_b32 s13, exec_lo
	v_cmpx_ne_u16_e32 0x80, v5
	s_cbranch_execz .LBB220_546
; %bb.541:                              ;   in Loop: Header=BB220_353 Depth=1
	v_mov_b32_e32 v21, 0x7f800001
	v_bfe_u32 v13, v69, 16, 7
	v_mov_b32_e32 v22, 0
	s_mov_b32 s14, exec_lo
	v_cmpx_ne_u32_e32 0x7f, v13
	s_cbranch_execz .LBB220_545
; %bb.542:                              ;   in Loop: Header=BB220_353 Depth=1
	v_and_b32_sdwa v5, v69, v44 dst_sel:DWORD dst_unused:UNUSED_PAD src0_sel:WORD_1 src1_sel:DWORD
	v_lshrrev_b32_e32 v11, 3, v13
	s_mov_b32 s15, exec_lo
	v_cmpx_gt_u32_e32 8, v13
; %bb.543:                              ;   in Loop: Header=BB220_353 Depth=1
	v_ffbh_u32_e32 v11, v5
	v_min_u32_e32 v11, 32, v11
	v_subrev_nc_u32_e32 v13, 28, v11
	v_sub_nc_u32_e32 v11, 29, v11
	v_lshlrev_b64 v[21:22], v13, v[5:6]
	v_and_b32_e32 v5, 7, v21
; %bb.544:                              ;   in Loop: Header=BB220_353 Depth=1
	s_or_b32 exec_lo, exec_lo, s15
	v_lshlrev_b32_sdwa v13, v45, v69 dst_sel:DWORD dst_unused:UNUSED_PAD src0_sel:DWORD src1_sel:WORD_1
	v_lshlrev_b32_e32 v5, 20, v5
	v_lshl_add_u32 v11, v11, 23, 0x3c000000
	v_and_b32_e32 v13, 0x80000000, v13
	v_or3_b32 v5, v5, v13, v11
	v_mov_b32_e32 v22, v6
	v_mov_b32_e32 v21, v5
.LBB220_545:                            ;   in Loop: Header=BB220_353 Depth=1
	s_or_b32 exec_lo, exec_lo, s14
.LBB220_546:                            ;   in Loop: Header=BB220_353 Depth=1
	s_or_b32 exec_lo, exec_lo, s13
.LBB220_547:                            ;   in Loop: Header=BB220_353 Depth=1
	s_or_b32 exec_lo, exec_lo, s9
	s_mov_b32 s9, exec_lo
	v_cmpx_lt_u32_e32 0xffffff, v69
	s_cbranch_execz .LBB220_555
; %bb.548:                              ;   in Loop: Header=BB220_353 Depth=1
	v_mov_b32_e32 v11, v6
	v_mov_b32_e32 v24, v12
	v_cmp_ne_u32_sdwa s0, v69, v40 src0_sel:BYTE_3 src1_sel:DWORD
	v_mov_b32_e32 v23, v11
	s_and_saveexec_b32 s13, s0
	s_cbranch_execz .LBB220_554
; %bb.549:                              ;   in Loop: Header=BB220_353 Depth=1
	v_mov_b32_e32 v13, v6
	v_mov_b32_e32 v24, v14
	v_bfe_u32 v70, v69, 24, 7
	s_mov_b32 s14, exec_lo
	v_mov_b32_e32 v23, v13
	v_cmpx_ne_u32_e32 0x7f, v70
	s_cbranch_execz .LBB220_553
; %bb.550:                              ;   in Loop: Header=BB220_353 Depth=1
	v_and_b32_sdwa v5, v69, v44 dst_sel:DWORD dst_unused:UNUSED_PAD src0_sel:BYTE_3 src1_sel:DWORD
	v_lshrrev_b32_e32 v11, 3, v70
	s_mov_b32 s15, exec_lo
	v_cmpx_gt_u32_e32 8, v70
; %bb.551:                              ;   in Loop: Header=BB220_353 Depth=1
	v_ffbh_u32_e32 v11, v5
	v_min_u32_e32 v11, 32, v11
	v_subrev_nc_u32_e32 v13, 28, v11
	v_sub_nc_u32_e32 v11, 29, v11
	v_lshlrev_b64 v[23:24], v13, v[5:6]
	v_and_b32_e32 v5, 7, v23
; %bb.552:                              ;   in Loop: Header=BB220_353 Depth=1
	s_or_b32 exec_lo, exec_lo, s15
	v_lshlrev_b32_sdwa v13, v45, v69 dst_sel:DWORD dst_unused:UNUSED_PAD src0_sel:DWORD src1_sel:BYTE_3
	v_lshlrev_b32_e32 v5, 20, v5
	v_lshl_add_u32 v11, v11, 23, 0x3c000000
	v_mov_b32_e32 v23, v6
	v_and_b32_e32 v13, 0x80000000, v13
	v_or3_b32 v24, v5, v13, v11
.LBB220_553:                            ;   in Loop: Header=BB220_353 Depth=1
	s_or_b32 exec_lo, exec_lo, s14
.LBB220_554:                            ;   in Loop: Header=BB220_353 Depth=1
	s_or_b32 exec_lo, exec_lo, s13
.LBB220_555:                            ;   in Loop: Header=BB220_353 Depth=1
	s_or_b32 exec_lo, exec_lo, s9
	v_or_b32_e32 v5, v20, v18
	v_or_b32_e32 v11, v19, v17
	;; [unrolled: 1-line block ×4, first 2 shown]
	v_mul_f32_e32 v71, s6, v5
	v_mul_f32_e32 v72, s3, v11
	v_mul_f32_e32 v70, s3, v13
	v_mul_f32_e32 v69, s6, v17
	s_and_saveexec_b32 s9, vcc_lo
	s_cbranch_execz .LBB220_557
; %bb.556:                              ;   in Loop: Header=BB220_353 Depth=1
	v_cmp_gt_i32_e64 s0, s27, v50
	v_cndmask_b32_e64 v72, 0, v72, s0
	v_cmp_gt_i32_e64 s0, s27, v52
	v_cndmask_b32_e64 v71, 0, v71, s0
	;; [unrolled: 2-line block ×4, first 2 shown]
.LBB220_557:                            ;   in Loop: Header=BB220_353 Depth=1
	s_or_b32 exec_lo, exec_lo, s9
	global_load_dword v73, v[15:16], off offset:768
	v_mov_b32_e32 v19, 0
	v_mov_b32_e32 v17, 0
	;; [unrolled: 1-line block ×4, first 2 shown]
	s_waitcnt vmcnt(0)
	v_cmp_ne_u16_sdwa s0, v73, v6 src0_sel:BYTE_0 src1_sel:DWORD
	s_and_saveexec_b32 s9, s0
	s_cbranch_execz .LBB220_565
; %bb.558:                              ;   in Loop: Header=BB220_353 Depth=1
	v_bfrev_b32_e32 v17, 1
	v_mov_b32_e32 v18, 0
	v_cmp_ne_u16_sdwa s0, v73, v40 src0_sel:BYTE_0 src1_sel:DWORD
	s_and_saveexec_b32 s13, s0
	s_cbranch_execz .LBB220_564
; %bb.559:                              ;   in Loop: Header=BB220_353 Depth=1
	v_mov_b32_e32 v17, 0x7f800001
	v_and_b32_e32 v13, 0x7f, v73
	v_mov_b32_e32 v18, 0
	s_mov_b32 s14, exec_lo
	v_cmpx_ne_u32_e32 0x7f, v13
	s_cbranch_execz .LBB220_563
; %bb.560:                              ;   in Loop: Header=BB220_353 Depth=1
	v_and_b32_e32 v5, 7, v73
	v_lshrrev_b32_e32 v11, 3, v13
	s_mov_b32 s15, exec_lo
	v_cmpx_gt_u32_e32 8, v13
; %bb.561:                              ;   in Loop: Header=BB220_353 Depth=1
	v_ffbh_u32_e32 v11, v5
	v_min_u32_e32 v11, 32, v11
	v_subrev_nc_u32_e32 v13, 28, v11
	v_sub_nc_u32_e32 v11, 29, v11
	v_lshlrev_b64 v[17:18], v13, v[5:6]
	v_and_b32_e32 v5, 7, v17
; %bb.562:                              ;   in Loop: Header=BB220_353 Depth=1
	s_or_b32 exec_lo, exec_lo, s15
	v_lshlrev_b32_e32 v13, 24, v73
	v_lshlrev_b32_e32 v5, 20, v5
	v_lshl_add_u32 v11, v11, 23, 0x3c000000
	v_and_b32_e32 v13, 0x80000000, v13
	v_or3_b32 v5, v5, v13, v11
	v_mov_b32_e32 v18, v6
	v_mov_b32_e32 v17, v5
.LBB220_563:                            ;   in Loop: Header=BB220_353 Depth=1
	s_or_b32 exec_lo, exec_lo, s14
.LBB220_564:                            ;   in Loop: Header=BB220_353 Depth=1
	s_or_b32 exec_lo, exec_lo, s13
.LBB220_565:                            ;   in Loop: Header=BB220_353 Depth=1
	s_or_b32 exec_lo, exec_lo, s9
	v_cmp_ne_u16_sdwa s0, v73, v6 src0_sel:BYTE_1 src1_sel:DWORD
	s_and_saveexec_b32 s9, s0
	s_cbranch_execz .LBB220_573
; %bb.566:                              ;   in Loop: Header=BB220_353 Depth=1
	v_mov_b32_e32 v11, v6
	v_mov_b32_e32 v20, v12
	v_cmp_ne_u16_sdwa s0, v73, v40 src0_sel:BYTE_1 src1_sel:DWORD
	v_mov_b32_e32 v19, v11
	s_and_saveexec_b32 s13, s0
	s_cbranch_execz .LBB220_572
; %bb.567:                              ;   in Loop: Header=BB220_353 Depth=1
	v_and_b32_sdwa v5, v42, v73 dst_sel:DWORD dst_unused:UNUSED_PAD src0_sel:DWORD src1_sel:BYTE_1
	v_mov_b32_e32 v13, v6
	v_mov_b32_e32 v20, v14
	s_mov_b32 s14, exec_lo
	v_and_b32_e32 v21, 0x7f, v5
	v_mov_b32_e32 v19, v13
	v_cmpx_ne_u32_e32 0x7f, v21
	s_cbranch_execz .LBB220_571
; %bb.568:                              ;   in Loop: Header=BB220_353 Depth=1
	v_and_b32_e32 v5, 7, v5
	v_lshrrev_b32_e32 v11, 3, v21
	s_mov_b32 s15, exec_lo
	v_cmpx_gt_u32_e32 8, v21
; %bb.569:                              ;   in Loop: Header=BB220_353 Depth=1
	v_ffbh_u32_e32 v11, v5
	v_min_u32_e32 v11, 32, v11
	v_subrev_nc_u32_e32 v13, 28, v11
	v_sub_nc_u32_e32 v11, 29, v11
	v_lshlrev_b64 v[19:20], v13, v[5:6]
	v_and_b32_e32 v5, 7, v19
; %bb.570:                              ;   in Loop: Header=BB220_353 Depth=1
	s_or_b32 exec_lo, exec_lo, s15
	v_lshlrev_b32_e32 v13, 16, v73
	v_lshlrev_b32_e32 v5, 20, v5
	v_lshl_add_u32 v11, v11, 23, 0x3c000000
	v_mov_b32_e32 v19, v6
	v_and_b32_e32 v13, 0x80000000, v13
	v_or3_b32 v20, v5, v13, v11
.LBB220_571:                            ;   in Loop: Header=BB220_353 Depth=1
	s_or_b32 exec_lo, exec_lo, s14
.LBB220_572:                            ;   in Loop: Header=BB220_353 Depth=1
	s_or_b32 exec_lo, exec_lo, s13
.LBB220_573:                            ;   in Loop: Header=BB220_353 Depth=1
	s_or_b32 exec_lo, exec_lo, s9
	v_mov_b32_e32 v23, 0
	v_mov_b32_e32 v21, 0
	v_and_b32_sdwa v5, v73, v43 dst_sel:DWORD dst_unused:UNUSED_PAD src0_sel:WORD_1 src1_sel:DWORD
	v_mov_b32_e32 v24, 0
	v_mov_b32_e32 v22, 0
	s_mov_b32 s9, exec_lo
	v_cmpx_ne_u16_e32 0, v5
	s_cbranch_execz .LBB220_581
; %bb.574:                              ;   in Loop: Header=BB220_353 Depth=1
	v_bfrev_b32_e32 v21, 1
	v_mov_b32_e32 v22, 0
	s_mov_b32 s13, exec_lo
	v_cmpx_ne_u16_e32 0x80, v5
	s_cbranch_execz .LBB220_580
; %bb.575:                              ;   in Loop: Header=BB220_353 Depth=1
	v_mov_b32_e32 v21, 0x7f800001
	v_bfe_u32 v13, v73, 16, 7
	v_mov_b32_e32 v22, 0
	s_mov_b32 s14, exec_lo
	v_cmpx_ne_u32_e32 0x7f, v13
	s_cbranch_execz .LBB220_579
; %bb.576:                              ;   in Loop: Header=BB220_353 Depth=1
	v_and_b32_sdwa v5, v73, v44 dst_sel:DWORD dst_unused:UNUSED_PAD src0_sel:WORD_1 src1_sel:DWORD
	v_lshrrev_b32_e32 v11, 3, v13
	s_mov_b32 s15, exec_lo
	v_cmpx_gt_u32_e32 8, v13
; %bb.577:                              ;   in Loop: Header=BB220_353 Depth=1
	v_ffbh_u32_e32 v11, v5
	v_min_u32_e32 v11, 32, v11
	v_subrev_nc_u32_e32 v13, 28, v11
	v_sub_nc_u32_e32 v11, 29, v11
	v_lshlrev_b64 v[21:22], v13, v[5:6]
	v_and_b32_e32 v5, 7, v21
; %bb.578:                              ;   in Loop: Header=BB220_353 Depth=1
	s_or_b32 exec_lo, exec_lo, s15
	v_lshlrev_b32_sdwa v13, v45, v73 dst_sel:DWORD dst_unused:UNUSED_PAD src0_sel:DWORD src1_sel:WORD_1
	v_lshlrev_b32_e32 v5, 20, v5
	v_lshl_add_u32 v11, v11, 23, 0x3c000000
	v_and_b32_e32 v13, 0x80000000, v13
	v_or3_b32 v5, v5, v13, v11
	v_mov_b32_e32 v22, v6
	v_mov_b32_e32 v21, v5
.LBB220_579:                            ;   in Loop: Header=BB220_353 Depth=1
	s_or_b32 exec_lo, exec_lo, s14
.LBB220_580:                            ;   in Loop: Header=BB220_353 Depth=1
	s_or_b32 exec_lo, exec_lo, s13
.LBB220_581:                            ;   in Loop: Header=BB220_353 Depth=1
	s_or_b32 exec_lo, exec_lo, s9
	s_mov_b32 s9, exec_lo
	v_cmpx_lt_u32_e32 0xffffff, v73
	s_cbranch_execz .LBB220_589
; %bb.582:                              ;   in Loop: Header=BB220_353 Depth=1
	v_mov_b32_e32 v11, v6
	v_mov_b32_e32 v24, v12
	v_cmp_ne_u32_sdwa s0, v73, v40 src0_sel:BYTE_3 src1_sel:DWORD
	v_mov_b32_e32 v23, v11
	s_and_saveexec_b32 s13, s0
	s_cbranch_execz .LBB220_588
; %bb.583:                              ;   in Loop: Header=BB220_353 Depth=1
	v_mov_b32_e32 v13, v6
	v_mov_b32_e32 v24, v14
	v_bfe_u32 v74, v73, 24, 7
	s_mov_b32 s14, exec_lo
	v_mov_b32_e32 v23, v13
	v_cmpx_ne_u32_e32 0x7f, v74
	s_cbranch_execz .LBB220_587
; %bb.584:                              ;   in Loop: Header=BB220_353 Depth=1
	v_and_b32_sdwa v5, v73, v44 dst_sel:DWORD dst_unused:UNUSED_PAD src0_sel:BYTE_3 src1_sel:DWORD
	v_lshrrev_b32_e32 v11, 3, v74
	s_mov_b32 s15, exec_lo
	v_cmpx_gt_u32_e32 8, v74
; %bb.585:                              ;   in Loop: Header=BB220_353 Depth=1
	v_ffbh_u32_e32 v11, v5
	v_min_u32_e32 v11, 32, v11
	v_subrev_nc_u32_e32 v13, 28, v11
	v_sub_nc_u32_e32 v11, 29, v11
	v_lshlrev_b64 v[23:24], v13, v[5:6]
	v_and_b32_e32 v5, 7, v23
; %bb.586:                              ;   in Loop: Header=BB220_353 Depth=1
	s_or_b32 exec_lo, exec_lo, s15
	v_lshlrev_b32_sdwa v13, v45, v73 dst_sel:DWORD dst_unused:UNUSED_PAD src0_sel:DWORD src1_sel:BYTE_3
	v_lshlrev_b32_e32 v5, 20, v5
	v_lshl_add_u32 v11, v11, 23, 0x3c000000
	v_mov_b32_e32 v23, v6
	v_and_b32_e32 v13, 0x80000000, v13
	v_or3_b32 v24, v5, v13, v11
.LBB220_587:                            ;   in Loop: Header=BB220_353 Depth=1
	s_or_b32 exec_lo, exec_lo, s14
.LBB220_588:                            ;   in Loop: Header=BB220_353 Depth=1
	s_or_b32 exec_lo, exec_lo, s13
.LBB220_589:                            ;   in Loop: Header=BB220_353 Depth=1
	s_or_b32 exec_lo, exec_lo, s9
	v_or_b32_e32 v5, v20, v18
	v_or_b32_e32 v11, v19, v17
	v_or_b32_e32 v13, v23, v21
	v_or_b32_e32 v17, v24, v22
	v_mul_f32_e32 v75, s6, v5
	v_mul_f32_e32 v76, s3, v11
	;; [unrolled: 1-line block ×4, first 2 shown]
	s_and_saveexec_b32 s9, vcc_lo
	s_cbranch_execz .LBB220_591
; %bb.590:                              ;   in Loop: Header=BB220_353 Depth=1
	v_cmp_gt_i32_e64 s0, s27, v50
	v_cndmask_b32_e64 v76, 0, v76, s0
	v_cmp_gt_i32_e64 s0, s27, v52
	v_cndmask_b32_e64 v75, 0, v75, s0
	;; [unrolled: 2-line block ×4, first 2 shown]
.LBB220_591:                            ;   in Loop: Header=BB220_353 Depth=1
	s_or_b32 exec_lo, exec_lo, s9
	global_load_dword v77, v[15:16], off offset:896
	v_mov_b32_e32 v19, 0
	v_mov_b32_e32 v17, 0
	;; [unrolled: 1-line block ×4, first 2 shown]
	s_waitcnt vmcnt(0)
	v_cmp_ne_u16_sdwa s0, v77, v6 src0_sel:BYTE_0 src1_sel:DWORD
	s_and_saveexec_b32 s9, s0
	s_cbranch_execz .LBB220_599
; %bb.592:                              ;   in Loop: Header=BB220_353 Depth=1
	v_bfrev_b32_e32 v17, 1
	v_mov_b32_e32 v18, 0
	v_cmp_ne_u16_sdwa s0, v77, v40 src0_sel:BYTE_0 src1_sel:DWORD
	s_and_saveexec_b32 s13, s0
	s_cbranch_execz .LBB220_598
; %bb.593:                              ;   in Loop: Header=BB220_353 Depth=1
	v_mov_b32_e32 v17, 0x7f800001
	v_and_b32_e32 v13, 0x7f, v77
	v_mov_b32_e32 v18, 0
	s_mov_b32 s14, exec_lo
	v_cmpx_ne_u32_e32 0x7f, v13
	s_cbranch_execz .LBB220_597
; %bb.594:                              ;   in Loop: Header=BB220_353 Depth=1
	v_and_b32_e32 v5, 7, v77
	v_lshrrev_b32_e32 v11, 3, v13
	s_mov_b32 s15, exec_lo
	v_cmpx_gt_u32_e32 8, v13
; %bb.595:                              ;   in Loop: Header=BB220_353 Depth=1
	v_ffbh_u32_e32 v11, v5
	v_min_u32_e32 v11, 32, v11
	v_subrev_nc_u32_e32 v13, 28, v11
	v_sub_nc_u32_e32 v11, 29, v11
	v_lshlrev_b64 v[17:18], v13, v[5:6]
	v_and_b32_e32 v5, 7, v17
; %bb.596:                              ;   in Loop: Header=BB220_353 Depth=1
	s_or_b32 exec_lo, exec_lo, s15
	v_lshlrev_b32_e32 v13, 24, v77
	v_lshlrev_b32_e32 v5, 20, v5
	v_lshl_add_u32 v11, v11, 23, 0x3c000000
	v_and_b32_e32 v13, 0x80000000, v13
	v_or3_b32 v5, v5, v13, v11
	v_mov_b32_e32 v18, v6
	v_mov_b32_e32 v17, v5
.LBB220_597:                            ;   in Loop: Header=BB220_353 Depth=1
	s_or_b32 exec_lo, exec_lo, s14
.LBB220_598:                            ;   in Loop: Header=BB220_353 Depth=1
	s_or_b32 exec_lo, exec_lo, s13
.LBB220_599:                            ;   in Loop: Header=BB220_353 Depth=1
	s_or_b32 exec_lo, exec_lo, s9
	v_cmp_ne_u16_sdwa s0, v77, v6 src0_sel:BYTE_1 src1_sel:DWORD
	s_and_saveexec_b32 s9, s0
	s_cbranch_execz .LBB220_607
; %bb.600:                              ;   in Loop: Header=BB220_353 Depth=1
	v_mov_b32_e32 v11, v6
	v_mov_b32_e32 v20, v12
	v_cmp_ne_u16_sdwa s0, v77, v40 src0_sel:BYTE_1 src1_sel:DWORD
	v_mov_b32_e32 v19, v11
	s_and_saveexec_b32 s13, s0
	s_cbranch_execz .LBB220_606
; %bb.601:                              ;   in Loop: Header=BB220_353 Depth=1
	v_and_b32_sdwa v5, v42, v77 dst_sel:DWORD dst_unused:UNUSED_PAD src0_sel:DWORD src1_sel:BYTE_1
	v_mov_b32_e32 v13, v6
	v_mov_b32_e32 v20, v14
	s_mov_b32 s14, exec_lo
	v_and_b32_e32 v21, 0x7f, v5
	v_mov_b32_e32 v19, v13
	v_cmpx_ne_u32_e32 0x7f, v21
	s_cbranch_execz .LBB220_605
; %bb.602:                              ;   in Loop: Header=BB220_353 Depth=1
	v_and_b32_e32 v5, 7, v5
	v_lshrrev_b32_e32 v11, 3, v21
	s_mov_b32 s15, exec_lo
	v_cmpx_gt_u32_e32 8, v21
; %bb.603:                              ;   in Loop: Header=BB220_353 Depth=1
	v_ffbh_u32_e32 v11, v5
	v_min_u32_e32 v11, 32, v11
	v_subrev_nc_u32_e32 v13, 28, v11
	v_sub_nc_u32_e32 v11, 29, v11
	v_lshlrev_b64 v[19:20], v13, v[5:6]
	v_and_b32_e32 v5, 7, v19
; %bb.604:                              ;   in Loop: Header=BB220_353 Depth=1
	s_or_b32 exec_lo, exec_lo, s15
	v_lshlrev_b32_e32 v13, 16, v77
	v_lshlrev_b32_e32 v5, 20, v5
	v_lshl_add_u32 v11, v11, 23, 0x3c000000
	v_mov_b32_e32 v19, v6
	v_and_b32_e32 v13, 0x80000000, v13
	v_or3_b32 v20, v5, v13, v11
.LBB220_605:                            ;   in Loop: Header=BB220_353 Depth=1
	s_or_b32 exec_lo, exec_lo, s14
.LBB220_606:                            ;   in Loop: Header=BB220_353 Depth=1
	s_or_b32 exec_lo, exec_lo, s13
.LBB220_607:                            ;   in Loop: Header=BB220_353 Depth=1
	s_or_b32 exec_lo, exec_lo, s9
	v_mov_b32_e32 v23, 0
	v_mov_b32_e32 v21, 0
	v_and_b32_sdwa v5, v77, v43 dst_sel:DWORD dst_unused:UNUSED_PAD src0_sel:WORD_1 src1_sel:DWORD
	v_mov_b32_e32 v24, 0
	v_mov_b32_e32 v22, 0
	s_mov_b32 s9, exec_lo
	v_cmpx_ne_u16_e32 0, v5
	s_cbranch_execz .LBB220_615
; %bb.608:                              ;   in Loop: Header=BB220_353 Depth=1
	v_bfrev_b32_e32 v21, 1
	v_mov_b32_e32 v22, 0
	s_mov_b32 s13, exec_lo
	v_cmpx_ne_u16_e32 0x80, v5
	s_cbranch_execz .LBB220_614
; %bb.609:                              ;   in Loop: Header=BB220_353 Depth=1
	v_mov_b32_e32 v21, 0x7f800001
	v_bfe_u32 v13, v77, 16, 7
	v_mov_b32_e32 v22, 0
	s_mov_b32 s14, exec_lo
	v_cmpx_ne_u32_e32 0x7f, v13
	s_cbranch_execz .LBB220_613
; %bb.610:                              ;   in Loop: Header=BB220_353 Depth=1
	v_and_b32_sdwa v5, v77, v44 dst_sel:DWORD dst_unused:UNUSED_PAD src0_sel:WORD_1 src1_sel:DWORD
	v_lshrrev_b32_e32 v11, 3, v13
	s_mov_b32 s15, exec_lo
	v_cmpx_gt_u32_e32 8, v13
; %bb.611:                              ;   in Loop: Header=BB220_353 Depth=1
	v_ffbh_u32_e32 v11, v5
	v_min_u32_e32 v11, 32, v11
	v_subrev_nc_u32_e32 v13, 28, v11
	v_sub_nc_u32_e32 v11, 29, v11
	v_lshlrev_b64 v[21:22], v13, v[5:6]
	v_and_b32_e32 v5, 7, v21
; %bb.612:                              ;   in Loop: Header=BB220_353 Depth=1
	s_or_b32 exec_lo, exec_lo, s15
	v_lshlrev_b32_sdwa v13, v45, v77 dst_sel:DWORD dst_unused:UNUSED_PAD src0_sel:DWORD src1_sel:WORD_1
	v_lshlrev_b32_e32 v5, 20, v5
	v_lshl_add_u32 v11, v11, 23, 0x3c000000
	v_and_b32_e32 v13, 0x80000000, v13
	v_or3_b32 v5, v5, v13, v11
	v_mov_b32_e32 v22, v6
	v_mov_b32_e32 v21, v5
.LBB220_613:                            ;   in Loop: Header=BB220_353 Depth=1
	s_or_b32 exec_lo, exec_lo, s14
.LBB220_614:                            ;   in Loop: Header=BB220_353 Depth=1
	s_or_b32 exec_lo, exec_lo, s13
.LBB220_615:                            ;   in Loop: Header=BB220_353 Depth=1
	s_or_b32 exec_lo, exec_lo, s9
	s_mov_b32 s9, exec_lo
	v_cmpx_lt_u32_e32 0xffffff, v77
	s_cbranch_execz .LBB220_623
; %bb.616:                              ;   in Loop: Header=BB220_353 Depth=1
	v_mov_b32_e32 v11, v6
	v_mov_b32_e32 v24, v12
	v_cmp_ne_u32_sdwa s0, v77, v40 src0_sel:BYTE_3 src1_sel:DWORD
	v_mov_b32_e32 v23, v11
	s_and_saveexec_b32 s13, s0
	s_cbranch_execz .LBB220_622
; %bb.617:                              ;   in Loop: Header=BB220_353 Depth=1
	v_mov_b32_e32 v13, v6
	v_mov_b32_e32 v24, v14
	v_bfe_u32 v78, v77, 24, 7
	s_mov_b32 s14, exec_lo
	v_mov_b32_e32 v23, v13
	v_cmpx_ne_u32_e32 0x7f, v78
	s_cbranch_execz .LBB220_621
; %bb.618:                              ;   in Loop: Header=BB220_353 Depth=1
	v_and_b32_sdwa v5, v77, v44 dst_sel:DWORD dst_unused:UNUSED_PAD src0_sel:BYTE_3 src1_sel:DWORD
	v_lshrrev_b32_e32 v11, 3, v78
	s_mov_b32 s15, exec_lo
	v_cmpx_gt_u32_e32 8, v78
; %bb.619:                              ;   in Loop: Header=BB220_353 Depth=1
	v_ffbh_u32_e32 v11, v5
	v_min_u32_e32 v11, 32, v11
	v_subrev_nc_u32_e32 v13, 28, v11
	v_sub_nc_u32_e32 v11, 29, v11
	v_lshlrev_b64 v[23:24], v13, v[5:6]
	v_and_b32_e32 v5, 7, v23
; %bb.620:                              ;   in Loop: Header=BB220_353 Depth=1
	s_or_b32 exec_lo, exec_lo, s15
	v_lshlrev_b32_sdwa v13, v45, v77 dst_sel:DWORD dst_unused:UNUSED_PAD src0_sel:DWORD src1_sel:BYTE_3
	v_lshlrev_b32_e32 v5, 20, v5
	v_lshl_add_u32 v11, v11, 23, 0x3c000000
	v_mov_b32_e32 v23, v6
	v_and_b32_e32 v13, 0x80000000, v13
	v_or3_b32 v24, v5, v13, v11
.LBB220_621:                            ;   in Loop: Header=BB220_353 Depth=1
	s_or_b32 exec_lo, exec_lo, s14
.LBB220_622:                            ;   in Loop: Header=BB220_353 Depth=1
	s_or_b32 exec_lo, exec_lo, s13
.LBB220_623:                            ;   in Loop: Header=BB220_353 Depth=1
	s_or_b32 exec_lo, exec_lo, s9
	v_or_b32_e32 v5, v20, v18
	v_or_b32_e32 v11, v19, v17
	;; [unrolled: 1-line block ×4, first 2 shown]
	v_mul_f32_e32 v79, s6, v5
	v_mul_f32_e32 v80, s3, v11
	;; [unrolled: 1-line block ×4, first 2 shown]
	s_and_saveexec_b32 s9, vcc_lo
	s_cbranch_execz .LBB220_625
; %bb.624:                              ;   in Loop: Header=BB220_353 Depth=1
	v_cmp_gt_i32_e64 s0, s27, v50
	v_cndmask_b32_e64 v80, 0, v80, s0
	v_cmp_gt_i32_e64 s0, s27, v52
	v_cndmask_b32_e64 v79, 0, v79, s0
	v_cmp_gt_i32_e64 s0, s27, v51
	v_cndmask_b32_e64 v78, 0, v78, s0
	v_cmp_gt_i32_e64 s0, s27, v38
	v_cndmask_b32_e64 v77, 0, v77, s0
.LBB220_625:                            ;   in Loop: Header=BB220_353 Depth=1
	s_or_b32 exec_lo, exec_lo, s9
	global_load_dword v81, v[15:16], off offset:1024
	v_mov_b32_e32 v19, 0
	v_mov_b32_e32 v17, 0
	;; [unrolled: 1-line block ×4, first 2 shown]
	s_waitcnt vmcnt(0)
	v_cmp_ne_u16_sdwa s0, v81, v6 src0_sel:BYTE_0 src1_sel:DWORD
	s_and_saveexec_b32 s9, s0
	s_cbranch_execz .LBB220_633
; %bb.626:                              ;   in Loop: Header=BB220_353 Depth=1
	v_bfrev_b32_e32 v17, 1
	v_mov_b32_e32 v18, 0
	v_cmp_ne_u16_sdwa s0, v81, v40 src0_sel:BYTE_0 src1_sel:DWORD
	s_and_saveexec_b32 s13, s0
	s_cbranch_execz .LBB220_632
; %bb.627:                              ;   in Loop: Header=BB220_353 Depth=1
	v_mov_b32_e32 v17, 0x7f800001
	v_and_b32_e32 v13, 0x7f, v81
	v_mov_b32_e32 v18, 0
	s_mov_b32 s14, exec_lo
	v_cmpx_ne_u32_e32 0x7f, v13
	s_cbranch_execz .LBB220_631
; %bb.628:                              ;   in Loop: Header=BB220_353 Depth=1
	v_and_b32_e32 v5, 7, v81
	v_lshrrev_b32_e32 v11, 3, v13
	s_mov_b32 s15, exec_lo
	v_cmpx_gt_u32_e32 8, v13
; %bb.629:                              ;   in Loop: Header=BB220_353 Depth=1
	v_ffbh_u32_e32 v11, v5
	v_min_u32_e32 v11, 32, v11
	v_subrev_nc_u32_e32 v13, 28, v11
	v_sub_nc_u32_e32 v11, 29, v11
	v_lshlrev_b64 v[17:18], v13, v[5:6]
	v_and_b32_e32 v5, 7, v17
; %bb.630:                              ;   in Loop: Header=BB220_353 Depth=1
	s_or_b32 exec_lo, exec_lo, s15
	v_lshlrev_b32_e32 v13, 24, v81
	v_lshlrev_b32_e32 v5, 20, v5
	v_lshl_add_u32 v11, v11, 23, 0x3c000000
	v_and_b32_e32 v13, 0x80000000, v13
	v_or3_b32 v5, v5, v13, v11
	v_mov_b32_e32 v18, v6
	v_mov_b32_e32 v17, v5
.LBB220_631:                            ;   in Loop: Header=BB220_353 Depth=1
	s_or_b32 exec_lo, exec_lo, s14
.LBB220_632:                            ;   in Loop: Header=BB220_353 Depth=1
	s_or_b32 exec_lo, exec_lo, s13
.LBB220_633:                            ;   in Loop: Header=BB220_353 Depth=1
	s_or_b32 exec_lo, exec_lo, s9
	v_cmp_ne_u16_sdwa s0, v81, v6 src0_sel:BYTE_1 src1_sel:DWORD
	s_and_saveexec_b32 s9, s0
	s_cbranch_execz .LBB220_641
; %bb.634:                              ;   in Loop: Header=BB220_353 Depth=1
	v_mov_b32_e32 v11, v6
	v_mov_b32_e32 v20, v12
	v_cmp_ne_u16_sdwa s0, v81, v40 src0_sel:BYTE_1 src1_sel:DWORD
	v_mov_b32_e32 v19, v11
	s_and_saveexec_b32 s13, s0
	s_cbranch_execz .LBB220_640
; %bb.635:                              ;   in Loop: Header=BB220_353 Depth=1
	v_and_b32_sdwa v5, v42, v81 dst_sel:DWORD dst_unused:UNUSED_PAD src0_sel:DWORD src1_sel:BYTE_1
	v_mov_b32_e32 v13, v6
	v_mov_b32_e32 v20, v14
	s_mov_b32 s14, exec_lo
	v_and_b32_e32 v21, 0x7f, v5
	v_mov_b32_e32 v19, v13
	v_cmpx_ne_u32_e32 0x7f, v21
	s_cbranch_execz .LBB220_639
; %bb.636:                              ;   in Loop: Header=BB220_353 Depth=1
	v_and_b32_e32 v5, 7, v5
	v_lshrrev_b32_e32 v11, 3, v21
	s_mov_b32 s15, exec_lo
	v_cmpx_gt_u32_e32 8, v21
; %bb.637:                              ;   in Loop: Header=BB220_353 Depth=1
	v_ffbh_u32_e32 v11, v5
	v_min_u32_e32 v11, 32, v11
	v_subrev_nc_u32_e32 v13, 28, v11
	v_sub_nc_u32_e32 v11, 29, v11
	v_lshlrev_b64 v[19:20], v13, v[5:6]
	v_and_b32_e32 v5, 7, v19
; %bb.638:                              ;   in Loop: Header=BB220_353 Depth=1
	s_or_b32 exec_lo, exec_lo, s15
	v_lshlrev_b32_e32 v13, 16, v81
	v_lshlrev_b32_e32 v5, 20, v5
	v_lshl_add_u32 v11, v11, 23, 0x3c000000
	v_mov_b32_e32 v19, v6
	v_and_b32_e32 v13, 0x80000000, v13
	v_or3_b32 v20, v5, v13, v11
.LBB220_639:                            ;   in Loop: Header=BB220_353 Depth=1
	s_or_b32 exec_lo, exec_lo, s14
.LBB220_640:                            ;   in Loop: Header=BB220_353 Depth=1
	s_or_b32 exec_lo, exec_lo, s13
.LBB220_641:                            ;   in Loop: Header=BB220_353 Depth=1
	s_or_b32 exec_lo, exec_lo, s9
	v_mov_b32_e32 v23, 0
	v_mov_b32_e32 v21, 0
	v_and_b32_sdwa v5, v81, v43 dst_sel:DWORD dst_unused:UNUSED_PAD src0_sel:WORD_1 src1_sel:DWORD
	v_mov_b32_e32 v24, 0
	v_mov_b32_e32 v22, 0
	s_mov_b32 s9, exec_lo
	v_cmpx_ne_u16_e32 0, v5
	s_cbranch_execz .LBB220_649
; %bb.642:                              ;   in Loop: Header=BB220_353 Depth=1
	v_bfrev_b32_e32 v21, 1
	v_mov_b32_e32 v22, 0
	s_mov_b32 s13, exec_lo
	v_cmpx_ne_u16_e32 0x80, v5
	s_cbranch_execz .LBB220_648
; %bb.643:                              ;   in Loop: Header=BB220_353 Depth=1
	v_mov_b32_e32 v21, 0x7f800001
	v_bfe_u32 v13, v81, 16, 7
	v_mov_b32_e32 v22, 0
	s_mov_b32 s14, exec_lo
	v_cmpx_ne_u32_e32 0x7f, v13
	s_cbranch_execz .LBB220_647
; %bb.644:                              ;   in Loop: Header=BB220_353 Depth=1
	v_and_b32_sdwa v5, v81, v44 dst_sel:DWORD dst_unused:UNUSED_PAD src0_sel:WORD_1 src1_sel:DWORD
	v_lshrrev_b32_e32 v11, 3, v13
	s_mov_b32 s15, exec_lo
	v_cmpx_gt_u32_e32 8, v13
; %bb.645:                              ;   in Loop: Header=BB220_353 Depth=1
	v_ffbh_u32_e32 v11, v5
	v_min_u32_e32 v11, 32, v11
	v_subrev_nc_u32_e32 v13, 28, v11
	v_sub_nc_u32_e32 v11, 29, v11
	v_lshlrev_b64 v[21:22], v13, v[5:6]
	v_and_b32_e32 v5, 7, v21
; %bb.646:                              ;   in Loop: Header=BB220_353 Depth=1
	s_or_b32 exec_lo, exec_lo, s15
	v_lshlrev_b32_sdwa v13, v45, v81 dst_sel:DWORD dst_unused:UNUSED_PAD src0_sel:DWORD src1_sel:WORD_1
	v_lshlrev_b32_e32 v5, 20, v5
	v_lshl_add_u32 v11, v11, 23, 0x3c000000
	v_and_b32_e32 v13, 0x80000000, v13
	v_or3_b32 v5, v5, v13, v11
	v_mov_b32_e32 v22, v6
	v_mov_b32_e32 v21, v5
.LBB220_647:                            ;   in Loop: Header=BB220_353 Depth=1
	s_or_b32 exec_lo, exec_lo, s14
.LBB220_648:                            ;   in Loop: Header=BB220_353 Depth=1
	s_or_b32 exec_lo, exec_lo, s13
.LBB220_649:                            ;   in Loop: Header=BB220_353 Depth=1
	s_or_b32 exec_lo, exec_lo, s9
	s_mov_b32 s9, exec_lo
	v_cmpx_lt_u32_e32 0xffffff, v81
	s_cbranch_execz .LBB220_657
; %bb.650:                              ;   in Loop: Header=BB220_353 Depth=1
	v_mov_b32_e32 v11, v6
	v_mov_b32_e32 v24, v12
	v_cmp_ne_u32_sdwa s0, v81, v40 src0_sel:BYTE_3 src1_sel:DWORD
	v_mov_b32_e32 v23, v11
	s_and_saveexec_b32 s13, s0
	s_cbranch_execz .LBB220_656
; %bb.651:                              ;   in Loop: Header=BB220_353 Depth=1
	v_mov_b32_e32 v13, v6
	v_mov_b32_e32 v24, v14
	v_bfe_u32 v82, v81, 24, 7
	s_mov_b32 s14, exec_lo
	v_mov_b32_e32 v23, v13
	v_cmpx_ne_u32_e32 0x7f, v82
	s_cbranch_execz .LBB220_655
; %bb.652:                              ;   in Loop: Header=BB220_353 Depth=1
	v_and_b32_sdwa v5, v81, v44 dst_sel:DWORD dst_unused:UNUSED_PAD src0_sel:BYTE_3 src1_sel:DWORD
	v_lshrrev_b32_e32 v11, 3, v82
	s_mov_b32 s15, exec_lo
	v_cmpx_gt_u32_e32 8, v82
; %bb.653:                              ;   in Loop: Header=BB220_353 Depth=1
	v_ffbh_u32_e32 v11, v5
	v_min_u32_e32 v11, 32, v11
	v_subrev_nc_u32_e32 v13, 28, v11
	v_sub_nc_u32_e32 v11, 29, v11
	v_lshlrev_b64 v[23:24], v13, v[5:6]
	v_and_b32_e32 v5, 7, v23
; %bb.654:                              ;   in Loop: Header=BB220_353 Depth=1
	s_or_b32 exec_lo, exec_lo, s15
	v_lshlrev_b32_sdwa v13, v45, v81 dst_sel:DWORD dst_unused:UNUSED_PAD src0_sel:DWORD src1_sel:BYTE_3
	v_lshlrev_b32_e32 v5, 20, v5
	v_lshl_add_u32 v11, v11, 23, 0x3c000000
	v_mov_b32_e32 v23, v6
	v_and_b32_e32 v13, 0x80000000, v13
	v_or3_b32 v24, v5, v13, v11
.LBB220_655:                            ;   in Loop: Header=BB220_353 Depth=1
	s_or_b32 exec_lo, exec_lo, s14
.LBB220_656:                            ;   in Loop: Header=BB220_353 Depth=1
	s_or_b32 exec_lo, exec_lo, s13
.LBB220_657:                            ;   in Loop: Header=BB220_353 Depth=1
	s_or_b32 exec_lo, exec_lo, s9
	v_or_b32_e32 v5, v20, v18
	v_or_b32_e32 v11, v19, v17
	;; [unrolled: 1-line block ×4, first 2 shown]
	v_mul_f32_e32 v81, s6, v5
	v_mul_f32_e32 v82, s3, v11
	v_mul_f32_e32 v24, s3, v13
	v_mul_f32_e32 v23, s6, v17
	s_and_saveexec_b32 s9, vcc_lo
	s_cbranch_execz .LBB220_659
; %bb.658:                              ;   in Loop: Header=BB220_353 Depth=1
	v_cmp_gt_i32_e64 s0, s27, v50
	v_cndmask_b32_e64 v82, 0, v82, s0
	v_cmp_gt_i32_e64 s0, s27, v52
	v_cndmask_b32_e64 v81, 0, v81, s0
	;; [unrolled: 2-line block ×4, first 2 shown]
.LBB220_659:                            ;   in Loop: Header=BB220_353 Depth=1
	s_or_b32 exec_lo, exec_lo, s9
	global_load_dword v83, v[15:16], off offset:1152
	v_mov_b32_e32 v17, 0
	v_mov_b32_e32 v15, 0
	;; [unrolled: 1-line block ×4, first 2 shown]
	s_waitcnt vmcnt(0)
	v_cmp_ne_u16_sdwa s0, v83, v6 src0_sel:BYTE_0 src1_sel:DWORD
	s_and_saveexec_b32 s9, s0
	s_cbranch_execz .LBB220_667
; %bb.660:                              ;   in Loop: Header=BB220_353 Depth=1
	v_bfrev_b32_e32 v15, 1
	v_mov_b32_e32 v16, 0
	v_cmp_ne_u16_sdwa s0, v83, v40 src0_sel:BYTE_0 src1_sel:DWORD
	s_and_saveexec_b32 s13, s0
	s_cbranch_execz .LBB220_666
; %bb.661:                              ;   in Loop: Header=BB220_353 Depth=1
	v_mov_b32_e32 v15, 0x7f800001
	v_and_b32_e32 v13, 0x7f, v83
	v_mov_b32_e32 v16, 0
	s_mov_b32 s14, exec_lo
	v_cmpx_ne_u32_e32 0x7f, v13
	s_cbranch_execz .LBB220_665
; %bb.662:                              ;   in Loop: Header=BB220_353 Depth=1
	v_and_b32_e32 v5, 7, v83
	v_lshrrev_b32_e32 v11, 3, v13
	s_mov_b32 s15, exec_lo
	v_cmpx_gt_u32_e32 8, v13
; %bb.663:                              ;   in Loop: Header=BB220_353 Depth=1
	v_ffbh_u32_e32 v11, v5
	v_min_u32_e32 v11, 32, v11
	v_subrev_nc_u32_e32 v13, 28, v11
	v_sub_nc_u32_e32 v11, 29, v11
	v_lshlrev_b64 v[15:16], v13, v[5:6]
	v_and_b32_e32 v5, 7, v15
; %bb.664:                              ;   in Loop: Header=BB220_353 Depth=1
	s_or_b32 exec_lo, exec_lo, s15
	v_lshlrev_b32_e32 v13, 24, v83
	v_lshlrev_b32_e32 v5, 20, v5
	v_lshl_add_u32 v11, v11, 23, 0x3c000000
	v_and_b32_e32 v13, 0x80000000, v13
	v_or3_b32 v5, v5, v13, v11
	v_mov_b32_e32 v16, v6
	v_mov_b32_e32 v15, v5
.LBB220_665:                            ;   in Loop: Header=BB220_353 Depth=1
	s_or_b32 exec_lo, exec_lo, s14
.LBB220_666:                            ;   in Loop: Header=BB220_353 Depth=1
	s_or_b32 exec_lo, exec_lo, s13
.LBB220_667:                            ;   in Loop: Header=BB220_353 Depth=1
	s_or_b32 exec_lo, exec_lo, s9
	v_cmp_ne_u16_sdwa s0, v83, v6 src0_sel:BYTE_1 src1_sel:DWORD
	s_and_saveexec_b32 s9, s0
	s_cbranch_execz .LBB220_675
; %bb.668:                              ;   in Loop: Header=BB220_353 Depth=1
	v_mov_b32_e32 v11, v6
	v_mov_b32_e32 v18, v12
	v_cmp_ne_u16_sdwa s0, v83, v40 src0_sel:BYTE_1 src1_sel:DWORD
	v_mov_b32_e32 v17, v11
	s_and_saveexec_b32 s13, s0
	s_cbranch_execz .LBB220_674
; %bb.669:                              ;   in Loop: Header=BB220_353 Depth=1
	v_and_b32_sdwa v5, v42, v83 dst_sel:DWORD dst_unused:UNUSED_PAD src0_sel:DWORD src1_sel:BYTE_1
	v_mov_b32_e32 v13, v6
	v_mov_b32_e32 v18, v14
	s_mov_b32 s14, exec_lo
	v_and_b32_e32 v19, 0x7f, v5
	v_mov_b32_e32 v17, v13
	v_cmpx_ne_u32_e32 0x7f, v19
	s_cbranch_execz .LBB220_673
; %bb.670:                              ;   in Loop: Header=BB220_353 Depth=1
	v_and_b32_e32 v5, 7, v5
	v_lshrrev_b32_e32 v11, 3, v19
	s_mov_b32 s15, exec_lo
	v_cmpx_gt_u32_e32 8, v19
; %bb.671:                              ;   in Loop: Header=BB220_353 Depth=1
	v_ffbh_u32_e32 v11, v5
	v_min_u32_e32 v11, 32, v11
	v_subrev_nc_u32_e32 v13, 28, v11
	v_sub_nc_u32_e32 v11, 29, v11
	v_lshlrev_b64 v[17:18], v13, v[5:6]
	v_and_b32_e32 v5, 7, v17
; %bb.672:                              ;   in Loop: Header=BB220_353 Depth=1
	s_or_b32 exec_lo, exec_lo, s15
	v_lshlrev_b32_e32 v13, 16, v83
	v_lshlrev_b32_e32 v5, 20, v5
	v_lshl_add_u32 v11, v11, 23, 0x3c000000
	v_mov_b32_e32 v17, v6
	v_and_b32_e32 v13, 0x80000000, v13
	v_or3_b32 v18, v5, v13, v11
.LBB220_673:                            ;   in Loop: Header=BB220_353 Depth=1
	s_or_b32 exec_lo, exec_lo, s14
.LBB220_674:                            ;   in Loop: Header=BB220_353 Depth=1
	s_or_b32 exec_lo, exec_lo, s13
.LBB220_675:                            ;   in Loop: Header=BB220_353 Depth=1
	s_or_b32 exec_lo, exec_lo, s9
	v_mov_b32_e32 v21, 0
	v_mov_b32_e32 v19, 0
	v_and_b32_sdwa v5, v83, v43 dst_sel:DWORD dst_unused:UNUSED_PAD src0_sel:WORD_1 src1_sel:DWORD
	v_mov_b32_e32 v22, 0
	v_mov_b32_e32 v20, 0
	s_mov_b32 s9, exec_lo
	v_cmpx_ne_u16_e32 0, v5
	s_cbranch_execz .LBB220_683
; %bb.676:                              ;   in Loop: Header=BB220_353 Depth=1
	v_bfrev_b32_e32 v19, 1
	v_mov_b32_e32 v20, 0
	s_mov_b32 s13, exec_lo
	v_cmpx_ne_u16_e32 0x80, v5
	s_cbranch_execz .LBB220_682
; %bb.677:                              ;   in Loop: Header=BB220_353 Depth=1
	v_mov_b32_e32 v19, 0x7f800001
	v_bfe_u32 v13, v83, 16, 7
	v_mov_b32_e32 v20, 0
	s_mov_b32 s14, exec_lo
	v_cmpx_ne_u32_e32 0x7f, v13
	s_cbranch_execz .LBB220_681
; %bb.678:                              ;   in Loop: Header=BB220_353 Depth=1
	v_and_b32_sdwa v5, v83, v44 dst_sel:DWORD dst_unused:UNUSED_PAD src0_sel:WORD_1 src1_sel:DWORD
	v_lshrrev_b32_e32 v11, 3, v13
	s_mov_b32 s15, exec_lo
	v_cmpx_gt_u32_e32 8, v13
; %bb.679:                              ;   in Loop: Header=BB220_353 Depth=1
	v_ffbh_u32_e32 v11, v5
	v_min_u32_e32 v11, 32, v11
	v_subrev_nc_u32_e32 v13, 28, v11
	v_sub_nc_u32_e32 v11, 29, v11
	v_lshlrev_b64 v[19:20], v13, v[5:6]
	v_and_b32_e32 v5, 7, v19
; %bb.680:                              ;   in Loop: Header=BB220_353 Depth=1
	s_or_b32 exec_lo, exec_lo, s15
	v_lshlrev_b32_sdwa v13, v45, v83 dst_sel:DWORD dst_unused:UNUSED_PAD src0_sel:DWORD src1_sel:WORD_1
	v_lshlrev_b32_e32 v5, 20, v5
	v_lshl_add_u32 v11, v11, 23, 0x3c000000
	v_and_b32_e32 v13, 0x80000000, v13
	v_or3_b32 v5, v5, v13, v11
	v_mov_b32_e32 v20, v6
	v_mov_b32_e32 v19, v5
.LBB220_681:                            ;   in Loop: Header=BB220_353 Depth=1
	s_or_b32 exec_lo, exec_lo, s14
.LBB220_682:                            ;   in Loop: Header=BB220_353 Depth=1
	s_or_b32 exec_lo, exec_lo, s13
.LBB220_683:                            ;   in Loop: Header=BB220_353 Depth=1
	s_or_b32 exec_lo, exec_lo, s9
	s_mov_b32 s9, exec_lo
	v_cmpx_lt_u32_e32 0xffffff, v83
	s_cbranch_execz .LBB220_691
; %bb.684:                              ;   in Loop: Header=BB220_353 Depth=1
	v_mov_b32_e32 v11, v6
	v_mov_b32_e32 v22, v12
	v_cmp_ne_u32_sdwa s0, v83, v40 src0_sel:BYTE_3 src1_sel:DWORD
	v_mov_b32_e32 v21, v11
	s_and_saveexec_b32 s13, s0
	s_cbranch_execz .LBB220_690
; %bb.685:                              ;   in Loop: Header=BB220_353 Depth=1
	v_mov_b32_e32 v13, v6
	v_mov_b32_e32 v22, v14
	v_bfe_u32 v84, v83, 24, 7
	s_mov_b32 s14, exec_lo
	v_mov_b32_e32 v21, v13
	v_cmpx_ne_u32_e32 0x7f, v84
	s_cbranch_execz .LBB220_689
; %bb.686:                              ;   in Loop: Header=BB220_353 Depth=1
	v_and_b32_sdwa v5, v83, v44 dst_sel:DWORD dst_unused:UNUSED_PAD src0_sel:BYTE_3 src1_sel:DWORD
	v_lshrrev_b32_e32 v11, 3, v84
	s_mov_b32 s15, exec_lo
	v_cmpx_gt_u32_e32 8, v84
; %bb.687:                              ;   in Loop: Header=BB220_353 Depth=1
	v_ffbh_u32_e32 v11, v5
	v_min_u32_e32 v11, 32, v11
	v_subrev_nc_u32_e32 v13, 28, v11
	v_sub_nc_u32_e32 v11, 29, v11
	v_lshlrev_b64 v[21:22], v13, v[5:6]
	v_and_b32_e32 v5, 7, v21
; %bb.688:                              ;   in Loop: Header=BB220_353 Depth=1
	s_or_b32 exec_lo, exec_lo, s15
	v_lshlrev_b32_sdwa v13, v45, v83 dst_sel:DWORD dst_unused:UNUSED_PAD src0_sel:DWORD src1_sel:BYTE_3
	v_lshlrev_b32_e32 v5, 20, v5
	v_lshl_add_u32 v11, v11, 23, 0x3c000000
	v_mov_b32_e32 v21, v6
	v_and_b32_e32 v13, 0x80000000, v13
	v_or3_b32 v22, v5, v13, v11
.LBB220_689:                            ;   in Loop: Header=BB220_353 Depth=1
	s_or_b32 exec_lo, exec_lo, s14
.LBB220_690:                            ;   in Loop: Header=BB220_353 Depth=1
	s_or_b32 exec_lo, exec_lo, s13
.LBB220_691:                            ;   in Loop: Header=BB220_353 Depth=1
	s_or_b32 exec_lo, exec_lo, s9
	v_or_b32_e32 v5, v18, v16
	v_or_b32_e32 v11, v17, v15
	;; [unrolled: 1-line block ×4, first 2 shown]
	v_mul_f32_e32 v13, s6, v5
	v_mul_f32_e32 v15, s3, v11
	;; [unrolled: 1-line block ×4, first 2 shown]
	s_and_saveexec_b32 s0, vcc_lo
	s_cbranch_execz .LBB220_352
; %bb.692:                              ;   in Loop: Header=BB220_353 Depth=1
	v_cmp_gt_i32_e32 vcc_lo, s27, v50
	v_cndmask_b32_e32 v15, 0, v15, vcc_lo
	v_cmp_gt_i32_e32 vcc_lo, s27, v52
	v_cndmask_b32_e32 v13, 0, v13, vcc_lo
	;; [unrolled: 2-line block ×4, first 2 shown]
	s_branch .LBB220_352
.LBB220_693:
	s_or_b32 exec_lo, exec_lo, s5
.LBB220_694:
	s_or_b32 exec_lo, exec_lo, s1
	ds_bpermute_b32 v1, v26, v35
	ds_bpermute_b32 v2, v26, v37
	;; [unrolled: 1-line block ×10, first 2 shown]
	v_and_b32_e32 v11, 28, v25
	v_mul_u32_u24_e32 v12, 0x140, v86
	v_and_b32_e32 v23, 0x3c3, v85
	s_mov_b32 s0, exec_lo
	s_waitcnt lgkmcnt(0)
	s_waitcnt_vscnt null, 0x0
	v_add_nc_u32_e32 v11, 0x160, v11
	s_barrier
	buffer_gl0_inv
	v_add_f32_e32 v1, v35, v1
	v_add_f32_e32 v2, v37, v2
	;; [unrolled: 1-line block ×10, first 2 shown]
	ds_bpermute_b32 v0, v27, v1
	ds_bpermute_b32 v14, v27, v2
	;; [unrolled: 1-line block ×10, first 2 shown]
	v_lshrrev_b32_e32 v10, 2, v25
	s_waitcnt lgkmcnt(9)
	v_add_f32_e32 v0, v1, v0
	s_waitcnt lgkmcnt(8)
	v_add_f32_e32 v1, v2, v14
	;; [unrolled: 2-line block ×10, first 2 shown]
	v_cmpx_eq_u32_e32 64, v23
	s_cbranch_execz .LBB220_696
; %bb.695:
	v_add_nc_u32_e32 v13, v11, v12
	v_add_nc_u32_e32 v14, 0xfffffd80, v13
	;; [unrolled: 1-line block ×6, first 2 shown]
	ds_write_b32 v14, v0
	ds_write_b32 v15, v1
	;; [unrolled: 1-line block ×5, first 2 shown]
	v_add_nc_u32_e32 v14, 0xfffffe20, v13
	v_add_nc_u32_e32 v15, 0xfffffe40, v13
	;; [unrolled: 1-line block ×5, first 2 shown]
	ds_write_b32 v14, v5
	ds_write_b32 v15, v6
	;; [unrolled: 1-line block ×5, first 2 shown]
.LBB220_696:
	s_or_b32 exec_lo, exec_lo, s0
	v_lshlrev_b32_e32 v10, 2, v10
	s_mov_b32 s1, exec_lo
	v_cmp_eq_u32_e32 vcc_lo, 0, v28
	s_waitcnt lgkmcnt(0)
	s_barrier
	v_add3_u32 v10, 0x160, v12, v10
	buffer_gl0_inv
	v_cmpx_gt_u32_e32 64, v85
	s_cbranch_execz .LBB220_709
; %bb.697:
	s_and_saveexec_b32 s0, vcc_lo
	s_cbranch_execnz .LBB220_727
; %bb.698:
	s_or_b32 exec_lo, exec_lo, s0
	s_and_saveexec_b32 s0, vcc_lo
	s_cbranch_execnz .LBB220_728
.LBB220_699:
	s_or_b32 exec_lo, exec_lo, s0
	s_and_saveexec_b32 s0, vcc_lo
	s_cbranch_execnz .LBB220_729
.LBB220_700:
	s_or_b32 exec_lo, exec_lo, s0
	s_and_saveexec_b32 s0, vcc_lo
	s_cbranch_execnz .LBB220_730
.LBB220_701:
	s_or_b32 exec_lo, exec_lo, s0
	s_and_saveexec_b32 s0, vcc_lo
	s_cbranch_execnz .LBB220_731
.LBB220_702:
	s_or_b32 exec_lo, exec_lo, s0
	s_and_saveexec_b32 s0, vcc_lo
	s_cbranch_execnz .LBB220_732
.LBB220_703:
	s_or_b32 exec_lo, exec_lo, s0
	s_and_saveexec_b32 s0, vcc_lo
	s_cbranch_execnz .LBB220_733
.LBB220_704:
	s_or_b32 exec_lo, exec_lo, s0
	s_and_saveexec_b32 s0, vcc_lo
	s_cbranch_execnz .LBB220_734
.LBB220_705:
	s_or_b32 exec_lo, exec_lo, s0
	s_and_saveexec_b32 s0, vcc_lo
	s_cbranch_execnz .LBB220_735
.LBB220_706:
	s_or_b32 exec_lo, exec_lo, s0
	s_and_saveexec_b32 s0, vcc_lo
	s_cbranch_execz .LBB220_708
.LBB220_707:
	ds_read_b32 v12, v10 offset:288
	s_waitcnt lgkmcnt(0)
	v_add_f32_e32 v9, v9, v12
.LBB220_708:
	s_or_b32 exec_lo, exec_lo, s0
.LBB220_709:
	s_or_b32 exec_lo, exec_lo, s1
	v_and_b32_e32 v12, 0x3e3, v85
	s_mov_b32 s1, exec_lo
	s_barrier
	buffer_gl0_inv
	v_cmpx_eq_u32_e32 32, v12
	s_cbranch_execz .LBB220_711
; %bb.710:
	ds_write2_b32 v11, v0, v1 offset1:8
	ds_write2_b32 v11, v2, v3 offset0:16 offset1:24
	ds_write2_b32 v11, v4, v5 offset0:32 offset1:40
	;; [unrolled: 1-line block ×4, first 2 shown]
.LBB220_711:
	s_or_b32 exec_lo, exec_lo, s1
	s_mov_b32 s1, exec_lo
	s_waitcnt lgkmcnt(0)
	s_barrier
	buffer_gl0_inv
	v_cmpx_gt_u32_e32 32, v85
	s_cbranch_execz .LBB220_724
; %bb.712:
	s_and_saveexec_b32 s0, vcc_lo
	s_cbranch_execnz .LBB220_736
; %bb.713:
	s_or_b32 exec_lo, exec_lo, s0
	s_and_saveexec_b32 s0, vcc_lo
	s_cbranch_execnz .LBB220_737
.LBB220_714:
	s_or_b32 exec_lo, exec_lo, s0
	s_and_saveexec_b32 s0, vcc_lo
	s_cbranch_execnz .LBB220_738
.LBB220_715:
	s_or_b32 exec_lo, exec_lo, s0
	s_and_saveexec_b32 s0, vcc_lo
	s_cbranch_execnz .LBB220_739
.LBB220_716:
	s_or_b32 exec_lo, exec_lo, s0
	s_and_saveexec_b32 s0, vcc_lo
	s_cbranch_execnz .LBB220_740
.LBB220_717:
	s_or_b32 exec_lo, exec_lo, s0
	s_and_saveexec_b32 s0, vcc_lo
	s_cbranch_execnz .LBB220_741
.LBB220_718:
	s_or_b32 exec_lo, exec_lo, s0
	s_and_saveexec_b32 s0, vcc_lo
	s_cbranch_execnz .LBB220_742
.LBB220_719:
	s_or_b32 exec_lo, exec_lo, s0
	s_and_saveexec_b32 s0, vcc_lo
	s_cbranch_execnz .LBB220_743
.LBB220_720:
	s_or_b32 exec_lo, exec_lo, s0
	s_and_saveexec_b32 s0, vcc_lo
	s_cbranch_execnz .LBB220_744
.LBB220_721:
	s_or_b32 exec_lo, exec_lo, s0
	s_and_saveexec_b32 s0, vcc_lo
	s_cbranch_execz .LBB220_723
.LBB220_722:
	ds_read_b32 v10, v10 offset:288
	s_waitcnt lgkmcnt(0)
	v_add_f32_e32 v9, v9, v10
.LBB220_723:
	s_or_b32 exec_lo, exec_lo, s0
.LBB220_724:
	s_or_b32 exec_lo, exec_lo, s1
	s_barrier
	buffer_gl0_inv
	s_mov_b32 s0, exec_lo
	v_cmpx_eq_u32_e32 0, v12
	s_cbranch_execz .LBB220_726
; %bb.725:
	s_mul_i32 s0, s2, 0x50
	s_mul_i32 s2, s7, s10
	s_ashr_i32 s1, s0, 31
	s_lshl_b64 s[0:1], s[0:1], 2
	s_add_u32 s4, s24, s0
	s_addc_u32 s5, s25, s1
	s_ashr_i32 s3, s2, 31
	s_lshl_b64 s[0:1], s[2:3], 2
	s_mul_i32 s2, s8, 0x50
	s_add_u32 s4, s4, s0
	s_addc_u32 s5, s5, s1
	s_ashr_i32 s3, s2, 31
	s_lshl_b64 s[0:1], s[2:3], 2
	s_add_u32 s0, s4, s0
	s_addc_u32 s1, s5, s1
	global_store_dword v85, v0, s[0:1]
	global_store_dword v85, v1, s[0:1] offset:32
	global_store_dword v85, v2, s[0:1] offset:64
	;; [unrolled: 1-line block ×9, first 2 shown]
.LBB220_726:
	s_endpgm
.LBB220_727:
	ds_read_b32 v12, v10
	s_waitcnt lgkmcnt(0)
	v_add_f32_e32 v0, v0, v12
	s_or_b32 exec_lo, exec_lo, s0
	s_and_saveexec_b32 s0, vcc_lo
	s_cbranch_execz .LBB220_699
.LBB220_728:
	ds_read_b32 v12, v10 offset:32
	s_waitcnt lgkmcnt(0)
	v_add_f32_e32 v1, v1, v12
	s_or_b32 exec_lo, exec_lo, s0
	s_and_saveexec_b32 s0, vcc_lo
	s_cbranch_execz .LBB220_700
.LBB220_729:
	ds_read_b32 v12, v10 offset:64
	s_waitcnt lgkmcnt(0)
	v_add_f32_e32 v2, v2, v12
	s_or_b32 exec_lo, exec_lo, s0
	s_and_saveexec_b32 s0, vcc_lo
	s_cbranch_execz .LBB220_701
.LBB220_730:
	ds_read_b32 v12, v10 offset:96
	s_waitcnt lgkmcnt(0)
	v_add_f32_e32 v3, v3, v12
	s_or_b32 exec_lo, exec_lo, s0
	s_and_saveexec_b32 s0, vcc_lo
	s_cbranch_execz .LBB220_702
.LBB220_731:
	ds_read_b32 v12, v10 offset:128
	s_waitcnt lgkmcnt(0)
	v_add_f32_e32 v4, v4, v12
	s_or_b32 exec_lo, exec_lo, s0
	s_and_saveexec_b32 s0, vcc_lo
	s_cbranch_execz .LBB220_703
.LBB220_732:
	ds_read_b32 v12, v10 offset:160
	s_waitcnt lgkmcnt(0)
	v_add_f32_e32 v5, v5, v12
	s_or_b32 exec_lo, exec_lo, s0
	s_and_saveexec_b32 s0, vcc_lo
	s_cbranch_execz .LBB220_704
.LBB220_733:
	ds_read_b32 v12, v10 offset:192
	s_waitcnt lgkmcnt(0)
	v_add_f32_e32 v6, v6, v12
	s_or_b32 exec_lo, exec_lo, s0
	s_and_saveexec_b32 s0, vcc_lo
	s_cbranch_execz .LBB220_705
.LBB220_734:
	ds_read_b32 v12, v10 offset:224
	s_waitcnt lgkmcnt(0)
	v_add_f32_e32 v7, v7, v12
	s_or_b32 exec_lo, exec_lo, s0
	s_and_saveexec_b32 s0, vcc_lo
	s_cbranch_execz .LBB220_706
.LBB220_735:
	ds_read_b32 v12, v10 offset:256
	s_waitcnt lgkmcnt(0)
	v_add_f32_e32 v8, v8, v12
	s_or_b32 exec_lo, exec_lo, s0
	s_and_saveexec_b32 s0, vcc_lo
	s_cbranch_execnz .LBB220_707
	s_branch .LBB220_708
.LBB220_736:
	ds_read_b32 v11, v10
	s_waitcnt lgkmcnt(0)
	v_add_f32_e32 v0, v0, v11
	s_or_b32 exec_lo, exec_lo, s0
	s_and_saveexec_b32 s0, vcc_lo
	s_cbranch_execz .LBB220_714
.LBB220_737:
	ds_read_b32 v11, v10 offset:32
	s_waitcnt lgkmcnt(0)
	v_add_f32_e32 v1, v1, v11
	s_or_b32 exec_lo, exec_lo, s0
	s_and_saveexec_b32 s0, vcc_lo
	s_cbranch_execz .LBB220_715
.LBB220_738:
	ds_read_b32 v11, v10 offset:64
	s_waitcnt lgkmcnt(0)
	v_add_f32_e32 v2, v2, v11
	s_or_b32 exec_lo, exec_lo, s0
	s_and_saveexec_b32 s0, vcc_lo
	s_cbranch_execz .LBB220_716
.LBB220_739:
	ds_read_b32 v11, v10 offset:96
	s_waitcnt lgkmcnt(0)
	v_add_f32_e32 v3, v3, v11
	s_or_b32 exec_lo, exec_lo, s0
	s_and_saveexec_b32 s0, vcc_lo
	s_cbranch_execz .LBB220_717
.LBB220_740:
	ds_read_b32 v11, v10 offset:128
	s_waitcnt lgkmcnt(0)
	v_add_f32_e32 v4, v4, v11
	s_or_b32 exec_lo, exec_lo, s0
	s_and_saveexec_b32 s0, vcc_lo
	s_cbranch_execz .LBB220_718
.LBB220_741:
	ds_read_b32 v11, v10 offset:160
	s_waitcnt lgkmcnt(0)
	v_add_f32_e32 v5, v5, v11
	s_or_b32 exec_lo, exec_lo, s0
	s_and_saveexec_b32 s0, vcc_lo
	s_cbranch_execz .LBB220_719
.LBB220_742:
	ds_read_b32 v11, v10 offset:192
	s_waitcnt lgkmcnt(0)
	v_add_f32_e32 v6, v6, v11
	s_or_b32 exec_lo, exec_lo, s0
	s_and_saveexec_b32 s0, vcc_lo
	s_cbranch_execz .LBB220_720
.LBB220_743:
	ds_read_b32 v11, v10 offset:224
	s_waitcnt lgkmcnt(0)
	v_add_f32_e32 v7, v7, v11
	s_or_b32 exec_lo, exec_lo, s0
	s_and_saveexec_b32 s0, vcc_lo
	s_cbranch_execz .LBB220_721
.LBB220_744:
	ds_read_b32 v11, v10 offset:256
	s_waitcnt lgkmcnt(0)
	v_add_f32_e32 v8, v8, v11
	s_or_b32 exec_lo, exec_lo, s0
	s_and_saveexec_b32 s0, vcc_lo
	s_cbranch_execnz .LBB220_722
	s_branch .LBB220_723
	.section	.rodata,"a",@progbits
	.p2align	6, 0x0
	.amdhsa_kernel _ZN4vllm25paged_attention_v2_kernelIfhLi80ELi16ELi128ELNS_18Fp8KVCacheDataTypeE1ELb0ELi512EEEvPfS2_PT_PKS3_PKT0_S9_ifPKiSB_iPKfiiiSD_SD_iiiii
		.amdhsa_group_segment_fixed_size 352
		.amdhsa_private_segment_fixed_size 68
		.amdhsa_kernarg_size 400
		.amdhsa_user_sgpr_count 6
		.amdhsa_user_sgpr_private_segment_buffer 1
		.amdhsa_user_sgpr_dispatch_ptr 0
		.amdhsa_user_sgpr_queue_ptr 0
		.amdhsa_user_sgpr_kernarg_segment_ptr 1
		.amdhsa_user_sgpr_dispatch_id 0
		.amdhsa_user_sgpr_flat_scratch_init 0
		.amdhsa_user_sgpr_private_segment_size 0
		.amdhsa_wavefront_size32 1
		.amdhsa_uses_dynamic_stack 0
		.amdhsa_system_sgpr_private_segment_wavefront_offset 1
		.amdhsa_system_sgpr_workgroup_id_x 1
		.amdhsa_system_sgpr_workgroup_id_y 1
		.amdhsa_system_sgpr_workgroup_id_z 1
		.amdhsa_system_sgpr_workgroup_info 0
		.amdhsa_system_vgpr_workitem_id 0
		.amdhsa_next_free_vgpr 128
		.amdhsa_next_free_sgpr 48
		.amdhsa_reserve_vcc 1
		.amdhsa_reserve_flat_scratch 0
		.amdhsa_float_round_mode_32 0
		.amdhsa_float_round_mode_16_64 0
		.amdhsa_float_denorm_mode_32 3
		.amdhsa_float_denorm_mode_16_64 3
		.amdhsa_dx10_clamp 1
		.amdhsa_ieee_mode 1
		.amdhsa_fp16_overflow 0
		.amdhsa_workgroup_processor_mode 1
		.amdhsa_memory_ordered 1
		.amdhsa_forward_progress 1
		.amdhsa_shared_vgpr_count 0
		.amdhsa_exception_fp_ieee_invalid_op 0
		.amdhsa_exception_fp_denorm_src 0
		.amdhsa_exception_fp_ieee_div_zero 0
		.amdhsa_exception_fp_ieee_overflow 0
		.amdhsa_exception_fp_ieee_underflow 0
		.amdhsa_exception_fp_ieee_inexact 0
		.amdhsa_exception_int_div_zero 0
	.end_amdhsa_kernel
	.section	.text._ZN4vllm25paged_attention_v2_kernelIfhLi80ELi16ELi128ELNS_18Fp8KVCacheDataTypeE1ELb0ELi512EEEvPfS2_PT_PKS3_PKT0_S9_ifPKiSB_iPKfiiiSD_SD_iiiii,"axG",@progbits,_ZN4vllm25paged_attention_v2_kernelIfhLi80ELi16ELi128ELNS_18Fp8KVCacheDataTypeE1ELb0ELi512EEEvPfS2_PT_PKS3_PKT0_S9_ifPKiSB_iPKfiiiSD_SD_iiiii,comdat
.Lfunc_end220:
	.size	_ZN4vllm25paged_attention_v2_kernelIfhLi80ELi16ELi128ELNS_18Fp8KVCacheDataTypeE1ELb0ELi512EEEvPfS2_PT_PKS3_PKT0_S9_ifPKiSB_iPKfiiiSD_SD_iiiii, .Lfunc_end220-_ZN4vllm25paged_attention_v2_kernelIfhLi80ELi16ELi128ELNS_18Fp8KVCacheDataTypeE1ELb0ELi512EEEvPfS2_PT_PKS3_PKT0_S9_ifPKiSB_iPKfiiiSD_SD_iiiii
                                        ; -- End function
	.set _ZN4vllm25paged_attention_v2_kernelIfhLi80ELi16ELi128ELNS_18Fp8KVCacheDataTypeE1ELb0ELi512EEEvPfS2_PT_PKS3_PKT0_S9_ifPKiSB_iPKfiiiSD_SD_iiiii.num_vgpr, 128
	.set _ZN4vllm25paged_attention_v2_kernelIfhLi80ELi16ELi128ELNS_18Fp8KVCacheDataTypeE1ELb0ELi512EEEvPfS2_PT_PKS3_PKT0_S9_ifPKiSB_iPKfiiiSD_SD_iiiii.num_agpr, 0
	.set _ZN4vllm25paged_attention_v2_kernelIfhLi80ELi16ELi128ELNS_18Fp8KVCacheDataTypeE1ELb0ELi512EEEvPfS2_PT_PKS3_PKT0_S9_ifPKiSB_iPKfiiiSD_SD_iiiii.numbered_sgpr, 48
	.set _ZN4vllm25paged_attention_v2_kernelIfhLi80ELi16ELi128ELNS_18Fp8KVCacheDataTypeE1ELb0ELi512EEEvPfS2_PT_PKS3_PKT0_S9_ifPKiSB_iPKfiiiSD_SD_iiiii.num_named_barrier, 0
	.set _ZN4vllm25paged_attention_v2_kernelIfhLi80ELi16ELi128ELNS_18Fp8KVCacheDataTypeE1ELb0ELi512EEEvPfS2_PT_PKS3_PKT0_S9_ifPKiSB_iPKfiiiSD_SD_iiiii.private_seg_size, 68
	.set _ZN4vllm25paged_attention_v2_kernelIfhLi80ELi16ELi128ELNS_18Fp8KVCacheDataTypeE1ELb0ELi512EEEvPfS2_PT_PKS3_PKT0_S9_ifPKiSB_iPKfiiiSD_SD_iiiii.uses_vcc, 1
	.set _ZN4vllm25paged_attention_v2_kernelIfhLi80ELi16ELi128ELNS_18Fp8KVCacheDataTypeE1ELb0ELi512EEEvPfS2_PT_PKS3_PKT0_S9_ifPKiSB_iPKfiiiSD_SD_iiiii.uses_flat_scratch, 0
	.set _ZN4vllm25paged_attention_v2_kernelIfhLi80ELi16ELi128ELNS_18Fp8KVCacheDataTypeE1ELb0ELi512EEEvPfS2_PT_PKS3_PKT0_S9_ifPKiSB_iPKfiiiSD_SD_iiiii.has_dyn_sized_stack, 0
	.set _ZN4vllm25paged_attention_v2_kernelIfhLi80ELi16ELi128ELNS_18Fp8KVCacheDataTypeE1ELb0ELi512EEEvPfS2_PT_PKS3_PKT0_S9_ifPKiSB_iPKfiiiSD_SD_iiiii.has_recursion, 0
	.set _ZN4vllm25paged_attention_v2_kernelIfhLi80ELi16ELi128ELNS_18Fp8KVCacheDataTypeE1ELb0ELi512EEEvPfS2_PT_PKS3_PKT0_S9_ifPKiSB_iPKfiiiSD_SD_iiiii.has_indirect_call, 0
	.section	.AMDGPU.csdata,"",@progbits
; Kernel info:
; codeLenInByte = 22316
; TotalNumSgprs: 50
; NumVgprs: 128
; ScratchSize: 68
; MemoryBound: 0
; FloatMode: 240
; IeeeMode: 1
; LDSByteSize: 352 bytes/workgroup (compile time only)
; SGPRBlocks: 0
; VGPRBlocks: 15
; NumSGPRsForWavesPerEU: 50
; NumVGPRsForWavesPerEU: 128
; Occupancy: 8
; WaveLimiterHint : 1
; COMPUTE_PGM_RSRC2:SCRATCH_EN: 1
; COMPUTE_PGM_RSRC2:USER_SGPR: 6
; COMPUTE_PGM_RSRC2:TRAP_HANDLER: 0
; COMPUTE_PGM_RSRC2:TGID_X_EN: 1
; COMPUTE_PGM_RSRC2:TGID_Y_EN: 1
; COMPUTE_PGM_RSRC2:TGID_Z_EN: 1
; COMPUTE_PGM_RSRC2:TIDIG_COMP_CNT: 0
	.section	.text._ZN4vllm25paged_attention_v2_kernelIfhLi96ELi16ELi128ELNS_18Fp8KVCacheDataTypeE1ELb0ELi512EEEvPfS2_PT_PKS3_PKT0_S9_ifPKiSB_iPKfiiiSD_SD_iiiii,"axG",@progbits,_ZN4vllm25paged_attention_v2_kernelIfhLi96ELi16ELi128ELNS_18Fp8KVCacheDataTypeE1ELb0ELi512EEEvPfS2_PT_PKS3_PKT0_S9_ifPKiSB_iPKfiiiSD_SD_iiiii,comdat
	.protected	_ZN4vllm25paged_attention_v2_kernelIfhLi96ELi16ELi128ELNS_18Fp8KVCacheDataTypeE1ELb0ELi512EEEvPfS2_PT_PKS3_PKT0_S9_ifPKiSB_iPKfiiiSD_SD_iiiii ; -- Begin function _ZN4vllm25paged_attention_v2_kernelIfhLi96ELi16ELi128ELNS_18Fp8KVCacheDataTypeE1ELb0ELi512EEEvPfS2_PT_PKS3_PKT0_S9_ifPKiSB_iPKfiiiSD_SD_iiiii
	.globl	_ZN4vllm25paged_attention_v2_kernelIfhLi96ELi16ELi128ELNS_18Fp8KVCacheDataTypeE1ELb0ELi512EEEvPfS2_PT_PKS3_PKT0_S9_ifPKiSB_iPKfiiiSD_SD_iiiii
	.p2align	8
	.type	_ZN4vllm25paged_attention_v2_kernelIfhLi96ELi16ELi128ELNS_18Fp8KVCacheDataTypeE1ELb0ELi512EEEvPfS2_PT_PKS3_PKT0_S9_ifPKiSB_iPKfiiiSD_SD_iiiii,@function
_ZN4vllm25paged_attention_v2_kernelIfhLi96ELi16ELi128ELNS_18Fp8KVCacheDataTypeE1ELb0ELi512EEEvPfS2_PT_PKS3_PKT0_S9_ifPKiSB_iPKfiiiSD_SD_iiiii: ; @_ZN4vllm25paged_attention_v2_kernelIfhLi96ELi16ELi128ELNS_18Fp8KVCacheDataTypeE1ELb0ELi512EEEvPfS2_PT_PKS3_PKT0_S9_ifPKiSB_iPKfiiiSD_SD_iiiii
; %bb.0:
	s_mov_b64 s[46:47], s[2:3]
	s_mov_b64 s[44:45], s[0:1]
	s_load_dwordx2 s[0:1], s[4:5], 0x40
	s_add_u32 s44, s44, s9
	s_addc_u32 s45, s45, 0
	s_mov_b32 s26, s7
	s_ashr_i32 s27, s7, 31
	s_lshl_b64 s[2:3], s[26:27], 2
	s_waitcnt lgkmcnt(0)
	s_add_u32 s0, s0, s2
	s_addc_u32 s1, s1, s3
	s_lshl_b32 s33, s8, 9
	s_load_dword s27, s[0:1], 0x0
	s_waitcnt lgkmcnt(0)
	s_cmp_ge_i32 s33, s27
	s_cbranch_scc1 .LBB221_862
; %bb.1:
	s_clause 0x1
	s_load_dword s9, s[4:5], 0x90
	s_load_dwordx2 s[36:37], s[4:5], 0x30
	v_mov_b32_e32 v95, v0
	s_waitcnt lgkmcnt(0)
	s_abs_i32 s3, s9
	s_abs_i32 s0, s36
	v_cvt_f32_u32_e32 v0, s0
	s_sub_i32 s2, 0, s0
	v_rcp_iflag_f32_e32 v0, v0
	v_mul_f32_e32 v0, 0x4f7ffffe, v0
	v_cvt_u32_f32_e32 v0, v0
	v_readfirstlane_b32 s1, v0
	s_mul_i32 s2, s2, s1
	s_mul_hi_u32 s2, s1, s2
	s_add_i32 s1, s1, s2
	s_xor_b32 s2, s9, s36
	s_mul_hi_u32 s1, s3, s1
	s_ashr_i32 s2, s2, 31
	s_mul_i32 s7, s1, s0
	s_mov_b32 s36, 0
	s_sub_i32 s3, s3, s7
	s_add_i32 s7, s1, 1
	s_sub_i32 s10, s3, s0
	s_cmp_ge_u32 s3, s0
	s_cselect_b32 s1, s7, s1
	s_cselect_b32 s3, s10, s3
	s_add_i32 s7, s1, 1
	s_cmp_ge_u32 s3, s0
	s_cselect_b32 s0, s7, s1
	s_abs_i32 s16, s6
	s_xor_b32 s0, s0, s2
	s_sub_i32 s10, s0, s2
	s_load_dwordx2 s[0:1], s[4:5], 0x50
	s_abs_i32 s2, s10
	v_cvt_f32_u32_e32 v0, s2
	s_sub_i32 s7, 0, s2
	v_rcp_iflag_f32_e32 v0, v0
	v_mul_f32_e32 v0, 0x4f7ffffe, v0
	v_cvt_u32_f32_e32 v0, v0
	v_readfirstlane_b32 s3, v0
	s_mul_i32 s7, s7, s3
	s_mul_hi_u32 s7, s3, s7
	s_add_i32 s3, s3, s7
	s_waitcnt lgkmcnt(0)
	s_cmp_eq_u64 s[0:1], 0
	s_mul_hi_u32 s3, s16, s3
	s_cbranch_scc1 .LBB221_3
; %bb.2:
	s_ashr_i32 s7, s6, 31
	s_lshl_b64 s[12:13], s[6:7], 2
	s_add_u32 s0, s0, s12
	s_addc_u32 s1, s1, s13
	s_load_dword s36, s[0:1], 0x0
.LBB221_3:
	s_load_dwordx4 s[12:15], s[4:5], 0x58
	v_and_b32_e32 v0, 1, v95
	v_lshlrev_b32_e32 v11, 2, v95
	s_ashr_i32 s0, s6, 31
	s_ashr_i32 s1, s10, 31
	s_mul_i32 s10, s6, 0x60
	s_mov_b32 s7, exec_lo
	v_cmpx_gt_u32_e32 48, v95
	s_cbranch_execz .LBB221_5
; %bb.4:
	s_load_dwordx2 s[18:19], s[4:5], 0x18
	s_waitcnt lgkmcnt(0)
	s_mul_i32 s20, s12, s26
	v_lshlrev_b32_e32 v1, 3, v95
	s_ashr_i32 s21, s20, 31
	v_and_b32_e32 v3, 0xff8, v11
	s_lshl_b64 s[20:21], s[20:21], 2
	v_mad_u32_u24 v3, 0xc0, v0, v3
	s_add_u32 s12, s18, s20
	s_addc_u32 s15, s19, s21
	s_ashr_i32 s11, s10, 31
	s_lshl_b64 s[18:19], s[10:11], 2
	s_add_u32 s18, s12, s18
	s_addc_u32 s19, s15, s19
	global_load_dwordx2 v[1:2], v1, s[18:19]
	s_waitcnt vmcnt(0)
	ds_write_b64 v3, v[1:2]
.LBB221_5:
	s_or_b32 exec_lo, exec_lo, s7
	s_add_i32 s7, s27, 15
	s_clause 0x1
	s_load_dwordx2 s[28:29], s[4:5], 0x38
	s_load_dword s17, s[4:5], 0x48
	s_ashr_i32 s11, s7, 31
	s_waitcnt lgkmcnt(0)
	s_lshl_b32 s15, s8, 5
	s_lshr_b32 s11, s11, 28
	s_xor_b32 s0, s0, s1
	s_add_i32 s7, s7, s11
	s_add_i32 s1, s15, 32
	s_ashr_i32 s12, s7, 4
	s_mul_i32 s7, s3, s2
	s_min_i32 s11, s1, s12
	s_sub_i32 s1, s16, s7
	s_add_i32 s7, s3, 1
	s_sub_i32 s16, s1, s2
	s_cmp_ge_u32 s1, s2
	v_lshrrev_b32_e32 v96, 5, v95
	s_cselect_b32 s3, s7, s3
	s_cselect_b32 s1, s16, s1
	s_add_i32 s7, s3, 1
	s_cmp_ge_u32 s1, s2
	v_or_b32_e32 v49, s15, v96
	s_cselect_b32 s1, s7, s3
	v_mbcnt_lo_u32_b32 v12, -1, 0
	s_xor_b32 s1, s1, s0
	s_mul_i32 s30, s17, s26
	s_sub_i32 s1, s1, s0
	v_cmp_gt_i32_e64 s0, s11, v49
	s_ashr_i32 s31, s30, 31
	s_mov_b32 s2, exec_lo
	s_barrier
	buffer_gl0_inv
                                        ; implicit-def: $vgpr52
                                        ; implicit-def: $vgpr8
	v_cmpx_le_i32_e64 s11, v49
	s_xor_b32 s2, exec_lo, s2
; %bb.6:
	v_mov_b32_e32 v52, 0
	v_mbcnt_lo_u32_b32 v12, -1, 0
	v_mov_b32_e32 v8, 32
                                        ; implicit-def: $vgpr0
; %bb.7:
	s_or_saveexec_b32 s38, s2
	s_clause 0x4
	s_load_dwordx4 s[20:23], s[4:5], 0x0
	s_load_dwordx2 s[24:25], s[4:5], 0x10
	s_load_dword s7, s[4:5], 0x98
	s_load_dwordx2 s[34:35], s[4:5], 0x28
	s_load_dwordx4 s[16:19], s[4:5], 0x68
	v_mov_b32_e32 v3, 0xff7fffff
	v_ashrrev_i32_e32 v50, 31, v49
	s_mul_i32 s14, s1, s14
	s_xor_b32 exec_lo, exec_lo, s38
	s_cbranch_execz .LBB221_397
; %bb.8:
	v_mul_u32_u24_e32 v2, 0xc0, v0
	buffer_store_dword v11, off, s[44:47], 0 offset:152 ; 4-byte Folded Spill
	s_load_dwordx2 s[2:3], s[4:5], 0x20
	buffer_store_dword v95, off, s[44:47], 0 offset:144 ; 4-byte Folded Spill
	s_waitcnt lgkmcnt(0)
	s_load_dword s4, s[16:17], 0x0
	ds_read_b128 v[6:9], v2
	v_bfe_u32 v1, v95, 1, 4
	v_xor_b32_e32 v4, 1, v12
	s_ashr_i32 s1, s14, 31
	v_lshlrev_b32_e32 v3, 1, v0
	v_mov_b32_e32 v52, 0
	v_lshlrev_b32_e32 v5, 4, v1
	v_cmp_gt_i32_e32 vcc_lo, 32, v4
	v_mov_b32_e32 v29, 0x80
	v_bfrev_b32_e32 v58, 1
	v_mov_b32_e32 v30, 0xffff
	v_mov_b32_e32 v18, 0x7f800001
	v_cndmask_b32_e32 v4, v12, v4, vcc_lo
	v_cmp_eq_u32_e32 vcc_lo, 0, v0
	v_lshlrev_b32_e32 v0, 4, v96
	v_mov_b32_e32 v31, v49
	s_mov_b32 s17, s13
	s_add_u32 s2, s2, s14
	s_addc_u32 s1, s3, s1
	v_add_co_u32 v5, s2, s2, v5
	s_waitcnt lgkmcnt(0)
	buffer_store_dword v6, off, s[44:47], 0 offset:4 ; 4-byte Folded Spill
	buffer_store_dword v7, off, s[44:47], 0 offset:8 ; 4-byte Folded Spill
	;; [unrolled: 1-line block ×4, first 2 shown]
	ds_read_b128 v[6:9], v2 offset:16
	v_lshlrev_b32_e32 v4, 2, v4
	v_add3_u32 v127, s33, v0, v1
	s_sub_i32 s5, 1, s27
	s_mov_b32 s16, 0
	s_mov_b32 s39, s4
	s_waitcnt lgkmcnt(0)
	buffer_store_dword v6, off, s[44:47], 0 offset:20 ; 4-byte Folded Spill
	buffer_store_dword v7, off, s[44:47], 0 offset:24 ; 4-byte Folded Spill
	buffer_store_dword v8, off, s[44:47], 0 offset:28 ; 4-byte Folded Spill
	buffer_store_dword v9, off, s[44:47], 0 offset:32 ; 4-byte Folded Spill
	ds_read_b128 v[6:9], v2 offset:32
	s_waitcnt lgkmcnt(0)
	buffer_store_dword v6, off, s[44:47], 0 offset:36 ; 4-byte Folded Spill
	buffer_store_dword v7, off, s[44:47], 0 offset:40 ; 4-byte Folded Spill
	buffer_store_dword v8, off, s[44:47], 0 offset:44 ; 4-byte Folded Spill
	buffer_store_dword v9, off, s[44:47], 0 offset:48 ; 4-byte Folded Spill
	ds_read_b128 v[6:9], v2 offset:48
	;; [unrolled: 6-line block ×5, first 2 shown]
	buffer_store_dword v12, off, s[44:47], 0 offset:156 ; 4-byte Folded Spill
	v_add_co_ci_u32_e64 v6, null, s1, 0, s2
	v_add_co_u32 v5, s2, v5, v3
	v_cmp_neq_f32_e64 s1, s36, 0
	v_add_co_ci_u32_e64 v6, null, 0, v6, s2
	s_lshl_b64 s[2:3], s[30:31], 2
	s_waitcnt lgkmcnt(0)
	buffer_store_dword v7, off, s[44:47], 0 offset:100 ; 4-byte Folded Spill
	buffer_store_dword v8, off, s[44:47], 0 offset:104 ; 4-byte Folded Spill
	;; [unrolled: 1-line block ×4, first 2 shown]
	ds_read_b128 v[7:10], v2 offset:112
	s_add_u32 s2, s28, s2
	s_addc_u32 s3, s29, s3
	s_waitcnt lgkmcnt(0)
	buffer_store_dword v7, off, s[44:47], 0 offset:116 ; 4-byte Folded Spill
	buffer_store_dword v8, off, s[44:47], 0 offset:120 ; 4-byte Folded Spill
	;; [unrolled: 1-line block ×8, first 2 shown]
	ds_read_b128 v[33:36], v2 offset:128
	ds_read_b128 v[37:40], v2 offset:144
	;; [unrolled: 1-line block ×4, first 2 shown]
	v_lshlrev_b32_e32 v4, 2, v1
	v_lshlrev_b64 v[1:2], 2, v[49:50]
	v_lshl_or_b32 v3, v96, 6, v4
	v_add_co_u32 v55, s2, s2, v1
	v_add_co_ci_u32_e64 v56, null, s3, v2, s2
	v_add_nc_u32_e32 v0, 0x1a0, v3
	v_mov_b32_e32 v1, 0xff7fffff
	buffer_store_dword v1, off, s[44:47], 0 ; 4-byte Folded Spill
	s_branch .LBB221_10
.LBB221_9:                              ;   in Loop: Header=BB221_10 Depth=1
	s_or_b32 exec_lo, exec_lo, s3
	v_add_nc_u32_e32 v31, 4, v31
	v_add_co_u32 v55, s3, v55, 16
	v_add_nc_u32_e32 v127, 64, v127
	v_add_nc_u32_e32 v0, 0x100, v0
	v_cmp_le_i32_e64 s2, s11, v31
	v_add_co_ci_u32_e64 v56, null, 0, v56, s3
	s_or_b32 s16, s2, s16
	s_andn2_b32 exec_lo, exec_lo, s16
	s_cbranch_execz .LBB221_396
.LBB221_10:                             ; =>This Inner Loop Header: Depth=1
	global_load_dword v1, v[55:56], off
	s_waitcnt lgkmcnt(0)
	s_clause 0x1
	buffer_load_dword v2, off, s[44:47], 0 offset:136
	buffer_load_dword v3, off, s[44:47], 0 offset:140
	v_mov_b32_e32 v21, 0
	v_mov_b32_e32 v61, 0
	;; [unrolled: 1-line block ×4, first 2 shown]
	s_waitcnt vmcnt(0)
	v_mad_i64_i32 v[69:70], null, v1, s17, v[2:3]
	global_load_ushort v2, v[69:70], off
	s_waitcnt vmcnt(0)
	v_and_b32_e32 v1, 0xffff, v2
	v_cmp_ne_u16_sdwa s2, v2, v52 src0_sel:BYTE_0 src1_sel:DWORD
	s_and_saveexec_b32 s3, s2
	s_cbranch_execz .LBB221_18
; %bb.11:                               ;   in Loop: Header=BB221_10 Depth=1
	v_bfrev_b32_e32 v61, 1
	v_mov_b32_e32 v62, 0
	v_cmp_ne_u16_sdwa s2, v1, v29 src0_sel:BYTE_0 src1_sel:DWORD
	s_and_saveexec_b32 s40, s2
	s_cbranch_execz .LBB221_17
; %bb.12:                               ;   in Loop: Header=BB221_10 Depth=1
	v_mov_b32_e32 v61, 0x7f800001
	v_and_b32_e32 v3, 0x7f, v1
	v_mov_b32_e32 v62, 0
	s_mov_b32 s41, exec_lo
	v_cmpx_ne_u32_e32 0x7f, v3
	s_cbranch_execz .LBB221_16
; %bb.13:                               ;   in Loop: Header=BB221_10 Depth=1
	v_and_b32_e32 v51, 7, v1
	v_lshrrev_b32_e32 v2, 3, v3
	s_mov_b32 s42, exec_lo
	v_cmpx_gt_u32_e32 8, v3
; %bb.14:                               ;   in Loop: Header=BB221_10 Depth=1
	v_ffbh_u32_e32 v2, v51
	v_min_u32_e32 v2, 32, v2
	v_subrev_nc_u32_e32 v3, 28, v2
	v_sub_nc_u32_e32 v2, 29, v2
	v_lshlrev_b64 v[3:4], v3, v[51:52]
	v_and_b32_e32 v51, 7, v3
; %bb.15:                               ;   in Loop: Header=BB221_10 Depth=1
	s_or_b32 exec_lo, exec_lo, s42
	v_lshlrev_b32_e32 v3, 24, v1
	v_lshlrev_b32_e32 v4, 20, v51
	v_lshl_add_u32 v2, v2, 23, 0x3c000000
	v_and_b32_e32 v3, 0x80000000, v3
	v_or3_b32 v51, v4, v3, v2
	v_mov_b32_e32 v62, v52
	v_mov_b32_e32 v61, v51
.LBB221_16:                             ;   in Loop: Header=BB221_10 Depth=1
	s_or_b32 exec_lo, exec_lo, s41
.LBB221_17:                             ;   in Loop: Header=BB221_10 Depth=1
	s_or_b32 exec_lo, exec_lo, s40
.LBB221_18:                             ;   in Loop: Header=BB221_10 Depth=1
	s_or_b32 exec_lo, exec_lo, s3
	v_cmp_ne_u16_sdwa s2, v1, v52 src0_sel:BYTE_1 src1_sel:DWORD
	s_and_saveexec_b32 s3, s2
	s_cbranch_execz .LBB221_26
; %bb.19:                               ;   in Loop: Header=BB221_10 Depth=1
	v_mov_b32_e32 v57, v52
	v_cmp_ne_u16_sdwa s2, v1, v29 src0_sel:BYTE_1 src1_sel:DWORD
	v_mov_b32_e32 v21, v57
	v_mov_b32_e32 v22, v58
	s_and_saveexec_b32 s40, s2
	s_cbranch_execz .LBB221_25
; %bb.20:                               ;   in Loop: Header=BB221_10 Depth=1
	v_and_b32_sdwa v2, v30, v1 dst_sel:DWORD dst_unused:UNUSED_PAD src0_sel:DWORD src1_sel:BYTE_1
	v_mov_b32_e32 v17, v52
	v_mov_b32_e32 v22, v18
	s_mov_b32 s41, exec_lo
	v_and_b32_e32 v3, 0x7f, v2
	v_mov_b32_e32 v21, v17
	v_cmpx_ne_u32_e32 0x7f, v3
	s_cbranch_execz .LBB221_24
; %bb.21:                               ;   in Loop: Header=BB221_10 Depth=1
	v_and_b32_e32 v51, 7, v2
	v_lshrrev_b32_e32 v2, 3, v3
	s_mov_b32 s42, exec_lo
	v_cmpx_gt_u32_e32 8, v3
; %bb.22:                               ;   in Loop: Header=BB221_10 Depth=1
	v_ffbh_u32_e32 v2, v51
	v_min_u32_e32 v2, 32, v2
	v_subrev_nc_u32_e32 v3, 28, v2
	v_sub_nc_u32_e32 v2, 29, v2
	v_lshlrev_b64 v[3:4], v3, v[51:52]
	v_and_b32_e32 v51, 7, v3
; %bb.23:                               ;   in Loop: Header=BB221_10 Depth=1
	s_or_b32 exec_lo, exec_lo, s42
	v_lshlrev_b32_e32 v1, 16, v1
	v_lshlrev_b32_e32 v3, 20, v51
	v_lshl_add_u32 v2, v2, 23, 0x3c000000
	v_mov_b32_e32 v21, v52
	v_and_b32_e32 v1, 0x80000000, v1
	v_or3_b32 v22, v3, v1, v2
.LBB221_24:                             ;   in Loop: Header=BB221_10 Depth=1
	s_or_b32 exec_lo, exec_lo, s41
.LBB221_25:                             ;   in Loop: Header=BB221_10 Depth=1
	s_or_b32 exec_lo, exec_lo, s40
.LBB221_26:                             ;   in Loop: Header=BB221_10 Depth=1
	s_or_b32 exec_lo, exec_lo, s3
	global_load_ushort v2, v[69:70], off offset:4
	v_mov_b32_e32 v67, 0
	v_mov_b32_e32 v65, 0
	;; [unrolled: 1-line block ×4, first 2 shown]
	s_waitcnt vmcnt(0)
	v_and_b32_e32 v1, 0xffff, v2
	v_cmp_ne_u16_sdwa s2, v2, v52 src0_sel:BYTE_0 src1_sel:DWORD
	s_and_saveexec_b32 s3, s2
	s_cbranch_execz .LBB221_34
; %bb.27:                               ;   in Loop: Header=BB221_10 Depth=1
	v_bfrev_b32_e32 v65, 1
	v_mov_b32_e32 v66, 0
	v_cmp_ne_u16_sdwa s2, v1, v29 src0_sel:BYTE_0 src1_sel:DWORD
	s_and_saveexec_b32 s40, s2
	s_cbranch_execz .LBB221_33
; %bb.28:                               ;   in Loop: Header=BB221_10 Depth=1
	v_mov_b32_e32 v65, 0x7f800001
	v_and_b32_e32 v3, 0x7f, v1
	v_mov_b32_e32 v66, 0
	s_mov_b32 s41, exec_lo
	v_cmpx_ne_u32_e32 0x7f, v3
	s_cbranch_execz .LBB221_32
; %bb.29:                               ;   in Loop: Header=BB221_10 Depth=1
	v_and_b32_e32 v51, 7, v1
	v_lshrrev_b32_e32 v2, 3, v3
	s_mov_b32 s42, exec_lo
	v_cmpx_gt_u32_e32 8, v3
; %bb.30:                               ;   in Loop: Header=BB221_10 Depth=1
	v_ffbh_u32_e32 v2, v51
	v_min_u32_e32 v2, 32, v2
	v_subrev_nc_u32_e32 v3, 28, v2
	v_sub_nc_u32_e32 v2, 29, v2
	v_lshlrev_b64 v[3:4], v3, v[51:52]
	v_and_b32_e32 v51, 7, v3
; %bb.31:                               ;   in Loop: Header=BB221_10 Depth=1
	s_or_b32 exec_lo, exec_lo, s42
	v_lshlrev_b32_e32 v3, 24, v1
	v_lshlrev_b32_e32 v4, 20, v51
	v_lshl_add_u32 v2, v2, 23, 0x3c000000
	v_and_b32_e32 v3, 0x80000000, v3
	v_or3_b32 v51, v4, v3, v2
	v_mov_b32_e32 v66, v52
	v_mov_b32_e32 v65, v51
.LBB221_32:                             ;   in Loop: Header=BB221_10 Depth=1
	s_or_b32 exec_lo, exec_lo, s41
.LBB221_33:                             ;   in Loop: Header=BB221_10 Depth=1
	s_or_b32 exec_lo, exec_lo, s40
.LBB221_34:                             ;   in Loop: Header=BB221_10 Depth=1
	s_or_b32 exec_lo, exec_lo, s3
	v_cmp_ne_u16_sdwa s2, v1, v52 src0_sel:BYTE_1 src1_sel:DWORD
	s_and_saveexec_b32 s3, s2
	s_cbranch_execz .LBB221_42
; %bb.35:                               ;   in Loop: Header=BB221_10 Depth=1
	v_mov_b32_e32 v57, v52
	v_mov_b32_e32 v68, v58
	v_cmp_ne_u16_sdwa s2, v1, v29 src0_sel:BYTE_1 src1_sel:DWORD
	v_mov_b32_e32 v67, v57
	s_and_saveexec_b32 s40, s2
	s_cbranch_execz .LBB221_41
; %bb.36:                               ;   in Loop: Header=BB221_10 Depth=1
	v_and_b32_sdwa v2, v30, v1 dst_sel:DWORD dst_unused:UNUSED_PAD src0_sel:DWORD src1_sel:BYTE_1
	v_mov_b32_e32 v17, v52
	v_mov_b32_e32 v68, v18
	s_mov_b32 s41, exec_lo
	v_and_b32_e32 v3, 0x7f, v2
	v_mov_b32_e32 v67, v17
	v_cmpx_ne_u32_e32 0x7f, v3
	s_cbranch_execz .LBB221_40
; %bb.37:                               ;   in Loop: Header=BB221_10 Depth=1
	v_and_b32_e32 v51, 7, v2
	v_lshrrev_b32_e32 v2, 3, v3
	s_mov_b32 s42, exec_lo
	v_cmpx_gt_u32_e32 8, v3
; %bb.38:                               ;   in Loop: Header=BB221_10 Depth=1
	v_ffbh_u32_e32 v2, v51
	v_min_u32_e32 v2, 32, v2
	v_subrev_nc_u32_e32 v3, 28, v2
	v_sub_nc_u32_e32 v2, 29, v2
	v_lshlrev_b64 v[3:4], v3, v[51:52]
	v_and_b32_e32 v51, 7, v3
; %bb.39:                               ;   in Loop: Header=BB221_10 Depth=1
	s_or_b32 exec_lo, exec_lo, s42
	v_lshlrev_b32_e32 v1, 16, v1
	v_lshlrev_b32_e32 v3, 20, v51
	v_lshl_add_u32 v2, v2, 23, 0x3c000000
	v_mov_b32_e32 v67, v52
	v_and_b32_e32 v1, 0x80000000, v1
	v_or3_b32 v68, v3, v1, v2
.LBB221_40:                             ;   in Loop: Header=BB221_10 Depth=1
	s_or_b32 exec_lo, exec_lo, s41
.LBB221_41:                             ;   in Loop: Header=BB221_10 Depth=1
	s_or_b32 exec_lo, exec_lo, s40
.LBB221_42:                             ;   in Loop: Header=BB221_10 Depth=1
	s_or_b32 exec_lo, exec_lo, s3
	global_load_ushort v2, v[69:70], off offset:8
	v_mov_b32_e32 v73, 0
	v_mov_b32_e32 v71, 0
	v_mov_b32_e32 v74, 0
	v_mov_b32_e32 v72, 0
	s_waitcnt vmcnt(0)
	v_and_b32_e32 v1, 0xffff, v2
	v_cmp_ne_u16_sdwa s2, v2, v52 src0_sel:BYTE_0 src1_sel:DWORD
	s_and_saveexec_b32 s3, s2
	s_cbranch_execz .LBB221_50
; %bb.43:                               ;   in Loop: Header=BB221_10 Depth=1
	v_bfrev_b32_e32 v71, 1
	v_mov_b32_e32 v72, 0
	v_cmp_ne_u16_sdwa s2, v1, v29 src0_sel:BYTE_0 src1_sel:DWORD
	s_and_saveexec_b32 s40, s2
	s_cbranch_execz .LBB221_49
; %bb.44:                               ;   in Loop: Header=BB221_10 Depth=1
	v_mov_b32_e32 v71, 0x7f800001
	v_and_b32_e32 v3, 0x7f, v1
	v_mov_b32_e32 v72, 0
	s_mov_b32 s41, exec_lo
	v_cmpx_ne_u32_e32 0x7f, v3
	s_cbranch_execz .LBB221_48
; %bb.45:                               ;   in Loop: Header=BB221_10 Depth=1
	v_and_b32_e32 v51, 7, v1
	v_lshrrev_b32_e32 v2, 3, v3
	s_mov_b32 s42, exec_lo
	v_cmpx_gt_u32_e32 8, v3
; %bb.46:                               ;   in Loop: Header=BB221_10 Depth=1
	v_ffbh_u32_e32 v2, v51
	v_min_u32_e32 v2, 32, v2
	v_subrev_nc_u32_e32 v3, 28, v2
	v_sub_nc_u32_e32 v2, 29, v2
	v_lshlrev_b64 v[3:4], v3, v[51:52]
	v_and_b32_e32 v51, 7, v3
; %bb.47:                               ;   in Loop: Header=BB221_10 Depth=1
	s_or_b32 exec_lo, exec_lo, s42
	v_lshlrev_b32_e32 v3, 24, v1
	v_lshlrev_b32_e32 v4, 20, v51
	v_lshl_add_u32 v2, v2, 23, 0x3c000000
	v_and_b32_e32 v3, 0x80000000, v3
	v_or3_b32 v51, v4, v3, v2
	v_mov_b32_e32 v72, v52
	v_mov_b32_e32 v71, v51
.LBB221_48:                             ;   in Loop: Header=BB221_10 Depth=1
	s_or_b32 exec_lo, exec_lo, s41
.LBB221_49:                             ;   in Loop: Header=BB221_10 Depth=1
	s_or_b32 exec_lo, exec_lo, s40
.LBB221_50:                             ;   in Loop: Header=BB221_10 Depth=1
	s_or_b32 exec_lo, exec_lo, s3
	v_cmp_ne_u16_sdwa s2, v1, v52 src0_sel:BYTE_1 src1_sel:DWORD
	s_and_saveexec_b32 s3, s2
	s_cbranch_execz .LBB221_58
; %bb.51:                               ;   in Loop: Header=BB221_10 Depth=1
	v_mov_b32_e32 v57, v52
	v_mov_b32_e32 v74, v58
	v_cmp_ne_u16_sdwa s2, v1, v29 src0_sel:BYTE_1 src1_sel:DWORD
	v_mov_b32_e32 v73, v57
	s_and_saveexec_b32 s40, s2
	s_cbranch_execz .LBB221_57
; %bb.52:                               ;   in Loop: Header=BB221_10 Depth=1
	v_and_b32_sdwa v2, v30, v1 dst_sel:DWORD dst_unused:UNUSED_PAD src0_sel:DWORD src1_sel:BYTE_1
	v_mov_b32_e32 v17, v52
	v_mov_b32_e32 v74, v18
	s_mov_b32 s41, exec_lo
	v_and_b32_e32 v3, 0x7f, v2
	v_mov_b32_e32 v73, v17
	v_cmpx_ne_u32_e32 0x7f, v3
	s_cbranch_execz .LBB221_56
; %bb.53:                               ;   in Loop: Header=BB221_10 Depth=1
	v_and_b32_e32 v51, 7, v2
	v_lshrrev_b32_e32 v2, 3, v3
	s_mov_b32 s42, exec_lo
	v_cmpx_gt_u32_e32 8, v3
; %bb.54:                               ;   in Loop: Header=BB221_10 Depth=1
	v_ffbh_u32_e32 v2, v51
	v_min_u32_e32 v2, 32, v2
	v_subrev_nc_u32_e32 v3, 28, v2
	v_sub_nc_u32_e32 v2, 29, v2
	v_lshlrev_b64 v[3:4], v3, v[51:52]
	v_and_b32_e32 v51, 7, v3
; %bb.55:                               ;   in Loop: Header=BB221_10 Depth=1
	s_or_b32 exec_lo, exec_lo, s42
	v_lshlrev_b32_e32 v1, 16, v1
	v_lshlrev_b32_e32 v3, 20, v51
	v_lshl_add_u32 v2, v2, 23, 0x3c000000
	v_mov_b32_e32 v73, v52
	v_and_b32_e32 v1, 0x80000000, v1
	v_or3_b32 v74, v3, v1, v2
.LBB221_56:                             ;   in Loop: Header=BB221_10 Depth=1
	s_or_b32 exec_lo, exec_lo, s41
.LBB221_57:                             ;   in Loop: Header=BB221_10 Depth=1
	s_or_b32 exec_lo, exec_lo, s40
.LBB221_58:                             ;   in Loop: Header=BB221_10 Depth=1
	s_or_b32 exec_lo, exec_lo, s3
	global_load_ushort v2, v[69:70], off offset:12
	v_mov_b32_e32 v77, 0
	v_mov_b32_e32 v75, 0
	;; [unrolled: 1-line block ×4, first 2 shown]
	s_waitcnt vmcnt(0)
	v_and_b32_e32 v1, 0xffff, v2
	v_cmp_ne_u16_sdwa s2, v2, v52 src0_sel:BYTE_0 src1_sel:DWORD
	s_and_saveexec_b32 s3, s2
	s_cbranch_execz .LBB221_66
; %bb.59:                               ;   in Loop: Header=BB221_10 Depth=1
	v_bfrev_b32_e32 v75, 1
	v_mov_b32_e32 v76, 0
	v_cmp_ne_u16_sdwa s2, v1, v29 src0_sel:BYTE_0 src1_sel:DWORD
	s_and_saveexec_b32 s40, s2
	s_cbranch_execz .LBB221_65
; %bb.60:                               ;   in Loop: Header=BB221_10 Depth=1
	v_mov_b32_e32 v75, 0x7f800001
	v_and_b32_e32 v3, 0x7f, v1
	v_mov_b32_e32 v76, 0
	s_mov_b32 s41, exec_lo
	v_cmpx_ne_u32_e32 0x7f, v3
	s_cbranch_execz .LBB221_64
; %bb.61:                               ;   in Loop: Header=BB221_10 Depth=1
	v_and_b32_e32 v51, 7, v1
	v_lshrrev_b32_e32 v2, 3, v3
	s_mov_b32 s42, exec_lo
	v_cmpx_gt_u32_e32 8, v3
; %bb.62:                               ;   in Loop: Header=BB221_10 Depth=1
	v_ffbh_u32_e32 v2, v51
	v_min_u32_e32 v2, 32, v2
	v_subrev_nc_u32_e32 v3, 28, v2
	v_sub_nc_u32_e32 v2, 29, v2
	v_lshlrev_b64 v[3:4], v3, v[51:52]
	v_and_b32_e32 v51, 7, v3
; %bb.63:                               ;   in Loop: Header=BB221_10 Depth=1
	s_or_b32 exec_lo, exec_lo, s42
	v_lshlrev_b32_e32 v3, 24, v1
	v_lshlrev_b32_e32 v4, 20, v51
	v_lshl_add_u32 v2, v2, 23, 0x3c000000
	v_and_b32_e32 v3, 0x80000000, v3
	v_or3_b32 v51, v4, v3, v2
	v_mov_b32_e32 v76, v52
	v_mov_b32_e32 v75, v51
.LBB221_64:                             ;   in Loop: Header=BB221_10 Depth=1
	s_or_b32 exec_lo, exec_lo, s41
.LBB221_65:                             ;   in Loop: Header=BB221_10 Depth=1
	s_or_b32 exec_lo, exec_lo, s40
.LBB221_66:                             ;   in Loop: Header=BB221_10 Depth=1
	s_or_b32 exec_lo, exec_lo, s3
	v_cmp_ne_u16_sdwa s2, v1, v52 src0_sel:BYTE_1 src1_sel:DWORD
	s_and_saveexec_b32 s3, s2
	s_cbranch_execz .LBB221_74
; %bb.67:                               ;   in Loop: Header=BB221_10 Depth=1
	v_mov_b32_e32 v57, v52
	v_mov_b32_e32 v78, v58
	v_cmp_ne_u16_sdwa s2, v1, v29 src0_sel:BYTE_1 src1_sel:DWORD
	v_mov_b32_e32 v77, v57
	s_and_saveexec_b32 s40, s2
	s_cbranch_execz .LBB221_73
; %bb.68:                               ;   in Loop: Header=BB221_10 Depth=1
	v_and_b32_sdwa v2, v30, v1 dst_sel:DWORD dst_unused:UNUSED_PAD src0_sel:DWORD src1_sel:BYTE_1
	v_mov_b32_e32 v17, v52
	v_mov_b32_e32 v78, v18
	s_mov_b32 s41, exec_lo
	v_and_b32_e32 v3, 0x7f, v2
	v_mov_b32_e32 v77, v17
	v_cmpx_ne_u32_e32 0x7f, v3
	s_cbranch_execz .LBB221_72
; %bb.69:                               ;   in Loop: Header=BB221_10 Depth=1
	v_and_b32_e32 v51, 7, v2
	v_lshrrev_b32_e32 v2, 3, v3
	s_mov_b32 s42, exec_lo
	v_cmpx_gt_u32_e32 8, v3
; %bb.70:                               ;   in Loop: Header=BB221_10 Depth=1
	v_ffbh_u32_e32 v2, v51
	v_min_u32_e32 v2, 32, v2
	v_subrev_nc_u32_e32 v3, 28, v2
	v_sub_nc_u32_e32 v2, 29, v2
	v_lshlrev_b64 v[3:4], v3, v[51:52]
	v_and_b32_e32 v51, 7, v3
; %bb.71:                               ;   in Loop: Header=BB221_10 Depth=1
	s_or_b32 exec_lo, exec_lo, s42
	v_lshlrev_b32_e32 v1, 16, v1
	v_lshlrev_b32_e32 v3, 20, v51
	v_lshl_add_u32 v2, v2, 23, 0x3c000000
	v_mov_b32_e32 v77, v52
	v_and_b32_e32 v1, 0x80000000, v1
	v_or3_b32 v78, v3, v1, v2
.LBB221_72:                             ;   in Loop: Header=BB221_10 Depth=1
	s_or_b32 exec_lo, exec_lo, s41
.LBB221_73:                             ;   in Loop: Header=BB221_10 Depth=1
	s_or_b32 exec_lo, exec_lo, s40
.LBB221_74:                             ;   in Loop: Header=BB221_10 Depth=1
	s_or_b32 exec_lo, exec_lo, s3
	global_load_ushort v2, v[69:70], off offset:256
	v_mov_b32_e32 v81, 0
	v_mov_b32_e32 v79, 0
	;; [unrolled: 1-line block ×4, first 2 shown]
	s_waitcnt vmcnt(0)
	v_and_b32_e32 v1, 0xffff, v2
	v_cmp_ne_u16_sdwa s2, v2, v52 src0_sel:BYTE_0 src1_sel:DWORD
	s_and_saveexec_b32 s3, s2
	s_cbranch_execz .LBB221_82
; %bb.75:                               ;   in Loop: Header=BB221_10 Depth=1
	v_bfrev_b32_e32 v79, 1
	v_mov_b32_e32 v80, 0
	v_cmp_ne_u16_sdwa s2, v1, v29 src0_sel:BYTE_0 src1_sel:DWORD
	s_and_saveexec_b32 s40, s2
	s_cbranch_execz .LBB221_81
; %bb.76:                               ;   in Loop: Header=BB221_10 Depth=1
	v_mov_b32_e32 v79, 0x7f800001
	v_and_b32_e32 v3, 0x7f, v1
	v_mov_b32_e32 v80, 0
	s_mov_b32 s41, exec_lo
	v_cmpx_ne_u32_e32 0x7f, v3
	s_cbranch_execz .LBB221_80
; %bb.77:                               ;   in Loop: Header=BB221_10 Depth=1
	v_and_b32_e32 v51, 7, v1
	v_lshrrev_b32_e32 v2, 3, v3
	s_mov_b32 s42, exec_lo
	v_cmpx_gt_u32_e32 8, v3
; %bb.78:                               ;   in Loop: Header=BB221_10 Depth=1
	v_ffbh_u32_e32 v2, v51
	v_min_u32_e32 v2, 32, v2
	v_subrev_nc_u32_e32 v3, 28, v2
	v_sub_nc_u32_e32 v2, 29, v2
	v_lshlrev_b64 v[3:4], v3, v[51:52]
	v_and_b32_e32 v51, 7, v3
; %bb.79:                               ;   in Loop: Header=BB221_10 Depth=1
	s_or_b32 exec_lo, exec_lo, s42
	v_lshlrev_b32_e32 v3, 24, v1
	v_lshlrev_b32_e32 v4, 20, v51
	v_lshl_add_u32 v2, v2, 23, 0x3c000000
	v_and_b32_e32 v3, 0x80000000, v3
	v_or3_b32 v51, v4, v3, v2
	v_mov_b32_e32 v80, v52
	v_mov_b32_e32 v79, v51
.LBB221_80:                             ;   in Loop: Header=BB221_10 Depth=1
	s_or_b32 exec_lo, exec_lo, s41
.LBB221_81:                             ;   in Loop: Header=BB221_10 Depth=1
	s_or_b32 exec_lo, exec_lo, s40
.LBB221_82:                             ;   in Loop: Header=BB221_10 Depth=1
	s_or_b32 exec_lo, exec_lo, s3
	v_cmp_ne_u16_sdwa s2, v1, v52 src0_sel:BYTE_1 src1_sel:DWORD
	s_and_saveexec_b32 s3, s2
	s_cbranch_execz .LBB221_90
; %bb.83:                               ;   in Loop: Header=BB221_10 Depth=1
	v_mov_b32_e32 v57, v52
	v_mov_b32_e32 v82, v58
	v_cmp_ne_u16_sdwa s2, v1, v29 src0_sel:BYTE_1 src1_sel:DWORD
	v_mov_b32_e32 v81, v57
	s_and_saveexec_b32 s40, s2
	s_cbranch_execz .LBB221_89
; %bb.84:                               ;   in Loop: Header=BB221_10 Depth=1
	v_and_b32_sdwa v2, v30, v1 dst_sel:DWORD dst_unused:UNUSED_PAD src0_sel:DWORD src1_sel:BYTE_1
	v_mov_b32_e32 v17, v52
	v_mov_b32_e32 v82, v18
	s_mov_b32 s41, exec_lo
	v_and_b32_e32 v3, 0x7f, v2
	v_mov_b32_e32 v81, v17
	v_cmpx_ne_u32_e32 0x7f, v3
	s_cbranch_execz .LBB221_88
; %bb.85:                               ;   in Loop: Header=BB221_10 Depth=1
	v_and_b32_e32 v51, 7, v2
	v_lshrrev_b32_e32 v2, 3, v3
	s_mov_b32 s42, exec_lo
	v_cmpx_gt_u32_e32 8, v3
; %bb.86:                               ;   in Loop: Header=BB221_10 Depth=1
	v_ffbh_u32_e32 v2, v51
	v_min_u32_e32 v2, 32, v2
	v_subrev_nc_u32_e32 v3, 28, v2
	v_sub_nc_u32_e32 v2, 29, v2
	v_lshlrev_b64 v[3:4], v3, v[51:52]
	v_and_b32_e32 v51, 7, v3
; %bb.87:                               ;   in Loop: Header=BB221_10 Depth=1
	s_or_b32 exec_lo, exec_lo, s42
	v_lshlrev_b32_e32 v1, 16, v1
	v_lshlrev_b32_e32 v3, 20, v51
	v_lshl_add_u32 v2, v2, 23, 0x3c000000
	v_mov_b32_e32 v81, v52
	v_and_b32_e32 v1, 0x80000000, v1
	v_or3_b32 v82, v3, v1, v2
.LBB221_88:                             ;   in Loop: Header=BB221_10 Depth=1
	s_or_b32 exec_lo, exec_lo, s41
.LBB221_89:                             ;   in Loop: Header=BB221_10 Depth=1
	s_or_b32 exec_lo, exec_lo, s40
.LBB221_90:                             ;   in Loop: Header=BB221_10 Depth=1
	s_or_b32 exec_lo, exec_lo, s3
	global_load_ushort v2, v[69:70], off offset:260
	v_mov_b32_e32 v85, 0
	v_mov_b32_e32 v83, 0
	;; [unrolled: 1-line block ×4, first 2 shown]
	s_waitcnt vmcnt(0)
	v_and_b32_e32 v1, 0xffff, v2
	v_cmp_ne_u16_sdwa s2, v2, v52 src0_sel:BYTE_0 src1_sel:DWORD
	s_and_saveexec_b32 s3, s2
	s_cbranch_execz .LBB221_98
; %bb.91:                               ;   in Loop: Header=BB221_10 Depth=1
	v_bfrev_b32_e32 v83, 1
	v_mov_b32_e32 v84, 0
	v_cmp_ne_u16_sdwa s2, v1, v29 src0_sel:BYTE_0 src1_sel:DWORD
	s_and_saveexec_b32 s40, s2
	s_cbranch_execz .LBB221_97
; %bb.92:                               ;   in Loop: Header=BB221_10 Depth=1
	v_mov_b32_e32 v83, 0x7f800001
	v_and_b32_e32 v3, 0x7f, v1
	v_mov_b32_e32 v84, 0
	s_mov_b32 s41, exec_lo
	v_cmpx_ne_u32_e32 0x7f, v3
	s_cbranch_execz .LBB221_96
; %bb.93:                               ;   in Loop: Header=BB221_10 Depth=1
	v_and_b32_e32 v51, 7, v1
	v_lshrrev_b32_e32 v2, 3, v3
	s_mov_b32 s42, exec_lo
	v_cmpx_gt_u32_e32 8, v3
; %bb.94:                               ;   in Loop: Header=BB221_10 Depth=1
	v_ffbh_u32_e32 v2, v51
	v_min_u32_e32 v2, 32, v2
	v_subrev_nc_u32_e32 v3, 28, v2
	v_sub_nc_u32_e32 v2, 29, v2
	v_lshlrev_b64 v[3:4], v3, v[51:52]
	v_and_b32_e32 v51, 7, v3
; %bb.95:                               ;   in Loop: Header=BB221_10 Depth=1
	s_or_b32 exec_lo, exec_lo, s42
	v_lshlrev_b32_e32 v3, 24, v1
	v_lshlrev_b32_e32 v4, 20, v51
	v_lshl_add_u32 v2, v2, 23, 0x3c000000
	v_and_b32_e32 v3, 0x80000000, v3
	v_or3_b32 v51, v4, v3, v2
	v_mov_b32_e32 v84, v52
	v_mov_b32_e32 v83, v51
.LBB221_96:                             ;   in Loop: Header=BB221_10 Depth=1
	s_or_b32 exec_lo, exec_lo, s41
.LBB221_97:                             ;   in Loop: Header=BB221_10 Depth=1
	s_or_b32 exec_lo, exec_lo, s40
.LBB221_98:                             ;   in Loop: Header=BB221_10 Depth=1
	s_or_b32 exec_lo, exec_lo, s3
	v_cmp_ne_u16_sdwa s2, v1, v52 src0_sel:BYTE_1 src1_sel:DWORD
	s_and_saveexec_b32 s3, s2
	s_cbranch_execz .LBB221_106
; %bb.99:                               ;   in Loop: Header=BB221_10 Depth=1
	v_mov_b32_e32 v57, v52
	v_mov_b32_e32 v86, v58
	v_cmp_ne_u16_sdwa s2, v1, v29 src0_sel:BYTE_1 src1_sel:DWORD
	v_mov_b32_e32 v85, v57
	s_and_saveexec_b32 s40, s2
	s_cbranch_execz .LBB221_105
; %bb.100:                              ;   in Loop: Header=BB221_10 Depth=1
	v_and_b32_sdwa v2, v30, v1 dst_sel:DWORD dst_unused:UNUSED_PAD src0_sel:DWORD src1_sel:BYTE_1
	v_mov_b32_e32 v17, v52
	v_mov_b32_e32 v86, v18
	s_mov_b32 s41, exec_lo
	v_and_b32_e32 v3, 0x7f, v2
	v_mov_b32_e32 v85, v17
	v_cmpx_ne_u32_e32 0x7f, v3
	s_cbranch_execz .LBB221_104
; %bb.101:                              ;   in Loop: Header=BB221_10 Depth=1
	v_and_b32_e32 v51, 7, v2
	v_lshrrev_b32_e32 v2, 3, v3
	s_mov_b32 s42, exec_lo
	v_cmpx_gt_u32_e32 8, v3
; %bb.102:                              ;   in Loop: Header=BB221_10 Depth=1
	v_ffbh_u32_e32 v2, v51
	v_min_u32_e32 v2, 32, v2
	v_subrev_nc_u32_e32 v3, 28, v2
	v_sub_nc_u32_e32 v2, 29, v2
	v_lshlrev_b64 v[3:4], v3, v[51:52]
	v_and_b32_e32 v51, 7, v3
; %bb.103:                              ;   in Loop: Header=BB221_10 Depth=1
	s_or_b32 exec_lo, exec_lo, s42
	v_lshlrev_b32_e32 v1, 16, v1
	v_lshlrev_b32_e32 v3, 20, v51
	v_lshl_add_u32 v2, v2, 23, 0x3c000000
	v_mov_b32_e32 v85, v52
	v_and_b32_e32 v1, 0x80000000, v1
	v_or3_b32 v86, v3, v1, v2
.LBB221_104:                            ;   in Loop: Header=BB221_10 Depth=1
	s_or_b32 exec_lo, exec_lo, s41
.LBB221_105:                            ;   in Loop: Header=BB221_10 Depth=1
	s_or_b32 exec_lo, exec_lo, s40
.LBB221_106:                            ;   in Loop: Header=BB221_10 Depth=1
	s_or_b32 exec_lo, exec_lo, s3
	global_load_ushort v2, v[69:70], off offset:264
	v_mov_b32_e32 v89, 0
	v_mov_b32_e32 v87, 0
	;; [unrolled: 1-line block ×4, first 2 shown]
	s_waitcnt vmcnt(0)
	v_and_b32_e32 v1, 0xffff, v2
	v_cmp_ne_u16_sdwa s2, v2, v52 src0_sel:BYTE_0 src1_sel:DWORD
	s_and_saveexec_b32 s3, s2
	s_cbranch_execz .LBB221_114
; %bb.107:                              ;   in Loop: Header=BB221_10 Depth=1
	v_bfrev_b32_e32 v87, 1
	v_mov_b32_e32 v88, 0
	v_cmp_ne_u16_sdwa s2, v1, v29 src0_sel:BYTE_0 src1_sel:DWORD
	s_and_saveexec_b32 s40, s2
	s_cbranch_execz .LBB221_113
; %bb.108:                              ;   in Loop: Header=BB221_10 Depth=1
	v_mov_b32_e32 v87, 0x7f800001
	v_and_b32_e32 v3, 0x7f, v1
	v_mov_b32_e32 v88, 0
	s_mov_b32 s41, exec_lo
	v_cmpx_ne_u32_e32 0x7f, v3
	s_cbranch_execz .LBB221_112
; %bb.109:                              ;   in Loop: Header=BB221_10 Depth=1
	v_and_b32_e32 v51, 7, v1
	v_lshrrev_b32_e32 v2, 3, v3
	s_mov_b32 s42, exec_lo
	v_cmpx_gt_u32_e32 8, v3
; %bb.110:                              ;   in Loop: Header=BB221_10 Depth=1
	v_ffbh_u32_e32 v2, v51
	v_min_u32_e32 v2, 32, v2
	v_subrev_nc_u32_e32 v3, 28, v2
	v_sub_nc_u32_e32 v2, 29, v2
	v_lshlrev_b64 v[3:4], v3, v[51:52]
	v_and_b32_e32 v51, 7, v3
; %bb.111:                              ;   in Loop: Header=BB221_10 Depth=1
	s_or_b32 exec_lo, exec_lo, s42
	v_lshlrev_b32_e32 v3, 24, v1
	v_lshlrev_b32_e32 v4, 20, v51
	v_lshl_add_u32 v2, v2, 23, 0x3c000000
	v_and_b32_e32 v3, 0x80000000, v3
	v_or3_b32 v51, v4, v3, v2
	v_mov_b32_e32 v88, v52
	v_mov_b32_e32 v87, v51
.LBB221_112:                            ;   in Loop: Header=BB221_10 Depth=1
	s_or_b32 exec_lo, exec_lo, s41
.LBB221_113:                            ;   in Loop: Header=BB221_10 Depth=1
	s_or_b32 exec_lo, exec_lo, s40
.LBB221_114:                            ;   in Loop: Header=BB221_10 Depth=1
	s_or_b32 exec_lo, exec_lo, s3
	v_cmp_ne_u16_sdwa s2, v1, v52 src0_sel:BYTE_1 src1_sel:DWORD
	s_and_saveexec_b32 s3, s2
	s_cbranch_execz .LBB221_122
; %bb.115:                              ;   in Loop: Header=BB221_10 Depth=1
	v_mov_b32_e32 v57, v52
	v_mov_b32_e32 v90, v58
	v_cmp_ne_u16_sdwa s2, v1, v29 src0_sel:BYTE_1 src1_sel:DWORD
	v_mov_b32_e32 v89, v57
	s_and_saveexec_b32 s40, s2
	s_cbranch_execz .LBB221_121
; %bb.116:                              ;   in Loop: Header=BB221_10 Depth=1
	v_and_b32_sdwa v2, v30, v1 dst_sel:DWORD dst_unused:UNUSED_PAD src0_sel:DWORD src1_sel:BYTE_1
	v_mov_b32_e32 v17, v52
	v_mov_b32_e32 v90, v18
	s_mov_b32 s41, exec_lo
	v_and_b32_e32 v3, 0x7f, v2
	v_mov_b32_e32 v89, v17
	v_cmpx_ne_u32_e32 0x7f, v3
	s_cbranch_execz .LBB221_120
; %bb.117:                              ;   in Loop: Header=BB221_10 Depth=1
	v_and_b32_e32 v51, 7, v2
	v_lshrrev_b32_e32 v2, 3, v3
	s_mov_b32 s42, exec_lo
	v_cmpx_gt_u32_e32 8, v3
; %bb.118:                              ;   in Loop: Header=BB221_10 Depth=1
	v_ffbh_u32_e32 v2, v51
	v_min_u32_e32 v2, 32, v2
	v_subrev_nc_u32_e32 v3, 28, v2
	v_sub_nc_u32_e32 v2, 29, v2
	v_lshlrev_b64 v[3:4], v3, v[51:52]
	v_and_b32_e32 v51, 7, v3
; %bb.119:                              ;   in Loop: Header=BB221_10 Depth=1
	s_or_b32 exec_lo, exec_lo, s42
	v_lshlrev_b32_e32 v1, 16, v1
	v_lshlrev_b32_e32 v3, 20, v51
	v_lshl_add_u32 v2, v2, 23, 0x3c000000
	v_mov_b32_e32 v89, v52
	v_and_b32_e32 v1, 0x80000000, v1
	v_or3_b32 v90, v3, v1, v2
.LBB221_120:                            ;   in Loop: Header=BB221_10 Depth=1
	s_or_b32 exec_lo, exec_lo, s41
.LBB221_121:                            ;   in Loop: Header=BB221_10 Depth=1
	s_or_b32 exec_lo, exec_lo, s40
.LBB221_122:                            ;   in Loop: Header=BB221_10 Depth=1
	s_or_b32 exec_lo, exec_lo, s3
	global_load_ushort v2, v[69:70], off offset:268
	v_mov_b32_e32 v93, 0
	v_mov_b32_e32 v91, 0
	;; [unrolled: 1-line block ×4, first 2 shown]
	s_waitcnt vmcnt(0)
	v_and_b32_e32 v1, 0xffff, v2
	v_cmp_ne_u16_sdwa s2, v2, v52 src0_sel:BYTE_0 src1_sel:DWORD
	s_and_saveexec_b32 s3, s2
	s_cbranch_execz .LBB221_130
; %bb.123:                              ;   in Loop: Header=BB221_10 Depth=1
	v_bfrev_b32_e32 v91, 1
	v_mov_b32_e32 v92, 0
	v_cmp_ne_u16_sdwa s2, v1, v29 src0_sel:BYTE_0 src1_sel:DWORD
	s_and_saveexec_b32 s40, s2
	s_cbranch_execz .LBB221_129
; %bb.124:                              ;   in Loop: Header=BB221_10 Depth=1
	v_mov_b32_e32 v91, 0x7f800001
	v_and_b32_e32 v3, 0x7f, v1
	v_mov_b32_e32 v92, 0
	s_mov_b32 s41, exec_lo
	v_cmpx_ne_u32_e32 0x7f, v3
	s_cbranch_execz .LBB221_128
; %bb.125:                              ;   in Loop: Header=BB221_10 Depth=1
	v_and_b32_e32 v51, 7, v1
	v_lshrrev_b32_e32 v2, 3, v3
	s_mov_b32 s42, exec_lo
	v_cmpx_gt_u32_e32 8, v3
; %bb.126:                              ;   in Loop: Header=BB221_10 Depth=1
	v_ffbh_u32_e32 v2, v51
	v_min_u32_e32 v2, 32, v2
	v_subrev_nc_u32_e32 v3, 28, v2
	v_sub_nc_u32_e32 v2, 29, v2
	v_lshlrev_b64 v[3:4], v3, v[51:52]
	v_and_b32_e32 v51, 7, v3
; %bb.127:                              ;   in Loop: Header=BB221_10 Depth=1
	s_or_b32 exec_lo, exec_lo, s42
	v_lshlrev_b32_e32 v3, 24, v1
	v_lshlrev_b32_e32 v4, 20, v51
	v_lshl_add_u32 v2, v2, 23, 0x3c000000
	v_and_b32_e32 v3, 0x80000000, v3
	v_or3_b32 v51, v4, v3, v2
	v_mov_b32_e32 v92, v52
	v_mov_b32_e32 v91, v51
.LBB221_128:                            ;   in Loop: Header=BB221_10 Depth=1
	s_or_b32 exec_lo, exec_lo, s41
.LBB221_129:                            ;   in Loop: Header=BB221_10 Depth=1
	s_or_b32 exec_lo, exec_lo, s40
.LBB221_130:                            ;   in Loop: Header=BB221_10 Depth=1
	s_or_b32 exec_lo, exec_lo, s3
	v_cmp_ne_u16_sdwa s2, v1, v52 src0_sel:BYTE_1 src1_sel:DWORD
	s_and_saveexec_b32 s3, s2
	s_cbranch_execz .LBB221_138
; %bb.131:                              ;   in Loop: Header=BB221_10 Depth=1
	v_mov_b32_e32 v57, v52
	v_mov_b32_e32 v94, v58
	v_cmp_ne_u16_sdwa s2, v1, v29 src0_sel:BYTE_1 src1_sel:DWORD
	v_mov_b32_e32 v93, v57
	s_and_saveexec_b32 s40, s2
	s_cbranch_execz .LBB221_137
; %bb.132:                              ;   in Loop: Header=BB221_10 Depth=1
	v_and_b32_sdwa v2, v30, v1 dst_sel:DWORD dst_unused:UNUSED_PAD src0_sel:DWORD src1_sel:BYTE_1
	v_mov_b32_e32 v17, v52
	v_mov_b32_e32 v94, v18
	s_mov_b32 s41, exec_lo
	v_and_b32_e32 v3, 0x7f, v2
	v_mov_b32_e32 v93, v17
	v_cmpx_ne_u32_e32 0x7f, v3
	s_cbranch_execz .LBB221_136
; %bb.133:                              ;   in Loop: Header=BB221_10 Depth=1
	v_and_b32_e32 v51, 7, v2
	v_lshrrev_b32_e32 v2, 3, v3
	s_mov_b32 s42, exec_lo
	v_cmpx_gt_u32_e32 8, v3
; %bb.134:                              ;   in Loop: Header=BB221_10 Depth=1
	v_ffbh_u32_e32 v2, v51
	v_min_u32_e32 v2, 32, v2
	v_subrev_nc_u32_e32 v3, 28, v2
	v_sub_nc_u32_e32 v2, 29, v2
	v_lshlrev_b64 v[3:4], v3, v[51:52]
	v_and_b32_e32 v51, 7, v3
; %bb.135:                              ;   in Loop: Header=BB221_10 Depth=1
	s_or_b32 exec_lo, exec_lo, s42
	v_lshlrev_b32_e32 v1, 16, v1
	v_lshlrev_b32_e32 v3, 20, v51
	v_lshl_add_u32 v2, v2, 23, 0x3c000000
	v_mov_b32_e32 v93, v52
	v_and_b32_e32 v1, 0x80000000, v1
	v_or3_b32 v94, v3, v1, v2
.LBB221_136:                            ;   in Loop: Header=BB221_10 Depth=1
	s_or_b32 exec_lo, exec_lo, s41
.LBB221_137:                            ;   in Loop: Header=BB221_10 Depth=1
	s_or_b32 exec_lo, exec_lo, s40
.LBB221_138:                            ;   in Loop: Header=BB221_10 Depth=1
	s_or_b32 exec_lo, exec_lo, s3
	global_load_ushort v2, v[69:70], off offset:512
	v_mov_b32_e32 v97, 0
	v_mov_b32_e32 v95, 0
	;; [unrolled: 1-line block ×4, first 2 shown]
	s_waitcnt vmcnt(0)
	v_and_b32_e32 v1, 0xffff, v2
	v_cmp_ne_u16_sdwa s2, v2, v52 src0_sel:BYTE_0 src1_sel:DWORD
	s_and_saveexec_b32 s3, s2
	s_cbranch_execz .LBB221_146
; %bb.139:                              ;   in Loop: Header=BB221_10 Depth=1
	v_bfrev_b32_e32 v95, 1
	v_mov_b32_e32 v96, 0
	v_cmp_ne_u16_sdwa s2, v1, v29 src0_sel:BYTE_0 src1_sel:DWORD
	s_and_saveexec_b32 s40, s2
	s_cbranch_execz .LBB221_145
; %bb.140:                              ;   in Loop: Header=BB221_10 Depth=1
	v_mov_b32_e32 v95, 0x7f800001
	v_and_b32_e32 v3, 0x7f, v1
	v_mov_b32_e32 v96, 0
	s_mov_b32 s41, exec_lo
	v_cmpx_ne_u32_e32 0x7f, v3
	s_cbranch_execz .LBB221_144
; %bb.141:                              ;   in Loop: Header=BB221_10 Depth=1
	v_and_b32_e32 v51, 7, v1
	v_lshrrev_b32_e32 v2, 3, v3
	s_mov_b32 s42, exec_lo
	v_cmpx_gt_u32_e32 8, v3
; %bb.142:                              ;   in Loop: Header=BB221_10 Depth=1
	v_ffbh_u32_e32 v2, v51
	v_min_u32_e32 v2, 32, v2
	v_subrev_nc_u32_e32 v3, 28, v2
	v_sub_nc_u32_e32 v2, 29, v2
	v_lshlrev_b64 v[3:4], v3, v[51:52]
	v_and_b32_e32 v51, 7, v3
; %bb.143:                              ;   in Loop: Header=BB221_10 Depth=1
	s_or_b32 exec_lo, exec_lo, s42
	v_lshlrev_b32_e32 v3, 24, v1
	v_lshlrev_b32_e32 v4, 20, v51
	v_lshl_add_u32 v2, v2, 23, 0x3c000000
	v_and_b32_e32 v3, 0x80000000, v3
	v_or3_b32 v51, v4, v3, v2
	v_mov_b32_e32 v96, v52
	v_mov_b32_e32 v95, v51
.LBB221_144:                            ;   in Loop: Header=BB221_10 Depth=1
	s_or_b32 exec_lo, exec_lo, s41
.LBB221_145:                            ;   in Loop: Header=BB221_10 Depth=1
	s_or_b32 exec_lo, exec_lo, s40
.LBB221_146:                            ;   in Loop: Header=BB221_10 Depth=1
	s_or_b32 exec_lo, exec_lo, s3
	v_cmp_ne_u16_sdwa s2, v1, v52 src0_sel:BYTE_1 src1_sel:DWORD
	s_and_saveexec_b32 s3, s2
	s_cbranch_execz .LBB221_154
; %bb.147:                              ;   in Loop: Header=BB221_10 Depth=1
	v_mov_b32_e32 v57, v52
	v_mov_b32_e32 v98, v58
	v_cmp_ne_u16_sdwa s2, v1, v29 src0_sel:BYTE_1 src1_sel:DWORD
	v_mov_b32_e32 v97, v57
	s_and_saveexec_b32 s40, s2
	s_cbranch_execz .LBB221_153
; %bb.148:                              ;   in Loop: Header=BB221_10 Depth=1
	v_and_b32_sdwa v2, v30, v1 dst_sel:DWORD dst_unused:UNUSED_PAD src0_sel:DWORD src1_sel:BYTE_1
	v_mov_b32_e32 v17, v52
	v_mov_b32_e32 v98, v18
	s_mov_b32 s41, exec_lo
	v_and_b32_e32 v3, 0x7f, v2
	v_mov_b32_e32 v97, v17
	v_cmpx_ne_u32_e32 0x7f, v3
	s_cbranch_execz .LBB221_152
; %bb.149:                              ;   in Loop: Header=BB221_10 Depth=1
	v_and_b32_e32 v51, 7, v2
	v_lshrrev_b32_e32 v2, 3, v3
	s_mov_b32 s42, exec_lo
	v_cmpx_gt_u32_e32 8, v3
; %bb.150:                              ;   in Loop: Header=BB221_10 Depth=1
	v_ffbh_u32_e32 v2, v51
	v_min_u32_e32 v2, 32, v2
	v_subrev_nc_u32_e32 v3, 28, v2
	v_sub_nc_u32_e32 v2, 29, v2
	v_lshlrev_b64 v[3:4], v3, v[51:52]
	v_and_b32_e32 v51, 7, v3
; %bb.151:                              ;   in Loop: Header=BB221_10 Depth=1
	s_or_b32 exec_lo, exec_lo, s42
	v_lshlrev_b32_e32 v1, 16, v1
	v_lshlrev_b32_e32 v3, 20, v51
	v_lshl_add_u32 v2, v2, 23, 0x3c000000
	v_mov_b32_e32 v97, v52
	v_and_b32_e32 v1, 0x80000000, v1
	v_or3_b32 v98, v3, v1, v2
.LBB221_152:                            ;   in Loop: Header=BB221_10 Depth=1
	s_or_b32 exec_lo, exec_lo, s41
.LBB221_153:                            ;   in Loop: Header=BB221_10 Depth=1
	s_or_b32 exec_lo, exec_lo, s40
.LBB221_154:                            ;   in Loop: Header=BB221_10 Depth=1
	s_or_b32 exec_lo, exec_lo, s3
	global_load_ushort v2, v[69:70], off offset:516
	v_mov_b32_e32 v101, 0
	v_mov_b32_e32 v99, 0
	;; [unrolled: 1-line block ×4, first 2 shown]
	s_waitcnt vmcnt(0)
	v_and_b32_e32 v1, 0xffff, v2
	v_cmp_ne_u16_sdwa s2, v2, v52 src0_sel:BYTE_0 src1_sel:DWORD
	s_and_saveexec_b32 s3, s2
	s_cbranch_execz .LBB221_162
; %bb.155:                              ;   in Loop: Header=BB221_10 Depth=1
	v_bfrev_b32_e32 v99, 1
	v_mov_b32_e32 v100, 0
	v_cmp_ne_u16_sdwa s2, v1, v29 src0_sel:BYTE_0 src1_sel:DWORD
	s_and_saveexec_b32 s40, s2
	s_cbranch_execz .LBB221_161
; %bb.156:                              ;   in Loop: Header=BB221_10 Depth=1
	v_mov_b32_e32 v99, 0x7f800001
	v_and_b32_e32 v3, 0x7f, v1
	v_mov_b32_e32 v100, 0
	s_mov_b32 s41, exec_lo
	v_cmpx_ne_u32_e32 0x7f, v3
	s_cbranch_execz .LBB221_160
; %bb.157:                              ;   in Loop: Header=BB221_10 Depth=1
	v_and_b32_e32 v51, 7, v1
	v_lshrrev_b32_e32 v2, 3, v3
	s_mov_b32 s42, exec_lo
	v_cmpx_gt_u32_e32 8, v3
; %bb.158:                              ;   in Loop: Header=BB221_10 Depth=1
	v_ffbh_u32_e32 v2, v51
	v_min_u32_e32 v2, 32, v2
	v_subrev_nc_u32_e32 v3, 28, v2
	v_sub_nc_u32_e32 v2, 29, v2
	v_lshlrev_b64 v[3:4], v3, v[51:52]
	v_and_b32_e32 v51, 7, v3
; %bb.159:                              ;   in Loop: Header=BB221_10 Depth=1
	s_or_b32 exec_lo, exec_lo, s42
	v_lshlrev_b32_e32 v3, 24, v1
	v_lshlrev_b32_e32 v4, 20, v51
	v_lshl_add_u32 v2, v2, 23, 0x3c000000
	v_and_b32_e32 v3, 0x80000000, v3
	v_or3_b32 v51, v4, v3, v2
	v_mov_b32_e32 v100, v52
	v_mov_b32_e32 v99, v51
.LBB221_160:                            ;   in Loop: Header=BB221_10 Depth=1
	s_or_b32 exec_lo, exec_lo, s41
.LBB221_161:                            ;   in Loop: Header=BB221_10 Depth=1
	s_or_b32 exec_lo, exec_lo, s40
.LBB221_162:                            ;   in Loop: Header=BB221_10 Depth=1
	s_or_b32 exec_lo, exec_lo, s3
	v_cmp_ne_u16_sdwa s2, v1, v52 src0_sel:BYTE_1 src1_sel:DWORD
	s_and_saveexec_b32 s3, s2
	s_cbranch_execz .LBB221_170
; %bb.163:                              ;   in Loop: Header=BB221_10 Depth=1
	v_mov_b32_e32 v57, v52
	v_mov_b32_e32 v102, v58
	v_cmp_ne_u16_sdwa s2, v1, v29 src0_sel:BYTE_1 src1_sel:DWORD
	v_mov_b32_e32 v101, v57
	s_and_saveexec_b32 s40, s2
	s_cbranch_execz .LBB221_169
; %bb.164:                              ;   in Loop: Header=BB221_10 Depth=1
	v_and_b32_sdwa v2, v30, v1 dst_sel:DWORD dst_unused:UNUSED_PAD src0_sel:DWORD src1_sel:BYTE_1
	v_mov_b32_e32 v17, v52
	v_mov_b32_e32 v102, v18
	s_mov_b32 s41, exec_lo
	v_and_b32_e32 v3, 0x7f, v2
	v_mov_b32_e32 v101, v17
	v_cmpx_ne_u32_e32 0x7f, v3
	s_cbranch_execz .LBB221_168
; %bb.165:                              ;   in Loop: Header=BB221_10 Depth=1
	v_and_b32_e32 v51, 7, v2
	v_lshrrev_b32_e32 v2, 3, v3
	s_mov_b32 s42, exec_lo
	v_cmpx_gt_u32_e32 8, v3
; %bb.166:                              ;   in Loop: Header=BB221_10 Depth=1
	v_ffbh_u32_e32 v2, v51
	v_min_u32_e32 v2, 32, v2
	v_subrev_nc_u32_e32 v3, 28, v2
	v_sub_nc_u32_e32 v2, 29, v2
	v_lshlrev_b64 v[3:4], v3, v[51:52]
	v_and_b32_e32 v51, 7, v3
; %bb.167:                              ;   in Loop: Header=BB221_10 Depth=1
	s_or_b32 exec_lo, exec_lo, s42
	v_lshlrev_b32_e32 v1, 16, v1
	v_lshlrev_b32_e32 v3, 20, v51
	v_lshl_add_u32 v2, v2, 23, 0x3c000000
	v_mov_b32_e32 v101, v52
	v_and_b32_e32 v1, 0x80000000, v1
	v_or3_b32 v102, v3, v1, v2
.LBB221_168:                            ;   in Loop: Header=BB221_10 Depth=1
	s_or_b32 exec_lo, exec_lo, s41
.LBB221_169:                            ;   in Loop: Header=BB221_10 Depth=1
	s_or_b32 exec_lo, exec_lo, s40
.LBB221_170:                            ;   in Loop: Header=BB221_10 Depth=1
	s_or_b32 exec_lo, exec_lo, s3
	global_load_ushort v2, v[69:70], off offset:520
	v_mov_b32_e32 v105, 0
	v_mov_b32_e32 v103, 0
	;; [unrolled: 1-line block ×4, first 2 shown]
	s_waitcnt vmcnt(0)
	v_and_b32_e32 v1, 0xffff, v2
	v_cmp_ne_u16_sdwa s2, v2, v52 src0_sel:BYTE_0 src1_sel:DWORD
	s_and_saveexec_b32 s3, s2
	s_cbranch_execz .LBB221_178
; %bb.171:                              ;   in Loop: Header=BB221_10 Depth=1
	v_bfrev_b32_e32 v103, 1
	v_mov_b32_e32 v104, 0
	v_cmp_ne_u16_sdwa s2, v1, v29 src0_sel:BYTE_0 src1_sel:DWORD
	s_and_saveexec_b32 s40, s2
	s_cbranch_execz .LBB221_177
; %bb.172:                              ;   in Loop: Header=BB221_10 Depth=1
	v_mov_b32_e32 v103, 0x7f800001
	v_and_b32_e32 v3, 0x7f, v1
	v_mov_b32_e32 v104, 0
	s_mov_b32 s41, exec_lo
	v_cmpx_ne_u32_e32 0x7f, v3
	s_cbranch_execz .LBB221_176
; %bb.173:                              ;   in Loop: Header=BB221_10 Depth=1
	v_and_b32_e32 v51, 7, v1
	v_lshrrev_b32_e32 v2, 3, v3
	s_mov_b32 s42, exec_lo
	v_cmpx_gt_u32_e32 8, v3
; %bb.174:                              ;   in Loop: Header=BB221_10 Depth=1
	v_ffbh_u32_e32 v2, v51
	v_min_u32_e32 v2, 32, v2
	v_subrev_nc_u32_e32 v3, 28, v2
	v_sub_nc_u32_e32 v2, 29, v2
	v_lshlrev_b64 v[3:4], v3, v[51:52]
	v_and_b32_e32 v51, 7, v3
; %bb.175:                              ;   in Loop: Header=BB221_10 Depth=1
	s_or_b32 exec_lo, exec_lo, s42
	v_lshlrev_b32_e32 v3, 24, v1
	v_lshlrev_b32_e32 v4, 20, v51
	v_lshl_add_u32 v2, v2, 23, 0x3c000000
	v_and_b32_e32 v3, 0x80000000, v3
	v_or3_b32 v51, v4, v3, v2
	v_mov_b32_e32 v104, v52
	v_mov_b32_e32 v103, v51
.LBB221_176:                            ;   in Loop: Header=BB221_10 Depth=1
	s_or_b32 exec_lo, exec_lo, s41
.LBB221_177:                            ;   in Loop: Header=BB221_10 Depth=1
	s_or_b32 exec_lo, exec_lo, s40
.LBB221_178:                            ;   in Loop: Header=BB221_10 Depth=1
	s_or_b32 exec_lo, exec_lo, s3
	v_cmp_ne_u16_sdwa s2, v1, v52 src0_sel:BYTE_1 src1_sel:DWORD
	s_and_saveexec_b32 s3, s2
	s_cbranch_execz .LBB221_186
; %bb.179:                              ;   in Loop: Header=BB221_10 Depth=1
	v_mov_b32_e32 v57, v52
	v_mov_b32_e32 v106, v58
	v_cmp_ne_u16_sdwa s2, v1, v29 src0_sel:BYTE_1 src1_sel:DWORD
	v_mov_b32_e32 v105, v57
	s_and_saveexec_b32 s40, s2
	s_cbranch_execz .LBB221_185
; %bb.180:                              ;   in Loop: Header=BB221_10 Depth=1
	v_and_b32_sdwa v2, v30, v1 dst_sel:DWORD dst_unused:UNUSED_PAD src0_sel:DWORD src1_sel:BYTE_1
	v_mov_b32_e32 v17, v52
	v_mov_b32_e32 v106, v18
	s_mov_b32 s41, exec_lo
	v_and_b32_e32 v3, 0x7f, v2
	v_mov_b32_e32 v105, v17
	v_cmpx_ne_u32_e32 0x7f, v3
	s_cbranch_execz .LBB221_184
; %bb.181:                              ;   in Loop: Header=BB221_10 Depth=1
	v_and_b32_e32 v51, 7, v2
	v_lshrrev_b32_e32 v2, 3, v3
	s_mov_b32 s42, exec_lo
	v_cmpx_gt_u32_e32 8, v3
; %bb.182:                              ;   in Loop: Header=BB221_10 Depth=1
	v_ffbh_u32_e32 v2, v51
	v_min_u32_e32 v2, 32, v2
	v_subrev_nc_u32_e32 v3, 28, v2
	v_sub_nc_u32_e32 v2, 29, v2
	v_lshlrev_b64 v[3:4], v3, v[51:52]
	v_and_b32_e32 v51, 7, v3
; %bb.183:                              ;   in Loop: Header=BB221_10 Depth=1
	s_or_b32 exec_lo, exec_lo, s42
	v_lshlrev_b32_e32 v1, 16, v1
	v_lshlrev_b32_e32 v3, 20, v51
	v_lshl_add_u32 v2, v2, 23, 0x3c000000
	v_mov_b32_e32 v105, v52
	v_and_b32_e32 v1, 0x80000000, v1
	v_or3_b32 v106, v3, v1, v2
.LBB221_184:                            ;   in Loop: Header=BB221_10 Depth=1
	s_or_b32 exec_lo, exec_lo, s41
.LBB221_185:                            ;   in Loop: Header=BB221_10 Depth=1
	s_or_b32 exec_lo, exec_lo, s40
.LBB221_186:                            ;   in Loop: Header=BB221_10 Depth=1
	s_or_b32 exec_lo, exec_lo, s3
	global_load_ushort v2, v[69:70], off offset:524
	v_mov_b32_e32 v109, 0
	v_mov_b32_e32 v107, 0
	;; [unrolled: 1-line block ×4, first 2 shown]
	s_waitcnt vmcnt(0)
	v_and_b32_e32 v1, 0xffff, v2
	v_cmp_ne_u16_sdwa s2, v2, v52 src0_sel:BYTE_0 src1_sel:DWORD
	s_and_saveexec_b32 s3, s2
	s_cbranch_execz .LBB221_194
; %bb.187:                              ;   in Loop: Header=BB221_10 Depth=1
	v_bfrev_b32_e32 v107, 1
	v_mov_b32_e32 v108, 0
	v_cmp_ne_u16_sdwa s2, v1, v29 src0_sel:BYTE_0 src1_sel:DWORD
	s_and_saveexec_b32 s40, s2
	s_cbranch_execz .LBB221_193
; %bb.188:                              ;   in Loop: Header=BB221_10 Depth=1
	v_mov_b32_e32 v107, 0x7f800001
	v_and_b32_e32 v3, 0x7f, v1
	v_mov_b32_e32 v108, 0
	s_mov_b32 s41, exec_lo
	v_cmpx_ne_u32_e32 0x7f, v3
	s_cbranch_execz .LBB221_192
; %bb.189:                              ;   in Loop: Header=BB221_10 Depth=1
	v_and_b32_e32 v51, 7, v1
	v_lshrrev_b32_e32 v2, 3, v3
	s_mov_b32 s42, exec_lo
	v_cmpx_gt_u32_e32 8, v3
; %bb.190:                              ;   in Loop: Header=BB221_10 Depth=1
	v_ffbh_u32_e32 v2, v51
	v_min_u32_e32 v2, 32, v2
	v_subrev_nc_u32_e32 v3, 28, v2
	v_sub_nc_u32_e32 v2, 29, v2
	v_lshlrev_b64 v[3:4], v3, v[51:52]
	v_and_b32_e32 v51, 7, v3
; %bb.191:                              ;   in Loop: Header=BB221_10 Depth=1
	s_or_b32 exec_lo, exec_lo, s42
	v_lshlrev_b32_e32 v3, 24, v1
	v_lshlrev_b32_e32 v4, 20, v51
	v_lshl_add_u32 v2, v2, 23, 0x3c000000
	v_and_b32_e32 v3, 0x80000000, v3
	v_or3_b32 v51, v4, v3, v2
	v_mov_b32_e32 v108, v52
	v_mov_b32_e32 v107, v51
.LBB221_192:                            ;   in Loop: Header=BB221_10 Depth=1
	s_or_b32 exec_lo, exec_lo, s41
.LBB221_193:                            ;   in Loop: Header=BB221_10 Depth=1
	s_or_b32 exec_lo, exec_lo, s40
.LBB221_194:                            ;   in Loop: Header=BB221_10 Depth=1
	s_or_b32 exec_lo, exec_lo, s3
	v_cmp_ne_u16_sdwa s2, v1, v52 src0_sel:BYTE_1 src1_sel:DWORD
	s_and_saveexec_b32 s3, s2
	s_cbranch_execz .LBB221_202
; %bb.195:                              ;   in Loop: Header=BB221_10 Depth=1
	v_mov_b32_e32 v57, v52
	v_mov_b32_e32 v110, v58
	v_cmp_ne_u16_sdwa s2, v1, v29 src0_sel:BYTE_1 src1_sel:DWORD
	v_mov_b32_e32 v109, v57
	s_and_saveexec_b32 s40, s2
	s_cbranch_execz .LBB221_201
; %bb.196:                              ;   in Loop: Header=BB221_10 Depth=1
	v_and_b32_sdwa v2, v30, v1 dst_sel:DWORD dst_unused:UNUSED_PAD src0_sel:DWORD src1_sel:BYTE_1
	v_mov_b32_e32 v17, v52
	v_mov_b32_e32 v110, v18
	s_mov_b32 s41, exec_lo
	v_and_b32_e32 v3, 0x7f, v2
	v_mov_b32_e32 v109, v17
	v_cmpx_ne_u32_e32 0x7f, v3
	s_cbranch_execz .LBB221_200
; %bb.197:                              ;   in Loop: Header=BB221_10 Depth=1
	v_and_b32_e32 v51, 7, v2
	v_lshrrev_b32_e32 v2, 3, v3
	s_mov_b32 s42, exec_lo
	v_cmpx_gt_u32_e32 8, v3
; %bb.198:                              ;   in Loop: Header=BB221_10 Depth=1
	v_ffbh_u32_e32 v2, v51
	v_min_u32_e32 v2, 32, v2
	v_subrev_nc_u32_e32 v3, 28, v2
	v_sub_nc_u32_e32 v2, 29, v2
	v_lshlrev_b64 v[3:4], v3, v[51:52]
	v_and_b32_e32 v51, 7, v3
; %bb.199:                              ;   in Loop: Header=BB221_10 Depth=1
	s_or_b32 exec_lo, exec_lo, s42
	v_lshlrev_b32_e32 v1, 16, v1
	v_lshlrev_b32_e32 v3, 20, v51
	v_lshl_add_u32 v2, v2, 23, 0x3c000000
	v_mov_b32_e32 v109, v52
	v_and_b32_e32 v1, 0x80000000, v1
	v_or3_b32 v110, v3, v1, v2
.LBB221_200:                            ;   in Loop: Header=BB221_10 Depth=1
	s_or_b32 exec_lo, exec_lo, s41
.LBB221_201:                            ;   in Loop: Header=BB221_10 Depth=1
	s_or_b32 exec_lo, exec_lo, s40
.LBB221_202:                            ;   in Loop: Header=BB221_10 Depth=1
	s_or_b32 exec_lo, exec_lo, s3
	global_load_ushort v2, v[69:70], off offset:768
	v_mov_b32_e32 v113, 0
	v_mov_b32_e32 v111, 0
	;; [unrolled: 1-line block ×4, first 2 shown]
	s_waitcnt vmcnt(0)
	v_and_b32_e32 v1, 0xffff, v2
	v_cmp_ne_u16_sdwa s2, v2, v52 src0_sel:BYTE_0 src1_sel:DWORD
	s_and_saveexec_b32 s3, s2
	s_cbranch_execz .LBB221_210
; %bb.203:                              ;   in Loop: Header=BB221_10 Depth=1
	v_bfrev_b32_e32 v111, 1
	v_mov_b32_e32 v112, 0
	v_cmp_ne_u16_sdwa s2, v1, v29 src0_sel:BYTE_0 src1_sel:DWORD
	s_and_saveexec_b32 s40, s2
	s_cbranch_execz .LBB221_209
; %bb.204:                              ;   in Loop: Header=BB221_10 Depth=1
	v_mov_b32_e32 v111, 0x7f800001
	v_and_b32_e32 v3, 0x7f, v1
	v_mov_b32_e32 v112, 0
	s_mov_b32 s41, exec_lo
	v_cmpx_ne_u32_e32 0x7f, v3
	s_cbranch_execz .LBB221_208
; %bb.205:                              ;   in Loop: Header=BB221_10 Depth=1
	v_and_b32_e32 v51, 7, v1
	v_lshrrev_b32_e32 v2, 3, v3
	s_mov_b32 s42, exec_lo
	v_cmpx_gt_u32_e32 8, v3
; %bb.206:                              ;   in Loop: Header=BB221_10 Depth=1
	v_ffbh_u32_e32 v2, v51
	v_min_u32_e32 v2, 32, v2
	v_subrev_nc_u32_e32 v3, 28, v2
	v_sub_nc_u32_e32 v2, 29, v2
	v_lshlrev_b64 v[3:4], v3, v[51:52]
	v_and_b32_e32 v51, 7, v3
; %bb.207:                              ;   in Loop: Header=BB221_10 Depth=1
	s_or_b32 exec_lo, exec_lo, s42
	v_lshlrev_b32_e32 v3, 24, v1
	v_lshlrev_b32_e32 v4, 20, v51
	v_lshl_add_u32 v2, v2, 23, 0x3c000000
	v_and_b32_e32 v3, 0x80000000, v3
	v_or3_b32 v51, v4, v3, v2
	v_mov_b32_e32 v112, v52
	v_mov_b32_e32 v111, v51
.LBB221_208:                            ;   in Loop: Header=BB221_10 Depth=1
	s_or_b32 exec_lo, exec_lo, s41
.LBB221_209:                            ;   in Loop: Header=BB221_10 Depth=1
	s_or_b32 exec_lo, exec_lo, s40
.LBB221_210:                            ;   in Loop: Header=BB221_10 Depth=1
	s_or_b32 exec_lo, exec_lo, s3
	v_cmp_ne_u16_sdwa s2, v1, v52 src0_sel:BYTE_1 src1_sel:DWORD
	s_and_saveexec_b32 s3, s2
	s_cbranch_execz .LBB221_218
; %bb.211:                              ;   in Loop: Header=BB221_10 Depth=1
	v_mov_b32_e32 v57, v52
	v_mov_b32_e32 v114, v58
	v_cmp_ne_u16_sdwa s2, v1, v29 src0_sel:BYTE_1 src1_sel:DWORD
	v_mov_b32_e32 v113, v57
	s_and_saveexec_b32 s40, s2
	s_cbranch_execz .LBB221_217
; %bb.212:                              ;   in Loop: Header=BB221_10 Depth=1
	v_and_b32_sdwa v2, v30, v1 dst_sel:DWORD dst_unused:UNUSED_PAD src0_sel:DWORD src1_sel:BYTE_1
	v_mov_b32_e32 v17, v52
	v_mov_b32_e32 v114, v18
	s_mov_b32 s41, exec_lo
	v_and_b32_e32 v3, 0x7f, v2
	v_mov_b32_e32 v113, v17
	v_cmpx_ne_u32_e32 0x7f, v3
	s_cbranch_execz .LBB221_216
; %bb.213:                              ;   in Loop: Header=BB221_10 Depth=1
	v_and_b32_e32 v51, 7, v2
	v_lshrrev_b32_e32 v2, 3, v3
	s_mov_b32 s42, exec_lo
	v_cmpx_gt_u32_e32 8, v3
; %bb.214:                              ;   in Loop: Header=BB221_10 Depth=1
	v_ffbh_u32_e32 v2, v51
	v_min_u32_e32 v2, 32, v2
	v_subrev_nc_u32_e32 v3, 28, v2
	v_sub_nc_u32_e32 v2, 29, v2
	v_lshlrev_b64 v[3:4], v3, v[51:52]
	v_and_b32_e32 v51, 7, v3
; %bb.215:                              ;   in Loop: Header=BB221_10 Depth=1
	s_or_b32 exec_lo, exec_lo, s42
	v_lshlrev_b32_e32 v1, 16, v1
	v_lshlrev_b32_e32 v3, 20, v51
	v_lshl_add_u32 v2, v2, 23, 0x3c000000
	v_mov_b32_e32 v113, v52
	v_and_b32_e32 v1, 0x80000000, v1
	v_or3_b32 v114, v3, v1, v2
.LBB221_216:                            ;   in Loop: Header=BB221_10 Depth=1
	s_or_b32 exec_lo, exec_lo, s41
.LBB221_217:                            ;   in Loop: Header=BB221_10 Depth=1
	s_or_b32 exec_lo, exec_lo, s40
.LBB221_218:                            ;   in Loop: Header=BB221_10 Depth=1
	s_or_b32 exec_lo, exec_lo, s3
	global_load_ushort v2, v[69:70], off offset:772
	v_mov_b32_e32 v117, 0
	v_mov_b32_e32 v115, 0
	;; [unrolled: 1-line block ×4, first 2 shown]
	s_waitcnt vmcnt(0)
	v_and_b32_e32 v1, 0xffff, v2
	v_cmp_ne_u16_sdwa s2, v2, v52 src0_sel:BYTE_0 src1_sel:DWORD
	s_and_saveexec_b32 s3, s2
	s_cbranch_execz .LBB221_226
; %bb.219:                              ;   in Loop: Header=BB221_10 Depth=1
	v_bfrev_b32_e32 v115, 1
	v_mov_b32_e32 v116, 0
	v_cmp_ne_u16_sdwa s2, v1, v29 src0_sel:BYTE_0 src1_sel:DWORD
	s_and_saveexec_b32 s40, s2
	s_cbranch_execz .LBB221_225
; %bb.220:                              ;   in Loop: Header=BB221_10 Depth=1
	v_mov_b32_e32 v115, 0x7f800001
	v_and_b32_e32 v3, 0x7f, v1
	v_mov_b32_e32 v116, 0
	s_mov_b32 s41, exec_lo
	v_cmpx_ne_u32_e32 0x7f, v3
	s_cbranch_execz .LBB221_224
; %bb.221:                              ;   in Loop: Header=BB221_10 Depth=1
	v_and_b32_e32 v51, 7, v1
	v_lshrrev_b32_e32 v2, 3, v3
	s_mov_b32 s42, exec_lo
	v_cmpx_gt_u32_e32 8, v3
; %bb.222:                              ;   in Loop: Header=BB221_10 Depth=1
	v_ffbh_u32_e32 v2, v51
	v_min_u32_e32 v2, 32, v2
	v_subrev_nc_u32_e32 v3, 28, v2
	v_sub_nc_u32_e32 v2, 29, v2
	v_lshlrev_b64 v[3:4], v3, v[51:52]
	v_and_b32_e32 v51, 7, v3
; %bb.223:                              ;   in Loop: Header=BB221_10 Depth=1
	s_or_b32 exec_lo, exec_lo, s42
	v_lshlrev_b32_e32 v3, 24, v1
	v_lshlrev_b32_e32 v4, 20, v51
	v_lshl_add_u32 v2, v2, 23, 0x3c000000
	v_and_b32_e32 v3, 0x80000000, v3
	v_or3_b32 v51, v4, v3, v2
	v_mov_b32_e32 v116, v52
	v_mov_b32_e32 v115, v51
.LBB221_224:                            ;   in Loop: Header=BB221_10 Depth=1
	s_or_b32 exec_lo, exec_lo, s41
.LBB221_225:                            ;   in Loop: Header=BB221_10 Depth=1
	s_or_b32 exec_lo, exec_lo, s40
.LBB221_226:                            ;   in Loop: Header=BB221_10 Depth=1
	s_or_b32 exec_lo, exec_lo, s3
	v_cmp_ne_u16_sdwa s2, v1, v52 src0_sel:BYTE_1 src1_sel:DWORD
	s_and_saveexec_b32 s3, s2
	s_cbranch_execz .LBB221_234
; %bb.227:                              ;   in Loop: Header=BB221_10 Depth=1
	v_mov_b32_e32 v57, v52
	v_mov_b32_e32 v118, v58
	v_cmp_ne_u16_sdwa s2, v1, v29 src0_sel:BYTE_1 src1_sel:DWORD
	v_mov_b32_e32 v117, v57
	s_and_saveexec_b32 s40, s2
	s_cbranch_execz .LBB221_233
; %bb.228:                              ;   in Loop: Header=BB221_10 Depth=1
	v_and_b32_sdwa v2, v30, v1 dst_sel:DWORD dst_unused:UNUSED_PAD src0_sel:DWORD src1_sel:BYTE_1
	v_mov_b32_e32 v17, v52
	v_mov_b32_e32 v118, v18
	s_mov_b32 s41, exec_lo
	v_and_b32_e32 v3, 0x7f, v2
	v_mov_b32_e32 v117, v17
	v_cmpx_ne_u32_e32 0x7f, v3
	s_cbranch_execz .LBB221_232
; %bb.229:                              ;   in Loop: Header=BB221_10 Depth=1
	v_and_b32_e32 v51, 7, v2
	v_lshrrev_b32_e32 v2, 3, v3
	s_mov_b32 s42, exec_lo
	v_cmpx_gt_u32_e32 8, v3
; %bb.230:                              ;   in Loop: Header=BB221_10 Depth=1
	v_ffbh_u32_e32 v2, v51
	v_min_u32_e32 v2, 32, v2
	v_subrev_nc_u32_e32 v3, 28, v2
	v_sub_nc_u32_e32 v2, 29, v2
	v_lshlrev_b64 v[3:4], v3, v[51:52]
	v_and_b32_e32 v51, 7, v3
; %bb.231:                              ;   in Loop: Header=BB221_10 Depth=1
	s_or_b32 exec_lo, exec_lo, s42
	v_lshlrev_b32_e32 v1, 16, v1
	v_lshlrev_b32_e32 v3, 20, v51
	v_lshl_add_u32 v2, v2, 23, 0x3c000000
	v_mov_b32_e32 v117, v52
	v_and_b32_e32 v1, 0x80000000, v1
	v_or3_b32 v118, v3, v1, v2
.LBB221_232:                            ;   in Loop: Header=BB221_10 Depth=1
	s_or_b32 exec_lo, exec_lo, s41
.LBB221_233:                            ;   in Loop: Header=BB221_10 Depth=1
	s_or_b32 exec_lo, exec_lo, s40
.LBB221_234:                            ;   in Loop: Header=BB221_10 Depth=1
	s_or_b32 exec_lo, exec_lo, s3
	global_load_ushort v2, v[69:70], off offset:776
	v_mov_b32_e32 v121, 0
	v_mov_b32_e32 v119, 0
	;; [unrolled: 1-line block ×4, first 2 shown]
	s_waitcnt vmcnt(0)
	v_and_b32_e32 v1, 0xffff, v2
	v_cmp_ne_u16_sdwa s2, v2, v52 src0_sel:BYTE_0 src1_sel:DWORD
	s_and_saveexec_b32 s3, s2
	s_cbranch_execz .LBB221_242
; %bb.235:                              ;   in Loop: Header=BB221_10 Depth=1
	v_bfrev_b32_e32 v119, 1
	v_mov_b32_e32 v120, 0
	v_cmp_ne_u16_sdwa s2, v1, v29 src0_sel:BYTE_0 src1_sel:DWORD
	s_and_saveexec_b32 s40, s2
	s_cbranch_execz .LBB221_241
; %bb.236:                              ;   in Loop: Header=BB221_10 Depth=1
	v_mov_b32_e32 v119, 0x7f800001
	v_and_b32_e32 v3, 0x7f, v1
	v_mov_b32_e32 v120, 0
	s_mov_b32 s41, exec_lo
	v_cmpx_ne_u32_e32 0x7f, v3
	s_cbranch_execz .LBB221_240
; %bb.237:                              ;   in Loop: Header=BB221_10 Depth=1
	v_and_b32_e32 v51, 7, v1
	v_lshrrev_b32_e32 v2, 3, v3
	s_mov_b32 s42, exec_lo
	v_cmpx_gt_u32_e32 8, v3
; %bb.238:                              ;   in Loop: Header=BB221_10 Depth=1
	v_ffbh_u32_e32 v2, v51
	v_min_u32_e32 v2, 32, v2
	v_subrev_nc_u32_e32 v3, 28, v2
	v_sub_nc_u32_e32 v2, 29, v2
	v_lshlrev_b64 v[3:4], v3, v[51:52]
	v_and_b32_e32 v51, 7, v3
; %bb.239:                              ;   in Loop: Header=BB221_10 Depth=1
	s_or_b32 exec_lo, exec_lo, s42
	v_lshlrev_b32_e32 v3, 24, v1
	v_lshlrev_b32_e32 v4, 20, v51
	v_lshl_add_u32 v2, v2, 23, 0x3c000000
	v_and_b32_e32 v3, 0x80000000, v3
	v_or3_b32 v51, v4, v3, v2
	v_mov_b32_e32 v120, v52
	v_mov_b32_e32 v119, v51
.LBB221_240:                            ;   in Loop: Header=BB221_10 Depth=1
	s_or_b32 exec_lo, exec_lo, s41
.LBB221_241:                            ;   in Loop: Header=BB221_10 Depth=1
	s_or_b32 exec_lo, exec_lo, s40
.LBB221_242:                            ;   in Loop: Header=BB221_10 Depth=1
	s_or_b32 exec_lo, exec_lo, s3
	v_cmp_ne_u16_sdwa s2, v1, v52 src0_sel:BYTE_1 src1_sel:DWORD
	s_and_saveexec_b32 s3, s2
	s_cbranch_execz .LBB221_250
; %bb.243:                              ;   in Loop: Header=BB221_10 Depth=1
	v_mov_b32_e32 v57, v52
	v_mov_b32_e32 v122, v58
	v_cmp_ne_u16_sdwa s2, v1, v29 src0_sel:BYTE_1 src1_sel:DWORD
	v_mov_b32_e32 v121, v57
	s_and_saveexec_b32 s40, s2
	s_cbranch_execz .LBB221_249
; %bb.244:                              ;   in Loop: Header=BB221_10 Depth=1
	v_and_b32_sdwa v2, v30, v1 dst_sel:DWORD dst_unused:UNUSED_PAD src0_sel:DWORD src1_sel:BYTE_1
	v_mov_b32_e32 v17, v52
	v_mov_b32_e32 v122, v18
	s_mov_b32 s41, exec_lo
	v_and_b32_e32 v3, 0x7f, v2
	v_mov_b32_e32 v121, v17
	v_cmpx_ne_u32_e32 0x7f, v3
	s_cbranch_execz .LBB221_248
; %bb.245:                              ;   in Loop: Header=BB221_10 Depth=1
	v_and_b32_e32 v51, 7, v2
	v_lshrrev_b32_e32 v2, 3, v3
	s_mov_b32 s42, exec_lo
	v_cmpx_gt_u32_e32 8, v3
; %bb.246:                              ;   in Loop: Header=BB221_10 Depth=1
	v_ffbh_u32_e32 v2, v51
	v_min_u32_e32 v2, 32, v2
	v_subrev_nc_u32_e32 v3, 28, v2
	v_sub_nc_u32_e32 v2, 29, v2
	v_lshlrev_b64 v[3:4], v3, v[51:52]
	v_and_b32_e32 v51, 7, v3
; %bb.247:                              ;   in Loop: Header=BB221_10 Depth=1
	s_or_b32 exec_lo, exec_lo, s42
	v_lshlrev_b32_e32 v1, 16, v1
	v_lshlrev_b32_e32 v3, 20, v51
	v_lshl_add_u32 v2, v2, 23, 0x3c000000
	v_mov_b32_e32 v121, v52
	v_and_b32_e32 v1, 0x80000000, v1
	v_or3_b32 v122, v3, v1, v2
.LBB221_248:                            ;   in Loop: Header=BB221_10 Depth=1
	s_or_b32 exec_lo, exec_lo, s41
.LBB221_249:                            ;   in Loop: Header=BB221_10 Depth=1
	s_or_b32 exec_lo, exec_lo, s40
.LBB221_250:                            ;   in Loop: Header=BB221_10 Depth=1
	s_or_b32 exec_lo, exec_lo, s3
	global_load_ushort v2, v[69:70], off offset:780
	v_mov_b32_e32 v125, 0
	v_mov_b32_e32 v123, 0
	;; [unrolled: 1-line block ×4, first 2 shown]
	s_waitcnt vmcnt(0)
	v_and_b32_e32 v1, 0xffff, v2
	v_cmp_ne_u16_sdwa s2, v2, v52 src0_sel:BYTE_0 src1_sel:DWORD
	s_and_saveexec_b32 s3, s2
	s_cbranch_execz .LBB221_258
; %bb.251:                              ;   in Loop: Header=BB221_10 Depth=1
	v_bfrev_b32_e32 v123, 1
	v_mov_b32_e32 v124, 0
	v_cmp_ne_u16_sdwa s2, v1, v29 src0_sel:BYTE_0 src1_sel:DWORD
	s_and_saveexec_b32 s40, s2
	s_cbranch_execz .LBB221_257
; %bb.252:                              ;   in Loop: Header=BB221_10 Depth=1
	v_mov_b32_e32 v123, 0x7f800001
	v_and_b32_e32 v3, 0x7f, v1
	v_mov_b32_e32 v124, 0
	s_mov_b32 s41, exec_lo
	v_cmpx_ne_u32_e32 0x7f, v3
	s_cbranch_execz .LBB221_256
; %bb.253:                              ;   in Loop: Header=BB221_10 Depth=1
	v_and_b32_e32 v51, 7, v1
	v_lshrrev_b32_e32 v2, 3, v3
	s_mov_b32 s42, exec_lo
	v_cmpx_gt_u32_e32 8, v3
; %bb.254:                              ;   in Loop: Header=BB221_10 Depth=1
	v_ffbh_u32_e32 v2, v51
	v_min_u32_e32 v2, 32, v2
	v_subrev_nc_u32_e32 v3, 28, v2
	v_sub_nc_u32_e32 v2, 29, v2
	v_lshlrev_b64 v[3:4], v3, v[51:52]
	v_and_b32_e32 v51, 7, v3
; %bb.255:                              ;   in Loop: Header=BB221_10 Depth=1
	s_or_b32 exec_lo, exec_lo, s42
	v_lshlrev_b32_e32 v3, 24, v1
	v_lshlrev_b32_e32 v4, 20, v51
	v_lshl_add_u32 v2, v2, 23, 0x3c000000
	v_and_b32_e32 v3, 0x80000000, v3
	v_or3_b32 v51, v4, v3, v2
	v_mov_b32_e32 v124, v52
	v_mov_b32_e32 v123, v51
.LBB221_256:                            ;   in Loop: Header=BB221_10 Depth=1
	s_or_b32 exec_lo, exec_lo, s41
.LBB221_257:                            ;   in Loop: Header=BB221_10 Depth=1
	s_or_b32 exec_lo, exec_lo, s40
.LBB221_258:                            ;   in Loop: Header=BB221_10 Depth=1
	s_or_b32 exec_lo, exec_lo, s3
	v_cmp_ne_u16_sdwa s2, v1, v52 src0_sel:BYTE_1 src1_sel:DWORD
	s_and_saveexec_b32 s3, s2
	s_cbranch_execz .LBB221_266
; %bb.259:                              ;   in Loop: Header=BB221_10 Depth=1
	v_mov_b32_e32 v57, v52
	v_mov_b32_e32 v126, v58
	v_cmp_ne_u16_sdwa s2, v1, v29 src0_sel:BYTE_1 src1_sel:DWORD
	v_mov_b32_e32 v125, v57
	s_and_saveexec_b32 s40, s2
	s_cbranch_execz .LBB221_265
; %bb.260:                              ;   in Loop: Header=BB221_10 Depth=1
	v_and_b32_sdwa v2, v30, v1 dst_sel:DWORD dst_unused:UNUSED_PAD src0_sel:DWORD src1_sel:BYTE_1
	v_mov_b32_e32 v17, v52
	v_mov_b32_e32 v126, v18
	s_mov_b32 s41, exec_lo
	v_and_b32_e32 v3, 0x7f, v2
	v_mov_b32_e32 v125, v17
	v_cmpx_ne_u32_e32 0x7f, v3
	s_cbranch_execz .LBB221_264
; %bb.261:                              ;   in Loop: Header=BB221_10 Depth=1
	v_and_b32_e32 v51, 7, v2
	v_lshrrev_b32_e32 v2, 3, v3
	s_mov_b32 s42, exec_lo
	v_cmpx_gt_u32_e32 8, v3
; %bb.262:                              ;   in Loop: Header=BB221_10 Depth=1
	v_ffbh_u32_e32 v2, v51
	v_min_u32_e32 v2, 32, v2
	v_subrev_nc_u32_e32 v3, 28, v2
	v_sub_nc_u32_e32 v2, 29, v2
	v_lshlrev_b64 v[3:4], v3, v[51:52]
	v_and_b32_e32 v51, 7, v3
; %bb.263:                              ;   in Loop: Header=BB221_10 Depth=1
	s_or_b32 exec_lo, exec_lo, s42
	v_lshlrev_b32_e32 v1, 16, v1
	v_lshlrev_b32_e32 v3, 20, v51
	v_lshl_add_u32 v2, v2, 23, 0x3c000000
	v_mov_b32_e32 v125, v52
	v_and_b32_e32 v1, 0x80000000, v1
	v_or3_b32 v126, v3, v1, v2
.LBB221_264:                            ;   in Loop: Header=BB221_10 Depth=1
	s_or_b32 exec_lo, exec_lo, s41
.LBB221_265:                            ;   in Loop: Header=BB221_10 Depth=1
	s_or_b32 exec_lo, exec_lo, s40
.LBB221_266:                            ;   in Loop: Header=BB221_10 Depth=1
	s_or_b32 exec_lo, exec_lo, s3
	global_load_ushort v1, v[69:70], off offset:1024
	v_mov_b32_e32 v53, 0
	v_mov_b32_e32 v54, 0
	s_waitcnt vmcnt(0)
	v_and_b32_e32 v3, 0xffff, v1
	v_cmp_ne_u16_sdwa s2, v1, v52 src0_sel:BYTE_0 src1_sel:DWORD
	v_mov_b32_e32 v1, 0
	v_mov_b32_e32 v2, 0
	s_and_saveexec_b32 s3, s2
	s_cbranch_execz .LBB221_274
; %bb.267:                              ;   in Loop: Header=BB221_10 Depth=1
	v_bfrev_b32_e32 v53, 1
	v_mov_b32_e32 v54, 0
	v_cmp_ne_u16_sdwa s2, v3, v29 src0_sel:BYTE_0 src1_sel:DWORD
	s_and_saveexec_b32 s40, s2
	s_cbranch_execz .LBB221_273
; %bb.268:                              ;   in Loop: Header=BB221_10 Depth=1
	v_mov_b32_e32 v53, 0x7f800001
	v_and_b32_e32 v5, 0x7f, v3
	v_mov_b32_e32 v54, 0
	s_mov_b32 s41, exec_lo
	v_cmpx_ne_u32_e32 0x7f, v5
	s_cbranch_execz .LBB221_272
; %bb.269:                              ;   in Loop: Header=BB221_10 Depth=1
	v_and_b32_e32 v51, 7, v3
	v_lshrrev_b32_e32 v4, 3, v5
	s_mov_b32 s42, exec_lo
	v_cmpx_gt_u32_e32 8, v5
; %bb.270:                              ;   in Loop: Header=BB221_10 Depth=1
	v_ffbh_u32_e32 v4, v51
	v_min_u32_e32 v4, 32, v4
	v_subrev_nc_u32_e32 v5, 28, v4
	v_sub_nc_u32_e32 v4, 29, v4
	v_lshlrev_b64 v[5:6], v5, v[51:52]
	v_and_b32_e32 v51, 7, v5
; %bb.271:                              ;   in Loop: Header=BB221_10 Depth=1
	s_or_b32 exec_lo, exec_lo, s42
	v_lshlrev_b32_e32 v5, 24, v3
	v_lshlrev_b32_e32 v6, 20, v51
	v_lshl_add_u32 v4, v4, 23, 0x3c000000
	v_and_b32_e32 v5, 0x80000000, v5
	v_or3_b32 v51, v6, v5, v4
	v_mov_b32_e32 v54, v52
	v_mov_b32_e32 v53, v51
.LBB221_272:                            ;   in Loop: Header=BB221_10 Depth=1
	s_or_b32 exec_lo, exec_lo, s41
.LBB221_273:                            ;   in Loop: Header=BB221_10 Depth=1
	s_or_b32 exec_lo, exec_lo, s40
.LBB221_274:                            ;   in Loop: Header=BB221_10 Depth=1
	s_or_b32 exec_lo, exec_lo, s3
	v_cmp_ne_u16_sdwa s2, v3, v52 src0_sel:BYTE_1 src1_sel:DWORD
	s_and_saveexec_b32 s3, s2
	s_cbranch_execz .LBB221_282
; %bb.275:                              ;   in Loop: Header=BB221_10 Depth=1
	v_mov_b32_e32 v57, v52
	v_cmp_ne_u16_sdwa s2, v3, v29 src0_sel:BYTE_1 src1_sel:DWORD
	v_mov_b32_e32 v1, v57
	v_mov_b32_e32 v2, v58
	s_and_saveexec_b32 s40, s2
	s_cbranch_execz .LBB221_281
; %bb.276:                              ;   in Loop: Header=BB221_10 Depth=1
	v_mov_b32_e32 v17, v52
	v_and_b32_sdwa v5, v30, v3 dst_sel:DWORD dst_unused:UNUSED_PAD src0_sel:DWORD src1_sel:BYTE_1
	s_mov_b32 s41, exec_lo
	v_mov_b32_e32 v1, v17
	v_and_b32_e32 v4, 0x7f, v5
	v_mov_b32_e32 v2, v18
	v_cmpx_ne_u32_e32 0x7f, v4
	s_cbranch_execz .LBB221_280
; %bb.277:                              ;   in Loop: Header=BB221_10 Depth=1
	v_and_b32_e32 v51, 7, v5
	v_lshrrev_b32_e32 v1, 3, v4
	s_mov_b32 s42, exec_lo
	v_cmpx_gt_u32_e32 8, v4
; %bb.278:                              ;   in Loop: Header=BB221_10 Depth=1
	v_ffbh_u32_e32 v1, v51
	v_min_u32_e32 v1, 32, v1
	v_subrev_nc_u32_e32 v2, 28, v1
	v_sub_nc_u32_e32 v1, 29, v1
	v_lshlrev_b64 v[4:5], v2, v[51:52]
	v_and_b32_e32 v51, 7, v4
; %bb.279:                              ;   in Loop: Header=BB221_10 Depth=1
	s_or_b32 exec_lo, exec_lo, s42
	v_lshlrev_b32_e32 v2, 16, v3
	v_lshlrev_b32_e32 v3, 20, v51
	v_lshl_add_u32 v1, v1, 23, 0x3c000000
	v_and_b32_e32 v2, 0x80000000, v2
	v_or3_b32 v2, v3, v2, v1
	v_mov_b32_e32 v1, v52
.LBB221_280:                            ;   in Loop: Header=BB221_10 Depth=1
	s_or_b32 exec_lo, exec_lo, s41
.LBB221_281:                            ;   in Loop: Header=BB221_10 Depth=1
	s_or_b32 exec_lo, exec_lo, s40
.LBB221_282:                            ;   in Loop: Header=BB221_10 Depth=1
	s_or_b32 exec_lo, exec_lo, s3
	global_load_ushort v3, v[69:70], off offset:1028
	v_mov_b32_e32 v5, 0
	v_mov_b32_e32 v6, 0
	s_waitcnt vmcnt(0)
	v_and_b32_e32 v7, 0xffff, v3
	v_cmp_ne_u16_sdwa s2, v3, v52 src0_sel:BYTE_0 src1_sel:DWORD
	v_mov_b32_e32 v3, 0
	v_mov_b32_e32 v4, 0
	s_and_saveexec_b32 s3, s2
	s_cbranch_execz .LBB221_290
; %bb.283:                              ;   in Loop: Header=BB221_10 Depth=1
	v_bfrev_b32_e32 v3, 1
	v_mov_b32_e32 v4, 0
	v_cmp_ne_u16_sdwa s2, v7, v29 src0_sel:BYTE_0 src1_sel:DWORD
	s_and_saveexec_b32 s40, s2
	s_cbranch_execz .LBB221_289
; %bb.284:                              ;   in Loop: Header=BB221_10 Depth=1
	v_mov_b32_e32 v3, 0x7f800001
	v_and_b32_e32 v8, 0x7f, v7
	v_mov_b32_e32 v4, 0
	s_mov_b32 s41, exec_lo
	v_cmpx_ne_u32_e32 0x7f, v8
	s_cbranch_execz .LBB221_288
; %bb.285:                              ;   in Loop: Header=BB221_10 Depth=1
	v_and_b32_e32 v51, 7, v7
	v_lshrrev_b32_e32 v3, 3, v8
	s_mov_b32 s42, exec_lo
	v_cmpx_gt_u32_e32 8, v8
; %bb.286:                              ;   in Loop: Header=BB221_10 Depth=1
	v_ffbh_u32_e32 v3, v51
	v_min_u32_e32 v3, 32, v3
	v_subrev_nc_u32_e32 v4, 28, v3
	v_sub_nc_u32_e32 v3, 29, v3
	v_lshlrev_b64 v[8:9], v4, v[51:52]
	v_and_b32_e32 v51, 7, v8
; %bb.287:                              ;   in Loop: Header=BB221_10 Depth=1
	s_or_b32 exec_lo, exec_lo, s42
	v_lshlrev_b32_e32 v4, 24, v7
	v_lshlrev_b32_e32 v8, 20, v51
	v_lshl_add_u32 v3, v3, 23, 0x3c000000
	v_and_b32_e32 v4, 0x80000000, v4
	v_or3_b32 v51, v8, v4, v3
	v_mov_b32_e32 v3, v51
	v_mov_b32_e32 v4, v52
.LBB221_288:                            ;   in Loop: Header=BB221_10 Depth=1
	s_or_b32 exec_lo, exec_lo, s41
.LBB221_289:                            ;   in Loop: Header=BB221_10 Depth=1
	s_or_b32 exec_lo, exec_lo, s40
.LBB221_290:                            ;   in Loop: Header=BB221_10 Depth=1
	s_or_b32 exec_lo, exec_lo, s3
	v_cmp_ne_u16_sdwa s2, v7, v52 src0_sel:BYTE_1 src1_sel:DWORD
	s_and_saveexec_b32 s3, s2
	s_cbranch_execz .LBB221_298
; %bb.291:                              ;   in Loop: Header=BB221_10 Depth=1
	v_mov_b32_e32 v57, v52
	v_cmp_ne_u16_sdwa s2, v7, v29 src0_sel:BYTE_1 src1_sel:DWORD
	v_mov_b32_e32 v5, v57
	v_mov_b32_e32 v6, v58
	s_and_saveexec_b32 s40, s2
	s_cbranch_execz .LBB221_297
; %bb.292:                              ;   in Loop: Header=BB221_10 Depth=1
	v_mov_b32_e32 v17, v52
	v_and_b32_sdwa v9, v30, v7 dst_sel:DWORD dst_unused:UNUSED_PAD src0_sel:DWORD src1_sel:BYTE_1
	s_mov_b32 s41, exec_lo
	v_mov_b32_e32 v5, v17
	v_and_b32_e32 v8, 0x7f, v9
	v_mov_b32_e32 v6, v18
	v_cmpx_ne_u32_e32 0x7f, v8
	s_cbranch_execz .LBB221_296
; %bb.293:                              ;   in Loop: Header=BB221_10 Depth=1
	v_and_b32_e32 v51, 7, v9
	v_lshrrev_b32_e32 v5, 3, v8
	s_mov_b32 s42, exec_lo
	v_cmpx_gt_u32_e32 8, v8
; %bb.294:                              ;   in Loop: Header=BB221_10 Depth=1
	v_ffbh_u32_e32 v5, v51
	v_min_u32_e32 v5, 32, v5
	v_subrev_nc_u32_e32 v6, 28, v5
	v_sub_nc_u32_e32 v5, 29, v5
	v_lshlrev_b64 v[8:9], v6, v[51:52]
	v_and_b32_e32 v51, 7, v8
; %bb.295:                              ;   in Loop: Header=BB221_10 Depth=1
	s_or_b32 exec_lo, exec_lo, s42
	v_lshlrev_b32_e32 v6, 16, v7
	v_lshlrev_b32_e32 v7, 20, v51
	v_lshl_add_u32 v5, v5, 23, 0x3c000000
	v_and_b32_e32 v6, 0x80000000, v6
	v_or3_b32 v6, v7, v6, v5
	v_mov_b32_e32 v5, v52
.LBB221_296:                            ;   in Loop: Header=BB221_10 Depth=1
	s_or_b32 exec_lo, exec_lo, s41
.LBB221_297:                            ;   in Loop: Header=BB221_10 Depth=1
	s_or_b32 exec_lo, exec_lo, s40
.LBB221_298:                            ;   in Loop: Header=BB221_10 Depth=1
	s_or_b32 exec_lo, exec_lo, s3
	global_load_ushort v7, v[69:70], off offset:1032
	v_mov_b32_e32 v9, 0
	v_mov_b32_e32 v10, 0
	s_waitcnt vmcnt(0)
	v_and_b32_e32 v11, 0xffff, v7
	v_cmp_ne_u16_sdwa s2, v7, v52 src0_sel:BYTE_0 src1_sel:DWORD
	v_mov_b32_e32 v7, 0
	v_mov_b32_e32 v8, 0
	s_and_saveexec_b32 s3, s2
	s_cbranch_execz .LBB221_306
; %bb.299:                              ;   in Loop: Header=BB221_10 Depth=1
	v_bfrev_b32_e32 v7, 1
	v_mov_b32_e32 v8, 0
	v_cmp_ne_u16_sdwa s2, v11, v29 src0_sel:BYTE_0 src1_sel:DWORD
	s_and_saveexec_b32 s40, s2
	s_cbranch_execz .LBB221_305
; %bb.300:                              ;   in Loop: Header=BB221_10 Depth=1
	v_mov_b32_e32 v7, 0x7f800001
	v_and_b32_e32 v12, 0x7f, v11
	v_mov_b32_e32 v8, 0
	s_mov_b32 s41, exec_lo
	v_cmpx_ne_u32_e32 0x7f, v12
	s_cbranch_execz .LBB221_304
; %bb.301:                              ;   in Loop: Header=BB221_10 Depth=1
	v_and_b32_e32 v51, 7, v11
	v_lshrrev_b32_e32 v7, 3, v12
	s_mov_b32 s42, exec_lo
	v_cmpx_gt_u32_e32 8, v12
; %bb.302:                              ;   in Loop: Header=BB221_10 Depth=1
	v_ffbh_u32_e32 v7, v51
	v_min_u32_e32 v7, 32, v7
	v_subrev_nc_u32_e32 v8, 28, v7
	v_sub_nc_u32_e32 v7, 29, v7
	v_lshlrev_b64 v[12:13], v8, v[51:52]
	v_and_b32_e32 v51, 7, v12
; %bb.303:                              ;   in Loop: Header=BB221_10 Depth=1
	s_or_b32 exec_lo, exec_lo, s42
	v_lshlrev_b32_e32 v8, 24, v11
	v_lshlrev_b32_e32 v12, 20, v51
	v_lshl_add_u32 v7, v7, 23, 0x3c000000
	v_and_b32_e32 v8, 0x80000000, v8
	v_or3_b32 v51, v12, v8, v7
	v_mov_b32_e32 v7, v51
	v_mov_b32_e32 v8, v52
.LBB221_304:                            ;   in Loop: Header=BB221_10 Depth=1
	s_or_b32 exec_lo, exec_lo, s41
.LBB221_305:                            ;   in Loop: Header=BB221_10 Depth=1
	s_or_b32 exec_lo, exec_lo, s40
.LBB221_306:                            ;   in Loop: Header=BB221_10 Depth=1
	s_or_b32 exec_lo, exec_lo, s3
	v_cmp_ne_u16_sdwa s2, v11, v52 src0_sel:BYTE_1 src1_sel:DWORD
	s_and_saveexec_b32 s3, s2
	s_cbranch_execz .LBB221_314
; %bb.307:                              ;   in Loop: Header=BB221_10 Depth=1
	v_mov_b32_e32 v57, v52
	v_cmp_ne_u16_sdwa s2, v11, v29 src0_sel:BYTE_1 src1_sel:DWORD
	v_mov_b32_e32 v9, v57
	v_mov_b32_e32 v10, v58
	s_and_saveexec_b32 s40, s2
	s_cbranch_execz .LBB221_313
; %bb.308:                              ;   in Loop: Header=BB221_10 Depth=1
	v_mov_b32_e32 v17, v52
	v_and_b32_sdwa v13, v30, v11 dst_sel:DWORD dst_unused:UNUSED_PAD src0_sel:DWORD src1_sel:BYTE_1
	s_mov_b32 s41, exec_lo
	v_mov_b32_e32 v9, v17
	v_and_b32_e32 v12, 0x7f, v13
	v_mov_b32_e32 v10, v18
	v_cmpx_ne_u32_e32 0x7f, v12
	s_cbranch_execz .LBB221_312
; %bb.309:                              ;   in Loop: Header=BB221_10 Depth=1
	v_and_b32_e32 v51, 7, v13
	v_lshrrev_b32_e32 v9, 3, v12
	s_mov_b32 s42, exec_lo
	v_cmpx_gt_u32_e32 8, v12
; %bb.310:                              ;   in Loop: Header=BB221_10 Depth=1
	v_ffbh_u32_e32 v9, v51
	v_min_u32_e32 v9, 32, v9
	v_subrev_nc_u32_e32 v10, 28, v9
	v_sub_nc_u32_e32 v9, 29, v9
	v_lshlrev_b64 v[12:13], v10, v[51:52]
	v_and_b32_e32 v51, 7, v12
; %bb.311:                              ;   in Loop: Header=BB221_10 Depth=1
	s_or_b32 exec_lo, exec_lo, s42
	v_lshlrev_b32_e32 v10, 16, v11
	v_lshlrev_b32_e32 v11, 20, v51
	v_lshl_add_u32 v9, v9, 23, 0x3c000000
	v_and_b32_e32 v10, 0x80000000, v10
	v_or3_b32 v10, v11, v10, v9
	v_mov_b32_e32 v9, v52
.LBB221_312:                            ;   in Loop: Header=BB221_10 Depth=1
	s_or_b32 exec_lo, exec_lo, s41
.LBB221_313:                            ;   in Loop: Header=BB221_10 Depth=1
	s_or_b32 exec_lo, exec_lo, s40
.LBB221_314:                            ;   in Loop: Header=BB221_10 Depth=1
	s_or_b32 exec_lo, exec_lo, s3
	global_load_ushort v11, v[69:70], off offset:1036
	v_mov_b32_e32 v13, 0
	v_mov_b32_e32 v14, 0
	s_waitcnt vmcnt(0)
	v_and_b32_e32 v15, 0xffff, v11
	v_cmp_ne_u16_sdwa s2, v11, v52 src0_sel:BYTE_0 src1_sel:DWORD
	v_mov_b32_e32 v11, 0
	v_mov_b32_e32 v12, 0
	s_and_saveexec_b32 s3, s2
	s_cbranch_execz .LBB221_322
; %bb.315:                              ;   in Loop: Header=BB221_10 Depth=1
	v_bfrev_b32_e32 v11, 1
	v_mov_b32_e32 v12, 0
	v_cmp_ne_u16_sdwa s2, v15, v29 src0_sel:BYTE_0 src1_sel:DWORD
	s_and_saveexec_b32 s40, s2
	s_cbranch_execz .LBB221_321
; %bb.316:                              ;   in Loop: Header=BB221_10 Depth=1
	v_mov_b32_e32 v11, 0x7f800001
	v_and_b32_e32 v16, 0x7f, v15
	v_mov_b32_e32 v12, 0
	s_mov_b32 s41, exec_lo
	v_cmpx_ne_u32_e32 0x7f, v16
	s_cbranch_execz .LBB221_320
; %bb.317:                              ;   in Loop: Header=BB221_10 Depth=1
	v_and_b32_e32 v51, 7, v15
	v_lshrrev_b32_e32 v11, 3, v16
	s_mov_b32 s42, exec_lo
	v_cmpx_gt_u32_e32 8, v16
; %bb.318:                              ;   in Loop: Header=BB221_10 Depth=1
	v_ffbh_u32_e32 v11, v51
	v_min_u32_e32 v11, 32, v11
	v_subrev_nc_u32_e32 v12, 28, v11
	v_sub_nc_u32_e32 v11, 29, v11
	v_lshlrev_b64 v[16:17], v12, v[51:52]
	v_and_b32_e32 v51, 7, v16
; %bb.319:                              ;   in Loop: Header=BB221_10 Depth=1
	s_or_b32 exec_lo, exec_lo, s42
	v_lshlrev_b32_e32 v12, 24, v15
	v_lshlrev_b32_e32 v16, 20, v51
	v_lshl_add_u32 v11, v11, 23, 0x3c000000
	v_and_b32_e32 v12, 0x80000000, v12
	v_or3_b32 v51, v16, v12, v11
	v_mov_b32_e32 v11, v51
	v_mov_b32_e32 v12, v52
.LBB221_320:                            ;   in Loop: Header=BB221_10 Depth=1
	s_or_b32 exec_lo, exec_lo, s41
.LBB221_321:                            ;   in Loop: Header=BB221_10 Depth=1
	s_or_b32 exec_lo, exec_lo, s40
.LBB221_322:                            ;   in Loop: Header=BB221_10 Depth=1
	s_or_b32 exec_lo, exec_lo, s3
	v_cmp_ne_u16_sdwa s2, v15, v52 src0_sel:BYTE_1 src1_sel:DWORD
	s_and_saveexec_b32 s3, s2
	s_cbranch_execz .LBB221_330
; %bb.323:                              ;   in Loop: Header=BB221_10 Depth=1
	v_mov_b32_e32 v57, v52
	v_cmp_ne_u16_sdwa s2, v15, v29 src0_sel:BYTE_1 src1_sel:DWORD
	v_mov_b32_e32 v13, v57
	v_mov_b32_e32 v14, v58
	s_and_saveexec_b32 s40, s2
	s_cbranch_execz .LBB221_329
; %bb.324:                              ;   in Loop: Header=BB221_10 Depth=1
	v_mov_b32_e32 v17, v52
	v_and_b32_sdwa v19, v30, v15 dst_sel:DWORD dst_unused:UNUSED_PAD src0_sel:DWORD src1_sel:BYTE_1
	s_mov_b32 s41, exec_lo
	v_mov_b32_e32 v13, v17
	v_and_b32_e32 v16, 0x7f, v19
	v_mov_b32_e32 v14, v18
	v_cmpx_ne_u32_e32 0x7f, v16
	s_cbranch_execz .LBB221_328
; %bb.325:                              ;   in Loop: Header=BB221_10 Depth=1
	v_and_b32_e32 v51, 7, v19
	v_lshrrev_b32_e32 v13, 3, v16
	s_mov_b32 s42, exec_lo
	v_cmpx_gt_u32_e32 8, v16
; %bb.326:                              ;   in Loop: Header=BB221_10 Depth=1
	v_ffbh_u32_e32 v13, v51
	v_min_u32_e32 v13, 32, v13
	v_subrev_nc_u32_e32 v14, 28, v13
	v_sub_nc_u32_e32 v13, 29, v13
	v_lshlrev_b64 v[16:17], v14, v[51:52]
	v_and_b32_e32 v51, 7, v16
; %bb.327:                              ;   in Loop: Header=BB221_10 Depth=1
	s_or_b32 exec_lo, exec_lo, s42
	v_lshlrev_b32_e32 v14, 16, v15
	v_lshlrev_b32_e32 v15, 20, v51
	v_lshl_add_u32 v13, v13, 23, 0x3c000000
	v_and_b32_e32 v14, 0x80000000, v14
	v_or3_b32 v14, v15, v14, v13
	v_mov_b32_e32 v13, v52
.LBB221_328:                            ;   in Loop: Header=BB221_10 Depth=1
	s_or_b32 exec_lo, exec_lo, s41
.LBB221_329:                            ;   in Loop: Header=BB221_10 Depth=1
	s_or_b32 exec_lo, exec_lo, s40
.LBB221_330:                            ;   in Loop: Header=BB221_10 Depth=1
	s_or_b32 exec_lo, exec_lo, s3
	global_load_ushort v15, v[69:70], off offset:1280
	v_mov_b32_e32 v59, 0
	v_mov_b32_e32 v60, 0
	s_waitcnt vmcnt(0)
	v_and_b32_e32 v19, 0xffff, v15
	v_cmp_ne_u16_sdwa s2, v15, v52 src0_sel:BYTE_0 src1_sel:DWORD
	v_mov_b32_e32 v15, 0
	v_mov_b32_e32 v16, 0
	s_and_saveexec_b32 s3, s2
	s_cbranch_execz .LBB221_338
; %bb.331:                              ;   in Loop: Header=BB221_10 Depth=1
	v_bfrev_b32_e32 v15, 1
	v_mov_b32_e32 v16, 0
	v_cmp_ne_u16_sdwa s2, v19, v29 src0_sel:BYTE_0 src1_sel:DWORD
	s_and_saveexec_b32 s40, s2
	s_cbranch_execz .LBB221_337
; %bb.332:                              ;   in Loop: Header=BB221_10 Depth=1
	v_mov_b32_e32 v15, 0x7f800001
	v_and_b32_e32 v17, 0x7f, v19
	v_mov_b32_e32 v16, 0
	s_mov_b32 s41, exec_lo
	v_cmpx_ne_u32_e32 0x7f, v17
	s_cbranch_execz .LBB221_336
; %bb.333:                              ;   in Loop: Header=BB221_10 Depth=1
	v_and_b32_e32 v51, 7, v19
	v_lshrrev_b32_e32 v15, 3, v17
	s_mov_b32 s42, exec_lo
	v_cmpx_gt_u32_e32 8, v17
; %bb.334:                              ;   in Loop: Header=BB221_10 Depth=1
	v_ffbh_u32_e32 v15, v51
	v_min_u32_e32 v15, 32, v15
	v_subrev_nc_u32_e32 v16, 28, v15
	v_sub_nc_u32_e32 v15, 29, v15
	v_lshlrev_b64 v[16:17], v16, v[51:52]
	v_and_b32_e32 v51, 7, v16
; %bb.335:                              ;   in Loop: Header=BB221_10 Depth=1
	s_or_b32 exec_lo, exec_lo, s42
	v_lshlrev_b32_e32 v16, 24, v19
	v_lshlrev_b32_e32 v17, 20, v51
	v_lshl_add_u32 v15, v15, 23, 0x3c000000
	v_and_b32_e32 v16, 0x80000000, v16
	v_or3_b32 v51, v17, v16, v15
	v_mov_b32_e32 v15, v51
	v_mov_b32_e32 v16, v52
.LBB221_336:                            ;   in Loop: Header=BB221_10 Depth=1
	s_or_b32 exec_lo, exec_lo, s41
.LBB221_337:                            ;   in Loop: Header=BB221_10 Depth=1
	s_or_b32 exec_lo, exec_lo, s40
.LBB221_338:                            ;   in Loop: Header=BB221_10 Depth=1
	s_or_b32 exec_lo, exec_lo, s3
	v_cmp_ne_u16_sdwa s2, v19, v52 src0_sel:BYTE_1 src1_sel:DWORD
	s_and_saveexec_b32 s3, s2
	s_cbranch_execz .LBB221_346
; %bb.339:                              ;   in Loop: Header=BB221_10 Depth=1
	v_mov_b32_e32 v57, v52
	v_mov_b32_e32 v60, v58
	v_cmp_ne_u16_sdwa s2, v19, v29 src0_sel:BYTE_1 src1_sel:DWORD
	v_mov_b32_e32 v59, v57
	s_and_saveexec_b32 s40, s2
	s_cbranch_execz .LBB221_345
; %bb.340:                              ;   in Loop: Header=BB221_10 Depth=1
	v_and_b32_sdwa v23, v30, v19 dst_sel:DWORD dst_unused:UNUSED_PAD src0_sel:DWORD src1_sel:BYTE_1
	v_mov_b32_e32 v17, v52
	v_mov_b32_e32 v60, v18
	s_mov_b32 s41, exec_lo
	v_and_b32_e32 v20, 0x7f, v23
	v_mov_b32_e32 v59, v17
	v_cmpx_ne_u32_e32 0x7f, v20
	s_cbranch_execz .LBB221_344
; %bb.341:                              ;   in Loop: Header=BB221_10 Depth=1
	v_and_b32_e32 v51, 7, v23
	v_lshrrev_b32_e32 v17, 3, v20
	s_mov_b32 s42, exec_lo
	v_cmpx_gt_u32_e32 8, v20
; %bb.342:                              ;   in Loop: Header=BB221_10 Depth=1
	v_ffbh_u32_e32 v17, v51
	v_min_u32_e32 v17, 32, v17
	v_subrev_nc_u32_e32 v20, 28, v17
	v_sub_nc_u32_e32 v17, 29, v17
	v_lshlrev_b64 v[23:24], v20, v[51:52]
	v_and_b32_e32 v51, 7, v23
; %bb.343:                              ;   in Loop: Header=BB221_10 Depth=1
	s_or_b32 exec_lo, exec_lo, s42
	v_lshlrev_b32_e32 v19, 16, v19
	v_lshlrev_b32_e32 v20, 20, v51
	v_lshl_add_u32 v17, v17, 23, 0x3c000000
	v_mov_b32_e32 v59, v52
	v_and_b32_e32 v19, 0x80000000, v19
	v_or3_b32 v60, v20, v19, v17
.LBB221_344:                            ;   in Loop: Header=BB221_10 Depth=1
	s_or_b32 exec_lo, exec_lo, s41
.LBB221_345:                            ;   in Loop: Header=BB221_10 Depth=1
	s_or_b32 exec_lo, exec_lo, s40
.LBB221_346:                            ;   in Loop: Header=BB221_10 Depth=1
	s_or_b32 exec_lo, exec_lo, s3
	global_load_ushort v17, v[69:70], off offset:1284
	v_mov_b32_e32 v63, 0
	v_mov_b32_e32 v19, 0
	v_mov_b32_e32 v64, 0
	v_mov_b32_e32 v20, 0
	s_waitcnt vmcnt(0)
	v_and_b32_e32 v23, 0xffff, v17
	v_cmp_ne_u16_sdwa s2, v17, v52 src0_sel:BYTE_0 src1_sel:DWORD
	s_and_saveexec_b32 s3, s2
	s_cbranch_execz .LBB221_354
; %bb.347:                              ;   in Loop: Header=BB221_10 Depth=1
	v_bfrev_b32_e32 v19, 1
	v_mov_b32_e32 v20, 0
	v_cmp_ne_u16_sdwa s2, v23, v29 src0_sel:BYTE_0 src1_sel:DWORD
	s_and_saveexec_b32 s40, s2
	s_cbranch_execz .LBB221_353
; %bb.348:                              ;   in Loop: Header=BB221_10 Depth=1
	v_mov_b32_e32 v19, 0x7f800001
	v_and_b32_e32 v24, 0x7f, v23
	v_mov_b32_e32 v20, 0
	s_mov_b32 s41, exec_lo
	v_cmpx_ne_u32_e32 0x7f, v24
	s_cbranch_execz .LBB221_352
; %bb.349:                              ;   in Loop: Header=BB221_10 Depth=1
	v_and_b32_e32 v51, 7, v23
	v_lshrrev_b32_e32 v17, 3, v24
	s_mov_b32 s42, exec_lo
	v_cmpx_gt_u32_e32 8, v24
; %bb.350:                              ;   in Loop: Header=BB221_10 Depth=1
	v_ffbh_u32_e32 v17, v51
	v_min_u32_e32 v17, 32, v17
	v_subrev_nc_u32_e32 v19, 28, v17
	v_sub_nc_u32_e32 v17, 29, v17
	v_lshlrev_b64 v[19:20], v19, v[51:52]
	v_and_b32_e32 v51, 7, v19
; %bb.351:                              ;   in Loop: Header=BB221_10 Depth=1
	s_or_b32 exec_lo, exec_lo, s42
	v_lshlrev_b32_e32 v19, 24, v23
	v_lshlrev_b32_e32 v20, 20, v51
	v_lshl_add_u32 v17, v17, 23, 0x3c000000
	v_and_b32_e32 v19, 0x80000000, v19
	v_or3_b32 v51, v20, v19, v17
	v_mov_b32_e32 v19, v51
	v_mov_b32_e32 v20, v52
.LBB221_352:                            ;   in Loop: Header=BB221_10 Depth=1
	s_or_b32 exec_lo, exec_lo, s41
.LBB221_353:                            ;   in Loop: Header=BB221_10 Depth=1
	s_or_b32 exec_lo, exec_lo, s40
.LBB221_354:                            ;   in Loop: Header=BB221_10 Depth=1
	s_or_b32 exec_lo, exec_lo, s3
	v_cmp_ne_u16_sdwa s2, v23, v52 src0_sel:BYTE_1 src1_sel:DWORD
	s_and_saveexec_b32 s3, s2
	s_cbranch_execz .LBB221_362
; %bb.355:                              ;   in Loop: Header=BB221_10 Depth=1
	v_mov_b32_e32 v57, v52
	v_mov_b32_e32 v64, v58
	v_cmp_ne_u16_sdwa s2, v23, v29 src0_sel:BYTE_1 src1_sel:DWORD
	v_mov_b32_e32 v63, v57
	s_and_saveexec_b32 s40, s2
	s_cbranch_execz .LBB221_361
; %bb.356:                              ;   in Loop: Header=BB221_10 Depth=1
	v_and_b32_sdwa v25, v30, v23 dst_sel:DWORD dst_unused:UNUSED_PAD src0_sel:DWORD src1_sel:BYTE_1
	v_mov_b32_e32 v17, v52
	v_mov_b32_e32 v64, v18
	s_mov_b32 s41, exec_lo
	v_and_b32_e32 v24, 0x7f, v25
	v_mov_b32_e32 v63, v17
	v_cmpx_ne_u32_e32 0x7f, v24
	s_cbranch_execz .LBB221_360
; %bb.357:                              ;   in Loop: Header=BB221_10 Depth=1
	v_and_b32_e32 v51, 7, v25
	v_lshrrev_b32_e32 v17, 3, v24
	s_mov_b32 s42, exec_lo
	v_cmpx_gt_u32_e32 8, v24
; %bb.358:                              ;   in Loop: Header=BB221_10 Depth=1
	v_ffbh_u32_e32 v17, v51
	v_min_u32_e32 v17, 32, v17
	v_subrev_nc_u32_e32 v24, 28, v17
	v_sub_nc_u32_e32 v17, 29, v17
	v_lshlrev_b64 v[24:25], v24, v[51:52]
	v_and_b32_e32 v51, 7, v24
; %bb.359:                              ;   in Loop: Header=BB221_10 Depth=1
	s_or_b32 exec_lo, exec_lo, s42
	v_lshlrev_b32_e32 v23, 16, v23
	v_lshlrev_b32_e32 v24, 20, v51
	v_lshl_add_u32 v17, v17, 23, 0x3c000000
	v_mov_b32_e32 v63, v52
	v_and_b32_e32 v23, 0x80000000, v23
	v_or3_b32 v64, v24, v23, v17
.LBB221_360:                            ;   in Loop: Header=BB221_10 Depth=1
	s_or_b32 exec_lo, exec_lo, s41
.LBB221_361:                            ;   in Loop: Header=BB221_10 Depth=1
	s_or_b32 exec_lo, exec_lo, s40
.LBB221_362:                            ;   in Loop: Header=BB221_10 Depth=1
	s_or_b32 exec_lo, exec_lo, s3
	global_load_ushort v17, v[69:70], off offset:1288
	v_mov_b32_e32 v27, 0
	v_mov_b32_e32 v25, 0
	;; [unrolled: 1-line block ×4, first 2 shown]
	s_waitcnt vmcnt(0)
	v_and_b32_e32 v23, 0xffff, v17
	v_cmp_ne_u16_sdwa s2, v17, v52 src0_sel:BYTE_0 src1_sel:DWORD
	s_and_saveexec_b32 s3, s2
	s_cbranch_execz .LBB221_370
; %bb.363:                              ;   in Loop: Header=BB221_10 Depth=1
	v_bfrev_b32_e32 v25, 1
	v_mov_b32_e32 v26, 0
	v_cmp_ne_u16_sdwa s2, v23, v29 src0_sel:BYTE_0 src1_sel:DWORD
	s_and_saveexec_b32 s40, s2
	s_cbranch_execz .LBB221_369
; %bb.364:                              ;   in Loop: Header=BB221_10 Depth=1
	v_mov_b32_e32 v25, 0x7f800001
	v_and_b32_e32 v24, 0x7f, v23
	v_mov_b32_e32 v26, 0
	s_mov_b32 s41, exec_lo
	v_cmpx_ne_u32_e32 0x7f, v24
	s_cbranch_execz .LBB221_368
; %bb.365:                              ;   in Loop: Header=BB221_10 Depth=1
	v_and_b32_e32 v51, 7, v23
	v_lshrrev_b32_e32 v17, 3, v24
	s_mov_b32 s42, exec_lo
	v_cmpx_gt_u32_e32 8, v24
; %bb.366:                              ;   in Loop: Header=BB221_10 Depth=1
	v_ffbh_u32_e32 v17, v51
	v_min_u32_e32 v17, 32, v17
	v_subrev_nc_u32_e32 v24, 28, v17
	v_sub_nc_u32_e32 v17, 29, v17
	v_lshlrev_b64 v[24:25], v24, v[51:52]
	v_and_b32_e32 v51, 7, v24
; %bb.367:                              ;   in Loop: Header=BB221_10 Depth=1
	s_or_b32 exec_lo, exec_lo, s42
	v_lshlrev_b32_e32 v24, 24, v23
	v_lshlrev_b32_e32 v25, 20, v51
	v_lshl_add_u32 v17, v17, 23, 0x3c000000
	v_and_b32_e32 v24, 0x80000000, v24
	v_or3_b32 v51, v25, v24, v17
	v_mov_b32_e32 v25, v51
	v_mov_b32_e32 v26, v52
.LBB221_368:                            ;   in Loop: Header=BB221_10 Depth=1
	s_or_b32 exec_lo, exec_lo, s41
.LBB221_369:                            ;   in Loop: Header=BB221_10 Depth=1
	s_or_b32 exec_lo, exec_lo, s40
.LBB221_370:                            ;   in Loop: Header=BB221_10 Depth=1
	s_or_b32 exec_lo, exec_lo, s3
	v_cmp_ne_u16_sdwa s2, v23, v52 src0_sel:BYTE_1 src1_sel:DWORD
	s_and_saveexec_b32 s3, s2
	s_cbranch_execz .LBB221_378
; %bb.371:                              ;   in Loop: Header=BB221_10 Depth=1
	v_mov_b32_e32 v57, v52
	v_cmp_ne_u16_sdwa s2, v23, v29 src0_sel:BYTE_1 src1_sel:DWORD
	v_mov_b32_e32 v27, v57
	v_mov_b32_e32 v28, v58
	s_and_saveexec_b32 s40, s2
	s_cbranch_execz .LBB221_377
; %bb.372:                              ;   in Loop: Header=BB221_10 Depth=1
	v_and_b32_sdwa v32, v30, v23 dst_sel:DWORD dst_unused:UNUSED_PAD src0_sel:DWORD src1_sel:BYTE_1
	v_mov_b32_e32 v17, v52
	v_mov_b32_e32 v28, v18
	s_mov_b32 s41, exec_lo
	v_and_b32_e32 v24, 0x7f, v32
	v_mov_b32_e32 v27, v17
	v_cmpx_ne_u32_e32 0x7f, v24
	s_cbranch_execz .LBB221_376
; %bb.373:                              ;   in Loop: Header=BB221_10 Depth=1
	v_and_b32_e32 v51, 7, v32
	v_lshrrev_b32_e32 v17, 3, v24
	s_mov_b32 s42, exec_lo
	v_cmpx_gt_u32_e32 8, v24
; %bb.374:                              ;   in Loop: Header=BB221_10 Depth=1
	v_ffbh_u32_e32 v17, v51
	v_min_u32_e32 v17, 32, v17
	v_subrev_nc_u32_e32 v24, 28, v17
	v_sub_nc_u32_e32 v17, 29, v17
	v_lshlrev_b64 v[27:28], v24, v[51:52]
	v_and_b32_e32 v51, 7, v27
; %bb.375:                              ;   in Loop: Header=BB221_10 Depth=1
	s_or_b32 exec_lo, exec_lo, s42
	v_lshlrev_b32_e32 v23, 16, v23
	v_lshlrev_b32_e32 v24, 20, v51
	v_lshl_add_u32 v17, v17, 23, 0x3c000000
	v_mov_b32_e32 v27, v52
	v_and_b32_e32 v23, 0x80000000, v23
	v_or3_b32 v28, v24, v23, v17
.LBB221_376:                            ;   in Loop: Header=BB221_10 Depth=1
	s_or_b32 exec_lo, exec_lo, s41
.LBB221_377:                            ;   in Loop: Header=BB221_10 Depth=1
	s_or_b32 exec_lo, exec_lo, s40
.LBB221_378:                            ;   in Loop: Header=BB221_10 Depth=1
	s_or_b32 exec_lo, exec_lo, s3
	global_load_ushort v17, v[69:70], off offset:1292
	v_mov_b32_e32 v69, 0
	v_mov_b32_e32 v23, 0
	;; [unrolled: 1-line block ×4, first 2 shown]
	s_waitcnt vmcnt(0)
	v_and_b32_e32 v32, 0xffff, v17
	v_cmp_ne_u16_sdwa s2, v17, v52 src0_sel:BYTE_0 src1_sel:DWORD
	s_and_saveexec_b32 s3, s2
	s_cbranch_execz .LBB221_386
; %bb.379:                              ;   in Loop: Header=BB221_10 Depth=1
	v_bfrev_b32_e32 v23, 1
	v_mov_b32_e32 v24, 0
	v_cmp_ne_u16_sdwa s2, v32, v29 src0_sel:BYTE_0 src1_sel:DWORD
	s_and_saveexec_b32 s40, s2
	s_cbranch_execz .LBB221_385
; %bb.380:                              ;   in Loop: Header=BB221_10 Depth=1
	v_mov_b32_e32 v23, 0x7f800001
	v_and_b32_e32 v57, 0x7f, v32
	v_mov_b32_e32 v24, 0
	s_mov_b32 s41, exec_lo
	v_cmpx_ne_u32_e32 0x7f, v57
	s_cbranch_execz .LBB221_384
; %bb.381:                              ;   in Loop: Header=BB221_10 Depth=1
	v_and_b32_e32 v51, 7, v32
	v_lshrrev_b32_e32 v17, 3, v57
	s_mov_b32 s42, exec_lo
	v_cmpx_gt_u32_e32 8, v57
; %bb.382:                              ;   in Loop: Header=BB221_10 Depth=1
	v_ffbh_u32_e32 v17, v51
	v_min_u32_e32 v17, 32, v17
	v_subrev_nc_u32_e32 v23, 28, v17
	v_sub_nc_u32_e32 v17, 29, v17
	v_lshlrev_b64 v[23:24], v23, v[51:52]
	v_and_b32_e32 v51, 7, v23
; %bb.383:                              ;   in Loop: Header=BB221_10 Depth=1
	s_or_b32 exec_lo, exec_lo, s42
	v_lshlrev_b32_e32 v23, 24, v32
	v_lshlrev_b32_e32 v24, 20, v51
	v_lshl_add_u32 v17, v17, 23, 0x3c000000
	v_and_b32_e32 v23, 0x80000000, v23
	v_or3_b32 v51, v24, v23, v17
	v_mov_b32_e32 v23, v51
	v_mov_b32_e32 v24, v52
.LBB221_384:                            ;   in Loop: Header=BB221_10 Depth=1
	s_or_b32 exec_lo, exec_lo, s41
.LBB221_385:                            ;   in Loop: Header=BB221_10 Depth=1
	s_or_b32 exec_lo, exec_lo, s40
.LBB221_386:                            ;   in Loop: Header=BB221_10 Depth=1
	s_or_b32 exec_lo, exec_lo, s3
	v_cmp_ne_u16_sdwa s2, v32, v52 src0_sel:BYTE_1 src1_sel:DWORD
	s_and_saveexec_b32 s3, s2
	s_cbranch_execz .LBB221_394
; %bb.387:                              ;   in Loop: Header=BB221_10 Depth=1
	v_mov_b32_e32 v57, v52
	v_mov_b32_e32 v70, v58
	v_cmp_ne_u16_sdwa s2, v32, v29 src0_sel:BYTE_1 src1_sel:DWORD
	v_mov_b32_e32 v69, v57
	s_and_saveexec_b32 s40, s2
	s_cbranch_execz .LBB221_393
; %bb.388:                              ;   in Loop: Header=BB221_10 Depth=1
	v_and_b32_sdwa v51, v30, v32 dst_sel:DWORD dst_unused:UNUSED_PAD src0_sel:DWORD src1_sel:BYTE_1
	v_mov_b32_e32 v17, v52
	v_mov_b32_e32 v70, v18
	s_mov_b32 s41, exec_lo
	v_and_b32_e32 v57, 0x7f, v51
	v_mov_b32_e32 v69, v17
	v_cmpx_ne_u32_e32 0x7f, v57
	s_cbranch_execz .LBB221_392
; %bb.389:                              ;   in Loop: Header=BB221_10 Depth=1
	v_and_b32_e32 v51, 7, v51
	v_lshrrev_b32_e32 v17, 3, v57
	s_mov_b32 s42, exec_lo
	v_cmpx_gt_u32_e32 8, v57
; %bb.390:                              ;   in Loop: Header=BB221_10 Depth=1
	v_ffbh_u32_e32 v17, v51
	v_min_u32_e32 v17, 32, v17
	v_subrev_nc_u32_e32 v57, 28, v17
	v_sub_nc_u32_e32 v17, 29, v17
	v_lshlrev_b64 v[69:70], v57, v[51:52]
	v_and_b32_e32 v51, 7, v69
; %bb.391:                              ;   in Loop: Header=BB221_10 Depth=1
	s_or_b32 exec_lo, exec_lo, s42
	v_lshlrev_b32_e32 v32, 16, v32
	v_lshlrev_b32_e32 v51, 20, v51
	v_lshl_add_u32 v17, v17, 23, 0x3c000000
	v_mov_b32_e32 v69, v52
	v_and_b32_e32 v32, 0x80000000, v32
	v_or3_b32 v70, v51, v32, v17
.LBB221_392:                            ;   in Loop: Header=BB221_10 Depth=1
	s_or_b32 exec_lo, exec_lo, s41
.LBB221_393:                            ;   in Loop: Header=BB221_10 Depth=1
	s_or_b32 exec_lo, exec_lo, s40
.LBB221_394:                            ;   in Loop: Header=BB221_10 Depth=1
	s_or_b32 exec_lo, exec_lo, s3
	v_or_b32_e32 v51, v94, v92
	v_or_b32_e32 v57, v93, v91
	;; [unrolled: 1-line block ×4, first 2 shown]
	s_clause 0x3
	buffer_load_dword v89, off, s[44:47], 0 offset:4
	buffer_load_dword v90, off, s[44:47], 0 offset:8
	buffer_load_dword v91, off, s[44:47], 0 offset:12
	buffer_load_dword v92, off, s[44:47], 0 offset:16
	v_or_b32_e32 v22, v22, v62
	v_or_b32_e32 v21, v21, v61
	;; [unrolled: 1-line block ×12, first 2 shown]
	v_mul_f32_e32 v16, s4, v21
	v_mul_f32_e32 v19, s39, v22
	s_clause 0x3
	buffer_load_dword v20, off, s[44:47], 0 offset:20
	buffer_load_dword v21, off, s[44:47], 0 offset:24
	;; [unrolled: 1-line block ×4, first 2 shown]
	v_or_b32_e32 v67, v67, v65
	v_or_b32_e32 v10, v59, v15
	v_or_b32_e32 v65, v68, v66
	v_or_b32_e32 v71, v73, v71
	v_or_b32_e32 v72, v74, v72
	v_mul_f32_e32 v15, s4, v67
	v_or_b32_e32 v75, v77, v75
	v_or_b32_e32 v76, v78, v76
	;; [unrolled: 1-line block ×27, first 2 shown]
	v_mul_f32_e32 v1, s4, v1
	s_waitcnt vmcnt(5)
	v_mul_f32_e32 v15, v91, v15
	v_fmac_f32_e32 v15, v89, v16
	v_mul_f32_e32 v16, s39, v65
	s_waitcnt vmcnt(4)
	v_mul_f32_e32 v16, v92, v16
	v_fmac_f32_e32 v16, v90, v19
	v_mul_f32_e32 v19, s4, v71
	s_waitcnt vmcnt(3)
	v_fmac_f32_e32 v15, v20, v19
	v_mul_f32_e32 v19, s39, v72
	s_waitcnt vmcnt(2)
	;; [unrolled: 3-line block ×4, first 2 shown]
	v_fmac_f32_e32 v16, v23, v19
	s_clause 0x3
	buffer_load_dword v20, off, s[44:47], 0 offset:36
	buffer_load_dword v21, off, s[44:47], 0 offset:40
	buffer_load_dword v22, off, s[44:47], 0 offset:44
	buffer_load_dword v23, off, s[44:47], 0 offset:48
	v_mul_f32_e32 v19, s4, v79
	s_waitcnt vmcnt(3)
	v_fmac_f32_e32 v15, v20, v19
	v_mul_f32_e32 v19, s39, v80
	s_waitcnt vmcnt(2)
	v_fmac_f32_e32 v16, v21, v19
	v_mul_f32_e32 v19, s4, v83
	s_waitcnt vmcnt(1)
	v_fmac_f32_e32 v15, v22, v19
	v_mul_f32_e32 v19, s39, v84
	s_waitcnt vmcnt(0)
	v_fmac_f32_e32 v16, v23, v19
	s_clause 0x3
	buffer_load_dword v20, off, s[44:47], 0 offset:52
	buffer_load_dword v21, off, s[44:47], 0 offset:56
	buffer_load_dword v22, off, s[44:47], 0 offset:60
	buffer_load_dword v23, off, s[44:47], 0 offset:64
	v_mul_f32_e32 v19, s4, v87
	s_waitcnt vmcnt(3)
	v_fmac_f32_e32 v15, v20, v19
	v_mul_f32_e32 v19, s39, v88
	s_waitcnt vmcnt(2)
	v_fmac_f32_e32 v16, v21, v19
	v_mul_f32_e32 v19, s4, v57
	s_waitcnt vmcnt(1)
	v_fmac_f32_e32 v15, v22, v19
	v_mul_f32_e32 v19, s39, v51
	s_waitcnt vmcnt(0)
	;; [unrolled: 17-line block ×5, first 2 shown]
	v_fmac_f32_e32 v16, v23, v19
	s_clause 0x3
	buffer_load_dword v20, off, s[44:47], 0 offset:116
	buffer_load_dword v21, off, s[44:47], 0 offset:120
	;; [unrolled: 1-line block ×4, first 2 shown]
	v_mul_f32_e32 v19, s4, v82
	s_waitcnt vmcnt(3)
	v_fmac_f32_e32 v15, v20, v19
	v_mul_f32_e32 v19, s39, v81
	s_waitcnt vmcnt(2)
	v_fmac_f32_e32 v16, v21, v19
	;; [unrolled: 3-line block ×3, first 2 shown]
	v_mul_f32_e32 v19, s39, v85
	s_waitcnt lgkmcnt(3)
	v_fmac_f32_e32 v15, v33, v1
	v_mul_f32_e32 v1, s39, v2
	buffer_load_dword v2, off, s[44:47], 0 offset:132 ; 4-byte Folded Reload
	s_waitcnt vmcnt(1)
	v_fmac_f32_e32 v16, v23, v19
	v_fmac_f32_e32 v16, v34, v1
	v_mul_f32_e32 v1, s4, v3
	v_fmac_f32_e32 v15, v35, v1
	v_mul_f32_e32 v1, s39, v4
	v_fmac_f32_e32 v16, v36, v1
	v_mul_f32_e32 v1, s4, v6
	s_waitcnt lgkmcnt(2)
	v_fmac_f32_e32 v15, v37, v1
	v_mul_f32_e32 v1, s39, v5
	v_fmac_f32_e32 v16, v38, v1
	v_mul_f32_e32 v1, s4, v8
	v_fmac_f32_e32 v15, v39, v1
	v_mul_f32_e32 v1, s39, v7
	v_fmac_f32_e32 v16, v40, v1
	v_mul_f32_e32 v1, s4, v10
	s_waitcnt lgkmcnt(1)
	v_fmac_f32_e32 v15, v41, v1
	v_mul_f32_e32 v1, s39, v9
	v_fmac_f32_e32 v16, v42, v1
	v_mul_f32_e32 v1, s4, v12
	v_fmac_f32_e32 v15, v43, v1
	v_mul_f32_e32 v1, s39, v11
	v_fmac_f32_e32 v16, v44, v1
	v_mul_f32_e32 v1, s4, v25
	s_waitcnt lgkmcnt(0)
	v_fmac_f32_e32 v15, v45, v1
	v_mul_f32_e32 v1, s39, v17
	v_fmac_f32_e32 v16, v46, v1
	v_mul_f32_e32 v1, s4, v14
	v_fmac_f32_e32 v15, v47, v1
	v_mul_f32_e32 v1, s39, v13
	v_fmac_f32_e32 v16, v48, v1
	v_add_f32_e32 v1, v15, v16
	s_waitcnt vmcnt(0)
	ds_bpermute_b32 v2, v2, v1
	s_and_saveexec_b32 s3, vcc_lo
	s_cbranch_execz .LBB221_9
; %bb.395:                              ;   in Loop: Header=BB221_10 Depth=1
	buffer_load_dword v4, off, s[44:47], 0  ; 4-byte Folded Reload
	v_add_nc_u32_e32 v3, s5, v127
	s_waitcnt lgkmcnt(0)
	v_add_f32_e32 v1, v1, v2
	v_cmp_gt_i32_e64 s2, s27, v127
	v_cvt_f32_i32_e32 v3, v3
	v_mul_f32_e32 v3, s36, v3
	v_cndmask_b32_e64 v2, 0, v3, s1
	v_fmac_f32_e32 v2, s37, v1
	s_waitcnt vmcnt(0)
	v_max_f32_e32 v3, v4, v4
	v_max_f32_e32 v1, v3, v2
	v_cndmask_b32_e64 v2, 0, v2, s2
	v_cndmask_b32_e64 v4, v4, v1, s2
	ds_write_b32 v0, v2
	buffer_store_dword v4, off, s[44:47], 0 ; 4-byte Folded Spill
	s_branch .LBB221_9
.LBB221_396:
	s_or_b32 exec_lo, exec_lo, s16
	s_clause 0x4
	buffer_load_dword v95, off, s[44:47], 0 offset:144
	buffer_load_dword v96, off, s[44:47], 0 offset:148
	;; [unrolled: 1-line block ×4, first 2 shown]
	buffer_load_dword v3, off, s[44:47], 0
	v_mov_b32_e32 v8, 32
.LBB221_397:
	s_or_b32 exec_lo, exec_lo, s38
	s_waitcnt vmcnt(1)
	v_xor_b32_e32 v0, 16, v12
	s_waitcnt lgkmcnt(0)
	v_xor_b32_e32 v2, 8, v12
	s_waitcnt vmcnt(0)
	v_max_f32_e32 v4, v3, v3
	v_xor_b32_e32 v5, 2, v12
	v_and_b32_e32 v25, 31, v95
	v_cmp_lt_i32_e32 vcc_lo, v0, v8
	v_cndmask_b32_e32 v0, v12, v0, vcc_lo
	v_cmp_lt_i32_e32 vcc_lo, v2, v8
	v_lshlrev_b32_e32 v1, 2, v0
	v_cndmask_b32_e32 v2, v12, v2, vcc_lo
	ds_bpermute_b32 v0, v1, v3
	v_lshlrev_b32_e32 v3, 2, v2
	s_waitcnt lgkmcnt(0)
	v_max_f32_e32 v0, v0, v0
	v_max_f32_e32 v0, v4, v0
	v_xor_b32_e32 v4, 4, v12
	ds_bpermute_b32 v2, v3, v0
	v_cmp_lt_i32_e32 vcc_lo, v4, v8
	v_cndmask_b32_e32 v4, v12, v4, vcc_lo
	v_cmp_lt_i32_e32 vcc_lo, v5, v8
	v_lshlrev_b32_e32 v4, 2, v4
	v_cndmask_b32_e32 v5, v12, v5, vcc_lo
	v_cmp_eq_u32_e32 vcc_lo, 0, v25
	v_lshlrev_b32_e32 v26, 2, v5
	v_lshlrev_b32_e32 v5, 2, v96
	s_waitcnt lgkmcnt(0)
	v_max_f32_e32 v2, v2, v2
	v_max_f32_e32 v0, v0, v2
	ds_bpermute_b32 v2, v4, v0
	s_waitcnt lgkmcnt(0)
	v_max_f32_e32 v2, v2, v2
	v_max_f32_e32 v0, v0, v2
	ds_bpermute_b32 v2, v26, v0
	s_and_saveexec_b32 s1, vcc_lo
	s_cbranch_execz .LBB221_399
; %bb.398:
	s_waitcnt lgkmcnt(0)
	v_max_f32_e32 v2, v2, v2
	v_max_f32_e32 v0, v0, v0
	;; [unrolled: 1-line block ×3, first 2 shown]
	ds_write_b32 v5, v0 offset:384
.LBB221_399:
	s_or_b32 exec_lo, exec_lo, s1
	v_cmp_gt_u32_e64 s1, 4, v25
	v_mov_b32_e32 v0, 0xff7fffff
	v_lshlrev_b32_e32 v6, 2, v25
	s_waitcnt lgkmcnt(0)
	s_waitcnt_vscnt null, 0x0
	s_barrier
	buffer_gl0_inv
	s_and_saveexec_b32 s2, s1
; %bb.400:
	ds_read_b32 v0, v6 offset:384
; %bb.401:
	s_or_b32 exec_lo, exec_lo, s2
	s_waitcnt lgkmcnt(0)
	ds_bpermute_b32 v2, v26, v0
	v_xor_b32_e32 v7, 1, v12
	v_max_f32_e32 v0, v0, v0
	v_cmp_lt_i32_e64 s2, v7, v8
	v_cndmask_b32_e64 v7, v12, v7, s2
	s_sub_i32 s2, s11, s15
	s_lshl_b32 s2, s2, 4
	v_lshlrev_b32_e32 v27, 2, v7
	s_add_i32 s2, s2, s33
	v_mov_b32_e32 v7, 0
	s_min_i32 s2, s2, s27
	s_waitcnt lgkmcnt(0)
	v_max_f32_e32 v2, v2, v2
	s_sub_i32 s4, s2, s33
	v_cmp_gt_i32_e64 s2, s4, v95
	v_max_f32_e32 v0, v0, v2
	ds_bpermute_b32 v2, v27, v0
	s_waitcnt lgkmcnt(0)
	v_max_f32_e32 v2, v2, v2
	v_max_f32_e32 v0, v0, v2
	v_lshlrev_b32_e32 v2, 2, v52
	ds_bpermute_b32 v0, v2, v0
	v_lshl_add_u32 v2, v95, 2, 0x1a0
	s_and_saveexec_b32 s5, s2
	s_cbranch_execz .LBB221_405
; %bb.402:
	v_lshl_add_u32 v8, v95, 2, 0x1a0
	v_mov_b32_e32 v7, 0
	v_mov_b32_e32 v9, v95
	s_mov_b32 s15, 0
	.p2align	6
.LBB221_403:                            ; =>This Inner Loop Header: Depth=1
	ds_read_b32 v10, v8
	v_add_nc_u32_e32 v9, 0x80, v9
	v_cmp_le_i32_e64 s3, s4, v9
	s_or_b32 s15, s3, s15
	s_waitcnt lgkmcnt(0)
	v_sub_f32_e32 v10, v10, v0
	v_mul_f32_e32 v10, 0x3fb8aa3b, v10
	v_exp_f32_e32 v10, v10
	ds_write_b32 v8, v10
	v_add_f32_e32 v7, v7, v10
	v_add_nc_u32_e32 v8, 0x200, v8
	s_andn2_b32 exec_lo, exec_lo, s15
	s_cbranch_execnz .LBB221_403
; %bb.404:
	s_or_b32 exec_lo, exec_lo, s15
.LBB221_405:
	s_or_b32 exec_lo, exec_lo, s5
	ds_bpermute_b32 v1, v1, v7
	s_waitcnt lgkmcnt(0)
	v_add_f32_e32 v1, v7, v1
	ds_bpermute_b32 v3, v3, v1
	s_waitcnt lgkmcnt(0)
	v_add_f32_e32 v1, v1, v3
	;; [unrolled: 3-line block ×5, first 2 shown]
	s_and_saveexec_b32 s3, vcc_lo
; %bb.406:
	ds_write_b32 v5, v1 offset:400
; %bb.407:
	s_or_b32 exec_lo, exec_lo, s3
	s_waitcnt lgkmcnt(0)
	s_barrier
	buffer_gl0_inv
	s_and_saveexec_b32 s3, s1
; %bb.408:
	ds_read_b32 v1, v6 offset:400
; %bb.409:
	s_or_b32 exec_lo, exec_lo, s3
	s_waitcnt lgkmcnt(0)
	ds_bpermute_b32 v3, v26, v1
	v_lshlrev_b32_e32 v4, 2, v12
	s_waitcnt lgkmcnt(0)
	v_add_f32_e32 v1, v1, v3
	ds_bpermute_b32 v3, v27, v1
	s_waitcnt lgkmcnt(0)
	v_add_f32_e32 v1, v1, v3
	v_and_b32_e32 v3, 0xffffff80, v4
	ds_bpermute_b32 v1, v3, v1
	s_and_saveexec_b32 s1, s2
	s_cbranch_execz .LBB221_412
; %bb.410:
	s_waitcnt lgkmcnt(0)
	v_add_f32_e32 v3, 0x358637bd, v1
	s_mov_b32 s2, 0
	v_div_scale_f32 v4, null, v3, v3, 1.0
	v_div_scale_f32 v7, vcc_lo, 1.0, v3, 1.0
	v_rcp_f32_e32 v5, v4
	v_fma_f32 v6, -v4, v5, 1.0
	v_fmac_f32_e32 v5, v6, v5
	v_mul_f32_e32 v6, v7, v5
	v_fma_f32 v8, -v4, v6, v7
	v_fmac_f32_e32 v6, v8, v5
	v_fma_f32 v4, -v4, v6, v7
	v_div_fmas_f32 v4, v4, v5, v6
	v_div_fixup_f32 v3, v4, v3, 1.0
	v_mov_b32_e32 v4, v95
.LBB221_411:                            ; =>This Inner Loop Header: Depth=1
	ds_read_b32 v5, v2
	v_add_nc_u32_e32 v4, 0x80, v4
	v_cmp_le_i32_e32 vcc_lo, s4, v4
	s_or_b32 s2, vcc_lo, s2
	s_waitcnt lgkmcnt(0)
	v_mul_f32_e32 v5, v3, v5
	ds_write_b32 v2, v5
	v_add_nc_u32_e32 v2, 0x200, v2
	s_andn2_b32 exec_lo, exec_lo, s2
	s_cbranch_execnz .LBB221_411
.LBB221_412:
	s_or_b32 exec_lo, exec_lo, s1
	s_mul_i32 s1, s7, s26
	s_waitcnt lgkmcnt(0)
	s_mul_i32 s2, s1, s9
	s_mov_b32 s1, exec_lo
	s_barrier
	buffer_gl0_inv
	v_cmpx_eq_u32_e32 0, v95
	s_cbranch_execz .LBB221_414
; %bb.413:
	s_ashr_i32 s3, s2, 31
	s_mul_i32 s16, s7, s6
	s_lshl_b64 s[4:5], s[2:3], 2
	v_mov_b32_e32 v2, 0
	s_add_u32 s3, s22, s4
	s_addc_u32 s6, s23, s5
	s_ashr_i32 s17, s16, 31
	s_lshl_b64 s[16:17], s[16:17], 2
	s_add_u32 s3, s3, s16
	s_addc_u32 s6, s6, s17
	s_ashr_i32 s9, s8, 31
	s_lshl_b64 s[22:23], s[8:9], 2
	s_add_u32 s36, s3, s22
	s_addc_u32 s37, s6, s23
	s_add_u32 s3, s20, s4
	s_addc_u32 s4, s21, s5
	;; [unrolled: 2-line block ×4, first 2 shown]
	global_store_dword v2, v0, s[36:37]
	global_store_dword v2, v1, s[4:5]
.LBB221_414:
	s_or_b32 exec_lo, exec_lo, s1
	v_mov_b32_e32 v37, 0
	v_and_b32_e32 v28, 3, v95
	v_mov_b32_e32 v39, 0
	v_mov_b32_e32 v38, 0
	;; [unrolled: 1-line block ×11, first 2 shown]
	s_and_saveexec_b32 s1, s0
	s_cbranch_execz .LBB221_826
; %bb.415:
	s_load_dword s3, s[18:19], 0x0
	v_and_b32_e32 v0, 12, v11
	v_and_b32_e32 v1, 0x7c, v11
	v_lshl_add_u32 v3, v96, 4, s33
	s_ashr_i32 s0, s14, 31
	s_add_u32 s4, s34, s14
	v_lshlrev_b32_e32 v2, 4, v28
	s_addc_u32 s0, s35, s0
	v_add_co_u32 v7, s4, s4, v1
	v_add3_u32 v40, v3, v0, 3
	v_lshlrev_b64 v[0:1], 2, v[49:50]
	v_add_co_ci_u32_e64 v8, null, s0, 0, s4
	s_lshl_b64 s[4:5], s[30:31], 2
	s_add_i32 s12, s12, -1
	v_lshl_or_b32 v2, v96, 6, v2
	s_add_u32 s0, s28, s4
	s_addc_u32 s4, s29, s5
	v_add_co_u32 v9, vcc_lo, s0, v0
	v_mov_b32_e32 v6, 0
	v_add_nc_u32_e32 v41, 0x1a0, v2
	v_add_co_ci_u32_e64 v10, null, s4, v1, vcc_lo
	v_mov_b32_e32 v42, 0x80
	v_bfrev_b32_e32 v12, 1
	v_mov_b32_e32 v43, 0xffff
	v_mov_b32_e32 v14, 0x7f800001
	;; [unrolled: 1-line block ×17, first 2 shown]
	s_mov_b32 s4, s13
	s_waitcnt lgkmcnt(0)
	s_mov_b32 s6, s3
	s_mov_b32 s5, 0
	s_branch .LBB221_417
.LBB221_416:                            ;   in Loop: Header=BB221_417 Depth=1
	s_or_b32 exec_lo, exec_lo, s0
	s_waitcnt lgkmcnt(0)
	v_mul_f32_e32 v16, v1, v92
	v_mul_f32_e32 v17, v1, v90
	;; [unrolled: 1-line block ×5, first 2 shown]
	v_fmac_f32_e32 v16, v2, v91
	v_fmac_f32_e32 v17, v2, v89
	;; [unrolled: 1-line block ×4, first 2 shown]
	v_mul_f32_e32 v21, v1, v74
	v_fmac_f32_e32 v16, v3, v24
	v_fmac_f32_e32 v17, v3, v88
	;; [unrolled: 1-line block ×4, first 2 shown]
	v_mul_f32_e32 v22, v1, v70
	v_fmac_f32_e32 v16, v4, v23
	v_fmac_f32_e32 v17, v4, v87
	;; [unrolled: 1-line block ×5, first 2 shown]
	v_add_f32_e32 v29, v29, v16
	v_add_f32_e32 v30, v30, v17
	;; [unrolled: 1-line block ×4, first 2 shown]
	v_mul_f32_e32 v16, v1, v66
	v_mul_f32_e32 v17, v1, v62
	v_mul_f32_e32 v18, v1, v58
	v_mul_f32_e32 v19, v1, v51
	v_mul_f32_e32 v1, v1, v15
	v_fmac_f32_e32 v21, v2, v73
	v_fmac_f32_e32 v22, v2, v69
	;; [unrolled: 1-line block ×15, first 2 shown]
	v_add_nc_u32_e32 v49, 4, v49
	v_fmac_f32_e32 v20, v4, v75
	v_fmac_f32_e32 v21, v4, v71
	;; [unrolled: 1-line block ×8, first 2 shown]
	v_cmp_le_i32_e32 vcc_lo, s11, v49
	v_add_co_u32 v9, s0, v9, 16
	v_add_f32_e32 v33, v33, v20
	v_add_f32_e32 v34, v34, v21
	;; [unrolled: 1-line block ×8, first 2 shown]
	v_add_nc_u32_e32 v40, 64, v40
	v_add_nc_u32_e32 v41, 0x100, v41
	v_add_co_ci_u32_e64 v10, null, 0, v10, s0
	s_or_b32 s5, vcc_lo, s5
	s_andn2_b32 exec_lo, exec_lo, s5
	s_cbranch_execz .LBB221_825
.LBB221_417:                            ; =>This Inner Loop Header: Depth=1
	global_load_dword v1, v[9:10], off
	v_mov_b32_e32 v19, 0
	v_mov_b32_e32 v17, 0
	;; [unrolled: 1-line block ×4, first 2 shown]
	s_waitcnt vmcnt(0)
	v_mad_i64_i32 v[15:16], null, v1, s4, v[7:8]
	ds_read_b128 v[1:4], v41
	global_load_dword v47, v[15:16], off
	s_waitcnt vmcnt(0)
	v_cmp_ne_u16_sdwa s9, v47, v6 src0_sel:BYTE_0 src1_sel:DWORD
	s_and_saveexec_b32 s0, s9
	s_cbranch_execz .LBB221_425
; %bb.418:                              ;   in Loop: Header=BB221_417 Depth=1
	v_bfrev_b32_e32 v17, 1
	v_mov_b32_e32 v18, 0
	v_cmp_ne_u16_sdwa s13, v47, v42 src0_sel:BYTE_0 src1_sel:DWORD
	s_and_saveexec_b32 s9, s13
	s_cbranch_execz .LBB221_424
; %bb.419:                              ;   in Loop: Header=BB221_417 Depth=1
	v_mov_b32_e32 v17, 0x7f800001
	v_and_b32_e32 v13, 0x7f, v47
	v_mov_b32_e32 v18, 0
	s_mov_b32 s13, exec_lo
	v_cmpx_ne_u32_e32 0x7f, v13
	s_cbranch_execz .LBB221_423
; %bb.420:                              ;   in Loop: Header=BB221_417 Depth=1
	v_and_b32_e32 v5, 7, v47
	v_lshrrev_b32_e32 v11, 3, v13
	s_mov_b32 s14, exec_lo
	v_cmpx_gt_u32_e32 8, v13
; %bb.421:                              ;   in Loop: Header=BB221_417 Depth=1
	v_ffbh_u32_e32 v11, v5
	v_min_u32_e32 v11, 32, v11
	v_subrev_nc_u32_e32 v13, 28, v11
	v_sub_nc_u32_e32 v11, 29, v11
	v_lshlrev_b64 v[17:18], v13, v[5:6]
	v_and_b32_e32 v5, 7, v17
; %bb.422:                              ;   in Loop: Header=BB221_417 Depth=1
	s_or_b32 exec_lo, exec_lo, s14
	v_lshlrev_b32_e32 v13, 24, v47
	v_lshlrev_b32_e32 v5, 20, v5
	v_lshl_add_u32 v11, v11, 23, 0x3c000000
	v_and_b32_e32 v13, 0x80000000, v13
	v_or3_b32 v5, v5, v13, v11
	v_mov_b32_e32 v18, v6
	v_mov_b32_e32 v17, v5
.LBB221_423:                            ;   in Loop: Header=BB221_417 Depth=1
	s_or_b32 exec_lo, exec_lo, s13
.LBB221_424:                            ;   in Loop: Header=BB221_417 Depth=1
	s_or_b32 exec_lo, exec_lo, s9
.LBB221_425:                            ;   in Loop: Header=BB221_417 Depth=1
	s_or_b32 exec_lo, exec_lo, s0
	v_cmp_ne_u16_sdwa s9, v47, v6 src0_sel:BYTE_1 src1_sel:DWORD
	s_and_saveexec_b32 s0, s9
	s_cbranch_execz .LBB221_433
; %bb.426:                              ;   in Loop: Header=BB221_417 Depth=1
	v_mov_b32_e32 v11, v6
	v_mov_b32_e32 v20, v12
	v_cmp_ne_u16_sdwa s13, v47, v42 src0_sel:BYTE_1 src1_sel:DWORD
	v_mov_b32_e32 v19, v11
	s_and_saveexec_b32 s9, s13
	s_cbranch_execz .LBB221_432
; %bb.427:                              ;   in Loop: Header=BB221_417 Depth=1
	v_and_b32_sdwa v5, v43, v47 dst_sel:DWORD dst_unused:UNUSED_PAD src0_sel:DWORD src1_sel:BYTE_1
	v_mov_b32_e32 v13, v6
	v_mov_b32_e32 v20, v14
	s_mov_b32 s13, exec_lo
	v_and_b32_e32 v21, 0x7f, v5
	v_mov_b32_e32 v19, v13
	v_cmpx_ne_u32_e32 0x7f, v21
	s_cbranch_execz .LBB221_431
; %bb.428:                              ;   in Loop: Header=BB221_417 Depth=1
	v_and_b32_e32 v5, 7, v5
	v_lshrrev_b32_e32 v11, 3, v21
	s_mov_b32 s14, exec_lo
	v_cmpx_gt_u32_e32 8, v21
; %bb.429:                              ;   in Loop: Header=BB221_417 Depth=1
	v_ffbh_u32_e32 v11, v5
	v_min_u32_e32 v11, 32, v11
	v_subrev_nc_u32_e32 v13, 28, v11
	v_sub_nc_u32_e32 v11, 29, v11
	v_lshlrev_b64 v[19:20], v13, v[5:6]
	v_and_b32_e32 v5, 7, v19
; %bb.430:                              ;   in Loop: Header=BB221_417 Depth=1
	s_or_b32 exec_lo, exec_lo, s14
	v_lshlrev_b32_e32 v13, 16, v47
	v_lshlrev_b32_e32 v5, 20, v5
	v_lshl_add_u32 v11, v11, 23, 0x3c000000
	v_mov_b32_e32 v19, v6
	v_and_b32_e32 v13, 0x80000000, v13
	v_or3_b32 v20, v5, v13, v11
.LBB221_431:                            ;   in Loop: Header=BB221_417 Depth=1
	s_or_b32 exec_lo, exec_lo, s13
.LBB221_432:                            ;   in Loop: Header=BB221_417 Depth=1
	s_or_b32 exec_lo, exec_lo, s9
.LBB221_433:                            ;   in Loop: Header=BB221_417 Depth=1
	s_or_b32 exec_lo, exec_lo, s0
	v_mov_b32_e32 v23, 0
	v_mov_b32_e32 v21, 0
	v_and_b32_sdwa v5, v47, v44 dst_sel:DWORD dst_unused:UNUSED_PAD src0_sel:WORD_1 src1_sel:DWORD
	v_mov_b32_e32 v24, 0
	v_mov_b32_e32 v22, 0
	s_mov_b32 s0, exec_lo
	v_cmpx_ne_u16_e32 0, v5
	s_cbranch_execz .LBB221_441
; %bb.434:                              ;   in Loop: Header=BB221_417 Depth=1
	v_bfrev_b32_e32 v21, 1
	v_mov_b32_e32 v22, 0
	s_mov_b32 s9, exec_lo
	v_cmpx_ne_u16_e32 0x80, v5
	s_cbranch_execz .LBB221_440
; %bb.435:                              ;   in Loop: Header=BB221_417 Depth=1
	v_mov_b32_e32 v21, 0x7f800001
	v_bfe_u32 v13, v47, 16, 7
	v_mov_b32_e32 v22, 0
	s_mov_b32 s13, exec_lo
	v_cmpx_ne_u32_e32 0x7f, v13
	s_cbranch_execz .LBB221_439
; %bb.436:                              ;   in Loop: Header=BB221_417 Depth=1
	v_and_b32_sdwa v5, v47, v45 dst_sel:DWORD dst_unused:UNUSED_PAD src0_sel:WORD_1 src1_sel:DWORD
	v_lshrrev_b32_e32 v11, 3, v13
	s_mov_b32 s14, exec_lo
	v_cmpx_gt_u32_e32 8, v13
; %bb.437:                              ;   in Loop: Header=BB221_417 Depth=1
	v_ffbh_u32_e32 v11, v5
	v_min_u32_e32 v11, 32, v11
	v_subrev_nc_u32_e32 v13, 28, v11
	v_sub_nc_u32_e32 v11, 29, v11
	v_lshlrev_b64 v[21:22], v13, v[5:6]
	v_and_b32_e32 v5, 7, v21
; %bb.438:                              ;   in Loop: Header=BB221_417 Depth=1
	s_or_b32 exec_lo, exec_lo, s14
	v_lshlrev_b32_sdwa v13, v46, v47 dst_sel:DWORD dst_unused:UNUSED_PAD src0_sel:DWORD src1_sel:WORD_1
	v_lshlrev_b32_e32 v5, 20, v5
	v_lshl_add_u32 v11, v11, 23, 0x3c000000
	v_and_b32_e32 v13, 0x80000000, v13
	v_or3_b32 v5, v5, v13, v11
	v_mov_b32_e32 v22, v6
	v_mov_b32_e32 v21, v5
.LBB221_439:                            ;   in Loop: Header=BB221_417 Depth=1
	s_or_b32 exec_lo, exec_lo, s13
.LBB221_440:                            ;   in Loop: Header=BB221_417 Depth=1
	s_or_b32 exec_lo, exec_lo, s9
.LBB221_441:                            ;   in Loop: Header=BB221_417 Depth=1
	s_or_b32 exec_lo, exec_lo, s0
	s_mov_b32 s0, exec_lo
	v_cmpx_lt_u32_e32 0xffffff, v47
	s_cbranch_execz .LBB221_449
; %bb.442:                              ;   in Loop: Header=BB221_417 Depth=1
	v_mov_b32_e32 v11, v6
	v_mov_b32_e32 v24, v12
	v_cmp_ne_u32_sdwa s13, v47, v42 src0_sel:BYTE_3 src1_sel:DWORD
	v_mov_b32_e32 v23, v11
	s_and_saveexec_b32 s9, s13
	s_cbranch_execz .LBB221_448
; %bb.443:                              ;   in Loop: Header=BB221_417 Depth=1
	v_mov_b32_e32 v13, v6
	v_mov_b32_e32 v24, v14
	v_bfe_u32 v48, v47, 24, 7
	s_mov_b32 s13, exec_lo
	v_mov_b32_e32 v23, v13
	v_cmpx_ne_u32_e32 0x7f, v48
	s_cbranch_execz .LBB221_447
; %bb.444:                              ;   in Loop: Header=BB221_417 Depth=1
	v_and_b32_sdwa v5, v47, v45 dst_sel:DWORD dst_unused:UNUSED_PAD src0_sel:BYTE_3 src1_sel:DWORD
	v_lshrrev_b32_e32 v11, 3, v48
	s_mov_b32 s14, exec_lo
	v_cmpx_gt_u32_e32 8, v48
; %bb.445:                              ;   in Loop: Header=BB221_417 Depth=1
	v_ffbh_u32_e32 v11, v5
	v_min_u32_e32 v11, 32, v11
	v_subrev_nc_u32_e32 v13, 28, v11
	v_sub_nc_u32_e32 v11, 29, v11
	v_lshlrev_b64 v[23:24], v13, v[5:6]
	v_and_b32_e32 v5, 7, v23
; %bb.446:                              ;   in Loop: Header=BB221_417 Depth=1
	s_or_b32 exec_lo, exec_lo, s14
	v_lshlrev_b32_sdwa v13, v46, v47 dst_sel:DWORD dst_unused:UNUSED_PAD src0_sel:DWORD src1_sel:BYTE_3
	v_lshlrev_b32_e32 v5, 20, v5
	v_lshl_add_u32 v11, v11, 23, 0x3c000000
	v_mov_b32_e32 v23, v6
	v_and_b32_e32 v13, 0x80000000, v13
	v_or3_b32 v24, v5, v13, v11
.LBB221_447:                            ;   in Loop: Header=BB221_417 Depth=1
	s_or_b32 exec_lo, exec_lo, s13
.LBB221_448:                            ;   in Loop: Header=BB221_417 Depth=1
	s_or_b32 exec_lo, exec_lo, s9
.LBB221_449:                            ;   in Loop: Header=BB221_417 Depth=1
	s_or_b32 exec_lo, exec_lo, s0
	v_or_b32_e32 v5, v20, v18
	v_or_b32_e32 v11, v19, v17
	;; [unrolled: 1-line block ×4, first 2 shown]
	v_add_nc_u32_e32 v52, -3, v40
	v_cmp_eq_u32_e32 vcc_lo, s12, v49
	v_mul_f32_e32 v50, s6, v5
	v_mul_f32_e32 v51, s3, v11
	;; [unrolled: 1-line block ×4, first 2 shown]
	v_add_nc_u32_e32 v54, -2, v40
	v_add_nc_u32_e32 v53, -1, v40
	s_and_saveexec_b32 s9, vcc_lo
	s_cbranch_execz .LBB221_451
; %bb.450:                              ;   in Loop: Header=BB221_417 Depth=1
	v_cmp_gt_i32_e64 s0, s27, v52
	v_cndmask_b32_e64 v51, 0, v51, s0
	v_cmp_gt_i32_e64 s0, s27, v54
	v_cndmask_b32_e64 v50, 0, v50, s0
	;; [unrolled: 2-line block ×4, first 2 shown]
.LBB221_451:                            ;   in Loop: Header=BB221_417 Depth=1
	s_or_b32 exec_lo, exec_lo, s9
	global_load_dword v55, v[15:16], off offset:128
	v_mov_b32_e32 v19, 0
	v_mov_b32_e32 v17, 0
	;; [unrolled: 1-line block ×4, first 2 shown]
	s_waitcnt vmcnt(0)
	v_cmp_ne_u16_sdwa s0, v55, v6 src0_sel:BYTE_0 src1_sel:DWORD
	s_and_saveexec_b32 s9, s0
	s_cbranch_execz .LBB221_459
; %bb.452:                              ;   in Loop: Header=BB221_417 Depth=1
	v_bfrev_b32_e32 v17, 1
	v_mov_b32_e32 v18, 0
	v_cmp_ne_u16_sdwa s0, v55, v42 src0_sel:BYTE_0 src1_sel:DWORD
	s_and_saveexec_b32 s13, s0
	s_cbranch_execz .LBB221_458
; %bb.453:                              ;   in Loop: Header=BB221_417 Depth=1
	v_mov_b32_e32 v17, 0x7f800001
	v_and_b32_e32 v13, 0x7f, v55
	v_mov_b32_e32 v18, 0
	s_mov_b32 s14, exec_lo
	v_cmpx_ne_u32_e32 0x7f, v13
	s_cbranch_execz .LBB221_457
; %bb.454:                              ;   in Loop: Header=BB221_417 Depth=1
	v_and_b32_e32 v5, 7, v55
	v_lshrrev_b32_e32 v11, 3, v13
	s_mov_b32 s15, exec_lo
	v_cmpx_gt_u32_e32 8, v13
; %bb.455:                              ;   in Loop: Header=BB221_417 Depth=1
	v_ffbh_u32_e32 v11, v5
	v_min_u32_e32 v11, 32, v11
	v_subrev_nc_u32_e32 v13, 28, v11
	v_sub_nc_u32_e32 v11, 29, v11
	v_lshlrev_b64 v[17:18], v13, v[5:6]
	v_and_b32_e32 v5, 7, v17
; %bb.456:                              ;   in Loop: Header=BB221_417 Depth=1
	s_or_b32 exec_lo, exec_lo, s15
	v_lshlrev_b32_e32 v13, 24, v55
	v_lshlrev_b32_e32 v5, 20, v5
	v_lshl_add_u32 v11, v11, 23, 0x3c000000
	v_and_b32_e32 v13, 0x80000000, v13
	v_or3_b32 v5, v5, v13, v11
	v_mov_b32_e32 v18, v6
	v_mov_b32_e32 v17, v5
.LBB221_457:                            ;   in Loop: Header=BB221_417 Depth=1
	s_or_b32 exec_lo, exec_lo, s14
.LBB221_458:                            ;   in Loop: Header=BB221_417 Depth=1
	s_or_b32 exec_lo, exec_lo, s13
.LBB221_459:                            ;   in Loop: Header=BB221_417 Depth=1
	s_or_b32 exec_lo, exec_lo, s9
	v_cmp_ne_u16_sdwa s0, v55, v6 src0_sel:BYTE_1 src1_sel:DWORD
	s_and_saveexec_b32 s9, s0
	s_cbranch_execz .LBB221_467
; %bb.460:                              ;   in Loop: Header=BB221_417 Depth=1
	v_mov_b32_e32 v11, v6
	v_mov_b32_e32 v20, v12
	v_cmp_ne_u16_sdwa s0, v55, v42 src0_sel:BYTE_1 src1_sel:DWORD
	v_mov_b32_e32 v19, v11
	s_and_saveexec_b32 s13, s0
	s_cbranch_execz .LBB221_466
; %bb.461:                              ;   in Loop: Header=BB221_417 Depth=1
	v_and_b32_sdwa v5, v43, v55 dst_sel:DWORD dst_unused:UNUSED_PAD src0_sel:DWORD src1_sel:BYTE_1
	v_mov_b32_e32 v13, v6
	v_mov_b32_e32 v20, v14
	s_mov_b32 s14, exec_lo
	v_and_b32_e32 v21, 0x7f, v5
	v_mov_b32_e32 v19, v13
	v_cmpx_ne_u32_e32 0x7f, v21
	s_cbranch_execz .LBB221_465
; %bb.462:                              ;   in Loop: Header=BB221_417 Depth=1
	v_and_b32_e32 v5, 7, v5
	v_lshrrev_b32_e32 v11, 3, v21
	s_mov_b32 s15, exec_lo
	v_cmpx_gt_u32_e32 8, v21
; %bb.463:                              ;   in Loop: Header=BB221_417 Depth=1
	v_ffbh_u32_e32 v11, v5
	v_min_u32_e32 v11, 32, v11
	v_subrev_nc_u32_e32 v13, 28, v11
	v_sub_nc_u32_e32 v11, 29, v11
	v_lshlrev_b64 v[19:20], v13, v[5:6]
	v_and_b32_e32 v5, 7, v19
; %bb.464:                              ;   in Loop: Header=BB221_417 Depth=1
	s_or_b32 exec_lo, exec_lo, s15
	v_lshlrev_b32_e32 v13, 16, v55
	v_lshlrev_b32_e32 v5, 20, v5
	v_lshl_add_u32 v11, v11, 23, 0x3c000000
	v_mov_b32_e32 v19, v6
	v_and_b32_e32 v13, 0x80000000, v13
	v_or3_b32 v20, v5, v13, v11
.LBB221_465:                            ;   in Loop: Header=BB221_417 Depth=1
	s_or_b32 exec_lo, exec_lo, s14
.LBB221_466:                            ;   in Loop: Header=BB221_417 Depth=1
	s_or_b32 exec_lo, exec_lo, s13
.LBB221_467:                            ;   in Loop: Header=BB221_417 Depth=1
	s_or_b32 exec_lo, exec_lo, s9
	v_mov_b32_e32 v23, 0
	v_mov_b32_e32 v21, 0
	v_and_b32_sdwa v5, v55, v44 dst_sel:DWORD dst_unused:UNUSED_PAD src0_sel:WORD_1 src1_sel:DWORD
	v_mov_b32_e32 v24, 0
	v_mov_b32_e32 v22, 0
	s_mov_b32 s9, exec_lo
	v_cmpx_ne_u16_e32 0, v5
	s_cbranch_execz .LBB221_475
; %bb.468:                              ;   in Loop: Header=BB221_417 Depth=1
	v_bfrev_b32_e32 v21, 1
	v_mov_b32_e32 v22, 0
	s_mov_b32 s13, exec_lo
	v_cmpx_ne_u16_e32 0x80, v5
	s_cbranch_execz .LBB221_474
; %bb.469:                              ;   in Loop: Header=BB221_417 Depth=1
	v_mov_b32_e32 v21, 0x7f800001
	v_bfe_u32 v13, v55, 16, 7
	v_mov_b32_e32 v22, 0
	s_mov_b32 s14, exec_lo
	v_cmpx_ne_u32_e32 0x7f, v13
	s_cbranch_execz .LBB221_473
; %bb.470:                              ;   in Loop: Header=BB221_417 Depth=1
	v_and_b32_sdwa v5, v55, v45 dst_sel:DWORD dst_unused:UNUSED_PAD src0_sel:WORD_1 src1_sel:DWORD
	v_lshrrev_b32_e32 v11, 3, v13
	s_mov_b32 s15, exec_lo
	v_cmpx_gt_u32_e32 8, v13
; %bb.471:                              ;   in Loop: Header=BB221_417 Depth=1
	v_ffbh_u32_e32 v11, v5
	v_min_u32_e32 v11, 32, v11
	v_subrev_nc_u32_e32 v13, 28, v11
	v_sub_nc_u32_e32 v11, 29, v11
	v_lshlrev_b64 v[21:22], v13, v[5:6]
	v_and_b32_e32 v5, 7, v21
; %bb.472:                              ;   in Loop: Header=BB221_417 Depth=1
	s_or_b32 exec_lo, exec_lo, s15
	v_lshlrev_b32_sdwa v13, v46, v55 dst_sel:DWORD dst_unused:UNUSED_PAD src0_sel:DWORD src1_sel:WORD_1
	v_lshlrev_b32_e32 v5, 20, v5
	v_lshl_add_u32 v11, v11, 23, 0x3c000000
	v_and_b32_e32 v13, 0x80000000, v13
	v_or3_b32 v5, v5, v13, v11
	v_mov_b32_e32 v22, v6
	v_mov_b32_e32 v21, v5
.LBB221_473:                            ;   in Loop: Header=BB221_417 Depth=1
	s_or_b32 exec_lo, exec_lo, s14
.LBB221_474:                            ;   in Loop: Header=BB221_417 Depth=1
	s_or_b32 exec_lo, exec_lo, s13
.LBB221_475:                            ;   in Loop: Header=BB221_417 Depth=1
	s_or_b32 exec_lo, exec_lo, s9
	s_mov_b32 s9, exec_lo
	v_cmpx_lt_u32_e32 0xffffff, v55
	s_cbranch_execz .LBB221_483
; %bb.476:                              ;   in Loop: Header=BB221_417 Depth=1
	v_mov_b32_e32 v11, v6
	v_mov_b32_e32 v24, v12
	v_cmp_ne_u32_sdwa s0, v55, v42 src0_sel:BYTE_3 src1_sel:DWORD
	v_mov_b32_e32 v23, v11
	s_and_saveexec_b32 s13, s0
	s_cbranch_execz .LBB221_482
; %bb.477:                              ;   in Loop: Header=BB221_417 Depth=1
	v_mov_b32_e32 v13, v6
	v_mov_b32_e32 v24, v14
	v_bfe_u32 v56, v55, 24, 7
	s_mov_b32 s14, exec_lo
	v_mov_b32_e32 v23, v13
	v_cmpx_ne_u32_e32 0x7f, v56
	s_cbranch_execz .LBB221_481
; %bb.478:                              ;   in Loop: Header=BB221_417 Depth=1
	v_and_b32_sdwa v5, v55, v45 dst_sel:DWORD dst_unused:UNUSED_PAD src0_sel:BYTE_3 src1_sel:DWORD
	v_lshrrev_b32_e32 v11, 3, v56
	s_mov_b32 s15, exec_lo
	v_cmpx_gt_u32_e32 8, v56
; %bb.479:                              ;   in Loop: Header=BB221_417 Depth=1
	v_ffbh_u32_e32 v11, v5
	v_min_u32_e32 v11, 32, v11
	v_subrev_nc_u32_e32 v13, 28, v11
	v_sub_nc_u32_e32 v11, 29, v11
	v_lshlrev_b64 v[23:24], v13, v[5:6]
	v_and_b32_e32 v5, 7, v23
; %bb.480:                              ;   in Loop: Header=BB221_417 Depth=1
	s_or_b32 exec_lo, exec_lo, s15
	v_lshlrev_b32_sdwa v13, v46, v55 dst_sel:DWORD dst_unused:UNUSED_PAD src0_sel:DWORD src1_sel:BYTE_3
	v_lshlrev_b32_e32 v5, 20, v5
	v_lshl_add_u32 v11, v11, 23, 0x3c000000
	v_mov_b32_e32 v23, v6
	v_and_b32_e32 v13, 0x80000000, v13
	v_or3_b32 v24, v5, v13, v11
.LBB221_481:                            ;   in Loop: Header=BB221_417 Depth=1
	s_or_b32 exec_lo, exec_lo, s14
.LBB221_482:                            ;   in Loop: Header=BB221_417 Depth=1
	s_or_b32 exec_lo, exec_lo, s13
.LBB221_483:                            ;   in Loop: Header=BB221_417 Depth=1
	s_or_b32 exec_lo, exec_lo, s9
	v_or_b32_e32 v5, v20, v18
	v_or_b32_e32 v11, v19, v17
	;; [unrolled: 1-line block ×4, first 2 shown]
	v_mul_f32_e32 v57, s6, v5
	v_mul_f32_e32 v58, s3, v11
	;; [unrolled: 1-line block ×4, first 2 shown]
	s_and_saveexec_b32 s9, vcc_lo
	s_cbranch_execz .LBB221_485
; %bb.484:                              ;   in Loop: Header=BB221_417 Depth=1
	v_cmp_gt_i32_e64 s0, s27, v52
	v_cndmask_b32_e64 v58, 0, v58, s0
	v_cmp_gt_i32_e64 s0, s27, v54
	v_cndmask_b32_e64 v57, 0, v57, s0
	;; [unrolled: 2-line block ×4, first 2 shown]
.LBB221_485:                            ;   in Loop: Header=BB221_417 Depth=1
	s_or_b32 exec_lo, exec_lo, s9
	global_load_dword v59, v[15:16], off offset:256
	v_mov_b32_e32 v19, 0
	v_mov_b32_e32 v17, 0
	;; [unrolled: 1-line block ×4, first 2 shown]
	s_waitcnt vmcnt(0)
	v_cmp_ne_u16_sdwa s0, v59, v6 src0_sel:BYTE_0 src1_sel:DWORD
	s_and_saveexec_b32 s9, s0
	s_cbranch_execz .LBB221_493
; %bb.486:                              ;   in Loop: Header=BB221_417 Depth=1
	v_bfrev_b32_e32 v17, 1
	v_mov_b32_e32 v18, 0
	v_cmp_ne_u16_sdwa s0, v59, v42 src0_sel:BYTE_0 src1_sel:DWORD
	s_and_saveexec_b32 s13, s0
	s_cbranch_execz .LBB221_492
; %bb.487:                              ;   in Loop: Header=BB221_417 Depth=1
	v_mov_b32_e32 v17, 0x7f800001
	v_and_b32_e32 v13, 0x7f, v59
	v_mov_b32_e32 v18, 0
	s_mov_b32 s14, exec_lo
	v_cmpx_ne_u32_e32 0x7f, v13
	s_cbranch_execz .LBB221_491
; %bb.488:                              ;   in Loop: Header=BB221_417 Depth=1
	v_and_b32_e32 v5, 7, v59
	v_lshrrev_b32_e32 v11, 3, v13
	s_mov_b32 s15, exec_lo
	v_cmpx_gt_u32_e32 8, v13
; %bb.489:                              ;   in Loop: Header=BB221_417 Depth=1
	v_ffbh_u32_e32 v11, v5
	v_min_u32_e32 v11, 32, v11
	v_subrev_nc_u32_e32 v13, 28, v11
	v_sub_nc_u32_e32 v11, 29, v11
	v_lshlrev_b64 v[17:18], v13, v[5:6]
	v_and_b32_e32 v5, 7, v17
; %bb.490:                              ;   in Loop: Header=BB221_417 Depth=1
	s_or_b32 exec_lo, exec_lo, s15
	v_lshlrev_b32_e32 v13, 24, v59
	v_lshlrev_b32_e32 v5, 20, v5
	v_lshl_add_u32 v11, v11, 23, 0x3c000000
	v_and_b32_e32 v13, 0x80000000, v13
	v_or3_b32 v5, v5, v13, v11
	v_mov_b32_e32 v18, v6
	v_mov_b32_e32 v17, v5
.LBB221_491:                            ;   in Loop: Header=BB221_417 Depth=1
	s_or_b32 exec_lo, exec_lo, s14
.LBB221_492:                            ;   in Loop: Header=BB221_417 Depth=1
	s_or_b32 exec_lo, exec_lo, s13
.LBB221_493:                            ;   in Loop: Header=BB221_417 Depth=1
	s_or_b32 exec_lo, exec_lo, s9
	v_cmp_ne_u16_sdwa s0, v59, v6 src0_sel:BYTE_1 src1_sel:DWORD
	s_and_saveexec_b32 s9, s0
	s_cbranch_execz .LBB221_501
; %bb.494:                              ;   in Loop: Header=BB221_417 Depth=1
	v_mov_b32_e32 v11, v6
	v_mov_b32_e32 v20, v12
	v_cmp_ne_u16_sdwa s0, v59, v42 src0_sel:BYTE_1 src1_sel:DWORD
	v_mov_b32_e32 v19, v11
	s_and_saveexec_b32 s13, s0
	s_cbranch_execz .LBB221_500
; %bb.495:                              ;   in Loop: Header=BB221_417 Depth=1
	v_and_b32_sdwa v5, v43, v59 dst_sel:DWORD dst_unused:UNUSED_PAD src0_sel:DWORD src1_sel:BYTE_1
	v_mov_b32_e32 v13, v6
	v_mov_b32_e32 v20, v14
	s_mov_b32 s14, exec_lo
	v_and_b32_e32 v21, 0x7f, v5
	v_mov_b32_e32 v19, v13
	v_cmpx_ne_u32_e32 0x7f, v21
	s_cbranch_execz .LBB221_499
; %bb.496:                              ;   in Loop: Header=BB221_417 Depth=1
	v_and_b32_e32 v5, 7, v5
	v_lshrrev_b32_e32 v11, 3, v21
	s_mov_b32 s15, exec_lo
	v_cmpx_gt_u32_e32 8, v21
; %bb.497:                              ;   in Loop: Header=BB221_417 Depth=1
	v_ffbh_u32_e32 v11, v5
	v_min_u32_e32 v11, 32, v11
	v_subrev_nc_u32_e32 v13, 28, v11
	v_sub_nc_u32_e32 v11, 29, v11
	v_lshlrev_b64 v[19:20], v13, v[5:6]
	v_and_b32_e32 v5, 7, v19
; %bb.498:                              ;   in Loop: Header=BB221_417 Depth=1
	s_or_b32 exec_lo, exec_lo, s15
	v_lshlrev_b32_e32 v13, 16, v59
	v_lshlrev_b32_e32 v5, 20, v5
	v_lshl_add_u32 v11, v11, 23, 0x3c000000
	v_mov_b32_e32 v19, v6
	v_and_b32_e32 v13, 0x80000000, v13
	v_or3_b32 v20, v5, v13, v11
.LBB221_499:                            ;   in Loop: Header=BB221_417 Depth=1
	s_or_b32 exec_lo, exec_lo, s14
.LBB221_500:                            ;   in Loop: Header=BB221_417 Depth=1
	s_or_b32 exec_lo, exec_lo, s13
.LBB221_501:                            ;   in Loop: Header=BB221_417 Depth=1
	s_or_b32 exec_lo, exec_lo, s9
	v_mov_b32_e32 v23, 0
	v_mov_b32_e32 v21, 0
	v_and_b32_sdwa v5, v59, v44 dst_sel:DWORD dst_unused:UNUSED_PAD src0_sel:WORD_1 src1_sel:DWORD
	v_mov_b32_e32 v24, 0
	v_mov_b32_e32 v22, 0
	s_mov_b32 s9, exec_lo
	v_cmpx_ne_u16_e32 0, v5
	s_cbranch_execz .LBB221_509
; %bb.502:                              ;   in Loop: Header=BB221_417 Depth=1
	v_bfrev_b32_e32 v21, 1
	v_mov_b32_e32 v22, 0
	s_mov_b32 s13, exec_lo
	v_cmpx_ne_u16_e32 0x80, v5
	s_cbranch_execz .LBB221_508
; %bb.503:                              ;   in Loop: Header=BB221_417 Depth=1
	v_mov_b32_e32 v21, 0x7f800001
	v_bfe_u32 v13, v59, 16, 7
	v_mov_b32_e32 v22, 0
	s_mov_b32 s14, exec_lo
	v_cmpx_ne_u32_e32 0x7f, v13
	s_cbranch_execz .LBB221_507
; %bb.504:                              ;   in Loop: Header=BB221_417 Depth=1
	v_and_b32_sdwa v5, v59, v45 dst_sel:DWORD dst_unused:UNUSED_PAD src0_sel:WORD_1 src1_sel:DWORD
	v_lshrrev_b32_e32 v11, 3, v13
	s_mov_b32 s15, exec_lo
	v_cmpx_gt_u32_e32 8, v13
; %bb.505:                              ;   in Loop: Header=BB221_417 Depth=1
	v_ffbh_u32_e32 v11, v5
	v_min_u32_e32 v11, 32, v11
	v_subrev_nc_u32_e32 v13, 28, v11
	v_sub_nc_u32_e32 v11, 29, v11
	v_lshlrev_b64 v[21:22], v13, v[5:6]
	v_and_b32_e32 v5, 7, v21
; %bb.506:                              ;   in Loop: Header=BB221_417 Depth=1
	s_or_b32 exec_lo, exec_lo, s15
	v_lshlrev_b32_sdwa v13, v46, v59 dst_sel:DWORD dst_unused:UNUSED_PAD src0_sel:DWORD src1_sel:WORD_1
	v_lshlrev_b32_e32 v5, 20, v5
	v_lshl_add_u32 v11, v11, 23, 0x3c000000
	v_and_b32_e32 v13, 0x80000000, v13
	v_or3_b32 v5, v5, v13, v11
	v_mov_b32_e32 v22, v6
	v_mov_b32_e32 v21, v5
.LBB221_507:                            ;   in Loop: Header=BB221_417 Depth=1
	s_or_b32 exec_lo, exec_lo, s14
.LBB221_508:                            ;   in Loop: Header=BB221_417 Depth=1
	s_or_b32 exec_lo, exec_lo, s13
.LBB221_509:                            ;   in Loop: Header=BB221_417 Depth=1
	s_or_b32 exec_lo, exec_lo, s9
	s_mov_b32 s9, exec_lo
	v_cmpx_lt_u32_e32 0xffffff, v59
	s_cbranch_execz .LBB221_517
; %bb.510:                              ;   in Loop: Header=BB221_417 Depth=1
	v_mov_b32_e32 v11, v6
	v_mov_b32_e32 v24, v12
	v_cmp_ne_u32_sdwa s0, v59, v42 src0_sel:BYTE_3 src1_sel:DWORD
	v_mov_b32_e32 v23, v11
	s_and_saveexec_b32 s13, s0
	s_cbranch_execz .LBB221_516
; %bb.511:                              ;   in Loop: Header=BB221_417 Depth=1
	v_mov_b32_e32 v13, v6
	v_mov_b32_e32 v24, v14
	v_bfe_u32 v60, v59, 24, 7
	s_mov_b32 s14, exec_lo
	v_mov_b32_e32 v23, v13
	v_cmpx_ne_u32_e32 0x7f, v60
	s_cbranch_execz .LBB221_515
; %bb.512:                              ;   in Loop: Header=BB221_417 Depth=1
	v_and_b32_sdwa v5, v59, v45 dst_sel:DWORD dst_unused:UNUSED_PAD src0_sel:BYTE_3 src1_sel:DWORD
	v_lshrrev_b32_e32 v11, 3, v60
	s_mov_b32 s15, exec_lo
	v_cmpx_gt_u32_e32 8, v60
; %bb.513:                              ;   in Loop: Header=BB221_417 Depth=1
	v_ffbh_u32_e32 v11, v5
	v_min_u32_e32 v11, 32, v11
	v_subrev_nc_u32_e32 v13, 28, v11
	v_sub_nc_u32_e32 v11, 29, v11
	v_lshlrev_b64 v[23:24], v13, v[5:6]
	v_and_b32_e32 v5, 7, v23
; %bb.514:                              ;   in Loop: Header=BB221_417 Depth=1
	s_or_b32 exec_lo, exec_lo, s15
	v_lshlrev_b32_sdwa v13, v46, v59 dst_sel:DWORD dst_unused:UNUSED_PAD src0_sel:DWORD src1_sel:BYTE_3
	v_lshlrev_b32_e32 v5, 20, v5
	v_lshl_add_u32 v11, v11, 23, 0x3c000000
	v_mov_b32_e32 v23, v6
	v_and_b32_e32 v13, 0x80000000, v13
	v_or3_b32 v24, v5, v13, v11
.LBB221_515:                            ;   in Loop: Header=BB221_417 Depth=1
	s_or_b32 exec_lo, exec_lo, s14
.LBB221_516:                            ;   in Loop: Header=BB221_417 Depth=1
	s_or_b32 exec_lo, exec_lo, s13
.LBB221_517:                            ;   in Loop: Header=BB221_417 Depth=1
	s_or_b32 exec_lo, exec_lo, s9
	v_or_b32_e32 v5, v20, v18
	v_or_b32_e32 v11, v19, v17
	;; [unrolled: 1-line block ×4, first 2 shown]
	v_mul_f32_e32 v61, s6, v5
	v_mul_f32_e32 v62, s3, v11
	;; [unrolled: 1-line block ×4, first 2 shown]
	s_and_saveexec_b32 s9, vcc_lo
	s_cbranch_execz .LBB221_519
; %bb.518:                              ;   in Loop: Header=BB221_417 Depth=1
	v_cmp_gt_i32_e64 s0, s27, v52
	v_cndmask_b32_e64 v62, 0, v62, s0
	v_cmp_gt_i32_e64 s0, s27, v54
	v_cndmask_b32_e64 v61, 0, v61, s0
	v_cmp_gt_i32_e64 s0, s27, v53
	v_cndmask_b32_e64 v60, 0, v60, s0
	v_cmp_gt_i32_e64 s0, s27, v40
	v_cndmask_b32_e64 v59, 0, v59, s0
.LBB221_519:                            ;   in Loop: Header=BB221_417 Depth=1
	s_or_b32 exec_lo, exec_lo, s9
	global_load_dword v63, v[15:16], off offset:384
	v_mov_b32_e32 v19, 0
	v_mov_b32_e32 v17, 0
	;; [unrolled: 1-line block ×4, first 2 shown]
	s_waitcnt vmcnt(0)
	v_cmp_ne_u16_sdwa s0, v63, v6 src0_sel:BYTE_0 src1_sel:DWORD
	s_and_saveexec_b32 s9, s0
	s_cbranch_execz .LBB221_527
; %bb.520:                              ;   in Loop: Header=BB221_417 Depth=1
	v_bfrev_b32_e32 v17, 1
	v_mov_b32_e32 v18, 0
	v_cmp_ne_u16_sdwa s0, v63, v42 src0_sel:BYTE_0 src1_sel:DWORD
	s_and_saveexec_b32 s13, s0
	s_cbranch_execz .LBB221_526
; %bb.521:                              ;   in Loop: Header=BB221_417 Depth=1
	v_mov_b32_e32 v17, 0x7f800001
	v_and_b32_e32 v13, 0x7f, v63
	v_mov_b32_e32 v18, 0
	s_mov_b32 s14, exec_lo
	v_cmpx_ne_u32_e32 0x7f, v13
	s_cbranch_execz .LBB221_525
; %bb.522:                              ;   in Loop: Header=BB221_417 Depth=1
	v_and_b32_e32 v5, 7, v63
	v_lshrrev_b32_e32 v11, 3, v13
	s_mov_b32 s15, exec_lo
	v_cmpx_gt_u32_e32 8, v13
; %bb.523:                              ;   in Loop: Header=BB221_417 Depth=1
	v_ffbh_u32_e32 v11, v5
	v_min_u32_e32 v11, 32, v11
	v_subrev_nc_u32_e32 v13, 28, v11
	v_sub_nc_u32_e32 v11, 29, v11
	v_lshlrev_b64 v[17:18], v13, v[5:6]
	v_and_b32_e32 v5, 7, v17
; %bb.524:                              ;   in Loop: Header=BB221_417 Depth=1
	s_or_b32 exec_lo, exec_lo, s15
	v_lshlrev_b32_e32 v13, 24, v63
	v_lshlrev_b32_e32 v5, 20, v5
	v_lshl_add_u32 v11, v11, 23, 0x3c000000
	v_and_b32_e32 v13, 0x80000000, v13
	v_or3_b32 v5, v5, v13, v11
	v_mov_b32_e32 v18, v6
	v_mov_b32_e32 v17, v5
.LBB221_525:                            ;   in Loop: Header=BB221_417 Depth=1
	s_or_b32 exec_lo, exec_lo, s14
.LBB221_526:                            ;   in Loop: Header=BB221_417 Depth=1
	s_or_b32 exec_lo, exec_lo, s13
.LBB221_527:                            ;   in Loop: Header=BB221_417 Depth=1
	s_or_b32 exec_lo, exec_lo, s9
	v_cmp_ne_u16_sdwa s0, v63, v6 src0_sel:BYTE_1 src1_sel:DWORD
	s_and_saveexec_b32 s9, s0
	s_cbranch_execz .LBB221_535
; %bb.528:                              ;   in Loop: Header=BB221_417 Depth=1
	v_mov_b32_e32 v11, v6
	v_mov_b32_e32 v20, v12
	v_cmp_ne_u16_sdwa s0, v63, v42 src0_sel:BYTE_1 src1_sel:DWORD
	v_mov_b32_e32 v19, v11
	s_and_saveexec_b32 s13, s0
	s_cbranch_execz .LBB221_534
; %bb.529:                              ;   in Loop: Header=BB221_417 Depth=1
	v_and_b32_sdwa v5, v43, v63 dst_sel:DWORD dst_unused:UNUSED_PAD src0_sel:DWORD src1_sel:BYTE_1
	v_mov_b32_e32 v13, v6
	v_mov_b32_e32 v20, v14
	s_mov_b32 s14, exec_lo
	v_and_b32_e32 v21, 0x7f, v5
	v_mov_b32_e32 v19, v13
	v_cmpx_ne_u32_e32 0x7f, v21
	s_cbranch_execz .LBB221_533
; %bb.530:                              ;   in Loop: Header=BB221_417 Depth=1
	v_and_b32_e32 v5, 7, v5
	v_lshrrev_b32_e32 v11, 3, v21
	s_mov_b32 s15, exec_lo
	v_cmpx_gt_u32_e32 8, v21
; %bb.531:                              ;   in Loop: Header=BB221_417 Depth=1
	v_ffbh_u32_e32 v11, v5
	v_min_u32_e32 v11, 32, v11
	v_subrev_nc_u32_e32 v13, 28, v11
	v_sub_nc_u32_e32 v11, 29, v11
	v_lshlrev_b64 v[19:20], v13, v[5:6]
	v_and_b32_e32 v5, 7, v19
; %bb.532:                              ;   in Loop: Header=BB221_417 Depth=1
	s_or_b32 exec_lo, exec_lo, s15
	v_lshlrev_b32_e32 v13, 16, v63
	v_lshlrev_b32_e32 v5, 20, v5
	v_lshl_add_u32 v11, v11, 23, 0x3c000000
	v_mov_b32_e32 v19, v6
	v_and_b32_e32 v13, 0x80000000, v13
	v_or3_b32 v20, v5, v13, v11
.LBB221_533:                            ;   in Loop: Header=BB221_417 Depth=1
	s_or_b32 exec_lo, exec_lo, s14
.LBB221_534:                            ;   in Loop: Header=BB221_417 Depth=1
	s_or_b32 exec_lo, exec_lo, s13
.LBB221_535:                            ;   in Loop: Header=BB221_417 Depth=1
	s_or_b32 exec_lo, exec_lo, s9
	v_mov_b32_e32 v23, 0
	v_mov_b32_e32 v21, 0
	v_and_b32_sdwa v5, v63, v44 dst_sel:DWORD dst_unused:UNUSED_PAD src0_sel:WORD_1 src1_sel:DWORD
	v_mov_b32_e32 v24, 0
	v_mov_b32_e32 v22, 0
	s_mov_b32 s9, exec_lo
	v_cmpx_ne_u16_e32 0, v5
	s_cbranch_execz .LBB221_543
; %bb.536:                              ;   in Loop: Header=BB221_417 Depth=1
	v_bfrev_b32_e32 v21, 1
	v_mov_b32_e32 v22, 0
	s_mov_b32 s13, exec_lo
	v_cmpx_ne_u16_e32 0x80, v5
	s_cbranch_execz .LBB221_542
; %bb.537:                              ;   in Loop: Header=BB221_417 Depth=1
	v_mov_b32_e32 v21, 0x7f800001
	v_bfe_u32 v13, v63, 16, 7
	v_mov_b32_e32 v22, 0
	s_mov_b32 s14, exec_lo
	v_cmpx_ne_u32_e32 0x7f, v13
	s_cbranch_execz .LBB221_541
; %bb.538:                              ;   in Loop: Header=BB221_417 Depth=1
	v_and_b32_sdwa v5, v63, v45 dst_sel:DWORD dst_unused:UNUSED_PAD src0_sel:WORD_1 src1_sel:DWORD
	v_lshrrev_b32_e32 v11, 3, v13
	s_mov_b32 s15, exec_lo
	v_cmpx_gt_u32_e32 8, v13
; %bb.539:                              ;   in Loop: Header=BB221_417 Depth=1
	v_ffbh_u32_e32 v11, v5
	v_min_u32_e32 v11, 32, v11
	v_subrev_nc_u32_e32 v13, 28, v11
	v_sub_nc_u32_e32 v11, 29, v11
	v_lshlrev_b64 v[21:22], v13, v[5:6]
	v_and_b32_e32 v5, 7, v21
; %bb.540:                              ;   in Loop: Header=BB221_417 Depth=1
	s_or_b32 exec_lo, exec_lo, s15
	v_lshlrev_b32_sdwa v13, v46, v63 dst_sel:DWORD dst_unused:UNUSED_PAD src0_sel:DWORD src1_sel:WORD_1
	v_lshlrev_b32_e32 v5, 20, v5
	v_lshl_add_u32 v11, v11, 23, 0x3c000000
	v_and_b32_e32 v13, 0x80000000, v13
	v_or3_b32 v5, v5, v13, v11
	v_mov_b32_e32 v22, v6
	v_mov_b32_e32 v21, v5
.LBB221_541:                            ;   in Loop: Header=BB221_417 Depth=1
	s_or_b32 exec_lo, exec_lo, s14
.LBB221_542:                            ;   in Loop: Header=BB221_417 Depth=1
	s_or_b32 exec_lo, exec_lo, s13
.LBB221_543:                            ;   in Loop: Header=BB221_417 Depth=1
	s_or_b32 exec_lo, exec_lo, s9
	s_mov_b32 s9, exec_lo
	v_cmpx_lt_u32_e32 0xffffff, v63
	s_cbranch_execz .LBB221_551
; %bb.544:                              ;   in Loop: Header=BB221_417 Depth=1
	v_mov_b32_e32 v11, v6
	v_mov_b32_e32 v24, v12
	v_cmp_ne_u32_sdwa s0, v63, v42 src0_sel:BYTE_3 src1_sel:DWORD
	v_mov_b32_e32 v23, v11
	s_and_saveexec_b32 s13, s0
	s_cbranch_execz .LBB221_550
; %bb.545:                              ;   in Loop: Header=BB221_417 Depth=1
	v_mov_b32_e32 v13, v6
	v_mov_b32_e32 v24, v14
	v_bfe_u32 v64, v63, 24, 7
	s_mov_b32 s14, exec_lo
	v_mov_b32_e32 v23, v13
	v_cmpx_ne_u32_e32 0x7f, v64
	s_cbranch_execz .LBB221_549
; %bb.546:                              ;   in Loop: Header=BB221_417 Depth=1
	v_and_b32_sdwa v5, v63, v45 dst_sel:DWORD dst_unused:UNUSED_PAD src0_sel:BYTE_3 src1_sel:DWORD
	v_lshrrev_b32_e32 v11, 3, v64
	s_mov_b32 s15, exec_lo
	v_cmpx_gt_u32_e32 8, v64
; %bb.547:                              ;   in Loop: Header=BB221_417 Depth=1
	v_ffbh_u32_e32 v11, v5
	v_min_u32_e32 v11, 32, v11
	v_subrev_nc_u32_e32 v13, 28, v11
	v_sub_nc_u32_e32 v11, 29, v11
	v_lshlrev_b64 v[23:24], v13, v[5:6]
	v_and_b32_e32 v5, 7, v23
; %bb.548:                              ;   in Loop: Header=BB221_417 Depth=1
	s_or_b32 exec_lo, exec_lo, s15
	v_lshlrev_b32_sdwa v13, v46, v63 dst_sel:DWORD dst_unused:UNUSED_PAD src0_sel:DWORD src1_sel:BYTE_3
	v_lshlrev_b32_e32 v5, 20, v5
	v_lshl_add_u32 v11, v11, 23, 0x3c000000
	v_mov_b32_e32 v23, v6
	v_and_b32_e32 v13, 0x80000000, v13
	v_or3_b32 v24, v5, v13, v11
.LBB221_549:                            ;   in Loop: Header=BB221_417 Depth=1
	s_or_b32 exec_lo, exec_lo, s14
.LBB221_550:                            ;   in Loop: Header=BB221_417 Depth=1
	s_or_b32 exec_lo, exec_lo, s13
.LBB221_551:                            ;   in Loop: Header=BB221_417 Depth=1
	s_or_b32 exec_lo, exec_lo, s9
	v_or_b32_e32 v5, v20, v18
	v_or_b32_e32 v11, v19, v17
	;; [unrolled: 1-line block ×4, first 2 shown]
	v_mul_f32_e32 v65, s6, v5
	v_mul_f32_e32 v66, s3, v11
	;; [unrolled: 1-line block ×4, first 2 shown]
	s_and_saveexec_b32 s9, vcc_lo
	s_cbranch_execz .LBB221_553
; %bb.552:                              ;   in Loop: Header=BB221_417 Depth=1
	v_cmp_gt_i32_e64 s0, s27, v52
	v_cndmask_b32_e64 v66, 0, v66, s0
	v_cmp_gt_i32_e64 s0, s27, v54
	v_cndmask_b32_e64 v65, 0, v65, s0
	;; [unrolled: 2-line block ×4, first 2 shown]
.LBB221_553:                            ;   in Loop: Header=BB221_417 Depth=1
	s_or_b32 exec_lo, exec_lo, s9
	global_load_dword v67, v[15:16], off offset:512
	v_mov_b32_e32 v19, 0
	v_mov_b32_e32 v17, 0
	;; [unrolled: 1-line block ×4, first 2 shown]
	s_waitcnt vmcnt(0)
	v_cmp_ne_u16_sdwa s0, v67, v6 src0_sel:BYTE_0 src1_sel:DWORD
	s_and_saveexec_b32 s9, s0
	s_cbranch_execz .LBB221_561
; %bb.554:                              ;   in Loop: Header=BB221_417 Depth=1
	v_bfrev_b32_e32 v17, 1
	v_mov_b32_e32 v18, 0
	v_cmp_ne_u16_sdwa s0, v67, v42 src0_sel:BYTE_0 src1_sel:DWORD
	s_and_saveexec_b32 s13, s0
	s_cbranch_execz .LBB221_560
; %bb.555:                              ;   in Loop: Header=BB221_417 Depth=1
	v_mov_b32_e32 v17, 0x7f800001
	v_and_b32_e32 v13, 0x7f, v67
	v_mov_b32_e32 v18, 0
	s_mov_b32 s14, exec_lo
	v_cmpx_ne_u32_e32 0x7f, v13
	s_cbranch_execz .LBB221_559
; %bb.556:                              ;   in Loop: Header=BB221_417 Depth=1
	v_and_b32_e32 v5, 7, v67
	v_lshrrev_b32_e32 v11, 3, v13
	s_mov_b32 s15, exec_lo
	v_cmpx_gt_u32_e32 8, v13
; %bb.557:                              ;   in Loop: Header=BB221_417 Depth=1
	v_ffbh_u32_e32 v11, v5
	v_min_u32_e32 v11, 32, v11
	v_subrev_nc_u32_e32 v13, 28, v11
	v_sub_nc_u32_e32 v11, 29, v11
	v_lshlrev_b64 v[17:18], v13, v[5:6]
	v_and_b32_e32 v5, 7, v17
; %bb.558:                              ;   in Loop: Header=BB221_417 Depth=1
	s_or_b32 exec_lo, exec_lo, s15
	v_lshlrev_b32_e32 v13, 24, v67
	v_lshlrev_b32_e32 v5, 20, v5
	v_lshl_add_u32 v11, v11, 23, 0x3c000000
	v_and_b32_e32 v13, 0x80000000, v13
	v_or3_b32 v5, v5, v13, v11
	v_mov_b32_e32 v18, v6
	v_mov_b32_e32 v17, v5
.LBB221_559:                            ;   in Loop: Header=BB221_417 Depth=1
	s_or_b32 exec_lo, exec_lo, s14
.LBB221_560:                            ;   in Loop: Header=BB221_417 Depth=1
	s_or_b32 exec_lo, exec_lo, s13
.LBB221_561:                            ;   in Loop: Header=BB221_417 Depth=1
	s_or_b32 exec_lo, exec_lo, s9
	v_cmp_ne_u16_sdwa s0, v67, v6 src0_sel:BYTE_1 src1_sel:DWORD
	s_and_saveexec_b32 s9, s0
	s_cbranch_execz .LBB221_569
; %bb.562:                              ;   in Loop: Header=BB221_417 Depth=1
	v_mov_b32_e32 v11, v6
	v_mov_b32_e32 v20, v12
	v_cmp_ne_u16_sdwa s0, v67, v42 src0_sel:BYTE_1 src1_sel:DWORD
	v_mov_b32_e32 v19, v11
	s_and_saveexec_b32 s13, s0
	s_cbranch_execz .LBB221_568
; %bb.563:                              ;   in Loop: Header=BB221_417 Depth=1
	v_and_b32_sdwa v5, v43, v67 dst_sel:DWORD dst_unused:UNUSED_PAD src0_sel:DWORD src1_sel:BYTE_1
	v_mov_b32_e32 v13, v6
	v_mov_b32_e32 v20, v14
	s_mov_b32 s14, exec_lo
	v_and_b32_e32 v21, 0x7f, v5
	v_mov_b32_e32 v19, v13
	v_cmpx_ne_u32_e32 0x7f, v21
	s_cbranch_execz .LBB221_567
; %bb.564:                              ;   in Loop: Header=BB221_417 Depth=1
	v_and_b32_e32 v5, 7, v5
	v_lshrrev_b32_e32 v11, 3, v21
	s_mov_b32 s15, exec_lo
	v_cmpx_gt_u32_e32 8, v21
; %bb.565:                              ;   in Loop: Header=BB221_417 Depth=1
	v_ffbh_u32_e32 v11, v5
	v_min_u32_e32 v11, 32, v11
	v_subrev_nc_u32_e32 v13, 28, v11
	v_sub_nc_u32_e32 v11, 29, v11
	v_lshlrev_b64 v[19:20], v13, v[5:6]
	v_and_b32_e32 v5, 7, v19
; %bb.566:                              ;   in Loop: Header=BB221_417 Depth=1
	s_or_b32 exec_lo, exec_lo, s15
	v_lshlrev_b32_e32 v13, 16, v67
	v_lshlrev_b32_e32 v5, 20, v5
	v_lshl_add_u32 v11, v11, 23, 0x3c000000
	v_mov_b32_e32 v19, v6
	v_and_b32_e32 v13, 0x80000000, v13
	v_or3_b32 v20, v5, v13, v11
.LBB221_567:                            ;   in Loop: Header=BB221_417 Depth=1
	s_or_b32 exec_lo, exec_lo, s14
.LBB221_568:                            ;   in Loop: Header=BB221_417 Depth=1
	s_or_b32 exec_lo, exec_lo, s13
.LBB221_569:                            ;   in Loop: Header=BB221_417 Depth=1
	s_or_b32 exec_lo, exec_lo, s9
	v_mov_b32_e32 v23, 0
	v_mov_b32_e32 v21, 0
	v_and_b32_sdwa v5, v67, v44 dst_sel:DWORD dst_unused:UNUSED_PAD src0_sel:WORD_1 src1_sel:DWORD
	v_mov_b32_e32 v24, 0
	v_mov_b32_e32 v22, 0
	s_mov_b32 s9, exec_lo
	v_cmpx_ne_u16_e32 0, v5
	s_cbranch_execz .LBB221_577
; %bb.570:                              ;   in Loop: Header=BB221_417 Depth=1
	v_bfrev_b32_e32 v21, 1
	v_mov_b32_e32 v22, 0
	s_mov_b32 s13, exec_lo
	v_cmpx_ne_u16_e32 0x80, v5
	s_cbranch_execz .LBB221_576
; %bb.571:                              ;   in Loop: Header=BB221_417 Depth=1
	v_mov_b32_e32 v21, 0x7f800001
	v_bfe_u32 v13, v67, 16, 7
	v_mov_b32_e32 v22, 0
	s_mov_b32 s14, exec_lo
	v_cmpx_ne_u32_e32 0x7f, v13
	s_cbranch_execz .LBB221_575
; %bb.572:                              ;   in Loop: Header=BB221_417 Depth=1
	v_and_b32_sdwa v5, v67, v45 dst_sel:DWORD dst_unused:UNUSED_PAD src0_sel:WORD_1 src1_sel:DWORD
	v_lshrrev_b32_e32 v11, 3, v13
	s_mov_b32 s15, exec_lo
	v_cmpx_gt_u32_e32 8, v13
; %bb.573:                              ;   in Loop: Header=BB221_417 Depth=1
	v_ffbh_u32_e32 v11, v5
	v_min_u32_e32 v11, 32, v11
	v_subrev_nc_u32_e32 v13, 28, v11
	v_sub_nc_u32_e32 v11, 29, v11
	v_lshlrev_b64 v[21:22], v13, v[5:6]
	v_and_b32_e32 v5, 7, v21
; %bb.574:                              ;   in Loop: Header=BB221_417 Depth=1
	s_or_b32 exec_lo, exec_lo, s15
	v_lshlrev_b32_sdwa v13, v46, v67 dst_sel:DWORD dst_unused:UNUSED_PAD src0_sel:DWORD src1_sel:WORD_1
	v_lshlrev_b32_e32 v5, 20, v5
	v_lshl_add_u32 v11, v11, 23, 0x3c000000
	v_and_b32_e32 v13, 0x80000000, v13
	v_or3_b32 v5, v5, v13, v11
	v_mov_b32_e32 v22, v6
	v_mov_b32_e32 v21, v5
.LBB221_575:                            ;   in Loop: Header=BB221_417 Depth=1
	s_or_b32 exec_lo, exec_lo, s14
.LBB221_576:                            ;   in Loop: Header=BB221_417 Depth=1
	s_or_b32 exec_lo, exec_lo, s13
.LBB221_577:                            ;   in Loop: Header=BB221_417 Depth=1
	s_or_b32 exec_lo, exec_lo, s9
	s_mov_b32 s9, exec_lo
	v_cmpx_lt_u32_e32 0xffffff, v67
	s_cbranch_execz .LBB221_585
; %bb.578:                              ;   in Loop: Header=BB221_417 Depth=1
	v_mov_b32_e32 v11, v6
	v_mov_b32_e32 v24, v12
	v_cmp_ne_u32_sdwa s0, v67, v42 src0_sel:BYTE_3 src1_sel:DWORD
	v_mov_b32_e32 v23, v11
	s_and_saveexec_b32 s13, s0
	s_cbranch_execz .LBB221_584
; %bb.579:                              ;   in Loop: Header=BB221_417 Depth=1
	v_mov_b32_e32 v13, v6
	v_mov_b32_e32 v24, v14
	v_bfe_u32 v68, v67, 24, 7
	s_mov_b32 s14, exec_lo
	v_mov_b32_e32 v23, v13
	v_cmpx_ne_u32_e32 0x7f, v68
	s_cbranch_execz .LBB221_583
; %bb.580:                              ;   in Loop: Header=BB221_417 Depth=1
	v_and_b32_sdwa v5, v67, v45 dst_sel:DWORD dst_unused:UNUSED_PAD src0_sel:BYTE_3 src1_sel:DWORD
	v_lshrrev_b32_e32 v11, 3, v68
	s_mov_b32 s15, exec_lo
	v_cmpx_gt_u32_e32 8, v68
; %bb.581:                              ;   in Loop: Header=BB221_417 Depth=1
	v_ffbh_u32_e32 v11, v5
	v_min_u32_e32 v11, 32, v11
	v_subrev_nc_u32_e32 v13, 28, v11
	v_sub_nc_u32_e32 v11, 29, v11
	v_lshlrev_b64 v[23:24], v13, v[5:6]
	v_and_b32_e32 v5, 7, v23
; %bb.582:                              ;   in Loop: Header=BB221_417 Depth=1
	s_or_b32 exec_lo, exec_lo, s15
	v_lshlrev_b32_sdwa v13, v46, v67 dst_sel:DWORD dst_unused:UNUSED_PAD src0_sel:DWORD src1_sel:BYTE_3
	v_lshlrev_b32_e32 v5, 20, v5
	v_lshl_add_u32 v11, v11, 23, 0x3c000000
	v_mov_b32_e32 v23, v6
	v_and_b32_e32 v13, 0x80000000, v13
	v_or3_b32 v24, v5, v13, v11
.LBB221_583:                            ;   in Loop: Header=BB221_417 Depth=1
	s_or_b32 exec_lo, exec_lo, s14
.LBB221_584:                            ;   in Loop: Header=BB221_417 Depth=1
	s_or_b32 exec_lo, exec_lo, s13
.LBB221_585:                            ;   in Loop: Header=BB221_417 Depth=1
	s_or_b32 exec_lo, exec_lo, s9
	v_or_b32_e32 v5, v20, v18
	v_or_b32_e32 v11, v19, v17
	;; [unrolled: 1-line block ×4, first 2 shown]
	v_mul_f32_e32 v69, s6, v5
	v_mul_f32_e32 v70, s3, v11
	;; [unrolled: 1-line block ×4, first 2 shown]
	s_and_saveexec_b32 s9, vcc_lo
	s_cbranch_execz .LBB221_587
; %bb.586:                              ;   in Loop: Header=BB221_417 Depth=1
	v_cmp_gt_i32_e64 s0, s27, v52
	v_cndmask_b32_e64 v70, 0, v70, s0
	v_cmp_gt_i32_e64 s0, s27, v54
	v_cndmask_b32_e64 v69, 0, v69, s0
	;; [unrolled: 2-line block ×4, first 2 shown]
.LBB221_587:                            ;   in Loop: Header=BB221_417 Depth=1
	s_or_b32 exec_lo, exec_lo, s9
	global_load_dword v71, v[15:16], off offset:640
	v_mov_b32_e32 v19, 0
	v_mov_b32_e32 v17, 0
	;; [unrolled: 1-line block ×4, first 2 shown]
	s_waitcnt vmcnt(0)
	v_cmp_ne_u16_sdwa s0, v71, v6 src0_sel:BYTE_0 src1_sel:DWORD
	s_and_saveexec_b32 s9, s0
	s_cbranch_execz .LBB221_595
; %bb.588:                              ;   in Loop: Header=BB221_417 Depth=1
	v_bfrev_b32_e32 v17, 1
	v_mov_b32_e32 v18, 0
	v_cmp_ne_u16_sdwa s0, v71, v42 src0_sel:BYTE_0 src1_sel:DWORD
	s_and_saveexec_b32 s13, s0
	s_cbranch_execz .LBB221_594
; %bb.589:                              ;   in Loop: Header=BB221_417 Depth=1
	v_mov_b32_e32 v17, 0x7f800001
	v_and_b32_e32 v13, 0x7f, v71
	v_mov_b32_e32 v18, 0
	s_mov_b32 s14, exec_lo
	v_cmpx_ne_u32_e32 0x7f, v13
	s_cbranch_execz .LBB221_593
; %bb.590:                              ;   in Loop: Header=BB221_417 Depth=1
	v_and_b32_e32 v5, 7, v71
	v_lshrrev_b32_e32 v11, 3, v13
	s_mov_b32 s15, exec_lo
	v_cmpx_gt_u32_e32 8, v13
; %bb.591:                              ;   in Loop: Header=BB221_417 Depth=1
	v_ffbh_u32_e32 v11, v5
	v_min_u32_e32 v11, 32, v11
	v_subrev_nc_u32_e32 v13, 28, v11
	v_sub_nc_u32_e32 v11, 29, v11
	v_lshlrev_b64 v[17:18], v13, v[5:6]
	v_and_b32_e32 v5, 7, v17
; %bb.592:                              ;   in Loop: Header=BB221_417 Depth=1
	s_or_b32 exec_lo, exec_lo, s15
	v_lshlrev_b32_e32 v13, 24, v71
	v_lshlrev_b32_e32 v5, 20, v5
	v_lshl_add_u32 v11, v11, 23, 0x3c000000
	v_and_b32_e32 v13, 0x80000000, v13
	v_or3_b32 v5, v5, v13, v11
	v_mov_b32_e32 v18, v6
	v_mov_b32_e32 v17, v5
.LBB221_593:                            ;   in Loop: Header=BB221_417 Depth=1
	s_or_b32 exec_lo, exec_lo, s14
.LBB221_594:                            ;   in Loop: Header=BB221_417 Depth=1
	s_or_b32 exec_lo, exec_lo, s13
.LBB221_595:                            ;   in Loop: Header=BB221_417 Depth=1
	s_or_b32 exec_lo, exec_lo, s9
	v_cmp_ne_u16_sdwa s0, v71, v6 src0_sel:BYTE_1 src1_sel:DWORD
	s_and_saveexec_b32 s9, s0
	s_cbranch_execz .LBB221_603
; %bb.596:                              ;   in Loop: Header=BB221_417 Depth=1
	v_mov_b32_e32 v11, v6
	v_mov_b32_e32 v20, v12
	v_cmp_ne_u16_sdwa s0, v71, v42 src0_sel:BYTE_1 src1_sel:DWORD
	v_mov_b32_e32 v19, v11
	s_and_saveexec_b32 s13, s0
	s_cbranch_execz .LBB221_602
; %bb.597:                              ;   in Loop: Header=BB221_417 Depth=1
	v_and_b32_sdwa v5, v43, v71 dst_sel:DWORD dst_unused:UNUSED_PAD src0_sel:DWORD src1_sel:BYTE_1
	v_mov_b32_e32 v13, v6
	v_mov_b32_e32 v20, v14
	s_mov_b32 s14, exec_lo
	v_and_b32_e32 v21, 0x7f, v5
	v_mov_b32_e32 v19, v13
	v_cmpx_ne_u32_e32 0x7f, v21
	s_cbranch_execz .LBB221_601
; %bb.598:                              ;   in Loop: Header=BB221_417 Depth=1
	v_and_b32_e32 v5, 7, v5
	v_lshrrev_b32_e32 v11, 3, v21
	s_mov_b32 s15, exec_lo
	v_cmpx_gt_u32_e32 8, v21
; %bb.599:                              ;   in Loop: Header=BB221_417 Depth=1
	v_ffbh_u32_e32 v11, v5
	v_min_u32_e32 v11, 32, v11
	v_subrev_nc_u32_e32 v13, 28, v11
	v_sub_nc_u32_e32 v11, 29, v11
	v_lshlrev_b64 v[19:20], v13, v[5:6]
	v_and_b32_e32 v5, 7, v19
; %bb.600:                              ;   in Loop: Header=BB221_417 Depth=1
	s_or_b32 exec_lo, exec_lo, s15
	v_lshlrev_b32_e32 v13, 16, v71
	v_lshlrev_b32_e32 v5, 20, v5
	v_lshl_add_u32 v11, v11, 23, 0x3c000000
	v_mov_b32_e32 v19, v6
	v_and_b32_e32 v13, 0x80000000, v13
	v_or3_b32 v20, v5, v13, v11
.LBB221_601:                            ;   in Loop: Header=BB221_417 Depth=1
	s_or_b32 exec_lo, exec_lo, s14
.LBB221_602:                            ;   in Loop: Header=BB221_417 Depth=1
	s_or_b32 exec_lo, exec_lo, s13
.LBB221_603:                            ;   in Loop: Header=BB221_417 Depth=1
	s_or_b32 exec_lo, exec_lo, s9
	v_mov_b32_e32 v23, 0
	v_mov_b32_e32 v21, 0
	v_and_b32_sdwa v5, v71, v44 dst_sel:DWORD dst_unused:UNUSED_PAD src0_sel:WORD_1 src1_sel:DWORD
	v_mov_b32_e32 v24, 0
	v_mov_b32_e32 v22, 0
	s_mov_b32 s9, exec_lo
	v_cmpx_ne_u16_e32 0, v5
	s_cbranch_execz .LBB221_611
; %bb.604:                              ;   in Loop: Header=BB221_417 Depth=1
	v_bfrev_b32_e32 v21, 1
	v_mov_b32_e32 v22, 0
	s_mov_b32 s13, exec_lo
	v_cmpx_ne_u16_e32 0x80, v5
	s_cbranch_execz .LBB221_610
; %bb.605:                              ;   in Loop: Header=BB221_417 Depth=1
	v_mov_b32_e32 v21, 0x7f800001
	v_bfe_u32 v13, v71, 16, 7
	v_mov_b32_e32 v22, 0
	s_mov_b32 s14, exec_lo
	v_cmpx_ne_u32_e32 0x7f, v13
	s_cbranch_execz .LBB221_609
; %bb.606:                              ;   in Loop: Header=BB221_417 Depth=1
	v_and_b32_sdwa v5, v71, v45 dst_sel:DWORD dst_unused:UNUSED_PAD src0_sel:WORD_1 src1_sel:DWORD
	v_lshrrev_b32_e32 v11, 3, v13
	s_mov_b32 s15, exec_lo
	v_cmpx_gt_u32_e32 8, v13
; %bb.607:                              ;   in Loop: Header=BB221_417 Depth=1
	v_ffbh_u32_e32 v11, v5
	v_min_u32_e32 v11, 32, v11
	v_subrev_nc_u32_e32 v13, 28, v11
	v_sub_nc_u32_e32 v11, 29, v11
	v_lshlrev_b64 v[21:22], v13, v[5:6]
	v_and_b32_e32 v5, 7, v21
; %bb.608:                              ;   in Loop: Header=BB221_417 Depth=1
	s_or_b32 exec_lo, exec_lo, s15
	v_lshlrev_b32_sdwa v13, v46, v71 dst_sel:DWORD dst_unused:UNUSED_PAD src0_sel:DWORD src1_sel:WORD_1
	v_lshlrev_b32_e32 v5, 20, v5
	v_lshl_add_u32 v11, v11, 23, 0x3c000000
	v_and_b32_e32 v13, 0x80000000, v13
	v_or3_b32 v5, v5, v13, v11
	v_mov_b32_e32 v22, v6
	v_mov_b32_e32 v21, v5
.LBB221_609:                            ;   in Loop: Header=BB221_417 Depth=1
	s_or_b32 exec_lo, exec_lo, s14
.LBB221_610:                            ;   in Loop: Header=BB221_417 Depth=1
	s_or_b32 exec_lo, exec_lo, s13
.LBB221_611:                            ;   in Loop: Header=BB221_417 Depth=1
	s_or_b32 exec_lo, exec_lo, s9
	s_mov_b32 s9, exec_lo
	v_cmpx_lt_u32_e32 0xffffff, v71
	s_cbranch_execz .LBB221_619
; %bb.612:                              ;   in Loop: Header=BB221_417 Depth=1
	v_mov_b32_e32 v11, v6
	v_mov_b32_e32 v24, v12
	v_cmp_ne_u32_sdwa s0, v71, v42 src0_sel:BYTE_3 src1_sel:DWORD
	v_mov_b32_e32 v23, v11
	s_and_saveexec_b32 s13, s0
	s_cbranch_execz .LBB221_618
; %bb.613:                              ;   in Loop: Header=BB221_417 Depth=1
	v_mov_b32_e32 v13, v6
	v_mov_b32_e32 v24, v14
	v_bfe_u32 v72, v71, 24, 7
	s_mov_b32 s14, exec_lo
	v_mov_b32_e32 v23, v13
	v_cmpx_ne_u32_e32 0x7f, v72
	s_cbranch_execz .LBB221_617
; %bb.614:                              ;   in Loop: Header=BB221_417 Depth=1
	v_and_b32_sdwa v5, v71, v45 dst_sel:DWORD dst_unused:UNUSED_PAD src0_sel:BYTE_3 src1_sel:DWORD
	v_lshrrev_b32_e32 v11, 3, v72
	s_mov_b32 s15, exec_lo
	v_cmpx_gt_u32_e32 8, v72
; %bb.615:                              ;   in Loop: Header=BB221_417 Depth=1
	v_ffbh_u32_e32 v11, v5
	v_min_u32_e32 v11, 32, v11
	v_subrev_nc_u32_e32 v13, 28, v11
	v_sub_nc_u32_e32 v11, 29, v11
	v_lshlrev_b64 v[23:24], v13, v[5:6]
	v_and_b32_e32 v5, 7, v23
; %bb.616:                              ;   in Loop: Header=BB221_417 Depth=1
	s_or_b32 exec_lo, exec_lo, s15
	v_lshlrev_b32_sdwa v13, v46, v71 dst_sel:DWORD dst_unused:UNUSED_PAD src0_sel:DWORD src1_sel:BYTE_3
	v_lshlrev_b32_e32 v5, 20, v5
	v_lshl_add_u32 v11, v11, 23, 0x3c000000
	v_mov_b32_e32 v23, v6
	v_and_b32_e32 v13, 0x80000000, v13
	v_or3_b32 v24, v5, v13, v11
.LBB221_617:                            ;   in Loop: Header=BB221_417 Depth=1
	s_or_b32 exec_lo, exec_lo, s14
.LBB221_618:                            ;   in Loop: Header=BB221_417 Depth=1
	s_or_b32 exec_lo, exec_lo, s13
.LBB221_619:                            ;   in Loop: Header=BB221_417 Depth=1
	s_or_b32 exec_lo, exec_lo, s9
	v_or_b32_e32 v5, v20, v18
	v_or_b32_e32 v11, v19, v17
	;; [unrolled: 1-line block ×4, first 2 shown]
	v_mul_f32_e32 v73, s6, v5
	v_mul_f32_e32 v74, s3, v11
	;; [unrolled: 1-line block ×4, first 2 shown]
	s_and_saveexec_b32 s9, vcc_lo
	s_cbranch_execz .LBB221_621
; %bb.620:                              ;   in Loop: Header=BB221_417 Depth=1
	v_cmp_gt_i32_e64 s0, s27, v52
	v_cndmask_b32_e64 v74, 0, v74, s0
	v_cmp_gt_i32_e64 s0, s27, v54
	v_cndmask_b32_e64 v73, 0, v73, s0
	;; [unrolled: 2-line block ×4, first 2 shown]
.LBB221_621:                            ;   in Loop: Header=BB221_417 Depth=1
	s_or_b32 exec_lo, exec_lo, s9
	global_load_dword v75, v[15:16], off offset:768
	v_mov_b32_e32 v19, 0
	v_mov_b32_e32 v17, 0
	v_mov_b32_e32 v20, 0
	v_mov_b32_e32 v18, 0
	s_waitcnt vmcnt(0)
	v_cmp_ne_u16_sdwa s0, v75, v6 src0_sel:BYTE_0 src1_sel:DWORD
	s_and_saveexec_b32 s9, s0
	s_cbranch_execz .LBB221_629
; %bb.622:                              ;   in Loop: Header=BB221_417 Depth=1
	v_bfrev_b32_e32 v17, 1
	v_mov_b32_e32 v18, 0
	v_cmp_ne_u16_sdwa s0, v75, v42 src0_sel:BYTE_0 src1_sel:DWORD
	s_and_saveexec_b32 s13, s0
	s_cbranch_execz .LBB221_628
; %bb.623:                              ;   in Loop: Header=BB221_417 Depth=1
	v_mov_b32_e32 v17, 0x7f800001
	v_and_b32_e32 v13, 0x7f, v75
	v_mov_b32_e32 v18, 0
	s_mov_b32 s14, exec_lo
	v_cmpx_ne_u32_e32 0x7f, v13
	s_cbranch_execz .LBB221_627
; %bb.624:                              ;   in Loop: Header=BB221_417 Depth=1
	v_and_b32_e32 v5, 7, v75
	v_lshrrev_b32_e32 v11, 3, v13
	s_mov_b32 s15, exec_lo
	v_cmpx_gt_u32_e32 8, v13
; %bb.625:                              ;   in Loop: Header=BB221_417 Depth=1
	v_ffbh_u32_e32 v11, v5
	v_min_u32_e32 v11, 32, v11
	v_subrev_nc_u32_e32 v13, 28, v11
	v_sub_nc_u32_e32 v11, 29, v11
	v_lshlrev_b64 v[17:18], v13, v[5:6]
	v_and_b32_e32 v5, 7, v17
; %bb.626:                              ;   in Loop: Header=BB221_417 Depth=1
	s_or_b32 exec_lo, exec_lo, s15
	v_lshlrev_b32_e32 v13, 24, v75
	v_lshlrev_b32_e32 v5, 20, v5
	v_lshl_add_u32 v11, v11, 23, 0x3c000000
	v_and_b32_e32 v13, 0x80000000, v13
	v_or3_b32 v5, v5, v13, v11
	v_mov_b32_e32 v18, v6
	v_mov_b32_e32 v17, v5
.LBB221_627:                            ;   in Loop: Header=BB221_417 Depth=1
	s_or_b32 exec_lo, exec_lo, s14
.LBB221_628:                            ;   in Loop: Header=BB221_417 Depth=1
	s_or_b32 exec_lo, exec_lo, s13
.LBB221_629:                            ;   in Loop: Header=BB221_417 Depth=1
	s_or_b32 exec_lo, exec_lo, s9
	v_cmp_ne_u16_sdwa s0, v75, v6 src0_sel:BYTE_1 src1_sel:DWORD
	s_and_saveexec_b32 s9, s0
	s_cbranch_execz .LBB221_637
; %bb.630:                              ;   in Loop: Header=BB221_417 Depth=1
	v_mov_b32_e32 v11, v6
	v_mov_b32_e32 v20, v12
	v_cmp_ne_u16_sdwa s0, v75, v42 src0_sel:BYTE_1 src1_sel:DWORD
	v_mov_b32_e32 v19, v11
	s_and_saveexec_b32 s13, s0
	s_cbranch_execz .LBB221_636
; %bb.631:                              ;   in Loop: Header=BB221_417 Depth=1
	v_and_b32_sdwa v5, v43, v75 dst_sel:DWORD dst_unused:UNUSED_PAD src0_sel:DWORD src1_sel:BYTE_1
	v_mov_b32_e32 v13, v6
	v_mov_b32_e32 v20, v14
	s_mov_b32 s14, exec_lo
	v_and_b32_e32 v21, 0x7f, v5
	v_mov_b32_e32 v19, v13
	v_cmpx_ne_u32_e32 0x7f, v21
	s_cbranch_execz .LBB221_635
; %bb.632:                              ;   in Loop: Header=BB221_417 Depth=1
	v_and_b32_e32 v5, 7, v5
	v_lshrrev_b32_e32 v11, 3, v21
	s_mov_b32 s15, exec_lo
	v_cmpx_gt_u32_e32 8, v21
; %bb.633:                              ;   in Loop: Header=BB221_417 Depth=1
	v_ffbh_u32_e32 v11, v5
	v_min_u32_e32 v11, 32, v11
	v_subrev_nc_u32_e32 v13, 28, v11
	v_sub_nc_u32_e32 v11, 29, v11
	v_lshlrev_b64 v[19:20], v13, v[5:6]
	v_and_b32_e32 v5, 7, v19
; %bb.634:                              ;   in Loop: Header=BB221_417 Depth=1
	s_or_b32 exec_lo, exec_lo, s15
	v_lshlrev_b32_e32 v13, 16, v75
	v_lshlrev_b32_e32 v5, 20, v5
	v_lshl_add_u32 v11, v11, 23, 0x3c000000
	v_mov_b32_e32 v19, v6
	v_and_b32_e32 v13, 0x80000000, v13
	v_or3_b32 v20, v5, v13, v11
.LBB221_635:                            ;   in Loop: Header=BB221_417 Depth=1
	s_or_b32 exec_lo, exec_lo, s14
.LBB221_636:                            ;   in Loop: Header=BB221_417 Depth=1
	s_or_b32 exec_lo, exec_lo, s13
.LBB221_637:                            ;   in Loop: Header=BB221_417 Depth=1
	s_or_b32 exec_lo, exec_lo, s9
	v_mov_b32_e32 v23, 0
	v_mov_b32_e32 v21, 0
	v_and_b32_sdwa v5, v75, v44 dst_sel:DWORD dst_unused:UNUSED_PAD src0_sel:WORD_1 src1_sel:DWORD
	v_mov_b32_e32 v24, 0
	v_mov_b32_e32 v22, 0
	s_mov_b32 s9, exec_lo
	v_cmpx_ne_u16_e32 0, v5
	s_cbranch_execz .LBB221_645
; %bb.638:                              ;   in Loop: Header=BB221_417 Depth=1
	v_bfrev_b32_e32 v21, 1
	v_mov_b32_e32 v22, 0
	s_mov_b32 s13, exec_lo
	v_cmpx_ne_u16_e32 0x80, v5
	s_cbranch_execz .LBB221_644
; %bb.639:                              ;   in Loop: Header=BB221_417 Depth=1
	v_mov_b32_e32 v21, 0x7f800001
	v_bfe_u32 v13, v75, 16, 7
	v_mov_b32_e32 v22, 0
	s_mov_b32 s14, exec_lo
	v_cmpx_ne_u32_e32 0x7f, v13
	s_cbranch_execz .LBB221_643
; %bb.640:                              ;   in Loop: Header=BB221_417 Depth=1
	v_and_b32_sdwa v5, v75, v45 dst_sel:DWORD dst_unused:UNUSED_PAD src0_sel:WORD_1 src1_sel:DWORD
	v_lshrrev_b32_e32 v11, 3, v13
	s_mov_b32 s15, exec_lo
	v_cmpx_gt_u32_e32 8, v13
; %bb.641:                              ;   in Loop: Header=BB221_417 Depth=1
	v_ffbh_u32_e32 v11, v5
	v_min_u32_e32 v11, 32, v11
	v_subrev_nc_u32_e32 v13, 28, v11
	v_sub_nc_u32_e32 v11, 29, v11
	v_lshlrev_b64 v[21:22], v13, v[5:6]
	v_and_b32_e32 v5, 7, v21
; %bb.642:                              ;   in Loop: Header=BB221_417 Depth=1
	s_or_b32 exec_lo, exec_lo, s15
	v_lshlrev_b32_sdwa v13, v46, v75 dst_sel:DWORD dst_unused:UNUSED_PAD src0_sel:DWORD src1_sel:WORD_1
	v_lshlrev_b32_e32 v5, 20, v5
	v_lshl_add_u32 v11, v11, 23, 0x3c000000
	v_and_b32_e32 v13, 0x80000000, v13
	v_or3_b32 v5, v5, v13, v11
	v_mov_b32_e32 v22, v6
	v_mov_b32_e32 v21, v5
.LBB221_643:                            ;   in Loop: Header=BB221_417 Depth=1
	s_or_b32 exec_lo, exec_lo, s14
.LBB221_644:                            ;   in Loop: Header=BB221_417 Depth=1
	s_or_b32 exec_lo, exec_lo, s13
.LBB221_645:                            ;   in Loop: Header=BB221_417 Depth=1
	s_or_b32 exec_lo, exec_lo, s9
	s_mov_b32 s9, exec_lo
	v_cmpx_lt_u32_e32 0xffffff, v75
	s_cbranch_execz .LBB221_653
; %bb.646:                              ;   in Loop: Header=BB221_417 Depth=1
	v_mov_b32_e32 v11, v6
	v_mov_b32_e32 v24, v12
	v_cmp_ne_u32_sdwa s0, v75, v42 src0_sel:BYTE_3 src1_sel:DWORD
	v_mov_b32_e32 v23, v11
	s_and_saveexec_b32 s13, s0
	s_cbranch_execz .LBB221_652
; %bb.647:                              ;   in Loop: Header=BB221_417 Depth=1
	v_mov_b32_e32 v13, v6
	v_mov_b32_e32 v24, v14
	v_bfe_u32 v76, v75, 24, 7
	s_mov_b32 s14, exec_lo
	v_mov_b32_e32 v23, v13
	v_cmpx_ne_u32_e32 0x7f, v76
	s_cbranch_execz .LBB221_651
; %bb.648:                              ;   in Loop: Header=BB221_417 Depth=1
	v_and_b32_sdwa v5, v75, v45 dst_sel:DWORD dst_unused:UNUSED_PAD src0_sel:BYTE_3 src1_sel:DWORD
	v_lshrrev_b32_e32 v11, 3, v76
	s_mov_b32 s15, exec_lo
	v_cmpx_gt_u32_e32 8, v76
; %bb.649:                              ;   in Loop: Header=BB221_417 Depth=1
	v_ffbh_u32_e32 v11, v5
	v_min_u32_e32 v11, 32, v11
	v_subrev_nc_u32_e32 v13, 28, v11
	v_sub_nc_u32_e32 v11, 29, v11
	v_lshlrev_b64 v[23:24], v13, v[5:6]
	v_and_b32_e32 v5, 7, v23
; %bb.650:                              ;   in Loop: Header=BB221_417 Depth=1
	s_or_b32 exec_lo, exec_lo, s15
	v_lshlrev_b32_sdwa v13, v46, v75 dst_sel:DWORD dst_unused:UNUSED_PAD src0_sel:DWORD src1_sel:BYTE_3
	v_lshlrev_b32_e32 v5, 20, v5
	v_lshl_add_u32 v11, v11, 23, 0x3c000000
	v_mov_b32_e32 v23, v6
	v_and_b32_e32 v13, 0x80000000, v13
	v_or3_b32 v24, v5, v13, v11
.LBB221_651:                            ;   in Loop: Header=BB221_417 Depth=1
	s_or_b32 exec_lo, exec_lo, s14
.LBB221_652:                            ;   in Loop: Header=BB221_417 Depth=1
	s_or_b32 exec_lo, exec_lo, s13
.LBB221_653:                            ;   in Loop: Header=BB221_417 Depth=1
	s_or_b32 exec_lo, exec_lo, s9
	v_or_b32_e32 v5, v20, v18
	v_or_b32_e32 v11, v19, v17
	;; [unrolled: 1-line block ×4, first 2 shown]
	v_mul_f32_e32 v77, s6, v5
	v_mul_f32_e32 v78, s3, v11
	;; [unrolled: 1-line block ×4, first 2 shown]
	s_and_saveexec_b32 s9, vcc_lo
	s_cbranch_execz .LBB221_655
; %bb.654:                              ;   in Loop: Header=BB221_417 Depth=1
	v_cmp_gt_i32_e64 s0, s27, v52
	v_cndmask_b32_e64 v78, 0, v78, s0
	v_cmp_gt_i32_e64 s0, s27, v54
	v_cndmask_b32_e64 v77, 0, v77, s0
	;; [unrolled: 2-line block ×4, first 2 shown]
.LBB221_655:                            ;   in Loop: Header=BB221_417 Depth=1
	s_or_b32 exec_lo, exec_lo, s9
	global_load_dword v79, v[15:16], off offset:896
	v_mov_b32_e32 v19, 0
	v_mov_b32_e32 v17, 0
	;; [unrolled: 1-line block ×4, first 2 shown]
	s_waitcnt vmcnt(0)
	v_cmp_ne_u16_sdwa s0, v79, v6 src0_sel:BYTE_0 src1_sel:DWORD
	s_and_saveexec_b32 s9, s0
	s_cbranch_execz .LBB221_663
; %bb.656:                              ;   in Loop: Header=BB221_417 Depth=1
	v_bfrev_b32_e32 v17, 1
	v_mov_b32_e32 v18, 0
	v_cmp_ne_u16_sdwa s0, v79, v42 src0_sel:BYTE_0 src1_sel:DWORD
	s_and_saveexec_b32 s13, s0
	s_cbranch_execz .LBB221_662
; %bb.657:                              ;   in Loop: Header=BB221_417 Depth=1
	v_mov_b32_e32 v17, 0x7f800001
	v_and_b32_e32 v13, 0x7f, v79
	v_mov_b32_e32 v18, 0
	s_mov_b32 s14, exec_lo
	v_cmpx_ne_u32_e32 0x7f, v13
	s_cbranch_execz .LBB221_661
; %bb.658:                              ;   in Loop: Header=BB221_417 Depth=1
	v_and_b32_e32 v5, 7, v79
	v_lshrrev_b32_e32 v11, 3, v13
	s_mov_b32 s15, exec_lo
	v_cmpx_gt_u32_e32 8, v13
; %bb.659:                              ;   in Loop: Header=BB221_417 Depth=1
	v_ffbh_u32_e32 v11, v5
	v_min_u32_e32 v11, 32, v11
	v_subrev_nc_u32_e32 v13, 28, v11
	v_sub_nc_u32_e32 v11, 29, v11
	v_lshlrev_b64 v[17:18], v13, v[5:6]
	v_and_b32_e32 v5, 7, v17
; %bb.660:                              ;   in Loop: Header=BB221_417 Depth=1
	s_or_b32 exec_lo, exec_lo, s15
	v_lshlrev_b32_e32 v13, 24, v79
	v_lshlrev_b32_e32 v5, 20, v5
	v_lshl_add_u32 v11, v11, 23, 0x3c000000
	v_and_b32_e32 v13, 0x80000000, v13
	v_or3_b32 v5, v5, v13, v11
	v_mov_b32_e32 v18, v6
	v_mov_b32_e32 v17, v5
.LBB221_661:                            ;   in Loop: Header=BB221_417 Depth=1
	s_or_b32 exec_lo, exec_lo, s14
.LBB221_662:                            ;   in Loop: Header=BB221_417 Depth=1
	s_or_b32 exec_lo, exec_lo, s13
.LBB221_663:                            ;   in Loop: Header=BB221_417 Depth=1
	s_or_b32 exec_lo, exec_lo, s9
	v_cmp_ne_u16_sdwa s0, v79, v6 src0_sel:BYTE_1 src1_sel:DWORD
	s_and_saveexec_b32 s9, s0
	s_cbranch_execz .LBB221_671
; %bb.664:                              ;   in Loop: Header=BB221_417 Depth=1
	v_mov_b32_e32 v11, v6
	v_mov_b32_e32 v20, v12
	v_cmp_ne_u16_sdwa s0, v79, v42 src0_sel:BYTE_1 src1_sel:DWORD
	v_mov_b32_e32 v19, v11
	s_and_saveexec_b32 s13, s0
	s_cbranch_execz .LBB221_670
; %bb.665:                              ;   in Loop: Header=BB221_417 Depth=1
	v_and_b32_sdwa v5, v43, v79 dst_sel:DWORD dst_unused:UNUSED_PAD src0_sel:DWORD src1_sel:BYTE_1
	v_mov_b32_e32 v13, v6
	v_mov_b32_e32 v20, v14
	s_mov_b32 s14, exec_lo
	v_and_b32_e32 v21, 0x7f, v5
	v_mov_b32_e32 v19, v13
	v_cmpx_ne_u32_e32 0x7f, v21
	s_cbranch_execz .LBB221_669
; %bb.666:                              ;   in Loop: Header=BB221_417 Depth=1
	v_and_b32_e32 v5, 7, v5
	v_lshrrev_b32_e32 v11, 3, v21
	s_mov_b32 s15, exec_lo
	v_cmpx_gt_u32_e32 8, v21
; %bb.667:                              ;   in Loop: Header=BB221_417 Depth=1
	v_ffbh_u32_e32 v11, v5
	v_min_u32_e32 v11, 32, v11
	v_subrev_nc_u32_e32 v13, 28, v11
	v_sub_nc_u32_e32 v11, 29, v11
	v_lshlrev_b64 v[19:20], v13, v[5:6]
	v_and_b32_e32 v5, 7, v19
; %bb.668:                              ;   in Loop: Header=BB221_417 Depth=1
	s_or_b32 exec_lo, exec_lo, s15
	v_lshlrev_b32_e32 v13, 16, v79
	v_lshlrev_b32_e32 v5, 20, v5
	v_lshl_add_u32 v11, v11, 23, 0x3c000000
	v_mov_b32_e32 v19, v6
	v_and_b32_e32 v13, 0x80000000, v13
	v_or3_b32 v20, v5, v13, v11
.LBB221_669:                            ;   in Loop: Header=BB221_417 Depth=1
	s_or_b32 exec_lo, exec_lo, s14
.LBB221_670:                            ;   in Loop: Header=BB221_417 Depth=1
	s_or_b32 exec_lo, exec_lo, s13
.LBB221_671:                            ;   in Loop: Header=BB221_417 Depth=1
	s_or_b32 exec_lo, exec_lo, s9
	v_mov_b32_e32 v23, 0
	v_mov_b32_e32 v21, 0
	v_and_b32_sdwa v5, v79, v44 dst_sel:DWORD dst_unused:UNUSED_PAD src0_sel:WORD_1 src1_sel:DWORD
	v_mov_b32_e32 v24, 0
	v_mov_b32_e32 v22, 0
	s_mov_b32 s9, exec_lo
	v_cmpx_ne_u16_e32 0, v5
	s_cbranch_execz .LBB221_679
; %bb.672:                              ;   in Loop: Header=BB221_417 Depth=1
	v_bfrev_b32_e32 v21, 1
	v_mov_b32_e32 v22, 0
	s_mov_b32 s13, exec_lo
	v_cmpx_ne_u16_e32 0x80, v5
	s_cbranch_execz .LBB221_678
; %bb.673:                              ;   in Loop: Header=BB221_417 Depth=1
	v_mov_b32_e32 v21, 0x7f800001
	v_bfe_u32 v13, v79, 16, 7
	v_mov_b32_e32 v22, 0
	s_mov_b32 s14, exec_lo
	v_cmpx_ne_u32_e32 0x7f, v13
	s_cbranch_execz .LBB221_677
; %bb.674:                              ;   in Loop: Header=BB221_417 Depth=1
	v_and_b32_sdwa v5, v79, v45 dst_sel:DWORD dst_unused:UNUSED_PAD src0_sel:WORD_1 src1_sel:DWORD
	v_lshrrev_b32_e32 v11, 3, v13
	s_mov_b32 s15, exec_lo
	v_cmpx_gt_u32_e32 8, v13
; %bb.675:                              ;   in Loop: Header=BB221_417 Depth=1
	v_ffbh_u32_e32 v11, v5
	v_min_u32_e32 v11, 32, v11
	v_subrev_nc_u32_e32 v13, 28, v11
	v_sub_nc_u32_e32 v11, 29, v11
	v_lshlrev_b64 v[21:22], v13, v[5:6]
	v_and_b32_e32 v5, 7, v21
; %bb.676:                              ;   in Loop: Header=BB221_417 Depth=1
	s_or_b32 exec_lo, exec_lo, s15
	v_lshlrev_b32_sdwa v13, v46, v79 dst_sel:DWORD dst_unused:UNUSED_PAD src0_sel:DWORD src1_sel:WORD_1
	v_lshlrev_b32_e32 v5, 20, v5
	v_lshl_add_u32 v11, v11, 23, 0x3c000000
	v_and_b32_e32 v13, 0x80000000, v13
	v_or3_b32 v5, v5, v13, v11
	v_mov_b32_e32 v22, v6
	v_mov_b32_e32 v21, v5
.LBB221_677:                            ;   in Loop: Header=BB221_417 Depth=1
	s_or_b32 exec_lo, exec_lo, s14
.LBB221_678:                            ;   in Loop: Header=BB221_417 Depth=1
	s_or_b32 exec_lo, exec_lo, s13
.LBB221_679:                            ;   in Loop: Header=BB221_417 Depth=1
	s_or_b32 exec_lo, exec_lo, s9
	s_mov_b32 s9, exec_lo
	v_cmpx_lt_u32_e32 0xffffff, v79
	s_cbranch_execz .LBB221_687
; %bb.680:                              ;   in Loop: Header=BB221_417 Depth=1
	v_mov_b32_e32 v11, v6
	v_mov_b32_e32 v24, v12
	v_cmp_ne_u32_sdwa s0, v79, v42 src0_sel:BYTE_3 src1_sel:DWORD
	v_mov_b32_e32 v23, v11
	s_and_saveexec_b32 s13, s0
	s_cbranch_execz .LBB221_686
; %bb.681:                              ;   in Loop: Header=BB221_417 Depth=1
	v_mov_b32_e32 v13, v6
	v_mov_b32_e32 v24, v14
	v_bfe_u32 v80, v79, 24, 7
	s_mov_b32 s14, exec_lo
	v_mov_b32_e32 v23, v13
	v_cmpx_ne_u32_e32 0x7f, v80
	s_cbranch_execz .LBB221_685
; %bb.682:                              ;   in Loop: Header=BB221_417 Depth=1
	v_and_b32_sdwa v5, v79, v45 dst_sel:DWORD dst_unused:UNUSED_PAD src0_sel:BYTE_3 src1_sel:DWORD
	v_lshrrev_b32_e32 v11, 3, v80
	s_mov_b32 s15, exec_lo
	v_cmpx_gt_u32_e32 8, v80
; %bb.683:                              ;   in Loop: Header=BB221_417 Depth=1
	v_ffbh_u32_e32 v11, v5
	v_min_u32_e32 v11, 32, v11
	v_subrev_nc_u32_e32 v13, 28, v11
	v_sub_nc_u32_e32 v11, 29, v11
	v_lshlrev_b64 v[23:24], v13, v[5:6]
	v_and_b32_e32 v5, 7, v23
; %bb.684:                              ;   in Loop: Header=BB221_417 Depth=1
	s_or_b32 exec_lo, exec_lo, s15
	v_lshlrev_b32_sdwa v13, v46, v79 dst_sel:DWORD dst_unused:UNUSED_PAD src0_sel:DWORD src1_sel:BYTE_3
	v_lshlrev_b32_e32 v5, 20, v5
	v_lshl_add_u32 v11, v11, 23, 0x3c000000
	v_mov_b32_e32 v23, v6
	v_and_b32_e32 v13, 0x80000000, v13
	v_or3_b32 v24, v5, v13, v11
.LBB221_685:                            ;   in Loop: Header=BB221_417 Depth=1
	s_or_b32 exec_lo, exec_lo, s14
.LBB221_686:                            ;   in Loop: Header=BB221_417 Depth=1
	s_or_b32 exec_lo, exec_lo, s13
.LBB221_687:                            ;   in Loop: Header=BB221_417 Depth=1
	s_or_b32 exec_lo, exec_lo, s9
	v_or_b32_e32 v5, v20, v18
	v_or_b32_e32 v11, v19, v17
	;; [unrolled: 1-line block ×4, first 2 shown]
	v_mul_f32_e32 v81, s6, v5
	v_mul_f32_e32 v82, s3, v11
	;; [unrolled: 1-line block ×4, first 2 shown]
	s_and_saveexec_b32 s9, vcc_lo
	s_cbranch_execz .LBB221_689
; %bb.688:                              ;   in Loop: Header=BB221_417 Depth=1
	v_cmp_gt_i32_e64 s0, s27, v52
	v_cndmask_b32_e64 v82, 0, v82, s0
	v_cmp_gt_i32_e64 s0, s27, v54
	v_cndmask_b32_e64 v81, 0, v81, s0
	;; [unrolled: 2-line block ×4, first 2 shown]
.LBB221_689:                            ;   in Loop: Header=BB221_417 Depth=1
	s_or_b32 exec_lo, exec_lo, s9
	global_load_dword v83, v[15:16], off offset:1024
	v_mov_b32_e32 v19, 0
	v_mov_b32_e32 v17, 0
	;; [unrolled: 1-line block ×4, first 2 shown]
	s_waitcnt vmcnt(0)
	v_cmp_ne_u16_sdwa s0, v83, v6 src0_sel:BYTE_0 src1_sel:DWORD
	s_and_saveexec_b32 s9, s0
	s_cbranch_execz .LBB221_697
; %bb.690:                              ;   in Loop: Header=BB221_417 Depth=1
	v_bfrev_b32_e32 v17, 1
	v_mov_b32_e32 v18, 0
	v_cmp_ne_u16_sdwa s0, v83, v42 src0_sel:BYTE_0 src1_sel:DWORD
	s_and_saveexec_b32 s13, s0
	s_cbranch_execz .LBB221_696
; %bb.691:                              ;   in Loop: Header=BB221_417 Depth=1
	v_mov_b32_e32 v17, 0x7f800001
	v_and_b32_e32 v13, 0x7f, v83
	v_mov_b32_e32 v18, 0
	s_mov_b32 s14, exec_lo
	v_cmpx_ne_u32_e32 0x7f, v13
	s_cbranch_execz .LBB221_695
; %bb.692:                              ;   in Loop: Header=BB221_417 Depth=1
	v_and_b32_e32 v5, 7, v83
	v_lshrrev_b32_e32 v11, 3, v13
	s_mov_b32 s15, exec_lo
	v_cmpx_gt_u32_e32 8, v13
; %bb.693:                              ;   in Loop: Header=BB221_417 Depth=1
	v_ffbh_u32_e32 v11, v5
	v_min_u32_e32 v11, 32, v11
	v_subrev_nc_u32_e32 v13, 28, v11
	v_sub_nc_u32_e32 v11, 29, v11
	v_lshlrev_b64 v[17:18], v13, v[5:6]
	v_and_b32_e32 v5, 7, v17
; %bb.694:                              ;   in Loop: Header=BB221_417 Depth=1
	s_or_b32 exec_lo, exec_lo, s15
	v_lshlrev_b32_e32 v13, 24, v83
	v_lshlrev_b32_e32 v5, 20, v5
	v_lshl_add_u32 v11, v11, 23, 0x3c000000
	v_and_b32_e32 v13, 0x80000000, v13
	v_or3_b32 v5, v5, v13, v11
	v_mov_b32_e32 v18, v6
	v_mov_b32_e32 v17, v5
.LBB221_695:                            ;   in Loop: Header=BB221_417 Depth=1
	s_or_b32 exec_lo, exec_lo, s14
.LBB221_696:                            ;   in Loop: Header=BB221_417 Depth=1
	s_or_b32 exec_lo, exec_lo, s13
.LBB221_697:                            ;   in Loop: Header=BB221_417 Depth=1
	s_or_b32 exec_lo, exec_lo, s9
	v_cmp_ne_u16_sdwa s0, v83, v6 src0_sel:BYTE_1 src1_sel:DWORD
	s_and_saveexec_b32 s9, s0
	s_cbranch_execz .LBB221_705
; %bb.698:                              ;   in Loop: Header=BB221_417 Depth=1
	v_mov_b32_e32 v11, v6
	v_mov_b32_e32 v20, v12
	v_cmp_ne_u16_sdwa s0, v83, v42 src0_sel:BYTE_1 src1_sel:DWORD
	v_mov_b32_e32 v19, v11
	s_and_saveexec_b32 s13, s0
	s_cbranch_execz .LBB221_704
; %bb.699:                              ;   in Loop: Header=BB221_417 Depth=1
	v_and_b32_sdwa v5, v43, v83 dst_sel:DWORD dst_unused:UNUSED_PAD src0_sel:DWORD src1_sel:BYTE_1
	v_mov_b32_e32 v13, v6
	v_mov_b32_e32 v20, v14
	s_mov_b32 s14, exec_lo
	v_and_b32_e32 v21, 0x7f, v5
	v_mov_b32_e32 v19, v13
	v_cmpx_ne_u32_e32 0x7f, v21
	s_cbranch_execz .LBB221_703
; %bb.700:                              ;   in Loop: Header=BB221_417 Depth=1
	v_and_b32_e32 v5, 7, v5
	v_lshrrev_b32_e32 v11, 3, v21
	s_mov_b32 s15, exec_lo
	v_cmpx_gt_u32_e32 8, v21
; %bb.701:                              ;   in Loop: Header=BB221_417 Depth=1
	v_ffbh_u32_e32 v11, v5
	v_min_u32_e32 v11, 32, v11
	v_subrev_nc_u32_e32 v13, 28, v11
	v_sub_nc_u32_e32 v11, 29, v11
	v_lshlrev_b64 v[19:20], v13, v[5:6]
	v_and_b32_e32 v5, 7, v19
; %bb.702:                              ;   in Loop: Header=BB221_417 Depth=1
	s_or_b32 exec_lo, exec_lo, s15
	v_lshlrev_b32_e32 v13, 16, v83
	v_lshlrev_b32_e32 v5, 20, v5
	v_lshl_add_u32 v11, v11, 23, 0x3c000000
	v_mov_b32_e32 v19, v6
	v_and_b32_e32 v13, 0x80000000, v13
	v_or3_b32 v20, v5, v13, v11
.LBB221_703:                            ;   in Loop: Header=BB221_417 Depth=1
	s_or_b32 exec_lo, exec_lo, s14
.LBB221_704:                            ;   in Loop: Header=BB221_417 Depth=1
	s_or_b32 exec_lo, exec_lo, s13
.LBB221_705:                            ;   in Loop: Header=BB221_417 Depth=1
	s_or_b32 exec_lo, exec_lo, s9
	v_mov_b32_e32 v23, 0
	v_mov_b32_e32 v21, 0
	v_and_b32_sdwa v5, v83, v44 dst_sel:DWORD dst_unused:UNUSED_PAD src0_sel:WORD_1 src1_sel:DWORD
	v_mov_b32_e32 v24, 0
	v_mov_b32_e32 v22, 0
	s_mov_b32 s9, exec_lo
	v_cmpx_ne_u16_e32 0, v5
	s_cbranch_execz .LBB221_713
; %bb.706:                              ;   in Loop: Header=BB221_417 Depth=1
	v_bfrev_b32_e32 v21, 1
	v_mov_b32_e32 v22, 0
	s_mov_b32 s13, exec_lo
	v_cmpx_ne_u16_e32 0x80, v5
	s_cbranch_execz .LBB221_712
; %bb.707:                              ;   in Loop: Header=BB221_417 Depth=1
	v_mov_b32_e32 v21, 0x7f800001
	v_bfe_u32 v13, v83, 16, 7
	v_mov_b32_e32 v22, 0
	s_mov_b32 s14, exec_lo
	v_cmpx_ne_u32_e32 0x7f, v13
	s_cbranch_execz .LBB221_711
; %bb.708:                              ;   in Loop: Header=BB221_417 Depth=1
	v_and_b32_sdwa v5, v83, v45 dst_sel:DWORD dst_unused:UNUSED_PAD src0_sel:WORD_1 src1_sel:DWORD
	v_lshrrev_b32_e32 v11, 3, v13
	s_mov_b32 s15, exec_lo
	v_cmpx_gt_u32_e32 8, v13
; %bb.709:                              ;   in Loop: Header=BB221_417 Depth=1
	v_ffbh_u32_e32 v11, v5
	v_min_u32_e32 v11, 32, v11
	v_subrev_nc_u32_e32 v13, 28, v11
	v_sub_nc_u32_e32 v11, 29, v11
	v_lshlrev_b64 v[21:22], v13, v[5:6]
	v_and_b32_e32 v5, 7, v21
; %bb.710:                              ;   in Loop: Header=BB221_417 Depth=1
	s_or_b32 exec_lo, exec_lo, s15
	v_lshlrev_b32_sdwa v13, v46, v83 dst_sel:DWORD dst_unused:UNUSED_PAD src0_sel:DWORD src1_sel:WORD_1
	v_lshlrev_b32_e32 v5, 20, v5
	v_lshl_add_u32 v11, v11, 23, 0x3c000000
	v_and_b32_e32 v13, 0x80000000, v13
	v_or3_b32 v5, v5, v13, v11
	v_mov_b32_e32 v22, v6
	v_mov_b32_e32 v21, v5
.LBB221_711:                            ;   in Loop: Header=BB221_417 Depth=1
	s_or_b32 exec_lo, exec_lo, s14
.LBB221_712:                            ;   in Loop: Header=BB221_417 Depth=1
	s_or_b32 exec_lo, exec_lo, s13
.LBB221_713:                            ;   in Loop: Header=BB221_417 Depth=1
	s_or_b32 exec_lo, exec_lo, s9
	s_mov_b32 s9, exec_lo
	v_cmpx_lt_u32_e32 0xffffff, v83
	s_cbranch_execz .LBB221_721
; %bb.714:                              ;   in Loop: Header=BB221_417 Depth=1
	v_mov_b32_e32 v11, v6
	v_mov_b32_e32 v24, v12
	v_cmp_ne_u32_sdwa s0, v83, v42 src0_sel:BYTE_3 src1_sel:DWORD
	v_mov_b32_e32 v23, v11
	s_and_saveexec_b32 s13, s0
	s_cbranch_execz .LBB221_720
; %bb.715:                              ;   in Loop: Header=BB221_417 Depth=1
	v_mov_b32_e32 v13, v6
	v_mov_b32_e32 v24, v14
	v_bfe_u32 v84, v83, 24, 7
	s_mov_b32 s14, exec_lo
	v_mov_b32_e32 v23, v13
	v_cmpx_ne_u32_e32 0x7f, v84
	s_cbranch_execz .LBB221_719
; %bb.716:                              ;   in Loop: Header=BB221_417 Depth=1
	v_and_b32_sdwa v5, v83, v45 dst_sel:DWORD dst_unused:UNUSED_PAD src0_sel:BYTE_3 src1_sel:DWORD
	v_lshrrev_b32_e32 v11, 3, v84
	s_mov_b32 s15, exec_lo
	v_cmpx_gt_u32_e32 8, v84
; %bb.717:                              ;   in Loop: Header=BB221_417 Depth=1
	v_ffbh_u32_e32 v11, v5
	v_min_u32_e32 v11, 32, v11
	v_subrev_nc_u32_e32 v13, 28, v11
	v_sub_nc_u32_e32 v11, 29, v11
	v_lshlrev_b64 v[23:24], v13, v[5:6]
	v_and_b32_e32 v5, 7, v23
; %bb.718:                              ;   in Loop: Header=BB221_417 Depth=1
	s_or_b32 exec_lo, exec_lo, s15
	v_lshlrev_b32_sdwa v13, v46, v83 dst_sel:DWORD dst_unused:UNUSED_PAD src0_sel:DWORD src1_sel:BYTE_3
	v_lshlrev_b32_e32 v5, 20, v5
	v_lshl_add_u32 v11, v11, 23, 0x3c000000
	v_mov_b32_e32 v23, v6
	v_and_b32_e32 v13, 0x80000000, v13
	v_or3_b32 v24, v5, v13, v11
.LBB221_719:                            ;   in Loop: Header=BB221_417 Depth=1
	s_or_b32 exec_lo, exec_lo, s14
.LBB221_720:                            ;   in Loop: Header=BB221_417 Depth=1
	s_or_b32 exec_lo, exec_lo, s13
.LBB221_721:                            ;   in Loop: Header=BB221_417 Depth=1
	s_or_b32 exec_lo, exec_lo, s9
	v_or_b32_e32 v5, v20, v18
	v_or_b32_e32 v11, v19, v17
	;; [unrolled: 1-line block ×4, first 2 shown]
	v_mul_f32_e32 v85, s6, v5
	v_mul_f32_e32 v86, s3, v11
	v_mul_f32_e32 v84, s3, v13
	v_mul_f32_e32 v83, s6, v17
	s_and_saveexec_b32 s9, vcc_lo
	s_cbranch_execz .LBB221_723
; %bb.722:                              ;   in Loop: Header=BB221_417 Depth=1
	v_cmp_gt_i32_e64 s0, s27, v52
	v_cndmask_b32_e64 v86, 0, v86, s0
	v_cmp_gt_i32_e64 s0, s27, v54
	v_cndmask_b32_e64 v85, 0, v85, s0
	;; [unrolled: 2-line block ×4, first 2 shown]
.LBB221_723:                            ;   in Loop: Header=BB221_417 Depth=1
	s_or_b32 exec_lo, exec_lo, s9
	global_load_dword v87, v[15:16], off offset:1152
	v_mov_b32_e32 v19, 0
	v_mov_b32_e32 v17, 0
	;; [unrolled: 1-line block ×4, first 2 shown]
	s_waitcnt vmcnt(0)
	v_cmp_ne_u16_sdwa s0, v87, v6 src0_sel:BYTE_0 src1_sel:DWORD
	s_and_saveexec_b32 s9, s0
	s_cbranch_execz .LBB221_731
; %bb.724:                              ;   in Loop: Header=BB221_417 Depth=1
	v_bfrev_b32_e32 v17, 1
	v_mov_b32_e32 v18, 0
	v_cmp_ne_u16_sdwa s0, v87, v42 src0_sel:BYTE_0 src1_sel:DWORD
	s_and_saveexec_b32 s13, s0
	s_cbranch_execz .LBB221_730
; %bb.725:                              ;   in Loop: Header=BB221_417 Depth=1
	v_mov_b32_e32 v17, 0x7f800001
	v_and_b32_e32 v13, 0x7f, v87
	v_mov_b32_e32 v18, 0
	s_mov_b32 s14, exec_lo
	v_cmpx_ne_u32_e32 0x7f, v13
	s_cbranch_execz .LBB221_729
; %bb.726:                              ;   in Loop: Header=BB221_417 Depth=1
	v_and_b32_e32 v5, 7, v87
	v_lshrrev_b32_e32 v11, 3, v13
	s_mov_b32 s15, exec_lo
	v_cmpx_gt_u32_e32 8, v13
; %bb.727:                              ;   in Loop: Header=BB221_417 Depth=1
	v_ffbh_u32_e32 v11, v5
	v_min_u32_e32 v11, 32, v11
	v_subrev_nc_u32_e32 v13, 28, v11
	v_sub_nc_u32_e32 v11, 29, v11
	v_lshlrev_b64 v[17:18], v13, v[5:6]
	v_and_b32_e32 v5, 7, v17
; %bb.728:                              ;   in Loop: Header=BB221_417 Depth=1
	s_or_b32 exec_lo, exec_lo, s15
	v_lshlrev_b32_e32 v13, 24, v87
	v_lshlrev_b32_e32 v5, 20, v5
	v_lshl_add_u32 v11, v11, 23, 0x3c000000
	v_and_b32_e32 v13, 0x80000000, v13
	v_or3_b32 v5, v5, v13, v11
	v_mov_b32_e32 v18, v6
	v_mov_b32_e32 v17, v5
.LBB221_729:                            ;   in Loop: Header=BB221_417 Depth=1
	s_or_b32 exec_lo, exec_lo, s14
.LBB221_730:                            ;   in Loop: Header=BB221_417 Depth=1
	s_or_b32 exec_lo, exec_lo, s13
.LBB221_731:                            ;   in Loop: Header=BB221_417 Depth=1
	s_or_b32 exec_lo, exec_lo, s9
	v_cmp_ne_u16_sdwa s0, v87, v6 src0_sel:BYTE_1 src1_sel:DWORD
	s_and_saveexec_b32 s9, s0
	s_cbranch_execz .LBB221_739
; %bb.732:                              ;   in Loop: Header=BB221_417 Depth=1
	v_mov_b32_e32 v11, v6
	v_mov_b32_e32 v20, v12
	v_cmp_ne_u16_sdwa s0, v87, v42 src0_sel:BYTE_1 src1_sel:DWORD
	v_mov_b32_e32 v19, v11
	s_and_saveexec_b32 s13, s0
	s_cbranch_execz .LBB221_738
; %bb.733:                              ;   in Loop: Header=BB221_417 Depth=1
	v_and_b32_sdwa v5, v43, v87 dst_sel:DWORD dst_unused:UNUSED_PAD src0_sel:DWORD src1_sel:BYTE_1
	v_mov_b32_e32 v13, v6
	v_mov_b32_e32 v20, v14
	s_mov_b32 s14, exec_lo
	v_and_b32_e32 v21, 0x7f, v5
	v_mov_b32_e32 v19, v13
	v_cmpx_ne_u32_e32 0x7f, v21
	s_cbranch_execz .LBB221_737
; %bb.734:                              ;   in Loop: Header=BB221_417 Depth=1
	v_and_b32_e32 v5, 7, v5
	v_lshrrev_b32_e32 v11, 3, v21
	s_mov_b32 s15, exec_lo
	v_cmpx_gt_u32_e32 8, v21
; %bb.735:                              ;   in Loop: Header=BB221_417 Depth=1
	v_ffbh_u32_e32 v11, v5
	v_min_u32_e32 v11, 32, v11
	v_subrev_nc_u32_e32 v13, 28, v11
	v_sub_nc_u32_e32 v11, 29, v11
	v_lshlrev_b64 v[19:20], v13, v[5:6]
	v_and_b32_e32 v5, 7, v19
; %bb.736:                              ;   in Loop: Header=BB221_417 Depth=1
	s_or_b32 exec_lo, exec_lo, s15
	v_lshlrev_b32_e32 v13, 16, v87
	v_lshlrev_b32_e32 v5, 20, v5
	v_lshl_add_u32 v11, v11, 23, 0x3c000000
	v_mov_b32_e32 v19, v6
	v_and_b32_e32 v13, 0x80000000, v13
	v_or3_b32 v20, v5, v13, v11
.LBB221_737:                            ;   in Loop: Header=BB221_417 Depth=1
	s_or_b32 exec_lo, exec_lo, s14
.LBB221_738:                            ;   in Loop: Header=BB221_417 Depth=1
	s_or_b32 exec_lo, exec_lo, s13
.LBB221_739:                            ;   in Loop: Header=BB221_417 Depth=1
	s_or_b32 exec_lo, exec_lo, s9
	v_mov_b32_e32 v23, 0
	v_mov_b32_e32 v21, 0
	v_and_b32_sdwa v5, v87, v44 dst_sel:DWORD dst_unused:UNUSED_PAD src0_sel:WORD_1 src1_sel:DWORD
	v_mov_b32_e32 v24, 0
	v_mov_b32_e32 v22, 0
	s_mov_b32 s9, exec_lo
	v_cmpx_ne_u16_e32 0, v5
	s_cbranch_execz .LBB221_747
; %bb.740:                              ;   in Loop: Header=BB221_417 Depth=1
	v_bfrev_b32_e32 v21, 1
	v_mov_b32_e32 v22, 0
	s_mov_b32 s13, exec_lo
	v_cmpx_ne_u16_e32 0x80, v5
	s_cbranch_execz .LBB221_746
; %bb.741:                              ;   in Loop: Header=BB221_417 Depth=1
	v_mov_b32_e32 v21, 0x7f800001
	v_bfe_u32 v13, v87, 16, 7
	v_mov_b32_e32 v22, 0
	s_mov_b32 s14, exec_lo
	v_cmpx_ne_u32_e32 0x7f, v13
	s_cbranch_execz .LBB221_745
; %bb.742:                              ;   in Loop: Header=BB221_417 Depth=1
	v_and_b32_sdwa v5, v87, v45 dst_sel:DWORD dst_unused:UNUSED_PAD src0_sel:WORD_1 src1_sel:DWORD
	v_lshrrev_b32_e32 v11, 3, v13
	s_mov_b32 s15, exec_lo
	v_cmpx_gt_u32_e32 8, v13
; %bb.743:                              ;   in Loop: Header=BB221_417 Depth=1
	v_ffbh_u32_e32 v11, v5
	v_min_u32_e32 v11, 32, v11
	v_subrev_nc_u32_e32 v13, 28, v11
	v_sub_nc_u32_e32 v11, 29, v11
	v_lshlrev_b64 v[21:22], v13, v[5:6]
	v_and_b32_e32 v5, 7, v21
; %bb.744:                              ;   in Loop: Header=BB221_417 Depth=1
	s_or_b32 exec_lo, exec_lo, s15
	v_lshlrev_b32_sdwa v13, v46, v87 dst_sel:DWORD dst_unused:UNUSED_PAD src0_sel:DWORD src1_sel:WORD_1
	v_lshlrev_b32_e32 v5, 20, v5
	v_lshl_add_u32 v11, v11, 23, 0x3c000000
	v_and_b32_e32 v13, 0x80000000, v13
	v_or3_b32 v5, v5, v13, v11
	v_mov_b32_e32 v22, v6
	v_mov_b32_e32 v21, v5
.LBB221_745:                            ;   in Loop: Header=BB221_417 Depth=1
	s_or_b32 exec_lo, exec_lo, s14
.LBB221_746:                            ;   in Loop: Header=BB221_417 Depth=1
	s_or_b32 exec_lo, exec_lo, s13
.LBB221_747:                            ;   in Loop: Header=BB221_417 Depth=1
	s_or_b32 exec_lo, exec_lo, s9
	s_mov_b32 s9, exec_lo
	v_cmpx_lt_u32_e32 0xffffff, v87
	s_cbranch_execz .LBB221_755
; %bb.748:                              ;   in Loop: Header=BB221_417 Depth=1
	v_mov_b32_e32 v11, v6
	v_mov_b32_e32 v24, v12
	v_cmp_ne_u32_sdwa s0, v87, v42 src0_sel:BYTE_3 src1_sel:DWORD
	v_mov_b32_e32 v23, v11
	s_and_saveexec_b32 s13, s0
	s_cbranch_execz .LBB221_754
; %bb.749:                              ;   in Loop: Header=BB221_417 Depth=1
	v_mov_b32_e32 v13, v6
	v_mov_b32_e32 v24, v14
	v_bfe_u32 v88, v87, 24, 7
	s_mov_b32 s14, exec_lo
	v_mov_b32_e32 v23, v13
	v_cmpx_ne_u32_e32 0x7f, v88
	s_cbranch_execz .LBB221_753
; %bb.750:                              ;   in Loop: Header=BB221_417 Depth=1
	v_and_b32_sdwa v5, v87, v45 dst_sel:DWORD dst_unused:UNUSED_PAD src0_sel:BYTE_3 src1_sel:DWORD
	v_lshrrev_b32_e32 v11, 3, v88
	s_mov_b32 s15, exec_lo
	v_cmpx_gt_u32_e32 8, v88
; %bb.751:                              ;   in Loop: Header=BB221_417 Depth=1
	v_ffbh_u32_e32 v11, v5
	v_min_u32_e32 v11, 32, v11
	v_subrev_nc_u32_e32 v13, 28, v11
	v_sub_nc_u32_e32 v11, 29, v11
	v_lshlrev_b64 v[23:24], v13, v[5:6]
	v_and_b32_e32 v5, 7, v23
; %bb.752:                              ;   in Loop: Header=BB221_417 Depth=1
	s_or_b32 exec_lo, exec_lo, s15
	v_lshlrev_b32_sdwa v13, v46, v87 dst_sel:DWORD dst_unused:UNUSED_PAD src0_sel:DWORD src1_sel:BYTE_3
	v_lshlrev_b32_e32 v5, 20, v5
	v_lshl_add_u32 v11, v11, 23, 0x3c000000
	v_mov_b32_e32 v23, v6
	v_and_b32_e32 v13, 0x80000000, v13
	v_or3_b32 v24, v5, v13, v11
.LBB221_753:                            ;   in Loop: Header=BB221_417 Depth=1
	s_or_b32 exec_lo, exec_lo, s14
.LBB221_754:                            ;   in Loop: Header=BB221_417 Depth=1
	s_or_b32 exec_lo, exec_lo, s13
.LBB221_755:                            ;   in Loop: Header=BB221_417 Depth=1
	s_or_b32 exec_lo, exec_lo, s9
	v_or_b32_e32 v5, v20, v18
	v_or_b32_e32 v11, v19, v17
	;; [unrolled: 1-line block ×4, first 2 shown]
	v_mul_f32_e32 v89, s6, v5
	v_mul_f32_e32 v90, s3, v11
	;; [unrolled: 1-line block ×4, first 2 shown]
	s_and_saveexec_b32 s9, vcc_lo
	s_cbranch_execz .LBB221_757
; %bb.756:                              ;   in Loop: Header=BB221_417 Depth=1
	v_cmp_gt_i32_e64 s0, s27, v52
	v_cndmask_b32_e64 v90, 0, v90, s0
	v_cmp_gt_i32_e64 s0, s27, v54
	v_cndmask_b32_e64 v89, 0, v89, s0
	;; [unrolled: 2-line block ×4, first 2 shown]
.LBB221_757:                            ;   in Loop: Header=BB221_417 Depth=1
	s_or_b32 exec_lo, exec_lo, s9
	global_load_dword v91, v[15:16], off offset:1280
	v_mov_b32_e32 v19, 0
	v_mov_b32_e32 v17, 0
	;; [unrolled: 1-line block ×4, first 2 shown]
	s_waitcnt vmcnt(0)
	v_cmp_ne_u16_sdwa s0, v91, v6 src0_sel:BYTE_0 src1_sel:DWORD
	s_and_saveexec_b32 s9, s0
	s_cbranch_execz .LBB221_765
; %bb.758:                              ;   in Loop: Header=BB221_417 Depth=1
	v_bfrev_b32_e32 v17, 1
	v_mov_b32_e32 v18, 0
	v_cmp_ne_u16_sdwa s0, v91, v42 src0_sel:BYTE_0 src1_sel:DWORD
	s_and_saveexec_b32 s13, s0
	s_cbranch_execz .LBB221_764
; %bb.759:                              ;   in Loop: Header=BB221_417 Depth=1
	v_mov_b32_e32 v17, 0x7f800001
	v_and_b32_e32 v13, 0x7f, v91
	v_mov_b32_e32 v18, 0
	s_mov_b32 s14, exec_lo
	v_cmpx_ne_u32_e32 0x7f, v13
	s_cbranch_execz .LBB221_763
; %bb.760:                              ;   in Loop: Header=BB221_417 Depth=1
	v_and_b32_e32 v5, 7, v91
	v_lshrrev_b32_e32 v11, 3, v13
	s_mov_b32 s15, exec_lo
	v_cmpx_gt_u32_e32 8, v13
; %bb.761:                              ;   in Loop: Header=BB221_417 Depth=1
	v_ffbh_u32_e32 v11, v5
	v_min_u32_e32 v11, 32, v11
	v_subrev_nc_u32_e32 v13, 28, v11
	v_sub_nc_u32_e32 v11, 29, v11
	v_lshlrev_b64 v[17:18], v13, v[5:6]
	v_and_b32_e32 v5, 7, v17
; %bb.762:                              ;   in Loop: Header=BB221_417 Depth=1
	s_or_b32 exec_lo, exec_lo, s15
	v_lshlrev_b32_e32 v13, 24, v91
	v_lshlrev_b32_e32 v5, 20, v5
	v_lshl_add_u32 v11, v11, 23, 0x3c000000
	v_and_b32_e32 v13, 0x80000000, v13
	v_or3_b32 v5, v5, v13, v11
	v_mov_b32_e32 v18, v6
	v_mov_b32_e32 v17, v5
.LBB221_763:                            ;   in Loop: Header=BB221_417 Depth=1
	s_or_b32 exec_lo, exec_lo, s14
.LBB221_764:                            ;   in Loop: Header=BB221_417 Depth=1
	s_or_b32 exec_lo, exec_lo, s13
.LBB221_765:                            ;   in Loop: Header=BB221_417 Depth=1
	s_or_b32 exec_lo, exec_lo, s9
	v_cmp_ne_u16_sdwa s0, v91, v6 src0_sel:BYTE_1 src1_sel:DWORD
	s_and_saveexec_b32 s9, s0
	s_cbranch_execz .LBB221_773
; %bb.766:                              ;   in Loop: Header=BB221_417 Depth=1
	v_mov_b32_e32 v11, v6
	v_mov_b32_e32 v20, v12
	v_cmp_ne_u16_sdwa s0, v91, v42 src0_sel:BYTE_1 src1_sel:DWORD
	v_mov_b32_e32 v19, v11
	s_and_saveexec_b32 s13, s0
	s_cbranch_execz .LBB221_772
; %bb.767:                              ;   in Loop: Header=BB221_417 Depth=1
	v_and_b32_sdwa v5, v43, v91 dst_sel:DWORD dst_unused:UNUSED_PAD src0_sel:DWORD src1_sel:BYTE_1
	v_mov_b32_e32 v13, v6
	v_mov_b32_e32 v20, v14
	s_mov_b32 s14, exec_lo
	v_and_b32_e32 v21, 0x7f, v5
	v_mov_b32_e32 v19, v13
	v_cmpx_ne_u32_e32 0x7f, v21
	s_cbranch_execz .LBB221_771
; %bb.768:                              ;   in Loop: Header=BB221_417 Depth=1
	v_and_b32_e32 v5, 7, v5
	v_lshrrev_b32_e32 v11, 3, v21
	s_mov_b32 s15, exec_lo
	v_cmpx_gt_u32_e32 8, v21
; %bb.769:                              ;   in Loop: Header=BB221_417 Depth=1
	v_ffbh_u32_e32 v11, v5
	v_min_u32_e32 v11, 32, v11
	v_subrev_nc_u32_e32 v13, 28, v11
	v_sub_nc_u32_e32 v11, 29, v11
	v_lshlrev_b64 v[19:20], v13, v[5:6]
	v_and_b32_e32 v5, 7, v19
; %bb.770:                              ;   in Loop: Header=BB221_417 Depth=1
	s_or_b32 exec_lo, exec_lo, s15
	v_lshlrev_b32_e32 v13, 16, v91
	v_lshlrev_b32_e32 v5, 20, v5
	v_lshl_add_u32 v11, v11, 23, 0x3c000000
	v_mov_b32_e32 v19, v6
	v_and_b32_e32 v13, 0x80000000, v13
	v_or3_b32 v20, v5, v13, v11
.LBB221_771:                            ;   in Loop: Header=BB221_417 Depth=1
	s_or_b32 exec_lo, exec_lo, s14
.LBB221_772:                            ;   in Loop: Header=BB221_417 Depth=1
	s_or_b32 exec_lo, exec_lo, s13
.LBB221_773:                            ;   in Loop: Header=BB221_417 Depth=1
	s_or_b32 exec_lo, exec_lo, s9
	v_mov_b32_e32 v23, 0
	v_mov_b32_e32 v21, 0
	v_and_b32_sdwa v5, v91, v44 dst_sel:DWORD dst_unused:UNUSED_PAD src0_sel:WORD_1 src1_sel:DWORD
	v_mov_b32_e32 v24, 0
	v_mov_b32_e32 v22, 0
	s_mov_b32 s9, exec_lo
	v_cmpx_ne_u16_e32 0, v5
	s_cbranch_execz .LBB221_781
; %bb.774:                              ;   in Loop: Header=BB221_417 Depth=1
	v_bfrev_b32_e32 v21, 1
	v_mov_b32_e32 v22, 0
	s_mov_b32 s13, exec_lo
	v_cmpx_ne_u16_e32 0x80, v5
	s_cbranch_execz .LBB221_780
; %bb.775:                              ;   in Loop: Header=BB221_417 Depth=1
	v_mov_b32_e32 v21, 0x7f800001
	v_bfe_u32 v13, v91, 16, 7
	v_mov_b32_e32 v22, 0
	s_mov_b32 s14, exec_lo
	v_cmpx_ne_u32_e32 0x7f, v13
	s_cbranch_execz .LBB221_779
; %bb.776:                              ;   in Loop: Header=BB221_417 Depth=1
	v_and_b32_sdwa v5, v91, v45 dst_sel:DWORD dst_unused:UNUSED_PAD src0_sel:WORD_1 src1_sel:DWORD
	v_lshrrev_b32_e32 v11, 3, v13
	s_mov_b32 s15, exec_lo
	v_cmpx_gt_u32_e32 8, v13
; %bb.777:                              ;   in Loop: Header=BB221_417 Depth=1
	v_ffbh_u32_e32 v11, v5
	v_min_u32_e32 v11, 32, v11
	v_subrev_nc_u32_e32 v13, 28, v11
	v_sub_nc_u32_e32 v11, 29, v11
	v_lshlrev_b64 v[21:22], v13, v[5:6]
	v_and_b32_e32 v5, 7, v21
; %bb.778:                              ;   in Loop: Header=BB221_417 Depth=1
	s_or_b32 exec_lo, exec_lo, s15
	v_lshlrev_b32_sdwa v13, v46, v91 dst_sel:DWORD dst_unused:UNUSED_PAD src0_sel:DWORD src1_sel:WORD_1
	v_lshlrev_b32_e32 v5, 20, v5
	v_lshl_add_u32 v11, v11, 23, 0x3c000000
	v_and_b32_e32 v13, 0x80000000, v13
	v_or3_b32 v5, v5, v13, v11
	v_mov_b32_e32 v22, v6
	v_mov_b32_e32 v21, v5
.LBB221_779:                            ;   in Loop: Header=BB221_417 Depth=1
	s_or_b32 exec_lo, exec_lo, s14
.LBB221_780:                            ;   in Loop: Header=BB221_417 Depth=1
	s_or_b32 exec_lo, exec_lo, s13
.LBB221_781:                            ;   in Loop: Header=BB221_417 Depth=1
	s_or_b32 exec_lo, exec_lo, s9
	s_mov_b32 s9, exec_lo
	v_cmpx_lt_u32_e32 0xffffff, v91
	s_cbranch_execz .LBB221_789
; %bb.782:                              ;   in Loop: Header=BB221_417 Depth=1
	v_mov_b32_e32 v11, v6
	v_mov_b32_e32 v24, v12
	v_cmp_ne_u32_sdwa s0, v91, v42 src0_sel:BYTE_3 src1_sel:DWORD
	v_mov_b32_e32 v23, v11
	s_and_saveexec_b32 s13, s0
	s_cbranch_execz .LBB221_788
; %bb.783:                              ;   in Loop: Header=BB221_417 Depth=1
	v_mov_b32_e32 v13, v6
	v_mov_b32_e32 v24, v14
	v_bfe_u32 v92, v91, 24, 7
	s_mov_b32 s14, exec_lo
	v_mov_b32_e32 v23, v13
	v_cmpx_ne_u32_e32 0x7f, v92
	s_cbranch_execz .LBB221_787
; %bb.784:                              ;   in Loop: Header=BB221_417 Depth=1
	v_and_b32_sdwa v5, v91, v45 dst_sel:DWORD dst_unused:UNUSED_PAD src0_sel:BYTE_3 src1_sel:DWORD
	v_lshrrev_b32_e32 v11, 3, v92
	s_mov_b32 s15, exec_lo
	v_cmpx_gt_u32_e32 8, v92
; %bb.785:                              ;   in Loop: Header=BB221_417 Depth=1
	v_ffbh_u32_e32 v11, v5
	v_min_u32_e32 v11, 32, v11
	v_subrev_nc_u32_e32 v13, 28, v11
	v_sub_nc_u32_e32 v11, 29, v11
	v_lshlrev_b64 v[23:24], v13, v[5:6]
	v_and_b32_e32 v5, 7, v23
; %bb.786:                              ;   in Loop: Header=BB221_417 Depth=1
	s_or_b32 exec_lo, exec_lo, s15
	v_lshlrev_b32_sdwa v13, v46, v91 dst_sel:DWORD dst_unused:UNUSED_PAD src0_sel:DWORD src1_sel:BYTE_3
	v_lshlrev_b32_e32 v5, 20, v5
	v_lshl_add_u32 v11, v11, 23, 0x3c000000
	v_mov_b32_e32 v23, v6
	v_and_b32_e32 v13, 0x80000000, v13
	v_or3_b32 v24, v5, v13, v11
.LBB221_787:                            ;   in Loop: Header=BB221_417 Depth=1
	s_or_b32 exec_lo, exec_lo, s14
.LBB221_788:                            ;   in Loop: Header=BB221_417 Depth=1
	s_or_b32 exec_lo, exec_lo, s13
.LBB221_789:                            ;   in Loop: Header=BB221_417 Depth=1
	s_or_b32 exec_lo, exec_lo, s9
	v_or_b32_e32 v5, v20, v18
	v_or_b32_e32 v11, v19, v17
	;; [unrolled: 1-line block ×4, first 2 shown]
	v_mul_f32_e32 v91, s6, v5
	v_mul_f32_e32 v92, s3, v11
	v_mul_f32_e32 v24, s3, v13
	v_mul_f32_e32 v23, s6, v17
	s_and_saveexec_b32 s9, vcc_lo
	s_cbranch_execz .LBB221_791
; %bb.790:                              ;   in Loop: Header=BB221_417 Depth=1
	v_cmp_gt_i32_e64 s0, s27, v52
	v_cndmask_b32_e64 v92, 0, v92, s0
	v_cmp_gt_i32_e64 s0, s27, v54
	v_cndmask_b32_e64 v91, 0, v91, s0
	;; [unrolled: 2-line block ×4, first 2 shown]
.LBB221_791:                            ;   in Loop: Header=BB221_417 Depth=1
	s_or_b32 exec_lo, exec_lo, s9
	global_load_dword v93, v[15:16], off offset:1408
	v_mov_b32_e32 v17, 0
	v_mov_b32_e32 v15, 0
	;; [unrolled: 1-line block ×4, first 2 shown]
	s_waitcnt vmcnt(0)
	v_cmp_ne_u16_sdwa s0, v93, v6 src0_sel:BYTE_0 src1_sel:DWORD
	s_and_saveexec_b32 s9, s0
	s_cbranch_execz .LBB221_799
; %bb.792:                              ;   in Loop: Header=BB221_417 Depth=1
	v_bfrev_b32_e32 v15, 1
	v_mov_b32_e32 v16, 0
	v_cmp_ne_u16_sdwa s0, v93, v42 src0_sel:BYTE_0 src1_sel:DWORD
	s_and_saveexec_b32 s13, s0
	s_cbranch_execz .LBB221_798
; %bb.793:                              ;   in Loop: Header=BB221_417 Depth=1
	v_mov_b32_e32 v15, 0x7f800001
	v_and_b32_e32 v13, 0x7f, v93
	v_mov_b32_e32 v16, 0
	s_mov_b32 s14, exec_lo
	v_cmpx_ne_u32_e32 0x7f, v13
	s_cbranch_execz .LBB221_797
; %bb.794:                              ;   in Loop: Header=BB221_417 Depth=1
	v_and_b32_e32 v5, 7, v93
	v_lshrrev_b32_e32 v11, 3, v13
	s_mov_b32 s15, exec_lo
	v_cmpx_gt_u32_e32 8, v13
; %bb.795:                              ;   in Loop: Header=BB221_417 Depth=1
	v_ffbh_u32_e32 v11, v5
	v_min_u32_e32 v11, 32, v11
	v_subrev_nc_u32_e32 v13, 28, v11
	v_sub_nc_u32_e32 v11, 29, v11
	v_lshlrev_b64 v[15:16], v13, v[5:6]
	v_and_b32_e32 v5, 7, v15
; %bb.796:                              ;   in Loop: Header=BB221_417 Depth=1
	s_or_b32 exec_lo, exec_lo, s15
	v_lshlrev_b32_e32 v13, 24, v93
	v_lshlrev_b32_e32 v5, 20, v5
	v_lshl_add_u32 v11, v11, 23, 0x3c000000
	v_and_b32_e32 v13, 0x80000000, v13
	v_or3_b32 v5, v5, v13, v11
	v_mov_b32_e32 v16, v6
	v_mov_b32_e32 v15, v5
.LBB221_797:                            ;   in Loop: Header=BB221_417 Depth=1
	s_or_b32 exec_lo, exec_lo, s14
.LBB221_798:                            ;   in Loop: Header=BB221_417 Depth=1
	s_or_b32 exec_lo, exec_lo, s13
.LBB221_799:                            ;   in Loop: Header=BB221_417 Depth=1
	s_or_b32 exec_lo, exec_lo, s9
	v_cmp_ne_u16_sdwa s0, v93, v6 src0_sel:BYTE_1 src1_sel:DWORD
	s_and_saveexec_b32 s9, s0
	s_cbranch_execz .LBB221_807
; %bb.800:                              ;   in Loop: Header=BB221_417 Depth=1
	v_mov_b32_e32 v11, v6
	v_mov_b32_e32 v18, v12
	v_cmp_ne_u16_sdwa s0, v93, v42 src0_sel:BYTE_1 src1_sel:DWORD
	v_mov_b32_e32 v17, v11
	s_and_saveexec_b32 s13, s0
	s_cbranch_execz .LBB221_806
; %bb.801:                              ;   in Loop: Header=BB221_417 Depth=1
	v_and_b32_sdwa v5, v43, v93 dst_sel:DWORD dst_unused:UNUSED_PAD src0_sel:DWORD src1_sel:BYTE_1
	v_mov_b32_e32 v13, v6
	v_mov_b32_e32 v18, v14
	s_mov_b32 s14, exec_lo
	v_and_b32_e32 v19, 0x7f, v5
	v_mov_b32_e32 v17, v13
	v_cmpx_ne_u32_e32 0x7f, v19
	s_cbranch_execz .LBB221_805
; %bb.802:                              ;   in Loop: Header=BB221_417 Depth=1
	v_and_b32_e32 v5, 7, v5
	v_lshrrev_b32_e32 v11, 3, v19
	s_mov_b32 s15, exec_lo
	v_cmpx_gt_u32_e32 8, v19
; %bb.803:                              ;   in Loop: Header=BB221_417 Depth=1
	v_ffbh_u32_e32 v11, v5
	v_min_u32_e32 v11, 32, v11
	v_subrev_nc_u32_e32 v13, 28, v11
	v_sub_nc_u32_e32 v11, 29, v11
	v_lshlrev_b64 v[17:18], v13, v[5:6]
	v_and_b32_e32 v5, 7, v17
; %bb.804:                              ;   in Loop: Header=BB221_417 Depth=1
	s_or_b32 exec_lo, exec_lo, s15
	v_lshlrev_b32_e32 v13, 16, v93
	v_lshlrev_b32_e32 v5, 20, v5
	v_lshl_add_u32 v11, v11, 23, 0x3c000000
	v_mov_b32_e32 v17, v6
	v_and_b32_e32 v13, 0x80000000, v13
	v_or3_b32 v18, v5, v13, v11
.LBB221_805:                            ;   in Loop: Header=BB221_417 Depth=1
	s_or_b32 exec_lo, exec_lo, s14
.LBB221_806:                            ;   in Loop: Header=BB221_417 Depth=1
	s_or_b32 exec_lo, exec_lo, s13
.LBB221_807:                            ;   in Loop: Header=BB221_417 Depth=1
	s_or_b32 exec_lo, exec_lo, s9
	v_mov_b32_e32 v21, 0
	v_mov_b32_e32 v19, 0
	v_and_b32_sdwa v5, v93, v44 dst_sel:DWORD dst_unused:UNUSED_PAD src0_sel:WORD_1 src1_sel:DWORD
	v_mov_b32_e32 v22, 0
	v_mov_b32_e32 v20, 0
	s_mov_b32 s9, exec_lo
	v_cmpx_ne_u16_e32 0, v5
	s_cbranch_execz .LBB221_815
; %bb.808:                              ;   in Loop: Header=BB221_417 Depth=1
	v_bfrev_b32_e32 v19, 1
	v_mov_b32_e32 v20, 0
	s_mov_b32 s13, exec_lo
	v_cmpx_ne_u16_e32 0x80, v5
	s_cbranch_execz .LBB221_814
; %bb.809:                              ;   in Loop: Header=BB221_417 Depth=1
	v_mov_b32_e32 v19, 0x7f800001
	v_bfe_u32 v13, v93, 16, 7
	v_mov_b32_e32 v20, 0
	s_mov_b32 s14, exec_lo
	v_cmpx_ne_u32_e32 0x7f, v13
	s_cbranch_execz .LBB221_813
; %bb.810:                              ;   in Loop: Header=BB221_417 Depth=1
	v_and_b32_sdwa v5, v93, v45 dst_sel:DWORD dst_unused:UNUSED_PAD src0_sel:WORD_1 src1_sel:DWORD
	v_lshrrev_b32_e32 v11, 3, v13
	s_mov_b32 s15, exec_lo
	v_cmpx_gt_u32_e32 8, v13
; %bb.811:                              ;   in Loop: Header=BB221_417 Depth=1
	v_ffbh_u32_e32 v11, v5
	v_min_u32_e32 v11, 32, v11
	v_subrev_nc_u32_e32 v13, 28, v11
	v_sub_nc_u32_e32 v11, 29, v11
	v_lshlrev_b64 v[19:20], v13, v[5:6]
	v_and_b32_e32 v5, 7, v19
; %bb.812:                              ;   in Loop: Header=BB221_417 Depth=1
	s_or_b32 exec_lo, exec_lo, s15
	v_lshlrev_b32_sdwa v13, v46, v93 dst_sel:DWORD dst_unused:UNUSED_PAD src0_sel:DWORD src1_sel:WORD_1
	v_lshlrev_b32_e32 v5, 20, v5
	v_lshl_add_u32 v11, v11, 23, 0x3c000000
	v_and_b32_e32 v13, 0x80000000, v13
	v_or3_b32 v5, v5, v13, v11
	v_mov_b32_e32 v20, v6
	v_mov_b32_e32 v19, v5
.LBB221_813:                            ;   in Loop: Header=BB221_417 Depth=1
	s_or_b32 exec_lo, exec_lo, s14
.LBB221_814:                            ;   in Loop: Header=BB221_417 Depth=1
	s_or_b32 exec_lo, exec_lo, s13
.LBB221_815:                            ;   in Loop: Header=BB221_417 Depth=1
	s_or_b32 exec_lo, exec_lo, s9
	s_mov_b32 s9, exec_lo
	v_cmpx_lt_u32_e32 0xffffff, v93
	s_cbranch_execz .LBB221_823
; %bb.816:                              ;   in Loop: Header=BB221_417 Depth=1
	v_mov_b32_e32 v11, v6
	v_mov_b32_e32 v22, v12
	v_cmp_ne_u32_sdwa s0, v93, v42 src0_sel:BYTE_3 src1_sel:DWORD
	v_mov_b32_e32 v21, v11
	s_and_saveexec_b32 s13, s0
	s_cbranch_execz .LBB221_822
; %bb.817:                              ;   in Loop: Header=BB221_417 Depth=1
	v_mov_b32_e32 v13, v6
	v_mov_b32_e32 v22, v14
	v_bfe_u32 v94, v93, 24, 7
	s_mov_b32 s14, exec_lo
	v_mov_b32_e32 v21, v13
	v_cmpx_ne_u32_e32 0x7f, v94
	s_cbranch_execz .LBB221_821
; %bb.818:                              ;   in Loop: Header=BB221_417 Depth=1
	v_and_b32_sdwa v5, v93, v45 dst_sel:DWORD dst_unused:UNUSED_PAD src0_sel:BYTE_3 src1_sel:DWORD
	v_lshrrev_b32_e32 v11, 3, v94
	s_mov_b32 s15, exec_lo
	v_cmpx_gt_u32_e32 8, v94
; %bb.819:                              ;   in Loop: Header=BB221_417 Depth=1
	v_ffbh_u32_e32 v11, v5
	v_min_u32_e32 v11, 32, v11
	v_subrev_nc_u32_e32 v13, 28, v11
	v_sub_nc_u32_e32 v11, 29, v11
	v_lshlrev_b64 v[21:22], v13, v[5:6]
	v_and_b32_e32 v5, 7, v21
; %bb.820:                              ;   in Loop: Header=BB221_417 Depth=1
	s_or_b32 exec_lo, exec_lo, s15
	v_lshlrev_b32_sdwa v13, v46, v93 dst_sel:DWORD dst_unused:UNUSED_PAD src0_sel:DWORD src1_sel:BYTE_3
	v_lshlrev_b32_e32 v5, 20, v5
	v_lshl_add_u32 v11, v11, 23, 0x3c000000
	v_mov_b32_e32 v21, v6
	v_and_b32_e32 v13, 0x80000000, v13
	v_or3_b32 v22, v5, v13, v11
.LBB221_821:                            ;   in Loop: Header=BB221_417 Depth=1
	s_or_b32 exec_lo, exec_lo, s14
.LBB221_822:                            ;   in Loop: Header=BB221_417 Depth=1
	s_or_b32 exec_lo, exec_lo, s13
.LBB221_823:                            ;   in Loop: Header=BB221_417 Depth=1
	s_or_b32 exec_lo, exec_lo, s9
	v_or_b32_e32 v5, v18, v16
	v_or_b32_e32 v11, v17, v15
	;; [unrolled: 1-line block ×4, first 2 shown]
	v_mul_f32_e32 v13, s6, v5
	v_mul_f32_e32 v15, s3, v11
	;; [unrolled: 1-line block ×4, first 2 shown]
	s_and_saveexec_b32 s0, vcc_lo
	s_cbranch_execz .LBB221_416
; %bb.824:                              ;   in Loop: Header=BB221_417 Depth=1
	v_cmp_gt_i32_e32 vcc_lo, s27, v52
	v_cndmask_b32_e32 v15, 0, v15, vcc_lo
	v_cmp_gt_i32_e32 vcc_lo, s27, v54
	v_cndmask_b32_e32 v13, 0, v13, vcc_lo
	;; [unrolled: 2-line block ×4, first 2 shown]
	s_branch .LBB221_416
.LBB221_825:
	s_or_b32 exec_lo, exec_lo, s5
.LBB221_826:
	s_or_b32 exec_lo, exec_lo, s1
	ds_bpermute_b32 v1, v26, v37
	ds_bpermute_b32 v2, v26, v39
	;; [unrolled: 1-line block ×12, first 2 shown]
	s_mov_b32 s0, exec_lo
	s_waitcnt lgkmcnt(0)
	s_waitcnt_vscnt null, 0x0
	s_barrier
	buffer_gl0_inv
	v_add_f32_e32 v1, v37, v1
	v_add_f32_e32 v2, v39, v2
	;; [unrolled: 1-line block ×12, first 2 shown]
	ds_bpermute_b32 v0, v27, v1
	ds_bpermute_b32 v13, v27, v2
	;; [unrolled: 1-line block ×12, first 2 shown]
	s_waitcnt lgkmcnt(11)
	v_add_f32_e32 v0, v1, v0
	s_waitcnt lgkmcnt(10)
	v_add_f32_e32 v1, v2, v13
	v_and_b32_e32 v13, 28, v25
	s_waitcnt lgkmcnt(9)
	v_add_f32_e32 v2, v3, v14
	s_waitcnt lgkmcnt(8)
	v_add_f32_e32 v3, v4, v15
	;; [unrolled: 2-line block ×9, first 2 shown]
	v_and_b32_e32 v15, 0x3c3, v95
	s_waitcnt lgkmcnt(0)
	v_add_f32_e32 v11, v12, v23
	v_lshrrev_b32_e32 v12, 2, v25
	v_add_nc_u32_e32 v13, 0x1a0, v13
	v_mul_u32_u24_e32 v14, 0x180, v96
	v_cmpx_eq_u32_e32 64, v15
	s_cbranch_execz .LBB221_828
; %bb.827:
	v_add_nc_u32_e32 v15, v13, v14
	v_add_nc_u32_e32 v16, 0xfffffd00, v15
	;; [unrolled: 1-line block ×8, first 2 shown]
	ds_write_b32 v16, v0
	ds_write_b32 v17, v1
	;; [unrolled: 1-line block ×7, first 2 shown]
	v_add_nc_u32_e32 v16, 0xfffffde0, v15
	v_add_nc_u32_e32 v17, 0xfffffe00, v15
	v_add_nc_u32_e32 v18, 0xfffffe20, v15
	v_add_nc_u32_e32 v19, 0xfffffe40, v15
	v_add_nc_u32_e32 v15, 0xfffffe60, v15
	ds_write_b32 v16, v7
	ds_write_b32 v17, v8
	;; [unrolled: 1-line block ×5, first 2 shown]
.LBB221_828:
	s_or_b32 exec_lo, exec_lo, s0
	v_lshlrev_b32_e32 v12, 2, v12
	s_mov_b32 s1, exec_lo
	v_cmp_eq_u32_e32 vcc_lo, 0, v28
	s_waitcnt lgkmcnt(0)
	s_barrier
	v_add3_u32 v12, 0x1a0, v14, v12
	buffer_gl0_inv
	v_cmpx_gt_u32_e32 64, v95
	s_cbranch_execz .LBB221_843
; %bb.829:
	s_and_saveexec_b32 s0, vcc_lo
	s_cbranch_execnz .LBB221_863
; %bb.830:
	s_or_b32 exec_lo, exec_lo, s0
	s_and_saveexec_b32 s0, vcc_lo
	s_cbranch_execnz .LBB221_864
.LBB221_831:
	s_or_b32 exec_lo, exec_lo, s0
	s_and_saveexec_b32 s0, vcc_lo
	s_cbranch_execnz .LBB221_865
.LBB221_832:
	s_or_b32 exec_lo, exec_lo, s0
	s_and_saveexec_b32 s0, vcc_lo
	s_cbranch_execnz .LBB221_866
.LBB221_833:
	s_or_b32 exec_lo, exec_lo, s0
	s_and_saveexec_b32 s0, vcc_lo
	s_cbranch_execnz .LBB221_867
.LBB221_834:
	s_or_b32 exec_lo, exec_lo, s0
	s_and_saveexec_b32 s0, vcc_lo
	s_cbranch_execnz .LBB221_868
.LBB221_835:
	s_or_b32 exec_lo, exec_lo, s0
	s_and_saveexec_b32 s0, vcc_lo
	s_cbranch_execnz .LBB221_869
.LBB221_836:
	s_or_b32 exec_lo, exec_lo, s0
	s_and_saveexec_b32 s0, vcc_lo
	s_cbranch_execnz .LBB221_870
.LBB221_837:
	s_or_b32 exec_lo, exec_lo, s0
	s_and_saveexec_b32 s0, vcc_lo
	s_cbranch_execnz .LBB221_871
.LBB221_838:
	s_or_b32 exec_lo, exec_lo, s0
	s_and_saveexec_b32 s0, vcc_lo
	s_cbranch_execnz .LBB221_872
.LBB221_839:
	s_or_b32 exec_lo, exec_lo, s0
	s_and_saveexec_b32 s0, vcc_lo
	s_cbranch_execnz .LBB221_873
.LBB221_840:
	s_or_b32 exec_lo, exec_lo, s0
	s_and_saveexec_b32 s0, vcc_lo
	s_cbranch_execz .LBB221_842
.LBB221_841:
	ds_read_b32 v14, v12 offset:352
	s_waitcnt lgkmcnt(0)
	v_add_f32_e32 v11, v11, v14
.LBB221_842:
	s_or_b32 exec_lo, exec_lo, s0
.LBB221_843:
	s_or_b32 exec_lo, exec_lo, s1
	v_and_b32_e32 v14, 0x3e3, v95
	s_mov_b32 s1, exec_lo
	s_barrier
	buffer_gl0_inv
	v_cmpx_eq_u32_e32 32, v14
	s_cbranch_execz .LBB221_845
; %bb.844:
	ds_write2_b32 v13, v0, v1 offset1:8
	ds_write2_b32 v13, v2, v3 offset0:16 offset1:24
	ds_write2_b32 v13, v4, v5 offset0:32 offset1:40
	;; [unrolled: 1-line block ×5, first 2 shown]
.LBB221_845:
	s_or_b32 exec_lo, exec_lo, s1
	s_mov_b32 s1, exec_lo
	s_waitcnt lgkmcnt(0)
	s_barrier
	buffer_gl0_inv
	v_cmpx_gt_u32_e32 32, v95
	s_cbranch_execz .LBB221_860
; %bb.846:
	s_and_saveexec_b32 s0, vcc_lo
	s_cbranch_execnz .LBB221_874
; %bb.847:
	s_or_b32 exec_lo, exec_lo, s0
	s_and_saveexec_b32 s0, vcc_lo
	s_cbranch_execnz .LBB221_875
.LBB221_848:
	s_or_b32 exec_lo, exec_lo, s0
	s_and_saveexec_b32 s0, vcc_lo
	s_cbranch_execnz .LBB221_876
.LBB221_849:
	s_or_b32 exec_lo, exec_lo, s0
	s_and_saveexec_b32 s0, vcc_lo
	s_cbranch_execnz .LBB221_877
.LBB221_850:
	s_or_b32 exec_lo, exec_lo, s0
	s_and_saveexec_b32 s0, vcc_lo
	s_cbranch_execnz .LBB221_878
.LBB221_851:
	s_or_b32 exec_lo, exec_lo, s0
	s_and_saveexec_b32 s0, vcc_lo
	s_cbranch_execnz .LBB221_879
.LBB221_852:
	s_or_b32 exec_lo, exec_lo, s0
	s_and_saveexec_b32 s0, vcc_lo
	s_cbranch_execnz .LBB221_880
.LBB221_853:
	s_or_b32 exec_lo, exec_lo, s0
	s_and_saveexec_b32 s0, vcc_lo
	s_cbranch_execnz .LBB221_881
.LBB221_854:
	s_or_b32 exec_lo, exec_lo, s0
	s_and_saveexec_b32 s0, vcc_lo
	s_cbranch_execnz .LBB221_882
.LBB221_855:
	s_or_b32 exec_lo, exec_lo, s0
	s_and_saveexec_b32 s0, vcc_lo
	s_cbranch_execnz .LBB221_883
.LBB221_856:
	s_or_b32 exec_lo, exec_lo, s0
	s_and_saveexec_b32 s0, vcc_lo
	s_cbranch_execnz .LBB221_884
.LBB221_857:
	s_or_b32 exec_lo, exec_lo, s0
	s_and_saveexec_b32 s0, vcc_lo
	s_cbranch_execz .LBB221_859
.LBB221_858:
	ds_read_b32 v12, v12 offset:352
	s_waitcnt lgkmcnt(0)
	v_add_f32_e32 v11, v11, v12
.LBB221_859:
	s_or_b32 exec_lo, exec_lo, s0
.LBB221_860:
	s_or_b32 exec_lo, exec_lo, s1
	s_barrier
	buffer_gl0_inv
	s_mov_b32 s0, exec_lo
	v_cmpx_eq_u32_e32 0, v14
	s_cbranch_execz .LBB221_862
; %bb.861:
	s_mul_i32 s0, s2, 0x60
	s_mul_i32 s2, s7, s10
	s_ashr_i32 s1, s0, 31
	s_lshl_b64 s[0:1], s[0:1], 2
	s_add_u32 s4, s24, s0
	s_addc_u32 s5, s25, s1
	s_ashr_i32 s3, s2, 31
	s_lshl_b64 s[0:1], s[2:3], 2
	s_mul_i32 s2, s8, 0x60
	s_add_u32 s4, s4, s0
	s_addc_u32 s5, s5, s1
	s_ashr_i32 s3, s2, 31
	s_lshl_b64 s[0:1], s[2:3], 2
	s_add_u32 s0, s4, s0
	s_addc_u32 s1, s5, s1
	global_store_dword v95, v0, s[0:1]
	global_store_dword v95, v1, s[0:1] offset:32
	global_store_dword v95, v2, s[0:1] offset:64
	;; [unrolled: 1-line block ×11, first 2 shown]
.LBB221_862:
	s_endpgm
.LBB221_863:
	ds_read_b32 v14, v12
	s_waitcnt lgkmcnt(0)
	v_add_f32_e32 v0, v0, v14
	s_or_b32 exec_lo, exec_lo, s0
	s_and_saveexec_b32 s0, vcc_lo
	s_cbranch_execz .LBB221_831
.LBB221_864:
	ds_read_b32 v14, v12 offset:32
	s_waitcnt lgkmcnt(0)
	v_add_f32_e32 v1, v1, v14
	s_or_b32 exec_lo, exec_lo, s0
	s_and_saveexec_b32 s0, vcc_lo
	s_cbranch_execz .LBB221_832
.LBB221_865:
	ds_read_b32 v14, v12 offset:64
	s_waitcnt lgkmcnt(0)
	v_add_f32_e32 v2, v2, v14
	s_or_b32 exec_lo, exec_lo, s0
	s_and_saveexec_b32 s0, vcc_lo
	s_cbranch_execz .LBB221_833
.LBB221_866:
	ds_read_b32 v14, v12 offset:96
	s_waitcnt lgkmcnt(0)
	v_add_f32_e32 v3, v3, v14
	s_or_b32 exec_lo, exec_lo, s0
	s_and_saveexec_b32 s0, vcc_lo
	s_cbranch_execz .LBB221_834
.LBB221_867:
	ds_read_b32 v14, v12 offset:128
	s_waitcnt lgkmcnt(0)
	v_add_f32_e32 v4, v4, v14
	s_or_b32 exec_lo, exec_lo, s0
	s_and_saveexec_b32 s0, vcc_lo
	s_cbranch_execz .LBB221_835
.LBB221_868:
	ds_read_b32 v14, v12 offset:160
	s_waitcnt lgkmcnt(0)
	v_add_f32_e32 v5, v5, v14
	s_or_b32 exec_lo, exec_lo, s0
	s_and_saveexec_b32 s0, vcc_lo
	s_cbranch_execz .LBB221_836
.LBB221_869:
	ds_read_b32 v14, v12 offset:192
	s_waitcnt lgkmcnt(0)
	v_add_f32_e32 v6, v6, v14
	s_or_b32 exec_lo, exec_lo, s0
	s_and_saveexec_b32 s0, vcc_lo
	s_cbranch_execz .LBB221_837
.LBB221_870:
	ds_read_b32 v14, v12 offset:224
	s_waitcnt lgkmcnt(0)
	v_add_f32_e32 v7, v7, v14
	s_or_b32 exec_lo, exec_lo, s0
	s_and_saveexec_b32 s0, vcc_lo
	s_cbranch_execz .LBB221_838
.LBB221_871:
	ds_read_b32 v14, v12 offset:256
	s_waitcnt lgkmcnt(0)
	v_add_f32_e32 v8, v8, v14
	s_or_b32 exec_lo, exec_lo, s0
	s_and_saveexec_b32 s0, vcc_lo
	s_cbranch_execz .LBB221_839
.LBB221_872:
	ds_read_b32 v14, v12 offset:288
	s_waitcnt lgkmcnt(0)
	v_add_f32_e32 v9, v9, v14
	s_or_b32 exec_lo, exec_lo, s0
	s_and_saveexec_b32 s0, vcc_lo
	s_cbranch_execz .LBB221_840
.LBB221_873:
	ds_read_b32 v14, v12 offset:320
	s_waitcnt lgkmcnt(0)
	v_add_f32_e32 v10, v10, v14
	s_or_b32 exec_lo, exec_lo, s0
	s_and_saveexec_b32 s0, vcc_lo
	s_cbranch_execnz .LBB221_841
	s_branch .LBB221_842
.LBB221_874:
	ds_read_b32 v13, v12
	s_waitcnt lgkmcnt(0)
	v_add_f32_e32 v0, v0, v13
	s_or_b32 exec_lo, exec_lo, s0
	s_and_saveexec_b32 s0, vcc_lo
	s_cbranch_execz .LBB221_848
.LBB221_875:
	ds_read_b32 v13, v12 offset:32
	s_waitcnt lgkmcnt(0)
	v_add_f32_e32 v1, v1, v13
	s_or_b32 exec_lo, exec_lo, s0
	s_and_saveexec_b32 s0, vcc_lo
	s_cbranch_execz .LBB221_849
.LBB221_876:
	ds_read_b32 v13, v12 offset:64
	s_waitcnt lgkmcnt(0)
	v_add_f32_e32 v2, v2, v13
	s_or_b32 exec_lo, exec_lo, s0
	s_and_saveexec_b32 s0, vcc_lo
	s_cbranch_execz .LBB221_850
.LBB221_877:
	ds_read_b32 v13, v12 offset:96
	s_waitcnt lgkmcnt(0)
	v_add_f32_e32 v3, v3, v13
	s_or_b32 exec_lo, exec_lo, s0
	s_and_saveexec_b32 s0, vcc_lo
	s_cbranch_execz .LBB221_851
.LBB221_878:
	ds_read_b32 v13, v12 offset:128
	s_waitcnt lgkmcnt(0)
	v_add_f32_e32 v4, v4, v13
	s_or_b32 exec_lo, exec_lo, s0
	s_and_saveexec_b32 s0, vcc_lo
	s_cbranch_execz .LBB221_852
.LBB221_879:
	ds_read_b32 v13, v12 offset:160
	s_waitcnt lgkmcnt(0)
	v_add_f32_e32 v5, v5, v13
	s_or_b32 exec_lo, exec_lo, s0
	s_and_saveexec_b32 s0, vcc_lo
	s_cbranch_execz .LBB221_853
.LBB221_880:
	ds_read_b32 v13, v12 offset:192
	s_waitcnt lgkmcnt(0)
	v_add_f32_e32 v6, v6, v13
	s_or_b32 exec_lo, exec_lo, s0
	s_and_saveexec_b32 s0, vcc_lo
	s_cbranch_execz .LBB221_854
.LBB221_881:
	ds_read_b32 v13, v12 offset:224
	s_waitcnt lgkmcnt(0)
	v_add_f32_e32 v7, v7, v13
	s_or_b32 exec_lo, exec_lo, s0
	s_and_saveexec_b32 s0, vcc_lo
	s_cbranch_execz .LBB221_855
.LBB221_882:
	ds_read_b32 v13, v12 offset:256
	s_waitcnt lgkmcnt(0)
	v_add_f32_e32 v8, v8, v13
	s_or_b32 exec_lo, exec_lo, s0
	s_and_saveexec_b32 s0, vcc_lo
	s_cbranch_execz .LBB221_856
.LBB221_883:
	ds_read_b32 v13, v12 offset:288
	s_waitcnt lgkmcnt(0)
	v_add_f32_e32 v9, v9, v13
	s_or_b32 exec_lo, exec_lo, s0
	s_and_saveexec_b32 s0, vcc_lo
	s_cbranch_execz .LBB221_857
.LBB221_884:
	ds_read_b32 v13, v12 offset:320
	s_waitcnt lgkmcnt(0)
	v_add_f32_e32 v10, v10, v13
	s_or_b32 exec_lo, exec_lo, s0
	s_and_saveexec_b32 s0, vcc_lo
	s_cbranch_execnz .LBB221_858
	s_branch .LBB221_859
	.section	.rodata,"a",@progbits
	.p2align	6, 0x0
	.amdhsa_kernel _ZN4vllm25paged_attention_v2_kernelIfhLi96ELi16ELi128ELNS_18Fp8KVCacheDataTypeE1ELb0ELi512EEEvPfS2_PT_PKS3_PKT0_S9_ifPKiSB_iPKfiiiSD_SD_iiiii
		.amdhsa_group_segment_fixed_size 416
		.amdhsa_private_segment_fixed_size 164
		.amdhsa_kernarg_size 400
		.amdhsa_user_sgpr_count 6
		.amdhsa_user_sgpr_private_segment_buffer 1
		.amdhsa_user_sgpr_dispatch_ptr 0
		.amdhsa_user_sgpr_queue_ptr 0
		.amdhsa_user_sgpr_kernarg_segment_ptr 1
		.amdhsa_user_sgpr_dispatch_id 0
		.amdhsa_user_sgpr_flat_scratch_init 0
		.amdhsa_user_sgpr_private_segment_size 0
		.amdhsa_wavefront_size32 1
		.amdhsa_uses_dynamic_stack 0
		.amdhsa_system_sgpr_private_segment_wavefront_offset 1
		.amdhsa_system_sgpr_workgroup_id_x 1
		.amdhsa_system_sgpr_workgroup_id_y 1
		.amdhsa_system_sgpr_workgroup_id_z 1
		.amdhsa_system_sgpr_workgroup_info 0
		.amdhsa_system_vgpr_workitem_id 0
		.amdhsa_next_free_vgpr 128
		.amdhsa_next_free_sgpr 48
		.amdhsa_reserve_vcc 1
		.amdhsa_reserve_flat_scratch 0
		.amdhsa_float_round_mode_32 0
		.amdhsa_float_round_mode_16_64 0
		.amdhsa_float_denorm_mode_32 3
		.amdhsa_float_denorm_mode_16_64 3
		.amdhsa_dx10_clamp 1
		.amdhsa_ieee_mode 1
		.amdhsa_fp16_overflow 0
		.amdhsa_workgroup_processor_mode 1
		.amdhsa_memory_ordered 1
		.amdhsa_forward_progress 1
		.amdhsa_shared_vgpr_count 0
		.amdhsa_exception_fp_ieee_invalid_op 0
		.amdhsa_exception_fp_denorm_src 0
		.amdhsa_exception_fp_ieee_div_zero 0
		.amdhsa_exception_fp_ieee_overflow 0
		.amdhsa_exception_fp_ieee_underflow 0
		.amdhsa_exception_fp_ieee_inexact 0
		.amdhsa_exception_int_div_zero 0
	.end_amdhsa_kernel
	.section	.text._ZN4vllm25paged_attention_v2_kernelIfhLi96ELi16ELi128ELNS_18Fp8KVCacheDataTypeE1ELb0ELi512EEEvPfS2_PT_PKS3_PKT0_S9_ifPKiSB_iPKfiiiSD_SD_iiiii,"axG",@progbits,_ZN4vllm25paged_attention_v2_kernelIfhLi96ELi16ELi128ELNS_18Fp8KVCacheDataTypeE1ELb0ELi512EEEvPfS2_PT_PKS3_PKT0_S9_ifPKiSB_iPKfiiiSD_SD_iiiii,comdat
.Lfunc_end221:
	.size	_ZN4vllm25paged_attention_v2_kernelIfhLi96ELi16ELi128ELNS_18Fp8KVCacheDataTypeE1ELb0ELi512EEEvPfS2_PT_PKS3_PKT0_S9_ifPKiSB_iPKfiiiSD_SD_iiiii, .Lfunc_end221-_ZN4vllm25paged_attention_v2_kernelIfhLi96ELi16ELi128ELNS_18Fp8KVCacheDataTypeE1ELb0ELi512EEEvPfS2_PT_PKS3_PKT0_S9_ifPKiSB_iPKfiiiSD_SD_iiiii
                                        ; -- End function
	.set _ZN4vllm25paged_attention_v2_kernelIfhLi96ELi16ELi128ELNS_18Fp8KVCacheDataTypeE1ELb0ELi512EEEvPfS2_PT_PKS3_PKT0_S9_ifPKiSB_iPKfiiiSD_SD_iiiii.num_vgpr, 128
	.set _ZN4vllm25paged_attention_v2_kernelIfhLi96ELi16ELi128ELNS_18Fp8KVCacheDataTypeE1ELb0ELi512EEEvPfS2_PT_PKS3_PKT0_S9_ifPKiSB_iPKfiiiSD_SD_iiiii.num_agpr, 0
	.set _ZN4vllm25paged_attention_v2_kernelIfhLi96ELi16ELi128ELNS_18Fp8KVCacheDataTypeE1ELb0ELi512EEEvPfS2_PT_PKS3_PKT0_S9_ifPKiSB_iPKfiiiSD_SD_iiiii.numbered_sgpr, 48
	.set _ZN4vllm25paged_attention_v2_kernelIfhLi96ELi16ELi128ELNS_18Fp8KVCacheDataTypeE1ELb0ELi512EEEvPfS2_PT_PKS3_PKT0_S9_ifPKiSB_iPKfiiiSD_SD_iiiii.num_named_barrier, 0
	.set _ZN4vllm25paged_attention_v2_kernelIfhLi96ELi16ELi128ELNS_18Fp8KVCacheDataTypeE1ELb0ELi512EEEvPfS2_PT_PKS3_PKT0_S9_ifPKiSB_iPKfiiiSD_SD_iiiii.private_seg_size, 164
	.set _ZN4vllm25paged_attention_v2_kernelIfhLi96ELi16ELi128ELNS_18Fp8KVCacheDataTypeE1ELb0ELi512EEEvPfS2_PT_PKS3_PKT0_S9_ifPKiSB_iPKfiiiSD_SD_iiiii.uses_vcc, 1
	.set _ZN4vllm25paged_attention_v2_kernelIfhLi96ELi16ELi128ELNS_18Fp8KVCacheDataTypeE1ELb0ELi512EEEvPfS2_PT_PKS3_PKT0_S9_ifPKiSB_iPKfiiiSD_SD_iiiii.uses_flat_scratch, 0
	.set _ZN4vllm25paged_attention_v2_kernelIfhLi96ELi16ELi128ELNS_18Fp8KVCacheDataTypeE1ELb0ELi512EEEvPfS2_PT_PKS3_PKT0_S9_ifPKiSB_iPKfiiiSD_SD_iiiii.has_dyn_sized_stack, 0
	.set _ZN4vllm25paged_attention_v2_kernelIfhLi96ELi16ELi128ELNS_18Fp8KVCacheDataTypeE1ELb0ELi512EEEvPfS2_PT_PKS3_PKT0_S9_ifPKiSB_iPKfiiiSD_SD_iiiii.has_recursion, 0
	.set _ZN4vllm25paged_attention_v2_kernelIfhLi96ELi16ELi128ELNS_18Fp8KVCacheDataTypeE1ELb0ELi512EEEvPfS2_PT_PKS3_PKT0_S9_ifPKiSB_iPKfiiiSD_SD_iiiii.has_indirect_call, 0
	.section	.AMDGPU.csdata,"",@progbits
; Kernel info:
; codeLenInByte = 26684
; TotalNumSgprs: 50
; NumVgprs: 128
; ScratchSize: 164
; MemoryBound: 0
; FloatMode: 240
; IeeeMode: 1
; LDSByteSize: 416 bytes/workgroup (compile time only)
; SGPRBlocks: 0
; VGPRBlocks: 15
; NumSGPRsForWavesPerEU: 50
; NumVGPRsForWavesPerEU: 128
; Occupancy: 8
; WaveLimiterHint : 1
; COMPUTE_PGM_RSRC2:SCRATCH_EN: 1
; COMPUTE_PGM_RSRC2:USER_SGPR: 6
; COMPUTE_PGM_RSRC2:TRAP_HANDLER: 0
; COMPUTE_PGM_RSRC2:TGID_X_EN: 1
; COMPUTE_PGM_RSRC2:TGID_Y_EN: 1
; COMPUTE_PGM_RSRC2:TGID_Z_EN: 1
; COMPUTE_PGM_RSRC2:TIDIG_COMP_CNT: 0
	.section	.text._ZN4vllm25paged_attention_v2_kernelIfhLi112ELi16ELi128ELNS_18Fp8KVCacheDataTypeE1ELb0ELi512EEEvPfS2_PT_PKS3_PKT0_S9_ifPKiSB_iPKfiiiSD_SD_iiiii,"axG",@progbits,_ZN4vllm25paged_attention_v2_kernelIfhLi112ELi16ELi128ELNS_18Fp8KVCacheDataTypeE1ELb0ELi512EEEvPfS2_PT_PKS3_PKT0_S9_ifPKiSB_iPKfiiiSD_SD_iiiii,comdat
	.protected	_ZN4vllm25paged_attention_v2_kernelIfhLi112ELi16ELi128ELNS_18Fp8KVCacheDataTypeE1ELb0ELi512EEEvPfS2_PT_PKS3_PKT0_S9_ifPKiSB_iPKfiiiSD_SD_iiiii ; -- Begin function _ZN4vllm25paged_attention_v2_kernelIfhLi112ELi16ELi128ELNS_18Fp8KVCacheDataTypeE1ELb0ELi512EEEvPfS2_PT_PKS3_PKT0_S9_ifPKiSB_iPKfiiiSD_SD_iiiii
	.globl	_ZN4vllm25paged_attention_v2_kernelIfhLi112ELi16ELi128ELNS_18Fp8KVCacheDataTypeE1ELb0ELi512EEEvPfS2_PT_PKS3_PKT0_S9_ifPKiSB_iPKfiiiSD_SD_iiiii
	.p2align	8
	.type	_ZN4vllm25paged_attention_v2_kernelIfhLi112ELi16ELi128ELNS_18Fp8KVCacheDataTypeE1ELb0ELi512EEEvPfS2_PT_PKS3_PKT0_S9_ifPKiSB_iPKfiiiSD_SD_iiiii,@function
_ZN4vllm25paged_attention_v2_kernelIfhLi112ELi16ELi128ELNS_18Fp8KVCacheDataTypeE1ELb0ELi512EEEvPfS2_PT_PKS3_PKT0_S9_ifPKiSB_iPKfiiiSD_SD_iiiii: ; @_ZN4vllm25paged_attention_v2_kernelIfhLi112ELi16ELi128ELNS_18Fp8KVCacheDataTypeE1ELb0ELi512EEEvPfS2_PT_PKS3_PKT0_S9_ifPKiSB_iPKfiiiSD_SD_iiiii
; %bb.0:
	s_mov_b64 s[46:47], s[2:3]
	s_mov_b64 s[44:45], s[0:1]
	s_load_dwordx2 s[0:1], s[4:5], 0x40
	s_add_u32 s44, s44, s9
	s_addc_u32 s45, s45, 0
	s_mov_b32 s26, s7
	s_ashr_i32 s27, s7, 31
	s_lshl_b64 s[2:3], s[26:27], 2
	s_waitcnt lgkmcnt(0)
	s_add_u32 s0, s0, s2
	s_addc_u32 s1, s1, s3
	s_lshl_b32 s33, s8, 9
	s_load_dword s27, s[0:1], 0x0
	s_waitcnt lgkmcnt(0)
	s_cmp_ge_i32 s33, s27
	s_cbranch_scc1 .LBB222_998
; %bb.1:
	s_clause 0x1
	s_load_dword s9, s[4:5], 0x90
	s_load_dwordx2 s[36:37], s[4:5], 0x30
	v_mov_b32_e32 v105, v0
	s_waitcnt lgkmcnt(0)
	s_abs_i32 s3, s9
	s_abs_i32 s0, s36
	v_cvt_f32_u32_e32 v0, s0
	s_sub_i32 s2, 0, s0
	v_rcp_iflag_f32_e32 v0, v0
	v_mul_f32_e32 v0, 0x4f7ffffe, v0
	v_cvt_u32_f32_e32 v0, v0
	v_readfirstlane_b32 s1, v0
	s_mul_i32 s2, s2, s1
	s_mul_hi_u32 s2, s1, s2
	s_add_i32 s1, s1, s2
	s_xor_b32 s2, s9, s36
	s_mul_hi_u32 s1, s3, s1
	s_ashr_i32 s2, s2, 31
	s_mul_i32 s7, s1, s0
	s_mov_b32 s36, 0
	s_sub_i32 s3, s3, s7
	s_add_i32 s7, s1, 1
	s_sub_i32 s10, s3, s0
	s_cmp_ge_u32 s3, s0
	s_cselect_b32 s1, s7, s1
	s_cselect_b32 s3, s10, s3
	s_add_i32 s7, s1, 1
	s_cmp_ge_u32 s3, s0
	s_cselect_b32 s0, s7, s1
	s_abs_i32 s16, s6
	s_xor_b32 s0, s0, s2
	s_sub_i32 s10, s0, s2
	s_load_dwordx2 s[0:1], s[4:5], 0x50
	s_abs_i32 s2, s10
	v_cvt_f32_u32_e32 v0, s2
	s_sub_i32 s7, 0, s2
	v_rcp_iflag_f32_e32 v0, v0
	v_mul_f32_e32 v0, 0x4f7ffffe, v0
	v_cvt_u32_f32_e32 v0, v0
	v_readfirstlane_b32 s3, v0
	s_mul_i32 s7, s7, s3
	s_mul_hi_u32 s7, s3, s7
	s_add_i32 s3, s3, s7
	s_waitcnt lgkmcnt(0)
	s_cmp_eq_u64 s[0:1], 0
	s_mul_hi_u32 s3, s16, s3
	s_cbranch_scc1 .LBB222_3
; %bb.2:
	s_ashr_i32 s7, s6, 31
	s_lshl_b64 s[12:13], s[6:7], 2
	s_add_u32 s0, s0, s12
	s_addc_u32 s1, s1, s13
	s_load_dword s36, s[0:1], 0x0
.LBB222_3:
	s_load_dwordx4 s[12:15], s[4:5], 0x58
	v_and_b32_e32 v0, 1, v105
	v_lshlrev_b32_e32 v11, 2, v105
	s_ashr_i32 s0, s6, 31
	s_ashr_i32 s1, s10, 31
	s_mul_i32 s10, s6, 0x70
	s_mov_b32 s7, exec_lo
	v_cmpx_gt_u32_e32 56, v105
	s_cbranch_execz .LBB222_5
; %bb.4:
	s_load_dwordx2 s[18:19], s[4:5], 0x18
	s_waitcnt lgkmcnt(0)
	s_mul_i32 s20, s12, s26
	v_lshlrev_b32_e32 v1, 3, v105
	s_ashr_i32 s21, s20, 31
	v_and_b32_e32 v3, 0xff8, v11
	s_lshl_b64 s[20:21], s[20:21], 2
	v_mad_u32_u24 v3, 0xe0, v0, v3
	s_add_u32 s12, s18, s20
	s_addc_u32 s15, s19, s21
	s_ashr_i32 s11, s10, 31
	s_lshl_b64 s[18:19], s[10:11], 2
	s_add_u32 s18, s12, s18
	s_addc_u32 s19, s15, s19
	global_load_dwordx2 v[1:2], v1, s[18:19]
	s_waitcnt vmcnt(0)
	ds_write_b64 v3, v[1:2]
.LBB222_5:
	s_or_b32 exec_lo, exec_lo, s7
	s_add_i32 s7, s27, 15
	s_clause 0x1
	s_load_dwordx2 s[28:29], s[4:5], 0x38
	s_load_dword s17, s[4:5], 0x48
	s_ashr_i32 s11, s7, 31
	s_waitcnt lgkmcnt(0)
	s_lshl_b32 s15, s8, 5
	s_lshr_b32 s11, s11, 28
	s_xor_b32 s0, s0, s1
	s_add_i32 s7, s7, s11
	s_add_i32 s1, s15, 32
	s_ashr_i32 s12, s7, 4
	s_mul_i32 s7, s3, s2
	s_min_i32 s11, s1, s12
	s_sub_i32 s1, s16, s7
	s_add_i32 s7, s3, 1
	s_sub_i32 s16, s1, s2
	s_cmp_ge_u32 s1, s2
	v_lshrrev_b32_e32 v106, 5, v105
	s_cselect_b32 s3, s7, s3
	s_cselect_b32 s1, s16, s1
	s_add_i32 s7, s3, 1
	s_cmp_ge_u32 s1, s2
	v_or_b32_e32 v57, s15, v106
	s_cselect_b32 s1, s7, s3
	v_mbcnt_lo_u32_b32 v12, -1, 0
	s_xor_b32 s1, s1, s0
	s_mul_i32 s30, s17, s26
	s_sub_i32 s1, s1, s0
	v_cmp_gt_i32_e64 s0, s11, v57
	s_ashr_i32 s31, s30, 31
	s_mov_b32 s2, exec_lo
	s_barrier
	buffer_gl0_inv
                                        ; implicit-def: $vgpr60
                                        ; implicit-def: $vgpr8
	v_cmpx_le_i32_e64 s11, v57
	s_xor_b32 s2, exec_lo, s2
; %bb.6:
	v_mov_b32_e32 v60, 0
	v_mbcnt_lo_u32_b32 v12, -1, 0
	v_mov_b32_e32 v8, 32
                                        ; implicit-def: $vgpr0
; %bb.7:
	s_or_saveexec_b32 s38, s2
	s_clause 0x4
	s_load_dwordx4 s[20:23], s[4:5], 0x0
	s_load_dwordx2 s[24:25], s[4:5], 0x10
	s_load_dword s7, s[4:5], 0x98
	s_load_dwordx2 s[34:35], s[4:5], 0x28
	s_load_dwordx4 s[16:19], s[4:5], 0x68
	v_mov_b32_e32 v3, 0xff7fffff
	v_ashrrev_i32_e32 v58, 31, v57
	s_mul_i32 s14, s1, s14
	s_xor_b32 exec_lo, exec_lo, s38
	s_cbranch_execz .LBB222_461
; %bb.8:
	v_mul_u32_u24_e32 v2, 0xe0, v0
	buffer_store_dword v11, off, s[44:47], 0 offset:248 ; 4-byte Folded Spill
	s_load_dwordx2 s[2:3], s[4:5], 0x20
	buffer_store_dword v105, off, s[44:47], 0 offset:240 ; 4-byte Folded Spill
	s_waitcnt lgkmcnt(0)
	s_load_dword s4, s[16:17], 0x0
	ds_read_b128 v[6:9], v2
	v_xor_b32_e32 v4, 1, v12
	v_bfe_u32 v1, v105, 1, 4
	s_ashr_i32 s1, s14, 31
	v_lshlrev_b32_e32 v3, 1, v0
	v_mov_b32_e32 v60, 0
	v_cmp_gt_i32_e32 vcc_lo, 32, v4
	v_lshlrev_b32_e32 v5, 4, v1
	v_mov_b32_e32 v53, 0x80
	v_bfrev_b32_e32 v66, 1
	v_mov_b32_e32 v54, 0xffff
	v_cndmask_b32_e32 v4, v12, v4, vcc_lo
	v_cmp_eq_u32_e32 vcc_lo, 0, v0
	v_lshlrev_b32_e32 v0, 4, v106
	v_mov_b32_e32 v42, 0x7f800001
	v_mov_b32_e32 v55, v57
	v_lshlrev_b32_e32 v4, 2, v4
	s_add_u32 s2, s2, s14
	s_addc_u32 s1, s3, s1
	v_add_co_u32 v5, s2, s2, v5
	s_waitcnt lgkmcnt(0)
	buffer_store_dword v6, off, s[44:47], 0 offset:4 ; 4-byte Folded Spill
	buffer_store_dword v7, off, s[44:47], 0 offset:8 ; 4-byte Folded Spill
	;; [unrolled: 1-line block ×4, first 2 shown]
	ds_read_b128 v[6:9], v2 offset:16
	v_add3_u32 v0, s33, v0, v1
	s_sub_i32 s5, 1, s27
	s_mov_b32 s17, s13
	s_mov_b32 s16, 0
	;; [unrolled: 1-line block ×3, first 2 shown]
	s_waitcnt lgkmcnt(0)
	buffer_store_dword v6, off, s[44:47], 0 offset:20 ; 4-byte Folded Spill
	buffer_store_dword v7, off, s[44:47], 0 offset:24 ; 4-byte Folded Spill
	buffer_store_dword v8, off, s[44:47], 0 offset:28 ; 4-byte Folded Spill
	buffer_store_dword v9, off, s[44:47], 0 offset:32 ; 4-byte Folded Spill
	ds_read_b128 v[6:9], v2 offset:32
	s_waitcnt lgkmcnt(0)
	buffer_store_dword v6, off, s[44:47], 0 offset:36 ; 4-byte Folded Spill
	buffer_store_dword v7, off, s[44:47], 0 offset:40 ; 4-byte Folded Spill
	buffer_store_dword v8, off, s[44:47], 0 offset:44 ; 4-byte Folded Spill
	buffer_store_dword v9, off, s[44:47], 0 offset:48 ; 4-byte Folded Spill
	ds_read_b128 v[6:9], v2 offset:48
	s_waitcnt lgkmcnt(0)
	buffer_store_dword v6, off, s[44:47], 0 offset:52 ; 4-byte Folded Spill
	buffer_store_dword v7, off, s[44:47], 0 offset:56 ; 4-byte Folded Spill
	buffer_store_dword v8, off, s[44:47], 0 offset:60 ; 4-byte Folded Spill
	buffer_store_dword v9, off, s[44:47], 0 offset:64 ; 4-byte Folded Spill
	ds_read_b128 v[6:9], v2 offset:64
	s_waitcnt lgkmcnt(0)
	buffer_store_dword v6, off, s[44:47], 0 offset:68 ; 4-byte Folded Spill
	buffer_store_dword v7, off, s[44:47], 0 offset:72 ; 4-byte Folded Spill
	buffer_store_dword v8, off, s[44:47], 0 offset:76 ; 4-byte Folded Spill
	buffer_store_dword v9, off, s[44:47], 0 offset:80 ; 4-byte Folded Spill
	ds_read_b128 v[6:9], v2 offset:80
	s_waitcnt lgkmcnt(0)
	buffer_store_dword v6, off, s[44:47], 0 offset:84 ; 4-byte Folded Spill
	buffer_store_dword v7, off, s[44:47], 0 offset:88 ; 4-byte Folded Spill
	buffer_store_dword v8, off, s[44:47], 0 offset:92 ; 4-byte Folded Spill
	buffer_store_dword v9, off, s[44:47], 0 offset:96 ; 4-byte Folded Spill
	ds_read_b128 v[7:10], v2 offset:96
	buffer_store_dword v12, off, s[44:47], 0 offset:252 ; 4-byte Folded Spill
	v_add_co_ci_u32_e64 v6, null, s1, 0, s2
	v_add_co_u32 v5, s2, v5, v3
	v_cmp_neq_f32_e64 s1, s36, 0
	v_add_co_ci_u32_e64 v6, null, 0, v6, s2
	s_lshl_b64 s[2:3], s[30:31], 2
	s_waitcnt lgkmcnt(0)
	buffer_store_dword v7, off, s[44:47], 0 offset:100 ; 4-byte Folded Spill
	buffer_store_dword v8, off, s[44:47], 0 offset:104 ; 4-byte Folded Spill
	;; [unrolled: 1-line block ×4, first 2 shown]
	ds_read_b128 v[7:10], v2 offset:112
	s_add_u32 s2, s28, s2
	s_addc_u32 s3, s29, s3
	s_waitcnt lgkmcnt(0)
	buffer_store_dword v7, off, s[44:47], 0 offset:116 ; 4-byte Folded Spill
	buffer_store_dword v8, off, s[44:47], 0 offset:120 ; 4-byte Folded Spill
	;; [unrolled: 1-line block ×5, first 2 shown]
	v_lshlrev_b32_e32 v4, 2, v1
	buffer_store_dword v5, off, s[44:47], 0 offset:136 ; 4-byte Folded Spill
	buffer_store_dword v6, off, s[44:47], 0 offset:140 ; 4-byte Folded Spill
	;; [unrolled: 1-line block ×3, first 2 shown]
	v_lshl_or_b32 v3, v106, 6, v4
	ds_read_b128 v[4:7], v2 offset:128
	s_waitcnt lgkmcnt(0)
	buffer_store_dword v4, off, s[44:47], 0 offset:144 ; 4-byte Folded Spill
	buffer_store_dword v5, off, s[44:47], 0 offset:148 ; 4-byte Folded Spill
	;; [unrolled: 1-line block ×4, first 2 shown]
	ds_read_b128 v[4:7], v2 offset:144
	v_add_nc_u32_e32 v127, 0x1e0, v3
	s_waitcnt lgkmcnt(0)
	buffer_store_dword v4, off, s[44:47], 0 offset:160 ; 4-byte Folded Spill
	buffer_store_dword v5, off, s[44:47], 0 offset:164 ; 4-byte Folded Spill
	buffer_store_dword v6, off, s[44:47], 0 offset:168 ; 4-byte Folded Spill
	buffer_store_dword v7, off, s[44:47], 0 offset:172 ; 4-byte Folded Spill
	ds_read_b128 v[4:7], v2 offset:160
	s_waitcnt lgkmcnt(0)
	buffer_store_dword v4, off, s[44:47], 0 offset:176 ; 4-byte Folded Spill
	buffer_store_dword v5, off, s[44:47], 0 offset:180 ; 4-byte Folded Spill
	buffer_store_dword v6, off, s[44:47], 0 offset:184 ; 4-byte Folded Spill
	buffer_store_dword v7, off, s[44:47], 0 offset:188 ; 4-byte Folded Spill
	ds_read_b128 v[4:7], v2 offset:176
	;; [unrolled: 6-line block ×4, first 2 shown]
	v_lshlrev_b64 v[1:2], 2, v[57:58]
	s_waitcnt lgkmcnt(0)
	buffer_store_dword v4, off, s[44:47], 0 offset:224 ; 4-byte Folded Spill
	buffer_store_dword v5, off, s[44:47], 0 offset:228 ; 4-byte Folded Spill
	;; [unrolled: 1-line block ×4, first 2 shown]
	v_add_co_u32 v63, s2, s2, v1
	v_add_co_ci_u32_e64 v64, null, s3, v2, s2
	v_mov_b32_e32 v1, 0xff7fffff
	buffer_store_dword v1, off, s[44:47], 0 ; 4-byte Folded Spill
	s_branch .LBB222_10
.LBB222_9:                              ;   in Loop: Header=BB222_10 Depth=1
	s_or_b32 exec_lo, exec_lo, s3
	v_add_nc_u32_e32 v55, 4, v55
	v_add_co_u32 v63, s3, v63, 16
	v_add_nc_u32_e32 v0, 64, v0
	v_add_nc_u32_e32 v127, 0x100, v127
	v_cmp_le_i32_e64 s2, s11, v55
	v_add_co_ci_u32_e64 v64, null, 0, v64, s3
	s_or_b32 s16, s2, s16
	s_andn2_b32 exec_lo, exec_lo, s16
	s_cbranch_execz .LBB222_460
.LBB222_10:                             ; =>This Inner Loop Header: Depth=1
	global_load_dword v1, v[63:64], off
	s_waitcnt lgkmcnt(0)
	s_clause 0x1
	buffer_load_dword v2, off, s[44:47], 0 offset:136
	buffer_load_dword v3, off, s[44:47], 0 offset:140
	v_mov_b32_e32 v45, 0
	v_mov_b32_e32 v69, 0
	;; [unrolled: 1-line block ×4, first 2 shown]
	s_waitcnt vmcnt(0)
	v_mad_i64_i32 v[77:78], null, v1, s17, v[2:3]
	global_load_ushort v2, v[77:78], off
	s_waitcnt vmcnt(0)
	v_and_b32_e32 v1, 0xffff, v2
	v_cmp_ne_u16_sdwa s2, v2, v60 src0_sel:BYTE_0 src1_sel:DWORD
	s_and_saveexec_b32 s3, s2
	s_cbranch_execz .LBB222_18
; %bb.11:                               ;   in Loop: Header=BB222_10 Depth=1
	v_bfrev_b32_e32 v69, 1
	v_mov_b32_e32 v70, 0
	v_cmp_ne_u16_sdwa s2, v1, v53 src0_sel:BYTE_0 src1_sel:DWORD
	s_and_saveexec_b32 s40, s2
	s_cbranch_execz .LBB222_17
; %bb.12:                               ;   in Loop: Header=BB222_10 Depth=1
	v_mov_b32_e32 v69, 0x7f800001
	v_and_b32_e32 v3, 0x7f, v1
	v_mov_b32_e32 v70, 0
	s_mov_b32 s41, exec_lo
	v_cmpx_ne_u32_e32 0x7f, v3
	s_cbranch_execz .LBB222_16
; %bb.13:                               ;   in Loop: Header=BB222_10 Depth=1
	v_and_b32_e32 v59, 7, v1
	v_lshrrev_b32_e32 v2, 3, v3
	s_mov_b32 s42, exec_lo
	v_cmpx_gt_u32_e32 8, v3
; %bb.14:                               ;   in Loop: Header=BB222_10 Depth=1
	v_ffbh_u32_e32 v2, v59
	v_min_u32_e32 v2, 32, v2
	v_subrev_nc_u32_e32 v3, 28, v2
	v_sub_nc_u32_e32 v2, 29, v2
	v_lshlrev_b64 v[3:4], v3, v[59:60]
	v_and_b32_e32 v59, 7, v3
; %bb.15:                               ;   in Loop: Header=BB222_10 Depth=1
	s_or_b32 exec_lo, exec_lo, s42
	v_lshlrev_b32_e32 v3, 24, v1
	v_lshlrev_b32_e32 v4, 20, v59
	v_lshl_add_u32 v2, v2, 23, 0x3c000000
	v_and_b32_e32 v3, 0x80000000, v3
	v_or3_b32 v59, v4, v3, v2
	v_mov_b32_e32 v70, v60
	v_mov_b32_e32 v69, v59
.LBB222_16:                             ;   in Loop: Header=BB222_10 Depth=1
	s_or_b32 exec_lo, exec_lo, s41
.LBB222_17:                             ;   in Loop: Header=BB222_10 Depth=1
	s_or_b32 exec_lo, exec_lo, s40
.LBB222_18:                             ;   in Loop: Header=BB222_10 Depth=1
	s_or_b32 exec_lo, exec_lo, s3
	v_cmp_ne_u16_sdwa s2, v1, v60 src0_sel:BYTE_1 src1_sel:DWORD
	s_and_saveexec_b32 s3, s2
	s_cbranch_execz .LBB222_26
; %bb.19:                               ;   in Loop: Header=BB222_10 Depth=1
	v_mov_b32_e32 v65, v60
	v_cmp_ne_u16_sdwa s2, v1, v53 src0_sel:BYTE_1 src1_sel:DWORD
	v_mov_b32_e32 v45, v65
	v_mov_b32_e32 v46, v66
	s_and_saveexec_b32 s40, s2
	s_cbranch_execz .LBB222_25
; %bb.20:                               ;   in Loop: Header=BB222_10 Depth=1
	v_and_b32_sdwa v2, v54, v1 dst_sel:DWORD dst_unused:UNUSED_PAD src0_sel:DWORD src1_sel:BYTE_1
	v_mov_b32_e32 v41, v60
	v_mov_b32_e32 v46, v42
	s_mov_b32 s41, exec_lo
	v_and_b32_e32 v3, 0x7f, v2
	v_mov_b32_e32 v45, v41
	v_cmpx_ne_u32_e32 0x7f, v3
	s_cbranch_execz .LBB222_24
; %bb.21:                               ;   in Loop: Header=BB222_10 Depth=1
	v_and_b32_e32 v59, 7, v2
	v_lshrrev_b32_e32 v2, 3, v3
	s_mov_b32 s42, exec_lo
	v_cmpx_gt_u32_e32 8, v3
; %bb.22:                               ;   in Loop: Header=BB222_10 Depth=1
	v_ffbh_u32_e32 v2, v59
	v_min_u32_e32 v2, 32, v2
	v_subrev_nc_u32_e32 v3, 28, v2
	v_sub_nc_u32_e32 v2, 29, v2
	v_lshlrev_b64 v[3:4], v3, v[59:60]
	v_and_b32_e32 v59, 7, v3
; %bb.23:                               ;   in Loop: Header=BB222_10 Depth=1
	s_or_b32 exec_lo, exec_lo, s42
	v_lshlrev_b32_e32 v1, 16, v1
	v_lshlrev_b32_e32 v3, 20, v59
	v_lshl_add_u32 v2, v2, 23, 0x3c000000
	v_mov_b32_e32 v45, v60
	v_and_b32_e32 v1, 0x80000000, v1
	v_or3_b32 v46, v3, v1, v2
.LBB222_24:                             ;   in Loop: Header=BB222_10 Depth=1
	s_or_b32 exec_lo, exec_lo, s41
.LBB222_25:                             ;   in Loop: Header=BB222_10 Depth=1
	s_or_b32 exec_lo, exec_lo, s40
.LBB222_26:                             ;   in Loop: Header=BB222_10 Depth=1
	s_or_b32 exec_lo, exec_lo, s3
	global_load_ushort v2, v[77:78], off offset:4
	v_mov_b32_e32 v75, 0
	v_mov_b32_e32 v73, 0
	;; [unrolled: 1-line block ×4, first 2 shown]
	s_waitcnt vmcnt(0)
	v_and_b32_e32 v1, 0xffff, v2
	v_cmp_ne_u16_sdwa s2, v2, v60 src0_sel:BYTE_0 src1_sel:DWORD
	s_and_saveexec_b32 s3, s2
	s_cbranch_execz .LBB222_34
; %bb.27:                               ;   in Loop: Header=BB222_10 Depth=1
	v_bfrev_b32_e32 v73, 1
	v_mov_b32_e32 v74, 0
	v_cmp_ne_u16_sdwa s2, v1, v53 src0_sel:BYTE_0 src1_sel:DWORD
	s_and_saveexec_b32 s40, s2
	s_cbranch_execz .LBB222_33
; %bb.28:                               ;   in Loop: Header=BB222_10 Depth=1
	v_mov_b32_e32 v73, 0x7f800001
	v_and_b32_e32 v3, 0x7f, v1
	v_mov_b32_e32 v74, 0
	s_mov_b32 s41, exec_lo
	v_cmpx_ne_u32_e32 0x7f, v3
	s_cbranch_execz .LBB222_32
; %bb.29:                               ;   in Loop: Header=BB222_10 Depth=1
	v_and_b32_e32 v59, 7, v1
	v_lshrrev_b32_e32 v2, 3, v3
	s_mov_b32 s42, exec_lo
	v_cmpx_gt_u32_e32 8, v3
; %bb.30:                               ;   in Loop: Header=BB222_10 Depth=1
	v_ffbh_u32_e32 v2, v59
	v_min_u32_e32 v2, 32, v2
	v_subrev_nc_u32_e32 v3, 28, v2
	v_sub_nc_u32_e32 v2, 29, v2
	v_lshlrev_b64 v[3:4], v3, v[59:60]
	v_and_b32_e32 v59, 7, v3
; %bb.31:                               ;   in Loop: Header=BB222_10 Depth=1
	s_or_b32 exec_lo, exec_lo, s42
	v_lshlrev_b32_e32 v3, 24, v1
	v_lshlrev_b32_e32 v4, 20, v59
	v_lshl_add_u32 v2, v2, 23, 0x3c000000
	v_and_b32_e32 v3, 0x80000000, v3
	v_or3_b32 v59, v4, v3, v2
	v_mov_b32_e32 v74, v60
	v_mov_b32_e32 v73, v59
.LBB222_32:                             ;   in Loop: Header=BB222_10 Depth=1
	s_or_b32 exec_lo, exec_lo, s41
.LBB222_33:                             ;   in Loop: Header=BB222_10 Depth=1
	s_or_b32 exec_lo, exec_lo, s40
.LBB222_34:                             ;   in Loop: Header=BB222_10 Depth=1
	s_or_b32 exec_lo, exec_lo, s3
	v_cmp_ne_u16_sdwa s2, v1, v60 src0_sel:BYTE_1 src1_sel:DWORD
	s_and_saveexec_b32 s3, s2
	s_cbranch_execz .LBB222_42
; %bb.35:                               ;   in Loop: Header=BB222_10 Depth=1
	v_mov_b32_e32 v65, v60
	v_mov_b32_e32 v76, v66
	v_cmp_ne_u16_sdwa s2, v1, v53 src0_sel:BYTE_1 src1_sel:DWORD
	v_mov_b32_e32 v75, v65
	s_and_saveexec_b32 s40, s2
	s_cbranch_execz .LBB222_41
; %bb.36:                               ;   in Loop: Header=BB222_10 Depth=1
	v_and_b32_sdwa v2, v54, v1 dst_sel:DWORD dst_unused:UNUSED_PAD src0_sel:DWORD src1_sel:BYTE_1
	v_mov_b32_e32 v41, v60
	v_mov_b32_e32 v76, v42
	s_mov_b32 s41, exec_lo
	v_and_b32_e32 v3, 0x7f, v2
	v_mov_b32_e32 v75, v41
	v_cmpx_ne_u32_e32 0x7f, v3
	s_cbranch_execz .LBB222_40
; %bb.37:                               ;   in Loop: Header=BB222_10 Depth=1
	v_and_b32_e32 v59, 7, v2
	v_lshrrev_b32_e32 v2, 3, v3
	s_mov_b32 s42, exec_lo
	v_cmpx_gt_u32_e32 8, v3
; %bb.38:                               ;   in Loop: Header=BB222_10 Depth=1
	v_ffbh_u32_e32 v2, v59
	v_min_u32_e32 v2, 32, v2
	v_subrev_nc_u32_e32 v3, 28, v2
	v_sub_nc_u32_e32 v2, 29, v2
	v_lshlrev_b64 v[3:4], v3, v[59:60]
	v_and_b32_e32 v59, 7, v3
; %bb.39:                               ;   in Loop: Header=BB222_10 Depth=1
	s_or_b32 exec_lo, exec_lo, s42
	v_lshlrev_b32_e32 v1, 16, v1
	v_lshlrev_b32_e32 v3, 20, v59
	v_lshl_add_u32 v2, v2, 23, 0x3c000000
	v_mov_b32_e32 v75, v60
	v_and_b32_e32 v1, 0x80000000, v1
	v_or3_b32 v76, v3, v1, v2
.LBB222_40:                             ;   in Loop: Header=BB222_10 Depth=1
	s_or_b32 exec_lo, exec_lo, s41
.LBB222_41:                             ;   in Loop: Header=BB222_10 Depth=1
	s_or_b32 exec_lo, exec_lo, s40
.LBB222_42:                             ;   in Loop: Header=BB222_10 Depth=1
	s_or_b32 exec_lo, exec_lo, s3
	global_load_ushort v2, v[77:78], off offset:8
	v_mov_b32_e32 v81, 0
	v_mov_b32_e32 v79, 0
	;; [unrolled: 1-line block ×4, first 2 shown]
	s_waitcnt vmcnt(0)
	v_and_b32_e32 v1, 0xffff, v2
	v_cmp_ne_u16_sdwa s2, v2, v60 src0_sel:BYTE_0 src1_sel:DWORD
	s_and_saveexec_b32 s3, s2
	s_cbranch_execz .LBB222_50
; %bb.43:                               ;   in Loop: Header=BB222_10 Depth=1
	v_bfrev_b32_e32 v79, 1
	v_mov_b32_e32 v80, 0
	v_cmp_ne_u16_sdwa s2, v1, v53 src0_sel:BYTE_0 src1_sel:DWORD
	s_and_saveexec_b32 s40, s2
	s_cbranch_execz .LBB222_49
; %bb.44:                               ;   in Loop: Header=BB222_10 Depth=1
	v_mov_b32_e32 v79, 0x7f800001
	v_and_b32_e32 v3, 0x7f, v1
	v_mov_b32_e32 v80, 0
	s_mov_b32 s41, exec_lo
	v_cmpx_ne_u32_e32 0x7f, v3
	s_cbranch_execz .LBB222_48
; %bb.45:                               ;   in Loop: Header=BB222_10 Depth=1
	v_and_b32_e32 v59, 7, v1
	v_lshrrev_b32_e32 v2, 3, v3
	s_mov_b32 s42, exec_lo
	v_cmpx_gt_u32_e32 8, v3
; %bb.46:                               ;   in Loop: Header=BB222_10 Depth=1
	v_ffbh_u32_e32 v2, v59
	v_min_u32_e32 v2, 32, v2
	v_subrev_nc_u32_e32 v3, 28, v2
	v_sub_nc_u32_e32 v2, 29, v2
	v_lshlrev_b64 v[3:4], v3, v[59:60]
	v_and_b32_e32 v59, 7, v3
; %bb.47:                               ;   in Loop: Header=BB222_10 Depth=1
	s_or_b32 exec_lo, exec_lo, s42
	v_lshlrev_b32_e32 v3, 24, v1
	v_lshlrev_b32_e32 v4, 20, v59
	v_lshl_add_u32 v2, v2, 23, 0x3c000000
	v_and_b32_e32 v3, 0x80000000, v3
	v_or3_b32 v59, v4, v3, v2
	v_mov_b32_e32 v80, v60
	v_mov_b32_e32 v79, v59
.LBB222_48:                             ;   in Loop: Header=BB222_10 Depth=1
	s_or_b32 exec_lo, exec_lo, s41
.LBB222_49:                             ;   in Loop: Header=BB222_10 Depth=1
	s_or_b32 exec_lo, exec_lo, s40
.LBB222_50:                             ;   in Loop: Header=BB222_10 Depth=1
	s_or_b32 exec_lo, exec_lo, s3
	v_cmp_ne_u16_sdwa s2, v1, v60 src0_sel:BYTE_1 src1_sel:DWORD
	s_and_saveexec_b32 s3, s2
	s_cbranch_execz .LBB222_58
; %bb.51:                               ;   in Loop: Header=BB222_10 Depth=1
	v_mov_b32_e32 v65, v60
	v_mov_b32_e32 v82, v66
	v_cmp_ne_u16_sdwa s2, v1, v53 src0_sel:BYTE_1 src1_sel:DWORD
	v_mov_b32_e32 v81, v65
	s_and_saveexec_b32 s40, s2
	s_cbranch_execz .LBB222_57
; %bb.52:                               ;   in Loop: Header=BB222_10 Depth=1
	v_and_b32_sdwa v2, v54, v1 dst_sel:DWORD dst_unused:UNUSED_PAD src0_sel:DWORD src1_sel:BYTE_1
	v_mov_b32_e32 v41, v60
	v_mov_b32_e32 v82, v42
	s_mov_b32 s41, exec_lo
	v_and_b32_e32 v3, 0x7f, v2
	v_mov_b32_e32 v81, v41
	v_cmpx_ne_u32_e32 0x7f, v3
	s_cbranch_execz .LBB222_56
; %bb.53:                               ;   in Loop: Header=BB222_10 Depth=1
	v_and_b32_e32 v59, 7, v2
	v_lshrrev_b32_e32 v2, 3, v3
	s_mov_b32 s42, exec_lo
	v_cmpx_gt_u32_e32 8, v3
; %bb.54:                               ;   in Loop: Header=BB222_10 Depth=1
	v_ffbh_u32_e32 v2, v59
	v_min_u32_e32 v2, 32, v2
	v_subrev_nc_u32_e32 v3, 28, v2
	v_sub_nc_u32_e32 v2, 29, v2
	v_lshlrev_b64 v[3:4], v3, v[59:60]
	v_and_b32_e32 v59, 7, v3
; %bb.55:                               ;   in Loop: Header=BB222_10 Depth=1
	s_or_b32 exec_lo, exec_lo, s42
	v_lshlrev_b32_e32 v1, 16, v1
	v_lshlrev_b32_e32 v3, 20, v59
	v_lshl_add_u32 v2, v2, 23, 0x3c000000
	v_mov_b32_e32 v81, v60
	v_and_b32_e32 v1, 0x80000000, v1
	v_or3_b32 v82, v3, v1, v2
.LBB222_56:                             ;   in Loop: Header=BB222_10 Depth=1
	s_or_b32 exec_lo, exec_lo, s41
.LBB222_57:                             ;   in Loop: Header=BB222_10 Depth=1
	s_or_b32 exec_lo, exec_lo, s40
.LBB222_58:                             ;   in Loop: Header=BB222_10 Depth=1
	s_or_b32 exec_lo, exec_lo, s3
	global_load_ushort v2, v[77:78], off offset:12
	v_mov_b32_e32 v85, 0
	v_mov_b32_e32 v83, 0
	;; [unrolled: 1-line block ×4, first 2 shown]
	s_waitcnt vmcnt(0)
	v_and_b32_e32 v1, 0xffff, v2
	v_cmp_ne_u16_sdwa s2, v2, v60 src0_sel:BYTE_0 src1_sel:DWORD
	s_and_saveexec_b32 s3, s2
	s_cbranch_execz .LBB222_66
; %bb.59:                               ;   in Loop: Header=BB222_10 Depth=1
	v_bfrev_b32_e32 v83, 1
	v_mov_b32_e32 v84, 0
	v_cmp_ne_u16_sdwa s2, v1, v53 src0_sel:BYTE_0 src1_sel:DWORD
	s_and_saveexec_b32 s40, s2
	s_cbranch_execz .LBB222_65
; %bb.60:                               ;   in Loop: Header=BB222_10 Depth=1
	v_mov_b32_e32 v83, 0x7f800001
	v_and_b32_e32 v3, 0x7f, v1
	v_mov_b32_e32 v84, 0
	s_mov_b32 s41, exec_lo
	v_cmpx_ne_u32_e32 0x7f, v3
	s_cbranch_execz .LBB222_64
; %bb.61:                               ;   in Loop: Header=BB222_10 Depth=1
	v_and_b32_e32 v59, 7, v1
	v_lshrrev_b32_e32 v2, 3, v3
	s_mov_b32 s42, exec_lo
	v_cmpx_gt_u32_e32 8, v3
; %bb.62:                               ;   in Loop: Header=BB222_10 Depth=1
	v_ffbh_u32_e32 v2, v59
	v_min_u32_e32 v2, 32, v2
	v_subrev_nc_u32_e32 v3, 28, v2
	v_sub_nc_u32_e32 v2, 29, v2
	v_lshlrev_b64 v[3:4], v3, v[59:60]
	v_and_b32_e32 v59, 7, v3
; %bb.63:                               ;   in Loop: Header=BB222_10 Depth=1
	s_or_b32 exec_lo, exec_lo, s42
	v_lshlrev_b32_e32 v3, 24, v1
	v_lshlrev_b32_e32 v4, 20, v59
	v_lshl_add_u32 v2, v2, 23, 0x3c000000
	v_and_b32_e32 v3, 0x80000000, v3
	v_or3_b32 v59, v4, v3, v2
	v_mov_b32_e32 v84, v60
	v_mov_b32_e32 v83, v59
.LBB222_64:                             ;   in Loop: Header=BB222_10 Depth=1
	s_or_b32 exec_lo, exec_lo, s41
.LBB222_65:                             ;   in Loop: Header=BB222_10 Depth=1
	s_or_b32 exec_lo, exec_lo, s40
.LBB222_66:                             ;   in Loop: Header=BB222_10 Depth=1
	s_or_b32 exec_lo, exec_lo, s3
	v_cmp_ne_u16_sdwa s2, v1, v60 src0_sel:BYTE_1 src1_sel:DWORD
	s_and_saveexec_b32 s3, s2
	s_cbranch_execz .LBB222_74
; %bb.67:                               ;   in Loop: Header=BB222_10 Depth=1
	v_mov_b32_e32 v65, v60
	v_mov_b32_e32 v86, v66
	v_cmp_ne_u16_sdwa s2, v1, v53 src0_sel:BYTE_1 src1_sel:DWORD
	v_mov_b32_e32 v85, v65
	s_and_saveexec_b32 s40, s2
	s_cbranch_execz .LBB222_73
; %bb.68:                               ;   in Loop: Header=BB222_10 Depth=1
	v_and_b32_sdwa v2, v54, v1 dst_sel:DWORD dst_unused:UNUSED_PAD src0_sel:DWORD src1_sel:BYTE_1
	v_mov_b32_e32 v41, v60
	v_mov_b32_e32 v86, v42
	s_mov_b32 s41, exec_lo
	v_and_b32_e32 v3, 0x7f, v2
	v_mov_b32_e32 v85, v41
	v_cmpx_ne_u32_e32 0x7f, v3
	s_cbranch_execz .LBB222_72
; %bb.69:                               ;   in Loop: Header=BB222_10 Depth=1
	v_and_b32_e32 v59, 7, v2
	v_lshrrev_b32_e32 v2, 3, v3
	s_mov_b32 s42, exec_lo
	v_cmpx_gt_u32_e32 8, v3
; %bb.70:                               ;   in Loop: Header=BB222_10 Depth=1
	v_ffbh_u32_e32 v2, v59
	v_min_u32_e32 v2, 32, v2
	v_subrev_nc_u32_e32 v3, 28, v2
	v_sub_nc_u32_e32 v2, 29, v2
	v_lshlrev_b64 v[3:4], v3, v[59:60]
	v_and_b32_e32 v59, 7, v3
; %bb.71:                               ;   in Loop: Header=BB222_10 Depth=1
	s_or_b32 exec_lo, exec_lo, s42
	v_lshlrev_b32_e32 v1, 16, v1
	v_lshlrev_b32_e32 v3, 20, v59
	v_lshl_add_u32 v2, v2, 23, 0x3c000000
	v_mov_b32_e32 v85, v60
	v_and_b32_e32 v1, 0x80000000, v1
	v_or3_b32 v86, v3, v1, v2
.LBB222_72:                             ;   in Loop: Header=BB222_10 Depth=1
	s_or_b32 exec_lo, exec_lo, s41
.LBB222_73:                             ;   in Loop: Header=BB222_10 Depth=1
	s_or_b32 exec_lo, exec_lo, s40
.LBB222_74:                             ;   in Loop: Header=BB222_10 Depth=1
	s_or_b32 exec_lo, exec_lo, s3
	global_load_ushort v2, v[77:78], off offset:256
	v_mov_b32_e32 v89, 0
	v_mov_b32_e32 v87, 0
	;; [unrolled: 1-line block ×4, first 2 shown]
	s_waitcnt vmcnt(0)
	v_and_b32_e32 v1, 0xffff, v2
	v_cmp_ne_u16_sdwa s2, v2, v60 src0_sel:BYTE_0 src1_sel:DWORD
	s_and_saveexec_b32 s3, s2
	s_cbranch_execz .LBB222_82
; %bb.75:                               ;   in Loop: Header=BB222_10 Depth=1
	v_bfrev_b32_e32 v87, 1
	v_mov_b32_e32 v88, 0
	v_cmp_ne_u16_sdwa s2, v1, v53 src0_sel:BYTE_0 src1_sel:DWORD
	s_and_saveexec_b32 s40, s2
	s_cbranch_execz .LBB222_81
; %bb.76:                               ;   in Loop: Header=BB222_10 Depth=1
	v_mov_b32_e32 v87, 0x7f800001
	v_and_b32_e32 v3, 0x7f, v1
	v_mov_b32_e32 v88, 0
	s_mov_b32 s41, exec_lo
	v_cmpx_ne_u32_e32 0x7f, v3
	s_cbranch_execz .LBB222_80
; %bb.77:                               ;   in Loop: Header=BB222_10 Depth=1
	v_and_b32_e32 v59, 7, v1
	v_lshrrev_b32_e32 v2, 3, v3
	s_mov_b32 s42, exec_lo
	v_cmpx_gt_u32_e32 8, v3
; %bb.78:                               ;   in Loop: Header=BB222_10 Depth=1
	v_ffbh_u32_e32 v2, v59
	v_min_u32_e32 v2, 32, v2
	v_subrev_nc_u32_e32 v3, 28, v2
	v_sub_nc_u32_e32 v2, 29, v2
	v_lshlrev_b64 v[3:4], v3, v[59:60]
	v_and_b32_e32 v59, 7, v3
; %bb.79:                               ;   in Loop: Header=BB222_10 Depth=1
	s_or_b32 exec_lo, exec_lo, s42
	v_lshlrev_b32_e32 v3, 24, v1
	v_lshlrev_b32_e32 v4, 20, v59
	v_lshl_add_u32 v2, v2, 23, 0x3c000000
	v_and_b32_e32 v3, 0x80000000, v3
	v_or3_b32 v59, v4, v3, v2
	v_mov_b32_e32 v88, v60
	v_mov_b32_e32 v87, v59
.LBB222_80:                             ;   in Loop: Header=BB222_10 Depth=1
	s_or_b32 exec_lo, exec_lo, s41
.LBB222_81:                             ;   in Loop: Header=BB222_10 Depth=1
	s_or_b32 exec_lo, exec_lo, s40
.LBB222_82:                             ;   in Loop: Header=BB222_10 Depth=1
	s_or_b32 exec_lo, exec_lo, s3
	v_cmp_ne_u16_sdwa s2, v1, v60 src0_sel:BYTE_1 src1_sel:DWORD
	s_and_saveexec_b32 s3, s2
	s_cbranch_execz .LBB222_90
; %bb.83:                               ;   in Loop: Header=BB222_10 Depth=1
	v_mov_b32_e32 v65, v60
	v_mov_b32_e32 v90, v66
	v_cmp_ne_u16_sdwa s2, v1, v53 src0_sel:BYTE_1 src1_sel:DWORD
	v_mov_b32_e32 v89, v65
	s_and_saveexec_b32 s40, s2
	s_cbranch_execz .LBB222_89
; %bb.84:                               ;   in Loop: Header=BB222_10 Depth=1
	v_and_b32_sdwa v2, v54, v1 dst_sel:DWORD dst_unused:UNUSED_PAD src0_sel:DWORD src1_sel:BYTE_1
	v_mov_b32_e32 v41, v60
	v_mov_b32_e32 v90, v42
	s_mov_b32 s41, exec_lo
	v_and_b32_e32 v3, 0x7f, v2
	v_mov_b32_e32 v89, v41
	v_cmpx_ne_u32_e32 0x7f, v3
	s_cbranch_execz .LBB222_88
; %bb.85:                               ;   in Loop: Header=BB222_10 Depth=1
	v_and_b32_e32 v59, 7, v2
	v_lshrrev_b32_e32 v2, 3, v3
	s_mov_b32 s42, exec_lo
	v_cmpx_gt_u32_e32 8, v3
; %bb.86:                               ;   in Loop: Header=BB222_10 Depth=1
	v_ffbh_u32_e32 v2, v59
	v_min_u32_e32 v2, 32, v2
	v_subrev_nc_u32_e32 v3, 28, v2
	v_sub_nc_u32_e32 v2, 29, v2
	v_lshlrev_b64 v[3:4], v3, v[59:60]
	v_and_b32_e32 v59, 7, v3
; %bb.87:                               ;   in Loop: Header=BB222_10 Depth=1
	s_or_b32 exec_lo, exec_lo, s42
	v_lshlrev_b32_e32 v1, 16, v1
	v_lshlrev_b32_e32 v3, 20, v59
	v_lshl_add_u32 v2, v2, 23, 0x3c000000
	v_mov_b32_e32 v89, v60
	v_and_b32_e32 v1, 0x80000000, v1
	v_or3_b32 v90, v3, v1, v2
.LBB222_88:                             ;   in Loop: Header=BB222_10 Depth=1
	s_or_b32 exec_lo, exec_lo, s41
.LBB222_89:                             ;   in Loop: Header=BB222_10 Depth=1
	s_or_b32 exec_lo, exec_lo, s40
.LBB222_90:                             ;   in Loop: Header=BB222_10 Depth=1
	s_or_b32 exec_lo, exec_lo, s3
	global_load_ushort v2, v[77:78], off offset:260
	v_mov_b32_e32 v93, 0
	v_mov_b32_e32 v91, 0
	;; [unrolled: 1-line block ×4, first 2 shown]
	s_waitcnt vmcnt(0)
	v_and_b32_e32 v1, 0xffff, v2
	v_cmp_ne_u16_sdwa s2, v2, v60 src0_sel:BYTE_0 src1_sel:DWORD
	s_and_saveexec_b32 s3, s2
	s_cbranch_execz .LBB222_98
; %bb.91:                               ;   in Loop: Header=BB222_10 Depth=1
	v_bfrev_b32_e32 v91, 1
	v_mov_b32_e32 v92, 0
	v_cmp_ne_u16_sdwa s2, v1, v53 src0_sel:BYTE_0 src1_sel:DWORD
	s_and_saveexec_b32 s40, s2
	s_cbranch_execz .LBB222_97
; %bb.92:                               ;   in Loop: Header=BB222_10 Depth=1
	v_mov_b32_e32 v91, 0x7f800001
	v_and_b32_e32 v3, 0x7f, v1
	v_mov_b32_e32 v92, 0
	s_mov_b32 s41, exec_lo
	v_cmpx_ne_u32_e32 0x7f, v3
	s_cbranch_execz .LBB222_96
; %bb.93:                               ;   in Loop: Header=BB222_10 Depth=1
	v_and_b32_e32 v59, 7, v1
	v_lshrrev_b32_e32 v2, 3, v3
	s_mov_b32 s42, exec_lo
	v_cmpx_gt_u32_e32 8, v3
; %bb.94:                               ;   in Loop: Header=BB222_10 Depth=1
	v_ffbh_u32_e32 v2, v59
	v_min_u32_e32 v2, 32, v2
	v_subrev_nc_u32_e32 v3, 28, v2
	v_sub_nc_u32_e32 v2, 29, v2
	v_lshlrev_b64 v[3:4], v3, v[59:60]
	v_and_b32_e32 v59, 7, v3
; %bb.95:                               ;   in Loop: Header=BB222_10 Depth=1
	s_or_b32 exec_lo, exec_lo, s42
	v_lshlrev_b32_e32 v3, 24, v1
	v_lshlrev_b32_e32 v4, 20, v59
	v_lshl_add_u32 v2, v2, 23, 0x3c000000
	v_and_b32_e32 v3, 0x80000000, v3
	v_or3_b32 v59, v4, v3, v2
	v_mov_b32_e32 v92, v60
	v_mov_b32_e32 v91, v59
.LBB222_96:                             ;   in Loop: Header=BB222_10 Depth=1
	s_or_b32 exec_lo, exec_lo, s41
.LBB222_97:                             ;   in Loop: Header=BB222_10 Depth=1
	s_or_b32 exec_lo, exec_lo, s40
.LBB222_98:                             ;   in Loop: Header=BB222_10 Depth=1
	s_or_b32 exec_lo, exec_lo, s3
	v_cmp_ne_u16_sdwa s2, v1, v60 src0_sel:BYTE_1 src1_sel:DWORD
	s_and_saveexec_b32 s3, s2
	s_cbranch_execz .LBB222_106
; %bb.99:                               ;   in Loop: Header=BB222_10 Depth=1
	v_mov_b32_e32 v65, v60
	v_mov_b32_e32 v94, v66
	v_cmp_ne_u16_sdwa s2, v1, v53 src0_sel:BYTE_1 src1_sel:DWORD
	v_mov_b32_e32 v93, v65
	s_and_saveexec_b32 s40, s2
	s_cbranch_execz .LBB222_105
; %bb.100:                              ;   in Loop: Header=BB222_10 Depth=1
	v_and_b32_sdwa v2, v54, v1 dst_sel:DWORD dst_unused:UNUSED_PAD src0_sel:DWORD src1_sel:BYTE_1
	v_mov_b32_e32 v41, v60
	v_mov_b32_e32 v94, v42
	s_mov_b32 s41, exec_lo
	v_and_b32_e32 v3, 0x7f, v2
	v_mov_b32_e32 v93, v41
	v_cmpx_ne_u32_e32 0x7f, v3
	s_cbranch_execz .LBB222_104
; %bb.101:                              ;   in Loop: Header=BB222_10 Depth=1
	v_and_b32_e32 v59, 7, v2
	v_lshrrev_b32_e32 v2, 3, v3
	s_mov_b32 s42, exec_lo
	v_cmpx_gt_u32_e32 8, v3
; %bb.102:                              ;   in Loop: Header=BB222_10 Depth=1
	v_ffbh_u32_e32 v2, v59
	v_min_u32_e32 v2, 32, v2
	v_subrev_nc_u32_e32 v3, 28, v2
	v_sub_nc_u32_e32 v2, 29, v2
	v_lshlrev_b64 v[3:4], v3, v[59:60]
	v_and_b32_e32 v59, 7, v3
; %bb.103:                              ;   in Loop: Header=BB222_10 Depth=1
	s_or_b32 exec_lo, exec_lo, s42
	v_lshlrev_b32_e32 v1, 16, v1
	v_lshlrev_b32_e32 v3, 20, v59
	v_lshl_add_u32 v2, v2, 23, 0x3c000000
	v_mov_b32_e32 v93, v60
	v_and_b32_e32 v1, 0x80000000, v1
	v_or3_b32 v94, v3, v1, v2
.LBB222_104:                            ;   in Loop: Header=BB222_10 Depth=1
	s_or_b32 exec_lo, exec_lo, s41
.LBB222_105:                            ;   in Loop: Header=BB222_10 Depth=1
	s_or_b32 exec_lo, exec_lo, s40
.LBB222_106:                            ;   in Loop: Header=BB222_10 Depth=1
	s_or_b32 exec_lo, exec_lo, s3
	global_load_ushort v2, v[77:78], off offset:264
	v_mov_b32_e32 v97, 0
	v_mov_b32_e32 v95, 0
	;; [unrolled: 1-line block ×4, first 2 shown]
	s_waitcnt vmcnt(0)
	v_and_b32_e32 v1, 0xffff, v2
	v_cmp_ne_u16_sdwa s2, v2, v60 src0_sel:BYTE_0 src1_sel:DWORD
	s_and_saveexec_b32 s3, s2
	s_cbranch_execz .LBB222_114
; %bb.107:                              ;   in Loop: Header=BB222_10 Depth=1
	v_bfrev_b32_e32 v95, 1
	v_mov_b32_e32 v96, 0
	v_cmp_ne_u16_sdwa s2, v1, v53 src0_sel:BYTE_0 src1_sel:DWORD
	s_and_saveexec_b32 s40, s2
	s_cbranch_execz .LBB222_113
; %bb.108:                              ;   in Loop: Header=BB222_10 Depth=1
	v_mov_b32_e32 v95, 0x7f800001
	v_and_b32_e32 v3, 0x7f, v1
	v_mov_b32_e32 v96, 0
	s_mov_b32 s41, exec_lo
	v_cmpx_ne_u32_e32 0x7f, v3
	s_cbranch_execz .LBB222_112
; %bb.109:                              ;   in Loop: Header=BB222_10 Depth=1
	v_and_b32_e32 v59, 7, v1
	v_lshrrev_b32_e32 v2, 3, v3
	s_mov_b32 s42, exec_lo
	v_cmpx_gt_u32_e32 8, v3
; %bb.110:                              ;   in Loop: Header=BB222_10 Depth=1
	v_ffbh_u32_e32 v2, v59
	v_min_u32_e32 v2, 32, v2
	v_subrev_nc_u32_e32 v3, 28, v2
	v_sub_nc_u32_e32 v2, 29, v2
	v_lshlrev_b64 v[3:4], v3, v[59:60]
	v_and_b32_e32 v59, 7, v3
; %bb.111:                              ;   in Loop: Header=BB222_10 Depth=1
	s_or_b32 exec_lo, exec_lo, s42
	v_lshlrev_b32_e32 v3, 24, v1
	v_lshlrev_b32_e32 v4, 20, v59
	v_lshl_add_u32 v2, v2, 23, 0x3c000000
	v_and_b32_e32 v3, 0x80000000, v3
	v_or3_b32 v59, v4, v3, v2
	v_mov_b32_e32 v96, v60
	v_mov_b32_e32 v95, v59
.LBB222_112:                            ;   in Loop: Header=BB222_10 Depth=1
	s_or_b32 exec_lo, exec_lo, s41
.LBB222_113:                            ;   in Loop: Header=BB222_10 Depth=1
	s_or_b32 exec_lo, exec_lo, s40
.LBB222_114:                            ;   in Loop: Header=BB222_10 Depth=1
	s_or_b32 exec_lo, exec_lo, s3
	v_cmp_ne_u16_sdwa s2, v1, v60 src0_sel:BYTE_1 src1_sel:DWORD
	s_and_saveexec_b32 s3, s2
	s_cbranch_execz .LBB222_122
; %bb.115:                              ;   in Loop: Header=BB222_10 Depth=1
	v_mov_b32_e32 v65, v60
	v_mov_b32_e32 v98, v66
	v_cmp_ne_u16_sdwa s2, v1, v53 src0_sel:BYTE_1 src1_sel:DWORD
	v_mov_b32_e32 v97, v65
	s_and_saveexec_b32 s40, s2
	s_cbranch_execz .LBB222_121
; %bb.116:                              ;   in Loop: Header=BB222_10 Depth=1
	v_and_b32_sdwa v2, v54, v1 dst_sel:DWORD dst_unused:UNUSED_PAD src0_sel:DWORD src1_sel:BYTE_1
	v_mov_b32_e32 v41, v60
	v_mov_b32_e32 v98, v42
	s_mov_b32 s41, exec_lo
	v_and_b32_e32 v3, 0x7f, v2
	v_mov_b32_e32 v97, v41
	v_cmpx_ne_u32_e32 0x7f, v3
	s_cbranch_execz .LBB222_120
; %bb.117:                              ;   in Loop: Header=BB222_10 Depth=1
	v_and_b32_e32 v59, 7, v2
	v_lshrrev_b32_e32 v2, 3, v3
	s_mov_b32 s42, exec_lo
	v_cmpx_gt_u32_e32 8, v3
; %bb.118:                              ;   in Loop: Header=BB222_10 Depth=1
	v_ffbh_u32_e32 v2, v59
	v_min_u32_e32 v2, 32, v2
	v_subrev_nc_u32_e32 v3, 28, v2
	v_sub_nc_u32_e32 v2, 29, v2
	v_lshlrev_b64 v[3:4], v3, v[59:60]
	v_and_b32_e32 v59, 7, v3
; %bb.119:                              ;   in Loop: Header=BB222_10 Depth=1
	s_or_b32 exec_lo, exec_lo, s42
	v_lshlrev_b32_e32 v1, 16, v1
	v_lshlrev_b32_e32 v3, 20, v59
	v_lshl_add_u32 v2, v2, 23, 0x3c000000
	v_mov_b32_e32 v97, v60
	v_and_b32_e32 v1, 0x80000000, v1
	v_or3_b32 v98, v3, v1, v2
.LBB222_120:                            ;   in Loop: Header=BB222_10 Depth=1
	s_or_b32 exec_lo, exec_lo, s41
.LBB222_121:                            ;   in Loop: Header=BB222_10 Depth=1
	s_or_b32 exec_lo, exec_lo, s40
.LBB222_122:                            ;   in Loop: Header=BB222_10 Depth=1
	s_or_b32 exec_lo, exec_lo, s3
	global_load_ushort v2, v[77:78], off offset:268
	v_mov_b32_e32 v101, 0
	v_mov_b32_e32 v99, 0
	;; [unrolled: 1-line block ×4, first 2 shown]
	s_waitcnt vmcnt(0)
	v_and_b32_e32 v1, 0xffff, v2
	v_cmp_ne_u16_sdwa s2, v2, v60 src0_sel:BYTE_0 src1_sel:DWORD
	s_and_saveexec_b32 s3, s2
	s_cbranch_execz .LBB222_130
; %bb.123:                              ;   in Loop: Header=BB222_10 Depth=1
	v_bfrev_b32_e32 v99, 1
	v_mov_b32_e32 v100, 0
	v_cmp_ne_u16_sdwa s2, v1, v53 src0_sel:BYTE_0 src1_sel:DWORD
	s_and_saveexec_b32 s40, s2
	s_cbranch_execz .LBB222_129
; %bb.124:                              ;   in Loop: Header=BB222_10 Depth=1
	v_mov_b32_e32 v99, 0x7f800001
	v_and_b32_e32 v3, 0x7f, v1
	v_mov_b32_e32 v100, 0
	s_mov_b32 s41, exec_lo
	v_cmpx_ne_u32_e32 0x7f, v3
	s_cbranch_execz .LBB222_128
; %bb.125:                              ;   in Loop: Header=BB222_10 Depth=1
	v_and_b32_e32 v59, 7, v1
	v_lshrrev_b32_e32 v2, 3, v3
	s_mov_b32 s42, exec_lo
	v_cmpx_gt_u32_e32 8, v3
; %bb.126:                              ;   in Loop: Header=BB222_10 Depth=1
	v_ffbh_u32_e32 v2, v59
	v_min_u32_e32 v2, 32, v2
	v_subrev_nc_u32_e32 v3, 28, v2
	v_sub_nc_u32_e32 v2, 29, v2
	v_lshlrev_b64 v[3:4], v3, v[59:60]
	v_and_b32_e32 v59, 7, v3
; %bb.127:                              ;   in Loop: Header=BB222_10 Depth=1
	s_or_b32 exec_lo, exec_lo, s42
	v_lshlrev_b32_e32 v3, 24, v1
	v_lshlrev_b32_e32 v4, 20, v59
	v_lshl_add_u32 v2, v2, 23, 0x3c000000
	v_and_b32_e32 v3, 0x80000000, v3
	v_or3_b32 v59, v4, v3, v2
	v_mov_b32_e32 v100, v60
	v_mov_b32_e32 v99, v59
.LBB222_128:                            ;   in Loop: Header=BB222_10 Depth=1
	s_or_b32 exec_lo, exec_lo, s41
.LBB222_129:                            ;   in Loop: Header=BB222_10 Depth=1
	s_or_b32 exec_lo, exec_lo, s40
.LBB222_130:                            ;   in Loop: Header=BB222_10 Depth=1
	s_or_b32 exec_lo, exec_lo, s3
	v_cmp_ne_u16_sdwa s2, v1, v60 src0_sel:BYTE_1 src1_sel:DWORD
	s_and_saveexec_b32 s3, s2
	s_cbranch_execz .LBB222_138
; %bb.131:                              ;   in Loop: Header=BB222_10 Depth=1
	v_mov_b32_e32 v65, v60
	v_mov_b32_e32 v102, v66
	v_cmp_ne_u16_sdwa s2, v1, v53 src0_sel:BYTE_1 src1_sel:DWORD
	v_mov_b32_e32 v101, v65
	s_and_saveexec_b32 s40, s2
	s_cbranch_execz .LBB222_137
; %bb.132:                              ;   in Loop: Header=BB222_10 Depth=1
	v_and_b32_sdwa v2, v54, v1 dst_sel:DWORD dst_unused:UNUSED_PAD src0_sel:DWORD src1_sel:BYTE_1
	v_mov_b32_e32 v41, v60
	v_mov_b32_e32 v102, v42
	s_mov_b32 s41, exec_lo
	v_and_b32_e32 v3, 0x7f, v2
	v_mov_b32_e32 v101, v41
	v_cmpx_ne_u32_e32 0x7f, v3
	s_cbranch_execz .LBB222_136
; %bb.133:                              ;   in Loop: Header=BB222_10 Depth=1
	v_and_b32_e32 v59, 7, v2
	v_lshrrev_b32_e32 v2, 3, v3
	s_mov_b32 s42, exec_lo
	v_cmpx_gt_u32_e32 8, v3
; %bb.134:                              ;   in Loop: Header=BB222_10 Depth=1
	v_ffbh_u32_e32 v2, v59
	v_min_u32_e32 v2, 32, v2
	v_subrev_nc_u32_e32 v3, 28, v2
	v_sub_nc_u32_e32 v2, 29, v2
	v_lshlrev_b64 v[3:4], v3, v[59:60]
	v_and_b32_e32 v59, 7, v3
; %bb.135:                              ;   in Loop: Header=BB222_10 Depth=1
	s_or_b32 exec_lo, exec_lo, s42
	v_lshlrev_b32_e32 v1, 16, v1
	v_lshlrev_b32_e32 v3, 20, v59
	v_lshl_add_u32 v2, v2, 23, 0x3c000000
	v_mov_b32_e32 v101, v60
	v_and_b32_e32 v1, 0x80000000, v1
	v_or3_b32 v102, v3, v1, v2
.LBB222_136:                            ;   in Loop: Header=BB222_10 Depth=1
	s_or_b32 exec_lo, exec_lo, s41
.LBB222_137:                            ;   in Loop: Header=BB222_10 Depth=1
	s_or_b32 exec_lo, exec_lo, s40
.LBB222_138:                            ;   in Loop: Header=BB222_10 Depth=1
	s_or_b32 exec_lo, exec_lo, s3
	global_load_ushort v2, v[77:78], off offset:512
	v_mov_b32_e32 v105, 0
	v_mov_b32_e32 v103, 0
	;; [unrolled: 1-line block ×4, first 2 shown]
	s_waitcnt vmcnt(0)
	v_and_b32_e32 v1, 0xffff, v2
	v_cmp_ne_u16_sdwa s2, v2, v60 src0_sel:BYTE_0 src1_sel:DWORD
	s_and_saveexec_b32 s3, s2
	s_cbranch_execz .LBB222_146
; %bb.139:                              ;   in Loop: Header=BB222_10 Depth=1
	v_bfrev_b32_e32 v103, 1
	v_mov_b32_e32 v104, 0
	v_cmp_ne_u16_sdwa s2, v1, v53 src0_sel:BYTE_0 src1_sel:DWORD
	s_and_saveexec_b32 s40, s2
	s_cbranch_execz .LBB222_145
; %bb.140:                              ;   in Loop: Header=BB222_10 Depth=1
	v_mov_b32_e32 v103, 0x7f800001
	v_and_b32_e32 v3, 0x7f, v1
	v_mov_b32_e32 v104, 0
	s_mov_b32 s41, exec_lo
	v_cmpx_ne_u32_e32 0x7f, v3
	s_cbranch_execz .LBB222_144
; %bb.141:                              ;   in Loop: Header=BB222_10 Depth=1
	v_and_b32_e32 v59, 7, v1
	v_lshrrev_b32_e32 v2, 3, v3
	s_mov_b32 s42, exec_lo
	v_cmpx_gt_u32_e32 8, v3
; %bb.142:                              ;   in Loop: Header=BB222_10 Depth=1
	v_ffbh_u32_e32 v2, v59
	v_min_u32_e32 v2, 32, v2
	v_subrev_nc_u32_e32 v3, 28, v2
	v_sub_nc_u32_e32 v2, 29, v2
	v_lshlrev_b64 v[3:4], v3, v[59:60]
	v_and_b32_e32 v59, 7, v3
; %bb.143:                              ;   in Loop: Header=BB222_10 Depth=1
	s_or_b32 exec_lo, exec_lo, s42
	v_lshlrev_b32_e32 v3, 24, v1
	v_lshlrev_b32_e32 v4, 20, v59
	v_lshl_add_u32 v2, v2, 23, 0x3c000000
	v_and_b32_e32 v3, 0x80000000, v3
	v_or3_b32 v59, v4, v3, v2
	v_mov_b32_e32 v104, v60
	v_mov_b32_e32 v103, v59
.LBB222_144:                            ;   in Loop: Header=BB222_10 Depth=1
	s_or_b32 exec_lo, exec_lo, s41
.LBB222_145:                            ;   in Loop: Header=BB222_10 Depth=1
	s_or_b32 exec_lo, exec_lo, s40
.LBB222_146:                            ;   in Loop: Header=BB222_10 Depth=1
	s_or_b32 exec_lo, exec_lo, s3
	v_cmp_ne_u16_sdwa s2, v1, v60 src0_sel:BYTE_1 src1_sel:DWORD
	s_and_saveexec_b32 s3, s2
	s_cbranch_execz .LBB222_154
; %bb.147:                              ;   in Loop: Header=BB222_10 Depth=1
	v_mov_b32_e32 v65, v60
	v_mov_b32_e32 v106, v66
	v_cmp_ne_u16_sdwa s2, v1, v53 src0_sel:BYTE_1 src1_sel:DWORD
	v_mov_b32_e32 v105, v65
	s_and_saveexec_b32 s40, s2
	s_cbranch_execz .LBB222_153
; %bb.148:                              ;   in Loop: Header=BB222_10 Depth=1
	v_and_b32_sdwa v2, v54, v1 dst_sel:DWORD dst_unused:UNUSED_PAD src0_sel:DWORD src1_sel:BYTE_1
	v_mov_b32_e32 v41, v60
	v_mov_b32_e32 v106, v42
	s_mov_b32 s41, exec_lo
	v_and_b32_e32 v3, 0x7f, v2
	v_mov_b32_e32 v105, v41
	v_cmpx_ne_u32_e32 0x7f, v3
	s_cbranch_execz .LBB222_152
; %bb.149:                              ;   in Loop: Header=BB222_10 Depth=1
	v_and_b32_e32 v59, 7, v2
	v_lshrrev_b32_e32 v2, 3, v3
	s_mov_b32 s42, exec_lo
	v_cmpx_gt_u32_e32 8, v3
; %bb.150:                              ;   in Loop: Header=BB222_10 Depth=1
	v_ffbh_u32_e32 v2, v59
	v_min_u32_e32 v2, 32, v2
	v_subrev_nc_u32_e32 v3, 28, v2
	v_sub_nc_u32_e32 v2, 29, v2
	v_lshlrev_b64 v[3:4], v3, v[59:60]
	v_and_b32_e32 v59, 7, v3
; %bb.151:                              ;   in Loop: Header=BB222_10 Depth=1
	s_or_b32 exec_lo, exec_lo, s42
	v_lshlrev_b32_e32 v1, 16, v1
	v_lshlrev_b32_e32 v3, 20, v59
	v_lshl_add_u32 v2, v2, 23, 0x3c000000
	v_mov_b32_e32 v105, v60
	v_and_b32_e32 v1, 0x80000000, v1
	v_or3_b32 v106, v3, v1, v2
.LBB222_152:                            ;   in Loop: Header=BB222_10 Depth=1
	s_or_b32 exec_lo, exec_lo, s41
.LBB222_153:                            ;   in Loop: Header=BB222_10 Depth=1
	s_or_b32 exec_lo, exec_lo, s40
.LBB222_154:                            ;   in Loop: Header=BB222_10 Depth=1
	s_or_b32 exec_lo, exec_lo, s3
	global_load_ushort v2, v[77:78], off offset:516
	v_mov_b32_e32 v109, 0
	v_mov_b32_e32 v107, 0
	;; [unrolled: 1-line block ×4, first 2 shown]
	s_waitcnt vmcnt(0)
	v_and_b32_e32 v1, 0xffff, v2
	v_cmp_ne_u16_sdwa s2, v2, v60 src0_sel:BYTE_0 src1_sel:DWORD
	s_and_saveexec_b32 s3, s2
	s_cbranch_execz .LBB222_162
; %bb.155:                              ;   in Loop: Header=BB222_10 Depth=1
	v_bfrev_b32_e32 v107, 1
	v_mov_b32_e32 v108, 0
	v_cmp_ne_u16_sdwa s2, v1, v53 src0_sel:BYTE_0 src1_sel:DWORD
	s_and_saveexec_b32 s40, s2
	s_cbranch_execz .LBB222_161
; %bb.156:                              ;   in Loop: Header=BB222_10 Depth=1
	v_mov_b32_e32 v107, 0x7f800001
	v_and_b32_e32 v3, 0x7f, v1
	v_mov_b32_e32 v108, 0
	s_mov_b32 s41, exec_lo
	v_cmpx_ne_u32_e32 0x7f, v3
	s_cbranch_execz .LBB222_160
; %bb.157:                              ;   in Loop: Header=BB222_10 Depth=1
	v_and_b32_e32 v59, 7, v1
	v_lshrrev_b32_e32 v2, 3, v3
	s_mov_b32 s42, exec_lo
	v_cmpx_gt_u32_e32 8, v3
; %bb.158:                              ;   in Loop: Header=BB222_10 Depth=1
	v_ffbh_u32_e32 v2, v59
	v_min_u32_e32 v2, 32, v2
	v_subrev_nc_u32_e32 v3, 28, v2
	v_sub_nc_u32_e32 v2, 29, v2
	v_lshlrev_b64 v[3:4], v3, v[59:60]
	v_and_b32_e32 v59, 7, v3
; %bb.159:                              ;   in Loop: Header=BB222_10 Depth=1
	s_or_b32 exec_lo, exec_lo, s42
	v_lshlrev_b32_e32 v3, 24, v1
	v_lshlrev_b32_e32 v4, 20, v59
	v_lshl_add_u32 v2, v2, 23, 0x3c000000
	v_and_b32_e32 v3, 0x80000000, v3
	v_or3_b32 v59, v4, v3, v2
	v_mov_b32_e32 v108, v60
	v_mov_b32_e32 v107, v59
.LBB222_160:                            ;   in Loop: Header=BB222_10 Depth=1
	s_or_b32 exec_lo, exec_lo, s41
.LBB222_161:                            ;   in Loop: Header=BB222_10 Depth=1
	s_or_b32 exec_lo, exec_lo, s40
.LBB222_162:                            ;   in Loop: Header=BB222_10 Depth=1
	s_or_b32 exec_lo, exec_lo, s3
	v_cmp_ne_u16_sdwa s2, v1, v60 src0_sel:BYTE_1 src1_sel:DWORD
	s_and_saveexec_b32 s3, s2
	s_cbranch_execz .LBB222_170
; %bb.163:                              ;   in Loop: Header=BB222_10 Depth=1
	v_mov_b32_e32 v65, v60
	v_mov_b32_e32 v110, v66
	v_cmp_ne_u16_sdwa s2, v1, v53 src0_sel:BYTE_1 src1_sel:DWORD
	v_mov_b32_e32 v109, v65
	s_and_saveexec_b32 s40, s2
	s_cbranch_execz .LBB222_169
; %bb.164:                              ;   in Loop: Header=BB222_10 Depth=1
	v_and_b32_sdwa v2, v54, v1 dst_sel:DWORD dst_unused:UNUSED_PAD src0_sel:DWORD src1_sel:BYTE_1
	v_mov_b32_e32 v41, v60
	v_mov_b32_e32 v110, v42
	s_mov_b32 s41, exec_lo
	v_and_b32_e32 v3, 0x7f, v2
	v_mov_b32_e32 v109, v41
	v_cmpx_ne_u32_e32 0x7f, v3
	s_cbranch_execz .LBB222_168
; %bb.165:                              ;   in Loop: Header=BB222_10 Depth=1
	v_and_b32_e32 v59, 7, v2
	v_lshrrev_b32_e32 v2, 3, v3
	s_mov_b32 s42, exec_lo
	v_cmpx_gt_u32_e32 8, v3
; %bb.166:                              ;   in Loop: Header=BB222_10 Depth=1
	v_ffbh_u32_e32 v2, v59
	v_min_u32_e32 v2, 32, v2
	v_subrev_nc_u32_e32 v3, 28, v2
	v_sub_nc_u32_e32 v2, 29, v2
	v_lshlrev_b64 v[3:4], v3, v[59:60]
	v_and_b32_e32 v59, 7, v3
; %bb.167:                              ;   in Loop: Header=BB222_10 Depth=1
	s_or_b32 exec_lo, exec_lo, s42
	v_lshlrev_b32_e32 v1, 16, v1
	v_lshlrev_b32_e32 v3, 20, v59
	v_lshl_add_u32 v2, v2, 23, 0x3c000000
	v_mov_b32_e32 v109, v60
	v_and_b32_e32 v1, 0x80000000, v1
	v_or3_b32 v110, v3, v1, v2
.LBB222_168:                            ;   in Loop: Header=BB222_10 Depth=1
	s_or_b32 exec_lo, exec_lo, s41
.LBB222_169:                            ;   in Loop: Header=BB222_10 Depth=1
	s_or_b32 exec_lo, exec_lo, s40
.LBB222_170:                            ;   in Loop: Header=BB222_10 Depth=1
	s_or_b32 exec_lo, exec_lo, s3
	global_load_ushort v2, v[77:78], off offset:520
	v_mov_b32_e32 v113, 0
	v_mov_b32_e32 v111, 0
	;; [unrolled: 1-line block ×4, first 2 shown]
	s_waitcnt vmcnt(0)
	v_and_b32_e32 v1, 0xffff, v2
	v_cmp_ne_u16_sdwa s2, v2, v60 src0_sel:BYTE_0 src1_sel:DWORD
	s_and_saveexec_b32 s3, s2
	s_cbranch_execz .LBB222_178
; %bb.171:                              ;   in Loop: Header=BB222_10 Depth=1
	v_bfrev_b32_e32 v111, 1
	v_mov_b32_e32 v112, 0
	v_cmp_ne_u16_sdwa s2, v1, v53 src0_sel:BYTE_0 src1_sel:DWORD
	s_and_saveexec_b32 s40, s2
	s_cbranch_execz .LBB222_177
; %bb.172:                              ;   in Loop: Header=BB222_10 Depth=1
	v_mov_b32_e32 v111, 0x7f800001
	v_and_b32_e32 v3, 0x7f, v1
	v_mov_b32_e32 v112, 0
	s_mov_b32 s41, exec_lo
	v_cmpx_ne_u32_e32 0x7f, v3
	s_cbranch_execz .LBB222_176
; %bb.173:                              ;   in Loop: Header=BB222_10 Depth=1
	v_and_b32_e32 v59, 7, v1
	v_lshrrev_b32_e32 v2, 3, v3
	s_mov_b32 s42, exec_lo
	v_cmpx_gt_u32_e32 8, v3
; %bb.174:                              ;   in Loop: Header=BB222_10 Depth=1
	v_ffbh_u32_e32 v2, v59
	v_min_u32_e32 v2, 32, v2
	v_subrev_nc_u32_e32 v3, 28, v2
	v_sub_nc_u32_e32 v2, 29, v2
	v_lshlrev_b64 v[3:4], v3, v[59:60]
	v_and_b32_e32 v59, 7, v3
; %bb.175:                              ;   in Loop: Header=BB222_10 Depth=1
	s_or_b32 exec_lo, exec_lo, s42
	v_lshlrev_b32_e32 v3, 24, v1
	v_lshlrev_b32_e32 v4, 20, v59
	v_lshl_add_u32 v2, v2, 23, 0x3c000000
	v_and_b32_e32 v3, 0x80000000, v3
	v_or3_b32 v59, v4, v3, v2
	v_mov_b32_e32 v112, v60
	v_mov_b32_e32 v111, v59
.LBB222_176:                            ;   in Loop: Header=BB222_10 Depth=1
	s_or_b32 exec_lo, exec_lo, s41
.LBB222_177:                            ;   in Loop: Header=BB222_10 Depth=1
	s_or_b32 exec_lo, exec_lo, s40
.LBB222_178:                            ;   in Loop: Header=BB222_10 Depth=1
	s_or_b32 exec_lo, exec_lo, s3
	v_cmp_ne_u16_sdwa s2, v1, v60 src0_sel:BYTE_1 src1_sel:DWORD
	s_and_saveexec_b32 s3, s2
	s_cbranch_execz .LBB222_186
; %bb.179:                              ;   in Loop: Header=BB222_10 Depth=1
	v_mov_b32_e32 v65, v60
	v_mov_b32_e32 v114, v66
	v_cmp_ne_u16_sdwa s2, v1, v53 src0_sel:BYTE_1 src1_sel:DWORD
	v_mov_b32_e32 v113, v65
	s_and_saveexec_b32 s40, s2
	s_cbranch_execz .LBB222_185
; %bb.180:                              ;   in Loop: Header=BB222_10 Depth=1
	v_and_b32_sdwa v2, v54, v1 dst_sel:DWORD dst_unused:UNUSED_PAD src0_sel:DWORD src1_sel:BYTE_1
	v_mov_b32_e32 v41, v60
	v_mov_b32_e32 v114, v42
	s_mov_b32 s41, exec_lo
	v_and_b32_e32 v3, 0x7f, v2
	v_mov_b32_e32 v113, v41
	v_cmpx_ne_u32_e32 0x7f, v3
	s_cbranch_execz .LBB222_184
; %bb.181:                              ;   in Loop: Header=BB222_10 Depth=1
	v_and_b32_e32 v59, 7, v2
	v_lshrrev_b32_e32 v2, 3, v3
	s_mov_b32 s42, exec_lo
	v_cmpx_gt_u32_e32 8, v3
; %bb.182:                              ;   in Loop: Header=BB222_10 Depth=1
	v_ffbh_u32_e32 v2, v59
	v_min_u32_e32 v2, 32, v2
	v_subrev_nc_u32_e32 v3, 28, v2
	v_sub_nc_u32_e32 v2, 29, v2
	v_lshlrev_b64 v[3:4], v3, v[59:60]
	v_and_b32_e32 v59, 7, v3
; %bb.183:                              ;   in Loop: Header=BB222_10 Depth=1
	s_or_b32 exec_lo, exec_lo, s42
	v_lshlrev_b32_e32 v1, 16, v1
	v_lshlrev_b32_e32 v3, 20, v59
	v_lshl_add_u32 v2, v2, 23, 0x3c000000
	v_mov_b32_e32 v113, v60
	v_and_b32_e32 v1, 0x80000000, v1
	v_or3_b32 v114, v3, v1, v2
.LBB222_184:                            ;   in Loop: Header=BB222_10 Depth=1
	s_or_b32 exec_lo, exec_lo, s41
.LBB222_185:                            ;   in Loop: Header=BB222_10 Depth=1
	s_or_b32 exec_lo, exec_lo, s40
.LBB222_186:                            ;   in Loop: Header=BB222_10 Depth=1
	s_or_b32 exec_lo, exec_lo, s3
	global_load_ushort v2, v[77:78], off offset:524
	v_mov_b32_e32 v117, 0
	v_mov_b32_e32 v115, 0
	;; [unrolled: 1-line block ×4, first 2 shown]
	s_waitcnt vmcnt(0)
	v_and_b32_e32 v1, 0xffff, v2
	v_cmp_ne_u16_sdwa s2, v2, v60 src0_sel:BYTE_0 src1_sel:DWORD
	s_and_saveexec_b32 s3, s2
	s_cbranch_execz .LBB222_194
; %bb.187:                              ;   in Loop: Header=BB222_10 Depth=1
	v_bfrev_b32_e32 v115, 1
	v_mov_b32_e32 v116, 0
	v_cmp_ne_u16_sdwa s2, v1, v53 src0_sel:BYTE_0 src1_sel:DWORD
	s_and_saveexec_b32 s40, s2
	s_cbranch_execz .LBB222_193
; %bb.188:                              ;   in Loop: Header=BB222_10 Depth=1
	v_mov_b32_e32 v115, 0x7f800001
	v_and_b32_e32 v3, 0x7f, v1
	v_mov_b32_e32 v116, 0
	s_mov_b32 s41, exec_lo
	v_cmpx_ne_u32_e32 0x7f, v3
	s_cbranch_execz .LBB222_192
; %bb.189:                              ;   in Loop: Header=BB222_10 Depth=1
	v_and_b32_e32 v59, 7, v1
	v_lshrrev_b32_e32 v2, 3, v3
	s_mov_b32 s42, exec_lo
	v_cmpx_gt_u32_e32 8, v3
; %bb.190:                              ;   in Loop: Header=BB222_10 Depth=1
	v_ffbh_u32_e32 v2, v59
	v_min_u32_e32 v2, 32, v2
	v_subrev_nc_u32_e32 v3, 28, v2
	v_sub_nc_u32_e32 v2, 29, v2
	v_lshlrev_b64 v[3:4], v3, v[59:60]
	v_and_b32_e32 v59, 7, v3
; %bb.191:                              ;   in Loop: Header=BB222_10 Depth=1
	s_or_b32 exec_lo, exec_lo, s42
	v_lshlrev_b32_e32 v3, 24, v1
	v_lshlrev_b32_e32 v4, 20, v59
	v_lshl_add_u32 v2, v2, 23, 0x3c000000
	v_and_b32_e32 v3, 0x80000000, v3
	v_or3_b32 v59, v4, v3, v2
	v_mov_b32_e32 v116, v60
	v_mov_b32_e32 v115, v59
.LBB222_192:                            ;   in Loop: Header=BB222_10 Depth=1
	s_or_b32 exec_lo, exec_lo, s41
.LBB222_193:                            ;   in Loop: Header=BB222_10 Depth=1
	s_or_b32 exec_lo, exec_lo, s40
.LBB222_194:                            ;   in Loop: Header=BB222_10 Depth=1
	s_or_b32 exec_lo, exec_lo, s3
	v_cmp_ne_u16_sdwa s2, v1, v60 src0_sel:BYTE_1 src1_sel:DWORD
	s_and_saveexec_b32 s3, s2
	s_cbranch_execz .LBB222_202
; %bb.195:                              ;   in Loop: Header=BB222_10 Depth=1
	v_mov_b32_e32 v65, v60
	v_mov_b32_e32 v118, v66
	v_cmp_ne_u16_sdwa s2, v1, v53 src0_sel:BYTE_1 src1_sel:DWORD
	v_mov_b32_e32 v117, v65
	s_and_saveexec_b32 s40, s2
	s_cbranch_execz .LBB222_201
; %bb.196:                              ;   in Loop: Header=BB222_10 Depth=1
	v_and_b32_sdwa v2, v54, v1 dst_sel:DWORD dst_unused:UNUSED_PAD src0_sel:DWORD src1_sel:BYTE_1
	v_mov_b32_e32 v41, v60
	v_mov_b32_e32 v118, v42
	s_mov_b32 s41, exec_lo
	v_and_b32_e32 v3, 0x7f, v2
	v_mov_b32_e32 v117, v41
	v_cmpx_ne_u32_e32 0x7f, v3
	s_cbranch_execz .LBB222_200
; %bb.197:                              ;   in Loop: Header=BB222_10 Depth=1
	v_and_b32_e32 v59, 7, v2
	v_lshrrev_b32_e32 v2, 3, v3
	s_mov_b32 s42, exec_lo
	v_cmpx_gt_u32_e32 8, v3
; %bb.198:                              ;   in Loop: Header=BB222_10 Depth=1
	v_ffbh_u32_e32 v2, v59
	v_min_u32_e32 v2, 32, v2
	v_subrev_nc_u32_e32 v3, 28, v2
	v_sub_nc_u32_e32 v2, 29, v2
	v_lshlrev_b64 v[3:4], v3, v[59:60]
	v_and_b32_e32 v59, 7, v3
; %bb.199:                              ;   in Loop: Header=BB222_10 Depth=1
	s_or_b32 exec_lo, exec_lo, s42
	v_lshlrev_b32_e32 v1, 16, v1
	v_lshlrev_b32_e32 v3, 20, v59
	v_lshl_add_u32 v2, v2, 23, 0x3c000000
	v_mov_b32_e32 v117, v60
	v_and_b32_e32 v1, 0x80000000, v1
	v_or3_b32 v118, v3, v1, v2
.LBB222_200:                            ;   in Loop: Header=BB222_10 Depth=1
	s_or_b32 exec_lo, exec_lo, s41
.LBB222_201:                            ;   in Loop: Header=BB222_10 Depth=1
	s_or_b32 exec_lo, exec_lo, s40
.LBB222_202:                            ;   in Loop: Header=BB222_10 Depth=1
	s_or_b32 exec_lo, exec_lo, s3
	global_load_ushort v2, v[77:78], off offset:768
	v_mov_b32_e32 v121, 0
	v_mov_b32_e32 v119, 0
	;; [unrolled: 1-line block ×4, first 2 shown]
	s_waitcnt vmcnt(0)
	v_and_b32_e32 v1, 0xffff, v2
	v_cmp_ne_u16_sdwa s2, v2, v60 src0_sel:BYTE_0 src1_sel:DWORD
	s_and_saveexec_b32 s3, s2
	s_cbranch_execz .LBB222_210
; %bb.203:                              ;   in Loop: Header=BB222_10 Depth=1
	v_bfrev_b32_e32 v119, 1
	v_mov_b32_e32 v120, 0
	v_cmp_ne_u16_sdwa s2, v1, v53 src0_sel:BYTE_0 src1_sel:DWORD
	s_and_saveexec_b32 s40, s2
	s_cbranch_execz .LBB222_209
; %bb.204:                              ;   in Loop: Header=BB222_10 Depth=1
	v_mov_b32_e32 v119, 0x7f800001
	v_and_b32_e32 v3, 0x7f, v1
	v_mov_b32_e32 v120, 0
	s_mov_b32 s41, exec_lo
	v_cmpx_ne_u32_e32 0x7f, v3
	s_cbranch_execz .LBB222_208
; %bb.205:                              ;   in Loop: Header=BB222_10 Depth=1
	v_and_b32_e32 v59, 7, v1
	v_lshrrev_b32_e32 v2, 3, v3
	s_mov_b32 s42, exec_lo
	v_cmpx_gt_u32_e32 8, v3
; %bb.206:                              ;   in Loop: Header=BB222_10 Depth=1
	v_ffbh_u32_e32 v2, v59
	v_min_u32_e32 v2, 32, v2
	v_subrev_nc_u32_e32 v3, 28, v2
	v_sub_nc_u32_e32 v2, 29, v2
	v_lshlrev_b64 v[3:4], v3, v[59:60]
	v_and_b32_e32 v59, 7, v3
; %bb.207:                              ;   in Loop: Header=BB222_10 Depth=1
	s_or_b32 exec_lo, exec_lo, s42
	v_lshlrev_b32_e32 v3, 24, v1
	v_lshlrev_b32_e32 v4, 20, v59
	v_lshl_add_u32 v2, v2, 23, 0x3c000000
	v_and_b32_e32 v3, 0x80000000, v3
	v_or3_b32 v59, v4, v3, v2
	v_mov_b32_e32 v120, v60
	v_mov_b32_e32 v119, v59
.LBB222_208:                            ;   in Loop: Header=BB222_10 Depth=1
	s_or_b32 exec_lo, exec_lo, s41
.LBB222_209:                            ;   in Loop: Header=BB222_10 Depth=1
	s_or_b32 exec_lo, exec_lo, s40
.LBB222_210:                            ;   in Loop: Header=BB222_10 Depth=1
	s_or_b32 exec_lo, exec_lo, s3
	v_cmp_ne_u16_sdwa s2, v1, v60 src0_sel:BYTE_1 src1_sel:DWORD
	s_and_saveexec_b32 s3, s2
	s_cbranch_execz .LBB222_218
; %bb.211:                              ;   in Loop: Header=BB222_10 Depth=1
	v_mov_b32_e32 v65, v60
	v_mov_b32_e32 v122, v66
	v_cmp_ne_u16_sdwa s2, v1, v53 src0_sel:BYTE_1 src1_sel:DWORD
	v_mov_b32_e32 v121, v65
	s_and_saveexec_b32 s40, s2
	s_cbranch_execz .LBB222_217
; %bb.212:                              ;   in Loop: Header=BB222_10 Depth=1
	v_and_b32_sdwa v2, v54, v1 dst_sel:DWORD dst_unused:UNUSED_PAD src0_sel:DWORD src1_sel:BYTE_1
	v_mov_b32_e32 v41, v60
	v_mov_b32_e32 v122, v42
	s_mov_b32 s41, exec_lo
	v_and_b32_e32 v3, 0x7f, v2
	v_mov_b32_e32 v121, v41
	v_cmpx_ne_u32_e32 0x7f, v3
	s_cbranch_execz .LBB222_216
; %bb.213:                              ;   in Loop: Header=BB222_10 Depth=1
	v_and_b32_e32 v59, 7, v2
	v_lshrrev_b32_e32 v2, 3, v3
	s_mov_b32 s42, exec_lo
	v_cmpx_gt_u32_e32 8, v3
; %bb.214:                              ;   in Loop: Header=BB222_10 Depth=1
	v_ffbh_u32_e32 v2, v59
	v_min_u32_e32 v2, 32, v2
	v_subrev_nc_u32_e32 v3, 28, v2
	v_sub_nc_u32_e32 v2, 29, v2
	v_lshlrev_b64 v[3:4], v3, v[59:60]
	v_and_b32_e32 v59, 7, v3
; %bb.215:                              ;   in Loop: Header=BB222_10 Depth=1
	s_or_b32 exec_lo, exec_lo, s42
	v_lshlrev_b32_e32 v1, 16, v1
	v_lshlrev_b32_e32 v3, 20, v59
	v_lshl_add_u32 v2, v2, 23, 0x3c000000
	v_mov_b32_e32 v121, v60
	v_and_b32_e32 v1, 0x80000000, v1
	v_or3_b32 v122, v3, v1, v2
.LBB222_216:                            ;   in Loop: Header=BB222_10 Depth=1
	s_or_b32 exec_lo, exec_lo, s41
.LBB222_217:                            ;   in Loop: Header=BB222_10 Depth=1
	s_or_b32 exec_lo, exec_lo, s40
.LBB222_218:                            ;   in Loop: Header=BB222_10 Depth=1
	s_or_b32 exec_lo, exec_lo, s3
	global_load_ushort v2, v[77:78], off offset:772
	v_mov_b32_e32 v125, 0
	v_mov_b32_e32 v123, 0
	;; [unrolled: 1-line block ×4, first 2 shown]
	s_waitcnt vmcnt(0)
	v_and_b32_e32 v1, 0xffff, v2
	v_cmp_ne_u16_sdwa s2, v2, v60 src0_sel:BYTE_0 src1_sel:DWORD
	s_and_saveexec_b32 s3, s2
	s_cbranch_execz .LBB222_226
; %bb.219:                              ;   in Loop: Header=BB222_10 Depth=1
	v_bfrev_b32_e32 v123, 1
	v_mov_b32_e32 v124, 0
	v_cmp_ne_u16_sdwa s2, v1, v53 src0_sel:BYTE_0 src1_sel:DWORD
	s_and_saveexec_b32 s40, s2
	s_cbranch_execz .LBB222_225
; %bb.220:                              ;   in Loop: Header=BB222_10 Depth=1
	v_mov_b32_e32 v123, 0x7f800001
	v_and_b32_e32 v3, 0x7f, v1
	v_mov_b32_e32 v124, 0
	s_mov_b32 s41, exec_lo
	v_cmpx_ne_u32_e32 0x7f, v3
	s_cbranch_execz .LBB222_224
; %bb.221:                              ;   in Loop: Header=BB222_10 Depth=1
	v_and_b32_e32 v59, 7, v1
	v_lshrrev_b32_e32 v2, 3, v3
	s_mov_b32 s42, exec_lo
	v_cmpx_gt_u32_e32 8, v3
; %bb.222:                              ;   in Loop: Header=BB222_10 Depth=1
	v_ffbh_u32_e32 v2, v59
	v_min_u32_e32 v2, 32, v2
	v_subrev_nc_u32_e32 v3, 28, v2
	v_sub_nc_u32_e32 v2, 29, v2
	v_lshlrev_b64 v[3:4], v3, v[59:60]
	v_and_b32_e32 v59, 7, v3
; %bb.223:                              ;   in Loop: Header=BB222_10 Depth=1
	s_or_b32 exec_lo, exec_lo, s42
	v_lshlrev_b32_e32 v3, 24, v1
	v_lshlrev_b32_e32 v4, 20, v59
	v_lshl_add_u32 v2, v2, 23, 0x3c000000
	v_and_b32_e32 v3, 0x80000000, v3
	v_or3_b32 v59, v4, v3, v2
	v_mov_b32_e32 v124, v60
	v_mov_b32_e32 v123, v59
.LBB222_224:                            ;   in Loop: Header=BB222_10 Depth=1
	s_or_b32 exec_lo, exec_lo, s41
.LBB222_225:                            ;   in Loop: Header=BB222_10 Depth=1
	s_or_b32 exec_lo, exec_lo, s40
.LBB222_226:                            ;   in Loop: Header=BB222_10 Depth=1
	s_or_b32 exec_lo, exec_lo, s3
	v_cmp_ne_u16_sdwa s2, v1, v60 src0_sel:BYTE_1 src1_sel:DWORD
	s_and_saveexec_b32 s3, s2
	s_cbranch_execz .LBB222_234
; %bb.227:                              ;   in Loop: Header=BB222_10 Depth=1
	v_mov_b32_e32 v65, v60
	v_mov_b32_e32 v126, v66
	v_cmp_ne_u16_sdwa s2, v1, v53 src0_sel:BYTE_1 src1_sel:DWORD
	v_mov_b32_e32 v125, v65
	s_and_saveexec_b32 s40, s2
	s_cbranch_execz .LBB222_233
; %bb.228:                              ;   in Loop: Header=BB222_10 Depth=1
	v_and_b32_sdwa v2, v54, v1 dst_sel:DWORD dst_unused:UNUSED_PAD src0_sel:DWORD src1_sel:BYTE_1
	v_mov_b32_e32 v41, v60
	v_mov_b32_e32 v126, v42
	s_mov_b32 s41, exec_lo
	v_and_b32_e32 v3, 0x7f, v2
	v_mov_b32_e32 v125, v41
	v_cmpx_ne_u32_e32 0x7f, v3
	s_cbranch_execz .LBB222_232
; %bb.229:                              ;   in Loop: Header=BB222_10 Depth=1
	v_and_b32_e32 v59, 7, v2
	v_lshrrev_b32_e32 v2, 3, v3
	s_mov_b32 s42, exec_lo
	v_cmpx_gt_u32_e32 8, v3
; %bb.230:                              ;   in Loop: Header=BB222_10 Depth=1
	v_ffbh_u32_e32 v2, v59
	v_min_u32_e32 v2, 32, v2
	v_subrev_nc_u32_e32 v3, 28, v2
	v_sub_nc_u32_e32 v2, 29, v2
	v_lshlrev_b64 v[3:4], v3, v[59:60]
	v_and_b32_e32 v59, 7, v3
; %bb.231:                              ;   in Loop: Header=BB222_10 Depth=1
	s_or_b32 exec_lo, exec_lo, s42
	v_lshlrev_b32_e32 v1, 16, v1
	v_lshlrev_b32_e32 v3, 20, v59
	v_lshl_add_u32 v2, v2, 23, 0x3c000000
	v_mov_b32_e32 v125, v60
	v_and_b32_e32 v1, 0x80000000, v1
	v_or3_b32 v126, v3, v1, v2
.LBB222_232:                            ;   in Loop: Header=BB222_10 Depth=1
	s_or_b32 exec_lo, exec_lo, s41
.LBB222_233:                            ;   in Loop: Header=BB222_10 Depth=1
	s_or_b32 exec_lo, exec_lo, s40
.LBB222_234:                            ;   in Loop: Header=BB222_10 Depth=1
	s_or_b32 exec_lo, exec_lo, s3
	global_load_ushort v2, v[77:78], off offset:776
	v_mov_b32_e32 v5, 0
	v_mov_b32_e32 v3, 0
	;; [unrolled: 1-line block ×4, first 2 shown]
	s_waitcnt vmcnt(0)
	v_and_b32_e32 v1, 0xffff, v2
	v_cmp_ne_u16_sdwa s2, v2, v60 src0_sel:BYTE_0 src1_sel:DWORD
	s_and_saveexec_b32 s3, s2
	s_cbranch_execz .LBB222_242
; %bb.235:                              ;   in Loop: Header=BB222_10 Depth=1
	v_bfrev_b32_e32 v3, 1
	v_mov_b32_e32 v4, 0
	v_cmp_ne_u16_sdwa s2, v1, v53 src0_sel:BYTE_0 src1_sel:DWORD
	s_and_saveexec_b32 s40, s2
	s_cbranch_execz .LBB222_241
; %bb.236:                              ;   in Loop: Header=BB222_10 Depth=1
	v_mov_b32_e32 v3, 0x7f800001
	v_and_b32_e32 v7, 0x7f, v1
	v_mov_b32_e32 v4, 0
	s_mov_b32 s41, exec_lo
	v_cmpx_ne_u32_e32 0x7f, v7
	s_cbranch_execz .LBB222_240
; %bb.237:                              ;   in Loop: Header=BB222_10 Depth=1
	v_and_b32_e32 v59, 7, v1
	v_lshrrev_b32_e32 v2, 3, v7
	s_mov_b32 s42, exec_lo
	v_cmpx_gt_u32_e32 8, v7
; %bb.238:                              ;   in Loop: Header=BB222_10 Depth=1
	v_ffbh_u32_e32 v2, v59
	v_min_u32_e32 v2, 32, v2
	v_subrev_nc_u32_e32 v3, 28, v2
	v_sub_nc_u32_e32 v2, 29, v2
	v_lshlrev_b64 v[3:4], v3, v[59:60]
	v_and_b32_e32 v59, 7, v3
; %bb.239:                              ;   in Loop: Header=BB222_10 Depth=1
	s_or_b32 exec_lo, exec_lo, s42
	v_lshlrev_b32_e32 v3, 24, v1
	v_lshlrev_b32_e32 v4, 20, v59
	v_lshl_add_u32 v2, v2, 23, 0x3c000000
	v_and_b32_e32 v3, 0x80000000, v3
	v_or3_b32 v59, v4, v3, v2
	v_mov_b32_e32 v3, v59
	v_mov_b32_e32 v4, v60
.LBB222_240:                            ;   in Loop: Header=BB222_10 Depth=1
	s_or_b32 exec_lo, exec_lo, s41
.LBB222_241:                            ;   in Loop: Header=BB222_10 Depth=1
	s_or_b32 exec_lo, exec_lo, s40
.LBB222_242:                            ;   in Loop: Header=BB222_10 Depth=1
	s_or_b32 exec_lo, exec_lo, s3
	v_cmp_ne_u16_sdwa s2, v1, v60 src0_sel:BYTE_1 src1_sel:DWORD
	s_and_saveexec_b32 s3, s2
	s_cbranch_execz .LBB222_250
; %bb.243:                              ;   in Loop: Header=BB222_10 Depth=1
	v_mov_b32_e32 v65, v60
	v_cmp_ne_u16_sdwa s2, v1, v53 src0_sel:BYTE_1 src1_sel:DWORD
	v_mov_b32_e32 v5, v65
	v_mov_b32_e32 v6, v66
	s_and_saveexec_b32 s40, s2
	s_cbranch_execz .LBB222_249
; %bb.244:                              ;   in Loop: Header=BB222_10 Depth=1
	v_mov_b32_e32 v41, v60
	v_and_b32_sdwa v2, v54, v1 dst_sel:DWORD dst_unused:UNUSED_PAD src0_sel:DWORD src1_sel:BYTE_1
	s_mov_b32 s41, exec_lo
	v_mov_b32_e32 v5, v41
	v_and_b32_e32 v7, 0x7f, v2
	v_mov_b32_e32 v6, v42
	v_cmpx_ne_u32_e32 0x7f, v7
	s_cbranch_execz .LBB222_248
; %bb.245:                              ;   in Loop: Header=BB222_10 Depth=1
	v_and_b32_e32 v59, 7, v2
	v_lshrrev_b32_e32 v2, 3, v7
	s_mov_b32 s42, exec_lo
	v_cmpx_gt_u32_e32 8, v7
; %bb.246:                              ;   in Loop: Header=BB222_10 Depth=1
	v_ffbh_u32_e32 v2, v59
	v_min_u32_e32 v2, 32, v2
	v_subrev_nc_u32_e32 v5, 28, v2
	v_sub_nc_u32_e32 v2, 29, v2
	v_lshlrev_b64 v[5:6], v5, v[59:60]
	v_and_b32_e32 v59, 7, v5
; %bb.247:                              ;   in Loop: Header=BB222_10 Depth=1
	s_or_b32 exec_lo, exec_lo, s42
	v_lshlrev_b32_e32 v1, 16, v1
	v_lshlrev_b32_e32 v5, 20, v59
	v_lshl_add_u32 v2, v2, 23, 0x3c000000
	v_and_b32_e32 v1, 0x80000000, v1
	v_or3_b32 v6, v5, v1, v2
	v_mov_b32_e32 v5, v60
.LBB222_248:                            ;   in Loop: Header=BB222_10 Depth=1
	s_or_b32 exec_lo, exec_lo, s41
.LBB222_249:                            ;   in Loop: Header=BB222_10 Depth=1
	s_or_b32 exec_lo, exec_lo, s40
.LBB222_250:                            ;   in Loop: Header=BB222_10 Depth=1
	s_or_b32 exec_lo, exec_lo, s3
	global_load_ushort v1, v[77:78], off offset:780
	v_mov_b32_e32 v61, 0
	v_mov_b32_e32 v62, 0
	s_waitcnt vmcnt(0)
	v_and_b32_e32 v7, 0xffff, v1
	v_cmp_ne_u16_sdwa s2, v1, v60 src0_sel:BYTE_0 src1_sel:DWORD
	v_mov_b32_e32 v1, 0
	v_mov_b32_e32 v2, 0
	s_and_saveexec_b32 s3, s2
	s_cbranch_execz .LBB222_258
; %bb.251:                              ;   in Loop: Header=BB222_10 Depth=1
	v_bfrev_b32_e32 v61, 1
	v_mov_b32_e32 v62, 0
	v_cmp_ne_u16_sdwa s2, v7, v53 src0_sel:BYTE_0 src1_sel:DWORD
	s_and_saveexec_b32 s40, s2
	s_cbranch_execz .LBB222_257
; %bb.252:                              ;   in Loop: Header=BB222_10 Depth=1
	v_mov_b32_e32 v61, 0x7f800001
	v_and_b32_e32 v9, 0x7f, v7
	v_mov_b32_e32 v62, 0
	s_mov_b32 s41, exec_lo
	v_cmpx_ne_u32_e32 0x7f, v9
	s_cbranch_execz .LBB222_256
; %bb.253:                              ;   in Loop: Header=BB222_10 Depth=1
	v_and_b32_e32 v59, 7, v7
	v_lshrrev_b32_e32 v8, 3, v9
	s_mov_b32 s42, exec_lo
	v_cmpx_gt_u32_e32 8, v9
; %bb.254:                              ;   in Loop: Header=BB222_10 Depth=1
	v_ffbh_u32_e32 v8, v59
	v_min_u32_e32 v8, 32, v8
	v_subrev_nc_u32_e32 v9, 28, v8
	v_sub_nc_u32_e32 v8, 29, v8
	v_lshlrev_b64 v[9:10], v9, v[59:60]
	v_and_b32_e32 v59, 7, v9
; %bb.255:                              ;   in Loop: Header=BB222_10 Depth=1
	s_or_b32 exec_lo, exec_lo, s42
	v_lshlrev_b32_e32 v9, 24, v7
	v_lshlrev_b32_e32 v10, 20, v59
	v_lshl_add_u32 v8, v8, 23, 0x3c000000
	v_and_b32_e32 v9, 0x80000000, v9
	v_or3_b32 v59, v10, v9, v8
	v_mov_b32_e32 v62, v60
	v_mov_b32_e32 v61, v59
.LBB222_256:                            ;   in Loop: Header=BB222_10 Depth=1
	s_or_b32 exec_lo, exec_lo, s41
.LBB222_257:                            ;   in Loop: Header=BB222_10 Depth=1
	s_or_b32 exec_lo, exec_lo, s40
.LBB222_258:                            ;   in Loop: Header=BB222_10 Depth=1
	s_or_b32 exec_lo, exec_lo, s3
	v_cmp_ne_u16_sdwa s2, v7, v60 src0_sel:BYTE_1 src1_sel:DWORD
	s_and_saveexec_b32 s3, s2
	s_cbranch_execz .LBB222_266
; %bb.259:                              ;   in Loop: Header=BB222_10 Depth=1
	v_mov_b32_e32 v65, v60
	v_cmp_ne_u16_sdwa s2, v7, v53 src0_sel:BYTE_1 src1_sel:DWORD
	v_mov_b32_e32 v1, v65
	v_mov_b32_e32 v2, v66
	s_and_saveexec_b32 s40, s2
	s_cbranch_execz .LBB222_265
; %bb.260:                              ;   in Loop: Header=BB222_10 Depth=1
	v_mov_b32_e32 v41, v60
	v_and_b32_sdwa v9, v54, v7 dst_sel:DWORD dst_unused:UNUSED_PAD src0_sel:DWORD src1_sel:BYTE_1
	s_mov_b32 s41, exec_lo
	v_mov_b32_e32 v1, v41
	v_and_b32_e32 v8, 0x7f, v9
	v_mov_b32_e32 v2, v42
	v_cmpx_ne_u32_e32 0x7f, v8
	s_cbranch_execz .LBB222_264
; %bb.261:                              ;   in Loop: Header=BB222_10 Depth=1
	v_and_b32_e32 v59, 7, v9
	v_lshrrev_b32_e32 v1, 3, v8
	s_mov_b32 s42, exec_lo
	v_cmpx_gt_u32_e32 8, v8
; %bb.262:                              ;   in Loop: Header=BB222_10 Depth=1
	v_ffbh_u32_e32 v1, v59
	v_min_u32_e32 v1, 32, v1
	v_subrev_nc_u32_e32 v2, 28, v1
	v_sub_nc_u32_e32 v1, 29, v1
	v_lshlrev_b64 v[8:9], v2, v[59:60]
	v_and_b32_e32 v59, 7, v8
; %bb.263:                              ;   in Loop: Header=BB222_10 Depth=1
	s_or_b32 exec_lo, exec_lo, s42
	v_lshlrev_b32_e32 v2, 16, v7
	v_lshlrev_b32_e32 v7, 20, v59
	v_lshl_add_u32 v1, v1, 23, 0x3c000000
	v_and_b32_e32 v2, 0x80000000, v2
	v_or3_b32 v2, v7, v2, v1
	v_mov_b32_e32 v1, v60
.LBB222_264:                            ;   in Loop: Header=BB222_10 Depth=1
	s_or_b32 exec_lo, exec_lo, s41
.LBB222_265:                            ;   in Loop: Header=BB222_10 Depth=1
	s_or_b32 exec_lo, exec_lo, s40
.LBB222_266:                            ;   in Loop: Header=BB222_10 Depth=1
	s_or_b32 exec_lo, exec_lo, s3
	global_load_ushort v7, v[77:78], off offset:1024
	v_mov_b32_e32 v9, 0
	v_mov_b32_e32 v10, 0
	s_waitcnt vmcnt(0)
	v_and_b32_e32 v11, 0xffff, v7
	v_cmp_ne_u16_sdwa s2, v7, v60 src0_sel:BYTE_0 src1_sel:DWORD
	v_mov_b32_e32 v7, 0
	v_mov_b32_e32 v8, 0
	s_and_saveexec_b32 s3, s2
	s_cbranch_execz .LBB222_274
; %bb.267:                              ;   in Loop: Header=BB222_10 Depth=1
	v_bfrev_b32_e32 v7, 1
	v_mov_b32_e32 v8, 0
	v_cmp_ne_u16_sdwa s2, v11, v53 src0_sel:BYTE_0 src1_sel:DWORD
	s_and_saveexec_b32 s40, s2
	s_cbranch_execz .LBB222_273
; %bb.268:                              ;   in Loop: Header=BB222_10 Depth=1
	v_mov_b32_e32 v7, 0x7f800001
	v_and_b32_e32 v12, 0x7f, v11
	v_mov_b32_e32 v8, 0
	s_mov_b32 s41, exec_lo
	v_cmpx_ne_u32_e32 0x7f, v12
	s_cbranch_execz .LBB222_272
; %bb.269:                              ;   in Loop: Header=BB222_10 Depth=1
	v_and_b32_e32 v59, 7, v11
	v_lshrrev_b32_e32 v7, 3, v12
	s_mov_b32 s42, exec_lo
	v_cmpx_gt_u32_e32 8, v12
; %bb.270:                              ;   in Loop: Header=BB222_10 Depth=1
	v_ffbh_u32_e32 v7, v59
	v_min_u32_e32 v7, 32, v7
	v_subrev_nc_u32_e32 v8, 28, v7
	v_sub_nc_u32_e32 v7, 29, v7
	v_lshlrev_b64 v[12:13], v8, v[59:60]
	v_and_b32_e32 v59, 7, v12
; %bb.271:                              ;   in Loop: Header=BB222_10 Depth=1
	s_or_b32 exec_lo, exec_lo, s42
	v_lshlrev_b32_e32 v8, 24, v11
	v_lshlrev_b32_e32 v12, 20, v59
	v_lshl_add_u32 v7, v7, 23, 0x3c000000
	v_and_b32_e32 v8, 0x80000000, v8
	v_or3_b32 v59, v12, v8, v7
	v_mov_b32_e32 v7, v59
	v_mov_b32_e32 v8, v60
.LBB222_272:                            ;   in Loop: Header=BB222_10 Depth=1
	s_or_b32 exec_lo, exec_lo, s41
.LBB222_273:                            ;   in Loop: Header=BB222_10 Depth=1
	s_or_b32 exec_lo, exec_lo, s40
.LBB222_274:                            ;   in Loop: Header=BB222_10 Depth=1
	s_or_b32 exec_lo, exec_lo, s3
	v_cmp_ne_u16_sdwa s2, v11, v60 src0_sel:BYTE_1 src1_sel:DWORD
	s_and_saveexec_b32 s3, s2
	s_cbranch_execz .LBB222_282
; %bb.275:                              ;   in Loop: Header=BB222_10 Depth=1
	v_mov_b32_e32 v65, v60
	v_cmp_ne_u16_sdwa s2, v11, v53 src0_sel:BYTE_1 src1_sel:DWORD
	v_mov_b32_e32 v9, v65
	v_mov_b32_e32 v10, v66
	s_and_saveexec_b32 s40, s2
	s_cbranch_execz .LBB222_281
; %bb.276:                              ;   in Loop: Header=BB222_10 Depth=1
	v_mov_b32_e32 v41, v60
	v_and_b32_sdwa v13, v54, v11 dst_sel:DWORD dst_unused:UNUSED_PAD src0_sel:DWORD src1_sel:BYTE_1
	s_mov_b32 s41, exec_lo
	v_mov_b32_e32 v9, v41
	v_and_b32_e32 v12, 0x7f, v13
	v_mov_b32_e32 v10, v42
	v_cmpx_ne_u32_e32 0x7f, v12
	s_cbranch_execz .LBB222_280
; %bb.277:                              ;   in Loop: Header=BB222_10 Depth=1
	v_and_b32_e32 v59, 7, v13
	v_lshrrev_b32_e32 v9, 3, v12
	s_mov_b32 s42, exec_lo
	v_cmpx_gt_u32_e32 8, v12
; %bb.278:                              ;   in Loop: Header=BB222_10 Depth=1
	v_ffbh_u32_e32 v9, v59
	v_min_u32_e32 v9, 32, v9
	v_subrev_nc_u32_e32 v10, 28, v9
	v_sub_nc_u32_e32 v9, 29, v9
	v_lshlrev_b64 v[12:13], v10, v[59:60]
	v_and_b32_e32 v59, 7, v12
; %bb.279:                              ;   in Loop: Header=BB222_10 Depth=1
	s_or_b32 exec_lo, exec_lo, s42
	v_lshlrev_b32_e32 v10, 16, v11
	v_lshlrev_b32_e32 v11, 20, v59
	v_lshl_add_u32 v9, v9, 23, 0x3c000000
	v_and_b32_e32 v10, 0x80000000, v10
	v_or3_b32 v10, v11, v10, v9
	v_mov_b32_e32 v9, v60
.LBB222_280:                            ;   in Loop: Header=BB222_10 Depth=1
	s_or_b32 exec_lo, exec_lo, s41
.LBB222_281:                            ;   in Loop: Header=BB222_10 Depth=1
	s_or_b32 exec_lo, exec_lo, s40
.LBB222_282:                            ;   in Loop: Header=BB222_10 Depth=1
	s_or_b32 exec_lo, exec_lo, s3
	global_load_ushort v11, v[77:78], off offset:1028
	v_mov_b32_e32 v13, 0
	v_mov_b32_e32 v14, 0
	s_waitcnt vmcnt(0)
	v_and_b32_e32 v15, 0xffff, v11
	v_cmp_ne_u16_sdwa s2, v11, v60 src0_sel:BYTE_0 src1_sel:DWORD
	v_mov_b32_e32 v11, 0
	v_mov_b32_e32 v12, 0
	s_and_saveexec_b32 s3, s2
	s_cbranch_execz .LBB222_290
; %bb.283:                              ;   in Loop: Header=BB222_10 Depth=1
	v_bfrev_b32_e32 v11, 1
	v_mov_b32_e32 v12, 0
	v_cmp_ne_u16_sdwa s2, v15, v53 src0_sel:BYTE_0 src1_sel:DWORD
	s_and_saveexec_b32 s40, s2
	s_cbranch_execz .LBB222_289
; %bb.284:                              ;   in Loop: Header=BB222_10 Depth=1
	v_mov_b32_e32 v11, 0x7f800001
	v_and_b32_e32 v16, 0x7f, v15
	v_mov_b32_e32 v12, 0
	s_mov_b32 s41, exec_lo
	v_cmpx_ne_u32_e32 0x7f, v16
	s_cbranch_execz .LBB222_288
; %bb.285:                              ;   in Loop: Header=BB222_10 Depth=1
	v_and_b32_e32 v59, 7, v15
	v_lshrrev_b32_e32 v11, 3, v16
	s_mov_b32 s42, exec_lo
	v_cmpx_gt_u32_e32 8, v16
; %bb.286:                              ;   in Loop: Header=BB222_10 Depth=1
	v_ffbh_u32_e32 v11, v59
	v_min_u32_e32 v11, 32, v11
	v_subrev_nc_u32_e32 v12, 28, v11
	v_sub_nc_u32_e32 v11, 29, v11
	v_lshlrev_b64 v[16:17], v12, v[59:60]
	v_and_b32_e32 v59, 7, v16
; %bb.287:                              ;   in Loop: Header=BB222_10 Depth=1
	s_or_b32 exec_lo, exec_lo, s42
	v_lshlrev_b32_e32 v12, 24, v15
	v_lshlrev_b32_e32 v16, 20, v59
	v_lshl_add_u32 v11, v11, 23, 0x3c000000
	v_and_b32_e32 v12, 0x80000000, v12
	v_or3_b32 v59, v16, v12, v11
	v_mov_b32_e32 v11, v59
	v_mov_b32_e32 v12, v60
.LBB222_288:                            ;   in Loop: Header=BB222_10 Depth=1
	s_or_b32 exec_lo, exec_lo, s41
.LBB222_289:                            ;   in Loop: Header=BB222_10 Depth=1
	s_or_b32 exec_lo, exec_lo, s40
.LBB222_290:                            ;   in Loop: Header=BB222_10 Depth=1
	s_or_b32 exec_lo, exec_lo, s3
	v_cmp_ne_u16_sdwa s2, v15, v60 src0_sel:BYTE_1 src1_sel:DWORD
	s_and_saveexec_b32 s3, s2
	s_cbranch_execz .LBB222_298
; %bb.291:                              ;   in Loop: Header=BB222_10 Depth=1
	v_mov_b32_e32 v65, v60
	v_cmp_ne_u16_sdwa s2, v15, v53 src0_sel:BYTE_1 src1_sel:DWORD
	v_mov_b32_e32 v13, v65
	v_mov_b32_e32 v14, v66
	s_and_saveexec_b32 s40, s2
	s_cbranch_execz .LBB222_297
; %bb.292:                              ;   in Loop: Header=BB222_10 Depth=1
	v_mov_b32_e32 v41, v60
	v_and_b32_sdwa v17, v54, v15 dst_sel:DWORD dst_unused:UNUSED_PAD src0_sel:DWORD src1_sel:BYTE_1
	s_mov_b32 s41, exec_lo
	v_mov_b32_e32 v13, v41
	v_and_b32_e32 v16, 0x7f, v17
	v_mov_b32_e32 v14, v42
	v_cmpx_ne_u32_e32 0x7f, v16
	s_cbranch_execz .LBB222_296
; %bb.293:                              ;   in Loop: Header=BB222_10 Depth=1
	v_and_b32_e32 v59, 7, v17
	v_lshrrev_b32_e32 v13, 3, v16
	s_mov_b32 s42, exec_lo
	v_cmpx_gt_u32_e32 8, v16
; %bb.294:                              ;   in Loop: Header=BB222_10 Depth=1
	v_ffbh_u32_e32 v13, v59
	v_min_u32_e32 v13, 32, v13
	v_subrev_nc_u32_e32 v14, 28, v13
	v_sub_nc_u32_e32 v13, 29, v13
	v_lshlrev_b64 v[16:17], v14, v[59:60]
	v_and_b32_e32 v59, 7, v16
; %bb.295:                              ;   in Loop: Header=BB222_10 Depth=1
	s_or_b32 exec_lo, exec_lo, s42
	v_lshlrev_b32_e32 v14, 16, v15
	v_lshlrev_b32_e32 v15, 20, v59
	v_lshl_add_u32 v13, v13, 23, 0x3c000000
	v_and_b32_e32 v14, 0x80000000, v14
	v_or3_b32 v14, v15, v14, v13
	v_mov_b32_e32 v13, v60
.LBB222_296:                            ;   in Loop: Header=BB222_10 Depth=1
	s_or_b32 exec_lo, exec_lo, s41
.LBB222_297:                            ;   in Loop: Header=BB222_10 Depth=1
	s_or_b32 exec_lo, exec_lo, s40
.LBB222_298:                            ;   in Loop: Header=BB222_10 Depth=1
	s_or_b32 exec_lo, exec_lo, s3
	global_load_ushort v15, v[77:78], off offset:1032
	v_mov_b32_e32 v17, 0
	v_mov_b32_e32 v18, 0
	s_waitcnt vmcnt(0)
	v_and_b32_e32 v19, 0xffff, v15
	v_cmp_ne_u16_sdwa s2, v15, v60 src0_sel:BYTE_0 src1_sel:DWORD
	v_mov_b32_e32 v15, 0
	v_mov_b32_e32 v16, 0
	s_and_saveexec_b32 s3, s2
	s_cbranch_execz .LBB222_306
; %bb.299:                              ;   in Loop: Header=BB222_10 Depth=1
	v_bfrev_b32_e32 v15, 1
	v_mov_b32_e32 v16, 0
	v_cmp_ne_u16_sdwa s2, v19, v53 src0_sel:BYTE_0 src1_sel:DWORD
	s_and_saveexec_b32 s40, s2
	s_cbranch_execz .LBB222_305
; %bb.300:                              ;   in Loop: Header=BB222_10 Depth=1
	v_mov_b32_e32 v15, 0x7f800001
	v_and_b32_e32 v20, 0x7f, v19
	v_mov_b32_e32 v16, 0
	s_mov_b32 s41, exec_lo
	v_cmpx_ne_u32_e32 0x7f, v20
	s_cbranch_execz .LBB222_304
; %bb.301:                              ;   in Loop: Header=BB222_10 Depth=1
	v_and_b32_e32 v59, 7, v19
	v_lshrrev_b32_e32 v15, 3, v20
	s_mov_b32 s42, exec_lo
	v_cmpx_gt_u32_e32 8, v20
; %bb.302:                              ;   in Loop: Header=BB222_10 Depth=1
	v_ffbh_u32_e32 v15, v59
	v_min_u32_e32 v15, 32, v15
	v_subrev_nc_u32_e32 v16, 28, v15
	v_sub_nc_u32_e32 v15, 29, v15
	v_lshlrev_b64 v[20:21], v16, v[59:60]
	v_and_b32_e32 v59, 7, v20
; %bb.303:                              ;   in Loop: Header=BB222_10 Depth=1
	s_or_b32 exec_lo, exec_lo, s42
	v_lshlrev_b32_e32 v16, 24, v19
	v_lshlrev_b32_e32 v20, 20, v59
	v_lshl_add_u32 v15, v15, 23, 0x3c000000
	v_and_b32_e32 v16, 0x80000000, v16
	v_or3_b32 v59, v20, v16, v15
	v_mov_b32_e32 v15, v59
	v_mov_b32_e32 v16, v60
.LBB222_304:                            ;   in Loop: Header=BB222_10 Depth=1
	s_or_b32 exec_lo, exec_lo, s41
.LBB222_305:                            ;   in Loop: Header=BB222_10 Depth=1
	s_or_b32 exec_lo, exec_lo, s40
.LBB222_306:                            ;   in Loop: Header=BB222_10 Depth=1
	s_or_b32 exec_lo, exec_lo, s3
	v_cmp_ne_u16_sdwa s2, v19, v60 src0_sel:BYTE_1 src1_sel:DWORD
	s_and_saveexec_b32 s3, s2
	s_cbranch_execz .LBB222_314
; %bb.307:                              ;   in Loop: Header=BB222_10 Depth=1
	v_mov_b32_e32 v65, v60
	v_cmp_ne_u16_sdwa s2, v19, v53 src0_sel:BYTE_1 src1_sel:DWORD
	v_mov_b32_e32 v17, v65
	v_mov_b32_e32 v18, v66
	s_and_saveexec_b32 s40, s2
	s_cbranch_execz .LBB222_313
; %bb.308:                              ;   in Loop: Header=BB222_10 Depth=1
	v_mov_b32_e32 v41, v60
	v_and_b32_sdwa v21, v54, v19 dst_sel:DWORD dst_unused:UNUSED_PAD src0_sel:DWORD src1_sel:BYTE_1
	s_mov_b32 s41, exec_lo
	v_mov_b32_e32 v17, v41
	v_and_b32_e32 v20, 0x7f, v21
	v_mov_b32_e32 v18, v42
	v_cmpx_ne_u32_e32 0x7f, v20
	s_cbranch_execz .LBB222_312
; %bb.309:                              ;   in Loop: Header=BB222_10 Depth=1
	v_and_b32_e32 v59, 7, v21
	v_lshrrev_b32_e32 v17, 3, v20
	s_mov_b32 s42, exec_lo
	v_cmpx_gt_u32_e32 8, v20
; %bb.310:                              ;   in Loop: Header=BB222_10 Depth=1
	v_ffbh_u32_e32 v17, v59
	v_min_u32_e32 v17, 32, v17
	v_subrev_nc_u32_e32 v18, 28, v17
	v_sub_nc_u32_e32 v17, 29, v17
	v_lshlrev_b64 v[20:21], v18, v[59:60]
	v_and_b32_e32 v59, 7, v20
; %bb.311:                              ;   in Loop: Header=BB222_10 Depth=1
	s_or_b32 exec_lo, exec_lo, s42
	v_lshlrev_b32_e32 v18, 16, v19
	v_lshlrev_b32_e32 v19, 20, v59
	v_lshl_add_u32 v17, v17, 23, 0x3c000000
	v_and_b32_e32 v18, 0x80000000, v18
	v_or3_b32 v18, v19, v18, v17
	v_mov_b32_e32 v17, v60
.LBB222_312:                            ;   in Loop: Header=BB222_10 Depth=1
	s_or_b32 exec_lo, exec_lo, s41
.LBB222_313:                            ;   in Loop: Header=BB222_10 Depth=1
	s_or_b32 exec_lo, exec_lo, s40
.LBB222_314:                            ;   in Loop: Header=BB222_10 Depth=1
	s_or_b32 exec_lo, exec_lo, s3
	global_load_ushort v19, v[77:78], off offset:1036
	v_mov_b32_e32 v21, 0
	v_mov_b32_e32 v22, 0
	s_waitcnt vmcnt(0)
	v_and_b32_e32 v23, 0xffff, v19
	v_cmp_ne_u16_sdwa s2, v19, v60 src0_sel:BYTE_0 src1_sel:DWORD
	v_mov_b32_e32 v19, 0
	v_mov_b32_e32 v20, 0
	s_and_saveexec_b32 s3, s2
	s_cbranch_execz .LBB222_322
; %bb.315:                              ;   in Loop: Header=BB222_10 Depth=1
	v_bfrev_b32_e32 v19, 1
	v_mov_b32_e32 v20, 0
	v_cmp_ne_u16_sdwa s2, v23, v53 src0_sel:BYTE_0 src1_sel:DWORD
	s_and_saveexec_b32 s40, s2
	s_cbranch_execz .LBB222_321
; %bb.316:                              ;   in Loop: Header=BB222_10 Depth=1
	v_mov_b32_e32 v19, 0x7f800001
	v_and_b32_e32 v24, 0x7f, v23
	v_mov_b32_e32 v20, 0
	s_mov_b32 s41, exec_lo
	v_cmpx_ne_u32_e32 0x7f, v24
	s_cbranch_execz .LBB222_320
; %bb.317:                              ;   in Loop: Header=BB222_10 Depth=1
	v_and_b32_e32 v59, 7, v23
	v_lshrrev_b32_e32 v19, 3, v24
	s_mov_b32 s42, exec_lo
	v_cmpx_gt_u32_e32 8, v24
; %bb.318:                              ;   in Loop: Header=BB222_10 Depth=1
	v_ffbh_u32_e32 v19, v59
	v_min_u32_e32 v19, 32, v19
	v_subrev_nc_u32_e32 v20, 28, v19
	v_sub_nc_u32_e32 v19, 29, v19
	v_lshlrev_b64 v[24:25], v20, v[59:60]
	v_and_b32_e32 v59, 7, v24
; %bb.319:                              ;   in Loop: Header=BB222_10 Depth=1
	s_or_b32 exec_lo, exec_lo, s42
	v_lshlrev_b32_e32 v20, 24, v23
	v_lshlrev_b32_e32 v24, 20, v59
	v_lshl_add_u32 v19, v19, 23, 0x3c000000
	v_and_b32_e32 v20, 0x80000000, v20
	v_or3_b32 v59, v24, v20, v19
	v_mov_b32_e32 v19, v59
	v_mov_b32_e32 v20, v60
.LBB222_320:                            ;   in Loop: Header=BB222_10 Depth=1
	s_or_b32 exec_lo, exec_lo, s41
.LBB222_321:                            ;   in Loop: Header=BB222_10 Depth=1
	s_or_b32 exec_lo, exec_lo, s40
.LBB222_322:                            ;   in Loop: Header=BB222_10 Depth=1
	s_or_b32 exec_lo, exec_lo, s3
	v_cmp_ne_u16_sdwa s2, v23, v60 src0_sel:BYTE_1 src1_sel:DWORD
	s_and_saveexec_b32 s3, s2
	s_cbranch_execz .LBB222_330
; %bb.323:                              ;   in Loop: Header=BB222_10 Depth=1
	v_mov_b32_e32 v65, v60
	v_cmp_ne_u16_sdwa s2, v23, v53 src0_sel:BYTE_1 src1_sel:DWORD
	v_mov_b32_e32 v21, v65
	v_mov_b32_e32 v22, v66
	s_and_saveexec_b32 s40, s2
	s_cbranch_execz .LBB222_329
; %bb.324:                              ;   in Loop: Header=BB222_10 Depth=1
	v_mov_b32_e32 v41, v60
	v_and_b32_sdwa v25, v54, v23 dst_sel:DWORD dst_unused:UNUSED_PAD src0_sel:DWORD src1_sel:BYTE_1
	s_mov_b32 s41, exec_lo
	v_mov_b32_e32 v21, v41
	v_and_b32_e32 v24, 0x7f, v25
	v_mov_b32_e32 v22, v42
	v_cmpx_ne_u32_e32 0x7f, v24
	s_cbranch_execz .LBB222_328
; %bb.325:                              ;   in Loop: Header=BB222_10 Depth=1
	v_and_b32_e32 v59, 7, v25
	v_lshrrev_b32_e32 v21, 3, v24
	s_mov_b32 s42, exec_lo
	v_cmpx_gt_u32_e32 8, v24
; %bb.326:                              ;   in Loop: Header=BB222_10 Depth=1
	v_ffbh_u32_e32 v21, v59
	v_min_u32_e32 v21, 32, v21
	v_subrev_nc_u32_e32 v22, 28, v21
	v_sub_nc_u32_e32 v21, 29, v21
	v_lshlrev_b64 v[24:25], v22, v[59:60]
	v_and_b32_e32 v59, 7, v24
; %bb.327:                              ;   in Loop: Header=BB222_10 Depth=1
	s_or_b32 exec_lo, exec_lo, s42
	v_lshlrev_b32_e32 v22, 16, v23
	v_lshlrev_b32_e32 v23, 20, v59
	v_lshl_add_u32 v21, v21, 23, 0x3c000000
	v_and_b32_e32 v22, 0x80000000, v22
	v_or3_b32 v22, v23, v22, v21
	v_mov_b32_e32 v21, v60
.LBB222_328:                            ;   in Loop: Header=BB222_10 Depth=1
	s_or_b32 exec_lo, exec_lo, s41
.LBB222_329:                            ;   in Loop: Header=BB222_10 Depth=1
	s_or_b32 exec_lo, exec_lo, s40
.LBB222_330:                            ;   in Loop: Header=BB222_10 Depth=1
	s_or_b32 exec_lo, exec_lo, s3
	global_load_ushort v23, v[77:78], off offset:1280
	v_mov_b32_e32 v25, 0
	v_mov_b32_e32 v26, 0
	s_waitcnt vmcnt(0)
	v_and_b32_e32 v27, 0xffff, v23
	v_cmp_ne_u16_sdwa s2, v23, v60 src0_sel:BYTE_0 src1_sel:DWORD
	v_mov_b32_e32 v23, 0
	v_mov_b32_e32 v24, 0
	s_and_saveexec_b32 s3, s2
	s_cbranch_execz .LBB222_338
; %bb.331:                              ;   in Loop: Header=BB222_10 Depth=1
	v_bfrev_b32_e32 v23, 1
	v_mov_b32_e32 v24, 0
	v_cmp_ne_u16_sdwa s2, v27, v53 src0_sel:BYTE_0 src1_sel:DWORD
	s_and_saveexec_b32 s40, s2
	s_cbranch_execz .LBB222_337
; %bb.332:                              ;   in Loop: Header=BB222_10 Depth=1
	v_mov_b32_e32 v23, 0x7f800001
	v_and_b32_e32 v28, 0x7f, v27
	v_mov_b32_e32 v24, 0
	s_mov_b32 s41, exec_lo
	v_cmpx_ne_u32_e32 0x7f, v28
	s_cbranch_execz .LBB222_336
; %bb.333:                              ;   in Loop: Header=BB222_10 Depth=1
	v_and_b32_e32 v59, 7, v27
	v_lshrrev_b32_e32 v23, 3, v28
	s_mov_b32 s42, exec_lo
	v_cmpx_gt_u32_e32 8, v28
; %bb.334:                              ;   in Loop: Header=BB222_10 Depth=1
	v_ffbh_u32_e32 v23, v59
	v_min_u32_e32 v23, 32, v23
	v_subrev_nc_u32_e32 v24, 28, v23
	v_sub_nc_u32_e32 v23, 29, v23
	v_lshlrev_b64 v[28:29], v24, v[59:60]
	v_and_b32_e32 v59, 7, v28
; %bb.335:                              ;   in Loop: Header=BB222_10 Depth=1
	s_or_b32 exec_lo, exec_lo, s42
	v_lshlrev_b32_e32 v24, 24, v27
	v_lshlrev_b32_e32 v28, 20, v59
	v_lshl_add_u32 v23, v23, 23, 0x3c000000
	v_and_b32_e32 v24, 0x80000000, v24
	v_or3_b32 v59, v28, v24, v23
	v_mov_b32_e32 v23, v59
	v_mov_b32_e32 v24, v60
.LBB222_336:                            ;   in Loop: Header=BB222_10 Depth=1
	s_or_b32 exec_lo, exec_lo, s41
.LBB222_337:                            ;   in Loop: Header=BB222_10 Depth=1
	s_or_b32 exec_lo, exec_lo, s40
.LBB222_338:                            ;   in Loop: Header=BB222_10 Depth=1
	s_or_b32 exec_lo, exec_lo, s3
	v_cmp_ne_u16_sdwa s2, v27, v60 src0_sel:BYTE_1 src1_sel:DWORD
	s_and_saveexec_b32 s3, s2
	s_cbranch_execz .LBB222_346
; %bb.339:                              ;   in Loop: Header=BB222_10 Depth=1
	v_mov_b32_e32 v65, v60
	v_cmp_ne_u16_sdwa s2, v27, v53 src0_sel:BYTE_1 src1_sel:DWORD
	v_mov_b32_e32 v25, v65
	v_mov_b32_e32 v26, v66
	s_and_saveexec_b32 s40, s2
	s_cbranch_execz .LBB222_345
; %bb.340:                              ;   in Loop: Header=BB222_10 Depth=1
	v_mov_b32_e32 v41, v60
	v_and_b32_sdwa v29, v54, v27 dst_sel:DWORD dst_unused:UNUSED_PAD src0_sel:DWORD src1_sel:BYTE_1
	s_mov_b32 s41, exec_lo
	v_mov_b32_e32 v25, v41
	v_and_b32_e32 v28, 0x7f, v29
	v_mov_b32_e32 v26, v42
	v_cmpx_ne_u32_e32 0x7f, v28
	s_cbranch_execz .LBB222_344
; %bb.341:                              ;   in Loop: Header=BB222_10 Depth=1
	v_and_b32_e32 v59, 7, v29
	v_lshrrev_b32_e32 v25, 3, v28
	s_mov_b32 s42, exec_lo
	v_cmpx_gt_u32_e32 8, v28
; %bb.342:                              ;   in Loop: Header=BB222_10 Depth=1
	v_ffbh_u32_e32 v25, v59
	v_min_u32_e32 v25, 32, v25
	v_subrev_nc_u32_e32 v26, 28, v25
	v_sub_nc_u32_e32 v25, 29, v25
	v_lshlrev_b64 v[28:29], v26, v[59:60]
	v_and_b32_e32 v59, 7, v28
; %bb.343:                              ;   in Loop: Header=BB222_10 Depth=1
	s_or_b32 exec_lo, exec_lo, s42
	v_lshlrev_b32_e32 v26, 16, v27
	v_lshlrev_b32_e32 v27, 20, v59
	v_lshl_add_u32 v25, v25, 23, 0x3c000000
	v_and_b32_e32 v26, 0x80000000, v26
	v_or3_b32 v26, v27, v26, v25
	v_mov_b32_e32 v25, v60
.LBB222_344:                            ;   in Loop: Header=BB222_10 Depth=1
	s_or_b32 exec_lo, exec_lo, s41
.LBB222_345:                            ;   in Loop: Header=BB222_10 Depth=1
	s_or_b32 exec_lo, exec_lo, s40
.LBB222_346:                            ;   in Loop: Header=BB222_10 Depth=1
	s_or_b32 exec_lo, exec_lo, s3
	global_load_ushort v27, v[77:78], off offset:1284
	v_mov_b32_e32 v29, 0
	v_mov_b32_e32 v30, 0
	s_waitcnt vmcnt(0)
	v_and_b32_e32 v31, 0xffff, v27
	v_cmp_ne_u16_sdwa s2, v27, v60 src0_sel:BYTE_0 src1_sel:DWORD
	v_mov_b32_e32 v27, 0
	v_mov_b32_e32 v28, 0
	s_and_saveexec_b32 s3, s2
	s_cbranch_execz .LBB222_354
; %bb.347:                              ;   in Loop: Header=BB222_10 Depth=1
	v_bfrev_b32_e32 v27, 1
	v_mov_b32_e32 v28, 0
	v_cmp_ne_u16_sdwa s2, v31, v53 src0_sel:BYTE_0 src1_sel:DWORD
	s_and_saveexec_b32 s40, s2
	s_cbranch_execz .LBB222_353
; %bb.348:                              ;   in Loop: Header=BB222_10 Depth=1
	v_mov_b32_e32 v27, 0x7f800001
	v_and_b32_e32 v32, 0x7f, v31
	v_mov_b32_e32 v28, 0
	s_mov_b32 s41, exec_lo
	v_cmpx_ne_u32_e32 0x7f, v32
	s_cbranch_execz .LBB222_352
; %bb.349:                              ;   in Loop: Header=BB222_10 Depth=1
	v_and_b32_e32 v59, 7, v31
	v_lshrrev_b32_e32 v27, 3, v32
	s_mov_b32 s42, exec_lo
	v_cmpx_gt_u32_e32 8, v32
; %bb.350:                              ;   in Loop: Header=BB222_10 Depth=1
	v_ffbh_u32_e32 v27, v59
	v_min_u32_e32 v27, 32, v27
	v_subrev_nc_u32_e32 v28, 28, v27
	v_sub_nc_u32_e32 v27, 29, v27
	v_lshlrev_b64 v[32:33], v28, v[59:60]
	v_and_b32_e32 v59, 7, v32
; %bb.351:                              ;   in Loop: Header=BB222_10 Depth=1
	s_or_b32 exec_lo, exec_lo, s42
	v_lshlrev_b32_e32 v28, 24, v31
	v_lshlrev_b32_e32 v32, 20, v59
	v_lshl_add_u32 v27, v27, 23, 0x3c000000
	v_and_b32_e32 v28, 0x80000000, v28
	v_or3_b32 v59, v32, v28, v27
	v_mov_b32_e32 v27, v59
	v_mov_b32_e32 v28, v60
.LBB222_352:                            ;   in Loop: Header=BB222_10 Depth=1
	s_or_b32 exec_lo, exec_lo, s41
.LBB222_353:                            ;   in Loop: Header=BB222_10 Depth=1
	s_or_b32 exec_lo, exec_lo, s40
.LBB222_354:                            ;   in Loop: Header=BB222_10 Depth=1
	s_or_b32 exec_lo, exec_lo, s3
	v_cmp_ne_u16_sdwa s2, v31, v60 src0_sel:BYTE_1 src1_sel:DWORD
	s_and_saveexec_b32 s3, s2
	s_cbranch_execz .LBB222_362
; %bb.355:                              ;   in Loop: Header=BB222_10 Depth=1
	v_mov_b32_e32 v65, v60
	v_cmp_ne_u16_sdwa s2, v31, v53 src0_sel:BYTE_1 src1_sel:DWORD
	v_mov_b32_e32 v29, v65
	v_mov_b32_e32 v30, v66
	s_and_saveexec_b32 s40, s2
	s_cbranch_execz .LBB222_361
; %bb.356:                              ;   in Loop: Header=BB222_10 Depth=1
	v_mov_b32_e32 v41, v60
	v_and_b32_sdwa v33, v54, v31 dst_sel:DWORD dst_unused:UNUSED_PAD src0_sel:DWORD src1_sel:BYTE_1
	s_mov_b32 s41, exec_lo
	v_mov_b32_e32 v29, v41
	v_and_b32_e32 v32, 0x7f, v33
	v_mov_b32_e32 v30, v42
	v_cmpx_ne_u32_e32 0x7f, v32
	s_cbranch_execz .LBB222_360
; %bb.357:                              ;   in Loop: Header=BB222_10 Depth=1
	v_and_b32_e32 v59, 7, v33
	v_lshrrev_b32_e32 v29, 3, v32
	s_mov_b32 s42, exec_lo
	v_cmpx_gt_u32_e32 8, v32
; %bb.358:                              ;   in Loop: Header=BB222_10 Depth=1
	v_ffbh_u32_e32 v29, v59
	v_min_u32_e32 v29, 32, v29
	v_subrev_nc_u32_e32 v30, 28, v29
	v_sub_nc_u32_e32 v29, 29, v29
	v_lshlrev_b64 v[32:33], v30, v[59:60]
	v_and_b32_e32 v59, 7, v32
; %bb.359:                              ;   in Loop: Header=BB222_10 Depth=1
	s_or_b32 exec_lo, exec_lo, s42
	v_lshlrev_b32_e32 v30, 16, v31
	v_lshlrev_b32_e32 v31, 20, v59
	v_lshl_add_u32 v29, v29, 23, 0x3c000000
	v_and_b32_e32 v30, 0x80000000, v30
	v_or3_b32 v30, v31, v30, v29
	v_mov_b32_e32 v29, v60
.LBB222_360:                            ;   in Loop: Header=BB222_10 Depth=1
	s_or_b32 exec_lo, exec_lo, s41
.LBB222_361:                            ;   in Loop: Header=BB222_10 Depth=1
	s_or_b32 exec_lo, exec_lo, s40
.LBB222_362:                            ;   in Loop: Header=BB222_10 Depth=1
	s_or_b32 exec_lo, exec_lo, s3
	global_load_ushort v31, v[77:78], off offset:1288
	v_mov_b32_e32 v33, 0
	v_mov_b32_e32 v34, 0
	s_waitcnt vmcnt(0)
	v_and_b32_e32 v35, 0xffff, v31
	v_cmp_ne_u16_sdwa s2, v31, v60 src0_sel:BYTE_0 src1_sel:DWORD
	v_mov_b32_e32 v31, 0
	v_mov_b32_e32 v32, 0
	s_and_saveexec_b32 s3, s2
	s_cbranch_execz .LBB222_370
; %bb.363:                              ;   in Loop: Header=BB222_10 Depth=1
	v_bfrev_b32_e32 v31, 1
	v_mov_b32_e32 v32, 0
	v_cmp_ne_u16_sdwa s2, v35, v53 src0_sel:BYTE_0 src1_sel:DWORD
	s_and_saveexec_b32 s40, s2
	s_cbranch_execz .LBB222_369
; %bb.364:                              ;   in Loop: Header=BB222_10 Depth=1
	v_mov_b32_e32 v31, 0x7f800001
	v_and_b32_e32 v36, 0x7f, v35
	v_mov_b32_e32 v32, 0
	s_mov_b32 s41, exec_lo
	v_cmpx_ne_u32_e32 0x7f, v36
	s_cbranch_execz .LBB222_368
; %bb.365:                              ;   in Loop: Header=BB222_10 Depth=1
	v_and_b32_e32 v59, 7, v35
	v_lshrrev_b32_e32 v31, 3, v36
	s_mov_b32 s42, exec_lo
	v_cmpx_gt_u32_e32 8, v36
; %bb.366:                              ;   in Loop: Header=BB222_10 Depth=1
	v_ffbh_u32_e32 v31, v59
	v_min_u32_e32 v31, 32, v31
	v_subrev_nc_u32_e32 v32, 28, v31
	v_sub_nc_u32_e32 v31, 29, v31
	v_lshlrev_b64 v[36:37], v32, v[59:60]
	v_and_b32_e32 v59, 7, v36
; %bb.367:                              ;   in Loop: Header=BB222_10 Depth=1
	s_or_b32 exec_lo, exec_lo, s42
	v_lshlrev_b32_e32 v32, 24, v35
	v_lshlrev_b32_e32 v36, 20, v59
	v_lshl_add_u32 v31, v31, 23, 0x3c000000
	v_and_b32_e32 v32, 0x80000000, v32
	v_or3_b32 v59, v36, v32, v31
	v_mov_b32_e32 v31, v59
	v_mov_b32_e32 v32, v60
.LBB222_368:                            ;   in Loop: Header=BB222_10 Depth=1
	s_or_b32 exec_lo, exec_lo, s41
.LBB222_369:                            ;   in Loop: Header=BB222_10 Depth=1
	s_or_b32 exec_lo, exec_lo, s40
.LBB222_370:                            ;   in Loop: Header=BB222_10 Depth=1
	s_or_b32 exec_lo, exec_lo, s3
	v_cmp_ne_u16_sdwa s2, v35, v60 src0_sel:BYTE_1 src1_sel:DWORD
	s_and_saveexec_b32 s3, s2
	s_cbranch_execz .LBB222_378
; %bb.371:                              ;   in Loop: Header=BB222_10 Depth=1
	v_mov_b32_e32 v65, v60
	v_cmp_ne_u16_sdwa s2, v35, v53 src0_sel:BYTE_1 src1_sel:DWORD
	v_mov_b32_e32 v33, v65
	v_mov_b32_e32 v34, v66
	s_and_saveexec_b32 s40, s2
	s_cbranch_execz .LBB222_377
; %bb.372:                              ;   in Loop: Header=BB222_10 Depth=1
	v_mov_b32_e32 v41, v60
	v_and_b32_sdwa v37, v54, v35 dst_sel:DWORD dst_unused:UNUSED_PAD src0_sel:DWORD src1_sel:BYTE_1
	s_mov_b32 s41, exec_lo
	v_mov_b32_e32 v33, v41
	v_and_b32_e32 v36, 0x7f, v37
	v_mov_b32_e32 v34, v42
	v_cmpx_ne_u32_e32 0x7f, v36
	s_cbranch_execz .LBB222_376
; %bb.373:                              ;   in Loop: Header=BB222_10 Depth=1
	v_and_b32_e32 v59, 7, v37
	v_lshrrev_b32_e32 v33, 3, v36
	s_mov_b32 s42, exec_lo
	v_cmpx_gt_u32_e32 8, v36
; %bb.374:                              ;   in Loop: Header=BB222_10 Depth=1
	v_ffbh_u32_e32 v33, v59
	v_min_u32_e32 v33, 32, v33
	v_subrev_nc_u32_e32 v34, 28, v33
	v_sub_nc_u32_e32 v33, 29, v33
	v_lshlrev_b64 v[36:37], v34, v[59:60]
	v_and_b32_e32 v59, 7, v36
; %bb.375:                              ;   in Loop: Header=BB222_10 Depth=1
	s_or_b32 exec_lo, exec_lo, s42
	v_lshlrev_b32_e32 v34, 16, v35
	v_lshlrev_b32_e32 v35, 20, v59
	v_lshl_add_u32 v33, v33, 23, 0x3c000000
	v_and_b32_e32 v34, 0x80000000, v34
	v_or3_b32 v34, v35, v34, v33
	v_mov_b32_e32 v33, v60
.LBB222_376:                            ;   in Loop: Header=BB222_10 Depth=1
	s_or_b32 exec_lo, exec_lo, s41
.LBB222_377:                            ;   in Loop: Header=BB222_10 Depth=1
	s_or_b32 exec_lo, exec_lo, s40
.LBB222_378:                            ;   in Loop: Header=BB222_10 Depth=1
	s_or_b32 exec_lo, exec_lo, s3
	global_load_ushort v35, v[77:78], off offset:1292
	v_mov_b32_e32 v37, 0
	v_mov_b32_e32 v38, 0
	s_waitcnt vmcnt(0)
	v_and_b32_e32 v39, 0xffff, v35
	v_cmp_ne_u16_sdwa s2, v35, v60 src0_sel:BYTE_0 src1_sel:DWORD
	v_mov_b32_e32 v35, 0
	v_mov_b32_e32 v36, 0
	s_and_saveexec_b32 s3, s2
	s_cbranch_execz .LBB222_386
; %bb.379:                              ;   in Loop: Header=BB222_10 Depth=1
	v_bfrev_b32_e32 v35, 1
	v_mov_b32_e32 v36, 0
	v_cmp_ne_u16_sdwa s2, v39, v53 src0_sel:BYTE_0 src1_sel:DWORD
	s_and_saveexec_b32 s40, s2
	s_cbranch_execz .LBB222_385
; %bb.380:                              ;   in Loop: Header=BB222_10 Depth=1
	v_mov_b32_e32 v35, 0x7f800001
	v_and_b32_e32 v40, 0x7f, v39
	v_mov_b32_e32 v36, 0
	s_mov_b32 s41, exec_lo
	v_cmpx_ne_u32_e32 0x7f, v40
	s_cbranch_execz .LBB222_384
; %bb.381:                              ;   in Loop: Header=BB222_10 Depth=1
	v_and_b32_e32 v59, 7, v39
	v_lshrrev_b32_e32 v35, 3, v40
	s_mov_b32 s42, exec_lo
	v_cmpx_gt_u32_e32 8, v40
; %bb.382:                              ;   in Loop: Header=BB222_10 Depth=1
	v_ffbh_u32_e32 v35, v59
	v_min_u32_e32 v35, 32, v35
	v_subrev_nc_u32_e32 v36, 28, v35
	v_sub_nc_u32_e32 v35, 29, v35
	v_lshlrev_b64 v[40:41], v36, v[59:60]
	v_and_b32_e32 v59, 7, v40
; %bb.383:                              ;   in Loop: Header=BB222_10 Depth=1
	s_or_b32 exec_lo, exec_lo, s42
	v_lshlrev_b32_e32 v36, 24, v39
	v_lshlrev_b32_e32 v40, 20, v59
	v_lshl_add_u32 v35, v35, 23, 0x3c000000
	v_and_b32_e32 v36, 0x80000000, v36
	v_or3_b32 v59, v40, v36, v35
	v_mov_b32_e32 v35, v59
	v_mov_b32_e32 v36, v60
.LBB222_384:                            ;   in Loop: Header=BB222_10 Depth=1
	s_or_b32 exec_lo, exec_lo, s41
.LBB222_385:                            ;   in Loop: Header=BB222_10 Depth=1
	s_or_b32 exec_lo, exec_lo, s40
.LBB222_386:                            ;   in Loop: Header=BB222_10 Depth=1
	s_or_b32 exec_lo, exec_lo, s3
	v_cmp_ne_u16_sdwa s2, v39, v60 src0_sel:BYTE_1 src1_sel:DWORD
	s_and_saveexec_b32 s3, s2
	s_cbranch_execz .LBB222_394
; %bb.387:                              ;   in Loop: Header=BB222_10 Depth=1
	v_mov_b32_e32 v65, v60
	v_cmp_ne_u16_sdwa s2, v39, v53 src0_sel:BYTE_1 src1_sel:DWORD
	v_mov_b32_e32 v37, v65
	v_mov_b32_e32 v38, v66
	s_and_saveexec_b32 s40, s2
	s_cbranch_execz .LBB222_393
; %bb.388:                              ;   in Loop: Header=BB222_10 Depth=1
	v_mov_b32_e32 v41, v60
	v_and_b32_sdwa v43, v54, v39 dst_sel:DWORD dst_unused:UNUSED_PAD src0_sel:DWORD src1_sel:BYTE_1
	s_mov_b32 s41, exec_lo
	v_mov_b32_e32 v37, v41
	v_and_b32_e32 v40, 0x7f, v43
	v_mov_b32_e32 v38, v42
	v_cmpx_ne_u32_e32 0x7f, v40
	s_cbranch_execz .LBB222_392
; %bb.389:                              ;   in Loop: Header=BB222_10 Depth=1
	v_and_b32_e32 v59, 7, v43
	v_lshrrev_b32_e32 v37, 3, v40
	s_mov_b32 s42, exec_lo
	v_cmpx_gt_u32_e32 8, v40
; %bb.390:                              ;   in Loop: Header=BB222_10 Depth=1
	v_ffbh_u32_e32 v37, v59
	v_min_u32_e32 v37, 32, v37
	v_subrev_nc_u32_e32 v38, 28, v37
	v_sub_nc_u32_e32 v37, 29, v37
	v_lshlrev_b64 v[40:41], v38, v[59:60]
	v_and_b32_e32 v59, 7, v40
; %bb.391:                              ;   in Loop: Header=BB222_10 Depth=1
	s_or_b32 exec_lo, exec_lo, s42
	v_lshlrev_b32_e32 v38, 16, v39
	v_lshlrev_b32_e32 v39, 20, v59
	v_lshl_add_u32 v37, v37, 23, 0x3c000000
	v_and_b32_e32 v38, 0x80000000, v38
	v_or3_b32 v38, v39, v38, v37
	v_mov_b32_e32 v37, v60
.LBB222_392:                            ;   in Loop: Header=BB222_10 Depth=1
	s_or_b32 exec_lo, exec_lo, s41
.LBB222_393:                            ;   in Loop: Header=BB222_10 Depth=1
	s_or_b32 exec_lo, exec_lo, s40
.LBB222_394:                            ;   in Loop: Header=BB222_10 Depth=1
	s_or_b32 exec_lo, exec_lo, s3
	global_load_ushort v39, v[77:78], off offset:1536
	v_mov_b32_e32 v67, 0
	v_mov_b32_e32 v68, 0
	s_waitcnt vmcnt(0)
	v_and_b32_e32 v43, 0xffff, v39
	v_cmp_ne_u16_sdwa s2, v39, v60 src0_sel:BYTE_0 src1_sel:DWORD
	v_mov_b32_e32 v39, 0
	v_mov_b32_e32 v40, 0
	s_and_saveexec_b32 s3, s2
	s_cbranch_execz .LBB222_402
; %bb.395:                              ;   in Loop: Header=BB222_10 Depth=1
	v_bfrev_b32_e32 v39, 1
	v_mov_b32_e32 v40, 0
	v_cmp_ne_u16_sdwa s2, v43, v53 src0_sel:BYTE_0 src1_sel:DWORD
	s_and_saveexec_b32 s40, s2
	s_cbranch_execz .LBB222_401
; %bb.396:                              ;   in Loop: Header=BB222_10 Depth=1
	v_mov_b32_e32 v39, 0x7f800001
	v_and_b32_e32 v41, 0x7f, v43
	v_mov_b32_e32 v40, 0
	s_mov_b32 s41, exec_lo
	v_cmpx_ne_u32_e32 0x7f, v41
	s_cbranch_execz .LBB222_400
; %bb.397:                              ;   in Loop: Header=BB222_10 Depth=1
	v_and_b32_e32 v59, 7, v43
	v_lshrrev_b32_e32 v39, 3, v41
	s_mov_b32 s42, exec_lo
	v_cmpx_gt_u32_e32 8, v41
; %bb.398:                              ;   in Loop: Header=BB222_10 Depth=1
	v_ffbh_u32_e32 v39, v59
	v_min_u32_e32 v39, 32, v39
	v_subrev_nc_u32_e32 v40, 28, v39
	v_sub_nc_u32_e32 v39, 29, v39
	v_lshlrev_b64 v[40:41], v40, v[59:60]
	v_and_b32_e32 v59, 7, v40
; %bb.399:                              ;   in Loop: Header=BB222_10 Depth=1
	s_or_b32 exec_lo, exec_lo, s42
	v_lshlrev_b32_e32 v40, 24, v43
	v_lshlrev_b32_e32 v41, 20, v59
	v_lshl_add_u32 v39, v39, 23, 0x3c000000
	v_and_b32_e32 v40, 0x80000000, v40
	v_or3_b32 v59, v41, v40, v39
	v_mov_b32_e32 v39, v59
	v_mov_b32_e32 v40, v60
.LBB222_400:                            ;   in Loop: Header=BB222_10 Depth=1
	s_or_b32 exec_lo, exec_lo, s41
.LBB222_401:                            ;   in Loop: Header=BB222_10 Depth=1
	s_or_b32 exec_lo, exec_lo, s40
.LBB222_402:                            ;   in Loop: Header=BB222_10 Depth=1
	s_or_b32 exec_lo, exec_lo, s3
	v_cmp_ne_u16_sdwa s2, v43, v60 src0_sel:BYTE_1 src1_sel:DWORD
	s_and_saveexec_b32 s3, s2
	s_cbranch_execz .LBB222_410
; %bb.403:                              ;   in Loop: Header=BB222_10 Depth=1
	v_mov_b32_e32 v65, v60
	v_mov_b32_e32 v68, v66
	v_cmp_ne_u16_sdwa s2, v43, v53 src0_sel:BYTE_1 src1_sel:DWORD
	v_mov_b32_e32 v67, v65
	s_and_saveexec_b32 s40, s2
	s_cbranch_execz .LBB222_409
; %bb.404:                              ;   in Loop: Header=BB222_10 Depth=1
	v_and_b32_sdwa v47, v54, v43 dst_sel:DWORD dst_unused:UNUSED_PAD src0_sel:DWORD src1_sel:BYTE_1
	v_mov_b32_e32 v41, v60
	v_mov_b32_e32 v68, v42
	s_mov_b32 s41, exec_lo
	v_and_b32_e32 v44, 0x7f, v47
	v_mov_b32_e32 v67, v41
	v_cmpx_ne_u32_e32 0x7f, v44
	s_cbranch_execz .LBB222_408
; %bb.405:                              ;   in Loop: Header=BB222_10 Depth=1
	v_and_b32_e32 v59, 7, v47
	v_lshrrev_b32_e32 v41, 3, v44
	s_mov_b32 s42, exec_lo
	v_cmpx_gt_u32_e32 8, v44
; %bb.406:                              ;   in Loop: Header=BB222_10 Depth=1
	v_ffbh_u32_e32 v41, v59
	v_min_u32_e32 v41, 32, v41
	v_subrev_nc_u32_e32 v44, 28, v41
	v_sub_nc_u32_e32 v41, 29, v41
	v_lshlrev_b64 v[47:48], v44, v[59:60]
	v_and_b32_e32 v59, 7, v47
; %bb.407:                              ;   in Loop: Header=BB222_10 Depth=1
	s_or_b32 exec_lo, exec_lo, s42
	v_lshlrev_b32_e32 v43, 16, v43
	v_lshlrev_b32_e32 v44, 20, v59
	v_lshl_add_u32 v41, v41, 23, 0x3c000000
	v_mov_b32_e32 v67, v60
	v_and_b32_e32 v43, 0x80000000, v43
	v_or3_b32 v68, v44, v43, v41
.LBB222_408:                            ;   in Loop: Header=BB222_10 Depth=1
	s_or_b32 exec_lo, exec_lo, s41
.LBB222_409:                            ;   in Loop: Header=BB222_10 Depth=1
	s_or_b32 exec_lo, exec_lo, s40
.LBB222_410:                            ;   in Loop: Header=BB222_10 Depth=1
	s_or_b32 exec_lo, exec_lo, s3
	global_load_ushort v41, v[77:78], off offset:1540
	v_mov_b32_e32 v71, 0
	v_mov_b32_e32 v43, 0
	;; [unrolled: 1-line block ×4, first 2 shown]
	s_waitcnt vmcnt(0)
	v_and_b32_e32 v47, 0xffff, v41
	v_cmp_ne_u16_sdwa s2, v41, v60 src0_sel:BYTE_0 src1_sel:DWORD
	s_and_saveexec_b32 s3, s2
	s_cbranch_execz .LBB222_418
; %bb.411:                              ;   in Loop: Header=BB222_10 Depth=1
	v_bfrev_b32_e32 v43, 1
	v_mov_b32_e32 v44, 0
	v_cmp_ne_u16_sdwa s2, v47, v53 src0_sel:BYTE_0 src1_sel:DWORD
	s_and_saveexec_b32 s40, s2
	s_cbranch_execz .LBB222_417
; %bb.412:                              ;   in Loop: Header=BB222_10 Depth=1
	v_mov_b32_e32 v43, 0x7f800001
	v_and_b32_e32 v48, 0x7f, v47
	v_mov_b32_e32 v44, 0
	s_mov_b32 s41, exec_lo
	v_cmpx_ne_u32_e32 0x7f, v48
	s_cbranch_execz .LBB222_416
; %bb.413:                              ;   in Loop: Header=BB222_10 Depth=1
	v_and_b32_e32 v59, 7, v47
	v_lshrrev_b32_e32 v41, 3, v48
	s_mov_b32 s42, exec_lo
	v_cmpx_gt_u32_e32 8, v48
; %bb.414:                              ;   in Loop: Header=BB222_10 Depth=1
	v_ffbh_u32_e32 v41, v59
	v_min_u32_e32 v41, 32, v41
	v_subrev_nc_u32_e32 v43, 28, v41
	v_sub_nc_u32_e32 v41, 29, v41
	v_lshlrev_b64 v[43:44], v43, v[59:60]
	v_and_b32_e32 v59, 7, v43
; %bb.415:                              ;   in Loop: Header=BB222_10 Depth=1
	s_or_b32 exec_lo, exec_lo, s42
	v_lshlrev_b32_e32 v43, 24, v47
	v_lshlrev_b32_e32 v44, 20, v59
	v_lshl_add_u32 v41, v41, 23, 0x3c000000
	v_and_b32_e32 v43, 0x80000000, v43
	v_or3_b32 v59, v44, v43, v41
	v_mov_b32_e32 v43, v59
	v_mov_b32_e32 v44, v60
.LBB222_416:                            ;   in Loop: Header=BB222_10 Depth=1
	s_or_b32 exec_lo, exec_lo, s41
.LBB222_417:                            ;   in Loop: Header=BB222_10 Depth=1
	s_or_b32 exec_lo, exec_lo, s40
.LBB222_418:                            ;   in Loop: Header=BB222_10 Depth=1
	s_or_b32 exec_lo, exec_lo, s3
	v_cmp_ne_u16_sdwa s2, v47, v60 src0_sel:BYTE_1 src1_sel:DWORD
	s_and_saveexec_b32 s3, s2
	s_cbranch_execz .LBB222_426
; %bb.419:                              ;   in Loop: Header=BB222_10 Depth=1
	v_mov_b32_e32 v65, v60
	v_mov_b32_e32 v72, v66
	v_cmp_ne_u16_sdwa s2, v47, v53 src0_sel:BYTE_1 src1_sel:DWORD
	v_mov_b32_e32 v71, v65
	s_and_saveexec_b32 s40, s2
	s_cbranch_execz .LBB222_425
; %bb.420:                              ;   in Loop: Header=BB222_10 Depth=1
	v_and_b32_sdwa v49, v54, v47 dst_sel:DWORD dst_unused:UNUSED_PAD src0_sel:DWORD src1_sel:BYTE_1
	v_mov_b32_e32 v41, v60
	v_mov_b32_e32 v72, v42
	s_mov_b32 s41, exec_lo
	v_and_b32_e32 v48, 0x7f, v49
	v_mov_b32_e32 v71, v41
	v_cmpx_ne_u32_e32 0x7f, v48
	s_cbranch_execz .LBB222_424
; %bb.421:                              ;   in Loop: Header=BB222_10 Depth=1
	v_and_b32_e32 v59, 7, v49
	v_lshrrev_b32_e32 v41, 3, v48
	s_mov_b32 s42, exec_lo
	v_cmpx_gt_u32_e32 8, v48
; %bb.422:                              ;   in Loop: Header=BB222_10 Depth=1
	v_ffbh_u32_e32 v41, v59
	v_min_u32_e32 v41, 32, v41
	v_subrev_nc_u32_e32 v48, 28, v41
	v_sub_nc_u32_e32 v41, 29, v41
	v_lshlrev_b64 v[48:49], v48, v[59:60]
	v_and_b32_e32 v59, 7, v48
; %bb.423:                              ;   in Loop: Header=BB222_10 Depth=1
	s_or_b32 exec_lo, exec_lo, s42
	v_lshlrev_b32_e32 v47, 16, v47
	v_lshlrev_b32_e32 v48, 20, v59
	v_lshl_add_u32 v41, v41, 23, 0x3c000000
	v_mov_b32_e32 v71, v60
	v_and_b32_e32 v47, 0x80000000, v47
	v_or3_b32 v72, v48, v47, v41
.LBB222_424:                            ;   in Loop: Header=BB222_10 Depth=1
	s_or_b32 exec_lo, exec_lo, s41
.LBB222_425:                            ;   in Loop: Header=BB222_10 Depth=1
	s_or_b32 exec_lo, exec_lo, s40
.LBB222_426:                            ;   in Loop: Header=BB222_10 Depth=1
	s_or_b32 exec_lo, exec_lo, s3
	global_load_ushort v41, v[77:78], off offset:1544
	v_mov_b32_e32 v51, 0
	v_mov_b32_e32 v49, 0
	;; [unrolled: 1-line block ×4, first 2 shown]
	s_waitcnt vmcnt(0)
	v_and_b32_e32 v47, 0xffff, v41
	v_cmp_ne_u16_sdwa s2, v41, v60 src0_sel:BYTE_0 src1_sel:DWORD
	s_and_saveexec_b32 s3, s2
	s_cbranch_execz .LBB222_434
; %bb.427:                              ;   in Loop: Header=BB222_10 Depth=1
	v_bfrev_b32_e32 v49, 1
	v_mov_b32_e32 v50, 0
	v_cmp_ne_u16_sdwa s2, v47, v53 src0_sel:BYTE_0 src1_sel:DWORD
	s_and_saveexec_b32 s40, s2
	s_cbranch_execz .LBB222_433
; %bb.428:                              ;   in Loop: Header=BB222_10 Depth=1
	v_mov_b32_e32 v49, 0x7f800001
	v_and_b32_e32 v48, 0x7f, v47
	v_mov_b32_e32 v50, 0
	s_mov_b32 s41, exec_lo
	v_cmpx_ne_u32_e32 0x7f, v48
	s_cbranch_execz .LBB222_432
; %bb.429:                              ;   in Loop: Header=BB222_10 Depth=1
	v_and_b32_e32 v59, 7, v47
	v_lshrrev_b32_e32 v41, 3, v48
	s_mov_b32 s42, exec_lo
	v_cmpx_gt_u32_e32 8, v48
; %bb.430:                              ;   in Loop: Header=BB222_10 Depth=1
	v_ffbh_u32_e32 v41, v59
	v_min_u32_e32 v41, 32, v41
	v_subrev_nc_u32_e32 v48, 28, v41
	v_sub_nc_u32_e32 v41, 29, v41
	v_lshlrev_b64 v[48:49], v48, v[59:60]
	v_and_b32_e32 v59, 7, v48
; %bb.431:                              ;   in Loop: Header=BB222_10 Depth=1
	s_or_b32 exec_lo, exec_lo, s42
	v_lshlrev_b32_e32 v48, 24, v47
	v_lshlrev_b32_e32 v49, 20, v59
	v_lshl_add_u32 v41, v41, 23, 0x3c000000
	v_and_b32_e32 v48, 0x80000000, v48
	v_or3_b32 v59, v49, v48, v41
	v_mov_b32_e32 v49, v59
	v_mov_b32_e32 v50, v60
.LBB222_432:                            ;   in Loop: Header=BB222_10 Depth=1
	s_or_b32 exec_lo, exec_lo, s41
.LBB222_433:                            ;   in Loop: Header=BB222_10 Depth=1
	s_or_b32 exec_lo, exec_lo, s40
.LBB222_434:                            ;   in Loop: Header=BB222_10 Depth=1
	s_or_b32 exec_lo, exec_lo, s3
	v_cmp_ne_u16_sdwa s2, v47, v60 src0_sel:BYTE_1 src1_sel:DWORD
	s_and_saveexec_b32 s3, s2
	s_cbranch_execz .LBB222_442
; %bb.435:                              ;   in Loop: Header=BB222_10 Depth=1
	v_mov_b32_e32 v65, v60
	v_cmp_ne_u16_sdwa s2, v47, v53 src0_sel:BYTE_1 src1_sel:DWORD
	v_mov_b32_e32 v51, v65
	v_mov_b32_e32 v52, v66
	s_and_saveexec_b32 s40, s2
	s_cbranch_execz .LBB222_441
; %bb.436:                              ;   in Loop: Header=BB222_10 Depth=1
	v_and_b32_sdwa v56, v54, v47 dst_sel:DWORD dst_unused:UNUSED_PAD src0_sel:DWORD src1_sel:BYTE_1
	v_mov_b32_e32 v41, v60
	v_mov_b32_e32 v52, v42
	s_mov_b32 s41, exec_lo
	v_and_b32_e32 v48, 0x7f, v56
	v_mov_b32_e32 v51, v41
	v_cmpx_ne_u32_e32 0x7f, v48
	s_cbranch_execz .LBB222_440
; %bb.437:                              ;   in Loop: Header=BB222_10 Depth=1
	v_and_b32_e32 v59, 7, v56
	v_lshrrev_b32_e32 v41, 3, v48
	s_mov_b32 s42, exec_lo
	v_cmpx_gt_u32_e32 8, v48
; %bb.438:                              ;   in Loop: Header=BB222_10 Depth=1
	v_ffbh_u32_e32 v41, v59
	v_min_u32_e32 v41, 32, v41
	v_subrev_nc_u32_e32 v48, 28, v41
	v_sub_nc_u32_e32 v41, 29, v41
	v_lshlrev_b64 v[51:52], v48, v[59:60]
	v_and_b32_e32 v59, 7, v51
; %bb.439:                              ;   in Loop: Header=BB222_10 Depth=1
	s_or_b32 exec_lo, exec_lo, s42
	v_lshlrev_b32_e32 v47, 16, v47
	v_lshlrev_b32_e32 v48, 20, v59
	v_lshl_add_u32 v41, v41, 23, 0x3c000000
	v_mov_b32_e32 v51, v60
	v_and_b32_e32 v47, 0x80000000, v47
	v_or3_b32 v52, v48, v47, v41
.LBB222_440:                            ;   in Loop: Header=BB222_10 Depth=1
	s_or_b32 exec_lo, exec_lo, s41
.LBB222_441:                            ;   in Loop: Header=BB222_10 Depth=1
	s_or_b32 exec_lo, exec_lo, s40
.LBB222_442:                            ;   in Loop: Header=BB222_10 Depth=1
	s_or_b32 exec_lo, exec_lo, s3
	global_load_ushort v41, v[77:78], off offset:1548
	v_mov_b32_e32 v77, 0
	v_mov_b32_e32 v47, 0
	;; [unrolled: 1-line block ×4, first 2 shown]
	s_waitcnt vmcnt(0)
	v_and_b32_e32 v56, 0xffff, v41
	v_cmp_ne_u16_sdwa s2, v41, v60 src0_sel:BYTE_0 src1_sel:DWORD
	s_and_saveexec_b32 s3, s2
	s_cbranch_execz .LBB222_450
; %bb.443:                              ;   in Loop: Header=BB222_10 Depth=1
	v_bfrev_b32_e32 v47, 1
	v_mov_b32_e32 v48, 0
	v_cmp_ne_u16_sdwa s2, v56, v53 src0_sel:BYTE_0 src1_sel:DWORD
	s_and_saveexec_b32 s40, s2
	s_cbranch_execz .LBB222_449
; %bb.444:                              ;   in Loop: Header=BB222_10 Depth=1
	v_mov_b32_e32 v47, 0x7f800001
	v_and_b32_e32 v65, 0x7f, v56
	v_mov_b32_e32 v48, 0
	s_mov_b32 s41, exec_lo
	v_cmpx_ne_u32_e32 0x7f, v65
	s_cbranch_execz .LBB222_448
; %bb.445:                              ;   in Loop: Header=BB222_10 Depth=1
	v_and_b32_e32 v59, 7, v56
	v_lshrrev_b32_e32 v41, 3, v65
	s_mov_b32 s42, exec_lo
	v_cmpx_gt_u32_e32 8, v65
; %bb.446:                              ;   in Loop: Header=BB222_10 Depth=1
	v_ffbh_u32_e32 v41, v59
	v_min_u32_e32 v41, 32, v41
	v_subrev_nc_u32_e32 v47, 28, v41
	v_sub_nc_u32_e32 v41, 29, v41
	v_lshlrev_b64 v[47:48], v47, v[59:60]
	v_and_b32_e32 v59, 7, v47
; %bb.447:                              ;   in Loop: Header=BB222_10 Depth=1
	s_or_b32 exec_lo, exec_lo, s42
	v_lshlrev_b32_e32 v47, 24, v56
	v_lshlrev_b32_e32 v48, 20, v59
	v_lshl_add_u32 v41, v41, 23, 0x3c000000
	v_and_b32_e32 v47, 0x80000000, v47
	v_or3_b32 v59, v48, v47, v41
	v_mov_b32_e32 v47, v59
	v_mov_b32_e32 v48, v60
.LBB222_448:                            ;   in Loop: Header=BB222_10 Depth=1
	s_or_b32 exec_lo, exec_lo, s41
.LBB222_449:                            ;   in Loop: Header=BB222_10 Depth=1
	s_or_b32 exec_lo, exec_lo, s40
.LBB222_450:                            ;   in Loop: Header=BB222_10 Depth=1
	s_or_b32 exec_lo, exec_lo, s3
	v_cmp_ne_u16_sdwa s2, v56, v60 src0_sel:BYTE_1 src1_sel:DWORD
	s_and_saveexec_b32 s3, s2
	s_cbranch_execz .LBB222_458
; %bb.451:                              ;   in Loop: Header=BB222_10 Depth=1
	v_mov_b32_e32 v65, v60
	v_mov_b32_e32 v78, v66
	v_cmp_ne_u16_sdwa s2, v56, v53 src0_sel:BYTE_1 src1_sel:DWORD
	v_mov_b32_e32 v77, v65
	s_and_saveexec_b32 s40, s2
	s_cbranch_execz .LBB222_457
; %bb.452:                              ;   in Loop: Header=BB222_10 Depth=1
	v_and_b32_sdwa v59, v54, v56 dst_sel:DWORD dst_unused:UNUSED_PAD src0_sel:DWORD src1_sel:BYTE_1
	v_mov_b32_e32 v41, v60
	v_mov_b32_e32 v78, v42
	s_mov_b32 s41, exec_lo
	v_and_b32_e32 v65, 0x7f, v59
	v_mov_b32_e32 v77, v41
	v_cmpx_ne_u32_e32 0x7f, v65
	s_cbranch_execz .LBB222_456
; %bb.453:                              ;   in Loop: Header=BB222_10 Depth=1
	v_and_b32_e32 v59, 7, v59
	v_lshrrev_b32_e32 v41, 3, v65
	s_mov_b32 s42, exec_lo
	v_cmpx_gt_u32_e32 8, v65
; %bb.454:                              ;   in Loop: Header=BB222_10 Depth=1
	v_ffbh_u32_e32 v41, v59
	v_min_u32_e32 v41, 32, v41
	v_subrev_nc_u32_e32 v65, 28, v41
	v_sub_nc_u32_e32 v41, 29, v41
	v_lshlrev_b64 v[77:78], v65, v[59:60]
	v_and_b32_e32 v59, 7, v77
; %bb.455:                              ;   in Loop: Header=BB222_10 Depth=1
	s_or_b32 exec_lo, exec_lo, s42
	v_lshlrev_b32_e32 v56, 16, v56
	v_lshlrev_b32_e32 v59, 20, v59
	v_lshl_add_u32 v41, v41, 23, 0x3c000000
	v_mov_b32_e32 v77, v60
	v_and_b32_e32 v56, 0x80000000, v56
	v_or3_b32 v78, v59, v56, v41
.LBB222_456:                            ;   in Loop: Header=BB222_10 Depth=1
	s_or_b32 exec_lo, exec_lo, s41
.LBB222_457:                            ;   in Loop: Header=BB222_10 Depth=1
	s_or_b32 exec_lo, exec_lo, s40
.LBB222_458:                            ;   in Loop: Header=BB222_10 Depth=1
	s_or_b32 exec_lo, exec_lo, s3
	v_or_b32_e32 v8, v10, v8
	v_or_b32_e32 v7, v9, v7
	;; [unrolled: 1-line block ×8, first 2 shown]
	s_clause 0x3
	buffer_load_dword v31, off, s[44:47], 0 offset:4
	buffer_load_dword v32, off, s[44:47], 0 offset:8
	;; [unrolled: 1-line block ×4, first 2 shown]
	v_or_b32_e32 v75, v75, v73
	v_or_b32_e32 v45, v45, v69
	;; [unrolled: 1-line block ×5, first 2 shown]
	v_mul_f32_e32 v29, s4, v75
	v_or_b32_e32 v12, v17, v15
	v_or_b32_e32 v17, v30, v28
	v_mul_f32_e32 v30, s4, v45
	v_or_b32_e32 v46, v46, v70
	v_or_b32_e32 v22, v37, v35
	;; [unrolled: 1-line block ×31, first 2 shown]
	v_mul_f32_e32 v6, s4, v6
	v_or_b32_e32 v2, v2, v62
	v_mul_f32_e32 v3, s4, v3
	v_mul_f32_e32 v5, s39, v5
	;; [unrolled: 1-line block ×3, first 2 shown]
	v_or_b32_e32 v16, v25, v23
	v_or_b32_e32 v15, v26, v24
	;; [unrolled: 1-line block ×9, first 2 shown]
	s_waitcnt vmcnt(1)
	v_mul_f32_e32 v29, v33, v29
	v_fmac_f32_e32 v29, v31, v30
	v_mul_f32_e32 v30, s39, v73
	v_mul_f32_e32 v31, s39, v46
	s_waitcnt vmcnt(0)
	v_mul_f32_e32 v30, v34, v30
	v_fmac_f32_e32 v30, v32, v31
	s_clause 0x3
	buffer_load_dword v32, off, s[44:47], 0 offset:20
	buffer_load_dword v33, off, s[44:47], 0 offset:24
	buffer_load_dword v34, off, s[44:47], 0 offset:28
	buffer_load_dword v35, off, s[44:47], 0 offset:32
	v_mul_f32_e32 v31, s4, v79
	s_waitcnt vmcnt(3)
	v_fmac_f32_e32 v29, v32, v31
	v_mul_f32_e32 v31, s39, v80
	s_waitcnt vmcnt(2)
	v_fmac_f32_e32 v30, v33, v31
	v_mul_f32_e32 v31, s4, v83
	s_waitcnt vmcnt(1)
	v_fmac_f32_e32 v29, v34, v31
	v_mul_f32_e32 v31, s39, v84
	s_waitcnt vmcnt(0)
	v_fmac_f32_e32 v30, v35, v31
	s_clause 0x3
	buffer_load_dword v32, off, s[44:47], 0 offset:36
	buffer_load_dword v33, off, s[44:47], 0 offset:40
	buffer_load_dword v34, off, s[44:47], 0 offset:44
	buffer_load_dword v35, off, s[44:47], 0 offset:48
	v_mul_f32_e32 v31, s4, v87
	s_waitcnt vmcnt(3)
	v_fmac_f32_e32 v29, v32, v31
	v_mul_f32_e32 v31, s39, v88
	s_waitcnt vmcnt(2)
	v_fmac_f32_e32 v30, v33, v31
	v_mul_f32_e32 v31, s4, v91
	s_waitcnt vmcnt(1)
	v_fmac_f32_e32 v29, v34, v31
	v_mul_f32_e32 v31, s39, v92
	s_waitcnt vmcnt(0)
	;; [unrolled: 17-line block ×5, first 2 shown]
	v_fmac_f32_e32 v30, v35, v31
	s_clause 0x3
	buffer_load_dword v32, off, s[44:47], 0 offset:100
	buffer_load_dword v33, off, s[44:47], 0 offset:104
	;; [unrolled: 1-line block ×4, first 2 shown]
	v_mul_f32_e32 v31, s4, v51
	s_waitcnt vmcnt(3)
	v_fmac_f32_e32 v29, v32, v31
	v_mul_f32_e32 v31, s39, v50
	s_waitcnt vmcnt(1)
	v_fmac_f32_e32 v29, v34, v6
	v_fmac_f32_e32 v30, v33, v31
	s_clause 0x3
	buffer_load_dword v31, off, s[44:47], 0 offset:116
	buffer_load_dword v32, off, s[44:47], 0 offset:120
	;; [unrolled: 1-line block ×4, first 2 shown]
	s_waitcnt vmcnt(4)
	v_fmac_f32_e32 v30, v35, v5
	s_waitcnt vmcnt(3)
	v_fmac_f32_e32 v29, v31, v3
	v_mul_f32_e32 v3, s39, v4
	s_waitcnt vmcnt(1)
	v_fmac_f32_e32 v29, v33, v1
	v_fmac_f32_e32 v30, v32, v3
	v_mul_f32_e32 v1, s39, v2
	s_clause 0x3
	buffer_load_dword v2, off, s[44:47], 0 offset:144
	buffer_load_dword v3, off, s[44:47], 0 offset:148
	;; [unrolled: 1-line block ×4, first 2 shown]
	s_waitcnt vmcnt(4)
	v_fmac_f32_e32 v30, v34, v1
	v_mul_f32_e32 v1, s4, v7
	s_waitcnt vmcnt(3)
	v_fmac_f32_e32 v29, v2, v1
	v_mul_f32_e32 v1, s39, v8
	;; [unrolled: 3-line block ×4, first 2 shown]
	s_waitcnt vmcnt(0)
	v_fmac_f32_e32 v30, v5, v1
	s_clause 0x3
	buffer_load_dword v2, off, s[44:47], 0 offset:160
	buffer_load_dword v3, off, s[44:47], 0 offset:164
	buffer_load_dword v4, off, s[44:47], 0 offset:168
	buffer_load_dword v5, off, s[44:47], 0 offset:172
	v_mul_f32_e32 v1, s4, v12
	s_waitcnt vmcnt(3)
	v_fmac_f32_e32 v29, v2, v1
	v_mul_f32_e32 v1, s39, v11
	s_waitcnt vmcnt(2)
	v_fmac_f32_e32 v30, v3, v1
	v_mul_f32_e32 v1, s4, v14
	s_waitcnt vmcnt(1)
	v_fmac_f32_e32 v29, v4, v1
	v_mul_f32_e32 v1, s39, v13
	s_waitcnt vmcnt(0)
	v_fmac_f32_e32 v30, v5, v1
	s_clause 0x3
	buffer_load_dword v2, off, s[44:47], 0 offset:176
	buffer_load_dword v3, off, s[44:47], 0 offset:180
	buffer_load_dword v4, off, s[44:47], 0 offset:184
	buffer_load_dword v5, off, s[44:47], 0 offset:188
	v_mul_f32_e32 v1, s4, v16
	s_waitcnt vmcnt(3)
	v_fmac_f32_e32 v29, v2, v1
	v_mul_f32_e32 v1, s39, v15
	s_waitcnt vmcnt(2)
	v_fmac_f32_e32 v30, v3, v1
	v_mul_f32_e32 v1, s4, v18
	s_waitcnt vmcnt(1)
	v_fmac_f32_e32 v29, v4, v1
	v_mul_f32_e32 v1, s39, v17
	s_waitcnt vmcnt(0)
	v_fmac_f32_e32 v30, v5, v1
	s_clause 0x3
	buffer_load_dword v2, off, s[44:47], 0 offset:192
	buffer_load_dword v3, off, s[44:47], 0 offset:196
	buffer_load_dword v4, off, s[44:47], 0 offset:200
	buffer_load_dword v5, off, s[44:47], 0 offset:204
	v_mul_f32_e32 v1, s4, v20
	s_waitcnt vmcnt(3)
	v_fmac_f32_e32 v29, v2, v1
	v_mul_f32_e32 v1, s39, v19
	s_waitcnt vmcnt(2)
	v_fmac_f32_e32 v30, v3, v1
	v_mul_f32_e32 v1, s4, v22
	s_waitcnt vmcnt(1)
	v_fmac_f32_e32 v29, v4, v1
	v_mul_f32_e32 v1, s39, v21
	s_waitcnt vmcnt(0)
	v_fmac_f32_e32 v30, v5, v1
	s_clause 0x3
	buffer_load_dword v2, off, s[44:47], 0 offset:208
	buffer_load_dword v3, off, s[44:47], 0 offset:212
	buffer_load_dword v4, off, s[44:47], 0 offset:216
	buffer_load_dword v5, off, s[44:47], 0 offset:220
	v_mul_f32_e32 v1, s4, v24
	s_waitcnt vmcnt(3)
	v_fmac_f32_e32 v29, v2, v1
	v_mul_f32_e32 v1, s39, v23
	s_waitcnt vmcnt(2)
	v_fmac_f32_e32 v30, v3, v1
	v_mul_f32_e32 v1, s4, v26
	s_waitcnt vmcnt(1)
	v_fmac_f32_e32 v29, v4, v1
	v_mul_f32_e32 v1, s39, v25
	s_waitcnt vmcnt(0)
	v_fmac_f32_e32 v30, v5, v1
	s_clause 0x3
	buffer_load_dword v2, off, s[44:47], 0 offset:224
	buffer_load_dword v3, off, s[44:47], 0 offset:228
	;; [unrolled: 1-line block ×4, first 2 shown]
	v_mul_f32_e32 v1, s4, v49
	s_waitcnt vmcnt(3)
	v_fmac_f32_e32 v29, v2, v1
	buffer_load_dword v2, off, s[44:47], 0 offset:132 ; 4-byte Folded Reload
	v_mul_f32_e32 v1, s39, v41
	s_waitcnt vmcnt(3)
	v_fmac_f32_e32 v30, v3, v1
	v_mul_f32_e32 v1, s4, v28
	s_waitcnt vmcnt(2)
	v_fmac_f32_e32 v29, v4, v1
	;; [unrolled: 3-line block ×3, first 2 shown]
	v_add_f32_e32 v1, v29, v30
	s_waitcnt vmcnt(0)
	ds_bpermute_b32 v2, v2, v1
	s_and_saveexec_b32 s3, vcc_lo
	s_cbranch_execz .LBB222_9
; %bb.459:                              ;   in Loop: Header=BB222_10 Depth=1
	buffer_load_dword v4, off, s[44:47], 0  ; 4-byte Folded Reload
	v_add_nc_u32_e32 v3, s5, v0
	s_waitcnt lgkmcnt(0)
	v_add_f32_e32 v1, v1, v2
	v_cmp_gt_i32_e64 s2, s27, v0
	v_cvt_f32_i32_e32 v3, v3
	v_mul_f32_e32 v3, s36, v3
	v_cndmask_b32_e64 v2, 0, v3, s1
	v_fmac_f32_e32 v2, s37, v1
	s_waitcnt vmcnt(0)
	v_max_f32_e32 v3, v4, v4
	v_max_f32_e32 v1, v3, v2
	v_cndmask_b32_e64 v2, 0, v2, s2
	v_cndmask_b32_e64 v4, v4, v1, s2
	ds_write_b32 v127, v2
	buffer_store_dword v4, off, s[44:47], 0 ; 4-byte Folded Spill
	s_branch .LBB222_9
.LBB222_460:
	s_or_b32 exec_lo, exec_lo, s16
	s_clause 0x4
	buffer_load_dword v105, off, s[44:47], 0 offset:240
	buffer_load_dword v106, off, s[44:47], 0 offset:244
	;; [unrolled: 1-line block ×4, first 2 shown]
	buffer_load_dword v3, off, s[44:47], 0
	v_mov_b32_e32 v8, 32
.LBB222_461:
	s_or_b32 exec_lo, exec_lo, s38
	s_waitcnt vmcnt(1)
	v_xor_b32_e32 v0, 16, v12
	s_waitcnt lgkmcnt(0)
	v_xor_b32_e32 v2, 8, v12
	s_waitcnt vmcnt(0)
	v_max_f32_e32 v4, v3, v3
	v_xor_b32_e32 v5, 2, v12
	v_and_b32_e32 v25, 31, v105
	v_cmp_lt_i32_e32 vcc_lo, v0, v8
	v_cndmask_b32_e32 v0, v12, v0, vcc_lo
	v_cmp_lt_i32_e32 vcc_lo, v2, v8
	v_lshlrev_b32_e32 v1, 2, v0
	v_cndmask_b32_e32 v2, v12, v2, vcc_lo
	ds_bpermute_b32 v0, v1, v3
	v_lshlrev_b32_e32 v3, 2, v2
	s_waitcnt lgkmcnt(0)
	v_max_f32_e32 v0, v0, v0
	v_max_f32_e32 v0, v4, v0
	v_xor_b32_e32 v4, 4, v12
	ds_bpermute_b32 v2, v3, v0
	v_cmp_lt_i32_e32 vcc_lo, v4, v8
	v_cndmask_b32_e32 v4, v12, v4, vcc_lo
	v_cmp_lt_i32_e32 vcc_lo, v5, v8
	v_lshlrev_b32_e32 v4, 2, v4
	v_cndmask_b32_e32 v5, v12, v5, vcc_lo
	v_cmp_eq_u32_e32 vcc_lo, 0, v25
	v_lshlrev_b32_e32 v26, 2, v5
	v_lshlrev_b32_e32 v5, 2, v106
	s_waitcnt lgkmcnt(0)
	v_max_f32_e32 v2, v2, v2
	v_max_f32_e32 v0, v0, v2
	ds_bpermute_b32 v2, v4, v0
	s_waitcnt lgkmcnt(0)
	v_max_f32_e32 v2, v2, v2
	v_max_f32_e32 v0, v0, v2
	ds_bpermute_b32 v2, v26, v0
	s_and_saveexec_b32 s1, vcc_lo
	s_cbranch_execz .LBB222_463
; %bb.462:
	s_waitcnt lgkmcnt(0)
	v_max_f32_e32 v2, v2, v2
	v_max_f32_e32 v0, v0, v0
	;; [unrolled: 1-line block ×3, first 2 shown]
	ds_write_b32 v5, v0 offset:448
.LBB222_463:
	s_or_b32 exec_lo, exec_lo, s1
	v_cmp_gt_u32_e64 s1, 4, v25
	v_mov_b32_e32 v0, 0xff7fffff
	v_lshlrev_b32_e32 v6, 2, v25
	s_waitcnt lgkmcnt(0)
	s_waitcnt_vscnt null, 0x0
	s_barrier
	buffer_gl0_inv
	s_and_saveexec_b32 s2, s1
; %bb.464:
	ds_read_b32 v0, v6 offset:448
; %bb.465:
	s_or_b32 exec_lo, exec_lo, s2
	s_waitcnt lgkmcnt(0)
	ds_bpermute_b32 v2, v26, v0
	v_xor_b32_e32 v7, 1, v12
	v_max_f32_e32 v0, v0, v0
	v_cmp_lt_i32_e64 s2, v7, v8
	v_cndmask_b32_e64 v7, v12, v7, s2
	s_sub_i32 s2, s11, s15
	s_lshl_b32 s2, s2, 4
	v_lshlrev_b32_e32 v27, 2, v7
	s_add_i32 s2, s2, s33
	v_mov_b32_e32 v7, 0
	s_min_i32 s2, s2, s27
	s_waitcnt lgkmcnt(0)
	v_max_f32_e32 v2, v2, v2
	s_sub_i32 s4, s2, s33
	v_cmp_gt_i32_e64 s2, s4, v105
	v_max_f32_e32 v0, v0, v2
	ds_bpermute_b32 v2, v27, v0
	s_waitcnt lgkmcnt(0)
	v_max_f32_e32 v2, v2, v2
	v_max_f32_e32 v0, v0, v2
	v_lshlrev_b32_e32 v2, 2, v60
	ds_bpermute_b32 v0, v2, v0
	v_lshl_add_u32 v2, v105, 2, 0x1e0
	s_and_saveexec_b32 s5, s2
	s_cbranch_execz .LBB222_469
; %bb.466:
	v_lshl_add_u32 v8, v105, 2, 0x1e0
	v_mov_b32_e32 v7, 0
	v_mov_b32_e32 v9, v105
	s_mov_b32 s15, 0
	.p2align	6
.LBB222_467:                            ; =>This Inner Loop Header: Depth=1
	ds_read_b32 v10, v8
	v_add_nc_u32_e32 v9, 0x80, v9
	v_cmp_le_i32_e64 s3, s4, v9
	s_or_b32 s15, s3, s15
	s_waitcnt lgkmcnt(0)
	v_sub_f32_e32 v10, v10, v0
	v_mul_f32_e32 v10, 0x3fb8aa3b, v10
	v_exp_f32_e32 v10, v10
	ds_write_b32 v8, v10
	v_add_f32_e32 v7, v7, v10
	v_add_nc_u32_e32 v8, 0x200, v8
	s_andn2_b32 exec_lo, exec_lo, s15
	s_cbranch_execnz .LBB222_467
; %bb.468:
	s_or_b32 exec_lo, exec_lo, s15
.LBB222_469:
	s_or_b32 exec_lo, exec_lo, s5
	ds_bpermute_b32 v1, v1, v7
	s_waitcnt lgkmcnt(0)
	v_add_f32_e32 v1, v7, v1
	ds_bpermute_b32 v3, v3, v1
	s_waitcnt lgkmcnt(0)
	v_add_f32_e32 v1, v1, v3
	;; [unrolled: 3-line block ×5, first 2 shown]
	s_and_saveexec_b32 s3, vcc_lo
; %bb.470:
	ds_write_b32 v5, v1 offset:464
; %bb.471:
	s_or_b32 exec_lo, exec_lo, s3
	s_waitcnt lgkmcnt(0)
	s_barrier
	buffer_gl0_inv
	s_and_saveexec_b32 s3, s1
; %bb.472:
	ds_read_b32 v1, v6 offset:464
; %bb.473:
	s_or_b32 exec_lo, exec_lo, s3
	s_waitcnt lgkmcnt(0)
	ds_bpermute_b32 v3, v26, v1
	v_lshlrev_b32_e32 v4, 2, v12
	s_waitcnt lgkmcnt(0)
	v_add_f32_e32 v1, v1, v3
	ds_bpermute_b32 v3, v27, v1
	s_waitcnt lgkmcnt(0)
	v_add_f32_e32 v1, v1, v3
	v_and_b32_e32 v3, 0xffffff80, v4
	ds_bpermute_b32 v1, v3, v1
	s_and_saveexec_b32 s1, s2
	s_cbranch_execz .LBB222_476
; %bb.474:
	s_waitcnt lgkmcnt(0)
	v_add_f32_e32 v3, 0x358637bd, v1
	s_mov_b32 s2, 0
	v_div_scale_f32 v4, null, v3, v3, 1.0
	v_div_scale_f32 v7, vcc_lo, 1.0, v3, 1.0
	v_rcp_f32_e32 v5, v4
	v_fma_f32 v6, -v4, v5, 1.0
	v_fmac_f32_e32 v5, v6, v5
	v_mul_f32_e32 v6, v7, v5
	v_fma_f32 v8, -v4, v6, v7
	v_fmac_f32_e32 v6, v8, v5
	v_fma_f32 v4, -v4, v6, v7
	v_div_fmas_f32 v4, v4, v5, v6
	v_div_fixup_f32 v3, v4, v3, 1.0
	v_mov_b32_e32 v4, v105
.LBB222_475:                            ; =>This Inner Loop Header: Depth=1
	ds_read_b32 v5, v2
	v_add_nc_u32_e32 v4, 0x80, v4
	v_cmp_le_i32_e32 vcc_lo, s4, v4
	s_or_b32 s2, vcc_lo, s2
	s_waitcnt lgkmcnt(0)
	v_mul_f32_e32 v5, v3, v5
	ds_write_b32 v2, v5
	v_add_nc_u32_e32 v2, 0x200, v2
	s_andn2_b32 exec_lo, exec_lo, s2
	s_cbranch_execnz .LBB222_475
.LBB222_476:
	s_or_b32 exec_lo, exec_lo, s1
	s_mul_i32 s1, s7, s26
	s_waitcnt lgkmcnt(0)
	s_mul_i32 s2, s1, s9
	s_mov_b32 s1, exec_lo
	s_barrier
	buffer_gl0_inv
	v_cmpx_eq_u32_e32 0, v105
	s_cbranch_execz .LBB222_478
; %bb.477:
	s_ashr_i32 s3, s2, 31
	s_mul_i32 s16, s7, s6
	s_lshl_b64 s[4:5], s[2:3], 2
	v_mov_b32_e32 v2, 0
	s_add_u32 s3, s22, s4
	s_addc_u32 s6, s23, s5
	s_ashr_i32 s17, s16, 31
	s_lshl_b64 s[16:17], s[16:17], 2
	s_add_u32 s3, s3, s16
	s_addc_u32 s6, s6, s17
	s_ashr_i32 s9, s8, 31
	s_lshl_b64 s[22:23], s[8:9], 2
	s_add_u32 s36, s3, s22
	s_addc_u32 s37, s6, s23
	s_add_u32 s3, s20, s4
	s_addc_u32 s4, s21, s5
	;; [unrolled: 2-line block ×4, first 2 shown]
	global_store_dword v2, v0, s[36:37]
	global_store_dword v2, v1, s[4:5]
.LBB222_478:
	s_or_b32 exec_lo, exec_lo, s1
	v_mov_b32_e32 v39, 0
	v_and_b32_e32 v28, 3, v105
	v_mov_b32_e32 v41, 0
	v_mov_b32_e32 v40, 0
	;; [unrolled: 1-line block ×13, first 2 shown]
	s_and_saveexec_b32 s1, s0
	s_cbranch_execz .LBB222_958
; %bb.479:
	s_load_dword s3, s[18:19], 0x0
	v_and_b32_e32 v0, 12, v11
	v_and_b32_e32 v1, 0x7c, v11
	v_lshl_add_u32 v3, v106, 4, s33
	s_ashr_i32 s0, s14, 31
	s_add_u32 s4, s34, s14
	v_lshlrev_b32_e32 v2, 4, v28
	s_addc_u32 s0, s35, s0
	v_add_co_u32 v7, s4, s4, v1
	v_add3_u32 v42, v3, v0, 3
	v_lshlrev_b64 v[0:1], 2, v[57:58]
	v_add_co_ci_u32_e64 v8, null, s0, 0, s4
	s_lshl_b64 s[4:5], s[30:31], 2
	s_add_i32 s12, s12, -1
	v_lshl_or_b32 v2, v106, 6, v2
	s_add_u32 s0, s28, s4
	s_addc_u32 s4, s29, s5
	v_add_co_u32 v9, vcc_lo, s0, v0
	v_mov_b32_e32 v6, 0
	v_add_nc_u32_e32 v43, 0x1e0, v2
	v_add_co_ci_u32_e64 v10, null, s4, v1, vcc_lo
	v_mov_b32_e32 v44, 0x80
	v_bfrev_b32_e32 v12, 1
	v_mov_b32_e32 v45, 0xffff
	v_mov_b32_e32 v14, 0x7f800001
	v_mov_b32_e32 v46, 0xff
	v_mov_b32_e32 v47, 7
	v_mov_b32_e32 v48, 24
	v_mov_b32_e32 v0, 0
	v_mov_b32_e32 v29, 0
	v_mov_b32_e32 v30, 0
	v_mov_b32_e32 v31, 0
	v_mov_b32_e32 v32, 0
	v_mov_b32_e32 v33, 0
	v_mov_b32_e32 v34, 0
	v_mov_b32_e32 v35, 0
	v_mov_b32_e32 v36, 0
	v_mov_b32_e32 v37, 0
	v_mov_b32_e32 v38, 0
	v_mov_b32_e32 v40, 0
	v_mov_b32_e32 v41, 0
	v_mov_b32_e32 v39, 0
	s_mov_b32 s4, s13
	s_waitcnt lgkmcnt(0)
	s_mov_b32 s6, s3
	s_mov_b32 s5, 0
	s_branch .LBB222_481
.LBB222_480:                            ;   in Loop: Header=BB222_481 Depth=1
	s_or_b32 exec_lo, exec_lo, s0
	s_waitcnt lgkmcnt(0)
	v_mul_f32_e32 v16, v1, v102
	v_mul_f32_e32 v17, v1, v100
	;; [unrolled: 1-line block ×5, first 2 shown]
	v_fmac_f32_e32 v16, v2, v101
	v_fmac_f32_e32 v17, v2, v99
	;; [unrolled: 1-line block ×14, first 2 shown]
	v_add_nc_u32_e32 v57, 4, v57
	v_add_f32_e32 v29, v29, v16
	v_add_f32_e32 v30, v30, v17
	;; [unrolled: 1-line block ×4, first 2 shown]
	v_mul_f32_e32 v16, v1, v84
	v_mul_f32_e32 v17, v1, v80
	;; [unrolled: 1-line block ×4, first 2 shown]
	v_fmac_f32_e32 v20, v4, v85
	v_fmac_f32_e32 v16, v2, v83
	;; [unrolled: 1-line block ×5, first 2 shown]
	v_cmp_le_i32_e32 vcc_lo, s11, v57
	v_fmac_f32_e32 v16, v3, v82
	v_fmac_f32_e32 v17, v3, v78
	;; [unrolled: 1-line block ×4, first 2 shown]
	v_add_co_u32 v9, s0, v9, 16
	v_fmac_f32_e32 v16, v4, v81
	v_fmac_f32_e32 v17, v4, v77
	;; [unrolled: 1-line block ×4, first 2 shown]
	v_add_f32_e32 v33, v33, v20
	v_add_f32_e32 v34, v34, v16
	;; [unrolled: 1-line block ×3, first 2 shown]
	v_mul_f32_e32 v16, v1, v68
	v_add_f32_e32 v36, v36, v18
	v_add_f32_e32 v37, v37, v19
	v_mul_f32_e32 v17, v1, v64
	v_mul_f32_e32 v18, v1, v60
	;; [unrolled: 1-line block ×4, first 2 shown]
	v_fmac_f32_e32 v16, v2, v67
	v_fmac_f32_e32 v17, v2, v63
	;; [unrolled: 1-line block ×15, first 2 shown]
	v_add_f32_e32 v38, v38, v16
	v_add_f32_e32 v40, v40, v17
	;; [unrolled: 1-line block ×5, first 2 shown]
	v_add_nc_u32_e32 v42, 64, v42
	v_add_nc_u32_e32 v43, 0x100, v43
	v_add_co_ci_u32_e64 v10, null, 0, v10, s0
	s_or_b32 s5, vcc_lo, s5
	s_andn2_b32 exec_lo, exec_lo, s5
	s_cbranch_execz .LBB222_957
.LBB222_481:                            ; =>This Inner Loop Header: Depth=1
	global_load_dword v1, v[9:10], off
	v_mov_b32_e32 v19, 0
	v_mov_b32_e32 v17, 0
	v_mov_b32_e32 v20, 0
	v_mov_b32_e32 v18, 0
	s_waitcnt vmcnt(0)
	v_mad_i64_i32 v[15:16], null, v1, s4, v[7:8]
	ds_read_b128 v[1:4], v43
	global_load_dword v49, v[15:16], off
	s_waitcnt vmcnt(0)
	v_cmp_ne_u16_sdwa s9, v49, v6 src0_sel:BYTE_0 src1_sel:DWORD
	s_and_saveexec_b32 s0, s9
	s_cbranch_execz .LBB222_489
; %bb.482:                              ;   in Loop: Header=BB222_481 Depth=1
	v_bfrev_b32_e32 v17, 1
	v_mov_b32_e32 v18, 0
	v_cmp_ne_u16_sdwa s13, v49, v44 src0_sel:BYTE_0 src1_sel:DWORD
	s_and_saveexec_b32 s9, s13
	s_cbranch_execz .LBB222_488
; %bb.483:                              ;   in Loop: Header=BB222_481 Depth=1
	v_mov_b32_e32 v17, 0x7f800001
	v_and_b32_e32 v13, 0x7f, v49
	v_mov_b32_e32 v18, 0
	s_mov_b32 s13, exec_lo
	v_cmpx_ne_u32_e32 0x7f, v13
	s_cbranch_execz .LBB222_487
; %bb.484:                              ;   in Loop: Header=BB222_481 Depth=1
	v_and_b32_e32 v5, 7, v49
	v_lshrrev_b32_e32 v11, 3, v13
	s_mov_b32 s14, exec_lo
	v_cmpx_gt_u32_e32 8, v13
; %bb.485:                              ;   in Loop: Header=BB222_481 Depth=1
	v_ffbh_u32_e32 v11, v5
	v_min_u32_e32 v11, 32, v11
	v_subrev_nc_u32_e32 v13, 28, v11
	v_sub_nc_u32_e32 v11, 29, v11
	v_lshlrev_b64 v[17:18], v13, v[5:6]
	v_and_b32_e32 v5, 7, v17
; %bb.486:                              ;   in Loop: Header=BB222_481 Depth=1
	s_or_b32 exec_lo, exec_lo, s14
	v_lshlrev_b32_e32 v13, 24, v49
	v_lshlrev_b32_e32 v5, 20, v5
	v_lshl_add_u32 v11, v11, 23, 0x3c000000
	v_and_b32_e32 v13, 0x80000000, v13
	v_or3_b32 v5, v5, v13, v11
	v_mov_b32_e32 v18, v6
	v_mov_b32_e32 v17, v5
.LBB222_487:                            ;   in Loop: Header=BB222_481 Depth=1
	s_or_b32 exec_lo, exec_lo, s13
.LBB222_488:                            ;   in Loop: Header=BB222_481 Depth=1
	s_or_b32 exec_lo, exec_lo, s9
.LBB222_489:                            ;   in Loop: Header=BB222_481 Depth=1
	s_or_b32 exec_lo, exec_lo, s0
	v_cmp_ne_u16_sdwa s9, v49, v6 src0_sel:BYTE_1 src1_sel:DWORD
	s_and_saveexec_b32 s0, s9
	s_cbranch_execz .LBB222_497
; %bb.490:                              ;   in Loop: Header=BB222_481 Depth=1
	v_mov_b32_e32 v11, v6
	v_mov_b32_e32 v20, v12
	v_cmp_ne_u16_sdwa s13, v49, v44 src0_sel:BYTE_1 src1_sel:DWORD
	v_mov_b32_e32 v19, v11
	s_and_saveexec_b32 s9, s13
	s_cbranch_execz .LBB222_496
; %bb.491:                              ;   in Loop: Header=BB222_481 Depth=1
	v_and_b32_sdwa v5, v45, v49 dst_sel:DWORD dst_unused:UNUSED_PAD src0_sel:DWORD src1_sel:BYTE_1
	v_mov_b32_e32 v13, v6
	v_mov_b32_e32 v20, v14
	s_mov_b32 s13, exec_lo
	v_and_b32_e32 v21, 0x7f, v5
	v_mov_b32_e32 v19, v13
	v_cmpx_ne_u32_e32 0x7f, v21
	s_cbranch_execz .LBB222_495
; %bb.492:                              ;   in Loop: Header=BB222_481 Depth=1
	v_and_b32_e32 v5, 7, v5
	v_lshrrev_b32_e32 v11, 3, v21
	s_mov_b32 s14, exec_lo
	v_cmpx_gt_u32_e32 8, v21
; %bb.493:                              ;   in Loop: Header=BB222_481 Depth=1
	v_ffbh_u32_e32 v11, v5
	v_min_u32_e32 v11, 32, v11
	v_subrev_nc_u32_e32 v13, 28, v11
	v_sub_nc_u32_e32 v11, 29, v11
	v_lshlrev_b64 v[19:20], v13, v[5:6]
	v_and_b32_e32 v5, 7, v19
; %bb.494:                              ;   in Loop: Header=BB222_481 Depth=1
	s_or_b32 exec_lo, exec_lo, s14
	v_lshlrev_b32_e32 v13, 16, v49
	v_lshlrev_b32_e32 v5, 20, v5
	v_lshl_add_u32 v11, v11, 23, 0x3c000000
	v_mov_b32_e32 v19, v6
	v_and_b32_e32 v13, 0x80000000, v13
	v_or3_b32 v20, v5, v13, v11
.LBB222_495:                            ;   in Loop: Header=BB222_481 Depth=1
	s_or_b32 exec_lo, exec_lo, s13
.LBB222_496:                            ;   in Loop: Header=BB222_481 Depth=1
	s_or_b32 exec_lo, exec_lo, s9
.LBB222_497:                            ;   in Loop: Header=BB222_481 Depth=1
	s_or_b32 exec_lo, exec_lo, s0
	v_mov_b32_e32 v23, 0
	v_mov_b32_e32 v21, 0
	v_and_b32_sdwa v5, v49, v46 dst_sel:DWORD dst_unused:UNUSED_PAD src0_sel:WORD_1 src1_sel:DWORD
	v_mov_b32_e32 v24, 0
	v_mov_b32_e32 v22, 0
	s_mov_b32 s0, exec_lo
	v_cmpx_ne_u16_e32 0, v5
	s_cbranch_execz .LBB222_505
; %bb.498:                              ;   in Loop: Header=BB222_481 Depth=1
	v_bfrev_b32_e32 v21, 1
	v_mov_b32_e32 v22, 0
	s_mov_b32 s9, exec_lo
	v_cmpx_ne_u16_e32 0x80, v5
	s_cbranch_execz .LBB222_504
; %bb.499:                              ;   in Loop: Header=BB222_481 Depth=1
	v_mov_b32_e32 v21, 0x7f800001
	v_bfe_u32 v13, v49, 16, 7
	v_mov_b32_e32 v22, 0
	s_mov_b32 s13, exec_lo
	v_cmpx_ne_u32_e32 0x7f, v13
	s_cbranch_execz .LBB222_503
; %bb.500:                              ;   in Loop: Header=BB222_481 Depth=1
	v_and_b32_sdwa v5, v49, v47 dst_sel:DWORD dst_unused:UNUSED_PAD src0_sel:WORD_1 src1_sel:DWORD
	v_lshrrev_b32_e32 v11, 3, v13
	s_mov_b32 s14, exec_lo
	v_cmpx_gt_u32_e32 8, v13
; %bb.501:                              ;   in Loop: Header=BB222_481 Depth=1
	v_ffbh_u32_e32 v11, v5
	v_min_u32_e32 v11, 32, v11
	v_subrev_nc_u32_e32 v13, 28, v11
	v_sub_nc_u32_e32 v11, 29, v11
	v_lshlrev_b64 v[21:22], v13, v[5:6]
	v_and_b32_e32 v5, 7, v21
; %bb.502:                              ;   in Loop: Header=BB222_481 Depth=1
	s_or_b32 exec_lo, exec_lo, s14
	v_lshlrev_b32_sdwa v13, v48, v49 dst_sel:DWORD dst_unused:UNUSED_PAD src0_sel:DWORD src1_sel:WORD_1
	v_lshlrev_b32_e32 v5, 20, v5
	v_lshl_add_u32 v11, v11, 23, 0x3c000000
	v_and_b32_e32 v13, 0x80000000, v13
	v_or3_b32 v5, v5, v13, v11
	v_mov_b32_e32 v22, v6
	v_mov_b32_e32 v21, v5
.LBB222_503:                            ;   in Loop: Header=BB222_481 Depth=1
	s_or_b32 exec_lo, exec_lo, s13
.LBB222_504:                            ;   in Loop: Header=BB222_481 Depth=1
	s_or_b32 exec_lo, exec_lo, s9
.LBB222_505:                            ;   in Loop: Header=BB222_481 Depth=1
	s_or_b32 exec_lo, exec_lo, s0
	s_mov_b32 s0, exec_lo
	v_cmpx_lt_u32_e32 0xffffff, v49
	s_cbranch_execz .LBB222_513
; %bb.506:                              ;   in Loop: Header=BB222_481 Depth=1
	v_mov_b32_e32 v11, v6
	v_mov_b32_e32 v24, v12
	v_cmp_ne_u32_sdwa s13, v49, v44 src0_sel:BYTE_3 src1_sel:DWORD
	v_mov_b32_e32 v23, v11
	s_and_saveexec_b32 s9, s13
	s_cbranch_execz .LBB222_512
; %bb.507:                              ;   in Loop: Header=BB222_481 Depth=1
	v_mov_b32_e32 v13, v6
	v_mov_b32_e32 v24, v14
	v_bfe_u32 v50, v49, 24, 7
	s_mov_b32 s13, exec_lo
	v_mov_b32_e32 v23, v13
	v_cmpx_ne_u32_e32 0x7f, v50
	s_cbranch_execz .LBB222_511
; %bb.508:                              ;   in Loop: Header=BB222_481 Depth=1
	v_and_b32_sdwa v5, v49, v47 dst_sel:DWORD dst_unused:UNUSED_PAD src0_sel:BYTE_3 src1_sel:DWORD
	v_lshrrev_b32_e32 v11, 3, v50
	s_mov_b32 s14, exec_lo
	v_cmpx_gt_u32_e32 8, v50
; %bb.509:                              ;   in Loop: Header=BB222_481 Depth=1
	v_ffbh_u32_e32 v11, v5
	v_min_u32_e32 v11, 32, v11
	v_subrev_nc_u32_e32 v13, 28, v11
	v_sub_nc_u32_e32 v11, 29, v11
	v_lshlrev_b64 v[23:24], v13, v[5:6]
	v_and_b32_e32 v5, 7, v23
; %bb.510:                              ;   in Loop: Header=BB222_481 Depth=1
	s_or_b32 exec_lo, exec_lo, s14
	v_lshlrev_b32_sdwa v13, v48, v49 dst_sel:DWORD dst_unused:UNUSED_PAD src0_sel:DWORD src1_sel:BYTE_3
	v_lshlrev_b32_e32 v5, 20, v5
	v_lshl_add_u32 v11, v11, 23, 0x3c000000
	v_mov_b32_e32 v23, v6
	v_and_b32_e32 v13, 0x80000000, v13
	v_or3_b32 v24, v5, v13, v11
.LBB222_511:                            ;   in Loop: Header=BB222_481 Depth=1
	s_or_b32 exec_lo, exec_lo, s13
.LBB222_512:                            ;   in Loop: Header=BB222_481 Depth=1
	s_or_b32 exec_lo, exec_lo, s9
.LBB222_513:                            ;   in Loop: Header=BB222_481 Depth=1
	s_or_b32 exec_lo, exec_lo, s0
	v_or_b32_e32 v5, v20, v18
	v_or_b32_e32 v11, v19, v17
	v_or_b32_e32 v13, v23, v21
	v_or_b32_e32 v17, v24, v22
	v_add_nc_u32_e32 v53, -3, v42
	v_cmp_eq_u32_e32 vcc_lo, s12, v57
	v_mul_f32_e32 v51, s6, v5
	v_mul_f32_e32 v52, s3, v11
	;; [unrolled: 1-line block ×4, first 2 shown]
	v_add_nc_u32_e32 v55, -2, v42
	v_add_nc_u32_e32 v54, -1, v42
	s_and_saveexec_b32 s9, vcc_lo
	s_cbranch_execz .LBB222_515
; %bb.514:                              ;   in Loop: Header=BB222_481 Depth=1
	v_cmp_gt_i32_e64 s0, s27, v53
	v_cndmask_b32_e64 v52, 0, v52, s0
	v_cmp_gt_i32_e64 s0, s27, v55
	v_cndmask_b32_e64 v51, 0, v51, s0
	;; [unrolled: 2-line block ×4, first 2 shown]
.LBB222_515:                            ;   in Loop: Header=BB222_481 Depth=1
	s_or_b32 exec_lo, exec_lo, s9
	global_load_dword v56, v[15:16], off offset:128
	v_mov_b32_e32 v19, 0
	v_mov_b32_e32 v17, 0
	;; [unrolled: 1-line block ×4, first 2 shown]
	s_waitcnt vmcnt(0)
	v_cmp_ne_u16_sdwa s0, v56, v6 src0_sel:BYTE_0 src1_sel:DWORD
	s_and_saveexec_b32 s9, s0
	s_cbranch_execz .LBB222_523
; %bb.516:                              ;   in Loop: Header=BB222_481 Depth=1
	v_bfrev_b32_e32 v17, 1
	v_mov_b32_e32 v18, 0
	v_cmp_ne_u16_sdwa s0, v56, v44 src0_sel:BYTE_0 src1_sel:DWORD
	s_and_saveexec_b32 s13, s0
	s_cbranch_execz .LBB222_522
; %bb.517:                              ;   in Loop: Header=BB222_481 Depth=1
	v_mov_b32_e32 v17, 0x7f800001
	v_and_b32_e32 v13, 0x7f, v56
	v_mov_b32_e32 v18, 0
	s_mov_b32 s14, exec_lo
	v_cmpx_ne_u32_e32 0x7f, v13
	s_cbranch_execz .LBB222_521
; %bb.518:                              ;   in Loop: Header=BB222_481 Depth=1
	v_and_b32_e32 v5, 7, v56
	v_lshrrev_b32_e32 v11, 3, v13
	s_mov_b32 s15, exec_lo
	v_cmpx_gt_u32_e32 8, v13
; %bb.519:                              ;   in Loop: Header=BB222_481 Depth=1
	v_ffbh_u32_e32 v11, v5
	v_min_u32_e32 v11, 32, v11
	v_subrev_nc_u32_e32 v13, 28, v11
	v_sub_nc_u32_e32 v11, 29, v11
	v_lshlrev_b64 v[17:18], v13, v[5:6]
	v_and_b32_e32 v5, 7, v17
; %bb.520:                              ;   in Loop: Header=BB222_481 Depth=1
	s_or_b32 exec_lo, exec_lo, s15
	v_lshlrev_b32_e32 v13, 24, v56
	v_lshlrev_b32_e32 v5, 20, v5
	v_lshl_add_u32 v11, v11, 23, 0x3c000000
	v_and_b32_e32 v13, 0x80000000, v13
	v_or3_b32 v5, v5, v13, v11
	v_mov_b32_e32 v18, v6
	v_mov_b32_e32 v17, v5
.LBB222_521:                            ;   in Loop: Header=BB222_481 Depth=1
	s_or_b32 exec_lo, exec_lo, s14
.LBB222_522:                            ;   in Loop: Header=BB222_481 Depth=1
	s_or_b32 exec_lo, exec_lo, s13
.LBB222_523:                            ;   in Loop: Header=BB222_481 Depth=1
	s_or_b32 exec_lo, exec_lo, s9
	v_cmp_ne_u16_sdwa s0, v56, v6 src0_sel:BYTE_1 src1_sel:DWORD
	s_and_saveexec_b32 s9, s0
	s_cbranch_execz .LBB222_531
; %bb.524:                              ;   in Loop: Header=BB222_481 Depth=1
	v_mov_b32_e32 v11, v6
	v_mov_b32_e32 v20, v12
	v_cmp_ne_u16_sdwa s0, v56, v44 src0_sel:BYTE_1 src1_sel:DWORD
	v_mov_b32_e32 v19, v11
	s_and_saveexec_b32 s13, s0
	s_cbranch_execz .LBB222_530
; %bb.525:                              ;   in Loop: Header=BB222_481 Depth=1
	v_and_b32_sdwa v5, v45, v56 dst_sel:DWORD dst_unused:UNUSED_PAD src0_sel:DWORD src1_sel:BYTE_1
	v_mov_b32_e32 v13, v6
	v_mov_b32_e32 v20, v14
	s_mov_b32 s14, exec_lo
	v_and_b32_e32 v21, 0x7f, v5
	v_mov_b32_e32 v19, v13
	v_cmpx_ne_u32_e32 0x7f, v21
	s_cbranch_execz .LBB222_529
; %bb.526:                              ;   in Loop: Header=BB222_481 Depth=1
	v_and_b32_e32 v5, 7, v5
	v_lshrrev_b32_e32 v11, 3, v21
	s_mov_b32 s15, exec_lo
	v_cmpx_gt_u32_e32 8, v21
; %bb.527:                              ;   in Loop: Header=BB222_481 Depth=1
	v_ffbh_u32_e32 v11, v5
	v_min_u32_e32 v11, 32, v11
	v_subrev_nc_u32_e32 v13, 28, v11
	v_sub_nc_u32_e32 v11, 29, v11
	v_lshlrev_b64 v[19:20], v13, v[5:6]
	v_and_b32_e32 v5, 7, v19
; %bb.528:                              ;   in Loop: Header=BB222_481 Depth=1
	s_or_b32 exec_lo, exec_lo, s15
	v_lshlrev_b32_e32 v13, 16, v56
	v_lshlrev_b32_e32 v5, 20, v5
	v_lshl_add_u32 v11, v11, 23, 0x3c000000
	v_mov_b32_e32 v19, v6
	v_and_b32_e32 v13, 0x80000000, v13
	v_or3_b32 v20, v5, v13, v11
.LBB222_529:                            ;   in Loop: Header=BB222_481 Depth=1
	s_or_b32 exec_lo, exec_lo, s14
.LBB222_530:                            ;   in Loop: Header=BB222_481 Depth=1
	s_or_b32 exec_lo, exec_lo, s13
.LBB222_531:                            ;   in Loop: Header=BB222_481 Depth=1
	s_or_b32 exec_lo, exec_lo, s9
	v_mov_b32_e32 v23, 0
	v_mov_b32_e32 v21, 0
	v_and_b32_sdwa v5, v56, v46 dst_sel:DWORD dst_unused:UNUSED_PAD src0_sel:WORD_1 src1_sel:DWORD
	v_mov_b32_e32 v24, 0
	v_mov_b32_e32 v22, 0
	s_mov_b32 s9, exec_lo
	v_cmpx_ne_u16_e32 0, v5
	s_cbranch_execz .LBB222_539
; %bb.532:                              ;   in Loop: Header=BB222_481 Depth=1
	v_bfrev_b32_e32 v21, 1
	v_mov_b32_e32 v22, 0
	s_mov_b32 s13, exec_lo
	v_cmpx_ne_u16_e32 0x80, v5
	s_cbranch_execz .LBB222_538
; %bb.533:                              ;   in Loop: Header=BB222_481 Depth=1
	v_mov_b32_e32 v21, 0x7f800001
	v_bfe_u32 v13, v56, 16, 7
	v_mov_b32_e32 v22, 0
	s_mov_b32 s14, exec_lo
	v_cmpx_ne_u32_e32 0x7f, v13
	s_cbranch_execz .LBB222_537
; %bb.534:                              ;   in Loop: Header=BB222_481 Depth=1
	v_and_b32_sdwa v5, v56, v47 dst_sel:DWORD dst_unused:UNUSED_PAD src0_sel:WORD_1 src1_sel:DWORD
	v_lshrrev_b32_e32 v11, 3, v13
	s_mov_b32 s15, exec_lo
	v_cmpx_gt_u32_e32 8, v13
; %bb.535:                              ;   in Loop: Header=BB222_481 Depth=1
	v_ffbh_u32_e32 v11, v5
	v_min_u32_e32 v11, 32, v11
	v_subrev_nc_u32_e32 v13, 28, v11
	v_sub_nc_u32_e32 v11, 29, v11
	v_lshlrev_b64 v[21:22], v13, v[5:6]
	v_and_b32_e32 v5, 7, v21
; %bb.536:                              ;   in Loop: Header=BB222_481 Depth=1
	s_or_b32 exec_lo, exec_lo, s15
	v_lshlrev_b32_sdwa v13, v48, v56 dst_sel:DWORD dst_unused:UNUSED_PAD src0_sel:DWORD src1_sel:WORD_1
	v_lshlrev_b32_e32 v5, 20, v5
	v_lshl_add_u32 v11, v11, 23, 0x3c000000
	v_and_b32_e32 v13, 0x80000000, v13
	v_or3_b32 v5, v5, v13, v11
	v_mov_b32_e32 v22, v6
	v_mov_b32_e32 v21, v5
.LBB222_537:                            ;   in Loop: Header=BB222_481 Depth=1
	s_or_b32 exec_lo, exec_lo, s14
.LBB222_538:                            ;   in Loop: Header=BB222_481 Depth=1
	s_or_b32 exec_lo, exec_lo, s13
.LBB222_539:                            ;   in Loop: Header=BB222_481 Depth=1
	s_or_b32 exec_lo, exec_lo, s9
	s_mov_b32 s9, exec_lo
	v_cmpx_lt_u32_e32 0xffffff, v56
	s_cbranch_execz .LBB222_547
; %bb.540:                              ;   in Loop: Header=BB222_481 Depth=1
	v_mov_b32_e32 v11, v6
	v_mov_b32_e32 v24, v12
	v_cmp_ne_u32_sdwa s0, v56, v44 src0_sel:BYTE_3 src1_sel:DWORD
	v_mov_b32_e32 v23, v11
	s_and_saveexec_b32 s13, s0
	s_cbranch_execz .LBB222_546
; %bb.541:                              ;   in Loop: Header=BB222_481 Depth=1
	v_mov_b32_e32 v13, v6
	v_mov_b32_e32 v24, v14
	v_bfe_u32 v58, v56, 24, 7
	s_mov_b32 s14, exec_lo
	v_mov_b32_e32 v23, v13
	v_cmpx_ne_u32_e32 0x7f, v58
	s_cbranch_execz .LBB222_545
; %bb.542:                              ;   in Loop: Header=BB222_481 Depth=1
	v_and_b32_sdwa v5, v56, v47 dst_sel:DWORD dst_unused:UNUSED_PAD src0_sel:BYTE_3 src1_sel:DWORD
	v_lshrrev_b32_e32 v11, 3, v58
	s_mov_b32 s15, exec_lo
	v_cmpx_gt_u32_e32 8, v58
; %bb.543:                              ;   in Loop: Header=BB222_481 Depth=1
	v_ffbh_u32_e32 v11, v5
	v_min_u32_e32 v11, 32, v11
	v_subrev_nc_u32_e32 v13, 28, v11
	v_sub_nc_u32_e32 v11, 29, v11
	v_lshlrev_b64 v[23:24], v13, v[5:6]
	v_and_b32_e32 v5, 7, v23
; %bb.544:                              ;   in Loop: Header=BB222_481 Depth=1
	s_or_b32 exec_lo, exec_lo, s15
	v_lshlrev_b32_sdwa v13, v48, v56 dst_sel:DWORD dst_unused:UNUSED_PAD src0_sel:DWORD src1_sel:BYTE_3
	v_lshlrev_b32_e32 v5, 20, v5
	v_lshl_add_u32 v11, v11, 23, 0x3c000000
	v_mov_b32_e32 v23, v6
	v_and_b32_e32 v13, 0x80000000, v13
	v_or3_b32 v24, v5, v13, v11
.LBB222_545:                            ;   in Loop: Header=BB222_481 Depth=1
	s_or_b32 exec_lo, exec_lo, s14
.LBB222_546:                            ;   in Loop: Header=BB222_481 Depth=1
	s_or_b32 exec_lo, exec_lo, s13
.LBB222_547:                            ;   in Loop: Header=BB222_481 Depth=1
	s_or_b32 exec_lo, exec_lo, s9
	v_or_b32_e32 v5, v20, v18
	v_or_b32_e32 v11, v19, v17
	;; [unrolled: 1-line block ×4, first 2 shown]
	v_mul_f32_e32 v59, s6, v5
	v_mul_f32_e32 v60, s3, v11
	;; [unrolled: 1-line block ×4, first 2 shown]
	s_and_saveexec_b32 s9, vcc_lo
	s_cbranch_execz .LBB222_549
; %bb.548:                              ;   in Loop: Header=BB222_481 Depth=1
	v_cmp_gt_i32_e64 s0, s27, v53
	v_cndmask_b32_e64 v60, 0, v60, s0
	v_cmp_gt_i32_e64 s0, s27, v55
	v_cndmask_b32_e64 v59, 0, v59, s0
	;; [unrolled: 2-line block ×4, first 2 shown]
.LBB222_549:                            ;   in Loop: Header=BB222_481 Depth=1
	s_or_b32 exec_lo, exec_lo, s9
	global_load_dword v61, v[15:16], off offset:256
	v_mov_b32_e32 v19, 0
	v_mov_b32_e32 v17, 0
	;; [unrolled: 1-line block ×4, first 2 shown]
	s_waitcnt vmcnt(0)
	v_cmp_ne_u16_sdwa s0, v61, v6 src0_sel:BYTE_0 src1_sel:DWORD
	s_and_saveexec_b32 s9, s0
	s_cbranch_execz .LBB222_557
; %bb.550:                              ;   in Loop: Header=BB222_481 Depth=1
	v_bfrev_b32_e32 v17, 1
	v_mov_b32_e32 v18, 0
	v_cmp_ne_u16_sdwa s0, v61, v44 src0_sel:BYTE_0 src1_sel:DWORD
	s_and_saveexec_b32 s13, s0
	s_cbranch_execz .LBB222_556
; %bb.551:                              ;   in Loop: Header=BB222_481 Depth=1
	v_mov_b32_e32 v17, 0x7f800001
	v_and_b32_e32 v13, 0x7f, v61
	v_mov_b32_e32 v18, 0
	s_mov_b32 s14, exec_lo
	v_cmpx_ne_u32_e32 0x7f, v13
	s_cbranch_execz .LBB222_555
; %bb.552:                              ;   in Loop: Header=BB222_481 Depth=1
	v_and_b32_e32 v5, 7, v61
	v_lshrrev_b32_e32 v11, 3, v13
	s_mov_b32 s15, exec_lo
	v_cmpx_gt_u32_e32 8, v13
; %bb.553:                              ;   in Loop: Header=BB222_481 Depth=1
	v_ffbh_u32_e32 v11, v5
	v_min_u32_e32 v11, 32, v11
	v_subrev_nc_u32_e32 v13, 28, v11
	v_sub_nc_u32_e32 v11, 29, v11
	v_lshlrev_b64 v[17:18], v13, v[5:6]
	v_and_b32_e32 v5, 7, v17
; %bb.554:                              ;   in Loop: Header=BB222_481 Depth=1
	s_or_b32 exec_lo, exec_lo, s15
	v_lshlrev_b32_e32 v13, 24, v61
	v_lshlrev_b32_e32 v5, 20, v5
	v_lshl_add_u32 v11, v11, 23, 0x3c000000
	v_and_b32_e32 v13, 0x80000000, v13
	v_or3_b32 v5, v5, v13, v11
	v_mov_b32_e32 v18, v6
	v_mov_b32_e32 v17, v5
.LBB222_555:                            ;   in Loop: Header=BB222_481 Depth=1
	s_or_b32 exec_lo, exec_lo, s14
.LBB222_556:                            ;   in Loop: Header=BB222_481 Depth=1
	s_or_b32 exec_lo, exec_lo, s13
.LBB222_557:                            ;   in Loop: Header=BB222_481 Depth=1
	s_or_b32 exec_lo, exec_lo, s9
	v_cmp_ne_u16_sdwa s0, v61, v6 src0_sel:BYTE_1 src1_sel:DWORD
	s_and_saveexec_b32 s9, s0
	s_cbranch_execz .LBB222_565
; %bb.558:                              ;   in Loop: Header=BB222_481 Depth=1
	v_mov_b32_e32 v11, v6
	v_mov_b32_e32 v20, v12
	v_cmp_ne_u16_sdwa s0, v61, v44 src0_sel:BYTE_1 src1_sel:DWORD
	v_mov_b32_e32 v19, v11
	s_and_saveexec_b32 s13, s0
	s_cbranch_execz .LBB222_564
; %bb.559:                              ;   in Loop: Header=BB222_481 Depth=1
	v_and_b32_sdwa v5, v45, v61 dst_sel:DWORD dst_unused:UNUSED_PAD src0_sel:DWORD src1_sel:BYTE_1
	v_mov_b32_e32 v13, v6
	v_mov_b32_e32 v20, v14
	s_mov_b32 s14, exec_lo
	v_and_b32_e32 v21, 0x7f, v5
	v_mov_b32_e32 v19, v13
	v_cmpx_ne_u32_e32 0x7f, v21
	s_cbranch_execz .LBB222_563
; %bb.560:                              ;   in Loop: Header=BB222_481 Depth=1
	v_and_b32_e32 v5, 7, v5
	v_lshrrev_b32_e32 v11, 3, v21
	s_mov_b32 s15, exec_lo
	v_cmpx_gt_u32_e32 8, v21
; %bb.561:                              ;   in Loop: Header=BB222_481 Depth=1
	v_ffbh_u32_e32 v11, v5
	v_min_u32_e32 v11, 32, v11
	v_subrev_nc_u32_e32 v13, 28, v11
	v_sub_nc_u32_e32 v11, 29, v11
	v_lshlrev_b64 v[19:20], v13, v[5:6]
	v_and_b32_e32 v5, 7, v19
; %bb.562:                              ;   in Loop: Header=BB222_481 Depth=1
	s_or_b32 exec_lo, exec_lo, s15
	v_lshlrev_b32_e32 v13, 16, v61
	v_lshlrev_b32_e32 v5, 20, v5
	v_lshl_add_u32 v11, v11, 23, 0x3c000000
	v_mov_b32_e32 v19, v6
	v_and_b32_e32 v13, 0x80000000, v13
	v_or3_b32 v20, v5, v13, v11
.LBB222_563:                            ;   in Loop: Header=BB222_481 Depth=1
	s_or_b32 exec_lo, exec_lo, s14
.LBB222_564:                            ;   in Loop: Header=BB222_481 Depth=1
	s_or_b32 exec_lo, exec_lo, s13
.LBB222_565:                            ;   in Loop: Header=BB222_481 Depth=1
	s_or_b32 exec_lo, exec_lo, s9
	v_mov_b32_e32 v23, 0
	v_mov_b32_e32 v21, 0
	v_and_b32_sdwa v5, v61, v46 dst_sel:DWORD dst_unused:UNUSED_PAD src0_sel:WORD_1 src1_sel:DWORD
	v_mov_b32_e32 v24, 0
	v_mov_b32_e32 v22, 0
	s_mov_b32 s9, exec_lo
	v_cmpx_ne_u16_e32 0, v5
	s_cbranch_execz .LBB222_573
; %bb.566:                              ;   in Loop: Header=BB222_481 Depth=1
	v_bfrev_b32_e32 v21, 1
	v_mov_b32_e32 v22, 0
	s_mov_b32 s13, exec_lo
	v_cmpx_ne_u16_e32 0x80, v5
	s_cbranch_execz .LBB222_572
; %bb.567:                              ;   in Loop: Header=BB222_481 Depth=1
	v_mov_b32_e32 v21, 0x7f800001
	v_bfe_u32 v13, v61, 16, 7
	v_mov_b32_e32 v22, 0
	s_mov_b32 s14, exec_lo
	v_cmpx_ne_u32_e32 0x7f, v13
	s_cbranch_execz .LBB222_571
; %bb.568:                              ;   in Loop: Header=BB222_481 Depth=1
	v_and_b32_sdwa v5, v61, v47 dst_sel:DWORD dst_unused:UNUSED_PAD src0_sel:WORD_1 src1_sel:DWORD
	v_lshrrev_b32_e32 v11, 3, v13
	s_mov_b32 s15, exec_lo
	v_cmpx_gt_u32_e32 8, v13
; %bb.569:                              ;   in Loop: Header=BB222_481 Depth=1
	v_ffbh_u32_e32 v11, v5
	v_min_u32_e32 v11, 32, v11
	v_subrev_nc_u32_e32 v13, 28, v11
	v_sub_nc_u32_e32 v11, 29, v11
	v_lshlrev_b64 v[21:22], v13, v[5:6]
	v_and_b32_e32 v5, 7, v21
; %bb.570:                              ;   in Loop: Header=BB222_481 Depth=1
	s_or_b32 exec_lo, exec_lo, s15
	v_lshlrev_b32_sdwa v13, v48, v61 dst_sel:DWORD dst_unused:UNUSED_PAD src0_sel:DWORD src1_sel:WORD_1
	v_lshlrev_b32_e32 v5, 20, v5
	v_lshl_add_u32 v11, v11, 23, 0x3c000000
	v_and_b32_e32 v13, 0x80000000, v13
	v_or3_b32 v5, v5, v13, v11
	v_mov_b32_e32 v22, v6
	v_mov_b32_e32 v21, v5
.LBB222_571:                            ;   in Loop: Header=BB222_481 Depth=1
	s_or_b32 exec_lo, exec_lo, s14
.LBB222_572:                            ;   in Loop: Header=BB222_481 Depth=1
	s_or_b32 exec_lo, exec_lo, s13
.LBB222_573:                            ;   in Loop: Header=BB222_481 Depth=1
	s_or_b32 exec_lo, exec_lo, s9
	s_mov_b32 s9, exec_lo
	v_cmpx_lt_u32_e32 0xffffff, v61
	s_cbranch_execz .LBB222_581
; %bb.574:                              ;   in Loop: Header=BB222_481 Depth=1
	v_mov_b32_e32 v11, v6
	v_mov_b32_e32 v24, v12
	v_cmp_ne_u32_sdwa s0, v61, v44 src0_sel:BYTE_3 src1_sel:DWORD
	v_mov_b32_e32 v23, v11
	s_and_saveexec_b32 s13, s0
	s_cbranch_execz .LBB222_580
; %bb.575:                              ;   in Loop: Header=BB222_481 Depth=1
	v_mov_b32_e32 v13, v6
	v_mov_b32_e32 v24, v14
	v_bfe_u32 v62, v61, 24, 7
	s_mov_b32 s14, exec_lo
	v_mov_b32_e32 v23, v13
	v_cmpx_ne_u32_e32 0x7f, v62
	s_cbranch_execz .LBB222_579
; %bb.576:                              ;   in Loop: Header=BB222_481 Depth=1
	v_and_b32_sdwa v5, v61, v47 dst_sel:DWORD dst_unused:UNUSED_PAD src0_sel:BYTE_3 src1_sel:DWORD
	v_lshrrev_b32_e32 v11, 3, v62
	s_mov_b32 s15, exec_lo
	v_cmpx_gt_u32_e32 8, v62
; %bb.577:                              ;   in Loop: Header=BB222_481 Depth=1
	v_ffbh_u32_e32 v11, v5
	v_min_u32_e32 v11, 32, v11
	v_subrev_nc_u32_e32 v13, 28, v11
	v_sub_nc_u32_e32 v11, 29, v11
	v_lshlrev_b64 v[23:24], v13, v[5:6]
	v_and_b32_e32 v5, 7, v23
; %bb.578:                              ;   in Loop: Header=BB222_481 Depth=1
	s_or_b32 exec_lo, exec_lo, s15
	v_lshlrev_b32_sdwa v13, v48, v61 dst_sel:DWORD dst_unused:UNUSED_PAD src0_sel:DWORD src1_sel:BYTE_3
	v_lshlrev_b32_e32 v5, 20, v5
	v_lshl_add_u32 v11, v11, 23, 0x3c000000
	v_mov_b32_e32 v23, v6
	v_and_b32_e32 v13, 0x80000000, v13
	v_or3_b32 v24, v5, v13, v11
.LBB222_579:                            ;   in Loop: Header=BB222_481 Depth=1
	s_or_b32 exec_lo, exec_lo, s14
.LBB222_580:                            ;   in Loop: Header=BB222_481 Depth=1
	s_or_b32 exec_lo, exec_lo, s13
.LBB222_581:                            ;   in Loop: Header=BB222_481 Depth=1
	s_or_b32 exec_lo, exec_lo, s9
	v_or_b32_e32 v5, v20, v18
	v_or_b32_e32 v11, v19, v17
	;; [unrolled: 1-line block ×4, first 2 shown]
	v_mul_f32_e32 v63, s6, v5
	v_mul_f32_e32 v64, s3, v11
	;; [unrolled: 1-line block ×4, first 2 shown]
	s_and_saveexec_b32 s9, vcc_lo
	s_cbranch_execz .LBB222_583
; %bb.582:                              ;   in Loop: Header=BB222_481 Depth=1
	v_cmp_gt_i32_e64 s0, s27, v53
	v_cndmask_b32_e64 v64, 0, v64, s0
	v_cmp_gt_i32_e64 s0, s27, v55
	v_cndmask_b32_e64 v63, 0, v63, s0
	;; [unrolled: 2-line block ×4, first 2 shown]
.LBB222_583:                            ;   in Loop: Header=BB222_481 Depth=1
	s_or_b32 exec_lo, exec_lo, s9
	global_load_dword v65, v[15:16], off offset:384
	v_mov_b32_e32 v19, 0
	v_mov_b32_e32 v17, 0
	;; [unrolled: 1-line block ×4, first 2 shown]
	s_waitcnt vmcnt(0)
	v_cmp_ne_u16_sdwa s0, v65, v6 src0_sel:BYTE_0 src1_sel:DWORD
	s_and_saveexec_b32 s9, s0
	s_cbranch_execz .LBB222_591
; %bb.584:                              ;   in Loop: Header=BB222_481 Depth=1
	v_bfrev_b32_e32 v17, 1
	v_mov_b32_e32 v18, 0
	v_cmp_ne_u16_sdwa s0, v65, v44 src0_sel:BYTE_0 src1_sel:DWORD
	s_and_saveexec_b32 s13, s0
	s_cbranch_execz .LBB222_590
; %bb.585:                              ;   in Loop: Header=BB222_481 Depth=1
	v_mov_b32_e32 v17, 0x7f800001
	v_and_b32_e32 v13, 0x7f, v65
	v_mov_b32_e32 v18, 0
	s_mov_b32 s14, exec_lo
	v_cmpx_ne_u32_e32 0x7f, v13
	s_cbranch_execz .LBB222_589
; %bb.586:                              ;   in Loop: Header=BB222_481 Depth=1
	v_and_b32_e32 v5, 7, v65
	v_lshrrev_b32_e32 v11, 3, v13
	s_mov_b32 s15, exec_lo
	v_cmpx_gt_u32_e32 8, v13
; %bb.587:                              ;   in Loop: Header=BB222_481 Depth=1
	v_ffbh_u32_e32 v11, v5
	v_min_u32_e32 v11, 32, v11
	v_subrev_nc_u32_e32 v13, 28, v11
	v_sub_nc_u32_e32 v11, 29, v11
	v_lshlrev_b64 v[17:18], v13, v[5:6]
	v_and_b32_e32 v5, 7, v17
; %bb.588:                              ;   in Loop: Header=BB222_481 Depth=1
	s_or_b32 exec_lo, exec_lo, s15
	v_lshlrev_b32_e32 v13, 24, v65
	v_lshlrev_b32_e32 v5, 20, v5
	v_lshl_add_u32 v11, v11, 23, 0x3c000000
	v_and_b32_e32 v13, 0x80000000, v13
	v_or3_b32 v5, v5, v13, v11
	v_mov_b32_e32 v18, v6
	v_mov_b32_e32 v17, v5
.LBB222_589:                            ;   in Loop: Header=BB222_481 Depth=1
	s_or_b32 exec_lo, exec_lo, s14
.LBB222_590:                            ;   in Loop: Header=BB222_481 Depth=1
	s_or_b32 exec_lo, exec_lo, s13
.LBB222_591:                            ;   in Loop: Header=BB222_481 Depth=1
	s_or_b32 exec_lo, exec_lo, s9
	v_cmp_ne_u16_sdwa s0, v65, v6 src0_sel:BYTE_1 src1_sel:DWORD
	s_and_saveexec_b32 s9, s0
	s_cbranch_execz .LBB222_599
; %bb.592:                              ;   in Loop: Header=BB222_481 Depth=1
	v_mov_b32_e32 v11, v6
	v_mov_b32_e32 v20, v12
	v_cmp_ne_u16_sdwa s0, v65, v44 src0_sel:BYTE_1 src1_sel:DWORD
	v_mov_b32_e32 v19, v11
	s_and_saveexec_b32 s13, s0
	s_cbranch_execz .LBB222_598
; %bb.593:                              ;   in Loop: Header=BB222_481 Depth=1
	v_and_b32_sdwa v5, v45, v65 dst_sel:DWORD dst_unused:UNUSED_PAD src0_sel:DWORD src1_sel:BYTE_1
	v_mov_b32_e32 v13, v6
	v_mov_b32_e32 v20, v14
	s_mov_b32 s14, exec_lo
	v_and_b32_e32 v21, 0x7f, v5
	v_mov_b32_e32 v19, v13
	v_cmpx_ne_u32_e32 0x7f, v21
	s_cbranch_execz .LBB222_597
; %bb.594:                              ;   in Loop: Header=BB222_481 Depth=1
	v_and_b32_e32 v5, 7, v5
	v_lshrrev_b32_e32 v11, 3, v21
	s_mov_b32 s15, exec_lo
	v_cmpx_gt_u32_e32 8, v21
; %bb.595:                              ;   in Loop: Header=BB222_481 Depth=1
	v_ffbh_u32_e32 v11, v5
	v_min_u32_e32 v11, 32, v11
	v_subrev_nc_u32_e32 v13, 28, v11
	v_sub_nc_u32_e32 v11, 29, v11
	v_lshlrev_b64 v[19:20], v13, v[5:6]
	v_and_b32_e32 v5, 7, v19
; %bb.596:                              ;   in Loop: Header=BB222_481 Depth=1
	s_or_b32 exec_lo, exec_lo, s15
	v_lshlrev_b32_e32 v13, 16, v65
	v_lshlrev_b32_e32 v5, 20, v5
	v_lshl_add_u32 v11, v11, 23, 0x3c000000
	v_mov_b32_e32 v19, v6
	v_and_b32_e32 v13, 0x80000000, v13
	v_or3_b32 v20, v5, v13, v11
.LBB222_597:                            ;   in Loop: Header=BB222_481 Depth=1
	s_or_b32 exec_lo, exec_lo, s14
.LBB222_598:                            ;   in Loop: Header=BB222_481 Depth=1
	s_or_b32 exec_lo, exec_lo, s13
.LBB222_599:                            ;   in Loop: Header=BB222_481 Depth=1
	s_or_b32 exec_lo, exec_lo, s9
	v_mov_b32_e32 v23, 0
	v_mov_b32_e32 v21, 0
	v_and_b32_sdwa v5, v65, v46 dst_sel:DWORD dst_unused:UNUSED_PAD src0_sel:WORD_1 src1_sel:DWORD
	v_mov_b32_e32 v24, 0
	v_mov_b32_e32 v22, 0
	s_mov_b32 s9, exec_lo
	v_cmpx_ne_u16_e32 0, v5
	s_cbranch_execz .LBB222_607
; %bb.600:                              ;   in Loop: Header=BB222_481 Depth=1
	v_bfrev_b32_e32 v21, 1
	v_mov_b32_e32 v22, 0
	s_mov_b32 s13, exec_lo
	v_cmpx_ne_u16_e32 0x80, v5
	s_cbranch_execz .LBB222_606
; %bb.601:                              ;   in Loop: Header=BB222_481 Depth=1
	v_mov_b32_e32 v21, 0x7f800001
	v_bfe_u32 v13, v65, 16, 7
	v_mov_b32_e32 v22, 0
	s_mov_b32 s14, exec_lo
	v_cmpx_ne_u32_e32 0x7f, v13
	s_cbranch_execz .LBB222_605
; %bb.602:                              ;   in Loop: Header=BB222_481 Depth=1
	v_and_b32_sdwa v5, v65, v47 dst_sel:DWORD dst_unused:UNUSED_PAD src0_sel:WORD_1 src1_sel:DWORD
	v_lshrrev_b32_e32 v11, 3, v13
	s_mov_b32 s15, exec_lo
	v_cmpx_gt_u32_e32 8, v13
; %bb.603:                              ;   in Loop: Header=BB222_481 Depth=1
	v_ffbh_u32_e32 v11, v5
	v_min_u32_e32 v11, 32, v11
	v_subrev_nc_u32_e32 v13, 28, v11
	v_sub_nc_u32_e32 v11, 29, v11
	v_lshlrev_b64 v[21:22], v13, v[5:6]
	v_and_b32_e32 v5, 7, v21
; %bb.604:                              ;   in Loop: Header=BB222_481 Depth=1
	s_or_b32 exec_lo, exec_lo, s15
	v_lshlrev_b32_sdwa v13, v48, v65 dst_sel:DWORD dst_unused:UNUSED_PAD src0_sel:DWORD src1_sel:WORD_1
	v_lshlrev_b32_e32 v5, 20, v5
	v_lshl_add_u32 v11, v11, 23, 0x3c000000
	v_and_b32_e32 v13, 0x80000000, v13
	v_or3_b32 v5, v5, v13, v11
	v_mov_b32_e32 v22, v6
	v_mov_b32_e32 v21, v5
.LBB222_605:                            ;   in Loop: Header=BB222_481 Depth=1
	s_or_b32 exec_lo, exec_lo, s14
.LBB222_606:                            ;   in Loop: Header=BB222_481 Depth=1
	s_or_b32 exec_lo, exec_lo, s13
.LBB222_607:                            ;   in Loop: Header=BB222_481 Depth=1
	s_or_b32 exec_lo, exec_lo, s9
	s_mov_b32 s9, exec_lo
	v_cmpx_lt_u32_e32 0xffffff, v65
	s_cbranch_execz .LBB222_615
; %bb.608:                              ;   in Loop: Header=BB222_481 Depth=1
	v_mov_b32_e32 v11, v6
	v_mov_b32_e32 v24, v12
	v_cmp_ne_u32_sdwa s0, v65, v44 src0_sel:BYTE_3 src1_sel:DWORD
	v_mov_b32_e32 v23, v11
	s_and_saveexec_b32 s13, s0
	s_cbranch_execz .LBB222_614
; %bb.609:                              ;   in Loop: Header=BB222_481 Depth=1
	v_mov_b32_e32 v13, v6
	v_mov_b32_e32 v24, v14
	v_bfe_u32 v66, v65, 24, 7
	s_mov_b32 s14, exec_lo
	v_mov_b32_e32 v23, v13
	v_cmpx_ne_u32_e32 0x7f, v66
	s_cbranch_execz .LBB222_613
; %bb.610:                              ;   in Loop: Header=BB222_481 Depth=1
	v_and_b32_sdwa v5, v65, v47 dst_sel:DWORD dst_unused:UNUSED_PAD src0_sel:BYTE_3 src1_sel:DWORD
	v_lshrrev_b32_e32 v11, 3, v66
	s_mov_b32 s15, exec_lo
	v_cmpx_gt_u32_e32 8, v66
; %bb.611:                              ;   in Loop: Header=BB222_481 Depth=1
	v_ffbh_u32_e32 v11, v5
	v_min_u32_e32 v11, 32, v11
	v_subrev_nc_u32_e32 v13, 28, v11
	v_sub_nc_u32_e32 v11, 29, v11
	v_lshlrev_b64 v[23:24], v13, v[5:6]
	v_and_b32_e32 v5, 7, v23
; %bb.612:                              ;   in Loop: Header=BB222_481 Depth=1
	s_or_b32 exec_lo, exec_lo, s15
	v_lshlrev_b32_sdwa v13, v48, v65 dst_sel:DWORD dst_unused:UNUSED_PAD src0_sel:DWORD src1_sel:BYTE_3
	v_lshlrev_b32_e32 v5, 20, v5
	v_lshl_add_u32 v11, v11, 23, 0x3c000000
	v_mov_b32_e32 v23, v6
	v_and_b32_e32 v13, 0x80000000, v13
	v_or3_b32 v24, v5, v13, v11
.LBB222_613:                            ;   in Loop: Header=BB222_481 Depth=1
	s_or_b32 exec_lo, exec_lo, s14
.LBB222_614:                            ;   in Loop: Header=BB222_481 Depth=1
	s_or_b32 exec_lo, exec_lo, s13
.LBB222_615:                            ;   in Loop: Header=BB222_481 Depth=1
	s_or_b32 exec_lo, exec_lo, s9
	v_or_b32_e32 v5, v20, v18
	v_or_b32_e32 v11, v19, v17
	;; [unrolled: 1-line block ×4, first 2 shown]
	v_mul_f32_e32 v67, s6, v5
	v_mul_f32_e32 v68, s3, v11
	;; [unrolled: 1-line block ×4, first 2 shown]
	s_and_saveexec_b32 s9, vcc_lo
	s_cbranch_execz .LBB222_617
; %bb.616:                              ;   in Loop: Header=BB222_481 Depth=1
	v_cmp_gt_i32_e64 s0, s27, v53
	v_cndmask_b32_e64 v68, 0, v68, s0
	v_cmp_gt_i32_e64 s0, s27, v55
	v_cndmask_b32_e64 v67, 0, v67, s0
	;; [unrolled: 2-line block ×4, first 2 shown]
.LBB222_617:                            ;   in Loop: Header=BB222_481 Depth=1
	s_or_b32 exec_lo, exec_lo, s9
	global_load_dword v69, v[15:16], off offset:512
	v_mov_b32_e32 v19, 0
	v_mov_b32_e32 v17, 0
	;; [unrolled: 1-line block ×4, first 2 shown]
	s_waitcnt vmcnt(0)
	v_cmp_ne_u16_sdwa s0, v69, v6 src0_sel:BYTE_0 src1_sel:DWORD
	s_and_saveexec_b32 s9, s0
	s_cbranch_execz .LBB222_625
; %bb.618:                              ;   in Loop: Header=BB222_481 Depth=1
	v_bfrev_b32_e32 v17, 1
	v_mov_b32_e32 v18, 0
	v_cmp_ne_u16_sdwa s0, v69, v44 src0_sel:BYTE_0 src1_sel:DWORD
	s_and_saveexec_b32 s13, s0
	s_cbranch_execz .LBB222_624
; %bb.619:                              ;   in Loop: Header=BB222_481 Depth=1
	v_mov_b32_e32 v17, 0x7f800001
	v_and_b32_e32 v13, 0x7f, v69
	v_mov_b32_e32 v18, 0
	s_mov_b32 s14, exec_lo
	v_cmpx_ne_u32_e32 0x7f, v13
	s_cbranch_execz .LBB222_623
; %bb.620:                              ;   in Loop: Header=BB222_481 Depth=1
	v_and_b32_e32 v5, 7, v69
	v_lshrrev_b32_e32 v11, 3, v13
	s_mov_b32 s15, exec_lo
	v_cmpx_gt_u32_e32 8, v13
; %bb.621:                              ;   in Loop: Header=BB222_481 Depth=1
	v_ffbh_u32_e32 v11, v5
	v_min_u32_e32 v11, 32, v11
	v_subrev_nc_u32_e32 v13, 28, v11
	v_sub_nc_u32_e32 v11, 29, v11
	v_lshlrev_b64 v[17:18], v13, v[5:6]
	v_and_b32_e32 v5, 7, v17
; %bb.622:                              ;   in Loop: Header=BB222_481 Depth=1
	s_or_b32 exec_lo, exec_lo, s15
	v_lshlrev_b32_e32 v13, 24, v69
	v_lshlrev_b32_e32 v5, 20, v5
	v_lshl_add_u32 v11, v11, 23, 0x3c000000
	v_and_b32_e32 v13, 0x80000000, v13
	v_or3_b32 v5, v5, v13, v11
	v_mov_b32_e32 v18, v6
	v_mov_b32_e32 v17, v5
.LBB222_623:                            ;   in Loop: Header=BB222_481 Depth=1
	s_or_b32 exec_lo, exec_lo, s14
.LBB222_624:                            ;   in Loop: Header=BB222_481 Depth=1
	s_or_b32 exec_lo, exec_lo, s13
.LBB222_625:                            ;   in Loop: Header=BB222_481 Depth=1
	s_or_b32 exec_lo, exec_lo, s9
	v_cmp_ne_u16_sdwa s0, v69, v6 src0_sel:BYTE_1 src1_sel:DWORD
	s_and_saveexec_b32 s9, s0
	s_cbranch_execz .LBB222_633
; %bb.626:                              ;   in Loop: Header=BB222_481 Depth=1
	v_mov_b32_e32 v11, v6
	v_mov_b32_e32 v20, v12
	v_cmp_ne_u16_sdwa s0, v69, v44 src0_sel:BYTE_1 src1_sel:DWORD
	v_mov_b32_e32 v19, v11
	s_and_saveexec_b32 s13, s0
	s_cbranch_execz .LBB222_632
; %bb.627:                              ;   in Loop: Header=BB222_481 Depth=1
	v_and_b32_sdwa v5, v45, v69 dst_sel:DWORD dst_unused:UNUSED_PAD src0_sel:DWORD src1_sel:BYTE_1
	v_mov_b32_e32 v13, v6
	v_mov_b32_e32 v20, v14
	s_mov_b32 s14, exec_lo
	v_and_b32_e32 v21, 0x7f, v5
	v_mov_b32_e32 v19, v13
	v_cmpx_ne_u32_e32 0x7f, v21
	s_cbranch_execz .LBB222_631
; %bb.628:                              ;   in Loop: Header=BB222_481 Depth=1
	v_and_b32_e32 v5, 7, v5
	v_lshrrev_b32_e32 v11, 3, v21
	s_mov_b32 s15, exec_lo
	v_cmpx_gt_u32_e32 8, v21
; %bb.629:                              ;   in Loop: Header=BB222_481 Depth=1
	v_ffbh_u32_e32 v11, v5
	v_min_u32_e32 v11, 32, v11
	v_subrev_nc_u32_e32 v13, 28, v11
	v_sub_nc_u32_e32 v11, 29, v11
	v_lshlrev_b64 v[19:20], v13, v[5:6]
	v_and_b32_e32 v5, 7, v19
; %bb.630:                              ;   in Loop: Header=BB222_481 Depth=1
	s_or_b32 exec_lo, exec_lo, s15
	v_lshlrev_b32_e32 v13, 16, v69
	v_lshlrev_b32_e32 v5, 20, v5
	v_lshl_add_u32 v11, v11, 23, 0x3c000000
	v_mov_b32_e32 v19, v6
	v_and_b32_e32 v13, 0x80000000, v13
	v_or3_b32 v20, v5, v13, v11
.LBB222_631:                            ;   in Loop: Header=BB222_481 Depth=1
	s_or_b32 exec_lo, exec_lo, s14
.LBB222_632:                            ;   in Loop: Header=BB222_481 Depth=1
	s_or_b32 exec_lo, exec_lo, s13
.LBB222_633:                            ;   in Loop: Header=BB222_481 Depth=1
	s_or_b32 exec_lo, exec_lo, s9
	v_mov_b32_e32 v23, 0
	v_mov_b32_e32 v21, 0
	v_and_b32_sdwa v5, v69, v46 dst_sel:DWORD dst_unused:UNUSED_PAD src0_sel:WORD_1 src1_sel:DWORD
	v_mov_b32_e32 v24, 0
	v_mov_b32_e32 v22, 0
	s_mov_b32 s9, exec_lo
	v_cmpx_ne_u16_e32 0, v5
	s_cbranch_execz .LBB222_641
; %bb.634:                              ;   in Loop: Header=BB222_481 Depth=1
	v_bfrev_b32_e32 v21, 1
	v_mov_b32_e32 v22, 0
	s_mov_b32 s13, exec_lo
	v_cmpx_ne_u16_e32 0x80, v5
	s_cbranch_execz .LBB222_640
; %bb.635:                              ;   in Loop: Header=BB222_481 Depth=1
	v_mov_b32_e32 v21, 0x7f800001
	v_bfe_u32 v13, v69, 16, 7
	v_mov_b32_e32 v22, 0
	s_mov_b32 s14, exec_lo
	v_cmpx_ne_u32_e32 0x7f, v13
	s_cbranch_execz .LBB222_639
; %bb.636:                              ;   in Loop: Header=BB222_481 Depth=1
	v_and_b32_sdwa v5, v69, v47 dst_sel:DWORD dst_unused:UNUSED_PAD src0_sel:WORD_1 src1_sel:DWORD
	v_lshrrev_b32_e32 v11, 3, v13
	s_mov_b32 s15, exec_lo
	v_cmpx_gt_u32_e32 8, v13
; %bb.637:                              ;   in Loop: Header=BB222_481 Depth=1
	v_ffbh_u32_e32 v11, v5
	v_min_u32_e32 v11, 32, v11
	v_subrev_nc_u32_e32 v13, 28, v11
	v_sub_nc_u32_e32 v11, 29, v11
	v_lshlrev_b64 v[21:22], v13, v[5:6]
	v_and_b32_e32 v5, 7, v21
; %bb.638:                              ;   in Loop: Header=BB222_481 Depth=1
	s_or_b32 exec_lo, exec_lo, s15
	v_lshlrev_b32_sdwa v13, v48, v69 dst_sel:DWORD dst_unused:UNUSED_PAD src0_sel:DWORD src1_sel:WORD_1
	v_lshlrev_b32_e32 v5, 20, v5
	v_lshl_add_u32 v11, v11, 23, 0x3c000000
	v_and_b32_e32 v13, 0x80000000, v13
	v_or3_b32 v5, v5, v13, v11
	v_mov_b32_e32 v22, v6
	v_mov_b32_e32 v21, v5
.LBB222_639:                            ;   in Loop: Header=BB222_481 Depth=1
	s_or_b32 exec_lo, exec_lo, s14
.LBB222_640:                            ;   in Loop: Header=BB222_481 Depth=1
	s_or_b32 exec_lo, exec_lo, s13
.LBB222_641:                            ;   in Loop: Header=BB222_481 Depth=1
	s_or_b32 exec_lo, exec_lo, s9
	s_mov_b32 s9, exec_lo
	v_cmpx_lt_u32_e32 0xffffff, v69
	s_cbranch_execz .LBB222_649
; %bb.642:                              ;   in Loop: Header=BB222_481 Depth=1
	v_mov_b32_e32 v11, v6
	v_mov_b32_e32 v24, v12
	v_cmp_ne_u32_sdwa s0, v69, v44 src0_sel:BYTE_3 src1_sel:DWORD
	v_mov_b32_e32 v23, v11
	s_and_saveexec_b32 s13, s0
	s_cbranch_execz .LBB222_648
; %bb.643:                              ;   in Loop: Header=BB222_481 Depth=1
	v_mov_b32_e32 v13, v6
	v_mov_b32_e32 v24, v14
	v_bfe_u32 v70, v69, 24, 7
	s_mov_b32 s14, exec_lo
	v_mov_b32_e32 v23, v13
	v_cmpx_ne_u32_e32 0x7f, v70
	s_cbranch_execz .LBB222_647
; %bb.644:                              ;   in Loop: Header=BB222_481 Depth=1
	v_and_b32_sdwa v5, v69, v47 dst_sel:DWORD dst_unused:UNUSED_PAD src0_sel:BYTE_3 src1_sel:DWORD
	v_lshrrev_b32_e32 v11, 3, v70
	s_mov_b32 s15, exec_lo
	v_cmpx_gt_u32_e32 8, v70
; %bb.645:                              ;   in Loop: Header=BB222_481 Depth=1
	v_ffbh_u32_e32 v11, v5
	v_min_u32_e32 v11, 32, v11
	v_subrev_nc_u32_e32 v13, 28, v11
	v_sub_nc_u32_e32 v11, 29, v11
	v_lshlrev_b64 v[23:24], v13, v[5:6]
	v_and_b32_e32 v5, 7, v23
; %bb.646:                              ;   in Loop: Header=BB222_481 Depth=1
	s_or_b32 exec_lo, exec_lo, s15
	v_lshlrev_b32_sdwa v13, v48, v69 dst_sel:DWORD dst_unused:UNUSED_PAD src0_sel:DWORD src1_sel:BYTE_3
	v_lshlrev_b32_e32 v5, 20, v5
	v_lshl_add_u32 v11, v11, 23, 0x3c000000
	v_mov_b32_e32 v23, v6
	v_and_b32_e32 v13, 0x80000000, v13
	v_or3_b32 v24, v5, v13, v11
.LBB222_647:                            ;   in Loop: Header=BB222_481 Depth=1
	s_or_b32 exec_lo, exec_lo, s14
.LBB222_648:                            ;   in Loop: Header=BB222_481 Depth=1
	s_or_b32 exec_lo, exec_lo, s13
.LBB222_649:                            ;   in Loop: Header=BB222_481 Depth=1
	s_or_b32 exec_lo, exec_lo, s9
	v_or_b32_e32 v5, v20, v18
	v_or_b32_e32 v11, v19, v17
	;; [unrolled: 1-line block ×4, first 2 shown]
	v_mul_f32_e32 v71, s6, v5
	v_mul_f32_e32 v72, s3, v11
	v_mul_f32_e32 v70, s3, v13
	v_mul_f32_e32 v69, s6, v17
	s_and_saveexec_b32 s9, vcc_lo
	s_cbranch_execz .LBB222_651
; %bb.650:                              ;   in Loop: Header=BB222_481 Depth=1
	v_cmp_gt_i32_e64 s0, s27, v53
	v_cndmask_b32_e64 v72, 0, v72, s0
	v_cmp_gt_i32_e64 s0, s27, v55
	v_cndmask_b32_e64 v71, 0, v71, s0
	;; [unrolled: 2-line block ×4, first 2 shown]
.LBB222_651:                            ;   in Loop: Header=BB222_481 Depth=1
	s_or_b32 exec_lo, exec_lo, s9
	global_load_dword v73, v[15:16], off offset:640
	v_mov_b32_e32 v19, 0
	v_mov_b32_e32 v17, 0
	;; [unrolled: 1-line block ×4, first 2 shown]
	s_waitcnt vmcnt(0)
	v_cmp_ne_u16_sdwa s0, v73, v6 src0_sel:BYTE_0 src1_sel:DWORD
	s_and_saveexec_b32 s9, s0
	s_cbranch_execz .LBB222_659
; %bb.652:                              ;   in Loop: Header=BB222_481 Depth=1
	v_bfrev_b32_e32 v17, 1
	v_mov_b32_e32 v18, 0
	v_cmp_ne_u16_sdwa s0, v73, v44 src0_sel:BYTE_0 src1_sel:DWORD
	s_and_saveexec_b32 s13, s0
	s_cbranch_execz .LBB222_658
; %bb.653:                              ;   in Loop: Header=BB222_481 Depth=1
	v_mov_b32_e32 v17, 0x7f800001
	v_and_b32_e32 v13, 0x7f, v73
	v_mov_b32_e32 v18, 0
	s_mov_b32 s14, exec_lo
	v_cmpx_ne_u32_e32 0x7f, v13
	s_cbranch_execz .LBB222_657
; %bb.654:                              ;   in Loop: Header=BB222_481 Depth=1
	v_and_b32_e32 v5, 7, v73
	v_lshrrev_b32_e32 v11, 3, v13
	s_mov_b32 s15, exec_lo
	v_cmpx_gt_u32_e32 8, v13
; %bb.655:                              ;   in Loop: Header=BB222_481 Depth=1
	v_ffbh_u32_e32 v11, v5
	v_min_u32_e32 v11, 32, v11
	v_subrev_nc_u32_e32 v13, 28, v11
	v_sub_nc_u32_e32 v11, 29, v11
	v_lshlrev_b64 v[17:18], v13, v[5:6]
	v_and_b32_e32 v5, 7, v17
; %bb.656:                              ;   in Loop: Header=BB222_481 Depth=1
	s_or_b32 exec_lo, exec_lo, s15
	v_lshlrev_b32_e32 v13, 24, v73
	v_lshlrev_b32_e32 v5, 20, v5
	v_lshl_add_u32 v11, v11, 23, 0x3c000000
	v_and_b32_e32 v13, 0x80000000, v13
	v_or3_b32 v5, v5, v13, v11
	v_mov_b32_e32 v18, v6
	v_mov_b32_e32 v17, v5
.LBB222_657:                            ;   in Loop: Header=BB222_481 Depth=1
	s_or_b32 exec_lo, exec_lo, s14
.LBB222_658:                            ;   in Loop: Header=BB222_481 Depth=1
	s_or_b32 exec_lo, exec_lo, s13
.LBB222_659:                            ;   in Loop: Header=BB222_481 Depth=1
	s_or_b32 exec_lo, exec_lo, s9
	v_cmp_ne_u16_sdwa s0, v73, v6 src0_sel:BYTE_1 src1_sel:DWORD
	s_and_saveexec_b32 s9, s0
	s_cbranch_execz .LBB222_667
; %bb.660:                              ;   in Loop: Header=BB222_481 Depth=1
	v_mov_b32_e32 v11, v6
	v_mov_b32_e32 v20, v12
	v_cmp_ne_u16_sdwa s0, v73, v44 src0_sel:BYTE_1 src1_sel:DWORD
	v_mov_b32_e32 v19, v11
	s_and_saveexec_b32 s13, s0
	s_cbranch_execz .LBB222_666
; %bb.661:                              ;   in Loop: Header=BB222_481 Depth=1
	v_and_b32_sdwa v5, v45, v73 dst_sel:DWORD dst_unused:UNUSED_PAD src0_sel:DWORD src1_sel:BYTE_1
	v_mov_b32_e32 v13, v6
	v_mov_b32_e32 v20, v14
	s_mov_b32 s14, exec_lo
	v_and_b32_e32 v21, 0x7f, v5
	v_mov_b32_e32 v19, v13
	v_cmpx_ne_u32_e32 0x7f, v21
	s_cbranch_execz .LBB222_665
; %bb.662:                              ;   in Loop: Header=BB222_481 Depth=1
	v_and_b32_e32 v5, 7, v5
	v_lshrrev_b32_e32 v11, 3, v21
	s_mov_b32 s15, exec_lo
	v_cmpx_gt_u32_e32 8, v21
; %bb.663:                              ;   in Loop: Header=BB222_481 Depth=1
	v_ffbh_u32_e32 v11, v5
	v_min_u32_e32 v11, 32, v11
	v_subrev_nc_u32_e32 v13, 28, v11
	v_sub_nc_u32_e32 v11, 29, v11
	v_lshlrev_b64 v[19:20], v13, v[5:6]
	v_and_b32_e32 v5, 7, v19
; %bb.664:                              ;   in Loop: Header=BB222_481 Depth=1
	s_or_b32 exec_lo, exec_lo, s15
	v_lshlrev_b32_e32 v13, 16, v73
	v_lshlrev_b32_e32 v5, 20, v5
	v_lshl_add_u32 v11, v11, 23, 0x3c000000
	v_mov_b32_e32 v19, v6
	v_and_b32_e32 v13, 0x80000000, v13
	v_or3_b32 v20, v5, v13, v11
.LBB222_665:                            ;   in Loop: Header=BB222_481 Depth=1
	s_or_b32 exec_lo, exec_lo, s14
.LBB222_666:                            ;   in Loop: Header=BB222_481 Depth=1
	s_or_b32 exec_lo, exec_lo, s13
.LBB222_667:                            ;   in Loop: Header=BB222_481 Depth=1
	s_or_b32 exec_lo, exec_lo, s9
	v_mov_b32_e32 v23, 0
	v_mov_b32_e32 v21, 0
	v_and_b32_sdwa v5, v73, v46 dst_sel:DWORD dst_unused:UNUSED_PAD src0_sel:WORD_1 src1_sel:DWORD
	v_mov_b32_e32 v24, 0
	v_mov_b32_e32 v22, 0
	s_mov_b32 s9, exec_lo
	v_cmpx_ne_u16_e32 0, v5
	s_cbranch_execz .LBB222_675
; %bb.668:                              ;   in Loop: Header=BB222_481 Depth=1
	v_bfrev_b32_e32 v21, 1
	v_mov_b32_e32 v22, 0
	s_mov_b32 s13, exec_lo
	v_cmpx_ne_u16_e32 0x80, v5
	s_cbranch_execz .LBB222_674
; %bb.669:                              ;   in Loop: Header=BB222_481 Depth=1
	v_mov_b32_e32 v21, 0x7f800001
	v_bfe_u32 v13, v73, 16, 7
	v_mov_b32_e32 v22, 0
	s_mov_b32 s14, exec_lo
	v_cmpx_ne_u32_e32 0x7f, v13
	s_cbranch_execz .LBB222_673
; %bb.670:                              ;   in Loop: Header=BB222_481 Depth=1
	v_and_b32_sdwa v5, v73, v47 dst_sel:DWORD dst_unused:UNUSED_PAD src0_sel:WORD_1 src1_sel:DWORD
	v_lshrrev_b32_e32 v11, 3, v13
	s_mov_b32 s15, exec_lo
	v_cmpx_gt_u32_e32 8, v13
; %bb.671:                              ;   in Loop: Header=BB222_481 Depth=1
	v_ffbh_u32_e32 v11, v5
	v_min_u32_e32 v11, 32, v11
	v_subrev_nc_u32_e32 v13, 28, v11
	v_sub_nc_u32_e32 v11, 29, v11
	v_lshlrev_b64 v[21:22], v13, v[5:6]
	v_and_b32_e32 v5, 7, v21
; %bb.672:                              ;   in Loop: Header=BB222_481 Depth=1
	s_or_b32 exec_lo, exec_lo, s15
	v_lshlrev_b32_sdwa v13, v48, v73 dst_sel:DWORD dst_unused:UNUSED_PAD src0_sel:DWORD src1_sel:WORD_1
	v_lshlrev_b32_e32 v5, 20, v5
	v_lshl_add_u32 v11, v11, 23, 0x3c000000
	v_and_b32_e32 v13, 0x80000000, v13
	v_or3_b32 v5, v5, v13, v11
	v_mov_b32_e32 v22, v6
	v_mov_b32_e32 v21, v5
.LBB222_673:                            ;   in Loop: Header=BB222_481 Depth=1
	s_or_b32 exec_lo, exec_lo, s14
.LBB222_674:                            ;   in Loop: Header=BB222_481 Depth=1
	s_or_b32 exec_lo, exec_lo, s13
.LBB222_675:                            ;   in Loop: Header=BB222_481 Depth=1
	s_or_b32 exec_lo, exec_lo, s9
	s_mov_b32 s9, exec_lo
	v_cmpx_lt_u32_e32 0xffffff, v73
	s_cbranch_execz .LBB222_683
; %bb.676:                              ;   in Loop: Header=BB222_481 Depth=1
	v_mov_b32_e32 v11, v6
	v_mov_b32_e32 v24, v12
	v_cmp_ne_u32_sdwa s0, v73, v44 src0_sel:BYTE_3 src1_sel:DWORD
	v_mov_b32_e32 v23, v11
	s_and_saveexec_b32 s13, s0
	s_cbranch_execz .LBB222_682
; %bb.677:                              ;   in Loop: Header=BB222_481 Depth=1
	v_mov_b32_e32 v13, v6
	v_mov_b32_e32 v24, v14
	v_bfe_u32 v74, v73, 24, 7
	s_mov_b32 s14, exec_lo
	v_mov_b32_e32 v23, v13
	v_cmpx_ne_u32_e32 0x7f, v74
	s_cbranch_execz .LBB222_681
; %bb.678:                              ;   in Loop: Header=BB222_481 Depth=1
	v_and_b32_sdwa v5, v73, v47 dst_sel:DWORD dst_unused:UNUSED_PAD src0_sel:BYTE_3 src1_sel:DWORD
	v_lshrrev_b32_e32 v11, 3, v74
	s_mov_b32 s15, exec_lo
	v_cmpx_gt_u32_e32 8, v74
; %bb.679:                              ;   in Loop: Header=BB222_481 Depth=1
	v_ffbh_u32_e32 v11, v5
	v_min_u32_e32 v11, 32, v11
	v_subrev_nc_u32_e32 v13, 28, v11
	v_sub_nc_u32_e32 v11, 29, v11
	v_lshlrev_b64 v[23:24], v13, v[5:6]
	v_and_b32_e32 v5, 7, v23
; %bb.680:                              ;   in Loop: Header=BB222_481 Depth=1
	s_or_b32 exec_lo, exec_lo, s15
	v_lshlrev_b32_sdwa v13, v48, v73 dst_sel:DWORD dst_unused:UNUSED_PAD src0_sel:DWORD src1_sel:BYTE_3
	v_lshlrev_b32_e32 v5, 20, v5
	v_lshl_add_u32 v11, v11, 23, 0x3c000000
	v_mov_b32_e32 v23, v6
	v_and_b32_e32 v13, 0x80000000, v13
	v_or3_b32 v24, v5, v13, v11
.LBB222_681:                            ;   in Loop: Header=BB222_481 Depth=1
	s_or_b32 exec_lo, exec_lo, s14
.LBB222_682:                            ;   in Loop: Header=BB222_481 Depth=1
	s_or_b32 exec_lo, exec_lo, s13
.LBB222_683:                            ;   in Loop: Header=BB222_481 Depth=1
	s_or_b32 exec_lo, exec_lo, s9
	v_or_b32_e32 v5, v20, v18
	v_or_b32_e32 v11, v19, v17
	;; [unrolled: 1-line block ×4, first 2 shown]
	v_mul_f32_e32 v75, s6, v5
	v_mul_f32_e32 v76, s3, v11
	;; [unrolled: 1-line block ×4, first 2 shown]
	s_and_saveexec_b32 s9, vcc_lo
	s_cbranch_execz .LBB222_685
; %bb.684:                              ;   in Loop: Header=BB222_481 Depth=1
	v_cmp_gt_i32_e64 s0, s27, v53
	v_cndmask_b32_e64 v76, 0, v76, s0
	v_cmp_gt_i32_e64 s0, s27, v55
	v_cndmask_b32_e64 v75, 0, v75, s0
	v_cmp_gt_i32_e64 s0, s27, v54
	v_cndmask_b32_e64 v74, 0, v74, s0
	v_cmp_gt_i32_e64 s0, s27, v42
	v_cndmask_b32_e64 v73, 0, v73, s0
.LBB222_685:                            ;   in Loop: Header=BB222_481 Depth=1
	s_or_b32 exec_lo, exec_lo, s9
	global_load_dword v77, v[15:16], off offset:768
	v_mov_b32_e32 v19, 0
	v_mov_b32_e32 v17, 0
	;; [unrolled: 1-line block ×4, first 2 shown]
	s_waitcnt vmcnt(0)
	v_cmp_ne_u16_sdwa s0, v77, v6 src0_sel:BYTE_0 src1_sel:DWORD
	s_and_saveexec_b32 s9, s0
	s_cbranch_execz .LBB222_693
; %bb.686:                              ;   in Loop: Header=BB222_481 Depth=1
	v_bfrev_b32_e32 v17, 1
	v_mov_b32_e32 v18, 0
	v_cmp_ne_u16_sdwa s0, v77, v44 src0_sel:BYTE_0 src1_sel:DWORD
	s_and_saveexec_b32 s13, s0
	s_cbranch_execz .LBB222_692
; %bb.687:                              ;   in Loop: Header=BB222_481 Depth=1
	v_mov_b32_e32 v17, 0x7f800001
	v_and_b32_e32 v13, 0x7f, v77
	v_mov_b32_e32 v18, 0
	s_mov_b32 s14, exec_lo
	v_cmpx_ne_u32_e32 0x7f, v13
	s_cbranch_execz .LBB222_691
; %bb.688:                              ;   in Loop: Header=BB222_481 Depth=1
	v_and_b32_e32 v5, 7, v77
	v_lshrrev_b32_e32 v11, 3, v13
	s_mov_b32 s15, exec_lo
	v_cmpx_gt_u32_e32 8, v13
; %bb.689:                              ;   in Loop: Header=BB222_481 Depth=1
	v_ffbh_u32_e32 v11, v5
	v_min_u32_e32 v11, 32, v11
	v_subrev_nc_u32_e32 v13, 28, v11
	v_sub_nc_u32_e32 v11, 29, v11
	v_lshlrev_b64 v[17:18], v13, v[5:6]
	v_and_b32_e32 v5, 7, v17
; %bb.690:                              ;   in Loop: Header=BB222_481 Depth=1
	s_or_b32 exec_lo, exec_lo, s15
	v_lshlrev_b32_e32 v13, 24, v77
	v_lshlrev_b32_e32 v5, 20, v5
	v_lshl_add_u32 v11, v11, 23, 0x3c000000
	v_and_b32_e32 v13, 0x80000000, v13
	v_or3_b32 v5, v5, v13, v11
	v_mov_b32_e32 v18, v6
	v_mov_b32_e32 v17, v5
.LBB222_691:                            ;   in Loop: Header=BB222_481 Depth=1
	s_or_b32 exec_lo, exec_lo, s14
.LBB222_692:                            ;   in Loop: Header=BB222_481 Depth=1
	s_or_b32 exec_lo, exec_lo, s13
.LBB222_693:                            ;   in Loop: Header=BB222_481 Depth=1
	s_or_b32 exec_lo, exec_lo, s9
	v_cmp_ne_u16_sdwa s0, v77, v6 src0_sel:BYTE_1 src1_sel:DWORD
	s_and_saveexec_b32 s9, s0
	s_cbranch_execz .LBB222_701
; %bb.694:                              ;   in Loop: Header=BB222_481 Depth=1
	v_mov_b32_e32 v11, v6
	v_mov_b32_e32 v20, v12
	v_cmp_ne_u16_sdwa s0, v77, v44 src0_sel:BYTE_1 src1_sel:DWORD
	v_mov_b32_e32 v19, v11
	s_and_saveexec_b32 s13, s0
	s_cbranch_execz .LBB222_700
; %bb.695:                              ;   in Loop: Header=BB222_481 Depth=1
	v_and_b32_sdwa v5, v45, v77 dst_sel:DWORD dst_unused:UNUSED_PAD src0_sel:DWORD src1_sel:BYTE_1
	v_mov_b32_e32 v13, v6
	v_mov_b32_e32 v20, v14
	s_mov_b32 s14, exec_lo
	v_and_b32_e32 v21, 0x7f, v5
	v_mov_b32_e32 v19, v13
	v_cmpx_ne_u32_e32 0x7f, v21
	s_cbranch_execz .LBB222_699
; %bb.696:                              ;   in Loop: Header=BB222_481 Depth=1
	v_and_b32_e32 v5, 7, v5
	v_lshrrev_b32_e32 v11, 3, v21
	s_mov_b32 s15, exec_lo
	v_cmpx_gt_u32_e32 8, v21
; %bb.697:                              ;   in Loop: Header=BB222_481 Depth=1
	v_ffbh_u32_e32 v11, v5
	v_min_u32_e32 v11, 32, v11
	v_subrev_nc_u32_e32 v13, 28, v11
	v_sub_nc_u32_e32 v11, 29, v11
	v_lshlrev_b64 v[19:20], v13, v[5:6]
	v_and_b32_e32 v5, 7, v19
; %bb.698:                              ;   in Loop: Header=BB222_481 Depth=1
	s_or_b32 exec_lo, exec_lo, s15
	v_lshlrev_b32_e32 v13, 16, v77
	v_lshlrev_b32_e32 v5, 20, v5
	v_lshl_add_u32 v11, v11, 23, 0x3c000000
	v_mov_b32_e32 v19, v6
	v_and_b32_e32 v13, 0x80000000, v13
	v_or3_b32 v20, v5, v13, v11
.LBB222_699:                            ;   in Loop: Header=BB222_481 Depth=1
	s_or_b32 exec_lo, exec_lo, s14
.LBB222_700:                            ;   in Loop: Header=BB222_481 Depth=1
	s_or_b32 exec_lo, exec_lo, s13
.LBB222_701:                            ;   in Loop: Header=BB222_481 Depth=1
	s_or_b32 exec_lo, exec_lo, s9
	v_mov_b32_e32 v23, 0
	v_mov_b32_e32 v21, 0
	v_and_b32_sdwa v5, v77, v46 dst_sel:DWORD dst_unused:UNUSED_PAD src0_sel:WORD_1 src1_sel:DWORD
	v_mov_b32_e32 v24, 0
	v_mov_b32_e32 v22, 0
	s_mov_b32 s9, exec_lo
	v_cmpx_ne_u16_e32 0, v5
	s_cbranch_execz .LBB222_709
; %bb.702:                              ;   in Loop: Header=BB222_481 Depth=1
	v_bfrev_b32_e32 v21, 1
	v_mov_b32_e32 v22, 0
	s_mov_b32 s13, exec_lo
	v_cmpx_ne_u16_e32 0x80, v5
	s_cbranch_execz .LBB222_708
; %bb.703:                              ;   in Loop: Header=BB222_481 Depth=1
	v_mov_b32_e32 v21, 0x7f800001
	v_bfe_u32 v13, v77, 16, 7
	v_mov_b32_e32 v22, 0
	s_mov_b32 s14, exec_lo
	v_cmpx_ne_u32_e32 0x7f, v13
	s_cbranch_execz .LBB222_707
; %bb.704:                              ;   in Loop: Header=BB222_481 Depth=1
	v_and_b32_sdwa v5, v77, v47 dst_sel:DWORD dst_unused:UNUSED_PAD src0_sel:WORD_1 src1_sel:DWORD
	v_lshrrev_b32_e32 v11, 3, v13
	s_mov_b32 s15, exec_lo
	v_cmpx_gt_u32_e32 8, v13
; %bb.705:                              ;   in Loop: Header=BB222_481 Depth=1
	v_ffbh_u32_e32 v11, v5
	v_min_u32_e32 v11, 32, v11
	v_subrev_nc_u32_e32 v13, 28, v11
	v_sub_nc_u32_e32 v11, 29, v11
	v_lshlrev_b64 v[21:22], v13, v[5:6]
	v_and_b32_e32 v5, 7, v21
; %bb.706:                              ;   in Loop: Header=BB222_481 Depth=1
	s_or_b32 exec_lo, exec_lo, s15
	v_lshlrev_b32_sdwa v13, v48, v77 dst_sel:DWORD dst_unused:UNUSED_PAD src0_sel:DWORD src1_sel:WORD_1
	v_lshlrev_b32_e32 v5, 20, v5
	v_lshl_add_u32 v11, v11, 23, 0x3c000000
	v_and_b32_e32 v13, 0x80000000, v13
	v_or3_b32 v5, v5, v13, v11
	v_mov_b32_e32 v22, v6
	v_mov_b32_e32 v21, v5
.LBB222_707:                            ;   in Loop: Header=BB222_481 Depth=1
	s_or_b32 exec_lo, exec_lo, s14
.LBB222_708:                            ;   in Loop: Header=BB222_481 Depth=1
	s_or_b32 exec_lo, exec_lo, s13
.LBB222_709:                            ;   in Loop: Header=BB222_481 Depth=1
	s_or_b32 exec_lo, exec_lo, s9
	s_mov_b32 s9, exec_lo
	v_cmpx_lt_u32_e32 0xffffff, v77
	s_cbranch_execz .LBB222_717
; %bb.710:                              ;   in Loop: Header=BB222_481 Depth=1
	v_mov_b32_e32 v11, v6
	v_mov_b32_e32 v24, v12
	v_cmp_ne_u32_sdwa s0, v77, v44 src0_sel:BYTE_3 src1_sel:DWORD
	v_mov_b32_e32 v23, v11
	s_and_saveexec_b32 s13, s0
	s_cbranch_execz .LBB222_716
; %bb.711:                              ;   in Loop: Header=BB222_481 Depth=1
	v_mov_b32_e32 v13, v6
	v_mov_b32_e32 v24, v14
	v_bfe_u32 v78, v77, 24, 7
	s_mov_b32 s14, exec_lo
	v_mov_b32_e32 v23, v13
	v_cmpx_ne_u32_e32 0x7f, v78
	s_cbranch_execz .LBB222_715
; %bb.712:                              ;   in Loop: Header=BB222_481 Depth=1
	v_and_b32_sdwa v5, v77, v47 dst_sel:DWORD dst_unused:UNUSED_PAD src0_sel:BYTE_3 src1_sel:DWORD
	v_lshrrev_b32_e32 v11, 3, v78
	s_mov_b32 s15, exec_lo
	v_cmpx_gt_u32_e32 8, v78
; %bb.713:                              ;   in Loop: Header=BB222_481 Depth=1
	v_ffbh_u32_e32 v11, v5
	v_min_u32_e32 v11, 32, v11
	v_subrev_nc_u32_e32 v13, 28, v11
	v_sub_nc_u32_e32 v11, 29, v11
	v_lshlrev_b64 v[23:24], v13, v[5:6]
	v_and_b32_e32 v5, 7, v23
; %bb.714:                              ;   in Loop: Header=BB222_481 Depth=1
	s_or_b32 exec_lo, exec_lo, s15
	v_lshlrev_b32_sdwa v13, v48, v77 dst_sel:DWORD dst_unused:UNUSED_PAD src0_sel:DWORD src1_sel:BYTE_3
	v_lshlrev_b32_e32 v5, 20, v5
	v_lshl_add_u32 v11, v11, 23, 0x3c000000
	v_mov_b32_e32 v23, v6
	v_and_b32_e32 v13, 0x80000000, v13
	v_or3_b32 v24, v5, v13, v11
.LBB222_715:                            ;   in Loop: Header=BB222_481 Depth=1
	s_or_b32 exec_lo, exec_lo, s14
.LBB222_716:                            ;   in Loop: Header=BB222_481 Depth=1
	s_or_b32 exec_lo, exec_lo, s13
.LBB222_717:                            ;   in Loop: Header=BB222_481 Depth=1
	s_or_b32 exec_lo, exec_lo, s9
	v_or_b32_e32 v5, v20, v18
	v_or_b32_e32 v11, v19, v17
	;; [unrolled: 1-line block ×4, first 2 shown]
	v_mul_f32_e32 v79, s6, v5
	v_mul_f32_e32 v80, s3, v11
	;; [unrolled: 1-line block ×4, first 2 shown]
	s_and_saveexec_b32 s9, vcc_lo
	s_cbranch_execz .LBB222_719
; %bb.718:                              ;   in Loop: Header=BB222_481 Depth=1
	v_cmp_gt_i32_e64 s0, s27, v53
	v_cndmask_b32_e64 v80, 0, v80, s0
	v_cmp_gt_i32_e64 s0, s27, v55
	v_cndmask_b32_e64 v79, 0, v79, s0
	;; [unrolled: 2-line block ×4, first 2 shown]
.LBB222_719:                            ;   in Loop: Header=BB222_481 Depth=1
	s_or_b32 exec_lo, exec_lo, s9
	global_load_dword v81, v[15:16], off offset:896
	v_mov_b32_e32 v19, 0
	v_mov_b32_e32 v17, 0
	;; [unrolled: 1-line block ×4, first 2 shown]
	s_waitcnt vmcnt(0)
	v_cmp_ne_u16_sdwa s0, v81, v6 src0_sel:BYTE_0 src1_sel:DWORD
	s_and_saveexec_b32 s9, s0
	s_cbranch_execz .LBB222_727
; %bb.720:                              ;   in Loop: Header=BB222_481 Depth=1
	v_bfrev_b32_e32 v17, 1
	v_mov_b32_e32 v18, 0
	v_cmp_ne_u16_sdwa s0, v81, v44 src0_sel:BYTE_0 src1_sel:DWORD
	s_and_saveexec_b32 s13, s0
	s_cbranch_execz .LBB222_726
; %bb.721:                              ;   in Loop: Header=BB222_481 Depth=1
	v_mov_b32_e32 v17, 0x7f800001
	v_and_b32_e32 v13, 0x7f, v81
	v_mov_b32_e32 v18, 0
	s_mov_b32 s14, exec_lo
	v_cmpx_ne_u32_e32 0x7f, v13
	s_cbranch_execz .LBB222_725
; %bb.722:                              ;   in Loop: Header=BB222_481 Depth=1
	v_and_b32_e32 v5, 7, v81
	v_lshrrev_b32_e32 v11, 3, v13
	s_mov_b32 s15, exec_lo
	v_cmpx_gt_u32_e32 8, v13
; %bb.723:                              ;   in Loop: Header=BB222_481 Depth=1
	v_ffbh_u32_e32 v11, v5
	v_min_u32_e32 v11, 32, v11
	v_subrev_nc_u32_e32 v13, 28, v11
	v_sub_nc_u32_e32 v11, 29, v11
	v_lshlrev_b64 v[17:18], v13, v[5:6]
	v_and_b32_e32 v5, 7, v17
; %bb.724:                              ;   in Loop: Header=BB222_481 Depth=1
	s_or_b32 exec_lo, exec_lo, s15
	v_lshlrev_b32_e32 v13, 24, v81
	v_lshlrev_b32_e32 v5, 20, v5
	v_lshl_add_u32 v11, v11, 23, 0x3c000000
	v_and_b32_e32 v13, 0x80000000, v13
	v_or3_b32 v5, v5, v13, v11
	v_mov_b32_e32 v18, v6
	v_mov_b32_e32 v17, v5
.LBB222_725:                            ;   in Loop: Header=BB222_481 Depth=1
	s_or_b32 exec_lo, exec_lo, s14
.LBB222_726:                            ;   in Loop: Header=BB222_481 Depth=1
	s_or_b32 exec_lo, exec_lo, s13
.LBB222_727:                            ;   in Loop: Header=BB222_481 Depth=1
	s_or_b32 exec_lo, exec_lo, s9
	v_cmp_ne_u16_sdwa s0, v81, v6 src0_sel:BYTE_1 src1_sel:DWORD
	s_and_saveexec_b32 s9, s0
	s_cbranch_execz .LBB222_735
; %bb.728:                              ;   in Loop: Header=BB222_481 Depth=1
	v_mov_b32_e32 v11, v6
	v_mov_b32_e32 v20, v12
	v_cmp_ne_u16_sdwa s0, v81, v44 src0_sel:BYTE_1 src1_sel:DWORD
	v_mov_b32_e32 v19, v11
	s_and_saveexec_b32 s13, s0
	s_cbranch_execz .LBB222_734
; %bb.729:                              ;   in Loop: Header=BB222_481 Depth=1
	v_and_b32_sdwa v5, v45, v81 dst_sel:DWORD dst_unused:UNUSED_PAD src0_sel:DWORD src1_sel:BYTE_1
	v_mov_b32_e32 v13, v6
	v_mov_b32_e32 v20, v14
	s_mov_b32 s14, exec_lo
	v_and_b32_e32 v21, 0x7f, v5
	v_mov_b32_e32 v19, v13
	v_cmpx_ne_u32_e32 0x7f, v21
	s_cbranch_execz .LBB222_733
; %bb.730:                              ;   in Loop: Header=BB222_481 Depth=1
	v_and_b32_e32 v5, 7, v5
	v_lshrrev_b32_e32 v11, 3, v21
	s_mov_b32 s15, exec_lo
	v_cmpx_gt_u32_e32 8, v21
; %bb.731:                              ;   in Loop: Header=BB222_481 Depth=1
	v_ffbh_u32_e32 v11, v5
	v_min_u32_e32 v11, 32, v11
	v_subrev_nc_u32_e32 v13, 28, v11
	v_sub_nc_u32_e32 v11, 29, v11
	v_lshlrev_b64 v[19:20], v13, v[5:6]
	v_and_b32_e32 v5, 7, v19
; %bb.732:                              ;   in Loop: Header=BB222_481 Depth=1
	s_or_b32 exec_lo, exec_lo, s15
	v_lshlrev_b32_e32 v13, 16, v81
	v_lshlrev_b32_e32 v5, 20, v5
	v_lshl_add_u32 v11, v11, 23, 0x3c000000
	v_mov_b32_e32 v19, v6
	v_and_b32_e32 v13, 0x80000000, v13
	v_or3_b32 v20, v5, v13, v11
.LBB222_733:                            ;   in Loop: Header=BB222_481 Depth=1
	s_or_b32 exec_lo, exec_lo, s14
.LBB222_734:                            ;   in Loop: Header=BB222_481 Depth=1
	s_or_b32 exec_lo, exec_lo, s13
.LBB222_735:                            ;   in Loop: Header=BB222_481 Depth=1
	s_or_b32 exec_lo, exec_lo, s9
	v_mov_b32_e32 v23, 0
	v_mov_b32_e32 v21, 0
	v_and_b32_sdwa v5, v81, v46 dst_sel:DWORD dst_unused:UNUSED_PAD src0_sel:WORD_1 src1_sel:DWORD
	v_mov_b32_e32 v24, 0
	v_mov_b32_e32 v22, 0
	s_mov_b32 s9, exec_lo
	v_cmpx_ne_u16_e32 0, v5
	s_cbranch_execz .LBB222_743
; %bb.736:                              ;   in Loop: Header=BB222_481 Depth=1
	v_bfrev_b32_e32 v21, 1
	v_mov_b32_e32 v22, 0
	s_mov_b32 s13, exec_lo
	v_cmpx_ne_u16_e32 0x80, v5
	s_cbranch_execz .LBB222_742
; %bb.737:                              ;   in Loop: Header=BB222_481 Depth=1
	v_mov_b32_e32 v21, 0x7f800001
	v_bfe_u32 v13, v81, 16, 7
	v_mov_b32_e32 v22, 0
	s_mov_b32 s14, exec_lo
	v_cmpx_ne_u32_e32 0x7f, v13
	s_cbranch_execz .LBB222_741
; %bb.738:                              ;   in Loop: Header=BB222_481 Depth=1
	v_and_b32_sdwa v5, v81, v47 dst_sel:DWORD dst_unused:UNUSED_PAD src0_sel:WORD_1 src1_sel:DWORD
	v_lshrrev_b32_e32 v11, 3, v13
	s_mov_b32 s15, exec_lo
	v_cmpx_gt_u32_e32 8, v13
; %bb.739:                              ;   in Loop: Header=BB222_481 Depth=1
	v_ffbh_u32_e32 v11, v5
	v_min_u32_e32 v11, 32, v11
	v_subrev_nc_u32_e32 v13, 28, v11
	v_sub_nc_u32_e32 v11, 29, v11
	v_lshlrev_b64 v[21:22], v13, v[5:6]
	v_and_b32_e32 v5, 7, v21
; %bb.740:                              ;   in Loop: Header=BB222_481 Depth=1
	s_or_b32 exec_lo, exec_lo, s15
	v_lshlrev_b32_sdwa v13, v48, v81 dst_sel:DWORD dst_unused:UNUSED_PAD src0_sel:DWORD src1_sel:WORD_1
	v_lshlrev_b32_e32 v5, 20, v5
	v_lshl_add_u32 v11, v11, 23, 0x3c000000
	v_and_b32_e32 v13, 0x80000000, v13
	v_or3_b32 v5, v5, v13, v11
	v_mov_b32_e32 v22, v6
	v_mov_b32_e32 v21, v5
.LBB222_741:                            ;   in Loop: Header=BB222_481 Depth=1
	s_or_b32 exec_lo, exec_lo, s14
.LBB222_742:                            ;   in Loop: Header=BB222_481 Depth=1
	s_or_b32 exec_lo, exec_lo, s13
.LBB222_743:                            ;   in Loop: Header=BB222_481 Depth=1
	s_or_b32 exec_lo, exec_lo, s9
	s_mov_b32 s9, exec_lo
	v_cmpx_lt_u32_e32 0xffffff, v81
	s_cbranch_execz .LBB222_751
; %bb.744:                              ;   in Loop: Header=BB222_481 Depth=1
	v_mov_b32_e32 v11, v6
	v_mov_b32_e32 v24, v12
	v_cmp_ne_u32_sdwa s0, v81, v44 src0_sel:BYTE_3 src1_sel:DWORD
	v_mov_b32_e32 v23, v11
	s_and_saveexec_b32 s13, s0
	s_cbranch_execz .LBB222_750
; %bb.745:                              ;   in Loop: Header=BB222_481 Depth=1
	v_mov_b32_e32 v13, v6
	v_mov_b32_e32 v24, v14
	v_bfe_u32 v82, v81, 24, 7
	s_mov_b32 s14, exec_lo
	v_mov_b32_e32 v23, v13
	v_cmpx_ne_u32_e32 0x7f, v82
	s_cbranch_execz .LBB222_749
; %bb.746:                              ;   in Loop: Header=BB222_481 Depth=1
	v_and_b32_sdwa v5, v81, v47 dst_sel:DWORD dst_unused:UNUSED_PAD src0_sel:BYTE_3 src1_sel:DWORD
	v_lshrrev_b32_e32 v11, 3, v82
	s_mov_b32 s15, exec_lo
	v_cmpx_gt_u32_e32 8, v82
; %bb.747:                              ;   in Loop: Header=BB222_481 Depth=1
	v_ffbh_u32_e32 v11, v5
	v_min_u32_e32 v11, 32, v11
	v_subrev_nc_u32_e32 v13, 28, v11
	v_sub_nc_u32_e32 v11, 29, v11
	v_lshlrev_b64 v[23:24], v13, v[5:6]
	v_and_b32_e32 v5, 7, v23
; %bb.748:                              ;   in Loop: Header=BB222_481 Depth=1
	s_or_b32 exec_lo, exec_lo, s15
	v_lshlrev_b32_sdwa v13, v48, v81 dst_sel:DWORD dst_unused:UNUSED_PAD src0_sel:DWORD src1_sel:BYTE_3
	v_lshlrev_b32_e32 v5, 20, v5
	v_lshl_add_u32 v11, v11, 23, 0x3c000000
	v_mov_b32_e32 v23, v6
	v_and_b32_e32 v13, 0x80000000, v13
	v_or3_b32 v24, v5, v13, v11
.LBB222_749:                            ;   in Loop: Header=BB222_481 Depth=1
	s_or_b32 exec_lo, exec_lo, s14
.LBB222_750:                            ;   in Loop: Header=BB222_481 Depth=1
	s_or_b32 exec_lo, exec_lo, s13
.LBB222_751:                            ;   in Loop: Header=BB222_481 Depth=1
	s_or_b32 exec_lo, exec_lo, s9
	v_or_b32_e32 v5, v20, v18
	v_or_b32_e32 v11, v19, v17
	;; [unrolled: 1-line block ×4, first 2 shown]
	v_mul_f32_e32 v83, s6, v5
	v_mul_f32_e32 v84, s3, v11
	;; [unrolled: 1-line block ×4, first 2 shown]
	s_and_saveexec_b32 s9, vcc_lo
	s_cbranch_execz .LBB222_753
; %bb.752:                              ;   in Loop: Header=BB222_481 Depth=1
	v_cmp_gt_i32_e64 s0, s27, v53
	v_cndmask_b32_e64 v84, 0, v84, s0
	v_cmp_gt_i32_e64 s0, s27, v55
	v_cndmask_b32_e64 v83, 0, v83, s0
	;; [unrolled: 2-line block ×4, first 2 shown]
.LBB222_753:                            ;   in Loop: Header=BB222_481 Depth=1
	s_or_b32 exec_lo, exec_lo, s9
	global_load_dword v85, v[15:16], off offset:1024
	v_mov_b32_e32 v19, 0
	v_mov_b32_e32 v17, 0
	;; [unrolled: 1-line block ×4, first 2 shown]
	s_waitcnt vmcnt(0)
	v_cmp_ne_u16_sdwa s0, v85, v6 src0_sel:BYTE_0 src1_sel:DWORD
	s_and_saveexec_b32 s9, s0
	s_cbranch_execz .LBB222_761
; %bb.754:                              ;   in Loop: Header=BB222_481 Depth=1
	v_bfrev_b32_e32 v17, 1
	v_mov_b32_e32 v18, 0
	v_cmp_ne_u16_sdwa s0, v85, v44 src0_sel:BYTE_0 src1_sel:DWORD
	s_and_saveexec_b32 s13, s0
	s_cbranch_execz .LBB222_760
; %bb.755:                              ;   in Loop: Header=BB222_481 Depth=1
	v_mov_b32_e32 v17, 0x7f800001
	v_and_b32_e32 v13, 0x7f, v85
	v_mov_b32_e32 v18, 0
	s_mov_b32 s14, exec_lo
	v_cmpx_ne_u32_e32 0x7f, v13
	s_cbranch_execz .LBB222_759
; %bb.756:                              ;   in Loop: Header=BB222_481 Depth=1
	v_and_b32_e32 v5, 7, v85
	v_lshrrev_b32_e32 v11, 3, v13
	s_mov_b32 s15, exec_lo
	v_cmpx_gt_u32_e32 8, v13
; %bb.757:                              ;   in Loop: Header=BB222_481 Depth=1
	v_ffbh_u32_e32 v11, v5
	v_min_u32_e32 v11, 32, v11
	v_subrev_nc_u32_e32 v13, 28, v11
	v_sub_nc_u32_e32 v11, 29, v11
	v_lshlrev_b64 v[17:18], v13, v[5:6]
	v_and_b32_e32 v5, 7, v17
; %bb.758:                              ;   in Loop: Header=BB222_481 Depth=1
	s_or_b32 exec_lo, exec_lo, s15
	v_lshlrev_b32_e32 v13, 24, v85
	v_lshlrev_b32_e32 v5, 20, v5
	v_lshl_add_u32 v11, v11, 23, 0x3c000000
	v_and_b32_e32 v13, 0x80000000, v13
	v_or3_b32 v5, v5, v13, v11
	v_mov_b32_e32 v18, v6
	v_mov_b32_e32 v17, v5
.LBB222_759:                            ;   in Loop: Header=BB222_481 Depth=1
	s_or_b32 exec_lo, exec_lo, s14
.LBB222_760:                            ;   in Loop: Header=BB222_481 Depth=1
	s_or_b32 exec_lo, exec_lo, s13
.LBB222_761:                            ;   in Loop: Header=BB222_481 Depth=1
	s_or_b32 exec_lo, exec_lo, s9
	v_cmp_ne_u16_sdwa s0, v85, v6 src0_sel:BYTE_1 src1_sel:DWORD
	s_and_saveexec_b32 s9, s0
	s_cbranch_execz .LBB222_769
; %bb.762:                              ;   in Loop: Header=BB222_481 Depth=1
	v_mov_b32_e32 v11, v6
	v_mov_b32_e32 v20, v12
	v_cmp_ne_u16_sdwa s0, v85, v44 src0_sel:BYTE_1 src1_sel:DWORD
	v_mov_b32_e32 v19, v11
	s_and_saveexec_b32 s13, s0
	s_cbranch_execz .LBB222_768
; %bb.763:                              ;   in Loop: Header=BB222_481 Depth=1
	v_and_b32_sdwa v5, v45, v85 dst_sel:DWORD dst_unused:UNUSED_PAD src0_sel:DWORD src1_sel:BYTE_1
	v_mov_b32_e32 v13, v6
	v_mov_b32_e32 v20, v14
	s_mov_b32 s14, exec_lo
	v_and_b32_e32 v21, 0x7f, v5
	v_mov_b32_e32 v19, v13
	v_cmpx_ne_u32_e32 0x7f, v21
	s_cbranch_execz .LBB222_767
; %bb.764:                              ;   in Loop: Header=BB222_481 Depth=1
	v_and_b32_e32 v5, 7, v5
	v_lshrrev_b32_e32 v11, 3, v21
	s_mov_b32 s15, exec_lo
	v_cmpx_gt_u32_e32 8, v21
; %bb.765:                              ;   in Loop: Header=BB222_481 Depth=1
	v_ffbh_u32_e32 v11, v5
	v_min_u32_e32 v11, 32, v11
	v_subrev_nc_u32_e32 v13, 28, v11
	v_sub_nc_u32_e32 v11, 29, v11
	v_lshlrev_b64 v[19:20], v13, v[5:6]
	v_and_b32_e32 v5, 7, v19
; %bb.766:                              ;   in Loop: Header=BB222_481 Depth=1
	s_or_b32 exec_lo, exec_lo, s15
	v_lshlrev_b32_e32 v13, 16, v85
	v_lshlrev_b32_e32 v5, 20, v5
	v_lshl_add_u32 v11, v11, 23, 0x3c000000
	v_mov_b32_e32 v19, v6
	v_and_b32_e32 v13, 0x80000000, v13
	v_or3_b32 v20, v5, v13, v11
.LBB222_767:                            ;   in Loop: Header=BB222_481 Depth=1
	s_or_b32 exec_lo, exec_lo, s14
.LBB222_768:                            ;   in Loop: Header=BB222_481 Depth=1
	s_or_b32 exec_lo, exec_lo, s13
.LBB222_769:                            ;   in Loop: Header=BB222_481 Depth=1
	s_or_b32 exec_lo, exec_lo, s9
	v_mov_b32_e32 v23, 0
	v_mov_b32_e32 v21, 0
	v_and_b32_sdwa v5, v85, v46 dst_sel:DWORD dst_unused:UNUSED_PAD src0_sel:WORD_1 src1_sel:DWORD
	v_mov_b32_e32 v24, 0
	v_mov_b32_e32 v22, 0
	s_mov_b32 s9, exec_lo
	v_cmpx_ne_u16_e32 0, v5
	s_cbranch_execz .LBB222_777
; %bb.770:                              ;   in Loop: Header=BB222_481 Depth=1
	v_bfrev_b32_e32 v21, 1
	v_mov_b32_e32 v22, 0
	s_mov_b32 s13, exec_lo
	v_cmpx_ne_u16_e32 0x80, v5
	s_cbranch_execz .LBB222_776
; %bb.771:                              ;   in Loop: Header=BB222_481 Depth=1
	v_mov_b32_e32 v21, 0x7f800001
	v_bfe_u32 v13, v85, 16, 7
	v_mov_b32_e32 v22, 0
	s_mov_b32 s14, exec_lo
	v_cmpx_ne_u32_e32 0x7f, v13
	s_cbranch_execz .LBB222_775
; %bb.772:                              ;   in Loop: Header=BB222_481 Depth=1
	v_and_b32_sdwa v5, v85, v47 dst_sel:DWORD dst_unused:UNUSED_PAD src0_sel:WORD_1 src1_sel:DWORD
	v_lshrrev_b32_e32 v11, 3, v13
	s_mov_b32 s15, exec_lo
	v_cmpx_gt_u32_e32 8, v13
; %bb.773:                              ;   in Loop: Header=BB222_481 Depth=1
	v_ffbh_u32_e32 v11, v5
	v_min_u32_e32 v11, 32, v11
	v_subrev_nc_u32_e32 v13, 28, v11
	v_sub_nc_u32_e32 v11, 29, v11
	v_lshlrev_b64 v[21:22], v13, v[5:6]
	v_and_b32_e32 v5, 7, v21
; %bb.774:                              ;   in Loop: Header=BB222_481 Depth=1
	s_or_b32 exec_lo, exec_lo, s15
	v_lshlrev_b32_sdwa v13, v48, v85 dst_sel:DWORD dst_unused:UNUSED_PAD src0_sel:DWORD src1_sel:WORD_1
	v_lshlrev_b32_e32 v5, 20, v5
	v_lshl_add_u32 v11, v11, 23, 0x3c000000
	v_and_b32_e32 v13, 0x80000000, v13
	v_or3_b32 v5, v5, v13, v11
	v_mov_b32_e32 v22, v6
	v_mov_b32_e32 v21, v5
.LBB222_775:                            ;   in Loop: Header=BB222_481 Depth=1
	s_or_b32 exec_lo, exec_lo, s14
.LBB222_776:                            ;   in Loop: Header=BB222_481 Depth=1
	s_or_b32 exec_lo, exec_lo, s13
.LBB222_777:                            ;   in Loop: Header=BB222_481 Depth=1
	s_or_b32 exec_lo, exec_lo, s9
	s_mov_b32 s9, exec_lo
	v_cmpx_lt_u32_e32 0xffffff, v85
	s_cbranch_execz .LBB222_785
; %bb.778:                              ;   in Loop: Header=BB222_481 Depth=1
	v_mov_b32_e32 v11, v6
	v_mov_b32_e32 v24, v12
	v_cmp_ne_u32_sdwa s0, v85, v44 src0_sel:BYTE_3 src1_sel:DWORD
	v_mov_b32_e32 v23, v11
	s_and_saveexec_b32 s13, s0
	s_cbranch_execz .LBB222_784
; %bb.779:                              ;   in Loop: Header=BB222_481 Depth=1
	v_mov_b32_e32 v13, v6
	v_mov_b32_e32 v24, v14
	v_bfe_u32 v86, v85, 24, 7
	s_mov_b32 s14, exec_lo
	v_mov_b32_e32 v23, v13
	v_cmpx_ne_u32_e32 0x7f, v86
	s_cbranch_execz .LBB222_783
; %bb.780:                              ;   in Loop: Header=BB222_481 Depth=1
	v_and_b32_sdwa v5, v85, v47 dst_sel:DWORD dst_unused:UNUSED_PAD src0_sel:BYTE_3 src1_sel:DWORD
	v_lshrrev_b32_e32 v11, 3, v86
	s_mov_b32 s15, exec_lo
	v_cmpx_gt_u32_e32 8, v86
; %bb.781:                              ;   in Loop: Header=BB222_481 Depth=1
	v_ffbh_u32_e32 v11, v5
	v_min_u32_e32 v11, 32, v11
	v_subrev_nc_u32_e32 v13, 28, v11
	v_sub_nc_u32_e32 v11, 29, v11
	v_lshlrev_b64 v[23:24], v13, v[5:6]
	v_and_b32_e32 v5, 7, v23
; %bb.782:                              ;   in Loop: Header=BB222_481 Depth=1
	s_or_b32 exec_lo, exec_lo, s15
	v_lshlrev_b32_sdwa v13, v48, v85 dst_sel:DWORD dst_unused:UNUSED_PAD src0_sel:DWORD src1_sel:BYTE_3
	v_lshlrev_b32_e32 v5, 20, v5
	v_lshl_add_u32 v11, v11, 23, 0x3c000000
	v_mov_b32_e32 v23, v6
	v_and_b32_e32 v13, 0x80000000, v13
	v_or3_b32 v24, v5, v13, v11
.LBB222_783:                            ;   in Loop: Header=BB222_481 Depth=1
	s_or_b32 exec_lo, exec_lo, s14
.LBB222_784:                            ;   in Loop: Header=BB222_481 Depth=1
	s_or_b32 exec_lo, exec_lo, s13
.LBB222_785:                            ;   in Loop: Header=BB222_481 Depth=1
	s_or_b32 exec_lo, exec_lo, s9
	v_or_b32_e32 v5, v20, v18
	v_or_b32_e32 v11, v19, v17
	;; [unrolled: 1-line block ×4, first 2 shown]
	v_mul_f32_e32 v87, s6, v5
	v_mul_f32_e32 v88, s3, v11
	;; [unrolled: 1-line block ×4, first 2 shown]
	s_and_saveexec_b32 s9, vcc_lo
	s_cbranch_execz .LBB222_787
; %bb.786:                              ;   in Loop: Header=BB222_481 Depth=1
	v_cmp_gt_i32_e64 s0, s27, v53
	v_cndmask_b32_e64 v88, 0, v88, s0
	v_cmp_gt_i32_e64 s0, s27, v55
	v_cndmask_b32_e64 v87, 0, v87, s0
	;; [unrolled: 2-line block ×4, first 2 shown]
.LBB222_787:                            ;   in Loop: Header=BB222_481 Depth=1
	s_or_b32 exec_lo, exec_lo, s9
	global_load_dword v89, v[15:16], off offset:1152
	v_mov_b32_e32 v19, 0
	v_mov_b32_e32 v17, 0
	;; [unrolled: 1-line block ×4, first 2 shown]
	s_waitcnt vmcnt(0)
	v_cmp_ne_u16_sdwa s0, v89, v6 src0_sel:BYTE_0 src1_sel:DWORD
	s_and_saveexec_b32 s9, s0
	s_cbranch_execz .LBB222_795
; %bb.788:                              ;   in Loop: Header=BB222_481 Depth=1
	v_bfrev_b32_e32 v17, 1
	v_mov_b32_e32 v18, 0
	v_cmp_ne_u16_sdwa s0, v89, v44 src0_sel:BYTE_0 src1_sel:DWORD
	s_and_saveexec_b32 s13, s0
	s_cbranch_execz .LBB222_794
; %bb.789:                              ;   in Loop: Header=BB222_481 Depth=1
	v_mov_b32_e32 v17, 0x7f800001
	v_and_b32_e32 v13, 0x7f, v89
	v_mov_b32_e32 v18, 0
	s_mov_b32 s14, exec_lo
	v_cmpx_ne_u32_e32 0x7f, v13
	s_cbranch_execz .LBB222_793
; %bb.790:                              ;   in Loop: Header=BB222_481 Depth=1
	v_and_b32_e32 v5, 7, v89
	v_lshrrev_b32_e32 v11, 3, v13
	s_mov_b32 s15, exec_lo
	v_cmpx_gt_u32_e32 8, v13
; %bb.791:                              ;   in Loop: Header=BB222_481 Depth=1
	v_ffbh_u32_e32 v11, v5
	v_min_u32_e32 v11, 32, v11
	v_subrev_nc_u32_e32 v13, 28, v11
	v_sub_nc_u32_e32 v11, 29, v11
	v_lshlrev_b64 v[17:18], v13, v[5:6]
	v_and_b32_e32 v5, 7, v17
; %bb.792:                              ;   in Loop: Header=BB222_481 Depth=1
	s_or_b32 exec_lo, exec_lo, s15
	v_lshlrev_b32_e32 v13, 24, v89
	v_lshlrev_b32_e32 v5, 20, v5
	v_lshl_add_u32 v11, v11, 23, 0x3c000000
	v_and_b32_e32 v13, 0x80000000, v13
	v_or3_b32 v5, v5, v13, v11
	v_mov_b32_e32 v18, v6
	v_mov_b32_e32 v17, v5
.LBB222_793:                            ;   in Loop: Header=BB222_481 Depth=1
	s_or_b32 exec_lo, exec_lo, s14
.LBB222_794:                            ;   in Loop: Header=BB222_481 Depth=1
	s_or_b32 exec_lo, exec_lo, s13
.LBB222_795:                            ;   in Loop: Header=BB222_481 Depth=1
	s_or_b32 exec_lo, exec_lo, s9
	v_cmp_ne_u16_sdwa s0, v89, v6 src0_sel:BYTE_1 src1_sel:DWORD
	s_and_saveexec_b32 s9, s0
	s_cbranch_execz .LBB222_803
; %bb.796:                              ;   in Loop: Header=BB222_481 Depth=1
	v_mov_b32_e32 v11, v6
	v_mov_b32_e32 v20, v12
	v_cmp_ne_u16_sdwa s0, v89, v44 src0_sel:BYTE_1 src1_sel:DWORD
	v_mov_b32_e32 v19, v11
	s_and_saveexec_b32 s13, s0
	s_cbranch_execz .LBB222_802
; %bb.797:                              ;   in Loop: Header=BB222_481 Depth=1
	v_and_b32_sdwa v5, v45, v89 dst_sel:DWORD dst_unused:UNUSED_PAD src0_sel:DWORD src1_sel:BYTE_1
	v_mov_b32_e32 v13, v6
	v_mov_b32_e32 v20, v14
	s_mov_b32 s14, exec_lo
	v_and_b32_e32 v21, 0x7f, v5
	v_mov_b32_e32 v19, v13
	v_cmpx_ne_u32_e32 0x7f, v21
	s_cbranch_execz .LBB222_801
; %bb.798:                              ;   in Loop: Header=BB222_481 Depth=1
	v_and_b32_e32 v5, 7, v5
	v_lshrrev_b32_e32 v11, 3, v21
	s_mov_b32 s15, exec_lo
	v_cmpx_gt_u32_e32 8, v21
; %bb.799:                              ;   in Loop: Header=BB222_481 Depth=1
	v_ffbh_u32_e32 v11, v5
	v_min_u32_e32 v11, 32, v11
	v_subrev_nc_u32_e32 v13, 28, v11
	v_sub_nc_u32_e32 v11, 29, v11
	v_lshlrev_b64 v[19:20], v13, v[5:6]
	v_and_b32_e32 v5, 7, v19
; %bb.800:                              ;   in Loop: Header=BB222_481 Depth=1
	s_or_b32 exec_lo, exec_lo, s15
	v_lshlrev_b32_e32 v13, 16, v89
	v_lshlrev_b32_e32 v5, 20, v5
	v_lshl_add_u32 v11, v11, 23, 0x3c000000
	v_mov_b32_e32 v19, v6
	v_and_b32_e32 v13, 0x80000000, v13
	v_or3_b32 v20, v5, v13, v11
.LBB222_801:                            ;   in Loop: Header=BB222_481 Depth=1
	s_or_b32 exec_lo, exec_lo, s14
.LBB222_802:                            ;   in Loop: Header=BB222_481 Depth=1
	s_or_b32 exec_lo, exec_lo, s13
.LBB222_803:                            ;   in Loop: Header=BB222_481 Depth=1
	s_or_b32 exec_lo, exec_lo, s9
	v_mov_b32_e32 v23, 0
	v_mov_b32_e32 v21, 0
	v_and_b32_sdwa v5, v89, v46 dst_sel:DWORD dst_unused:UNUSED_PAD src0_sel:WORD_1 src1_sel:DWORD
	v_mov_b32_e32 v24, 0
	v_mov_b32_e32 v22, 0
	s_mov_b32 s9, exec_lo
	v_cmpx_ne_u16_e32 0, v5
	s_cbranch_execz .LBB222_811
; %bb.804:                              ;   in Loop: Header=BB222_481 Depth=1
	v_bfrev_b32_e32 v21, 1
	v_mov_b32_e32 v22, 0
	s_mov_b32 s13, exec_lo
	v_cmpx_ne_u16_e32 0x80, v5
	s_cbranch_execz .LBB222_810
; %bb.805:                              ;   in Loop: Header=BB222_481 Depth=1
	v_mov_b32_e32 v21, 0x7f800001
	v_bfe_u32 v13, v89, 16, 7
	v_mov_b32_e32 v22, 0
	s_mov_b32 s14, exec_lo
	v_cmpx_ne_u32_e32 0x7f, v13
	s_cbranch_execz .LBB222_809
; %bb.806:                              ;   in Loop: Header=BB222_481 Depth=1
	v_and_b32_sdwa v5, v89, v47 dst_sel:DWORD dst_unused:UNUSED_PAD src0_sel:WORD_1 src1_sel:DWORD
	v_lshrrev_b32_e32 v11, 3, v13
	s_mov_b32 s15, exec_lo
	v_cmpx_gt_u32_e32 8, v13
; %bb.807:                              ;   in Loop: Header=BB222_481 Depth=1
	v_ffbh_u32_e32 v11, v5
	v_min_u32_e32 v11, 32, v11
	v_subrev_nc_u32_e32 v13, 28, v11
	v_sub_nc_u32_e32 v11, 29, v11
	v_lshlrev_b64 v[21:22], v13, v[5:6]
	v_and_b32_e32 v5, 7, v21
; %bb.808:                              ;   in Loop: Header=BB222_481 Depth=1
	s_or_b32 exec_lo, exec_lo, s15
	v_lshlrev_b32_sdwa v13, v48, v89 dst_sel:DWORD dst_unused:UNUSED_PAD src0_sel:DWORD src1_sel:WORD_1
	v_lshlrev_b32_e32 v5, 20, v5
	v_lshl_add_u32 v11, v11, 23, 0x3c000000
	v_and_b32_e32 v13, 0x80000000, v13
	v_or3_b32 v5, v5, v13, v11
	v_mov_b32_e32 v22, v6
	v_mov_b32_e32 v21, v5
.LBB222_809:                            ;   in Loop: Header=BB222_481 Depth=1
	s_or_b32 exec_lo, exec_lo, s14
.LBB222_810:                            ;   in Loop: Header=BB222_481 Depth=1
	s_or_b32 exec_lo, exec_lo, s13
.LBB222_811:                            ;   in Loop: Header=BB222_481 Depth=1
	s_or_b32 exec_lo, exec_lo, s9
	s_mov_b32 s9, exec_lo
	v_cmpx_lt_u32_e32 0xffffff, v89
	s_cbranch_execz .LBB222_819
; %bb.812:                              ;   in Loop: Header=BB222_481 Depth=1
	v_mov_b32_e32 v11, v6
	v_mov_b32_e32 v24, v12
	v_cmp_ne_u32_sdwa s0, v89, v44 src0_sel:BYTE_3 src1_sel:DWORD
	v_mov_b32_e32 v23, v11
	s_and_saveexec_b32 s13, s0
	s_cbranch_execz .LBB222_818
; %bb.813:                              ;   in Loop: Header=BB222_481 Depth=1
	v_mov_b32_e32 v13, v6
	v_mov_b32_e32 v24, v14
	v_bfe_u32 v90, v89, 24, 7
	s_mov_b32 s14, exec_lo
	v_mov_b32_e32 v23, v13
	v_cmpx_ne_u32_e32 0x7f, v90
	s_cbranch_execz .LBB222_817
; %bb.814:                              ;   in Loop: Header=BB222_481 Depth=1
	v_and_b32_sdwa v5, v89, v47 dst_sel:DWORD dst_unused:UNUSED_PAD src0_sel:BYTE_3 src1_sel:DWORD
	v_lshrrev_b32_e32 v11, 3, v90
	s_mov_b32 s15, exec_lo
	v_cmpx_gt_u32_e32 8, v90
; %bb.815:                              ;   in Loop: Header=BB222_481 Depth=1
	v_ffbh_u32_e32 v11, v5
	v_min_u32_e32 v11, 32, v11
	v_subrev_nc_u32_e32 v13, 28, v11
	v_sub_nc_u32_e32 v11, 29, v11
	v_lshlrev_b64 v[23:24], v13, v[5:6]
	v_and_b32_e32 v5, 7, v23
; %bb.816:                              ;   in Loop: Header=BB222_481 Depth=1
	s_or_b32 exec_lo, exec_lo, s15
	v_lshlrev_b32_sdwa v13, v48, v89 dst_sel:DWORD dst_unused:UNUSED_PAD src0_sel:DWORD src1_sel:BYTE_3
	v_lshlrev_b32_e32 v5, 20, v5
	v_lshl_add_u32 v11, v11, 23, 0x3c000000
	v_mov_b32_e32 v23, v6
	v_and_b32_e32 v13, 0x80000000, v13
	v_or3_b32 v24, v5, v13, v11
.LBB222_817:                            ;   in Loop: Header=BB222_481 Depth=1
	s_or_b32 exec_lo, exec_lo, s14
.LBB222_818:                            ;   in Loop: Header=BB222_481 Depth=1
	s_or_b32 exec_lo, exec_lo, s13
.LBB222_819:                            ;   in Loop: Header=BB222_481 Depth=1
	s_or_b32 exec_lo, exec_lo, s9
	v_or_b32_e32 v5, v20, v18
	v_or_b32_e32 v11, v19, v17
	;; [unrolled: 1-line block ×4, first 2 shown]
	v_mul_f32_e32 v91, s6, v5
	v_mul_f32_e32 v92, s3, v11
	;; [unrolled: 1-line block ×4, first 2 shown]
	s_and_saveexec_b32 s9, vcc_lo
	s_cbranch_execz .LBB222_821
; %bb.820:                              ;   in Loop: Header=BB222_481 Depth=1
	v_cmp_gt_i32_e64 s0, s27, v53
	v_cndmask_b32_e64 v92, 0, v92, s0
	v_cmp_gt_i32_e64 s0, s27, v55
	v_cndmask_b32_e64 v91, 0, v91, s0
	;; [unrolled: 2-line block ×4, first 2 shown]
.LBB222_821:                            ;   in Loop: Header=BB222_481 Depth=1
	s_or_b32 exec_lo, exec_lo, s9
	global_load_dword v93, v[15:16], off offset:1280
	v_mov_b32_e32 v19, 0
	v_mov_b32_e32 v17, 0
	;; [unrolled: 1-line block ×4, first 2 shown]
	s_waitcnt vmcnt(0)
	v_cmp_ne_u16_sdwa s0, v93, v6 src0_sel:BYTE_0 src1_sel:DWORD
	s_and_saveexec_b32 s9, s0
	s_cbranch_execz .LBB222_829
; %bb.822:                              ;   in Loop: Header=BB222_481 Depth=1
	v_bfrev_b32_e32 v17, 1
	v_mov_b32_e32 v18, 0
	v_cmp_ne_u16_sdwa s0, v93, v44 src0_sel:BYTE_0 src1_sel:DWORD
	s_and_saveexec_b32 s13, s0
	s_cbranch_execz .LBB222_828
; %bb.823:                              ;   in Loop: Header=BB222_481 Depth=1
	v_mov_b32_e32 v17, 0x7f800001
	v_and_b32_e32 v13, 0x7f, v93
	v_mov_b32_e32 v18, 0
	s_mov_b32 s14, exec_lo
	v_cmpx_ne_u32_e32 0x7f, v13
	s_cbranch_execz .LBB222_827
; %bb.824:                              ;   in Loop: Header=BB222_481 Depth=1
	v_and_b32_e32 v5, 7, v93
	v_lshrrev_b32_e32 v11, 3, v13
	s_mov_b32 s15, exec_lo
	v_cmpx_gt_u32_e32 8, v13
; %bb.825:                              ;   in Loop: Header=BB222_481 Depth=1
	v_ffbh_u32_e32 v11, v5
	v_min_u32_e32 v11, 32, v11
	v_subrev_nc_u32_e32 v13, 28, v11
	v_sub_nc_u32_e32 v11, 29, v11
	v_lshlrev_b64 v[17:18], v13, v[5:6]
	v_and_b32_e32 v5, 7, v17
; %bb.826:                              ;   in Loop: Header=BB222_481 Depth=1
	s_or_b32 exec_lo, exec_lo, s15
	v_lshlrev_b32_e32 v13, 24, v93
	v_lshlrev_b32_e32 v5, 20, v5
	v_lshl_add_u32 v11, v11, 23, 0x3c000000
	v_and_b32_e32 v13, 0x80000000, v13
	v_or3_b32 v5, v5, v13, v11
	v_mov_b32_e32 v18, v6
	v_mov_b32_e32 v17, v5
.LBB222_827:                            ;   in Loop: Header=BB222_481 Depth=1
	s_or_b32 exec_lo, exec_lo, s14
.LBB222_828:                            ;   in Loop: Header=BB222_481 Depth=1
	s_or_b32 exec_lo, exec_lo, s13
.LBB222_829:                            ;   in Loop: Header=BB222_481 Depth=1
	s_or_b32 exec_lo, exec_lo, s9
	v_cmp_ne_u16_sdwa s0, v93, v6 src0_sel:BYTE_1 src1_sel:DWORD
	s_and_saveexec_b32 s9, s0
	s_cbranch_execz .LBB222_837
; %bb.830:                              ;   in Loop: Header=BB222_481 Depth=1
	v_mov_b32_e32 v11, v6
	v_mov_b32_e32 v20, v12
	v_cmp_ne_u16_sdwa s0, v93, v44 src0_sel:BYTE_1 src1_sel:DWORD
	v_mov_b32_e32 v19, v11
	s_and_saveexec_b32 s13, s0
	s_cbranch_execz .LBB222_836
; %bb.831:                              ;   in Loop: Header=BB222_481 Depth=1
	v_and_b32_sdwa v5, v45, v93 dst_sel:DWORD dst_unused:UNUSED_PAD src0_sel:DWORD src1_sel:BYTE_1
	v_mov_b32_e32 v13, v6
	v_mov_b32_e32 v20, v14
	s_mov_b32 s14, exec_lo
	v_and_b32_e32 v21, 0x7f, v5
	v_mov_b32_e32 v19, v13
	v_cmpx_ne_u32_e32 0x7f, v21
	s_cbranch_execz .LBB222_835
; %bb.832:                              ;   in Loop: Header=BB222_481 Depth=1
	v_and_b32_e32 v5, 7, v5
	v_lshrrev_b32_e32 v11, 3, v21
	s_mov_b32 s15, exec_lo
	v_cmpx_gt_u32_e32 8, v21
; %bb.833:                              ;   in Loop: Header=BB222_481 Depth=1
	v_ffbh_u32_e32 v11, v5
	v_min_u32_e32 v11, 32, v11
	v_subrev_nc_u32_e32 v13, 28, v11
	v_sub_nc_u32_e32 v11, 29, v11
	v_lshlrev_b64 v[19:20], v13, v[5:6]
	v_and_b32_e32 v5, 7, v19
; %bb.834:                              ;   in Loop: Header=BB222_481 Depth=1
	s_or_b32 exec_lo, exec_lo, s15
	v_lshlrev_b32_e32 v13, 16, v93
	v_lshlrev_b32_e32 v5, 20, v5
	v_lshl_add_u32 v11, v11, 23, 0x3c000000
	v_mov_b32_e32 v19, v6
	v_and_b32_e32 v13, 0x80000000, v13
	v_or3_b32 v20, v5, v13, v11
.LBB222_835:                            ;   in Loop: Header=BB222_481 Depth=1
	s_or_b32 exec_lo, exec_lo, s14
.LBB222_836:                            ;   in Loop: Header=BB222_481 Depth=1
	s_or_b32 exec_lo, exec_lo, s13
.LBB222_837:                            ;   in Loop: Header=BB222_481 Depth=1
	s_or_b32 exec_lo, exec_lo, s9
	v_mov_b32_e32 v23, 0
	v_mov_b32_e32 v21, 0
	v_and_b32_sdwa v5, v93, v46 dst_sel:DWORD dst_unused:UNUSED_PAD src0_sel:WORD_1 src1_sel:DWORD
	v_mov_b32_e32 v24, 0
	v_mov_b32_e32 v22, 0
	s_mov_b32 s9, exec_lo
	v_cmpx_ne_u16_e32 0, v5
	s_cbranch_execz .LBB222_845
; %bb.838:                              ;   in Loop: Header=BB222_481 Depth=1
	v_bfrev_b32_e32 v21, 1
	v_mov_b32_e32 v22, 0
	s_mov_b32 s13, exec_lo
	v_cmpx_ne_u16_e32 0x80, v5
	s_cbranch_execz .LBB222_844
; %bb.839:                              ;   in Loop: Header=BB222_481 Depth=1
	v_mov_b32_e32 v21, 0x7f800001
	v_bfe_u32 v13, v93, 16, 7
	v_mov_b32_e32 v22, 0
	s_mov_b32 s14, exec_lo
	v_cmpx_ne_u32_e32 0x7f, v13
	s_cbranch_execz .LBB222_843
; %bb.840:                              ;   in Loop: Header=BB222_481 Depth=1
	v_and_b32_sdwa v5, v93, v47 dst_sel:DWORD dst_unused:UNUSED_PAD src0_sel:WORD_1 src1_sel:DWORD
	v_lshrrev_b32_e32 v11, 3, v13
	s_mov_b32 s15, exec_lo
	v_cmpx_gt_u32_e32 8, v13
; %bb.841:                              ;   in Loop: Header=BB222_481 Depth=1
	v_ffbh_u32_e32 v11, v5
	v_min_u32_e32 v11, 32, v11
	v_subrev_nc_u32_e32 v13, 28, v11
	v_sub_nc_u32_e32 v11, 29, v11
	v_lshlrev_b64 v[21:22], v13, v[5:6]
	v_and_b32_e32 v5, 7, v21
; %bb.842:                              ;   in Loop: Header=BB222_481 Depth=1
	s_or_b32 exec_lo, exec_lo, s15
	v_lshlrev_b32_sdwa v13, v48, v93 dst_sel:DWORD dst_unused:UNUSED_PAD src0_sel:DWORD src1_sel:WORD_1
	v_lshlrev_b32_e32 v5, 20, v5
	v_lshl_add_u32 v11, v11, 23, 0x3c000000
	v_and_b32_e32 v13, 0x80000000, v13
	v_or3_b32 v5, v5, v13, v11
	v_mov_b32_e32 v22, v6
	v_mov_b32_e32 v21, v5
.LBB222_843:                            ;   in Loop: Header=BB222_481 Depth=1
	s_or_b32 exec_lo, exec_lo, s14
.LBB222_844:                            ;   in Loop: Header=BB222_481 Depth=1
	s_or_b32 exec_lo, exec_lo, s13
.LBB222_845:                            ;   in Loop: Header=BB222_481 Depth=1
	s_or_b32 exec_lo, exec_lo, s9
	s_mov_b32 s9, exec_lo
	v_cmpx_lt_u32_e32 0xffffff, v93
	s_cbranch_execz .LBB222_853
; %bb.846:                              ;   in Loop: Header=BB222_481 Depth=1
	v_mov_b32_e32 v11, v6
	v_mov_b32_e32 v24, v12
	v_cmp_ne_u32_sdwa s0, v93, v44 src0_sel:BYTE_3 src1_sel:DWORD
	v_mov_b32_e32 v23, v11
	s_and_saveexec_b32 s13, s0
	s_cbranch_execz .LBB222_852
; %bb.847:                              ;   in Loop: Header=BB222_481 Depth=1
	v_mov_b32_e32 v13, v6
	v_mov_b32_e32 v24, v14
	v_bfe_u32 v94, v93, 24, 7
	s_mov_b32 s14, exec_lo
	v_mov_b32_e32 v23, v13
	v_cmpx_ne_u32_e32 0x7f, v94
	s_cbranch_execz .LBB222_851
; %bb.848:                              ;   in Loop: Header=BB222_481 Depth=1
	v_and_b32_sdwa v5, v93, v47 dst_sel:DWORD dst_unused:UNUSED_PAD src0_sel:BYTE_3 src1_sel:DWORD
	v_lshrrev_b32_e32 v11, 3, v94
	s_mov_b32 s15, exec_lo
	v_cmpx_gt_u32_e32 8, v94
; %bb.849:                              ;   in Loop: Header=BB222_481 Depth=1
	v_ffbh_u32_e32 v11, v5
	v_min_u32_e32 v11, 32, v11
	v_subrev_nc_u32_e32 v13, 28, v11
	v_sub_nc_u32_e32 v11, 29, v11
	v_lshlrev_b64 v[23:24], v13, v[5:6]
	v_and_b32_e32 v5, 7, v23
; %bb.850:                              ;   in Loop: Header=BB222_481 Depth=1
	s_or_b32 exec_lo, exec_lo, s15
	v_lshlrev_b32_sdwa v13, v48, v93 dst_sel:DWORD dst_unused:UNUSED_PAD src0_sel:DWORD src1_sel:BYTE_3
	v_lshlrev_b32_e32 v5, 20, v5
	v_lshl_add_u32 v11, v11, 23, 0x3c000000
	v_mov_b32_e32 v23, v6
	v_and_b32_e32 v13, 0x80000000, v13
	v_or3_b32 v24, v5, v13, v11
.LBB222_851:                            ;   in Loop: Header=BB222_481 Depth=1
	s_or_b32 exec_lo, exec_lo, s14
.LBB222_852:                            ;   in Loop: Header=BB222_481 Depth=1
	s_or_b32 exec_lo, exec_lo, s13
.LBB222_853:                            ;   in Loop: Header=BB222_481 Depth=1
	s_or_b32 exec_lo, exec_lo, s9
	v_or_b32_e32 v5, v20, v18
	v_or_b32_e32 v11, v19, v17
	;; [unrolled: 1-line block ×4, first 2 shown]
	v_mul_f32_e32 v95, s6, v5
	v_mul_f32_e32 v96, s3, v11
	;; [unrolled: 1-line block ×4, first 2 shown]
	s_and_saveexec_b32 s9, vcc_lo
	s_cbranch_execz .LBB222_855
; %bb.854:                              ;   in Loop: Header=BB222_481 Depth=1
	v_cmp_gt_i32_e64 s0, s27, v53
	v_cndmask_b32_e64 v96, 0, v96, s0
	v_cmp_gt_i32_e64 s0, s27, v55
	v_cndmask_b32_e64 v95, 0, v95, s0
	;; [unrolled: 2-line block ×4, first 2 shown]
.LBB222_855:                            ;   in Loop: Header=BB222_481 Depth=1
	s_or_b32 exec_lo, exec_lo, s9
	global_load_dword v97, v[15:16], off offset:1408
	v_mov_b32_e32 v19, 0
	v_mov_b32_e32 v17, 0
	;; [unrolled: 1-line block ×4, first 2 shown]
	s_waitcnt vmcnt(0)
	v_cmp_ne_u16_sdwa s0, v97, v6 src0_sel:BYTE_0 src1_sel:DWORD
	s_and_saveexec_b32 s9, s0
	s_cbranch_execz .LBB222_863
; %bb.856:                              ;   in Loop: Header=BB222_481 Depth=1
	v_bfrev_b32_e32 v17, 1
	v_mov_b32_e32 v18, 0
	v_cmp_ne_u16_sdwa s0, v97, v44 src0_sel:BYTE_0 src1_sel:DWORD
	s_and_saveexec_b32 s13, s0
	s_cbranch_execz .LBB222_862
; %bb.857:                              ;   in Loop: Header=BB222_481 Depth=1
	v_mov_b32_e32 v17, 0x7f800001
	v_and_b32_e32 v13, 0x7f, v97
	v_mov_b32_e32 v18, 0
	s_mov_b32 s14, exec_lo
	v_cmpx_ne_u32_e32 0x7f, v13
	s_cbranch_execz .LBB222_861
; %bb.858:                              ;   in Loop: Header=BB222_481 Depth=1
	v_and_b32_e32 v5, 7, v97
	v_lshrrev_b32_e32 v11, 3, v13
	s_mov_b32 s15, exec_lo
	v_cmpx_gt_u32_e32 8, v13
; %bb.859:                              ;   in Loop: Header=BB222_481 Depth=1
	v_ffbh_u32_e32 v11, v5
	v_min_u32_e32 v11, 32, v11
	v_subrev_nc_u32_e32 v13, 28, v11
	v_sub_nc_u32_e32 v11, 29, v11
	v_lshlrev_b64 v[17:18], v13, v[5:6]
	v_and_b32_e32 v5, 7, v17
; %bb.860:                              ;   in Loop: Header=BB222_481 Depth=1
	s_or_b32 exec_lo, exec_lo, s15
	v_lshlrev_b32_e32 v13, 24, v97
	v_lshlrev_b32_e32 v5, 20, v5
	v_lshl_add_u32 v11, v11, 23, 0x3c000000
	v_and_b32_e32 v13, 0x80000000, v13
	v_or3_b32 v5, v5, v13, v11
	v_mov_b32_e32 v18, v6
	v_mov_b32_e32 v17, v5
.LBB222_861:                            ;   in Loop: Header=BB222_481 Depth=1
	s_or_b32 exec_lo, exec_lo, s14
.LBB222_862:                            ;   in Loop: Header=BB222_481 Depth=1
	s_or_b32 exec_lo, exec_lo, s13
.LBB222_863:                            ;   in Loop: Header=BB222_481 Depth=1
	s_or_b32 exec_lo, exec_lo, s9
	v_cmp_ne_u16_sdwa s0, v97, v6 src0_sel:BYTE_1 src1_sel:DWORD
	s_and_saveexec_b32 s9, s0
	s_cbranch_execz .LBB222_871
; %bb.864:                              ;   in Loop: Header=BB222_481 Depth=1
	v_mov_b32_e32 v11, v6
	v_mov_b32_e32 v20, v12
	v_cmp_ne_u16_sdwa s0, v97, v44 src0_sel:BYTE_1 src1_sel:DWORD
	v_mov_b32_e32 v19, v11
	s_and_saveexec_b32 s13, s0
	s_cbranch_execz .LBB222_870
; %bb.865:                              ;   in Loop: Header=BB222_481 Depth=1
	v_and_b32_sdwa v5, v45, v97 dst_sel:DWORD dst_unused:UNUSED_PAD src0_sel:DWORD src1_sel:BYTE_1
	v_mov_b32_e32 v13, v6
	v_mov_b32_e32 v20, v14
	s_mov_b32 s14, exec_lo
	v_and_b32_e32 v21, 0x7f, v5
	v_mov_b32_e32 v19, v13
	v_cmpx_ne_u32_e32 0x7f, v21
	s_cbranch_execz .LBB222_869
; %bb.866:                              ;   in Loop: Header=BB222_481 Depth=1
	v_and_b32_e32 v5, 7, v5
	v_lshrrev_b32_e32 v11, 3, v21
	s_mov_b32 s15, exec_lo
	v_cmpx_gt_u32_e32 8, v21
; %bb.867:                              ;   in Loop: Header=BB222_481 Depth=1
	v_ffbh_u32_e32 v11, v5
	v_min_u32_e32 v11, 32, v11
	v_subrev_nc_u32_e32 v13, 28, v11
	v_sub_nc_u32_e32 v11, 29, v11
	v_lshlrev_b64 v[19:20], v13, v[5:6]
	v_and_b32_e32 v5, 7, v19
; %bb.868:                              ;   in Loop: Header=BB222_481 Depth=1
	s_or_b32 exec_lo, exec_lo, s15
	v_lshlrev_b32_e32 v13, 16, v97
	v_lshlrev_b32_e32 v5, 20, v5
	v_lshl_add_u32 v11, v11, 23, 0x3c000000
	v_mov_b32_e32 v19, v6
	v_and_b32_e32 v13, 0x80000000, v13
	v_or3_b32 v20, v5, v13, v11
.LBB222_869:                            ;   in Loop: Header=BB222_481 Depth=1
	s_or_b32 exec_lo, exec_lo, s14
.LBB222_870:                            ;   in Loop: Header=BB222_481 Depth=1
	s_or_b32 exec_lo, exec_lo, s13
.LBB222_871:                            ;   in Loop: Header=BB222_481 Depth=1
	s_or_b32 exec_lo, exec_lo, s9
	v_mov_b32_e32 v23, 0
	v_mov_b32_e32 v21, 0
	v_and_b32_sdwa v5, v97, v46 dst_sel:DWORD dst_unused:UNUSED_PAD src0_sel:WORD_1 src1_sel:DWORD
	v_mov_b32_e32 v24, 0
	v_mov_b32_e32 v22, 0
	s_mov_b32 s9, exec_lo
	v_cmpx_ne_u16_e32 0, v5
	s_cbranch_execz .LBB222_879
; %bb.872:                              ;   in Loop: Header=BB222_481 Depth=1
	v_bfrev_b32_e32 v21, 1
	v_mov_b32_e32 v22, 0
	s_mov_b32 s13, exec_lo
	v_cmpx_ne_u16_e32 0x80, v5
	s_cbranch_execz .LBB222_878
; %bb.873:                              ;   in Loop: Header=BB222_481 Depth=1
	v_mov_b32_e32 v21, 0x7f800001
	v_bfe_u32 v13, v97, 16, 7
	v_mov_b32_e32 v22, 0
	s_mov_b32 s14, exec_lo
	v_cmpx_ne_u32_e32 0x7f, v13
	s_cbranch_execz .LBB222_877
; %bb.874:                              ;   in Loop: Header=BB222_481 Depth=1
	v_and_b32_sdwa v5, v97, v47 dst_sel:DWORD dst_unused:UNUSED_PAD src0_sel:WORD_1 src1_sel:DWORD
	v_lshrrev_b32_e32 v11, 3, v13
	s_mov_b32 s15, exec_lo
	v_cmpx_gt_u32_e32 8, v13
; %bb.875:                              ;   in Loop: Header=BB222_481 Depth=1
	v_ffbh_u32_e32 v11, v5
	v_min_u32_e32 v11, 32, v11
	v_subrev_nc_u32_e32 v13, 28, v11
	v_sub_nc_u32_e32 v11, 29, v11
	v_lshlrev_b64 v[21:22], v13, v[5:6]
	v_and_b32_e32 v5, 7, v21
; %bb.876:                              ;   in Loop: Header=BB222_481 Depth=1
	s_or_b32 exec_lo, exec_lo, s15
	v_lshlrev_b32_sdwa v13, v48, v97 dst_sel:DWORD dst_unused:UNUSED_PAD src0_sel:DWORD src1_sel:WORD_1
	v_lshlrev_b32_e32 v5, 20, v5
	v_lshl_add_u32 v11, v11, 23, 0x3c000000
	v_and_b32_e32 v13, 0x80000000, v13
	v_or3_b32 v5, v5, v13, v11
	v_mov_b32_e32 v22, v6
	v_mov_b32_e32 v21, v5
.LBB222_877:                            ;   in Loop: Header=BB222_481 Depth=1
	s_or_b32 exec_lo, exec_lo, s14
.LBB222_878:                            ;   in Loop: Header=BB222_481 Depth=1
	s_or_b32 exec_lo, exec_lo, s13
.LBB222_879:                            ;   in Loop: Header=BB222_481 Depth=1
	s_or_b32 exec_lo, exec_lo, s9
	s_mov_b32 s9, exec_lo
	v_cmpx_lt_u32_e32 0xffffff, v97
	s_cbranch_execz .LBB222_887
; %bb.880:                              ;   in Loop: Header=BB222_481 Depth=1
	v_mov_b32_e32 v11, v6
	v_mov_b32_e32 v24, v12
	v_cmp_ne_u32_sdwa s0, v97, v44 src0_sel:BYTE_3 src1_sel:DWORD
	v_mov_b32_e32 v23, v11
	s_and_saveexec_b32 s13, s0
	s_cbranch_execz .LBB222_886
; %bb.881:                              ;   in Loop: Header=BB222_481 Depth=1
	v_mov_b32_e32 v13, v6
	v_mov_b32_e32 v24, v14
	v_bfe_u32 v98, v97, 24, 7
	s_mov_b32 s14, exec_lo
	v_mov_b32_e32 v23, v13
	v_cmpx_ne_u32_e32 0x7f, v98
	s_cbranch_execz .LBB222_885
; %bb.882:                              ;   in Loop: Header=BB222_481 Depth=1
	v_and_b32_sdwa v5, v97, v47 dst_sel:DWORD dst_unused:UNUSED_PAD src0_sel:BYTE_3 src1_sel:DWORD
	v_lshrrev_b32_e32 v11, 3, v98
	s_mov_b32 s15, exec_lo
	v_cmpx_gt_u32_e32 8, v98
; %bb.883:                              ;   in Loop: Header=BB222_481 Depth=1
	v_ffbh_u32_e32 v11, v5
	v_min_u32_e32 v11, 32, v11
	v_subrev_nc_u32_e32 v13, 28, v11
	v_sub_nc_u32_e32 v11, 29, v11
	v_lshlrev_b64 v[23:24], v13, v[5:6]
	v_and_b32_e32 v5, 7, v23
; %bb.884:                              ;   in Loop: Header=BB222_481 Depth=1
	s_or_b32 exec_lo, exec_lo, s15
	v_lshlrev_b32_sdwa v13, v48, v97 dst_sel:DWORD dst_unused:UNUSED_PAD src0_sel:DWORD src1_sel:BYTE_3
	v_lshlrev_b32_e32 v5, 20, v5
	v_lshl_add_u32 v11, v11, 23, 0x3c000000
	v_mov_b32_e32 v23, v6
	v_and_b32_e32 v13, 0x80000000, v13
	v_or3_b32 v24, v5, v13, v11
.LBB222_885:                            ;   in Loop: Header=BB222_481 Depth=1
	s_or_b32 exec_lo, exec_lo, s14
.LBB222_886:                            ;   in Loop: Header=BB222_481 Depth=1
	s_or_b32 exec_lo, exec_lo, s13
.LBB222_887:                            ;   in Loop: Header=BB222_481 Depth=1
	s_or_b32 exec_lo, exec_lo, s9
	v_or_b32_e32 v5, v20, v18
	v_or_b32_e32 v11, v19, v17
	v_or_b32_e32 v13, v23, v21
	v_or_b32_e32 v17, v24, v22
	v_mul_f32_e32 v99, s6, v5
	v_mul_f32_e32 v100, s3, v11
	;; [unrolled: 1-line block ×4, first 2 shown]
	s_and_saveexec_b32 s9, vcc_lo
	s_cbranch_execz .LBB222_889
; %bb.888:                              ;   in Loop: Header=BB222_481 Depth=1
	v_cmp_gt_i32_e64 s0, s27, v53
	v_cndmask_b32_e64 v100, 0, v100, s0
	v_cmp_gt_i32_e64 s0, s27, v55
	v_cndmask_b32_e64 v99, 0, v99, s0
	;; [unrolled: 2-line block ×4, first 2 shown]
.LBB222_889:                            ;   in Loop: Header=BB222_481 Depth=1
	s_or_b32 exec_lo, exec_lo, s9
	global_load_dword v101, v[15:16], off offset:1536
	v_mov_b32_e32 v19, 0
	v_mov_b32_e32 v17, 0
	;; [unrolled: 1-line block ×4, first 2 shown]
	s_waitcnt vmcnt(0)
	v_cmp_ne_u16_sdwa s0, v101, v6 src0_sel:BYTE_0 src1_sel:DWORD
	s_and_saveexec_b32 s9, s0
	s_cbranch_execz .LBB222_897
; %bb.890:                              ;   in Loop: Header=BB222_481 Depth=1
	v_bfrev_b32_e32 v17, 1
	v_mov_b32_e32 v18, 0
	v_cmp_ne_u16_sdwa s0, v101, v44 src0_sel:BYTE_0 src1_sel:DWORD
	s_and_saveexec_b32 s13, s0
	s_cbranch_execz .LBB222_896
; %bb.891:                              ;   in Loop: Header=BB222_481 Depth=1
	v_mov_b32_e32 v17, 0x7f800001
	v_and_b32_e32 v13, 0x7f, v101
	v_mov_b32_e32 v18, 0
	s_mov_b32 s14, exec_lo
	v_cmpx_ne_u32_e32 0x7f, v13
	s_cbranch_execz .LBB222_895
; %bb.892:                              ;   in Loop: Header=BB222_481 Depth=1
	v_and_b32_e32 v5, 7, v101
	v_lshrrev_b32_e32 v11, 3, v13
	s_mov_b32 s15, exec_lo
	v_cmpx_gt_u32_e32 8, v13
; %bb.893:                              ;   in Loop: Header=BB222_481 Depth=1
	v_ffbh_u32_e32 v11, v5
	v_min_u32_e32 v11, 32, v11
	v_subrev_nc_u32_e32 v13, 28, v11
	v_sub_nc_u32_e32 v11, 29, v11
	v_lshlrev_b64 v[17:18], v13, v[5:6]
	v_and_b32_e32 v5, 7, v17
; %bb.894:                              ;   in Loop: Header=BB222_481 Depth=1
	s_or_b32 exec_lo, exec_lo, s15
	v_lshlrev_b32_e32 v13, 24, v101
	v_lshlrev_b32_e32 v5, 20, v5
	v_lshl_add_u32 v11, v11, 23, 0x3c000000
	v_and_b32_e32 v13, 0x80000000, v13
	v_or3_b32 v5, v5, v13, v11
	v_mov_b32_e32 v18, v6
	v_mov_b32_e32 v17, v5
.LBB222_895:                            ;   in Loop: Header=BB222_481 Depth=1
	s_or_b32 exec_lo, exec_lo, s14
.LBB222_896:                            ;   in Loop: Header=BB222_481 Depth=1
	s_or_b32 exec_lo, exec_lo, s13
.LBB222_897:                            ;   in Loop: Header=BB222_481 Depth=1
	s_or_b32 exec_lo, exec_lo, s9
	v_cmp_ne_u16_sdwa s0, v101, v6 src0_sel:BYTE_1 src1_sel:DWORD
	s_and_saveexec_b32 s9, s0
	s_cbranch_execz .LBB222_905
; %bb.898:                              ;   in Loop: Header=BB222_481 Depth=1
	v_mov_b32_e32 v11, v6
	v_mov_b32_e32 v20, v12
	v_cmp_ne_u16_sdwa s0, v101, v44 src0_sel:BYTE_1 src1_sel:DWORD
	v_mov_b32_e32 v19, v11
	s_and_saveexec_b32 s13, s0
	s_cbranch_execz .LBB222_904
; %bb.899:                              ;   in Loop: Header=BB222_481 Depth=1
	v_and_b32_sdwa v5, v45, v101 dst_sel:DWORD dst_unused:UNUSED_PAD src0_sel:DWORD src1_sel:BYTE_1
	v_mov_b32_e32 v13, v6
	v_mov_b32_e32 v20, v14
	s_mov_b32 s14, exec_lo
	v_and_b32_e32 v21, 0x7f, v5
	v_mov_b32_e32 v19, v13
	v_cmpx_ne_u32_e32 0x7f, v21
	s_cbranch_execz .LBB222_903
; %bb.900:                              ;   in Loop: Header=BB222_481 Depth=1
	v_and_b32_e32 v5, 7, v5
	v_lshrrev_b32_e32 v11, 3, v21
	s_mov_b32 s15, exec_lo
	v_cmpx_gt_u32_e32 8, v21
; %bb.901:                              ;   in Loop: Header=BB222_481 Depth=1
	v_ffbh_u32_e32 v11, v5
	v_min_u32_e32 v11, 32, v11
	v_subrev_nc_u32_e32 v13, 28, v11
	v_sub_nc_u32_e32 v11, 29, v11
	v_lshlrev_b64 v[19:20], v13, v[5:6]
	v_and_b32_e32 v5, 7, v19
; %bb.902:                              ;   in Loop: Header=BB222_481 Depth=1
	s_or_b32 exec_lo, exec_lo, s15
	v_lshlrev_b32_e32 v13, 16, v101
	v_lshlrev_b32_e32 v5, 20, v5
	v_lshl_add_u32 v11, v11, 23, 0x3c000000
	v_mov_b32_e32 v19, v6
	v_and_b32_e32 v13, 0x80000000, v13
	v_or3_b32 v20, v5, v13, v11
.LBB222_903:                            ;   in Loop: Header=BB222_481 Depth=1
	s_or_b32 exec_lo, exec_lo, s14
.LBB222_904:                            ;   in Loop: Header=BB222_481 Depth=1
	s_or_b32 exec_lo, exec_lo, s13
.LBB222_905:                            ;   in Loop: Header=BB222_481 Depth=1
	s_or_b32 exec_lo, exec_lo, s9
	v_mov_b32_e32 v23, 0
	v_mov_b32_e32 v21, 0
	v_and_b32_sdwa v5, v101, v46 dst_sel:DWORD dst_unused:UNUSED_PAD src0_sel:WORD_1 src1_sel:DWORD
	v_mov_b32_e32 v24, 0
	v_mov_b32_e32 v22, 0
	s_mov_b32 s9, exec_lo
	v_cmpx_ne_u16_e32 0, v5
	s_cbranch_execz .LBB222_913
; %bb.906:                              ;   in Loop: Header=BB222_481 Depth=1
	v_bfrev_b32_e32 v21, 1
	v_mov_b32_e32 v22, 0
	s_mov_b32 s13, exec_lo
	v_cmpx_ne_u16_e32 0x80, v5
	s_cbranch_execz .LBB222_912
; %bb.907:                              ;   in Loop: Header=BB222_481 Depth=1
	v_mov_b32_e32 v21, 0x7f800001
	v_bfe_u32 v13, v101, 16, 7
	v_mov_b32_e32 v22, 0
	s_mov_b32 s14, exec_lo
	v_cmpx_ne_u32_e32 0x7f, v13
	s_cbranch_execz .LBB222_911
; %bb.908:                              ;   in Loop: Header=BB222_481 Depth=1
	v_and_b32_sdwa v5, v101, v47 dst_sel:DWORD dst_unused:UNUSED_PAD src0_sel:WORD_1 src1_sel:DWORD
	v_lshrrev_b32_e32 v11, 3, v13
	s_mov_b32 s15, exec_lo
	v_cmpx_gt_u32_e32 8, v13
; %bb.909:                              ;   in Loop: Header=BB222_481 Depth=1
	v_ffbh_u32_e32 v11, v5
	v_min_u32_e32 v11, 32, v11
	v_subrev_nc_u32_e32 v13, 28, v11
	v_sub_nc_u32_e32 v11, 29, v11
	v_lshlrev_b64 v[21:22], v13, v[5:6]
	v_and_b32_e32 v5, 7, v21
; %bb.910:                              ;   in Loop: Header=BB222_481 Depth=1
	s_or_b32 exec_lo, exec_lo, s15
	v_lshlrev_b32_sdwa v13, v48, v101 dst_sel:DWORD dst_unused:UNUSED_PAD src0_sel:DWORD src1_sel:WORD_1
	v_lshlrev_b32_e32 v5, 20, v5
	v_lshl_add_u32 v11, v11, 23, 0x3c000000
	v_and_b32_e32 v13, 0x80000000, v13
	v_or3_b32 v5, v5, v13, v11
	v_mov_b32_e32 v22, v6
	v_mov_b32_e32 v21, v5
.LBB222_911:                            ;   in Loop: Header=BB222_481 Depth=1
	s_or_b32 exec_lo, exec_lo, s14
.LBB222_912:                            ;   in Loop: Header=BB222_481 Depth=1
	s_or_b32 exec_lo, exec_lo, s13
.LBB222_913:                            ;   in Loop: Header=BB222_481 Depth=1
	s_or_b32 exec_lo, exec_lo, s9
	s_mov_b32 s9, exec_lo
	v_cmpx_lt_u32_e32 0xffffff, v101
	s_cbranch_execz .LBB222_921
; %bb.914:                              ;   in Loop: Header=BB222_481 Depth=1
	v_mov_b32_e32 v11, v6
	v_mov_b32_e32 v24, v12
	v_cmp_ne_u32_sdwa s0, v101, v44 src0_sel:BYTE_3 src1_sel:DWORD
	v_mov_b32_e32 v23, v11
	s_and_saveexec_b32 s13, s0
	s_cbranch_execz .LBB222_920
; %bb.915:                              ;   in Loop: Header=BB222_481 Depth=1
	v_mov_b32_e32 v13, v6
	v_mov_b32_e32 v24, v14
	v_bfe_u32 v102, v101, 24, 7
	s_mov_b32 s14, exec_lo
	v_mov_b32_e32 v23, v13
	v_cmpx_ne_u32_e32 0x7f, v102
	s_cbranch_execz .LBB222_919
; %bb.916:                              ;   in Loop: Header=BB222_481 Depth=1
	v_and_b32_sdwa v5, v101, v47 dst_sel:DWORD dst_unused:UNUSED_PAD src0_sel:BYTE_3 src1_sel:DWORD
	v_lshrrev_b32_e32 v11, 3, v102
	s_mov_b32 s15, exec_lo
	v_cmpx_gt_u32_e32 8, v102
; %bb.917:                              ;   in Loop: Header=BB222_481 Depth=1
	v_ffbh_u32_e32 v11, v5
	v_min_u32_e32 v11, 32, v11
	v_subrev_nc_u32_e32 v13, 28, v11
	v_sub_nc_u32_e32 v11, 29, v11
	v_lshlrev_b64 v[23:24], v13, v[5:6]
	v_and_b32_e32 v5, 7, v23
; %bb.918:                              ;   in Loop: Header=BB222_481 Depth=1
	s_or_b32 exec_lo, exec_lo, s15
	v_lshlrev_b32_sdwa v13, v48, v101 dst_sel:DWORD dst_unused:UNUSED_PAD src0_sel:DWORD src1_sel:BYTE_3
	v_lshlrev_b32_e32 v5, 20, v5
	v_lshl_add_u32 v11, v11, 23, 0x3c000000
	v_mov_b32_e32 v23, v6
	v_and_b32_e32 v13, 0x80000000, v13
	v_or3_b32 v24, v5, v13, v11
.LBB222_919:                            ;   in Loop: Header=BB222_481 Depth=1
	s_or_b32 exec_lo, exec_lo, s14
.LBB222_920:                            ;   in Loop: Header=BB222_481 Depth=1
	s_or_b32 exec_lo, exec_lo, s13
.LBB222_921:                            ;   in Loop: Header=BB222_481 Depth=1
	s_or_b32 exec_lo, exec_lo, s9
	v_or_b32_e32 v5, v20, v18
	v_or_b32_e32 v11, v19, v17
	;; [unrolled: 1-line block ×4, first 2 shown]
	v_mul_f32_e32 v101, s6, v5
	v_mul_f32_e32 v102, s3, v11
	;; [unrolled: 1-line block ×4, first 2 shown]
	s_and_saveexec_b32 s9, vcc_lo
	s_cbranch_execz .LBB222_923
; %bb.922:                              ;   in Loop: Header=BB222_481 Depth=1
	v_cmp_gt_i32_e64 s0, s27, v53
	v_cndmask_b32_e64 v102, 0, v102, s0
	v_cmp_gt_i32_e64 s0, s27, v55
	v_cndmask_b32_e64 v101, 0, v101, s0
	;; [unrolled: 2-line block ×4, first 2 shown]
.LBB222_923:                            ;   in Loop: Header=BB222_481 Depth=1
	s_or_b32 exec_lo, exec_lo, s9
	global_load_dword v103, v[15:16], off offset:1664
	v_mov_b32_e32 v17, 0
	v_mov_b32_e32 v15, 0
	;; [unrolled: 1-line block ×4, first 2 shown]
	s_waitcnt vmcnt(0)
	v_cmp_ne_u16_sdwa s0, v103, v6 src0_sel:BYTE_0 src1_sel:DWORD
	s_and_saveexec_b32 s9, s0
	s_cbranch_execz .LBB222_931
; %bb.924:                              ;   in Loop: Header=BB222_481 Depth=1
	v_bfrev_b32_e32 v15, 1
	v_mov_b32_e32 v16, 0
	v_cmp_ne_u16_sdwa s0, v103, v44 src0_sel:BYTE_0 src1_sel:DWORD
	s_and_saveexec_b32 s13, s0
	s_cbranch_execz .LBB222_930
; %bb.925:                              ;   in Loop: Header=BB222_481 Depth=1
	v_mov_b32_e32 v15, 0x7f800001
	v_and_b32_e32 v13, 0x7f, v103
	v_mov_b32_e32 v16, 0
	s_mov_b32 s14, exec_lo
	v_cmpx_ne_u32_e32 0x7f, v13
	s_cbranch_execz .LBB222_929
; %bb.926:                              ;   in Loop: Header=BB222_481 Depth=1
	v_and_b32_e32 v5, 7, v103
	v_lshrrev_b32_e32 v11, 3, v13
	s_mov_b32 s15, exec_lo
	v_cmpx_gt_u32_e32 8, v13
; %bb.927:                              ;   in Loop: Header=BB222_481 Depth=1
	v_ffbh_u32_e32 v11, v5
	v_min_u32_e32 v11, 32, v11
	v_subrev_nc_u32_e32 v13, 28, v11
	v_sub_nc_u32_e32 v11, 29, v11
	v_lshlrev_b64 v[15:16], v13, v[5:6]
	v_and_b32_e32 v5, 7, v15
; %bb.928:                              ;   in Loop: Header=BB222_481 Depth=1
	s_or_b32 exec_lo, exec_lo, s15
	v_lshlrev_b32_e32 v13, 24, v103
	v_lshlrev_b32_e32 v5, 20, v5
	v_lshl_add_u32 v11, v11, 23, 0x3c000000
	v_and_b32_e32 v13, 0x80000000, v13
	v_or3_b32 v5, v5, v13, v11
	v_mov_b32_e32 v16, v6
	v_mov_b32_e32 v15, v5
.LBB222_929:                            ;   in Loop: Header=BB222_481 Depth=1
	s_or_b32 exec_lo, exec_lo, s14
.LBB222_930:                            ;   in Loop: Header=BB222_481 Depth=1
	s_or_b32 exec_lo, exec_lo, s13
.LBB222_931:                            ;   in Loop: Header=BB222_481 Depth=1
	s_or_b32 exec_lo, exec_lo, s9
	v_cmp_ne_u16_sdwa s0, v103, v6 src0_sel:BYTE_1 src1_sel:DWORD
	s_and_saveexec_b32 s9, s0
	s_cbranch_execz .LBB222_939
; %bb.932:                              ;   in Loop: Header=BB222_481 Depth=1
	v_mov_b32_e32 v11, v6
	v_mov_b32_e32 v18, v12
	v_cmp_ne_u16_sdwa s0, v103, v44 src0_sel:BYTE_1 src1_sel:DWORD
	v_mov_b32_e32 v17, v11
	s_and_saveexec_b32 s13, s0
	s_cbranch_execz .LBB222_938
; %bb.933:                              ;   in Loop: Header=BB222_481 Depth=1
	v_and_b32_sdwa v5, v45, v103 dst_sel:DWORD dst_unused:UNUSED_PAD src0_sel:DWORD src1_sel:BYTE_1
	v_mov_b32_e32 v13, v6
	v_mov_b32_e32 v18, v14
	s_mov_b32 s14, exec_lo
	v_and_b32_e32 v19, 0x7f, v5
	v_mov_b32_e32 v17, v13
	v_cmpx_ne_u32_e32 0x7f, v19
	s_cbranch_execz .LBB222_937
; %bb.934:                              ;   in Loop: Header=BB222_481 Depth=1
	v_and_b32_e32 v5, 7, v5
	v_lshrrev_b32_e32 v11, 3, v19
	s_mov_b32 s15, exec_lo
	v_cmpx_gt_u32_e32 8, v19
; %bb.935:                              ;   in Loop: Header=BB222_481 Depth=1
	v_ffbh_u32_e32 v11, v5
	v_min_u32_e32 v11, 32, v11
	v_subrev_nc_u32_e32 v13, 28, v11
	v_sub_nc_u32_e32 v11, 29, v11
	v_lshlrev_b64 v[17:18], v13, v[5:6]
	v_and_b32_e32 v5, 7, v17
; %bb.936:                              ;   in Loop: Header=BB222_481 Depth=1
	s_or_b32 exec_lo, exec_lo, s15
	v_lshlrev_b32_e32 v13, 16, v103
	v_lshlrev_b32_e32 v5, 20, v5
	v_lshl_add_u32 v11, v11, 23, 0x3c000000
	v_mov_b32_e32 v17, v6
	v_and_b32_e32 v13, 0x80000000, v13
	v_or3_b32 v18, v5, v13, v11
.LBB222_937:                            ;   in Loop: Header=BB222_481 Depth=1
	s_or_b32 exec_lo, exec_lo, s14
.LBB222_938:                            ;   in Loop: Header=BB222_481 Depth=1
	s_or_b32 exec_lo, exec_lo, s13
.LBB222_939:                            ;   in Loop: Header=BB222_481 Depth=1
	s_or_b32 exec_lo, exec_lo, s9
	v_mov_b32_e32 v21, 0
	v_mov_b32_e32 v19, 0
	v_and_b32_sdwa v5, v103, v46 dst_sel:DWORD dst_unused:UNUSED_PAD src0_sel:WORD_1 src1_sel:DWORD
	v_mov_b32_e32 v22, 0
	v_mov_b32_e32 v20, 0
	s_mov_b32 s9, exec_lo
	v_cmpx_ne_u16_e32 0, v5
	s_cbranch_execz .LBB222_947
; %bb.940:                              ;   in Loop: Header=BB222_481 Depth=1
	v_bfrev_b32_e32 v19, 1
	v_mov_b32_e32 v20, 0
	s_mov_b32 s13, exec_lo
	v_cmpx_ne_u16_e32 0x80, v5
	s_cbranch_execz .LBB222_946
; %bb.941:                              ;   in Loop: Header=BB222_481 Depth=1
	v_mov_b32_e32 v19, 0x7f800001
	v_bfe_u32 v13, v103, 16, 7
	v_mov_b32_e32 v20, 0
	s_mov_b32 s14, exec_lo
	v_cmpx_ne_u32_e32 0x7f, v13
	s_cbranch_execz .LBB222_945
; %bb.942:                              ;   in Loop: Header=BB222_481 Depth=1
	v_and_b32_sdwa v5, v103, v47 dst_sel:DWORD dst_unused:UNUSED_PAD src0_sel:WORD_1 src1_sel:DWORD
	v_lshrrev_b32_e32 v11, 3, v13
	s_mov_b32 s15, exec_lo
	v_cmpx_gt_u32_e32 8, v13
; %bb.943:                              ;   in Loop: Header=BB222_481 Depth=1
	v_ffbh_u32_e32 v11, v5
	v_min_u32_e32 v11, 32, v11
	v_subrev_nc_u32_e32 v13, 28, v11
	v_sub_nc_u32_e32 v11, 29, v11
	v_lshlrev_b64 v[19:20], v13, v[5:6]
	v_and_b32_e32 v5, 7, v19
; %bb.944:                              ;   in Loop: Header=BB222_481 Depth=1
	s_or_b32 exec_lo, exec_lo, s15
	v_lshlrev_b32_sdwa v13, v48, v103 dst_sel:DWORD dst_unused:UNUSED_PAD src0_sel:DWORD src1_sel:WORD_1
	v_lshlrev_b32_e32 v5, 20, v5
	v_lshl_add_u32 v11, v11, 23, 0x3c000000
	v_and_b32_e32 v13, 0x80000000, v13
	v_or3_b32 v5, v5, v13, v11
	v_mov_b32_e32 v20, v6
	v_mov_b32_e32 v19, v5
.LBB222_945:                            ;   in Loop: Header=BB222_481 Depth=1
	s_or_b32 exec_lo, exec_lo, s14
.LBB222_946:                            ;   in Loop: Header=BB222_481 Depth=1
	s_or_b32 exec_lo, exec_lo, s13
.LBB222_947:                            ;   in Loop: Header=BB222_481 Depth=1
	s_or_b32 exec_lo, exec_lo, s9
	s_mov_b32 s9, exec_lo
	v_cmpx_lt_u32_e32 0xffffff, v103
	s_cbranch_execz .LBB222_955
; %bb.948:                              ;   in Loop: Header=BB222_481 Depth=1
	v_mov_b32_e32 v11, v6
	v_mov_b32_e32 v22, v12
	v_cmp_ne_u32_sdwa s0, v103, v44 src0_sel:BYTE_3 src1_sel:DWORD
	v_mov_b32_e32 v21, v11
	s_and_saveexec_b32 s13, s0
	s_cbranch_execz .LBB222_954
; %bb.949:                              ;   in Loop: Header=BB222_481 Depth=1
	v_mov_b32_e32 v13, v6
	v_mov_b32_e32 v22, v14
	v_bfe_u32 v104, v103, 24, 7
	s_mov_b32 s14, exec_lo
	v_mov_b32_e32 v21, v13
	v_cmpx_ne_u32_e32 0x7f, v104
	s_cbranch_execz .LBB222_953
; %bb.950:                              ;   in Loop: Header=BB222_481 Depth=1
	v_and_b32_sdwa v5, v103, v47 dst_sel:DWORD dst_unused:UNUSED_PAD src0_sel:BYTE_3 src1_sel:DWORD
	v_lshrrev_b32_e32 v11, 3, v104
	s_mov_b32 s15, exec_lo
	v_cmpx_gt_u32_e32 8, v104
; %bb.951:                              ;   in Loop: Header=BB222_481 Depth=1
	v_ffbh_u32_e32 v11, v5
	v_min_u32_e32 v11, 32, v11
	v_subrev_nc_u32_e32 v13, 28, v11
	v_sub_nc_u32_e32 v11, 29, v11
	v_lshlrev_b64 v[21:22], v13, v[5:6]
	v_and_b32_e32 v5, 7, v21
; %bb.952:                              ;   in Loop: Header=BB222_481 Depth=1
	s_or_b32 exec_lo, exec_lo, s15
	v_lshlrev_b32_sdwa v13, v48, v103 dst_sel:DWORD dst_unused:UNUSED_PAD src0_sel:DWORD src1_sel:BYTE_3
	v_lshlrev_b32_e32 v5, 20, v5
	v_lshl_add_u32 v11, v11, 23, 0x3c000000
	v_mov_b32_e32 v21, v6
	v_and_b32_e32 v13, 0x80000000, v13
	v_or3_b32 v22, v5, v13, v11
.LBB222_953:                            ;   in Loop: Header=BB222_481 Depth=1
	s_or_b32 exec_lo, exec_lo, s14
.LBB222_954:                            ;   in Loop: Header=BB222_481 Depth=1
	s_or_b32 exec_lo, exec_lo, s13
.LBB222_955:                            ;   in Loop: Header=BB222_481 Depth=1
	s_or_b32 exec_lo, exec_lo, s9
	v_or_b32_e32 v5, v18, v16
	v_or_b32_e32 v11, v17, v15
	;; [unrolled: 1-line block ×4, first 2 shown]
	v_mul_f32_e32 v13, s6, v5
	v_mul_f32_e32 v15, s3, v11
	;; [unrolled: 1-line block ×4, first 2 shown]
	s_and_saveexec_b32 s0, vcc_lo
	s_cbranch_execz .LBB222_480
; %bb.956:                              ;   in Loop: Header=BB222_481 Depth=1
	v_cmp_gt_i32_e32 vcc_lo, s27, v53
	v_cndmask_b32_e32 v15, 0, v15, vcc_lo
	v_cmp_gt_i32_e32 vcc_lo, s27, v55
	v_cndmask_b32_e32 v13, 0, v13, vcc_lo
	;; [unrolled: 2-line block ×4, first 2 shown]
	s_branch .LBB222_480
.LBB222_957:
	s_or_b32 exec_lo, exec_lo, s5
.LBB222_958:
	s_or_b32 exec_lo, exec_lo, s1
	ds_bpermute_b32 v1, v26, v39
	ds_bpermute_b32 v2, v26, v41
	;; [unrolled: 1-line block ×14, first 2 shown]
	s_mov_b32 s0, exec_lo
	s_waitcnt lgkmcnt(0)
	s_waitcnt_vscnt null, 0x0
	s_barrier
	buffer_gl0_inv
	v_add_f32_e32 v1, v39, v1
	v_add_f32_e32 v2, v41, v2
	;; [unrolled: 1-line block ×7, first 2 shown]
	ds_bpermute_b32 v15, v27, v1
	v_add_f32_e32 v8, v34, v8
	v_add_f32_e32 v9, v33, v9
	;; [unrolled: 1-line block ×7, first 2 shown]
	ds_bpermute_b32 v16, v27, v2
	ds_bpermute_b32 v17, v27, v3
	;; [unrolled: 1-line block ×13, first 2 shown]
	s_waitcnt lgkmcnt(13)
	v_add_f32_e32 v0, v1, v15
	v_and_b32_e32 v15, 28, v25
	v_add_nc_u32_e32 v15, 0x1e0, v15
	s_waitcnt lgkmcnt(12)
	v_add_f32_e32 v1, v2, v16
	s_waitcnt lgkmcnt(11)
	v_add_f32_e32 v2, v3, v17
	;; [unrolled: 2-line block ×12, first 2 shown]
	v_and_b32_e32 v17, 0x3c3, v105
	s_waitcnt lgkmcnt(0)
	v_add_f32_e32 v13, v14, v27
	v_lshrrev_b32_e32 v14, 2, v25
	v_mul_u32_u24_e32 v16, 0x1c0, v106
	v_cmpx_eq_u32_e32 64, v17
	s_cbranch_execz .LBB222_960
; %bb.959:
	v_add_nc_u32_e32 v17, v15, v16
	v_add_nc_u32_e32 v18, 0xfffffc80, v17
	;; [unrolled: 1-line block ×7, first 2 shown]
	ds_write_b32 v18, v0
	ds_write_b32 v19, v1
	;; [unrolled: 1-line block ×4, first 2 shown]
	v_add_nc_u32_e32 v18, 0xfffffd40, v17
	v_add_nc_u32_e32 v19, 0xfffffd60, v17
	;; [unrolled: 1-line block ×3, first 2 shown]
	ds_write_b32 v22, v4
	ds_write_b32 v23, v5
	;; [unrolled: 1-line block ×5, first 2 shown]
	v_add_nc_u32_e32 v18, 0xfffffda0, v17
	v_add_nc_u32_e32 v19, 0xfffffdc0, v17
	v_add_nc_u32_e32 v20, 0xfffffde0, v17
	v_add_nc_u32_e32 v21, 0xfffffe00, v17
	v_add_nc_u32_e32 v17, 0xfffffe20, v17
	ds_write_b32 v18, v9
	ds_write_b32 v19, v10
	;; [unrolled: 1-line block ×5, first 2 shown]
.LBB222_960:
	s_or_b32 exec_lo, exec_lo, s0
	v_lshlrev_b32_e32 v14, 2, v14
	s_mov_b32 s1, exec_lo
	v_cmp_eq_u32_e32 vcc_lo, 0, v28
	s_waitcnt lgkmcnt(0)
	s_barrier
	v_add3_u32 v14, 0x1e0, v16, v14
	buffer_gl0_inv
	v_cmpx_gt_u32_e32 64, v105
	s_cbranch_execz .LBB222_977
; %bb.961:
	s_and_saveexec_b32 s0, vcc_lo
	s_cbranch_execnz .LBB222_999
; %bb.962:
	s_or_b32 exec_lo, exec_lo, s0
	s_and_saveexec_b32 s0, vcc_lo
	s_cbranch_execnz .LBB222_1000
.LBB222_963:
	s_or_b32 exec_lo, exec_lo, s0
	s_and_saveexec_b32 s0, vcc_lo
	s_cbranch_execnz .LBB222_1001
.LBB222_964:
	s_or_b32 exec_lo, exec_lo, s0
	s_and_saveexec_b32 s0, vcc_lo
	s_cbranch_execnz .LBB222_1002
.LBB222_965:
	s_or_b32 exec_lo, exec_lo, s0
	s_and_saveexec_b32 s0, vcc_lo
	s_cbranch_execnz .LBB222_1003
.LBB222_966:
	s_or_b32 exec_lo, exec_lo, s0
	s_and_saveexec_b32 s0, vcc_lo
	s_cbranch_execnz .LBB222_1004
.LBB222_967:
	s_or_b32 exec_lo, exec_lo, s0
	s_and_saveexec_b32 s0, vcc_lo
	s_cbranch_execnz .LBB222_1005
.LBB222_968:
	s_or_b32 exec_lo, exec_lo, s0
	s_and_saveexec_b32 s0, vcc_lo
	s_cbranch_execnz .LBB222_1006
.LBB222_969:
	s_or_b32 exec_lo, exec_lo, s0
	s_and_saveexec_b32 s0, vcc_lo
	s_cbranch_execnz .LBB222_1007
.LBB222_970:
	s_or_b32 exec_lo, exec_lo, s0
	s_and_saveexec_b32 s0, vcc_lo
	s_cbranch_execnz .LBB222_1008
.LBB222_971:
	s_or_b32 exec_lo, exec_lo, s0
	s_and_saveexec_b32 s0, vcc_lo
	s_cbranch_execnz .LBB222_1009
.LBB222_972:
	s_or_b32 exec_lo, exec_lo, s0
	s_and_saveexec_b32 s0, vcc_lo
	s_cbranch_execnz .LBB222_1010
.LBB222_973:
	s_or_b32 exec_lo, exec_lo, s0
	s_and_saveexec_b32 s0, vcc_lo
	s_cbranch_execnz .LBB222_1011
.LBB222_974:
	s_or_b32 exec_lo, exec_lo, s0
	s_and_saveexec_b32 s0, vcc_lo
	s_cbranch_execz .LBB222_976
.LBB222_975:
	ds_read_b32 v16, v14 offset:416
	s_waitcnt lgkmcnt(0)
	v_add_f32_e32 v13, v13, v16
.LBB222_976:
	s_or_b32 exec_lo, exec_lo, s0
.LBB222_977:
	s_or_b32 exec_lo, exec_lo, s1
	v_and_b32_e32 v16, 0x3e3, v105
	s_mov_b32 s1, exec_lo
	s_barrier
	buffer_gl0_inv
	v_cmpx_eq_u32_e32 32, v16
	s_cbranch_execz .LBB222_979
; %bb.978:
	ds_write2_b32 v15, v0, v1 offset1:8
	ds_write2_b32 v15, v2, v3 offset0:16 offset1:24
	ds_write2_b32 v15, v4, v5 offset0:32 offset1:40
	;; [unrolled: 1-line block ×6, first 2 shown]
.LBB222_979:
	s_or_b32 exec_lo, exec_lo, s1
	s_mov_b32 s1, exec_lo
	s_waitcnt lgkmcnt(0)
	s_barrier
	buffer_gl0_inv
	v_cmpx_gt_u32_e32 32, v105
	s_cbranch_execz .LBB222_996
; %bb.980:
	s_and_saveexec_b32 s0, vcc_lo
	s_cbranch_execnz .LBB222_1012
; %bb.981:
	s_or_b32 exec_lo, exec_lo, s0
	s_and_saveexec_b32 s0, vcc_lo
	s_cbranch_execnz .LBB222_1013
.LBB222_982:
	s_or_b32 exec_lo, exec_lo, s0
	s_and_saveexec_b32 s0, vcc_lo
	s_cbranch_execnz .LBB222_1014
.LBB222_983:
	s_or_b32 exec_lo, exec_lo, s0
	s_and_saveexec_b32 s0, vcc_lo
	s_cbranch_execnz .LBB222_1015
.LBB222_984:
	s_or_b32 exec_lo, exec_lo, s0
	s_and_saveexec_b32 s0, vcc_lo
	s_cbranch_execnz .LBB222_1016
.LBB222_985:
	s_or_b32 exec_lo, exec_lo, s0
	s_and_saveexec_b32 s0, vcc_lo
	s_cbranch_execnz .LBB222_1017
.LBB222_986:
	s_or_b32 exec_lo, exec_lo, s0
	s_and_saveexec_b32 s0, vcc_lo
	s_cbranch_execnz .LBB222_1018
.LBB222_987:
	s_or_b32 exec_lo, exec_lo, s0
	s_and_saveexec_b32 s0, vcc_lo
	s_cbranch_execnz .LBB222_1019
.LBB222_988:
	s_or_b32 exec_lo, exec_lo, s0
	s_and_saveexec_b32 s0, vcc_lo
	s_cbranch_execnz .LBB222_1020
.LBB222_989:
	s_or_b32 exec_lo, exec_lo, s0
	s_and_saveexec_b32 s0, vcc_lo
	s_cbranch_execnz .LBB222_1021
.LBB222_990:
	s_or_b32 exec_lo, exec_lo, s0
	s_and_saveexec_b32 s0, vcc_lo
	s_cbranch_execnz .LBB222_1022
.LBB222_991:
	s_or_b32 exec_lo, exec_lo, s0
	s_and_saveexec_b32 s0, vcc_lo
	s_cbranch_execnz .LBB222_1023
.LBB222_992:
	s_or_b32 exec_lo, exec_lo, s0
	s_and_saveexec_b32 s0, vcc_lo
	s_cbranch_execnz .LBB222_1024
.LBB222_993:
	s_or_b32 exec_lo, exec_lo, s0
	s_and_saveexec_b32 s0, vcc_lo
	s_cbranch_execz .LBB222_995
.LBB222_994:
	ds_read_b32 v14, v14 offset:416
	s_waitcnt lgkmcnt(0)
	v_add_f32_e32 v13, v13, v14
.LBB222_995:
	s_or_b32 exec_lo, exec_lo, s0
.LBB222_996:
	s_or_b32 exec_lo, exec_lo, s1
	s_barrier
	buffer_gl0_inv
	s_mov_b32 s0, exec_lo
	v_cmpx_eq_u32_e32 0, v16
	s_cbranch_execz .LBB222_998
; %bb.997:
	s_mul_i32 s0, s2, 0x70
	s_mul_i32 s2, s7, s10
	s_ashr_i32 s1, s0, 31
	s_lshl_b64 s[0:1], s[0:1], 2
	s_add_u32 s4, s24, s0
	s_addc_u32 s5, s25, s1
	s_ashr_i32 s3, s2, 31
	s_lshl_b64 s[0:1], s[2:3], 2
	s_mul_i32 s2, s8, 0x70
	s_add_u32 s4, s4, s0
	s_addc_u32 s5, s5, s1
	s_ashr_i32 s3, s2, 31
	s_lshl_b64 s[0:1], s[2:3], 2
	s_add_u32 s0, s4, s0
	s_addc_u32 s1, s5, s1
	global_store_dword v105, v0, s[0:1]
	global_store_dword v105, v1, s[0:1] offset:32
	global_store_dword v105, v2, s[0:1] offset:64
	;; [unrolled: 1-line block ×13, first 2 shown]
.LBB222_998:
	s_endpgm
.LBB222_999:
	ds_read_b32 v16, v14
	s_waitcnt lgkmcnt(0)
	v_add_f32_e32 v0, v0, v16
	s_or_b32 exec_lo, exec_lo, s0
	s_and_saveexec_b32 s0, vcc_lo
	s_cbranch_execz .LBB222_963
.LBB222_1000:
	ds_read_b32 v16, v14 offset:32
	s_waitcnt lgkmcnt(0)
	v_add_f32_e32 v1, v1, v16
	s_or_b32 exec_lo, exec_lo, s0
	s_and_saveexec_b32 s0, vcc_lo
	s_cbranch_execz .LBB222_964
.LBB222_1001:
	ds_read_b32 v16, v14 offset:64
	s_waitcnt lgkmcnt(0)
	v_add_f32_e32 v2, v2, v16
	s_or_b32 exec_lo, exec_lo, s0
	s_and_saveexec_b32 s0, vcc_lo
	s_cbranch_execz .LBB222_965
.LBB222_1002:
	ds_read_b32 v16, v14 offset:96
	s_waitcnt lgkmcnt(0)
	v_add_f32_e32 v3, v3, v16
	s_or_b32 exec_lo, exec_lo, s0
	s_and_saveexec_b32 s0, vcc_lo
	s_cbranch_execz .LBB222_966
.LBB222_1003:
	ds_read_b32 v16, v14 offset:128
	s_waitcnt lgkmcnt(0)
	v_add_f32_e32 v4, v4, v16
	s_or_b32 exec_lo, exec_lo, s0
	s_and_saveexec_b32 s0, vcc_lo
	s_cbranch_execz .LBB222_967
.LBB222_1004:
	ds_read_b32 v16, v14 offset:160
	s_waitcnt lgkmcnt(0)
	v_add_f32_e32 v5, v5, v16
	s_or_b32 exec_lo, exec_lo, s0
	s_and_saveexec_b32 s0, vcc_lo
	s_cbranch_execz .LBB222_968
.LBB222_1005:
	ds_read_b32 v16, v14 offset:192
	s_waitcnt lgkmcnt(0)
	v_add_f32_e32 v6, v6, v16
	s_or_b32 exec_lo, exec_lo, s0
	s_and_saveexec_b32 s0, vcc_lo
	s_cbranch_execz .LBB222_969
.LBB222_1006:
	ds_read_b32 v16, v14 offset:224
	s_waitcnt lgkmcnt(0)
	v_add_f32_e32 v7, v7, v16
	s_or_b32 exec_lo, exec_lo, s0
	s_and_saveexec_b32 s0, vcc_lo
	s_cbranch_execz .LBB222_970
.LBB222_1007:
	ds_read_b32 v16, v14 offset:256
	s_waitcnt lgkmcnt(0)
	v_add_f32_e32 v8, v8, v16
	s_or_b32 exec_lo, exec_lo, s0
	s_and_saveexec_b32 s0, vcc_lo
	s_cbranch_execz .LBB222_971
.LBB222_1008:
	ds_read_b32 v16, v14 offset:288
	s_waitcnt lgkmcnt(0)
	v_add_f32_e32 v9, v9, v16
	s_or_b32 exec_lo, exec_lo, s0
	s_and_saveexec_b32 s0, vcc_lo
	s_cbranch_execz .LBB222_972
.LBB222_1009:
	ds_read_b32 v16, v14 offset:320
	s_waitcnt lgkmcnt(0)
	v_add_f32_e32 v10, v10, v16
	s_or_b32 exec_lo, exec_lo, s0
	s_and_saveexec_b32 s0, vcc_lo
	s_cbranch_execz .LBB222_973
.LBB222_1010:
	ds_read_b32 v16, v14 offset:352
	s_waitcnt lgkmcnt(0)
	v_add_f32_e32 v11, v11, v16
	s_or_b32 exec_lo, exec_lo, s0
	s_and_saveexec_b32 s0, vcc_lo
	s_cbranch_execz .LBB222_974
.LBB222_1011:
	ds_read_b32 v16, v14 offset:384
	s_waitcnt lgkmcnt(0)
	v_add_f32_e32 v12, v12, v16
	s_or_b32 exec_lo, exec_lo, s0
	s_and_saveexec_b32 s0, vcc_lo
	s_cbranch_execnz .LBB222_975
	s_branch .LBB222_976
.LBB222_1012:
	ds_read_b32 v15, v14
	s_waitcnt lgkmcnt(0)
	v_add_f32_e32 v0, v0, v15
	s_or_b32 exec_lo, exec_lo, s0
	s_and_saveexec_b32 s0, vcc_lo
	s_cbranch_execz .LBB222_982
.LBB222_1013:
	ds_read_b32 v15, v14 offset:32
	s_waitcnt lgkmcnt(0)
	v_add_f32_e32 v1, v1, v15
	s_or_b32 exec_lo, exec_lo, s0
	s_and_saveexec_b32 s0, vcc_lo
	s_cbranch_execz .LBB222_983
.LBB222_1014:
	ds_read_b32 v15, v14 offset:64
	s_waitcnt lgkmcnt(0)
	v_add_f32_e32 v2, v2, v15
	s_or_b32 exec_lo, exec_lo, s0
	s_and_saveexec_b32 s0, vcc_lo
	s_cbranch_execz .LBB222_984
.LBB222_1015:
	ds_read_b32 v15, v14 offset:96
	s_waitcnt lgkmcnt(0)
	v_add_f32_e32 v3, v3, v15
	s_or_b32 exec_lo, exec_lo, s0
	s_and_saveexec_b32 s0, vcc_lo
	s_cbranch_execz .LBB222_985
.LBB222_1016:
	ds_read_b32 v15, v14 offset:128
	s_waitcnt lgkmcnt(0)
	v_add_f32_e32 v4, v4, v15
	s_or_b32 exec_lo, exec_lo, s0
	s_and_saveexec_b32 s0, vcc_lo
	s_cbranch_execz .LBB222_986
.LBB222_1017:
	ds_read_b32 v15, v14 offset:160
	s_waitcnt lgkmcnt(0)
	v_add_f32_e32 v5, v5, v15
	s_or_b32 exec_lo, exec_lo, s0
	s_and_saveexec_b32 s0, vcc_lo
	s_cbranch_execz .LBB222_987
.LBB222_1018:
	ds_read_b32 v15, v14 offset:192
	s_waitcnt lgkmcnt(0)
	v_add_f32_e32 v6, v6, v15
	s_or_b32 exec_lo, exec_lo, s0
	s_and_saveexec_b32 s0, vcc_lo
	s_cbranch_execz .LBB222_988
.LBB222_1019:
	ds_read_b32 v15, v14 offset:224
	s_waitcnt lgkmcnt(0)
	v_add_f32_e32 v7, v7, v15
	s_or_b32 exec_lo, exec_lo, s0
	s_and_saveexec_b32 s0, vcc_lo
	s_cbranch_execz .LBB222_989
.LBB222_1020:
	ds_read_b32 v15, v14 offset:256
	s_waitcnt lgkmcnt(0)
	v_add_f32_e32 v8, v8, v15
	s_or_b32 exec_lo, exec_lo, s0
	s_and_saveexec_b32 s0, vcc_lo
	s_cbranch_execz .LBB222_990
.LBB222_1021:
	ds_read_b32 v15, v14 offset:288
	s_waitcnt lgkmcnt(0)
	v_add_f32_e32 v9, v9, v15
	s_or_b32 exec_lo, exec_lo, s0
	s_and_saveexec_b32 s0, vcc_lo
	s_cbranch_execz .LBB222_991
.LBB222_1022:
	ds_read_b32 v15, v14 offset:320
	s_waitcnt lgkmcnt(0)
	v_add_f32_e32 v10, v10, v15
	s_or_b32 exec_lo, exec_lo, s0
	s_and_saveexec_b32 s0, vcc_lo
	s_cbranch_execz .LBB222_992
.LBB222_1023:
	ds_read_b32 v15, v14 offset:352
	s_waitcnt lgkmcnt(0)
	v_add_f32_e32 v11, v11, v15
	s_or_b32 exec_lo, exec_lo, s0
	s_and_saveexec_b32 s0, vcc_lo
	s_cbranch_execz .LBB222_993
.LBB222_1024:
	ds_read_b32 v15, v14 offset:384
	s_waitcnt lgkmcnt(0)
	v_add_f32_e32 v12, v12, v15
	s_or_b32 exec_lo, exec_lo, s0
	s_and_saveexec_b32 s0, vcc_lo
	s_cbranch_execnz .LBB222_994
	s_branch .LBB222_995
	.section	.rodata,"a",@progbits
	.p2align	6, 0x0
	.amdhsa_kernel _ZN4vllm25paged_attention_v2_kernelIfhLi112ELi16ELi128ELNS_18Fp8KVCacheDataTypeE1ELb0ELi512EEEvPfS2_PT_PKS3_PKT0_S9_ifPKiSB_iPKfiiiSD_SD_iiiii
		.amdhsa_group_segment_fixed_size 480
		.amdhsa_private_segment_fixed_size 260
		.amdhsa_kernarg_size 400
		.amdhsa_user_sgpr_count 6
		.amdhsa_user_sgpr_private_segment_buffer 1
		.amdhsa_user_sgpr_dispatch_ptr 0
		.amdhsa_user_sgpr_queue_ptr 0
		.amdhsa_user_sgpr_kernarg_segment_ptr 1
		.amdhsa_user_sgpr_dispatch_id 0
		.amdhsa_user_sgpr_flat_scratch_init 0
		.amdhsa_user_sgpr_private_segment_size 0
		.amdhsa_wavefront_size32 1
		.amdhsa_uses_dynamic_stack 0
		.amdhsa_system_sgpr_private_segment_wavefront_offset 1
		.amdhsa_system_sgpr_workgroup_id_x 1
		.amdhsa_system_sgpr_workgroup_id_y 1
		.amdhsa_system_sgpr_workgroup_id_z 1
		.amdhsa_system_sgpr_workgroup_info 0
		.amdhsa_system_vgpr_workitem_id 0
		.amdhsa_next_free_vgpr 128
		.amdhsa_next_free_sgpr 48
		.amdhsa_reserve_vcc 1
		.amdhsa_reserve_flat_scratch 0
		.amdhsa_float_round_mode_32 0
		.amdhsa_float_round_mode_16_64 0
		.amdhsa_float_denorm_mode_32 3
		.amdhsa_float_denorm_mode_16_64 3
		.amdhsa_dx10_clamp 1
		.amdhsa_ieee_mode 1
		.amdhsa_fp16_overflow 0
		.amdhsa_workgroup_processor_mode 1
		.amdhsa_memory_ordered 1
		.amdhsa_forward_progress 1
		.amdhsa_shared_vgpr_count 0
		.amdhsa_exception_fp_ieee_invalid_op 0
		.amdhsa_exception_fp_denorm_src 0
		.amdhsa_exception_fp_ieee_div_zero 0
		.amdhsa_exception_fp_ieee_overflow 0
		.amdhsa_exception_fp_ieee_underflow 0
		.amdhsa_exception_fp_ieee_inexact 0
		.amdhsa_exception_int_div_zero 0
	.end_amdhsa_kernel
	.section	.text._ZN4vllm25paged_attention_v2_kernelIfhLi112ELi16ELi128ELNS_18Fp8KVCacheDataTypeE1ELb0ELi512EEEvPfS2_PT_PKS3_PKT0_S9_ifPKiSB_iPKfiiiSD_SD_iiiii,"axG",@progbits,_ZN4vllm25paged_attention_v2_kernelIfhLi112ELi16ELi128ELNS_18Fp8KVCacheDataTypeE1ELb0ELi512EEEvPfS2_PT_PKS3_PKT0_S9_ifPKiSB_iPKfiiiSD_SD_iiiii,comdat
.Lfunc_end222:
	.size	_ZN4vllm25paged_attention_v2_kernelIfhLi112ELi16ELi128ELNS_18Fp8KVCacheDataTypeE1ELb0ELi512EEEvPfS2_PT_PKS3_PKT0_S9_ifPKiSB_iPKfiiiSD_SD_iiiii, .Lfunc_end222-_ZN4vllm25paged_attention_v2_kernelIfhLi112ELi16ELi128ELNS_18Fp8KVCacheDataTypeE1ELb0ELi512EEEvPfS2_PT_PKS3_PKT0_S9_ifPKiSB_iPKfiiiSD_SD_iiiii
                                        ; -- End function
	.set _ZN4vllm25paged_attention_v2_kernelIfhLi112ELi16ELi128ELNS_18Fp8KVCacheDataTypeE1ELb0ELi512EEEvPfS2_PT_PKS3_PKT0_S9_ifPKiSB_iPKfiiiSD_SD_iiiii.num_vgpr, 128
	.set _ZN4vllm25paged_attention_v2_kernelIfhLi112ELi16ELi128ELNS_18Fp8KVCacheDataTypeE1ELb0ELi512EEEvPfS2_PT_PKS3_PKT0_S9_ifPKiSB_iPKfiiiSD_SD_iiiii.num_agpr, 0
	.set _ZN4vllm25paged_attention_v2_kernelIfhLi112ELi16ELi128ELNS_18Fp8KVCacheDataTypeE1ELb0ELi512EEEvPfS2_PT_PKS3_PKT0_S9_ifPKiSB_iPKfiiiSD_SD_iiiii.numbered_sgpr, 48
	.set _ZN4vllm25paged_attention_v2_kernelIfhLi112ELi16ELi128ELNS_18Fp8KVCacheDataTypeE1ELb0ELi512EEEvPfS2_PT_PKS3_PKT0_S9_ifPKiSB_iPKfiiiSD_SD_iiiii.num_named_barrier, 0
	.set _ZN4vllm25paged_attention_v2_kernelIfhLi112ELi16ELi128ELNS_18Fp8KVCacheDataTypeE1ELb0ELi512EEEvPfS2_PT_PKS3_PKT0_S9_ifPKiSB_iPKfiiiSD_SD_iiiii.private_seg_size, 260
	.set _ZN4vllm25paged_attention_v2_kernelIfhLi112ELi16ELi128ELNS_18Fp8KVCacheDataTypeE1ELb0ELi512EEEvPfS2_PT_PKS3_PKT0_S9_ifPKiSB_iPKfiiiSD_SD_iiiii.uses_vcc, 1
	.set _ZN4vllm25paged_attention_v2_kernelIfhLi112ELi16ELi128ELNS_18Fp8KVCacheDataTypeE1ELb0ELi512EEEvPfS2_PT_PKS3_PKT0_S9_ifPKiSB_iPKfiiiSD_SD_iiiii.uses_flat_scratch, 0
	.set _ZN4vllm25paged_attention_v2_kernelIfhLi112ELi16ELi128ELNS_18Fp8KVCacheDataTypeE1ELb0ELi512EEEvPfS2_PT_PKS3_PKT0_S9_ifPKiSB_iPKfiiiSD_SD_iiiii.has_dyn_sized_stack, 0
	.set _ZN4vllm25paged_attention_v2_kernelIfhLi112ELi16ELi128ELNS_18Fp8KVCacheDataTypeE1ELb0ELi512EEEvPfS2_PT_PKS3_PKT0_S9_ifPKiSB_iPKfiiiSD_SD_iiiii.has_recursion, 0
	.set _ZN4vllm25paged_attention_v2_kernelIfhLi112ELi16ELi128ELNS_18Fp8KVCacheDataTypeE1ELb0ELi512EEEvPfS2_PT_PKS3_PKT0_S9_ifPKiSB_iPKfiiiSD_SD_iiiii.has_indirect_call, 0
	.section	.AMDGPU.csdata,"",@progbits
; Kernel info:
; codeLenInByte = 31052
; TotalNumSgprs: 50
; NumVgprs: 128
; ScratchSize: 260
; MemoryBound: 0
; FloatMode: 240
; IeeeMode: 1
; LDSByteSize: 480 bytes/workgroup (compile time only)
; SGPRBlocks: 0
; VGPRBlocks: 15
; NumSGPRsForWavesPerEU: 50
; NumVGPRsForWavesPerEU: 128
; Occupancy: 8
; WaveLimiterHint : 1
; COMPUTE_PGM_RSRC2:SCRATCH_EN: 1
; COMPUTE_PGM_RSRC2:USER_SGPR: 6
; COMPUTE_PGM_RSRC2:TRAP_HANDLER: 0
; COMPUTE_PGM_RSRC2:TGID_X_EN: 1
; COMPUTE_PGM_RSRC2:TGID_Y_EN: 1
; COMPUTE_PGM_RSRC2:TGID_Z_EN: 1
; COMPUTE_PGM_RSRC2:TIDIG_COMP_CNT: 0
	.section	.text._ZN4vllm25paged_attention_v2_kernelIfhLi120ELi16ELi128ELNS_18Fp8KVCacheDataTypeE1ELb0ELi512EEEvPfS2_PT_PKS3_PKT0_S9_ifPKiSB_iPKfiiiSD_SD_iiiii,"axG",@progbits,_ZN4vllm25paged_attention_v2_kernelIfhLi120ELi16ELi128ELNS_18Fp8KVCacheDataTypeE1ELb0ELi512EEEvPfS2_PT_PKS3_PKT0_S9_ifPKiSB_iPKfiiiSD_SD_iiiii,comdat
	.protected	_ZN4vllm25paged_attention_v2_kernelIfhLi120ELi16ELi128ELNS_18Fp8KVCacheDataTypeE1ELb0ELi512EEEvPfS2_PT_PKS3_PKT0_S9_ifPKiSB_iPKfiiiSD_SD_iiiii ; -- Begin function _ZN4vllm25paged_attention_v2_kernelIfhLi120ELi16ELi128ELNS_18Fp8KVCacheDataTypeE1ELb0ELi512EEEvPfS2_PT_PKS3_PKT0_S9_ifPKiSB_iPKfiiiSD_SD_iiiii
	.globl	_ZN4vllm25paged_attention_v2_kernelIfhLi120ELi16ELi128ELNS_18Fp8KVCacheDataTypeE1ELb0ELi512EEEvPfS2_PT_PKS3_PKT0_S9_ifPKiSB_iPKfiiiSD_SD_iiiii
	.p2align	8
	.type	_ZN4vllm25paged_attention_v2_kernelIfhLi120ELi16ELi128ELNS_18Fp8KVCacheDataTypeE1ELb0ELi512EEEvPfS2_PT_PKS3_PKT0_S9_ifPKiSB_iPKfiiiSD_SD_iiiii,@function
_ZN4vllm25paged_attention_v2_kernelIfhLi120ELi16ELi128ELNS_18Fp8KVCacheDataTypeE1ELb0ELi512EEEvPfS2_PT_PKS3_PKT0_S9_ifPKiSB_iPKfiiiSD_SD_iiiii: ; @_ZN4vllm25paged_attention_v2_kernelIfhLi120ELi16ELi128ELNS_18Fp8KVCacheDataTypeE1ELb0ELi512EEEvPfS2_PT_PKS3_PKT0_S9_ifPKiSB_iPKfiiiSD_SD_iiiii
; %bb.0:
	s_mov_b64 s[46:47], s[2:3]
	s_mov_b64 s[44:45], s[0:1]
	s_load_dwordx2 s[0:1], s[4:5], 0x40
	s_add_u32 s44, s44, s9
	s_addc_u32 s45, s45, 0
	s_mov_b32 s26, s7
	s_ashr_i32 s27, s7, 31
	s_lshl_b64 s[2:3], s[26:27], 2
	s_waitcnt lgkmcnt(0)
	s_add_u32 s0, s0, s2
	s_addc_u32 s1, s1, s3
	s_lshl_b32 s33, s8, 9
	s_load_dword s27, s[0:1], 0x0
	s_waitcnt lgkmcnt(0)
	s_cmp_ge_i32 s33, s27
	s_cbranch_scc1 .LBB223_1066
; %bb.1:
	s_clause 0x1
	s_load_dword s9, s[4:5], 0x90
	s_load_dwordx2 s[36:37], s[4:5], 0x30
	v_mov_b32_e32 v109, v0
	s_waitcnt lgkmcnt(0)
	s_abs_i32 s3, s9
	s_abs_i32 s0, s36
	v_cvt_f32_u32_e32 v0, s0
	s_sub_i32 s2, 0, s0
	v_rcp_iflag_f32_e32 v0, v0
	v_mul_f32_e32 v0, 0x4f7ffffe, v0
	v_cvt_u32_f32_e32 v0, v0
	v_readfirstlane_b32 s1, v0
	s_mul_i32 s2, s2, s1
	s_mul_hi_u32 s2, s1, s2
	s_add_i32 s1, s1, s2
	s_xor_b32 s2, s9, s36
	s_mul_hi_u32 s1, s3, s1
	s_ashr_i32 s2, s2, 31
	s_mul_i32 s7, s1, s0
	s_mov_b32 s36, 0
	s_sub_i32 s3, s3, s7
	s_add_i32 s7, s1, 1
	s_sub_i32 s10, s3, s0
	s_cmp_ge_u32 s3, s0
	s_cselect_b32 s1, s7, s1
	s_cselect_b32 s3, s10, s3
	s_add_i32 s7, s1, 1
	s_cmp_ge_u32 s3, s0
	s_cselect_b32 s0, s7, s1
	s_abs_i32 s16, s6
	s_xor_b32 s0, s0, s2
	s_sub_i32 s10, s0, s2
	s_load_dwordx2 s[0:1], s[4:5], 0x50
	s_abs_i32 s2, s10
	v_cvt_f32_u32_e32 v0, s2
	s_sub_i32 s7, 0, s2
	v_rcp_iflag_f32_e32 v0, v0
	v_mul_f32_e32 v0, 0x4f7ffffe, v0
	v_cvt_u32_f32_e32 v0, v0
	v_readfirstlane_b32 s3, v0
	s_mul_i32 s7, s7, s3
	s_mul_hi_u32 s7, s3, s7
	s_add_i32 s3, s3, s7
	s_waitcnt lgkmcnt(0)
	s_cmp_eq_u64 s[0:1], 0
	s_mul_hi_u32 s3, s16, s3
	s_cbranch_scc1 .LBB223_3
; %bb.2:
	s_ashr_i32 s7, s6, 31
	s_lshl_b64 s[12:13], s[6:7], 2
	s_add_u32 s0, s0, s12
	s_addc_u32 s1, s1, s13
	s_load_dword s36, s[0:1], 0x0
.LBB223_3:
	s_load_dwordx4 s[12:15], s[4:5], 0x58
	v_and_b32_e32 v0, 1, v109
	v_lshlrev_b32_e32 v11, 2, v109
	s_ashr_i32 s0, s6, 31
	s_ashr_i32 s1, s10, 31
	s_mul_i32 s10, s6, 0x78
	s_mov_b32 s7, exec_lo
	v_cmpx_gt_u32_e32 60, v109
	s_cbranch_execz .LBB223_5
; %bb.4:
	s_load_dwordx2 s[18:19], s[4:5], 0x18
	s_waitcnt lgkmcnt(0)
	s_mul_i32 s20, s12, s26
	v_lshlrev_b32_e32 v1, 3, v109
	s_ashr_i32 s21, s20, 31
	v_and_b32_e32 v3, 0xff8, v11
	s_lshl_b64 s[20:21], s[20:21], 2
	v_mad_u32_u24 v3, 0xf0, v0, v3
	s_add_u32 s12, s18, s20
	s_addc_u32 s15, s19, s21
	s_ashr_i32 s11, s10, 31
	s_lshl_b64 s[18:19], s[10:11], 2
	s_add_u32 s18, s12, s18
	s_addc_u32 s19, s15, s19
	global_load_dwordx2 v[1:2], v1, s[18:19]
	s_waitcnt vmcnt(0)
	ds_write_b64 v3, v[1:2]
.LBB223_5:
	s_or_b32 exec_lo, exec_lo, s7
	s_add_i32 s7, s27, 15
	s_clause 0x1
	s_load_dwordx2 s[28:29], s[4:5], 0x38
	s_load_dword s17, s[4:5], 0x48
	s_ashr_i32 s11, s7, 31
	s_waitcnt lgkmcnt(0)
	s_lshl_b32 s15, s8, 5
	s_lshr_b32 s11, s11, 28
	s_xor_b32 s0, s0, s1
	s_add_i32 s7, s7, s11
	s_add_i32 s1, s15, 32
	s_ashr_i32 s12, s7, 4
	s_mul_i32 s7, s3, s2
	s_min_i32 s11, s1, s12
	s_sub_i32 s1, s16, s7
	s_add_i32 s7, s3, 1
	s_sub_i32 s16, s1, s2
	s_cmp_ge_u32 s1, s2
	v_lshrrev_b32_e32 v110, 5, v109
	s_cselect_b32 s3, s7, s3
	s_cselect_b32 s1, s16, s1
	s_add_i32 s7, s3, 1
	s_cmp_ge_u32 s1, s2
	v_or_b32_e32 v111, s15, v110
	s_cselect_b32 s1, s7, s3
	v_mbcnt_lo_u32_b32 v12, -1, 0
	s_xor_b32 s1, s1, s0
	s_mul_i32 s30, s17, s26
	s_sub_i32 s1, s1, s0
	v_cmp_gt_i32_e64 s0, s11, v111
	s_ashr_i32 s31, s30, 31
	s_mov_b32 s2, exec_lo
	s_barrier
	buffer_gl0_inv
                                        ; implicit-def: $vgpr64
                                        ; implicit-def: $vgpr8
	v_cmpx_le_i32_e64 s11, v111
	s_xor_b32 s2, exec_lo, s2
; %bb.6:
	v_mov_b32_e32 v64, 0
	v_mbcnt_lo_u32_b32 v12, -1, 0
	v_mov_b32_e32 v8, 32
                                        ; implicit-def: $vgpr0
; %bb.7:
	s_or_saveexec_b32 s38, s2
	s_clause 0x4
	s_load_dwordx4 s[20:23], s[4:5], 0x0
	s_load_dwordx2 s[24:25], s[4:5], 0x10
	s_load_dword s7, s[4:5], 0x98
	s_load_dwordx2 s[34:35], s[4:5], 0x28
	s_load_dwordx4 s[16:19], s[4:5], 0x68
	v_mov_b32_e32 v3, 0xff7fffff
	v_ashrrev_i32_e32 v112, 31, v111
	s_mul_i32 s14, s1, s14
	s_xor_b32 exec_lo, exec_lo, s38
	s_cbranch_execz .LBB223_493
; %bb.8:
	v_mul_u32_u24_e32 v2, 0xf0, v0
	buffer_store_dword v11, off, s[44:47], 0 offset:296 ; 4-byte Folded Spill
	s_load_dwordx2 s[2:3], s[4:5], 0x20
	buffer_store_dword v109, off, s[44:47], 0 offset:280 ; 4-byte Folded Spill
	s_waitcnt lgkmcnt(0)
	s_load_dword s4, s[16:17], 0x0
	ds_read_b128 v[6:9], v2
	v_xor_b32_e32 v4, 1, v12
	v_bfe_u32 v1, v109, 1, 4
	s_ashr_i32 s1, s14, 31
	v_lshlrev_b32_e32 v3, 1, v0
	v_mov_b32_e32 v64, 0
	v_cmp_gt_i32_e32 vcc_lo, 32, v4
	v_lshlrev_b32_e32 v5, 4, v1
	v_mov_b32_e32 v77, 0x80
	v_bfrev_b32_e32 v58, 1
	v_mov_b32_e32 v54, 0x7f800001
	v_cndmask_b32_e32 v4, v12, v4, vcc_lo
	v_cmp_eq_u32_e32 vcc_lo, 0, v0
	v_lshlrev_b32_e32 v0, 4, v110
	s_mov_b32 s17, s13
	s_mov_b32 s16, 0
	v_lshlrev_b32_e32 v4, 2, v4
	s_add_u32 s2, s2, s14
	s_addc_u32 s1, s3, s1
	v_add_co_u32 v5, s2, s2, v5
	s_waitcnt lgkmcnt(0)
	buffer_store_dword v6, off, s[44:47], 0 offset:28 ; 4-byte Folded Spill
	buffer_store_dword v7, off, s[44:47], 0 offset:32 ; 4-byte Folded Spill
	;; [unrolled: 1-line block ×4, first 2 shown]
	ds_read_b128 v[6:9], v2 offset:16
	v_add3_u32 v0, s33, v0, v1
	s_sub_i32 s5, 1, s27
	s_mov_b32 s39, s4
	s_waitcnt lgkmcnt(0)
	buffer_store_dword v6, off, s[44:47], 0 offset:44 ; 4-byte Folded Spill
	buffer_store_dword v7, off, s[44:47], 0 offset:48 ; 4-byte Folded Spill
	buffer_store_dword v8, off, s[44:47], 0 offset:52 ; 4-byte Folded Spill
	buffer_store_dword v9, off, s[44:47], 0 offset:56 ; 4-byte Folded Spill
	ds_read_b128 v[6:9], v2 offset:32
	s_waitcnt lgkmcnt(0)
	buffer_store_dword v6, off, s[44:47], 0 offset:60 ; 4-byte Folded Spill
	buffer_store_dword v7, off, s[44:47], 0 offset:64 ; 4-byte Folded Spill
	buffer_store_dword v8, off, s[44:47], 0 offset:68 ; 4-byte Folded Spill
	buffer_store_dword v9, off, s[44:47], 0 offset:72 ; 4-byte Folded Spill
	ds_read_b128 v[6:9], v2 offset:48
	;; [unrolled: 6-line block ×5, first 2 shown]
	buffer_store_dword v12, off, s[44:47], 0 offset:300 ; 4-byte Folded Spill
	v_add_co_ci_u32_e64 v6, null, s1, 0, s2
	v_add_co_u32 v5, s2, v5, v3
	v_cmp_neq_f32_e64 s1, s36, 0
	v_add_co_ci_u32_e64 v6, null, 0, v6, s2
	s_lshl_b64 s[2:3], s[30:31], 2
	s_waitcnt lgkmcnt(0)
	buffer_store_dword v7, off, s[44:47], 0 offset:124 ; 4-byte Folded Spill
	buffer_store_dword v8, off, s[44:47], 0 offset:128 ; 4-byte Folded Spill
	;; [unrolled: 1-line block ×4, first 2 shown]
	ds_read_b128 v[7:10], v2 offset:112
	s_add_u32 s2, s28, s2
	s_addc_u32 s3, s29, s3
	s_waitcnt lgkmcnt(0)
	buffer_store_dword v7, off, s[44:47], 0 offset:140 ; 4-byte Folded Spill
	buffer_store_dword v8, off, s[44:47], 0 offset:144 ; 4-byte Folded Spill
	;; [unrolled: 1-line block ×5, first 2 shown]
	v_lshlrev_b32_e32 v4, 2, v1
	buffer_store_dword v5, off, s[44:47], 0 offset:160 ; 4-byte Folded Spill
	buffer_store_dword v6, off, s[44:47], 0 offset:164 ; 4-byte Folded Spill
	;; [unrolled: 1-line block ×3, first 2 shown]
	v_lshl_or_b32 v3, v110, 6, v4
	ds_read_b128 v[4:7], v2 offset:128
	s_waitcnt lgkmcnt(0)
	buffer_store_dword v4, off, s[44:47], 0 offset:168 ; 4-byte Folded Spill
	buffer_store_dword v5, off, s[44:47], 0 offset:172 ; 4-byte Folded Spill
	;; [unrolled: 1-line block ×4, first 2 shown]
	ds_read_b128 v[4:7], v2 offset:144
	v_add_nc_u32_e32 v127, 0x200, v3
	s_waitcnt lgkmcnt(0)
	buffer_store_dword v4, off, s[44:47], 0 offset:184 ; 4-byte Folded Spill
	buffer_store_dword v5, off, s[44:47], 0 offset:188 ; 4-byte Folded Spill
	buffer_store_dword v6, off, s[44:47], 0 offset:192 ; 4-byte Folded Spill
	buffer_store_dword v7, off, s[44:47], 0 offset:196 ; 4-byte Folded Spill
	ds_read_b128 v[4:7], v2 offset:160
	s_waitcnt lgkmcnt(0)
	buffer_store_dword v4, off, s[44:47], 0 offset:200 ; 4-byte Folded Spill
	buffer_store_dword v5, off, s[44:47], 0 offset:204 ; 4-byte Folded Spill
	buffer_store_dword v6, off, s[44:47], 0 offset:208 ; 4-byte Folded Spill
	buffer_store_dword v7, off, s[44:47], 0 offset:212 ; 4-byte Folded Spill
	ds_read_b128 v[4:7], v2 offset:176
	;; [unrolled: 6-line block ×5, first 2 shown]
	v_lshlrev_b64 v[1:2], 2, v[111:112]
	s_waitcnt lgkmcnt(0)
	buffer_store_dword v4, off, s[44:47], 0 offset:264 ; 4-byte Folded Spill
	buffer_store_dword v5, off, s[44:47], 0 offset:268 ; 4-byte Folded Spill
	;; [unrolled: 1-line block ×4, first 2 shown]
	v_add_co_u32 v67, s2, s2, v1
	v_mov_b32_e32 v1, 0xff7fffff
	v_add_co_ci_u32_e64 v68, null, s3, v2, s2
	buffer_store_dword v1, off, s[44:47], 0 offset:24 ; 4-byte Folded Spill
	buffer_store_dword v111, off, s[44:47], 0 offset:288 ; 4-byte Folded Spill
	;; [unrolled: 1-line block ×3, first 2 shown]
	v_mov_b32_e32 v78, v111
	s_branch .LBB223_10
.LBB223_9:                              ;   in Loop: Header=BB223_10 Depth=1
	s_or_b32 exec_lo, exec_lo, s3
	v_add_nc_u32_e32 v78, 4, v78
	v_add_co_u32 v67, s3, v67, 16
	v_add_nc_u32_e32 v0, 64, v0
	v_add_nc_u32_e32 v127, 0x100, v127
	v_cmp_le_i32_e64 s2, s11, v78
	v_add_co_ci_u32_e64 v68, null, 0, v68, s3
	s_or_b32 s16, s2, s16
	s_andn2_b32 exec_lo, exec_lo, s16
	s_cbranch_execz .LBB223_492
.LBB223_10:                             ; =>This Inner Loop Header: Depth=1
	global_load_dword v1, v[67:68], off
	s_waitcnt lgkmcnt(0)
	s_clause 0x1
	buffer_load_dword v2, off, s[44:47], 0 offset:160
	buffer_load_dword v3, off, s[44:47], 0 offset:164
	s_waitcnt vmcnt(0)
	v_mad_i64_i32 v[81:82], null, v1, s17, v[2:3]
	v_mov_b32_e32 v3, 0
	v_mov_b32_e32 v4, 0
	global_load_ushort v2, v[81:82], off
	buffer_store_dword v3, off, s[44:47], 0 offset:8 ; 4-byte Folded Spill
	buffer_store_dword v4, off, s[44:47], 0 offset:12 ; 4-byte Folded Spill
	v_mov_b32_e32 v3, 0
	v_mov_b32_e32 v4, 0
	buffer_store_dword v3, off, s[44:47], 0 ; 4-byte Folded Spill
	buffer_store_dword v4, off, s[44:47], 0 offset:4 ; 4-byte Folded Spill
	s_waitcnt vmcnt(0)
	v_and_b32_e32 v1, 0xffff, v2
	v_cmp_ne_u16_sdwa s2, v2, v64 src0_sel:BYTE_0 src1_sel:DWORD
	s_and_saveexec_b32 s3, s2
	s_cbranch_execz .LBB223_18
; %bb.11:                               ;   in Loop: Header=BB223_10 Depth=1
	v_bfrev_b32_e32 v2, 1
	v_mov_b32_e32 v3, 0
	v_cmp_ne_u16_sdwa s2, v1, v77 src0_sel:BYTE_0 src1_sel:DWORD
	buffer_store_dword v2, off, s[44:47], 0 ; 4-byte Folded Spill
	buffer_store_dword v3, off, s[44:47], 0 offset:4 ; 4-byte Folded Spill
	s_and_saveexec_b32 s40, s2
	s_cbranch_execz .LBB223_17
; %bb.12:                               ;   in Loop: Header=BB223_10 Depth=1
	v_mov_b32_e32 v4, 0x7f800001
	v_and_b32_e32 v3, 0x7f, v1
	v_mov_b32_e32 v5, 0
	s_mov_b32 s41, exec_lo
	buffer_store_dword v4, off, s[44:47], 0 ; 4-byte Folded Spill
	buffer_store_dword v5, off, s[44:47], 0 offset:4 ; 4-byte Folded Spill
	v_cmpx_ne_u32_e32 0x7f, v3
	s_cbranch_execz .LBB223_16
; %bb.13:                               ;   in Loop: Header=BB223_10 Depth=1
	v_and_b32_e32 v63, 7, v1
	v_lshrrev_b32_e32 v2, 3, v3
	s_mov_b32 s42, exec_lo
	v_cmpx_gt_u32_e32 8, v3
; %bb.14:                               ;   in Loop: Header=BB223_10 Depth=1
	v_ffbh_u32_e32 v2, v63
	v_min_u32_e32 v2, 32, v2
	v_subrev_nc_u32_e32 v3, 28, v2
	v_sub_nc_u32_e32 v2, 29, v2
	v_lshlrev_b64 v[3:4], v3, v[63:64]
	v_and_b32_e32 v63, 7, v3
; %bb.15:                               ;   in Loop: Header=BB223_10 Depth=1
	s_or_b32 exec_lo, exec_lo, s42
	v_lshlrev_b32_e32 v3, 24, v1
	v_lshlrev_b32_e32 v4, 20, v63
	v_lshl_add_u32 v2, v2, 23, 0x3c000000
	v_and_b32_e32 v3, 0x80000000, v3
	v_or3_b32 v63, v4, v3, v2
	buffer_store_dword v63, off, s[44:47], 0 ; 4-byte Folded Spill
	buffer_store_dword v64, off, s[44:47], 0 offset:4 ; 4-byte Folded Spill
.LBB223_16:                             ;   in Loop: Header=BB223_10 Depth=1
	s_or_b32 exec_lo, exec_lo, s41
.LBB223_17:                             ;   in Loop: Header=BB223_10 Depth=1
	s_or_b32 exec_lo, exec_lo, s40
.LBB223_18:                             ;   in Loop: Header=BB223_10 Depth=1
	s_or_b32 exec_lo, exec_lo, s3
	v_cmp_ne_u16_sdwa s2, v1, v64 src0_sel:BYTE_1 src1_sel:DWORD
	s_and_saveexec_b32 s3, s2
	s_cbranch_execz .LBB223_26
; %bb.19:                               ;   in Loop: Header=BB223_10 Depth=1
	v_mov_b32_e32 v57, v64
	v_cmp_ne_u16_sdwa s2, v1, v77 src0_sel:BYTE_1 src1_sel:DWORD
	buffer_store_dword v57, off, s[44:47], 0 offset:8 ; 4-byte Folded Spill
	buffer_store_dword v58, off, s[44:47], 0 offset:12 ; 4-byte Folded Spill
	s_and_saveexec_b32 s40, s2
	s_cbranch_execz .LBB223_25
; %bb.20:                               ;   in Loop: Header=BB223_10 Depth=1
	v_mov_b32_e32 v2, 0xffff
	v_mov_b32_e32 v53, v64
	s_mov_b32 s41, exec_lo
	buffer_store_dword v53, off, s[44:47], 0 offset:8 ; 4-byte Folded Spill
	buffer_store_dword v54, off, s[44:47], 0 offset:12 ; 4-byte Folded Spill
	v_and_b32_sdwa v2, v2, v1 dst_sel:DWORD dst_unused:UNUSED_PAD src0_sel:DWORD src1_sel:BYTE_1
	v_and_b32_e32 v3, 0x7f, v2
	v_cmpx_ne_u32_e32 0x7f, v3
	s_cbranch_execz .LBB223_24
; %bb.21:                               ;   in Loop: Header=BB223_10 Depth=1
	v_and_b32_e32 v63, 7, v2
	v_lshrrev_b32_e32 v2, 3, v3
	s_mov_b32 s42, exec_lo
	v_cmpx_gt_u32_e32 8, v3
; %bb.22:                               ;   in Loop: Header=BB223_10 Depth=1
	v_ffbh_u32_e32 v2, v63
	v_min_u32_e32 v2, 32, v2
	v_subrev_nc_u32_e32 v3, 28, v2
	v_sub_nc_u32_e32 v2, 29, v2
	v_lshlrev_b64 v[3:4], v3, v[63:64]
	v_and_b32_e32 v63, 7, v3
; %bb.23:                               ;   in Loop: Header=BB223_10 Depth=1
	s_or_b32 exec_lo, exec_lo, s42
	v_lshlrev_b32_e32 v1, 16, v1
	v_lshlrev_b32_e32 v3, 20, v63
	v_lshl_add_u32 v2, v2, 23, 0x3c000000
	v_and_b32_e32 v1, 0x80000000, v1
	v_or3_b32 v2, v3, v1, v2
	v_mov_b32_e32 v1, v64
	buffer_store_dword v1, off, s[44:47], 0 offset:8 ; 4-byte Folded Spill
	buffer_store_dword v2, off, s[44:47], 0 offset:12 ; 4-byte Folded Spill
.LBB223_24:                             ;   in Loop: Header=BB223_10 Depth=1
	s_or_b32 exec_lo, exec_lo, s41
.LBB223_25:                             ;   in Loop: Header=BB223_10 Depth=1
	s_or_b32 exec_lo, exec_lo, s40
.LBB223_26:                             ;   in Loop: Header=BB223_10 Depth=1
	s_or_b32 exec_lo, exec_lo, s3
	global_load_ushort v2, v[81:82], off offset:4
	v_mov_b32_e32 v79, 0
	v_mov_b32_e32 v3, 0
	v_mov_b32_e32 v80, 0
	v_mov_b32_e32 v4, 0
	buffer_store_dword v3, off, s[44:47], 0 offset:16 ; 4-byte Folded Spill
	buffer_store_dword v4, off, s[44:47], 0 offset:20 ; 4-byte Folded Spill
	s_waitcnt vmcnt(0)
	v_and_b32_e32 v1, 0xffff, v2
	v_cmp_ne_u16_sdwa s2, v2, v64 src0_sel:BYTE_0 src1_sel:DWORD
	s_and_saveexec_b32 s3, s2
	s_cbranch_execz .LBB223_34
; %bb.27:                               ;   in Loop: Header=BB223_10 Depth=1
	v_bfrev_b32_e32 v2, 1
	v_mov_b32_e32 v3, 0
	v_cmp_ne_u16_sdwa s2, v1, v77 src0_sel:BYTE_0 src1_sel:DWORD
	buffer_store_dword v2, off, s[44:47], 0 offset:16 ; 4-byte Folded Spill
	buffer_store_dword v3, off, s[44:47], 0 offset:20 ; 4-byte Folded Spill
	s_and_saveexec_b32 s40, s2
	s_cbranch_execz .LBB223_33
; %bb.28:                               ;   in Loop: Header=BB223_10 Depth=1
	v_mov_b32_e32 v4, 0x7f800001
	v_and_b32_e32 v3, 0x7f, v1
	v_mov_b32_e32 v5, 0
	s_mov_b32 s41, exec_lo
	buffer_store_dword v4, off, s[44:47], 0 offset:16 ; 4-byte Folded Spill
	buffer_store_dword v5, off, s[44:47], 0 offset:20 ; 4-byte Folded Spill
	v_cmpx_ne_u32_e32 0x7f, v3
	s_cbranch_execz .LBB223_32
; %bb.29:                               ;   in Loop: Header=BB223_10 Depth=1
	v_and_b32_e32 v63, 7, v1
	v_lshrrev_b32_e32 v2, 3, v3
	s_mov_b32 s42, exec_lo
	v_cmpx_gt_u32_e32 8, v3
; %bb.30:                               ;   in Loop: Header=BB223_10 Depth=1
	v_ffbh_u32_e32 v2, v63
	v_min_u32_e32 v2, 32, v2
	v_subrev_nc_u32_e32 v3, 28, v2
	v_sub_nc_u32_e32 v2, 29, v2
	v_lshlrev_b64 v[3:4], v3, v[63:64]
	v_and_b32_e32 v63, 7, v3
; %bb.31:                               ;   in Loop: Header=BB223_10 Depth=1
	s_or_b32 exec_lo, exec_lo, s42
	v_lshlrev_b32_e32 v3, 24, v1
	v_lshlrev_b32_e32 v4, 20, v63
	v_lshl_add_u32 v2, v2, 23, 0x3c000000
	v_and_b32_e32 v3, 0x80000000, v3
	v_or3_b32 v63, v4, v3, v2
	buffer_store_dword v63, off, s[44:47], 0 offset:16 ; 4-byte Folded Spill
	buffer_store_dword v64, off, s[44:47], 0 offset:20 ; 4-byte Folded Spill
.LBB223_32:                             ;   in Loop: Header=BB223_10 Depth=1
	s_or_b32 exec_lo, exec_lo, s41
.LBB223_33:                             ;   in Loop: Header=BB223_10 Depth=1
	s_or_b32 exec_lo, exec_lo, s40
.LBB223_34:                             ;   in Loop: Header=BB223_10 Depth=1
	s_or_b32 exec_lo, exec_lo, s3
	v_cmp_ne_u16_sdwa s2, v1, v64 src0_sel:BYTE_1 src1_sel:DWORD
	s_and_saveexec_b32 s3, s2
	s_cbranch_execz .LBB223_42
; %bb.35:                               ;   in Loop: Header=BB223_10 Depth=1
	v_mov_b32_e32 v57, v64
	v_mov_b32_e32 v80, v58
	v_cmp_ne_u16_sdwa s2, v1, v77 src0_sel:BYTE_1 src1_sel:DWORD
	v_mov_b32_e32 v79, v57
	s_and_saveexec_b32 s40, s2
	s_cbranch_execz .LBB223_41
; %bb.36:                               ;   in Loop: Header=BB223_10 Depth=1
	v_mov_b32_e32 v2, 0xffff
	v_mov_b32_e32 v53, v64
	v_mov_b32_e32 v80, v54
	s_mov_b32 s41, exec_lo
	v_and_b32_sdwa v2, v2, v1 dst_sel:DWORD dst_unused:UNUSED_PAD src0_sel:DWORD src1_sel:BYTE_1
	v_mov_b32_e32 v79, v53
	v_and_b32_e32 v3, 0x7f, v2
	v_cmpx_ne_u32_e32 0x7f, v3
	s_cbranch_execz .LBB223_40
; %bb.37:                               ;   in Loop: Header=BB223_10 Depth=1
	v_and_b32_e32 v63, 7, v2
	v_lshrrev_b32_e32 v2, 3, v3
	s_mov_b32 s42, exec_lo
	v_cmpx_gt_u32_e32 8, v3
; %bb.38:                               ;   in Loop: Header=BB223_10 Depth=1
	v_ffbh_u32_e32 v2, v63
	v_min_u32_e32 v2, 32, v2
	v_subrev_nc_u32_e32 v3, 28, v2
	v_sub_nc_u32_e32 v2, 29, v2
	v_lshlrev_b64 v[3:4], v3, v[63:64]
	v_and_b32_e32 v63, 7, v3
; %bb.39:                               ;   in Loop: Header=BB223_10 Depth=1
	s_or_b32 exec_lo, exec_lo, s42
	v_lshlrev_b32_e32 v1, 16, v1
	v_lshlrev_b32_e32 v3, 20, v63
	v_lshl_add_u32 v2, v2, 23, 0x3c000000
	v_mov_b32_e32 v79, v64
	v_and_b32_e32 v1, 0x80000000, v1
	v_or3_b32 v80, v3, v1, v2
.LBB223_40:                             ;   in Loop: Header=BB223_10 Depth=1
	s_or_b32 exec_lo, exec_lo, s41
.LBB223_41:                             ;   in Loop: Header=BB223_10 Depth=1
	s_or_b32 exec_lo, exec_lo, s40
.LBB223_42:                             ;   in Loop: Header=BB223_10 Depth=1
	s_or_b32 exec_lo, exec_lo, s3
	global_load_ushort v2, v[81:82], off offset:8
	v_mov_b32_e32 v85, 0
	v_mov_b32_e32 v83, 0
	;; [unrolled: 1-line block ×4, first 2 shown]
	s_waitcnt vmcnt(0)
	v_and_b32_e32 v1, 0xffff, v2
	v_cmp_ne_u16_sdwa s2, v2, v64 src0_sel:BYTE_0 src1_sel:DWORD
	s_and_saveexec_b32 s3, s2
	s_cbranch_execz .LBB223_50
; %bb.43:                               ;   in Loop: Header=BB223_10 Depth=1
	v_bfrev_b32_e32 v83, 1
	v_mov_b32_e32 v84, 0
	v_cmp_ne_u16_sdwa s2, v1, v77 src0_sel:BYTE_0 src1_sel:DWORD
	s_and_saveexec_b32 s40, s2
	s_cbranch_execz .LBB223_49
; %bb.44:                               ;   in Loop: Header=BB223_10 Depth=1
	v_mov_b32_e32 v83, 0x7f800001
	v_and_b32_e32 v3, 0x7f, v1
	v_mov_b32_e32 v84, 0
	s_mov_b32 s41, exec_lo
	v_cmpx_ne_u32_e32 0x7f, v3
	s_cbranch_execz .LBB223_48
; %bb.45:                               ;   in Loop: Header=BB223_10 Depth=1
	v_and_b32_e32 v63, 7, v1
	v_lshrrev_b32_e32 v2, 3, v3
	s_mov_b32 s42, exec_lo
	v_cmpx_gt_u32_e32 8, v3
; %bb.46:                               ;   in Loop: Header=BB223_10 Depth=1
	v_ffbh_u32_e32 v2, v63
	v_min_u32_e32 v2, 32, v2
	v_subrev_nc_u32_e32 v3, 28, v2
	v_sub_nc_u32_e32 v2, 29, v2
	v_lshlrev_b64 v[3:4], v3, v[63:64]
	v_and_b32_e32 v63, 7, v3
; %bb.47:                               ;   in Loop: Header=BB223_10 Depth=1
	s_or_b32 exec_lo, exec_lo, s42
	v_lshlrev_b32_e32 v3, 24, v1
	v_lshlrev_b32_e32 v4, 20, v63
	v_lshl_add_u32 v2, v2, 23, 0x3c000000
	v_and_b32_e32 v3, 0x80000000, v3
	v_or3_b32 v63, v4, v3, v2
	v_mov_b32_e32 v84, v64
	v_mov_b32_e32 v83, v63
.LBB223_48:                             ;   in Loop: Header=BB223_10 Depth=1
	s_or_b32 exec_lo, exec_lo, s41
.LBB223_49:                             ;   in Loop: Header=BB223_10 Depth=1
	s_or_b32 exec_lo, exec_lo, s40
.LBB223_50:                             ;   in Loop: Header=BB223_10 Depth=1
	s_or_b32 exec_lo, exec_lo, s3
	v_cmp_ne_u16_sdwa s2, v1, v64 src0_sel:BYTE_1 src1_sel:DWORD
	s_and_saveexec_b32 s3, s2
	s_cbranch_execz .LBB223_58
; %bb.51:                               ;   in Loop: Header=BB223_10 Depth=1
	v_mov_b32_e32 v57, v64
	v_mov_b32_e32 v86, v58
	v_cmp_ne_u16_sdwa s2, v1, v77 src0_sel:BYTE_1 src1_sel:DWORD
	v_mov_b32_e32 v85, v57
	s_and_saveexec_b32 s40, s2
	s_cbranch_execz .LBB223_57
; %bb.52:                               ;   in Loop: Header=BB223_10 Depth=1
	v_mov_b32_e32 v2, 0xffff
	v_mov_b32_e32 v53, v64
	;; [unrolled: 1-line block ×3, first 2 shown]
	s_mov_b32 s41, exec_lo
	v_and_b32_sdwa v2, v2, v1 dst_sel:DWORD dst_unused:UNUSED_PAD src0_sel:DWORD src1_sel:BYTE_1
	v_mov_b32_e32 v85, v53
	v_and_b32_e32 v3, 0x7f, v2
	v_cmpx_ne_u32_e32 0x7f, v3
	s_cbranch_execz .LBB223_56
; %bb.53:                               ;   in Loop: Header=BB223_10 Depth=1
	v_and_b32_e32 v63, 7, v2
	v_lshrrev_b32_e32 v2, 3, v3
	s_mov_b32 s42, exec_lo
	v_cmpx_gt_u32_e32 8, v3
; %bb.54:                               ;   in Loop: Header=BB223_10 Depth=1
	v_ffbh_u32_e32 v2, v63
	v_min_u32_e32 v2, 32, v2
	v_subrev_nc_u32_e32 v3, 28, v2
	v_sub_nc_u32_e32 v2, 29, v2
	v_lshlrev_b64 v[3:4], v3, v[63:64]
	v_and_b32_e32 v63, 7, v3
; %bb.55:                               ;   in Loop: Header=BB223_10 Depth=1
	s_or_b32 exec_lo, exec_lo, s42
	v_lshlrev_b32_e32 v1, 16, v1
	v_lshlrev_b32_e32 v3, 20, v63
	v_lshl_add_u32 v2, v2, 23, 0x3c000000
	v_mov_b32_e32 v85, v64
	v_and_b32_e32 v1, 0x80000000, v1
	v_or3_b32 v86, v3, v1, v2
.LBB223_56:                             ;   in Loop: Header=BB223_10 Depth=1
	s_or_b32 exec_lo, exec_lo, s41
.LBB223_57:                             ;   in Loop: Header=BB223_10 Depth=1
	s_or_b32 exec_lo, exec_lo, s40
.LBB223_58:                             ;   in Loop: Header=BB223_10 Depth=1
	s_or_b32 exec_lo, exec_lo, s3
	global_load_ushort v2, v[81:82], off offset:12
	v_mov_b32_e32 v89, 0
	v_mov_b32_e32 v87, 0
	;; [unrolled: 1-line block ×4, first 2 shown]
	s_waitcnt vmcnt(0)
	v_and_b32_e32 v1, 0xffff, v2
	v_cmp_ne_u16_sdwa s2, v2, v64 src0_sel:BYTE_0 src1_sel:DWORD
	s_and_saveexec_b32 s3, s2
	s_cbranch_execz .LBB223_66
; %bb.59:                               ;   in Loop: Header=BB223_10 Depth=1
	v_bfrev_b32_e32 v87, 1
	v_mov_b32_e32 v88, 0
	v_cmp_ne_u16_sdwa s2, v1, v77 src0_sel:BYTE_0 src1_sel:DWORD
	s_and_saveexec_b32 s40, s2
	s_cbranch_execz .LBB223_65
; %bb.60:                               ;   in Loop: Header=BB223_10 Depth=1
	v_mov_b32_e32 v87, 0x7f800001
	v_and_b32_e32 v3, 0x7f, v1
	v_mov_b32_e32 v88, 0
	s_mov_b32 s41, exec_lo
	v_cmpx_ne_u32_e32 0x7f, v3
	s_cbranch_execz .LBB223_64
; %bb.61:                               ;   in Loop: Header=BB223_10 Depth=1
	v_and_b32_e32 v63, 7, v1
	v_lshrrev_b32_e32 v2, 3, v3
	s_mov_b32 s42, exec_lo
	v_cmpx_gt_u32_e32 8, v3
; %bb.62:                               ;   in Loop: Header=BB223_10 Depth=1
	v_ffbh_u32_e32 v2, v63
	v_min_u32_e32 v2, 32, v2
	v_subrev_nc_u32_e32 v3, 28, v2
	v_sub_nc_u32_e32 v2, 29, v2
	v_lshlrev_b64 v[3:4], v3, v[63:64]
	v_and_b32_e32 v63, 7, v3
; %bb.63:                               ;   in Loop: Header=BB223_10 Depth=1
	s_or_b32 exec_lo, exec_lo, s42
	v_lshlrev_b32_e32 v3, 24, v1
	v_lshlrev_b32_e32 v4, 20, v63
	v_lshl_add_u32 v2, v2, 23, 0x3c000000
	v_and_b32_e32 v3, 0x80000000, v3
	v_or3_b32 v63, v4, v3, v2
	v_mov_b32_e32 v88, v64
	v_mov_b32_e32 v87, v63
.LBB223_64:                             ;   in Loop: Header=BB223_10 Depth=1
	s_or_b32 exec_lo, exec_lo, s41
.LBB223_65:                             ;   in Loop: Header=BB223_10 Depth=1
	s_or_b32 exec_lo, exec_lo, s40
.LBB223_66:                             ;   in Loop: Header=BB223_10 Depth=1
	s_or_b32 exec_lo, exec_lo, s3
	v_cmp_ne_u16_sdwa s2, v1, v64 src0_sel:BYTE_1 src1_sel:DWORD
	s_and_saveexec_b32 s3, s2
	s_cbranch_execz .LBB223_74
; %bb.67:                               ;   in Loop: Header=BB223_10 Depth=1
	v_mov_b32_e32 v57, v64
	v_mov_b32_e32 v90, v58
	v_cmp_ne_u16_sdwa s2, v1, v77 src0_sel:BYTE_1 src1_sel:DWORD
	v_mov_b32_e32 v89, v57
	s_and_saveexec_b32 s40, s2
	s_cbranch_execz .LBB223_73
; %bb.68:                               ;   in Loop: Header=BB223_10 Depth=1
	v_mov_b32_e32 v2, 0xffff
	v_mov_b32_e32 v53, v64
	;; [unrolled: 1-line block ×3, first 2 shown]
	s_mov_b32 s41, exec_lo
	v_and_b32_sdwa v2, v2, v1 dst_sel:DWORD dst_unused:UNUSED_PAD src0_sel:DWORD src1_sel:BYTE_1
	v_mov_b32_e32 v89, v53
	v_and_b32_e32 v3, 0x7f, v2
	v_cmpx_ne_u32_e32 0x7f, v3
	s_cbranch_execz .LBB223_72
; %bb.69:                               ;   in Loop: Header=BB223_10 Depth=1
	v_and_b32_e32 v63, 7, v2
	v_lshrrev_b32_e32 v2, 3, v3
	s_mov_b32 s42, exec_lo
	v_cmpx_gt_u32_e32 8, v3
; %bb.70:                               ;   in Loop: Header=BB223_10 Depth=1
	v_ffbh_u32_e32 v2, v63
	v_min_u32_e32 v2, 32, v2
	v_subrev_nc_u32_e32 v3, 28, v2
	v_sub_nc_u32_e32 v2, 29, v2
	v_lshlrev_b64 v[3:4], v3, v[63:64]
	v_and_b32_e32 v63, 7, v3
; %bb.71:                               ;   in Loop: Header=BB223_10 Depth=1
	s_or_b32 exec_lo, exec_lo, s42
	v_lshlrev_b32_e32 v1, 16, v1
	v_lshlrev_b32_e32 v3, 20, v63
	v_lshl_add_u32 v2, v2, 23, 0x3c000000
	v_mov_b32_e32 v89, v64
	v_and_b32_e32 v1, 0x80000000, v1
	v_or3_b32 v90, v3, v1, v2
.LBB223_72:                             ;   in Loop: Header=BB223_10 Depth=1
	s_or_b32 exec_lo, exec_lo, s41
.LBB223_73:                             ;   in Loop: Header=BB223_10 Depth=1
	s_or_b32 exec_lo, exec_lo, s40
.LBB223_74:                             ;   in Loop: Header=BB223_10 Depth=1
	s_or_b32 exec_lo, exec_lo, s3
	global_load_ushort v2, v[81:82], off offset:256
	v_mov_b32_e32 v93, 0
	v_mov_b32_e32 v91, 0
	;; [unrolled: 1-line block ×4, first 2 shown]
	s_waitcnt vmcnt(0)
	v_and_b32_e32 v1, 0xffff, v2
	v_cmp_ne_u16_sdwa s2, v2, v64 src0_sel:BYTE_0 src1_sel:DWORD
	s_and_saveexec_b32 s3, s2
	s_cbranch_execz .LBB223_82
; %bb.75:                               ;   in Loop: Header=BB223_10 Depth=1
	v_bfrev_b32_e32 v91, 1
	v_mov_b32_e32 v92, 0
	v_cmp_ne_u16_sdwa s2, v1, v77 src0_sel:BYTE_0 src1_sel:DWORD
	s_and_saveexec_b32 s40, s2
	s_cbranch_execz .LBB223_81
; %bb.76:                               ;   in Loop: Header=BB223_10 Depth=1
	v_mov_b32_e32 v91, 0x7f800001
	v_and_b32_e32 v3, 0x7f, v1
	v_mov_b32_e32 v92, 0
	s_mov_b32 s41, exec_lo
	v_cmpx_ne_u32_e32 0x7f, v3
	s_cbranch_execz .LBB223_80
; %bb.77:                               ;   in Loop: Header=BB223_10 Depth=1
	v_and_b32_e32 v63, 7, v1
	v_lshrrev_b32_e32 v2, 3, v3
	s_mov_b32 s42, exec_lo
	v_cmpx_gt_u32_e32 8, v3
; %bb.78:                               ;   in Loop: Header=BB223_10 Depth=1
	v_ffbh_u32_e32 v2, v63
	v_min_u32_e32 v2, 32, v2
	v_subrev_nc_u32_e32 v3, 28, v2
	v_sub_nc_u32_e32 v2, 29, v2
	v_lshlrev_b64 v[3:4], v3, v[63:64]
	v_and_b32_e32 v63, 7, v3
; %bb.79:                               ;   in Loop: Header=BB223_10 Depth=1
	s_or_b32 exec_lo, exec_lo, s42
	v_lshlrev_b32_e32 v3, 24, v1
	v_lshlrev_b32_e32 v4, 20, v63
	v_lshl_add_u32 v2, v2, 23, 0x3c000000
	v_and_b32_e32 v3, 0x80000000, v3
	v_or3_b32 v63, v4, v3, v2
	v_mov_b32_e32 v92, v64
	v_mov_b32_e32 v91, v63
.LBB223_80:                             ;   in Loop: Header=BB223_10 Depth=1
	s_or_b32 exec_lo, exec_lo, s41
.LBB223_81:                             ;   in Loop: Header=BB223_10 Depth=1
	s_or_b32 exec_lo, exec_lo, s40
.LBB223_82:                             ;   in Loop: Header=BB223_10 Depth=1
	s_or_b32 exec_lo, exec_lo, s3
	v_cmp_ne_u16_sdwa s2, v1, v64 src0_sel:BYTE_1 src1_sel:DWORD
	s_and_saveexec_b32 s3, s2
	s_cbranch_execz .LBB223_90
; %bb.83:                               ;   in Loop: Header=BB223_10 Depth=1
	v_mov_b32_e32 v57, v64
	v_mov_b32_e32 v94, v58
	v_cmp_ne_u16_sdwa s2, v1, v77 src0_sel:BYTE_1 src1_sel:DWORD
	v_mov_b32_e32 v93, v57
	s_and_saveexec_b32 s40, s2
	s_cbranch_execz .LBB223_89
; %bb.84:                               ;   in Loop: Header=BB223_10 Depth=1
	v_mov_b32_e32 v2, 0xffff
	v_mov_b32_e32 v53, v64
	;; [unrolled: 1-line block ×3, first 2 shown]
	s_mov_b32 s41, exec_lo
	v_and_b32_sdwa v2, v2, v1 dst_sel:DWORD dst_unused:UNUSED_PAD src0_sel:DWORD src1_sel:BYTE_1
	v_mov_b32_e32 v93, v53
	v_and_b32_e32 v3, 0x7f, v2
	v_cmpx_ne_u32_e32 0x7f, v3
	s_cbranch_execz .LBB223_88
; %bb.85:                               ;   in Loop: Header=BB223_10 Depth=1
	v_and_b32_e32 v63, 7, v2
	v_lshrrev_b32_e32 v2, 3, v3
	s_mov_b32 s42, exec_lo
	v_cmpx_gt_u32_e32 8, v3
; %bb.86:                               ;   in Loop: Header=BB223_10 Depth=1
	v_ffbh_u32_e32 v2, v63
	v_min_u32_e32 v2, 32, v2
	v_subrev_nc_u32_e32 v3, 28, v2
	v_sub_nc_u32_e32 v2, 29, v2
	v_lshlrev_b64 v[3:4], v3, v[63:64]
	v_and_b32_e32 v63, 7, v3
; %bb.87:                               ;   in Loop: Header=BB223_10 Depth=1
	s_or_b32 exec_lo, exec_lo, s42
	v_lshlrev_b32_e32 v1, 16, v1
	v_lshlrev_b32_e32 v3, 20, v63
	v_lshl_add_u32 v2, v2, 23, 0x3c000000
	v_mov_b32_e32 v93, v64
	v_and_b32_e32 v1, 0x80000000, v1
	v_or3_b32 v94, v3, v1, v2
.LBB223_88:                             ;   in Loop: Header=BB223_10 Depth=1
	s_or_b32 exec_lo, exec_lo, s41
.LBB223_89:                             ;   in Loop: Header=BB223_10 Depth=1
	s_or_b32 exec_lo, exec_lo, s40
.LBB223_90:                             ;   in Loop: Header=BB223_10 Depth=1
	s_or_b32 exec_lo, exec_lo, s3
	global_load_ushort v2, v[81:82], off offset:260
	v_mov_b32_e32 v97, 0
	v_mov_b32_e32 v95, 0
	;; [unrolled: 1-line block ×4, first 2 shown]
	s_waitcnt vmcnt(0)
	v_and_b32_e32 v1, 0xffff, v2
	v_cmp_ne_u16_sdwa s2, v2, v64 src0_sel:BYTE_0 src1_sel:DWORD
	s_and_saveexec_b32 s3, s2
	s_cbranch_execz .LBB223_98
; %bb.91:                               ;   in Loop: Header=BB223_10 Depth=1
	v_bfrev_b32_e32 v95, 1
	v_mov_b32_e32 v96, 0
	v_cmp_ne_u16_sdwa s2, v1, v77 src0_sel:BYTE_0 src1_sel:DWORD
	s_and_saveexec_b32 s40, s2
	s_cbranch_execz .LBB223_97
; %bb.92:                               ;   in Loop: Header=BB223_10 Depth=1
	v_mov_b32_e32 v95, 0x7f800001
	v_and_b32_e32 v3, 0x7f, v1
	v_mov_b32_e32 v96, 0
	s_mov_b32 s41, exec_lo
	v_cmpx_ne_u32_e32 0x7f, v3
	s_cbranch_execz .LBB223_96
; %bb.93:                               ;   in Loop: Header=BB223_10 Depth=1
	v_and_b32_e32 v63, 7, v1
	v_lshrrev_b32_e32 v2, 3, v3
	s_mov_b32 s42, exec_lo
	v_cmpx_gt_u32_e32 8, v3
; %bb.94:                               ;   in Loop: Header=BB223_10 Depth=1
	v_ffbh_u32_e32 v2, v63
	v_min_u32_e32 v2, 32, v2
	v_subrev_nc_u32_e32 v3, 28, v2
	v_sub_nc_u32_e32 v2, 29, v2
	v_lshlrev_b64 v[3:4], v3, v[63:64]
	v_and_b32_e32 v63, 7, v3
; %bb.95:                               ;   in Loop: Header=BB223_10 Depth=1
	s_or_b32 exec_lo, exec_lo, s42
	v_lshlrev_b32_e32 v3, 24, v1
	v_lshlrev_b32_e32 v4, 20, v63
	v_lshl_add_u32 v2, v2, 23, 0x3c000000
	v_and_b32_e32 v3, 0x80000000, v3
	v_or3_b32 v63, v4, v3, v2
	v_mov_b32_e32 v96, v64
	v_mov_b32_e32 v95, v63
.LBB223_96:                             ;   in Loop: Header=BB223_10 Depth=1
	s_or_b32 exec_lo, exec_lo, s41
.LBB223_97:                             ;   in Loop: Header=BB223_10 Depth=1
	s_or_b32 exec_lo, exec_lo, s40
.LBB223_98:                             ;   in Loop: Header=BB223_10 Depth=1
	s_or_b32 exec_lo, exec_lo, s3
	v_cmp_ne_u16_sdwa s2, v1, v64 src0_sel:BYTE_1 src1_sel:DWORD
	s_and_saveexec_b32 s3, s2
	s_cbranch_execz .LBB223_106
; %bb.99:                               ;   in Loop: Header=BB223_10 Depth=1
	v_mov_b32_e32 v57, v64
	v_mov_b32_e32 v98, v58
	v_cmp_ne_u16_sdwa s2, v1, v77 src0_sel:BYTE_1 src1_sel:DWORD
	v_mov_b32_e32 v97, v57
	s_and_saveexec_b32 s40, s2
	s_cbranch_execz .LBB223_105
; %bb.100:                              ;   in Loop: Header=BB223_10 Depth=1
	v_mov_b32_e32 v2, 0xffff
	v_mov_b32_e32 v53, v64
	;; [unrolled: 1-line block ×3, first 2 shown]
	s_mov_b32 s41, exec_lo
	v_and_b32_sdwa v2, v2, v1 dst_sel:DWORD dst_unused:UNUSED_PAD src0_sel:DWORD src1_sel:BYTE_1
	v_mov_b32_e32 v97, v53
	v_and_b32_e32 v3, 0x7f, v2
	v_cmpx_ne_u32_e32 0x7f, v3
	s_cbranch_execz .LBB223_104
; %bb.101:                              ;   in Loop: Header=BB223_10 Depth=1
	v_and_b32_e32 v63, 7, v2
	v_lshrrev_b32_e32 v2, 3, v3
	s_mov_b32 s42, exec_lo
	v_cmpx_gt_u32_e32 8, v3
; %bb.102:                              ;   in Loop: Header=BB223_10 Depth=1
	v_ffbh_u32_e32 v2, v63
	v_min_u32_e32 v2, 32, v2
	v_subrev_nc_u32_e32 v3, 28, v2
	v_sub_nc_u32_e32 v2, 29, v2
	v_lshlrev_b64 v[3:4], v3, v[63:64]
	v_and_b32_e32 v63, 7, v3
; %bb.103:                              ;   in Loop: Header=BB223_10 Depth=1
	s_or_b32 exec_lo, exec_lo, s42
	v_lshlrev_b32_e32 v1, 16, v1
	v_lshlrev_b32_e32 v3, 20, v63
	v_lshl_add_u32 v2, v2, 23, 0x3c000000
	v_mov_b32_e32 v97, v64
	v_and_b32_e32 v1, 0x80000000, v1
	v_or3_b32 v98, v3, v1, v2
.LBB223_104:                            ;   in Loop: Header=BB223_10 Depth=1
	s_or_b32 exec_lo, exec_lo, s41
.LBB223_105:                            ;   in Loop: Header=BB223_10 Depth=1
	s_or_b32 exec_lo, exec_lo, s40
.LBB223_106:                            ;   in Loop: Header=BB223_10 Depth=1
	s_or_b32 exec_lo, exec_lo, s3
	global_load_ushort v2, v[81:82], off offset:264
	v_mov_b32_e32 v101, 0
	v_mov_b32_e32 v99, 0
	v_mov_b32_e32 v102, 0
	v_mov_b32_e32 v100, 0
	s_waitcnt vmcnt(0)
	v_and_b32_e32 v1, 0xffff, v2
	v_cmp_ne_u16_sdwa s2, v2, v64 src0_sel:BYTE_0 src1_sel:DWORD
	s_and_saveexec_b32 s3, s2
	s_cbranch_execz .LBB223_114
; %bb.107:                              ;   in Loop: Header=BB223_10 Depth=1
	v_bfrev_b32_e32 v99, 1
	v_mov_b32_e32 v100, 0
	v_cmp_ne_u16_sdwa s2, v1, v77 src0_sel:BYTE_0 src1_sel:DWORD
	s_and_saveexec_b32 s40, s2
	s_cbranch_execz .LBB223_113
; %bb.108:                              ;   in Loop: Header=BB223_10 Depth=1
	v_mov_b32_e32 v99, 0x7f800001
	v_and_b32_e32 v3, 0x7f, v1
	v_mov_b32_e32 v100, 0
	s_mov_b32 s41, exec_lo
	v_cmpx_ne_u32_e32 0x7f, v3
	s_cbranch_execz .LBB223_112
; %bb.109:                              ;   in Loop: Header=BB223_10 Depth=1
	v_and_b32_e32 v63, 7, v1
	v_lshrrev_b32_e32 v2, 3, v3
	s_mov_b32 s42, exec_lo
	v_cmpx_gt_u32_e32 8, v3
; %bb.110:                              ;   in Loop: Header=BB223_10 Depth=1
	v_ffbh_u32_e32 v2, v63
	v_min_u32_e32 v2, 32, v2
	v_subrev_nc_u32_e32 v3, 28, v2
	v_sub_nc_u32_e32 v2, 29, v2
	v_lshlrev_b64 v[3:4], v3, v[63:64]
	v_and_b32_e32 v63, 7, v3
; %bb.111:                              ;   in Loop: Header=BB223_10 Depth=1
	s_or_b32 exec_lo, exec_lo, s42
	v_lshlrev_b32_e32 v3, 24, v1
	v_lshlrev_b32_e32 v4, 20, v63
	v_lshl_add_u32 v2, v2, 23, 0x3c000000
	v_and_b32_e32 v3, 0x80000000, v3
	v_or3_b32 v63, v4, v3, v2
	v_mov_b32_e32 v100, v64
	v_mov_b32_e32 v99, v63
.LBB223_112:                            ;   in Loop: Header=BB223_10 Depth=1
	s_or_b32 exec_lo, exec_lo, s41
.LBB223_113:                            ;   in Loop: Header=BB223_10 Depth=1
	s_or_b32 exec_lo, exec_lo, s40
.LBB223_114:                            ;   in Loop: Header=BB223_10 Depth=1
	s_or_b32 exec_lo, exec_lo, s3
	v_cmp_ne_u16_sdwa s2, v1, v64 src0_sel:BYTE_1 src1_sel:DWORD
	s_and_saveexec_b32 s3, s2
	s_cbranch_execz .LBB223_122
; %bb.115:                              ;   in Loop: Header=BB223_10 Depth=1
	v_mov_b32_e32 v57, v64
	v_mov_b32_e32 v102, v58
	v_cmp_ne_u16_sdwa s2, v1, v77 src0_sel:BYTE_1 src1_sel:DWORD
	v_mov_b32_e32 v101, v57
	s_and_saveexec_b32 s40, s2
	s_cbranch_execz .LBB223_121
; %bb.116:                              ;   in Loop: Header=BB223_10 Depth=1
	v_mov_b32_e32 v2, 0xffff
	v_mov_b32_e32 v53, v64
	;; [unrolled: 1-line block ×3, first 2 shown]
	s_mov_b32 s41, exec_lo
	v_and_b32_sdwa v2, v2, v1 dst_sel:DWORD dst_unused:UNUSED_PAD src0_sel:DWORD src1_sel:BYTE_1
	v_mov_b32_e32 v101, v53
	v_and_b32_e32 v3, 0x7f, v2
	v_cmpx_ne_u32_e32 0x7f, v3
	s_cbranch_execz .LBB223_120
; %bb.117:                              ;   in Loop: Header=BB223_10 Depth=1
	v_and_b32_e32 v63, 7, v2
	v_lshrrev_b32_e32 v2, 3, v3
	s_mov_b32 s42, exec_lo
	v_cmpx_gt_u32_e32 8, v3
; %bb.118:                              ;   in Loop: Header=BB223_10 Depth=1
	v_ffbh_u32_e32 v2, v63
	v_min_u32_e32 v2, 32, v2
	v_subrev_nc_u32_e32 v3, 28, v2
	v_sub_nc_u32_e32 v2, 29, v2
	v_lshlrev_b64 v[3:4], v3, v[63:64]
	v_and_b32_e32 v63, 7, v3
; %bb.119:                              ;   in Loop: Header=BB223_10 Depth=1
	s_or_b32 exec_lo, exec_lo, s42
	v_lshlrev_b32_e32 v1, 16, v1
	v_lshlrev_b32_e32 v3, 20, v63
	v_lshl_add_u32 v2, v2, 23, 0x3c000000
	v_mov_b32_e32 v101, v64
	v_and_b32_e32 v1, 0x80000000, v1
	v_or3_b32 v102, v3, v1, v2
.LBB223_120:                            ;   in Loop: Header=BB223_10 Depth=1
	s_or_b32 exec_lo, exec_lo, s41
.LBB223_121:                            ;   in Loop: Header=BB223_10 Depth=1
	s_or_b32 exec_lo, exec_lo, s40
.LBB223_122:                            ;   in Loop: Header=BB223_10 Depth=1
	s_or_b32 exec_lo, exec_lo, s3
	global_load_ushort v2, v[81:82], off offset:268
	v_mov_b32_e32 v105, 0
	v_mov_b32_e32 v103, 0
	;; [unrolled: 1-line block ×4, first 2 shown]
	s_waitcnt vmcnt(0)
	v_and_b32_e32 v1, 0xffff, v2
	v_cmp_ne_u16_sdwa s2, v2, v64 src0_sel:BYTE_0 src1_sel:DWORD
	s_and_saveexec_b32 s3, s2
	s_cbranch_execz .LBB223_130
; %bb.123:                              ;   in Loop: Header=BB223_10 Depth=1
	v_bfrev_b32_e32 v103, 1
	v_mov_b32_e32 v104, 0
	v_cmp_ne_u16_sdwa s2, v1, v77 src0_sel:BYTE_0 src1_sel:DWORD
	s_and_saveexec_b32 s40, s2
	s_cbranch_execz .LBB223_129
; %bb.124:                              ;   in Loop: Header=BB223_10 Depth=1
	v_mov_b32_e32 v103, 0x7f800001
	v_and_b32_e32 v3, 0x7f, v1
	v_mov_b32_e32 v104, 0
	s_mov_b32 s41, exec_lo
	v_cmpx_ne_u32_e32 0x7f, v3
	s_cbranch_execz .LBB223_128
; %bb.125:                              ;   in Loop: Header=BB223_10 Depth=1
	v_and_b32_e32 v63, 7, v1
	v_lshrrev_b32_e32 v2, 3, v3
	s_mov_b32 s42, exec_lo
	v_cmpx_gt_u32_e32 8, v3
; %bb.126:                              ;   in Loop: Header=BB223_10 Depth=1
	v_ffbh_u32_e32 v2, v63
	v_min_u32_e32 v2, 32, v2
	v_subrev_nc_u32_e32 v3, 28, v2
	v_sub_nc_u32_e32 v2, 29, v2
	v_lshlrev_b64 v[3:4], v3, v[63:64]
	v_and_b32_e32 v63, 7, v3
; %bb.127:                              ;   in Loop: Header=BB223_10 Depth=1
	s_or_b32 exec_lo, exec_lo, s42
	v_lshlrev_b32_e32 v3, 24, v1
	v_lshlrev_b32_e32 v4, 20, v63
	v_lshl_add_u32 v2, v2, 23, 0x3c000000
	v_and_b32_e32 v3, 0x80000000, v3
	v_or3_b32 v63, v4, v3, v2
	v_mov_b32_e32 v104, v64
	v_mov_b32_e32 v103, v63
.LBB223_128:                            ;   in Loop: Header=BB223_10 Depth=1
	s_or_b32 exec_lo, exec_lo, s41
.LBB223_129:                            ;   in Loop: Header=BB223_10 Depth=1
	s_or_b32 exec_lo, exec_lo, s40
.LBB223_130:                            ;   in Loop: Header=BB223_10 Depth=1
	s_or_b32 exec_lo, exec_lo, s3
	v_cmp_ne_u16_sdwa s2, v1, v64 src0_sel:BYTE_1 src1_sel:DWORD
	s_and_saveexec_b32 s3, s2
	s_cbranch_execz .LBB223_138
; %bb.131:                              ;   in Loop: Header=BB223_10 Depth=1
	v_mov_b32_e32 v57, v64
	v_mov_b32_e32 v106, v58
	v_cmp_ne_u16_sdwa s2, v1, v77 src0_sel:BYTE_1 src1_sel:DWORD
	v_mov_b32_e32 v105, v57
	s_and_saveexec_b32 s40, s2
	s_cbranch_execz .LBB223_137
; %bb.132:                              ;   in Loop: Header=BB223_10 Depth=1
	v_mov_b32_e32 v2, 0xffff
	v_mov_b32_e32 v53, v64
	;; [unrolled: 1-line block ×3, first 2 shown]
	s_mov_b32 s41, exec_lo
	v_and_b32_sdwa v2, v2, v1 dst_sel:DWORD dst_unused:UNUSED_PAD src0_sel:DWORD src1_sel:BYTE_1
	v_mov_b32_e32 v105, v53
	v_and_b32_e32 v3, 0x7f, v2
	v_cmpx_ne_u32_e32 0x7f, v3
	s_cbranch_execz .LBB223_136
; %bb.133:                              ;   in Loop: Header=BB223_10 Depth=1
	v_and_b32_e32 v63, 7, v2
	v_lshrrev_b32_e32 v2, 3, v3
	s_mov_b32 s42, exec_lo
	v_cmpx_gt_u32_e32 8, v3
; %bb.134:                              ;   in Loop: Header=BB223_10 Depth=1
	v_ffbh_u32_e32 v2, v63
	v_min_u32_e32 v2, 32, v2
	v_subrev_nc_u32_e32 v3, 28, v2
	v_sub_nc_u32_e32 v2, 29, v2
	v_lshlrev_b64 v[3:4], v3, v[63:64]
	v_and_b32_e32 v63, 7, v3
; %bb.135:                              ;   in Loop: Header=BB223_10 Depth=1
	s_or_b32 exec_lo, exec_lo, s42
	v_lshlrev_b32_e32 v1, 16, v1
	v_lshlrev_b32_e32 v3, 20, v63
	v_lshl_add_u32 v2, v2, 23, 0x3c000000
	v_mov_b32_e32 v105, v64
	v_and_b32_e32 v1, 0x80000000, v1
	v_or3_b32 v106, v3, v1, v2
.LBB223_136:                            ;   in Loop: Header=BB223_10 Depth=1
	s_or_b32 exec_lo, exec_lo, s41
.LBB223_137:                            ;   in Loop: Header=BB223_10 Depth=1
	s_or_b32 exec_lo, exec_lo, s40
.LBB223_138:                            ;   in Loop: Header=BB223_10 Depth=1
	s_or_b32 exec_lo, exec_lo, s3
	global_load_ushort v2, v[81:82], off offset:512
	v_mov_b32_e32 v109, 0
	v_mov_b32_e32 v107, 0
	;; [unrolled: 1-line block ×4, first 2 shown]
	s_waitcnt vmcnt(0)
	v_and_b32_e32 v1, 0xffff, v2
	v_cmp_ne_u16_sdwa s2, v2, v64 src0_sel:BYTE_0 src1_sel:DWORD
	s_and_saveexec_b32 s3, s2
	s_cbranch_execz .LBB223_146
; %bb.139:                              ;   in Loop: Header=BB223_10 Depth=1
	v_bfrev_b32_e32 v107, 1
	v_mov_b32_e32 v108, 0
	v_cmp_ne_u16_sdwa s2, v1, v77 src0_sel:BYTE_0 src1_sel:DWORD
	s_and_saveexec_b32 s40, s2
	s_cbranch_execz .LBB223_145
; %bb.140:                              ;   in Loop: Header=BB223_10 Depth=1
	v_mov_b32_e32 v107, 0x7f800001
	v_and_b32_e32 v3, 0x7f, v1
	v_mov_b32_e32 v108, 0
	s_mov_b32 s41, exec_lo
	v_cmpx_ne_u32_e32 0x7f, v3
	s_cbranch_execz .LBB223_144
; %bb.141:                              ;   in Loop: Header=BB223_10 Depth=1
	v_and_b32_e32 v63, 7, v1
	v_lshrrev_b32_e32 v2, 3, v3
	s_mov_b32 s42, exec_lo
	v_cmpx_gt_u32_e32 8, v3
; %bb.142:                              ;   in Loop: Header=BB223_10 Depth=1
	v_ffbh_u32_e32 v2, v63
	v_min_u32_e32 v2, 32, v2
	v_subrev_nc_u32_e32 v3, 28, v2
	v_sub_nc_u32_e32 v2, 29, v2
	v_lshlrev_b64 v[3:4], v3, v[63:64]
	v_and_b32_e32 v63, 7, v3
; %bb.143:                              ;   in Loop: Header=BB223_10 Depth=1
	s_or_b32 exec_lo, exec_lo, s42
	v_lshlrev_b32_e32 v3, 24, v1
	v_lshlrev_b32_e32 v4, 20, v63
	v_lshl_add_u32 v2, v2, 23, 0x3c000000
	v_and_b32_e32 v3, 0x80000000, v3
	v_or3_b32 v63, v4, v3, v2
	v_mov_b32_e32 v108, v64
	v_mov_b32_e32 v107, v63
.LBB223_144:                            ;   in Loop: Header=BB223_10 Depth=1
	s_or_b32 exec_lo, exec_lo, s41
.LBB223_145:                            ;   in Loop: Header=BB223_10 Depth=1
	s_or_b32 exec_lo, exec_lo, s40
.LBB223_146:                            ;   in Loop: Header=BB223_10 Depth=1
	s_or_b32 exec_lo, exec_lo, s3
	v_cmp_ne_u16_sdwa s2, v1, v64 src0_sel:BYTE_1 src1_sel:DWORD
	s_and_saveexec_b32 s3, s2
	s_cbranch_execz .LBB223_154
; %bb.147:                              ;   in Loop: Header=BB223_10 Depth=1
	v_mov_b32_e32 v57, v64
	v_mov_b32_e32 v110, v58
	v_cmp_ne_u16_sdwa s2, v1, v77 src0_sel:BYTE_1 src1_sel:DWORD
	v_mov_b32_e32 v109, v57
	s_and_saveexec_b32 s40, s2
	s_cbranch_execz .LBB223_153
; %bb.148:                              ;   in Loop: Header=BB223_10 Depth=1
	v_mov_b32_e32 v2, 0xffff
	v_mov_b32_e32 v53, v64
	;; [unrolled: 1-line block ×3, first 2 shown]
	s_mov_b32 s41, exec_lo
	v_and_b32_sdwa v2, v2, v1 dst_sel:DWORD dst_unused:UNUSED_PAD src0_sel:DWORD src1_sel:BYTE_1
	v_mov_b32_e32 v109, v53
	v_and_b32_e32 v3, 0x7f, v2
	v_cmpx_ne_u32_e32 0x7f, v3
	s_cbranch_execz .LBB223_152
; %bb.149:                              ;   in Loop: Header=BB223_10 Depth=1
	v_and_b32_e32 v63, 7, v2
	v_lshrrev_b32_e32 v2, 3, v3
	s_mov_b32 s42, exec_lo
	v_cmpx_gt_u32_e32 8, v3
; %bb.150:                              ;   in Loop: Header=BB223_10 Depth=1
	v_ffbh_u32_e32 v2, v63
	v_min_u32_e32 v2, 32, v2
	v_subrev_nc_u32_e32 v3, 28, v2
	v_sub_nc_u32_e32 v2, 29, v2
	v_lshlrev_b64 v[3:4], v3, v[63:64]
	v_and_b32_e32 v63, 7, v3
; %bb.151:                              ;   in Loop: Header=BB223_10 Depth=1
	s_or_b32 exec_lo, exec_lo, s42
	v_lshlrev_b32_e32 v1, 16, v1
	v_lshlrev_b32_e32 v3, 20, v63
	v_lshl_add_u32 v2, v2, 23, 0x3c000000
	v_mov_b32_e32 v109, v64
	v_and_b32_e32 v1, 0x80000000, v1
	v_or3_b32 v110, v3, v1, v2
.LBB223_152:                            ;   in Loop: Header=BB223_10 Depth=1
	s_or_b32 exec_lo, exec_lo, s41
.LBB223_153:                            ;   in Loop: Header=BB223_10 Depth=1
	s_or_b32 exec_lo, exec_lo, s40
.LBB223_154:                            ;   in Loop: Header=BB223_10 Depth=1
	s_or_b32 exec_lo, exec_lo, s3
	global_load_ushort v2, v[81:82], off offset:516
	v_mov_b32_e32 v113, 0
	v_mov_b32_e32 v111, 0
	;; [unrolled: 1-line block ×4, first 2 shown]
	s_waitcnt vmcnt(0)
	v_and_b32_e32 v1, 0xffff, v2
	v_cmp_ne_u16_sdwa s2, v2, v64 src0_sel:BYTE_0 src1_sel:DWORD
	s_and_saveexec_b32 s3, s2
	s_cbranch_execz .LBB223_162
; %bb.155:                              ;   in Loop: Header=BB223_10 Depth=1
	v_bfrev_b32_e32 v111, 1
	v_mov_b32_e32 v112, 0
	v_cmp_ne_u16_sdwa s2, v1, v77 src0_sel:BYTE_0 src1_sel:DWORD
	s_and_saveexec_b32 s40, s2
	s_cbranch_execz .LBB223_161
; %bb.156:                              ;   in Loop: Header=BB223_10 Depth=1
	v_mov_b32_e32 v111, 0x7f800001
	v_and_b32_e32 v3, 0x7f, v1
	v_mov_b32_e32 v112, 0
	s_mov_b32 s41, exec_lo
	v_cmpx_ne_u32_e32 0x7f, v3
	s_cbranch_execz .LBB223_160
; %bb.157:                              ;   in Loop: Header=BB223_10 Depth=1
	v_and_b32_e32 v63, 7, v1
	v_lshrrev_b32_e32 v2, 3, v3
	s_mov_b32 s42, exec_lo
	v_cmpx_gt_u32_e32 8, v3
; %bb.158:                              ;   in Loop: Header=BB223_10 Depth=1
	v_ffbh_u32_e32 v2, v63
	v_min_u32_e32 v2, 32, v2
	v_subrev_nc_u32_e32 v3, 28, v2
	v_sub_nc_u32_e32 v2, 29, v2
	v_lshlrev_b64 v[3:4], v3, v[63:64]
	v_and_b32_e32 v63, 7, v3
; %bb.159:                              ;   in Loop: Header=BB223_10 Depth=1
	s_or_b32 exec_lo, exec_lo, s42
	v_lshlrev_b32_e32 v3, 24, v1
	v_lshlrev_b32_e32 v4, 20, v63
	v_lshl_add_u32 v2, v2, 23, 0x3c000000
	v_and_b32_e32 v3, 0x80000000, v3
	v_or3_b32 v63, v4, v3, v2
	v_mov_b32_e32 v112, v64
	v_mov_b32_e32 v111, v63
.LBB223_160:                            ;   in Loop: Header=BB223_10 Depth=1
	s_or_b32 exec_lo, exec_lo, s41
.LBB223_161:                            ;   in Loop: Header=BB223_10 Depth=1
	s_or_b32 exec_lo, exec_lo, s40
.LBB223_162:                            ;   in Loop: Header=BB223_10 Depth=1
	s_or_b32 exec_lo, exec_lo, s3
	v_cmp_ne_u16_sdwa s2, v1, v64 src0_sel:BYTE_1 src1_sel:DWORD
	s_and_saveexec_b32 s3, s2
	s_cbranch_execz .LBB223_170
; %bb.163:                              ;   in Loop: Header=BB223_10 Depth=1
	v_mov_b32_e32 v57, v64
	v_mov_b32_e32 v114, v58
	v_cmp_ne_u16_sdwa s2, v1, v77 src0_sel:BYTE_1 src1_sel:DWORD
	v_mov_b32_e32 v113, v57
	s_and_saveexec_b32 s40, s2
	s_cbranch_execz .LBB223_169
; %bb.164:                              ;   in Loop: Header=BB223_10 Depth=1
	v_mov_b32_e32 v2, 0xffff
	v_mov_b32_e32 v53, v64
	;; [unrolled: 1-line block ×3, first 2 shown]
	s_mov_b32 s41, exec_lo
	v_and_b32_sdwa v2, v2, v1 dst_sel:DWORD dst_unused:UNUSED_PAD src0_sel:DWORD src1_sel:BYTE_1
	v_mov_b32_e32 v113, v53
	v_and_b32_e32 v3, 0x7f, v2
	v_cmpx_ne_u32_e32 0x7f, v3
	s_cbranch_execz .LBB223_168
; %bb.165:                              ;   in Loop: Header=BB223_10 Depth=1
	v_and_b32_e32 v63, 7, v2
	v_lshrrev_b32_e32 v2, 3, v3
	s_mov_b32 s42, exec_lo
	v_cmpx_gt_u32_e32 8, v3
; %bb.166:                              ;   in Loop: Header=BB223_10 Depth=1
	v_ffbh_u32_e32 v2, v63
	v_min_u32_e32 v2, 32, v2
	v_subrev_nc_u32_e32 v3, 28, v2
	v_sub_nc_u32_e32 v2, 29, v2
	v_lshlrev_b64 v[3:4], v3, v[63:64]
	v_and_b32_e32 v63, 7, v3
; %bb.167:                              ;   in Loop: Header=BB223_10 Depth=1
	s_or_b32 exec_lo, exec_lo, s42
	v_lshlrev_b32_e32 v1, 16, v1
	v_lshlrev_b32_e32 v3, 20, v63
	v_lshl_add_u32 v2, v2, 23, 0x3c000000
	v_mov_b32_e32 v113, v64
	v_and_b32_e32 v1, 0x80000000, v1
	v_or3_b32 v114, v3, v1, v2
.LBB223_168:                            ;   in Loop: Header=BB223_10 Depth=1
	s_or_b32 exec_lo, exec_lo, s41
.LBB223_169:                            ;   in Loop: Header=BB223_10 Depth=1
	s_or_b32 exec_lo, exec_lo, s40
.LBB223_170:                            ;   in Loop: Header=BB223_10 Depth=1
	s_or_b32 exec_lo, exec_lo, s3
	global_load_ushort v2, v[81:82], off offset:520
	v_mov_b32_e32 v117, 0
	v_mov_b32_e32 v115, 0
	;; [unrolled: 1-line block ×4, first 2 shown]
	s_waitcnt vmcnt(0)
	v_and_b32_e32 v1, 0xffff, v2
	v_cmp_ne_u16_sdwa s2, v2, v64 src0_sel:BYTE_0 src1_sel:DWORD
	s_and_saveexec_b32 s3, s2
	s_cbranch_execz .LBB223_178
; %bb.171:                              ;   in Loop: Header=BB223_10 Depth=1
	v_bfrev_b32_e32 v115, 1
	v_mov_b32_e32 v116, 0
	v_cmp_ne_u16_sdwa s2, v1, v77 src0_sel:BYTE_0 src1_sel:DWORD
	s_and_saveexec_b32 s40, s2
	s_cbranch_execz .LBB223_177
; %bb.172:                              ;   in Loop: Header=BB223_10 Depth=1
	v_mov_b32_e32 v115, 0x7f800001
	v_and_b32_e32 v3, 0x7f, v1
	v_mov_b32_e32 v116, 0
	s_mov_b32 s41, exec_lo
	v_cmpx_ne_u32_e32 0x7f, v3
	s_cbranch_execz .LBB223_176
; %bb.173:                              ;   in Loop: Header=BB223_10 Depth=1
	v_and_b32_e32 v63, 7, v1
	v_lshrrev_b32_e32 v2, 3, v3
	s_mov_b32 s42, exec_lo
	v_cmpx_gt_u32_e32 8, v3
; %bb.174:                              ;   in Loop: Header=BB223_10 Depth=1
	v_ffbh_u32_e32 v2, v63
	v_min_u32_e32 v2, 32, v2
	v_subrev_nc_u32_e32 v3, 28, v2
	v_sub_nc_u32_e32 v2, 29, v2
	v_lshlrev_b64 v[3:4], v3, v[63:64]
	v_and_b32_e32 v63, 7, v3
; %bb.175:                              ;   in Loop: Header=BB223_10 Depth=1
	s_or_b32 exec_lo, exec_lo, s42
	v_lshlrev_b32_e32 v3, 24, v1
	v_lshlrev_b32_e32 v4, 20, v63
	v_lshl_add_u32 v2, v2, 23, 0x3c000000
	v_and_b32_e32 v3, 0x80000000, v3
	v_or3_b32 v63, v4, v3, v2
	v_mov_b32_e32 v116, v64
	v_mov_b32_e32 v115, v63
.LBB223_176:                            ;   in Loop: Header=BB223_10 Depth=1
	s_or_b32 exec_lo, exec_lo, s41
.LBB223_177:                            ;   in Loop: Header=BB223_10 Depth=1
	s_or_b32 exec_lo, exec_lo, s40
.LBB223_178:                            ;   in Loop: Header=BB223_10 Depth=1
	s_or_b32 exec_lo, exec_lo, s3
	v_cmp_ne_u16_sdwa s2, v1, v64 src0_sel:BYTE_1 src1_sel:DWORD
	s_and_saveexec_b32 s3, s2
	s_cbranch_execz .LBB223_186
; %bb.179:                              ;   in Loop: Header=BB223_10 Depth=1
	v_mov_b32_e32 v57, v64
	v_mov_b32_e32 v118, v58
	v_cmp_ne_u16_sdwa s2, v1, v77 src0_sel:BYTE_1 src1_sel:DWORD
	v_mov_b32_e32 v117, v57
	s_and_saveexec_b32 s40, s2
	s_cbranch_execz .LBB223_185
; %bb.180:                              ;   in Loop: Header=BB223_10 Depth=1
	v_mov_b32_e32 v2, 0xffff
	v_mov_b32_e32 v53, v64
	;; [unrolled: 1-line block ×3, first 2 shown]
	s_mov_b32 s41, exec_lo
	v_and_b32_sdwa v2, v2, v1 dst_sel:DWORD dst_unused:UNUSED_PAD src0_sel:DWORD src1_sel:BYTE_1
	v_mov_b32_e32 v117, v53
	v_and_b32_e32 v3, 0x7f, v2
	v_cmpx_ne_u32_e32 0x7f, v3
	s_cbranch_execz .LBB223_184
; %bb.181:                              ;   in Loop: Header=BB223_10 Depth=1
	v_and_b32_e32 v63, 7, v2
	v_lshrrev_b32_e32 v2, 3, v3
	s_mov_b32 s42, exec_lo
	v_cmpx_gt_u32_e32 8, v3
; %bb.182:                              ;   in Loop: Header=BB223_10 Depth=1
	v_ffbh_u32_e32 v2, v63
	v_min_u32_e32 v2, 32, v2
	v_subrev_nc_u32_e32 v3, 28, v2
	v_sub_nc_u32_e32 v2, 29, v2
	v_lshlrev_b64 v[3:4], v3, v[63:64]
	v_and_b32_e32 v63, 7, v3
; %bb.183:                              ;   in Loop: Header=BB223_10 Depth=1
	s_or_b32 exec_lo, exec_lo, s42
	v_lshlrev_b32_e32 v1, 16, v1
	v_lshlrev_b32_e32 v3, 20, v63
	v_lshl_add_u32 v2, v2, 23, 0x3c000000
	v_mov_b32_e32 v117, v64
	v_and_b32_e32 v1, 0x80000000, v1
	v_or3_b32 v118, v3, v1, v2
.LBB223_184:                            ;   in Loop: Header=BB223_10 Depth=1
	s_or_b32 exec_lo, exec_lo, s41
.LBB223_185:                            ;   in Loop: Header=BB223_10 Depth=1
	s_or_b32 exec_lo, exec_lo, s40
.LBB223_186:                            ;   in Loop: Header=BB223_10 Depth=1
	s_or_b32 exec_lo, exec_lo, s3
	global_load_ushort v2, v[81:82], off offset:524
	v_mov_b32_e32 v121, 0
	v_mov_b32_e32 v119, 0
	v_mov_b32_e32 v122, 0
	v_mov_b32_e32 v120, 0
	s_waitcnt vmcnt(0)
	v_and_b32_e32 v1, 0xffff, v2
	v_cmp_ne_u16_sdwa s2, v2, v64 src0_sel:BYTE_0 src1_sel:DWORD
	s_and_saveexec_b32 s3, s2
	s_cbranch_execz .LBB223_194
; %bb.187:                              ;   in Loop: Header=BB223_10 Depth=1
	v_bfrev_b32_e32 v119, 1
	v_mov_b32_e32 v120, 0
	v_cmp_ne_u16_sdwa s2, v1, v77 src0_sel:BYTE_0 src1_sel:DWORD
	s_and_saveexec_b32 s40, s2
	s_cbranch_execz .LBB223_193
; %bb.188:                              ;   in Loop: Header=BB223_10 Depth=1
	v_mov_b32_e32 v119, 0x7f800001
	v_and_b32_e32 v3, 0x7f, v1
	v_mov_b32_e32 v120, 0
	s_mov_b32 s41, exec_lo
	v_cmpx_ne_u32_e32 0x7f, v3
	s_cbranch_execz .LBB223_192
; %bb.189:                              ;   in Loop: Header=BB223_10 Depth=1
	v_and_b32_e32 v63, 7, v1
	v_lshrrev_b32_e32 v2, 3, v3
	s_mov_b32 s42, exec_lo
	v_cmpx_gt_u32_e32 8, v3
; %bb.190:                              ;   in Loop: Header=BB223_10 Depth=1
	v_ffbh_u32_e32 v2, v63
	v_min_u32_e32 v2, 32, v2
	v_subrev_nc_u32_e32 v3, 28, v2
	v_sub_nc_u32_e32 v2, 29, v2
	v_lshlrev_b64 v[3:4], v3, v[63:64]
	v_and_b32_e32 v63, 7, v3
; %bb.191:                              ;   in Loop: Header=BB223_10 Depth=1
	s_or_b32 exec_lo, exec_lo, s42
	v_lshlrev_b32_e32 v3, 24, v1
	v_lshlrev_b32_e32 v4, 20, v63
	v_lshl_add_u32 v2, v2, 23, 0x3c000000
	v_and_b32_e32 v3, 0x80000000, v3
	v_or3_b32 v63, v4, v3, v2
	v_mov_b32_e32 v120, v64
	v_mov_b32_e32 v119, v63
.LBB223_192:                            ;   in Loop: Header=BB223_10 Depth=1
	s_or_b32 exec_lo, exec_lo, s41
.LBB223_193:                            ;   in Loop: Header=BB223_10 Depth=1
	s_or_b32 exec_lo, exec_lo, s40
.LBB223_194:                            ;   in Loop: Header=BB223_10 Depth=1
	s_or_b32 exec_lo, exec_lo, s3
	v_cmp_ne_u16_sdwa s2, v1, v64 src0_sel:BYTE_1 src1_sel:DWORD
	s_and_saveexec_b32 s3, s2
	s_cbranch_execz .LBB223_202
; %bb.195:                              ;   in Loop: Header=BB223_10 Depth=1
	v_mov_b32_e32 v57, v64
	v_mov_b32_e32 v122, v58
	v_cmp_ne_u16_sdwa s2, v1, v77 src0_sel:BYTE_1 src1_sel:DWORD
	v_mov_b32_e32 v121, v57
	s_and_saveexec_b32 s40, s2
	s_cbranch_execz .LBB223_201
; %bb.196:                              ;   in Loop: Header=BB223_10 Depth=1
	v_mov_b32_e32 v2, 0xffff
	v_mov_b32_e32 v53, v64
	;; [unrolled: 1-line block ×3, first 2 shown]
	s_mov_b32 s41, exec_lo
	v_and_b32_sdwa v2, v2, v1 dst_sel:DWORD dst_unused:UNUSED_PAD src0_sel:DWORD src1_sel:BYTE_1
	v_mov_b32_e32 v121, v53
	v_and_b32_e32 v3, 0x7f, v2
	v_cmpx_ne_u32_e32 0x7f, v3
	s_cbranch_execz .LBB223_200
; %bb.197:                              ;   in Loop: Header=BB223_10 Depth=1
	v_and_b32_e32 v63, 7, v2
	v_lshrrev_b32_e32 v2, 3, v3
	s_mov_b32 s42, exec_lo
	v_cmpx_gt_u32_e32 8, v3
; %bb.198:                              ;   in Loop: Header=BB223_10 Depth=1
	v_ffbh_u32_e32 v2, v63
	v_min_u32_e32 v2, 32, v2
	v_subrev_nc_u32_e32 v3, 28, v2
	v_sub_nc_u32_e32 v2, 29, v2
	v_lshlrev_b64 v[3:4], v3, v[63:64]
	v_and_b32_e32 v63, 7, v3
; %bb.199:                              ;   in Loop: Header=BB223_10 Depth=1
	s_or_b32 exec_lo, exec_lo, s42
	v_lshlrev_b32_e32 v1, 16, v1
	v_lshlrev_b32_e32 v3, 20, v63
	v_lshl_add_u32 v2, v2, 23, 0x3c000000
	v_mov_b32_e32 v121, v64
	v_and_b32_e32 v1, 0x80000000, v1
	v_or3_b32 v122, v3, v1, v2
.LBB223_200:                            ;   in Loop: Header=BB223_10 Depth=1
	s_or_b32 exec_lo, exec_lo, s41
.LBB223_201:                            ;   in Loop: Header=BB223_10 Depth=1
	s_or_b32 exec_lo, exec_lo, s40
.LBB223_202:                            ;   in Loop: Header=BB223_10 Depth=1
	s_or_b32 exec_lo, exec_lo, s3
	global_load_ushort v2, v[81:82], off offset:768
	v_mov_b32_e32 v125, 0
	v_mov_b32_e32 v123, 0
	;; [unrolled: 1-line block ×4, first 2 shown]
	s_waitcnt vmcnt(0)
	v_and_b32_e32 v1, 0xffff, v2
	v_cmp_ne_u16_sdwa s2, v2, v64 src0_sel:BYTE_0 src1_sel:DWORD
	s_and_saveexec_b32 s3, s2
	s_cbranch_execz .LBB223_210
; %bb.203:                              ;   in Loop: Header=BB223_10 Depth=1
	v_bfrev_b32_e32 v123, 1
	v_mov_b32_e32 v124, 0
	v_cmp_ne_u16_sdwa s2, v1, v77 src0_sel:BYTE_0 src1_sel:DWORD
	s_and_saveexec_b32 s40, s2
	s_cbranch_execz .LBB223_209
; %bb.204:                              ;   in Loop: Header=BB223_10 Depth=1
	v_mov_b32_e32 v123, 0x7f800001
	v_and_b32_e32 v3, 0x7f, v1
	v_mov_b32_e32 v124, 0
	s_mov_b32 s41, exec_lo
	v_cmpx_ne_u32_e32 0x7f, v3
	s_cbranch_execz .LBB223_208
; %bb.205:                              ;   in Loop: Header=BB223_10 Depth=1
	v_and_b32_e32 v63, 7, v1
	v_lshrrev_b32_e32 v2, 3, v3
	s_mov_b32 s42, exec_lo
	v_cmpx_gt_u32_e32 8, v3
; %bb.206:                              ;   in Loop: Header=BB223_10 Depth=1
	v_ffbh_u32_e32 v2, v63
	v_min_u32_e32 v2, 32, v2
	v_subrev_nc_u32_e32 v3, 28, v2
	v_sub_nc_u32_e32 v2, 29, v2
	v_lshlrev_b64 v[3:4], v3, v[63:64]
	v_and_b32_e32 v63, 7, v3
; %bb.207:                              ;   in Loop: Header=BB223_10 Depth=1
	s_or_b32 exec_lo, exec_lo, s42
	v_lshlrev_b32_e32 v3, 24, v1
	v_lshlrev_b32_e32 v4, 20, v63
	v_lshl_add_u32 v2, v2, 23, 0x3c000000
	v_and_b32_e32 v3, 0x80000000, v3
	v_or3_b32 v63, v4, v3, v2
	v_mov_b32_e32 v124, v64
	v_mov_b32_e32 v123, v63
.LBB223_208:                            ;   in Loop: Header=BB223_10 Depth=1
	s_or_b32 exec_lo, exec_lo, s41
.LBB223_209:                            ;   in Loop: Header=BB223_10 Depth=1
	s_or_b32 exec_lo, exec_lo, s40
.LBB223_210:                            ;   in Loop: Header=BB223_10 Depth=1
	s_or_b32 exec_lo, exec_lo, s3
	v_cmp_ne_u16_sdwa s2, v1, v64 src0_sel:BYTE_1 src1_sel:DWORD
	s_and_saveexec_b32 s3, s2
	s_cbranch_execz .LBB223_218
; %bb.211:                              ;   in Loop: Header=BB223_10 Depth=1
	v_mov_b32_e32 v57, v64
	v_mov_b32_e32 v126, v58
	v_cmp_ne_u16_sdwa s2, v1, v77 src0_sel:BYTE_1 src1_sel:DWORD
	v_mov_b32_e32 v125, v57
	s_and_saveexec_b32 s40, s2
	s_cbranch_execz .LBB223_217
; %bb.212:                              ;   in Loop: Header=BB223_10 Depth=1
	v_mov_b32_e32 v2, 0xffff
	v_mov_b32_e32 v53, v64
	;; [unrolled: 1-line block ×3, first 2 shown]
	s_mov_b32 s41, exec_lo
	v_and_b32_sdwa v2, v2, v1 dst_sel:DWORD dst_unused:UNUSED_PAD src0_sel:DWORD src1_sel:BYTE_1
	v_mov_b32_e32 v125, v53
	v_and_b32_e32 v3, 0x7f, v2
	v_cmpx_ne_u32_e32 0x7f, v3
	s_cbranch_execz .LBB223_216
; %bb.213:                              ;   in Loop: Header=BB223_10 Depth=1
	v_and_b32_e32 v63, 7, v2
	v_lshrrev_b32_e32 v2, 3, v3
	s_mov_b32 s42, exec_lo
	v_cmpx_gt_u32_e32 8, v3
; %bb.214:                              ;   in Loop: Header=BB223_10 Depth=1
	v_ffbh_u32_e32 v2, v63
	v_min_u32_e32 v2, 32, v2
	v_subrev_nc_u32_e32 v3, 28, v2
	v_sub_nc_u32_e32 v2, 29, v2
	v_lshlrev_b64 v[3:4], v3, v[63:64]
	v_and_b32_e32 v63, 7, v3
; %bb.215:                              ;   in Loop: Header=BB223_10 Depth=1
	s_or_b32 exec_lo, exec_lo, s42
	v_lshlrev_b32_e32 v1, 16, v1
	v_lshlrev_b32_e32 v3, 20, v63
	v_lshl_add_u32 v2, v2, 23, 0x3c000000
	v_mov_b32_e32 v125, v64
	v_and_b32_e32 v1, 0x80000000, v1
	v_or3_b32 v126, v3, v1, v2
.LBB223_216:                            ;   in Loop: Header=BB223_10 Depth=1
	s_or_b32 exec_lo, exec_lo, s41
.LBB223_217:                            ;   in Loop: Header=BB223_10 Depth=1
	s_or_b32 exec_lo, exec_lo, s40
.LBB223_218:                            ;   in Loop: Header=BB223_10 Depth=1
	s_or_b32 exec_lo, exec_lo, s3
	global_load_ushort v1, v[81:82], off offset:772
	v_mov_b32_e32 v65, 0
	v_mov_b32_e32 v66, 0
	s_waitcnt vmcnt(0)
	v_and_b32_e32 v3, 0xffff, v1
	v_cmp_ne_u16_sdwa s2, v1, v64 src0_sel:BYTE_0 src1_sel:DWORD
	v_mov_b32_e32 v1, 0
	v_mov_b32_e32 v2, 0
	s_and_saveexec_b32 s3, s2
	s_cbranch_execz .LBB223_226
; %bb.219:                              ;   in Loop: Header=BB223_10 Depth=1
	v_bfrev_b32_e32 v65, 1
	v_mov_b32_e32 v66, 0
	v_cmp_ne_u16_sdwa s2, v3, v77 src0_sel:BYTE_0 src1_sel:DWORD
	s_and_saveexec_b32 s40, s2
	s_cbranch_execz .LBB223_225
; %bb.220:                              ;   in Loop: Header=BB223_10 Depth=1
	v_mov_b32_e32 v65, 0x7f800001
	v_and_b32_e32 v5, 0x7f, v3
	v_mov_b32_e32 v66, 0
	s_mov_b32 s41, exec_lo
	v_cmpx_ne_u32_e32 0x7f, v5
	s_cbranch_execz .LBB223_224
; %bb.221:                              ;   in Loop: Header=BB223_10 Depth=1
	v_and_b32_e32 v63, 7, v3
	v_lshrrev_b32_e32 v4, 3, v5
	s_mov_b32 s42, exec_lo
	v_cmpx_gt_u32_e32 8, v5
; %bb.222:                              ;   in Loop: Header=BB223_10 Depth=1
	v_ffbh_u32_e32 v4, v63
	v_min_u32_e32 v4, 32, v4
	v_subrev_nc_u32_e32 v5, 28, v4
	v_sub_nc_u32_e32 v4, 29, v4
	v_lshlrev_b64 v[5:6], v5, v[63:64]
	v_and_b32_e32 v63, 7, v5
; %bb.223:                              ;   in Loop: Header=BB223_10 Depth=1
	s_or_b32 exec_lo, exec_lo, s42
	v_lshlrev_b32_e32 v5, 24, v3
	v_lshlrev_b32_e32 v6, 20, v63
	v_lshl_add_u32 v4, v4, 23, 0x3c000000
	v_and_b32_e32 v5, 0x80000000, v5
	v_or3_b32 v63, v6, v5, v4
	v_mov_b32_e32 v66, v64
	v_mov_b32_e32 v65, v63
.LBB223_224:                            ;   in Loop: Header=BB223_10 Depth=1
	s_or_b32 exec_lo, exec_lo, s41
.LBB223_225:                            ;   in Loop: Header=BB223_10 Depth=1
	s_or_b32 exec_lo, exec_lo, s40
.LBB223_226:                            ;   in Loop: Header=BB223_10 Depth=1
	s_or_b32 exec_lo, exec_lo, s3
	v_cmp_ne_u16_sdwa s2, v3, v64 src0_sel:BYTE_1 src1_sel:DWORD
	s_and_saveexec_b32 s3, s2
	s_cbranch_execz .LBB223_234
; %bb.227:                              ;   in Loop: Header=BB223_10 Depth=1
	v_mov_b32_e32 v57, v64
	v_cmp_ne_u16_sdwa s2, v3, v77 src0_sel:BYTE_1 src1_sel:DWORD
	v_mov_b32_e32 v1, v57
	v_mov_b32_e32 v2, v58
	s_and_saveexec_b32 s40, s2
	s_cbranch_execz .LBB223_233
; %bb.228:                              ;   in Loop: Header=BB223_10 Depth=1
	v_mov_b32_e32 v1, 0xffff
	v_mov_b32_e32 v53, v64
	s_mov_b32 s41, exec_lo
	v_and_b32_sdwa v5, v1, v3 dst_sel:DWORD dst_unused:UNUSED_PAD src0_sel:DWORD src1_sel:BYTE_1
	v_mov_b32_e32 v1, v53
	v_mov_b32_e32 v2, v54
	v_and_b32_e32 v4, 0x7f, v5
	v_cmpx_ne_u32_e32 0x7f, v4
	s_cbranch_execz .LBB223_232
; %bb.229:                              ;   in Loop: Header=BB223_10 Depth=1
	v_and_b32_e32 v63, 7, v5
	v_lshrrev_b32_e32 v1, 3, v4
	s_mov_b32 s42, exec_lo
	v_cmpx_gt_u32_e32 8, v4
; %bb.230:                              ;   in Loop: Header=BB223_10 Depth=1
	v_ffbh_u32_e32 v1, v63
	v_min_u32_e32 v1, 32, v1
	v_subrev_nc_u32_e32 v2, 28, v1
	v_sub_nc_u32_e32 v1, 29, v1
	v_lshlrev_b64 v[4:5], v2, v[63:64]
	v_and_b32_e32 v63, 7, v4
; %bb.231:                              ;   in Loop: Header=BB223_10 Depth=1
	s_or_b32 exec_lo, exec_lo, s42
	v_lshlrev_b32_e32 v2, 16, v3
	v_lshlrev_b32_e32 v3, 20, v63
	v_lshl_add_u32 v1, v1, 23, 0x3c000000
	v_and_b32_e32 v2, 0x80000000, v2
	v_or3_b32 v2, v3, v2, v1
	v_mov_b32_e32 v1, v64
.LBB223_232:                            ;   in Loop: Header=BB223_10 Depth=1
	s_or_b32 exec_lo, exec_lo, s41
.LBB223_233:                            ;   in Loop: Header=BB223_10 Depth=1
	s_or_b32 exec_lo, exec_lo, s40
.LBB223_234:                            ;   in Loop: Header=BB223_10 Depth=1
	s_or_b32 exec_lo, exec_lo, s3
	global_load_ushort v3, v[81:82], off offset:776
	v_mov_b32_e32 v5, 0
	v_mov_b32_e32 v6, 0
	s_waitcnt vmcnt(0)
	v_and_b32_e32 v7, 0xffff, v3
	v_cmp_ne_u16_sdwa s2, v3, v64 src0_sel:BYTE_0 src1_sel:DWORD
	v_mov_b32_e32 v3, 0
	v_mov_b32_e32 v4, 0
	s_and_saveexec_b32 s3, s2
	s_cbranch_execz .LBB223_242
; %bb.235:                              ;   in Loop: Header=BB223_10 Depth=1
	v_bfrev_b32_e32 v3, 1
	v_mov_b32_e32 v4, 0
	v_cmp_ne_u16_sdwa s2, v7, v77 src0_sel:BYTE_0 src1_sel:DWORD
	s_and_saveexec_b32 s40, s2
	s_cbranch_execz .LBB223_241
; %bb.236:                              ;   in Loop: Header=BB223_10 Depth=1
	v_mov_b32_e32 v3, 0x7f800001
	v_and_b32_e32 v8, 0x7f, v7
	v_mov_b32_e32 v4, 0
	s_mov_b32 s41, exec_lo
	v_cmpx_ne_u32_e32 0x7f, v8
	s_cbranch_execz .LBB223_240
; %bb.237:                              ;   in Loop: Header=BB223_10 Depth=1
	v_and_b32_e32 v63, 7, v7
	v_lshrrev_b32_e32 v3, 3, v8
	s_mov_b32 s42, exec_lo
	v_cmpx_gt_u32_e32 8, v8
; %bb.238:                              ;   in Loop: Header=BB223_10 Depth=1
	v_ffbh_u32_e32 v3, v63
	v_min_u32_e32 v3, 32, v3
	v_subrev_nc_u32_e32 v4, 28, v3
	v_sub_nc_u32_e32 v3, 29, v3
	v_lshlrev_b64 v[8:9], v4, v[63:64]
	v_and_b32_e32 v63, 7, v8
; %bb.239:                              ;   in Loop: Header=BB223_10 Depth=1
	s_or_b32 exec_lo, exec_lo, s42
	v_lshlrev_b32_e32 v4, 24, v7
	v_lshlrev_b32_e32 v8, 20, v63
	v_lshl_add_u32 v3, v3, 23, 0x3c000000
	v_and_b32_e32 v4, 0x80000000, v4
	v_or3_b32 v63, v8, v4, v3
	v_mov_b32_e32 v3, v63
	v_mov_b32_e32 v4, v64
.LBB223_240:                            ;   in Loop: Header=BB223_10 Depth=1
	s_or_b32 exec_lo, exec_lo, s41
.LBB223_241:                            ;   in Loop: Header=BB223_10 Depth=1
	s_or_b32 exec_lo, exec_lo, s40
.LBB223_242:                            ;   in Loop: Header=BB223_10 Depth=1
	s_or_b32 exec_lo, exec_lo, s3
	v_cmp_ne_u16_sdwa s2, v7, v64 src0_sel:BYTE_1 src1_sel:DWORD
	s_and_saveexec_b32 s3, s2
	s_cbranch_execz .LBB223_250
; %bb.243:                              ;   in Loop: Header=BB223_10 Depth=1
	v_mov_b32_e32 v57, v64
	v_cmp_ne_u16_sdwa s2, v7, v77 src0_sel:BYTE_1 src1_sel:DWORD
	v_mov_b32_e32 v5, v57
	v_mov_b32_e32 v6, v58
	s_and_saveexec_b32 s40, s2
	s_cbranch_execz .LBB223_249
; %bb.244:                              ;   in Loop: Header=BB223_10 Depth=1
	v_mov_b32_e32 v5, 0xffff
	v_mov_b32_e32 v53, v64
	s_mov_b32 s41, exec_lo
	v_and_b32_sdwa v9, v5, v7 dst_sel:DWORD dst_unused:UNUSED_PAD src0_sel:DWORD src1_sel:BYTE_1
	v_mov_b32_e32 v5, v53
	v_mov_b32_e32 v6, v54
	v_and_b32_e32 v8, 0x7f, v9
	v_cmpx_ne_u32_e32 0x7f, v8
	s_cbranch_execz .LBB223_248
; %bb.245:                              ;   in Loop: Header=BB223_10 Depth=1
	v_and_b32_e32 v63, 7, v9
	v_lshrrev_b32_e32 v5, 3, v8
	s_mov_b32 s42, exec_lo
	v_cmpx_gt_u32_e32 8, v8
; %bb.246:                              ;   in Loop: Header=BB223_10 Depth=1
	v_ffbh_u32_e32 v5, v63
	v_min_u32_e32 v5, 32, v5
	v_subrev_nc_u32_e32 v6, 28, v5
	v_sub_nc_u32_e32 v5, 29, v5
	v_lshlrev_b64 v[8:9], v6, v[63:64]
	v_and_b32_e32 v63, 7, v8
; %bb.247:                              ;   in Loop: Header=BB223_10 Depth=1
	s_or_b32 exec_lo, exec_lo, s42
	v_lshlrev_b32_e32 v6, 16, v7
	v_lshlrev_b32_e32 v7, 20, v63
	v_lshl_add_u32 v5, v5, 23, 0x3c000000
	v_and_b32_e32 v6, 0x80000000, v6
	v_or3_b32 v6, v7, v6, v5
	v_mov_b32_e32 v5, v64
.LBB223_248:                            ;   in Loop: Header=BB223_10 Depth=1
	s_or_b32 exec_lo, exec_lo, s41
.LBB223_249:                            ;   in Loop: Header=BB223_10 Depth=1
	s_or_b32 exec_lo, exec_lo, s40
.LBB223_250:                            ;   in Loop: Header=BB223_10 Depth=1
	s_or_b32 exec_lo, exec_lo, s3
	global_load_ushort v7, v[81:82], off offset:780
	v_mov_b32_e32 v9, 0
	v_mov_b32_e32 v10, 0
	s_waitcnt vmcnt(0)
	v_and_b32_e32 v11, 0xffff, v7
	v_cmp_ne_u16_sdwa s2, v7, v64 src0_sel:BYTE_0 src1_sel:DWORD
	v_mov_b32_e32 v7, 0
	v_mov_b32_e32 v8, 0
	s_and_saveexec_b32 s3, s2
	s_cbranch_execz .LBB223_258
; %bb.251:                              ;   in Loop: Header=BB223_10 Depth=1
	v_bfrev_b32_e32 v7, 1
	v_mov_b32_e32 v8, 0
	v_cmp_ne_u16_sdwa s2, v11, v77 src0_sel:BYTE_0 src1_sel:DWORD
	s_and_saveexec_b32 s40, s2
	s_cbranch_execz .LBB223_257
; %bb.252:                              ;   in Loop: Header=BB223_10 Depth=1
	v_mov_b32_e32 v7, 0x7f800001
	v_and_b32_e32 v12, 0x7f, v11
	v_mov_b32_e32 v8, 0
	s_mov_b32 s41, exec_lo
	v_cmpx_ne_u32_e32 0x7f, v12
	s_cbranch_execz .LBB223_256
; %bb.253:                              ;   in Loop: Header=BB223_10 Depth=1
	v_and_b32_e32 v63, 7, v11
	v_lshrrev_b32_e32 v7, 3, v12
	s_mov_b32 s42, exec_lo
	v_cmpx_gt_u32_e32 8, v12
; %bb.254:                              ;   in Loop: Header=BB223_10 Depth=1
	v_ffbh_u32_e32 v7, v63
	v_min_u32_e32 v7, 32, v7
	v_subrev_nc_u32_e32 v8, 28, v7
	v_sub_nc_u32_e32 v7, 29, v7
	v_lshlrev_b64 v[12:13], v8, v[63:64]
	v_and_b32_e32 v63, 7, v12
; %bb.255:                              ;   in Loop: Header=BB223_10 Depth=1
	s_or_b32 exec_lo, exec_lo, s42
	v_lshlrev_b32_e32 v8, 24, v11
	v_lshlrev_b32_e32 v12, 20, v63
	v_lshl_add_u32 v7, v7, 23, 0x3c000000
	v_and_b32_e32 v8, 0x80000000, v8
	v_or3_b32 v63, v12, v8, v7
	v_mov_b32_e32 v7, v63
	v_mov_b32_e32 v8, v64
.LBB223_256:                            ;   in Loop: Header=BB223_10 Depth=1
	s_or_b32 exec_lo, exec_lo, s41
.LBB223_257:                            ;   in Loop: Header=BB223_10 Depth=1
	s_or_b32 exec_lo, exec_lo, s40
.LBB223_258:                            ;   in Loop: Header=BB223_10 Depth=1
	s_or_b32 exec_lo, exec_lo, s3
	v_cmp_ne_u16_sdwa s2, v11, v64 src0_sel:BYTE_1 src1_sel:DWORD
	s_and_saveexec_b32 s3, s2
	s_cbranch_execz .LBB223_266
; %bb.259:                              ;   in Loop: Header=BB223_10 Depth=1
	v_mov_b32_e32 v57, v64
	v_cmp_ne_u16_sdwa s2, v11, v77 src0_sel:BYTE_1 src1_sel:DWORD
	v_mov_b32_e32 v9, v57
	v_mov_b32_e32 v10, v58
	s_and_saveexec_b32 s40, s2
	s_cbranch_execz .LBB223_265
; %bb.260:                              ;   in Loop: Header=BB223_10 Depth=1
	v_mov_b32_e32 v9, 0xffff
	v_mov_b32_e32 v53, v64
	s_mov_b32 s41, exec_lo
	v_and_b32_sdwa v13, v9, v11 dst_sel:DWORD dst_unused:UNUSED_PAD src0_sel:DWORD src1_sel:BYTE_1
	v_mov_b32_e32 v9, v53
	v_mov_b32_e32 v10, v54
	v_and_b32_e32 v12, 0x7f, v13
	v_cmpx_ne_u32_e32 0x7f, v12
	s_cbranch_execz .LBB223_264
; %bb.261:                              ;   in Loop: Header=BB223_10 Depth=1
	v_and_b32_e32 v63, 7, v13
	v_lshrrev_b32_e32 v9, 3, v12
	s_mov_b32 s42, exec_lo
	v_cmpx_gt_u32_e32 8, v12
; %bb.262:                              ;   in Loop: Header=BB223_10 Depth=1
	v_ffbh_u32_e32 v9, v63
	v_min_u32_e32 v9, 32, v9
	v_subrev_nc_u32_e32 v10, 28, v9
	v_sub_nc_u32_e32 v9, 29, v9
	v_lshlrev_b64 v[12:13], v10, v[63:64]
	v_and_b32_e32 v63, 7, v12
; %bb.263:                              ;   in Loop: Header=BB223_10 Depth=1
	s_or_b32 exec_lo, exec_lo, s42
	v_lshlrev_b32_e32 v10, 16, v11
	v_lshlrev_b32_e32 v11, 20, v63
	v_lshl_add_u32 v9, v9, 23, 0x3c000000
	v_and_b32_e32 v10, 0x80000000, v10
	v_or3_b32 v10, v11, v10, v9
	v_mov_b32_e32 v9, v64
.LBB223_264:                            ;   in Loop: Header=BB223_10 Depth=1
	s_or_b32 exec_lo, exec_lo, s41
.LBB223_265:                            ;   in Loop: Header=BB223_10 Depth=1
	s_or_b32 exec_lo, exec_lo, s40
.LBB223_266:                            ;   in Loop: Header=BB223_10 Depth=1
	s_or_b32 exec_lo, exec_lo, s3
	global_load_ushort v11, v[81:82], off offset:1024
	v_mov_b32_e32 v13, 0
	v_mov_b32_e32 v14, 0
	s_waitcnt vmcnt(0)
	v_and_b32_e32 v15, 0xffff, v11
	v_cmp_ne_u16_sdwa s2, v11, v64 src0_sel:BYTE_0 src1_sel:DWORD
	v_mov_b32_e32 v11, 0
	v_mov_b32_e32 v12, 0
	s_and_saveexec_b32 s3, s2
	s_cbranch_execz .LBB223_274
; %bb.267:                              ;   in Loop: Header=BB223_10 Depth=1
	v_bfrev_b32_e32 v11, 1
	v_mov_b32_e32 v12, 0
	v_cmp_ne_u16_sdwa s2, v15, v77 src0_sel:BYTE_0 src1_sel:DWORD
	s_and_saveexec_b32 s40, s2
	s_cbranch_execz .LBB223_273
; %bb.268:                              ;   in Loop: Header=BB223_10 Depth=1
	v_mov_b32_e32 v11, 0x7f800001
	v_and_b32_e32 v16, 0x7f, v15
	v_mov_b32_e32 v12, 0
	s_mov_b32 s41, exec_lo
	v_cmpx_ne_u32_e32 0x7f, v16
	s_cbranch_execz .LBB223_272
; %bb.269:                              ;   in Loop: Header=BB223_10 Depth=1
	v_and_b32_e32 v63, 7, v15
	v_lshrrev_b32_e32 v11, 3, v16
	s_mov_b32 s42, exec_lo
	v_cmpx_gt_u32_e32 8, v16
; %bb.270:                              ;   in Loop: Header=BB223_10 Depth=1
	v_ffbh_u32_e32 v11, v63
	v_min_u32_e32 v11, 32, v11
	v_subrev_nc_u32_e32 v12, 28, v11
	v_sub_nc_u32_e32 v11, 29, v11
	v_lshlrev_b64 v[16:17], v12, v[63:64]
	v_and_b32_e32 v63, 7, v16
; %bb.271:                              ;   in Loop: Header=BB223_10 Depth=1
	s_or_b32 exec_lo, exec_lo, s42
	v_lshlrev_b32_e32 v12, 24, v15
	v_lshlrev_b32_e32 v16, 20, v63
	v_lshl_add_u32 v11, v11, 23, 0x3c000000
	v_and_b32_e32 v12, 0x80000000, v12
	v_or3_b32 v63, v16, v12, v11
	v_mov_b32_e32 v11, v63
	v_mov_b32_e32 v12, v64
.LBB223_272:                            ;   in Loop: Header=BB223_10 Depth=1
	s_or_b32 exec_lo, exec_lo, s41
.LBB223_273:                            ;   in Loop: Header=BB223_10 Depth=1
	s_or_b32 exec_lo, exec_lo, s40
.LBB223_274:                            ;   in Loop: Header=BB223_10 Depth=1
	s_or_b32 exec_lo, exec_lo, s3
	v_cmp_ne_u16_sdwa s2, v15, v64 src0_sel:BYTE_1 src1_sel:DWORD
	s_and_saveexec_b32 s3, s2
	s_cbranch_execz .LBB223_282
; %bb.275:                              ;   in Loop: Header=BB223_10 Depth=1
	v_mov_b32_e32 v57, v64
	v_cmp_ne_u16_sdwa s2, v15, v77 src0_sel:BYTE_1 src1_sel:DWORD
	v_mov_b32_e32 v13, v57
	v_mov_b32_e32 v14, v58
	s_and_saveexec_b32 s40, s2
	s_cbranch_execz .LBB223_281
; %bb.276:                              ;   in Loop: Header=BB223_10 Depth=1
	v_mov_b32_e32 v13, 0xffff
	v_mov_b32_e32 v53, v64
	s_mov_b32 s41, exec_lo
	v_and_b32_sdwa v17, v13, v15 dst_sel:DWORD dst_unused:UNUSED_PAD src0_sel:DWORD src1_sel:BYTE_1
	v_mov_b32_e32 v13, v53
	v_mov_b32_e32 v14, v54
	v_and_b32_e32 v16, 0x7f, v17
	v_cmpx_ne_u32_e32 0x7f, v16
	s_cbranch_execz .LBB223_280
; %bb.277:                              ;   in Loop: Header=BB223_10 Depth=1
	v_and_b32_e32 v63, 7, v17
	v_lshrrev_b32_e32 v13, 3, v16
	s_mov_b32 s42, exec_lo
	v_cmpx_gt_u32_e32 8, v16
; %bb.278:                              ;   in Loop: Header=BB223_10 Depth=1
	v_ffbh_u32_e32 v13, v63
	v_min_u32_e32 v13, 32, v13
	v_subrev_nc_u32_e32 v14, 28, v13
	v_sub_nc_u32_e32 v13, 29, v13
	v_lshlrev_b64 v[16:17], v14, v[63:64]
	v_and_b32_e32 v63, 7, v16
; %bb.279:                              ;   in Loop: Header=BB223_10 Depth=1
	s_or_b32 exec_lo, exec_lo, s42
	v_lshlrev_b32_e32 v14, 16, v15
	v_lshlrev_b32_e32 v15, 20, v63
	v_lshl_add_u32 v13, v13, 23, 0x3c000000
	v_and_b32_e32 v14, 0x80000000, v14
	v_or3_b32 v14, v15, v14, v13
	v_mov_b32_e32 v13, v64
.LBB223_280:                            ;   in Loop: Header=BB223_10 Depth=1
	s_or_b32 exec_lo, exec_lo, s41
.LBB223_281:                            ;   in Loop: Header=BB223_10 Depth=1
	s_or_b32 exec_lo, exec_lo, s40
.LBB223_282:                            ;   in Loop: Header=BB223_10 Depth=1
	s_or_b32 exec_lo, exec_lo, s3
	global_load_ushort v16, v[81:82], off offset:1028
	v_mov_b32_e32 v21, 0
	v_mov_b32_e32 v19, 0
	;; [unrolled: 1-line block ×4, first 2 shown]
	s_waitcnt vmcnt(0)
	v_and_b32_e32 v15, 0xffff, v16
	v_cmp_ne_u16_sdwa s2, v16, v64 src0_sel:BYTE_0 src1_sel:DWORD
	s_and_saveexec_b32 s3, s2
	s_cbranch_execz .LBB223_290
; %bb.283:                              ;   in Loop: Header=BB223_10 Depth=1
	v_bfrev_b32_e32 v19, 1
	v_mov_b32_e32 v20, 0
	v_cmp_ne_u16_sdwa s2, v15, v77 src0_sel:BYTE_0 src1_sel:DWORD
	s_and_saveexec_b32 s40, s2
	s_cbranch_execz .LBB223_289
; %bb.284:                              ;   in Loop: Header=BB223_10 Depth=1
	v_mov_b32_e32 v19, 0x7f800001
	v_and_b32_e32 v17, 0x7f, v15
	v_mov_b32_e32 v20, 0
	s_mov_b32 s41, exec_lo
	v_cmpx_ne_u32_e32 0x7f, v17
	s_cbranch_execz .LBB223_288
; %bb.285:                              ;   in Loop: Header=BB223_10 Depth=1
	v_and_b32_e32 v63, 7, v15
	v_lshrrev_b32_e32 v16, 3, v17
	s_mov_b32 s42, exec_lo
	v_cmpx_gt_u32_e32 8, v17
; %bb.286:                              ;   in Loop: Header=BB223_10 Depth=1
	v_ffbh_u32_e32 v16, v63
	v_min_u32_e32 v16, 32, v16
	v_subrev_nc_u32_e32 v17, 28, v16
	v_sub_nc_u32_e32 v16, 29, v16
	v_lshlrev_b64 v[17:18], v17, v[63:64]
	v_and_b32_e32 v63, 7, v17
; %bb.287:                              ;   in Loop: Header=BB223_10 Depth=1
	s_or_b32 exec_lo, exec_lo, s42
	v_lshlrev_b32_e32 v17, 24, v15
	v_lshlrev_b32_e32 v18, 20, v63
	v_lshl_add_u32 v16, v16, 23, 0x3c000000
	v_and_b32_e32 v17, 0x80000000, v17
	v_or3_b32 v63, v18, v17, v16
	v_mov_b32_e32 v19, v63
	v_mov_b32_e32 v20, v64
.LBB223_288:                            ;   in Loop: Header=BB223_10 Depth=1
	s_or_b32 exec_lo, exec_lo, s41
.LBB223_289:                            ;   in Loop: Header=BB223_10 Depth=1
	s_or_b32 exec_lo, exec_lo, s40
.LBB223_290:                            ;   in Loop: Header=BB223_10 Depth=1
	s_or_b32 exec_lo, exec_lo, s3
	v_cmp_ne_u16_sdwa s2, v15, v64 src0_sel:BYTE_1 src1_sel:DWORD
	s_and_saveexec_b32 s3, s2
	s_cbranch_execz .LBB223_298
; %bb.291:                              ;   in Loop: Header=BB223_10 Depth=1
	v_mov_b32_e32 v57, v64
	v_cmp_ne_u16_sdwa s2, v15, v77 src0_sel:BYTE_1 src1_sel:DWORD
	v_mov_b32_e32 v21, v57
	v_mov_b32_e32 v22, v58
	s_and_saveexec_b32 s40, s2
	s_cbranch_execz .LBB223_297
; %bb.292:                              ;   in Loop: Header=BB223_10 Depth=1
	v_mov_b32_e32 v16, 0xffff
	v_mov_b32_e32 v53, v64
	s_mov_b32 s41, exec_lo
	v_and_b32_sdwa v16, v16, v15 dst_sel:DWORD dst_unused:UNUSED_PAD src0_sel:DWORD src1_sel:BYTE_1
	v_mov_b32_e32 v21, v53
	v_mov_b32_e32 v22, v54
	v_and_b32_e32 v17, 0x7f, v16
	v_cmpx_ne_u32_e32 0x7f, v17
	s_cbranch_execz .LBB223_296
; %bb.293:                              ;   in Loop: Header=BB223_10 Depth=1
	v_and_b32_e32 v63, 7, v16
	v_lshrrev_b32_e32 v16, 3, v17
	s_mov_b32 s42, exec_lo
	v_cmpx_gt_u32_e32 8, v17
; %bb.294:                              ;   in Loop: Header=BB223_10 Depth=1
	v_ffbh_u32_e32 v16, v63
	v_min_u32_e32 v16, 32, v16
	v_subrev_nc_u32_e32 v17, 28, v16
	v_sub_nc_u32_e32 v16, 29, v16
	v_lshlrev_b64 v[17:18], v17, v[63:64]
	v_and_b32_e32 v63, 7, v17
; %bb.295:                              ;   in Loop: Header=BB223_10 Depth=1
	s_or_b32 exec_lo, exec_lo, s42
	v_lshlrev_b32_e32 v15, 16, v15
	v_lshlrev_b32_e32 v17, 20, v63
	v_lshl_add_u32 v16, v16, 23, 0x3c000000
	v_mov_b32_e32 v21, v64
	v_and_b32_e32 v15, 0x80000000, v15
	v_or3_b32 v22, v17, v15, v16
.LBB223_296:                            ;   in Loop: Header=BB223_10 Depth=1
	s_or_b32 exec_lo, exec_lo, s41
.LBB223_297:                            ;   in Loop: Header=BB223_10 Depth=1
	s_or_b32 exec_lo, exec_lo, s40
.LBB223_298:                            ;   in Loop: Header=BB223_10 Depth=1
	s_or_b32 exec_lo, exec_lo, s3
	global_load_ushort v15, v[81:82], off offset:1032
	v_mov_b32_e32 v17, 0
	v_mov_b32_e32 v18, 0
	s_waitcnt vmcnt(0)
	v_and_b32_e32 v23, 0xffff, v15
	v_cmp_ne_u16_sdwa s2, v15, v64 src0_sel:BYTE_0 src1_sel:DWORD
	v_mov_b32_e32 v15, 0
	v_mov_b32_e32 v16, 0
	s_and_saveexec_b32 s3, s2
	s_cbranch_execz .LBB223_306
; %bb.299:                              ;   in Loop: Header=BB223_10 Depth=1
	v_bfrev_b32_e32 v15, 1
	v_mov_b32_e32 v16, 0
	v_cmp_ne_u16_sdwa s2, v23, v77 src0_sel:BYTE_0 src1_sel:DWORD
	s_and_saveexec_b32 s40, s2
	s_cbranch_execz .LBB223_305
; %bb.300:                              ;   in Loop: Header=BB223_10 Depth=1
	v_mov_b32_e32 v15, 0x7f800001
	v_and_b32_e32 v24, 0x7f, v23
	v_mov_b32_e32 v16, 0
	s_mov_b32 s41, exec_lo
	v_cmpx_ne_u32_e32 0x7f, v24
	s_cbranch_execz .LBB223_304
; %bb.301:                              ;   in Loop: Header=BB223_10 Depth=1
	v_and_b32_e32 v63, 7, v23
	v_lshrrev_b32_e32 v15, 3, v24
	s_mov_b32 s42, exec_lo
	v_cmpx_gt_u32_e32 8, v24
; %bb.302:                              ;   in Loop: Header=BB223_10 Depth=1
	v_ffbh_u32_e32 v15, v63
	v_min_u32_e32 v15, 32, v15
	v_subrev_nc_u32_e32 v16, 28, v15
	v_sub_nc_u32_e32 v15, 29, v15
	v_lshlrev_b64 v[24:25], v16, v[63:64]
	v_and_b32_e32 v63, 7, v24
; %bb.303:                              ;   in Loop: Header=BB223_10 Depth=1
	s_or_b32 exec_lo, exec_lo, s42
	v_lshlrev_b32_e32 v16, 24, v23
	v_lshlrev_b32_e32 v24, 20, v63
	v_lshl_add_u32 v15, v15, 23, 0x3c000000
	v_and_b32_e32 v16, 0x80000000, v16
	v_or3_b32 v63, v24, v16, v15
	v_mov_b32_e32 v15, v63
	v_mov_b32_e32 v16, v64
.LBB223_304:                            ;   in Loop: Header=BB223_10 Depth=1
	s_or_b32 exec_lo, exec_lo, s41
.LBB223_305:                            ;   in Loop: Header=BB223_10 Depth=1
	s_or_b32 exec_lo, exec_lo, s40
.LBB223_306:                            ;   in Loop: Header=BB223_10 Depth=1
	s_or_b32 exec_lo, exec_lo, s3
	v_cmp_ne_u16_sdwa s2, v23, v64 src0_sel:BYTE_1 src1_sel:DWORD
	s_and_saveexec_b32 s3, s2
	s_cbranch_execz .LBB223_314
; %bb.307:                              ;   in Loop: Header=BB223_10 Depth=1
	v_mov_b32_e32 v57, v64
	v_cmp_ne_u16_sdwa s2, v23, v77 src0_sel:BYTE_1 src1_sel:DWORD
	v_mov_b32_e32 v17, v57
	v_mov_b32_e32 v18, v58
	s_and_saveexec_b32 s40, s2
	s_cbranch_execz .LBB223_313
; %bb.308:                              ;   in Loop: Header=BB223_10 Depth=1
	v_mov_b32_e32 v17, 0xffff
	v_mov_b32_e32 v53, v64
	s_mov_b32 s41, exec_lo
	v_and_b32_sdwa v25, v17, v23 dst_sel:DWORD dst_unused:UNUSED_PAD src0_sel:DWORD src1_sel:BYTE_1
	v_mov_b32_e32 v17, v53
	v_mov_b32_e32 v18, v54
	v_and_b32_e32 v24, 0x7f, v25
	v_cmpx_ne_u32_e32 0x7f, v24
	s_cbranch_execz .LBB223_312
; %bb.309:                              ;   in Loop: Header=BB223_10 Depth=1
	v_and_b32_e32 v63, 7, v25
	v_lshrrev_b32_e32 v17, 3, v24
	s_mov_b32 s42, exec_lo
	v_cmpx_gt_u32_e32 8, v24
; %bb.310:                              ;   in Loop: Header=BB223_10 Depth=1
	v_ffbh_u32_e32 v17, v63
	v_min_u32_e32 v17, 32, v17
	v_subrev_nc_u32_e32 v18, 28, v17
	v_sub_nc_u32_e32 v17, 29, v17
	v_lshlrev_b64 v[24:25], v18, v[63:64]
	v_and_b32_e32 v63, 7, v24
; %bb.311:                              ;   in Loop: Header=BB223_10 Depth=1
	s_or_b32 exec_lo, exec_lo, s42
	v_lshlrev_b32_e32 v18, 16, v23
	v_lshlrev_b32_e32 v23, 20, v63
	v_lshl_add_u32 v17, v17, 23, 0x3c000000
	v_and_b32_e32 v18, 0x80000000, v18
	v_or3_b32 v18, v23, v18, v17
	v_mov_b32_e32 v17, v64
.LBB223_312:                            ;   in Loop: Header=BB223_10 Depth=1
	s_or_b32 exec_lo, exec_lo, s41
.LBB223_313:                            ;   in Loop: Header=BB223_10 Depth=1
	s_or_b32 exec_lo, exec_lo, s40
.LBB223_314:                            ;   in Loop: Header=BB223_10 Depth=1
	s_or_b32 exec_lo, exec_lo, s3
	global_load_ushort v23, v[81:82], off offset:1036
	v_mov_b32_e32 v25, 0
	v_mov_b32_e32 v26, 0
	s_waitcnt vmcnt(0)
	v_and_b32_e32 v27, 0xffff, v23
	v_cmp_ne_u16_sdwa s2, v23, v64 src0_sel:BYTE_0 src1_sel:DWORD
	v_mov_b32_e32 v23, 0
	v_mov_b32_e32 v24, 0
	s_and_saveexec_b32 s3, s2
	s_cbranch_execz .LBB223_322
; %bb.315:                              ;   in Loop: Header=BB223_10 Depth=1
	v_bfrev_b32_e32 v23, 1
	v_mov_b32_e32 v24, 0
	v_cmp_ne_u16_sdwa s2, v27, v77 src0_sel:BYTE_0 src1_sel:DWORD
	s_and_saveexec_b32 s40, s2
	s_cbranch_execz .LBB223_321
; %bb.316:                              ;   in Loop: Header=BB223_10 Depth=1
	v_mov_b32_e32 v23, 0x7f800001
	v_and_b32_e32 v28, 0x7f, v27
	v_mov_b32_e32 v24, 0
	s_mov_b32 s41, exec_lo
	v_cmpx_ne_u32_e32 0x7f, v28
	s_cbranch_execz .LBB223_320
; %bb.317:                              ;   in Loop: Header=BB223_10 Depth=1
	v_and_b32_e32 v63, 7, v27
	v_lshrrev_b32_e32 v23, 3, v28
	s_mov_b32 s42, exec_lo
	v_cmpx_gt_u32_e32 8, v28
; %bb.318:                              ;   in Loop: Header=BB223_10 Depth=1
	v_ffbh_u32_e32 v23, v63
	v_min_u32_e32 v23, 32, v23
	v_subrev_nc_u32_e32 v24, 28, v23
	v_sub_nc_u32_e32 v23, 29, v23
	v_lshlrev_b64 v[28:29], v24, v[63:64]
	v_and_b32_e32 v63, 7, v28
; %bb.319:                              ;   in Loop: Header=BB223_10 Depth=1
	s_or_b32 exec_lo, exec_lo, s42
	v_lshlrev_b32_e32 v24, 24, v27
	v_lshlrev_b32_e32 v28, 20, v63
	v_lshl_add_u32 v23, v23, 23, 0x3c000000
	v_and_b32_e32 v24, 0x80000000, v24
	v_or3_b32 v63, v28, v24, v23
	v_mov_b32_e32 v23, v63
	v_mov_b32_e32 v24, v64
.LBB223_320:                            ;   in Loop: Header=BB223_10 Depth=1
	s_or_b32 exec_lo, exec_lo, s41
.LBB223_321:                            ;   in Loop: Header=BB223_10 Depth=1
	s_or_b32 exec_lo, exec_lo, s40
.LBB223_322:                            ;   in Loop: Header=BB223_10 Depth=1
	s_or_b32 exec_lo, exec_lo, s3
	v_cmp_ne_u16_sdwa s2, v27, v64 src0_sel:BYTE_1 src1_sel:DWORD
	s_and_saveexec_b32 s3, s2
	s_cbranch_execz .LBB223_330
; %bb.323:                              ;   in Loop: Header=BB223_10 Depth=1
	v_mov_b32_e32 v57, v64
	v_cmp_ne_u16_sdwa s2, v27, v77 src0_sel:BYTE_1 src1_sel:DWORD
	v_mov_b32_e32 v25, v57
	v_mov_b32_e32 v26, v58
	s_and_saveexec_b32 s40, s2
	s_cbranch_execz .LBB223_329
; %bb.324:                              ;   in Loop: Header=BB223_10 Depth=1
	v_mov_b32_e32 v25, 0xffff
	v_mov_b32_e32 v53, v64
	s_mov_b32 s41, exec_lo
	v_and_b32_sdwa v29, v25, v27 dst_sel:DWORD dst_unused:UNUSED_PAD src0_sel:DWORD src1_sel:BYTE_1
	v_mov_b32_e32 v25, v53
	v_mov_b32_e32 v26, v54
	v_and_b32_e32 v28, 0x7f, v29
	v_cmpx_ne_u32_e32 0x7f, v28
	s_cbranch_execz .LBB223_328
; %bb.325:                              ;   in Loop: Header=BB223_10 Depth=1
	v_and_b32_e32 v63, 7, v29
	v_lshrrev_b32_e32 v25, 3, v28
	s_mov_b32 s42, exec_lo
	v_cmpx_gt_u32_e32 8, v28
; %bb.326:                              ;   in Loop: Header=BB223_10 Depth=1
	v_ffbh_u32_e32 v25, v63
	v_min_u32_e32 v25, 32, v25
	v_subrev_nc_u32_e32 v26, 28, v25
	v_sub_nc_u32_e32 v25, 29, v25
	v_lshlrev_b64 v[28:29], v26, v[63:64]
	v_and_b32_e32 v63, 7, v28
; %bb.327:                              ;   in Loop: Header=BB223_10 Depth=1
	s_or_b32 exec_lo, exec_lo, s42
	v_lshlrev_b32_e32 v26, 16, v27
	v_lshlrev_b32_e32 v27, 20, v63
	v_lshl_add_u32 v25, v25, 23, 0x3c000000
	v_and_b32_e32 v26, 0x80000000, v26
	v_or3_b32 v26, v27, v26, v25
	v_mov_b32_e32 v25, v64
.LBB223_328:                            ;   in Loop: Header=BB223_10 Depth=1
	s_or_b32 exec_lo, exec_lo, s41
.LBB223_329:                            ;   in Loop: Header=BB223_10 Depth=1
	s_or_b32 exec_lo, exec_lo, s40
.LBB223_330:                            ;   in Loop: Header=BB223_10 Depth=1
	s_or_b32 exec_lo, exec_lo, s3
	global_load_ushort v27, v[81:82], off offset:1280
	v_mov_b32_e32 v29, 0
	v_mov_b32_e32 v30, 0
	s_waitcnt vmcnt(0)
	v_and_b32_e32 v31, 0xffff, v27
	v_cmp_ne_u16_sdwa s2, v27, v64 src0_sel:BYTE_0 src1_sel:DWORD
	v_mov_b32_e32 v27, 0
	v_mov_b32_e32 v28, 0
	s_and_saveexec_b32 s3, s2
	s_cbranch_execz .LBB223_338
; %bb.331:                              ;   in Loop: Header=BB223_10 Depth=1
	v_bfrev_b32_e32 v27, 1
	v_mov_b32_e32 v28, 0
	v_cmp_ne_u16_sdwa s2, v31, v77 src0_sel:BYTE_0 src1_sel:DWORD
	s_and_saveexec_b32 s40, s2
	s_cbranch_execz .LBB223_337
; %bb.332:                              ;   in Loop: Header=BB223_10 Depth=1
	v_mov_b32_e32 v27, 0x7f800001
	v_and_b32_e32 v32, 0x7f, v31
	v_mov_b32_e32 v28, 0
	s_mov_b32 s41, exec_lo
	v_cmpx_ne_u32_e32 0x7f, v32
	s_cbranch_execz .LBB223_336
; %bb.333:                              ;   in Loop: Header=BB223_10 Depth=1
	v_and_b32_e32 v63, 7, v31
	v_lshrrev_b32_e32 v27, 3, v32
	s_mov_b32 s42, exec_lo
	v_cmpx_gt_u32_e32 8, v32
; %bb.334:                              ;   in Loop: Header=BB223_10 Depth=1
	v_ffbh_u32_e32 v27, v63
	v_min_u32_e32 v27, 32, v27
	v_subrev_nc_u32_e32 v28, 28, v27
	v_sub_nc_u32_e32 v27, 29, v27
	v_lshlrev_b64 v[32:33], v28, v[63:64]
	v_and_b32_e32 v63, 7, v32
; %bb.335:                              ;   in Loop: Header=BB223_10 Depth=1
	s_or_b32 exec_lo, exec_lo, s42
	v_lshlrev_b32_e32 v28, 24, v31
	v_lshlrev_b32_e32 v32, 20, v63
	v_lshl_add_u32 v27, v27, 23, 0x3c000000
	v_and_b32_e32 v28, 0x80000000, v28
	v_or3_b32 v63, v32, v28, v27
	v_mov_b32_e32 v27, v63
	v_mov_b32_e32 v28, v64
.LBB223_336:                            ;   in Loop: Header=BB223_10 Depth=1
	s_or_b32 exec_lo, exec_lo, s41
.LBB223_337:                            ;   in Loop: Header=BB223_10 Depth=1
	s_or_b32 exec_lo, exec_lo, s40
.LBB223_338:                            ;   in Loop: Header=BB223_10 Depth=1
	s_or_b32 exec_lo, exec_lo, s3
	v_cmp_ne_u16_sdwa s2, v31, v64 src0_sel:BYTE_1 src1_sel:DWORD
	s_and_saveexec_b32 s3, s2
	s_cbranch_execz .LBB223_346
; %bb.339:                              ;   in Loop: Header=BB223_10 Depth=1
	v_mov_b32_e32 v57, v64
	v_cmp_ne_u16_sdwa s2, v31, v77 src0_sel:BYTE_1 src1_sel:DWORD
	v_mov_b32_e32 v29, v57
	v_mov_b32_e32 v30, v58
	s_and_saveexec_b32 s40, s2
	s_cbranch_execz .LBB223_345
; %bb.340:                              ;   in Loop: Header=BB223_10 Depth=1
	v_mov_b32_e32 v29, 0xffff
	v_mov_b32_e32 v53, v64
	s_mov_b32 s41, exec_lo
	v_and_b32_sdwa v33, v29, v31 dst_sel:DWORD dst_unused:UNUSED_PAD src0_sel:DWORD src1_sel:BYTE_1
	v_mov_b32_e32 v29, v53
	v_mov_b32_e32 v30, v54
	v_and_b32_e32 v32, 0x7f, v33
	v_cmpx_ne_u32_e32 0x7f, v32
	s_cbranch_execz .LBB223_344
; %bb.341:                              ;   in Loop: Header=BB223_10 Depth=1
	v_and_b32_e32 v63, 7, v33
	v_lshrrev_b32_e32 v29, 3, v32
	s_mov_b32 s42, exec_lo
	v_cmpx_gt_u32_e32 8, v32
; %bb.342:                              ;   in Loop: Header=BB223_10 Depth=1
	v_ffbh_u32_e32 v29, v63
	v_min_u32_e32 v29, 32, v29
	v_subrev_nc_u32_e32 v30, 28, v29
	v_sub_nc_u32_e32 v29, 29, v29
	v_lshlrev_b64 v[32:33], v30, v[63:64]
	v_and_b32_e32 v63, 7, v32
; %bb.343:                              ;   in Loop: Header=BB223_10 Depth=1
	s_or_b32 exec_lo, exec_lo, s42
	v_lshlrev_b32_e32 v30, 16, v31
	v_lshlrev_b32_e32 v31, 20, v63
	v_lshl_add_u32 v29, v29, 23, 0x3c000000
	v_and_b32_e32 v30, 0x80000000, v30
	v_or3_b32 v30, v31, v30, v29
	v_mov_b32_e32 v29, v64
.LBB223_344:                            ;   in Loop: Header=BB223_10 Depth=1
	s_or_b32 exec_lo, exec_lo, s41
.LBB223_345:                            ;   in Loop: Header=BB223_10 Depth=1
	s_or_b32 exec_lo, exec_lo, s40
.LBB223_346:                            ;   in Loop: Header=BB223_10 Depth=1
	s_or_b32 exec_lo, exec_lo, s3
	global_load_ushort v31, v[81:82], off offset:1284
	v_mov_b32_e32 v33, 0
	v_mov_b32_e32 v34, 0
	s_waitcnt vmcnt(0)
	v_and_b32_e32 v35, 0xffff, v31
	v_cmp_ne_u16_sdwa s2, v31, v64 src0_sel:BYTE_0 src1_sel:DWORD
	v_mov_b32_e32 v31, 0
	v_mov_b32_e32 v32, 0
	s_and_saveexec_b32 s3, s2
	s_cbranch_execz .LBB223_354
; %bb.347:                              ;   in Loop: Header=BB223_10 Depth=1
	v_bfrev_b32_e32 v31, 1
	v_mov_b32_e32 v32, 0
	v_cmp_ne_u16_sdwa s2, v35, v77 src0_sel:BYTE_0 src1_sel:DWORD
	s_and_saveexec_b32 s40, s2
	s_cbranch_execz .LBB223_353
; %bb.348:                              ;   in Loop: Header=BB223_10 Depth=1
	v_mov_b32_e32 v31, 0x7f800001
	v_and_b32_e32 v36, 0x7f, v35
	v_mov_b32_e32 v32, 0
	s_mov_b32 s41, exec_lo
	v_cmpx_ne_u32_e32 0x7f, v36
	s_cbranch_execz .LBB223_352
; %bb.349:                              ;   in Loop: Header=BB223_10 Depth=1
	v_and_b32_e32 v63, 7, v35
	v_lshrrev_b32_e32 v31, 3, v36
	s_mov_b32 s42, exec_lo
	v_cmpx_gt_u32_e32 8, v36
; %bb.350:                              ;   in Loop: Header=BB223_10 Depth=1
	v_ffbh_u32_e32 v31, v63
	v_min_u32_e32 v31, 32, v31
	v_subrev_nc_u32_e32 v32, 28, v31
	v_sub_nc_u32_e32 v31, 29, v31
	v_lshlrev_b64 v[36:37], v32, v[63:64]
	v_and_b32_e32 v63, 7, v36
; %bb.351:                              ;   in Loop: Header=BB223_10 Depth=1
	s_or_b32 exec_lo, exec_lo, s42
	v_lshlrev_b32_e32 v32, 24, v35
	v_lshlrev_b32_e32 v36, 20, v63
	v_lshl_add_u32 v31, v31, 23, 0x3c000000
	v_and_b32_e32 v32, 0x80000000, v32
	v_or3_b32 v63, v36, v32, v31
	v_mov_b32_e32 v31, v63
	v_mov_b32_e32 v32, v64
.LBB223_352:                            ;   in Loop: Header=BB223_10 Depth=1
	s_or_b32 exec_lo, exec_lo, s41
.LBB223_353:                            ;   in Loop: Header=BB223_10 Depth=1
	s_or_b32 exec_lo, exec_lo, s40
.LBB223_354:                            ;   in Loop: Header=BB223_10 Depth=1
	s_or_b32 exec_lo, exec_lo, s3
	v_cmp_ne_u16_sdwa s2, v35, v64 src0_sel:BYTE_1 src1_sel:DWORD
	s_and_saveexec_b32 s3, s2
	s_cbranch_execz .LBB223_362
; %bb.355:                              ;   in Loop: Header=BB223_10 Depth=1
	v_mov_b32_e32 v57, v64
	v_cmp_ne_u16_sdwa s2, v35, v77 src0_sel:BYTE_1 src1_sel:DWORD
	v_mov_b32_e32 v33, v57
	v_mov_b32_e32 v34, v58
	s_and_saveexec_b32 s40, s2
	s_cbranch_execz .LBB223_361
; %bb.356:                              ;   in Loop: Header=BB223_10 Depth=1
	v_mov_b32_e32 v33, 0xffff
	v_mov_b32_e32 v53, v64
	s_mov_b32 s41, exec_lo
	v_and_b32_sdwa v37, v33, v35 dst_sel:DWORD dst_unused:UNUSED_PAD src0_sel:DWORD src1_sel:BYTE_1
	v_mov_b32_e32 v33, v53
	v_mov_b32_e32 v34, v54
	v_and_b32_e32 v36, 0x7f, v37
	v_cmpx_ne_u32_e32 0x7f, v36
	s_cbranch_execz .LBB223_360
; %bb.357:                              ;   in Loop: Header=BB223_10 Depth=1
	v_and_b32_e32 v63, 7, v37
	v_lshrrev_b32_e32 v33, 3, v36
	s_mov_b32 s42, exec_lo
	v_cmpx_gt_u32_e32 8, v36
; %bb.358:                              ;   in Loop: Header=BB223_10 Depth=1
	v_ffbh_u32_e32 v33, v63
	v_min_u32_e32 v33, 32, v33
	v_subrev_nc_u32_e32 v34, 28, v33
	v_sub_nc_u32_e32 v33, 29, v33
	v_lshlrev_b64 v[36:37], v34, v[63:64]
	v_and_b32_e32 v63, 7, v36
; %bb.359:                              ;   in Loop: Header=BB223_10 Depth=1
	s_or_b32 exec_lo, exec_lo, s42
	v_lshlrev_b32_e32 v34, 16, v35
	v_lshlrev_b32_e32 v35, 20, v63
	v_lshl_add_u32 v33, v33, 23, 0x3c000000
	v_and_b32_e32 v34, 0x80000000, v34
	v_or3_b32 v34, v35, v34, v33
	v_mov_b32_e32 v33, v64
.LBB223_360:                            ;   in Loop: Header=BB223_10 Depth=1
	s_or_b32 exec_lo, exec_lo, s41
.LBB223_361:                            ;   in Loop: Header=BB223_10 Depth=1
	s_or_b32 exec_lo, exec_lo, s40
.LBB223_362:                            ;   in Loop: Header=BB223_10 Depth=1
	s_or_b32 exec_lo, exec_lo, s3
	global_load_ushort v35, v[81:82], off offset:1288
	v_mov_b32_e32 v37, 0
	v_mov_b32_e32 v38, 0
	s_waitcnt vmcnt(0)
	v_and_b32_e32 v39, 0xffff, v35
	v_cmp_ne_u16_sdwa s2, v35, v64 src0_sel:BYTE_0 src1_sel:DWORD
	v_mov_b32_e32 v35, 0
	v_mov_b32_e32 v36, 0
	s_and_saveexec_b32 s3, s2
	s_cbranch_execz .LBB223_370
; %bb.363:                              ;   in Loop: Header=BB223_10 Depth=1
	v_bfrev_b32_e32 v35, 1
	v_mov_b32_e32 v36, 0
	v_cmp_ne_u16_sdwa s2, v39, v77 src0_sel:BYTE_0 src1_sel:DWORD
	s_and_saveexec_b32 s40, s2
	s_cbranch_execz .LBB223_369
; %bb.364:                              ;   in Loop: Header=BB223_10 Depth=1
	v_mov_b32_e32 v35, 0x7f800001
	v_and_b32_e32 v40, 0x7f, v39
	v_mov_b32_e32 v36, 0
	s_mov_b32 s41, exec_lo
	v_cmpx_ne_u32_e32 0x7f, v40
	s_cbranch_execz .LBB223_368
; %bb.365:                              ;   in Loop: Header=BB223_10 Depth=1
	v_and_b32_e32 v63, 7, v39
	v_lshrrev_b32_e32 v35, 3, v40
	s_mov_b32 s42, exec_lo
	v_cmpx_gt_u32_e32 8, v40
; %bb.366:                              ;   in Loop: Header=BB223_10 Depth=1
	v_ffbh_u32_e32 v35, v63
	v_min_u32_e32 v35, 32, v35
	v_subrev_nc_u32_e32 v36, 28, v35
	v_sub_nc_u32_e32 v35, 29, v35
	v_lshlrev_b64 v[40:41], v36, v[63:64]
	v_and_b32_e32 v63, 7, v40
; %bb.367:                              ;   in Loop: Header=BB223_10 Depth=1
	s_or_b32 exec_lo, exec_lo, s42
	v_lshlrev_b32_e32 v36, 24, v39
	v_lshlrev_b32_e32 v40, 20, v63
	v_lshl_add_u32 v35, v35, 23, 0x3c000000
	v_and_b32_e32 v36, 0x80000000, v36
	v_or3_b32 v63, v40, v36, v35
	v_mov_b32_e32 v35, v63
	v_mov_b32_e32 v36, v64
.LBB223_368:                            ;   in Loop: Header=BB223_10 Depth=1
	s_or_b32 exec_lo, exec_lo, s41
.LBB223_369:                            ;   in Loop: Header=BB223_10 Depth=1
	s_or_b32 exec_lo, exec_lo, s40
.LBB223_370:                            ;   in Loop: Header=BB223_10 Depth=1
	s_or_b32 exec_lo, exec_lo, s3
	v_cmp_ne_u16_sdwa s2, v39, v64 src0_sel:BYTE_1 src1_sel:DWORD
	s_and_saveexec_b32 s3, s2
	s_cbranch_execz .LBB223_378
; %bb.371:                              ;   in Loop: Header=BB223_10 Depth=1
	v_mov_b32_e32 v57, v64
	v_cmp_ne_u16_sdwa s2, v39, v77 src0_sel:BYTE_1 src1_sel:DWORD
	v_mov_b32_e32 v37, v57
	v_mov_b32_e32 v38, v58
	s_and_saveexec_b32 s40, s2
	s_cbranch_execz .LBB223_377
; %bb.372:                              ;   in Loop: Header=BB223_10 Depth=1
	v_mov_b32_e32 v37, 0xffff
	v_mov_b32_e32 v53, v64
	s_mov_b32 s41, exec_lo
	v_and_b32_sdwa v41, v37, v39 dst_sel:DWORD dst_unused:UNUSED_PAD src0_sel:DWORD src1_sel:BYTE_1
	v_mov_b32_e32 v37, v53
	v_mov_b32_e32 v38, v54
	v_and_b32_e32 v40, 0x7f, v41
	v_cmpx_ne_u32_e32 0x7f, v40
	s_cbranch_execz .LBB223_376
; %bb.373:                              ;   in Loop: Header=BB223_10 Depth=1
	v_and_b32_e32 v63, 7, v41
	v_lshrrev_b32_e32 v37, 3, v40
	s_mov_b32 s42, exec_lo
	v_cmpx_gt_u32_e32 8, v40
; %bb.374:                              ;   in Loop: Header=BB223_10 Depth=1
	v_ffbh_u32_e32 v37, v63
	v_min_u32_e32 v37, 32, v37
	v_subrev_nc_u32_e32 v38, 28, v37
	v_sub_nc_u32_e32 v37, 29, v37
	v_lshlrev_b64 v[40:41], v38, v[63:64]
	v_and_b32_e32 v63, 7, v40
; %bb.375:                              ;   in Loop: Header=BB223_10 Depth=1
	s_or_b32 exec_lo, exec_lo, s42
	v_lshlrev_b32_e32 v38, 16, v39
	v_lshlrev_b32_e32 v39, 20, v63
	v_lshl_add_u32 v37, v37, 23, 0x3c000000
	v_and_b32_e32 v38, 0x80000000, v38
	v_or3_b32 v38, v39, v38, v37
	v_mov_b32_e32 v37, v64
.LBB223_376:                            ;   in Loop: Header=BB223_10 Depth=1
	s_or_b32 exec_lo, exec_lo, s41
.LBB223_377:                            ;   in Loop: Header=BB223_10 Depth=1
	s_or_b32 exec_lo, exec_lo, s40
.LBB223_378:                            ;   in Loop: Header=BB223_10 Depth=1
	s_or_b32 exec_lo, exec_lo, s3
	global_load_ushort v39, v[81:82], off offset:1292
	v_mov_b32_e32 v41, 0
	v_mov_b32_e32 v42, 0
	s_waitcnt vmcnt(0)
	v_and_b32_e32 v43, 0xffff, v39
	v_cmp_ne_u16_sdwa s2, v39, v64 src0_sel:BYTE_0 src1_sel:DWORD
	v_mov_b32_e32 v39, 0
	v_mov_b32_e32 v40, 0
	s_and_saveexec_b32 s3, s2
	s_cbranch_execz .LBB223_386
; %bb.379:                              ;   in Loop: Header=BB223_10 Depth=1
	v_bfrev_b32_e32 v39, 1
	v_mov_b32_e32 v40, 0
	v_cmp_ne_u16_sdwa s2, v43, v77 src0_sel:BYTE_0 src1_sel:DWORD
	s_and_saveexec_b32 s40, s2
	s_cbranch_execz .LBB223_385
; %bb.380:                              ;   in Loop: Header=BB223_10 Depth=1
	v_mov_b32_e32 v39, 0x7f800001
	v_and_b32_e32 v44, 0x7f, v43
	v_mov_b32_e32 v40, 0
	s_mov_b32 s41, exec_lo
	v_cmpx_ne_u32_e32 0x7f, v44
	s_cbranch_execz .LBB223_384
; %bb.381:                              ;   in Loop: Header=BB223_10 Depth=1
	v_and_b32_e32 v63, 7, v43
	v_lshrrev_b32_e32 v39, 3, v44
	s_mov_b32 s42, exec_lo
	v_cmpx_gt_u32_e32 8, v44
; %bb.382:                              ;   in Loop: Header=BB223_10 Depth=1
	v_ffbh_u32_e32 v39, v63
	v_min_u32_e32 v39, 32, v39
	v_subrev_nc_u32_e32 v40, 28, v39
	v_sub_nc_u32_e32 v39, 29, v39
	v_lshlrev_b64 v[44:45], v40, v[63:64]
	v_and_b32_e32 v63, 7, v44
; %bb.383:                              ;   in Loop: Header=BB223_10 Depth=1
	s_or_b32 exec_lo, exec_lo, s42
	v_lshlrev_b32_e32 v40, 24, v43
	v_lshlrev_b32_e32 v44, 20, v63
	v_lshl_add_u32 v39, v39, 23, 0x3c000000
	v_and_b32_e32 v40, 0x80000000, v40
	v_or3_b32 v63, v44, v40, v39
	v_mov_b32_e32 v39, v63
	v_mov_b32_e32 v40, v64
.LBB223_384:                            ;   in Loop: Header=BB223_10 Depth=1
	s_or_b32 exec_lo, exec_lo, s41
.LBB223_385:                            ;   in Loop: Header=BB223_10 Depth=1
	s_or_b32 exec_lo, exec_lo, s40
.LBB223_386:                            ;   in Loop: Header=BB223_10 Depth=1
	s_or_b32 exec_lo, exec_lo, s3
	v_cmp_ne_u16_sdwa s2, v43, v64 src0_sel:BYTE_1 src1_sel:DWORD
	s_and_saveexec_b32 s3, s2
	s_cbranch_execz .LBB223_394
; %bb.387:                              ;   in Loop: Header=BB223_10 Depth=1
	v_mov_b32_e32 v57, v64
	v_cmp_ne_u16_sdwa s2, v43, v77 src0_sel:BYTE_1 src1_sel:DWORD
	v_mov_b32_e32 v41, v57
	v_mov_b32_e32 v42, v58
	s_and_saveexec_b32 s40, s2
	s_cbranch_execz .LBB223_393
; %bb.388:                              ;   in Loop: Header=BB223_10 Depth=1
	v_mov_b32_e32 v41, 0xffff
	v_mov_b32_e32 v53, v64
	s_mov_b32 s41, exec_lo
	v_and_b32_sdwa v45, v41, v43 dst_sel:DWORD dst_unused:UNUSED_PAD src0_sel:DWORD src1_sel:BYTE_1
	v_mov_b32_e32 v41, v53
	v_mov_b32_e32 v42, v54
	v_and_b32_e32 v44, 0x7f, v45
	v_cmpx_ne_u32_e32 0x7f, v44
	s_cbranch_execz .LBB223_392
; %bb.389:                              ;   in Loop: Header=BB223_10 Depth=1
	v_and_b32_e32 v63, 7, v45
	v_lshrrev_b32_e32 v41, 3, v44
	s_mov_b32 s42, exec_lo
	v_cmpx_gt_u32_e32 8, v44
; %bb.390:                              ;   in Loop: Header=BB223_10 Depth=1
	v_ffbh_u32_e32 v41, v63
	v_min_u32_e32 v41, 32, v41
	v_subrev_nc_u32_e32 v42, 28, v41
	v_sub_nc_u32_e32 v41, 29, v41
	v_lshlrev_b64 v[44:45], v42, v[63:64]
	v_and_b32_e32 v63, 7, v44
; %bb.391:                              ;   in Loop: Header=BB223_10 Depth=1
	s_or_b32 exec_lo, exec_lo, s42
	v_lshlrev_b32_e32 v42, 16, v43
	v_lshlrev_b32_e32 v43, 20, v63
	v_lshl_add_u32 v41, v41, 23, 0x3c000000
	v_and_b32_e32 v42, 0x80000000, v42
	v_or3_b32 v42, v43, v42, v41
	v_mov_b32_e32 v41, v64
.LBB223_392:                            ;   in Loop: Header=BB223_10 Depth=1
	s_or_b32 exec_lo, exec_lo, s41
.LBB223_393:                            ;   in Loop: Header=BB223_10 Depth=1
	s_or_b32 exec_lo, exec_lo, s40
.LBB223_394:                            ;   in Loop: Header=BB223_10 Depth=1
	s_or_b32 exec_lo, exec_lo, s3
	global_load_ushort v43, v[81:82], off offset:1536
	v_mov_b32_e32 v45, 0
	v_mov_b32_e32 v46, 0
	s_waitcnt vmcnt(0)
	v_and_b32_e32 v47, 0xffff, v43
	v_cmp_ne_u16_sdwa s2, v43, v64 src0_sel:BYTE_0 src1_sel:DWORD
	v_mov_b32_e32 v43, 0
	v_mov_b32_e32 v44, 0
	s_and_saveexec_b32 s3, s2
	s_cbranch_execz .LBB223_402
; %bb.395:                              ;   in Loop: Header=BB223_10 Depth=1
	v_bfrev_b32_e32 v43, 1
	v_mov_b32_e32 v44, 0
	v_cmp_ne_u16_sdwa s2, v47, v77 src0_sel:BYTE_0 src1_sel:DWORD
	s_and_saveexec_b32 s40, s2
	s_cbranch_execz .LBB223_401
; %bb.396:                              ;   in Loop: Header=BB223_10 Depth=1
	v_mov_b32_e32 v43, 0x7f800001
	v_and_b32_e32 v48, 0x7f, v47
	v_mov_b32_e32 v44, 0
	s_mov_b32 s41, exec_lo
	v_cmpx_ne_u32_e32 0x7f, v48
	s_cbranch_execz .LBB223_400
; %bb.397:                              ;   in Loop: Header=BB223_10 Depth=1
	v_and_b32_e32 v63, 7, v47
	v_lshrrev_b32_e32 v43, 3, v48
	s_mov_b32 s42, exec_lo
	v_cmpx_gt_u32_e32 8, v48
; %bb.398:                              ;   in Loop: Header=BB223_10 Depth=1
	v_ffbh_u32_e32 v43, v63
	v_min_u32_e32 v43, 32, v43
	v_subrev_nc_u32_e32 v44, 28, v43
	v_sub_nc_u32_e32 v43, 29, v43
	v_lshlrev_b64 v[48:49], v44, v[63:64]
	v_and_b32_e32 v63, 7, v48
; %bb.399:                              ;   in Loop: Header=BB223_10 Depth=1
	s_or_b32 exec_lo, exec_lo, s42
	v_lshlrev_b32_e32 v44, 24, v47
	v_lshlrev_b32_e32 v48, 20, v63
	v_lshl_add_u32 v43, v43, 23, 0x3c000000
	v_and_b32_e32 v44, 0x80000000, v44
	v_or3_b32 v63, v48, v44, v43
	v_mov_b32_e32 v43, v63
	v_mov_b32_e32 v44, v64
.LBB223_400:                            ;   in Loop: Header=BB223_10 Depth=1
	s_or_b32 exec_lo, exec_lo, s41
.LBB223_401:                            ;   in Loop: Header=BB223_10 Depth=1
	s_or_b32 exec_lo, exec_lo, s40
.LBB223_402:                            ;   in Loop: Header=BB223_10 Depth=1
	s_or_b32 exec_lo, exec_lo, s3
	v_cmp_ne_u16_sdwa s2, v47, v64 src0_sel:BYTE_1 src1_sel:DWORD
	s_and_saveexec_b32 s3, s2
	s_cbranch_execz .LBB223_410
; %bb.403:                              ;   in Loop: Header=BB223_10 Depth=1
	v_mov_b32_e32 v57, v64
	v_cmp_ne_u16_sdwa s2, v47, v77 src0_sel:BYTE_1 src1_sel:DWORD
	v_mov_b32_e32 v45, v57
	v_mov_b32_e32 v46, v58
	s_and_saveexec_b32 s40, s2
	s_cbranch_execz .LBB223_409
; %bb.404:                              ;   in Loop: Header=BB223_10 Depth=1
	v_mov_b32_e32 v45, 0xffff
	v_mov_b32_e32 v53, v64
	s_mov_b32 s41, exec_lo
	v_and_b32_sdwa v49, v45, v47 dst_sel:DWORD dst_unused:UNUSED_PAD src0_sel:DWORD src1_sel:BYTE_1
	v_mov_b32_e32 v45, v53
	v_mov_b32_e32 v46, v54
	v_and_b32_e32 v48, 0x7f, v49
	v_cmpx_ne_u32_e32 0x7f, v48
	s_cbranch_execz .LBB223_408
; %bb.405:                              ;   in Loop: Header=BB223_10 Depth=1
	v_and_b32_e32 v63, 7, v49
	v_lshrrev_b32_e32 v45, 3, v48
	s_mov_b32 s42, exec_lo
	v_cmpx_gt_u32_e32 8, v48
; %bb.406:                              ;   in Loop: Header=BB223_10 Depth=1
	v_ffbh_u32_e32 v45, v63
	v_min_u32_e32 v45, 32, v45
	v_subrev_nc_u32_e32 v46, 28, v45
	v_sub_nc_u32_e32 v45, 29, v45
	v_lshlrev_b64 v[48:49], v46, v[63:64]
	v_and_b32_e32 v63, 7, v48
; %bb.407:                              ;   in Loop: Header=BB223_10 Depth=1
	s_or_b32 exec_lo, exec_lo, s42
	v_lshlrev_b32_e32 v46, 16, v47
	v_lshlrev_b32_e32 v47, 20, v63
	v_lshl_add_u32 v45, v45, 23, 0x3c000000
	v_and_b32_e32 v46, 0x80000000, v46
	v_or3_b32 v46, v47, v46, v45
	v_mov_b32_e32 v45, v64
.LBB223_408:                            ;   in Loop: Header=BB223_10 Depth=1
	s_or_b32 exec_lo, exec_lo, s41
.LBB223_409:                            ;   in Loop: Header=BB223_10 Depth=1
	s_or_b32 exec_lo, exec_lo, s40
.LBB223_410:                            ;   in Loop: Header=BB223_10 Depth=1
	s_or_b32 exec_lo, exec_lo, s3
	global_load_ushort v47, v[81:82], off offset:1540
	v_mov_b32_e32 v49, 0
	v_mov_b32_e32 v50, 0
	s_waitcnt vmcnt(0)
	v_and_b32_e32 v51, 0xffff, v47
	v_cmp_ne_u16_sdwa s2, v47, v64 src0_sel:BYTE_0 src1_sel:DWORD
	v_mov_b32_e32 v47, 0
	v_mov_b32_e32 v48, 0
	s_and_saveexec_b32 s3, s2
	s_cbranch_execz .LBB223_418
; %bb.411:                              ;   in Loop: Header=BB223_10 Depth=1
	v_bfrev_b32_e32 v47, 1
	v_mov_b32_e32 v48, 0
	v_cmp_ne_u16_sdwa s2, v51, v77 src0_sel:BYTE_0 src1_sel:DWORD
	s_and_saveexec_b32 s40, s2
	s_cbranch_execz .LBB223_417
; %bb.412:                              ;   in Loop: Header=BB223_10 Depth=1
	v_mov_b32_e32 v47, 0x7f800001
	v_and_b32_e32 v52, 0x7f, v51
	v_mov_b32_e32 v48, 0
	s_mov_b32 s41, exec_lo
	v_cmpx_ne_u32_e32 0x7f, v52
	s_cbranch_execz .LBB223_416
; %bb.413:                              ;   in Loop: Header=BB223_10 Depth=1
	v_and_b32_e32 v63, 7, v51
	v_lshrrev_b32_e32 v47, 3, v52
	s_mov_b32 s42, exec_lo
	v_cmpx_gt_u32_e32 8, v52
; %bb.414:                              ;   in Loop: Header=BB223_10 Depth=1
	v_ffbh_u32_e32 v47, v63
	v_min_u32_e32 v47, 32, v47
	v_subrev_nc_u32_e32 v48, 28, v47
	v_sub_nc_u32_e32 v47, 29, v47
	v_lshlrev_b64 v[52:53], v48, v[63:64]
	v_and_b32_e32 v63, 7, v52
; %bb.415:                              ;   in Loop: Header=BB223_10 Depth=1
	s_or_b32 exec_lo, exec_lo, s42
	v_lshlrev_b32_e32 v48, 24, v51
	v_lshlrev_b32_e32 v52, 20, v63
	v_lshl_add_u32 v47, v47, 23, 0x3c000000
	v_and_b32_e32 v48, 0x80000000, v48
	v_or3_b32 v63, v52, v48, v47
	v_mov_b32_e32 v47, v63
	v_mov_b32_e32 v48, v64
.LBB223_416:                            ;   in Loop: Header=BB223_10 Depth=1
	s_or_b32 exec_lo, exec_lo, s41
.LBB223_417:                            ;   in Loop: Header=BB223_10 Depth=1
	s_or_b32 exec_lo, exec_lo, s40
.LBB223_418:                            ;   in Loop: Header=BB223_10 Depth=1
	s_or_b32 exec_lo, exec_lo, s3
	v_cmp_ne_u16_sdwa s2, v51, v64 src0_sel:BYTE_1 src1_sel:DWORD
	s_and_saveexec_b32 s3, s2
	s_cbranch_execz .LBB223_426
; %bb.419:                              ;   in Loop: Header=BB223_10 Depth=1
	v_mov_b32_e32 v57, v64
	v_cmp_ne_u16_sdwa s2, v51, v77 src0_sel:BYTE_1 src1_sel:DWORD
	v_mov_b32_e32 v49, v57
	v_mov_b32_e32 v50, v58
	s_and_saveexec_b32 s40, s2
	s_cbranch_execz .LBB223_425
; %bb.420:                              ;   in Loop: Header=BB223_10 Depth=1
	v_mov_b32_e32 v49, 0xffff
	v_mov_b32_e32 v53, v64
	s_mov_b32 s41, exec_lo
	v_and_b32_sdwa v55, v49, v51 dst_sel:DWORD dst_unused:UNUSED_PAD src0_sel:DWORD src1_sel:BYTE_1
	v_mov_b32_e32 v49, v53
	v_mov_b32_e32 v50, v54
	v_and_b32_e32 v52, 0x7f, v55
	v_cmpx_ne_u32_e32 0x7f, v52
	s_cbranch_execz .LBB223_424
; %bb.421:                              ;   in Loop: Header=BB223_10 Depth=1
	v_and_b32_e32 v63, 7, v55
	v_lshrrev_b32_e32 v49, 3, v52
	s_mov_b32 s42, exec_lo
	v_cmpx_gt_u32_e32 8, v52
; %bb.422:                              ;   in Loop: Header=BB223_10 Depth=1
	v_ffbh_u32_e32 v49, v63
	v_min_u32_e32 v49, 32, v49
	v_subrev_nc_u32_e32 v50, 28, v49
	v_sub_nc_u32_e32 v49, 29, v49
	v_lshlrev_b64 v[52:53], v50, v[63:64]
	v_and_b32_e32 v63, 7, v52
; %bb.423:                              ;   in Loop: Header=BB223_10 Depth=1
	s_or_b32 exec_lo, exec_lo, s42
	v_lshlrev_b32_e32 v50, 16, v51
	v_lshlrev_b32_e32 v51, 20, v63
	v_lshl_add_u32 v49, v49, 23, 0x3c000000
	v_and_b32_e32 v50, 0x80000000, v50
	v_or3_b32 v50, v51, v50, v49
	v_mov_b32_e32 v49, v64
.LBB223_424:                            ;   in Loop: Header=BB223_10 Depth=1
	s_or_b32 exec_lo, exec_lo, s41
.LBB223_425:                            ;   in Loop: Header=BB223_10 Depth=1
	s_or_b32 exec_lo, exec_lo, s40
.LBB223_426:                            ;   in Loop: Header=BB223_10 Depth=1
	s_or_b32 exec_lo, exec_lo, s3
	global_load_ushort v51, v[81:82], off offset:1544
	v_mov_b32_e32 v71, 0
	v_mov_b32_e32 v72, 0
	s_waitcnt vmcnt(0)
	v_and_b32_e32 v55, 0xffff, v51
	v_cmp_ne_u16_sdwa s2, v51, v64 src0_sel:BYTE_0 src1_sel:DWORD
	v_mov_b32_e32 v51, 0
	v_mov_b32_e32 v52, 0
	s_and_saveexec_b32 s3, s2
	s_cbranch_execz .LBB223_434
; %bb.427:                              ;   in Loop: Header=BB223_10 Depth=1
	v_bfrev_b32_e32 v51, 1
	v_mov_b32_e32 v52, 0
	v_cmp_ne_u16_sdwa s2, v55, v77 src0_sel:BYTE_0 src1_sel:DWORD
	s_and_saveexec_b32 s40, s2
	s_cbranch_execz .LBB223_433
; %bb.428:                              ;   in Loop: Header=BB223_10 Depth=1
	v_mov_b32_e32 v51, 0x7f800001
	v_and_b32_e32 v53, 0x7f, v55
	v_mov_b32_e32 v52, 0
	s_mov_b32 s41, exec_lo
	v_cmpx_ne_u32_e32 0x7f, v53
	s_cbranch_execz .LBB223_432
; %bb.429:                              ;   in Loop: Header=BB223_10 Depth=1
	v_and_b32_e32 v63, 7, v55
	v_lshrrev_b32_e32 v51, 3, v53
	s_mov_b32 s42, exec_lo
	v_cmpx_gt_u32_e32 8, v53
; %bb.430:                              ;   in Loop: Header=BB223_10 Depth=1
	v_ffbh_u32_e32 v51, v63
	v_min_u32_e32 v51, 32, v51
	v_subrev_nc_u32_e32 v52, 28, v51
	v_sub_nc_u32_e32 v51, 29, v51
	v_lshlrev_b64 v[52:53], v52, v[63:64]
	v_and_b32_e32 v63, 7, v52
; %bb.431:                              ;   in Loop: Header=BB223_10 Depth=1
	s_or_b32 exec_lo, exec_lo, s42
	v_lshlrev_b32_e32 v52, 24, v55
	v_lshlrev_b32_e32 v53, 20, v63
	v_lshl_add_u32 v51, v51, 23, 0x3c000000
	v_and_b32_e32 v52, 0x80000000, v52
	v_or3_b32 v63, v53, v52, v51
	v_mov_b32_e32 v51, v63
	v_mov_b32_e32 v52, v64
.LBB223_432:                            ;   in Loop: Header=BB223_10 Depth=1
	s_or_b32 exec_lo, exec_lo, s41
.LBB223_433:                            ;   in Loop: Header=BB223_10 Depth=1
	s_or_b32 exec_lo, exec_lo, s40
.LBB223_434:                            ;   in Loop: Header=BB223_10 Depth=1
	s_or_b32 exec_lo, exec_lo, s3
	v_cmp_ne_u16_sdwa s2, v55, v64 src0_sel:BYTE_1 src1_sel:DWORD
	s_and_saveexec_b32 s3, s2
	s_cbranch_execz .LBB223_442
; %bb.435:                              ;   in Loop: Header=BB223_10 Depth=1
	v_mov_b32_e32 v57, v64
	v_mov_b32_e32 v72, v58
	v_cmp_ne_u16_sdwa s2, v55, v77 src0_sel:BYTE_1 src1_sel:DWORD
	v_mov_b32_e32 v71, v57
	s_and_saveexec_b32 s40, s2
	s_cbranch_execz .LBB223_441
; %bb.436:                              ;   in Loop: Header=BB223_10 Depth=1
	v_mov_b32_e32 v53, 0xffff
	s_mov_b32 s41, exec_lo
	v_and_b32_sdwa v57, v53, v55 dst_sel:DWORD dst_unused:UNUSED_PAD src0_sel:DWORD src1_sel:BYTE_1
	v_mov_b32_e32 v53, v64
	v_mov_b32_e32 v72, v54
	v_and_b32_e32 v56, 0x7f, v57
	v_mov_b32_e32 v71, v53
	v_cmpx_ne_u32_e32 0x7f, v56
	s_cbranch_execz .LBB223_440
; %bb.437:                              ;   in Loop: Header=BB223_10 Depth=1
	v_and_b32_e32 v63, 7, v57
	v_lshrrev_b32_e32 v53, 3, v56
	s_mov_b32 s42, exec_lo
	v_cmpx_gt_u32_e32 8, v56
; %bb.438:                              ;   in Loop: Header=BB223_10 Depth=1
	v_ffbh_u32_e32 v53, v63
	v_min_u32_e32 v53, 32, v53
	v_subrev_nc_u32_e32 v56, 28, v53
	v_sub_nc_u32_e32 v53, 29, v53
	v_lshlrev_b64 v[56:57], v56, v[63:64]
	v_and_b32_e32 v63, 7, v56
; %bb.439:                              ;   in Loop: Header=BB223_10 Depth=1
	s_or_b32 exec_lo, exec_lo, s42
	v_lshlrev_b32_e32 v55, 16, v55
	v_lshlrev_b32_e32 v56, 20, v63
	v_lshl_add_u32 v53, v53, 23, 0x3c000000
	v_mov_b32_e32 v71, v64
	v_and_b32_e32 v55, 0x80000000, v55
	v_or3_b32 v72, v56, v55, v53
.LBB223_440:                            ;   in Loop: Header=BB223_10 Depth=1
	s_or_b32 exec_lo, exec_lo, s41
.LBB223_441:                            ;   in Loop: Header=BB223_10 Depth=1
	s_or_b32 exec_lo, exec_lo, s40
.LBB223_442:                            ;   in Loop: Header=BB223_10 Depth=1
	s_or_b32 exec_lo, exec_lo, s3
	global_load_ushort v53, v[81:82], off offset:1548
	v_mov_b32_e32 v75, 0
	v_mov_b32_e32 v55, 0
	;; [unrolled: 1-line block ×4, first 2 shown]
	s_waitcnt vmcnt(0)
	v_and_b32_e32 v59, 0xffff, v53
	v_cmp_ne_u16_sdwa s2, v53, v64 src0_sel:BYTE_0 src1_sel:DWORD
	s_and_saveexec_b32 s3, s2
	s_cbranch_execz .LBB223_450
; %bb.443:                              ;   in Loop: Header=BB223_10 Depth=1
	v_bfrev_b32_e32 v55, 1
	v_mov_b32_e32 v56, 0
	v_cmp_ne_u16_sdwa s2, v59, v77 src0_sel:BYTE_0 src1_sel:DWORD
	s_and_saveexec_b32 s40, s2
	s_cbranch_execz .LBB223_449
; %bb.444:                              ;   in Loop: Header=BB223_10 Depth=1
	v_mov_b32_e32 v55, 0x7f800001
	v_and_b32_e32 v57, 0x7f, v59
	v_mov_b32_e32 v56, 0
	s_mov_b32 s41, exec_lo
	v_cmpx_ne_u32_e32 0x7f, v57
	s_cbranch_execz .LBB223_448
; %bb.445:                              ;   in Loop: Header=BB223_10 Depth=1
	v_and_b32_e32 v63, 7, v59
	v_lshrrev_b32_e32 v53, 3, v57
	s_mov_b32 s42, exec_lo
	v_cmpx_gt_u32_e32 8, v57
; %bb.446:                              ;   in Loop: Header=BB223_10 Depth=1
	v_ffbh_u32_e32 v53, v63
	v_min_u32_e32 v53, 32, v53
	v_subrev_nc_u32_e32 v55, 28, v53
	v_sub_nc_u32_e32 v53, 29, v53
	v_lshlrev_b64 v[55:56], v55, v[63:64]
	v_and_b32_e32 v63, 7, v55
; %bb.447:                              ;   in Loop: Header=BB223_10 Depth=1
	s_or_b32 exec_lo, exec_lo, s42
	v_lshlrev_b32_e32 v55, 24, v59
	v_lshlrev_b32_e32 v56, 20, v63
	v_lshl_add_u32 v53, v53, 23, 0x3c000000
	v_and_b32_e32 v55, 0x80000000, v55
	v_or3_b32 v63, v56, v55, v53
	v_mov_b32_e32 v55, v63
	v_mov_b32_e32 v56, v64
.LBB223_448:                            ;   in Loop: Header=BB223_10 Depth=1
	s_or_b32 exec_lo, exec_lo, s41
.LBB223_449:                            ;   in Loop: Header=BB223_10 Depth=1
	s_or_b32 exec_lo, exec_lo, s40
.LBB223_450:                            ;   in Loop: Header=BB223_10 Depth=1
	s_or_b32 exec_lo, exec_lo, s3
	v_cmp_ne_u16_sdwa s2, v59, v64 src0_sel:BYTE_1 src1_sel:DWORD
	s_and_saveexec_b32 s3, s2
	s_cbranch_execz .LBB223_458
; %bb.451:                              ;   in Loop: Header=BB223_10 Depth=1
	v_mov_b32_e32 v57, v64
	v_mov_b32_e32 v76, v58
	v_cmp_ne_u16_sdwa s2, v59, v77 src0_sel:BYTE_1 src1_sel:DWORD
	v_mov_b32_e32 v75, v57
	s_and_saveexec_b32 s40, s2
	s_cbranch_execz .LBB223_457
; %bb.452:                              ;   in Loop: Header=BB223_10 Depth=1
	v_mov_b32_e32 v53, 0xffff
	s_mov_b32 s41, exec_lo
	v_and_b32_sdwa v60, v53, v59 dst_sel:DWORD dst_unused:UNUSED_PAD src0_sel:DWORD src1_sel:BYTE_1
	v_mov_b32_e32 v53, v64
	v_mov_b32_e32 v76, v54
	v_and_b32_e32 v57, 0x7f, v60
	v_mov_b32_e32 v75, v53
	v_cmpx_ne_u32_e32 0x7f, v57
	s_cbranch_execz .LBB223_456
; %bb.453:                              ;   in Loop: Header=BB223_10 Depth=1
	v_and_b32_e32 v63, 7, v60
	v_lshrrev_b32_e32 v53, 3, v57
	s_mov_b32 s42, exec_lo
	v_cmpx_gt_u32_e32 8, v57
; %bb.454:                              ;   in Loop: Header=BB223_10 Depth=1
	v_ffbh_u32_e32 v53, v63
	v_min_u32_e32 v53, 32, v53
	v_subrev_nc_u32_e32 v57, 28, v53
	v_sub_nc_u32_e32 v53, 29, v53
	v_lshlrev_b64 v[60:61], v57, v[63:64]
	v_and_b32_e32 v63, 7, v60
; %bb.455:                              ;   in Loop: Header=BB223_10 Depth=1
	s_or_b32 exec_lo, exec_lo, s42
	v_lshlrev_b32_e32 v57, 16, v59
	v_lshlrev_b32_e32 v59, 20, v63
	v_lshl_add_u32 v53, v53, 23, 0x3c000000
	v_mov_b32_e32 v75, v64
	v_and_b32_e32 v57, 0x80000000, v57
	v_or3_b32 v76, v59, v57, v53
.LBB223_456:                            ;   in Loop: Header=BB223_10 Depth=1
	s_or_b32 exec_lo, exec_lo, s41
.LBB223_457:                            ;   in Loop: Header=BB223_10 Depth=1
	s_or_b32 exec_lo, exec_lo, s40
.LBB223_458:                            ;   in Loop: Header=BB223_10 Depth=1
	s_or_b32 exec_lo, exec_lo, s3
	global_load_ushort v53, v[81:82], off offset:1792
	v_mov_b32_e32 v69, 0
	v_mov_b32_e32 v61, 0
	;; [unrolled: 1-line block ×4, first 2 shown]
	s_waitcnt vmcnt(0)
	v_and_b32_e32 v59, 0xffff, v53
	v_cmp_ne_u16_sdwa s2, v53, v64 src0_sel:BYTE_0 src1_sel:DWORD
	s_and_saveexec_b32 s3, s2
	s_cbranch_execz .LBB223_466
; %bb.459:                              ;   in Loop: Header=BB223_10 Depth=1
	v_bfrev_b32_e32 v61, 1
	v_mov_b32_e32 v62, 0
	v_cmp_ne_u16_sdwa s2, v59, v77 src0_sel:BYTE_0 src1_sel:DWORD
	s_and_saveexec_b32 s40, s2
	s_cbranch_execz .LBB223_465
; %bb.460:                              ;   in Loop: Header=BB223_10 Depth=1
	v_mov_b32_e32 v61, 0x7f800001
	v_and_b32_e32 v57, 0x7f, v59
	v_mov_b32_e32 v62, 0
	s_mov_b32 s41, exec_lo
	v_cmpx_ne_u32_e32 0x7f, v57
	s_cbranch_execz .LBB223_464
; %bb.461:                              ;   in Loop: Header=BB223_10 Depth=1
	v_and_b32_e32 v63, 7, v59
	v_lshrrev_b32_e32 v53, 3, v57
	s_mov_b32 s42, exec_lo
	v_cmpx_gt_u32_e32 8, v57
; %bb.462:                              ;   in Loop: Header=BB223_10 Depth=1
	v_ffbh_u32_e32 v53, v63
	v_min_u32_e32 v53, 32, v53
	v_subrev_nc_u32_e32 v57, 28, v53
	v_sub_nc_u32_e32 v53, 29, v53
	v_lshlrev_b64 v[60:61], v57, v[63:64]
	v_and_b32_e32 v63, 7, v60
; %bb.463:                              ;   in Loop: Header=BB223_10 Depth=1
	s_or_b32 exec_lo, exec_lo, s42
	v_lshlrev_b32_e32 v57, 24, v59
	v_lshlrev_b32_e32 v60, 20, v63
	v_lshl_add_u32 v53, v53, 23, 0x3c000000
	v_and_b32_e32 v57, 0x80000000, v57
	v_or3_b32 v63, v60, v57, v53
	v_mov_b32_e32 v61, v63
	v_mov_b32_e32 v62, v64
.LBB223_464:                            ;   in Loop: Header=BB223_10 Depth=1
	s_or_b32 exec_lo, exec_lo, s41
.LBB223_465:                            ;   in Loop: Header=BB223_10 Depth=1
	s_or_b32 exec_lo, exec_lo, s40
.LBB223_466:                            ;   in Loop: Header=BB223_10 Depth=1
	s_or_b32 exec_lo, exec_lo, s3
	v_cmp_ne_u16_sdwa s2, v59, v64 src0_sel:BYTE_1 src1_sel:DWORD
	s_and_saveexec_b32 s3, s2
	s_cbranch_execz .LBB223_474
; %bb.467:                              ;   in Loop: Header=BB223_10 Depth=1
	v_mov_b32_e32 v57, v64
	v_mov_b32_e32 v70, v58
	v_cmp_ne_u16_sdwa s2, v59, v77 src0_sel:BYTE_1 src1_sel:DWORD
	v_mov_b32_e32 v69, v57
	s_and_saveexec_b32 s40, s2
	s_cbranch_execz .LBB223_473
; %bb.468:                              ;   in Loop: Header=BB223_10 Depth=1
	v_mov_b32_e32 v53, 0xffff
	s_mov_b32 s41, exec_lo
	v_and_b32_sdwa v60, v53, v59 dst_sel:DWORD dst_unused:UNUSED_PAD src0_sel:DWORD src1_sel:BYTE_1
	v_mov_b32_e32 v53, v64
	v_mov_b32_e32 v70, v54
	v_and_b32_e32 v57, 0x7f, v60
	v_mov_b32_e32 v69, v53
	v_cmpx_ne_u32_e32 0x7f, v57
	s_cbranch_execz .LBB223_472
; %bb.469:                              ;   in Loop: Header=BB223_10 Depth=1
	v_and_b32_e32 v63, 7, v60
	v_lshrrev_b32_e32 v53, 3, v57
	s_mov_b32 s42, exec_lo
	v_cmpx_gt_u32_e32 8, v57
; %bb.470:                              ;   in Loop: Header=BB223_10 Depth=1
	v_ffbh_u32_e32 v53, v63
	v_min_u32_e32 v53, 32, v53
	v_subrev_nc_u32_e32 v57, 28, v53
	v_sub_nc_u32_e32 v53, 29, v53
	v_lshlrev_b64 v[69:70], v57, v[63:64]
	v_and_b32_e32 v63, 7, v69
; %bb.471:                              ;   in Loop: Header=BB223_10 Depth=1
	s_or_b32 exec_lo, exec_lo, s42
	v_lshlrev_b32_e32 v57, 16, v59
	v_lshlrev_b32_e32 v59, 20, v63
	v_lshl_add_u32 v53, v53, 23, 0x3c000000
	v_mov_b32_e32 v69, v64
	v_and_b32_e32 v57, 0x80000000, v57
	v_or3_b32 v70, v59, v57, v53
.LBB223_472:                            ;   in Loop: Header=BB223_10 Depth=1
	s_or_b32 exec_lo, exec_lo, s41
.LBB223_473:                            ;   in Loop: Header=BB223_10 Depth=1
	s_or_b32 exec_lo, exec_lo, s40
.LBB223_474:                            ;   in Loop: Header=BB223_10 Depth=1
	s_or_b32 exec_lo, exec_lo, s3
	global_load_ushort v53, v[81:82], off offset:1796
	v_mov_b32_e32 v81, 0
	v_mov_b32_e32 v59, 0
	;; [unrolled: 1-line block ×4, first 2 shown]
	s_waitcnt vmcnt(0)
	v_and_b32_e32 v73, 0xffff, v53
	v_cmp_ne_u16_sdwa s2, v53, v64 src0_sel:BYTE_0 src1_sel:DWORD
	s_and_saveexec_b32 s3, s2
	s_cbranch_execz .LBB223_482
; %bb.475:                              ;   in Loop: Header=BB223_10 Depth=1
	v_bfrev_b32_e32 v59, 1
	v_mov_b32_e32 v60, 0
	v_cmp_ne_u16_sdwa s2, v73, v77 src0_sel:BYTE_0 src1_sel:DWORD
	s_and_saveexec_b32 s40, s2
	s_cbranch_execz .LBB223_481
; %bb.476:                              ;   in Loop: Header=BB223_10 Depth=1
	v_mov_b32_e32 v59, 0x7f800001
	v_and_b32_e32 v57, 0x7f, v73
	v_mov_b32_e32 v60, 0
	s_mov_b32 s41, exec_lo
	v_cmpx_ne_u32_e32 0x7f, v57
	s_cbranch_execz .LBB223_480
; %bb.477:                              ;   in Loop: Header=BB223_10 Depth=1
	v_and_b32_e32 v63, 7, v73
	v_lshrrev_b32_e32 v53, 3, v57
	s_mov_b32 s42, exec_lo
	v_cmpx_gt_u32_e32 8, v57
; %bb.478:                              ;   in Loop: Header=BB223_10 Depth=1
	v_ffbh_u32_e32 v53, v63
	v_min_u32_e32 v53, 32, v53
	v_subrev_nc_u32_e32 v57, 28, v53
	v_sub_nc_u32_e32 v53, 29, v53
	v_lshlrev_b64 v[59:60], v57, v[63:64]
	v_and_b32_e32 v63, 7, v59
; %bb.479:                              ;   in Loop: Header=BB223_10 Depth=1
	s_or_b32 exec_lo, exec_lo, s42
	v_lshlrev_b32_e32 v57, 24, v73
	v_lshlrev_b32_e32 v59, 20, v63
	v_lshl_add_u32 v53, v53, 23, 0x3c000000
	v_and_b32_e32 v57, 0x80000000, v57
	v_or3_b32 v63, v59, v57, v53
	v_mov_b32_e32 v59, v63
	v_mov_b32_e32 v60, v64
.LBB223_480:                            ;   in Loop: Header=BB223_10 Depth=1
	s_or_b32 exec_lo, exec_lo, s41
.LBB223_481:                            ;   in Loop: Header=BB223_10 Depth=1
	s_or_b32 exec_lo, exec_lo, s40
.LBB223_482:                            ;   in Loop: Header=BB223_10 Depth=1
	s_or_b32 exec_lo, exec_lo, s3
	v_cmp_ne_u16_sdwa s2, v73, v64 src0_sel:BYTE_1 src1_sel:DWORD
	s_and_saveexec_b32 s3, s2
	s_cbranch_execz .LBB223_490
; %bb.483:                              ;   in Loop: Header=BB223_10 Depth=1
	v_mov_b32_e32 v57, v64
	v_mov_b32_e32 v82, v58
	v_cmp_ne_u16_sdwa s2, v73, v77 src0_sel:BYTE_1 src1_sel:DWORD
	v_mov_b32_e32 v81, v57
	s_and_saveexec_b32 s40, s2
	s_cbranch_execz .LBB223_489
; %bb.484:                              ;   in Loop: Header=BB223_10 Depth=1
	v_mov_b32_e32 v53, 0xffff
	s_mov_b32 s41, exec_lo
	v_and_b32_sdwa v63, v53, v73 dst_sel:DWORD dst_unused:UNUSED_PAD src0_sel:DWORD src1_sel:BYTE_1
	v_mov_b32_e32 v53, v64
	v_mov_b32_e32 v82, v54
	v_and_b32_e32 v57, 0x7f, v63
	v_mov_b32_e32 v81, v53
	v_cmpx_ne_u32_e32 0x7f, v57
	s_cbranch_execz .LBB223_488
; %bb.485:                              ;   in Loop: Header=BB223_10 Depth=1
	v_and_b32_e32 v63, 7, v63
	v_lshrrev_b32_e32 v53, 3, v57
	s_mov_b32 s42, exec_lo
	v_cmpx_gt_u32_e32 8, v57
; %bb.486:                              ;   in Loop: Header=BB223_10 Depth=1
	v_ffbh_u32_e32 v53, v63
	v_min_u32_e32 v53, 32, v53
	v_subrev_nc_u32_e32 v57, 28, v53
	v_sub_nc_u32_e32 v53, 29, v53
	v_lshlrev_b64 v[81:82], v57, v[63:64]
	v_and_b32_e32 v63, 7, v81
; %bb.487:                              ;   in Loop: Header=BB223_10 Depth=1
	s_or_b32 exec_lo, exec_lo, s42
	v_lshlrev_b32_e32 v57, 16, v73
	v_lshlrev_b32_e32 v63, 20, v63
	v_lshl_add_u32 v53, v53, 23, 0x3c000000
	v_mov_b32_e32 v81, v64
	v_and_b32_e32 v57, 0x80000000, v57
	v_or3_b32 v82, v63, v57, v53
.LBB223_488:                            ;   in Loop: Header=BB223_10 Depth=1
	s_or_b32 exec_lo, exec_lo, s41
.LBB223_489:                            ;   in Loop: Header=BB223_10 Depth=1
	s_or_b32 exec_lo, exec_lo, s40
.LBB223_490:                            ;   in Loop: Header=BB223_10 Depth=1
	s_or_b32 exec_lo, exec_lo, s3
	s_clause 0x1
	buffer_load_dword v73, off, s[44:47], 0 offset:16
	buffer_load_dword v74, off, s[44:47], 0 offset:20
	v_or_b32_e32 v88, v90, v88
	v_or_b32_e32 v87, v89, v87
	;; [unrolled: 1-line block ×36, first 2 shown]
	v_mul_f32_e32 v22, s4, v22
	v_or_b32_e32 v11, v13, v11
	v_or_b32_e32 v13, v118, v116
	;; [unrolled: 1-line block ×3, first 2 shown]
	v_mul_f32_e32 v21, s39, v21
	v_or_b32_e32 v8, v10, v8
	v_or_b32_e32 v7, v9, v7
	;; [unrolled: 1-line block ×4, first 2 shown]
	v_mul_f32_e32 v14, s4, v14
	v_mul_f32_e32 v13, s39, v13
	v_or_b32_e32 v4, v6, v4
	v_mul_f32_e32 v9, s39, v9
	v_mul_f32_e32 v10, s4, v10
	v_or_b32_e32 v6, v125, v123
	v_or_b32_e32 v3, v5, v3
	;; [unrolled: 1-line block ×3, first 2 shown]
	v_mul_f32_e32 v1, s4, v1
	v_or_b32_e32 v17, v17, v15
	v_mul_f32_e32 v6, s4, v6
	v_or_b32_e32 v28, v38, v36
	;; [unrolled: 2-line block ×3, first 2 shown]
	v_or_b32_e32 v37, v71, v51
	v_or_b32_e32 v36, v72, v52
	;; [unrolled: 1-line block ×6, first 2 shown]
	s_waitcnt vmcnt(1)
	v_or_b32_e32 v85, v79, v73
	s_waitcnt vmcnt(0)
	v_or_b32_e32 v79, v80, v74
	s_clause 0x7
	buffer_load_dword v73, off, s[44:47], 0
	buffer_load_dword v74, off, s[44:47], 0 offset:4
	buffer_load_dword v89, off, s[44:47], 0 offset:8
	;; [unrolled: 1-line block ×7, first 2 shown]
	v_mul_f32_e32 v41, s4, v85
	s_waitcnt vmcnt(5)
	v_or_b32_e32 v73, v89, v73
	s_waitcnt vmcnt(1)
	v_mul_f32_e32 v41, v45, v41
	v_or_b32_e32 v74, v90, v74
	v_mul_f32_e32 v42, s4, v73
	v_fmac_f32_e32 v41, v43, v42
	v_mul_f32_e32 v42, s39, v79
	v_mul_f32_e32 v43, s39, v74
	s_waitcnt vmcnt(0)
	v_mul_f32_e32 v42, v46, v42
	v_fmac_f32_e32 v42, v44, v43
	s_clause 0x3
	buffer_load_dword v44, off, s[44:47], 0 offset:44
	buffer_load_dword v45, off, s[44:47], 0 offset:48
	buffer_load_dword v46, off, s[44:47], 0 offset:52
	buffer_load_dword v47, off, s[44:47], 0 offset:56
	v_mul_f32_e32 v43, s4, v83
	s_waitcnt vmcnt(3)
	v_fmac_f32_e32 v41, v44, v43
	v_mul_f32_e32 v43, s39, v84
	s_waitcnt vmcnt(2)
	v_fmac_f32_e32 v42, v45, v43
	v_mul_f32_e32 v43, s4, v87
	s_waitcnt vmcnt(1)
	v_fmac_f32_e32 v41, v46, v43
	v_mul_f32_e32 v43, s39, v88
	s_waitcnt vmcnt(0)
	v_fmac_f32_e32 v42, v47, v43
	s_clause 0x3
	buffer_load_dword v44, off, s[44:47], 0 offset:60
	buffer_load_dword v45, off, s[44:47], 0 offset:64
	buffer_load_dword v46, off, s[44:47], 0 offset:68
	buffer_load_dword v47, off, s[44:47], 0 offset:72
	v_mul_f32_e32 v43, s4, v91
	s_waitcnt vmcnt(3)
	v_fmac_f32_e32 v41, v44, v43
	v_mul_f32_e32 v43, s39, v92
	s_waitcnt vmcnt(2)
	v_fmac_f32_e32 v42, v45, v43
	v_mul_f32_e32 v43, s4, v95
	s_waitcnt vmcnt(1)
	v_fmac_f32_e32 v41, v46, v43
	v_mul_f32_e32 v43, s39, v70
	s_waitcnt vmcnt(0)
	;; [unrolled: 17-line block ×3, first 2 shown]
	v_fmac_f32_e32 v42, v47, v43
	s_clause 0x3
	buffer_load_dword v44, off, s[44:47], 0 offset:92
	buffer_load_dword v45, off, s[44:47], 0 offset:96
	;; [unrolled: 1-line block ×4, first 2 shown]
	v_mul_f32_e32 v43, s4, v62
	s_waitcnt vmcnt(3)
	v_fmac_f32_e32 v41, v44, v43
	v_mul_f32_e32 v43, s39, v61
	s_waitcnt vmcnt(1)
	v_fmac_f32_e32 v41, v46, v22
	v_fmac_f32_e32 v42, v45, v43
	s_clause 0x3
	buffer_load_dword v43, off, s[44:47], 0 offset:108
	buffer_load_dword v44, off, s[44:47], 0 offset:112
	buffer_load_dword v45, off, s[44:47], 0 offset:116
	buffer_load_dword v46, off, s[44:47], 0 offset:120
	s_waitcnt vmcnt(4)
	v_fmac_f32_e32 v42, v47, v21
	s_waitcnt vmcnt(3)
	v_fmac_f32_e32 v41, v43, v14
	;; [unrolled: 2-line block ×5, first 2 shown]
	s_clause 0x3
	buffer_load_dword v43, off, s[44:47], 0 offset:124
	buffer_load_dword v44, off, s[44:47], 0 offset:128
	;; [unrolled: 1-line block ×4, first 2 shown]
	s_waitcnt vmcnt(3)
	v_fmac_f32_e32 v41, v43, v6
	s_waitcnt vmcnt(2)
	v_fmac_f32_e32 v42, v44, v5
	;; [unrolled: 2-line block ×3, first 2 shown]
	v_mul_f32_e32 v1, s39, v2
	s_waitcnt vmcnt(0)
	v_fmac_f32_e32 v42, v46, v1
	s_clause 0x3
	buffer_load_dword v43, off, s[44:47], 0 offset:140
	buffer_load_dword v44, off, s[44:47], 0 offset:144
	;; [unrolled: 1-line block ×4, first 2 shown]
	v_mul_f32_e32 v1, s4, v3
	s_waitcnt vmcnt(3)
	v_fmac_f32_e32 v41, v43, v1
	v_mul_f32_e32 v1, s39, v4
	s_clause 0x3
	buffer_load_dword v2, off, s[44:47], 0 offset:168
	buffer_load_dword v3, off, s[44:47], 0 offset:172
	;; [unrolled: 1-line block ×4, first 2 shown]
	s_waitcnt vmcnt(6)
	v_fmac_f32_e32 v42, v44, v1
	v_mul_f32_e32 v1, s4, v7
	s_waitcnt vmcnt(5)
	v_fmac_f32_e32 v41, v45, v1
	v_mul_f32_e32 v1, s39, v8
	;; [unrolled: 3-line block ×6, first 2 shown]
	s_waitcnt vmcnt(0)
	v_fmac_f32_e32 v42, v5, v1
	s_clause 0x3
	buffer_load_dword v2, off, s[44:47], 0 offset:184
	buffer_load_dword v3, off, s[44:47], 0 offset:188
	buffer_load_dword v4, off, s[44:47], 0 offset:192
	buffer_load_dword v5, off, s[44:47], 0 offset:196
	v_mul_f32_e32 v1, s4, v17
	s_waitcnt vmcnt(3)
	v_fmac_f32_e32 v41, v2, v1
	v_mul_f32_e32 v1, s39, v16
	s_waitcnt vmcnt(2)
	v_fmac_f32_e32 v42, v3, v1
	v_mul_f32_e32 v1, s4, v23
	s_waitcnt vmcnt(1)
	v_fmac_f32_e32 v41, v4, v1
	v_mul_f32_e32 v1, s39, v18
	s_waitcnt vmcnt(0)
	v_fmac_f32_e32 v42, v5, v1
	s_clause 0x3
	buffer_load_dword v2, off, s[44:47], 0 offset:200
	buffer_load_dword v3, off, s[44:47], 0 offset:204
	buffer_load_dword v4, off, s[44:47], 0 offset:208
	buffer_load_dword v5, off, s[44:47], 0 offset:212
	v_mul_f32_e32 v1, s4, v25
	s_waitcnt vmcnt(3)
	v_fmac_f32_e32 v41, v2, v1
	v_mul_f32_e32 v1, s39, v24
	s_waitcnt vmcnt(2)
	v_fmac_f32_e32 v42, v3, v1
	v_mul_f32_e32 v1, s4, v27
	s_waitcnt vmcnt(1)
	v_fmac_f32_e32 v41, v4, v1
	v_mul_f32_e32 v1, s39, v26
	;; [unrolled: 17-line block ×5, first 2 shown]
	s_waitcnt vmcnt(0)
	v_fmac_f32_e32 v42, v5, v1
	s_clause 0x3
	buffer_load_dword v2, off, s[44:47], 0 offset:264
	buffer_load_dword v3, off, s[44:47], 0 offset:268
	;; [unrolled: 1-line block ×4, first 2 shown]
	v_mul_f32_e32 v1, s4, v57
	s_waitcnt vmcnt(3)
	v_fmac_f32_e32 v41, v2, v1
	buffer_load_dword v2, off, s[44:47], 0 offset:156 ; 4-byte Folded Reload
	v_mul_f32_e32 v1, s39, v53
	s_waitcnt vmcnt(3)
	v_fmac_f32_e32 v42, v3, v1
	v_mul_f32_e32 v1, s4, v40
	s_waitcnt vmcnt(2)
	v_fmac_f32_e32 v41, v4, v1
	;; [unrolled: 3-line block ×3, first 2 shown]
	v_add_f32_e32 v1, v41, v42
	s_waitcnt vmcnt(0)
	ds_bpermute_b32 v2, v2, v1
	s_and_saveexec_b32 s3, vcc_lo
	s_cbranch_execz .LBB223_9
; %bb.491:                              ;   in Loop: Header=BB223_10 Depth=1
	buffer_load_dword v4, off, s[44:47], 0 offset:24 ; 4-byte Folded Reload
	v_add_nc_u32_e32 v3, s5, v0
	s_waitcnt lgkmcnt(0)
	v_add_f32_e32 v1, v1, v2
	v_cmp_gt_i32_e64 s2, s27, v0
	v_cvt_f32_i32_e32 v3, v3
	v_mul_f32_e32 v3, s36, v3
	v_cndmask_b32_e64 v2, 0, v3, s1
	v_fmac_f32_e32 v2, s37, v1
	s_waitcnt vmcnt(0)
	v_max_f32_e32 v3, v4, v4
	v_max_f32_e32 v1, v3, v2
	v_cndmask_b32_e64 v2, 0, v2, s2
	v_cndmask_b32_e64 v4, v4, v1, s2
	ds_write_b32 v127, v2
	buffer_store_dword v4, off, s[44:47], 0 offset:24 ; 4-byte Folded Spill
	s_branch .LBB223_9
.LBB223_492:
	s_or_b32 exec_lo, exec_lo, s16
	s_clause 0x6
	buffer_load_dword v109, off, s[44:47], 0 offset:280
	buffer_load_dword v110, off, s[44:47], 0 offset:284
	;; [unrolled: 1-line block ×7, first 2 shown]
	v_mov_b32_e32 v8, 32
.LBB223_493:
	s_or_b32 exec_lo, exec_lo, s38
	s_waitcnt vmcnt(1)
	v_xor_b32_e32 v0, 16, v12
	s_waitcnt lgkmcnt(0)
	v_xor_b32_e32 v2, 8, v12
	s_waitcnt vmcnt(0)
	v_max_f32_e32 v4, v3, v3
	v_xor_b32_e32 v5, 2, v12
	v_and_b32_e32 v25, 31, v109
	v_cmp_lt_i32_e32 vcc_lo, v0, v8
	v_cndmask_b32_e32 v0, v12, v0, vcc_lo
	v_cmp_lt_i32_e32 vcc_lo, v2, v8
	v_lshlrev_b32_e32 v1, 2, v0
	v_cndmask_b32_e32 v2, v12, v2, vcc_lo
	ds_bpermute_b32 v0, v1, v3
	v_lshlrev_b32_e32 v3, 2, v2
	s_waitcnt lgkmcnt(0)
	v_max_f32_e32 v0, v0, v0
	v_max_f32_e32 v0, v4, v0
	v_xor_b32_e32 v4, 4, v12
	ds_bpermute_b32 v2, v3, v0
	v_cmp_lt_i32_e32 vcc_lo, v4, v8
	v_cndmask_b32_e32 v4, v12, v4, vcc_lo
	v_cmp_lt_i32_e32 vcc_lo, v5, v8
	v_lshlrev_b32_e32 v4, 2, v4
	v_cndmask_b32_e32 v5, v12, v5, vcc_lo
	v_cmp_eq_u32_e32 vcc_lo, 0, v25
	v_lshlrev_b32_e32 v26, 2, v5
	v_lshlrev_b32_e32 v5, 2, v110
	s_waitcnt lgkmcnt(0)
	v_max_f32_e32 v2, v2, v2
	v_max_f32_e32 v0, v0, v2
	ds_bpermute_b32 v2, v4, v0
	s_waitcnt lgkmcnt(0)
	v_max_f32_e32 v2, v2, v2
	v_max_f32_e32 v0, v0, v2
	ds_bpermute_b32 v2, v26, v0
	s_and_saveexec_b32 s1, vcc_lo
	s_cbranch_execz .LBB223_495
; %bb.494:
	s_waitcnt lgkmcnt(0)
	v_max_f32_e32 v2, v2, v2
	v_max_f32_e32 v0, v0, v0
	;; [unrolled: 1-line block ×3, first 2 shown]
	ds_write_b32 v5, v0 offset:480
.LBB223_495:
	s_or_b32 exec_lo, exec_lo, s1
	v_cmp_gt_u32_e64 s1, 4, v25
	v_mov_b32_e32 v0, 0xff7fffff
	v_lshlrev_b32_e32 v6, 2, v25
	s_waitcnt lgkmcnt(0)
	s_waitcnt_vscnt null, 0x0
	s_barrier
	buffer_gl0_inv
	s_and_saveexec_b32 s2, s1
; %bb.496:
	ds_read_b32 v0, v6 offset:480
; %bb.497:
	s_or_b32 exec_lo, exec_lo, s2
	s_waitcnt lgkmcnt(0)
	ds_bpermute_b32 v2, v26, v0
	v_xor_b32_e32 v7, 1, v12
	v_max_f32_e32 v0, v0, v0
	v_cmp_lt_i32_e64 s2, v7, v8
	v_cndmask_b32_e64 v7, v12, v7, s2
	s_sub_i32 s2, s11, s15
	s_lshl_b32 s2, s2, 4
	v_lshlrev_b32_e32 v27, 2, v7
	s_add_i32 s2, s2, s33
	v_mov_b32_e32 v7, 0
	s_min_i32 s2, s2, s27
	s_waitcnt lgkmcnt(0)
	v_max_f32_e32 v2, v2, v2
	s_sub_i32 s4, s2, s33
	v_cmp_gt_i32_e64 s2, s4, v109
	v_max_f32_e32 v0, v0, v2
	ds_bpermute_b32 v2, v27, v0
	s_waitcnt lgkmcnt(0)
	v_max_f32_e32 v2, v2, v2
	v_max_f32_e32 v0, v0, v2
	v_lshlrev_b32_e32 v2, 2, v64
	ds_bpermute_b32 v0, v2, v0
	v_lshl_add_u32 v2, v109, 2, 0x200
	s_and_saveexec_b32 s5, s2
	s_cbranch_execz .LBB223_501
; %bb.498:
	v_lshl_add_u32 v8, v109, 2, 0x200
	v_mov_b32_e32 v7, 0
	v_mov_b32_e32 v9, v109
	s_mov_b32 s15, 0
	.p2align	6
.LBB223_499:                            ; =>This Inner Loop Header: Depth=1
	ds_read_b32 v10, v8
	v_add_nc_u32_e32 v9, 0x80, v9
	v_cmp_le_i32_e64 s3, s4, v9
	s_or_b32 s15, s3, s15
	s_waitcnt lgkmcnt(0)
	v_sub_f32_e32 v10, v10, v0
	v_mul_f32_e32 v10, 0x3fb8aa3b, v10
	v_exp_f32_e32 v10, v10
	ds_write_b32 v8, v10
	v_add_f32_e32 v7, v7, v10
	v_add_nc_u32_e32 v8, 0x200, v8
	s_andn2_b32 exec_lo, exec_lo, s15
	s_cbranch_execnz .LBB223_499
; %bb.500:
	s_or_b32 exec_lo, exec_lo, s15
.LBB223_501:
	s_or_b32 exec_lo, exec_lo, s5
	ds_bpermute_b32 v1, v1, v7
	s_waitcnt lgkmcnt(0)
	v_add_f32_e32 v1, v7, v1
	ds_bpermute_b32 v3, v3, v1
	s_waitcnt lgkmcnt(0)
	v_add_f32_e32 v1, v1, v3
	;; [unrolled: 3-line block ×5, first 2 shown]
	s_and_saveexec_b32 s3, vcc_lo
; %bb.502:
	ds_write_b32 v5, v1 offset:496
; %bb.503:
	s_or_b32 exec_lo, exec_lo, s3
	s_waitcnt lgkmcnt(0)
	s_barrier
	buffer_gl0_inv
	s_and_saveexec_b32 s3, s1
; %bb.504:
	ds_read_b32 v1, v6 offset:496
; %bb.505:
	s_or_b32 exec_lo, exec_lo, s3
	s_waitcnt lgkmcnt(0)
	ds_bpermute_b32 v3, v26, v1
	v_lshlrev_b32_e32 v4, 2, v12
	s_waitcnt lgkmcnt(0)
	v_add_f32_e32 v1, v1, v3
	ds_bpermute_b32 v3, v27, v1
	s_waitcnt lgkmcnt(0)
	v_add_f32_e32 v1, v1, v3
	v_and_b32_e32 v3, 0xffffff80, v4
	ds_bpermute_b32 v1, v3, v1
	s_and_saveexec_b32 s1, s2
	s_cbranch_execz .LBB223_508
; %bb.506:
	s_waitcnt lgkmcnt(0)
	v_add_f32_e32 v3, 0x358637bd, v1
	s_mov_b32 s2, 0
	v_div_scale_f32 v4, null, v3, v3, 1.0
	v_div_scale_f32 v7, vcc_lo, 1.0, v3, 1.0
	v_rcp_f32_e32 v5, v4
	v_fma_f32 v6, -v4, v5, 1.0
	v_fmac_f32_e32 v5, v6, v5
	v_mul_f32_e32 v6, v7, v5
	v_fma_f32 v8, -v4, v6, v7
	v_fmac_f32_e32 v6, v8, v5
	v_fma_f32 v4, -v4, v6, v7
	v_div_fmas_f32 v4, v4, v5, v6
	v_div_fixup_f32 v3, v4, v3, 1.0
	v_mov_b32_e32 v4, v109
.LBB223_507:                            ; =>This Inner Loop Header: Depth=1
	ds_read_b32 v5, v2
	v_add_nc_u32_e32 v4, 0x80, v4
	v_cmp_le_i32_e32 vcc_lo, s4, v4
	s_or_b32 s2, vcc_lo, s2
	s_waitcnt lgkmcnt(0)
	v_mul_f32_e32 v5, v3, v5
	ds_write_b32 v2, v5
	v_add_nc_u32_e32 v2, 0x200, v2
	s_andn2_b32 exec_lo, exec_lo, s2
	s_cbranch_execnz .LBB223_507
.LBB223_508:
	s_or_b32 exec_lo, exec_lo, s1
	s_mul_i32 s1, s7, s26
	s_waitcnt lgkmcnt(0)
	s_mul_i32 s2, s1, s9
	s_mov_b32 s1, exec_lo
	s_barrier
	buffer_gl0_inv
	v_cmpx_eq_u32_e32 0, v109
	s_cbranch_execz .LBB223_510
; %bb.509:
	s_ashr_i32 s3, s2, 31
	s_mul_i32 s16, s7, s6
	s_lshl_b64 s[4:5], s[2:3], 2
	v_mov_b32_e32 v2, 0
	s_add_u32 s3, s22, s4
	s_addc_u32 s6, s23, s5
	s_ashr_i32 s17, s16, 31
	s_lshl_b64 s[16:17], s[16:17], 2
	s_add_u32 s3, s3, s16
	s_addc_u32 s6, s6, s17
	s_ashr_i32 s9, s8, 31
	s_lshl_b64 s[22:23], s[8:9], 2
	s_add_u32 s36, s3, s22
	s_addc_u32 s37, s6, s23
	s_add_u32 s3, s20, s4
	s_addc_u32 s4, s21, s5
	s_add_u32 s3, s3, s16
	s_addc_u32 s5, s4, s17
	s_add_u32 s4, s3, s22
	s_addc_u32 s5, s5, s23
	global_store_dword v2, v0, s[36:37]
	global_store_dword v2, v1, s[4:5]
.LBB223_510:
	s_or_b32 exec_lo, exec_lo, s1
	v_mov_b32_e32 v40, 0
	v_and_b32_e32 v28, 3, v109
	v_mov_b32_e32 v42, 0
	v_mov_b32_e32 v41, 0
	v_mov_b32_e32 v39, 0
	v_mov_b32_e32 v38, 0
	v_mov_b32_e32 v37, 0
	v_mov_b32_e32 v36, 0
	v_mov_b32_e32 v35, 0
	v_mov_b32_e32 v34, 0
	v_mov_b32_e32 v33, 0
	v_mov_b32_e32 v32, 0
	v_mov_b32_e32 v31, 0
	v_mov_b32_e32 v30, 0
	v_mov_b32_e32 v29, 0
	v_mov_b32_e32 v0, 0
	s_and_saveexec_b32 s1, s0
	s_cbranch_execz .LBB223_1024
; %bb.511:
	s_load_dword s3, s[18:19], 0x0
	v_and_b32_e32 v0, 12, v11
	v_and_b32_e32 v1, 0x7c, v11
	v_lshl_add_u32 v3, v110, 4, s33
	s_ashr_i32 s0, s14, 31
	s_add_u32 s4, s34, s14
	v_lshlrev_b32_e32 v2, 4, v28
	s_addc_u32 s0, s35, s0
	v_add_co_u32 v7, s4, s4, v1
	v_add3_u32 v43, v3, v0, 3
	v_lshlrev_b64 v[0:1], 2, v[111:112]
	v_add_co_ci_u32_e64 v8, null, s0, 0, s4
	s_lshl_b64 s[4:5], s[30:31], 2
	s_add_i32 s12, s12, -1
	v_lshl_or_b32 v2, v110, 6, v2
	s_add_u32 s0, s28, s4
	s_addc_u32 s4, s29, s5
	v_add_co_u32 v9, vcc_lo, s0, v0
	v_mov_b32_e32 v6, 0
	v_add_nc_u32_e32 v44, 0x200, v2
	v_add_co_ci_u32_e64 v10, null, s4, v1, vcc_lo
	v_mov_b32_e32 v45, 0x80
	v_bfrev_b32_e32 v12, 1
	v_mov_b32_e32 v46, 0xffff
	v_mov_b32_e32 v14, 0x7f800001
	;; [unrolled: 1-line block ×20, first 2 shown]
	s_mov_b32 s4, s13
	s_waitcnt lgkmcnt(0)
	s_mov_b32 s6, s3
	s_mov_b32 s5, 0
	s_branch .LBB223_513
.LBB223_512:                            ;   in Loop: Header=BB223_513 Depth=1
	s_or_b32 exec_lo, exec_lo, s0
	s_waitcnt lgkmcnt(0)
	v_mul_f32_e32 v16, v1, v106
	v_mul_f32_e32 v17, v1, v104
	;; [unrolled: 1-line block ×5, first 2 shown]
	v_fmac_f32_e32 v16, v2, v105
	v_fmac_f32_e32 v17, v2, v103
	;; [unrolled: 1-line block ×15, first 2 shown]
	v_add_f32_e32 v29, v29, v16
	v_add_f32_e32 v30, v30, v17
	;; [unrolled: 1-line block ×3, first 2 shown]
	v_mul_f32_e32 v16, v1, v88
	v_add_f32_e32 v32, v32, v19
	v_mul_f32_e32 v17, v1, v84
	v_mul_f32_e32 v18, v1, v80
	;; [unrolled: 1-line block ×3, first 2 shown]
	v_fmac_f32_e32 v16, v2, v87
	v_add_f32_e32 v33, v33, v20
	v_fmac_f32_e32 v17, v2, v83
	v_fmac_f32_e32 v18, v2, v79
	;; [unrolled: 1-line block ×4, first 2 shown]
	v_mul_f32_e32 v20, v1, v72
	v_fmac_f32_e32 v17, v3, v82
	v_fmac_f32_e32 v18, v3, v78
	v_fmac_f32_e32 v19, v3, v74
	v_fmac_f32_e32 v16, v4, v85
	v_fmac_f32_e32 v20, v2, v71
	v_fmac_f32_e32 v17, v4, v81
	v_fmac_f32_e32 v18, v4, v77
	v_fmac_f32_e32 v19, v4, v73
	v_add_f32_e32 v34, v34, v16
	v_mul_f32_e32 v16, v1, v68
	v_add_f32_e32 v35, v35, v17
	v_add_f32_e32 v36, v36, v18
	;; [unrolled: 1-line block ×3, first 2 shown]
	v_mul_f32_e32 v17, v1, v64
	v_mul_f32_e32 v18, v1, v60
	;; [unrolled: 1-line block ×4, first 2 shown]
	v_fmac_f32_e32 v16, v2, v67
	v_fmac_f32_e32 v17, v2, v63
	;; [unrolled: 1-line block ×11, first 2 shown]
	v_add_nc_u32_e32 v111, 4, v111
	v_fmac_f32_e32 v20, v4, v69
	v_fmac_f32_e32 v16, v4, v65
	;; [unrolled: 1-line block ×6, first 2 shown]
	v_cmp_le_i32_e32 vcc_lo, s11, v111
	v_add_co_u32 v9, s0, v9, 16
	v_add_f32_e32 v38, v38, v20
	v_add_f32_e32 v39, v39, v16
	;; [unrolled: 1-line block ×6, first 2 shown]
	v_add_nc_u32_e32 v43, 64, v43
	v_add_nc_u32_e32 v44, 0x100, v44
	v_add_co_ci_u32_e64 v10, null, 0, v10, s0
	s_or_b32 s5, vcc_lo, s5
	s_andn2_b32 exec_lo, exec_lo, s5
	s_cbranch_execz .LBB223_1023
.LBB223_513:                            ; =>This Inner Loop Header: Depth=1
	global_load_dword v1, v[9:10], off
	v_mov_b32_e32 v19, 0
	v_mov_b32_e32 v17, 0
	;; [unrolled: 1-line block ×4, first 2 shown]
	s_waitcnt vmcnt(0)
	v_mad_i64_i32 v[15:16], null, v1, s4, v[7:8]
	ds_read_b128 v[1:4], v44
	global_load_dword v50, v[15:16], off
	s_waitcnt vmcnt(0)
	v_cmp_ne_u16_sdwa s9, v50, v6 src0_sel:BYTE_0 src1_sel:DWORD
	s_and_saveexec_b32 s0, s9
	s_cbranch_execz .LBB223_521
; %bb.514:                              ;   in Loop: Header=BB223_513 Depth=1
	v_bfrev_b32_e32 v17, 1
	v_mov_b32_e32 v18, 0
	v_cmp_ne_u16_sdwa s13, v50, v45 src0_sel:BYTE_0 src1_sel:DWORD
	s_and_saveexec_b32 s9, s13
	s_cbranch_execz .LBB223_520
; %bb.515:                              ;   in Loop: Header=BB223_513 Depth=1
	v_mov_b32_e32 v17, 0x7f800001
	v_and_b32_e32 v13, 0x7f, v50
	v_mov_b32_e32 v18, 0
	s_mov_b32 s13, exec_lo
	v_cmpx_ne_u32_e32 0x7f, v13
	s_cbranch_execz .LBB223_519
; %bb.516:                              ;   in Loop: Header=BB223_513 Depth=1
	v_and_b32_e32 v5, 7, v50
	v_lshrrev_b32_e32 v11, 3, v13
	s_mov_b32 s14, exec_lo
	v_cmpx_gt_u32_e32 8, v13
; %bb.517:                              ;   in Loop: Header=BB223_513 Depth=1
	v_ffbh_u32_e32 v11, v5
	v_min_u32_e32 v11, 32, v11
	v_subrev_nc_u32_e32 v13, 28, v11
	v_sub_nc_u32_e32 v11, 29, v11
	v_lshlrev_b64 v[17:18], v13, v[5:6]
	v_and_b32_e32 v5, 7, v17
; %bb.518:                              ;   in Loop: Header=BB223_513 Depth=1
	s_or_b32 exec_lo, exec_lo, s14
	v_lshlrev_b32_e32 v13, 24, v50
	v_lshlrev_b32_e32 v5, 20, v5
	v_lshl_add_u32 v11, v11, 23, 0x3c000000
	v_and_b32_e32 v13, 0x80000000, v13
	v_or3_b32 v5, v5, v13, v11
	v_mov_b32_e32 v18, v6
	v_mov_b32_e32 v17, v5
.LBB223_519:                            ;   in Loop: Header=BB223_513 Depth=1
	s_or_b32 exec_lo, exec_lo, s13
.LBB223_520:                            ;   in Loop: Header=BB223_513 Depth=1
	s_or_b32 exec_lo, exec_lo, s9
.LBB223_521:                            ;   in Loop: Header=BB223_513 Depth=1
	s_or_b32 exec_lo, exec_lo, s0
	v_cmp_ne_u16_sdwa s9, v50, v6 src0_sel:BYTE_1 src1_sel:DWORD
	s_and_saveexec_b32 s0, s9
	s_cbranch_execz .LBB223_529
; %bb.522:                              ;   in Loop: Header=BB223_513 Depth=1
	v_mov_b32_e32 v11, v6
	v_mov_b32_e32 v20, v12
	v_cmp_ne_u16_sdwa s13, v50, v45 src0_sel:BYTE_1 src1_sel:DWORD
	v_mov_b32_e32 v19, v11
	s_and_saveexec_b32 s9, s13
	s_cbranch_execz .LBB223_528
; %bb.523:                              ;   in Loop: Header=BB223_513 Depth=1
	v_and_b32_sdwa v5, v46, v50 dst_sel:DWORD dst_unused:UNUSED_PAD src0_sel:DWORD src1_sel:BYTE_1
	v_mov_b32_e32 v13, v6
	v_mov_b32_e32 v20, v14
	s_mov_b32 s13, exec_lo
	v_and_b32_e32 v21, 0x7f, v5
	v_mov_b32_e32 v19, v13
	v_cmpx_ne_u32_e32 0x7f, v21
	s_cbranch_execz .LBB223_527
; %bb.524:                              ;   in Loop: Header=BB223_513 Depth=1
	v_and_b32_e32 v5, 7, v5
	v_lshrrev_b32_e32 v11, 3, v21
	s_mov_b32 s14, exec_lo
	v_cmpx_gt_u32_e32 8, v21
; %bb.525:                              ;   in Loop: Header=BB223_513 Depth=1
	v_ffbh_u32_e32 v11, v5
	v_min_u32_e32 v11, 32, v11
	v_subrev_nc_u32_e32 v13, 28, v11
	v_sub_nc_u32_e32 v11, 29, v11
	v_lshlrev_b64 v[19:20], v13, v[5:6]
	v_and_b32_e32 v5, 7, v19
; %bb.526:                              ;   in Loop: Header=BB223_513 Depth=1
	s_or_b32 exec_lo, exec_lo, s14
	v_lshlrev_b32_e32 v13, 16, v50
	v_lshlrev_b32_e32 v5, 20, v5
	v_lshl_add_u32 v11, v11, 23, 0x3c000000
	v_mov_b32_e32 v19, v6
	v_and_b32_e32 v13, 0x80000000, v13
	v_or3_b32 v20, v5, v13, v11
.LBB223_527:                            ;   in Loop: Header=BB223_513 Depth=1
	s_or_b32 exec_lo, exec_lo, s13
.LBB223_528:                            ;   in Loop: Header=BB223_513 Depth=1
	s_or_b32 exec_lo, exec_lo, s9
.LBB223_529:                            ;   in Loop: Header=BB223_513 Depth=1
	s_or_b32 exec_lo, exec_lo, s0
	v_mov_b32_e32 v23, 0
	v_mov_b32_e32 v21, 0
	v_and_b32_sdwa v5, v50, v47 dst_sel:DWORD dst_unused:UNUSED_PAD src0_sel:WORD_1 src1_sel:DWORD
	v_mov_b32_e32 v24, 0
	v_mov_b32_e32 v22, 0
	s_mov_b32 s0, exec_lo
	v_cmpx_ne_u16_e32 0, v5
	s_cbranch_execz .LBB223_537
; %bb.530:                              ;   in Loop: Header=BB223_513 Depth=1
	v_bfrev_b32_e32 v21, 1
	v_mov_b32_e32 v22, 0
	s_mov_b32 s9, exec_lo
	v_cmpx_ne_u16_e32 0x80, v5
	s_cbranch_execz .LBB223_536
; %bb.531:                              ;   in Loop: Header=BB223_513 Depth=1
	v_mov_b32_e32 v21, 0x7f800001
	v_bfe_u32 v13, v50, 16, 7
	v_mov_b32_e32 v22, 0
	s_mov_b32 s13, exec_lo
	v_cmpx_ne_u32_e32 0x7f, v13
	s_cbranch_execz .LBB223_535
; %bb.532:                              ;   in Loop: Header=BB223_513 Depth=1
	v_and_b32_sdwa v5, v50, v48 dst_sel:DWORD dst_unused:UNUSED_PAD src0_sel:WORD_1 src1_sel:DWORD
	v_lshrrev_b32_e32 v11, 3, v13
	s_mov_b32 s14, exec_lo
	v_cmpx_gt_u32_e32 8, v13
; %bb.533:                              ;   in Loop: Header=BB223_513 Depth=1
	v_ffbh_u32_e32 v11, v5
	v_min_u32_e32 v11, 32, v11
	v_subrev_nc_u32_e32 v13, 28, v11
	v_sub_nc_u32_e32 v11, 29, v11
	v_lshlrev_b64 v[21:22], v13, v[5:6]
	v_and_b32_e32 v5, 7, v21
; %bb.534:                              ;   in Loop: Header=BB223_513 Depth=1
	s_or_b32 exec_lo, exec_lo, s14
	v_lshlrev_b32_sdwa v13, v49, v50 dst_sel:DWORD dst_unused:UNUSED_PAD src0_sel:DWORD src1_sel:WORD_1
	v_lshlrev_b32_e32 v5, 20, v5
	v_lshl_add_u32 v11, v11, 23, 0x3c000000
	v_and_b32_e32 v13, 0x80000000, v13
	v_or3_b32 v5, v5, v13, v11
	v_mov_b32_e32 v22, v6
	v_mov_b32_e32 v21, v5
.LBB223_535:                            ;   in Loop: Header=BB223_513 Depth=1
	s_or_b32 exec_lo, exec_lo, s13
.LBB223_536:                            ;   in Loop: Header=BB223_513 Depth=1
	s_or_b32 exec_lo, exec_lo, s9
.LBB223_537:                            ;   in Loop: Header=BB223_513 Depth=1
	s_or_b32 exec_lo, exec_lo, s0
	s_mov_b32 s0, exec_lo
	v_cmpx_lt_u32_e32 0xffffff, v50
	s_cbranch_execz .LBB223_545
; %bb.538:                              ;   in Loop: Header=BB223_513 Depth=1
	v_mov_b32_e32 v11, v6
	v_mov_b32_e32 v24, v12
	v_cmp_ne_u32_sdwa s13, v50, v45 src0_sel:BYTE_3 src1_sel:DWORD
	v_mov_b32_e32 v23, v11
	s_and_saveexec_b32 s9, s13
	s_cbranch_execz .LBB223_544
; %bb.539:                              ;   in Loop: Header=BB223_513 Depth=1
	v_mov_b32_e32 v13, v6
	v_mov_b32_e32 v24, v14
	v_bfe_u32 v51, v50, 24, 7
	s_mov_b32 s13, exec_lo
	v_mov_b32_e32 v23, v13
	v_cmpx_ne_u32_e32 0x7f, v51
	s_cbranch_execz .LBB223_543
; %bb.540:                              ;   in Loop: Header=BB223_513 Depth=1
	v_and_b32_sdwa v5, v50, v48 dst_sel:DWORD dst_unused:UNUSED_PAD src0_sel:BYTE_3 src1_sel:DWORD
	v_lshrrev_b32_e32 v11, 3, v51
	s_mov_b32 s14, exec_lo
	v_cmpx_gt_u32_e32 8, v51
; %bb.541:                              ;   in Loop: Header=BB223_513 Depth=1
	v_ffbh_u32_e32 v11, v5
	v_min_u32_e32 v11, 32, v11
	v_subrev_nc_u32_e32 v13, 28, v11
	v_sub_nc_u32_e32 v11, 29, v11
	v_lshlrev_b64 v[23:24], v13, v[5:6]
	v_and_b32_e32 v5, 7, v23
; %bb.542:                              ;   in Loop: Header=BB223_513 Depth=1
	s_or_b32 exec_lo, exec_lo, s14
	v_lshlrev_b32_sdwa v13, v49, v50 dst_sel:DWORD dst_unused:UNUSED_PAD src0_sel:DWORD src1_sel:BYTE_3
	v_lshlrev_b32_e32 v5, 20, v5
	v_lshl_add_u32 v11, v11, 23, 0x3c000000
	v_mov_b32_e32 v23, v6
	v_and_b32_e32 v13, 0x80000000, v13
	v_or3_b32 v24, v5, v13, v11
.LBB223_543:                            ;   in Loop: Header=BB223_513 Depth=1
	s_or_b32 exec_lo, exec_lo, s13
.LBB223_544:                            ;   in Loop: Header=BB223_513 Depth=1
	s_or_b32 exec_lo, exec_lo, s9
.LBB223_545:                            ;   in Loop: Header=BB223_513 Depth=1
	s_or_b32 exec_lo, exec_lo, s0
	v_or_b32_e32 v5, v20, v18
	v_or_b32_e32 v11, v19, v17
	;; [unrolled: 1-line block ×4, first 2 shown]
	v_add_nc_u32_e32 v54, -3, v43
	v_cmp_eq_u32_e32 vcc_lo, s12, v111
	v_mul_f32_e32 v52, s6, v5
	v_mul_f32_e32 v53, s3, v11
	;; [unrolled: 1-line block ×4, first 2 shown]
	v_add_nc_u32_e32 v56, -2, v43
	v_add_nc_u32_e32 v55, -1, v43
	s_and_saveexec_b32 s9, vcc_lo
	s_cbranch_execz .LBB223_547
; %bb.546:                              ;   in Loop: Header=BB223_513 Depth=1
	v_cmp_gt_i32_e64 s0, s27, v54
	v_cndmask_b32_e64 v53, 0, v53, s0
	v_cmp_gt_i32_e64 s0, s27, v56
	v_cndmask_b32_e64 v52, 0, v52, s0
	;; [unrolled: 2-line block ×4, first 2 shown]
.LBB223_547:                            ;   in Loop: Header=BB223_513 Depth=1
	s_or_b32 exec_lo, exec_lo, s9
	global_load_dword v57, v[15:16], off offset:128
	v_mov_b32_e32 v19, 0
	v_mov_b32_e32 v17, 0
	;; [unrolled: 1-line block ×4, first 2 shown]
	s_waitcnt vmcnt(0)
	v_cmp_ne_u16_sdwa s0, v57, v6 src0_sel:BYTE_0 src1_sel:DWORD
	s_and_saveexec_b32 s9, s0
	s_cbranch_execz .LBB223_555
; %bb.548:                              ;   in Loop: Header=BB223_513 Depth=1
	v_bfrev_b32_e32 v17, 1
	v_mov_b32_e32 v18, 0
	v_cmp_ne_u16_sdwa s0, v57, v45 src0_sel:BYTE_0 src1_sel:DWORD
	s_and_saveexec_b32 s13, s0
	s_cbranch_execz .LBB223_554
; %bb.549:                              ;   in Loop: Header=BB223_513 Depth=1
	v_mov_b32_e32 v17, 0x7f800001
	v_and_b32_e32 v13, 0x7f, v57
	v_mov_b32_e32 v18, 0
	s_mov_b32 s14, exec_lo
	v_cmpx_ne_u32_e32 0x7f, v13
	s_cbranch_execz .LBB223_553
; %bb.550:                              ;   in Loop: Header=BB223_513 Depth=1
	v_and_b32_e32 v5, 7, v57
	v_lshrrev_b32_e32 v11, 3, v13
	s_mov_b32 s15, exec_lo
	v_cmpx_gt_u32_e32 8, v13
; %bb.551:                              ;   in Loop: Header=BB223_513 Depth=1
	v_ffbh_u32_e32 v11, v5
	v_min_u32_e32 v11, 32, v11
	v_subrev_nc_u32_e32 v13, 28, v11
	v_sub_nc_u32_e32 v11, 29, v11
	v_lshlrev_b64 v[17:18], v13, v[5:6]
	v_and_b32_e32 v5, 7, v17
; %bb.552:                              ;   in Loop: Header=BB223_513 Depth=1
	s_or_b32 exec_lo, exec_lo, s15
	v_lshlrev_b32_e32 v13, 24, v57
	v_lshlrev_b32_e32 v5, 20, v5
	v_lshl_add_u32 v11, v11, 23, 0x3c000000
	v_and_b32_e32 v13, 0x80000000, v13
	v_or3_b32 v5, v5, v13, v11
	v_mov_b32_e32 v18, v6
	v_mov_b32_e32 v17, v5
.LBB223_553:                            ;   in Loop: Header=BB223_513 Depth=1
	s_or_b32 exec_lo, exec_lo, s14
.LBB223_554:                            ;   in Loop: Header=BB223_513 Depth=1
	s_or_b32 exec_lo, exec_lo, s13
.LBB223_555:                            ;   in Loop: Header=BB223_513 Depth=1
	s_or_b32 exec_lo, exec_lo, s9
	v_cmp_ne_u16_sdwa s0, v57, v6 src0_sel:BYTE_1 src1_sel:DWORD
	s_and_saveexec_b32 s9, s0
	s_cbranch_execz .LBB223_563
; %bb.556:                              ;   in Loop: Header=BB223_513 Depth=1
	v_mov_b32_e32 v11, v6
	v_mov_b32_e32 v20, v12
	v_cmp_ne_u16_sdwa s0, v57, v45 src0_sel:BYTE_1 src1_sel:DWORD
	v_mov_b32_e32 v19, v11
	s_and_saveexec_b32 s13, s0
	s_cbranch_execz .LBB223_562
; %bb.557:                              ;   in Loop: Header=BB223_513 Depth=1
	v_and_b32_sdwa v5, v46, v57 dst_sel:DWORD dst_unused:UNUSED_PAD src0_sel:DWORD src1_sel:BYTE_1
	v_mov_b32_e32 v13, v6
	v_mov_b32_e32 v20, v14
	s_mov_b32 s14, exec_lo
	v_and_b32_e32 v21, 0x7f, v5
	v_mov_b32_e32 v19, v13
	v_cmpx_ne_u32_e32 0x7f, v21
	s_cbranch_execz .LBB223_561
; %bb.558:                              ;   in Loop: Header=BB223_513 Depth=1
	v_and_b32_e32 v5, 7, v5
	v_lshrrev_b32_e32 v11, 3, v21
	s_mov_b32 s15, exec_lo
	v_cmpx_gt_u32_e32 8, v21
; %bb.559:                              ;   in Loop: Header=BB223_513 Depth=1
	v_ffbh_u32_e32 v11, v5
	v_min_u32_e32 v11, 32, v11
	v_subrev_nc_u32_e32 v13, 28, v11
	v_sub_nc_u32_e32 v11, 29, v11
	v_lshlrev_b64 v[19:20], v13, v[5:6]
	v_and_b32_e32 v5, 7, v19
; %bb.560:                              ;   in Loop: Header=BB223_513 Depth=1
	s_or_b32 exec_lo, exec_lo, s15
	v_lshlrev_b32_e32 v13, 16, v57
	v_lshlrev_b32_e32 v5, 20, v5
	v_lshl_add_u32 v11, v11, 23, 0x3c000000
	v_mov_b32_e32 v19, v6
	v_and_b32_e32 v13, 0x80000000, v13
	v_or3_b32 v20, v5, v13, v11
.LBB223_561:                            ;   in Loop: Header=BB223_513 Depth=1
	s_or_b32 exec_lo, exec_lo, s14
.LBB223_562:                            ;   in Loop: Header=BB223_513 Depth=1
	s_or_b32 exec_lo, exec_lo, s13
.LBB223_563:                            ;   in Loop: Header=BB223_513 Depth=1
	s_or_b32 exec_lo, exec_lo, s9
	v_mov_b32_e32 v23, 0
	v_mov_b32_e32 v21, 0
	v_and_b32_sdwa v5, v57, v47 dst_sel:DWORD dst_unused:UNUSED_PAD src0_sel:WORD_1 src1_sel:DWORD
	v_mov_b32_e32 v24, 0
	v_mov_b32_e32 v22, 0
	s_mov_b32 s9, exec_lo
	v_cmpx_ne_u16_e32 0, v5
	s_cbranch_execz .LBB223_571
; %bb.564:                              ;   in Loop: Header=BB223_513 Depth=1
	v_bfrev_b32_e32 v21, 1
	v_mov_b32_e32 v22, 0
	s_mov_b32 s13, exec_lo
	v_cmpx_ne_u16_e32 0x80, v5
	s_cbranch_execz .LBB223_570
; %bb.565:                              ;   in Loop: Header=BB223_513 Depth=1
	v_mov_b32_e32 v21, 0x7f800001
	v_bfe_u32 v13, v57, 16, 7
	v_mov_b32_e32 v22, 0
	s_mov_b32 s14, exec_lo
	v_cmpx_ne_u32_e32 0x7f, v13
	s_cbranch_execz .LBB223_569
; %bb.566:                              ;   in Loop: Header=BB223_513 Depth=1
	v_and_b32_sdwa v5, v57, v48 dst_sel:DWORD dst_unused:UNUSED_PAD src0_sel:WORD_1 src1_sel:DWORD
	v_lshrrev_b32_e32 v11, 3, v13
	s_mov_b32 s15, exec_lo
	v_cmpx_gt_u32_e32 8, v13
; %bb.567:                              ;   in Loop: Header=BB223_513 Depth=1
	v_ffbh_u32_e32 v11, v5
	v_min_u32_e32 v11, 32, v11
	v_subrev_nc_u32_e32 v13, 28, v11
	v_sub_nc_u32_e32 v11, 29, v11
	v_lshlrev_b64 v[21:22], v13, v[5:6]
	v_and_b32_e32 v5, 7, v21
; %bb.568:                              ;   in Loop: Header=BB223_513 Depth=1
	s_or_b32 exec_lo, exec_lo, s15
	v_lshlrev_b32_sdwa v13, v49, v57 dst_sel:DWORD dst_unused:UNUSED_PAD src0_sel:DWORD src1_sel:WORD_1
	v_lshlrev_b32_e32 v5, 20, v5
	v_lshl_add_u32 v11, v11, 23, 0x3c000000
	v_and_b32_e32 v13, 0x80000000, v13
	v_or3_b32 v5, v5, v13, v11
	v_mov_b32_e32 v22, v6
	v_mov_b32_e32 v21, v5
.LBB223_569:                            ;   in Loop: Header=BB223_513 Depth=1
	s_or_b32 exec_lo, exec_lo, s14
.LBB223_570:                            ;   in Loop: Header=BB223_513 Depth=1
	s_or_b32 exec_lo, exec_lo, s13
.LBB223_571:                            ;   in Loop: Header=BB223_513 Depth=1
	s_or_b32 exec_lo, exec_lo, s9
	s_mov_b32 s9, exec_lo
	v_cmpx_lt_u32_e32 0xffffff, v57
	s_cbranch_execz .LBB223_579
; %bb.572:                              ;   in Loop: Header=BB223_513 Depth=1
	v_mov_b32_e32 v11, v6
	v_mov_b32_e32 v24, v12
	v_cmp_ne_u32_sdwa s0, v57, v45 src0_sel:BYTE_3 src1_sel:DWORD
	v_mov_b32_e32 v23, v11
	s_and_saveexec_b32 s13, s0
	s_cbranch_execz .LBB223_578
; %bb.573:                              ;   in Loop: Header=BB223_513 Depth=1
	v_mov_b32_e32 v13, v6
	v_mov_b32_e32 v24, v14
	v_bfe_u32 v58, v57, 24, 7
	s_mov_b32 s14, exec_lo
	v_mov_b32_e32 v23, v13
	v_cmpx_ne_u32_e32 0x7f, v58
	s_cbranch_execz .LBB223_577
; %bb.574:                              ;   in Loop: Header=BB223_513 Depth=1
	v_and_b32_sdwa v5, v57, v48 dst_sel:DWORD dst_unused:UNUSED_PAD src0_sel:BYTE_3 src1_sel:DWORD
	v_lshrrev_b32_e32 v11, 3, v58
	s_mov_b32 s15, exec_lo
	v_cmpx_gt_u32_e32 8, v58
; %bb.575:                              ;   in Loop: Header=BB223_513 Depth=1
	v_ffbh_u32_e32 v11, v5
	v_min_u32_e32 v11, 32, v11
	v_subrev_nc_u32_e32 v13, 28, v11
	v_sub_nc_u32_e32 v11, 29, v11
	v_lshlrev_b64 v[23:24], v13, v[5:6]
	v_and_b32_e32 v5, 7, v23
; %bb.576:                              ;   in Loop: Header=BB223_513 Depth=1
	s_or_b32 exec_lo, exec_lo, s15
	v_lshlrev_b32_sdwa v13, v49, v57 dst_sel:DWORD dst_unused:UNUSED_PAD src0_sel:DWORD src1_sel:BYTE_3
	v_lshlrev_b32_e32 v5, 20, v5
	v_lshl_add_u32 v11, v11, 23, 0x3c000000
	v_mov_b32_e32 v23, v6
	v_and_b32_e32 v13, 0x80000000, v13
	v_or3_b32 v24, v5, v13, v11
.LBB223_577:                            ;   in Loop: Header=BB223_513 Depth=1
	s_or_b32 exec_lo, exec_lo, s14
.LBB223_578:                            ;   in Loop: Header=BB223_513 Depth=1
	s_or_b32 exec_lo, exec_lo, s13
.LBB223_579:                            ;   in Loop: Header=BB223_513 Depth=1
	s_or_b32 exec_lo, exec_lo, s9
	v_or_b32_e32 v5, v20, v18
	v_or_b32_e32 v11, v19, v17
	;; [unrolled: 1-line block ×4, first 2 shown]
	v_mul_f32_e32 v59, s6, v5
	v_mul_f32_e32 v60, s3, v11
	;; [unrolled: 1-line block ×4, first 2 shown]
	s_and_saveexec_b32 s9, vcc_lo
	s_cbranch_execz .LBB223_581
; %bb.580:                              ;   in Loop: Header=BB223_513 Depth=1
	v_cmp_gt_i32_e64 s0, s27, v54
	v_cndmask_b32_e64 v60, 0, v60, s0
	v_cmp_gt_i32_e64 s0, s27, v56
	v_cndmask_b32_e64 v59, 0, v59, s0
	;; [unrolled: 2-line block ×4, first 2 shown]
.LBB223_581:                            ;   in Loop: Header=BB223_513 Depth=1
	s_or_b32 exec_lo, exec_lo, s9
	global_load_dword v61, v[15:16], off offset:256
	v_mov_b32_e32 v19, 0
	v_mov_b32_e32 v17, 0
	;; [unrolled: 1-line block ×4, first 2 shown]
	s_waitcnt vmcnt(0)
	v_cmp_ne_u16_sdwa s0, v61, v6 src0_sel:BYTE_0 src1_sel:DWORD
	s_and_saveexec_b32 s9, s0
	s_cbranch_execz .LBB223_589
; %bb.582:                              ;   in Loop: Header=BB223_513 Depth=1
	v_bfrev_b32_e32 v17, 1
	v_mov_b32_e32 v18, 0
	v_cmp_ne_u16_sdwa s0, v61, v45 src0_sel:BYTE_0 src1_sel:DWORD
	s_and_saveexec_b32 s13, s0
	s_cbranch_execz .LBB223_588
; %bb.583:                              ;   in Loop: Header=BB223_513 Depth=1
	v_mov_b32_e32 v17, 0x7f800001
	v_and_b32_e32 v13, 0x7f, v61
	v_mov_b32_e32 v18, 0
	s_mov_b32 s14, exec_lo
	v_cmpx_ne_u32_e32 0x7f, v13
	s_cbranch_execz .LBB223_587
; %bb.584:                              ;   in Loop: Header=BB223_513 Depth=1
	v_and_b32_e32 v5, 7, v61
	v_lshrrev_b32_e32 v11, 3, v13
	s_mov_b32 s15, exec_lo
	v_cmpx_gt_u32_e32 8, v13
; %bb.585:                              ;   in Loop: Header=BB223_513 Depth=1
	v_ffbh_u32_e32 v11, v5
	v_min_u32_e32 v11, 32, v11
	v_subrev_nc_u32_e32 v13, 28, v11
	v_sub_nc_u32_e32 v11, 29, v11
	v_lshlrev_b64 v[17:18], v13, v[5:6]
	v_and_b32_e32 v5, 7, v17
; %bb.586:                              ;   in Loop: Header=BB223_513 Depth=1
	s_or_b32 exec_lo, exec_lo, s15
	v_lshlrev_b32_e32 v13, 24, v61
	v_lshlrev_b32_e32 v5, 20, v5
	v_lshl_add_u32 v11, v11, 23, 0x3c000000
	v_and_b32_e32 v13, 0x80000000, v13
	v_or3_b32 v5, v5, v13, v11
	v_mov_b32_e32 v18, v6
	v_mov_b32_e32 v17, v5
.LBB223_587:                            ;   in Loop: Header=BB223_513 Depth=1
	s_or_b32 exec_lo, exec_lo, s14
.LBB223_588:                            ;   in Loop: Header=BB223_513 Depth=1
	s_or_b32 exec_lo, exec_lo, s13
.LBB223_589:                            ;   in Loop: Header=BB223_513 Depth=1
	s_or_b32 exec_lo, exec_lo, s9
	v_cmp_ne_u16_sdwa s0, v61, v6 src0_sel:BYTE_1 src1_sel:DWORD
	s_and_saveexec_b32 s9, s0
	s_cbranch_execz .LBB223_597
; %bb.590:                              ;   in Loop: Header=BB223_513 Depth=1
	v_mov_b32_e32 v11, v6
	v_mov_b32_e32 v20, v12
	v_cmp_ne_u16_sdwa s0, v61, v45 src0_sel:BYTE_1 src1_sel:DWORD
	v_mov_b32_e32 v19, v11
	s_and_saveexec_b32 s13, s0
	s_cbranch_execz .LBB223_596
; %bb.591:                              ;   in Loop: Header=BB223_513 Depth=1
	v_and_b32_sdwa v5, v46, v61 dst_sel:DWORD dst_unused:UNUSED_PAD src0_sel:DWORD src1_sel:BYTE_1
	v_mov_b32_e32 v13, v6
	v_mov_b32_e32 v20, v14
	s_mov_b32 s14, exec_lo
	v_and_b32_e32 v21, 0x7f, v5
	v_mov_b32_e32 v19, v13
	v_cmpx_ne_u32_e32 0x7f, v21
	s_cbranch_execz .LBB223_595
; %bb.592:                              ;   in Loop: Header=BB223_513 Depth=1
	v_and_b32_e32 v5, 7, v5
	v_lshrrev_b32_e32 v11, 3, v21
	s_mov_b32 s15, exec_lo
	v_cmpx_gt_u32_e32 8, v21
; %bb.593:                              ;   in Loop: Header=BB223_513 Depth=1
	v_ffbh_u32_e32 v11, v5
	v_min_u32_e32 v11, 32, v11
	v_subrev_nc_u32_e32 v13, 28, v11
	v_sub_nc_u32_e32 v11, 29, v11
	v_lshlrev_b64 v[19:20], v13, v[5:6]
	v_and_b32_e32 v5, 7, v19
; %bb.594:                              ;   in Loop: Header=BB223_513 Depth=1
	s_or_b32 exec_lo, exec_lo, s15
	v_lshlrev_b32_e32 v13, 16, v61
	v_lshlrev_b32_e32 v5, 20, v5
	v_lshl_add_u32 v11, v11, 23, 0x3c000000
	v_mov_b32_e32 v19, v6
	v_and_b32_e32 v13, 0x80000000, v13
	v_or3_b32 v20, v5, v13, v11
.LBB223_595:                            ;   in Loop: Header=BB223_513 Depth=1
	s_or_b32 exec_lo, exec_lo, s14
.LBB223_596:                            ;   in Loop: Header=BB223_513 Depth=1
	s_or_b32 exec_lo, exec_lo, s13
.LBB223_597:                            ;   in Loop: Header=BB223_513 Depth=1
	s_or_b32 exec_lo, exec_lo, s9
	v_mov_b32_e32 v23, 0
	v_mov_b32_e32 v21, 0
	v_and_b32_sdwa v5, v61, v47 dst_sel:DWORD dst_unused:UNUSED_PAD src0_sel:WORD_1 src1_sel:DWORD
	v_mov_b32_e32 v24, 0
	v_mov_b32_e32 v22, 0
	s_mov_b32 s9, exec_lo
	v_cmpx_ne_u16_e32 0, v5
	s_cbranch_execz .LBB223_605
; %bb.598:                              ;   in Loop: Header=BB223_513 Depth=1
	v_bfrev_b32_e32 v21, 1
	v_mov_b32_e32 v22, 0
	s_mov_b32 s13, exec_lo
	v_cmpx_ne_u16_e32 0x80, v5
	s_cbranch_execz .LBB223_604
; %bb.599:                              ;   in Loop: Header=BB223_513 Depth=1
	v_mov_b32_e32 v21, 0x7f800001
	v_bfe_u32 v13, v61, 16, 7
	v_mov_b32_e32 v22, 0
	s_mov_b32 s14, exec_lo
	v_cmpx_ne_u32_e32 0x7f, v13
	s_cbranch_execz .LBB223_603
; %bb.600:                              ;   in Loop: Header=BB223_513 Depth=1
	v_and_b32_sdwa v5, v61, v48 dst_sel:DWORD dst_unused:UNUSED_PAD src0_sel:WORD_1 src1_sel:DWORD
	v_lshrrev_b32_e32 v11, 3, v13
	s_mov_b32 s15, exec_lo
	v_cmpx_gt_u32_e32 8, v13
; %bb.601:                              ;   in Loop: Header=BB223_513 Depth=1
	v_ffbh_u32_e32 v11, v5
	v_min_u32_e32 v11, 32, v11
	v_subrev_nc_u32_e32 v13, 28, v11
	v_sub_nc_u32_e32 v11, 29, v11
	v_lshlrev_b64 v[21:22], v13, v[5:6]
	v_and_b32_e32 v5, 7, v21
; %bb.602:                              ;   in Loop: Header=BB223_513 Depth=1
	s_or_b32 exec_lo, exec_lo, s15
	v_lshlrev_b32_sdwa v13, v49, v61 dst_sel:DWORD dst_unused:UNUSED_PAD src0_sel:DWORD src1_sel:WORD_1
	v_lshlrev_b32_e32 v5, 20, v5
	v_lshl_add_u32 v11, v11, 23, 0x3c000000
	v_and_b32_e32 v13, 0x80000000, v13
	v_or3_b32 v5, v5, v13, v11
	v_mov_b32_e32 v22, v6
	v_mov_b32_e32 v21, v5
.LBB223_603:                            ;   in Loop: Header=BB223_513 Depth=1
	s_or_b32 exec_lo, exec_lo, s14
.LBB223_604:                            ;   in Loop: Header=BB223_513 Depth=1
	s_or_b32 exec_lo, exec_lo, s13
.LBB223_605:                            ;   in Loop: Header=BB223_513 Depth=1
	s_or_b32 exec_lo, exec_lo, s9
	s_mov_b32 s9, exec_lo
	v_cmpx_lt_u32_e32 0xffffff, v61
	s_cbranch_execz .LBB223_613
; %bb.606:                              ;   in Loop: Header=BB223_513 Depth=1
	v_mov_b32_e32 v11, v6
	v_mov_b32_e32 v24, v12
	v_cmp_ne_u32_sdwa s0, v61, v45 src0_sel:BYTE_3 src1_sel:DWORD
	v_mov_b32_e32 v23, v11
	s_and_saveexec_b32 s13, s0
	s_cbranch_execz .LBB223_612
; %bb.607:                              ;   in Loop: Header=BB223_513 Depth=1
	v_mov_b32_e32 v13, v6
	v_mov_b32_e32 v24, v14
	v_bfe_u32 v62, v61, 24, 7
	s_mov_b32 s14, exec_lo
	v_mov_b32_e32 v23, v13
	v_cmpx_ne_u32_e32 0x7f, v62
	s_cbranch_execz .LBB223_611
; %bb.608:                              ;   in Loop: Header=BB223_513 Depth=1
	v_and_b32_sdwa v5, v61, v48 dst_sel:DWORD dst_unused:UNUSED_PAD src0_sel:BYTE_3 src1_sel:DWORD
	v_lshrrev_b32_e32 v11, 3, v62
	s_mov_b32 s15, exec_lo
	v_cmpx_gt_u32_e32 8, v62
; %bb.609:                              ;   in Loop: Header=BB223_513 Depth=1
	v_ffbh_u32_e32 v11, v5
	v_min_u32_e32 v11, 32, v11
	v_subrev_nc_u32_e32 v13, 28, v11
	v_sub_nc_u32_e32 v11, 29, v11
	v_lshlrev_b64 v[23:24], v13, v[5:6]
	v_and_b32_e32 v5, 7, v23
; %bb.610:                              ;   in Loop: Header=BB223_513 Depth=1
	s_or_b32 exec_lo, exec_lo, s15
	v_lshlrev_b32_sdwa v13, v49, v61 dst_sel:DWORD dst_unused:UNUSED_PAD src0_sel:DWORD src1_sel:BYTE_3
	v_lshlrev_b32_e32 v5, 20, v5
	v_lshl_add_u32 v11, v11, 23, 0x3c000000
	v_mov_b32_e32 v23, v6
	v_and_b32_e32 v13, 0x80000000, v13
	v_or3_b32 v24, v5, v13, v11
.LBB223_611:                            ;   in Loop: Header=BB223_513 Depth=1
	s_or_b32 exec_lo, exec_lo, s14
.LBB223_612:                            ;   in Loop: Header=BB223_513 Depth=1
	s_or_b32 exec_lo, exec_lo, s13
.LBB223_613:                            ;   in Loop: Header=BB223_513 Depth=1
	s_or_b32 exec_lo, exec_lo, s9
	v_or_b32_e32 v5, v20, v18
	v_or_b32_e32 v11, v19, v17
	;; [unrolled: 1-line block ×4, first 2 shown]
	v_mul_f32_e32 v63, s6, v5
	v_mul_f32_e32 v64, s3, v11
	;; [unrolled: 1-line block ×4, first 2 shown]
	s_and_saveexec_b32 s9, vcc_lo
	s_cbranch_execz .LBB223_615
; %bb.614:                              ;   in Loop: Header=BB223_513 Depth=1
	v_cmp_gt_i32_e64 s0, s27, v54
	v_cndmask_b32_e64 v64, 0, v64, s0
	v_cmp_gt_i32_e64 s0, s27, v56
	v_cndmask_b32_e64 v63, 0, v63, s0
	;; [unrolled: 2-line block ×4, first 2 shown]
.LBB223_615:                            ;   in Loop: Header=BB223_513 Depth=1
	s_or_b32 exec_lo, exec_lo, s9
	global_load_dword v65, v[15:16], off offset:384
	v_mov_b32_e32 v19, 0
	v_mov_b32_e32 v17, 0
	;; [unrolled: 1-line block ×4, first 2 shown]
	s_waitcnt vmcnt(0)
	v_cmp_ne_u16_sdwa s0, v65, v6 src0_sel:BYTE_0 src1_sel:DWORD
	s_and_saveexec_b32 s9, s0
	s_cbranch_execz .LBB223_623
; %bb.616:                              ;   in Loop: Header=BB223_513 Depth=1
	v_bfrev_b32_e32 v17, 1
	v_mov_b32_e32 v18, 0
	v_cmp_ne_u16_sdwa s0, v65, v45 src0_sel:BYTE_0 src1_sel:DWORD
	s_and_saveexec_b32 s13, s0
	s_cbranch_execz .LBB223_622
; %bb.617:                              ;   in Loop: Header=BB223_513 Depth=1
	v_mov_b32_e32 v17, 0x7f800001
	v_and_b32_e32 v13, 0x7f, v65
	v_mov_b32_e32 v18, 0
	s_mov_b32 s14, exec_lo
	v_cmpx_ne_u32_e32 0x7f, v13
	s_cbranch_execz .LBB223_621
; %bb.618:                              ;   in Loop: Header=BB223_513 Depth=1
	v_and_b32_e32 v5, 7, v65
	v_lshrrev_b32_e32 v11, 3, v13
	s_mov_b32 s15, exec_lo
	v_cmpx_gt_u32_e32 8, v13
; %bb.619:                              ;   in Loop: Header=BB223_513 Depth=1
	v_ffbh_u32_e32 v11, v5
	v_min_u32_e32 v11, 32, v11
	v_subrev_nc_u32_e32 v13, 28, v11
	v_sub_nc_u32_e32 v11, 29, v11
	v_lshlrev_b64 v[17:18], v13, v[5:6]
	v_and_b32_e32 v5, 7, v17
; %bb.620:                              ;   in Loop: Header=BB223_513 Depth=1
	s_or_b32 exec_lo, exec_lo, s15
	v_lshlrev_b32_e32 v13, 24, v65
	v_lshlrev_b32_e32 v5, 20, v5
	v_lshl_add_u32 v11, v11, 23, 0x3c000000
	v_and_b32_e32 v13, 0x80000000, v13
	v_or3_b32 v5, v5, v13, v11
	v_mov_b32_e32 v18, v6
	v_mov_b32_e32 v17, v5
.LBB223_621:                            ;   in Loop: Header=BB223_513 Depth=1
	s_or_b32 exec_lo, exec_lo, s14
.LBB223_622:                            ;   in Loop: Header=BB223_513 Depth=1
	s_or_b32 exec_lo, exec_lo, s13
.LBB223_623:                            ;   in Loop: Header=BB223_513 Depth=1
	s_or_b32 exec_lo, exec_lo, s9
	v_cmp_ne_u16_sdwa s0, v65, v6 src0_sel:BYTE_1 src1_sel:DWORD
	s_and_saveexec_b32 s9, s0
	s_cbranch_execz .LBB223_631
; %bb.624:                              ;   in Loop: Header=BB223_513 Depth=1
	v_mov_b32_e32 v11, v6
	v_mov_b32_e32 v20, v12
	v_cmp_ne_u16_sdwa s0, v65, v45 src0_sel:BYTE_1 src1_sel:DWORD
	v_mov_b32_e32 v19, v11
	s_and_saveexec_b32 s13, s0
	s_cbranch_execz .LBB223_630
; %bb.625:                              ;   in Loop: Header=BB223_513 Depth=1
	v_and_b32_sdwa v5, v46, v65 dst_sel:DWORD dst_unused:UNUSED_PAD src0_sel:DWORD src1_sel:BYTE_1
	v_mov_b32_e32 v13, v6
	v_mov_b32_e32 v20, v14
	s_mov_b32 s14, exec_lo
	v_and_b32_e32 v21, 0x7f, v5
	v_mov_b32_e32 v19, v13
	v_cmpx_ne_u32_e32 0x7f, v21
	s_cbranch_execz .LBB223_629
; %bb.626:                              ;   in Loop: Header=BB223_513 Depth=1
	v_and_b32_e32 v5, 7, v5
	v_lshrrev_b32_e32 v11, 3, v21
	s_mov_b32 s15, exec_lo
	v_cmpx_gt_u32_e32 8, v21
; %bb.627:                              ;   in Loop: Header=BB223_513 Depth=1
	v_ffbh_u32_e32 v11, v5
	v_min_u32_e32 v11, 32, v11
	v_subrev_nc_u32_e32 v13, 28, v11
	v_sub_nc_u32_e32 v11, 29, v11
	v_lshlrev_b64 v[19:20], v13, v[5:6]
	v_and_b32_e32 v5, 7, v19
; %bb.628:                              ;   in Loop: Header=BB223_513 Depth=1
	s_or_b32 exec_lo, exec_lo, s15
	v_lshlrev_b32_e32 v13, 16, v65
	v_lshlrev_b32_e32 v5, 20, v5
	v_lshl_add_u32 v11, v11, 23, 0x3c000000
	v_mov_b32_e32 v19, v6
	v_and_b32_e32 v13, 0x80000000, v13
	v_or3_b32 v20, v5, v13, v11
.LBB223_629:                            ;   in Loop: Header=BB223_513 Depth=1
	s_or_b32 exec_lo, exec_lo, s14
.LBB223_630:                            ;   in Loop: Header=BB223_513 Depth=1
	s_or_b32 exec_lo, exec_lo, s13
.LBB223_631:                            ;   in Loop: Header=BB223_513 Depth=1
	s_or_b32 exec_lo, exec_lo, s9
	v_mov_b32_e32 v23, 0
	v_mov_b32_e32 v21, 0
	v_and_b32_sdwa v5, v65, v47 dst_sel:DWORD dst_unused:UNUSED_PAD src0_sel:WORD_1 src1_sel:DWORD
	v_mov_b32_e32 v24, 0
	v_mov_b32_e32 v22, 0
	s_mov_b32 s9, exec_lo
	v_cmpx_ne_u16_e32 0, v5
	s_cbranch_execz .LBB223_639
; %bb.632:                              ;   in Loop: Header=BB223_513 Depth=1
	v_bfrev_b32_e32 v21, 1
	v_mov_b32_e32 v22, 0
	s_mov_b32 s13, exec_lo
	v_cmpx_ne_u16_e32 0x80, v5
	s_cbranch_execz .LBB223_638
; %bb.633:                              ;   in Loop: Header=BB223_513 Depth=1
	v_mov_b32_e32 v21, 0x7f800001
	v_bfe_u32 v13, v65, 16, 7
	v_mov_b32_e32 v22, 0
	s_mov_b32 s14, exec_lo
	v_cmpx_ne_u32_e32 0x7f, v13
	s_cbranch_execz .LBB223_637
; %bb.634:                              ;   in Loop: Header=BB223_513 Depth=1
	v_and_b32_sdwa v5, v65, v48 dst_sel:DWORD dst_unused:UNUSED_PAD src0_sel:WORD_1 src1_sel:DWORD
	v_lshrrev_b32_e32 v11, 3, v13
	s_mov_b32 s15, exec_lo
	v_cmpx_gt_u32_e32 8, v13
; %bb.635:                              ;   in Loop: Header=BB223_513 Depth=1
	v_ffbh_u32_e32 v11, v5
	v_min_u32_e32 v11, 32, v11
	v_subrev_nc_u32_e32 v13, 28, v11
	v_sub_nc_u32_e32 v11, 29, v11
	v_lshlrev_b64 v[21:22], v13, v[5:6]
	v_and_b32_e32 v5, 7, v21
; %bb.636:                              ;   in Loop: Header=BB223_513 Depth=1
	s_or_b32 exec_lo, exec_lo, s15
	v_lshlrev_b32_sdwa v13, v49, v65 dst_sel:DWORD dst_unused:UNUSED_PAD src0_sel:DWORD src1_sel:WORD_1
	v_lshlrev_b32_e32 v5, 20, v5
	v_lshl_add_u32 v11, v11, 23, 0x3c000000
	v_and_b32_e32 v13, 0x80000000, v13
	v_or3_b32 v5, v5, v13, v11
	v_mov_b32_e32 v22, v6
	v_mov_b32_e32 v21, v5
.LBB223_637:                            ;   in Loop: Header=BB223_513 Depth=1
	s_or_b32 exec_lo, exec_lo, s14
.LBB223_638:                            ;   in Loop: Header=BB223_513 Depth=1
	s_or_b32 exec_lo, exec_lo, s13
.LBB223_639:                            ;   in Loop: Header=BB223_513 Depth=1
	s_or_b32 exec_lo, exec_lo, s9
	s_mov_b32 s9, exec_lo
	v_cmpx_lt_u32_e32 0xffffff, v65
	s_cbranch_execz .LBB223_647
; %bb.640:                              ;   in Loop: Header=BB223_513 Depth=1
	v_mov_b32_e32 v11, v6
	v_mov_b32_e32 v24, v12
	v_cmp_ne_u32_sdwa s0, v65, v45 src0_sel:BYTE_3 src1_sel:DWORD
	v_mov_b32_e32 v23, v11
	s_and_saveexec_b32 s13, s0
	s_cbranch_execz .LBB223_646
; %bb.641:                              ;   in Loop: Header=BB223_513 Depth=1
	v_mov_b32_e32 v13, v6
	v_mov_b32_e32 v24, v14
	v_bfe_u32 v66, v65, 24, 7
	s_mov_b32 s14, exec_lo
	v_mov_b32_e32 v23, v13
	v_cmpx_ne_u32_e32 0x7f, v66
	s_cbranch_execz .LBB223_645
; %bb.642:                              ;   in Loop: Header=BB223_513 Depth=1
	v_and_b32_sdwa v5, v65, v48 dst_sel:DWORD dst_unused:UNUSED_PAD src0_sel:BYTE_3 src1_sel:DWORD
	v_lshrrev_b32_e32 v11, 3, v66
	s_mov_b32 s15, exec_lo
	v_cmpx_gt_u32_e32 8, v66
; %bb.643:                              ;   in Loop: Header=BB223_513 Depth=1
	v_ffbh_u32_e32 v11, v5
	v_min_u32_e32 v11, 32, v11
	v_subrev_nc_u32_e32 v13, 28, v11
	v_sub_nc_u32_e32 v11, 29, v11
	v_lshlrev_b64 v[23:24], v13, v[5:6]
	v_and_b32_e32 v5, 7, v23
; %bb.644:                              ;   in Loop: Header=BB223_513 Depth=1
	s_or_b32 exec_lo, exec_lo, s15
	v_lshlrev_b32_sdwa v13, v49, v65 dst_sel:DWORD dst_unused:UNUSED_PAD src0_sel:DWORD src1_sel:BYTE_3
	v_lshlrev_b32_e32 v5, 20, v5
	v_lshl_add_u32 v11, v11, 23, 0x3c000000
	v_mov_b32_e32 v23, v6
	v_and_b32_e32 v13, 0x80000000, v13
	v_or3_b32 v24, v5, v13, v11
.LBB223_645:                            ;   in Loop: Header=BB223_513 Depth=1
	s_or_b32 exec_lo, exec_lo, s14
.LBB223_646:                            ;   in Loop: Header=BB223_513 Depth=1
	s_or_b32 exec_lo, exec_lo, s13
.LBB223_647:                            ;   in Loop: Header=BB223_513 Depth=1
	s_or_b32 exec_lo, exec_lo, s9
	v_or_b32_e32 v5, v20, v18
	v_or_b32_e32 v11, v19, v17
	;; [unrolled: 1-line block ×4, first 2 shown]
	v_mul_f32_e32 v67, s6, v5
	v_mul_f32_e32 v68, s3, v11
	;; [unrolled: 1-line block ×4, first 2 shown]
	s_and_saveexec_b32 s9, vcc_lo
	s_cbranch_execz .LBB223_649
; %bb.648:                              ;   in Loop: Header=BB223_513 Depth=1
	v_cmp_gt_i32_e64 s0, s27, v54
	v_cndmask_b32_e64 v68, 0, v68, s0
	v_cmp_gt_i32_e64 s0, s27, v56
	v_cndmask_b32_e64 v67, 0, v67, s0
	;; [unrolled: 2-line block ×4, first 2 shown]
.LBB223_649:                            ;   in Loop: Header=BB223_513 Depth=1
	s_or_b32 exec_lo, exec_lo, s9
	global_load_dword v69, v[15:16], off offset:512
	v_mov_b32_e32 v19, 0
	v_mov_b32_e32 v17, 0
	;; [unrolled: 1-line block ×4, first 2 shown]
	s_waitcnt vmcnt(0)
	v_cmp_ne_u16_sdwa s0, v69, v6 src0_sel:BYTE_0 src1_sel:DWORD
	s_and_saveexec_b32 s9, s0
	s_cbranch_execz .LBB223_657
; %bb.650:                              ;   in Loop: Header=BB223_513 Depth=1
	v_bfrev_b32_e32 v17, 1
	v_mov_b32_e32 v18, 0
	v_cmp_ne_u16_sdwa s0, v69, v45 src0_sel:BYTE_0 src1_sel:DWORD
	s_and_saveexec_b32 s13, s0
	s_cbranch_execz .LBB223_656
; %bb.651:                              ;   in Loop: Header=BB223_513 Depth=1
	v_mov_b32_e32 v17, 0x7f800001
	v_and_b32_e32 v13, 0x7f, v69
	v_mov_b32_e32 v18, 0
	s_mov_b32 s14, exec_lo
	v_cmpx_ne_u32_e32 0x7f, v13
	s_cbranch_execz .LBB223_655
; %bb.652:                              ;   in Loop: Header=BB223_513 Depth=1
	v_and_b32_e32 v5, 7, v69
	v_lshrrev_b32_e32 v11, 3, v13
	s_mov_b32 s15, exec_lo
	v_cmpx_gt_u32_e32 8, v13
; %bb.653:                              ;   in Loop: Header=BB223_513 Depth=1
	v_ffbh_u32_e32 v11, v5
	v_min_u32_e32 v11, 32, v11
	v_subrev_nc_u32_e32 v13, 28, v11
	v_sub_nc_u32_e32 v11, 29, v11
	v_lshlrev_b64 v[17:18], v13, v[5:6]
	v_and_b32_e32 v5, 7, v17
; %bb.654:                              ;   in Loop: Header=BB223_513 Depth=1
	s_or_b32 exec_lo, exec_lo, s15
	v_lshlrev_b32_e32 v13, 24, v69
	v_lshlrev_b32_e32 v5, 20, v5
	v_lshl_add_u32 v11, v11, 23, 0x3c000000
	v_and_b32_e32 v13, 0x80000000, v13
	v_or3_b32 v5, v5, v13, v11
	v_mov_b32_e32 v18, v6
	v_mov_b32_e32 v17, v5
.LBB223_655:                            ;   in Loop: Header=BB223_513 Depth=1
	s_or_b32 exec_lo, exec_lo, s14
.LBB223_656:                            ;   in Loop: Header=BB223_513 Depth=1
	s_or_b32 exec_lo, exec_lo, s13
.LBB223_657:                            ;   in Loop: Header=BB223_513 Depth=1
	s_or_b32 exec_lo, exec_lo, s9
	v_cmp_ne_u16_sdwa s0, v69, v6 src0_sel:BYTE_1 src1_sel:DWORD
	s_and_saveexec_b32 s9, s0
	s_cbranch_execz .LBB223_665
; %bb.658:                              ;   in Loop: Header=BB223_513 Depth=1
	v_mov_b32_e32 v11, v6
	v_mov_b32_e32 v20, v12
	v_cmp_ne_u16_sdwa s0, v69, v45 src0_sel:BYTE_1 src1_sel:DWORD
	v_mov_b32_e32 v19, v11
	s_and_saveexec_b32 s13, s0
	s_cbranch_execz .LBB223_664
; %bb.659:                              ;   in Loop: Header=BB223_513 Depth=1
	v_and_b32_sdwa v5, v46, v69 dst_sel:DWORD dst_unused:UNUSED_PAD src0_sel:DWORD src1_sel:BYTE_1
	v_mov_b32_e32 v13, v6
	v_mov_b32_e32 v20, v14
	s_mov_b32 s14, exec_lo
	v_and_b32_e32 v21, 0x7f, v5
	v_mov_b32_e32 v19, v13
	v_cmpx_ne_u32_e32 0x7f, v21
	s_cbranch_execz .LBB223_663
; %bb.660:                              ;   in Loop: Header=BB223_513 Depth=1
	v_and_b32_e32 v5, 7, v5
	v_lshrrev_b32_e32 v11, 3, v21
	s_mov_b32 s15, exec_lo
	v_cmpx_gt_u32_e32 8, v21
; %bb.661:                              ;   in Loop: Header=BB223_513 Depth=1
	v_ffbh_u32_e32 v11, v5
	v_min_u32_e32 v11, 32, v11
	v_subrev_nc_u32_e32 v13, 28, v11
	v_sub_nc_u32_e32 v11, 29, v11
	v_lshlrev_b64 v[19:20], v13, v[5:6]
	v_and_b32_e32 v5, 7, v19
; %bb.662:                              ;   in Loop: Header=BB223_513 Depth=1
	s_or_b32 exec_lo, exec_lo, s15
	v_lshlrev_b32_e32 v13, 16, v69
	v_lshlrev_b32_e32 v5, 20, v5
	v_lshl_add_u32 v11, v11, 23, 0x3c000000
	v_mov_b32_e32 v19, v6
	v_and_b32_e32 v13, 0x80000000, v13
	v_or3_b32 v20, v5, v13, v11
.LBB223_663:                            ;   in Loop: Header=BB223_513 Depth=1
	s_or_b32 exec_lo, exec_lo, s14
.LBB223_664:                            ;   in Loop: Header=BB223_513 Depth=1
	s_or_b32 exec_lo, exec_lo, s13
.LBB223_665:                            ;   in Loop: Header=BB223_513 Depth=1
	s_or_b32 exec_lo, exec_lo, s9
	v_mov_b32_e32 v23, 0
	v_mov_b32_e32 v21, 0
	v_and_b32_sdwa v5, v69, v47 dst_sel:DWORD dst_unused:UNUSED_PAD src0_sel:WORD_1 src1_sel:DWORD
	v_mov_b32_e32 v24, 0
	v_mov_b32_e32 v22, 0
	s_mov_b32 s9, exec_lo
	v_cmpx_ne_u16_e32 0, v5
	s_cbranch_execz .LBB223_673
; %bb.666:                              ;   in Loop: Header=BB223_513 Depth=1
	v_bfrev_b32_e32 v21, 1
	v_mov_b32_e32 v22, 0
	s_mov_b32 s13, exec_lo
	v_cmpx_ne_u16_e32 0x80, v5
	s_cbranch_execz .LBB223_672
; %bb.667:                              ;   in Loop: Header=BB223_513 Depth=1
	v_mov_b32_e32 v21, 0x7f800001
	v_bfe_u32 v13, v69, 16, 7
	v_mov_b32_e32 v22, 0
	s_mov_b32 s14, exec_lo
	v_cmpx_ne_u32_e32 0x7f, v13
	s_cbranch_execz .LBB223_671
; %bb.668:                              ;   in Loop: Header=BB223_513 Depth=1
	v_and_b32_sdwa v5, v69, v48 dst_sel:DWORD dst_unused:UNUSED_PAD src0_sel:WORD_1 src1_sel:DWORD
	v_lshrrev_b32_e32 v11, 3, v13
	s_mov_b32 s15, exec_lo
	v_cmpx_gt_u32_e32 8, v13
; %bb.669:                              ;   in Loop: Header=BB223_513 Depth=1
	v_ffbh_u32_e32 v11, v5
	v_min_u32_e32 v11, 32, v11
	v_subrev_nc_u32_e32 v13, 28, v11
	v_sub_nc_u32_e32 v11, 29, v11
	v_lshlrev_b64 v[21:22], v13, v[5:6]
	v_and_b32_e32 v5, 7, v21
; %bb.670:                              ;   in Loop: Header=BB223_513 Depth=1
	s_or_b32 exec_lo, exec_lo, s15
	v_lshlrev_b32_sdwa v13, v49, v69 dst_sel:DWORD dst_unused:UNUSED_PAD src0_sel:DWORD src1_sel:WORD_1
	v_lshlrev_b32_e32 v5, 20, v5
	v_lshl_add_u32 v11, v11, 23, 0x3c000000
	v_and_b32_e32 v13, 0x80000000, v13
	v_or3_b32 v5, v5, v13, v11
	v_mov_b32_e32 v22, v6
	v_mov_b32_e32 v21, v5
.LBB223_671:                            ;   in Loop: Header=BB223_513 Depth=1
	s_or_b32 exec_lo, exec_lo, s14
.LBB223_672:                            ;   in Loop: Header=BB223_513 Depth=1
	s_or_b32 exec_lo, exec_lo, s13
.LBB223_673:                            ;   in Loop: Header=BB223_513 Depth=1
	s_or_b32 exec_lo, exec_lo, s9
	s_mov_b32 s9, exec_lo
	v_cmpx_lt_u32_e32 0xffffff, v69
	s_cbranch_execz .LBB223_681
; %bb.674:                              ;   in Loop: Header=BB223_513 Depth=1
	v_mov_b32_e32 v11, v6
	v_mov_b32_e32 v24, v12
	v_cmp_ne_u32_sdwa s0, v69, v45 src0_sel:BYTE_3 src1_sel:DWORD
	v_mov_b32_e32 v23, v11
	s_and_saveexec_b32 s13, s0
	s_cbranch_execz .LBB223_680
; %bb.675:                              ;   in Loop: Header=BB223_513 Depth=1
	v_mov_b32_e32 v13, v6
	v_mov_b32_e32 v24, v14
	v_bfe_u32 v70, v69, 24, 7
	s_mov_b32 s14, exec_lo
	v_mov_b32_e32 v23, v13
	v_cmpx_ne_u32_e32 0x7f, v70
	s_cbranch_execz .LBB223_679
; %bb.676:                              ;   in Loop: Header=BB223_513 Depth=1
	v_and_b32_sdwa v5, v69, v48 dst_sel:DWORD dst_unused:UNUSED_PAD src0_sel:BYTE_3 src1_sel:DWORD
	v_lshrrev_b32_e32 v11, 3, v70
	s_mov_b32 s15, exec_lo
	v_cmpx_gt_u32_e32 8, v70
; %bb.677:                              ;   in Loop: Header=BB223_513 Depth=1
	v_ffbh_u32_e32 v11, v5
	v_min_u32_e32 v11, 32, v11
	v_subrev_nc_u32_e32 v13, 28, v11
	v_sub_nc_u32_e32 v11, 29, v11
	v_lshlrev_b64 v[23:24], v13, v[5:6]
	v_and_b32_e32 v5, 7, v23
; %bb.678:                              ;   in Loop: Header=BB223_513 Depth=1
	s_or_b32 exec_lo, exec_lo, s15
	v_lshlrev_b32_sdwa v13, v49, v69 dst_sel:DWORD dst_unused:UNUSED_PAD src0_sel:DWORD src1_sel:BYTE_3
	v_lshlrev_b32_e32 v5, 20, v5
	v_lshl_add_u32 v11, v11, 23, 0x3c000000
	v_mov_b32_e32 v23, v6
	v_and_b32_e32 v13, 0x80000000, v13
	v_or3_b32 v24, v5, v13, v11
.LBB223_679:                            ;   in Loop: Header=BB223_513 Depth=1
	s_or_b32 exec_lo, exec_lo, s14
.LBB223_680:                            ;   in Loop: Header=BB223_513 Depth=1
	s_or_b32 exec_lo, exec_lo, s13
.LBB223_681:                            ;   in Loop: Header=BB223_513 Depth=1
	s_or_b32 exec_lo, exec_lo, s9
	v_or_b32_e32 v5, v20, v18
	v_or_b32_e32 v11, v19, v17
	;; [unrolled: 1-line block ×4, first 2 shown]
	v_mul_f32_e32 v71, s6, v5
	v_mul_f32_e32 v72, s3, v11
	;; [unrolled: 1-line block ×4, first 2 shown]
	s_and_saveexec_b32 s9, vcc_lo
	s_cbranch_execz .LBB223_683
; %bb.682:                              ;   in Loop: Header=BB223_513 Depth=1
	v_cmp_gt_i32_e64 s0, s27, v54
	v_cndmask_b32_e64 v72, 0, v72, s0
	v_cmp_gt_i32_e64 s0, s27, v56
	v_cndmask_b32_e64 v71, 0, v71, s0
	;; [unrolled: 2-line block ×4, first 2 shown]
.LBB223_683:                            ;   in Loop: Header=BB223_513 Depth=1
	s_or_b32 exec_lo, exec_lo, s9
	global_load_dword v73, v[15:16], off offset:640
	v_mov_b32_e32 v19, 0
	v_mov_b32_e32 v17, 0
	;; [unrolled: 1-line block ×4, first 2 shown]
	s_waitcnt vmcnt(0)
	v_cmp_ne_u16_sdwa s0, v73, v6 src0_sel:BYTE_0 src1_sel:DWORD
	s_and_saveexec_b32 s9, s0
	s_cbranch_execz .LBB223_691
; %bb.684:                              ;   in Loop: Header=BB223_513 Depth=1
	v_bfrev_b32_e32 v17, 1
	v_mov_b32_e32 v18, 0
	v_cmp_ne_u16_sdwa s0, v73, v45 src0_sel:BYTE_0 src1_sel:DWORD
	s_and_saveexec_b32 s13, s0
	s_cbranch_execz .LBB223_690
; %bb.685:                              ;   in Loop: Header=BB223_513 Depth=1
	v_mov_b32_e32 v17, 0x7f800001
	v_and_b32_e32 v13, 0x7f, v73
	v_mov_b32_e32 v18, 0
	s_mov_b32 s14, exec_lo
	v_cmpx_ne_u32_e32 0x7f, v13
	s_cbranch_execz .LBB223_689
; %bb.686:                              ;   in Loop: Header=BB223_513 Depth=1
	v_and_b32_e32 v5, 7, v73
	v_lshrrev_b32_e32 v11, 3, v13
	s_mov_b32 s15, exec_lo
	v_cmpx_gt_u32_e32 8, v13
; %bb.687:                              ;   in Loop: Header=BB223_513 Depth=1
	v_ffbh_u32_e32 v11, v5
	v_min_u32_e32 v11, 32, v11
	v_subrev_nc_u32_e32 v13, 28, v11
	v_sub_nc_u32_e32 v11, 29, v11
	v_lshlrev_b64 v[17:18], v13, v[5:6]
	v_and_b32_e32 v5, 7, v17
; %bb.688:                              ;   in Loop: Header=BB223_513 Depth=1
	s_or_b32 exec_lo, exec_lo, s15
	v_lshlrev_b32_e32 v13, 24, v73
	v_lshlrev_b32_e32 v5, 20, v5
	v_lshl_add_u32 v11, v11, 23, 0x3c000000
	v_and_b32_e32 v13, 0x80000000, v13
	v_or3_b32 v5, v5, v13, v11
	v_mov_b32_e32 v18, v6
	v_mov_b32_e32 v17, v5
.LBB223_689:                            ;   in Loop: Header=BB223_513 Depth=1
	s_or_b32 exec_lo, exec_lo, s14
.LBB223_690:                            ;   in Loop: Header=BB223_513 Depth=1
	s_or_b32 exec_lo, exec_lo, s13
.LBB223_691:                            ;   in Loop: Header=BB223_513 Depth=1
	s_or_b32 exec_lo, exec_lo, s9
	v_cmp_ne_u16_sdwa s0, v73, v6 src0_sel:BYTE_1 src1_sel:DWORD
	s_and_saveexec_b32 s9, s0
	s_cbranch_execz .LBB223_699
; %bb.692:                              ;   in Loop: Header=BB223_513 Depth=1
	v_mov_b32_e32 v11, v6
	v_mov_b32_e32 v20, v12
	v_cmp_ne_u16_sdwa s0, v73, v45 src0_sel:BYTE_1 src1_sel:DWORD
	v_mov_b32_e32 v19, v11
	s_and_saveexec_b32 s13, s0
	s_cbranch_execz .LBB223_698
; %bb.693:                              ;   in Loop: Header=BB223_513 Depth=1
	v_and_b32_sdwa v5, v46, v73 dst_sel:DWORD dst_unused:UNUSED_PAD src0_sel:DWORD src1_sel:BYTE_1
	v_mov_b32_e32 v13, v6
	v_mov_b32_e32 v20, v14
	s_mov_b32 s14, exec_lo
	v_and_b32_e32 v21, 0x7f, v5
	v_mov_b32_e32 v19, v13
	v_cmpx_ne_u32_e32 0x7f, v21
	s_cbranch_execz .LBB223_697
; %bb.694:                              ;   in Loop: Header=BB223_513 Depth=1
	v_and_b32_e32 v5, 7, v5
	v_lshrrev_b32_e32 v11, 3, v21
	s_mov_b32 s15, exec_lo
	v_cmpx_gt_u32_e32 8, v21
; %bb.695:                              ;   in Loop: Header=BB223_513 Depth=1
	v_ffbh_u32_e32 v11, v5
	v_min_u32_e32 v11, 32, v11
	v_subrev_nc_u32_e32 v13, 28, v11
	v_sub_nc_u32_e32 v11, 29, v11
	v_lshlrev_b64 v[19:20], v13, v[5:6]
	v_and_b32_e32 v5, 7, v19
; %bb.696:                              ;   in Loop: Header=BB223_513 Depth=1
	s_or_b32 exec_lo, exec_lo, s15
	v_lshlrev_b32_e32 v13, 16, v73
	v_lshlrev_b32_e32 v5, 20, v5
	v_lshl_add_u32 v11, v11, 23, 0x3c000000
	v_mov_b32_e32 v19, v6
	v_and_b32_e32 v13, 0x80000000, v13
	v_or3_b32 v20, v5, v13, v11
.LBB223_697:                            ;   in Loop: Header=BB223_513 Depth=1
	s_or_b32 exec_lo, exec_lo, s14
.LBB223_698:                            ;   in Loop: Header=BB223_513 Depth=1
	s_or_b32 exec_lo, exec_lo, s13
.LBB223_699:                            ;   in Loop: Header=BB223_513 Depth=1
	s_or_b32 exec_lo, exec_lo, s9
	v_mov_b32_e32 v23, 0
	v_mov_b32_e32 v21, 0
	v_and_b32_sdwa v5, v73, v47 dst_sel:DWORD dst_unused:UNUSED_PAD src0_sel:WORD_1 src1_sel:DWORD
	v_mov_b32_e32 v24, 0
	v_mov_b32_e32 v22, 0
	s_mov_b32 s9, exec_lo
	v_cmpx_ne_u16_e32 0, v5
	s_cbranch_execz .LBB223_707
; %bb.700:                              ;   in Loop: Header=BB223_513 Depth=1
	v_bfrev_b32_e32 v21, 1
	v_mov_b32_e32 v22, 0
	s_mov_b32 s13, exec_lo
	v_cmpx_ne_u16_e32 0x80, v5
	s_cbranch_execz .LBB223_706
; %bb.701:                              ;   in Loop: Header=BB223_513 Depth=1
	v_mov_b32_e32 v21, 0x7f800001
	v_bfe_u32 v13, v73, 16, 7
	v_mov_b32_e32 v22, 0
	s_mov_b32 s14, exec_lo
	v_cmpx_ne_u32_e32 0x7f, v13
	s_cbranch_execz .LBB223_705
; %bb.702:                              ;   in Loop: Header=BB223_513 Depth=1
	v_and_b32_sdwa v5, v73, v48 dst_sel:DWORD dst_unused:UNUSED_PAD src0_sel:WORD_1 src1_sel:DWORD
	v_lshrrev_b32_e32 v11, 3, v13
	s_mov_b32 s15, exec_lo
	v_cmpx_gt_u32_e32 8, v13
; %bb.703:                              ;   in Loop: Header=BB223_513 Depth=1
	v_ffbh_u32_e32 v11, v5
	v_min_u32_e32 v11, 32, v11
	v_subrev_nc_u32_e32 v13, 28, v11
	v_sub_nc_u32_e32 v11, 29, v11
	v_lshlrev_b64 v[21:22], v13, v[5:6]
	v_and_b32_e32 v5, 7, v21
; %bb.704:                              ;   in Loop: Header=BB223_513 Depth=1
	s_or_b32 exec_lo, exec_lo, s15
	v_lshlrev_b32_sdwa v13, v49, v73 dst_sel:DWORD dst_unused:UNUSED_PAD src0_sel:DWORD src1_sel:WORD_1
	v_lshlrev_b32_e32 v5, 20, v5
	v_lshl_add_u32 v11, v11, 23, 0x3c000000
	v_and_b32_e32 v13, 0x80000000, v13
	v_or3_b32 v5, v5, v13, v11
	v_mov_b32_e32 v22, v6
	v_mov_b32_e32 v21, v5
.LBB223_705:                            ;   in Loop: Header=BB223_513 Depth=1
	s_or_b32 exec_lo, exec_lo, s14
.LBB223_706:                            ;   in Loop: Header=BB223_513 Depth=1
	s_or_b32 exec_lo, exec_lo, s13
.LBB223_707:                            ;   in Loop: Header=BB223_513 Depth=1
	s_or_b32 exec_lo, exec_lo, s9
	s_mov_b32 s9, exec_lo
	v_cmpx_lt_u32_e32 0xffffff, v73
	s_cbranch_execz .LBB223_715
; %bb.708:                              ;   in Loop: Header=BB223_513 Depth=1
	v_mov_b32_e32 v11, v6
	v_mov_b32_e32 v24, v12
	v_cmp_ne_u32_sdwa s0, v73, v45 src0_sel:BYTE_3 src1_sel:DWORD
	v_mov_b32_e32 v23, v11
	s_and_saveexec_b32 s13, s0
	s_cbranch_execz .LBB223_714
; %bb.709:                              ;   in Loop: Header=BB223_513 Depth=1
	v_mov_b32_e32 v13, v6
	v_mov_b32_e32 v24, v14
	v_bfe_u32 v74, v73, 24, 7
	s_mov_b32 s14, exec_lo
	v_mov_b32_e32 v23, v13
	v_cmpx_ne_u32_e32 0x7f, v74
	s_cbranch_execz .LBB223_713
; %bb.710:                              ;   in Loop: Header=BB223_513 Depth=1
	v_and_b32_sdwa v5, v73, v48 dst_sel:DWORD dst_unused:UNUSED_PAD src0_sel:BYTE_3 src1_sel:DWORD
	v_lshrrev_b32_e32 v11, 3, v74
	s_mov_b32 s15, exec_lo
	v_cmpx_gt_u32_e32 8, v74
; %bb.711:                              ;   in Loop: Header=BB223_513 Depth=1
	v_ffbh_u32_e32 v11, v5
	v_min_u32_e32 v11, 32, v11
	v_subrev_nc_u32_e32 v13, 28, v11
	v_sub_nc_u32_e32 v11, 29, v11
	v_lshlrev_b64 v[23:24], v13, v[5:6]
	v_and_b32_e32 v5, 7, v23
; %bb.712:                              ;   in Loop: Header=BB223_513 Depth=1
	s_or_b32 exec_lo, exec_lo, s15
	v_lshlrev_b32_sdwa v13, v49, v73 dst_sel:DWORD dst_unused:UNUSED_PAD src0_sel:DWORD src1_sel:BYTE_3
	v_lshlrev_b32_e32 v5, 20, v5
	v_lshl_add_u32 v11, v11, 23, 0x3c000000
	v_mov_b32_e32 v23, v6
	v_and_b32_e32 v13, 0x80000000, v13
	v_or3_b32 v24, v5, v13, v11
.LBB223_713:                            ;   in Loop: Header=BB223_513 Depth=1
	s_or_b32 exec_lo, exec_lo, s14
.LBB223_714:                            ;   in Loop: Header=BB223_513 Depth=1
	s_or_b32 exec_lo, exec_lo, s13
.LBB223_715:                            ;   in Loop: Header=BB223_513 Depth=1
	s_or_b32 exec_lo, exec_lo, s9
	v_or_b32_e32 v5, v20, v18
	v_or_b32_e32 v11, v19, v17
	;; [unrolled: 1-line block ×4, first 2 shown]
	v_mul_f32_e32 v75, s6, v5
	v_mul_f32_e32 v76, s3, v11
	;; [unrolled: 1-line block ×4, first 2 shown]
	s_and_saveexec_b32 s9, vcc_lo
	s_cbranch_execz .LBB223_717
; %bb.716:                              ;   in Loop: Header=BB223_513 Depth=1
	v_cmp_gt_i32_e64 s0, s27, v54
	v_cndmask_b32_e64 v76, 0, v76, s0
	v_cmp_gt_i32_e64 s0, s27, v56
	v_cndmask_b32_e64 v75, 0, v75, s0
	;; [unrolled: 2-line block ×4, first 2 shown]
.LBB223_717:                            ;   in Loop: Header=BB223_513 Depth=1
	s_or_b32 exec_lo, exec_lo, s9
	global_load_dword v77, v[15:16], off offset:768
	v_mov_b32_e32 v19, 0
	v_mov_b32_e32 v17, 0
	;; [unrolled: 1-line block ×4, first 2 shown]
	s_waitcnt vmcnt(0)
	v_cmp_ne_u16_sdwa s0, v77, v6 src0_sel:BYTE_0 src1_sel:DWORD
	s_and_saveexec_b32 s9, s0
	s_cbranch_execz .LBB223_725
; %bb.718:                              ;   in Loop: Header=BB223_513 Depth=1
	v_bfrev_b32_e32 v17, 1
	v_mov_b32_e32 v18, 0
	v_cmp_ne_u16_sdwa s0, v77, v45 src0_sel:BYTE_0 src1_sel:DWORD
	s_and_saveexec_b32 s13, s0
	s_cbranch_execz .LBB223_724
; %bb.719:                              ;   in Loop: Header=BB223_513 Depth=1
	v_mov_b32_e32 v17, 0x7f800001
	v_and_b32_e32 v13, 0x7f, v77
	v_mov_b32_e32 v18, 0
	s_mov_b32 s14, exec_lo
	v_cmpx_ne_u32_e32 0x7f, v13
	s_cbranch_execz .LBB223_723
; %bb.720:                              ;   in Loop: Header=BB223_513 Depth=1
	v_and_b32_e32 v5, 7, v77
	v_lshrrev_b32_e32 v11, 3, v13
	s_mov_b32 s15, exec_lo
	v_cmpx_gt_u32_e32 8, v13
; %bb.721:                              ;   in Loop: Header=BB223_513 Depth=1
	v_ffbh_u32_e32 v11, v5
	v_min_u32_e32 v11, 32, v11
	v_subrev_nc_u32_e32 v13, 28, v11
	v_sub_nc_u32_e32 v11, 29, v11
	v_lshlrev_b64 v[17:18], v13, v[5:6]
	v_and_b32_e32 v5, 7, v17
; %bb.722:                              ;   in Loop: Header=BB223_513 Depth=1
	s_or_b32 exec_lo, exec_lo, s15
	v_lshlrev_b32_e32 v13, 24, v77
	v_lshlrev_b32_e32 v5, 20, v5
	v_lshl_add_u32 v11, v11, 23, 0x3c000000
	v_and_b32_e32 v13, 0x80000000, v13
	v_or3_b32 v5, v5, v13, v11
	v_mov_b32_e32 v18, v6
	v_mov_b32_e32 v17, v5
.LBB223_723:                            ;   in Loop: Header=BB223_513 Depth=1
	s_or_b32 exec_lo, exec_lo, s14
.LBB223_724:                            ;   in Loop: Header=BB223_513 Depth=1
	s_or_b32 exec_lo, exec_lo, s13
.LBB223_725:                            ;   in Loop: Header=BB223_513 Depth=1
	s_or_b32 exec_lo, exec_lo, s9
	v_cmp_ne_u16_sdwa s0, v77, v6 src0_sel:BYTE_1 src1_sel:DWORD
	s_and_saveexec_b32 s9, s0
	s_cbranch_execz .LBB223_733
; %bb.726:                              ;   in Loop: Header=BB223_513 Depth=1
	v_mov_b32_e32 v11, v6
	v_mov_b32_e32 v20, v12
	v_cmp_ne_u16_sdwa s0, v77, v45 src0_sel:BYTE_1 src1_sel:DWORD
	v_mov_b32_e32 v19, v11
	s_and_saveexec_b32 s13, s0
	s_cbranch_execz .LBB223_732
; %bb.727:                              ;   in Loop: Header=BB223_513 Depth=1
	v_and_b32_sdwa v5, v46, v77 dst_sel:DWORD dst_unused:UNUSED_PAD src0_sel:DWORD src1_sel:BYTE_1
	v_mov_b32_e32 v13, v6
	v_mov_b32_e32 v20, v14
	s_mov_b32 s14, exec_lo
	v_and_b32_e32 v21, 0x7f, v5
	v_mov_b32_e32 v19, v13
	v_cmpx_ne_u32_e32 0x7f, v21
	s_cbranch_execz .LBB223_731
; %bb.728:                              ;   in Loop: Header=BB223_513 Depth=1
	v_and_b32_e32 v5, 7, v5
	v_lshrrev_b32_e32 v11, 3, v21
	s_mov_b32 s15, exec_lo
	v_cmpx_gt_u32_e32 8, v21
; %bb.729:                              ;   in Loop: Header=BB223_513 Depth=1
	v_ffbh_u32_e32 v11, v5
	v_min_u32_e32 v11, 32, v11
	v_subrev_nc_u32_e32 v13, 28, v11
	v_sub_nc_u32_e32 v11, 29, v11
	v_lshlrev_b64 v[19:20], v13, v[5:6]
	v_and_b32_e32 v5, 7, v19
; %bb.730:                              ;   in Loop: Header=BB223_513 Depth=1
	s_or_b32 exec_lo, exec_lo, s15
	v_lshlrev_b32_e32 v13, 16, v77
	v_lshlrev_b32_e32 v5, 20, v5
	v_lshl_add_u32 v11, v11, 23, 0x3c000000
	v_mov_b32_e32 v19, v6
	v_and_b32_e32 v13, 0x80000000, v13
	v_or3_b32 v20, v5, v13, v11
.LBB223_731:                            ;   in Loop: Header=BB223_513 Depth=1
	s_or_b32 exec_lo, exec_lo, s14
.LBB223_732:                            ;   in Loop: Header=BB223_513 Depth=1
	s_or_b32 exec_lo, exec_lo, s13
.LBB223_733:                            ;   in Loop: Header=BB223_513 Depth=1
	s_or_b32 exec_lo, exec_lo, s9
	v_mov_b32_e32 v23, 0
	v_mov_b32_e32 v21, 0
	v_and_b32_sdwa v5, v77, v47 dst_sel:DWORD dst_unused:UNUSED_PAD src0_sel:WORD_1 src1_sel:DWORD
	v_mov_b32_e32 v24, 0
	v_mov_b32_e32 v22, 0
	s_mov_b32 s9, exec_lo
	v_cmpx_ne_u16_e32 0, v5
	s_cbranch_execz .LBB223_741
; %bb.734:                              ;   in Loop: Header=BB223_513 Depth=1
	v_bfrev_b32_e32 v21, 1
	v_mov_b32_e32 v22, 0
	s_mov_b32 s13, exec_lo
	v_cmpx_ne_u16_e32 0x80, v5
	s_cbranch_execz .LBB223_740
; %bb.735:                              ;   in Loop: Header=BB223_513 Depth=1
	v_mov_b32_e32 v21, 0x7f800001
	v_bfe_u32 v13, v77, 16, 7
	v_mov_b32_e32 v22, 0
	s_mov_b32 s14, exec_lo
	v_cmpx_ne_u32_e32 0x7f, v13
	s_cbranch_execz .LBB223_739
; %bb.736:                              ;   in Loop: Header=BB223_513 Depth=1
	v_and_b32_sdwa v5, v77, v48 dst_sel:DWORD dst_unused:UNUSED_PAD src0_sel:WORD_1 src1_sel:DWORD
	v_lshrrev_b32_e32 v11, 3, v13
	s_mov_b32 s15, exec_lo
	v_cmpx_gt_u32_e32 8, v13
; %bb.737:                              ;   in Loop: Header=BB223_513 Depth=1
	v_ffbh_u32_e32 v11, v5
	v_min_u32_e32 v11, 32, v11
	v_subrev_nc_u32_e32 v13, 28, v11
	v_sub_nc_u32_e32 v11, 29, v11
	v_lshlrev_b64 v[21:22], v13, v[5:6]
	v_and_b32_e32 v5, 7, v21
; %bb.738:                              ;   in Loop: Header=BB223_513 Depth=1
	s_or_b32 exec_lo, exec_lo, s15
	v_lshlrev_b32_sdwa v13, v49, v77 dst_sel:DWORD dst_unused:UNUSED_PAD src0_sel:DWORD src1_sel:WORD_1
	v_lshlrev_b32_e32 v5, 20, v5
	v_lshl_add_u32 v11, v11, 23, 0x3c000000
	v_and_b32_e32 v13, 0x80000000, v13
	v_or3_b32 v5, v5, v13, v11
	v_mov_b32_e32 v22, v6
	v_mov_b32_e32 v21, v5
.LBB223_739:                            ;   in Loop: Header=BB223_513 Depth=1
	s_or_b32 exec_lo, exec_lo, s14
.LBB223_740:                            ;   in Loop: Header=BB223_513 Depth=1
	s_or_b32 exec_lo, exec_lo, s13
.LBB223_741:                            ;   in Loop: Header=BB223_513 Depth=1
	s_or_b32 exec_lo, exec_lo, s9
	s_mov_b32 s9, exec_lo
	v_cmpx_lt_u32_e32 0xffffff, v77
	s_cbranch_execz .LBB223_749
; %bb.742:                              ;   in Loop: Header=BB223_513 Depth=1
	v_mov_b32_e32 v11, v6
	v_mov_b32_e32 v24, v12
	v_cmp_ne_u32_sdwa s0, v77, v45 src0_sel:BYTE_3 src1_sel:DWORD
	v_mov_b32_e32 v23, v11
	s_and_saveexec_b32 s13, s0
	s_cbranch_execz .LBB223_748
; %bb.743:                              ;   in Loop: Header=BB223_513 Depth=1
	v_mov_b32_e32 v13, v6
	v_mov_b32_e32 v24, v14
	v_bfe_u32 v78, v77, 24, 7
	s_mov_b32 s14, exec_lo
	v_mov_b32_e32 v23, v13
	v_cmpx_ne_u32_e32 0x7f, v78
	s_cbranch_execz .LBB223_747
; %bb.744:                              ;   in Loop: Header=BB223_513 Depth=1
	v_and_b32_sdwa v5, v77, v48 dst_sel:DWORD dst_unused:UNUSED_PAD src0_sel:BYTE_3 src1_sel:DWORD
	v_lshrrev_b32_e32 v11, 3, v78
	s_mov_b32 s15, exec_lo
	v_cmpx_gt_u32_e32 8, v78
; %bb.745:                              ;   in Loop: Header=BB223_513 Depth=1
	v_ffbh_u32_e32 v11, v5
	v_min_u32_e32 v11, 32, v11
	v_subrev_nc_u32_e32 v13, 28, v11
	v_sub_nc_u32_e32 v11, 29, v11
	v_lshlrev_b64 v[23:24], v13, v[5:6]
	v_and_b32_e32 v5, 7, v23
; %bb.746:                              ;   in Loop: Header=BB223_513 Depth=1
	s_or_b32 exec_lo, exec_lo, s15
	v_lshlrev_b32_sdwa v13, v49, v77 dst_sel:DWORD dst_unused:UNUSED_PAD src0_sel:DWORD src1_sel:BYTE_3
	v_lshlrev_b32_e32 v5, 20, v5
	v_lshl_add_u32 v11, v11, 23, 0x3c000000
	v_mov_b32_e32 v23, v6
	v_and_b32_e32 v13, 0x80000000, v13
	v_or3_b32 v24, v5, v13, v11
.LBB223_747:                            ;   in Loop: Header=BB223_513 Depth=1
	s_or_b32 exec_lo, exec_lo, s14
.LBB223_748:                            ;   in Loop: Header=BB223_513 Depth=1
	s_or_b32 exec_lo, exec_lo, s13
.LBB223_749:                            ;   in Loop: Header=BB223_513 Depth=1
	s_or_b32 exec_lo, exec_lo, s9
	v_or_b32_e32 v5, v20, v18
	v_or_b32_e32 v11, v19, v17
	;; [unrolled: 1-line block ×4, first 2 shown]
	v_mul_f32_e32 v79, s6, v5
	v_mul_f32_e32 v80, s3, v11
	;; [unrolled: 1-line block ×4, first 2 shown]
	s_and_saveexec_b32 s9, vcc_lo
	s_cbranch_execz .LBB223_751
; %bb.750:                              ;   in Loop: Header=BB223_513 Depth=1
	v_cmp_gt_i32_e64 s0, s27, v54
	v_cndmask_b32_e64 v80, 0, v80, s0
	v_cmp_gt_i32_e64 s0, s27, v56
	v_cndmask_b32_e64 v79, 0, v79, s0
	;; [unrolled: 2-line block ×4, first 2 shown]
.LBB223_751:                            ;   in Loop: Header=BB223_513 Depth=1
	s_or_b32 exec_lo, exec_lo, s9
	global_load_dword v81, v[15:16], off offset:896
	v_mov_b32_e32 v19, 0
	v_mov_b32_e32 v17, 0
	;; [unrolled: 1-line block ×4, first 2 shown]
	s_waitcnt vmcnt(0)
	v_cmp_ne_u16_sdwa s0, v81, v6 src0_sel:BYTE_0 src1_sel:DWORD
	s_and_saveexec_b32 s9, s0
	s_cbranch_execz .LBB223_759
; %bb.752:                              ;   in Loop: Header=BB223_513 Depth=1
	v_bfrev_b32_e32 v17, 1
	v_mov_b32_e32 v18, 0
	v_cmp_ne_u16_sdwa s0, v81, v45 src0_sel:BYTE_0 src1_sel:DWORD
	s_and_saveexec_b32 s13, s0
	s_cbranch_execz .LBB223_758
; %bb.753:                              ;   in Loop: Header=BB223_513 Depth=1
	v_mov_b32_e32 v17, 0x7f800001
	v_and_b32_e32 v13, 0x7f, v81
	v_mov_b32_e32 v18, 0
	s_mov_b32 s14, exec_lo
	v_cmpx_ne_u32_e32 0x7f, v13
	s_cbranch_execz .LBB223_757
; %bb.754:                              ;   in Loop: Header=BB223_513 Depth=1
	v_and_b32_e32 v5, 7, v81
	v_lshrrev_b32_e32 v11, 3, v13
	s_mov_b32 s15, exec_lo
	v_cmpx_gt_u32_e32 8, v13
; %bb.755:                              ;   in Loop: Header=BB223_513 Depth=1
	v_ffbh_u32_e32 v11, v5
	v_min_u32_e32 v11, 32, v11
	v_subrev_nc_u32_e32 v13, 28, v11
	v_sub_nc_u32_e32 v11, 29, v11
	v_lshlrev_b64 v[17:18], v13, v[5:6]
	v_and_b32_e32 v5, 7, v17
; %bb.756:                              ;   in Loop: Header=BB223_513 Depth=1
	s_or_b32 exec_lo, exec_lo, s15
	v_lshlrev_b32_e32 v13, 24, v81
	v_lshlrev_b32_e32 v5, 20, v5
	v_lshl_add_u32 v11, v11, 23, 0x3c000000
	v_and_b32_e32 v13, 0x80000000, v13
	v_or3_b32 v5, v5, v13, v11
	v_mov_b32_e32 v18, v6
	v_mov_b32_e32 v17, v5
.LBB223_757:                            ;   in Loop: Header=BB223_513 Depth=1
	s_or_b32 exec_lo, exec_lo, s14
.LBB223_758:                            ;   in Loop: Header=BB223_513 Depth=1
	s_or_b32 exec_lo, exec_lo, s13
.LBB223_759:                            ;   in Loop: Header=BB223_513 Depth=1
	s_or_b32 exec_lo, exec_lo, s9
	v_cmp_ne_u16_sdwa s0, v81, v6 src0_sel:BYTE_1 src1_sel:DWORD
	s_and_saveexec_b32 s9, s0
	s_cbranch_execz .LBB223_767
; %bb.760:                              ;   in Loop: Header=BB223_513 Depth=1
	v_mov_b32_e32 v11, v6
	v_mov_b32_e32 v20, v12
	v_cmp_ne_u16_sdwa s0, v81, v45 src0_sel:BYTE_1 src1_sel:DWORD
	v_mov_b32_e32 v19, v11
	s_and_saveexec_b32 s13, s0
	s_cbranch_execz .LBB223_766
; %bb.761:                              ;   in Loop: Header=BB223_513 Depth=1
	v_and_b32_sdwa v5, v46, v81 dst_sel:DWORD dst_unused:UNUSED_PAD src0_sel:DWORD src1_sel:BYTE_1
	v_mov_b32_e32 v13, v6
	v_mov_b32_e32 v20, v14
	s_mov_b32 s14, exec_lo
	v_and_b32_e32 v21, 0x7f, v5
	v_mov_b32_e32 v19, v13
	v_cmpx_ne_u32_e32 0x7f, v21
	s_cbranch_execz .LBB223_765
; %bb.762:                              ;   in Loop: Header=BB223_513 Depth=1
	v_and_b32_e32 v5, 7, v5
	v_lshrrev_b32_e32 v11, 3, v21
	s_mov_b32 s15, exec_lo
	v_cmpx_gt_u32_e32 8, v21
; %bb.763:                              ;   in Loop: Header=BB223_513 Depth=1
	v_ffbh_u32_e32 v11, v5
	v_min_u32_e32 v11, 32, v11
	v_subrev_nc_u32_e32 v13, 28, v11
	v_sub_nc_u32_e32 v11, 29, v11
	v_lshlrev_b64 v[19:20], v13, v[5:6]
	v_and_b32_e32 v5, 7, v19
; %bb.764:                              ;   in Loop: Header=BB223_513 Depth=1
	s_or_b32 exec_lo, exec_lo, s15
	v_lshlrev_b32_e32 v13, 16, v81
	v_lshlrev_b32_e32 v5, 20, v5
	v_lshl_add_u32 v11, v11, 23, 0x3c000000
	v_mov_b32_e32 v19, v6
	v_and_b32_e32 v13, 0x80000000, v13
	v_or3_b32 v20, v5, v13, v11
.LBB223_765:                            ;   in Loop: Header=BB223_513 Depth=1
	s_or_b32 exec_lo, exec_lo, s14
.LBB223_766:                            ;   in Loop: Header=BB223_513 Depth=1
	s_or_b32 exec_lo, exec_lo, s13
.LBB223_767:                            ;   in Loop: Header=BB223_513 Depth=1
	s_or_b32 exec_lo, exec_lo, s9
	v_mov_b32_e32 v23, 0
	v_mov_b32_e32 v21, 0
	v_and_b32_sdwa v5, v81, v47 dst_sel:DWORD dst_unused:UNUSED_PAD src0_sel:WORD_1 src1_sel:DWORD
	v_mov_b32_e32 v24, 0
	v_mov_b32_e32 v22, 0
	s_mov_b32 s9, exec_lo
	v_cmpx_ne_u16_e32 0, v5
	s_cbranch_execz .LBB223_775
; %bb.768:                              ;   in Loop: Header=BB223_513 Depth=1
	v_bfrev_b32_e32 v21, 1
	v_mov_b32_e32 v22, 0
	s_mov_b32 s13, exec_lo
	v_cmpx_ne_u16_e32 0x80, v5
	s_cbranch_execz .LBB223_774
; %bb.769:                              ;   in Loop: Header=BB223_513 Depth=1
	v_mov_b32_e32 v21, 0x7f800001
	v_bfe_u32 v13, v81, 16, 7
	v_mov_b32_e32 v22, 0
	s_mov_b32 s14, exec_lo
	v_cmpx_ne_u32_e32 0x7f, v13
	s_cbranch_execz .LBB223_773
; %bb.770:                              ;   in Loop: Header=BB223_513 Depth=1
	v_and_b32_sdwa v5, v81, v48 dst_sel:DWORD dst_unused:UNUSED_PAD src0_sel:WORD_1 src1_sel:DWORD
	v_lshrrev_b32_e32 v11, 3, v13
	s_mov_b32 s15, exec_lo
	v_cmpx_gt_u32_e32 8, v13
; %bb.771:                              ;   in Loop: Header=BB223_513 Depth=1
	v_ffbh_u32_e32 v11, v5
	v_min_u32_e32 v11, 32, v11
	v_subrev_nc_u32_e32 v13, 28, v11
	v_sub_nc_u32_e32 v11, 29, v11
	v_lshlrev_b64 v[21:22], v13, v[5:6]
	v_and_b32_e32 v5, 7, v21
; %bb.772:                              ;   in Loop: Header=BB223_513 Depth=1
	s_or_b32 exec_lo, exec_lo, s15
	v_lshlrev_b32_sdwa v13, v49, v81 dst_sel:DWORD dst_unused:UNUSED_PAD src0_sel:DWORD src1_sel:WORD_1
	v_lshlrev_b32_e32 v5, 20, v5
	v_lshl_add_u32 v11, v11, 23, 0x3c000000
	v_and_b32_e32 v13, 0x80000000, v13
	v_or3_b32 v5, v5, v13, v11
	v_mov_b32_e32 v22, v6
	v_mov_b32_e32 v21, v5
.LBB223_773:                            ;   in Loop: Header=BB223_513 Depth=1
	s_or_b32 exec_lo, exec_lo, s14
.LBB223_774:                            ;   in Loop: Header=BB223_513 Depth=1
	s_or_b32 exec_lo, exec_lo, s13
.LBB223_775:                            ;   in Loop: Header=BB223_513 Depth=1
	s_or_b32 exec_lo, exec_lo, s9
	s_mov_b32 s9, exec_lo
	v_cmpx_lt_u32_e32 0xffffff, v81
	s_cbranch_execz .LBB223_783
; %bb.776:                              ;   in Loop: Header=BB223_513 Depth=1
	v_mov_b32_e32 v11, v6
	v_mov_b32_e32 v24, v12
	v_cmp_ne_u32_sdwa s0, v81, v45 src0_sel:BYTE_3 src1_sel:DWORD
	v_mov_b32_e32 v23, v11
	s_and_saveexec_b32 s13, s0
	s_cbranch_execz .LBB223_782
; %bb.777:                              ;   in Loop: Header=BB223_513 Depth=1
	v_mov_b32_e32 v13, v6
	v_mov_b32_e32 v24, v14
	v_bfe_u32 v82, v81, 24, 7
	s_mov_b32 s14, exec_lo
	v_mov_b32_e32 v23, v13
	v_cmpx_ne_u32_e32 0x7f, v82
	s_cbranch_execz .LBB223_781
; %bb.778:                              ;   in Loop: Header=BB223_513 Depth=1
	v_and_b32_sdwa v5, v81, v48 dst_sel:DWORD dst_unused:UNUSED_PAD src0_sel:BYTE_3 src1_sel:DWORD
	v_lshrrev_b32_e32 v11, 3, v82
	s_mov_b32 s15, exec_lo
	v_cmpx_gt_u32_e32 8, v82
; %bb.779:                              ;   in Loop: Header=BB223_513 Depth=1
	v_ffbh_u32_e32 v11, v5
	v_min_u32_e32 v11, 32, v11
	v_subrev_nc_u32_e32 v13, 28, v11
	v_sub_nc_u32_e32 v11, 29, v11
	v_lshlrev_b64 v[23:24], v13, v[5:6]
	v_and_b32_e32 v5, 7, v23
; %bb.780:                              ;   in Loop: Header=BB223_513 Depth=1
	s_or_b32 exec_lo, exec_lo, s15
	v_lshlrev_b32_sdwa v13, v49, v81 dst_sel:DWORD dst_unused:UNUSED_PAD src0_sel:DWORD src1_sel:BYTE_3
	v_lshlrev_b32_e32 v5, 20, v5
	v_lshl_add_u32 v11, v11, 23, 0x3c000000
	v_mov_b32_e32 v23, v6
	v_and_b32_e32 v13, 0x80000000, v13
	v_or3_b32 v24, v5, v13, v11
.LBB223_781:                            ;   in Loop: Header=BB223_513 Depth=1
	s_or_b32 exec_lo, exec_lo, s14
.LBB223_782:                            ;   in Loop: Header=BB223_513 Depth=1
	s_or_b32 exec_lo, exec_lo, s13
.LBB223_783:                            ;   in Loop: Header=BB223_513 Depth=1
	s_or_b32 exec_lo, exec_lo, s9
	v_or_b32_e32 v5, v20, v18
	v_or_b32_e32 v11, v19, v17
	;; [unrolled: 1-line block ×4, first 2 shown]
	v_mul_f32_e32 v83, s6, v5
	v_mul_f32_e32 v84, s3, v11
	v_mul_f32_e32 v82, s3, v13
	v_mul_f32_e32 v81, s6, v17
	s_and_saveexec_b32 s9, vcc_lo
	s_cbranch_execz .LBB223_785
; %bb.784:                              ;   in Loop: Header=BB223_513 Depth=1
	v_cmp_gt_i32_e64 s0, s27, v54
	v_cndmask_b32_e64 v84, 0, v84, s0
	v_cmp_gt_i32_e64 s0, s27, v56
	v_cndmask_b32_e64 v83, 0, v83, s0
	;; [unrolled: 2-line block ×4, first 2 shown]
.LBB223_785:                            ;   in Loop: Header=BB223_513 Depth=1
	s_or_b32 exec_lo, exec_lo, s9
	global_load_dword v85, v[15:16], off offset:1024
	v_mov_b32_e32 v19, 0
	v_mov_b32_e32 v17, 0
	;; [unrolled: 1-line block ×4, first 2 shown]
	s_waitcnt vmcnt(0)
	v_cmp_ne_u16_sdwa s0, v85, v6 src0_sel:BYTE_0 src1_sel:DWORD
	s_and_saveexec_b32 s9, s0
	s_cbranch_execz .LBB223_793
; %bb.786:                              ;   in Loop: Header=BB223_513 Depth=1
	v_bfrev_b32_e32 v17, 1
	v_mov_b32_e32 v18, 0
	v_cmp_ne_u16_sdwa s0, v85, v45 src0_sel:BYTE_0 src1_sel:DWORD
	s_and_saveexec_b32 s13, s0
	s_cbranch_execz .LBB223_792
; %bb.787:                              ;   in Loop: Header=BB223_513 Depth=1
	v_mov_b32_e32 v17, 0x7f800001
	v_and_b32_e32 v13, 0x7f, v85
	v_mov_b32_e32 v18, 0
	s_mov_b32 s14, exec_lo
	v_cmpx_ne_u32_e32 0x7f, v13
	s_cbranch_execz .LBB223_791
; %bb.788:                              ;   in Loop: Header=BB223_513 Depth=1
	v_and_b32_e32 v5, 7, v85
	v_lshrrev_b32_e32 v11, 3, v13
	s_mov_b32 s15, exec_lo
	v_cmpx_gt_u32_e32 8, v13
; %bb.789:                              ;   in Loop: Header=BB223_513 Depth=1
	v_ffbh_u32_e32 v11, v5
	v_min_u32_e32 v11, 32, v11
	v_subrev_nc_u32_e32 v13, 28, v11
	v_sub_nc_u32_e32 v11, 29, v11
	v_lshlrev_b64 v[17:18], v13, v[5:6]
	v_and_b32_e32 v5, 7, v17
; %bb.790:                              ;   in Loop: Header=BB223_513 Depth=1
	s_or_b32 exec_lo, exec_lo, s15
	v_lshlrev_b32_e32 v13, 24, v85
	v_lshlrev_b32_e32 v5, 20, v5
	v_lshl_add_u32 v11, v11, 23, 0x3c000000
	v_and_b32_e32 v13, 0x80000000, v13
	v_or3_b32 v5, v5, v13, v11
	v_mov_b32_e32 v18, v6
	v_mov_b32_e32 v17, v5
.LBB223_791:                            ;   in Loop: Header=BB223_513 Depth=1
	s_or_b32 exec_lo, exec_lo, s14
.LBB223_792:                            ;   in Loop: Header=BB223_513 Depth=1
	s_or_b32 exec_lo, exec_lo, s13
.LBB223_793:                            ;   in Loop: Header=BB223_513 Depth=1
	s_or_b32 exec_lo, exec_lo, s9
	v_cmp_ne_u16_sdwa s0, v85, v6 src0_sel:BYTE_1 src1_sel:DWORD
	s_and_saveexec_b32 s9, s0
	s_cbranch_execz .LBB223_801
; %bb.794:                              ;   in Loop: Header=BB223_513 Depth=1
	v_mov_b32_e32 v11, v6
	v_mov_b32_e32 v20, v12
	v_cmp_ne_u16_sdwa s0, v85, v45 src0_sel:BYTE_1 src1_sel:DWORD
	v_mov_b32_e32 v19, v11
	s_and_saveexec_b32 s13, s0
	s_cbranch_execz .LBB223_800
; %bb.795:                              ;   in Loop: Header=BB223_513 Depth=1
	v_and_b32_sdwa v5, v46, v85 dst_sel:DWORD dst_unused:UNUSED_PAD src0_sel:DWORD src1_sel:BYTE_1
	v_mov_b32_e32 v13, v6
	v_mov_b32_e32 v20, v14
	s_mov_b32 s14, exec_lo
	v_and_b32_e32 v21, 0x7f, v5
	v_mov_b32_e32 v19, v13
	v_cmpx_ne_u32_e32 0x7f, v21
	s_cbranch_execz .LBB223_799
; %bb.796:                              ;   in Loop: Header=BB223_513 Depth=1
	v_and_b32_e32 v5, 7, v5
	v_lshrrev_b32_e32 v11, 3, v21
	s_mov_b32 s15, exec_lo
	v_cmpx_gt_u32_e32 8, v21
; %bb.797:                              ;   in Loop: Header=BB223_513 Depth=1
	v_ffbh_u32_e32 v11, v5
	v_min_u32_e32 v11, 32, v11
	v_subrev_nc_u32_e32 v13, 28, v11
	v_sub_nc_u32_e32 v11, 29, v11
	v_lshlrev_b64 v[19:20], v13, v[5:6]
	v_and_b32_e32 v5, 7, v19
; %bb.798:                              ;   in Loop: Header=BB223_513 Depth=1
	s_or_b32 exec_lo, exec_lo, s15
	v_lshlrev_b32_e32 v13, 16, v85
	v_lshlrev_b32_e32 v5, 20, v5
	v_lshl_add_u32 v11, v11, 23, 0x3c000000
	v_mov_b32_e32 v19, v6
	v_and_b32_e32 v13, 0x80000000, v13
	v_or3_b32 v20, v5, v13, v11
.LBB223_799:                            ;   in Loop: Header=BB223_513 Depth=1
	s_or_b32 exec_lo, exec_lo, s14
.LBB223_800:                            ;   in Loop: Header=BB223_513 Depth=1
	s_or_b32 exec_lo, exec_lo, s13
.LBB223_801:                            ;   in Loop: Header=BB223_513 Depth=1
	s_or_b32 exec_lo, exec_lo, s9
	v_mov_b32_e32 v23, 0
	v_mov_b32_e32 v21, 0
	v_and_b32_sdwa v5, v85, v47 dst_sel:DWORD dst_unused:UNUSED_PAD src0_sel:WORD_1 src1_sel:DWORD
	v_mov_b32_e32 v24, 0
	v_mov_b32_e32 v22, 0
	s_mov_b32 s9, exec_lo
	v_cmpx_ne_u16_e32 0, v5
	s_cbranch_execz .LBB223_809
; %bb.802:                              ;   in Loop: Header=BB223_513 Depth=1
	v_bfrev_b32_e32 v21, 1
	v_mov_b32_e32 v22, 0
	s_mov_b32 s13, exec_lo
	v_cmpx_ne_u16_e32 0x80, v5
	s_cbranch_execz .LBB223_808
; %bb.803:                              ;   in Loop: Header=BB223_513 Depth=1
	v_mov_b32_e32 v21, 0x7f800001
	v_bfe_u32 v13, v85, 16, 7
	v_mov_b32_e32 v22, 0
	s_mov_b32 s14, exec_lo
	v_cmpx_ne_u32_e32 0x7f, v13
	s_cbranch_execz .LBB223_807
; %bb.804:                              ;   in Loop: Header=BB223_513 Depth=1
	v_and_b32_sdwa v5, v85, v48 dst_sel:DWORD dst_unused:UNUSED_PAD src0_sel:WORD_1 src1_sel:DWORD
	v_lshrrev_b32_e32 v11, 3, v13
	s_mov_b32 s15, exec_lo
	v_cmpx_gt_u32_e32 8, v13
; %bb.805:                              ;   in Loop: Header=BB223_513 Depth=1
	v_ffbh_u32_e32 v11, v5
	v_min_u32_e32 v11, 32, v11
	v_subrev_nc_u32_e32 v13, 28, v11
	v_sub_nc_u32_e32 v11, 29, v11
	v_lshlrev_b64 v[21:22], v13, v[5:6]
	v_and_b32_e32 v5, 7, v21
; %bb.806:                              ;   in Loop: Header=BB223_513 Depth=1
	s_or_b32 exec_lo, exec_lo, s15
	v_lshlrev_b32_sdwa v13, v49, v85 dst_sel:DWORD dst_unused:UNUSED_PAD src0_sel:DWORD src1_sel:WORD_1
	v_lshlrev_b32_e32 v5, 20, v5
	v_lshl_add_u32 v11, v11, 23, 0x3c000000
	v_and_b32_e32 v13, 0x80000000, v13
	v_or3_b32 v5, v5, v13, v11
	v_mov_b32_e32 v22, v6
	v_mov_b32_e32 v21, v5
.LBB223_807:                            ;   in Loop: Header=BB223_513 Depth=1
	s_or_b32 exec_lo, exec_lo, s14
.LBB223_808:                            ;   in Loop: Header=BB223_513 Depth=1
	s_or_b32 exec_lo, exec_lo, s13
.LBB223_809:                            ;   in Loop: Header=BB223_513 Depth=1
	s_or_b32 exec_lo, exec_lo, s9
	s_mov_b32 s9, exec_lo
	v_cmpx_lt_u32_e32 0xffffff, v85
	s_cbranch_execz .LBB223_817
; %bb.810:                              ;   in Loop: Header=BB223_513 Depth=1
	v_mov_b32_e32 v11, v6
	v_mov_b32_e32 v24, v12
	v_cmp_ne_u32_sdwa s0, v85, v45 src0_sel:BYTE_3 src1_sel:DWORD
	v_mov_b32_e32 v23, v11
	s_and_saveexec_b32 s13, s0
	s_cbranch_execz .LBB223_816
; %bb.811:                              ;   in Loop: Header=BB223_513 Depth=1
	v_mov_b32_e32 v13, v6
	v_mov_b32_e32 v24, v14
	v_bfe_u32 v86, v85, 24, 7
	s_mov_b32 s14, exec_lo
	v_mov_b32_e32 v23, v13
	v_cmpx_ne_u32_e32 0x7f, v86
	s_cbranch_execz .LBB223_815
; %bb.812:                              ;   in Loop: Header=BB223_513 Depth=1
	v_and_b32_sdwa v5, v85, v48 dst_sel:DWORD dst_unused:UNUSED_PAD src0_sel:BYTE_3 src1_sel:DWORD
	v_lshrrev_b32_e32 v11, 3, v86
	s_mov_b32 s15, exec_lo
	v_cmpx_gt_u32_e32 8, v86
; %bb.813:                              ;   in Loop: Header=BB223_513 Depth=1
	v_ffbh_u32_e32 v11, v5
	v_min_u32_e32 v11, 32, v11
	v_subrev_nc_u32_e32 v13, 28, v11
	v_sub_nc_u32_e32 v11, 29, v11
	v_lshlrev_b64 v[23:24], v13, v[5:6]
	v_and_b32_e32 v5, 7, v23
; %bb.814:                              ;   in Loop: Header=BB223_513 Depth=1
	s_or_b32 exec_lo, exec_lo, s15
	v_lshlrev_b32_sdwa v13, v49, v85 dst_sel:DWORD dst_unused:UNUSED_PAD src0_sel:DWORD src1_sel:BYTE_3
	v_lshlrev_b32_e32 v5, 20, v5
	v_lshl_add_u32 v11, v11, 23, 0x3c000000
	v_mov_b32_e32 v23, v6
	v_and_b32_e32 v13, 0x80000000, v13
	v_or3_b32 v24, v5, v13, v11
.LBB223_815:                            ;   in Loop: Header=BB223_513 Depth=1
	s_or_b32 exec_lo, exec_lo, s14
.LBB223_816:                            ;   in Loop: Header=BB223_513 Depth=1
	s_or_b32 exec_lo, exec_lo, s13
.LBB223_817:                            ;   in Loop: Header=BB223_513 Depth=1
	s_or_b32 exec_lo, exec_lo, s9
	v_or_b32_e32 v5, v20, v18
	v_or_b32_e32 v11, v19, v17
	;; [unrolled: 1-line block ×4, first 2 shown]
	v_mul_f32_e32 v87, s6, v5
	v_mul_f32_e32 v88, s3, v11
	;; [unrolled: 1-line block ×4, first 2 shown]
	s_and_saveexec_b32 s9, vcc_lo
	s_cbranch_execz .LBB223_819
; %bb.818:                              ;   in Loop: Header=BB223_513 Depth=1
	v_cmp_gt_i32_e64 s0, s27, v54
	v_cndmask_b32_e64 v88, 0, v88, s0
	v_cmp_gt_i32_e64 s0, s27, v56
	v_cndmask_b32_e64 v87, 0, v87, s0
	;; [unrolled: 2-line block ×4, first 2 shown]
.LBB223_819:                            ;   in Loop: Header=BB223_513 Depth=1
	s_or_b32 exec_lo, exec_lo, s9
	global_load_dword v89, v[15:16], off offset:1152
	v_mov_b32_e32 v19, 0
	v_mov_b32_e32 v17, 0
	;; [unrolled: 1-line block ×4, first 2 shown]
	s_waitcnt vmcnt(0)
	v_cmp_ne_u16_sdwa s0, v89, v6 src0_sel:BYTE_0 src1_sel:DWORD
	s_and_saveexec_b32 s9, s0
	s_cbranch_execz .LBB223_827
; %bb.820:                              ;   in Loop: Header=BB223_513 Depth=1
	v_bfrev_b32_e32 v17, 1
	v_mov_b32_e32 v18, 0
	v_cmp_ne_u16_sdwa s0, v89, v45 src0_sel:BYTE_0 src1_sel:DWORD
	s_and_saveexec_b32 s13, s0
	s_cbranch_execz .LBB223_826
; %bb.821:                              ;   in Loop: Header=BB223_513 Depth=1
	v_mov_b32_e32 v17, 0x7f800001
	v_and_b32_e32 v13, 0x7f, v89
	v_mov_b32_e32 v18, 0
	s_mov_b32 s14, exec_lo
	v_cmpx_ne_u32_e32 0x7f, v13
	s_cbranch_execz .LBB223_825
; %bb.822:                              ;   in Loop: Header=BB223_513 Depth=1
	v_and_b32_e32 v5, 7, v89
	v_lshrrev_b32_e32 v11, 3, v13
	s_mov_b32 s15, exec_lo
	v_cmpx_gt_u32_e32 8, v13
; %bb.823:                              ;   in Loop: Header=BB223_513 Depth=1
	v_ffbh_u32_e32 v11, v5
	v_min_u32_e32 v11, 32, v11
	v_subrev_nc_u32_e32 v13, 28, v11
	v_sub_nc_u32_e32 v11, 29, v11
	v_lshlrev_b64 v[17:18], v13, v[5:6]
	v_and_b32_e32 v5, 7, v17
; %bb.824:                              ;   in Loop: Header=BB223_513 Depth=1
	s_or_b32 exec_lo, exec_lo, s15
	v_lshlrev_b32_e32 v13, 24, v89
	v_lshlrev_b32_e32 v5, 20, v5
	v_lshl_add_u32 v11, v11, 23, 0x3c000000
	v_and_b32_e32 v13, 0x80000000, v13
	v_or3_b32 v5, v5, v13, v11
	v_mov_b32_e32 v18, v6
	v_mov_b32_e32 v17, v5
.LBB223_825:                            ;   in Loop: Header=BB223_513 Depth=1
	s_or_b32 exec_lo, exec_lo, s14
.LBB223_826:                            ;   in Loop: Header=BB223_513 Depth=1
	s_or_b32 exec_lo, exec_lo, s13
.LBB223_827:                            ;   in Loop: Header=BB223_513 Depth=1
	s_or_b32 exec_lo, exec_lo, s9
	v_cmp_ne_u16_sdwa s0, v89, v6 src0_sel:BYTE_1 src1_sel:DWORD
	s_and_saveexec_b32 s9, s0
	s_cbranch_execz .LBB223_835
; %bb.828:                              ;   in Loop: Header=BB223_513 Depth=1
	v_mov_b32_e32 v11, v6
	v_mov_b32_e32 v20, v12
	v_cmp_ne_u16_sdwa s0, v89, v45 src0_sel:BYTE_1 src1_sel:DWORD
	v_mov_b32_e32 v19, v11
	s_and_saveexec_b32 s13, s0
	s_cbranch_execz .LBB223_834
; %bb.829:                              ;   in Loop: Header=BB223_513 Depth=1
	v_and_b32_sdwa v5, v46, v89 dst_sel:DWORD dst_unused:UNUSED_PAD src0_sel:DWORD src1_sel:BYTE_1
	v_mov_b32_e32 v13, v6
	v_mov_b32_e32 v20, v14
	s_mov_b32 s14, exec_lo
	v_and_b32_e32 v21, 0x7f, v5
	v_mov_b32_e32 v19, v13
	v_cmpx_ne_u32_e32 0x7f, v21
	s_cbranch_execz .LBB223_833
; %bb.830:                              ;   in Loop: Header=BB223_513 Depth=1
	v_and_b32_e32 v5, 7, v5
	v_lshrrev_b32_e32 v11, 3, v21
	s_mov_b32 s15, exec_lo
	v_cmpx_gt_u32_e32 8, v21
; %bb.831:                              ;   in Loop: Header=BB223_513 Depth=1
	v_ffbh_u32_e32 v11, v5
	v_min_u32_e32 v11, 32, v11
	v_subrev_nc_u32_e32 v13, 28, v11
	v_sub_nc_u32_e32 v11, 29, v11
	v_lshlrev_b64 v[19:20], v13, v[5:6]
	v_and_b32_e32 v5, 7, v19
; %bb.832:                              ;   in Loop: Header=BB223_513 Depth=1
	s_or_b32 exec_lo, exec_lo, s15
	v_lshlrev_b32_e32 v13, 16, v89
	v_lshlrev_b32_e32 v5, 20, v5
	v_lshl_add_u32 v11, v11, 23, 0x3c000000
	v_mov_b32_e32 v19, v6
	v_and_b32_e32 v13, 0x80000000, v13
	v_or3_b32 v20, v5, v13, v11
.LBB223_833:                            ;   in Loop: Header=BB223_513 Depth=1
	s_or_b32 exec_lo, exec_lo, s14
.LBB223_834:                            ;   in Loop: Header=BB223_513 Depth=1
	s_or_b32 exec_lo, exec_lo, s13
.LBB223_835:                            ;   in Loop: Header=BB223_513 Depth=1
	s_or_b32 exec_lo, exec_lo, s9
	v_mov_b32_e32 v23, 0
	v_mov_b32_e32 v21, 0
	v_and_b32_sdwa v5, v89, v47 dst_sel:DWORD dst_unused:UNUSED_PAD src0_sel:WORD_1 src1_sel:DWORD
	v_mov_b32_e32 v24, 0
	v_mov_b32_e32 v22, 0
	s_mov_b32 s9, exec_lo
	v_cmpx_ne_u16_e32 0, v5
	s_cbranch_execz .LBB223_843
; %bb.836:                              ;   in Loop: Header=BB223_513 Depth=1
	v_bfrev_b32_e32 v21, 1
	v_mov_b32_e32 v22, 0
	s_mov_b32 s13, exec_lo
	v_cmpx_ne_u16_e32 0x80, v5
	s_cbranch_execz .LBB223_842
; %bb.837:                              ;   in Loop: Header=BB223_513 Depth=1
	v_mov_b32_e32 v21, 0x7f800001
	v_bfe_u32 v13, v89, 16, 7
	v_mov_b32_e32 v22, 0
	s_mov_b32 s14, exec_lo
	v_cmpx_ne_u32_e32 0x7f, v13
	s_cbranch_execz .LBB223_841
; %bb.838:                              ;   in Loop: Header=BB223_513 Depth=1
	v_and_b32_sdwa v5, v89, v48 dst_sel:DWORD dst_unused:UNUSED_PAD src0_sel:WORD_1 src1_sel:DWORD
	v_lshrrev_b32_e32 v11, 3, v13
	s_mov_b32 s15, exec_lo
	v_cmpx_gt_u32_e32 8, v13
; %bb.839:                              ;   in Loop: Header=BB223_513 Depth=1
	v_ffbh_u32_e32 v11, v5
	v_min_u32_e32 v11, 32, v11
	v_subrev_nc_u32_e32 v13, 28, v11
	v_sub_nc_u32_e32 v11, 29, v11
	v_lshlrev_b64 v[21:22], v13, v[5:6]
	v_and_b32_e32 v5, 7, v21
; %bb.840:                              ;   in Loop: Header=BB223_513 Depth=1
	s_or_b32 exec_lo, exec_lo, s15
	v_lshlrev_b32_sdwa v13, v49, v89 dst_sel:DWORD dst_unused:UNUSED_PAD src0_sel:DWORD src1_sel:WORD_1
	v_lshlrev_b32_e32 v5, 20, v5
	v_lshl_add_u32 v11, v11, 23, 0x3c000000
	v_and_b32_e32 v13, 0x80000000, v13
	v_or3_b32 v5, v5, v13, v11
	v_mov_b32_e32 v22, v6
	v_mov_b32_e32 v21, v5
.LBB223_841:                            ;   in Loop: Header=BB223_513 Depth=1
	s_or_b32 exec_lo, exec_lo, s14
.LBB223_842:                            ;   in Loop: Header=BB223_513 Depth=1
	s_or_b32 exec_lo, exec_lo, s13
.LBB223_843:                            ;   in Loop: Header=BB223_513 Depth=1
	s_or_b32 exec_lo, exec_lo, s9
	s_mov_b32 s9, exec_lo
	v_cmpx_lt_u32_e32 0xffffff, v89
	s_cbranch_execz .LBB223_851
; %bb.844:                              ;   in Loop: Header=BB223_513 Depth=1
	v_mov_b32_e32 v11, v6
	v_mov_b32_e32 v24, v12
	v_cmp_ne_u32_sdwa s0, v89, v45 src0_sel:BYTE_3 src1_sel:DWORD
	v_mov_b32_e32 v23, v11
	s_and_saveexec_b32 s13, s0
	s_cbranch_execz .LBB223_850
; %bb.845:                              ;   in Loop: Header=BB223_513 Depth=1
	v_mov_b32_e32 v13, v6
	v_mov_b32_e32 v24, v14
	v_bfe_u32 v90, v89, 24, 7
	s_mov_b32 s14, exec_lo
	v_mov_b32_e32 v23, v13
	v_cmpx_ne_u32_e32 0x7f, v90
	s_cbranch_execz .LBB223_849
; %bb.846:                              ;   in Loop: Header=BB223_513 Depth=1
	v_and_b32_sdwa v5, v89, v48 dst_sel:DWORD dst_unused:UNUSED_PAD src0_sel:BYTE_3 src1_sel:DWORD
	v_lshrrev_b32_e32 v11, 3, v90
	s_mov_b32 s15, exec_lo
	v_cmpx_gt_u32_e32 8, v90
; %bb.847:                              ;   in Loop: Header=BB223_513 Depth=1
	v_ffbh_u32_e32 v11, v5
	v_min_u32_e32 v11, 32, v11
	v_subrev_nc_u32_e32 v13, 28, v11
	v_sub_nc_u32_e32 v11, 29, v11
	v_lshlrev_b64 v[23:24], v13, v[5:6]
	v_and_b32_e32 v5, 7, v23
; %bb.848:                              ;   in Loop: Header=BB223_513 Depth=1
	s_or_b32 exec_lo, exec_lo, s15
	v_lshlrev_b32_sdwa v13, v49, v89 dst_sel:DWORD dst_unused:UNUSED_PAD src0_sel:DWORD src1_sel:BYTE_3
	v_lshlrev_b32_e32 v5, 20, v5
	v_lshl_add_u32 v11, v11, 23, 0x3c000000
	v_mov_b32_e32 v23, v6
	v_and_b32_e32 v13, 0x80000000, v13
	v_or3_b32 v24, v5, v13, v11
.LBB223_849:                            ;   in Loop: Header=BB223_513 Depth=1
	s_or_b32 exec_lo, exec_lo, s14
.LBB223_850:                            ;   in Loop: Header=BB223_513 Depth=1
	s_or_b32 exec_lo, exec_lo, s13
.LBB223_851:                            ;   in Loop: Header=BB223_513 Depth=1
	s_or_b32 exec_lo, exec_lo, s9
	v_or_b32_e32 v5, v20, v18
	v_or_b32_e32 v11, v19, v17
	;; [unrolled: 1-line block ×4, first 2 shown]
	v_mul_f32_e32 v91, s6, v5
	v_mul_f32_e32 v92, s3, v11
	;; [unrolled: 1-line block ×4, first 2 shown]
	s_and_saveexec_b32 s9, vcc_lo
	s_cbranch_execz .LBB223_853
; %bb.852:                              ;   in Loop: Header=BB223_513 Depth=1
	v_cmp_gt_i32_e64 s0, s27, v54
	v_cndmask_b32_e64 v92, 0, v92, s0
	v_cmp_gt_i32_e64 s0, s27, v56
	v_cndmask_b32_e64 v91, 0, v91, s0
	;; [unrolled: 2-line block ×4, first 2 shown]
.LBB223_853:                            ;   in Loop: Header=BB223_513 Depth=1
	s_or_b32 exec_lo, exec_lo, s9
	global_load_dword v93, v[15:16], off offset:1280
	v_mov_b32_e32 v19, 0
	v_mov_b32_e32 v17, 0
	;; [unrolled: 1-line block ×4, first 2 shown]
	s_waitcnt vmcnt(0)
	v_cmp_ne_u16_sdwa s0, v93, v6 src0_sel:BYTE_0 src1_sel:DWORD
	s_and_saveexec_b32 s9, s0
	s_cbranch_execz .LBB223_861
; %bb.854:                              ;   in Loop: Header=BB223_513 Depth=1
	v_bfrev_b32_e32 v17, 1
	v_mov_b32_e32 v18, 0
	v_cmp_ne_u16_sdwa s0, v93, v45 src0_sel:BYTE_0 src1_sel:DWORD
	s_and_saveexec_b32 s13, s0
	s_cbranch_execz .LBB223_860
; %bb.855:                              ;   in Loop: Header=BB223_513 Depth=1
	v_mov_b32_e32 v17, 0x7f800001
	v_and_b32_e32 v13, 0x7f, v93
	v_mov_b32_e32 v18, 0
	s_mov_b32 s14, exec_lo
	v_cmpx_ne_u32_e32 0x7f, v13
	s_cbranch_execz .LBB223_859
; %bb.856:                              ;   in Loop: Header=BB223_513 Depth=1
	v_and_b32_e32 v5, 7, v93
	v_lshrrev_b32_e32 v11, 3, v13
	s_mov_b32 s15, exec_lo
	v_cmpx_gt_u32_e32 8, v13
; %bb.857:                              ;   in Loop: Header=BB223_513 Depth=1
	v_ffbh_u32_e32 v11, v5
	v_min_u32_e32 v11, 32, v11
	v_subrev_nc_u32_e32 v13, 28, v11
	v_sub_nc_u32_e32 v11, 29, v11
	v_lshlrev_b64 v[17:18], v13, v[5:6]
	v_and_b32_e32 v5, 7, v17
; %bb.858:                              ;   in Loop: Header=BB223_513 Depth=1
	s_or_b32 exec_lo, exec_lo, s15
	v_lshlrev_b32_e32 v13, 24, v93
	v_lshlrev_b32_e32 v5, 20, v5
	v_lshl_add_u32 v11, v11, 23, 0x3c000000
	v_and_b32_e32 v13, 0x80000000, v13
	v_or3_b32 v5, v5, v13, v11
	v_mov_b32_e32 v18, v6
	v_mov_b32_e32 v17, v5
.LBB223_859:                            ;   in Loop: Header=BB223_513 Depth=1
	s_or_b32 exec_lo, exec_lo, s14
.LBB223_860:                            ;   in Loop: Header=BB223_513 Depth=1
	s_or_b32 exec_lo, exec_lo, s13
.LBB223_861:                            ;   in Loop: Header=BB223_513 Depth=1
	s_or_b32 exec_lo, exec_lo, s9
	v_cmp_ne_u16_sdwa s0, v93, v6 src0_sel:BYTE_1 src1_sel:DWORD
	s_and_saveexec_b32 s9, s0
	s_cbranch_execz .LBB223_869
; %bb.862:                              ;   in Loop: Header=BB223_513 Depth=1
	v_mov_b32_e32 v11, v6
	v_mov_b32_e32 v20, v12
	v_cmp_ne_u16_sdwa s0, v93, v45 src0_sel:BYTE_1 src1_sel:DWORD
	v_mov_b32_e32 v19, v11
	s_and_saveexec_b32 s13, s0
	s_cbranch_execz .LBB223_868
; %bb.863:                              ;   in Loop: Header=BB223_513 Depth=1
	v_and_b32_sdwa v5, v46, v93 dst_sel:DWORD dst_unused:UNUSED_PAD src0_sel:DWORD src1_sel:BYTE_1
	v_mov_b32_e32 v13, v6
	v_mov_b32_e32 v20, v14
	s_mov_b32 s14, exec_lo
	v_and_b32_e32 v21, 0x7f, v5
	v_mov_b32_e32 v19, v13
	v_cmpx_ne_u32_e32 0x7f, v21
	s_cbranch_execz .LBB223_867
; %bb.864:                              ;   in Loop: Header=BB223_513 Depth=1
	v_and_b32_e32 v5, 7, v5
	v_lshrrev_b32_e32 v11, 3, v21
	s_mov_b32 s15, exec_lo
	v_cmpx_gt_u32_e32 8, v21
; %bb.865:                              ;   in Loop: Header=BB223_513 Depth=1
	v_ffbh_u32_e32 v11, v5
	v_min_u32_e32 v11, 32, v11
	v_subrev_nc_u32_e32 v13, 28, v11
	v_sub_nc_u32_e32 v11, 29, v11
	v_lshlrev_b64 v[19:20], v13, v[5:6]
	v_and_b32_e32 v5, 7, v19
; %bb.866:                              ;   in Loop: Header=BB223_513 Depth=1
	s_or_b32 exec_lo, exec_lo, s15
	v_lshlrev_b32_e32 v13, 16, v93
	v_lshlrev_b32_e32 v5, 20, v5
	v_lshl_add_u32 v11, v11, 23, 0x3c000000
	v_mov_b32_e32 v19, v6
	v_and_b32_e32 v13, 0x80000000, v13
	v_or3_b32 v20, v5, v13, v11
.LBB223_867:                            ;   in Loop: Header=BB223_513 Depth=1
	s_or_b32 exec_lo, exec_lo, s14
.LBB223_868:                            ;   in Loop: Header=BB223_513 Depth=1
	s_or_b32 exec_lo, exec_lo, s13
.LBB223_869:                            ;   in Loop: Header=BB223_513 Depth=1
	s_or_b32 exec_lo, exec_lo, s9
	v_mov_b32_e32 v23, 0
	v_mov_b32_e32 v21, 0
	v_and_b32_sdwa v5, v93, v47 dst_sel:DWORD dst_unused:UNUSED_PAD src0_sel:WORD_1 src1_sel:DWORD
	v_mov_b32_e32 v24, 0
	v_mov_b32_e32 v22, 0
	s_mov_b32 s9, exec_lo
	v_cmpx_ne_u16_e32 0, v5
	s_cbranch_execz .LBB223_877
; %bb.870:                              ;   in Loop: Header=BB223_513 Depth=1
	v_bfrev_b32_e32 v21, 1
	v_mov_b32_e32 v22, 0
	s_mov_b32 s13, exec_lo
	v_cmpx_ne_u16_e32 0x80, v5
	s_cbranch_execz .LBB223_876
; %bb.871:                              ;   in Loop: Header=BB223_513 Depth=1
	v_mov_b32_e32 v21, 0x7f800001
	v_bfe_u32 v13, v93, 16, 7
	v_mov_b32_e32 v22, 0
	s_mov_b32 s14, exec_lo
	v_cmpx_ne_u32_e32 0x7f, v13
	s_cbranch_execz .LBB223_875
; %bb.872:                              ;   in Loop: Header=BB223_513 Depth=1
	v_and_b32_sdwa v5, v93, v48 dst_sel:DWORD dst_unused:UNUSED_PAD src0_sel:WORD_1 src1_sel:DWORD
	v_lshrrev_b32_e32 v11, 3, v13
	s_mov_b32 s15, exec_lo
	v_cmpx_gt_u32_e32 8, v13
; %bb.873:                              ;   in Loop: Header=BB223_513 Depth=1
	v_ffbh_u32_e32 v11, v5
	v_min_u32_e32 v11, 32, v11
	v_subrev_nc_u32_e32 v13, 28, v11
	v_sub_nc_u32_e32 v11, 29, v11
	v_lshlrev_b64 v[21:22], v13, v[5:6]
	v_and_b32_e32 v5, 7, v21
; %bb.874:                              ;   in Loop: Header=BB223_513 Depth=1
	s_or_b32 exec_lo, exec_lo, s15
	v_lshlrev_b32_sdwa v13, v49, v93 dst_sel:DWORD dst_unused:UNUSED_PAD src0_sel:DWORD src1_sel:WORD_1
	v_lshlrev_b32_e32 v5, 20, v5
	v_lshl_add_u32 v11, v11, 23, 0x3c000000
	v_and_b32_e32 v13, 0x80000000, v13
	v_or3_b32 v5, v5, v13, v11
	v_mov_b32_e32 v22, v6
	v_mov_b32_e32 v21, v5
.LBB223_875:                            ;   in Loop: Header=BB223_513 Depth=1
	s_or_b32 exec_lo, exec_lo, s14
.LBB223_876:                            ;   in Loop: Header=BB223_513 Depth=1
	s_or_b32 exec_lo, exec_lo, s13
.LBB223_877:                            ;   in Loop: Header=BB223_513 Depth=1
	s_or_b32 exec_lo, exec_lo, s9
	s_mov_b32 s9, exec_lo
	v_cmpx_lt_u32_e32 0xffffff, v93
	s_cbranch_execz .LBB223_885
; %bb.878:                              ;   in Loop: Header=BB223_513 Depth=1
	v_mov_b32_e32 v11, v6
	v_mov_b32_e32 v24, v12
	v_cmp_ne_u32_sdwa s0, v93, v45 src0_sel:BYTE_3 src1_sel:DWORD
	v_mov_b32_e32 v23, v11
	s_and_saveexec_b32 s13, s0
	s_cbranch_execz .LBB223_884
; %bb.879:                              ;   in Loop: Header=BB223_513 Depth=1
	v_mov_b32_e32 v13, v6
	v_mov_b32_e32 v24, v14
	v_bfe_u32 v94, v93, 24, 7
	s_mov_b32 s14, exec_lo
	v_mov_b32_e32 v23, v13
	v_cmpx_ne_u32_e32 0x7f, v94
	s_cbranch_execz .LBB223_883
; %bb.880:                              ;   in Loop: Header=BB223_513 Depth=1
	v_and_b32_sdwa v5, v93, v48 dst_sel:DWORD dst_unused:UNUSED_PAD src0_sel:BYTE_3 src1_sel:DWORD
	v_lshrrev_b32_e32 v11, 3, v94
	s_mov_b32 s15, exec_lo
	v_cmpx_gt_u32_e32 8, v94
; %bb.881:                              ;   in Loop: Header=BB223_513 Depth=1
	v_ffbh_u32_e32 v11, v5
	v_min_u32_e32 v11, 32, v11
	v_subrev_nc_u32_e32 v13, 28, v11
	v_sub_nc_u32_e32 v11, 29, v11
	v_lshlrev_b64 v[23:24], v13, v[5:6]
	v_and_b32_e32 v5, 7, v23
; %bb.882:                              ;   in Loop: Header=BB223_513 Depth=1
	s_or_b32 exec_lo, exec_lo, s15
	v_lshlrev_b32_sdwa v13, v49, v93 dst_sel:DWORD dst_unused:UNUSED_PAD src0_sel:DWORD src1_sel:BYTE_3
	v_lshlrev_b32_e32 v5, 20, v5
	v_lshl_add_u32 v11, v11, 23, 0x3c000000
	v_mov_b32_e32 v23, v6
	v_and_b32_e32 v13, 0x80000000, v13
	v_or3_b32 v24, v5, v13, v11
.LBB223_883:                            ;   in Loop: Header=BB223_513 Depth=1
	s_or_b32 exec_lo, exec_lo, s14
.LBB223_884:                            ;   in Loop: Header=BB223_513 Depth=1
	s_or_b32 exec_lo, exec_lo, s13
.LBB223_885:                            ;   in Loop: Header=BB223_513 Depth=1
	s_or_b32 exec_lo, exec_lo, s9
	v_or_b32_e32 v5, v20, v18
	v_or_b32_e32 v11, v19, v17
	;; [unrolled: 1-line block ×4, first 2 shown]
	v_mul_f32_e32 v95, s6, v5
	v_mul_f32_e32 v96, s3, v11
	;; [unrolled: 1-line block ×4, first 2 shown]
	s_and_saveexec_b32 s9, vcc_lo
	s_cbranch_execz .LBB223_887
; %bb.886:                              ;   in Loop: Header=BB223_513 Depth=1
	v_cmp_gt_i32_e64 s0, s27, v54
	v_cndmask_b32_e64 v96, 0, v96, s0
	v_cmp_gt_i32_e64 s0, s27, v56
	v_cndmask_b32_e64 v95, 0, v95, s0
	;; [unrolled: 2-line block ×4, first 2 shown]
.LBB223_887:                            ;   in Loop: Header=BB223_513 Depth=1
	s_or_b32 exec_lo, exec_lo, s9
	global_load_dword v97, v[15:16], off offset:1408
	v_mov_b32_e32 v19, 0
	v_mov_b32_e32 v17, 0
	;; [unrolled: 1-line block ×4, first 2 shown]
	s_waitcnt vmcnt(0)
	v_cmp_ne_u16_sdwa s0, v97, v6 src0_sel:BYTE_0 src1_sel:DWORD
	s_and_saveexec_b32 s9, s0
	s_cbranch_execz .LBB223_895
; %bb.888:                              ;   in Loop: Header=BB223_513 Depth=1
	v_bfrev_b32_e32 v17, 1
	v_mov_b32_e32 v18, 0
	v_cmp_ne_u16_sdwa s0, v97, v45 src0_sel:BYTE_0 src1_sel:DWORD
	s_and_saveexec_b32 s13, s0
	s_cbranch_execz .LBB223_894
; %bb.889:                              ;   in Loop: Header=BB223_513 Depth=1
	v_mov_b32_e32 v17, 0x7f800001
	v_and_b32_e32 v13, 0x7f, v97
	v_mov_b32_e32 v18, 0
	s_mov_b32 s14, exec_lo
	v_cmpx_ne_u32_e32 0x7f, v13
	s_cbranch_execz .LBB223_893
; %bb.890:                              ;   in Loop: Header=BB223_513 Depth=1
	v_and_b32_e32 v5, 7, v97
	v_lshrrev_b32_e32 v11, 3, v13
	s_mov_b32 s15, exec_lo
	v_cmpx_gt_u32_e32 8, v13
; %bb.891:                              ;   in Loop: Header=BB223_513 Depth=1
	v_ffbh_u32_e32 v11, v5
	v_min_u32_e32 v11, 32, v11
	v_subrev_nc_u32_e32 v13, 28, v11
	v_sub_nc_u32_e32 v11, 29, v11
	v_lshlrev_b64 v[17:18], v13, v[5:6]
	v_and_b32_e32 v5, 7, v17
; %bb.892:                              ;   in Loop: Header=BB223_513 Depth=1
	s_or_b32 exec_lo, exec_lo, s15
	v_lshlrev_b32_e32 v13, 24, v97
	v_lshlrev_b32_e32 v5, 20, v5
	v_lshl_add_u32 v11, v11, 23, 0x3c000000
	v_and_b32_e32 v13, 0x80000000, v13
	v_or3_b32 v5, v5, v13, v11
	v_mov_b32_e32 v18, v6
	v_mov_b32_e32 v17, v5
.LBB223_893:                            ;   in Loop: Header=BB223_513 Depth=1
	s_or_b32 exec_lo, exec_lo, s14
.LBB223_894:                            ;   in Loop: Header=BB223_513 Depth=1
	s_or_b32 exec_lo, exec_lo, s13
.LBB223_895:                            ;   in Loop: Header=BB223_513 Depth=1
	s_or_b32 exec_lo, exec_lo, s9
	v_cmp_ne_u16_sdwa s0, v97, v6 src0_sel:BYTE_1 src1_sel:DWORD
	s_and_saveexec_b32 s9, s0
	s_cbranch_execz .LBB223_903
; %bb.896:                              ;   in Loop: Header=BB223_513 Depth=1
	v_mov_b32_e32 v11, v6
	v_mov_b32_e32 v20, v12
	v_cmp_ne_u16_sdwa s0, v97, v45 src0_sel:BYTE_1 src1_sel:DWORD
	v_mov_b32_e32 v19, v11
	s_and_saveexec_b32 s13, s0
	s_cbranch_execz .LBB223_902
; %bb.897:                              ;   in Loop: Header=BB223_513 Depth=1
	v_and_b32_sdwa v5, v46, v97 dst_sel:DWORD dst_unused:UNUSED_PAD src0_sel:DWORD src1_sel:BYTE_1
	v_mov_b32_e32 v13, v6
	v_mov_b32_e32 v20, v14
	s_mov_b32 s14, exec_lo
	v_and_b32_e32 v21, 0x7f, v5
	v_mov_b32_e32 v19, v13
	v_cmpx_ne_u32_e32 0x7f, v21
	s_cbranch_execz .LBB223_901
; %bb.898:                              ;   in Loop: Header=BB223_513 Depth=1
	v_and_b32_e32 v5, 7, v5
	v_lshrrev_b32_e32 v11, 3, v21
	s_mov_b32 s15, exec_lo
	v_cmpx_gt_u32_e32 8, v21
; %bb.899:                              ;   in Loop: Header=BB223_513 Depth=1
	v_ffbh_u32_e32 v11, v5
	v_min_u32_e32 v11, 32, v11
	v_subrev_nc_u32_e32 v13, 28, v11
	v_sub_nc_u32_e32 v11, 29, v11
	v_lshlrev_b64 v[19:20], v13, v[5:6]
	v_and_b32_e32 v5, 7, v19
; %bb.900:                              ;   in Loop: Header=BB223_513 Depth=1
	s_or_b32 exec_lo, exec_lo, s15
	v_lshlrev_b32_e32 v13, 16, v97
	v_lshlrev_b32_e32 v5, 20, v5
	v_lshl_add_u32 v11, v11, 23, 0x3c000000
	v_mov_b32_e32 v19, v6
	v_and_b32_e32 v13, 0x80000000, v13
	v_or3_b32 v20, v5, v13, v11
.LBB223_901:                            ;   in Loop: Header=BB223_513 Depth=1
	s_or_b32 exec_lo, exec_lo, s14
.LBB223_902:                            ;   in Loop: Header=BB223_513 Depth=1
	s_or_b32 exec_lo, exec_lo, s13
.LBB223_903:                            ;   in Loop: Header=BB223_513 Depth=1
	s_or_b32 exec_lo, exec_lo, s9
	v_mov_b32_e32 v23, 0
	v_mov_b32_e32 v21, 0
	v_and_b32_sdwa v5, v97, v47 dst_sel:DWORD dst_unused:UNUSED_PAD src0_sel:WORD_1 src1_sel:DWORD
	v_mov_b32_e32 v24, 0
	v_mov_b32_e32 v22, 0
	s_mov_b32 s9, exec_lo
	v_cmpx_ne_u16_e32 0, v5
	s_cbranch_execz .LBB223_911
; %bb.904:                              ;   in Loop: Header=BB223_513 Depth=1
	v_bfrev_b32_e32 v21, 1
	v_mov_b32_e32 v22, 0
	s_mov_b32 s13, exec_lo
	v_cmpx_ne_u16_e32 0x80, v5
	s_cbranch_execz .LBB223_910
; %bb.905:                              ;   in Loop: Header=BB223_513 Depth=1
	v_mov_b32_e32 v21, 0x7f800001
	v_bfe_u32 v13, v97, 16, 7
	v_mov_b32_e32 v22, 0
	s_mov_b32 s14, exec_lo
	v_cmpx_ne_u32_e32 0x7f, v13
	s_cbranch_execz .LBB223_909
; %bb.906:                              ;   in Loop: Header=BB223_513 Depth=1
	v_and_b32_sdwa v5, v97, v48 dst_sel:DWORD dst_unused:UNUSED_PAD src0_sel:WORD_1 src1_sel:DWORD
	v_lshrrev_b32_e32 v11, 3, v13
	s_mov_b32 s15, exec_lo
	v_cmpx_gt_u32_e32 8, v13
; %bb.907:                              ;   in Loop: Header=BB223_513 Depth=1
	v_ffbh_u32_e32 v11, v5
	v_min_u32_e32 v11, 32, v11
	v_subrev_nc_u32_e32 v13, 28, v11
	v_sub_nc_u32_e32 v11, 29, v11
	v_lshlrev_b64 v[21:22], v13, v[5:6]
	v_and_b32_e32 v5, 7, v21
; %bb.908:                              ;   in Loop: Header=BB223_513 Depth=1
	s_or_b32 exec_lo, exec_lo, s15
	v_lshlrev_b32_sdwa v13, v49, v97 dst_sel:DWORD dst_unused:UNUSED_PAD src0_sel:DWORD src1_sel:WORD_1
	v_lshlrev_b32_e32 v5, 20, v5
	v_lshl_add_u32 v11, v11, 23, 0x3c000000
	v_and_b32_e32 v13, 0x80000000, v13
	v_or3_b32 v5, v5, v13, v11
	v_mov_b32_e32 v22, v6
	v_mov_b32_e32 v21, v5
.LBB223_909:                            ;   in Loop: Header=BB223_513 Depth=1
	s_or_b32 exec_lo, exec_lo, s14
.LBB223_910:                            ;   in Loop: Header=BB223_513 Depth=1
	s_or_b32 exec_lo, exec_lo, s13
.LBB223_911:                            ;   in Loop: Header=BB223_513 Depth=1
	s_or_b32 exec_lo, exec_lo, s9
	s_mov_b32 s9, exec_lo
	v_cmpx_lt_u32_e32 0xffffff, v97
	s_cbranch_execz .LBB223_919
; %bb.912:                              ;   in Loop: Header=BB223_513 Depth=1
	v_mov_b32_e32 v11, v6
	v_mov_b32_e32 v24, v12
	v_cmp_ne_u32_sdwa s0, v97, v45 src0_sel:BYTE_3 src1_sel:DWORD
	v_mov_b32_e32 v23, v11
	s_and_saveexec_b32 s13, s0
	s_cbranch_execz .LBB223_918
; %bb.913:                              ;   in Loop: Header=BB223_513 Depth=1
	v_mov_b32_e32 v13, v6
	v_mov_b32_e32 v24, v14
	v_bfe_u32 v98, v97, 24, 7
	s_mov_b32 s14, exec_lo
	v_mov_b32_e32 v23, v13
	v_cmpx_ne_u32_e32 0x7f, v98
	s_cbranch_execz .LBB223_917
; %bb.914:                              ;   in Loop: Header=BB223_513 Depth=1
	v_and_b32_sdwa v5, v97, v48 dst_sel:DWORD dst_unused:UNUSED_PAD src0_sel:BYTE_3 src1_sel:DWORD
	v_lshrrev_b32_e32 v11, 3, v98
	s_mov_b32 s15, exec_lo
	v_cmpx_gt_u32_e32 8, v98
; %bb.915:                              ;   in Loop: Header=BB223_513 Depth=1
	v_ffbh_u32_e32 v11, v5
	v_min_u32_e32 v11, 32, v11
	v_subrev_nc_u32_e32 v13, 28, v11
	v_sub_nc_u32_e32 v11, 29, v11
	v_lshlrev_b64 v[23:24], v13, v[5:6]
	v_and_b32_e32 v5, 7, v23
; %bb.916:                              ;   in Loop: Header=BB223_513 Depth=1
	s_or_b32 exec_lo, exec_lo, s15
	v_lshlrev_b32_sdwa v13, v49, v97 dst_sel:DWORD dst_unused:UNUSED_PAD src0_sel:DWORD src1_sel:BYTE_3
	v_lshlrev_b32_e32 v5, 20, v5
	v_lshl_add_u32 v11, v11, 23, 0x3c000000
	v_mov_b32_e32 v23, v6
	v_and_b32_e32 v13, 0x80000000, v13
	v_or3_b32 v24, v5, v13, v11
.LBB223_917:                            ;   in Loop: Header=BB223_513 Depth=1
	s_or_b32 exec_lo, exec_lo, s14
.LBB223_918:                            ;   in Loop: Header=BB223_513 Depth=1
	s_or_b32 exec_lo, exec_lo, s13
.LBB223_919:                            ;   in Loop: Header=BB223_513 Depth=1
	s_or_b32 exec_lo, exec_lo, s9
	v_or_b32_e32 v5, v20, v18
	v_or_b32_e32 v11, v19, v17
	;; [unrolled: 1-line block ×4, first 2 shown]
	v_mul_f32_e32 v99, s6, v5
	v_mul_f32_e32 v100, s3, v11
	;; [unrolled: 1-line block ×4, first 2 shown]
	s_and_saveexec_b32 s9, vcc_lo
	s_cbranch_execz .LBB223_921
; %bb.920:                              ;   in Loop: Header=BB223_513 Depth=1
	v_cmp_gt_i32_e64 s0, s27, v54
	v_cndmask_b32_e64 v100, 0, v100, s0
	v_cmp_gt_i32_e64 s0, s27, v56
	v_cndmask_b32_e64 v99, 0, v99, s0
	;; [unrolled: 2-line block ×4, first 2 shown]
.LBB223_921:                            ;   in Loop: Header=BB223_513 Depth=1
	s_or_b32 exec_lo, exec_lo, s9
	global_load_dword v101, v[15:16], off offset:1536
	v_mov_b32_e32 v19, 0
	v_mov_b32_e32 v17, 0
	;; [unrolled: 1-line block ×4, first 2 shown]
	s_waitcnt vmcnt(0)
	v_cmp_ne_u16_sdwa s0, v101, v6 src0_sel:BYTE_0 src1_sel:DWORD
	s_and_saveexec_b32 s9, s0
	s_cbranch_execz .LBB223_929
; %bb.922:                              ;   in Loop: Header=BB223_513 Depth=1
	v_bfrev_b32_e32 v17, 1
	v_mov_b32_e32 v18, 0
	v_cmp_ne_u16_sdwa s0, v101, v45 src0_sel:BYTE_0 src1_sel:DWORD
	s_and_saveexec_b32 s13, s0
	s_cbranch_execz .LBB223_928
; %bb.923:                              ;   in Loop: Header=BB223_513 Depth=1
	v_mov_b32_e32 v17, 0x7f800001
	v_and_b32_e32 v13, 0x7f, v101
	v_mov_b32_e32 v18, 0
	s_mov_b32 s14, exec_lo
	v_cmpx_ne_u32_e32 0x7f, v13
	s_cbranch_execz .LBB223_927
; %bb.924:                              ;   in Loop: Header=BB223_513 Depth=1
	v_and_b32_e32 v5, 7, v101
	v_lshrrev_b32_e32 v11, 3, v13
	s_mov_b32 s15, exec_lo
	v_cmpx_gt_u32_e32 8, v13
; %bb.925:                              ;   in Loop: Header=BB223_513 Depth=1
	v_ffbh_u32_e32 v11, v5
	v_min_u32_e32 v11, 32, v11
	v_subrev_nc_u32_e32 v13, 28, v11
	v_sub_nc_u32_e32 v11, 29, v11
	v_lshlrev_b64 v[17:18], v13, v[5:6]
	v_and_b32_e32 v5, 7, v17
; %bb.926:                              ;   in Loop: Header=BB223_513 Depth=1
	s_or_b32 exec_lo, exec_lo, s15
	v_lshlrev_b32_e32 v13, 24, v101
	v_lshlrev_b32_e32 v5, 20, v5
	v_lshl_add_u32 v11, v11, 23, 0x3c000000
	v_and_b32_e32 v13, 0x80000000, v13
	v_or3_b32 v5, v5, v13, v11
	v_mov_b32_e32 v18, v6
	v_mov_b32_e32 v17, v5
.LBB223_927:                            ;   in Loop: Header=BB223_513 Depth=1
	s_or_b32 exec_lo, exec_lo, s14
.LBB223_928:                            ;   in Loop: Header=BB223_513 Depth=1
	s_or_b32 exec_lo, exec_lo, s13
.LBB223_929:                            ;   in Loop: Header=BB223_513 Depth=1
	s_or_b32 exec_lo, exec_lo, s9
	v_cmp_ne_u16_sdwa s0, v101, v6 src0_sel:BYTE_1 src1_sel:DWORD
	s_and_saveexec_b32 s9, s0
	s_cbranch_execz .LBB223_937
; %bb.930:                              ;   in Loop: Header=BB223_513 Depth=1
	v_mov_b32_e32 v11, v6
	v_mov_b32_e32 v20, v12
	v_cmp_ne_u16_sdwa s0, v101, v45 src0_sel:BYTE_1 src1_sel:DWORD
	v_mov_b32_e32 v19, v11
	s_and_saveexec_b32 s13, s0
	s_cbranch_execz .LBB223_936
; %bb.931:                              ;   in Loop: Header=BB223_513 Depth=1
	v_and_b32_sdwa v5, v46, v101 dst_sel:DWORD dst_unused:UNUSED_PAD src0_sel:DWORD src1_sel:BYTE_1
	v_mov_b32_e32 v13, v6
	v_mov_b32_e32 v20, v14
	s_mov_b32 s14, exec_lo
	v_and_b32_e32 v21, 0x7f, v5
	v_mov_b32_e32 v19, v13
	v_cmpx_ne_u32_e32 0x7f, v21
	s_cbranch_execz .LBB223_935
; %bb.932:                              ;   in Loop: Header=BB223_513 Depth=1
	v_and_b32_e32 v5, 7, v5
	v_lshrrev_b32_e32 v11, 3, v21
	s_mov_b32 s15, exec_lo
	v_cmpx_gt_u32_e32 8, v21
; %bb.933:                              ;   in Loop: Header=BB223_513 Depth=1
	v_ffbh_u32_e32 v11, v5
	v_min_u32_e32 v11, 32, v11
	v_subrev_nc_u32_e32 v13, 28, v11
	v_sub_nc_u32_e32 v11, 29, v11
	v_lshlrev_b64 v[19:20], v13, v[5:6]
	v_and_b32_e32 v5, 7, v19
; %bb.934:                              ;   in Loop: Header=BB223_513 Depth=1
	s_or_b32 exec_lo, exec_lo, s15
	v_lshlrev_b32_e32 v13, 16, v101
	v_lshlrev_b32_e32 v5, 20, v5
	v_lshl_add_u32 v11, v11, 23, 0x3c000000
	v_mov_b32_e32 v19, v6
	v_and_b32_e32 v13, 0x80000000, v13
	v_or3_b32 v20, v5, v13, v11
.LBB223_935:                            ;   in Loop: Header=BB223_513 Depth=1
	s_or_b32 exec_lo, exec_lo, s14
.LBB223_936:                            ;   in Loop: Header=BB223_513 Depth=1
	s_or_b32 exec_lo, exec_lo, s13
.LBB223_937:                            ;   in Loop: Header=BB223_513 Depth=1
	s_or_b32 exec_lo, exec_lo, s9
	v_mov_b32_e32 v23, 0
	v_mov_b32_e32 v21, 0
	v_and_b32_sdwa v5, v101, v47 dst_sel:DWORD dst_unused:UNUSED_PAD src0_sel:WORD_1 src1_sel:DWORD
	v_mov_b32_e32 v24, 0
	v_mov_b32_e32 v22, 0
	s_mov_b32 s9, exec_lo
	v_cmpx_ne_u16_e32 0, v5
	s_cbranch_execz .LBB223_945
; %bb.938:                              ;   in Loop: Header=BB223_513 Depth=1
	v_bfrev_b32_e32 v21, 1
	v_mov_b32_e32 v22, 0
	s_mov_b32 s13, exec_lo
	v_cmpx_ne_u16_e32 0x80, v5
	s_cbranch_execz .LBB223_944
; %bb.939:                              ;   in Loop: Header=BB223_513 Depth=1
	v_mov_b32_e32 v21, 0x7f800001
	v_bfe_u32 v13, v101, 16, 7
	v_mov_b32_e32 v22, 0
	s_mov_b32 s14, exec_lo
	v_cmpx_ne_u32_e32 0x7f, v13
	s_cbranch_execz .LBB223_943
; %bb.940:                              ;   in Loop: Header=BB223_513 Depth=1
	v_and_b32_sdwa v5, v101, v48 dst_sel:DWORD dst_unused:UNUSED_PAD src0_sel:WORD_1 src1_sel:DWORD
	v_lshrrev_b32_e32 v11, 3, v13
	s_mov_b32 s15, exec_lo
	v_cmpx_gt_u32_e32 8, v13
; %bb.941:                              ;   in Loop: Header=BB223_513 Depth=1
	v_ffbh_u32_e32 v11, v5
	v_min_u32_e32 v11, 32, v11
	v_subrev_nc_u32_e32 v13, 28, v11
	v_sub_nc_u32_e32 v11, 29, v11
	v_lshlrev_b64 v[21:22], v13, v[5:6]
	v_and_b32_e32 v5, 7, v21
; %bb.942:                              ;   in Loop: Header=BB223_513 Depth=1
	s_or_b32 exec_lo, exec_lo, s15
	v_lshlrev_b32_sdwa v13, v49, v101 dst_sel:DWORD dst_unused:UNUSED_PAD src0_sel:DWORD src1_sel:WORD_1
	v_lshlrev_b32_e32 v5, 20, v5
	v_lshl_add_u32 v11, v11, 23, 0x3c000000
	v_and_b32_e32 v13, 0x80000000, v13
	v_or3_b32 v5, v5, v13, v11
	v_mov_b32_e32 v22, v6
	v_mov_b32_e32 v21, v5
.LBB223_943:                            ;   in Loop: Header=BB223_513 Depth=1
	s_or_b32 exec_lo, exec_lo, s14
.LBB223_944:                            ;   in Loop: Header=BB223_513 Depth=1
	s_or_b32 exec_lo, exec_lo, s13
.LBB223_945:                            ;   in Loop: Header=BB223_513 Depth=1
	s_or_b32 exec_lo, exec_lo, s9
	s_mov_b32 s9, exec_lo
	v_cmpx_lt_u32_e32 0xffffff, v101
	s_cbranch_execz .LBB223_953
; %bb.946:                              ;   in Loop: Header=BB223_513 Depth=1
	v_mov_b32_e32 v11, v6
	v_mov_b32_e32 v24, v12
	v_cmp_ne_u32_sdwa s0, v101, v45 src0_sel:BYTE_3 src1_sel:DWORD
	v_mov_b32_e32 v23, v11
	s_and_saveexec_b32 s13, s0
	s_cbranch_execz .LBB223_952
; %bb.947:                              ;   in Loop: Header=BB223_513 Depth=1
	v_mov_b32_e32 v13, v6
	v_mov_b32_e32 v24, v14
	v_bfe_u32 v102, v101, 24, 7
	s_mov_b32 s14, exec_lo
	v_mov_b32_e32 v23, v13
	v_cmpx_ne_u32_e32 0x7f, v102
	s_cbranch_execz .LBB223_951
; %bb.948:                              ;   in Loop: Header=BB223_513 Depth=1
	v_and_b32_sdwa v5, v101, v48 dst_sel:DWORD dst_unused:UNUSED_PAD src0_sel:BYTE_3 src1_sel:DWORD
	v_lshrrev_b32_e32 v11, 3, v102
	s_mov_b32 s15, exec_lo
	v_cmpx_gt_u32_e32 8, v102
; %bb.949:                              ;   in Loop: Header=BB223_513 Depth=1
	v_ffbh_u32_e32 v11, v5
	v_min_u32_e32 v11, 32, v11
	v_subrev_nc_u32_e32 v13, 28, v11
	v_sub_nc_u32_e32 v11, 29, v11
	v_lshlrev_b64 v[23:24], v13, v[5:6]
	v_and_b32_e32 v5, 7, v23
; %bb.950:                              ;   in Loop: Header=BB223_513 Depth=1
	s_or_b32 exec_lo, exec_lo, s15
	v_lshlrev_b32_sdwa v13, v49, v101 dst_sel:DWORD dst_unused:UNUSED_PAD src0_sel:DWORD src1_sel:BYTE_3
	v_lshlrev_b32_e32 v5, 20, v5
	v_lshl_add_u32 v11, v11, 23, 0x3c000000
	v_mov_b32_e32 v23, v6
	v_and_b32_e32 v13, 0x80000000, v13
	v_or3_b32 v24, v5, v13, v11
.LBB223_951:                            ;   in Loop: Header=BB223_513 Depth=1
	s_or_b32 exec_lo, exec_lo, s14
.LBB223_952:                            ;   in Loop: Header=BB223_513 Depth=1
	s_or_b32 exec_lo, exec_lo, s13
.LBB223_953:                            ;   in Loop: Header=BB223_513 Depth=1
	s_or_b32 exec_lo, exec_lo, s9
	v_or_b32_e32 v5, v20, v18
	v_or_b32_e32 v11, v19, v17
	;; [unrolled: 1-line block ×4, first 2 shown]
	v_mul_f32_e32 v103, s6, v5
	v_mul_f32_e32 v104, s3, v11
	;; [unrolled: 1-line block ×4, first 2 shown]
	s_and_saveexec_b32 s9, vcc_lo
	s_cbranch_execz .LBB223_955
; %bb.954:                              ;   in Loop: Header=BB223_513 Depth=1
	v_cmp_gt_i32_e64 s0, s27, v54
	v_cndmask_b32_e64 v104, 0, v104, s0
	v_cmp_gt_i32_e64 s0, s27, v56
	v_cndmask_b32_e64 v103, 0, v103, s0
	v_cmp_gt_i32_e64 s0, s27, v55
	v_cndmask_b32_e64 v102, 0, v102, s0
	v_cmp_gt_i32_e64 s0, s27, v43
	v_cndmask_b32_e64 v101, 0, v101, s0
.LBB223_955:                            ;   in Loop: Header=BB223_513 Depth=1
	s_or_b32 exec_lo, exec_lo, s9
	global_load_dword v105, v[15:16], off offset:1664
	v_mov_b32_e32 v19, 0
	v_mov_b32_e32 v17, 0
	;; [unrolled: 1-line block ×4, first 2 shown]
	s_waitcnt vmcnt(0)
	v_cmp_ne_u16_sdwa s0, v105, v6 src0_sel:BYTE_0 src1_sel:DWORD
	s_and_saveexec_b32 s9, s0
	s_cbranch_execz .LBB223_963
; %bb.956:                              ;   in Loop: Header=BB223_513 Depth=1
	v_bfrev_b32_e32 v17, 1
	v_mov_b32_e32 v18, 0
	v_cmp_ne_u16_sdwa s0, v105, v45 src0_sel:BYTE_0 src1_sel:DWORD
	s_and_saveexec_b32 s13, s0
	s_cbranch_execz .LBB223_962
; %bb.957:                              ;   in Loop: Header=BB223_513 Depth=1
	v_mov_b32_e32 v17, 0x7f800001
	v_and_b32_e32 v13, 0x7f, v105
	v_mov_b32_e32 v18, 0
	s_mov_b32 s14, exec_lo
	v_cmpx_ne_u32_e32 0x7f, v13
	s_cbranch_execz .LBB223_961
; %bb.958:                              ;   in Loop: Header=BB223_513 Depth=1
	v_and_b32_e32 v5, 7, v105
	v_lshrrev_b32_e32 v11, 3, v13
	s_mov_b32 s15, exec_lo
	v_cmpx_gt_u32_e32 8, v13
; %bb.959:                              ;   in Loop: Header=BB223_513 Depth=1
	v_ffbh_u32_e32 v11, v5
	v_min_u32_e32 v11, 32, v11
	v_subrev_nc_u32_e32 v13, 28, v11
	v_sub_nc_u32_e32 v11, 29, v11
	v_lshlrev_b64 v[17:18], v13, v[5:6]
	v_and_b32_e32 v5, 7, v17
; %bb.960:                              ;   in Loop: Header=BB223_513 Depth=1
	s_or_b32 exec_lo, exec_lo, s15
	v_lshlrev_b32_e32 v13, 24, v105
	v_lshlrev_b32_e32 v5, 20, v5
	v_lshl_add_u32 v11, v11, 23, 0x3c000000
	v_and_b32_e32 v13, 0x80000000, v13
	v_or3_b32 v5, v5, v13, v11
	v_mov_b32_e32 v18, v6
	v_mov_b32_e32 v17, v5
.LBB223_961:                            ;   in Loop: Header=BB223_513 Depth=1
	s_or_b32 exec_lo, exec_lo, s14
.LBB223_962:                            ;   in Loop: Header=BB223_513 Depth=1
	s_or_b32 exec_lo, exec_lo, s13
.LBB223_963:                            ;   in Loop: Header=BB223_513 Depth=1
	s_or_b32 exec_lo, exec_lo, s9
	v_cmp_ne_u16_sdwa s0, v105, v6 src0_sel:BYTE_1 src1_sel:DWORD
	s_and_saveexec_b32 s9, s0
	s_cbranch_execz .LBB223_971
; %bb.964:                              ;   in Loop: Header=BB223_513 Depth=1
	v_mov_b32_e32 v11, v6
	v_mov_b32_e32 v20, v12
	v_cmp_ne_u16_sdwa s0, v105, v45 src0_sel:BYTE_1 src1_sel:DWORD
	v_mov_b32_e32 v19, v11
	s_and_saveexec_b32 s13, s0
	s_cbranch_execz .LBB223_970
; %bb.965:                              ;   in Loop: Header=BB223_513 Depth=1
	v_and_b32_sdwa v5, v46, v105 dst_sel:DWORD dst_unused:UNUSED_PAD src0_sel:DWORD src1_sel:BYTE_1
	v_mov_b32_e32 v13, v6
	v_mov_b32_e32 v20, v14
	s_mov_b32 s14, exec_lo
	v_and_b32_e32 v21, 0x7f, v5
	v_mov_b32_e32 v19, v13
	v_cmpx_ne_u32_e32 0x7f, v21
	s_cbranch_execz .LBB223_969
; %bb.966:                              ;   in Loop: Header=BB223_513 Depth=1
	v_and_b32_e32 v5, 7, v5
	v_lshrrev_b32_e32 v11, 3, v21
	s_mov_b32 s15, exec_lo
	v_cmpx_gt_u32_e32 8, v21
; %bb.967:                              ;   in Loop: Header=BB223_513 Depth=1
	v_ffbh_u32_e32 v11, v5
	v_min_u32_e32 v11, 32, v11
	v_subrev_nc_u32_e32 v13, 28, v11
	v_sub_nc_u32_e32 v11, 29, v11
	v_lshlrev_b64 v[19:20], v13, v[5:6]
	v_and_b32_e32 v5, 7, v19
; %bb.968:                              ;   in Loop: Header=BB223_513 Depth=1
	s_or_b32 exec_lo, exec_lo, s15
	v_lshlrev_b32_e32 v13, 16, v105
	v_lshlrev_b32_e32 v5, 20, v5
	v_lshl_add_u32 v11, v11, 23, 0x3c000000
	v_mov_b32_e32 v19, v6
	v_and_b32_e32 v13, 0x80000000, v13
	v_or3_b32 v20, v5, v13, v11
.LBB223_969:                            ;   in Loop: Header=BB223_513 Depth=1
	s_or_b32 exec_lo, exec_lo, s14
.LBB223_970:                            ;   in Loop: Header=BB223_513 Depth=1
	s_or_b32 exec_lo, exec_lo, s13
.LBB223_971:                            ;   in Loop: Header=BB223_513 Depth=1
	s_or_b32 exec_lo, exec_lo, s9
	v_mov_b32_e32 v23, 0
	v_mov_b32_e32 v21, 0
	v_and_b32_sdwa v5, v105, v47 dst_sel:DWORD dst_unused:UNUSED_PAD src0_sel:WORD_1 src1_sel:DWORD
	v_mov_b32_e32 v24, 0
	v_mov_b32_e32 v22, 0
	s_mov_b32 s9, exec_lo
	v_cmpx_ne_u16_e32 0, v5
	s_cbranch_execz .LBB223_979
; %bb.972:                              ;   in Loop: Header=BB223_513 Depth=1
	v_bfrev_b32_e32 v21, 1
	v_mov_b32_e32 v22, 0
	s_mov_b32 s13, exec_lo
	v_cmpx_ne_u16_e32 0x80, v5
	s_cbranch_execz .LBB223_978
; %bb.973:                              ;   in Loop: Header=BB223_513 Depth=1
	v_mov_b32_e32 v21, 0x7f800001
	v_bfe_u32 v13, v105, 16, 7
	v_mov_b32_e32 v22, 0
	s_mov_b32 s14, exec_lo
	v_cmpx_ne_u32_e32 0x7f, v13
	s_cbranch_execz .LBB223_977
; %bb.974:                              ;   in Loop: Header=BB223_513 Depth=1
	v_and_b32_sdwa v5, v105, v48 dst_sel:DWORD dst_unused:UNUSED_PAD src0_sel:WORD_1 src1_sel:DWORD
	v_lshrrev_b32_e32 v11, 3, v13
	s_mov_b32 s15, exec_lo
	v_cmpx_gt_u32_e32 8, v13
; %bb.975:                              ;   in Loop: Header=BB223_513 Depth=1
	v_ffbh_u32_e32 v11, v5
	v_min_u32_e32 v11, 32, v11
	v_subrev_nc_u32_e32 v13, 28, v11
	v_sub_nc_u32_e32 v11, 29, v11
	v_lshlrev_b64 v[21:22], v13, v[5:6]
	v_and_b32_e32 v5, 7, v21
; %bb.976:                              ;   in Loop: Header=BB223_513 Depth=1
	s_or_b32 exec_lo, exec_lo, s15
	v_lshlrev_b32_sdwa v13, v49, v105 dst_sel:DWORD dst_unused:UNUSED_PAD src0_sel:DWORD src1_sel:WORD_1
	v_lshlrev_b32_e32 v5, 20, v5
	v_lshl_add_u32 v11, v11, 23, 0x3c000000
	v_and_b32_e32 v13, 0x80000000, v13
	v_or3_b32 v5, v5, v13, v11
	v_mov_b32_e32 v22, v6
	v_mov_b32_e32 v21, v5
.LBB223_977:                            ;   in Loop: Header=BB223_513 Depth=1
	s_or_b32 exec_lo, exec_lo, s14
.LBB223_978:                            ;   in Loop: Header=BB223_513 Depth=1
	s_or_b32 exec_lo, exec_lo, s13
.LBB223_979:                            ;   in Loop: Header=BB223_513 Depth=1
	s_or_b32 exec_lo, exec_lo, s9
	s_mov_b32 s9, exec_lo
	v_cmpx_lt_u32_e32 0xffffff, v105
	s_cbranch_execz .LBB223_987
; %bb.980:                              ;   in Loop: Header=BB223_513 Depth=1
	v_mov_b32_e32 v11, v6
	v_mov_b32_e32 v24, v12
	v_cmp_ne_u32_sdwa s0, v105, v45 src0_sel:BYTE_3 src1_sel:DWORD
	v_mov_b32_e32 v23, v11
	s_and_saveexec_b32 s13, s0
	s_cbranch_execz .LBB223_986
; %bb.981:                              ;   in Loop: Header=BB223_513 Depth=1
	v_mov_b32_e32 v13, v6
	v_mov_b32_e32 v24, v14
	v_bfe_u32 v106, v105, 24, 7
	s_mov_b32 s14, exec_lo
	v_mov_b32_e32 v23, v13
	v_cmpx_ne_u32_e32 0x7f, v106
	s_cbranch_execz .LBB223_985
; %bb.982:                              ;   in Loop: Header=BB223_513 Depth=1
	v_and_b32_sdwa v5, v105, v48 dst_sel:DWORD dst_unused:UNUSED_PAD src0_sel:BYTE_3 src1_sel:DWORD
	v_lshrrev_b32_e32 v11, 3, v106
	s_mov_b32 s15, exec_lo
	v_cmpx_gt_u32_e32 8, v106
; %bb.983:                              ;   in Loop: Header=BB223_513 Depth=1
	v_ffbh_u32_e32 v11, v5
	v_min_u32_e32 v11, 32, v11
	v_subrev_nc_u32_e32 v13, 28, v11
	v_sub_nc_u32_e32 v11, 29, v11
	v_lshlrev_b64 v[23:24], v13, v[5:6]
	v_and_b32_e32 v5, 7, v23
; %bb.984:                              ;   in Loop: Header=BB223_513 Depth=1
	s_or_b32 exec_lo, exec_lo, s15
	v_lshlrev_b32_sdwa v13, v49, v105 dst_sel:DWORD dst_unused:UNUSED_PAD src0_sel:DWORD src1_sel:BYTE_3
	v_lshlrev_b32_e32 v5, 20, v5
	v_lshl_add_u32 v11, v11, 23, 0x3c000000
	v_mov_b32_e32 v23, v6
	v_and_b32_e32 v13, 0x80000000, v13
	v_or3_b32 v24, v5, v13, v11
.LBB223_985:                            ;   in Loop: Header=BB223_513 Depth=1
	s_or_b32 exec_lo, exec_lo, s14
.LBB223_986:                            ;   in Loop: Header=BB223_513 Depth=1
	s_or_b32 exec_lo, exec_lo, s13
.LBB223_987:                            ;   in Loop: Header=BB223_513 Depth=1
	s_or_b32 exec_lo, exec_lo, s9
	v_or_b32_e32 v5, v20, v18
	v_or_b32_e32 v11, v19, v17
	;; [unrolled: 1-line block ×4, first 2 shown]
	v_mul_f32_e32 v105, s6, v5
	v_mul_f32_e32 v106, s3, v11
	;; [unrolled: 1-line block ×4, first 2 shown]
	s_and_saveexec_b32 s9, vcc_lo
	s_cbranch_execz .LBB223_989
; %bb.988:                              ;   in Loop: Header=BB223_513 Depth=1
	v_cmp_gt_i32_e64 s0, s27, v54
	v_cndmask_b32_e64 v106, 0, v106, s0
	v_cmp_gt_i32_e64 s0, s27, v56
	v_cndmask_b32_e64 v105, 0, v105, s0
	;; [unrolled: 2-line block ×4, first 2 shown]
.LBB223_989:                            ;   in Loop: Header=BB223_513 Depth=1
	s_or_b32 exec_lo, exec_lo, s9
	global_load_dword v107, v[15:16], off offset:1792
	v_mov_b32_e32 v17, 0
	v_mov_b32_e32 v15, 0
	;; [unrolled: 1-line block ×4, first 2 shown]
	s_waitcnt vmcnt(0)
	v_cmp_ne_u16_sdwa s0, v107, v6 src0_sel:BYTE_0 src1_sel:DWORD
	s_and_saveexec_b32 s9, s0
	s_cbranch_execz .LBB223_997
; %bb.990:                              ;   in Loop: Header=BB223_513 Depth=1
	v_bfrev_b32_e32 v15, 1
	v_mov_b32_e32 v16, 0
	v_cmp_ne_u16_sdwa s0, v107, v45 src0_sel:BYTE_0 src1_sel:DWORD
	s_and_saveexec_b32 s13, s0
	s_cbranch_execz .LBB223_996
; %bb.991:                              ;   in Loop: Header=BB223_513 Depth=1
	v_mov_b32_e32 v15, 0x7f800001
	v_and_b32_e32 v13, 0x7f, v107
	v_mov_b32_e32 v16, 0
	s_mov_b32 s14, exec_lo
	v_cmpx_ne_u32_e32 0x7f, v13
	s_cbranch_execz .LBB223_995
; %bb.992:                              ;   in Loop: Header=BB223_513 Depth=1
	v_and_b32_e32 v5, 7, v107
	v_lshrrev_b32_e32 v11, 3, v13
	s_mov_b32 s15, exec_lo
	v_cmpx_gt_u32_e32 8, v13
; %bb.993:                              ;   in Loop: Header=BB223_513 Depth=1
	v_ffbh_u32_e32 v11, v5
	v_min_u32_e32 v11, 32, v11
	v_subrev_nc_u32_e32 v13, 28, v11
	v_sub_nc_u32_e32 v11, 29, v11
	v_lshlrev_b64 v[15:16], v13, v[5:6]
	v_and_b32_e32 v5, 7, v15
; %bb.994:                              ;   in Loop: Header=BB223_513 Depth=1
	s_or_b32 exec_lo, exec_lo, s15
	v_lshlrev_b32_e32 v13, 24, v107
	v_lshlrev_b32_e32 v5, 20, v5
	v_lshl_add_u32 v11, v11, 23, 0x3c000000
	v_and_b32_e32 v13, 0x80000000, v13
	v_or3_b32 v5, v5, v13, v11
	v_mov_b32_e32 v16, v6
	v_mov_b32_e32 v15, v5
.LBB223_995:                            ;   in Loop: Header=BB223_513 Depth=1
	s_or_b32 exec_lo, exec_lo, s14
.LBB223_996:                            ;   in Loop: Header=BB223_513 Depth=1
	s_or_b32 exec_lo, exec_lo, s13
.LBB223_997:                            ;   in Loop: Header=BB223_513 Depth=1
	s_or_b32 exec_lo, exec_lo, s9
	v_cmp_ne_u16_sdwa s0, v107, v6 src0_sel:BYTE_1 src1_sel:DWORD
	s_and_saveexec_b32 s9, s0
	s_cbranch_execz .LBB223_1005
; %bb.998:                              ;   in Loop: Header=BB223_513 Depth=1
	v_mov_b32_e32 v11, v6
	v_mov_b32_e32 v18, v12
	v_cmp_ne_u16_sdwa s0, v107, v45 src0_sel:BYTE_1 src1_sel:DWORD
	v_mov_b32_e32 v17, v11
	s_and_saveexec_b32 s13, s0
	s_cbranch_execz .LBB223_1004
; %bb.999:                              ;   in Loop: Header=BB223_513 Depth=1
	v_and_b32_sdwa v5, v46, v107 dst_sel:DWORD dst_unused:UNUSED_PAD src0_sel:DWORD src1_sel:BYTE_1
	v_mov_b32_e32 v13, v6
	v_mov_b32_e32 v18, v14
	s_mov_b32 s14, exec_lo
	v_and_b32_e32 v19, 0x7f, v5
	v_mov_b32_e32 v17, v13
	v_cmpx_ne_u32_e32 0x7f, v19
	s_cbranch_execz .LBB223_1003
; %bb.1000:                             ;   in Loop: Header=BB223_513 Depth=1
	v_and_b32_e32 v5, 7, v5
	v_lshrrev_b32_e32 v11, 3, v19
	s_mov_b32 s15, exec_lo
	v_cmpx_gt_u32_e32 8, v19
; %bb.1001:                             ;   in Loop: Header=BB223_513 Depth=1
	v_ffbh_u32_e32 v11, v5
	v_min_u32_e32 v11, 32, v11
	v_subrev_nc_u32_e32 v13, 28, v11
	v_sub_nc_u32_e32 v11, 29, v11
	v_lshlrev_b64 v[17:18], v13, v[5:6]
	v_and_b32_e32 v5, 7, v17
; %bb.1002:                             ;   in Loop: Header=BB223_513 Depth=1
	s_or_b32 exec_lo, exec_lo, s15
	v_lshlrev_b32_e32 v13, 16, v107
	v_lshlrev_b32_e32 v5, 20, v5
	v_lshl_add_u32 v11, v11, 23, 0x3c000000
	v_mov_b32_e32 v17, v6
	v_and_b32_e32 v13, 0x80000000, v13
	v_or3_b32 v18, v5, v13, v11
.LBB223_1003:                           ;   in Loop: Header=BB223_513 Depth=1
	s_or_b32 exec_lo, exec_lo, s14
.LBB223_1004:                           ;   in Loop: Header=BB223_513 Depth=1
	s_or_b32 exec_lo, exec_lo, s13
.LBB223_1005:                           ;   in Loop: Header=BB223_513 Depth=1
	s_or_b32 exec_lo, exec_lo, s9
	v_mov_b32_e32 v21, 0
	v_mov_b32_e32 v19, 0
	v_and_b32_sdwa v5, v107, v47 dst_sel:DWORD dst_unused:UNUSED_PAD src0_sel:WORD_1 src1_sel:DWORD
	v_mov_b32_e32 v22, 0
	v_mov_b32_e32 v20, 0
	s_mov_b32 s9, exec_lo
	v_cmpx_ne_u16_e32 0, v5
	s_cbranch_execz .LBB223_1013
; %bb.1006:                             ;   in Loop: Header=BB223_513 Depth=1
	v_bfrev_b32_e32 v19, 1
	v_mov_b32_e32 v20, 0
	s_mov_b32 s13, exec_lo
	v_cmpx_ne_u16_e32 0x80, v5
	s_cbranch_execz .LBB223_1012
; %bb.1007:                             ;   in Loop: Header=BB223_513 Depth=1
	v_mov_b32_e32 v19, 0x7f800001
	v_bfe_u32 v13, v107, 16, 7
	v_mov_b32_e32 v20, 0
	s_mov_b32 s14, exec_lo
	v_cmpx_ne_u32_e32 0x7f, v13
	s_cbranch_execz .LBB223_1011
; %bb.1008:                             ;   in Loop: Header=BB223_513 Depth=1
	v_and_b32_sdwa v5, v107, v48 dst_sel:DWORD dst_unused:UNUSED_PAD src0_sel:WORD_1 src1_sel:DWORD
	v_lshrrev_b32_e32 v11, 3, v13
	s_mov_b32 s15, exec_lo
	v_cmpx_gt_u32_e32 8, v13
; %bb.1009:                             ;   in Loop: Header=BB223_513 Depth=1
	v_ffbh_u32_e32 v11, v5
	v_min_u32_e32 v11, 32, v11
	v_subrev_nc_u32_e32 v13, 28, v11
	v_sub_nc_u32_e32 v11, 29, v11
	v_lshlrev_b64 v[19:20], v13, v[5:6]
	v_and_b32_e32 v5, 7, v19
; %bb.1010:                             ;   in Loop: Header=BB223_513 Depth=1
	s_or_b32 exec_lo, exec_lo, s15
	v_lshlrev_b32_sdwa v13, v49, v107 dst_sel:DWORD dst_unused:UNUSED_PAD src0_sel:DWORD src1_sel:WORD_1
	v_lshlrev_b32_e32 v5, 20, v5
	v_lshl_add_u32 v11, v11, 23, 0x3c000000
	v_and_b32_e32 v13, 0x80000000, v13
	v_or3_b32 v5, v5, v13, v11
	v_mov_b32_e32 v20, v6
	v_mov_b32_e32 v19, v5
.LBB223_1011:                           ;   in Loop: Header=BB223_513 Depth=1
	s_or_b32 exec_lo, exec_lo, s14
.LBB223_1012:                           ;   in Loop: Header=BB223_513 Depth=1
	s_or_b32 exec_lo, exec_lo, s13
.LBB223_1013:                           ;   in Loop: Header=BB223_513 Depth=1
	s_or_b32 exec_lo, exec_lo, s9
	s_mov_b32 s9, exec_lo
	v_cmpx_lt_u32_e32 0xffffff, v107
	s_cbranch_execz .LBB223_1021
; %bb.1014:                             ;   in Loop: Header=BB223_513 Depth=1
	v_mov_b32_e32 v11, v6
	v_mov_b32_e32 v22, v12
	v_cmp_ne_u32_sdwa s0, v107, v45 src0_sel:BYTE_3 src1_sel:DWORD
	v_mov_b32_e32 v21, v11
	s_and_saveexec_b32 s13, s0
	s_cbranch_execz .LBB223_1020
; %bb.1015:                             ;   in Loop: Header=BB223_513 Depth=1
	v_mov_b32_e32 v13, v6
	v_mov_b32_e32 v22, v14
	v_bfe_u32 v108, v107, 24, 7
	s_mov_b32 s14, exec_lo
	v_mov_b32_e32 v21, v13
	v_cmpx_ne_u32_e32 0x7f, v108
	s_cbranch_execz .LBB223_1019
; %bb.1016:                             ;   in Loop: Header=BB223_513 Depth=1
	v_and_b32_sdwa v5, v107, v48 dst_sel:DWORD dst_unused:UNUSED_PAD src0_sel:BYTE_3 src1_sel:DWORD
	v_lshrrev_b32_e32 v11, 3, v108
	s_mov_b32 s15, exec_lo
	v_cmpx_gt_u32_e32 8, v108
; %bb.1017:                             ;   in Loop: Header=BB223_513 Depth=1
	v_ffbh_u32_e32 v11, v5
	v_min_u32_e32 v11, 32, v11
	v_subrev_nc_u32_e32 v13, 28, v11
	v_sub_nc_u32_e32 v11, 29, v11
	v_lshlrev_b64 v[21:22], v13, v[5:6]
	v_and_b32_e32 v5, 7, v21
; %bb.1018:                             ;   in Loop: Header=BB223_513 Depth=1
	s_or_b32 exec_lo, exec_lo, s15
	v_lshlrev_b32_sdwa v13, v49, v107 dst_sel:DWORD dst_unused:UNUSED_PAD src0_sel:DWORD src1_sel:BYTE_3
	v_lshlrev_b32_e32 v5, 20, v5
	v_lshl_add_u32 v11, v11, 23, 0x3c000000
	v_mov_b32_e32 v21, v6
	v_and_b32_e32 v13, 0x80000000, v13
	v_or3_b32 v22, v5, v13, v11
.LBB223_1019:                           ;   in Loop: Header=BB223_513 Depth=1
	s_or_b32 exec_lo, exec_lo, s14
.LBB223_1020:                           ;   in Loop: Header=BB223_513 Depth=1
	s_or_b32 exec_lo, exec_lo, s13
.LBB223_1021:                           ;   in Loop: Header=BB223_513 Depth=1
	s_or_b32 exec_lo, exec_lo, s9
	v_or_b32_e32 v5, v18, v16
	v_or_b32_e32 v11, v17, v15
	;; [unrolled: 1-line block ×4, first 2 shown]
	v_mul_f32_e32 v13, s6, v5
	v_mul_f32_e32 v15, s3, v11
	;; [unrolled: 1-line block ×4, first 2 shown]
	s_and_saveexec_b32 s0, vcc_lo
	s_cbranch_execz .LBB223_512
; %bb.1022:                             ;   in Loop: Header=BB223_513 Depth=1
	v_cmp_gt_i32_e32 vcc_lo, s27, v54
	v_cndmask_b32_e32 v15, 0, v15, vcc_lo
	v_cmp_gt_i32_e32 vcc_lo, s27, v56
	v_cndmask_b32_e32 v13, 0, v13, vcc_lo
	;; [unrolled: 2-line block ×4, first 2 shown]
	s_branch .LBB223_512
.LBB223_1023:
	s_or_b32 exec_lo, exec_lo, s5
.LBB223_1024:
	s_or_b32 exec_lo, exec_lo, s1
	ds_bpermute_b32 v1, v26, v40
	ds_bpermute_b32 v2, v26, v42
	;; [unrolled: 1-line block ×15, first 2 shown]
	s_mov_b32 s0, exec_lo
	s_waitcnt lgkmcnt(0)
	s_waitcnt_vscnt null, 0x0
	s_barrier
	buffer_gl0_inv
	v_add_f32_e32 v1, v40, v1
	v_add_f32_e32 v2, v42, v2
	v_add_f32_e32 v3, v41, v3
	v_add_f32_e32 v4, v39, v4
	v_add_f32_e32 v5, v38, v5
	v_add_f32_e32 v6, v37, v6
	v_add_f32_e32 v7, v36, v7
	ds_bpermute_b32 v16, v27, v1
	v_add_f32_e32 v8, v35, v8
	v_add_f32_e32 v9, v34, v9
	;; [unrolled: 1-line block ×8, first 2 shown]
	ds_bpermute_b32 v17, v27, v2
	ds_bpermute_b32 v18, v27, v3
	;; [unrolled: 1-line block ×14, first 2 shown]
	s_waitcnt lgkmcnt(14)
	v_add_f32_e32 v0, v1, v16
	v_and_b32_e32 v16, 28, v25
	s_waitcnt lgkmcnt(13)
	v_add_f32_e32 v1, v2, v17
	s_waitcnt lgkmcnt(12)
	v_add_f32_e32 v2, v3, v18
	;; [unrolled: 2-line block ×13, first 2 shown]
	v_and_b32_e32 v18, 0x3c3, v109
	s_waitcnt lgkmcnt(0)
	v_add_f32_e32 v14, v15, v27
	v_lshrrev_b32_e32 v15, 2, v25
	v_add_nc_u32_e32 v16, 0x200, v16
	v_mul_u32_u24_e32 v17, 0x1e0, v110
	v_cmpx_eq_u32_e32 64, v18
	s_cbranch_execz .LBB223_1026
; %bb.1025:
	v_add_nc_u32_e32 v18, v16, v17
	v_add_nc_u32_e32 v19, 0xfffffc40, v18
	;; [unrolled: 1-line block ×6, first 2 shown]
	ds_write_b32 v19, v0
	ds_write_b32 v20, v1
	;; [unrolled: 1-line block ×5, first 2 shown]
	v_add_nc_u32_e32 v19, 0xfffffce0, v18
	v_add_nc_u32_e32 v20, 0xfffffd00, v18
	;; [unrolled: 1-line block ×5, first 2 shown]
	ds_write_b32 v19, v5
	ds_write_b32 v20, v6
	;; [unrolled: 1-line block ×5, first 2 shown]
	v_add_nc_u32_e32 v19, 0xfffffd80, v18
	v_add_nc_u32_e32 v20, 0xfffffda0, v18
	;; [unrolled: 1-line block ×5, first 2 shown]
	ds_write_b32 v19, v10
	ds_write_b32 v20, v11
	;; [unrolled: 1-line block ×5, first 2 shown]
.LBB223_1026:
	s_or_b32 exec_lo, exec_lo, s0
	v_lshlrev_b32_e32 v15, 2, v15
	s_mov_b32 s1, exec_lo
	v_cmp_eq_u32_e32 vcc_lo, 0, v28
	s_waitcnt lgkmcnt(0)
	s_barrier
	v_add3_u32 v15, 0x200, v17, v15
	buffer_gl0_inv
	v_cmpx_gt_u32_e32 64, v109
	s_cbranch_execz .LBB223_1044
; %bb.1027:
	s_and_saveexec_b32 s0, vcc_lo
	s_cbranch_execnz .LBB223_1067
; %bb.1028:
	s_or_b32 exec_lo, exec_lo, s0
	s_and_saveexec_b32 s0, vcc_lo
	s_cbranch_execnz .LBB223_1068
.LBB223_1029:
	s_or_b32 exec_lo, exec_lo, s0
	s_and_saveexec_b32 s0, vcc_lo
	s_cbranch_execnz .LBB223_1069
.LBB223_1030:
	s_or_b32 exec_lo, exec_lo, s0
	s_and_saveexec_b32 s0, vcc_lo
	s_cbranch_execnz .LBB223_1070
.LBB223_1031:
	s_or_b32 exec_lo, exec_lo, s0
	s_and_saveexec_b32 s0, vcc_lo
	s_cbranch_execnz .LBB223_1071
.LBB223_1032:
	s_or_b32 exec_lo, exec_lo, s0
	s_and_saveexec_b32 s0, vcc_lo
	s_cbranch_execnz .LBB223_1072
.LBB223_1033:
	s_or_b32 exec_lo, exec_lo, s0
	s_and_saveexec_b32 s0, vcc_lo
	s_cbranch_execnz .LBB223_1073
.LBB223_1034:
	s_or_b32 exec_lo, exec_lo, s0
	s_and_saveexec_b32 s0, vcc_lo
	s_cbranch_execnz .LBB223_1074
.LBB223_1035:
	s_or_b32 exec_lo, exec_lo, s0
	s_and_saveexec_b32 s0, vcc_lo
	s_cbranch_execnz .LBB223_1075
.LBB223_1036:
	s_or_b32 exec_lo, exec_lo, s0
	s_and_saveexec_b32 s0, vcc_lo
	s_cbranch_execnz .LBB223_1076
.LBB223_1037:
	s_or_b32 exec_lo, exec_lo, s0
	s_and_saveexec_b32 s0, vcc_lo
	s_cbranch_execnz .LBB223_1077
.LBB223_1038:
	s_or_b32 exec_lo, exec_lo, s0
	s_and_saveexec_b32 s0, vcc_lo
	s_cbranch_execnz .LBB223_1078
.LBB223_1039:
	s_or_b32 exec_lo, exec_lo, s0
	s_and_saveexec_b32 s0, vcc_lo
	s_cbranch_execnz .LBB223_1079
.LBB223_1040:
	s_or_b32 exec_lo, exec_lo, s0
	s_and_saveexec_b32 s0, vcc_lo
	s_cbranch_execnz .LBB223_1080
.LBB223_1041:
	s_or_b32 exec_lo, exec_lo, s0
	s_and_saveexec_b32 s0, vcc_lo
	s_cbranch_execz .LBB223_1043
.LBB223_1042:
	ds_read_b32 v17, v15 offset:448
	s_waitcnt lgkmcnt(0)
	v_add_f32_e32 v14, v14, v17
.LBB223_1043:
	s_or_b32 exec_lo, exec_lo, s0
.LBB223_1044:
	s_or_b32 exec_lo, exec_lo, s1
	v_and_b32_e32 v17, 0x3e3, v109
	s_mov_b32 s1, exec_lo
	s_barrier
	buffer_gl0_inv
	v_cmpx_eq_u32_e32 32, v17
	s_cbranch_execz .LBB223_1046
; %bb.1045:
	ds_write2_b32 v16, v0, v1 offset1:8
	ds_write2_b32 v16, v2, v3 offset0:16 offset1:24
	ds_write2_b32 v16, v4, v5 offset0:32 offset1:40
	;; [unrolled: 1-line block ×6, first 2 shown]
	ds_write_b32 v16, v14 offset:448
.LBB223_1046:
	s_or_b32 exec_lo, exec_lo, s1
	s_mov_b32 s1, exec_lo
	s_waitcnt lgkmcnt(0)
	s_barrier
	buffer_gl0_inv
	v_cmpx_gt_u32_e32 32, v109
	s_cbranch_execz .LBB223_1064
; %bb.1047:
	s_and_saveexec_b32 s0, vcc_lo
	s_cbranch_execnz .LBB223_1081
; %bb.1048:
	s_or_b32 exec_lo, exec_lo, s0
	s_and_saveexec_b32 s0, vcc_lo
	s_cbranch_execnz .LBB223_1082
.LBB223_1049:
	s_or_b32 exec_lo, exec_lo, s0
	s_and_saveexec_b32 s0, vcc_lo
	s_cbranch_execnz .LBB223_1083
.LBB223_1050:
	s_or_b32 exec_lo, exec_lo, s0
	s_and_saveexec_b32 s0, vcc_lo
	s_cbranch_execnz .LBB223_1084
.LBB223_1051:
	s_or_b32 exec_lo, exec_lo, s0
	s_and_saveexec_b32 s0, vcc_lo
	s_cbranch_execnz .LBB223_1085
.LBB223_1052:
	s_or_b32 exec_lo, exec_lo, s0
	s_and_saveexec_b32 s0, vcc_lo
	s_cbranch_execnz .LBB223_1086
.LBB223_1053:
	s_or_b32 exec_lo, exec_lo, s0
	s_and_saveexec_b32 s0, vcc_lo
	s_cbranch_execnz .LBB223_1087
.LBB223_1054:
	s_or_b32 exec_lo, exec_lo, s0
	s_and_saveexec_b32 s0, vcc_lo
	s_cbranch_execnz .LBB223_1088
.LBB223_1055:
	s_or_b32 exec_lo, exec_lo, s0
	s_and_saveexec_b32 s0, vcc_lo
	s_cbranch_execnz .LBB223_1089
.LBB223_1056:
	s_or_b32 exec_lo, exec_lo, s0
	s_and_saveexec_b32 s0, vcc_lo
	s_cbranch_execnz .LBB223_1090
.LBB223_1057:
	s_or_b32 exec_lo, exec_lo, s0
	s_and_saveexec_b32 s0, vcc_lo
	s_cbranch_execnz .LBB223_1091
.LBB223_1058:
	s_or_b32 exec_lo, exec_lo, s0
	s_and_saveexec_b32 s0, vcc_lo
	s_cbranch_execnz .LBB223_1092
.LBB223_1059:
	s_or_b32 exec_lo, exec_lo, s0
	s_and_saveexec_b32 s0, vcc_lo
	s_cbranch_execnz .LBB223_1093
.LBB223_1060:
	s_or_b32 exec_lo, exec_lo, s0
	s_and_saveexec_b32 s0, vcc_lo
	s_cbranch_execnz .LBB223_1094
.LBB223_1061:
	s_or_b32 exec_lo, exec_lo, s0
	s_and_saveexec_b32 s0, vcc_lo
	s_cbranch_execz .LBB223_1063
.LBB223_1062:
	ds_read_b32 v15, v15 offset:448
	s_waitcnt lgkmcnt(0)
	v_add_f32_e32 v14, v14, v15
.LBB223_1063:
	s_or_b32 exec_lo, exec_lo, s0
.LBB223_1064:
	s_or_b32 exec_lo, exec_lo, s1
	s_barrier
	buffer_gl0_inv
	s_mov_b32 s0, exec_lo
	v_cmpx_eq_u32_e32 0, v17
	s_cbranch_execz .LBB223_1066
; %bb.1065:
	s_mul_i32 s0, s2, 0x78
	s_mul_i32 s2, s7, s10
	s_ashr_i32 s1, s0, 31
	s_lshl_b64 s[0:1], s[0:1], 2
	s_add_u32 s4, s24, s0
	s_addc_u32 s5, s25, s1
	s_ashr_i32 s3, s2, 31
	s_lshl_b64 s[0:1], s[2:3], 2
	s_mul_i32 s2, s8, 0x78
	s_add_u32 s4, s4, s0
	s_addc_u32 s5, s5, s1
	s_ashr_i32 s3, s2, 31
	s_lshl_b64 s[0:1], s[2:3], 2
	s_add_u32 s0, s4, s0
	s_addc_u32 s1, s5, s1
	global_store_dword v109, v0, s[0:1]
	global_store_dword v109, v1, s[0:1] offset:32
	global_store_dword v109, v2, s[0:1] offset:64
	;; [unrolled: 1-line block ×14, first 2 shown]
.LBB223_1066:
	s_endpgm
.LBB223_1067:
	ds_read_b32 v17, v15
	s_waitcnt lgkmcnt(0)
	v_add_f32_e32 v0, v0, v17
	s_or_b32 exec_lo, exec_lo, s0
	s_and_saveexec_b32 s0, vcc_lo
	s_cbranch_execz .LBB223_1029
.LBB223_1068:
	ds_read_b32 v17, v15 offset:32
	s_waitcnt lgkmcnt(0)
	v_add_f32_e32 v1, v1, v17
	s_or_b32 exec_lo, exec_lo, s0
	s_and_saveexec_b32 s0, vcc_lo
	s_cbranch_execz .LBB223_1030
.LBB223_1069:
	ds_read_b32 v17, v15 offset:64
	s_waitcnt lgkmcnt(0)
	v_add_f32_e32 v2, v2, v17
	s_or_b32 exec_lo, exec_lo, s0
	s_and_saveexec_b32 s0, vcc_lo
	s_cbranch_execz .LBB223_1031
.LBB223_1070:
	ds_read_b32 v17, v15 offset:96
	s_waitcnt lgkmcnt(0)
	v_add_f32_e32 v3, v3, v17
	s_or_b32 exec_lo, exec_lo, s0
	s_and_saveexec_b32 s0, vcc_lo
	s_cbranch_execz .LBB223_1032
.LBB223_1071:
	ds_read_b32 v17, v15 offset:128
	s_waitcnt lgkmcnt(0)
	v_add_f32_e32 v4, v4, v17
	s_or_b32 exec_lo, exec_lo, s0
	s_and_saveexec_b32 s0, vcc_lo
	s_cbranch_execz .LBB223_1033
.LBB223_1072:
	ds_read_b32 v17, v15 offset:160
	s_waitcnt lgkmcnt(0)
	v_add_f32_e32 v5, v5, v17
	s_or_b32 exec_lo, exec_lo, s0
	s_and_saveexec_b32 s0, vcc_lo
	s_cbranch_execz .LBB223_1034
.LBB223_1073:
	ds_read_b32 v17, v15 offset:192
	s_waitcnt lgkmcnt(0)
	v_add_f32_e32 v6, v6, v17
	s_or_b32 exec_lo, exec_lo, s0
	s_and_saveexec_b32 s0, vcc_lo
	s_cbranch_execz .LBB223_1035
.LBB223_1074:
	ds_read_b32 v17, v15 offset:224
	s_waitcnt lgkmcnt(0)
	v_add_f32_e32 v7, v7, v17
	s_or_b32 exec_lo, exec_lo, s0
	s_and_saveexec_b32 s0, vcc_lo
	s_cbranch_execz .LBB223_1036
.LBB223_1075:
	ds_read_b32 v17, v15 offset:256
	s_waitcnt lgkmcnt(0)
	v_add_f32_e32 v8, v8, v17
	s_or_b32 exec_lo, exec_lo, s0
	s_and_saveexec_b32 s0, vcc_lo
	s_cbranch_execz .LBB223_1037
.LBB223_1076:
	ds_read_b32 v17, v15 offset:288
	s_waitcnt lgkmcnt(0)
	v_add_f32_e32 v9, v9, v17
	s_or_b32 exec_lo, exec_lo, s0
	s_and_saveexec_b32 s0, vcc_lo
	s_cbranch_execz .LBB223_1038
.LBB223_1077:
	ds_read_b32 v17, v15 offset:320
	s_waitcnt lgkmcnt(0)
	v_add_f32_e32 v10, v10, v17
	s_or_b32 exec_lo, exec_lo, s0
	s_and_saveexec_b32 s0, vcc_lo
	s_cbranch_execz .LBB223_1039
.LBB223_1078:
	ds_read_b32 v17, v15 offset:352
	s_waitcnt lgkmcnt(0)
	v_add_f32_e32 v11, v11, v17
	s_or_b32 exec_lo, exec_lo, s0
	s_and_saveexec_b32 s0, vcc_lo
	s_cbranch_execz .LBB223_1040
.LBB223_1079:
	ds_read_b32 v17, v15 offset:384
	s_waitcnt lgkmcnt(0)
	v_add_f32_e32 v12, v12, v17
	s_or_b32 exec_lo, exec_lo, s0
	s_and_saveexec_b32 s0, vcc_lo
	s_cbranch_execz .LBB223_1041
.LBB223_1080:
	ds_read_b32 v17, v15 offset:416
	s_waitcnt lgkmcnt(0)
	v_add_f32_e32 v13, v13, v17
	s_or_b32 exec_lo, exec_lo, s0
	s_and_saveexec_b32 s0, vcc_lo
	s_cbranch_execnz .LBB223_1042
	s_branch .LBB223_1043
.LBB223_1081:
	ds_read_b32 v16, v15
	s_waitcnt lgkmcnt(0)
	v_add_f32_e32 v0, v0, v16
	s_or_b32 exec_lo, exec_lo, s0
	s_and_saveexec_b32 s0, vcc_lo
	s_cbranch_execz .LBB223_1049
.LBB223_1082:
	ds_read_b32 v16, v15 offset:32
	s_waitcnt lgkmcnt(0)
	v_add_f32_e32 v1, v1, v16
	s_or_b32 exec_lo, exec_lo, s0
	s_and_saveexec_b32 s0, vcc_lo
	s_cbranch_execz .LBB223_1050
.LBB223_1083:
	ds_read_b32 v16, v15 offset:64
	s_waitcnt lgkmcnt(0)
	v_add_f32_e32 v2, v2, v16
	s_or_b32 exec_lo, exec_lo, s0
	s_and_saveexec_b32 s0, vcc_lo
	s_cbranch_execz .LBB223_1051
.LBB223_1084:
	ds_read_b32 v16, v15 offset:96
	s_waitcnt lgkmcnt(0)
	v_add_f32_e32 v3, v3, v16
	s_or_b32 exec_lo, exec_lo, s0
	s_and_saveexec_b32 s0, vcc_lo
	s_cbranch_execz .LBB223_1052
.LBB223_1085:
	ds_read_b32 v16, v15 offset:128
	s_waitcnt lgkmcnt(0)
	v_add_f32_e32 v4, v4, v16
	s_or_b32 exec_lo, exec_lo, s0
	s_and_saveexec_b32 s0, vcc_lo
	s_cbranch_execz .LBB223_1053
.LBB223_1086:
	ds_read_b32 v16, v15 offset:160
	s_waitcnt lgkmcnt(0)
	v_add_f32_e32 v5, v5, v16
	s_or_b32 exec_lo, exec_lo, s0
	s_and_saveexec_b32 s0, vcc_lo
	s_cbranch_execz .LBB223_1054
.LBB223_1087:
	ds_read_b32 v16, v15 offset:192
	s_waitcnt lgkmcnt(0)
	v_add_f32_e32 v6, v6, v16
	s_or_b32 exec_lo, exec_lo, s0
	s_and_saveexec_b32 s0, vcc_lo
	s_cbranch_execz .LBB223_1055
.LBB223_1088:
	ds_read_b32 v16, v15 offset:224
	s_waitcnt lgkmcnt(0)
	v_add_f32_e32 v7, v7, v16
	s_or_b32 exec_lo, exec_lo, s0
	s_and_saveexec_b32 s0, vcc_lo
	s_cbranch_execz .LBB223_1056
.LBB223_1089:
	ds_read_b32 v16, v15 offset:256
	s_waitcnt lgkmcnt(0)
	v_add_f32_e32 v8, v8, v16
	s_or_b32 exec_lo, exec_lo, s0
	s_and_saveexec_b32 s0, vcc_lo
	s_cbranch_execz .LBB223_1057
.LBB223_1090:
	ds_read_b32 v16, v15 offset:288
	s_waitcnt lgkmcnt(0)
	v_add_f32_e32 v9, v9, v16
	s_or_b32 exec_lo, exec_lo, s0
	s_and_saveexec_b32 s0, vcc_lo
	s_cbranch_execz .LBB223_1058
.LBB223_1091:
	ds_read_b32 v16, v15 offset:320
	s_waitcnt lgkmcnt(0)
	v_add_f32_e32 v10, v10, v16
	s_or_b32 exec_lo, exec_lo, s0
	s_and_saveexec_b32 s0, vcc_lo
	s_cbranch_execz .LBB223_1059
.LBB223_1092:
	ds_read_b32 v16, v15 offset:352
	s_waitcnt lgkmcnt(0)
	v_add_f32_e32 v11, v11, v16
	s_or_b32 exec_lo, exec_lo, s0
	s_and_saveexec_b32 s0, vcc_lo
	s_cbranch_execz .LBB223_1060
.LBB223_1093:
	ds_read_b32 v16, v15 offset:384
	s_waitcnt lgkmcnt(0)
	v_add_f32_e32 v12, v12, v16
	s_or_b32 exec_lo, exec_lo, s0
	s_and_saveexec_b32 s0, vcc_lo
	s_cbranch_execz .LBB223_1061
.LBB223_1094:
	ds_read_b32 v16, v15 offset:416
	s_waitcnt lgkmcnt(0)
	v_add_f32_e32 v13, v13, v16
	s_or_b32 exec_lo, exec_lo, s0
	s_and_saveexec_b32 s0, vcc_lo
	s_cbranch_execnz .LBB223_1062
	s_branch .LBB223_1063
	.section	.rodata,"a",@progbits
	.p2align	6, 0x0
	.amdhsa_kernel _ZN4vllm25paged_attention_v2_kernelIfhLi120ELi16ELi128ELNS_18Fp8KVCacheDataTypeE1ELb0ELi512EEEvPfS2_PT_PKS3_PKT0_S9_ifPKiSB_iPKfiiiSD_SD_iiiii
		.amdhsa_group_segment_fixed_size 512
		.amdhsa_private_segment_fixed_size 308
		.amdhsa_kernarg_size 400
		.amdhsa_user_sgpr_count 6
		.amdhsa_user_sgpr_private_segment_buffer 1
		.amdhsa_user_sgpr_dispatch_ptr 0
		.amdhsa_user_sgpr_queue_ptr 0
		.amdhsa_user_sgpr_kernarg_segment_ptr 1
		.amdhsa_user_sgpr_dispatch_id 0
		.amdhsa_user_sgpr_flat_scratch_init 0
		.amdhsa_user_sgpr_private_segment_size 0
		.amdhsa_wavefront_size32 1
		.amdhsa_uses_dynamic_stack 0
		.amdhsa_system_sgpr_private_segment_wavefront_offset 1
		.amdhsa_system_sgpr_workgroup_id_x 1
		.amdhsa_system_sgpr_workgroup_id_y 1
		.amdhsa_system_sgpr_workgroup_id_z 1
		.amdhsa_system_sgpr_workgroup_info 0
		.amdhsa_system_vgpr_workitem_id 0
		.amdhsa_next_free_vgpr 128
		.amdhsa_next_free_sgpr 48
		.amdhsa_reserve_vcc 1
		.amdhsa_reserve_flat_scratch 0
		.amdhsa_float_round_mode_32 0
		.amdhsa_float_round_mode_16_64 0
		.amdhsa_float_denorm_mode_32 3
		.amdhsa_float_denorm_mode_16_64 3
		.amdhsa_dx10_clamp 1
		.amdhsa_ieee_mode 1
		.amdhsa_fp16_overflow 0
		.amdhsa_workgroup_processor_mode 1
		.amdhsa_memory_ordered 1
		.amdhsa_forward_progress 1
		.amdhsa_shared_vgpr_count 0
		.amdhsa_exception_fp_ieee_invalid_op 0
		.amdhsa_exception_fp_denorm_src 0
		.amdhsa_exception_fp_ieee_div_zero 0
		.amdhsa_exception_fp_ieee_overflow 0
		.amdhsa_exception_fp_ieee_underflow 0
		.amdhsa_exception_fp_ieee_inexact 0
		.amdhsa_exception_int_div_zero 0
	.end_amdhsa_kernel
	.section	.text._ZN4vllm25paged_attention_v2_kernelIfhLi120ELi16ELi128ELNS_18Fp8KVCacheDataTypeE1ELb0ELi512EEEvPfS2_PT_PKS3_PKT0_S9_ifPKiSB_iPKfiiiSD_SD_iiiii,"axG",@progbits,_ZN4vllm25paged_attention_v2_kernelIfhLi120ELi16ELi128ELNS_18Fp8KVCacheDataTypeE1ELb0ELi512EEEvPfS2_PT_PKS3_PKT0_S9_ifPKiSB_iPKfiiiSD_SD_iiiii,comdat
.Lfunc_end223:
	.size	_ZN4vllm25paged_attention_v2_kernelIfhLi120ELi16ELi128ELNS_18Fp8KVCacheDataTypeE1ELb0ELi512EEEvPfS2_PT_PKS3_PKT0_S9_ifPKiSB_iPKfiiiSD_SD_iiiii, .Lfunc_end223-_ZN4vllm25paged_attention_v2_kernelIfhLi120ELi16ELi128ELNS_18Fp8KVCacheDataTypeE1ELb0ELi512EEEvPfS2_PT_PKS3_PKT0_S9_ifPKiSB_iPKfiiiSD_SD_iiiii
                                        ; -- End function
	.set _ZN4vllm25paged_attention_v2_kernelIfhLi120ELi16ELi128ELNS_18Fp8KVCacheDataTypeE1ELb0ELi512EEEvPfS2_PT_PKS3_PKT0_S9_ifPKiSB_iPKfiiiSD_SD_iiiii.num_vgpr, 128
	.set _ZN4vllm25paged_attention_v2_kernelIfhLi120ELi16ELi128ELNS_18Fp8KVCacheDataTypeE1ELb0ELi512EEEvPfS2_PT_PKS3_PKT0_S9_ifPKiSB_iPKfiiiSD_SD_iiiii.num_agpr, 0
	.set _ZN4vllm25paged_attention_v2_kernelIfhLi120ELi16ELi128ELNS_18Fp8KVCacheDataTypeE1ELb0ELi512EEEvPfS2_PT_PKS3_PKT0_S9_ifPKiSB_iPKfiiiSD_SD_iiiii.numbered_sgpr, 48
	.set _ZN4vllm25paged_attention_v2_kernelIfhLi120ELi16ELi128ELNS_18Fp8KVCacheDataTypeE1ELb0ELi512EEEvPfS2_PT_PKS3_PKT0_S9_ifPKiSB_iPKfiiiSD_SD_iiiii.num_named_barrier, 0
	.set _ZN4vllm25paged_attention_v2_kernelIfhLi120ELi16ELi128ELNS_18Fp8KVCacheDataTypeE1ELb0ELi512EEEvPfS2_PT_PKS3_PKT0_S9_ifPKiSB_iPKfiiiSD_SD_iiiii.private_seg_size, 308
	.set _ZN4vllm25paged_attention_v2_kernelIfhLi120ELi16ELi128ELNS_18Fp8KVCacheDataTypeE1ELb0ELi512EEEvPfS2_PT_PKS3_PKT0_S9_ifPKiSB_iPKfiiiSD_SD_iiiii.uses_vcc, 1
	.set _ZN4vllm25paged_attention_v2_kernelIfhLi120ELi16ELi128ELNS_18Fp8KVCacheDataTypeE1ELb0ELi512EEEvPfS2_PT_PKS3_PKT0_S9_ifPKiSB_iPKfiiiSD_SD_iiiii.uses_flat_scratch, 0
	.set _ZN4vllm25paged_attention_v2_kernelIfhLi120ELi16ELi128ELNS_18Fp8KVCacheDataTypeE1ELb0ELi512EEEvPfS2_PT_PKS3_PKT0_S9_ifPKiSB_iPKfiiiSD_SD_iiiii.has_dyn_sized_stack, 0
	.set _ZN4vllm25paged_attention_v2_kernelIfhLi120ELi16ELi128ELNS_18Fp8KVCacheDataTypeE1ELb0ELi512EEEvPfS2_PT_PKS3_PKT0_S9_ifPKiSB_iPKfiiiSD_SD_iiiii.has_recursion, 0
	.set _ZN4vllm25paged_attention_v2_kernelIfhLi120ELi16ELi128ELNS_18Fp8KVCacheDataTypeE1ELb0ELi512EEEvPfS2_PT_PKS3_PKT0_S9_ifPKiSB_iPKfiiiSD_SD_iiiii.has_indirect_call, 0
	.section	.AMDGPU.csdata,"",@progbits
; Kernel info:
; codeLenInByte = 33592
; TotalNumSgprs: 50
; NumVgprs: 128
; ScratchSize: 308
; MemoryBound: 0
; FloatMode: 240
; IeeeMode: 1
; LDSByteSize: 512 bytes/workgroup (compile time only)
; SGPRBlocks: 0
; VGPRBlocks: 15
; NumSGPRsForWavesPerEU: 50
; NumVGPRsForWavesPerEU: 128
; Occupancy: 8
; WaveLimiterHint : 1
; COMPUTE_PGM_RSRC2:SCRATCH_EN: 1
; COMPUTE_PGM_RSRC2:USER_SGPR: 6
; COMPUTE_PGM_RSRC2:TRAP_HANDLER: 0
; COMPUTE_PGM_RSRC2:TGID_X_EN: 1
; COMPUTE_PGM_RSRC2:TGID_Y_EN: 1
; COMPUTE_PGM_RSRC2:TGID_Z_EN: 1
; COMPUTE_PGM_RSRC2:TIDIG_COMP_CNT: 0
	.section	.text._ZN4vllm25paged_attention_v2_kernelIfhLi128ELi16ELi128ELNS_18Fp8KVCacheDataTypeE1ELb0ELi512EEEvPfS2_PT_PKS3_PKT0_S9_ifPKiSB_iPKfiiiSD_SD_iiiii,"axG",@progbits,_ZN4vllm25paged_attention_v2_kernelIfhLi128ELi16ELi128ELNS_18Fp8KVCacheDataTypeE1ELb0ELi512EEEvPfS2_PT_PKS3_PKT0_S9_ifPKiSB_iPKfiiiSD_SD_iiiii,comdat
	.protected	_ZN4vllm25paged_attention_v2_kernelIfhLi128ELi16ELi128ELNS_18Fp8KVCacheDataTypeE1ELb0ELi512EEEvPfS2_PT_PKS3_PKT0_S9_ifPKiSB_iPKfiiiSD_SD_iiiii ; -- Begin function _ZN4vllm25paged_attention_v2_kernelIfhLi128ELi16ELi128ELNS_18Fp8KVCacheDataTypeE1ELb0ELi512EEEvPfS2_PT_PKS3_PKT0_S9_ifPKiSB_iPKfiiiSD_SD_iiiii
	.globl	_ZN4vllm25paged_attention_v2_kernelIfhLi128ELi16ELi128ELNS_18Fp8KVCacheDataTypeE1ELb0ELi512EEEvPfS2_PT_PKS3_PKT0_S9_ifPKiSB_iPKfiiiSD_SD_iiiii
	.p2align	8
	.type	_ZN4vllm25paged_attention_v2_kernelIfhLi128ELi16ELi128ELNS_18Fp8KVCacheDataTypeE1ELb0ELi512EEEvPfS2_PT_PKS3_PKT0_S9_ifPKiSB_iPKfiiiSD_SD_iiiii,@function
_ZN4vllm25paged_attention_v2_kernelIfhLi128ELi16ELi128ELNS_18Fp8KVCacheDataTypeE1ELb0ELi512EEEvPfS2_PT_PKS3_PKT0_S9_ifPKiSB_iPKfiiiSD_SD_iiiii: ; @_ZN4vllm25paged_attention_v2_kernelIfhLi128ELi16ELi128ELNS_18Fp8KVCacheDataTypeE1ELb0ELi512EEEvPfS2_PT_PKS3_PKT0_S9_ifPKiSB_iPKfiiiSD_SD_iiiii
; %bb.0:
	s_mov_b64 s[46:47], s[2:3]
	s_mov_b64 s[44:45], s[0:1]
	s_load_dwordx2 s[0:1], s[4:5], 0x40
	s_add_u32 s44, s44, s9
	s_addc_u32 s45, s45, 0
	s_mov_b32 s26, s7
	s_ashr_i32 s27, s7, 31
	s_lshl_b64 s[2:3], s[26:27], 2
	s_waitcnt lgkmcnt(0)
	s_add_u32 s0, s0, s2
	s_addc_u32 s1, s1, s3
	s_lshl_b32 s33, s8, 9
	s_load_dword s27, s[0:1], 0x0
	s_waitcnt lgkmcnt(0)
	s_cmp_ge_i32 s33, s27
	s_cbranch_scc1 .LBB224_1134
; %bb.1:
	s_clause 0x1
	s_load_dword s9, s[4:5], 0x90
	s_load_dwordx2 s[36:37], s[4:5], 0x30
	v_mov_b32_e32 v114, v0
	s_waitcnt lgkmcnt(0)
	s_abs_i32 s3, s9
	s_abs_i32 s0, s36
	v_cvt_f32_u32_e32 v0, s0
	s_sub_i32 s2, 0, s0
	v_rcp_iflag_f32_e32 v0, v0
	v_mul_f32_e32 v0, 0x4f7ffffe, v0
	v_cvt_u32_f32_e32 v0, v0
	v_readfirstlane_b32 s1, v0
	s_mul_i32 s2, s2, s1
	s_mul_hi_u32 s2, s1, s2
	s_add_i32 s1, s1, s2
	s_xor_b32 s2, s9, s36
	s_mul_hi_u32 s1, s3, s1
	s_ashr_i32 s2, s2, 31
	s_mul_i32 s7, s1, s0
	s_mov_b32 s36, 0
	s_sub_i32 s3, s3, s7
	s_add_i32 s7, s1, 1
	s_sub_i32 s10, s3, s0
	s_cmp_ge_u32 s3, s0
	s_cselect_b32 s1, s7, s1
	s_cselect_b32 s3, s10, s3
	s_add_i32 s7, s1, 1
	s_cmp_ge_u32 s3, s0
	s_cselect_b32 s0, s7, s1
	s_abs_i32 s16, s6
	s_xor_b32 s0, s0, s2
	s_sub_i32 s10, s0, s2
	s_load_dwordx2 s[0:1], s[4:5], 0x50
	s_abs_i32 s2, s10
	v_cvt_f32_u32_e32 v0, s2
	s_sub_i32 s7, 0, s2
	v_rcp_iflag_f32_e32 v0, v0
	v_mul_f32_e32 v0, 0x4f7ffffe, v0
	v_cvt_u32_f32_e32 v0, v0
	v_readfirstlane_b32 s3, v0
	s_mul_i32 s7, s7, s3
	s_mul_hi_u32 s7, s3, s7
	s_add_i32 s3, s3, s7
	s_waitcnt lgkmcnt(0)
	s_cmp_eq_u64 s[0:1], 0
	s_mul_hi_u32 s3, s16, s3
	s_cbranch_scc1 .LBB224_3
; %bb.2:
	s_ashr_i32 s7, s6, 31
	s_lshl_b64 s[12:13], s[6:7], 2
	s_add_u32 s0, s0, s12
	s_addc_u32 s1, s1, s13
	s_load_dword s36, s[0:1], 0x0
.LBB224_3:
	s_load_dwordx4 s[12:15], s[4:5], 0x58
	v_and_b32_e32 v0, 1, v114
	v_cmp_gt_u32_e64 s0, 64, v114
	v_lshlrev_b32_e32 v11, 2, v114
	s_ashr_i32 s1, s6, 31
	s_ashr_i32 s7, s10, 31
	s_lshl_b32 s10, s6, 7
	s_waitcnt lgkmcnt(0)
	s_and_saveexec_b32 s15, s0
	s_cbranch_execz .LBB224_5
; %bb.4:
	s_load_dwordx2 s[18:19], s[4:5], 0x18
	s_mul_i32 s20, s12, s26
	v_lshlrev_b32_e32 v1, 3, v114
	s_ashr_i32 s21, s20, 31
	v_and_b32_e32 v3, 0xff8, v11
	s_lshl_b64 s[20:21], s[20:21], 2
	v_lshl_add_u32 v3, v0, 8, v3
	s_waitcnt lgkmcnt(0)
	s_add_u32 s12, s18, s20
	s_addc_u32 s17, s19, s21
	s_ashr_i32 s11, s10, 31
	s_lshl_b64 s[18:19], s[10:11], 2
	s_add_u32 s18, s12, s18
	s_addc_u32 s19, s17, s19
	global_load_dwordx2 v[1:2], v1, s[18:19]
	s_waitcnt vmcnt(0)
	ds_write_b64 v3, v[1:2]
.LBB224_5:
	s_or_b32 exec_lo, exec_lo, s15
	s_add_i32 s11, s27, 15
	s_lshl_b32 s15, s8, 5
	s_ashr_i32 s12, s11, 31
	s_xor_b32 s1, s1, s7
	s_lshr_b32 s12, s12, 28
	s_add_i32 s7, s15, 32
	s_add_i32 s11, s11, s12
	s_mul_i32 s17, s3, s2
	s_ashr_i32 s12, s11, 4
	s_sub_i32 s16, s16, s17
	s_min_i32 s11, s7, s12
	s_clause 0x1
	s_load_dwordx2 s[28:29], s[4:5], 0x38
	s_load_dword s7, s[4:5], 0x48
	s_add_i32 s17, s3, 1
	s_sub_i32 s18, s16, s2
	s_cmp_ge_u32 s16, s2
	v_lshrrev_b32_e32 v115, 5, v114
	s_cselect_b32 s3, s17, s3
	s_cselect_b32 s16, s18, s16
	s_add_i32 s17, s3, 1
	s_cmp_ge_u32 s16, s2
	v_or_b32_e32 v116, s15, v115
	s_cselect_b32 s2, s17, s3
	v_mbcnt_lo_u32_b32 v12, -1, 0
	s_xor_b32 s2, s2, s1
	s_mov_b32 s3, exec_lo
	s_sub_i32 s2, s2, s1
	v_cmp_gt_i32_e64 s1, s11, v116
	s_waitcnt lgkmcnt(0)
	s_barrier
	buffer_gl0_inv
                                        ; implicit-def: $vgpr68
                                        ; implicit-def: $vgpr8
	s_mul_i32 s30, s7, s26
	s_ashr_i32 s31, s30, 31
	v_cmpx_le_i32_e64 s11, v116
	s_xor_b32 s3, exec_lo, s3
; %bb.6:
	v_mov_b32_e32 v68, 0
	v_mbcnt_lo_u32_b32 v12, -1, 0
	v_mov_b32_e32 v8, 32
                                        ; implicit-def: $vgpr0
; %bb.7:
	s_or_saveexec_b32 s38, s3
	s_clause 0x4
	s_load_dwordx4 s[20:23], s[4:5], 0x0
	s_load_dwordx2 s[24:25], s[4:5], 0x10
	s_load_dword s7, s[4:5], 0x98
	s_load_dwordx2 s[34:35], s[4:5], 0x28
	s_load_dwordx4 s[16:19], s[4:5], 0x68
	v_mov_b32_e32 v3, 0xff7fffff
	v_ashrrev_i32_e32 v117, 31, v116
	s_mul_i32 s14, s2, s14
	s_xor_b32 exec_lo, exec_lo, s38
	s_cbranch_execz .LBB224_525
; %bb.8:
	v_lshlrev_b32_e32 v2, 8, v0
	buffer_store_dword v11, off, s[44:47], 0 offset:344 ; 4-byte Folded Spill
	s_load_dwordx2 s[2:3], s[4:5], 0x20
	buffer_store_dword v114, off, s[44:47], 0 offset:328 ; 4-byte Folded Spill
	s_waitcnt lgkmcnt(0)
	s_load_dword s5, s[16:17], 0x0
	ds_read_b128 v[6:9], v2
	v_xor_b32_e32 v4, 1, v12
	v_bfe_u32 v1, v114, 1, 4
	s_ashr_i32 s4, s14, 31
	v_lshlrev_b32_e32 v3, 1, v0
	v_mov_b32_e32 v68, 0
	v_cmp_gt_i32_e32 vcc_lo, 32, v4
	v_lshlrev_b32_e32 v5, 4, v1
	v_mov_b32_e32 v91, 0x80
	v_bfrev_b32_e32 v84, 1
	v_mov_b32_e32 v82, 0x7f800001
	v_cndmask_b32_e32 v4, v12, v4, vcc_lo
	v_cmp_eq_u32_e32 vcc_lo, 0, v0
	v_lshlrev_b32_e32 v0, 4, v115
	s_mov_b32 s39, s13
	s_mov_b32 s17, 0
	v_lshlrev_b32_e32 v4, 2, v4
	s_add_u32 s2, s2, s14
	s_addc_u32 s3, s3, s4
	v_add_co_u32 v5, s2, s2, v5
	s_waitcnt lgkmcnt(0)
	buffer_store_dword v6, off, s[44:47], 0 offset:60 ; 4-byte Folded Spill
	buffer_store_dword v7, off, s[44:47], 0 offset:64 ; 4-byte Folded Spill
	;; [unrolled: 1-line block ×4, first 2 shown]
	ds_read_b128 v[6:9], v2 offset:16
	v_add3_u32 v0, s33, v0, v1
	s_lshl_b64 s[40:41], s[30:31], 2
	s_sub_i32 s16, 1, s27
	s_waitcnt lgkmcnt(0)
	buffer_store_dword v6, off, s[44:47], 0 offset:76 ; 4-byte Folded Spill
	buffer_store_dword v7, off, s[44:47], 0 offset:80 ; 4-byte Folded Spill
	buffer_store_dword v8, off, s[44:47], 0 offset:84 ; 4-byte Folded Spill
	buffer_store_dword v9, off, s[44:47], 0 offset:88 ; 4-byte Folded Spill
	ds_read_b128 v[6:9], v2 offset:32
	s_waitcnt lgkmcnt(0)
	buffer_store_dword v6, off, s[44:47], 0 offset:92 ; 4-byte Folded Spill
	buffer_store_dword v7, off, s[44:47], 0 offset:96 ; 4-byte Folded Spill
	buffer_store_dword v8, off, s[44:47], 0 offset:100 ; 4-byte Folded Spill
	buffer_store_dword v9, off, s[44:47], 0 offset:104 ; 4-byte Folded Spill
	ds_read_b128 v[6:9], v2 offset:48
	;; [unrolled: 6-line block ×5, first 2 shown]
	buffer_store_dword v12, off, s[44:47], 0 offset:348 ; 4-byte Folded Spill
	v_add_co_ci_u32_e64 v6, null, s3, 0, s2
	v_add_co_u32 v5, s3, v5, v3
	v_cmp_neq_f32_e64 s2, s36, 0
	v_add_co_ci_u32_e64 v6, null, 0, v6, s3
	s_add_u32 s3, s28, s40
	s_addc_u32 s4, s29, s41
	s_mov_b32 s40, s5
	s_waitcnt lgkmcnt(0)
	buffer_store_dword v7, off, s[44:47], 0 offset:156 ; 4-byte Folded Spill
	buffer_store_dword v8, off, s[44:47], 0 offset:160 ; 4-byte Folded Spill
	;; [unrolled: 1-line block ×4, first 2 shown]
	ds_read_b128 v[7:10], v2 offset:112
	s_waitcnt lgkmcnt(0)
	buffer_store_dword v7, off, s[44:47], 0 offset:172 ; 4-byte Folded Spill
	buffer_store_dword v8, off, s[44:47], 0 offset:176 ; 4-byte Folded Spill
	;; [unrolled: 1-line block ×5, first 2 shown]
	v_lshlrev_b32_e32 v4, 2, v1
	buffer_store_dword v5, off, s[44:47], 0 offset:192 ; 4-byte Folded Spill
	buffer_store_dword v6, off, s[44:47], 0 offset:196 ; 4-byte Folded Spill
	;; [unrolled: 1-line block ×3, first 2 shown]
	v_lshl_or_b32 v3, v115, 6, v4
	ds_read_b128 v[4:7], v2 offset:128
	s_waitcnt lgkmcnt(0)
	buffer_store_dword v4, off, s[44:47], 0 offset:200 ; 4-byte Folded Spill
	buffer_store_dword v5, off, s[44:47], 0 offset:204 ; 4-byte Folded Spill
	;; [unrolled: 1-line block ×4, first 2 shown]
	ds_read_b128 v[4:7], v2 offset:144
	v_add_nc_u32_e32 v127, 0x220, v3
	s_waitcnt lgkmcnt(0)
	buffer_store_dword v4, off, s[44:47], 0 offset:216 ; 4-byte Folded Spill
	buffer_store_dword v5, off, s[44:47], 0 offset:220 ; 4-byte Folded Spill
	buffer_store_dword v6, off, s[44:47], 0 offset:224 ; 4-byte Folded Spill
	buffer_store_dword v7, off, s[44:47], 0 offset:228 ; 4-byte Folded Spill
	ds_read_b128 v[4:7], v2 offset:160
	s_waitcnt lgkmcnt(0)
	buffer_store_dword v4, off, s[44:47], 0 offset:232 ; 4-byte Folded Spill
	buffer_store_dword v5, off, s[44:47], 0 offset:236 ; 4-byte Folded Spill
	buffer_store_dword v6, off, s[44:47], 0 offset:240 ; 4-byte Folded Spill
	buffer_store_dword v7, off, s[44:47], 0 offset:244 ; 4-byte Folded Spill
	ds_read_b128 v[4:7], v2 offset:176
	;; [unrolled: 6-line block ×6, first 2 shown]
	v_lshlrev_b64 v[1:2], 2, v[116:117]
	s_waitcnt lgkmcnt(0)
	buffer_store_dword v4, off, s[44:47], 0 offset:312 ; 4-byte Folded Spill
	buffer_store_dword v5, off, s[44:47], 0 offset:316 ; 4-byte Folded Spill
	;; [unrolled: 1-line block ×4, first 2 shown]
	v_add_co_u32 v71, s3, s3, v1
	v_mov_b32_e32 v1, 0xff7fffff
	v_add_co_ci_u32_e64 v72, null, s4, v2, s3
	buffer_store_dword v1, off, s[44:47], 0 offset:56 ; 4-byte Folded Spill
	buffer_store_dword v116, off, s[44:47], 0 offset:336 ; 4-byte Folded Spill
	;; [unrolled: 1-line block ×3, first 2 shown]
	v_mov_b32_e32 v92, v116
	s_branch .LBB224_10
.LBB224_9:                              ;   in Loop: Header=BB224_10 Depth=1
	s_or_b32 exec_lo, exec_lo, s4
	v_add_nc_u32_e32 v92, 4, v92
	v_add_co_u32 v71, s4, v71, 16
	v_add_nc_u32_e32 v0, 64, v0
	v_add_nc_u32_e32 v127, 0x100, v127
	v_cmp_le_i32_e64 s3, s11, v92
	v_add_co_ci_u32_e64 v72, null, 0, v72, s4
	s_or_b32 s17, s3, s17
	s_andn2_b32 exec_lo, exec_lo, s17
	s_cbranch_execz .LBB224_524
.LBB224_10:                             ; =>This Inner Loop Header: Depth=1
	global_load_dword v1, v[71:72], off
	s_waitcnt lgkmcnt(0)
	s_clause 0x1
	buffer_load_dword v2, off, s[44:47], 0 offset:192
	buffer_load_dword v3, off, s[44:47], 0 offset:196
	s_waitcnt vmcnt(0)
	v_mad_i64_i32 v[85:86], null, v1, s39, v[2:3]
	v_mov_b32_e32 v3, 0
	v_mov_b32_e32 v4, 0
	global_load_ushort v2, v[85:86], off
	buffer_store_dword v3, off, s[44:47], 0 offset:8 ; 4-byte Folded Spill
	buffer_store_dword v4, off, s[44:47], 0 offset:12 ; 4-byte Folded Spill
	v_mov_b32_e32 v3, 0
	v_mov_b32_e32 v4, 0
	buffer_store_dword v3, off, s[44:47], 0 ; 4-byte Folded Spill
	buffer_store_dword v4, off, s[44:47], 0 offset:4 ; 4-byte Folded Spill
	s_waitcnt vmcnt(0)
	v_and_b32_e32 v1, 0xffff, v2
	v_cmp_ne_u16_sdwa s3, v2, v68 src0_sel:BYTE_0 src1_sel:DWORD
	s_and_saveexec_b32 s4, s3
	s_cbranch_execz .LBB224_18
; %bb.11:                               ;   in Loop: Header=BB224_10 Depth=1
	v_bfrev_b32_e32 v2, 1
	v_mov_b32_e32 v3, 0
	v_cmp_ne_u16_sdwa s3, v1, v91 src0_sel:BYTE_0 src1_sel:DWORD
	buffer_store_dword v2, off, s[44:47], 0 ; 4-byte Folded Spill
	buffer_store_dword v3, off, s[44:47], 0 offset:4 ; 4-byte Folded Spill
	s_and_saveexec_b32 s41, s3
	s_cbranch_execz .LBB224_17
; %bb.12:                               ;   in Loop: Header=BB224_10 Depth=1
	v_mov_b32_e32 v4, 0x7f800001
	v_and_b32_e32 v3, 0x7f, v1
	v_mov_b32_e32 v5, 0
	s_mov_b32 s42, exec_lo
	buffer_store_dword v4, off, s[44:47], 0 ; 4-byte Folded Spill
	buffer_store_dword v5, off, s[44:47], 0 offset:4 ; 4-byte Folded Spill
	v_cmpx_ne_u32_e32 0x7f, v3
	s_cbranch_execz .LBB224_16
; %bb.13:                               ;   in Loop: Header=BB224_10 Depth=1
	v_and_b32_e32 v67, 7, v1
	v_lshrrev_b32_e32 v2, 3, v3
	s_mov_b32 s43, exec_lo
	v_cmpx_gt_u32_e32 8, v3
; %bb.14:                               ;   in Loop: Header=BB224_10 Depth=1
	v_ffbh_u32_e32 v2, v67
	v_min_u32_e32 v2, 32, v2
	v_subrev_nc_u32_e32 v3, 28, v2
	v_sub_nc_u32_e32 v2, 29, v2
	v_lshlrev_b64 v[3:4], v3, v[67:68]
	v_and_b32_e32 v67, 7, v3
; %bb.15:                               ;   in Loop: Header=BB224_10 Depth=1
	s_or_b32 exec_lo, exec_lo, s43
	v_lshlrev_b32_e32 v3, 24, v1
	v_lshlrev_b32_e32 v4, 20, v67
	v_lshl_add_u32 v2, v2, 23, 0x3c000000
	v_and_b32_e32 v3, 0x80000000, v3
	v_or3_b32 v67, v4, v3, v2
	buffer_store_dword v67, off, s[44:47], 0 ; 4-byte Folded Spill
	buffer_store_dword v68, off, s[44:47], 0 offset:4 ; 4-byte Folded Spill
.LBB224_16:                             ;   in Loop: Header=BB224_10 Depth=1
	s_or_b32 exec_lo, exec_lo, s42
.LBB224_17:                             ;   in Loop: Header=BB224_10 Depth=1
	s_or_b32 exec_lo, exec_lo, s41
.LBB224_18:                             ;   in Loop: Header=BB224_10 Depth=1
	s_or_b32 exec_lo, exec_lo, s4
	v_cmp_ne_u16_sdwa s3, v1, v68 src0_sel:BYTE_1 src1_sel:DWORD
	s_and_saveexec_b32 s4, s3
	s_cbranch_execz .LBB224_26
; %bb.19:                               ;   in Loop: Header=BB224_10 Depth=1
	v_mov_b32_e32 v83, v68
	v_cmp_ne_u16_sdwa s3, v1, v91 src0_sel:BYTE_1 src1_sel:DWORD
	buffer_store_dword v83, off, s[44:47], 0 offset:8 ; 4-byte Folded Spill
	buffer_store_dword v84, off, s[44:47], 0 offset:12 ; 4-byte Folded Spill
	s_and_saveexec_b32 s41, s3
	s_cbranch_execz .LBB224_25
; %bb.20:                               ;   in Loop: Header=BB224_10 Depth=1
	v_mov_b32_e32 v2, 0xffff
	v_mov_b32_e32 v81, v68
	s_mov_b32 s42, exec_lo
	buffer_store_dword v81, off, s[44:47], 0 offset:8 ; 4-byte Folded Spill
	buffer_store_dword v82, off, s[44:47], 0 offset:12 ; 4-byte Folded Spill
	v_and_b32_sdwa v2, v2, v1 dst_sel:DWORD dst_unused:UNUSED_PAD src0_sel:DWORD src1_sel:BYTE_1
	v_and_b32_e32 v3, 0x7f, v2
	v_cmpx_ne_u32_e32 0x7f, v3
	s_cbranch_execz .LBB224_24
; %bb.21:                               ;   in Loop: Header=BB224_10 Depth=1
	v_and_b32_e32 v67, 7, v2
	v_lshrrev_b32_e32 v2, 3, v3
	s_mov_b32 s43, exec_lo
	v_cmpx_gt_u32_e32 8, v3
; %bb.22:                               ;   in Loop: Header=BB224_10 Depth=1
	v_ffbh_u32_e32 v2, v67
	v_min_u32_e32 v2, 32, v2
	v_subrev_nc_u32_e32 v3, 28, v2
	v_sub_nc_u32_e32 v2, 29, v2
	v_lshlrev_b64 v[3:4], v3, v[67:68]
	v_and_b32_e32 v67, 7, v3
; %bb.23:                               ;   in Loop: Header=BB224_10 Depth=1
	s_or_b32 exec_lo, exec_lo, s43
	v_lshlrev_b32_e32 v1, 16, v1
	v_lshlrev_b32_e32 v3, 20, v67
	v_lshl_add_u32 v2, v2, 23, 0x3c000000
	v_and_b32_e32 v1, 0x80000000, v1
	v_or3_b32 v2, v3, v1, v2
	v_mov_b32_e32 v1, v68
	buffer_store_dword v1, off, s[44:47], 0 offset:8 ; 4-byte Folded Spill
	buffer_store_dword v2, off, s[44:47], 0 offset:12 ; 4-byte Folded Spill
.LBB224_24:                             ;   in Loop: Header=BB224_10 Depth=1
	s_or_b32 exec_lo, exec_lo, s42
.LBB224_25:                             ;   in Loop: Header=BB224_10 Depth=1
	s_or_b32 exec_lo, exec_lo, s41
.LBB224_26:                             ;   in Loop: Header=BB224_10 Depth=1
	s_or_b32 exec_lo, exec_lo, s4
	global_load_ushort v2, v[85:86], off offset:4
	v_mov_b32_e32 v3, 0
	v_mov_b32_e32 v4, 0
	buffer_store_dword v3, off, s[44:47], 0 offset:24 ; 4-byte Folded Spill
	buffer_store_dword v4, off, s[44:47], 0 offset:28 ; 4-byte Folded Spill
	v_mov_b32_e32 v3, 0
	v_mov_b32_e32 v4, 0
	buffer_store_dword v3, off, s[44:47], 0 offset:16 ; 4-byte Folded Spill
	buffer_store_dword v4, off, s[44:47], 0 offset:20 ; 4-byte Folded Spill
	s_waitcnt vmcnt(0)
	v_and_b32_e32 v1, 0xffff, v2
	v_cmp_ne_u16_sdwa s3, v2, v68 src0_sel:BYTE_0 src1_sel:DWORD
	s_and_saveexec_b32 s4, s3
	s_cbranch_execz .LBB224_34
; %bb.27:                               ;   in Loop: Header=BB224_10 Depth=1
	v_bfrev_b32_e32 v2, 1
	v_mov_b32_e32 v3, 0
	v_cmp_ne_u16_sdwa s3, v1, v91 src0_sel:BYTE_0 src1_sel:DWORD
	buffer_store_dword v2, off, s[44:47], 0 offset:16 ; 4-byte Folded Spill
	buffer_store_dword v3, off, s[44:47], 0 offset:20 ; 4-byte Folded Spill
	s_and_saveexec_b32 s41, s3
	s_cbranch_execz .LBB224_33
; %bb.28:                               ;   in Loop: Header=BB224_10 Depth=1
	v_mov_b32_e32 v4, 0x7f800001
	v_and_b32_e32 v3, 0x7f, v1
	v_mov_b32_e32 v5, 0
	s_mov_b32 s42, exec_lo
	buffer_store_dword v4, off, s[44:47], 0 offset:16 ; 4-byte Folded Spill
	buffer_store_dword v5, off, s[44:47], 0 offset:20 ; 4-byte Folded Spill
	v_cmpx_ne_u32_e32 0x7f, v3
	s_cbranch_execz .LBB224_32
; %bb.29:                               ;   in Loop: Header=BB224_10 Depth=1
	v_and_b32_e32 v67, 7, v1
	v_lshrrev_b32_e32 v2, 3, v3
	s_mov_b32 s43, exec_lo
	v_cmpx_gt_u32_e32 8, v3
; %bb.30:                               ;   in Loop: Header=BB224_10 Depth=1
	v_ffbh_u32_e32 v2, v67
	v_min_u32_e32 v2, 32, v2
	v_subrev_nc_u32_e32 v3, 28, v2
	v_sub_nc_u32_e32 v2, 29, v2
	v_lshlrev_b64 v[3:4], v3, v[67:68]
	v_and_b32_e32 v67, 7, v3
; %bb.31:                               ;   in Loop: Header=BB224_10 Depth=1
	s_or_b32 exec_lo, exec_lo, s43
	v_lshlrev_b32_e32 v3, 24, v1
	v_lshlrev_b32_e32 v4, 20, v67
	v_lshl_add_u32 v2, v2, 23, 0x3c000000
	v_and_b32_e32 v3, 0x80000000, v3
	v_or3_b32 v67, v4, v3, v2
	buffer_store_dword v67, off, s[44:47], 0 offset:16 ; 4-byte Folded Spill
	buffer_store_dword v68, off, s[44:47], 0 offset:20 ; 4-byte Folded Spill
.LBB224_32:                             ;   in Loop: Header=BB224_10 Depth=1
	s_or_b32 exec_lo, exec_lo, s42
.LBB224_33:                             ;   in Loop: Header=BB224_10 Depth=1
	s_or_b32 exec_lo, exec_lo, s41
.LBB224_34:                             ;   in Loop: Header=BB224_10 Depth=1
	s_or_b32 exec_lo, exec_lo, s4
	v_cmp_ne_u16_sdwa s3, v1, v68 src0_sel:BYTE_1 src1_sel:DWORD
	s_and_saveexec_b32 s4, s3
	s_cbranch_execz .LBB224_42
; %bb.35:                               ;   in Loop: Header=BB224_10 Depth=1
	v_mov_b32_e32 v83, v68
	v_cmp_ne_u16_sdwa s3, v1, v91 src0_sel:BYTE_1 src1_sel:DWORD
	buffer_store_dword v83, off, s[44:47], 0 offset:24 ; 4-byte Folded Spill
	buffer_store_dword v84, off, s[44:47], 0 offset:28 ; 4-byte Folded Spill
	s_and_saveexec_b32 s41, s3
	s_cbranch_execz .LBB224_41
; %bb.36:                               ;   in Loop: Header=BB224_10 Depth=1
	v_mov_b32_e32 v2, 0xffff
	v_mov_b32_e32 v81, v68
	s_mov_b32 s42, exec_lo
	buffer_store_dword v81, off, s[44:47], 0 offset:24 ; 4-byte Folded Spill
	buffer_store_dword v82, off, s[44:47], 0 offset:28 ; 4-byte Folded Spill
	v_and_b32_sdwa v2, v2, v1 dst_sel:DWORD dst_unused:UNUSED_PAD src0_sel:DWORD src1_sel:BYTE_1
	v_and_b32_e32 v3, 0x7f, v2
	v_cmpx_ne_u32_e32 0x7f, v3
	s_cbranch_execz .LBB224_40
; %bb.37:                               ;   in Loop: Header=BB224_10 Depth=1
	v_and_b32_e32 v67, 7, v2
	v_lshrrev_b32_e32 v2, 3, v3
	s_mov_b32 s43, exec_lo
	v_cmpx_gt_u32_e32 8, v3
; %bb.38:                               ;   in Loop: Header=BB224_10 Depth=1
	v_ffbh_u32_e32 v2, v67
	v_min_u32_e32 v2, 32, v2
	v_subrev_nc_u32_e32 v3, 28, v2
	v_sub_nc_u32_e32 v2, 29, v2
	v_lshlrev_b64 v[3:4], v3, v[67:68]
	v_and_b32_e32 v67, 7, v3
; %bb.39:                               ;   in Loop: Header=BB224_10 Depth=1
	s_or_b32 exec_lo, exec_lo, s43
	v_lshlrev_b32_e32 v1, 16, v1
	v_lshlrev_b32_e32 v3, 20, v67
	v_lshl_add_u32 v2, v2, 23, 0x3c000000
	v_and_b32_e32 v1, 0x80000000, v1
	v_or3_b32 v2, v3, v1, v2
	v_mov_b32_e32 v1, v68
	buffer_store_dword v1, off, s[44:47], 0 offset:24 ; 4-byte Folded Spill
	buffer_store_dword v2, off, s[44:47], 0 offset:28 ; 4-byte Folded Spill
.LBB224_40:                             ;   in Loop: Header=BB224_10 Depth=1
	s_or_b32 exec_lo, exec_lo, s42
.LBB224_41:                             ;   in Loop: Header=BB224_10 Depth=1
	s_or_b32 exec_lo, exec_lo, s41
.LBB224_42:                             ;   in Loop: Header=BB224_10 Depth=1
	s_or_b32 exec_lo, exec_lo, s4
	global_load_ushort v2, v[85:86], off offset:8
	v_mov_b32_e32 v3, 0
	v_mov_b32_e32 v4, 0
	buffer_store_dword v3, off, s[44:47], 0 offset:40 ; 4-byte Folded Spill
	buffer_store_dword v4, off, s[44:47], 0 offset:44 ; 4-byte Folded Spill
	v_mov_b32_e32 v3, 0
	v_mov_b32_e32 v4, 0
	buffer_store_dword v3, off, s[44:47], 0 offset:32 ; 4-byte Folded Spill
	buffer_store_dword v4, off, s[44:47], 0 offset:36 ; 4-byte Folded Spill
	s_waitcnt vmcnt(0)
	v_and_b32_e32 v1, 0xffff, v2
	v_cmp_ne_u16_sdwa s3, v2, v68 src0_sel:BYTE_0 src1_sel:DWORD
	s_and_saveexec_b32 s4, s3
	s_cbranch_execz .LBB224_50
; %bb.43:                               ;   in Loop: Header=BB224_10 Depth=1
	v_bfrev_b32_e32 v2, 1
	v_mov_b32_e32 v3, 0
	v_cmp_ne_u16_sdwa s3, v1, v91 src0_sel:BYTE_0 src1_sel:DWORD
	buffer_store_dword v2, off, s[44:47], 0 offset:32 ; 4-byte Folded Spill
	buffer_store_dword v3, off, s[44:47], 0 offset:36 ; 4-byte Folded Spill
	s_and_saveexec_b32 s41, s3
	s_cbranch_execz .LBB224_49
; %bb.44:                               ;   in Loop: Header=BB224_10 Depth=1
	v_mov_b32_e32 v4, 0x7f800001
	v_and_b32_e32 v3, 0x7f, v1
	v_mov_b32_e32 v5, 0
	s_mov_b32 s42, exec_lo
	buffer_store_dword v4, off, s[44:47], 0 offset:32 ; 4-byte Folded Spill
	buffer_store_dword v5, off, s[44:47], 0 offset:36 ; 4-byte Folded Spill
	v_cmpx_ne_u32_e32 0x7f, v3
	s_cbranch_execz .LBB224_48
; %bb.45:                               ;   in Loop: Header=BB224_10 Depth=1
	v_and_b32_e32 v67, 7, v1
	v_lshrrev_b32_e32 v2, 3, v3
	s_mov_b32 s43, exec_lo
	v_cmpx_gt_u32_e32 8, v3
; %bb.46:                               ;   in Loop: Header=BB224_10 Depth=1
	v_ffbh_u32_e32 v2, v67
	v_min_u32_e32 v2, 32, v2
	v_subrev_nc_u32_e32 v3, 28, v2
	v_sub_nc_u32_e32 v2, 29, v2
	v_lshlrev_b64 v[3:4], v3, v[67:68]
	v_and_b32_e32 v67, 7, v3
; %bb.47:                               ;   in Loop: Header=BB224_10 Depth=1
	s_or_b32 exec_lo, exec_lo, s43
	v_lshlrev_b32_e32 v3, 24, v1
	v_lshlrev_b32_e32 v4, 20, v67
	v_lshl_add_u32 v2, v2, 23, 0x3c000000
	v_and_b32_e32 v3, 0x80000000, v3
	v_or3_b32 v67, v4, v3, v2
	buffer_store_dword v67, off, s[44:47], 0 offset:32 ; 4-byte Folded Spill
	buffer_store_dword v68, off, s[44:47], 0 offset:36 ; 4-byte Folded Spill
.LBB224_48:                             ;   in Loop: Header=BB224_10 Depth=1
	s_or_b32 exec_lo, exec_lo, s42
.LBB224_49:                             ;   in Loop: Header=BB224_10 Depth=1
	s_or_b32 exec_lo, exec_lo, s41
.LBB224_50:                             ;   in Loop: Header=BB224_10 Depth=1
	s_or_b32 exec_lo, exec_lo, s4
	v_cmp_ne_u16_sdwa s3, v1, v68 src0_sel:BYTE_1 src1_sel:DWORD
	s_and_saveexec_b32 s4, s3
	s_cbranch_execz .LBB224_58
; %bb.51:                               ;   in Loop: Header=BB224_10 Depth=1
	v_mov_b32_e32 v83, v68
	v_cmp_ne_u16_sdwa s3, v1, v91 src0_sel:BYTE_1 src1_sel:DWORD
	buffer_store_dword v83, off, s[44:47], 0 offset:40 ; 4-byte Folded Spill
	buffer_store_dword v84, off, s[44:47], 0 offset:44 ; 4-byte Folded Spill
	s_and_saveexec_b32 s41, s3
	s_cbranch_execz .LBB224_57
; %bb.52:                               ;   in Loop: Header=BB224_10 Depth=1
	v_mov_b32_e32 v2, 0xffff
	v_mov_b32_e32 v81, v68
	s_mov_b32 s42, exec_lo
	buffer_store_dword v81, off, s[44:47], 0 offset:40 ; 4-byte Folded Spill
	buffer_store_dword v82, off, s[44:47], 0 offset:44 ; 4-byte Folded Spill
	v_and_b32_sdwa v2, v2, v1 dst_sel:DWORD dst_unused:UNUSED_PAD src0_sel:DWORD src1_sel:BYTE_1
	v_and_b32_e32 v3, 0x7f, v2
	v_cmpx_ne_u32_e32 0x7f, v3
	s_cbranch_execz .LBB224_56
; %bb.53:                               ;   in Loop: Header=BB224_10 Depth=1
	v_and_b32_e32 v67, 7, v2
	v_lshrrev_b32_e32 v2, 3, v3
	s_mov_b32 s43, exec_lo
	v_cmpx_gt_u32_e32 8, v3
; %bb.54:                               ;   in Loop: Header=BB224_10 Depth=1
	v_ffbh_u32_e32 v2, v67
	v_min_u32_e32 v2, 32, v2
	v_subrev_nc_u32_e32 v3, 28, v2
	v_sub_nc_u32_e32 v2, 29, v2
	v_lshlrev_b64 v[3:4], v3, v[67:68]
	v_and_b32_e32 v67, 7, v3
; %bb.55:                               ;   in Loop: Header=BB224_10 Depth=1
	s_or_b32 exec_lo, exec_lo, s43
	v_lshlrev_b32_e32 v1, 16, v1
	v_lshlrev_b32_e32 v3, 20, v67
	v_lshl_add_u32 v2, v2, 23, 0x3c000000
	v_and_b32_e32 v1, 0x80000000, v1
	v_or3_b32 v2, v3, v1, v2
	v_mov_b32_e32 v1, v68
	buffer_store_dword v1, off, s[44:47], 0 offset:40 ; 4-byte Folded Spill
	buffer_store_dword v2, off, s[44:47], 0 offset:44 ; 4-byte Folded Spill
.LBB224_56:                             ;   in Loop: Header=BB224_10 Depth=1
	s_or_b32 exec_lo, exec_lo, s42
.LBB224_57:                             ;   in Loop: Header=BB224_10 Depth=1
	s_or_b32 exec_lo, exec_lo, s41
.LBB224_58:                             ;   in Loop: Header=BB224_10 Depth=1
	s_or_b32 exec_lo, exec_lo, s4
	global_load_ushort v2, v[85:86], off offset:12
	v_mov_b32_e32 v93, 0
	v_mov_b32_e32 v3, 0
	;; [unrolled: 1-line block ×4, first 2 shown]
	buffer_store_dword v3, off, s[44:47], 0 offset:48 ; 4-byte Folded Spill
	buffer_store_dword v4, off, s[44:47], 0 offset:52 ; 4-byte Folded Spill
	s_waitcnt vmcnt(0)
	v_and_b32_e32 v1, 0xffff, v2
	v_cmp_ne_u16_sdwa s3, v2, v68 src0_sel:BYTE_0 src1_sel:DWORD
	s_and_saveexec_b32 s4, s3
	s_cbranch_execz .LBB224_66
; %bb.59:                               ;   in Loop: Header=BB224_10 Depth=1
	v_bfrev_b32_e32 v2, 1
	v_mov_b32_e32 v3, 0
	v_cmp_ne_u16_sdwa s3, v1, v91 src0_sel:BYTE_0 src1_sel:DWORD
	buffer_store_dword v2, off, s[44:47], 0 offset:48 ; 4-byte Folded Spill
	buffer_store_dword v3, off, s[44:47], 0 offset:52 ; 4-byte Folded Spill
	s_and_saveexec_b32 s41, s3
	s_cbranch_execz .LBB224_65
; %bb.60:                               ;   in Loop: Header=BB224_10 Depth=1
	v_mov_b32_e32 v4, 0x7f800001
	v_and_b32_e32 v3, 0x7f, v1
	v_mov_b32_e32 v5, 0
	s_mov_b32 s42, exec_lo
	buffer_store_dword v4, off, s[44:47], 0 offset:48 ; 4-byte Folded Spill
	buffer_store_dword v5, off, s[44:47], 0 offset:52 ; 4-byte Folded Spill
	v_cmpx_ne_u32_e32 0x7f, v3
	s_cbranch_execz .LBB224_64
; %bb.61:                               ;   in Loop: Header=BB224_10 Depth=1
	v_and_b32_e32 v67, 7, v1
	v_lshrrev_b32_e32 v2, 3, v3
	s_mov_b32 s43, exec_lo
	v_cmpx_gt_u32_e32 8, v3
; %bb.62:                               ;   in Loop: Header=BB224_10 Depth=1
	v_ffbh_u32_e32 v2, v67
	v_min_u32_e32 v2, 32, v2
	v_subrev_nc_u32_e32 v3, 28, v2
	v_sub_nc_u32_e32 v2, 29, v2
	v_lshlrev_b64 v[3:4], v3, v[67:68]
	v_and_b32_e32 v67, 7, v3
; %bb.63:                               ;   in Loop: Header=BB224_10 Depth=1
	s_or_b32 exec_lo, exec_lo, s43
	v_lshlrev_b32_e32 v3, 24, v1
	v_lshlrev_b32_e32 v4, 20, v67
	v_lshl_add_u32 v2, v2, 23, 0x3c000000
	v_and_b32_e32 v3, 0x80000000, v3
	v_or3_b32 v67, v4, v3, v2
	buffer_store_dword v67, off, s[44:47], 0 offset:48 ; 4-byte Folded Spill
	buffer_store_dword v68, off, s[44:47], 0 offset:52 ; 4-byte Folded Spill
.LBB224_64:                             ;   in Loop: Header=BB224_10 Depth=1
	s_or_b32 exec_lo, exec_lo, s42
.LBB224_65:                             ;   in Loop: Header=BB224_10 Depth=1
	s_or_b32 exec_lo, exec_lo, s41
.LBB224_66:                             ;   in Loop: Header=BB224_10 Depth=1
	s_or_b32 exec_lo, exec_lo, s4
	v_cmp_ne_u16_sdwa s3, v1, v68 src0_sel:BYTE_1 src1_sel:DWORD
	s_and_saveexec_b32 s4, s3
	s_cbranch_execz .LBB224_74
; %bb.67:                               ;   in Loop: Header=BB224_10 Depth=1
	v_mov_b32_e32 v83, v68
	v_mov_b32_e32 v94, v84
	v_cmp_ne_u16_sdwa s3, v1, v91 src0_sel:BYTE_1 src1_sel:DWORD
	v_mov_b32_e32 v93, v83
	s_and_saveexec_b32 s41, s3
	s_cbranch_execz .LBB224_73
; %bb.68:                               ;   in Loop: Header=BB224_10 Depth=1
	v_mov_b32_e32 v2, 0xffff
	v_mov_b32_e32 v81, v68
	;; [unrolled: 1-line block ×3, first 2 shown]
	s_mov_b32 s42, exec_lo
	v_and_b32_sdwa v2, v2, v1 dst_sel:DWORD dst_unused:UNUSED_PAD src0_sel:DWORD src1_sel:BYTE_1
	v_mov_b32_e32 v93, v81
	v_and_b32_e32 v3, 0x7f, v2
	v_cmpx_ne_u32_e32 0x7f, v3
	s_cbranch_execz .LBB224_72
; %bb.69:                               ;   in Loop: Header=BB224_10 Depth=1
	v_and_b32_e32 v67, 7, v2
	v_lshrrev_b32_e32 v2, 3, v3
	s_mov_b32 s43, exec_lo
	v_cmpx_gt_u32_e32 8, v3
; %bb.70:                               ;   in Loop: Header=BB224_10 Depth=1
	v_ffbh_u32_e32 v2, v67
	v_min_u32_e32 v2, 32, v2
	v_subrev_nc_u32_e32 v3, 28, v2
	v_sub_nc_u32_e32 v2, 29, v2
	v_lshlrev_b64 v[3:4], v3, v[67:68]
	v_and_b32_e32 v67, 7, v3
; %bb.71:                               ;   in Loop: Header=BB224_10 Depth=1
	s_or_b32 exec_lo, exec_lo, s43
	v_lshlrev_b32_e32 v1, 16, v1
	v_lshlrev_b32_e32 v3, 20, v67
	v_lshl_add_u32 v2, v2, 23, 0x3c000000
	v_mov_b32_e32 v93, v68
	v_and_b32_e32 v1, 0x80000000, v1
	v_or3_b32 v94, v3, v1, v2
.LBB224_72:                             ;   in Loop: Header=BB224_10 Depth=1
	s_or_b32 exec_lo, exec_lo, s42
.LBB224_73:                             ;   in Loop: Header=BB224_10 Depth=1
	s_or_b32 exec_lo, exec_lo, s41
.LBB224_74:                             ;   in Loop: Header=BB224_10 Depth=1
	s_or_b32 exec_lo, exec_lo, s4
	global_load_ushort v2, v[85:86], off offset:256
	v_mov_b32_e32 v97, 0
	v_mov_b32_e32 v95, 0
	;; [unrolled: 1-line block ×4, first 2 shown]
	s_waitcnt vmcnt(0)
	v_and_b32_e32 v1, 0xffff, v2
	v_cmp_ne_u16_sdwa s3, v2, v68 src0_sel:BYTE_0 src1_sel:DWORD
	s_and_saveexec_b32 s4, s3
	s_cbranch_execz .LBB224_82
; %bb.75:                               ;   in Loop: Header=BB224_10 Depth=1
	v_bfrev_b32_e32 v95, 1
	v_mov_b32_e32 v96, 0
	v_cmp_ne_u16_sdwa s3, v1, v91 src0_sel:BYTE_0 src1_sel:DWORD
	s_and_saveexec_b32 s41, s3
	s_cbranch_execz .LBB224_81
; %bb.76:                               ;   in Loop: Header=BB224_10 Depth=1
	v_mov_b32_e32 v95, 0x7f800001
	v_and_b32_e32 v3, 0x7f, v1
	v_mov_b32_e32 v96, 0
	s_mov_b32 s42, exec_lo
	v_cmpx_ne_u32_e32 0x7f, v3
	s_cbranch_execz .LBB224_80
; %bb.77:                               ;   in Loop: Header=BB224_10 Depth=1
	v_and_b32_e32 v67, 7, v1
	v_lshrrev_b32_e32 v2, 3, v3
	s_mov_b32 s43, exec_lo
	v_cmpx_gt_u32_e32 8, v3
; %bb.78:                               ;   in Loop: Header=BB224_10 Depth=1
	v_ffbh_u32_e32 v2, v67
	v_min_u32_e32 v2, 32, v2
	v_subrev_nc_u32_e32 v3, 28, v2
	v_sub_nc_u32_e32 v2, 29, v2
	v_lshlrev_b64 v[3:4], v3, v[67:68]
	v_and_b32_e32 v67, 7, v3
; %bb.79:                               ;   in Loop: Header=BB224_10 Depth=1
	s_or_b32 exec_lo, exec_lo, s43
	v_lshlrev_b32_e32 v3, 24, v1
	v_lshlrev_b32_e32 v4, 20, v67
	v_lshl_add_u32 v2, v2, 23, 0x3c000000
	v_and_b32_e32 v3, 0x80000000, v3
	v_or3_b32 v67, v4, v3, v2
	v_mov_b32_e32 v96, v68
	v_mov_b32_e32 v95, v67
.LBB224_80:                             ;   in Loop: Header=BB224_10 Depth=1
	s_or_b32 exec_lo, exec_lo, s42
.LBB224_81:                             ;   in Loop: Header=BB224_10 Depth=1
	s_or_b32 exec_lo, exec_lo, s41
.LBB224_82:                             ;   in Loop: Header=BB224_10 Depth=1
	s_or_b32 exec_lo, exec_lo, s4
	v_cmp_ne_u16_sdwa s3, v1, v68 src0_sel:BYTE_1 src1_sel:DWORD
	s_and_saveexec_b32 s4, s3
	s_cbranch_execz .LBB224_90
; %bb.83:                               ;   in Loop: Header=BB224_10 Depth=1
	v_mov_b32_e32 v83, v68
	v_mov_b32_e32 v98, v84
	v_cmp_ne_u16_sdwa s3, v1, v91 src0_sel:BYTE_1 src1_sel:DWORD
	v_mov_b32_e32 v97, v83
	s_and_saveexec_b32 s41, s3
	s_cbranch_execz .LBB224_89
; %bb.84:                               ;   in Loop: Header=BB224_10 Depth=1
	v_mov_b32_e32 v2, 0xffff
	v_mov_b32_e32 v81, v68
	v_mov_b32_e32 v98, v82
	s_mov_b32 s42, exec_lo
	v_and_b32_sdwa v2, v2, v1 dst_sel:DWORD dst_unused:UNUSED_PAD src0_sel:DWORD src1_sel:BYTE_1
	v_mov_b32_e32 v97, v81
	v_and_b32_e32 v3, 0x7f, v2
	v_cmpx_ne_u32_e32 0x7f, v3
	s_cbranch_execz .LBB224_88
; %bb.85:                               ;   in Loop: Header=BB224_10 Depth=1
	v_and_b32_e32 v67, 7, v2
	v_lshrrev_b32_e32 v2, 3, v3
	s_mov_b32 s43, exec_lo
	v_cmpx_gt_u32_e32 8, v3
; %bb.86:                               ;   in Loop: Header=BB224_10 Depth=1
	v_ffbh_u32_e32 v2, v67
	v_min_u32_e32 v2, 32, v2
	v_subrev_nc_u32_e32 v3, 28, v2
	v_sub_nc_u32_e32 v2, 29, v2
	v_lshlrev_b64 v[3:4], v3, v[67:68]
	v_and_b32_e32 v67, 7, v3
; %bb.87:                               ;   in Loop: Header=BB224_10 Depth=1
	s_or_b32 exec_lo, exec_lo, s43
	v_lshlrev_b32_e32 v1, 16, v1
	v_lshlrev_b32_e32 v3, 20, v67
	v_lshl_add_u32 v2, v2, 23, 0x3c000000
	v_mov_b32_e32 v97, v68
	v_and_b32_e32 v1, 0x80000000, v1
	v_or3_b32 v98, v3, v1, v2
.LBB224_88:                             ;   in Loop: Header=BB224_10 Depth=1
	s_or_b32 exec_lo, exec_lo, s42
.LBB224_89:                             ;   in Loop: Header=BB224_10 Depth=1
	s_or_b32 exec_lo, exec_lo, s41
.LBB224_90:                             ;   in Loop: Header=BB224_10 Depth=1
	s_or_b32 exec_lo, exec_lo, s4
	global_load_ushort v2, v[85:86], off offset:260
	v_mov_b32_e32 v101, 0
	v_mov_b32_e32 v99, 0
	;; [unrolled: 1-line block ×4, first 2 shown]
	s_waitcnt vmcnt(0)
	v_and_b32_e32 v1, 0xffff, v2
	v_cmp_ne_u16_sdwa s3, v2, v68 src0_sel:BYTE_0 src1_sel:DWORD
	s_and_saveexec_b32 s4, s3
	s_cbranch_execz .LBB224_98
; %bb.91:                               ;   in Loop: Header=BB224_10 Depth=1
	v_bfrev_b32_e32 v99, 1
	v_mov_b32_e32 v100, 0
	v_cmp_ne_u16_sdwa s3, v1, v91 src0_sel:BYTE_0 src1_sel:DWORD
	s_and_saveexec_b32 s41, s3
	s_cbranch_execz .LBB224_97
; %bb.92:                               ;   in Loop: Header=BB224_10 Depth=1
	v_mov_b32_e32 v99, 0x7f800001
	v_and_b32_e32 v3, 0x7f, v1
	v_mov_b32_e32 v100, 0
	s_mov_b32 s42, exec_lo
	v_cmpx_ne_u32_e32 0x7f, v3
	s_cbranch_execz .LBB224_96
; %bb.93:                               ;   in Loop: Header=BB224_10 Depth=1
	v_and_b32_e32 v67, 7, v1
	v_lshrrev_b32_e32 v2, 3, v3
	s_mov_b32 s43, exec_lo
	v_cmpx_gt_u32_e32 8, v3
; %bb.94:                               ;   in Loop: Header=BB224_10 Depth=1
	v_ffbh_u32_e32 v2, v67
	v_min_u32_e32 v2, 32, v2
	v_subrev_nc_u32_e32 v3, 28, v2
	v_sub_nc_u32_e32 v2, 29, v2
	v_lshlrev_b64 v[3:4], v3, v[67:68]
	v_and_b32_e32 v67, 7, v3
; %bb.95:                               ;   in Loop: Header=BB224_10 Depth=1
	s_or_b32 exec_lo, exec_lo, s43
	v_lshlrev_b32_e32 v3, 24, v1
	v_lshlrev_b32_e32 v4, 20, v67
	v_lshl_add_u32 v2, v2, 23, 0x3c000000
	v_and_b32_e32 v3, 0x80000000, v3
	v_or3_b32 v67, v4, v3, v2
	v_mov_b32_e32 v100, v68
	v_mov_b32_e32 v99, v67
.LBB224_96:                             ;   in Loop: Header=BB224_10 Depth=1
	s_or_b32 exec_lo, exec_lo, s42
.LBB224_97:                             ;   in Loop: Header=BB224_10 Depth=1
	s_or_b32 exec_lo, exec_lo, s41
.LBB224_98:                             ;   in Loop: Header=BB224_10 Depth=1
	s_or_b32 exec_lo, exec_lo, s4
	v_cmp_ne_u16_sdwa s3, v1, v68 src0_sel:BYTE_1 src1_sel:DWORD
	s_and_saveexec_b32 s4, s3
	s_cbranch_execz .LBB224_106
; %bb.99:                               ;   in Loop: Header=BB224_10 Depth=1
	v_mov_b32_e32 v83, v68
	v_mov_b32_e32 v102, v84
	v_cmp_ne_u16_sdwa s3, v1, v91 src0_sel:BYTE_1 src1_sel:DWORD
	v_mov_b32_e32 v101, v83
	s_and_saveexec_b32 s41, s3
	s_cbranch_execz .LBB224_105
; %bb.100:                              ;   in Loop: Header=BB224_10 Depth=1
	v_mov_b32_e32 v2, 0xffff
	v_mov_b32_e32 v81, v68
	;; [unrolled: 1-line block ×3, first 2 shown]
	s_mov_b32 s42, exec_lo
	v_and_b32_sdwa v2, v2, v1 dst_sel:DWORD dst_unused:UNUSED_PAD src0_sel:DWORD src1_sel:BYTE_1
	v_mov_b32_e32 v101, v81
	v_and_b32_e32 v3, 0x7f, v2
	v_cmpx_ne_u32_e32 0x7f, v3
	s_cbranch_execz .LBB224_104
; %bb.101:                              ;   in Loop: Header=BB224_10 Depth=1
	v_and_b32_e32 v67, 7, v2
	v_lshrrev_b32_e32 v2, 3, v3
	s_mov_b32 s43, exec_lo
	v_cmpx_gt_u32_e32 8, v3
; %bb.102:                              ;   in Loop: Header=BB224_10 Depth=1
	v_ffbh_u32_e32 v2, v67
	v_min_u32_e32 v2, 32, v2
	v_subrev_nc_u32_e32 v3, 28, v2
	v_sub_nc_u32_e32 v2, 29, v2
	v_lshlrev_b64 v[3:4], v3, v[67:68]
	v_and_b32_e32 v67, 7, v3
; %bb.103:                              ;   in Loop: Header=BB224_10 Depth=1
	s_or_b32 exec_lo, exec_lo, s43
	v_lshlrev_b32_e32 v1, 16, v1
	v_lshlrev_b32_e32 v3, 20, v67
	v_lshl_add_u32 v2, v2, 23, 0x3c000000
	v_mov_b32_e32 v101, v68
	v_and_b32_e32 v1, 0x80000000, v1
	v_or3_b32 v102, v3, v1, v2
.LBB224_104:                            ;   in Loop: Header=BB224_10 Depth=1
	s_or_b32 exec_lo, exec_lo, s42
.LBB224_105:                            ;   in Loop: Header=BB224_10 Depth=1
	s_or_b32 exec_lo, exec_lo, s41
.LBB224_106:                            ;   in Loop: Header=BB224_10 Depth=1
	s_or_b32 exec_lo, exec_lo, s4
	global_load_ushort v2, v[85:86], off offset:264
	v_mov_b32_e32 v105, 0
	v_mov_b32_e32 v103, 0
	;; [unrolled: 1-line block ×4, first 2 shown]
	s_waitcnt vmcnt(0)
	v_and_b32_e32 v1, 0xffff, v2
	v_cmp_ne_u16_sdwa s3, v2, v68 src0_sel:BYTE_0 src1_sel:DWORD
	s_and_saveexec_b32 s4, s3
	s_cbranch_execz .LBB224_114
; %bb.107:                              ;   in Loop: Header=BB224_10 Depth=1
	v_bfrev_b32_e32 v103, 1
	v_mov_b32_e32 v104, 0
	v_cmp_ne_u16_sdwa s3, v1, v91 src0_sel:BYTE_0 src1_sel:DWORD
	s_and_saveexec_b32 s41, s3
	s_cbranch_execz .LBB224_113
; %bb.108:                              ;   in Loop: Header=BB224_10 Depth=1
	v_mov_b32_e32 v103, 0x7f800001
	v_and_b32_e32 v3, 0x7f, v1
	v_mov_b32_e32 v104, 0
	s_mov_b32 s42, exec_lo
	v_cmpx_ne_u32_e32 0x7f, v3
	s_cbranch_execz .LBB224_112
; %bb.109:                              ;   in Loop: Header=BB224_10 Depth=1
	v_and_b32_e32 v67, 7, v1
	v_lshrrev_b32_e32 v2, 3, v3
	s_mov_b32 s43, exec_lo
	v_cmpx_gt_u32_e32 8, v3
; %bb.110:                              ;   in Loop: Header=BB224_10 Depth=1
	v_ffbh_u32_e32 v2, v67
	v_min_u32_e32 v2, 32, v2
	v_subrev_nc_u32_e32 v3, 28, v2
	v_sub_nc_u32_e32 v2, 29, v2
	v_lshlrev_b64 v[3:4], v3, v[67:68]
	v_and_b32_e32 v67, 7, v3
; %bb.111:                              ;   in Loop: Header=BB224_10 Depth=1
	s_or_b32 exec_lo, exec_lo, s43
	v_lshlrev_b32_e32 v3, 24, v1
	v_lshlrev_b32_e32 v4, 20, v67
	v_lshl_add_u32 v2, v2, 23, 0x3c000000
	v_and_b32_e32 v3, 0x80000000, v3
	v_or3_b32 v67, v4, v3, v2
	v_mov_b32_e32 v104, v68
	v_mov_b32_e32 v103, v67
.LBB224_112:                            ;   in Loop: Header=BB224_10 Depth=1
	s_or_b32 exec_lo, exec_lo, s42
.LBB224_113:                            ;   in Loop: Header=BB224_10 Depth=1
	s_or_b32 exec_lo, exec_lo, s41
.LBB224_114:                            ;   in Loop: Header=BB224_10 Depth=1
	s_or_b32 exec_lo, exec_lo, s4
	v_cmp_ne_u16_sdwa s3, v1, v68 src0_sel:BYTE_1 src1_sel:DWORD
	s_and_saveexec_b32 s4, s3
	s_cbranch_execz .LBB224_122
; %bb.115:                              ;   in Loop: Header=BB224_10 Depth=1
	v_mov_b32_e32 v83, v68
	v_mov_b32_e32 v106, v84
	v_cmp_ne_u16_sdwa s3, v1, v91 src0_sel:BYTE_1 src1_sel:DWORD
	v_mov_b32_e32 v105, v83
	s_and_saveexec_b32 s41, s3
	s_cbranch_execz .LBB224_121
; %bb.116:                              ;   in Loop: Header=BB224_10 Depth=1
	v_mov_b32_e32 v2, 0xffff
	v_mov_b32_e32 v81, v68
	;; [unrolled: 1-line block ×3, first 2 shown]
	s_mov_b32 s42, exec_lo
	v_and_b32_sdwa v2, v2, v1 dst_sel:DWORD dst_unused:UNUSED_PAD src0_sel:DWORD src1_sel:BYTE_1
	v_mov_b32_e32 v105, v81
	v_and_b32_e32 v3, 0x7f, v2
	v_cmpx_ne_u32_e32 0x7f, v3
	s_cbranch_execz .LBB224_120
; %bb.117:                              ;   in Loop: Header=BB224_10 Depth=1
	v_and_b32_e32 v67, 7, v2
	v_lshrrev_b32_e32 v2, 3, v3
	s_mov_b32 s43, exec_lo
	v_cmpx_gt_u32_e32 8, v3
; %bb.118:                              ;   in Loop: Header=BB224_10 Depth=1
	v_ffbh_u32_e32 v2, v67
	v_min_u32_e32 v2, 32, v2
	v_subrev_nc_u32_e32 v3, 28, v2
	v_sub_nc_u32_e32 v2, 29, v2
	v_lshlrev_b64 v[3:4], v3, v[67:68]
	v_and_b32_e32 v67, 7, v3
; %bb.119:                              ;   in Loop: Header=BB224_10 Depth=1
	s_or_b32 exec_lo, exec_lo, s43
	v_lshlrev_b32_e32 v1, 16, v1
	v_lshlrev_b32_e32 v3, 20, v67
	v_lshl_add_u32 v2, v2, 23, 0x3c000000
	v_mov_b32_e32 v105, v68
	v_and_b32_e32 v1, 0x80000000, v1
	v_or3_b32 v106, v3, v1, v2
.LBB224_120:                            ;   in Loop: Header=BB224_10 Depth=1
	s_or_b32 exec_lo, exec_lo, s42
.LBB224_121:                            ;   in Loop: Header=BB224_10 Depth=1
	s_or_b32 exec_lo, exec_lo, s41
.LBB224_122:                            ;   in Loop: Header=BB224_10 Depth=1
	s_or_b32 exec_lo, exec_lo, s4
	global_load_ushort v2, v[85:86], off offset:268
	v_mov_b32_e32 v109, 0
	v_mov_b32_e32 v107, 0
	;; [unrolled: 1-line block ×4, first 2 shown]
	s_waitcnt vmcnt(0)
	v_and_b32_e32 v1, 0xffff, v2
	v_cmp_ne_u16_sdwa s3, v2, v68 src0_sel:BYTE_0 src1_sel:DWORD
	s_and_saveexec_b32 s4, s3
	s_cbranch_execz .LBB224_130
; %bb.123:                              ;   in Loop: Header=BB224_10 Depth=1
	v_bfrev_b32_e32 v107, 1
	v_mov_b32_e32 v108, 0
	v_cmp_ne_u16_sdwa s3, v1, v91 src0_sel:BYTE_0 src1_sel:DWORD
	s_and_saveexec_b32 s41, s3
	s_cbranch_execz .LBB224_129
; %bb.124:                              ;   in Loop: Header=BB224_10 Depth=1
	v_mov_b32_e32 v107, 0x7f800001
	v_and_b32_e32 v3, 0x7f, v1
	v_mov_b32_e32 v108, 0
	s_mov_b32 s42, exec_lo
	v_cmpx_ne_u32_e32 0x7f, v3
	s_cbranch_execz .LBB224_128
; %bb.125:                              ;   in Loop: Header=BB224_10 Depth=1
	v_and_b32_e32 v67, 7, v1
	v_lshrrev_b32_e32 v2, 3, v3
	s_mov_b32 s43, exec_lo
	v_cmpx_gt_u32_e32 8, v3
; %bb.126:                              ;   in Loop: Header=BB224_10 Depth=1
	v_ffbh_u32_e32 v2, v67
	v_min_u32_e32 v2, 32, v2
	v_subrev_nc_u32_e32 v3, 28, v2
	v_sub_nc_u32_e32 v2, 29, v2
	v_lshlrev_b64 v[3:4], v3, v[67:68]
	v_and_b32_e32 v67, 7, v3
; %bb.127:                              ;   in Loop: Header=BB224_10 Depth=1
	s_or_b32 exec_lo, exec_lo, s43
	v_lshlrev_b32_e32 v3, 24, v1
	v_lshlrev_b32_e32 v4, 20, v67
	v_lshl_add_u32 v2, v2, 23, 0x3c000000
	v_and_b32_e32 v3, 0x80000000, v3
	v_or3_b32 v67, v4, v3, v2
	v_mov_b32_e32 v108, v68
	v_mov_b32_e32 v107, v67
.LBB224_128:                            ;   in Loop: Header=BB224_10 Depth=1
	s_or_b32 exec_lo, exec_lo, s42
.LBB224_129:                            ;   in Loop: Header=BB224_10 Depth=1
	s_or_b32 exec_lo, exec_lo, s41
.LBB224_130:                            ;   in Loop: Header=BB224_10 Depth=1
	s_or_b32 exec_lo, exec_lo, s4
	v_cmp_ne_u16_sdwa s3, v1, v68 src0_sel:BYTE_1 src1_sel:DWORD
	s_and_saveexec_b32 s4, s3
	s_cbranch_execz .LBB224_138
; %bb.131:                              ;   in Loop: Header=BB224_10 Depth=1
	v_mov_b32_e32 v83, v68
	v_mov_b32_e32 v110, v84
	v_cmp_ne_u16_sdwa s3, v1, v91 src0_sel:BYTE_1 src1_sel:DWORD
	v_mov_b32_e32 v109, v83
	s_and_saveexec_b32 s41, s3
	s_cbranch_execz .LBB224_137
; %bb.132:                              ;   in Loop: Header=BB224_10 Depth=1
	v_mov_b32_e32 v2, 0xffff
	v_mov_b32_e32 v81, v68
	v_mov_b32_e32 v110, v82
	s_mov_b32 s42, exec_lo
	v_and_b32_sdwa v2, v2, v1 dst_sel:DWORD dst_unused:UNUSED_PAD src0_sel:DWORD src1_sel:BYTE_1
	v_mov_b32_e32 v109, v81
	v_and_b32_e32 v3, 0x7f, v2
	v_cmpx_ne_u32_e32 0x7f, v3
	s_cbranch_execz .LBB224_136
; %bb.133:                              ;   in Loop: Header=BB224_10 Depth=1
	v_and_b32_e32 v67, 7, v2
	v_lshrrev_b32_e32 v2, 3, v3
	s_mov_b32 s43, exec_lo
	v_cmpx_gt_u32_e32 8, v3
; %bb.134:                              ;   in Loop: Header=BB224_10 Depth=1
	v_ffbh_u32_e32 v2, v67
	v_min_u32_e32 v2, 32, v2
	v_subrev_nc_u32_e32 v3, 28, v2
	v_sub_nc_u32_e32 v2, 29, v2
	v_lshlrev_b64 v[3:4], v3, v[67:68]
	v_and_b32_e32 v67, 7, v3
; %bb.135:                              ;   in Loop: Header=BB224_10 Depth=1
	s_or_b32 exec_lo, exec_lo, s43
	v_lshlrev_b32_e32 v1, 16, v1
	v_lshlrev_b32_e32 v3, 20, v67
	v_lshl_add_u32 v2, v2, 23, 0x3c000000
	v_mov_b32_e32 v109, v68
	v_and_b32_e32 v1, 0x80000000, v1
	v_or3_b32 v110, v3, v1, v2
.LBB224_136:                            ;   in Loop: Header=BB224_10 Depth=1
	s_or_b32 exec_lo, exec_lo, s42
.LBB224_137:                            ;   in Loop: Header=BB224_10 Depth=1
	s_or_b32 exec_lo, exec_lo, s41
.LBB224_138:                            ;   in Loop: Header=BB224_10 Depth=1
	s_or_b32 exec_lo, exec_lo, s4
	global_load_ushort v2, v[85:86], off offset:512
	v_mov_b32_e32 v113, 0
	v_mov_b32_e32 v111, 0
	;; [unrolled: 1-line block ×4, first 2 shown]
	s_waitcnt vmcnt(0)
	v_and_b32_e32 v1, 0xffff, v2
	v_cmp_ne_u16_sdwa s3, v2, v68 src0_sel:BYTE_0 src1_sel:DWORD
	s_and_saveexec_b32 s4, s3
	s_cbranch_execz .LBB224_146
; %bb.139:                              ;   in Loop: Header=BB224_10 Depth=1
	v_bfrev_b32_e32 v111, 1
	v_mov_b32_e32 v112, 0
	v_cmp_ne_u16_sdwa s3, v1, v91 src0_sel:BYTE_0 src1_sel:DWORD
	s_and_saveexec_b32 s41, s3
	s_cbranch_execz .LBB224_145
; %bb.140:                              ;   in Loop: Header=BB224_10 Depth=1
	v_mov_b32_e32 v111, 0x7f800001
	v_and_b32_e32 v3, 0x7f, v1
	v_mov_b32_e32 v112, 0
	s_mov_b32 s42, exec_lo
	v_cmpx_ne_u32_e32 0x7f, v3
	s_cbranch_execz .LBB224_144
; %bb.141:                              ;   in Loop: Header=BB224_10 Depth=1
	v_and_b32_e32 v67, 7, v1
	v_lshrrev_b32_e32 v2, 3, v3
	s_mov_b32 s43, exec_lo
	v_cmpx_gt_u32_e32 8, v3
; %bb.142:                              ;   in Loop: Header=BB224_10 Depth=1
	v_ffbh_u32_e32 v2, v67
	v_min_u32_e32 v2, 32, v2
	v_subrev_nc_u32_e32 v3, 28, v2
	v_sub_nc_u32_e32 v2, 29, v2
	v_lshlrev_b64 v[3:4], v3, v[67:68]
	v_and_b32_e32 v67, 7, v3
; %bb.143:                              ;   in Loop: Header=BB224_10 Depth=1
	s_or_b32 exec_lo, exec_lo, s43
	v_lshlrev_b32_e32 v3, 24, v1
	v_lshlrev_b32_e32 v4, 20, v67
	v_lshl_add_u32 v2, v2, 23, 0x3c000000
	v_and_b32_e32 v3, 0x80000000, v3
	v_or3_b32 v67, v4, v3, v2
	v_mov_b32_e32 v112, v68
	v_mov_b32_e32 v111, v67
.LBB224_144:                            ;   in Loop: Header=BB224_10 Depth=1
	s_or_b32 exec_lo, exec_lo, s42
.LBB224_145:                            ;   in Loop: Header=BB224_10 Depth=1
	s_or_b32 exec_lo, exec_lo, s41
.LBB224_146:                            ;   in Loop: Header=BB224_10 Depth=1
	s_or_b32 exec_lo, exec_lo, s4
	v_cmp_ne_u16_sdwa s3, v1, v68 src0_sel:BYTE_1 src1_sel:DWORD
	s_and_saveexec_b32 s4, s3
	s_cbranch_execz .LBB224_154
; %bb.147:                              ;   in Loop: Header=BB224_10 Depth=1
	v_mov_b32_e32 v83, v68
	v_mov_b32_e32 v114, v84
	v_cmp_ne_u16_sdwa s3, v1, v91 src0_sel:BYTE_1 src1_sel:DWORD
	v_mov_b32_e32 v113, v83
	s_and_saveexec_b32 s41, s3
	s_cbranch_execz .LBB224_153
; %bb.148:                              ;   in Loop: Header=BB224_10 Depth=1
	v_mov_b32_e32 v2, 0xffff
	v_mov_b32_e32 v81, v68
	;; [unrolled: 1-line block ×3, first 2 shown]
	s_mov_b32 s42, exec_lo
	v_and_b32_sdwa v2, v2, v1 dst_sel:DWORD dst_unused:UNUSED_PAD src0_sel:DWORD src1_sel:BYTE_1
	v_mov_b32_e32 v113, v81
	v_and_b32_e32 v3, 0x7f, v2
	v_cmpx_ne_u32_e32 0x7f, v3
	s_cbranch_execz .LBB224_152
; %bb.149:                              ;   in Loop: Header=BB224_10 Depth=1
	v_and_b32_e32 v67, 7, v2
	v_lshrrev_b32_e32 v2, 3, v3
	s_mov_b32 s43, exec_lo
	v_cmpx_gt_u32_e32 8, v3
; %bb.150:                              ;   in Loop: Header=BB224_10 Depth=1
	v_ffbh_u32_e32 v2, v67
	v_min_u32_e32 v2, 32, v2
	v_subrev_nc_u32_e32 v3, 28, v2
	v_sub_nc_u32_e32 v2, 29, v2
	v_lshlrev_b64 v[3:4], v3, v[67:68]
	v_and_b32_e32 v67, 7, v3
; %bb.151:                              ;   in Loop: Header=BB224_10 Depth=1
	s_or_b32 exec_lo, exec_lo, s43
	v_lshlrev_b32_e32 v1, 16, v1
	v_lshlrev_b32_e32 v3, 20, v67
	v_lshl_add_u32 v2, v2, 23, 0x3c000000
	v_mov_b32_e32 v113, v68
	v_and_b32_e32 v1, 0x80000000, v1
	v_or3_b32 v114, v3, v1, v2
.LBB224_152:                            ;   in Loop: Header=BB224_10 Depth=1
	s_or_b32 exec_lo, exec_lo, s42
.LBB224_153:                            ;   in Loop: Header=BB224_10 Depth=1
	s_or_b32 exec_lo, exec_lo, s41
.LBB224_154:                            ;   in Loop: Header=BB224_10 Depth=1
	s_or_b32 exec_lo, exec_lo, s4
	global_load_ushort v2, v[85:86], off offset:516
	v_mov_b32_e32 v117, 0
	v_mov_b32_e32 v115, 0
	;; [unrolled: 1-line block ×4, first 2 shown]
	s_waitcnt vmcnt(0)
	v_and_b32_e32 v1, 0xffff, v2
	v_cmp_ne_u16_sdwa s3, v2, v68 src0_sel:BYTE_0 src1_sel:DWORD
	s_and_saveexec_b32 s4, s3
	s_cbranch_execz .LBB224_162
; %bb.155:                              ;   in Loop: Header=BB224_10 Depth=1
	v_bfrev_b32_e32 v115, 1
	v_mov_b32_e32 v116, 0
	v_cmp_ne_u16_sdwa s3, v1, v91 src0_sel:BYTE_0 src1_sel:DWORD
	s_and_saveexec_b32 s41, s3
	s_cbranch_execz .LBB224_161
; %bb.156:                              ;   in Loop: Header=BB224_10 Depth=1
	v_mov_b32_e32 v115, 0x7f800001
	v_and_b32_e32 v3, 0x7f, v1
	v_mov_b32_e32 v116, 0
	s_mov_b32 s42, exec_lo
	v_cmpx_ne_u32_e32 0x7f, v3
	s_cbranch_execz .LBB224_160
; %bb.157:                              ;   in Loop: Header=BB224_10 Depth=1
	v_and_b32_e32 v67, 7, v1
	v_lshrrev_b32_e32 v2, 3, v3
	s_mov_b32 s43, exec_lo
	v_cmpx_gt_u32_e32 8, v3
; %bb.158:                              ;   in Loop: Header=BB224_10 Depth=1
	v_ffbh_u32_e32 v2, v67
	v_min_u32_e32 v2, 32, v2
	v_subrev_nc_u32_e32 v3, 28, v2
	v_sub_nc_u32_e32 v2, 29, v2
	v_lshlrev_b64 v[3:4], v3, v[67:68]
	v_and_b32_e32 v67, 7, v3
; %bb.159:                              ;   in Loop: Header=BB224_10 Depth=1
	s_or_b32 exec_lo, exec_lo, s43
	v_lshlrev_b32_e32 v3, 24, v1
	v_lshlrev_b32_e32 v4, 20, v67
	v_lshl_add_u32 v2, v2, 23, 0x3c000000
	v_and_b32_e32 v3, 0x80000000, v3
	v_or3_b32 v67, v4, v3, v2
	v_mov_b32_e32 v116, v68
	v_mov_b32_e32 v115, v67
.LBB224_160:                            ;   in Loop: Header=BB224_10 Depth=1
	s_or_b32 exec_lo, exec_lo, s42
.LBB224_161:                            ;   in Loop: Header=BB224_10 Depth=1
	s_or_b32 exec_lo, exec_lo, s41
.LBB224_162:                            ;   in Loop: Header=BB224_10 Depth=1
	s_or_b32 exec_lo, exec_lo, s4
	v_cmp_ne_u16_sdwa s3, v1, v68 src0_sel:BYTE_1 src1_sel:DWORD
	s_and_saveexec_b32 s4, s3
	s_cbranch_execz .LBB224_170
; %bb.163:                              ;   in Loop: Header=BB224_10 Depth=1
	v_mov_b32_e32 v83, v68
	v_mov_b32_e32 v118, v84
	v_cmp_ne_u16_sdwa s3, v1, v91 src0_sel:BYTE_1 src1_sel:DWORD
	v_mov_b32_e32 v117, v83
	s_and_saveexec_b32 s41, s3
	s_cbranch_execz .LBB224_169
; %bb.164:                              ;   in Loop: Header=BB224_10 Depth=1
	v_mov_b32_e32 v2, 0xffff
	v_mov_b32_e32 v81, v68
	;; [unrolled: 1-line block ×3, first 2 shown]
	s_mov_b32 s42, exec_lo
	v_and_b32_sdwa v2, v2, v1 dst_sel:DWORD dst_unused:UNUSED_PAD src0_sel:DWORD src1_sel:BYTE_1
	v_mov_b32_e32 v117, v81
	v_and_b32_e32 v3, 0x7f, v2
	v_cmpx_ne_u32_e32 0x7f, v3
	s_cbranch_execz .LBB224_168
; %bb.165:                              ;   in Loop: Header=BB224_10 Depth=1
	v_and_b32_e32 v67, 7, v2
	v_lshrrev_b32_e32 v2, 3, v3
	s_mov_b32 s43, exec_lo
	v_cmpx_gt_u32_e32 8, v3
; %bb.166:                              ;   in Loop: Header=BB224_10 Depth=1
	v_ffbh_u32_e32 v2, v67
	v_min_u32_e32 v2, 32, v2
	v_subrev_nc_u32_e32 v3, 28, v2
	v_sub_nc_u32_e32 v2, 29, v2
	v_lshlrev_b64 v[3:4], v3, v[67:68]
	v_and_b32_e32 v67, 7, v3
; %bb.167:                              ;   in Loop: Header=BB224_10 Depth=1
	s_or_b32 exec_lo, exec_lo, s43
	v_lshlrev_b32_e32 v1, 16, v1
	v_lshlrev_b32_e32 v3, 20, v67
	v_lshl_add_u32 v2, v2, 23, 0x3c000000
	v_mov_b32_e32 v117, v68
	v_and_b32_e32 v1, 0x80000000, v1
	v_or3_b32 v118, v3, v1, v2
.LBB224_168:                            ;   in Loop: Header=BB224_10 Depth=1
	s_or_b32 exec_lo, exec_lo, s42
.LBB224_169:                            ;   in Loop: Header=BB224_10 Depth=1
	s_or_b32 exec_lo, exec_lo, s41
.LBB224_170:                            ;   in Loop: Header=BB224_10 Depth=1
	s_or_b32 exec_lo, exec_lo, s4
	global_load_ushort v2, v[85:86], off offset:520
	v_mov_b32_e32 v121, 0
	v_mov_b32_e32 v119, 0
	;; [unrolled: 1-line block ×4, first 2 shown]
	s_waitcnt vmcnt(0)
	v_and_b32_e32 v1, 0xffff, v2
	v_cmp_ne_u16_sdwa s3, v2, v68 src0_sel:BYTE_0 src1_sel:DWORD
	s_and_saveexec_b32 s4, s3
	s_cbranch_execz .LBB224_178
; %bb.171:                              ;   in Loop: Header=BB224_10 Depth=1
	v_bfrev_b32_e32 v119, 1
	v_mov_b32_e32 v120, 0
	v_cmp_ne_u16_sdwa s3, v1, v91 src0_sel:BYTE_0 src1_sel:DWORD
	s_and_saveexec_b32 s41, s3
	s_cbranch_execz .LBB224_177
; %bb.172:                              ;   in Loop: Header=BB224_10 Depth=1
	v_mov_b32_e32 v119, 0x7f800001
	v_and_b32_e32 v3, 0x7f, v1
	v_mov_b32_e32 v120, 0
	s_mov_b32 s42, exec_lo
	v_cmpx_ne_u32_e32 0x7f, v3
	s_cbranch_execz .LBB224_176
; %bb.173:                              ;   in Loop: Header=BB224_10 Depth=1
	v_and_b32_e32 v67, 7, v1
	v_lshrrev_b32_e32 v2, 3, v3
	s_mov_b32 s43, exec_lo
	v_cmpx_gt_u32_e32 8, v3
; %bb.174:                              ;   in Loop: Header=BB224_10 Depth=1
	v_ffbh_u32_e32 v2, v67
	v_min_u32_e32 v2, 32, v2
	v_subrev_nc_u32_e32 v3, 28, v2
	v_sub_nc_u32_e32 v2, 29, v2
	v_lshlrev_b64 v[3:4], v3, v[67:68]
	v_and_b32_e32 v67, 7, v3
; %bb.175:                              ;   in Loop: Header=BB224_10 Depth=1
	s_or_b32 exec_lo, exec_lo, s43
	v_lshlrev_b32_e32 v3, 24, v1
	v_lshlrev_b32_e32 v4, 20, v67
	v_lshl_add_u32 v2, v2, 23, 0x3c000000
	v_and_b32_e32 v3, 0x80000000, v3
	v_or3_b32 v67, v4, v3, v2
	v_mov_b32_e32 v120, v68
	v_mov_b32_e32 v119, v67
.LBB224_176:                            ;   in Loop: Header=BB224_10 Depth=1
	s_or_b32 exec_lo, exec_lo, s42
.LBB224_177:                            ;   in Loop: Header=BB224_10 Depth=1
	s_or_b32 exec_lo, exec_lo, s41
.LBB224_178:                            ;   in Loop: Header=BB224_10 Depth=1
	s_or_b32 exec_lo, exec_lo, s4
	v_cmp_ne_u16_sdwa s3, v1, v68 src0_sel:BYTE_1 src1_sel:DWORD
	s_and_saveexec_b32 s4, s3
	s_cbranch_execz .LBB224_186
; %bb.179:                              ;   in Loop: Header=BB224_10 Depth=1
	v_mov_b32_e32 v83, v68
	v_mov_b32_e32 v122, v84
	v_cmp_ne_u16_sdwa s3, v1, v91 src0_sel:BYTE_1 src1_sel:DWORD
	v_mov_b32_e32 v121, v83
	s_and_saveexec_b32 s41, s3
	s_cbranch_execz .LBB224_185
; %bb.180:                              ;   in Loop: Header=BB224_10 Depth=1
	v_mov_b32_e32 v2, 0xffff
	v_mov_b32_e32 v81, v68
	;; [unrolled: 1-line block ×3, first 2 shown]
	s_mov_b32 s42, exec_lo
	v_and_b32_sdwa v2, v2, v1 dst_sel:DWORD dst_unused:UNUSED_PAD src0_sel:DWORD src1_sel:BYTE_1
	v_mov_b32_e32 v121, v81
	v_and_b32_e32 v3, 0x7f, v2
	v_cmpx_ne_u32_e32 0x7f, v3
	s_cbranch_execz .LBB224_184
; %bb.181:                              ;   in Loop: Header=BB224_10 Depth=1
	v_and_b32_e32 v67, 7, v2
	v_lshrrev_b32_e32 v2, 3, v3
	s_mov_b32 s43, exec_lo
	v_cmpx_gt_u32_e32 8, v3
; %bb.182:                              ;   in Loop: Header=BB224_10 Depth=1
	v_ffbh_u32_e32 v2, v67
	v_min_u32_e32 v2, 32, v2
	v_subrev_nc_u32_e32 v3, 28, v2
	v_sub_nc_u32_e32 v2, 29, v2
	v_lshlrev_b64 v[3:4], v3, v[67:68]
	v_and_b32_e32 v67, 7, v3
; %bb.183:                              ;   in Loop: Header=BB224_10 Depth=1
	s_or_b32 exec_lo, exec_lo, s43
	v_lshlrev_b32_e32 v1, 16, v1
	v_lshlrev_b32_e32 v3, 20, v67
	v_lshl_add_u32 v2, v2, 23, 0x3c000000
	v_mov_b32_e32 v121, v68
	v_and_b32_e32 v1, 0x80000000, v1
	v_or3_b32 v122, v3, v1, v2
.LBB224_184:                            ;   in Loop: Header=BB224_10 Depth=1
	s_or_b32 exec_lo, exec_lo, s42
.LBB224_185:                            ;   in Loop: Header=BB224_10 Depth=1
	s_or_b32 exec_lo, exec_lo, s41
.LBB224_186:                            ;   in Loop: Header=BB224_10 Depth=1
	s_or_b32 exec_lo, exec_lo, s4
	global_load_ushort v2, v[85:86], off offset:524
	v_mov_b32_e32 v125, 0
	v_mov_b32_e32 v123, 0
	;; [unrolled: 1-line block ×4, first 2 shown]
	s_waitcnt vmcnt(0)
	v_and_b32_e32 v1, 0xffff, v2
	v_cmp_ne_u16_sdwa s3, v2, v68 src0_sel:BYTE_0 src1_sel:DWORD
	s_and_saveexec_b32 s4, s3
	s_cbranch_execz .LBB224_194
; %bb.187:                              ;   in Loop: Header=BB224_10 Depth=1
	v_bfrev_b32_e32 v123, 1
	v_mov_b32_e32 v124, 0
	v_cmp_ne_u16_sdwa s3, v1, v91 src0_sel:BYTE_0 src1_sel:DWORD
	s_and_saveexec_b32 s41, s3
	s_cbranch_execz .LBB224_193
; %bb.188:                              ;   in Loop: Header=BB224_10 Depth=1
	v_mov_b32_e32 v123, 0x7f800001
	v_and_b32_e32 v3, 0x7f, v1
	v_mov_b32_e32 v124, 0
	s_mov_b32 s42, exec_lo
	v_cmpx_ne_u32_e32 0x7f, v3
	s_cbranch_execz .LBB224_192
; %bb.189:                              ;   in Loop: Header=BB224_10 Depth=1
	v_and_b32_e32 v67, 7, v1
	v_lshrrev_b32_e32 v2, 3, v3
	s_mov_b32 s43, exec_lo
	v_cmpx_gt_u32_e32 8, v3
; %bb.190:                              ;   in Loop: Header=BB224_10 Depth=1
	v_ffbh_u32_e32 v2, v67
	v_min_u32_e32 v2, 32, v2
	v_subrev_nc_u32_e32 v3, 28, v2
	v_sub_nc_u32_e32 v2, 29, v2
	v_lshlrev_b64 v[3:4], v3, v[67:68]
	v_and_b32_e32 v67, 7, v3
; %bb.191:                              ;   in Loop: Header=BB224_10 Depth=1
	s_or_b32 exec_lo, exec_lo, s43
	v_lshlrev_b32_e32 v3, 24, v1
	v_lshlrev_b32_e32 v4, 20, v67
	v_lshl_add_u32 v2, v2, 23, 0x3c000000
	v_and_b32_e32 v3, 0x80000000, v3
	v_or3_b32 v67, v4, v3, v2
	v_mov_b32_e32 v124, v68
	v_mov_b32_e32 v123, v67
.LBB224_192:                            ;   in Loop: Header=BB224_10 Depth=1
	s_or_b32 exec_lo, exec_lo, s42
.LBB224_193:                            ;   in Loop: Header=BB224_10 Depth=1
	s_or_b32 exec_lo, exec_lo, s41
.LBB224_194:                            ;   in Loop: Header=BB224_10 Depth=1
	s_or_b32 exec_lo, exec_lo, s4
	v_cmp_ne_u16_sdwa s3, v1, v68 src0_sel:BYTE_1 src1_sel:DWORD
	s_and_saveexec_b32 s4, s3
	s_cbranch_execz .LBB224_202
; %bb.195:                              ;   in Loop: Header=BB224_10 Depth=1
	v_mov_b32_e32 v83, v68
	v_mov_b32_e32 v126, v84
	v_cmp_ne_u16_sdwa s3, v1, v91 src0_sel:BYTE_1 src1_sel:DWORD
	v_mov_b32_e32 v125, v83
	s_and_saveexec_b32 s41, s3
	s_cbranch_execz .LBB224_201
; %bb.196:                              ;   in Loop: Header=BB224_10 Depth=1
	v_mov_b32_e32 v2, 0xffff
	v_mov_b32_e32 v81, v68
	;; [unrolled: 1-line block ×3, first 2 shown]
	s_mov_b32 s42, exec_lo
	v_and_b32_sdwa v2, v2, v1 dst_sel:DWORD dst_unused:UNUSED_PAD src0_sel:DWORD src1_sel:BYTE_1
	v_mov_b32_e32 v125, v81
	v_and_b32_e32 v3, 0x7f, v2
	v_cmpx_ne_u32_e32 0x7f, v3
	s_cbranch_execz .LBB224_200
; %bb.197:                              ;   in Loop: Header=BB224_10 Depth=1
	v_and_b32_e32 v67, 7, v2
	v_lshrrev_b32_e32 v2, 3, v3
	s_mov_b32 s43, exec_lo
	v_cmpx_gt_u32_e32 8, v3
; %bb.198:                              ;   in Loop: Header=BB224_10 Depth=1
	v_ffbh_u32_e32 v2, v67
	v_min_u32_e32 v2, 32, v2
	v_subrev_nc_u32_e32 v3, 28, v2
	v_sub_nc_u32_e32 v2, 29, v2
	v_lshlrev_b64 v[3:4], v3, v[67:68]
	v_and_b32_e32 v67, 7, v3
; %bb.199:                              ;   in Loop: Header=BB224_10 Depth=1
	s_or_b32 exec_lo, exec_lo, s43
	v_lshlrev_b32_e32 v1, 16, v1
	v_lshlrev_b32_e32 v3, 20, v67
	v_lshl_add_u32 v2, v2, 23, 0x3c000000
	v_mov_b32_e32 v125, v68
	v_and_b32_e32 v1, 0x80000000, v1
	v_or3_b32 v126, v3, v1, v2
.LBB224_200:                            ;   in Loop: Header=BB224_10 Depth=1
	s_or_b32 exec_lo, exec_lo, s42
.LBB224_201:                            ;   in Loop: Header=BB224_10 Depth=1
	s_or_b32 exec_lo, exec_lo, s41
.LBB224_202:                            ;   in Loop: Header=BB224_10 Depth=1
	s_or_b32 exec_lo, exec_lo, s4
	global_load_ushort v1, v[85:86], off offset:768
	v_mov_b32_e32 v69, 0
	v_mov_b32_e32 v70, 0
	s_waitcnt vmcnt(0)
	v_and_b32_e32 v3, 0xffff, v1
	v_cmp_ne_u16_sdwa s3, v1, v68 src0_sel:BYTE_0 src1_sel:DWORD
	v_mov_b32_e32 v1, 0
	v_mov_b32_e32 v2, 0
	s_and_saveexec_b32 s4, s3
	s_cbranch_execz .LBB224_210
; %bb.203:                              ;   in Loop: Header=BB224_10 Depth=1
	v_bfrev_b32_e32 v69, 1
	v_mov_b32_e32 v70, 0
	v_cmp_ne_u16_sdwa s3, v3, v91 src0_sel:BYTE_0 src1_sel:DWORD
	s_and_saveexec_b32 s41, s3
	s_cbranch_execz .LBB224_209
; %bb.204:                              ;   in Loop: Header=BB224_10 Depth=1
	v_mov_b32_e32 v69, 0x7f800001
	v_and_b32_e32 v5, 0x7f, v3
	v_mov_b32_e32 v70, 0
	s_mov_b32 s42, exec_lo
	v_cmpx_ne_u32_e32 0x7f, v5
	s_cbranch_execz .LBB224_208
; %bb.205:                              ;   in Loop: Header=BB224_10 Depth=1
	v_and_b32_e32 v67, 7, v3
	v_lshrrev_b32_e32 v4, 3, v5
	s_mov_b32 s43, exec_lo
	v_cmpx_gt_u32_e32 8, v5
; %bb.206:                              ;   in Loop: Header=BB224_10 Depth=1
	v_ffbh_u32_e32 v4, v67
	v_min_u32_e32 v4, 32, v4
	v_subrev_nc_u32_e32 v5, 28, v4
	v_sub_nc_u32_e32 v4, 29, v4
	v_lshlrev_b64 v[5:6], v5, v[67:68]
	v_and_b32_e32 v67, 7, v5
; %bb.207:                              ;   in Loop: Header=BB224_10 Depth=1
	s_or_b32 exec_lo, exec_lo, s43
	v_lshlrev_b32_e32 v5, 24, v3
	v_lshlrev_b32_e32 v6, 20, v67
	v_lshl_add_u32 v4, v4, 23, 0x3c000000
	v_and_b32_e32 v5, 0x80000000, v5
	v_or3_b32 v67, v6, v5, v4
	v_mov_b32_e32 v70, v68
	v_mov_b32_e32 v69, v67
.LBB224_208:                            ;   in Loop: Header=BB224_10 Depth=1
	s_or_b32 exec_lo, exec_lo, s42
.LBB224_209:                            ;   in Loop: Header=BB224_10 Depth=1
	s_or_b32 exec_lo, exec_lo, s41
.LBB224_210:                            ;   in Loop: Header=BB224_10 Depth=1
	s_or_b32 exec_lo, exec_lo, s4
	v_cmp_ne_u16_sdwa s3, v3, v68 src0_sel:BYTE_1 src1_sel:DWORD
	s_and_saveexec_b32 s4, s3
	s_cbranch_execz .LBB224_218
; %bb.211:                              ;   in Loop: Header=BB224_10 Depth=1
	v_mov_b32_e32 v83, v68
	v_cmp_ne_u16_sdwa s3, v3, v91 src0_sel:BYTE_1 src1_sel:DWORD
	v_mov_b32_e32 v1, v83
	v_mov_b32_e32 v2, v84
	s_and_saveexec_b32 s41, s3
	s_cbranch_execz .LBB224_217
; %bb.212:                              ;   in Loop: Header=BB224_10 Depth=1
	v_mov_b32_e32 v1, 0xffff
	v_mov_b32_e32 v81, v68
	s_mov_b32 s42, exec_lo
	v_and_b32_sdwa v5, v1, v3 dst_sel:DWORD dst_unused:UNUSED_PAD src0_sel:DWORD src1_sel:BYTE_1
	v_mov_b32_e32 v1, v81
	v_mov_b32_e32 v2, v82
	v_and_b32_e32 v4, 0x7f, v5
	v_cmpx_ne_u32_e32 0x7f, v4
	s_cbranch_execz .LBB224_216
; %bb.213:                              ;   in Loop: Header=BB224_10 Depth=1
	v_and_b32_e32 v67, 7, v5
	v_lshrrev_b32_e32 v1, 3, v4
	s_mov_b32 s43, exec_lo
	v_cmpx_gt_u32_e32 8, v4
; %bb.214:                              ;   in Loop: Header=BB224_10 Depth=1
	v_ffbh_u32_e32 v1, v67
	v_min_u32_e32 v1, 32, v1
	v_subrev_nc_u32_e32 v2, 28, v1
	v_sub_nc_u32_e32 v1, 29, v1
	v_lshlrev_b64 v[4:5], v2, v[67:68]
	v_and_b32_e32 v67, 7, v4
; %bb.215:                              ;   in Loop: Header=BB224_10 Depth=1
	s_or_b32 exec_lo, exec_lo, s43
	v_lshlrev_b32_e32 v2, 16, v3
	v_lshlrev_b32_e32 v3, 20, v67
	v_lshl_add_u32 v1, v1, 23, 0x3c000000
	v_and_b32_e32 v2, 0x80000000, v2
	v_or3_b32 v2, v3, v2, v1
	v_mov_b32_e32 v1, v68
.LBB224_216:                            ;   in Loop: Header=BB224_10 Depth=1
	s_or_b32 exec_lo, exec_lo, s42
.LBB224_217:                            ;   in Loop: Header=BB224_10 Depth=1
	s_or_b32 exec_lo, exec_lo, s41
.LBB224_218:                            ;   in Loop: Header=BB224_10 Depth=1
	s_or_b32 exec_lo, exec_lo, s4
	global_load_ushort v3, v[85:86], off offset:772
	v_mov_b32_e32 v5, 0
	v_mov_b32_e32 v6, 0
	s_waitcnt vmcnt(0)
	v_and_b32_e32 v7, 0xffff, v3
	v_cmp_ne_u16_sdwa s3, v3, v68 src0_sel:BYTE_0 src1_sel:DWORD
	v_mov_b32_e32 v3, 0
	v_mov_b32_e32 v4, 0
	s_and_saveexec_b32 s4, s3
	s_cbranch_execz .LBB224_226
; %bb.219:                              ;   in Loop: Header=BB224_10 Depth=1
	v_bfrev_b32_e32 v3, 1
	v_mov_b32_e32 v4, 0
	v_cmp_ne_u16_sdwa s3, v7, v91 src0_sel:BYTE_0 src1_sel:DWORD
	s_and_saveexec_b32 s41, s3
	s_cbranch_execz .LBB224_225
; %bb.220:                              ;   in Loop: Header=BB224_10 Depth=1
	v_mov_b32_e32 v3, 0x7f800001
	v_and_b32_e32 v8, 0x7f, v7
	v_mov_b32_e32 v4, 0
	s_mov_b32 s42, exec_lo
	v_cmpx_ne_u32_e32 0x7f, v8
	s_cbranch_execz .LBB224_224
; %bb.221:                              ;   in Loop: Header=BB224_10 Depth=1
	v_and_b32_e32 v67, 7, v7
	v_lshrrev_b32_e32 v3, 3, v8
	s_mov_b32 s43, exec_lo
	v_cmpx_gt_u32_e32 8, v8
; %bb.222:                              ;   in Loop: Header=BB224_10 Depth=1
	v_ffbh_u32_e32 v3, v67
	v_min_u32_e32 v3, 32, v3
	v_subrev_nc_u32_e32 v4, 28, v3
	v_sub_nc_u32_e32 v3, 29, v3
	v_lshlrev_b64 v[8:9], v4, v[67:68]
	v_and_b32_e32 v67, 7, v8
; %bb.223:                              ;   in Loop: Header=BB224_10 Depth=1
	s_or_b32 exec_lo, exec_lo, s43
	v_lshlrev_b32_e32 v4, 24, v7
	v_lshlrev_b32_e32 v8, 20, v67
	v_lshl_add_u32 v3, v3, 23, 0x3c000000
	v_and_b32_e32 v4, 0x80000000, v4
	v_or3_b32 v67, v8, v4, v3
	v_mov_b32_e32 v3, v67
	v_mov_b32_e32 v4, v68
.LBB224_224:                            ;   in Loop: Header=BB224_10 Depth=1
	s_or_b32 exec_lo, exec_lo, s42
.LBB224_225:                            ;   in Loop: Header=BB224_10 Depth=1
	s_or_b32 exec_lo, exec_lo, s41
.LBB224_226:                            ;   in Loop: Header=BB224_10 Depth=1
	s_or_b32 exec_lo, exec_lo, s4
	v_cmp_ne_u16_sdwa s3, v7, v68 src0_sel:BYTE_1 src1_sel:DWORD
	s_and_saveexec_b32 s4, s3
	s_cbranch_execz .LBB224_234
; %bb.227:                              ;   in Loop: Header=BB224_10 Depth=1
	v_mov_b32_e32 v83, v68
	v_cmp_ne_u16_sdwa s3, v7, v91 src0_sel:BYTE_1 src1_sel:DWORD
	v_mov_b32_e32 v5, v83
	v_mov_b32_e32 v6, v84
	s_and_saveexec_b32 s41, s3
	s_cbranch_execz .LBB224_233
; %bb.228:                              ;   in Loop: Header=BB224_10 Depth=1
	v_mov_b32_e32 v5, 0xffff
	v_mov_b32_e32 v81, v68
	s_mov_b32 s42, exec_lo
	v_and_b32_sdwa v9, v5, v7 dst_sel:DWORD dst_unused:UNUSED_PAD src0_sel:DWORD src1_sel:BYTE_1
	v_mov_b32_e32 v5, v81
	v_mov_b32_e32 v6, v82
	v_and_b32_e32 v8, 0x7f, v9
	v_cmpx_ne_u32_e32 0x7f, v8
	s_cbranch_execz .LBB224_232
; %bb.229:                              ;   in Loop: Header=BB224_10 Depth=1
	v_and_b32_e32 v67, 7, v9
	v_lshrrev_b32_e32 v5, 3, v8
	s_mov_b32 s43, exec_lo
	v_cmpx_gt_u32_e32 8, v8
; %bb.230:                              ;   in Loop: Header=BB224_10 Depth=1
	v_ffbh_u32_e32 v5, v67
	v_min_u32_e32 v5, 32, v5
	v_subrev_nc_u32_e32 v6, 28, v5
	v_sub_nc_u32_e32 v5, 29, v5
	v_lshlrev_b64 v[8:9], v6, v[67:68]
	v_and_b32_e32 v67, 7, v8
; %bb.231:                              ;   in Loop: Header=BB224_10 Depth=1
	s_or_b32 exec_lo, exec_lo, s43
	v_lshlrev_b32_e32 v6, 16, v7
	v_lshlrev_b32_e32 v7, 20, v67
	v_lshl_add_u32 v5, v5, 23, 0x3c000000
	v_and_b32_e32 v6, 0x80000000, v6
	v_or3_b32 v6, v7, v6, v5
	v_mov_b32_e32 v5, v68
.LBB224_232:                            ;   in Loop: Header=BB224_10 Depth=1
	s_or_b32 exec_lo, exec_lo, s42
.LBB224_233:                            ;   in Loop: Header=BB224_10 Depth=1
	s_or_b32 exec_lo, exec_lo, s41
.LBB224_234:                            ;   in Loop: Header=BB224_10 Depth=1
	s_or_b32 exec_lo, exec_lo, s4
	global_load_ushort v7, v[85:86], off offset:776
	v_mov_b32_e32 v9, 0
	v_mov_b32_e32 v10, 0
	s_waitcnt vmcnt(0)
	v_and_b32_e32 v11, 0xffff, v7
	v_cmp_ne_u16_sdwa s3, v7, v68 src0_sel:BYTE_0 src1_sel:DWORD
	v_mov_b32_e32 v7, 0
	v_mov_b32_e32 v8, 0
	s_and_saveexec_b32 s4, s3
	s_cbranch_execz .LBB224_242
; %bb.235:                              ;   in Loop: Header=BB224_10 Depth=1
	v_bfrev_b32_e32 v7, 1
	v_mov_b32_e32 v8, 0
	v_cmp_ne_u16_sdwa s3, v11, v91 src0_sel:BYTE_0 src1_sel:DWORD
	s_and_saveexec_b32 s41, s3
	s_cbranch_execz .LBB224_241
; %bb.236:                              ;   in Loop: Header=BB224_10 Depth=1
	v_mov_b32_e32 v7, 0x7f800001
	v_and_b32_e32 v12, 0x7f, v11
	v_mov_b32_e32 v8, 0
	s_mov_b32 s42, exec_lo
	v_cmpx_ne_u32_e32 0x7f, v12
	s_cbranch_execz .LBB224_240
; %bb.237:                              ;   in Loop: Header=BB224_10 Depth=1
	v_and_b32_e32 v67, 7, v11
	v_lshrrev_b32_e32 v7, 3, v12
	s_mov_b32 s43, exec_lo
	v_cmpx_gt_u32_e32 8, v12
; %bb.238:                              ;   in Loop: Header=BB224_10 Depth=1
	v_ffbh_u32_e32 v7, v67
	v_min_u32_e32 v7, 32, v7
	v_subrev_nc_u32_e32 v8, 28, v7
	v_sub_nc_u32_e32 v7, 29, v7
	v_lshlrev_b64 v[12:13], v8, v[67:68]
	v_and_b32_e32 v67, 7, v12
; %bb.239:                              ;   in Loop: Header=BB224_10 Depth=1
	s_or_b32 exec_lo, exec_lo, s43
	v_lshlrev_b32_e32 v8, 24, v11
	v_lshlrev_b32_e32 v12, 20, v67
	v_lshl_add_u32 v7, v7, 23, 0x3c000000
	v_and_b32_e32 v8, 0x80000000, v8
	v_or3_b32 v67, v12, v8, v7
	v_mov_b32_e32 v7, v67
	v_mov_b32_e32 v8, v68
.LBB224_240:                            ;   in Loop: Header=BB224_10 Depth=1
	s_or_b32 exec_lo, exec_lo, s42
.LBB224_241:                            ;   in Loop: Header=BB224_10 Depth=1
	s_or_b32 exec_lo, exec_lo, s41
.LBB224_242:                            ;   in Loop: Header=BB224_10 Depth=1
	s_or_b32 exec_lo, exec_lo, s4
	v_cmp_ne_u16_sdwa s3, v11, v68 src0_sel:BYTE_1 src1_sel:DWORD
	s_and_saveexec_b32 s4, s3
	s_cbranch_execz .LBB224_250
; %bb.243:                              ;   in Loop: Header=BB224_10 Depth=1
	v_mov_b32_e32 v83, v68
	v_cmp_ne_u16_sdwa s3, v11, v91 src0_sel:BYTE_1 src1_sel:DWORD
	v_mov_b32_e32 v9, v83
	v_mov_b32_e32 v10, v84
	s_and_saveexec_b32 s41, s3
	s_cbranch_execz .LBB224_249
; %bb.244:                              ;   in Loop: Header=BB224_10 Depth=1
	v_mov_b32_e32 v9, 0xffff
	v_mov_b32_e32 v81, v68
	s_mov_b32 s42, exec_lo
	v_and_b32_sdwa v13, v9, v11 dst_sel:DWORD dst_unused:UNUSED_PAD src0_sel:DWORD src1_sel:BYTE_1
	v_mov_b32_e32 v9, v81
	v_mov_b32_e32 v10, v82
	v_and_b32_e32 v12, 0x7f, v13
	v_cmpx_ne_u32_e32 0x7f, v12
	s_cbranch_execz .LBB224_248
; %bb.245:                              ;   in Loop: Header=BB224_10 Depth=1
	v_and_b32_e32 v67, 7, v13
	v_lshrrev_b32_e32 v9, 3, v12
	s_mov_b32 s43, exec_lo
	v_cmpx_gt_u32_e32 8, v12
; %bb.246:                              ;   in Loop: Header=BB224_10 Depth=1
	v_ffbh_u32_e32 v9, v67
	v_min_u32_e32 v9, 32, v9
	v_subrev_nc_u32_e32 v10, 28, v9
	v_sub_nc_u32_e32 v9, 29, v9
	v_lshlrev_b64 v[12:13], v10, v[67:68]
	v_and_b32_e32 v67, 7, v12
; %bb.247:                              ;   in Loop: Header=BB224_10 Depth=1
	s_or_b32 exec_lo, exec_lo, s43
	v_lshlrev_b32_e32 v10, 16, v11
	v_lshlrev_b32_e32 v11, 20, v67
	v_lshl_add_u32 v9, v9, 23, 0x3c000000
	v_and_b32_e32 v10, 0x80000000, v10
	v_or3_b32 v10, v11, v10, v9
	v_mov_b32_e32 v9, v68
.LBB224_248:                            ;   in Loop: Header=BB224_10 Depth=1
	s_or_b32 exec_lo, exec_lo, s42
.LBB224_249:                            ;   in Loop: Header=BB224_10 Depth=1
	s_or_b32 exec_lo, exec_lo, s41
.LBB224_250:                            ;   in Loop: Header=BB224_10 Depth=1
	s_or_b32 exec_lo, exec_lo, s4
	global_load_ushort v11, v[85:86], off offset:780
	v_mov_b32_e32 v13, 0
	v_mov_b32_e32 v14, 0
	s_waitcnt vmcnt(0)
	v_and_b32_e32 v15, 0xffff, v11
	v_cmp_ne_u16_sdwa s3, v11, v68 src0_sel:BYTE_0 src1_sel:DWORD
	v_mov_b32_e32 v11, 0
	v_mov_b32_e32 v12, 0
	s_and_saveexec_b32 s4, s3
	s_cbranch_execz .LBB224_258
; %bb.251:                              ;   in Loop: Header=BB224_10 Depth=1
	v_bfrev_b32_e32 v11, 1
	v_mov_b32_e32 v12, 0
	v_cmp_ne_u16_sdwa s3, v15, v91 src0_sel:BYTE_0 src1_sel:DWORD
	s_and_saveexec_b32 s41, s3
	s_cbranch_execz .LBB224_257
; %bb.252:                              ;   in Loop: Header=BB224_10 Depth=1
	v_mov_b32_e32 v11, 0x7f800001
	v_and_b32_e32 v16, 0x7f, v15
	v_mov_b32_e32 v12, 0
	s_mov_b32 s42, exec_lo
	v_cmpx_ne_u32_e32 0x7f, v16
	s_cbranch_execz .LBB224_256
; %bb.253:                              ;   in Loop: Header=BB224_10 Depth=1
	v_and_b32_e32 v67, 7, v15
	v_lshrrev_b32_e32 v11, 3, v16
	s_mov_b32 s43, exec_lo
	v_cmpx_gt_u32_e32 8, v16
; %bb.254:                              ;   in Loop: Header=BB224_10 Depth=1
	v_ffbh_u32_e32 v11, v67
	v_min_u32_e32 v11, 32, v11
	v_subrev_nc_u32_e32 v12, 28, v11
	v_sub_nc_u32_e32 v11, 29, v11
	v_lshlrev_b64 v[16:17], v12, v[67:68]
	v_and_b32_e32 v67, 7, v16
; %bb.255:                              ;   in Loop: Header=BB224_10 Depth=1
	s_or_b32 exec_lo, exec_lo, s43
	v_lshlrev_b32_e32 v12, 24, v15
	v_lshlrev_b32_e32 v16, 20, v67
	v_lshl_add_u32 v11, v11, 23, 0x3c000000
	v_and_b32_e32 v12, 0x80000000, v12
	v_or3_b32 v67, v16, v12, v11
	v_mov_b32_e32 v11, v67
	v_mov_b32_e32 v12, v68
.LBB224_256:                            ;   in Loop: Header=BB224_10 Depth=1
	s_or_b32 exec_lo, exec_lo, s42
.LBB224_257:                            ;   in Loop: Header=BB224_10 Depth=1
	s_or_b32 exec_lo, exec_lo, s41
.LBB224_258:                            ;   in Loop: Header=BB224_10 Depth=1
	s_or_b32 exec_lo, exec_lo, s4
	v_cmp_ne_u16_sdwa s3, v15, v68 src0_sel:BYTE_1 src1_sel:DWORD
	s_and_saveexec_b32 s4, s3
	s_cbranch_execz .LBB224_266
; %bb.259:                              ;   in Loop: Header=BB224_10 Depth=1
	v_mov_b32_e32 v83, v68
	v_cmp_ne_u16_sdwa s3, v15, v91 src0_sel:BYTE_1 src1_sel:DWORD
	v_mov_b32_e32 v13, v83
	v_mov_b32_e32 v14, v84
	s_and_saveexec_b32 s41, s3
	s_cbranch_execz .LBB224_265
; %bb.260:                              ;   in Loop: Header=BB224_10 Depth=1
	v_mov_b32_e32 v13, 0xffff
	v_mov_b32_e32 v81, v68
	s_mov_b32 s42, exec_lo
	v_and_b32_sdwa v17, v13, v15 dst_sel:DWORD dst_unused:UNUSED_PAD src0_sel:DWORD src1_sel:BYTE_1
	v_mov_b32_e32 v13, v81
	v_mov_b32_e32 v14, v82
	v_and_b32_e32 v16, 0x7f, v17
	v_cmpx_ne_u32_e32 0x7f, v16
	s_cbranch_execz .LBB224_264
; %bb.261:                              ;   in Loop: Header=BB224_10 Depth=1
	v_and_b32_e32 v67, 7, v17
	v_lshrrev_b32_e32 v13, 3, v16
	s_mov_b32 s43, exec_lo
	v_cmpx_gt_u32_e32 8, v16
; %bb.262:                              ;   in Loop: Header=BB224_10 Depth=1
	v_ffbh_u32_e32 v13, v67
	v_min_u32_e32 v13, 32, v13
	v_subrev_nc_u32_e32 v14, 28, v13
	v_sub_nc_u32_e32 v13, 29, v13
	v_lshlrev_b64 v[16:17], v14, v[67:68]
	v_and_b32_e32 v67, 7, v16
; %bb.263:                              ;   in Loop: Header=BB224_10 Depth=1
	s_or_b32 exec_lo, exec_lo, s43
	v_lshlrev_b32_e32 v14, 16, v15
	v_lshlrev_b32_e32 v15, 20, v67
	v_lshl_add_u32 v13, v13, 23, 0x3c000000
	v_and_b32_e32 v14, 0x80000000, v14
	v_or3_b32 v14, v15, v14, v13
	v_mov_b32_e32 v13, v68
.LBB224_264:                            ;   in Loop: Header=BB224_10 Depth=1
	s_or_b32 exec_lo, exec_lo, s42
.LBB224_265:                            ;   in Loop: Header=BB224_10 Depth=1
	s_or_b32 exec_lo, exec_lo, s41
.LBB224_266:                            ;   in Loop: Header=BB224_10 Depth=1
	s_or_b32 exec_lo, exec_lo, s4
	global_load_ushort v15, v[85:86], off offset:1024
	v_mov_b32_e32 v17, 0
	v_mov_b32_e32 v18, 0
	s_waitcnt vmcnt(0)
	v_and_b32_e32 v19, 0xffff, v15
	v_cmp_ne_u16_sdwa s3, v15, v68 src0_sel:BYTE_0 src1_sel:DWORD
	v_mov_b32_e32 v15, 0
	v_mov_b32_e32 v16, 0
	s_and_saveexec_b32 s4, s3
	s_cbranch_execz .LBB224_274
; %bb.267:                              ;   in Loop: Header=BB224_10 Depth=1
	v_bfrev_b32_e32 v15, 1
	v_mov_b32_e32 v16, 0
	v_cmp_ne_u16_sdwa s3, v19, v91 src0_sel:BYTE_0 src1_sel:DWORD
	s_and_saveexec_b32 s41, s3
	s_cbranch_execz .LBB224_273
; %bb.268:                              ;   in Loop: Header=BB224_10 Depth=1
	v_mov_b32_e32 v15, 0x7f800001
	v_and_b32_e32 v20, 0x7f, v19
	v_mov_b32_e32 v16, 0
	s_mov_b32 s42, exec_lo
	v_cmpx_ne_u32_e32 0x7f, v20
	s_cbranch_execz .LBB224_272
; %bb.269:                              ;   in Loop: Header=BB224_10 Depth=1
	v_and_b32_e32 v67, 7, v19
	v_lshrrev_b32_e32 v15, 3, v20
	s_mov_b32 s43, exec_lo
	v_cmpx_gt_u32_e32 8, v20
; %bb.270:                              ;   in Loop: Header=BB224_10 Depth=1
	v_ffbh_u32_e32 v15, v67
	v_min_u32_e32 v15, 32, v15
	v_subrev_nc_u32_e32 v16, 28, v15
	v_sub_nc_u32_e32 v15, 29, v15
	v_lshlrev_b64 v[20:21], v16, v[67:68]
	v_and_b32_e32 v67, 7, v20
; %bb.271:                              ;   in Loop: Header=BB224_10 Depth=1
	s_or_b32 exec_lo, exec_lo, s43
	v_lshlrev_b32_e32 v16, 24, v19
	v_lshlrev_b32_e32 v20, 20, v67
	v_lshl_add_u32 v15, v15, 23, 0x3c000000
	v_and_b32_e32 v16, 0x80000000, v16
	v_or3_b32 v67, v20, v16, v15
	v_mov_b32_e32 v15, v67
	v_mov_b32_e32 v16, v68
.LBB224_272:                            ;   in Loop: Header=BB224_10 Depth=1
	s_or_b32 exec_lo, exec_lo, s42
.LBB224_273:                            ;   in Loop: Header=BB224_10 Depth=1
	s_or_b32 exec_lo, exec_lo, s41
.LBB224_274:                            ;   in Loop: Header=BB224_10 Depth=1
	s_or_b32 exec_lo, exec_lo, s4
	v_cmp_ne_u16_sdwa s3, v19, v68 src0_sel:BYTE_1 src1_sel:DWORD
	s_and_saveexec_b32 s4, s3
	s_cbranch_execz .LBB224_282
; %bb.275:                              ;   in Loop: Header=BB224_10 Depth=1
	v_mov_b32_e32 v83, v68
	v_cmp_ne_u16_sdwa s3, v19, v91 src0_sel:BYTE_1 src1_sel:DWORD
	v_mov_b32_e32 v17, v83
	v_mov_b32_e32 v18, v84
	s_and_saveexec_b32 s41, s3
	s_cbranch_execz .LBB224_281
; %bb.276:                              ;   in Loop: Header=BB224_10 Depth=1
	v_mov_b32_e32 v17, 0xffff
	v_mov_b32_e32 v81, v68
	s_mov_b32 s42, exec_lo
	v_and_b32_sdwa v21, v17, v19 dst_sel:DWORD dst_unused:UNUSED_PAD src0_sel:DWORD src1_sel:BYTE_1
	v_mov_b32_e32 v17, v81
	v_mov_b32_e32 v18, v82
	v_and_b32_e32 v20, 0x7f, v21
	v_cmpx_ne_u32_e32 0x7f, v20
	s_cbranch_execz .LBB224_280
; %bb.277:                              ;   in Loop: Header=BB224_10 Depth=1
	v_and_b32_e32 v67, 7, v21
	v_lshrrev_b32_e32 v17, 3, v20
	s_mov_b32 s43, exec_lo
	v_cmpx_gt_u32_e32 8, v20
; %bb.278:                              ;   in Loop: Header=BB224_10 Depth=1
	v_ffbh_u32_e32 v17, v67
	v_min_u32_e32 v17, 32, v17
	v_subrev_nc_u32_e32 v18, 28, v17
	v_sub_nc_u32_e32 v17, 29, v17
	v_lshlrev_b64 v[20:21], v18, v[67:68]
	v_and_b32_e32 v67, 7, v20
; %bb.279:                              ;   in Loop: Header=BB224_10 Depth=1
	s_or_b32 exec_lo, exec_lo, s43
	v_lshlrev_b32_e32 v18, 16, v19
	v_lshlrev_b32_e32 v19, 20, v67
	v_lshl_add_u32 v17, v17, 23, 0x3c000000
	v_and_b32_e32 v18, 0x80000000, v18
	v_or3_b32 v18, v19, v18, v17
	v_mov_b32_e32 v17, v68
.LBB224_280:                            ;   in Loop: Header=BB224_10 Depth=1
	s_or_b32 exec_lo, exec_lo, s42
.LBB224_281:                            ;   in Loop: Header=BB224_10 Depth=1
	s_or_b32 exec_lo, exec_lo, s41
.LBB224_282:                            ;   in Loop: Header=BB224_10 Depth=1
	s_or_b32 exec_lo, exec_lo, s4
	global_load_ushort v19, v[85:86], off offset:1028
	v_mov_b32_e32 v21, 0
	v_mov_b32_e32 v22, 0
	s_waitcnt vmcnt(0)
	v_and_b32_e32 v23, 0xffff, v19
	v_cmp_ne_u16_sdwa s3, v19, v68 src0_sel:BYTE_0 src1_sel:DWORD
	v_mov_b32_e32 v19, 0
	v_mov_b32_e32 v20, 0
	s_and_saveexec_b32 s4, s3
	s_cbranch_execz .LBB224_290
; %bb.283:                              ;   in Loop: Header=BB224_10 Depth=1
	v_bfrev_b32_e32 v19, 1
	v_mov_b32_e32 v20, 0
	v_cmp_ne_u16_sdwa s3, v23, v91 src0_sel:BYTE_0 src1_sel:DWORD
	s_and_saveexec_b32 s41, s3
	s_cbranch_execz .LBB224_289
; %bb.284:                              ;   in Loop: Header=BB224_10 Depth=1
	v_mov_b32_e32 v19, 0x7f800001
	v_and_b32_e32 v24, 0x7f, v23
	v_mov_b32_e32 v20, 0
	s_mov_b32 s42, exec_lo
	v_cmpx_ne_u32_e32 0x7f, v24
	s_cbranch_execz .LBB224_288
; %bb.285:                              ;   in Loop: Header=BB224_10 Depth=1
	v_and_b32_e32 v67, 7, v23
	v_lshrrev_b32_e32 v19, 3, v24
	s_mov_b32 s43, exec_lo
	v_cmpx_gt_u32_e32 8, v24
; %bb.286:                              ;   in Loop: Header=BB224_10 Depth=1
	v_ffbh_u32_e32 v19, v67
	v_min_u32_e32 v19, 32, v19
	v_subrev_nc_u32_e32 v20, 28, v19
	v_sub_nc_u32_e32 v19, 29, v19
	v_lshlrev_b64 v[24:25], v20, v[67:68]
	v_and_b32_e32 v67, 7, v24
; %bb.287:                              ;   in Loop: Header=BB224_10 Depth=1
	s_or_b32 exec_lo, exec_lo, s43
	v_lshlrev_b32_e32 v20, 24, v23
	v_lshlrev_b32_e32 v24, 20, v67
	v_lshl_add_u32 v19, v19, 23, 0x3c000000
	v_and_b32_e32 v20, 0x80000000, v20
	v_or3_b32 v67, v24, v20, v19
	v_mov_b32_e32 v19, v67
	v_mov_b32_e32 v20, v68
.LBB224_288:                            ;   in Loop: Header=BB224_10 Depth=1
	s_or_b32 exec_lo, exec_lo, s42
.LBB224_289:                            ;   in Loop: Header=BB224_10 Depth=1
	s_or_b32 exec_lo, exec_lo, s41
.LBB224_290:                            ;   in Loop: Header=BB224_10 Depth=1
	s_or_b32 exec_lo, exec_lo, s4
	v_cmp_ne_u16_sdwa s3, v23, v68 src0_sel:BYTE_1 src1_sel:DWORD
	s_and_saveexec_b32 s4, s3
	s_cbranch_execz .LBB224_298
; %bb.291:                              ;   in Loop: Header=BB224_10 Depth=1
	v_mov_b32_e32 v83, v68
	v_cmp_ne_u16_sdwa s3, v23, v91 src0_sel:BYTE_1 src1_sel:DWORD
	v_mov_b32_e32 v21, v83
	v_mov_b32_e32 v22, v84
	s_and_saveexec_b32 s41, s3
	s_cbranch_execz .LBB224_297
; %bb.292:                              ;   in Loop: Header=BB224_10 Depth=1
	v_mov_b32_e32 v21, 0xffff
	v_mov_b32_e32 v81, v68
	s_mov_b32 s42, exec_lo
	v_and_b32_sdwa v25, v21, v23 dst_sel:DWORD dst_unused:UNUSED_PAD src0_sel:DWORD src1_sel:BYTE_1
	v_mov_b32_e32 v21, v81
	v_mov_b32_e32 v22, v82
	v_and_b32_e32 v24, 0x7f, v25
	v_cmpx_ne_u32_e32 0x7f, v24
	s_cbranch_execz .LBB224_296
; %bb.293:                              ;   in Loop: Header=BB224_10 Depth=1
	v_and_b32_e32 v67, 7, v25
	v_lshrrev_b32_e32 v21, 3, v24
	s_mov_b32 s43, exec_lo
	v_cmpx_gt_u32_e32 8, v24
; %bb.294:                              ;   in Loop: Header=BB224_10 Depth=1
	v_ffbh_u32_e32 v21, v67
	v_min_u32_e32 v21, 32, v21
	v_subrev_nc_u32_e32 v22, 28, v21
	v_sub_nc_u32_e32 v21, 29, v21
	v_lshlrev_b64 v[24:25], v22, v[67:68]
	v_and_b32_e32 v67, 7, v24
; %bb.295:                              ;   in Loop: Header=BB224_10 Depth=1
	s_or_b32 exec_lo, exec_lo, s43
	v_lshlrev_b32_e32 v22, 16, v23
	v_lshlrev_b32_e32 v23, 20, v67
	v_lshl_add_u32 v21, v21, 23, 0x3c000000
	v_and_b32_e32 v22, 0x80000000, v22
	v_or3_b32 v22, v23, v22, v21
	v_mov_b32_e32 v21, v68
.LBB224_296:                            ;   in Loop: Header=BB224_10 Depth=1
	s_or_b32 exec_lo, exec_lo, s42
.LBB224_297:                            ;   in Loop: Header=BB224_10 Depth=1
	s_or_b32 exec_lo, exec_lo, s41
.LBB224_298:                            ;   in Loop: Header=BB224_10 Depth=1
	s_or_b32 exec_lo, exec_lo, s4
	global_load_ushort v23, v[85:86], off offset:1032
	v_mov_b32_e32 v25, 0
	v_mov_b32_e32 v26, 0
	s_waitcnt vmcnt(0)
	v_and_b32_e32 v27, 0xffff, v23
	v_cmp_ne_u16_sdwa s3, v23, v68 src0_sel:BYTE_0 src1_sel:DWORD
	v_mov_b32_e32 v23, 0
	v_mov_b32_e32 v24, 0
	s_and_saveexec_b32 s4, s3
	s_cbranch_execz .LBB224_306
; %bb.299:                              ;   in Loop: Header=BB224_10 Depth=1
	v_bfrev_b32_e32 v23, 1
	v_mov_b32_e32 v24, 0
	v_cmp_ne_u16_sdwa s3, v27, v91 src0_sel:BYTE_0 src1_sel:DWORD
	s_and_saveexec_b32 s41, s3
	s_cbranch_execz .LBB224_305
; %bb.300:                              ;   in Loop: Header=BB224_10 Depth=1
	v_mov_b32_e32 v23, 0x7f800001
	v_and_b32_e32 v28, 0x7f, v27
	v_mov_b32_e32 v24, 0
	s_mov_b32 s42, exec_lo
	v_cmpx_ne_u32_e32 0x7f, v28
	s_cbranch_execz .LBB224_304
; %bb.301:                              ;   in Loop: Header=BB224_10 Depth=1
	v_and_b32_e32 v67, 7, v27
	v_lshrrev_b32_e32 v23, 3, v28
	s_mov_b32 s43, exec_lo
	v_cmpx_gt_u32_e32 8, v28
; %bb.302:                              ;   in Loop: Header=BB224_10 Depth=1
	v_ffbh_u32_e32 v23, v67
	v_min_u32_e32 v23, 32, v23
	v_subrev_nc_u32_e32 v24, 28, v23
	v_sub_nc_u32_e32 v23, 29, v23
	v_lshlrev_b64 v[28:29], v24, v[67:68]
	v_and_b32_e32 v67, 7, v28
; %bb.303:                              ;   in Loop: Header=BB224_10 Depth=1
	s_or_b32 exec_lo, exec_lo, s43
	v_lshlrev_b32_e32 v24, 24, v27
	v_lshlrev_b32_e32 v28, 20, v67
	v_lshl_add_u32 v23, v23, 23, 0x3c000000
	v_and_b32_e32 v24, 0x80000000, v24
	v_or3_b32 v67, v28, v24, v23
	v_mov_b32_e32 v23, v67
	v_mov_b32_e32 v24, v68
.LBB224_304:                            ;   in Loop: Header=BB224_10 Depth=1
	s_or_b32 exec_lo, exec_lo, s42
.LBB224_305:                            ;   in Loop: Header=BB224_10 Depth=1
	s_or_b32 exec_lo, exec_lo, s41
.LBB224_306:                            ;   in Loop: Header=BB224_10 Depth=1
	s_or_b32 exec_lo, exec_lo, s4
	v_cmp_ne_u16_sdwa s3, v27, v68 src0_sel:BYTE_1 src1_sel:DWORD
	s_and_saveexec_b32 s4, s3
	s_cbranch_execz .LBB224_314
; %bb.307:                              ;   in Loop: Header=BB224_10 Depth=1
	v_mov_b32_e32 v83, v68
	v_cmp_ne_u16_sdwa s3, v27, v91 src0_sel:BYTE_1 src1_sel:DWORD
	v_mov_b32_e32 v25, v83
	v_mov_b32_e32 v26, v84
	s_and_saveexec_b32 s41, s3
	s_cbranch_execz .LBB224_313
; %bb.308:                              ;   in Loop: Header=BB224_10 Depth=1
	v_mov_b32_e32 v25, 0xffff
	v_mov_b32_e32 v81, v68
	s_mov_b32 s42, exec_lo
	v_and_b32_sdwa v29, v25, v27 dst_sel:DWORD dst_unused:UNUSED_PAD src0_sel:DWORD src1_sel:BYTE_1
	v_mov_b32_e32 v25, v81
	v_mov_b32_e32 v26, v82
	v_and_b32_e32 v28, 0x7f, v29
	v_cmpx_ne_u32_e32 0x7f, v28
	s_cbranch_execz .LBB224_312
; %bb.309:                              ;   in Loop: Header=BB224_10 Depth=1
	v_and_b32_e32 v67, 7, v29
	v_lshrrev_b32_e32 v25, 3, v28
	s_mov_b32 s43, exec_lo
	v_cmpx_gt_u32_e32 8, v28
; %bb.310:                              ;   in Loop: Header=BB224_10 Depth=1
	v_ffbh_u32_e32 v25, v67
	v_min_u32_e32 v25, 32, v25
	v_subrev_nc_u32_e32 v26, 28, v25
	v_sub_nc_u32_e32 v25, 29, v25
	v_lshlrev_b64 v[28:29], v26, v[67:68]
	v_and_b32_e32 v67, 7, v28
; %bb.311:                              ;   in Loop: Header=BB224_10 Depth=1
	s_or_b32 exec_lo, exec_lo, s43
	v_lshlrev_b32_e32 v26, 16, v27
	v_lshlrev_b32_e32 v27, 20, v67
	v_lshl_add_u32 v25, v25, 23, 0x3c000000
	v_and_b32_e32 v26, 0x80000000, v26
	v_or3_b32 v26, v27, v26, v25
	v_mov_b32_e32 v25, v68
.LBB224_312:                            ;   in Loop: Header=BB224_10 Depth=1
	s_or_b32 exec_lo, exec_lo, s42
.LBB224_313:                            ;   in Loop: Header=BB224_10 Depth=1
	s_or_b32 exec_lo, exec_lo, s41
.LBB224_314:                            ;   in Loop: Header=BB224_10 Depth=1
	s_or_b32 exec_lo, exec_lo, s4
	global_load_ushort v27, v[85:86], off offset:1036
	v_mov_b32_e32 v29, 0
	v_mov_b32_e32 v30, 0
	s_waitcnt vmcnt(0)
	v_and_b32_e32 v31, 0xffff, v27
	v_cmp_ne_u16_sdwa s3, v27, v68 src0_sel:BYTE_0 src1_sel:DWORD
	v_mov_b32_e32 v27, 0
	v_mov_b32_e32 v28, 0
	s_and_saveexec_b32 s4, s3
	s_cbranch_execz .LBB224_322
; %bb.315:                              ;   in Loop: Header=BB224_10 Depth=1
	v_bfrev_b32_e32 v27, 1
	v_mov_b32_e32 v28, 0
	v_cmp_ne_u16_sdwa s3, v31, v91 src0_sel:BYTE_0 src1_sel:DWORD
	s_and_saveexec_b32 s41, s3
	s_cbranch_execz .LBB224_321
; %bb.316:                              ;   in Loop: Header=BB224_10 Depth=1
	v_mov_b32_e32 v27, 0x7f800001
	v_and_b32_e32 v32, 0x7f, v31
	v_mov_b32_e32 v28, 0
	s_mov_b32 s42, exec_lo
	v_cmpx_ne_u32_e32 0x7f, v32
	s_cbranch_execz .LBB224_320
; %bb.317:                              ;   in Loop: Header=BB224_10 Depth=1
	v_and_b32_e32 v67, 7, v31
	v_lshrrev_b32_e32 v27, 3, v32
	s_mov_b32 s43, exec_lo
	v_cmpx_gt_u32_e32 8, v32
; %bb.318:                              ;   in Loop: Header=BB224_10 Depth=1
	v_ffbh_u32_e32 v27, v67
	v_min_u32_e32 v27, 32, v27
	v_subrev_nc_u32_e32 v28, 28, v27
	v_sub_nc_u32_e32 v27, 29, v27
	v_lshlrev_b64 v[32:33], v28, v[67:68]
	v_and_b32_e32 v67, 7, v32
; %bb.319:                              ;   in Loop: Header=BB224_10 Depth=1
	s_or_b32 exec_lo, exec_lo, s43
	v_lshlrev_b32_e32 v28, 24, v31
	v_lshlrev_b32_e32 v32, 20, v67
	v_lshl_add_u32 v27, v27, 23, 0x3c000000
	v_and_b32_e32 v28, 0x80000000, v28
	v_or3_b32 v67, v32, v28, v27
	v_mov_b32_e32 v27, v67
	v_mov_b32_e32 v28, v68
.LBB224_320:                            ;   in Loop: Header=BB224_10 Depth=1
	s_or_b32 exec_lo, exec_lo, s42
.LBB224_321:                            ;   in Loop: Header=BB224_10 Depth=1
	s_or_b32 exec_lo, exec_lo, s41
.LBB224_322:                            ;   in Loop: Header=BB224_10 Depth=1
	s_or_b32 exec_lo, exec_lo, s4
	v_cmp_ne_u16_sdwa s3, v31, v68 src0_sel:BYTE_1 src1_sel:DWORD
	s_and_saveexec_b32 s4, s3
	s_cbranch_execz .LBB224_330
; %bb.323:                              ;   in Loop: Header=BB224_10 Depth=1
	v_mov_b32_e32 v83, v68
	v_cmp_ne_u16_sdwa s3, v31, v91 src0_sel:BYTE_1 src1_sel:DWORD
	v_mov_b32_e32 v29, v83
	v_mov_b32_e32 v30, v84
	s_and_saveexec_b32 s41, s3
	s_cbranch_execz .LBB224_329
; %bb.324:                              ;   in Loop: Header=BB224_10 Depth=1
	v_mov_b32_e32 v29, 0xffff
	v_mov_b32_e32 v81, v68
	s_mov_b32 s42, exec_lo
	v_and_b32_sdwa v33, v29, v31 dst_sel:DWORD dst_unused:UNUSED_PAD src0_sel:DWORD src1_sel:BYTE_1
	v_mov_b32_e32 v29, v81
	v_mov_b32_e32 v30, v82
	v_and_b32_e32 v32, 0x7f, v33
	v_cmpx_ne_u32_e32 0x7f, v32
	s_cbranch_execz .LBB224_328
; %bb.325:                              ;   in Loop: Header=BB224_10 Depth=1
	v_and_b32_e32 v67, 7, v33
	v_lshrrev_b32_e32 v29, 3, v32
	s_mov_b32 s43, exec_lo
	v_cmpx_gt_u32_e32 8, v32
; %bb.326:                              ;   in Loop: Header=BB224_10 Depth=1
	v_ffbh_u32_e32 v29, v67
	v_min_u32_e32 v29, 32, v29
	v_subrev_nc_u32_e32 v30, 28, v29
	v_sub_nc_u32_e32 v29, 29, v29
	v_lshlrev_b64 v[32:33], v30, v[67:68]
	v_and_b32_e32 v67, 7, v32
; %bb.327:                              ;   in Loop: Header=BB224_10 Depth=1
	s_or_b32 exec_lo, exec_lo, s43
	v_lshlrev_b32_e32 v30, 16, v31
	v_lshlrev_b32_e32 v31, 20, v67
	v_lshl_add_u32 v29, v29, 23, 0x3c000000
	v_and_b32_e32 v30, 0x80000000, v30
	v_or3_b32 v30, v31, v30, v29
	v_mov_b32_e32 v29, v68
.LBB224_328:                            ;   in Loop: Header=BB224_10 Depth=1
	s_or_b32 exec_lo, exec_lo, s42
.LBB224_329:                            ;   in Loop: Header=BB224_10 Depth=1
	s_or_b32 exec_lo, exec_lo, s41
.LBB224_330:                            ;   in Loop: Header=BB224_10 Depth=1
	s_or_b32 exec_lo, exec_lo, s4
	global_load_ushort v32, v[85:86], off offset:1280
	v_mov_b32_e32 v37, 0
	v_mov_b32_e32 v35, 0
	;; [unrolled: 1-line block ×4, first 2 shown]
	s_waitcnt vmcnt(0)
	v_and_b32_e32 v31, 0xffff, v32
	v_cmp_ne_u16_sdwa s3, v32, v68 src0_sel:BYTE_0 src1_sel:DWORD
	s_and_saveexec_b32 s4, s3
	s_cbranch_execz .LBB224_338
; %bb.331:                              ;   in Loop: Header=BB224_10 Depth=1
	v_bfrev_b32_e32 v35, 1
	v_mov_b32_e32 v36, 0
	v_cmp_ne_u16_sdwa s3, v31, v91 src0_sel:BYTE_0 src1_sel:DWORD
	s_and_saveexec_b32 s41, s3
	s_cbranch_execz .LBB224_337
; %bb.332:                              ;   in Loop: Header=BB224_10 Depth=1
	v_mov_b32_e32 v35, 0x7f800001
	v_and_b32_e32 v33, 0x7f, v31
	v_mov_b32_e32 v36, 0
	s_mov_b32 s42, exec_lo
	v_cmpx_ne_u32_e32 0x7f, v33
	s_cbranch_execz .LBB224_336
; %bb.333:                              ;   in Loop: Header=BB224_10 Depth=1
	v_and_b32_e32 v67, 7, v31
	v_lshrrev_b32_e32 v32, 3, v33
	s_mov_b32 s43, exec_lo
	v_cmpx_gt_u32_e32 8, v33
; %bb.334:                              ;   in Loop: Header=BB224_10 Depth=1
	v_ffbh_u32_e32 v32, v67
	v_min_u32_e32 v32, 32, v32
	v_subrev_nc_u32_e32 v33, 28, v32
	v_sub_nc_u32_e32 v32, 29, v32
	v_lshlrev_b64 v[33:34], v33, v[67:68]
	v_and_b32_e32 v67, 7, v33
; %bb.335:                              ;   in Loop: Header=BB224_10 Depth=1
	s_or_b32 exec_lo, exec_lo, s43
	v_lshlrev_b32_e32 v33, 24, v31
	v_lshlrev_b32_e32 v34, 20, v67
	v_lshl_add_u32 v32, v32, 23, 0x3c000000
	v_and_b32_e32 v33, 0x80000000, v33
	v_or3_b32 v67, v34, v33, v32
	v_mov_b32_e32 v35, v67
	v_mov_b32_e32 v36, v68
.LBB224_336:                            ;   in Loop: Header=BB224_10 Depth=1
	s_or_b32 exec_lo, exec_lo, s42
.LBB224_337:                            ;   in Loop: Header=BB224_10 Depth=1
	s_or_b32 exec_lo, exec_lo, s41
.LBB224_338:                            ;   in Loop: Header=BB224_10 Depth=1
	s_or_b32 exec_lo, exec_lo, s4
	v_cmp_ne_u16_sdwa s3, v31, v68 src0_sel:BYTE_1 src1_sel:DWORD
	s_and_saveexec_b32 s4, s3
	s_cbranch_execz .LBB224_346
; %bb.339:                              ;   in Loop: Header=BB224_10 Depth=1
	v_mov_b32_e32 v83, v68
	v_cmp_ne_u16_sdwa s3, v31, v91 src0_sel:BYTE_1 src1_sel:DWORD
	v_mov_b32_e32 v37, v83
	v_mov_b32_e32 v38, v84
	s_and_saveexec_b32 s41, s3
	s_cbranch_execz .LBB224_345
; %bb.340:                              ;   in Loop: Header=BB224_10 Depth=1
	v_mov_b32_e32 v32, 0xffff
	v_mov_b32_e32 v81, v68
	s_mov_b32 s42, exec_lo
	v_and_b32_sdwa v32, v32, v31 dst_sel:DWORD dst_unused:UNUSED_PAD src0_sel:DWORD src1_sel:BYTE_1
	v_mov_b32_e32 v37, v81
	v_mov_b32_e32 v38, v82
	v_and_b32_e32 v33, 0x7f, v32
	v_cmpx_ne_u32_e32 0x7f, v33
	s_cbranch_execz .LBB224_344
; %bb.341:                              ;   in Loop: Header=BB224_10 Depth=1
	v_and_b32_e32 v67, 7, v32
	v_lshrrev_b32_e32 v32, 3, v33
	s_mov_b32 s43, exec_lo
	v_cmpx_gt_u32_e32 8, v33
; %bb.342:                              ;   in Loop: Header=BB224_10 Depth=1
	v_ffbh_u32_e32 v32, v67
	v_min_u32_e32 v32, 32, v32
	v_subrev_nc_u32_e32 v33, 28, v32
	v_sub_nc_u32_e32 v32, 29, v32
	v_lshlrev_b64 v[33:34], v33, v[67:68]
	v_and_b32_e32 v67, 7, v33
; %bb.343:                              ;   in Loop: Header=BB224_10 Depth=1
	s_or_b32 exec_lo, exec_lo, s43
	v_lshlrev_b32_e32 v31, 16, v31
	v_lshlrev_b32_e32 v33, 20, v67
	v_lshl_add_u32 v32, v32, 23, 0x3c000000
	v_mov_b32_e32 v37, v68
	v_and_b32_e32 v31, 0x80000000, v31
	v_or3_b32 v38, v33, v31, v32
.LBB224_344:                            ;   in Loop: Header=BB224_10 Depth=1
	s_or_b32 exec_lo, exec_lo, s42
.LBB224_345:                            ;   in Loop: Header=BB224_10 Depth=1
	s_or_b32 exec_lo, exec_lo, s41
.LBB224_346:                            ;   in Loop: Header=BB224_10 Depth=1
	s_or_b32 exec_lo, exec_lo, s4
	global_load_ushort v31, v[85:86], off offset:1284
	v_mov_b32_e32 v33, 0
	v_mov_b32_e32 v34, 0
	s_waitcnt vmcnt(0)
	v_and_b32_e32 v39, 0xffff, v31
	v_cmp_ne_u16_sdwa s3, v31, v68 src0_sel:BYTE_0 src1_sel:DWORD
	v_mov_b32_e32 v31, 0
	v_mov_b32_e32 v32, 0
	s_and_saveexec_b32 s4, s3
	s_cbranch_execz .LBB224_354
; %bb.347:                              ;   in Loop: Header=BB224_10 Depth=1
	v_bfrev_b32_e32 v31, 1
	v_mov_b32_e32 v32, 0
	v_cmp_ne_u16_sdwa s3, v39, v91 src0_sel:BYTE_0 src1_sel:DWORD
	s_and_saveexec_b32 s41, s3
	s_cbranch_execz .LBB224_353
; %bb.348:                              ;   in Loop: Header=BB224_10 Depth=1
	v_mov_b32_e32 v31, 0x7f800001
	v_and_b32_e32 v40, 0x7f, v39
	v_mov_b32_e32 v32, 0
	s_mov_b32 s42, exec_lo
	v_cmpx_ne_u32_e32 0x7f, v40
	s_cbranch_execz .LBB224_352
; %bb.349:                              ;   in Loop: Header=BB224_10 Depth=1
	v_and_b32_e32 v67, 7, v39
	v_lshrrev_b32_e32 v31, 3, v40
	s_mov_b32 s43, exec_lo
	v_cmpx_gt_u32_e32 8, v40
; %bb.350:                              ;   in Loop: Header=BB224_10 Depth=1
	v_ffbh_u32_e32 v31, v67
	v_min_u32_e32 v31, 32, v31
	v_subrev_nc_u32_e32 v32, 28, v31
	v_sub_nc_u32_e32 v31, 29, v31
	v_lshlrev_b64 v[40:41], v32, v[67:68]
	v_and_b32_e32 v67, 7, v40
; %bb.351:                              ;   in Loop: Header=BB224_10 Depth=1
	s_or_b32 exec_lo, exec_lo, s43
	v_lshlrev_b32_e32 v32, 24, v39
	v_lshlrev_b32_e32 v40, 20, v67
	v_lshl_add_u32 v31, v31, 23, 0x3c000000
	v_and_b32_e32 v32, 0x80000000, v32
	v_or3_b32 v67, v40, v32, v31
	v_mov_b32_e32 v31, v67
	v_mov_b32_e32 v32, v68
.LBB224_352:                            ;   in Loop: Header=BB224_10 Depth=1
	s_or_b32 exec_lo, exec_lo, s42
.LBB224_353:                            ;   in Loop: Header=BB224_10 Depth=1
	s_or_b32 exec_lo, exec_lo, s41
.LBB224_354:                            ;   in Loop: Header=BB224_10 Depth=1
	s_or_b32 exec_lo, exec_lo, s4
	v_cmp_ne_u16_sdwa s3, v39, v68 src0_sel:BYTE_1 src1_sel:DWORD
	s_and_saveexec_b32 s4, s3
	s_cbranch_execz .LBB224_362
; %bb.355:                              ;   in Loop: Header=BB224_10 Depth=1
	v_mov_b32_e32 v83, v68
	v_cmp_ne_u16_sdwa s3, v39, v91 src0_sel:BYTE_1 src1_sel:DWORD
	v_mov_b32_e32 v33, v83
	v_mov_b32_e32 v34, v84
	s_and_saveexec_b32 s41, s3
	s_cbranch_execz .LBB224_361
; %bb.356:                              ;   in Loop: Header=BB224_10 Depth=1
	v_mov_b32_e32 v33, 0xffff
	v_mov_b32_e32 v81, v68
	s_mov_b32 s42, exec_lo
	v_and_b32_sdwa v41, v33, v39 dst_sel:DWORD dst_unused:UNUSED_PAD src0_sel:DWORD src1_sel:BYTE_1
	v_mov_b32_e32 v33, v81
	v_mov_b32_e32 v34, v82
	v_and_b32_e32 v40, 0x7f, v41
	v_cmpx_ne_u32_e32 0x7f, v40
	s_cbranch_execz .LBB224_360
; %bb.357:                              ;   in Loop: Header=BB224_10 Depth=1
	v_and_b32_e32 v67, 7, v41
	v_lshrrev_b32_e32 v33, 3, v40
	s_mov_b32 s43, exec_lo
	v_cmpx_gt_u32_e32 8, v40
; %bb.358:                              ;   in Loop: Header=BB224_10 Depth=1
	v_ffbh_u32_e32 v33, v67
	v_min_u32_e32 v33, 32, v33
	v_subrev_nc_u32_e32 v34, 28, v33
	v_sub_nc_u32_e32 v33, 29, v33
	v_lshlrev_b64 v[40:41], v34, v[67:68]
	v_and_b32_e32 v67, 7, v40
; %bb.359:                              ;   in Loop: Header=BB224_10 Depth=1
	s_or_b32 exec_lo, exec_lo, s43
	v_lshlrev_b32_e32 v34, 16, v39
	v_lshlrev_b32_e32 v39, 20, v67
	v_lshl_add_u32 v33, v33, 23, 0x3c000000
	v_and_b32_e32 v34, 0x80000000, v34
	v_or3_b32 v34, v39, v34, v33
	v_mov_b32_e32 v33, v68
.LBB224_360:                            ;   in Loop: Header=BB224_10 Depth=1
	s_or_b32 exec_lo, exec_lo, s42
.LBB224_361:                            ;   in Loop: Header=BB224_10 Depth=1
	s_or_b32 exec_lo, exec_lo, s41
.LBB224_362:                            ;   in Loop: Header=BB224_10 Depth=1
	s_or_b32 exec_lo, exec_lo, s4
	global_load_ushort v39, v[85:86], off offset:1288
	v_mov_b32_e32 v41, 0
	v_mov_b32_e32 v42, 0
	s_waitcnt vmcnt(0)
	v_and_b32_e32 v43, 0xffff, v39
	v_cmp_ne_u16_sdwa s3, v39, v68 src0_sel:BYTE_0 src1_sel:DWORD
	v_mov_b32_e32 v39, 0
	v_mov_b32_e32 v40, 0
	s_and_saveexec_b32 s4, s3
	s_cbranch_execz .LBB224_370
; %bb.363:                              ;   in Loop: Header=BB224_10 Depth=1
	v_bfrev_b32_e32 v39, 1
	v_mov_b32_e32 v40, 0
	v_cmp_ne_u16_sdwa s3, v43, v91 src0_sel:BYTE_0 src1_sel:DWORD
	s_and_saveexec_b32 s41, s3
	s_cbranch_execz .LBB224_369
; %bb.364:                              ;   in Loop: Header=BB224_10 Depth=1
	v_mov_b32_e32 v39, 0x7f800001
	v_and_b32_e32 v44, 0x7f, v43
	v_mov_b32_e32 v40, 0
	s_mov_b32 s42, exec_lo
	v_cmpx_ne_u32_e32 0x7f, v44
	s_cbranch_execz .LBB224_368
; %bb.365:                              ;   in Loop: Header=BB224_10 Depth=1
	v_and_b32_e32 v67, 7, v43
	v_lshrrev_b32_e32 v39, 3, v44
	s_mov_b32 s43, exec_lo
	v_cmpx_gt_u32_e32 8, v44
; %bb.366:                              ;   in Loop: Header=BB224_10 Depth=1
	v_ffbh_u32_e32 v39, v67
	v_min_u32_e32 v39, 32, v39
	v_subrev_nc_u32_e32 v40, 28, v39
	v_sub_nc_u32_e32 v39, 29, v39
	v_lshlrev_b64 v[44:45], v40, v[67:68]
	v_and_b32_e32 v67, 7, v44
; %bb.367:                              ;   in Loop: Header=BB224_10 Depth=1
	s_or_b32 exec_lo, exec_lo, s43
	v_lshlrev_b32_e32 v40, 24, v43
	v_lshlrev_b32_e32 v44, 20, v67
	v_lshl_add_u32 v39, v39, 23, 0x3c000000
	v_and_b32_e32 v40, 0x80000000, v40
	v_or3_b32 v67, v44, v40, v39
	v_mov_b32_e32 v39, v67
	v_mov_b32_e32 v40, v68
.LBB224_368:                            ;   in Loop: Header=BB224_10 Depth=1
	s_or_b32 exec_lo, exec_lo, s42
.LBB224_369:                            ;   in Loop: Header=BB224_10 Depth=1
	s_or_b32 exec_lo, exec_lo, s41
.LBB224_370:                            ;   in Loop: Header=BB224_10 Depth=1
	s_or_b32 exec_lo, exec_lo, s4
	v_cmp_ne_u16_sdwa s3, v43, v68 src0_sel:BYTE_1 src1_sel:DWORD
	s_and_saveexec_b32 s4, s3
	s_cbranch_execz .LBB224_378
; %bb.371:                              ;   in Loop: Header=BB224_10 Depth=1
	v_mov_b32_e32 v83, v68
	v_cmp_ne_u16_sdwa s3, v43, v91 src0_sel:BYTE_1 src1_sel:DWORD
	v_mov_b32_e32 v41, v83
	v_mov_b32_e32 v42, v84
	s_and_saveexec_b32 s41, s3
	s_cbranch_execz .LBB224_377
; %bb.372:                              ;   in Loop: Header=BB224_10 Depth=1
	v_mov_b32_e32 v41, 0xffff
	v_mov_b32_e32 v81, v68
	s_mov_b32 s42, exec_lo
	v_and_b32_sdwa v45, v41, v43 dst_sel:DWORD dst_unused:UNUSED_PAD src0_sel:DWORD src1_sel:BYTE_1
	v_mov_b32_e32 v41, v81
	v_mov_b32_e32 v42, v82
	v_and_b32_e32 v44, 0x7f, v45
	v_cmpx_ne_u32_e32 0x7f, v44
	s_cbranch_execz .LBB224_376
; %bb.373:                              ;   in Loop: Header=BB224_10 Depth=1
	v_and_b32_e32 v67, 7, v45
	v_lshrrev_b32_e32 v41, 3, v44
	s_mov_b32 s43, exec_lo
	v_cmpx_gt_u32_e32 8, v44
; %bb.374:                              ;   in Loop: Header=BB224_10 Depth=1
	v_ffbh_u32_e32 v41, v67
	v_min_u32_e32 v41, 32, v41
	v_subrev_nc_u32_e32 v42, 28, v41
	v_sub_nc_u32_e32 v41, 29, v41
	v_lshlrev_b64 v[44:45], v42, v[67:68]
	v_and_b32_e32 v67, 7, v44
; %bb.375:                              ;   in Loop: Header=BB224_10 Depth=1
	s_or_b32 exec_lo, exec_lo, s43
	v_lshlrev_b32_e32 v42, 16, v43
	v_lshlrev_b32_e32 v43, 20, v67
	v_lshl_add_u32 v41, v41, 23, 0x3c000000
	v_and_b32_e32 v42, 0x80000000, v42
	v_or3_b32 v42, v43, v42, v41
	v_mov_b32_e32 v41, v68
.LBB224_376:                            ;   in Loop: Header=BB224_10 Depth=1
	s_or_b32 exec_lo, exec_lo, s42
.LBB224_377:                            ;   in Loop: Header=BB224_10 Depth=1
	s_or_b32 exec_lo, exec_lo, s41
.LBB224_378:                            ;   in Loop: Header=BB224_10 Depth=1
	s_or_b32 exec_lo, exec_lo, s4
	global_load_ushort v43, v[85:86], off offset:1292
	v_mov_b32_e32 v45, 0
	v_mov_b32_e32 v46, 0
	s_waitcnt vmcnt(0)
	v_and_b32_e32 v47, 0xffff, v43
	v_cmp_ne_u16_sdwa s3, v43, v68 src0_sel:BYTE_0 src1_sel:DWORD
	v_mov_b32_e32 v43, 0
	v_mov_b32_e32 v44, 0
	s_and_saveexec_b32 s4, s3
	s_cbranch_execz .LBB224_386
; %bb.379:                              ;   in Loop: Header=BB224_10 Depth=1
	v_bfrev_b32_e32 v43, 1
	v_mov_b32_e32 v44, 0
	v_cmp_ne_u16_sdwa s3, v47, v91 src0_sel:BYTE_0 src1_sel:DWORD
	s_and_saveexec_b32 s41, s3
	s_cbranch_execz .LBB224_385
; %bb.380:                              ;   in Loop: Header=BB224_10 Depth=1
	v_mov_b32_e32 v43, 0x7f800001
	v_and_b32_e32 v48, 0x7f, v47
	v_mov_b32_e32 v44, 0
	s_mov_b32 s42, exec_lo
	v_cmpx_ne_u32_e32 0x7f, v48
	s_cbranch_execz .LBB224_384
; %bb.381:                              ;   in Loop: Header=BB224_10 Depth=1
	v_and_b32_e32 v67, 7, v47
	v_lshrrev_b32_e32 v43, 3, v48
	s_mov_b32 s43, exec_lo
	v_cmpx_gt_u32_e32 8, v48
; %bb.382:                              ;   in Loop: Header=BB224_10 Depth=1
	v_ffbh_u32_e32 v43, v67
	v_min_u32_e32 v43, 32, v43
	v_subrev_nc_u32_e32 v44, 28, v43
	v_sub_nc_u32_e32 v43, 29, v43
	v_lshlrev_b64 v[48:49], v44, v[67:68]
	v_and_b32_e32 v67, 7, v48
; %bb.383:                              ;   in Loop: Header=BB224_10 Depth=1
	s_or_b32 exec_lo, exec_lo, s43
	v_lshlrev_b32_e32 v44, 24, v47
	v_lshlrev_b32_e32 v48, 20, v67
	v_lshl_add_u32 v43, v43, 23, 0x3c000000
	v_and_b32_e32 v44, 0x80000000, v44
	v_or3_b32 v67, v48, v44, v43
	v_mov_b32_e32 v43, v67
	v_mov_b32_e32 v44, v68
.LBB224_384:                            ;   in Loop: Header=BB224_10 Depth=1
	s_or_b32 exec_lo, exec_lo, s42
.LBB224_385:                            ;   in Loop: Header=BB224_10 Depth=1
	s_or_b32 exec_lo, exec_lo, s41
.LBB224_386:                            ;   in Loop: Header=BB224_10 Depth=1
	s_or_b32 exec_lo, exec_lo, s4
	v_cmp_ne_u16_sdwa s3, v47, v68 src0_sel:BYTE_1 src1_sel:DWORD
	s_and_saveexec_b32 s4, s3
	s_cbranch_execz .LBB224_394
; %bb.387:                              ;   in Loop: Header=BB224_10 Depth=1
	v_mov_b32_e32 v83, v68
	v_cmp_ne_u16_sdwa s3, v47, v91 src0_sel:BYTE_1 src1_sel:DWORD
	v_mov_b32_e32 v45, v83
	v_mov_b32_e32 v46, v84
	s_and_saveexec_b32 s41, s3
	s_cbranch_execz .LBB224_393
; %bb.388:                              ;   in Loop: Header=BB224_10 Depth=1
	v_mov_b32_e32 v45, 0xffff
	v_mov_b32_e32 v81, v68
	s_mov_b32 s42, exec_lo
	v_and_b32_sdwa v49, v45, v47 dst_sel:DWORD dst_unused:UNUSED_PAD src0_sel:DWORD src1_sel:BYTE_1
	v_mov_b32_e32 v45, v81
	v_mov_b32_e32 v46, v82
	v_and_b32_e32 v48, 0x7f, v49
	v_cmpx_ne_u32_e32 0x7f, v48
	s_cbranch_execz .LBB224_392
; %bb.389:                              ;   in Loop: Header=BB224_10 Depth=1
	v_and_b32_e32 v67, 7, v49
	v_lshrrev_b32_e32 v45, 3, v48
	s_mov_b32 s43, exec_lo
	v_cmpx_gt_u32_e32 8, v48
; %bb.390:                              ;   in Loop: Header=BB224_10 Depth=1
	v_ffbh_u32_e32 v45, v67
	v_min_u32_e32 v45, 32, v45
	v_subrev_nc_u32_e32 v46, 28, v45
	v_sub_nc_u32_e32 v45, 29, v45
	v_lshlrev_b64 v[48:49], v46, v[67:68]
	v_and_b32_e32 v67, 7, v48
; %bb.391:                              ;   in Loop: Header=BB224_10 Depth=1
	s_or_b32 exec_lo, exec_lo, s43
	v_lshlrev_b32_e32 v46, 16, v47
	v_lshlrev_b32_e32 v47, 20, v67
	v_lshl_add_u32 v45, v45, 23, 0x3c000000
	v_and_b32_e32 v46, 0x80000000, v46
	v_or3_b32 v46, v47, v46, v45
	v_mov_b32_e32 v45, v68
.LBB224_392:                            ;   in Loop: Header=BB224_10 Depth=1
	s_or_b32 exec_lo, exec_lo, s42
.LBB224_393:                            ;   in Loop: Header=BB224_10 Depth=1
	s_or_b32 exec_lo, exec_lo, s41
.LBB224_394:                            ;   in Loop: Header=BB224_10 Depth=1
	s_or_b32 exec_lo, exec_lo, s4
	global_load_ushort v47, v[85:86], off offset:1536
	v_mov_b32_e32 v49, 0
	v_mov_b32_e32 v50, 0
	s_waitcnt vmcnt(0)
	v_and_b32_e32 v51, 0xffff, v47
	v_cmp_ne_u16_sdwa s3, v47, v68 src0_sel:BYTE_0 src1_sel:DWORD
	v_mov_b32_e32 v47, 0
	v_mov_b32_e32 v48, 0
	s_and_saveexec_b32 s4, s3
	s_cbranch_execz .LBB224_402
; %bb.395:                              ;   in Loop: Header=BB224_10 Depth=1
	v_bfrev_b32_e32 v47, 1
	v_mov_b32_e32 v48, 0
	v_cmp_ne_u16_sdwa s3, v51, v91 src0_sel:BYTE_0 src1_sel:DWORD
	s_and_saveexec_b32 s41, s3
	s_cbranch_execz .LBB224_401
; %bb.396:                              ;   in Loop: Header=BB224_10 Depth=1
	v_mov_b32_e32 v47, 0x7f800001
	v_and_b32_e32 v52, 0x7f, v51
	v_mov_b32_e32 v48, 0
	s_mov_b32 s42, exec_lo
	v_cmpx_ne_u32_e32 0x7f, v52
	s_cbranch_execz .LBB224_400
; %bb.397:                              ;   in Loop: Header=BB224_10 Depth=1
	v_and_b32_e32 v67, 7, v51
	v_lshrrev_b32_e32 v47, 3, v52
	s_mov_b32 s43, exec_lo
	v_cmpx_gt_u32_e32 8, v52
; %bb.398:                              ;   in Loop: Header=BB224_10 Depth=1
	v_ffbh_u32_e32 v47, v67
	v_min_u32_e32 v47, 32, v47
	v_subrev_nc_u32_e32 v48, 28, v47
	v_sub_nc_u32_e32 v47, 29, v47
	v_lshlrev_b64 v[52:53], v48, v[67:68]
	v_and_b32_e32 v67, 7, v52
; %bb.399:                              ;   in Loop: Header=BB224_10 Depth=1
	s_or_b32 exec_lo, exec_lo, s43
	v_lshlrev_b32_e32 v48, 24, v51
	v_lshlrev_b32_e32 v52, 20, v67
	v_lshl_add_u32 v47, v47, 23, 0x3c000000
	v_and_b32_e32 v48, 0x80000000, v48
	v_or3_b32 v67, v52, v48, v47
	v_mov_b32_e32 v47, v67
	v_mov_b32_e32 v48, v68
.LBB224_400:                            ;   in Loop: Header=BB224_10 Depth=1
	s_or_b32 exec_lo, exec_lo, s42
.LBB224_401:                            ;   in Loop: Header=BB224_10 Depth=1
	s_or_b32 exec_lo, exec_lo, s41
.LBB224_402:                            ;   in Loop: Header=BB224_10 Depth=1
	s_or_b32 exec_lo, exec_lo, s4
	v_cmp_ne_u16_sdwa s3, v51, v68 src0_sel:BYTE_1 src1_sel:DWORD
	s_and_saveexec_b32 s4, s3
	s_cbranch_execz .LBB224_410
; %bb.403:                              ;   in Loop: Header=BB224_10 Depth=1
	v_mov_b32_e32 v83, v68
	v_cmp_ne_u16_sdwa s3, v51, v91 src0_sel:BYTE_1 src1_sel:DWORD
	v_mov_b32_e32 v49, v83
	v_mov_b32_e32 v50, v84
	s_and_saveexec_b32 s41, s3
	s_cbranch_execz .LBB224_409
; %bb.404:                              ;   in Loop: Header=BB224_10 Depth=1
	v_mov_b32_e32 v49, 0xffff
	v_mov_b32_e32 v81, v68
	s_mov_b32 s42, exec_lo
	v_and_b32_sdwa v53, v49, v51 dst_sel:DWORD dst_unused:UNUSED_PAD src0_sel:DWORD src1_sel:BYTE_1
	v_mov_b32_e32 v49, v81
	v_mov_b32_e32 v50, v82
	v_and_b32_e32 v52, 0x7f, v53
	v_cmpx_ne_u32_e32 0x7f, v52
	s_cbranch_execz .LBB224_408
; %bb.405:                              ;   in Loop: Header=BB224_10 Depth=1
	v_and_b32_e32 v67, 7, v53
	v_lshrrev_b32_e32 v49, 3, v52
	s_mov_b32 s43, exec_lo
	v_cmpx_gt_u32_e32 8, v52
; %bb.406:                              ;   in Loop: Header=BB224_10 Depth=1
	v_ffbh_u32_e32 v49, v67
	v_min_u32_e32 v49, 32, v49
	v_subrev_nc_u32_e32 v50, 28, v49
	v_sub_nc_u32_e32 v49, 29, v49
	v_lshlrev_b64 v[52:53], v50, v[67:68]
	v_and_b32_e32 v67, 7, v52
; %bb.407:                              ;   in Loop: Header=BB224_10 Depth=1
	s_or_b32 exec_lo, exec_lo, s43
	v_lshlrev_b32_e32 v50, 16, v51
	v_lshlrev_b32_e32 v51, 20, v67
	v_lshl_add_u32 v49, v49, 23, 0x3c000000
	v_and_b32_e32 v50, 0x80000000, v50
	v_or3_b32 v50, v51, v50, v49
	v_mov_b32_e32 v49, v68
.LBB224_408:                            ;   in Loop: Header=BB224_10 Depth=1
	s_or_b32 exec_lo, exec_lo, s42
.LBB224_409:                            ;   in Loop: Header=BB224_10 Depth=1
	s_or_b32 exec_lo, exec_lo, s41
.LBB224_410:                            ;   in Loop: Header=BB224_10 Depth=1
	s_or_b32 exec_lo, exec_lo, s4
	global_load_ushort v51, v[85:86], off offset:1540
	v_mov_b32_e32 v53, 0
	v_mov_b32_e32 v54, 0
	s_waitcnt vmcnt(0)
	v_and_b32_e32 v55, 0xffff, v51
	v_cmp_ne_u16_sdwa s3, v51, v68 src0_sel:BYTE_0 src1_sel:DWORD
	v_mov_b32_e32 v51, 0
	v_mov_b32_e32 v52, 0
	s_and_saveexec_b32 s4, s3
	s_cbranch_execz .LBB224_418
; %bb.411:                              ;   in Loop: Header=BB224_10 Depth=1
	v_bfrev_b32_e32 v51, 1
	v_mov_b32_e32 v52, 0
	v_cmp_ne_u16_sdwa s3, v55, v91 src0_sel:BYTE_0 src1_sel:DWORD
	s_and_saveexec_b32 s41, s3
	s_cbranch_execz .LBB224_417
; %bb.412:                              ;   in Loop: Header=BB224_10 Depth=1
	v_mov_b32_e32 v51, 0x7f800001
	v_and_b32_e32 v56, 0x7f, v55
	v_mov_b32_e32 v52, 0
	s_mov_b32 s42, exec_lo
	v_cmpx_ne_u32_e32 0x7f, v56
	s_cbranch_execz .LBB224_416
; %bb.413:                              ;   in Loop: Header=BB224_10 Depth=1
	v_and_b32_e32 v67, 7, v55
	v_lshrrev_b32_e32 v51, 3, v56
	s_mov_b32 s43, exec_lo
	v_cmpx_gt_u32_e32 8, v56
; %bb.414:                              ;   in Loop: Header=BB224_10 Depth=1
	v_ffbh_u32_e32 v51, v67
	v_min_u32_e32 v51, 32, v51
	v_subrev_nc_u32_e32 v52, 28, v51
	v_sub_nc_u32_e32 v51, 29, v51
	v_lshlrev_b64 v[56:57], v52, v[67:68]
	v_and_b32_e32 v67, 7, v56
; %bb.415:                              ;   in Loop: Header=BB224_10 Depth=1
	s_or_b32 exec_lo, exec_lo, s43
	v_lshlrev_b32_e32 v52, 24, v55
	v_lshlrev_b32_e32 v56, 20, v67
	v_lshl_add_u32 v51, v51, 23, 0x3c000000
	v_and_b32_e32 v52, 0x80000000, v52
	v_or3_b32 v67, v56, v52, v51
	v_mov_b32_e32 v51, v67
	v_mov_b32_e32 v52, v68
.LBB224_416:                            ;   in Loop: Header=BB224_10 Depth=1
	s_or_b32 exec_lo, exec_lo, s42
.LBB224_417:                            ;   in Loop: Header=BB224_10 Depth=1
	s_or_b32 exec_lo, exec_lo, s41
.LBB224_418:                            ;   in Loop: Header=BB224_10 Depth=1
	s_or_b32 exec_lo, exec_lo, s4
	v_cmp_ne_u16_sdwa s3, v55, v68 src0_sel:BYTE_1 src1_sel:DWORD
	s_and_saveexec_b32 s4, s3
	s_cbranch_execz .LBB224_426
; %bb.419:                              ;   in Loop: Header=BB224_10 Depth=1
	v_mov_b32_e32 v83, v68
	v_cmp_ne_u16_sdwa s3, v55, v91 src0_sel:BYTE_1 src1_sel:DWORD
	v_mov_b32_e32 v53, v83
	v_mov_b32_e32 v54, v84
	s_and_saveexec_b32 s41, s3
	s_cbranch_execz .LBB224_425
; %bb.420:                              ;   in Loop: Header=BB224_10 Depth=1
	v_mov_b32_e32 v53, 0xffff
	v_mov_b32_e32 v81, v68
	s_mov_b32 s42, exec_lo
	v_and_b32_sdwa v57, v53, v55 dst_sel:DWORD dst_unused:UNUSED_PAD src0_sel:DWORD src1_sel:BYTE_1
	v_mov_b32_e32 v53, v81
	v_mov_b32_e32 v54, v82
	v_and_b32_e32 v56, 0x7f, v57
	v_cmpx_ne_u32_e32 0x7f, v56
	s_cbranch_execz .LBB224_424
; %bb.421:                              ;   in Loop: Header=BB224_10 Depth=1
	v_and_b32_e32 v67, 7, v57
	v_lshrrev_b32_e32 v53, 3, v56
	s_mov_b32 s43, exec_lo
	v_cmpx_gt_u32_e32 8, v56
; %bb.422:                              ;   in Loop: Header=BB224_10 Depth=1
	v_ffbh_u32_e32 v53, v67
	v_min_u32_e32 v53, 32, v53
	v_subrev_nc_u32_e32 v54, 28, v53
	v_sub_nc_u32_e32 v53, 29, v53
	v_lshlrev_b64 v[56:57], v54, v[67:68]
	v_and_b32_e32 v67, 7, v56
; %bb.423:                              ;   in Loop: Header=BB224_10 Depth=1
	s_or_b32 exec_lo, exec_lo, s43
	v_lshlrev_b32_e32 v54, 16, v55
	v_lshlrev_b32_e32 v55, 20, v67
	v_lshl_add_u32 v53, v53, 23, 0x3c000000
	v_and_b32_e32 v54, 0x80000000, v54
	v_or3_b32 v54, v55, v54, v53
	v_mov_b32_e32 v53, v68
.LBB224_424:                            ;   in Loop: Header=BB224_10 Depth=1
	s_or_b32 exec_lo, exec_lo, s42
.LBB224_425:                            ;   in Loop: Header=BB224_10 Depth=1
	s_or_b32 exec_lo, exec_lo, s41
.LBB224_426:                            ;   in Loop: Header=BB224_10 Depth=1
	s_or_b32 exec_lo, exec_lo, s4
	global_load_ushort v55, v[85:86], off offset:1544
	v_mov_b32_e32 v57, 0
	v_mov_b32_e32 v58, 0
	s_waitcnt vmcnt(0)
	v_and_b32_e32 v59, 0xffff, v55
	v_cmp_ne_u16_sdwa s3, v55, v68 src0_sel:BYTE_0 src1_sel:DWORD
	v_mov_b32_e32 v55, 0
	v_mov_b32_e32 v56, 0
	s_and_saveexec_b32 s4, s3
	s_cbranch_execz .LBB224_434
; %bb.427:                              ;   in Loop: Header=BB224_10 Depth=1
	v_bfrev_b32_e32 v55, 1
	v_mov_b32_e32 v56, 0
	v_cmp_ne_u16_sdwa s3, v59, v91 src0_sel:BYTE_0 src1_sel:DWORD
	s_and_saveexec_b32 s41, s3
	s_cbranch_execz .LBB224_433
; %bb.428:                              ;   in Loop: Header=BB224_10 Depth=1
	v_mov_b32_e32 v55, 0x7f800001
	v_and_b32_e32 v60, 0x7f, v59
	v_mov_b32_e32 v56, 0
	s_mov_b32 s42, exec_lo
	v_cmpx_ne_u32_e32 0x7f, v60
	s_cbranch_execz .LBB224_432
; %bb.429:                              ;   in Loop: Header=BB224_10 Depth=1
	v_and_b32_e32 v67, 7, v59
	v_lshrrev_b32_e32 v55, 3, v60
	s_mov_b32 s43, exec_lo
	v_cmpx_gt_u32_e32 8, v60
; %bb.430:                              ;   in Loop: Header=BB224_10 Depth=1
	v_ffbh_u32_e32 v55, v67
	v_min_u32_e32 v55, 32, v55
	v_subrev_nc_u32_e32 v56, 28, v55
	v_sub_nc_u32_e32 v55, 29, v55
	v_lshlrev_b64 v[60:61], v56, v[67:68]
	v_and_b32_e32 v67, 7, v60
; %bb.431:                              ;   in Loop: Header=BB224_10 Depth=1
	s_or_b32 exec_lo, exec_lo, s43
	v_lshlrev_b32_e32 v56, 24, v59
	v_lshlrev_b32_e32 v60, 20, v67
	v_lshl_add_u32 v55, v55, 23, 0x3c000000
	v_and_b32_e32 v56, 0x80000000, v56
	v_or3_b32 v67, v60, v56, v55
	v_mov_b32_e32 v55, v67
	v_mov_b32_e32 v56, v68
.LBB224_432:                            ;   in Loop: Header=BB224_10 Depth=1
	s_or_b32 exec_lo, exec_lo, s42
.LBB224_433:                            ;   in Loop: Header=BB224_10 Depth=1
	s_or_b32 exec_lo, exec_lo, s41
.LBB224_434:                            ;   in Loop: Header=BB224_10 Depth=1
	s_or_b32 exec_lo, exec_lo, s4
	v_cmp_ne_u16_sdwa s3, v59, v68 src0_sel:BYTE_1 src1_sel:DWORD
	s_and_saveexec_b32 s4, s3
	s_cbranch_execz .LBB224_442
; %bb.435:                              ;   in Loop: Header=BB224_10 Depth=1
	v_mov_b32_e32 v83, v68
	v_cmp_ne_u16_sdwa s3, v59, v91 src0_sel:BYTE_1 src1_sel:DWORD
	v_mov_b32_e32 v57, v83
	v_mov_b32_e32 v58, v84
	s_and_saveexec_b32 s41, s3
	s_cbranch_execz .LBB224_441
; %bb.436:                              ;   in Loop: Header=BB224_10 Depth=1
	v_mov_b32_e32 v57, 0xffff
	v_mov_b32_e32 v81, v68
	s_mov_b32 s42, exec_lo
	v_and_b32_sdwa v61, v57, v59 dst_sel:DWORD dst_unused:UNUSED_PAD src0_sel:DWORD src1_sel:BYTE_1
	v_mov_b32_e32 v57, v81
	v_mov_b32_e32 v58, v82
	v_and_b32_e32 v60, 0x7f, v61
	v_cmpx_ne_u32_e32 0x7f, v60
	s_cbranch_execz .LBB224_440
; %bb.437:                              ;   in Loop: Header=BB224_10 Depth=1
	v_and_b32_e32 v67, 7, v61
	v_lshrrev_b32_e32 v57, 3, v60
	s_mov_b32 s43, exec_lo
	v_cmpx_gt_u32_e32 8, v60
; %bb.438:                              ;   in Loop: Header=BB224_10 Depth=1
	v_ffbh_u32_e32 v57, v67
	v_min_u32_e32 v57, 32, v57
	v_subrev_nc_u32_e32 v58, 28, v57
	v_sub_nc_u32_e32 v57, 29, v57
	v_lshlrev_b64 v[60:61], v58, v[67:68]
	v_and_b32_e32 v67, 7, v60
; %bb.439:                              ;   in Loop: Header=BB224_10 Depth=1
	s_or_b32 exec_lo, exec_lo, s43
	v_lshlrev_b32_e32 v58, 16, v59
	v_lshlrev_b32_e32 v59, 20, v67
	v_lshl_add_u32 v57, v57, 23, 0x3c000000
	v_and_b32_e32 v58, 0x80000000, v58
	v_or3_b32 v58, v59, v58, v57
	v_mov_b32_e32 v57, v68
.LBB224_440:                            ;   in Loop: Header=BB224_10 Depth=1
	s_or_b32 exec_lo, exec_lo, s42
.LBB224_441:                            ;   in Loop: Header=BB224_10 Depth=1
	s_or_b32 exec_lo, exec_lo, s41
.LBB224_442:                            ;   in Loop: Header=BB224_10 Depth=1
	s_or_b32 exec_lo, exec_lo, s4
	global_load_ushort v59, v[85:86], off offset:1548
	v_mov_b32_e32 v61, 0
	v_mov_b32_e32 v62, 0
	s_waitcnt vmcnt(0)
	v_and_b32_e32 v63, 0xffff, v59
	v_cmp_ne_u16_sdwa s3, v59, v68 src0_sel:BYTE_0 src1_sel:DWORD
	v_mov_b32_e32 v59, 0
	v_mov_b32_e32 v60, 0
	s_and_saveexec_b32 s4, s3
	s_cbranch_execz .LBB224_450
; %bb.443:                              ;   in Loop: Header=BB224_10 Depth=1
	v_bfrev_b32_e32 v59, 1
	v_mov_b32_e32 v60, 0
	v_cmp_ne_u16_sdwa s3, v63, v91 src0_sel:BYTE_0 src1_sel:DWORD
	s_and_saveexec_b32 s41, s3
	s_cbranch_execz .LBB224_449
; %bb.444:                              ;   in Loop: Header=BB224_10 Depth=1
	v_mov_b32_e32 v59, 0x7f800001
	v_and_b32_e32 v64, 0x7f, v63
	v_mov_b32_e32 v60, 0
	s_mov_b32 s42, exec_lo
	v_cmpx_ne_u32_e32 0x7f, v64
	s_cbranch_execz .LBB224_448
; %bb.445:                              ;   in Loop: Header=BB224_10 Depth=1
	v_and_b32_e32 v67, 7, v63
	v_lshrrev_b32_e32 v59, 3, v64
	s_mov_b32 s43, exec_lo
	v_cmpx_gt_u32_e32 8, v64
; %bb.446:                              ;   in Loop: Header=BB224_10 Depth=1
	v_ffbh_u32_e32 v59, v67
	v_min_u32_e32 v59, 32, v59
	v_subrev_nc_u32_e32 v60, 28, v59
	v_sub_nc_u32_e32 v59, 29, v59
	v_lshlrev_b64 v[64:65], v60, v[67:68]
	v_and_b32_e32 v67, 7, v64
; %bb.447:                              ;   in Loop: Header=BB224_10 Depth=1
	s_or_b32 exec_lo, exec_lo, s43
	v_lshlrev_b32_e32 v60, 24, v63
	v_lshlrev_b32_e32 v64, 20, v67
	v_lshl_add_u32 v59, v59, 23, 0x3c000000
	v_and_b32_e32 v60, 0x80000000, v60
	v_or3_b32 v67, v64, v60, v59
	v_mov_b32_e32 v59, v67
	v_mov_b32_e32 v60, v68
.LBB224_448:                            ;   in Loop: Header=BB224_10 Depth=1
	s_or_b32 exec_lo, exec_lo, s42
.LBB224_449:                            ;   in Loop: Header=BB224_10 Depth=1
	s_or_b32 exec_lo, exec_lo, s41
.LBB224_450:                            ;   in Loop: Header=BB224_10 Depth=1
	s_or_b32 exec_lo, exec_lo, s4
	v_cmp_ne_u16_sdwa s3, v63, v68 src0_sel:BYTE_1 src1_sel:DWORD
	s_and_saveexec_b32 s4, s3
	s_cbranch_execz .LBB224_458
; %bb.451:                              ;   in Loop: Header=BB224_10 Depth=1
	v_mov_b32_e32 v83, v68
	v_cmp_ne_u16_sdwa s3, v63, v91 src0_sel:BYTE_1 src1_sel:DWORD
	v_mov_b32_e32 v61, v83
	v_mov_b32_e32 v62, v84
	s_and_saveexec_b32 s41, s3
	s_cbranch_execz .LBB224_457
; %bb.452:                              ;   in Loop: Header=BB224_10 Depth=1
	v_mov_b32_e32 v61, 0xffff
	v_mov_b32_e32 v81, v68
	s_mov_b32 s42, exec_lo
	v_and_b32_sdwa v65, v61, v63 dst_sel:DWORD dst_unused:UNUSED_PAD src0_sel:DWORD src1_sel:BYTE_1
	v_mov_b32_e32 v61, v81
	v_mov_b32_e32 v62, v82
	v_and_b32_e32 v64, 0x7f, v65
	v_cmpx_ne_u32_e32 0x7f, v64
	s_cbranch_execz .LBB224_456
; %bb.453:                              ;   in Loop: Header=BB224_10 Depth=1
	v_and_b32_e32 v67, 7, v65
	v_lshrrev_b32_e32 v61, 3, v64
	s_mov_b32 s43, exec_lo
	v_cmpx_gt_u32_e32 8, v64
; %bb.454:                              ;   in Loop: Header=BB224_10 Depth=1
	v_ffbh_u32_e32 v61, v67
	v_min_u32_e32 v61, 32, v61
	v_subrev_nc_u32_e32 v62, 28, v61
	v_sub_nc_u32_e32 v61, 29, v61
	v_lshlrev_b64 v[64:65], v62, v[67:68]
	v_and_b32_e32 v67, 7, v64
; %bb.455:                              ;   in Loop: Header=BB224_10 Depth=1
	s_or_b32 exec_lo, exec_lo, s43
	v_lshlrev_b32_e32 v62, 16, v63
	v_lshlrev_b32_e32 v63, 20, v67
	v_lshl_add_u32 v61, v61, 23, 0x3c000000
	v_and_b32_e32 v62, 0x80000000, v62
	v_or3_b32 v62, v63, v62, v61
	v_mov_b32_e32 v61, v68
.LBB224_456:                            ;   in Loop: Header=BB224_10 Depth=1
	s_or_b32 exec_lo, exec_lo, s42
.LBB224_457:                            ;   in Loop: Header=BB224_10 Depth=1
	s_or_b32 exec_lo, exec_lo, s41
.LBB224_458:                            ;   in Loop: Header=BB224_10 Depth=1
	s_or_b32 exec_lo, exec_lo, s4
	global_load_ushort v63, v[85:86], off offset:1792
	v_mov_b32_e32 v65, 0
	v_mov_b32_e32 v66, 0
	s_waitcnt vmcnt(0)
	v_and_b32_e32 v73, 0xffff, v63
	v_cmp_ne_u16_sdwa s3, v63, v68 src0_sel:BYTE_0 src1_sel:DWORD
	v_mov_b32_e32 v63, 0
	v_mov_b32_e32 v64, 0
	s_and_saveexec_b32 s4, s3
	s_cbranch_execz .LBB224_466
; %bb.459:                              ;   in Loop: Header=BB224_10 Depth=1
	v_bfrev_b32_e32 v63, 1
	v_mov_b32_e32 v64, 0
	v_cmp_ne_u16_sdwa s3, v73, v91 src0_sel:BYTE_0 src1_sel:DWORD
	s_and_saveexec_b32 s41, s3
	s_cbranch_execz .LBB224_465
; %bb.460:                              ;   in Loop: Header=BB224_10 Depth=1
	v_mov_b32_e32 v63, 0x7f800001
	v_and_b32_e32 v74, 0x7f, v73
	v_mov_b32_e32 v64, 0
	s_mov_b32 s42, exec_lo
	v_cmpx_ne_u32_e32 0x7f, v74
	s_cbranch_execz .LBB224_464
; %bb.461:                              ;   in Loop: Header=BB224_10 Depth=1
	v_and_b32_e32 v67, 7, v73
	v_lshrrev_b32_e32 v63, 3, v74
	s_mov_b32 s43, exec_lo
	v_cmpx_gt_u32_e32 8, v74
; %bb.462:                              ;   in Loop: Header=BB224_10 Depth=1
	v_ffbh_u32_e32 v63, v67
	v_min_u32_e32 v63, 32, v63
	v_subrev_nc_u32_e32 v64, 28, v63
	v_sub_nc_u32_e32 v63, 29, v63
	v_lshlrev_b64 v[74:75], v64, v[67:68]
	v_and_b32_e32 v67, 7, v74
; %bb.463:                              ;   in Loop: Header=BB224_10 Depth=1
	s_or_b32 exec_lo, exec_lo, s43
	v_lshlrev_b32_e32 v64, 24, v73
	v_lshlrev_b32_e32 v67, 20, v67
	v_lshl_add_u32 v63, v63, 23, 0x3c000000
	v_and_b32_e32 v64, 0x80000000, v64
	v_or3_b32 v67, v67, v64, v63
	v_mov_b32_e32 v63, v67
	v_mov_b32_e32 v64, v68
.LBB224_464:                            ;   in Loop: Header=BB224_10 Depth=1
	s_or_b32 exec_lo, exec_lo, s42
.LBB224_465:                            ;   in Loop: Header=BB224_10 Depth=1
	s_or_b32 exec_lo, exec_lo, s41
.LBB224_466:                            ;   in Loop: Header=BB224_10 Depth=1
	s_or_b32 exec_lo, exec_lo, s4
	v_cmp_ne_u16_sdwa s3, v73, v68 src0_sel:BYTE_1 src1_sel:DWORD
	s_and_saveexec_b32 s4, s3
	s_cbranch_execz .LBB224_474
; %bb.467:                              ;   in Loop: Header=BB224_10 Depth=1
	v_mov_b32_e32 v83, v68
	v_cmp_ne_u16_sdwa s3, v73, v91 src0_sel:BYTE_1 src1_sel:DWORD
	v_mov_b32_e32 v65, v83
	v_mov_b32_e32 v66, v84
	s_and_saveexec_b32 s41, s3
	s_cbranch_execz .LBB224_473
; %bb.468:                              ;   in Loop: Header=BB224_10 Depth=1
	v_mov_b32_e32 v65, 0xffff
	v_mov_b32_e32 v81, v68
	s_mov_b32 s42, exec_lo
	v_and_b32_sdwa v67, v65, v73 dst_sel:DWORD dst_unused:UNUSED_PAD src0_sel:DWORD src1_sel:BYTE_1
	v_mov_b32_e32 v65, v81
	v_mov_b32_e32 v66, v82
	v_and_b32_e32 v74, 0x7f, v67
	v_cmpx_ne_u32_e32 0x7f, v74
	s_cbranch_execz .LBB224_472
; %bb.469:                              ;   in Loop: Header=BB224_10 Depth=1
	v_and_b32_e32 v67, 7, v67
	v_lshrrev_b32_e32 v65, 3, v74
	s_mov_b32 s43, exec_lo
	v_cmpx_gt_u32_e32 8, v74
; %bb.470:                              ;   in Loop: Header=BB224_10 Depth=1
	v_ffbh_u32_e32 v65, v67
	v_min_u32_e32 v65, 32, v65
	v_subrev_nc_u32_e32 v66, 28, v65
	v_sub_nc_u32_e32 v65, 29, v65
	v_lshlrev_b64 v[66:67], v66, v[67:68]
	v_and_b32_e32 v67, 7, v66
; %bb.471:                              ;   in Loop: Header=BB224_10 Depth=1
	s_or_b32 exec_lo, exec_lo, s43
	v_lshlrev_b32_e32 v66, 16, v73
	v_lshlrev_b32_e32 v67, 20, v67
	v_lshl_add_u32 v65, v65, 23, 0x3c000000
	v_and_b32_e32 v66, 0x80000000, v66
	v_or3_b32 v66, v67, v66, v65
	v_mov_b32_e32 v65, v68
.LBB224_472:                            ;   in Loop: Header=BB224_10 Depth=1
	s_or_b32 exec_lo, exec_lo, s42
.LBB224_473:                            ;   in Loop: Header=BB224_10 Depth=1
	s_or_b32 exec_lo, exec_lo, s41
.LBB224_474:                            ;   in Loop: Header=BB224_10 Depth=1
	s_or_b32 exec_lo, exec_lo, s4
	global_load_ushort v67, v[85:86], off offset:1796
	v_mov_b32_e32 v75, 0
	v_mov_b32_e32 v77, 0
	;; [unrolled: 1-line block ×4, first 2 shown]
	s_waitcnt vmcnt(0)
	v_and_b32_e32 v73, 0xffff, v67
	v_cmp_ne_u16_sdwa s3, v67, v68 src0_sel:BYTE_0 src1_sel:DWORD
	s_and_saveexec_b32 s4, s3
	s_cbranch_execz .LBB224_482
; %bb.475:                              ;   in Loop: Header=BB224_10 Depth=1
	v_bfrev_b32_e32 v77, 1
	v_mov_b32_e32 v78, 0
	v_cmp_ne_u16_sdwa s3, v73, v91 src0_sel:BYTE_0 src1_sel:DWORD
	s_and_saveexec_b32 s41, s3
	s_cbranch_execz .LBB224_481
; %bb.476:                              ;   in Loop: Header=BB224_10 Depth=1
	v_mov_b32_e32 v77, 0x7f800001
	v_and_b32_e32 v79, 0x7f, v73
	v_mov_b32_e32 v78, 0
	s_mov_b32 s42, exec_lo
	v_cmpx_ne_u32_e32 0x7f, v79
	s_cbranch_execz .LBB224_480
; %bb.477:                              ;   in Loop: Header=BB224_10 Depth=1
	v_and_b32_e32 v67, 7, v73
	v_lshrrev_b32_e32 v74, 3, v79
	s_mov_b32 s43, exec_lo
	v_cmpx_gt_u32_e32 8, v79
; %bb.478:                              ;   in Loop: Header=BB224_10 Depth=1
	v_ffbh_u32_e32 v74, v67
	v_min_u32_e32 v74, 32, v74
	v_subrev_nc_u32_e32 v77, 28, v74
	v_sub_nc_u32_e32 v74, 29, v74
	v_lshlrev_b64 v[77:78], v77, v[67:68]
	v_and_b32_e32 v67, 7, v77
; %bb.479:                              ;   in Loop: Header=BB224_10 Depth=1
	s_or_b32 exec_lo, exec_lo, s43
	v_lshlrev_b32_e32 v77, 24, v73
	v_lshlrev_b32_e32 v67, 20, v67
	v_lshl_add_u32 v74, v74, 23, 0x3c000000
	v_and_b32_e32 v77, 0x80000000, v77
	v_or3_b32 v67, v67, v77, v74
	v_mov_b32_e32 v78, v68
	v_mov_b32_e32 v77, v67
.LBB224_480:                            ;   in Loop: Header=BB224_10 Depth=1
	s_or_b32 exec_lo, exec_lo, s42
.LBB224_481:                            ;   in Loop: Header=BB224_10 Depth=1
	s_or_b32 exec_lo, exec_lo, s41
.LBB224_482:                            ;   in Loop: Header=BB224_10 Depth=1
	s_or_b32 exec_lo, exec_lo, s4
	v_cmp_ne_u16_sdwa s3, v73, v68 src0_sel:BYTE_1 src1_sel:DWORD
	s_and_saveexec_b32 s4, s3
	s_cbranch_execz .LBB224_490
; %bb.483:                              ;   in Loop: Header=BB224_10 Depth=1
	v_mov_b32_e32 v83, v68
	v_cmp_ne_u16_sdwa s3, v73, v91 src0_sel:BYTE_1 src1_sel:DWORD
	v_mov_b32_e32 v75, v83
	v_mov_b32_e32 v76, v84
	s_and_saveexec_b32 s41, s3
	s_cbranch_execz .LBB224_489
; %bb.484:                              ;   in Loop: Header=BB224_10 Depth=1
	v_mov_b32_e32 v67, 0xffff
	v_mov_b32_e32 v81, v68
	s_mov_b32 s42, exec_lo
	v_and_b32_sdwa v67, v67, v73 dst_sel:DWORD dst_unused:UNUSED_PAD src0_sel:DWORD src1_sel:BYTE_1
	v_mov_b32_e32 v75, v81
	v_mov_b32_e32 v76, v82
	v_and_b32_e32 v79, 0x7f, v67
	v_cmpx_ne_u32_e32 0x7f, v79
	s_cbranch_execz .LBB224_488
; %bb.485:                              ;   in Loop: Header=BB224_10 Depth=1
	v_and_b32_e32 v67, 7, v67
	v_lshrrev_b32_e32 v74, 3, v79
	s_mov_b32 s43, exec_lo
	v_cmpx_gt_u32_e32 8, v79
; %bb.486:                              ;   in Loop: Header=BB224_10 Depth=1
	v_ffbh_u32_e32 v74, v67
	v_min_u32_e32 v74, 32, v74
	v_subrev_nc_u32_e32 v75, 28, v74
	v_sub_nc_u32_e32 v74, 29, v74
	v_lshlrev_b64 v[75:76], v75, v[67:68]
	v_and_b32_e32 v67, 7, v75
; %bb.487:                              ;   in Loop: Header=BB224_10 Depth=1
	s_or_b32 exec_lo, exec_lo, s43
	v_lshlrev_b32_e32 v73, 16, v73
	v_lshlrev_b32_e32 v67, 20, v67
	v_lshl_add_u32 v74, v74, 23, 0x3c000000
	v_mov_b32_e32 v75, v68
	v_and_b32_e32 v73, 0x80000000, v73
	v_or3_b32 v76, v67, v73, v74
.LBB224_488:                            ;   in Loop: Header=BB224_10 Depth=1
	s_or_b32 exec_lo, exec_lo, s42
.LBB224_489:                            ;   in Loop: Header=BB224_10 Depth=1
	s_or_b32 exec_lo, exec_lo, s41
.LBB224_490:                            ;   in Loop: Header=BB224_10 Depth=1
	s_or_b32 exec_lo, exec_lo, s4
	global_load_ushort v67, v[85:86], off offset:1800
	v_mov_b32_e32 v73, 0
	v_mov_b32_e32 v87, 0
	;; [unrolled: 1-line block ×4, first 2 shown]
	s_waitcnt vmcnt(0)
	v_and_b32_e32 v79, 0xffff, v67
	v_cmp_ne_u16_sdwa s3, v67, v68 src0_sel:BYTE_0 src1_sel:DWORD
	s_and_saveexec_b32 s4, s3
	s_cbranch_execz .LBB224_498
; %bb.491:                              ;   in Loop: Header=BB224_10 Depth=1
	v_bfrev_b32_e32 v87, 1
	v_mov_b32_e32 v88, 0
	v_cmp_ne_u16_sdwa s3, v79, v91 src0_sel:BYTE_0 src1_sel:DWORD
	s_and_saveexec_b32 s41, s3
	s_cbranch_execz .LBB224_497
; %bb.492:                              ;   in Loop: Header=BB224_10 Depth=1
	v_mov_b32_e32 v87, 0x7f800001
	v_and_b32_e32 v81, 0x7f, v79
	v_mov_b32_e32 v88, 0
	s_mov_b32 s42, exec_lo
	v_cmpx_ne_u32_e32 0x7f, v81
	s_cbranch_execz .LBB224_496
; %bb.493:                              ;   in Loop: Header=BB224_10 Depth=1
	v_and_b32_e32 v67, 7, v79
	v_lshrrev_b32_e32 v80, 3, v81
	s_mov_b32 s43, exec_lo
	v_cmpx_gt_u32_e32 8, v81
; %bb.494:                              ;   in Loop: Header=BB224_10 Depth=1
	v_ffbh_u32_e32 v80, v67
	v_min_u32_e32 v80, 32, v80
	v_subrev_nc_u32_e32 v81, 28, v80
	v_sub_nc_u32_e32 v80, 29, v80
	v_lshlrev_b64 v[87:88], v81, v[67:68]
	v_and_b32_e32 v67, 7, v87
; %bb.495:                              ;   in Loop: Header=BB224_10 Depth=1
	s_or_b32 exec_lo, exec_lo, s43
	v_lshlrev_b32_e32 v81, 24, v79
	v_lshlrev_b32_e32 v67, 20, v67
	v_lshl_add_u32 v80, v80, 23, 0x3c000000
	v_and_b32_e32 v81, 0x80000000, v81
	v_or3_b32 v67, v67, v81, v80
	v_mov_b32_e32 v88, v68
	v_mov_b32_e32 v87, v67
.LBB224_496:                            ;   in Loop: Header=BB224_10 Depth=1
	s_or_b32 exec_lo, exec_lo, s42
.LBB224_497:                            ;   in Loop: Header=BB224_10 Depth=1
	s_or_b32 exec_lo, exec_lo, s41
.LBB224_498:                            ;   in Loop: Header=BB224_10 Depth=1
	s_or_b32 exec_lo, exec_lo, s4
	v_cmp_ne_u16_sdwa s3, v79, v68 src0_sel:BYTE_1 src1_sel:DWORD
	s_and_saveexec_b32 s4, s3
	s_cbranch_execz .LBB224_506
; %bb.499:                              ;   in Loop: Header=BB224_10 Depth=1
	v_mov_b32_e32 v83, v68
	v_cmp_ne_u16_sdwa s3, v79, v91 src0_sel:BYTE_1 src1_sel:DWORD
	v_mov_b32_e32 v73, v83
	v_mov_b32_e32 v74, v84
	s_and_saveexec_b32 s41, s3
	s_cbranch_execz .LBB224_505
; %bb.500:                              ;   in Loop: Header=BB224_10 Depth=1
	v_mov_b32_e32 v67, 0xffff
	v_mov_b32_e32 v81, v68
	s_mov_b32 s42, exec_lo
	v_and_b32_sdwa v67, v67, v79 dst_sel:DWORD dst_unused:UNUSED_PAD src0_sel:DWORD src1_sel:BYTE_1
	v_mov_b32_e32 v73, v81
	v_mov_b32_e32 v74, v82
	v_and_b32_e32 v80, 0x7f, v67
	v_cmpx_ne_u32_e32 0x7f, v80
	s_cbranch_execz .LBB224_504
; %bb.501:                              ;   in Loop: Header=BB224_10 Depth=1
	v_and_b32_e32 v67, 7, v67
	v_lshrrev_b32_e32 v73, 3, v80
	s_mov_b32 s43, exec_lo
	v_cmpx_gt_u32_e32 8, v80
; %bb.502:                              ;   in Loop: Header=BB224_10 Depth=1
	v_ffbh_u32_e32 v73, v67
	v_min_u32_e32 v73, 32, v73
	v_subrev_nc_u32_e32 v74, 28, v73
	v_sub_nc_u32_e32 v73, 29, v73
	v_lshlrev_b64 v[80:81], v74, v[67:68]
	v_and_b32_e32 v67, 7, v80
; %bb.503:                              ;   in Loop: Header=BB224_10 Depth=1
	s_or_b32 exec_lo, exec_lo, s43
	v_lshlrev_b32_e32 v74, 16, v79
	v_lshlrev_b32_e32 v67, 20, v67
	v_lshl_add_u32 v73, v73, 23, 0x3c000000
	v_and_b32_e32 v74, 0x80000000, v74
	v_or3_b32 v74, v67, v74, v73
	v_mov_b32_e32 v73, v68
.LBB224_504:                            ;   in Loop: Header=BB224_10 Depth=1
	s_or_b32 exec_lo, exec_lo, s42
.LBB224_505:                            ;   in Loop: Header=BB224_10 Depth=1
	s_or_b32 exec_lo, exec_lo, s41
.LBB224_506:                            ;   in Loop: Header=BB224_10 Depth=1
	s_or_b32 exec_lo, exec_lo, s4
	global_load_ushort v67, v[85:86], off offset:1804
	v_mov_b32_e32 v79, 0
	v_mov_b32_e32 v85, 0
	;; [unrolled: 1-line block ×4, first 2 shown]
	s_waitcnt vmcnt(0)
	v_and_b32_e32 v89, 0xffff, v67
	v_cmp_ne_u16_sdwa s3, v67, v68 src0_sel:BYTE_0 src1_sel:DWORD
	s_and_saveexec_b32 s4, s3
	s_cbranch_execz .LBB224_514
; %bb.507:                              ;   in Loop: Header=BB224_10 Depth=1
	v_bfrev_b32_e32 v85, 1
	v_mov_b32_e32 v86, 0
	v_cmp_ne_u16_sdwa s3, v89, v91 src0_sel:BYTE_0 src1_sel:DWORD
	s_and_saveexec_b32 s41, s3
	s_cbranch_execz .LBB224_513
; %bb.508:                              ;   in Loop: Header=BB224_10 Depth=1
	v_mov_b32_e32 v85, 0x7f800001
	v_and_b32_e32 v83, 0x7f, v89
	v_mov_b32_e32 v86, 0
	s_mov_b32 s42, exec_lo
	v_cmpx_ne_u32_e32 0x7f, v83
	s_cbranch_execz .LBB224_512
; %bb.509:                              ;   in Loop: Header=BB224_10 Depth=1
	v_and_b32_e32 v67, 7, v89
	v_lshrrev_b32_e32 v81, 3, v83
	s_mov_b32 s43, exec_lo
	v_cmpx_gt_u32_e32 8, v83
; %bb.510:                              ;   in Loop: Header=BB224_10 Depth=1
	v_ffbh_u32_e32 v81, v67
	v_min_u32_e32 v81, 32, v81
	v_subrev_nc_u32_e32 v83, 28, v81
	v_sub_nc_u32_e32 v81, 29, v81
	v_lshlrev_b64 v[85:86], v83, v[67:68]
	v_and_b32_e32 v67, 7, v85
; %bb.511:                              ;   in Loop: Header=BB224_10 Depth=1
	s_or_b32 exec_lo, exec_lo, s43
	v_lshlrev_b32_e32 v83, 24, v89
	v_lshlrev_b32_e32 v67, 20, v67
	v_lshl_add_u32 v81, v81, 23, 0x3c000000
	v_and_b32_e32 v83, 0x80000000, v83
	v_or3_b32 v67, v67, v83, v81
	v_mov_b32_e32 v86, v68
	v_mov_b32_e32 v85, v67
.LBB224_512:                            ;   in Loop: Header=BB224_10 Depth=1
	s_or_b32 exec_lo, exec_lo, s42
.LBB224_513:                            ;   in Loop: Header=BB224_10 Depth=1
	s_or_b32 exec_lo, exec_lo, s41
.LBB224_514:                            ;   in Loop: Header=BB224_10 Depth=1
	s_or_b32 exec_lo, exec_lo, s4
	v_cmp_ne_u16_sdwa s3, v89, v68 src0_sel:BYTE_1 src1_sel:DWORD
	s_and_saveexec_b32 s4, s3
	s_cbranch_execz .LBB224_522
; %bb.515:                              ;   in Loop: Header=BB224_10 Depth=1
	v_mov_b32_e32 v83, v68
	v_cmp_ne_u16_sdwa s3, v89, v91 src0_sel:BYTE_1 src1_sel:DWORD
	v_mov_b32_e32 v79, v83
	v_mov_b32_e32 v80, v84
	s_and_saveexec_b32 s41, s3
	s_cbranch_execz .LBB224_521
; %bb.516:                              ;   in Loop: Header=BB224_10 Depth=1
	v_mov_b32_e32 v67, 0xffff
	v_mov_b32_e32 v81, v68
	s_mov_b32 s42, exec_lo
	v_and_b32_sdwa v67, v67, v89 dst_sel:DWORD dst_unused:UNUSED_PAD src0_sel:DWORD src1_sel:BYTE_1
	v_mov_b32_e32 v79, v81
	v_mov_b32_e32 v80, v82
	v_and_b32_e32 v83, 0x7f, v67
	v_cmpx_ne_u32_e32 0x7f, v83
	s_cbranch_execz .LBB224_520
; %bb.517:                              ;   in Loop: Header=BB224_10 Depth=1
	v_and_b32_e32 v67, 7, v67
	v_lshrrev_b32_e32 v79, 3, v83
	s_mov_b32 s43, exec_lo
	v_cmpx_gt_u32_e32 8, v83
; %bb.518:                              ;   in Loop: Header=BB224_10 Depth=1
	v_ffbh_u32_e32 v79, v67
	v_min_u32_e32 v79, 32, v79
	v_subrev_nc_u32_e32 v80, 28, v79
	v_sub_nc_u32_e32 v79, 29, v79
	v_lshlrev_b64 v[80:81], v80, v[67:68]
	v_and_b32_e32 v67, 7, v80
; %bb.519:                              ;   in Loop: Header=BB224_10 Depth=1
	s_or_b32 exec_lo, exec_lo, s43
	v_lshlrev_b32_e32 v80, 16, v89
	v_lshlrev_b32_e32 v67, 20, v67
	v_lshl_add_u32 v79, v79, 23, 0x3c000000
	v_and_b32_e32 v80, 0x80000000, v80
	v_or3_b32 v80, v67, v80, v79
	v_mov_b32_e32 v79, v68
.LBB224_520:                            ;   in Loop: Header=BB224_10 Depth=1
	s_or_b32 exec_lo, exec_lo, s42
.LBB224_521:                            ;   in Loop: Header=BB224_10 Depth=1
	s_or_b32 exec_lo, exec_lo, s41
.LBB224_522:                            ;   in Loop: Header=BB224_10 Depth=1
	s_or_b32 exec_lo, exec_lo, s4
	v_or_b32_e32 v67, v74, v88
	v_or_b32_e32 v73, v73, v87
	s_clause 0x1
	buffer_load_dword v87, off, s[44:47], 0 offset:48
	buffer_load_dword v88, off, s[44:47], 0 offset:52
	v_or_b32_e32 v2, v2, v70
	v_or_b32_e32 v1, v1, v69
	;; [unrolled: 1-line block ×20, first 2 shown]
	v_mul_f32_e32 v38, s5, v38
	v_mul_f32_e32 v37, s40, v37
	v_or_b32_e32 v24, v26, v24
	v_mul_f32_e32 v29, s40, v29
	v_mul_f32_e32 v30, s5, v30
	v_or_b32_e32 v23, v25, v23
	v_or_b32_e32 v25, v106, v104
	v_or_b32_e32 v26, v105, v103
	v_or_b32_e32 v20, v22, v20
	v_or_b32_e32 v19, v21, v19
	v_or_b32_e32 v21, v110, v108
	v_or_b32_e32 v22, v109, v107
	v_mul_f32_e32 v26, s5, v26
	v_mul_f32_e32 v25, s40, v25
	v_or_b32_e32 v16, v18, v16
	v_mul_f32_e32 v21, s40, v21
	v_mul_f32_e32 v22, s5, v22
	v_or_b32_e32 v15, v17, v15
	v_or_b32_e32 v17, v114, v112
	v_or_b32_e32 v18, v113, v111
	v_or_b32_e32 v12, v14, v12
	v_or_b32_e32 v11, v13, v11
	v_or_b32_e32 v13, v118, v116
	v_or_b32_e32 v14, v117, v115
	v_mul_f32_e32 v18, s5, v18
	v_mul_f32_e32 v17, s40, v17
	v_or_b32_e32 v8, v10, v8
	v_mul_f32_e32 v13, s40, v13
	v_mul_f32_e32 v14, s5, v14
	v_or_b32_e32 v7, v9, v7
	v_or_b32_e32 v9, v122, v120
	v_or_b32_e32 v10, v121, v119
	v_or_b32_e32 v4, v6, v4
	v_or_b32_e32 v3, v5, v3
	v_or_b32_e32 v5, v126, v124
	v_or_b32_e32 v6, v125, v123
	v_mul_f32_e32 v10, s5, v10
	v_mul_f32_e32 v9, s40, v9
	;; [unrolled: 1-line block ×5, first 2 shown]
	v_or_b32_e32 v34, v34, v32
	v_or_b32_e32 v46, v53, v51
	;; [unrolled: 1-line block ×8, first 2 shown]
	s_waitcnt vmcnt(1)
	v_or_b32_e32 v70, v93, v87
	s_waitcnt vmcnt(0)
	v_or_b32_e32 v69, v94, v88
	s_clause 0x3
	buffer_load_dword v87, off, s[44:47], 0 offset:32
	buffer_load_dword v88, off, s[44:47], 0 offset:36
	;; [unrolled: 1-line block ×4, first 2 shown]
	s_waitcnt vmcnt(1)
	v_or_b32_e32 v81, v89, v87
	s_waitcnt vmcnt(0)
	v_or_b32_e32 v74, v90, v88
	s_clause 0x3
	buffer_load_dword v88, off, s[44:47], 0 offset:16
	buffer_load_dword v89, off, s[44:47], 0 offset:20
	;; [unrolled: 1-line block ×4, first 2 shown]
	s_waitcnt vmcnt(1)
	v_or_b32_e32 v88, v93, v88
	s_waitcnt vmcnt(0)
	v_or_b32_e32 v83, v94, v89
	s_clause 0x7
	buffer_load_dword v89, off, s[44:47], 0
	buffer_load_dword v90, off, s[44:47], 0 offset:4
	buffer_load_dword v93, off, s[44:47], 0 offset:8
	;; [unrolled: 1-line block ×7, first 2 shown]
	s_waitcnt vmcnt(5)
	v_or_b32_e32 v89, v93, v89
	s_waitcnt vmcnt(4)
	v_or_b32_e32 v87, v94, v90
	v_or_b32_e32 v90, v33, v31
	v_mul_f32_e32 v33, s5, v88
	v_or_b32_e32 v31, v76, v78
	v_mul_f32_e32 v55, s5, v89
	s_waitcnt vmcnt(1)
	v_mul_f32_e32 v33, v58, v33
	v_fmac_f32_e32 v33, v56, v55
	v_mul_f32_e32 v55, s40, v83
	v_mul_f32_e32 v56, s40, v87
	s_waitcnt vmcnt(0)
	v_mul_f32_e32 v55, v59, v55
	v_fmac_f32_e32 v55, v57, v56
	s_clause 0x3
	buffer_load_dword v57, off, s[44:47], 0 offset:76
	buffer_load_dword v58, off, s[44:47], 0 offset:80
	;; [unrolled: 1-line block ×4, first 2 shown]
	v_mul_f32_e32 v56, s5, v81
	s_waitcnt vmcnt(3)
	v_fmac_f32_e32 v33, v57, v56
	v_mul_f32_e32 v56, s40, v74
	s_waitcnt vmcnt(2)
	v_fmac_f32_e32 v55, v58, v56
	v_mul_f32_e32 v56, s5, v70
	s_waitcnt vmcnt(1)
	v_fmac_f32_e32 v33, v59, v56
	v_mul_f32_e32 v56, s40, v69
	s_waitcnt vmcnt(0)
	v_fmac_f32_e32 v55, v60, v56
	s_clause 0x3
	buffer_load_dword v56, off, s[44:47], 0 offset:92
	buffer_load_dword v57, off, s[44:47], 0 offset:96
	buffer_load_dword v58, off, s[44:47], 0 offset:100
	buffer_load_dword v59, off, s[44:47], 0 offset:104
	s_waitcnt vmcnt(3)
	v_fmac_f32_e32 v33, v56, v38
	s_waitcnt vmcnt(2)
	v_fmac_f32_e32 v55, v57, v37
	s_waitcnt vmcnt(1)
	v_fmac_f32_e32 v33, v58, v30
	s_waitcnt vmcnt(0)
	v_fmac_f32_e32 v55, v59, v29
	s_clause 0x3
	buffer_load_dword v56, off, s[44:47], 0 offset:108
	buffer_load_dword v57, off, s[44:47], 0 offset:112
	buffer_load_dword v58, off, s[44:47], 0 offset:116
	buffer_load_dword v59, off, s[44:47], 0 offset:120
	s_waitcnt vmcnt(3)
	v_fmac_f32_e32 v33, v56, v26
	s_waitcnt vmcnt(2)
	v_fmac_f32_e32 v55, v57, v25
	s_waitcnt vmcnt(1)
	v_fmac_f32_e32 v33, v58, v22
	s_waitcnt vmcnt(0)
	v_fmac_f32_e32 v55, v59, v21
	;; [unrolled: 13-line block ×4, first 2 shown]
	s_clause 0x3
	buffer_load_dword v56, off, s[44:47], 0 offset:156
	buffer_load_dword v57, off, s[44:47], 0 offset:160
	;; [unrolled: 1-line block ×4, first 2 shown]
	s_waitcnt vmcnt(3)
	v_fmac_f32_e32 v33, v56, v1
	v_mul_f32_e32 v1, s40, v2
	s_waitcnt vmcnt(2)
	v_fmac_f32_e32 v55, v57, v1
	v_mul_f32_e32 v1, s5, v3
	;; [unrolled: 3-line block ×3, first 2 shown]
	s_clause 0x3
	buffer_load_dword v2, off, s[44:47], 0 offset:172
	buffer_load_dword v3, off, s[44:47], 0 offset:176
	;; [unrolled: 1-line block ×4, first 2 shown]
	s_waitcnt vmcnt(4)
	v_fmac_f32_e32 v55, v59, v1
	v_mul_f32_e32 v1, s5, v7
	s_waitcnt vmcnt(3)
	v_fmac_f32_e32 v33, v2, v1
	v_mul_f32_e32 v1, s40, v8
	;; [unrolled: 3-line block ×4, first 2 shown]
	s_waitcnt vmcnt(0)
	v_fmac_f32_e32 v55, v5, v1
	s_clause 0x3
	buffer_load_dword v2, off, s[44:47], 0 offset:200
	buffer_load_dword v3, off, s[44:47], 0 offset:204
	buffer_load_dword v4, off, s[44:47], 0 offset:208
	buffer_load_dword v5, off, s[44:47], 0 offset:212
	v_mul_f32_e32 v1, s5, v15
	s_waitcnt vmcnt(3)
	v_fmac_f32_e32 v33, v2, v1
	v_mul_f32_e32 v1, s40, v16
	s_waitcnt vmcnt(2)
	v_fmac_f32_e32 v55, v3, v1
	v_mul_f32_e32 v1, s5, v19
	s_waitcnt vmcnt(1)
	v_fmac_f32_e32 v33, v4, v1
	v_mul_f32_e32 v1, s40, v20
	s_waitcnt vmcnt(0)
	v_fmac_f32_e32 v55, v5, v1
	s_clause 0x3
	buffer_load_dword v2, off, s[44:47], 0 offset:216
	buffer_load_dword v3, off, s[44:47], 0 offset:220
	buffer_load_dword v4, off, s[44:47], 0 offset:224
	buffer_load_dword v5, off, s[44:47], 0 offset:228
	v_mul_f32_e32 v1, s5, v23
	s_waitcnt vmcnt(3)
	v_fmac_f32_e32 v33, v2, v1
	v_mul_f32_e32 v1, s40, v24
	s_waitcnt vmcnt(2)
	v_fmac_f32_e32 v55, v3, v1
	v_mul_f32_e32 v1, s5, v27
	s_waitcnt vmcnt(1)
	v_fmac_f32_e32 v33, v4, v1
	v_mul_f32_e32 v1, s40, v28
	;; [unrolled: 17-line block ×7, first 2 shown]
	s_waitcnt vmcnt(0)
	v_fmac_f32_e32 v55, v5, v1
	s_clause 0x3
	buffer_load_dword v2, off, s[44:47], 0 offset:312
	buffer_load_dword v3, off, s[44:47], 0 offset:316
	;; [unrolled: 1-line block ×4, first 2 shown]
	v_mul_f32_e32 v1, s5, v73
	s_waitcnt vmcnt(3)
	v_fmac_f32_e32 v33, v2, v1
	buffer_load_dword v2, off, s[44:47], 0 offset:188 ; 4-byte Folded Reload
	v_mul_f32_e32 v1, s40, v67
	s_waitcnt vmcnt(3)
	v_fmac_f32_e32 v55, v3, v1
	v_mul_f32_e32 v1, s5, v54
	s_waitcnt vmcnt(2)
	v_fmac_f32_e32 v33, v4, v1
	;; [unrolled: 3-line block ×3, first 2 shown]
	v_add_f32_e32 v1, v33, v55
	s_waitcnt vmcnt(0)
	ds_bpermute_b32 v2, v2, v1
	s_and_saveexec_b32 s4, vcc_lo
	s_cbranch_execz .LBB224_9
; %bb.523:                              ;   in Loop: Header=BB224_10 Depth=1
	buffer_load_dword v4, off, s[44:47], 0 offset:56 ; 4-byte Folded Reload
	v_add_nc_u32_e32 v3, s16, v0
	s_waitcnt lgkmcnt(0)
	v_add_f32_e32 v1, v1, v2
	v_cmp_gt_i32_e64 s3, s27, v0
	v_cvt_f32_i32_e32 v3, v3
	v_mul_f32_e32 v3, s36, v3
	v_cndmask_b32_e64 v2, 0, v3, s2
	v_fmac_f32_e32 v2, s37, v1
	s_waitcnt vmcnt(0)
	v_max_f32_e32 v3, v4, v4
	v_max_f32_e32 v1, v3, v2
	v_cndmask_b32_e64 v2, 0, v2, s3
	v_cndmask_b32_e64 v4, v4, v1, s3
	ds_write_b32 v127, v2
	buffer_store_dword v4, off, s[44:47], 0 offset:56 ; 4-byte Folded Spill
	s_branch .LBB224_9
.LBB224_524:
	s_or_b32 exec_lo, exec_lo, s17
	s_clause 0x6
	buffer_load_dword v114, off, s[44:47], 0 offset:328
	buffer_load_dword v115, off, s[44:47], 0 offset:332
	;; [unrolled: 1-line block ×7, first 2 shown]
	v_mov_b32_e32 v8, 32
.LBB224_525:
	s_or_b32 exec_lo, exec_lo, s38
	s_waitcnt vmcnt(1)
	v_xor_b32_e32 v0, 16, v12
	s_waitcnt lgkmcnt(0)
	v_xor_b32_e32 v2, 8, v12
	s_waitcnt vmcnt(0)
	v_max_f32_e32 v4, v3, v3
	v_xor_b32_e32 v5, 2, v12
	v_and_b32_e32 v25, 31, v114
	v_cmp_lt_i32_e32 vcc_lo, v0, v8
	v_cndmask_b32_e32 v0, v12, v0, vcc_lo
	v_cmp_lt_i32_e32 vcc_lo, v2, v8
	v_lshlrev_b32_e32 v1, 2, v0
	v_cndmask_b32_e32 v2, v12, v2, vcc_lo
	ds_bpermute_b32 v0, v1, v3
	v_lshlrev_b32_e32 v3, 2, v2
	s_waitcnt lgkmcnt(0)
	v_max_f32_e32 v0, v0, v0
	v_max_f32_e32 v0, v4, v0
	v_xor_b32_e32 v4, 4, v12
	ds_bpermute_b32 v2, v3, v0
	v_cmp_lt_i32_e32 vcc_lo, v4, v8
	v_cndmask_b32_e32 v4, v12, v4, vcc_lo
	v_cmp_lt_i32_e32 vcc_lo, v5, v8
	v_lshlrev_b32_e32 v4, 2, v4
	v_cndmask_b32_e32 v5, v12, v5, vcc_lo
	v_cmp_eq_u32_e32 vcc_lo, 0, v25
	v_lshlrev_b32_e32 v26, 2, v5
	v_lshlrev_b32_e32 v5, 2, v115
	s_waitcnt lgkmcnt(0)
	v_max_f32_e32 v2, v2, v2
	v_max_f32_e32 v0, v0, v2
	ds_bpermute_b32 v2, v4, v0
	s_waitcnt lgkmcnt(0)
	v_max_f32_e32 v2, v2, v2
	v_max_f32_e32 v0, v0, v2
	ds_bpermute_b32 v2, v26, v0
	s_and_saveexec_b32 s2, vcc_lo
	s_cbranch_execz .LBB224_527
; %bb.526:
	s_waitcnt lgkmcnt(0)
	v_max_f32_e32 v2, v2, v2
	v_max_f32_e32 v0, v0, v0
	;; [unrolled: 1-line block ×3, first 2 shown]
	ds_write_b32 v5, v0 offset:512
.LBB224_527:
	s_or_b32 exec_lo, exec_lo, s2
	v_cmp_gt_u32_e64 s2, 4, v25
	v_mov_b32_e32 v0, 0xff7fffff
	v_lshlrev_b32_e32 v6, 2, v25
	s_waitcnt lgkmcnt(0)
	s_waitcnt_vscnt null, 0x0
	s_barrier
	buffer_gl0_inv
	s_and_saveexec_b32 s3, s2
; %bb.528:
	ds_read_b32 v0, v6 offset:512
; %bb.529:
	s_or_b32 exec_lo, exec_lo, s3
	s_waitcnt lgkmcnt(0)
	ds_bpermute_b32 v2, v26, v0
	v_xor_b32_e32 v7, 1, v12
	v_max_f32_e32 v0, v0, v0
	v_cmp_lt_i32_e64 s3, v7, v8
	v_cndmask_b32_e64 v7, v12, v7, s3
	s_sub_i32 s3, s11, s15
	s_lshl_b32 s3, s3, 4
	v_lshlrev_b32_e32 v27, 2, v7
	s_add_i32 s3, s3, s33
	v_mov_b32_e32 v7, 0
	s_min_i32 s3, s3, s27
	s_waitcnt lgkmcnt(0)
	v_max_f32_e32 v2, v2, v2
	s_sub_i32 s5, s3, s33
	v_cmp_gt_i32_e64 s3, s5, v114
	v_max_f32_e32 v0, v0, v2
	ds_bpermute_b32 v2, v27, v0
	s_waitcnt lgkmcnt(0)
	v_max_f32_e32 v2, v2, v2
	v_max_f32_e32 v0, v0, v2
	v_lshlrev_b32_e32 v2, 2, v68
	ds_bpermute_b32 v0, v2, v0
	v_lshl_add_u32 v2, v114, 2, 0x220
	s_and_saveexec_b32 s15, s3
	s_cbranch_execz .LBB224_533
; %bb.530:
	v_lshl_add_u32 v8, v114, 2, 0x220
	v_mov_b32_e32 v7, 0
	v_mov_b32_e32 v9, v114
	s_mov_b32 s16, 0
	.p2align	6
.LBB224_531:                            ; =>This Inner Loop Header: Depth=1
	ds_read_b32 v10, v8
	v_add_nc_u32_e32 v9, 0x80, v9
	v_cmp_le_i32_e64 s4, s5, v9
	s_or_b32 s16, s4, s16
	s_waitcnt lgkmcnt(0)
	v_sub_f32_e32 v10, v10, v0
	v_mul_f32_e32 v10, 0x3fb8aa3b, v10
	v_exp_f32_e32 v10, v10
	ds_write_b32 v8, v10
	v_add_f32_e32 v7, v7, v10
	v_add_nc_u32_e32 v8, 0x200, v8
	s_andn2_b32 exec_lo, exec_lo, s16
	s_cbranch_execnz .LBB224_531
; %bb.532:
	s_or_b32 exec_lo, exec_lo, s16
.LBB224_533:
	s_or_b32 exec_lo, exec_lo, s15
	ds_bpermute_b32 v1, v1, v7
	s_waitcnt lgkmcnt(0)
	v_add_f32_e32 v1, v7, v1
	ds_bpermute_b32 v3, v3, v1
	s_waitcnt lgkmcnt(0)
	v_add_f32_e32 v1, v1, v3
	;; [unrolled: 3-line block ×5, first 2 shown]
	s_and_saveexec_b32 s4, vcc_lo
; %bb.534:
	ds_write_b32 v5, v1 offset:528
; %bb.535:
	s_or_b32 exec_lo, exec_lo, s4
	s_waitcnt lgkmcnt(0)
	s_barrier
	buffer_gl0_inv
	s_and_saveexec_b32 s4, s2
; %bb.536:
	ds_read_b32 v1, v6 offset:528
; %bb.537:
	s_or_b32 exec_lo, exec_lo, s4
	s_waitcnt lgkmcnt(0)
	ds_bpermute_b32 v3, v26, v1
	v_lshlrev_b32_e32 v4, 2, v12
	s_waitcnt lgkmcnt(0)
	v_add_f32_e32 v1, v1, v3
	ds_bpermute_b32 v3, v27, v1
	s_waitcnt lgkmcnt(0)
	v_add_f32_e32 v1, v1, v3
	v_and_b32_e32 v3, 0xffffff80, v4
	ds_bpermute_b32 v1, v3, v1
	s_and_saveexec_b32 s2, s3
	s_cbranch_execz .LBB224_540
; %bb.538:
	s_waitcnt lgkmcnt(0)
	v_add_f32_e32 v3, 0x358637bd, v1
	s_mov_b32 s3, 0
	v_div_scale_f32 v4, null, v3, v3, 1.0
	v_div_scale_f32 v7, vcc_lo, 1.0, v3, 1.0
	v_rcp_f32_e32 v5, v4
	v_fma_f32 v6, -v4, v5, 1.0
	v_fmac_f32_e32 v5, v6, v5
	v_mul_f32_e32 v6, v7, v5
	v_fma_f32 v8, -v4, v6, v7
	v_fmac_f32_e32 v6, v8, v5
	v_fma_f32 v4, -v4, v6, v7
	v_div_fmas_f32 v4, v4, v5, v6
	v_div_fixup_f32 v3, v4, v3, 1.0
	v_mov_b32_e32 v4, v114
.LBB224_539:                            ; =>This Inner Loop Header: Depth=1
	ds_read_b32 v5, v2
	v_add_nc_u32_e32 v4, 0x80, v4
	v_cmp_le_i32_e32 vcc_lo, s5, v4
	s_or_b32 s3, vcc_lo, s3
	s_waitcnt lgkmcnt(0)
	v_mul_f32_e32 v5, v3, v5
	ds_write_b32 v2, v5
	v_add_nc_u32_e32 v2, 0x200, v2
	s_andn2_b32 exec_lo, exec_lo, s3
	s_cbranch_execnz .LBB224_539
.LBB224_540:
	s_or_b32 exec_lo, exec_lo, s2
	s_mul_i32 s2, s7, s26
	s_mov_b32 s4, exec_lo
	s_mul_i32 s2, s2, s9
	s_waitcnt lgkmcnt(0)
	s_barrier
	buffer_gl0_inv
	v_cmpx_eq_u32_e32 0, v114
	s_cbranch_execz .LBB224_542
; %bb.541:
	s_ashr_i32 s3, s2, 31
	s_mul_i32 s36, s7, s6
	s_lshl_b64 s[16:17], s[2:3], 2
	v_mov_b32_e32 v2, 0
	s_add_u32 s3, s22, s16
	s_addc_u32 s5, s23, s17
	s_ashr_i32 s37, s36, 31
	s_lshl_b64 s[22:23], s[36:37], 2
	s_add_u32 s3, s3, s22
	s_addc_u32 s5, s5, s23
	s_ashr_i32 s9, s8, 31
	s_lshl_b64 s[36:37], s[8:9], 2
	s_add_u32 s38, s3, s36
	s_addc_u32 s39, s5, s37
	s_add_u32 s3, s20, s16
	s_addc_u32 s5, s21, s17
	;; [unrolled: 2-line block ×4, first 2 shown]
	global_store_dword v2, v0, s[38:39]
	global_store_dword v2, v1, s[16:17]
.LBB224_542:
	s_or_b32 exec_lo, exec_lo, s4
	v_mov_b32_e32 v41, 0
	v_and_b32_e32 v28, 3, v114
	v_mov_b32_e32 v43, 0
	v_mov_b32_e32 v42, 0
	;; [unrolled: 1-line block ×15, first 2 shown]
	s_and_saveexec_b32 s3, s1
	s_cbranch_execz .LBB224_1090
; %bb.543:
	s_load_dword s4, s[18:19], 0x0
	v_and_b32_e32 v0, 12, v11
	v_and_b32_e32 v1, 0x7c, v11
	v_lshl_add_u32 v3, v115, 4, s33
	s_ashr_i32 s1, s14, 31
	s_add_u32 s5, s34, s14
	v_lshlrev_b32_e32 v2, 4, v28
	v_add_co_u32 v7, s5, s5, v1
	v_add3_u32 v44, v3, v0, 3
	v_lshlrev_b64 v[0:1], 2, v[116:117]
	s_addc_u32 s1, s35, s1
	s_lshl_b64 s[14:15], s[30:31], 2
	s_add_i32 s12, s12, -1
	v_lshl_or_b32 v2, v115, 6, v2
	v_add_co_ci_u32_e64 v8, null, s1, 0, s5
	s_add_u32 s1, s28, s14
	s_addc_u32 s5, s29, s15
	v_add_co_u32 v9, vcc_lo, s1, v0
	v_mov_b32_e32 v6, 0
	v_add_nc_u32_e32 v45, 0x220, v2
	v_add_co_ci_u32_e64 v10, null, s5, v1, vcc_lo
	v_mov_b32_e32 v46, 0x80
	v_bfrev_b32_e32 v12, 1
	v_mov_b32_e32 v47, 0xffff
	v_mov_b32_e32 v14, 0x7f800001
	;; [unrolled: 1-line block ×21, first 2 shown]
	s_mov_b32 s5, s13
	s_waitcnt lgkmcnt(0)
	s_mov_b32 s9, s4
	s_mov_b32 s6, 0
	s_branch .LBB224_545
.LBB224_544:                            ;   in Loop: Header=BB224_545 Depth=1
	s_or_b32 exec_lo, exec_lo, s1
	s_waitcnt lgkmcnt(0)
	v_mul_f32_e32 v16, v1, v111
	v_mul_f32_e32 v17, v1, v109
	;; [unrolled: 1-line block ×5, first 2 shown]
	v_fmac_f32_e32 v16, v2, v110
	v_fmac_f32_e32 v17, v2, v108
	;; [unrolled: 1-line block ×15, first 2 shown]
	v_add_f32_e32 v29, v29, v16
	v_add_f32_e32 v30, v30, v17
	;; [unrolled: 1-line block ×4, first 2 shown]
	v_mul_f32_e32 v16, v1, v89
	v_mul_f32_e32 v17, v1, v85
	;; [unrolled: 1-line block ×5, first 2 shown]
	v_fmac_f32_e32 v16, v2, v88
	v_fmac_f32_e32 v17, v2, v84
	;; [unrolled: 1-line block ×4, first 2 shown]
	v_add_f32_e32 v33, v33, v20
	v_fmac_f32_e32 v16, v3, v87
	v_fmac_f32_e32 v17, v3, v83
	;; [unrolled: 1-line block ×4, first 2 shown]
	v_mul_f32_e32 v20, v1, v73
	v_fmac_f32_e32 v16, v4, v86
	v_fmac_f32_e32 v17, v4, v82
	;; [unrolled: 1-line block ×5, first 2 shown]
	v_add_f32_e32 v35, v35, v16
	v_add_f32_e32 v36, v36, v17
	;; [unrolled: 1-line block ×3, first 2 shown]
	v_mul_f32_e32 v16, v1, v69
	v_add_f32_e32 v38, v38, v19
	v_mul_f32_e32 v17, v1, v65
	v_mul_f32_e32 v18, v1, v61
	;; [unrolled: 1-line block ×4, first 2 shown]
	v_fmac_f32_e32 v20, v2, v72
	v_fmac_f32_e32 v16, v2, v68
	;; [unrolled: 1-line block ×13, first 2 shown]
	v_add_nc_u32_e32 v116, 4, v116
	v_fmac_f32_e32 v21, v4, v90
	v_fmac_f32_e32 v20, v4, v70
	;; [unrolled: 1-line block ×7, first 2 shown]
	v_cmp_le_i32_e32 vcc_lo, s11, v116
	v_add_co_u32 v9, s1, v9, 16
	v_add_f32_e32 v34, v34, v21
	v_add_f32_e32 v39, v39, v20
	;; [unrolled: 1-line block ×7, first 2 shown]
	v_add_nc_u32_e32 v44, 64, v44
	v_add_nc_u32_e32 v45, 0x100, v45
	v_add_co_ci_u32_e64 v10, null, 0, v10, s1
	s_or_b32 s6, vcc_lo, s6
	s_andn2_b32 exec_lo, exec_lo, s6
	s_cbranch_execz .LBB224_1089
.LBB224_545:                            ; =>This Inner Loop Header: Depth=1
	global_load_dword v1, v[9:10], off
	v_mov_b32_e32 v19, 0
	v_mov_b32_e32 v17, 0
	v_mov_b32_e32 v20, 0
	v_mov_b32_e32 v18, 0
	s_waitcnt vmcnt(0)
	v_mad_i64_i32 v[15:16], null, v1, s5, v[7:8]
	ds_read_b128 v[1:4], v45
	global_load_dword v51, v[15:16], off
	s_waitcnt vmcnt(0)
	v_cmp_ne_u16_sdwa s13, v51, v6 src0_sel:BYTE_0 src1_sel:DWORD
	s_and_saveexec_b32 s1, s13
	s_cbranch_execz .LBB224_553
; %bb.546:                              ;   in Loop: Header=BB224_545 Depth=1
	v_bfrev_b32_e32 v17, 1
	v_mov_b32_e32 v18, 0
	v_cmp_ne_u16_sdwa s14, v51, v46 src0_sel:BYTE_0 src1_sel:DWORD
	s_and_saveexec_b32 s13, s14
	s_cbranch_execz .LBB224_552
; %bb.547:                              ;   in Loop: Header=BB224_545 Depth=1
	v_mov_b32_e32 v17, 0x7f800001
	v_and_b32_e32 v13, 0x7f, v51
	v_mov_b32_e32 v18, 0
	s_mov_b32 s14, exec_lo
	v_cmpx_ne_u32_e32 0x7f, v13
	s_cbranch_execz .LBB224_551
; %bb.548:                              ;   in Loop: Header=BB224_545 Depth=1
	v_and_b32_e32 v5, 7, v51
	v_lshrrev_b32_e32 v11, 3, v13
	s_mov_b32 s15, exec_lo
	v_cmpx_gt_u32_e32 8, v13
; %bb.549:                              ;   in Loop: Header=BB224_545 Depth=1
	v_ffbh_u32_e32 v11, v5
	v_min_u32_e32 v11, 32, v11
	v_subrev_nc_u32_e32 v13, 28, v11
	v_sub_nc_u32_e32 v11, 29, v11
	v_lshlrev_b64 v[17:18], v13, v[5:6]
	v_and_b32_e32 v5, 7, v17
; %bb.550:                              ;   in Loop: Header=BB224_545 Depth=1
	s_or_b32 exec_lo, exec_lo, s15
	v_lshlrev_b32_e32 v13, 24, v51
	v_lshlrev_b32_e32 v5, 20, v5
	v_lshl_add_u32 v11, v11, 23, 0x3c000000
	v_and_b32_e32 v13, 0x80000000, v13
	v_or3_b32 v5, v5, v13, v11
	v_mov_b32_e32 v18, v6
	v_mov_b32_e32 v17, v5
.LBB224_551:                            ;   in Loop: Header=BB224_545 Depth=1
	s_or_b32 exec_lo, exec_lo, s14
.LBB224_552:                            ;   in Loop: Header=BB224_545 Depth=1
	s_or_b32 exec_lo, exec_lo, s13
.LBB224_553:                            ;   in Loop: Header=BB224_545 Depth=1
	s_or_b32 exec_lo, exec_lo, s1
	v_cmp_ne_u16_sdwa s13, v51, v6 src0_sel:BYTE_1 src1_sel:DWORD
	s_and_saveexec_b32 s1, s13
	s_cbranch_execz .LBB224_561
; %bb.554:                              ;   in Loop: Header=BB224_545 Depth=1
	v_mov_b32_e32 v11, v6
	v_mov_b32_e32 v20, v12
	v_cmp_ne_u16_sdwa s14, v51, v46 src0_sel:BYTE_1 src1_sel:DWORD
	v_mov_b32_e32 v19, v11
	s_and_saveexec_b32 s13, s14
	s_cbranch_execz .LBB224_560
; %bb.555:                              ;   in Loop: Header=BB224_545 Depth=1
	v_and_b32_sdwa v5, v47, v51 dst_sel:DWORD dst_unused:UNUSED_PAD src0_sel:DWORD src1_sel:BYTE_1
	v_mov_b32_e32 v13, v6
	v_mov_b32_e32 v20, v14
	s_mov_b32 s14, exec_lo
	v_and_b32_e32 v21, 0x7f, v5
	v_mov_b32_e32 v19, v13
	v_cmpx_ne_u32_e32 0x7f, v21
	s_cbranch_execz .LBB224_559
; %bb.556:                              ;   in Loop: Header=BB224_545 Depth=1
	v_and_b32_e32 v5, 7, v5
	v_lshrrev_b32_e32 v11, 3, v21
	s_mov_b32 s15, exec_lo
	v_cmpx_gt_u32_e32 8, v21
; %bb.557:                              ;   in Loop: Header=BB224_545 Depth=1
	v_ffbh_u32_e32 v11, v5
	v_min_u32_e32 v11, 32, v11
	v_subrev_nc_u32_e32 v13, 28, v11
	v_sub_nc_u32_e32 v11, 29, v11
	v_lshlrev_b64 v[19:20], v13, v[5:6]
	v_and_b32_e32 v5, 7, v19
; %bb.558:                              ;   in Loop: Header=BB224_545 Depth=1
	s_or_b32 exec_lo, exec_lo, s15
	v_lshlrev_b32_e32 v13, 16, v51
	v_lshlrev_b32_e32 v5, 20, v5
	v_lshl_add_u32 v11, v11, 23, 0x3c000000
	v_mov_b32_e32 v19, v6
	v_and_b32_e32 v13, 0x80000000, v13
	v_or3_b32 v20, v5, v13, v11
.LBB224_559:                            ;   in Loop: Header=BB224_545 Depth=1
	s_or_b32 exec_lo, exec_lo, s14
.LBB224_560:                            ;   in Loop: Header=BB224_545 Depth=1
	s_or_b32 exec_lo, exec_lo, s13
.LBB224_561:                            ;   in Loop: Header=BB224_545 Depth=1
	s_or_b32 exec_lo, exec_lo, s1
	v_mov_b32_e32 v23, 0
	v_mov_b32_e32 v21, 0
	v_and_b32_sdwa v5, v51, v48 dst_sel:DWORD dst_unused:UNUSED_PAD src0_sel:WORD_1 src1_sel:DWORD
	v_mov_b32_e32 v24, 0
	v_mov_b32_e32 v22, 0
	s_mov_b32 s1, exec_lo
	v_cmpx_ne_u16_e32 0, v5
	s_cbranch_execz .LBB224_569
; %bb.562:                              ;   in Loop: Header=BB224_545 Depth=1
	v_bfrev_b32_e32 v21, 1
	v_mov_b32_e32 v22, 0
	s_mov_b32 s13, exec_lo
	v_cmpx_ne_u16_e32 0x80, v5
	s_cbranch_execz .LBB224_568
; %bb.563:                              ;   in Loop: Header=BB224_545 Depth=1
	v_mov_b32_e32 v21, 0x7f800001
	v_bfe_u32 v13, v51, 16, 7
	v_mov_b32_e32 v22, 0
	s_mov_b32 s14, exec_lo
	v_cmpx_ne_u32_e32 0x7f, v13
	s_cbranch_execz .LBB224_567
; %bb.564:                              ;   in Loop: Header=BB224_545 Depth=1
	v_and_b32_sdwa v5, v51, v49 dst_sel:DWORD dst_unused:UNUSED_PAD src0_sel:WORD_1 src1_sel:DWORD
	v_lshrrev_b32_e32 v11, 3, v13
	s_mov_b32 s15, exec_lo
	v_cmpx_gt_u32_e32 8, v13
; %bb.565:                              ;   in Loop: Header=BB224_545 Depth=1
	v_ffbh_u32_e32 v11, v5
	v_min_u32_e32 v11, 32, v11
	v_subrev_nc_u32_e32 v13, 28, v11
	v_sub_nc_u32_e32 v11, 29, v11
	v_lshlrev_b64 v[21:22], v13, v[5:6]
	v_and_b32_e32 v5, 7, v21
; %bb.566:                              ;   in Loop: Header=BB224_545 Depth=1
	s_or_b32 exec_lo, exec_lo, s15
	v_lshlrev_b32_sdwa v13, v50, v51 dst_sel:DWORD dst_unused:UNUSED_PAD src0_sel:DWORD src1_sel:WORD_1
	v_lshlrev_b32_e32 v5, 20, v5
	v_lshl_add_u32 v11, v11, 23, 0x3c000000
	v_and_b32_e32 v13, 0x80000000, v13
	v_or3_b32 v5, v5, v13, v11
	v_mov_b32_e32 v22, v6
	v_mov_b32_e32 v21, v5
.LBB224_567:                            ;   in Loop: Header=BB224_545 Depth=1
	s_or_b32 exec_lo, exec_lo, s14
.LBB224_568:                            ;   in Loop: Header=BB224_545 Depth=1
	s_or_b32 exec_lo, exec_lo, s13
.LBB224_569:                            ;   in Loop: Header=BB224_545 Depth=1
	s_or_b32 exec_lo, exec_lo, s1
	s_mov_b32 s1, exec_lo
	v_cmpx_lt_u32_e32 0xffffff, v51
	s_cbranch_execz .LBB224_577
; %bb.570:                              ;   in Loop: Header=BB224_545 Depth=1
	v_mov_b32_e32 v11, v6
	v_mov_b32_e32 v24, v12
	v_cmp_ne_u32_sdwa s14, v51, v46 src0_sel:BYTE_3 src1_sel:DWORD
	v_mov_b32_e32 v23, v11
	s_and_saveexec_b32 s13, s14
	s_cbranch_execz .LBB224_576
; %bb.571:                              ;   in Loop: Header=BB224_545 Depth=1
	v_mov_b32_e32 v13, v6
	v_mov_b32_e32 v24, v14
	v_bfe_u32 v52, v51, 24, 7
	s_mov_b32 s14, exec_lo
	v_mov_b32_e32 v23, v13
	v_cmpx_ne_u32_e32 0x7f, v52
	s_cbranch_execz .LBB224_575
; %bb.572:                              ;   in Loop: Header=BB224_545 Depth=1
	v_and_b32_sdwa v5, v51, v49 dst_sel:DWORD dst_unused:UNUSED_PAD src0_sel:BYTE_3 src1_sel:DWORD
	v_lshrrev_b32_e32 v11, 3, v52
	s_mov_b32 s15, exec_lo
	v_cmpx_gt_u32_e32 8, v52
; %bb.573:                              ;   in Loop: Header=BB224_545 Depth=1
	v_ffbh_u32_e32 v11, v5
	v_min_u32_e32 v11, 32, v11
	v_subrev_nc_u32_e32 v13, 28, v11
	v_sub_nc_u32_e32 v11, 29, v11
	v_lshlrev_b64 v[23:24], v13, v[5:6]
	v_and_b32_e32 v5, 7, v23
; %bb.574:                              ;   in Loop: Header=BB224_545 Depth=1
	s_or_b32 exec_lo, exec_lo, s15
	v_lshlrev_b32_sdwa v13, v50, v51 dst_sel:DWORD dst_unused:UNUSED_PAD src0_sel:DWORD src1_sel:BYTE_3
	v_lshlrev_b32_e32 v5, 20, v5
	v_lshl_add_u32 v11, v11, 23, 0x3c000000
	v_mov_b32_e32 v23, v6
	v_and_b32_e32 v13, 0x80000000, v13
	v_or3_b32 v24, v5, v13, v11
.LBB224_575:                            ;   in Loop: Header=BB224_545 Depth=1
	s_or_b32 exec_lo, exec_lo, s14
.LBB224_576:                            ;   in Loop: Header=BB224_545 Depth=1
	s_or_b32 exec_lo, exec_lo, s13
.LBB224_577:                            ;   in Loop: Header=BB224_545 Depth=1
	s_or_b32 exec_lo, exec_lo, s1
	v_or_b32_e32 v5, v20, v18
	v_or_b32_e32 v11, v19, v17
	;; [unrolled: 1-line block ×4, first 2 shown]
	v_add_nc_u32_e32 v55, -3, v44
	v_cmp_eq_u32_e32 vcc_lo, s12, v116
	v_mul_f32_e32 v53, s9, v5
	v_mul_f32_e32 v54, s4, v11
	v_mul_f32_e32 v52, s4, v13
	v_mul_f32_e32 v51, s9, v17
	v_add_nc_u32_e32 v57, -2, v44
	v_add_nc_u32_e32 v56, -1, v44
	s_and_saveexec_b32 s13, vcc_lo
	s_cbranch_execz .LBB224_579
; %bb.578:                              ;   in Loop: Header=BB224_545 Depth=1
	v_cmp_gt_i32_e64 s1, s27, v55
	v_cndmask_b32_e64 v54, 0, v54, s1
	v_cmp_gt_i32_e64 s1, s27, v57
	v_cndmask_b32_e64 v53, 0, v53, s1
	;; [unrolled: 2-line block ×4, first 2 shown]
.LBB224_579:                            ;   in Loop: Header=BB224_545 Depth=1
	s_or_b32 exec_lo, exec_lo, s13
	global_load_dword v58, v[15:16], off offset:128
	v_mov_b32_e32 v19, 0
	v_mov_b32_e32 v17, 0
	;; [unrolled: 1-line block ×4, first 2 shown]
	s_waitcnt vmcnt(0)
	v_cmp_ne_u16_sdwa s1, v58, v6 src0_sel:BYTE_0 src1_sel:DWORD
	s_and_saveexec_b32 s13, s1
	s_cbranch_execz .LBB224_587
; %bb.580:                              ;   in Loop: Header=BB224_545 Depth=1
	v_bfrev_b32_e32 v17, 1
	v_mov_b32_e32 v18, 0
	v_cmp_ne_u16_sdwa s1, v58, v46 src0_sel:BYTE_0 src1_sel:DWORD
	s_and_saveexec_b32 s14, s1
	s_cbranch_execz .LBB224_586
; %bb.581:                              ;   in Loop: Header=BB224_545 Depth=1
	v_mov_b32_e32 v17, 0x7f800001
	v_and_b32_e32 v13, 0x7f, v58
	v_mov_b32_e32 v18, 0
	s_mov_b32 s15, exec_lo
	v_cmpx_ne_u32_e32 0x7f, v13
	s_cbranch_execz .LBB224_585
; %bb.582:                              ;   in Loop: Header=BB224_545 Depth=1
	v_and_b32_e32 v5, 7, v58
	v_lshrrev_b32_e32 v11, 3, v13
	s_mov_b32 s16, exec_lo
	v_cmpx_gt_u32_e32 8, v13
; %bb.583:                              ;   in Loop: Header=BB224_545 Depth=1
	v_ffbh_u32_e32 v11, v5
	v_min_u32_e32 v11, 32, v11
	v_subrev_nc_u32_e32 v13, 28, v11
	v_sub_nc_u32_e32 v11, 29, v11
	v_lshlrev_b64 v[17:18], v13, v[5:6]
	v_and_b32_e32 v5, 7, v17
; %bb.584:                              ;   in Loop: Header=BB224_545 Depth=1
	s_or_b32 exec_lo, exec_lo, s16
	v_lshlrev_b32_e32 v13, 24, v58
	v_lshlrev_b32_e32 v5, 20, v5
	v_lshl_add_u32 v11, v11, 23, 0x3c000000
	v_and_b32_e32 v13, 0x80000000, v13
	v_or3_b32 v5, v5, v13, v11
	v_mov_b32_e32 v18, v6
	v_mov_b32_e32 v17, v5
.LBB224_585:                            ;   in Loop: Header=BB224_545 Depth=1
	s_or_b32 exec_lo, exec_lo, s15
.LBB224_586:                            ;   in Loop: Header=BB224_545 Depth=1
	s_or_b32 exec_lo, exec_lo, s14
.LBB224_587:                            ;   in Loop: Header=BB224_545 Depth=1
	s_or_b32 exec_lo, exec_lo, s13
	v_cmp_ne_u16_sdwa s1, v58, v6 src0_sel:BYTE_1 src1_sel:DWORD
	s_and_saveexec_b32 s13, s1
	s_cbranch_execz .LBB224_595
; %bb.588:                              ;   in Loop: Header=BB224_545 Depth=1
	v_mov_b32_e32 v11, v6
	v_mov_b32_e32 v20, v12
	v_cmp_ne_u16_sdwa s1, v58, v46 src0_sel:BYTE_1 src1_sel:DWORD
	v_mov_b32_e32 v19, v11
	s_and_saveexec_b32 s14, s1
	s_cbranch_execz .LBB224_594
; %bb.589:                              ;   in Loop: Header=BB224_545 Depth=1
	v_and_b32_sdwa v5, v47, v58 dst_sel:DWORD dst_unused:UNUSED_PAD src0_sel:DWORD src1_sel:BYTE_1
	v_mov_b32_e32 v13, v6
	v_mov_b32_e32 v20, v14
	s_mov_b32 s15, exec_lo
	v_and_b32_e32 v21, 0x7f, v5
	v_mov_b32_e32 v19, v13
	v_cmpx_ne_u32_e32 0x7f, v21
	s_cbranch_execz .LBB224_593
; %bb.590:                              ;   in Loop: Header=BB224_545 Depth=1
	v_and_b32_e32 v5, 7, v5
	v_lshrrev_b32_e32 v11, 3, v21
	s_mov_b32 s16, exec_lo
	v_cmpx_gt_u32_e32 8, v21
; %bb.591:                              ;   in Loop: Header=BB224_545 Depth=1
	v_ffbh_u32_e32 v11, v5
	v_min_u32_e32 v11, 32, v11
	v_subrev_nc_u32_e32 v13, 28, v11
	v_sub_nc_u32_e32 v11, 29, v11
	v_lshlrev_b64 v[19:20], v13, v[5:6]
	v_and_b32_e32 v5, 7, v19
; %bb.592:                              ;   in Loop: Header=BB224_545 Depth=1
	s_or_b32 exec_lo, exec_lo, s16
	v_lshlrev_b32_e32 v13, 16, v58
	v_lshlrev_b32_e32 v5, 20, v5
	v_lshl_add_u32 v11, v11, 23, 0x3c000000
	v_mov_b32_e32 v19, v6
	v_and_b32_e32 v13, 0x80000000, v13
	v_or3_b32 v20, v5, v13, v11
.LBB224_593:                            ;   in Loop: Header=BB224_545 Depth=1
	s_or_b32 exec_lo, exec_lo, s15
.LBB224_594:                            ;   in Loop: Header=BB224_545 Depth=1
	s_or_b32 exec_lo, exec_lo, s14
.LBB224_595:                            ;   in Loop: Header=BB224_545 Depth=1
	s_or_b32 exec_lo, exec_lo, s13
	v_mov_b32_e32 v23, 0
	v_mov_b32_e32 v21, 0
	v_and_b32_sdwa v5, v58, v48 dst_sel:DWORD dst_unused:UNUSED_PAD src0_sel:WORD_1 src1_sel:DWORD
	v_mov_b32_e32 v24, 0
	v_mov_b32_e32 v22, 0
	s_mov_b32 s13, exec_lo
	v_cmpx_ne_u16_e32 0, v5
	s_cbranch_execz .LBB224_603
; %bb.596:                              ;   in Loop: Header=BB224_545 Depth=1
	v_bfrev_b32_e32 v21, 1
	v_mov_b32_e32 v22, 0
	s_mov_b32 s14, exec_lo
	v_cmpx_ne_u16_e32 0x80, v5
	s_cbranch_execz .LBB224_602
; %bb.597:                              ;   in Loop: Header=BB224_545 Depth=1
	v_mov_b32_e32 v21, 0x7f800001
	v_bfe_u32 v13, v58, 16, 7
	v_mov_b32_e32 v22, 0
	s_mov_b32 s15, exec_lo
	v_cmpx_ne_u32_e32 0x7f, v13
	s_cbranch_execz .LBB224_601
; %bb.598:                              ;   in Loop: Header=BB224_545 Depth=1
	v_and_b32_sdwa v5, v58, v49 dst_sel:DWORD dst_unused:UNUSED_PAD src0_sel:WORD_1 src1_sel:DWORD
	v_lshrrev_b32_e32 v11, 3, v13
	s_mov_b32 s16, exec_lo
	v_cmpx_gt_u32_e32 8, v13
; %bb.599:                              ;   in Loop: Header=BB224_545 Depth=1
	v_ffbh_u32_e32 v11, v5
	v_min_u32_e32 v11, 32, v11
	v_subrev_nc_u32_e32 v13, 28, v11
	v_sub_nc_u32_e32 v11, 29, v11
	v_lshlrev_b64 v[21:22], v13, v[5:6]
	v_and_b32_e32 v5, 7, v21
; %bb.600:                              ;   in Loop: Header=BB224_545 Depth=1
	s_or_b32 exec_lo, exec_lo, s16
	v_lshlrev_b32_sdwa v13, v50, v58 dst_sel:DWORD dst_unused:UNUSED_PAD src0_sel:DWORD src1_sel:WORD_1
	v_lshlrev_b32_e32 v5, 20, v5
	v_lshl_add_u32 v11, v11, 23, 0x3c000000
	v_and_b32_e32 v13, 0x80000000, v13
	v_or3_b32 v5, v5, v13, v11
	v_mov_b32_e32 v22, v6
	v_mov_b32_e32 v21, v5
.LBB224_601:                            ;   in Loop: Header=BB224_545 Depth=1
	s_or_b32 exec_lo, exec_lo, s15
.LBB224_602:                            ;   in Loop: Header=BB224_545 Depth=1
	s_or_b32 exec_lo, exec_lo, s14
.LBB224_603:                            ;   in Loop: Header=BB224_545 Depth=1
	s_or_b32 exec_lo, exec_lo, s13
	s_mov_b32 s13, exec_lo
	v_cmpx_lt_u32_e32 0xffffff, v58
	s_cbranch_execz .LBB224_611
; %bb.604:                              ;   in Loop: Header=BB224_545 Depth=1
	v_mov_b32_e32 v11, v6
	v_mov_b32_e32 v24, v12
	v_cmp_ne_u32_sdwa s1, v58, v46 src0_sel:BYTE_3 src1_sel:DWORD
	v_mov_b32_e32 v23, v11
	s_and_saveexec_b32 s14, s1
	s_cbranch_execz .LBB224_610
; %bb.605:                              ;   in Loop: Header=BB224_545 Depth=1
	v_mov_b32_e32 v13, v6
	v_mov_b32_e32 v24, v14
	v_bfe_u32 v59, v58, 24, 7
	s_mov_b32 s15, exec_lo
	v_mov_b32_e32 v23, v13
	v_cmpx_ne_u32_e32 0x7f, v59
	s_cbranch_execz .LBB224_609
; %bb.606:                              ;   in Loop: Header=BB224_545 Depth=1
	v_and_b32_sdwa v5, v58, v49 dst_sel:DWORD dst_unused:UNUSED_PAD src0_sel:BYTE_3 src1_sel:DWORD
	v_lshrrev_b32_e32 v11, 3, v59
	s_mov_b32 s16, exec_lo
	v_cmpx_gt_u32_e32 8, v59
; %bb.607:                              ;   in Loop: Header=BB224_545 Depth=1
	v_ffbh_u32_e32 v11, v5
	v_min_u32_e32 v11, 32, v11
	v_subrev_nc_u32_e32 v13, 28, v11
	v_sub_nc_u32_e32 v11, 29, v11
	v_lshlrev_b64 v[23:24], v13, v[5:6]
	v_and_b32_e32 v5, 7, v23
; %bb.608:                              ;   in Loop: Header=BB224_545 Depth=1
	s_or_b32 exec_lo, exec_lo, s16
	v_lshlrev_b32_sdwa v13, v50, v58 dst_sel:DWORD dst_unused:UNUSED_PAD src0_sel:DWORD src1_sel:BYTE_3
	v_lshlrev_b32_e32 v5, 20, v5
	v_lshl_add_u32 v11, v11, 23, 0x3c000000
	v_mov_b32_e32 v23, v6
	v_and_b32_e32 v13, 0x80000000, v13
	v_or3_b32 v24, v5, v13, v11
.LBB224_609:                            ;   in Loop: Header=BB224_545 Depth=1
	s_or_b32 exec_lo, exec_lo, s15
.LBB224_610:                            ;   in Loop: Header=BB224_545 Depth=1
	s_or_b32 exec_lo, exec_lo, s14
.LBB224_611:                            ;   in Loop: Header=BB224_545 Depth=1
	s_or_b32 exec_lo, exec_lo, s13
	v_or_b32_e32 v5, v20, v18
	v_or_b32_e32 v11, v19, v17
	;; [unrolled: 1-line block ×4, first 2 shown]
	v_mul_f32_e32 v60, s9, v5
	v_mul_f32_e32 v61, s4, v11
	;; [unrolled: 1-line block ×4, first 2 shown]
	s_and_saveexec_b32 s13, vcc_lo
	s_cbranch_execz .LBB224_613
; %bb.612:                              ;   in Loop: Header=BB224_545 Depth=1
	v_cmp_gt_i32_e64 s1, s27, v55
	v_cndmask_b32_e64 v61, 0, v61, s1
	v_cmp_gt_i32_e64 s1, s27, v57
	v_cndmask_b32_e64 v60, 0, v60, s1
	;; [unrolled: 2-line block ×4, first 2 shown]
.LBB224_613:                            ;   in Loop: Header=BB224_545 Depth=1
	s_or_b32 exec_lo, exec_lo, s13
	global_load_dword v62, v[15:16], off offset:256
	v_mov_b32_e32 v19, 0
	v_mov_b32_e32 v17, 0
	;; [unrolled: 1-line block ×4, first 2 shown]
	s_waitcnt vmcnt(0)
	v_cmp_ne_u16_sdwa s1, v62, v6 src0_sel:BYTE_0 src1_sel:DWORD
	s_and_saveexec_b32 s13, s1
	s_cbranch_execz .LBB224_621
; %bb.614:                              ;   in Loop: Header=BB224_545 Depth=1
	v_bfrev_b32_e32 v17, 1
	v_mov_b32_e32 v18, 0
	v_cmp_ne_u16_sdwa s1, v62, v46 src0_sel:BYTE_0 src1_sel:DWORD
	s_and_saveexec_b32 s14, s1
	s_cbranch_execz .LBB224_620
; %bb.615:                              ;   in Loop: Header=BB224_545 Depth=1
	v_mov_b32_e32 v17, 0x7f800001
	v_and_b32_e32 v13, 0x7f, v62
	v_mov_b32_e32 v18, 0
	s_mov_b32 s15, exec_lo
	v_cmpx_ne_u32_e32 0x7f, v13
	s_cbranch_execz .LBB224_619
; %bb.616:                              ;   in Loop: Header=BB224_545 Depth=1
	v_and_b32_e32 v5, 7, v62
	v_lshrrev_b32_e32 v11, 3, v13
	s_mov_b32 s16, exec_lo
	v_cmpx_gt_u32_e32 8, v13
; %bb.617:                              ;   in Loop: Header=BB224_545 Depth=1
	v_ffbh_u32_e32 v11, v5
	v_min_u32_e32 v11, 32, v11
	v_subrev_nc_u32_e32 v13, 28, v11
	v_sub_nc_u32_e32 v11, 29, v11
	v_lshlrev_b64 v[17:18], v13, v[5:6]
	v_and_b32_e32 v5, 7, v17
; %bb.618:                              ;   in Loop: Header=BB224_545 Depth=1
	s_or_b32 exec_lo, exec_lo, s16
	v_lshlrev_b32_e32 v13, 24, v62
	v_lshlrev_b32_e32 v5, 20, v5
	v_lshl_add_u32 v11, v11, 23, 0x3c000000
	v_and_b32_e32 v13, 0x80000000, v13
	v_or3_b32 v5, v5, v13, v11
	v_mov_b32_e32 v18, v6
	v_mov_b32_e32 v17, v5
.LBB224_619:                            ;   in Loop: Header=BB224_545 Depth=1
	s_or_b32 exec_lo, exec_lo, s15
.LBB224_620:                            ;   in Loop: Header=BB224_545 Depth=1
	s_or_b32 exec_lo, exec_lo, s14
.LBB224_621:                            ;   in Loop: Header=BB224_545 Depth=1
	s_or_b32 exec_lo, exec_lo, s13
	v_cmp_ne_u16_sdwa s1, v62, v6 src0_sel:BYTE_1 src1_sel:DWORD
	s_and_saveexec_b32 s13, s1
	s_cbranch_execz .LBB224_629
; %bb.622:                              ;   in Loop: Header=BB224_545 Depth=1
	v_mov_b32_e32 v11, v6
	v_mov_b32_e32 v20, v12
	v_cmp_ne_u16_sdwa s1, v62, v46 src0_sel:BYTE_1 src1_sel:DWORD
	v_mov_b32_e32 v19, v11
	s_and_saveexec_b32 s14, s1
	s_cbranch_execz .LBB224_628
; %bb.623:                              ;   in Loop: Header=BB224_545 Depth=1
	v_and_b32_sdwa v5, v47, v62 dst_sel:DWORD dst_unused:UNUSED_PAD src0_sel:DWORD src1_sel:BYTE_1
	v_mov_b32_e32 v13, v6
	v_mov_b32_e32 v20, v14
	s_mov_b32 s15, exec_lo
	v_and_b32_e32 v21, 0x7f, v5
	v_mov_b32_e32 v19, v13
	v_cmpx_ne_u32_e32 0x7f, v21
	s_cbranch_execz .LBB224_627
; %bb.624:                              ;   in Loop: Header=BB224_545 Depth=1
	v_and_b32_e32 v5, 7, v5
	v_lshrrev_b32_e32 v11, 3, v21
	s_mov_b32 s16, exec_lo
	v_cmpx_gt_u32_e32 8, v21
; %bb.625:                              ;   in Loop: Header=BB224_545 Depth=1
	v_ffbh_u32_e32 v11, v5
	v_min_u32_e32 v11, 32, v11
	v_subrev_nc_u32_e32 v13, 28, v11
	v_sub_nc_u32_e32 v11, 29, v11
	v_lshlrev_b64 v[19:20], v13, v[5:6]
	v_and_b32_e32 v5, 7, v19
; %bb.626:                              ;   in Loop: Header=BB224_545 Depth=1
	s_or_b32 exec_lo, exec_lo, s16
	v_lshlrev_b32_e32 v13, 16, v62
	v_lshlrev_b32_e32 v5, 20, v5
	v_lshl_add_u32 v11, v11, 23, 0x3c000000
	v_mov_b32_e32 v19, v6
	v_and_b32_e32 v13, 0x80000000, v13
	v_or3_b32 v20, v5, v13, v11
.LBB224_627:                            ;   in Loop: Header=BB224_545 Depth=1
	s_or_b32 exec_lo, exec_lo, s15
.LBB224_628:                            ;   in Loop: Header=BB224_545 Depth=1
	s_or_b32 exec_lo, exec_lo, s14
.LBB224_629:                            ;   in Loop: Header=BB224_545 Depth=1
	s_or_b32 exec_lo, exec_lo, s13
	v_mov_b32_e32 v23, 0
	v_mov_b32_e32 v21, 0
	v_and_b32_sdwa v5, v62, v48 dst_sel:DWORD dst_unused:UNUSED_PAD src0_sel:WORD_1 src1_sel:DWORD
	v_mov_b32_e32 v24, 0
	v_mov_b32_e32 v22, 0
	s_mov_b32 s13, exec_lo
	v_cmpx_ne_u16_e32 0, v5
	s_cbranch_execz .LBB224_637
; %bb.630:                              ;   in Loop: Header=BB224_545 Depth=1
	v_bfrev_b32_e32 v21, 1
	v_mov_b32_e32 v22, 0
	s_mov_b32 s14, exec_lo
	v_cmpx_ne_u16_e32 0x80, v5
	s_cbranch_execz .LBB224_636
; %bb.631:                              ;   in Loop: Header=BB224_545 Depth=1
	v_mov_b32_e32 v21, 0x7f800001
	v_bfe_u32 v13, v62, 16, 7
	v_mov_b32_e32 v22, 0
	s_mov_b32 s15, exec_lo
	v_cmpx_ne_u32_e32 0x7f, v13
	s_cbranch_execz .LBB224_635
; %bb.632:                              ;   in Loop: Header=BB224_545 Depth=1
	v_and_b32_sdwa v5, v62, v49 dst_sel:DWORD dst_unused:UNUSED_PAD src0_sel:WORD_1 src1_sel:DWORD
	v_lshrrev_b32_e32 v11, 3, v13
	s_mov_b32 s16, exec_lo
	v_cmpx_gt_u32_e32 8, v13
; %bb.633:                              ;   in Loop: Header=BB224_545 Depth=1
	v_ffbh_u32_e32 v11, v5
	v_min_u32_e32 v11, 32, v11
	v_subrev_nc_u32_e32 v13, 28, v11
	v_sub_nc_u32_e32 v11, 29, v11
	v_lshlrev_b64 v[21:22], v13, v[5:6]
	v_and_b32_e32 v5, 7, v21
; %bb.634:                              ;   in Loop: Header=BB224_545 Depth=1
	s_or_b32 exec_lo, exec_lo, s16
	v_lshlrev_b32_sdwa v13, v50, v62 dst_sel:DWORD dst_unused:UNUSED_PAD src0_sel:DWORD src1_sel:WORD_1
	v_lshlrev_b32_e32 v5, 20, v5
	v_lshl_add_u32 v11, v11, 23, 0x3c000000
	v_and_b32_e32 v13, 0x80000000, v13
	v_or3_b32 v5, v5, v13, v11
	v_mov_b32_e32 v22, v6
	v_mov_b32_e32 v21, v5
.LBB224_635:                            ;   in Loop: Header=BB224_545 Depth=1
	s_or_b32 exec_lo, exec_lo, s15
.LBB224_636:                            ;   in Loop: Header=BB224_545 Depth=1
	s_or_b32 exec_lo, exec_lo, s14
.LBB224_637:                            ;   in Loop: Header=BB224_545 Depth=1
	s_or_b32 exec_lo, exec_lo, s13
	s_mov_b32 s13, exec_lo
	v_cmpx_lt_u32_e32 0xffffff, v62
	s_cbranch_execz .LBB224_645
; %bb.638:                              ;   in Loop: Header=BB224_545 Depth=1
	v_mov_b32_e32 v11, v6
	v_mov_b32_e32 v24, v12
	v_cmp_ne_u32_sdwa s1, v62, v46 src0_sel:BYTE_3 src1_sel:DWORD
	v_mov_b32_e32 v23, v11
	s_and_saveexec_b32 s14, s1
	s_cbranch_execz .LBB224_644
; %bb.639:                              ;   in Loop: Header=BB224_545 Depth=1
	v_mov_b32_e32 v13, v6
	v_mov_b32_e32 v24, v14
	v_bfe_u32 v63, v62, 24, 7
	s_mov_b32 s15, exec_lo
	v_mov_b32_e32 v23, v13
	v_cmpx_ne_u32_e32 0x7f, v63
	s_cbranch_execz .LBB224_643
; %bb.640:                              ;   in Loop: Header=BB224_545 Depth=1
	v_and_b32_sdwa v5, v62, v49 dst_sel:DWORD dst_unused:UNUSED_PAD src0_sel:BYTE_3 src1_sel:DWORD
	v_lshrrev_b32_e32 v11, 3, v63
	s_mov_b32 s16, exec_lo
	v_cmpx_gt_u32_e32 8, v63
; %bb.641:                              ;   in Loop: Header=BB224_545 Depth=1
	v_ffbh_u32_e32 v11, v5
	v_min_u32_e32 v11, 32, v11
	v_subrev_nc_u32_e32 v13, 28, v11
	v_sub_nc_u32_e32 v11, 29, v11
	v_lshlrev_b64 v[23:24], v13, v[5:6]
	v_and_b32_e32 v5, 7, v23
; %bb.642:                              ;   in Loop: Header=BB224_545 Depth=1
	s_or_b32 exec_lo, exec_lo, s16
	v_lshlrev_b32_sdwa v13, v50, v62 dst_sel:DWORD dst_unused:UNUSED_PAD src0_sel:DWORD src1_sel:BYTE_3
	v_lshlrev_b32_e32 v5, 20, v5
	v_lshl_add_u32 v11, v11, 23, 0x3c000000
	v_mov_b32_e32 v23, v6
	v_and_b32_e32 v13, 0x80000000, v13
	v_or3_b32 v24, v5, v13, v11
.LBB224_643:                            ;   in Loop: Header=BB224_545 Depth=1
	s_or_b32 exec_lo, exec_lo, s15
.LBB224_644:                            ;   in Loop: Header=BB224_545 Depth=1
	s_or_b32 exec_lo, exec_lo, s14
.LBB224_645:                            ;   in Loop: Header=BB224_545 Depth=1
	s_or_b32 exec_lo, exec_lo, s13
	v_or_b32_e32 v5, v20, v18
	v_or_b32_e32 v11, v19, v17
	;; [unrolled: 1-line block ×4, first 2 shown]
	v_mul_f32_e32 v64, s9, v5
	v_mul_f32_e32 v65, s4, v11
	;; [unrolled: 1-line block ×4, first 2 shown]
	s_and_saveexec_b32 s13, vcc_lo
	s_cbranch_execz .LBB224_647
; %bb.646:                              ;   in Loop: Header=BB224_545 Depth=1
	v_cmp_gt_i32_e64 s1, s27, v55
	v_cndmask_b32_e64 v65, 0, v65, s1
	v_cmp_gt_i32_e64 s1, s27, v57
	v_cndmask_b32_e64 v64, 0, v64, s1
	;; [unrolled: 2-line block ×4, first 2 shown]
.LBB224_647:                            ;   in Loop: Header=BB224_545 Depth=1
	s_or_b32 exec_lo, exec_lo, s13
	global_load_dword v66, v[15:16], off offset:384
	v_mov_b32_e32 v19, 0
	v_mov_b32_e32 v17, 0
	;; [unrolled: 1-line block ×4, first 2 shown]
	s_waitcnt vmcnt(0)
	v_cmp_ne_u16_sdwa s1, v66, v6 src0_sel:BYTE_0 src1_sel:DWORD
	s_and_saveexec_b32 s13, s1
	s_cbranch_execz .LBB224_655
; %bb.648:                              ;   in Loop: Header=BB224_545 Depth=1
	v_bfrev_b32_e32 v17, 1
	v_mov_b32_e32 v18, 0
	v_cmp_ne_u16_sdwa s1, v66, v46 src0_sel:BYTE_0 src1_sel:DWORD
	s_and_saveexec_b32 s14, s1
	s_cbranch_execz .LBB224_654
; %bb.649:                              ;   in Loop: Header=BB224_545 Depth=1
	v_mov_b32_e32 v17, 0x7f800001
	v_and_b32_e32 v13, 0x7f, v66
	v_mov_b32_e32 v18, 0
	s_mov_b32 s15, exec_lo
	v_cmpx_ne_u32_e32 0x7f, v13
	s_cbranch_execz .LBB224_653
; %bb.650:                              ;   in Loop: Header=BB224_545 Depth=1
	v_and_b32_e32 v5, 7, v66
	v_lshrrev_b32_e32 v11, 3, v13
	s_mov_b32 s16, exec_lo
	v_cmpx_gt_u32_e32 8, v13
; %bb.651:                              ;   in Loop: Header=BB224_545 Depth=1
	v_ffbh_u32_e32 v11, v5
	v_min_u32_e32 v11, 32, v11
	v_subrev_nc_u32_e32 v13, 28, v11
	v_sub_nc_u32_e32 v11, 29, v11
	v_lshlrev_b64 v[17:18], v13, v[5:6]
	v_and_b32_e32 v5, 7, v17
; %bb.652:                              ;   in Loop: Header=BB224_545 Depth=1
	s_or_b32 exec_lo, exec_lo, s16
	v_lshlrev_b32_e32 v13, 24, v66
	v_lshlrev_b32_e32 v5, 20, v5
	v_lshl_add_u32 v11, v11, 23, 0x3c000000
	v_and_b32_e32 v13, 0x80000000, v13
	v_or3_b32 v5, v5, v13, v11
	v_mov_b32_e32 v18, v6
	v_mov_b32_e32 v17, v5
.LBB224_653:                            ;   in Loop: Header=BB224_545 Depth=1
	s_or_b32 exec_lo, exec_lo, s15
.LBB224_654:                            ;   in Loop: Header=BB224_545 Depth=1
	s_or_b32 exec_lo, exec_lo, s14
.LBB224_655:                            ;   in Loop: Header=BB224_545 Depth=1
	s_or_b32 exec_lo, exec_lo, s13
	v_cmp_ne_u16_sdwa s1, v66, v6 src0_sel:BYTE_1 src1_sel:DWORD
	s_and_saveexec_b32 s13, s1
	s_cbranch_execz .LBB224_663
; %bb.656:                              ;   in Loop: Header=BB224_545 Depth=1
	v_mov_b32_e32 v11, v6
	v_mov_b32_e32 v20, v12
	v_cmp_ne_u16_sdwa s1, v66, v46 src0_sel:BYTE_1 src1_sel:DWORD
	v_mov_b32_e32 v19, v11
	s_and_saveexec_b32 s14, s1
	s_cbranch_execz .LBB224_662
; %bb.657:                              ;   in Loop: Header=BB224_545 Depth=1
	v_and_b32_sdwa v5, v47, v66 dst_sel:DWORD dst_unused:UNUSED_PAD src0_sel:DWORD src1_sel:BYTE_1
	v_mov_b32_e32 v13, v6
	v_mov_b32_e32 v20, v14
	s_mov_b32 s15, exec_lo
	v_and_b32_e32 v21, 0x7f, v5
	v_mov_b32_e32 v19, v13
	v_cmpx_ne_u32_e32 0x7f, v21
	s_cbranch_execz .LBB224_661
; %bb.658:                              ;   in Loop: Header=BB224_545 Depth=1
	v_and_b32_e32 v5, 7, v5
	v_lshrrev_b32_e32 v11, 3, v21
	s_mov_b32 s16, exec_lo
	v_cmpx_gt_u32_e32 8, v21
; %bb.659:                              ;   in Loop: Header=BB224_545 Depth=1
	v_ffbh_u32_e32 v11, v5
	v_min_u32_e32 v11, 32, v11
	v_subrev_nc_u32_e32 v13, 28, v11
	v_sub_nc_u32_e32 v11, 29, v11
	v_lshlrev_b64 v[19:20], v13, v[5:6]
	v_and_b32_e32 v5, 7, v19
; %bb.660:                              ;   in Loop: Header=BB224_545 Depth=1
	s_or_b32 exec_lo, exec_lo, s16
	v_lshlrev_b32_e32 v13, 16, v66
	v_lshlrev_b32_e32 v5, 20, v5
	v_lshl_add_u32 v11, v11, 23, 0x3c000000
	v_mov_b32_e32 v19, v6
	v_and_b32_e32 v13, 0x80000000, v13
	v_or3_b32 v20, v5, v13, v11
.LBB224_661:                            ;   in Loop: Header=BB224_545 Depth=1
	s_or_b32 exec_lo, exec_lo, s15
.LBB224_662:                            ;   in Loop: Header=BB224_545 Depth=1
	s_or_b32 exec_lo, exec_lo, s14
.LBB224_663:                            ;   in Loop: Header=BB224_545 Depth=1
	s_or_b32 exec_lo, exec_lo, s13
	v_mov_b32_e32 v23, 0
	v_mov_b32_e32 v21, 0
	v_and_b32_sdwa v5, v66, v48 dst_sel:DWORD dst_unused:UNUSED_PAD src0_sel:WORD_1 src1_sel:DWORD
	v_mov_b32_e32 v24, 0
	v_mov_b32_e32 v22, 0
	s_mov_b32 s13, exec_lo
	v_cmpx_ne_u16_e32 0, v5
	s_cbranch_execz .LBB224_671
; %bb.664:                              ;   in Loop: Header=BB224_545 Depth=1
	v_bfrev_b32_e32 v21, 1
	v_mov_b32_e32 v22, 0
	s_mov_b32 s14, exec_lo
	v_cmpx_ne_u16_e32 0x80, v5
	s_cbranch_execz .LBB224_670
; %bb.665:                              ;   in Loop: Header=BB224_545 Depth=1
	v_mov_b32_e32 v21, 0x7f800001
	v_bfe_u32 v13, v66, 16, 7
	v_mov_b32_e32 v22, 0
	s_mov_b32 s15, exec_lo
	v_cmpx_ne_u32_e32 0x7f, v13
	s_cbranch_execz .LBB224_669
; %bb.666:                              ;   in Loop: Header=BB224_545 Depth=1
	v_and_b32_sdwa v5, v66, v49 dst_sel:DWORD dst_unused:UNUSED_PAD src0_sel:WORD_1 src1_sel:DWORD
	v_lshrrev_b32_e32 v11, 3, v13
	s_mov_b32 s16, exec_lo
	v_cmpx_gt_u32_e32 8, v13
; %bb.667:                              ;   in Loop: Header=BB224_545 Depth=1
	v_ffbh_u32_e32 v11, v5
	v_min_u32_e32 v11, 32, v11
	v_subrev_nc_u32_e32 v13, 28, v11
	v_sub_nc_u32_e32 v11, 29, v11
	v_lshlrev_b64 v[21:22], v13, v[5:6]
	v_and_b32_e32 v5, 7, v21
; %bb.668:                              ;   in Loop: Header=BB224_545 Depth=1
	s_or_b32 exec_lo, exec_lo, s16
	v_lshlrev_b32_sdwa v13, v50, v66 dst_sel:DWORD dst_unused:UNUSED_PAD src0_sel:DWORD src1_sel:WORD_1
	v_lshlrev_b32_e32 v5, 20, v5
	v_lshl_add_u32 v11, v11, 23, 0x3c000000
	v_and_b32_e32 v13, 0x80000000, v13
	v_or3_b32 v5, v5, v13, v11
	v_mov_b32_e32 v22, v6
	v_mov_b32_e32 v21, v5
.LBB224_669:                            ;   in Loop: Header=BB224_545 Depth=1
	s_or_b32 exec_lo, exec_lo, s15
.LBB224_670:                            ;   in Loop: Header=BB224_545 Depth=1
	s_or_b32 exec_lo, exec_lo, s14
.LBB224_671:                            ;   in Loop: Header=BB224_545 Depth=1
	s_or_b32 exec_lo, exec_lo, s13
	s_mov_b32 s13, exec_lo
	v_cmpx_lt_u32_e32 0xffffff, v66
	s_cbranch_execz .LBB224_679
; %bb.672:                              ;   in Loop: Header=BB224_545 Depth=1
	v_mov_b32_e32 v11, v6
	v_mov_b32_e32 v24, v12
	v_cmp_ne_u32_sdwa s1, v66, v46 src0_sel:BYTE_3 src1_sel:DWORD
	v_mov_b32_e32 v23, v11
	s_and_saveexec_b32 s14, s1
	s_cbranch_execz .LBB224_678
; %bb.673:                              ;   in Loop: Header=BB224_545 Depth=1
	v_mov_b32_e32 v13, v6
	v_mov_b32_e32 v24, v14
	v_bfe_u32 v67, v66, 24, 7
	s_mov_b32 s15, exec_lo
	v_mov_b32_e32 v23, v13
	v_cmpx_ne_u32_e32 0x7f, v67
	s_cbranch_execz .LBB224_677
; %bb.674:                              ;   in Loop: Header=BB224_545 Depth=1
	v_and_b32_sdwa v5, v66, v49 dst_sel:DWORD dst_unused:UNUSED_PAD src0_sel:BYTE_3 src1_sel:DWORD
	v_lshrrev_b32_e32 v11, 3, v67
	s_mov_b32 s16, exec_lo
	v_cmpx_gt_u32_e32 8, v67
; %bb.675:                              ;   in Loop: Header=BB224_545 Depth=1
	v_ffbh_u32_e32 v11, v5
	v_min_u32_e32 v11, 32, v11
	v_subrev_nc_u32_e32 v13, 28, v11
	v_sub_nc_u32_e32 v11, 29, v11
	v_lshlrev_b64 v[23:24], v13, v[5:6]
	v_and_b32_e32 v5, 7, v23
; %bb.676:                              ;   in Loop: Header=BB224_545 Depth=1
	s_or_b32 exec_lo, exec_lo, s16
	v_lshlrev_b32_sdwa v13, v50, v66 dst_sel:DWORD dst_unused:UNUSED_PAD src0_sel:DWORD src1_sel:BYTE_3
	v_lshlrev_b32_e32 v5, 20, v5
	v_lshl_add_u32 v11, v11, 23, 0x3c000000
	v_mov_b32_e32 v23, v6
	v_and_b32_e32 v13, 0x80000000, v13
	v_or3_b32 v24, v5, v13, v11
.LBB224_677:                            ;   in Loop: Header=BB224_545 Depth=1
	s_or_b32 exec_lo, exec_lo, s15
.LBB224_678:                            ;   in Loop: Header=BB224_545 Depth=1
	s_or_b32 exec_lo, exec_lo, s14
.LBB224_679:                            ;   in Loop: Header=BB224_545 Depth=1
	s_or_b32 exec_lo, exec_lo, s13
	v_or_b32_e32 v5, v20, v18
	v_or_b32_e32 v11, v19, v17
	;; [unrolled: 1-line block ×4, first 2 shown]
	v_mul_f32_e32 v68, s9, v5
	v_mul_f32_e32 v69, s4, v11
	;; [unrolled: 1-line block ×4, first 2 shown]
	s_and_saveexec_b32 s13, vcc_lo
	s_cbranch_execz .LBB224_681
; %bb.680:                              ;   in Loop: Header=BB224_545 Depth=1
	v_cmp_gt_i32_e64 s1, s27, v55
	v_cndmask_b32_e64 v69, 0, v69, s1
	v_cmp_gt_i32_e64 s1, s27, v57
	v_cndmask_b32_e64 v68, 0, v68, s1
	;; [unrolled: 2-line block ×4, first 2 shown]
.LBB224_681:                            ;   in Loop: Header=BB224_545 Depth=1
	s_or_b32 exec_lo, exec_lo, s13
	global_load_dword v70, v[15:16], off offset:512
	v_mov_b32_e32 v19, 0
	v_mov_b32_e32 v17, 0
	;; [unrolled: 1-line block ×4, first 2 shown]
	s_waitcnt vmcnt(0)
	v_cmp_ne_u16_sdwa s1, v70, v6 src0_sel:BYTE_0 src1_sel:DWORD
	s_and_saveexec_b32 s13, s1
	s_cbranch_execz .LBB224_689
; %bb.682:                              ;   in Loop: Header=BB224_545 Depth=1
	v_bfrev_b32_e32 v17, 1
	v_mov_b32_e32 v18, 0
	v_cmp_ne_u16_sdwa s1, v70, v46 src0_sel:BYTE_0 src1_sel:DWORD
	s_and_saveexec_b32 s14, s1
	s_cbranch_execz .LBB224_688
; %bb.683:                              ;   in Loop: Header=BB224_545 Depth=1
	v_mov_b32_e32 v17, 0x7f800001
	v_and_b32_e32 v13, 0x7f, v70
	v_mov_b32_e32 v18, 0
	s_mov_b32 s15, exec_lo
	v_cmpx_ne_u32_e32 0x7f, v13
	s_cbranch_execz .LBB224_687
; %bb.684:                              ;   in Loop: Header=BB224_545 Depth=1
	v_and_b32_e32 v5, 7, v70
	v_lshrrev_b32_e32 v11, 3, v13
	s_mov_b32 s16, exec_lo
	v_cmpx_gt_u32_e32 8, v13
; %bb.685:                              ;   in Loop: Header=BB224_545 Depth=1
	v_ffbh_u32_e32 v11, v5
	v_min_u32_e32 v11, 32, v11
	v_subrev_nc_u32_e32 v13, 28, v11
	v_sub_nc_u32_e32 v11, 29, v11
	v_lshlrev_b64 v[17:18], v13, v[5:6]
	v_and_b32_e32 v5, 7, v17
; %bb.686:                              ;   in Loop: Header=BB224_545 Depth=1
	s_or_b32 exec_lo, exec_lo, s16
	v_lshlrev_b32_e32 v13, 24, v70
	v_lshlrev_b32_e32 v5, 20, v5
	v_lshl_add_u32 v11, v11, 23, 0x3c000000
	v_and_b32_e32 v13, 0x80000000, v13
	v_or3_b32 v5, v5, v13, v11
	v_mov_b32_e32 v18, v6
	v_mov_b32_e32 v17, v5
.LBB224_687:                            ;   in Loop: Header=BB224_545 Depth=1
	s_or_b32 exec_lo, exec_lo, s15
.LBB224_688:                            ;   in Loop: Header=BB224_545 Depth=1
	s_or_b32 exec_lo, exec_lo, s14
.LBB224_689:                            ;   in Loop: Header=BB224_545 Depth=1
	s_or_b32 exec_lo, exec_lo, s13
	v_cmp_ne_u16_sdwa s1, v70, v6 src0_sel:BYTE_1 src1_sel:DWORD
	s_and_saveexec_b32 s13, s1
	s_cbranch_execz .LBB224_697
; %bb.690:                              ;   in Loop: Header=BB224_545 Depth=1
	v_mov_b32_e32 v11, v6
	v_mov_b32_e32 v20, v12
	v_cmp_ne_u16_sdwa s1, v70, v46 src0_sel:BYTE_1 src1_sel:DWORD
	v_mov_b32_e32 v19, v11
	s_and_saveexec_b32 s14, s1
	s_cbranch_execz .LBB224_696
; %bb.691:                              ;   in Loop: Header=BB224_545 Depth=1
	v_and_b32_sdwa v5, v47, v70 dst_sel:DWORD dst_unused:UNUSED_PAD src0_sel:DWORD src1_sel:BYTE_1
	v_mov_b32_e32 v13, v6
	v_mov_b32_e32 v20, v14
	s_mov_b32 s15, exec_lo
	v_and_b32_e32 v21, 0x7f, v5
	v_mov_b32_e32 v19, v13
	v_cmpx_ne_u32_e32 0x7f, v21
	s_cbranch_execz .LBB224_695
; %bb.692:                              ;   in Loop: Header=BB224_545 Depth=1
	v_and_b32_e32 v5, 7, v5
	v_lshrrev_b32_e32 v11, 3, v21
	s_mov_b32 s16, exec_lo
	v_cmpx_gt_u32_e32 8, v21
; %bb.693:                              ;   in Loop: Header=BB224_545 Depth=1
	v_ffbh_u32_e32 v11, v5
	v_min_u32_e32 v11, 32, v11
	v_subrev_nc_u32_e32 v13, 28, v11
	v_sub_nc_u32_e32 v11, 29, v11
	v_lshlrev_b64 v[19:20], v13, v[5:6]
	v_and_b32_e32 v5, 7, v19
; %bb.694:                              ;   in Loop: Header=BB224_545 Depth=1
	s_or_b32 exec_lo, exec_lo, s16
	v_lshlrev_b32_e32 v13, 16, v70
	v_lshlrev_b32_e32 v5, 20, v5
	v_lshl_add_u32 v11, v11, 23, 0x3c000000
	v_mov_b32_e32 v19, v6
	v_and_b32_e32 v13, 0x80000000, v13
	v_or3_b32 v20, v5, v13, v11
.LBB224_695:                            ;   in Loop: Header=BB224_545 Depth=1
	s_or_b32 exec_lo, exec_lo, s15
.LBB224_696:                            ;   in Loop: Header=BB224_545 Depth=1
	s_or_b32 exec_lo, exec_lo, s14
.LBB224_697:                            ;   in Loop: Header=BB224_545 Depth=1
	s_or_b32 exec_lo, exec_lo, s13
	v_mov_b32_e32 v23, 0
	v_mov_b32_e32 v21, 0
	v_and_b32_sdwa v5, v70, v48 dst_sel:DWORD dst_unused:UNUSED_PAD src0_sel:WORD_1 src1_sel:DWORD
	v_mov_b32_e32 v24, 0
	v_mov_b32_e32 v22, 0
	s_mov_b32 s13, exec_lo
	v_cmpx_ne_u16_e32 0, v5
	s_cbranch_execz .LBB224_705
; %bb.698:                              ;   in Loop: Header=BB224_545 Depth=1
	v_bfrev_b32_e32 v21, 1
	v_mov_b32_e32 v22, 0
	s_mov_b32 s14, exec_lo
	v_cmpx_ne_u16_e32 0x80, v5
	s_cbranch_execz .LBB224_704
; %bb.699:                              ;   in Loop: Header=BB224_545 Depth=1
	v_mov_b32_e32 v21, 0x7f800001
	v_bfe_u32 v13, v70, 16, 7
	v_mov_b32_e32 v22, 0
	s_mov_b32 s15, exec_lo
	v_cmpx_ne_u32_e32 0x7f, v13
	s_cbranch_execz .LBB224_703
; %bb.700:                              ;   in Loop: Header=BB224_545 Depth=1
	v_and_b32_sdwa v5, v70, v49 dst_sel:DWORD dst_unused:UNUSED_PAD src0_sel:WORD_1 src1_sel:DWORD
	v_lshrrev_b32_e32 v11, 3, v13
	s_mov_b32 s16, exec_lo
	v_cmpx_gt_u32_e32 8, v13
; %bb.701:                              ;   in Loop: Header=BB224_545 Depth=1
	v_ffbh_u32_e32 v11, v5
	v_min_u32_e32 v11, 32, v11
	v_subrev_nc_u32_e32 v13, 28, v11
	v_sub_nc_u32_e32 v11, 29, v11
	v_lshlrev_b64 v[21:22], v13, v[5:6]
	v_and_b32_e32 v5, 7, v21
; %bb.702:                              ;   in Loop: Header=BB224_545 Depth=1
	s_or_b32 exec_lo, exec_lo, s16
	v_lshlrev_b32_sdwa v13, v50, v70 dst_sel:DWORD dst_unused:UNUSED_PAD src0_sel:DWORD src1_sel:WORD_1
	v_lshlrev_b32_e32 v5, 20, v5
	v_lshl_add_u32 v11, v11, 23, 0x3c000000
	v_and_b32_e32 v13, 0x80000000, v13
	v_or3_b32 v5, v5, v13, v11
	v_mov_b32_e32 v22, v6
	v_mov_b32_e32 v21, v5
.LBB224_703:                            ;   in Loop: Header=BB224_545 Depth=1
	s_or_b32 exec_lo, exec_lo, s15
.LBB224_704:                            ;   in Loop: Header=BB224_545 Depth=1
	s_or_b32 exec_lo, exec_lo, s14
.LBB224_705:                            ;   in Loop: Header=BB224_545 Depth=1
	s_or_b32 exec_lo, exec_lo, s13
	s_mov_b32 s13, exec_lo
	v_cmpx_lt_u32_e32 0xffffff, v70
	s_cbranch_execz .LBB224_713
; %bb.706:                              ;   in Loop: Header=BB224_545 Depth=1
	v_mov_b32_e32 v11, v6
	v_mov_b32_e32 v24, v12
	v_cmp_ne_u32_sdwa s1, v70, v46 src0_sel:BYTE_3 src1_sel:DWORD
	v_mov_b32_e32 v23, v11
	s_and_saveexec_b32 s14, s1
	s_cbranch_execz .LBB224_712
; %bb.707:                              ;   in Loop: Header=BB224_545 Depth=1
	v_mov_b32_e32 v13, v6
	v_mov_b32_e32 v24, v14
	v_bfe_u32 v71, v70, 24, 7
	s_mov_b32 s15, exec_lo
	v_mov_b32_e32 v23, v13
	v_cmpx_ne_u32_e32 0x7f, v71
	s_cbranch_execz .LBB224_711
; %bb.708:                              ;   in Loop: Header=BB224_545 Depth=1
	v_and_b32_sdwa v5, v70, v49 dst_sel:DWORD dst_unused:UNUSED_PAD src0_sel:BYTE_3 src1_sel:DWORD
	v_lshrrev_b32_e32 v11, 3, v71
	s_mov_b32 s16, exec_lo
	v_cmpx_gt_u32_e32 8, v71
; %bb.709:                              ;   in Loop: Header=BB224_545 Depth=1
	v_ffbh_u32_e32 v11, v5
	v_min_u32_e32 v11, 32, v11
	v_subrev_nc_u32_e32 v13, 28, v11
	v_sub_nc_u32_e32 v11, 29, v11
	v_lshlrev_b64 v[23:24], v13, v[5:6]
	v_and_b32_e32 v5, 7, v23
; %bb.710:                              ;   in Loop: Header=BB224_545 Depth=1
	s_or_b32 exec_lo, exec_lo, s16
	v_lshlrev_b32_sdwa v13, v50, v70 dst_sel:DWORD dst_unused:UNUSED_PAD src0_sel:DWORD src1_sel:BYTE_3
	v_lshlrev_b32_e32 v5, 20, v5
	v_lshl_add_u32 v11, v11, 23, 0x3c000000
	v_mov_b32_e32 v23, v6
	v_and_b32_e32 v13, 0x80000000, v13
	v_or3_b32 v24, v5, v13, v11
.LBB224_711:                            ;   in Loop: Header=BB224_545 Depth=1
	s_or_b32 exec_lo, exec_lo, s15
.LBB224_712:                            ;   in Loop: Header=BB224_545 Depth=1
	s_or_b32 exec_lo, exec_lo, s14
.LBB224_713:                            ;   in Loop: Header=BB224_545 Depth=1
	s_or_b32 exec_lo, exec_lo, s13
	v_or_b32_e32 v5, v20, v18
	v_or_b32_e32 v11, v19, v17
	;; [unrolled: 1-line block ×4, first 2 shown]
	v_mul_f32_e32 v72, s9, v5
	v_mul_f32_e32 v73, s4, v11
	;; [unrolled: 1-line block ×4, first 2 shown]
	s_and_saveexec_b32 s13, vcc_lo
	s_cbranch_execz .LBB224_715
; %bb.714:                              ;   in Loop: Header=BB224_545 Depth=1
	v_cmp_gt_i32_e64 s1, s27, v55
	v_cndmask_b32_e64 v73, 0, v73, s1
	v_cmp_gt_i32_e64 s1, s27, v57
	v_cndmask_b32_e64 v72, 0, v72, s1
	;; [unrolled: 2-line block ×4, first 2 shown]
.LBB224_715:                            ;   in Loop: Header=BB224_545 Depth=1
	s_or_b32 exec_lo, exec_lo, s13
	global_load_dword v74, v[15:16], off offset:640
	v_mov_b32_e32 v19, 0
	v_mov_b32_e32 v17, 0
	;; [unrolled: 1-line block ×4, first 2 shown]
	s_waitcnt vmcnt(0)
	v_cmp_ne_u16_sdwa s1, v74, v6 src0_sel:BYTE_0 src1_sel:DWORD
	s_and_saveexec_b32 s13, s1
	s_cbranch_execz .LBB224_723
; %bb.716:                              ;   in Loop: Header=BB224_545 Depth=1
	v_bfrev_b32_e32 v17, 1
	v_mov_b32_e32 v18, 0
	v_cmp_ne_u16_sdwa s1, v74, v46 src0_sel:BYTE_0 src1_sel:DWORD
	s_and_saveexec_b32 s14, s1
	s_cbranch_execz .LBB224_722
; %bb.717:                              ;   in Loop: Header=BB224_545 Depth=1
	v_mov_b32_e32 v17, 0x7f800001
	v_and_b32_e32 v13, 0x7f, v74
	v_mov_b32_e32 v18, 0
	s_mov_b32 s15, exec_lo
	v_cmpx_ne_u32_e32 0x7f, v13
	s_cbranch_execz .LBB224_721
; %bb.718:                              ;   in Loop: Header=BB224_545 Depth=1
	v_and_b32_e32 v5, 7, v74
	v_lshrrev_b32_e32 v11, 3, v13
	s_mov_b32 s16, exec_lo
	v_cmpx_gt_u32_e32 8, v13
; %bb.719:                              ;   in Loop: Header=BB224_545 Depth=1
	v_ffbh_u32_e32 v11, v5
	v_min_u32_e32 v11, 32, v11
	v_subrev_nc_u32_e32 v13, 28, v11
	v_sub_nc_u32_e32 v11, 29, v11
	v_lshlrev_b64 v[17:18], v13, v[5:6]
	v_and_b32_e32 v5, 7, v17
; %bb.720:                              ;   in Loop: Header=BB224_545 Depth=1
	s_or_b32 exec_lo, exec_lo, s16
	v_lshlrev_b32_e32 v13, 24, v74
	v_lshlrev_b32_e32 v5, 20, v5
	v_lshl_add_u32 v11, v11, 23, 0x3c000000
	v_and_b32_e32 v13, 0x80000000, v13
	v_or3_b32 v5, v5, v13, v11
	v_mov_b32_e32 v18, v6
	v_mov_b32_e32 v17, v5
.LBB224_721:                            ;   in Loop: Header=BB224_545 Depth=1
	s_or_b32 exec_lo, exec_lo, s15
.LBB224_722:                            ;   in Loop: Header=BB224_545 Depth=1
	s_or_b32 exec_lo, exec_lo, s14
.LBB224_723:                            ;   in Loop: Header=BB224_545 Depth=1
	s_or_b32 exec_lo, exec_lo, s13
	v_cmp_ne_u16_sdwa s1, v74, v6 src0_sel:BYTE_1 src1_sel:DWORD
	s_and_saveexec_b32 s13, s1
	s_cbranch_execz .LBB224_731
; %bb.724:                              ;   in Loop: Header=BB224_545 Depth=1
	v_mov_b32_e32 v11, v6
	v_mov_b32_e32 v20, v12
	v_cmp_ne_u16_sdwa s1, v74, v46 src0_sel:BYTE_1 src1_sel:DWORD
	v_mov_b32_e32 v19, v11
	s_and_saveexec_b32 s14, s1
	s_cbranch_execz .LBB224_730
; %bb.725:                              ;   in Loop: Header=BB224_545 Depth=1
	v_and_b32_sdwa v5, v47, v74 dst_sel:DWORD dst_unused:UNUSED_PAD src0_sel:DWORD src1_sel:BYTE_1
	v_mov_b32_e32 v13, v6
	v_mov_b32_e32 v20, v14
	s_mov_b32 s15, exec_lo
	v_and_b32_e32 v21, 0x7f, v5
	v_mov_b32_e32 v19, v13
	v_cmpx_ne_u32_e32 0x7f, v21
	s_cbranch_execz .LBB224_729
; %bb.726:                              ;   in Loop: Header=BB224_545 Depth=1
	v_and_b32_e32 v5, 7, v5
	v_lshrrev_b32_e32 v11, 3, v21
	s_mov_b32 s16, exec_lo
	v_cmpx_gt_u32_e32 8, v21
; %bb.727:                              ;   in Loop: Header=BB224_545 Depth=1
	v_ffbh_u32_e32 v11, v5
	v_min_u32_e32 v11, 32, v11
	v_subrev_nc_u32_e32 v13, 28, v11
	v_sub_nc_u32_e32 v11, 29, v11
	v_lshlrev_b64 v[19:20], v13, v[5:6]
	v_and_b32_e32 v5, 7, v19
; %bb.728:                              ;   in Loop: Header=BB224_545 Depth=1
	s_or_b32 exec_lo, exec_lo, s16
	v_lshlrev_b32_e32 v13, 16, v74
	v_lshlrev_b32_e32 v5, 20, v5
	v_lshl_add_u32 v11, v11, 23, 0x3c000000
	v_mov_b32_e32 v19, v6
	v_and_b32_e32 v13, 0x80000000, v13
	v_or3_b32 v20, v5, v13, v11
.LBB224_729:                            ;   in Loop: Header=BB224_545 Depth=1
	s_or_b32 exec_lo, exec_lo, s15
.LBB224_730:                            ;   in Loop: Header=BB224_545 Depth=1
	s_or_b32 exec_lo, exec_lo, s14
.LBB224_731:                            ;   in Loop: Header=BB224_545 Depth=1
	s_or_b32 exec_lo, exec_lo, s13
	v_mov_b32_e32 v23, 0
	v_mov_b32_e32 v21, 0
	v_and_b32_sdwa v5, v74, v48 dst_sel:DWORD dst_unused:UNUSED_PAD src0_sel:WORD_1 src1_sel:DWORD
	v_mov_b32_e32 v24, 0
	v_mov_b32_e32 v22, 0
	s_mov_b32 s13, exec_lo
	v_cmpx_ne_u16_e32 0, v5
	s_cbranch_execz .LBB224_739
; %bb.732:                              ;   in Loop: Header=BB224_545 Depth=1
	v_bfrev_b32_e32 v21, 1
	v_mov_b32_e32 v22, 0
	s_mov_b32 s14, exec_lo
	v_cmpx_ne_u16_e32 0x80, v5
	s_cbranch_execz .LBB224_738
; %bb.733:                              ;   in Loop: Header=BB224_545 Depth=1
	v_mov_b32_e32 v21, 0x7f800001
	v_bfe_u32 v13, v74, 16, 7
	v_mov_b32_e32 v22, 0
	s_mov_b32 s15, exec_lo
	v_cmpx_ne_u32_e32 0x7f, v13
	s_cbranch_execz .LBB224_737
; %bb.734:                              ;   in Loop: Header=BB224_545 Depth=1
	v_and_b32_sdwa v5, v74, v49 dst_sel:DWORD dst_unused:UNUSED_PAD src0_sel:WORD_1 src1_sel:DWORD
	v_lshrrev_b32_e32 v11, 3, v13
	s_mov_b32 s16, exec_lo
	v_cmpx_gt_u32_e32 8, v13
; %bb.735:                              ;   in Loop: Header=BB224_545 Depth=1
	v_ffbh_u32_e32 v11, v5
	v_min_u32_e32 v11, 32, v11
	v_subrev_nc_u32_e32 v13, 28, v11
	v_sub_nc_u32_e32 v11, 29, v11
	v_lshlrev_b64 v[21:22], v13, v[5:6]
	v_and_b32_e32 v5, 7, v21
; %bb.736:                              ;   in Loop: Header=BB224_545 Depth=1
	s_or_b32 exec_lo, exec_lo, s16
	v_lshlrev_b32_sdwa v13, v50, v74 dst_sel:DWORD dst_unused:UNUSED_PAD src0_sel:DWORD src1_sel:WORD_1
	v_lshlrev_b32_e32 v5, 20, v5
	v_lshl_add_u32 v11, v11, 23, 0x3c000000
	v_and_b32_e32 v13, 0x80000000, v13
	v_or3_b32 v5, v5, v13, v11
	v_mov_b32_e32 v22, v6
	v_mov_b32_e32 v21, v5
.LBB224_737:                            ;   in Loop: Header=BB224_545 Depth=1
	s_or_b32 exec_lo, exec_lo, s15
.LBB224_738:                            ;   in Loop: Header=BB224_545 Depth=1
	s_or_b32 exec_lo, exec_lo, s14
.LBB224_739:                            ;   in Loop: Header=BB224_545 Depth=1
	s_or_b32 exec_lo, exec_lo, s13
	s_mov_b32 s13, exec_lo
	v_cmpx_lt_u32_e32 0xffffff, v74
	s_cbranch_execz .LBB224_747
; %bb.740:                              ;   in Loop: Header=BB224_545 Depth=1
	v_mov_b32_e32 v11, v6
	v_mov_b32_e32 v24, v12
	v_cmp_ne_u32_sdwa s1, v74, v46 src0_sel:BYTE_3 src1_sel:DWORD
	v_mov_b32_e32 v23, v11
	s_and_saveexec_b32 s14, s1
	s_cbranch_execz .LBB224_746
; %bb.741:                              ;   in Loop: Header=BB224_545 Depth=1
	v_mov_b32_e32 v13, v6
	v_mov_b32_e32 v24, v14
	v_bfe_u32 v75, v74, 24, 7
	s_mov_b32 s15, exec_lo
	v_mov_b32_e32 v23, v13
	v_cmpx_ne_u32_e32 0x7f, v75
	s_cbranch_execz .LBB224_745
; %bb.742:                              ;   in Loop: Header=BB224_545 Depth=1
	v_and_b32_sdwa v5, v74, v49 dst_sel:DWORD dst_unused:UNUSED_PAD src0_sel:BYTE_3 src1_sel:DWORD
	v_lshrrev_b32_e32 v11, 3, v75
	s_mov_b32 s16, exec_lo
	v_cmpx_gt_u32_e32 8, v75
; %bb.743:                              ;   in Loop: Header=BB224_545 Depth=1
	v_ffbh_u32_e32 v11, v5
	v_min_u32_e32 v11, 32, v11
	v_subrev_nc_u32_e32 v13, 28, v11
	v_sub_nc_u32_e32 v11, 29, v11
	v_lshlrev_b64 v[23:24], v13, v[5:6]
	v_and_b32_e32 v5, 7, v23
; %bb.744:                              ;   in Loop: Header=BB224_545 Depth=1
	s_or_b32 exec_lo, exec_lo, s16
	v_lshlrev_b32_sdwa v13, v50, v74 dst_sel:DWORD dst_unused:UNUSED_PAD src0_sel:DWORD src1_sel:BYTE_3
	v_lshlrev_b32_e32 v5, 20, v5
	v_lshl_add_u32 v11, v11, 23, 0x3c000000
	v_mov_b32_e32 v23, v6
	v_and_b32_e32 v13, 0x80000000, v13
	v_or3_b32 v24, v5, v13, v11
.LBB224_745:                            ;   in Loop: Header=BB224_545 Depth=1
	s_or_b32 exec_lo, exec_lo, s15
.LBB224_746:                            ;   in Loop: Header=BB224_545 Depth=1
	s_or_b32 exec_lo, exec_lo, s14
.LBB224_747:                            ;   in Loop: Header=BB224_545 Depth=1
	s_or_b32 exec_lo, exec_lo, s13
	v_or_b32_e32 v5, v20, v18
	v_or_b32_e32 v11, v19, v17
	;; [unrolled: 1-line block ×4, first 2 shown]
	v_mul_f32_e32 v76, s9, v5
	v_mul_f32_e32 v77, s4, v11
	;; [unrolled: 1-line block ×4, first 2 shown]
	s_and_saveexec_b32 s13, vcc_lo
	s_cbranch_execz .LBB224_749
; %bb.748:                              ;   in Loop: Header=BB224_545 Depth=1
	v_cmp_gt_i32_e64 s1, s27, v55
	v_cndmask_b32_e64 v77, 0, v77, s1
	v_cmp_gt_i32_e64 s1, s27, v57
	v_cndmask_b32_e64 v76, 0, v76, s1
	v_cmp_gt_i32_e64 s1, s27, v56
	v_cndmask_b32_e64 v75, 0, v75, s1
	v_cmp_gt_i32_e64 s1, s27, v44
	v_cndmask_b32_e64 v74, 0, v74, s1
.LBB224_749:                            ;   in Loop: Header=BB224_545 Depth=1
	s_or_b32 exec_lo, exec_lo, s13
	global_load_dword v78, v[15:16], off offset:768
	v_mov_b32_e32 v19, 0
	v_mov_b32_e32 v17, 0
	;; [unrolled: 1-line block ×4, first 2 shown]
	s_waitcnt vmcnt(0)
	v_cmp_ne_u16_sdwa s1, v78, v6 src0_sel:BYTE_0 src1_sel:DWORD
	s_and_saveexec_b32 s13, s1
	s_cbranch_execz .LBB224_757
; %bb.750:                              ;   in Loop: Header=BB224_545 Depth=1
	v_bfrev_b32_e32 v17, 1
	v_mov_b32_e32 v18, 0
	v_cmp_ne_u16_sdwa s1, v78, v46 src0_sel:BYTE_0 src1_sel:DWORD
	s_and_saveexec_b32 s14, s1
	s_cbranch_execz .LBB224_756
; %bb.751:                              ;   in Loop: Header=BB224_545 Depth=1
	v_mov_b32_e32 v17, 0x7f800001
	v_and_b32_e32 v13, 0x7f, v78
	v_mov_b32_e32 v18, 0
	s_mov_b32 s15, exec_lo
	v_cmpx_ne_u32_e32 0x7f, v13
	s_cbranch_execz .LBB224_755
; %bb.752:                              ;   in Loop: Header=BB224_545 Depth=1
	v_and_b32_e32 v5, 7, v78
	v_lshrrev_b32_e32 v11, 3, v13
	s_mov_b32 s16, exec_lo
	v_cmpx_gt_u32_e32 8, v13
; %bb.753:                              ;   in Loop: Header=BB224_545 Depth=1
	v_ffbh_u32_e32 v11, v5
	v_min_u32_e32 v11, 32, v11
	v_subrev_nc_u32_e32 v13, 28, v11
	v_sub_nc_u32_e32 v11, 29, v11
	v_lshlrev_b64 v[17:18], v13, v[5:6]
	v_and_b32_e32 v5, 7, v17
; %bb.754:                              ;   in Loop: Header=BB224_545 Depth=1
	s_or_b32 exec_lo, exec_lo, s16
	v_lshlrev_b32_e32 v13, 24, v78
	v_lshlrev_b32_e32 v5, 20, v5
	v_lshl_add_u32 v11, v11, 23, 0x3c000000
	v_and_b32_e32 v13, 0x80000000, v13
	v_or3_b32 v5, v5, v13, v11
	v_mov_b32_e32 v18, v6
	v_mov_b32_e32 v17, v5
.LBB224_755:                            ;   in Loop: Header=BB224_545 Depth=1
	s_or_b32 exec_lo, exec_lo, s15
.LBB224_756:                            ;   in Loop: Header=BB224_545 Depth=1
	s_or_b32 exec_lo, exec_lo, s14
.LBB224_757:                            ;   in Loop: Header=BB224_545 Depth=1
	s_or_b32 exec_lo, exec_lo, s13
	v_cmp_ne_u16_sdwa s1, v78, v6 src0_sel:BYTE_1 src1_sel:DWORD
	s_and_saveexec_b32 s13, s1
	s_cbranch_execz .LBB224_765
; %bb.758:                              ;   in Loop: Header=BB224_545 Depth=1
	v_mov_b32_e32 v11, v6
	v_mov_b32_e32 v20, v12
	v_cmp_ne_u16_sdwa s1, v78, v46 src0_sel:BYTE_1 src1_sel:DWORD
	v_mov_b32_e32 v19, v11
	s_and_saveexec_b32 s14, s1
	s_cbranch_execz .LBB224_764
; %bb.759:                              ;   in Loop: Header=BB224_545 Depth=1
	v_and_b32_sdwa v5, v47, v78 dst_sel:DWORD dst_unused:UNUSED_PAD src0_sel:DWORD src1_sel:BYTE_1
	v_mov_b32_e32 v13, v6
	v_mov_b32_e32 v20, v14
	s_mov_b32 s15, exec_lo
	v_and_b32_e32 v21, 0x7f, v5
	v_mov_b32_e32 v19, v13
	v_cmpx_ne_u32_e32 0x7f, v21
	s_cbranch_execz .LBB224_763
; %bb.760:                              ;   in Loop: Header=BB224_545 Depth=1
	v_and_b32_e32 v5, 7, v5
	v_lshrrev_b32_e32 v11, 3, v21
	s_mov_b32 s16, exec_lo
	v_cmpx_gt_u32_e32 8, v21
; %bb.761:                              ;   in Loop: Header=BB224_545 Depth=1
	v_ffbh_u32_e32 v11, v5
	v_min_u32_e32 v11, 32, v11
	v_subrev_nc_u32_e32 v13, 28, v11
	v_sub_nc_u32_e32 v11, 29, v11
	v_lshlrev_b64 v[19:20], v13, v[5:6]
	v_and_b32_e32 v5, 7, v19
; %bb.762:                              ;   in Loop: Header=BB224_545 Depth=1
	s_or_b32 exec_lo, exec_lo, s16
	v_lshlrev_b32_e32 v13, 16, v78
	v_lshlrev_b32_e32 v5, 20, v5
	v_lshl_add_u32 v11, v11, 23, 0x3c000000
	v_mov_b32_e32 v19, v6
	v_and_b32_e32 v13, 0x80000000, v13
	v_or3_b32 v20, v5, v13, v11
.LBB224_763:                            ;   in Loop: Header=BB224_545 Depth=1
	s_or_b32 exec_lo, exec_lo, s15
.LBB224_764:                            ;   in Loop: Header=BB224_545 Depth=1
	s_or_b32 exec_lo, exec_lo, s14
.LBB224_765:                            ;   in Loop: Header=BB224_545 Depth=1
	s_or_b32 exec_lo, exec_lo, s13
	v_mov_b32_e32 v23, 0
	v_mov_b32_e32 v21, 0
	v_and_b32_sdwa v5, v78, v48 dst_sel:DWORD dst_unused:UNUSED_PAD src0_sel:WORD_1 src1_sel:DWORD
	v_mov_b32_e32 v24, 0
	v_mov_b32_e32 v22, 0
	s_mov_b32 s13, exec_lo
	v_cmpx_ne_u16_e32 0, v5
	s_cbranch_execz .LBB224_773
; %bb.766:                              ;   in Loop: Header=BB224_545 Depth=1
	v_bfrev_b32_e32 v21, 1
	v_mov_b32_e32 v22, 0
	s_mov_b32 s14, exec_lo
	v_cmpx_ne_u16_e32 0x80, v5
	s_cbranch_execz .LBB224_772
; %bb.767:                              ;   in Loop: Header=BB224_545 Depth=1
	v_mov_b32_e32 v21, 0x7f800001
	v_bfe_u32 v13, v78, 16, 7
	v_mov_b32_e32 v22, 0
	s_mov_b32 s15, exec_lo
	v_cmpx_ne_u32_e32 0x7f, v13
	s_cbranch_execz .LBB224_771
; %bb.768:                              ;   in Loop: Header=BB224_545 Depth=1
	v_and_b32_sdwa v5, v78, v49 dst_sel:DWORD dst_unused:UNUSED_PAD src0_sel:WORD_1 src1_sel:DWORD
	v_lshrrev_b32_e32 v11, 3, v13
	s_mov_b32 s16, exec_lo
	v_cmpx_gt_u32_e32 8, v13
; %bb.769:                              ;   in Loop: Header=BB224_545 Depth=1
	v_ffbh_u32_e32 v11, v5
	v_min_u32_e32 v11, 32, v11
	v_subrev_nc_u32_e32 v13, 28, v11
	v_sub_nc_u32_e32 v11, 29, v11
	v_lshlrev_b64 v[21:22], v13, v[5:6]
	v_and_b32_e32 v5, 7, v21
; %bb.770:                              ;   in Loop: Header=BB224_545 Depth=1
	s_or_b32 exec_lo, exec_lo, s16
	v_lshlrev_b32_sdwa v13, v50, v78 dst_sel:DWORD dst_unused:UNUSED_PAD src0_sel:DWORD src1_sel:WORD_1
	v_lshlrev_b32_e32 v5, 20, v5
	v_lshl_add_u32 v11, v11, 23, 0x3c000000
	v_and_b32_e32 v13, 0x80000000, v13
	v_or3_b32 v5, v5, v13, v11
	v_mov_b32_e32 v22, v6
	v_mov_b32_e32 v21, v5
.LBB224_771:                            ;   in Loop: Header=BB224_545 Depth=1
	s_or_b32 exec_lo, exec_lo, s15
.LBB224_772:                            ;   in Loop: Header=BB224_545 Depth=1
	s_or_b32 exec_lo, exec_lo, s14
.LBB224_773:                            ;   in Loop: Header=BB224_545 Depth=1
	s_or_b32 exec_lo, exec_lo, s13
	s_mov_b32 s13, exec_lo
	v_cmpx_lt_u32_e32 0xffffff, v78
	s_cbranch_execz .LBB224_781
; %bb.774:                              ;   in Loop: Header=BB224_545 Depth=1
	v_mov_b32_e32 v11, v6
	v_mov_b32_e32 v24, v12
	v_cmp_ne_u32_sdwa s1, v78, v46 src0_sel:BYTE_3 src1_sel:DWORD
	v_mov_b32_e32 v23, v11
	s_and_saveexec_b32 s14, s1
	s_cbranch_execz .LBB224_780
; %bb.775:                              ;   in Loop: Header=BB224_545 Depth=1
	v_mov_b32_e32 v13, v6
	v_mov_b32_e32 v24, v14
	v_bfe_u32 v79, v78, 24, 7
	s_mov_b32 s15, exec_lo
	v_mov_b32_e32 v23, v13
	v_cmpx_ne_u32_e32 0x7f, v79
	s_cbranch_execz .LBB224_779
; %bb.776:                              ;   in Loop: Header=BB224_545 Depth=1
	v_and_b32_sdwa v5, v78, v49 dst_sel:DWORD dst_unused:UNUSED_PAD src0_sel:BYTE_3 src1_sel:DWORD
	v_lshrrev_b32_e32 v11, 3, v79
	s_mov_b32 s16, exec_lo
	v_cmpx_gt_u32_e32 8, v79
; %bb.777:                              ;   in Loop: Header=BB224_545 Depth=1
	v_ffbh_u32_e32 v11, v5
	v_min_u32_e32 v11, 32, v11
	v_subrev_nc_u32_e32 v13, 28, v11
	v_sub_nc_u32_e32 v11, 29, v11
	v_lshlrev_b64 v[23:24], v13, v[5:6]
	v_and_b32_e32 v5, 7, v23
; %bb.778:                              ;   in Loop: Header=BB224_545 Depth=1
	s_or_b32 exec_lo, exec_lo, s16
	v_lshlrev_b32_sdwa v13, v50, v78 dst_sel:DWORD dst_unused:UNUSED_PAD src0_sel:DWORD src1_sel:BYTE_3
	v_lshlrev_b32_e32 v5, 20, v5
	v_lshl_add_u32 v11, v11, 23, 0x3c000000
	v_mov_b32_e32 v23, v6
	v_and_b32_e32 v13, 0x80000000, v13
	v_or3_b32 v24, v5, v13, v11
.LBB224_779:                            ;   in Loop: Header=BB224_545 Depth=1
	s_or_b32 exec_lo, exec_lo, s15
.LBB224_780:                            ;   in Loop: Header=BB224_545 Depth=1
	s_or_b32 exec_lo, exec_lo, s14
.LBB224_781:                            ;   in Loop: Header=BB224_545 Depth=1
	s_or_b32 exec_lo, exec_lo, s13
	v_or_b32_e32 v5, v20, v18
	v_or_b32_e32 v11, v19, v17
	;; [unrolled: 1-line block ×4, first 2 shown]
	v_mul_f32_e32 v80, s9, v5
	v_mul_f32_e32 v81, s4, v11
	;; [unrolled: 1-line block ×4, first 2 shown]
	s_and_saveexec_b32 s13, vcc_lo
	s_cbranch_execz .LBB224_783
; %bb.782:                              ;   in Loop: Header=BB224_545 Depth=1
	v_cmp_gt_i32_e64 s1, s27, v55
	v_cndmask_b32_e64 v81, 0, v81, s1
	v_cmp_gt_i32_e64 s1, s27, v57
	v_cndmask_b32_e64 v80, 0, v80, s1
	;; [unrolled: 2-line block ×4, first 2 shown]
.LBB224_783:                            ;   in Loop: Header=BB224_545 Depth=1
	s_or_b32 exec_lo, exec_lo, s13
	global_load_dword v82, v[15:16], off offset:896
	v_mov_b32_e32 v19, 0
	v_mov_b32_e32 v17, 0
	;; [unrolled: 1-line block ×4, first 2 shown]
	s_waitcnt vmcnt(0)
	v_cmp_ne_u16_sdwa s1, v82, v6 src0_sel:BYTE_0 src1_sel:DWORD
	s_and_saveexec_b32 s13, s1
	s_cbranch_execz .LBB224_791
; %bb.784:                              ;   in Loop: Header=BB224_545 Depth=1
	v_bfrev_b32_e32 v17, 1
	v_mov_b32_e32 v18, 0
	v_cmp_ne_u16_sdwa s1, v82, v46 src0_sel:BYTE_0 src1_sel:DWORD
	s_and_saveexec_b32 s14, s1
	s_cbranch_execz .LBB224_790
; %bb.785:                              ;   in Loop: Header=BB224_545 Depth=1
	v_mov_b32_e32 v17, 0x7f800001
	v_and_b32_e32 v13, 0x7f, v82
	v_mov_b32_e32 v18, 0
	s_mov_b32 s15, exec_lo
	v_cmpx_ne_u32_e32 0x7f, v13
	s_cbranch_execz .LBB224_789
; %bb.786:                              ;   in Loop: Header=BB224_545 Depth=1
	v_and_b32_e32 v5, 7, v82
	v_lshrrev_b32_e32 v11, 3, v13
	s_mov_b32 s16, exec_lo
	v_cmpx_gt_u32_e32 8, v13
; %bb.787:                              ;   in Loop: Header=BB224_545 Depth=1
	v_ffbh_u32_e32 v11, v5
	v_min_u32_e32 v11, 32, v11
	v_subrev_nc_u32_e32 v13, 28, v11
	v_sub_nc_u32_e32 v11, 29, v11
	v_lshlrev_b64 v[17:18], v13, v[5:6]
	v_and_b32_e32 v5, 7, v17
; %bb.788:                              ;   in Loop: Header=BB224_545 Depth=1
	s_or_b32 exec_lo, exec_lo, s16
	v_lshlrev_b32_e32 v13, 24, v82
	v_lshlrev_b32_e32 v5, 20, v5
	v_lshl_add_u32 v11, v11, 23, 0x3c000000
	v_and_b32_e32 v13, 0x80000000, v13
	v_or3_b32 v5, v5, v13, v11
	v_mov_b32_e32 v18, v6
	v_mov_b32_e32 v17, v5
.LBB224_789:                            ;   in Loop: Header=BB224_545 Depth=1
	s_or_b32 exec_lo, exec_lo, s15
.LBB224_790:                            ;   in Loop: Header=BB224_545 Depth=1
	s_or_b32 exec_lo, exec_lo, s14
.LBB224_791:                            ;   in Loop: Header=BB224_545 Depth=1
	s_or_b32 exec_lo, exec_lo, s13
	v_cmp_ne_u16_sdwa s1, v82, v6 src0_sel:BYTE_1 src1_sel:DWORD
	s_and_saveexec_b32 s13, s1
	s_cbranch_execz .LBB224_799
; %bb.792:                              ;   in Loop: Header=BB224_545 Depth=1
	v_mov_b32_e32 v11, v6
	v_mov_b32_e32 v20, v12
	v_cmp_ne_u16_sdwa s1, v82, v46 src0_sel:BYTE_1 src1_sel:DWORD
	v_mov_b32_e32 v19, v11
	s_and_saveexec_b32 s14, s1
	s_cbranch_execz .LBB224_798
; %bb.793:                              ;   in Loop: Header=BB224_545 Depth=1
	v_and_b32_sdwa v5, v47, v82 dst_sel:DWORD dst_unused:UNUSED_PAD src0_sel:DWORD src1_sel:BYTE_1
	v_mov_b32_e32 v13, v6
	v_mov_b32_e32 v20, v14
	s_mov_b32 s15, exec_lo
	v_and_b32_e32 v21, 0x7f, v5
	v_mov_b32_e32 v19, v13
	v_cmpx_ne_u32_e32 0x7f, v21
	s_cbranch_execz .LBB224_797
; %bb.794:                              ;   in Loop: Header=BB224_545 Depth=1
	v_and_b32_e32 v5, 7, v5
	v_lshrrev_b32_e32 v11, 3, v21
	s_mov_b32 s16, exec_lo
	v_cmpx_gt_u32_e32 8, v21
; %bb.795:                              ;   in Loop: Header=BB224_545 Depth=1
	v_ffbh_u32_e32 v11, v5
	v_min_u32_e32 v11, 32, v11
	v_subrev_nc_u32_e32 v13, 28, v11
	v_sub_nc_u32_e32 v11, 29, v11
	v_lshlrev_b64 v[19:20], v13, v[5:6]
	v_and_b32_e32 v5, 7, v19
; %bb.796:                              ;   in Loop: Header=BB224_545 Depth=1
	s_or_b32 exec_lo, exec_lo, s16
	v_lshlrev_b32_e32 v13, 16, v82
	v_lshlrev_b32_e32 v5, 20, v5
	v_lshl_add_u32 v11, v11, 23, 0x3c000000
	v_mov_b32_e32 v19, v6
	v_and_b32_e32 v13, 0x80000000, v13
	v_or3_b32 v20, v5, v13, v11
.LBB224_797:                            ;   in Loop: Header=BB224_545 Depth=1
	s_or_b32 exec_lo, exec_lo, s15
.LBB224_798:                            ;   in Loop: Header=BB224_545 Depth=1
	s_or_b32 exec_lo, exec_lo, s14
.LBB224_799:                            ;   in Loop: Header=BB224_545 Depth=1
	s_or_b32 exec_lo, exec_lo, s13
	v_mov_b32_e32 v23, 0
	v_mov_b32_e32 v21, 0
	v_and_b32_sdwa v5, v82, v48 dst_sel:DWORD dst_unused:UNUSED_PAD src0_sel:WORD_1 src1_sel:DWORD
	v_mov_b32_e32 v24, 0
	v_mov_b32_e32 v22, 0
	s_mov_b32 s13, exec_lo
	v_cmpx_ne_u16_e32 0, v5
	s_cbranch_execz .LBB224_807
; %bb.800:                              ;   in Loop: Header=BB224_545 Depth=1
	v_bfrev_b32_e32 v21, 1
	v_mov_b32_e32 v22, 0
	s_mov_b32 s14, exec_lo
	v_cmpx_ne_u16_e32 0x80, v5
	s_cbranch_execz .LBB224_806
; %bb.801:                              ;   in Loop: Header=BB224_545 Depth=1
	v_mov_b32_e32 v21, 0x7f800001
	v_bfe_u32 v13, v82, 16, 7
	v_mov_b32_e32 v22, 0
	s_mov_b32 s15, exec_lo
	v_cmpx_ne_u32_e32 0x7f, v13
	s_cbranch_execz .LBB224_805
; %bb.802:                              ;   in Loop: Header=BB224_545 Depth=1
	v_and_b32_sdwa v5, v82, v49 dst_sel:DWORD dst_unused:UNUSED_PAD src0_sel:WORD_1 src1_sel:DWORD
	v_lshrrev_b32_e32 v11, 3, v13
	s_mov_b32 s16, exec_lo
	v_cmpx_gt_u32_e32 8, v13
; %bb.803:                              ;   in Loop: Header=BB224_545 Depth=1
	v_ffbh_u32_e32 v11, v5
	v_min_u32_e32 v11, 32, v11
	v_subrev_nc_u32_e32 v13, 28, v11
	v_sub_nc_u32_e32 v11, 29, v11
	v_lshlrev_b64 v[21:22], v13, v[5:6]
	v_and_b32_e32 v5, 7, v21
; %bb.804:                              ;   in Loop: Header=BB224_545 Depth=1
	s_or_b32 exec_lo, exec_lo, s16
	v_lshlrev_b32_sdwa v13, v50, v82 dst_sel:DWORD dst_unused:UNUSED_PAD src0_sel:DWORD src1_sel:WORD_1
	v_lshlrev_b32_e32 v5, 20, v5
	v_lshl_add_u32 v11, v11, 23, 0x3c000000
	v_and_b32_e32 v13, 0x80000000, v13
	v_or3_b32 v5, v5, v13, v11
	v_mov_b32_e32 v22, v6
	v_mov_b32_e32 v21, v5
.LBB224_805:                            ;   in Loop: Header=BB224_545 Depth=1
	s_or_b32 exec_lo, exec_lo, s15
.LBB224_806:                            ;   in Loop: Header=BB224_545 Depth=1
	s_or_b32 exec_lo, exec_lo, s14
.LBB224_807:                            ;   in Loop: Header=BB224_545 Depth=1
	s_or_b32 exec_lo, exec_lo, s13
	s_mov_b32 s13, exec_lo
	v_cmpx_lt_u32_e32 0xffffff, v82
	s_cbranch_execz .LBB224_815
; %bb.808:                              ;   in Loop: Header=BB224_545 Depth=1
	v_mov_b32_e32 v11, v6
	v_mov_b32_e32 v24, v12
	v_cmp_ne_u32_sdwa s1, v82, v46 src0_sel:BYTE_3 src1_sel:DWORD
	v_mov_b32_e32 v23, v11
	s_and_saveexec_b32 s14, s1
	s_cbranch_execz .LBB224_814
; %bb.809:                              ;   in Loop: Header=BB224_545 Depth=1
	v_mov_b32_e32 v13, v6
	v_mov_b32_e32 v24, v14
	v_bfe_u32 v83, v82, 24, 7
	s_mov_b32 s15, exec_lo
	v_mov_b32_e32 v23, v13
	v_cmpx_ne_u32_e32 0x7f, v83
	s_cbranch_execz .LBB224_813
; %bb.810:                              ;   in Loop: Header=BB224_545 Depth=1
	v_and_b32_sdwa v5, v82, v49 dst_sel:DWORD dst_unused:UNUSED_PAD src0_sel:BYTE_3 src1_sel:DWORD
	v_lshrrev_b32_e32 v11, 3, v83
	s_mov_b32 s16, exec_lo
	v_cmpx_gt_u32_e32 8, v83
; %bb.811:                              ;   in Loop: Header=BB224_545 Depth=1
	v_ffbh_u32_e32 v11, v5
	v_min_u32_e32 v11, 32, v11
	v_subrev_nc_u32_e32 v13, 28, v11
	v_sub_nc_u32_e32 v11, 29, v11
	v_lshlrev_b64 v[23:24], v13, v[5:6]
	v_and_b32_e32 v5, 7, v23
; %bb.812:                              ;   in Loop: Header=BB224_545 Depth=1
	s_or_b32 exec_lo, exec_lo, s16
	v_lshlrev_b32_sdwa v13, v50, v82 dst_sel:DWORD dst_unused:UNUSED_PAD src0_sel:DWORD src1_sel:BYTE_3
	v_lshlrev_b32_e32 v5, 20, v5
	v_lshl_add_u32 v11, v11, 23, 0x3c000000
	v_mov_b32_e32 v23, v6
	v_and_b32_e32 v13, 0x80000000, v13
	v_or3_b32 v24, v5, v13, v11
.LBB224_813:                            ;   in Loop: Header=BB224_545 Depth=1
	s_or_b32 exec_lo, exec_lo, s15
.LBB224_814:                            ;   in Loop: Header=BB224_545 Depth=1
	s_or_b32 exec_lo, exec_lo, s14
.LBB224_815:                            ;   in Loop: Header=BB224_545 Depth=1
	s_or_b32 exec_lo, exec_lo, s13
	v_or_b32_e32 v5, v20, v18
	v_or_b32_e32 v11, v19, v17
	;; [unrolled: 1-line block ×4, first 2 shown]
	v_mul_f32_e32 v84, s9, v5
	v_mul_f32_e32 v85, s4, v11
	;; [unrolled: 1-line block ×4, first 2 shown]
	s_and_saveexec_b32 s13, vcc_lo
	s_cbranch_execz .LBB224_817
; %bb.816:                              ;   in Loop: Header=BB224_545 Depth=1
	v_cmp_gt_i32_e64 s1, s27, v55
	v_cndmask_b32_e64 v85, 0, v85, s1
	v_cmp_gt_i32_e64 s1, s27, v57
	v_cndmask_b32_e64 v84, 0, v84, s1
	;; [unrolled: 2-line block ×4, first 2 shown]
.LBB224_817:                            ;   in Loop: Header=BB224_545 Depth=1
	s_or_b32 exec_lo, exec_lo, s13
	global_load_dword v86, v[15:16], off offset:1024
	v_mov_b32_e32 v19, 0
	v_mov_b32_e32 v17, 0
	;; [unrolled: 1-line block ×4, first 2 shown]
	s_waitcnt vmcnt(0)
	v_cmp_ne_u16_sdwa s1, v86, v6 src0_sel:BYTE_0 src1_sel:DWORD
	s_and_saveexec_b32 s13, s1
	s_cbranch_execz .LBB224_825
; %bb.818:                              ;   in Loop: Header=BB224_545 Depth=1
	v_bfrev_b32_e32 v17, 1
	v_mov_b32_e32 v18, 0
	v_cmp_ne_u16_sdwa s1, v86, v46 src0_sel:BYTE_0 src1_sel:DWORD
	s_and_saveexec_b32 s14, s1
	s_cbranch_execz .LBB224_824
; %bb.819:                              ;   in Loop: Header=BB224_545 Depth=1
	v_mov_b32_e32 v17, 0x7f800001
	v_and_b32_e32 v13, 0x7f, v86
	v_mov_b32_e32 v18, 0
	s_mov_b32 s15, exec_lo
	v_cmpx_ne_u32_e32 0x7f, v13
	s_cbranch_execz .LBB224_823
; %bb.820:                              ;   in Loop: Header=BB224_545 Depth=1
	v_and_b32_e32 v5, 7, v86
	v_lshrrev_b32_e32 v11, 3, v13
	s_mov_b32 s16, exec_lo
	v_cmpx_gt_u32_e32 8, v13
; %bb.821:                              ;   in Loop: Header=BB224_545 Depth=1
	v_ffbh_u32_e32 v11, v5
	v_min_u32_e32 v11, 32, v11
	v_subrev_nc_u32_e32 v13, 28, v11
	v_sub_nc_u32_e32 v11, 29, v11
	v_lshlrev_b64 v[17:18], v13, v[5:6]
	v_and_b32_e32 v5, 7, v17
; %bb.822:                              ;   in Loop: Header=BB224_545 Depth=1
	s_or_b32 exec_lo, exec_lo, s16
	v_lshlrev_b32_e32 v13, 24, v86
	v_lshlrev_b32_e32 v5, 20, v5
	v_lshl_add_u32 v11, v11, 23, 0x3c000000
	v_and_b32_e32 v13, 0x80000000, v13
	v_or3_b32 v5, v5, v13, v11
	v_mov_b32_e32 v18, v6
	v_mov_b32_e32 v17, v5
.LBB224_823:                            ;   in Loop: Header=BB224_545 Depth=1
	s_or_b32 exec_lo, exec_lo, s15
.LBB224_824:                            ;   in Loop: Header=BB224_545 Depth=1
	s_or_b32 exec_lo, exec_lo, s14
.LBB224_825:                            ;   in Loop: Header=BB224_545 Depth=1
	s_or_b32 exec_lo, exec_lo, s13
	v_cmp_ne_u16_sdwa s1, v86, v6 src0_sel:BYTE_1 src1_sel:DWORD
	s_and_saveexec_b32 s13, s1
	s_cbranch_execz .LBB224_833
; %bb.826:                              ;   in Loop: Header=BB224_545 Depth=1
	v_mov_b32_e32 v11, v6
	v_mov_b32_e32 v20, v12
	v_cmp_ne_u16_sdwa s1, v86, v46 src0_sel:BYTE_1 src1_sel:DWORD
	v_mov_b32_e32 v19, v11
	s_and_saveexec_b32 s14, s1
	s_cbranch_execz .LBB224_832
; %bb.827:                              ;   in Loop: Header=BB224_545 Depth=1
	v_and_b32_sdwa v5, v47, v86 dst_sel:DWORD dst_unused:UNUSED_PAD src0_sel:DWORD src1_sel:BYTE_1
	v_mov_b32_e32 v13, v6
	v_mov_b32_e32 v20, v14
	s_mov_b32 s15, exec_lo
	v_and_b32_e32 v21, 0x7f, v5
	v_mov_b32_e32 v19, v13
	v_cmpx_ne_u32_e32 0x7f, v21
	s_cbranch_execz .LBB224_831
; %bb.828:                              ;   in Loop: Header=BB224_545 Depth=1
	v_and_b32_e32 v5, 7, v5
	v_lshrrev_b32_e32 v11, 3, v21
	s_mov_b32 s16, exec_lo
	v_cmpx_gt_u32_e32 8, v21
; %bb.829:                              ;   in Loop: Header=BB224_545 Depth=1
	v_ffbh_u32_e32 v11, v5
	v_min_u32_e32 v11, 32, v11
	v_subrev_nc_u32_e32 v13, 28, v11
	v_sub_nc_u32_e32 v11, 29, v11
	v_lshlrev_b64 v[19:20], v13, v[5:6]
	v_and_b32_e32 v5, 7, v19
; %bb.830:                              ;   in Loop: Header=BB224_545 Depth=1
	s_or_b32 exec_lo, exec_lo, s16
	v_lshlrev_b32_e32 v13, 16, v86
	v_lshlrev_b32_e32 v5, 20, v5
	v_lshl_add_u32 v11, v11, 23, 0x3c000000
	v_mov_b32_e32 v19, v6
	v_and_b32_e32 v13, 0x80000000, v13
	v_or3_b32 v20, v5, v13, v11
.LBB224_831:                            ;   in Loop: Header=BB224_545 Depth=1
	s_or_b32 exec_lo, exec_lo, s15
.LBB224_832:                            ;   in Loop: Header=BB224_545 Depth=1
	s_or_b32 exec_lo, exec_lo, s14
.LBB224_833:                            ;   in Loop: Header=BB224_545 Depth=1
	s_or_b32 exec_lo, exec_lo, s13
	v_mov_b32_e32 v23, 0
	v_mov_b32_e32 v21, 0
	v_and_b32_sdwa v5, v86, v48 dst_sel:DWORD dst_unused:UNUSED_PAD src0_sel:WORD_1 src1_sel:DWORD
	v_mov_b32_e32 v24, 0
	v_mov_b32_e32 v22, 0
	s_mov_b32 s13, exec_lo
	v_cmpx_ne_u16_e32 0, v5
	s_cbranch_execz .LBB224_841
; %bb.834:                              ;   in Loop: Header=BB224_545 Depth=1
	v_bfrev_b32_e32 v21, 1
	v_mov_b32_e32 v22, 0
	s_mov_b32 s14, exec_lo
	v_cmpx_ne_u16_e32 0x80, v5
	s_cbranch_execz .LBB224_840
; %bb.835:                              ;   in Loop: Header=BB224_545 Depth=1
	v_mov_b32_e32 v21, 0x7f800001
	v_bfe_u32 v13, v86, 16, 7
	v_mov_b32_e32 v22, 0
	s_mov_b32 s15, exec_lo
	v_cmpx_ne_u32_e32 0x7f, v13
	s_cbranch_execz .LBB224_839
; %bb.836:                              ;   in Loop: Header=BB224_545 Depth=1
	v_and_b32_sdwa v5, v86, v49 dst_sel:DWORD dst_unused:UNUSED_PAD src0_sel:WORD_1 src1_sel:DWORD
	v_lshrrev_b32_e32 v11, 3, v13
	s_mov_b32 s16, exec_lo
	v_cmpx_gt_u32_e32 8, v13
; %bb.837:                              ;   in Loop: Header=BB224_545 Depth=1
	v_ffbh_u32_e32 v11, v5
	v_min_u32_e32 v11, 32, v11
	v_subrev_nc_u32_e32 v13, 28, v11
	v_sub_nc_u32_e32 v11, 29, v11
	v_lshlrev_b64 v[21:22], v13, v[5:6]
	v_and_b32_e32 v5, 7, v21
; %bb.838:                              ;   in Loop: Header=BB224_545 Depth=1
	s_or_b32 exec_lo, exec_lo, s16
	v_lshlrev_b32_sdwa v13, v50, v86 dst_sel:DWORD dst_unused:UNUSED_PAD src0_sel:DWORD src1_sel:WORD_1
	v_lshlrev_b32_e32 v5, 20, v5
	v_lshl_add_u32 v11, v11, 23, 0x3c000000
	v_and_b32_e32 v13, 0x80000000, v13
	v_or3_b32 v5, v5, v13, v11
	v_mov_b32_e32 v22, v6
	v_mov_b32_e32 v21, v5
.LBB224_839:                            ;   in Loop: Header=BB224_545 Depth=1
	s_or_b32 exec_lo, exec_lo, s15
.LBB224_840:                            ;   in Loop: Header=BB224_545 Depth=1
	s_or_b32 exec_lo, exec_lo, s14
.LBB224_841:                            ;   in Loop: Header=BB224_545 Depth=1
	s_or_b32 exec_lo, exec_lo, s13
	s_mov_b32 s13, exec_lo
	v_cmpx_lt_u32_e32 0xffffff, v86
	s_cbranch_execz .LBB224_849
; %bb.842:                              ;   in Loop: Header=BB224_545 Depth=1
	v_mov_b32_e32 v11, v6
	v_mov_b32_e32 v24, v12
	v_cmp_ne_u32_sdwa s1, v86, v46 src0_sel:BYTE_3 src1_sel:DWORD
	v_mov_b32_e32 v23, v11
	s_and_saveexec_b32 s14, s1
	s_cbranch_execz .LBB224_848
; %bb.843:                              ;   in Loop: Header=BB224_545 Depth=1
	v_mov_b32_e32 v13, v6
	v_mov_b32_e32 v24, v14
	v_bfe_u32 v87, v86, 24, 7
	s_mov_b32 s15, exec_lo
	v_mov_b32_e32 v23, v13
	v_cmpx_ne_u32_e32 0x7f, v87
	s_cbranch_execz .LBB224_847
; %bb.844:                              ;   in Loop: Header=BB224_545 Depth=1
	v_and_b32_sdwa v5, v86, v49 dst_sel:DWORD dst_unused:UNUSED_PAD src0_sel:BYTE_3 src1_sel:DWORD
	v_lshrrev_b32_e32 v11, 3, v87
	s_mov_b32 s16, exec_lo
	v_cmpx_gt_u32_e32 8, v87
; %bb.845:                              ;   in Loop: Header=BB224_545 Depth=1
	v_ffbh_u32_e32 v11, v5
	v_min_u32_e32 v11, 32, v11
	v_subrev_nc_u32_e32 v13, 28, v11
	v_sub_nc_u32_e32 v11, 29, v11
	v_lshlrev_b64 v[23:24], v13, v[5:6]
	v_and_b32_e32 v5, 7, v23
; %bb.846:                              ;   in Loop: Header=BB224_545 Depth=1
	s_or_b32 exec_lo, exec_lo, s16
	v_lshlrev_b32_sdwa v13, v50, v86 dst_sel:DWORD dst_unused:UNUSED_PAD src0_sel:DWORD src1_sel:BYTE_3
	v_lshlrev_b32_e32 v5, 20, v5
	v_lshl_add_u32 v11, v11, 23, 0x3c000000
	v_mov_b32_e32 v23, v6
	v_and_b32_e32 v13, 0x80000000, v13
	v_or3_b32 v24, v5, v13, v11
.LBB224_847:                            ;   in Loop: Header=BB224_545 Depth=1
	s_or_b32 exec_lo, exec_lo, s15
.LBB224_848:                            ;   in Loop: Header=BB224_545 Depth=1
	s_or_b32 exec_lo, exec_lo, s14
.LBB224_849:                            ;   in Loop: Header=BB224_545 Depth=1
	s_or_b32 exec_lo, exec_lo, s13
	v_or_b32_e32 v5, v20, v18
	v_or_b32_e32 v11, v19, v17
	;; [unrolled: 1-line block ×4, first 2 shown]
	v_mul_f32_e32 v88, s9, v5
	v_mul_f32_e32 v89, s4, v11
	v_mul_f32_e32 v87, s4, v13
	v_mul_f32_e32 v86, s9, v17
	s_and_saveexec_b32 s13, vcc_lo
	s_cbranch_execz .LBB224_851
; %bb.850:                              ;   in Loop: Header=BB224_545 Depth=1
	v_cmp_gt_i32_e64 s1, s27, v55
	v_cndmask_b32_e64 v89, 0, v89, s1
	v_cmp_gt_i32_e64 s1, s27, v57
	v_cndmask_b32_e64 v88, 0, v88, s1
	;; [unrolled: 2-line block ×4, first 2 shown]
.LBB224_851:                            ;   in Loop: Header=BB224_545 Depth=1
	s_or_b32 exec_lo, exec_lo, s13
	global_load_dword v90, v[15:16], off offset:1152
	v_mov_b32_e32 v19, 0
	v_mov_b32_e32 v17, 0
	;; [unrolled: 1-line block ×4, first 2 shown]
	s_waitcnt vmcnt(0)
	v_cmp_ne_u16_sdwa s1, v90, v6 src0_sel:BYTE_0 src1_sel:DWORD
	s_and_saveexec_b32 s13, s1
	s_cbranch_execz .LBB224_859
; %bb.852:                              ;   in Loop: Header=BB224_545 Depth=1
	v_bfrev_b32_e32 v17, 1
	v_mov_b32_e32 v18, 0
	v_cmp_ne_u16_sdwa s1, v90, v46 src0_sel:BYTE_0 src1_sel:DWORD
	s_and_saveexec_b32 s14, s1
	s_cbranch_execz .LBB224_858
; %bb.853:                              ;   in Loop: Header=BB224_545 Depth=1
	v_mov_b32_e32 v17, 0x7f800001
	v_and_b32_e32 v13, 0x7f, v90
	v_mov_b32_e32 v18, 0
	s_mov_b32 s15, exec_lo
	v_cmpx_ne_u32_e32 0x7f, v13
	s_cbranch_execz .LBB224_857
; %bb.854:                              ;   in Loop: Header=BB224_545 Depth=1
	v_and_b32_e32 v5, 7, v90
	v_lshrrev_b32_e32 v11, 3, v13
	s_mov_b32 s16, exec_lo
	v_cmpx_gt_u32_e32 8, v13
; %bb.855:                              ;   in Loop: Header=BB224_545 Depth=1
	v_ffbh_u32_e32 v11, v5
	v_min_u32_e32 v11, 32, v11
	v_subrev_nc_u32_e32 v13, 28, v11
	v_sub_nc_u32_e32 v11, 29, v11
	v_lshlrev_b64 v[17:18], v13, v[5:6]
	v_and_b32_e32 v5, 7, v17
; %bb.856:                              ;   in Loop: Header=BB224_545 Depth=1
	s_or_b32 exec_lo, exec_lo, s16
	v_lshlrev_b32_e32 v13, 24, v90
	v_lshlrev_b32_e32 v5, 20, v5
	v_lshl_add_u32 v11, v11, 23, 0x3c000000
	v_and_b32_e32 v13, 0x80000000, v13
	v_or3_b32 v5, v5, v13, v11
	v_mov_b32_e32 v18, v6
	v_mov_b32_e32 v17, v5
.LBB224_857:                            ;   in Loop: Header=BB224_545 Depth=1
	s_or_b32 exec_lo, exec_lo, s15
.LBB224_858:                            ;   in Loop: Header=BB224_545 Depth=1
	s_or_b32 exec_lo, exec_lo, s14
.LBB224_859:                            ;   in Loop: Header=BB224_545 Depth=1
	s_or_b32 exec_lo, exec_lo, s13
	v_cmp_ne_u16_sdwa s1, v90, v6 src0_sel:BYTE_1 src1_sel:DWORD
	s_and_saveexec_b32 s13, s1
	s_cbranch_execz .LBB224_867
; %bb.860:                              ;   in Loop: Header=BB224_545 Depth=1
	v_mov_b32_e32 v11, v6
	v_mov_b32_e32 v20, v12
	v_cmp_ne_u16_sdwa s1, v90, v46 src0_sel:BYTE_1 src1_sel:DWORD
	v_mov_b32_e32 v19, v11
	s_and_saveexec_b32 s14, s1
	s_cbranch_execz .LBB224_866
; %bb.861:                              ;   in Loop: Header=BB224_545 Depth=1
	v_and_b32_sdwa v5, v47, v90 dst_sel:DWORD dst_unused:UNUSED_PAD src0_sel:DWORD src1_sel:BYTE_1
	v_mov_b32_e32 v13, v6
	v_mov_b32_e32 v20, v14
	s_mov_b32 s15, exec_lo
	v_and_b32_e32 v21, 0x7f, v5
	v_mov_b32_e32 v19, v13
	v_cmpx_ne_u32_e32 0x7f, v21
	s_cbranch_execz .LBB224_865
; %bb.862:                              ;   in Loop: Header=BB224_545 Depth=1
	v_and_b32_e32 v5, 7, v5
	v_lshrrev_b32_e32 v11, 3, v21
	s_mov_b32 s16, exec_lo
	v_cmpx_gt_u32_e32 8, v21
; %bb.863:                              ;   in Loop: Header=BB224_545 Depth=1
	v_ffbh_u32_e32 v11, v5
	v_min_u32_e32 v11, 32, v11
	v_subrev_nc_u32_e32 v13, 28, v11
	v_sub_nc_u32_e32 v11, 29, v11
	v_lshlrev_b64 v[19:20], v13, v[5:6]
	v_and_b32_e32 v5, 7, v19
; %bb.864:                              ;   in Loop: Header=BB224_545 Depth=1
	s_or_b32 exec_lo, exec_lo, s16
	v_lshlrev_b32_e32 v13, 16, v90
	v_lshlrev_b32_e32 v5, 20, v5
	v_lshl_add_u32 v11, v11, 23, 0x3c000000
	v_mov_b32_e32 v19, v6
	v_and_b32_e32 v13, 0x80000000, v13
	v_or3_b32 v20, v5, v13, v11
.LBB224_865:                            ;   in Loop: Header=BB224_545 Depth=1
	s_or_b32 exec_lo, exec_lo, s15
.LBB224_866:                            ;   in Loop: Header=BB224_545 Depth=1
	s_or_b32 exec_lo, exec_lo, s14
.LBB224_867:                            ;   in Loop: Header=BB224_545 Depth=1
	s_or_b32 exec_lo, exec_lo, s13
	v_mov_b32_e32 v23, 0
	v_mov_b32_e32 v21, 0
	v_and_b32_sdwa v5, v90, v48 dst_sel:DWORD dst_unused:UNUSED_PAD src0_sel:WORD_1 src1_sel:DWORD
	v_mov_b32_e32 v24, 0
	v_mov_b32_e32 v22, 0
	s_mov_b32 s13, exec_lo
	v_cmpx_ne_u16_e32 0, v5
	s_cbranch_execz .LBB224_875
; %bb.868:                              ;   in Loop: Header=BB224_545 Depth=1
	v_bfrev_b32_e32 v21, 1
	v_mov_b32_e32 v22, 0
	s_mov_b32 s14, exec_lo
	v_cmpx_ne_u16_e32 0x80, v5
	s_cbranch_execz .LBB224_874
; %bb.869:                              ;   in Loop: Header=BB224_545 Depth=1
	v_mov_b32_e32 v21, 0x7f800001
	v_bfe_u32 v13, v90, 16, 7
	v_mov_b32_e32 v22, 0
	s_mov_b32 s15, exec_lo
	v_cmpx_ne_u32_e32 0x7f, v13
	s_cbranch_execz .LBB224_873
; %bb.870:                              ;   in Loop: Header=BB224_545 Depth=1
	v_and_b32_sdwa v5, v90, v49 dst_sel:DWORD dst_unused:UNUSED_PAD src0_sel:WORD_1 src1_sel:DWORD
	v_lshrrev_b32_e32 v11, 3, v13
	s_mov_b32 s16, exec_lo
	v_cmpx_gt_u32_e32 8, v13
; %bb.871:                              ;   in Loop: Header=BB224_545 Depth=1
	v_ffbh_u32_e32 v11, v5
	v_min_u32_e32 v11, 32, v11
	v_subrev_nc_u32_e32 v13, 28, v11
	v_sub_nc_u32_e32 v11, 29, v11
	v_lshlrev_b64 v[21:22], v13, v[5:6]
	v_and_b32_e32 v5, 7, v21
; %bb.872:                              ;   in Loop: Header=BB224_545 Depth=1
	s_or_b32 exec_lo, exec_lo, s16
	v_lshlrev_b32_sdwa v13, v50, v90 dst_sel:DWORD dst_unused:UNUSED_PAD src0_sel:DWORD src1_sel:WORD_1
	v_lshlrev_b32_e32 v5, 20, v5
	v_lshl_add_u32 v11, v11, 23, 0x3c000000
	v_and_b32_e32 v13, 0x80000000, v13
	v_or3_b32 v5, v5, v13, v11
	v_mov_b32_e32 v22, v6
	v_mov_b32_e32 v21, v5
.LBB224_873:                            ;   in Loop: Header=BB224_545 Depth=1
	s_or_b32 exec_lo, exec_lo, s15
.LBB224_874:                            ;   in Loop: Header=BB224_545 Depth=1
	s_or_b32 exec_lo, exec_lo, s14
.LBB224_875:                            ;   in Loop: Header=BB224_545 Depth=1
	s_or_b32 exec_lo, exec_lo, s13
	s_mov_b32 s13, exec_lo
	v_cmpx_lt_u32_e32 0xffffff, v90
	s_cbranch_execz .LBB224_883
; %bb.876:                              ;   in Loop: Header=BB224_545 Depth=1
	v_mov_b32_e32 v11, v6
	v_mov_b32_e32 v24, v12
	v_cmp_ne_u32_sdwa s1, v90, v46 src0_sel:BYTE_3 src1_sel:DWORD
	v_mov_b32_e32 v23, v11
	s_and_saveexec_b32 s14, s1
	s_cbranch_execz .LBB224_882
; %bb.877:                              ;   in Loop: Header=BB224_545 Depth=1
	v_mov_b32_e32 v13, v6
	v_mov_b32_e32 v24, v14
	v_bfe_u32 v91, v90, 24, 7
	s_mov_b32 s15, exec_lo
	v_mov_b32_e32 v23, v13
	v_cmpx_ne_u32_e32 0x7f, v91
	s_cbranch_execz .LBB224_881
; %bb.878:                              ;   in Loop: Header=BB224_545 Depth=1
	v_and_b32_sdwa v5, v90, v49 dst_sel:DWORD dst_unused:UNUSED_PAD src0_sel:BYTE_3 src1_sel:DWORD
	v_lshrrev_b32_e32 v11, 3, v91
	s_mov_b32 s16, exec_lo
	v_cmpx_gt_u32_e32 8, v91
; %bb.879:                              ;   in Loop: Header=BB224_545 Depth=1
	v_ffbh_u32_e32 v11, v5
	v_min_u32_e32 v11, 32, v11
	v_subrev_nc_u32_e32 v13, 28, v11
	v_sub_nc_u32_e32 v11, 29, v11
	v_lshlrev_b64 v[23:24], v13, v[5:6]
	v_and_b32_e32 v5, 7, v23
; %bb.880:                              ;   in Loop: Header=BB224_545 Depth=1
	s_or_b32 exec_lo, exec_lo, s16
	v_lshlrev_b32_sdwa v13, v50, v90 dst_sel:DWORD dst_unused:UNUSED_PAD src0_sel:DWORD src1_sel:BYTE_3
	v_lshlrev_b32_e32 v5, 20, v5
	v_lshl_add_u32 v11, v11, 23, 0x3c000000
	v_mov_b32_e32 v23, v6
	v_and_b32_e32 v13, 0x80000000, v13
	v_or3_b32 v24, v5, v13, v11
.LBB224_881:                            ;   in Loop: Header=BB224_545 Depth=1
	s_or_b32 exec_lo, exec_lo, s15
.LBB224_882:                            ;   in Loop: Header=BB224_545 Depth=1
	s_or_b32 exec_lo, exec_lo, s14
.LBB224_883:                            ;   in Loop: Header=BB224_545 Depth=1
	s_or_b32 exec_lo, exec_lo, s13
	v_or_b32_e32 v5, v20, v18
	v_or_b32_e32 v11, v19, v17
	;; [unrolled: 1-line block ×4, first 2 shown]
	v_mul_f32_e32 v92, s9, v5
	v_mul_f32_e32 v93, s4, v11
	;; [unrolled: 1-line block ×4, first 2 shown]
	s_and_saveexec_b32 s13, vcc_lo
	s_cbranch_execz .LBB224_885
; %bb.884:                              ;   in Loop: Header=BB224_545 Depth=1
	v_cmp_gt_i32_e64 s1, s27, v55
	v_cndmask_b32_e64 v93, 0, v93, s1
	v_cmp_gt_i32_e64 s1, s27, v57
	v_cndmask_b32_e64 v92, 0, v92, s1
	v_cmp_gt_i32_e64 s1, s27, v56
	v_cndmask_b32_e64 v91, 0, v91, s1
	v_cmp_gt_i32_e64 s1, s27, v44
	v_cndmask_b32_e64 v90, 0, v90, s1
.LBB224_885:                            ;   in Loop: Header=BB224_545 Depth=1
	s_or_b32 exec_lo, exec_lo, s13
	global_load_dword v94, v[15:16], off offset:1280
	v_mov_b32_e32 v19, 0
	v_mov_b32_e32 v17, 0
	;; [unrolled: 1-line block ×4, first 2 shown]
	s_waitcnt vmcnt(0)
	v_cmp_ne_u16_sdwa s1, v94, v6 src0_sel:BYTE_0 src1_sel:DWORD
	s_and_saveexec_b32 s13, s1
	s_cbranch_execz .LBB224_893
; %bb.886:                              ;   in Loop: Header=BB224_545 Depth=1
	v_bfrev_b32_e32 v17, 1
	v_mov_b32_e32 v18, 0
	v_cmp_ne_u16_sdwa s1, v94, v46 src0_sel:BYTE_0 src1_sel:DWORD
	s_and_saveexec_b32 s14, s1
	s_cbranch_execz .LBB224_892
; %bb.887:                              ;   in Loop: Header=BB224_545 Depth=1
	v_mov_b32_e32 v17, 0x7f800001
	v_and_b32_e32 v13, 0x7f, v94
	v_mov_b32_e32 v18, 0
	s_mov_b32 s15, exec_lo
	v_cmpx_ne_u32_e32 0x7f, v13
	s_cbranch_execz .LBB224_891
; %bb.888:                              ;   in Loop: Header=BB224_545 Depth=1
	v_and_b32_e32 v5, 7, v94
	v_lshrrev_b32_e32 v11, 3, v13
	s_mov_b32 s16, exec_lo
	v_cmpx_gt_u32_e32 8, v13
; %bb.889:                              ;   in Loop: Header=BB224_545 Depth=1
	v_ffbh_u32_e32 v11, v5
	v_min_u32_e32 v11, 32, v11
	v_subrev_nc_u32_e32 v13, 28, v11
	v_sub_nc_u32_e32 v11, 29, v11
	v_lshlrev_b64 v[17:18], v13, v[5:6]
	v_and_b32_e32 v5, 7, v17
; %bb.890:                              ;   in Loop: Header=BB224_545 Depth=1
	s_or_b32 exec_lo, exec_lo, s16
	v_lshlrev_b32_e32 v13, 24, v94
	v_lshlrev_b32_e32 v5, 20, v5
	v_lshl_add_u32 v11, v11, 23, 0x3c000000
	v_and_b32_e32 v13, 0x80000000, v13
	v_or3_b32 v5, v5, v13, v11
	v_mov_b32_e32 v18, v6
	v_mov_b32_e32 v17, v5
.LBB224_891:                            ;   in Loop: Header=BB224_545 Depth=1
	s_or_b32 exec_lo, exec_lo, s15
.LBB224_892:                            ;   in Loop: Header=BB224_545 Depth=1
	s_or_b32 exec_lo, exec_lo, s14
.LBB224_893:                            ;   in Loop: Header=BB224_545 Depth=1
	s_or_b32 exec_lo, exec_lo, s13
	v_cmp_ne_u16_sdwa s1, v94, v6 src0_sel:BYTE_1 src1_sel:DWORD
	s_and_saveexec_b32 s13, s1
	s_cbranch_execz .LBB224_901
; %bb.894:                              ;   in Loop: Header=BB224_545 Depth=1
	v_mov_b32_e32 v11, v6
	v_mov_b32_e32 v20, v12
	v_cmp_ne_u16_sdwa s1, v94, v46 src0_sel:BYTE_1 src1_sel:DWORD
	v_mov_b32_e32 v19, v11
	s_and_saveexec_b32 s14, s1
	s_cbranch_execz .LBB224_900
; %bb.895:                              ;   in Loop: Header=BB224_545 Depth=1
	v_and_b32_sdwa v5, v47, v94 dst_sel:DWORD dst_unused:UNUSED_PAD src0_sel:DWORD src1_sel:BYTE_1
	v_mov_b32_e32 v13, v6
	v_mov_b32_e32 v20, v14
	s_mov_b32 s15, exec_lo
	v_and_b32_e32 v21, 0x7f, v5
	v_mov_b32_e32 v19, v13
	v_cmpx_ne_u32_e32 0x7f, v21
	s_cbranch_execz .LBB224_899
; %bb.896:                              ;   in Loop: Header=BB224_545 Depth=1
	v_and_b32_e32 v5, 7, v5
	v_lshrrev_b32_e32 v11, 3, v21
	s_mov_b32 s16, exec_lo
	v_cmpx_gt_u32_e32 8, v21
; %bb.897:                              ;   in Loop: Header=BB224_545 Depth=1
	v_ffbh_u32_e32 v11, v5
	v_min_u32_e32 v11, 32, v11
	v_subrev_nc_u32_e32 v13, 28, v11
	v_sub_nc_u32_e32 v11, 29, v11
	v_lshlrev_b64 v[19:20], v13, v[5:6]
	v_and_b32_e32 v5, 7, v19
; %bb.898:                              ;   in Loop: Header=BB224_545 Depth=1
	s_or_b32 exec_lo, exec_lo, s16
	v_lshlrev_b32_e32 v13, 16, v94
	v_lshlrev_b32_e32 v5, 20, v5
	v_lshl_add_u32 v11, v11, 23, 0x3c000000
	v_mov_b32_e32 v19, v6
	v_and_b32_e32 v13, 0x80000000, v13
	v_or3_b32 v20, v5, v13, v11
.LBB224_899:                            ;   in Loop: Header=BB224_545 Depth=1
	s_or_b32 exec_lo, exec_lo, s15
.LBB224_900:                            ;   in Loop: Header=BB224_545 Depth=1
	s_or_b32 exec_lo, exec_lo, s14
.LBB224_901:                            ;   in Loop: Header=BB224_545 Depth=1
	s_or_b32 exec_lo, exec_lo, s13
	v_mov_b32_e32 v23, 0
	v_mov_b32_e32 v21, 0
	v_and_b32_sdwa v5, v94, v48 dst_sel:DWORD dst_unused:UNUSED_PAD src0_sel:WORD_1 src1_sel:DWORD
	v_mov_b32_e32 v24, 0
	v_mov_b32_e32 v22, 0
	s_mov_b32 s13, exec_lo
	v_cmpx_ne_u16_e32 0, v5
	s_cbranch_execz .LBB224_909
; %bb.902:                              ;   in Loop: Header=BB224_545 Depth=1
	v_bfrev_b32_e32 v21, 1
	v_mov_b32_e32 v22, 0
	s_mov_b32 s14, exec_lo
	v_cmpx_ne_u16_e32 0x80, v5
	s_cbranch_execz .LBB224_908
; %bb.903:                              ;   in Loop: Header=BB224_545 Depth=1
	v_mov_b32_e32 v21, 0x7f800001
	v_bfe_u32 v13, v94, 16, 7
	v_mov_b32_e32 v22, 0
	s_mov_b32 s15, exec_lo
	v_cmpx_ne_u32_e32 0x7f, v13
	s_cbranch_execz .LBB224_907
; %bb.904:                              ;   in Loop: Header=BB224_545 Depth=1
	v_and_b32_sdwa v5, v94, v49 dst_sel:DWORD dst_unused:UNUSED_PAD src0_sel:WORD_1 src1_sel:DWORD
	v_lshrrev_b32_e32 v11, 3, v13
	s_mov_b32 s16, exec_lo
	v_cmpx_gt_u32_e32 8, v13
; %bb.905:                              ;   in Loop: Header=BB224_545 Depth=1
	v_ffbh_u32_e32 v11, v5
	v_min_u32_e32 v11, 32, v11
	v_subrev_nc_u32_e32 v13, 28, v11
	v_sub_nc_u32_e32 v11, 29, v11
	v_lshlrev_b64 v[21:22], v13, v[5:6]
	v_and_b32_e32 v5, 7, v21
; %bb.906:                              ;   in Loop: Header=BB224_545 Depth=1
	s_or_b32 exec_lo, exec_lo, s16
	v_lshlrev_b32_sdwa v13, v50, v94 dst_sel:DWORD dst_unused:UNUSED_PAD src0_sel:DWORD src1_sel:WORD_1
	v_lshlrev_b32_e32 v5, 20, v5
	v_lshl_add_u32 v11, v11, 23, 0x3c000000
	v_and_b32_e32 v13, 0x80000000, v13
	v_or3_b32 v5, v5, v13, v11
	v_mov_b32_e32 v22, v6
	v_mov_b32_e32 v21, v5
.LBB224_907:                            ;   in Loop: Header=BB224_545 Depth=1
	s_or_b32 exec_lo, exec_lo, s15
.LBB224_908:                            ;   in Loop: Header=BB224_545 Depth=1
	s_or_b32 exec_lo, exec_lo, s14
.LBB224_909:                            ;   in Loop: Header=BB224_545 Depth=1
	s_or_b32 exec_lo, exec_lo, s13
	s_mov_b32 s13, exec_lo
	v_cmpx_lt_u32_e32 0xffffff, v94
	s_cbranch_execz .LBB224_917
; %bb.910:                              ;   in Loop: Header=BB224_545 Depth=1
	v_mov_b32_e32 v11, v6
	v_mov_b32_e32 v24, v12
	v_cmp_ne_u32_sdwa s1, v94, v46 src0_sel:BYTE_3 src1_sel:DWORD
	v_mov_b32_e32 v23, v11
	s_and_saveexec_b32 s14, s1
	s_cbranch_execz .LBB224_916
; %bb.911:                              ;   in Loop: Header=BB224_545 Depth=1
	v_mov_b32_e32 v13, v6
	v_mov_b32_e32 v24, v14
	v_bfe_u32 v95, v94, 24, 7
	s_mov_b32 s15, exec_lo
	v_mov_b32_e32 v23, v13
	v_cmpx_ne_u32_e32 0x7f, v95
	s_cbranch_execz .LBB224_915
; %bb.912:                              ;   in Loop: Header=BB224_545 Depth=1
	v_and_b32_sdwa v5, v94, v49 dst_sel:DWORD dst_unused:UNUSED_PAD src0_sel:BYTE_3 src1_sel:DWORD
	v_lshrrev_b32_e32 v11, 3, v95
	s_mov_b32 s16, exec_lo
	v_cmpx_gt_u32_e32 8, v95
; %bb.913:                              ;   in Loop: Header=BB224_545 Depth=1
	v_ffbh_u32_e32 v11, v5
	v_min_u32_e32 v11, 32, v11
	v_subrev_nc_u32_e32 v13, 28, v11
	v_sub_nc_u32_e32 v11, 29, v11
	v_lshlrev_b64 v[23:24], v13, v[5:6]
	v_and_b32_e32 v5, 7, v23
; %bb.914:                              ;   in Loop: Header=BB224_545 Depth=1
	s_or_b32 exec_lo, exec_lo, s16
	v_lshlrev_b32_sdwa v13, v50, v94 dst_sel:DWORD dst_unused:UNUSED_PAD src0_sel:DWORD src1_sel:BYTE_3
	v_lshlrev_b32_e32 v5, 20, v5
	v_lshl_add_u32 v11, v11, 23, 0x3c000000
	v_mov_b32_e32 v23, v6
	v_and_b32_e32 v13, 0x80000000, v13
	v_or3_b32 v24, v5, v13, v11
.LBB224_915:                            ;   in Loop: Header=BB224_545 Depth=1
	s_or_b32 exec_lo, exec_lo, s15
.LBB224_916:                            ;   in Loop: Header=BB224_545 Depth=1
	s_or_b32 exec_lo, exec_lo, s14
.LBB224_917:                            ;   in Loop: Header=BB224_545 Depth=1
	s_or_b32 exec_lo, exec_lo, s13
	v_or_b32_e32 v5, v20, v18
	v_or_b32_e32 v11, v19, v17
	;; [unrolled: 1-line block ×4, first 2 shown]
	v_mul_f32_e32 v96, s9, v5
	v_mul_f32_e32 v97, s4, v11
	;; [unrolled: 1-line block ×4, first 2 shown]
	s_and_saveexec_b32 s13, vcc_lo
	s_cbranch_execz .LBB224_919
; %bb.918:                              ;   in Loop: Header=BB224_545 Depth=1
	v_cmp_gt_i32_e64 s1, s27, v55
	v_cndmask_b32_e64 v97, 0, v97, s1
	v_cmp_gt_i32_e64 s1, s27, v57
	v_cndmask_b32_e64 v96, 0, v96, s1
	;; [unrolled: 2-line block ×4, first 2 shown]
.LBB224_919:                            ;   in Loop: Header=BB224_545 Depth=1
	s_or_b32 exec_lo, exec_lo, s13
	global_load_dword v98, v[15:16], off offset:1408
	v_mov_b32_e32 v19, 0
	v_mov_b32_e32 v17, 0
	;; [unrolled: 1-line block ×4, first 2 shown]
	s_waitcnt vmcnt(0)
	v_cmp_ne_u16_sdwa s1, v98, v6 src0_sel:BYTE_0 src1_sel:DWORD
	s_and_saveexec_b32 s13, s1
	s_cbranch_execz .LBB224_927
; %bb.920:                              ;   in Loop: Header=BB224_545 Depth=1
	v_bfrev_b32_e32 v17, 1
	v_mov_b32_e32 v18, 0
	v_cmp_ne_u16_sdwa s1, v98, v46 src0_sel:BYTE_0 src1_sel:DWORD
	s_and_saveexec_b32 s14, s1
	s_cbranch_execz .LBB224_926
; %bb.921:                              ;   in Loop: Header=BB224_545 Depth=1
	v_mov_b32_e32 v17, 0x7f800001
	v_and_b32_e32 v13, 0x7f, v98
	v_mov_b32_e32 v18, 0
	s_mov_b32 s15, exec_lo
	v_cmpx_ne_u32_e32 0x7f, v13
	s_cbranch_execz .LBB224_925
; %bb.922:                              ;   in Loop: Header=BB224_545 Depth=1
	v_and_b32_e32 v5, 7, v98
	v_lshrrev_b32_e32 v11, 3, v13
	s_mov_b32 s16, exec_lo
	v_cmpx_gt_u32_e32 8, v13
; %bb.923:                              ;   in Loop: Header=BB224_545 Depth=1
	v_ffbh_u32_e32 v11, v5
	v_min_u32_e32 v11, 32, v11
	v_subrev_nc_u32_e32 v13, 28, v11
	v_sub_nc_u32_e32 v11, 29, v11
	v_lshlrev_b64 v[17:18], v13, v[5:6]
	v_and_b32_e32 v5, 7, v17
; %bb.924:                              ;   in Loop: Header=BB224_545 Depth=1
	s_or_b32 exec_lo, exec_lo, s16
	v_lshlrev_b32_e32 v13, 24, v98
	v_lshlrev_b32_e32 v5, 20, v5
	v_lshl_add_u32 v11, v11, 23, 0x3c000000
	v_and_b32_e32 v13, 0x80000000, v13
	v_or3_b32 v5, v5, v13, v11
	v_mov_b32_e32 v18, v6
	v_mov_b32_e32 v17, v5
.LBB224_925:                            ;   in Loop: Header=BB224_545 Depth=1
	s_or_b32 exec_lo, exec_lo, s15
.LBB224_926:                            ;   in Loop: Header=BB224_545 Depth=1
	s_or_b32 exec_lo, exec_lo, s14
.LBB224_927:                            ;   in Loop: Header=BB224_545 Depth=1
	s_or_b32 exec_lo, exec_lo, s13
	v_cmp_ne_u16_sdwa s1, v98, v6 src0_sel:BYTE_1 src1_sel:DWORD
	s_and_saveexec_b32 s13, s1
	s_cbranch_execz .LBB224_935
; %bb.928:                              ;   in Loop: Header=BB224_545 Depth=1
	v_mov_b32_e32 v11, v6
	v_mov_b32_e32 v20, v12
	v_cmp_ne_u16_sdwa s1, v98, v46 src0_sel:BYTE_1 src1_sel:DWORD
	v_mov_b32_e32 v19, v11
	s_and_saveexec_b32 s14, s1
	s_cbranch_execz .LBB224_934
; %bb.929:                              ;   in Loop: Header=BB224_545 Depth=1
	v_and_b32_sdwa v5, v47, v98 dst_sel:DWORD dst_unused:UNUSED_PAD src0_sel:DWORD src1_sel:BYTE_1
	v_mov_b32_e32 v13, v6
	v_mov_b32_e32 v20, v14
	s_mov_b32 s15, exec_lo
	v_and_b32_e32 v21, 0x7f, v5
	v_mov_b32_e32 v19, v13
	v_cmpx_ne_u32_e32 0x7f, v21
	s_cbranch_execz .LBB224_933
; %bb.930:                              ;   in Loop: Header=BB224_545 Depth=1
	v_and_b32_e32 v5, 7, v5
	v_lshrrev_b32_e32 v11, 3, v21
	s_mov_b32 s16, exec_lo
	v_cmpx_gt_u32_e32 8, v21
; %bb.931:                              ;   in Loop: Header=BB224_545 Depth=1
	v_ffbh_u32_e32 v11, v5
	v_min_u32_e32 v11, 32, v11
	v_subrev_nc_u32_e32 v13, 28, v11
	v_sub_nc_u32_e32 v11, 29, v11
	v_lshlrev_b64 v[19:20], v13, v[5:6]
	v_and_b32_e32 v5, 7, v19
; %bb.932:                              ;   in Loop: Header=BB224_545 Depth=1
	s_or_b32 exec_lo, exec_lo, s16
	v_lshlrev_b32_e32 v13, 16, v98
	v_lshlrev_b32_e32 v5, 20, v5
	v_lshl_add_u32 v11, v11, 23, 0x3c000000
	v_mov_b32_e32 v19, v6
	v_and_b32_e32 v13, 0x80000000, v13
	v_or3_b32 v20, v5, v13, v11
.LBB224_933:                            ;   in Loop: Header=BB224_545 Depth=1
	s_or_b32 exec_lo, exec_lo, s15
.LBB224_934:                            ;   in Loop: Header=BB224_545 Depth=1
	s_or_b32 exec_lo, exec_lo, s14
.LBB224_935:                            ;   in Loop: Header=BB224_545 Depth=1
	s_or_b32 exec_lo, exec_lo, s13
	v_mov_b32_e32 v23, 0
	v_mov_b32_e32 v21, 0
	v_and_b32_sdwa v5, v98, v48 dst_sel:DWORD dst_unused:UNUSED_PAD src0_sel:WORD_1 src1_sel:DWORD
	v_mov_b32_e32 v24, 0
	v_mov_b32_e32 v22, 0
	s_mov_b32 s13, exec_lo
	v_cmpx_ne_u16_e32 0, v5
	s_cbranch_execz .LBB224_943
; %bb.936:                              ;   in Loop: Header=BB224_545 Depth=1
	v_bfrev_b32_e32 v21, 1
	v_mov_b32_e32 v22, 0
	s_mov_b32 s14, exec_lo
	v_cmpx_ne_u16_e32 0x80, v5
	s_cbranch_execz .LBB224_942
; %bb.937:                              ;   in Loop: Header=BB224_545 Depth=1
	v_mov_b32_e32 v21, 0x7f800001
	v_bfe_u32 v13, v98, 16, 7
	v_mov_b32_e32 v22, 0
	s_mov_b32 s15, exec_lo
	v_cmpx_ne_u32_e32 0x7f, v13
	s_cbranch_execz .LBB224_941
; %bb.938:                              ;   in Loop: Header=BB224_545 Depth=1
	v_and_b32_sdwa v5, v98, v49 dst_sel:DWORD dst_unused:UNUSED_PAD src0_sel:WORD_1 src1_sel:DWORD
	v_lshrrev_b32_e32 v11, 3, v13
	s_mov_b32 s16, exec_lo
	v_cmpx_gt_u32_e32 8, v13
; %bb.939:                              ;   in Loop: Header=BB224_545 Depth=1
	v_ffbh_u32_e32 v11, v5
	v_min_u32_e32 v11, 32, v11
	v_subrev_nc_u32_e32 v13, 28, v11
	v_sub_nc_u32_e32 v11, 29, v11
	v_lshlrev_b64 v[21:22], v13, v[5:6]
	v_and_b32_e32 v5, 7, v21
; %bb.940:                              ;   in Loop: Header=BB224_545 Depth=1
	s_or_b32 exec_lo, exec_lo, s16
	v_lshlrev_b32_sdwa v13, v50, v98 dst_sel:DWORD dst_unused:UNUSED_PAD src0_sel:DWORD src1_sel:WORD_1
	v_lshlrev_b32_e32 v5, 20, v5
	v_lshl_add_u32 v11, v11, 23, 0x3c000000
	v_and_b32_e32 v13, 0x80000000, v13
	v_or3_b32 v5, v5, v13, v11
	v_mov_b32_e32 v22, v6
	v_mov_b32_e32 v21, v5
.LBB224_941:                            ;   in Loop: Header=BB224_545 Depth=1
	s_or_b32 exec_lo, exec_lo, s15
.LBB224_942:                            ;   in Loop: Header=BB224_545 Depth=1
	s_or_b32 exec_lo, exec_lo, s14
.LBB224_943:                            ;   in Loop: Header=BB224_545 Depth=1
	s_or_b32 exec_lo, exec_lo, s13
	s_mov_b32 s13, exec_lo
	v_cmpx_lt_u32_e32 0xffffff, v98
	s_cbranch_execz .LBB224_951
; %bb.944:                              ;   in Loop: Header=BB224_545 Depth=1
	v_mov_b32_e32 v11, v6
	v_mov_b32_e32 v24, v12
	v_cmp_ne_u32_sdwa s1, v98, v46 src0_sel:BYTE_3 src1_sel:DWORD
	v_mov_b32_e32 v23, v11
	s_and_saveexec_b32 s14, s1
	s_cbranch_execz .LBB224_950
; %bb.945:                              ;   in Loop: Header=BB224_545 Depth=1
	v_mov_b32_e32 v13, v6
	v_mov_b32_e32 v24, v14
	v_bfe_u32 v99, v98, 24, 7
	s_mov_b32 s15, exec_lo
	v_mov_b32_e32 v23, v13
	v_cmpx_ne_u32_e32 0x7f, v99
	s_cbranch_execz .LBB224_949
; %bb.946:                              ;   in Loop: Header=BB224_545 Depth=1
	v_and_b32_sdwa v5, v98, v49 dst_sel:DWORD dst_unused:UNUSED_PAD src0_sel:BYTE_3 src1_sel:DWORD
	v_lshrrev_b32_e32 v11, 3, v99
	s_mov_b32 s16, exec_lo
	v_cmpx_gt_u32_e32 8, v99
; %bb.947:                              ;   in Loop: Header=BB224_545 Depth=1
	v_ffbh_u32_e32 v11, v5
	v_min_u32_e32 v11, 32, v11
	v_subrev_nc_u32_e32 v13, 28, v11
	v_sub_nc_u32_e32 v11, 29, v11
	v_lshlrev_b64 v[23:24], v13, v[5:6]
	v_and_b32_e32 v5, 7, v23
; %bb.948:                              ;   in Loop: Header=BB224_545 Depth=1
	s_or_b32 exec_lo, exec_lo, s16
	v_lshlrev_b32_sdwa v13, v50, v98 dst_sel:DWORD dst_unused:UNUSED_PAD src0_sel:DWORD src1_sel:BYTE_3
	v_lshlrev_b32_e32 v5, 20, v5
	v_lshl_add_u32 v11, v11, 23, 0x3c000000
	v_mov_b32_e32 v23, v6
	v_and_b32_e32 v13, 0x80000000, v13
	v_or3_b32 v24, v5, v13, v11
.LBB224_949:                            ;   in Loop: Header=BB224_545 Depth=1
	s_or_b32 exec_lo, exec_lo, s15
.LBB224_950:                            ;   in Loop: Header=BB224_545 Depth=1
	s_or_b32 exec_lo, exec_lo, s14
.LBB224_951:                            ;   in Loop: Header=BB224_545 Depth=1
	s_or_b32 exec_lo, exec_lo, s13
	v_or_b32_e32 v5, v20, v18
	v_or_b32_e32 v11, v19, v17
	;; [unrolled: 1-line block ×4, first 2 shown]
	v_mul_f32_e32 v100, s9, v5
	v_mul_f32_e32 v101, s4, v11
	;; [unrolled: 1-line block ×4, first 2 shown]
	s_and_saveexec_b32 s13, vcc_lo
	s_cbranch_execz .LBB224_953
; %bb.952:                              ;   in Loop: Header=BB224_545 Depth=1
	v_cmp_gt_i32_e64 s1, s27, v55
	v_cndmask_b32_e64 v101, 0, v101, s1
	v_cmp_gt_i32_e64 s1, s27, v57
	v_cndmask_b32_e64 v100, 0, v100, s1
	;; [unrolled: 2-line block ×4, first 2 shown]
.LBB224_953:                            ;   in Loop: Header=BB224_545 Depth=1
	s_or_b32 exec_lo, exec_lo, s13
	global_load_dword v102, v[15:16], off offset:1536
	v_mov_b32_e32 v19, 0
	v_mov_b32_e32 v17, 0
	;; [unrolled: 1-line block ×4, first 2 shown]
	s_waitcnt vmcnt(0)
	v_cmp_ne_u16_sdwa s1, v102, v6 src0_sel:BYTE_0 src1_sel:DWORD
	s_and_saveexec_b32 s13, s1
	s_cbranch_execz .LBB224_961
; %bb.954:                              ;   in Loop: Header=BB224_545 Depth=1
	v_bfrev_b32_e32 v17, 1
	v_mov_b32_e32 v18, 0
	v_cmp_ne_u16_sdwa s1, v102, v46 src0_sel:BYTE_0 src1_sel:DWORD
	s_and_saveexec_b32 s14, s1
	s_cbranch_execz .LBB224_960
; %bb.955:                              ;   in Loop: Header=BB224_545 Depth=1
	v_mov_b32_e32 v17, 0x7f800001
	v_and_b32_e32 v13, 0x7f, v102
	v_mov_b32_e32 v18, 0
	s_mov_b32 s15, exec_lo
	v_cmpx_ne_u32_e32 0x7f, v13
	s_cbranch_execz .LBB224_959
; %bb.956:                              ;   in Loop: Header=BB224_545 Depth=1
	v_and_b32_e32 v5, 7, v102
	v_lshrrev_b32_e32 v11, 3, v13
	s_mov_b32 s16, exec_lo
	v_cmpx_gt_u32_e32 8, v13
; %bb.957:                              ;   in Loop: Header=BB224_545 Depth=1
	v_ffbh_u32_e32 v11, v5
	v_min_u32_e32 v11, 32, v11
	v_subrev_nc_u32_e32 v13, 28, v11
	v_sub_nc_u32_e32 v11, 29, v11
	v_lshlrev_b64 v[17:18], v13, v[5:6]
	v_and_b32_e32 v5, 7, v17
; %bb.958:                              ;   in Loop: Header=BB224_545 Depth=1
	s_or_b32 exec_lo, exec_lo, s16
	v_lshlrev_b32_e32 v13, 24, v102
	v_lshlrev_b32_e32 v5, 20, v5
	v_lshl_add_u32 v11, v11, 23, 0x3c000000
	v_and_b32_e32 v13, 0x80000000, v13
	v_or3_b32 v5, v5, v13, v11
	v_mov_b32_e32 v18, v6
	v_mov_b32_e32 v17, v5
.LBB224_959:                            ;   in Loop: Header=BB224_545 Depth=1
	s_or_b32 exec_lo, exec_lo, s15
.LBB224_960:                            ;   in Loop: Header=BB224_545 Depth=1
	s_or_b32 exec_lo, exec_lo, s14
.LBB224_961:                            ;   in Loop: Header=BB224_545 Depth=1
	s_or_b32 exec_lo, exec_lo, s13
	v_cmp_ne_u16_sdwa s1, v102, v6 src0_sel:BYTE_1 src1_sel:DWORD
	s_and_saveexec_b32 s13, s1
	s_cbranch_execz .LBB224_969
; %bb.962:                              ;   in Loop: Header=BB224_545 Depth=1
	v_mov_b32_e32 v11, v6
	v_mov_b32_e32 v20, v12
	v_cmp_ne_u16_sdwa s1, v102, v46 src0_sel:BYTE_1 src1_sel:DWORD
	v_mov_b32_e32 v19, v11
	s_and_saveexec_b32 s14, s1
	s_cbranch_execz .LBB224_968
; %bb.963:                              ;   in Loop: Header=BB224_545 Depth=1
	v_and_b32_sdwa v5, v47, v102 dst_sel:DWORD dst_unused:UNUSED_PAD src0_sel:DWORD src1_sel:BYTE_1
	v_mov_b32_e32 v13, v6
	v_mov_b32_e32 v20, v14
	s_mov_b32 s15, exec_lo
	v_and_b32_e32 v21, 0x7f, v5
	v_mov_b32_e32 v19, v13
	v_cmpx_ne_u32_e32 0x7f, v21
	s_cbranch_execz .LBB224_967
; %bb.964:                              ;   in Loop: Header=BB224_545 Depth=1
	v_and_b32_e32 v5, 7, v5
	v_lshrrev_b32_e32 v11, 3, v21
	s_mov_b32 s16, exec_lo
	v_cmpx_gt_u32_e32 8, v21
; %bb.965:                              ;   in Loop: Header=BB224_545 Depth=1
	v_ffbh_u32_e32 v11, v5
	v_min_u32_e32 v11, 32, v11
	v_subrev_nc_u32_e32 v13, 28, v11
	v_sub_nc_u32_e32 v11, 29, v11
	v_lshlrev_b64 v[19:20], v13, v[5:6]
	v_and_b32_e32 v5, 7, v19
; %bb.966:                              ;   in Loop: Header=BB224_545 Depth=1
	s_or_b32 exec_lo, exec_lo, s16
	v_lshlrev_b32_e32 v13, 16, v102
	v_lshlrev_b32_e32 v5, 20, v5
	v_lshl_add_u32 v11, v11, 23, 0x3c000000
	v_mov_b32_e32 v19, v6
	v_and_b32_e32 v13, 0x80000000, v13
	v_or3_b32 v20, v5, v13, v11
.LBB224_967:                            ;   in Loop: Header=BB224_545 Depth=1
	s_or_b32 exec_lo, exec_lo, s15
.LBB224_968:                            ;   in Loop: Header=BB224_545 Depth=1
	s_or_b32 exec_lo, exec_lo, s14
.LBB224_969:                            ;   in Loop: Header=BB224_545 Depth=1
	s_or_b32 exec_lo, exec_lo, s13
	v_mov_b32_e32 v23, 0
	v_mov_b32_e32 v21, 0
	v_and_b32_sdwa v5, v102, v48 dst_sel:DWORD dst_unused:UNUSED_PAD src0_sel:WORD_1 src1_sel:DWORD
	v_mov_b32_e32 v24, 0
	v_mov_b32_e32 v22, 0
	s_mov_b32 s13, exec_lo
	v_cmpx_ne_u16_e32 0, v5
	s_cbranch_execz .LBB224_977
; %bb.970:                              ;   in Loop: Header=BB224_545 Depth=1
	v_bfrev_b32_e32 v21, 1
	v_mov_b32_e32 v22, 0
	s_mov_b32 s14, exec_lo
	v_cmpx_ne_u16_e32 0x80, v5
	s_cbranch_execz .LBB224_976
; %bb.971:                              ;   in Loop: Header=BB224_545 Depth=1
	v_mov_b32_e32 v21, 0x7f800001
	v_bfe_u32 v13, v102, 16, 7
	v_mov_b32_e32 v22, 0
	s_mov_b32 s15, exec_lo
	v_cmpx_ne_u32_e32 0x7f, v13
	s_cbranch_execz .LBB224_975
; %bb.972:                              ;   in Loop: Header=BB224_545 Depth=1
	v_and_b32_sdwa v5, v102, v49 dst_sel:DWORD dst_unused:UNUSED_PAD src0_sel:WORD_1 src1_sel:DWORD
	v_lshrrev_b32_e32 v11, 3, v13
	s_mov_b32 s16, exec_lo
	v_cmpx_gt_u32_e32 8, v13
; %bb.973:                              ;   in Loop: Header=BB224_545 Depth=1
	v_ffbh_u32_e32 v11, v5
	v_min_u32_e32 v11, 32, v11
	v_subrev_nc_u32_e32 v13, 28, v11
	v_sub_nc_u32_e32 v11, 29, v11
	v_lshlrev_b64 v[21:22], v13, v[5:6]
	v_and_b32_e32 v5, 7, v21
; %bb.974:                              ;   in Loop: Header=BB224_545 Depth=1
	s_or_b32 exec_lo, exec_lo, s16
	v_lshlrev_b32_sdwa v13, v50, v102 dst_sel:DWORD dst_unused:UNUSED_PAD src0_sel:DWORD src1_sel:WORD_1
	v_lshlrev_b32_e32 v5, 20, v5
	v_lshl_add_u32 v11, v11, 23, 0x3c000000
	v_and_b32_e32 v13, 0x80000000, v13
	v_or3_b32 v5, v5, v13, v11
	v_mov_b32_e32 v22, v6
	v_mov_b32_e32 v21, v5
.LBB224_975:                            ;   in Loop: Header=BB224_545 Depth=1
	s_or_b32 exec_lo, exec_lo, s15
.LBB224_976:                            ;   in Loop: Header=BB224_545 Depth=1
	s_or_b32 exec_lo, exec_lo, s14
.LBB224_977:                            ;   in Loop: Header=BB224_545 Depth=1
	s_or_b32 exec_lo, exec_lo, s13
	s_mov_b32 s13, exec_lo
	v_cmpx_lt_u32_e32 0xffffff, v102
	s_cbranch_execz .LBB224_985
; %bb.978:                              ;   in Loop: Header=BB224_545 Depth=1
	v_mov_b32_e32 v11, v6
	v_mov_b32_e32 v24, v12
	v_cmp_ne_u32_sdwa s1, v102, v46 src0_sel:BYTE_3 src1_sel:DWORD
	v_mov_b32_e32 v23, v11
	s_and_saveexec_b32 s14, s1
	s_cbranch_execz .LBB224_984
; %bb.979:                              ;   in Loop: Header=BB224_545 Depth=1
	v_mov_b32_e32 v13, v6
	v_mov_b32_e32 v24, v14
	v_bfe_u32 v103, v102, 24, 7
	s_mov_b32 s15, exec_lo
	v_mov_b32_e32 v23, v13
	v_cmpx_ne_u32_e32 0x7f, v103
	s_cbranch_execz .LBB224_983
; %bb.980:                              ;   in Loop: Header=BB224_545 Depth=1
	v_and_b32_sdwa v5, v102, v49 dst_sel:DWORD dst_unused:UNUSED_PAD src0_sel:BYTE_3 src1_sel:DWORD
	v_lshrrev_b32_e32 v11, 3, v103
	s_mov_b32 s16, exec_lo
	v_cmpx_gt_u32_e32 8, v103
; %bb.981:                              ;   in Loop: Header=BB224_545 Depth=1
	v_ffbh_u32_e32 v11, v5
	v_min_u32_e32 v11, 32, v11
	v_subrev_nc_u32_e32 v13, 28, v11
	v_sub_nc_u32_e32 v11, 29, v11
	v_lshlrev_b64 v[23:24], v13, v[5:6]
	v_and_b32_e32 v5, 7, v23
; %bb.982:                              ;   in Loop: Header=BB224_545 Depth=1
	s_or_b32 exec_lo, exec_lo, s16
	v_lshlrev_b32_sdwa v13, v50, v102 dst_sel:DWORD dst_unused:UNUSED_PAD src0_sel:DWORD src1_sel:BYTE_3
	v_lshlrev_b32_e32 v5, 20, v5
	v_lshl_add_u32 v11, v11, 23, 0x3c000000
	v_mov_b32_e32 v23, v6
	v_and_b32_e32 v13, 0x80000000, v13
	v_or3_b32 v24, v5, v13, v11
.LBB224_983:                            ;   in Loop: Header=BB224_545 Depth=1
	s_or_b32 exec_lo, exec_lo, s15
.LBB224_984:                            ;   in Loop: Header=BB224_545 Depth=1
	s_or_b32 exec_lo, exec_lo, s14
.LBB224_985:                            ;   in Loop: Header=BB224_545 Depth=1
	s_or_b32 exec_lo, exec_lo, s13
	v_or_b32_e32 v5, v20, v18
	v_or_b32_e32 v11, v19, v17
	;; [unrolled: 1-line block ×4, first 2 shown]
	v_mul_f32_e32 v104, s9, v5
	v_mul_f32_e32 v105, s4, v11
	;; [unrolled: 1-line block ×4, first 2 shown]
	s_and_saveexec_b32 s13, vcc_lo
	s_cbranch_execz .LBB224_987
; %bb.986:                              ;   in Loop: Header=BB224_545 Depth=1
	v_cmp_gt_i32_e64 s1, s27, v55
	v_cndmask_b32_e64 v105, 0, v105, s1
	v_cmp_gt_i32_e64 s1, s27, v57
	v_cndmask_b32_e64 v104, 0, v104, s1
	;; [unrolled: 2-line block ×4, first 2 shown]
.LBB224_987:                            ;   in Loop: Header=BB224_545 Depth=1
	s_or_b32 exec_lo, exec_lo, s13
	global_load_dword v106, v[15:16], off offset:1664
	v_mov_b32_e32 v19, 0
	v_mov_b32_e32 v17, 0
	v_mov_b32_e32 v20, 0
	v_mov_b32_e32 v18, 0
	s_waitcnt vmcnt(0)
	v_cmp_ne_u16_sdwa s1, v106, v6 src0_sel:BYTE_0 src1_sel:DWORD
	s_and_saveexec_b32 s13, s1
	s_cbranch_execz .LBB224_995
; %bb.988:                              ;   in Loop: Header=BB224_545 Depth=1
	v_bfrev_b32_e32 v17, 1
	v_mov_b32_e32 v18, 0
	v_cmp_ne_u16_sdwa s1, v106, v46 src0_sel:BYTE_0 src1_sel:DWORD
	s_and_saveexec_b32 s14, s1
	s_cbranch_execz .LBB224_994
; %bb.989:                              ;   in Loop: Header=BB224_545 Depth=1
	v_mov_b32_e32 v17, 0x7f800001
	v_and_b32_e32 v13, 0x7f, v106
	v_mov_b32_e32 v18, 0
	s_mov_b32 s15, exec_lo
	v_cmpx_ne_u32_e32 0x7f, v13
	s_cbranch_execz .LBB224_993
; %bb.990:                              ;   in Loop: Header=BB224_545 Depth=1
	v_and_b32_e32 v5, 7, v106
	v_lshrrev_b32_e32 v11, 3, v13
	s_mov_b32 s16, exec_lo
	v_cmpx_gt_u32_e32 8, v13
; %bb.991:                              ;   in Loop: Header=BB224_545 Depth=1
	v_ffbh_u32_e32 v11, v5
	v_min_u32_e32 v11, 32, v11
	v_subrev_nc_u32_e32 v13, 28, v11
	v_sub_nc_u32_e32 v11, 29, v11
	v_lshlrev_b64 v[17:18], v13, v[5:6]
	v_and_b32_e32 v5, 7, v17
; %bb.992:                              ;   in Loop: Header=BB224_545 Depth=1
	s_or_b32 exec_lo, exec_lo, s16
	v_lshlrev_b32_e32 v13, 24, v106
	v_lshlrev_b32_e32 v5, 20, v5
	v_lshl_add_u32 v11, v11, 23, 0x3c000000
	v_and_b32_e32 v13, 0x80000000, v13
	v_or3_b32 v5, v5, v13, v11
	v_mov_b32_e32 v18, v6
	v_mov_b32_e32 v17, v5
.LBB224_993:                            ;   in Loop: Header=BB224_545 Depth=1
	s_or_b32 exec_lo, exec_lo, s15
.LBB224_994:                            ;   in Loop: Header=BB224_545 Depth=1
	s_or_b32 exec_lo, exec_lo, s14
.LBB224_995:                            ;   in Loop: Header=BB224_545 Depth=1
	s_or_b32 exec_lo, exec_lo, s13
	v_cmp_ne_u16_sdwa s1, v106, v6 src0_sel:BYTE_1 src1_sel:DWORD
	s_and_saveexec_b32 s13, s1
	s_cbranch_execz .LBB224_1003
; %bb.996:                              ;   in Loop: Header=BB224_545 Depth=1
	v_mov_b32_e32 v11, v6
	v_mov_b32_e32 v20, v12
	v_cmp_ne_u16_sdwa s1, v106, v46 src0_sel:BYTE_1 src1_sel:DWORD
	v_mov_b32_e32 v19, v11
	s_and_saveexec_b32 s14, s1
	s_cbranch_execz .LBB224_1002
; %bb.997:                              ;   in Loop: Header=BB224_545 Depth=1
	v_and_b32_sdwa v5, v47, v106 dst_sel:DWORD dst_unused:UNUSED_PAD src0_sel:DWORD src1_sel:BYTE_1
	v_mov_b32_e32 v13, v6
	v_mov_b32_e32 v20, v14
	s_mov_b32 s15, exec_lo
	v_and_b32_e32 v21, 0x7f, v5
	v_mov_b32_e32 v19, v13
	v_cmpx_ne_u32_e32 0x7f, v21
	s_cbranch_execz .LBB224_1001
; %bb.998:                              ;   in Loop: Header=BB224_545 Depth=1
	v_and_b32_e32 v5, 7, v5
	v_lshrrev_b32_e32 v11, 3, v21
	s_mov_b32 s16, exec_lo
	v_cmpx_gt_u32_e32 8, v21
; %bb.999:                              ;   in Loop: Header=BB224_545 Depth=1
	v_ffbh_u32_e32 v11, v5
	v_min_u32_e32 v11, 32, v11
	v_subrev_nc_u32_e32 v13, 28, v11
	v_sub_nc_u32_e32 v11, 29, v11
	v_lshlrev_b64 v[19:20], v13, v[5:6]
	v_and_b32_e32 v5, 7, v19
; %bb.1000:                             ;   in Loop: Header=BB224_545 Depth=1
	s_or_b32 exec_lo, exec_lo, s16
	v_lshlrev_b32_e32 v13, 16, v106
	v_lshlrev_b32_e32 v5, 20, v5
	v_lshl_add_u32 v11, v11, 23, 0x3c000000
	v_mov_b32_e32 v19, v6
	v_and_b32_e32 v13, 0x80000000, v13
	v_or3_b32 v20, v5, v13, v11
.LBB224_1001:                           ;   in Loop: Header=BB224_545 Depth=1
	s_or_b32 exec_lo, exec_lo, s15
.LBB224_1002:                           ;   in Loop: Header=BB224_545 Depth=1
	s_or_b32 exec_lo, exec_lo, s14
.LBB224_1003:                           ;   in Loop: Header=BB224_545 Depth=1
	s_or_b32 exec_lo, exec_lo, s13
	v_mov_b32_e32 v23, 0
	v_mov_b32_e32 v21, 0
	v_and_b32_sdwa v5, v106, v48 dst_sel:DWORD dst_unused:UNUSED_PAD src0_sel:WORD_1 src1_sel:DWORD
	v_mov_b32_e32 v24, 0
	v_mov_b32_e32 v22, 0
	s_mov_b32 s13, exec_lo
	v_cmpx_ne_u16_e32 0, v5
	s_cbranch_execz .LBB224_1011
; %bb.1004:                             ;   in Loop: Header=BB224_545 Depth=1
	v_bfrev_b32_e32 v21, 1
	v_mov_b32_e32 v22, 0
	s_mov_b32 s14, exec_lo
	v_cmpx_ne_u16_e32 0x80, v5
	s_cbranch_execz .LBB224_1010
; %bb.1005:                             ;   in Loop: Header=BB224_545 Depth=1
	v_mov_b32_e32 v21, 0x7f800001
	v_bfe_u32 v13, v106, 16, 7
	v_mov_b32_e32 v22, 0
	s_mov_b32 s15, exec_lo
	v_cmpx_ne_u32_e32 0x7f, v13
	s_cbranch_execz .LBB224_1009
; %bb.1006:                             ;   in Loop: Header=BB224_545 Depth=1
	v_and_b32_sdwa v5, v106, v49 dst_sel:DWORD dst_unused:UNUSED_PAD src0_sel:WORD_1 src1_sel:DWORD
	v_lshrrev_b32_e32 v11, 3, v13
	s_mov_b32 s16, exec_lo
	v_cmpx_gt_u32_e32 8, v13
; %bb.1007:                             ;   in Loop: Header=BB224_545 Depth=1
	v_ffbh_u32_e32 v11, v5
	v_min_u32_e32 v11, 32, v11
	v_subrev_nc_u32_e32 v13, 28, v11
	v_sub_nc_u32_e32 v11, 29, v11
	v_lshlrev_b64 v[21:22], v13, v[5:6]
	v_and_b32_e32 v5, 7, v21
; %bb.1008:                             ;   in Loop: Header=BB224_545 Depth=1
	s_or_b32 exec_lo, exec_lo, s16
	v_lshlrev_b32_sdwa v13, v50, v106 dst_sel:DWORD dst_unused:UNUSED_PAD src0_sel:DWORD src1_sel:WORD_1
	v_lshlrev_b32_e32 v5, 20, v5
	v_lshl_add_u32 v11, v11, 23, 0x3c000000
	v_and_b32_e32 v13, 0x80000000, v13
	v_or3_b32 v5, v5, v13, v11
	v_mov_b32_e32 v22, v6
	v_mov_b32_e32 v21, v5
.LBB224_1009:                           ;   in Loop: Header=BB224_545 Depth=1
	s_or_b32 exec_lo, exec_lo, s15
.LBB224_1010:                           ;   in Loop: Header=BB224_545 Depth=1
	s_or_b32 exec_lo, exec_lo, s14
.LBB224_1011:                           ;   in Loop: Header=BB224_545 Depth=1
	s_or_b32 exec_lo, exec_lo, s13
	s_mov_b32 s13, exec_lo
	v_cmpx_lt_u32_e32 0xffffff, v106
	s_cbranch_execz .LBB224_1019
; %bb.1012:                             ;   in Loop: Header=BB224_545 Depth=1
	v_mov_b32_e32 v11, v6
	v_mov_b32_e32 v24, v12
	v_cmp_ne_u32_sdwa s1, v106, v46 src0_sel:BYTE_3 src1_sel:DWORD
	v_mov_b32_e32 v23, v11
	s_and_saveexec_b32 s14, s1
	s_cbranch_execz .LBB224_1018
; %bb.1013:                             ;   in Loop: Header=BB224_545 Depth=1
	v_mov_b32_e32 v13, v6
	v_mov_b32_e32 v24, v14
	v_bfe_u32 v107, v106, 24, 7
	s_mov_b32 s15, exec_lo
	v_mov_b32_e32 v23, v13
	v_cmpx_ne_u32_e32 0x7f, v107
	s_cbranch_execz .LBB224_1017
; %bb.1014:                             ;   in Loop: Header=BB224_545 Depth=1
	v_and_b32_sdwa v5, v106, v49 dst_sel:DWORD dst_unused:UNUSED_PAD src0_sel:BYTE_3 src1_sel:DWORD
	v_lshrrev_b32_e32 v11, 3, v107
	s_mov_b32 s16, exec_lo
	v_cmpx_gt_u32_e32 8, v107
; %bb.1015:                             ;   in Loop: Header=BB224_545 Depth=1
	v_ffbh_u32_e32 v11, v5
	v_min_u32_e32 v11, 32, v11
	v_subrev_nc_u32_e32 v13, 28, v11
	v_sub_nc_u32_e32 v11, 29, v11
	v_lshlrev_b64 v[23:24], v13, v[5:6]
	v_and_b32_e32 v5, 7, v23
; %bb.1016:                             ;   in Loop: Header=BB224_545 Depth=1
	s_or_b32 exec_lo, exec_lo, s16
	v_lshlrev_b32_sdwa v13, v50, v106 dst_sel:DWORD dst_unused:UNUSED_PAD src0_sel:DWORD src1_sel:BYTE_3
	v_lshlrev_b32_e32 v5, 20, v5
	v_lshl_add_u32 v11, v11, 23, 0x3c000000
	v_mov_b32_e32 v23, v6
	v_and_b32_e32 v13, 0x80000000, v13
	v_or3_b32 v24, v5, v13, v11
.LBB224_1017:                           ;   in Loop: Header=BB224_545 Depth=1
	s_or_b32 exec_lo, exec_lo, s15
.LBB224_1018:                           ;   in Loop: Header=BB224_545 Depth=1
	s_or_b32 exec_lo, exec_lo, s14
.LBB224_1019:                           ;   in Loop: Header=BB224_545 Depth=1
	s_or_b32 exec_lo, exec_lo, s13
	v_or_b32_e32 v5, v20, v18
	v_or_b32_e32 v11, v19, v17
	;; [unrolled: 1-line block ×4, first 2 shown]
	v_mul_f32_e32 v108, s9, v5
	v_mul_f32_e32 v109, s4, v11
	;; [unrolled: 1-line block ×4, first 2 shown]
	s_and_saveexec_b32 s13, vcc_lo
	s_cbranch_execz .LBB224_1021
; %bb.1020:                             ;   in Loop: Header=BB224_545 Depth=1
	v_cmp_gt_i32_e64 s1, s27, v55
	v_cndmask_b32_e64 v109, 0, v109, s1
	v_cmp_gt_i32_e64 s1, s27, v57
	v_cndmask_b32_e64 v108, 0, v108, s1
	;; [unrolled: 2-line block ×4, first 2 shown]
.LBB224_1021:                           ;   in Loop: Header=BB224_545 Depth=1
	s_or_b32 exec_lo, exec_lo, s13
	global_load_dword v110, v[15:16], off offset:1792
	v_mov_b32_e32 v19, 0
	v_mov_b32_e32 v17, 0
	v_mov_b32_e32 v20, 0
	v_mov_b32_e32 v18, 0
	s_waitcnt vmcnt(0)
	v_cmp_ne_u16_sdwa s1, v110, v6 src0_sel:BYTE_0 src1_sel:DWORD
	s_and_saveexec_b32 s13, s1
	s_cbranch_execz .LBB224_1029
; %bb.1022:                             ;   in Loop: Header=BB224_545 Depth=1
	v_bfrev_b32_e32 v17, 1
	v_mov_b32_e32 v18, 0
	v_cmp_ne_u16_sdwa s1, v110, v46 src0_sel:BYTE_0 src1_sel:DWORD
	s_and_saveexec_b32 s14, s1
	s_cbranch_execz .LBB224_1028
; %bb.1023:                             ;   in Loop: Header=BB224_545 Depth=1
	v_mov_b32_e32 v17, 0x7f800001
	v_and_b32_e32 v13, 0x7f, v110
	v_mov_b32_e32 v18, 0
	s_mov_b32 s15, exec_lo
	v_cmpx_ne_u32_e32 0x7f, v13
	s_cbranch_execz .LBB224_1027
; %bb.1024:                             ;   in Loop: Header=BB224_545 Depth=1
	v_and_b32_e32 v5, 7, v110
	v_lshrrev_b32_e32 v11, 3, v13
	s_mov_b32 s16, exec_lo
	v_cmpx_gt_u32_e32 8, v13
; %bb.1025:                             ;   in Loop: Header=BB224_545 Depth=1
	v_ffbh_u32_e32 v11, v5
	v_min_u32_e32 v11, 32, v11
	v_subrev_nc_u32_e32 v13, 28, v11
	v_sub_nc_u32_e32 v11, 29, v11
	v_lshlrev_b64 v[17:18], v13, v[5:6]
	v_and_b32_e32 v5, 7, v17
; %bb.1026:                             ;   in Loop: Header=BB224_545 Depth=1
	s_or_b32 exec_lo, exec_lo, s16
	v_lshlrev_b32_e32 v13, 24, v110
	v_lshlrev_b32_e32 v5, 20, v5
	v_lshl_add_u32 v11, v11, 23, 0x3c000000
	v_and_b32_e32 v13, 0x80000000, v13
	v_or3_b32 v5, v5, v13, v11
	v_mov_b32_e32 v18, v6
	v_mov_b32_e32 v17, v5
.LBB224_1027:                           ;   in Loop: Header=BB224_545 Depth=1
	s_or_b32 exec_lo, exec_lo, s15
.LBB224_1028:                           ;   in Loop: Header=BB224_545 Depth=1
	s_or_b32 exec_lo, exec_lo, s14
.LBB224_1029:                           ;   in Loop: Header=BB224_545 Depth=1
	s_or_b32 exec_lo, exec_lo, s13
	v_cmp_ne_u16_sdwa s1, v110, v6 src0_sel:BYTE_1 src1_sel:DWORD
	s_and_saveexec_b32 s13, s1
	s_cbranch_execz .LBB224_1037
; %bb.1030:                             ;   in Loop: Header=BB224_545 Depth=1
	v_mov_b32_e32 v11, v6
	v_mov_b32_e32 v20, v12
	v_cmp_ne_u16_sdwa s1, v110, v46 src0_sel:BYTE_1 src1_sel:DWORD
	v_mov_b32_e32 v19, v11
	s_and_saveexec_b32 s14, s1
	s_cbranch_execz .LBB224_1036
; %bb.1031:                             ;   in Loop: Header=BB224_545 Depth=1
	v_and_b32_sdwa v5, v47, v110 dst_sel:DWORD dst_unused:UNUSED_PAD src0_sel:DWORD src1_sel:BYTE_1
	v_mov_b32_e32 v13, v6
	v_mov_b32_e32 v20, v14
	s_mov_b32 s15, exec_lo
	v_and_b32_e32 v21, 0x7f, v5
	v_mov_b32_e32 v19, v13
	v_cmpx_ne_u32_e32 0x7f, v21
	s_cbranch_execz .LBB224_1035
; %bb.1032:                             ;   in Loop: Header=BB224_545 Depth=1
	v_and_b32_e32 v5, 7, v5
	v_lshrrev_b32_e32 v11, 3, v21
	s_mov_b32 s16, exec_lo
	v_cmpx_gt_u32_e32 8, v21
; %bb.1033:                             ;   in Loop: Header=BB224_545 Depth=1
	v_ffbh_u32_e32 v11, v5
	v_min_u32_e32 v11, 32, v11
	v_subrev_nc_u32_e32 v13, 28, v11
	v_sub_nc_u32_e32 v11, 29, v11
	v_lshlrev_b64 v[19:20], v13, v[5:6]
	v_and_b32_e32 v5, 7, v19
; %bb.1034:                             ;   in Loop: Header=BB224_545 Depth=1
	s_or_b32 exec_lo, exec_lo, s16
	v_lshlrev_b32_e32 v13, 16, v110
	v_lshlrev_b32_e32 v5, 20, v5
	v_lshl_add_u32 v11, v11, 23, 0x3c000000
	v_mov_b32_e32 v19, v6
	v_and_b32_e32 v13, 0x80000000, v13
	v_or3_b32 v20, v5, v13, v11
.LBB224_1035:                           ;   in Loop: Header=BB224_545 Depth=1
	s_or_b32 exec_lo, exec_lo, s15
.LBB224_1036:                           ;   in Loop: Header=BB224_545 Depth=1
	s_or_b32 exec_lo, exec_lo, s14
.LBB224_1037:                           ;   in Loop: Header=BB224_545 Depth=1
	s_or_b32 exec_lo, exec_lo, s13
	v_mov_b32_e32 v23, 0
	v_mov_b32_e32 v21, 0
	v_and_b32_sdwa v5, v110, v48 dst_sel:DWORD dst_unused:UNUSED_PAD src0_sel:WORD_1 src1_sel:DWORD
	v_mov_b32_e32 v24, 0
	v_mov_b32_e32 v22, 0
	s_mov_b32 s13, exec_lo
	v_cmpx_ne_u16_e32 0, v5
	s_cbranch_execz .LBB224_1045
; %bb.1038:                             ;   in Loop: Header=BB224_545 Depth=1
	v_bfrev_b32_e32 v21, 1
	v_mov_b32_e32 v22, 0
	s_mov_b32 s14, exec_lo
	v_cmpx_ne_u16_e32 0x80, v5
	s_cbranch_execz .LBB224_1044
; %bb.1039:                             ;   in Loop: Header=BB224_545 Depth=1
	v_mov_b32_e32 v21, 0x7f800001
	v_bfe_u32 v13, v110, 16, 7
	v_mov_b32_e32 v22, 0
	s_mov_b32 s15, exec_lo
	v_cmpx_ne_u32_e32 0x7f, v13
	s_cbranch_execz .LBB224_1043
; %bb.1040:                             ;   in Loop: Header=BB224_545 Depth=1
	v_and_b32_sdwa v5, v110, v49 dst_sel:DWORD dst_unused:UNUSED_PAD src0_sel:WORD_1 src1_sel:DWORD
	v_lshrrev_b32_e32 v11, 3, v13
	s_mov_b32 s16, exec_lo
	v_cmpx_gt_u32_e32 8, v13
; %bb.1041:                             ;   in Loop: Header=BB224_545 Depth=1
	v_ffbh_u32_e32 v11, v5
	v_min_u32_e32 v11, 32, v11
	v_subrev_nc_u32_e32 v13, 28, v11
	v_sub_nc_u32_e32 v11, 29, v11
	v_lshlrev_b64 v[21:22], v13, v[5:6]
	v_and_b32_e32 v5, 7, v21
; %bb.1042:                             ;   in Loop: Header=BB224_545 Depth=1
	s_or_b32 exec_lo, exec_lo, s16
	v_lshlrev_b32_sdwa v13, v50, v110 dst_sel:DWORD dst_unused:UNUSED_PAD src0_sel:DWORD src1_sel:WORD_1
	v_lshlrev_b32_e32 v5, 20, v5
	v_lshl_add_u32 v11, v11, 23, 0x3c000000
	v_and_b32_e32 v13, 0x80000000, v13
	v_or3_b32 v5, v5, v13, v11
	v_mov_b32_e32 v22, v6
	v_mov_b32_e32 v21, v5
.LBB224_1043:                           ;   in Loop: Header=BB224_545 Depth=1
	s_or_b32 exec_lo, exec_lo, s15
.LBB224_1044:                           ;   in Loop: Header=BB224_545 Depth=1
	s_or_b32 exec_lo, exec_lo, s14
.LBB224_1045:                           ;   in Loop: Header=BB224_545 Depth=1
	s_or_b32 exec_lo, exec_lo, s13
	s_mov_b32 s13, exec_lo
	v_cmpx_lt_u32_e32 0xffffff, v110
	s_cbranch_execz .LBB224_1053
; %bb.1046:                             ;   in Loop: Header=BB224_545 Depth=1
	v_mov_b32_e32 v11, v6
	v_mov_b32_e32 v24, v12
	v_cmp_ne_u32_sdwa s1, v110, v46 src0_sel:BYTE_3 src1_sel:DWORD
	v_mov_b32_e32 v23, v11
	s_and_saveexec_b32 s14, s1
	s_cbranch_execz .LBB224_1052
; %bb.1047:                             ;   in Loop: Header=BB224_545 Depth=1
	v_mov_b32_e32 v13, v6
	v_mov_b32_e32 v24, v14
	v_bfe_u32 v111, v110, 24, 7
	s_mov_b32 s15, exec_lo
	v_mov_b32_e32 v23, v13
	v_cmpx_ne_u32_e32 0x7f, v111
	s_cbranch_execz .LBB224_1051
; %bb.1048:                             ;   in Loop: Header=BB224_545 Depth=1
	v_and_b32_sdwa v5, v110, v49 dst_sel:DWORD dst_unused:UNUSED_PAD src0_sel:BYTE_3 src1_sel:DWORD
	v_lshrrev_b32_e32 v11, 3, v111
	s_mov_b32 s16, exec_lo
	v_cmpx_gt_u32_e32 8, v111
; %bb.1049:                             ;   in Loop: Header=BB224_545 Depth=1
	v_ffbh_u32_e32 v11, v5
	v_min_u32_e32 v11, 32, v11
	v_subrev_nc_u32_e32 v13, 28, v11
	v_sub_nc_u32_e32 v11, 29, v11
	v_lshlrev_b64 v[23:24], v13, v[5:6]
	v_and_b32_e32 v5, 7, v23
; %bb.1050:                             ;   in Loop: Header=BB224_545 Depth=1
	s_or_b32 exec_lo, exec_lo, s16
	v_lshlrev_b32_sdwa v13, v50, v110 dst_sel:DWORD dst_unused:UNUSED_PAD src0_sel:DWORD src1_sel:BYTE_3
	v_lshlrev_b32_e32 v5, 20, v5
	v_lshl_add_u32 v11, v11, 23, 0x3c000000
	v_mov_b32_e32 v23, v6
	v_and_b32_e32 v13, 0x80000000, v13
	v_or3_b32 v24, v5, v13, v11
.LBB224_1051:                           ;   in Loop: Header=BB224_545 Depth=1
	s_or_b32 exec_lo, exec_lo, s15
.LBB224_1052:                           ;   in Loop: Header=BB224_545 Depth=1
	s_or_b32 exec_lo, exec_lo, s14
.LBB224_1053:                           ;   in Loop: Header=BB224_545 Depth=1
	s_or_b32 exec_lo, exec_lo, s13
	v_or_b32_e32 v5, v20, v18
	v_or_b32_e32 v11, v19, v17
	v_or_b32_e32 v13, v23, v21
	v_or_b32_e32 v17, v24, v22
	v_mul_f32_e32 v110, s9, v5
	v_mul_f32_e32 v111, s4, v11
	;; [unrolled: 1-line block ×4, first 2 shown]
	s_and_saveexec_b32 s13, vcc_lo
	s_cbranch_execz .LBB224_1055
; %bb.1054:                             ;   in Loop: Header=BB224_545 Depth=1
	v_cmp_gt_i32_e64 s1, s27, v55
	v_cndmask_b32_e64 v111, 0, v111, s1
	v_cmp_gt_i32_e64 s1, s27, v57
	v_cndmask_b32_e64 v110, 0, v110, s1
	;; [unrolled: 2-line block ×4, first 2 shown]
.LBB224_1055:                           ;   in Loop: Header=BB224_545 Depth=1
	s_or_b32 exec_lo, exec_lo, s13
	global_load_dword v112, v[15:16], off offset:1920
	v_mov_b32_e32 v17, 0
	v_mov_b32_e32 v15, 0
	;; [unrolled: 1-line block ×4, first 2 shown]
	s_waitcnt vmcnt(0)
	v_cmp_ne_u16_sdwa s1, v112, v6 src0_sel:BYTE_0 src1_sel:DWORD
	s_and_saveexec_b32 s13, s1
	s_cbranch_execz .LBB224_1063
; %bb.1056:                             ;   in Loop: Header=BB224_545 Depth=1
	v_bfrev_b32_e32 v15, 1
	v_mov_b32_e32 v16, 0
	v_cmp_ne_u16_sdwa s1, v112, v46 src0_sel:BYTE_0 src1_sel:DWORD
	s_and_saveexec_b32 s14, s1
	s_cbranch_execz .LBB224_1062
; %bb.1057:                             ;   in Loop: Header=BB224_545 Depth=1
	v_mov_b32_e32 v15, 0x7f800001
	v_and_b32_e32 v13, 0x7f, v112
	v_mov_b32_e32 v16, 0
	s_mov_b32 s15, exec_lo
	v_cmpx_ne_u32_e32 0x7f, v13
	s_cbranch_execz .LBB224_1061
; %bb.1058:                             ;   in Loop: Header=BB224_545 Depth=1
	v_and_b32_e32 v5, 7, v112
	v_lshrrev_b32_e32 v11, 3, v13
	s_mov_b32 s16, exec_lo
	v_cmpx_gt_u32_e32 8, v13
; %bb.1059:                             ;   in Loop: Header=BB224_545 Depth=1
	v_ffbh_u32_e32 v11, v5
	v_min_u32_e32 v11, 32, v11
	v_subrev_nc_u32_e32 v13, 28, v11
	v_sub_nc_u32_e32 v11, 29, v11
	v_lshlrev_b64 v[15:16], v13, v[5:6]
	v_and_b32_e32 v5, 7, v15
; %bb.1060:                             ;   in Loop: Header=BB224_545 Depth=1
	s_or_b32 exec_lo, exec_lo, s16
	v_lshlrev_b32_e32 v13, 24, v112
	v_lshlrev_b32_e32 v5, 20, v5
	v_lshl_add_u32 v11, v11, 23, 0x3c000000
	v_and_b32_e32 v13, 0x80000000, v13
	v_or3_b32 v5, v5, v13, v11
	v_mov_b32_e32 v16, v6
	v_mov_b32_e32 v15, v5
.LBB224_1061:                           ;   in Loop: Header=BB224_545 Depth=1
	s_or_b32 exec_lo, exec_lo, s15
.LBB224_1062:                           ;   in Loop: Header=BB224_545 Depth=1
	s_or_b32 exec_lo, exec_lo, s14
.LBB224_1063:                           ;   in Loop: Header=BB224_545 Depth=1
	s_or_b32 exec_lo, exec_lo, s13
	v_cmp_ne_u16_sdwa s1, v112, v6 src0_sel:BYTE_1 src1_sel:DWORD
	s_and_saveexec_b32 s13, s1
	s_cbranch_execz .LBB224_1071
; %bb.1064:                             ;   in Loop: Header=BB224_545 Depth=1
	v_mov_b32_e32 v11, v6
	v_mov_b32_e32 v18, v12
	v_cmp_ne_u16_sdwa s1, v112, v46 src0_sel:BYTE_1 src1_sel:DWORD
	v_mov_b32_e32 v17, v11
	s_and_saveexec_b32 s14, s1
	s_cbranch_execz .LBB224_1070
; %bb.1065:                             ;   in Loop: Header=BB224_545 Depth=1
	v_and_b32_sdwa v5, v47, v112 dst_sel:DWORD dst_unused:UNUSED_PAD src0_sel:DWORD src1_sel:BYTE_1
	v_mov_b32_e32 v13, v6
	v_mov_b32_e32 v18, v14
	s_mov_b32 s15, exec_lo
	v_and_b32_e32 v19, 0x7f, v5
	v_mov_b32_e32 v17, v13
	v_cmpx_ne_u32_e32 0x7f, v19
	s_cbranch_execz .LBB224_1069
; %bb.1066:                             ;   in Loop: Header=BB224_545 Depth=1
	v_and_b32_e32 v5, 7, v5
	v_lshrrev_b32_e32 v11, 3, v19
	s_mov_b32 s16, exec_lo
	v_cmpx_gt_u32_e32 8, v19
; %bb.1067:                             ;   in Loop: Header=BB224_545 Depth=1
	v_ffbh_u32_e32 v11, v5
	v_min_u32_e32 v11, 32, v11
	v_subrev_nc_u32_e32 v13, 28, v11
	v_sub_nc_u32_e32 v11, 29, v11
	v_lshlrev_b64 v[17:18], v13, v[5:6]
	v_and_b32_e32 v5, 7, v17
; %bb.1068:                             ;   in Loop: Header=BB224_545 Depth=1
	s_or_b32 exec_lo, exec_lo, s16
	v_lshlrev_b32_e32 v13, 16, v112
	v_lshlrev_b32_e32 v5, 20, v5
	v_lshl_add_u32 v11, v11, 23, 0x3c000000
	v_mov_b32_e32 v17, v6
	v_and_b32_e32 v13, 0x80000000, v13
	v_or3_b32 v18, v5, v13, v11
.LBB224_1069:                           ;   in Loop: Header=BB224_545 Depth=1
	s_or_b32 exec_lo, exec_lo, s15
.LBB224_1070:                           ;   in Loop: Header=BB224_545 Depth=1
	s_or_b32 exec_lo, exec_lo, s14
.LBB224_1071:                           ;   in Loop: Header=BB224_545 Depth=1
	s_or_b32 exec_lo, exec_lo, s13
	v_mov_b32_e32 v21, 0
	v_mov_b32_e32 v19, 0
	v_and_b32_sdwa v5, v112, v48 dst_sel:DWORD dst_unused:UNUSED_PAD src0_sel:WORD_1 src1_sel:DWORD
	v_mov_b32_e32 v22, 0
	v_mov_b32_e32 v20, 0
	s_mov_b32 s13, exec_lo
	v_cmpx_ne_u16_e32 0, v5
	s_cbranch_execz .LBB224_1079
; %bb.1072:                             ;   in Loop: Header=BB224_545 Depth=1
	v_bfrev_b32_e32 v19, 1
	v_mov_b32_e32 v20, 0
	s_mov_b32 s14, exec_lo
	v_cmpx_ne_u16_e32 0x80, v5
	s_cbranch_execz .LBB224_1078
; %bb.1073:                             ;   in Loop: Header=BB224_545 Depth=1
	v_mov_b32_e32 v19, 0x7f800001
	v_bfe_u32 v13, v112, 16, 7
	v_mov_b32_e32 v20, 0
	s_mov_b32 s15, exec_lo
	v_cmpx_ne_u32_e32 0x7f, v13
	s_cbranch_execz .LBB224_1077
; %bb.1074:                             ;   in Loop: Header=BB224_545 Depth=1
	v_and_b32_sdwa v5, v112, v49 dst_sel:DWORD dst_unused:UNUSED_PAD src0_sel:WORD_1 src1_sel:DWORD
	v_lshrrev_b32_e32 v11, 3, v13
	s_mov_b32 s16, exec_lo
	v_cmpx_gt_u32_e32 8, v13
; %bb.1075:                             ;   in Loop: Header=BB224_545 Depth=1
	v_ffbh_u32_e32 v11, v5
	v_min_u32_e32 v11, 32, v11
	v_subrev_nc_u32_e32 v13, 28, v11
	v_sub_nc_u32_e32 v11, 29, v11
	v_lshlrev_b64 v[19:20], v13, v[5:6]
	v_and_b32_e32 v5, 7, v19
; %bb.1076:                             ;   in Loop: Header=BB224_545 Depth=1
	s_or_b32 exec_lo, exec_lo, s16
	v_lshlrev_b32_sdwa v13, v50, v112 dst_sel:DWORD dst_unused:UNUSED_PAD src0_sel:DWORD src1_sel:WORD_1
	v_lshlrev_b32_e32 v5, 20, v5
	v_lshl_add_u32 v11, v11, 23, 0x3c000000
	v_and_b32_e32 v13, 0x80000000, v13
	v_or3_b32 v5, v5, v13, v11
	v_mov_b32_e32 v20, v6
	v_mov_b32_e32 v19, v5
.LBB224_1077:                           ;   in Loop: Header=BB224_545 Depth=1
	s_or_b32 exec_lo, exec_lo, s15
.LBB224_1078:                           ;   in Loop: Header=BB224_545 Depth=1
	s_or_b32 exec_lo, exec_lo, s14
.LBB224_1079:                           ;   in Loop: Header=BB224_545 Depth=1
	s_or_b32 exec_lo, exec_lo, s13
	s_mov_b32 s13, exec_lo
	v_cmpx_lt_u32_e32 0xffffff, v112
	s_cbranch_execz .LBB224_1087
; %bb.1080:                             ;   in Loop: Header=BB224_545 Depth=1
	v_mov_b32_e32 v11, v6
	v_mov_b32_e32 v22, v12
	v_cmp_ne_u32_sdwa s1, v112, v46 src0_sel:BYTE_3 src1_sel:DWORD
	v_mov_b32_e32 v21, v11
	s_and_saveexec_b32 s14, s1
	s_cbranch_execz .LBB224_1086
; %bb.1081:                             ;   in Loop: Header=BB224_545 Depth=1
	v_mov_b32_e32 v13, v6
	v_mov_b32_e32 v22, v14
	v_bfe_u32 v113, v112, 24, 7
	s_mov_b32 s15, exec_lo
	v_mov_b32_e32 v21, v13
	v_cmpx_ne_u32_e32 0x7f, v113
	s_cbranch_execz .LBB224_1085
; %bb.1082:                             ;   in Loop: Header=BB224_545 Depth=1
	v_and_b32_sdwa v5, v112, v49 dst_sel:DWORD dst_unused:UNUSED_PAD src0_sel:BYTE_3 src1_sel:DWORD
	v_lshrrev_b32_e32 v11, 3, v113
	s_mov_b32 s16, exec_lo
	v_cmpx_gt_u32_e32 8, v113
; %bb.1083:                             ;   in Loop: Header=BB224_545 Depth=1
	v_ffbh_u32_e32 v11, v5
	v_min_u32_e32 v11, 32, v11
	v_subrev_nc_u32_e32 v13, 28, v11
	v_sub_nc_u32_e32 v11, 29, v11
	v_lshlrev_b64 v[21:22], v13, v[5:6]
	v_and_b32_e32 v5, 7, v21
; %bb.1084:                             ;   in Loop: Header=BB224_545 Depth=1
	s_or_b32 exec_lo, exec_lo, s16
	v_lshlrev_b32_sdwa v13, v50, v112 dst_sel:DWORD dst_unused:UNUSED_PAD src0_sel:DWORD src1_sel:BYTE_3
	v_lshlrev_b32_e32 v5, 20, v5
	v_lshl_add_u32 v11, v11, 23, 0x3c000000
	v_mov_b32_e32 v21, v6
	v_and_b32_e32 v13, 0x80000000, v13
	v_or3_b32 v22, v5, v13, v11
.LBB224_1085:                           ;   in Loop: Header=BB224_545 Depth=1
	s_or_b32 exec_lo, exec_lo, s15
.LBB224_1086:                           ;   in Loop: Header=BB224_545 Depth=1
	s_or_b32 exec_lo, exec_lo, s14
.LBB224_1087:                           ;   in Loop: Header=BB224_545 Depth=1
	s_or_b32 exec_lo, exec_lo, s13
	v_or_b32_e32 v5, v18, v16
	v_or_b32_e32 v11, v17, v15
	;; [unrolled: 1-line block ×4, first 2 shown]
	v_mul_f32_e32 v13, s9, v5
	v_mul_f32_e32 v15, s4, v11
	;; [unrolled: 1-line block ×4, first 2 shown]
	s_and_saveexec_b32 s1, vcc_lo
	s_cbranch_execz .LBB224_544
; %bb.1088:                             ;   in Loop: Header=BB224_545 Depth=1
	v_cmp_gt_i32_e32 vcc_lo, s27, v55
	v_cndmask_b32_e32 v15, 0, v15, vcc_lo
	v_cmp_gt_i32_e32 vcc_lo, s27, v57
	v_cndmask_b32_e32 v13, 0, v13, vcc_lo
	;; [unrolled: 2-line block ×4, first 2 shown]
	s_branch .LBB224_544
.LBB224_1089:
	s_or_b32 exec_lo, exec_lo, s6
.LBB224_1090:
	s_or_b32 exec_lo, exec_lo, s3
	ds_bpermute_b32 v1, v26, v41
	ds_bpermute_b32 v2, v26, v43
	;; [unrolled: 1-line block ×16, first 2 shown]
	s_mov_b32 s1, exec_lo
	s_waitcnt lgkmcnt(0)
	s_waitcnt_vscnt null, 0x0
	s_barrier
	buffer_gl0_inv
	v_add_f32_e32 v1, v41, v1
	v_add_f32_e32 v2, v43, v2
	;; [unrolled: 1-line block ×6, first 2 shown]
	ds_bpermute_b32 v17, v27, v1
	v_add_f32_e32 v7, v37, v7
	v_add_f32_e32 v8, v36, v8
	;; [unrolled: 1-line block ×10, first 2 shown]
	ds_bpermute_b32 v18, v27, v2
	ds_bpermute_b32 v19, v27, v3
	;; [unrolled: 1-line block ×15, first 2 shown]
	s_waitcnt lgkmcnt(15)
	v_add_f32_e32 v0, v1, v17
	v_and_b32_e32 v17, 28, v25
	s_waitcnt lgkmcnt(14)
	v_add_f32_e32 v1, v2, v18
	s_waitcnt lgkmcnt(13)
	v_add_f32_e32 v2, v3, v19
	;; [unrolled: 2-line block ×14, first 2 shown]
	v_and_b32_e32 v19, 0x3c3, v114
	s_waitcnt lgkmcnt(0)
	v_add_f32_e32 v15, v16, v27
	v_lshrrev_b32_e32 v16, 2, v25
	v_add_nc_u32_e32 v17, 0x220, v17
	v_lshlrev_b32_e32 v18, 9, v115
	v_cmpx_eq_u32_e32 64, v19
	s_cbranch_execz .LBB224_1092
; %bb.1091:
	v_add_nc_u32_e32 v19, v17, v18
	v_add_nc_u32_e32 v20, 0xfffffc00, v19
	;; [unrolled: 1-line block ×7, first 2 shown]
	ds_write_b32 v20, v0
	ds_write_b32 v21, v1
	;; [unrolled: 1-line block ×6, first 2 shown]
	v_add_nc_u32_e32 v20, 0xfffffcc0, v19
	v_add_nc_u32_e32 v21, 0xfffffce0, v19
	;; [unrolled: 1-line block ×5, first 2 shown]
	ds_write_b32 v20, v6
	ds_write_b32 v21, v7
	;; [unrolled: 1-line block ×5, first 2 shown]
	v_add_nc_u32_e32 v20, 0xfffffd60, v19
	v_add_nc_u32_e32 v21, 0xfffffd80, v19
	;; [unrolled: 1-line block ×5, first 2 shown]
	ds_write_b32 v20, v11
	ds_write_b32 v21, v12
	;; [unrolled: 1-line block ×5, first 2 shown]
.LBB224_1092:
	s_or_b32 exec_lo, exec_lo, s1
	v_lshlrev_b32_e32 v16, 2, v16
	v_cmp_eq_u32_e32 vcc_lo, 0, v28
	s_waitcnt lgkmcnt(0)
	s_barrier
	buffer_gl0_inv
	v_add3_u32 v16, 0x220, v18, v16
	s_and_saveexec_b32 s1, s0
	s_cbranch_execz .LBB224_1111
; %bb.1093:
	s_and_saveexec_b32 s0, vcc_lo
	s_cbranch_execnz .LBB224_1135
; %bb.1094:
	s_or_b32 exec_lo, exec_lo, s0
	s_and_saveexec_b32 s0, vcc_lo
	s_cbranch_execnz .LBB224_1136
.LBB224_1095:
	s_or_b32 exec_lo, exec_lo, s0
	s_and_saveexec_b32 s0, vcc_lo
	s_cbranch_execnz .LBB224_1137
.LBB224_1096:
	s_or_b32 exec_lo, exec_lo, s0
	s_and_saveexec_b32 s0, vcc_lo
	s_cbranch_execnz .LBB224_1138
.LBB224_1097:
	s_or_b32 exec_lo, exec_lo, s0
	s_and_saveexec_b32 s0, vcc_lo
	s_cbranch_execnz .LBB224_1139
.LBB224_1098:
	s_or_b32 exec_lo, exec_lo, s0
	s_and_saveexec_b32 s0, vcc_lo
	s_cbranch_execnz .LBB224_1140
.LBB224_1099:
	s_or_b32 exec_lo, exec_lo, s0
	s_and_saveexec_b32 s0, vcc_lo
	s_cbranch_execnz .LBB224_1141
.LBB224_1100:
	s_or_b32 exec_lo, exec_lo, s0
	s_and_saveexec_b32 s0, vcc_lo
	s_cbranch_execnz .LBB224_1142
.LBB224_1101:
	s_or_b32 exec_lo, exec_lo, s0
	s_and_saveexec_b32 s0, vcc_lo
	s_cbranch_execnz .LBB224_1143
.LBB224_1102:
	s_or_b32 exec_lo, exec_lo, s0
	s_and_saveexec_b32 s0, vcc_lo
	s_cbranch_execnz .LBB224_1144
.LBB224_1103:
	s_or_b32 exec_lo, exec_lo, s0
	s_and_saveexec_b32 s0, vcc_lo
	s_cbranch_execnz .LBB224_1145
.LBB224_1104:
	s_or_b32 exec_lo, exec_lo, s0
	s_and_saveexec_b32 s0, vcc_lo
	s_cbranch_execnz .LBB224_1146
.LBB224_1105:
	s_or_b32 exec_lo, exec_lo, s0
	s_and_saveexec_b32 s0, vcc_lo
	s_cbranch_execnz .LBB224_1147
.LBB224_1106:
	s_or_b32 exec_lo, exec_lo, s0
	s_and_saveexec_b32 s0, vcc_lo
	s_cbranch_execnz .LBB224_1148
.LBB224_1107:
	s_or_b32 exec_lo, exec_lo, s0
	s_and_saveexec_b32 s0, vcc_lo
	s_cbranch_execnz .LBB224_1149
.LBB224_1108:
	s_or_b32 exec_lo, exec_lo, s0
	s_and_saveexec_b32 s0, vcc_lo
	s_cbranch_execz .LBB224_1110
.LBB224_1109:
	ds_read_b32 v18, v16 offset:480
	s_waitcnt lgkmcnt(0)
	v_add_f32_e32 v15, v15, v18
.LBB224_1110:
	s_or_b32 exec_lo, exec_lo, s0
.LBB224_1111:
	s_or_b32 exec_lo, exec_lo, s1
	v_and_b32_e32 v18, 0x3e3, v114
	s_mov_b32 s1, exec_lo
	s_barrier
	buffer_gl0_inv
	v_cmpx_eq_u32_e32 32, v18
	s_cbranch_execz .LBB224_1113
; %bb.1112:
	ds_write2_b32 v17, v0, v1 offset1:8
	ds_write2_b32 v17, v2, v3 offset0:16 offset1:24
	ds_write2_b32 v17, v4, v5 offset0:32 offset1:40
	;; [unrolled: 1-line block ×7, first 2 shown]
.LBB224_1113:
	s_or_b32 exec_lo, exec_lo, s1
	s_mov_b32 s1, exec_lo
	s_waitcnt lgkmcnt(0)
	s_barrier
	buffer_gl0_inv
	v_cmpx_gt_u32_e32 32, v114
	s_cbranch_execz .LBB224_1132
; %bb.1114:
	s_and_saveexec_b32 s0, vcc_lo
	s_cbranch_execnz .LBB224_1150
; %bb.1115:
	s_or_b32 exec_lo, exec_lo, s0
	s_and_saveexec_b32 s0, vcc_lo
	s_cbranch_execnz .LBB224_1151
.LBB224_1116:
	s_or_b32 exec_lo, exec_lo, s0
	s_and_saveexec_b32 s0, vcc_lo
	s_cbranch_execnz .LBB224_1152
.LBB224_1117:
	s_or_b32 exec_lo, exec_lo, s0
	s_and_saveexec_b32 s0, vcc_lo
	s_cbranch_execnz .LBB224_1153
.LBB224_1118:
	s_or_b32 exec_lo, exec_lo, s0
	s_and_saveexec_b32 s0, vcc_lo
	s_cbranch_execnz .LBB224_1154
.LBB224_1119:
	s_or_b32 exec_lo, exec_lo, s0
	s_and_saveexec_b32 s0, vcc_lo
	s_cbranch_execnz .LBB224_1155
.LBB224_1120:
	s_or_b32 exec_lo, exec_lo, s0
	s_and_saveexec_b32 s0, vcc_lo
	s_cbranch_execnz .LBB224_1156
.LBB224_1121:
	s_or_b32 exec_lo, exec_lo, s0
	s_and_saveexec_b32 s0, vcc_lo
	s_cbranch_execnz .LBB224_1157
.LBB224_1122:
	s_or_b32 exec_lo, exec_lo, s0
	s_and_saveexec_b32 s0, vcc_lo
	s_cbranch_execnz .LBB224_1158
.LBB224_1123:
	s_or_b32 exec_lo, exec_lo, s0
	s_and_saveexec_b32 s0, vcc_lo
	s_cbranch_execnz .LBB224_1159
.LBB224_1124:
	s_or_b32 exec_lo, exec_lo, s0
	s_and_saveexec_b32 s0, vcc_lo
	s_cbranch_execnz .LBB224_1160
.LBB224_1125:
	s_or_b32 exec_lo, exec_lo, s0
	s_and_saveexec_b32 s0, vcc_lo
	s_cbranch_execnz .LBB224_1161
.LBB224_1126:
	s_or_b32 exec_lo, exec_lo, s0
	s_and_saveexec_b32 s0, vcc_lo
	s_cbranch_execnz .LBB224_1162
.LBB224_1127:
	s_or_b32 exec_lo, exec_lo, s0
	s_and_saveexec_b32 s0, vcc_lo
	s_cbranch_execnz .LBB224_1163
.LBB224_1128:
	s_or_b32 exec_lo, exec_lo, s0
	s_and_saveexec_b32 s0, vcc_lo
	s_cbranch_execnz .LBB224_1164
.LBB224_1129:
	s_or_b32 exec_lo, exec_lo, s0
	s_and_saveexec_b32 s0, vcc_lo
	s_cbranch_execz .LBB224_1131
.LBB224_1130:
	ds_read_b32 v16, v16 offset:480
	s_waitcnt lgkmcnt(0)
	v_add_f32_e32 v15, v15, v16
.LBB224_1131:
	s_or_b32 exec_lo, exec_lo, s0
.LBB224_1132:
	s_or_b32 exec_lo, exec_lo, s1
	s_barrier
	buffer_gl0_inv
	s_mov_b32 s0, exec_lo
	v_cmpx_eq_u32_e32 0, v18
	s_cbranch_execz .LBB224_1134
; %bb.1133:
	s_lshl_b32 s0, s2, 7
	s_mul_i32 s2, s7, s10
	s_ashr_i32 s1, s0, 31
	s_lshl_b64 s[0:1], s[0:1], 2
	s_add_u32 s4, s24, s0
	s_addc_u32 s5, s25, s1
	s_ashr_i32 s3, s2, 31
	s_lshl_b64 s[0:1], s[2:3], 2
	s_add_u32 s2, s4, s0
	s_addc_u32 s3, s5, s1
	s_lshl_b32 s0, s8, 7
	s_ashr_i32 s1, s0, 31
	s_lshl_b64 s[0:1], s[0:1], 2
	s_add_u32 s0, s2, s0
	s_addc_u32 s1, s3, s1
	global_store_dword v114, v0, s[0:1]
	global_store_dword v114, v1, s[0:1] offset:32
	global_store_dword v114, v2, s[0:1] offset:64
	;; [unrolled: 1-line block ×15, first 2 shown]
.LBB224_1134:
	s_endpgm
.LBB224_1135:
	ds_read_b32 v18, v16
	s_waitcnt lgkmcnt(0)
	v_add_f32_e32 v0, v0, v18
	s_or_b32 exec_lo, exec_lo, s0
	s_and_saveexec_b32 s0, vcc_lo
	s_cbranch_execz .LBB224_1095
.LBB224_1136:
	ds_read_b32 v18, v16 offset:32
	s_waitcnt lgkmcnt(0)
	v_add_f32_e32 v1, v1, v18
	s_or_b32 exec_lo, exec_lo, s0
	s_and_saveexec_b32 s0, vcc_lo
	s_cbranch_execz .LBB224_1096
.LBB224_1137:
	ds_read_b32 v18, v16 offset:64
	s_waitcnt lgkmcnt(0)
	v_add_f32_e32 v2, v2, v18
	s_or_b32 exec_lo, exec_lo, s0
	s_and_saveexec_b32 s0, vcc_lo
	s_cbranch_execz .LBB224_1097
.LBB224_1138:
	ds_read_b32 v18, v16 offset:96
	s_waitcnt lgkmcnt(0)
	v_add_f32_e32 v3, v3, v18
	s_or_b32 exec_lo, exec_lo, s0
	s_and_saveexec_b32 s0, vcc_lo
	s_cbranch_execz .LBB224_1098
.LBB224_1139:
	ds_read_b32 v18, v16 offset:128
	s_waitcnt lgkmcnt(0)
	v_add_f32_e32 v4, v4, v18
	s_or_b32 exec_lo, exec_lo, s0
	s_and_saveexec_b32 s0, vcc_lo
	s_cbranch_execz .LBB224_1099
.LBB224_1140:
	ds_read_b32 v18, v16 offset:160
	s_waitcnt lgkmcnt(0)
	v_add_f32_e32 v5, v5, v18
	s_or_b32 exec_lo, exec_lo, s0
	s_and_saveexec_b32 s0, vcc_lo
	s_cbranch_execz .LBB224_1100
.LBB224_1141:
	ds_read_b32 v18, v16 offset:192
	s_waitcnt lgkmcnt(0)
	v_add_f32_e32 v6, v6, v18
	s_or_b32 exec_lo, exec_lo, s0
	s_and_saveexec_b32 s0, vcc_lo
	s_cbranch_execz .LBB224_1101
.LBB224_1142:
	ds_read_b32 v18, v16 offset:224
	s_waitcnt lgkmcnt(0)
	v_add_f32_e32 v7, v7, v18
	s_or_b32 exec_lo, exec_lo, s0
	s_and_saveexec_b32 s0, vcc_lo
	s_cbranch_execz .LBB224_1102
.LBB224_1143:
	ds_read_b32 v18, v16 offset:256
	s_waitcnt lgkmcnt(0)
	v_add_f32_e32 v8, v8, v18
	s_or_b32 exec_lo, exec_lo, s0
	s_and_saveexec_b32 s0, vcc_lo
	s_cbranch_execz .LBB224_1103
.LBB224_1144:
	ds_read_b32 v18, v16 offset:288
	s_waitcnt lgkmcnt(0)
	v_add_f32_e32 v9, v9, v18
	s_or_b32 exec_lo, exec_lo, s0
	s_and_saveexec_b32 s0, vcc_lo
	s_cbranch_execz .LBB224_1104
.LBB224_1145:
	ds_read_b32 v18, v16 offset:320
	s_waitcnt lgkmcnt(0)
	v_add_f32_e32 v10, v10, v18
	s_or_b32 exec_lo, exec_lo, s0
	s_and_saveexec_b32 s0, vcc_lo
	s_cbranch_execz .LBB224_1105
.LBB224_1146:
	ds_read_b32 v18, v16 offset:352
	s_waitcnt lgkmcnt(0)
	v_add_f32_e32 v11, v11, v18
	s_or_b32 exec_lo, exec_lo, s0
	s_and_saveexec_b32 s0, vcc_lo
	s_cbranch_execz .LBB224_1106
.LBB224_1147:
	ds_read_b32 v18, v16 offset:384
	s_waitcnt lgkmcnt(0)
	v_add_f32_e32 v12, v12, v18
	s_or_b32 exec_lo, exec_lo, s0
	s_and_saveexec_b32 s0, vcc_lo
	s_cbranch_execz .LBB224_1107
.LBB224_1148:
	ds_read_b32 v18, v16 offset:416
	s_waitcnt lgkmcnt(0)
	v_add_f32_e32 v13, v13, v18
	s_or_b32 exec_lo, exec_lo, s0
	s_and_saveexec_b32 s0, vcc_lo
	s_cbranch_execz .LBB224_1108
.LBB224_1149:
	ds_read_b32 v18, v16 offset:448
	s_waitcnt lgkmcnt(0)
	v_add_f32_e32 v14, v14, v18
	s_or_b32 exec_lo, exec_lo, s0
	s_and_saveexec_b32 s0, vcc_lo
	s_cbranch_execnz .LBB224_1109
	s_branch .LBB224_1110
.LBB224_1150:
	ds_read_b32 v17, v16
	s_waitcnt lgkmcnt(0)
	v_add_f32_e32 v0, v0, v17
	s_or_b32 exec_lo, exec_lo, s0
	s_and_saveexec_b32 s0, vcc_lo
	s_cbranch_execz .LBB224_1116
.LBB224_1151:
	ds_read_b32 v17, v16 offset:32
	s_waitcnt lgkmcnt(0)
	v_add_f32_e32 v1, v1, v17
	s_or_b32 exec_lo, exec_lo, s0
	s_and_saveexec_b32 s0, vcc_lo
	s_cbranch_execz .LBB224_1117
.LBB224_1152:
	ds_read_b32 v17, v16 offset:64
	s_waitcnt lgkmcnt(0)
	v_add_f32_e32 v2, v2, v17
	s_or_b32 exec_lo, exec_lo, s0
	s_and_saveexec_b32 s0, vcc_lo
	s_cbranch_execz .LBB224_1118
.LBB224_1153:
	ds_read_b32 v17, v16 offset:96
	s_waitcnt lgkmcnt(0)
	v_add_f32_e32 v3, v3, v17
	s_or_b32 exec_lo, exec_lo, s0
	s_and_saveexec_b32 s0, vcc_lo
	s_cbranch_execz .LBB224_1119
.LBB224_1154:
	ds_read_b32 v17, v16 offset:128
	s_waitcnt lgkmcnt(0)
	v_add_f32_e32 v4, v4, v17
	s_or_b32 exec_lo, exec_lo, s0
	s_and_saveexec_b32 s0, vcc_lo
	s_cbranch_execz .LBB224_1120
.LBB224_1155:
	ds_read_b32 v17, v16 offset:160
	s_waitcnt lgkmcnt(0)
	v_add_f32_e32 v5, v5, v17
	s_or_b32 exec_lo, exec_lo, s0
	s_and_saveexec_b32 s0, vcc_lo
	s_cbranch_execz .LBB224_1121
.LBB224_1156:
	ds_read_b32 v17, v16 offset:192
	s_waitcnt lgkmcnt(0)
	v_add_f32_e32 v6, v6, v17
	s_or_b32 exec_lo, exec_lo, s0
	s_and_saveexec_b32 s0, vcc_lo
	s_cbranch_execz .LBB224_1122
.LBB224_1157:
	ds_read_b32 v17, v16 offset:224
	s_waitcnt lgkmcnt(0)
	v_add_f32_e32 v7, v7, v17
	s_or_b32 exec_lo, exec_lo, s0
	s_and_saveexec_b32 s0, vcc_lo
	s_cbranch_execz .LBB224_1123
.LBB224_1158:
	ds_read_b32 v17, v16 offset:256
	s_waitcnt lgkmcnt(0)
	v_add_f32_e32 v8, v8, v17
	s_or_b32 exec_lo, exec_lo, s0
	s_and_saveexec_b32 s0, vcc_lo
	s_cbranch_execz .LBB224_1124
.LBB224_1159:
	ds_read_b32 v17, v16 offset:288
	s_waitcnt lgkmcnt(0)
	v_add_f32_e32 v9, v9, v17
	s_or_b32 exec_lo, exec_lo, s0
	s_and_saveexec_b32 s0, vcc_lo
	s_cbranch_execz .LBB224_1125
.LBB224_1160:
	ds_read_b32 v17, v16 offset:320
	s_waitcnt lgkmcnt(0)
	v_add_f32_e32 v10, v10, v17
	s_or_b32 exec_lo, exec_lo, s0
	s_and_saveexec_b32 s0, vcc_lo
	s_cbranch_execz .LBB224_1126
.LBB224_1161:
	ds_read_b32 v17, v16 offset:352
	s_waitcnt lgkmcnt(0)
	v_add_f32_e32 v11, v11, v17
	s_or_b32 exec_lo, exec_lo, s0
	s_and_saveexec_b32 s0, vcc_lo
	s_cbranch_execz .LBB224_1127
.LBB224_1162:
	ds_read_b32 v17, v16 offset:384
	s_waitcnt lgkmcnt(0)
	v_add_f32_e32 v12, v12, v17
	s_or_b32 exec_lo, exec_lo, s0
	s_and_saveexec_b32 s0, vcc_lo
	s_cbranch_execz .LBB224_1128
.LBB224_1163:
	ds_read_b32 v17, v16 offset:416
	s_waitcnt lgkmcnt(0)
	v_add_f32_e32 v13, v13, v17
	s_or_b32 exec_lo, exec_lo, s0
	s_and_saveexec_b32 s0, vcc_lo
	s_cbranch_execz .LBB224_1129
.LBB224_1164:
	ds_read_b32 v17, v16 offset:448
	s_waitcnt lgkmcnt(0)
	v_add_f32_e32 v14, v14, v17
	s_or_b32 exec_lo, exec_lo, s0
	s_and_saveexec_b32 s0, vcc_lo
	s_cbranch_execnz .LBB224_1130
	s_branch .LBB224_1131
	.section	.rodata,"a",@progbits
	.p2align	6, 0x0
	.amdhsa_kernel _ZN4vllm25paged_attention_v2_kernelIfhLi128ELi16ELi128ELNS_18Fp8KVCacheDataTypeE1ELb0ELi512EEEvPfS2_PT_PKS3_PKT0_S9_ifPKiSB_iPKfiiiSD_SD_iiiii
		.amdhsa_group_segment_fixed_size 544
		.amdhsa_private_segment_fixed_size 356
		.amdhsa_kernarg_size 400
		.amdhsa_user_sgpr_count 6
		.amdhsa_user_sgpr_private_segment_buffer 1
		.amdhsa_user_sgpr_dispatch_ptr 0
		.amdhsa_user_sgpr_queue_ptr 0
		.amdhsa_user_sgpr_kernarg_segment_ptr 1
		.amdhsa_user_sgpr_dispatch_id 0
		.amdhsa_user_sgpr_flat_scratch_init 0
		.amdhsa_user_sgpr_private_segment_size 0
		.amdhsa_wavefront_size32 1
		.amdhsa_uses_dynamic_stack 0
		.amdhsa_system_sgpr_private_segment_wavefront_offset 1
		.amdhsa_system_sgpr_workgroup_id_x 1
		.amdhsa_system_sgpr_workgroup_id_y 1
		.amdhsa_system_sgpr_workgroup_id_z 1
		.amdhsa_system_sgpr_workgroup_info 0
		.amdhsa_system_vgpr_workitem_id 0
		.amdhsa_next_free_vgpr 128
		.amdhsa_next_free_sgpr 48
		.amdhsa_reserve_vcc 1
		.amdhsa_reserve_flat_scratch 0
		.amdhsa_float_round_mode_32 0
		.amdhsa_float_round_mode_16_64 0
		.amdhsa_float_denorm_mode_32 3
		.amdhsa_float_denorm_mode_16_64 3
		.amdhsa_dx10_clamp 1
		.amdhsa_ieee_mode 1
		.amdhsa_fp16_overflow 0
		.amdhsa_workgroup_processor_mode 1
		.amdhsa_memory_ordered 1
		.amdhsa_forward_progress 1
		.amdhsa_shared_vgpr_count 0
		.amdhsa_exception_fp_ieee_invalid_op 0
		.amdhsa_exception_fp_denorm_src 0
		.amdhsa_exception_fp_ieee_div_zero 0
		.amdhsa_exception_fp_ieee_overflow 0
		.amdhsa_exception_fp_ieee_underflow 0
		.amdhsa_exception_fp_ieee_inexact 0
		.amdhsa_exception_int_div_zero 0
	.end_amdhsa_kernel
	.section	.text._ZN4vllm25paged_attention_v2_kernelIfhLi128ELi16ELi128ELNS_18Fp8KVCacheDataTypeE1ELb0ELi512EEEvPfS2_PT_PKS3_PKT0_S9_ifPKiSB_iPKfiiiSD_SD_iiiii,"axG",@progbits,_ZN4vllm25paged_attention_v2_kernelIfhLi128ELi16ELi128ELNS_18Fp8KVCacheDataTypeE1ELb0ELi512EEEvPfS2_PT_PKS3_PKT0_S9_ifPKiSB_iPKfiiiSD_SD_iiiii,comdat
.Lfunc_end224:
	.size	_ZN4vllm25paged_attention_v2_kernelIfhLi128ELi16ELi128ELNS_18Fp8KVCacheDataTypeE1ELb0ELi512EEEvPfS2_PT_PKS3_PKT0_S9_ifPKiSB_iPKfiiiSD_SD_iiiii, .Lfunc_end224-_ZN4vllm25paged_attention_v2_kernelIfhLi128ELi16ELi128ELNS_18Fp8KVCacheDataTypeE1ELb0ELi512EEEvPfS2_PT_PKS3_PKT0_S9_ifPKiSB_iPKfiiiSD_SD_iiiii
                                        ; -- End function
	.set _ZN4vllm25paged_attention_v2_kernelIfhLi128ELi16ELi128ELNS_18Fp8KVCacheDataTypeE1ELb0ELi512EEEvPfS2_PT_PKS3_PKT0_S9_ifPKiSB_iPKfiiiSD_SD_iiiii.num_vgpr, 128
	.set _ZN4vllm25paged_attention_v2_kernelIfhLi128ELi16ELi128ELNS_18Fp8KVCacheDataTypeE1ELb0ELi512EEEvPfS2_PT_PKS3_PKT0_S9_ifPKiSB_iPKfiiiSD_SD_iiiii.num_agpr, 0
	.set _ZN4vllm25paged_attention_v2_kernelIfhLi128ELi16ELi128ELNS_18Fp8KVCacheDataTypeE1ELb0ELi512EEEvPfS2_PT_PKS3_PKT0_S9_ifPKiSB_iPKfiiiSD_SD_iiiii.numbered_sgpr, 48
	.set _ZN4vllm25paged_attention_v2_kernelIfhLi128ELi16ELi128ELNS_18Fp8KVCacheDataTypeE1ELb0ELi512EEEvPfS2_PT_PKS3_PKT0_S9_ifPKiSB_iPKfiiiSD_SD_iiiii.num_named_barrier, 0
	.set _ZN4vllm25paged_attention_v2_kernelIfhLi128ELi16ELi128ELNS_18Fp8KVCacheDataTypeE1ELb0ELi512EEEvPfS2_PT_PKS3_PKT0_S9_ifPKiSB_iPKfiiiSD_SD_iiiii.private_seg_size, 356
	.set _ZN4vllm25paged_attention_v2_kernelIfhLi128ELi16ELi128ELNS_18Fp8KVCacheDataTypeE1ELb0ELi512EEEvPfS2_PT_PKS3_PKT0_S9_ifPKiSB_iPKfiiiSD_SD_iiiii.uses_vcc, 1
	.set _ZN4vllm25paged_attention_v2_kernelIfhLi128ELi16ELi128ELNS_18Fp8KVCacheDataTypeE1ELb0ELi512EEEvPfS2_PT_PKS3_PKT0_S9_ifPKiSB_iPKfiiiSD_SD_iiiii.uses_flat_scratch, 0
	.set _ZN4vllm25paged_attention_v2_kernelIfhLi128ELi16ELi128ELNS_18Fp8KVCacheDataTypeE1ELb0ELi512EEEvPfS2_PT_PKS3_PKT0_S9_ifPKiSB_iPKfiiiSD_SD_iiiii.has_dyn_sized_stack, 0
	.set _ZN4vllm25paged_attention_v2_kernelIfhLi128ELi16ELi128ELNS_18Fp8KVCacheDataTypeE1ELb0ELi512EEEvPfS2_PT_PKS3_PKT0_S9_ifPKiSB_iPKfiiiSD_SD_iiiii.has_recursion, 0
	.set _ZN4vllm25paged_attention_v2_kernelIfhLi128ELi16ELi128ELNS_18Fp8KVCacheDataTypeE1ELb0ELi512EEEvPfS2_PT_PKS3_PKT0_S9_ifPKiSB_iPKfiiiSD_SD_iiiii.has_indirect_call, 0
	.section	.AMDGPU.csdata,"",@progbits
; Kernel info:
; codeLenInByte = 35916
; TotalNumSgprs: 50
; NumVgprs: 128
; ScratchSize: 356
; MemoryBound: 0
; FloatMode: 240
; IeeeMode: 1
; LDSByteSize: 544 bytes/workgroup (compile time only)
; SGPRBlocks: 0
; VGPRBlocks: 15
; NumSGPRsForWavesPerEU: 50
; NumVGPRsForWavesPerEU: 128
; Occupancy: 8
; WaveLimiterHint : 1
; COMPUTE_PGM_RSRC2:SCRATCH_EN: 1
; COMPUTE_PGM_RSRC2:USER_SGPR: 6
; COMPUTE_PGM_RSRC2:TRAP_HANDLER: 0
; COMPUTE_PGM_RSRC2:TGID_X_EN: 1
; COMPUTE_PGM_RSRC2:TGID_Y_EN: 1
; COMPUTE_PGM_RSRC2:TGID_Z_EN: 1
; COMPUTE_PGM_RSRC2:TIDIG_COMP_CNT: 0
	.text
	.p2align	2                               ; -- Begin function _ZN4vllm22paged_attention_kernelIfhLi192ELi16ELi128ELNS_18Fp8KVCacheDataTypeE1ELb0ELi512EEEvPfS2_PT_PKS3_PKT0_S9_ifPKiSB_iPKfiiiSD_SD_iiiii
	.type	_ZN4vllm22paged_attention_kernelIfhLi192ELi16ELi128ELNS_18Fp8KVCacheDataTypeE1ELb0ELi512EEEvPfS2_PT_PKS3_PKT0_S9_ifPKiSB_iPKfiiiSD_SD_iiiii,@function
_ZN4vllm22paged_attention_kernelIfhLi192ELi16ELi128ELNS_18Fp8KVCacheDataTypeE1ELb0ELi512EEEvPfS2_PT_PKS3_PKT0_S9_ifPKiSB_iPKfiiiSD_SD_iiiii: ; @_ZN4vllm22paged_attention_kernelIfhLi192ELi16ELi128ELNS_18Fp8KVCacheDataTypeE1ELb0ELi512EEEvPfS2_PT_PKS3_PKT0_S9_ifPKiSB_iPKfiiiSD_SD_iiiii
; %bb.0:
	s_waitcnt vmcnt(0) expcnt(0) lgkmcnt(0)
	buffer_store_dword v40, off, s[0:3], s32 offset:188 ; 4-byte Folded Spill
	buffer_store_dword v41, off, s[0:3], s32 offset:184 ; 4-byte Folded Spill
	;; [unrolled: 1-line block ×47, first 2 shown]
	buffer_store_dword v127, off, s[0:3], s32 ; 4-byte Folded Spill
	s_mov_b32 s18, s13
	s_ashr_i32 s19, s13, 31
	buffer_store_dword v24, off, s[0:3], s32 offset:548 ; 4-byte Folded Spill
	buffer_store_dword v25, off, s[0:3], s32 offset:552 ; 4-byte Folded Spill
	;; [unrolled: 1-line block ×6, first 2 shown]
	s_lshl_b64 s[4:5], s[18:19], 2
	v_mov_b32_e32 v24, v0
	v_add_co_u32 v0, vcc_lo, v16, s4
	v_mov_b32_e32 v22, v1
	v_add_co_ci_u32_e64 v1, null, s5, v17, vcc_lo
	v_mov_b32_e32 v25, v3
	v_mov_b32_e32 v28, v2
	s_lshl_b32 s20, s14, 9
	flat_load_dword v118, v[0:1]
	s_mov_b32 s19, exec_lo
	s_waitcnt vmcnt(0) lgkmcnt(0)
	v_cmpx_lt_i32_e64 s20, v118
	s_cbranch_execz .LBB225_1680
; %bb.1:
	v_sub_nc_u32_e32 v0, 0, v12
	s_clause 0x1
	s_load_dword s4, s[8:9], 0x10
	s_load_dword s5, s[8:9], 0x0
	s_mov_b32 s16, s15
	v_max_i32_e32 v0, v12, v0
	v_cvt_f32_u32_e32 v1, v0
	v_sub_nc_u32_e32 v2, 0, v0
	v_rcp_iflag_f32_e32 v1, v1
	s_waitcnt lgkmcnt(0)
	s_lshr_b32 s4, s4, 16
	s_cmp_lg_u32 s4, 0
	s_cselect_b32 s4, -1, 0
	v_mul_f32_e32 v1, 0x4f7ffffe, v1
	s_cmp_lg_u32 s4, 0
	s_addc_u32 s15, s5, 0
	s_mov_b32 s5, exec_lo
	v_cvt_u32_f32_e32 v1, v1
	s_abs_i32 s4, s15
	v_mul_lo_u32 v2, v2, v1
	v_mul_hi_u32 v2, v1, v2
	v_add_nc_u32_e32 v1, v1, v2
	v_mul_hi_u32 v1, s4, v1
	v_mul_lo_u32 v2, v1, v0
	v_add_nc_u32_e32 v3, 1, v1
	v_sub_nc_u32_e32 v2, s4, v2
	s_abs_i32 s4, s12
	v_sub_nc_u32_e32 v4, v2, v0
	v_cmp_ge_u32_e32 vcc_lo, v2, v0
	v_cndmask_b32_e32 v1, v1, v3, vcc_lo
	v_cndmask_b32_e32 v2, v2, v4, vcc_lo
	v_xor_b32_e32 v3, s15, v12
	v_add_nc_u32_e32 v4, 1, v1
	v_cmp_ge_u32_e32 vcc_lo, v2, v0
	v_ashrrev_i32_e32 v3, 31, v3
	v_cndmask_b32_e32 v0, v1, v4, vcc_lo
	v_xor_b32_e32 v0, v0, v3
	v_sub_nc_u32_e32 v2, v0, v3
	v_sub_nc_u32_e32 v0, 0, v2
	v_max_i32_e32 v3, v2, v0
	v_cvt_f32_u32_e32 v0, v3
	v_sub_nc_u32_e32 v1, 0, v3
	v_rcp_iflag_f32_e32 v0, v0
	v_mul_f32_e32 v0, 0x4f7ffffe, v0
	v_cvt_u32_f32_e32 v0, v0
	v_mul_lo_u32 v1, v1, v0
	v_mul_hi_u32 v1, v0, v1
	v_add_nc_u32_e32 v0, v0, v1
	v_mad_u64_u32 v[0:1], null, s4, v0, 0
	v_mov_b32_e32 v0, 0
	buffer_store_dword v0, off, s[0:3], s32 offset:960 ; 4-byte Folded Spill
	v_cmpx_ne_u64_e32 0, v[19:20]
	s_cbranch_execz .LBB225_3
; %bb.2:
	s_ashr_i32 s13, s12, 31
	s_lshl_b64 s[6:7], s[12:13], 2
	v_add_co_u32 v4, vcc_lo, v19, s6
	v_add_co_ci_u32_e64 v5, null, s7, v20, vcc_lo
	flat_load_dword v0, v[4:5]
	s_waitcnt vmcnt(0) lgkmcnt(0)
	buffer_store_dword v0, off, s[0:3], s32 offset:960 ; 4-byte Folded Spill
.LBB225_3:
	s_or_b32 exec_lo, exec_lo, s5
	v_and_b32_e32 v12, 0x3ff, v31
	v_ashrrev_i32_e32 v0, 31, v2
	v_and_b32_e32 v2, 1, v31
	s_ashr_i32 s5, s12, 31
	s_mul_i32 s10, s12, 0xc0
	v_lshlrev_b32_e32 v16, 2, v12
	s_mov_b32 s6, exec_lo
	v_cmpx_gt_u32_e32 0x60, v12
	s_cbranch_execz .LBB225_5
; %bb.4:
	v_mul_lo_u32 v4, v21, s18
	s_ashr_i32 s11, s10, 31
	v_lshlrev_b32_e32 v13, 3, v12
	s_lshl_b64 s[22:23], s[10:11], 2
	v_ashrrev_i32_e32 v5, 31, v4
	v_lshlrev_b64 v[4:5], 2, v[4:5]
	v_add_co_u32 v4, vcc_lo, v6, v4
	v_add_co_ci_u32_e64 v5, null, v7, v5, vcc_lo
	v_and_b32_e32 v6, 0xff8, v16
	v_add_co_u32 v4, vcc_lo, v4, s22
	v_add_co_ci_u32_e64 v5, null, s23, v5, vcc_lo
	v_mad_u32_u24 v6, 0x180, v2, v6
	v_add_co_u32 v4, vcc_lo, v4, v13
	v_add_co_ci_u32_e64 v5, null, 0, v5, vcc_lo
	flat_load_dwordx2 v[4:5], v[4:5]
	s_waitcnt vmcnt(0) lgkmcnt(0)
	ds_write_b64 v6, v[4:5]
.LBB225_5:
	s_or_b32 exec_lo, exec_lo, s6
	v_mul_lo_u32 v4, v1, v3
	v_add_nc_u32_e32 v5, 15, v118
	v_add_nc_u32_e32 v7, 1, v1
	buffer_store_dword v12, off, s[0:3], s32 offset:964 ; 4-byte Folded Spill
	v_lshrrev_b32_e32 v12, 5, v12
	s_lshl_b32 s7, s14, 5
	v_ashrrev_i32_e32 v6, 31, v5
	v_mbcnt_lo_u32_b32 v21, -1, 0
	v_sub_nc_u32_e32 v4, s4, v4
	s_add_i32 s4, s7, 32
	buffer_store_dword v12, off, s[0:3], s32 offset:968 ; 4-byte Folded Spill
	v_lshrrev_b32_e32 v6, 28, v6
                                        ; implicit-def: $vgpr111
	v_sub_nc_u32_e32 v13, v4, v3
	v_cmp_ge_u32_e32 vcc_lo, v4, v3
	v_add_nc_u32_e32 v5, v5, v6
	v_cndmask_b32_e32 v1, v1, v7, vcc_lo
	v_cndmask_b32_e32 v4, v4, v13, vcc_lo
	v_ashrrev_i32_e32 v13, 4, v5
	v_or_b32_e32 v5, s7, v12
	v_xor_b32_e32 v7, s5, v0
	v_add_nc_u32_e32 v6, 1, v1
	v_cmp_ge_u32_e32 vcc_lo, v4, v3
	v_mul_lo_u32 v0, v18, s18
	v_mov_b32_e32 v4, v5
                                        ; implicit-def: $vgpr12
	v_cndmask_b32_e32 v1, v1, v6, vcc_lo
	v_min_i32_e32 v6, s4, v13
	buffer_store_dword v4, off, s[0:3], s32 offset:208 ; 4-byte Folded Spill
	buffer_store_dword v5, off, s[0:3], s32 offset:212 ; 4-byte Folded Spill
	;; [unrolled: 1-line block ×3, first 2 shown]
	v_xor_b32_e32 v3, v1, v7
	v_ashrrev_i32_e32 v1, 31, v0
	s_waitcnt lgkmcnt(0)
	s_waitcnt_vscnt null, 0x0
	s_barrier
	buffer_gl0_inv
	v_sub_nc_u32_e32 v3, v3, v7
	v_cmp_ge_i32_e64 s4, v5, v6
	s_and_saveexec_b32 s5, s4
	s_xor_b32 s5, exec_lo, s5
	s_cbranch_execz .LBB225_7
; %bb.6:
	v_mov_b32_e32 v111, 0
	v_mbcnt_lo_u32_b32 v21, -1, 0
	v_mov_b32_e32 v12, 32
                                        ; implicit-def: $vgpr2
                                        ; kill: killed $vgpr2
                                        ; implicit-def: $vgpr2
                                        ; kill: killed $vgpr2
                                        ; implicit-def: $vgpr2
	buffer_store_dword v2, off, s[0:3], s32 offset:548 ; 4-byte Folded Spill
	buffer_store_dword v3, off, s[0:3], s32 offset:552 ; 4-byte Folded Spill
                                        ; implicit-def: $vgpr8
                                        ; implicit-def: $vgpr9
                                        ; implicit-def: $vgpr2
.LBB225_7:
	s_or_saveexec_b32 s13, s5
	s_clause 0x1
	s_load_dword s21, s[8:9], 0x14
	s_load_dword s11, s[8:9], 0x8
	v_mul_lo_u32 v19, v3, v23
	s_clause 0x1
	buffer_load_dword v3, off, s[0:3], s32 offset:208
	buffer_load_dword v4, off, s[0:3], s32 offset:212
	v_lshlrev_b64 v[17:18], 2, v[0:1]
	v_mov_b32_e32 v5, 0xff7fffff
	v_ashrrev_i32_e32 v20, 31, v19
	s_waitcnt vmcnt(0)
	v_ashrrev_i32_e32 v4, 31, v3
	buffer_store_dword v3, off, s[0:3], s32 offset:208 ; 4-byte Folded Spill
	buffer_store_dword v4, off, s[0:3], s32 offset:212 ; 4-byte Folded Spill
	s_xor_b32 exec_lo, exec_lo, s13
	s_cbranch_execz .LBB225_781
; %bb.8:
	buffer_store_dword v13, off, s[0:3], s32 offset:1024 ; 4-byte Folded Spill
	buffer_store_dword v28, off, s[0:3], s32 offset:1020 ; 4-byte Folded Spill
	;; [unrolled: 1-line block ×10, first 2 shown]
	buffer_load_dword v0, off, s[0:3], s32 offset:964 ; 4-byte Folded Reload
	v_add_co_u32 v1, vcc_lo, v8, v19
	v_add_co_ci_u32_e64 v3, null, v9, v20, vcc_lo
	buffer_store_dword v19, off, s[0:3], s32 offset:1036 ; 4-byte Folded Spill
	buffer_store_dword v20, off, s[0:3], s32 offset:1040 ; 4-byte Folded Spill
	s_ashr_i32 s17, s16, 31
	v_mov_b32_e32 v111, 0
	s_lshl_b64 s[8:9], s[16:17], 2
	v_mov_b32_e32 v119, 0x80
	v_bfrev_b32_e32 v115, 1
	v_mov_b32_e32 v99, 0x7f800001
	s_getpc_b64 s[24:25]
	s_add_u32 s24, s24, llvm.amdgcn.dynlds.offset.table@rel32@lo+4
	s_addc_u32 s25, s25, llvm.amdgcn.dynlds.offset.table@rel32@hi+12
	s_add_u32 s8, s24, s8
	s_mov_b32 s22, 0
	s_addc_u32 s9, s25, s9
	s_waitcnt vmcnt(0)
	v_bfe_u32 v0, v0, 1, 4
	v_lshlrev_b32_e32 v4, 4, v0
	v_add_co_u32 v4, vcc_lo, v1, v4
	v_add_co_ci_u32_e64 v5, null, 0, v3, vcc_lo
	v_mul_u32_u24_e32 v1, 0x180, v2
	v_xor_b32_e32 v3, 1, v21
	buffer_store_dword v4, off, s[0:3], s32 offset:560 ; 4-byte Folded Spill
	buffer_store_dword v5, off, s[0:3], s32 offset:564 ; 4-byte Folded Spill
	v_lshlrev_b32_e32 v4, 1, v2
	ds_read_b128 v[5:8], v1
	v_cmp_gt_i32_e32 vcc_lo, 32, v3
	s_waitcnt lgkmcnt(0)
	buffer_store_dword v5, off, s[0:3], s32 offset:568 ; 4-byte Folded Spill
	buffer_store_dword v6, off, s[0:3], s32 offset:572 ; 4-byte Folded Spill
	;; [unrolled: 1-line block ×4, first 2 shown]
	ds_read_b128 v[5:8], v1 offset:16
	v_cndmask_b32_e32 v3, v21, v3, vcc_lo
	v_cmp_eq_u32_e32 vcc_lo, 0, v2
	s_waitcnt lgkmcnt(0)
	buffer_store_dword v5, off, s[0:3], s32 offset:584 ; 4-byte Folded Spill
	buffer_store_dword v6, off, s[0:3], s32 offset:588 ; 4-byte Folded Spill
	;; [unrolled: 1-line block ×4, first 2 shown]
	ds_read_b128 v[5:8], v1 offset:32
	v_lshlrev_b32_e32 v3, 2, v3
	s_waitcnt lgkmcnt(0)
	buffer_store_dword v5, off, s[0:3], s32 offset:600 ; 4-byte Folded Spill
	buffer_store_dword v6, off, s[0:3], s32 offset:604 ; 4-byte Folded Spill
	buffer_store_dword v7, off, s[0:3], s32 offset:608 ; 4-byte Folded Spill
	buffer_store_dword v8, off, s[0:3], s32 offset:612 ; 4-byte Folded Spill
	ds_read_b128 v[5:8], v1 offset:48
	s_waitcnt lgkmcnt(0)
	buffer_store_dword v5, off, s[0:3], s32 offset:616 ; 4-byte Folded Spill
	buffer_store_dword v6, off, s[0:3], s32 offset:620 ; 4-byte Folded Spill
	buffer_store_dword v7, off, s[0:3], s32 offset:624 ; 4-byte Folded Spill
	buffer_store_dword v8, off, s[0:3], s32 offset:628 ; 4-byte Folded Spill
	ds_read_b128 v[5:8], v1 offset:64
	;; [unrolled: 6-line block ×10, first 2 shown]
	s_waitcnt lgkmcnt(0)
	buffer_store_dword v5, off, s[0:3], s32 offset:760 ; 4-byte Folded Spill
	buffer_store_dword v6, off, s[0:3], s32 offset:764 ; 4-byte Folded Spill
	;; [unrolled: 1-line block ×4, first 2 shown]
	buffer_load_dword v2, off, s[0:3], s32 offset:960 ; 4-byte Folded Reload
	buffer_store_dword v21, off, s[0:3], s32 offset:1044 ; 4-byte Folded Spill
	buffer_store_dword v3, off, s[0:3], s32 offset:776 ; 4-byte Folded Spill
	s_waitcnt vmcnt(0)
	v_cmp_neq_f32_e64 s5, 0, v2
	v_or_b32_e32 v2, 4, v4
	buffer_store_dword v2, off, s[0:3], s32 offset:196 ; 4-byte Folded Spill
	v_or_b32_e32 v2, 8, v4
	buffer_store_dword v2, off, s[0:3], s32 offset:200 ; 4-byte Folded Spill
	buffer_store_dword v4, off, s[0:3], s32 offset:192 ; 4-byte Folded Spill
	v_or_b32_e32 v2, 12, v4
	buffer_store_dword v2, off, s[0:3], s32 offset:204 ; 4-byte Folded Spill
	ds_read_b128 v[2:5], v1 offset:208
	s_waitcnt lgkmcnt(0)
	buffer_store_dword v2, off, s[0:3], s32 offset:780 ; 4-byte Folded Spill
	buffer_store_dword v3, off, s[0:3], s32 offset:784 ; 4-byte Folded Spill
	buffer_store_dword v4, off, s[0:3], s32 offset:788 ; 4-byte Folded Spill
	buffer_store_dword v5, off, s[0:3], s32 offset:792 ; 4-byte Folded Spill
	ds_read_b128 v[2:5], v1 offset:224
	s_waitcnt lgkmcnt(0)
	buffer_store_dword v2, off, s[0:3], s32 offset:796 ; 4-byte Folded Spill
	buffer_store_dword v3, off, s[0:3], s32 offset:800 ; 4-byte Folded Spill
	buffer_store_dword v4, off, s[0:3], s32 offset:804 ; 4-byte Folded Spill
	;; [unrolled: 6-line block ×11, first 2 shown]
	buffer_store_dword v4, off, s[0:3], s32 offset:952 ; 4-byte Folded Spill
	s_clause 0x1
	buffer_load_dword v3, off, s[0:3], s32 offset:208
	buffer_load_dword v4, off, s[0:3], s32 offset:212
	s_waitcnt vmcnt(1)
	v_mov_b32_e32 v5, v3
	s_waitcnt vmcnt(0)
	v_lshlrev_b64 v[1:2], 2, v[3:4]
	v_add_co_u32 v1, s6, v17, v1
	buffer_store_dword v17, off, s[0:3], s32 offset:1028 ; 4-byte Folded Spill
	buffer_store_dword v18, off, s[0:3], s32 offset:1032 ; 4-byte Folded Spill
	;; [unrolled: 1-line block ×4, first 2 shown]
	v_add_co_ci_u32_e64 v2, null, v18, v2, s6
	v_add_co_u32 v122, s6, v14, v1
	v_add_co_ci_u32_e64 v123, null, v15, v2, s6
	buffer_load_dword v2, off, s[0:3], s32 offset:968 ; 4-byte Folded Reload
	s_waitcnt vmcnt(0)
	v_lshlrev_b32_e32 v1, 4, v2
	v_add3_u32 v1, s20, v1, v0
	v_lshlrev_b32_e32 v0, 2, v0
	buffer_store_dword v1, off, s[0:3], s32 offset:528 ; 4-byte Folded Spill
	v_lshl_or_b32 v0, v2, 6, v0
	buffer_store_dword v0, off, s[0:3], s32 offset:532 ; 4-byte Folded Spill
	v_mov_b32_e32 v0, 0xff7fffff
	buffer_store_dword v0, off, s[0:3], s32 offset:556 ; 4-byte Folded Spill
	s_branch .LBB225_10
.LBB225_9:                              ;   in Loop: Header=BB225_10 Depth=1
	s_or_b32 exec_lo, exec_lo, s17
	buffer_load_dword v0, off, s[0:3], s32 offset:528 ; 4-byte Folded Reload
	s_waitcnt vmcnt(1)
	v_add_nc_u32_e32 v5, 4, v5
	v_add_co_u32 v122, s6, v122, 16
	v_add_co_ci_u32_e64 v123, null, 0, v123, s6
	s_waitcnt vmcnt(0)
	v_add_nc_u32_e32 v0, 64, v0
	buffer_store_dword v0, off, s[0:3], s32 offset:528 ; 4-byte Folded Spill
	buffer_load_dword v0, off, s[0:3], s32 offset:532 ; 4-byte Folded Reload
	s_waitcnt vmcnt(0)
	v_add_nc_u32_e32 v0, 0x100, v0
	buffer_store_dword v0, off, s[0:3], s32 offset:532 ; 4-byte Folded Spill
	buffer_load_dword v0, off, s[0:3], s32 offset:540 ; 4-byte Folded Reload
	s_waitcnt vmcnt(0)
	v_cmp_ge_i32_e64 s6, v5, v0
	s_or_b32 s22, s6, s22
	s_andn2_b32 exec_lo, exec_lo, s22
	s_cbranch_execz .LBB225_780
.LBB225_10:                             ; =>This Inner Loop Header: Depth=1
	buffer_store_dword v5, off, s[0:3], s32 offset:544 ; 4-byte Folded Spill
	flat_load_dword v0, v[122:123]
	s_waitcnt lgkmcnt(1)
	s_clause 0x2
	buffer_load_dword v1, off, s[0:3], s32 offset:536
	buffer_load_dword v2, off, s[0:3], s32 offset:560
	buffer_load_dword v3, off, s[0:3], s32 offset:564
	v_mov_b32_e32 v90, 0
	v_mov_b32_e32 v91, 0
	s_waitcnt vmcnt(0) lgkmcnt(0)
	v_mad_i64_i32 v[8:9], null, v0, v1, v[2:3]
	s_clause 0x1
	buffer_load_dword v0, off, s[0:3], s32 offset:548
	buffer_load_dword v1, off, s[0:3], s32 offset:552
	s_waitcnt vmcnt(0)
	flat_load_dword v42, v[0:1]
	buffer_load_dword v0, off, s[0:3], s32 offset:192 ; 4-byte Folded Reload
	s_waitcnt vmcnt(0)
	v_add_co_u32 v116, s6, v8, v0
	v_add_co_ci_u32_e64 v117, null, 0, v9, s6
	flat_load_ushort v1, v[116:117]
	s_waitcnt vmcnt(0) lgkmcnt(0)
	v_and_b32_e32 v0, 0xffff, v1
	v_cmp_ne_u16_sdwa s6, v1, v111 src0_sel:BYTE_0 src1_sel:DWORD
	v_mov_b32_e32 v1, 0
	v_mov_b32_e32 v2, 0
	buffer_store_dword v1, off, s[0:3], s32 offset:216 ; 4-byte Folded Spill
	buffer_store_dword v2, off, s[0:3], s32 offset:220 ; 4-byte Folded Spill
	s_and_saveexec_b32 s17, s6
	s_cbranch_execz .LBB225_18
; %bb.11:                               ;   in Loop: Header=BB225_10 Depth=1
	v_bfrev_b32_e32 v90, 1
	v_mov_b32_e32 v91, 0
	v_cmp_ne_u16_sdwa s6, v0, v119 src0_sel:BYTE_0 src1_sel:DWORD
	s_and_saveexec_b32 s23, s6
	s_cbranch_execz .LBB225_17
; %bb.12:                               ;   in Loop: Header=BB225_10 Depth=1
	v_mov_b32_e32 v90, 0x7f800001
	v_and_b32_e32 v2, 0x7f, v0
	v_mov_b32_e32 v91, 0
	s_mov_b32 s24, exec_lo
	v_cmpx_ne_u32_e32 0x7f, v2
	s_cbranch_execz .LBB225_16
; %bb.13:                               ;   in Loop: Header=BB225_10 Depth=1
	v_and_b32_e32 v110, 7, v0
	v_lshrrev_b32_e32 v1, 3, v2
	s_mov_b32 s25, exec_lo
	v_cmpx_gt_u32_e32 8, v2
; %bb.14:                               ;   in Loop: Header=BB225_10 Depth=1
	v_ffbh_u32_e32 v1, v110
	v_min_u32_e32 v1, 32, v1
	v_subrev_nc_u32_e32 v2, 28, v1
	v_sub_nc_u32_e32 v1, 29, v1
	v_lshlrev_b64 v[2:3], v2, v[110:111]
	v_and_b32_e32 v110, 7, v2
; %bb.15:                               ;   in Loop: Header=BB225_10 Depth=1
	s_or_b32 exec_lo, exec_lo, s25
	v_lshlrev_b32_e32 v2, 24, v0
	v_lshlrev_b32_e32 v3, 20, v110
	v_lshl_add_u32 v1, v1, 23, 0x3c000000
	v_and_b32_e32 v2, 0x80000000, v2
	v_or3_b32 v110, v3, v2, v1
	v_mov_b32_e32 v90, v110
	v_mov_b32_e32 v91, v111
.LBB225_16:                             ;   in Loop: Header=BB225_10 Depth=1
	s_or_b32 exec_lo, exec_lo, s24
.LBB225_17:                             ;   in Loop: Header=BB225_10 Depth=1
	s_or_b32 exec_lo, exec_lo, s23
.LBB225_18:                             ;   in Loop: Header=BB225_10 Depth=1
	s_or_b32 exec_lo, exec_lo, s17
	v_cmp_ne_u16_sdwa s6, v0, v111 src0_sel:BYTE_1 src1_sel:DWORD
	s_and_saveexec_b32 s17, s6
	s_cbranch_execz .LBB225_26
; %bb.19:                               ;   in Loop: Header=BB225_10 Depth=1
	v_mov_b32_e32 v114, v111
	v_cmp_ne_u16_sdwa s6, v0, v119 src0_sel:BYTE_1 src1_sel:DWORD
	buffer_store_dword v114, off, s[0:3], s32 offset:216 ; 4-byte Folded Spill
	buffer_store_dword v115, off, s[0:3], s32 offset:220 ; 4-byte Folded Spill
	s_and_saveexec_b32 s23, s6
	s_cbranch_execz .LBB225_25
; %bb.20:                               ;   in Loop: Header=BB225_10 Depth=1
	v_mov_b32_e32 v1, 0xffff
	v_mov_b32_e32 v98, v111
	s_mov_b32 s24, exec_lo
	buffer_store_dword v98, off, s[0:3], s32 offset:216 ; 4-byte Folded Spill
	buffer_store_dword v99, off, s[0:3], s32 offset:220 ; 4-byte Folded Spill
	v_and_b32_sdwa v1, v1, v0 dst_sel:DWORD dst_unused:UNUSED_PAD src0_sel:DWORD src1_sel:BYTE_1
	v_and_b32_e32 v2, 0x7f, v1
	v_cmpx_ne_u32_e32 0x7f, v2
	s_cbranch_execz .LBB225_24
; %bb.21:                               ;   in Loop: Header=BB225_10 Depth=1
	v_and_b32_e32 v110, 7, v1
	v_lshrrev_b32_e32 v1, 3, v2
	s_mov_b32 s25, exec_lo
	v_cmpx_gt_u32_e32 8, v2
; %bb.22:                               ;   in Loop: Header=BB225_10 Depth=1
	v_ffbh_u32_e32 v1, v110
	v_min_u32_e32 v1, 32, v1
	v_subrev_nc_u32_e32 v2, 28, v1
	v_sub_nc_u32_e32 v1, 29, v1
	v_lshlrev_b64 v[2:3], v2, v[110:111]
	v_and_b32_e32 v110, 7, v2
; %bb.23:                               ;   in Loop: Header=BB225_10 Depth=1
	s_or_b32 exec_lo, exec_lo, s25
	v_lshlrev_b32_e32 v0, 16, v0
	v_lshlrev_b32_e32 v2, 20, v110
	v_lshl_add_u32 v1, v1, 23, 0x3c000000
	v_and_b32_e32 v0, 0x80000000, v0
	v_or3_b32 v1, v2, v0, v1
	v_mov_b32_e32 v0, v111
	buffer_store_dword v0, off, s[0:3], s32 offset:216 ; 4-byte Folded Spill
	buffer_store_dword v1, off, s[0:3], s32 offset:220 ; 4-byte Folded Spill
.LBB225_24:                             ;   in Loop: Header=BB225_10 Depth=1
	s_or_b32 exec_lo, exec_lo, s24
.LBB225_25:                             ;   in Loop: Header=BB225_10 Depth=1
	s_or_b32 exec_lo, exec_lo, s23
.LBB225_26:                             ;   in Loop: Header=BB225_10 Depth=1
	s_or_b32 exec_lo, exec_lo, s17
	flat_load_ushort v1, v[116:117] offset:4
	s_waitcnt vmcnt(0) lgkmcnt(0)
	v_and_b32_e32 v0, 0xffff, v1
	v_cmp_ne_u16_sdwa s6, v1, v111 src0_sel:BYTE_0 src1_sel:DWORD
	v_mov_b32_e32 v1, 0
	v_mov_b32_e32 v2, 0
	buffer_store_dword v1, off, s[0:3], s32 offset:232 ; 4-byte Folded Spill
	buffer_store_dword v2, off, s[0:3], s32 offset:236 ; 4-byte Folded Spill
	v_mov_b32_e32 v1, 0
	v_mov_b32_e32 v2, 0
	buffer_store_dword v1, off, s[0:3], s32 offset:224 ; 4-byte Folded Spill
	buffer_store_dword v2, off, s[0:3], s32 offset:228 ; 4-byte Folded Spill
	s_and_saveexec_b32 s17, s6
	s_cbranch_execz .LBB225_34
; %bb.27:                               ;   in Loop: Header=BB225_10 Depth=1
	v_bfrev_b32_e32 v1, 1
	v_mov_b32_e32 v2, 0
	v_cmp_ne_u16_sdwa s6, v0, v119 src0_sel:BYTE_0 src1_sel:DWORD
	buffer_store_dword v1, off, s[0:3], s32 offset:224 ; 4-byte Folded Spill
	buffer_store_dword v2, off, s[0:3], s32 offset:228 ; 4-byte Folded Spill
	s_and_saveexec_b32 s23, s6
	s_cbranch_execz .LBB225_33
; %bb.28:                               ;   in Loop: Header=BB225_10 Depth=1
	v_mov_b32_e32 v3, 0x7f800001
	v_and_b32_e32 v2, 0x7f, v0
	v_mov_b32_e32 v4, 0
	s_mov_b32 s24, exec_lo
	buffer_store_dword v3, off, s[0:3], s32 offset:224 ; 4-byte Folded Spill
	buffer_store_dword v4, off, s[0:3], s32 offset:228 ; 4-byte Folded Spill
	v_cmpx_ne_u32_e32 0x7f, v2
	s_cbranch_execz .LBB225_32
; %bb.29:                               ;   in Loop: Header=BB225_10 Depth=1
	v_and_b32_e32 v110, 7, v0
	v_lshrrev_b32_e32 v1, 3, v2
	s_mov_b32 s25, exec_lo
	v_cmpx_gt_u32_e32 8, v2
; %bb.30:                               ;   in Loop: Header=BB225_10 Depth=1
	v_ffbh_u32_e32 v1, v110
	v_min_u32_e32 v1, 32, v1
	v_subrev_nc_u32_e32 v2, 28, v1
	v_sub_nc_u32_e32 v1, 29, v1
	v_lshlrev_b64 v[2:3], v2, v[110:111]
	v_and_b32_e32 v110, 7, v2
; %bb.31:                               ;   in Loop: Header=BB225_10 Depth=1
	s_or_b32 exec_lo, exec_lo, s25
	v_lshlrev_b32_e32 v2, 24, v0
	v_lshlrev_b32_e32 v3, 20, v110
	v_lshl_add_u32 v1, v1, 23, 0x3c000000
	v_and_b32_e32 v2, 0x80000000, v2
	v_or3_b32 v110, v3, v2, v1
	buffer_store_dword v110, off, s[0:3], s32 offset:224 ; 4-byte Folded Spill
	buffer_store_dword v111, off, s[0:3], s32 offset:228 ; 4-byte Folded Spill
.LBB225_32:                             ;   in Loop: Header=BB225_10 Depth=1
	s_or_b32 exec_lo, exec_lo, s24
.LBB225_33:                             ;   in Loop: Header=BB225_10 Depth=1
	s_or_b32 exec_lo, exec_lo, s23
.LBB225_34:                             ;   in Loop: Header=BB225_10 Depth=1
	s_or_b32 exec_lo, exec_lo, s17
	v_cmp_ne_u16_sdwa s6, v0, v111 src0_sel:BYTE_1 src1_sel:DWORD
	s_and_saveexec_b32 s17, s6
	s_cbranch_execz .LBB225_42
; %bb.35:                               ;   in Loop: Header=BB225_10 Depth=1
	v_mov_b32_e32 v114, v111
	v_cmp_ne_u16_sdwa s6, v0, v119 src0_sel:BYTE_1 src1_sel:DWORD
	buffer_store_dword v114, off, s[0:3], s32 offset:232 ; 4-byte Folded Spill
	buffer_store_dword v115, off, s[0:3], s32 offset:236 ; 4-byte Folded Spill
	s_and_saveexec_b32 s23, s6
	s_cbranch_execz .LBB225_41
; %bb.36:                               ;   in Loop: Header=BB225_10 Depth=1
	v_mov_b32_e32 v1, 0xffff
	v_mov_b32_e32 v98, v111
	s_mov_b32 s24, exec_lo
	buffer_store_dword v98, off, s[0:3], s32 offset:232 ; 4-byte Folded Spill
	buffer_store_dword v99, off, s[0:3], s32 offset:236 ; 4-byte Folded Spill
	v_and_b32_sdwa v1, v1, v0 dst_sel:DWORD dst_unused:UNUSED_PAD src0_sel:DWORD src1_sel:BYTE_1
	v_and_b32_e32 v2, 0x7f, v1
	v_cmpx_ne_u32_e32 0x7f, v2
	s_cbranch_execz .LBB225_40
; %bb.37:                               ;   in Loop: Header=BB225_10 Depth=1
	v_and_b32_e32 v110, 7, v1
	v_lshrrev_b32_e32 v1, 3, v2
	s_mov_b32 s25, exec_lo
	v_cmpx_gt_u32_e32 8, v2
; %bb.38:                               ;   in Loop: Header=BB225_10 Depth=1
	v_ffbh_u32_e32 v1, v110
	v_min_u32_e32 v1, 32, v1
	v_subrev_nc_u32_e32 v2, 28, v1
	v_sub_nc_u32_e32 v1, 29, v1
	v_lshlrev_b64 v[2:3], v2, v[110:111]
	v_and_b32_e32 v110, 7, v2
; %bb.39:                               ;   in Loop: Header=BB225_10 Depth=1
	s_or_b32 exec_lo, exec_lo, s25
	v_lshlrev_b32_e32 v0, 16, v0
	v_lshlrev_b32_e32 v2, 20, v110
	v_lshl_add_u32 v1, v1, 23, 0x3c000000
	v_and_b32_e32 v0, 0x80000000, v0
	v_or3_b32 v1, v2, v0, v1
	v_mov_b32_e32 v0, v111
	buffer_store_dword v0, off, s[0:3], s32 offset:232 ; 4-byte Folded Spill
	buffer_store_dword v1, off, s[0:3], s32 offset:236 ; 4-byte Folded Spill
.LBB225_40:                             ;   in Loop: Header=BB225_10 Depth=1
	s_or_b32 exec_lo, exec_lo, s24
.LBB225_41:                             ;   in Loop: Header=BB225_10 Depth=1
	s_or_b32 exec_lo, exec_lo, s23
.LBB225_42:                             ;   in Loop: Header=BB225_10 Depth=1
	s_or_b32 exec_lo, exec_lo, s17
	flat_load_ushort v1, v[116:117] offset:8
	s_waitcnt vmcnt(0) lgkmcnt(0)
	v_and_b32_e32 v0, 0xffff, v1
	v_cmp_ne_u16_sdwa s6, v1, v111 src0_sel:BYTE_0 src1_sel:DWORD
	v_mov_b32_e32 v1, 0
	v_mov_b32_e32 v2, 0
	buffer_store_dword v1, off, s[0:3], s32 offset:248 ; 4-byte Folded Spill
	buffer_store_dword v2, off, s[0:3], s32 offset:252 ; 4-byte Folded Spill
	v_mov_b32_e32 v1, 0
	v_mov_b32_e32 v2, 0
	buffer_store_dword v1, off, s[0:3], s32 offset:240 ; 4-byte Folded Spill
	buffer_store_dword v2, off, s[0:3], s32 offset:244 ; 4-byte Folded Spill
	s_and_saveexec_b32 s17, s6
	s_cbranch_execz .LBB225_50
; %bb.43:                               ;   in Loop: Header=BB225_10 Depth=1
	v_bfrev_b32_e32 v1, 1
	v_mov_b32_e32 v2, 0
	v_cmp_ne_u16_sdwa s6, v0, v119 src0_sel:BYTE_0 src1_sel:DWORD
	buffer_store_dword v1, off, s[0:3], s32 offset:240 ; 4-byte Folded Spill
	buffer_store_dword v2, off, s[0:3], s32 offset:244 ; 4-byte Folded Spill
	s_and_saveexec_b32 s23, s6
	s_cbranch_execz .LBB225_49
; %bb.44:                               ;   in Loop: Header=BB225_10 Depth=1
	v_mov_b32_e32 v3, 0x7f800001
	v_and_b32_e32 v2, 0x7f, v0
	v_mov_b32_e32 v4, 0
	s_mov_b32 s24, exec_lo
	buffer_store_dword v3, off, s[0:3], s32 offset:240 ; 4-byte Folded Spill
	buffer_store_dword v4, off, s[0:3], s32 offset:244 ; 4-byte Folded Spill
	v_cmpx_ne_u32_e32 0x7f, v2
	s_cbranch_execz .LBB225_48
; %bb.45:                               ;   in Loop: Header=BB225_10 Depth=1
	v_and_b32_e32 v110, 7, v0
	v_lshrrev_b32_e32 v1, 3, v2
	s_mov_b32 s25, exec_lo
	v_cmpx_gt_u32_e32 8, v2
; %bb.46:                               ;   in Loop: Header=BB225_10 Depth=1
	v_ffbh_u32_e32 v1, v110
	v_min_u32_e32 v1, 32, v1
	v_subrev_nc_u32_e32 v2, 28, v1
	v_sub_nc_u32_e32 v1, 29, v1
	v_lshlrev_b64 v[2:3], v2, v[110:111]
	v_and_b32_e32 v110, 7, v2
; %bb.47:                               ;   in Loop: Header=BB225_10 Depth=1
	s_or_b32 exec_lo, exec_lo, s25
	v_lshlrev_b32_e32 v2, 24, v0
	v_lshlrev_b32_e32 v3, 20, v110
	v_lshl_add_u32 v1, v1, 23, 0x3c000000
	v_and_b32_e32 v2, 0x80000000, v2
	v_or3_b32 v110, v3, v2, v1
	buffer_store_dword v110, off, s[0:3], s32 offset:240 ; 4-byte Folded Spill
	buffer_store_dword v111, off, s[0:3], s32 offset:244 ; 4-byte Folded Spill
.LBB225_48:                             ;   in Loop: Header=BB225_10 Depth=1
	s_or_b32 exec_lo, exec_lo, s24
.LBB225_49:                             ;   in Loop: Header=BB225_10 Depth=1
	s_or_b32 exec_lo, exec_lo, s23
.LBB225_50:                             ;   in Loop: Header=BB225_10 Depth=1
	s_or_b32 exec_lo, exec_lo, s17
	v_cmp_ne_u16_sdwa s6, v0, v111 src0_sel:BYTE_1 src1_sel:DWORD
	s_and_saveexec_b32 s17, s6
	s_cbranch_execz .LBB225_58
; %bb.51:                               ;   in Loop: Header=BB225_10 Depth=1
	v_mov_b32_e32 v114, v111
	v_cmp_ne_u16_sdwa s6, v0, v119 src0_sel:BYTE_1 src1_sel:DWORD
	buffer_store_dword v114, off, s[0:3], s32 offset:248 ; 4-byte Folded Spill
	buffer_store_dword v115, off, s[0:3], s32 offset:252 ; 4-byte Folded Spill
	s_and_saveexec_b32 s23, s6
	s_cbranch_execz .LBB225_57
; %bb.52:                               ;   in Loop: Header=BB225_10 Depth=1
	v_mov_b32_e32 v1, 0xffff
	v_mov_b32_e32 v98, v111
	s_mov_b32 s24, exec_lo
	buffer_store_dword v98, off, s[0:3], s32 offset:248 ; 4-byte Folded Spill
	buffer_store_dword v99, off, s[0:3], s32 offset:252 ; 4-byte Folded Spill
	v_and_b32_sdwa v1, v1, v0 dst_sel:DWORD dst_unused:UNUSED_PAD src0_sel:DWORD src1_sel:BYTE_1
	v_and_b32_e32 v2, 0x7f, v1
	v_cmpx_ne_u32_e32 0x7f, v2
	s_cbranch_execz .LBB225_56
; %bb.53:                               ;   in Loop: Header=BB225_10 Depth=1
	v_and_b32_e32 v110, 7, v1
	v_lshrrev_b32_e32 v1, 3, v2
	s_mov_b32 s25, exec_lo
	v_cmpx_gt_u32_e32 8, v2
; %bb.54:                               ;   in Loop: Header=BB225_10 Depth=1
	v_ffbh_u32_e32 v1, v110
	v_min_u32_e32 v1, 32, v1
	v_subrev_nc_u32_e32 v2, 28, v1
	v_sub_nc_u32_e32 v1, 29, v1
	v_lshlrev_b64 v[2:3], v2, v[110:111]
	v_and_b32_e32 v110, 7, v2
; %bb.55:                               ;   in Loop: Header=BB225_10 Depth=1
	s_or_b32 exec_lo, exec_lo, s25
	v_lshlrev_b32_e32 v0, 16, v0
	v_lshlrev_b32_e32 v2, 20, v110
	v_lshl_add_u32 v1, v1, 23, 0x3c000000
	v_and_b32_e32 v0, 0x80000000, v0
	v_or3_b32 v1, v2, v0, v1
	v_mov_b32_e32 v0, v111
	buffer_store_dword v0, off, s[0:3], s32 offset:248 ; 4-byte Folded Spill
	buffer_store_dword v1, off, s[0:3], s32 offset:252 ; 4-byte Folded Spill
.LBB225_56:                             ;   in Loop: Header=BB225_10 Depth=1
	s_or_b32 exec_lo, exec_lo, s24
.LBB225_57:                             ;   in Loop: Header=BB225_10 Depth=1
	s_or_b32 exec_lo, exec_lo, s23
.LBB225_58:                             ;   in Loop: Header=BB225_10 Depth=1
	s_or_b32 exec_lo, exec_lo, s17
	flat_load_ushort v1, v[116:117] offset:12
	s_waitcnt vmcnt(0) lgkmcnt(0)
	v_and_b32_e32 v0, 0xffff, v1
	v_cmp_ne_u16_sdwa s6, v1, v111 src0_sel:BYTE_0 src1_sel:DWORD
	v_mov_b32_e32 v1, 0
	v_mov_b32_e32 v2, 0
	buffer_store_dword v1, off, s[0:3], s32 offset:264 ; 4-byte Folded Spill
	buffer_store_dword v2, off, s[0:3], s32 offset:268 ; 4-byte Folded Spill
	v_mov_b32_e32 v1, 0
	v_mov_b32_e32 v2, 0
	buffer_store_dword v1, off, s[0:3], s32 offset:256 ; 4-byte Folded Spill
	buffer_store_dword v2, off, s[0:3], s32 offset:260 ; 4-byte Folded Spill
	s_and_saveexec_b32 s17, s6
	s_cbranch_execz .LBB225_66
; %bb.59:                               ;   in Loop: Header=BB225_10 Depth=1
	v_bfrev_b32_e32 v1, 1
	v_mov_b32_e32 v2, 0
	v_cmp_ne_u16_sdwa s6, v0, v119 src0_sel:BYTE_0 src1_sel:DWORD
	buffer_store_dword v1, off, s[0:3], s32 offset:256 ; 4-byte Folded Spill
	buffer_store_dword v2, off, s[0:3], s32 offset:260 ; 4-byte Folded Spill
	s_and_saveexec_b32 s23, s6
	s_cbranch_execz .LBB225_65
; %bb.60:                               ;   in Loop: Header=BB225_10 Depth=1
	v_mov_b32_e32 v3, 0x7f800001
	v_and_b32_e32 v2, 0x7f, v0
	v_mov_b32_e32 v4, 0
	s_mov_b32 s24, exec_lo
	buffer_store_dword v3, off, s[0:3], s32 offset:256 ; 4-byte Folded Spill
	buffer_store_dword v4, off, s[0:3], s32 offset:260 ; 4-byte Folded Spill
	v_cmpx_ne_u32_e32 0x7f, v2
	s_cbranch_execz .LBB225_64
; %bb.61:                               ;   in Loop: Header=BB225_10 Depth=1
	v_and_b32_e32 v110, 7, v0
	v_lshrrev_b32_e32 v1, 3, v2
	s_mov_b32 s25, exec_lo
	v_cmpx_gt_u32_e32 8, v2
; %bb.62:                               ;   in Loop: Header=BB225_10 Depth=1
	v_ffbh_u32_e32 v1, v110
	v_min_u32_e32 v1, 32, v1
	v_subrev_nc_u32_e32 v2, 28, v1
	v_sub_nc_u32_e32 v1, 29, v1
	v_lshlrev_b64 v[2:3], v2, v[110:111]
	v_and_b32_e32 v110, 7, v2
; %bb.63:                               ;   in Loop: Header=BB225_10 Depth=1
	s_or_b32 exec_lo, exec_lo, s25
	v_lshlrev_b32_e32 v2, 24, v0
	v_lshlrev_b32_e32 v3, 20, v110
	v_lshl_add_u32 v1, v1, 23, 0x3c000000
	v_and_b32_e32 v2, 0x80000000, v2
	v_or3_b32 v110, v3, v2, v1
	buffer_store_dword v110, off, s[0:3], s32 offset:256 ; 4-byte Folded Spill
	buffer_store_dword v111, off, s[0:3], s32 offset:260 ; 4-byte Folded Spill
.LBB225_64:                             ;   in Loop: Header=BB225_10 Depth=1
	s_or_b32 exec_lo, exec_lo, s24
.LBB225_65:                             ;   in Loop: Header=BB225_10 Depth=1
	s_or_b32 exec_lo, exec_lo, s23
.LBB225_66:                             ;   in Loop: Header=BB225_10 Depth=1
	s_or_b32 exec_lo, exec_lo, s17
	v_cmp_ne_u16_sdwa s6, v0, v111 src0_sel:BYTE_1 src1_sel:DWORD
	s_and_saveexec_b32 s17, s6
	s_cbranch_execz .LBB225_74
; %bb.67:                               ;   in Loop: Header=BB225_10 Depth=1
	v_mov_b32_e32 v114, v111
	v_cmp_ne_u16_sdwa s6, v0, v119 src0_sel:BYTE_1 src1_sel:DWORD
	buffer_store_dword v114, off, s[0:3], s32 offset:264 ; 4-byte Folded Spill
	buffer_store_dword v115, off, s[0:3], s32 offset:268 ; 4-byte Folded Spill
	s_and_saveexec_b32 s23, s6
	s_cbranch_execz .LBB225_73
; %bb.68:                               ;   in Loop: Header=BB225_10 Depth=1
	v_mov_b32_e32 v1, 0xffff
	v_mov_b32_e32 v98, v111
	s_mov_b32 s24, exec_lo
	buffer_store_dword v98, off, s[0:3], s32 offset:264 ; 4-byte Folded Spill
	buffer_store_dword v99, off, s[0:3], s32 offset:268 ; 4-byte Folded Spill
	v_and_b32_sdwa v1, v1, v0 dst_sel:DWORD dst_unused:UNUSED_PAD src0_sel:DWORD src1_sel:BYTE_1
	v_and_b32_e32 v2, 0x7f, v1
	v_cmpx_ne_u32_e32 0x7f, v2
	s_cbranch_execz .LBB225_72
; %bb.69:                               ;   in Loop: Header=BB225_10 Depth=1
	v_and_b32_e32 v110, 7, v1
	v_lshrrev_b32_e32 v1, 3, v2
	s_mov_b32 s25, exec_lo
	v_cmpx_gt_u32_e32 8, v2
; %bb.70:                               ;   in Loop: Header=BB225_10 Depth=1
	v_ffbh_u32_e32 v1, v110
	v_min_u32_e32 v1, 32, v1
	v_subrev_nc_u32_e32 v2, 28, v1
	v_sub_nc_u32_e32 v1, 29, v1
	v_lshlrev_b64 v[2:3], v2, v[110:111]
	v_and_b32_e32 v110, 7, v2
; %bb.71:                               ;   in Loop: Header=BB225_10 Depth=1
	s_or_b32 exec_lo, exec_lo, s25
	v_lshlrev_b32_e32 v0, 16, v0
	v_lshlrev_b32_e32 v2, 20, v110
	v_lshl_add_u32 v1, v1, 23, 0x3c000000
	v_and_b32_e32 v0, 0x80000000, v0
	v_or3_b32 v1, v2, v0, v1
	v_mov_b32_e32 v0, v111
	buffer_store_dword v0, off, s[0:3], s32 offset:264 ; 4-byte Folded Spill
	buffer_store_dword v1, off, s[0:3], s32 offset:268 ; 4-byte Folded Spill
.LBB225_72:                             ;   in Loop: Header=BB225_10 Depth=1
	s_or_b32 exec_lo, exec_lo, s24
.LBB225_73:                             ;   in Loop: Header=BB225_10 Depth=1
	s_or_b32 exec_lo, exec_lo, s23
.LBB225_74:                             ;   in Loop: Header=BB225_10 Depth=1
	s_or_b32 exec_lo, exec_lo, s17
	flat_load_ushort v1, v[116:117] offset:256
	s_waitcnt vmcnt(0) lgkmcnt(0)
	v_and_b32_e32 v0, 0xffff, v1
	v_cmp_ne_u16_sdwa s6, v1, v111 src0_sel:BYTE_0 src1_sel:DWORD
	v_mov_b32_e32 v1, 0
	v_mov_b32_e32 v2, 0
	buffer_store_dword v1, off, s[0:3], s32 offset:280 ; 4-byte Folded Spill
	buffer_store_dword v2, off, s[0:3], s32 offset:284 ; 4-byte Folded Spill
	v_mov_b32_e32 v1, 0
	v_mov_b32_e32 v2, 0
	buffer_store_dword v1, off, s[0:3], s32 offset:272 ; 4-byte Folded Spill
	buffer_store_dword v2, off, s[0:3], s32 offset:276 ; 4-byte Folded Spill
	s_and_saveexec_b32 s17, s6
	s_cbranch_execz .LBB225_82
; %bb.75:                               ;   in Loop: Header=BB225_10 Depth=1
	v_bfrev_b32_e32 v1, 1
	v_mov_b32_e32 v2, 0
	v_cmp_ne_u16_sdwa s6, v0, v119 src0_sel:BYTE_0 src1_sel:DWORD
	buffer_store_dword v1, off, s[0:3], s32 offset:272 ; 4-byte Folded Spill
	buffer_store_dword v2, off, s[0:3], s32 offset:276 ; 4-byte Folded Spill
	s_and_saveexec_b32 s23, s6
	s_cbranch_execz .LBB225_81
; %bb.76:                               ;   in Loop: Header=BB225_10 Depth=1
	v_mov_b32_e32 v3, 0x7f800001
	v_and_b32_e32 v2, 0x7f, v0
	v_mov_b32_e32 v4, 0
	s_mov_b32 s24, exec_lo
	buffer_store_dword v3, off, s[0:3], s32 offset:272 ; 4-byte Folded Spill
	buffer_store_dword v4, off, s[0:3], s32 offset:276 ; 4-byte Folded Spill
	v_cmpx_ne_u32_e32 0x7f, v2
	s_cbranch_execz .LBB225_80
; %bb.77:                               ;   in Loop: Header=BB225_10 Depth=1
	v_and_b32_e32 v110, 7, v0
	v_lshrrev_b32_e32 v1, 3, v2
	s_mov_b32 s25, exec_lo
	v_cmpx_gt_u32_e32 8, v2
; %bb.78:                               ;   in Loop: Header=BB225_10 Depth=1
	v_ffbh_u32_e32 v1, v110
	v_min_u32_e32 v1, 32, v1
	v_subrev_nc_u32_e32 v2, 28, v1
	v_sub_nc_u32_e32 v1, 29, v1
	v_lshlrev_b64 v[2:3], v2, v[110:111]
	v_and_b32_e32 v110, 7, v2
; %bb.79:                               ;   in Loop: Header=BB225_10 Depth=1
	s_or_b32 exec_lo, exec_lo, s25
	v_lshlrev_b32_e32 v2, 24, v0
	v_lshlrev_b32_e32 v3, 20, v110
	v_lshl_add_u32 v1, v1, 23, 0x3c000000
	v_and_b32_e32 v2, 0x80000000, v2
	v_or3_b32 v110, v3, v2, v1
	buffer_store_dword v110, off, s[0:3], s32 offset:272 ; 4-byte Folded Spill
	buffer_store_dword v111, off, s[0:3], s32 offset:276 ; 4-byte Folded Spill
.LBB225_80:                             ;   in Loop: Header=BB225_10 Depth=1
	s_or_b32 exec_lo, exec_lo, s24
.LBB225_81:                             ;   in Loop: Header=BB225_10 Depth=1
	s_or_b32 exec_lo, exec_lo, s23
.LBB225_82:                             ;   in Loop: Header=BB225_10 Depth=1
	s_or_b32 exec_lo, exec_lo, s17
	v_cmp_ne_u16_sdwa s6, v0, v111 src0_sel:BYTE_1 src1_sel:DWORD
	s_and_saveexec_b32 s17, s6
	s_cbranch_execz .LBB225_90
; %bb.83:                               ;   in Loop: Header=BB225_10 Depth=1
	v_mov_b32_e32 v114, v111
	v_cmp_ne_u16_sdwa s6, v0, v119 src0_sel:BYTE_1 src1_sel:DWORD
	buffer_store_dword v114, off, s[0:3], s32 offset:280 ; 4-byte Folded Spill
	buffer_store_dword v115, off, s[0:3], s32 offset:284 ; 4-byte Folded Spill
	s_and_saveexec_b32 s23, s6
	s_cbranch_execz .LBB225_89
; %bb.84:                               ;   in Loop: Header=BB225_10 Depth=1
	v_mov_b32_e32 v1, 0xffff
	v_mov_b32_e32 v98, v111
	s_mov_b32 s24, exec_lo
	buffer_store_dword v98, off, s[0:3], s32 offset:280 ; 4-byte Folded Spill
	buffer_store_dword v99, off, s[0:3], s32 offset:284 ; 4-byte Folded Spill
	v_and_b32_sdwa v1, v1, v0 dst_sel:DWORD dst_unused:UNUSED_PAD src0_sel:DWORD src1_sel:BYTE_1
	v_and_b32_e32 v2, 0x7f, v1
	v_cmpx_ne_u32_e32 0x7f, v2
	s_cbranch_execz .LBB225_88
; %bb.85:                               ;   in Loop: Header=BB225_10 Depth=1
	v_and_b32_e32 v110, 7, v1
	v_lshrrev_b32_e32 v1, 3, v2
	s_mov_b32 s25, exec_lo
	v_cmpx_gt_u32_e32 8, v2
; %bb.86:                               ;   in Loop: Header=BB225_10 Depth=1
	v_ffbh_u32_e32 v1, v110
	v_min_u32_e32 v1, 32, v1
	v_subrev_nc_u32_e32 v2, 28, v1
	v_sub_nc_u32_e32 v1, 29, v1
	v_lshlrev_b64 v[2:3], v2, v[110:111]
	v_and_b32_e32 v110, 7, v2
; %bb.87:                               ;   in Loop: Header=BB225_10 Depth=1
	s_or_b32 exec_lo, exec_lo, s25
	v_lshlrev_b32_e32 v0, 16, v0
	v_lshlrev_b32_e32 v2, 20, v110
	v_lshl_add_u32 v1, v1, 23, 0x3c000000
	v_and_b32_e32 v0, 0x80000000, v0
	v_or3_b32 v1, v2, v0, v1
	v_mov_b32_e32 v0, v111
	buffer_store_dword v0, off, s[0:3], s32 offset:280 ; 4-byte Folded Spill
	buffer_store_dword v1, off, s[0:3], s32 offset:284 ; 4-byte Folded Spill
.LBB225_88:                             ;   in Loop: Header=BB225_10 Depth=1
	s_or_b32 exec_lo, exec_lo, s24
.LBB225_89:                             ;   in Loop: Header=BB225_10 Depth=1
	s_or_b32 exec_lo, exec_lo, s23
.LBB225_90:                             ;   in Loop: Header=BB225_10 Depth=1
	s_or_b32 exec_lo, exec_lo, s17
	flat_load_ushort v1, v[116:117] offset:260
	s_waitcnt vmcnt(0) lgkmcnt(0)
	v_and_b32_e32 v0, 0xffff, v1
	v_cmp_ne_u16_sdwa s6, v1, v111 src0_sel:BYTE_0 src1_sel:DWORD
	v_mov_b32_e32 v1, 0
	v_mov_b32_e32 v2, 0
	buffer_store_dword v1, off, s[0:3], s32 offset:296 ; 4-byte Folded Spill
	buffer_store_dword v2, off, s[0:3], s32 offset:300 ; 4-byte Folded Spill
	v_mov_b32_e32 v1, 0
	v_mov_b32_e32 v2, 0
	buffer_store_dword v1, off, s[0:3], s32 offset:288 ; 4-byte Folded Spill
	buffer_store_dword v2, off, s[0:3], s32 offset:292 ; 4-byte Folded Spill
	s_and_saveexec_b32 s17, s6
	s_cbranch_execz .LBB225_98
; %bb.91:                               ;   in Loop: Header=BB225_10 Depth=1
	v_bfrev_b32_e32 v1, 1
	v_mov_b32_e32 v2, 0
	v_cmp_ne_u16_sdwa s6, v0, v119 src0_sel:BYTE_0 src1_sel:DWORD
	buffer_store_dword v1, off, s[0:3], s32 offset:288 ; 4-byte Folded Spill
	buffer_store_dword v2, off, s[0:3], s32 offset:292 ; 4-byte Folded Spill
	s_and_saveexec_b32 s23, s6
	s_cbranch_execz .LBB225_97
; %bb.92:                               ;   in Loop: Header=BB225_10 Depth=1
	v_mov_b32_e32 v3, 0x7f800001
	v_and_b32_e32 v2, 0x7f, v0
	v_mov_b32_e32 v4, 0
	s_mov_b32 s24, exec_lo
	buffer_store_dword v3, off, s[0:3], s32 offset:288 ; 4-byte Folded Spill
	buffer_store_dword v4, off, s[0:3], s32 offset:292 ; 4-byte Folded Spill
	v_cmpx_ne_u32_e32 0x7f, v2
	s_cbranch_execz .LBB225_96
; %bb.93:                               ;   in Loop: Header=BB225_10 Depth=1
	v_and_b32_e32 v110, 7, v0
	v_lshrrev_b32_e32 v1, 3, v2
	s_mov_b32 s25, exec_lo
	v_cmpx_gt_u32_e32 8, v2
; %bb.94:                               ;   in Loop: Header=BB225_10 Depth=1
	v_ffbh_u32_e32 v1, v110
	v_min_u32_e32 v1, 32, v1
	v_subrev_nc_u32_e32 v2, 28, v1
	v_sub_nc_u32_e32 v1, 29, v1
	v_lshlrev_b64 v[2:3], v2, v[110:111]
	v_and_b32_e32 v110, 7, v2
; %bb.95:                               ;   in Loop: Header=BB225_10 Depth=1
	s_or_b32 exec_lo, exec_lo, s25
	v_lshlrev_b32_e32 v2, 24, v0
	v_lshlrev_b32_e32 v3, 20, v110
	v_lshl_add_u32 v1, v1, 23, 0x3c000000
	v_and_b32_e32 v2, 0x80000000, v2
	v_or3_b32 v110, v3, v2, v1
	buffer_store_dword v110, off, s[0:3], s32 offset:288 ; 4-byte Folded Spill
	buffer_store_dword v111, off, s[0:3], s32 offset:292 ; 4-byte Folded Spill
.LBB225_96:                             ;   in Loop: Header=BB225_10 Depth=1
	s_or_b32 exec_lo, exec_lo, s24
.LBB225_97:                             ;   in Loop: Header=BB225_10 Depth=1
	s_or_b32 exec_lo, exec_lo, s23
.LBB225_98:                             ;   in Loop: Header=BB225_10 Depth=1
	s_or_b32 exec_lo, exec_lo, s17
	v_cmp_ne_u16_sdwa s6, v0, v111 src0_sel:BYTE_1 src1_sel:DWORD
	s_and_saveexec_b32 s17, s6
	s_cbranch_execz .LBB225_106
; %bb.99:                               ;   in Loop: Header=BB225_10 Depth=1
	v_mov_b32_e32 v114, v111
	v_cmp_ne_u16_sdwa s6, v0, v119 src0_sel:BYTE_1 src1_sel:DWORD
	buffer_store_dword v114, off, s[0:3], s32 offset:296 ; 4-byte Folded Spill
	buffer_store_dword v115, off, s[0:3], s32 offset:300 ; 4-byte Folded Spill
	s_and_saveexec_b32 s23, s6
	s_cbranch_execz .LBB225_105
; %bb.100:                              ;   in Loop: Header=BB225_10 Depth=1
	v_mov_b32_e32 v1, 0xffff
	v_mov_b32_e32 v98, v111
	s_mov_b32 s24, exec_lo
	buffer_store_dword v98, off, s[0:3], s32 offset:296 ; 4-byte Folded Spill
	buffer_store_dword v99, off, s[0:3], s32 offset:300 ; 4-byte Folded Spill
	v_and_b32_sdwa v1, v1, v0 dst_sel:DWORD dst_unused:UNUSED_PAD src0_sel:DWORD src1_sel:BYTE_1
	v_and_b32_e32 v2, 0x7f, v1
	v_cmpx_ne_u32_e32 0x7f, v2
	s_cbranch_execz .LBB225_104
; %bb.101:                              ;   in Loop: Header=BB225_10 Depth=1
	v_and_b32_e32 v110, 7, v1
	v_lshrrev_b32_e32 v1, 3, v2
	s_mov_b32 s25, exec_lo
	v_cmpx_gt_u32_e32 8, v2
; %bb.102:                              ;   in Loop: Header=BB225_10 Depth=1
	v_ffbh_u32_e32 v1, v110
	v_min_u32_e32 v1, 32, v1
	v_subrev_nc_u32_e32 v2, 28, v1
	v_sub_nc_u32_e32 v1, 29, v1
	v_lshlrev_b64 v[2:3], v2, v[110:111]
	v_and_b32_e32 v110, 7, v2
; %bb.103:                              ;   in Loop: Header=BB225_10 Depth=1
	s_or_b32 exec_lo, exec_lo, s25
	v_lshlrev_b32_e32 v0, 16, v0
	v_lshlrev_b32_e32 v2, 20, v110
	v_lshl_add_u32 v1, v1, 23, 0x3c000000
	v_and_b32_e32 v0, 0x80000000, v0
	v_or3_b32 v1, v2, v0, v1
	v_mov_b32_e32 v0, v111
	buffer_store_dword v0, off, s[0:3], s32 offset:296 ; 4-byte Folded Spill
	buffer_store_dword v1, off, s[0:3], s32 offset:300 ; 4-byte Folded Spill
.LBB225_104:                            ;   in Loop: Header=BB225_10 Depth=1
	s_or_b32 exec_lo, exec_lo, s24
.LBB225_105:                            ;   in Loop: Header=BB225_10 Depth=1
	s_or_b32 exec_lo, exec_lo, s23
.LBB225_106:                            ;   in Loop: Header=BB225_10 Depth=1
	s_or_b32 exec_lo, exec_lo, s17
	flat_load_ushort v1, v[116:117] offset:264
	s_waitcnt vmcnt(0) lgkmcnt(0)
	v_and_b32_e32 v0, 0xffff, v1
	v_cmp_ne_u16_sdwa s6, v1, v111 src0_sel:BYTE_0 src1_sel:DWORD
	v_mov_b32_e32 v1, 0
	v_mov_b32_e32 v2, 0
	buffer_store_dword v1, off, s[0:3], s32 offset:312 ; 4-byte Folded Spill
	buffer_store_dword v2, off, s[0:3], s32 offset:316 ; 4-byte Folded Spill
	v_mov_b32_e32 v1, 0
	v_mov_b32_e32 v2, 0
	buffer_store_dword v1, off, s[0:3], s32 offset:304 ; 4-byte Folded Spill
	buffer_store_dword v2, off, s[0:3], s32 offset:308 ; 4-byte Folded Spill
	s_and_saveexec_b32 s17, s6
	s_cbranch_execz .LBB225_114
; %bb.107:                              ;   in Loop: Header=BB225_10 Depth=1
	v_bfrev_b32_e32 v1, 1
	v_mov_b32_e32 v2, 0
	v_cmp_ne_u16_sdwa s6, v0, v119 src0_sel:BYTE_0 src1_sel:DWORD
	buffer_store_dword v1, off, s[0:3], s32 offset:304 ; 4-byte Folded Spill
	buffer_store_dword v2, off, s[0:3], s32 offset:308 ; 4-byte Folded Spill
	s_and_saveexec_b32 s23, s6
	s_cbranch_execz .LBB225_113
; %bb.108:                              ;   in Loop: Header=BB225_10 Depth=1
	v_mov_b32_e32 v3, 0x7f800001
	v_and_b32_e32 v2, 0x7f, v0
	v_mov_b32_e32 v4, 0
	s_mov_b32 s24, exec_lo
	buffer_store_dword v3, off, s[0:3], s32 offset:304 ; 4-byte Folded Spill
	buffer_store_dword v4, off, s[0:3], s32 offset:308 ; 4-byte Folded Spill
	v_cmpx_ne_u32_e32 0x7f, v2
	s_cbranch_execz .LBB225_112
; %bb.109:                              ;   in Loop: Header=BB225_10 Depth=1
	v_and_b32_e32 v110, 7, v0
	v_lshrrev_b32_e32 v1, 3, v2
	s_mov_b32 s25, exec_lo
	v_cmpx_gt_u32_e32 8, v2
; %bb.110:                              ;   in Loop: Header=BB225_10 Depth=1
	v_ffbh_u32_e32 v1, v110
	v_min_u32_e32 v1, 32, v1
	v_subrev_nc_u32_e32 v2, 28, v1
	v_sub_nc_u32_e32 v1, 29, v1
	v_lshlrev_b64 v[2:3], v2, v[110:111]
	v_and_b32_e32 v110, 7, v2
; %bb.111:                              ;   in Loop: Header=BB225_10 Depth=1
	s_or_b32 exec_lo, exec_lo, s25
	v_lshlrev_b32_e32 v2, 24, v0
	v_lshlrev_b32_e32 v3, 20, v110
	v_lshl_add_u32 v1, v1, 23, 0x3c000000
	v_and_b32_e32 v2, 0x80000000, v2
	v_or3_b32 v110, v3, v2, v1
	buffer_store_dword v110, off, s[0:3], s32 offset:304 ; 4-byte Folded Spill
	buffer_store_dword v111, off, s[0:3], s32 offset:308 ; 4-byte Folded Spill
.LBB225_112:                            ;   in Loop: Header=BB225_10 Depth=1
	s_or_b32 exec_lo, exec_lo, s24
.LBB225_113:                            ;   in Loop: Header=BB225_10 Depth=1
	s_or_b32 exec_lo, exec_lo, s23
.LBB225_114:                            ;   in Loop: Header=BB225_10 Depth=1
	s_or_b32 exec_lo, exec_lo, s17
	v_cmp_ne_u16_sdwa s6, v0, v111 src0_sel:BYTE_1 src1_sel:DWORD
	s_and_saveexec_b32 s17, s6
	s_cbranch_execz .LBB225_122
; %bb.115:                              ;   in Loop: Header=BB225_10 Depth=1
	v_mov_b32_e32 v114, v111
	v_cmp_ne_u16_sdwa s6, v0, v119 src0_sel:BYTE_1 src1_sel:DWORD
	buffer_store_dword v114, off, s[0:3], s32 offset:312 ; 4-byte Folded Spill
	buffer_store_dword v115, off, s[0:3], s32 offset:316 ; 4-byte Folded Spill
	s_and_saveexec_b32 s23, s6
	s_cbranch_execz .LBB225_121
; %bb.116:                              ;   in Loop: Header=BB225_10 Depth=1
	v_mov_b32_e32 v1, 0xffff
	v_mov_b32_e32 v98, v111
	s_mov_b32 s24, exec_lo
	buffer_store_dword v98, off, s[0:3], s32 offset:312 ; 4-byte Folded Spill
	buffer_store_dword v99, off, s[0:3], s32 offset:316 ; 4-byte Folded Spill
	v_and_b32_sdwa v1, v1, v0 dst_sel:DWORD dst_unused:UNUSED_PAD src0_sel:DWORD src1_sel:BYTE_1
	v_and_b32_e32 v2, 0x7f, v1
	v_cmpx_ne_u32_e32 0x7f, v2
	s_cbranch_execz .LBB225_120
; %bb.117:                              ;   in Loop: Header=BB225_10 Depth=1
	v_and_b32_e32 v110, 7, v1
	v_lshrrev_b32_e32 v1, 3, v2
	s_mov_b32 s25, exec_lo
	v_cmpx_gt_u32_e32 8, v2
; %bb.118:                              ;   in Loop: Header=BB225_10 Depth=1
	v_ffbh_u32_e32 v1, v110
	v_min_u32_e32 v1, 32, v1
	v_subrev_nc_u32_e32 v2, 28, v1
	v_sub_nc_u32_e32 v1, 29, v1
	v_lshlrev_b64 v[2:3], v2, v[110:111]
	v_and_b32_e32 v110, 7, v2
; %bb.119:                              ;   in Loop: Header=BB225_10 Depth=1
	s_or_b32 exec_lo, exec_lo, s25
	v_lshlrev_b32_e32 v0, 16, v0
	v_lshlrev_b32_e32 v2, 20, v110
	v_lshl_add_u32 v1, v1, 23, 0x3c000000
	v_and_b32_e32 v0, 0x80000000, v0
	v_or3_b32 v1, v2, v0, v1
	v_mov_b32_e32 v0, v111
	buffer_store_dword v0, off, s[0:3], s32 offset:312 ; 4-byte Folded Spill
	buffer_store_dword v1, off, s[0:3], s32 offset:316 ; 4-byte Folded Spill
.LBB225_120:                            ;   in Loop: Header=BB225_10 Depth=1
	s_or_b32 exec_lo, exec_lo, s24
.LBB225_121:                            ;   in Loop: Header=BB225_10 Depth=1
	s_or_b32 exec_lo, exec_lo, s23
.LBB225_122:                            ;   in Loop: Header=BB225_10 Depth=1
	s_or_b32 exec_lo, exec_lo, s17
	flat_load_ushort v1, v[116:117] offset:268
	s_waitcnt vmcnt(0) lgkmcnt(0)
	v_and_b32_e32 v0, 0xffff, v1
	v_cmp_ne_u16_sdwa s6, v1, v111 src0_sel:BYTE_0 src1_sel:DWORD
	v_mov_b32_e32 v1, 0
	v_mov_b32_e32 v2, 0
	buffer_store_dword v1, off, s[0:3], s32 offset:328 ; 4-byte Folded Spill
	buffer_store_dword v2, off, s[0:3], s32 offset:332 ; 4-byte Folded Spill
	v_mov_b32_e32 v1, 0
	v_mov_b32_e32 v2, 0
	buffer_store_dword v1, off, s[0:3], s32 offset:320 ; 4-byte Folded Spill
	buffer_store_dword v2, off, s[0:3], s32 offset:324 ; 4-byte Folded Spill
	s_and_saveexec_b32 s17, s6
	s_cbranch_execz .LBB225_130
; %bb.123:                              ;   in Loop: Header=BB225_10 Depth=1
	v_bfrev_b32_e32 v1, 1
	v_mov_b32_e32 v2, 0
	v_cmp_ne_u16_sdwa s6, v0, v119 src0_sel:BYTE_0 src1_sel:DWORD
	buffer_store_dword v1, off, s[0:3], s32 offset:320 ; 4-byte Folded Spill
	buffer_store_dword v2, off, s[0:3], s32 offset:324 ; 4-byte Folded Spill
	s_and_saveexec_b32 s23, s6
	s_cbranch_execz .LBB225_129
; %bb.124:                              ;   in Loop: Header=BB225_10 Depth=1
	v_mov_b32_e32 v3, 0x7f800001
	v_and_b32_e32 v2, 0x7f, v0
	v_mov_b32_e32 v4, 0
	s_mov_b32 s24, exec_lo
	buffer_store_dword v3, off, s[0:3], s32 offset:320 ; 4-byte Folded Spill
	buffer_store_dword v4, off, s[0:3], s32 offset:324 ; 4-byte Folded Spill
	v_cmpx_ne_u32_e32 0x7f, v2
	s_cbranch_execz .LBB225_128
; %bb.125:                              ;   in Loop: Header=BB225_10 Depth=1
	v_and_b32_e32 v110, 7, v0
	v_lshrrev_b32_e32 v1, 3, v2
	s_mov_b32 s25, exec_lo
	v_cmpx_gt_u32_e32 8, v2
; %bb.126:                              ;   in Loop: Header=BB225_10 Depth=1
	v_ffbh_u32_e32 v1, v110
	v_min_u32_e32 v1, 32, v1
	v_subrev_nc_u32_e32 v2, 28, v1
	v_sub_nc_u32_e32 v1, 29, v1
	v_lshlrev_b64 v[2:3], v2, v[110:111]
	v_and_b32_e32 v110, 7, v2
; %bb.127:                              ;   in Loop: Header=BB225_10 Depth=1
	s_or_b32 exec_lo, exec_lo, s25
	v_lshlrev_b32_e32 v2, 24, v0
	v_lshlrev_b32_e32 v3, 20, v110
	v_lshl_add_u32 v1, v1, 23, 0x3c000000
	v_and_b32_e32 v2, 0x80000000, v2
	v_or3_b32 v110, v3, v2, v1
	buffer_store_dword v110, off, s[0:3], s32 offset:320 ; 4-byte Folded Spill
	buffer_store_dword v111, off, s[0:3], s32 offset:324 ; 4-byte Folded Spill
.LBB225_128:                            ;   in Loop: Header=BB225_10 Depth=1
	s_or_b32 exec_lo, exec_lo, s24
.LBB225_129:                            ;   in Loop: Header=BB225_10 Depth=1
	s_or_b32 exec_lo, exec_lo, s23
.LBB225_130:                            ;   in Loop: Header=BB225_10 Depth=1
	s_or_b32 exec_lo, exec_lo, s17
	v_cmp_ne_u16_sdwa s6, v0, v111 src0_sel:BYTE_1 src1_sel:DWORD
	s_and_saveexec_b32 s17, s6
	s_cbranch_execz .LBB225_138
; %bb.131:                              ;   in Loop: Header=BB225_10 Depth=1
	v_mov_b32_e32 v114, v111
	v_cmp_ne_u16_sdwa s6, v0, v119 src0_sel:BYTE_1 src1_sel:DWORD
	buffer_store_dword v114, off, s[0:3], s32 offset:328 ; 4-byte Folded Spill
	buffer_store_dword v115, off, s[0:3], s32 offset:332 ; 4-byte Folded Spill
	s_and_saveexec_b32 s23, s6
	s_cbranch_execz .LBB225_137
; %bb.132:                              ;   in Loop: Header=BB225_10 Depth=1
	v_mov_b32_e32 v1, 0xffff
	v_mov_b32_e32 v98, v111
	s_mov_b32 s24, exec_lo
	buffer_store_dword v98, off, s[0:3], s32 offset:328 ; 4-byte Folded Spill
	buffer_store_dword v99, off, s[0:3], s32 offset:332 ; 4-byte Folded Spill
	v_and_b32_sdwa v1, v1, v0 dst_sel:DWORD dst_unused:UNUSED_PAD src0_sel:DWORD src1_sel:BYTE_1
	v_and_b32_e32 v2, 0x7f, v1
	v_cmpx_ne_u32_e32 0x7f, v2
	s_cbranch_execz .LBB225_136
; %bb.133:                              ;   in Loop: Header=BB225_10 Depth=1
	v_and_b32_e32 v110, 7, v1
	v_lshrrev_b32_e32 v1, 3, v2
	s_mov_b32 s25, exec_lo
	v_cmpx_gt_u32_e32 8, v2
; %bb.134:                              ;   in Loop: Header=BB225_10 Depth=1
	v_ffbh_u32_e32 v1, v110
	v_min_u32_e32 v1, 32, v1
	v_subrev_nc_u32_e32 v2, 28, v1
	v_sub_nc_u32_e32 v1, 29, v1
	v_lshlrev_b64 v[2:3], v2, v[110:111]
	v_and_b32_e32 v110, 7, v2
; %bb.135:                              ;   in Loop: Header=BB225_10 Depth=1
	s_or_b32 exec_lo, exec_lo, s25
	v_lshlrev_b32_e32 v0, 16, v0
	v_lshlrev_b32_e32 v2, 20, v110
	v_lshl_add_u32 v1, v1, 23, 0x3c000000
	v_and_b32_e32 v0, 0x80000000, v0
	v_or3_b32 v1, v2, v0, v1
	v_mov_b32_e32 v0, v111
	buffer_store_dword v0, off, s[0:3], s32 offset:328 ; 4-byte Folded Spill
	buffer_store_dword v1, off, s[0:3], s32 offset:332 ; 4-byte Folded Spill
.LBB225_136:                            ;   in Loop: Header=BB225_10 Depth=1
	s_or_b32 exec_lo, exec_lo, s24
.LBB225_137:                            ;   in Loop: Header=BB225_10 Depth=1
	s_or_b32 exec_lo, exec_lo, s23
.LBB225_138:                            ;   in Loop: Header=BB225_10 Depth=1
	s_or_b32 exec_lo, exec_lo, s17
	flat_load_ushort v1, v[116:117] offset:512
	s_waitcnt vmcnt(0) lgkmcnt(0)
	v_and_b32_e32 v0, 0xffff, v1
	v_cmp_ne_u16_sdwa s6, v1, v111 src0_sel:BYTE_0 src1_sel:DWORD
	v_mov_b32_e32 v1, 0
	v_mov_b32_e32 v2, 0
	buffer_store_dword v1, off, s[0:3], s32 offset:344 ; 4-byte Folded Spill
	buffer_store_dword v2, off, s[0:3], s32 offset:348 ; 4-byte Folded Spill
	v_mov_b32_e32 v1, 0
	v_mov_b32_e32 v2, 0
	buffer_store_dword v1, off, s[0:3], s32 offset:336 ; 4-byte Folded Spill
	buffer_store_dword v2, off, s[0:3], s32 offset:340 ; 4-byte Folded Spill
	s_and_saveexec_b32 s17, s6
	s_cbranch_execz .LBB225_146
; %bb.139:                              ;   in Loop: Header=BB225_10 Depth=1
	v_bfrev_b32_e32 v1, 1
	v_mov_b32_e32 v2, 0
	v_cmp_ne_u16_sdwa s6, v0, v119 src0_sel:BYTE_0 src1_sel:DWORD
	buffer_store_dword v1, off, s[0:3], s32 offset:336 ; 4-byte Folded Spill
	buffer_store_dword v2, off, s[0:3], s32 offset:340 ; 4-byte Folded Spill
	s_and_saveexec_b32 s23, s6
	s_cbranch_execz .LBB225_145
; %bb.140:                              ;   in Loop: Header=BB225_10 Depth=1
	v_mov_b32_e32 v3, 0x7f800001
	v_and_b32_e32 v2, 0x7f, v0
	v_mov_b32_e32 v4, 0
	s_mov_b32 s24, exec_lo
	buffer_store_dword v3, off, s[0:3], s32 offset:336 ; 4-byte Folded Spill
	buffer_store_dword v4, off, s[0:3], s32 offset:340 ; 4-byte Folded Spill
	v_cmpx_ne_u32_e32 0x7f, v2
	s_cbranch_execz .LBB225_144
; %bb.141:                              ;   in Loop: Header=BB225_10 Depth=1
	v_and_b32_e32 v110, 7, v0
	v_lshrrev_b32_e32 v1, 3, v2
	s_mov_b32 s25, exec_lo
	v_cmpx_gt_u32_e32 8, v2
; %bb.142:                              ;   in Loop: Header=BB225_10 Depth=1
	v_ffbh_u32_e32 v1, v110
	v_min_u32_e32 v1, 32, v1
	v_subrev_nc_u32_e32 v2, 28, v1
	v_sub_nc_u32_e32 v1, 29, v1
	v_lshlrev_b64 v[2:3], v2, v[110:111]
	v_and_b32_e32 v110, 7, v2
; %bb.143:                              ;   in Loop: Header=BB225_10 Depth=1
	s_or_b32 exec_lo, exec_lo, s25
	v_lshlrev_b32_e32 v2, 24, v0
	v_lshlrev_b32_e32 v3, 20, v110
	v_lshl_add_u32 v1, v1, 23, 0x3c000000
	v_and_b32_e32 v2, 0x80000000, v2
	v_or3_b32 v110, v3, v2, v1
	buffer_store_dword v110, off, s[0:3], s32 offset:336 ; 4-byte Folded Spill
	buffer_store_dword v111, off, s[0:3], s32 offset:340 ; 4-byte Folded Spill
.LBB225_144:                            ;   in Loop: Header=BB225_10 Depth=1
	s_or_b32 exec_lo, exec_lo, s24
.LBB225_145:                            ;   in Loop: Header=BB225_10 Depth=1
	s_or_b32 exec_lo, exec_lo, s23
.LBB225_146:                            ;   in Loop: Header=BB225_10 Depth=1
	s_or_b32 exec_lo, exec_lo, s17
	v_cmp_ne_u16_sdwa s6, v0, v111 src0_sel:BYTE_1 src1_sel:DWORD
	s_and_saveexec_b32 s17, s6
	s_cbranch_execz .LBB225_154
; %bb.147:                              ;   in Loop: Header=BB225_10 Depth=1
	v_mov_b32_e32 v114, v111
	v_cmp_ne_u16_sdwa s6, v0, v119 src0_sel:BYTE_1 src1_sel:DWORD
	buffer_store_dword v114, off, s[0:3], s32 offset:344 ; 4-byte Folded Spill
	buffer_store_dword v115, off, s[0:3], s32 offset:348 ; 4-byte Folded Spill
	s_and_saveexec_b32 s23, s6
	s_cbranch_execz .LBB225_153
; %bb.148:                              ;   in Loop: Header=BB225_10 Depth=1
	v_mov_b32_e32 v1, 0xffff
	v_mov_b32_e32 v98, v111
	s_mov_b32 s24, exec_lo
	buffer_store_dword v98, off, s[0:3], s32 offset:344 ; 4-byte Folded Spill
	buffer_store_dword v99, off, s[0:3], s32 offset:348 ; 4-byte Folded Spill
	v_and_b32_sdwa v1, v1, v0 dst_sel:DWORD dst_unused:UNUSED_PAD src0_sel:DWORD src1_sel:BYTE_1
	v_and_b32_e32 v2, 0x7f, v1
	v_cmpx_ne_u32_e32 0x7f, v2
	s_cbranch_execz .LBB225_152
; %bb.149:                              ;   in Loop: Header=BB225_10 Depth=1
	v_and_b32_e32 v110, 7, v1
	v_lshrrev_b32_e32 v1, 3, v2
	s_mov_b32 s25, exec_lo
	v_cmpx_gt_u32_e32 8, v2
; %bb.150:                              ;   in Loop: Header=BB225_10 Depth=1
	v_ffbh_u32_e32 v1, v110
	v_min_u32_e32 v1, 32, v1
	v_subrev_nc_u32_e32 v2, 28, v1
	v_sub_nc_u32_e32 v1, 29, v1
	v_lshlrev_b64 v[2:3], v2, v[110:111]
	v_and_b32_e32 v110, 7, v2
; %bb.151:                              ;   in Loop: Header=BB225_10 Depth=1
	s_or_b32 exec_lo, exec_lo, s25
	v_lshlrev_b32_e32 v0, 16, v0
	v_lshlrev_b32_e32 v2, 20, v110
	v_lshl_add_u32 v1, v1, 23, 0x3c000000
	v_and_b32_e32 v0, 0x80000000, v0
	v_or3_b32 v1, v2, v0, v1
	v_mov_b32_e32 v0, v111
	buffer_store_dword v0, off, s[0:3], s32 offset:344 ; 4-byte Folded Spill
	buffer_store_dword v1, off, s[0:3], s32 offset:348 ; 4-byte Folded Spill
.LBB225_152:                            ;   in Loop: Header=BB225_10 Depth=1
	s_or_b32 exec_lo, exec_lo, s24
.LBB225_153:                            ;   in Loop: Header=BB225_10 Depth=1
	s_or_b32 exec_lo, exec_lo, s23
.LBB225_154:                            ;   in Loop: Header=BB225_10 Depth=1
	s_or_b32 exec_lo, exec_lo, s17
	flat_load_ushort v1, v[116:117] offset:516
	s_waitcnt vmcnt(0) lgkmcnt(0)
	v_and_b32_e32 v0, 0xffff, v1
	v_cmp_ne_u16_sdwa s6, v1, v111 src0_sel:BYTE_0 src1_sel:DWORD
	v_mov_b32_e32 v1, 0
	v_mov_b32_e32 v2, 0
	buffer_store_dword v1, off, s[0:3], s32 offset:360 ; 4-byte Folded Spill
	buffer_store_dword v2, off, s[0:3], s32 offset:364 ; 4-byte Folded Spill
	v_mov_b32_e32 v1, 0
	v_mov_b32_e32 v2, 0
	buffer_store_dword v1, off, s[0:3], s32 offset:352 ; 4-byte Folded Spill
	buffer_store_dword v2, off, s[0:3], s32 offset:356 ; 4-byte Folded Spill
	s_and_saveexec_b32 s17, s6
	s_cbranch_execz .LBB225_162
; %bb.155:                              ;   in Loop: Header=BB225_10 Depth=1
	v_bfrev_b32_e32 v1, 1
	v_mov_b32_e32 v2, 0
	v_cmp_ne_u16_sdwa s6, v0, v119 src0_sel:BYTE_0 src1_sel:DWORD
	buffer_store_dword v1, off, s[0:3], s32 offset:352 ; 4-byte Folded Spill
	buffer_store_dword v2, off, s[0:3], s32 offset:356 ; 4-byte Folded Spill
	s_and_saveexec_b32 s23, s6
	s_cbranch_execz .LBB225_161
; %bb.156:                              ;   in Loop: Header=BB225_10 Depth=1
	v_mov_b32_e32 v3, 0x7f800001
	v_and_b32_e32 v2, 0x7f, v0
	v_mov_b32_e32 v4, 0
	s_mov_b32 s24, exec_lo
	buffer_store_dword v3, off, s[0:3], s32 offset:352 ; 4-byte Folded Spill
	buffer_store_dword v4, off, s[0:3], s32 offset:356 ; 4-byte Folded Spill
	v_cmpx_ne_u32_e32 0x7f, v2
	s_cbranch_execz .LBB225_160
; %bb.157:                              ;   in Loop: Header=BB225_10 Depth=1
	v_and_b32_e32 v110, 7, v0
	v_lshrrev_b32_e32 v1, 3, v2
	s_mov_b32 s25, exec_lo
	v_cmpx_gt_u32_e32 8, v2
; %bb.158:                              ;   in Loop: Header=BB225_10 Depth=1
	v_ffbh_u32_e32 v1, v110
	v_min_u32_e32 v1, 32, v1
	v_subrev_nc_u32_e32 v2, 28, v1
	v_sub_nc_u32_e32 v1, 29, v1
	v_lshlrev_b64 v[2:3], v2, v[110:111]
	v_and_b32_e32 v110, 7, v2
; %bb.159:                              ;   in Loop: Header=BB225_10 Depth=1
	s_or_b32 exec_lo, exec_lo, s25
	v_lshlrev_b32_e32 v2, 24, v0
	v_lshlrev_b32_e32 v3, 20, v110
	v_lshl_add_u32 v1, v1, 23, 0x3c000000
	v_and_b32_e32 v2, 0x80000000, v2
	v_or3_b32 v110, v3, v2, v1
	buffer_store_dword v110, off, s[0:3], s32 offset:352 ; 4-byte Folded Spill
	buffer_store_dword v111, off, s[0:3], s32 offset:356 ; 4-byte Folded Spill
.LBB225_160:                            ;   in Loop: Header=BB225_10 Depth=1
	s_or_b32 exec_lo, exec_lo, s24
.LBB225_161:                            ;   in Loop: Header=BB225_10 Depth=1
	s_or_b32 exec_lo, exec_lo, s23
.LBB225_162:                            ;   in Loop: Header=BB225_10 Depth=1
	s_or_b32 exec_lo, exec_lo, s17
	v_cmp_ne_u16_sdwa s6, v0, v111 src0_sel:BYTE_1 src1_sel:DWORD
	s_and_saveexec_b32 s17, s6
	s_cbranch_execz .LBB225_170
; %bb.163:                              ;   in Loop: Header=BB225_10 Depth=1
	v_mov_b32_e32 v114, v111
	v_cmp_ne_u16_sdwa s6, v0, v119 src0_sel:BYTE_1 src1_sel:DWORD
	buffer_store_dword v114, off, s[0:3], s32 offset:360 ; 4-byte Folded Spill
	buffer_store_dword v115, off, s[0:3], s32 offset:364 ; 4-byte Folded Spill
	s_and_saveexec_b32 s23, s6
	s_cbranch_execz .LBB225_169
; %bb.164:                              ;   in Loop: Header=BB225_10 Depth=1
	v_mov_b32_e32 v1, 0xffff
	v_mov_b32_e32 v98, v111
	s_mov_b32 s24, exec_lo
	buffer_store_dword v98, off, s[0:3], s32 offset:360 ; 4-byte Folded Spill
	buffer_store_dword v99, off, s[0:3], s32 offset:364 ; 4-byte Folded Spill
	v_and_b32_sdwa v1, v1, v0 dst_sel:DWORD dst_unused:UNUSED_PAD src0_sel:DWORD src1_sel:BYTE_1
	v_and_b32_e32 v2, 0x7f, v1
	v_cmpx_ne_u32_e32 0x7f, v2
	s_cbranch_execz .LBB225_168
; %bb.165:                              ;   in Loop: Header=BB225_10 Depth=1
	v_and_b32_e32 v110, 7, v1
	v_lshrrev_b32_e32 v1, 3, v2
	s_mov_b32 s25, exec_lo
	v_cmpx_gt_u32_e32 8, v2
; %bb.166:                              ;   in Loop: Header=BB225_10 Depth=1
	v_ffbh_u32_e32 v1, v110
	v_min_u32_e32 v1, 32, v1
	v_subrev_nc_u32_e32 v2, 28, v1
	v_sub_nc_u32_e32 v1, 29, v1
	v_lshlrev_b64 v[2:3], v2, v[110:111]
	v_and_b32_e32 v110, 7, v2
; %bb.167:                              ;   in Loop: Header=BB225_10 Depth=1
	s_or_b32 exec_lo, exec_lo, s25
	v_lshlrev_b32_e32 v0, 16, v0
	v_lshlrev_b32_e32 v2, 20, v110
	v_lshl_add_u32 v1, v1, 23, 0x3c000000
	v_and_b32_e32 v0, 0x80000000, v0
	v_or3_b32 v1, v2, v0, v1
	v_mov_b32_e32 v0, v111
	buffer_store_dword v0, off, s[0:3], s32 offset:360 ; 4-byte Folded Spill
	buffer_store_dword v1, off, s[0:3], s32 offset:364 ; 4-byte Folded Spill
.LBB225_168:                            ;   in Loop: Header=BB225_10 Depth=1
	s_or_b32 exec_lo, exec_lo, s24
.LBB225_169:                            ;   in Loop: Header=BB225_10 Depth=1
	s_or_b32 exec_lo, exec_lo, s23
.LBB225_170:                            ;   in Loop: Header=BB225_10 Depth=1
	s_or_b32 exec_lo, exec_lo, s17
	flat_load_ushort v1, v[116:117] offset:520
	s_waitcnt vmcnt(0) lgkmcnt(0)
	v_and_b32_e32 v0, 0xffff, v1
	v_cmp_ne_u16_sdwa s6, v1, v111 src0_sel:BYTE_0 src1_sel:DWORD
	v_mov_b32_e32 v1, 0
	v_mov_b32_e32 v2, 0
	buffer_store_dword v1, off, s[0:3], s32 offset:376 ; 4-byte Folded Spill
	buffer_store_dword v2, off, s[0:3], s32 offset:380 ; 4-byte Folded Spill
	v_mov_b32_e32 v1, 0
	v_mov_b32_e32 v2, 0
	buffer_store_dword v1, off, s[0:3], s32 offset:368 ; 4-byte Folded Spill
	buffer_store_dword v2, off, s[0:3], s32 offset:372 ; 4-byte Folded Spill
	s_and_saveexec_b32 s17, s6
	s_cbranch_execz .LBB225_178
; %bb.171:                              ;   in Loop: Header=BB225_10 Depth=1
	v_bfrev_b32_e32 v1, 1
	v_mov_b32_e32 v2, 0
	v_cmp_ne_u16_sdwa s6, v0, v119 src0_sel:BYTE_0 src1_sel:DWORD
	buffer_store_dword v1, off, s[0:3], s32 offset:368 ; 4-byte Folded Spill
	buffer_store_dword v2, off, s[0:3], s32 offset:372 ; 4-byte Folded Spill
	s_and_saveexec_b32 s23, s6
	s_cbranch_execz .LBB225_177
; %bb.172:                              ;   in Loop: Header=BB225_10 Depth=1
	v_mov_b32_e32 v3, 0x7f800001
	v_and_b32_e32 v2, 0x7f, v0
	v_mov_b32_e32 v4, 0
	s_mov_b32 s24, exec_lo
	buffer_store_dword v3, off, s[0:3], s32 offset:368 ; 4-byte Folded Spill
	buffer_store_dword v4, off, s[0:3], s32 offset:372 ; 4-byte Folded Spill
	v_cmpx_ne_u32_e32 0x7f, v2
	s_cbranch_execz .LBB225_176
; %bb.173:                              ;   in Loop: Header=BB225_10 Depth=1
	v_and_b32_e32 v110, 7, v0
	v_lshrrev_b32_e32 v1, 3, v2
	s_mov_b32 s25, exec_lo
	v_cmpx_gt_u32_e32 8, v2
; %bb.174:                              ;   in Loop: Header=BB225_10 Depth=1
	v_ffbh_u32_e32 v1, v110
	v_min_u32_e32 v1, 32, v1
	v_subrev_nc_u32_e32 v2, 28, v1
	v_sub_nc_u32_e32 v1, 29, v1
	v_lshlrev_b64 v[2:3], v2, v[110:111]
	v_and_b32_e32 v110, 7, v2
; %bb.175:                              ;   in Loop: Header=BB225_10 Depth=1
	s_or_b32 exec_lo, exec_lo, s25
	v_lshlrev_b32_e32 v2, 24, v0
	v_lshlrev_b32_e32 v3, 20, v110
	v_lshl_add_u32 v1, v1, 23, 0x3c000000
	v_and_b32_e32 v2, 0x80000000, v2
	v_or3_b32 v110, v3, v2, v1
	buffer_store_dword v110, off, s[0:3], s32 offset:368 ; 4-byte Folded Spill
	buffer_store_dword v111, off, s[0:3], s32 offset:372 ; 4-byte Folded Spill
.LBB225_176:                            ;   in Loop: Header=BB225_10 Depth=1
	s_or_b32 exec_lo, exec_lo, s24
.LBB225_177:                            ;   in Loop: Header=BB225_10 Depth=1
	s_or_b32 exec_lo, exec_lo, s23
.LBB225_178:                            ;   in Loop: Header=BB225_10 Depth=1
	s_or_b32 exec_lo, exec_lo, s17
	v_cmp_ne_u16_sdwa s6, v0, v111 src0_sel:BYTE_1 src1_sel:DWORD
	s_and_saveexec_b32 s17, s6
	s_cbranch_execz .LBB225_186
; %bb.179:                              ;   in Loop: Header=BB225_10 Depth=1
	v_mov_b32_e32 v114, v111
	v_cmp_ne_u16_sdwa s6, v0, v119 src0_sel:BYTE_1 src1_sel:DWORD
	buffer_store_dword v114, off, s[0:3], s32 offset:376 ; 4-byte Folded Spill
	buffer_store_dword v115, off, s[0:3], s32 offset:380 ; 4-byte Folded Spill
	s_and_saveexec_b32 s23, s6
	s_cbranch_execz .LBB225_185
; %bb.180:                              ;   in Loop: Header=BB225_10 Depth=1
	v_mov_b32_e32 v1, 0xffff
	v_mov_b32_e32 v98, v111
	s_mov_b32 s24, exec_lo
	buffer_store_dword v98, off, s[0:3], s32 offset:376 ; 4-byte Folded Spill
	buffer_store_dword v99, off, s[0:3], s32 offset:380 ; 4-byte Folded Spill
	v_and_b32_sdwa v1, v1, v0 dst_sel:DWORD dst_unused:UNUSED_PAD src0_sel:DWORD src1_sel:BYTE_1
	v_and_b32_e32 v2, 0x7f, v1
	v_cmpx_ne_u32_e32 0x7f, v2
	s_cbranch_execz .LBB225_184
; %bb.181:                              ;   in Loop: Header=BB225_10 Depth=1
	v_and_b32_e32 v110, 7, v1
	v_lshrrev_b32_e32 v1, 3, v2
	s_mov_b32 s25, exec_lo
	v_cmpx_gt_u32_e32 8, v2
; %bb.182:                              ;   in Loop: Header=BB225_10 Depth=1
	v_ffbh_u32_e32 v1, v110
	v_min_u32_e32 v1, 32, v1
	v_subrev_nc_u32_e32 v2, 28, v1
	v_sub_nc_u32_e32 v1, 29, v1
	v_lshlrev_b64 v[2:3], v2, v[110:111]
	v_and_b32_e32 v110, 7, v2
; %bb.183:                              ;   in Loop: Header=BB225_10 Depth=1
	s_or_b32 exec_lo, exec_lo, s25
	v_lshlrev_b32_e32 v0, 16, v0
	v_lshlrev_b32_e32 v2, 20, v110
	v_lshl_add_u32 v1, v1, 23, 0x3c000000
	v_and_b32_e32 v0, 0x80000000, v0
	v_or3_b32 v1, v2, v0, v1
	v_mov_b32_e32 v0, v111
	buffer_store_dword v0, off, s[0:3], s32 offset:376 ; 4-byte Folded Spill
	buffer_store_dword v1, off, s[0:3], s32 offset:380 ; 4-byte Folded Spill
.LBB225_184:                            ;   in Loop: Header=BB225_10 Depth=1
	s_or_b32 exec_lo, exec_lo, s24
.LBB225_185:                            ;   in Loop: Header=BB225_10 Depth=1
	s_or_b32 exec_lo, exec_lo, s23
.LBB225_186:                            ;   in Loop: Header=BB225_10 Depth=1
	s_or_b32 exec_lo, exec_lo, s17
	flat_load_ushort v1, v[116:117] offset:524
	s_waitcnt vmcnt(0) lgkmcnt(0)
	v_and_b32_e32 v0, 0xffff, v1
	v_cmp_ne_u16_sdwa s6, v1, v111 src0_sel:BYTE_0 src1_sel:DWORD
	v_mov_b32_e32 v1, 0
	v_mov_b32_e32 v2, 0
	buffer_store_dword v1, off, s[0:3], s32 offset:392 ; 4-byte Folded Spill
	buffer_store_dword v2, off, s[0:3], s32 offset:396 ; 4-byte Folded Spill
	v_mov_b32_e32 v1, 0
	v_mov_b32_e32 v2, 0
	buffer_store_dword v1, off, s[0:3], s32 offset:384 ; 4-byte Folded Spill
	buffer_store_dword v2, off, s[0:3], s32 offset:388 ; 4-byte Folded Spill
	s_and_saveexec_b32 s17, s6
	s_cbranch_execz .LBB225_194
; %bb.187:                              ;   in Loop: Header=BB225_10 Depth=1
	v_bfrev_b32_e32 v1, 1
	v_mov_b32_e32 v2, 0
	v_cmp_ne_u16_sdwa s6, v0, v119 src0_sel:BYTE_0 src1_sel:DWORD
	buffer_store_dword v1, off, s[0:3], s32 offset:384 ; 4-byte Folded Spill
	buffer_store_dword v2, off, s[0:3], s32 offset:388 ; 4-byte Folded Spill
	s_and_saveexec_b32 s23, s6
	s_cbranch_execz .LBB225_193
; %bb.188:                              ;   in Loop: Header=BB225_10 Depth=1
	v_mov_b32_e32 v3, 0x7f800001
	v_and_b32_e32 v2, 0x7f, v0
	v_mov_b32_e32 v4, 0
	s_mov_b32 s24, exec_lo
	buffer_store_dword v3, off, s[0:3], s32 offset:384 ; 4-byte Folded Spill
	buffer_store_dword v4, off, s[0:3], s32 offset:388 ; 4-byte Folded Spill
	v_cmpx_ne_u32_e32 0x7f, v2
	s_cbranch_execz .LBB225_192
; %bb.189:                              ;   in Loop: Header=BB225_10 Depth=1
	v_and_b32_e32 v110, 7, v0
	v_lshrrev_b32_e32 v1, 3, v2
	s_mov_b32 s25, exec_lo
	v_cmpx_gt_u32_e32 8, v2
; %bb.190:                              ;   in Loop: Header=BB225_10 Depth=1
	v_ffbh_u32_e32 v1, v110
	v_min_u32_e32 v1, 32, v1
	v_subrev_nc_u32_e32 v2, 28, v1
	v_sub_nc_u32_e32 v1, 29, v1
	v_lshlrev_b64 v[2:3], v2, v[110:111]
	v_and_b32_e32 v110, 7, v2
; %bb.191:                              ;   in Loop: Header=BB225_10 Depth=1
	s_or_b32 exec_lo, exec_lo, s25
	v_lshlrev_b32_e32 v2, 24, v0
	v_lshlrev_b32_e32 v3, 20, v110
	v_lshl_add_u32 v1, v1, 23, 0x3c000000
	v_and_b32_e32 v2, 0x80000000, v2
	v_or3_b32 v110, v3, v2, v1
	buffer_store_dword v110, off, s[0:3], s32 offset:384 ; 4-byte Folded Spill
	buffer_store_dword v111, off, s[0:3], s32 offset:388 ; 4-byte Folded Spill
.LBB225_192:                            ;   in Loop: Header=BB225_10 Depth=1
	s_or_b32 exec_lo, exec_lo, s24
.LBB225_193:                            ;   in Loop: Header=BB225_10 Depth=1
	s_or_b32 exec_lo, exec_lo, s23
.LBB225_194:                            ;   in Loop: Header=BB225_10 Depth=1
	s_or_b32 exec_lo, exec_lo, s17
	v_cmp_ne_u16_sdwa s6, v0, v111 src0_sel:BYTE_1 src1_sel:DWORD
	s_and_saveexec_b32 s17, s6
	s_cbranch_execz .LBB225_202
; %bb.195:                              ;   in Loop: Header=BB225_10 Depth=1
	v_mov_b32_e32 v114, v111
	v_cmp_ne_u16_sdwa s6, v0, v119 src0_sel:BYTE_1 src1_sel:DWORD
	buffer_store_dword v114, off, s[0:3], s32 offset:392 ; 4-byte Folded Spill
	buffer_store_dword v115, off, s[0:3], s32 offset:396 ; 4-byte Folded Spill
	s_and_saveexec_b32 s23, s6
	s_cbranch_execz .LBB225_201
; %bb.196:                              ;   in Loop: Header=BB225_10 Depth=1
	v_mov_b32_e32 v1, 0xffff
	v_mov_b32_e32 v98, v111
	s_mov_b32 s24, exec_lo
	buffer_store_dword v98, off, s[0:3], s32 offset:392 ; 4-byte Folded Spill
	buffer_store_dword v99, off, s[0:3], s32 offset:396 ; 4-byte Folded Spill
	v_and_b32_sdwa v1, v1, v0 dst_sel:DWORD dst_unused:UNUSED_PAD src0_sel:DWORD src1_sel:BYTE_1
	v_and_b32_e32 v2, 0x7f, v1
	v_cmpx_ne_u32_e32 0x7f, v2
	s_cbranch_execz .LBB225_200
; %bb.197:                              ;   in Loop: Header=BB225_10 Depth=1
	v_and_b32_e32 v110, 7, v1
	v_lshrrev_b32_e32 v1, 3, v2
	s_mov_b32 s25, exec_lo
	v_cmpx_gt_u32_e32 8, v2
; %bb.198:                              ;   in Loop: Header=BB225_10 Depth=1
	v_ffbh_u32_e32 v1, v110
	v_min_u32_e32 v1, 32, v1
	v_subrev_nc_u32_e32 v2, 28, v1
	v_sub_nc_u32_e32 v1, 29, v1
	v_lshlrev_b64 v[2:3], v2, v[110:111]
	v_and_b32_e32 v110, 7, v2
; %bb.199:                              ;   in Loop: Header=BB225_10 Depth=1
	s_or_b32 exec_lo, exec_lo, s25
	v_lshlrev_b32_e32 v0, 16, v0
	v_lshlrev_b32_e32 v2, 20, v110
	v_lshl_add_u32 v1, v1, 23, 0x3c000000
	v_and_b32_e32 v0, 0x80000000, v0
	v_or3_b32 v1, v2, v0, v1
	v_mov_b32_e32 v0, v111
	buffer_store_dword v0, off, s[0:3], s32 offset:392 ; 4-byte Folded Spill
	buffer_store_dword v1, off, s[0:3], s32 offset:396 ; 4-byte Folded Spill
.LBB225_200:                            ;   in Loop: Header=BB225_10 Depth=1
	s_or_b32 exec_lo, exec_lo, s24
.LBB225_201:                            ;   in Loop: Header=BB225_10 Depth=1
	s_or_b32 exec_lo, exec_lo, s23
.LBB225_202:                            ;   in Loop: Header=BB225_10 Depth=1
	s_or_b32 exec_lo, exec_lo, s17
	flat_load_ushort v1, v[116:117] offset:768
	s_waitcnt vmcnt(0) lgkmcnt(0)
	v_and_b32_e32 v0, 0xffff, v1
	v_cmp_ne_u16_sdwa s6, v1, v111 src0_sel:BYTE_0 src1_sel:DWORD
	v_mov_b32_e32 v1, 0
	v_mov_b32_e32 v2, 0
	buffer_store_dword v1, off, s[0:3], s32 offset:408 ; 4-byte Folded Spill
	buffer_store_dword v2, off, s[0:3], s32 offset:412 ; 4-byte Folded Spill
	v_mov_b32_e32 v1, 0
	v_mov_b32_e32 v2, 0
	buffer_store_dword v1, off, s[0:3], s32 offset:400 ; 4-byte Folded Spill
	buffer_store_dword v2, off, s[0:3], s32 offset:404 ; 4-byte Folded Spill
	s_and_saveexec_b32 s17, s6
	s_cbranch_execz .LBB225_210
; %bb.203:                              ;   in Loop: Header=BB225_10 Depth=1
	v_bfrev_b32_e32 v1, 1
	v_mov_b32_e32 v2, 0
	v_cmp_ne_u16_sdwa s6, v0, v119 src0_sel:BYTE_0 src1_sel:DWORD
	buffer_store_dword v1, off, s[0:3], s32 offset:400 ; 4-byte Folded Spill
	buffer_store_dword v2, off, s[0:3], s32 offset:404 ; 4-byte Folded Spill
	s_and_saveexec_b32 s23, s6
	s_cbranch_execz .LBB225_209
; %bb.204:                              ;   in Loop: Header=BB225_10 Depth=1
	v_mov_b32_e32 v3, 0x7f800001
	v_and_b32_e32 v2, 0x7f, v0
	v_mov_b32_e32 v4, 0
	s_mov_b32 s24, exec_lo
	buffer_store_dword v3, off, s[0:3], s32 offset:400 ; 4-byte Folded Spill
	buffer_store_dword v4, off, s[0:3], s32 offset:404 ; 4-byte Folded Spill
	v_cmpx_ne_u32_e32 0x7f, v2
	s_cbranch_execz .LBB225_208
; %bb.205:                              ;   in Loop: Header=BB225_10 Depth=1
	v_and_b32_e32 v110, 7, v0
	v_lshrrev_b32_e32 v1, 3, v2
	s_mov_b32 s25, exec_lo
	v_cmpx_gt_u32_e32 8, v2
; %bb.206:                              ;   in Loop: Header=BB225_10 Depth=1
	v_ffbh_u32_e32 v1, v110
	v_min_u32_e32 v1, 32, v1
	v_subrev_nc_u32_e32 v2, 28, v1
	v_sub_nc_u32_e32 v1, 29, v1
	v_lshlrev_b64 v[2:3], v2, v[110:111]
	v_and_b32_e32 v110, 7, v2
; %bb.207:                              ;   in Loop: Header=BB225_10 Depth=1
	s_or_b32 exec_lo, exec_lo, s25
	v_lshlrev_b32_e32 v2, 24, v0
	v_lshlrev_b32_e32 v3, 20, v110
	v_lshl_add_u32 v1, v1, 23, 0x3c000000
	v_and_b32_e32 v2, 0x80000000, v2
	v_or3_b32 v110, v3, v2, v1
	buffer_store_dword v110, off, s[0:3], s32 offset:400 ; 4-byte Folded Spill
	buffer_store_dword v111, off, s[0:3], s32 offset:404 ; 4-byte Folded Spill
.LBB225_208:                            ;   in Loop: Header=BB225_10 Depth=1
	s_or_b32 exec_lo, exec_lo, s24
.LBB225_209:                            ;   in Loop: Header=BB225_10 Depth=1
	s_or_b32 exec_lo, exec_lo, s23
.LBB225_210:                            ;   in Loop: Header=BB225_10 Depth=1
	s_or_b32 exec_lo, exec_lo, s17
	v_cmp_ne_u16_sdwa s6, v0, v111 src0_sel:BYTE_1 src1_sel:DWORD
	s_and_saveexec_b32 s17, s6
	s_cbranch_execz .LBB225_218
; %bb.211:                              ;   in Loop: Header=BB225_10 Depth=1
	v_mov_b32_e32 v114, v111
	v_cmp_ne_u16_sdwa s6, v0, v119 src0_sel:BYTE_1 src1_sel:DWORD
	buffer_store_dword v114, off, s[0:3], s32 offset:408 ; 4-byte Folded Spill
	buffer_store_dword v115, off, s[0:3], s32 offset:412 ; 4-byte Folded Spill
	s_and_saveexec_b32 s23, s6
	s_cbranch_execz .LBB225_217
; %bb.212:                              ;   in Loop: Header=BB225_10 Depth=1
	v_mov_b32_e32 v1, 0xffff
	v_mov_b32_e32 v98, v111
	s_mov_b32 s24, exec_lo
	buffer_store_dword v98, off, s[0:3], s32 offset:408 ; 4-byte Folded Spill
	buffer_store_dword v99, off, s[0:3], s32 offset:412 ; 4-byte Folded Spill
	v_and_b32_sdwa v1, v1, v0 dst_sel:DWORD dst_unused:UNUSED_PAD src0_sel:DWORD src1_sel:BYTE_1
	v_and_b32_e32 v2, 0x7f, v1
	v_cmpx_ne_u32_e32 0x7f, v2
	s_cbranch_execz .LBB225_216
; %bb.213:                              ;   in Loop: Header=BB225_10 Depth=1
	v_and_b32_e32 v110, 7, v1
	v_lshrrev_b32_e32 v1, 3, v2
	s_mov_b32 s25, exec_lo
	v_cmpx_gt_u32_e32 8, v2
; %bb.214:                              ;   in Loop: Header=BB225_10 Depth=1
	v_ffbh_u32_e32 v1, v110
	v_min_u32_e32 v1, 32, v1
	v_subrev_nc_u32_e32 v2, 28, v1
	v_sub_nc_u32_e32 v1, 29, v1
	v_lshlrev_b64 v[2:3], v2, v[110:111]
	v_and_b32_e32 v110, 7, v2
; %bb.215:                              ;   in Loop: Header=BB225_10 Depth=1
	s_or_b32 exec_lo, exec_lo, s25
	v_lshlrev_b32_e32 v0, 16, v0
	v_lshlrev_b32_e32 v2, 20, v110
	v_lshl_add_u32 v1, v1, 23, 0x3c000000
	v_and_b32_e32 v0, 0x80000000, v0
	v_or3_b32 v1, v2, v0, v1
	v_mov_b32_e32 v0, v111
	buffer_store_dword v0, off, s[0:3], s32 offset:408 ; 4-byte Folded Spill
	buffer_store_dword v1, off, s[0:3], s32 offset:412 ; 4-byte Folded Spill
.LBB225_216:                            ;   in Loop: Header=BB225_10 Depth=1
	s_or_b32 exec_lo, exec_lo, s24
.LBB225_217:                            ;   in Loop: Header=BB225_10 Depth=1
	s_or_b32 exec_lo, exec_lo, s23
.LBB225_218:                            ;   in Loop: Header=BB225_10 Depth=1
	s_or_b32 exec_lo, exec_lo, s17
	flat_load_ushort v1, v[116:117] offset:772
	s_waitcnt vmcnt(0) lgkmcnt(0)
	v_and_b32_e32 v0, 0xffff, v1
	v_cmp_ne_u16_sdwa s6, v1, v111 src0_sel:BYTE_0 src1_sel:DWORD
	v_mov_b32_e32 v1, 0
	v_mov_b32_e32 v2, 0
	buffer_store_dword v1, off, s[0:3], s32 offset:424 ; 4-byte Folded Spill
	buffer_store_dword v2, off, s[0:3], s32 offset:428 ; 4-byte Folded Spill
	v_mov_b32_e32 v1, 0
	v_mov_b32_e32 v2, 0
	buffer_store_dword v1, off, s[0:3], s32 offset:416 ; 4-byte Folded Spill
	buffer_store_dword v2, off, s[0:3], s32 offset:420 ; 4-byte Folded Spill
	s_and_saveexec_b32 s17, s6
	s_cbranch_execz .LBB225_226
; %bb.219:                              ;   in Loop: Header=BB225_10 Depth=1
	v_bfrev_b32_e32 v1, 1
	v_mov_b32_e32 v2, 0
	v_cmp_ne_u16_sdwa s6, v0, v119 src0_sel:BYTE_0 src1_sel:DWORD
	buffer_store_dword v1, off, s[0:3], s32 offset:416 ; 4-byte Folded Spill
	buffer_store_dword v2, off, s[0:3], s32 offset:420 ; 4-byte Folded Spill
	s_and_saveexec_b32 s23, s6
	s_cbranch_execz .LBB225_225
; %bb.220:                              ;   in Loop: Header=BB225_10 Depth=1
	v_mov_b32_e32 v3, 0x7f800001
	v_and_b32_e32 v2, 0x7f, v0
	v_mov_b32_e32 v4, 0
	s_mov_b32 s24, exec_lo
	buffer_store_dword v3, off, s[0:3], s32 offset:416 ; 4-byte Folded Spill
	buffer_store_dword v4, off, s[0:3], s32 offset:420 ; 4-byte Folded Spill
	v_cmpx_ne_u32_e32 0x7f, v2
	s_cbranch_execz .LBB225_224
; %bb.221:                              ;   in Loop: Header=BB225_10 Depth=1
	v_and_b32_e32 v110, 7, v0
	v_lshrrev_b32_e32 v1, 3, v2
	s_mov_b32 s25, exec_lo
	v_cmpx_gt_u32_e32 8, v2
; %bb.222:                              ;   in Loop: Header=BB225_10 Depth=1
	v_ffbh_u32_e32 v1, v110
	v_min_u32_e32 v1, 32, v1
	v_subrev_nc_u32_e32 v2, 28, v1
	v_sub_nc_u32_e32 v1, 29, v1
	v_lshlrev_b64 v[2:3], v2, v[110:111]
	v_and_b32_e32 v110, 7, v2
; %bb.223:                              ;   in Loop: Header=BB225_10 Depth=1
	s_or_b32 exec_lo, exec_lo, s25
	v_lshlrev_b32_e32 v2, 24, v0
	v_lshlrev_b32_e32 v3, 20, v110
	v_lshl_add_u32 v1, v1, 23, 0x3c000000
	v_and_b32_e32 v2, 0x80000000, v2
	v_or3_b32 v110, v3, v2, v1
	buffer_store_dword v110, off, s[0:3], s32 offset:416 ; 4-byte Folded Spill
	buffer_store_dword v111, off, s[0:3], s32 offset:420 ; 4-byte Folded Spill
.LBB225_224:                            ;   in Loop: Header=BB225_10 Depth=1
	s_or_b32 exec_lo, exec_lo, s24
.LBB225_225:                            ;   in Loop: Header=BB225_10 Depth=1
	s_or_b32 exec_lo, exec_lo, s23
.LBB225_226:                            ;   in Loop: Header=BB225_10 Depth=1
	s_or_b32 exec_lo, exec_lo, s17
	v_cmp_ne_u16_sdwa s6, v0, v111 src0_sel:BYTE_1 src1_sel:DWORD
	s_and_saveexec_b32 s17, s6
	s_cbranch_execz .LBB225_234
; %bb.227:                              ;   in Loop: Header=BB225_10 Depth=1
	v_mov_b32_e32 v114, v111
	v_cmp_ne_u16_sdwa s6, v0, v119 src0_sel:BYTE_1 src1_sel:DWORD
	buffer_store_dword v114, off, s[0:3], s32 offset:424 ; 4-byte Folded Spill
	buffer_store_dword v115, off, s[0:3], s32 offset:428 ; 4-byte Folded Spill
	s_and_saveexec_b32 s23, s6
	s_cbranch_execz .LBB225_233
; %bb.228:                              ;   in Loop: Header=BB225_10 Depth=1
	v_mov_b32_e32 v1, 0xffff
	v_mov_b32_e32 v98, v111
	s_mov_b32 s24, exec_lo
	buffer_store_dword v98, off, s[0:3], s32 offset:424 ; 4-byte Folded Spill
	buffer_store_dword v99, off, s[0:3], s32 offset:428 ; 4-byte Folded Spill
	v_and_b32_sdwa v1, v1, v0 dst_sel:DWORD dst_unused:UNUSED_PAD src0_sel:DWORD src1_sel:BYTE_1
	v_and_b32_e32 v2, 0x7f, v1
	v_cmpx_ne_u32_e32 0x7f, v2
	s_cbranch_execz .LBB225_232
; %bb.229:                              ;   in Loop: Header=BB225_10 Depth=1
	v_and_b32_e32 v110, 7, v1
	v_lshrrev_b32_e32 v1, 3, v2
	s_mov_b32 s25, exec_lo
	v_cmpx_gt_u32_e32 8, v2
; %bb.230:                              ;   in Loop: Header=BB225_10 Depth=1
	v_ffbh_u32_e32 v1, v110
	v_min_u32_e32 v1, 32, v1
	v_subrev_nc_u32_e32 v2, 28, v1
	v_sub_nc_u32_e32 v1, 29, v1
	v_lshlrev_b64 v[2:3], v2, v[110:111]
	v_and_b32_e32 v110, 7, v2
; %bb.231:                              ;   in Loop: Header=BB225_10 Depth=1
	s_or_b32 exec_lo, exec_lo, s25
	v_lshlrev_b32_e32 v0, 16, v0
	v_lshlrev_b32_e32 v2, 20, v110
	v_lshl_add_u32 v1, v1, 23, 0x3c000000
	v_and_b32_e32 v0, 0x80000000, v0
	v_or3_b32 v1, v2, v0, v1
	v_mov_b32_e32 v0, v111
	buffer_store_dword v0, off, s[0:3], s32 offset:424 ; 4-byte Folded Spill
	buffer_store_dword v1, off, s[0:3], s32 offset:428 ; 4-byte Folded Spill
.LBB225_232:                            ;   in Loop: Header=BB225_10 Depth=1
	s_or_b32 exec_lo, exec_lo, s24
.LBB225_233:                            ;   in Loop: Header=BB225_10 Depth=1
	s_or_b32 exec_lo, exec_lo, s23
.LBB225_234:                            ;   in Loop: Header=BB225_10 Depth=1
	s_or_b32 exec_lo, exec_lo, s17
	flat_load_ushort v1, v[116:117] offset:776
	s_waitcnt vmcnt(0) lgkmcnt(0)
	v_and_b32_e32 v0, 0xffff, v1
	v_cmp_ne_u16_sdwa s6, v1, v111 src0_sel:BYTE_0 src1_sel:DWORD
	v_mov_b32_e32 v1, 0
	v_mov_b32_e32 v2, 0
	buffer_store_dword v1, off, s[0:3], s32 offset:440 ; 4-byte Folded Spill
	buffer_store_dword v2, off, s[0:3], s32 offset:444 ; 4-byte Folded Spill
	v_mov_b32_e32 v1, 0
	v_mov_b32_e32 v2, 0
	buffer_store_dword v1, off, s[0:3], s32 offset:432 ; 4-byte Folded Spill
	buffer_store_dword v2, off, s[0:3], s32 offset:436 ; 4-byte Folded Spill
	s_and_saveexec_b32 s17, s6
	s_cbranch_execz .LBB225_242
; %bb.235:                              ;   in Loop: Header=BB225_10 Depth=1
	v_bfrev_b32_e32 v1, 1
	v_mov_b32_e32 v2, 0
	v_cmp_ne_u16_sdwa s6, v0, v119 src0_sel:BYTE_0 src1_sel:DWORD
	buffer_store_dword v1, off, s[0:3], s32 offset:432 ; 4-byte Folded Spill
	buffer_store_dword v2, off, s[0:3], s32 offset:436 ; 4-byte Folded Spill
	s_and_saveexec_b32 s23, s6
	s_cbranch_execz .LBB225_241
; %bb.236:                              ;   in Loop: Header=BB225_10 Depth=1
	v_mov_b32_e32 v3, 0x7f800001
	v_and_b32_e32 v2, 0x7f, v0
	v_mov_b32_e32 v4, 0
	s_mov_b32 s24, exec_lo
	buffer_store_dword v3, off, s[0:3], s32 offset:432 ; 4-byte Folded Spill
	buffer_store_dword v4, off, s[0:3], s32 offset:436 ; 4-byte Folded Spill
	v_cmpx_ne_u32_e32 0x7f, v2
	s_cbranch_execz .LBB225_240
; %bb.237:                              ;   in Loop: Header=BB225_10 Depth=1
	v_and_b32_e32 v110, 7, v0
	v_lshrrev_b32_e32 v1, 3, v2
	s_mov_b32 s25, exec_lo
	v_cmpx_gt_u32_e32 8, v2
; %bb.238:                              ;   in Loop: Header=BB225_10 Depth=1
	v_ffbh_u32_e32 v1, v110
	v_min_u32_e32 v1, 32, v1
	v_subrev_nc_u32_e32 v2, 28, v1
	v_sub_nc_u32_e32 v1, 29, v1
	v_lshlrev_b64 v[2:3], v2, v[110:111]
	v_and_b32_e32 v110, 7, v2
; %bb.239:                              ;   in Loop: Header=BB225_10 Depth=1
	s_or_b32 exec_lo, exec_lo, s25
	v_lshlrev_b32_e32 v2, 24, v0
	v_lshlrev_b32_e32 v3, 20, v110
	v_lshl_add_u32 v1, v1, 23, 0x3c000000
	v_and_b32_e32 v2, 0x80000000, v2
	v_or3_b32 v110, v3, v2, v1
	buffer_store_dword v110, off, s[0:3], s32 offset:432 ; 4-byte Folded Spill
	buffer_store_dword v111, off, s[0:3], s32 offset:436 ; 4-byte Folded Spill
.LBB225_240:                            ;   in Loop: Header=BB225_10 Depth=1
	s_or_b32 exec_lo, exec_lo, s24
.LBB225_241:                            ;   in Loop: Header=BB225_10 Depth=1
	s_or_b32 exec_lo, exec_lo, s23
.LBB225_242:                            ;   in Loop: Header=BB225_10 Depth=1
	s_or_b32 exec_lo, exec_lo, s17
	v_cmp_ne_u16_sdwa s6, v0, v111 src0_sel:BYTE_1 src1_sel:DWORD
	s_and_saveexec_b32 s17, s6
	s_cbranch_execz .LBB225_250
; %bb.243:                              ;   in Loop: Header=BB225_10 Depth=1
	v_mov_b32_e32 v114, v111
	v_cmp_ne_u16_sdwa s6, v0, v119 src0_sel:BYTE_1 src1_sel:DWORD
	buffer_store_dword v114, off, s[0:3], s32 offset:440 ; 4-byte Folded Spill
	buffer_store_dword v115, off, s[0:3], s32 offset:444 ; 4-byte Folded Spill
	s_and_saveexec_b32 s23, s6
	s_cbranch_execz .LBB225_249
; %bb.244:                              ;   in Loop: Header=BB225_10 Depth=1
	v_mov_b32_e32 v1, 0xffff
	v_mov_b32_e32 v98, v111
	s_mov_b32 s24, exec_lo
	buffer_store_dword v98, off, s[0:3], s32 offset:440 ; 4-byte Folded Spill
	buffer_store_dword v99, off, s[0:3], s32 offset:444 ; 4-byte Folded Spill
	v_and_b32_sdwa v1, v1, v0 dst_sel:DWORD dst_unused:UNUSED_PAD src0_sel:DWORD src1_sel:BYTE_1
	v_and_b32_e32 v2, 0x7f, v1
	v_cmpx_ne_u32_e32 0x7f, v2
	s_cbranch_execz .LBB225_248
; %bb.245:                              ;   in Loop: Header=BB225_10 Depth=1
	v_and_b32_e32 v110, 7, v1
	v_lshrrev_b32_e32 v1, 3, v2
	s_mov_b32 s25, exec_lo
	v_cmpx_gt_u32_e32 8, v2
; %bb.246:                              ;   in Loop: Header=BB225_10 Depth=1
	v_ffbh_u32_e32 v1, v110
	v_min_u32_e32 v1, 32, v1
	v_subrev_nc_u32_e32 v2, 28, v1
	v_sub_nc_u32_e32 v1, 29, v1
	v_lshlrev_b64 v[2:3], v2, v[110:111]
	v_and_b32_e32 v110, 7, v2
; %bb.247:                              ;   in Loop: Header=BB225_10 Depth=1
	s_or_b32 exec_lo, exec_lo, s25
	v_lshlrev_b32_e32 v0, 16, v0
	v_lshlrev_b32_e32 v2, 20, v110
	v_lshl_add_u32 v1, v1, 23, 0x3c000000
	v_and_b32_e32 v0, 0x80000000, v0
	v_or3_b32 v1, v2, v0, v1
	v_mov_b32_e32 v0, v111
	buffer_store_dword v0, off, s[0:3], s32 offset:440 ; 4-byte Folded Spill
	buffer_store_dword v1, off, s[0:3], s32 offset:444 ; 4-byte Folded Spill
.LBB225_248:                            ;   in Loop: Header=BB225_10 Depth=1
	s_or_b32 exec_lo, exec_lo, s24
.LBB225_249:                            ;   in Loop: Header=BB225_10 Depth=1
	s_or_b32 exec_lo, exec_lo, s23
.LBB225_250:                            ;   in Loop: Header=BB225_10 Depth=1
	s_or_b32 exec_lo, exec_lo, s17
	flat_load_ushort v1, v[116:117] offset:780
	s_waitcnt vmcnt(0) lgkmcnt(0)
	v_and_b32_e32 v0, 0xffff, v1
	v_cmp_ne_u16_sdwa s6, v1, v111 src0_sel:BYTE_0 src1_sel:DWORD
	v_mov_b32_e32 v1, 0
	v_mov_b32_e32 v2, 0
	buffer_store_dword v1, off, s[0:3], s32 offset:456 ; 4-byte Folded Spill
	buffer_store_dword v2, off, s[0:3], s32 offset:460 ; 4-byte Folded Spill
	v_mov_b32_e32 v1, 0
	v_mov_b32_e32 v2, 0
	buffer_store_dword v1, off, s[0:3], s32 offset:448 ; 4-byte Folded Spill
	buffer_store_dword v2, off, s[0:3], s32 offset:452 ; 4-byte Folded Spill
	s_and_saveexec_b32 s17, s6
	s_cbranch_execz .LBB225_258
; %bb.251:                              ;   in Loop: Header=BB225_10 Depth=1
	v_bfrev_b32_e32 v1, 1
	v_mov_b32_e32 v2, 0
	v_cmp_ne_u16_sdwa s6, v0, v119 src0_sel:BYTE_0 src1_sel:DWORD
	buffer_store_dword v1, off, s[0:3], s32 offset:448 ; 4-byte Folded Spill
	buffer_store_dword v2, off, s[0:3], s32 offset:452 ; 4-byte Folded Spill
	s_and_saveexec_b32 s23, s6
	s_cbranch_execz .LBB225_257
; %bb.252:                              ;   in Loop: Header=BB225_10 Depth=1
	v_mov_b32_e32 v3, 0x7f800001
	v_and_b32_e32 v2, 0x7f, v0
	v_mov_b32_e32 v4, 0
	s_mov_b32 s24, exec_lo
	buffer_store_dword v3, off, s[0:3], s32 offset:448 ; 4-byte Folded Spill
	buffer_store_dword v4, off, s[0:3], s32 offset:452 ; 4-byte Folded Spill
	v_cmpx_ne_u32_e32 0x7f, v2
	s_cbranch_execz .LBB225_256
; %bb.253:                              ;   in Loop: Header=BB225_10 Depth=1
	v_and_b32_e32 v110, 7, v0
	v_lshrrev_b32_e32 v1, 3, v2
	s_mov_b32 s25, exec_lo
	v_cmpx_gt_u32_e32 8, v2
; %bb.254:                              ;   in Loop: Header=BB225_10 Depth=1
	v_ffbh_u32_e32 v1, v110
	v_min_u32_e32 v1, 32, v1
	v_subrev_nc_u32_e32 v2, 28, v1
	v_sub_nc_u32_e32 v1, 29, v1
	v_lshlrev_b64 v[2:3], v2, v[110:111]
	v_and_b32_e32 v110, 7, v2
; %bb.255:                              ;   in Loop: Header=BB225_10 Depth=1
	s_or_b32 exec_lo, exec_lo, s25
	v_lshlrev_b32_e32 v2, 24, v0
	v_lshlrev_b32_e32 v3, 20, v110
	v_lshl_add_u32 v1, v1, 23, 0x3c000000
	v_and_b32_e32 v2, 0x80000000, v2
	v_or3_b32 v110, v3, v2, v1
	buffer_store_dword v110, off, s[0:3], s32 offset:448 ; 4-byte Folded Spill
	buffer_store_dword v111, off, s[0:3], s32 offset:452 ; 4-byte Folded Spill
.LBB225_256:                            ;   in Loop: Header=BB225_10 Depth=1
	s_or_b32 exec_lo, exec_lo, s24
.LBB225_257:                            ;   in Loop: Header=BB225_10 Depth=1
	s_or_b32 exec_lo, exec_lo, s23
.LBB225_258:                            ;   in Loop: Header=BB225_10 Depth=1
	s_or_b32 exec_lo, exec_lo, s17
	v_cmp_ne_u16_sdwa s6, v0, v111 src0_sel:BYTE_1 src1_sel:DWORD
	s_and_saveexec_b32 s17, s6
	s_cbranch_execz .LBB225_266
; %bb.259:                              ;   in Loop: Header=BB225_10 Depth=1
	v_mov_b32_e32 v114, v111
	v_cmp_ne_u16_sdwa s6, v0, v119 src0_sel:BYTE_1 src1_sel:DWORD
	buffer_store_dword v114, off, s[0:3], s32 offset:456 ; 4-byte Folded Spill
	buffer_store_dword v115, off, s[0:3], s32 offset:460 ; 4-byte Folded Spill
	s_and_saveexec_b32 s23, s6
	s_cbranch_execz .LBB225_265
; %bb.260:                              ;   in Loop: Header=BB225_10 Depth=1
	v_mov_b32_e32 v1, 0xffff
	v_mov_b32_e32 v98, v111
	s_mov_b32 s24, exec_lo
	buffer_store_dword v98, off, s[0:3], s32 offset:456 ; 4-byte Folded Spill
	buffer_store_dword v99, off, s[0:3], s32 offset:460 ; 4-byte Folded Spill
	v_and_b32_sdwa v1, v1, v0 dst_sel:DWORD dst_unused:UNUSED_PAD src0_sel:DWORD src1_sel:BYTE_1
	v_and_b32_e32 v2, 0x7f, v1
	v_cmpx_ne_u32_e32 0x7f, v2
	s_cbranch_execz .LBB225_264
; %bb.261:                              ;   in Loop: Header=BB225_10 Depth=1
	v_and_b32_e32 v110, 7, v1
	v_lshrrev_b32_e32 v1, 3, v2
	s_mov_b32 s25, exec_lo
	v_cmpx_gt_u32_e32 8, v2
; %bb.262:                              ;   in Loop: Header=BB225_10 Depth=1
	v_ffbh_u32_e32 v1, v110
	v_min_u32_e32 v1, 32, v1
	v_subrev_nc_u32_e32 v2, 28, v1
	v_sub_nc_u32_e32 v1, 29, v1
	v_lshlrev_b64 v[2:3], v2, v[110:111]
	v_and_b32_e32 v110, 7, v2
; %bb.263:                              ;   in Loop: Header=BB225_10 Depth=1
	s_or_b32 exec_lo, exec_lo, s25
	v_lshlrev_b32_e32 v0, 16, v0
	v_lshlrev_b32_e32 v2, 20, v110
	v_lshl_add_u32 v1, v1, 23, 0x3c000000
	v_and_b32_e32 v0, 0x80000000, v0
	v_or3_b32 v1, v2, v0, v1
	v_mov_b32_e32 v0, v111
	buffer_store_dword v0, off, s[0:3], s32 offset:456 ; 4-byte Folded Spill
	buffer_store_dword v1, off, s[0:3], s32 offset:460 ; 4-byte Folded Spill
.LBB225_264:                            ;   in Loop: Header=BB225_10 Depth=1
	s_or_b32 exec_lo, exec_lo, s24
.LBB225_265:                            ;   in Loop: Header=BB225_10 Depth=1
	s_or_b32 exec_lo, exec_lo, s23
.LBB225_266:                            ;   in Loop: Header=BB225_10 Depth=1
	s_or_b32 exec_lo, exec_lo, s17
	flat_load_ushort v1, v[116:117] offset:1024
	s_waitcnt vmcnt(0) lgkmcnt(0)
	v_and_b32_e32 v0, 0xffff, v1
	v_cmp_ne_u16_sdwa s6, v1, v111 src0_sel:BYTE_0 src1_sel:DWORD
	v_mov_b32_e32 v1, 0
	v_mov_b32_e32 v2, 0
	buffer_store_dword v1, off, s[0:3], s32 offset:472 ; 4-byte Folded Spill
	buffer_store_dword v2, off, s[0:3], s32 offset:476 ; 4-byte Folded Spill
	v_mov_b32_e32 v1, 0
	v_mov_b32_e32 v2, 0
	buffer_store_dword v1, off, s[0:3], s32 offset:464 ; 4-byte Folded Spill
	buffer_store_dword v2, off, s[0:3], s32 offset:468 ; 4-byte Folded Spill
	s_and_saveexec_b32 s17, s6
	s_cbranch_execz .LBB225_274
; %bb.267:                              ;   in Loop: Header=BB225_10 Depth=1
	v_bfrev_b32_e32 v1, 1
	v_mov_b32_e32 v2, 0
	v_cmp_ne_u16_sdwa s6, v0, v119 src0_sel:BYTE_0 src1_sel:DWORD
	buffer_store_dword v1, off, s[0:3], s32 offset:464 ; 4-byte Folded Spill
	buffer_store_dword v2, off, s[0:3], s32 offset:468 ; 4-byte Folded Spill
	s_and_saveexec_b32 s23, s6
	s_cbranch_execz .LBB225_273
; %bb.268:                              ;   in Loop: Header=BB225_10 Depth=1
	v_mov_b32_e32 v3, 0x7f800001
	v_and_b32_e32 v2, 0x7f, v0
	v_mov_b32_e32 v4, 0
	s_mov_b32 s24, exec_lo
	buffer_store_dword v3, off, s[0:3], s32 offset:464 ; 4-byte Folded Spill
	buffer_store_dword v4, off, s[0:3], s32 offset:468 ; 4-byte Folded Spill
	v_cmpx_ne_u32_e32 0x7f, v2
	s_cbranch_execz .LBB225_272
; %bb.269:                              ;   in Loop: Header=BB225_10 Depth=1
	v_and_b32_e32 v110, 7, v0
	v_lshrrev_b32_e32 v1, 3, v2
	s_mov_b32 s25, exec_lo
	v_cmpx_gt_u32_e32 8, v2
; %bb.270:                              ;   in Loop: Header=BB225_10 Depth=1
	v_ffbh_u32_e32 v1, v110
	v_min_u32_e32 v1, 32, v1
	v_subrev_nc_u32_e32 v2, 28, v1
	v_sub_nc_u32_e32 v1, 29, v1
	v_lshlrev_b64 v[2:3], v2, v[110:111]
	v_and_b32_e32 v110, 7, v2
; %bb.271:                              ;   in Loop: Header=BB225_10 Depth=1
	s_or_b32 exec_lo, exec_lo, s25
	v_lshlrev_b32_e32 v2, 24, v0
	v_lshlrev_b32_e32 v3, 20, v110
	v_lshl_add_u32 v1, v1, 23, 0x3c000000
	v_and_b32_e32 v2, 0x80000000, v2
	v_or3_b32 v110, v3, v2, v1
	buffer_store_dword v110, off, s[0:3], s32 offset:464 ; 4-byte Folded Spill
	buffer_store_dword v111, off, s[0:3], s32 offset:468 ; 4-byte Folded Spill
.LBB225_272:                            ;   in Loop: Header=BB225_10 Depth=1
	s_or_b32 exec_lo, exec_lo, s24
.LBB225_273:                            ;   in Loop: Header=BB225_10 Depth=1
	s_or_b32 exec_lo, exec_lo, s23
.LBB225_274:                            ;   in Loop: Header=BB225_10 Depth=1
	s_or_b32 exec_lo, exec_lo, s17
	v_cmp_ne_u16_sdwa s6, v0, v111 src0_sel:BYTE_1 src1_sel:DWORD
	s_and_saveexec_b32 s17, s6
	s_cbranch_execz .LBB225_282
; %bb.275:                              ;   in Loop: Header=BB225_10 Depth=1
	v_mov_b32_e32 v114, v111
	v_cmp_ne_u16_sdwa s6, v0, v119 src0_sel:BYTE_1 src1_sel:DWORD
	buffer_store_dword v114, off, s[0:3], s32 offset:472 ; 4-byte Folded Spill
	buffer_store_dword v115, off, s[0:3], s32 offset:476 ; 4-byte Folded Spill
	s_and_saveexec_b32 s23, s6
	s_cbranch_execz .LBB225_281
; %bb.276:                              ;   in Loop: Header=BB225_10 Depth=1
	v_mov_b32_e32 v1, 0xffff
	v_mov_b32_e32 v98, v111
	s_mov_b32 s24, exec_lo
	buffer_store_dword v98, off, s[0:3], s32 offset:472 ; 4-byte Folded Spill
	buffer_store_dword v99, off, s[0:3], s32 offset:476 ; 4-byte Folded Spill
	v_and_b32_sdwa v1, v1, v0 dst_sel:DWORD dst_unused:UNUSED_PAD src0_sel:DWORD src1_sel:BYTE_1
	v_and_b32_e32 v2, 0x7f, v1
	v_cmpx_ne_u32_e32 0x7f, v2
	s_cbranch_execz .LBB225_280
; %bb.277:                              ;   in Loop: Header=BB225_10 Depth=1
	v_and_b32_e32 v110, 7, v1
	v_lshrrev_b32_e32 v1, 3, v2
	s_mov_b32 s25, exec_lo
	v_cmpx_gt_u32_e32 8, v2
; %bb.278:                              ;   in Loop: Header=BB225_10 Depth=1
	v_ffbh_u32_e32 v1, v110
	v_min_u32_e32 v1, 32, v1
	v_subrev_nc_u32_e32 v2, 28, v1
	v_sub_nc_u32_e32 v1, 29, v1
	v_lshlrev_b64 v[2:3], v2, v[110:111]
	v_and_b32_e32 v110, 7, v2
; %bb.279:                              ;   in Loop: Header=BB225_10 Depth=1
	s_or_b32 exec_lo, exec_lo, s25
	v_lshlrev_b32_e32 v0, 16, v0
	v_lshlrev_b32_e32 v2, 20, v110
	v_lshl_add_u32 v1, v1, 23, 0x3c000000
	v_and_b32_e32 v0, 0x80000000, v0
	v_or3_b32 v1, v2, v0, v1
	v_mov_b32_e32 v0, v111
	buffer_store_dword v0, off, s[0:3], s32 offset:472 ; 4-byte Folded Spill
	buffer_store_dword v1, off, s[0:3], s32 offset:476 ; 4-byte Folded Spill
.LBB225_280:                            ;   in Loop: Header=BB225_10 Depth=1
	s_or_b32 exec_lo, exec_lo, s24
.LBB225_281:                            ;   in Loop: Header=BB225_10 Depth=1
	s_or_b32 exec_lo, exec_lo, s23
.LBB225_282:                            ;   in Loop: Header=BB225_10 Depth=1
	s_or_b32 exec_lo, exec_lo, s17
	flat_load_ushort v1, v[116:117] offset:1028
	s_waitcnt vmcnt(0) lgkmcnt(0)
	v_and_b32_e32 v0, 0xffff, v1
	v_cmp_ne_u16_sdwa s6, v1, v111 src0_sel:BYTE_0 src1_sel:DWORD
	v_mov_b32_e32 v1, 0
	v_mov_b32_e32 v2, 0
	buffer_store_dword v1, off, s[0:3], s32 offset:488 ; 4-byte Folded Spill
	buffer_store_dword v2, off, s[0:3], s32 offset:492 ; 4-byte Folded Spill
	v_mov_b32_e32 v1, 0
	v_mov_b32_e32 v2, 0
	buffer_store_dword v1, off, s[0:3], s32 offset:480 ; 4-byte Folded Spill
	buffer_store_dword v2, off, s[0:3], s32 offset:484 ; 4-byte Folded Spill
	s_and_saveexec_b32 s17, s6
	s_cbranch_execz .LBB225_290
; %bb.283:                              ;   in Loop: Header=BB225_10 Depth=1
	v_bfrev_b32_e32 v1, 1
	v_mov_b32_e32 v2, 0
	v_cmp_ne_u16_sdwa s6, v0, v119 src0_sel:BYTE_0 src1_sel:DWORD
	buffer_store_dword v1, off, s[0:3], s32 offset:480 ; 4-byte Folded Spill
	buffer_store_dword v2, off, s[0:3], s32 offset:484 ; 4-byte Folded Spill
	s_and_saveexec_b32 s23, s6
	s_cbranch_execz .LBB225_289
; %bb.284:                              ;   in Loop: Header=BB225_10 Depth=1
	v_mov_b32_e32 v3, 0x7f800001
	v_and_b32_e32 v2, 0x7f, v0
	v_mov_b32_e32 v4, 0
	s_mov_b32 s24, exec_lo
	buffer_store_dword v3, off, s[0:3], s32 offset:480 ; 4-byte Folded Spill
	buffer_store_dword v4, off, s[0:3], s32 offset:484 ; 4-byte Folded Spill
	v_cmpx_ne_u32_e32 0x7f, v2
	s_cbranch_execz .LBB225_288
; %bb.285:                              ;   in Loop: Header=BB225_10 Depth=1
	v_and_b32_e32 v110, 7, v0
	v_lshrrev_b32_e32 v1, 3, v2
	s_mov_b32 s25, exec_lo
	v_cmpx_gt_u32_e32 8, v2
; %bb.286:                              ;   in Loop: Header=BB225_10 Depth=1
	v_ffbh_u32_e32 v1, v110
	v_min_u32_e32 v1, 32, v1
	v_subrev_nc_u32_e32 v2, 28, v1
	v_sub_nc_u32_e32 v1, 29, v1
	v_lshlrev_b64 v[2:3], v2, v[110:111]
	v_and_b32_e32 v110, 7, v2
; %bb.287:                              ;   in Loop: Header=BB225_10 Depth=1
	s_or_b32 exec_lo, exec_lo, s25
	v_lshlrev_b32_e32 v2, 24, v0
	v_lshlrev_b32_e32 v3, 20, v110
	v_lshl_add_u32 v1, v1, 23, 0x3c000000
	v_and_b32_e32 v2, 0x80000000, v2
	v_or3_b32 v110, v3, v2, v1
	buffer_store_dword v110, off, s[0:3], s32 offset:480 ; 4-byte Folded Spill
	buffer_store_dword v111, off, s[0:3], s32 offset:484 ; 4-byte Folded Spill
.LBB225_288:                            ;   in Loop: Header=BB225_10 Depth=1
	s_or_b32 exec_lo, exec_lo, s24
.LBB225_289:                            ;   in Loop: Header=BB225_10 Depth=1
	s_or_b32 exec_lo, exec_lo, s23
.LBB225_290:                            ;   in Loop: Header=BB225_10 Depth=1
	s_or_b32 exec_lo, exec_lo, s17
	v_cmp_ne_u16_sdwa s6, v0, v111 src0_sel:BYTE_1 src1_sel:DWORD
	s_and_saveexec_b32 s17, s6
	s_cbranch_execz .LBB225_298
; %bb.291:                              ;   in Loop: Header=BB225_10 Depth=1
	v_mov_b32_e32 v114, v111
	v_cmp_ne_u16_sdwa s6, v0, v119 src0_sel:BYTE_1 src1_sel:DWORD
	buffer_store_dword v114, off, s[0:3], s32 offset:488 ; 4-byte Folded Spill
	buffer_store_dword v115, off, s[0:3], s32 offset:492 ; 4-byte Folded Spill
	s_and_saveexec_b32 s23, s6
	s_cbranch_execz .LBB225_297
; %bb.292:                              ;   in Loop: Header=BB225_10 Depth=1
	v_mov_b32_e32 v1, 0xffff
	v_mov_b32_e32 v98, v111
	s_mov_b32 s24, exec_lo
	buffer_store_dword v98, off, s[0:3], s32 offset:488 ; 4-byte Folded Spill
	buffer_store_dword v99, off, s[0:3], s32 offset:492 ; 4-byte Folded Spill
	v_and_b32_sdwa v1, v1, v0 dst_sel:DWORD dst_unused:UNUSED_PAD src0_sel:DWORD src1_sel:BYTE_1
	v_and_b32_e32 v2, 0x7f, v1
	v_cmpx_ne_u32_e32 0x7f, v2
	s_cbranch_execz .LBB225_296
; %bb.293:                              ;   in Loop: Header=BB225_10 Depth=1
	v_and_b32_e32 v110, 7, v1
	v_lshrrev_b32_e32 v1, 3, v2
	s_mov_b32 s25, exec_lo
	v_cmpx_gt_u32_e32 8, v2
; %bb.294:                              ;   in Loop: Header=BB225_10 Depth=1
	v_ffbh_u32_e32 v1, v110
	v_min_u32_e32 v1, 32, v1
	v_subrev_nc_u32_e32 v2, 28, v1
	v_sub_nc_u32_e32 v1, 29, v1
	v_lshlrev_b64 v[2:3], v2, v[110:111]
	v_and_b32_e32 v110, 7, v2
; %bb.295:                              ;   in Loop: Header=BB225_10 Depth=1
	s_or_b32 exec_lo, exec_lo, s25
	v_lshlrev_b32_e32 v0, 16, v0
	v_lshlrev_b32_e32 v2, 20, v110
	v_lshl_add_u32 v1, v1, 23, 0x3c000000
	v_and_b32_e32 v0, 0x80000000, v0
	v_or3_b32 v1, v2, v0, v1
	v_mov_b32_e32 v0, v111
	buffer_store_dword v0, off, s[0:3], s32 offset:488 ; 4-byte Folded Spill
	buffer_store_dword v1, off, s[0:3], s32 offset:492 ; 4-byte Folded Spill
.LBB225_296:                            ;   in Loop: Header=BB225_10 Depth=1
	s_or_b32 exec_lo, exec_lo, s24
.LBB225_297:                            ;   in Loop: Header=BB225_10 Depth=1
	s_or_b32 exec_lo, exec_lo, s23
.LBB225_298:                            ;   in Loop: Header=BB225_10 Depth=1
	s_or_b32 exec_lo, exec_lo, s17
	flat_load_ushort v1, v[116:117] offset:1032
	s_waitcnt vmcnt(0) lgkmcnt(0)
	v_and_b32_e32 v0, 0xffff, v1
	v_cmp_ne_u16_sdwa s6, v1, v111 src0_sel:BYTE_0 src1_sel:DWORD
	v_mov_b32_e32 v1, 0
	v_mov_b32_e32 v2, 0
	buffer_store_dword v1, off, s[0:3], s32 offset:504 ; 4-byte Folded Spill
	buffer_store_dword v2, off, s[0:3], s32 offset:508 ; 4-byte Folded Spill
	v_mov_b32_e32 v1, 0
	v_mov_b32_e32 v2, 0
	buffer_store_dword v1, off, s[0:3], s32 offset:496 ; 4-byte Folded Spill
	buffer_store_dword v2, off, s[0:3], s32 offset:500 ; 4-byte Folded Spill
	s_and_saveexec_b32 s17, s6
	s_cbranch_execz .LBB225_306
; %bb.299:                              ;   in Loop: Header=BB225_10 Depth=1
	v_bfrev_b32_e32 v1, 1
	v_mov_b32_e32 v2, 0
	v_cmp_ne_u16_sdwa s6, v0, v119 src0_sel:BYTE_0 src1_sel:DWORD
	buffer_store_dword v1, off, s[0:3], s32 offset:496 ; 4-byte Folded Spill
	buffer_store_dword v2, off, s[0:3], s32 offset:500 ; 4-byte Folded Spill
	s_and_saveexec_b32 s23, s6
	s_cbranch_execz .LBB225_305
; %bb.300:                              ;   in Loop: Header=BB225_10 Depth=1
	v_mov_b32_e32 v3, 0x7f800001
	v_and_b32_e32 v2, 0x7f, v0
	v_mov_b32_e32 v4, 0
	s_mov_b32 s24, exec_lo
	buffer_store_dword v3, off, s[0:3], s32 offset:496 ; 4-byte Folded Spill
	buffer_store_dword v4, off, s[0:3], s32 offset:500 ; 4-byte Folded Spill
	v_cmpx_ne_u32_e32 0x7f, v2
	s_cbranch_execz .LBB225_304
; %bb.301:                              ;   in Loop: Header=BB225_10 Depth=1
	v_and_b32_e32 v110, 7, v0
	v_lshrrev_b32_e32 v1, 3, v2
	s_mov_b32 s25, exec_lo
	v_cmpx_gt_u32_e32 8, v2
; %bb.302:                              ;   in Loop: Header=BB225_10 Depth=1
	v_ffbh_u32_e32 v1, v110
	v_min_u32_e32 v1, 32, v1
	v_subrev_nc_u32_e32 v2, 28, v1
	v_sub_nc_u32_e32 v1, 29, v1
	v_lshlrev_b64 v[2:3], v2, v[110:111]
	v_and_b32_e32 v110, 7, v2
; %bb.303:                              ;   in Loop: Header=BB225_10 Depth=1
	s_or_b32 exec_lo, exec_lo, s25
	v_lshlrev_b32_e32 v2, 24, v0
	v_lshlrev_b32_e32 v3, 20, v110
	v_lshl_add_u32 v1, v1, 23, 0x3c000000
	v_and_b32_e32 v2, 0x80000000, v2
	v_or3_b32 v110, v3, v2, v1
	buffer_store_dword v110, off, s[0:3], s32 offset:496 ; 4-byte Folded Spill
	buffer_store_dword v111, off, s[0:3], s32 offset:500 ; 4-byte Folded Spill
.LBB225_304:                            ;   in Loop: Header=BB225_10 Depth=1
	s_or_b32 exec_lo, exec_lo, s24
.LBB225_305:                            ;   in Loop: Header=BB225_10 Depth=1
	s_or_b32 exec_lo, exec_lo, s23
.LBB225_306:                            ;   in Loop: Header=BB225_10 Depth=1
	s_or_b32 exec_lo, exec_lo, s17
	v_cmp_ne_u16_sdwa s6, v0, v111 src0_sel:BYTE_1 src1_sel:DWORD
	s_and_saveexec_b32 s17, s6
	s_cbranch_execz .LBB225_314
; %bb.307:                              ;   in Loop: Header=BB225_10 Depth=1
	v_mov_b32_e32 v114, v111
	v_cmp_ne_u16_sdwa s6, v0, v119 src0_sel:BYTE_1 src1_sel:DWORD
	buffer_store_dword v114, off, s[0:3], s32 offset:504 ; 4-byte Folded Spill
	buffer_store_dword v115, off, s[0:3], s32 offset:508 ; 4-byte Folded Spill
	s_and_saveexec_b32 s23, s6
	s_cbranch_execz .LBB225_313
; %bb.308:                              ;   in Loop: Header=BB225_10 Depth=1
	v_mov_b32_e32 v1, 0xffff
	v_mov_b32_e32 v98, v111
	s_mov_b32 s24, exec_lo
	buffer_store_dword v98, off, s[0:3], s32 offset:504 ; 4-byte Folded Spill
	buffer_store_dword v99, off, s[0:3], s32 offset:508 ; 4-byte Folded Spill
	v_and_b32_sdwa v1, v1, v0 dst_sel:DWORD dst_unused:UNUSED_PAD src0_sel:DWORD src1_sel:BYTE_1
	v_and_b32_e32 v2, 0x7f, v1
	v_cmpx_ne_u32_e32 0x7f, v2
	s_cbranch_execz .LBB225_312
; %bb.309:                              ;   in Loop: Header=BB225_10 Depth=1
	v_and_b32_e32 v110, 7, v1
	v_lshrrev_b32_e32 v1, 3, v2
	s_mov_b32 s25, exec_lo
	v_cmpx_gt_u32_e32 8, v2
; %bb.310:                              ;   in Loop: Header=BB225_10 Depth=1
	v_ffbh_u32_e32 v1, v110
	v_min_u32_e32 v1, 32, v1
	v_subrev_nc_u32_e32 v2, 28, v1
	v_sub_nc_u32_e32 v1, 29, v1
	v_lshlrev_b64 v[2:3], v2, v[110:111]
	v_and_b32_e32 v110, 7, v2
; %bb.311:                              ;   in Loop: Header=BB225_10 Depth=1
	s_or_b32 exec_lo, exec_lo, s25
	v_lshlrev_b32_e32 v0, 16, v0
	v_lshlrev_b32_e32 v2, 20, v110
	v_lshl_add_u32 v1, v1, 23, 0x3c000000
	v_and_b32_e32 v0, 0x80000000, v0
	v_or3_b32 v1, v2, v0, v1
	v_mov_b32_e32 v0, v111
	buffer_store_dword v0, off, s[0:3], s32 offset:504 ; 4-byte Folded Spill
	buffer_store_dword v1, off, s[0:3], s32 offset:508 ; 4-byte Folded Spill
.LBB225_312:                            ;   in Loop: Header=BB225_10 Depth=1
	s_or_b32 exec_lo, exec_lo, s24
.LBB225_313:                            ;   in Loop: Header=BB225_10 Depth=1
	s_or_b32 exec_lo, exec_lo, s23
.LBB225_314:                            ;   in Loop: Header=BB225_10 Depth=1
	s_or_b32 exec_lo, exec_lo, s17
	flat_load_ushort v1, v[116:117] offset:1036
	v_mov_b32_e32 v44, 0
	v_mov_b32_e32 v45, 0
	s_waitcnt vmcnt(0) lgkmcnt(0)
	v_and_b32_e32 v0, 0xffff, v1
	v_cmp_ne_u16_sdwa s6, v1, v111 src0_sel:BYTE_0 src1_sel:DWORD
	v_mov_b32_e32 v1, 0
	v_mov_b32_e32 v2, 0
	buffer_store_dword v1, off, s[0:3], s32 offset:512 ; 4-byte Folded Spill
	buffer_store_dword v2, off, s[0:3], s32 offset:516 ; 4-byte Folded Spill
	s_and_saveexec_b32 s17, s6
	s_cbranch_execz .LBB225_322
; %bb.315:                              ;   in Loop: Header=BB225_10 Depth=1
	v_bfrev_b32_e32 v1, 1
	v_mov_b32_e32 v2, 0
	v_cmp_ne_u16_sdwa s6, v0, v119 src0_sel:BYTE_0 src1_sel:DWORD
	buffer_store_dword v1, off, s[0:3], s32 offset:512 ; 4-byte Folded Spill
	buffer_store_dword v2, off, s[0:3], s32 offset:516 ; 4-byte Folded Spill
	s_and_saveexec_b32 s23, s6
	s_cbranch_execz .LBB225_321
; %bb.316:                              ;   in Loop: Header=BB225_10 Depth=1
	v_mov_b32_e32 v3, 0x7f800001
	v_and_b32_e32 v2, 0x7f, v0
	v_mov_b32_e32 v4, 0
	s_mov_b32 s24, exec_lo
	buffer_store_dword v3, off, s[0:3], s32 offset:512 ; 4-byte Folded Spill
	buffer_store_dword v4, off, s[0:3], s32 offset:516 ; 4-byte Folded Spill
	v_cmpx_ne_u32_e32 0x7f, v2
	s_cbranch_execz .LBB225_320
; %bb.317:                              ;   in Loop: Header=BB225_10 Depth=1
	v_and_b32_e32 v110, 7, v0
	v_lshrrev_b32_e32 v1, 3, v2
	s_mov_b32 s25, exec_lo
	v_cmpx_gt_u32_e32 8, v2
; %bb.318:                              ;   in Loop: Header=BB225_10 Depth=1
	v_ffbh_u32_e32 v1, v110
	v_min_u32_e32 v1, 32, v1
	v_subrev_nc_u32_e32 v2, 28, v1
	v_sub_nc_u32_e32 v1, 29, v1
	v_lshlrev_b64 v[2:3], v2, v[110:111]
	v_and_b32_e32 v110, 7, v2
; %bb.319:                              ;   in Loop: Header=BB225_10 Depth=1
	s_or_b32 exec_lo, exec_lo, s25
	v_lshlrev_b32_e32 v2, 24, v0
	v_lshlrev_b32_e32 v3, 20, v110
	v_lshl_add_u32 v1, v1, 23, 0x3c000000
	v_and_b32_e32 v2, 0x80000000, v2
	v_or3_b32 v110, v3, v2, v1
	buffer_store_dword v110, off, s[0:3], s32 offset:512 ; 4-byte Folded Spill
	buffer_store_dword v111, off, s[0:3], s32 offset:516 ; 4-byte Folded Spill
.LBB225_320:                            ;   in Loop: Header=BB225_10 Depth=1
	s_or_b32 exec_lo, exec_lo, s24
.LBB225_321:                            ;   in Loop: Header=BB225_10 Depth=1
	s_or_b32 exec_lo, exec_lo, s23
.LBB225_322:                            ;   in Loop: Header=BB225_10 Depth=1
	s_or_b32 exec_lo, exec_lo, s17
	v_cmp_ne_u16_sdwa s6, v0, v111 src0_sel:BYTE_1 src1_sel:DWORD
	s_and_saveexec_b32 s17, s6
	s_cbranch_execz .LBB225_330
; %bb.323:                              ;   in Loop: Header=BB225_10 Depth=1
	v_mov_b32_e32 v114, v111
	v_cmp_ne_u16_sdwa s6, v0, v119 src0_sel:BYTE_1 src1_sel:DWORD
	v_mov_b32_e32 v44, v114
	v_mov_b32_e32 v45, v115
	s_and_saveexec_b32 s23, s6
	s_cbranch_execz .LBB225_329
; %bb.324:                              ;   in Loop: Header=BB225_10 Depth=1
	v_mov_b32_e32 v1, 0xffff
	v_mov_b32_e32 v98, v111
	s_mov_b32 s24, exec_lo
	v_and_b32_sdwa v1, v1, v0 dst_sel:DWORD dst_unused:UNUSED_PAD src0_sel:DWORD src1_sel:BYTE_1
	v_mov_b32_e32 v44, v98
	v_mov_b32_e32 v45, v99
	v_and_b32_e32 v2, 0x7f, v1
	v_cmpx_ne_u32_e32 0x7f, v2
	s_cbranch_execz .LBB225_328
; %bb.325:                              ;   in Loop: Header=BB225_10 Depth=1
	v_and_b32_e32 v110, 7, v1
	v_lshrrev_b32_e32 v1, 3, v2
	s_mov_b32 s25, exec_lo
	v_cmpx_gt_u32_e32 8, v2
; %bb.326:                              ;   in Loop: Header=BB225_10 Depth=1
	v_ffbh_u32_e32 v1, v110
	v_min_u32_e32 v1, 32, v1
	v_subrev_nc_u32_e32 v2, 28, v1
	v_sub_nc_u32_e32 v1, 29, v1
	v_lshlrev_b64 v[2:3], v2, v[110:111]
	v_and_b32_e32 v110, 7, v2
; %bb.327:                              ;   in Loop: Header=BB225_10 Depth=1
	s_or_b32 exec_lo, exec_lo, s25
	v_lshlrev_b32_e32 v0, 16, v0
	v_lshlrev_b32_e32 v2, 20, v110
	v_lshl_add_u32 v1, v1, 23, 0x3c000000
	v_mov_b32_e32 v44, v111
	v_and_b32_e32 v0, 0x80000000, v0
	v_or3_b32 v45, v2, v0, v1
.LBB225_328:                            ;   in Loop: Header=BB225_10 Depth=1
	s_or_b32 exec_lo, exec_lo, s24
.LBB225_329:                            ;   in Loop: Header=BB225_10 Depth=1
	s_or_b32 exec_lo, exec_lo, s23
.LBB225_330:                            ;   in Loop: Header=BB225_10 Depth=1
	s_or_b32 exec_lo, exec_lo, s17
	flat_load_ushort v1, v[116:117] offset:1280
	v_mov_b32_e32 v56, 0
	v_mov_b32_e32 v57, 0
	s_waitcnt vmcnt(0) lgkmcnt(0)
	v_and_b32_e32 v0, 0xffff, v1
	v_cmp_ne_u16_sdwa s6, v1, v111 src0_sel:BYTE_0 src1_sel:DWORD
	v_mov_b32_e32 v1, 0
	v_mov_b32_e32 v2, 0
	buffer_store_dword v1, off, s[0:3], s32 offset:520 ; 4-byte Folded Spill
	buffer_store_dword v2, off, s[0:3], s32 offset:524 ; 4-byte Folded Spill
	s_and_saveexec_b32 s17, s6
	s_cbranch_execz .LBB225_338
; %bb.331:                              ;   in Loop: Header=BB225_10 Depth=1
	v_bfrev_b32_e32 v1, 1
	v_mov_b32_e32 v2, 0
	v_cmp_ne_u16_sdwa s6, v0, v119 src0_sel:BYTE_0 src1_sel:DWORD
	buffer_store_dword v1, off, s[0:3], s32 offset:520 ; 4-byte Folded Spill
	buffer_store_dword v2, off, s[0:3], s32 offset:524 ; 4-byte Folded Spill
	s_and_saveexec_b32 s23, s6
	s_cbranch_execz .LBB225_337
; %bb.332:                              ;   in Loop: Header=BB225_10 Depth=1
	v_mov_b32_e32 v3, 0x7f800001
	v_and_b32_e32 v2, 0x7f, v0
	v_mov_b32_e32 v4, 0
	s_mov_b32 s24, exec_lo
	buffer_store_dword v3, off, s[0:3], s32 offset:520 ; 4-byte Folded Spill
	buffer_store_dword v4, off, s[0:3], s32 offset:524 ; 4-byte Folded Spill
	v_cmpx_ne_u32_e32 0x7f, v2
	s_cbranch_execz .LBB225_336
; %bb.333:                              ;   in Loop: Header=BB225_10 Depth=1
	v_and_b32_e32 v110, 7, v0
	v_lshrrev_b32_e32 v1, 3, v2
	s_mov_b32 s25, exec_lo
	v_cmpx_gt_u32_e32 8, v2
; %bb.334:                              ;   in Loop: Header=BB225_10 Depth=1
	v_ffbh_u32_e32 v1, v110
	v_min_u32_e32 v1, 32, v1
	v_subrev_nc_u32_e32 v2, 28, v1
	v_sub_nc_u32_e32 v1, 29, v1
	v_lshlrev_b64 v[2:3], v2, v[110:111]
	v_and_b32_e32 v110, 7, v2
; %bb.335:                              ;   in Loop: Header=BB225_10 Depth=1
	s_or_b32 exec_lo, exec_lo, s25
	v_lshlrev_b32_e32 v2, 24, v0
	v_lshlrev_b32_e32 v3, 20, v110
	v_lshl_add_u32 v1, v1, 23, 0x3c000000
	v_and_b32_e32 v2, 0x80000000, v2
	v_or3_b32 v110, v3, v2, v1
	buffer_store_dword v110, off, s[0:3], s32 offset:520 ; 4-byte Folded Spill
	buffer_store_dword v111, off, s[0:3], s32 offset:524 ; 4-byte Folded Spill
.LBB225_336:                            ;   in Loop: Header=BB225_10 Depth=1
	s_or_b32 exec_lo, exec_lo, s24
.LBB225_337:                            ;   in Loop: Header=BB225_10 Depth=1
	s_or_b32 exec_lo, exec_lo, s23
.LBB225_338:                            ;   in Loop: Header=BB225_10 Depth=1
	s_or_b32 exec_lo, exec_lo, s17
	v_cmp_ne_u16_sdwa s6, v0, v111 src0_sel:BYTE_1 src1_sel:DWORD
	s_and_saveexec_b32 s17, s6
	s_cbranch_execz .LBB225_346
; %bb.339:                              ;   in Loop: Header=BB225_10 Depth=1
	v_mov_b32_e32 v114, v111
	v_cmp_ne_u16_sdwa s6, v0, v119 src0_sel:BYTE_1 src1_sel:DWORD
	v_mov_b32_e32 v56, v114
	v_mov_b32_e32 v57, v115
	s_and_saveexec_b32 s23, s6
	s_cbranch_execz .LBB225_345
; %bb.340:                              ;   in Loop: Header=BB225_10 Depth=1
	v_mov_b32_e32 v1, 0xffff
	v_mov_b32_e32 v98, v111
	s_mov_b32 s24, exec_lo
	v_and_b32_sdwa v1, v1, v0 dst_sel:DWORD dst_unused:UNUSED_PAD src0_sel:DWORD src1_sel:BYTE_1
	v_mov_b32_e32 v56, v98
	v_mov_b32_e32 v57, v99
	v_and_b32_e32 v2, 0x7f, v1
	v_cmpx_ne_u32_e32 0x7f, v2
	s_cbranch_execz .LBB225_344
; %bb.341:                              ;   in Loop: Header=BB225_10 Depth=1
	v_and_b32_e32 v110, 7, v1
	v_lshrrev_b32_e32 v1, 3, v2
	s_mov_b32 s25, exec_lo
	v_cmpx_gt_u32_e32 8, v2
; %bb.342:                              ;   in Loop: Header=BB225_10 Depth=1
	v_ffbh_u32_e32 v1, v110
	v_min_u32_e32 v1, 32, v1
	v_subrev_nc_u32_e32 v2, 28, v1
	v_sub_nc_u32_e32 v1, 29, v1
	v_lshlrev_b64 v[2:3], v2, v[110:111]
	v_and_b32_e32 v110, 7, v2
; %bb.343:                              ;   in Loop: Header=BB225_10 Depth=1
	s_or_b32 exec_lo, exec_lo, s25
	v_lshlrev_b32_e32 v0, 16, v0
	v_lshlrev_b32_e32 v2, 20, v110
	v_lshl_add_u32 v1, v1, 23, 0x3c000000
	v_mov_b32_e32 v56, v111
	v_and_b32_e32 v0, 0x80000000, v0
	v_or3_b32 v57, v2, v0, v1
.LBB225_344:                            ;   in Loop: Header=BB225_10 Depth=1
	s_or_b32 exec_lo, exec_lo, s24
.LBB225_345:                            ;   in Loop: Header=BB225_10 Depth=1
	s_or_b32 exec_lo, exec_lo, s23
.LBB225_346:                            ;   in Loop: Header=BB225_10 Depth=1
	s_or_b32 exec_lo, exec_lo, s17
	flat_load_ushort v1, v[116:117] offset:1284
	v_mov_b32_e32 v60, 0
	v_mov_b32_e32 v58, 0
	;; [unrolled: 1-line block ×4, first 2 shown]
	s_waitcnt vmcnt(0) lgkmcnt(0)
	v_and_b32_e32 v0, 0xffff, v1
	v_cmp_ne_u16_sdwa s6, v1, v111 src0_sel:BYTE_0 src1_sel:DWORD
	s_and_saveexec_b32 s17, s6
	s_cbranch_execz .LBB225_354
; %bb.347:                              ;   in Loop: Header=BB225_10 Depth=1
	v_bfrev_b32_e32 v58, 1
	v_mov_b32_e32 v59, 0
	v_cmp_ne_u16_sdwa s6, v0, v119 src0_sel:BYTE_0 src1_sel:DWORD
	s_and_saveexec_b32 s23, s6
	s_cbranch_execz .LBB225_353
; %bb.348:                              ;   in Loop: Header=BB225_10 Depth=1
	v_mov_b32_e32 v58, 0x7f800001
	v_and_b32_e32 v2, 0x7f, v0
	v_mov_b32_e32 v59, 0
	s_mov_b32 s24, exec_lo
	v_cmpx_ne_u32_e32 0x7f, v2
	s_cbranch_execz .LBB225_352
; %bb.349:                              ;   in Loop: Header=BB225_10 Depth=1
	v_and_b32_e32 v110, 7, v0
	v_lshrrev_b32_e32 v1, 3, v2
	s_mov_b32 s25, exec_lo
	v_cmpx_gt_u32_e32 8, v2
; %bb.350:                              ;   in Loop: Header=BB225_10 Depth=1
	v_ffbh_u32_e32 v1, v110
	v_min_u32_e32 v1, 32, v1
	v_subrev_nc_u32_e32 v2, 28, v1
	v_sub_nc_u32_e32 v1, 29, v1
	v_lshlrev_b64 v[2:3], v2, v[110:111]
	v_and_b32_e32 v110, 7, v2
; %bb.351:                              ;   in Loop: Header=BB225_10 Depth=1
	s_or_b32 exec_lo, exec_lo, s25
	v_lshlrev_b32_e32 v2, 24, v0
	v_lshlrev_b32_e32 v3, 20, v110
	v_lshl_add_u32 v1, v1, 23, 0x3c000000
	v_and_b32_e32 v2, 0x80000000, v2
	v_or3_b32 v110, v3, v2, v1
	v_mov_b32_e32 v58, v110
	v_mov_b32_e32 v59, v111
.LBB225_352:                            ;   in Loop: Header=BB225_10 Depth=1
	s_or_b32 exec_lo, exec_lo, s24
.LBB225_353:                            ;   in Loop: Header=BB225_10 Depth=1
	s_or_b32 exec_lo, exec_lo, s23
.LBB225_354:                            ;   in Loop: Header=BB225_10 Depth=1
	s_or_b32 exec_lo, exec_lo, s17
	v_cmp_ne_u16_sdwa s6, v0, v111 src0_sel:BYTE_1 src1_sel:DWORD
	s_and_saveexec_b32 s17, s6
	s_cbranch_execz .LBB225_362
; %bb.355:                              ;   in Loop: Header=BB225_10 Depth=1
	v_mov_b32_e32 v114, v111
	v_cmp_ne_u16_sdwa s6, v0, v119 src0_sel:BYTE_1 src1_sel:DWORD
	v_mov_b32_e32 v60, v114
	v_mov_b32_e32 v61, v115
	s_and_saveexec_b32 s23, s6
	s_cbranch_execz .LBB225_361
; %bb.356:                              ;   in Loop: Header=BB225_10 Depth=1
	v_mov_b32_e32 v1, 0xffff
	v_mov_b32_e32 v98, v111
	s_mov_b32 s24, exec_lo
	v_and_b32_sdwa v1, v1, v0 dst_sel:DWORD dst_unused:UNUSED_PAD src0_sel:DWORD src1_sel:BYTE_1
	v_mov_b32_e32 v60, v98
	v_mov_b32_e32 v61, v99
	v_and_b32_e32 v2, 0x7f, v1
	v_cmpx_ne_u32_e32 0x7f, v2
	s_cbranch_execz .LBB225_360
; %bb.357:                              ;   in Loop: Header=BB225_10 Depth=1
	v_and_b32_e32 v110, 7, v1
	v_lshrrev_b32_e32 v1, 3, v2
	s_mov_b32 s25, exec_lo
	v_cmpx_gt_u32_e32 8, v2
; %bb.358:                              ;   in Loop: Header=BB225_10 Depth=1
	v_ffbh_u32_e32 v1, v110
	v_min_u32_e32 v1, 32, v1
	v_subrev_nc_u32_e32 v2, 28, v1
	v_sub_nc_u32_e32 v1, 29, v1
	v_lshlrev_b64 v[2:3], v2, v[110:111]
	v_and_b32_e32 v110, 7, v2
; %bb.359:                              ;   in Loop: Header=BB225_10 Depth=1
	s_or_b32 exec_lo, exec_lo, s25
	v_lshlrev_b32_e32 v0, 16, v0
	v_lshlrev_b32_e32 v2, 20, v110
	v_lshl_add_u32 v1, v1, 23, 0x3c000000
	v_mov_b32_e32 v60, v111
	v_and_b32_e32 v0, 0x80000000, v0
	v_or3_b32 v61, v2, v0, v1
.LBB225_360:                            ;   in Loop: Header=BB225_10 Depth=1
	s_or_b32 exec_lo, exec_lo, s24
.LBB225_361:                            ;   in Loop: Header=BB225_10 Depth=1
	s_or_b32 exec_lo, exec_lo, s23
.LBB225_362:                            ;   in Loop: Header=BB225_10 Depth=1
	s_or_b32 exec_lo, exec_lo, s17
	flat_load_ushort v1, v[116:117] offset:1288
	v_mov_b32_e32 v72, 0
	v_mov_b32_e32 v62, 0
	;; [unrolled: 1-line block ×4, first 2 shown]
	s_waitcnt vmcnt(0) lgkmcnt(0)
	v_and_b32_e32 v0, 0xffff, v1
	v_cmp_ne_u16_sdwa s6, v1, v111 src0_sel:BYTE_0 src1_sel:DWORD
	s_and_saveexec_b32 s17, s6
	s_cbranch_execz .LBB225_370
; %bb.363:                              ;   in Loop: Header=BB225_10 Depth=1
	v_bfrev_b32_e32 v62, 1
	v_mov_b32_e32 v63, 0
	v_cmp_ne_u16_sdwa s6, v0, v119 src0_sel:BYTE_0 src1_sel:DWORD
	s_and_saveexec_b32 s23, s6
	s_cbranch_execz .LBB225_369
; %bb.364:                              ;   in Loop: Header=BB225_10 Depth=1
	v_mov_b32_e32 v62, 0x7f800001
	v_and_b32_e32 v2, 0x7f, v0
	v_mov_b32_e32 v63, 0
	s_mov_b32 s24, exec_lo
	v_cmpx_ne_u32_e32 0x7f, v2
	s_cbranch_execz .LBB225_368
; %bb.365:                              ;   in Loop: Header=BB225_10 Depth=1
	v_and_b32_e32 v110, 7, v0
	v_lshrrev_b32_e32 v1, 3, v2
	s_mov_b32 s25, exec_lo
	v_cmpx_gt_u32_e32 8, v2
; %bb.366:                              ;   in Loop: Header=BB225_10 Depth=1
	v_ffbh_u32_e32 v1, v110
	v_min_u32_e32 v1, 32, v1
	v_subrev_nc_u32_e32 v2, 28, v1
	v_sub_nc_u32_e32 v1, 29, v1
	v_lshlrev_b64 v[2:3], v2, v[110:111]
	v_and_b32_e32 v110, 7, v2
; %bb.367:                              ;   in Loop: Header=BB225_10 Depth=1
	s_or_b32 exec_lo, exec_lo, s25
	v_lshlrev_b32_e32 v2, 24, v0
	v_lshlrev_b32_e32 v3, 20, v110
	v_lshl_add_u32 v1, v1, 23, 0x3c000000
	v_and_b32_e32 v2, 0x80000000, v2
	v_or3_b32 v110, v3, v2, v1
	v_mov_b32_e32 v62, v110
	v_mov_b32_e32 v63, v111
.LBB225_368:                            ;   in Loop: Header=BB225_10 Depth=1
	s_or_b32 exec_lo, exec_lo, s24
.LBB225_369:                            ;   in Loop: Header=BB225_10 Depth=1
	s_or_b32 exec_lo, exec_lo, s23
.LBB225_370:                            ;   in Loop: Header=BB225_10 Depth=1
	s_or_b32 exec_lo, exec_lo, s17
	v_cmp_ne_u16_sdwa s6, v0, v111 src0_sel:BYTE_1 src1_sel:DWORD
	s_and_saveexec_b32 s17, s6
	s_cbranch_execz .LBB225_378
; %bb.371:                              ;   in Loop: Header=BB225_10 Depth=1
	v_mov_b32_e32 v114, v111
	v_cmp_ne_u16_sdwa s6, v0, v119 src0_sel:BYTE_1 src1_sel:DWORD
	v_mov_b32_e32 v72, v114
	v_mov_b32_e32 v73, v115
	s_and_saveexec_b32 s23, s6
	s_cbranch_execz .LBB225_377
; %bb.372:                              ;   in Loop: Header=BB225_10 Depth=1
	v_mov_b32_e32 v1, 0xffff
	v_mov_b32_e32 v98, v111
	s_mov_b32 s24, exec_lo
	v_and_b32_sdwa v1, v1, v0 dst_sel:DWORD dst_unused:UNUSED_PAD src0_sel:DWORD src1_sel:BYTE_1
	v_mov_b32_e32 v72, v98
	v_mov_b32_e32 v73, v99
	v_and_b32_e32 v2, 0x7f, v1
	v_cmpx_ne_u32_e32 0x7f, v2
	s_cbranch_execz .LBB225_376
; %bb.373:                              ;   in Loop: Header=BB225_10 Depth=1
	v_and_b32_e32 v110, 7, v1
	v_lshrrev_b32_e32 v1, 3, v2
	s_mov_b32 s25, exec_lo
	v_cmpx_gt_u32_e32 8, v2
; %bb.374:                              ;   in Loop: Header=BB225_10 Depth=1
	v_ffbh_u32_e32 v1, v110
	v_min_u32_e32 v1, 32, v1
	v_subrev_nc_u32_e32 v2, 28, v1
	v_sub_nc_u32_e32 v1, 29, v1
	v_lshlrev_b64 v[2:3], v2, v[110:111]
	v_and_b32_e32 v110, 7, v2
; %bb.375:                              ;   in Loop: Header=BB225_10 Depth=1
	s_or_b32 exec_lo, exec_lo, s25
	v_lshlrev_b32_e32 v0, 16, v0
	v_lshlrev_b32_e32 v2, 20, v110
	v_lshl_add_u32 v1, v1, 23, 0x3c000000
	v_mov_b32_e32 v72, v111
	v_and_b32_e32 v0, 0x80000000, v0
	v_or3_b32 v73, v2, v0, v1
.LBB225_376:                            ;   in Loop: Header=BB225_10 Depth=1
	s_or_b32 exec_lo, exec_lo, s24
.LBB225_377:                            ;   in Loop: Header=BB225_10 Depth=1
	s_or_b32 exec_lo, exec_lo, s23
.LBB225_378:                            ;   in Loop: Header=BB225_10 Depth=1
	s_or_b32 exec_lo, exec_lo, s17
	flat_load_ushort v1, v[116:117] offset:1292
	v_mov_b32_e32 v76, 0
	v_mov_b32_e32 v74, 0
	;; [unrolled: 1-line block ×4, first 2 shown]
	s_waitcnt vmcnt(0) lgkmcnt(0)
	v_and_b32_e32 v0, 0xffff, v1
	v_cmp_ne_u16_sdwa s6, v1, v111 src0_sel:BYTE_0 src1_sel:DWORD
	s_and_saveexec_b32 s17, s6
	s_cbranch_execz .LBB225_386
; %bb.379:                              ;   in Loop: Header=BB225_10 Depth=1
	v_bfrev_b32_e32 v74, 1
	v_mov_b32_e32 v75, 0
	v_cmp_ne_u16_sdwa s6, v0, v119 src0_sel:BYTE_0 src1_sel:DWORD
	s_and_saveexec_b32 s23, s6
	s_cbranch_execz .LBB225_385
; %bb.380:                              ;   in Loop: Header=BB225_10 Depth=1
	v_mov_b32_e32 v74, 0x7f800001
	v_and_b32_e32 v2, 0x7f, v0
	v_mov_b32_e32 v75, 0
	s_mov_b32 s24, exec_lo
	v_cmpx_ne_u32_e32 0x7f, v2
	s_cbranch_execz .LBB225_384
; %bb.381:                              ;   in Loop: Header=BB225_10 Depth=1
	v_and_b32_e32 v110, 7, v0
	v_lshrrev_b32_e32 v1, 3, v2
	s_mov_b32 s25, exec_lo
	v_cmpx_gt_u32_e32 8, v2
; %bb.382:                              ;   in Loop: Header=BB225_10 Depth=1
	v_ffbh_u32_e32 v1, v110
	v_min_u32_e32 v1, 32, v1
	v_subrev_nc_u32_e32 v2, 28, v1
	v_sub_nc_u32_e32 v1, 29, v1
	v_lshlrev_b64 v[2:3], v2, v[110:111]
	v_and_b32_e32 v110, 7, v2
; %bb.383:                              ;   in Loop: Header=BB225_10 Depth=1
	s_or_b32 exec_lo, exec_lo, s25
	v_lshlrev_b32_e32 v2, 24, v0
	v_lshlrev_b32_e32 v3, 20, v110
	v_lshl_add_u32 v1, v1, 23, 0x3c000000
	v_and_b32_e32 v2, 0x80000000, v2
	v_or3_b32 v110, v3, v2, v1
	v_mov_b32_e32 v74, v110
	v_mov_b32_e32 v75, v111
.LBB225_384:                            ;   in Loop: Header=BB225_10 Depth=1
	s_or_b32 exec_lo, exec_lo, s24
.LBB225_385:                            ;   in Loop: Header=BB225_10 Depth=1
	s_or_b32 exec_lo, exec_lo, s23
.LBB225_386:                            ;   in Loop: Header=BB225_10 Depth=1
	s_or_b32 exec_lo, exec_lo, s17
	v_cmp_ne_u16_sdwa s6, v0, v111 src0_sel:BYTE_1 src1_sel:DWORD
	s_and_saveexec_b32 s17, s6
	s_cbranch_execz .LBB225_394
; %bb.387:                              ;   in Loop: Header=BB225_10 Depth=1
	v_mov_b32_e32 v114, v111
	v_cmp_ne_u16_sdwa s6, v0, v119 src0_sel:BYTE_1 src1_sel:DWORD
	v_mov_b32_e32 v76, v114
	v_mov_b32_e32 v77, v115
	s_and_saveexec_b32 s23, s6
	s_cbranch_execz .LBB225_393
; %bb.388:                              ;   in Loop: Header=BB225_10 Depth=1
	v_mov_b32_e32 v1, 0xffff
	v_mov_b32_e32 v98, v111
	s_mov_b32 s24, exec_lo
	v_and_b32_sdwa v1, v1, v0 dst_sel:DWORD dst_unused:UNUSED_PAD src0_sel:DWORD src1_sel:BYTE_1
	v_mov_b32_e32 v76, v98
	v_mov_b32_e32 v77, v99
	v_and_b32_e32 v2, 0x7f, v1
	v_cmpx_ne_u32_e32 0x7f, v2
	s_cbranch_execz .LBB225_392
; %bb.389:                              ;   in Loop: Header=BB225_10 Depth=1
	v_and_b32_e32 v110, 7, v1
	v_lshrrev_b32_e32 v1, 3, v2
	s_mov_b32 s25, exec_lo
	v_cmpx_gt_u32_e32 8, v2
; %bb.390:                              ;   in Loop: Header=BB225_10 Depth=1
	v_ffbh_u32_e32 v1, v110
	v_min_u32_e32 v1, 32, v1
	v_subrev_nc_u32_e32 v2, 28, v1
	v_sub_nc_u32_e32 v1, 29, v1
	v_lshlrev_b64 v[2:3], v2, v[110:111]
	v_and_b32_e32 v110, 7, v2
; %bb.391:                              ;   in Loop: Header=BB225_10 Depth=1
	s_or_b32 exec_lo, exec_lo, s25
	v_lshlrev_b32_e32 v0, 16, v0
	v_lshlrev_b32_e32 v2, 20, v110
	v_lshl_add_u32 v1, v1, 23, 0x3c000000
	v_mov_b32_e32 v76, v111
	v_and_b32_e32 v0, 0x80000000, v0
	v_or3_b32 v77, v2, v0, v1
.LBB225_392:                            ;   in Loop: Header=BB225_10 Depth=1
	s_or_b32 exec_lo, exec_lo, s24
.LBB225_393:                            ;   in Loop: Header=BB225_10 Depth=1
	s_or_b32 exec_lo, exec_lo, s23
.LBB225_394:                            ;   in Loop: Header=BB225_10 Depth=1
	s_or_b32 exec_lo, exec_lo, s17
	flat_load_ushort v1, v[116:117] offset:1536
	v_mov_b32_e32 v88, 0
	v_mov_b32_e32 v78, 0
	;; [unrolled: 1-line block ×4, first 2 shown]
	s_waitcnt vmcnt(0) lgkmcnt(0)
	v_and_b32_e32 v0, 0xffff, v1
	v_cmp_ne_u16_sdwa s6, v1, v111 src0_sel:BYTE_0 src1_sel:DWORD
	s_and_saveexec_b32 s17, s6
	s_cbranch_execz .LBB225_402
; %bb.395:                              ;   in Loop: Header=BB225_10 Depth=1
	v_bfrev_b32_e32 v78, 1
	v_mov_b32_e32 v79, 0
	v_cmp_ne_u16_sdwa s6, v0, v119 src0_sel:BYTE_0 src1_sel:DWORD
	s_and_saveexec_b32 s23, s6
	s_cbranch_execz .LBB225_401
; %bb.396:                              ;   in Loop: Header=BB225_10 Depth=1
	v_mov_b32_e32 v78, 0x7f800001
	v_and_b32_e32 v2, 0x7f, v0
	v_mov_b32_e32 v79, 0
	s_mov_b32 s24, exec_lo
	v_cmpx_ne_u32_e32 0x7f, v2
	s_cbranch_execz .LBB225_400
; %bb.397:                              ;   in Loop: Header=BB225_10 Depth=1
	v_and_b32_e32 v110, 7, v0
	v_lshrrev_b32_e32 v1, 3, v2
	s_mov_b32 s25, exec_lo
	v_cmpx_gt_u32_e32 8, v2
; %bb.398:                              ;   in Loop: Header=BB225_10 Depth=1
	v_ffbh_u32_e32 v1, v110
	v_min_u32_e32 v1, 32, v1
	v_subrev_nc_u32_e32 v2, 28, v1
	v_sub_nc_u32_e32 v1, 29, v1
	v_lshlrev_b64 v[2:3], v2, v[110:111]
	v_and_b32_e32 v110, 7, v2
; %bb.399:                              ;   in Loop: Header=BB225_10 Depth=1
	s_or_b32 exec_lo, exec_lo, s25
	v_lshlrev_b32_e32 v2, 24, v0
	v_lshlrev_b32_e32 v3, 20, v110
	v_lshl_add_u32 v1, v1, 23, 0x3c000000
	v_and_b32_e32 v2, 0x80000000, v2
	v_or3_b32 v110, v3, v2, v1
	v_mov_b32_e32 v78, v110
	v_mov_b32_e32 v79, v111
.LBB225_400:                            ;   in Loop: Header=BB225_10 Depth=1
	s_or_b32 exec_lo, exec_lo, s24
.LBB225_401:                            ;   in Loop: Header=BB225_10 Depth=1
	s_or_b32 exec_lo, exec_lo, s23
.LBB225_402:                            ;   in Loop: Header=BB225_10 Depth=1
	s_or_b32 exec_lo, exec_lo, s17
	v_cmp_ne_u16_sdwa s6, v0, v111 src0_sel:BYTE_1 src1_sel:DWORD
	s_and_saveexec_b32 s17, s6
	s_cbranch_execz .LBB225_410
; %bb.403:                              ;   in Loop: Header=BB225_10 Depth=1
	v_mov_b32_e32 v114, v111
	v_cmp_ne_u16_sdwa s6, v0, v119 src0_sel:BYTE_1 src1_sel:DWORD
	v_mov_b32_e32 v88, v114
	v_mov_b32_e32 v89, v115
	s_and_saveexec_b32 s23, s6
	s_cbranch_execz .LBB225_409
; %bb.404:                              ;   in Loop: Header=BB225_10 Depth=1
	v_mov_b32_e32 v1, 0xffff
	v_mov_b32_e32 v98, v111
	s_mov_b32 s24, exec_lo
	v_and_b32_sdwa v1, v1, v0 dst_sel:DWORD dst_unused:UNUSED_PAD src0_sel:DWORD src1_sel:BYTE_1
	v_mov_b32_e32 v88, v98
	v_mov_b32_e32 v89, v99
	v_and_b32_e32 v2, 0x7f, v1
	v_cmpx_ne_u32_e32 0x7f, v2
	s_cbranch_execz .LBB225_408
; %bb.405:                              ;   in Loop: Header=BB225_10 Depth=1
	v_and_b32_e32 v110, 7, v1
	v_lshrrev_b32_e32 v1, 3, v2
	s_mov_b32 s25, exec_lo
	v_cmpx_gt_u32_e32 8, v2
; %bb.406:                              ;   in Loop: Header=BB225_10 Depth=1
	v_ffbh_u32_e32 v1, v110
	v_min_u32_e32 v1, 32, v1
	v_subrev_nc_u32_e32 v2, 28, v1
	v_sub_nc_u32_e32 v1, 29, v1
	v_lshlrev_b64 v[2:3], v2, v[110:111]
	v_and_b32_e32 v110, 7, v2
; %bb.407:                              ;   in Loop: Header=BB225_10 Depth=1
	s_or_b32 exec_lo, exec_lo, s25
	v_lshlrev_b32_e32 v0, 16, v0
	v_lshlrev_b32_e32 v2, 20, v110
	v_lshl_add_u32 v1, v1, 23, 0x3c000000
	v_mov_b32_e32 v88, v111
	v_and_b32_e32 v0, 0x80000000, v0
	v_or3_b32 v89, v2, v0, v1
.LBB225_408:                            ;   in Loop: Header=BB225_10 Depth=1
	s_or_b32 exec_lo, exec_lo, s24
.LBB225_409:                            ;   in Loop: Header=BB225_10 Depth=1
	s_or_b32 exec_lo, exec_lo, s23
.LBB225_410:                            ;   in Loop: Header=BB225_10 Depth=1
	s_or_b32 exec_lo, exec_lo, s17
	flat_load_ushort v1, v[116:117] offset:1540
	v_mov_b32_e32 v92, 0
	v_mov_b32_e32 v46, 0
	v_mov_b32_e32 v93, 0
	v_mov_b32_e32 v47, 0
	s_waitcnt vmcnt(0) lgkmcnt(0)
	v_and_b32_e32 v0, 0xffff, v1
	v_cmp_ne_u16_sdwa s6, v1, v111 src0_sel:BYTE_0 src1_sel:DWORD
	s_and_saveexec_b32 s17, s6
	s_cbranch_execz .LBB225_418
; %bb.411:                              ;   in Loop: Header=BB225_10 Depth=1
	v_bfrev_b32_e32 v46, 1
	v_mov_b32_e32 v47, 0
	v_cmp_ne_u16_sdwa s6, v0, v119 src0_sel:BYTE_0 src1_sel:DWORD
	s_and_saveexec_b32 s23, s6
	s_cbranch_execz .LBB225_417
; %bb.412:                              ;   in Loop: Header=BB225_10 Depth=1
	v_mov_b32_e32 v46, 0x7f800001
	v_and_b32_e32 v2, 0x7f, v0
	v_mov_b32_e32 v47, 0
	s_mov_b32 s24, exec_lo
	v_cmpx_ne_u32_e32 0x7f, v2
	s_cbranch_execz .LBB225_416
; %bb.413:                              ;   in Loop: Header=BB225_10 Depth=1
	v_and_b32_e32 v110, 7, v0
	v_lshrrev_b32_e32 v1, 3, v2
	s_mov_b32 s25, exec_lo
	v_cmpx_gt_u32_e32 8, v2
; %bb.414:                              ;   in Loop: Header=BB225_10 Depth=1
	v_ffbh_u32_e32 v1, v110
	v_min_u32_e32 v1, 32, v1
	v_subrev_nc_u32_e32 v2, 28, v1
	v_sub_nc_u32_e32 v1, 29, v1
	v_lshlrev_b64 v[2:3], v2, v[110:111]
	v_and_b32_e32 v110, 7, v2
; %bb.415:                              ;   in Loop: Header=BB225_10 Depth=1
	s_or_b32 exec_lo, exec_lo, s25
	v_lshlrev_b32_e32 v2, 24, v0
	v_lshlrev_b32_e32 v3, 20, v110
	v_lshl_add_u32 v1, v1, 23, 0x3c000000
	v_and_b32_e32 v2, 0x80000000, v2
	v_or3_b32 v110, v3, v2, v1
	v_mov_b32_e32 v46, v110
	v_mov_b32_e32 v47, v111
.LBB225_416:                            ;   in Loop: Header=BB225_10 Depth=1
	s_or_b32 exec_lo, exec_lo, s24
.LBB225_417:                            ;   in Loop: Header=BB225_10 Depth=1
	s_or_b32 exec_lo, exec_lo, s23
.LBB225_418:                            ;   in Loop: Header=BB225_10 Depth=1
	s_or_b32 exec_lo, exec_lo, s17
	v_cmp_ne_u16_sdwa s6, v0, v111 src0_sel:BYTE_1 src1_sel:DWORD
	s_and_saveexec_b32 s17, s6
	s_cbranch_execz .LBB225_426
; %bb.419:                              ;   in Loop: Header=BB225_10 Depth=1
	v_mov_b32_e32 v114, v111
	v_cmp_ne_u16_sdwa s6, v0, v119 src0_sel:BYTE_1 src1_sel:DWORD
	v_mov_b32_e32 v92, v114
	v_mov_b32_e32 v93, v115
	s_and_saveexec_b32 s23, s6
	s_cbranch_execz .LBB225_425
; %bb.420:                              ;   in Loop: Header=BB225_10 Depth=1
	v_mov_b32_e32 v1, 0xffff
	v_mov_b32_e32 v98, v111
	s_mov_b32 s24, exec_lo
	v_and_b32_sdwa v1, v1, v0 dst_sel:DWORD dst_unused:UNUSED_PAD src0_sel:DWORD src1_sel:BYTE_1
	v_mov_b32_e32 v92, v98
	v_mov_b32_e32 v93, v99
	v_and_b32_e32 v2, 0x7f, v1
	v_cmpx_ne_u32_e32 0x7f, v2
	s_cbranch_execz .LBB225_424
; %bb.421:                              ;   in Loop: Header=BB225_10 Depth=1
	v_and_b32_e32 v110, 7, v1
	v_lshrrev_b32_e32 v1, 3, v2
	s_mov_b32 s25, exec_lo
	v_cmpx_gt_u32_e32 8, v2
; %bb.422:                              ;   in Loop: Header=BB225_10 Depth=1
	v_ffbh_u32_e32 v1, v110
	v_min_u32_e32 v1, 32, v1
	v_subrev_nc_u32_e32 v2, 28, v1
	v_sub_nc_u32_e32 v1, 29, v1
	v_lshlrev_b64 v[2:3], v2, v[110:111]
	v_and_b32_e32 v110, 7, v2
; %bb.423:                              ;   in Loop: Header=BB225_10 Depth=1
	s_or_b32 exec_lo, exec_lo, s25
	v_lshlrev_b32_e32 v0, 16, v0
	v_lshlrev_b32_e32 v2, 20, v110
	v_lshl_add_u32 v1, v1, 23, 0x3c000000
	v_mov_b32_e32 v92, v111
	v_and_b32_e32 v0, 0x80000000, v0
	v_or3_b32 v93, v2, v0, v1
.LBB225_424:                            ;   in Loop: Header=BB225_10 Depth=1
	s_or_b32 exec_lo, exec_lo, s24
.LBB225_425:                            ;   in Loop: Header=BB225_10 Depth=1
	s_or_b32 exec_lo, exec_lo, s23
.LBB225_426:                            ;   in Loop: Header=BB225_10 Depth=1
	s_or_b32 exec_lo, exec_lo, s17
	flat_load_ushort v1, v[116:117] offset:1544
	v_mov_b32_e32 v104, 0
	v_mov_b32_e32 v94, 0
	;; [unrolled: 1-line block ×4, first 2 shown]
	s_waitcnt vmcnt(0) lgkmcnt(0)
	v_and_b32_e32 v0, 0xffff, v1
	v_cmp_ne_u16_sdwa s6, v1, v111 src0_sel:BYTE_0 src1_sel:DWORD
	s_and_saveexec_b32 s17, s6
	s_cbranch_execz .LBB225_434
; %bb.427:                              ;   in Loop: Header=BB225_10 Depth=1
	v_bfrev_b32_e32 v94, 1
	v_mov_b32_e32 v95, 0
	v_cmp_ne_u16_sdwa s6, v0, v119 src0_sel:BYTE_0 src1_sel:DWORD
	s_and_saveexec_b32 s23, s6
	s_cbranch_execz .LBB225_433
; %bb.428:                              ;   in Loop: Header=BB225_10 Depth=1
	v_mov_b32_e32 v94, 0x7f800001
	v_and_b32_e32 v2, 0x7f, v0
	v_mov_b32_e32 v95, 0
	s_mov_b32 s24, exec_lo
	v_cmpx_ne_u32_e32 0x7f, v2
	s_cbranch_execz .LBB225_432
; %bb.429:                              ;   in Loop: Header=BB225_10 Depth=1
	v_and_b32_e32 v110, 7, v0
	v_lshrrev_b32_e32 v1, 3, v2
	s_mov_b32 s25, exec_lo
	v_cmpx_gt_u32_e32 8, v2
; %bb.430:                              ;   in Loop: Header=BB225_10 Depth=1
	v_ffbh_u32_e32 v1, v110
	v_min_u32_e32 v1, 32, v1
	v_subrev_nc_u32_e32 v2, 28, v1
	v_sub_nc_u32_e32 v1, 29, v1
	v_lshlrev_b64 v[2:3], v2, v[110:111]
	v_and_b32_e32 v110, 7, v2
; %bb.431:                              ;   in Loop: Header=BB225_10 Depth=1
	s_or_b32 exec_lo, exec_lo, s25
	v_lshlrev_b32_e32 v2, 24, v0
	v_lshlrev_b32_e32 v3, 20, v110
	v_lshl_add_u32 v1, v1, 23, 0x3c000000
	v_and_b32_e32 v2, 0x80000000, v2
	v_or3_b32 v110, v3, v2, v1
	v_mov_b32_e32 v94, v110
	v_mov_b32_e32 v95, v111
.LBB225_432:                            ;   in Loop: Header=BB225_10 Depth=1
	s_or_b32 exec_lo, exec_lo, s24
.LBB225_433:                            ;   in Loop: Header=BB225_10 Depth=1
	s_or_b32 exec_lo, exec_lo, s23
.LBB225_434:                            ;   in Loop: Header=BB225_10 Depth=1
	s_or_b32 exec_lo, exec_lo, s17
	v_cmp_ne_u16_sdwa s6, v0, v111 src0_sel:BYTE_1 src1_sel:DWORD
	s_and_saveexec_b32 s17, s6
	s_cbranch_execz .LBB225_442
; %bb.435:                              ;   in Loop: Header=BB225_10 Depth=1
	v_mov_b32_e32 v114, v111
	v_cmp_ne_u16_sdwa s6, v0, v119 src0_sel:BYTE_1 src1_sel:DWORD
	v_mov_b32_e32 v104, v114
	v_mov_b32_e32 v105, v115
	s_and_saveexec_b32 s23, s6
	s_cbranch_execz .LBB225_441
; %bb.436:                              ;   in Loop: Header=BB225_10 Depth=1
	v_mov_b32_e32 v1, 0xffff
	v_mov_b32_e32 v98, v111
	;; [unrolled: 1-line block ×3, first 2 shown]
	s_mov_b32 s24, exec_lo
	v_and_b32_sdwa v1, v1, v0 dst_sel:DWORD dst_unused:UNUSED_PAD src0_sel:DWORD src1_sel:BYTE_1
	v_mov_b32_e32 v104, v98
	v_and_b32_e32 v2, 0x7f, v1
	v_cmpx_ne_u32_e32 0x7f, v2
	s_cbranch_execz .LBB225_440
; %bb.437:                              ;   in Loop: Header=BB225_10 Depth=1
	v_and_b32_e32 v110, 7, v1
	v_lshrrev_b32_e32 v1, 3, v2
	s_mov_b32 s25, exec_lo
	v_cmpx_gt_u32_e32 8, v2
; %bb.438:                              ;   in Loop: Header=BB225_10 Depth=1
	v_ffbh_u32_e32 v1, v110
	v_min_u32_e32 v1, 32, v1
	v_subrev_nc_u32_e32 v2, 28, v1
	v_sub_nc_u32_e32 v1, 29, v1
	v_lshlrev_b64 v[2:3], v2, v[110:111]
	v_and_b32_e32 v110, 7, v2
; %bb.439:                              ;   in Loop: Header=BB225_10 Depth=1
	s_or_b32 exec_lo, exec_lo, s25
	v_lshlrev_b32_e32 v0, 16, v0
	v_lshlrev_b32_e32 v2, 20, v110
	v_lshl_add_u32 v1, v1, 23, 0x3c000000
	v_mov_b32_e32 v104, v111
	v_and_b32_e32 v0, 0x80000000, v0
	v_or3_b32 v105, v2, v0, v1
.LBB225_440:                            ;   in Loop: Header=BB225_10 Depth=1
	s_or_b32 exec_lo, exec_lo, s24
.LBB225_441:                            ;   in Loop: Header=BB225_10 Depth=1
	s_or_b32 exec_lo, exec_lo, s23
.LBB225_442:                            ;   in Loop: Header=BB225_10 Depth=1
	s_or_b32 exec_lo, exec_lo, s17
	flat_load_ushort v1, v[116:117] offset:1548
	v_mov_b32_e32 v20, 0
	v_mov_b32_e32 v106, 0
	;; [unrolled: 1-line block ×4, first 2 shown]
	s_waitcnt vmcnt(0) lgkmcnt(0)
	v_and_b32_e32 v0, 0xffff, v1
	v_cmp_ne_u16_sdwa s6, v1, v111 src0_sel:BYTE_0 src1_sel:DWORD
	s_and_saveexec_b32 s17, s6
	s_cbranch_execz .LBB225_450
; %bb.443:                              ;   in Loop: Header=BB225_10 Depth=1
	v_bfrev_b32_e32 v106, 1
	v_mov_b32_e32 v107, 0
	v_cmp_ne_u16_sdwa s6, v0, v119 src0_sel:BYTE_0 src1_sel:DWORD
	s_and_saveexec_b32 s23, s6
	s_cbranch_execz .LBB225_449
; %bb.444:                              ;   in Loop: Header=BB225_10 Depth=1
	v_mov_b32_e32 v106, 0x7f800001
	v_and_b32_e32 v2, 0x7f, v0
	v_mov_b32_e32 v107, 0
	s_mov_b32 s24, exec_lo
	v_cmpx_ne_u32_e32 0x7f, v2
	s_cbranch_execz .LBB225_448
; %bb.445:                              ;   in Loop: Header=BB225_10 Depth=1
	v_and_b32_e32 v110, 7, v0
	v_lshrrev_b32_e32 v1, 3, v2
	s_mov_b32 s25, exec_lo
	v_cmpx_gt_u32_e32 8, v2
; %bb.446:                              ;   in Loop: Header=BB225_10 Depth=1
	v_ffbh_u32_e32 v1, v110
	v_min_u32_e32 v1, 32, v1
	v_subrev_nc_u32_e32 v2, 28, v1
	v_sub_nc_u32_e32 v1, 29, v1
	v_lshlrev_b64 v[2:3], v2, v[110:111]
	v_and_b32_e32 v110, 7, v2
; %bb.447:                              ;   in Loop: Header=BB225_10 Depth=1
	s_or_b32 exec_lo, exec_lo, s25
	v_lshlrev_b32_e32 v2, 24, v0
	v_lshlrev_b32_e32 v3, 20, v110
	v_lshl_add_u32 v1, v1, 23, 0x3c000000
	v_and_b32_e32 v2, 0x80000000, v2
	v_or3_b32 v110, v3, v2, v1
	v_mov_b32_e32 v106, v110
	v_mov_b32_e32 v107, v111
.LBB225_448:                            ;   in Loop: Header=BB225_10 Depth=1
	s_or_b32 exec_lo, exec_lo, s24
.LBB225_449:                            ;   in Loop: Header=BB225_10 Depth=1
	s_or_b32 exec_lo, exec_lo, s23
.LBB225_450:                            ;   in Loop: Header=BB225_10 Depth=1
	s_or_b32 exec_lo, exec_lo, s17
	v_cmp_ne_u16_sdwa s6, v0, v111 src0_sel:BYTE_1 src1_sel:DWORD
	s_and_saveexec_b32 s17, s6
	s_cbranch_execz .LBB225_458
; %bb.451:                              ;   in Loop: Header=BB225_10 Depth=1
	v_mov_b32_e32 v114, v111
	v_cmp_ne_u16_sdwa s6, v0, v119 src0_sel:BYTE_1 src1_sel:DWORD
	v_mov_b32_e32 v20, v114
	v_mov_b32_e32 v21, v115
	s_and_saveexec_b32 s23, s6
	s_cbranch_execz .LBB225_457
; %bb.452:                              ;   in Loop: Header=BB225_10 Depth=1
	v_mov_b32_e32 v1, 0xffff
	v_mov_b32_e32 v98, v111
	s_mov_b32 s24, exec_lo
	v_and_b32_sdwa v1, v1, v0 dst_sel:DWORD dst_unused:UNUSED_PAD src0_sel:DWORD src1_sel:BYTE_1
	v_mov_b32_e32 v20, v98
	v_mov_b32_e32 v21, v99
	v_and_b32_e32 v2, 0x7f, v1
	v_cmpx_ne_u32_e32 0x7f, v2
	s_cbranch_execz .LBB225_456
; %bb.453:                              ;   in Loop: Header=BB225_10 Depth=1
	v_and_b32_e32 v110, 7, v1
	v_lshrrev_b32_e32 v1, 3, v2
	s_mov_b32 s25, exec_lo
	v_cmpx_gt_u32_e32 8, v2
; %bb.454:                              ;   in Loop: Header=BB225_10 Depth=1
	v_ffbh_u32_e32 v1, v110
	v_min_u32_e32 v1, 32, v1
	v_subrev_nc_u32_e32 v2, 28, v1
	v_sub_nc_u32_e32 v1, 29, v1
	v_lshlrev_b64 v[2:3], v2, v[110:111]
	v_and_b32_e32 v110, 7, v2
; %bb.455:                              ;   in Loop: Header=BB225_10 Depth=1
	s_or_b32 exec_lo, exec_lo, s25
	v_lshlrev_b32_e32 v0, 16, v0
	v_lshlrev_b32_e32 v2, 20, v110
	v_lshl_add_u32 v1, v1, 23, 0x3c000000
	v_mov_b32_e32 v20, v111
	v_and_b32_e32 v0, 0x80000000, v0
	v_or3_b32 v21, v2, v0, v1
.LBB225_456:                            ;   in Loop: Header=BB225_10 Depth=1
	s_or_b32 exec_lo, exec_lo, s24
.LBB225_457:                            ;   in Loop: Header=BB225_10 Depth=1
	s_or_b32 exec_lo, exec_lo, s23
.LBB225_458:                            ;   in Loop: Header=BB225_10 Depth=1
	s_or_b32 exec_lo, exec_lo, s17
	flat_load_ushort v1, v[116:117] offset:1792
	v_mov_b32_e32 v108, 0
	v_mov_b32_e32 v24, 0
	;; [unrolled: 1-line block ×4, first 2 shown]
	s_waitcnt vmcnt(0) lgkmcnt(0)
	v_and_b32_e32 v0, 0xffff, v1
	v_cmp_ne_u16_sdwa s6, v1, v111 src0_sel:BYTE_0 src1_sel:DWORD
	s_and_saveexec_b32 s17, s6
	s_cbranch_execz .LBB225_466
; %bb.459:                              ;   in Loop: Header=BB225_10 Depth=1
	v_bfrev_b32_e32 v24, 1
	v_mov_b32_e32 v25, 0
	v_cmp_ne_u16_sdwa s6, v0, v119 src0_sel:BYTE_0 src1_sel:DWORD
	s_and_saveexec_b32 s23, s6
	s_cbranch_execz .LBB225_465
; %bb.460:                              ;   in Loop: Header=BB225_10 Depth=1
	v_mov_b32_e32 v24, 0x7f800001
	v_and_b32_e32 v2, 0x7f, v0
	v_mov_b32_e32 v25, 0
	s_mov_b32 s24, exec_lo
	v_cmpx_ne_u32_e32 0x7f, v2
	s_cbranch_execz .LBB225_464
; %bb.461:                              ;   in Loop: Header=BB225_10 Depth=1
	v_and_b32_e32 v110, 7, v0
	v_lshrrev_b32_e32 v1, 3, v2
	s_mov_b32 s25, exec_lo
	v_cmpx_gt_u32_e32 8, v2
; %bb.462:                              ;   in Loop: Header=BB225_10 Depth=1
	v_ffbh_u32_e32 v1, v110
	v_min_u32_e32 v1, 32, v1
	v_subrev_nc_u32_e32 v2, 28, v1
	v_sub_nc_u32_e32 v1, 29, v1
	v_lshlrev_b64 v[2:3], v2, v[110:111]
	v_and_b32_e32 v110, 7, v2
; %bb.463:                              ;   in Loop: Header=BB225_10 Depth=1
	s_or_b32 exec_lo, exec_lo, s25
	v_lshlrev_b32_e32 v2, 24, v0
	v_lshlrev_b32_e32 v3, 20, v110
	v_lshl_add_u32 v1, v1, 23, 0x3c000000
	v_and_b32_e32 v2, 0x80000000, v2
	v_or3_b32 v110, v3, v2, v1
	v_mov_b32_e32 v24, v110
	v_mov_b32_e32 v25, v111
.LBB225_464:                            ;   in Loop: Header=BB225_10 Depth=1
	s_or_b32 exec_lo, exec_lo, s24
.LBB225_465:                            ;   in Loop: Header=BB225_10 Depth=1
	s_or_b32 exec_lo, exec_lo, s23
.LBB225_466:                            ;   in Loop: Header=BB225_10 Depth=1
	s_or_b32 exec_lo, exec_lo, s17
	v_cmp_ne_u16_sdwa s6, v0, v111 src0_sel:BYTE_1 src1_sel:DWORD
	s_and_saveexec_b32 s17, s6
	s_cbranch_execz .LBB225_474
; %bb.467:                              ;   in Loop: Header=BB225_10 Depth=1
	v_mov_b32_e32 v114, v111
	v_cmp_ne_u16_sdwa s6, v0, v119 src0_sel:BYTE_1 src1_sel:DWORD
	v_mov_b32_e32 v108, v114
	v_mov_b32_e32 v109, v115
	s_and_saveexec_b32 s23, s6
	s_cbranch_execz .LBB225_473
; %bb.468:                              ;   in Loop: Header=BB225_10 Depth=1
	v_mov_b32_e32 v1, 0xffff
	v_mov_b32_e32 v98, v111
	;; [unrolled: 1-line block ×3, first 2 shown]
	s_mov_b32 s24, exec_lo
	v_and_b32_sdwa v1, v1, v0 dst_sel:DWORD dst_unused:UNUSED_PAD src0_sel:DWORD src1_sel:BYTE_1
	v_mov_b32_e32 v108, v98
	v_and_b32_e32 v2, 0x7f, v1
	v_cmpx_ne_u32_e32 0x7f, v2
	s_cbranch_execz .LBB225_472
; %bb.469:                              ;   in Loop: Header=BB225_10 Depth=1
	v_and_b32_e32 v110, 7, v1
	v_lshrrev_b32_e32 v1, 3, v2
	s_mov_b32 s25, exec_lo
	v_cmpx_gt_u32_e32 8, v2
; %bb.470:                              ;   in Loop: Header=BB225_10 Depth=1
	v_ffbh_u32_e32 v1, v110
	v_min_u32_e32 v1, 32, v1
	v_subrev_nc_u32_e32 v2, 28, v1
	v_sub_nc_u32_e32 v1, 29, v1
	v_lshlrev_b64 v[2:3], v2, v[110:111]
	v_and_b32_e32 v110, 7, v2
; %bb.471:                              ;   in Loop: Header=BB225_10 Depth=1
	s_or_b32 exec_lo, exec_lo, s25
	v_lshlrev_b32_e32 v0, 16, v0
	v_lshlrev_b32_e32 v2, 20, v110
	v_lshl_add_u32 v1, v1, 23, 0x3c000000
	v_mov_b32_e32 v108, v111
	v_and_b32_e32 v0, 0x80000000, v0
	v_or3_b32 v109, v2, v0, v1
.LBB225_472:                            ;   in Loop: Header=BB225_10 Depth=1
	s_or_b32 exec_lo, exec_lo, s24
.LBB225_473:                            ;   in Loop: Header=BB225_10 Depth=1
	s_or_b32 exec_lo, exec_lo, s23
.LBB225_474:                            ;   in Loop: Header=BB225_10 Depth=1
	s_or_b32 exec_lo, exec_lo, s17
	flat_load_ushort v1, v[116:117] offset:1796
	v_mov_b32_e32 v12, 0
	v_mov_b32_e32 v10, 0
	;; [unrolled: 1-line block ×4, first 2 shown]
	s_waitcnt vmcnt(0) lgkmcnt(0)
	v_and_b32_e32 v0, 0xffff, v1
	v_cmp_ne_u16_sdwa s6, v1, v111 src0_sel:BYTE_0 src1_sel:DWORD
	s_and_saveexec_b32 s17, s6
	s_cbranch_execz .LBB225_482
; %bb.475:                              ;   in Loop: Header=BB225_10 Depth=1
	v_bfrev_b32_e32 v10, 1
	v_mov_b32_e32 v11, 0
	v_cmp_ne_u16_sdwa s6, v0, v119 src0_sel:BYTE_0 src1_sel:DWORD
	s_and_saveexec_b32 s23, s6
	s_cbranch_execz .LBB225_481
; %bb.476:                              ;   in Loop: Header=BB225_10 Depth=1
	v_mov_b32_e32 v10, 0x7f800001
	v_and_b32_e32 v2, 0x7f, v0
	v_mov_b32_e32 v11, 0
	s_mov_b32 s24, exec_lo
	v_cmpx_ne_u32_e32 0x7f, v2
	s_cbranch_execz .LBB225_480
; %bb.477:                              ;   in Loop: Header=BB225_10 Depth=1
	v_and_b32_e32 v110, 7, v0
	v_lshrrev_b32_e32 v1, 3, v2
	s_mov_b32 s25, exec_lo
	v_cmpx_gt_u32_e32 8, v2
; %bb.478:                              ;   in Loop: Header=BB225_10 Depth=1
	v_ffbh_u32_e32 v1, v110
	v_min_u32_e32 v1, 32, v1
	v_subrev_nc_u32_e32 v2, 28, v1
	v_sub_nc_u32_e32 v1, 29, v1
	v_lshlrev_b64 v[2:3], v2, v[110:111]
	v_and_b32_e32 v110, 7, v2
; %bb.479:                              ;   in Loop: Header=BB225_10 Depth=1
	s_or_b32 exec_lo, exec_lo, s25
	v_lshlrev_b32_e32 v2, 24, v0
	v_lshlrev_b32_e32 v3, 20, v110
	v_lshl_add_u32 v1, v1, 23, 0x3c000000
	v_and_b32_e32 v2, 0x80000000, v2
	v_or3_b32 v110, v3, v2, v1
	v_mov_b32_e32 v10, v110
	v_mov_b32_e32 v11, v111
.LBB225_480:                            ;   in Loop: Header=BB225_10 Depth=1
	s_or_b32 exec_lo, exec_lo, s24
.LBB225_481:                            ;   in Loop: Header=BB225_10 Depth=1
	s_or_b32 exec_lo, exec_lo, s23
.LBB225_482:                            ;   in Loop: Header=BB225_10 Depth=1
	s_or_b32 exec_lo, exec_lo, s17
	v_cmp_ne_u16_sdwa s6, v0, v111 src0_sel:BYTE_1 src1_sel:DWORD
	s_and_saveexec_b32 s17, s6
	s_cbranch_execz .LBB225_490
; %bb.483:                              ;   in Loop: Header=BB225_10 Depth=1
	v_mov_b32_e32 v114, v111
	v_cmp_ne_u16_sdwa s6, v0, v119 src0_sel:BYTE_1 src1_sel:DWORD
	v_mov_b32_e32 v12, v114
	v_mov_b32_e32 v13, v115
	s_and_saveexec_b32 s23, s6
	s_cbranch_execz .LBB225_489
; %bb.484:                              ;   in Loop: Header=BB225_10 Depth=1
	v_mov_b32_e32 v1, 0xffff
	v_mov_b32_e32 v98, v111
	s_mov_b32 s24, exec_lo
	v_and_b32_sdwa v1, v1, v0 dst_sel:DWORD dst_unused:UNUSED_PAD src0_sel:DWORD src1_sel:BYTE_1
	v_mov_b32_e32 v12, v98
	v_mov_b32_e32 v13, v99
	v_and_b32_e32 v2, 0x7f, v1
	v_cmpx_ne_u32_e32 0x7f, v2
	s_cbranch_execz .LBB225_488
; %bb.485:                              ;   in Loop: Header=BB225_10 Depth=1
	v_and_b32_e32 v110, 7, v1
	v_lshrrev_b32_e32 v1, 3, v2
	s_mov_b32 s25, exec_lo
	v_cmpx_gt_u32_e32 8, v2
; %bb.486:                              ;   in Loop: Header=BB225_10 Depth=1
	v_ffbh_u32_e32 v1, v110
	v_min_u32_e32 v1, 32, v1
	v_subrev_nc_u32_e32 v2, 28, v1
	v_sub_nc_u32_e32 v1, 29, v1
	v_lshlrev_b64 v[2:3], v2, v[110:111]
	v_and_b32_e32 v110, 7, v2
; %bb.487:                              ;   in Loop: Header=BB225_10 Depth=1
	s_or_b32 exec_lo, exec_lo, s25
	v_lshlrev_b32_e32 v0, 16, v0
	v_lshlrev_b32_e32 v2, 20, v110
	v_lshl_add_u32 v1, v1, 23, 0x3c000000
	v_mov_b32_e32 v12, v111
	v_and_b32_e32 v0, 0x80000000, v0
	v_or3_b32 v13, v2, v0, v1
.LBB225_488:                            ;   in Loop: Header=BB225_10 Depth=1
	s_or_b32 exec_lo, exec_lo, s24
.LBB225_489:                            ;   in Loop: Header=BB225_10 Depth=1
	s_or_b32 exec_lo, exec_lo, s23
.LBB225_490:                            ;   in Loop: Header=BB225_10 Depth=1
	s_or_b32 exec_lo, exec_lo, s17
	flat_load_ushort v1, v[116:117] offset:1800
	v_mov_b32_e32 v4, 0
	v_mov_b32_e32 v2, 0
	;; [unrolled: 1-line block ×4, first 2 shown]
	s_waitcnt vmcnt(0) lgkmcnt(0)
	v_and_b32_e32 v0, 0xffff, v1
	v_cmp_ne_u16_sdwa s6, v1, v111 src0_sel:BYTE_0 src1_sel:DWORD
	s_and_saveexec_b32 s17, s6
	s_cbranch_execz .LBB225_498
; %bb.491:                              ;   in Loop: Header=BB225_10 Depth=1
	v_bfrev_b32_e32 v2, 1
	v_mov_b32_e32 v3, 0
	v_cmp_ne_u16_sdwa s6, v0, v119 src0_sel:BYTE_0 src1_sel:DWORD
	s_and_saveexec_b32 s23, s6
	s_cbranch_execz .LBB225_497
; %bb.492:                              ;   in Loop: Header=BB225_10 Depth=1
	v_mov_b32_e32 v2, 0x7f800001
	v_and_b32_e32 v6, 0x7f, v0
	v_mov_b32_e32 v3, 0
	s_mov_b32 s24, exec_lo
	v_cmpx_ne_u32_e32 0x7f, v6
	s_cbranch_execz .LBB225_496
; %bb.493:                              ;   in Loop: Header=BB225_10 Depth=1
	v_and_b32_e32 v110, 7, v0
	v_lshrrev_b32_e32 v1, 3, v6
	s_mov_b32 s25, exec_lo
	v_cmpx_gt_u32_e32 8, v6
; %bb.494:                              ;   in Loop: Header=BB225_10 Depth=1
	v_ffbh_u32_e32 v1, v110
	v_min_u32_e32 v1, 32, v1
	v_subrev_nc_u32_e32 v2, 28, v1
	v_sub_nc_u32_e32 v1, 29, v1
	v_lshlrev_b64 v[2:3], v2, v[110:111]
	v_and_b32_e32 v110, 7, v2
; %bb.495:                              ;   in Loop: Header=BB225_10 Depth=1
	s_or_b32 exec_lo, exec_lo, s25
	v_lshlrev_b32_e32 v2, 24, v0
	v_lshlrev_b32_e32 v3, 20, v110
	v_lshl_add_u32 v1, v1, 23, 0x3c000000
	v_and_b32_e32 v2, 0x80000000, v2
	v_or3_b32 v110, v3, v2, v1
	v_mov_b32_e32 v2, v110
	v_mov_b32_e32 v3, v111
.LBB225_496:                            ;   in Loop: Header=BB225_10 Depth=1
	s_or_b32 exec_lo, exec_lo, s24
.LBB225_497:                            ;   in Loop: Header=BB225_10 Depth=1
	s_or_b32 exec_lo, exec_lo, s23
.LBB225_498:                            ;   in Loop: Header=BB225_10 Depth=1
	s_or_b32 exec_lo, exec_lo, s17
	v_cmp_ne_u16_sdwa s6, v0, v111 src0_sel:BYTE_1 src1_sel:DWORD
	s_and_saveexec_b32 s17, s6
	s_cbranch_execz .LBB225_506
; %bb.499:                              ;   in Loop: Header=BB225_10 Depth=1
	v_mov_b32_e32 v114, v111
	v_cmp_ne_u16_sdwa s6, v0, v119 src0_sel:BYTE_1 src1_sel:DWORD
	v_mov_b32_e32 v4, v114
	v_mov_b32_e32 v5, v115
	s_and_saveexec_b32 s23, s6
	s_cbranch_execz .LBB225_505
; %bb.500:                              ;   in Loop: Header=BB225_10 Depth=1
	v_mov_b32_e32 v1, 0xffff
	v_mov_b32_e32 v98, v111
	s_mov_b32 s24, exec_lo
	v_and_b32_sdwa v1, v1, v0 dst_sel:DWORD dst_unused:UNUSED_PAD src0_sel:DWORD src1_sel:BYTE_1
	v_mov_b32_e32 v4, v98
	v_mov_b32_e32 v5, v99
	v_and_b32_e32 v6, 0x7f, v1
	v_cmpx_ne_u32_e32 0x7f, v6
	s_cbranch_execz .LBB225_504
; %bb.501:                              ;   in Loop: Header=BB225_10 Depth=1
	v_and_b32_e32 v110, 7, v1
	v_lshrrev_b32_e32 v1, 3, v6
	s_mov_b32 s25, exec_lo
	v_cmpx_gt_u32_e32 8, v6
; %bb.502:                              ;   in Loop: Header=BB225_10 Depth=1
	v_ffbh_u32_e32 v1, v110
	v_min_u32_e32 v1, 32, v1
	v_subrev_nc_u32_e32 v4, 28, v1
	v_sub_nc_u32_e32 v1, 29, v1
	v_lshlrev_b64 v[4:5], v4, v[110:111]
	v_and_b32_e32 v110, 7, v4
; %bb.503:                              ;   in Loop: Header=BB225_10 Depth=1
	s_or_b32 exec_lo, exec_lo, s25
	v_lshlrev_b32_e32 v0, 16, v0
	v_lshlrev_b32_e32 v4, 20, v110
	v_lshl_add_u32 v1, v1, 23, 0x3c000000
	v_and_b32_e32 v0, 0x80000000, v0
	v_or3_b32 v5, v4, v0, v1
	v_mov_b32_e32 v4, v111
.LBB225_504:                            ;   in Loop: Header=BB225_10 Depth=1
	s_or_b32 exec_lo, exec_lo, s24
.LBB225_505:                            ;   in Loop: Header=BB225_10 Depth=1
	s_or_b32 exec_lo, exec_lo, s23
.LBB225_506:                            ;   in Loop: Header=BB225_10 Depth=1
	s_or_b32 exec_lo, exec_lo, s17
	flat_load_ushort v1, v[116:117] offset:1804
	v_mov_b32_e32 v120, 0
	v_mov_b32_e32 v116, 0
	;; [unrolled: 1-line block ×4, first 2 shown]
	s_waitcnt vmcnt(0) lgkmcnt(0)
	v_and_b32_e32 v0, 0xffff, v1
	v_cmp_ne_u16_sdwa s6, v1, v111 src0_sel:BYTE_0 src1_sel:DWORD
	s_and_saveexec_b32 s17, s6
	s_cbranch_execz .LBB225_514
; %bb.507:                              ;   in Loop: Header=BB225_10 Depth=1
	v_bfrev_b32_e32 v116, 1
	v_mov_b32_e32 v117, 0
	v_cmp_ne_u16_sdwa s6, v0, v119 src0_sel:BYTE_0 src1_sel:DWORD
	s_and_saveexec_b32 s23, s6
	s_cbranch_execz .LBB225_513
; %bb.508:                              ;   in Loop: Header=BB225_10 Depth=1
	v_mov_b32_e32 v116, 0x7f800001
	v_and_b32_e32 v6, 0x7f, v0
	v_mov_b32_e32 v117, 0
	s_mov_b32 s24, exec_lo
	v_cmpx_ne_u32_e32 0x7f, v6
	s_cbranch_execz .LBB225_512
; %bb.509:                              ;   in Loop: Header=BB225_10 Depth=1
	v_and_b32_e32 v110, 7, v0
	v_lshrrev_b32_e32 v1, 3, v6
	s_mov_b32 s25, exec_lo
	v_cmpx_gt_u32_e32 8, v6
; %bb.510:                              ;   in Loop: Header=BB225_10 Depth=1
	v_ffbh_u32_e32 v1, v110
	v_min_u32_e32 v1, 32, v1
	v_subrev_nc_u32_e32 v6, 28, v1
	v_sub_nc_u32_e32 v1, 29, v1
	v_lshlrev_b64 v[6:7], v6, v[110:111]
	v_and_b32_e32 v110, 7, v6
; %bb.511:                              ;   in Loop: Header=BB225_10 Depth=1
	s_or_b32 exec_lo, exec_lo, s25
	v_lshlrev_b32_e32 v6, 24, v0
	v_lshlrev_b32_e32 v7, 20, v110
	v_lshl_add_u32 v1, v1, 23, 0x3c000000
	v_and_b32_e32 v6, 0x80000000, v6
	v_or3_b32 v110, v7, v6, v1
	v_mov_b32_e32 v117, v111
	v_mov_b32_e32 v116, v110
.LBB225_512:                            ;   in Loop: Header=BB225_10 Depth=1
	s_or_b32 exec_lo, exec_lo, s24
.LBB225_513:                            ;   in Loop: Header=BB225_10 Depth=1
	s_or_b32 exec_lo, exec_lo, s23
.LBB225_514:                            ;   in Loop: Header=BB225_10 Depth=1
	s_or_b32 exec_lo, exec_lo, s17
	v_cmp_ne_u16_sdwa s6, v0, v111 src0_sel:BYTE_1 src1_sel:DWORD
	s_and_saveexec_b32 s17, s6
	s_cbranch_execz .LBB225_522
; %bb.515:                              ;   in Loop: Header=BB225_10 Depth=1
	v_mov_b32_e32 v114, v111
	v_mov_b32_e32 v121, v115
	v_cmp_ne_u16_sdwa s6, v0, v119 src0_sel:BYTE_1 src1_sel:DWORD
	v_mov_b32_e32 v120, v114
	s_and_saveexec_b32 s23, s6
	s_cbranch_execz .LBB225_521
; %bb.516:                              ;   in Loop: Header=BB225_10 Depth=1
	v_mov_b32_e32 v1, 0xffff
	v_mov_b32_e32 v98, v111
	;; [unrolled: 1-line block ×3, first 2 shown]
	s_mov_b32 s24, exec_lo
	v_and_b32_sdwa v1, v1, v0 dst_sel:DWORD dst_unused:UNUSED_PAD src0_sel:DWORD src1_sel:BYTE_1
	v_mov_b32_e32 v120, v98
	v_and_b32_e32 v6, 0x7f, v1
	v_cmpx_ne_u32_e32 0x7f, v6
	s_cbranch_execz .LBB225_520
; %bb.517:                              ;   in Loop: Header=BB225_10 Depth=1
	v_and_b32_e32 v110, 7, v1
	v_lshrrev_b32_e32 v1, 3, v6
	s_mov_b32 s25, exec_lo
	v_cmpx_gt_u32_e32 8, v6
; %bb.518:                              ;   in Loop: Header=BB225_10 Depth=1
	v_ffbh_u32_e32 v1, v110
	v_min_u32_e32 v1, 32, v1
	v_subrev_nc_u32_e32 v6, 28, v1
	v_sub_nc_u32_e32 v1, 29, v1
	v_lshlrev_b64 v[6:7], v6, v[110:111]
	v_and_b32_e32 v110, 7, v6
; %bb.519:                              ;   in Loop: Header=BB225_10 Depth=1
	s_or_b32 exec_lo, exec_lo, s25
	v_lshlrev_b32_e32 v0, 16, v0
	v_lshlrev_b32_e32 v6, 20, v110
	v_lshl_add_u32 v1, v1, 23, 0x3c000000
	v_mov_b32_e32 v120, v111
	v_and_b32_e32 v0, 0x80000000, v0
	v_or3_b32 v121, v6, v0, v1
.LBB225_520:                            ;   in Loop: Header=BB225_10 Depth=1
	s_or_b32 exec_lo, exec_lo, s24
.LBB225_521:                            ;   in Loop: Header=BB225_10 Depth=1
	s_or_b32 exec_lo, exec_lo, s23
.LBB225_522:                            ;   in Loop: Header=BB225_10 Depth=1
	s_or_b32 exec_lo, exec_lo, s17
	buffer_load_dword v0, off, s[0:3], s32 offset:192 ; 4-byte Folded Reload
	v_add_co_u32 v6, s6, 0x800, v8
	v_add_co_ci_u32_e64 v7, null, 0, v9, s6
	v_mov_b32_e32 v22, 0
	v_mov_b32_e32 v23, 0
	s_waitcnt vmcnt(0)
	v_add_co_u32 v0, s6, v6, v0
	v_add_co_ci_u32_e64 v1, null, 0, v7, s6
	flat_load_ushort v0, v[0:1]
	s_waitcnt vmcnt(0) lgkmcnt(0)
	v_and_b32_e32 v14, 0xffff, v0
	v_cmp_ne_u16_sdwa s6, v0, v111 src0_sel:BYTE_0 src1_sel:DWORD
	v_mov_b32_e32 v0, 0
	v_mov_b32_e32 v1, 0
	s_and_saveexec_b32 s17, s6
	s_cbranch_execz .LBB225_530
; %bb.523:                              ;   in Loop: Header=BB225_10 Depth=1
	v_bfrev_b32_e32 v0, 1
	v_mov_b32_e32 v1, 0
	v_cmp_ne_u16_sdwa s6, v14, v119 src0_sel:BYTE_0 src1_sel:DWORD
	s_and_saveexec_b32 s23, s6
	s_cbranch_execz .LBB225_529
; %bb.524:                              ;   in Loop: Header=BB225_10 Depth=1
	v_mov_b32_e32 v0, 0x7f800001
	v_and_b32_e32 v15, 0x7f, v14
	v_mov_b32_e32 v1, 0
	s_mov_b32 s24, exec_lo
	v_cmpx_ne_u32_e32 0x7f, v15
	s_cbranch_execz .LBB225_528
; %bb.525:                              ;   in Loop: Header=BB225_10 Depth=1
	v_and_b32_e32 v110, 7, v14
	v_lshrrev_b32_e32 v0, 3, v15
	s_mov_b32 s25, exec_lo
	v_cmpx_gt_u32_e32 8, v15
; %bb.526:                              ;   in Loop: Header=BB225_10 Depth=1
	v_ffbh_u32_e32 v0, v110
	v_min_u32_e32 v0, 32, v0
	v_subrev_nc_u32_e32 v1, 28, v0
	v_sub_nc_u32_e32 v0, 29, v0
	v_lshlrev_b64 v[15:16], v1, v[110:111]
	v_and_b32_e32 v110, 7, v15
; %bb.527:                              ;   in Loop: Header=BB225_10 Depth=1
	s_or_b32 exec_lo, exec_lo, s25
	v_lshlrev_b32_e32 v1, 24, v14
	v_lshlrev_b32_e32 v15, 20, v110
	v_lshl_add_u32 v0, v0, 23, 0x3c000000
	v_and_b32_e32 v1, 0x80000000, v1
	v_or3_b32 v110, v15, v1, v0
	v_mov_b32_e32 v0, v110
	v_mov_b32_e32 v1, v111
.LBB225_528:                            ;   in Loop: Header=BB225_10 Depth=1
	s_or_b32 exec_lo, exec_lo, s24
.LBB225_529:                            ;   in Loop: Header=BB225_10 Depth=1
	s_or_b32 exec_lo, exec_lo, s23
.LBB225_530:                            ;   in Loop: Header=BB225_10 Depth=1
	s_or_b32 exec_lo, exec_lo, s17
	v_cmp_ne_u16_sdwa s6, v14, v111 src0_sel:BYTE_1 src1_sel:DWORD
	s_and_saveexec_b32 s17, s6
	s_cbranch_execz .LBB225_538
; %bb.531:                              ;   in Loop: Header=BB225_10 Depth=1
	v_mov_b32_e32 v114, v111
	v_cmp_ne_u16_sdwa s6, v14, v119 src0_sel:BYTE_1 src1_sel:DWORD
	v_mov_b32_e32 v22, v114
	v_mov_b32_e32 v23, v115
	s_and_saveexec_b32 s23, s6
	s_cbranch_execz .LBB225_537
; %bb.532:                              ;   in Loop: Header=BB225_10 Depth=1
	v_mov_b32_e32 v15, 0xffff
	v_mov_b32_e32 v98, v111
	s_mov_b32 s24, exec_lo
	v_and_b32_sdwa v15, v15, v14 dst_sel:DWORD dst_unused:UNUSED_PAD src0_sel:DWORD src1_sel:BYTE_1
	v_mov_b32_e32 v22, v98
	v_mov_b32_e32 v23, v99
	v_and_b32_e32 v16, 0x7f, v15
	v_cmpx_ne_u32_e32 0x7f, v16
	s_cbranch_execz .LBB225_536
; %bb.533:                              ;   in Loop: Header=BB225_10 Depth=1
	v_and_b32_e32 v110, 7, v15
	v_lshrrev_b32_e32 v15, 3, v16
	s_mov_b32 s25, exec_lo
	v_cmpx_gt_u32_e32 8, v16
; %bb.534:                              ;   in Loop: Header=BB225_10 Depth=1
	v_ffbh_u32_e32 v15, v110
	v_min_u32_e32 v15, 32, v15
	v_subrev_nc_u32_e32 v16, 28, v15
	v_sub_nc_u32_e32 v15, 29, v15
	v_lshlrev_b64 v[16:17], v16, v[110:111]
	v_and_b32_e32 v110, 7, v16
; %bb.535:                              ;   in Loop: Header=BB225_10 Depth=1
	s_or_b32 exec_lo, exec_lo, s25
	v_lshlrev_b32_e32 v14, 16, v14
	v_lshlrev_b32_e32 v16, 20, v110
	v_lshl_add_u32 v15, v15, 23, 0x3c000000
	v_mov_b32_e32 v22, v111
	v_and_b32_e32 v14, 0x80000000, v14
	v_or3_b32 v23, v16, v14, v15
.LBB225_536:                            ;   in Loop: Header=BB225_10 Depth=1
	s_or_b32 exec_lo, exec_lo, s24
.LBB225_537:                            ;   in Loop: Header=BB225_10 Depth=1
	s_or_b32 exec_lo, exec_lo, s23
.LBB225_538:                            ;   in Loop: Header=BB225_10 Depth=1
	s_or_b32 exec_lo, exec_lo, s17
	buffer_load_dword v14, off, s[0:3], s32 offset:196 ; 4-byte Folded Reload
	v_mov_b32_e32 v16, 0
	v_mov_b32_e32 v17, 0
	s_waitcnt vmcnt(0)
	v_add_co_u32 v14, s6, v6, v14
	v_add_co_ci_u32_e64 v15, null, 0, v7, s6
	flat_load_ushort v14, v[14:15]
	s_waitcnt vmcnt(0) lgkmcnt(0)
	v_and_b32_e32 v18, 0xffff, v14
	v_cmp_ne_u16_sdwa s6, v14, v111 src0_sel:BYTE_0 src1_sel:DWORD
	v_mov_b32_e32 v14, 0
	v_mov_b32_e32 v15, 0
	s_and_saveexec_b32 s17, s6
	s_cbranch_execz .LBB225_546
; %bb.539:                              ;   in Loop: Header=BB225_10 Depth=1
	v_bfrev_b32_e32 v14, 1
	v_mov_b32_e32 v15, 0
	v_cmp_ne_u16_sdwa s6, v18, v119 src0_sel:BYTE_0 src1_sel:DWORD
	s_and_saveexec_b32 s23, s6
	s_cbranch_execz .LBB225_545
; %bb.540:                              ;   in Loop: Header=BB225_10 Depth=1
	v_mov_b32_e32 v14, 0x7f800001
	v_and_b32_e32 v19, 0x7f, v18
	v_mov_b32_e32 v15, 0
	s_mov_b32 s24, exec_lo
	v_cmpx_ne_u32_e32 0x7f, v19
	s_cbranch_execz .LBB225_544
; %bb.541:                              ;   in Loop: Header=BB225_10 Depth=1
	v_and_b32_e32 v110, 7, v18
	v_lshrrev_b32_e32 v14, 3, v19
	s_mov_b32 s25, exec_lo
	v_cmpx_gt_u32_e32 8, v19
; %bb.542:                              ;   in Loop: Header=BB225_10 Depth=1
	v_ffbh_u32_e32 v14, v110
	v_min_u32_e32 v14, 32, v14
	v_subrev_nc_u32_e32 v15, 28, v14
	v_sub_nc_u32_e32 v14, 29, v14
	v_lshlrev_b64 v[26:27], v15, v[110:111]
	v_and_b32_e32 v110, 7, v26
; %bb.543:                              ;   in Loop: Header=BB225_10 Depth=1
	s_or_b32 exec_lo, exec_lo, s25
	v_lshlrev_b32_e32 v15, 24, v18
	v_lshlrev_b32_e32 v19, 20, v110
	v_lshl_add_u32 v14, v14, 23, 0x3c000000
	v_and_b32_e32 v15, 0x80000000, v15
	v_or3_b32 v110, v19, v15, v14
	v_mov_b32_e32 v14, v110
	v_mov_b32_e32 v15, v111
.LBB225_544:                            ;   in Loop: Header=BB225_10 Depth=1
	s_or_b32 exec_lo, exec_lo, s24
.LBB225_545:                            ;   in Loop: Header=BB225_10 Depth=1
	s_or_b32 exec_lo, exec_lo, s23
.LBB225_546:                            ;   in Loop: Header=BB225_10 Depth=1
	s_or_b32 exec_lo, exec_lo, s17
	v_cmp_ne_u16_sdwa s6, v18, v111 src0_sel:BYTE_1 src1_sel:DWORD
	s_and_saveexec_b32 s17, s6
	s_cbranch_execz .LBB225_554
; %bb.547:                              ;   in Loop: Header=BB225_10 Depth=1
	v_mov_b32_e32 v114, v111
	v_cmp_ne_u16_sdwa s6, v18, v119 src0_sel:BYTE_1 src1_sel:DWORD
	v_mov_b32_e32 v16, v114
	v_mov_b32_e32 v17, v115
	s_and_saveexec_b32 s23, s6
	s_cbranch_execz .LBB225_553
; %bb.548:                              ;   in Loop: Header=BB225_10 Depth=1
	v_mov_b32_e32 v16, 0xffff
	v_mov_b32_e32 v98, v111
	s_mov_b32 s24, exec_lo
	v_and_b32_sdwa v26, v16, v18 dst_sel:DWORD dst_unused:UNUSED_PAD src0_sel:DWORD src1_sel:BYTE_1
	v_mov_b32_e32 v16, v98
	v_mov_b32_e32 v17, v99
	v_and_b32_e32 v19, 0x7f, v26
	v_cmpx_ne_u32_e32 0x7f, v19
	s_cbranch_execz .LBB225_552
; %bb.549:                              ;   in Loop: Header=BB225_10 Depth=1
	v_and_b32_e32 v110, 7, v26
	v_lshrrev_b32_e32 v16, 3, v19
	s_mov_b32 s25, exec_lo
	v_cmpx_gt_u32_e32 8, v19
; %bb.550:                              ;   in Loop: Header=BB225_10 Depth=1
	v_ffbh_u32_e32 v16, v110
	v_min_u32_e32 v16, 32, v16
	v_subrev_nc_u32_e32 v17, 28, v16
	v_sub_nc_u32_e32 v16, 29, v16
	v_lshlrev_b64 v[26:27], v17, v[110:111]
	v_and_b32_e32 v110, 7, v26
; %bb.551:                              ;   in Loop: Header=BB225_10 Depth=1
	s_or_b32 exec_lo, exec_lo, s25
	v_lshlrev_b32_e32 v17, 16, v18
	v_lshlrev_b32_e32 v18, 20, v110
	v_lshl_add_u32 v16, v16, 23, 0x3c000000
	v_and_b32_e32 v17, 0x80000000, v17
	v_or3_b32 v17, v18, v17, v16
	v_mov_b32_e32 v16, v111
.LBB225_552:                            ;   in Loop: Header=BB225_10 Depth=1
	s_or_b32 exec_lo, exec_lo, s24
.LBB225_553:                            ;   in Loop: Header=BB225_10 Depth=1
	s_or_b32 exec_lo, exec_lo, s23
.LBB225_554:                            ;   in Loop: Header=BB225_10 Depth=1
	s_or_b32 exec_lo, exec_lo, s17
	buffer_load_dword v18, off, s[0:3], s32 offset:200 ; 4-byte Folded Reload
	v_mov_b32_e32 v28, 0
	v_mov_b32_e32 v26, 0
	v_mov_b32_e32 v29, 0
	v_mov_b32_e32 v27, 0
	s_waitcnt vmcnt(0)
	v_add_co_u32 v18, s6, v6, v18
	v_add_co_ci_u32_e64 v19, null, 0, v7, s6
	flat_load_ushort v19, v[18:19]
	s_waitcnt vmcnt(0) lgkmcnt(0)
	v_and_b32_e32 v18, 0xffff, v19
	v_cmp_ne_u16_sdwa s6, v19, v111 src0_sel:BYTE_0 src1_sel:DWORD
	s_and_saveexec_b32 s17, s6
	s_cbranch_execz .LBB225_562
; %bb.555:                              ;   in Loop: Header=BB225_10 Depth=1
	v_bfrev_b32_e32 v26, 1
	v_mov_b32_e32 v27, 0
	v_cmp_ne_u16_sdwa s6, v18, v119 src0_sel:BYTE_0 src1_sel:DWORD
	s_and_saveexec_b32 s23, s6
	s_cbranch_execz .LBB225_561
; %bb.556:                              ;   in Loop: Header=BB225_10 Depth=1
	v_mov_b32_e32 v26, 0x7f800001
	v_and_b32_e32 v30, 0x7f, v18
	v_mov_b32_e32 v27, 0
	s_mov_b32 s24, exec_lo
	v_cmpx_ne_u32_e32 0x7f, v30
	s_cbranch_execz .LBB225_560
; %bb.557:                              ;   in Loop: Header=BB225_10 Depth=1
	v_and_b32_e32 v110, 7, v18
	v_lshrrev_b32_e32 v19, 3, v30
	s_mov_b32 s25, exec_lo
	v_cmpx_gt_u32_e32 8, v30
; %bb.558:                              ;   in Loop: Header=BB225_10 Depth=1
	v_ffbh_u32_e32 v19, v110
	v_min_u32_e32 v19, 32, v19
	v_subrev_nc_u32_e32 v26, 28, v19
	v_sub_nc_u32_e32 v19, 29, v19
	v_lshlrev_b64 v[26:27], v26, v[110:111]
	v_and_b32_e32 v110, 7, v26
; %bb.559:                              ;   in Loop: Header=BB225_10 Depth=1
	s_or_b32 exec_lo, exec_lo, s25
	v_lshlrev_b32_e32 v26, 24, v18
	v_lshlrev_b32_e32 v27, 20, v110
	v_lshl_add_u32 v19, v19, 23, 0x3c000000
	v_and_b32_e32 v26, 0x80000000, v26
	v_or3_b32 v110, v27, v26, v19
	v_mov_b32_e32 v26, v110
	v_mov_b32_e32 v27, v111
.LBB225_560:                            ;   in Loop: Header=BB225_10 Depth=1
	s_or_b32 exec_lo, exec_lo, s24
.LBB225_561:                            ;   in Loop: Header=BB225_10 Depth=1
	s_or_b32 exec_lo, exec_lo, s23
.LBB225_562:                            ;   in Loop: Header=BB225_10 Depth=1
	s_or_b32 exec_lo, exec_lo, s17
	v_cmp_ne_u16_sdwa s6, v18, v111 src0_sel:BYTE_1 src1_sel:DWORD
	s_and_saveexec_b32 s17, s6
	s_cbranch_execz .LBB225_570
; %bb.563:                              ;   in Loop: Header=BB225_10 Depth=1
	v_mov_b32_e32 v114, v111
	v_cmp_ne_u16_sdwa s6, v18, v119 src0_sel:BYTE_1 src1_sel:DWORD
	v_mov_b32_e32 v28, v114
	v_mov_b32_e32 v29, v115
	s_and_saveexec_b32 s23, s6
	s_cbranch_execz .LBB225_569
; %bb.564:                              ;   in Loop: Header=BB225_10 Depth=1
	v_mov_b32_e32 v19, 0xffff
	v_mov_b32_e32 v98, v111
	s_mov_b32 s24, exec_lo
	v_and_b32_sdwa v19, v19, v18 dst_sel:DWORD dst_unused:UNUSED_PAD src0_sel:DWORD src1_sel:BYTE_1
	v_mov_b32_e32 v28, v98
	v_mov_b32_e32 v29, v99
	v_and_b32_e32 v30, 0x7f, v19
	v_cmpx_ne_u32_e32 0x7f, v30
	s_cbranch_execz .LBB225_568
; %bb.565:                              ;   in Loop: Header=BB225_10 Depth=1
	v_and_b32_e32 v110, 7, v19
	v_lshrrev_b32_e32 v19, 3, v30
	s_mov_b32 s25, exec_lo
	v_cmpx_gt_u32_e32 8, v30
; %bb.566:                              ;   in Loop: Header=BB225_10 Depth=1
	v_ffbh_u32_e32 v19, v110
	v_min_u32_e32 v19, 32, v19
	v_subrev_nc_u32_e32 v28, 28, v19
	v_sub_nc_u32_e32 v19, 29, v19
	v_lshlrev_b64 v[28:29], v28, v[110:111]
	v_and_b32_e32 v110, 7, v28
; %bb.567:                              ;   in Loop: Header=BB225_10 Depth=1
	s_or_b32 exec_lo, exec_lo, s25
	v_lshlrev_b32_e32 v18, 16, v18
	v_lshlrev_b32_e32 v28, 20, v110
	v_lshl_add_u32 v19, v19, 23, 0x3c000000
	v_and_b32_e32 v18, 0x80000000, v18
	v_or3_b32 v29, v28, v18, v19
	v_mov_b32_e32 v28, v111
.LBB225_568:                            ;   in Loop: Header=BB225_10 Depth=1
	s_or_b32 exec_lo, exec_lo, s24
.LBB225_569:                            ;   in Loop: Header=BB225_10 Depth=1
	s_or_b32 exec_lo, exec_lo, s23
.LBB225_570:                            ;   in Loop: Header=BB225_10 Depth=1
	s_or_b32 exec_lo, exec_lo, s17
	buffer_load_dword v18, off, s[0:3], s32 offset:204 ; 4-byte Folded Reload
	v_mov_b32_e32 v32, 0
	v_mov_b32_e32 v33, 0
	s_waitcnt vmcnt(0)
	v_add_co_u32 v6, s6, v6, v18
	v_add_co_ci_u32_e64 v7, null, 0, v7, s6
	flat_load_ushort v6, v[6:7]
	s_waitcnt vmcnt(0) lgkmcnt(0)
	v_and_b32_e32 v18, 0xffff, v6
	v_cmp_ne_u16_sdwa s6, v6, v111 src0_sel:BYTE_0 src1_sel:DWORD
	v_mov_b32_e32 v6, 0
	v_mov_b32_e32 v7, 0
	s_and_saveexec_b32 s17, s6
	s_cbranch_execz .LBB225_578
; %bb.571:                              ;   in Loop: Header=BB225_10 Depth=1
	v_bfrev_b32_e32 v6, 1
	v_mov_b32_e32 v7, 0
	v_cmp_ne_u16_sdwa s6, v18, v119 src0_sel:BYTE_0 src1_sel:DWORD
	s_and_saveexec_b32 s23, s6
	s_cbranch_execz .LBB225_577
; %bb.572:                              ;   in Loop: Header=BB225_10 Depth=1
	v_mov_b32_e32 v6, 0x7f800001
	v_and_b32_e32 v19, 0x7f, v18
	v_mov_b32_e32 v7, 0
	s_mov_b32 s24, exec_lo
	v_cmpx_ne_u32_e32 0x7f, v19
	s_cbranch_execz .LBB225_576
; %bb.573:                              ;   in Loop: Header=BB225_10 Depth=1
	v_and_b32_e32 v110, 7, v18
	v_lshrrev_b32_e32 v6, 3, v19
	s_mov_b32 s25, exec_lo
	v_cmpx_gt_u32_e32 8, v19
; %bb.574:                              ;   in Loop: Header=BB225_10 Depth=1
	v_ffbh_u32_e32 v6, v110
	v_min_u32_e32 v6, 32, v6
	v_subrev_nc_u32_e32 v7, 28, v6
	v_sub_nc_u32_e32 v6, 29, v6
	v_lshlrev_b64 v[30:31], v7, v[110:111]
	v_and_b32_e32 v110, 7, v30
; %bb.575:                              ;   in Loop: Header=BB225_10 Depth=1
	s_or_b32 exec_lo, exec_lo, s25
	v_lshlrev_b32_e32 v7, 24, v18
	v_lshlrev_b32_e32 v19, 20, v110
	v_lshl_add_u32 v6, v6, 23, 0x3c000000
	v_and_b32_e32 v7, 0x80000000, v7
	v_or3_b32 v110, v19, v7, v6
	v_mov_b32_e32 v6, v110
	v_mov_b32_e32 v7, v111
.LBB225_576:                            ;   in Loop: Header=BB225_10 Depth=1
	s_or_b32 exec_lo, exec_lo, s24
.LBB225_577:                            ;   in Loop: Header=BB225_10 Depth=1
	s_or_b32 exec_lo, exec_lo, s23
.LBB225_578:                            ;   in Loop: Header=BB225_10 Depth=1
	s_or_b32 exec_lo, exec_lo, s17
	v_cmp_ne_u16_sdwa s6, v18, v111 src0_sel:BYTE_1 src1_sel:DWORD
	s_and_saveexec_b32 s17, s6
	s_cbranch_execz .LBB225_586
; %bb.579:                              ;   in Loop: Header=BB225_10 Depth=1
	v_mov_b32_e32 v114, v111
	v_cmp_ne_u16_sdwa s6, v18, v119 src0_sel:BYTE_1 src1_sel:DWORD
	v_mov_b32_e32 v32, v114
	v_mov_b32_e32 v33, v115
	s_and_saveexec_b32 s23, s6
	s_cbranch_execz .LBB225_585
; %bb.580:                              ;   in Loop: Header=BB225_10 Depth=1
	v_mov_b32_e32 v19, 0xffff
	v_mov_b32_e32 v98, v111
	s_mov_b32 s24, exec_lo
	v_and_b32_sdwa v19, v19, v18 dst_sel:DWORD dst_unused:UNUSED_PAD src0_sel:DWORD src1_sel:BYTE_1
	v_mov_b32_e32 v32, v98
	v_mov_b32_e32 v33, v99
	v_and_b32_e32 v30, 0x7f, v19
	v_cmpx_ne_u32_e32 0x7f, v30
	s_cbranch_execz .LBB225_584
; %bb.581:                              ;   in Loop: Header=BB225_10 Depth=1
	v_and_b32_e32 v110, 7, v19
	v_lshrrev_b32_e32 v19, 3, v30
	s_mov_b32 s25, exec_lo
	v_cmpx_gt_u32_e32 8, v30
; %bb.582:                              ;   in Loop: Header=BB225_10 Depth=1
	v_ffbh_u32_e32 v19, v110
	v_min_u32_e32 v19, 32, v19
	v_subrev_nc_u32_e32 v30, 28, v19
	v_sub_nc_u32_e32 v19, 29, v19
	v_lshlrev_b64 v[30:31], v30, v[110:111]
	v_and_b32_e32 v110, 7, v30
; %bb.583:                              ;   in Loop: Header=BB225_10 Depth=1
	s_or_b32 exec_lo, exec_lo, s25
	v_lshlrev_b32_e32 v18, 16, v18
	v_lshlrev_b32_e32 v30, 20, v110
	v_lshl_add_u32 v19, v19, 23, 0x3c000000
	v_mov_b32_e32 v32, v111
	v_and_b32_e32 v18, 0x80000000, v18
	v_or3_b32 v33, v30, v18, v19
.LBB225_584:                            ;   in Loop: Header=BB225_10 Depth=1
	s_or_b32 exec_lo, exec_lo, s24
.LBB225_585:                            ;   in Loop: Header=BB225_10 Depth=1
	s_or_b32 exec_lo, exec_lo, s23
.LBB225_586:                            ;   in Loop: Header=BB225_10 Depth=1
	s_or_b32 exec_lo, exec_lo, s17
	buffer_load_dword v18, off, s[0:3], s32 offset:192 ; 4-byte Folded Reload
	v_add_co_u32 v38, s6, 0x900, v8
	v_add_co_ci_u32_e64 v39, null, 0, v9, s6
	v_mov_b32_e32 v36, 0
	v_mov_b32_e32 v37, 0
	s_waitcnt vmcnt(0)
	v_add_co_u32 v18, s6, v38, v18
	v_add_co_ci_u32_e64 v19, null, 0, v39, s6
	flat_load_ushort v18, v[18:19]
	s_waitcnt vmcnt(0) lgkmcnt(0)
	v_and_b32_e32 v30, 0xffff, v18
	v_cmp_ne_u16_sdwa s6, v18, v111 src0_sel:BYTE_0 src1_sel:DWORD
	v_mov_b32_e32 v18, 0
	v_mov_b32_e32 v19, 0
	s_and_saveexec_b32 s17, s6
	s_cbranch_execz .LBB225_594
; %bb.587:                              ;   in Loop: Header=BB225_10 Depth=1
	v_bfrev_b32_e32 v18, 1
	v_mov_b32_e32 v19, 0
	v_cmp_ne_u16_sdwa s6, v30, v119 src0_sel:BYTE_0 src1_sel:DWORD
	s_and_saveexec_b32 s23, s6
	s_cbranch_execz .LBB225_593
; %bb.588:                              ;   in Loop: Header=BB225_10 Depth=1
	v_mov_b32_e32 v18, 0x7f800001
	v_and_b32_e32 v31, 0x7f, v30
	v_mov_b32_e32 v19, 0
	s_mov_b32 s24, exec_lo
	v_cmpx_ne_u32_e32 0x7f, v31
	s_cbranch_execz .LBB225_592
; %bb.589:                              ;   in Loop: Header=BB225_10 Depth=1
	v_and_b32_e32 v110, 7, v30
	v_lshrrev_b32_e32 v18, 3, v31
	s_mov_b32 s25, exec_lo
	v_cmpx_gt_u32_e32 8, v31
; %bb.590:                              ;   in Loop: Header=BB225_10 Depth=1
	v_ffbh_u32_e32 v18, v110
	v_min_u32_e32 v18, 32, v18
	v_subrev_nc_u32_e32 v19, 28, v18
	v_sub_nc_u32_e32 v18, 29, v18
	v_lshlrev_b64 v[34:35], v19, v[110:111]
	v_and_b32_e32 v110, 7, v34
; %bb.591:                              ;   in Loop: Header=BB225_10 Depth=1
	s_or_b32 exec_lo, exec_lo, s25
	v_lshlrev_b32_e32 v19, 24, v30
	v_lshlrev_b32_e32 v31, 20, v110
	v_lshl_add_u32 v18, v18, 23, 0x3c000000
	v_and_b32_e32 v19, 0x80000000, v19
	v_or3_b32 v110, v31, v19, v18
	v_mov_b32_e32 v18, v110
	v_mov_b32_e32 v19, v111
.LBB225_592:                            ;   in Loop: Header=BB225_10 Depth=1
	s_or_b32 exec_lo, exec_lo, s24
.LBB225_593:                            ;   in Loop: Header=BB225_10 Depth=1
	s_or_b32 exec_lo, exec_lo, s23
.LBB225_594:                            ;   in Loop: Header=BB225_10 Depth=1
	s_or_b32 exec_lo, exec_lo, s17
	v_cmp_ne_u16_sdwa s6, v30, v111 src0_sel:BYTE_1 src1_sel:DWORD
	s_and_saveexec_b32 s17, s6
	s_cbranch_execz .LBB225_602
; %bb.595:                              ;   in Loop: Header=BB225_10 Depth=1
	v_mov_b32_e32 v114, v111
	v_cmp_ne_u16_sdwa s6, v30, v119 src0_sel:BYTE_1 src1_sel:DWORD
	v_mov_b32_e32 v36, v114
	v_mov_b32_e32 v37, v115
	s_and_saveexec_b32 s23, s6
	s_cbranch_execz .LBB225_601
; %bb.596:                              ;   in Loop: Header=BB225_10 Depth=1
	v_mov_b32_e32 v31, 0xffff
	v_mov_b32_e32 v98, v111
	s_mov_b32 s24, exec_lo
	v_and_b32_sdwa v31, v31, v30 dst_sel:DWORD dst_unused:UNUSED_PAD src0_sel:DWORD src1_sel:BYTE_1
	v_mov_b32_e32 v36, v98
	v_mov_b32_e32 v37, v99
	v_and_b32_e32 v34, 0x7f, v31
	v_cmpx_ne_u32_e32 0x7f, v34
	s_cbranch_execz .LBB225_600
; %bb.597:                              ;   in Loop: Header=BB225_10 Depth=1
	v_and_b32_e32 v110, 7, v31
	v_lshrrev_b32_e32 v31, 3, v34
	s_mov_b32 s25, exec_lo
	v_cmpx_gt_u32_e32 8, v34
; %bb.598:                              ;   in Loop: Header=BB225_10 Depth=1
	v_ffbh_u32_e32 v31, v110
	v_min_u32_e32 v31, 32, v31
	v_subrev_nc_u32_e32 v34, 28, v31
	v_sub_nc_u32_e32 v31, 29, v31
	v_lshlrev_b64 v[34:35], v34, v[110:111]
	v_and_b32_e32 v110, 7, v34
; %bb.599:                              ;   in Loop: Header=BB225_10 Depth=1
	s_or_b32 exec_lo, exec_lo, s25
	v_lshlrev_b32_e32 v30, 16, v30
	v_lshlrev_b32_e32 v34, 20, v110
	v_lshl_add_u32 v31, v31, 23, 0x3c000000
	v_mov_b32_e32 v36, v111
	v_and_b32_e32 v30, 0x80000000, v30
	v_or3_b32 v37, v34, v30, v31
.LBB225_600:                            ;   in Loop: Header=BB225_10 Depth=1
	s_or_b32 exec_lo, exec_lo, s24
.LBB225_601:                            ;   in Loop: Header=BB225_10 Depth=1
	s_or_b32 exec_lo, exec_lo, s23
.LBB225_602:                            ;   in Loop: Header=BB225_10 Depth=1
	s_or_b32 exec_lo, exec_lo, s17
	buffer_load_dword v30, off, s[0:3], s32 offset:196 ; 4-byte Folded Reload
	v_mov_b32_e32 v48, 0
	v_mov_b32_e32 v49, 0
	s_waitcnt vmcnt(0)
	v_add_co_u32 v30, s6, v38, v30
	v_add_co_ci_u32_e64 v31, null, 0, v39, s6
	flat_load_ushort v30, v[30:31]
	s_waitcnt vmcnt(0) lgkmcnt(0)
	v_and_b32_e32 v34, 0xffff, v30
	v_cmp_ne_u16_sdwa s6, v30, v111 src0_sel:BYTE_0 src1_sel:DWORD
	v_mov_b32_e32 v30, 0
	v_mov_b32_e32 v31, 0
	s_and_saveexec_b32 s17, s6
	s_cbranch_execz .LBB225_610
; %bb.603:                              ;   in Loop: Header=BB225_10 Depth=1
	v_bfrev_b32_e32 v30, 1
	v_mov_b32_e32 v31, 0
	v_cmp_ne_u16_sdwa s6, v34, v119 src0_sel:BYTE_0 src1_sel:DWORD
	s_and_saveexec_b32 s23, s6
	s_cbranch_execz .LBB225_609
; %bb.604:                              ;   in Loop: Header=BB225_10 Depth=1
	v_mov_b32_e32 v30, 0x7f800001
	v_and_b32_e32 v35, 0x7f, v34
	v_mov_b32_e32 v31, 0
	s_mov_b32 s24, exec_lo
	v_cmpx_ne_u32_e32 0x7f, v35
	s_cbranch_execz .LBB225_608
; %bb.605:                              ;   in Loop: Header=BB225_10 Depth=1
	v_and_b32_e32 v110, 7, v34
	v_lshrrev_b32_e32 v30, 3, v35
	s_mov_b32 s25, exec_lo
	v_cmpx_gt_u32_e32 8, v35
; %bb.606:                              ;   in Loop: Header=BB225_10 Depth=1
	v_ffbh_u32_e32 v30, v110
	v_min_u32_e32 v30, 32, v30
	v_subrev_nc_u32_e32 v31, 28, v30
	v_sub_nc_u32_e32 v30, 29, v30
	v_lshlrev_b64 v[50:51], v31, v[110:111]
	v_and_b32_e32 v110, 7, v50
; %bb.607:                              ;   in Loop: Header=BB225_10 Depth=1
	s_or_b32 exec_lo, exec_lo, s25
	v_lshlrev_b32_e32 v31, 24, v34
	v_lshlrev_b32_e32 v35, 20, v110
	v_lshl_add_u32 v30, v30, 23, 0x3c000000
	v_and_b32_e32 v31, 0x80000000, v31
	v_or3_b32 v110, v35, v31, v30
	v_mov_b32_e32 v30, v110
	v_mov_b32_e32 v31, v111
.LBB225_608:                            ;   in Loop: Header=BB225_10 Depth=1
	s_or_b32 exec_lo, exec_lo, s24
.LBB225_609:                            ;   in Loop: Header=BB225_10 Depth=1
	s_or_b32 exec_lo, exec_lo, s23
.LBB225_610:                            ;   in Loop: Header=BB225_10 Depth=1
	s_or_b32 exec_lo, exec_lo, s17
	v_cmp_ne_u16_sdwa s6, v34, v111 src0_sel:BYTE_1 src1_sel:DWORD
	s_and_saveexec_b32 s17, s6
	s_cbranch_execz .LBB225_618
; %bb.611:                              ;   in Loop: Header=BB225_10 Depth=1
	v_mov_b32_e32 v114, v111
	v_cmp_ne_u16_sdwa s6, v34, v119 src0_sel:BYTE_1 src1_sel:DWORD
	v_mov_b32_e32 v48, v114
	v_mov_b32_e32 v49, v115
	s_and_saveexec_b32 s23, s6
	s_cbranch_execz .LBB225_617
; %bb.612:                              ;   in Loop: Header=BB225_10 Depth=1
	v_mov_b32_e32 v35, 0xffff
	v_mov_b32_e32 v98, v111
	s_mov_b32 s24, exec_lo
	v_and_b32_sdwa v35, v35, v34 dst_sel:DWORD dst_unused:UNUSED_PAD src0_sel:DWORD src1_sel:BYTE_1
	v_mov_b32_e32 v48, v98
	v_mov_b32_e32 v49, v99
	v_and_b32_e32 v50, 0x7f, v35
	v_cmpx_ne_u32_e32 0x7f, v50
	s_cbranch_execz .LBB225_616
; %bb.613:                              ;   in Loop: Header=BB225_10 Depth=1
	v_and_b32_e32 v110, 7, v35
	v_lshrrev_b32_e32 v35, 3, v50
	s_mov_b32 s25, exec_lo
	v_cmpx_gt_u32_e32 8, v50
; %bb.614:                              ;   in Loop: Header=BB225_10 Depth=1
	v_ffbh_u32_e32 v35, v110
	v_min_u32_e32 v35, 32, v35
	v_subrev_nc_u32_e32 v48, 28, v35
	v_sub_nc_u32_e32 v35, 29, v35
	v_lshlrev_b64 v[48:49], v48, v[110:111]
	v_and_b32_e32 v110, 7, v48
; %bb.615:                              ;   in Loop: Header=BB225_10 Depth=1
	s_or_b32 exec_lo, exec_lo, s25
	v_lshlrev_b32_e32 v34, 16, v34
	v_lshlrev_b32_e32 v48, 20, v110
	v_lshl_add_u32 v35, v35, 23, 0x3c000000
	v_and_b32_e32 v34, 0x80000000, v34
	v_or3_b32 v49, v48, v34, v35
	v_mov_b32_e32 v48, v111
.LBB225_616:                            ;   in Loop: Header=BB225_10 Depth=1
	s_or_b32 exec_lo, exec_lo, s24
.LBB225_617:                            ;   in Loop: Header=BB225_10 Depth=1
	s_or_b32 exec_lo, exec_lo, s23
.LBB225_618:                            ;   in Loop: Header=BB225_10 Depth=1
	s_or_b32 exec_lo, exec_lo, s17
	buffer_load_dword v34, off, s[0:3], s32 offset:200 ; 4-byte Folded Reload
	v_mov_b32_e32 v52, 0
	v_mov_b32_e32 v53, 0
	s_waitcnt vmcnt(0)
	v_add_co_u32 v34, s6, v38, v34
	v_add_co_ci_u32_e64 v35, null, 0, v39, s6
	flat_load_ushort v34, v[34:35]
	s_waitcnt vmcnt(0) lgkmcnt(0)
	v_and_b32_e32 v50, 0xffff, v34
	v_cmp_ne_u16_sdwa s6, v34, v111 src0_sel:BYTE_0 src1_sel:DWORD
	v_mov_b32_e32 v34, 0
	v_mov_b32_e32 v35, 0
	s_and_saveexec_b32 s17, s6
	s_cbranch_execz .LBB225_626
; %bb.619:                              ;   in Loop: Header=BB225_10 Depth=1
	v_bfrev_b32_e32 v34, 1
	v_mov_b32_e32 v35, 0
	v_cmp_ne_u16_sdwa s6, v50, v119 src0_sel:BYTE_0 src1_sel:DWORD
	s_and_saveexec_b32 s23, s6
	s_cbranch_execz .LBB225_625
; %bb.620:                              ;   in Loop: Header=BB225_10 Depth=1
	v_mov_b32_e32 v34, 0x7f800001
	v_and_b32_e32 v51, 0x7f, v50
	v_mov_b32_e32 v35, 0
	s_mov_b32 s24, exec_lo
	v_cmpx_ne_u32_e32 0x7f, v51
	s_cbranch_execz .LBB225_624
; %bb.621:                              ;   in Loop: Header=BB225_10 Depth=1
	v_and_b32_e32 v110, 7, v50
	v_lshrrev_b32_e32 v34, 3, v51
	s_mov_b32 s25, exec_lo
	v_cmpx_gt_u32_e32 8, v51
; %bb.622:                              ;   in Loop: Header=BB225_10 Depth=1
	v_ffbh_u32_e32 v34, v110
	v_min_u32_e32 v34, 32, v34
	v_subrev_nc_u32_e32 v35, 28, v34
	v_sub_nc_u32_e32 v34, 29, v34
	v_lshlrev_b64 v[54:55], v35, v[110:111]
	v_and_b32_e32 v110, 7, v54
; %bb.623:                              ;   in Loop: Header=BB225_10 Depth=1
	s_or_b32 exec_lo, exec_lo, s25
	v_lshlrev_b32_e32 v35, 24, v50
	v_lshlrev_b32_e32 v51, 20, v110
	v_lshl_add_u32 v34, v34, 23, 0x3c000000
	v_and_b32_e32 v35, 0x80000000, v35
	v_or3_b32 v110, v51, v35, v34
	v_mov_b32_e32 v34, v110
	v_mov_b32_e32 v35, v111
.LBB225_624:                            ;   in Loop: Header=BB225_10 Depth=1
	s_or_b32 exec_lo, exec_lo, s24
.LBB225_625:                            ;   in Loop: Header=BB225_10 Depth=1
	s_or_b32 exec_lo, exec_lo, s23
.LBB225_626:                            ;   in Loop: Header=BB225_10 Depth=1
	s_or_b32 exec_lo, exec_lo, s17
	v_cmp_ne_u16_sdwa s6, v50, v111 src0_sel:BYTE_1 src1_sel:DWORD
	s_and_saveexec_b32 s17, s6
	s_cbranch_execz .LBB225_634
; %bb.627:                              ;   in Loop: Header=BB225_10 Depth=1
	v_mov_b32_e32 v114, v111
	v_cmp_ne_u16_sdwa s6, v50, v119 src0_sel:BYTE_1 src1_sel:DWORD
	v_mov_b32_e32 v52, v114
	v_mov_b32_e32 v53, v115
	s_and_saveexec_b32 s23, s6
	s_cbranch_execz .LBB225_633
; %bb.628:                              ;   in Loop: Header=BB225_10 Depth=1
	v_mov_b32_e32 v51, 0xffff
	v_mov_b32_e32 v98, v111
	s_mov_b32 s24, exec_lo
	v_and_b32_sdwa v51, v51, v50 dst_sel:DWORD dst_unused:UNUSED_PAD src0_sel:DWORD src1_sel:BYTE_1
	v_mov_b32_e32 v52, v98
	v_mov_b32_e32 v53, v99
	v_and_b32_e32 v54, 0x7f, v51
	v_cmpx_ne_u32_e32 0x7f, v54
	s_cbranch_execz .LBB225_632
; %bb.629:                              ;   in Loop: Header=BB225_10 Depth=1
	v_and_b32_e32 v110, 7, v51
	v_lshrrev_b32_e32 v51, 3, v54
	s_mov_b32 s25, exec_lo
	v_cmpx_gt_u32_e32 8, v54
; %bb.630:                              ;   in Loop: Header=BB225_10 Depth=1
	v_ffbh_u32_e32 v51, v110
	v_min_u32_e32 v51, 32, v51
	v_subrev_nc_u32_e32 v52, 28, v51
	v_sub_nc_u32_e32 v51, 29, v51
	v_lshlrev_b64 v[52:53], v52, v[110:111]
	v_and_b32_e32 v110, 7, v52
; %bb.631:                              ;   in Loop: Header=BB225_10 Depth=1
	s_or_b32 exec_lo, exec_lo, s25
	v_lshlrev_b32_e32 v50, 16, v50
	v_lshlrev_b32_e32 v52, 20, v110
	v_lshl_add_u32 v51, v51, 23, 0x3c000000
	v_and_b32_e32 v50, 0x80000000, v50
	v_or3_b32 v53, v52, v50, v51
	v_mov_b32_e32 v52, v111
.LBB225_632:                            ;   in Loop: Header=BB225_10 Depth=1
	s_or_b32 exec_lo, exec_lo, s24
.LBB225_633:                            ;   in Loop: Header=BB225_10 Depth=1
	s_or_b32 exec_lo, exec_lo, s23
.LBB225_634:                            ;   in Loop: Header=BB225_10 Depth=1
	s_or_b32 exec_lo, exec_lo, s17
	buffer_load_dword v50, off, s[0:3], s32 offset:204 ; 4-byte Folded Reload
	v_mov_b32_e32 v64, 0
	v_mov_b32_e32 v65, 0
	s_waitcnt vmcnt(0)
	v_add_co_u32 v38, s6, v38, v50
	v_add_co_ci_u32_e64 v39, null, 0, v39, s6
	flat_load_ushort v38, v[38:39]
	s_waitcnt vmcnt(0) lgkmcnt(0)
	v_and_b32_e32 v50, 0xffff, v38
	v_cmp_ne_u16_sdwa s6, v38, v111 src0_sel:BYTE_0 src1_sel:DWORD
	v_mov_b32_e32 v38, 0
	v_mov_b32_e32 v39, 0
	s_and_saveexec_b32 s17, s6
	s_cbranch_execz .LBB225_642
; %bb.635:                              ;   in Loop: Header=BB225_10 Depth=1
	v_bfrev_b32_e32 v38, 1
	v_mov_b32_e32 v39, 0
	v_cmp_ne_u16_sdwa s6, v50, v119 src0_sel:BYTE_0 src1_sel:DWORD
	s_and_saveexec_b32 s23, s6
	s_cbranch_execz .LBB225_641
; %bb.636:                              ;   in Loop: Header=BB225_10 Depth=1
	v_mov_b32_e32 v38, 0x7f800001
	v_and_b32_e32 v51, 0x7f, v50
	v_mov_b32_e32 v39, 0
	s_mov_b32 s24, exec_lo
	v_cmpx_ne_u32_e32 0x7f, v51
	s_cbranch_execz .LBB225_640
; %bb.637:                              ;   in Loop: Header=BB225_10 Depth=1
	v_and_b32_e32 v110, 7, v50
	v_lshrrev_b32_e32 v38, 3, v51
	s_mov_b32 s25, exec_lo
	v_cmpx_gt_u32_e32 8, v51
; %bb.638:                              ;   in Loop: Header=BB225_10 Depth=1
	v_ffbh_u32_e32 v38, v110
	v_min_u32_e32 v38, 32, v38
	v_subrev_nc_u32_e32 v39, 28, v38
	v_sub_nc_u32_e32 v38, 29, v38
	v_lshlrev_b64 v[54:55], v39, v[110:111]
	v_and_b32_e32 v110, 7, v54
; %bb.639:                              ;   in Loop: Header=BB225_10 Depth=1
	s_or_b32 exec_lo, exec_lo, s25
	v_lshlrev_b32_e32 v39, 24, v50
	v_lshlrev_b32_e32 v51, 20, v110
	v_lshl_add_u32 v38, v38, 23, 0x3c000000
	v_and_b32_e32 v39, 0x80000000, v39
	v_or3_b32 v110, v51, v39, v38
	v_mov_b32_e32 v38, v110
	v_mov_b32_e32 v39, v111
.LBB225_640:                            ;   in Loop: Header=BB225_10 Depth=1
	s_or_b32 exec_lo, exec_lo, s24
.LBB225_641:                            ;   in Loop: Header=BB225_10 Depth=1
	s_or_b32 exec_lo, exec_lo, s23
.LBB225_642:                            ;   in Loop: Header=BB225_10 Depth=1
	s_or_b32 exec_lo, exec_lo, s17
	v_cmp_ne_u16_sdwa s6, v50, v111 src0_sel:BYTE_1 src1_sel:DWORD
	s_and_saveexec_b32 s17, s6
	s_cbranch_execz .LBB225_650
; %bb.643:                              ;   in Loop: Header=BB225_10 Depth=1
	v_mov_b32_e32 v114, v111
	v_cmp_ne_u16_sdwa s6, v50, v119 src0_sel:BYTE_1 src1_sel:DWORD
	v_mov_b32_e32 v64, v114
	v_mov_b32_e32 v65, v115
	s_and_saveexec_b32 s23, s6
	s_cbranch_execz .LBB225_649
; %bb.644:                              ;   in Loop: Header=BB225_10 Depth=1
	v_mov_b32_e32 v51, 0xffff
	v_mov_b32_e32 v98, v111
	s_mov_b32 s24, exec_lo
	v_and_b32_sdwa v51, v51, v50 dst_sel:DWORD dst_unused:UNUSED_PAD src0_sel:DWORD src1_sel:BYTE_1
	v_mov_b32_e32 v64, v98
	v_mov_b32_e32 v65, v99
	v_and_b32_e32 v54, 0x7f, v51
	v_cmpx_ne_u32_e32 0x7f, v54
	s_cbranch_execz .LBB225_648
; %bb.645:                              ;   in Loop: Header=BB225_10 Depth=1
	v_and_b32_e32 v110, 7, v51
	v_lshrrev_b32_e32 v51, 3, v54
	s_mov_b32 s25, exec_lo
	v_cmpx_gt_u32_e32 8, v54
; %bb.646:                              ;   in Loop: Header=BB225_10 Depth=1
	v_ffbh_u32_e32 v51, v110
	v_min_u32_e32 v51, 32, v51
	v_subrev_nc_u32_e32 v54, 28, v51
	v_sub_nc_u32_e32 v51, 29, v51
	v_lshlrev_b64 v[54:55], v54, v[110:111]
	v_and_b32_e32 v110, 7, v54
; %bb.647:                              ;   in Loop: Header=BB225_10 Depth=1
	s_or_b32 exec_lo, exec_lo, s25
	v_lshlrev_b32_e32 v50, 16, v50
	v_lshlrev_b32_e32 v54, 20, v110
	v_lshl_add_u32 v51, v51, 23, 0x3c000000
	v_mov_b32_e32 v64, v111
	v_and_b32_e32 v50, 0x80000000, v50
	v_or3_b32 v65, v54, v50, v51
.LBB225_648:                            ;   in Loop: Header=BB225_10 Depth=1
	s_or_b32 exec_lo, exec_lo, s24
.LBB225_649:                            ;   in Loop: Header=BB225_10 Depth=1
	s_or_b32 exec_lo, exec_lo, s23
.LBB225_650:                            ;   in Loop: Header=BB225_10 Depth=1
	s_or_b32 exec_lo, exec_lo, s17
	buffer_load_dword v50, off, s[0:3], s32 offset:192 ; 4-byte Folded Reload
	v_add_co_u32 v54, s6, 0xa00, v8
	v_add_co_ci_u32_e64 v55, null, 0, v9, s6
	v_mov_b32_e32 v68, 0
	v_mov_b32_e32 v69, 0
	s_waitcnt vmcnt(0)
	v_add_co_u32 v50, s6, v54, v50
	v_add_co_ci_u32_e64 v51, null, 0, v55, s6
	flat_load_ushort v50, v[50:51]
	s_waitcnt vmcnt(0) lgkmcnt(0)
	v_and_b32_e32 v66, 0xffff, v50
	v_cmp_ne_u16_sdwa s6, v50, v111 src0_sel:BYTE_0 src1_sel:DWORD
	v_mov_b32_e32 v50, 0
	v_mov_b32_e32 v51, 0
	s_and_saveexec_b32 s17, s6
	s_cbranch_execz .LBB225_658
; %bb.651:                              ;   in Loop: Header=BB225_10 Depth=1
	v_bfrev_b32_e32 v50, 1
	v_mov_b32_e32 v51, 0
	v_cmp_ne_u16_sdwa s6, v66, v119 src0_sel:BYTE_0 src1_sel:DWORD
	s_and_saveexec_b32 s23, s6
	s_cbranch_execz .LBB225_657
; %bb.652:                              ;   in Loop: Header=BB225_10 Depth=1
	v_mov_b32_e32 v50, 0x7f800001
	v_and_b32_e32 v67, 0x7f, v66
	v_mov_b32_e32 v51, 0
	s_mov_b32 s24, exec_lo
	v_cmpx_ne_u32_e32 0x7f, v67
	s_cbranch_execz .LBB225_656
; %bb.653:                              ;   in Loop: Header=BB225_10 Depth=1
	v_and_b32_e32 v110, 7, v66
	v_lshrrev_b32_e32 v50, 3, v67
	s_mov_b32 s25, exec_lo
	v_cmpx_gt_u32_e32 8, v67
; %bb.654:                              ;   in Loop: Header=BB225_10 Depth=1
	v_ffbh_u32_e32 v50, v110
	v_min_u32_e32 v50, 32, v50
	v_subrev_nc_u32_e32 v51, 28, v50
	v_sub_nc_u32_e32 v50, 29, v50
	v_lshlrev_b64 v[70:71], v51, v[110:111]
	v_and_b32_e32 v110, 7, v70
; %bb.655:                              ;   in Loop: Header=BB225_10 Depth=1
	s_or_b32 exec_lo, exec_lo, s25
	v_lshlrev_b32_e32 v51, 24, v66
	v_lshlrev_b32_e32 v67, 20, v110
	v_lshl_add_u32 v50, v50, 23, 0x3c000000
	v_and_b32_e32 v51, 0x80000000, v51
	v_or3_b32 v110, v67, v51, v50
	v_mov_b32_e32 v50, v110
	v_mov_b32_e32 v51, v111
.LBB225_656:                            ;   in Loop: Header=BB225_10 Depth=1
	s_or_b32 exec_lo, exec_lo, s24
.LBB225_657:                            ;   in Loop: Header=BB225_10 Depth=1
	s_or_b32 exec_lo, exec_lo, s23
.LBB225_658:                            ;   in Loop: Header=BB225_10 Depth=1
	s_or_b32 exec_lo, exec_lo, s17
	v_cmp_ne_u16_sdwa s6, v66, v111 src0_sel:BYTE_1 src1_sel:DWORD
	s_and_saveexec_b32 s17, s6
	s_cbranch_execz .LBB225_666
; %bb.659:                              ;   in Loop: Header=BB225_10 Depth=1
	v_mov_b32_e32 v114, v111
	v_cmp_ne_u16_sdwa s6, v66, v119 src0_sel:BYTE_1 src1_sel:DWORD
	v_mov_b32_e32 v68, v114
	v_mov_b32_e32 v69, v115
	s_and_saveexec_b32 s23, s6
	s_cbranch_execz .LBB225_665
; %bb.660:                              ;   in Loop: Header=BB225_10 Depth=1
	v_mov_b32_e32 v67, 0xffff
	v_mov_b32_e32 v98, v111
	s_mov_b32 s24, exec_lo
	v_and_b32_sdwa v67, v67, v66 dst_sel:DWORD dst_unused:UNUSED_PAD src0_sel:DWORD src1_sel:BYTE_1
	v_mov_b32_e32 v68, v98
	v_mov_b32_e32 v69, v99
	v_and_b32_e32 v70, 0x7f, v67
	v_cmpx_ne_u32_e32 0x7f, v70
	s_cbranch_execz .LBB225_664
; %bb.661:                              ;   in Loop: Header=BB225_10 Depth=1
	v_and_b32_e32 v110, 7, v67
	v_lshrrev_b32_e32 v67, 3, v70
	s_mov_b32 s25, exec_lo
	v_cmpx_gt_u32_e32 8, v70
; %bb.662:                              ;   in Loop: Header=BB225_10 Depth=1
	v_ffbh_u32_e32 v67, v110
	v_min_u32_e32 v67, 32, v67
	v_subrev_nc_u32_e32 v68, 28, v67
	v_sub_nc_u32_e32 v67, 29, v67
	v_lshlrev_b64 v[68:69], v68, v[110:111]
	v_and_b32_e32 v110, 7, v68
; %bb.663:                              ;   in Loop: Header=BB225_10 Depth=1
	s_or_b32 exec_lo, exec_lo, s25
	v_lshlrev_b32_e32 v66, 16, v66
	v_lshlrev_b32_e32 v68, 20, v110
	v_lshl_add_u32 v67, v67, 23, 0x3c000000
	v_and_b32_e32 v66, 0x80000000, v66
	v_or3_b32 v69, v68, v66, v67
	v_mov_b32_e32 v68, v111
.LBB225_664:                            ;   in Loop: Header=BB225_10 Depth=1
	s_or_b32 exec_lo, exec_lo, s24
.LBB225_665:                            ;   in Loop: Header=BB225_10 Depth=1
	s_or_b32 exec_lo, exec_lo, s23
.LBB225_666:                            ;   in Loop: Header=BB225_10 Depth=1
	s_or_b32 exec_lo, exec_lo, s17
	buffer_load_dword v66, off, s[0:3], s32 offset:196 ; 4-byte Folded Reload
	v_mov_b32_e32 v70, 0
	v_mov_b32_e32 v84, 0
	;; [unrolled: 1-line block ×4, first 2 shown]
	s_waitcnt vmcnt(0)
	v_add_co_u32 v66, s6, v54, v66
	v_add_co_ci_u32_e64 v67, null, 0, v55, s6
	flat_load_ushort v67, v[66:67]
	s_waitcnt vmcnt(0) lgkmcnt(0)
	v_and_b32_e32 v66, 0xffff, v67
	v_cmp_ne_u16_sdwa s6, v67, v111 src0_sel:BYTE_0 src1_sel:DWORD
	s_and_saveexec_b32 s17, s6
	s_cbranch_execz .LBB225_674
; %bb.667:                              ;   in Loop: Header=BB225_10 Depth=1
	v_bfrev_b32_e32 v84, 1
	v_mov_b32_e32 v85, 0
	v_cmp_ne_u16_sdwa s6, v66, v119 src0_sel:BYTE_0 src1_sel:DWORD
	s_and_saveexec_b32 s23, s6
	s_cbranch_execz .LBB225_673
; %bb.668:                              ;   in Loop: Header=BB225_10 Depth=1
	v_mov_b32_e32 v84, 0x7f800001
	v_and_b32_e32 v80, 0x7f, v66
	v_mov_b32_e32 v85, 0
	s_mov_b32 s24, exec_lo
	v_cmpx_ne_u32_e32 0x7f, v80
	s_cbranch_execz .LBB225_672
; %bb.669:                              ;   in Loop: Header=BB225_10 Depth=1
	v_and_b32_e32 v110, 7, v66
	v_lshrrev_b32_e32 v67, 3, v80
	s_mov_b32 s25, exec_lo
	v_cmpx_gt_u32_e32 8, v80
; %bb.670:                              ;   in Loop: Header=BB225_10 Depth=1
	v_ffbh_u32_e32 v67, v110
	v_min_u32_e32 v67, 32, v67
	v_subrev_nc_u32_e32 v80, 28, v67
	v_sub_nc_u32_e32 v67, 29, v67
	v_lshlrev_b64 v[80:81], v80, v[110:111]
	v_and_b32_e32 v110, 7, v80
; %bb.671:                              ;   in Loop: Header=BB225_10 Depth=1
	s_or_b32 exec_lo, exec_lo, s25
	v_lshlrev_b32_e32 v80, 24, v66
	v_lshlrev_b32_e32 v81, 20, v110
	v_lshl_add_u32 v67, v67, 23, 0x3c000000
	v_and_b32_e32 v80, 0x80000000, v80
	v_or3_b32 v110, v81, v80, v67
	v_mov_b32_e32 v84, v110
	v_mov_b32_e32 v85, v111
.LBB225_672:                            ;   in Loop: Header=BB225_10 Depth=1
	s_or_b32 exec_lo, exec_lo, s24
.LBB225_673:                            ;   in Loop: Header=BB225_10 Depth=1
	s_or_b32 exec_lo, exec_lo, s23
.LBB225_674:                            ;   in Loop: Header=BB225_10 Depth=1
	s_or_b32 exec_lo, exec_lo, s17
	v_cmp_ne_u16_sdwa s6, v66, v111 src0_sel:BYTE_1 src1_sel:DWORD
	s_and_saveexec_b32 s17, s6
	s_cbranch_execz .LBB225_682
; %bb.675:                              ;   in Loop: Header=BB225_10 Depth=1
	v_mov_b32_e32 v114, v111
	v_cmp_ne_u16_sdwa s6, v66, v119 src0_sel:BYTE_1 src1_sel:DWORD
	v_mov_b32_e32 v70, v114
	v_mov_b32_e32 v71, v115
	s_and_saveexec_b32 s23, s6
	s_cbranch_execz .LBB225_681
; %bb.676:                              ;   in Loop: Header=BB225_10 Depth=1
	v_mov_b32_e32 v67, 0xffff
	v_mov_b32_e32 v98, v111
	s_mov_b32 s24, exec_lo
	v_and_b32_sdwa v67, v67, v66 dst_sel:DWORD dst_unused:UNUSED_PAD src0_sel:DWORD src1_sel:BYTE_1
	v_mov_b32_e32 v70, v98
	v_mov_b32_e32 v71, v99
	v_and_b32_e32 v80, 0x7f, v67
	v_cmpx_ne_u32_e32 0x7f, v80
	s_cbranch_execz .LBB225_680
; %bb.677:                              ;   in Loop: Header=BB225_10 Depth=1
	v_and_b32_e32 v110, 7, v67
	v_lshrrev_b32_e32 v67, 3, v80
	s_mov_b32 s25, exec_lo
	v_cmpx_gt_u32_e32 8, v80
; %bb.678:                              ;   in Loop: Header=BB225_10 Depth=1
	v_ffbh_u32_e32 v67, v110
	v_min_u32_e32 v67, 32, v67
	v_subrev_nc_u32_e32 v70, 28, v67
	v_sub_nc_u32_e32 v67, 29, v67
	v_lshlrev_b64 v[70:71], v70, v[110:111]
	v_and_b32_e32 v110, 7, v70
; %bb.679:                              ;   in Loop: Header=BB225_10 Depth=1
	s_or_b32 exec_lo, exec_lo, s25
	v_lshlrev_b32_e32 v66, 16, v66
	v_lshlrev_b32_e32 v70, 20, v110
	v_lshl_add_u32 v67, v67, 23, 0x3c000000
	v_and_b32_e32 v66, 0x80000000, v66
	v_or3_b32 v71, v70, v66, v67
	v_mov_b32_e32 v70, v111
.LBB225_680:                            ;   in Loop: Header=BB225_10 Depth=1
	s_or_b32 exec_lo, exec_lo, s24
.LBB225_681:                            ;   in Loop: Header=BB225_10 Depth=1
	s_or_b32 exec_lo, exec_lo, s23
.LBB225_682:                            ;   in Loop: Header=BB225_10 Depth=1
	s_or_b32 exec_lo, exec_lo, s17
	buffer_load_dword v66, off, s[0:3], s32 offset:200 ; 4-byte Folded Reload
	v_mov_b32_e32 v126, 0
	v_mov_b32_e32 v96, 0
	;; [unrolled: 1-line block ×4, first 2 shown]
	s_waitcnt vmcnt(0)
	v_add_co_u32 v66, s6, v54, v66
	v_add_co_ci_u32_e64 v67, null, 0, v55, s6
	flat_load_ushort v67, v[66:67]
	s_waitcnt vmcnt(0) lgkmcnt(0)
	v_and_b32_e32 v66, 0xffff, v67
	v_cmp_ne_u16_sdwa s6, v67, v111 src0_sel:BYTE_0 src1_sel:DWORD
	s_and_saveexec_b32 s17, s6
	s_cbranch_execz .LBB225_690
; %bb.683:                              ;   in Loop: Header=BB225_10 Depth=1
	v_bfrev_b32_e32 v96, 1
	v_mov_b32_e32 v97, 0
	v_cmp_ne_u16_sdwa s6, v66, v119 src0_sel:BYTE_0 src1_sel:DWORD
	s_and_saveexec_b32 s23, s6
	s_cbranch_execz .LBB225_689
; %bb.684:                              ;   in Loop: Header=BB225_10 Depth=1
	v_mov_b32_e32 v96, 0x7f800001
	v_and_b32_e32 v80, 0x7f, v66
	v_mov_b32_e32 v97, 0
	s_mov_b32 s24, exec_lo
	v_cmpx_ne_u32_e32 0x7f, v80
	s_cbranch_execz .LBB225_688
; %bb.685:                              ;   in Loop: Header=BB225_10 Depth=1
	v_and_b32_e32 v110, 7, v66
	v_lshrrev_b32_e32 v67, 3, v80
	s_mov_b32 s25, exec_lo
	v_cmpx_gt_u32_e32 8, v80
; %bb.686:                              ;   in Loop: Header=BB225_10 Depth=1
	v_ffbh_u32_e32 v67, v110
	v_min_u32_e32 v67, 32, v67
	v_subrev_nc_u32_e32 v80, 28, v67
	v_sub_nc_u32_e32 v67, 29, v67
	v_lshlrev_b64 v[80:81], v80, v[110:111]
	v_and_b32_e32 v110, 7, v80
; %bb.687:                              ;   in Loop: Header=BB225_10 Depth=1
	s_or_b32 exec_lo, exec_lo, s25
	v_lshlrev_b32_e32 v80, 24, v66
	v_lshlrev_b32_e32 v81, 20, v110
	v_lshl_add_u32 v67, v67, 23, 0x3c000000
	v_and_b32_e32 v80, 0x80000000, v80
	v_or3_b32 v110, v81, v80, v67
	v_mov_b32_e32 v96, v110
	v_mov_b32_e32 v97, v111
.LBB225_688:                            ;   in Loop: Header=BB225_10 Depth=1
	s_or_b32 exec_lo, exec_lo, s24
.LBB225_689:                            ;   in Loop: Header=BB225_10 Depth=1
	s_or_b32 exec_lo, exec_lo, s23
.LBB225_690:                            ;   in Loop: Header=BB225_10 Depth=1
	s_or_b32 exec_lo, exec_lo, s17
	v_cmp_ne_u16_sdwa s6, v66, v111 src0_sel:BYTE_1 src1_sel:DWORD
	s_and_saveexec_b32 s17, s6
	s_cbranch_execz .LBB225_698
; %bb.691:                              ;   in Loop: Header=BB225_10 Depth=1
	v_mov_b32_e32 v114, v111
	v_mov_b32_e32 v127, v115
	v_cmp_ne_u16_sdwa s6, v66, v119 src0_sel:BYTE_1 src1_sel:DWORD
	v_mov_b32_e32 v126, v114
	s_and_saveexec_b32 s23, s6
	s_cbranch_execz .LBB225_697
; %bb.692:                              ;   in Loop: Header=BB225_10 Depth=1
	v_mov_b32_e32 v67, 0xffff
	v_mov_b32_e32 v98, v111
	;; [unrolled: 1-line block ×3, first 2 shown]
	s_mov_b32 s24, exec_lo
	v_and_b32_sdwa v67, v67, v66 dst_sel:DWORD dst_unused:UNUSED_PAD src0_sel:DWORD src1_sel:BYTE_1
	v_mov_b32_e32 v126, v98
	v_and_b32_e32 v80, 0x7f, v67
	v_cmpx_ne_u32_e32 0x7f, v80
	s_cbranch_execz .LBB225_696
; %bb.693:                              ;   in Loop: Header=BB225_10 Depth=1
	v_and_b32_e32 v110, 7, v67
	v_lshrrev_b32_e32 v67, 3, v80
	s_mov_b32 s25, exec_lo
	v_cmpx_gt_u32_e32 8, v80
; %bb.694:                              ;   in Loop: Header=BB225_10 Depth=1
	v_ffbh_u32_e32 v67, v110
	v_min_u32_e32 v67, 32, v67
	v_subrev_nc_u32_e32 v80, 28, v67
	v_sub_nc_u32_e32 v67, 29, v67
	v_lshlrev_b64 v[80:81], v80, v[110:111]
	v_and_b32_e32 v110, 7, v80
; %bb.695:                              ;   in Loop: Header=BB225_10 Depth=1
	s_or_b32 exec_lo, exec_lo, s25
	v_lshlrev_b32_e32 v66, 16, v66
	v_lshlrev_b32_e32 v80, 20, v110
	v_lshl_add_u32 v67, v67, 23, 0x3c000000
	v_mov_b32_e32 v126, v111
	v_and_b32_e32 v66, 0x80000000, v66
	v_or3_b32 v127, v80, v66, v67
.LBB225_696:                            ;   in Loop: Header=BB225_10 Depth=1
	s_or_b32 exec_lo, exec_lo, s24
.LBB225_697:                            ;   in Loop: Header=BB225_10 Depth=1
	s_or_b32 exec_lo, exec_lo, s23
.LBB225_698:                            ;   in Loop: Header=BB225_10 Depth=1
	s_or_b32 exec_lo, exec_lo, s17
	buffer_load_dword v66, off, s[0:3], s32 offset:204 ; 4-byte Folded Reload
	v_mov_b32_e32 v86, 0
	v_mov_b32_e32 v112, 0
	;; [unrolled: 1-line block ×4, first 2 shown]
	s_waitcnt vmcnt(0)
	v_add_co_u32 v54, s6, v54, v66
	v_add_co_ci_u32_e64 v55, null, 0, v55, s6
	flat_load_ushort v55, v[54:55]
	s_waitcnt vmcnt(0) lgkmcnt(0)
	v_and_b32_e32 v54, 0xffff, v55
	v_cmp_ne_u16_sdwa s6, v55, v111 src0_sel:BYTE_0 src1_sel:DWORD
	s_and_saveexec_b32 s17, s6
	s_cbranch_execz .LBB225_706
; %bb.699:                              ;   in Loop: Header=BB225_10 Depth=1
	v_bfrev_b32_e32 v112, 1
	v_mov_b32_e32 v113, 0
	v_cmp_ne_u16_sdwa s6, v54, v119 src0_sel:BYTE_0 src1_sel:DWORD
	s_and_saveexec_b32 s23, s6
	s_cbranch_execz .LBB225_705
; %bb.700:                              ;   in Loop: Header=BB225_10 Depth=1
	v_mov_b32_e32 v112, 0x7f800001
	v_and_b32_e32 v66, 0x7f, v54
	v_mov_b32_e32 v113, 0
	s_mov_b32 s24, exec_lo
	v_cmpx_ne_u32_e32 0x7f, v66
	s_cbranch_execz .LBB225_704
; %bb.701:                              ;   in Loop: Header=BB225_10 Depth=1
	v_and_b32_e32 v110, 7, v54
	v_lshrrev_b32_e32 v55, 3, v66
	s_mov_b32 s25, exec_lo
	v_cmpx_gt_u32_e32 8, v66
; %bb.702:                              ;   in Loop: Header=BB225_10 Depth=1
	v_ffbh_u32_e32 v55, v110
	v_min_u32_e32 v55, 32, v55
	v_subrev_nc_u32_e32 v66, 28, v55
	v_sub_nc_u32_e32 v55, 29, v55
	v_lshlrev_b64 v[66:67], v66, v[110:111]
	v_and_b32_e32 v110, 7, v66
; %bb.703:                              ;   in Loop: Header=BB225_10 Depth=1
	s_or_b32 exec_lo, exec_lo, s25
	v_lshlrev_b32_e32 v66, 24, v54
	v_lshlrev_b32_e32 v67, 20, v110
	v_lshl_add_u32 v55, v55, 23, 0x3c000000
	v_and_b32_e32 v66, 0x80000000, v66
	v_or3_b32 v110, v67, v66, v55
	v_mov_b32_e32 v113, v111
	v_mov_b32_e32 v112, v110
.LBB225_704:                            ;   in Loop: Header=BB225_10 Depth=1
	s_or_b32 exec_lo, exec_lo, s24
.LBB225_705:                            ;   in Loop: Header=BB225_10 Depth=1
	s_or_b32 exec_lo, exec_lo, s23
.LBB225_706:                            ;   in Loop: Header=BB225_10 Depth=1
	s_or_b32 exec_lo, exec_lo, s17
	v_cmp_ne_u16_sdwa s6, v54, v111 src0_sel:BYTE_1 src1_sel:DWORD
	s_and_saveexec_b32 s17, s6
	s_cbranch_execz .LBB225_714
; %bb.707:                              ;   in Loop: Header=BB225_10 Depth=1
	v_mov_b32_e32 v114, v111
	v_cmp_ne_u16_sdwa s6, v54, v119 src0_sel:BYTE_1 src1_sel:DWORD
	v_mov_b32_e32 v86, v114
	v_mov_b32_e32 v87, v115
	s_and_saveexec_b32 s23, s6
	s_cbranch_execz .LBB225_713
; %bb.708:                              ;   in Loop: Header=BB225_10 Depth=1
	v_mov_b32_e32 v55, 0xffff
	v_mov_b32_e32 v98, v111
	s_mov_b32 s24, exec_lo
	v_and_b32_sdwa v55, v55, v54 dst_sel:DWORD dst_unused:UNUSED_PAD src0_sel:DWORD src1_sel:BYTE_1
	v_mov_b32_e32 v86, v98
	v_mov_b32_e32 v87, v99
	v_and_b32_e32 v66, 0x7f, v55
	v_cmpx_ne_u32_e32 0x7f, v66
	s_cbranch_execz .LBB225_712
; %bb.709:                              ;   in Loop: Header=BB225_10 Depth=1
	v_and_b32_e32 v110, 7, v55
	v_lshrrev_b32_e32 v55, 3, v66
	s_mov_b32 s25, exec_lo
	v_cmpx_gt_u32_e32 8, v66
; %bb.710:                              ;   in Loop: Header=BB225_10 Depth=1
	v_ffbh_u32_e32 v55, v110
	v_min_u32_e32 v55, 32, v55
	v_subrev_nc_u32_e32 v66, 28, v55
	v_sub_nc_u32_e32 v55, 29, v55
	v_lshlrev_b64 v[66:67], v66, v[110:111]
	v_and_b32_e32 v110, 7, v66
; %bb.711:                              ;   in Loop: Header=BB225_10 Depth=1
	s_or_b32 exec_lo, exec_lo, s25
	v_lshlrev_b32_e32 v54, 16, v54
	v_lshlrev_b32_e32 v66, 20, v110
	v_lshl_add_u32 v55, v55, 23, 0x3c000000
	v_mov_b32_e32 v86, v111
	v_and_b32_e32 v54, 0x80000000, v54
	v_or3_b32 v87, v66, v54, v55
.LBB225_712:                            ;   in Loop: Header=BB225_10 Depth=1
	s_or_b32 exec_lo, exec_lo, s24
.LBB225_713:                            ;   in Loop: Header=BB225_10 Depth=1
	s_or_b32 exec_lo, exec_lo, s23
.LBB225_714:                            ;   in Loop: Header=BB225_10 Depth=1
	s_or_b32 exec_lo, exec_lo, s17
	v_add_co_u32 v82, s6, 0xb00, v8
	buffer_load_dword v8, off, s[0:3], s32 offset:192 ; 4-byte Folded Reload
	v_add_co_ci_u32_e64 v83, null, 0, v9, s6
	v_mov_b32_e32 v54, 0
	v_mov_b32_e32 v55, 0
	s_waitcnt vmcnt(0)
	v_add_co_u32 v8, s6, v82, v8
	v_add_co_ci_u32_e64 v9, null, 0, v83, s6
	flat_load_ushort v8, v[8:9]
	s_waitcnt vmcnt(0) lgkmcnt(0)
	v_and_b32_e32 v66, 0xffff, v8
	v_cmp_ne_u16_sdwa s6, v8, v111 src0_sel:BYTE_0 src1_sel:DWORD
	v_mov_b32_e32 v8, 0
	v_mov_b32_e32 v9, 0
	s_and_saveexec_b32 s17, s6
	s_cbranch_execz .LBB225_722
; %bb.715:                              ;   in Loop: Header=BB225_10 Depth=1
	v_bfrev_b32_e32 v8, 1
	v_mov_b32_e32 v9, 0
	v_cmp_ne_u16_sdwa s6, v66, v119 src0_sel:BYTE_0 src1_sel:DWORD
	s_and_saveexec_b32 s23, s6
	s_cbranch_execz .LBB225_721
; %bb.716:                              ;   in Loop: Header=BB225_10 Depth=1
	v_mov_b32_e32 v8, 0x7f800001
	v_and_b32_e32 v67, 0x7f, v66
	v_mov_b32_e32 v9, 0
	s_mov_b32 s24, exec_lo
	v_cmpx_ne_u32_e32 0x7f, v67
	s_cbranch_execz .LBB225_720
; %bb.717:                              ;   in Loop: Header=BB225_10 Depth=1
	v_and_b32_e32 v110, 7, v66
	v_lshrrev_b32_e32 v8, 3, v67
	s_mov_b32 s25, exec_lo
	v_cmpx_gt_u32_e32 8, v67
; %bb.718:                              ;   in Loop: Header=BB225_10 Depth=1
	v_ffbh_u32_e32 v8, v110
	v_min_u32_e32 v8, 32, v8
	v_subrev_nc_u32_e32 v9, 28, v8
	v_sub_nc_u32_e32 v8, 29, v8
	v_lshlrev_b64 v[80:81], v9, v[110:111]
	v_and_b32_e32 v110, 7, v80
; %bb.719:                              ;   in Loop: Header=BB225_10 Depth=1
	s_or_b32 exec_lo, exec_lo, s25
	v_lshlrev_b32_e32 v9, 24, v66
	v_lshlrev_b32_e32 v67, 20, v110
	v_lshl_add_u32 v8, v8, 23, 0x3c000000
	v_and_b32_e32 v9, 0x80000000, v9
	v_or3_b32 v110, v67, v9, v8
	v_mov_b32_e32 v8, v110
	v_mov_b32_e32 v9, v111
.LBB225_720:                            ;   in Loop: Header=BB225_10 Depth=1
	s_or_b32 exec_lo, exec_lo, s24
.LBB225_721:                            ;   in Loop: Header=BB225_10 Depth=1
	s_or_b32 exec_lo, exec_lo, s23
.LBB225_722:                            ;   in Loop: Header=BB225_10 Depth=1
	s_or_b32 exec_lo, exec_lo, s17
	v_cmp_ne_u16_sdwa s6, v66, v111 src0_sel:BYTE_1 src1_sel:DWORD
	s_and_saveexec_b32 s17, s6
	s_cbranch_execz .LBB225_730
; %bb.723:                              ;   in Loop: Header=BB225_10 Depth=1
	v_mov_b32_e32 v114, v111
	v_cmp_ne_u16_sdwa s6, v66, v119 src0_sel:BYTE_1 src1_sel:DWORD
	v_mov_b32_e32 v54, v114
	v_mov_b32_e32 v55, v115
	s_and_saveexec_b32 s23, s6
	s_cbranch_execz .LBB225_729
; %bb.724:                              ;   in Loop: Header=BB225_10 Depth=1
	v_mov_b32_e32 v54, 0xffff
	v_mov_b32_e32 v98, v111
	s_mov_b32 s24, exec_lo
	v_and_b32_sdwa v80, v54, v66 dst_sel:DWORD dst_unused:UNUSED_PAD src0_sel:DWORD src1_sel:BYTE_1
	v_mov_b32_e32 v54, v98
	v_mov_b32_e32 v55, v99
	v_and_b32_e32 v67, 0x7f, v80
	v_cmpx_ne_u32_e32 0x7f, v67
	s_cbranch_execz .LBB225_728
; %bb.725:                              ;   in Loop: Header=BB225_10 Depth=1
	v_and_b32_e32 v110, 7, v80
	v_lshrrev_b32_e32 v54, 3, v67
	s_mov_b32 s25, exec_lo
	v_cmpx_gt_u32_e32 8, v67
; %bb.726:                              ;   in Loop: Header=BB225_10 Depth=1
	v_ffbh_u32_e32 v54, v110
	v_min_u32_e32 v54, 32, v54
	v_subrev_nc_u32_e32 v55, 28, v54
	v_sub_nc_u32_e32 v54, 29, v54
	v_lshlrev_b64 v[80:81], v55, v[110:111]
	v_and_b32_e32 v110, 7, v80
; %bb.727:                              ;   in Loop: Header=BB225_10 Depth=1
	s_or_b32 exec_lo, exec_lo, s25
	v_lshlrev_b32_e32 v55, 16, v66
	v_lshlrev_b32_e32 v66, 20, v110
	v_lshl_add_u32 v54, v54, 23, 0x3c000000
	v_and_b32_e32 v55, 0x80000000, v55
	v_or3_b32 v55, v66, v55, v54
	v_mov_b32_e32 v54, v111
.LBB225_728:                            ;   in Loop: Header=BB225_10 Depth=1
	s_or_b32 exec_lo, exec_lo, s24
.LBB225_729:                            ;   in Loop: Header=BB225_10 Depth=1
	s_or_b32 exec_lo, exec_lo, s23
.LBB225_730:                            ;   in Loop: Header=BB225_10 Depth=1
	s_or_b32 exec_lo, exec_lo, s17
	buffer_load_dword v66, off, s[0:3], s32 offset:196 ; 4-byte Folded Reload
	v_mov_b32_e32 v80, 0
	v_mov_b32_e32 v81, 0
	s_waitcnt vmcnt(0)
	v_add_co_u32 v66, s6, v82, v66
	v_add_co_ci_u32_e64 v67, null, 0, v83, s6
	flat_load_ushort v66, v[66:67]
	s_waitcnt vmcnt(0) lgkmcnt(0)
	v_and_b32_e32 v100, 0xffff, v66
	v_cmp_ne_u16_sdwa s6, v66, v111 src0_sel:BYTE_0 src1_sel:DWORD
	v_mov_b32_e32 v66, 0
	v_mov_b32_e32 v67, 0
	s_and_saveexec_b32 s17, s6
	s_cbranch_execz .LBB225_738
; %bb.731:                              ;   in Loop: Header=BB225_10 Depth=1
	v_bfrev_b32_e32 v80, 1
	v_mov_b32_e32 v81, 0
	v_cmp_ne_u16_sdwa s6, v100, v119 src0_sel:BYTE_0 src1_sel:DWORD
	s_and_saveexec_b32 s23, s6
	s_cbranch_execz .LBB225_737
; %bb.732:                              ;   in Loop: Header=BB225_10 Depth=1
	v_mov_b32_e32 v80, 0x7f800001
	v_and_b32_e32 v98, 0x7f, v100
	v_mov_b32_e32 v81, 0
	s_mov_b32 s24, exec_lo
	v_cmpx_ne_u32_e32 0x7f, v98
	s_cbranch_execz .LBB225_736
; %bb.733:                              ;   in Loop: Header=BB225_10 Depth=1
	v_and_b32_e32 v110, 7, v100
	v_lshrrev_b32_e32 v80, 3, v98
	s_mov_b32 s25, exec_lo
	v_cmpx_gt_u32_e32 8, v98
; %bb.734:                              ;   in Loop: Header=BB225_10 Depth=1
	v_ffbh_u32_e32 v80, v110
	v_min_u32_e32 v80, 32, v80
	v_subrev_nc_u32_e32 v81, 28, v80
	v_sub_nc_u32_e32 v80, 29, v80
	v_lshlrev_b64 v[101:102], v81, v[110:111]
	v_and_b32_e32 v110, 7, v101
; %bb.735:                              ;   in Loop: Header=BB225_10 Depth=1
	s_or_b32 exec_lo, exec_lo, s25
	v_lshlrev_b32_e32 v81, 24, v100
	v_lshlrev_b32_e32 v98, 20, v110
	v_lshl_add_u32 v80, v80, 23, 0x3c000000
	v_and_b32_e32 v81, 0x80000000, v81
	v_or3_b32 v110, v98, v81, v80
	v_mov_b32_e32 v80, v110
	v_mov_b32_e32 v81, v111
.LBB225_736:                            ;   in Loop: Header=BB225_10 Depth=1
	s_or_b32 exec_lo, exec_lo, s24
.LBB225_737:                            ;   in Loop: Header=BB225_10 Depth=1
	s_or_b32 exec_lo, exec_lo, s23
.LBB225_738:                            ;   in Loop: Header=BB225_10 Depth=1
	s_or_b32 exec_lo, exec_lo, s17
	v_cmp_ne_u16_sdwa s6, v100, v111 src0_sel:BYTE_1 src1_sel:DWORD
	s_and_saveexec_b32 s17, s6
	s_cbranch_execz .LBB225_746
; %bb.739:                              ;   in Loop: Header=BB225_10 Depth=1
	v_mov_b32_e32 v114, v111
	v_cmp_ne_u16_sdwa s6, v100, v119 src0_sel:BYTE_1 src1_sel:DWORD
	v_mov_b32_e32 v66, v114
	v_mov_b32_e32 v67, v115
	s_and_saveexec_b32 s23, s6
	s_cbranch_execz .LBB225_745
; %bb.740:                              ;   in Loop: Header=BB225_10 Depth=1
	v_mov_b32_e32 v66, 0xffff
	v_mov_b32_e32 v98, v111
	s_mov_b32 s24, exec_lo
	v_and_b32_sdwa v102, v66, v100 dst_sel:DWORD dst_unused:UNUSED_PAD src0_sel:DWORD src1_sel:BYTE_1
	v_mov_b32_e32 v66, v98
	v_mov_b32_e32 v67, v99
	v_and_b32_e32 v101, 0x7f, v102
	v_cmpx_ne_u32_e32 0x7f, v101
	s_cbranch_execz .LBB225_744
; %bb.741:                              ;   in Loop: Header=BB225_10 Depth=1
	v_and_b32_e32 v110, 7, v102
	v_lshrrev_b32_e32 v66, 3, v101
	s_mov_b32 s25, exec_lo
	v_cmpx_gt_u32_e32 8, v101
; %bb.742:                              ;   in Loop: Header=BB225_10 Depth=1
	v_ffbh_u32_e32 v66, v110
	v_min_u32_e32 v66, 32, v66
	v_subrev_nc_u32_e32 v67, 28, v66
	v_sub_nc_u32_e32 v66, 29, v66
	v_lshlrev_b64 v[101:102], v67, v[110:111]
	v_and_b32_e32 v110, 7, v101
; %bb.743:                              ;   in Loop: Header=BB225_10 Depth=1
	s_or_b32 exec_lo, exec_lo, s25
	v_lshlrev_b32_e32 v67, 16, v100
	v_lshlrev_b32_e32 v98, 20, v110
	v_lshl_add_u32 v66, v66, 23, 0x3c000000
	v_and_b32_e32 v67, 0x80000000, v67
	v_or3_b32 v67, v98, v67, v66
	v_mov_b32_e32 v66, v111
.LBB225_744:                            ;   in Loop: Header=BB225_10 Depth=1
	s_or_b32 exec_lo, exec_lo, s24
.LBB225_745:                            ;   in Loop: Header=BB225_10 Depth=1
	s_or_b32 exec_lo, exec_lo, s23
.LBB225_746:                            ;   in Loop: Header=BB225_10 Depth=1
	s_or_b32 exec_lo, exec_lo, s17
	buffer_load_dword v98, off, s[0:3], s32 offset:200 ; 4-byte Folded Reload
	v_mov_b32_e32 v124, 0
	v_mov_b32_e32 v102, 0
	;; [unrolled: 1-line block ×4, first 2 shown]
	s_waitcnt vmcnt(0)
	v_add_co_u32 v100, s6, v82, v98
	v_add_co_ci_u32_e64 v101, null, 0, v83, s6
	flat_load_ushort v98, v[100:101]
	s_waitcnt vmcnt(0) lgkmcnt(0)
	v_and_b32_e32 v100, 0xffff, v98
	v_cmp_ne_u16_sdwa s6, v98, v111 src0_sel:BYTE_0 src1_sel:DWORD
	s_and_saveexec_b32 s17, s6
	s_cbranch_execz .LBB225_754
; %bb.747:                              ;   in Loop: Header=BB225_10 Depth=1
	v_bfrev_b32_e32 v102, 1
	v_mov_b32_e32 v103, 0
	v_cmp_ne_u16_sdwa s6, v100, v119 src0_sel:BYTE_0 src1_sel:DWORD
	s_and_saveexec_b32 s23, s6
	s_cbranch_execz .LBB225_753
; %bb.748:                              ;   in Loop: Header=BB225_10 Depth=1
	v_mov_b32_e32 v102, 0x7f800001
	v_and_b32_e32 v101, 0x7f, v100
	v_mov_b32_e32 v103, 0
	s_mov_b32 s24, exec_lo
	v_cmpx_ne_u32_e32 0x7f, v101
	s_cbranch_execz .LBB225_752
; %bb.749:                              ;   in Loop: Header=BB225_10 Depth=1
	v_and_b32_e32 v110, 7, v100
	v_lshrrev_b32_e32 v98, 3, v101
	s_mov_b32 s25, exec_lo
	v_cmpx_gt_u32_e32 8, v101
; %bb.750:                              ;   in Loop: Header=BB225_10 Depth=1
	v_ffbh_u32_e32 v98, v110
	v_min_u32_e32 v98, 32, v98
	v_subrev_nc_u32_e32 v101, 28, v98
	v_sub_nc_u32_e32 v98, 29, v98
	v_lshlrev_b64 v[101:102], v101, v[110:111]
	v_and_b32_e32 v110, 7, v101
; %bb.751:                              ;   in Loop: Header=BB225_10 Depth=1
	s_or_b32 exec_lo, exec_lo, s25
	v_lshlrev_b32_e32 v101, 24, v100
	v_lshlrev_b32_e32 v102, 20, v110
	v_lshl_add_u32 v98, v98, 23, 0x3c000000
	v_and_b32_e32 v101, 0x80000000, v101
	v_or3_b32 v110, v102, v101, v98
	v_mov_b32_e32 v102, v110
	v_mov_b32_e32 v103, v111
.LBB225_752:                            ;   in Loop: Header=BB225_10 Depth=1
	s_or_b32 exec_lo, exec_lo, s24
.LBB225_753:                            ;   in Loop: Header=BB225_10 Depth=1
	s_or_b32 exec_lo, exec_lo, s23
.LBB225_754:                            ;   in Loop: Header=BB225_10 Depth=1
	s_or_b32 exec_lo, exec_lo, s17
	v_cmp_ne_u16_sdwa s6, v100, v111 src0_sel:BYTE_1 src1_sel:DWORD
	s_and_saveexec_b32 s17, s6
	s_cbranch_execz .LBB225_762
; %bb.755:                              ;   in Loop: Header=BB225_10 Depth=1
	v_mov_b32_e32 v114, v111
	v_mov_b32_e32 v125, v115
	v_cmp_ne_u16_sdwa s6, v100, v119 src0_sel:BYTE_1 src1_sel:DWORD
	v_mov_b32_e32 v124, v114
	s_and_saveexec_b32 s23, s6
	s_cbranch_execz .LBB225_761
; %bb.756:                              ;   in Loop: Header=BB225_10 Depth=1
	v_mov_b32_e32 v98, 0xffff
	s_mov_b32 s24, exec_lo
	v_and_b32_sdwa v114, v98, v100 dst_sel:DWORD dst_unused:UNUSED_PAD src0_sel:DWORD src1_sel:BYTE_1
	v_mov_b32_e32 v98, v111
	v_mov_b32_e32 v125, v99
	v_and_b32_e32 v101, 0x7f, v114
	v_mov_b32_e32 v124, v98
	v_cmpx_ne_u32_e32 0x7f, v101
	s_cbranch_execz .LBB225_760
; %bb.757:                              ;   in Loop: Header=BB225_10 Depth=1
	v_and_b32_e32 v110, 7, v114
	v_lshrrev_b32_e32 v98, 3, v101
	s_mov_b32 s25, exec_lo
	v_cmpx_gt_u32_e32 8, v101
; %bb.758:                              ;   in Loop: Header=BB225_10 Depth=1
	v_ffbh_u32_e32 v98, v110
	v_min_u32_e32 v98, 32, v98
	v_subrev_nc_u32_e32 v101, 28, v98
	v_sub_nc_u32_e32 v98, 29, v98
	v_lshlrev_b64 v[124:125], v101, v[110:111]
	v_and_b32_e32 v110, 7, v124
; %bb.759:                              ;   in Loop: Header=BB225_10 Depth=1
	s_or_b32 exec_lo, exec_lo, s25
	v_lshlrev_b32_e32 v100, 16, v100
	v_lshlrev_b32_e32 v101, 20, v110
	v_lshl_add_u32 v98, v98, 23, 0x3c000000
	v_mov_b32_e32 v124, v111
	v_and_b32_e32 v100, 0x80000000, v100
	v_or3_b32 v125, v101, v100, v98
.LBB225_760:                            ;   in Loop: Header=BB225_10 Depth=1
	s_or_b32 exec_lo, exec_lo, s24
.LBB225_761:                            ;   in Loop: Header=BB225_10 Depth=1
	s_or_b32 exec_lo, exec_lo, s23
.LBB225_762:                            ;   in Loop: Header=BB225_10 Depth=1
	s_or_b32 exec_lo, exec_lo, s17
	buffer_load_dword v98, off, s[0:3], s32 offset:204 ; 4-byte Folded Reload
	v_mov_b32_e32 v100, 0
	v_mov_b32_e32 v101, 0
	s_waitcnt vmcnt(0)
	v_add_co_u32 v82, s6, v82, v98
	v_add_co_ci_u32_e64 v83, null, 0, v83, s6
	flat_load_ushort v82, v[82:83]
	s_waitcnt vmcnt(0) lgkmcnt(0)
	v_and_b32_e32 v43, 0xffff, v82
	v_cmp_ne_u16_sdwa s6, v82, v111 src0_sel:BYTE_0 src1_sel:DWORD
	v_mov_b32_e32 v82, 0
	v_mov_b32_e32 v83, 0
	s_and_saveexec_b32 s17, s6
	s_cbranch_execz .LBB225_770
; %bb.763:                              ;   in Loop: Header=BB225_10 Depth=1
	v_bfrev_b32_e32 v100, 1
	v_mov_b32_e32 v101, 0
	v_cmp_ne_u16_sdwa s6, v43, v119 src0_sel:BYTE_0 src1_sel:DWORD
	s_and_saveexec_b32 s23, s6
	s_cbranch_execz .LBB225_769
; %bb.764:                              ;   in Loop: Header=BB225_10 Depth=1
	v_mov_b32_e32 v100, 0x7f800001
	v_and_b32_e32 v114, 0x7f, v43
	v_mov_b32_e32 v101, 0
	s_mov_b32 s24, exec_lo
	v_cmpx_ne_u32_e32 0x7f, v114
	s_cbranch_execz .LBB225_768
; %bb.765:                              ;   in Loop: Header=BB225_10 Depth=1
	v_and_b32_e32 v110, 7, v43
	v_lshrrev_b32_e32 v98, 3, v114
	s_mov_b32 s25, exec_lo
	v_cmpx_gt_u32_e32 8, v114
; %bb.766:                              ;   in Loop: Header=BB225_10 Depth=1
	v_ffbh_u32_e32 v98, v110
	v_min_u32_e32 v98, 32, v98
	v_subrev_nc_u32_e32 v100, 28, v98
	v_sub_nc_u32_e32 v98, 29, v98
	v_lshlrev_b64 v[100:101], v100, v[110:111]
	v_and_b32_e32 v110, 7, v100
; %bb.767:                              ;   in Loop: Header=BB225_10 Depth=1
	s_or_b32 exec_lo, exec_lo, s25
	v_lshlrev_b32_e32 v100, 24, v43
	v_lshlrev_b32_e32 v101, 20, v110
	v_lshl_add_u32 v98, v98, 23, 0x3c000000
	v_and_b32_e32 v100, 0x80000000, v100
	v_or3_b32 v110, v101, v100, v98
	v_mov_b32_e32 v100, v110
	v_mov_b32_e32 v101, v111
.LBB225_768:                            ;   in Loop: Header=BB225_10 Depth=1
	s_or_b32 exec_lo, exec_lo, s24
.LBB225_769:                            ;   in Loop: Header=BB225_10 Depth=1
	s_or_b32 exec_lo, exec_lo, s23
.LBB225_770:                            ;   in Loop: Header=BB225_10 Depth=1
	s_or_b32 exec_lo, exec_lo, s17
	v_cmp_ne_u16_sdwa s6, v43, v111 src0_sel:BYTE_1 src1_sel:DWORD
	s_and_saveexec_b32 s17, s6
	s_cbranch_execz .LBB225_778
; %bb.771:                              ;   in Loop: Header=BB225_10 Depth=1
	v_mov_b32_e32 v114, v111
	v_cmp_ne_u16_sdwa s6, v43, v119 src0_sel:BYTE_1 src1_sel:DWORD
	v_mov_b32_e32 v82, v114
	v_mov_b32_e32 v83, v115
	s_and_saveexec_b32 s23, s6
	s_cbranch_execz .LBB225_777
; %bb.772:                              ;   in Loop: Header=BB225_10 Depth=1
	v_mov_b32_e32 v82, 0xffff
	v_mov_b32_e32 v98, v111
	s_mov_b32 s24, exec_lo
	v_and_b32_sdwa v110, v82, v43 dst_sel:DWORD dst_unused:UNUSED_PAD src0_sel:DWORD src1_sel:BYTE_1
	v_mov_b32_e32 v82, v98
	v_mov_b32_e32 v83, v99
	v_and_b32_e32 v114, 0x7f, v110
	v_cmpx_ne_u32_e32 0x7f, v114
	s_cbranch_execz .LBB225_776
; %bb.773:                              ;   in Loop: Header=BB225_10 Depth=1
	v_and_b32_e32 v110, 7, v110
	v_lshrrev_b32_e32 v82, 3, v114
	s_mov_b32 s25, exec_lo
	v_cmpx_gt_u32_e32 8, v114
; %bb.774:                              ;   in Loop: Header=BB225_10 Depth=1
	v_ffbh_u32_e32 v82, v110
	v_min_u32_e32 v82, 32, v82
	v_subrev_nc_u32_e32 v83, 28, v82
	v_sub_nc_u32_e32 v82, 29, v82
	v_lshlrev_b64 v[40:41], v83, v[110:111]
	v_and_b32_e32 v110, 7, v40
; %bb.775:                              ;   in Loop: Header=BB225_10 Depth=1
	s_or_b32 exec_lo, exec_lo, s25
	v_lshlrev_b32_e32 v83, 16, v43
	v_lshlrev_b32_e32 v98, 20, v110
	v_lshl_add_u32 v82, v82, 23, 0x3c000000
	v_and_b32_e32 v83, 0x80000000, v83
	v_or3_b32 v83, v98, v83, v82
	v_mov_b32_e32 v82, v111
.LBB225_776:                            ;   in Loop: Header=BB225_10 Depth=1
	s_or_b32 exec_lo, exec_lo, s24
.LBB225_777:                            ;   in Loop: Header=BB225_10 Depth=1
	s_or_b32 exec_lo, exec_lo, s23
.LBB225_778:                            ;   in Loop: Header=BB225_10 Depth=1
	s_or_b32 exec_lo, exec_lo, s17
	v_or_b32_e32 v15, v17, v15
	v_or_b32_e32 v14, v16, v14
	;; [unrolled: 1-line block ×4, first 2 shown]
	s_clause 0x1
	buffer_load_dword v0, off, s[0:3], s32 offset:520
	buffer_load_dword v1, off, s[0:3], s32 offset:524
	v_or_b32_e32 v35, v53, v35
	v_or_b32_e32 v34, v52, v34
	;; [unrolled: 1-line block ×39, first 2 shown]
	v_mul_f32_e32 v49, v42, v49
	v_mul_f32_e32 v48, v42, v48
	;; [unrolled: 1-line block ×10, first 2 shown]
	v_or_b32_e32 v13, v20, v106
	v_or_b32_e32 v20, v105, v95
	v_mul_f32_e32 v21, v42, v21
	v_mul_f32_e32 v12, v42, v12
	;; [unrolled: 1-line block ×9, first 2 shown]
	v_or_b32_e32 v96, v126, v96
	v_or_b32_e32 v97, v127, v97
	;; [unrolled: 1-line block ×3, first 2 shown]
	s_waitcnt vmcnt(1)
	v_or_b32_e32 v53, v56, v0
	s_waitcnt vmcnt(0)
	v_or_b32_e32 v52, v57, v1
	s_clause 0x1
	buffer_load_dword v0, off, s[0:3], s32 offset:512
	buffer_load_dword v1, off, s[0:3], s32 offset:516
	v_mul_f32_e32 v53, v42, v53
	v_mul_f32_e32 v52, v42, v52
	s_waitcnt vmcnt(1)
	v_or_b32_e32 v65, v44, v0
	s_waitcnt vmcnt(0)
	v_or_b32_e32 v64, v45, v1
	s_clause 0x3
	buffer_load_dword v0, off, s[0:3], s32 offset:496
	buffer_load_dword v1, off, s[0:3], s32 offset:500
	buffer_load_dword v84, off, s[0:3], s32 offset:504
	buffer_load_dword v85, off, s[0:3], s32 offset:508
	v_mul_f32_e32 v65, v42, v65
	v_mul_f32_e32 v64, v42, v64
	s_waitcnt vmcnt(1)
	v_or_b32_e32 v69, v84, v0
	s_waitcnt vmcnt(0)
	v_or_b32_e32 v68, v85, v1
	s_clause 0x3
	buffer_load_dword v0, off, s[0:3], s32 offset:480
	buffer_load_dword v1, off, s[0:3], s32 offset:484
	;; [unrolled: 11-line block ×19, first 2 shown]
	v_mul_f32_e32 v0, v42, v0
	v_mul_f32_e32 v1, v42, v1
	s_waitcnt vmcnt(1)
	v_or_b32_e32 v90, v92, v90
	s_waitcnt vmcnt(0)
	v_or_b32_e32 v89, v93, v91
	s_clause 0x3
	buffer_load_dword v91, off, s[0:3], s32 offset:568
	buffer_load_dword v92, off, s[0:3], s32 offset:572
	;; [unrolled: 1-line block ×4, first 2 shown]
	v_mul_f32_e32 v90, v42, v90
	v_mul_f32_e32 v89, v42, v89
	s_waitcnt vmcnt(1)
	v_mul_f32_e32 v0, v93, v0
	s_waitcnt vmcnt(0)
	v_mul_f32_e32 v1, v94, v1
	v_fmac_f32_e32 v0, v91, v90
	v_fmac_f32_e32 v1, v92, v89
	s_clause 0x3
	buffer_load_dword v89, off, s[0:3], s32 offset:584
	buffer_load_dword v90, off, s[0:3], s32 offset:588
	buffer_load_dword v91, off, s[0:3], s32 offset:592
	buffer_load_dword v92, off, s[0:3], s32 offset:596
	s_waitcnt vmcnt(3)
	v_fmac_f32_e32 v0, v89, v88
	s_waitcnt vmcnt(2)
	v_fmac_f32_e32 v1, v90, v79
	;; [unrolled: 2-line block ×3, first 2 shown]
	s_clause 0x3
	buffer_load_dword v88, off, s[0:3], s32 offset:600
	buffer_load_dword v89, off, s[0:3], s32 offset:604
	;; [unrolled: 1-line block ×4, first 2 shown]
	s_waitcnt vmcnt(4)
	v_fmac_f32_e32 v1, v92, v77
	s_waitcnt vmcnt(3)
	v_fmac_f32_e32 v0, v88, v76
	;; [unrolled: 2-line block ×5, first 2 shown]
	s_clause 0x3
	buffer_load_dword v73, off, s[0:3], s32 offset:616
	buffer_load_dword v74, off, s[0:3], s32 offset:620
	;; [unrolled: 1-line block ×4, first 2 shown]
	s_waitcnt vmcnt(3)
	v_fmac_f32_e32 v0, v73, v72
	s_waitcnt vmcnt(2)
	v_fmac_f32_e32 v1, v74, v63
	;; [unrolled: 2-line block ×3, first 2 shown]
	s_clause 0x3
	buffer_load_dword v72, off, s[0:3], s32 offset:632
	buffer_load_dword v73, off, s[0:3], s32 offset:636
	;; [unrolled: 1-line block ×4, first 2 shown]
	s_waitcnt vmcnt(4)
	v_fmac_f32_e32 v1, v76, v61
	s_waitcnt vmcnt(3)
	v_fmac_f32_e32 v0, v72, v60
	;; [unrolled: 2-line block ×5, first 2 shown]
	s_clause 0x3
	buffer_load_dword v57, off, s[0:3], s32 offset:648
	buffer_load_dword v58, off, s[0:3], s32 offset:652
	buffer_load_dword v59, off, s[0:3], s32 offset:656
	buffer_load_dword v60, off, s[0:3], s32 offset:660
	s_waitcnt vmcnt(3)
	v_fmac_f32_e32 v0, v57, v56
	s_waitcnt vmcnt(2)
	v_fmac_f32_e32 v1, v58, v47
	s_waitcnt vmcnt(1)
	v_fmac_f32_e32 v0, v59, v46
	s_clause 0x3
	buffer_load_dword v56, off, s[0:3], s32 offset:664
	buffer_load_dword v57, off, s[0:3], s32 offset:668
	buffer_load_dword v58, off, s[0:3], s32 offset:672
	buffer_load_dword v59, off, s[0:3], s32 offset:676
	s_waitcnt vmcnt(4)
	v_fmac_f32_e32 v1, v60, v45
	s_waitcnt vmcnt(3)
	v_fmac_f32_e32 v0, v56, v44
	s_waitcnt vmcnt(2)
	v_fmac_f32_e32 v1, v57, v43
	;; [unrolled: 11-line block ×3, first 2 shown]
	s_waitcnt vmcnt(2)
	v_fmac_f32_e32 v1, v44, v116
	s_waitcnt vmcnt(1)
	v_fmac_f32_e32 v0, v45, v114
	s_waitcnt vmcnt(0)
	v_fmac_f32_e32 v1, v46, v113
	s_clause 0x3
	buffer_load_dword v43, off, s[0:3], s32 offset:696
	buffer_load_dword v44, off, s[0:3], s32 offset:700
	buffer_load_dword v45, off, s[0:3], s32 offset:704
	buffer_load_dword v46, off, s[0:3], s32 offset:708
	s_waitcnt vmcnt(3)
	v_fmac_f32_e32 v0, v43, v112
	s_waitcnt vmcnt(2)
	v_fmac_f32_e32 v1, v44, v102
	s_waitcnt vmcnt(1)
	v_fmac_f32_e32 v0, v45, v85
	s_waitcnt vmcnt(0)
	v_fmac_f32_e32 v1, v46, v84
	s_clause 0x3
	buffer_load_dword v43, off, s[0:3], s32 offset:712
	buffer_load_dword v44, off, s[0:3], s32 offset:716
	buffer_load_dword v45, off, s[0:3], s32 offset:720
	buffer_load_dword v46, off, s[0:3], s32 offset:724
	s_waitcnt vmcnt(3)
	v_fmac_f32_e32 v0, v43, v69
	;; [unrolled: 13-line block ×7, first 2 shown]
	s_waitcnt vmcnt(2)
	v_fmac_f32_e32 v1, v44, v10
	s_clause 0x3
	buffer_load_dword v10, off, s[0:3], s32 offset:812
	buffer_load_dword v11, off, s[0:3], s32 offset:816
	;; [unrolled: 1-line block ×4, first 2 shown]
	s_waitcnt vmcnt(5)
	v_fmac_f32_e32 v0, v45, v5
	s_waitcnt vmcnt(4)
	v_fmac_f32_e32 v1, v46, v4
	;; [unrolled: 2-line block ×3, first 2 shown]
	v_mul_f32_e32 v2, v42, v3
	s_waitcnt vmcnt(2)
	v_fmac_f32_e32 v1, v11, v2
	v_mul_f32_e32 v2, v42, v23
	s_waitcnt vmcnt(1)
	v_fmac_f32_e32 v0, v12, v2
	;; [unrolled: 3-line block ×3, first 2 shown]
	s_clause 0x3
	buffer_load_dword v10, off, s[0:3], s32 offset:828
	buffer_load_dword v11, off, s[0:3], s32 offset:832
	;; [unrolled: 1-line block ×4, first 2 shown]
	v_mul_f32_e32 v2, v42, v17
	s_waitcnt vmcnt(3)
	v_fmac_f32_e32 v0, v10, v2
	v_mul_f32_e32 v2, v42, v16
	s_waitcnt vmcnt(2)
	v_fmac_f32_e32 v1, v11, v2
	v_mul_f32_e32 v2, v42, v14
	s_waitcnt vmcnt(1)
	v_fmac_f32_e32 v0, v12, v2
	v_mul_f32_e32 v2, v42, v15
	s_waitcnt vmcnt(0)
	v_fmac_f32_e32 v1, v13, v2
	s_clause 0x3
	buffer_load_dword v10, off, s[0:3], s32 offset:844
	buffer_load_dword v11, off, s[0:3], s32 offset:848
	buffer_load_dword v12, off, s[0:3], s32 offset:852
	buffer_load_dword v13, off, s[0:3], s32 offset:856
	v_mul_f32_e32 v2, v42, v26
	s_waitcnt vmcnt(3)
	v_fmac_f32_e32 v0, v10, v2
	v_mul_f32_e32 v2, v42, v27
	s_waitcnt vmcnt(2)
	v_fmac_f32_e32 v1, v11, v2
	v_mul_f32_e32 v2, v42, v6
	s_clause 0x3
	buffer_load_dword v3, off, s[0:3], s32 offset:860
	buffer_load_dword v4, off, s[0:3], s32 offset:864
	;; [unrolled: 1-line block ×4, first 2 shown]
	s_waitcnt vmcnt(5)
	v_fmac_f32_e32 v0, v12, v2
	v_mul_f32_e32 v2, v42, v7
	v_mul_f32_e32 v7, v42, v96
	s_waitcnt vmcnt(4)
	v_fmac_f32_e32 v1, v13, v2
	s_clause 0x3
	buffer_load_dword v10, off, s[0:3], s32 offset:876
	buffer_load_dword v11, off, s[0:3], s32 offset:880
	;; [unrolled: 1-line block ×4, first 2 shown]
	v_mul_f32_e32 v2, v42, v18
	s_waitcnt vmcnt(7)
	v_fmac_f32_e32 v0, v3, v2
	v_mul_f32_e32 v2, v42, v19
	v_mul_f32_e32 v3, v42, v39
	s_waitcnt vmcnt(6)
	v_fmac_f32_e32 v1, v4, v2
	v_mul_f32_e32 v2, v42, v30
	v_mul_f32_e32 v4, v42, v70
	s_waitcnt vmcnt(5)
	v_fmac_f32_e32 v0, v5, v2
	v_mul_f32_e32 v2, v42, v31
	v_mul_f32_e32 v5, v42, v51
	s_waitcnt vmcnt(4)
	v_fmac_f32_e32 v1, v6, v2
	v_mul_f32_e32 v2, v42, v34
	v_mul_f32_e32 v6, v42, v50
	s_waitcnt vmcnt(3)
	v_fmac_f32_e32 v0, v10, v2
	v_mul_f32_e32 v2, v42, v35
	s_waitcnt vmcnt(2)
	v_fmac_f32_e32 v1, v11, v2
	v_mul_f32_e32 v2, v42, v38
	s_waitcnt vmcnt(0)
	v_fmac_f32_e32 v1, v13, v3
	v_fmac_f32_e32 v0, v12, v2
	s_clause 0x3
	buffer_load_dword v10, off, s[0:3], s32 offset:892
	buffer_load_dword v11, off, s[0:3], s32 offset:896
	buffer_load_dword v12, off, s[0:3], s32 offset:900
	buffer_load_dword v13, off, s[0:3], s32 offset:904
	v_mul_f32_e32 v3, v42, v71
	v_or_b32_e32 v2, v67, v81
	v_mul_f32_e32 v2, v42, v2
	s_waitcnt vmcnt(3)
	v_fmac_f32_e32 v0, v10, v6
	s_waitcnt vmcnt(2)
	v_fmac_f32_e32 v1, v11, v5
	v_or_b32_e32 v5, v55, v9
	v_mul_f32_e32 v6, v42, v97
	s_waitcnt vmcnt(1)
	v_fmac_f32_e32 v0, v12, v4
	s_clause 0x3
	buffer_load_dword v9, off, s[0:3], s32 offset:908
	buffer_load_dword v10, off, s[0:3], s32 offset:912
	;; [unrolled: 1-line block ×4, first 2 shown]
	s_waitcnt vmcnt(4)
	v_fmac_f32_e32 v1, v13, v3
	v_or_b32_e32 v3, v54, v8
	v_mul_f32_e32 v8, v42, v86
	v_mul_f32_e32 v4, v42, v87
	;; [unrolled: 1-line block ×4, first 2 shown]
	s_waitcnt vmcnt(3)
	v_fmac_f32_e32 v0, v9, v7
	s_waitcnt vmcnt(2)
	v_fmac_f32_e32 v1, v10, v6
	v_or_b32_e32 v6, v66, v80
	s_waitcnt vmcnt(1)
	v_fmac_f32_e32 v0, v11, v8
	s_clause 0x3
	buffer_load_dword v7, off, s[0:3], s32 offset:924
	buffer_load_dword v8, off, s[0:3], s32 offset:928
	;; [unrolled: 1-line block ×4, first 2 shown]
	s_waitcnt vmcnt(4)
	v_fmac_f32_e32 v1, v12, v4
	v_mul_f32_e32 v6, v42, v6
	v_mul_f32_e32 v4, v42, v103
	s_waitcnt vmcnt(3)
	v_fmac_f32_e32 v0, v7, v3
	s_waitcnt vmcnt(2)
	v_fmac_f32_e32 v1, v8, v5
	v_or_b32_e32 v5, v83, v101
	v_or_b32_e32 v7, v82, v100
	v_mul_f32_e32 v3, v42, v98
	s_waitcnt vmcnt(1)
	v_fmac_f32_e32 v0, v9, v6
	s_waitcnt vmcnt(0)
	v_fmac_f32_e32 v1, v10, v2
	v_mul_f32_e32 v2, v42, v5
	v_mul_f32_e32 v5, v42, v7
	s_clause 0x3
	buffer_load_dword v6, off, s[0:3], s32 offset:940
	buffer_load_dword v7, off, s[0:3], s32 offset:944
	;; [unrolled: 1-line block ×4, first 2 shown]
	s_waitcnt vmcnt(3)
	v_fmac_f32_e32 v0, v6, v3
	s_waitcnt vmcnt(2)
	v_fmac_f32_e32 v1, v7, v4
	;; [unrolled: 2-line block ×4, first 2 shown]
	v_add_f32_e32 v0, v0, v1
	buffer_load_dword v1, off, s[0:3], s32 offset:776 ; 4-byte Folded Reload
	s_waitcnt vmcnt(0)
	ds_bpermute_b32 v1, v1, v0
	s_mov_b32 s17, exec_lo
	buffer_load_dword v5, off, s[0:3], s32 offset:544 ; 4-byte Folded Reload
	s_and_b32 s6, s17, vcc_lo
	s_mov_b32 exec_lo, s6
	s_cbranch_execz .LBB225_9
; %bb.779:                              ;   in Loop: Header=BB225_10 Depth=1
	s_clause 0x1
	buffer_load_dword v4, off, s[0:3], s32 offset:528
	buffer_load_dword v3, off, s[0:3], s32 offset:960
	v_sub_nc_u32_e32 v2, 1, v118
	s_waitcnt lgkmcnt(0)
	v_add_f32_e32 v0, v0, v1
	s_load_dword s23, s[8:9], 0x0
	s_waitcnt vmcnt(1)
	v_add_nc_u32_e32 v2, v2, v4
	v_cmp_lt_i32_e64 s6, v4, v118
	v_cvt_f32_i32_e32 v2, v2
	s_waitcnt vmcnt(0)
	v_mul_f32_e32 v2, v3, v2
	buffer_load_dword v3, off, s[0:3], s32 offset:556 ; 4-byte Folded Reload
	v_cndmask_b32_e64 v1, 0, v2, s5
	buffer_load_dword v2, off, s[0:3], s32 offset:956 ; 4-byte Folded Reload
	s_waitcnt vmcnt(0)
	v_fmac_f32_e32 v1, v2, v0
	buffer_load_dword v2, off, s[0:3], s32 offset:532 ; 4-byte Folded Reload
	v_max_f32_e32 v0, v3, v3
	v_max_f32_e32 v0, v0, v1
	v_cndmask_b32_e64 v1, 0, v1, s6
	v_cndmask_b32_e64 v3, v3, v0, s6
	buffer_store_dword v3, off, s[0:3], s32 offset:556 ; 4-byte Folded Spill
	s_waitcnt vmcnt(0) lgkmcnt(0)
	v_add_nc_u32_e32 v2, s23, v2
	ds_write_b32 v2, v1
	s_branch .LBB225_9
.LBB225_780:
	s_or_b32 exec_lo, exec_lo, s22
	s_clause 0x11
	buffer_load_dword v15, off, s[0:3], s32 offset:980
	buffer_load_dword v14, off, s[0:3], s32 offset:984
	;; [unrolled: 1-line block ×18, first 2 shown]
	v_mov_b32_e32 v12, 32
.LBB225_781:
	s_or_b32 exec_lo, exec_lo, s13
	s_waitcnt vmcnt(1)
	v_xor_b32_e32 v0, 16, v21
	s_waitcnt lgkmcnt(0)
	v_xor_b32_e32 v1, 8, v21
	s_waitcnt vmcnt(0)
	v_max_f32_e32 v4, v5, v5
	s_lshr_b32 s8, s21, 16
	v_cmp_lt_i32_e32 vcc_lo, v0, v12
	v_cndmask_b32_e32 v0, v21, v0, vcc_lo
	v_cmp_lt_i32_e32 vcc_lo, v1, v12
	v_lshlrev_b32_e32 v2, 2, v0
	v_cndmask_b32_e32 v1, v21, v1, vcc_lo
	ds_bpermute_b32 v0, v2, v5
	v_xor_b32_e32 v5, 2, v21
	v_lshlrev_b32_e32 v3, 2, v1
	s_waitcnt lgkmcnt(0)
	v_max_f32_e32 v0, v0, v0
	v_max_f32_e32 v0, v4, v0
	v_xor_b32_e32 v4, 4, v21
	ds_bpermute_b32 v1, v3, v0
	v_cmp_lt_i32_e32 vcc_lo, v4, v12
	v_cndmask_b32_e32 v4, v21, v4, vcc_lo
	v_cmp_lt_i32_e32 vcc_lo, v5, v12
	v_lshlrev_b32_e32 v4, 2, v4
	v_cndmask_b32_e32 v5, v21, v5, vcc_lo
	v_lshlrev_b32_e32 v23, 2, v5
	buffer_load_dword v5, off, s[0:3], s32 offset:964 ; 4-byte Folded Reload
	s_waitcnt lgkmcnt(0)
	v_max_f32_e32 v1, v1, v1
	v_max_f32_e32 v0, v0, v1
	ds_bpermute_b32 v1, v4, v0
	s_waitcnt lgkmcnt(0)
	v_max_f32_e32 v1, v1, v1
	v_max_f32_e32 v0, v0, v1
	ds_bpermute_b32 v1, v23, v0
	s_waitcnt vmcnt(0)
	v_and_b32_e32 v68, 31, v5
	buffer_load_dword v5, off, s[0:3], s32 offset:968 ; 4-byte Folded Reload
	v_cmp_eq_u32_e32 vcc_lo, 0, v68
	s_waitcnt vmcnt(0)
	v_lshlrev_b32_e32 v5, 2, v5
	s_and_saveexec_b32 s5, vcc_lo
	s_cbranch_execz .LBB225_783
; %bb.782:
	s_waitcnt lgkmcnt(0)
	v_max_f32_e32 v1, v1, v1
	v_max_f32_e32 v0, v0, v0
	;; [unrolled: 1-line block ×3, first 2 shown]
	ds_write_b32 v5, v0 offset:768
.LBB225_783:
	s_or_b32 exec_lo, exec_lo, s5
	v_cmp_gt_u32_e64 s5, 4, v68
	v_mov_b32_e32 v0, 0xff7fffff
	v_lshlrev_b32_e32 v6, 2, v68
	s_waitcnt lgkmcnt(0)
	s_waitcnt_vscnt null, 0x0
	s_barrier
	buffer_gl0_inv
	s_and_saveexec_b32 s6, s5
; %bb.784:
	ds_read_b32 v0, v6 offset:768
; %bb.785:
	s_or_b32 exec_lo, exec_lo, s6
	v_xor_b32_e32 v7, 1, v21
	s_waitcnt lgkmcnt(0)
	ds_bpermute_b32 v1, v23, v0
	v_max_f32_e32 v0, v0, v0
	v_cmp_lt_i32_e64 s6, v7, v12
	v_cndmask_b32_e64 v7, v21, v7, s6
	v_lshlrev_b32_e32 v70, 2, v7
	buffer_load_dword v7, off, s[0:3], s32 offset:540 ; 4-byte Folded Reload
	s_waitcnt lgkmcnt(0)
	v_max_f32_e32 v1, v1, v1
	v_max_f32_e32 v0, v0, v1
	ds_bpermute_b32 v1, v70, v0
	s_waitcnt lgkmcnt(0)
	v_max_f32_e32 v1, v1, v1
	v_max_f32_e32 v0, v0, v1
	v_lshlrev_b32_e32 v1, 2, v111
	ds_bpermute_b32 v0, v1, v0
	s_waitcnt vmcnt(0)
	v_subrev_nc_u32_e32 v7, s7, v7
	v_lshl_add_u32 v7, v7, 4, s20
	v_min_i32_e32 v1, v7, v118
	buffer_load_dword v7, off, s[0:3], s32 offset:964 ; 4-byte Folded Reload
	v_subrev_nc_u32_e32 v1, s20, v1
	s_waitcnt vmcnt(0)
	v_cmp_lt_i32_e64 s6, v7, v1
	v_mov_b32_e32 v7, 0
	s_and_saveexec_b32 s9, s6
	s_cbranch_execz .LBB225_789
; %bb.786:
	buffer_load_dword v9, off, s[0:3], s32 offset:964 ; 4-byte Folded Reload
	s_getpc_b64 s[22:23]
	s_add_u32 s22, s22, llvm.amdgcn.dynlds.offset.table@rel32@lo+4
	s_addc_u32 s23, s23, llvm.amdgcn.dynlds.offset.table@rel32@hi+12
	s_ashr_i32 s17, s16, 31
	v_mov_b32_e32 v7, 0
	s_lshl_b64 s[24:25], s[16:17], 2
	s_mov_b32 s13, 0
	s_add_u32 s22, s22, s24
	s_addc_u32 s23, s23, s25
	s_load_dword s7, s[22:23], 0x0
	s_waitcnt vmcnt(0) lgkmcnt(0)
	v_lshl_add_u32 v8, v9, 2, s7
	.p2align	6
.LBB225_787:                            ; =>This Inner Loop Header: Depth=1
	ds_read_b32 v12, v8
	v_add_nc_u32_e32 v9, 0x80, v9
	v_cmp_ge_i32_e64 s7, v9, v1
	s_or_b32 s13, s7, s13
	s_waitcnt lgkmcnt(0)
	v_sub_f32_e32 v12, v12, v0
	v_mul_f32_e32 v12, 0x3fb8aa3b, v12
	v_exp_f32_e32 v12, v12
	ds_write_b32 v8, v12
	v_add_f32_e32 v7, v7, v12
	v_add_nc_u32_e32 v8, 0x200, v8
	s_andn2_b32 exec_lo, exec_lo, s13
	s_cbranch_execnz .LBB225_787
; %bb.788:
	s_or_b32 exec_lo, exec_lo, s13
.LBB225_789:
	s_or_b32 exec_lo, exec_lo, s9
	ds_bpermute_b32 v2, v2, v7
	s_waitcnt lgkmcnt(0)
	v_add_f32_e32 v2, v7, v2
	ds_bpermute_b32 v3, v3, v2
	s_waitcnt lgkmcnt(0)
	v_add_f32_e32 v2, v2, v3
	;; [unrolled: 3-line block ×5, first 2 shown]
	s_and_saveexec_b32 s7, vcc_lo
; %bb.790:
	ds_write_b32 v5, v2 offset:784
; %bb.791:
	s_or_b32 exec_lo, exec_lo, s7
	s_waitcnt lgkmcnt(0)
	s_barrier
	buffer_gl0_inv
	s_and_saveexec_b32 s7, s5
; %bb.792:
	ds_read_b32 v2, v6 offset:784
; %bb.793:
	s_or_b32 exec_lo, exec_lo, s7
	s_waitcnt lgkmcnt(0)
	ds_bpermute_b32 v3, v23, v2
	v_lshlrev_b32_e32 v4, 2, v21
	s_waitcnt lgkmcnt(0)
	v_add_f32_e32 v2, v2, v3
	ds_bpermute_b32 v3, v70, v2
	s_waitcnt lgkmcnt(0)
	v_add_f32_e32 v2, v2, v3
	v_and_b32_e32 v3, 0xffffff80, v4
	ds_bpermute_b32 v2, v3, v2
	s_and_saveexec_b32 s5, s6
	s_cbranch_execz .LBB225_796
; %bb.794:
	s_waitcnt lgkmcnt(0)
	v_add_f32_e32 v4, 0x358637bd, v2
	s_getpc_b64 s[6:7]
	s_add_u32 s6, s6, llvm.amdgcn.dynlds.offset.table@rel32@lo+4
	s_addc_u32 s7, s7, llvm.amdgcn.dynlds.offset.table@rel32@hi+12
	s_ashr_i32 s17, s16, 31
	s_lshl_b64 s[22:23], s[16:17], 2
	v_div_scale_f32 v3, null, v4, v4, 1.0
	v_div_scale_f32 v7, vcc_lo, 1.0, v4, 1.0
	s_add_u32 s6, s6, s22
	v_rcp_f32_e32 v5, v3
	s_addc_u32 s7, s7, s23
	s_load_dword s6, s[6:7], 0x0
	v_fma_f32 v6, -v3, v5, 1.0
	v_fmac_f32_e32 v5, v6, v5
	v_mul_f32_e32 v6, v7, v5
	v_fma_f32 v8, -v3, v6, v7
	v_fmac_f32_e32 v6, v8, v5
	v_fma_f32 v3, -v3, v6, v7
	v_div_fmas_f32 v5, v3, v5, v6
	buffer_load_dword v6, off, s[0:3], s32 offset:964 ; 4-byte Folded Reload
	v_div_fixup_f32 v4, v5, v4, 1.0
	s_waitcnt vmcnt(0) lgkmcnt(0)
	v_lshl_add_u32 v3, v6, 2, s6
	v_mov_b32_e32 v5, v6
	s_mov_b32 s6, 0
.LBB225_795:                            ; =>This Inner Loop Header: Depth=1
	ds_read_b32 v6, v3
	v_add_nc_u32_e32 v5, 0x80, v5
	v_cmp_ge_i32_e32 vcc_lo, v5, v1
	s_or_b32 s6, vcc_lo, s6
	s_waitcnt lgkmcnt(0)
	v_mul_f32_e32 v6, v4, v6
	ds_write_b32 v3, v6
	v_add_nc_u32_e32 v3, 0x200, v3
	s_andn2_b32 exec_lo, exec_lo, s6
	s_cbranch_execnz .LBB225_795
.LBB225_796:
	s_or_b32 exec_lo, exec_lo, s5
	s_waitcnt lgkmcnt(0)
	buffer_load_dword v1, off, s[0:3], s32 offset:964 ; 4-byte Folded Reload
	s_and_b32 s5, 0xffff, s8
	s_mov_b32 s8, exec_lo
	s_cmp_lg_u32 s5, 0
	s_barrier
	s_cselect_b32 s5, -1, 0
	s_waitcnt vmcnt(0)
	buffer_gl0_inv
	s_cmp_lg_u32 s5, 0
	s_addc_u32 s5, s11, 0
	s_mul_i32 s6, s5, s18
	s_mul_i32 s6, s6, s15
	v_cmpx_eq_u32_e32 0, v1
	s_cbranch_execz .LBB225_798
; %bb.797:
	s_ashr_i32 s7, s6, 31
	s_mul_i32 s12, s5, s12
	s_lshl_b64 s[22:23], s[6:7], 2
	s_ashr_i32 s13, s12, 31
	v_add_co_u32 v1, vcc_lo, v28, s22
	v_add_co_ci_u32_e64 v3, null, s23, v25, vcc_lo
	s_lshl_b64 s[12:13], s[12:13], 2
	s_ashr_i32 s15, s14, 31
	v_add_co_u32 v1, vcc_lo, v1, s12
	v_add_co_ci_u32_e64 v4, null, s13, v3, vcc_lo
	v_add_co_u32 v3, vcc_lo, v24, s22
	v_add_co_ci_u32_e64 v5, null, s23, v22, vcc_lo
	s_lshl_b64 s[22:23], s[14:15], 2
	v_add_co_u32 v6, vcc_lo, v3, s12
	v_add_co_ci_u32_e64 v7, null, s13, v5, vcc_lo
	v_add_co_u32 v3, vcc_lo, v1, s22
	v_add_co_ci_u32_e64 v4, null, s23, v4, vcc_lo
	v_add_co_u32 v5, vcc_lo, v6, s22
	v_add_co_ci_u32_e64 v6, null, s23, v7, vcc_lo
	flat_store_dword v[3:4], v0
	flat_store_dword v[5:6], v2
.LBB225_798:
	s_or_b32 exec_lo, exec_lo, s8
	s_and_saveexec_b32 s7, s4
	s_xor_b32 s4, exec_lo, s7
	s_cbranch_execz .LBB225_800
; %bb.799:
                                        ; implicit-def: $vgpr0
	s_ashr_i32 s17, s16, 31
                                        ; kill: killed $vgpr0
                                        ; implicit-def: $vgpr0
                                        ; implicit-def: $vgpr118
                                        ; implicit-def: $vgpr13
                                        ; implicit-def: $vgpr10
                                        ; implicit-def: $vgpr11
                                        ; implicit-def: $vgpr14
                                        ; implicit-def: $vgpr15
                                        ; implicit-def: $vgpr26_vgpr27
                                        ; implicit-def: $vgpr19
                                        ; implicit-def: $vgpr20
                                        ; implicit-def: $vgpr17_vgpr18
                                        ; implicit-def: $vgpr16
	buffer_store_dword v0, off, s[0:3], s32 offset:208 ; 4-byte Folded Spill
	buffer_store_dword v1, off, s[0:3], s32 offset:212 ; 4-byte Folded Spill
                                        ; implicit-def: $vgpr0
                                        ; kill: killed $vgpr0
.LBB225_800:
	s_or_saveexec_b32 s7, s4
	buffer_load_dword v2, off, s[0:3], s32 offset:964 ; 4-byte Folded Reload
	v_mov_b32_e32 v0, s16
	v_mov_b32_e32 v67, 0
	;; [unrolled: 1-line block ×26, first 2 shown]
	s_waitcnt vmcnt(0)
	v_and_b32_e32 v71, 3, v2
	s_xor_b32 exec_lo, exec_lo, s7
	s_cbranch_execz .LBB225_1620
; %bb.801:
	buffer_store_dword v23, off, s[0:3], s32 offset:376 ; 4-byte Folded Spill
	buffer_store_dword v68, off, s[0:3], s32 offset:368 ; 4-byte Folded Spill
	;; [unrolled: 1-line block ×3, first 2 shown]
	flat_load_dword v68, v[26:27]
	s_clause 0x1
	buffer_load_dword v0, off, s[0:3], s32 offset:208
	buffer_load_dword v1, off, s[0:3], s32 offset:212
	v_add_co_u32 v3, vcc_lo, v10, v19
	buffer_load_dword v10, off, s[0:3], s32 offset:968 ; 4-byte Folded Reload
	s_ashr_i32 s17, s16, 31
	s_getpc_b64 s[8:9]
	s_add_u32 s8, s8, llvm.amdgcn.dynlds.offset.table@rel32@lo+4
	s_addc_u32 s9, s9, llvm.amdgcn.dynlds.offset.table@rel32@hi+12
	s_lshl_b64 s[12:13], s[16:17], 2
	v_and_b32_e32 v5, 0x7c, v16
	s_add_u32 s8, s8, s12
	s_addc_u32 s9, s9, s13
	v_add_co_ci_u32_e64 v4, null, v11, v20, vcc_lo
	s_load_dword s4, s[8:9], 0x0
	v_and_b32_e32 v2, 12, v16
	v_lshlrev_b32_e32 v8, 4, v71
	v_add_co_u32 v3, vcc_lo, v3, v5
	v_add_co_ci_u32_e64 v4, null, 0, v4, vcc_lo
	v_add_nc_u32_e32 v46, -1, v13
	v_mov_b32_e32 v7, 0
	v_mov_b32_e32 v70, 0x80
	v_bfrev_b32_e32 v9, 1
	v_mov_b32_e32 v11, 0x7f800001
	v_mov_b32_e32 v80, 0xff
	;; [unrolled: 1-line block ×26, first 2 shown]
	s_mov_b32 s8, 0
	buffer_store_dword v71, off, s[0:3], s32 offset:384 ; 4-byte Folded Spill
	buffer_store_dword v3, off, s[0:3], s32 offset:352 ; 4-byte Folded Spill
	;; [unrolled: 1-line block ×3, first 2 shown]
	s_waitcnt vmcnt(3) lgkmcnt(0)
	v_mov_b32_e32 v85, v68
	s_waitcnt vmcnt(1)
	v_lshlrev_b64 v[0:1], 2, v[0:1]
	s_waitcnt vmcnt(0)
	v_lshl_add_u32 v6, v10, 4, s20
	v_add_co_u32 v0, vcc_lo, v17, v0
	v_add3_u32 v83, v6, v2, 3
	v_add_co_ci_u32_e64 v1, null, v18, v1, vcc_lo
	v_lshl_or_b32 v2, v10, 6, v8
	v_add_co_u32 v14, vcc_lo, v14, v0
	v_add_co_ci_u32_e64 v15, null, v15, v1, vcc_lo
	v_add_nc_u32_e32 v84, s4, v2
	s_branch .LBB225_803
.LBB225_802:                            ;   in Loop: Header=BB225_803 Depth=1
	s_or_b32 exec_lo, exec_lo, s4
	v_mul_f32_e32 v10, v1, v43
	v_add_co_u32 v14, vcc_lo, v14, 16
	v_add_co_ci_u32_e64 v15, null, 0, v15, vcc_lo
	v_fmac_f32_e32 v10, v0, v42
	v_add_nc_u32_e32 v83, 64, v83
	v_add_nc_u32_e32 v84, 0x100, v84
	v_fmac_f32_e32 v10, v2, v23
	v_fmac_f32_e32 v10, v3, v22
	v_add_f32_e32 v29, v29, v10
	v_mul_f32_e32 v10, v1, v41
	v_fmac_f32_e32 v10, v0, v40
	v_fmac_f32_e32 v10, v2, v119
	v_fmac_f32_e32 v10, v3, v117
	v_add_f32_e32 v30, v30, v10
	v_mul_f32_e32 v10, v1, v116
	v_fmac_f32_e32 v10, v0, v115
	;; [unrolled: 5-line block ×6, first 2 shown]
	v_fmac_f32_e32 v10, v2, v12
	buffer_load_dword v12, off, s[0:3], s32 offset:344 ; 4-byte Folded Reload
	v_fmac_f32_e32 v10, v3, v69
	v_add_f32_e32 v35, v35, v10
	v_mul_f32_e32 v10, v1, v27
	v_fmac_f32_e32 v10, v0, v25
	v_fmac_f32_e32 v10, v2, v127
	v_fmac_f32_e32 v10, v3, v126
	v_add_f32_e32 v36, v36, v10
	v_mul_f32_e32 v10, v1, v125
	v_fmac_f32_e32 v10, v0, v124
	v_fmac_f32_e32 v10, v2, v123
	;; [unrolled: 5-line block ×11, first 2 shown]
	s_waitcnt vmcnt(0)
	v_fmac_f32_e32 v10, v3, v12
	v_add_f32_e32 v54, v54, v10
	buffer_load_dword v10, off, s[0:3], s32 offset:336 ; 4-byte Folded Reload
	s_waitcnt vmcnt(0)
	v_mul_f32_e32 v12, v1, v10
	buffer_load_dword v10, off, s[0:3], s32 offset:328 ; 4-byte Folded Reload
	s_waitcnt vmcnt(0)
	v_fmac_f32_e32 v12, v0, v10
	buffer_load_dword v10, off, s[0:3], s32 offset:192 ; 4-byte Folded Reload
	s_waitcnt vmcnt(0)
	v_fmac_f32_e32 v12, v2, v10
	;; [unrolled: 3-line block ×3, first 2 shown]
	buffer_load_dword v10, off, s[0:3], s32 offset:312 ; 4-byte Folded Reload
	v_add_f32_e32 v55, v55, v12
	buffer_load_dword v12, off, s[0:3], s32 offset:304 ; 4-byte Folded Reload
	s_waitcnt vmcnt(1)
	v_mul_f32_e32 v10, v1, v10
	s_waitcnt vmcnt(0)
	v_fmac_f32_e32 v10, v0, v12
	buffer_load_dword v12, off, s[0:3], s32 offset:296 ; 4-byte Folded Reload
	s_waitcnt vmcnt(0)
	v_fmac_f32_e32 v10, v2, v12
	buffer_load_dword v12, off, s[0:3], s32 offset:288 ; 4-byte Folded Reload
	;; [unrolled: 3-line block ×3, first 2 shown]
	v_add_f32_e32 v64, v64, v10
	buffer_load_dword v10, off, s[0:3], s32 offset:272 ; 4-byte Folded Reload
	s_waitcnt vmcnt(0)
	v_mul_f32_e32 v10, v1, v10
	v_fmac_f32_e32 v10, v0, v12
	buffer_load_dword v12, off, s[0:3], s32 offset:264 ; 4-byte Folded Reload
	s_waitcnt vmcnt(0)
	v_fmac_f32_e32 v10, v2, v12
	buffer_load_dword v12, off, s[0:3], s32 offset:256 ; 4-byte Folded Reload
	s_waitcnt vmcnt(0)
	v_fmac_f32_e32 v10, v3, v12
	buffer_load_dword v12, off, s[0:3], s32 offset:248 ; 4-byte Folded Reload
	v_add_f32_e32 v65, v65, v10
	buffer_load_dword v10, off, s[0:3], s32 offset:240 ; 4-byte Folded Reload
	s_waitcnt vmcnt(0)
	v_mul_f32_e32 v10, v1, v10
	v_fmac_f32_e32 v10, v0, v12
	buffer_load_dword v12, off, s[0:3], s32 offset:232 ; 4-byte Folded Reload
	s_waitcnt vmcnt(0)
	v_fmac_f32_e32 v10, v2, v12
	buffer_load_dword v12, off, s[0:3], s32 offset:224 ; 4-byte Folded Reload
	s_waitcnt vmcnt(0)
	v_fmac_f32_e32 v10, v3, v12
	buffer_load_dword v12, off, s[0:3], s32 offset:216 ; 4-byte Folded Reload
	v_add_f32_e32 v66, v66, v10
	buffer_load_dword v10, off, s[0:3], s32 offset:204 ; 4-byte Folded Reload
	s_waitcnt vmcnt(0)
	v_mul_f32_e32 v10, v1, v10
	v_mul_f32_e32 v1, v1, v8
	v_fmac_f32_e32 v10, v0, v12
	buffer_load_dword v12, off, s[0:3], s32 offset:200 ; 4-byte Folded Reload
	v_fmac_f32_e32 v1, v0, v6
	v_fmac_f32_e32 v1, v2, v5
	;; [unrolled: 1-line block ×3, first 2 shown]
	v_add_f32_e32 v28, v28, v1
	s_waitcnt vmcnt(0)
	v_fmac_f32_e32 v10, v2, v12
	s_clause 0x2
	buffer_load_dword v12, off, s[0:3], s32 offset:196
	buffer_load_dword v0, off, s[0:3], s32 offset:208
	;; [unrolled: 1-line block ×3, first 2 shown]
	s_waitcnt vmcnt(0)
	v_mov_b32_e32 v1, v0
	v_fmac_f32_e32 v10, v3, v12
	v_add_nc_u32_e32 v1, 4, v1
	v_add_f32_e32 v67, v67, v10
	v_mov_b32_e32 v0, v1
	buffer_store_dword v0, off, s[0:3], s32 offset:208 ; 4-byte Folded Spill
	buffer_store_dword v1, off, s[0:3], s32 offset:212 ; 4-byte Folded Spill
	buffer_load_dword v0, off, s[0:3], s32 offset:540 ; 4-byte Folded Reload
	s_waitcnt vmcnt(0)
	v_cmp_ge_i32_e32 vcc_lo, v1, v0
	s_or_b32 s8, vcc_lo, s8
	s_andn2_b32 exec_lo, exec_lo, s8
	s_cbranch_execz .LBB225_1619
.LBB225_803:                            ; =>This Inner Loop Header: Depth=1
	flat_load_dword v0, v[14:15]
	s_clause 0x2
	buffer_load_dword v1, off, s[0:3], s32 offset:536
	buffer_load_dword v2, off, s[0:3], s32 offset:352
	;; [unrolled: 1-line block ×3, first 2 shown]
	v_mov_b32_e32 v18, 0
	v_mov_b32_e32 v16, 0
	;; [unrolled: 1-line block ×4, first 2 shown]
	s_waitcnt vmcnt(0) lgkmcnt(0)
	v_mad_i64_i32 v[4:5], null, v0, v1, v[2:3]
	ds_read_b128 v[0:3], v84
	flat_load_dword v12, v[4:5]
	s_waitcnt vmcnt(0) lgkmcnt(0)
	v_cmp_ne_u16_sdwa s9, v12, v7 src0_sel:BYTE_0 src1_sel:DWORD
	s_and_saveexec_b32 s4, s9
	s_cbranch_execz .LBB225_811
; %bb.804:                              ;   in Loop: Header=BB225_803 Depth=1
	v_bfrev_b32_e32 v16, 1
	v_mov_b32_e32 v17, 0
	v_cmp_ne_u16_sdwa s11, v12, v70 src0_sel:BYTE_0 src1_sel:DWORD
	s_and_saveexec_b32 s9, s11
	s_cbranch_execz .LBB225_810
; %bb.805:                              ;   in Loop: Header=BB225_803 Depth=1
	v_mov_b32_e32 v16, 0x7f800001
	v_and_b32_e32 v10, 0x7f, v12
	v_mov_b32_e32 v17, 0
	s_mov_b32 s11, exec_lo
	v_cmpx_ne_u32_e32 0x7f, v10
	s_cbranch_execz .LBB225_809
; %bb.806:                              ;   in Loop: Header=BB225_803 Depth=1
	v_and_b32_e32 v6, 7, v12
	v_lshrrev_b32_e32 v8, 3, v10
	s_mov_b32 s12, exec_lo
	v_cmpx_gt_u32_e32 8, v10
; %bb.807:                              ;   in Loop: Header=BB225_803 Depth=1
	v_ffbh_u32_e32 v8, v6
	v_min_u32_e32 v8, 32, v8
	v_subrev_nc_u32_e32 v10, 28, v8
	v_sub_nc_u32_e32 v8, 29, v8
	v_lshlrev_b64 v[16:17], v10, v[6:7]
	v_and_b32_e32 v6, 7, v16
; %bb.808:                              ;   in Loop: Header=BB225_803 Depth=1
	s_or_b32 exec_lo, exec_lo, s12
	v_lshlrev_b32_e32 v10, 24, v12
	v_lshlrev_b32_e32 v6, 20, v6
	v_lshl_add_u32 v8, v8, 23, 0x3c000000
	v_and_b32_e32 v10, 0x80000000, v10
	v_or3_b32 v6, v6, v10, v8
	v_mov_b32_e32 v17, v7
	v_mov_b32_e32 v16, v6
.LBB225_809:                            ;   in Loop: Header=BB225_803 Depth=1
	s_or_b32 exec_lo, exec_lo, s11
.LBB225_810:                            ;   in Loop: Header=BB225_803 Depth=1
	s_or_b32 exec_lo, exec_lo, s9
.LBB225_811:                            ;   in Loop: Header=BB225_803 Depth=1
	s_or_b32 exec_lo, exec_lo, s4
	v_cmp_ne_u16_sdwa s9, v12, v7 src0_sel:BYTE_1 src1_sel:DWORD
	s_and_saveexec_b32 s4, s9
	s_cbranch_execz .LBB225_819
; %bb.812:                              ;   in Loop: Header=BB225_803 Depth=1
	v_mov_b32_e32 v8, v7
	v_mov_b32_e32 v19, v9
	v_cmp_ne_u16_sdwa s11, v12, v70 src0_sel:BYTE_1 src1_sel:DWORD
	v_mov_b32_e32 v18, v8
	s_and_saveexec_b32 s9, s11
	s_cbranch_execz .LBB225_818
; %bb.813:                              ;   in Loop: Header=BB225_803 Depth=1
	v_mov_b32_e32 v6, 0xffff
	v_mov_b32_e32 v10, v7
	;; [unrolled: 1-line block ×3, first 2 shown]
	s_mov_b32 s11, exec_lo
	v_and_b32_sdwa v6, v6, v12 dst_sel:DWORD dst_unused:UNUSED_PAD src0_sel:DWORD src1_sel:BYTE_1
	v_mov_b32_e32 v18, v10
	v_and_b32_e32 v13, 0x7f, v6
	v_cmpx_ne_u32_e32 0x7f, v13
	s_cbranch_execz .LBB225_817
; %bb.814:                              ;   in Loop: Header=BB225_803 Depth=1
	v_and_b32_e32 v6, 7, v6
	v_lshrrev_b32_e32 v8, 3, v13
	s_mov_b32 s12, exec_lo
	v_cmpx_gt_u32_e32 8, v13
; %bb.815:                              ;   in Loop: Header=BB225_803 Depth=1
	v_ffbh_u32_e32 v8, v6
	v_min_u32_e32 v8, 32, v8
	v_subrev_nc_u32_e32 v10, 28, v8
	v_sub_nc_u32_e32 v8, 29, v8
	v_lshlrev_b64 v[18:19], v10, v[6:7]
	v_and_b32_e32 v6, 7, v18
; %bb.816:                              ;   in Loop: Header=BB225_803 Depth=1
	s_or_b32 exec_lo, exec_lo, s12
	v_lshlrev_b32_e32 v10, 16, v12
	v_lshlrev_b32_e32 v6, 20, v6
	v_lshl_add_u32 v8, v8, 23, 0x3c000000
	v_mov_b32_e32 v18, v7
	v_and_b32_e32 v10, 0x80000000, v10
	v_or3_b32 v19, v6, v10, v8
.LBB225_817:                            ;   in Loop: Header=BB225_803 Depth=1
	s_or_b32 exec_lo, exec_lo, s11
.LBB225_818:                            ;   in Loop: Header=BB225_803 Depth=1
	s_or_b32 exec_lo, exec_lo, s9
.LBB225_819:                            ;   in Loop: Header=BB225_803 Depth=1
	s_or_b32 exec_lo, exec_lo, s4
	v_mov_b32_e32 v22, 0
	v_mov_b32_e32 v20, 0
	v_and_b32_sdwa v6, v12, v80 dst_sel:DWORD dst_unused:UNUSED_PAD src0_sel:WORD_1 src1_sel:DWORD
	v_mov_b32_e32 v23, 0
	v_mov_b32_e32 v21, 0
	s_mov_b32 s4, exec_lo
	v_cmpx_ne_u16_e32 0, v6
	s_cbranch_execz .LBB225_827
; %bb.820:                              ;   in Loop: Header=BB225_803 Depth=1
	v_bfrev_b32_e32 v20, 1
	v_mov_b32_e32 v21, 0
	s_mov_b32 s9, exec_lo
	v_cmpx_ne_u16_e32 0x80, v6
	s_cbranch_execz .LBB225_826
; %bb.821:                              ;   in Loop: Header=BB225_803 Depth=1
	v_mov_b32_e32 v20, 0x7f800001
	v_bfe_u32 v10, v12, 16, 7
	v_mov_b32_e32 v21, 0
	s_mov_b32 s11, exec_lo
	v_cmpx_ne_u32_e32 0x7f, v10
	s_cbranch_execz .LBB225_825
; %bb.822:                              ;   in Loop: Header=BB225_803 Depth=1
	v_mov_b32_e32 v6, 7
	v_lshrrev_b32_e32 v8, 3, v10
	s_mov_b32 s12, exec_lo
	v_and_b32_sdwa v6, v12, v6 dst_sel:DWORD dst_unused:UNUSED_PAD src0_sel:WORD_1 src1_sel:DWORD
	v_cmpx_gt_u32_e32 8, v10
; %bb.823:                              ;   in Loop: Header=BB225_803 Depth=1
	v_ffbh_u32_e32 v8, v6
	v_min_u32_e32 v8, 32, v8
	v_subrev_nc_u32_e32 v10, 28, v8
	v_sub_nc_u32_e32 v8, 29, v8
	v_lshlrev_b64 v[20:21], v10, v[6:7]
	v_and_b32_e32 v6, 7, v20
; %bb.824:                              ;   in Loop: Header=BB225_803 Depth=1
	s_or_b32 exec_lo, exec_lo, s12
	v_mov_b32_e32 v10, 24
	v_lshlrev_b32_e32 v6, 20, v6
	v_lshl_add_u32 v8, v8, 23, 0x3c000000
	v_lshlrev_b32_sdwa v10, v10, v12 dst_sel:DWORD dst_unused:UNUSED_PAD src0_sel:DWORD src1_sel:WORD_1
	v_and_b32_e32 v10, 0x80000000, v10
	v_or3_b32 v6, v6, v10, v8
	v_mov_b32_e32 v21, v7
	v_mov_b32_e32 v20, v6
.LBB225_825:                            ;   in Loop: Header=BB225_803 Depth=1
	s_or_b32 exec_lo, exec_lo, s11
.LBB225_826:                            ;   in Loop: Header=BB225_803 Depth=1
	s_or_b32 exec_lo, exec_lo, s9
.LBB225_827:                            ;   in Loop: Header=BB225_803 Depth=1
	s_or_b32 exec_lo, exec_lo, s4
	s_mov_b32 s4, exec_lo
	v_cmpx_lt_u32_e32 0xffffff, v12
	s_cbranch_execz .LBB225_835
; %bb.828:                              ;   in Loop: Header=BB225_803 Depth=1
	v_mov_b32_e32 v8, v7
	v_mov_b32_e32 v23, v9
	v_cmp_ne_u32_sdwa s11, v12, v70 src0_sel:BYTE_3 src1_sel:DWORD
	v_mov_b32_e32 v22, v8
	s_and_saveexec_b32 s9, s11
	s_cbranch_execz .LBB225_834
; %bb.829:                              ;   in Loop: Header=BB225_803 Depth=1
	v_mov_b32_e32 v10, v7
	v_mov_b32_e32 v23, v11
	v_bfe_u32 v13, v12, 24, 7
	s_mov_b32 s11, exec_lo
	v_mov_b32_e32 v22, v10
	v_cmpx_ne_u32_e32 0x7f, v13
	s_cbranch_execz .LBB225_833
; %bb.830:                              ;   in Loop: Header=BB225_803 Depth=1
	v_mov_b32_e32 v6, 7
	v_lshrrev_b32_e32 v8, 3, v13
	s_mov_b32 s12, exec_lo
	v_and_b32_sdwa v6, v12, v6 dst_sel:DWORD dst_unused:UNUSED_PAD src0_sel:BYTE_3 src1_sel:DWORD
	v_cmpx_gt_u32_e32 8, v13
; %bb.831:                              ;   in Loop: Header=BB225_803 Depth=1
	v_ffbh_u32_e32 v8, v6
	v_min_u32_e32 v8, 32, v8
	v_subrev_nc_u32_e32 v10, 28, v8
	v_sub_nc_u32_e32 v8, 29, v8
	v_lshlrev_b64 v[22:23], v10, v[6:7]
	v_and_b32_e32 v6, 7, v22
; %bb.832:                              ;   in Loop: Header=BB225_803 Depth=1
	s_or_b32 exec_lo, exec_lo, s12
	v_mov_b32_e32 v10, 24
	v_lshlrev_b32_e32 v6, 20, v6
	v_lshl_add_u32 v8, v8, 23, 0x3c000000
	v_mov_b32_e32 v22, v7
	v_lshlrev_b32_sdwa v10, v10, v12 dst_sel:DWORD dst_unused:UNUSED_PAD src0_sel:DWORD src1_sel:BYTE_3
	v_and_b32_e32 v10, 0x80000000, v10
	v_or3_b32 v23, v6, v10, v8
.LBB225_833:                            ;   in Loop: Header=BB225_803 Depth=1
	s_or_b32 exec_lo, exec_lo, s11
.LBB225_834:                            ;   in Loop: Header=BB225_803 Depth=1
	s_or_b32 exec_lo, exec_lo, s9
.LBB225_835:                            ;   in Loop: Header=BB225_803 Depth=1
	s_or_b32 exec_lo, exec_lo, s4
	v_or_b32_e32 v6, v19, v17
	v_or_b32_e32 v8, v18, v16
	s_clause 0x1
	buffer_load_dword v16, off, s[0:3], s32 offset:208
	buffer_load_dword v17, off, s[0:3], s32 offset:212
	v_or_b32_e32 v10, v22, v20
	v_or_b32_e32 v12, v23, v21
	v_mul_f32_e32 v6, v85, v6
	v_add_nc_u32_e32 v102, -3, v83
	v_add_nc_u32_e32 v112, -2, v83
	v_add_nc_u32_e32 v103, -1, v83
	buffer_store_dword v6, off, s[0:3], s32 offset:204 ; 4-byte Folded Spill
	v_mul_f32_e32 v6, v68, v8
	buffer_store_dword v6, off, s[0:3], s32 offset:216 ; 4-byte Folded Spill
	v_mul_f32_e32 v6, v68, v10
	buffer_store_dword v6, off, s[0:3], s32 offset:200 ; 4-byte Folded Spill
	v_mul_f32_e32 v6, v85, v12
	buffer_store_dword v6, off, s[0:3], s32 offset:196 ; 4-byte Folded Spill
	s_waitcnt vmcnt(1)
	v_cmp_eq_u32_e32 vcc_lo, v46, v16
	s_and_saveexec_b32 s9, vcc_lo
	s_cbranch_execz .LBB225_837
; %bb.836:                              ;   in Loop: Header=BB225_803 Depth=1
	buffer_load_dword v6, off, s[0:3], s32 offset:216 ; 4-byte Folded Reload
	v_cmp_lt_i32_e64 s4, v102, v118
	s_waitcnt vmcnt(0)
	v_cndmask_b32_e64 v6, 0, v6, s4
	v_cmp_lt_i32_e64 s4, v112, v118
	buffer_store_dword v6, off, s[0:3], s32 offset:216 ; 4-byte Folded Spill
	buffer_load_dword v6, off, s[0:3], s32 offset:204 ; 4-byte Folded Reload
	s_waitcnt vmcnt(0)
	v_cndmask_b32_e64 v6, 0, v6, s4
	v_cmp_lt_i32_e64 s4, v103, v118
	buffer_store_dword v6, off, s[0:3], s32 offset:204 ; 4-byte Folded Spill
	buffer_load_dword v6, off, s[0:3], s32 offset:200 ; 4-byte Folded Reload
	s_waitcnt vmcnt(0)
	v_cndmask_b32_e64 v6, 0, v6, s4
	v_cmp_lt_i32_e64 s4, v83, v118
	buffer_store_dword v6, off, s[0:3], s32 offset:200 ; 4-byte Folded Spill
	buffer_load_dword v6, off, s[0:3], s32 offset:196 ; 4-byte Folded Reload
	s_waitcnt vmcnt(0)
	v_cndmask_b32_e64 v6, 0, v6, s4
	buffer_store_dword v6, off, s[0:3], s32 offset:196 ; 4-byte Folded Spill
.LBB225_837:                            ;   in Loop: Header=BB225_803 Depth=1
	s_or_b32 exec_lo, exec_lo, s9
	flat_load_dword v12, v[4:5] offset:128
	v_mov_b32_e32 v18, 0
	s_waitcnt vmcnt(1)
	v_mov_b32_e32 v16, 0
	v_mov_b32_e32 v19, 0
	;; [unrolled: 1-line block ×3, first 2 shown]
	s_waitcnt vmcnt(0) lgkmcnt(0)
	v_cmp_ne_u16_sdwa s4, v12, v7 src0_sel:BYTE_0 src1_sel:DWORD
	s_and_saveexec_b32 s9, s4
	s_cbranch_execz .LBB225_845
; %bb.838:                              ;   in Loop: Header=BB225_803 Depth=1
	v_bfrev_b32_e32 v16, 1
	v_mov_b32_e32 v17, 0
	v_cmp_ne_u16_sdwa s4, v12, v70 src0_sel:BYTE_0 src1_sel:DWORD
	s_and_saveexec_b32 s11, s4
	s_cbranch_execz .LBB225_844
; %bb.839:                              ;   in Loop: Header=BB225_803 Depth=1
	v_mov_b32_e32 v16, 0x7f800001
	v_and_b32_e32 v10, 0x7f, v12
	v_mov_b32_e32 v17, 0
	s_mov_b32 s12, exec_lo
	v_cmpx_ne_u32_e32 0x7f, v10
	s_cbranch_execz .LBB225_843
; %bb.840:                              ;   in Loop: Header=BB225_803 Depth=1
	v_and_b32_e32 v6, 7, v12
	v_lshrrev_b32_e32 v8, 3, v10
	s_mov_b32 s13, exec_lo
	v_cmpx_gt_u32_e32 8, v10
; %bb.841:                              ;   in Loop: Header=BB225_803 Depth=1
	v_ffbh_u32_e32 v8, v6
	v_min_u32_e32 v8, 32, v8
	v_subrev_nc_u32_e32 v10, 28, v8
	v_sub_nc_u32_e32 v8, 29, v8
	v_lshlrev_b64 v[16:17], v10, v[6:7]
	v_and_b32_e32 v6, 7, v16
; %bb.842:                              ;   in Loop: Header=BB225_803 Depth=1
	s_or_b32 exec_lo, exec_lo, s13
	v_lshlrev_b32_e32 v10, 24, v12
	v_lshlrev_b32_e32 v6, 20, v6
	v_lshl_add_u32 v8, v8, 23, 0x3c000000
	v_and_b32_e32 v10, 0x80000000, v10
	v_or3_b32 v6, v6, v10, v8
	v_mov_b32_e32 v17, v7
	v_mov_b32_e32 v16, v6
.LBB225_843:                            ;   in Loop: Header=BB225_803 Depth=1
	s_or_b32 exec_lo, exec_lo, s12
.LBB225_844:                            ;   in Loop: Header=BB225_803 Depth=1
	s_or_b32 exec_lo, exec_lo, s11
.LBB225_845:                            ;   in Loop: Header=BB225_803 Depth=1
	s_or_b32 exec_lo, exec_lo, s9
	v_cmp_ne_u16_sdwa s4, v12, v7 src0_sel:BYTE_1 src1_sel:DWORD
	s_and_saveexec_b32 s9, s4
	s_cbranch_execz .LBB225_853
; %bb.846:                              ;   in Loop: Header=BB225_803 Depth=1
	v_mov_b32_e32 v8, v7
	v_mov_b32_e32 v19, v9
	v_cmp_ne_u16_sdwa s4, v12, v70 src0_sel:BYTE_1 src1_sel:DWORD
	v_mov_b32_e32 v18, v8
	s_and_saveexec_b32 s11, s4
	s_cbranch_execz .LBB225_852
; %bb.847:                              ;   in Loop: Header=BB225_803 Depth=1
	v_mov_b32_e32 v6, 0xffff
	v_mov_b32_e32 v10, v7
	;; [unrolled: 1-line block ×3, first 2 shown]
	s_mov_b32 s12, exec_lo
	v_and_b32_sdwa v6, v6, v12 dst_sel:DWORD dst_unused:UNUSED_PAD src0_sel:DWORD src1_sel:BYTE_1
	v_mov_b32_e32 v18, v10
	v_and_b32_e32 v13, 0x7f, v6
	v_cmpx_ne_u32_e32 0x7f, v13
	s_cbranch_execz .LBB225_851
; %bb.848:                              ;   in Loop: Header=BB225_803 Depth=1
	v_and_b32_e32 v6, 7, v6
	v_lshrrev_b32_e32 v8, 3, v13
	s_mov_b32 s13, exec_lo
	v_cmpx_gt_u32_e32 8, v13
; %bb.849:                              ;   in Loop: Header=BB225_803 Depth=1
	v_ffbh_u32_e32 v8, v6
	v_min_u32_e32 v8, 32, v8
	v_subrev_nc_u32_e32 v10, 28, v8
	v_sub_nc_u32_e32 v8, 29, v8
	v_lshlrev_b64 v[18:19], v10, v[6:7]
	v_and_b32_e32 v6, 7, v18
; %bb.850:                              ;   in Loop: Header=BB225_803 Depth=1
	s_or_b32 exec_lo, exec_lo, s13
	v_lshlrev_b32_e32 v10, 16, v12
	v_lshlrev_b32_e32 v6, 20, v6
	v_lshl_add_u32 v8, v8, 23, 0x3c000000
	v_mov_b32_e32 v18, v7
	v_and_b32_e32 v10, 0x80000000, v10
	v_or3_b32 v19, v6, v10, v8
.LBB225_851:                            ;   in Loop: Header=BB225_803 Depth=1
	s_or_b32 exec_lo, exec_lo, s12
.LBB225_852:                            ;   in Loop: Header=BB225_803 Depth=1
	s_or_b32 exec_lo, exec_lo, s11
.LBB225_853:                            ;   in Loop: Header=BB225_803 Depth=1
	s_or_b32 exec_lo, exec_lo, s9
	v_mov_b32_e32 v22, 0
	v_mov_b32_e32 v20, 0
	v_and_b32_sdwa v6, v12, v80 dst_sel:DWORD dst_unused:UNUSED_PAD src0_sel:WORD_1 src1_sel:DWORD
	v_mov_b32_e32 v23, 0
	v_mov_b32_e32 v21, 0
	s_mov_b32 s9, exec_lo
	v_cmpx_ne_u16_e32 0, v6
	s_cbranch_execz .LBB225_861
; %bb.854:                              ;   in Loop: Header=BB225_803 Depth=1
	v_bfrev_b32_e32 v20, 1
	v_mov_b32_e32 v21, 0
	s_mov_b32 s11, exec_lo
	v_cmpx_ne_u16_e32 0x80, v6
	s_cbranch_execz .LBB225_860
; %bb.855:                              ;   in Loop: Header=BB225_803 Depth=1
	v_mov_b32_e32 v20, 0x7f800001
	v_bfe_u32 v10, v12, 16, 7
	v_mov_b32_e32 v21, 0
	s_mov_b32 s12, exec_lo
	v_cmpx_ne_u32_e32 0x7f, v10
	s_cbranch_execz .LBB225_859
; %bb.856:                              ;   in Loop: Header=BB225_803 Depth=1
	v_mov_b32_e32 v6, 7
	v_lshrrev_b32_e32 v8, 3, v10
	s_mov_b32 s13, exec_lo
	v_and_b32_sdwa v6, v12, v6 dst_sel:DWORD dst_unused:UNUSED_PAD src0_sel:WORD_1 src1_sel:DWORD
	v_cmpx_gt_u32_e32 8, v10
; %bb.857:                              ;   in Loop: Header=BB225_803 Depth=1
	v_ffbh_u32_e32 v8, v6
	v_min_u32_e32 v8, 32, v8
	v_subrev_nc_u32_e32 v10, 28, v8
	v_sub_nc_u32_e32 v8, 29, v8
	v_lshlrev_b64 v[20:21], v10, v[6:7]
	v_and_b32_e32 v6, 7, v20
; %bb.858:                              ;   in Loop: Header=BB225_803 Depth=1
	s_or_b32 exec_lo, exec_lo, s13
	v_mov_b32_e32 v10, 24
	v_lshlrev_b32_e32 v6, 20, v6
	v_lshl_add_u32 v8, v8, 23, 0x3c000000
	v_lshlrev_b32_sdwa v10, v10, v12 dst_sel:DWORD dst_unused:UNUSED_PAD src0_sel:DWORD src1_sel:WORD_1
	v_and_b32_e32 v10, 0x80000000, v10
	v_or3_b32 v6, v6, v10, v8
	v_mov_b32_e32 v21, v7
	v_mov_b32_e32 v20, v6
.LBB225_859:                            ;   in Loop: Header=BB225_803 Depth=1
	s_or_b32 exec_lo, exec_lo, s12
.LBB225_860:                            ;   in Loop: Header=BB225_803 Depth=1
	s_or_b32 exec_lo, exec_lo, s11
.LBB225_861:                            ;   in Loop: Header=BB225_803 Depth=1
	s_or_b32 exec_lo, exec_lo, s9
	s_mov_b32 s9, exec_lo
	v_cmpx_lt_u32_e32 0xffffff, v12
	s_cbranch_execz .LBB225_869
; %bb.862:                              ;   in Loop: Header=BB225_803 Depth=1
	v_mov_b32_e32 v8, v7
	v_mov_b32_e32 v23, v9
	v_cmp_ne_u32_sdwa s4, v12, v70 src0_sel:BYTE_3 src1_sel:DWORD
	v_mov_b32_e32 v22, v8
	s_and_saveexec_b32 s11, s4
	s_cbranch_execz .LBB225_868
; %bb.863:                              ;   in Loop: Header=BB225_803 Depth=1
	v_mov_b32_e32 v10, v7
	v_mov_b32_e32 v23, v11
	v_bfe_u32 v13, v12, 24, 7
	s_mov_b32 s12, exec_lo
	v_mov_b32_e32 v22, v10
	v_cmpx_ne_u32_e32 0x7f, v13
	s_cbranch_execz .LBB225_867
; %bb.864:                              ;   in Loop: Header=BB225_803 Depth=1
	v_mov_b32_e32 v6, 7
	v_lshrrev_b32_e32 v8, 3, v13
	s_mov_b32 s13, exec_lo
	v_and_b32_sdwa v6, v12, v6 dst_sel:DWORD dst_unused:UNUSED_PAD src0_sel:BYTE_3 src1_sel:DWORD
	v_cmpx_gt_u32_e32 8, v13
; %bb.865:                              ;   in Loop: Header=BB225_803 Depth=1
	v_ffbh_u32_e32 v8, v6
	v_min_u32_e32 v8, 32, v8
	v_subrev_nc_u32_e32 v10, 28, v8
	v_sub_nc_u32_e32 v8, 29, v8
	v_lshlrev_b64 v[22:23], v10, v[6:7]
	v_and_b32_e32 v6, 7, v22
; %bb.866:                              ;   in Loop: Header=BB225_803 Depth=1
	s_or_b32 exec_lo, exec_lo, s13
	v_mov_b32_e32 v10, 24
	v_lshlrev_b32_e32 v6, 20, v6
	v_lshl_add_u32 v8, v8, 23, 0x3c000000
	v_mov_b32_e32 v22, v7
	v_lshlrev_b32_sdwa v10, v10, v12 dst_sel:DWORD dst_unused:UNUSED_PAD src0_sel:DWORD src1_sel:BYTE_3
	v_and_b32_e32 v10, 0x80000000, v10
	v_or3_b32 v23, v6, v10, v8
.LBB225_867:                            ;   in Loop: Header=BB225_803 Depth=1
	s_or_b32 exec_lo, exec_lo, s12
.LBB225_868:                            ;   in Loop: Header=BB225_803 Depth=1
	s_or_b32 exec_lo, exec_lo, s11
.LBB225_869:                            ;   in Loop: Header=BB225_803 Depth=1
	s_or_b32 exec_lo, exec_lo, s9
	v_or_b32_e32 v6, v19, v17
	v_or_b32_e32 v8, v18, v16
	;; [unrolled: 1-line block ×4, first 2 shown]
	v_mul_f32_e32 v6, v85, v6
	buffer_store_dword v6, off, s[0:3], s32 offset:240 ; 4-byte Folded Spill
	v_mul_f32_e32 v6, v68, v8
	buffer_store_dword v6, off, s[0:3], s32 offset:248 ; 4-byte Folded Spill
	;; [unrolled: 2-line block ×4, first 2 shown]
	s_and_saveexec_b32 s9, vcc_lo
	s_cbranch_execz .LBB225_871
; %bb.870:                              ;   in Loop: Header=BB225_803 Depth=1
	buffer_load_dword v6, off, s[0:3], s32 offset:248 ; 4-byte Folded Reload
	v_cmp_lt_i32_e64 s4, v102, v118
	s_waitcnt vmcnt(0)
	v_cndmask_b32_e64 v6, 0, v6, s4
	v_cmp_lt_i32_e64 s4, v112, v118
	buffer_store_dword v6, off, s[0:3], s32 offset:248 ; 4-byte Folded Spill
	buffer_load_dword v6, off, s[0:3], s32 offset:240 ; 4-byte Folded Reload
	s_waitcnt vmcnt(0)
	v_cndmask_b32_e64 v6, 0, v6, s4
	v_cmp_lt_i32_e64 s4, v103, v118
	buffer_store_dword v6, off, s[0:3], s32 offset:240 ; 4-byte Folded Spill
	buffer_load_dword v6, off, s[0:3], s32 offset:232 ; 4-byte Folded Reload
	;; [unrolled: 5-line block ×3, first 2 shown]
	s_waitcnt vmcnt(0)
	v_cndmask_b32_e64 v6, 0, v6, s4
	buffer_store_dword v6, off, s[0:3], s32 offset:224 ; 4-byte Folded Spill
.LBB225_871:                            ;   in Loop: Header=BB225_803 Depth=1
	s_or_b32 exec_lo, exec_lo, s9
	flat_load_dword v12, v[4:5] offset:256
	v_mov_b32_e32 v18, 0
	v_mov_b32_e32 v16, 0
	;; [unrolled: 1-line block ×4, first 2 shown]
	s_waitcnt vmcnt(0) lgkmcnt(0)
	v_cmp_ne_u16_sdwa s4, v12, v7 src0_sel:BYTE_0 src1_sel:DWORD
	s_and_saveexec_b32 s9, s4
	s_cbranch_execz .LBB225_879
; %bb.872:                              ;   in Loop: Header=BB225_803 Depth=1
	v_bfrev_b32_e32 v16, 1
	v_mov_b32_e32 v17, 0
	v_cmp_ne_u16_sdwa s4, v12, v70 src0_sel:BYTE_0 src1_sel:DWORD
	s_and_saveexec_b32 s11, s4
	s_cbranch_execz .LBB225_878
; %bb.873:                              ;   in Loop: Header=BB225_803 Depth=1
	v_mov_b32_e32 v16, 0x7f800001
	v_and_b32_e32 v10, 0x7f, v12
	v_mov_b32_e32 v17, 0
	s_mov_b32 s12, exec_lo
	v_cmpx_ne_u32_e32 0x7f, v10
	s_cbranch_execz .LBB225_877
; %bb.874:                              ;   in Loop: Header=BB225_803 Depth=1
	v_and_b32_e32 v6, 7, v12
	v_lshrrev_b32_e32 v8, 3, v10
	s_mov_b32 s13, exec_lo
	v_cmpx_gt_u32_e32 8, v10
; %bb.875:                              ;   in Loop: Header=BB225_803 Depth=1
	v_ffbh_u32_e32 v8, v6
	v_min_u32_e32 v8, 32, v8
	v_subrev_nc_u32_e32 v10, 28, v8
	v_sub_nc_u32_e32 v8, 29, v8
	v_lshlrev_b64 v[16:17], v10, v[6:7]
	v_and_b32_e32 v6, 7, v16
; %bb.876:                              ;   in Loop: Header=BB225_803 Depth=1
	s_or_b32 exec_lo, exec_lo, s13
	v_lshlrev_b32_e32 v10, 24, v12
	v_lshlrev_b32_e32 v6, 20, v6
	v_lshl_add_u32 v8, v8, 23, 0x3c000000
	v_and_b32_e32 v10, 0x80000000, v10
	v_or3_b32 v6, v6, v10, v8
	v_mov_b32_e32 v17, v7
	v_mov_b32_e32 v16, v6
.LBB225_877:                            ;   in Loop: Header=BB225_803 Depth=1
	s_or_b32 exec_lo, exec_lo, s12
.LBB225_878:                            ;   in Loop: Header=BB225_803 Depth=1
	s_or_b32 exec_lo, exec_lo, s11
.LBB225_879:                            ;   in Loop: Header=BB225_803 Depth=1
	s_or_b32 exec_lo, exec_lo, s9
	v_cmp_ne_u16_sdwa s4, v12, v7 src0_sel:BYTE_1 src1_sel:DWORD
	s_and_saveexec_b32 s9, s4
	s_cbranch_execz .LBB225_887
; %bb.880:                              ;   in Loop: Header=BB225_803 Depth=1
	v_mov_b32_e32 v8, v7
	v_mov_b32_e32 v19, v9
	v_cmp_ne_u16_sdwa s4, v12, v70 src0_sel:BYTE_1 src1_sel:DWORD
	v_mov_b32_e32 v18, v8
	s_and_saveexec_b32 s11, s4
	s_cbranch_execz .LBB225_886
; %bb.881:                              ;   in Loop: Header=BB225_803 Depth=1
	v_mov_b32_e32 v6, 0xffff
	v_mov_b32_e32 v10, v7
	;; [unrolled: 1-line block ×3, first 2 shown]
	s_mov_b32 s12, exec_lo
	v_and_b32_sdwa v6, v6, v12 dst_sel:DWORD dst_unused:UNUSED_PAD src0_sel:DWORD src1_sel:BYTE_1
	v_mov_b32_e32 v18, v10
	v_and_b32_e32 v13, 0x7f, v6
	v_cmpx_ne_u32_e32 0x7f, v13
	s_cbranch_execz .LBB225_885
; %bb.882:                              ;   in Loop: Header=BB225_803 Depth=1
	v_and_b32_e32 v6, 7, v6
	v_lshrrev_b32_e32 v8, 3, v13
	s_mov_b32 s13, exec_lo
	v_cmpx_gt_u32_e32 8, v13
; %bb.883:                              ;   in Loop: Header=BB225_803 Depth=1
	v_ffbh_u32_e32 v8, v6
	v_min_u32_e32 v8, 32, v8
	v_subrev_nc_u32_e32 v10, 28, v8
	v_sub_nc_u32_e32 v8, 29, v8
	v_lshlrev_b64 v[18:19], v10, v[6:7]
	v_and_b32_e32 v6, 7, v18
; %bb.884:                              ;   in Loop: Header=BB225_803 Depth=1
	s_or_b32 exec_lo, exec_lo, s13
	v_lshlrev_b32_e32 v10, 16, v12
	v_lshlrev_b32_e32 v6, 20, v6
	v_lshl_add_u32 v8, v8, 23, 0x3c000000
	v_mov_b32_e32 v18, v7
	v_and_b32_e32 v10, 0x80000000, v10
	v_or3_b32 v19, v6, v10, v8
.LBB225_885:                            ;   in Loop: Header=BB225_803 Depth=1
	s_or_b32 exec_lo, exec_lo, s12
.LBB225_886:                            ;   in Loop: Header=BB225_803 Depth=1
	s_or_b32 exec_lo, exec_lo, s11
.LBB225_887:                            ;   in Loop: Header=BB225_803 Depth=1
	s_or_b32 exec_lo, exec_lo, s9
	v_mov_b32_e32 v22, 0
	v_mov_b32_e32 v20, 0
	v_and_b32_sdwa v6, v12, v80 dst_sel:DWORD dst_unused:UNUSED_PAD src0_sel:WORD_1 src1_sel:DWORD
	v_mov_b32_e32 v23, 0
	v_mov_b32_e32 v21, 0
	s_mov_b32 s9, exec_lo
	v_cmpx_ne_u16_e32 0, v6
	s_cbranch_execz .LBB225_895
; %bb.888:                              ;   in Loop: Header=BB225_803 Depth=1
	v_bfrev_b32_e32 v20, 1
	v_mov_b32_e32 v21, 0
	s_mov_b32 s11, exec_lo
	v_cmpx_ne_u16_e32 0x80, v6
	s_cbranch_execz .LBB225_894
; %bb.889:                              ;   in Loop: Header=BB225_803 Depth=1
	v_mov_b32_e32 v20, 0x7f800001
	v_bfe_u32 v10, v12, 16, 7
	v_mov_b32_e32 v21, 0
	s_mov_b32 s12, exec_lo
	v_cmpx_ne_u32_e32 0x7f, v10
	s_cbranch_execz .LBB225_893
; %bb.890:                              ;   in Loop: Header=BB225_803 Depth=1
	v_mov_b32_e32 v6, 7
	v_lshrrev_b32_e32 v8, 3, v10
	s_mov_b32 s13, exec_lo
	v_and_b32_sdwa v6, v12, v6 dst_sel:DWORD dst_unused:UNUSED_PAD src0_sel:WORD_1 src1_sel:DWORD
	v_cmpx_gt_u32_e32 8, v10
; %bb.891:                              ;   in Loop: Header=BB225_803 Depth=1
	v_ffbh_u32_e32 v8, v6
	v_min_u32_e32 v8, 32, v8
	v_subrev_nc_u32_e32 v10, 28, v8
	v_sub_nc_u32_e32 v8, 29, v8
	v_lshlrev_b64 v[20:21], v10, v[6:7]
	v_and_b32_e32 v6, 7, v20
; %bb.892:                              ;   in Loop: Header=BB225_803 Depth=1
	s_or_b32 exec_lo, exec_lo, s13
	v_mov_b32_e32 v10, 24
	v_lshlrev_b32_e32 v6, 20, v6
	v_lshl_add_u32 v8, v8, 23, 0x3c000000
	v_lshlrev_b32_sdwa v10, v10, v12 dst_sel:DWORD dst_unused:UNUSED_PAD src0_sel:DWORD src1_sel:WORD_1
	v_and_b32_e32 v10, 0x80000000, v10
	v_or3_b32 v6, v6, v10, v8
	v_mov_b32_e32 v21, v7
	v_mov_b32_e32 v20, v6
.LBB225_893:                            ;   in Loop: Header=BB225_803 Depth=1
	s_or_b32 exec_lo, exec_lo, s12
.LBB225_894:                            ;   in Loop: Header=BB225_803 Depth=1
	s_or_b32 exec_lo, exec_lo, s11
.LBB225_895:                            ;   in Loop: Header=BB225_803 Depth=1
	s_or_b32 exec_lo, exec_lo, s9
	s_mov_b32 s9, exec_lo
	v_cmpx_lt_u32_e32 0xffffff, v12
	s_cbranch_execz .LBB225_903
; %bb.896:                              ;   in Loop: Header=BB225_803 Depth=1
	v_mov_b32_e32 v8, v7
	v_mov_b32_e32 v23, v9
	v_cmp_ne_u32_sdwa s4, v12, v70 src0_sel:BYTE_3 src1_sel:DWORD
	v_mov_b32_e32 v22, v8
	s_and_saveexec_b32 s11, s4
	s_cbranch_execz .LBB225_902
; %bb.897:                              ;   in Loop: Header=BB225_803 Depth=1
	v_mov_b32_e32 v10, v7
	v_mov_b32_e32 v23, v11
	v_bfe_u32 v13, v12, 24, 7
	s_mov_b32 s12, exec_lo
	v_mov_b32_e32 v22, v10
	v_cmpx_ne_u32_e32 0x7f, v13
	s_cbranch_execz .LBB225_901
; %bb.898:                              ;   in Loop: Header=BB225_803 Depth=1
	v_mov_b32_e32 v6, 7
	v_lshrrev_b32_e32 v8, 3, v13
	s_mov_b32 s13, exec_lo
	v_and_b32_sdwa v6, v12, v6 dst_sel:DWORD dst_unused:UNUSED_PAD src0_sel:BYTE_3 src1_sel:DWORD
	v_cmpx_gt_u32_e32 8, v13
; %bb.899:                              ;   in Loop: Header=BB225_803 Depth=1
	v_ffbh_u32_e32 v8, v6
	v_min_u32_e32 v8, 32, v8
	v_subrev_nc_u32_e32 v10, 28, v8
	v_sub_nc_u32_e32 v8, 29, v8
	v_lshlrev_b64 v[22:23], v10, v[6:7]
	v_and_b32_e32 v6, 7, v22
; %bb.900:                              ;   in Loop: Header=BB225_803 Depth=1
	s_or_b32 exec_lo, exec_lo, s13
	v_mov_b32_e32 v10, 24
	v_lshlrev_b32_e32 v6, 20, v6
	v_lshl_add_u32 v8, v8, 23, 0x3c000000
	v_mov_b32_e32 v22, v7
	v_lshlrev_b32_sdwa v10, v10, v12 dst_sel:DWORD dst_unused:UNUSED_PAD src0_sel:DWORD src1_sel:BYTE_3
	v_and_b32_e32 v10, 0x80000000, v10
	v_or3_b32 v23, v6, v10, v8
.LBB225_901:                            ;   in Loop: Header=BB225_803 Depth=1
	s_or_b32 exec_lo, exec_lo, s12
.LBB225_902:                            ;   in Loop: Header=BB225_803 Depth=1
	s_or_b32 exec_lo, exec_lo, s11
.LBB225_903:                            ;   in Loop: Header=BB225_803 Depth=1
	s_or_b32 exec_lo, exec_lo, s9
	v_or_b32_e32 v6, v19, v17
	v_or_b32_e32 v8, v18, v16
	;; [unrolled: 1-line block ×4, first 2 shown]
	v_mul_f32_e32 v6, v85, v6
	buffer_store_dword v6, off, s[0:3], s32 offset:272 ; 4-byte Folded Spill
	v_mul_f32_e32 v6, v68, v8
	buffer_store_dword v6, off, s[0:3], s32 offset:280 ; 4-byte Folded Spill
	;; [unrolled: 2-line block ×4, first 2 shown]
	s_and_saveexec_b32 s9, vcc_lo
	s_cbranch_execz .LBB225_905
; %bb.904:                              ;   in Loop: Header=BB225_803 Depth=1
	buffer_load_dword v6, off, s[0:3], s32 offset:280 ; 4-byte Folded Reload
	v_cmp_lt_i32_e64 s4, v102, v118
	s_waitcnt vmcnt(0)
	v_cndmask_b32_e64 v6, 0, v6, s4
	v_cmp_lt_i32_e64 s4, v112, v118
	buffer_store_dword v6, off, s[0:3], s32 offset:280 ; 4-byte Folded Spill
	buffer_load_dword v6, off, s[0:3], s32 offset:272 ; 4-byte Folded Reload
	s_waitcnt vmcnt(0)
	v_cndmask_b32_e64 v6, 0, v6, s4
	v_cmp_lt_i32_e64 s4, v103, v118
	buffer_store_dword v6, off, s[0:3], s32 offset:272 ; 4-byte Folded Spill
	buffer_load_dword v6, off, s[0:3], s32 offset:264 ; 4-byte Folded Reload
	;; [unrolled: 5-line block ×3, first 2 shown]
	s_waitcnt vmcnt(0)
	v_cndmask_b32_e64 v6, 0, v6, s4
	buffer_store_dword v6, off, s[0:3], s32 offset:256 ; 4-byte Folded Spill
.LBB225_905:                            ;   in Loop: Header=BB225_803 Depth=1
	s_or_b32 exec_lo, exec_lo, s9
	flat_load_dword v12, v[4:5] offset:384
	v_mov_b32_e32 v18, 0
	v_mov_b32_e32 v16, 0
	v_mov_b32_e32 v19, 0
	v_mov_b32_e32 v17, 0
	s_waitcnt vmcnt(0) lgkmcnt(0)
	v_cmp_ne_u16_sdwa s4, v12, v7 src0_sel:BYTE_0 src1_sel:DWORD
	s_and_saveexec_b32 s9, s4
	s_cbranch_execz .LBB225_913
; %bb.906:                              ;   in Loop: Header=BB225_803 Depth=1
	v_bfrev_b32_e32 v16, 1
	v_mov_b32_e32 v17, 0
	v_cmp_ne_u16_sdwa s4, v12, v70 src0_sel:BYTE_0 src1_sel:DWORD
	s_and_saveexec_b32 s11, s4
	s_cbranch_execz .LBB225_912
; %bb.907:                              ;   in Loop: Header=BB225_803 Depth=1
	v_mov_b32_e32 v16, 0x7f800001
	v_and_b32_e32 v10, 0x7f, v12
	v_mov_b32_e32 v17, 0
	s_mov_b32 s12, exec_lo
	v_cmpx_ne_u32_e32 0x7f, v10
	s_cbranch_execz .LBB225_911
; %bb.908:                              ;   in Loop: Header=BB225_803 Depth=1
	v_and_b32_e32 v6, 7, v12
	v_lshrrev_b32_e32 v8, 3, v10
	s_mov_b32 s13, exec_lo
	v_cmpx_gt_u32_e32 8, v10
; %bb.909:                              ;   in Loop: Header=BB225_803 Depth=1
	v_ffbh_u32_e32 v8, v6
	v_min_u32_e32 v8, 32, v8
	v_subrev_nc_u32_e32 v10, 28, v8
	v_sub_nc_u32_e32 v8, 29, v8
	v_lshlrev_b64 v[16:17], v10, v[6:7]
	v_and_b32_e32 v6, 7, v16
; %bb.910:                              ;   in Loop: Header=BB225_803 Depth=1
	s_or_b32 exec_lo, exec_lo, s13
	v_lshlrev_b32_e32 v10, 24, v12
	v_lshlrev_b32_e32 v6, 20, v6
	v_lshl_add_u32 v8, v8, 23, 0x3c000000
	v_and_b32_e32 v10, 0x80000000, v10
	v_or3_b32 v6, v6, v10, v8
	v_mov_b32_e32 v17, v7
	v_mov_b32_e32 v16, v6
.LBB225_911:                            ;   in Loop: Header=BB225_803 Depth=1
	s_or_b32 exec_lo, exec_lo, s12
.LBB225_912:                            ;   in Loop: Header=BB225_803 Depth=1
	s_or_b32 exec_lo, exec_lo, s11
.LBB225_913:                            ;   in Loop: Header=BB225_803 Depth=1
	s_or_b32 exec_lo, exec_lo, s9
	v_cmp_ne_u16_sdwa s4, v12, v7 src0_sel:BYTE_1 src1_sel:DWORD
	s_and_saveexec_b32 s9, s4
	s_cbranch_execz .LBB225_921
; %bb.914:                              ;   in Loop: Header=BB225_803 Depth=1
	v_mov_b32_e32 v8, v7
	v_mov_b32_e32 v19, v9
	v_cmp_ne_u16_sdwa s4, v12, v70 src0_sel:BYTE_1 src1_sel:DWORD
	v_mov_b32_e32 v18, v8
	s_and_saveexec_b32 s11, s4
	s_cbranch_execz .LBB225_920
; %bb.915:                              ;   in Loop: Header=BB225_803 Depth=1
	v_mov_b32_e32 v6, 0xffff
	v_mov_b32_e32 v10, v7
	;; [unrolled: 1-line block ×3, first 2 shown]
	s_mov_b32 s12, exec_lo
	v_and_b32_sdwa v6, v6, v12 dst_sel:DWORD dst_unused:UNUSED_PAD src0_sel:DWORD src1_sel:BYTE_1
	v_mov_b32_e32 v18, v10
	v_and_b32_e32 v13, 0x7f, v6
	v_cmpx_ne_u32_e32 0x7f, v13
	s_cbranch_execz .LBB225_919
; %bb.916:                              ;   in Loop: Header=BB225_803 Depth=1
	v_and_b32_e32 v6, 7, v6
	v_lshrrev_b32_e32 v8, 3, v13
	s_mov_b32 s13, exec_lo
	v_cmpx_gt_u32_e32 8, v13
; %bb.917:                              ;   in Loop: Header=BB225_803 Depth=1
	v_ffbh_u32_e32 v8, v6
	v_min_u32_e32 v8, 32, v8
	v_subrev_nc_u32_e32 v10, 28, v8
	v_sub_nc_u32_e32 v8, 29, v8
	v_lshlrev_b64 v[18:19], v10, v[6:7]
	v_and_b32_e32 v6, 7, v18
; %bb.918:                              ;   in Loop: Header=BB225_803 Depth=1
	s_or_b32 exec_lo, exec_lo, s13
	v_lshlrev_b32_e32 v10, 16, v12
	v_lshlrev_b32_e32 v6, 20, v6
	v_lshl_add_u32 v8, v8, 23, 0x3c000000
	v_mov_b32_e32 v18, v7
	v_and_b32_e32 v10, 0x80000000, v10
	v_or3_b32 v19, v6, v10, v8
.LBB225_919:                            ;   in Loop: Header=BB225_803 Depth=1
	s_or_b32 exec_lo, exec_lo, s12
.LBB225_920:                            ;   in Loop: Header=BB225_803 Depth=1
	s_or_b32 exec_lo, exec_lo, s11
.LBB225_921:                            ;   in Loop: Header=BB225_803 Depth=1
	s_or_b32 exec_lo, exec_lo, s9
	v_mov_b32_e32 v22, 0
	v_mov_b32_e32 v20, 0
	v_and_b32_sdwa v6, v12, v80 dst_sel:DWORD dst_unused:UNUSED_PAD src0_sel:WORD_1 src1_sel:DWORD
	v_mov_b32_e32 v23, 0
	v_mov_b32_e32 v21, 0
	s_mov_b32 s9, exec_lo
	v_cmpx_ne_u16_e32 0, v6
	s_cbranch_execz .LBB225_929
; %bb.922:                              ;   in Loop: Header=BB225_803 Depth=1
	v_bfrev_b32_e32 v20, 1
	v_mov_b32_e32 v21, 0
	s_mov_b32 s11, exec_lo
	v_cmpx_ne_u16_e32 0x80, v6
	s_cbranch_execz .LBB225_928
; %bb.923:                              ;   in Loop: Header=BB225_803 Depth=1
	v_mov_b32_e32 v20, 0x7f800001
	v_bfe_u32 v10, v12, 16, 7
	v_mov_b32_e32 v21, 0
	s_mov_b32 s12, exec_lo
	v_cmpx_ne_u32_e32 0x7f, v10
	s_cbranch_execz .LBB225_927
; %bb.924:                              ;   in Loop: Header=BB225_803 Depth=1
	v_mov_b32_e32 v6, 7
	v_lshrrev_b32_e32 v8, 3, v10
	s_mov_b32 s13, exec_lo
	v_and_b32_sdwa v6, v12, v6 dst_sel:DWORD dst_unused:UNUSED_PAD src0_sel:WORD_1 src1_sel:DWORD
	v_cmpx_gt_u32_e32 8, v10
; %bb.925:                              ;   in Loop: Header=BB225_803 Depth=1
	v_ffbh_u32_e32 v8, v6
	v_min_u32_e32 v8, 32, v8
	v_subrev_nc_u32_e32 v10, 28, v8
	v_sub_nc_u32_e32 v8, 29, v8
	v_lshlrev_b64 v[20:21], v10, v[6:7]
	v_and_b32_e32 v6, 7, v20
; %bb.926:                              ;   in Loop: Header=BB225_803 Depth=1
	s_or_b32 exec_lo, exec_lo, s13
	v_mov_b32_e32 v10, 24
	v_lshlrev_b32_e32 v6, 20, v6
	v_lshl_add_u32 v8, v8, 23, 0x3c000000
	v_lshlrev_b32_sdwa v10, v10, v12 dst_sel:DWORD dst_unused:UNUSED_PAD src0_sel:DWORD src1_sel:WORD_1
	v_and_b32_e32 v10, 0x80000000, v10
	v_or3_b32 v6, v6, v10, v8
	v_mov_b32_e32 v21, v7
	v_mov_b32_e32 v20, v6
.LBB225_927:                            ;   in Loop: Header=BB225_803 Depth=1
	s_or_b32 exec_lo, exec_lo, s12
.LBB225_928:                            ;   in Loop: Header=BB225_803 Depth=1
	s_or_b32 exec_lo, exec_lo, s11
.LBB225_929:                            ;   in Loop: Header=BB225_803 Depth=1
	s_or_b32 exec_lo, exec_lo, s9
	s_mov_b32 s9, exec_lo
	v_cmpx_lt_u32_e32 0xffffff, v12
	s_cbranch_execz .LBB225_937
; %bb.930:                              ;   in Loop: Header=BB225_803 Depth=1
	v_mov_b32_e32 v8, v7
	v_mov_b32_e32 v23, v9
	v_cmp_ne_u32_sdwa s4, v12, v70 src0_sel:BYTE_3 src1_sel:DWORD
	v_mov_b32_e32 v22, v8
	s_and_saveexec_b32 s11, s4
	s_cbranch_execz .LBB225_936
; %bb.931:                              ;   in Loop: Header=BB225_803 Depth=1
	v_mov_b32_e32 v10, v7
	v_mov_b32_e32 v23, v11
	v_bfe_u32 v13, v12, 24, 7
	s_mov_b32 s12, exec_lo
	v_mov_b32_e32 v22, v10
	v_cmpx_ne_u32_e32 0x7f, v13
	s_cbranch_execz .LBB225_935
; %bb.932:                              ;   in Loop: Header=BB225_803 Depth=1
	v_mov_b32_e32 v6, 7
	v_lshrrev_b32_e32 v8, 3, v13
	s_mov_b32 s13, exec_lo
	v_and_b32_sdwa v6, v12, v6 dst_sel:DWORD dst_unused:UNUSED_PAD src0_sel:BYTE_3 src1_sel:DWORD
	v_cmpx_gt_u32_e32 8, v13
; %bb.933:                              ;   in Loop: Header=BB225_803 Depth=1
	v_ffbh_u32_e32 v8, v6
	v_min_u32_e32 v8, 32, v8
	v_subrev_nc_u32_e32 v10, 28, v8
	v_sub_nc_u32_e32 v8, 29, v8
	v_lshlrev_b64 v[22:23], v10, v[6:7]
	v_and_b32_e32 v6, 7, v22
; %bb.934:                              ;   in Loop: Header=BB225_803 Depth=1
	s_or_b32 exec_lo, exec_lo, s13
	v_mov_b32_e32 v10, 24
	v_lshlrev_b32_e32 v6, 20, v6
	v_lshl_add_u32 v8, v8, 23, 0x3c000000
	v_mov_b32_e32 v22, v7
	v_lshlrev_b32_sdwa v10, v10, v12 dst_sel:DWORD dst_unused:UNUSED_PAD src0_sel:DWORD src1_sel:BYTE_3
	v_and_b32_e32 v10, 0x80000000, v10
	v_or3_b32 v23, v6, v10, v8
.LBB225_935:                            ;   in Loop: Header=BB225_803 Depth=1
	s_or_b32 exec_lo, exec_lo, s12
.LBB225_936:                            ;   in Loop: Header=BB225_803 Depth=1
	s_or_b32 exec_lo, exec_lo, s11
.LBB225_937:                            ;   in Loop: Header=BB225_803 Depth=1
	s_or_b32 exec_lo, exec_lo, s9
	v_or_b32_e32 v6, v19, v17
	v_or_b32_e32 v8, v18, v16
	;; [unrolled: 1-line block ×4, first 2 shown]
	v_mul_f32_e32 v6, v85, v6
	buffer_store_dword v6, off, s[0:3], s32 offset:312 ; 4-byte Folded Spill
	v_mul_f32_e32 v6, v68, v8
	buffer_store_dword v6, off, s[0:3], s32 offset:304 ; 4-byte Folded Spill
	;; [unrolled: 2-line block ×4, first 2 shown]
	s_and_saveexec_b32 s9, vcc_lo
	s_cbranch_execz .LBB225_939
; %bb.938:                              ;   in Loop: Header=BB225_803 Depth=1
	buffer_load_dword v6, off, s[0:3], s32 offset:304 ; 4-byte Folded Reload
	v_cmp_lt_i32_e64 s4, v102, v118
	s_waitcnt vmcnt(0)
	v_cndmask_b32_e64 v6, 0, v6, s4
	v_cmp_lt_i32_e64 s4, v112, v118
	buffer_store_dword v6, off, s[0:3], s32 offset:304 ; 4-byte Folded Spill
	buffer_load_dword v6, off, s[0:3], s32 offset:312 ; 4-byte Folded Reload
	s_waitcnt vmcnt(0)
	v_cndmask_b32_e64 v6, 0, v6, s4
	v_cmp_lt_i32_e64 s4, v103, v118
	buffer_store_dword v6, off, s[0:3], s32 offset:312 ; 4-byte Folded Spill
	buffer_load_dword v6, off, s[0:3], s32 offset:296 ; 4-byte Folded Reload
	;; [unrolled: 5-line block ×3, first 2 shown]
	s_waitcnt vmcnt(0)
	v_cndmask_b32_e64 v6, 0, v6, s4
	buffer_store_dword v6, off, s[0:3], s32 offset:288 ; 4-byte Folded Spill
.LBB225_939:                            ;   in Loop: Header=BB225_803 Depth=1
	s_or_b32 exec_lo, exec_lo, s9
	flat_load_dword v12, v[4:5] offset:512
	v_mov_b32_e32 v18, 0
	v_mov_b32_e32 v16, 0
	;; [unrolled: 1-line block ×4, first 2 shown]
	s_waitcnt vmcnt(0) lgkmcnt(0)
	v_cmp_ne_u16_sdwa s4, v12, v7 src0_sel:BYTE_0 src1_sel:DWORD
	s_and_saveexec_b32 s9, s4
	s_cbranch_execz .LBB225_947
; %bb.940:                              ;   in Loop: Header=BB225_803 Depth=1
	v_bfrev_b32_e32 v16, 1
	v_mov_b32_e32 v17, 0
	v_cmp_ne_u16_sdwa s4, v12, v70 src0_sel:BYTE_0 src1_sel:DWORD
	s_and_saveexec_b32 s11, s4
	s_cbranch_execz .LBB225_946
; %bb.941:                              ;   in Loop: Header=BB225_803 Depth=1
	v_mov_b32_e32 v16, 0x7f800001
	v_and_b32_e32 v10, 0x7f, v12
	v_mov_b32_e32 v17, 0
	s_mov_b32 s12, exec_lo
	v_cmpx_ne_u32_e32 0x7f, v10
	s_cbranch_execz .LBB225_945
; %bb.942:                              ;   in Loop: Header=BB225_803 Depth=1
	v_and_b32_e32 v6, 7, v12
	v_lshrrev_b32_e32 v8, 3, v10
	s_mov_b32 s13, exec_lo
	v_cmpx_gt_u32_e32 8, v10
; %bb.943:                              ;   in Loop: Header=BB225_803 Depth=1
	v_ffbh_u32_e32 v8, v6
	v_min_u32_e32 v8, 32, v8
	v_subrev_nc_u32_e32 v10, 28, v8
	v_sub_nc_u32_e32 v8, 29, v8
	v_lshlrev_b64 v[16:17], v10, v[6:7]
	v_and_b32_e32 v6, 7, v16
; %bb.944:                              ;   in Loop: Header=BB225_803 Depth=1
	s_or_b32 exec_lo, exec_lo, s13
	v_lshlrev_b32_e32 v10, 24, v12
	v_lshlrev_b32_e32 v6, 20, v6
	v_lshl_add_u32 v8, v8, 23, 0x3c000000
	v_and_b32_e32 v10, 0x80000000, v10
	v_or3_b32 v6, v6, v10, v8
	v_mov_b32_e32 v17, v7
	v_mov_b32_e32 v16, v6
.LBB225_945:                            ;   in Loop: Header=BB225_803 Depth=1
	s_or_b32 exec_lo, exec_lo, s12
.LBB225_946:                            ;   in Loop: Header=BB225_803 Depth=1
	s_or_b32 exec_lo, exec_lo, s11
.LBB225_947:                            ;   in Loop: Header=BB225_803 Depth=1
	s_or_b32 exec_lo, exec_lo, s9
	v_cmp_ne_u16_sdwa s4, v12, v7 src0_sel:BYTE_1 src1_sel:DWORD
	s_and_saveexec_b32 s9, s4
	s_cbranch_execz .LBB225_955
; %bb.948:                              ;   in Loop: Header=BB225_803 Depth=1
	v_mov_b32_e32 v8, v7
	v_mov_b32_e32 v19, v9
	v_cmp_ne_u16_sdwa s4, v12, v70 src0_sel:BYTE_1 src1_sel:DWORD
	v_mov_b32_e32 v18, v8
	s_and_saveexec_b32 s11, s4
	s_cbranch_execz .LBB225_954
; %bb.949:                              ;   in Loop: Header=BB225_803 Depth=1
	v_mov_b32_e32 v6, 0xffff
	v_mov_b32_e32 v10, v7
	;; [unrolled: 1-line block ×3, first 2 shown]
	s_mov_b32 s12, exec_lo
	v_and_b32_sdwa v6, v6, v12 dst_sel:DWORD dst_unused:UNUSED_PAD src0_sel:DWORD src1_sel:BYTE_1
	v_mov_b32_e32 v18, v10
	v_and_b32_e32 v13, 0x7f, v6
	v_cmpx_ne_u32_e32 0x7f, v13
	s_cbranch_execz .LBB225_953
; %bb.950:                              ;   in Loop: Header=BB225_803 Depth=1
	v_and_b32_e32 v6, 7, v6
	v_lshrrev_b32_e32 v8, 3, v13
	s_mov_b32 s13, exec_lo
	v_cmpx_gt_u32_e32 8, v13
; %bb.951:                              ;   in Loop: Header=BB225_803 Depth=1
	v_ffbh_u32_e32 v8, v6
	v_min_u32_e32 v8, 32, v8
	v_subrev_nc_u32_e32 v10, 28, v8
	v_sub_nc_u32_e32 v8, 29, v8
	v_lshlrev_b64 v[18:19], v10, v[6:7]
	v_and_b32_e32 v6, 7, v18
; %bb.952:                              ;   in Loop: Header=BB225_803 Depth=1
	s_or_b32 exec_lo, exec_lo, s13
	v_lshlrev_b32_e32 v10, 16, v12
	v_lshlrev_b32_e32 v6, 20, v6
	v_lshl_add_u32 v8, v8, 23, 0x3c000000
	v_mov_b32_e32 v18, v7
	v_and_b32_e32 v10, 0x80000000, v10
	v_or3_b32 v19, v6, v10, v8
.LBB225_953:                            ;   in Loop: Header=BB225_803 Depth=1
	s_or_b32 exec_lo, exec_lo, s12
.LBB225_954:                            ;   in Loop: Header=BB225_803 Depth=1
	s_or_b32 exec_lo, exec_lo, s11
.LBB225_955:                            ;   in Loop: Header=BB225_803 Depth=1
	s_or_b32 exec_lo, exec_lo, s9
	v_mov_b32_e32 v22, 0
	v_mov_b32_e32 v20, 0
	v_and_b32_sdwa v6, v12, v80 dst_sel:DWORD dst_unused:UNUSED_PAD src0_sel:WORD_1 src1_sel:DWORD
	v_mov_b32_e32 v23, 0
	v_mov_b32_e32 v21, 0
	s_mov_b32 s9, exec_lo
	v_cmpx_ne_u16_e32 0, v6
	s_cbranch_execz .LBB225_963
; %bb.956:                              ;   in Loop: Header=BB225_803 Depth=1
	v_bfrev_b32_e32 v20, 1
	v_mov_b32_e32 v21, 0
	s_mov_b32 s11, exec_lo
	v_cmpx_ne_u16_e32 0x80, v6
	s_cbranch_execz .LBB225_962
; %bb.957:                              ;   in Loop: Header=BB225_803 Depth=1
	v_mov_b32_e32 v20, 0x7f800001
	v_bfe_u32 v10, v12, 16, 7
	v_mov_b32_e32 v21, 0
	s_mov_b32 s12, exec_lo
	v_cmpx_ne_u32_e32 0x7f, v10
	s_cbranch_execz .LBB225_961
; %bb.958:                              ;   in Loop: Header=BB225_803 Depth=1
	v_mov_b32_e32 v6, 7
	v_lshrrev_b32_e32 v8, 3, v10
	s_mov_b32 s13, exec_lo
	v_and_b32_sdwa v6, v12, v6 dst_sel:DWORD dst_unused:UNUSED_PAD src0_sel:WORD_1 src1_sel:DWORD
	v_cmpx_gt_u32_e32 8, v10
; %bb.959:                              ;   in Loop: Header=BB225_803 Depth=1
	v_ffbh_u32_e32 v8, v6
	v_min_u32_e32 v8, 32, v8
	v_subrev_nc_u32_e32 v10, 28, v8
	v_sub_nc_u32_e32 v8, 29, v8
	v_lshlrev_b64 v[20:21], v10, v[6:7]
	v_and_b32_e32 v6, 7, v20
; %bb.960:                              ;   in Loop: Header=BB225_803 Depth=1
	s_or_b32 exec_lo, exec_lo, s13
	v_mov_b32_e32 v10, 24
	v_lshlrev_b32_e32 v6, 20, v6
	v_lshl_add_u32 v8, v8, 23, 0x3c000000
	v_lshlrev_b32_sdwa v10, v10, v12 dst_sel:DWORD dst_unused:UNUSED_PAD src0_sel:DWORD src1_sel:WORD_1
	v_and_b32_e32 v10, 0x80000000, v10
	v_or3_b32 v6, v6, v10, v8
	v_mov_b32_e32 v21, v7
	v_mov_b32_e32 v20, v6
.LBB225_961:                            ;   in Loop: Header=BB225_803 Depth=1
	s_or_b32 exec_lo, exec_lo, s12
.LBB225_962:                            ;   in Loop: Header=BB225_803 Depth=1
	s_or_b32 exec_lo, exec_lo, s11
.LBB225_963:                            ;   in Loop: Header=BB225_803 Depth=1
	s_or_b32 exec_lo, exec_lo, s9
	s_mov_b32 s9, exec_lo
	v_cmpx_lt_u32_e32 0xffffff, v12
	s_cbranch_execz .LBB225_971
; %bb.964:                              ;   in Loop: Header=BB225_803 Depth=1
	v_mov_b32_e32 v8, v7
	v_mov_b32_e32 v23, v9
	v_cmp_ne_u32_sdwa s4, v12, v70 src0_sel:BYTE_3 src1_sel:DWORD
	v_mov_b32_e32 v22, v8
	s_and_saveexec_b32 s11, s4
	s_cbranch_execz .LBB225_970
; %bb.965:                              ;   in Loop: Header=BB225_803 Depth=1
	v_mov_b32_e32 v10, v7
	v_mov_b32_e32 v23, v11
	v_bfe_u32 v13, v12, 24, 7
	s_mov_b32 s12, exec_lo
	v_mov_b32_e32 v22, v10
	v_cmpx_ne_u32_e32 0x7f, v13
	s_cbranch_execz .LBB225_969
; %bb.966:                              ;   in Loop: Header=BB225_803 Depth=1
	v_mov_b32_e32 v6, 7
	v_lshrrev_b32_e32 v8, 3, v13
	s_mov_b32 s13, exec_lo
	v_and_b32_sdwa v6, v12, v6 dst_sel:DWORD dst_unused:UNUSED_PAD src0_sel:BYTE_3 src1_sel:DWORD
	v_cmpx_gt_u32_e32 8, v13
; %bb.967:                              ;   in Loop: Header=BB225_803 Depth=1
	v_ffbh_u32_e32 v8, v6
	v_min_u32_e32 v8, 32, v8
	v_subrev_nc_u32_e32 v10, 28, v8
	v_sub_nc_u32_e32 v8, 29, v8
	v_lshlrev_b64 v[22:23], v10, v[6:7]
	v_and_b32_e32 v6, 7, v22
; %bb.968:                              ;   in Loop: Header=BB225_803 Depth=1
	s_or_b32 exec_lo, exec_lo, s13
	v_mov_b32_e32 v10, 24
	v_lshlrev_b32_e32 v6, 20, v6
	v_lshl_add_u32 v8, v8, 23, 0x3c000000
	v_mov_b32_e32 v22, v7
	v_lshlrev_b32_sdwa v10, v10, v12 dst_sel:DWORD dst_unused:UNUSED_PAD src0_sel:DWORD src1_sel:BYTE_3
	v_and_b32_e32 v10, 0x80000000, v10
	v_or3_b32 v23, v6, v10, v8
.LBB225_969:                            ;   in Loop: Header=BB225_803 Depth=1
	s_or_b32 exec_lo, exec_lo, s12
.LBB225_970:                            ;   in Loop: Header=BB225_803 Depth=1
	s_or_b32 exec_lo, exec_lo, s11
.LBB225_971:                            ;   in Loop: Header=BB225_803 Depth=1
	s_or_b32 exec_lo, exec_lo, s9
	v_or_b32_e32 v6, v19, v17
	v_or_b32_e32 v8, v18, v16
	;; [unrolled: 1-line block ×4, first 2 shown]
	v_mul_f32_e32 v6, v85, v6
	buffer_store_dword v6, off, s[0:3], s32 offset:336 ; 4-byte Folded Spill
	v_mul_f32_e32 v6, v68, v8
	buffer_store_dword v6, off, s[0:3], s32 offset:328 ; 4-byte Folded Spill
	;; [unrolled: 2-line block ×4, first 2 shown]
	s_and_saveexec_b32 s9, vcc_lo
	s_cbranch_execz .LBB225_973
; %bb.972:                              ;   in Loop: Header=BB225_803 Depth=1
	buffer_load_dword v6, off, s[0:3], s32 offset:328 ; 4-byte Folded Reload
	v_cmp_lt_i32_e64 s4, v102, v118
	s_waitcnt vmcnt(0)
	v_cndmask_b32_e64 v6, 0, v6, s4
	v_cmp_lt_i32_e64 s4, v112, v118
	buffer_store_dword v6, off, s[0:3], s32 offset:328 ; 4-byte Folded Spill
	buffer_load_dword v6, off, s[0:3], s32 offset:336 ; 4-byte Folded Reload
	s_waitcnt vmcnt(0)
	v_cndmask_b32_e64 v6, 0, v6, s4
	v_cmp_lt_i32_e64 s4, v103, v118
	buffer_store_dword v6, off, s[0:3], s32 offset:336 ; 4-byte Folded Spill
	buffer_load_dword v6, off, s[0:3], s32 offset:192 ; 4-byte Folded Reload
	;; [unrolled: 5-line block ×3, first 2 shown]
	s_waitcnt vmcnt(0)
	v_cndmask_b32_e64 v6, 0, v6, s4
	buffer_store_dword v6, off, s[0:3], s32 offset:320 ; 4-byte Folded Spill
.LBB225_973:                            ;   in Loop: Header=BB225_803 Depth=1
	s_or_b32 exec_lo, exec_lo, s9
	flat_load_dword v12, v[4:5] offset:640
	v_mov_b32_e32 v18, 0
	v_mov_b32_e32 v16, 0
	;; [unrolled: 1-line block ×4, first 2 shown]
	s_waitcnt vmcnt(0) lgkmcnt(0)
	v_cmp_ne_u16_sdwa s4, v12, v7 src0_sel:BYTE_0 src1_sel:DWORD
	s_and_saveexec_b32 s9, s4
	s_cbranch_execz .LBB225_981
; %bb.974:                              ;   in Loop: Header=BB225_803 Depth=1
	v_bfrev_b32_e32 v16, 1
	v_mov_b32_e32 v17, 0
	v_cmp_ne_u16_sdwa s4, v12, v70 src0_sel:BYTE_0 src1_sel:DWORD
	s_and_saveexec_b32 s11, s4
	s_cbranch_execz .LBB225_980
; %bb.975:                              ;   in Loop: Header=BB225_803 Depth=1
	v_mov_b32_e32 v16, 0x7f800001
	v_and_b32_e32 v10, 0x7f, v12
	v_mov_b32_e32 v17, 0
	s_mov_b32 s12, exec_lo
	v_cmpx_ne_u32_e32 0x7f, v10
	s_cbranch_execz .LBB225_979
; %bb.976:                              ;   in Loop: Header=BB225_803 Depth=1
	v_and_b32_e32 v6, 7, v12
	v_lshrrev_b32_e32 v8, 3, v10
	s_mov_b32 s13, exec_lo
	v_cmpx_gt_u32_e32 8, v10
; %bb.977:                              ;   in Loop: Header=BB225_803 Depth=1
	v_ffbh_u32_e32 v8, v6
	v_min_u32_e32 v8, 32, v8
	v_subrev_nc_u32_e32 v10, 28, v8
	v_sub_nc_u32_e32 v8, 29, v8
	v_lshlrev_b64 v[16:17], v10, v[6:7]
	v_and_b32_e32 v6, 7, v16
; %bb.978:                              ;   in Loop: Header=BB225_803 Depth=1
	s_or_b32 exec_lo, exec_lo, s13
	v_lshlrev_b32_e32 v10, 24, v12
	v_lshlrev_b32_e32 v6, 20, v6
	v_lshl_add_u32 v8, v8, 23, 0x3c000000
	v_and_b32_e32 v10, 0x80000000, v10
	v_or3_b32 v6, v6, v10, v8
	v_mov_b32_e32 v17, v7
	v_mov_b32_e32 v16, v6
.LBB225_979:                            ;   in Loop: Header=BB225_803 Depth=1
	s_or_b32 exec_lo, exec_lo, s12
.LBB225_980:                            ;   in Loop: Header=BB225_803 Depth=1
	s_or_b32 exec_lo, exec_lo, s11
.LBB225_981:                            ;   in Loop: Header=BB225_803 Depth=1
	s_or_b32 exec_lo, exec_lo, s9
	v_cmp_ne_u16_sdwa s4, v12, v7 src0_sel:BYTE_1 src1_sel:DWORD
	s_and_saveexec_b32 s9, s4
	s_cbranch_execz .LBB225_989
; %bb.982:                              ;   in Loop: Header=BB225_803 Depth=1
	v_mov_b32_e32 v8, v7
	v_mov_b32_e32 v19, v9
	v_cmp_ne_u16_sdwa s4, v12, v70 src0_sel:BYTE_1 src1_sel:DWORD
	v_mov_b32_e32 v18, v8
	s_and_saveexec_b32 s11, s4
	s_cbranch_execz .LBB225_988
; %bb.983:                              ;   in Loop: Header=BB225_803 Depth=1
	v_mov_b32_e32 v6, 0xffff
	v_mov_b32_e32 v10, v7
	;; [unrolled: 1-line block ×3, first 2 shown]
	s_mov_b32 s12, exec_lo
	v_and_b32_sdwa v6, v6, v12 dst_sel:DWORD dst_unused:UNUSED_PAD src0_sel:DWORD src1_sel:BYTE_1
	v_mov_b32_e32 v18, v10
	v_and_b32_e32 v13, 0x7f, v6
	v_cmpx_ne_u32_e32 0x7f, v13
	s_cbranch_execz .LBB225_987
; %bb.984:                              ;   in Loop: Header=BB225_803 Depth=1
	v_and_b32_e32 v6, 7, v6
	v_lshrrev_b32_e32 v8, 3, v13
	s_mov_b32 s13, exec_lo
	v_cmpx_gt_u32_e32 8, v13
; %bb.985:                              ;   in Loop: Header=BB225_803 Depth=1
	v_ffbh_u32_e32 v8, v6
	v_min_u32_e32 v8, 32, v8
	v_subrev_nc_u32_e32 v10, 28, v8
	v_sub_nc_u32_e32 v8, 29, v8
	v_lshlrev_b64 v[18:19], v10, v[6:7]
	v_and_b32_e32 v6, 7, v18
; %bb.986:                              ;   in Loop: Header=BB225_803 Depth=1
	s_or_b32 exec_lo, exec_lo, s13
	v_lshlrev_b32_e32 v10, 16, v12
	v_lshlrev_b32_e32 v6, 20, v6
	v_lshl_add_u32 v8, v8, 23, 0x3c000000
	v_mov_b32_e32 v18, v7
	v_and_b32_e32 v10, 0x80000000, v10
	v_or3_b32 v19, v6, v10, v8
.LBB225_987:                            ;   in Loop: Header=BB225_803 Depth=1
	s_or_b32 exec_lo, exec_lo, s12
.LBB225_988:                            ;   in Loop: Header=BB225_803 Depth=1
	s_or_b32 exec_lo, exec_lo, s11
.LBB225_989:                            ;   in Loop: Header=BB225_803 Depth=1
	s_or_b32 exec_lo, exec_lo, s9
	v_mov_b32_e32 v22, 0
	v_mov_b32_e32 v20, 0
	v_and_b32_sdwa v6, v12, v80 dst_sel:DWORD dst_unused:UNUSED_PAD src0_sel:WORD_1 src1_sel:DWORD
	v_mov_b32_e32 v23, 0
	v_mov_b32_e32 v21, 0
	s_mov_b32 s9, exec_lo
	v_cmpx_ne_u16_e32 0, v6
	s_cbranch_execz .LBB225_997
; %bb.990:                              ;   in Loop: Header=BB225_803 Depth=1
	v_bfrev_b32_e32 v20, 1
	v_mov_b32_e32 v21, 0
	s_mov_b32 s11, exec_lo
	v_cmpx_ne_u16_e32 0x80, v6
	s_cbranch_execz .LBB225_996
; %bb.991:                              ;   in Loop: Header=BB225_803 Depth=1
	v_mov_b32_e32 v20, 0x7f800001
	v_bfe_u32 v10, v12, 16, 7
	v_mov_b32_e32 v21, 0
	s_mov_b32 s12, exec_lo
	v_cmpx_ne_u32_e32 0x7f, v10
	s_cbranch_execz .LBB225_995
; %bb.992:                              ;   in Loop: Header=BB225_803 Depth=1
	v_mov_b32_e32 v6, 7
	v_lshrrev_b32_e32 v8, 3, v10
	s_mov_b32 s13, exec_lo
	v_and_b32_sdwa v6, v12, v6 dst_sel:DWORD dst_unused:UNUSED_PAD src0_sel:WORD_1 src1_sel:DWORD
	v_cmpx_gt_u32_e32 8, v10
; %bb.993:                              ;   in Loop: Header=BB225_803 Depth=1
	v_ffbh_u32_e32 v8, v6
	v_min_u32_e32 v8, 32, v8
	v_subrev_nc_u32_e32 v10, 28, v8
	v_sub_nc_u32_e32 v8, 29, v8
	v_lshlrev_b64 v[20:21], v10, v[6:7]
	v_and_b32_e32 v6, 7, v20
; %bb.994:                              ;   in Loop: Header=BB225_803 Depth=1
	s_or_b32 exec_lo, exec_lo, s13
	v_mov_b32_e32 v10, 24
	v_lshlrev_b32_e32 v6, 20, v6
	v_lshl_add_u32 v8, v8, 23, 0x3c000000
	v_lshlrev_b32_sdwa v10, v10, v12 dst_sel:DWORD dst_unused:UNUSED_PAD src0_sel:DWORD src1_sel:WORD_1
	v_and_b32_e32 v10, 0x80000000, v10
	v_or3_b32 v6, v6, v10, v8
	v_mov_b32_e32 v21, v7
	v_mov_b32_e32 v20, v6
.LBB225_995:                            ;   in Loop: Header=BB225_803 Depth=1
	s_or_b32 exec_lo, exec_lo, s12
.LBB225_996:                            ;   in Loop: Header=BB225_803 Depth=1
	s_or_b32 exec_lo, exec_lo, s11
.LBB225_997:                            ;   in Loop: Header=BB225_803 Depth=1
	s_or_b32 exec_lo, exec_lo, s9
	s_mov_b32 s9, exec_lo
	v_cmpx_lt_u32_e32 0xffffff, v12
	s_cbranch_execz .LBB225_1005
; %bb.998:                              ;   in Loop: Header=BB225_803 Depth=1
	v_mov_b32_e32 v8, v7
	v_mov_b32_e32 v23, v9
	v_cmp_ne_u32_sdwa s4, v12, v70 src0_sel:BYTE_3 src1_sel:DWORD
	v_mov_b32_e32 v22, v8
	s_and_saveexec_b32 s11, s4
	s_cbranch_execz .LBB225_1004
; %bb.999:                              ;   in Loop: Header=BB225_803 Depth=1
	v_mov_b32_e32 v10, v7
	v_mov_b32_e32 v23, v11
	v_bfe_u32 v13, v12, 24, 7
	s_mov_b32 s12, exec_lo
	v_mov_b32_e32 v22, v10
	v_cmpx_ne_u32_e32 0x7f, v13
	s_cbranch_execz .LBB225_1003
; %bb.1000:                             ;   in Loop: Header=BB225_803 Depth=1
	v_mov_b32_e32 v6, 7
	v_lshrrev_b32_e32 v8, 3, v13
	s_mov_b32 s13, exec_lo
	v_and_b32_sdwa v6, v12, v6 dst_sel:DWORD dst_unused:UNUSED_PAD src0_sel:BYTE_3 src1_sel:DWORD
	v_cmpx_gt_u32_e32 8, v13
; %bb.1001:                             ;   in Loop: Header=BB225_803 Depth=1
	v_ffbh_u32_e32 v8, v6
	v_min_u32_e32 v8, 32, v8
	v_subrev_nc_u32_e32 v10, 28, v8
	v_sub_nc_u32_e32 v8, 29, v8
	v_lshlrev_b64 v[22:23], v10, v[6:7]
	v_and_b32_e32 v6, 7, v22
; %bb.1002:                             ;   in Loop: Header=BB225_803 Depth=1
	s_or_b32 exec_lo, exec_lo, s13
	v_mov_b32_e32 v10, 24
	v_lshlrev_b32_e32 v6, 20, v6
	v_lshl_add_u32 v8, v8, 23, 0x3c000000
	v_mov_b32_e32 v22, v7
	v_lshlrev_b32_sdwa v10, v10, v12 dst_sel:DWORD dst_unused:UNUSED_PAD src0_sel:DWORD src1_sel:BYTE_3
	v_and_b32_e32 v10, 0x80000000, v10
	v_or3_b32 v23, v6, v10, v8
.LBB225_1003:                           ;   in Loop: Header=BB225_803 Depth=1
	s_or_b32 exec_lo, exec_lo, s12
.LBB225_1004:                           ;   in Loop: Header=BB225_803 Depth=1
	s_or_b32 exec_lo, exec_lo, s11
.LBB225_1005:                           ;   in Loop: Header=BB225_803 Depth=1
	s_or_b32 exec_lo, exec_lo, s9
	v_or_b32_e32 v6, v19, v17
	v_or_b32_e32 v8, v18, v16
	;; [unrolled: 1-line block ×4, first 2 shown]
	v_mul_f32_e32 v56, v85, v6
	v_mul_f32_e32 v57, v68, v8
	;; [unrolled: 1-line block ×4, first 2 shown]
	buffer_store_dword v6, off, s[0:3], s32 offset:344 ; 4-byte Folded Spill
	s_and_saveexec_b32 s9, vcc_lo
	s_cbranch_execz .LBB225_1007
; %bb.1006:                             ;   in Loop: Header=BB225_803 Depth=1
	buffer_load_dword v6, off, s[0:3], s32 offset:344 ; 4-byte Folded Reload
	v_cmp_lt_i32_e64 s4, v102, v118
	v_cndmask_b32_e64 v57, 0, v57, s4
	v_cmp_lt_i32_e64 s4, v112, v118
	v_cndmask_b32_e64 v56, 0, v56, s4
	;; [unrolled: 2-line block ×3, first 2 shown]
	v_cmp_lt_i32_e64 s4, v83, v118
	s_waitcnt vmcnt(0)
	v_cndmask_b32_e64 v6, 0, v6, s4
	buffer_store_dword v6, off, s[0:3], s32 offset:344 ; 4-byte Folded Spill
.LBB225_1007:                           ;   in Loop: Header=BB225_803 Depth=1
	s_or_b32 exec_lo, exec_lo, s9
	flat_load_dword v12, v[4:5] offset:768
	v_mov_b32_e32 v18, 0
	v_mov_b32_e32 v16, 0
	;; [unrolled: 1-line block ×4, first 2 shown]
	s_waitcnt vmcnt(0) lgkmcnt(0)
	v_cmp_ne_u16_sdwa s4, v12, v7 src0_sel:BYTE_0 src1_sel:DWORD
	s_and_saveexec_b32 s9, s4
	s_cbranch_execz .LBB225_1015
; %bb.1008:                             ;   in Loop: Header=BB225_803 Depth=1
	v_bfrev_b32_e32 v16, 1
	v_mov_b32_e32 v17, 0
	v_cmp_ne_u16_sdwa s4, v12, v70 src0_sel:BYTE_0 src1_sel:DWORD
	s_and_saveexec_b32 s11, s4
	s_cbranch_execz .LBB225_1014
; %bb.1009:                             ;   in Loop: Header=BB225_803 Depth=1
	v_mov_b32_e32 v16, 0x7f800001
	v_and_b32_e32 v10, 0x7f, v12
	v_mov_b32_e32 v17, 0
	s_mov_b32 s12, exec_lo
	v_cmpx_ne_u32_e32 0x7f, v10
	s_cbranch_execz .LBB225_1013
; %bb.1010:                             ;   in Loop: Header=BB225_803 Depth=1
	v_and_b32_e32 v6, 7, v12
	v_lshrrev_b32_e32 v8, 3, v10
	s_mov_b32 s13, exec_lo
	v_cmpx_gt_u32_e32 8, v10
; %bb.1011:                             ;   in Loop: Header=BB225_803 Depth=1
	v_ffbh_u32_e32 v8, v6
	v_min_u32_e32 v8, 32, v8
	v_subrev_nc_u32_e32 v10, 28, v8
	v_sub_nc_u32_e32 v8, 29, v8
	v_lshlrev_b64 v[16:17], v10, v[6:7]
	v_and_b32_e32 v6, 7, v16
; %bb.1012:                             ;   in Loop: Header=BB225_803 Depth=1
	s_or_b32 exec_lo, exec_lo, s13
	v_lshlrev_b32_e32 v10, 24, v12
	v_lshlrev_b32_e32 v6, 20, v6
	v_lshl_add_u32 v8, v8, 23, 0x3c000000
	v_and_b32_e32 v10, 0x80000000, v10
	v_or3_b32 v6, v6, v10, v8
	v_mov_b32_e32 v17, v7
	v_mov_b32_e32 v16, v6
.LBB225_1013:                           ;   in Loop: Header=BB225_803 Depth=1
	s_or_b32 exec_lo, exec_lo, s12
.LBB225_1014:                           ;   in Loop: Header=BB225_803 Depth=1
	s_or_b32 exec_lo, exec_lo, s11
.LBB225_1015:                           ;   in Loop: Header=BB225_803 Depth=1
	s_or_b32 exec_lo, exec_lo, s9
	v_cmp_ne_u16_sdwa s4, v12, v7 src0_sel:BYTE_1 src1_sel:DWORD
	s_and_saveexec_b32 s9, s4
	s_cbranch_execz .LBB225_1023
; %bb.1016:                             ;   in Loop: Header=BB225_803 Depth=1
	v_mov_b32_e32 v8, v7
	v_mov_b32_e32 v19, v9
	v_cmp_ne_u16_sdwa s4, v12, v70 src0_sel:BYTE_1 src1_sel:DWORD
	v_mov_b32_e32 v18, v8
	s_and_saveexec_b32 s11, s4
	s_cbranch_execz .LBB225_1022
; %bb.1017:                             ;   in Loop: Header=BB225_803 Depth=1
	v_mov_b32_e32 v6, 0xffff
	v_mov_b32_e32 v10, v7
	;; [unrolled: 1-line block ×3, first 2 shown]
	s_mov_b32 s12, exec_lo
	v_and_b32_sdwa v6, v6, v12 dst_sel:DWORD dst_unused:UNUSED_PAD src0_sel:DWORD src1_sel:BYTE_1
	v_mov_b32_e32 v18, v10
	v_and_b32_e32 v13, 0x7f, v6
	v_cmpx_ne_u32_e32 0x7f, v13
	s_cbranch_execz .LBB225_1021
; %bb.1018:                             ;   in Loop: Header=BB225_803 Depth=1
	v_and_b32_e32 v6, 7, v6
	v_lshrrev_b32_e32 v8, 3, v13
	s_mov_b32 s13, exec_lo
	v_cmpx_gt_u32_e32 8, v13
; %bb.1019:                             ;   in Loop: Header=BB225_803 Depth=1
	v_ffbh_u32_e32 v8, v6
	v_min_u32_e32 v8, 32, v8
	v_subrev_nc_u32_e32 v10, 28, v8
	v_sub_nc_u32_e32 v8, 29, v8
	v_lshlrev_b64 v[18:19], v10, v[6:7]
	v_and_b32_e32 v6, 7, v18
; %bb.1020:                             ;   in Loop: Header=BB225_803 Depth=1
	s_or_b32 exec_lo, exec_lo, s13
	v_lshlrev_b32_e32 v10, 16, v12
	v_lshlrev_b32_e32 v6, 20, v6
	v_lshl_add_u32 v8, v8, 23, 0x3c000000
	v_mov_b32_e32 v18, v7
	v_and_b32_e32 v10, 0x80000000, v10
	v_or3_b32 v19, v6, v10, v8
.LBB225_1021:                           ;   in Loop: Header=BB225_803 Depth=1
	s_or_b32 exec_lo, exec_lo, s12
.LBB225_1022:                           ;   in Loop: Header=BB225_803 Depth=1
	s_or_b32 exec_lo, exec_lo, s11
.LBB225_1023:                           ;   in Loop: Header=BB225_803 Depth=1
	s_or_b32 exec_lo, exec_lo, s9
	v_mov_b32_e32 v22, 0
	v_mov_b32_e32 v20, 0
	v_and_b32_sdwa v6, v12, v80 dst_sel:DWORD dst_unused:UNUSED_PAD src0_sel:WORD_1 src1_sel:DWORD
	v_mov_b32_e32 v23, 0
	v_mov_b32_e32 v21, 0
	s_mov_b32 s9, exec_lo
	v_cmpx_ne_u16_e32 0, v6
	s_cbranch_execz .LBB225_1031
; %bb.1024:                             ;   in Loop: Header=BB225_803 Depth=1
	v_bfrev_b32_e32 v20, 1
	v_mov_b32_e32 v21, 0
	s_mov_b32 s11, exec_lo
	v_cmpx_ne_u16_e32 0x80, v6
	s_cbranch_execz .LBB225_1030
; %bb.1025:                             ;   in Loop: Header=BB225_803 Depth=1
	v_mov_b32_e32 v20, 0x7f800001
	v_bfe_u32 v10, v12, 16, 7
	v_mov_b32_e32 v21, 0
	s_mov_b32 s12, exec_lo
	v_cmpx_ne_u32_e32 0x7f, v10
	s_cbranch_execz .LBB225_1029
; %bb.1026:                             ;   in Loop: Header=BB225_803 Depth=1
	v_mov_b32_e32 v6, 7
	v_lshrrev_b32_e32 v8, 3, v10
	s_mov_b32 s13, exec_lo
	v_and_b32_sdwa v6, v12, v6 dst_sel:DWORD dst_unused:UNUSED_PAD src0_sel:WORD_1 src1_sel:DWORD
	v_cmpx_gt_u32_e32 8, v10
; %bb.1027:                             ;   in Loop: Header=BB225_803 Depth=1
	v_ffbh_u32_e32 v8, v6
	v_min_u32_e32 v8, 32, v8
	v_subrev_nc_u32_e32 v10, 28, v8
	v_sub_nc_u32_e32 v8, 29, v8
	v_lshlrev_b64 v[20:21], v10, v[6:7]
	v_and_b32_e32 v6, 7, v20
; %bb.1028:                             ;   in Loop: Header=BB225_803 Depth=1
	s_or_b32 exec_lo, exec_lo, s13
	v_mov_b32_e32 v10, 24
	v_lshlrev_b32_e32 v6, 20, v6
	v_lshl_add_u32 v8, v8, 23, 0x3c000000
	v_lshlrev_b32_sdwa v10, v10, v12 dst_sel:DWORD dst_unused:UNUSED_PAD src0_sel:DWORD src1_sel:WORD_1
	v_and_b32_e32 v10, 0x80000000, v10
	v_or3_b32 v6, v6, v10, v8
	v_mov_b32_e32 v21, v7
	v_mov_b32_e32 v20, v6
.LBB225_1029:                           ;   in Loop: Header=BB225_803 Depth=1
	s_or_b32 exec_lo, exec_lo, s12
.LBB225_1030:                           ;   in Loop: Header=BB225_803 Depth=1
	s_or_b32 exec_lo, exec_lo, s11
.LBB225_1031:                           ;   in Loop: Header=BB225_803 Depth=1
	s_or_b32 exec_lo, exec_lo, s9
	s_mov_b32 s9, exec_lo
	v_cmpx_lt_u32_e32 0xffffff, v12
	s_cbranch_execz .LBB225_1039
; %bb.1032:                             ;   in Loop: Header=BB225_803 Depth=1
	v_mov_b32_e32 v8, v7
	v_mov_b32_e32 v23, v9
	v_cmp_ne_u32_sdwa s4, v12, v70 src0_sel:BYTE_3 src1_sel:DWORD
	v_mov_b32_e32 v22, v8
	s_and_saveexec_b32 s11, s4
	s_cbranch_execz .LBB225_1038
; %bb.1033:                             ;   in Loop: Header=BB225_803 Depth=1
	v_mov_b32_e32 v10, v7
	v_mov_b32_e32 v23, v11
	v_bfe_u32 v13, v12, 24, 7
	s_mov_b32 s12, exec_lo
	v_mov_b32_e32 v22, v10
	v_cmpx_ne_u32_e32 0x7f, v13
	s_cbranch_execz .LBB225_1037
; %bb.1034:                             ;   in Loop: Header=BB225_803 Depth=1
	v_mov_b32_e32 v6, 7
	v_lshrrev_b32_e32 v8, 3, v13
	s_mov_b32 s13, exec_lo
	v_and_b32_sdwa v6, v12, v6 dst_sel:DWORD dst_unused:UNUSED_PAD src0_sel:BYTE_3 src1_sel:DWORD
	v_cmpx_gt_u32_e32 8, v13
; %bb.1035:                             ;   in Loop: Header=BB225_803 Depth=1
	v_ffbh_u32_e32 v8, v6
	v_min_u32_e32 v8, 32, v8
	v_subrev_nc_u32_e32 v10, 28, v8
	v_sub_nc_u32_e32 v8, 29, v8
	v_lshlrev_b64 v[22:23], v10, v[6:7]
	v_and_b32_e32 v6, 7, v22
; %bb.1036:                             ;   in Loop: Header=BB225_803 Depth=1
	s_or_b32 exec_lo, exec_lo, s13
	v_mov_b32_e32 v10, 24
	v_lshlrev_b32_e32 v6, 20, v6
	v_lshl_add_u32 v8, v8, 23, 0x3c000000
	v_mov_b32_e32 v22, v7
	v_lshlrev_b32_sdwa v10, v10, v12 dst_sel:DWORD dst_unused:UNUSED_PAD src0_sel:DWORD src1_sel:BYTE_3
	v_and_b32_e32 v10, 0x80000000, v10
	v_or3_b32 v23, v6, v10, v8
.LBB225_1037:                           ;   in Loop: Header=BB225_803 Depth=1
	s_or_b32 exec_lo, exec_lo, s12
.LBB225_1038:                           ;   in Loop: Header=BB225_803 Depth=1
	s_or_b32 exec_lo, exec_lo, s11
.LBB225_1039:                           ;   in Loop: Header=BB225_803 Depth=1
	s_or_b32 exec_lo, exec_lo, s9
	v_or_b32_e32 v6, v19, v17
	v_or_b32_e32 v8, v18, v16
	;; [unrolled: 1-line block ×4, first 2 shown]
	v_mul_f32_e32 v60, v85, v6
	v_mul_f32_e32 v61, v68, v8
	;; [unrolled: 1-line block ×4, first 2 shown]
	s_and_saveexec_b32 s9, vcc_lo
	s_cbranch_execz .LBB225_1041
; %bb.1040:                             ;   in Loop: Header=BB225_803 Depth=1
	v_cmp_lt_i32_e64 s4, v102, v118
	v_cndmask_b32_e64 v61, 0, v61, s4
	v_cmp_lt_i32_e64 s4, v112, v118
	v_cndmask_b32_e64 v60, 0, v60, s4
	;; [unrolled: 2-line block ×4, first 2 shown]
.LBB225_1041:                           ;   in Loop: Header=BB225_803 Depth=1
	s_or_b32 exec_lo, exec_lo, s9
	flat_load_dword v12, v[4:5] offset:896
	v_mov_b32_e32 v18, 0
	v_mov_b32_e32 v16, 0
	;; [unrolled: 1-line block ×4, first 2 shown]
	s_waitcnt vmcnt(0) lgkmcnt(0)
	v_cmp_ne_u16_sdwa s4, v12, v7 src0_sel:BYTE_0 src1_sel:DWORD
	s_and_saveexec_b32 s9, s4
	s_cbranch_execz .LBB225_1049
; %bb.1042:                             ;   in Loop: Header=BB225_803 Depth=1
	v_bfrev_b32_e32 v16, 1
	v_mov_b32_e32 v17, 0
	v_cmp_ne_u16_sdwa s4, v12, v70 src0_sel:BYTE_0 src1_sel:DWORD
	s_and_saveexec_b32 s11, s4
	s_cbranch_execz .LBB225_1048
; %bb.1043:                             ;   in Loop: Header=BB225_803 Depth=1
	v_mov_b32_e32 v16, 0x7f800001
	v_and_b32_e32 v10, 0x7f, v12
	v_mov_b32_e32 v17, 0
	s_mov_b32 s12, exec_lo
	v_cmpx_ne_u32_e32 0x7f, v10
	s_cbranch_execz .LBB225_1047
; %bb.1044:                             ;   in Loop: Header=BB225_803 Depth=1
	v_and_b32_e32 v6, 7, v12
	v_lshrrev_b32_e32 v8, 3, v10
	s_mov_b32 s13, exec_lo
	v_cmpx_gt_u32_e32 8, v10
; %bb.1045:                             ;   in Loop: Header=BB225_803 Depth=1
	v_ffbh_u32_e32 v8, v6
	v_min_u32_e32 v8, 32, v8
	v_subrev_nc_u32_e32 v10, 28, v8
	v_sub_nc_u32_e32 v8, 29, v8
	v_lshlrev_b64 v[16:17], v10, v[6:7]
	v_and_b32_e32 v6, 7, v16
; %bb.1046:                             ;   in Loop: Header=BB225_803 Depth=1
	s_or_b32 exec_lo, exec_lo, s13
	v_lshlrev_b32_e32 v10, 24, v12
	v_lshlrev_b32_e32 v6, 20, v6
	v_lshl_add_u32 v8, v8, 23, 0x3c000000
	v_and_b32_e32 v10, 0x80000000, v10
	v_or3_b32 v6, v6, v10, v8
	v_mov_b32_e32 v17, v7
	v_mov_b32_e32 v16, v6
.LBB225_1047:                           ;   in Loop: Header=BB225_803 Depth=1
	s_or_b32 exec_lo, exec_lo, s12
.LBB225_1048:                           ;   in Loop: Header=BB225_803 Depth=1
	s_or_b32 exec_lo, exec_lo, s11
.LBB225_1049:                           ;   in Loop: Header=BB225_803 Depth=1
	s_or_b32 exec_lo, exec_lo, s9
	v_cmp_ne_u16_sdwa s4, v12, v7 src0_sel:BYTE_1 src1_sel:DWORD
	s_and_saveexec_b32 s9, s4
	s_cbranch_execz .LBB225_1057
; %bb.1050:                             ;   in Loop: Header=BB225_803 Depth=1
	v_mov_b32_e32 v8, v7
	v_mov_b32_e32 v19, v9
	v_cmp_ne_u16_sdwa s4, v12, v70 src0_sel:BYTE_1 src1_sel:DWORD
	v_mov_b32_e32 v18, v8
	s_and_saveexec_b32 s11, s4
	s_cbranch_execz .LBB225_1056
; %bb.1051:                             ;   in Loop: Header=BB225_803 Depth=1
	v_mov_b32_e32 v6, 0xffff
	v_mov_b32_e32 v10, v7
	;; [unrolled: 1-line block ×3, first 2 shown]
	s_mov_b32 s12, exec_lo
	v_and_b32_sdwa v6, v6, v12 dst_sel:DWORD dst_unused:UNUSED_PAD src0_sel:DWORD src1_sel:BYTE_1
	v_mov_b32_e32 v18, v10
	v_and_b32_e32 v13, 0x7f, v6
	v_cmpx_ne_u32_e32 0x7f, v13
	s_cbranch_execz .LBB225_1055
; %bb.1052:                             ;   in Loop: Header=BB225_803 Depth=1
	v_and_b32_e32 v6, 7, v6
	v_lshrrev_b32_e32 v8, 3, v13
	s_mov_b32 s13, exec_lo
	v_cmpx_gt_u32_e32 8, v13
; %bb.1053:                             ;   in Loop: Header=BB225_803 Depth=1
	v_ffbh_u32_e32 v8, v6
	v_min_u32_e32 v8, 32, v8
	v_subrev_nc_u32_e32 v10, 28, v8
	v_sub_nc_u32_e32 v8, 29, v8
	v_lshlrev_b64 v[18:19], v10, v[6:7]
	v_and_b32_e32 v6, 7, v18
; %bb.1054:                             ;   in Loop: Header=BB225_803 Depth=1
	s_or_b32 exec_lo, exec_lo, s13
	v_lshlrev_b32_e32 v10, 16, v12
	v_lshlrev_b32_e32 v6, 20, v6
	v_lshl_add_u32 v8, v8, 23, 0x3c000000
	v_mov_b32_e32 v18, v7
	v_and_b32_e32 v10, 0x80000000, v10
	v_or3_b32 v19, v6, v10, v8
.LBB225_1055:                           ;   in Loop: Header=BB225_803 Depth=1
	s_or_b32 exec_lo, exec_lo, s12
.LBB225_1056:                           ;   in Loop: Header=BB225_803 Depth=1
	s_or_b32 exec_lo, exec_lo, s11
.LBB225_1057:                           ;   in Loop: Header=BB225_803 Depth=1
	s_or_b32 exec_lo, exec_lo, s9
	v_mov_b32_e32 v22, 0
	v_mov_b32_e32 v20, 0
	v_and_b32_sdwa v6, v12, v80 dst_sel:DWORD dst_unused:UNUSED_PAD src0_sel:WORD_1 src1_sel:DWORD
	v_mov_b32_e32 v23, 0
	v_mov_b32_e32 v21, 0
	s_mov_b32 s9, exec_lo
	v_cmpx_ne_u16_e32 0, v6
	s_cbranch_execz .LBB225_1065
; %bb.1058:                             ;   in Loop: Header=BB225_803 Depth=1
	v_bfrev_b32_e32 v20, 1
	v_mov_b32_e32 v21, 0
	s_mov_b32 s11, exec_lo
	v_cmpx_ne_u16_e32 0x80, v6
	s_cbranch_execz .LBB225_1064
; %bb.1059:                             ;   in Loop: Header=BB225_803 Depth=1
	v_mov_b32_e32 v20, 0x7f800001
	v_bfe_u32 v10, v12, 16, 7
	v_mov_b32_e32 v21, 0
	s_mov_b32 s12, exec_lo
	v_cmpx_ne_u32_e32 0x7f, v10
	s_cbranch_execz .LBB225_1063
; %bb.1060:                             ;   in Loop: Header=BB225_803 Depth=1
	v_mov_b32_e32 v6, 7
	v_lshrrev_b32_e32 v8, 3, v10
	s_mov_b32 s13, exec_lo
	v_and_b32_sdwa v6, v12, v6 dst_sel:DWORD dst_unused:UNUSED_PAD src0_sel:WORD_1 src1_sel:DWORD
	v_cmpx_gt_u32_e32 8, v10
; %bb.1061:                             ;   in Loop: Header=BB225_803 Depth=1
	v_ffbh_u32_e32 v8, v6
	v_min_u32_e32 v8, 32, v8
	v_subrev_nc_u32_e32 v10, 28, v8
	v_sub_nc_u32_e32 v8, 29, v8
	v_lshlrev_b64 v[20:21], v10, v[6:7]
	v_and_b32_e32 v6, 7, v20
; %bb.1062:                             ;   in Loop: Header=BB225_803 Depth=1
	s_or_b32 exec_lo, exec_lo, s13
	v_mov_b32_e32 v10, 24
	v_lshlrev_b32_e32 v6, 20, v6
	v_lshl_add_u32 v8, v8, 23, 0x3c000000
	v_lshlrev_b32_sdwa v10, v10, v12 dst_sel:DWORD dst_unused:UNUSED_PAD src0_sel:DWORD src1_sel:WORD_1
	v_and_b32_e32 v10, 0x80000000, v10
	v_or3_b32 v6, v6, v10, v8
	v_mov_b32_e32 v21, v7
	v_mov_b32_e32 v20, v6
.LBB225_1063:                           ;   in Loop: Header=BB225_803 Depth=1
	s_or_b32 exec_lo, exec_lo, s12
.LBB225_1064:                           ;   in Loop: Header=BB225_803 Depth=1
	s_or_b32 exec_lo, exec_lo, s11
.LBB225_1065:                           ;   in Loop: Header=BB225_803 Depth=1
	s_or_b32 exec_lo, exec_lo, s9
	s_mov_b32 s9, exec_lo
	v_cmpx_lt_u32_e32 0xffffff, v12
	s_cbranch_execz .LBB225_1073
; %bb.1066:                             ;   in Loop: Header=BB225_803 Depth=1
	v_mov_b32_e32 v8, v7
	v_mov_b32_e32 v23, v9
	v_cmp_ne_u32_sdwa s4, v12, v70 src0_sel:BYTE_3 src1_sel:DWORD
	v_mov_b32_e32 v22, v8
	s_and_saveexec_b32 s11, s4
	s_cbranch_execz .LBB225_1072
; %bb.1067:                             ;   in Loop: Header=BB225_803 Depth=1
	v_mov_b32_e32 v10, v7
	v_mov_b32_e32 v23, v11
	v_bfe_u32 v13, v12, 24, 7
	s_mov_b32 s12, exec_lo
	v_mov_b32_e32 v22, v10
	v_cmpx_ne_u32_e32 0x7f, v13
	s_cbranch_execz .LBB225_1071
; %bb.1068:                             ;   in Loop: Header=BB225_803 Depth=1
	v_mov_b32_e32 v6, 7
	v_lshrrev_b32_e32 v8, 3, v13
	s_mov_b32 s13, exec_lo
	v_and_b32_sdwa v6, v12, v6 dst_sel:DWORD dst_unused:UNUSED_PAD src0_sel:BYTE_3 src1_sel:DWORD
	v_cmpx_gt_u32_e32 8, v13
; %bb.1069:                             ;   in Loop: Header=BB225_803 Depth=1
	v_ffbh_u32_e32 v8, v6
	v_min_u32_e32 v8, 32, v8
	v_subrev_nc_u32_e32 v10, 28, v8
	v_sub_nc_u32_e32 v8, 29, v8
	v_lshlrev_b64 v[22:23], v10, v[6:7]
	v_and_b32_e32 v6, 7, v22
; %bb.1070:                             ;   in Loop: Header=BB225_803 Depth=1
	s_or_b32 exec_lo, exec_lo, s13
	v_mov_b32_e32 v10, 24
	v_lshlrev_b32_e32 v6, 20, v6
	v_lshl_add_u32 v8, v8, 23, 0x3c000000
	v_mov_b32_e32 v22, v7
	v_lshlrev_b32_sdwa v10, v10, v12 dst_sel:DWORD dst_unused:UNUSED_PAD src0_sel:DWORD src1_sel:BYTE_3
	v_and_b32_e32 v10, 0x80000000, v10
	v_or3_b32 v23, v6, v10, v8
.LBB225_1071:                           ;   in Loop: Header=BB225_803 Depth=1
	s_or_b32 exec_lo, exec_lo, s12
.LBB225_1072:                           ;   in Loop: Header=BB225_803 Depth=1
	s_or_b32 exec_lo, exec_lo, s11
.LBB225_1073:                           ;   in Loop: Header=BB225_803 Depth=1
	s_or_b32 exec_lo, exec_lo, s9
	v_or_b32_e32 v6, v19, v17
	v_or_b32_e32 v8, v18, v16
	;; [unrolled: 1-line block ×4, first 2 shown]
	v_mul_f32_e32 v72, v85, v6
	v_mul_f32_e32 v73, v68, v8
	;; [unrolled: 1-line block ×4, first 2 shown]
	s_and_saveexec_b32 s9, vcc_lo
	s_cbranch_execz .LBB225_1075
; %bb.1074:                             ;   in Loop: Header=BB225_803 Depth=1
	v_cmp_lt_i32_e64 s4, v102, v118
	v_cndmask_b32_e64 v73, 0, v73, s4
	v_cmp_lt_i32_e64 s4, v112, v118
	v_cndmask_b32_e64 v72, 0, v72, s4
	;; [unrolled: 2-line block ×4, first 2 shown]
.LBB225_1075:                           ;   in Loop: Header=BB225_803 Depth=1
	s_or_b32 exec_lo, exec_lo, s9
	flat_load_dword v12, v[4:5] offset:1024
	v_mov_b32_e32 v18, 0
	v_mov_b32_e32 v16, 0
	;; [unrolled: 1-line block ×4, first 2 shown]
	s_waitcnt vmcnt(0) lgkmcnt(0)
	v_cmp_ne_u16_sdwa s4, v12, v7 src0_sel:BYTE_0 src1_sel:DWORD
	s_and_saveexec_b32 s9, s4
	s_cbranch_execz .LBB225_1083
; %bb.1076:                             ;   in Loop: Header=BB225_803 Depth=1
	v_bfrev_b32_e32 v16, 1
	v_mov_b32_e32 v17, 0
	v_cmp_ne_u16_sdwa s4, v12, v70 src0_sel:BYTE_0 src1_sel:DWORD
	s_and_saveexec_b32 s11, s4
	s_cbranch_execz .LBB225_1082
; %bb.1077:                             ;   in Loop: Header=BB225_803 Depth=1
	v_mov_b32_e32 v16, 0x7f800001
	v_and_b32_e32 v10, 0x7f, v12
	v_mov_b32_e32 v17, 0
	s_mov_b32 s12, exec_lo
	v_cmpx_ne_u32_e32 0x7f, v10
	s_cbranch_execz .LBB225_1081
; %bb.1078:                             ;   in Loop: Header=BB225_803 Depth=1
	v_and_b32_e32 v6, 7, v12
	v_lshrrev_b32_e32 v8, 3, v10
	s_mov_b32 s13, exec_lo
	v_cmpx_gt_u32_e32 8, v10
; %bb.1079:                             ;   in Loop: Header=BB225_803 Depth=1
	v_ffbh_u32_e32 v8, v6
	v_min_u32_e32 v8, 32, v8
	v_subrev_nc_u32_e32 v10, 28, v8
	v_sub_nc_u32_e32 v8, 29, v8
	v_lshlrev_b64 v[16:17], v10, v[6:7]
	v_and_b32_e32 v6, 7, v16
; %bb.1080:                             ;   in Loop: Header=BB225_803 Depth=1
	s_or_b32 exec_lo, exec_lo, s13
	v_lshlrev_b32_e32 v10, 24, v12
	v_lshlrev_b32_e32 v6, 20, v6
	v_lshl_add_u32 v8, v8, 23, 0x3c000000
	v_and_b32_e32 v10, 0x80000000, v10
	v_or3_b32 v6, v6, v10, v8
	v_mov_b32_e32 v17, v7
	v_mov_b32_e32 v16, v6
.LBB225_1081:                           ;   in Loop: Header=BB225_803 Depth=1
	s_or_b32 exec_lo, exec_lo, s12
.LBB225_1082:                           ;   in Loop: Header=BB225_803 Depth=1
	s_or_b32 exec_lo, exec_lo, s11
.LBB225_1083:                           ;   in Loop: Header=BB225_803 Depth=1
	s_or_b32 exec_lo, exec_lo, s9
	v_cmp_ne_u16_sdwa s4, v12, v7 src0_sel:BYTE_1 src1_sel:DWORD
	s_and_saveexec_b32 s9, s4
	s_cbranch_execz .LBB225_1091
; %bb.1084:                             ;   in Loop: Header=BB225_803 Depth=1
	v_mov_b32_e32 v8, v7
	v_mov_b32_e32 v19, v9
	v_cmp_ne_u16_sdwa s4, v12, v70 src0_sel:BYTE_1 src1_sel:DWORD
	v_mov_b32_e32 v18, v8
	s_and_saveexec_b32 s11, s4
	s_cbranch_execz .LBB225_1090
; %bb.1085:                             ;   in Loop: Header=BB225_803 Depth=1
	v_mov_b32_e32 v6, 0xffff
	v_mov_b32_e32 v10, v7
	;; [unrolled: 1-line block ×3, first 2 shown]
	s_mov_b32 s12, exec_lo
	v_and_b32_sdwa v6, v6, v12 dst_sel:DWORD dst_unused:UNUSED_PAD src0_sel:DWORD src1_sel:BYTE_1
	v_mov_b32_e32 v18, v10
	v_and_b32_e32 v13, 0x7f, v6
	v_cmpx_ne_u32_e32 0x7f, v13
	s_cbranch_execz .LBB225_1089
; %bb.1086:                             ;   in Loop: Header=BB225_803 Depth=1
	v_and_b32_e32 v6, 7, v6
	v_lshrrev_b32_e32 v8, 3, v13
	s_mov_b32 s13, exec_lo
	v_cmpx_gt_u32_e32 8, v13
; %bb.1087:                             ;   in Loop: Header=BB225_803 Depth=1
	v_ffbh_u32_e32 v8, v6
	v_min_u32_e32 v8, 32, v8
	v_subrev_nc_u32_e32 v10, 28, v8
	v_sub_nc_u32_e32 v8, 29, v8
	v_lshlrev_b64 v[18:19], v10, v[6:7]
	v_and_b32_e32 v6, 7, v18
; %bb.1088:                             ;   in Loop: Header=BB225_803 Depth=1
	s_or_b32 exec_lo, exec_lo, s13
	v_lshlrev_b32_e32 v10, 16, v12
	v_lshlrev_b32_e32 v6, 20, v6
	v_lshl_add_u32 v8, v8, 23, 0x3c000000
	v_mov_b32_e32 v18, v7
	v_and_b32_e32 v10, 0x80000000, v10
	v_or3_b32 v19, v6, v10, v8
.LBB225_1089:                           ;   in Loop: Header=BB225_803 Depth=1
	s_or_b32 exec_lo, exec_lo, s12
.LBB225_1090:                           ;   in Loop: Header=BB225_803 Depth=1
	s_or_b32 exec_lo, exec_lo, s11
.LBB225_1091:                           ;   in Loop: Header=BB225_803 Depth=1
	s_or_b32 exec_lo, exec_lo, s9
	v_mov_b32_e32 v22, 0
	v_mov_b32_e32 v20, 0
	v_and_b32_sdwa v6, v12, v80 dst_sel:DWORD dst_unused:UNUSED_PAD src0_sel:WORD_1 src1_sel:DWORD
	v_mov_b32_e32 v23, 0
	v_mov_b32_e32 v21, 0
	s_mov_b32 s9, exec_lo
	v_cmpx_ne_u16_e32 0, v6
	s_cbranch_execz .LBB225_1099
; %bb.1092:                             ;   in Loop: Header=BB225_803 Depth=1
	v_bfrev_b32_e32 v20, 1
	v_mov_b32_e32 v21, 0
	s_mov_b32 s11, exec_lo
	v_cmpx_ne_u16_e32 0x80, v6
	s_cbranch_execz .LBB225_1098
; %bb.1093:                             ;   in Loop: Header=BB225_803 Depth=1
	v_mov_b32_e32 v20, 0x7f800001
	v_bfe_u32 v10, v12, 16, 7
	v_mov_b32_e32 v21, 0
	s_mov_b32 s12, exec_lo
	v_cmpx_ne_u32_e32 0x7f, v10
	s_cbranch_execz .LBB225_1097
; %bb.1094:                             ;   in Loop: Header=BB225_803 Depth=1
	v_mov_b32_e32 v6, 7
	v_lshrrev_b32_e32 v8, 3, v10
	s_mov_b32 s13, exec_lo
	v_and_b32_sdwa v6, v12, v6 dst_sel:DWORD dst_unused:UNUSED_PAD src0_sel:WORD_1 src1_sel:DWORD
	v_cmpx_gt_u32_e32 8, v10
; %bb.1095:                             ;   in Loop: Header=BB225_803 Depth=1
	v_ffbh_u32_e32 v8, v6
	v_min_u32_e32 v8, 32, v8
	v_subrev_nc_u32_e32 v10, 28, v8
	v_sub_nc_u32_e32 v8, 29, v8
	v_lshlrev_b64 v[20:21], v10, v[6:7]
	v_and_b32_e32 v6, 7, v20
; %bb.1096:                             ;   in Loop: Header=BB225_803 Depth=1
	s_or_b32 exec_lo, exec_lo, s13
	v_mov_b32_e32 v10, 24
	v_lshlrev_b32_e32 v6, 20, v6
	v_lshl_add_u32 v8, v8, 23, 0x3c000000
	v_lshlrev_b32_sdwa v10, v10, v12 dst_sel:DWORD dst_unused:UNUSED_PAD src0_sel:DWORD src1_sel:WORD_1
	v_and_b32_e32 v10, 0x80000000, v10
	v_or3_b32 v6, v6, v10, v8
	v_mov_b32_e32 v21, v7
	v_mov_b32_e32 v20, v6
.LBB225_1097:                           ;   in Loop: Header=BB225_803 Depth=1
	s_or_b32 exec_lo, exec_lo, s12
.LBB225_1098:                           ;   in Loop: Header=BB225_803 Depth=1
	s_or_b32 exec_lo, exec_lo, s11
.LBB225_1099:                           ;   in Loop: Header=BB225_803 Depth=1
	s_or_b32 exec_lo, exec_lo, s9
	s_mov_b32 s9, exec_lo
	v_cmpx_lt_u32_e32 0xffffff, v12
	s_cbranch_execz .LBB225_1107
; %bb.1100:                             ;   in Loop: Header=BB225_803 Depth=1
	v_mov_b32_e32 v8, v7
	v_mov_b32_e32 v23, v9
	v_cmp_ne_u32_sdwa s4, v12, v70 src0_sel:BYTE_3 src1_sel:DWORD
	v_mov_b32_e32 v22, v8
	s_and_saveexec_b32 s11, s4
	s_cbranch_execz .LBB225_1106
; %bb.1101:                             ;   in Loop: Header=BB225_803 Depth=1
	v_mov_b32_e32 v10, v7
	v_mov_b32_e32 v23, v11
	v_bfe_u32 v13, v12, 24, 7
	s_mov_b32 s12, exec_lo
	v_mov_b32_e32 v22, v10
	v_cmpx_ne_u32_e32 0x7f, v13
	s_cbranch_execz .LBB225_1105
; %bb.1102:                             ;   in Loop: Header=BB225_803 Depth=1
	v_mov_b32_e32 v6, 7
	v_lshrrev_b32_e32 v8, 3, v13
	s_mov_b32 s13, exec_lo
	v_and_b32_sdwa v6, v12, v6 dst_sel:DWORD dst_unused:UNUSED_PAD src0_sel:BYTE_3 src1_sel:DWORD
	v_cmpx_gt_u32_e32 8, v13
; %bb.1103:                             ;   in Loop: Header=BB225_803 Depth=1
	v_ffbh_u32_e32 v8, v6
	v_min_u32_e32 v8, 32, v8
	v_subrev_nc_u32_e32 v10, 28, v8
	v_sub_nc_u32_e32 v8, 29, v8
	v_lshlrev_b64 v[22:23], v10, v[6:7]
	v_and_b32_e32 v6, 7, v22
; %bb.1104:                             ;   in Loop: Header=BB225_803 Depth=1
	s_or_b32 exec_lo, exec_lo, s13
	v_mov_b32_e32 v10, 24
	v_lshlrev_b32_e32 v6, 20, v6
	v_lshl_add_u32 v8, v8, 23, 0x3c000000
	v_mov_b32_e32 v22, v7
	v_lshlrev_b32_sdwa v10, v10, v12 dst_sel:DWORD dst_unused:UNUSED_PAD src0_sel:DWORD src1_sel:BYTE_3
	v_and_b32_e32 v10, 0x80000000, v10
	v_or3_b32 v23, v6, v10, v8
.LBB225_1105:                           ;   in Loop: Header=BB225_803 Depth=1
	s_or_b32 exec_lo, exec_lo, s12
.LBB225_1106:                           ;   in Loop: Header=BB225_803 Depth=1
	s_or_b32 exec_lo, exec_lo, s11
.LBB225_1107:                           ;   in Loop: Header=BB225_803 Depth=1
	s_or_b32 exec_lo, exec_lo, s9
	v_or_b32_e32 v6, v19, v17
	v_or_b32_e32 v8, v18, v16
	v_or_b32_e32 v10, v22, v20
	v_or_b32_e32 v12, v23, v21
	v_mul_f32_e32 v77, v85, v6
	v_mul_f32_e32 v76, v68, v8
	;; [unrolled: 1-line block ×4, first 2 shown]
	s_and_saveexec_b32 s9, vcc_lo
	s_cbranch_execz .LBB225_1109
; %bb.1108:                             ;   in Loop: Header=BB225_803 Depth=1
	v_cmp_lt_i32_e64 s4, v102, v118
	v_cndmask_b32_e64 v76, 0, v76, s4
	v_cmp_lt_i32_e64 s4, v112, v118
	v_cndmask_b32_e64 v77, 0, v77, s4
	;; [unrolled: 2-line block ×4, first 2 shown]
.LBB225_1109:                           ;   in Loop: Header=BB225_803 Depth=1
	s_or_b32 exec_lo, exec_lo, s9
	flat_load_dword v12, v[4:5] offset:1152
	v_mov_b32_e32 v18, 0
	v_mov_b32_e32 v16, 0
	;; [unrolled: 1-line block ×4, first 2 shown]
	s_waitcnt vmcnt(0) lgkmcnt(0)
	v_cmp_ne_u16_sdwa s4, v12, v7 src0_sel:BYTE_0 src1_sel:DWORD
	s_and_saveexec_b32 s9, s4
	s_cbranch_execz .LBB225_1117
; %bb.1110:                             ;   in Loop: Header=BB225_803 Depth=1
	v_bfrev_b32_e32 v16, 1
	v_mov_b32_e32 v17, 0
	v_cmp_ne_u16_sdwa s4, v12, v70 src0_sel:BYTE_0 src1_sel:DWORD
	s_and_saveexec_b32 s11, s4
	s_cbranch_execz .LBB225_1116
; %bb.1111:                             ;   in Loop: Header=BB225_803 Depth=1
	v_mov_b32_e32 v16, 0x7f800001
	v_and_b32_e32 v10, 0x7f, v12
	v_mov_b32_e32 v17, 0
	s_mov_b32 s12, exec_lo
	v_cmpx_ne_u32_e32 0x7f, v10
	s_cbranch_execz .LBB225_1115
; %bb.1112:                             ;   in Loop: Header=BB225_803 Depth=1
	v_and_b32_e32 v6, 7, v12
	v_lshrrev_b32_e32 v8, 3, v10
	s_mov_b32 s13, exec_lo
	v_cmpx_gt_u32_e32 8, v10
; %bb.1113:                             ;   in Loop: Header=BB225_803 Depth=1
	v_ffbh_u32_e32 v8, v6
	v_min_u32_e32 v8, 32, v8
	v_subrev_nc_u32_e32 v10, 28, v8
	v_sub_nc_u32_e32 v8, 29, v8
	v_lshlrev_b64 v[16:17], v10, v[6:7]
	v_and_b32_e32 v6, 7, v16
; %bb.1114:                             ;   in Loop: Header=BB225_803 Depth=1
	s_or_b32 exec_lo, exec_lo, s13
	v_lshlrev_b32_e32 v10, 24, v12
	v_lshlrev_b32_e32 v6, 20, v6
	v_lshl_add_u32 v8, v8, 23, 0x3c000000
	v_and_b32_e32 v10, 0x80000000, v10
	v_or3_b32 v6, v6, v10, v8
	v_mov_b32_e32 v17, v7
	v_mov_b32_e32 v16, v6
.LBB225_1115:                           ;   in Loop: Header=BB225_803 Depth=1
	s_or_b32 exec_lo, exec_lo, s12
.LBB225_1116:                           ;   in Loop: Header=BB225_803 Depth=1
	s_or_b32 exec_lo, exec_lo, s11
.LBB225_1117:                           ;   in Loop: Header=BB225_803 Depth=1
	s_or_b32 exec_lo, exec_lo, s9
	v_cmp_ne_u16_sdwa s4, v12, v7 src0_sel:BYTE_1 src1_sel:DWORD
	s_and_saveexec_b32 s9, s4
	s_cbranch_execz .LBB225_1125
; %bb.1118:                             ;   in Loop: Header=BB225_803 Depth=1
	v_mov_b32_e32 v8, v7
	v_mov_b32_e32 v19, v9
	v_cmp_ne_u16_sdwa s4, v12, v70 src0_sel:BYTE_1 src1_sel:DWORD
	v_mov_b32_e32 v18, v8
	s_and_saveexec_b32 s11, s4
	s_cbranch_execz .LBB225_1124
; %bb.1119:                             ;   in Loop: Header=BB225_803 Depth=1
	v_mov_b32_e32 v6, 0xffff
	v_mov_b32_e32 v10, v7
	v_mov_b32_e32 v19, v11
	s_mov_b32 s12, exec_lo
	v_and_b32_sdwa v6, v6, v12 dst_sel:DWORD dst_unused:UNUSED_PAD src0_sel:DWORD src1_sel:BYTE_1
	v_mov_b32_e32 v18, v10
	v_and_b32_e32 v13, 0x7f, v6
	v_cmpx_ne_u32_e32 0x7f, v13
	s_cbranch_execz .LBB225_1123
; %bb.1120:                             ;   in Loop: Header=BB225_803 Depth=1
	v_and_b32_e32 v6, 7, v6
	v_lshrrev_b32_e32 v8, 3, v13
	s_mov_b32 s13, exec_lo
	v_cmpx_gt_u32_e32 8, v13
; %bb.1121:                             ;   in Loop: Header=BB225_803 Depth=1
	v_ffbh_u32_e32 v8, v6
	v_min_u32_e32 v8, 32, v8
	v_subrev_nc_u32_e32 v10, 28, v8
	v_sub_nc_u32_e32 v8, 29, v8
	v_lshlrev_b64 v[18:19], v10, v[6:7]
	v_and_b32_e32 v6, 7, v18
; %bb.1122:                             ;   in Loop: Header=BB225_803 Depth=1
	s_or_b32 exec_lo, exec_lo, s13
	v_lshlrev_b32_e32 v10, 16, v12
	v_lshlrev_b32_e32 v6, 20, v6
	v_lshl_add_u32 v8, v8, 23, 0x3c000000
	v_mov_b32_e32 v18, v7
	v_and_b32_e32 v10, 0x80000000, v10
	v_or3_b32 v19, v6, v10, v8
.LBB225_1123:                           ;   in Loop: Header=BB225_803 Depth=1
	s_or_b32 exec_lo, exec_lo, s12
.LBB225_1124:                           ;   in Loop: Header=BB225_803 Depth=1
	s_or_b32 exec_lo, exec_lo, s11
.LBB225_1125:                           ;   in Loop: Header=BB225_803 Depth=1
	s_or_b32 exec_lo, exec_lo, s9
	v_mov_b32_e32 v22, 0
	v_mov_b32_e32 v20, 0
	v_and_b32_sdwa v6, v12, v80 dst_sel:DWORD dst_unused:UNUSED_PAD src0_sel:WORD_1 src1_sel:DWORD
	v_mov_b32_e32 v23, 0
	v_mov_b32_e32 v21, 0
	s_mov_b32 s9, exec_lo
	v_cmpx_ne_u16_e32 0, v6
	s_cbranch_execz .LBB225_1133
; %bb.1126:                             ;   in Loop: Header=BB225_803 Depth=1
	v_bfrev_b32_e32 v20, 1
	v_mov_b32_e32 v21, 0
	s_mov_b32 s11, exec_lo
	v_cmpx_ne_u16_e32 0x80, v6
	s_cbranch_execz .LBB225_1132
; %bb.1127:                             ;   in Loop: Header=BB225_803 Depth=1
	v_mov_b32_e32 v20, 0x7f800001
	v_bfe_u32 v10, v12, 16, 7
	v_mov_b32_e32 v21, 0
	s_mov_b32 s12, exec_lo
	v_cmpx_ne_u32_e32 0x7f, v10
	s_cbranch_execz .LBB225_1131
; %bb.1128:                             ;   in Loop: Header=BB225_803 Depth=1
	v_mov_b32_e32 v6, 7
	v_lshrrev_b32_e32 v8, 3, v10
	s_mov_b32 s13, exec_lo
	v_and_b32_sdwa v6, v12, v6 dst_sel:DWORD dst_unused:UNUSED_PAD src0_sel:WORD_1 src1_sel:DWORD
	v_cmpx_gt_u32_e32 8, v10
; %bb.1129:                             ;   in Loop: Header=BB225_803 Depth=1
	v_ffbh_u32_e32 v8, v6
	v_min_u32_e32 v8, 32, v8
	v_subrev_nc_u32_e32 v10, 28, v8
	v_sub_nc_u32_e32 v8, 29, v8
	v_lshlrev_b64 v[20:21], v10, v[6:7]
	v_and_b32_e32 v6, 7, v20
; %bb.1130:                             ;   in Loop: Header=BB225_803 Depth=1
	s_or_b32 exec_lo, exec_lo, s13
	v_mov_b32_e32 v10, 24
	v_lshlrev_b32_e32 v6, 20, v6
	v_lshl_add_u32 v8, v8, 23, 0x3c000000
	v_lshlrev_b32_sdwa v10, v10, v12 dst_sel:DWORD dst_unused:UNUSED_PAD src0_sel:DWORD src1_sel:WORD_1
	v_and_b32_e32 v10, 0x80000000, v10
	v_or3_b32 v6, v6, v10, v8
	v_mov_b32_e32 v21, v7
	v_mov_b32_e32 v20, v6
.LBB225_1131:                           ;   in Loop: Header=BB225_803 Depth=1
	s_or_b32 exec_lo, exec_lo, s12
.LBB225_1132:                           ;   in Loop: Header=BB225_803 Depth=1
	s_or_b32 exec_lo, exec_lo, s11
.LBB225_1133:                           ;   in Loop: Header=BB225_803 Depth=1
	s_or_b32 exec_lo, exec_lo, s9
	s_mov_b32 s9, exec_lo
	v_cmpx_lt_u32_e32 0xffffff, v12
	s_cbranch_execz .LBB225_1141
; %bb.1134:                             ;   in Loop: Header=BB225_803 Depth=1
	v_mov_b32_e32 v8, v7
	v_mov_b32_e32 v23, v9
	v_cmp_ne_u32_sdwa s4, v12, v70 src0_sel:BYTE_3 src1_sel:DWORD
	v_mov_b32_e32 v22, v8
	s_and_saveexec_b32 s11, s4
	s_cbranch_execz .LBB225_1140
; %bb.1135:                             ;   in Loop: Header=BB225_803 Depth=1
	v_mov_b32_e32 v10, v7
	v_mov_b32_e32 v23, v11
	v_bfe_u32 v13, v12, 24, 7
	s_mov_b32 s12, exec_lo
	v_mov_b32_e32 v22, v10
	v_cmpx_ne_u32_e32 0x7f, v13
	s_cbranch_execz .LBB225_1139
; %bb.1136:                             ;   in Loop: Header=BB225_803 Depth=1
	v_mov_b32_e32 v6, 7
	v_lshrrev_b32_e32 v8, 3, v13
	s_mov_b32 s13, exec_lo
	v_and_b32_sdwa v6, v12, v6 dst_sel:DWORD dst_unused:UNUSED_PAD src0_sel:BYTE_3 src1_sel:DWORD
	v_cmpx_gt_u32_e32 8, v13
; %bb.1137:                             ;   in Loop: Header=BB225_803 Depth=1
	v_ffbh_u32_e32 v8, v6
	v_min_u32_e32 v8, 32, v8
	v_subrev_nc_u32_e32 v10, 28, v8
	v_sub_nc_u32_e32 v8, 29, v8
	v_lshlrev_b64 v[22:23], v10, v[6:7]
	v_and_b32_e32 v6, 7, v22
; %bb.1138:                             ;   in Loop: Header=BB225_803 Depth=1
	s_or_b32 exec_lo, exec_lo, s13
	v_mov_b32_e32 v10, 24
	v_lshlrev_b32_e32 v6, 20, v6
	v_lshl_add_u32 v8, v8, 23, 0x3c000000
	v_mov_b32_e32 v22, v7
	v_lshlrev_b32_sdwa v10, v10, v12 dst_sel:DWORD dst_unused:UNUSED_PAD src0_sel:DWORD src1_sel:BYTE_3
	v_and_b32_e32 v10, 0x80000000, v10
	v_or3_b32 v23, v6, v10, v8
.LBB225_1139:                           ;   in Loop: Header=BB225_803 Depth=1
	s_or_b32 exec_lo, exec_lo, s12
.LBB225_1140:                           ;   in Loop: Header=BB225_803 Depth=1
	s_or_b32 exec_lo, exec_lo, s11
.LBB225_1141:                           ;   in Loop: Header=BB225_803 Depth=1
	s_or_b32 exec_lo, exec_lo, s9
	v_or_b32_e32 v6, v19, v17
	v_or_b32_e32 v8, v18, v16
	;; [unrolled: 1-line block ×4, first 2 shown]
	v_mul_f32_e32 v89, v85, v6
	v_mul_f32_e32 v88, v68, v8
	;; [unrolled: 1-line block ×4, first 2 shown]
	s_and_saveexec_b32 s9, vcc_lo
	s_cbranch_execz .LBB225_1143
; %bb.1142:                             ;   in Loop: Header=BB225_803 Depth=1
	v_cmp_lt_i32_e64 s4, v102, v118
	v_cndmask_b32_e64 v88, 0, v88, s4
	v_cmp_lt_i32_e64 s4, v112, v118
	v_cndmask_b32_e64 v89, 0, v89, s4
	;; [unrolled: 2-line block ×4, first 2 shown]
.LBB225_1143:                           ;   in Loop: Header=BB225_803 Depth=1
	s_or_b32 exec_lo, exec_lo, s9
	flat_load_dword v12, v[4:5] offset:1280
	v_mov_b32_e32 v18, 0
	v_mov_b32_e32 v16, 0
	;; [unrolled: 1-line block ×4, first 2 shown]
	s_waitcnt vmcnt(0) lgkmcnt(0)
	v_cmp_ne_u16_sdwa s4, v12, v7 src0_sel:BYTE_0 src1_sel:DWORD
	s_and_saveexec_b32 s9, s4
	s_cbranch_execz .LBB225_1151
; %bb.1144:                             ;   in Loop: Header=BB225_803 Depth=1
	v_bfrev_b32_e32 v16, 1
	v_mov_b32_e32 v17, 0
	v_cmp_ne_u16_sdwa s4, v12, v70 src0_sel:BYTE_0 src1_sel:DWORD
	s_and_saveexec_b32 s11, s4
	s_cbranch_execz .LBB225_1150
; %bb.1145:                             ;   in Loop: Header=BB225_803 Depth=1
	v_mov_b32_e32 v16, 0x7f800001
	v_and_b32_e32 v10, 0x7f, v12
	v_mov_b32_e32 v17, 0
	s_mov_b32 s12, exec_lo
	v_cmpx_ne_u32_e32 0x7f, v10
	s_cbranch_execz .LBB225_1149
; %bb.1146:                             ;   in Loop: Header=BB225_803 Depth=1
	v_and_b32_e32 v6, 7, v12
	v_lshrrev_b32_e32 v8, 3, v10
	s_mov_b32 s13, exec_lo
	v_cmpx_gt_u32_e32 8, v10
; %bb.1147:                             ;   in Loop: Header=BB225_803 Depth=1
	v_ffbh_u32_e32 v8, v6
	v_min_u32_e32 v8, 32, v8
	v_subrev_nc_u32_e32 v10, 28, v8
	v_sub_nc_u32_e32 v8, 29, v8
	v_lshlrev_b64 v[16:17], v10, v[6:7]
	v_and_b32_e32 v6, 7, v16
; %bb.1148:                             ;   in Loop: Header=BB225_803 Depth=1
	s_or_b32 exec_lo, exec_lo, s13
	v_lshlrev_b32_e32 v10, 24, v12
	v_lshlrev_b32_e32 v6, 20, v6
	v_lshl_add_u32 v8, v8, 23, 0x3c000000
	v_and_b32_e32 v10, 0x80000000, v10
	v_or3_b32 v6, v6, v10, v8
	v_mov_b32_e32 v17, v7
	v_mov_b32_e32 v16, v6
.LBB225_1149:                           ;   in Loop: Header=BB225_803 Depth=1
	s_or_b32 exec_lo, exec_lo, s12
.LBB225_1150:                           ;   in Loop: Header=BB225_803 Depth=1
	s_or_b32 exec_lo, exec_lo, s11
.LBB225_1151:                           ;   in Loop: Header=BB225_803 Depth=1
	s_or_b32 exec_lo, exec_lo, s9
	v_cmp_ne_u16_sdwa s4, v12, v7 src0_sel:BYTE_1 src1_sel:DWORD
	s_and_saveexec_b32 s9, s4
	s_cbranch_execz .LBB225_1159
; %bb.1152:                             ;   in Loop: Header=BB225_803 Depth=1
	v_mov_b32_e32 v8, v7
	v_mov_b32_e32 v19, v9
	v_cmp_ne_u16_sdwa s4, v12, v70 src0_sel:BYTE_1 src1_sel:DWORD
	v_mov_b32_e32 v18, v8
	s_and_saveexec_b32 s11, s4
	s_cbranch_execz .LBB225_1158
; %bb.1153:                             ;   in Loop: Header=BB225_803 Depth=1
	v_mov_b32_e32 v6, 0xffff
	v_mov_b32_e32 v10, v7
	;; [unrolled: 1-line block ×3, first 2 shown]
	s_mov_b32 s12, exec_lo
	v_and_b32_sdwa v6, v6, v12 dst_sel:DWORD dst_unused:UNUSED_PAD src0_sel:DWORD src1_sel:BYTE_1
	v_mov_b32_e32 v18, v10
	v_and_b32_e32 v13, 0x7f, v6
	v_cmpx_ne_u32_e32 0x7f, v13
	s_cbranch_execz .LBB225_1157
; %bb.1154:                             ;   in Loop: Header=BB225_803 Depth=1
	v_and_b32_e32 v6, 7, v6
	v_lshrrev_b32_e32 v8, 3, v13
	s_mov_b32 s13, exec_lo
	v_cmpx_gt_u32_e32 8, v13
; %bb.1155:                             ;   in Loop: Header=BB225_803 Depth=1
	v_ffbh_u32_e32 v8, v6
	v_min_u32_e32 v8, 32, v8
	v_subrev_nc_u32_e32 v10, 28, v8
	v_sub_nc_u32_e32 v8, 29, v8
	v_lshlrev_b64 v[18:19], v10, v[6:7]
	v_and_b32_e32 v6, 7, v18
; %bb.1156:                             ;   in Loop: Header=BB225_803 Depth=1
	s_or_b32 exec_lo, exec_lo, s13
	v_lshlrev_b32_e32 v10, 16, v12
	v_lshlrev_b32_e32 v6, 20, v6
	v_lshl_add_u32 v8, v8, 23, 0x3c000000
	v_mov_b32_e32 v18, v7
	v_and_b32_e32 v10, 0x80000000, v10
	v_or3_b32 v19, v6, v10, v8
.LBB225_1157:                           ;   in Loop: Header=BB225_803 Depth=1
	s_or_b32 exec_lo, exec_lo, s12
.LBB225_1158:                           ;   in Loop: Header=BB225_803 Depth=1
	s_or_b32 exec_lo, exec_lo, s11
.LBB225_1159:                           ;   in Loop: Header=BB225_803 Depth=1
	s_or_b32 exec_lo, exec_lo, s9
	v_mov_b32_e32 v22, 0
	v_mov_b32_e32 v20, 0
	v_and_b32_sdwa v6, v12, v80 dst_sel:DWORD dst_unused:UNUSED_PAD src0_sel:WORD_1 src1_sel:DWORD
	v_mov_b32_e32 v23, 0
	v_mov_b32_e32 v21, 0
	s_mov_b32 s9, exec_lo
	v_cmpx_ne_u16_e32 0, v6
	s_cbranch_execz .LBB225_1167
; %bb.1160:                             ;   in Loop: Header=BB225_803 Depth=1
	v_bfrev_b32_e32 v20, 1
	v_mov_b32_e32 v21, 0
	s_mov_b32 s11, exec_lo
	v_cmpx_ne_u16_e32 0x80, v6
	s_cbranch_execz .LBB225_1166
; %bb.1161:                             ;   in Loop: Header=BB225_803 Depth=1
	v_mov_b32_e32 v20, 0x7f800001
	v_bfe_u32 v10, v12, 16, 7
	v_mov_b32_e32 v21, 0
	s_mov_b32 s12, exec_lo
	v_cmpx_ne_u32_e32 0x7f, v10
	s_cbranch_execz .LBB225_1165
; %bb.1162:                             ;   in Loop: Header=BB225_803 Depth=1
	v_mov_b32_e32 v6, 7
	v_lshrrev_b32_e32 v8, 3, v10
	s_mov_b32 s13, exec_lo
	v_and_b32_sdwa v6, v12, v6 dst_sel:DWORD dst_unused:UNUSED_PAD src0_sel:WORD_1 src1_sel:DWORD
	v_cmpx_gt_u32_e32 8, v10
; %bb.1163:                             ;   in Loop: Header=BB225_803 Depth=1
	v_ffbh_u32_e32 v8, v6
	v_min_u32_e32 v8, 32, v8
	v_subrev_nc_u32_e32 v10, 28, v8
	v_sub_nc_u32_e32 v8, 29, v8
	v_lshlrev_b64 v[20:21], v10, v[6:7]
	v_and_b32_e32 v6, 7, v20
; %bb.1164:                             ;   in Loop: Header=BB225_803 Depth=1
	s_or_b32 exec_lo, exec_lo, s13
	v_mov_b32_e32 v10, 24
	v_lshlrev_b32_e32 v6, 20, v6
	v_lshl_add_u32 v8, v8, 23, 0x3c000000
	v_lshlrev_b32_sdwa v10, v10, v12 dst_sel:DWORD dst_unused:UNUSED_PAD src0_sel:DWORD src1_sel:WORD_1
	v_and_b32_e32 v10, 0x80000000, v10
	v_or3_b32 v6, v6, v10, v8
	v_mov_b32_e32 v21, v7
	v_mov_b32_e32 v20, v6
.LBB225_1165:                           ;   in Loop: Header=BB225_803 Depth=1
	s_or_b32 exec_lo, exec_lo, s12
.LBB225_1166:                           ;   in Loop: Header=BB225_803 Depth=1
	s_or_b32 exec_lo, exec_lo, s11
.LBB225_1167:                           ;   in Loop: Header=BB225_803 Depth=1
	s_or_b32 exec_lo, exec_lo, s9
	s_mov_b32 s9, exec_lo
	v_cmpx_lt_u32_e32 0xffffff, v12
	s_cbranch_execz .LBB225_1175
; %bb.1168:                             ;   in Loop: Header=BB225_803 Depth=1
	v_mov_b32_e32 v8, v7
	v_mov_b32_e32 v23, v9
	v_cmp_ne_u32_sdwa s4, v12, v70 src0_sel:BYTE_3 src1_sel:DWORD
	v_mov_b32_e32 v22, v8
	s_and_saveexec_b32 s11, s4
	s_cbranch_execz .LBB225_1174
; %bb.1169:                             ;   in Loop: Header=BB225_803 Depth=1
	v_mov_b32_e32 v10, v7
	v_mov_b32_e32 v23, v11
	v_bfe_u32 v13, v12, 24, 7
	s_mov_b32 s12, exec_lo
	v_mov_b32_e32 v22, v10
	v_cmpx_ne_u32_e32 0x7f, v13
	s_cbranch_execz .LBB225_1173
; %bb.1170:                             ;   in Loop: Header=BB225_803 Depth=1
	v_mov_b32_e32 v6, 7
	v_lshrrev_b32_e32 v8, 3, v13
	s_mov_b32 s13, exec_lo
	v_and_b32_sdwa v6, v12, v6 dst_sel:DWORD dst_unused:UNUSED_PAD src0_sel:BYTE_3 src1_sel:DWORD
	v_cmpx_gt_u32_e32 8, v13
; %bb.1171:                             ;   in Loop: Header=BB225_803 Depth=1
	v_ffbh_u32_e32 v8, v6
	v_min_u32_e32 v8, 32, v8
	v_subrev_nc_u32_e32 v10, 28, v8
	v_sub_nc_u32_e32 v8, 29, v8
	v_lshlrev_b64 v[22:23], v10, v[6:7]
	v_and_b32_e32 v6, 7, v22
; %bb.1172:                             ;   in Loop: Header=BB225_803 Depth=1
	s_or_b32 exec_lo, exec_lo, s13
	v_mov_b32_e32 v10, 24
	v_lshlrev_b32_e32 v6, 20, v6
	v_lshl_add_u32 v8, v8, 23, 0x3c000000
	v_mov_b32_e32 v22, v7
	v_lshlrev_b32_sdwa v10, v10, v12 dst_sel:DWORD dst_unused:UNUSED_PAD src0_sel:DWORD src1_sel:BYTE_3
	v_and_b32_e32 v10, 0x80000000, v10
	v_or3_b32 v23, v6, v10, v8
.LBB225_1173:                           ;   in Loop: Header=BB225_803 Depth=1
	s_or_b32 exec_lo, exec_lo, s12
.LBB225_1174:                           ;   in Loop: Header=BB225_803 Depth=1
	s_or_b32 exec_lo, exec_lo, s11
.LBB225_1175:                           ;   in Loop: Header=BB225_803 Depth=1
	s_or_b32 exec_lo, exec_lo, s9
	v_or_b32_e32 v6, v19, v17
	v_or_b32_e32 v8, v18, v16
	;; [unrolled: 1-line block ×4, first 2 shown]
	v_mul_f32_e32 v92, v85, v6
	v_mul_f32_e32 v93, v68, v8
	;; [unrolled: 1-line block ×4, first 2 shown]
	s_and_saveexec_b32 s9, vcc_lo
	s_cbranch_execz .LBB225_1177
; %bb.1176:                             ;   in Loop: Header=BB225_803 Depth=1
	v_cmp_lt_i32_e64 s4, v102, v118
	v_cndmask_b32_e64 v93, 0, v93, s4
	v_cmp_lt_i32_e64 s4, v112, v118
	v_cndmask_b32_e64 v92, 0, v92, s4
	;; [unrolled: 2-line block ×4, first 2 shown]
.LBB225_1177:                           ;   in Loop: Header=BB225_803 Depth=1
	s_or_b32 exec_lo, exec_lo, s9
	flat_load_dword v12, v[4:5] offset:1408
	v_mov_b32_e32 v18, 0
	v_mov_b32_e32 v16, 0
	;; [unrolled: 1-line block ×4, first 2 shown]
	s_waitcnt vmcnt(0) lgkmcnt(0)
	v_cmp_ne_u16_sdwa s4, v12, v7 src0_sel:BYTE_0 src1_sel:DWORD
	s_and_saveexec_b32 s9, s4
	s_cbranch_execz .LBB225_1185
; %bb.1178:                             ;   in Loop: Header=BB225_803 Depth=1
	v_bfrev_b32_e32 v16, 1
	v_mov_b32_e32 v17, 0
	v_cmp_ne_u16_sdwa s4, v12, v70 src0_sel:BYTE_0 src1_sel:DWORD
	s_and_saveexec_b32 s11, s4
	s_cbranch_execz .LBB225_1184
; %bb.1179:                             ;   in Loop: Header=BB225_803 Depth=1
	v_mov_b32_e32 v16, 0x7f800001
	v_and_b32_e32 v10, 0x7f, v12
	v_mov_b32_e32 v17, 0
	s_mov_b32 s12, exec_lo
	v_cmpx_ne_u32_e32 0x7f, v10
	s_cbranch_execz .LBB225_1183
; %bb.1180:                             ;   in Loop: Header=BB225_803 Depth=1
	v_and_b32_e32 v6, 7, v12
	v_lshrrev_b32_e32 v8, 3, v10
	s_mov_b32 s13, exec_lo
	v_cmpx_gt_u32_e32 8, v10
; %bb.1181:                             ;   in Loop: Header=BB225_803 Depth=1
	v_ffbh_u32_e32 v8, v6
	v_min_u32_e32 v8, 32, v8
	v_subrev_nc_u32_e32 v10, 28, v8
	v_sub_nc_u32_e32 v8, 29, v8
	v_lshlrev_b64 v[16:17], v10, v[6:7]
	v_and_b32_e32 v6, 7, v16
; %bb.1182:                             ;   in Loop: Header=BB225_803 Depth=1
	s_or_b32 exec_lo, exec_lo, s13
	v_lshlrev_b32_e32 v10, 24, v12
	v_lshlrev_b32_e32 v6, 20, v6
	v_lshl_add_u32 v8, v8, 23, 0x3c000000
	v_and_b32_e32 v10, 0x80000000, v10
	v_or3_b32 v6, v6, v10, v8
	v_mov_b32_e32 v17, v7
	v_mov_b32_e32 v16, v6
.LBB225_1183:                           ;   in Loop: Header=BB225_803 Depth=1
	s_or_b32 exec_lo, exec_lo, s12
.LBB225_1184:                           ;   in Loop: Header=BB225_803 Depth=1
	s_or_b32 exec_lo, exec_lo, s11
.LBB225_1185:                           ;   in Loop: Header=BB225_803 Depth=1
	s_or_b32 exec_lo, exec_lo, s9
	v_cmp_ne_u16_sdwa s4, v12, v7 src0_sel:BYTE_1 src1_sel:DWORD
	s_and_saveexec_b32 s9, s4
	s_cbranch_execz .LBB225_1193
; %bb.1186:                             ;   in Loop: Header=BB225_803 Depth=1
	v_mov_b32_e32 v8, v7
	v_mov_b32_e32 v19, v9
	v_cmp_ne_u16_sdwa s4, v12, v70 src0_sel:BYTE_1 src1_sel:DWORD
	v_mov_b32_e32 v18, v8
	s_and_saveexec_b32 s11, s4
	s_cbranch_execz .LBB225_1192
; %bb.1187:                             ;   in Loop: Header=BB225_803 Depth=1
	v_mov_b32_e32 v6, 0xffff
	v_mov_b32_e32 v10, v7
	;; [unrolled: 1-line block ×3, first 2 shown]
	s_mov_b32 s12, exec_lo
	v_and_b32_sdwa v6, v6, v12 dst_sel:DWORD dst_unused:UNUSED_PAD src0_sel:DWORD src1_sel:BYTE_1
	v_mov_b32_e32 v18, v10
	v_and_b32_e32 v13, 0x7f, v6
	v_cmpx_ne_u32_e32 0x7f, v13
	s_cbranch_execz .LBB225_1191
; %bb.1188:                             ;   in Loop: Header=BB225_803 Depth=1
	v_and_b32_e32 v6, 7, v6
	v_lshrrev_b32_e32 v8, 3, v13
	s_mov_b32 s13, exec_lo
	v_cmpx_gt_u32_e32 8, v13
; %bb.1189:                             ;   in Loop: Header=BB225_803 Depth=1
	v_ffbh_u32_e32 v8, v6
	v_min_u32_e32 v8, 32, v8
	v_subrev_nc_u32_e32 v10, 28, v8
	v_sub_nc_u32_e32 v8, 29, v8
	v_lshlrev_b64 v[18:19], v10, v[6:7]
	v_and_b32_e32 v6, 7, v18
; %bb.1190:                             ;   in Loop: Header=BB225_803 Depth=1
	s_or_b32 exec_lo, exec_lo, s13
	v_lshlrev_b32_e32 v10, 16, v12
	v_lshlrev_b32_e32 v6, 20, v6
	v_lshl_add_u32 v8, v8, 23, 0x3c000000
	v_mov_b32_e32 v18, v7
	v_and_b32_e32 v10, 0x80000000, v10
	v_or3_b32 v19, v6, v10, v8
.LBB225_1191:                           ;   in Loop: Header=BB225_803 Depth=1
	s_or_b32 exec_lo, exec_lo, s12
.LBB225_1192:                           ;   in Loop: Header=BB225_803 Depth=1
	s_or_b32 exec_lo, exec_lo, s11
.LBB225_1193:                           ;   in Loop: Header=BB225_803 Depth=1
	s_or_b32 exec_lo, exec_lo, s9
	v_mov_b32_e32 v22, 0
	v_mov_b32_e32 v20, 0
	v_and_b32_sdwa v6, v12, v80 dst_sel:DWORD dst_unused:UNUSED_PAD src0_sel:WORD_1 src1_sel:DWORD
	v_mov_b32_e32 v23, 0
	v_mov_b32_e32 v21, 0
	s_mov_b32 s9, exec_lo
	v_cmpx_ne_u16_e32 0, v6
	s_cbranch_execz .LBB225_1201
; %bb.1194:                             ;   in Loop: Header=BB225_803 Depth=1
	v_bfrev_b32_e32 v20, 1
	v_mov_b32_e32 v21, 0
	s_mov_b32 s11, exec_lo
	v_cmpx_ne_u16_e32 0x80, v6
	s_cbranch_execz .LBB225_1200
; %bb.1195:                             ;   in Loop: Header=BB225_803 Depth=1
	v_mov_b32_e32 v20, 0x7f800001
	v_bfe_u32 v10, v12, 16, 7
	v_mov_b32_e32 v21, 0
	s_mov_b32 s12, exec_lo
	v_cmpx_ne_u32_e32 0x7f, v10
	s_cbranch_execz .LBB225_1199
; %bb.1196:                             ;   in Loop: Header=BB225_803 Depth=1
	v_mov_b32_e32 v6, 7
	v_lshrrev_b32_e32 v8, 3, v10
	s_mov_b32 s13, exec_lo
	v_and_b32_sdwa v6, v12, v6 dst_sel:DWORD dst_unused:UNUSED_PAD src0_sel:WORD_1 src1_sel:DWORD
	v_cmpx_gt_u32_e32 8, v10
; %bb.1197:                             ;   in Loop: Header=BB225_803 Depth=1
	v_ffbh_u32_e32 v8, v6
	v_min_u32_e32 v8, 32, v8
	v_subrev_nc_u32_e32 v10, 28, v8
	v_sub_nc_u32_e32 v8, 29, v8
	v_lshlrev_b64 v[20:21], v10, v[6:7]
	v_and_b32_e32 v6, 7, v20
; %bb.1198:                             ;   in Loop: Header=BB225_803 Depth=1
	s_or_b32 exec_lo, exec_lo, s13
	v_mov_b32_e32 v10, 24
	v_lshlrev_b32_e32 v6, 20, v6
	v_lshl_add_u32 v8, v8, 23, 0x3c000000
	v_lshlrev_b32_sdwa v10, v10, v12 dst_sel:DWORD dst_unused:UNUSED_PAD src0_sel:DWORD src1_sel:WORD_1
	v_and_b32_e32 v10, 0x80000000, v10
	v_or3_b32 v6, v6, v10, v8
	v_mov_b32_e32 v21, v7
	v_mov_b32_e32 v20, v6
.LBB225_1199:                           ;   in Loop: Header=BB225_803 Depth=1
	s_or_b32 exec_lo, exec_lo, s12
.LBB225_1200:                           ;   in Loop: Header=BB225_803 Depth=1
	s_or_b32 exec_lo, exec_lo, s11
.LBB225_1201:                           ;   in Loop: Header=BB225_803 Depth=1
	s_or_b32 exec_lo, exec_lo, s9
	s_mov_b32 s9, exec_lo
	v_cmpx_lt_u32_e32 0xffffff, v12
	s_cbranch_execz .LBB225_1209
; %bb.1202:                             ;   in Loop: Header=BB225_803 Depth=1
	v_mov_b32_e32 v8, v7
	v_mov_b32_e32 v23, v9
	v_cmp_ne_u32_sdwa s4, v12, v70 src0_sel:BYTE_3 src1_sel:DWORD
	v_mov_b32_e32 v22, v8
	s_and_saveexec_b32 s11, s4
	s_cbranch_execz .LBB225_1208
; %bb.1203:                             ;   in Loop: Header=BB225_803 Depth=1
	v_mov_b32_e32 v10, v7
	v_mov_b32_e32 v23, v11
	v_bfe_u32 v13, v12, 24, 7
	s_mov_b32 s12, exec_lo
	v_mov_b32_e32 v22, v10
	v_cmpx_ne_u32_e32 0x7f, v13
	s_cbranch_execz .LBB225_1207
; %bb.1204:                             ;   in Loop: Header=BB225_803 Depth=1
	v_mov_b32_e32 v6, 7
	v_lshrrev_b32_e32 v8, 3, v13
	s_mov_b32 s13, exec_lo
	v_and_b32_sdwa v6, v12, v6 dst_sel:DWORD dst_unused:UNUSED_PAD src0_sel:BYTE_3 src1_sel:DWORD
	v_cmpx_gt_u32_e32 8, v13
; %bb.1205:                             ;   in Loop: Header=BB225_803 Depth=1
	v_ffbh_u32_e32 v8, v6
	v_min_u32_e32 v8, 32, v8
	v_subrev_nc_u32_e32 v10, 28, v8
	v_sub_nc_u32_e32 v8, 29, v8
	v_lshlrev_b64 v[22:23], v10, v[6:7]
	v_and_b32_e32 v6, 7, v22
; %bb.1206:                             ;   in Loop: Header=BB225_803 Depth=1
	s_or_b32 exec_lo, exec_lo, s13
	v_mov_b32_e32 v10, 24
	v_lshlrev_b32_e32 v6, 20, v6
	v_lshl_add_u32 v8, v8, 23, 0x3c000000
	v_mov_b32_e32 v22, v7
	v_lshlrev_b32_sdwa v10, v10, v12 dst_sel:DWORD dst_unused:UNUSED_PAD src0_sel:DWORD src1_sel:BYTE_3
	v_and_b32_e32 v10, 0x80000000, v10
	v_or3_b32 v23, v6, v10, v8
.LBB225_1207:                           ;   in Loop: Header=BB225_803 Depth=1
	s_or_b32 exec_lo, exec_lo, s12
.LBB225_1208:                           ;   in Loop: Header=BB225_803 Depth=1
	s_or_b32 exec_lo, exec_lo, s11
.LBB225_1209:                           ;   in Loop: Header=BB225_803 Depth=1
	s_or_b32 exec_lo, exec_lo, s9
	v_or_b32_e32 v6, v19, v17
	v_or_b32_e32 v8, v18, v16
	;; [unrolled: 1-line block ×4, first 2 shown]
	v_mul_f32_e32 v104, v85, v6
	v_mul_f32_e32 v105, v68, v8
	;; [unrolled: 1-line block ×4, first 2 shown]
	s_and_saveexec_b32 s9, vcc_lo
	s_cbranch_execz .LBB225_1211
; %bb.1210:                             ;   in Loop: Header=BB225_803 Depth=1
	v_cmp_lt_i32_e64 s4, v102, v118
	v_cndmask_b32_e64 v105, 0, v105, s4
	v_cmp_lt_i32_e64 s4, v112, v118
	v_cndmask_b32_e64 v104, 0, v104, s4
	v_cmp_lt_i32_e64 s4, v103, v118
	v_cndmask_b32_e64 v95, 0, v95, s4
	v_cmp_lt_i32_e64 s4, v83, v118
	v_cndmask_b32_e64 v94, 0, v94, s4
.LBB225_1211:                           ;   in Loop: Header=BB225_803 Depth=1
	s_or_b32 exec_lo, exec_lo, s9
	flat_load_dword v12, v[4:5] offset:1536
	v_mov_b32_e32 v18, 0
	v_mov_b32_e32 v16, 0
	;; [unrolled: 1-line block ×4, first 2 shown]
	s_waitcnt vmcnt(0) lgkmcnt(0)
	v_cmp_ne_u16_sdwa s4, v12, v7 src0_sel:BYTE_0 src1_sel:DWORD
	s_and_saveexec_b32 s9, s4
	s_cbranch_execz .LBB225_1219
; %bb.1212:                             ;   in Loop: Header=BB225_803 Depth=1
	v_bfrev_b32_e32 v16, 1
	v_mov_b32_e32 v17, 0
	v_cmp_ne_u16_sdwa s4, v12, v70 src0_sel:BYTE_0 src1_sel:DWORD
	s_and_saveexec_b32 s11, s4
	s_cbranch_execz .LBB225_1218
; %bb.1213:                             ;   in Loop: Header=BB225_803 Depth=1
	v_mov_b32_e32 v16, 0x7f800001
	v_and_b32_e32 v10, 0x7f, v12
	v_mov_b32_e32 v17, 0
	s_mov_b32 s12, exec_lo
	v_cmpx_ne_u32_e32 0x7f, v10
	s_cbranch_execz .LBB225_1217
; %bb.1214:                             ;   in Loop: Header=BB225_803 Depth=1
	v_and_b32_e32 v6, 7, v12
	v_lshrrev_b32_e32 v8, 3, v10
	s_mov_b32 s13, exec_lo
	v_cmpx_gt_u32_e32 8, v10
; %bb.1215:                             ;   in Loop: Header=BB225_803 Depth=1
	v_ffbh_u32_e32 v8, v6
	v_min_u32_e32 v8, 32, v8
	v_subrev_nc_u32_e32 v10, 28, v8
	v_sub_nc_u32_e32 v8, 29, v8
	v_lshlrev_b64 v[16:17], v10, v[6:7]
	v_and_b32_e32 v6, 7, v16
; %bb.1216:                             ;   in Loop: Header=BB225_803 Depth=1
	s_or_b32 exec_lo, exec_lo, s13
	v_lshlrev_b32_e32 v10, 24, v12
	v_lshlrev_b32_e32 v6, 20, v6
	v_lshl_add_u32 v8, v8, 23, 0x3c000000
	v_and_b32_e32 v10, 0x80000000, v10
	v_or3_b32 v6, v6, v10, v8
	v_mov_b32_e32 v17, v7
	v_mov_b32_e32 v16, v6
.LBB225_1217:                           ;   in Loop: Header=BB225_803 Depth=1
	s_or_b32 exec_lo, exec_lo, s12
.LBB225_1218:                           ;   in Loop: Header=BB225_803 Depth=1
	s_or_b32 exec_lo, exec_lo, s11
.LBB225_1219:                           ;   in Loop: Header=BB225_803 Depth=1
	s_or_b32 exec_lo, exec_lo, s9
	v_cmp_ne_u16_sdwa s4, v12, v7 src0_sel:BYTE_1 src1_sel:DWORD
	s_and_saveexec_b32 s9, s4
	s_cbranch_execz .LBB225_1227
; %bb.1220:                             ;   in Loop: Header=BB225_803 Depth=1
	v_mov_b32_e32 v8, v7
	v_mov_b32_e32 v19, v9
	v_cmp_ne_u16_sdwa s4, v12, v70 src0_sel:BYTE_1 src1_sel:DWORD
	v_mov_b32_e32 v18, v8
	s_and_saveexec_b32 s11, s4
	s_cbranch_execz .LBB225_1226
; %bb.1221:                             ;   in Loop: Header=BB225_803 Depth=1
	v_mov_b32_e32 v6, 0xffff
	v_mov_b32_e32 v10, v7
	;; [unrolled: 1-line block ×3, first 2 shown]
	s_mov_b32 s12, exec_lo
	v_and_b32_sdwa v6, v6, v12 dst_sel:DWORD dst_unused:UNUSED_PAD src0_sel:DWORD src1_sel:BYTE_1
	v_mov_b32_e32 v18, v10
	v_and_b32_e32 v13, 0x7f, v6
	v_cmpx_ne_u32_e32 0x7f, v13
	s_cbranch_execz .LBB225_1225
; %bb.1222:                             ;   in Loop: Header=BB225_803 Depth=1
	v_and_b32_e32 v6, 7, v6
	v_lshrrev_b32_e32 v8, 3, v13
	s_mov_b32 s13, exec_lo
	v_cmpx_gt_u32_e32 8, v13
; %bb.1223:                             ;   in Loop: Header=BB225_803 Depth=1
	v_ffbh_u32_e32 v8, v6
	v_min_u32_e32 v8, 32, v8
	v_subrev_nc_u32_e32 v10, 28, v8
	v_sub_nc_u32_e32 v8, 29, v8
	v_lshlrev_b64 v[18:19], v10, v[6:7]
	v_and_b32_e32 v6, 7, v18
; %bb.1224:                             ;   in Loop: Header=BB225_803 Depth=1
	s_or_b32 exec_lo, exec_lo, s13
	v_lshlrev_b32_e32 v10, 16, v12
	v_lshlrev_b32_e32 v6, 20, v6
	v_lshl_add_u32 v8, v8, 23, 0x3c000000
	v_mov_b32_e32 v18, v7
	v_and_b32_e32 v10, 0x80000000, v10
	v_or3_b32 v19, v6, v10, v8
.LBB225_1225:                           ;   in Loop: Header=BB225_803 Depth=1
	s_or_b32 exec_lo, exec_lo, s12
.LBB225_1226:                           ;   in Loop: Header=BB225_803 Depth=1
	s_or_b32 exec_lo, exec_lo, s11
.LBB225_1227:                           ;   in Loop: Header=BB225_803 Depth=1
	s_or_b32 exec_lo, exec_lo, s9
	v_mov_b32_e32 v22, 0
	v_mov_b32_e32 v20, 0
	v_and_b32_sdwa v6, v12, v80 dst_sel:DWORD dst_unused:UNUSED_PAD src0_sel:WORD_1 src1_sel:DWORD
	v_mov_b32_e32 v23, 0
	v_mov_b32_e32 v21, 0
	s_mov_b32 s9, exec_lo
	v_cmpx_ne_u16_e32 0, v6
	s_cbranch_execz .LBB225_1235
; %bb.1228:                             ;   in Loop: Header=BB225_803 Depth=1
	v_bfrev_b32_e32 v20, 1
	v_mov_b32_e32 v21, 0
	s_mov_b32 s11, exec_lo
	v_cmpx_ne_u16_e32 0x80, v6
	s_cbranch_execz .LBB225_1234
; %bb.1229:                             ;   in Loop: Header=BB225_803 Depth=1
	v_mov_b32_e32 v20, 0x7f800001
	v_bfe_u32 v10, v12, 16, 7
	v_mov_b32_e32 v21, 0
	s_mov_b32 s12, exec_lo
	v_cmpx_ne_u32_e32 0x7f, v10
	s_cbranch_execz .LBB225_1233
; %bb.1230:                             ;   in Loop: Header=BB225_803 Depth=1
	v_mov_b32_e32 v6, 7
	v_lshrrev_b32_e32 v8, 3, v10
	s_mov_b32 s13, exec_lo
	v_and_b32_sdwa v6, v12, v6 dst_sel:DWORD dst_unused:UNUSED_PAD src0_sel:WORD_1 src1_sel:DWORD
	v_cmpx_gt_u32_e32 8, v10
; %bb.1231:                             ;   in Loop: Header=BB225_803 Depth=1
	v_ffbh_u32_e32 v8, v6
	v_min_u32_e32 v8, 32, v8
	v_subrev_nc_u32_e32 v10, 28, v8
	v_sub_nc_u32_e32 v8, 29, v8
	v_lshlrev_b64 v[20:21], v10, v[6:7]
	v_and_b32_e32 v6, 7, v20
; %bb.1232:                             ;   in Loop: Header=BB225_803 Depth=1
	s_or_b32 exec_lo, exec_lo, s13
	v_mov_b32_e32 v10, 24
	v_lshlrev_b32_e32 v6, 20, v6
	v_lshl_add_u32 v8, v8, 23, 0x3c000000
	v_lshlrev_b32_sdwa v10, v10, v12 dst_sel:DWORD dst_unused:UNUSED_PAD src0_sel:DWORD src1_sel:WORD_1
	v_and_b32_e32 v10, 0x80000000, v10
	v_or3_b32 v6, v6, v10, v8
	v_mov_b32_e32 v21, v7
	v_mov_b32_e32 v20, v6
.LBB225_1233:                           ;   in Loop: Header=BB225_803 Depth=1
	s_or_b32 exec_lo, exec_lo, s12
.LBB225_1234:                           ;   in Loop: Header=BB225_803 Depth=1
	s_or_b32 exec_lo, exec_lo, s11
.LBB225_1235:                           ;   in Loop: Header=BB225_803 Depth=1
	s_or_b32 exec_lo, exec_lo, s9
	s_mov_b32 s9, exec_lo
	v_cmpx_lt_u32_e32 0xffffff, v12
	s_cbranch_execz .LBB225_1243
; %bb.1236:                             ;   in Loop: Header=BB225_803 Depth=1
	v_mov_b32_e32 v8, v7
	v_mov_b32_e32 v23, v9
	v_cmp_ne_u32_sdwa s4, v12, v70 src0_sel:BYTE_3 src1_sel:DWORD
	v_mov_b32_e32 v22, v8
	s_and_saveexec_b32 s11, s4
	s_cbranch_execz .LBB225_1242
; %bb.1237:                             ;   in Loop: Header=BB225_803 Depth=1
	v_mov_b32_e32 v10, v7
	v_mov_b32_e32 v23, v11
	v_bfe_u32 v13, v12, 24, 7
	s_mov_b32 s12, exec_lo
	v_mov_b32_e32 v22, v10
	v_cmpx_ne_u32_e32 0x7f, v13
	s_cbranch_execz .LBB225_1241
; %bb.1238:                             ;   in Loop: Header=BB225_803 Depth=1
	v_mov_b32_e32 v6, 7
	v_lshrrev_b32_e32 v8, 3, v13
	s_mov_b32 s13, exec_lo
	v_and_b32_sdwa v6, v12, v6 dst_sel:DWORD dst_unused:UNUSED_PAD src0_sel:BYTE_3 src1_sel:DWORD
	v_cmpx_gt_u32_e32 8, v13
; %bb.1239:                             ;   in Loop: Header=BB225_803 Depth=1
	v_ffbh_u32_e32 v8, v6
	v_min_u32_e32 v8, 32, v8
	v_subrev_nc_u32_e32 v10, 28, v8
	v_sub_nc_u32_e32 v8, 29, v8
	v_lshlrev_b64 v[22:23], v10, v[6:7]
	v_and_b32_e32 v6, 7, v22
; %bb.1240:                             ;   in Loop: Header=BB225_803 Depth=1
	s_or_b32 exec_lo, exec_lo, s13
	v_mov_b32_e32 v10, 24
	v_lshlrev_b32_e32 v6, 20, v6
	v_lshl_add_u32 v8, v8, 23, 0x3c000000
	v_mov_b32_e32 v22, v7
	v_lshlrev_b32_sdwa v10, v10, v12 dst_sel:DWORD dst_unused:UNUSED_PAD src0_sel:DWORD src1_sel:BYTE_3
	v_and_b32_e32 v10, 0x80000000, v10
	v_or3_b32 v23, v6, v10, v8
.LBB225_1241:                           ;   in Loop: Header=BB225_803 Depth=1
	s_or_b32 exec_lo, exec_lo, s12
.LBB225_1242:                           ;   in Loop: Header=BB225_803 Depth=1
	s_or_b32 exec_lo, exec_lo, s11
.LBB225_1243:                           ;   in Loop: Header=BB225_803 Depth=1
	s_or_b32 exec_lo, exec_lo, s9
	v_or_b32_e32 v6, v19, v17
	v_or_b32_e32 v8, v18, v16
	;; [unrolled: 1-line block ×4, first 2 shown]
	v_mul_f32_e32 v108, v85, v6
	v_mul_f32_e32 v109, v68, v8
	;; [unrolled: 1-line block ×4, first 2 shown]
	s_and_saveexec_b32 s9, vcc_lo
	s_cbranch_execz .LBB225_1245
; %bb.1244:                             ;   in Loop: Header=BB225_803 Depth=1
	v_cmp_lt_i32_e64 s4, v102, v118
	v_cndmask_b32_e64 v109, 0, v109, s4
	v_cmp_lt_i32_e64 s4, v112, v118
	v_cndmask_b32_e64 v108, 0, v108, s4
	;; [unrolled: 2-line block ×4, first 2 shown]
.LBB225_1245:                           ;   in Loop: Header=BB225_803 Depth=1
	s_or_b32 exec_lo, exec_lo, s9
	flat_load_dword v12, v[4:5] offset:1664
	v_mov_b32_e32 v18, 0
	v_mov_b32_e32 v16, 0
	;; [unrolled: 1-line block ×4, first 2 shown]
	s_waitcnt vmcnt(0) lgkmcnt(0)
	v_cmp_ne_u16_sdwa s4, v12, v7 src0_sel:BYTE_0 src1_sel:DWORD
	s_and_saveexec_b32 s9, s4
	s_cbranch_execz .LBB225_1253
; %bb.1246:                             ;   in Loop: Header=BB225_803 Depth=1
	v_bfrev_b32_e32 v16, 1
	v_mov_b32_e32 v17, 0
	v_cmp_ne_u16_sdwa s4, v12, v70 src0_sel:BYTE_0 src1_sel:DWORD
	s_and_saveexec_b32 s11, s4
	s_cbranch_execz .LBB225_1252
; %bb.1247:                             ;   in Loop: Header=BB225_803 Depth=1
	v_mov_b32_e32 v16, 0x7f800001
	v_and_b32_e32 v10, 0x7f, v12
	v_mov_b32_e32 v17, 0
	s_mov_b32 s12, exec_lo
	v_cmpx_ne_u32_e32 0x7f, v10
	s_cbranch_execz .LBB225_1251
; %bb.1248:                             ;   in Loop: Header=BB225_803 Depth=1
	v_and_b32_e32 v6, 7, v12
	v_lshrrev_b32_e32 v8, 3, v10
	s_mov_b32 s13, exec_lo
	v_cmpx_gt_u32_e32 8, v10
; %bb.1249:                             ;   in Loop: Header=BB225_803 Depth=1
	v_ffbh_u32_e32 v8, v6
	v_min_u32_e32 v8, 32, v8
	v_subrev_nc_u32_e32 v10, 28, v8
	v_sub_nc_u32_e32 v8, 29, v8
	v_lshlrev_b64 v[16:17], v10, v[6:7]
	v_and_b32_e32 v6, 7, v16
; %bb.1250:                             ;   in Loop: Header=BB225_803 Depth=1
	s_or_b32 exec_lo, exec_lo, s13
	v_lshlrev_b32_e32 v10, 24, v12
	v_lshlrev_b32_e32 v6, 20, v6
	v_lshl_add_u32 v8, v8, 23, 0x3c000000
	v_and_b32_e32 v10, 0x80000000, v10
	v_or3_b32 v6, v6, v10, v8
	v_mov_b32_e32 v17, v7
	v_mov_b32_e32 v16, v6
.LBB225_1251:                           ;   in Loop: Header=BB225_803 Depth=1
	s_or_b32 exec_lo, exec_lo, s12
.LBB225_1252:                           ;   in Loop: Header=BB225_803 Depth=1
	s_or_b32 exec_lo, exec_lo, s11
.LBB225_1253:                           ;   in Loop: Header=BB225_803 Depth=1
	s_or_b32 exec_lo, exec_lo, s9
	v_cmp_ne_u16_sdwa s4, v12, v7 src0_sel:BYTE_1 src1_sel:DWORD
	s_and_saveexec_b32 s9, s4
	s_cbranch_execz .LBB225_1261
; %bb.1254:                             ;   in Loop: Header=BB225_803 Depth=1
	v_mov_b32_e32 v8, v7
	v_mov_b32_e32 v19, v9
	v_cmp_ne_u16_sdwa s4, v12, v70 src0_sel:BYTE_1 src1_sel:DWORD
	v_mov_b32_e32 v18, v8
	s_and_saveexec_b32 s11, s4
	s_cbranch_execz .LBB225_1260
; %bb.1255:                             ;   in Loop: Header=BB225_803 Depth=1
	v_mov_b32_e32 v6, 0xffff
	v_mov_b32_e32 v10, v7
	;; [unrolled: 1-line block ×3, first 2 shown]
	s_mov_b32 s12, exec_lo
	v_and_b32_sdwa v6, v6, v12 dst_sel:DWORD dst_unused:UNUSED_PAD src0_sel:DWORD src1_sel:BYTE_1
	v_mov_b32_e32 v18, v10
	v_and_b32_e32 v13, 0x7f, v6
	v_cmpx_ne_u32_e32 0x7f, v13
	s_cbranch_execz .LBB225_1259
; %bb.1256:                             ;   in Loop: Header=BB225_803 Depth=1
	v_and_b32_e32 v6, 7, v6
	v_lshrrev_b32_e32 v8, 3, v13
	s_mov_b32 s13, exec_lo
	v_cmpx_gt_u32_e32 8, v13
; %bb.1257:                             ;   in Loop: Header=BB225_803 Depth=1
	v_ffbh_u32_e32 v8, v6
	v_min_u32_e32 v8, 32, v8
	v_subrev_nc_u32_e32 v10, 28, v8
	v_sub_nc_u32_e32 v8, 29, v8
	v_lshlrev_b64 v[18:19], v10, v[6:7]
	v_and_b32_e32 v6, 7, v18
; %bb.1258:                             ;   in Loop: Header=BB225_803 Depth=1
	s_or_b32 exec_lo, exec_lo, s13
	v_lshlrev_b32_e32 v10, 16, v12
	v_lshlrev_b32_e32 v6, 20, v6
	v_lshl_add_u32 v8, v8, 23, 0x3c000000
	v_mov_b32_e32 v18, v7
	v_and_b32_e32 v10, 0x80000000, v10
	v_or3_b32 v19, v6, v10, v8
.LBB225_1259:                           ;   in Loop: Header=BB225_803 Depth=1
	s_or_b32 exec_lo, exec_lo, s12
.LBB225_1260:                           ;   in Loop: Header=BB225_803 Depth=1
	s_or_b32 exec_lo, exec_lo, s11
.LBB225_1261:                           ;   in Loop: Header=BB225_803 Depth=1
	s_or_b32 exec_lo, exec_lo, s9
	v_mov_b32_e32 v22, 0
	v_mov_b32_e32 v20, 0
	v_and_b32_sdwa v6, v12, v80 dst_sel:DWORD dst_unused:UNUSED_PAD src0_sel:WORD_1 src1_sel:DWORD
	v_mov_b32_e32 v23, 0
	v_mov_b32_e32 v21, 0
	s_mov_b32 s9, exec_lo
	v_cmpx_ne_u16_e32 0, v6
	s_cbranch_execz .LBB225_1269
; %bb.1262:                             ;   in Loop: Header=BB225_803 Depth=1
	v_bfrev_b32_e32 v20, 1
	v_mov_b32_e32 v21, 0
	s_mov_b32 s11, exec_lo
	v_cmpx_ne_u16_e32 0x80, v6
	s_cbranch_execz .LBB225_1268
; %bb.1263:                             ;   in Loop: Header=BB225_803 Depth=1
	v_mov_b32_e32 v20, 0x7f800001
	v_bfe_u32 v10, v12, 16, 7
	v_mov_b32_e32 v21, 0
	s_mov_b32 s12, exec_lo
	v_cmpx_ne_u32_e32 0x7f, v10
	s_cbranch_execz .LBB225_1267
; %bb.1264:                             ;   in Loop: Header=BB225_803 Depth=1
	v_mov_b32_e32 v6, 7
	v_lshrrev_b32_e32 v8, 3, v10
	s_mov_b32 s13, exec_lo
	v_and_b32_sdwa v6, v12, v6 dst_sel:DWORD dst_unused:UNUSED_PAD src0_sel:WORD_1 src1_sel:DWORD
	v_cmpx_gt_u32_e32 8, v10
; %bb.1265:                             ;   in Loop: Header=BB225_803 Depth=1
	v_ffbh_u32_e32 v8, v6
	v_min_u32_e32 v8, 32, v8
	v_subrev_nc_u32_e32 v10, 28, v8
	v_sub_nc_u32_e32 v8, 29, v8
	v_lshlrev_b64 v[20:21], v10, v[6:7]
	v_and_b32_e32 v6, 7, v20
; %bb.1266:                             ;   in Loop: Header=BB225_803 Depth=1
	s_or_b32 exec_lo, exec_lo, s13
	v_mov_b32_e32 v10, 24
	v_lshlrev_b32_e32 v6, 20, v6
	v_lshl_add_u32 v8, v8, 23, 0x3c000000
	v_lshlrev_b32_sdwa v10, v10, v12 dst_sel:DWORD dst_unused:UNUSED_PAD src0_sel:DWORD src1_sel:WORD_1
	v_and_b32_e32 v10, 0x80000000, v10
	v_or3_b32 v6, v6, v10, v8
	v_mov_b32_e32 v21, v7
	v_mov_b32_e32 v20, v6
.LBB225_1267:                           ;   in Loop: Header=BB225_803 Depth=1
	s_or_b32 exec_lo, exec_lo, s12
.LBB225_1268:                           ;   in Loop: Header=BB225_803 Depth=1
	s_or_b32 exec_lo, exec_lo, s11
.LBB225_1269:                           ;   in Loop: Header=BB225_803 Depth=1
	s_or_b32 exec_lo, exec_lo, s9
	s_mov_b32 s9, exec_lo
	v_cmpx_lt_u32_e32 0xffffff, v12
	s_cbranch_execz .LBB225_1277
; %bb.1270:                             ;   in Loop: Header=BB225_803 Depth=1
	v_mov_b32_e32 v8, v7
	v_mov_b32_e32 v23, v9
	v_cmp_ne_u32_sdwa s4, v12, v70 src0_sel:BYTE_3 src1_sel:DWORD
	v_mov_b32_e32 v22, v8
	s_and_saveexec_b32 s11, s4
	s_cbranch_execz .LBB225_1276
; %bb.1271:                             ;   in Loop: Header=BB225_803 Depth=1
	v_mov_b32_e32 v10, v7
	v_mov_b32_e32 v23, v11
	v_bfe_u32 v13, v12, 24, 7
	s_mov_b32 s12, exec_lo
	v_mov_b32_e32 v22, v10
	v_cmpx_ne_u32_e32 0x7f, v13
	s_cbranch_execz .LBB225_1275
; %bb.1272:                             ;   in Loop: Header=BB225_803 Depth=1
	v_mov_b32_e32 v6, 7
	v_lshrrev_b32_e32 v8, 3, v13
	s_mov_b32 s13, exec_lo
	v_and_b32_sdwa v6, v12, v6 dst_sel:DWORD dst_unused:UNUSED_PAD src0_sel:BYTE_3 src1_sel:DWORD
	v_cmpx_gt_u32_e32 8, v13
; %bb.1273:                             ;   in Loop: Header=BB225_803 Depth=1
	v_ffbh_u32_e32 v8, v6
	v_min_u32_e32 v8, 32, v8
	v_subrev_nc_u32_e32 v10, 28, v8
	v_sub_nc_u32_e32 v8, 29, v8
	v_lshlrev_b64 v[22:23], v10, v[6:7]
	v_and_b32_e32 v6, 7, v22
; %bb.1274:                             ;   in Loop: Header=BB225_803 Depth=1
	s_or_b32 exec_lo, exec_lo, s13
	v_mov_b32_e32 v10, 24
	v_lshlrev_b32_e32 v6, 20, v6
	v_lshl_add_u32 v8, v8, 23, 0x3c000000
	v_mov_b32_e32 v22, v7
	v_lshlrev_b32_sdwa v10, v10, v12 dst_sel:DWORD dst_unused:UNUSED_PAD src0_sel:DWORD src1_sel:BYTE_3
	v_and_b32_e32 v10, 0x80000000, v10
	v_or3_b32 v23, v6, v10, v8
.LBB225_1275:                           ;   in Loop: Header=BB225_803 Depth=1
	s_or_b32 exec_lo, exec_lo, s12
.LBB225_1276:                           ;   in Loop: Header=BB225_803 Depth=1
	s_or_b32 exec_lo, exec_lo, s11
.LBB225_1277:                           ;   in Loop: Header=BB225_803 Depth=1
	s_or_b32 exec_lo, exec_lo, s9
	v_or_b32_e32 v6, v19, v17
	v_or_b32_e32 v8, v18, v16
	v_or_b32_e32 v10, v22, v20
	v_or_b32_e32 v12, v23, v21
	v_mul_f32_e32 v121, v85, v6
	v_mul_f32_e32 v120, v68, v8
	;; [unrolled: 1-line block ×4, first 2 shown]
	s_and_saveexec_b32 s9, vcc_lo
	s_cbranch_execz .LBB225_1279
; %bb.1278:                             ;   in Loop: Header=BB225_803 Depth=1
	v_cmp_lt_i32_e64 s4, v102, v118
	v_cndmask_b32_e64 v120, 0, v120, s4
	v_cmp_lt_i32_e64 s4, v112, v118
	v_cndmask_b32_e64 v121, 0, v121, s4
	;; [unrolled: 2-line block ×4, first 2 shown]
.LBB225_1279:                           ;   in Loop: Header=BB225_803 Depth=1
	s_or_b32 exec_lo, exec_lo, s9
	flat_load_dword v12, v[4:5] offset:1792
	v_mov_b32_e32 v18, 0
	v_mov_b32_e32 v16, 0
	;; [unrolled: 1-line block ×4, first 2 shown]
	s_waitcnt vmcnt(0) lgkmcnt(0)
	v_cmp_ne_u16_sdwa s4, v12, v7 src0_sel:BYTE_0 src1_sel:DWORD
	s_and_saveexec_b32 s9, s4
	s_cbranch_execz .LBB225_1287
; %bb.1280:                             ;   in Loop: Header=BB225_803 Depth=1
	v_bfrev_b32_e32 v16, 1
	v_mov_b32_e32 v17, 0
	v_cmp_ne_u16_sdwa s4, v12, v70 src0_sel:BYTE_0 src1_sel:DWORD
	s_and_saveexec_b32 s11, s4
	s_cbranch_execz .LBB225_1286
; %bb.1281:                             ;   in Loop: Header=BB225_803 Depth=1
	v_mov_b32_e32 v16, 0x7f800001
	v_and_b32_e32 v10, 0x7f, v12
	v_mov_b32_e32 v17, 0
	s_mov_b32 s12, exec_lo
	v_cmpx_ne_u32_e32 0x7f, v10
	s_cbranch_execz .LBB225_1285
; %bb.1282:                             ;   in Loop: Header=BB225_803 Depth=1
	v_and_b32_e32 v6, 7, v12
	v_lshrrev_b32_e32 v8, 3, v10
	s_mov_b32 s13, exec_lo
	v_cmpx_gt_u32_e32 8, v10
; %bb.1283:                             ;   in Loop: Header=BB225_803 Depth=1
	v_ffbh_u32_e32 v8, v6
	v_min_u32_e32 v8, 32, v8
	v_subrev_nc_u32_e32 v10, 28, v8
	v_sub_nc_u32_e32 v8, 29, v8
	v_lshlrev_b64 v[16:17], v10, v[6:7]
	v_and_b32_e32 v6, 7, v16
; %bb.1284:                             ;   in Loop: Header=BB225_803 Depth=1
	s_or_b32 exec_lo, exec_lo, s13
	v_lshlrev_b32_e32 v10, 24, v12
	v_lshlrev_b32_e32 v6, 20, v6
	v_lshl_add_u32 v8, v8, 23, 0x3c000000
	v_and_b32_e32 v10, 0x80000000, v10
	v_or3_b32 v6, v6, v10, v8
	v_mov_b32_e32 v17, v7
	v_mov_b32_e32 v16, v6
.LBB225_1285:                           ;   in Loop: Header=BB225_803 Depth=1
	s_or_b32 exec_lo, exec_lo, s12
.LBB225_1286:                           ;   in Loop: Header=BB225_803 Depth=1
	s_or_b32 exec_lo, exec_lo, s11
.LBB225_1287:                           ;   in Loop: Header=BB225_803 Depth=1
	s_or_b32 exec_lo, exec_lo, s9
	v_cmp_ne_u16_sdwa s4, v12, v7 src0_sel:BYTE_1 src1_sel:DWORD
	s_and_saveexec_b32 s9, s4
	s_cbranch_execz .LBB225_1295
; %bb.1288:                             ;   in Loop: Header=BB225_803 Depth=1
	v_mov_b32_e32 v8, v7
	v_mov_b32_e32 v19, v9
	v_cmp_ne_u16_sdwa s4, v12, v70 src0_sel:BYTE_1 src1_sel:DWORD
	v_mov_b32_e32 v18, v8
	s_and_saveexec_b32 s11, s4
	s_cbranch_execz .LBB225_1294
; %bb.1289:                             ;   in Loop: Header=BB225_803 Depth=1
	v_mov_b32_e32 v6, 0xffff
	v_mov_b32_e32 v10, v7
	;; [unrolled: 1-line block ×3, first 2 shown]
	s_mov_b32 s12, exec_lo
	v_and_b32_sdwa v6, v6, v12 dst_sel:DWORD dst_unused:UNUSED_PAD src0_sel:DWORD src1_sel:BYTE_1
	v_mov_b32_e32 v18, v10
	v_and_b32_e32 v13, 0x7f, v6
	v_cmpx_ne_u32_e32 0x7f, v13
	s_cbranch_execz .LBB225_1293
; %bb.1290:                             ;   in Loop: Header=BB225_803 Depth=1
	v_and_b32_e32 v6, 7, v6
	v_lshrrev_b32_e32 v8, 3, v13
	s_mov_b32 s13, exec_lo
	v_cmpx_gt_u32_e32 8, v13
; %bb.1291:                             ;   in Loop: Header=BB225_803 Depth=1
	v_ffbh_u32_e32 v8, v6
	v_min_u32_e32 v8, 32, v8
	v_subrev_nc_u32_e32 v10, 28, v8
	v_sub_nc_u32_e32 v8, 29, v8
	v_lshlrev_b64 v[18:19], v10, v[6:7]
	v_and_b32_e32 v6, 7, v18
; %bb.1292:                             ;   in Loop: Header=BB225_803 Depth=1
	s_or_b32 exec_lo, exec_lo, s13
	v_lshlrev_b32_e32 v10, 16, v12
	v_lshlrev_b32_e32 v6, 20, v6
	v_lshl_add_u32 v8, v8, 23, 0x3c000000
	v_mov_b32_e32 v18, v7
	v_and_b32_e32 v10, 0x80000000, v10
	v_or3_b32 v19, v6, v10, v8
.LBB225_1293:                           ;   in Loop: Header=BB225_803 Depth=1
	s_or_b32 exec_lo, exec_lo, s12
.LBB225_1294:                           ;   in Loop: Header=BB225_803 Depth=1
	s_or_b32 exec_lo, exec_lo, s11
.LBB225_1295:                           ;   in Loop: Header=BB225_803 Depth=1
	s_or_b32 exec_lo, exec_lo, s9
	v_mov_b32_e32 v22, 0
	v_mov_b32_e32 v20, 0
	v_and_b32_sdwa v6, v12, v80 dst_sel:DWORD dst_unused:UNUSED_PAD src0_sel:WORD_1 src1_sel:DWORD
	v_mov_b32_e32 v23, 0
	v_mov_b32_e32 v21, 0
	s_mov_b32 s9, exec_lo
	v_cmpx_ne_u16_e32 0, v6
	s_cbranch_execz .LBB225_1303
; %bb.1296:                             ;   in Loop: Header=BB225_803 Depth=1
	v_bfrev_b32_e32 v20, 1
	v_mov_b32_e32 v21, 0
	s_mov_b32 s11, exec_lo
	v_cmpx_ne_u16_e32 0x80, v6
	s_cbranch_execz .LBB225_1302
; %bb.1297:                             ;   in Loop: Header=BB225_803 Depth=1
	v_mov_b32_e32 v20, 0x7f800001
	v_bfe_u32 v10, v12, 16, 7
	v_mov_b32_e32 v21, 0
	s_mov_b32 s12, exec_lo
	v_cmpx_ne_u32_e32 0x7f, v10
	s_cbranch_execz .LBB225_1301
; %bb.1298:                             ;   in Loop: Header=BB225_803 Depth=1
	v_mov_b32_e32 v6, 7
	v_lshrrev_b32_e32 v8, 3, v10
	s_mov_b32 s13, exec_lo
	v_and_b32_sdwa v6, v12, v6 dst_sel:DWORD dst_unused:UNUSED_PAD src0_sel:WORD_1 src1_sel:DWORD
	v_cmpx_gt_u32_e32 8, v10
; %bb.1299:                             ;   in Loop: Header=BB225_803 Depth=1
	v_ffbh_u32_e32 v8, v6
	v_min_u32_e32 v8, 32, v8
	v_subrev_nc_u32_e32 v10, 28, v8
	v_sub_nc_u32_e32 v8, 29, v8
	v_lshlrev_b64 v[20:21], v10, v[6:7]
	v_and_b32_e32 v6, 7, v20
; %bb.1300:                             ;   in Loop: Header=BB225_803 Depth=1
	s_or_b32 exec_lo, exec_lo, s13
	v_mov_b32_e32 v10, 24
	v_lshlrev_b32_e32 v6, 20, v6
	v_lshl_add_u32 v8, v8, 23, 0x3c000000
	v_lshlrev_b32_sdwa v10, v10, v12 dst_sel:DWORD dst_unused:UNUSED_PAD src0_sel:DWORD src1_sel:WORD_1
	v_and_b32_e32 v10, 0x80000000, v10
	v_or3_b32 v6, v6, v10, v8
	v_mov_b32_e32 v21, v7
	v_mov_b32_e32 v20, v6
.LBB225_1301:                           ;   in Loop: Header=BB225_803 Depth=1
	s_or_b32 exec_lo, exec_lo, s12
.LBB225_1302:                           ;   in Loop: Header=BB225_803 Depth=1
	s_or_b32 exec_lo, exec_lo, s11
.LBB225_1303:                           ;   in Loop: Header=BB225_803 Depth=1
	s_or_b32 exec_lo, exec_lo, s9
	s_mov_b32 s9, exec_lo
	v_cmpx_lt_u32_e32 0xffffff, v12
	s_cbranch_execz .LBB225_1311
; %bb.1304:                             ;   in Loop: Header=BB225_803 Depth=1
	v_mov_b32_e32 v8, v7
	v_mov_b32_e32 v23, v9
	v_cmp_ne_u32_sdwa s4, v12, v70 src0_sel:BYTE_3 src1_sel:DWORD
	v_mov_b32_e32 v22, v8
	s_and_saveexec_b32 s11, s4
	s_cbranch_execz .LBB225_1310
; %bb.1305:                             ;   in Loop: Header=BB225_803 Depth=1
	v_mov_b32_e32 v10, v7
	v_mov_b32_e32 v23, v11
	v_bfe_u32 v13, v12, 24, 7
	s_mov_b32 s12, exec_lo
	v_mov_b32_e32 v22, v10
	v_cmpx_ne_u32_e32 0x7f, v13
	s_cbranch_execz .LBB225_1309
; %bb.1306:                             ;   in Loop: Header=BB225_803 Depth=1
	v_mov_b32_e32 v6, 7
	v_lshrrev_b32_e32 v8, 3, v13
	s_mov_b32 s13, exec_lo
	v_and_b32_sdwa v6, v12, v6 dst_sel:DWORD dst_unused:UNUSED_PAD src0_sel:BYTE_3 src1_sel:DWORD
	v_cmpx_gt_u32_e32 8, v13
; %bb.1307:                             ;   in Loop: Header=BB225_803 Depth=1
	v_ffbh_u32_e32 v8, v6
	v_min_u32_e32 v8, 32, v8
	v_subrev_nc_u32_e32 v10, 28, v8
	v_sub_nc_u32_e32 v8, 29, v8
	v_lshlrev_b64 v[22:23], v10, v[6:7]
	v_and_b32_e32 v6, 7, v22
; %bb.1308:                             ;   in Loop: Header=BB225_803 Depth=1
	s_or_b32 exec_lo, exec_lo, s13
	v_mov_b32_e32 v10, 24
	v_lshlrev_b32_e32 v6, 20, v6
	v_lshl_add_u32 v8, v8, 23, 0x3c000000
	v_mov_b32_e32 v22, v7
	v_lshlrev_b32_sdwa v10, v10, v12 dst_sel:DWORD dst_unused:UNUSED_PAD src0_sel:DWORD src1_sel:BYTE_3
	v_and_b32_e32 v10, 0x80000000, v10
	v_or3_b32 v23, v6, v10, v8
.LBB225_1309:                           ;   in Loop: Header=BB225_803 Depth=1
	s_or_b32 exec_lo, exec_lo, s12
.LBB225_1310:                           ;   in Loop: Header=BB225_803 Depth=1
	s_or_b32 exec_lo, exec_lo, s11
.LBB225_1311:                           ;   in Loop: Header=BB225_803 Depth=1
	s_or_b32 exec_lo, exec_lo, s9
	v_or_b32_e32 v6, v19, v17
	v_or_b32_e32 v8, v18, v16
	;; [unrolled: 1-line block ×4, first 2 shown]
	v_mul_f32_e32 v125, v85, v6
	v_mul_f32_e32 v124, v68, v8
	;; [unrolled: 1-line block ×4, first 2 shown]
	s_and_saveexec_b32 s9, vcc_lo
	s_cbranch_execz .LBB225_1313
; %bb.1312:                             ;   in Loop: Header=BB225_803 Depth=1
	v_cmp_lt_i32_e64 s4, v102, v118
	v_cndmask_b32_e64 v124, 0, v124, s4
	v_cmp_lt_i32_e64 s4, v112, v118
	v_cndmask_b32_e64 v125, 0, v125, s4
	;; [unrolled: 2-line block ×4, first 2 shown]
.LBB225_1313:                           ;   in Loop: Header=BB225_803 Depth=1
	s_or_b32 exec_lo, exec_lo, s9
	flat_load_dword v12, v[4:5] offset:1920
	v_mov_b32_e32 v18, 0
	v_mov_b32_e32 v16, 0
	;; [unrolled: 1-line block ×4, first 2 shown]
	s_waitcnt vmcnt(0) lgkmcnt(0)
	v_cmp_ne_u16_sdwa s4, v12, v7 src0_sel:BYTE_0 src1_sel:DWORD
	s_and_saveexec_b32 s9, s4
	s_cbranch_execz .LBB225_1321
; %bb.1314:                             ;   in Loop: Header=BB225_803 Depth=1
	v_bfrev_b32_e32 v16, 1
	v_mov_b32_e32 v17, 0
	v_cmp_ne_u16_sdwa s4, v12, v70 src0_sel:BYTE_0 src1_sel:DWORD
	s_and_saveexec_b32 s11, s4
	s_cbranch_execz .LBB225_1320
; %bb.1315:                             ;   in Loop: Header=BB225_803 Depth=1
	v_mov_b32_e32 v16, 0x7f800001
	v_and_b32_e32 v10, 0x7f, v12
	v_mov_b32_e32 v17, 0
	s_mov_b32 s12, exec_lo
	v_cmpx_ne_u32_e32 0x7f, v10
	s_cbranch_execz .LBB225_1319
; %bb.1316:                             ;   in Loop: Header=BB225_803 Depth=1
	v_and_b32_e32 v6, 7, v12
	v_lshrrev_b32_e32 v8, 3, v10
	s_mov_b32 s13, exec_lo
	v_cmpx_gt_u32_e32 8, v10
; %bb.1317:                             ;   in Loop: Header=BB225_803 Depth=1
	v_ffbh_u32_e32 v8, v6
	v_min_u32_e32 v8, 32, v8
	v_subrev_nc_u32_e32 v10, 28, v8
	v_sub_nc_u32_e32 v8, 29, v8
	v_lshlrev_b64 v[16:17], v10, v[6:7]
	v_and_b32_e32 v6, 7, v16
; %bb.1318:                             ;   in Loop: Header=BB225_803 Depth=1
	s_or_b32 exec_lo, exec_lo, s13
	v_lshlrev_b32_e32 v10, 24, v12
	v_lshlrev_b32_e32 v6, 20, v6
	v_lshl_add_u32 v8, v8, 23, 0x3c000000
	v_and_b32_e32 v10, 0x80000000, v10
	v_or3_b32 v6, v6, v10, v8
	v_mov_b32_e32 v17, v7
	v_mov_b32_e32 v16, v6
.LBB225_1319:                           ;   in Loop: Header=BB225_803 Depth=1
	s_or_b32 exec_lo, exec_lo, s12
.LBB225_1320:                           ;   in Loop: Header=BB225_803 Depth=1
	s_or_b32 exec_lo, exec_lo, s11
.LBB225_1321:                           ;   in Loop: Header=BB225_803 Depth=1
	s_or_b32 exec_lo, exec_lo, s9
	v_cmp_ne_u16_sdwa s4, v12, v7 src0_sel:BYTE_1 src1_sel:DWORD
	s_and_saveexec_b32 s9, s4
	s_cbranch_execz .LBB225_1329
; %bb.1322:                             ;   in Loop: Header=BB225_803 Depth=1
	v_mov_b32_e32 v8, v7
	v_mov_b32_e32 v19, v9
	v_cmp_ne_u16_sdwa s4, v12, v70 src0_sel:BYTE_1 src1_sel:DWORD
	v_mov_b32_e32 v18, v8
	s_and_saveexec_b32 s11, s4
	s_cbranch_execz .LBB225_1328
; %bb.1323:                             ;   in Loop: Header=BB225_803 Depth=1
	v_mov_b32_e32 v6, 0xffff
	v_mov_b32_e32 v10, v7
	;; [unrolled: 1-line block ×3, first 2 shown]
	s_mov_b32 s12, exec_lo
	v_and_b32_sdwa v6, v6, v12 dst_sel:DWORD dst_unused:UNUSED_PAD src0_sel:DWORD src1_sel:BYTE_1
	v_mov_b32_e32 v18, v10
	v_and_b32_e32 v13, 0x7f, v6
	v_cmpx_ne_u32_e32 0x7f, v13
	s_cbranch_execz .LBB225_1327
; %bb.1324:                             ;   in Loop: Header=BB225_803 Depth=1
	v_and_b32_e32 v6, 7, v6
	v_lshrrev_b32_e32 v8, 3, v13
	s_mov_b32 s13, exec_lo
	v_cmpx_gt_u32_e32 8, v13
; %bb.1325:                             ;   in Loop: Header=BB225_803 Depth=1
	v_ffbh_u32_e32 v8, v6
	v_min_u32_e32 v8, 32, v8
	v_subrev_nc_u32_e32 v10, 28, v8
	v_sub_nc_u32_e32 v8, 29, v8
	v_lshlrev_b64 v[18:19], v10, v[6:7]
	v_and_b32_e32 v6, 7, v18
; %bb.1326:                             ;   in Loop: Header=BB225_803 Depth=1
	s_or_b32 exec_lo, exec_lo, s13
	v_lshlrev_b32_e32 v10, 16, v12
	v_lshlrev_b32_e32 v6, 20, v6
	v_lshl_add_u32 v8, v8, 23, 0x3c000000
	v_mov_b32_e32 v18, v7
	v_and_b32_e32 v10, 0x80000000, v10
	v_or3_b32 v19, v6, v10, v8
.LBB225_1327:                           ;   in Loop: Header=BB225_803 Depth=1
	s_or_b32 exec_lo, exec_lo, s12
.LBB225_1328:                           ;   in Loop: Header=BB225_803 Depth=1
	s_or_b32 exec_lo, exec_lo, s11
.LBB225_1329:                           ;   in Loop: Header=BB225_803 Depth=1
	s_or_b32 exec_lo, exec_lo, s9
	v_mov_b32_e32 v20, 0
	v_mov_b32_e32 v22, 0
	v_and_b32_sdwa v6, v12, v80 dst_sel:DWORD dst_unused:UNUSED_PAD src0_sel:WORD_1 src1_sel:DWORD
	v_mov_b32_e32 v21, 0
	v_mov_b32_e32 v23, 0
	s_mov_b32 s9, exec_lo
	v_cmpx_ne_u16_e32 0, v6
	s_cbranch_execz .LBB225_1337
; %bb.1330:                             ;   in Loop: Header=BB225_803 Depth=1
	v_bfrev_b32_e32 v22, 1
	v_mov_b32_e32 v23, 0
	s_mov_b32 s11, exec_lo
	v_cmpx_ne_u16_e32 0x80, v6
	s_cbranch_execz .LBB225_1336
; %bb.1331:                             ;   in Loop: Header=BB225_803 Depth=1
	v_mov_b32_e32 v22, 0x7f800001
	v_bfe_u32 v10, v12, 16, 7
	v_mov_b32_e32 v23, 0
	s_mov_b32 s12, exec_lo
	v_cmpx_ne_u32_e32 0x7f, v10
	s_cbranch_execz .LBB225_1335
; %bb.1332:                             ;   in Loop: Header=BB225_803 Depth=1
	v_mov_b32_e32 v6, 7
	v_lshrrev_b32_e32 v8, 3, v10
	s_mov_b32 s13, exec_lo
	v_and_b32_sdwa v6, v12, v6 dst_sel:DWORD dst_unused:UNUSED_PAD src0_sel:WORD_1 src1_sel:DWORD
	v_cmpx_gt_u32_e32 8, v10
; %bb.1333:                             ;   in Loop: Header=BB225_803 Depth=1
	v_ffbh_u32_e32 v8, v6
	v_min_u32_e32 v8, 32, v8
	v_subrev_nc_u32_e32 v10, 28, v8
	v_sub_nc_u32_e32 v8, 29, v8
	v_lshlrev_b64 v[22:23], v10, v[6:7]
	v_and_b32_e32 v6, 7, v22
; %bb.1334:                             ;   in Loop: Header=BB225_803 Depth=1
	s_or_b32 exec_lo, exec_lo, s13
	v_mov_b32_e32 v10, 24
	v_lshlrev_b32_e32 v6, 20, v6
	v_lshl_add_u32 v8, v8, 23, 0x3c000000
	v_lshlrev_b32_sdwa v10, v10, v12 dst_sel:DWORD dst_unused:UNUSED_PAD src0_sel:DWORD src1_sel:WORD_1
	v_and_b32_e32 v10, 0x80000000, v10
	v_or3_b32 v6, v6, v10, v8
	v_mov_b32_e32 v23, v7
	v_mov_b32_e32 v22, v6
.LBB225_1335:                           ;   in Loop: Header=BB225_803 Depth=1
	s_or_b32 exec_lo, exec_lo, s12
.LBB225_1336:                           ;   in Loop: Header=BB225_803 Depth=1
	s_or_b32 exec_lo, exec_lo, s11
.LBB225_1337:                           ;   in Loop: Header=BB225_803 Depth=1
	s_or_b32 exec_lo, exec_lo, s9
	s_mov_b32 s9, exec_lo
	v_cmpx_lt_u32_e32 0xffffff, v12
	s_cbranch_execz .LBB225_1345
; %bb.1338:                             ;   in Loop: Header=BB225_803 Depth=1
	v_mov_b32_e32 v8, v7
	v_mov_b32_e32 v21, v9
	v_cmp_ne_u32_sdwa s4, v12, v70 src0_sel:BYTE_3 src1_sel:DWORD
	v_mov_b32_e32 v20, v8
	s_and_saveexec_b32 s11, s4
	s_cbranch_execz .LBB225_1344
; %bb.1339:                             ;   in Loop: Header=BB225_803 Depth=1
	v_mov_b32_e32 v10, v7
	v_mov_b32_e32 v21, v11
	v_bfe_u32 v13, v12, 24, 7
	s_mov_b32 s12, exec_lo
	v_mov_b32_e32 v20, v10
	v_cmpx_ne_u32_e32 0x7f, v13
	s_cbranch_execz .LBB225_1343
; %bb.1340:                             ;   in Loop: Header=BB225_803 Depth=1
	v_mov_b32_e32 v6, 7
	v_lshrrev_b32_e32 v8, 3, v13
	s_mov_b32 s13, exec_lo
	v_and_b32_sdwa v6, v12, v6 dst_sel:DWORD dst_unused:UNUSED_PAD src0_sel:BYTE_3 src1_sel:DWORD
	v_cmpx_gt_u32_e32 8, v13
; %bb.1341:                             ;   in Loop: Header=BB225_803 Depth=1
	v_ffbh_u32_e32 v8, v6
	v_min_u32_e32 v8, 32, v8
	v_subrev_nc_u32_e32 v10, 28, v8
	v_sub_nc_u32_e32 v8, 29, v8
	v_lshlrev_b64 v[20:21], v10, v[6:7]
	v_and_b32_e32 v6, 7, v20
; %bb.1342:                             ;   in Loop: Header=BB225_803 Depth=1
	s_or_b32 exec_lo, exec_lo, s13
	v_mov_b32_e32 v10, 24
	v_lshlrev_b32_e32 v6, 20, v6
	v_lshl_add_u32 v8, v8, 23, 0x3c000000
	v_mov_b32_e32 v20, v7
	v_lshlrev_b32_sdwa v10, v10, v12 dst_sel:DWORD dst_unused:UNUSED_PAD src0_sel:DWORD src1_sel:BYTE_3
	v_and_b32_e32 v10, 0x80000000, v10
	v_or3_b32 v21, v6, v10, v8
.LBB225_1343:                           ;   in Loop: Header=BB225_803 Depth=1
	s_or_b32 exec_lo, exec_lo, s12
.LBB225_1344:                           ;   in Loop: Header=BB225_803 Depth=1
	s_or_b32 exec_lo, exec_lo, s11
.LBB225_1345:                           ;   in Loop: Header=BB225_803 Depth=1
	s_or_b32 exec_lo, exec_lo, s9
	v_or_b32_e32 v6, v19, v17
	v_or_b32_e32 v8, v18, v16
	;; [unrolled: 1-line block ×4, first 2 shown]
	v_mul_f32_e32 v27, v85, v6
	v_mul_f32_e32 v25, v68, v8
	v_mul_f32_e32 v127, v68, v10
	v_mul_f32_e32 v126, v85, v12
	s_and_saveexec_b32 s9, vcc_lo
	s_cbranch_execz .LBB225_1347
; %bb.1346:                             ;   in Loop: Header=BB225_803 Depth=1
	v_cmp_lt_i32_e64 s4, v102, v118
	v_cndmask_b32_e64 v25, 0, v25, s4
	v_cmp_lt_i32_e64 s4, v112, v118
	v_cndmask_b32_e64 v27, 0, v27, s4
	;; [unrolled: 2-line block ×4, first 2 shown]
.LBB225_1347:                           ;   in Loop: Header=BB225_803 Depth=1
	s_or_b32 exec_lo, exec_lo, s9
	v_add_co_u32 v4, s4, 0x800, v4
	v_add_co_ci_u32_e64 v5, null, 0, v5, s4
	v_mov_b32_e32 v18, 0
	v_mov_b32_e32 v16, 0
	;; [unrolled: 1-line block ×3, first 2 shown]
	flat_load_dword v12, v[4:5]
	v_mov_b32_e32 v17, 0
	s_waitcnt vmcnt(0) lgkmcnt(0)
	v_cmp_ne_u16_sdwa s4, v12, v7 src0_sel:BYTE_0 src1_sel:DWORD
	s_and_saveexec_b32 s9, s4
	s_cbranch_execz .LBB225_1355
; %bb.1348:                             ;   in Loop: Header=BB225_803 Depth=1
	v_bfrev_b32_e32 v16, 1
	v_mov_b32_e32 v17, 0
	v_cmp_ne_u16_sdwa s4, v12, v70 src0_sel:BYTE_0 src1_sel:DWORD
	s_and_saveexec_b32 s11, s4
	s_cbranch_execz .LBB225_1354
; %bb.1349:                             ;   in Loop: Header=BB225_803 Depth=1
	v_mov_b32_e32 v16, 0x7f800001
	v_and_b32_e32 v10, 0x7f, v12
	v_mov_b32_e32 v17, 0
	s_mov_b32 s12, exec_lo
	v_cmpx_ne_u32_e32 0x7f, v10
	s_cbranch_execz .LBB225_1353
; %bb.1350:                             ;   in Loop: Header=BB225_803 Depth=1
	v_and_b32_e32 v6, 7, v12
	v_lshrrev_b32_e32 v8, 3, v10
	s_mov_b32 s13, exec_lo
	v_cmpx_gt_u32_e32 8, v10
; %bb.1351:                             ;   in Loop: Header=BB225_803 Depth=1
	v_ffbh_u32_e32 v8, v6
	v_min_u32_e32 v8, 32, v8
	v_subrev_nc_u32_e32 v10, 28, v8
	v_sub_nc_u32_e32 v8, 29, v8
	v_lshlrev_b64 v[16:17], v10, v[6:7]
	v_and_b32_e32 v6, 7, v16
; %bb.1352:                             ;   in Loop: Header=BB225_803 Depth=1
	s_or_b32 exec_lo, exec_lo, s13
	v_lshlrev_b32_e32 v10, 24, v12
	v_lshlrev_b32_e32 v6, 20, v6
	v_lshl_add_u32 v8, v8, 23, 0x3c000000
	v_and_b32_e32 v10, 0x80000000, v10
	v_or3_b32 v6, v6, v10, v8
	v_mov_b32_e32 v17, v7
	v_mov_b32_e32 v16, v6
.LBB225_1353:                           ;   in Loop: Header=BB225_803 Depth=1
	s_or_b32 exec_lo, exec_lo, s12
.LBB225_1354:                           ;   in Loop: Header=BB225_803 Depth=1
	s_or_b32 exec_lo, exec_lo, s11
.LBB225_1355:                           ;   in Loop: Header=BB225_803 Depth=1
	s_or_b32 exec_lo, exec_lo, s9
	v_cmp_ne_u16_sdwa s4, v12, v7 src0_sel:BYTE_1 src1_sel:DWORD
	s_and_saveexec_b32 s9, s4
	s_cbranch_execz .LBB225_1363
; %bb.1356:                             ;   in Loop: Header=BB225_803 Depth=1
	v_mov_b32_e32 v8, v7
	v_mov_b32_e32 v19, v9
	v_cmp_ne_u16_sdwa s4, v12, v70 src0_sel:BYTE_1 src1_sel:DWORD
	v_mov_b32_e32 v18, v8
	s_and_saveexec_b32 s11, s4
	s_cbranch_execz .LBB225_1362
; %bb.1357:                             ;   in Loop: Header=BB225_803 Depth=1
	v_mov_b32_e32 v6, 0xffff
	v_mov_b32_e32 v10, v7
	;; [unrolled: 1-line block ×3, first 2 shown]
	s_mov_b32 s12, exec_lo
	v_and_b32_sdwa v6, v6, v12 dst_sel:DWORD dst_unused:UNUSED_PAD src0_sel:DWORD src1_sel:BYTE_1
	v_mov_b32_e32 v18, v10
	v_and_b32_e32 v13, 0x7f, v6
	v_cmpx_ne_u32_e32 0x7f, v13
	s_cbranch_execz .LBB225_1361
; %bb.1358:                             ;   in Loop: Header=BB225_803 Depth=1
	v_and_b32_e32 v6, 7, v6
	v_lshrrev_b32_e32 v8, 3, v13
	s_mov_b32 s13, exec_lo
	v_cmpx_gt_u32_e32 8, v13
; %bb.1359:                             ;   in Loop: Header=BB225_803 Depth=1
	v_ffbh_u32_e32 v8, v6
	v_min_u32_e32 v8, 32, v8
	v_subrev_nc_u32_e32 v10, 28, v8
	v_sub_nc_u32_e32 v8, 29, v8
	v_lshlrev_b64 v[18:19], v10, v[6:7]
	v_and_b32_e32 v6, 7, v18
; %bb.1360:                             ;   in Loop: Header=BB225_803 Depth=1
	s_or_b32 exec_lo, exec_lo, s13
	v_lshlrev_b32_e32 v10, 16, v12
	v_lshlrev_b32_e32 v6, 20, v6
	v_lshl_add_u32 v8, v8, 23, 0x3c000000
	v_mov_b32_e32 v18, v7
	v_and_b32_e32 v10, 0x80000000, v10
	v_or3_b32 v19, v6, v10, v8
.LBB225_1361:                           ;   in Loop: Header=BB225_803 Depth=1
	s_or_b32 exec_lo, exec_lo, s12
.LBB225_1362:                           ;   in Loop: Header=BB225_803 Depth=1
	s_or_b32 exec_lo, exec_lo, s11
.LBB225_1363:                           ;   in Loop: Header=BB225_803 Depth=1
	s_or_b32 exec_lo, exec_lo, s9
	v_mov_b32_e32 v20, 0
	v_mov_b32_e32 v22, 0
	v_and_b32_sdwa v6, v12, v80 dst_sel:DWORD dst_unused:UNUSED_PAD src0_sel:WORD_1 src1_sel:DWORD
	v_mov_b32_e32 v21, 0
	v_mov_b32_e32 v23, 0
	s_mov_b32 s9, exec_lo
	v_cmpx_ne_u16_e32 0, v6
	s_cbranch_execz .LBB225_1371
; %bb.1364:                             ;   in Loop: Header=BB225_803 Depth=1
	v_bfrev_b32_e32 v22, 1
	v_mov_b32_e32 v23, 0
	s_mov_b32 s11, exec_lo
	v_cmpx_ne_u16_e32 0x80, v6
	s_cbranch_execz .LBB225_1370
; %bb.1365:                             ;   in Loop: Header=BB225_803 Depth=1
	v_mov_b32_e32 v22, 0x7f800001
	v_bfe_u32 v10, v12, 16, 7
	v_mov_b32_e32 v23, 0
	s_mov_b32 s12, exec_lo
	v_cmpx_ne_u32_e32 0x7f, v10
	s_cbranch_execz .LBB225_1369
; %bb.1366:                             ;   in Loop: Header=BB225_803 Depth=1
	v_mov_b32_e32 v6, 7
	v_lshrrev_b32_e32 v8, 3, v10
	s_mov_b32 s13, exec_lo
	v_and_b32_sdwa v6, v12, v6 dst_sel:DWORD dst_unused:UNUSED_PAD src0_sel:WORD_1 src1_sel:DWORD
	v_cmpx_gt_u32_e32 8, v10
; %bb.1367:                             ;   in Loop: Header=BB225_803 Depth=1
	v_ffbh_u32_e32 v8, v6
	v_min_u32_e32 v8, 32, v8
	v_subrev_nc_u32_e32 v10, 28, v8
	v_sub_nc_u32_e32 v8, 29, v8
	v_lshlrev_b64 v[22:23], v10, v[6:7]
	v_and_b32_e32 v6, 7, v22
; %bb.1368:                             ;   in Loop: Header=BB225_803 Depth=1
	s_or_b32 exec_lo, exec_lo, s13
	v_mov_b32_e32 v10, 24
	v_lshlrev_b32_e32 v6, 20, v6
	v_lshl_add_u32 v8, v8, 23, 0x3c000000
	v_lshlrev_b32_sdwa v10, v10, v12 dst_sel:DWORD dst_unused:UNUSED_PAD src0_sel:DWORD src1_sel:WORD_1
	v_and_b32_e32 v10, 0x80000000, v10
	v_or3_b32 v6, v6, v10, v8
	v_mov_b32_e32 v23, v7
	v_mov_b32_e32 v22, v6
.LBB225_1369:                           ;   in Loop: Header=BB225_803 Depth=1
	s_or_b32 exec_lo, exec_lo, s12
.LBB225_1370:                           ;   in Loop: Header=BB225_803 Depth=1
	s_or_b32 exec_lo, exec_lo, s11
.LBB225_1371:                           ;   in Loop: Header=BB225_803 Depth=1
	s_or_b32 exec_lo, exec_lo, s9
	s_mov_b32 s9, exec_lo
	v_cmpx_lt_u32_e32 0xffffff, v12
	s_cbranch_execz .LBB225_1379
; %bb.1372:                             ;   in Loop: Header=BB225_803 Depth=1
	v_mov_b32_e32 v8, v7
	v_mov_b32_e32 v21, v9
	v_cmp_ne_u32_sdwa s4, v12, v70 src0_sel:BYTE_3 src1_sel:DWORD
	v_mov_b32_e32 v20, v8
	s_and_saveexec_b32 s11, s4
	s_cbranch_execz .LBB225_1378
; %bb.1373:                             ;   in Loop: Header=BB225_803 Depth=1
	v_mov_b32_e32 v10, v7
	v_mov_b32_e32 v21, v11
	v_bfe_u32 v13, v12, 24, 7
	s_mov_b32 s12, exec_lo
	v_mov_b32_e32 v20, v10
	v_cmpx_ne_u32_e32 0x7f, v13
	s_cbranch_execz .LBB225_1377
; %bb.1374:                             ;   in Loop: Header=BB225_803 Depth=1
	v_mov_b32_e32 v6, 7
	v_lshrrev_b32_e32 v8, 3, v13
	s_mov_b32 s13, exec_lo
	v_and_b32_sdwa v6, v12, v6 dst_sel:DWORD dst_unused:UNUSED_PAD src0_sel:BYTE_3 src1_sel:DWORD
	v_cmpx_gt_u32_e32 8, v13
; %bb.1375:                             ;   in Loop: Header=BB225_803 Depth=1
	v_ffbh_u32_e32 v8, v6
	v_min_u32_e32 v8, 32, v8
	v_subrev_nc_u32_e32 v10, 28, v8
	v_sub_nc_u32_e32 v8, 29, v8
	v_lshlrev_b64 v[20:21], v10, v[6:7]
	v_and_b32_e32 v6, 7, v20
; %bb.1376:                             ;   in Loop: Header=BB225_803 Depth=1
	s_or_b32 exec_lo, exec_lo, s13
	v_mov_b32_e32 v10, 24
	v_lshlrev_b32_e32 v6, 20, v6
	v_lshl_add_u32 v8, v8, 23, 0x3c000000
	v_mov_b32_e32 v20, v7
	v_lshlrev_b32_sdwa v10, v10, v12 dst_sel:DWORD dst_unused:UNUSED_PAD src0_sel:DWORD src1_sel:BYTE_3
	v_and_b32_e32 v10, 0x80000000, v10
	v_or3_b32 v21, v6, v10, v8
.LBB225_1377:                           ;   in Loop: Header=BB225_803 Depth=1
	s_or_b32 exec_lo, exec_lo, s12
.LBB225_1378:                           ;   in Loop: Header=BB225_803 Depth=1
	s_or_b32 exec_lo, exec_lo, s11
.LBB225_1379:                           ;   in Loop: Header=BB225_803 Depth=1
	s_or_b32 exec_lo, exec_lo, s9
	v_or_b32_e32 v6, v19, v17
	v_or_b32_e32 v8, v18, v16
	v_or_b32_e32 v10, v20, v22
	v_or_b32_e32 v16, v21, v23
	v_mul_f32_e32 v13, v85, v6
	v_mul_f32_e32 v24, v68, v8
	;; [unrolled: 1-line block ×4, first 2 shown]
	s_and_saveexec_b32 s9, vcc_lo
	s_cbranch_execz .LBB225_1381
; %bb.1380:                             ;   in Loop: Header=BB225_803 Depth=1
	v_cmp_lt_i32_e64 s4, v102, v118
	v_cndmask_b32_e64 v24, 0, v24, s4
	v_cmp_lt_i32_e64 s4, v112, v118
	v_cndmask_b32_e64 v13, 0, v13, s4
	;; [unrolled: 2-line block ×4, first 2 shown]
.LBB225_1381:                           ;   in Loop: Header=BB225_803 Depth=1
	s_or_b32 exec_lo, exec_lo, s9
	flat_load_dword v26, v[4:5] offset:128
	v_mov_b32_e32 v18, 0
	v_mov_b32_e32 v16, 0
	;; [unrolled: 1-line block ×4, first 2 shown]
	s_waitcnt vmcnt(0) lgkmcnt(0)
	v_cmp_ne_u16_sdwa s4, v26, v7 src0_sel:BYTE_0 src1_sel:DWORD
	s_and_saveexec_b32 s9, s4
	s_cbranch_execz .LBB225_1389
; %bb.1382:                             ;   in Loop: Header=BB225_803 Depth=1
	v_bfrev_b32_e32 v16, 1
	v_mov_b32_e32 v17, 0
	v_cmp_ne_u16_sdwa s4, v26, v70 src0_sel:BYTE_0 src1_sel:DWORD
	s_and_saveexec_b32 s11, s4
	s_cbranch_execz .LBB225_1388
; %bb.1383:                             ;   in Loop: Header=BB225_803 Depth=1
	v_mov_b32_e32 v16, 0x7f800001
	v_and_b32_e32 v10, 0x7f, v26
	v_mov_b32_e32 v17, 0
	s_mov_b32 s12, exec_lo
	v_cmpx_ne_u32_e32 0x7f, v10
	s_cbranch_execz .LBB225_1387
; %bb.1384:                             ;   in Loop: Header=BB225_803 Depth=1
	v_and_b32_e32 v6, 7, v26
	v_lshrrev_b32_e32 v8, 3, v10
	s_mov_b32 s13, exec_lo
	v_cmpx_gt_u32_e32 8, v10
; %bb.1385:                             ;   in Loop: Header=BB225_803 Depth=1
	v_ffbh_u32_e32 v8, v6
	v_min_u32_e32 v8, 32, v8
	v_subrev_nc_u32_e32 v10, 28, v8
	v_sub_nc_u32_e32 v8, 29, v8
	v_lshlrev_b64 v[16:17], v10, v[6:7]
	v_and_b32_e32 v6, 7, v16
; %bb.1386:                             ;   in Loop: Header=BB225_803 Depth=1
	s_or_b32 exec_lo, exec_lo, s13
	v_lshlrev_b32_e32 v10, 24, v26
	v_lshlrev_b32_e32 v6, 20, v6
	v_lshl_add_u32 v8, v8, 23, 0x3c000000
	v_and_b32_e32 v10, 0x80000000, v10
	v_or3_b32 v6, v6, v10, v8
	v_mov_b32_e32 v17, v7
	v_mov_b32_e32 v16, v6
.LBB225_1387:                           ;   in Loop: Header=BB225_803 Depth=1
	s_or_b32 exec_lo, exec_lo, s12
.LBB225_1388:                           ;   in Loop: Header=BB225_803 Depth=1
	s_or_b32 exec_lo, exec_lo, s11
.LBB225_1389:                           ;   in Loop: Header=BB225_803 Depth=1
	s_or_b32 exec_lo, exec_lo, s9
	v_cmp_ne_u16_sdwa s4, v26, v7 src0_sel:BYTE_1 src1_sel:DWORD
	s_and_saveexec_b32 s9, s4
	s_cbranch_execz .LBB225_1397
; %bb.1390:                             ;   in Loop: Header=BB225_803 Depth=1
	v_mov_b32_e32 v8, v7
	v_mov_b32_e32 v19, v9
	v_cmp_ne_u16_sdwa s4, v26, v70 src0_sel:BYTE_1 src1_sel:DWORD
	v_mov_b32_e32 v18, v8
	s_and_saveexec_b32 s11, s4
	s_cbranch_execz .LBB225_1396
; %bb.1391:                             ;   in Loop: Header=BB225_803 Depth=1
	v_mov_b32_e32 v6, 0xffff
	v_mov_b32_e32 v10, v7
	;; [unrolled: 1-line block ×3, first 2 shown]
	s_mov_b32 s12, exec_lo
	v_and_b32_sdwa v6, v6, v26 dst_sel:DWORD dst_unused:UNUSED_PAD src0_sel:DWORD src1_sel:BYTE_1
	v_mov_b32_e32 v18, v10
	v_and_b32_e32 v20, 0x7f, v6
	v_cmpx_ne_u32_e32 0x7f, v20
	s_cbranch_execz .LBB225_1395
; %bb.1392:                             ;   in Loop: Header=BB225_803 Depth=1
	v_and_b32_e32 v6, 7, v6
	v_lshrrev_b32_e32 v8, 3, v20
	s_mov_b32 s13, exec_lo
	v_cmpx_gt_u32_e32 8, v20
; %bb.1393:                             ;   in Loop: Header=BB225_803 Depth=1
	v_ffbh_u32_e32 v8, v6
	v_min_u32_e32 v8, 32, v8
	v_subrev_nc_u32_e32 v10, 28, v8
	v_sub_nc_u32_e32 v8, 29, v8
	v_lshlrev_b64 v[18:19], v10, v[6:7]
	v_and_b32_e32 v6, 7, v18
; %bb.1394:                             ;   in Loop: Header=BB225_803 Depth=1
	s_or_b32 exec_lo, exec_lo, s13
	v_lshlrev_b32_e32 v10, 16, v26
	v_lshlrev_b32_e32 v6, 20, v6
	v_lshl_add_u32 v8, v8, 23, 0x3c000000
	v_mov_b32_e32 v18, v7
	v_and_b32_e32 v10, 0x80000000, v10
	v_or3_b32 v19, v6, v10, v8
.LBB225_1395:                           ;   in Loop: Header=BB225_803 Depth=1
	s_or_b32 exec_lo, exec_lo, s12
.LBB225_1396:                           ;   in Loop: Header=BB225_803 Depth=1
	s_or_b32 exec_lo, exec_lo, s11
.LBB225_1397:                           ;   in Loop: Header=BB225_803 Depth=1
	s_or_b32 exec_lo, exec_lo, s9
	v_mov_b32_e32 v20, 0
	v_mov_b32_e32 v22, 0
	v_and_b32_sdwa v6, v26, v80 dst_sel:DWORD dst_unused:UNUSED_PAD src0_sel:WORD_1 src1_sel:DWORD
	v_mov_b32_e32 v21, 0
	v_mov_b32_e32 v23, 0
	s_mov_b32 s9, exec_lo
	v_cmpx_ne_u16_e32 0, v6
	s_cbranch_execz .LBB225_1405
; %bb.1398:                             ;   in Loop: Header=BB225_803 Depth=1
	v_bfrev_b32_e32 v22, 1
	v_mov_b32_e32 v23, 0
	s_mov_b32 s11, exec_lo
	v_cmpx_ne_u16_e32 0x80, v6
	s_cbranch_execz .LBB225_1404
; %bb.1399:                             ;   in Loop: Header=BB225_803 Depth=1
	v_mov_b32_e32 v22, 0x7f800001
	v_bfe_u32 v10, v26, 16, 7
	v_mov_b32_e32 v23, 0
	s_mov_b32 s12, exec_lo
	v_cmpx_ne_u32_e32 0x7f, v10
	s_cbranch_execz .LBB225_1403
; %bb.1400:                             ;   in Loop: Header=BB225_803 Depth=1
	v_mov_b32_e32 v6, 7
	v_lshrrev_b32_e32 v8, 3, v10
	s_mov_b32 s13, exec_lo
	v_and_b32_sdwa v6, v26, v6 dst_sel:DWORD dst_unused:UNUSED_PAD src0_sel:WORD_1 src1_sel:DWORD
	v_cmpx_gt_u32_e32 8, v10
; %bb.1401:                             ;   in Loop: Header=BB225_803 Depth=1
	v_ffbh_u32_e32 v8, v6
	v_min_u32_e32 v8, 32, v8
	v_subrev_nc_u32_e32 v10, 28, v8
	v_sub_nc_u32_e32 v8, 29, v8
	v_lshlrev_b64 v[22:23], v10, v[6:7]
	v_and_b32_e32 v6, 7, v22
; %bb.1402:                             ;   in Loop: Header=BB225_803 Depth=1
	s_or_b32 exec_lo, exec_lo, s13
	v_mov_b32_e32 v10, 24
	v_lshlrev_b32_e32 v6, 20, v6
	v_lshl_add_u32 v8, v8, 23, 0x3c000000
	v_lshlrev_b32_sdwa v10, v10, v26 dst_sel:DWORD dst_unused:UNUSED_PAD src0_sel:DWORD src1_sel:WORD_1
	v_and_b32_e32 v10, 0x80000000, v10
	v_or3_b32 v6, v6, v10, v8
	v_mov_b32_e32 v23, v7
	v_mov_b32_e32 v22, v6
.LBB225_1403:                           ;   in Loop: Header=BB225_803 Depth=1
	s_or_b32 exec_lo, exec_lo, s12
.LBB225_1404:                           ;   in Loop: Header=BB225_803 Depth=1
	s_or_b32 exec_lo, exec_lo, s11
.LBB225_1405:                           ;   in Loop: Header=BB225_803 Depth=1
	s_or_b32 exec_lo, exec_lo, s9
	s_mov_b32 s9, exec_lo
	v_cmpx_lt_u32_e32 0xffffff, v26
	s_cbranch_execz .LBB225_1413
; %bb.1406:                             ;   in Loop: Header=BB225_803 Depth=1
	v_mov_b32_e32 v8, v7
	v_mov_b32_e32 v21, v9
	v_cmp_ne_u32_sdwa s4, v26, v70 src0_sel:BYTE_3 src1_sel:DWORD
	v_mov_b32_e32 v20, v8
	s_and_saveexec_b32 s11, s4
	s_cbranch_execz .LBB225_1412
; %bb.1407:                             ;   in Loop: Header=BB225_803 Depth=1
	v_mov_b32_e32 v10, v7
	v_mov_b32_e32 v21, v11
	v_bfe_u32 v71, v26, 24, 7
	s_mov_b32 s12, exec_lo
	v_mov_b32_e32 v20, v10
	v_cmpx_ne_u32_e32 0x7f, v71
	s_cbranch_execz .LBB225_1411
; %bb.1408:                             ;   in Loop: Header=BB225_803 Depth=1
	v_mov_b32_e32 v6, 7
	v_lshrrev_b32_e32 v8, 3, v71
	s_mov_b32 s13, exec_lo
	v_and_b32_sdwa v6, v26, v6 dst_sel:DWORD dst_unused:UNUSED_PAD src0_sel:BYTE_3 src1_sel:DWORD
	v_cmpx_gt_u32_e32 8, v71
; %bb.1409:                             ;   in Loop: Header=BB225_803 Depth=1
	v_ffbh_u32_e32 v8, v6
	v_min_u32_e32 v8, 32, v8
	v_subrev_nc_u32_e32 v10, 28, v8
	v_sub_nc_u32_e32 v8, 29, v8
	v_lshlrev_b64 v[20:21], v10, v[6:7]
	v_and_b32_e32 v6, 7, v20
; %bb.1410:                             ;   in Loop: Header=BB225_803 Depth=1
	s_or_b32 exec_lo, exec_lo, s13
	v_mov_b32_e32 v10, 24
	v_lshlrev_b32_e32 v6, 20, v6
	v_lshl_add_u32 v8, v8, 23, 0x3c000000
	v_mov_b32_e32 v20, v7
	v_lshlrev_b32_sdwa v10, v10, v26 dst_sel:DWORD dst_unused:UNUSED_PAD src0_sel:DWORD src1_sel:BYTE_3
	v_and_b32_e32 v10, 0x80000000, v10
	v_or3_b32 v21, v6, v10, v8
.LBB225_1411:                           ;   in Loop: Header=BB225_803 Depth=1
	s_or_b32 exec_lo, exec_lo, s12
.LBB225_1412:                           ;   in Loop: Header=BB225_803 Depth=1
	s_or_b32 exec_lo, exec_lo, s11
.LBB225_1413:                           ;   in Loop: Header=BB225_803 Depth=1
	s_or_b32 exec_lo, exec_lo, s9
	v_or_b32_e32 v6, v19, v17
	v_or_b32_e32 v8, v18, v16
	;; [unrolled: 1-line block ×4, first 2 shown]
	v_mul_f32_e32 v81, v85, v6
	v_mul_f32_e32 v82, v68, v8
	v_mul_f32_e32 v71, v68, v10
	v_mul_f32_e32 v26, v85, v16
	s_and_saveexec_b32 s9, vcc_lo
	s_cbranch_execz .LBB225_1415
; %bb.1414:                             ;   in Loop: Header=BB225_803 Depth=1
	v_cmp_lt_i32_e64 s4, v102, v118
	v_cndmask_b32_e64 v82, 0, v82, s4
	v_cmp_lt_i32_e64 s4, v112, v118
	v_cndmask_b32_e64 v81, 0, v81, s4
	;; [unrolled: 2-line block ×4, first 2 shown]
.LBB225_1415:                           ;   in Loop: Header=BB225_803 Depth=1
	s_or_b32 exec_lo, exec_lo, s9
	flat_load_dword v86, v[4:5] offset:256
	v_mov_b32_e32 v18, 0
	v_mov_b32_e32 v16, 0
	;; [unrolled: 1-line block ×4, first 2 shown]
	s_waitcnt vmcnt(0) lgkmcnt(0)
	v_cmp_ne_u16_sdwa s4, v86, v7 src0_sel:BYTE_0 src1_sel:DWORD
	s_and_saveexec_b32 s9, s4
	s_cbranch_execz .LBB225_1423
; %bb.1416:                             ;   in Loop: Header=BB225_803 Depth=1
	v_bfrev_b32_e32 v16, 1
	v_mov_b32_e32 v17, 0
	v_cmp_ne_u16_sdwa s4, v86, v70 src0_sel:BYTE_0 src1_sel:DWORD
	s_and_saveexec_b32 s11, s4
	s_cbranch_execz .LBB225_1422
; %bb.1417:                             ;   in Loop: Header=BB225_803 Depth=1
	v_mov_b32_e32 v16, 0x7f800001
	v_and_b32_e32 v10, 0x7f, v86
	v_mov_b32_e32 v17, 0
	s_mov_b32 s12, exec_lo
	v_cmpx_ne_u32_e32 0x7f, v10
	s_cbranch_execz .LBB225_1421
; %bb.1418:                             ;   in Loop: Header=BB225_803 Depth=1
	v_and_b32_e32 v6, 7, v86
	v_lshrrev_b32_e32 v8, 3, v10
	s_mov_b32 s13, exec_lo
	v_cmpx_gt_u32_e32 8, v10
; %bb.1419:                             ;   in Loop: Header=BB225_803 Depth=1
	v_ffbh_u32_e32 v8, v6
	v_min_u32_e32 v8, 32, v8
	v_subrev_nc_u32_e32 v10, 28, v8
	v_sub_nc_u32_e32 v8, 29, v8
	v_lshlrev_b64 v[16:17], v10, v[6:7]
	v_and_b32_e32 v6, 7, v16
; %bb.1420:                             ;   in Loop: Header=BB225_803 Depth=1
	s_or_b32 exec_lo, exec_lo, s13
	v_lshlrev_b32_e32 v10, 24, v86
	v_lshlrev_b32_e32 v6, 20, v6
	v_lshl_add_u32 v8, v8, 23, 0x3c000000
	v_and_b32_e32 v10, 0x80000000, v10
	v_or3_b32 v6, v6, v10, v8
	v_mov_b32_e32 v17, v7
	v_mov_b32_e32 v16, v6
.LBB225_1421:                           ;   in Loop: Header=BB225_803 Depth=1
	s_or_b32 exec_lo, exec_lo, s12
.LBB225_1422:                           ;   in Loop: Header=BB225_803 Depth=1
	s_or_b32 exec_lo, exec_lo, s11
.LBB225_1423:                           ;   in Loop: Header=BB225_803 Depth=1
	s_or_b32 exec_lo, exec_lo, s9
	v_cmp_ne_u16_sdwa s4, v86, v7 src0_sel:BYTE_1 src1_sel:DWORD
	s_and_saveexec_b32 s9, s4
	s_cbranch_execz .LBB225_1431
; %bb.1424:                             ;   in Loop: Header=BB225_803 Depth=1
	v_mov_b32_e32 v8, v7
	v_mov_b32_e32 v19, v9
	v_cmp_ne_u16_sdwa s4, v86, v70 src0_sel:BYTE_1 src1_sel:DWORD
	v_mov_b32_e32 v18, v8
	s_and_saveexec_b32 s11, s4
	s_cbranch_execz .LBB225_1430
; %bb.1425:                             ;   in Loop: Header=BB225_803 Depth=1
	v_mov_b32_e32 v6, 0xffff
	v_mov_b32_e32 v10, v7
	;; [unrolled: 1-line block ×3, first 2 shown]
	s_mov_b32 s12, exec_lo
	v_and_b32_sdwa v6, v6, v86 dst_sel:DWORD dst_unused:UNUSED_PAD src0_sel:DWORD src1_sel:BYTE_1
	v_mov_b32_e32 v18, v10
	v_and_b32_e32 v20, 0x7f, v6
	v_cmpx_ne_u32_e32 0x7f, v20
	s_cbranch_execz .LBB225_1429
; %bb.1426:                             ;   in Loop: Header=BB225_803 Depth=1
	v_and_b32_e32 v6, 7, v6
	v_lshrrev_b32_e32 v8, 3, v20
	s_mov_b32 s13, exec_lo
	v_cmpx_gt_u32_e32 8, v20
; %bb.1427:                             ;   in Loop: Header=BB225_803 Depth=1
	v_ffbh_u32_e32 v8, v6
	v_min_u32_e32 v8, 32, v8
	v_subrev_nc_u32_e32 v10, 28, v8
	v_sub_nc_u32_e32 v8, 29, v8
	v_lshlrev_b64 v[18:19], v10, v[6:7]
	v_and_b32_e32 v6, 7, v18
; %bb.1428:                             ;   in Loop: Header=BB225_803 Depth=1
	s_or_b32 exec_lo, exec_lo, s13
	v_lshlrev_b32_e32 v10, 16, v86
	v_lshlrev_b32_e32 v6, 20, v6
	v_lshl_add_u32 v8, v8, 23, 0x3c000000
	v_mov_b32_e32 v18, v7
	v_and_b32_e32 v10, 0x80000000, v10
	v_or3_b32 v19, v6, v10, v8
.LBB225_1429:                           ;   in Loop: Header=BB225_803 Depth=1
	s_or_b32 exec_lo, exec_lo, s12
.LBB225_1430:                           ;   in Loop: Header=BB225_803 Depth=1
	s_or_b32 exec_lo, exec_lo, s11
.LBB225_1431:                           ;   in Loop: Header=BB225_803 Depth=1
	s_or_b32 exec_lo, exec_lo, s9
	v_mov_b32_e32 v20, 0
	v_mov_b32_e32 v22, 0
	v_and_b32_sdwa v6, v86, v80 dst_sel:DWORD dst_unused:UNUSED_PAD src0_sel:WORD_1 src1_sel:DWORD
	v_mov_b32_e32 v21, 0
	v_mov_b32_e32 v23, 0
	s_mov_b32 s9, exec_lo
	v_cmpx_ne_u16_e32 0, v6
	s_cbranch_execz .LBB225_1439
; %bb.1432:                             ;   in Loop: Header=BB225_803 Depth=1
	v_bfrev_b32_e32 v22, 1
	v_mov_b32_e32 v23, 0
	s_mov_b32 s11, exec_lo
	v_cmpx_ne_u16_e32 0x80, v6
	s_cbranch_execz .LBB225_1438
; %bb.1433:                             ;   in Loop: Header=BB225_803 Depth=1
	v_mov_b32_e32 v22, 0x7f800001
	v_bfe_u32 v10, v86, 16, 7
	v_mov_b32_e32 v23, 0
	s_mov_b32 s12, exec_lo
	v_cmpx_ne_u32_e32 0x7f, v10
	s_cbranch_execz .LBB225_1437
; %bb.1434:                             ;   in Loop: Header=BB225_803 Depth=1
	v_mov_b32_e32 v6, 7
	v_lshrrev_b32_e32 v8, 3, v10
	s_mov_b32 s13, exec_lo
	v_and_b32_sdwa v6, v86, v6 dst_sel:DWORD dst_unused:UNUSED_PAD src0_sel:WORD_1 src1_sel:DWORD
	v_cmpx_gt_u32_e32 8, v10
; %bb.1435:                             ;   in Loop: Header=BB225_803 Depth=1
	v_ffbh_u32_e32 v8, v6
	v_min_u32_e32 v8, 32, v8
	v_subrev_nc_u32_e32 v10, 28, v8
	v_sub_nc_u32_e32 v8, 29, v8
	v_lshlrev_b64 v[22:23], v10, v[6:7]
	v_and_b32_e32 v6, 7, v22
; %bb.1436:                             ;   in Loop: Header=BB225_803 Depth=1
	s_or_b32 exec_lo, exec_lo, s13
	v_mov_b32_e32 v10, 24
	v_lshlrev_b32_e32 v6, 20, v6
	v_lshl_add_u32 v8, v8, 23, 0x3c000000
	v_lshlrev_b32_sdwa v10, v10, v86 dst_sel:DWORD dst_unused:UNUSED_PAD src0_sel:DWORD src1_sel:WORD_1
	v_and_b32_e32 v10, 0x80000000, v10
	v_or3_b32 v6, v6, v10, v8
	v_mov_b32_e32 v23, v7
	v_mov_b32_e32 v22, v6
.LBB225_1437:                           ;   in Loop: Header=BB225_803 Depth=1
	s_or_b32 exec_lo, exec_lo, s12
.LBB225_1438:                           ;   in Loop: Header=BB225_803 Depth=1
	s_or_b32 exec_lo, exec_lo, s11
.LBB225_1439:                           ;   in Loop: Header=BB225_803 Depth=1
	s_or_b32 exec_lo, exec_lo, s9
	s_mov_b32 s9, exec_lo
	v_cmpx_lt_u32_e32 0xffffff, v86
	s_cbranch_execz .LBB225_1447
; %bb.1440:                             ;   in Loop: Header=BB225_803 Depth=1
	v_mov_b32_e32 v8, v7
	v_mov_b32_e32 v21, v9
	v_cmp_ne_u32_sdwa s4, v86, v70 src0_sel:BYTE_3 src1_sel:DWORD
	v_mov_b32_e32 v20, v8
	s_and_saveexec_b32 s11, s4
	s_cbranch_execz .LBB225_1446
; %bb.1441:                             ;   in Loop: Header=BB225_803 Depth=1
	v_mov_b32_e32 v10, v7
	v_mov_b32_e32 v21, v11
	v_bfe_u32 v87, v86, 24, 7
	s_mov_b32 s12, exec_lo
	v_mov_b32_e32 v20, v10
	v_cmpx_ne_u32_e32 0x7f, v87
	s_cbranch_execz .LBB225_1445
; %bb.1442:                             ;   in Loop: Header=BB225_803 Depth=1
	v_mov_b32_e32 v6, 7
	v_lshrrev_b32_e32 v8, 3, v87
	s_mov_b32 s13, exec_lo
	v_and_b32_sdwa v6, v86, v6 dst_sel:DWORD dst_unused:UNUSED_PAD src0_sel:BYTE_3 src1_sel:DWORD
	v_cmpx_gt_u32_e32 8, v87
; %bb.1443:                             ;   in Loop: Header=BB225_803 Depth=1
	v_ffbh_u32_e32 v8, v6
	v_min_u32_e32 v8, 32, v8
	v_subrev_nc_u32_e32 v10, 28, v8
	v_sub_nc_u32_e32 v8, 29, v8
	v_lshlrev_b64 v[20:21], v10, v[6:7]
	v_and_b32_e32 v6, 7, v20
; %bb.1444:                             ;   in Loop: Header=BB225_803 Depth=1
	s_or_b32 exec_lo, exec_lo, s13
	v_mov_b32_e32 v10, 24
	v_lshlrev_b32_e32 v6, 20, v6
	v_lshl_add_u32 v8, v8, 23, 0x3c000000
	v_mov_b32_e32 v20, v7
	v_lshlrev_b32_sdwa v10, v10, v86 dst_sel:DWORD dst_unused:UNUSED_PAD src0_sel:DWORD src1_sel:BYTE_3
	v_and_b32_e32 v10, 0x80000000, v10
	v_or3_b32 v21, v6, v10, v8
.LBB225_1445:                           ;   in Loop: Header=BB225_803 Depth=1
	s_or_b32 exec_lo, exec_lo, s12
.LBB225_1446:                           ;   in Loop: Header=BB225_803 Depth=1
	s_or_b32 exec_lo, exec_lo, s11
.LBB225_1447:                           ;   in Loop: Header=BB225_803 Depth=1
	s_or_b32 exec_lo, exec_lo, s9
	v_or_b32_e32 v6, v19, v17
	v_or_b32_e32 v8, v18, v16
	;; [unrolled: 1-line block ×4, first 2 shown]
	v_mul_f32_e32 v97, v85, v6
	v_mul_f32_e32 v96, v68, v8
	;; [unrolled: 1-line block ×4, first 2 shown]
	s_and_saveexec_b32 s9, vcc_lo
	s_cbranch_execz .LBB225_1449
; %bb.1448:                             ;   in Loop: Header=BB225_803 Depth=1
	v_cmp_lt_i32_e64 s4, v102, v118
	v_cndmask_b32_e64 v96, 0, v96, s4
	v_cmp_lt_i32_e64 s4, v112, v118
	v_cndmask_b32_e64 v97, 0, v97, s4
	;; [unrolled: 2-line block ×4, first 2 shown]
.LBB225_1449:                           ;   in Loop: Header=BB225_803 Depth=1
	s_or_b32 exec_lo, exec_lo, s9
	flat_load_dword v98, v[4:5] offset:384
	v_mov_b32_e32 v18, 0
	v_mov_b32_e32 v16, 0
	;; [unrolled: 1-line block ×4, first 2 shown]
	s_waitcnt vmcnt(0) lgkmcnt(0)
	v_cmp_ne_u16_sdwa s4, v98, v7 src0_sel:BYTE_0 src1_sel:DWORD
	s_and_saveexec_b32 s9, s4
	s_cbranch_execz .LBB225_1457
; %bb.1450:                             ;   in Loop: Header=BB225_803 Depth=1
	v_bfrev_b32_e32 v16, 1
	v_mov_b32_e32 v17, 0
	v_cmp_ne_u16_sdwa s4, v98, v70 src0_sel:BYTE_0 src1_sel:DWORD
	s_and_saveexec_b32 s11, s4
	s_cbranch_execz .LBB225_1456
; %bb.1451:                             ;   in Loop: Header=BB225_803 Depth=1
	v_mov_b32_e32 v16, 0x7f800001
	v_and_b32_e32 v10, 0x7f, v98
	v_mov_b32_e32 v17, 0
	s_mov_b32 s12, exec_lo
	v_cmpx_ne_u32_e32 0x7f, v10
	s_cbranch_execz .LBB225_1455
; %bb.1452:                             ;   in Loop: Header=BB225_803 Depth=1
	v_and_b32_e32 v6, 7, v98
	v_lshrrev_b32_e32 v8, 3, v10
	s_mov_b32 s13, exec_lo
	v_cmpx_gt_u32_e32 8, v10
; %bb.1453:                             ;   in Loop: Header=BB225_803 Depth=1
	v_ffbh_u32_e32 v8, v6
	v_min_u32_e32 v8, 32, v8
	v_subrev_nc_u32_e32 v10, 28, v8
	v_sub_nc_u32_e32 v8, 29, v8
	v_lshlrev_b64 v[16:17], v10, v[6:7]
	v_and_b32_e32 v6, 7, v16
; %bb.1454:                             ;   in Loop: Header=BB225_803 Depth=1
	s_or_b32 exec_lo, exec_lo, s13
	v_lshlrev_b32_e32 v10, 24, v98
	v_lshlrev_b32_e32 v6, 20, v6
	v_lshl_add_u32 v8, v8, 23, 0x3c000000
	v_and_b32_e32 v10, 0x80000000, v10
	v_or3_b32 v6, v6, v10, v8
	v_mov_b32_e32 v17, v7
	v_mov_b32_e32 v16, v6
.LBB225_1455:                           ;   in Loop: Header=BB225_803 Depth=1
	s_or_b32 exec_lo, exec_lo, s12
.LBB225_1456:                           ;   in Loop: Header=BB225_803 Depth=1
	s_or_b32 exec_lo, exec_lo, s11
.LBB225_1457:                           ;   in Loop: Header=BB225_803 Depth=1
	s_or_b32 exec_lo, exec_lo, s9
	v_cmp_ne_u16_sdwa s4, v98, v7 src0_sel:BYTE_1 src1_sel:DWORD
	s_and_saveexec_b32 s9, s4
	s_cbranch_execz .LBB225_1465
; %bb.1458:                             ;   in Loop: Header=BB225_803 Depth=1
	v_mov_b32_e32 v8, v7
	v_mov_b32_e32 v19, v9
	v_cmp_ne_u16_sdwa s4, v98, v70 src0_sel:BYTE_1 src1_sel:DWORD
	v_mov_b32_e32 v18, v8
	s_and_saveexec_b32 s11, s4
	s_cbranch_execz .LBB225_1464
; %bb.1459:                             ;   in Loop: Header=BB225_803 Depth=1
	v_mov_b32_e32 v6, 0xffff
	v_mov_b32_e32 v10, v7
	v_mov_b32_e32 v19, v11
	s_mov_b32 s12, exec_lo
	v_and_b32_sdwa v6, v6, v98 dst_sel:DWORD dst_unused:UNUSED_PAD src0_sel:DWORD src1_sel:BYTE_1
	v_mov_b32_e32 v18, v10
	v_and_b32_e32 v20, 0x7f, v6
	v_cmpx_ne_u32_e32 0x7f, v20
	s_cbranch_execz .LBB225_1463
; %bb.1460:                             ;   in Loop: Header=BB225_803 Depth=1
	v_and_b32_e32 v6, 7, v6
	v_lshrrev_b32_e32 v8, 3, v20
	s_mov_b32 s13, exec_lo
	v_cmpx_gt_u32_e32 8, v20
; %bb.1461:                             ;   in Loop: Header=BB225_803 Depth=1
	v_ffbh_u32_e32 v8, v6
	v_min_u32_e32 v8, 32, v8
	v_subrev_nc_u32_e32 v10, 28, v8
	v_sub_nc_u32_e32 v8, 29, v8
	v_lshlrev_b64 v[18:19], v10, v[6:7]
	v_and_b32_e32 v6, 7, v18
; %bb.1462:                             ;   in Loop: Header=BB225_803 Depth=1
	s_or_b32 exec_lo, exec_lo, s13
	v_lshlrev_b32_e32 v10, 16, v98
	v_lshlrev_b32_e32 v6, 20, v6
	v_lshl_add_u32 v8, v8, 23, 0x3c000000
	v_mov_b32_e32 v18, v7
	v_and_b32_e32 v10, 0x80000000, v10
	v_or3_b32 v19, v6, v10, v8
.LBB225_1463:                           ;   in Loop: Header=BB225_803 Depth=1
	s_or_b32 exec_lo, exec_lo, s12
.LBB225_1464:                           ;   in Loop: Header=BB225_803 Depth=1
	s_or_b32 exec_lo, exec_lo, s11
.LBB225_1465:                           ;   in Loop: Header=BB225_803 Depth=1
	s_or_b32 exec_lo, exec_lo, s9
	v_mov_b32_e32 v20, 0
	v_mov_b32_e32 v22, 0
	v_and_b32_sdwa v6, v98, v80 dst_sel:DWORD dst_unused:UNUSED_PAD src0_sel:WORD_1 src1_sel:DWORD
	v_mov_b32_e32 v21, 0
	v_mov_b32_e32 v23, 0
	s_mov_b32 s9, exec_lo
	v_cmpx_ne_u16_e32 0, v6
	s_cbranch_execz .LBB225_1473
; %bb.1466:                             ;   in Loop: Header=BB225_803 Depth=1
	v_bfrev_b32_e32 v22, 1
	v_mov_b32_e32 v23, 0
	s_mov_b32 s11, exec_lo
	v_cmpx_ne_u16_e32 0x80, v6
	s_cbranch_execz .LBB225_1472
; %bb.1467:                             ;   in Loop: Header=BB225_803 Depth=1
	v_mov_b32_e32 v22, 0x7f800001
	v_bfe_u32 v10, v98, 16, 7
	v_mov_b32_e32 v23, 0
	s_mov_b32 s12, exec_lo
	v_cmpx_ne_u32_e32 0x7f, v10
	s_cbranch_execz .LBB225_1471
; %bb.1468:                             ;   in Loop: Header=BB225_803 Depth=1
	v_mov_b32_e32 v6, 7
	v_lshrrev_b32_e32 v8, 3, v10
	s_mov_b32 s13, exec_lo
	v_and_b32_sdwa v6, v98, v6 dst_sel:DWORD dst_unused:UNUSED_PAD src0_sel:WORD_1 src1_sel:DWORD
	v_cmpx_gt_u32_e32 8, v10
; %bb.1469:                             ;   in Loop: Header=BB225_803 Depth=1
	v_ffbh_u32_e32 v8, v6
	v_min_u32_e32 v8, 32, v8
	v_subrev_nc_u32_e32 v10, 28, v8
	v_sub_nc_u32_e32 v8, 29, v8
	v_lshlrev_b64 v[22:23], v10, v[6:7]
	v_and_b32_e32 v6, 7, v22
; %bb.1470:                             ;   in Loop: Header=BB225_803 Depth=1
	s_or_b32 exec_lo, exec_lo, s13
	v_mov_b32_e32 v10, 24
	v_lshlrev_b32_e32 v6, 20, v6
	v_lshl_add_u32 v8, v8, 23, 0x3c000000
	v_lshlrev_b32_sdwa v10, v10, v98 dst_sel:DWORD dst_unused:UNUSED_PAD src0_sel:DWORD src1_sel:WORD_1
	v_and_b32_e32 v10, 0x80000000, v10
	v_or3_b32 v6, v6, v10, v8
	v_mov_b32_e32 v23, v7
	v_mov_b32_e32 v22, v6
.LBB225_1471:                           ;   in Loop: Header=BB225_803 Depth=1
	s_or_b32 exec_lo, exec_lo, s12
.LBB225_1472:                           ;   in Loop: Header=BB225_803 Depth=1
	s_or_b32 exec_lo, exec_lo, s11
.LBB225_1473:                           ;   in Loop: Header=BB225_803 Depth=1
	s_or_b32 exec_lo, exec_lo, s9
	s_mov_b32 s9, exec_lo
	v_cmpx_lt_u32_e32 0xffffff, v98
	s_cbranch_execz .LBB225_1481
; %bb.1474:                             ;   in Loop: Header=BB225_803 Depth=1
	v_mov_b32_e32 v8, v7
	v_mov_b32_e32 v21, v9
	v_cmp_ne_u32_sdwa s4, v98, v70 src0_sel:BYTE_3 src1_sel:DWORD
	v_mov_b32_e32 v20, v8
	s_and_saveexec_b32 s11, s4
	s_cbranch_execz .LBB225_1480
; %bb.1475:                             ;   in Loop: Header=BB225_803 Depth=1
	v_mov_b32_e32 v10, v7
	v_mov_b32_e32 v21, v11
	v_bfe_u32 v99, v98, 24, 7
	s_mov_b32 s12, exec_lo
	v_mov_b32_e32 v20, v10
	v_cmpx_ne_u32_e32 0x7f, v99
	s_cbranch_execz .LBB225_1479
; %bb.1476:                             ;   in Loop: Header=BB225_803 Depth=1
	v_mov_b32_e32 v6, 7
	v_lshrrev_b32_e32 v8, 3, v99
	s_mov_b32 s13, exec_lo
	v_and_b32_sdwa v6, v98, v6 dst_sel:DWORD dst_unused:UNUSED_PAD src0_sel:BYTE_3 src1_sel:DWORD
	v_cmpx_gt_u32_e32 8, v99
; %bb.1477:                             ;   in Loop: Header=BB225_803 Depth=1
	v_ffbh_u32_e32 v8, v6
	v_min_u32_e32 v8, 32, v8
	v_subrev_nc_u32_e32 v10, 28, v8
	v_sub_nc_u32_e32 v8, 29, v8
	v_lshlrev_b64 v[20:21], v10, v[6:7]
	v_and_b32_e32 v6, 7, v20
; %bb.1478:                             ;   in Loop: Header=BB225_803 Depth=1
	s_or_b32 exec_lo, exec_lo, s13
	v_mov_b32_e32 v10, 24
	v_lshlrev_b32_e32 v6, 20, v6
	v_lshl_add_u32 v8, v8, 23, 0x3c000000
	v_mov_b32_e32 v20, v7
	v_lshlrev_b32_sdwa v10, v10, v98 dst_sel:DWORD dst_unused:UNUSED_PAD src0_sel:DWORD src1_sel:BYTE_3
	v_and_b32_e32 v10, 0x80000000, v10
	v_or3_b32 v21, v6, v10, v8
.LBB225_1479:                           ;   in Loop: Header=BB225_803 Depth=1
	s_or_b32 exec_lo, exec_lo, s12
.LBB225_1480:                           ;   in Loop: Header=BB225_803 Depth=1
	s_or_b32 exec_lo, exec_lo, s11
.LBB225_1481:                           ;   in Loop: Header=BB225_803 Depth=1
	s_or_b32 exec_lo, exec_lo, s9
	v_or_b32_e32 v6, v19, v17
	v_or_b32_e32 v8, v18, v16
	;; [unrolled: 1-line block ×4, first 2 shown]
	v_mul_f32_e32 v101, v85, v6
	v_mul_f32_e32 v100, v68, v8
	;; [unrolled: 1-line block ×4, first 2 shown]
	s_and_saveexec_b32 s9, vcc_lo
	s_cbranch_execz .LBB225_1483
; %bb.1482:                             ;   in Loop: Header=BB225_803 Depth=1
	v_cmp_lt_i32_e64 s4, v102, v118
	v_cndmask_b32_e64 v100, 0, v100, s4
	v_cmp_lt_i32_e64 s4, v112, v118
	v_cndmask_b32_e64 v101, 0, v101, s4
	;; [unrolled: 2-line block ×4, first 2 shown]
.LBB225_1483:                           ;   in Loop: Header=BB225_803 Depth=1
	s_or_b32 exec_lo, exec_lo, s9
	flat_load_dword v113, v[4:5] offset:512
	v_mov_b32_e32 v18, 0
	v_mov_b32_e32 v16, 0
	;; [unrolled: 1-line block ×4, first 2 shown]
	s_waitcnt vmcnt(0) lgkmcnt(0)
	v_cmp_ne_u16_sdwa s4, v113, v7 src0_sel:BYTE_0 src1_sel:DWORD
	s_and_saveexec_b32 s9, s4
	s_cbranch_execz .LBB225_1491
; %bb.1484:                             ;   in Loop: Header=BB225_803 Depth=1
	v_bfrev_b32_e32 v16, 1
	v_mov_b32_e32 v17, 0
	v_cmp_ne_u16_sdwa s4, v113, v70 src0_sel:BYTE_0 src1_sel:DWORD
	s_and_saveexec_b32 s11, s4
	s_cbranch_execz .LBB225_1490
; %bb.1485:                             ;   in Loop: Header=BB225_803 Depth=1
	v_mov_b32_e32 v16, 0x7f800001
	v_and_b32_e32 v10, 0x7f, v113
	v_mov_b32_e32 v17, 0
	s_mov_b32 s12, exec_lo
	v_cmpx_ne_u32_e32 0x7f, v10
	s_cbranch_execz .LBB225_1489
; %bb.1486:                             ;   in Loop: Header=BB225_803 Depth=1
	v_and_b32_e32 v6, 7, v113
	v_lshrrev_b32_e32 v8, 3, v10
	s_mov_b32 s13, exec_lo
	v_cmpx_gt_u32_e32 8, v10
; %bb.1487:                             ;   in Loop: Header=BB225_803 Depth=1
	v_ffbh_u32_e32 v8, v6
	v_min_u32_e32 v8, 32, v8
	v_subrev_nc_u32_e32 v10, 28, v8
	v_sub_nc_u32_e32 v8, 29, v8
	v_lshlrev_b64 v[16:17], v10, v[6:7]
	v_and_b32_e32 v6, 7, v16
; %bb.1488:                             ;   in Loop: Header=BB225_803 Depth=1
	s_or_b32 exec_lo, exec_lo, s13
	v_lshlrev_b32_e32 v10, 24, v113
	v_lshlrev_b32_e32 v6, 20, v6
	v_lshl_add_u32 v8, v8, 23, 0x3c000000
	v_and_b32_e32 v10, 0x80000000, v10
	v_or3_b32 v6, v6, v10, v8
	v_mov_b32_e32 v17, v7
	v_mov_b32_e32 v16, v6
.LBB225_1489:                           ;   in Loop: Header=BB225_803 Depth=1
	s_or_b32 exec_lo, exec_lo, s12
.LBB225_1490:                           ;   in Loop: Header=BB225_803 Depth=1
	s_or_b32 exec_lo, exec_lo, s11
.LBB225_1491:                           ;   in Loop: Header=BB225_803 Depth=1
	s_or_b32 exec_lo, exec_lo, s9
	v_cmp_ne_u16_sdwa s4, v113, v7 src0_sel:BYTE_1 src1_sel:DWORD
	s_and_saveexec_b32 s9, s4
	s_cbranch_execz .LBB225_1499
; %bb.1492:                             ;   in Loop: Header=BB225_803 Depth=1
	v_mov_b32_e32 v8, v7
	v_mov_b32_e32 v19, v9
	v_cmp_ne_u16_sdwa s4, v113, v70 src0_sel:BYTE_1 src1_sel:DWORD
	v_mov_b32_e32 v18, v8
	s_and_saveexec_b32 s11, s4
	s_cbranch_execz .LBB225_1498
; %bb.1493:                             ;   in Loop: Header=BB225_803 Depth=1
	v_mov_b32_e32 v6, 0xffff
	v_mov_b32_e32 v10, v7
	;; [unrolled: 1-line block ×3, first 2 shown]
	s_mov_b32 s12, exec_lo
	v_and_b32_sdwa v6, v6, v113 dst_sel:DWORD dst_unused:UNUSED_PAD src0_sel:DWORD src1_sel:BYTE_1
	v_mov_b32_e32 v18, v10
	v_and_b32_e32 v20, 0x7f, v6
	v_cmpx_ne_u32_e32 0x7f, v20
	s_cbranch_execz .LBB225_1497
; %bb.1494:                             ;   in Loop: Header=BB225_803 Depth=1
	v_and_b32_e32 v6, 7, v6
	v_lshrrev_b32_e32 v8, 3, v20
	s_mov_b32 s13, exec_lo
	v_cmpx_gt_u32_e32 8, v20
; %bb.1495:                             ;   in Loop: Header=BB225_803 Depth=1
	v_ffbh_u32_e32 v8, v6
	v_min_u32_e32 v8, 32, v8
	v_subrev_nc_u32_e32 v10, 28, v8
	v_sub_nc_u32_e32 v8, 29, v8
	v_lshlrev_b64 v[18:19], v10, v[6:7]
	v_and_b32_e32 v6, 7, v18
; %bb.1496:                             ;   in Loop: Header=BB225_803 Depth=1
	s_or_b32 exec_lo, exec_lo, s13
	v_lshlrev_b32_e32 v10, 16, v113
	v_lshlrev_b32_e32 v6, 20, v6
	v_lshl_add_u32 v8, v8, 23, 0x3c000000
	v_mov_b32_e32 v18, v7
	v_and_b32_e32 v10, 0x80000000, v10
	v_or3_b32 v19, v6, v10, v8
.LBB225_1497:                           ;   in Loop: Header=BB225_803 Depth=1
	s_or_b32 exec_lo, exec_lo, s12
.LBB225_1498:                           ;   in Loop: Header=BB225_803 Depth=1
	s_or_b32 exec_lo, exec_lo, s11
.LBB225_1499:                           ;   in Loop: Header=BB225_803 Depth=1
	s_or_b32 exec_lo, exec_lo, s9
	v_mov_b32_e32 v20, 0
	v_mov_b32_e32 v22, 0
	v_and_b32_sdwa v6, v113, v80 dst_sel:DWORD dst_unused:UNUSED_PAD src0_sel:WORD_1 src1_sel:DWORD
	v_mov_b32_e32 v21, 0
	v_mov_b32_e32 v23, 0
	s_mov_b32 s9, exec_lo
	v_cmpx_ne_u16_e32 0, v6
	s_cbranch_execz .LBB225_1507
; %bb.1500:                             ;   in Loop: Header=BB225_803 Depth=1
	v_bfrev_b32_e32 v22, 1
	v_mov_b32_e32 v23, 0
	s_mov_b32 s11, exec_lo
	v_cmpx_ne_u16_e32 0x80, v6
	s_cbranch_execz .LBB225_1506
; %bb.1501:                             ;   in Loop: Header=BB225_803 Depth=1
	v_mov_b32_e32 v22, 0x7f800001
	v_bfe_u32 v10, v113, 16, 7
	v_mov_b32_e32 v23, 0
	s_mov_b32 s12, exec_lo
	v_cmpx_ne_u32_e32 0x7f, v10
	s_cbranch_execz .LBB225_1505
; %bb.1502:                             ;   in Loop: Header=BB225_803 Depth=1
	v_mov_b32_e32 v6, 7
	v_lshrrev_b32_e32 v8, 3, v10
	s_mov_b32 s13, exec_lo
	v_and_b32_sdwa v6, v113, v6 dst_sel:DWORD dst_unused:UNUSED_PAD src0_sel:WORD_1 src1_sel:DWORD
	v_cmpx_gt_u32_e32 8, v10
; %bb.1503:                             ;   in Loop: Header=BB225_803 Depth=1
	v_ffbh_u32_e32 v8, v6
	v_min_u32_e32 v8, 32, v8
	v_subrev_nc_u32_e32 v10, 28, v8
	v_sub_nc_u32_e32 v8, 29, v8
	v_lshlrev_b64 v[22:23], v10, v[6:7]
	v_and_b32_e32 v6, 7, v22
; %bb.1504:                             ;   in Loop: Header=BB225_803 Depth=1
	s_or_b32 exec_lo, exec_lo, s13
	v_mov_b32_e32 v10, 24
	v_lshlrev_b32_e32 v6, 20, v6
	v_lshl_add_u32 v8, v8, 23, 0x3c000000
	v_lshlrev_b32_sdwa v10, v10, v113 dst_sel:DWORD dst_unused:UNUSED_PAD src0_sel:DWORD src1_sel:WORD_1
	v_and_b32_e32 v10, 0x80000000, v10
	v_or3_b32 v6, v6, v10, v8
	v_mov_b32_e32 v23, v7
	v_mov_b32_e32 v22, v6
.LBB225_1505:                           ;   in Loop: Header=BB225_803 Depth=1
	s_or_b32 exec_lo, exec_lo, s12
.LBB225_1506:                           ;   in Loop: Header=BB225_803 Depth=1
	s_or_b32 exec_lo, exec_lo, s11
.LBB225_1507:                           ;   in Loop: Header=BB225_803 Depth=1
	s_or_b32 exec_lo, exec_lo, s9
	s_mov_b32 s9, exec_lo
	v_cmpx_lt_u32_e32 0xffffff, v113
	s_cbranch_execz .LBB225_1515
; %bb.1508:                             ;   in Loop: Header=BB225_803 Depth=1
	v_mov_b32_e32 v8, v7
	v_mov_b32_e32 v21, v9
	v_cmp_ne_u32_sdwa s4, v113, v70 src0_sel:BYTE_3 src1_sel:DWORD
	v_mov_b32_e32 v20, v8
	s_and_saveexec_b32 s11, s4
	s_cbranch_execz .LBB225_1514
; %bb.1509:                             ;   in Loop: Header=BB225_803 Depth=1
	v_mov_b32_e32 v10, v7
	v_mov_b32_e32 v21, v11
	v_bfe_u32 v114, v113, 24, 7
	s_mov_b32 s12, exec_lo
	v_mov_b32_e32 v20, v10
	v_cmpx_ne_u32_e32 0x7f, v114
	s_cbranch_execz .LBB225_1513
; %bb.1510:                             ;   in Loop: Header=BB225_803 Depth=1
	v_mov_b32_e32 v6, 7
	v_lshrrev_b32_e32 v8, 3, v114
	s_mov_b32 s13, exec_lo
	v_and_b32_sdwa v6, v113, v6 dst_sel:DWORD dst_unused:UNUSED_PAD src0_sel:BYTE_3 src1_sel:DWORD
	v_cmpx_gt_u32_e32 8, v114
; %bb.1511:                             ;   in Loop: Header=BB225_803 Depth=1
	v_ffbh_u32_e32 v8, v6
	v_min_u32_e32 v8, 32, v8
	v_subrev_nc_u32_e32 v10, 28, v8
	v_sub_nc_u32_e32 v8, 29, v8
	v_lshlrev_b64 v[20:21], v10, v[6:7]
	v_and_b32_e32 v6, 7, v20
; %bb.1512:                             ;   in Loop: Header=BB225_803 Depth=1
	s_or_b32 exec_lo, exec_lo, s13
	v_mov_b32_e32 v10, 24
	v_lshlrev_b32_e32 v6, 20, v6
	v_lshl_add_u32 v8, v8, 23, 0x3c000000
	v_mov_b32_e32 v20, v7
	v_lshlrev_b32_sdwa v10, v10, v113 dst_sel:DWORD dst_unused:UNUSED_PAD src0_sel:DWORD src1_sel:BYTE_3
	v_and_b32_e32 v10, 0x80000000, v10
	v_or3_b32 v21, v6, v10, v8
.LBB225_1513:                           ;   in Loop: Header=BB225_803 Depth=1
	s_or_b32 exec_lo, exec_lo, s12
.LBB225_1514:                           ;   in Loop: Header=BB225_803 Depth=1
	s_or_b32 exec_lo, exec_lo, s11
.LBB225_1515:                           ;   in Loop: Header=BB225_803 Depth=1
	s_or_b32 exec_lo, exec_lo, s9
	v_or_b32_e32 v6, v19, v17
	v_or_b32_e32 v8, v18, v16
	;; [unrolled: 1-line block ×4, first 2 shown]
	v_mul_f32_e32 v116, v85, v6
	v_mul_f32_e32 v115, v68, v8
	;; [unrolled: 1-line block ×4, first 2 shown]
	s_and_saveexec_b32 s9, vcc_lo
	s_cbranch_execz .LBB225_1517
; %bb.1516:                             ;   in Loop: Header=BB225_803 Depth=1
	v_cmp_lt_i32_e64 s4, v102, v118
	v_cndmask_b32_e64 v115, 0, v115, s4
	v_cmp_lt_i32_e64 s4, v112, v118
	v_cndmask_b32_e64 v116, 0, v116, s4
	;; [unrolled: 2-line block ×4, first 2 shown]
.LBB225_1517:                           ;   in Loop: Header=BB225_803 Depth=1
	s_or_b32 exec_lo, exec_lo, s9
	flat_load_dword v117, v[4:5] offset:640
	v_mov_b32_e32 v18, 0
	v_mov_b32_e32 v16, 0
	;; [unrolled: 1-line block ×4, first 2 shown]
	s_waitcnt vmcnt(0) lgkmcnt(0)
	v_cmp_ne_u16_sdwa s4, v117, v7 src0_sel:BYTE_0 src1_sel:DWORD
	s_and_saveexec_b32 s9, s4
	s_cbranch_execz .LBB225_1525
; %bb.1518:                             ;   in Loop: Header=BB225_803 Depth=1
	v_bfrev_b32_e32 v16, 1
	v_mov_b32_e32 v17, 0
	v_cmp_ne_u16_sdwa s4, v117, v70 src0_sel:BYTE_0 src1_sel:DWORD
	s_and_saveexec_b32 s11, s4
	s_cbranch_execz .LBB225_1524
; %bb.1519:                             ;   in Loop: Header=BB225_803 Depth=1
	v_mov_b32_e32 v16, 0x7f800001
	v_and_b32_e32 v10, 0x7f, v117
	v_mov_b32_e32 v17, 0
	s_mov_b32 s12, exec_lo
	v_cmpx_ne_u32_e32 0x7f, v10
	s_cbranch_execz .LBB225_1523
; %bb.1520:                             ;   in Loop: Header=BB225_803 Depth=1
	v_and_b32_e32 v6, 7, v117
	v_lshrrev_b32_e32 v8, 3, v10
	s_mov_b32 s13, exec_lo
	v_cmpx_gt_u32_e32 8, v10
; %bb.1521:                             ;   in Loop: Header=BB225_803 Depth=1
	v_ffbh_u32_e32 v8, v6
	v_min_u32_e32 v8, 32, v8
	v_subrev_nc_u32_e32 v10, 28, v8
	v_sub_nc_u32_e32 v8, 29, v8
	v_lshlrev_b64 v[16:17], v10, v[6:7]
	v_and_b32_e32 v6, 7, v16
; %bb.1522:                             ;   in Loop: Header=BB225_803 Depth=1
	s_or_b32 exec_lo, exec_lo, s13
	v_lshlrev_b32_e32 v10, 24, v117
	v_lshlrev_b32_e32 v6, 20, v6
	v_lshl_add_u32 v8, v8, 23, 0x3c000000
	v_and_b32_e32 v10, 0x80000000, v10
	v_or3_b32 v6, v6, v10, v8
	v_mov_b32_e32 v17, v7
	v_mov_b32_e32 v16, v6
.LBB225_1523:                           ;   in Loop: Header=BB225_803 Depth=1
	s_or_b32 exec_lo, exec_lo, s12
.LBB225_1524:                           ;   in Loop: Header=BB225_803 Depth=1
	s_or_b32 exec_lo, exec_lo, s11
.LBB225_1525:                           ;   in Loop: Header=BB225_803 Depth=1
	s_or_b32 exec_lo, exec_lo, s9
	v_cmp_ne_u16_sdwa s4, v117, v7 src0_sel:BYTE_1 src1_sel:DWORD
	s_and_saveexec_b32 s9, s4
	s_cbranch_execz .LBB225_1533
; %bb.1526:                             ;   in Loop: Header=BB225_803 Depth=1
	v_mov_b32_e32 v8, v7
	v_mov_b32_e32 v19, v9
	v_cmp_ne_u16_sdwa s4, v117, v70 src0_sel:BYTE_1 src1_sel:DWORD
	v_mov_b32_e32 v18, v8
	s_and_saveexec_b32 s11, s4
	s_cbranch_execz .LBB225_1532
; %bb.1527:                             ;   in Loop: Header=BB225_803 Depth=1
	v_mov_b32_e32 v6, 0xffff
	v_mov_b32_e32 v10, v7
	;; [unrolled: 1-line block ×3, first 2 shown]
	s_mov_b32 s12, exec_lo
	v_and_b32_sdwa v6, v6, v117 dst_sel:DWORD dst_unused:UNUSED_PAD src0_sel:DWORD src1_sel:BYTE_1
	v_mov_b32_e32 v18, v10
	v_and_b32_e32 v20, 0x7f, v6
	v_cmpx_ne_u32_e32 0x7f, v20
	s_cbranch_execz .LBB225_1531
; %bb.1528:                             ;   in Loop: Header=BB225_803 Depth=1
	v_and_b32_e32 v6, 7, v6
	v_lshrrev_b32_e32 v8, 3, v20
	s_mov_b32 s13, exec_lo
	v_cmpx_gt_u32_e32 8, v20
; %bb.1529:                             ;   in Loop: Header=BB225_803 Depth=1
	v_ffbh_u32_e32 v8, v6
	v_min_u32_e32 v8, 32, v8
	v_subrev_nc_u32_e32 v10, 28, v8
	v_sub_nc_u32_e32 v8, 29, v8
	v_lshlrev_b64 v[18:19], v10, v[6:7]
	v_and_b32_e32 v6, 7, v18
; %bb.1530:                             ;   in Loop: Header=BB225_803 Depth=1
	s_or_b32 exec_lo, exec_lo, s13
	v_lshlrev_b32_e32 v10, 16, v117
	v_lshlrev_b32_e32 v6, 20, v6
	v_lshl_add_u32 v8, v8, 23, 0x3c000000
	v_mov_b32_e32 v18, v7
	v_and_b32_e32 v10, 0x80000000, v10
	v_or3_b32 v19, v6, v10, v8
.LBB225_1531:                           ;   in Loop: Header=BB225_803 Depth=1
	s_or_b32 exec_lo, exec_lo, s12
.LBB225_1532:                           ;   in Loop: Header=BB225_803 Depth=1
	s_or_b32 exec_lo, exec_lo, s11
.LBB225_1533:                           ;   in Loop: Header=BB225_803 Depth=1
	s_or_b32 exec_lo, exec_lo, s9
	v_mov_b32_e32 v20, 0
	v_mov_b32_e32 v22, 0
	v_and_b32_sdwa v6, v117, v80 dst_sel:DWORD dst_unused:UNUSED_PAD src0_sel:WORD_1 src1_sel:DWORD
	v_mov_b32_e32 v21, 0
	v_mov_b32_e32 v23, 0
	s_mov_b32 s9, exec_lo
	v_cmpx_ne_u16_e32 0, v6
	s_cbranch_execz .LBB225_1541
; %bb.1534:                             ;   in Loop: Header=BB225_803 Depth=1
	v_bfrev_b32_e32 v22, 1
	v_mov_b32_e32 v23, 0
	s_mov_b32 s11, exec_lo
	v_cmpx_ne_u16_e32 0x80, v6
	s_cbranch_execz .LBB225_1540
; %bb.1535:                             ;   in Loop: Header=BB225_803 Depth=1
	v_mov_b32_e32 v22, 0x7f800001
	v_bfe_u32 v10, v117, 16, 7
	v_mov_b32_e32 v23, 0
	s_mov_b32 s12, exec_lo
	v_cmpx_ne_u32_e32 0x7f, v10
	s_cbranch_execz .LBB225_1539
; %bb.1536:                             ;   in Loop: Header=BB225_803 Depth=1
	v_mov_b32_e32 v6, 7
	v_lshrrev_b32_e32 v8, 3, v10
	s_mov_b32 s13, exec_lo
	v_and_b32_sdwa v6, v117, v6 dst_sel:DWORD dst_unused:UNUSED_PAD src0_sel:WORD_1 src1_sel:DWORD
	v_cmpx_gt_u32_e32 8, v10
; %bb.1537:                             ;   in Loop: Header=BB225_803 Depth=1
	v_ffbh_u32_e32 v8, v6
	v_min_u32_e32 v8, 32, v8
	v_subrev_nc_u32_e32 v10, 28, v8
	v_sub_nc_u32_e32 v8, 29, v8
	v_lshlrev_b64 v[22:23], v10, v[6:7]
	v_and_b32_e32 v6, 7, v22
; %bb.1538:                             ;   in Loop: Header=BB225_803 Depth=1
	s_or_b32 exec_lo, exec_lo, s13
	v_mov_b32_e32 v10, 24
	v_lshlrev_b32_e32 v6, 20, v6
	v_lshl_add_u32 v8, v8, 23, 0x3c000000
	v_lshlrev_b32_sdwa v10, v10, v117 dst_sel:DWORD dst_unused:UNUSED_PAD src0_sel:DWORD src1_sel:WORD_1
	v_and_b32_e32 v10, 0x80000000, v10
	v_or3_b32 v6, v6, v10, v8
	v_mov_b32_e32 v23, v7
	v_mov_b32_e32 v22, v6
.LBB225_1539:                           ;   in Loop: Header=BB225_803 Depth=1
	s_or_b32 exec_lo, exec_lo, s12
.LBB225_1540:                           ;   in Loop: Header=BB225_803 Depth=1
	s_or_b32 exec_lo, exec_lo, s11
.LBB225_1541:                           ;   in Loop: Header=BB225_803 Depth=1
	s_or_b32 exec_lo, exec_lo, s9
	s_mov_b32 s9, exec_lo
	v_cmpx_lt_u32_e32 0xffffff, v117
	s_cbranch_execz .LBB225_1549
; %bb.1542:                             ;   in Loop: Header=BB225_803 Depth=1
	v_mov_b32_e32 v8, v7
	v_mov_b32_e32 v21, v9
	v_cmp_ne_u32_sdwa s4, v117, v70 src0_sel:BYTE_3 src1_sel:DWORD
	v_mov_b32_e32 v20, v8
	s_and_saveexec_b32 s11, s4
	s_cbranch_execz .LBB225_1548
; %bb.1543:                             ;   in Loop: Header=BB225_803 Depth=1
	v_mov_b32_e32 v10, v7
	v_mov_b32_e32 v21, v11
	v_bfe_u32 v119, v117, 24, 7
	s_mov_b32 s12, exec_lo
	v_mov_b32_e32 v20, v10
	v_cmpx_ne_u32_e32 0x7f, v119
	s_cbranch_execz .LBB225_1547
; %bb.1544:                             ;   in Loop: Header=BB225_803 Depth=1
	v_mov_b32_e32 v6, 7
	v_lshrrev_b32_e32 v8, 3, v119
	s_mov_b32 s13, exec_lo
	v_and_b32_sdwa v6, v117, v6 dst_sel:DWORD dst_unused:UNUSED_PAD src0_sel:BYTE_3 src1_sel:DWORD
	v_cmpx_gt_u32_e32 8, v119
; %bb.1545:                             ;   in Loop: Header=BB225_803 Depth=1
	v_ffbh_u32_e32 v8, v6
	v_min_u32_e32 v8, 32, v8
	v_subrev_nc_u32_e32 v10, 28, v8
	v_sub_nc_u32_e32 v8, 29, v8
	v_lshlrev_b64 v[20:21], v10, v[6:7]
	v_and_b32_e32 v6, 7, v20
; %bb.1546:                             ;   in Loop: Header=BB225_803 Depth=1
	s_or_b32 exec_lo, exec_lo, s13
	v_mov_b32_e32 v10, 24
	v_lshlrev_b32_e32 v6, 20, v6
	v_lshl_add_u32 v8, v8, 23, 0x3c000000
	v_mov_b32_e32 v20, v7
	v_lshlrev_b32_sdwa v10, v10, v117 dst_sel:DWORD dst_unused:UNUSED_PAD src0_sel:DWORD src1_sel:BYTE_3
	v_and_b32_e32 v10, 0x80000000, v10
	v_or3_b32 v21, v6, v10, v8
.LBB225_1547:                           ;   in Loop: Header=BB225_803 Depth=1
	s_or_b32 exec_lo, exec_lo, s12
.LBB225_1548:                           ;   in Loop: Header=BB225_803 Depth=1
	s_or_b32 exec_lo, exec_lo, s11
.LBB225_1549:                           ;   in Loop: Header=BB225_803 Depth=1
	s_or_b32 exec_lo, exec_lo, s9
	v_or_b32_e32 v6, v19, v17
	v_or_b32_e32 v8, v18, v16
	;; [unrolled: 1-line block ×4, first 2 shown]
	v_mul_f32_e32 v41, v85, v6
	v_mul_f32_e32 v40, v68, v8
	;; [unrolled: 1-line block ×4, first 2 shown]
	s_and_saveexec_b32 s9, vcc_lo
	s_cbranch_execz .LBB225_1551
; %bb.1550:                             ;   in Loop: Header=BB225_803 Depth=1
	v_cmp_lt_i32_e64 s4, v102, v118
	v_cndmask_b32_e64 v40, 0, v40, s4
	v_cmp_lt_i32_e64 s4, v112, v118
	v_cndmask_b32_e64 v41, 0, v41, s4
	;; [unrolled: 2-line block ×4, first 2 shown]
.LBB225_1551:                           ;   in Loop: Header=BB225_803 Depth=1
	s_or_b32 exec_lo, exec_lo, s9
	flat_load_dword v42, v[4:5] offset:768
	v_mov_b32_e32 v18, 0
	v_mov_b32_e32 v16, 0
	;; [unrolled: 1-line block ×4, first 2 shown]
	s_waitcnt vmcnt(0) lgkmcnt(0)
	v_cmp_ne_u16_sdwa s4, v42, v7 src0_sel:BYTE_0 src1_sel:DWORD
	s_and_saveexec_b32 s9, s4
	s_cbranch_execz .LBB225_1559
; %bb.1552:                             ;   in Loop: Header=BB225_803 Depth=1
	v_bfrev_b32_e32 v16, 1
	v_mov_b32_e32 v17, 0
	v_cmp_ne_u16_sdwa s4, v42, v70 src0_sel:BYTE_0 src1_sel:DWORD
	s_and_saveexec_b32 s11, s4
	s_cbranch_execz .LBB225_1558
; %bb.1553:                             ;   in Loop: Header=BB225_803 Depth=1
	v_mov_b32_e32 v16, 0x7f800001
	v_and_b32_e32 v10, 0x7f, v42
	v_mov_b32_e32 v17, 0
	s_mov_b32 s12, exec_lo
	v_cmpx_ne_u32_e32 0x7f, v10
	s_cbranch_execz .LBB225_1557
; %bb.1554:                             ;   in Loop: Header=BB225_803 Depth=1
	v_and_b32_e32 v6, 7, v42
	v_lshrrev_b32_e32 v8, 3, v10
	s_mov_b32 s13, exec_lo
	v_cmpx_gt_u32_e32 8, v10
; %bb.1555:                             ;   in Loop: Header=BB225_803 Depth=1
	v_ffbh_u32_e32 v8, v6
	v_min_u32_e32 v8, 32, v8
	v_subrev_nc_u32_e32 v10, 28, v8
	v_sub_nc_u32_e32 v8, 29, v8
	v_lshlrev_b64 v[16:17], v10, v[6:7]
	v_and_b32_e32 v6, 7, v16
; %bb.1556:                             ;   in Loop: Header=BB225_803 Depth=1
	s_or_b32 exec_lo, exec_lo, s13
	v_lshlrev_b32_e32 v10, 24, v42
	v_lshlrev_b32_e32 v6, 20, v6
	v_lshl_add_u32 v8, v8, 23, 0x3c000000
	v_and_b32_e32 v10, 0x80000000, v10
	v_or3_b32 v6, v6, v10, v8
	v_mov_b32_e32 v17, v7
	v_mov_b32_e32 v16, v6
.LBB225_1557:                           ;   in Loop: Header=BB225_803 Depth=1
	s_or_b32 exec_lo, exec_lo, s12
.LBB225_1558:                           ;   in Loop: Header=BB225_803 Depth=1
	s_or_b32 exec_lo, exec_lo, s11
.LBB225_1559:                           ;   in Loop: Header=BB225_803 Depth=1
	s_or_b32 exec_lo, exec_lo, s9
	v_cmp_ne_u16_sdwa s4, v42, v7 src0_sel:BYTE_1 src1_sel:DWORD
	s_and_saveexec_b32 s9, s4
	s_cbranch_execz .LBB225_1567
; %bb.1560:                             ;   in Loop: Header=BB225_803 Depth=1
	v_mov_b32_e32 v8, v7
	v_mov_b32_e32 v19, v9
	v_cmp_ne_u16_sdwa s4, v42, v70 src0_sel:BYTE_1 src1_sel:DWORD
	v_mov_b32_e32 v18, v8
	s_and_saveexec_b32 s11, s4
	s_cbranch_execz .LBB225_1566
; %bb.1561:                             ;   in Loop: Header=BB225_803 Depth=1
	v_mov_b32_e32 v6, 0xffff
	v_mov_b32_e32 v10, v7
	;; [unrolled: 1-line block ×3, first 2 shown]
	s_mov_b32 s12, exec_lo
	v_and_b32_sdwa v6, v6, v42 dst_sel:DWORD dst_unused:UNUSED_PAD src0_sel:DWORD src1_sel:BYTE_1
	v_mov_b32_e32 v18, v10
	v_and_b32_e32 v20, 0x7f, v6
	v_cmpx_ne_u32_e32 0x7f, v20
	s_cbranch_execz .LBB225_1565
; %bb.1562:                             ;   in Loop: Header=BB225_803 Depth=1
	v_and_b32_e32 v6, 7, v6
	v_lshrrev_b32_e32 v8, 3, v20
	s_mov_b32 s13, exec_lo
	v_cmpx_gt_u32_e32 8, v20
; %bb.1563:                             ;   in Loop: Header=BB225_803 Depth=1
	v_ffbh_u32_e32 v8, v6
	v_min_u32_e32 v8, 32, v8
	v_subrev_nc_u32_e32 v10, 28, v8
	v_sub_nc_u32_e32 v8, 29, v8
	v_lshlrev_b64 v[18:19], v10, v[6:7]
	v_and_b32_e32 v6, 7, v18
; %bb.1564:                             ;   in Loop: Header=BB225_803 Depth=1
	s_or_b32 exec_lo, exec_lo, s13
	v_lshlrev_b32_e32 v10, 16, v42
	v_lshlrev_b32_e32 v6, 20, v6
	v_lshl_add_u32 v8, v8, 23, 0x3c000000
	v_mov_b32_e32 v18, v7
	v_and_b32_e32 v10, 0x80000000, v10
	v_or3_b32 v19, v6, v10, v8
.LBB225_1565:                           ;   in Loop: Header=BB225_803 Depth=1
	s_or_b32 exec_lo, exec_lo, s12
.LBB225_1566:                           ;   in Loop: Header=BB225_803 Depth=1
	s_or_b32 exec_lo, exec_lo, s11
.LBB225_1567:                           ;   in Loop: Header=BB225_803 Depth=1
	s_or_b32 exec_lo, exec_lo, s9
	v_mov_b32_e32 v20, 0
	v_mov_b32_e32 v22, 0
	v_and_b32_sdwa v6, v42, v80 dst_sel:DWORD dst_unused:UNUSED_PAD src0_sel:WORD_1 src1_sel:DWORD
	v_mov_b32_e32 v21, 0
	v_mov_b32_e32 v23, 0
	s_mov_b32 s9, exec_lo
	v_cmpx_ne_u16_e32 0, v6
	s_cbranch_execz .LBB225_1575
; %bb.1568:                             ;   in Loop: Header=BB225_803 Depth=1
	v_bfrev_b32_e32 v22, 1
	v_mov_b32_e32 v23, 0
	s_mov_b32 s11, exec_lo
	v_cmpx_ne_u16_e32 0x80, v6
	s_cbranch_execz .LBB225_1574
; %bb.1569:                             ;   in Loop: Header=BB225_803 Depth=1
	v_mov_b32_e32 v22, 0x7f800001
	v_bfe_u32 v10, v42, 16, 7
	v_mov_b32_e32 v23, 0
	s_mov_b32 s12, exec_lo
	v_cmpx_ne_u32_e32 0x7f, v10
	s_cbranch_execz .LBB225_1573
; %bb.1570:                             ;   in Loop: Header=BB225_803 Depth=1
	v_mov_b32_e32 v6, 7
	v_lshrrev_b32_e32 v8, 3, v10
	s_mov_b32 s13, exec_lo
	v_and_b32_sdwa v6, v42, v6 dst_sel:DWORD dst_unused:UNUSED_PAD src0_sel:WORD_1 src1_sel:DWORD
	v_cmpx_gt_u32_e32 8, v10
; %bb.1571:                             ;   in Loop: Header=BB225_803 Depth=1
	v_ffbh_u32_e32 v8, v6
	v_min_u32_e32 v8, 32, v8
	v_subrev_nc_u32_e32 v10, 28, v8
	v_sub_nc_u32_e32 v8, 29, v8
	v_lshlrev_b64 v[22:23], v10, v[6:7]
	v_and_b32_e32 v6, 7, v22
; %bb.1572:                             ;   in Loop: Header=BB225_803 Depth=1
	s_or_b32 exec_lo, exec_lo, s13
	v_mov_b32_e32 v10, 24
	v_lshlrev_b32_e32 v6, 20, v6
	v_lshl_add_u32 v8, v8, 23, 0x3c000000
	v_lshlrev_b32_sdwa v10, v10, v42 dst_sel:DWORD dst_unused:UNUSED_PAD src0_sel:DWORD src1_sel:WORD_1
	v_and_b32_e32 v10, 0x80000000, v10
	v_or3_b32 v6, v6, v10, v8
	v_mov_b32_e32 v23, v7
	v_mov_b32_e32 v22, v6
.LBB225_1573:                           ;   in Loop: Header=BB225_803 Depth=1
	s_or_b32 exec_lo, exec_lo, s12
.LBB225_1574:                           ;   in Loop: Header=BB225_803 Depth=1
	s_or_b32 exec_lo, exec_lo, s11
.LBB225_1575:                           ;   in Loop: Header=BB225_803 Depth=1
	s_or_b32 exec_lo, exec_lo, s9
	s_mov_b32 s9, exec_lo
	v_cmpx_lt_u32_e32 0xffffff, v42
	s_cbranch_execz .LBB225_1583
; %bb.1576:                             ;   in Loop: Header=BB225_803 Depth=1
	v_mov_b32_e32 v8, v7
	v_mov_b32_e32 v21, v9
	v_cmp_ne_u32_sdwa s4, v42, v70 src0_sel:BYTE_3 src1_sel:DWORD
	v_mov_b32_e32 v20, v8
	s_and_saveexec_b32 s11, s4
	s_cbranch_execz .LBB225_1582
; %bb.1577:                             ;   in Loop: Header=BB225_803 Depth=1
	v_mov_b32_e32 v10, v7
	v_mov_b32_e32 v21, v11
	v_bfe_u32 v43, v42, 24, 7
	s_mov_b32 s12, exec_lo
	v_mov_b32_e32 v20, v10
	v_cmpx_ne_u32_e32 0x7f, v43
	s_cbranch_execz .LBB225_1581
; %bb.1578:                             ;   in Loop: Header=BB225_803 Depth=1
	v_mov_b32_e32 v6, 7
	v_lshrrev_b32_e32 v8, 3, v43
	s_mov_b32 s13, exec_lo
	v_and_b32_sdwa v6, v42, v6 dst_sel:DWORD dst_unused:UNUSED_PAD src0_sel:BYTE_3 src1_sel:DWORD
	v_cmpx_gt_u32_e32 8, v43
; %bb.1579:                             ;   in Loop: Header=BB225_803 Depth=1
	v_ffbh_u32_e32 v8, v6
	v_min_u32_e32 v8, 32, v8
	v_subrev_nc_u32_e32 v10, 28, v8
	v_sub_nc_u32_e32 v8, 29, v8
	v_lshlrev_b64 v[20:21], v10, v[6:7]
	v_and_b32_e32 v6, 7, v20
; %bb.1580:                             ;   in Loop: Header=BB225_803 Depth=1
	s_or_b32 exec_lo, exec_lo, s13
	v_mov_b32_e32 v10, 24
	v_lshlrev_b32_e32 v6, 20, v6
	v_lshl_add_u32 v8, v8, 23, 0x3c000000
	v_mov_b32_e32 v20, v7
	v_lshlrev_b32_sdwa v10, v10, v42 dst_sel:DWORD dst_unused:UNUSED_PAD src0_sel:DWORD src1_sel:BYTE_3
	v_and_b32_e32 v10, 0x80000000, v10
	v_or3_b32 v21, v6, v10, v8
.LBB225_1581:                           ;   in Loop: Header=BB225_803 Depth=1
	s_or_b32 exec_lo, exec_lo, s12
.LBB225_1582:                           ;   in Loop: Header=BB225_803 Depth=1
	s_or_b32 exec_lo, exec_lo, s11
.LBB225_1583:                           ;   in Loop: Header=BB225_803 Depth=1
	s_or_b32 exec_lo, exec_lo, s9
	v_or_b32_e32 v6, v19, v17
	v_or_b32_e32 v8, v18, v16
	;; [unrolled: 1-line block ×4, first 2 shown]
	v_mul_f32_e32 v43, v85, v6
	v_mul_f32_e32 v42, v68, v8
	;; [unrolled: 1-line block ×4, first 2 shown]
	s_and_saveexec_b32 s9, vcc_lo
	s_cbranch_execz .LBB225_1585
; %bb.1584:                             ;   in Loop: Header=BB225_803 Depth=1
	v_cmp_lt_i32_e64 s4, v102, v118
	v_cndmask_b32_e64 v42, 0, v42, s4
	v_cmp_lt_i32_e64 s4, v112, v118
	v_cndmask_b32_e64 v43, 0, v43, s4
	;; [unrolled: 2-line block ×4, first 2 shown]
.LBB225_1585:                           ;   in Loop: Header=BB225_803 Depth=1
	s_or_b32 exec_lo, exec_lo, s9
	flat_load_dword v44, v[4:5] offset:896
	v_mov_b32_e32 v16, 0
	v_mov_b32_e32 v4, 0
	;; [unrolled: 1-line block ×4, first 2 shown]
	s_waitcnt vmcnt(0) lgkmcnt(0)
	v_cmp_ne_u16_sdwa s4, v44, v7 src0_sel:BYTE_0 src1_sel:DWORD
	s_and_saveexec_b32 s9, s4
	s_cbranch_execz .LBB225_1593
; %bb.1586:                             ;   in Loop: Header=BB225_803 Depth=1
	v_bfrev_b32_e32 v4, 1
	v_mov_b32_e32 v5, 0
	v_cmp_ne_u16_sdwa s4, v44, v70 src0_sel:BYTE_0 src1_sel:DWORD
	s_and_saveexec_b32 s11, s4
	s_cbranch_execz .LBB225_1592
; %bb.1587:                             ;   in Loop: Header=BB225_803 Depth=1
	v_mov_b32_e32 v4, 0x7f800001
	v_and_b32_e32 v8, 0x7f, v44
	v_mov_b32_e32 v5, 0
	s_mov_b32 s12, exec_lo
	v_cmpx_ne_u32_e32 0x7f, v8
	s_cbranch_execz .LBB225_1591
; %bb.1588:                             ;   in Loop: Header=BB225_803 Depth=1
	v_and_b32_e32 v6, 7, v44
	v_lshrrev_b32_e32 v4, 3, v8
	s_mov_b32 s13, exec_lo
	v_cmpx_gt_u32_e32 8, v8
; %bb.1589:                             ;   in Loop: Header=BB225_803 Depth=1
	v_ffbh_u32_e32 v4, v6
	v_min_u32_e32 v4, 32, v4
	v_subrev_nc_u32_e32 v5, 28, v4
	v_sub_nc_u32_e32 v4, 29, v4
	v_lshlrev_b64 v[5:6], v5, v[6:7]
	v_and_b32_e32 v6, 7, v5
; %bb.1590:                             ;   in Loop: Header=BB225_803 Depth=1
	s_or_b32 exec_lo, exec_lo, s13
	v_lshlrev_b32_e32 v5, 24, v44
	v_lshlrev_b32_e32 v6, 20, v6
	v_lshl_add_u32 v4, v4, 23, 0x3c000000
	v_and_b32_e32 v5, 0x80000000, v5
	v_or3_b32 v6, v6, v5, v4
	v_mov_b32_e32 v4, v6
	v_mov_b32_e32 v5, v7
.LBB225_1591:                           ;   in Loop: Header=BB225_803 Depth=1
	s_or_b32 exec_lo, exec_lo, s12
.LBB225_1592:                           ;   in Loop: Header=BB225_803 Depth=1
	s_or_b32 exec_lo, exec_lo, s11
.LBB225_1593:                           ;   in Loop: Header=BB225_803 Depth=1
	s_or_b32 exec_lo, exec_lo, s9
	v_cmp_ne_u16_sdwa s4, v44, v7 src0_sel:BYTE_1 src1_sel:DWORD
	s_and_saveexec_b32 s9, s4
	s_cbranch_execz .LBB225_1601
; %bb.1594:                             ;   in Loop: Header=BB225_803 Depth=1
	v_mov_b32_e32 v8, v7
	v_mov_b32_e32 v17, v9
	v_cmp_ne_u16_sdwa s4, v44, v70 src0_sel:BYTE_1 src1_sel:DWORD
	v_mov_b32_e32 v16, v8
	s_and_saveexec_b32 s11, s4
	s_cbranch_execz .LBB225_1600
; %bb.1595:                             ;   in Loop: Header=BB225_803 Depth=1
	v_mov_b32_e32 v6, 0xffff
	v_mov_b32_e32 v10, v7
	;; [unrolled: 1-line block ×3, first 2 shown]
	s_mov_b32 s12, exec_lo
	v_and_b32_sdwa v6, v6, v44 dst_sel:DWORD dst_unused:UNUSED_PAD src0_sel:DWORD src1_sel:BYTE_1
	v_mov_b32_e32 v16, v10
	v_and_b32_e32 v18, 0x7f, v6
	v_cmpx_ne_u32_e32 0x7f, v18
	s_cbranch_execz .LBB225_1599
; %bb.1596:                             ;   in Loop: Header=BB225_803 Depth=1
	v_and_b32_e32 v6, 7, v6
	v_lshrrev_b32_e32 v8, 3, v18
	s_mov_b32 s13, exec_lo
	v_cmpx_gt_u32_e32 8, v18
; %bb.1597:                             ;   in Loop: Header=BB225_803 Depth=1
	v_ffbh_u32_e32 v8, v6
	v_min_u32_e32 v8, 32, v8
	v_subrev_nc_u32_e32 v10, 28, v8
	v_sub_nc_u32_e32 v8, 29, v8
	v_lshlrev_b64 v[16:17], v10, v[6:7]
	v_and_b32_e32 v6, 7, v16
; %bb.1598:                             ;   in Loop: Header=BB225_803 Depth=1
	s_or_b32 exec_lo, exec_lo, s13
	v_lshlrev_b32_e32 v10, 16, v44
	v_lshlrev_b32_e32 v6, 20, v6
	v_lshl_add_u32 v8, v8, 23, 0x3c000000
	v_mov_b32_e32 v16, v7
	v_and_b32_e32 v10, 0x80000000, v10
	v_or3_b32 v17, v6, v10, v8
.LBB225_1599:                           ;   in Loop: Header=BB225_803 Depth=1
	s_or_b32 exec_lo, exec_lo, s12
.LBB225_1600:                           ;   in Loop: Header=BB225_803 Depth=1
	s_or_b32 exec_lo, exec_lo, s11
.LBB225_1601:                           ;   in Loop: Header=BB225_803 Depth=1
	s_or_b32 exec_lo, exec_lo, s9
	v_mov_b32_e32 v18, 0
	v_mov_b32_e32 v20, 0
	v_and_b32_sdwa v6, v44, v80 dst_sel:DWORD dst_unused:UNUSED_PAD src0_sel:WORD_1 src1_sel:DWORD
	v_mov_b32_e32 v19, 0
	v_mov_b32_e32 v21, 0
	s_mov_b32 s9, exec_lo
	v_cmpx_ne_u16_e32 0, v6
	s_cbranch_execz .LBB225_1609
; %bb.1602:                             ;   in Loop: Header=BB225_803 Depth=1
	v_bfrev_b32_e32 v20, 1
	v_mov_b32_e32 v21, 0
	s_mov_b32 s11, exec_lo
	v_cmpx_ne_u16_e32 0x80, v6
	s_cbranch_execz .LBB225_1608
; %bb.1603:                             ;   in Loop: Header=BB225_803 Depth=1
	v_mov_b32_e32 v20, 0x7f800001
	v_bfe_u32 v10, v44, 16, 7
	v_mov_b32_e32 v21, 0
	s_mov_b32 s12, exec_lo
	v_cmpx_ne_u32_e32 0x7f, v10
	s_cbranch_execz .LBB225_1607
; %bb.1604:                             ;   in Loop: Header=BB225_803 Depth=1
	v_mov_b32_e32 v6, 7
	v_lshrrev_b32_e32 v8, 3, v10
	s_mov_b32 s13, exec_lo
	v_and_b32_sdwa v6, v44, v6 dst_sel:DWORD dst_unused:UNUSED_PAD src0_sel:WORD_1 src1_sel:DWORD
	v_cmpx_gt_u32_e32 8, v10
; %bb.1605:                             ;   in Loop: Header=BB225_803 Depth=1
	v_ffbh_u32_e32 v8, v6
	v_min_u32_e32 v8, 32, v8
	v_subrev_nc_u32_e32 v10, 28, v8
	v_sub_nc_u32_e32 v8, 29, v8
	v_lshlrev_b64 v[20:21], v10, v[6:7]
	v_and_b32_e32 v6, 7, v20
; %bb.1606:                             ;   in Loop: Header=BB225_803 Depth=1
	s_or_b32 exec_lo, exec_lo, s13
	v_mov_b32_e32 v10, 24
	v_lshlrev_b32_e32 v6, 20, v6
	v_lshl_add_u32 v8, v8, 23, 0x3c000000
	v_lshlrev_b32_sdwa v10, v10, v44 dst_sel:DWORD dst_unused:UNUSED_PAD src0_sel:DWORD src1_sel:WORD_1
	v_and_b32_e32 v10, 0x80000000, v10
	v_or3_b32 v6, v6, v10, v8
	v_mov_b32_e32 v21, v7
	v_mov_b32_e32 v20, v6
.LBB225_1607:                           ;   in Loop: Header=BB225_803 Depth=1
	s_or_b32 exec_lo, exec_lo, s12
.LBB225_1608:                           ;   in Loop: Header=BB225_803 Depth=1
	s_or_b32 exec_lo, exec_lo, s11
.LBB225_1609:                           ;   in Loop: Header=BB225_803 Depth=1
	s_or_b32 exec_lo, exec_lo, s9
	s_mov_b32 s9, exec_lo
	v_cmpx_lt_u32_e32 0xffffff, v44
	s_cbranch_execz .LBB225_1617
; %bb.1610:                             ;   in Loop: Header=BB225_803 Depth=1
	v_mov_b32_e32 v8, v7
	v_mov_b32_e32 v19, v9
	v_cmp_ne_u32_sdwa s4, v44, v70 src0_sel:BYTE_3 src1_sel:DWORD
	v_mov_b32_e32 v18, v8
	s_and_saveexec_b32 s11, s4
	s_cbranch_execz .LBB225_1616
; %bb.1611:                             ;   in Loop: Header=BB225_803 Depth=1
	v_mov_b32_e32 v10, v7
	v_mov_b32_e32 v19, v11
	v_bfe_u32 v45, v44, 24, 7
	s_mov_b32 s12, exec_lo
	v_mov_b32_e32 v18, v10
	v_cmpx_ne_u32_e32 0x7f, v45
	s_cbranch_execz .LBB225_1615
; %bb.1612:                             ;   in Loop: Header=BB225_803 Depth=1
	v_mov_b32_e32 v6, 7
	v_lshrrev_b32_e32 v8, 3, v45
	s_mov_b32 s13, exec_lo
	v_and_b32_sdwa v6, v44, v6 dst_sel:DWORD dst_unused:UNUSED_PAD src0_sel:BYTE_3 src1_sel:DWORD
	v_cmpx_gt_u32_e32 8, v45
; %bb.1613:                             ;   in Loop: Header=BB225_803 Depth=1
	v_ffbh_u32_e32 v8, v6
	v_min_u32_e32 v8, 32, v8
	v_subrev_nc_u32_e32 v10, 28, v8
	v_sub_nc_u32_e32 v8, 29, v8
	v_lshlrev_b64 v[18:19], v10, v[6:7]
	v_and_b32_e32 v6, 7, v18
; %bb.1614:                             ;   in Loop: Header=BB225_803 Depth=1
	s_or_b32 exec_lo, exec_lo, s13
	v_mov_b32_e32 v10, 24
	v_lshlrev_b32_e32 v6, 20, v6
	v_lshl_add_u32 v8, v8, 23, 0x3c000000
	v_mov_b32_e32 v18, v7
	v_lshlrev_b32_sdwa v10, v10, v44 dst_sel:DWORD dst_unused:UNUSED_PAD src0_sel:DWORD src1_sel:BYTE_3
	v_and_b32_e32 v10, 0x80000000, v10
	v_or3_b32 v19, v6, v10, v8
.LBB225_1615:                           ;   in Loop: Header=BB225_803 Depth=1
	s_or_b32 exec_lo, exec_lo, s12
.LBB225_1616:                           ;   in Loop: Header=BB225_803 Depth=1
	s_or_b32 exec_lo, exec_lo, s11
.LBB225_1617:                           ;   in Loop: Header=BB225_803 Depth=1
	s_or_b32 exec_lo, exec_lo, s9
	v_or_b32_e32 v5, v17, v5
	v_or_b32_e32 v4, v16, v4
	;; [unrolled: 1-line block ×4, first 2 shown]
	v_mul_f32_e32 v8, v85, v5
	v_mul_f32_e32 v6, v68, v4
	;; [unrolled: 1-line block ×4, first 2 shown]
	s_and_saveexec_b32 s4, vcc_lo
	s_cbranch_execz .LBB225_802
; %bb.1618:                             ;   in Loop: Header=BB225_803 Depth=1
	v_cmp_lt_i32_e32 vcc_lo, v102, v118
	v_cndmask_b32_e32 v6, 0, v6, vcc_lo
	v_cmp_lt_i32_e32 vcc_lo, v112, v118
	v_cndmask_b32_e32 v8, 0, v8, vcc_lo
	;; [unrolled: 2-line block ×4, first 2 shown]
	s_branch .LBB225_802
.LBB225_1619:
	s_or_b32 exec_lo, exec_lo, s8
	s_clause 0x3
	buffer_load_dword v70, off, s[0:3], s32 offset:360
	buffer_load_dword v68, off, s[0:3], s32 offset:368
	;; [unrolled: 1-line block ×4, first 2 shown]
	v_mov_b32_e32 v0, s16
	v_mov_b32_e32 v1, s17
.LBB225_1620:
	s_or_b32 exec_lo, exec_lo, s7
	v_lshlrev_b64 v[0:1], 2, v[0:1]
	s_getpc_b64 s[8:9]
	s_add_u32 s8, s8, llvm.amdgcn.dynlds.offset.table@rel32@lo+4
	s_addc_u32 s9, s9, llvm.amdgcn.dynlds.offset.table@rel32@hi+12
	s_waitcnt vmcnt(0) lgkmcnt(0)
	s_waitcnt_vscnt null, 0x0
	s_barrier
	buffer_gl0_inv
	s_clause 0x1
	buffer_load_dword v27, off, s[0:3], s32 offset:968
	buffer_load_dword v69, off, s[0:3], s32 offset:964
	v_add_co_u32 v0, vcc_lo, s8, v0
	v_add_co_ci_u32_e64 v1, null, s9, v1, vcc_lo
	ds_bpermute_b32 v2, v23, v65
	ds_bpermute_b32 v3, v23, v64
	;; [unrolled: 1-line block ×3, first 2 shown]
	global_load_dword v24, v[0:1], off
	ds_bpermute_b32 v0, v23, v67
	ds_bpermute_b32 v1, v23, v66
	;; [unrolled: 1-line block ×21, first 2 shown]
	s_waitcnt lgkmcnt(20)
	v_add_f32_e32 v0, v67, v0
	s_waitcnt lgkmcnt(19)
	v_add_f32_e32 v1, v66, v1
	v_add_f32_e32 v2, v65, v2
	;; [unrolled: 1-line block ×4, first 2 shown]
	s_waitcnt lgkmcnt(18)
	v_add_f32_e32 v5, v54, v5
	s_waitcnt lgkmcnt(17)
	v_add_f32_e32 v6, v53, v6
	;; [unrolled: 2-line block ×19, first 2 shown]
	ds_bpermute_b32 v28, v70, v0
	ds_bpermute_b32 v29, v70, v1
	;; [unrolled: 1-line block ×24, first 2 shown]
	v_and_b32_e32 v25, 28, v68
	v_lshrrev_b32_e32 v26, 2, v68
	s_waitcnt lgkmcnt(23)
	v_add_f32_e32 v0, v0, v28
	s_waitcnt lgkmcnt(22)
	v_add_f32_e32 v1, v1, v29
	;; [unrolled: 2-line block ×24, first 2 shown]
	s_mov_b32 s4, exec_lo
	s_waitcnt vmcnt(2)
	v_mul_u32_u24_e32 v27, 0x300, v27
	s_waitcnt vmcnt(1)
	v_and_b32_e32 v68, 0x3c3, v69
	s_waitcnt vmcnt(0)
	v_add_nc_u32_e32 v25, v24, v25
	v_cmpx_eq_u32_e32 64, v68
	s_cbranch_execz .LBB225_1622
; %bb.1621:
	v_add_nc_u32_e32 v28, v25, v27
	v_add_nc_u32_e32 v29, 0xfffffa00, v28
	;; [unrolled: 1-line block ×7, first 2 shown]
	ds_write_b32 v29, v0
	ds_write_b32 v30, v1
	;; [unrolled: 1-line block ×4, first 2 shown]
	v_add_nc_u32_e32 v29, 0xfffffac0, v28
	v_add_nc_u32_e32 v30, 0xfffffae0, v28
	v_add_nc_u32_e32 v31, 0xfffffb00, v28
	ds_write_b32 v33, v4
	ds_write_b32 v34, v5
	ds_write_b32 v29, v6
	ds_write_b32 v30, v7
	ds_write_b32 v31, v8
	v_add_nc_u32_e32 v29, 0xfffffb20, v28
	v_add_nc_u32_e32 v30, 0xfffffb40, v28
	v_add_nc_u32_e32 v31, 0xfffffb60, v28
	v_add_nc_u32_e32 v32, 0xfffffb80, v28
	v_add_nc_u32_e32 v33, 0xfffffba0, v28
	ds_write_b32 v29, v9
	ds_write_b32 v30, v10
	ds_write_b32 v31, v11
	ds_write_b32 v32, v12
	ds_write_b32 v33, v13
	v_add_nc_u32_e32 v29, 0xfffffbc0, v28
	v_add_nc_u32_e32 v30, 0xfffffbe0, v28
	;; [unrolled: 10-line block ×3, first 2 shown]
	v_add_nc_u32_e32 v31, 0xfffffca0, v28
	v_add_nc_u32_e32 v32, 0xfffffcc0, v28
	;; [unrolled: 1-line block ×3, first 2 shown]
	ds_write_b32 v29, v19
	ds_write_b32 v30, v20
	;; [unrolled: 1-line block ×5, first 2 shown]
.LBB225_1622:
	s_or_b32 exec_lo, exec_lo, s4
	v_lshlrev_b32_e32 v26, 2, v26
	s_mov_b32 s7, exec_lo
	v_cmp_eq_u32_e32 vcc_lo, 0, v71
	s_waitcnt lgkmcnt(0)
	s_barrier
	v_add3_u32 v24, v24, v27, v26
	buffer_gl0_inv
	v_cmpx_gt_u32_e32 64, v69
	s_cbranch_execz .LBB225_1649
; %bb.1623:
	s_and_saveexec_b32 s4, vcc_lo
	s_cbranch_execnz .LBB225_1681
; %bb.1624:
	s_or_b32 exec_lo, exec_lo, s4
	s_and_saveexec_b32 s4, vcc_lo
	s_cbranch_execnz .LBB225_1682
.LBB225_1625:
	s_or_b32 exec_lo, exec_lo, s4
	s_and_saveexec_b32 s4, vcc_lo
	s_cbranch_execnz .LBB225_1683
.LBB225_1626:
	s_or_b32 exec_lo, exec_lo, s4
	s_and_saveexec_b32 s4, vcc_lo
	s_cbranch_execnz .LBB225_1684
.LBB225_1627:
	s_or_b32 exec_lo, exec_lo, s4
	s_and_saveexec_b32 s4, vcc_lo
	s_cbranch_execnz .LBB225_1685
.LBB225_1628:
	s_or_b32 exec_lo, exec_lo, s4
	s_and_saveexec_b32 s4, vcc_lo
	s_cbranch_execnz .LBB225_1686
.LBB225_1629:
	s_or_b32 exec_lo, exec_lo, s4
	s_and_saveexec_b32 s4, vcc_lo
	s_cbranch_execnz .LBB225_1687
.LBB225_1630:
	s_or_b32 exec_lo, exec_lo, s4
	s_and_saveexec_b32 s4, vcc_lo
	s_cbranch_execnz .LBB225_1688
.LBB225_1631:
	s_or_b32 exec_lo, exec_lo, s4
	s_and_saveexec_b32 s4, vcc_lo
	s_cbranch_execnz .LBB225_1689
.LBB225_1632:
	s_or_b32 exec_lo, exec_lo, s4
	s_and_saveexec_b32 s4, vcc_lo
	s_cbranch_execnz .LBB225_1690
.LBB225_1633:
	s_or_b32 exec_lo, exec_lo, s4
	s_and_saveexec_b32 s4, vcc_lo
	s_cbranch_execnz .LBB225_1691
.LBB225_1634:
	s_or_b32 exec_lo, exec_lo, s4
	s_and_saveexec_b32 s4, vcc_lo
	s_cbranch_execnz .LBB225_1692
.LBB225_1635:
	s_or_b32 exec_lo, exec_lo, s4
	s_and_saveexec_b32 s4, vcc_lo
	s_cbranch_execnz .LBB225_1693
.LBB225_1636:
	s_or_b32 exec_lo, exec_lo, s4
	s_and_saveexec_b32 s4, vcc_lo
	s_cbranch_execnz .LBB225_1694
.LBB225_1637:
	s_or_b32 exec_lo, exec_lo, s4
	s_and_saveexec_b32 s4, vcc_lo
	s_cbranch_execnz .LBB225_1695
.LBB225_1638:
	s_or_b32 exec_lo, exec_lo, s4
	s_and_saveexec_b32 s4, vcc_lo
	s_cbranch_execnz .LBB225_1696
.LBB225_1639:
	s_or_b32 exec_lo, exec_lo, s4
	s_and_saveexec_b32 s4, vcc_lo
	s_cbranch_execnz .LBB225_1697
.LBB225_1640:
	s_or_b32 exec_lo, exec_lo, s4
	s_and_saveexec_b32 s4, vcc_lo
	s_cbranch_execnz .LBB225_1698
.LBB225_1641:
	s_or_b32 exec_lo, exec_lo, s4
	s_and_saveexec_b32 s4, vcc_lo
	s_cbranch_execnz .LBB225_1699
.LBB225_1642:
	s_or_b32 exec_lo, exec_lo, s4
	s_and_saveexec_b32 s4, vcc_lo
	s_cbranch_execnz .LBB225_1700
.LBB225_1643:
	s_or_b32 exec_lo, exec_lo, s4
	s_and_saveexec_b32 s4, vcc_lo
	s_cbranch_execnz .LBB225_1701
.LBB225_1644:
	s_or_b32 exec_lo, exec_lo, s4
	s_and_saveexec_b32 s4, vcc_lo
	s_cbranch_execnz .LBB225_1702
.LBB225_1645:
	s_or_b32 exec_lo, exec_lo, s4
	s_and_saveexec_b32 s4, vcc_lo
	s_cbranch_execnz .LBB225_1703
.LBB225_1646:
	s_or_b32 exec_lo, exec_lo, s4
	s_and_saveexec_b32 s4, vcc_lo
	s_cbranch_execz .LBB225_1648
.LBB225_1647:
	ds_read_b32 v26, v24 offset:736
	s_waitcnt lgkmcnt(0)
	v_add_f32_e32 v23, v26, v23
.LBB225_1648:
	s_or_b32 exec_lo, exec_lo, s4
.LBB225_1649:
	s_or_b32 exec_lo, exec_lo, s7
	v_and_b32_e32 v26, 0x3e3, v69
	s_mov_b32 s7, exec_lo
	s_barrier
	buffer_gl0_inv
	v_cmpx_eq_u32_e32 32, v26
	s_cbranch_execz .LBB225_1651
; %bb.1650:
	ds_write2_b32 v25, v0, v1 offset1:8
	ds_write2_b32 v25, v2, v3 offset0:16 offset1:24
	ds_write2_b32 v25, v4, v5 offset0:32 offset1:40
	;; [unrolled: 1-line block ×11, first 2 shown]
.LBB225_1651:
	s_or_b32 exec_lo, exec_lo, s7
	s_mov_b32 s7, exec_lo
	s_waitcnt lgkmcnt(0)
	s_barrier
	buffer_gl0_inv
	v_cmpx_gt_u32_e32 32, v69
	s_cbranch_execz .LBB225_1678
; %bb.1652:
	s_and_saveexec_b32 s4, vcc_lo
	s_cbranch_execnz .LBB225_1704
; %bb.1653:
	s_or_b32 exec_lo, exec_lo, s4
	s_and_saveexec_b32 s4, vcc_lo
	s_cbranch_execnz .LBB225_1705
.LBB225_1654:
	s_or_b32 exec_lo, exec_lo, s4
	s_and_saveexec_b32 s4, vcc_lo
	s_cbranch_execnz .LBB225_1706
.LBB225_1655:
	s_or_b32 exec_lo, exec_lo, s4
	s_and_saveexec_b32 s4, vcc_lo
	s_cbranch_execnz .LBB225_1707
.LBB225_1656:
	s_or_b32 exec_lo, exec_lo, s4
	s_and_saveexec_b32 s4, vcc_lo
	s_cbranch_execnz .LBB225_1708
.LBB225_1657:
	s_or_b32 exec_lo, exec_lo, s4
	s_and_saveexec_b32 s4, vcc_lo
	s_cbranch_execnz .LBB225_1709
.LBB225_1658:
	s_or_b32 exec_lo, exec_lo, s4
	s_and_saveexec_b32 s4, vcc_lo
	s_cbranch_execnz .LBB225_1710
.LBB225_1659:
	s_or_b32 exec_lo, exec_lo, s4
	s_and_saveexec_b32 s4, vcc_lo
	s_cbranch_execnz .LBB225_1711
.LBB225_1660:
	s_or_b32 exec_lo, exec_lo, s4
	s_and_saveexec_b32 s4, vcc_lo
	s_cbranch_execnz .LBB225_1712
.LBB225_1661:
	s_or_b32 exec_lo, exec_lo, s4
	s_and_saveexec_b32 s4, vcc_lo
	s_cbranch_execnz .LBB225_1713
.LBB225_1662:
	s_or_b32 exec_lo, exec_lo, s4
	s_and_saveexec_b32 s4, vcc_lo
	s_cbranch_execnz .LBB225_1714
.LBB225_1663:
	s_or_b32 exec_lo, exec_lo, s4
	s_and_saveexec_b32 s4, vcc_lo
	s_cbranch_execnz .LBB225_1715
.LBB225_1664:
	s_or_b32 exec_lo, exec_lo, s4
	s_and_saveexec_b32 s4, vcc_lo
	s_cbranch_execnz .LBB225_1716
.LBB225_1665:
	s_or_b32 exec_lo, exec_lo, s4
	s_and_saveexec_b32 s4, vcc_lo
	s_cbranch_execnz .LBB225_1717
.LBB225_1666:
	s_or_b32 exec_lo, exec_lo, s4
	s_and_saveexec_b32 s4, vcc_lo
	s_cbranch_execnz .LBB225_1718
.LBB225_1667:
	s_or_b32 exec_lo, exec_lo, s4
	s_and_saveexec_b32 s4, vcc_lo
	s_cbranch_execnz .LBB225_1719
.LBB225_1668:
	s_or_b32 exec_lo, exec_lo, s4
	s_and_saveexec_b32 s4, vcc_lo
	s_cbranch_execnz .LBB225_1720
.LBB225_1669:
	s_or_b32 exec_lo, exec_lo, s4
	s_and_saveexec_b32 s4, vcc_lo
	s_cbranch_execnz .LBB225_1721
.LBB225_1670:
	s_or_b32 exec_lo, exec_lo, s4
	s_and_saveexec_b32 s4, vcc_lo
	s_cbranch_execnz .LBB225_1722
.LBB225_1671:
	s_or_b32 exec_lo, exec_lo, s4
	s_and_saveexec_b32 s4, vcc_lo
	s_cbranch_execnz .LBB225_1723
.LBB225_1672:
	s_or_b32 exec_lo, exec_lo, s4
	s_and_saveexec_b32 s4, vcc_lo
	s_cbranch_execnz .LBB225_1724
.LBB225_1673:
	s_or_b32 exec_lo, exec_lo, s4
	s_and_saveexec_b32 s4, vcc_lo
	s_cbranch_execnz .LBB225_1725
.LBB225_1674:
	s_or_b32 exec_lo, exec_lo, s4
	s_and_saveexec_b32 s4, vcc_lo
	s_cbranch_execnz .LBB225_1726
.LBB225_1675:
	s_or_b32 exec_lo, exec_lo, s4
	s_and_saveexec_b32 s4, vcc_lo
	s_cbranch_execz .LBB225_1677
.LBB225_1676:
	ds_read_b32 v24, v24 offset:736
	s_waitcnt lgkmcnt(0)
	v_add_f32_e32 v23, v24, v23
.LBB225_1677:
	s_or_b32 exec_lo, exec_lo, s4
.LBB225_1678:
	s_or_b32 exec_lo, exec_lo, s7
	v_cmp_eq_u32_e32 vcc_lo, 0, v26
	s_barrier
	buffer_gl0_inv
	s_and_b32 exec_lo, exec_lo, vcc_lo
	s_cbranch_execz .LBB225_1680
; %bb.1679:
	s_clause 0x1
	buffer_load_dword v24, off, s[0:3], s32 offset:976
	buffer_load_dword v25, off, s[0:3], s32 offset:972
	s_mulk_i32 s6, 0xc0
	s_mul_i32 s4, s10, s5
	s_ashr_i32 s7, s6, 31
	s_ashr_i32 s5, s4, 31
	s_lshl_b64 s[6:7], s[6:7], 2
	s_lshl_b64 s[4:5], s[4:5], 2
	s_waitcnt vmcnt(1)
	v_add_co_u32 v24, vcc_lo, v24, s6
	s_waitcnt vmcnt(0)
	v_add_co_ci_u32_e64 v25, null, s7, v25, vcc_lo
	s_mul_i32 s6, s14, 0xc0
	v_add_co_u32 v24, vcc_lo, v24, s4
	s_ashr_i32 s7, s6, 31
	v_add_co_ci_u32_e64 v25, null, s5, v25, vcc_lo
	s_lshl_b64 s[4:5], s[6:7], 2
	v_add_co_u32 v24, vcc_lo, v24, s4
	v_add_co_ci_u32_e64 v25, null, s5, v25, vcc_lo
	v_add_co_u32 v24, vcc_lo, v24, v69
	v_add_co_ci_u32_e64 v25, null, 0, v25, vcc_lo
	flat_store_dword v[24:25], v0
	flat_store_dword v[24:25], v1 offset:32
	flat_store_dword v[24:25], v2 offset:64
	;; [unrolled: 1-line block ×23, first 2 shown]
.LBB225_1680:
	s_or_b32 exec_lo, exec_lo, s19
	s_clause 0x2f
	buffer_load_dword v127, off, s[0:3], s32
	buffer_load_dword v126, off, s[0:3], s32 offset:4
	buffer_load_dword v125, off, s[0:3], s32 offset:8
	;; [unrolled: 1-line block ×47, first 2 shown]
	s_waitcnt vmcnt(0) lgkmcnt(0)
	s_setpc_b64 s[30:31]
.LBB225_1681:
	ds_read_b32 v26, v24
	s_waitcnt lgkmcnt(0)
	v_add_f32_e32 v0, v26, v0
	s_or_b32 exec_lo, exec_lo, s4
	s_and_saveexec_b32 s4, vcc_lo
	s_cbranch_execz .LBB225_1625
.LBB225_1682:
	ds_read_b32 v26, v24 offset:32
	s_waitcnt lgkmcnt(0)
	v_add_f32_e32 v1, v26, v1
	s_or_b32 exec_lo, exec_lo, s4
	s_and_saveexec_b32 s4, vcc_lo
	s_cbranch_execz .LBB225_1626
.LBB225_1683:
	ds_read_b32 v26, v24 offset:64
	s_waitcnt lgkmcnt(0)
	v_add_f32_e32 v2, v26, v2
	s_or_b32 exec_lo, exec_lo, s4
	s_and_saveexec_b32 s4, vcc_lo
	s_cbranch_execz .LBB225_1627
.LBB225_1684:
	ds_read_b32 v26, v24 offset:96
	s_waitcnt lgkmcnt(0)
	v_add_f32_e32 v3, v26, v3
	s_or_b32 exec_lo, exec_lo, s4
	s_and_saveexec_b32 s4, vcc_lo
	s_cbranch_execz .LBB225_1628
.LBB225_1685:
	ds_read_b32 v26, v24 offset:128
	s_waitcnt lgkmcnt(0)
	v_add_f32_e32 v4, v26, v4
	s_or_b32 exec_lo, exec_lo, s4
	s_and_saveexec_b32 s4, vcc_lo
	s_cbranch_execz .LBB225_1629
.LBB225_1686:
	ds_read_b32 v26, v24 offset:160
	s_waitcnt lgkmcnt(0)
	v_add_f32_e32 v5, v26, v5
	s_or_b32 exec_lo, exec_lo, s4
	s_and_saveexec_b32 s4, vcc_lo
	s_cbranch_execz .LBB225_1630
.LBB225_1687:
	ds_read_b32 v26, v24 offset:192
	s_waitcnt lgkmcnt(0)
	v_add_f32_e32 v6, v26, v6
	s_or_b32 exec_lo, exec_lo, s4
	s_and_saveexec_b32 s4, vcc_lo
	s_cbranch_execz .LBB225_1631
.LBB225_1688:
	ds_read_b32 v26, v24 offset:224
	s_waitcnt lgkmcnt(0)
	v_add_f32_e32 v7, v26, v7
	s_or_b32 exec_lo, exec_lo, s4
	s_and_saveexec_b32 s4, vcc_lo
	s_cbranch_execz .LBB225_1632
.LBB225_1689:
	ds_read_b32 v26, v24 offset:256
	s_waitcnt lgkmcnt(0)
	v_add_f32_e32 v8, v26, v8
	s_or_b32 exec_lo, exec_lo, s4
	s_and_saveexec_b32 s4, vcc_lo
	s_cbranch_execz .LBB225_1633
.LBB225_1690:
	ds_read_b32 v26, v24 offset:288
	s_waitcnt lgkmcnt(0)
	v_add_f32_e32 v9, v26, v9
	s_or_b32 exec_lo, exec_lo, s4
	s_and_saveexec_b32 s4, vcc_lo
	s_cbranch_execz .LBB225_1634
.LBB225_1691:
	ds_read_b32 v26, v24 offset:320
	s_waitcnt lgkmcnt(0)
	v_add_f32_e32 v10, v26, v10
	s_or_b32 exec_lo, exec_lo, s4
	s_and_saveexec_b32 s4, vcc_lo
	s_cbranch_execz .LBB225_1635
.LBB225_1692:
	ds_read_b32 v26, v24 offset:352
	s_waitcnt lgkmcnt(0)
	v_add_f32_e32 v11, v26, v11
	s_or_b32 exec_lo, exec_lo, s4
	s_and_saveexec_b32 s4, vcc_lo
	s_cbranch_execz .LBB225_1636
.LBB225_1693:
	ds_read_b32 v26, v24 offset:384
	s_waitcnt lgkmcnt(0)
	v_add_f32_e32 v12, v26, v12
	s_or_b32 exec_lo, exec_lo, s4
	s_and_saveexec_b32 s4, vcc_lo
	s_cbranch_execz .LBB225_1637
.LBB225_1694:
	ds_read_b32 v26, v24 offset:416
	s_waitcnt lgkmcnt(0)
	v_add_f32_e32 v13, v26, v13
	s_or_b32 exec_lo, exec_lo, s4
	s_and_saveexec_b32 s4, vcc_lo
	s_cbranch_execz .LBB225_1638
.LBB225_1695:
	ds_read_b32 v26, v24 offset:448
	s_waitcnt lgkmcnt(0)
	v_add_f32_e32 v14, v26, v14
	s_or_b32 exec_lo, exec_lo, s4
	s_and_saveexec_b32 s4, vcc_lo
	s_cbranch_execz .LBB225_1639
.LBB225_1696:
	ds_read_b32 v26, v24 offset:480
	s_waitcnt lgkmcnt(0)
	v_add_f32_e32 v15, v26, v15
	s_or_b32 exec_lo, exec_lo, s4
	s_and_saveexec_b32 s4, vcc_lo
	s_cbranch_execz .LBB225_1640
.LBB225_1697:
	ds_read_b32 v26, v24 offset:512
	s_waitcnt lgkmcnt(0)
	v_add_f32_e32 v16, v26, v16
	s_or_b32 exec_lo, exec_lo, s4
	s_and_saveexec_b32 s4, vcc_lo
	s_cbranch_execz .LBB225_1641
.LBB225_1698:
	ds_read_b32 v26, v24 offset:544
	s_waitcnt lgkmcnt(0)
	v_add_f32_e32 v17, v26, v17
	s_or_b32 exec_lo, exec_lo, s4
	s_and_saveexec_b32 s4, vcc_lo
	s_cbranch_execz .LBB225_1642
.LBB225_1699:
	ds_read_b32 v26, v24 offset:576
	s_waitcnt lgkmcnt(0)
	v_add_f32_e32 v18, v26, v18
	s_or_b32 exec_lo, exec_lo, s4
	s_and_saveexec_b32 s4, vcc_lo
	s_cbranch_execz .LBB225_1643
.LBB225_1700:
	ds_read_b32 v26, v24 offset:608
	s_waitcnt lgkmcnt(0)
	v_add_f32_e32 v19, v26, v19
	s_or_b32 exec_lo, exec_lo, s4
	s_and_saveexec_b32 s4, vcc_lo
	s_cbranch_execz .LBB225_1644
.LBB225_1701:
	ds_read_b32 v26, v24 offset:640
	s_waitcnt lgkmcnt(0)
	v_add_f32_e32 v20, v26, v20
	s_or_b32 exec_lo, exec_lo, s4
	s_and_saveexec_b32 s4, vcc_lo
	s_cbranch_execz .LBB225_1645
.LBB225_1702:
	ds_read_b32 v26, v24 offset:672
	s_waitcnt lgkmcnt(0)
	v_add_f32_e32 v21, v26, v21
	s_or_b32 exec_lo, exec_lo, s4
	s_and_saveexec_b32 s4, vcc_lo
	s_cbranch_execz .LBB225_1646
.LBB225_1703:
	ds_read_b32 v26, v24 offset:704
	s_waitcnt lgkmcnt(0)
	v_add_f32_e32 v22, v26, v22
	s_or_b32 exec_lo, exec_lo, s4
	s_and_saveexec_b32 s4, vcc_lo
	s_cbranch_execnz .LBB225_1647
	s_branch .LBB225_1648
.LBB225_1704:
	ds_read_b32 v25, v24
	s_waitcnt lgkmcnt(0)
	v_add_f32_e32 v0, v25, v0
	s_or_b32 exec_lo, exec_lo, s4
	s_and_saveexec_b32 s4, vcc_lo
	s_cbranch_execz .LBB225_1654
.LBB225_1705:
	ds_read_b32 v25, v24 offset:32
	s_waitcnt lgkmcnt(0)
	v_add_f32_e32 v1, v25, v1
	s_or_b32 exec_lo, exec_lo, s4
	s_and_saveexec_b32 s4, vcc_lo
	s_cbranch_execz .LBB225_1655
.LBB225_1706:
	ds_read_b32 v25, v24 offset:64
	s_waitcnt lgkmcnt(0)
	v_add_f32_e32 v2, v25, v2
	s_or_b32 exec_lo, exec_lo, s4
	s_and_saveexec_b32 s4, vcc_lo
	s_cbranch_execz .LBB225_1656
.LBB225_1707:
	ds_read_b32 v25, v24 offset:96
	s_waitcnt lgkmcnt(0)
	v_add_f32_e32 v3, v25, v3
	s_or_b32 exec_lo, exec_lo, s4
	s_and_saveexec_b32 s4, vcc_lo
	s_cbranch_execz .LBB225_1657
.LBB225_1708:
	ds_read_b32 v25, v24 offset:128
	s_waitcnt lgkmcnt(0)
	v_add_f32_e32 v4, v25, v4
	s_or_b32 exec_lo, exec_lo, s4
	s_and_saveexec_b32 s4, vcc_lo
	s_cbranch_execz .LBB225_1658
.LBB225_1709:
	ds_read_b32 v25, v24 offset:160
	s_waitcnt lgkmcnt(0)
	v_add_f32_e32 v5, v25, v5
	s_or_b32 exec_lo, exec_lo, s4
	s_and_saveexec_b32 s4, vcc_lo
	s_cbranch_execz .LBB225_1659
.LBB225_1710:
	ds_read_b32 v25, v24 offset:192
	s_waitcnt lgkmcnt(0)
	v_add_f32_e32 v6, v25, v6
	s_or_b32 exec_lo, exec_lo, s4
	s_and_saveexec_b32 s4, vcc_lo
	s_cbranch_execz .LBB225_1660
.LBB225_1711:
	ds_read_b32 v25, v24 offset:224
	s_waitcnt lgkmcnt(0)
	v_add_f32_e32 v7, v25, v7
	s_or_b32 exec_lo, exec_lo, s4
	s_and_saveexec_b32 s4, vcc_lo
	s_cbranch_execz .LBB225_1661
.LBB225_1712:
	ds_read_b32 v25, v24 offset:256
	s_waitcnt lgkmcnt(0)
	v_add_f32_e32 v8, v25, v8
	s_or_b32 exec_lo, exec_lo, s4
	s_and_saveexec_b32 s4, vcc_lo
	s_cbranch_execz .LBB225_1662
.LBB225_1713:
	ds_read_b32 v25, v24 offset:288
	s_waitcnt lgkmcnt(0)
	v_add_f32_e32 v9, v25, v9
	s_or_b32 exec_lo, exec_lo, s4
	s_and_saveexec_b32 s4, vcc_lo
	s_cbranch_execz .LBB225_1663
.LBB225_1714:
	ds_read_b32 v25, v24 offset:320
	s_waitcnt lgkmcnt(0)
	v_add_f32_e32 v10, v25, v10
	s_or_b32 exec_lo, exec_lo, s4
	s_and_saveexec_b32 s4, vcc_lo
	s_cbranch_execz .LBB225_1664
.LBB225_1715:
	ds_read_b32 v25, v24 offset:352
	s_waitcnt lgkmcnt(0)
	v_add_f32_e32 v11, v25, v11
	s_or_b32 exec_lo, exec_lo, s4
	s_and_saveexec_b32 s4, vcc_lo
	s_cbranch_execz .LBB225_1665
.LBB225_1716:
	ds_read_b32 v25, v24 offset:384
	s_waitcnt lgkmcnt(0)
	v_add_f32_e32 v12, v25, v12
	s_or_b32 exec_lo, exec_lo, s4
	s_and_saveexec_b32 s4, vcc_lo
	s_cbranch_execz .LBB225_1666
.LBB225_1717:
	ds_read_b32 v25, v24 offset:416
	s_waitcnt lgkmcnt(0)
	v_add_f32_e32 v13, v25, v13
	s_or_b32 exec_lo, exec_lo, s4
	s_and_saveexec_b32 s4, vcc_lo
	s_cbranch_execz .LBB225_1667
.LBB225_1718:
	ds_read_b32 v25, v24 offset:448
	s_waitcnt lgkmcnt(0)
	v_add_f32_e32 v14, v25, v14
	s_or_b32 exec_lo, exec_lo, s4
	s_and_saveexec_b32 s4, vcc_lo
	s_cbranch_execz .LBB225_1668
.LBB225_1719:
	ds_read_b32 v25, v24 offset:480
	s_waitcnt lgkmcnt(0)
	v_add_f32_e32 v15, v25, v15
	s_or_b32 exec_lo, exec_lo, s4
	s_and_saveexec_b32 s4, vcc_lo
	s_cbranch_execz .LBB225_1669
.LBB225_1720:
	ds_read_b32 v25, v24 offset:512
	s_waitcnt lgkmcnt(0)
	v_add_f32_e32 v16, v25, v16
	s_or_b32 exec_lo, exec_lo, s4
	s_and_saveexec_b32 s4, vcc_lo
	s_cbranch_execz .LBB225_1670
.LBB225_1721:
	ds_read_b32 v25, v24 offset:544
	s_waitcnt lgkmcnt(0)
	v_add_f32_e32 v17, v25, v17
	s_or_b32 exec_lo, exec_lo, s4
	s_and_saveexec_b32 s4, vcc_lo
	s_cbranch_execz .LBB225_1671
.LBB225_1722:
	ds_read_b32 v25, v24 offset:576
	s_waitcnt lgkmcnt(0)
	v_add_f32_e32 v18, v25, v18
	s_or_b32 exec_lo, exec_lo, s4
	s_and_saveexec_b32 s4, vcc_lo
	s_cbranch_execz .LBB225_1672
.LBB225_1723:
	ds_read_b32 v25, v24 offset:608
	s_waitcnt lgkmcnt(0)
	v_add_f32_e32 v19, v25, v19
	s_or_b32 exec_lo, exec_lo, s4
	s_and_saveexec_b32 s4, vcc_lo
	s_cbranch_execz .LBB225_1673
.LBB225_1724:
	ds_read_b32 v25, v24 offset:640
	s_waitcnt lgkmcnt(0)
	v_add_f32_e32 v20, v25, v20
	s_or_b32 exec_lo, exec_lo, s4
	s_and_saveexec_b32 s4, vcc_lo
	s_cbranch_execz .LBB225_1674
.LBB225_1725:
	ds_read_b32 v25, v24 offset:672
	s_waitcnt lgkmcnt(0)
	v_add_f32_e32 v21, v25, v21
	s_or_b32 exec_lo, exec_lo, s4
	s_and_saveexec_b32 s4, vcc_lo
	s_cbranch_execz .LBB225_1675
.LBB225_1726:
	ds_read_b32 v25, v24 offset:704
	s_waitcnt lgkmcnt(0)
	v_add_f32_e32 v22, v25, v22
	s_or_b32 exec_lo, exec_lo, s4
	s_and_saveexec_b32 s4, vcc_lo
	s_cbranch_execnz .LBB225_1676
	s_branch .LBB225_1677
.Lfunc_end225:
	.size	_ZN4vllm22paged_attention_kernelIfhLi192ELi16ELi128ELNS_18Fp8KVCacheDataTypeE1ELb0ELi512EEEvPfS2_PT_PKS3_PKT0_S9_ifPKiSB_iPKfiiiSD_SD_iiiii, .Lfunc_end225-_ZN4vllm22paged_attention_kernelIfhLi192ELi16ELi128ELNS_18Fp8KVCacheDataTypeE1ELb0ELi512EEEvPfS2_PT_PKS3_PKT0_S9_ifPKiSB_iPKfiiiSD_SD_iiiii
                                        ; -- End function
	.set .L_ZN4vllm22paged_attention_kernelIfhLi192ELi16ELi128ELNS_18Fp8KVCacheDataTypeE1ELb0ELi512EEEvPfS2_PT_PKS3_PKT0_S9_ifPKiSB_iPKfiiiSD_SD_iiiii.num_vgpr, 128
	.set .L_ZN4vllm22paged_attention_kernelIfhLi192ELi16ELi128ELNS_18Fp8KVCacheDataTypeE1ELb0ELi512EEEvPfS2_PT_PKS3_PKT0_S9_ifPKiSB_iPKfiiiSD_SD_iiiii.num_agpr, 0
	.set .L_ZN4vllm22paged_attention_kernelIfhLi192ELi16ELi128ELNS_18Fp8KVCacheDataTypeE1ELb0ELi512EEEvPfS2_PT_PKS3_PKT0_S9_ifPKiSB_iPKfiiiSD_SD_iiiii.numbered_sgpr, 33
	.set .L_ZN4vllm22paged_attention_kernelIfhLi192ELi16ELi128ELNS_18Fp8KVCacheDataTypeE1ELb0ELi512EEEvPfS2_PT_PKS3_PKT0_S9_ifPKiSB_iPKfiiiSD_SD_iiiii.num_named_barrier, 0
	.set .L_ZN4vllm22paged_attention_kernelIfhLi192ELi16ELi128ELNS_18Fp8KVCacheDataTypeE1ELb0ELi512EEEvPfS2_PT_PKS3_PKT0_S9_ifPKiSB_iPKfiiiSD_SD_iiiii.private_seg_size, 1052
	.set .L_ZN4vllm22paged_attention_kernelIfhLi192ELi16ELi128ELNS_18Fp8KVCacheDataTypeE1ELb0ELi512EEEvPfS2_PT_PKS3_PKT0_S9_ifPKiSB_iPKfiiiSD_SD_iiiii.uses_vcc, 1
	.set .L_ZN4vllm22paged_attention_kernelIfhLi192ELi16ELi128ELNS_18Fp8KVCacheDataTypeE1ELb0ELi512EEEvPfS2_PT_PKS3_PKT0_S9_ifPKiSB_iPKfiiiSD_SD_iiiii.uses_flat_scratch, 0
	.set .L_ZN4vllm22paged_attention_kernelIfhLi192ELi16ELi128ELNS_18Fp8KVCacheDataTypeE1ELb0ELi512EEEvPfS2_PT_PKS3_PKT0_S9_ifPKiSB_iPKfiiiSD_SD_iiiii.has_dyn_sized_stack, 0
	.set .L_ZN4vllm22paged_attention_kernelIfhLi192ELi16ELi128ELNS_18Fp8KVCacheDataTypeE1ELb0ELi512EEEvPfS2_PT_PKS3_PKT0_S9_ifPKiSB_iPKfiiiSD_SD_iiiii.has_recursion, 0
	.set .L_ZN4vllm22paged_attention_kernelIfhLi192ELi16ELi128ELNS_18Fp8KVCacheDataTypeE1ELb0ELi512EEEvPfS2_PT_PKS3_PKT0_S9_ifPKiSB_iPKfiiiSD_SD_iiiii.has_indirect_call, 0
	.section	.AMDGPU.csdata,"",@progbits
; Function info:
; codeLenInByte = 58792
; TotalNumSgprs: 35
; NumVgprs: 128
; ScratchSize: 1052
; MemoryBound: 0
	.section	.text._ZN4vllm25paged_attention_v2_kernelIfhLi192ELi16ELi128ELNS_18Fp8KVCacheDataTypeE1ELb0ELi512EEEvPfS2_PT_PKS3_PKT0_S9_ifPKiSB_iPKfiiiSD_SD_iiiii,"axG",@progbits,_ZN4vllm25paged_attention_v2_kernelIfhLi192ELi16ELi128ELNS_18Fp8KVCacheDataTypeE1ELb0ELi512EEEvPfS2_PT_PKS3_PKT0_S9_ifPKiSB_iPKfiiiSD_SD_iiiii,comdat
	.protected	_ZN4vllm25paged_attention_v2_kernelIfhLi192ELi16ELi128ELNS_18Fp8KVCacheDataTypeE1ELb0ELi512EEEvPfS2_PT_PKS3_PKT0_S9_ifPKiSB_iPKfiiiSD_SD_iiiii ; -- Begin function _ZN4vllm25paged_attention_v2_kernelIfhLi192ELi16ELi128ELNS_18Fp8KVCacheDataTypeE1ELb0ELi512EEEvPfS2_PT_PKS3_PKT0_S9_ifPKiSB_iPKfiiiSD_SD_iiiii
	.globl	_ZN4vllm25paged_attention_v2_kernelIfhLi192ELi16ELi128ELNS_18Fp8KVCacheDataTypeE1ELb0ELi512EEEvPfS2_PT_PKS3_PKT0_S9_ifPKiSB_iPKfiiiSD_SD_iiiii
	.p2align	8
	.type	_ZN4vllm25paged_attention_v2_kernelIfhLi192ELi16ELi128ELNS_18Fp8KVCacheDataTypeE1ELb0ELi512EEEvPfS2_PT_PKS3_PKT0_S9_ifPKiSB_iPKfiiiSD_SD_iiiii,@function
_ZN4vllm25paged_attention_v2_kernelIfhLi192ELi16ELi128ELNS_18Fp8KVCacheDataTypeE1ELb0ELi512EEEvPfS2_PT_PKS3_PKT0_S9_ifPKiSB_iPKfiiiSD_SD_iiiii: ; @_ZN4vllm25paged_attention_v2_kernelIfhLi192ELi16ELi128ELNS_18Fp8KVCacheDataTypeE1ELb0ELi512EEEvPfS2_PT_PKS3_PKT0_S9_ifPKiSB_iPKfiiiSD_SD_iiiii
; %bb.0:
	s_clause 0x5
	s_load_dwordx8 s[24:31], s[4:5], 0x0
	s_load_dwordx8 s[16:23], s[4:5], 0x20
	s_load_dwordx2 s[10:11], s[4:5], 0x40
	s_load_dwordx2 s[34:35], s[4:5], 0x50
	s_load_dword s13, s[4:5], 0x48
	s_load_dwordx8 s[36:43], s[4:5], 0x58
	s_add_u32 s0, s0, s9
	s_addc_u32 s1, s1, 0
	v_mov_b32_e32 v31, v0
	s_mov_b32 s14, s8
	s_add_u32 s8, s4, 0x90
	s_addc_u32 s9, s5, 0
	s_getpc_b64 s[4:5]
	s_add_u32 s4, s4, _ZN4vllm22paged_attention_kernelIfhLi192ELi16ELi128ELNS_18Fp8KVCacheDataTypeE1ELb0ELi512EEEvPfS2_PT_PKS3_PKT0_S9_ifPKiSB_iPKfiiiSD_SD_iiiii@rel32@lo+4
	s_addc_u32 s5, s5, _ZN4vllm22paged_attention_kernelIfhLi192ELi16ELi128ELNS_18Fp8KVCacheDataTypeE1ELb0ELi512EEEvPfS2_PT_PKS3_PKT0_S9_ifPKiSB_iPKfiiiSD_SD_iiiii@rel32@hi+12
	s_mov_b32 s12, s6
	s_mov_b32 s15, 22
	;; [unrolled: 1-line block ×3, first 2 shown]
	s_waitcnt lgkmcnt(0)
	v_mov_b32_e32 v0, s24
	v_mov_b32_e32 v1, s25
	;; [unrolled: 1-line block ×28, first 2 shown]
	s_mov_b32 s13, s7
	s_swappc_b64 s[30:31], s[4:5]
	s_endpgm
	.section	.rodata,"a",@progbits
	.p2align	6, 0x0
	.amdhsa_kernel _ZN4vllm25paged_attention_v2_kernelIfhLi192ELi16ELi128ELNS_18Fp8KVCacheDataTypeE1ELb0ELi512EEEvPfS2_PT_PKS3_PKT0_S9_ifPKiSB_iPKfiiiSD_SD_iiiii
		.amdhsa_group_segment_fixed_size 800
		.amdhsa_private_segment_fixed_size 1052
		.amdhsa_kernarg_size 400
		.amdhsa_user_sgpr_count 6
		.amdhsa_user_sgpr_private_segment_buffer 1
		.amdhsa_user_sgpr_dispatch_ptr 0
		.amdhsa_user_sgpr_queue_ptr 0
		.amdhsa_user_sgpr_kernarg_segment_ptr 1
		.amdhsa_user_sgpr_dispatch_id 0
		.amdhsa_user_sgpr_flat_scratch_init 0
		.amdhsa_user_sgpr_private_segment_size 0
		.amdhsa_wavefront_size32 1
		.amdhsa_uses_dynamic_stack 0
		.amdhsa_system_sgpr_private_segment_wavefront_offset 1
		.amdhsa_system_sgpr_workgroup_id_x 1
		.amdhsa_system_sgpr_workgroup_id_y 1
		.amdhsa_system_sgpr_workgroup_id_z 1
		.amdhsa_system_sgpr_workgroup_info 0
		.amdhsa_system_vgpr_workitem_id 0
		.amdhsa_next_free_vgpr 128
		.amdhsa_next_free_sgpr 44
		.amdhsa_reserve_vcc 1
		.amdhsa_reserve_flat_scratch 0
		.amdhsa_float_round_mode_32 0
		.amdhsa_float_round_mode_16_64 0
		.amdhsa_float_denorm_mode_32 3
		.amdhsa_float_denorm_mode_16_64 3
		.amdhsa_dx10_clamp 1
		.amdhsa_ieee_mode 1
		.amdhsa_fp16_overflow 0
		.amdhsa_workgroup_processor_mode 1
		.amdhsa_memory_ordered 1
		.amdhsa_forward_progress 1
		.amdhsa_shared_vgpr_count 0
		.amdhsa_exception_fp_ieee_invalid_op 0
		.amdhsa_exception_fp_denorm_src 0
		.amdhsa_exception_fp_ieee_div_zero 0
		.amdhsa_exception_fp_ieee_overflow 0
		.amdhsa_exception_fp_ieee_underflow 0
		.amdhsa_exception_fp_ieee_inexact 0
		.amdhsa_exception_int_div_zero 0
	.end_amdhsa_kernel
	.section	.text._ZN4vllm25paged_attention_v2_kernelIfhLi192ELi16ELi128ELNS_18Fp8KVCacheDataTypeE1ELb0ELi512EEEvPfS2_PT_PKS3_PKT0_S9_ifPKiSB_iPKfiiiSD_SD_iiiii,"axG",@progbits,_ZN4vllm25paged_attention_v2_kernelIfhLi192ELi16ELi128ELNS_18Fp8KVCacheDataTypeE1ELb0ELi512EEEvPfS2_PT_PKS3_PKT0_S9_ifPKiSB_iPKfiiiSD_SD_iiiii,comdat
.Lfunc_end226:
	.size	_ZN4vllm25paged_attention_v2_kernelIfhLi192ELi16ELi128ELNS_18Fp8KVCacheDataTypeE1ELb0ELi512EEEvPfS2_PT_PKS3_PKT0_S9_ifPKiSB_iPKfiiiSD_SD_iiiii, .Lfunc_end226-_ZN4vllm25paged_attention_v2_kernelIfhLi192ELi16ELi128ELNS_18Fp8KVCacheDataTypeE1ELb0ELi512EEEvPfS2_PT_PKS3_PKT0_S9_ifPKiSB_iPKfiiiSD_SD_iiiii
                                        ; -- End function
	.set _ZN4vllm25paged_attention_v2_kernelIfhLi192ELi16ELi128ELNS_18Fp8KVCacheDataTypeE1ELb0ELi512EEEvPfS2_PT_PKS3_PKT0_S9_ifPKiSB_iPKfiiiSD_SD_iiiii.num_vgpr, max(32, .L_ZN4vllm22paged_attention_kernelIfhLi192ELi16ELi128ELNS_18Fp8KVCacheDataTypeE1ELb0ELi512EEEvPfS2_PT_PKS3_PKT0_S9_ifPKiSB_iPKfiiiSD_SD_iiiii.num_vgpr)
	.set _ZN4vllm25paged_attention_v2_kernelIfhLi192ELi16ELi128ELNS_18Fp8KVCacheDataTypeE1ELb0ELi512EEEvPfS2_PT_PKS3_PKT0_S9_ifPKiSB_iPKfiiiSD_SD_iiiii.num_agpr, max(0, .L_ZN4vllm22paged_attention_kernelIfhLi192ELi16ELi128ELNS_18Fp8KVCacheDataTypeE1ELb0ELi512EEEvPfS2_PT_PKS3_PKT0_S9_ifPKiSB_iPKfiiiSD_SD_iiiii.num_agpr)
	.set _ZN4vllm25paged_attention_v2_kernelIfhLi192ELi16ELi128ELNS_18Fp8KVCacheDataTypeE1ELb0ELi512EEEvPfS2_PT_PKS3_PKT0_S9_ifPKiSB_iPKfiiiSD_SD_iiiii.numbered_sgpr, max(44, .L_ZN4vllm22paged_attention_kernelIfhLi192ELi16ELi128ELNS_18Fp8KVCacheDataTypeE1ELb0ELi512EEEvPfS2_PT_PKS3_PKT0_S9_ifPKiSB_iPKfiiiSD_SD_iiiii.numbered_sgpr)
	.set _ZN4vllm25paged_attention_v2_kernelIfhLi192ELi16ELi128ELNS_18Fp8KVCacheDataTypeE1ELb0ELi512EEEvPfS2_PT_PKS3_PKT0_S9_ifPKiSB_iPKfiiiSD_SD_iiiii.num_named_barrier, max(0, .L_ZN4vllm22paged_attention_kernelIfhLi192ELi16ELi128ELNS_18Fp8KVCacheDataTypeE1ELb0ELi512EEEvPfS2_PT_PKS3_PKT0_S9_ifPKiSB_iPKfiiiSD_SD_iiiii.num_named_barrier)
	.set _ZN4vllm25paged_attention_v2_kernelIfhLi192ELi16ELi128ELNS_18Fp8KVCacheDataTypeE1ELb0ELi512EEEvPfS2_PT_PKS3_PKT0_S9_ifPKiSB_iPKfiiiSD_SD_iiiii.private_seg_size, 0+max(.L_ZN4vllm22paged_attention_kernelIfhLi192ELi16ELi128ELNS_18Fp8KVCacheDataTypeE1ELb0ELi512EEEvPfS2_PT_PKS3_PKT0_S9_ifPKiSB_iPKfiiiSD_SD_iiiii.private_seg_size)
	.set _ZN4vllm25paged_attention_v2_kernelIfhLi192ELi16ELi128ELNS_18Fp8KVCacheDataTypeE1ELb0ELi512EEEvPfS2_PT_PKS3_PKT0_S9_ifPKiSB_iPKfiiiSD_SD_iiiii.uses_vcc, or(1, .L_ZN4vllm22paged_attention_kernelIfhLi192ELi16ELi128ELNS_18Fp8KVCacheDataTypeE1ELb0ELi512EEEvPfS2_PT_PKS3_PKT0_S9_ifPKiSB_iPKfiiiSD_SD_iiiii.uses_vcc)
	.set _ZN4vllm25paged_attention_v2_kernelIfhLi192ELi16ELi128ELNS_18Fp8KVCacheDataTypeE1ELb0ELi512EEEvPfS2_PT_PKS3_PKT0_S9_ifPKiSB_iPKfiiiSD_SD_iiiii.uses_flat_scratch, or(0, .L_ZN4vllm22paged_attention_kernelIfhLi192ELi16ELi128ELNS_18Fp8KVCacheDataTypeE1ELb0ELi512EEEvPfS2_PT_PKS3_PKT0_S9_ifPKiSB_iPKfiiiSD_SD_iiiii.uses_flat_scratch)
	.set _ZN4vllm25paged_attention_v2_kernelIfhLi192ELi16ELi128ELNS_18Fp8KVCacheDataTypeE1ELb0ELi512EEEvPfS2_PT_PKS3_PKT0_S9_ifPKiSB_iPKfiiiSD_SD_iiiii.has_dyn_sized_stack, or(0, .L_ZN4vllm22paged_attention_kernelIfhLi192ELi16ELi128ELNS_18Fp8KVCacheDataTypeE1ELb0ELi512EEEvPfS2_PT_PKS3_PKT0_S9_ifPKiSB_iPKfiiiSD_SD_iiiii.has_dyn_sized_stack)
	.set _ZN4vllm25paged_attention_v2_kernelIfhLi192ELi16ELi128ELNS_18Fp8KVCacheDataTypeE1ELb0ELi512EEEvPfS2_PT_PKS3_PKT0_S9_ifPKiSB_iPKfiiiSD_SD_iiiii.has_recursion, or(0, .L_ZN4vllm22paged_attention_kernelIfhLi192ELi16ELi128ELNS_18Fp8KVCacheDataTypeE1ELb0ELi512EEEvPfS2_PT_PKS3_PKT0_S9_ifPKiSB_iPKfiiiSD_SD_iiiii.has_recursion)
	.set _ZN4vllm25paged_attention_v2_kernelIfhLi192ELi16ELi128ELNS_18Fp8KVCacheDataTypeE1ELb0ELi512EEEvPfS2_PT_PKS3_PKT0_S9_ifPKiSB_iPKfiiiSD_SD_iiiii.has_indirect_call, or(0, .L_ZN4vllm22paged_attention_kernelIfhLi192ELi16ELi128ELNS_18Fp8KVCacheDataTypeE1ELb0ELi512EEEvPfS2_PT_PKS3_PKT0_S9_ifPKiSB_iPKfiiiSD_SD_iiiii.has_indirect_call)
	.section	.AMDGPU.csdata,"",@progbits
; Kernel info:
; codeLenInByte = 240
; TotalNumSgprs: 46
; NumVgprs: 128
; ScratchSize: 1052
; MemoryBound: 0
; FloatMode: 240
; IeeeMode: 1
; LDSByteSize: 800 bytes/workgroup (compile time only)
; SGPRBlocks: 0
; VGPRBlocks: 15
; NumSGPRsForWavesPerEU: 46
; NumVGPRsForWavesPerEU: 128
; Occupancy: 8
; WaveLimiterHint : 1
; COMPUTE_PGM_RSRC2:SCRATCH_EN: 1
; COMPUTE_PGM_RSRC2:USER_SGPR: 6
; COMPUTE_PGM_RSRC2:TRAP_HANDLER: 0
; COMPUTE_PGM_RSRC2:TGID_X_EN: 1
; COMPUTE_PGM_RSRC2:TGID_Y_EN: 1
; COMPUTE_PGM_RSRC2:TGID_Z_EN: 1
; COMPUTE_PGM_RSRC2:TIDIG_COMP_CNT: 0
	.text
	.p2align	2                               ; -- Begin function _ZN4vllm22paged_attention_kernelIfhLi256ELi16ELi128ELNS_18Fp8KVCacheDataTypeE1ELb0ELi512EEEvPfS2_PT_PKS3_PKT0_S9_ifPKiSB_iPKfiiiSD_SD_iiiii
	.type	_ZN4vllm22paged_attention_kernelIfhLi256ELi16ELi128ELNS_18Fp8KVCacheDataTypeE1ELb0ELi512EEEvPfS2_PT_PKS3_PKT0_S9_ifPKiSB_iPKfiiiSD_SD_iiiii,@function
_ZN4vllm22paged_attention_kernelIfhLi256ELi16ELi128ELNS_18Fp8KVCacheDataTypeE1ELb0ELi512EEEvPfS2_PT_PKS3_PKT0_S9_ifPKiSB_iPKfiiiSD_SD_iiiii: ; @_ZN4vllm22paged_attention_kernelIfhLi256ELi16ELi128ELNS_18Fp8KVCacheDataTypeE1ELb0ELi512EEEvPfS2_PT_PKS3_PKT0_S9_ifPKiSB_iPKfiiiSD_SD_iiiii
; %bb.0:
	s_waitcnt vmcnt(0) expcnt(0) lgkmcnt(0)
	buffer_store_dword v40, off, s[0:3], s32 offset:188 ; 4-byte Folded Spill
	buffer_store_dword v41, off, s[0:3], s32 offset:184 ; 4-byte Folded Spill
	;; [unrolled: 1-line block ×47, first 2 shown]
	buffer_store_dword v127, off, s[0:3], s32 ; 4-byte Folded Spill
	s_mov_b32 s18, s13
	s_ashr_i32 s19, s13, 31
	buffer_store_dword v24, off, s[0:3], s32 offset:872 ; 4-byte Folded Spill
	buffer_store_dword v25, off, s[0:3], s32 offset:876 ; 4-byte Folded Spill
	buffer_store_dword v22, off, s[0:3], s32 offset:804 ; 4-byte Folded Spill
	buffer_store_dword v13, off, s[0:3], s32 offset:1408 ; 4-byte Folded Spill
	buffer_store_dword v5, off, s[0:3], s32 offset:1424 ; 4-byte Folded Spill
	buffer_store_dword v4, off, s[0:3], s32 offset:1428 ; 4-byte Folded Spill
	s_lshl_b64 s[4:5], s[18:19], 2
	v_mov_b32_e32 v24, v0
	v_add_co_u32 v0, vcc_lo, v16, s4
	v_mov_b32_e32 v22, v1
	v_add_co_ci_u32_e64 v1, null, s5, v17, vcc_lo
	v_mov_b32_e32 v25, v3
	v_mov_b32_e32 v28, v2
	s_lshl_b32 s20, s14, 9
	flat_load_dword v0, v[0:1]
	s_mov_b32 s19, exec_lo
	s_waitcnt vmcnt(0) lgkmcnt(0)
	buffer_store_dword v0, off, s[0:3], s32 offset:200 ; 4-byte Folded Spill
	v_cmpx_lt_i32_e64 s20, v0
	s_cbranch_execz .LBB227_2224
; %bb.1:
	v_sub_nc_u32_e32 v0, 0, v12
	s_clause 0x1
	s_load_dword s4, s[8:9], 0x10
	s_load_dword s5, s[8:9], 0x0
	s_mov_b32 s16, s15
	v_max_i32_e32 v0, v12, v0
	v_cvt_f32_u32_e32 v1, v0
	v_sub_nc_u32_e32 v2, 0, v0
	v_rcp_iflag_f32_e32 v1, v1
	s_waitcnt lgkmcnt(0)
	s_lshr_b32 s4, s4, 16
	s_cmp_lg_u32 s4, 0
	s_cselect_b32 s4, -1, 0
	v_mul_f32_e32 v1, 0x4f7ffffe, v1
	s_cmp_lg_u32 s4, 0
	s_addc_u32 s15, s5, 0
	s_mov_b32 s5, exec_lo
	v_cvt_u32_f32_e32 v1, v1
	s_abs_i32 s4, s15
	v_mul_lo_u32 v2, v2, v1
	v_mul_hi_u32 v2, v1, v2
	v_add_nc_u32_e32 v1, v1, v2
	v_mul_hi_u32 v1, s4, v1
	v_mul_lo_u32 v2, v1, v0
	v_add_nc_u32_e32 v3, 1, v1
	v_sub_nc_u32_e32 v2, s4, v2
	s_abs_i32 s4, s12
	v_sub_nc_u32_e32 v4, v2, v0
	v_cmp_ge_u32_e32 vcc_lo, v2, v0
	v_cndmask_b32_e32 v1, v1, v3, vcc_lo
	v_cndmask_b32_e32 v2, v2, v4, vcc_lo
	v_xor_b32_e32 v3, s15, v12
	v_add_nc_u32_e32 v4, 1, v1
	v_cmp_ge_u32_e32 vcc_lo, v2, v0
	v_ashrrev_i32_e32 v3, 31, v3
	v_cndmask_b32_e32 v0, v1, v4, vcc_lo
	v_xor_b32_e32 v0, v0, v3
	v_sub_nc_u32_e32 v2, v0, v3
	v_sub_nc_u32_e32 v0, 0, v2
	v_max_i32_e32 v3, v2, v0
	v_cvt_f32_u32_e32 v0, v3
	v_sub_nc_u32_e32 v1, 0, v3
	v_rcp_iflag_f32_e32 v0, v0
	v_mul_f32_e32 v0, 0x4f7ffffe, v0
	v_cvt_u32_f32_e32 v0, v0
	v_mul_lo_u32 v1, v1, v0
	v_mul_hi_u32 v1, v0, v1
	v_add_nc_u32_e32 v0, v0, v1
	v_mad_u64_u32 v[0:1], null, s4, v0, 0
	v_mov_b32_e32 v0, 0
	buffer_store_dword v0, off, s[0:3], s32 offset:1412 ; 4-byte Folded Spill
	v_cmpx_ne_u64_e32 0, v[19:20]
	s_cbranch_execz .LBB227_3
; %bb.2:
	s_ashr_i32 s13, s12, 31
	s_lshl_b64 s[6:7], s[12:13], 2
	v_add_co_u32 v4, vcc_lo, v19, s6
	v_add_co_ci_u32_e64 v5, null, s7, v20, vcc_lo
	flat_load_dword v0, v[4:5]
	s_waitcnt vmcnt(0) lgkmcnt(0)
	buffer_store_dword v0, off, s[0:3], s32 offset:1412 ; 4-byte Folded Spill
.LBB227_3:
	s_or_b32 exec_lo, exec_lo, s5
	v_and_b32_e32 v13, 0x3ff, v31
	v_ashrrev_i32_e32 v0, 31, v2
	v_and_b32_e32 v2, 1, v31
	s_ashr_i32 s5, s12, 31
	s_lshl_b32 s10, s12, 8
	v_lshlrev_b32_e32 v17, 2, v13
	s_mov_b32 s6, exec_lo
	v_cmpx_gt_u32_e32 0x80, v13
	s_cbranch_execz .LBB227_5
; %bb.4:
	v_mul_lo_u32 v4, v21, s18
	s_ashr_i32 s11, s10, 31
	v_lshlrev_b32_e32 v12, 3, v13
	s_lshl_b64 s[22:23], s[10:11], 2
	v_ashrrev_i32_e32 v5, 31, v4
	v_lshlrev_b64 v[4:5], 2, v[4:5]
	v_add_co_u32 v4, vcc_lo, v6, v4
	v_add_co_ci_u32_e64 v5, null, v7, v5, vcc_lo
	v_and_b32_e32 v6, 0xff8, v17
	v_add_co_u32 v4, vcc_lo, v4, s22
	v_add_co_ci_u32_e64 v5, null, s23, v5, vcc_lo
	v_lshl_add_u32 v6, v2, 9, v6
	v_add_co_u32 v4, vcc_lo, v4, v12
	v_add_co_ci_u32_e64 v5, null, 0, v5, vcc_lo
	flat_load_dwordx2 v[4:5], v[4:5]
	s_waitcnt vmcnt(0) lgkmcnt(0)
	ds_write_b64 v6, v[4:5]
.LBB227_5:
	s_or_b32 exec_lo, exec_lo, s6
	buffer_load_dword v5, off, s[0:3], s32 offset:200 ; 4-byte Folded Reload
	v_mul_lo_u32 v4, v1, v3
	v_add_nc_u32_e32 v7, 1, v1
	v_lshrrev_b32_e32 v12, 5, v13
	s_lshl_b32 s7, s14, 5
	v_mbcnt_lo_u32_b32 v21, -1, 0
	buffer_store_dword v12, off, s[0:3], s32 offset:1416 ; 4-byte Folded Spill
	v_sub_nc_u32_e32 v4, s4, v4
	s_add_i32 s4, s7, 32
	v_sub_nc_u32_e32 v16, v4, v3
	v_cmp_ge_u32_e32 vcc_lo, v4, v3
	v_cndmask_b32_e32 v1, v1, v7, vcc_lo
	v_cndmask_b32_e32 v4, v4, v16, vcc_lo
	v_xor_b32_e32 v7, s5, v0
	v_mul_lo_u32 v0, v18, s18
                                        ; implicit-def: $vgpr16
	v_cmp_ge_u32_e32 vcc_lo, v4, v3
	s_waitcnt vmcnt(0)
	v_add_nc_u32_e32 v5, 15, v5
	v_ashrrev_i32_e32 v6, 31, v5
	v_lshrrev_b32_e32 v6, 28, v6
	v_add_nc_u32_e32 v5, v5, v6
	v_add_nc_u32_e32 v6, 1, v1
	v_ashrrev_i32_e32 v18, 4, v5
	v_or_b32_e32 v5, s7, v12
	v_cndmask_b32_e32 v1, v1, v6, vcc_lo
                                        ; implicit-def: $vgpr12
	v_min_i32_e32 v6, s4, v18
	v_mov_b32_e32 v4, v5
	v_xor_b32_e32 v3, v1, v7
	v_ashrrev_i32_e32 v1, 31, v0
	buffer_store_dword v4, off, s[0:3], s32 offset:220 ; 4-byte Folded Spill
	buffer_store_dword v5, off, s[0:3], s32 offset:224 ; 4-byte Folded Spill
	;; [unrolled: 1-line block ×3, first 2 shown]
	v_sub_nc_u32_e32 v3, v3, v7
	s_waitcnt lgkmcnt(0)
	s_waitcnt_vscnt null, 0x0
	s_barrier
	buffer_gl0_inv
	v_cmp_ge_i32_e64 s4, v5, v6
	s_and_saveexec_b32 s5, s4
	s_xor_b32 s5, exec_lo, s5
	s_cbranch_execz .LBB227_7
; %bb.6:
	v_mov_b32_e32 v16, 0
	v_mbcnt_lo_u32_b32 v21, -1, 0
	v_mov_b32_e32 v12, 32
                                        ; implicit-def: $vgpr2
                                        ; kill: killed $vgpr2
                                        ; implicit-def: $vgpr2
                                        ; kill: killed $vgpr2
                                        ; implicit-def: $vgpr2
	buffer_store_dword v2, off, s[0:3], s32 offset:872 ; 4-byte Folded Spill
	buffer_store_dword v3, off, s[0:3], s32 offset:876 ; 4-byte Folded Spill
                                        ; implicit-def: $vgpr8
                                        ; implicit-def: $vgpr9
                                        ; implicit-def: $vgpr2
.LBB227_7:
	s_or_saveexec_b32 s13, s5
	s_clause 0x1
	s_load_dword s21, s[8:9], 0x14
	s_load_dword s11, s[8:9], 0x8
	v_mul_lo_u32 v19, v3, v23
	s_clause 0x1
	buffer_load_dword v3, off, s[0:3], s32 offset:220
	buffer_load_dword v4, off, s[0:3], s32 offset:224
	v_lshlrev_b64 v[0:1], 2, v[0:1]
	v_mov_b32_e32 v5, 0xff7fffff
	v_ashrrev_i32_e32 v20, 31, v19
	s_waitcnt vmcnt(0)
	v_ashrrev_i32_e32 v4, 31, v3
	buffer_store_dword v3, off, s[0:3], s32 offset:220 ; 4-byte Folded Spill
	buffer_store_dword v4, off, s[0:3], s32 offset:224 ; 4-byte Folded Spill
	;; [unrolled: 1-line block ×5, first 2 shown]
	s_xor_b32 exec_lo, exec_lo, s13
	s_cbranch_execz .LBB227_1037
; %bb.8:
	v_bfe_u32 v0, v13, 1, 4
	v_add_co_u32 v1, vcc_lo, v8, v19
	v_add_co_ci_u32_e64 v3, null, v9, v20, vcc_lo
	v_lshlrev_b32_e32 v4, 4, v0
	buffer_store_dword v18, off, s[0:3], s32 offset:1484 ; 4-byte Folded Spill
	buffer_store_dword v28, off, s[0:3], s32 offset:1480 ; 4-byte Folded Spill
	;; [unrolled: 1-line block ×12, first 2 shown]
	s_ashr_i32 s17, s16, 31
	v_add_co_u32 v4, vcc_lo, v1, v4
	v_add_co_ci_u32_e64 v5, null, 0, v3, vcc_lo
	v_lshlrev_b32_e32 v1, 9, v2
	v_xor_b32_e32 v3, 1, v21
	v_mov_b32_e32 v16, 0
	buffer_store_dword v4, off, s[0:3], s32 offset:884 ; 4-byte Folded Spill
	buffer_store_dword v5, off, s[0:3], s32 offset:888 ; 4-byte Folded Spill
	v_lshlrev_b32_e32 v4, 1, v2
	ds_read_b128 v[5:8], v1
	v_cmp_gt_i32_e32 vcc_lo, 32, v3
	s_lshl_b64 s[8:9], s[16:17], 2
	v_bfrev_b32_e32 v103, 1
	s_getpc_b64 s[24:25]
	s_add_u32 s24, s24, llvm.amdgcn.dynlds.offset.table@rel32@lo+4
	s_addc_u32 s25, s25, llvm.amdgcn.dynlds.offset.table@rel32@hi+12
	s_add_u32 s8, s24, s8
	v_cndmask_b32_e32 v3, v21, v3, vcc_lo
	v_cmp_eq_u32_e32 vcc_lo, 0, v2
	s_mov_b32 s22, 0
	s_addc_u32 s9, s25, s9
	s_waitcnt lgkmcnt(0)
	buffer_store_dword v5, off, s[0:3], s32 offset:892 ; 4-byte Folded Spill
	buffer_store_dword v6, off, s[0:3], s32 offset:896 ; 4-byte Folded Spill
	;; [unrolled: 1-line block ×4, first 2 shown]
	ds_read_b128 v[5:8], v1 offset:16
	v_lshlrev_b32_e32 v3, 2, v3
	s_waitcnt lgkmcnt(0)
	buffer_store_dword v5, off, s[0:3], s32 offset:908 ; 4-byte Folded Spill
	buffer_store_dword v6, off, s[0:3], s32 offset:912 ; 4-byte Folded Spill
	buffer_store_dword v7, off, s[0:3], s32 offset:916 ; 4-byte Folded Spill
	buffer_store_dword v8, off, s[0:3], s32 offset:920 ; 4-byte Folded Spill
	ds_read_b128 v[5:8], v1 offset:32
	s_waitcnt lgkmcnt(0)
	buffer_store_dword v5, off, s[0:3], s32 offset:924 ; 4-byte Folded Spill
	buffer_store_dword v6, off, s[0:3], s32 offset:928 ; 4-byte Folded Spill
	buffer_store_dword v7, off, s[0:3], s32 offset:932 ; 4-byte Folded Spill
	buffer_store_dword v8, off, s[0:3], s32 offset:936 ; 4-byte Folded Spill
	ds_read_b128 v[5:8], v1 offset:48
	s_waitcnt lgkmcnt(0)
	buffer_store_dword v5, off, s[0:3], s32 offset:940 ; 4-byte Folded Spill
	buffer_store_dword v6, off, s[0:3], s32 offset:944 ; 4-byte Folded Spill
	buffer_store_dword v7, off, s[0:3], s32 offset:948 ; 4-byte Folded Spill
	buffer_store_dword v8, off, s[0:3], s32 offset:952 ; 4-byte Folded Spill
	ds_read_b128 v[5:8], v1 offset:64
	s_waitcnt lgkmcnt(0)
	buffer_store_dword v5, off, s[0:3], s32 offset:956 ; 4-byte Folded Spill
	buffer_store_dword v6, off, s[0:3], s32 offset:960 ; 4-byte Folded Spill
	buffer_store_dword v7, off, s[0:3], s32 offset:964 ; 4-byte Folded Spill
	buffer_store_dword v8, off, s[0:3], s32 offset:968 ; 4-byte Folded Spill
	ds_read_b128 v[5:8], v1 offset:80
	s_waitcnt lgkmcnt(0)
	buffer_store_dword v5, off, s[0:3], s32 offset:972 ; 4-byte Folded Spill
	buffer_store_dword v6, off, s[0:3], s32 offset:976 ; 4-byte Folded Spill
	buffer_store_dword v7, off, s[0:3], s32 offset:980 ; 4-byte Folded Spill
	buffer_store_dword v8, off, s[0:3], s32 offset:984 ; 4-byte Folded Spill
	ds_read_b128 v[5:8], v1 offset:96
	s_waitcnt lgkmcnt(0)
	buffer_store_dword v5, off, s[0:3], s32 offset:988 ; 4-byte Folded Spill
	buffer_store_dword v6, off, s[0:3], s32 offset:992 ; 4-byte Folded Spill
	buffer_store_dword v7, off, s[0:3], s32 offset:996 ; 4-byte Folded Spill
	buffer_store_dword v8, off, s[0:3], s32 offset:1000 ; 4-byte Folded Spill
	ds_read_b128 v[5:8], v1 offset:112
	s_waitcnt lgkmcnt(0)
	buffer_store_dword v5, off, s[0:3], s32 offset:1004 ; 4-byte Folded Spill
	buffer_store_dword v6, off, s[0:3], s32 offset:1008 ; 4-byte Folded Spill
	buffer_store_dword v7, off, s[0:3], s32 offset:1012 ; 4-byte Folded Spill
	buffer_store_dword v8, off, s[0:3], s32 offset:1016 ; 4-byte Folded Spill
	ds_read_b128 v[5:8], v1 offset:128
	s_waitcnt lgkmcnt(0)
	buffer_store_dword v5, off, s[0:3], s32 offset:1020 ; 4-byte Folded Spill
	buffer_store_dword v6, off, s[0:3], s32 offset:1024 ; 4-byte Folded Spill
	buffer_store_dword v7, off, s[0:3], s32 offset:1028 ; 4-byte Folded Spill
	buffer_store_dword v8, off, s[0:3], s32 offset:1032 ; 4-byte Folded Spill
	ds_read_b128 v[5:8], v1 offset:144
	s_waitcnt lgkmcnt(0)
	buffer_store_dword v5, off, s[0:3], s32 offset:1036 ; 4-byte Folded Spill
	buffer_store_dword v6, off, s[0:3], s32 offset:1040 ; 4-byte Folded Spill
	buffer_store_dword v7, off, s[0:3], s32 offset:1044 ; 4-byte Folded Spill
	buffer_store_dword v8, off, s[0:3], s32 offset:1048 ; 4-byte Folded Spill
	ds_read_b128 v[5:8], v1 offset:160
	s_waitcnt lgkmcnt(0)
	buffer_store_dword v5, off, s[0:3], s32 offset:1052 ; 4-byte Folded Spill
	buffer_store_dword v6, off, s[0:3], s32 offset:1056 ; 4-byte Folded Spill
	buffer_store_dword v7, off, s[0:3], s32 offset:1060 ; 4-byte Folded Spill
	buffer_store_dword v8, off, s[0:3], s32 offset:1064 ; 4-byte Folded Spill
	ds_read_b128 v[5:8], v1 offset:176
	s_waitcnt lgkmcnt(0)
	buffer_store_dword v5, off, s[0:3], s32 offset:1068 ; 4-byte Folded Spill
	buffer_store_dword v6, off, s[0:3], s32 offset:1072 ; 4-byte Folded Spill
	buffer_store_dword v7, off, s[0:3], s32 offset:1076 ; 4-byte Folded Spill
	buffer_store_dword v8, off, s[0:3], s32 offset:1080 ; 4-byte Folded Spill
	ds_read_b128 v[5:8], v1 offset:192
	s_waitcnt lgkmcnt(0)
	buffer_store_dword v5, off, s[0:3], s32 offset:1084 ; 4-byte Folded Spill
	buffer_store_dword v6, off, s[0:3], s32 offset:1088 ; 4-byte Folded Spill
	;; [unrolled: 1-line block ×4, first 2 shown]
	buffer_load_dword v2, off, s[0:3], s32 offset:1412 ; 4-byte Folded Reload
	buffer_store_dword v21, off, s[0:3], s32 offset:1496 ; 4-byte Folded Spill
	buffer_store_dword v3, off, s[0:3], s32 offset:1100 ; 4-byte Folded Spill
	s_waitcnt vmcnt(0)
	v_cmp_neq_f32_e64 s5, 0, v2
	v_or_b32_e32 v2, 4, v4
	buffer_store_dword v2, off, s[0:3], s32 offset:208 ; 4-byte Folded Spill
	v_or_b32_e32 v2, 8, v4
	buffer_store_dword v2, off, s[0:3], s32 offset:212 ; 4-byte Folded Spill
	buffer_store_dword v4, off, s[0:3], s32 offset:204 ; 4-byte Folded Spill
	v_or_b32_e32 v2, 12, v4
	buffer_store_dword v2, off, s[0:3], s32 offset:216 ; 4-byte Folded Spill
	ds_read_b128 v[2:5], v1 offset:208
	s_waitcnt lgkmcnt(0)
	buffer_store_dword v2, off, s[0:3], s32 offset:1104 ; 4-byte Folded Spill
	buffer_store_dword v3, off, s[0:3], s32 offset:1108 ; 4-byte Folded Spill
	buffer_store_dword v4, off, s[0:3], s32 offset:1112 ; 4-byte Folded Spill
	buffer_store_dword v5, off, s[0:3], s32 offset:1116 ; 4-byte Folded Spill
	ds_read_b128 v[2:5], v1 offset:224
	s_waitcnt lgkmcnt(0)
	buffer_store_dword v2, off, s[0:3], s32 offset:1120 ; 4-byte Folded Spill
	buffer_store_dword v3, off, s[0:3], s32 offset:1124 ; 4-byte Folded Spill
	buffer_store_dword v4, off, s[0:3], s32 offset:1128 ; 4-byte Folded Spill
	;; [unrolled: 6-line block ×19, first 2 shown]
	buffer_store_dword v4, off, s[0:3], s32 offset:1404 ; 4-byte Folded Spill
	s_clause 0x1
	buffer_load_dword v3, off, s[0:3], s32 offset:220
	buffer_load_dword v4, off, s[0:3], s32 offset:224
	s_waitcnt vmcnt(1)
	v_mov_b32_e32 v6, v3
	s_waitcnt vmcnt(0)
	v_lshlrev_b64 v[1:2], 2, v[3:4]
	s_clause 0x1
	buffer_load_dword v4, off, s[0:3], s32 offset:1432
	buffer_load_dword v5, off, s[0:3], s32 offset:1436
	buffer_store_dword v14, off, s[0:3], s32 offset:1444 ; 4-byte Folded Spill
	buffer_store_dword v15, off, s[0:3], s32 offset:1440 ; 4-byte Folded Spill
	s_waitcnt vmcnt(1)
	v_add_co_u32 v1, s6, v4, v1
	s_waitcnt vmcnt(0)
	v_add_co_ci_u32_e64 v2, null, v5, v2, s6
	v_add_co_u32 v4, s6, v14, v1
	v_add_co_ci_u32_e64 v5, null, v15, v2, s6
	buffer_load_dword v2, off, s[0:3], s32 offset:1416 ; 4-byte Folded Reload
	s_waitcnt vmcnt(0)
	v_lshlrev_b32_e32 v1, 4, v2
	v_add3_u32 v1, s20, v1, v0
	v_lshlrev_b32_e32 v0, 2, v0
	buffer_store_dword v1, off, s[0:3], s32 offset:796 ; 4-byte Folded Spill
	v_lshl_or_b32 v0, v2, 6, v0
	v_mov_b32_e32 v1, 0x7f800001
	buffer_store_dword v0, off, s[0:3], s32 offset:800 ; 4-byte Folded Spill
	v_mov_b32_e32 v0, 0xff7fffff
	buffer_store_dword v0, off, s[0:3], s32 offset:880 ; 4-byte Folded Spill
	buffer_store_dword v0, off, s[0:3], s32 offset:192 ; 4-byte Folded Spill
	;; [unrolled: 1-line block ×3, first 2 shown]
	s_branch .LBB227_10
.LBB227_9:                              ;   in Loop: Header=BB227_10 Depth=1
	s_or_b32 exec_lo, exec_lo, s17
	s_clause 0x2
	buffer_load_dword v4, off, s[0:3], s32 offset:812
	buffer_load_dword v5, off, s[0:3], s32 offset:816
	;; [unrolled: 1-line block ×3, first 2 shown]
	s_waitcnt vmcnt(3)
	v_add_nc_u32_e32 v6, 4, v6
	s_waitcnt vmcnt(2)
	v_add_co_u32 v4, s6, v4, 16
	s_waitcnt vmcnt(0)
	v_add_nc_u32_e32 v0, 64, v0
	v_add_co_ci_u32_e64 v5, null, 0, v5, s6
	buffer_store_dword v0, off, s[0:3], s32 offset:796 ; 4-byte Folded Spill
	buffer_load_dword v0, off, s[0:3], s32 offset:800 ; 4-byte Folded Reload
	s_waitcnt vmcnt(0)
	v_add_nc_u32_e32 v0, 0x100, v0
	buffer_store_dword v0, off, s[0:3], s32 offset:800 ; 4-byte Folded Spill
	buffer_load_dword v0, off, s[0:3], s32 offset:808 ; 4-byte Folded Reload
	s_waitcnt vmcnt(0)
	v_cmp_ge_i32_e64 s6, v6, v0
	s_or_b32 s22, s6, s22
	s_andn2_b32 exec_lo, exec_lo, s22
	s_cbranch_execz .LBB227_1036
.LBB227_10:                             ; =>This Inner Loop Header: Depth=1
	buffer_store_dword v6, off, s[0:3], s32 offset:820 ; 4-byte Folded Spill
	buffer_store_dword v4, off, s[0:3], s32 offset:812 ; 4-byte Folded Spill
	;; [unrolled: 1-line block ×3, first 2 shown]
	v_mov_b32_e32 v82, 0
	v_mov_b32_e32 v83, 0
	flat_load_dword v0, v[4:5]
	s_waitcnt lgkmcnt(1)
	s_clause 0x2
	buffer_load_dword v1, off, s[0:3], s32 offset:804
	buffer_load_dword v2, off, s[0:3], s32 offset:884
	buffer_load_dword v3, off, s[0:3], s32 offset:888
	s_waitcnt vmcnt(0) lgkmcnt(0)
	v_mad_i64_i32 v[68:69], null, v0, v1, v[2:3]
	s_clause 0x1
	buffer_load_dword v0, off, s[0:3], s32 offset:872
	buffer_load_dword v1, off, s[0:3], s32 offset:876
	s_waitcnt vmcnt(0)
	flat_load_dword v66, v[0:1]
	buffer_load_dword v0, off, s[0:3], s32 offset:204 ; 4-byte Folded Reload
	s_waitcnt vmcnt(0)
	v_add_co_u32 v34, s6, v68, v0
	v_add_co_ci_u32_e64 v35, null, 0, v69, s6
	flat_load_ushort v1, v[34:35]
	s_waitcnt vmcnt(0) lgkmcnt(0)
	v_and_b32_e32 v0, 0xffff, v1
	v_cmp_ne_u16_sdwa s6, v1, v16 src0_sel:BYTE_0 src1_sel:DWORD
	v_mov_b32_e32 v1, 0
	v_mov_b32_e32 v2, 0
	buffer_store_dword v1, off, s[0:3], s32 offset:228 ; 4-byte Folded Spill
	buffer_store_dword v2, off, s[0:3], s32 offset:232 ; 4-byte Folded Spill
	s_and_saveexec_b32 s17, s6
	s_cbranch_execz .LBB227_18
; %bb.11:                               ;   in Loop: Header=BB227_10 Depth=1
	v_mov_b32_e32 v1, 0x80
	v_bfrev_b32_e32 v82, 1
	v_mov_b32_e32 v83, 0
	v_cmp_ne_u16_sdwa s6, v0, v1 src0_sel:BYTE_0 src1_sel:DWORD
	s_and_saveexec_b32 s23, s6
	s_cbranch_execz .LBB227_17
; %bb.12:                               ;   in Loop: Header=BB227_10 Depth=1
	v_mov_b32_e32 v82, 0x7f800001
	v_and_b32_e32 v2, 0x7f, v0
	v_mov_b32_e32 v83, 0
	s_mov_b32 s24, exec_lo
	v_cmpx_ne_u32_e32 0x7f, v2
	s_cbranch_execz .LBB227_16
; %bb.13:                               ;   in Loop: Header=BB227_10 Depth=1
	v_and_b32_e32 v15, 7, v0
	v_lshrrev_b32_e32 v1, 3, v2
	s_mov_b32 s25, exec_lo
	v_cmpx_gt_u32_e32 8, v2
; %bb.14:                               ;   in Loop: Header=BB227_10 Depth=1
	v_ffbh_u32_e32 v1, v15
	v_min_u32_e32 v1, 32, v1
	v_subrev_nc_u32_e32 v2, 28, v1
	v_sub_nc_u32_e32 v1, 29, v1
	v_lshlrev_b64 v[2:3], v2, v[15:16]
	v_and_b32_e32 v15, 7, v2
; %bb.15:                               ;   in Loop: Header=BB227_10 Depth=1
	s_or_b32 exec_lo, exec_lo, s25
	v_lshlrev_b32_e32 v2, 24, v0
	v_lshlrev_b32_e32 v3, 20, v15
	v_lshl_add_u32 v1, v1, 23, 0x3c000000
	v_and_b32_e32 v2, 0x80000000, v2
	v_or3_b32 v15, v3, v2, v1
	v_mov_b32_e32 v83, v16
	v_mov_b32_e32 v82, v15
.LBB227_16:                             ;   in Loop: Header=BB227_10 Depth=1
	s_or_b32 exec_lo, exec_lo, s24
.LBB227_17:                             ;   in Loop: Header=BB227_10 Depth=1
	s_or_b32 exec_lo, exec_lo, s23
.LBB227_18:                             ;   in Loop: Header=BB227_10 Depth=1
	s_or_b32 exec_lo, exec_lo, s17
	v_cmp_ne_u16_sdwa s6, v0, v16 src0_sel:BYTE_1 src1_sel:DWORD
	s_and_saveexec_b32 s17, s6
	s_cbranch_execz .LBB227_26
; %bb.19:                               ;   in Loop: Header=BB227_10 Depth=1
	v_mov_b32_e32 v1, 0x80
	v_mov_b32_e32 v102, v16
	buffer_store_dword v102, off, s[0:3], s32 offset:228 ; 4-byte Folded Spill
	buffer_store_dword v103, off, s[0:3], s32 offset:232 ; 4-byte Folded Spill
	v_cmp_ne_u16_sdwa s6, v0, v1 src0_sel:BYTE_1 src1_sel:DWORD
	s_and_saveexec_b32 s23, s6
	s_cbranch_execz .LBB227_25
; %bb.20:                               ;   in Loop: Header=BB227_10 Depth=1
	s_clause 0x1
	buffer_load_dword v3, off, s[0:3], s32 offset:192
	buffer_load_dword v4, off, s[0:3], s32 offset:196
	v_mov_b32_e32 v1, 0xffff
	s_mov_b32 s24, exec_lo
	v_and_b32_sdwa v1, v1, v0 dst_sel:DWORD dst_unused:UNUSED_PAD src0_sel:DWORD src1_sel:BYTE_1
	v_and_b32_e32 v2, 0x7f, v1
	s_waitcnt vmcnt(0)
	v_mov_b32_e32 v5, v4
	v_mov_b32_e32 v4, v16
	;; [unrolled: 1-line block ×3, first 2 shown]
	buffer_store_dword v2, off, s[0:3], s32 offset:192 ; 4-byte Folded Spill
	buffer_store_dword v3, off, s[0:3], s32 offset:196 ; 4-byte Folded Spill
	;; [unrolled: 1-line block ×4, first 2 shown]
	v_cmpx_ne_u32_e32 0x7f, v2
	s_cbranch_execz .LBB227_24
; %bb.21:                               ;   in Loop: Header=BB227_10 Depth=1
	v_and_b32_e32 v15, 7, v1
	v_lshrrev_b32_e32 v1, 3, v2
	s_mov_b32 s25, exec_lo
	v_cmpx_gt_u32_e32 8, v2
; %bb.22:                               ;   in Loop: Header=BB227_10 Depth=1
	v_ffbh_u32_e32 v1, v15
	v_min_u32_e32 v1, 32, v1
	v_subrev_nc_u32_e32 v2, 28, v1
	v_sub_nc_u32_e32 v1, 29, v1
	v_lshlrev_b64 v[2:3], v2, v[15:16]
	v_and_b32_e32 v15, 7, v2
; %bb.23:                               ;   in Loop: Header=BB227_10 Depth=1
	s_or_b32 exec_lo, exec_lo, s25
	v_lshlrev_b32_e32 v0, 16, v0
	v_lshlrev_b32_e32 v2, 20, v15
	v_lshl_add_u32 v1, v1, 23, 0x3c000000
	v_and_b32_e32 v0, 0x80000000, v0
	v_or3_b32 v1, v2, v0, v1
	v_mov_b32_e32 v0, v16
	buffer_store_dword v0, off, s[0:3], s32 offset:228 ; 4-byte Folded Spill
	buffer_store_dword v1, off, s[0:3], s32 offset:232 ; 4-byte Folded Spill
.LBB227_24:                             ;   in Loop: Header=BB227_10 Depth=1
	s_or_b32 exec_lo, exec_lo, s24
.LBB227_25:                             ;   in Loop: Header=BB227_10 Depth=1
	s_or_b32 exec_lo, exec_lo, s23
.LBB227_26:                             ;   in Loop: Header=BB227_10 Depth=1
	s_or_b32 exec_lo, exec_lo, s17
	flat_load_ushort v1, v[34:35] offset:4
	s_waitcnt vmcnt(0) lgkmcnt(0)
	v_and_b32_e32 v0, 0xffff, v1
	v_cmp_ne_u16_sdwa s6, v1, v16 src0_sel:BYTE_0 src1_sel:DWORD
	v_mov_b32_e32 v1, 0
	v_mov_b32_e32 v2, 0
	buffer_store_dword v1, off, s[0:3], s32 offset:244 ; 4-byte Folded Spill
	buffer_store_dword v2, off, s[0:3], s32 offset:248 ; 4-byte Folded Spill
	v_mov_b32_e32 v1, 0
	v_mov_b32_e32 v2, 0
	buffer_store_dword v1, off, s[0:3], s32 offset:236 ; 4-byte Folded Spill
	buffer_store_dword v2, off, s[0:3], s32 offset:240 ; 4-byte Folded Spill
	s_and_saveexec_b32 s17, s6
	s_cbranch_execz .LBB227_34
; %bb.27:                               ;   in Loop: Header=BB227_10 Depth=1
	v_bfrev_b32_e32 v1, 1
	v_mov_b32_e32 v2, 0
	buffer_store_dword v1, off, s[0:3], s32 offset:236 ; 4-byte Folded Spill
	buffer_store_dword v2, off, s[0:3], s32 offset:240 ; 4-byte Folded Spill
	v_mov_b32_e32 v1, 0x80
	v_cmp_ne_u16_sdwa s6, v0, v1 src0_sel:BYTE_0 src1_sel:DWORD
	s_and_saveexec_b32 s23, s6
	s_cbranch_execz .LBB227_33
; %bb.28:                               ;   in Loop: Header=BB227_10 Depth=1
	v_mov_b32_e32 v3, 0x7f800001
	v_and_b32_e32 v2, 0x7f, v0
	v_mov_b32_e32 v4, 0
	s_mov_b32 s24, exec_lo
	buffer_store_dword v3, off, s[0:3], s32 offset:236 ; 4-byte Folded Spill
	buffer_store_dword v4, off, s[0:3], s32 offset:240 ; 4-byte Folded Spill
	v_cmpx_ne_u32_e32 0x7f, v2
	s_cbranch_execz .LBB227_32
; %bb.29:                               ;   in Loop: Header=BB227_10 Depth=1
	v_and_b32_e32 v15, 7, v0
	v_lshrrev_b32_e32 v1, 3, v2
	s_mov_b32 s25, exec_lo
	v_cmpx_gt_u32_e32 8, v2
; %bb.30:                               ;   in Loop: Header=BB227_10 Depth=1
	v_ffbh_u32_e32 v1, v15
	v_min_u32_e32 v1, 32, v1
	v_subrev_nc_u32_e32 v2, 28, v1
	v_sub_nc_u32_e32 v1, 29, v1
	v_lshlrev_b64 v[2:3], v2, v[15:16]
	v_and_b32_e32 v15, 7, v2
; %bb.31:                               ;   in Loop: Header=BB227_10 Depth=1
	s_or_b32 exec_lo, exec_lo, s25
	v_lshlrev_b32_e32 v2, 24, v0
	v_lshlrev_b32_e32 v3, 20, v15
	v_lshl_add_u32 v1, v1, 23, 0x3c000000
	v_and_b32_e32 v2, 0x80000000, v2
	v_or3_b32 v15, v3, v2, v1
	buffer_store_dword v15, off, s[0:3], s32 offset:236 ; 4-byte Folded Spill
	buffer_store_dword v16, off, s[0:3], s32 offset:240 ; 4-byte Folded Spill
.LBB227_32:                             ;   in Loop: Header=BB227_10 Depth=1
	s_or_b32 exec_lo, exec_lo, s24
.LBB227_33:                             ;   in Loop: Header=BB227_10 Depth=1
	s_or_b32 exec_lo, exec_lo, s23
.LBB227_34:                             ;   in Loop: Header=BB227_10 Depth=1
	s_or_b32 exec_lo, exec_lo, s17
	v_cmp_ne_u16_sdwa s6, v0, v16 src0_sel:BYTE_1 src1_sel:DWORD
	s_and_saveexec_b32 s17, s6
	s_cbranch_execz .LBB227_42
; %bb.35:                               ;   in Loop: Header=BB227_10 Depth=1
	v_mov_b32_e32 v1, 0x80
	v_mov_b32_e32 v102, v16
	buffer_store_dword v102, off, s[0:3], s32 offset:244 ; 4-byte Folded Spill
	buffer_store_dword v103, off, s[0:3], s32 offset:248 ; 4-byte Folded Spill
	v_cmp_ne_u16_sdwa s6, v0, v1 src0_sel:BYTE_1 src1_sel:DWORD
	s_and_saveexec_b32 s23, s6
	s_cbranch_execz .LBB227_41
; %bb.36:                               ;   in Loop: Header=BB227_10 Depth=1
	s_clause 0x1
	buffer_load_dword v3, off, s[0:3], s32 offset:192
	buffer_load_dword v4, off, s[0:3], s32 offset:196
	v_mov_b32_e32 v1, 0xffff
	s_mov_b32 s24, exec_lo
	v_and_b32_sdwa v1, v1, v0 dst_sel:DWORD dst_unused:UNUSED_PAD src0_sel:DWORD src1_sel:BYTE_1
	v_and_b32_e32 v2, 0x7f, v1
	s_waitcnt vmcnt(0)
	v_mov_b32_e32 v5, v4
	v_mov_b32_e32 v4, v16
	;; [unrolled: 1-line block ×3, first 2 shown]
	buffer_store_dword v2, off, s[0:3], s32 offset:192 ; 4-byte Folded Spill
	buffer_store_dword v3, off, s[0:3], s32 offset:196 ; 4-byte Folded Spill
	;; [unrolled: 1-line block ×4, first 2 shown]
	v_cmpx_ne_u32_e32 0x7f, v2
	s_cbranch_execz .LBB227_40
; %bb.37:                               ;   in Loop: Header=BB227_10 Depth=1
	v_and_b32_e32 v15, 7, v1
	v_lshrrev_b32_e32 v1, 3, v2
	s_mov_b32 s25, exec_lo
	v_cmpx_gt_u32_e32 8, v2
; %bb.38:                               ;   in Loop: Header=BB227_10 Depth=1
	v_ffbh_u32_e32 v1, v15
	v_min_u32_e32 v1, 32, v1
	v_subrev_nc_u32_e32 v2, 28, v1
	v_sub_nc_u32_e32 v1, 29, v1
	v_lshlrev_b64 v[2:3], v2, v[15:16]
	v_and_b32_e32 v15, 7, v2
; %bb.39:                               ;   in Loop: Header=BB227_10 Depth=1
	s_or_b32 exec_lo, exec_lo, s25
	v_lshlrev_b32_e32 v0, 16, v0
	v_lshlrev_b32_e32 v2, 20, v15
	v_lshl_add_u32 v1, v1, 23, 0x3c000000
	v_and_b32_e32 v0, 0x80000000, v0
	v_or3_b32 v1, v2, v0, v1
	v_mov_b32_e32 v0, v16
	buffer_store_dword v0, off, s[0:3], s32 offset:244 ; 4-byte Folded Spill
	buffer_store_dword v1, off, s[0:3], s32 offset:248 ; 4-byte Folded Spill
.LBB227_40:                             ;   in Loop: Header=BB227_10 Depth=1
	s_or_b32 exec_lo, exec_lo, s24
.LBB227_41:                             ;   in Loop: Header=BB227_10 Depth=1
	s_or_b32 exec_lo, exec_lo, s23
.LBB227_42:                             ;   in Loop: Header=BB227_10 Depth=1
	s_or_b32 exec_lo, exec_lo, s17
	flat_load_ushort v1, v[34:35] offset:8
	s_waitcnt vmcnt(0) lgkmcnt(0)
	v_and_b32_e32 v0, 0xffff, v1
	v_cmp_ne_u16_sdwa s6, v1, v16 src0_sel:BYTE_0 src1_sel:DWORD
	v_mov_b32_e32 v1, 0
	v_mov_b32_e32 v2, 0
	buffer_store_dword v1, off, s[0:3], s32 offset:260 ; 4-byte Folded Spill
	buffer_store_dword v2, off, s[0:3], s32 offset:264 ; 4-byte Folded Spill
	v_mov_b32_e32 v1, 0
	v_mov_b32_e32 v2, 0
	buffer_store_dword v1, off, s[0:3], s32 offset:252 ; 4-byte Folded Spill
	buffer_store_dword v2, off, s[0:3], s32 offset:256 ; 4-byte Folded Spill
	s_and_saveexec_b32 s17, s6
	s_cbranch_execz .LBB227_50
; %bb.43:                               ;   in Loop: Header=BB227_10 Depth=1
	v_bfrev_b32_e32 v1, 1
	v_mov_b32_e32 v2, 0
	buffer_store_dword v1, off, s[0:3], s32 offset:252 ; 4-byte Folded Spill
	buffer_store_dword v2, off, s[0:3], s32 offset:256 ; 4-byte Folded Spill
	v_mov_b32_e32 v1, 0x80
	v_cmp_ne_u16_sdwa s6, v0, v1 src0_sel:BYTE_0 src1_sel:DWORD
	s_and_saveexec_b32 s23, s6
	s_cbranch_execz .LBB227_49
; %bb.44:                               ;   in Loop: Header=BB227_10 Depth=1
	v_mov_b32_e32 v3, 0x7f800001
	v_and_b32_e32 v2, 0x7f, v0
	v_mov_b32_e32 v4, 0
	s_mov_b32 s24, exec_lo
	buffer_store_dword v3, off, s[0:3], s32 offset:252 ; 4-byte Folded Spill
	buffer_store_dword v4, off, s[0:3], s32 offset:256 ; 4-byte Folded Spill
	v_cmpx_ne_u32_e32 0x7f, v2
	s_cbranch_execz .LBB227_48
; %bb.45:                               ;   in Loop: Header=BB227_10 Depth=1
	v_and_b32_e32 v15, 7, v0
	v_lshrrev_b32_e32 v1, 3, v2
	s_mov_b32 s25, exec_lo
	v_cmpx_gt_u32_e32 8, v2
; %bb.46:                               ;   in Loop: Header=BB227_10 Depth=1
	v_ffbh_u32_e32 v1, v15
	v_min_u32_e32 v1, 32, v1
	v_subrev_nc_u32_e32 v2, 28, v1
	v_sub_nc_u32_e32 v1, 29, v1
	v_lshlrev_b64 v[2:3], v2, v[15:16]
	v_and_b32_e32 v15, 7, v2
; %bb.47:                               ;   in Loop: Header=BB227_10 Depth=1
	s_or_b32 exec_lo, exec_lo, s25
	v_lshlrev_b32_e32 v2, 24, v0
	v_lshlrev_b32_e32 v3, 20, v15
	v_lshl_add_u32 v1, v1, 23, 0x3c000000
	v_and_b32_e32 v2, 0x80000000, v2
	v_or3_b32 v15, v3, v2, v1
	buffer_store_dword v15, off, s[0:3], s32 offset:252 ; 4-byte Folded Spill
	buffer_store_dword v16, off, s[0:3], s32 offset:256 ; 4-byte Folded Spill
.LBB227_48:                             ;   in Loop: Header=BB227_10 Depth=1
	s_or_b32 exec_lo, exec_lo, s24
.LBB227_49:                             ;   in Loop: Header=BB227_10 Depth=1
	s_or_b32 exec_lo, exec_lo, s23
.LBB227_50:                             ;   in Loop: Header=BB227_10 Depth=1
	s_or_b32 exec_lo, exec_lo, s17
	v_cmp_ne_u16_sdwa s6, v0, v16 src0_sel:BYTE_1 src1_sel:DWORD
	s_and_saveexec_b32 s17, s6
	s_cbranch_execz .LBB227_58
; %bb.51:                               ;   in Loop: Header=BB227_10 Depth=1
	v_mov_b32_e32 v1, 0x80
	v_mov_b32_e32 v102, v16
	buffer_store_dword v102, off, s[0:3], s32 offset:260 ; 4-byte Folded Spill
	buffer_store_dword v103, off, s[0:3], s32 offset:264 ; 4-byte Folded Spill
	v_cmp_ne_u16_sdwa s6, v0, v1 src0_sel:BYTE_1 src1_sel:DWORD
	s_and_saveexec_b32 s23, s6
	s_cbranch_execz .LBB227_57
; %bb.52:                               ;   in Loop: Header=BB227_10 Depth=1
	s_clause 0x1
	buffer_load_dword v3, off, s[0:3], s32 offset:192
	buffer_load_dword v4, off, s[0:3], s32 offset:196
	v_mov_b32_e32 v1, 0xffff
	s_mov_b32 s24, exec_lo
	v_and_b32_sdwa v1, v1, v0 dst_sel:DWORD dst_unused:UNUSED_PAD src0_sel:DWORD src1_sel:BYTE_1
	v_and_b32_e32 v2, 0x7f, v1
	s_waitcnt vmcnt(0)
	v_mov_b32_e32 v5, v4
	v_mov_b32_e32 v4, v16
	;; [unrolled: 1-line block ×3, first 2 shown]
	buffer_store_dword v2, off, s[0:3], s32 offset:192 ; 4-byte Folded Spill
	buffer_store_dword v3, off, s[0:3], s32 offset:196 ; 4-byte Folded Spill
	;; [unrolled: 1-line block ×4, first 2 shown]
	v_cmpx_ne_u32_e32 0x7f, v2
	s_cbranch_execz .LBB227_56
; %bb.53:                               ;   in Loop: Header=BB227_10 Depth=1
	v_and_b32_e32 v15, 7, v1
	v_lshrrev_b32_e32 v1, 3, v2
	s_mov_b32 s25, exec_lo
	v_cmpx_gt_u32_e32 8, v2
; %bb.54:                               ;   in Loop: Header=BB227_10 Depth=1
	v_ffbh_u32_e32 v1, v15
	v_min_u32_e32 v1, 32, v1
	v_subrev_nc_u32_e32 v2, 28, v1
	v_sub_nc_u32_e32 v1, 29, v1
	v_lshlrev_b64 v[2:3], v2, v[15:16]
	v_and_b32_e32 v15, 7, v2
; %bb.55:                               ;   in Loop: Header=BB227_10 Depth=1
	s_or_b32 exec_lo, exec_lo, s25
	v_lshlrev_b32_e32 v0, 16, v0
	v_lshlrev_b32_e32 v2, 20, v15
	v_lshl_add_u32 v1, v1, 23, 0x3c000000
	v_and_b32_e32 v0, 0x80000000, v0
	v_or3_b32 v1, v2, v0, v1
	v_mov_b32_e32 v0, v16
	buffer_store_dword v0, off, s[0:3], s32 offset:260 ; 4-byte Folded Spill
	buffer_store_dword v1, off, s[0:3], s32 offset:264 ; 4-byte Folded Spill
.LBB227_56:                             ;   in Loop: Header=BB227_10 Depth=1
	s_or_b32 exec_lo, exec_lo, s24
.LBB227_57:                             ;   in Loop: Header=BB227_10 Depth=1
	s_or_b32 exec_lo, exec_lo, s23
.LBB227_58:                             ;   in Loop: Header=BB227_10 Depth=1
	s_or_b32 exec_lo, exec_lo, s17
	flat_load_ushort v1, v[34:35] offset:12
	s_waitcnt vmcnt(0) lgkmcnt(0)
	v_and_b32_e32 v0, 0xffff, v1
	v_cmp_ne_u16_sdwa s6, v1, v16 src0_sel:BYTE_0 src1_sel:DWORD
	v_mov_b32_e32 v1, 0
	v_mov_b32_e32 v2, 0
	buffer_store_dword v1, off, s[0:3], s32 offset:276 ; 4-byte Folded Spill
	buffer_store_dword v2, off, s[0:3], s32 offset:280 ; 4-byte Folded Spill
	v_mov_b32_e32 v1, 0
	v_mov_b32_e32 v2, 0
	buffer_store_dword v1, off, s[0:3], s32 offset:268 ; 4-byte Folded Spill
	buffer_store_dword v2, off, s[0:3], s32 offset:272 ; 4-byte Folded Spill
	s_and_saveexec_b32 s17, s6
	s_cbranch_execz .LBB227_66
; %bb.59:                               ;   in Loop: Header=BB227_10 Depth=1
	v_bfrev_b32_e32 v1, 1
	v_mov_b32_e32 v2, 0
	buffer_store_dword v1, off, s[0:3], s32 offset:268 ; 4-byte Folded Spill
	buffer_store_dword v2, off, s[0:3], s32 offset:272 ; 4-byte Folded Spill
	v_mov_b32_e32 v1, 0x80
	v_cmp_ne_u16_sdwa s6, v0, v1 src0_sel:BYTE_0 src1_sel:DWORD
	s_and_saveexec_b32 s23, s6
	s_cbranch_execz .LBB227_65
; %bb.60:                               ;   in Loop: Header=BB227_10 Depth=1
	v_mov_b32_e32 v3, 0x7f800001
	v_and_b32_e32 v2, 0x7f, v0
	v_mov_b32_e32 v4, 0
	s_mov_b32 s24, exec_lo
	buffer_store_dword v3, off, s[0:3], s32 offset:268 ; 4-byte Folded Spill
	buffer_store_dword v4, off, s[0:3], s32 offset:272 ; 4-byte Folded Spill
	v_cmpx_ne_u32_e32 0x7f, v2
	s_cbranch_execz .LBB227_64
; %bb.61:                               ;   in Loop: Header=BB227_10 Depth=1
	v_and_b32_e32 v15, 7, v0
	v_lshrrev_b32_e32 v1, 3, v2
	s_mov_b32 s25, exec_lo
	v_cmpx_gt_u32_e32 8, v2
; %bb.62:                               ;   in Loop: Header=BB227_10 Depth=1
	v_ffbh_u32_e32 v1, v15
	v_min_u32_e32 v1, 32, v1
	v_subrev_nc_u32_e32 v2, 28, v1
	v_sub_nc_u32_e32 v1, 29, v1
	v_lshlrev_b64 v[2:3], v2, v[15:16]
	v_and_b32_e32 v15, 7, v2
; %bb.63:                               ;   in Loop: Header=BB227_10 Depth=1
	s_or_b32 exec_lo, exec_lo, s25
	v_lshlrev_b32_e32 v2, 24, v0
	v_lshlrev_b32_e32 v3, 20, v15
	v_lshl_add_u32 v1, v1, 23, 0x3c000000
	v_and_b32_e32 v2, 0x80000000, v2
	v_or3_b32 v15, v3, v2, v1
	buffer_store_dword v15, off, s[0:3], s32 offset:268 ; 4-byte Folded Spill
	buffer_store_dword v16, off, s[0:3], s32 offset:272 ; 4-byte Folded Spill
.LBB227_64:                             ;   in Loop: Header=BB227_10 Depth=1
	s_or_b32 exec_lo, exec_lo, s24
.LBB227_65:                             ;   in Loop: Header=BB227_10 Depth=1
	s_or_b32 exec_lo, exec_lo, s23
.LBB227_66:                             ;   in Loop: Header=BB227_10 Depth=1
	s_or_b32 exec_lo, exec_lo, s17
	v_cmp_ne_u16_sdwa s6, v0, v16 src0_sel:BYTE_1 src1_sel:DWORD
	s_and_saveexec_b32 s17, s6
	s_cbranch_execz .LBB227_74
; %bb.67:                               ;   in Loop: Header=BB227_10 Depth=1
	v_mov_b32_e32 v1, 0x80
	v_mov_b32_e32 v102, v16
	buffer_store_dword v102, off, s[0:3], s32 offset:276 ; 4-byte Folded Spill
	buffer_store_dword v103, off, s[0:3], s32 offset:280 ; 4-byte Folded Spill
	v_cmp_ne_u16_sdwa s6, v0, v1 src0_sel:BYTE_1 src1_sel:DWORD
	s_and_saveexec_b32 s23, s6
	s_cbranch_execz .LBB227_73
; %bb.68:                               ;   in Loop: Header=BB227_10 Depth=1
	s_clause 0x1
	buffer_load_dword v3, off, s[0:3], s32 offset:192
	buffer_load_dword v4, off, s[0:3], s32 offset:196
	v_mov_b32_e32 v1, 0xffff
	s_mov_b32 s24, exec_lo
	v_and_b32_sdwa v1, v1, v0 dst_sel:DWORD dst_unused:UNUSED_PAD src0_sel:DWORD src1_sel:BYTE_1
	v_and_b32_e32 v2, 0x7f, v1
	s_waitcnt vmcnt(0)
	v_mov_b32_e32 v5, v4
	v_mov_b32_e32 v4, v16
	;; [unrolled: 1-line block ×3, first 2 shown]
	buffer_store_dword v2, off, s[0:3], s32 offset:192 ; 4-byte Folded Spill
	buffer_store_dword v3, off, s[0:3], s32 offset:196 ; 4-byte Folded Spill
	;; [unrolled: 1-line block ×4, first 2 shown]
	v_cmpx_ne_u32_e32 0x7f, v2
	s_cbranch_execz .LBB227_72
; %bb.69:                               ;   in Loop: Header=BB227_10 Depth=1
	v_and_b32_e32 v15, 7, v1
	v_lshrrev_b32_e32 v1, 3, v2
	s_mov_b32 s25, exec_lo
	v_cmpx_gt_u32_e32 8, v2
; %bb.70:                               ;   in Loop: Header=BB227_10 Depth=1
	v_ffbh_u32_e32 v1, v15
	v_min_u32_e32 v1, 32, v1
	v_subrev_nc_u32_e32 v2, 28, v1
	v_sub_nc_u32_e32 v1, 29, v1
	v_lshlrev_b64 v[2:3], v2, v[15:16]
	v_and_b32_e32 v15, 7, v2
; %bb.71:                               ;   in Loop: Header=BB227_10 Depth=1
	s_or_b32 exec_lo, exec_lo, s25
	v_lshlrev_b32_e32 v0, 16, v0
	v_lshlrev_b32_e32 v2, 20, v15
	v_lshl_add_u32 v1, v1, 23, 0x3c000000
	v_and_b32_e32 v0, 0x80000000, v0
	v_or3_b32 v1, v2, v0, v1
	v_mov_b32_e32 v0, v16
	buffer_store_dword v0, off, s[0:3], s32 offset:276 ; 4-byte Folded Spill
	buffer_store_dword v1, off, s[0:3], s32 offset:280 ; 4-byte Folded Spill
.LBB227_72:                             ;   in Loop: Header=BB227_10 Depth=1
	s_or_b32 exec_lo, exec_lo, s24
.LBB227_73:                             ;   in Loop: Header=BB227_10 Depth=1
	s_or_b32 exec_lo, exec_lo, s23
.LBB227_74:                             ;   in Loop: Header=BB227_10 Depth=1
	s_or_b32 exec_lo, exec_lo, s17
	flat_load_ushort v1, v[34:35] offset:256
	s_waitcnt vmcnt(0) lgkmcnt(0)
	v_and_b32_e32 v0, 0xffff, v1
	v_cmp_ne_u16_sdwa s6, v1, v16 src0_sel:BYTE_0 src1_sel:DWORD
	v_mov_b32_e32 v1, 0
	v_mov_b32_e32 v2, 0
	buffer_store_dword v1, off, s[0:3], s32 offset:292 ; 4-byte Folded Spill
	buffer_store_dword v2, off, s[0:3], s32 offset:296 ; 4-byte Folded Spill
	v_mov_b32_e32 v1, 0
	v_mov_b32_e32 v2, 0
	buffer_store_dword v1, off, s[0:3], s32 offset:284 ; 4-byte Folded Spill
	buffer_store_dword v2, off, s[0:3], s32 offset:288 ; 4-byte Folded Spill
	s_and_saveexec_b32 s17, s6
	s_cbranch_execz .LBB227_82
; %bb.75:                               ;   in Loop: Header=BB227_10 Depth=1
	v_bfrev_b32_e32 v1, 1
	v_mov_b32_e32 v2, 0
	buffer_store_dword v1, off, s[0:3], s32 offset:284 ; 4-byte Folded Spill
	buffer_store_dword v2, off, s[0:3], s32 offset:288 ; 4-byte Folded Spill
	v_mov_b32_e32 v1, 0x80
	v_cmp_ne_u16_sdwa s6, v0, v1 src0_sel:BYTE_0 src1_sel:DWORD
	s_and_saveexec_b32 s23, s6
	s_cbranch_execz .LBB227_81
; %bb.76:                               ;   in Loop: Header=BB227_10 Depth=1
	v_mov_b32_e32 v3, 0x7f800001
	v_and_b32_e32 v2, 0x7f, v0
	v_mov_b32_e32 v4, 0
	s_mov_b32 s24, exec_lo
	buffer_store_dword v3, off, s[0:3], s32 offset:284 ; 4-byte Folded Spill
	buffer_store_dword v4, off, s[0:3], s32 offset:288 ; 4-byte Folded Spill
	v_cmpx_ne_u32_e32 0x7f, v2
	s_cbranch_execz .LBB227_80
; %bb.77:                               ;   in Loop: Header=BB227_10 Depth=1
	v_and_b32_e32 v15, 7, v0
	v_lshrrev_b32_e32 v1, 3, v2
	s_mov_b32 s25, exec_lo
	v_cmpx_gt_u32_e32 8, v2
; %bb.78:                               ;   in Loop: Header=BB227_10 Depth=1
	v_ffbh_u32_e32 v1, v15
	v_min_u32_e32 v1, 32, v1
	v_subrev_nc_u32_e32 v2, 28, v1
	v_sub_nc_u32_e32 v1, 29, v1
	v_lshlrev_b64 v[2:3], v2, v[15:16]
	v_and_b32_e32 v15, 7, v2
; %bb.79:                               ;   in Loop: Header=BB227_10 Depth=1
	s_or_b32 exec_lo, exec_lo, s25
	v_lshlrev_b32_e32 v2, 24, v0
	v_lshlrev_b32_e32 v3, 20, v15
	v_lshl_add_u32 v1, v1, 23, 0x3c000000
	v_and_b32_e32 v2, 0x80000000, v2
	v_or3_b32 v15, v3, v2, v1
	buffer_store_dword v15, off, s[0:3], s32 offset:284 ; 4-byte Folded Spill
	buffer_store_dword v16, off, s[0:3], s32 offset:288 ; 4-byte Folded Spill
.LBB227_80:                             ;   in Loop: Header=BB227_10 Depth=1
	s_or_b32 exec_lo, exec_lo, s24
.LBB227_81:                             ;   in Loop: Header=BB227_10 Depth=1
	s_or_b32 exec_lo, exec_lo, s23
.LBB227_82:                             ;   in Loop: Header=BB227_10 Depth=1
	s_or_b32 exec_lo, exec_lo, s17
	v_cmp_ne_u16_sdwa s6, v0, v16 src0_sel:BYTE_1 src1_sel:DWORD
	s_and_saveexec_b32 s17, s6
	s_cbranch_execz .LBB227_90
; %bb.83:                               ;   in Loop: Header=BB227_10 Depth=1
	v_mov_b32_e32 v1, 0x80
	v_mov_b32_e32 v102, v16
	buffer_store_dword v102, off, s[0:3], s32 offset:292 ; 4-byte Folded Spill
	buffer_store_dword v103, off, s[0:3], s32 offset:296 ; 4-byte Folded Spill
	v_cmp_ne_u16_sdwa s6, v0, v1 src0_sel:BYTE_1 src1_sel:DWORD
	s_and_saveexec_b32 s23, s6
	s_cbranch_execz .LBB227_89
; %bb.84:                               ;   in Loop: Header=BB227_10 Depth=1
	s_clause 0x1
	buffer_load_dword v3, off, s[0:3], s32 offset:192
	buffer_load_dword v4, off, s[0:3], s32 offset:196
	v_mov_b32_e32 v1, 0xffff
	s_mov_b32 s24, exec_lo
	v_and_b32_sdwa v1, v1, v0 dst_sel:DWORD dst_unused:UNUSED_PAD src0_sel:DWORD src1_sel:BYTE_1
	v_and_b32_e32 v2, 0x7f, v1
	s_waitcnt vmcnt(0)
	v_mov_b32_e32 v5, v4
	v_mov_b32_e32 v4, v16
	;; [unrolled: 1-line block ×3, first 2 shown]
	buffer_store_dword v2, off, s[0:3], s32 offset:192 ; 4-byte Folded Spill
	buffer_store_dword v3, off, s[0:3], s32 offset:196 ; 4-byte Folded Spill
	;; [unrolled: 1-line block ×4, first 2 shown]
	v_cmpx_ne_u32_e32 0x7f, v2
	s_cbranch_execz .LBB227_88
; %bb.85:                               ;   in Loop: Header=BB227_10 Depth=1
	v_and_b32_e32 v15, 7, v1
	v_lshrrev_b32_e32 v1, 3, v2
	s_mov_b32 s25, exec_lo
	v_cmpx_gt_u32_e32 8, v2
; %bb.86:                               ;   in Loop: Header=BB227_10 Depth=1
	v_ffbh_u32_e32 v1, v15
	v_min_u32_e32 v1, 32, v1
	v_subrev_nc_u32_e32 v2, 28, v1
	v_sub_nc_u32_e32 v1, 29, v1
	v_lshlrev_b64 v[2:3], v2, v[15:16]
	v_and_b32_e32 v15, 7, v2
; %bb.87:                               ;   in Loop: Header=BB227_10 Depth=1
	s_or_b32 exec_lo, exec_lo, s25
	v_lshlrev_b32_e32 v0, 16, v0
	v_lshlrev_b32_e32 v2, 20, v15
	v_lshl_add_u32 v1, v1, 23, 0x3c000000
	v_and_b32_e32 v0, 0x80000000, v0
	v_or3_b32 v1, v2, v0, v1
	v_mov_b32_e32 v0, v16
	buffer_store_dword v0, off, s[0:3], s32 offset:292 ; 4-byte Folded Spill
	buffer_store_dword v1, off, s[0:3], s32 offset:296 ; 4-byte Folded Spill
.LBB227_88:                             ;   in Loop: Header=BB227_10 Depth=1
	s_or_b32 exec_lo, exec_lo, s24
.LBB227_89:                             ;   in Loop: Header=BB227_10 Depth=1
	s_or_b32 exec_lo, exec_lo, s23
.LBB227_90:                             ;   in Loop: Header=BB227_10 Depth=1
	s_or_b32 exec_lo, exec_lo, s17
	flat_load_ushort v1, v[34:35] offset:260
	s_waitcnt vmcnt(0) lgkmcnt(0)
	v_and_b32_e32 v0, 0xffff, v1
	v_cmp_ne_u16_sdwa s6, v1, v16 src0_sel:BYTE_0 src1_sel:DWORD
	v_mov_b32_e32 v1, 0
	v_mov_b32_e32 v2, 0
	buffer_store_dword v1, off, s[0:3], s32 offset:308 ; 4-byte Folded Spill
	buffer_store_dword v2, off, s[0:3], s32 offset:312 ; 4-byte Folded Spill
	v_mov_b32_e32 v1, 0
	v_mov_b32_e32 v2, 0
	buffer_store_dword v1, off, s[0:3], s32 offset:300 ; 4-byte Folded Spill
	buffer_store_dword v2, off, s[0:3], s32 offset:304 ; 4-byte Folded Spill
	s_and_saveexec_b32 s17, s6
	s_cbranch_execz .LBB227_98
; %bb.91:                               ;   in Loop: Header=BB227_10 Depth=1
	v_bfrev_b32_e32 v1, 1
	v_mov_b32_e32 v2, 0
	buffer_store_dword v1, off, s[0:3], s32 offset:300 ; 4-byte Folded Spill
	buffer_store_dword v2, off, s[0:3], s32 offset:304 ; 4-byte Folded Spill
	v_mov_b32_e32 v1, 0x80
	v_cmp_ne_u16_sdwa s6, v0, v1 src0_sel:BYTE_0 src1_sel:DWORD
	s_and_saveexec_b32 s23, s6
	s_cbranch_execz .LBB227_97
; %bb.92:                               ;   in Loop: Header=BB227_10 Depth=1
	v_mov_b32_e32 v3, 0x7f800001
	v_and_b32_e32 v2, 0x7f, v0
	v_mov_b32_e32 v4, 0
	s_mov_b32 s24, exec_lo
	buffer_store_dword v3, off, s[0:3], s32 offset:300 ; 4-byte Folded Spill
	buffer_store_dword v4, off, s[0:3], s32 offset:304 ; 4-byte Folded Spill
	v_cmpx_ne_u32_e32 0x7f, v2
	s_cbranch_execz .LBB227_96
; %bb.93:                               ;   in Loop: Header=BB227_10 Depth=1
	v_and_b32_e32 v15, 7, v0
	v_lshrrev_b32_e32 v1, 3, v2
	s_mov_b32 s25, exec_lo
	v_cmpx_gt_u32_e32 8, v2
; %bb.94:                               ;   in Loop: Header=BB227_10 Depth=1
	v_ffbh_u32_e32 v1, v15
	v_min_u32_e32 v1, 32, v1
	v_subrev_nc_u32_e32 v2, 28, v1
	v_sub_nc_u32_e32 v1, 29, v1
	v_lshlrev_b64 v[2:3], v2, v[15:16]
	v_and_b32_e32 v15, 7, v2
; %bb.95:                               ;   in Loop: Header=BB227_10 Depth=1
	s_or_b32 exec_lo, exec_lo, s25
	v_lshlrev_b32_e32 v2, 24, v0
	v_lshlrev_b32_e32 v3, 20, v15
	v_lshl_add_u32 v1, v1, 23, 0x3c000000
	v_and_b32_e32 v2, 0x80000000, v2
	v_or3_b32 v15, v3, v2, v1
	buffer_store_dword v15, off, s[0:3], s32 offset:300 ; 4-byte Folded Spill
	buffer_store_dword v16, off, s[0:3], s32 offset:304 ; 4-byte Folded Spill
.LBB227_96:                             ;   in Loop: Header=BB227_10 Depth=1
	s_or_b32 exec_lo, exec_lo, s24
.LBB227_97:                             ;   in Loop: Header=BB227_10 Depth=1
	s_or_b32 exec_lo, exec_lo, s23
.LBB227_98:                             ;   in Loop: Header=BB227_10 Depth=1
	s_or_b32 exec_lo, exec_lo, s17
	v_cmp_ne_u16_sdwa s6, v0, v16 src0_sel:BYTE_1 src1_sel:DWORD
	s_and_saveexec_b32 s17, s6
	s_cbranch_execz .LBB227_106
; %bb.99:                               ;   in Loop: Header=BB227_10 Depth=1
	v_mov_b32_e32 v1, 0x80
	v_mov_b32_e32 v102, v16
	buffer_store_dword v102, off, s[0:3], s32 offset:308 ; 4-byte Folded Spill
	buffer_store_dword v103, off, s[0:3], s32 offset:312 ; 4-byte Folded Spill
	v_cmp_ne_u16_sdwa s6, v0, v1 src0_sel:BYTE_1 src1_sel:DWORD
	s_and_saveexec_b32 s23, s6
	s_cbranch_execz .LBB227_105
; %bb.100:                              ;   in Loop: Header=BB227_10 Depth=1
	s_clause 0x1
	buffer_load_dword v3, off, s[0:3], s32 offset:192
	buffer_load_dword v4, off, s[0:3], s32 offset:196
	v_mov_b32_e32 v1, 0xffff
	s_mov_b32 s24, exec_lo
	v_and_b32_sdwa v1, v1, v0 dst_sel:DWORD dst_unused:UNUSED_PAD src0_sel:DWORD src1_sel:BYTE_1
	v_and_b32_e32 v2, 0x7f, v1
	s_waitcnt vmcnt(0)
	v_mov_b32_e32 v5, v4
	v_mov_b32_e32 v4, v16
	;; [unrolled: 1-line block ×3, first 2 shown]
	buffer_store_dword v2, off, s[0:3], s32 offset:192 ; 4-byte Folded Spill
	buffer_store_dword v3, off, s[0:3], s32 offset:196 ; 4-byte Folded Spill
	;; [unrolled: 1-line block ×4, first 2 shown]
	v_cmpx_ne_u32_e32 0x7f, v2
	s_cbranch_execz .LBB227_104
; %bb.101:                              ;   in Loop: Header=BB227_10 Depth=1
	v_and_b32_e32 v15, 7, v1
	v_lshrrev_b32_e32 v1, 3, v2
	s_mov_b32 s25, exec_lo
	v_cmpx_gt_u32_e32 8, v2
; %bb.102:                              ;   in Loop: Header=BB227_10 Depth=1
	v_ffbh_u32_e32 v1, v15
	v_min_u32_e32 v1, 32, v1
	v_subrev_nc_u32_e32 v2, 28, v1
	v_sub_nc_u32_e32 v1, 29, v1
	v_lshlrev_b64 v[2:3], v2, v[15:16]
	v_and_b32_e32 v15, 7, v2
; %bb.103:                              ;   in Loop: Header=BB227_10 Depth=1
	s_or_b32 exec_lo, exec_lo, s25
	v_lshlrev_b32_e32 v0, 16, v0
	v_lshlrev_b32_e32 v2, 20, v15
	v_lshl_add_u32 v1, v1, 23, 0x3c000000
	v_and_b32_e32 v0, 0x80000000, v0
	v_or3_b32 v1, v2, v0, v1
	v_mov_b32_e32 v0, v16
	buffer_store_dword v0, off, s[0:3], s32 offset:308 ; 4-byte Folded Spill
	buffer_store_dword v1, off, s[0:3], s32 offset:312 ; 4-byte Folded Spill
.LBB227_104:                            ;   in Loop: Header=BB227_10 Depth=1
	s_or_b32 exec_lo, exec_lo, s24
.LBB227_105:                            ;   in Loop: Header=BB227_10 Depth=1
	s_or_b32 exec_lo, exec_lo, s23
.LBB227_106:                            ;   in Loop: Header=BB227_10 Depth=1
	s_or_b32 exec_lo, exec_lo, s17
	flat_load_ushort v1, v[34:35] offset:264
	s_waitcnt vmcnt(0) lgkmcnt(0)
	v_and_b32_e32 v0, 0xffff, v1
	v_cmp_ne_u16_sdwa s6, v1, v16 src0_sel:BYTE_0 src1_sel:DWORD
	v_mov_b32_e32 v1, 0
	v_mov_b32_e32 v2, 0
	buffer_store_dword v1, off, s[0:3], s32 offset:324 ; 4-byte Folded Spill
	buffer_store_dword v2, off, s[0:3], s32 offset:328 ; 4-byte Folded Spill
	v_mov_b32_e32 v1, 0
	v_mov_b32_e32 v2, 0
	buffer_store_dword v1, off, s[0:3], s32 offset:316 ; 4-byte Folded Spill
	buffer_store_dword v2, off, s[0:3], s32 offset:320 ; 4-byte Folded Spill
	s_and_saveexec_b32 s17, s6
	s_cbranch_execz .LBB227_114
; %bb.107:                              ;   in Loop: Header=BB227_10 Depth=1
	v_bfrev_b32_e32 v1, 1
	v_mov_b32_e32 v2, 0
	buffer_store_dword v1, off, s[0:3], s32 offset:316 ; 4-byte Folded Spill
	buffer_store_dword v2, off, s[0:3], s32 offset:320 ; 4-byte Folded Spill
	v_mov_b32_e32 v1, 0x80
	v_cmp_ne_u16_sdwa s6, v0, v1 src0_sel:BYTE_0 src1_sel:DWORD
	s_and_saveexec_b32 s23, s6
	s_cbranch_execz .LBB227_113
; %bb.108:                              ;   in Loop: Header=BB227_10 Depth=1
	v_mov_b32_e32 v3, 0x7f800001
	v_and_b32_e32 v2, 0x7f, v0
	v_mov_b32_e32 v4, 0
	s_mov_b32 s24, exec_lo
	buffer_store_dword v3, off, s[0:3], s32 offset:316 ; 4-byte Folded Spill
	buffer_store_dword v4, off, s[0:3], s32 offset:320 ; 4-byte Folded Spill
	v_cmpx_ne_u32_e32 0x7f, v2
	s_cbranch_execz .LBB227_112
; %bb.109:                              ;   in Loop: Header=BB227_10 Depth=1
	v_and_b32_e32 v15, 7, v0
	v_lshrrev_b32_e32 v1, 3, v2
	s_mov_b32 s25, exec_lo
	v_cmpx_gt_u32_e32 8, v2
; %bb.110:                              ;   in Loop: Header=BB227_10 Depth=1
	v_ffbh_u32_e32 v1, v15
	v_min_u32_e32 v1, 32, v1
	v_subrev_nc_u32_e32 v2, 28, v1
	v_sub_nc_u32_e32 v1, 29, v1
	v_lshlrev_b64 v[2:3], v2, v[15:16]
	v_and_b32_e32 v15, 7, v2
; %bb.111:                              ;   in Loop: Header=BB227_10 Depth=1
	s_or_b32 exec_lo, exec_lo, s25
	v_lshlrev_b32_e32 v2, 24, v0
	v_lshlrev_b32_e32 v3, 20, v15
	v_lshl_add_u32 v1, v1, 23, 0x3c000000
	v_and_b32_e32 v2, 0x80000000, v2
	v_or3_b32 v15, v3, v2, v1
	buffer_store_dword v15, off, s[0:3], s32 offset:316 ; 4-byte Folded Spill
	buffer_store_dword v16, off, s[0:3], s32 offset:320 ; 4-byte Folded Spill
.LBB227_112:                            ;   in Loop: Header=BB227_10 Depth=1
	s_or_b32 exec_lo, exec_lo, s24
.LBB227_113:                            ;   in Loop: Header=BB227_10 Depth=1
	s_or_b32 exec_lo, exec_lo, s23
.LBB227_114:                            ;   in Loop: Header=BB227_10 Depth=1
	s_or_b32 exec_lo, exec_lo, s17
	v_cmp_ne_u16_sdwa s6, v0, v16 src0_sel:BYTE_1 src1_sel:DWORD
	s_and_saveexec_b32 s17, s6
	s_cbranch_execz .LBB227_122
; %bb.115:                              ;   in Loop: Header=BB227_10 Depth=1
	v_mov_b32_e32 v1, 0x80
	v_mov_b32_e32 v102, v16
	buffer_store_dword v102, off, s[0:3], s32 offset:324 ; 4-byte Folded Spill
	buffer_store_dword v103, off, s[0:3], s32 offset:328 ; 4-byte Folded Spill
	v_cmp_ne_u16_sdwa s6, v0, v1 src0_sel:BYTE_1 src1_sel:DWORD
	s_and_saveexec_b32 s23, s6
	s_cbranch_execz .LBB227_121
; %bb.116:                              ;   in Loop: Header=BB227_10 Depth=1
	s_clause 0x1
	buffer_load_dword v3, off, s[0:3], s32 offset:192
	buffer_load_dword v4, off, s[0:3], s32 offset:196
	v_mov_b32_e32 v1, 0xffff
	s_mov_b32 s24, exec_lo
	v_and_b32_sdwa v1, v1, v0 dst_sel:DWORD dst_unused:UNUSED_PAD src0_sel:DWORD src1_sel:BYTE_1
	v_and_b32_e32 v2, 0x7f, v1
	s_waitcnt vmcnt(0)
	v_mov_b32_e32 v5, v4
	v_mov_b32_e32 v4, v16
	v_mov_b32_e32 v3, v5
	buffer_store_dword v2, off, s[0:3], s32 offset:192 ; 4-byte Folded Spill
	buffer_store_dword v3, off, s[0:3], s32 offset:196 ; 4-byte Folded Spill
	;; [unrolled: 1-line block ×4, first 2 shown]
	v_cmpx_ne_u32_e32 0x7f, v2
	s_cbranch_execz .LBB227_120
; %bb.117:                              ;   in Loop: Header=BB227_10 Depth=1
	v_and_b32_e32 v15, 7, v1
	v_lshrrev_b32_e32 v1, 3, v2
	s_mov_b32 s25, exec_lo
	v_cmpx_gt_u32_e32 8, v2
; %bb.118:                              ;   in Loop: Header=BB227_10 Depth=1
	v_ffbh_u32_e32 v1, v15
	v_min_u32_e32 v1, 32, v1
	v_subrev_nc_u32_e32 v2, 28, v1
	v_sub_nc_u32_e32 v1, 29, v1
	v_lshlrev_b64 v[2:3], v2, v[15:16]
	v_and_b32_e32 v15, 7, v2
; %bb.119:                              ;   in Loop: Header=BB227_10 Depth=1
	s_or_b32 exec_lo, exec_lo, s25
	v_lshlrev_b32_e32 v0, 16, v0
	v_lshlrev_b32_e32 v2, 20, v15
	v_lshl_add_u32 v1, v1, 23, 0x3c000000
	v_and_b32_e32 v0, 0x80000000, v0
	v_or3_b32 v1, v2, v0, v1
	v_mov_b32_e32 v0, v16
	buffer_store_dword v0, off, s[0:3], s32 offset:324 ; 4-byte Folded Spill
	buffer_store_dword v1, off, s[0:3], s32 offset:328 ; 4-byte Folded Spill
.LBB227_120:                            ;   in Loop: Header=BB227_10 Depth=1
	s_or_b32 exec_lo, exec_lo, s24
.LBB227_121:                            ;   in Loop: Header=BB227_10 Depth=1
	s_or_b32 exec_lo, exec_lo, s23
.LBB227_122:                            ;   in Loop: Header=BB227_10 Depth=1
	s_or_b32 exec_lo, exec_lo, s17
	flat_load_ushort v1, v[34:35] offset:268
	s_waitcnt vmcnt(0) lgkmcnt(0)
	v_and_b32_e32 v0, 0xffff, v1
	v_cmp_ne_u16_sdwa s6, v1, v16 src0_sel:BYTE_0 src1_sel:DWORD
	v_mov_b32_e32 v1, 0
	v_mov_b32_e32 v2, 0
	buffer_store_dword v1, off, s[0:3], s32 offset:340 ; 4-byte Folded Spill
	buffer_store_dword v2, off, s[0:3], s32 offset:344 ; 4-byte Folded Spill
	v_mov_b32_e32 v1, 0
	v_mov_b32_e32 v2, 0
	buffer_store_dword v1, off, s[0:3], s32 offset:332 ; 4-byte Folded Spill
	buffer_store_dword v2, off, s[0:3], s32 offset:336 ; 4-byte Folded Spill
	s_and_saveexec_b32 s17, s6
	s_cbranch_execz .LBB227_130
; %bb.123:                              ;   in Loop: Header=BB227_10 Depth=1
	v_bfrev_b32_e32 v1, 1
	v_mov_b32_e32 v2, 0
	buffer_store_dword v1, off, s[0:3], s32 offset:332 ; 4-byte Folded Spill
	buffer_store_dword v2, off, s[0:3], s32 offset:336 ; 4-byte Folded Spill
	v_mov_b32_e32 v1, 0x80
	v_cmp_ne_u16_sdwa s6, v0, v1 src0_sel:BYTE_0 src1_sel:DWORD
	s_and_saveexec_b32 s23, s6
	s_cbranch_execz .LBB227_129
; %bb.124:                              ;   in Loop: Header=BB227_10 Depth=1
	v_mov_b32_e32 v3, 0x7f800001
	v_and_b32_e32 v2, 0x7f, v0
	v_mov_b32_e32 v4, 0
	s_mov_b32 s24, exec_lo
	buffer_store_dword v3, off, s[0:3], s32 offset:332 ; 4-byte Folded Spill
	buffer_store_dword v4, off, s[0:3], s32 offset:336 ; 4-byte Folded Spill
	v_cmpx_ne_u32_e32 0x7f, v2
	s_cbranch_execz .LBB227_128
; %bb.125:                              ;   in Loop: Header=BB227_10 Depth=1
	v_and_b32_e32 v15, 7, v0
	v_lshrrev_b32_e32 v1, 3, v2
	s_mov_b32 s25, exec_lo
	v_cmpx_gt_u32_e32 8, v2
; %bb.126:                              ;   in Loop: Header=BB227_10 Depth=1
	v_ffbh_u32_e32 v1, v15
	v_min_u32_e32 v1, 32, v1
	v_subrev_nc_u32_e32 v2, 28, v1
	v_sub_nc_u32_e32 v1, 29, v1
	v_lshlrev_b64 v[2:3], v2, v[15:16]
	v_and_b32_e32 v15, 7, v2
; %bb.127:                              ;   in Loop: Header=BB227_10 Depth=1
	s_or_b32 exec_lo, exec_lo, s25
	v_lshlrev_b32_e32 v2, 24, v0
	v_lshlrev_b32_e32 v3, 20, v15
	v_lshl_add_u32 v1, v1, 23, 0x3c000000
	v_and_b32_e32 v2, 0x80000000, v2
	v_or3_b32 v15, v3, v2, v1
	buffer_store_dword v15, off, s[0:3], s32 offset:332 ; 4-byte Folded Spill
	buffer_store_dword v16, off, s[0:3], s32 offset:336 ; 4-byte Folded Spill
.LBB227_128:                            ;   in Loop: Header=BB227_10 Depth=1
	s_or_b32 exec_lo, exec_lo, s24
.LBB227_129:                            ;   in Loop: Header=BB227_10 Depth=1
	s_or_b32 exec_lo, exec_lo, s23
.LBB227_130:                            ;   in Loop: Header=BB227_10 Depth=1
	s_or_b32 exec_lo, exec_lo, s17
	v_cmp_ne_u16_sdwa s6, v0, v16 src0_sel:BYTE_1 src1_sel:DWORD
	s_and_saveexec_b32 s17, s6
	s_cbranch_execz .LBB227_138
; %bb.131:                              ;   in Loop: Header=BB227_10 Depth=1
	v_mov_b32_e32 v1, 0x80
	v_mov_b32_e32 v102, v16
	buffer_store_dword v102, off, s[0:3], s32 offset:340 ; 4-byte Folded Spill
	buffer_store_dword v103, off, s[0:3], s32 offset:344 ; 4-byte Folded Spill
	v_cmp_ne_u16_sdwa s6, v0, v1 src0_sel:BYTE_1 src1_sel:DWORD
	s_and_saveexec_b32 s23, s6
	s_cbranch_execz .LBB227_137
; %bb.132:                              ;   in Loop: Header=BB227_10 Depth=1
	s_clause 0x1
	buffer_load_dword v3, off, s[0:3], s32 offset:192
	buffer_load_dword v4, off, s[0:3], s32 offset:196
	v_mov_b32_e32 v1, 0xffff
	s_mov_b32 s24, exec_lo
	v_and_b32_sdwa v1, v1, v0 dst_sel:DWORD dst_unused:UNUSED_PAD src0_sel:DWORD src1_sel:BYTE_1
	v_and_b32_e32 v2, 0x7f, v1
	s_waitcnt vmcnt(0)
	v_mov_b32_e32 v5, v4
	v_mov_b32_e32 v4, v16
	;; [unrolled: 1-line block ×3, first 2 shown]
	buffer_store_dword v2, off, s[0:3], s32 offset:192 ; 4-byte Folded Spill
	buffer_store_dword v3, off, s[0:3], s32 offset:196 ; 4-byte Folded Spill
	;; [unrolled: 1-line block ×4, first 2 shown]
	v_cmpx_ne_u32_e32 0x7f, v2
	s_cbranch_execz .LBB227_136
; %bb.133:                              ;   in Loop: Header=BB227_10 Depth=1
	v_and_b32_e32 v15, 7, v1
	v_lshrrev_b32_e32 v1, 3, v2
	s_mov_b32 s25, exec_lo
	v_cmpx_gt_u32_e32 8, v2
; %bb.134:                              ;   in Loop: Header=BB227_10 Depth=1
	v_ffbh_u32_e32 v1, v15
	v_min_u32_e32 v1, 32, v1
	v_subrev_nc_u32_e32 v2, 28, v1
	v_sub_nc_u32_e32 v1, 29, v1
	v_lshlrev_b64 v[2:3], v2, v[15:16]
	v_and_b32_e32 v15, 7, v2
; %bb.135:                              ;   in Loop: Header=BB227_10 Depth=1
	s_or_b32 exec_lo, exec_lo, s25
	v_lshlrev_b32_e32 v0, 16, v0
	v_lshlrev_b32_e32 v2, 20, v15
	v_lshl_add_u32 v1, v1, 23, 0x3c000000
	v_and_b32_e32 v0, 0x80000000, v0
	v_or3_b32 v1, v2, v0, v1
	v_mov_b32_e32 v0, v16
	buffer_store_dword v0, off, s[0:3], s32 offset:340 ; 4-byte Folded Spill
	buffer_store_dword v1, off, s[0:3], s32 offset:344 ; 4-byte Folded Spill
.LBB227_136:                            ;   in Loop: Header=BB227_10 Depth=1
	s_or_b32 exec_lo, exec_lo, s24
.LBB227_137:                            ;   in Loop: Header=BB227_10 Depth=1
	s_or_b32 exec_lo, exec_lo, s23
.LBB227_138:                            ;   in Loop: Header=BB227_10 Depth=1
	s_or_b32 exec_lo, exec_lo, s17
	flat_load_ushort v1, v[34:35] offset:512
	s_waitcnt vmcnt(0) lgkmcnt(0)
	v_and_b32_e32 v0, 0xffff, v1
	v_cmp_ne_u16_sdwa s6, v1, v16 src0_sel:BYTE_0 src1_sel:DWORD
	v_mov_b32_e32 v1, 0
	v_mov_b32_e32 v2, 0
	buffer_store_dword v1, off, s[0:3], s32 offset:356 ; 4-byte Folded Spill
	buffer_store_dword v2, off, s[0:3], s32 offset:360 ; 4-byte Folded Spill
	v_mov_b32_e32 v1, 0
	v_mov_b32_e32 v2, 0
	buffer_store_dword v1, off, s[0:3], s32 offset:348 ; 4-byte Folded Spill
	buffer_store_dword v2, off, s[0:3], s32 offset:352 ; 4-byte Folded Spill
	s_and_saveexec_b32 s17, s6
	s_cbranch_execz .LBB227_146
; %bb.139:                              ;   in Loop: Header=BB227_10 Depth=1
	v_bfrev_b32_e32 v1, 1
	v_mov_b32_e32 v2, 0
	buffer_store_dword v1, off, s[0:3], s32 offset:348 ; 4-byte Folded Spill
	buffer_store_dword v2, off, s[0:3], s32 offset:352 ; 4-byte Folded Spill
	v_mov_b32_e32 v1, 0x80
	v_cmp_ne_u16_sdwa s6, v0, v1 src0_sel:BYTE_0 src1_sel:DWORD
	s_and_saveexec_b32 s23, s6
	s_cbranch_execz .LBB227_145
; %bb.140:                              ;   in Loop: Header=BB227_10 Depth=1
	v_mov_b32_e32 v3, 0x7f800001
	v_and_b32_e32 v2, 0x7f, v0
	v_mov_b32_e32 v4, 0
	s_mov_b32 s24, exec_lo
	buffer_store_dword v3, off, s[0:3], s32 offset:348 ; 4-byte Folded Spill
	buffer_store_dword v4, off, s[0:3], s32 offset:352 ; 4-byte Folded Spill
	v_cmpx_ne_u32_e32 0x7f, v2
	s_cbranch_execz .LBB227_144
; %bb.141:                              ;   in Loop: Header=BB227_10 Depth=1
	v_and_b32_e32 v15, 7, v0
	v_lshrrev_b32_e32 v1, 3, v2
	s_mov_b32 s25, exec_lo
	v_cmpx_gt_u32_e32 8, v2
; %bb.142:                              ;   in Loop: Header=BB227_10 Depth=1
	v_ffbh_u32_e32 v1, v15
	v_min_u32_e32 v1, 32, v1
	v_subrev_nc_u32_e32 v2, 28, v1
	v_sub_nc_u32_e32 v1, 29, v1
	v_lshlrev_b64 v[2:3], v2, v[15:16]
	v_and_b32_e32 v15, 7, v2
; %bb.143:                              ;   in Loop: Header=BB227_10 Depth=1
	s_or_b32 exec_lo, exec_lo, s25
	v_lshlrev_b32_e32 v2, 24, v0
	v_lshlrev_b32_e32 v3, 20, v15
	v_lshl_add_u32 v1, v1, 23, 0x3c000000
	v_and_b32_e32 v2, 0x80000000, v2
	v_or3_b32 v15, v3, v2, v1
	buffer_store_dword v15, off, s[0:3], s32 offset:348 ; 4-byte Folded Spill
	buffer_store_dword v16, off, s[0:3], s32 offset:352 ; 4-byte Folded Spill
.LBB227_144:                            ;   in Loop: Header=BB227_10 Depth=1
	s_or_b32 exec_lo, exec_lo, s24
.LBB227_145:                            ;   in Loop: Header=BB227_10 Depth=1
	s_or_b32 exec_lo, exec_lo, s23
.LBB227_146:                            ;   in Loop: Header=BB227_10 Depth=1
	s_or_b32 exec_lo, exec_lo, s17
	v_cmp_ne_u16_sdwa s6, v0, v16 src0_sel:BYTE_1 src1_sel:DWORD
	s_and_saveexec_b32 s17, s6
	s_cbranch_execz .LBB227_154
; %bb.147:                              ;   in Loop: Header=BB227_10 Depth=1
	v_mov_b32_e32 v1, 0x80
	v_mov_b32_e32 v102, v16
	buffer_store_dword v102, off, s[0:3], s32 offset:356 ; 4-byte Folded Spill
	buffer_store_dword v103, off, s[0:3], s32 offset:360 ; 4-byte Folded Spill
	v_cmp_ne_u16_sdwa s6, v0, v1 src0_sel:BYTE_1 src1_sel:DWORD
	s_and_saveexec_b32 s23, s6
	s_cbranch_execz .LBB227_153
; %bb.148:                              ;   in Loop: Header=BB227_10 Depth=1
	s_clause 0x1
	buffer_load_dword v3, off, s[0:3], s32 offset:192
	buffer_load_dword v4, off, s[0:3], s32 offset:196
	v_mov_b32_e32 v1, 0xffff
	s_mov_b32 s24, exec_lo
	v_and_b32_sdwa v1, v1, v0 dst_sel:DWORD dst_unused:UNUSED_PAD src0_sel:DWORD src1_sel:BYTE_1
	v_and_b32_e32 v2, 0x7f, v1
	s_waitcnt vmcnt(0)
	v_mov_b32_e32 v5, v4
	v_mov_b32_e32 v4, v16
	;; [unrolled: 1-line block ×3, first 2 shown]
	buffer_store_dword v2, off, s[0:3], s32 offset:192 ; 4-byte Folded Spill
	buffer_store_dword v3, off, s[0:3], s32 offset:196 ; 4-byte Folded Spill
	buffer_store_dword v4, off, s[0:3], s32 offset:356 ; 4-byte Folded Spill
	buffer_store_dword v5, off, s[0:3], s32 offset:360 ; 4-byte Folded Spill
	v_cmpx_ne_u32_e32 0x7f, v2
	s_cbranch_execz .LBB227_152
; %bb.149:                              ;   in Loop: Header=BB227_10 Depth=1
	v_and_b32_e32 v15, 7, v1
	v_lshrrev_b32_e32 v1, 3, v2
	s_mov_b32 s25, exec_lo
	v_cmpx_gt_u32_e32 8, v2
; %bb.150:                              ;   in Loop: Header=BB227_10 Depth=1
	v_ffbh_u32_e32 v1, v15
	v_min_u32_e32 v1, 32, v1
	v_subrev_nc_u32_e32 v2, 28, v1
	v_sub_nc_u32_e32 v1, 29, v1
	v_lshlrev_b64 v[2:3], v2, v[15:16]
	v_and_b32_e32 v15, 7, v2
; %bb.151:                              ;   in Loop: Header=BB227_10 Depth=1
	s_or_b32 exec_lo, exec_lo, s25
	v_lshlrev_b32_e32 v0, 16, v0
	v_lshlrev_b32_e32 v2, 20, v15
	v_lshl_add_u32 v1, v1, 23, 0x3c000000
	v_and_b32_e32 v0, 0x80000000, v0
	v_or3_b32 v1, v2, v0, v1
	v_mov_b32_e32 v0, v16
	buffer_store_dword v0, off, s[0:3], s32 offset:356 ; 4-byte Folded Spill
	buffer_store_dword v1, off, s[0:3], s32 offset:360 ; 4-byte Folded Spill
.LBB227_152:                            ;   in Loop: Header=BB227_10 Depth=1
	s_or_b32 exec_lo, exec_lo, s24
.LBB227_153:                            ;   in Loop: Header=BB227_10 Depth=1
	s_or_b32 exec_lo, exec_lo, s23
.LBB227_154:                            ;   in Loop: Header=BB227_10 Depth=1
	s_or_b32 exec_lo, exec_lo, s17
	flat_load_ushort v1, v[34:35] offset:516
	s_waitcnt vmcnt(0) lgkmcnt(0)
	v_and_b32_e32 v0, 0xffff, v1
	v_cmp_ne_u16_sdwa s6, v1, v16 src0_sel:BYTE_0 src1_sel:DWORD
	v_mov_b32_e32 v1, 0
	v_mov_b32_e32 v2, 0
	buffer_store_dword v1, off, s[0:3], s32 offset:372 ; 4-byte Folded Spill
	buffer_store_dword v2, off, s[0:3], s32 offset:376 ; 4-byte Folded Spill
	v_mov_b32_e32 v1, 0
	v_mov_b32_e32 v2, 0
	buffer_store_dword v1, off, s[0:3], s32 offset:364 ; 4-byte Folded Spill
	buffer_store_dword v2, off, s[0:3], s32 offset:368 ; 4-byte Folded Spill
	s_and_saveexec_b32 s17, s6
	s_cbranch_execz .LBB227_162
; %bb.155:                              ;   in Loop: Header=BB227_10 Depth=1
	v_bfrev_b32_e32 v1, 1
	v_mov_b32_e32 v2, 0
	buffer_store_dword v1, off, s[0:3], s32 offset:364 ; 4-byte Folded Spill
	buffer_store_dword v2, off, s[0:3], s32 offset:368 ; 4-byte Folded Spill
	v_mov_b32_e32 v1, 0x80
	v_cmp_ne_u16_sdwa s6, v0, v1 src0_sel:BYTE_0 src1_sel:DWORD
	s_and_saveexec_b32 s23, s6
	s_cbranch_execz .LBB227_161
; %bb.156:                              ;   in Loop: Header=BB227_10 Depth=1
	v_mov_b32_e32 v3, 0x7f800001
	v_and_b32_e32 v2, 0x7f, v0
	v_mov_b32_e32 v4, 0
	s_mov_b32 s24, exec_lo
	buffer_store_dword v3, off, s[0:3], s32 offset:364 ; 4-byte Folded Spill
	buffer_store_dword v4, off, s[0:3], s32 offset:368 ; 4-byte Folded Spill
	v_cmpx_ne_u32_e32 0x7f, v2
	s_cbranch_execz .LBB227_160
; %bb.157:                              ;   in Loop: Header=BB227_10 Depth=1
	v_and_b32_e32 v15, 7, v0
	v_lshrrev_b32_e32 v1, 3, v2
	s_mov_b32 s25, exec_lo
	v_cmpx_gt_u32_e32 8, v2
; %bb.158:                              ;   in Loop: Header=BB227_10 Depth=1
	v_ffbh_u32_e32 v1, v15
	v_min_u32_e32 v1, 32, v1
	v_subrev_nc_u32_e32 v2, 28, v1
	v_sub_nc_u32_e32 v1, 29, v1
	v_lshlrev_b64 v[2:3], v2, v[15:16]
	v_and_b32_e32 v15, 7, v2
; %bb.159:                              ;   in Loop: Header=BB227_10 Depth=1
	s_or_b32 exec_lo, exec_lo, s25
	v_lshlrev_b32_e32 v2, 24, v0
	v_lshlrev_b32_e32 v3, 20, v15
	v_lshl_add_u32 v1, v1, 23, 0x3c000000
	v_and_b32_e32 v2, 0x80000000, v2
	v_or3_b32 v15, v3, v2, v1
	buffer_store_dword v15, off, s[0:3], s32 offset:364 ; 4-byte Folded Spill
	buffer_store_dword v16, off, s[0:3], s32 offset:368 ; 4-byte Folded Spill
.LBB227_160:                            ;   in Loop: Header=BB227_10 Depth=1
	s_or_b32 exec_lo, exec_lo, s24
.LBB227_161:                            ;   in Loop: Header=BB227_10 Depth=1
	s_or_b32 exec_lo, exec_lo, s23
.LBB227_162:                            ;   in Loop: Header=BB227_10 Depth=1
	s_or_b32 exec_lo, exec_lo, s17
	v_cmp_ne_u16_sdwa s6, v0, v16 src0_sel:BYTE_1 src1_sel:DWORD
	s_and_saveexec_b32 s17, s6
	s_cbranch_execz .LBB227_170
; %bb.163:                              ;   in Loop: Header=BB227_10 Depth=1
	v_mov_b32_e32 v1, 0x80
	v_mov_b32_e32 v102, v16
	buffer_store_dword v102, off, s[0:3], s32 offset:372 ; 4-byte Folded Spill
	buffer_store_dword v103, off, s[0:3], s32 offset:376 ; 4-byte Folded Spill
	v_cmp_ne_u16_sdwa s6, v0, v1 src0_sel:BYTE_1 src1_sel:DWORD
	s_and_saveexec_b32 s23, s6
	s_cbranch_execz .LBB227_169
; %bb.164:                              ;   in Loop: Header=BB227_10 Depth=1
	s_clause 0x1
	buffer_load_dword v3, off, s[0:3], s32 offset:192
	buffer_load_dword v4, off, s[0:3], s32 offset:196
	v_mov_b32_e32 v1, 0xffff
	s_mov_b32 s24, exec_lo
	v_and_b32_sdwa v1, v1, v0 dst_sel:DWORD dst_unused:UNUSED_PAD src0_sel:DWORD src1_sel:BYTE_1
	v_and_b32_e32 v2, 0x7f, v1
	s_waitcnt vmcnt(0)
	v_mov_b32_e32 v5, v4
	v_mov_b32_e32 v4, v16
	;; [unrolled: 1-line block ×3, first 2 shown]
	buffer_store_dword v2, off, s[0:3], s32 offset:192 ; 4-byte Folded Spill
	buffer_store_dword v3, off, s[0:3], s32 offset:196 ; 4-byte Folded Spill
	;; [unrolled: 1-line block ×4, first 2 shown]
	v_cmpx_ne_u32_e32 0x7f, v2
	s_cbranch_execz .LBB227_168
; %bb.165:                              ;   in Loop: Header=BB227_10 Depth=1
	v_and_b32_e32 v15, 7, v1
	v_lshrrev_b32_e32 v1, 3, v2
	s_mov_b32 s25, exec_lo
	v_cmpx_gt_u32_e32 8, v2
; %bb.166:                              ;   in Loop: Header=BB227_10 Depth=1
	v_ffbh_u32_e32 v1, v15
	v_min_u32_e32 v1, 32, v1
	v_subrev_nc_u32_e32 v2, 28, v1
	v_sub_nc_u32_e32 v1, 29, v1
	v_lshlrev_b64 v[2:3], v2, v[15:16]
	v_and_b32_e32 v15, 7, v2
; %bb.167:                              ;   in Loop: Header=BB227_10 Depth=1
	s_or_b32 exec_lo, exec_lo, s25
	v_lshlrev_b32_e32 v0, 16, v0
	v_lshlrev_b32_e32 v2, 20, v15
	v_lshl_add_u32 v1, v1, 23, 0x3c000000
	v_and_b32_e32 v0, 0x80000000, v0
	v_or3_b32 v1, v2, v0, v1
	v_mov_b32_e32 v0, v16
	buffer_store_dword v0, off, s[0:3], s32 offset:372 ; 4-byte Folded Spill
	buffer_store_dword v1, off, s[0:3], s32 offset:376 ; 4-byte Folded Spill
.LBB227_168:                            ;   in Loop: Header=BB227_10 Depth=1
	s_or_b32 exec_lo, exec_lo, s24
.LBB227_169:                            ;   in Loop: Header=BB227_10 Depth=1
	s_or_b32 exec_lo, exec_lo, s23
.LBB227_170:                            ;   in Loop: Header=BB227_10 Depth=1
	s_or_b32 exec_lo, exec_lo, s17
	flat_load_ushort v1, v[34:35] offset:520
	s_waitcnt vmcnt(0) lgkmcnt(0)
	v_and_b32_e32 v0, 0xffff, v1
	v_cmp_ne_u16_sdwa s6, v1, v16 src0_sel:BYTE_0 src1_sel:DWORD
	v_mov_b32_e32 v1, 0
	v_mov_b32_e32 v2, 0
	buffer_store_dword v1, off, s[0:3], s32 offset:388 ; 4-byte Folded Spill
	buffer_store_dword v2, off, s[0:3], s32 offset:392 ; 4-byte Folded Spill
	v_mov_b32_e32 v1, 0
	v_mov_b32_e32 v2, 0
	buffer_store_dword v1, off, s[0:3], s32 offset:380 ; 4-byte Folded Spill
	buffer_store_dword v2, off, s[0:3], s32 offset:384 ; 4-byte Folded Spill
	s_and_saveexec_b32 s17, s6
	s_cbranch_execz .LBB227_178
; %bb.171:                              ;   in Loop: Header=BB227_10 Depth=1
	v_bfrev_b32_e32 v1, 1
	v_mov_b32_e32 v2, 0
	buffer_store_dword v1, off, s[0:3], s32 offset:380 ; 4-byte Folded Spill
	buffer_store_dword v2, off, s[0:3], s32 offset:384 ; 4-byte Folded Spill
	v_mov_b32_e32 v1, 0x80
	v_cmp_ne_u16_sdwa s6, v0, v1 src0_sel:BYTE_0 src1_sel:DWORD
	s_and_saveexec_b32 s23, s6
	s_cbranch_execz .LBB227_177
; %bb.172:                              ;   in Loop: Header=BB227_10 Depth=1
	v_mov_b32_e32 v3, 0x7f800001
	v_and_b32_e32 v2, 0x7f, v0
	v_mov_b32_e32 v4, 0
	s_mov_b32 s24, exec_lo
	buffer_store_dword v3, off, s[0:3], s32 offset:380 ; 4-byte Folded Spill
	buffer_store_dword v4, off, s[0:3], s32 offset:384 ; 4-byte Folded Spill
	v_cmpx_ne_u32_e32 0x7f, v2
	s_cbranch_execz .LBB227_176
; %bb.173:                              ;   in Loop: Header=BB227_10 Depth=1
	v_and_b32_e32 v15, 7, v0
	v_lshrrev_b32_e32 v1, 3, v2
	s_mov_b32 s25, exec_lo
	v_cmpx_gt_u32_e32 8, v2
; %bb.174:                              ;   in Loop: Header=BB227_10 Depth=1
	v_ffbh_u32_e32 v1, v15
	v_min_u32_e32 v1, 32, v1
	v_subrev_nc_u32_e32 v2, 28, v1
	v_sub_nc_u32_e32 v1, 29, v1
	v_lshlrev_b64 v[2:3], v2, v[15:16]
	v_and_b32_e32 v15, 7, v2
; %bb.175:                              ;   in Loop: Header=BB227_10 Depth=1
	s_or_b32 exec_lo, exec_lo, s25
	v_lshlrev_b32_e32 v2, 24, v0
	v_lshlrev_b32_e32 v3, 20, v15
	v_lshl_add_u32 v1, v1, 23, 0x3c000000
	v_and_b32_e32 v2, 0x80000000, v2
	v_or3_b32 v15, v3, v2, v1
	buffer_store_dword v15, off, s[0:3], s32 offset:380 ; 4-byte Folded Spill
	buffer_store_dword v16, off, s[0:3], s32 offset:384 ; 4-byte Folded Spill
.LBB227_176:                            ;   in Loop: Header=BB227_10 Depth=1
	s_or_b32 exec_lo, exec_lo, s24
.LBB227_177:                            ;   in Loop: Header=BB227_10 Depth=1
	s_or_b32 exec_lo, exec_lo, s23
.LBB227_178:                            ;   in Loop: Header=BB227_10 Depth=1
	s_or_b32 exec_lo, exec_lo, s17
	v_cmp_ne_u16_sdwa s6, v0, v16 src0_sel:BYTE_1 src1_sel:DWORD
	s_and_saveexec_b32 s17, s6
	s_cbranch_execz .LBB227_186
; %bb.179:                              ;   in Loop: Header=BB227_10 Depth=1
	v_mov_b32_e32 v1, 0x80
	v_mov_b32_e32 v102, v16
	buffer_store_dword v102, off, s[0:3], s32 offset:388 ; 4-byte Folded Spill
	buffer_store_dword v103, off, s[0:3], s32 offset:392 ; 4-byte Folded Spill
	v_cmp_ne_u16_sdwa s6, v0, v1 src0_sel:BYTE_1 src1_sel:DWORD
	s_and_saveexec_b32 s23, s6
	s_cbranch_execz .LBB227_185
; %bb.180:                              ;   in Loop: Header=BB227_10 Depth=1
	s_clause 0x1
	buffer_load_dword v3, off, s[0:3], s32 offset:192
	buffer_load_dword v4, off, s[0:3], s32 offset:196
	v_mov_b32_e32 v1, 0xffff
	s_mov_b32 s24, exec_lo
	v_and_b32_sdwa v1, v1, v0 dst_sel:DWORD dst_unused:UNUSED_PAD src0_sel:DWORD src1_sel:BYTE_1
	v_and_b32_e32 v2, 0x7f, v1
	s_waitcnt vmcnt(0)
	v_mov_b32_e32 v5, v4
	v_mov_b32_e32 v4, v16
	;; [unrolled: 1-line block ×3, first 2 shown]
	buffer_store_dword v2, off, s[0:3], s32 offset:192 ; 4-byte Folded Spill
	buffer_store_dword v3, off, s[0:3], s32 offset:196 ; 4-byte Folded Spill
	;; [unrolled: 1-line block ×4, first 2 shown]
	v_cmpx_ne_u32_e32 0x7f, v2
	s_cbranch_execz .LBB227_184
; %bb.181:                              ;   in Loop: Header=BB227_10 Depth=1
	v_and_b32_e32 v15, 7, v1
	v_lshrrev_b32_e32 v1, 3, v2
	s_mov_b32 s25, exec_lo
	v_cmpx_gt_u32_e32 8, v2
; %bb.182:                              ;   in Loop: Header=BB227_10 Depth=1
	v_ffbh_u32_e32 v1, v15
	v_min_u32_e32 v1, 32, v1
	v_subrev_nc_u32_e32 v2, 28, v1
	v_sub_nc_u32_e32 v1, 29, v1
	v_lshlrev_b64 v[2:3], v2, v[15:16]
	v_and_b32_e32 v15, 7, v2
; %bb.183:                              ;   in Loop: Header=BB227_10 Depth=1
	s_or_b32 exec_lo, exec_lo, s25
	v_lshlrev_b32_e32 v0, 16, v0
	v_lshlrev_b32_e32 v2, 20, v15
	v_lshl_add_u32 v1, v1, 23, 0x3c000000
	v_and_b32_e32 v0, 0x80000000, v0
	v_or3_b32 v1, v2, v0, v1
	v_mov_b32_e32 v0, v16
	buffer_store_dword v0, off, s[0:3], s32 offset:388 ; 4-byte Folded Spill
	buffer_store_dword v1, off, s[0:3], s32 offset:392 ; 4-byte Folded Spill
.LBB227_184:                            ;   in Loop: Header=BB227_10 Depth=1
	s_or_b32 exec_lo, exec_lo, s24
.LBB227_185:                            ;   in Loop: Header=BB227_10 Depth=1
	s_or_b32 exec_lo, exec_lo, s23
.LBB227_186:                            ;   in Loop: Header=BB227_10 Depth=1
	s_or_b32 exec_lo, exec_lo, s17
	flat_load_ushort v1, v[34:35] offset:524
	s_waitcnt vmcnt(0) lgkmcnt(0)
	v_and_b32_e32 v0, 0xffff, v1
	v_cmp_ne_u16_sdwa s6, v1, v16 src0_sel:BYTE_0 src1_sel:DWORD
	v_mov_b32_e32 v1, 0
	v_mov_b32_e32 v2, 0
	buffer_store_dword v1, off, s[0:3], s32 offset:404 ; 4-byte Folded Spill
	buffer_store_dword v2, off, s[0:3], s32 offset:408 ; 4-byte Folded Spill
	v_mov_b32_e32 v1, 0
	v_mov_b32_e32 v2, 0
	buffer_store_dword v1, off, s[0:3], s32 offset:396 ; 4-byte Folded Spill
	buffer_store_dword v2, off, s[0:3], s32 offset:400 ; 4-byte Folded Spill
	s_and_saveexec_b32 s17, s6
	s_cbranch_execz .LBB227_194
; %bb.187:                              ;   in Loop: Header=BB227_10 Depth=1
	v_bfrev_b32_e32 v1, 1
	v_mov_b32_e32 v2, 0
	buffer_store_dword v1, off, s[0:3], s32 offset:396 ; 4-byte Folded Spill
	buffer_store_dword v2, off, s[0:3], s32 offset:400 ; 4-byte Folded Spill
	v_mov_b32_e32 v1, 0x80
	v_cmp_ne_u16_sdwa s6, v0, v1 src0_sel:BYTE_0 src1_sel:DWORD
	s_and_saveexec_b32 s23, s6
	s_cbranch_execz .LBB227_193
; %bb.188:                              ;   in Loop: Header=BB227_10 Depth=1
	v_mov_b32_e32 v3, 0x7f800001
	v_and_b32_e32 v2, 0x7f, v0
	v_mov_b32_e32 v4, 0
	s_mov_b32 s24, exec_lo
	buffer_store_dword v3, off, s[0:3], s32 offset:396 ; 4-byte Folded Spill
	buffer_store_dword v4, off, s[0:3], s32 offset:400 ; 4-byte Folded Spill
	v_cmpx_ne_u32_e32 0x7f, v2
	s_cbranch_execz .LBB227_192
; %bb.189:                              ;   in Loop: Header=BB227_10 Depth=1
	v_and_b32_e32 v15, 7, v0
	v_lshrrev_b32_e32 v1, 3, v2
	s_mov_b32 s25, exec_lo
	v_cmpx_gt_u32_e32 8, v2
; %bb.190:                              ;   in Loop: Header=BB227_10 Depth=1
	v_ffbh_u32_e32 v1, v15
	v_min_u32_e32 v1, 32, v1
	v_subrev_nc_u32_e32 v2, 28, v1
	v_sub_nc_u32_e32 v1, 29, v1
	v_lshlrev_b64 v[2:3], v2, v[15:16]
	v_and_b32_e32 v15, 7, v2
; %bb.191:                              ;   in Loop: Header=BB227_10 Depth=1
	s_or_b32 exec_lo, exec_lo, s25
	v_lshlrev_b32_e32 v2, 24, v0
	v_lshlrev_b32_e32 v3, 20, v15
	v_lshl_add_u32 v1, v1, 23, 0x3c000000
	v_and_b32_e32 v2, 0x80000000, v2
	v_or3_b32 v15, v3, v2, v1
	buffer_store_dword v15, off, s[0:3], s32 offset:396 ; 4-byte Folded Spill
	buffer_store_dword v16, off, s[0:3], s32 offset:400 ; 4-byte Folded Spill
.LBB227_192:                            ;   in Loop: Header=BB227_10 Depth=1
	s_or_b32 exec_lo, exec_lo, s24
.LBB227_193:                            ;   in Loop: Header=BB227_10 Depth=1
	s_or_b32 exec_lo, exec_lo, s23
.LBB227_194:                            ;   in Loop: Header=BB227_10 Depth=1
	s_or_b32 exec_lo, exec_lo, s17
	v_cmp_ne_u16_sdwa s6, v0, v16 src0_sel:BYTE_1 src1_sel:DWORD
	s_and_saveexec_b32 s17, s6
	s_cbranch_execz .LBB227_202
; %bb.195:                              ;   in Loop: Header=BB227_10 Depth=1
	v_mov_b32_e32 v1, 0x80
	v_mov_b32_e32 v102, v16
	buffer_store_dword v102, off, s[0:3], s32 offset:404 ; 4-byte Folded Spill
	buffer_store_dword v103, off, s[0:3], s32 offset:408 ; 4-byte Folded Spill
	v_cmp_ne_u16_sdwa s6, v0, v1 src0_sel:BYTE_1 src1_sel:DWORD
	s_and_saveexec_b32 s23, s6
	s_cbranch_execz .LBB227_201
; %bb.196:                              ;   in Loop: Header=BB227_10 Depth=1
	s_clause 0x1
	buffer_load_dword v3, off, s[0:3], s32 offset:192
	buffer_load_dword v4, off, s[0:3], s32 offset:196
	v_mov_b32_e32 v1, 0xffff
	s_mov_b32 s24, exec_lo
	v_and_b32_sdwa v1, v1, v0 dst_sel:DWORD dst_unused:UNUSED_PAD src0_sel:DWORD src1_sel:BYTE_1
	v_and_b32_e32 v2, 0x7f, v1
	s_waitcnt vmcnt(0)
	v_mov_b32_e32 v5, v4
	v_mov_b32_e32 v4, v16
	;; [unrolled: 1-line block ×3, first 2 shown]
	buffer_store_dword v2, off, s[0:3], s32 offset:192 ; 4-byte Folded Spill
	buffer_store_dword v3, off, s[0:3], s32 offset:196 ; 4-byte Folded Spill
	;; [unrolled: 1-line block ×4, first 2 shown]
	v_cmpx_ne_u32_e32 0x7f, v2
	s_cbranch_execz .LBB227_200
; %bb.197:                              ;   in Loop: Header=BB227_10 Depth=1
	v_and_b32_e32 v15, 7, v1
	v_lshrrev_b32_e32 v1, 3, v2
	s_mov_b32 s25, exec_lo
	v_cmpx_gt_u32_e32 8, v2
; %bb.198:                              ;   in Loop: Header=BB227_10 Depth=1
	v_ffbh_u32_e32 v1, v15
	v_min_u32_e32 v1, 32, v1
	v_subrev_nc_u32_e32 v2, 28, v1
	v_sub_nc_u32_e32 v1, 29, v1
	v_lshlrev_b64 v[2:3], v2, v[15:16]
	v_and_b32_e32 v15, 7, v2
; %bb.199:                              ;   in Loop: Header=BB227_10 Depth=1
	s_or_b32 exec_lo, exec_lo, s25
	v_lshlrev_b32_e32 v0, 16, v0
	v_lshlrev_b32_e32 v2, 20, v15
	v_lshl_add_u32 v1, v1, 23, 0x3c000000
	v_and_b32_e32 v0, 0x80000000, v0
	v_or3_b32 v1, v2, v0, v1
	v_mov_b32_e32 v0, v16
	buffer_store_dword v0, off, s[0:3], s32 offset:404 ; 4-byte Folded Spill
	buffer_store_dword v1, off, s[0:3], s32 offset:408 ; 4-byte Folded Spill
.LBB227_200:                            ;   in Loop: Header=BB227_10 Depth=1
	s_or_b32 exec_lo, exec_lo, s24
.LBB227_201:                            ;   in Loop: Header=BB227_10 Depth=1
	s_or_b32 exec_lo, exec_lo, s23
.LBB227_202:                            ;   in Loop: Header=BB227_10 Depth=1
	s_or_b32 exec_lo, exec_lo, s17
	flat_load_ushort v1, v[34:35] offset:768
	s_waitcnt vmcnt(0) lgkmcnt(0)
	v_and_b32_e32 v0, 0xffff, v1
	v_cmp_ne_u16_sdwa s6, v1, v16 src0_sel:BYTE_0 src1_sel:DWORD
	v_mov_b32_e32 v1, 0
	v_mov_b32_e32 v2, 0
	buffer_store_dword v1, off, s[0:3], s32 offset:420 ; 4-byte Folded Spill
	buffer_store_dword v2, off, s[0:3], s32 offset:424 ; 4-byte Folded Spill
	v_mov_b32_e32 v1, 0
	v_mov_b32_e32 v2, 0
	buffer_store_dword v1, off, s[0:3], s32 offset:412 ; 4-byte Folded Spill
	buffer_store_dword v2, off, s[0:3], s32 offset:416 ; 4-byte Folded Spill
	s_and_saveexec_b32 s17, s6
	s_cbranch_execz .LBB227_210
; %bb.203:                              ;   in Loop: Header=BB227_10 Depth=1
	v_bfrev_b32_e32 v1, 1
	v_mov_b32_e32 v2, 0
	buffer_store_dword v1, off, s[0:3], s32 offset:412 ; 4-byte Folded Spill
	buffer_store_dword v2, off, s[0:3], s32 offset:416 ; 4-byte Folded Spill
	v_mov_b32_e32 v1, 0x80
	v_cmp_ne_u16_sdwa s6, v0, v1 src0_sel:BYTE_0 src1_sel:DWORD
	s_and_saveexec_b32 s23, s6
	s_cbranch_execz .LBB227_209
; %bb.204:                              ;   in Loop: Header=BB227_10 Depth=1
	v_mov_b32_e32 v3, 0x7f800001
	v_and_b32_e32 v2, 0x7f, v0
	v_mov_b32_e32 v4, 0
	s_mov_b32 s24, exec_lo
	buffer_store_dword v3, off, s[0:3], s32 offset:412 ; 4-byte Folded Spill
	buffer_store_dword v4, off, s[0:3], s32 offset:416 ; 4-byte Folded Spill
	v_cmpx_ne_u32_e32 0x7f, v2
	s_cbranch_execz .LBB227_208
; %bb.205:                              ;   in Loop: Header=BB227_10 Depth=1
	v_and_b32_e32 v15, 7, v0
	v_lshrrev_b32_e32 v1, 3, v2
	s_mov_b32 s25, exec_lo
	v_cmpx_gt_u32_e32 8, v2
; %bb.206:                              ;   in Loop: Header=BB227_10 Depth=1
	v_ffbh_u32_e32 v1, v15
	v_min_u32_e32 v1, 32, v1
	v_subrev_nc_u32_e32 v2, 28, v1
	v_sub_nc_u32_e32 v1, 29, v1
	v_lshlrev_b64 v[2:3], v2, v[15:16]
	v_and_b32_e32 v15, 7, v2
; %bb.207:                              ;   in Loop: Header=BB227_10 Depth=1
	s_or_b32 exec_lo, exec_lo, s25
	v_lshlrev_b32_e32 v2, 24, v0
	v_lshlrev_b32_e32 v3, 20, v15
	v_lshl_add_u32 v1, v1, 23, 0x3c000000
	v_and_b32_e32 v2, 0x80000000, v2
	v_or3_b32 v15, v3, v2, v1
	buffer_store_dword v15, off, s[0:3], s32 offset:412 ; 4-byte Folded Spill
	buffer_store_dword v16, off, s[0:3], s32 offset:416 ; 4-byte Folded Spill
.LBB227_208:                            ;   in Loop: Header=BB227_10 Depth=1
	s_or_b32 exec_lo, exec_lo, s24
.LBB227_209:                            ;   in Loop: Header=BB227_10 Depth=1
	s_or_b32 exec_lo, exec_lo, s23
.LBB227_210:                            ;   in Loop: Header=BB227_10 Depth=1
	s_or_b32 exec_lo, exec_lo, s17
	v_cmp_ne_u16_sdwa s6, v0, v16 src0_sel:BYTE_1 src1_sel:DWORD
	s_and_saveexec_b32 s17, s6
	s_cbranch_execz .LBB227_218
; %bb.211:                              ;   in Loop: Header=BB227_10 Depth=1
	v_mov_b32_e32 v1, 0x80
	v_mov_b32_e32 v102, v16
	buffer_store_dword v102, off, s[0:3], s32 offset:420 ; 4-byte Folded Spill
	buffer_store_dword v103, off, s[0:3], s32 offset:424 ; 4-byte Folded Spill
	v_cmp_ne_u16_sdwa s6, v0, v1 src0_sel:BYTE_1 src1_sel:DWORD
	s_and_saveexec_b32 s23, s6
	s_cbranch_execz .LBB227_217
; %bb.212:                              ;   in Loop: Header=BB227_10 Depth=1
	s_clause 0x1
	buffer_load_dword v3, off, s[0:3], s32 offset:192
	buffer_load_dword v4, off, s[0:3], s32 offset:196
	v_mov_b32_e32 v1, 0xffff
	s_mov_b32 s24, exec_lo
	v_and_b32_sdwa v1, v1, v0 dst_sel:DWORD dst_unused:UNUSED_PAD src0_sel:DWORD src1_sel:BYTE_1
	v_and_b32_e32 v2, 0x7f, v1
	s_waitcnt vmcnt(0)
	v_mov_b32_e32 v5, v4
	v_mov_b32_e32 v4, v16
	;; [unrolled: 1-line block ×3, first 2 shown]
	buffer_store_dword v2, off, s[0:3], s32 offset:192 ; 4-byte Folded Spill
	buffer_store_dword v3, off, s[0:3], s32 offset:196 ; 4-byte Folded Spill
	;; [unrolled: 1-line block ×4, first 2 shown]
	v_cmpx_ne_u32_e32 0x7f, v2
	s_cbranch_execz .LBB227_216
; %bb.213:                              ;   in Loop: Header=BB227_10 Depth=1
	v_and_b32_e32 v15, 7, v1
	v_lshrrev_b32_e32 v1, 3, v2
	s_mov_b32 s25, exec_lo
	v_cmpx_gt_u32_e32 8, v2
; %bb.214:                              ;   in Loop: Header=BB227_10 Depth=1
	v_ffbh_u32_e32 v1, v15
	v_min_u32_e32 v1, 32, v1
	v_subrev_nc_u32_e32 v2, 28, v1
	v_sub_nc_u32_e32 v1, 29, v1
	v_lshlrev_b64 v[2:3], v2, v[15:16]
	v_and_b32_e32 v15, 7, v2
; %bb.215:                              ;   in Loop: Header=BB227_10 Depth=1
	s_or_b32 exec_lo, exec_lo, s25
	v_lshlrev_b32_e32 v0, 16, v0
	v_lshlrev_b32_e32 v2, 20, v15
	v_lshl_add_u32 v1, v1, 23, 0x3c000000
	v_and_b32_e32 v0, 0x80000000, v0
	v_or3_b32 v1, v2, v0, v1
	v_mov_b32_e32 v0, v16
	buffer_store_dword v0, off, s[0:3], s32 offset:420 ; 4-byte Folded Spill
	buffer_store_dword v1, off, s[0:3], s32 offset:424 ; 4-byte Folded Spill
.LBB227_216:                            ;   in Loop: Header=BB227_10 Depth=1
	s_or_b32 exec_lo, exec_lo, s24
.LBB227_217:                            ;   in Loop: Header=BB227_10 Depth=1
	s_or_b32 exec_lo, exec_lo, s23
.LBB227_218:                            ;   in Loop: Header=BB227_10 Depth=1
	s_or_b32 exec_lo, exec_lo, s17
	flat_load_ushort v1, v[34:35] offset:772
	s_waitcnt vmcnt(0) lgkmcnt(0)
	v_and_b32_e32 v0, 0xffff, v1
	v_cmp_ne_u16_sdwa s6, v1, v16 src0_sel:BYTE_0 src1_sel:DWORD
	v_mov_b32_e32 v1, 0
	v_mov_b32_e32 v2, 0
	buffer_store_dword v1, off, s[0:3], s32 offset:436 ; 4-byte Folded Spill
	buffer_store_dword v2, off, s[0:3], s32 offset:440 ; 4-byte Folded Spill
	v_mov_b32_e32 v1, 0
	v_mov_b32_e32 v2, 0
	buffer_store_dword v1, off, s[0:3], s32 offset:428 ; 4-byte Folded Spill
	buffer_store_dword v2, off, s[0:3], s32 offset:432 ; 4-byte Folded Spill
	s_and_saveexec_b32 s17, s6
	s_cbranch_execz .LBB227_226
; %bb.219:                              ;   in Loop: Header=BB227_10 Depth=1
	v_bfrev_b32_e32 v1, 1
	v_mov_b32_e32 v2, 0
	buffer_store_dword v1, off, s[0:3], s32 offset:428 ; 4-byte Folded Spill
	buffer_store_dword v2, off, s[0:3], s32 offset:432 ; 4-byte Folded Spill
	v_mov_b32_e32 v1, 0x80
	v_cmp_ne_u16_sdwa s6, v0, v1 src0_sel:BYTE_0 src1_sel:DWORD
	s_and_saveexec_b32 s23, s6
	s_cbranch_execz .LBB227_225
; %bb.220:                              ;   in Loop: Header=BB227_10 Depth=1
	v_mov_b32_e32 v3, 0x7f800001
	v_and_b32_e32 v2, 0x7f, v0
	v_mov_b32_e32 v4, 0
	s_mov_b32 s24, exec_lo
	buffer_store_dword v3, off, s[0:3], s32 offset:428 ; 4-byte Folded Spill
	buffer_store_dword v4, off, s[0:3], s32 offset:432 ; 4-byte Folded Spill
	v_cmpx_ne_u32_e32 0x7f, v2
	s_cbranch_execz .LBB227_224
; %bb.221:                              ;   in Loop: Header=BB227_10 Depth=1
	v_and_b32_e32 v15, 7, v0
	v_lshrrev_b32_e32 v1, 3, v2
	s_mov_b32 s25, exec_lo
	v_cmpx_gt_u32_e32 8, v2
; %bb.222:                              ;   in Loop: Header=BB227_10 Depth=1
	v_ffbh_u32_e32 v1, v15
	v_min_u32_e32 v1, 32, v1
	v_subrev_nc_u32_e32 v2, 28, v1
	v_sub_nc_u32_e32 v1, 29, v1
	v_lshlrev_b64 v[2:3], v2, v[15:16]
	v_and_b32_e32 v15, 7, v2
; %bb.223:                              ;   in Loop: Header=BB227_10 Depth=1
	s_or_b32 exec_lo, exec_lo, s25
	v_lshlrev_b32_e32 v2, 24, v0
	v_lshlrev_b32_e32 v3, 20, v15
	v_lshl_add_u32 v1, v1, 23, 0x3c000000
	v_and_b32_e32 v2, 0x80000000, v2
	v_or3_b32 v15, v3, v2, v1
	buffer_store_dword v15, off, s[0:3], s32 offset:428 ; 4-byte Folded Spill
	buffer_store_dword v16, off, s[0:3], s32 offset:432 ; 4-byte Folded Spill
.LBB227_224:                            ;   in Loop: Header=BB227_10 Depth=1
	s_or_b32 exec_lo, exec_lo, s24
.LBB227_225:                            ;   in Loop: Header=BB227_10 Depth=1
	s_or_b32 exec_lo, exec_lo, s23
.LBB227_226:                            ;   in Loop: Header=BB227_10 Depth=1
	s_or_b32 exec_lo, exec_lo, s17
	v_cmp_ne_u16_sdwa s6, v0, v16 src0_sel:BYTE_1 src1_sel:DWORD
	s_and_saveexec_b32 s17, s6
	s_cbranch_execz .LBB227_234
; %bb.227:                              ;   in Loop: Header=BB227_10 Depth=1
	v_mov_b32_e32 v1, 0x80
	v_mov_b32_e32 v102, v16
	buffer_store_dword v102, off, s[0:3], s32 offset:436 ; 4-byte Folded Spill
	buffer_store_dword v103, off, s[0:3], s32 offset:440 ; 4-byte Folded Spill
	v_cmp_ne_u16_sdwa s6, v0, v1 src0_sel:BYTE_1 src1_sel:DWORD
	s_and_saveexec_b32 s23, s6
	s_cbranch_execz .LBB227_233
; %bb.228:                              ;   in Loop: Header=BB227_10 Depth=1
	s_clause 0x1
	buffer_load_dword v3, off, s[0:3], s32 offset:192
	buffer_load_dword v4, off, s[0:3], s32 offset:196
	v_mov_b32_e32 v1, 0xffff
	s_mov_b32 s24, exec_lo
	v_and_b32_sdwa v1, v1, v0 dst_sel:DWORD dst_unused:UNUSED_PAD src0_sel:DWORD src1_sel:BYTE_1
	v_and_b32_e32 v2, 0x7f, v1
	s_waitcnt vmcnt(0)
	v_mov_b32_e32 v5, v4
	v_mov_b32_e32 v4, v16
	;; [unrolled: 1-line block ×3, first 2 shown]
	buffer_store_dword v2, off, s[0:3], s32 offset:192 ; 4-byte Folded Spill
	buffer_store_dword v3, off, s[0:3], s32 offset:196 ; 4-byte Folded Spill
	;; [unrolled: 1-line block ×4, first 2 shown]
	v_cmpx_ne_u32_e32 0x7f, v2
	s_cbranch_execz .LBB227_232
; %bb.229:                              ;   in Loop: Header=BB227_10 Depth=1
	v_and_b32_e32 v15, 7, v1
	v_lshrrev_b32_e32 v1, 3, v2
	s_mov_b32 s25, exec_lo
	v_cmpx_gt_u32_e32 8, v2
; %bb.230:                              ;   in Loop: Header=BB227_10 Depth=1
	v_ffbh_u32_e32 v1, v15
	v_min_u32_e32 v1, 32, v1
	v_subrev_nc_u32_e32 v2, 28, v1
	v_sub_nc_u32_e32 v1, 29, v1
	v_lshlrev_b64 v[2:3], v2, v[15:16]
	v_and_b32_e32 v15, 7, v2
; %bb.231:                              ;   in Loop: Header=BB227_10 Depth=1
	s_or_b32 exec_lo, exec_lo, s25
	v_lshlrev_b32_e32 v0, 16, v0
	v_lshlrev_b32_e32 v2, 20, v15
	v_lshl_add_u32 v1, v1, 23, 0x3c000000
	v_and_b32_e32 v0, 0x80000000, v0
	v_or3_b32 v1, v2, v0, v1
	v_mov_b32_e32 v0, v16
	buffer_store_dword v0, off, s[0:3], s32 offset:436 ; 4-byte Folded Spill
	buffer_store_dword v1, off, s[0:3], s32 offset:440 ; 4-byte Folded Spill
.LBB227_232:                            ;   in Loop: Header=BB227_10 Depth=1
	s_or_b32 exec_lo, exec_lo, s24
.LBB227_233:                            ;   in Loop: Header=BB227_10 Depth=1
	s_or_b32 exec_lo, exec_lo, s23
.LBB227_234:                            ;   in Loop: Header=BB227_10 Depth=1
	s_or_b32 exec_lo, exec_lo, s17
	flat_load_ushort v1, v[34:35] offset:776
	s_waitcnt vmcnt(0) lgkmcnt(0)
	v_and_b32_e32 v0, 0xffff, v1
	v_cmp_ne_u16_sdwa s6, v1, v16 src0_sel:BYTE_0 src1_sel:DWORD
	v_mov_b32_e32 v1, 0
	v_mov_b32_e32 v2, 0
	buffer_store_dword v1, off, s[0:3], s32 offset:452 ; 4-byte Folded Spill
	buffer_store_dword v2, off, s[0:3], s32 offset:456 ; 4-byte Folded Spill
	v_mov_b32_e32 v1, 0
	v_mov_b32_e32 v2, 0
	buffer_store_dword v1, off, s[0:3], s32 offset:444 ; 4-byte Folded Spill
	buffer_store_dword v2, off, s[0:3], s32 offset:448 ; 4-byte Folded Spill
	s_and_saveexec_b32 s17, s6
	s_cbranch_execz .LBB227_242
; %bb.235:                              ;   in Loop: Header=BB227_10 Depth=1
	v_bfrev_b32_e32 v1, 1
	v_mov_b32_e32 v2, 0
	buffer_store_dword v1, off, s[0:3], s32 offset:444 ; 4-byte Folded Spill
	buffer_store_dword v2, off, s[0:3], s32 offset:448 ; 4-byte Folded Spill
	v_mov_b32_e32 v1, 0x80
	v_cmp_ne_u16_sdwa s6, v0, v1 src0_sel:BYTE_0 src1_sel:DWORD
	s_and_saveexec_b32 s23, s6
	s_cbranch_execz .LBB227_241
; %bb.236:                              ;   in Loop: Header=BB227_10 Depth=1
	v_mov_b32_e32 v3, 0x7f800001
	v_and_b32_e32 v2, 0x7f, v0
	v_mov_b32_e32 v4, 0
	s_mov_b32 s24, exec_lo
	buffer_store_dword v3, off, s[0:3], s32 offset:444 ; 4-byte Folded Spill
	buffer_store_dword v4, off, s[0:3], s32 offset:448 ; 4-byte Folded Spill
	v_cmpx_ne_u32_e32 0x7f, v2
	s_cbranch_execz .LBB227_240
; %bb.237:                              ;   in Loop: Header=BB227_10 Depth=1
	v_and_b32_e32 v15, 7, v0
	v_lshrrev_b32_e32 v1, 3, v2
	s_mov_b32 s25, exec_lo
	v_cmpx_gt_u32_e32 8, v2
; %bb.238:                              ;   in Loop: Header=BB227_10 Depth=1
	v_ffbh_u32_e32 v1, v15
	v_min_u32_e32 v1, 32, v1
	v_subrev_nc_u32_e32 v2, 28, v1
	v_sub_nc_u32_e32 v1, 29, v1
	v_lshlrev_b64 v[2:3], v2, v[15:16]
	v_and_b32_e32 v15, 7, v2
; %bb.239:                              ;   in Loop: Header=BB227_10 Depth=1
	s_or_b32 exec_lo, exec_lo, s25
	v_lshlrev_b32_e32 v2, 24, v0
	v_lshlrev_b32_e32 v3, 20, v15
	v_lshl_add_u32 v1, v1, 23, 0x3c000000
	v_and_b32_e32 v2, 0x80000000, v2
	v_or3_b32 v15, v3, v2, v1
	buffer_store_dword v15, off, s[0:3], s32 offset:444 ; 4-byte Folded Spill
	buffer_store_dword v16, off, s[0:3], s32 offset:448 ; 4-byte Folded Spill
.LBB227_240:                            ;   in Loop: Header=BB227_10 Depth=1
	s_or_b32 exec_lo, exec_lo, s24
.LBB227_241:                            ;   in Loop: Header=BB227_10 Depth=1
	s_or_b32 exec_lo, exec_lo, s23
.LBB227_242:                            ;   in Loop: Header=BB227_10 Depth=1
	s_or_b32 exec_lo, exec_lo, s17
	v_cmp_ne_u16_sdwa s6, v0, v16 src0_sel:BYTE_1 src1_sel:DWORD
	s_and_saveexec_b32 s17, s6
	s_cbranch_execz .LBB227_250
; %bb.243:                              ;   in Loop: Header=BB227_10 Depth=1
	v_mov_b32_e32 v1, 0x80
	v_mov_b32_e32 v102, v16
	buffer_store_dword v102, off, s[0:3], s32 offset:452 ; 4-byte Folded Spill
	buffer_store_dword v103, off, s[0:3], s32 offset:456 ; 4-byte Folded Spill
	v_cmp_ne_u16_sdwa s6, v0, v1 src0_sel:BYTE_1 src1_sel:DWORD
	s_and_saveexec_b32 s23, s6
	s_cbranch_execz .LBB227_249
; %bb.244:                              ;   in Loop: Header=BB227_10 Depth=1
	s_clause 0x1
	buffer_load_dword v3, off, s[0:3], s32 offset:192
	buffer_load_dword v4, off, s[0:3], s32 offset:196
	v_mov_b32_e32 v1, 0xffff
	s_mov_b32 s24, exec_lo
	v_and_b32_sdwa v1, v1, v0 dst_sel:DWORD dst_unused:UNUSED_PAD src0_sel:DWORD src1_sel:BYTE_1
	v_and_b32_e32 v2, 0x7f, v1
	s_waitcnt vmcnt(0)
	v_mov_b32_e32 v5, v4
	v_mov_b32_e32 v4, v16
	;; [unrolled: 1-line block ×3, first 2 shown]
	buffer_store_dword v2, off, s[0:3], s32 offset:192 ; 4-byte Folded Spill
	buffer_store_dword v3, off, s[0:3], s32 offset:196 ; 4-byte Folded Spill
	;; [unrolled: 1-line block ×4, first 2 shown]
	v_cmpx_ne_u32_e32 0x7f, v2
	s_cbranch_execz .LBB227_248
; %bb.245:                              ;   in Loop: Header=BB227_10 Depth=1
	v_and_b32_e32 v15, 7, v1
	v_lshrrev_b32_e32 v1, 3, v2
	s_mov_b32 s25, exec_lo
	v_cmpx_gt_u32_e32 8, v2
; %bb.246:                              ;   in Loop: Header=BB227_10 Depth=1
	v_ffbh_u32_e32 v1, v15
	v_min_u32_e32 v1, 32, v1
	v_subrev_nc_u32_e32 v2, 28, v1
	v_sub_nc_u32_e32 v1, 29, v1
	v_lshlrev_b64 v[2:3], v2, v[15:16]
	v_and_b32_e32 v15, 7, v2
; %bb.247:                              ;   in Loop: Header=BB227_10 Depth=1
	s_or_b32 exec_lo, exec_lo, s25
	v_lshlrev_b32_e32 v0, 16, v0
	v_lshlrev_b32_e32 v2, 20, v15
	v_lshl_add_u32 v1, v1, 23, 0x3c000000
	v_and_b32_e32 v0, 0x80000000, v0
	v_or3_b32 v1, v2, v0, v1
	v_mov_b32_e32 v0, v16
	buffer_store_dword v0, off, s[0:3], s32 offset:452 ; 4-byte Folded Spill
	buffer_store_dword v1, off, s[0:3], s32 offset:456 ; 4-byte Folded Spill
.LBB227_248:                            ;   in Loop: Header=BB227_10 Depth=1
	s_or_b32 exec_lo, exec_lo, s24
.LBB227_249:                            ;   in Loop: Header=BB227_10 Depth=1
	s_or_b32 exec_lo, exec_lo, s23
.LBB227_250:                            ;   in Loop: Header=BB227_10 Depth=1
	s_or_b32 exec_lo, exec_lo, s17
	flat_load_ushort v1, v[34:35] offset:780
	s_waitcnt vmcnt(0) lgkmcnt(0)
	v_and_b32_e32 v0, 0xffff, v1
	v_cmp_ne_u16_sdwa s6, v1, v16 src0_sel:BYTE_0 src1_sel:DWORD
	v_mov_b32_e32 v1, 0
	v_mov_b32_e32 v2, 0
	buffer_store_dword v1, off, s[0:3], s32 offset:468 ; 4-byte Folded Spill
	buffer_store_dword v2, off, s[0:3], s32 offset:472 ; 4-byte Folded Spill
	v_mov_b32_e32 v1, 0
	v_mov_b32_e32 v2, 0
	buffer_store_dword v1, off, s[0:3], s32 offset:460 ; 4-byte Folded Spill
	buffer_store_dword v2, off, s[0:3], s32 offset:464 ; 4-byte Folded Spill
	s_and_saveexec_b32 s17, s6
	s_cbranch_execz .LBB227_258
; %bb.251:                              ;   in Loop: Header=BB227_10 Depth=1
	v_bfrev_b32_e32 v1, 1
	v_mov_b32_e32 v2, 0
	buffer_store_dword v1, off, s[0:3], s32 offset:460 ; 4-byte Folded Spill
	buffer_store_dword v2, off, s[0:3], s32 offset:464 ; 4-byte Folded Spill
	v_mov_b32_e32 v1, 0x80
	v_cmp_ne_u16_sdwa s6, v0, v1 src0_sel:BYTE_0 src1_sel:DWORD
	s_and_saveexec_b32 s23, s6
	s_cbranch_execz .LBB227_257
; %bb.252:                              ;   in Loop: Header=BB227_10 Depth=1
	v_mov_b32_e32 v3, 0x7f800001
	v_and_b32_e32 v2, 0x7f, v0
	v_mov_b32_e32 v4, 0
	s_mov_b32 s24, exec_lo
	buffer_store_dword v3, off, s[0:3], s32 offset:460 ; 4-byte Folded Spill
	buffer_store_dword v4, off, s[0:3], s32 offset:464 ; 4-byte Folded Spill
	v_cmpx_ne_u32_e32 0x7f, v2
	s_cbranch_execz .LBB227_256
; %bb.253:                              ;   in Loop: Header=BB227_10 Depth=1
	v_and_b32_e32 v15, 7, v0
	v_lshrrev_b32_e32 v1, 3, v2
	s_mov_b32 s25, exec_lo
	v_cmpx_gt_u32_e32 8, v2
; %bb.254:                              ;   in Loop: Header=BB227_10 Depth=1
	v_ffbh_u32_e32 v1, v15
	v_min_u32_e32 v1, 32, v1
	v_subrev_nc_u32_e32 v2, 28, v1
	v_sub_nc_u32_e32 v1, 29, v1
	v_lshlrev_b64 v[2:3], v2, v[15:16]
	v_and_b32_e32 v15, 7, v2
; %bb.255:                              ;   in Loop: Header=BB227_10 Depth=1
	s_or_b32 exec_lo, exec_lo, s25
	v_lshlrev_b32_e32 v2, 24, v0
	v_lshlrev_b32_e32 v3, 20, v15
	v_lshl_add_u32 v1, v1, 23, 0x3c000000
	v_and_b32_e32 v2, 0x80000000, v2
	v_or3_b32 v15, v3, v2, v1
	buffer_store_dword v15, off, s[0:3], s32 offset:460 ; 4-byte Folded Spill
	buffer_store_dword v16, off, s[0:3], s32 offset:464 ; 4-byte Folded Spill
.LBB227_256:                            ;   in Loop: Header=BB227_10 Depth=1
	s_or_b32 exec_lo, exec_lo, s24
.LBB227_257:                            ;   in Loop: Header=BB227_10 Depth=1
	s_or_b32 exec_lo, exec_lo, s23
.LBB227_258:                            ;   in Loop: Header=BB227_10 Depth=1
	s_or_b32 exec_lo, exec_lo, s17
	v_cmp_ne_u16_sdwa s6, v0, v16 src0_sel:BYTE_1 src1_sel:DWORD
	s_and_saveexec_b32 s17, s6
	s_cbranch_execz .LBB227_266
; %bb.259:                              ;   in Loop: Header=BB227_10 Depth=1
	v_mov_b32_e32 v1, 0x80
	v_mov_b32_e32 v102, v16
	buffer_store_dword v102, off, s[0:3], s32 offset:468 ; 4-byte Folded Spill
	buffer_store_dword v103, off, s[0:3], s32 offset:472 ; 4-byte Folded Spill
	v_cmp_ne_u16_sdwa s6, v0, v1 src0_sel:BYTE_1 src1_sel:DWORD
	s_and_saveexec_b32 s23, s6
	s_cbranch_execz .LBB227_265
; %bb.260:                              ;   in Loop: Header=BB227_10 Depth=1
	s_clause 0x1
	buffer_load_dword v3, off, s[0:3], s32 offset:192
	buffer_load_dword v4, off, s[0:3], s32 offset:196
	v_mov_b32_e32 v1, 0xffff
	s_mov_b32 s24, exec_lo
	v_and_b32_sdwa v1, v1, v0 dst_sel:DWORD dst_unused:UNUSED_PAD src0_sel:DWORD src1_sel:BYTE_1
	v_and_b32_e32 v2, 0x7f, v1
	s_waitcnt vmcnt(0)
	v_mov_b32_e32 v5, v4
	v_mov_b32_e32 v4, v16
	;; [unrolled: 1-line block ×3, first 2 shown]
	buffer_store_dword v2, off, s[0:3], s32 offset:192 ; 4-byte Folded Spill
	buffer_store_dword v3, off, s[0:3], s32 offset:196 ; 4-byte Folded Spill
	;; [unrolled: 1-line block ×4, first 2 shown]
	v_cmpx_ne_u32_e32 0x7f, v2
	s_cbranch_execz .LBB227_264
; %bb.261:                              ;   in Loop: Header=BB227_10 Depth=1
	v_and_b32_e32 v15, 7, v1
	v_lshrrev_b32_e32 v1, 3, v2
	s_mov_b32 s25, exec_lo
	v_cmpx_gt_u32_e32 8, v2
; %bb.262:                              ;   in Loop: Header=BB227_10 Depth=1
	v_ffbh_u32_e32 v1, v15
	v_min_u32_e32 v1, 32, v1
	v_subrev_nc_u32_e32 v2, 28, v1
	v_sub_nc_u32_e32 v1, 29, v1
	v_lshlrev_b64 v[2:3], v2, v[15:16]
	v_and_b32_e32 v15, 7, v2
; %bb.263:                              ;   in Loop: Header=BB227_10 Depth=1
	s_or_b32 exec_lo, exec_lo, s25
	v_lshlrev_b32_e32 v0, 16, v0
	v_lshlrev_b32_e32 v2, 20, v15
	v_lshl_add_u32 v1, v1, 23, 0x3c000000
	v_and_b32_e32 v0, 0x80000000, v0
	v_or3_b32 v1, v2, v0, v1
	v_mov_b32_e32 v0, v16
	buffer_store_dword v0, off, s[0:3], s32 offset:468 ; 4-byte Folded Spill
	buffer_store_dword v1, off, s[0:3], s32 offset:472 ; 4-byte Folded Spill
.LBB227_264:                            ;   in Loop: Header=BB227_10 Depth=1
	s_or_b32 exec_lo, exec_lo, s24
.LBB227_265:                            ;   in Loop: Header=BB227_10 Depth=1
	s_or_b32 exec_lo, exec_lo, s23
.LBB227_266:                            ;   in Loop: Header=BB227_10 Depth=1
	s_or_b32 exec_lo, exec_lo, s17
	flat_load_ushort v1, v[34:35] offset:1024
	s_waitcnt vmcnt(0) lgkmcnt(0)
	v_and_b32_e32 v0, 0xffff, v1
	v_cmp_ne_u16_sdwa s6, v1, v16 src0_sel:BYTE_0 src1_sel:DWORD
	v_mov_b32_e32 v1, 0
	v_mov_b32_e32 v2, 0
	buffer_store_dword v1, off, s[0:3], s32 offset:484 ; 4-byte Folded Spill
	buffer_store_dword v2, off, s[0:3], s32 offset:488 ; 4-byte Folded Spill
	v_mov_b32_e32 v1, 0
	v_mov_b32_e32 v2, 0
	buffer_store_dword v1, off, s[0:3], s32 offset:476 ; 4-byte Folded Spill
	buffer_store_dword v2, off, s[0:3], s32 offset:480 ; 4-byte Folded Spill
	s_and_saveexec_b32 s17, s6
	s_cbranch_execz .LBB227_274
; %bb.267:                              ;   in Loop: Header=BB227_10 Depth=1
	v_bfrev_b32_e32 v1, 1
	v_mov_b32_e32 v2, 0
	buffer_store_dword v1, off, s[0:3], s32 offset:476 ; 4-byte Folded Spill
	buffer_store_dword v2, off, s[0:3], s32 offset:480 ; 4-byte Folded Spill
	v_mov_b32_e32 v1, 0x80
	v_cmp_ne_u16_sdwa s6, v0, v1 src0_sel:BYTE_0 src1_sel:DWORD
	s_and_saveexec_b32 s23, s6
	s_cbranch_execz .LBB227_273
; %bb.268:                              ;   in Loop: Header=BB227_10 Depth=1
	v_mov_b32_e32 v3, 0x7f800001
	v_and_b32_e32 v2, 0x7f, v0
	v_mov_b32_e32 v4, 0
	s_mov_b32 s24, exec_lo
	buffer_store_dword v3, off, s[0:3], s32 offset:476 ; 4-byte Folded Spill
	buffer_store_dword v4, off, s[0:3], s32 offset:480 ; 4-byte Folded Spill
	v_cmpx_ne_u32_e32 0x7f, v2
	s_cbranch_execz .LBB227_272
; %bb.269:                              ;   in Loop: Header=BB227_10 Depth=1
	v_and_b32_e32 v15, 7, v0
	v_lshrrev_b32_e32 v1, 3, v2
	s_mov_b32 s25, exec_lo
	v_cmpx_gt_u32_e32 8, v2
; %bb.270:                              ;   in Loop: Header=BB227_10 Depth=1
	v_ffbh_u32_e32 v1, v15
	v_min_u32_e32 v1, 32, v1
	v_subrev_nc_u32_e32 v2, 28, v1
	v_sub_nc_u32_e32 v1, 29, v1
	v_lshlrev_b64 v[2:3], v2, v[15:16]
	v_and_b32_e32 v15, 7, v2
; %bb.271:                              ;   in Loop: Header=BB227_10 Depth=1
	s_or_b32 exec_lo, exec_lo, s25
	v_lshlrev_b32_e32 v2, 24, v0
	v_lshlrev_b32_e32 v3, 20, v15
	v_lshl_add_u32 v1, v1, 23, 0x3c000000
	v_and_b32_e32 v2, 0x80000000, v2
	v_or3_b32 v15, v3, v2, v1
	buffer_store_dword v15, off, s[0:3], s32 offset:476 ; 4-byte Folded Spill
	buffer_store_dword v16, off, s[0:3], s32 offset:480 ; 4-byte Folded Spill
.LBB227_272:                            ;   in Loop: Header=BB227_10 Depth=1
	s_or_b32 exec_lo, exec_lo, s24
.LBB227_273:                            ;   in Loop: Header=BB227_10 Depth=1
	s_or_b32 exec_lo, exec_lo, s23
.LBB227_274:                            ;   in Loop: Header=BB227_10 Depth=1
	s_or_b32 exec_lo, exec_lo, s17
	v_cmp_ne_u16_sdwa s6, v0, v16 src0_sel:BYTE_1 src1_sel:DWORD
	s_and_saveexec_b32 s17, s6
	s_cbranch_execz .LBB227_282
; %bb.275:                              ;   in Loop: Header=BB227_10 Depth=1
	v_mov_b32_e32 v1, 0x80
	v_mov_b32_e32 v102, v16
	buffer_store_dword v102, off, s[0:3], s32 offset:484 ; 4-byte Folded Spill
	buffer_store_dword v103, off, s[0:3], s32 offset:488 ; 4-byte Folded Spill
	v_cmp_ne_u16_sdwa s6, v0, v1 src0_sel:BYTE_1 src1_sel:DWORD
	s_and_saveexec_b32 s23, s6
	s_cbranch_execz .LBB227_281
; %bb.276:                              ;   in Loop: Header=BB227_10 Depth=1
	s_clause 0x1
	buffer_load_dword v3, off, s[0:3], s32 offset:192
	buffer_load_dword v4, off, s[0:3], s32 offset:196
	v_mov_b32_e32 v1, 0xffff
	s_mov_b32 s24, exec_lo
	v_and_b32_sdwa v1, v1, v0 dst_sel:DWORD dst_unused:UNUSED_PAD src0_sel:DWORD src1_sel:BYTE_1
	v_and_b32_e32 v2, 0x7f, v1
	s_waitcnt vmcnt(0)
	v_mov_b32_e32 v5, v4
	v_mov_b32_e32 v4, v16
	v_mov_b32_e32 v3, v5
	buffer_store_dword v2, off, s[0:3], s32 offset:192 ; 4-byte Folded Spill
	buffer_store_dword v3, off, s[0:3], s32 offset:196 ; 4-byte Folded Spill
	;; [unrolled: 1-line block ×4, first 2 shown]
	v_cmpx_ne_u32_e32 0x7f, v2
	s_cbranch_execz .LBB227_280
; %bb.277:                              ;   in Loop: Header=BB227_10 Depth=1
	v_and_b32_e32 v15, 7, v1
	v_lshrrev_b32_e32 v1, 3, v2
	s_mov_b32 s25, exec_lo
	v_cmpx_gt_u32_e32 8, v2
; %bb.278:                              ;   in Loop: Header=BB227_10 Depth=1
	v_ffbh_u32_e32 v1, v15
	v_min_u32_e32 v1, 32, v1
	v_subrev_nc_u32_e32 v2, 28, v1
	v_sub_nc_u32_e32 v1, 29, v1
	v_lshlrev_b64 v[2:3], v2, v[15:16]
	v_and_b32_e32 v15, 7, v2
; %bb.279:                              ;   in Loop: Header=BB227_10 Depth=1
	s_or_b32 exec_lo, exec_lo, s25
	v_lshlrev_b32_e32 v0, 16, v0
	v_lshlrev_b32_e32 v2, 20, v15
	v_lshl_add_u32 v1, v1, 23, 0x3c000000
	v_and_b32_e32 v0, 0x80000000, v0
	v_or3_b32 v1, v2, v0, v1
	v_mov_b32_e32 v0, v16
	buffer_store_dword v0, off, s[0:3], s32 offset:484 ; 4-byte Folded Spill
	buffer_store_dword v1, off, s[0:3], s32 offset:488 ; 4-byte Folded Spill
.LBB227_280:                            ;   in Loop: Header=BB227_10 Depth=1
	s_or_b32 exec_lo, exec_lo, s24
.LBB227_281:                            ;   in Loop: Header=BB227_10 Depth=1
	s_or_b32 exec_lo, exec_lo, s23
.LBB227_282:                            ;   in Loop: Header=BB227_10 Depth=1
	s_or_b32 exec_lo, exec_lo, s17
	flat_load_ushort v1, v[34:35] offset:1028
	s_waitcnt vmcnt(0) lgkmcnt(0)
	v_and_b32_e32 v0, 0xffff, v1
	v_cmp_ne_u16_sdwa s6, v1, v16 src0_sel:BYTE_0 src1_sel:DWORD
	v_mov_b32_e32 v1, 0
	v_mov_b32_e32 v2, 0
	buffer_store_dword v1, off, s[0:3], s32 offset:500 ; 4-byte Folded Spill
	buffer_store_dword v2, off, s[0:3], s32 offset:504 ; 4-byte Folded Spill
	v_mov_b32_e32 v1, 0
	v_mov_b32_e32 v2, 0
	buffer_store_dword v1, off, s[0:3], s32 offset:492 ; 4-byte Folded Spill
	buffer_store_dword v2, off, s[0:3], s32 offset:496 ; 4-byte Folded Spill
	s_and_saveexec_b32 s17, s6
	s_cbranch_execz .LBB227_290
; %bb.283:                              ;   in Loop: Header=BB227_10 Depth=1
	v_bfrev_b32_e32 v1, 1
	v_mov_b32_e32 v2, 0
	buffer_store_dword v1, off, s[0:3], s32 offset:492 ; 4-byte Folded Spill
	buffer_store_dword v2, off, s[0:3], s32 offset:496 ; 4-byte Folded Spill
	v_mov_b32_e32 v1, 0x80
	v_cmp_ne_u16_sdwa s6, v0, v1 src0_sel:BYTE_0 src1_sel:DWORD
	s_and_saveexec_b32 s23, s6
	s_cbranch_execz .LBB227_289
; %bb.284:                              ;   in Loop: Header=BB227_10 Depth=1
	v_mov_b32_e32 v3, 0x7f800001
	v_and_b32_e32 v2, 0x7f, v0
	v_mov_b32_e32 v4, 0
	s_mov_b32 s24, exec_lo
	buffer_store_dword v3, off, s[0:3], s32 offset:492 ; 4-byte Folded Spill
	buffer_store_dword v4, off, s[0:3], s32 offset:496 ; 4-byte Folded Spill
	v_cmpx_ne_u32_e32 0x7f, v2
	s_cbranch_execz .LBB227_288
; %bb.285:                              ;   in Loop: Header=BB227_10 Depth=1
	v_and_b32_e32 v15, 7, v0
	v_lshrrev_b32_e32 v1, 3, v2
	s_mov_b32 s25, exec_lo
	v_cmpx_gt_u32_e32 8, v2
; %bb.286:                              ;   in Loop: Header=BB227_10 Depth=1
	v_ffbh_u32_e32 v1, v15
	v_min_u32_e32 v1, 32, v1
	v_subrev_nc_u32_e32 v2, 28, v1
	v_sub_nc_u32_e32 v1, 29, v1
	v_lshlrev_b64 v[2:3], v2, v[15:16]
	v_and_b32_e32 v15, 7, v2
; %bb.287:                              ;   in Loop: Header=BB227_10 Depth=1
	s_or_b32 exec_lo, exec_lo, s25
	v_lshlrev_b32_e32 v2, 24, v0
	v_lshlrev_b32_e32 v3, 20, v15
	v_lshl_add_u32 v1, v1, 23, 0x3c000000
	v_and_b32_e32 v2, 0x80000000, v2
	v_or3_b32 v15, v3, v2, v1
	buffer_store_dword v15, off, s[0:3], s32 offset:492 ; 4-byte Folded Spill
	buffer_store_dword v16, off, s[0:3], s32 offset:496 ; 4-byte Folded Spill
.LBB227_288:                            ;   in Loop: Header=BB227_10 Depth=1
	s_or_b32 exec_lo, exec_lo, s24
.LBB227_289:                            ;   in Loop: Header=BB227_10 Depth=1
	s_or_b32 exec_lo, exec_lo, s23
.LBB227_290:                            ;   in Loop: Header=BB227_10 Depth=1
	s_or_b32 exec_lo, exec_lo, s17
	v_cmp_ne_u16_sdwa s6, v0, v16 src0_sel:BYTE_1 src1_sel:DWORD
	s_and_saveexec_b32 s17, s6
	s_cbranch_execz .LBB227_298
; %bb.291:                              ;   in Loop: Header=BB227_10 Depth=1
	v_mov_b32_e32 v1, 0x80
	v_mov_b32_e32 v102, v16
	buffer_store_dword v102, off, s[0:3], s32 offset:500 ; 4-byte Folded Spill
	buffer_store_dword v103, off, s[0:3], s32 offset:504 ; 4-byte Folded Spill
	v_cmp_ne_u16_sdwa s6, v0, v1 src0_sel:BYTE_1 src1_sel:DWORD
	s_and_saveexec_b32 s23, s6
	s_cbranch_execz .LBB227_297
; %bb.292:                              ;   in Loop: Header=BB227_10 Depth=1
	s_clause 0x1
	buffer_load_dword v3, off, s[0:3], s32 offset:192
	buffer_load_dword v4, off, s[0:3], s32 offset:196
	v_mov_b32_e32 v1, 0xffff
	s_mov_b32 s24, exec_lo
	v_and_b32_sdwa v1, v1, v0 dst_sel:DWORD dst_unused:UNUSED_PAD src0_sel:DWORD src1_sel:BYTE_1
	v_and_b32_e32 v2, 0x7f, v1
	s_waitcnt vmcnt(0)
	v_mov_b32_e32 v5, v4
	v_mov_b32_e32 v4, v16
	;; [unrolled: 1-line block ×3, first 2 shown]
	buffer_store_dword v2, off, s[0:3], s32 offset:192 ; 4-byte Folded Spill
	buffer_store_dword v3, off, s[0:3], s32 offset:196 ; 4-byte Folded Spill
	;; [unrolled: 1-line block ×4, first 2 shown]
	v_cmpx_ne_u32_e32 0x7f, v2
	s_cbranch_execz .LBB227_296
; %bb.293:                              ;   in Loop: Header=BB227_10 Depth=1
	v_and_b32_e32 v15, 7, v1
	v_lshrrev_b32_e32 v1, 3, v2
	s_mov_b32 s25, exec_lo
	v_cmpx_gt_u32_e32 8, v2
; %bb.294:                              ;   in Loop: Header=BB227_10 Depth=1
	v_ffbh_u32_e32 v1, v15
	v_min_u32_e32 v1, 32, v1
	v_subrev_nc_u32_e32 v2, 28, v1
	v_sub_nc_u32_e32 v1, 29, v1
	v_lshlrev_b64 v[2:3], v2, v[15:16]
	v_and_b32_e32 v15, 7, v2
; %bb.295:                              ;   in Loop: Header=BB227_10 Depth=1
	s_or_b32 exec_lo, exec_lo, s25
	v_lshlrev_b32_e32 v0, 16, v0
	v_lshlrev_b32_e32 v2, 20, v15
	v_lshl_add_u32 v1, v1, 23, 0x3c000000
	v_and_b32_e32 v0, 0x80000000, v0
	v_or3_b32 v1, v2, v0, v1
	v_mov_b32_e32 v0, v16
	buffer_store_dword v0, off, s[0:3], s32 offset:500 ; 4-byte Folded Spill
	buffer_store_dword v1, off, s[0:3], s32 offset:504 ; 4-byte Folded Spill
.LBB227_296:                            ;   in Loop: Header=BB227_10 Depth=1
	s_or_b32 exec_lo, exec_lo, s24
.LBB227_297:                            ;   in Loop: Header=BB227_10 Depth=1
	s_or_b32 exec_lo, exec_lo, s23
.LBB227_298:                            ;   in Loop: Header=BB227_10 Depth=1
	s_or_b32 exec_lo, exec_lo, s17
	flat_load_ushort v1, v[34:35] offset:1032
	s_waitcnt vmcnt(0) lgkmcnt(0)
	v_and_b32_e32 v0, 0xffff, v1
	v_cmp_ne_u16_sdwa s6, v1, v16 src0_sel:BYTE_0 src1_sel:DWORD
	v_mov_b32_e32 v1, 0
	v_mov_b32_e32 v2, 0
	buffer_store_dword v1, off, s[0:3], s32 offset:516 ; 4-byte Folded Spill
	buffer_store_dword v2, off, s[0:3], s32 offset:520 ; 4-byte Folded Spill
	v_mov_b32_e32 v1, 0
	v_mov_b32_e32 v2, 0
	buffer_store_dword v1, off, s[0:3], s32 offset:508 ; 4-byte Folded Spill
	buffer_store_dword v2, off, s[0:3], s32 offset:512 ; 4-byte Folded Spill
	s_and_saveexec_b32 s17, s6
	s_cbranch_execz .LBB227_306
; %bb.299:                              ;   in Loop: Header=BB227_10 Depth=1
	v_bfrev_b32_e32 v1, 1
	v_mov_b32_e32 v2, 0
	buffer_store_dword v1, off, s[0:3], s32 offset:508 ; 4-byte Folded Spill
	buffer_store_dword v2, off, s[0:3], s32 offset:512 ; 4-byte Folded Spill
	v_mov_b32_e32 v1, 0x80
	v_cmp_ne_u16_sdwa s6, v0, v1 src0_sel:BYTE_0 src1_sel:DWORD
	s_and_saveexec_b32 s23, s6
	s_cbranch_execz .LBB227_305
; %bb.300:                              ;   in Loop: Header=BB227_10 Depth=1
	v_mov_b32_e32 v3, 0x7f800001
	v_and_b32_e32 v2, 0x7f, v0
	v_mov_b32_e32 v4, 0
	s_mov_b32 s24, exec_lo
	buffer_store_dword v3, off, s[0:3], s32 offset:508 ; 4-byte Folded Spill
	buffer_store_dword v4, off, s[0:3], s32 offset:512 ; 4-byte Folded Spill
	v_cmpx_ne_u32_e32 0x7f, v2
	s_cbranch_execz .LBB227_304
; %bb.301:                              ;   in Loop: Header=BB227_10 Depth=1
	v_and_b32_e32 v15, 7, v0
	v_lshrrev_b32_e32 v1, 3, v2
	s_mov_b32 s25, exec_lo
	v_cmpx_gt_u32_e32 8, v2
; %bb.302:                              ;   in Loop: Header=BB227_10 Depth=1
	v_ffbh_u32_e32 v1, v15
	v_min_u32_e32 v1, 32, v1
	v_subrev_nc_u32_e32 v2, 28, v1
	v_sub_nc_u32_e32 v1, 29, v1
	v_lshlrev_b64 v[2:3], v2, v[15:16]
	v_and_b32_e32 v15, 7, v2
; %bb.303:                              ;   in Loop: Header=BB227_10 Depth=1
	s_or_b32 exec_lo, exec_lo, s25
	v_lshlrev_b32_e32 v2, 24, v0
	v_lshlrev_b32_e32 v3, 20, v15
	v_lshl_add_u32 v1, v1, 23, 0x3c000000
	v_and_b32_e32 v2, 0x80000000, v2
	v_or3_b32 v15, v3, v2, v1
	buffer_store_dword v15, off, s[0:3], s32 offset:508 ; 4-byte Folded Spill
	buffer_store_dword v16, off, s[0:3], s32 offset:512 ; 4-byte Folded Spill
.LBB227_304:                            ;   in Loop: Header=BB227_10 Depth=1
	s_or_b32 exec_lo, exec_lo, s24
.LBB227_305:                            ;   in Loop: Header=BB227_10 Depth=1
	s_or_b32 exec_lo, exec_lo, s23
.LBB227_306:                            ;   in Loop: Header=BB227_10 Depth=1
	s_or_b32 exec_lo, exec_lo, s17
	v_cmp_ne_u16_sdwa s6, v0, v16 src0_sel:BYTE_1 src1_sel:DWORD
	s_and_saveexec_b32 s17, s6
	s_cbranch_execz .LBB227_314
; %bb.307:                              ;   in Loop: Header=BB227_10 Depth=1
	v_mov_b32_e32 v1, 0x80
	v_mov_b32_e32 v102, v16
	buffer_store_dword v102, off, s[0:3], s32 offset:516 ; 4-byte Folded Spill
	buffer_store_dword v103, off, s[0:3], s32 offset:520 ; 4-byte Folded Spill
	v_cmp_ne_u16_sdwa s6, v0, v1 src0_sel:BYTE_1 src1_sel:DWORD
	s_and_saveexec_b32 s23, s6
	s_cbranch_execz .LBB227_313
; %bb.308:                              ;   in Loop: Header=BB227_10 Depth=1
	s_clause 0x1
	buffer_load_dword v3, off, s[0:3], s32 offset:192
	buffer_load_dword v4, off, s[0:3], s32 offset:196
	v_mov_b32_e32 v1, 0xffff
	s_mov_b32 s24, exec_lo
	v_and_b32_sdwa v1, v1, v0 dst_sel:DWORD dst_unused:UNUSED_PAD src0_sel:DWORD src1_sel:BYTE_1
	v_and_b32_e32 v2, 0x7f, v1
	s_waitcnt vmcnt(0)
	v_mov_b32_e32 v5, v4
	v_mov_b32_e32 v4, v16
	;; [unrolled: 1-line block ×3, first 2 shown]
	buffer_store_dword v2, off, s[0:3], s32 offset:192 ; 4-byte Folded Spill
	buffer_store_dword v3, off, s[0:3], s32 offset:196 ; 4-byte Folded Spill
	;; [unrolled: 1-line block ×4, first 2 shown]
	v_cmpx_ne_u32_e32 0x7f, v2
	s_cbranch_execz .LBB227_312
; %bb.309:                              ;   in Loop: Header=BB227_10 Depth=1
	v_and_b32_e32 v15, 7, v1
	v_lshrrev_b32_e32 v1, 3, v2
	s_mov_b32 s25, exec_lo
	v_cmpx_gt_u32_e32 8, v2
; %bb.310:                              ;   in Loop: Header=BB227_10 Depth=1
	v_ffbh_u32_e32 v1, v15
	v_min_u32_e32 v1, 32, v1
	v_subrev_nc_u32_e32 v2, 28, v1
	v_sub_nc_u32_e32 v1, 29, v1
	v_lshlrev_b64 v[2:3], v2, v[15:16]
	v_and_b32_e32 v15, 7, v2
; %bb.311:                              ;   in Loop: Header=BB227_10 Depth=1
	s_or_b32 exec_lo, exec_lo, s25
	v_lshlrev_b32_e32 v0, 16, v0
	v_lshlrev_b32_e32 v2, 20, v15
	v_lshl_add_u32 v1, v1, 23, 0x3c000000
	v_and_b32_e32 v0, 0x80000000, v0
	v_or3_b32 v1, v2, v0, v1
	v_mov_b32_e32 v0, v16
	buffer_store_dword v0, off, s[0:3], s32 offset:516 ; 4-byte Folded Spill
	buffer_store_dword v1, off, s[0:3], s32 offset:520 ; 4-byte Folded Spill
.LBB227_312:                            ;   in Loop: Header=BB227_10 Depth=1
	s_or_b32 exec_lo, exec_lo, s24
.LBB227_313:                            ;   in Loop: Header=BB227_10 Depth=1
	s_or_b32 exec_lo, exec_lo, s23
.LBB227_314:                            ;   in Loop: Header=BB227_10 Depth=1
	s_or_b32 exec_lo, exec_lo, s17
	flat_load_ushort v1, v[34:35] offset:1036
	s_waitcnt vmcnt(0) lgkmcnt(0)
	v_and_b32_e32 v0, 0xffff, v1
	v_cmp_ne_u16_sdwa s6, v1, v16 src0_sel:BYTE_0 src1_sel:DWORD
	v_mov_b32_e32 v1, 0
	v_mov_b32_e32 v2, 0
	buffer_store_dword v1, off, s[0:3], s32 offset:532 ; 4-byte Folded Spill
	buffer_store_dword v2, off, s[0:3], s32 offset:536 ; 4-byte Folded Spill
	v_mov_b32_e32 v1, 0
	v_mov_b32_e32 v2, 0
	buffer_store_dword v1, off, s[0:3], s32 offset:524 ; 4-byte Folded Spill
	buffer_store_dword v2, off, s[0:3], s32 offset:528 ; 4-byte Folded Spill
	s_and_saveexec_b32 s17, s6
	s_cbranch_execz .LBB227_322
; %bb.315:                              ;   in Loop: Header=BB227_10 Depth=1
	v_bfrev_b32_e32 v1, 1
	v_mov_b32_e32 v2, 0
	buffer_store_dword v1, off, s[0:3], s32 offset:524 ; 4-byte Folded Spill
	buffer_store_dword v2, off, s[0:3], s32 offset:528 ; 4-byte Folded Spill
	v_mov_b32_e32 v1, 0x80
	v_cmp_ne_u16_sdwa s6, v0, v1 src0_sel:BYTE_0 src1_sel:DWORD
	s_and_saveexec_b32 s23, s6
	s_cbranch_execz .LBB227_321
; %bb.316:                              ;   in Loop: Header=BB227_10 Depth=1
	v_mov_b32_e32 v3, 0x7f800001
	v_and_b32_e32 v2, 0x7f, v0
	v_mov_b32_e32 v4, 0
	s_mov_b32 s24, exec_lo
	buffer_store_dword v3, off, s[0:3], s32 offset:524 ; 4-byte Folded Spill
	buffer_store_dword v4, off, s[0:3], s32 offset:528 ; 4-byte Folded Spill
	v_cmpx_ne_u32_e32 0x7f, v2
	s_cbranch_execz .LBB227_320
; %bb.317:                              ;   in Loop: Header=BB227_10 Depth=1
	v_and_b32_e32 v15, 7, v0
	v_lshrrev_b32_e32 v1, 3, v2
	s_mov_b32 s25, exec_lo
	v_cmpx_gt_u32_e32 8, v2
; %bb.318:                              ;   in Loop: Header=BB227_10 Depth=1
	v_ffbh_u32_e32 v1, v15
	v_min_u32_e32 v1, 32, v1
	v_subrev_nc_u32_e32 v2, 28, v1
	v_sub_nc_u32_e32 v1, 29, v1
	v_lshlrev_b64 v[2:3], v2, v[15:16]
	v_and_b32_e32 v15, 7, v2
; %bb.319:                              ;   in Loop: Header=BB227_10 Depth=1
	s_or_b32 exec_lo, exec_lo, s25
	v_lshlrev_b32_e32 v2, 24, v0
	v_lshlrev_b32_e32 v3, 20, v15
	v_lshl_add_u32 v1, v1, 23, 0x3c000000
	v_and_b32_e32 v2, 0x80000000, v2
	v_or3_b32 v15, v3, v2, v1
	buffer_store_dword v15, off, s[0:3], s32 offset:524 ; 4-byte Folded Spill
	buffer_store_dword v16, off, s[0:3], s32 offset:528 ; 4-byte Folded Spill
.LBB227_320:                            ;   in Loop: Header=BB227_10 Depth=1
	s_or_b32 exec_lo, exec_lo, s24
.LBB227_321:                            ;   in Loop: Header=BB227_10 Depth=1
	s_or_b32 exec_lo, exec_lo, s23
.LBB227_322:                            ;   in Loop: Header=BB227_10 Depth=1
	s_or_b32 exec_lo, exec_lo, s17
	v_cmp_ne_u16_sdwa s6, v0, v16 src0_sel:BYTE_1 src1_sel:DWORD
	s_and_saveexec_b32 s17, s6
	s_cbranch_execz .LBB227_330
; %bb.323:                              ;   in Loop: Header=BB227_10 Depth=1
	v_mov_b32_e32 v1, 0x80
	v_mov_b32_e32 v102, v16
	buffer_store_dword v102, off, s[0:3], s32 offset:532 ; 4-byte Folded Spill
	buffer_store_dword v103, off, s[0:3], s32 offset:536 ; 4-byte Folded Spill
	v_cmp_ne_u16_sdwa s6, v0, v1 src0_sel:BYTE_1 src1_sel:DWORD
	s_and_saveexec_b32 s23, s6
	s_cbranch_execz .LBB227_329
; %bb.324:                              ;   in Loop: Header=BB227_10 Depth=1
	s_clause 0x1
	buffer_load_dword v3, off, s[0:3], s32 offset:192
	buffer_load_dword v4, off, s[0:3], s32 offset:196
	v_mov_b32_e32 v1, 0xffff
	s_mov_b32 s24, exec_lo
	v_and_b32_sdwa v1, v1, v0 dst_sel:DWORD dst_unused:UNUSED_PAD src0_sel:DWORD src1_sel:BYTE_1
	v_and_b32_e32 v2, 0x7f, v1
	s_waitcnt vmcnt(0)
	v_mov_b32_e32 v5, v4
	v_mov_b32_e32 v4, v16
	;; [unrolled: 1-line block ×3, first 2 shown]
	buffer_store_dword v2, off, s[0:3], s32 offset:192 ; 4-byte Folded Spill
	buffer_store_dword v3, off, s[0:3], s32 offset:196 ; 4-byte Folded Spill
	;; [unrolled: 1-line block ×4, first 2 shown]
	v_cmpx_ne_u32_e32 0x7f, v2
	s_cbranch_execz .LBB227_328
; %bb.325:                              ;   in Loop: Header=BB227_10 Depth=1
	v_and_b32_e32 v15, 7, v1
	v_lshrrev_b32_e32 v1, 3, v2
	s_mov_b32 s25, exec_lo
	v_cmpx_gt_u32_e32 8, v2
; %bb.326:                              ;   in Loop: Header=BB227_10 Depth=1
	v_ffbh_u32_e32 v1, v15
	v_min_u32_e32 v1, 32, v1
	v_subrev_nc_u32_e32 v2, 28, v1
	v_sub_nc_u32_e32 v1, 29, v1
	v_lshlrev_b64 v[2:3], v2, v[15:16]
	v_and_b32_e32 v15, 7, v2
; %bb.327:                              ;   in Loop: Header=BB227_10 Depth=1
	s_or_b32 exec_lo, exec_lo, s25
	v_lshlrev_b32_e32 v0, 16, v0
	v_lshlrev_b32_e32 v2, 20, v15
	v_lshl_add_u32 v1, v1, 23, 0x3c000000
	v_and_b32_e32 v0, 0x80000000, v0
	v_or3_b32 v1, v2, v0, v1
	v_mov_b32_e32 v0, v16
	buffer_store_dword v0, off, s[0:3], s32 offset:532 ; 4-byte Folded Spill
	buffer_store_dword v1, off, s[0:3], s32 offset:536 ; 4-byte Folded Spill
.LBB227_328:                            ;   in Loop: Header=BB227_10 Depth=1
	s_or_b32 exec_lo, exec_lo, s24
.LBB227_329:                            ;   in Loop: Header=BB227_10 Depth=1
	s_or_b32 exec_lo, exec_lo, s23
.LBB227_330:                            ;   in Loop: Header=BB227_10 Depth=1
	s_or_b32 exec_lo, exec_lo, s17
	flat_load_ushort v1, v[34:35] offset:1280
	s_waitcnt vmcnt(0) lgkmcnt(0)
	v_and_b32_e32 v0, 0xffff, v1
	v_cmp_ne_u16_sdwa s6, v1, v16 src0_sel:BYTE_0 src1_sel:DWORD
	v_mov_b32_e32 v1, 0
	v_mov_b32_e32 v2, 0
	buffer_store_dword v1, off, s[0:3], s32 offset:548 ; 4-byte Folded Spill
	buffer_store_dword v2, off, s[0:3], s32 offset:552 ; 4-byte Folded Spill
	v_mov_b32_e32 v1, 0
	v_mov_b32_e32 v2, 0
	buffer_store_dword v1, off, s[0:3], s32 offset:540 ; 4-byte Folded Spill
	buffer_store_dword v2, off, s[0:3], s32 offset:544 ; 4-byte Folded Spill
	s_and_saveexec_b32 s17, s6
	s_cbranch_execz .LBB227_338
; %bb.331:                              ;   in Loop: Header=BB227_10 Depth=1
	v_bfrev_b32_e32 v1, 1
	v_mov_b32_e32 v2, 0
	buffer_store_dword v1, off, s[0:3], s32 offset:540 ; 4-byte Folded Spill
	buffer_store_dword v2, off, s[0:3], s32 offset:544 ; 4-byte Folded Spill
	v_mov_b32_e32 v1, 0x80
	v_cmp_ne_u16_sdwa s6, v0, v1 src0_sel:BYTE_0 src1_sel:DWORD
	s_and_saveexec_b32 s23, s6
	s_cbranch_execz .LBB227_337
; %bb.332:                              ;   in Loop: Header=BB227_10 Depth=1
	v_mov_b32_e32 v3, 0x7f800001
	v_and_b32_e32 v2, 0x7f, v0
	v_mov_b32_e32 v4, 0
	s_mov_b32 s24, exec_lo
	buffer_store_dword v3, off, s[0:3], s32 offset:540 ; 4-byte Folded Spill
	buffer_store_dword v4, off, s[0:3], s32 offset:544 ; 4-byte Folded Spill
	v_cmpx_ne_u32_e32 0x7f, v2
	s_cbranch_execz .LBB227_336
; %bb.333:                              ;   in Loop: Header=BB227_10 Depth=1
	v_and_b32_e32 v15, 7, v0
	v_lshrrev_b32_e32 v1, 3, v2
	s_mov_b32 s25, exec_lo
	v_cmpx_gt_u32_e32 8, v2
; %bb.334:                              ;   in Loop: Header=BB227_10 Depth=1
	v_ffbh_u32_e32 v1, v15
	v_min_u32_e32 v1, 32, v1
	v_subrev_nc_u32_e32 v2, 28, v1
	v_sub_nc_u32_e32 v1, 29, v1
	v_lshlrev_b64 v[2:3], v2, v[15:16]
	v_and_b32_e32 v15, 7, v2
; %bb.335:                              ;   in Loop: Header=BB227_10 Depth=1
	s_or_b32 exec_lo, exec_lo, s25
	v_lshlrev_b32_e32 v2, 24, v0
	v_lshlrev_b32_e32 v3, 20, v15
	v_lshl_add_u32 v1, v1, 23, 0x3c000000
	v_and_b32_e32 v2, 0x80000000, v2
	v_or3_b32 v15, v3, v2, v1
	buffer_store_dword v15, off, s[0:3], s32 offset:540 ; 4-byte Folded Spill
	buffer_store_dword v16, off, s[0:3], s32 offset:544 ; 4-byte Folded Spill
.LBB227_336:                            ;   in Loop: Header=BB227_10 Depth=1
	s_or_b32 exec_lo, exec_lo, s24
.LBB227_337:                            ;   in Loop: Header=BB227_10 Depth=1
	s_or_b32 exec_lo, exec_lo, s23
.LBB227_338:                            ;   in Loop: Header=BB227_10 Depth=1
	s_or_b32 exec_lo, exec_lo, s17
	v_cmp_ne_u16_sdwa s6, v0, v16 src0_sel:BYTE_1 src1_sel:DWORD
	s_and_saveexec_b32 s17, s6
	s_cbranch_execz .LBB227_346
; %bb.339:                              ;   in Loop: Header=BB227_10 Depth=1
	v_mov_b32_e32 v1, 0x80
	v_mov_b32_e32 v102, v16
	buffer_store_dword v102, off, s[0:3], s32 offset:548 ; 4-byte Folded Spill
	buffer_store_dword v103, off, s[0:3], s32 offset:552 ; 4-byte Folded Spill
	v_cmp_ne_u16_sdwa s6, v0, v1 src0_sel:BYTE_1 src1_sel:DWORD
	s_and_saveexec_b32 s23, s6
	s_cbranch_execz .LBB227_345
; %bb.340:                              ;   in Loop: Header=BB227_10 Depth=1
	s_clause 0x1
	buffer_load_dword v3, off, s[0:3], s32 offset:192
	buffer_load_dword v4, off, s[0:3], s32 offset:196
	v_mov_b32_e32 v1, 0xffff
	s_mov_b32 s24, exec_lo
	v_and_b32_sdwa v1, v1, v0 dst_sel:DWORD dst_unused:UNUSED_PAD src0_sel:DWORD src1_sel:BYTE_1
	v_and_b32_e32 v2, 0x7f, v1
	s_waitcnt vmcnt(0)
	v_mov_b32_e32 v5, v4
	v_mov_b32_e32 v4, v16
	;; [unrolled: 1-line block ×3, first 2 shown]
	buffer_store_dword v2, off, s[0:3], s32 offset:192 ; 4-byte Folded Spill
	buffer_store_dword v3, off, s[0:3], s32 offset:196 ; 4-byte Folded Spill
	;; [unrolled: 1-line block ×4, first 2 shown]
	v_cmpx_ne_u32_e32 0x7f, v2
	s_cbranch_execz .LBB227_344
; %bb.341:                              ;   in Loop: Header=BB227_10 Depth=1
	v_and_b32_e32 v15, 7, v1
	v_lshrrev_b32_e32 v1, 3, v2
	s_mov_b32 s25, exec_lo
	v_cmpx_gt_u32_e32 8, v2
; %bb.342:                              ;   in Loop: Header=BB227_10 Depth=1
	v_ffbh_u32_e32 v1, v15
	v_min_u32_e32 v1, 32, v1
	v_subrev_nc_u32_e32 v2, 28, v1
	v_sub_nc_u32_e32 v1, 29, v1
	v_lshlrev_b64 v[2:3], v2, v[15:16]
	v_and_b32_e32 v15, 7, v2
; %bb.343:                              ;   in Loop: Header=BB227_10 Depth=1
	s_or_b32 exec_lo, exec_lo, s25
	v_lshlrev_b32_e32 v0, 16, v0
	v_lshlrev_b32_e32 v2, 20, v15
	v_lshl_add_u32 v1, v1, 23, 0x3c000000
	v_and_b32_e32 v0, 0x80000000, v0
	v_or3_b32 v1, v2, v0, v1
	v_mov_b32_e32 v0, v16
	buffer_store_dword v0, off, s[0:3], s32 offset:548 ; 4-byte Folded Spill
	buffer_store_dword v1, off, s[0:3], s32 offset:552 ; 4-byte Folded Spill
.LBB227_344:                            ;   in Loop: Header=BB227_10 Depth=1
	s_or_b32 exec_lo, exec_lo, s24
.LBB227_345:                            ;   in Loop: Header=BB227_10 Depth=1
	s_or_b32 exec_lo, exec_lo, s23
.LBB227_346:                            ;   in Loop: Header=BB227_10 Depth=1
	s_or_b32 exec_lo, exec_lo, s17
	flat_load_ushort v1, v[34:35] offset:1284
	s_waitcnt vmcnt(0) lgkmcnt(0)
	v_and_b32_e32 v0, 0xffff, v1
	v_cmp_ne_u16_sdwa s6, v1, v16 src0_sel:BYTE_0 src1_sel:DWORD
	v_mov_b32_e32 v1, 0
	v_mov_b32_e32 v2, 0
	buffer_store_dword v1, off, s[0:3], s32 offset:564 ; 4-byte Folded Spill
	buffer_store_dword v2, off, s[0:3], s32 offset:568 ; 4-byte Folded Spill
	v_mov_b32_e32 v1, 0
	v_mov_b32_e32 v2, 0
	buffer_store_dword v1, off, s[0:3], s32 offset:556 ; 4-byte Folded Spill
	buffer_store_dword v2, off, s[0:3], s32 offset:560 ; 4-byte Folded Spill
	s_and_saveexec_b32 s17, s6
	s_cbranch_execz .LBB227_354
; %bb.347:                              ;   in Loop: Header=BB227_10 Depth=1
	v_bfrev_b32_e32 v1, 1
	v_mov_b32_e32 v2, 0
	buffer_store_dword v1, off, s[0:3], s32 offset:556 ; 4-byte Folded Spill
	buffer_store_dword v2, off, s[0:3], s32 offset:560 ; 4-byte Folded Spill
	v_mov_b32_e32 v1, 0x80
	v_cmp_ne_u16_sdwa s6, v0, v1 src0_sel:BYTE_0 src1_sel:DWORD
	s_and_saveexec_b32 s23, s6
	s_cbranch_execz .LBB227_353
; %bb.348:                              ;   in Loop: Header=BB227_10 Depth=1
	v_mov_b32_e32 v3, 0x7f800001
	v_and_b32_e32 v2, 0x7f, v0
	v_mov_b32_e32 v4, 0
	s_mov_b32 s24, exec_lo
	buffer_store_dword v3, off, s[0:3], s32 offset:556 ; 4-byte Folded Spill
	buffer_store_dword v4, off, s[0:3], s32 offset:560 ; 4-byte Folded Spill
	v_cmpx_ne_u32_e32 0x7f, v2
	s_cbranch_execz .LBB227_352
; %bb.349:                              ;   in Loop: Header=BB227_10 Depth=1
	v_and_b32_e32 v15, 7, v0
	v_lshrrev_b32_e32 v1, 3, v2
	s_mov_b32 s25, exec_lo
	v_cmpx_gt_u32_e32 8, v2
; %bb.350:                              ;   in Loop: Header=BB227_10 Depth=1
	v_ffbh_u32_e32 v1, v15
	v_min_u32_e32 v1, 32, v1
	v_subrev_nc_u32_e32 v2, 28, v1
	v_sub_nc_u32_e32 v1, 29, v1
	v_lshlrev_b64 v[2:3], v2, v[15:16]
	v_and_b32_e32 v15, 7, v2
; %bb.351:                              ;   in Loop: Header=BB227_10 Depth=1
	s_or_b32 exec_lo, exec_lo, s25
	v_lshlrev_b32_e32 v2, 24, v0
	v_lshlrev_b32_e32 v3, 20, v15
	v_lshl_add_u32 v1, v1, 23, 0x3c000000
	v_and_b32_e32 v2, 0x80000000, v2
	v_or3_b32 v15, v3, v2, v1
	buffer_store_dword v15, off, s[0:3], s32 offset:556 ; 4-byte Folded Spill
	buffer_store_dword v16, off, s[0:3], s32 offset:560 ; 4-byte Folded Spill
.LBB227_352:                            ;   in Loop: Header=BB227_10 Depth=1
	s_or_b32 exec_lo, exec_lo, s24
.LBB227_353:                            ;   in Loop: Header=BB227_10 Depth=1
	s_or_b32 exec_lo, exec_lo, s23
.LBB227_354:                            ;   in Loop: Header=BB227_10 Depth=1
	s_or_b32 exec_lo, exec_lo, s17
	v_cmp_ne_u16_sdwa s6, v0, v16 src0_sel:BYTE_1 src1_sel:DWORD
	s_and_saveexec_b32 s17, s6
	s_cbranch_execz .LBB227_362
; %bb.355:                              ;   in Loop: Header=BB227_10 Depth=1
	v_mov_b32_e32 v1, 0x80
	v_mov_b32_e32 v102, v16
	buffer_store_dword v102, off, s[0:3], s32 offset:564 ; 4-byte Folded Spill
	buffer_store_dword v103, off, s[0:3], s32 offset:568 ; 4-byte Folded Spill
	v_cmp_ne_u16_sdwa s6, v0, v1 src0_sel:BYTE_1 src1_sel:DWORD
	s_and_saveexec_b32 s23, s6
	s_cbranch_execz .LBB227_361
; %bb.356:                              ;   in Loop: Header=BB227_10 Depth=1
	s_clause 0x1
	buffer_load_dword v3, off, s[0:3], s32 offset:192
	buffer_load_dword v4, off, s[0:3], s32 offset:196
	v_mov_b32_e32 v1, 0xffff
	s_mov_b32 s24, exec_lo
	v_and_b32_sdwa v1, v1, v0 dst_sel:DWORD dst_unused:UNUSED_PAD src0_sel:DWORD src1_sel:BYTE_1
	v_and_b32_e32 v2, 0x7f, v1
	s_waitcnt vmcnt(0)
	v_mov_b32_e32 v5, v4
	v_mov_b32_e32 v4, v16
	;; [unrolled: 1-line block ×3, first 2 shown]
	buffer_store_dword v2, off, s[0:3], s32 offset:192 ; 4-byte Folded Spill
	buffer_store_dword v3, off, s[0:3], s32 offset:196 ; 4-byte Folded Spill
	;; [unrolled: 1-line block ×4, first 2 shown]
	v_cmpx_ne_u32_e32 0x7f, v2
	s_cbranch_execz .LBB227_360
; %bb.357:                              ;   in Loop: Header=BB227_10 Depth=1
	v_and_b32_e32 v15, 7, v1
	v_lshrrev_b32_e32 v1, 3, v2
	s_mov_b32 s25, exec_lo
	v_cmpx_gt_u32_e32 8, v2
; %bb.358:                              ;   in Loop: Header=BB227_10 Depth=1
	v_ffbh_u32_e32 v1, v15
	v_min_u32_e32 v1, 32, v1
	v_subrev_nc_u32_e32 v2, 28, v1
	v_sub_nc_u32_e32 v1, 29, v1
	v_lshlrev_b64 v[2:3], v2, v[15:16]
	v_and_b32_e32 v15, 7, v2
; %bb.359:                              ;   in Loop: Header=BB227_10 Depth=1
	s_or_b32 exec_lo, exec_lo, s25
	v_lshlrev_b32_e32 v0, 16, v0
	v_lshlrev_b32_e32 v2, 20, v15
	v_lshl_add_u32 v1, v1, 23, 0x3c000000
	v_and_b32_e32 v0, 0x80000000, v0
	v_or3_b32 v1, v2, v0, v1
	v_mov_b32_e32 v0, v16
	buffer_store_dword v0, off, s[0:3], s32 offset:564 ; 4-byte Folded Spill
	buffer_store_dword v1, off, s[0:3], s32 offset:568 ; 4-byte Folded Spill
.LBB227_360:                            ;   in Loop: Header=BB227_10 Depth=1
	s_or_b32 exec_lo, exec_lo, s24
.LBB227_361:                            ;   in Loop: Header=BB227_10 Depth=1
	s_or_b32 exec_lo, exec_lo, s23
.LBB227_362:                            ;   in Loop: Header=BB227_10 Depth=1
	s_or_b32 exec_lo, exec_lo, s17
	flat_load_ushort v1, v[34:35] offset:1288
	s_waitcnt vmcnt(0) lgkmcnt(0)
	v_and_b32_e32 v0, 0xffff, v1
	v_cmp_ne_u16_sdwa s6, v1, v16 src0_sel:BYTE_0 src1_sel:DWORD
	v_mov_b32_e32 v1, 0
	v_mov_b32_e32 v2, 0
	buffer_store_dword v1, off, s[0:3], s32 offset:580 ; 4-byte Folded Spill
	buffer_store_dword v2, off, s[0:3], s32 offset:584 ; 4-byte Folded Spill
	v_mov_b32_e32 v1, 0
	v_mov_b32_e32 v2, 0
	buffer_store_dword v1, off, s[0:3], s32 offset:572 ; 4-byte Folded Spill
	buffer_store_dword v2, off, s[0:3], s32 offset:576 ; 4-byte Folded Spill
	s_and_saveexec_b32 s17, s6
	s_cbranch_execz .LBB227_370
; %bb.363:                              ;   in Loop: Header=BB227_10 Depth=1
	v_bfrev_b32_e32 v1, 1
	v_mov_b32_e32 v2, 0
	buffer_store_dword v1, off, s[0:3], s32 offset:572 ; 4-byte Folded Spill
	buffer_store_dword v2, off, s[0:3], s32 offset:576 ; 4-byte Folded Spill
	v_mov_b32_e32 v1, 0x80
	v_cmp_ne_u16_sdwa s6, v0, v1 src0_sel:BYTE_0 src1_sel:DWORD
	s_and_saveexec_b32 s23, s6
	s_cbranch_execz .LBB227_369
; %bb.364:                              ;   in Loop: Header=BB227_10 Depth=1
	v_mov_b32_e32 v3, 0x7f800001
	v_and_b32_e32 v2, 0x7f, v0
	v_mov_b32_e32 v4, 0
	s_mov_b32 s24, exec_lo
	buffer_store_dword v3, off, s[0:3], s32 offset:572 ; 4-byte Folded Spill
	buffer_store_dword v4, off, s[0:3], s32 offset:576 ; 4-byte Folded Spill
	v_cmpx_ne_u32_e32 0x7f, v2
	s_cbranch_execz .LBB227_368
; %bb.365:                              ;   in Loop: Header=BB227_10 Depth=1
	v_and_b32_e32 v15, 7, v0
	v_lshrrev_b32_e32 v1, 3, v2
	s_mov_b32 s25, exec_lo
	v_cmpx_gt_u32_e32 8, v2
; %bb.366:                              ;   in Loop: Header=BB227_10 Depth=1
	v_ffbh_u32_e32 v1, v15
	v_min_u32_e32 v1, 32, v1
	v_subrev_nc_u32_e32 v2, 28, v1
	v_sub_nc_u32_e32 v1, 29, v1
	v_lshlrev_b64 v[2:3], v2, v[15:16]
	v_and_b32_e32 v15, 7, v2
; %bb.367:                              ;   in Loop: Header=BB227_10 Depth=1
	s_or_b32 exec_lo, exec_lo, s25
	v_lshlrev_b32_e32 v2, 24, v0
	v_lshlrev_b32_e32 v3, 20, v15
	v_lshl_add_u32 v1, v1, 23, 0x3c000000
	v_and_b32_e32 v2, 0x80000000, v2
	v_or3_b32 v15, v3, v2, v1
	buffer_store_dword v15, off, s[0:3], s32 offset:572 ; 4-byte Folded Spill
	buffer_store_dword v16, off, s[0:3], s32 offset:576 ; 4-byte Folded Spill
.LBB227_368:                            ;   in Loop: Header=BB227_10 Depth=1
	s_or_b32 exec_lo, exec_lo, s24
.LBB227_369:                            ;   in Loop: Header=BB227_10 Depth=1
	s_or_b32 exec_lo, exec_lo, s23
.LBB227_370:                            ;   in Loop: Header=BB227_10 Depth=1
	s_or_b32 exec_lo, exec_lo, s17
	v_cmp_ne_u16_sdwa s6, v0, v16 src0_sel:BYTE_1 src1_sel:DWORD
	s_and_saveexec_b32 s17, s6
	s_cbranch_execz .LBB227_378
; %bb.371:                              ;   in Loop: Header=BB227_10 Depth=1
	v_mov_b32_e32 v1, 0x80
	v_mov_b32_e32 v102, v16
	buffer_store_dword v102, off, s[0:3], s32 offset:580 ; 4-byte Folded Spill
	buffer_store_dword v103, off, s[0:3], s32 offset:584 ; 4-byte Folded Spill
	v_cmp_ne_u16_sdwa s6, v0, v1 src0_sel:BYTE_1 src1_sel:DWORD
	s_and_saveexec_b32 s23, s6
	s_cbranch_execz .LBB227_377
; %bb.372:                              ;   in Loop: Header=BB227_10 Depth=1
	s_clause 0x1
	buffer_load_dword v3, off, s[0:3], s32 offset:192
	buffer_load_dword v4, off, s[0:3], s32 offset:196
	v_mov_b32_e32 v1, 0xffff
	s_mov_b32 s24, exec_lo
	v_and_b32_sdwa v1, v1, v0 dst_sel:DWORD dst_unused:UNUSED_PAD src0_sel:DWORD src1_sel:BYTE_1
	v_and_b32_e32 v2, 0x7f, v1
	s_waitcnt vmcnt(0)
	v_mov_b32_e32 v5, v4
	v_mov_b32_e32 v4, v16
	;; [unrolled: 1-line block ×3, first 2 shown]
	buffer_store_dword v2, off, s[0:3], s32 offset:192 ; 4-byte Folded Spill
	buffer_store_dword v3, off, s[0:3], s32 offset:196 ; 4-byte Folded Spill
	buffer_store_dword v4, off, s[0:3], s32 offset:580 ; 4-byte Folded Spill
	buffer_store_dword v5, off, s[0:3], s32 offset:584 ; 4-byte Folded Spill
	v_cmpx_ne_u32_e32 0x7f, v2
	s_cbranch_execz .LBB227_376
; %bb.373:                              ;   in Loop: Header=BB227_10 Depth=1
	v_and_b32_e32 v15, 7, v1
	v_lshrrev_b32_e32 v1, 3, v2
	s_mov_b32 s25, exec_lo
	v_cmpx_gt_u32_e32 8, v2
; %bb.374:                              ;   in Loop: Header=BB227_10 Depth=1
	v_ffbh_u32_e32 v1, v15
	v_min_u32_e32 v1, 32, v1
	v_subrev_nc_u32_e32 v2, 28, v1
	v_sub_nc_u32_e32 v1, 29, v1
	v_lshlrev_b64 v[2:3], v2, v[15:16]
	v_and_b32_e32 v15, 7, v2
; %bb.375:                              ;   in Loop: Header=BB227_10 Depth=1
	s_or_b32 exec_lo, exec_lo, s25
	v_lshlrev_b32_e32 v0, 16, v0
	v_lshlrev_b32_e32 v2, 20, v15
	v_lshl_add_u32 v1, v1, 23, 0x3c000000
	v_and_b32_e32 v0, 0x80000000, v0
	v_or3_b32 v1, v2, v0, v1
	v_mov_b32_e32 v0, v16
	buffer_store_dword v0, off, s[0:3], s32 offset:580 ; 4-byte Folded Spill
	buffer_store_dword v1, off, s[0:3], s32 offset:584 ; 4-byte Folded Spill
.LBB227_376:                            ;   in Loop: Header=BB227_10 Depth=1
	s_or_b32 exec_lo, exec_lo, s24
.LBB227_377:                            ;   in Loop: Header=BB227_10 Depth=1
	s_or_b32 exec_lo, exec_lo, s23
.LBB227_378:                            ;   in Loop: Header=BB227_10 Depth=1
	s_or_b32 exec_lo, exec_lo, s17
	flat_load_ushort v1, v[34:35] offset:1292
	s_waitcnt vmcnt(0) lgkmcnt(0)
	v_and_b32_e32 v0, 0xffff, v1
	v_cmp_ne_u16_sdwa s6, v1, v16 src0_sel:BYTE_0 src1_sel:DWORD
	v_mov_b32_e32 v1, 0
	v_mov_b32_e32 v2, 0
	buffer_store_dword v1, off, s[0:3], s32 offset:596 ; 4-byte Folded Spill
	buffer_store_dword v2, off, s[0:3], s32 offset:600 ; 4-byte Folded Spill
	v_mov_b32_e32 v1, 0
	v_mov_b32_e32 v2, 0
	buffer_store_dword v1, off, s[0:3], s32 offset:588 ; 4-byte Folded Spill
	buffer_store_dword v2, off, s[0:3], s32 offset:592 ; 4-byte Folded Spill
	s_and_saveexec_b32 s17, s6
	s_cbranch_execz .LBB227_386
; %bb.379:                              ;   in Loop: Header=BB227_10 Depth=1
	v_bfrev_b32_e32 v1, 1
	v_mov_b32_e32 v2, 0
	buffer_store_dword v1, off, s[0:3], s32 offset:588 ; 4-byte Folded Spill
	buffer_store_dword v2, off, s[0:3], s32 offset:592 ; 4-byte Folded Spill
	v_mov_b32_e32 v1, 0x80
	v_cmp_ne_u16_sdwa s6, v0, v1 src0_sel:BYTE_0 src1_sel:DWORD
	s_and_saveexec_b32 s23, s6
	s_cbranch_execz .LBB227_385
; %bb.380:                              ;   in Loop: Header=BB227_10 Depth=1
	v_mov_b32_e32 v3, 0x7f800001
	v_and_b32_e32 v2, 0x7f, v0
	v_mov_b32_e32 v4, 0
	s_mov_b32 s24, exec_lo
	buffer_store_dword v3, off, s[0:3], s32 offset:588 ; 4-byte Folded Spill
	buffer_store_dword v4, off, s[0:3], s32 offset:592 ; 4-byte Folded Spill
	v_cmpx_ne_u32_e32 0x7f, v2
	s_cbranch_execz .LBB227_384
; %bb.381:                              ;   in Loop: Header=BB227_10 Depth=1
	v_and_b32_e32 v15, 7, v0
	v_lshrrev_b32_e32 v1, 3, v2
	s_mov_b32 s25, exec_lo
	v_cmpx_gt_u32_e32 8, v2
; %bb.382:                              ;   in Loop: Header=BB227_10 Depth=1
	v_ffbh_u32_e32 v1, v15
	v_min_u32_e32 v1, 32, v1
	v_subrev_nc_u32_e32 v2, 28, v1
	v_sub_nc_u32_e32 v1, 29, v1
	v_lshlrev_b64 v[2:3], v2, v[15:16]
	v_and_b32_e32 v15, 7, v2
; %bb.383:                              ;   in Loop: Header=BB227_10 Depth=1
	s_or_b32 exec_lo, exec_lo, s25
	v_lshlrev_b32_e32 v2, 24, v0
	v_lshlrev_b32_e32 v3, 20, v15
	v_lshl_add_u32 v1, v1, 23, 0x3c000000
	v_and_b32_e32 v2, 0x80000000, v2
	v_or3_b32 v15, v3, v2, v1
	buffer_store_dword v15, off, s[0:3], s32 offset:588 ; 4-byte Folded Spill
	buffer_store_dword v16, off, s[0:3], s32 offset:592 ; 4-byte Folded Spill
.LBB227_384:                            ;   in Loop: Header=BB227_10 Depth=1
	s_or_b32 exec_lo, exec_lo, s24
.LBB227_385:                            ;   in Loop: Header=BB227_10 Depth=1
	s_or_b32 exec_lo, exec_lo, s23
.LBB227_386:                            ;   in Loop: Header=BB227_10 Depth=1
	s_or_b32 exec_lo, exec_lo, s17
	v_cmp_ne_u16_sdwa s6, v0, v16 src0_sel:BYTE_1 src1_sel:DWORD
	s_and_saveexec_b32 s17, s6
	s_cbranch_execz .LBB227_394
; %bb.387:                              ;   in Loop: Header=BB227_10 Depth=1
	v_mov_b32_e32 v1, 0x80
	v_mov_b32_e32 v102, v16
	buffer_store_dword v102, off, s[0:3], s32 offset:596 ; 4-byte Folded Spill
	buffer_store_dword v103, off, s[0:3], s32 offset:600 ; 4-byte Folded Spill
	v_cmp_ne_u16_sdwa s6, v0, v1 src0_sel:BYTE_1 src1_sel:DWORD
	s_and_saveexec_b32 s23, s6
	s_cbranch_execz .LBB227_393
; %bb.388:                              ;   in Loop: Header=BB227_10 Depth=1
	s_clause 0x1
	buffer_load_dword v3, off, s[0:3], s32 offset:192
	buffer_load_dword v4, off, s[0:3], s32 offset:196
	v_mov_b32_e32 v1, 0xffff
	s_mov_b32 s24, exec_lo
	v_and_b32_sdwa v1, v1, v0 dst_sel:DWORD dst_unused:UNUSED_PAD src0_sel:DWORD src1_sel:BYTE_1
	v_and_b32_e32 v2, 0x7f, v1
	s_waitcnt vmcnt(0)
	v_mov_b32_e32 v5, v4
	v_mov_b32_e32 v4, v16
	;; [unrolled: 1-line block ×3, first 2 shown]
	buffer_store_dword v2, off, s[0:3], s32 offset:192 ; 4-byte Folded Spill
	buffer_store_dword v3, off, s[0:3], s32 offset:196 ; 4-byte Folded Spill
	;; [unrolled: 1-line block ×4, first 2 shown]
	v_cmpx_ne_u32_e32 0x7f, v2
	s_cbranch_execz .LBB227_392
; %bb.389:                              ;   in Loop: Header=BB227_10 Depth=1
	v_and_b32_e32 v15, 7, v1
	v_lshrrev_b32_e32 v1, 3, v2
	s_mov_b32 s25, exec_lo
	v_cmpx_gt_u32_e32 8, v2
; %bb.390:                              ;   in Loop: Header=BB227_10 Depth=1
	v_ffbh_u32_e32 v1, v15
	v_min_u32_e32 v1, 32, v1
	v_subrev_nc_u32_e32 v2, 28, v1
	v_sub_nc_u32_e32 v1, 29, v1
	v_lshlrev_b64 v[2:3], v2, v[15:16]
	v_and_b32_e32 v15, 7, v2
; %bb.391:                              ;   in Loop: Header=BB227_10 Depth=1
	s_or_b32 exec_lo, exec_lo, s25
	v_lshlrev_b32_e32 v0, 16, v0
	v_lshlrev_b32_e32 v2, 20, v15
	v_lshl_add_u32 v1, v1, 23, 0x3c000000
	v_and_b32_e32 v0, 0x80000000, v0
	v_or3_b32 v1, v2, v0, v1
	v_mov_b32_e32 v0, v16
	buffer_store_dword v0, off, s[0:3], s32 offset:596 ; 4-byte Folded Spill
	buffer_store_dword v1, off, s[0:3], s32 offset:600 ; 4-byte Folded Spill
.LBB227_392:                            ;   in Loop: Header=BB227_10 Depth=1
	s_or_b32 exec_lo, exec_lo, s24
.LBB227_393:                            ;   in Loop: Header=BB227_10 Depth=1
	s_or_b32 exec_lo, exec_lo, s23
.LBB227_394:                            ;   in Loop: Header=BB227_10 Depth=1
	s_or_b32 exec_lo, exec_lo, s17
	flat_load_ushort v1, v[34:35] offset:1536
	s_waitcnt vmcnt(0) lgkmcnt(0)
	v_and_b32_e32 v0, 0xffff, v1
	v_cmp_ne_u16_sdwa s6, v1, v16 src0_sel:BYTE_0 src1_sel:DWORD
	v_mov_b32_e32 v1, 0
	v_mov_b32_e32 v2, 0
	buffer_store_dword v1, off, s[0:3], s32 offset:612 ; 4-byte Folded Spill
	buffer_store_dword v2, off, s[0:3], s32 offset:616 ; 4-byte Folded Spill
	v_mov_b32_e32 v1, 0
	v_mov_b32_e32 v2, 0
	buffer_store_dword v1, off, s[0:3], s32 offset:604 ; 4-byte Folded Spill
	buffer_store_dword v2, off, s[0:3], s32 offset:608 ; 4-byte Folded Spill
	s_and_saveexec_b32 s17, s6
	s_cbranch_execz .LBB227_402
; %bb.395:                              ;   in Loop: Header=BB227_10 Depth=1
	v_bfrev_b32_e32 v1, 1
	v_mov_b32_e32 v2, 0
	buffer_store_dword v1, off, s[0:3], s32 offset:604 ; 4-byte Folded Spill
	buffer_store_dword v2, off, s[0:3], s32 offset:608 ; 4-byte Folded Spill
	v_mov_b32_e32 v1, 0x80
	v_cmp_ne_u16_sdwa s6, v0, v1 src0_sel:BYTE_0 src1_sel:DWORD
	s_and_saveexec_b32 s23, s6
	s_cbranch_execz .LBB227_401
; %bb.396:                              ;   in Loop: Header=BB227_10 Depth=1
	v_mov_b32_e32 v3, 0x7f800001
	v_and_b32_e32 v2, 0x7f, v0
	v_mov_b32_e32 v4, 0
	s_mov_b32 s24, exec_lo
	buffer_store_dword v3, off, s[0:3], s32 offset:604 ; 4-byte Folded Spill
	buffer_store_dword v4, off, s[0:3], s32 offset:608 ; 4-byte Folded Spill
	v_cmpx_ne_u32_e32 0x7f, v2
	s_cbranch_execz .LBB227_400
; %bb.397:                              ;   in Loop: Header=BB227_10 Depth=1
	v_and_b32_e32 v15, 7, v0
	v_lshrrev_b32_e32 v1, 3, v2
	s_mov_b32 s25, exec_lo
	v_cmpx_gt_u32_e32 8, v2
; %bb.398:                              ;   in Loop: Header=BB227_10 Depth=1
	v_ffbh_u32_e32 v1, v15
	v_min_u32_e32 v1, 32, v1
	v_subrev_nc_u32_e32 v2, 28, v1
	v_sub_nc_u32_e32 v1, 29, v1
	v_lshlrev_b64 v[2:3], v2, v[15:16]
	v_and_b32_e32 v15, 7, v2
; %bb.399:                              ;   in Loop: Header=BB227_10 Depth=1
	s_or_b32 exec_lo, exec_lo, s25
	v_lshlrev_b32_e32 v2, 24, v0
	v_lshlrev_b32_e32 v3, 20, v15
	v_lshl_add_u32 v1, v1, 23, 0x3c000000
	v_and_b32_e32 v2, 0x80000000, v2
	v_or3_b32 v15, v3, v2, v1
	buffer_store_dword v15, off, s[0:3], s32 offset:604 ; 4-byte Folded Spill
	buffer_store_dword v16, off, s[0:3], s32 offset:608 ; 4-byte Folded Spill
.LBB227_400:                            ;   in Loop: Header=BB227_10 Depth=1
	s_or_b32 exec_lo, exec_lo, s24
.LBB227_401:                            ;   in Loop: Header=BB227_10 Depth=1
	s_or_b32 exec_lo, exec_lo, s23
.LBB227_402:                            ;   in Loop: Header=BB227_10 Depth=1
	s_or_b32 exec_lo, exec_lo, s17
	v_cmp_ne_u16_sdwa s6, v0, v16 src0_sel:BYTE_1 src1_sel:DWORD
	s_and_saveexec_b32 s17, s6
	s_cbranch_execz .LBB227_410
; %bb.403:                              ;   in Loop: Header=BB227_10 Depth=1
	v_mov_b32_e32 v1, 0x80
	v_mov_b32_e32 v102, v16
	buffer_store_dword v102, off, s[0:3], s32 offset:612 ; 4-byte Folded Spill
	buffer_store_dword v103, off, s[0:3], s32 offset:616 ; 4-byte Folded Spill
	v_cmp_ne_u16_sdwa s6, v0, v1 src0_sel:BYTE_1 src1_sel:DWORD
	s_and_saveexec_b32 s23, s6
	s_cbranch_execz .LBB227_409
; %bb.404:                              ;   in Loop: Header=BB227_10 Depth=1
	s_clause 0x1
	buffer_load_dword v3, off, s[0:3], s32 offset:192
	buffer_load_dword v4, off, s[0:3], s32 offset:196
	v_mov_b32_e32 v1, 0xffff
	s_mov_b32 s24, exec_lo
	v_and_b32_sdwa v1, v1, v0 dst_sel:DWORD dst_unused:UNUSED_PAD src0_sel:DWORD src1_sel:BYTE_1
	v_and_b32_e32 v2, 0x7f, v1
	s_waitcnt vmcnt(0)
	v_mov_b32_e32 v5, v4
	v_mov_b32_e32 v4, v16
	;; [unrolled: 1-line block ×3, first 2 shown]
	buffer_store_dword v2, off, s[0:3], s32 offset:192 ; 4-byte Folded Spill
	buffer_store_dword v3, off, s[0:3], s32 offset:196 ; 4-byte Folded Spill
	;; [unrolled: 1-line block ×4, first 2 shown]
	v_cmpx_ne_u32_e32 0x7f, v2
	s_cbranch_execz .LBB227_408
; %bb.405:                              ;   in Loop: Header=BB227_10 Depth=1
	v_and_b32_e32 v15, 7, v1
	v_lshrrev_b32_e32 v1, 3, v2
	s_mov_b32 s25, exec_lo
	v_cmpx_gt_u32_e32 8, v2
; %bb.406:                              ;   in Loop: Header=BB227_10 Depth=1
	v_ffbh_u32_e32 v1, v15
	v_min_u32_e32 v1, 32, v1
	v_subrev_nc_u32_e32 v2, 28, v1
	v_sub_nc_u32_e32 v1, 29, v1
	v_lshlrev_b64 v[2:3], v2, v[15:16]
	v_and_b32_e32 v15, 7, v2
; %bb.407:                              ;   in Loop: Header=BB227_10 Depth=1
	s_or_b32 exec_lo, exec_lo, s25
	v_lshlrev_b32_e32 v0, 16, v0
	v_lshlrev_b32_e32 v2, 20, v15
	v_lshl_add_u32 v1, v1, 23, 0x3c000000
	v_and_b32_e32 v0, 0x80000000, v0
	v_or3_b32 v1, v2, v0, v1
	v_mov_b32_e32 v0, v16
	buffer_store_dword v0, off, s[0:3], s32 offset:612 ; 4-byte Folded Spill
	buffer_store_dword v1, off, s[0:3], s32 offset:616 ; 4-byte Folded Spill
.LBB227_408:                            ;   in Loop: Header=BB227_10 Depth=1
	s_or_b32 exec_lo, exec_lo, s24
.LBB227_409:                            ;   in Loop: Header=BB227_10 Depth=1
	s_or_b32 exec_lo, exec_lo, s23
.LBB227_410:                            ;   in Loop: Header=BB227_10 Depth=1
	s_or_b32 exec_lo, exec_lo, s17
	flat_load_ushort v1, v[34:35] offset:1540
	s_waitcnt vmcnt(0) lgkmcnt(0)
	v_and_b32_e32 v0, 0xffff, v1
	v_cmp_ne_u16_sdwa s6, v1, v16 src0_sel:BYTE_0 src1_sel:DWORD
	v_mov_b32_e32 v1, 0
	v_mov_b32_e32 v2, 0
	buffer_store_dword v1, off, s[0:3], s32 offset:628 ; 4-byte Folded Spill
	buffer_store_dword v2, off, s[0:3], s32 offset:632 ; 4-byte Folded Spill
	v_mov_b32_e32 v1, 0
	v_mov_b32_e32 v2, 0
	buffer_store_dword v1, off, s[0:3], s32 offset:620 ; 4-byte Folded Spill
	buffer_store_dword v2, off, s[0:3], s32 offset:624 ; 4-byte Folded Spill
	s_and_saveexec_b32 s17, s6
	s_cbranch_execz .LBB227_418
; %bb.411:                              ;   in Loop: Header=BB227_10 Depth=1
	v_bfrev_b32_e32 v1, 1
	v_mov_b32_e32 v2, 0
	buffer_store_dword v1, off, s[0:3], s32 offset:620 ; 4-byte Folded Spill
	buffer_store_dword v2, off, s[0:3], s32 offset:624 ; 4-byte Folded Spill
	v_mov_b32_e32 v1, 0x80
	v_cmp_ne_u16_sdwa s6, v0, v1 src0_sel:BYTE_0 src1_sel:DWORD
	s_and_saveexec_b32 s23, s6
	s_cbranch_execz .LBB227_417
; %bb.412:                              ;   in Loop: Header=BB227_10 Depth=1
	v_mov_b32_e32 v3, 0x7f800001
	v_and_b32_e32 v2, 0x7f, v0
	v_mov_b32_e32 v4, 0
	s_mov_b32 s24, exec_lo
	buffer_store_dword v3, off, s[0:3], s32 offset:620 ; 4-byte Folded Spill
	buffer_store_dword v4, off, s[0:3], s32 offset:624 ; 4-byte Folded Spill
	v_cmpx_ne_u32_e32 0x7f, v2
	s_cbranch_execz .LBB227_416
; %bb.413:                              ;   in Loop: Header=BB227_10 Depth=1
	v_and_b32_e32 v15, 7, v0
	v_lshrrev_b32_e32 v1, 3, v2
	s_mov_b32 s25, exec_lo
	v_cmpx_gt_u32_e32 8, v2
; %bb.414:                              ;   in Loop: Header=BB227_10 Depth=1
	v_ffbh_u32_e32 v1, v15
	v_min_u32_e32 v1, 32, v1
	v_subrev_nc_u32_e32 v2, 28, v1
	v_sub_nc_u32_e32 v1, 29, v1
	v_lshlrev_b64 v[2:3], v2, v[15:16]
	v_and_b32_e32 v15, 7, v2
; %bb.415:                              ;   in Loop: Header=BB227_10 Depth=1
	s_or_b32 exec_lo, exec_lo, s25
	v_lshlrev_b32_e32 v2, 24, v0
	v_lshlrev_b32_e32 v3, 20, v15
	v_lshl_add_u32 v1, v1, 23, 0x3c000000
	v_and_b32_e32 v2, 0x80000000, v2
	v_or3_b32 v15, v3, v2, v1
	buffer_store_dword v15, off, s[0:3], s32 offset:620 ; 4-byte Folded Spill
	buffer_store_dword v16, off, s[0:3], s32 offset:624 ; 4-byte Folded Spill
.LBB227_416:                            ;   in Loop: Header=BB227_10 Depth=1
	s_or_b32 exec_lo, exec_lo, s24
.LBB227_417:                            ;   in Loop: Header=BB227_10 Depth=1
	s_or_b32 exec_lo, exec_lo, s23
.LBB227_418:                            ;   in Loop: Header=BB227_10 Depth=1
	s_or_b32 exec_lo, exec_lo, s17
	v_cmp_ne_u16_sdwa s6, v0, v16 src0_sel:BYTE_1 src1_sel:DWORD
	s_and_saveexec_b32 s17, s6
	s_cbranch_execz .LBB227_426
; %bb.419:                              ;   in Loop: Header=BB227_10 Depth=1
	v_mov_b32_e32 v1, 0x80
	v_mov_b32_e32 v102, v16
	buffer_store_dword v102, off, s[0:3], s32 offset:628 ; 4-byte Folded Spill
	buffer_store_dword v103, off, s[0:3], s32 offset:632 ; 4-byte Folded Spill
	v_cmp_ne_u16_sdwa s6, v0, v1 src0_sel:BYTE_1 src1_sel:DWORD
	s_and_saveexec_b32 s23, s6
	s_cbranch_execz .LBB227_425
; %bb.420:                              ;   in Loop: Header=BB227_10 Depth=1
	s_clause 0x1
	buffer_load_dword v3, off, s[0:3], s32 offset:192
	buffer_load_dword v4, off, s[0:3], s32 offset:196
	v_mov_b32_e32 v1, 0xffff
	s_mov_b32 s24, exec_lo
	v_and_b32_sdwa v1, v1, v0 dst_sel:DWORD dst_unused:UNUSED_PAD src0_sel:DWORD src1_sel:BYTE_1
	v_and_b32_e32 v2, 0x7f, v1
	s_waitcnt vmcnt(0)
	v_mov_b32_e32 v5, v4
	v_mov_b32_e32 v4, v16
	;; [unrolled: 1-line block ×3, first 2 shown]
	buffer_store_dword v2, off, s[0:3], s32 offset:192 ; 4-byte Folded Spill
	buffer_store_dword v3, off, s[0:3], s32 offset:196 ; 4-byte Folded Spill
	;; [unrolled: 1-line block ×4, first 2 shown]
	v_cmpx_ne_u32_e32 0x7f, v2
	s_cbranch_execz .LBB227_424
; %bb.421:                              ;   in Loop: Header=BB227_10 Depth=1
	v_and_b32_e32 v15, 7, v1
	v_lshrrev_b32_e32 v1, 3, v2
	s_mov_b32 s25, exec_lo
	v_cmpx_gt_u32_e32 8, v2
; %bb.422:                              ;   in Loop: Header=BB227_10 Depth=1
	v_ffbh_u32_e32 v1, v15
	v_min_u32_e32 v1, 32, v1
	v_subrev_nc_u32_e32 v2, 28, v1
	v_sub_nc_u32_e32 v1, 29, v1
	v_lshlrev_b64 v[2:3], v2, v[15:16]
	v_and_b32_e32 v15, 7, v2
; %bb.423:                              ;   in Loop: Header=BB227_10 Depth=1
	s_or_b32 exec_lo, exec_lo, s25
	v_lshlrev_b32_e32 v0, 16, v0
	v_lshlrev_b32_e32 v2, 20, v15
	v_lshl_add_u32 v1, v1, 23, 0x3c000000
	v_and_b32_e32 v0, 0x80000000, v0
	v_or3_b32 v1, v2, v0, v1
	v_mov_b32_e32 v0, v16
	buffer_store_dword v0, off, s[0:3], s32 offset:628 ; 4-byte Folded Spill
	buffer_store_dword v1, off, s[0:3], s32 offset:632 ; 4-byte Folded Spill
.LBB227_424:                            ;   in Loop: Header=BB227_10 Depth=1
	s_or_b32 exec_lo, exec_lo, s24
.LBB227_425:                            ;   in Loop: Header=BB227_10 Depth=1
	s_or_b32 exec_lo, exec_lo, s23
.LBB227_426:                            ;   in Loop: Header=BB227_10 Depth=1
	s_or_b32 exec_lo, exec_lo, s17
	flat_load_ushort v1, v[34:35] offset:1544
	s_waitcnt vmcnt(0) lgkmcnt(0)
	v_and_b32_e32 v0, 0xffff, v1
	v_cmp_ne_u16_sdwa s6, v1, v16 src0_sel:BYTE_0 src1_sel:DWORD
	v_mov_b32_e32 v1, 0
	v_mov_b32_e32 v2, 0
	buffer_store_dword v1, off, s[0:3], s32 offset:644 ; 4-byte Folded Spill
	buffer_store_dword v2, off, s[0:3], s32 offset:648 ; 4-byte Folded Spill
	v_mov_b32_e32 v1, 0
	v_mov_b32_e32 v2, 0
	buffer_store_dword v1, off, s[0:3], s32 offset:636 ; 4-byte Folded Spill
	buffer_store_dword v2, off, s[0:3], s32 offset:640 ; 4-byte Folded Spill
	s_and_saveexec_b32 s17, s6
	s_cbranch_execz .LBB227_434
; %bb.427:                              ;   in Loop: Header=BB227_10 Depth=1
	v_bfrev_b32_e32 v1, 1
	v_mov_b32_e32 v2, 0
	buffer_store_dword v1, off, s[0:3], s32 offset:636 ; 4-byte Folded Spill
	buffer_store_dword v2, off, s[0:3], s32 offset:640 ; 4-byte Folded Spill
	v_mov_b32_e32 v1, 0x80
	v_cmp_ne_u16_sdwa s6, v0, v1 src0_sel:BYTE_0 src1_sel:DWORD
	s_and_saveexec_b32 s23, s6
	s_cbranch_execz .LBB227_433
; %bb.428:                              ;   in Loop: Header=BB227_10 Depth=1
	v_mov_b32_e32 v3, 0x7f800001
	v_and_b32_e32 v2, 0x7f, v0
	v_mov_b32_e32 v4, 0
	s_mov_b32 s24, exec_lo
	buffer_store_dword v3, off, s[0:3], s32 offset:636 ; 4-byte Folded Spill
	buffer_store_dword v4, off, s[0:3], s32 offset:640 ; 4-byte Folded Spill
	v_cmpx_ne_u32_e32 0x7f, v2
	s_cbranch_execz .LBB227_432
; %bb.429:                              ;   in Loop: Header=BB227_10 Depth=1
	v_and_b32_e32 v15, 7, v0
	v_lshrrev_b32_e32 v1, 3, v2
	s_mov_b32 s25, exec_lo
	v_cmpx_gt_u32_e32 8, v2
; %bb.430:                              ;   in Loop: Header=BB227_10 Depth=1
	v_ffbh_u32_e32 v1, v15
	v_min_u32_e32 v1, 32, v1
	v_subrev_nc_u32_e32 v2, 28, v1
	v_sub_nc_u32_e32 v1, 29, v1
	v_lshlrev_b64 v[2:3], v2, v[15:16]
	v_and_b32_e32 v15, 7, v2
; %bb.431:                              ;   in Loop: Header=BB227_10 Depth=1
	s_or_b32 exec_lo, exec_lo, s25
	v_lshlrev_b32_e32 v2, 24, v0
	v_lshlrev_b32_e32 v3, 20, v15
	v_lshl_add_u32 v1, v1, 23, 0x3c000000
	v_and_b32_e32 v2, 0x80000000, v2
	v_or3_b32 v15, v3, v2, v1
	buffer_store_dword v15, off, s[0:3], s32 offset:636 ; 4-byte Folded Spill
	buffer_store_dword v16, off, s[0:3], s32 offset:640 ; 4-byte Folded Spill
.LBB227_432:                            ;   in Loop: Header=BB227_10 Depth=1
	s_or_b32 exec_lo, exec_lo, s24
.LBB227_433:                            ;   in Loop: Header=BB227_10 Depth=1
	s_or_b32 exec_lo, exec_lo, s23
.LBB227_434:                            ;   in Loop: Header=BB227_10 Depth=1
	s_or_b32 exec_lo, exec_lo, s17
	v_cmp_ne_u16_sdwa s6, v0, v16 src0_sel:BYTE_1 src1_sel:DWORD
	s_and_saveexec_b32 s17, s6
	s_cbranch_execz .LBB227_442
; %bb.435:                              ;   in Loop: Header=BB227_10 Depth=1
	v_mov_b32_e32 v1, 0x80
	v_mov_b32_e32 v102, v16
	buffer_store_dword v102, off, s[0:3], s32 offset:644 ; 4-byte Folded Spill
	buffer_store_dword v103, off, s[0:3], s32 offset:648 ; 4-byte Folded Spill
	v_cmp_ne_u16_sdwa s6, v0, v1 src0_sel:BYTE_1 src1_sel:DWORD
	s_and_saveexec_b32 s23, s6
	s_cbranch_execz .LBB227_441
; %bb.436:                              ;   in Loop: Header=BB227_10 Depth=1
	s_clause 0x1
	buffer_load_dword v3, off, s[0:3], s32 offset:192
	buffer_load_dword v4, off, s[0:3], s32 offset:196
	v_mov_b32_e32 v1, 0xffff
	s_mov_b32 s24, exec_lo
	v_and_b32_sdwa v1, v1, v0 dst_sel:DWORD dst_unused:UNUSED_PAD src0_sel:DWORD src1_sel:BYTE_1
	v_and_b32_e32 v2, 0x7f, v1
	s_waitcnt vmcnt(0)
	v_mov_b32_e32 v5, v4
	v_mov_b32_e32 v4, v16
	;; [unrolled: 1-line block ×3, first 2 shown]
	buffer_store_dword v2, off, s[0:3], s32 offset:192 ; 4-byte Folded Spill
	buffer_store_dword v3, off, s[0:3], s32 offset:196 ; 4-byte Folded Spill
	;; [unrolled: 1-line block ×4, first 2 shown]
	v_cmpx_ne_u32_e32 0x7f, v2
	s_cbranch_execz .LBB227_440
; %bb.437:                              ;   in Loop: Header=BB227_10 Depth=1
	v_and_b32_e32 v15, 7, v1
	v_lshrrev_b32_e32 v1, 3, v2
	s_mov_b32 s25, exec_lo
	v_cmpx_gt_u32_e32 8, v2
; %bb.438:                              ;   in Loop: Header=BB227_10 Depth=1
	v_ffbh_u32_e32 v1, v15
	v_min_u32_e32 v1, 32, v1
	v_subrev_nc_u32_e32 v2, 28, v1
	v_sub_nc_u32_e32 v1, 29, v1
	v_lshlrev_b64 v[2:3], v2, v[15:16]
	v_and_b32_e32 v15, 7, v2
; %bb.439:                              ;   in Loop: Header=BB227_10 Depth=1
	s_or_b32 exec_lo, exec_lo, s25
	v_lshlrev_b32_e32 v0, 16, v0
	v_lshlrev_b32_e32 v2, 20, v15
	v_lshl_add_u32 v1, v1, 23, 0x3c000000
	v_and_b32_e32 v0, 0x80000000, v0
	v_or3_b32 v1, v2, v0, v1
	v_mov_b32_e32 v0, v16
	buffer_store_dword v0, off, s[0:3], s32 offset:644 ; 4-byte Folded Spill
	buffer_store_dword v1, off, s[0:3], s32 offset:648 ; 4-byte Folded Spill
.LBB227_440:                            ;   in Loop: Header=BB227_10 Depth=1
	s_or_b32 exec_lo, exec_lo, s24
.LBB227_441:                            ;   in Loop: Header=BB227_10 Depth=1
	s_or_b32 exec_lo, exec_lo, s23
.LBB227_442:                            ;   in Loop: Header=BB227_10 Depth=1
	s_or_b32 exec_lo, exec_lo, s17
	flat_load_ushort v1, v[34:35] offset:1548
	s_waitcnt vmcnt(0) lgkmcnt(0)
	v_and_b32_e32 v0, 0xffff, v1
	v_cmp_ne_u16_sdwa s6, v1, v16 src0_sel:BYTE_0 src1_sel:DWORD
	v_mov_b32_e32 v1, 0
	v_mov_b32_e32 v2, 0
	buffer_store_dword v1, off, s[0:3], s32 offset:660 ; 4-byte Folded Spill
	buffer_store_dword v2, off, s[0:3], s32 offset:664 ; 4-byte Folded Spill
	v_mov_b32_e32 v1, 0
	v_mov_b32_e32 v2, 0
	buffer_store_dword v1, off, s[0:3], s32 offset:652 ; 4-byte Folded Spill
	buffer_store_dword v2, off, s[0:3], s32 offset:656 ; 4-byte Folded Spill
	s_and_saveexec_b32 s17, s6
	s_cbranch_execz .LBB227_450
; %bb.443:                              ;   in Loop: Header=BB227_10 Depth=1
	v_bfrev_b32_e32 v1, 1
	v_mov_b32_e32 v2, 0
	buffer_store_dword v1, off, s[0:3], s32 offset:652 ; 4-byte Folded Spill
	buffer_store_dword v2, off, s[0:3], s32 offset:656 ; 4-byte Folded Spill
	v_mov_b32_e32 v1, 0x80
	v_cmp_ne_u16_sdwa s6, v0, v1 src0_sel:BYTE_0 src1_sel:DWORD
	s_and_saveexec_b32 s23, s6
	s_cbranch_execz .LBB227_449
; %bb.444:                              ;   in Loop: Header=BB227_10 Depth=1
	v_mov_b32_e32 v3, 0x7f800001
	v_and_b32_e32 v2, 0x7f, v0
	v_mov_b32_e32 v4, 0
	s_mov_b32 s24, exec_lo
	buffer_store_dword v3, off, s[0:3], s32 offset:652 ; 4-byte Folded Spill
	buffer_store_dword v4, off, s[0:3], s32 offset:656 ; 4-byte Folded Spill
	v_cmpx_ne_u32_e32 0x7f, v2
	s_cbranch_execz .LBB227_448
; %bb.445:                              ;   in Loop: Header=BB227_10 Depth=1
	v_and_b32_e32 v15, 7, v0
	v_lshrrev_b32_e32 v1, 3, v2
	s_mov_b32 s25, exec_lo
	v_cmpx_gt_u32_e32 8, v2
; %bb.446:                              ;   in Loop: Header=BB227_10 Depth=1
	v_ffbh_u32_e32 v1, v15
	v_min_u32_e32 v1, 32, v1
	v_subrev_nc_u32_e32 v2, 28, v1
	v_sub_nc_u32_e32 v1, 29, v1
	v_lshlrev_b64 v[2:3], v2, v[15:16]
	v_and_b32_e32 v15, 7, v2
; %bb.447:                              ;   in Loop: Header=BB227_10 Depth=1
	s_or_b32 exec_lo, exec_lo, s25
	v_lshlrev_b32_e32 v2, 24, v0
	v_lshlrev_b32_e32 v3, 20, v15
	v_lshl_add_u32 v1, v1, 23, 0x3c000000
	v_and_b32_e32 v2, 0x80000000, v2
	v_or3_b32 v15, v3, v2, v1
	buffer_store_dword v15, off, s[0:3], s32 offset:652 ; 4-byte Folded Spill
	buffer_store_dword v16, off, s[0:3], s32 offset:656 ; 4-byte Folded Spill
.LBB227_448:                            ;   in Loop: Header=BB227_10 Depth=1
	s_or_b32 exec_lo, exec_lo, s24
.LBB227_449:                            ;   in Loop: Header=BB227_10 Depth=1
	s_or_b32 exec_lo, exec_lo, s23
.LBB227_450:                            ;   in Loop: Header=BB227_10 Depth=1
	s_or_b32 exec_lo, exec_lo, s17
	v_cmp_ne_u16_sdwa s6, v0, v16 src0_sel:BYTE_1 src1_sel:DWORD
	s_and_saveexec_b32 s17, s6
	s_cbranch_execz .LBB227_458
; %bb.451:                              ;   in Loop: Header=BB227_10 Depth=1
	v_mov_b32_e32 v1, 0x80
	v_mov_b32_e32 v102, v16
	buffer_store_dword v102, off, s[0:3], s32 offset:660 ; 4-byte Folded Spill
	buffer_store_dword v103, off, s[0:3], s32 offset:664 ; 4-byte Folded Spill
	v_cmp_ne_u16_sdwa s6, v0, v1 src0_sel:BYTE_1 src1_sel:DWORD
	s_and_saveexec_b32 s23, s6
	s_cbranch_execz .LBB227_457
; %bb.452:                              ;   in Loop: Header=BB227_10 Depth=1
	s_clause 0x1
	buffer_load_dword v3, off, s[0:3], s32 offset:192
	buffer_load_dword v4, off, s[0:3], s32 offset:196
	v_mov_b32_e32 v1, 0xffff
	s_mov_b32 s24, exec_lo
	v_and_b32_sdwa v1, v1, v0 dst_sel:DWORD dst_unused:UNUSED_PAD src0_sel:DWORD src1_sel:BYTE_1
	v_and_b32_e32 v2, 0x7f, v1
	s_waitcnt vmcnt(0)
	v_mov_b32_e32 v5, v4
	v_mov_b32_e32 v4, v16
	v_mov_b32_e32 v3, v5
	buffer_store_dword v2, off, s[0:3], s32 offset:192 ; 4-byte Folded Spill
	buffer_store_dword v3, off, s[0:3], s32 offset:196 ; 4-byte Folded Spill
	;; [unrolled: 1-line block ×4, first 2 shown]
	v_cmpx_ne_u32_e32 0x7f, v2
	s_cbranch_execz .LBB227_456
; %bb.453:                              ;   in Loop: Header=BB227_10 Depth=1
	v_and_b32_e32 v15, 7, v1
	v_lshrrev_b32_e32 v1, 3, v2
	s_mov_b32 s25, exec_lo
	v_cmpx_gt_u32_e32 8, v2
; %bb.454:                              ;   in Loop: Header=BB227_10 Depth=1
	v_ffbh_u32_e32 v1, v15
	v_min_u32_e32 v1, 32, v1
	v_subrev_nc_u32_e32 v2, 28, v1
	v_sub_nc_u32_e32 v1, 29, v1
	v_lshlrev_b64 v[2:3], v2, v[15:16]
	v_and_b32_e32 v15, 7, v2
; %bb.455:                              ;   in Loop: Header=BB227_10 Depth=1
	s_or_b32 exec_lo, exec_lo, s25
	v_lshlrev_b32_e32 v0, 16, v0
	v_lshlrev_b32_e32 v2, 20, v15
	v_lshl_add_u32 v1, v1, 23, 0x3c000000
	v_and_b32_e32 v0, 0x80000000, v0
	v_or3_b32 v1, v2, v0, v1
	v_mov_b32_e32 v0, v16
	buffer_store_dword v0, off, s[0:3], s32 offset:660 ; 4-byte Folded Spill
	buffer_store_dword v1, off, s[0:3], s32 offset:664 ; 4-byte Folded Spill
.LBB227_456:                            ;   in Loop: Header=BB227_10 Depth=1
	s_or_b32 exec_lo, exec_lo, s24
.LBB227_457:                            ;   in Loop: Header=BB227_10 Depth=1
	s_or_b32 exec_lo, exec_lo, s23
.LBB227_458:                            ;   in Loop: Header=BB227_10 Depth=1
	s_or_b32 exec_lo, exec_lo, s17
	flat_load_ushort v1, v[34:35] offset:1792
	s_waitcnt vmcnt(0) lgkmcnt(0)
	v_and_b32_e32 v0, 0xffff, v1
	v_cmp_ne_u16_sdwa s6, v1, v16 src0_sel:BYTE_0 src1_sel:DWORD
	v_mov_b32_e32 v1, 0
	v_mov_b32_e32 v2, 0
	buffer_store_dword v1, off, s[0:3], s32 offset:676 ; 4-byte Folded Spill
	buffer_store_dword v2, off, s[0:3], s32 offset:680 ; 4-byte Folded Spill
	v_mov_b32_e32 v1, 0
	v_mov_b32_e32 v2, 0
	buffer_store_dword v1, off, s[0:3], s32 offset:668 ; 4-byte Folded Spill
	buffer_store_dword v2, off, s[0:3], s32 offset:672 ; 4-byte Folded Spill
	s_and_saveexec_b32 s17, s6
	s_cbranch_execz .LBB227_466
; %bb.459:                              ;   in Loop: Header=BB227_10 Depth=1
	v_bfrev_b32_e32 v1, 1
	v_mov_b32_e32 v2, 0
	buffer_store_dword v1, off, s[0:3], s32 offset:668 ; 4-byte Folded Spill
	buffer_store_dword v2, off, s[0:3], s32 offset:672 ; 4-byte Folded Spill
	v_mov_b32_e32 v1, 0x80
	v_cmp_ne_u16_sdwa s6, v0, v1 src0_sel:BYTE_0 src1_sel:DWORD
	s_and_saveexec_b32 s23, s6
	s_cbranch_execz .LBB227_465
; %bb.460:                              ;   in Loop: Header=BB227_10 Depth=1
	v_mov_b32_e32 v3, 0x7f800001
	v_and_b32_e32 v2, 0x7f, v0
	v_mov_b32_e32 v4, 0
	s_mov_b32 s24, exec_lo
	buffer_store_dword v3, off, s[0:3], s32 offset:668 ; 4-byte Folded Spill
	buffer_store_dword v4, off, s[0:3], s32 offset:672 ; 4-byte Folded Spill
	v_cmpx_ne_u32_e32 0x7f, v2
	s_cbranch_execz .LBB227_464
; %bb.461:                              ;   in Loop: Header=BB227_10 Depth=1
	v_and_b32_e32 v15, 7, v0
	v_lshrrev_b32_e32 v1, 3, v2
	s_mov_b32 s25, exec_lo
	v_cmpx_gt_u32_e32 8, v2
; %bb.462:                              ;   in Loop: Header=BB227_10 Depth=1
	v_ffbh_u32_e32 v1, v15
	v_min_u32_e32 v1, 32, v1
	v_subrev_nc_u32_e32 v2, 28, v1
	v_sub_nc_u32_e32 v1, 29, v1
	v_lshlrev_b64 v[2:3], v2, v[15:16]
	v_and_b32_e32 v15, 7, v2
; %bb.463:                              ;   in Loop: Header=BB227_10 Depth=1
	s_or_b32 exec_lo, exec_lo, s25
	v_lshlrev_b32_e32 v2, 24, v0
	v_lshlrev_b32_e32 v3, 20, v15
	v_lshl_add_u32 v1, v1, 23, 0x3c000000
	v_and_b32_e32 v2, 0x80000000, v2
	v_or3_b32 v15, v3, v2, v1
	buffer_store_dword v15, off, s[0:3], s32 offset:668 ; 4-byte Folded Spill
	buffer_store_dword v16, off, s[0:3], s32 offset:672 ; 4-byte Folded Spill
.LBB227_464:                            ;   in Loop: Header=BB227_10 Depth=1
	s_or_b32 exec_lo, exec_lo, s24
.LBB227_465:                            ;   in Loop: Header=BB227_10 Depth=1
	s_or_b32 exec_lo, exec_lo, s23
.LBB227_466:                            ;   in Loop: Header=BB227_10 Depth=1
	s_or_b32 exec_lo, exec_lo, s17
	v_cmp_ne_u16_sdwa s6, v0, v16 src0_sel:BYTE_1 src1_sel:DWORD
	s_and_saveexec_b32 s17, s6
	s_cbranch_execz .LBB227_474
; %bb.467:                              ;   in Loop: Header=BB227_10 Depth=1
	v_mov_b32_e32 v1, 0x80
	v_mov_b32_e32 v102, v16
	buffer_store_dword v102, off, s[0:3], s32 offset:676 ; 4-byte Folded Spill
	buffer_store_dword v103, off, s[0:3], s32 offset:680 ; 4-byte Folded Spill
	v_cmp_ne_u16_sdwa s6, v0, v1 src0_sel:BYTE_1 src1_sel:DWORD
	s_and_saveexec_b32 s23, s6
	s_cbranch_execz .LBB227_473
; %bb.468:                              ;   in Loop: Header=BB227_10 Depth=1
	s_clause 0x1
	buffer_load_dword v3, off, s[0:3], s32 offset:192
	buffer_load_dword v4, off, s[0:3], s32 offset:196
	v_mov_b32_e32 v1, 0xffff
	s_mov_b32 s24, exec_lo
	v_and_b32_sdwa v1, v1, v0 dst_sel:DWORD dst_unused:UNUSED_PAD src0_sel:DWORD src1_sel:BYTE_1
	v_and_b32_e32 v2, 0x7f, v1
	s_waitcnt vmcnt(0)
	v_mov_b32_e32 v5, v4
	v_mov_b32_e32 v4, v16
	v_mov_b32_e32 v3, v5
	buffer_store_dword v2, off, s[0:3], s32 offset:192 ; 4-byte Folded Spill
	buffer_store_dword v3, off, s[0:3], s32 offset:196 ; 4-byte Folded Spill
	;; [unrolled: 1-line block ×4, first 2 shown]
	v_cmpx_ne_u32_e32 0x7f, v2
	s_cbranch_execz .LBB227_472
; %bb.469:                              ;   in Loop: Header=BB227_10 Depth=1
	v_and_b32_e32 v15, 7, v1
	v_lshrrev_b32_e32 v1, 3, v2
	s_mov_b32 s25, exec_lo
	v_cmpx_gt_u32_e32 8, v2
; %bb.470:                              ;   in Loop: Header=BB227_10 Depth=1
	v_ffbh_u32_e32 v1, v15
	v_min_u32_e32 v1, 32, v1
	v_subrev_nc_u32_e32 v2, 28, v1
	v_sub_nc_u32_e32 v1, 29, v1
	v_lshlrev_b64 v[2:3], v2, v[15:16]
	v_and_b32_e32 v15, 7, v2
; %bb.471:                              ;   in Loop: Header=BB227_10 Depth=1
	s_or_b32 exec_lo, exec_lo, s25
	v_lshlrev_b32_e32 v0, 16, v0
	v_lshlrev_b32_e32 v2, 20, v15
	v_lshl_add_u32 v1, v1, 23, 0x3c000000
	v_and_b32_e32 v0, 0x80000000, v0
	v_or3_b32 v1, v2, v0, v1
	v_mov_b32_e32 v0, v16
	buffer_store_dword v0, off, s[0:3], s32 offset:676 ; 4-byte Folded Spill
	buffer_store_dword v1, off, s[0:3], s32 offset:680 ; 4-byte Folded Spill
.LBB227_472:                            ;   in Loop: Header=BB227_10 Depth=1
	s_or_b32 exec_lo, exec_lo, s24
.LBB227_473:                            ;   in Loop: Header=BB227_10 Depth=1
	s_or_b32 exec_lo, exec_lo, s23
.LBB227_474:                            ;   in Loop: Header=BB227_10 Depth=1
	s_or_b32 exec_lo, exec_lo, s17
	flat_load_ushort v1, v[34:35] offset:1796
	s_waitcnt vmcnt(0) lgkmcnt(0)
	v_and_b32_e32 v0, 0xffff, v1
	v_cmp_ne_u16_sdwa s6, v1, v16 src0_sel:BYTE_0 src1_sel:DWORD
	v_mov_b32_e32 v1, 0
	v_mov_b32_e32 v2, 0
	buffer_store_dword v1, off, s[0:3], s32 offset:692 ; 4-byte Folded Spill
	buffer_store_dword v2, off, s[0:3], s32 offset:696 ; 4-byte Folded Spill
	v_mov_b32_e32 v1, 0
	v_mov_b32_e32 v2, 0
	buffer_store_dword v1, off, s[0:3], s32 offset:684 ; 4-byte Folded Spill
	buffer_store_dword v2, off, s[0:3], s32 offset:688 ; 4-byte Folded Spill
	s_and_saveexec_b32 s17, s6
	s_cbranch_execz .LBB227_482
; %bb.475:                              ;   in Loop: Header=BB227_10 Depth=1
	v_bfrev_b32_e32 v1, 1
	v_mov_b32_e32 v2, 0
	buffer_store_dword v1, off, s[0:3], s32 offset:684 ; 4-byte Folded Spill
	buffer_store_dword v2, off, s[0:3], s32 offset:688 ; 4-byte Folded Spill
	v_mov_b32_e32 v1, 0x80
	v_cmp_ne_u16_sdwa s6, v0, v1 src0_sel:BYTE_0 src1_sel:DWORD
	s_and_saveexec_b32 s23, s6
	s_cbranch_execz .LBB227_481
; %bb.476:                              ;   in Loop: Header=BB227_10 Depth=1
	v_mov_b32_e32 v3, 0x7f800001
	v_and_b32_e32 v2, 0x7f, v0
	v_mov_b32_e32 v4, 0
	s_mov_b32 s24, exec_lo
	buffer_store_dword v3, off, s[0:3], s32 offset:684 ; 4-byte Folded Spill
	buffer_store_dword v4, off, s[0:3], s32 offset:688 ; 4-byte Folded Spill
	v_cmpx_ne_u32_e32 0x7f, v2
	s_cbranch_execz .LBB227_480
; %bb.477:                              ;   in Loop: Header=BB227_10 Depth=1
	v_and_b32_e32 v15, 7, v0
	v_lshrrev_b32_e32 v1, 3, v2
	s_mov_b32 s25, exec_lo
	v_cmpx_gt_u32_e32 8, v2
; %bb.478:                              ;   in Loop: Header=BB227_10 Depth=1
	v_ffbh_u32_e32 v1, v15
	v_min_u32_e32 v1, 32, v1
	v_subrev_nc_u32_e32 v2, 28, v1
	v_sub_nc_u32_e32 v1, 29, v1
	v_lshlrev_b64 v[2:3], v2, v[15:16]
	v_and_b32_e32 v15, 7, v2
; %bb.479:                              ;   in Loop: Header=BB227_10 Depth=1
	s_or_b32 exec_lo, exec_lo, s25
	v_lshlrev_b32_e32 v2, 24, v0
	v_lshlrev_b32_e32 v3, 20, v15
	v_lshl_add_u32 v1, v1, 23, 0x3c000000
	v_and_b32_e32 v2, 0x80000000, v2
	v_or3_b32 v15, v3, v2, v1
	buffer_store_dword v15, off, s[0:3], s32 offset:684 ; 4-byte Folded Spill
	buffer_store_dword v16, off, s[0:3], s32 offset:688 ; 4-byte Folded Spill
.LBB227_480:                            ;   in Loop: Header=BB227_10 Depth=1
	s_or_b32 exec_lo, exec_lo, s24
.LBB227_481:                            ;   in Loop: Header=BB227_10 Depth=1
	s_or_b32 exec_lo, exec_lo, s23
.LBB227_482:                            ;   in Loop: Header=BB227_10 Depth=1
	s_or_b32 exec_lo, exec_lo, s17
	v_cmp_ne_u16_sdwa s6, v0, v16 src0_sel:BYTE_1 src1_sel:DWORD
	s_and_saveexec_b32 s17, s6
	s_cbranch_execz .LBB227_490
; %bb.483:                              ;   in Loop: Header=BB227_10 Depth=1
	v_mov_b32_e32 v1, 0x80
	v_mov_b32_e32 v102, v16
	buffer_store_dword v102, off, s[0:3], s32 offset:692 ; 4-byte Folded Spill
	buffer_store_dword v103, off, s[0:3], s32 offset:696 ; 4-byte Folded Spill
	v_cmp_ne_u16_sdwa s6, v0, v1 src0_sel:BYTE_1 src1_sel:DWORD
	s_and_saveexec_b32 s23, s6
	s_cbranch_execz .LBB227_489
; %bb.484:                              ;   in Loop: Header=BB227_10 Depth=1
	s_clause 0x1
	buffer_load_dword v3, off, s[0:3], s32 offset:192
	buffer_load_dword v4, off, s[0:3], s32 offset:196
	v_mov_b32_e32 v1, 0xffff
	s_mov_b32 s24, exec_lo
	v_and_b32_sdwa v1, v1, v0 dst_sel:DWORD dst_unused:UNUSED_PAD src0_sel:DWORD src1_sel:BYTE_1
	v_and_b32_e32 v2, 0x7f, v1
	s_waitcnt vmcnt(0)
	v_mov_b32_e32 v5, v4
	v_mov_b32_e32 v4, v16
	;; [unrolled: 1-line block ×3, first 2 shown]
	buffer_store_dword v2, off, s[0:3], s32 offset:192 ; 4-byte Folded Spill
	buffer_store_dword v3, off, s[0:3], s32 offset:196 ; 4-byte Folded Spill
	buffer_store_dword v4, off, s[0:3], s32 offset:692 ; 4-byte Folded Spill
	buffer_store_dword v5, off, s[0:3], s32 offset:696 ; 4-byte Folded Spill
	v_cmpx_ne_u32_e32 0x7f, v2
	s_cbranch_execz .LBB227_488
; %bb.485:                              ;   in Loop: Header=BB227_10 Depth=1
	v_and_b32_e32 v15, 7, v1
	v_lshrrev_b32_e32 v1, 3, v2
	s_mov_b32 s25, exec_lo
	v_cmpx_gt_u32_e32 8, v2
; %bb.486:                              ;   in Loop: Header=BB227_10 Depth=1
	v_ffbh_u32_e32 v1, v15
	v_min_u32_e32 v1, 32, v1
	v_subrev_nc_u32_e32 v2, 28, v1
	v_sub_nc_u32_e32 v1, 29, v1
	v_lshlrev_b64 v[2:3], v2, v[15:16]
	v_and_b32_e32 v15, 7, v2
; %bb.487:                              ;   in Loop: Header=BB227_10 Depth=1
	s_or_b32 exec_lo, exec_lo, s25
	v_lshlrev_b32_e32 v0, 16, v0
	v_lshlrev_b32_e32 v2, 20, v15
	v_lshl_add_u32 v1, v1, 23, 0x3c000000
	v_and_b32_e32 v0, 0x80000000, v0
	v_or3_b32 v1, v2, v0, v1
	v_mov_b32_e32 v0, v16
	buffer_store_dword v0, off, s[0:3], s32 offset:692 ; 4-byte Folded Spill
	buffer_store_dword v1, off, s[0:3], s32 offset:696 ; 4-byte Folded Spill
.LBB227_488:                            ;   in Loop: Header=BB227_10 Depth=1
	s_or_b32 exec_lo, exec_lo, s24
.LBB227_489:                            ;   in Loop: Header=BB227_10 Depth=1
	s_or_b32 exec_lo, exec_lo, s23
.LBB227_490:                            ;   in Loop: Header=BB227_10 Depth=1
	s_or_b32 exec_lo, exec_lo, s17
	flat_load_ushort v1, v[34:35] offset:1800
	s_waitcnt vmcnt(0) lgkmcnt(0)
	v_and_b32_e32 v0, 0xffff, v1
	v_cmp_ne_u16_sdwa s6, v1, v16 src0_sel:BYTE_0 src1_sel:DWORD
	v_mov_b32_e32 v1, 0
	v_mov_b32_e32 v2, 0
	buffer_store_dword v1, off, s[0:3], s32 offset:708 ; 4-byte Folded Spill
	buffer_store_dword v2, off, s[0:3], s32 offset:712 ; 4-byte Folded Spill
	v_mov_b32_e32 v1, 0
	v_mov_b32_e32 v2, 0
	buffer_store_dword v1, off, s[0:3], s32 offset:700 ; 4-byte Folded Spill
	buffer_store_dword v2, off, s[0:3], s32 offset:704 ; 4-byte Folded Spill
	s_and_saveexec_b32 s17, s6
	s_cbranch_execz .LBB227_498
; %bb.491:                              ;   in Loop: Header=BB227_10 Depth=1
	v_bfrev_b32_e32 v1, 1
	v_mov_b32_e32 v2, 0
	buffer_store_dword v1, off, s[0:3], s32 offset:700 ; 4-byte Folded Spill
	buffer_store_dword v2, off, s[0:3], s32 offset:704 ; 4-byte Folded Spill
	v_mov_b32_e32 v1, 0x80
	v_cmp_ne_u16_sdwa s6, v0, v1 src0_sel:BYTE_0 src1_sel:DWORD
	s_and_saveexec_b32 s23, s6
	s_cbranch_execz .LBB227_497
; %bb.492:                              ;   in Loop: Header=BB227_10 Depth=1
	v_mov_b32_e32 v3, 0x7f800001
	v_and_b32_e32 v2, 0x7f, v0
	v_mov_b32_e32 v4, 0
	s_mov_b32 s24, exec_lo
	buffer_store_dword v3, off, s[0:3], s32 offset:700 ; 4-byte Folded Spill
	buffer_store_dword v4, off, s[0:3], s32 offset:704 ; 4-byte Folded Spill
	v_cmpx_ne_u32_e32 0x7f, v2
	s_cbranch_execz .LBB227_496
; %bb.493:                              ;   in Loop: Header=BB227_10 Depth=1
	v_and_b32_e32 v15, 7, v0
	v_lshrrev_b32_e32 v1, 3, v2
	s_mov_b32 s25, exec_lo
	v_cmpx_gt_u32_e32 8, v2
; %bb.494:                              ;   in Loop: Header=BB227_10 Depth=1
	v_ffbh_u32_e32 v1, v15
	v_min_u32_e32 v1, 32, v1
	v_subrev_nc_u32_e32 v2, 28, v1
	v_sub_nc_u32_e32 v1, 29, v1
	v_lshlrev_b64 v[2:3], v2, v[15:16]
	v_and_b32_e32 v15, 7, v2
; %bb.495:                              ;   in Loop: Header=BB227_10 Depth=1
	s_or_b32 exec_lo, exec_lo, s25
	v_lshlrev_b32_e32 v2, 24, v0
	v_lshlrev_b32_e32 v3, 20, v15
	v_lshl_add_u32 v1, v1, 23, 0x3c000000
	v_and_b32_e32 v2, 0x80000000, v2
	v_or3_b32 v15, v3, v2, v1
	buffer_store_dword v15, off, s[0:3], s32 offset:700 ; 4-byte Folded Spill
	buffer_store_dword v16, off, s[0:3], s32 offset:704 ; 4-byte Folded Spill
.LBB227_496:                            ;   in Loop: Header=BB227_10 Depth=1
	s_or_b32 exec_lo, exec_lo, s24
.LBB227_497:                            ;   in Loop: Header=BB227_10 Depth=1
	s_or_b32 exec_lo, exec_lo, s23
.LBB227_498:                            ;   in Loop: Header=BB227_10 Depth=1
	s_or_b32 exec_lo, exec_lo, s17
	v_cmp_ne_u16_sdwa s6, v0, v16 src0_sel:BYTE_1 src1_sel:DWORD
	s_and_saveexec_b32 s17, s6
	s_cbranch_execz .LBB227_506
; %bb.499:                              ;   in Loop: Header=BB227_10 Depth=1
	v_mov_b32_e32 v1, 0x80
	v_mov_b32_e32 v102, v16
	buffer_store_dword v102, off, s[0:3], s32 offset:708 ; 4-byte Folded Spill
	buffer_store_dword v103, off, s[0:3], s32 offset:712 ; 4-byte Folded Spill
	v_cmp_ne_u16_sdwa s6, v0, v1 src0_sel:BYTE_1 src1_sel:DWORD
	s_and_saveexec_b32 s23, s6
	s_cbranch_execz .LBB227_505
; %bb.500:                              ;   in Loop: Header=BB227_10 Depth=1
	s_clause 0x1
	buffer_load_dword v3, off, s[0:3], s32 offset:192
	buffer_load_dword v4, off, s[0:3], s32 offset:196
	v_mov_b32_e32 v1, 0xffff
	s_mov_b32 s24, exec_lo
	v_and_b32_sdwa v1, v1, v0 dst_sel:DWORD dst_unused:UNUSED_PAD src0_sel:DWORD src1_sel:BYTE_1
	v_and_b32_e32 v2, 0x7f, v1
	s_waitcnt vmcnt(0)
	v_mov_b32_e32 v5, v4
	v_mov_b32_e32 v4, v16
	v_mov_b32_e32 v3, v5
	buffer_store_dword v2, off, s[0:3], s32 offset:192 ; 4-byte Folded Spill
	buffer_store_dword v3, off, s[0:3], s32 offset:196 ; 4-byte Folded Spill
	;; [unrolled: 1-line block ×4, first 2 shown]
	v_cmpx_ne_u32_e32 0x7f, v2
	s_cbranch_execz .LBB227_504
; %bb.501:                              ;   in Loop: Header=BB227_10 Depth=1
	v_and_b32_e32 v15, 7, v1
	v_lshrrev_b32_e32 v1, 3, v2
	s_mov_b32 s25, exec_lo
	v_cmpx_gt_u32_e32 8, v2
; %bb.502:                              ;   in Loop: Header=BB227_10 Depth=1
	v_ffbh_u32_e32 v1, v15
	v_min_u32_e32 v1, 32, v1
	v_subrev_nc_u32_e32 v2, 28, v1
	v_sub_nc_u32_e32 v1, 29, v1
	v_lshlrev_b64 v[2:3], v2, v[15:16]
	v_and_b32_e32 v15, 7, v2
; %bb.503:                              ;   in Loop: Header=BB227_10 Depth=1
	s_or_b32 exec_lo, exec_lo, s25
	v_lshlrev_b32_e32 v0, 16, v0
	v_lshlrev_b32_e32 v2, 20, v15
	v_lshl_add_u32 v1, v1, 23, 0x3c000000
	v_and_b32_e32 v0, 0x80000000, v0
	v_or3_b32 v1, v2, v0, v1
	v_mov_b32_e32 v0, v16
	buffer_store_dword v0, off, s[0:3], s32 offset:708 ; 4-byte Folded Spill
	buffer_store_dword v1, off, s[0:3], s32 offset:712 ; 4-byte Folded Spill
.LBB227_504:                            ;   in Loop: Header=BB227_10 Depth=1
	s_or_b32 exec_lo, exec_lo, s24
.LBB227_505:                            ;   in Loop: Header=BB227_10 Depth=1
	s_or_b32 exec_lo, exec_lo, s23
.LBB227_506:                            ;   in Loop: Header=BB227_10 Depth=1
	s_or_b32 exec_lo, exec_lo, s17
	flat_load_ushort v1, v[34:35] offset:1804
	s_waitcnt vmcnt(0) lgkmcnt(0)
	v_and_b32_e32 v0, 0xffff, v1
	v_cmp_ne_u16_sdwa s6, v1, v16 src0_sel:BYTE_0 src1_sel:DWORD
	v_mov_b32_e32 v1, 0
	v_mov_b32_e32 v2, 0
	buffer_store_dword v1, off, s[0:3], s32 offset:724 ; 4-byte Folded Spill
	buffer_store_dword v2, off, s[0:3], s32 offset:728 ; 4-byte Folded Spill
	v_mov_b32_e32 v1, 0
	v_mov_b32_e32 v2, 0
	buffer_store_dword v1, off, s[0:3], s32 offset:716 ; 4-byte Folded Spill
	buffer_store_dword v2, off, s[0:3], s32 offset:720 ; 4-byte Folded Spill
	s_and_saveexec_b32 s17, s6
	s_cbranch_execz .LBB227_514
; %bb.507:                              ;   in Loop: Header=BB227_10 Depth=1
	v_bfrev_b32_e32 v1, 1
	v_mov_b32_e32 v2, 0
	buffer_store_dword v1, off, s[0:3], s32 offset:716 ; 4-byte Folded Spill
	buffer_store_dword v2, off, s[0:3], s32 offset:720 ; 4-byte Folded Spill
	v_mov_b32_e32 v1, 0x80
	v_cmp_ne_u16_sdwa s6, v0, v1 src0_sel:BYTE_0 src1_sel:DWORD
	s_and_saveexec_b32 s23, s6
	s_cbranch_execz .LBB227_513
; %bb.508:                              ;   in Loop: Header=BB227_10 Depth=1
	v_mov_b32_e32 v3, 0x7f800001
	v_and_b32_e32 v2, 0x7f, v0
	v_mov_b32_e32 v4, 0
	s_mov_b32 s24, exec_lo
	buffer_store_dword v3, off, s[0:3], s32 offset:716 ; 4-byte Folded Spill
	buffer_store_dword v4, off, s[0:3], s32 offset:720 ; 4-byte Folded Spill
	v_cmpx_ne_u32_e32 0x7f, v2
	s_cbranch_execz .LBB227_512
; %bb.509:                              ;   in Loop: Header=BB227_10 Depth=1
	v_and_b32_e32 v15, 7, v0
	v_lshrrev_b32_e32 v1, 3, v2
	s_mov_b32 s25, exec_lo
	v_cmpx_gt_u32_e32 8, v2
; %bb.510:                              ;   in Loop: Header=BB227_10 Depth=1
	v_ffbh_u32_e32 v1, v15
	v_min_u32_e32 v1, 32, v1
	v_subrev_nc_u32_e32 v2, 28, v1
	v_sub_nc_u32_e32 v1, 29, v1
	v_lshlrev_b64 v[2:3], v2, v[15:16]
	v_and_b32_e32 v15, 7, v2
; %bb.511:                              ;   in Loop: Header=BB227_10 Depth=1
	s_or_b32 exec_lo, exec_lo, s25
	v_lshlrev_b32_e32 v2, 24, v0
	v_lshlrev_b32_e32 v3, 20, v15
	v_lshl_add_u32 v1, v1, 23, 0x3c000000
	v_and_b32_e32 v2, 0x80000000, v2
	v_or3_b32 v15, v3, v2, v1
	buffer_store_dword v15, off, s[0:3], s32 offset:716 ; 4-byte Folded Spill
	buffer_store_dword v16, off, s[0:3], s32 offset:720 ; 4-byte Folded Spill
.LBB227_512:                            ;   in Loop: Header=BB227_10 Depth=1
	s_or_b32 exec_lo, exec_lo, s24
.LBB227_513:                            ;   in Loop: Header=BB227_10 Depth=1
	s_or_b32 exec_lo, exec_lo, s23
.LBB227_514:                            ;   in Loop: Header=BB227_10 Depth=1
	s_or_b32 exec_lo, exec_lo, s17
	v_cmp_ne_u16_sdwa s6, v0, v16 src0_sel:BYTE_1 src1_sel:DWORD
	s_and_saveexec_b32 s17, s6
	s_cbranch_execz .LBB227_522
; %bb.515:                              ;   in Loop: Header=BB227_10 Depth=1
	v_mov_b32_e32 v1, 0x80
	v_mov_b32_e32 v102, v16
	buffer_store_dword v102, off, s[0:3], s32 offset:724 ; 4-byte Folded Spill
	buffer_store_dword v103, off, s[0:3], s32 offset:728 ; 4-byte Folded Spill
	v_cmp_ne_u16_sdwa s6, v0, v1 src0_sel:BYTE_1 src1_sel:DWORD
	s_and_saveexec_b32 s23, s6
	s_cbranch_execz .LBB227_521
; %bb.516:                              ;   in Loop: Header=BB227_10 Depth=1
	s_clause 0x1
	buffer_load_dword v3, off, s[0:3], s32 offset:192
	buffer_load_dword v4, off, s[0:3], s32 offset:196
	v_mov_b32_e32 v1, 0xffff
	s_mov_b32 s24, exec_lo
	v_and_b32_sdwa v1, v1, v0 dst_sel:DWORD dst_unused:UNUSED_PAD src0_sel:DWORD src1_sel:BYTE_1
	v_and_b32_e32 v2, 0x7f, v1
	s_waitcnt vmcnt(0)
	v_mov_b32_e32 v5, v4
	v_mov_b32_e32 v4, v16
	;; [unrolled: 1-line block ×3, first 2 shown]
	buffer_store_dword v2, off, s[0:3], s32 offset:192 ; 4-byte Folded Spill
	buffer_store_dword v3, off, s[0:3], s32 offset:196 ; 4-byte Folded Spill
	;; [unrolled: 1-line block ×4, first 2 shown]
	v_cmpx_ne_u32_e32 0x7f, v2
	s_cbranch_execz .LBB227_520
; %bb.517:                              ;   in Loop: Header=BB227_10 Depth=1
	v_and_b32_e32 v15, 7, v1
	v_lshrrev_b32_e32 v1, 3, v2
	s_mov_b32 s25, exec_lo
	v_cmpx_gt_u32_e32 8, v2
; %bb.518:                              ;   in Loop: Header=BB227_10 Depth=1
	v_ffbh_u32_e32 v1, v15
	v_min_u32_e32 v1, 32, v1
	v_subrev_nc_u32_e32 v2, 28, v1
	v_sub_nc_u32_e32 v1, 29, v1
	v_lshlrev_b64 v[2:3], v2, v[15:16]
	v_and_b32_e32 v15, 7, v2
; %bb.519:                              ;   in Loop: Header=BB227_10 Depth=1
	s_or_b32 exec_lo, exec_lo, s25
	v_lshlrev_b32_e32 v0, 16, v0
	v_lshlrev_b32_e32 v2, 20, v15
	v_lshl_add_u32 v1, v1, 23, 0x3c000000
	v_and_b32_e32 v0, 0x80000000, v0
	v_or3_b32 v1, v2, v0, v1
	v_mov_b32_e32 v0, v16
	buffer_store_dword v0, off, s[0:3], s32 offset:724 ; 4-byte Folded Spill
	buffer_store_dword v1, off, s[0:3], s32 offset:728 ; 4-byte Folded Spill
.LBB227_520:                            ;   in Loop: Header=BB227_10 Depth=1
	s_or_b32 exec_lo, exec_lo, s24
.LBB227_521:                            ;   in Loop: Header=BB227_10 Depth=1
	s_or_b32 exec_lo, exec_lo, s23
.LBB227_522:                            ;   in Loop: Header=BB227_10 Depth=1
	s_or_b32 exec_lo, exec_lo, s17
	buffer_load_dword v2, off, s[0:3], s32 offset:204 ; 4-byte Folded Reload
	v_add_co_u32 v0, s6, 0x800, v68
	v_add_co_ci_u32_e64 v1, null, 0, v69, s6
	s_waitcnt vmcnt(0)
	v_add_co_u32 v2, s6, v0, v2
	v_add_co_ci_u32_e64 v3, null, 0, v1, s6
	flat_load_ushort v3, v[2:3]
	s_waitcnt vmcnt(0) lgkmcnt(0)
	v_and_b32_e32 v2, 0xffff, v3
	v_cmp_ne_u16_sdwa s6, v3, v16 src0_sel:BYTE_0 src1_sel:DWORD
	v_mov_b32_e32 v3, 0
	v_mov_b32_e32 v4, 0
	buffer_store_dword v3, off, s[0:3], s32 offset:740 ; 4-byte Folded Spill
	buffer_store_dword v4, off, s[0:3], s32 offset:744 ; 4-byte Folded Spill
	v_mov_b32_e32 v3, 0
	v_mov_b32_e32 v4, 0
	buffer_store_dword v3, off, s[0:3], s32 offset:732 ; 4-byte Folded Spill
	buffer_store_dword v4, off, s[0:3], s32 offset:736 ; 4-byte Folded Spill
	s_and_saveexec_b32 s17, s6
	s_cbranch_execz .LBB227_530
; %bb.523:                              ;   in Loop: Header=BB227_10 Depth=1
	v_bfrev_b32_e32 v3, 1
	v_mov_b32_e32 v4, 0
	buffer_store_dword v3, off, s[0:3], s32 offset:732 ; 4-byte Folded Spill
	buffer_store_dword v4, off, s[0:3], s32 offset:736 ; 4-byte Folded Spill
	v_mov_b32_e32 v3, 0x80
	v_cmp_ne_u16_sdwa s6, v2, v3 src0_sel:BYTE_0 src1_sel:DWORD
	s_and_saveexec_b32 s23, s6
	s_cbranch_execz .LBB227_529
; %bb.524:                              ;   in Loop: Header=BB227_10 Depth=1
	v_mov_b32_e32 v5, 0x7f800001
	v_and_b32_e32 v4, 0x7f, v2
	v_mov_b32_e32 v6, 0
	s_mov_b32 s24, exec_lo
	buffer_store_dword v5, off, s[0:3], s32 offset:732 ; 4-byte Folded Spill
	buffer_store_dword v6, off, s[0:3], s32 offset:736 ; 4-byte Folded Spill
	v_cmpx_ne_u32_e32 0x7f, v4
	s_cbranch_execz .LBB227_528
; %bb.525:                              ;   in Loop: Header=BB227_10 Depth=1
	v_and_b32_e32 v15, 7, v2
	v_lshrrev_b32_e32 v3, 3, v4
	s_mov_b32 s25, exec_lo
	v_cmpx_gt_u32_e32 8, v4
; %bb.526:                              ;   in Loop: Header=BB227_10 Depth=1
	v_ffbh_u32_e32 v3, v15
	v_min_u32_e32 v3, 32, v3
	v_subrev_nc_u32_e32 v4, 28, v3
	v_sub_nc_u32_e32 v3, 29, v3
	v_lshlrev_b64 v[4:5], v4, v[15:16]
	v_and_b32_e32 v15, 7, v4
; %bb.527:                              ;   in Loop: Header=BB227_10 Depth=1
	s_or_b32 exec_lo, exec_lo, s25
	v_lshlrev_b32_e32 v4, 24, v2
	v_lshlrev_b32_e32 v5, 20, v15
	v_lshl_add_u32 v3, v3, 23, 0x3c000000
	v_and_b32_e32 v4, 0x80000000, v4
	v_or3_b32 v15, v5, v4, v3
	buffer_store_dword v15, off, s[0:3], s32 offset:732 ; 4-byte Folded Spill
	buffer_store_dword v16, off, s[0:3], s32 offset:736 ; 4-byte Folded Spill
.LBB227_528:                            ;   in Loop: Header=BB227_10 Depth=1
	s_or_b32 exec_lo, exec_lo, s24
.LBB227_529:                            ;   in Loop: Header=BB227_10 Depth=1
	s_or_b32 exec_lo, exec_lo, s23
.LBB227_530:                            ;   in Loop: Header=BB227_10 Depth=1
	s_or_b32 exec_lo, exec_lo, s17
	v_cmp_ne_u16_sdwa s6, v2, v16 src0_sel:BYTE_1 src1_sel:DWORD
	s_and_saveexec_b32 s17, s6
	s_cbranch_execz .LBB227_538
; %bb.531:                              ;   in Loop: Header=BB227_10 Depth=1
	v_mov_b32_e32 v3, 0x80
	v_mov_b32_e32 v102, v16
	buffer_store_dword v102, off, s[0:3], s32 offset:740 ; 4-byte Folded Spill
	buffer_store_dword v103, off, s[0:3], s32 offset:744 ; 4-byte Folded Spill
	v_cmp_ne_u16_sdwa s6, v2, v3 src0_sel:BYTE_1 src1_sel:DWORD
	s_and_saveexec_b32 s23, s6
	s_cbranch_execz .LBB227_537
; %bb.532:                              ;   in Loop: Header=BB227_10 Depth=1
	s_clause 0x1
	buffer_load_dword v5, off, s[0:3], s32 offset:192
	buffer_load_dword v6, off, s[0:3], s32 offset:196
	v_mov_b32_e32 v3, 0xffff
	s_mov_b32 s24, exec_lo
	v_and_b32_sdwa v3, v3, v2 dst_sel:DWORD dst_unused:UNUSED_PAD src0_sel:DWORD src1_sel:BYTE_1
	v_and_b32_e32 v4, 0x7f, v3
	s_waitcnt vmcnt(0)
	v_mov_b32_e32 v7, v6
	v_mov_b32_e32 v6, v16
	;; [unrolled: 1-line block ×3, first 2 shown]
	buffer_store_dword v4, off, s[0:3], s32 offset:192 ; 4-byte Folded Spill
	buffer_store_dword v5, off, s[0:3], s32 offset:196 ; 4-byte Folded Spill
	;; [unrolled: 1-line block ×4, first 2 shown]
	v_cmpx_ne_u32_e32 0x7f, v4
	s_cbranch_execz .LBB227_536
; %bb.533:                              ;   in Loop: Header=BB227_10 Depth=1
	v_and_b32_e32 v15, 7, v3
	v_lshrrev_b32_e32 v3, 3, v4
	s_mov_b32 s25, exec_lo
	v_cmpx_gt_u32_e32 8, v4
; %bb.534:                              ;   in Loop: Header=BB227_10 Depth=1
	v_ffbh_u32_e32 v3, v15
	v_min_u32_e32 v3, 32, v3
	v_subrev_nc_u32_e32 v4, 28, v3
	v_sub_nc_u32_e32 v3, 29, v3
	v_lshlrev_b64 v[4:5], v4, v[15:16]
	v_and_b32_e32 v15, 7, v4
; %bb.535:                              ;   in Loop: Header=BB227_10 Depth=1
	s_or_b32 exec_lo, exec_lo, s25
	v_lshlrev_b32_e32 v2, 16, v2
	v_lshlrev_b32_e32 v4, 20, v15
	v_lshl_add_u32 v3, v3, 23, 0x3c000000
	v_and_b32_e32 v2, 0x80000000, v2
	v_or3_b32 v3, v4, v2, v3
	v_mov_b32_e32 v2, v16
	buffer_store_dword v2, off, s[0:3], s32 offset:740 ; 4-byte Folded Spill
	buffer_store_dword v3, off, s[0:3], s32 offset:744 ; 4-byte Folded Spill
.LBB227_536:                            ;   in Loop: Header=BB227_10 Depth=1
	s_or_b32 exec_lo, exec_lo, s24
.LBB227_537:                            ;   in Loop: Header=BB227_10 Depth=1
	s_or_b32 exec_lo, exec_lo, s23
.LBB227_538:                            ;   in Loop: Header=BB227_10 Depth=1
	s_or_b32 exec_lo, exec_lo, s17
	buffer_load_dword v2, off, s[0:3], s32 offset:208 ; 4-byte Folded Reload
	s_waitcnt vmcnt(0)
	v_add_co_u32 v2, s6, v0, v2
	v_add_co_ci_u32_e64 v3, null, 0, v1, s6
	flat_load_ushort v3, v[2:3]
	s_waitcnt vmcnt(0) lgkmcnt(0)
	v_and_b32_e32 v2, 0xffff, v3
	v_cmp_ne_u16_sdwa s6, v3, v16 src0_sel:BYTE_0 src1_sel:DWORD
	v_mov_b32_e32 v3, 0
	v_mov_b32_e32 v4, 0
	buffer_store_dword v3, off, s[0:3], s32 offset:756 ; 4-byte Folded Spill
	buffer_store_dword v4, off, s[0:3], s32 offset:760 ; 4-byte Folded Spill
	v_mov_b32_e32 v3, 0
	v_mov_b32_e32 v4, 0
	buffer_store_dword v3, off, s[0:3], s32 offset:748 ; 4-byte Folded Spill
	buffer_store_dword v4, off, s[0:3], s32 offset:752 ; 4-byte Folded Spill
	s_and_saveexec_b32 s17, s6
	s_cbranch_execz .LBB227_546
; %bb.539:                              ;   in Loop: Header=BB227_10 Depth=1
	v_bfrev_b32_e32 v3, 1
	v_mov_b32_e32 v4, 0
	buffer_store_dword v3, off, s[0:3], s32 offset:748 ; 4-byte Folded Spill
	buffer_store_dword v4, off, s[0:3], s32 offset:752 ; 4-byte Folded Spill
	v_mov_b32_e32 v3, 0x80
	v_cmp_ne_u16_sdwa s6, v2, v3 src0_sel:BYTE_0 src1_sel:DWORD
	s_and_saveexec_b32 s23, s6
	s_cbranch_execz .LBB227_545
; %bb.540:                              ;   in Loop: Header=BB227_10 Depth=1
	v_mov_b32_e32 v5, 0x7f800001
	v_and_b32_e32 v4, 0x7f, v2
	v_mov_b32_e32 v6, 0
	s_mov_b32 s24, exec_lo
	buffer_store_dword v5, off, s[0:3], s32 offset:748 ; 4-byte Folded Spill
	buffer_store_dword v6, off, s[0:3], s32 offset:752 ; 4-byte Folded Spill
	v_cmpx_ne_u32_e32 0x7f, v4
	s_cbranch_execz .LBB227_544
; %bb.541:                              ;   in Loop: Header=BB227_10 Depth=1
	v_and_b32_e32 v15, 7, v2
	v_lshrrev_b32_e32 v3, 3, v4
	s_mov_b32 s25, exec_lo
	v_cmpx_gt_u32_e32 8, v4
; %bb.542:                              ;   in Loop: Header=BB227_10 Depth=1
	v_ffbh_u32_e32 v3, v15
	v_min_u32_e32 v3, 32, v3
	v_subrev_nc_u32_e32 v4, 28, v3
	v_sub_nc_u32_e32 v3, 29, v3
	v_lshlrev_b64 v[4:5], v4, v[15:16]
	v_and_b32_e32 v15, 7, v4
; %bb.543:                              ;   in Loop: Header=BB227_10 Depth=1
	s_or_b32 exec_lo, exec_lo, s25
	v_lshlrev_b32_e32 v4, 24, v2
	v_lshlrev_b32_e32 v5, 20, v15
	v_lshl_add_u32 v3, v3, 23, 0x3c000000
	v_and_b32_e32 v4, 0x80000000, v4
	v_or3_b32 v15, v5, v4, v3
	buffer_store_dword v15, off, s[0:3], s32 offset:748 ; 4-byte Folded Spill
	buffer_store_dword v16, off, s[0:3], s32 offset:752 ; 4-byte Folded Spill
.LBB227_544:                            ;   in Loop: Header=BB227_10 Depth=1
	s_or_b32 exec_lo, exec_lo, s24
.LBB227_545:                            ;   in Loop: Header=BB227_10 Depth=1
	s_or_b32 exec_lo, exec_lo, s23
.LBB227_546:                            ;   in Loop: Header=BB227_10 Depth=1
	s_or_b32 exec_lo, exec_lo, s17
	v_cmp_ne_u16_sdwa s6, v2, v16 src0_sel:BYTE_1 src1_sel:DWORD
	s_and_saveexec_b32 s17, s6
	s_cbranch_execz .LBB227_554
; %bb.547:                              ;   in Loop: Header=BB227_10 Depth=1
	v_mov_b32_e32 v3, 0x80
	v_mov_b32_e32 v102, v16
	buffer_store_dword v102, off, s[0:3], s32 offset:756 ; 4-byte Folded Spill
	buffer_store_dword v103, off, s[0:3], s32 offset:760 ; 4-byte Folded Spill
	v_cmp_ne_u16_sdwa s6, v2, v3 src0_sel:BYTE_1 src1_sel:DWORD
	s_and_saveexec_b32 s23, s6
	s_cbranch_execz .LBB227_553
; %bb.548:                              ;   in Loop: Header=BB227_10 Depth=1
	s_clause 0x1
	buffer_load_dword v5, off, s[0:3], s32 offset:192
	buffer_load_dword v6, off, s[0:3], s32 offset:196
	v_mov_b32_e32 v3, 0xffff
	s_mov_b32 s24, exec_lo
	v_and_b32_sdwa v3, v3, v2 dst_sel:DWORD dst_unused:UNUSED_PAD src0_sel:DWORD src1_sel:BYTE_1
	v_and_b32_e32 v4, 0x7f, v3
	s_waitcnt vmcnt(0)
	v_mov_b32_e32 v7, v6
	v_mov_b32_e32 v6, v16
	;; [unrolled: 1-line block ×3, first 2 shown]
	buffer_store_dword v4, off, s[0:3], s32 offset:192 ; 4-byte Folded Spill
	buffer_store_dword v5, off, s[0:3], s32 offset:196 ; 4-byte Folded Spill
	;; [unrolled: 1-line block ×4, first 2 shown]
	v_cmpx_ne_u32_e32 0x7f, v4
	s_cbranch_execz .LBB227_552
; %bb.549:                              ;   in Loop: Header=BB227_10 Depth=1
	v_and_b32_e32 v15, 7, v3
	v_lshrrev_b32_e32 v3, 3, v4
	s_mov_b32 s25, exec_lo
	v_cmpx_gt_u32_e32 8, v4
; %bb.550:                              ;   in Loop: Header=BB227_10 Depth=1
	v_ffbh_u32_e32 v3, v15
	v_min_u32_e32 v3, 32, v3
	v_subrev_nc_u32_e32 v4, 28, v3
	v_sub_nc_u32_e32 v3, 29, v3
	v_lshlrev_b64 v[4:5], v4, v[15:16]
	v_and_b32_e32 v15, 7, v4
; %bb.551:                              ;   in Loop: Header=BB227_10 Depth=1
	s_or_b32 exec_lo, exec_lo, s25
	v_lshlrev_b32_e32 v2, 16, v2
	v_lshlrev_b32_e32 v4, 20, v15
	v_lshl_add_u32 v3, v3, 23, 0x3c000000
	v_and_b32_e32 v2, 0x80000000, v2
	v_or3_b32 v3, v4, v2, v3
	v_mov_b32_e32 v2, v16
	buffer_store_dword v2, off, s[0:3], s32 offset:756 ; 4-byte Folded Spill
	buffer_store_dword v3, off, s[0:3], s32 offset:760 ; 4-byte Folded Spill
.LBB227_552:                            ;   in Loop: Header=BB227_10 Depth=1
	s_or_b32 exec_lo, exec_lo, s24
.LBB227_553:                            ;   in Loop: Header=BB227_10 Depth=1
	s_or_b32 exec_lo, exec_lo, s23
.LBB227_554:                            ;   in Loop: Header=BB227_10 Depth=1
	s_or_b32 exec_lo, exec_lo, s17
	buffer_load_dword v2, off, s[0:3], s32 offset:212 ; 4-byte Folded Reload
	s_waitcnt vmcnt(0)
	v_add_co_u32 v2, s6, v0, v2
	v_add_co_ci_u32_e64 v3, null, 0, v1, s6
	flat_load_ushort v3, v[2:3]
	s_waitcnt vmcnt(0) lgkmcnt(0)
	v_and_b32_e32 v2, 0xffff, v3
	v_cmp_ne_u16_sdwa s6, v3, v16 src0_sel:BYTE_0 src1_sel:DWORD
	v_mov_b32_e32 v3, 0
	v_mov_b32_e32 v4, 0
	buffer_store_dword v3, off, s[0:3], s32 offset:772 ; 4-byte Folded Spill
	buffer_store_dword v4, off, s[0:3], s32 offset:776 ; 4-byte Folded Spill
	v_mov_b32_e32 v3, 0
	v_mov_b32_e32 v4, 0
	buffer_store_dword v3, off, s[0:3], s32 offset:764 ; 4-byte Folded Spill
	buffer_store_dword v4, off, s[0:3], s32 offset:768 ; 4-byte Folded Spill
	s_and_saveexec_b32 s17, s6
	s_cbranch_execz .LBB227_562
; %bb.555:                              ;   in Loop: Header=BB227_10 Depth=1
	v_bfrev_b32_e32 v3, 1
	v_mov_b32_e32 v4, 0
	buffer_store_dword v3, off, s[0:3], s32 offset:764 ; 4-byte Folded Spill
	buffer_store_dword v4, off, s[0:3], s32 offset:768 ; 4-byte Folded Spill
	v_mov_b32_e32 v3, 0x80
	v_cmp_ne_u16_sdwa s6, v2, v3 src0_sel:BYTE_0 src1_sel:DWORD
	s_and_saveexec_b32 s23, s6
	s_cbranch_execz .LBB227_561
; %bb.556:                              ;   in Loop: Header=BB227_10 Depth=1
	v_mov_b32_e32 v5, 0x7f800001
	v_and_b32_e32 v4, 0x7f, v2
	v_mov_b32_e32 v6, 0
	s_mov_b32 s24, exec_lo
	buffer_store_dword v5, off, s[0:3], s32 offset:764 ; 4-byte Folded Spill
	buffer_store_dword v6, off, s[0:3], s32 offset:768 ; 4-byte Folded Spill
	v_cmpx_ne_u32_e32 0x7f, v4
	s_cbranch_execz .LBB227_560
; %bb.557:                              ;   in Loop: Header=BB227_10 Depth=1
	v_and_b32_e32 v15, 7, v2
	v_lshrrev_b32_e32 v3, 3, v4
	s_mov_b32 s25, exec_lo
	v_cmpx_gt_u32_e32 8, v4
; %bb.558:                              ;   in Loop: Header=BB227_10 Depth=1
	v_ffbh_u32_e32 v3, v15
	v_min_u32_e32 v3, 32, v3
	v_subrev_nc_u32_e32 v4, 28, v3
	v_sub_nc_u32_e32 v3, 29, v3
	v_lshlrev_b64 v[4:5], v4, v[15:16]
	v_and_b32_e32 v15, 7, v4
; %bb.559:                              ;   in Loop: Header=BB227_10 Depth=1
	s_or_b32 exec_lo, exec_lo, s25
	v_lshlrev_b32_e32 v4, 24, v2
	v_lshlrev_b32_e32 v5, 20, v15
	v_lshl_add_u32 v3, v3, 23, 0x3c000000
	v_and_b32_e32 v4, 0x80000000, v4
	v_or3_b32 v15, v5, v4, v3
	buffer_store_dword v15, off, s[0:3], s32 offset:764 ; 4-byte Folded Spill
	buffer_store_dword v16, off, s[0:3], s32 offset:768 ; 4-byte Folded Spill
.LBB227_560:                            ;   in Loop: Header=BB227_10 Depth=1
	s_or_b32 exec_lo, exec_lo, s24
.LBB227_561:                            ;   in Loop: Header=BB227_10 Depth=1
	s_or_b32 exec_lo, exec_lo, s23
.LBB227_562:                            ;   in Loop: Header=BB227_10 Depth=1
	s_or_b32 exec_lo, exec_lo, s17
	v_cmp_ne_u16_sdwa s6, v2, v16 src0_sel:BYTE_1 src1_sel:DWORD
	s_and_saveexec_b32 s17, s6
	s_cbranch_execz .LBB227_570
; %bb.563:                              ;   in Loop: Header=BB227_10 Depth=1
	v_mov_b32_e32 v3, 0x80
	v_mov_b32_e32 v102, v16
	buffer_store_dword v102, off, s[0:3], s32 offset:772 ; 4-byte Folded Spill
	buffer_store_dword v103, off, s[0:3], s32 offset:776 ; 4-byte Folded Spill
	v_cmp_ne_u16_sdwa s6, v2, v3 src0_sel:BYTE_1 src1_sel:DWORD
	s_and_saveexec_b32 s23, s6
	s_cbranch_execz .LBB227_569
; %bb.564:                              ;   in Loop: Header=BB227_10 Depth=1
	s_clause 0x1
	buffer_load_dword v5, off, s[0:3], s32 offset:192
	buffer_load_dword v6, off, s[0:3], s32 offset:196
	v_mov_b32_e32 v3, 0xffff
	s_mov_b32 s24, exec_lo
	v_and_b32_sdwa v3, v3, v2 dst_sel:DWORD dst_unused:UNUSED_PAD src0_sel:DWORD src1_sel:BYTE_1
	v_and_b32_e32 v4, 0x7f, v3
	s_waitcnt vmcnt(0)
	v_mov_b32_e32 v7, v6
	v_mov_b32_e32 v6, v16
	;; [unrolled: 1-line block ×3, first 2 shown]
	buffer_store_dword v4, off, s[0:3], s32 offset:192 ; 4-byte Folded Spill
	buffer_store_dword v5, off, s[0:3], s32 offset:196 ; 4-byte Folded Spill
	;; [unrolled: 1-line block ×4, first 2 shown]
	v_cmpx_ne_u32_e32 0x7f, v4
	s_cbranch_execz .LBB227_568
; %bb.565:                              ;   in Loop: Header=BB227_10 Depth=1
	v_and_b32_e32 v15, 7, v3
	v_lshrrev_b32_e32 v3, 3, v4
	s_mov_b32 s25, exec_lo
	v_cmpx_gt_u32_e32 8, v4
; %bb.566:                              ;   in Loop: Header=BB227_10 Depth=1
	v_ffbh_u32_e32 v3, v15
	v_min_u32_e32 v3, 32, v3
	v_subrev_nc_u32_e32 v4, 28, v3
	v_sub_nc_u32_e32 v3, 29, v3
	v_lshlrev_b64 v[4:5], v4, v[15:16]
	v_and_b32_e32 v15, 7, v4
; %bb.567:                              ;   in Loop: Header=BB227_10 Depth=1
	s_or_b32 exec_lo, exec_lo, s25
	v_lshlrev_b32_e32 v2, 16, v2
	v_lshlrev_b32_e32 v4, 20, v15
	v_lshl_add_u32 v3, v3, 23, 0x3c000000
	v_and_b32_e32 v2, 0x80000000, v2
	v_or3_b32 v3, v4, v2, v3
	v_mov_b32_e32 v2, v16
	buffer_store_dword v2, off, s[0:3], s32 offset:772 ; 4-byte Folded Spill
	buffer_store_dword v3, off, s[0:3], s32 offset:776 ; 4-byte Folded Spill
.LBB227_568:                            ;   in Loop: Header=BB227_10 Depth=1
	s_or_b32 exec_lo, exec_lo, s24
.LBB227_569:                            ;   in Loop: Header=BB227_10 Depth=1
	s_or_b32 exec_lo, exec_lo, s23
.LBB227_570:                            ;   in Loop: Header=BB227_10 Depth=1
	s_or_b32 exec_lo, exec_lo, s17
	buffer_load_dword v2, off, s[0:3], s32 offset:216 ; 4-byte Folded Reload
	v_mov_b32_e32 v86, 0
	v_mov_b32_e32 v87, 0
	s_waitcnt vmcnt(0)
	v_add_co_u32 v0, s6, v0, v2
	v_add_co_ci_u32_e64 v1, null, 0, v1, s6
	flat_load_ushort v1, v[0:1]
	s_waitcnt vmcnt(0) lgkmcnt(0)
	v_and_b32_e32 v0, 0xffff, v1
	v_cmp_ne_u16_sdwa s6, v1, v16 src0_sel:BYTE_0 src1_sel:DWORD
	v_mov_b32_e32 v1, 0
	v_mov_b32_e32 v2, 0
	buffer_store_dword v1, off, s[0:3], s32 offset:780 ; 4-byte Folded Spill
	buffer_store_dword v2, off, s[0:3], s32 offset:784 ; 4-byte Folded Spill
	s_and_saveexec_b32 s17, s6
	s_cbranch_execz .LBB227_578
; %bb.571:                              ;   in Loop: Header=BB227_10 Depth=1
	v_bfrev_b32_e32 v1, 1
	v_mov_b32_e32 v2, 0
	buffer_store_dword v1, off, s[0:3], s32 offset:780 ; 4-byte Folded Spill
	buffer_store_dword v2, off, s[0:3], s32 offset:784 ; 4-byte Folded Spill
	v_mov_b32_e32 v1, 0x80
	v_cmp_ne_u16_sdwa s6, v0, v1 src0_sel:BYTE_0 src1_sel:DWORD
	s_and_saveexec_b32 s23, s6
	s_cbranch_execz .LBB227_577
; %bb.572:                              ;   in Loop: Header=BB227_10 Depth=1
	v_mov_b32_e32 v3, 0x7f800001
	v_and_b32_e32 v2, 0x7f, v0
	v_mov_b32_e32 v4, 0
	s_mov_b32 s24, exec_lo
	buffer_store_dword v3, off, s[0:3], s32 offset:780 ; 4-byte Folded Spill
	buffer_store_dword v4, off, s[0:3], s32 offset:784 ; 4-byte Folded Spill
	v_cmpx_ne_u32_e32 0x7f, v2
	s_cbranch_execz .LBB227_576
; %bb.573:                              ;   in Loop: Header=BB227_10 Depth=1
	v_and_b32_e32 v15, 7, v0
	v_lshrrev_b32_e32 v1, 3, v2
	s_mov_b32 s25, exec_lo
	v_cmpx_gt_u32_e32 8, v2
; %bb.574:                              ;   in Loop: Header=BB227_10 Depth=1
	v_ffbh_u32_e32 v1, v15
	v_min_u32_e32 v1, 32, v1
	v_subrev_nc_u32_e32 v2, 28, v1
	v_sub_nc_u32_e32 v1, 29, v1
	v_lshlrev_b64 v[2:3], v2, v[15:16]
	v_and_b32_e32 v15, 7, v2
; %bb.575:                              ;   in Loop: Header=BB227_10 Depth=1
	s_or_b32 exec_lo, exec_lo, s25
	v_lshlrev_b32_e32 v2, 24, v0
	v_lshlrev_b32_e32 v3, 20, v15
	v_lshl_add_u32 v1, v1, 23, 0x3c000000
	v_and_b32_e32 v2, 0x80000000, v2
	v_or3_b32 v15, v3, v2, v1
	buffer_store_dword v15, off, s[0:3], s32 offset:780 ; 4-byte Folded Spill
	buffer_store_dword v16, off, s[0:3], s32 offset:784 ; 4-byte Folded Spill
.LBB227_576:                            ;   in Loop: Header=BB227_10 Depth=1
	s_or_b32 exec_lo, exec_lo, s24
.LBB227_577:                            ;   in Loop: Header=BB227_10 Depth=1
	s_or_b32 exec_lo, exec_lo, s23
.LBB227_578:                            ;   in Loop: Header=BB227_10 Depth=1
	s_or_b32 exec_lo, exec_lo, s17
	v_cmp_ne_u16_sdwa s6, v0, v16 src0_sel:BYTE_1 src1_sel:DWORD
	s_and_saveexec_b32 s17, s6
	s_cbranch_execz .LBB227_586
; %bb.579:                              ;   in Loop: Header=BB227_10 Depth=1
	v_mov_b32_e32 v102, v16
	v_mov_b32_e32 v1, 0x80
	;; [unrolled: 1-line block ×3, first 2 shown]
	v_cmp_ne_u16_sdwa s6, v0, v1 src0_sel:BYTE_1 src1_sel:DWORD
	v_mov_b32_e32 v87, v103
	s_and_saveexec_b32 s23, s6
	s_cbranch_execz .LBB227_585
; %bb.580:                              ;   in Loop: Header=BB227_10 Depth=1
	s_clause 0x1
	buffer_load_dword v86, off, s[0:3], s32 offset:192
	buffer_load_dword v87, off, s[0:3], s32 offset:196
	v_mov_b32_e32 v1, 0xffff
	s_waitcnt vmcnt(1)
	v_mov_b32_e32 v86, v16
	s_mov_b32 s24, exec_lo
	v_and_b32_sdwa v1, v1, v0 dst_sel:DWORD dst_unused:UNUSED_PAD src0_sel:DWORD src1_sel:BYTE_1
	v_and_b32_e32 v2, 0x7f, v1
	s_waitcnt vmcnt(0)
	v_mov_b32_e32 v3, v87
	buffer_store_dword v2, off, s[0:3], s32 offset:192 ; 4-byte Folded Spill
	buffer_store_dword v3, off, s[0:3], s32 offset:196 ; 4-byte Folded Spill
	v_cmpx_ne_u32_e32 0x7f, v2
	s_cbranch_execz .LBB227_584
; %bb.581:                              ;   in Loop: Header=BB227_10 Depth=1
	v_and_b32_e32 v15, 7, v1
	v_lshrrev_b32_e32 v1, 3, v2
	s_mov_b32 s25, exec_lo
	v_cmpx_gt_u32_e32 8, v2
; %bb.582:                              ;   in Loop: Header=BB227_10 Depth=1
	v_ffbh_u32_e32 v1, v15
	v_min_u32_e32 v1, 32, v1
	v_subrev_nc_u32_e32 v2, 28, v1
	v_sub_nc_u32_e32 v1, 29, v1
	v_lshlrev_b64 v[2:3], v2, v[15:16]
	v_and_b32_e32 v15, 7, v2
; %bb.583:                              ;   in Loop: Header=BB227_10 Depth=1
	s_or_b32 exec_lo, exec_lo, s25
	v_lshlrev_b32_e32 v0, 16, v0
	v_lshlrev_b32_e32 v2, 20, v15
	v_lshl_add_u32 v1, v1, 23, 0x3c000000
	v_mov_b32_e32 v86, v16
	v_and_b32_e32 v0, 0x80000000, v0
	v_or3_b32 v87, v2, v0, v1
.LBB227_584:                            ;   in Loop: Header=BB227_10 Depth=1
	s_or_b32 exec_lo, exec_lo, s24
.LBB227_585:                            ;   in Loop: Header=BB227_10 Depth=1
	s_or_b32 exec_lo, exec_lo, s23
.LBB227_586:                            ;   in Loop: Header=BB227_10 Depth=1
	s_or_b32 exec_lo, exec_lo, s17
	buffer_load_dword v2, off, s[0:3], s32 offset:204 ; 4-byte Folded Reload
	v_add_co_u32 v0, s6, 0x900, v68
	v_add_co_ci_u32_e64 v1, null, 0, v69, s6
	v_mov_b32_e32 v98, 0
	v_mov_b32_e32 v99, 0
	s_waitcnt vmcnt(0)
	v_add_co_u32 v2, s6, v0, v2
	v_add_co_ci_u32_e64 v3, null, 0, v1, s6
	flat_load_ushort v3, v[2:3]
	s_waitcnt vmcnt(0) lgkmcnt(0)
	v_and_b32_e32 v2, 0xffff, v3
	v_cmp_ne_u16_sdwa s6, v3, v16 src0_sel:BYTE_0 src1_sel:DWORD
	v_mov_b32_e32 v3, 0
	v_mov_b32_e32 v4, 0
	buffer_store_dword v3, off, s[0:3], s32 offset:788 ; 4-byte Folded Spill
	buffer_store_dword v4, off, s[0:3], s32 offset:792 ; 4-byte Folded Spill
	s_and_saveexec_b32 s17, s6
	s_cbranch_execz .LBB227_594
; %bb.587:                              ;   in Loop: Header=BB227_10 Depth=1
	v_bfrev_b32_e32 v3, 1
	v_mov_b32_e32 v4, 0
	buffer_store_dword v3, off, s[0:3], s32 offset:788 ; 4-byte Folded Spill
	buffer_store_dword v4, off, s[0:3], s32 offset:792 ; 4-byte Folded Spill
	v_mov_b32_e32 v3, 0x80
	v_cmp_ne_u16_sdwa s6, v2, v3 src0_sel:BYTE_0 src1_sel:DWORD
	s_and_saveexec_b32 s23, s6
	s_cbranch_execz .LBB227_593
; %bb.588:                              ;   in Loop: Header=BB227_10 Depth=1
	v_mov_b32_e32 v5, 0x7f800001
	v_and_b32_e32 v4, 0x7f, v2
	v_mov_b32_e32 v6, 0
	s_mov_b32 s24, exec_lo
	buffer_store_dword v5, off, s[0:3], s32 offset:788 ; 4-byte Folded Spill
	buffer_store_dword v6, off, s[0:3], s32 offset:792 ; 4-byte Folded Spill
	v_cmpx_ne_u32_e32 0x7f, v4
	s_cbranch_execz .LBB227_592
; %bb.589:                              ;   in Loop: Header=BB227_10 Depth=1
	v_and_b32_e32 v15, 7, v2
	v_lshrrev_b32_e32 v3, 3, v4
	s_mov_b32 s25, exec_lo
	v_cmpx_gt_u32_e32 8, v4
; %bb.590:                              ;   in Loop: Header=BB227_10 Depth=1
	v_ffbh_u32_e32 v3, v15
	v_min_u32_e32 v3, 32, v3
	v_subrev_nc_u32_e32 v4, 28, v3
	v_sub_nc_u32_e32 v3, 29, v3
	v_lshlrev_b64 v[4:5], v4, v[15:16]
	v_and_b32_e32 v15, 7, v4
; %bb.591:                              ;   in Loop: Header=BB227_10 Depth=1
	s_or_b32 exec_lo, exec_lo, s25
	v_lshlrev_b32_e32 v4, 24, v2
	v_lshlrev_b32_e32 v5, 20, v15
	v_lshl_add_u32 v3, v3, 23, 0x3c000000
	v_and_b32_e32 v4, 0x80000000, v4
	v_or3_b32 v15, v5, v4, v3
	buffer_store_dword v15, off, s[0:3], s32 offset:788 ; 4-byte Folded Spill
	buffer_store_dword v16, off, s[0:3], s32 offset:792 ; 4-byte Folded Spill
.LBB227_592:                            ;   in Loop: Header=BB227_10 Depth=1
	s_or_b32 exec_lo, exec_lo, s24
.LBB227_593:                            ;   in Loop: Header=BB227_10 Depth=1
	s_or_b32 exec_lo, exec_lo, s23
.LBB227_594:                            ;   in Loop: Header=BB227_10 Depth=1
	s_or_b32 exec_lo, exec_lo, s17
	v_cmp_ne_u16_sdwa s6, v2, v16 src0_sel:BYTE_1 src1_sel:DWORD
	s_and_saveexec_b32 s17, s6
	s_cbranch_execz .LBB227_602
; %bb.595:                              ;   in Loop: Header=BB227_10 Depth=1
	v_mov_b32_e32 v102, v16
	v_mov_b32_e32 v3, 0x80
	;; [unrolled: 1-line block ×3, first 2 shown]
	v_cmp_ne_u16_sdwa s6, v2, v3 src0_sel:BYTE_1 src1_sel:DWORD
	v_mov_b32_e32 v99, v103
	s_and_saveexec_b32 s23, s6
	s_cbranch_execz .LBB227_601
; %bb.596:                              ;   in Loop: Header=BB227_10 Depth=1
	s_clause 0x1
	buffer_load_dword v98, off, s[0:3], s32 offset:192
	buffer_load_dword v99, off, s[0:3], s32 offset:196
	v_mov_b32_e32 v3, 0xffff
	s_waitcnt vmcnt(1)
	v_mov_b32_e32 v98, v16
	s_mov_b32 s24, exec_lo
	v_and_b32_sdwa v3, v3, v2 dst_sel:DWORD dst_unused:UNUSED_PAD src0_sel:DWORD src1_sel:BYTE_1
	v_and_b32_e32 v4, 0x7f, v3
	s_waitcnt vmcnt(0)
	v_mov_b32_e32 v5, v99
	buffer_store_dword v4, off, s[0:3], s32 offset:192 ; 4-byte Folded Spill
	buffer_store_dword v5, off, s[0:3], s32 offset:196 ; 4-byte Folded Spill
	v_cmpx_ne_u32_e32 0x7f, v4
	s_cbranch_execz .LBB227_600
; %bb.597:                              ;   in Loop: Header=BB227_10 Depth=1
	v_and_b32_e32 v15, 7, v3
	v_lshrrev_b32_e32 v3, 3, v4
	s_mov_b32 s25, exec_lo
	v_cmpx_gt_u32_e32 8, v4
; %bb.598:                              ;   in Loop: Header=BB227_10 Depth=1
	v_ffbh_u32_e32 v3, v15
	v_min_u32_e32 v3, 32, v3
	v_subrev_nc_u32_e32 v4, 28, v3
	v_sub_nc_u32_e32 v3, 29, v3
	v_lshlrev_b64 v[4:5], v4, v[15:16]
	v_and_b32_e32 v15, 7, v4
; %bb.599:                              ;   in Loop: Header=BB227_10 Depth=1
	s_or_b32 exec_lo, exec_lo, s25
	v_lshlrev_b32_e32 v2, 16, v2
	v_lshlrev_b32_e32 v4, 20, v15
	v_lshl_add_u32 v3, v3, 23, 0x3c000000
	v_mov_b32_e32 v98, v16
	v_and_b32_e32 v2, 0x80000000, v2
	v_or3_b32 v99, v4, v2, v3
.LBB227_600:                            ;   in Loop: Header=BB227_10 Depth=1
	s_or_b32 exec_lo, exec_lo, s24
.LBB227_601:                            ;   in Loop: Header=BB227_10 Depth=1
	s_or_b32 exec_lo, exec_lo, s23
.LBB227_602:                            ;   in Loop: Header=BB227_10 Depth=1
	s_or_b32 exec_lo, exec_lo, s17
	buffer_load_dword v2, off, s[0:3], s32 offset:208 ; 4-byte Folded Reload
	v_mov_b32_e32 v112, 0
	v_mov_b32_e32 v84, 0
	;; [unrolled: 1-line block ×4, first 2 shown]
	s_waitcnt vmcnt(0)
	v_add_co_u32 v2, s6, v0, v2
	v_add_co_ci_u32_e64 v3, null, 0, v1, s6
	flat_load_ushort v3, v[2:3]
	s_waitcnt vmcnt(0) lgkmcnt(0)
	v_and_b32_e32 v2, 0xffff, v3
	v_cmp_ne_u16_sdwa s6, v3, v16 src0_sel:BYTE_0 src1_sel:DWORD
	s_and_saveexec_b32 s17, s6
	s_cbranch_execz .LBB227_610
; %bb.603:                              ;   in Loop: Header=BB227_10 Depth=1
	v_mov_b32_e32 v3, 0x80
	v_bfrev_b32_e32 v84, 1
	v_mov_b32_e32 v85, 0
	v_cmp_ne_u16_sdwa s6, v2, v3 src0_sel:BYTE_0 src1_sel:DWORD
	s_and_saveexec_b32 s23, s6
	s_cbranch_execz .LBB227_609
; %bb.604:                              ;   in Loop: Header=BB227_10 Depth=1
	v_mov_b32_e32 v84, 0x7f800001
	v_and_b32_e32 v4, 0x7f, v2
	v_mov_b32_e32 v85, 0
	s_mov_b32 s24, exec_lo
	v_cmpx_ne_u32_e32 0x7f, v4
	s_cbranch_execz .LBB227_608
; %bb.605:                              ;   in Loop: Header=BB227_10 Depth=1
	v_and_b32_e32 v15, 7, v2
	v_lshrrev_b32_e32 v3, 3, v4
	s_mov_b32 s25, exec_lo
	v_cmpx_gt_u32_e32 8, v4
; %bb.606:                              ;   in Loop: Header=BB227_10 Depth=1
	v_ffbh_u32_e32 v3, v15
	v_min_u32_e32 v3, 32, v3
	v_subrev_nc_u32_e32 v4, 28, v3
	v_sub_nc_u32_e32 v3, 29, v3
	v_lshlrev_b64 v[4:5], v4, v[15:16]
	v_and_b32_e32 v15, 7, v4
; %bb.607:                              ;   in Loop: Header=BB227_10 Depth=1
	s_or_b32 exec_lo, exec_lo, s25
	v_lshlrev_b32_e32 v4, 24, v2
	v_lshlrev_b32_e32 v5, 20, v15
	v_lshl_add_u32 v3, v3, 23, 0x3c000000
	v_and_b32_e32 v4, 0x80000000, v4
	v_or3_b32 v15, v5, v4, v3
	v_mov_b32_e32 v85, v16
	v_mov_b32_e32 v84, v15
.LBB227_608:                            ;   in Loop: Header=BB227_10 Depth=1
	s_or_b32 exec_lo, exec_lo, s24
.LBB227_609:                            ;   in Loop: Header=BB227_10 Depth=1
	s_or_b32 exec_lo, exec_lo, s23
.LBB227_610:                            ;   in Loop: Header=BB227_10 Depth=1
	s_or_b32 exec_lo, exec_lo, s17
	v_cmp_ne_u16_sdwa s6, v2, v16 src0_sel:BYTE_1 src1_sel:DWORD
	s_and_saveexec_b32 s17, s6
	s_cbranch_execz .LBB227_618
; %bb.611:                              ;   in Loop: Header=BB227_10 Depth=1
	v_mov_b32_e32 v102, v16
	v_mov_b32_e32 v3, 0x80
	;; [unrolled: 1-line block ×4, first 2 shown]
	v_cmp_ne_u16_sdwa s6, v2, v3 src0_sel:BYTE_1 src1_sel:DWORD
	s_and_saveexec_b32 s23, s6
	s_cbranch_execz .LBB227_617
; %bb.612:                              ;   in Loop: Header=BB227_10 Depth=1
	s_clause 0x1
	buffer_load_dword v112, off, s[0:3], s32 offset:192
	buffer_load_dword v113, off, s[0:3], s32 offset:196
	v_mov_b32_e32 v3, 0xffff
	s_waitcnt vmcnt(1)
	v_mov_b32_e32 v112, v16
	s_mov_b32 s24, exec_lo
	v_and_b32_sdwa v3, v3, v2 dst_sel:DWORD dst_unused:UNUSED_PAD src0_sel:DWORD src1_sel:BYTE_1
	v_and_b32_e32 v4, 0x7f, v3
	s_waitcnt vmcnt(0)
	v_mov_b32_e32 v5, v113
	buffer_store_dword v4, off, s[0:3], s32 offset:192 ; 4-byte Folded Spill
	buffer_store_dword v5, off, s[0:3], s32 offset:196 ; 4-byte Folded Spill
	v_cmpx_ne_u32_e32 0x7f, v4
	s_cbranch_execz .LBB227_616
; %bb.613:                              ;   in Loop: Header=BB227_10 Depth=1
	v_and_b32_e32 v15, 7, v3
	v_lshrrev_b32_e32 v3, 3, v4
	s_mov_b32 s25, exec_lo
	v_cmpx_gt_u32_e32 8, v4
; %bb.614:                              ;   in Loop: Header=BB227_10 Depth=1
	v_ffbh_u32_e32 v3, v15
	v_min_u32_e32 v3, 32, v3
	v_subrev_nc_u32_e32 v4, 28, v3
	v_sub_nc_u32_e32 v3, 29, v3
	v_lshlrev_b64 v[4:5], v4, v[15:16]
	v_and_b32_e32 v15, 7, v4
; %bb.615:                              ;   in Loop: Header=BB227_10 Depth=1
	s_or_b32 exec_lo, exec_lo, s25
	v_lshlrev_b32_e32 v2, 16, v2
	v_lshlrev_b32_e32 v4, 20, v15
	v_lshl_add_u32 v3, v3, 23, 0x3c000000
	v_mov_b32_e32 v112, v16
	v_and_b32_e32 v2, 0x80000000, v2
	v_or3_b32 v113, v4, v2, v3
.LBB227_616:                            ;   in Loop: Header=BB227_10 Depth=1
	s_or_b32 exec_lo, exec_lo, s24
.LBB227_617:                            ;   in Loop: Header=BB227_10 Depth=1
	s_or_b32 exec_lo, exec_lo, s23
.LBB227_618:                            ;   in Loop: Header=BB227_10 Depth=1
	s_or_b32 exec_lo, exec_lo, s17
	buffer_load_dword v2, off, s[0:3], s32 offset:212 ; 4-byte Folded Reload
	v_mov_b32_e32 v116, 0
	v_mov_b32_e32 v96, 0
	;; [unrolled: 1-line block ×4, first 2 shown]
	s_waitcnt vmcnt(0)
	v_add_co_u32 v2, s6, v0, v2
	v_add_co_ci_u32_e64 v3, null, 0, v1, s6
	flat_load_ushort v3, v[2:3]
	s_waitcnt vmcnt(0) lgkmcnt(0)
	v_and_b32_e32 v2, 0xffff, v3
	v_cmp_ne_u16_sdwa s6, v3, v16 src0_sel:BYTE_0 src1_sel:DWORD
	s_and_saveexec_b32 s17, s6
	s_cbranch_execz .LBB227_626
; %bb.619:                              ;   in Loop: Header=BB227_10 Depth=1
	v_mov_b32_e32 v3, 0x80
	v_bfrev_b32_e32 v96, 1
	v_mov_b32_e32 v97, 0
	v_cmp_ne_u16_sdwa s6, v2, v3 src0_sel:BYTE_0 src1_sel:DWORD
	s_and_saveexec_b32 s23, s6
	s_cbranch_execz .LBB227_625
; %bb.620:                              ;   in Loop: Header=BB227_10 Depth=1
	v_mov_b32_e32 v96, 0x7f800001
	v_and_b32_e32 v4, 0x7f, v2
	v_mov_b32_e32 v97, 0
	s_mov_b32 s24, exec_lo
	v_cmpx_ne_u32_e32 0x7f, v4
	s_cbranch_execz .LBB227_624
; %bb.621:                              ;   in Loop: Header=BB227_10 Depth=1
	v_and_b32_e32 v15, 7, v2
	v_lshrrev_b32_e32 v3, 3, v4
	s_mov_b32 s25, exec_lo
	v_cmpx_gt_u32_e32 8, v4
; %bb.622:                              ;   in Loop: Header=BB227_10 Depth=1
	v_ffbh_u32_e32 v3, v15
	v_min_u32_e32 v3, 32, v3
	v_subrev_nc_u32_e32 v4, 28, v3
	v_sub_nc_u32_e32 v3, 29, v3
	v_lshlrev_b64 v[4:5], v4, v[15:16]
	v_and_b32_e32 v15, 7, v4
; %bb.623:                              ;   in Loop: Header=BB227_10 Depth=1
	s_or_b32 exec_lo, exec_lo, s25
	v_lshlrev_b32_e32 v4, 24, v2
	v_lshlrev_b32_e32 v5, 20, v15
	v_lshl_add_u32 v3, v3, 23, 0x3c000000
	v_and_b32_e32 v4, 0x80000000, v4
	v_or3_b32 v15, v5, v4, v3
	v_mov_b32_e32 v97, v16
	v_mov_b32_e32 v96, v15
.LBB227_624:                            ;   in Loop: Header=BB227_10 Depth=1
	s_or_b32 exec_lo, exec_lo, s24
.LBB227_625:                            ;   in Loop: Header=BB227_10 Depth=1
	s_or_b32 exec_lo, exec_lo, s23
.LBB227_626:                            ;   in Loop: Header=BB227_10 Depth=1
	s_or_b32 exec_lo, exec_lo, s17
	v_cmp_ne_u16_sdwa s6, v2, v16 src0_sel:BYTE_1 src1_sel:DWORD
	s_and_saveexec_b32 s17, s6
	s_cbranch_execz .LBB227_634
; %bb.627:                              ;   in Loop: Header=BB227_10 Depth=1
	v_mov_b32_e32 v102, v16
	v_mov_b32_e32 v3, 0x80
	;; [unrolled: 1-line block ×4, first 2 shown]
	v_cmp_ne_u16_sdwa s6, v2, v3 src0_sel:BYTE_1 src1_sel:DWORD
	s_and_saveexec_b32 s23, s6
	s_cbranch_execz .LBB227_633
; %bb.628:                              ;   in Loop: Header=BB227_10 Depth=1
	s_clause 0x1
	buffer_load_dword v116, off, s[0:3], s32 offset:192
	buffer_load_dword v117, off, s[0:3], s32 offset:196
	v_mov_b32_e32 v3, 0xffff
	s_waitcnt vmcnt(1)
	v_mov_b32_e32 v116, v16
	s_mov_b32 s24, exec_lo
	v_and_b32_sdwa v3, v3, v2 dst_sel:DWORD dst_unused:UNUSED_PAD src0_sel:DWORD src1_sel:BYTE_1
	v_and_b32_e32 v4, 0x7f, v3
	s_waitcnt vmcnt(0)
	v_mov_b32_e32 v5, v117
	buffer_store_dword v4, off, s[0:3], s32 offset:192 ; 4-byte Folded Spill
	buffer_store_dword v5, off, s[0:3], s32 offset:196 ; 4-byte Folded Spill
	v_cmpx_ne_u32_e32 0x7f, v4
	s_cbranch_execz .LBB227_632
; %bb.629:                              ;   in Loop: Header=BB227_10 Depth=1
	v_and_b32_e32 v15, 7, v3
	v_lshrrev_b32_e32 v3, 3, v4
	s_mov_b32 s25, exec_lo
	v_cmpx_gt_u32_e32 8, v4
; %bb.630:                              ;   in Loop: Header=BB227_10 Depth=1
	v_ffbh_u32_e32 v3, v15
	v_min_u32_e32 v3, 32, v3
	v_subrev_nc_u32_e32 v4, 28, v3
	v_sub_nc_u32_e32 v3, 29, v3
	v_lshlrev_b64 v[4:5], v4, v[15:16]
	v_and_b32_e32 v15, 7, v4
; %bb.631:                              ;   in Loop: Header=BB227_10 Depth=1
	s_or_b32 exec_lo, exec_lo, s25
	v_lshlrev_b32_e32 v2, 16, v2
	v_lshlrev_b32_e32 v4, 20, v15
	v_lshl_add_u32 v3, v3, 23, 0x3c000000
	v_mov_b32_e32 v116, v16
	v_and_b32_e32 v2, 0x80000000, v2
	v_or3_b32 v117, v4, v2, v3
.LBB227_632:                            ;   in Loop: Header=BB227_10 Depth=1
	s_or_b32 exec_lo, exec_lo, s24
.LBB227_633:                            ;   in Loop: Header=BB227_10 Depth=1
	s_or_b32 exec_lo, exec_lo, s23
.LBB227_634:                            ;   in Loop: Header=BB227_10 Depth=1
	s_or_b32 exec_lo, exec_lo, s17
	buffer_load_dword v2, off, s[0:3], s32 offset:216 ; 4-byte Folded Reload
	v_mov_b32_e32 v40, 0
	v_mov_b32_e32 v100, 0
	;; [unrolled: 1-line block ×4, first 2 shown]
	s_waitcnt vmcnt(0)
	v_add_co_u32 v0, s6, v0, v2
	v_add_co_ci_u32_e64 v1, null, 0, v1, s6
	flat_load_ushort v1, v[0:1]
	s_waitcnt vmcnt(0) lgkmcnt(0)
	v_and_b32_e32 v0, 0xffff, v1
	v_cmp_ne_u16_sdwa s6, v1, v16 src0_sel:BYTE_0 src1_sel:DWORD
	s_and_saveexec_b32 s17, s6
	s_cbranch_execz .LBB227_642
; %bb.635:                              ;   in Loop: Header=BB227_10 Depth=1
	v_mov_b32_e32 v1, 0x80
	v_bfrev_b32_e32 v100, 1
	v_mov_b32_e32 v101, 0
	v_cmp_ne_u16_sdwa s6, v0, v1 src0_sel:BYTE_0 src1_sel:DWORD
	s_and_saveexec_b32 s23, s6
	s_cbranch_execz .LBB227_641
; %bb.636:                              ;   in Loop: Header=BB227_10 Depth=1
	v_mov_b32_e32 v100, 0x7f800001
	v_and_b32_e32 v2, 0x7f, v0
	v_mov_b32_e32 v101, 0
	s_mov_b32 s24, exec_lo
	v_cmpx_ne_u32_e32 0x7f, v2
	s_cbranch_execz .LBB227_640
; %bb.637:                              ;   in Loop: Header=BB227_10 Depth=1
	v_and_b32_e32 v15, 7, v0
	v_lshrrev_b32_e32 v1, 3, v2
	s_mov_b32 s25, exec_lo
	v_cmpx_gt_u32_e32 8, v2
; %bb.638:                              ;   in Loop: Header=BB227_10 Depth=1
	v_ffbh_u32_e32 v1, v15
	v_min_u32_e32 v1, 32, v1
	v_subrev_nc_u32_e32 v2, 28, v1
	v_sub_nc_u32_e32 v1, 29, v1
	v_lshlrev_b64 v[2:3], v2, v[15:16]
	v_and_b32_e32 v15, 7, v2
; %bb.639:                              ;   in Loop: Header=BB227_10 Depth=1
	s_or_b32 exec_lo, exec_lo, s25
	v_lshlrev_b32_e32 v2, 24, v0
	v_lshlrev_b32_e32 v3, 20, v15
	v_lshl_add_u32 v1, v1, 23, 0x3c000000
	v_and_b32_e32 v2, 0x80000000, v2
	v_or3_b32 v15, v3, v2, v1
	v_mov_b32_e32 v101, v16
	v_mov_b32_e32 v100, v15
.LBB227_640:                            ;   in Loop: Header=BB227_10 Depth=1
	s_or_b32 exec_lo, exec_lo, s24
.LBB227_641:                            ;   in Loop: Header=BB227_10 Depth=1
	s_or_b32 exec_lo, exec_lo, s23
.LBB227_642:                            ;   in Loop: Header=BB227_10 Depth=1
	s_or_b32 exec_lo, exec_lo, s17
	v_cmp_ne_u16_sdwa s6, v0, v16 src0_sel:BYTE_1 src1_sel:DWORD
	s_and_saveexec_b32 s17, s6
	s_cbranch_execz .LBB227_650
; %bb.643:                              ;   in Loop: Header=BB227_10 Depth=1
	v_mov_b32_e32 v102, v16
	v_mov_b32_e32 v1, 0x80
	v_mov_b32_e32 v40, v102
	v_cmp_ne_u16_sdwa s6, v0, v1 src0_sel:BYTE_1 src1_sel:DWORD
	v_mov_b32_e32 v41, v103
	s_and_saveexec_b32 s23, s6
	s_cbranch_execz .LBB227_649
; %bb.644:                              ;   in Loop: Header=BB227_10 Depth=1
	s_clause 0x1
	buffer_load_dword v40, off, s[0:3], s32 offset:192
	buffer_load_dword v41, off, s[0:3], s32 offset:196
	v_mov_b32_e32 v1, 0xffff
	s_waitcnt vmcnt(1)
	v_mov_b32_e32 v40, v16
	s_mov_b32 s24, exec_lo
	v_and_b32_sdwa v1, v1, v0 dst_sel:DWORD dst_unused:UNUSED_PAD src0_sel:DWORD src1_sel:BYTE_1
	v_and_b32_e32 v2, 0x7f, v1
	s_waitcnt vmcnt(0)
	v_mov_b32_e32 v3, v41
	buffer_store_dword v2, off, s[0:3], s32 offset:192 ; 4-byte Folded Spill
	buffer_store_dword v3, off, s[0:3], s32 offset:196 ; 4-byte Folded Spill
	v_cmpx_ne_u32_e32 0x7f, v2
	s_cbranch_execz .LBB227_648
; %bb.645:                              ;   in Loop: Header=BB227_10 Depth=1
	v_and_b32_e32 v15, 7, v1
	v_lshrrev_b32_e32 v1, 3, v2
	s_mov_b32 s25, exec_lo
	v_cmpx_gt_u32_e32 8, v2
; %bb.646:                              ;   in Loop: Header=BB227_10 Depth=1
	v_ffbh_u32_e32 v1, v15
	v_min_u32_e32 v1, 32, v1
	v_subrev_nc_u32_e32 v2, 28, v1
	v_sub_nc_u32_e32 v1, 29, v1
	v_lshlrev_b64 v[2:3], v2, v[15:16]
	v_and_b32_e32 v15, 7, v2
; %bb.647:                              ;   in Loop: Header=BB227_10 Depth=1
	s_or_b32 exec_lo, exec_lo, s25
	v_lshlrev_b32_e32 v0, 16, v0
	v_lshlrev_b32_e32 v2, 20, v15
	v_lshl_add_u32 v1, v1, 23, 0x3c000000
	v_mov_b32_e32 v40, v16
	v_and_b32_e32 v0, 0x80000000, v0
	v_or3_b32 v41, v2, v0, v1
.LBB227_648:                            ;   in Loop: Header=BB227_10 Depth=1
	s_or_b32 exec_lo, exec_lo, s24
.LBB227_649:                            ;   in Loop: Header=BB227_10 Depth=1
	s_or_b32 exec_lo, exec_lo, s23
.LBB227_650:                            ;   in Loop: Header=BB227_10 Depth=1
	s_or_b32 exec_lo, exec_lo, s17
	buffer_load_dword v2, off, s[0:3], s32 offset:204 ; 4-byte Folded Reload
	v_add_co_u32 v0, s6, 0xa00, v68
	v_add_co_ci_u32_e64 v1, null, 0, v69, s6
	v_mov_b32_e32 v44, 0
	v_mov_b32_e32 v4, 0
	;; [unrolled: 1-line block ×4, first 2 shown]
	s_waitcnt vmcnt(0)
	v_add_co_u32 v2, s6, v0, v2
	v_add_co_ci_u32_e64 v3, null, 0, v1, s6
	flat_load_ushort v3, v[2:3]
	s_waitcnt vmcnt(0) lgkmcnt(0)
	v_and_b32_e32 v2, 0xffff, v3
	v_cmp_ne_u16_sdwa s6, v3, v16 src0_sel:BYTE_0 src1_sel:DWORD
	s_and_saveexec_b32 s17, s6
	s_cbranch_execz .LBB227_658
; %bb.651:                              ;   in Loop: Header=BB227_10 Depth=1
	v_mov_b32_e32 v3, 0x80
	v_bfrev_b32_e32 v4, 1
	v_mov_b32_e32 v5, 0
	v_cmp_ne_u16_sdwa s6, v2, v3 src0_sel:BYTE_0 src1_sel:DWORD
	s_and_saveexec_b32 s23, s6
	s_cbranch_execz .LBB227_657
; %bb.652:                              ;   in Loop: Header=BB227_10 Depth=1
	v_mov_b32_e32 v4, 0x7f800001
	v_and_b32_e32 v6, 0x7f, v2
	v_mov_b32_e32 v5, 0
	s_mov_b32 s24, exec_lo
	v_cmpx_ne_u32_e32 0x7f, v6
	s_cbranch_execz .LBB227_656
; %bb.653:                              ;   in Loop: Header=BB227_10 Depth=1
	v_and_b32_e32 v15, 7, v2
	v_lshrrev_b32_e32 v3, 3, v6
	s_mov_b32 s25, exec_lo
	v_cmpx_gt_u32_e32 8, v6
; %bb.654:                              ;   in Loop: Header=BB227_10 Depth=1
	v_ffbh_u32_e32 v3, v15
	v_min_u32_e32 v3, 32, v3
	v_subrev_nc_u32_e32 v4, 28, v3
	v_sub_nc_u32_e32 v3, 29, v3
	v_lshlrev_b64 v[4:5], v4, v[15:16]
	v_and_b32_e32 v15, 7, v4
; %bb.655:                              ;   in Loop: Header=BB227_10 Depth=1
	s_or_b32 exec_lo, exec_lo, s25
	v_lshlrev_b32_e32 v4, 24, v2
	v_lshlrev_b32_e32 v5, 20, v15
	v_lshl_add_u32 v3, v3, 23, 0x3c000000
	v_and_b32_e32 v4, 0x80000000, v4
	v_or3_b32 v15, v5, v4, v3
	v_mov_b32_e32 v4, v15
	v_mov_b32_e32 v5, v16
.LBB227_656:                            ;   in Loop: Header=BB227_10 Depth=1
	s_or_b32 exec_lo, exec_lo, s24
.LBB227_657:                            ;   in Loop: Header=BB227_10 Depth=1
	s_or_b32 exec_lo, exec_lo, s23
.LBB227_658:                            ;   in Loop: Header=BB227_10 Depth=1
	s_or_b32 exec_lo, exec_lo, s17
	v_cmp_ne_u16_sdwa s6, v2, v16 src0_sel:BYTE_1 src1_sel:DWORD
	s_and_saveexec_b32 s17, s6
	s_cbranch_execz .LBB227_666
; %bb.659:                              ;   in Loop: Header=BB227_10 Depth=1
	v_mov_b32_e32 v102, v16
	v_mov_b32_e32 v3, 0x80
	;; [unrolled: 1-line block ×3, first 2 shown]
	v_cmp_ne_u16_sdwa s6, v2, v3 src0_sel:BYTE_1 src1_sel:DWORD
	v_mov_b32_e32 v45, v103
	s_and_saveexec_b32 s23, s6
	s_cbranch_execz .LBB227_665
; %bb.660:                              ;   in Loop: Header=BB227_10 Depth=1
	s_clause 0x1
	buffer_load_dword v44, off, s[0:3], s32 offset:192
	buffer_load_dword v45, off, s[0:3], s32 offset:196
	v_mov_b32_e32 v3, 0xffff
	s_waitcnt vmcnt(1)
	v_mov_b32_e32 v44, v16
	s_mov_b32 s24, exec_lo
	v_and_b32_sdwa v3, v3, v2 dst_sel:DWORD dst_unused:UNUSED_PAD src0_sel:DWORD src1_sel:BYTE_1
	v_and_b32_e32 v6, 0x7f, v3
	s_waitcnt vmcnt(0)
	v_mov_b32_e32 v7, v45
	buffer_store_dword v6, off, s[0:3], s32 offset:192 ; 4-byte Folded Spill
	buffer_store_dword v7, off, s[0:3], s32 offset:196 ; 4-byte Folded Spill
	v_cmpx_ne_u32_e32 0x7f, v6
	s_cbranch_execz .LBB227_664
; %bb.661:                              ;   in Loop: Header=BB227_10 Depth=1
	v_and_b32_e32 v15, 7, v3
	v_lshrrev_b32_e32 v3, 3, v6
	s_mov_b32 s25, exec_lo
	v_cmpx_gt_u32_e32 8, v6
; %bb.662:                              ;   in Loop: Header=BB227_10 Depth=1
	v_ffbh_u32_e32 v3, v15
	v_min_u32_e32 v3, 32, v3
	v_subrev_nc_u32_e32 v6, 28, v3
	v_sub_nc_u32_e32 v3, 29, v3
	v_lshlrev_b64 v[6:7], v6, v[15:16]
	v_and_b32_e32 v15, 7, v6
; %bb.663:                              ;   in Loop: Header=BB227_10 Depth=1
	s_or_b32 exec_lo, exec_lo, s25
	v_lshlrev_b32_e32 v2, 16, v2
	v_lshlrev_b32_e32 v6, 20, v15
	v_lshl_add_u32 v3, v3, 23, 0x3c000000
	v_mov_b32_e32 v44, v16
	v_and_b32_e32 v2, 0x80000000, v2
	v_or3_b32 v45, v6, v2, v3
.LBB227_664:                            ;   in Loop: Header=BB227_10 Depth=1
	s_or_b32 exec_lo, exec_lo, s24
.LBB227_665:                            ;   in Loop: Header=BB227_10 Depth=1
	s_or_b32 exec_lo, exec_lo, s23
.LBB227_666:                            ;   in Loop: Header=BB227_10 Depth=1
	s_or_b32 exec_lo, exec_lo, s17
	buffer_load_dword v2, off, s[0:3], s32 offset:208 ; 4-byte Folded Reload
	v_mov_b32_e32 v56, 0
	v_mov_b32_e32 v114, 0
	;; [unrolled: 1-line block ×4, first 2 shown]
	s_waitcnt vmcnt(0)
	v_add_co_u32 v2, s6, v0, v2
	v_add_co_ci_u32_e64 v3, null, 0, v1, s6
	flat_load_ushort v3, v[2:3]
	s_waitcnt vmcnt(0) lgkmcnt(0)
	v_and_b32_e32 v2, 0xffff, v3
	v_cmp_ne_u16_sdwa s6, v3, v16 src0_sel:BYTE_0 src1_sel:DWORD
	s_and_saveexec_b32 s17, s6
	s_cbranch_execz .LBB227_674
; %bb.667:                              ;   in Loop: Header=BB227_10 Depth=1
	v_mov_b32_e32 v3, 0x80
	v_bfrev_b32_e32 v114, 1
	v_mov_b32_e32 v115, 0
	v_cmp_ne_u16_sdwa s6, v2, v3 src0_sel:BYTE_0 src1_sel:DWORD
	s_and_saveexec_b32 s23, s6
	s_cbranch_execz .LBB227_673
; %bb.668:                              ;   in Loop: Header=BB227_10 Depth=1
	v_mov_b32_e32 v114, 0x7f800001
	v_and_b32_e32 v6, 0x7f, v2
	v_mov_b32_e32 v115, 0
	s_mov_b32 s24, exec_lo
	v_cmpx_ne_u32_e32 0x7f, v6
	s_cbranch_execz .LBB227_672
; %bb.669:                              ;   in Loop: Header=BB227_10 Depth=1
	v_and_b32_e32 v15, 7, v2
	v_lshrrev_b32_e32 v3, 3, v6
	s_mov_b32 s25, exec_lo
	v_cmpx_gt_u32_e32 8, v6
; %bb.670:                              ;   in Loop: Header=BB227_10 Depth=1
	v_ffbh_u32_e32 v3, v15
	v_min_u32_e32 v3, 32, v3
	v_subrev_nc_u32_e32 v6, 28, v3
	v_sub_nc_u32_e32 v3, 29, v3
	v_lshlrev_b64 v[6:7], v6, v[15:16]
	v_and_b32_e32 v15, 7, v6
; %bb.671:                              ;   in Loop: Header=BB227_10 Depth=1
	s_or_b32 exec_lo, exec_lo, s25
	v_lshlrev_b32_e32 v6, 24, v2
	v_lshlrev_b32_e32 v7, 20, v15
	v_lshl_add_u32 v3, v3, 23, 0x3c000000
	v_and_b32_e32 v6, 0x80000000, v6
	v_or3_b32 v15, v7, v6, v3
	v_mov_b32_e32 v115, v16
	v_mov_b32_e32 v114, v15
.LBB227_672:                            ;   in Loop: Header=BB227_10 Depth=1
	s_or_b32 exec_lo, exec_lo, s24
.LBB227_673:                            ;   in Loop: Header=BB227_10 Depth=1
	s_or_b32 exec_lo, exec_lo, s23
.LBB227_674:                            ;   in Loop: Header=BB227_10 Depth=1
	s_or_b32 exec_lo, exec_lo, s17
	v_cmp_ne_u16_sdwa s6, v2, v16 src0_sel:BYTE_1 src1_sel:DWORD
	s_and_saveexec_b32 s17, s6
	s_cbranch_execz .LBB227_682
; %bb.675:                              ;   in Loop: Header=BB227_10 Depth=1
	v_mov_b32_e32 v102, v16
	v_mov_b32_e32 v3, 0x80
	;; [unrolled: 1-line block ×3, first 2 shown]
	v_cmp_ne_u16_sdwa s6, v2, v3 src0_sel:BYTE_1 src1_sel:DWORD
	v_mov_b32_e32 v57, v103
	s_and_saveexec_b32 s23, s6
	s_cbranch_execz .LBB227_681
; %bb.676:                              ;   in Loop: Header=BB227_10 Depth=1
	s_clause 0x1
	buffer_load_dword v56, off, s[0:3], s32 offset:192
	buffer_load_dword v57, off, s[0:3], s32 offset:196
	v_mov_b32_e32 v3, 0xffff
	s_waitcnt vmcnt(1)
	v_mov_b32_e32 v56, v16
	s_mov_b32 s24, exec_lo
	v_and_b32_sdwa v3, v3, v2 dst_sel:DWORD dst_unused:UNUSED_PAD src0_sel:DWORD src1_sel:BYTE_1
	v_and_b32_e32 v6, 0x7f, v3
	s_waitcnt vmcnt(0)
	v_mov_b32_e32 v7, v57
	buffer_store_dword v6, off, s[0:3], s32 offset:192 ; 4-byte Folded Spill
	buffer_store_dword v7, off, s[0:3], s32 offset:196 ; 4-byte Folded Spill
	v_cmpx_ne_u32_e32 0x7f, v6
	s_cbranch_execz .LBB227_680
; %bb.677:                              ;   in Loop: Header=BB227_10 Depth=1
	v_and_b32_e32 v15, 7, v3
	v_lshrrev_b32_e32 v3, 3, v6
	s_mov_b32 s25, exec_lo
	v_cmpx_gt_u32_e32 8, v6
; %bb.678:                              ;   in Loop: Header=BB227_10 Depth=1
	v_ffbh_u32_e32 v3, v15
	v_min_u32_e32 v3, 32, v3
	v_subrev_nc_u32_e32 v6, 28, v3
	v_sub_nc_u32_e32 v3, 29, v3
	v_lshlrev_b64 v[6:7], v6, v[15:16]
	v_and_b32_e32 v15, 7, v6
; %bb.679:                              ;   in Loop: Header=BB227_10 Depth=1
	s_or_b32 exec_lo, exec_lo, s25
	v_lshlrev_b32_e32 v2, 16, v2
	v_lshlrev_b32_e32 v6, 20, v15
	v_lshl_add_u32 v3, v3, 23, 0x3c000000
	v_mov_b32_e32 v56, v16
	v_and_b32_e32 v2, 0x80000000, v2
	v_or3_b32 v57, v6, v2, v3
.LBB227_680:                            ;   in Loop: Header=BB227_10 Depth=1
	s_or_b32 exec_lo, exec_lo, s24
.LBB227_681:                            ;   in Loop: Header=BB227_10 Depth=1
	s_or_b32 exec_lo, exec_lo, s23
.LBB227_682:                            ;   in Loop: Header=BB227_10 Depth=1
	s_or_b32 exec_lo, exec_lo, s17
	buffer_load_dword v2, off, s[0:3], s32 offset:212 ; 4-byte Folded Reload
	v_mov_b32_e32 v60, 0
	v_mov_b32_e32 v118, 0
	;; [unrolled: 1-line block ×4, first 2 shown]
	s_waitcnt vmcnt(0)
	v_add_co_u32 v2, s6, v0, v2
	v_add_co_ci_u32_e64 v3, null, 0, v1, s6
	flat_load_ushort v3, v[2:3]
	s_waitcnt vmcnt(0) lgkmcnt(0)
	v_and_b32_e32 v2, 0xffff, v3
	v_cmp_ne_u16_sdwa s6, v3, v16 src0_sel:BYTE_0 src1_sel:DWORD
	s_and_saveexec_b32 s17, s6
	s_cbranch_execz .LBB227_690
; %bb.683:                              ;   in Loop: Header=BB227_10 Depth=1
	v_mov_b32_e32 v3, 0x80
	v_bfrev_b32_e32 v118, 1
	v_mov_b32_e32 v119, 0
	v_cmp_ne_u16_sdwa s6, v2, v3 src0_sel:BYTE_0 src1_sel:DWORD
	s_and_saveexec_b32 s23, s6
	s_cbranch_execz .LBB227_689
; %bb.684:                              ;   in Loop: Header=BB227_10 Depth=1
	v_mov_b32_e32 v118, 0x7f800001
	v_and_b32_e32 v6, 0x7f, v2
	v_mov_b32_e32 v119, 0
	s_mov_b32 s24, exec_lo
	v_cmpx_ne_u32_e32 0x7f, v6
	s_cbranch_execz .LBB227_688
; %bb.685:                              ;   in Loop: Header=BB227_10 Depth=1
	v_and_b32_e32 v15, 7, v2
	v_lshrrev_b32_e32 v3, 3, v6
	s_mov_b32 s25, exec_lo
	v_cmpx_gt_u32_e32 8, v6
; %bb.686:                              ;   in Loop: Header=BB227_10 Depth=1
	v_ffbh_u32_e32 v3, v15
	v_min_u32_e32 v3, 32, v3
	v_subrev_nc_u32_e32 v6, 28, v3
	v_sub_nc_u32_e32 v3, 29, v3
	v_lshlrev_b64 v[6:7], v6, v[15:16]
	v_and_b32_e32 v15, 7, v6
; %bb.687:                              ;   in Loop: Header=BB227_10 Depth=1
	s_or_b32 exec_lo, exec_lo, s25
	v_lshlrev_b32_e32 v6, 24, v2
	v_lshlrev_b32_e32 v7, 20, v15
	v_lshl_add_u32 v3, v3, 23, 0x3c000000
	v_and_b32_e32 v6, 0x80000000, v6
	v_or3_b32 v15, v7, v6, v3
	v_mov_b32_e32 v119, v16
	v_mov_b32_e32 v118, v15
.LBB227_688:                            ;   in Loop: Header=BB227_10 Depth=1
	s_or_b32 exec_lo, exec_lo, s24
.LBB227_689:                            ;   in Loop: Header=BB227_10 Depth=1
	s_or_b32 exec_lo, exec_lo, s23
.LBB227_690:                            ;   in Loop: Header=BB227_10 Depth=1
	s_or_b32 exec_lo, exec_lo, s17
	v_cmp_ne_u16_sdwa s6, v2, v16 src0_sel:BYTE_1 src1_sel:DWORD
	s_and_saveexec_b32 s17, s6
	s_cbranch_execz .LBB227_698
; %bb.691:                              ;   in Loop: Header=BB227_10 Depth=1
	v_mov_b32_e32 v102, v16
	v_mov_b32_e32 v3, 0x80
	;; [unrolled: 1-line block ×3, first 2 shown]
	v_cmp_ne_u16_sdwa s6, v2, v3 src0_sel:BYTE_1 src1_sel:DWORD
	v_mov_b32_e32 v61, v103
	s_and_saveexec_b32 s23, s6
	s_cbranch_execz .LBB227_697
; %bb.692:                              ;   in Loop: Header=BB227_10 Depth=1
	s_clause 0x1
	buffer_load_dword v60, off, s[0:3], s32 offset:192
	buffer_load_dword v61, off, s[0:3], s32 offset:196
	v_mov_b32_e32 v3, 0xffff
	s_waitcnt vmcnt(1)
	v_mov_b32_e32 v60, v16
	s_mov_b32 s24, exec_lo
	v_and_b32_sdwa v3, v3, v2 dst_sel:DWORD dst_unused:UNUSED_PAD src0_sel:DWORD src1_sel:BYTE_1
	v_and_b32_e32 v6, 0x7f, v3
	s_waitcnt vmcnt(0)
	v_mov_b32_e32 v7, v61
	buffer_store_dword v6, off, s[0:3], s32 offset:192 ; 4-byte Folded Spill
	buffer_store_dword v7, off, s[0:3], s32 offset:196 ; 4-byte Folded Spill
	v_cmpx_ne_u32_e32 0x7f, v6
	s_cbranch_execz .LBB227_696
; %bb.693:                              ;   in Loop: Header=BB227_10 Depth=1
	v_and_b32_e32 v15, 7, v3
	v_lshrrev_b32_e32 v3, 3, v6
	s_mov_b32 s25, exec_lo
	v_cmpx_gt_u32_e32 8, v6
; %bb.694:                              ;   in Loop: Header=BB227_10 Depth=1
	v_ffbh_u32_e32 v3, v15
	v_min_u32_e32 v3, 32, v3
	v_subrev_nc_u32_e32 v6, 28, v3
	v_sub_nc_u32_e32 v3, 29, v3
	v_lshlrev_b64 v[6:7], v6, v[15:16]
	v_and_b32_e32 v15, 7, v6
; %bb.695:                              ;   in Loop: Header=BB227_10 Depth=1
	s_or_b32 exec_lo, exec_lo, s25
	v_lshlrev_b32_e32 v2, 16, v2
	v_lshlrev_b32_e32 v6, 20, v15
	v_lshl_add_u32 v3, v3, 23, 0x3c000000
	v_mov_b32_e32 v60, v16
	v_and_b32_e32 v2, 0x80000000, v2
	v_or3_b32 v61, v6, v2, v3
.LBB227_696:                            ;   in Loop: Header=BB227_10 Depth=1
	s_or_b32 exec_lo, exec_lo, s24
.LBB227_697:                            ;   in Loop: Header=BB227_10 Depth=1
	s_or_b32 exec_lo, exec_lo, s23
.LBB227_698:                            ;   in Loop: Header=BB227_10 Depth=1
	s_or_b32 exec_lo, exec_lo, s17
	buffer_load_dword v2, off, s[0:3], s32 offset:216 ; 4-byte Folded Reload
	v_mov_b32_e32 v72, 0
	v_mov_b32_e32 v42, 0
	;; [unrolled: 1-line block ×4, first 2 shown]
	s_waitcnt vmcnt(0)
	v_add_co_u32 v0, s6, v0, v2
	v_add_co_ci_u32_e64 v1, null, 0, v1, s6
	flat_load_ushort v1, v[0:1]
	s_waitcnt vmcnt(0) lgkmcnt(0)
	v_and_b32_e32 v0, 0xffff, v1
	v_cmp_ne_u16_sdwa s6, v1, v16 src0_sel:BYTE_0 src1_sel:DWORD
	s_and_saveexec_b32 s17, s6
	s_cbranch_execz .LBB227_706
; %bb.699:                              ;   in Loop: Header=BB227_10 Depth=1
	v_mov_b32_e32 v1, 0x80
	v_bfrev_b32_e32 v42, 1
	v_mov_b32_e32 v43, 0
	v_cmp_ne_u16_sdwa s6, v0, v1 src0_sel:BYTE_0 src1_sel:DWORD
	s_and_saveexec_b32 s23, s6
	s_cbranch_execz .LBB227_705
; %bb.700:                              ;   in Loop: Header=BB227_10 Depth=1
	v_mov_b32_e32 v42, 0x7f800001
	v_and_b32_e32 v2, 0x7f, v0
	v_mov_b32_e32 v43, 0
	s_mov_b32 s24, exec_lo
	v_cmpx_ne_u32_e32 0x7f, v2
	s_cbranch_execz .LBB227_704
; %bb.701:                              ;   in Loop: Header=BB227_10 Depth=1
	v_and_b32_e32 v15, 7, v0
	v_lshrrev_b32_e32 v1, 3, v2
	s_mov_b32 s25, exec_lo
	v_cmpx_gt_u32_e32 8, v2
; %bb.702:                              ;   in Loop: Header=BB227_10 Depth=1
	v_ffbh_u32_e32 v1, v15
	v_min_u32_e32 v1, 32, v1
	v_subrev_nc_u32_e32 v2, 28, v1
	v_sub_nc_u32_e32 v1, 29, v1
	v_lshlrev_b64 v[2:3], v2, v[15:16]
	v_and_b32_e32 v15, 7, v2
; %bb.703:                              ;   in Loop: Header=BB227_10 Depth=1
	s_or_b32 exec_lo, exec_lo, s25
	v_lshlrev_b32_e32 v2, 24, v0
	v_lshlrev_b32_e32 v3, 20, v15
	v_lshl_add_u32 v1, v1, 23, 0x3c000000
	v_and_b32_e32 v2, 0x80000000, v2
	v_or3_b32 v15, v3, v2, v1
	v_mov_b32_e32 v43, v16
	v_mov_b32_e32 v42, v15
.LBB227_704:                            ;   in Loop: Header=BB227_10 Depth=1
	s_or_b32 exec_lo, exec_lo, s24
.LBB227_705:                            ;   in Loop: Header=BB227_10 Depth=1
	s_or_b32 exec_lo, exec_lo, s23
.LBB227_706:                            ;   in Loop: Header=BB227_10 Depth=1
	s_or_b32 exec_lo, exec_lo, s17
	v_cmp_ne_u16_sdwa s6, v0, v16 src0_sel:BYTE_1 src1_sel:DWORD
	s_and_saveexec_b32 s17, s6
	s_cbranch_execz .LBB227_714
; %bb.707:                              ;   in Loop: Header=BB227_10 Depth=1
	v_mov_b32_e32 v102, v16
	v_mov_b32_e32 v1, 0x80
	;; [unrolled: 1-line block ×3, first 2 shown]
	v_cmp_ne_u16_sdwa s6, v0, v1 src0_sel:BYTE_1 src1_sel:DWORD
	v_mov_b32_e32 v73, v103
	s_and_saveexec_b32 s23, s6
	s_cbranch_execz .LBB227_713
; %bb.708:                              ;   in Loop: Header=BB227_10 Depth=1
	s_clause 0x1
	buffer_load_dword v72, off, s[0:3], s32 offset:192
	buffer_load_dword v73, off, s[0:3], s32 offset:196
	v_mov_b32_e32 v1, 0xffff
	s_waitcnt vmcnt(1)
	v_mov_b32_e32 v72, v16
	s_mov_b32 s24, exec_lo
	v_and_b32_sdwa v1, v1, v0 dst_sel:DWORD dst_unused:UNUSED_PAD src0_sel:DWORD src1_sel:BYTE_1
	v_and_b32_e32 v2, 0x7f, v1
	s_waitcnt vmcnt(0)
	v_mov_b32_e32 v3, v73
	buffer_store_dword v2, off, s[0:3], s32 offset:192 ; 4-byte Folded Spill
	buffer_store_dword v3, off, s[0:3], s32 offset:196 ; 4-byte Folded Spill
	v_cmpx_ne_u32_e32 0x7f, v2
	s_cbranch_execz .LBB227_712
; %bb.709:                              ;   in Loop: Header=BB227_10 Depth=1
	v_and_b32_e32 v15, 7, v1
	v_lshrrev_b32_e32 v1, 3, v2
	s_mov_b32 s25, exec_lo
	v_cmpx_gt_u32_e32 8, v2
; %bb.710:                              ;   in Loop: Header=BB227_10 Depth=1
	v_ffbh_u32_e32 v1, v15
	v_min_u32_e32 v1, 32, v1
	v_subrev_nc_u32_e32 v2, 28, v1
	v_sub_nc_u32_e32 v1, 29, v1
	v_lshlrev_b64 v[2:3], v2, v[15:16]
	v_and_b32_e32 v15, 7, v2
; %bb.711:                              ;   in Loop: Header=BB227_10 Depth=1
	s_or_b32 exec_lo, exec_lo, s25
	v_lshlrev_b32_e32 v0, 16, v0
	v_lshlrev_b32_e32 v2, 20, v15
	v_lshl_add_u32 v1, v1, 23, 0x3c000000
	v_mov_b32_e32 v72, v16
	v_and_b32_e32 v0, 0x80000000, v0
	v_or3_b32 v73, v2, v0, v1
.LBB227_712:                            ;   in Loop: Header=BB227_10 Depth=1
	s_or_b32 exec_lo, exec_lo, s24
.LBB227_713:                            ;   in Loop: Header=BB227_10 Depth=1
	s_or_b32 exec_lo, exec_lo, s23
.LBB227_714:                            ;   in Loop: Header=BB227_10 Depth=1
	s_or_b32 exec_lo, exec_lo, s17
	buffer_load_dword v2, off, s[0:3], s32 offset:204 ; 4-byte Folded Reload
	v_add_co_u32 v0, s6, 0xb00, v68
	v_add_co_ci_u32_e64 v1, null, 0, v69, s6
	v_mov_b32_e32 v76, 0
	v_mov_b32_e32 v46, 0
	;; [unrolled: 1-line block ×4, first 2 shown]
	s_waitcnt vmcnt(0)
	v_add_co_u32 v2, s6, v0, v2
	v_add_co_ci_u32_e64 v3, null, 0, v1, s6
	flat_load_ushort v3, v[2:3]
	s_waitcnt vmcnt(0) lgkmcnt(0)
	v_and_b32_e32 v2, 0xffff, v3
	v_cmp_ne_u16_sdwa s6, v3, v16 src0_sel:BYTE_0 src1_sel:DWORD
	s_and_saveexec_b32 s17, s6
	s_cbranch_execz .LBB227_722
; %bb.715:                              ;   in Loop: Header=BB227_10 Depth=1
	v_mov_b32_e32 v3, 0x80
	v_bfrev_b32_e32 v46, 1
	v_mov_b32_e32 v47, 0
	v_cmp_ne_u16_sdwa s6, v2, v3 src0_sel:BYTE_0 src1_sel:DWORD
	s_and_saveexec_b32 s23, s6
	s_cbranch_execz .LBB227_721
; %bb.716:                              ;   in Loop: Header=BB227_10 Depth=1
	v_mov_b32_e32 v46, 0x7f800001
	v_and_b32_e32 v6, 0x7f, v2
	v_mov_b32_e32 v47, 0
	s_mov_b32 s24, exec_lo
	v_cmpx_ne_u32_e32 0x7f, v6
	s_cbranch_execz .LBB227_720
; %bb.717:                              ;   in Loop: Header=BB227_10 Depth=1
	v_and_b32_e32 v15, 7, v2
	v_lshrrev_b32_e32 v3, 3, v6
	s_mov_b32 s25, exec_lo
	v_cmpx_gt_u32_e32 8, v6
; %bb.718:                              ;   in Loop: Header=BB227_10 Depth=1
	v_ffbh_u32_e32 v3, v15
	v_min_u32_e32 v3, 32, v3
	v_subrev_nc_u32_e32 v6, 28, v3
	v_sub_nc_u32_e32 v3, 29, v3
	v_lshlrev_b64 v[6:7], v6, v[15:16]
	v_and_b32_e32 v15, 7, v6
; %bb.719:                              ;   in Loop: Header=BB227_10 Depth=1
	s_or_b32 exec_lo, exec_lo, s25
	v_lshlrev_b32_e32 v6, 24, v2
	v_lshlrev_b32_e32 v7, 20, v15
	v_lshl_add_u32 v3, v3, 23, 0x3c000000
	v_and_b32_e32 v6, 0x80000000, v6
	v_or3_b32 v15, v7, v6, v3
	v_mov_b32_e32 v47, v16
	v_mov_b32_e32 v46, v15
.LBB227_720:                            ;   in Loop: Header=BB227_10 Depth=1
	s_or_b32 exec_lo, exec_lo, s24
.LBB227_721:                            ;   in Loop: Header=BB227_10 Depth=1
	s_or_b32 exec_lo, exec_lo, s23
.LBB227_722:                            ;   in Loop: Header=BB227_10 Depth=1
	s_or_b32 exec_lo, exec_lo, s17
	v_cmp_ne_u16_sdwa s6, v2, v16 src0_sel:BYTE_1 src1_sel:DWORD
	s_and_saveexec_b32 s17, s6
	s_cbranch_execz .LBB227_730
; %bb.723:                              ;   in Loop: Header=BB227_10 Depth=1
	v_mov_b32_e32 v102, v16
	v_mov_b32_e32 v3, 0x80
	;; [unrolled: 1-line block ×3, first 2 shown]
	v_cmp_ne_u16_sdwa s6, v2, v3 src0_sel:BYTE_1 src1_sel:DWORD
	v_mov_b32_e32 v77, v103
	s_and_saveexec_b32 s23, s6
	s_cbranch_execz .LBB227_729
; %bb.724:                              ;   in Loop: Header=BB227_10 Depth=1
	s_clause 0x1
	buffer_load_dword v76, off, s[0:3], s32 offset:192
	buffer_load_dword v77, off, s[0:3], s32 offset:196
	v_mov_b32_e32 v3, 0xffff
	s_waitcnt vmcnt(1)
	v_mov_b32_e32 v76, v16
	s_mov_b32 s24, exec_lo
	v_and_b32_sdwa v3, v3, v2 dst_sel:DWORD dst_unused:UNUSED_PAD src0_sel:DWORD src1_sel:BYTE_1
	v_and_b32_e32 v6, 0x7f, v3
	s_waitcnt vmcnt(0)
	v_mov_b32_e32 v7, v77
	buffer_store_dword v6, off, s[0:3], s32 offset:192 ; 4-byte Folded Spill
	buffer_store_dword v7, off, s[0:3], s32 offset:196 ; 4-byte Folded Spill
	v_cmpx_ne_u32_e32 0x7f, v6
	s_cbranch_execz .LBB227_728
; %bb.725:                              ;   in Loop: Header=BB227_10 Depth=1
	v_and_b32_e32 v15, 7, v3
	v_lshrrev_b32_e32 v3, 3, v6
	s_mov_b32 s25, exec_lo
	v_cmpx_gt_u32_e32 8, v6
; %bb.726:                              ;   in Loop: Header=BB227_10 Depth=1
	v_ffbh_u32_e32 v3, v15
	v_min_u32_e32 v3, 32, v3
	v_subrev_nc_u32_e32 v6, 28, v3
	v_sub_nc_u32_e32 v3, 29, v3
	v_lshlrev_b64 v[6:7], v6, v[15:16]
	v_and_b32_e32 v15, 7, v6
; %bb.727:                              ;   in Loop: Header=BB227_10 Depth=1
	s_or_b32 exec_lo, exec_lo, s25
	v_lshlrev_b32_e32 v2, 16, v2
	v_lshlrev_b32_e32 v6, 20, v15
	v_lshl_add_u32 v3, v3, 23, 0x3c000000
	v_mov_b32_e32 v76, v16
	v_and_b32_e32 v2, 0x80000000, v2
	v_or3_b32 v77, v6, v2, v3
.LBB227_728:                            ;   in Loop: Header=BB227_10 Depth=1
	s_or_b32 exec_lo, exec_lo, s24
.LBB227_729:                            ;   in Loop: Header=BB227_10 Depth=1
	s_or_b32 exec_lo, exec_lo, s23
.LBB227_730:                            ;   in Loop: Header=BB227_10 Depth=1
	s_or_b32 exec_lo, exec_lo, s17
	buffer_load_dword v2, off, s[0:3], s32 offset:208 ; 4-byte Folded Reload
	v_mov_b32_e32 v88, 0
	v_mov_b32_e32 v58, 0
	;; [unrolled: 1-line block ×4, first 2 shown]
	s_waitcnt vmcnt(0)
	v_add_co_u32 v2, s6, v0, v2
	v_add_co_ci_u32_e64 v3, null, 0, v1, s6
	flat_load_ushort v3, v[2:3]
	s_waitcnt vmcnt(0) lgkmcnt(0)
	v_and_b32_e32 v2, 0xffff, v3
	v_cmp_ne_u16_sdwa s6, v3, v16 src0_sel:BYTE_0 src1_sel:DWORD
	s_and_saveexec_b32 s17, s6
	s_cbranch_execz .LBB227_738
; %bb.731:                              ;   in Loop: Header=BB227_10 Depth=1
	v_mov_b32_e32 v3, 0x80
	v_bfrev_b32_e32 v58, 1
	v_mov_b32_e32 v59, 0
	v_cmp_ne_u16_sdwa s6, v2, v3 src0_sel:BYTE_0 src1_sel:DWORD
	s_and_saveexec_b32 s23, s6
	s_cbranch_execz .LBB227_737
; %bb.732:                              ;   in Loop: Header=BB227_10 Depth=1
	v_mov_b32_e32 v58, 0x7f800001
	v_and_b32_e32 v6, 0x7f, v2
	v_mov_b32_e32 v59, 0
	s_mov_b32 s24, exec_lo
	v_cmpx_ne_u32_e32 0x7f, v6
	s_cbranch_execz .LBB227_736
; %bb.733:                              ;   in Loop: Header=BB227_10 Depth=1
	v_and_b32_e32 v15, 7, v2
	v_lshrrev_b32_e32 v3, 3, v6
	s_mov_b32 s25, exec_lo
	v_cmpx_gt_u32_e32 8, v6
; %bb.734:                              ;   in Loop: Header=BB227_10 Depth=1
	v_ffbh_u32_e32 v3, v15
	v_min_u32_e32 v3, 32, v3
	v_subrev_nc_u32_e32 v6, 28, v3
	v_sub_nc_u32_e32 v3, 29, v3
	v_lshlrev_b64 v[6:7], v6, v[15:16]
	v_and_b32_e32 v15, 7, v6
; %bb.735:                              ;   in Loop: Header=BB227_10 Depth=1
	s_or_b32 exec_lo, exec_lo, s25
	v_lshlrev_b32_e32 v6, 24, v2
	v_lshlrev_b32_e32 v7, 20, v15
	v_lshl_add_u32 v3, v3, 23, 0x3c000000
	v_and_b32_e32 v6, 0x80000000, v6
	v_or3_b32 v15, v7, v6, v3
	v_mov_b32_e32 v59, v16
	v_mov_b32_e32 v58, v15
.LBB227_736:                            ;   in Loop: Header=BB227_10 Depth=1
	s_or_b32 exec_lo, exec_lo, s24
.LBB227_737:                            ;   in Loop: Header=BB227_10 Depth=1
	s_or_b32 exec_lo, exec_lo, s23
.LBB227_738:                            ;   in Loop: Header=BB227_10 Depth=1
	s_or_b32 exec_lo, exec_lo, s17
	v_cmp_ne_u16_sdwa s6, v2, v16 src0_sel:BYTE_1 src1_sel:DWORD
	s_and_saveexec_b32 s17, s6
	s_cbranch_execz .LBB227_746
; %bb.739:                              ;   in Loop: Header=BB227_10 Depth=1
	v_mov_b32_e32 v102, v16
	v_mov_b32_e32 v3, 0x80
	;; [unrolled: 1-line block ×3, first 2 shown]
	v_cmp_ne_u16_sdwa s6, v2, v3 src0_sel:BYTE_1 src1_sel:DWORD
	v_mov_b32_e32 v89, v103
	s_and_saveexec_b32 s23, s6
	s_cbranch_execz .LBB227_745
; %bb.740:                              ;   in Loop: Header=BB227_10 Depth=1
	s_clause 0x1
	buffer_load_dword v88, off, s[0:3], s32 offset:192
	buffer_load_dword v89, off, s[0:3], s32 offset:196
	v_mov_b32_e32 v3, 0xffff
	s_waitcnt vmcnt(1)
	v_mov_b32_e32 v88, v16
	s_mov_b32 s24, exec_lo
	v_and_b32_sdwa v3, v3, v2 dst_sel:DWORD dst_unused:UNUSED_PAD src0_sel:DWORD src1_sel:BYTE_1
	v_and_b32_e32 v6, 0x7f, v3
	s_waitcnt vmcnt(0)
	v_mov_b32_e32 v7, v89
	buffer_store_dword v6, off, s[0:3], s32 offset:192 ; 4-byte Folded Spill
	buffer_store_dword v7, off, s[0:3], s32 offset:196 ; 4-byte Folded Spill
	v_cmpx_ne_u32_e32 0x7f, v6
	s_cbranch_execz .LBB227_744
; %bb.741:                              ;   in Loop: Header=BB227_10 Depth=1
	v_and_b32_e32 v15, 7, v3
	v_lshrrev_b32_e32 v3, 3, v6
	s_mov_b32 s25, exec_lo
	v_cmpx_gt_u32_e32 8, v6
; %bb.742:                              ;   in Loop: Header=BB227_10 Depth=1
	v_ffbh_u32_e32 v3, v15
	v_min_u32_e32 v3, 32, v3
	v_subrev_nc_u32_e32 v6, 28, v3
	v_sub_nc_u32_e32 v3, 29, v3
	v_lshlrev_b64 v[6:7], v6, v[15:16]
	v_and_b32_e32 v15, 7, v6
; %bb.743:                              ;   in Loop: Header=BB227_10 Depth=1
	s_or_b32 exec_lo, exec_lo, s25
	v_lshlrev_b32_e32 v2, 16, v2
	v_lshlrev_b32_e32 v6, 20, v15
	v_lshl_add_u32 v3, v3, 23, 0x3c000000
	v_mov_b32_e32 v88, v16
	v_and_b32_e32 v2, 0x80000000, v2
	v_or3_b32 v89, v6, v2, v3
.LBB227_744:                            ;   in Loop: Header=BB227_10 Depth=1
	s_or_b32 exec_lo, exec_lo, s24
.LBB227_745:                            ;   in Loop: Header=BB227_10 Depth=1
	s_or_b32 exec_lo, exec_lo, s23
.LBB227_746:                            ;   in Loop: Header=BB227_10 Depth=1
	s_or_b32 exec_lo, exec_lo, s17
	buffer_load_dword v2, off, s[0:3], s32 offset:212 ; 4-byte Folded Reload
	v_mov_b32_e32 v74, 0
	v_mov_b32_e32 v62, 0
	;; [unrolled: 1-line block ×4, first 2 shown]
	s_waitcnt vmcnt(0)
	v_add_co_u32 v2, s6, v0, v2
	v_add_co_ci_u32_e64 v3, null, 0, v1, s6
	flat_load_ushort v3, v[2:3]
	s_waitcnt vmcnt(0) lgkmcnt(0)
	v_and_b32_e32 v2, 0xffff, v3
	v_cmp_ne_u16_sdwa s6, v3, v16 src0_sel:BYTE_0 src1_sel:DWORD
	s_and_saveexec_b32 s17, s6
	s_cbranch_execz .LBB227_754
; %bb.747:                              ;   in Loop: Header=BB227_10 Depth=1
	v_mov_b32_e32 v3, 0x80
	v_bfrev_b32_e32 v62, 1
	v_mov_b32_e32 v63, 0
	v_cmp_ne_u16_sdwa s6, v2, v3 src0_sel:BYTE_0 src1_sel:DWORD
	s_and_saveexec_b32 s23, s6
	s_cbranch_execz .LBB227_753
; %bb.748:                              ;   in Loop: Header=BB227_10 Depth=1
	v_mov_b32_e32 v62, 0x7f800001
	v_and_b32_e32 v6, 0x7f, v2
	v_mov_b32_e32 v63, 0
	s_mov_b32 s24, exec_lo
	v_cmpx_ne_u32_e32 0x7f, v6
	s_cbranch_execz .LBB227_752
; %bb.749:                              ;   in Loop: Header=BB227_10 Depth=1
	v_and_b32_e32 v15, 7, v2
	v_lshrrev_b32_e32 v3, 3, v6
	s_mov_b32 s25, exec_lo
	v_cmpx_gt_u32_e32 8, v6
; %bb.750:                              ;   in Loop: Header=BB227_10 Depth=1
	v_ffbh_u32_e32 v3, v15
	v_min_u32_e32 v3, 32, v3
	v_subrev_nc_u32_e32 v6, 28, v3
	v_sub_nc_u32_e32 v3, 29, v3
	v_lshlrev_b64 v[6:7], v6, v[15:16]
	v_and_b32_e32 v15, 7, v6
; %bb.751:                              ;   in Loop: Header=BB227_10 Depth=1
	s_or_b32 exec_lo, exec_lo, s25
	v_lshlrev_b32_e32 v6, 24, v2
	v_lshlrev_b32_e32 v7, 20, v15
	v_lshl_add_u32 v3, v3, 23, 0x3c000000
	v_and_b32_e32 v6, 0x80000000, v6
	v_or3_b32 v15, v7, v6, v3
	v_mov_b32_e32 v63, v16
	v_mov_b32_e32 v62, v15
.LBB227_752:                            ;   in Loop: Header=BB227_10 Depth=1
	s_or_b32 exec_lo, exec_lo, s24
.LBB227_753:                            ;   in Loop: Header=BB227_10 Depth=1
	s_or_b32 exec_lo, exec_lo, s23
.LBB227_754:                            ;   in Loop: Header=BB227_10 Depth=1
	s_or_b32 exec_lo, exec_lo, s17
	v_cmp_ne_u16_sdwa s6, v2, v16 src0_sel:BYTE_1 src1_sel:DWORD
	s_and_saveexec_b32 s17, s6
	s_cbranch_execz .LBB227_762
; %bb.755:                              ;   in Loop: Header=BB227_10 Depth=1
	v_mov_b32_e32 v102, v16
	v_mov_b32_e32 v3, 0x80
	;; [unrolled: 1-line block ×3, first 2 shown]
	v_cmp_ne_u16_sdwa s6, v2, v3 src0_sel:BYTE_1 src1_sel:DWORD
	v_mov_b32_e32 v75, v103
	s_and_saveexec_b32 s23, s6
	s_cbranch_execz .LBB227_761
; %bb.756:                              ;   in Loop: Header=BB227_10 Depth=1
	s_clause 0x1
	buffer_load_dword v74, off, s[0:3], s32 offset:192
	buffer_load_dword v75, off, s[0:3], s32 offset:196
	v_mov_b32_e32 v3, 0xffff
	s_waitcnt vmcnt(1)
	v_mov_b32_e32 v74, v16
	s_mov_b32 s24, exec_lo
	v_and_b32_sdwa v3, v3, v2 dst_sel:DWORD dst_unused:UNUSED_PAD src0_sel:DWORD src1_sel:BYTE_1
	v_and_b32_e32 v6, 0x7f, v3
	s_waitcnt vmcnt(0)
	v_mov_b32_e32 v7, v75
	buffer_store_dword v6, off, s[0:3], s32 offset:192 ; 4-byte Folded Spill
	buffer_store_dword v7, off, s[0:3], s32 offset:196 ; 4-byte Folded Spill
	v_cmpx_ne_u32_e32 0x7f, v6
	s_cbranch_execz .LBB227_760
; %bb.757:                              ;   in Loop: Header=BB227_10 Depth=1
	v_and_b32_e32 v15, 7, v3
	v_lshrrev_b32_e32 v3, 3, v6
	s_mov_b32 s25, exec_lo
	v_cmpx_gt_u32_e32 8, v6
; %bb.758:                              ;   in Loop: Header=BB227_10 Depth=1
	v_ffbh_u32_e32 v3, v15
	v_min_u32_e32 v3, 32, v3
	v_subrev_nc_u32_e32 v6, 28, v3
	v_sub_nc_u32_e32 v3, 29, v3
	v_lshlrev_b64 v[6:7], v6, v[15:16]
	v_and_b32_e32 v15, 7, v6
; %bb.759:                              ;   in Loop: Header=BB227_10 Depth=1
	s_or_b32 exec_lo, exec_lo, s25
	v_lshlrev_b32_e32 v2, 16, v2
	v_lshlrev_b32_e32 v6, 20, v15
	v_lshl_add_u32 v3, v3, 23, 0x3c000000
	v_mov_b32_e32 v74, v16
	v_and_b32_e32 v2, 0x80000000, v2
	v_or3_b32 v75, v6, v2, v3
.LBB227_760:                            ;   in Loop: Header=BB227_10 Depth=1
	s_or_b32 exec_lo, exec_lo, s24
.LBB227_761:                            ;   in Loop: Header=BB227_10 Depth=1
	s_or_b32 exec_lo, exec_lo, s23
.LBB227_762:                            ;   in Loop: Header=BB227_10 Depth=1
	s_or_b32 exec_lo, exec_lo, s17
	buffer_load_dword v2, off, s[0:3], s32 offset:216 ; 4-byte Folded Reload
	v_mov_b32_e32 v78, 0
	v_mov_b32_e32 v92, 0
	;; [unrolled: 1-line block ×4, first 2 shown]
	s_waitcnt vmcnt(0)
	v_add_co_u32 v0, s6, v0, v2
	v_add_co_ci_u32_e64 v1, null, 0, v1, s6
	flat_load_ushort v1, v[0:1]
	s_waitcnt vmcnt(0) lgkmcnt(0)
	v_and_b32_e32 v0, 0xffff, v1
	v_cmp_ne_u16_sdwa s6, v1, v16 src0_sel:BYTE_0 src1_sel:DWORD
	s_and_saveexec_b32 s17, s6
	s_cbranch_execz .LBB227_770
; %bb.763:                              ;   in Loop: Header=BB227_10 Depth=1
	v_mov_b32_e32 v1, 0x80
	v_bfrev_b32_e32 v92, 1
	v_mov_b32_e32 v93, 0
	v_cmp_ne_u16_sdwa s6, v0, v1 src0_sel:BYTE_0 src1_sel:DWORD
	s_and_saveexec_b32 s23, s6
	s_cbranch_execz .LBB227_769
; %bb.764:                              ;   in Loop: Header=BB227_10 Depth=1
	v_mov_b32_e32 v92, 0x7f800001
	v_and_b32_e32 v2, 0x7f, v0
	v_mov_b32_e32 v93, 0
	s_mov_b32 s24, exec_lo
	v_cmpx_ne_u32_e32 0x7f, v2
	s_cbranch_execz .LBB227_768
; %bb.765:                              ;   in Loop: Header=BB227_10 Depth=1
	v_and_b32_e32 v15, 7, v0
	v_lshrrev_b32_e32 v1, 3, v2
	s_mov_b32 s25, exec_lo
	v_cmpx_gt_u32_e32 8, v2
; %bb.766:                              ;   in Loop: Header=BB227_10 Depth=1
	v_ffbh_u32_e32 v1, v15
	v_min_u32_e32 v1, 32, v1
	v_subrev_nc_u32_e32 v2, 28, v1
	v_sub_nc_u32_e32 v1, 29, v1
	v_lshlrev_b64 v[2:3], v2, v[15:16]
	v_and_b32_e32 v15, 7, v2
; %bb.767:                              ;   in Loop: Header=BB227_10 Depth=1
	s_or_b32 exec_lo, exec_lo, s25
	v_lshlrev_b32_e32 v2, 24, v0
	v_lshlrev_b32_e32 v3, 20, v15
	v_lshl_add_u32 v1, v1, 23, 0x3c000000
	v_and_b32_e32 v2, 0x80000000, v2
	v_or3_b32 v15, v3, v2, v1
	v_mov_b32_e32 v93, v16
	v_mov_b32_e32 v92, v15
.LBB227_768:                            ;   in Loop: Header=BB227_10 Depth=1
	s_or_b32 exec_lo, exec_lo, s24
.LBB227_769:                            ;   in Loop: Header=BB227_10 Depth=1
	s_or_b32 exec_lo, exec_lo, s23
.LBB227_770:                            ;   in Loop: Header=BB227_10 Depth=1
	s_or_b32 exec_lo, exec_lo, s17
	v_cmp_ne_u16_sdwa s6, v0, v16 src0_sel:BYTE_1 src1_sel:DWORD
	s_and_saveexec_b32 s17, s6
	s_cbranch_execz .LBB227_778
; %bb.771:                              ;   in Loop: Header=BB227_10 Depth=1
	v_mov_b32_e32 v102, v16
	v_mov_b32_e32 v1, 0x80
	;; [unrolled: 1-line block ×3, first 2 shown]
	v_cmp_ne_u16_sdwa s6, v0, v1 src0_sel:BYTE_1 src1_sel:DWORD
	v_mov_b32_e32 v79, v103
	s_and_saveexec_b32 s23, s6
	s_cbranch_execz .LBB227_777
; %bb.772:                              ;   in Loop: Header=BB227_10 Depth=1
	s_clause 0x1
	buffer_load_dword v78, off, s[0:3], s32 offset:192
	buffer_load_dword v79, off, s[0:3], s32 offset:196
	v_mov_b32_e32 v1, 0xffff
	s_waitcnt vmcnt(1)
	v_mov_b32_e32 v78, v16
	s_mov_b32 s24, exec_lo
	v_and_b32_sdwa v1, v1, v0 dst_sel:DWORD dst_unused:UNUSED_PAD src0_sel:DWORD src1_sel:BYTE_1
	v_and_b32_e32 v2, 0x7f, v1
	s_waitcnt vmcnt(0)
	v_mov_b32_e32 v3, v79
	buffer_store_dword v2, off, s[0:3], s32 offset:192 ; 4-byte Folded Spill
	buffer_store_dword v3, off, s[0:3], s32 offset:196 ; 4-byte Folded Spill
	v_cmpx_ne_u32_e32 0x7f, v2
	s_cbranch_execz .LBB227_776
; %bb.773:                              ;   in Loop: Header=BB227_10 Depth=1
	v_and_b32_e32 v15, 7, v1
	v_lshrrev_b32_e32 v1, 3, v2
	s_mov_b32 s25, exec_lo
	v_cmpx_gt_u32_e32 8, v2
; %bb.774:                              ;   in Loop: Header=BB227_10 Depth=1
	v_ffbh_u32_e32 v1, v15
	v_min_u32_e32 v1, 32, v1
	v_subrev_nc_u32_e32 v2, 28, v1
	v_sub_nc_u32_e32 v1, 29, v1
	v_lshlrev_b64 v[2:3], v2, v[15:16]
	v_and_b32_e32 v15, 7, v2
; %bb.775:                              ;   in Loop: Header=BB227_10 Depth=1
	s_or_b32 exec_lo, exec_lo, s25
	v_lshlrev_b32_e32 v0, 16, v0
	v_lshlrev_b32_e32 v2, 20, v15
	v_lshl_add_u32 v1, v1, 23, 0x3c000000
	v_mov_b32_e32 v78, v16
	v_and_b32_e32 v0, 0x80000000, v0
	v_or3_b32 v79, v2, v0, v1
.LBB227_776:                            ;   in Loop: Header=BB227_10 Depth=1
	s_or_b32 exec_lo, exec_lo, s24
.LBB227_777:                            ;   in Loop: Header=BB227_10 Depth=1
	s_or_b32 exec_lo, exec_lo, s23
.LBB227_778:                            ;   in Loop: Header=BB227_10 Depth=1
	s_or_b32 exec_lo, exec_lo, s17
	buffer_load_dword v2, off, s[0:3], s32 offset:204 ; 4-byte Folded Reload
	v_add_co_u32 v0, s6, 0xc00, v68
	v_add_co_ci_u32_e64 v1, null, 0, v69, s6
	v_mov_b32_e32 v90, 0
	v_mov_b32_e32 v104, 0
	;; [unrolled: 1-line block ×4, first 2 shown]
	s_waitcnt vmcnt(0)
	v_add_co_u32 v2, s6, v0, v2
	v_add_co_ci_u32_e64 v3, null, 0, v1, s6
	flat_load_ushort v3, v[2:3]
	s_waitcnt vmcnt(0) lgkmcnt(0)
	v_and_b32_e32 v2, 0xffff, v3
	v_cmp_ne_u16_sdwa s6, v3, v16 src0_sel:BYTE_0 src1_sel:DWORD
	s_and_saveexec_b32 s17, s6
	s_cbranch_execz .LBB227_786
; %bb.779:                              ;   in Loop: Header=BB227_10 Depth=1
	v_mov_b32_e32 v3, 0x80
	v_bfrev_b32_e32 v104, 1
	v_mov_b32_e32 v105, 0
	v_cmp_ne_u16_sdwa s6, v2, v3 src0_sel:BYTE_0 src1_sel:DWORD
	s_and_saveexec_b32 s23, s6
	s_cbranch_execz .LBB227_785
; %bb.780:                              ;   in Loop: Header=BB227_10 Depth=1
	v_mov_b32_e32 v104, 0x7f800001
	v_and_b32_e32 v6, 0x7f, v2
	v_mov_b32_e32 v105, 0
	s_mov_b32 s24, exec_lo
	v_cmpx_ne_u32_e32 0x7f, v6
	s_cbranch_execz .LBB227_784
; %bb.781:                              ;   in Loop: Header=BB227_10 Depth=1
	v_and_b32_e32 v15, 7, v2
	v_lshrrev_b32_e32 v3, 3, v6
	s_mov_b32 s25, exec_lo
	v_cmpx_gt_u32_e32 8, v6
; %bb.782:                              ;   in Loop: Header=BB227_10 Depth=1
	v_ffbh_u32_e32 v3, v15
	v_min_u32_e32 v3, 32, v3
	v_subrev_nc_u32_e32 v6, 28, v3
	v_sub_nc_u32_e32 v3, 29, v3
	v_lshlrev_b64 v[6:7], v6, v[15:16]
	v_and_b32_e32 v15, 7, v6
; %bb.783:                              ;   in Loop: Header=BB227_10 Depth=1
	s_or_b32 exec_lo, exec_lo, s25
	v_lshlrev_b32_e32 v6, 24, v2
	v_lshlrev_b32_e32 v7, 20, v15
	v_lshl_add_u32 v3, v3, 23, 0x3c000000
	v_and_b32_e32 v6, 0x80000000, v6
	v_or3_b32 v15, v7, v6, v3
	v_mov_b32_e32 v105, v16
	v_mov_b32_e32 v104, v15
.LBB227_784:                            ;   in Loop: Header=BB227_10 Depth=1
	s_or_b32 exec_lo, exec_lo, s24
.LBB227_785:                            ;   in Loop: Header=BB227_10 Depth=1
	s_or_b32 exec_lo, exec_lo, s23
.LBB227_786:                            ;   in Loop: Header=BB227_10 Depth=1
	s_or_b32 exec_lo, exec_lo, s17
	v_cmp_ne_u16_sdwa s6, v2, v16 src0_sel:BYTE_1 src1_sel:DWORD
	s_and_saveexec_b32 s17, s6
	s_cbranch_execz .LBB227_794
; %bb.787:                              ;   in Loop: Header=BB227_10 Depth=1
	v_mov_b32_e32 v102, v16
	v_mov_b32_e32 v3, 0x80
	;; [unrolled: 1-line block ×3, first 2 shown]
	v_cmp_ne_u16_sdwa s6, v2, v3 src0_sel:BYTE_1 src1_sel:DWORD
	v_mov_b32_e32 v91, v103
	s_and_saveexec_b32 s23, s6
	s_cbranch_execz .LBB227_793
; %bb.788:                              ;   in Loop: Header=BB227_10 Depth=1
	s_clause 0x1
	buffer_load_dword v90, off, s[0:3], s32 offset:192
	buffer_load_dword v91, off, s[0:3], s32 offset:196
	v_mov_b32_e32 v3, 0xffff
	s_waitcnt vmcnt(1)
	v_mov_b32_e32 v90, v16
	s_mov_b32 s24, exec_lo
	v_and_b32_sdwa v3, v3, v2 dst_sel:DWORD dst_unused:UNUSED_PAD src0_sel:DWORD src1_sel:BYTE_1
	v_and_b32_e32 v6, 0x7f, v3
	s_waitcnt vmcnt(0)
	v_mov_b32_e32 v7, v91
	buffer_store_dword v6, off, s[0:3], s32 offset:192 ; 4-byte Folded Spill
	buffer_store_dword v7, off, s[0:3], s32 offset:196 ; 4-byte Folded Spill
	v_cmpx_ne_u32_e32 0x7f, v6
	s_cbranch_execz .LBB227_792
; %bb.789:                              ;   in Loop: Header=BB227_10 Depth=1
	v_and_b32_e32 v15, 7, v3
	v_lshrrev_b32_e32 v3, 3, v6
	s_mov_b32 s25, exec_lo
	v_cmpx_gt_u32_e32 8, v6
; %bb.790:                              ;   in Loop: Header=BB227_10 Depth=1
	v_ffbh_u32_e32 v3, v15
	v_min_u32_e32 v3, 32, v3
	v_subrev_nc_u32_e32 v6, 28, v3
	v_sub_nc_u32_e32 v3, 29, v3
	v_lshlrev_b64 v[6:7], v6, v[15:16]
	v_and_b32_e32 v15, 7, v6
; %bb.791:                              ;   in Loop: Header=BB227_10 Depth=1
	s_or_b32 exec_lo, exec_lo, s25
	v_lshlrev_b32_e32 v2, 16, v2
	v_lshlrev_b32_e32 v6, 20, v15
	v_lshl_add_u32 v3, v3, 23, 0x3c000000
	v_mov_b32_e32 v90, v16
	v_and_b32_e32 v2, 0x80000000, v2
	v_or3_b32 v91, v6, v2, v3
.LBB227_792:                            ;   in Loop: Header=BB227_10 Depth=1
	s_or_b32 exec_lo, exec_lo, s24
.LBB227_793:                            ;   in Loop: Header=BB227_10 Depth=1
	s_or_b32 exec_lo, exec_lo, s23
.LBB227_794:                            ;   in Loop: Header=BB227_10 Depth=1
	s_or_b32 exec_lo, exec_lo, s17
	buffer_load_dword v2, off, s[0:3], s32 offset:208 ; 4-byte Folded Reload
	v_mov_b32_e32 v94, 0
	v_mov_b32_e32 v108, 0
	;; [unrolled: 1-line block ×4, first 2 shown]
	s_waitcnt vmcnt(0)
	v_add_co_u32 v2, s6, v0, v2
	v_add_co_ci_u32_e64 v3, null, 0, v1, s6
	flat_load_ushort v3, v[2:3]
	s_waitcnt vmcnt(0) lgkmcnt(0)
	v_and_b32_e32 v2, 0xffff, v3
	v_cmp_ne_u16_sdwa s6, v3, v16 src0_sel:BYTE_0 src1_sel:DWORD
	s_and_saveexec_b32 s17, s6
	s_cbranch_execz .LBB227_802
; %bb.795:                              ;   in Loop: Header=BB227_10 Depth=1
	v_mov_b32_e32 v3, 0x80
	v_bfrev_b32_e32 v108, 1
	v_mov_b32_e32 v109, 0
	v_cmp_ne_u16_sdwa s6, v2, v3 src0_sel:BYTE_0 src1_sel:DWORD
	s_and_saveexec_b32 s23, s6
	s_cbranch_execz .LBB227_801
; %bb.796:                              ;   in Loop: Header=BB227_10 Depth=1
	v_mov_b32_e32 v108, 0x7f800001
	v_and_b32_e32 v6, 0x7f, v2
	v_mov_b32_e32 v109, 0
	s_mov_b32 s24, exec_lo
	v_cmpx_ne_u32_e32 0x7f, v6
	s_cbranch_execz .LBB227_800
; %bb.797:                              ;   in Loop: Header=BB227_10 Depth=1
	v_and_b32_e32 v15, 7, v2
	v_lshrrev_b32_e32 v3, 3, v6
	s_mov_b32 s25, exec_lo
	v_cmpx_gt_u32_e32 8, v6
; %bb.798:                              ;   in Loop: Header=BB227_10 Depth=1
	v_ffbh_u32_e32 v3, v15
	v_min_u32_e32 v3, 32, v3
	v_subrev_nc_u32_e32 v6, 28, v3
	v_sub_nc_u32_e32 v3, 29, v3
	v_lshlrev_b64 v[6:7], v6, v[15:16]
	v_and_b32_e32 v15, 7, v6
; %bb.799:                              ;   in Loop: Header=BB227_10 Depth=1
	s_or_b32 exec_lo, exec_lo, s25
	v_lshlrev_b32_e32 v6, 24, v2
	v_lshlrev_b32_e32 v7, 20, v15
	v_lshl_add_u32 v3, v3, 23, 0x3c000000
	v_and_b32_e32 v6, 0x80000000, v6
	v_or3_b32 v15, v7, v6, v3
	v_mov_b32_e32 v109, v16
	v_mov_b32_e32 v108, v15
.LBB227_800:                            ;   in Loop: Header=BB227_10 Depth=1
	s_or_b32 exec_lo, exec_lo, s24
.LBB227_801:                            ;   in Loop: Header=BB227_10 Depth=1
	s_or_b32 exec_lo, exec_lo, s23
.LBB227_802:                            ;   in Loop: Header=BB227_10 Depth=1
	s_or_b32 exec_lo, exec_lo, s17
	v_cmp_ne_u16_sdwa s6, v2, v16 src0_sel:BYTE_1 src1_sel:DWORD
	s_and_saveexec_b32 s17, s6
	s_cbranch_execz .LBB227_810
; %bb.803:                              ;   in Loop: Header=BB227_10 Depth=1
	v_mov_b32_e32 v102, v16
	v_mov_b32_e32 v3, 0x80
	;; [unrolled: 1-line block ×3, first 2 shown]
	v_cmp_ne_u16_sdwa s6, v2, v3 src0_sel:BYTE_1 src1_sel:DWORD
	v_mov_b32_e32 v95, v103
	s_and_saveexec_b32 s23, s6
	s_cbranch_execz .LBB227_809
; %bb.804:                              ;   in Loop: Header=BB227_10 Depth=1
	s_clause 0x1
	buffer_load_dword v94, off, s[0:3], s32 offset:192
	buffer_load_dword v95, off, s[0:3], s32 offset:196
	v_mov_b32_e32 v3, 0xffff
	s_waitcnt vmcnt(1)
	v_mov_b32_e32 v94, v16
	s_mov_b32 s24, exec_lo
	v_and_b32_sdwa v3, v3, v2 dst_sel:DWORD dst_unused:UNUSED_PAD src0_sel:DWORD src1_sel:BYTE_1
	v_and_b32_e32 v6, 0x7f, v3
	s_waitcnt vmcnt(0)
	v_mov_b32_e32 v7, v95
	buffer_store_dword v6, off, s[0:3], s32 offset:192 ; 4-byte Folded Spill
	buffer_store_dword v7, off, s[0:3], s32 offset:196 ; 4-byte Folded Spill
	v_cmpx_ne_u32_e32 0x7f, v6
	s_cbranch_execz .LBB227_808
; %bb.805:                              ;   in Loop: Header=BB227_10 Depth=1
	v_and_b32_e32 v15, 7, v3
	v_lshrrev_b32_e32 v3, 3, v6
	s_mov_b32 s25, exec_lo
	v_cmpx_gt_u32_e32 8, v6
; %bb.806:                              ;   in Loop: Header=BB227_10 Depth=1
	v_ffbh_u32_e32 v3, v15
	v_min_u32_e32 v3, 32, v3
	v_subrev_nc_u32_e32 v6, 28, v3
	v_sub_nc_u32_e32 v3, 29, v3
	v_lshlrev_b64 v[6:7], v6, v[15:16]
	v_and_b32_e32 v15, 7, v6
; %bb.807:                              ;   in Loop: Header=BB227_10 Depth=1
	s_or_b32 exec_lo, exec_lo, s25
	v_lshlrev_b32_e32 v2, 16, v2
	v_lshlrev_b32_e32 v6, 20, v15
	v_lshl_add_u32 v3, v3, 23, 0x3c000000
	v_mov_b32_e32 v94, v16
	v_and_b32_e32 v2, 0x80000000, v2
	v_or3_b32 v95, v6, v2, v3
.LBB227_808:                            ;   in Loop: Header=BB227_10 Depth=1
	s_or_b32 exec_lo, exec_lo, s24
.LBB227_809:                            ;   in Loop: Header=BB227_10 Depth=1
	s_or_b32 exec_lo, exec_lo, s23
.LBB227_810:                            ;   in Loop: Header=BB227_10 Depth=1
	s_or_b32 exec_lo, exec_lo, s17
	buffer_load_dword v2, off, s[0:3], s32 offset:212 ; 4-byte Folded Reload
	v_mov_b32_e32 v106, 0
	v_mov_b32_e32 v120, 0
	;; [unrolled: 1-line block ×4, first 2 shown]
	s_waitcnt vmcnt(0)
	v_add_co_u32 v2, s6, v0, v2
	v_add_co_ci_u32_e64 v3, null, 0, v1, s6
	flat_load_ushort v3, v[2:3]
	s_waitcnt vmcnt(0) lgkmcnt(0)
	v_and_b32_e32 v2, 0xffff, v3
	v_cmp_ne_u16_sdwa s6, v3, v16 src0_sel:BYTE_0 src1_sel:DWORD
	s_and_saveexec_b32 s17, s6
	s_cbranch_execz .LBB227_818
; %bb.811:                              ;   in Loop: Header=BB227_10 Depth=1
	v_mov_b32_e32 v3, 0x80
	v_bfrev_b32_e32 v120, 1
	v_mov_b32_e32 v121, 0
	v_cmp_ne_u16_sdwa s6, v2, v3 src0_sel:BYTE_0 src1_sel:DWORD
	s_and_saveexec_b32 s23, s6
	s_cbranch_execz .LBB227_817
; %bb.812:                              ;   in Loop: Header=BB227_10 Depth=1
	v_mov_b32_e32 v120, 0x7f800001
	v_and_b32_e32 v6, 0x7f, v2
	v_mov_b32_e32 v121, 0
	s_mov_b32 s24, exec_lo
	v_cmpx_ne_u32_e32 0x7f, v6
	s_cbranch_execz .LBB227_816
; %bb.813:                              ;   in Loop: Header=BB227_10 Depth=1
	v_and_b32_e32 v15, 7, v2
	v_lshrrev_b32_e32 v3, 3, v6
	s_mov_b32 s25, exec_lo
	v_cmpx_gt_u32_e32 8, v6
; %bb.814:                              ;   in Loop: Header=BB227_10 Depth=1
	v_ffbh_u32_e32 v3, v15
	v_min_u32_e32 v3, 32, v3
	v_subrev_nc_u32_e32 v6, 28, v3
	v_sub_nc_u32_e32 v3, 29, v3
	v_lshlrev_b64 v[6:7], v6, v[15:16]
	v_and_b32_e32 v15, 7, v6
; %bb.815:                              ;   in Loop: Header=BB227_10 Depth=1
	s_or_b32 exec_lo, exec_lo, s25
	v_lshlrev_b32_e32 v6, 24, v2
	v_lshlrev_b32_e32 v7, 20, v15
	v_lshl_add_u32 v3, v3, 23, 0x3c000000
	v_and_b32_e32 v6, 0x80000000, v6
	v_or3_b32 v15, v7, v6, v3
	v_mov_b32_e32 v121, v16
	v_mov_b32_e32 v120, v15
.LBB227_816:                            ;   in Loop: Header=BB227_10 Depth=1
	s_or_b32 exec_lo, exec_lo, s24
.LBB227_817:                            ;   in Loop: Header=BB227_10 Depth=1
	s_or_b32 exec_lo, exec_lo, s23
.LBB227_818:                            ;   in Loop: Header=BB227_10 Depth=1
	s_or_b32 exec_lo, exec_lo, s17
	v_cmp_ne_u16_sdwa s6, v2, v16 src0_sel:BYTE_1 src1_sel:DWORD
	s_and_saveexec_b32 s17, s6
	s_cbranch_execz .LBB227_826
; %bb.819:                              ;   in Loop: Header=BB227_10 Depth=1
	v_mov_b32_e32 v102, v16
	v_mov_b32_e32 v3, 0x80
	;; [unrolled: 1-line block ×4, first 2 shown]
	v_cmp_ne_u16_sdwa s6, v2, v3 src0_sel:BYTE_1 src1_sel:DWORD
	s_and_saveexec_b32 s23, s6
	s_cbranch_execz .LBB227_825
; %bb.820:                              ;   in Loop: Header=BB227_10 Depth=1
	s_clause 0x1
	buffer_load_dword v106, off, s[0:3], s32 offset:192
	buffer_load_dword v107, off, s[0:3], s32 offset:196
	v_mov_b32_e32 v3, 0xffff
	s_waitcnt vmcnt(1)
	v_mov_b32_e32 v106, v16
	s_mov_b32 s24, exec_lo
	v_and_b32_sdwa v3, v3, v2 dst_sel:DWORD dst_unused:UNUSED_PAD src0_sel:DWORD src1_sel:BYTE_1
	v_and_b32_e32 v6, 0x7f, v3
	s_waitcnt vmcnt(0)
	v_mov_b32_e32 v7, v107
	buffer_store_dword v6, off, s[0:3], s32 offset:192 ; 4-byte Folded Spill
	buffer_store_dword v7, off, s[0:3], s32 offset:196 ; 4-byte Folded Spill
	v_cmpx_ne_u32_e32 0x7f, v6
	s_cbranch_execz .LBB227_824
; %bb.821:                              ;   in Loop: Header=BB227_10 Depth=1
	v_and_b32_e32 v15, 7, v3
	v_lshrrev_b32_e32 v3, 3, v6
	s_mov_b32 s25, exec_lo
	v_cmpx_gt_u32_e32 8, v6
; %bb.822:                              ;   in Loop: Header=BB227_10 Depth=1
	v_ffbh_u32_e32 v3, v15
	v_min_u32_e32 v3, 32, v3
	v_subrev_nc_u32_e32 v6, 28, v3
	v_sub_nc_u32_e32 v3, 29, v3
	v_lshlrev_b64 v[6:7], v6, v[15:16]
	v_and_b32_e32 v15, 7, v6
; %bb.823:                              ;   in Loop: Header=BB227_10 Depth=1
	s_or_b32 exec_lo, exec_lo, s25
	v_lshlrev_b32_e32 v2, 16, v2
	v_lshlrev_b32_e32 v6, 20, v15
	v_lshl_add_u32 v3, v3, 23, 0x3c000000
	v_mov_b32_e32 v106, v16
	v_and_b32_e32 v2, 0x80000000, v2
	v_or3_b32 v107, v6, v2, v3
.LBB227_824:                            ;   in Loop: Header=BB227_10 Depth=1
	s_or_b32 exec_lo, exec_lo, s24
.LBB227_825:                            ;   in Loop: Header=BB227_10 Depth=1
	s_or_b32 exec_lo, exec_lo, s23
.LBB227_826:                            ;   in Loop: Header=BB227_10 Depth=1
	s_or_b32 exec_lo, exec_lo, s17
	buffer_load_dword v2, off, s[0:3], s32 offset:216 ; 4-byte Folded Reload
	v_mov_b32_e32 v110, 0
	v_mov_b32_e32 v124, 0
	;; [unrolled: 1-line block ×4, first 2 shown]
	s_waitcnt vmcnt(0)
	v_add_co_u32 v0, s6, v0, v2
	v_add_co_ci_u32_e64 v1, null, 0, v1, s6
	flat_load_ushort v1, v[0:1]
	s_waitcnt vmcnt(0) lgkmcnt(0)
	v_and_b32_e32 v0, 0xffff, v1
	v_cmp_ne_u16_sdwa s6, v1, v16 src0_sel:BYTE_0 src1_sel:DWORD
	s_and_saveexec_b32 s17, s6
	s_cbranch_execz .LBB227_834
; %bb.827:                              ;   in Loop: Header=BB227_10 Depth=1
	v_mov_b32_e32 v1, 0x80
	v_bfrev_b32_e32 v124, 1
	v_mov_b32_e32 v125, 0
	v_cmp_ne_u16_sdwa s6, v0, v1 src0_sel:BYTE_0 src1_sel:DWORD
	s_and_saveexec_b32 s23, s6
	s_cbranch_execz .LBB227_833
; %bb.828:                              ;   in Loop: Header=BB227_10 Depth=1
	v_mov_b32_e32 v124, 0x7f800001
	v_and_b32_e32 v2, 0x7f, v0
	v_mov_b32_e32 v125, 0
	s_mov_b32 s24, exec_lo
	v_cmpx_ne_u32_e32 0x7f, v2
	s_cbranch_execz .LBB227_832
; %bb.829:                              ;   in Loop: Header=BB227_10 Depth=1
	v_and_b32_e32 v15, 7, v0
	v_lshrrev_b32_e32 v1, 3, v2
	s_mov_b32 s25, exec_lo
	v_cmpx_gt_u32_e32 8, v2
; %bb.830:                              ;   in Loop: Header=BB227_10 Depth=1
	v_ffbh_u32_e32 v1, v15
	v_min_u32_e32 v1, 32, v1
	v_subrev_nc_u32_e32 v2, 28, v1
	v_sub_nc_u32_e32 v1, 29, v1
	v_lshlrev_b64 v[2:3], v2, v[15:16]
	v_and_b32_e32 v15, 7, v2
; %bb.831:                              ;   in Loop: Header=BB227_10 Depth=1
	s_or_b32 exec_lo, exec_lo, s25
	v_lshlrev_b32_e32 v2, 24, v0
	v_lshlrev_b32_e32 v3, 20, v15
	v_lshl_add_u32 v1, v1, 23, 0x3c000000
	v_and_b32_e32 v2, 0x80000000, v2
	v_or3_b32 v15, v3, v2, v1
	v_mov_b32_e32 v125, v16
	v_mov_b32_e32 v124, v15
.LBB227_832:                            ;   in Loop: Header=BB227_10 Depth=1
	s_or_b32 exec_lo, exec_lo, s24
.LBB227_833:                            ;   in Loop: Header=BB227_10 Depth=1
	s_or_b32 exec_lo, exec_lo, s23
.LBB227_834:                            ;   in Loop: Header=BB227_10 Depth=1
	s_or_b32 exec_lo, exec_lo, s17
	v_cmp_ne_u16_sdwa s6, v0, v16 src0_sel:BYTE_1 src1_sel:DWORD
	s_and_saveexec_b32 s17, s6
	s_cbranch_execz .LBB227_842
; %bb.835:                              ;   in Loop: Header=BB227_10 Depth=1
	v_mov_b32_e32 v102, v16
	v_mov_b32_e32 v1, 0x80
	;; [unrolled: 1-line block ×4, first 2 shown]
	v_cmp_ne_u16_sdwa s6, v0, v1 src0_sel:BYTE_1 src1_sel:DWORD
	s_and_saveexec_b32 s23, s6
	s_cbranch_execz .LBB227_841
; %bb.836:                              ;   in Loop: Header=BB227_10 Depth=1
	s_clause 0x1
	buffer_load_dword v110, off, s[0:3], s32 offset:192
	buffer_load_dword v111, off, s[0:3], s32 offset:196
	v_mov_b32_e32 v1, 0xffff
	s_waitcnt vmcnt(1)
	v_mov_b32_e32 v110, v16
	s_mov_b32 s24, exec_lo
	v_and_b32_sdwa v1, v1, v0 dst_sel:DWORD dst_unused:UNUSED_PAD src0_sel:DWORD src1_sel:BYTE_1
	v_and_b32_e32 v2, 0x7f, v1
	s_waitcnt vmcnt(0)
	v_mov_b32_e32 v3, v111
	buffer_store_dword v2, off, s[0:3], s32 offset:192 ; 4-byte Folded Spill
	buffer_store_dword v3, off, s[0:3], s32 offset:196 ; 4-byte Folded Spill
	v_cmpx_ne_u32_e32 0x7f, v2
	s_cbranch_execz .LBB227_840
; %bb.837:                              ;   in Loop: Header=BB227_10 Depth=1
	v_and_b32_e32 v15, 7, v1
	v_lshrrev_b32_e32 v1, 3, v2
	s_mov_b32 s25, exec_lo
	v_cmpx_gt_u32_e32 8, v2
; %bb.838:                              ;   in Loop: Header=BB227_10 Depth=1
	v_ffbh_u32_e32 v1, v15
	v_min_u32_e32 v1, 32, v1
	v_subrev_nc_u32_e32 v2, 28, v1
	v_sub_nc_u32_e32 v1, 29, v1
	v_lshlrev_b64 v[2:3], v2, v[15:16]
	v_and_b32_e32 v15, 7, v2
; %bb.839:                              ;   in Loop: Header=BB227_10 Depth=1
	s_or_b32 exec_lo, exec_lo, s25
	v_lshlrev_b32_e32 v0, 16, v0
	v_lshlrev_b32_e32 v2, 20, v15
	v_lshl_add_u32 v1, v1, 23, 0x3c000000
	v_mov_b32_e32 v110, v16
	v_and_b32_e32 v0, 0x80000000, v0
	v_or3_b32 v111, v2, v0, v1
.LBB227_840:                            ;   in Loop: Header=BB227_10 Depth=1
	s_or_b32 exec_lo, exec_lo, s24
.LBB227_841:                            ;   in Loop: Header=BB227_10 Depth=1
	s_or_b32 exec_lo, exec_lo, s23
.LBB227_842:                            ;   in Loop: Header=BB227_10 Depth=1
	s_or_b32 exec_lo, exec_lo, s17
	buffer_load_dword v2, off, s[0:3], s32 offset:204 ; 4-byte Folded Reload
	v_add_co_u32 v0, s6, 0xd00, v68
	v_add_co_ci_u32_e64 v1, null, 0, v69, s6
	v_mov_b32_e32 v122, 0
	v_mov_b32_e32 v6, 0
	;; [unrolled: 1-line block ×4, first 2 shown]
	s_waitcnt vmcnt(0)
	v_add_co_u32 v2, s6, v0, v2
	v_add_co_ci_u32_e64 v3, null, 0, v1, s6
	flat_load_ushort v3, v[2:3]
	s_waitcnt vmcnt(0) lgkmcnt(0)
	v_and_b32_e32 v2, 0xffff, v3
	v_cmp_ne_u16_sdwa s6, v3, v16 src0_sel:BYTE_0 src1_sel:DWORD
	s_and_saveexec_b32 s17, s6
	s_cbranch_execz .LBB227_850
; %bb.843:                              ;   in Loop: Header=BB227_10 Depth=1
	v_mov_b32_e32 v3, 0x80
	v_bfrev_b32_e32 v6, 1
	v_mov_b32_e32 v7, 0
	v_cmp_ne_u16_sdwa s6, v2, v3 src0_sel:BYTE_0 src1_sel:DWORD
	s_and_saveexec_b32 s23, s6
	s_cbranch_execz .LBB227_849
; %bb.844:                              ;   in Loop: Header=BB227_10 Depth=1
	v_mov_b32_e32 v6, 0x7f800001
	v_and_b32_e32 v8, 0x7f, v2
	v_mov_b32_e32 v7, 0
	s_mov_b32 s24, exec_lo
	v_cmpx_ne_u32_e32 0x7f, v8
	s_cbranch_execz .LBB227_848
; %bb.845:                              ;   in Loop: Header=BB227_10 Depth=1
	v_and_b32_e32 v15, 7, v2
	v_lshrrev_b32_e32 v3, 3, v8
	s_mov_b32 s25, exec_lo
	v_cmpx_gt_u32_e32 8, v8
; %bb.846:                              ;   in Loop: Header=BB227_10 Depth=1
	v_ffbh_u32_e32 v3, v15
	v_min_u32_e32 v3, 32, v3
	v_subrev_nc_u32_e32 v6, 28, v3
	v_sub_nc_u32_e32 v3, 29, v3
	v_lshlrev_b64 v[6:7], v6, v[15:16]
	v_and_b32_e32 v15, 7, v6
; %bb.847:                              ;   in Loop: Header=BB227_10 Depth=1
	s_or_b32 exec_lo, exec_lo, s25
	v_lshlrev_b32_e32 v6, 24, v2
	v_lshlrev_b32_e32 v7, 20, v15
	v_lshl_add_u32 v3, v3, 23, 0x3c000000
	v_and_b32_e32 v6, 0x80000000, v6
	v_or3_b32 v15, v7, v6, v3
	v_mov_b32_e32 v6, v15
	v_mov_b32_e32 v7, v16
.LBB227_848:                            ;   in Loop: Header=BB227_10 Depth=1
	s_or_b32 exec_lo, exec_lo, s24
.LBB227_849:                            ;   in Loop: Header=BB227_10 Depth=1
	s_or_b32 exec_lo, exec_lo, s23
.LBB227_850:                            ;   in Loop: Header=BB227_10 Depth=1
	s_or_b32 exec_lo, exec_lo, s17
	v_cmp_ne_u16_sdwa s6, v2, v16 src0_sel:BYTE_1 src1_sel:DWORD
	s_and_saveexec_b32 s17, s6
	s_cbranch_execz .LBB227_858
; %bb.851:                              ;   in Loop: Header=BB227_10 Depth=1
	v_mov_b32_e32 v102, v16
	v_mov_b32_e32 v3, 0x80
	;; [unrolled: 1-line block ×4, first 2 shown]
	v_cmp_ne_u16_sdwa s6, v2, v3 src0_sel:BYTE_1 src1_sel:DWORD
	s_and_saveexec_b32 s23, s6
	s_cbranch_execz .LBB227_857
; %bb.852:                              ;   in Loop: Header=BB227_10 Depth=1
	s_clause 0x1
	buffer_load_dword v122, off, s[0:3], s32 offset:192
	buffer_load_dword v123, off, s[0:3], s32 offset:196
	v_mov_b32_e32 v3, 0xffff
	s_waitcnt vmcnt(1)
	v_mov_b32_e32 v122, v16
	s_mov_b32 s24, exec_lo
	v_and_b32_sdwa v3, v3, v2 dst_sel:DWORD dst_unused:UNUSED_PAD src0_sel:DWORD src1_sel:BYTE_1
	v_and_b32_e32 v8, 0x7f, v3
	s_waitcnt vmcnt(0)
	v_mov_b32_e32 v9, v123
	buffer_store_dword v8, off, s[0:3], s32 offset:192 ; 4-byte Folded Spill
	buffer_store_dword v9, off, s[0:3], s32 offset:196 ; 4-byte Folded Spill
	v_cmpx_ne_u32_e32 0x7f, v8
	s_cbranch_execz .LBB227_856
; %bb.853:                              ;   in Loop: Header=BB227_10 Depth=1
	v_and_b32_e32 v15, 7, v3
	v_lshrrev_b32_e32 v3, 3, v8
	s_mov_b32 s25, exec_lo
	v_cmpx_gt_u32_e32 8, v8
; %bb.854:                              ;   in Loop: Header=BB227_10 Depth=1
	v_ffbh_u32_e32 v3, v15
	v_min_u32_e32 v3, 32, v3
	v_subrev_nc_u32_e32 v8, 28, v3
	v_sub_nc_u32_e32 v3, 29, v3
	v_lshlrev_b64 v[8:9], v8, v[15:16]
	v_and_b32_e32 v15, 7, v8
; %bb.855:                              ;   in Loop: Header=BB227_10 Depth=1
	s_or_b32 exec_lo, exec_lo, s25
	v_lshlrev_b32_e32 v2, 16, v2
	v_lshlrev_b32_e32 v8, 20, v15
	v_lshl_add_u32 v3, v3, 23, 0x3c000000
	v_mov_b32_e32 v122, v16
	v_and_b32_e32 v2, 0x80000000, v2
	v_or3_b32 v123, v8, v2, v3
.LBB227_856:                            ;   in Loop: Header=BB227_10 Depth=1
	s_or_b32 exec_lo, exec_lo, s24
.LBB227_857:                            ;   in Loop: Header=BB227_10 Depth=1
	s_or_b32 exec_lo, exec_lo, s23
.LBB227_858:                            ;   in Loop: Header=BB227_10 Depth=1
	s_or_b32 exec_lo, exec_lo, s17
	buffer_load_dword v2, off, s[0:3], s32 offset:208 ; 4-byte Folded Reload
	v_mov_b32_e32 v126, 0
	v_mov_b32_e32 v21, 0
	;; [unrolled: 1-line block ×4, first 2 shown]
	s_waitcnt vmcnt(0)
	v_add_co_u32 v2, s6, v0, v2
	v_add_co_ci_u32_e64 v3, null, 0, v1, s6
	flat_load_ushort v3, v[2:3]
	s_waitcnt vmcnt(0) lgkmcnt(0)
	v_and_b32_e32 v2, 0xffff, v3
	v_cmp_ne_u16_sdwa s6, v3, v16 src0_sel:BYTE_0 src1_sel:DWORD
	s_and_saveexec_b32 s17, s6
	s_cbranch_execz .LBB227_866
; %bb.859:                              ;   in Loop: Header=BB227_10 Depth=1
	v_mov_b32_e32 v3, 0x80
	v_bfrev_b32_e32 v21, 1
	v_mov_b32_e32 v22, 0
	v_cmp_ne_u16_sdwa s6, v2, v3 src0_sel:BYTE_0 src1_sel:DWORD
	s_and_saveexec_b32 s23, s6
	s_cbranch_execz .LBB227_865
; %bb.860:                              ;   in Loop: Header=BB227_10 Depth=1
	v_mov_b32_e32 v21, 0x7f800001
	v_and_b32_e32 v8, 0x7f, v2
	v_mov_b32_e32 v22, 0
	s_mov_b32 s24, exec_lo
	v_cmpx_ne_u32_e32 0x7f, v8
	s_cbranch_execz .LBB227_864
; %bb.861:                              ;   in Loop: Header=BB227_10 Depth=1
	v_and_b32_e32 v15, 7, v2
	v_lshrrev_b32_e32 v3, 3, v8
	s_mov_b32 s25, exec_lo
	v_cmpx_gt_u32_e32 8, v8
; %bb.862:                              ;   in Loop: Header=BB227_10 Depth=1
	v_ffbh_u32_e32 v3, v15
	v_min_u32_e32 v3, 32, v3
	v_subrev_nc_u32_e32 v8, 28, v3
	v_sub_nc_u32_e32 v3, 29, v3
	v_lshlrev_b64 v[8:9], v8, v[15:16]
	v_and_b32_e32 v15, 7, v8
; %bb.863:                              ;   in Loop: Header=BB227_10 Depth=1
	s_or_b32 exec_lo, exec_lo, s25
	v_lshlrev_b32_e32 v8, 24, v2
	v_lshlrev_b32_e32 v9, 20, v15
	v_lshl_add_u32 v3, v3, 23, 0x3c000000
	v_and_b32_e32 v8, 0x80000000, v8
	v_or3_b32 v15, v9, v8, v3
	v_mov_b32_e32 v22, v16
	v_mov_b32_e32 v21, v15
.LBB227_864:                            ;   in Loop: Header=BB227_10 Depth=1
	s_or_b32 exec_lo, exec_lo, s24
.LBB227_865:                            ;   in Loop: Header=BB227_10 Depth=1
	s_or_b32 exec_lo, exec_lo, s23
.LBB227_866:                            ;   in Loop: Header=BB227_10 Depth=1
	s_or_b32 exec_lo, exec_lo, s17
	v_cmp_ne_u16_sdwa s6, v2, v16 src0_sel:BYTE_1 src1_sel:DWORD
	s_and_saveexec_b32 s17, s6
	s_cbranch_execz .LBB227_874
; %bb.867:                              ;   in Loop: Header=BB227_10 Depth=1
	v_mov_b32_e32 v102, v16
	v_mov_b32_e32 v3, 0x80
	v_mov_b32_e32 v127, v103
	v_mov_b32_e32 v126, v102
	v_cmp_ne_u16_sdwa s6, v2, v3 src0_sel:BYTE_1 src1_sel:DWORD
	s_and_saveexec_b32 s23, s6
	s_cbranch_execz .LBB227_873
; %bb.868:                              ;   in Loop: Header=BB227_10 Depth=1
	s_clause 0x1
	buffer_load_dword v126, off, s[0:3], s32 offset:192
	buffer_load_dword v127, off, s[0:3], s32 offset:196
	v_mov_b32_e32 v3, 0xffff
	s_waitcnt vmcnt(1)
	v_mov_b32_e32 v126, v16
	s_mov_b32 s24, exec_lo
	v_and_b32_sdwa v3, v3, v2 dst_sel:DWORD dst_unused:UNUSED_PAD src0_sel:DWORD src1_sel:BYTE_1
	v_and_b32_e32 v8, 0x7f, v3
	s_waitcnt vmcnt(0)
	v_mov_b32_e32 v9, v127
	buffer_store_dword v8, off, s[0:3], s32 offset:192 ; 4-byte Folded Spill
	buffer_store_dword v9, off, s[0:3], s32 offset:196 ; 4-byte Folded Spill
	v_cmpx_ne_u32_e32 0x7f, v8
	s_cbranch_execz .LBB227_872
; %bb.869:                              ;   in Loop: Header=BB227_10 Depth=1
	v_and_b32_e32 v15, 7, v3
	v_lshrrev_b32_e32 v3, 3, v8
	s_mov_b32 s25, exec_lo
	v_cmpx_gt_u32_e32 8, v8
; %bb.870:                              ;   in Loop: Header=BB227_10 Depth=1
	v_ffbh_u32_e32 v3, v15
	v_min_u32_e32 v3, 32, v3
	v_subrev_nc_u32_e32 v8, 28, v3
	v_sub_nc_u32_e32 v3, 29, v3
	v_lshlrev_b64 v[8:9], v8, v[15:16]
	v_and_b32_e32 v15, 7, v8
; %bb.871:                              ;   in Loop: Header=BB227_10 Depth=1
	s_or_b32 exec_lo, exec_lo, s25
	v_lshlrev_b32_e32 v2, 16, v2
	v_lshlrev_b32_e32 v8, 20, v15
	v_lshl_add_u32 v3, v3, 23, 0x3c000000
	v_mov_b32_e32 v126, v16
	v_and_b32_e32 v2, 0x80000000, v2
	v_or3_b32 v127, v8, v2, v3
.LBB227_872:                            ;   in Loop: Header=BB227_10 Depth=1
	s_or_b32 exec_lo, exec_lo, s24
.LBB227_873:                            ;   in Loop: Header=BB227_10 Depth=1
	s_or_b32 exec_lo, exec_lo, s23
.LBB227_874:                            ;   in Loop: Header=BB227_10 Depth=1
	s_or_b32 exec_lo, exec_lo, s17
	buffer_load_dword v2, off, s[0:3], s32 offset:212 ; 4-byte Folded Reload
	v_mov_b32_e32 v8, 0
	v_mov_b32_e32 v10, 0
	;; [unrolled: 1-line block ×4, first 2 shown]
	s_waitcnt vmcnt(0)
	v_add_co_u32 v2, s6, v0, v2
	v_add_co_ci_u32_e64 v3, null, 0, v1, s6
	flat_load_ushort v3, v[2:3]
	s_waitcnt vmcnt(0) lgkmcnt(0)
	v_and_b32_e32 v2, 0xffff, v3
	v_cmp_ne_u16_sdwa s6, v3, v16 src0_sel:BYTE_0 src1_sel:DWORD
	s_and_saveexec_b32 s17, s6
	s_cbranch_execz .LBB227_882
; %bb.875:                              ;   in Loop: Header=BB227_10 Depth=1
	v_mov_b32_e32 v3, 0x80
	v_bfrev_b32_e32 v10, 1
	v_mov_b32_e32 v11, 0
	v_cmp_ne_u16_sdwa s6, v2, v3 src0_sel:BYTE_0 src1_sel:DWORD
	s_and_saveexec_b32 s23, s6
	s_cbranch_execz .LBB227_881
; %bb.876:                              ;   in Loop: Header=BB227_10 Depth=1
	v_mov_b32_e32 v10, 0x7f800001
	v_and_b32_e32 v12, 0x7f, v2
	v_mov_b32_e32 v11, 0
	s_mov_b32 s24, exec_lo
	v_cmpx_ne_u32_e32 0x7f, v12
	s_cbranch_execz .LBB227_880
; %bb.877:                              ;   in Loop: Header=BB227_10 Depth=1
	v_and_b32_e32 v15, 7, v2
	v_lshrrev_b32_e32 v3, 3, v12
	s_mov_b32 s25, exec_lo
	v_cmpx_gt_u32_e32 8, v12
; %bb.878:                              ;   in Loop: Header=BB227_10 Depth=1
	v_ffbh_u32_e32 v3, v15
	v_min_u32_e32 v3, 32, v3
	v_subrev_nc_u32_e32 v10, 28, v3
	v_sub_nc_u32_e32 v3, 29, v3
	v_lshlrev_b64 v[10:11], v10, v[15:16]
	v_and_b32_e32 v15, 7, v10
; %bb.879:                              ;   in Loop: Header=BB227_10 Depth=1
	s_or_b32 exec_lo, exec_lo, s25
	v_lshlrev_b32_e32 v10, 24, v2
	v_lshlrev_b32_e32 v11, 20, v15
	v_lshl_add_u32 v3, v3, 23, 0x3c000000
	v_and_b32_e32 v10, 0x80000000, v10
	v_or3_b32 v15, v11, v10, v3
	v_mov_b32_e32 v10, v15
	v_mov_b32_e32 v11, v16
.LBB227_880:                            ;   in Loop: Header=BB227_10 Depth=1
	s_or_b32 exec_lo, exec_lo, s24
.LBB227_881:                            ;   in Loop: Header=BB227_10 Depth=1
	s_or_b32 exec_lo, exec_lo, s23
.LBB227_882:                            ;   in Loop: Header=BB227_10 Depth=1
	s_or_b32 exec_lo, exec_lo, s17
	v_cmp_ne_u16_sdwa s6, v2, v16 src0_sel:BYTE_1 src1_sel:DWORD
	s_and_saveexec_b32 s17, s6
	s_cbranch_execz .LBB227_890
; %bb.883:                              ;   in Loop: Header=BB227_10 Depth=1
	v_mov_b32_e32 v102, v16
	v_mov_b32_e32 v3, 0x80
	;; [unrolled: 1-line block ×3, first 2 shown]
	v_cmp_ne_u16_sdwa s6, v2, v3 src0_sel:BYTE_1 src1_sel:DWORD
	v_mov_b32_e32 v9, v103
	s_and_saveexec_b32 s23, s6
	s_cbranch_execz .LBB227_889
; %bb.884:                              ;   in Loop: Header=BB227_10 Depth=1
	s_clause 0x1
	buffer_load_dword v8, off, s[0:3], s32 offset:192
	buffer_load_dword v9, off, s[0:3], s32 offset:196
	v_mov_b32_e32 v3, 0xffff
	v_mov_b32_e32 v13, v16
	s_mov_b32 s24, exec_lo
	v_and_b32_sdwa v3, v3, v2 dst_sel:DWORD dst_unused:UNUSED_PAD src0_sel:DWORD src1_sel:BYTE_1
	v_and_b32_e32 v12, 0x7f, v3
	s_waitcnt vmcnt(0)
	v_mov_b32_e32 v8, v9
	v_mov_b32_e32 v14, v9
	buffer_store_dword v7, off, s[0:3], s32 offset:192 ; 4-byte Folded Spill
	buffer_store_dword v8, off, s[0:3], s32 offset:196 ; 4-byte Folded Spill
	v_mov_b32_e32 v8, v13
	v_mov_b32_e32 v9, v14
	v_cmpx_ne_u32_e32 0x7f, v12
	s_cbranch_execz .LBB227_888
; %bb.885:                              ;   in Loop: Header=BB227_10 Depth=1
	v_and_b32_e32 v15, 7, v3
	v_lshrrev_b32_e32 v3, 3, v12
	s_mov_b32 s25, exec_lo
	v_cmpx_gt_u32_e32 8, v12
; %bb.886:                              ;   in Loop: Header=BB227_10 Depth=1
	v_ffbh_u32_e32 v3, v15
	v_min_u32_e32 v3, 32, v3
	v_subrev_nc_u32_e32 v8, 28, v3
	v_sub_nc_u32_e32 v3, 29, v3
	v_lshlrev_b64 v[8:9], v8, v[15:16]
	v_and_b32_e32 v15, 7, v8
; %bb.887:                              ;   in Loop: Header=BB227_10 Depth=1
	s_or_b32 exec_lo, exec_lo, s25
	v_lshlrev_b32_e32 v2, 16, v2
	v_lshlrev_b32_e32 v8, 20, v15
	v_lshl_add_u32 v3, v3, 23, 0x3c000000
	v_and_b32_e32 v2, 0x80000000, v2
	v_or3_b32 v9, v8, v2, v3
	v_mov_b32_e32 v8, v16
.LBB227_888:                            ;   in Loop: Header=BB227_10 Depth=1
	s_or_b32 exec_lo, exec_lo, s24
.LBB227_889:                            ;   in Loop: Header=BB227_10 Depth=1
	s_or_b32 exec_lo, exec_lo, s23
.LBB227_890:                            ;   in Loop: Header=BB227_10 Depth=1
	s_or_b32 exec_lo, exec_lo, s17
	buffer_load_dword v2, off, s[0:3], s32 offset:216 ; 4-byte Folded Reload
	v_mov_b32_e32 v17, 0
	v_mov_b32_e32 v80, 0
	v_mov_b32_e32 v18, 0
	v_mov_b32_e32 v81, 0
	s_waitcnt vmcnt(0)
	v_add_co_u32 v0, s6, v0, v2
	v_add_co_ci_u32_e64 v1, null, 0, v1, s6
	flat_load_ushort v0, v[0:1]
	s_waitcnt vmcnt(0) lgkmcnt(0)
	v_and_b32_e32 v2, 0xffff, v0
	v_cmp_ne_u16_sdwa s6, v0, v16 src0_sel:BYTE_0 src1_sel:DWORD
	s_and_saveexec_b32 s17, s6
	s_cbranch_execz .LBB227_898
; %bb.891:                              ;   in Loop: Header=BB227_10 Depth=1
	v_mov_b32_e32 v3, 0x80
	v_bfrev_b32_e32 v80, 1
	v_mov_b32_e32 v81, 0
	v_cmp_ne_u16_sdwa s6, v2, v3 src0_sel:BYTE_0 src1_sel:DWORD
	s_and_saveexec_b32 s23, s6
	s_cbranch_execz .LBB227_897
; %bb.892:                              ;   in Loop: Header=BB227_10 Depth=1
	v_mov_b32_e32 v80, 0x7f800001
	v_and_b32_e32 v3, 0x7f, v2
	v_mov_b32_e32 v81, 0
	s_mov_b32 s24, exec_lo
	v_cmpx_ne_u32_e32 0x7f, v3
	s_cbranch_execz .LBB227_896
; %bb.893:                              ;   in Loop: Header=BB227_10 Depth=1
	v_and_b32_e32 v15, 7, v2
	v_lshrrev_b32_e32 v0, 3, v3
	s_mov_b32 s25, exec_lo
	v_cmpx_gt_u32_e32 8, v3
; %bb.894:                              ;   in Loop: Header=BB227_10 Depth=1
	v_ffbh_u32_e32 v0, v15
	v_min_u32_e32 v0, 32, v0
	v_subrev_nc_u32_e32 v1, 28, v0
	v_sub_nc_u32_e32 v0, 29, v0
	v_lshlrev_b64 v[12:13], v1, v[15:16]
	v_and_b32_e32 v15, 7, v12
; %bb.895:                              ;   in Loop: Header=BB227_10 Depth=1
	s_or_b32 exec_lo, exec_lo, s25
	v_lshlrev_b32_e32 v1, 24, v2
	v_lshlrev_b32_e32 v3, 20, v15
	v_lshl_add_u32 v0, v0, 23, 0x3c000000
	v_and_b32_e32 v1, 0x80000000, v1
	v_or3_b32 v15, v3, v1, v0
	v_mov_b32_e32 v81, v16
	v_mov_b32_e32 v80, v15
.LBB227_896:                            ;   in Loop: Header=BB227_10 Depth=1
	s_or_b32 exec_lo, exec_lo, s24
.LBB227_897:                            ;   in Loop: Header=BB227_10 Depth=1
	s_or_b32 exec_lo, exec_lo, s23
.LBB227_898:                            ;   in Loop: Header=BB227_10 Depth=1
	s_or_b32 exec_lo, exec_lo, s17
	v_cmp_ne_u16_sdwa s6, v2, v16 src0_sel:BYTE_1 src1_sel:DWORD
	s_and_saveexec_b32 s17, s6
	s_cbranch_execz .LBB227_906
; %bb.899:                              ;   in Loop: Header=BB227_10 Depth=1
	v_mov_b32_e32 v102, v16
	v_mov_b32_e32 v3, 0x80
	;; [unrolled: 1-line block ×3, first 2 shown]
	v_cmp_ne_u16_sdwa s6, v2, v3 src0_sel:BYTE_1 src1_sel:DWORD
	v_mov_b32_e32 v18, v103
	s_and_saveexec_b32 s23, s6
	s_cbranch_execz .LBB227_905
; %bb.900:                              ;   in Loop: Header=BB227_10 Depth=1
	s_clause 0x1
	buffer_load_dword v17, off, s[0:3], s32 offset:192
	buffer_load_dword v18, off, s[0:3], s32 offset:196
	v_mov_b32_e32 v3, 0xffff
	s_waitcnt vmcnt(1)
	v_mov_b32_e32 v17, v16
	s_mov_b32 s24, exec_lo
	v_and_b32_sdwa v3, v3, v2 dst_sel:DWORD dst_unused:UNUSED_PAD src0_sel:DWORD src1_sel:BYTE_1
	v_and_b32_e32 v12, 0x7f, v3
	s_waitcnt vmcnt(0)
	v_mov_b32_e32 v13, v18
	buffer_store_dword v12, off, s[0:3], s32 offset:192 ; 4-byte Folded Spill
	buffer_store_dword v13, off, s[0:3], s32 offset:196 ; 4-byte Folded Spill
	v_cmpx_ne_u32_e32 0x7f, v12
	s_cbranch_execz .LBB227_904
; %bb.901:                              ;   in Loop: Header=BB227_10 Depth=1
	v_and_b32_e32 v15, 7, v3
	v_lshrrev_b32_e32 v3, 3, v12
	s_mov_b32 s25, exec_lo
	v_cmpx_gt_u32_e32 8, v12
; %bb.902:                              ;   in Loop: Header=BB227_10 Depth=1
	v_ffbh_u32_e32 v3, v15
	v_min_u32_e32 v3, 32, v3
	v_subrev_nc_u32_e32 v12, 28, v3
	v_sub_nc_u32_e32 v3, 29, v3
	v_lshlrev_b64 v[12:13], v12, v[15:16]
	v_and_b32_e32 v15, 7, v12
; %bb.903:                              ;   in Loop: Header=BB227_10 Depth=1
	s_or_b32 exec_lo, exec_lo, s25
	v_lshlrev_b32_e32 v2, 16, v2
	v_lshlrev_b32_e32 v12, 20, v15
	v_lshl_add_u32 v3, v3, 23, 0x3c000000
	v_mov_b32_e32 v17, v16
	v_and_b32_e32 v2, 0x80000000, v2
	v_or3_b32 v18, v12, v2, v3
.LBB227_904:                            ;   in Loop: Header=BB227_10 Depth=1
	s_or_b32 exec_lo, exec_lo, s24
.LBB227_905:                            ;   in Loop: Header=BB227_10 Depth=1
	s_or_b32 exec_lo, exec_lo, s23
.LBB227_906:                            ;   in Loop: Header=BB227_10 Depth=1
	s_or_b32 exec_lo, exec_lo, s17
	buffer_load_dword v2, off, s[0:3], s32 offset:204 ; 4-byte Folded Reload
	v_add_co_u32 v28, s6, 0xe00, v68
	v_add_co_ci_u32_e64 v29, null, 0, v69, s6
	v_mov_b32_e32 v0, 0
	v_mov_b32_e32 v23, 0
	;; [unrolled: 1-line block ×4, first 2 shown]
	s_waitcnt vmcnt(0)
	v_add_co_u32 v2, s6, v28, v2
	v_add_co_ci_u32_e64 v3, null, 0, v29, s6
	flat_load_ushort v3, v[2:3]
	s_waitcnt vmcnt(0) lgkmcnt(0)
	v_and_b32_e32 v2, 0xffff, v3
	v_cmp_ne_u16_sdwa s6, v3, v16 src0_sel:BYTE_0 src1_sel:DWORD
	s_and_saveexec_b32 s17, s6
	s_cbranch_execz .LBB227_914
; %bb.907:                              ;   in Loop: Header=BB227_10 Depth=1
	v_mov_b32_e32 v3, 0x80
	v_bfrev_b32_e32 v23, 1
	v_mov_b32_e32 v24, 0
	v_cmp_ne_u16_sdwa s6, v2, v3 src0_sel:BYTE_0 src1_sel:DWORD
	s_and_saveexec_b32 s23, s6
	s_cbranch_execz .LBB227_913
; %bb.908:                              ;   in Loop: Header=BB227_10 Depth=1
	v_mov_b32_e32 v23, 0x7f800001
	v_and_b32_e32 v25, 0x7f, v2
	v_mov_b32_e32 v24, 0
	s_mov_b32 s24, exec_lo
	v_cmpx_ne_u32_e32 0x7f, v25
	s_cbranch_execz .LBB227_912
; %bb.909:                              ;   in Loop: Header=BB227_10 Depth=1
	v_and_b32_e32 v15, 7, v2
	v_lshrrev_b32_e32 v3, 3, v25
	s_mov_b32 s25, exec_lo
	v_cmpx_gt_u32_e32 8, v25
; %bb.910:                              ;   in Loop: Header=BB227_10 Depth=1
	v_ffbh_u32_e32 v3, v15
	v_min_u32_e32 v3, 32, v3
	v_subrev_nc_u32_e32 v23, 28, v3
	v_sub_nc_u32_e32 v3, 29, v3
	v_lshlrev_b64 v[23:24], v23, v[15:16]
	v_and_b32_e32 v15, 7, v23
; %bb.911:                              ;   in Loop: Header=BB227_10 Depth=1
	s_or_b32 exec_lo, exec_lo, s25
	v_lshlrev_b32_e32 v23, 24, v2
	v_lshlrev_b32_e32 v15, 20, v15
	v_lshl_add_u32 v3, v3, 23, 0x3c000000
	v_and_b32_e32 v23, 0x80000000, v23
	v_or3_b32 v15, v15, v23, v3
	v_mov_b32_e32 v24, v16
	v_mov_b32_e32 v23, v15
.LBB227_912:                            ;   in Loop: Header=BB227_10 Depth=1
	s_or_b32 exec_lo, exec_lo, s24
.LBB227_913:                            ;   in Loop: Header=BB227_10 Depth=1
	s_or_b32 exec_lo, exec_lo, s23
.LBB227_914:                            ;   in Loop: Header=BB227_10 Depth=1
	s_or_b32 exec_lo, exec_lo, s17
	v_cmp_ne_u16_sdwa s6, v2, v16 src0_sel:BYTE_1 src1_sel:DWORD
	s_and_saveexec_b32 s17, s6
	s_cbranch_execz .LBB227_922
; %bb.915:                              ;   in Loop: Header=BB227_10 Depth=1
	v_mov_b32_e32 v102, v16
	v_mov_b32_e32 v3, 0x80
	;; [unrolled: 1-line block ×3, first 2 shown]
	v_cmp_ne_u16_sdwa s6, v2, v3 src0_sel:BYTE_1 src1_sel:DWORD
	v_mov_b32_e32 v1, v103
	s_and_saveexec_b32 s23, s6
	s_cbranch_execz .LBB227_921
; %bb.916:                              ;   in Loop: Header=BB227_10 Depth=1
	s_clause 0x1
	buffer_load_dword v0, off, s[0:3], s32 offset:192
	buffer_load_dword v1, off, s[0:3], s32 offset:196
	v_mov_b32_e32 v3, 0xffff
	s_waitcnt vmcnt(1)
	v_mov_b32_e32 v0, v16
	s_mov_b32 s24, exec_lo
	v_and_b32_sdwa v3, v3, v2 dst_sel:DWORD dst_unused:UNUSED_PAD src0_sel:DWORD src1_sel:BYTE_1
	v_and_b32_e32 v25, 0x7f, v3
	s_waitcnt vmcnt(0)
	v_mov_b32_e32 v12, v1
	buffer_store_dword v11, off, s[0:3], s32 offset:192 ; 4-byte Folded Spill
	buffer_store_dword v12, off, s[0:3], s32 offset:196 ; 4-byte Folded Spill
	v_cmpx_ne_u32_e32 0x7f, v25
	s_cbranch_execz .LBB227_920
; %bb.917:                              ;   in Loop: Header=BB227_10 Depth=1
	v_and_b32_e32 v15, 7, v3
	v_lshrrev_b32_e32 v3, 3, v25
	s_mov_b32 s25, exec_lo
	v_cmpx_gt_u32_e32 8, v25
; %bb.918:                              ;   in Loop: Header=BB227_10 Depth=1
	v_ffbh_u32_e32 v3, v15
	v_min_u32_e32 v3, 32, v3
	v_subrev_nc_u32_e32 v12, 28, v3
	v_sub_nc_u32_e32 v3, 29, v3
	v_lshlrev_b64 v[12:13], v12, v[15:16]
	v_and_b32_e32 v15, 7, v12
; %bb.919:                              ;   in Loop: Header=BB227_10 Depth=1
	s_or_b32 exec_lo, exec_lo, s25
	v_lshlrev_b32_e32 v2, 16, v2
	v_lshlrev_b32_e32 v12, 20, v15
	v_lshl_add_u32 v3, v3, 23, 0x3c000000
	v_mov_b32_e32 v0, v16
	v_and_b32_e32 v2, 0x80000000, v2
	v_or3_b32 v1, v12, v2, v3
.LBB227_920:                            ;   in Loop: Header=BB227_10 Depth=1
	s_or_b32 exec_lo, exec_lo, s24
.LBB227_921:                            ;   in Loop: Header=BB227_10 Depth=1
	s_or_b32 exec_lo, exec_lo, s23
.LBB227_922:                            ;   in Loop: Header=BB227_10 Depth=1
	s_or_b32 exec_lo, exec_lo, s17
	buffer_load_dword v2, off, s[0:3], s32 offset:208 ; 4-byte Folded Reload
	v_mov_b32_e32 v32, 0
	v_mov_b32_e32 v33, 0
	s_waitcnt vmcnt(0)
	v_add_co_u32 v2, s6, v28, v2
	v_add_co_ci_u32_e64 v3, null, 0, v29, s6
	flat_load_ushort v2, v[2:3]
	s_waitcnt vmcnt(0) lgkmcnt(0)
	v_and_b32_e32 v25, 0xffff, v2
	v_cmp_ne_u16_sdwa s6, v2, v16 src0_sel:BYTE_0 src1_sel:DWORD
	v_mov_b32_e32 v2, 0
	v_mov_b32_e32 v3, 0
	s_and_saveexec_b32 s17, s6
	s_cbranch_execz .LBB227_930
; %bb.923:                              ;   in Loop: Header=BB227_10 Depth=1
	v_mov_b32_e32 v14, 0x80
	v_bfrev_b32_e32 v32, 1
	v_mov_b32_e32 v33, 0
	v_cmp_ne_u16_sdwa s6, v25, v14 src0_sel:BYTE_0 src1_sel:DWORD
	s_and_saveexec_b32 s23, s6
	s_cbranch_execz .LBB227_929
; %bb.924:                              ;   in Loop: Header=BB227_10 Depth=1
	v_mov_b32_e32 v32, 0x7f800001
	v_and_b32_e32 v30, 0x7f, v25
	v_mov_b32_e32 v33, 0
	s_mov_b32 s24, exec_lo
	v_cmpx_ne_u32_e32 0x7f, v30
	s_cbranch_execz .LBB227_928
; %bb.925:                              ;   in Loop: Header=BB227_10 Depth=1
	v_and_b32_e32 v15, 7, v25
	v_lshrrev_b32_e32 v26, 3, v30
	s_mov_b32 s25, exec_lo
	v_cmpx_gt_u32_e32 8, v30
; %bb.926:                              ;   in Loop: Header=BB227_10 Depth=1
	v_ffbh_u32_e32 v26, v15
	v_min_u32_e32 v26, 32, v26
	v_subrev_nc_u32_e32 v30, 28, v26
	v_sub_nc_u32_e32 v26, 29, v26
	v_lshlrev_b64 v[30:31], v30, v[15:16]
	v_and_b32_e32 v15, 7, v30
; %bb.927:                              ;   in Loop: Header=BB227_10 Depth=1
	s_or_b32 exec_lo, exec_lo, s25
	v_lshlrev_b32_e32 v30, 24, v25
	v_lshlrev_b32_e32 v15, 20, v15
	v_lshl_add_u32 v26, v26, 23, 0x3c000000
	v_and_b32_e32 v30, 0x80000000, v30
	v_or3_b32 v15, v15, v30, v26
	v_mov_b32_e32 v33, v16
	v_mov_b32_e32 v32, v15
.LBB227_928:                            ;   in Loop: Header=BB227_10 Depth=1
	s_or_b32 exec_lo, exec_lo, s24
.LBB227_929:                            ;   in Loop: Header=BB227_10 Depth=1
	s_or_b32 exec_lo, exec_lo, s23
.LBB227_930:                            ;   in Loop: Header=BB227_10 Depth=1
	s_or_b32 exec_lo, exec_lo, s17
	v_cmp_ne_u16_sdwa s6, v25, v16 src0_sel:BYTE_1 src1_sel:DWORD
	s_and_saveexec_b32 s17, s6
	s_cbranch_execz .LBB227_938
; %bb.931:                              ;   in Loop: Header=BB227_10 Depth=1
	v_mov_b32_e32 v102, v16
	v_mov_b32_e32 v2, 0x80
	v_cmp_ne_u16_sdwa s6, v25, v2 src0_sel:BYTE_1 src1_sel:DWORD
	v_mov_b32_e32 v2, v102
	v_mov_b32_e32 v3, v103
	s_and_saveexec_b32 s23, s6
	s_cbranch_execz .LBB227_937
; %bb.932:                              ;   in Loop: Header=BB227_10 Depth=1
	v_mov_b32_e32 v2, 0xffff
	v_mov_b32_e32 v19, v16
	s_mov_b32 s24, exec_lo
	v_and_b32_sdwa v15, v2, v25 dst_sel:DWORD dst_unused:UNUSED_PAD src0_sel:DWORD src1_sel:BYTE_1
	s_clause 0x1
	buffer_load_dword v2, off, s[0:3], s32 offset:192
	buffer_load_dword v3, off, s[0:3], s32 offset:196
	v_and_b32_e32 v26, 0x7f, v15
	s_waitcnt vmcnt(0)
	v_mov_b32_e32 v2, v3
	v_mov_b32_e32 v20, v3
	buffer_store_dword v1, off, s[0:3], s32 offset:192 ; 4-byte Folded Spill
	buffer_store_dword v2, off, s[0:3], s32 offset:196 ; 4-byte Folded Spill
	v_mov_b32_e32 v2, v19
	v_mov_b32_e32 v3, v20
	v_cmpx_ne_u32_e32 0x7f, v26
	s_cbranch_execz .LBB227_936
; %bb.933:                              ;   in Loop: Header=BB227_10 Depth=1
	v_and_b32_e32 v15, 7, v15
	v_lshrrev_b32_e32 v2, 3, v26
	s_mov_b32 s25, exec_lo
	v_cmpx_gt_u32_e32 8, v26
; %bb.934:                              ;   in Loop: Header=BB227_10 Depth=1
	v_ffbh_u32_e32 v2, v15
	v_min_u32_e32 v2, 32, v2
	v_subrev_nc_u32_e32 v3, 28, v2
	v_sub_nc_u32_e32 v2, 29, v2
	v_lshlrev_b64 v[30:31], v3, v[15:16]
	v_and_b32_e32 v15, 7, v30
; %bb.935:                              ;   in Loop: Header=BB227_10 Depth=1
	s_or_b32 exec_lo, exec_lo, s25
	v_lshlrev_b32_e32 v3, 16, v25
	v_lshlrev_b32_e32 v15, 20, v15
	v_lshl_add_u32 v2, v2, 23, 0x3c000000
	v_and_b32_e32 v3, 0x80000000, v3
	v_or3_b32 v3, v15, v3, v2
	v_mov_b32_e32 v2, v16
.LBB227_936:                            ;   in Loop: Header=BB227_10 Depth=1
	s_or_b32 exec_lo, exec_lo, s24
.LBB227_937:                            ;   in Loop: Header=BB227_10 Depth=1
	s_or_b32 exec_lo, exec_lo, s23
.LBB227_938:                            ;   in Loop: Header=BB227_10 Depth=1
	s_or_b32 exec_lo, exec_lo, s17
	buffer_load_dword v14, off, s[0:3], s32 offset:212 ; 4-byte Folded Reload
	v_mov_b32_e32 v48, 0
	v_mov_b32_e32 v49, 0
	s_waitcnt vmcnt(0)
	v_add_co_u32 v25, s6, v28, v14
	v_add_co_ci_u32_e64 v26, null, 0, v29, s6
	flat_load_ushort v15, v[25:26]
	v_mov_b32_e32 v25, 0
	v_mov_b32_e32 v26, 0
	s_waitcnt vmcnt(0) lgkmcnt(0)
	v_and_b32_e32 v30, 0xffff, v15
	v_cmp_ne_u16_sdwa s6, v15, v16 src0_sel:BYTE_0 src1_sel:DWORD
	s_and_saveexec_b32 s17, s6
	s_cbranch_execz .LBB227_946
; %bb.939:                              ;   in Loop: Header=BB227_10 Depth=1
	v_mov_b32_e32 v14, 0x80
	v_bfrev_b32_e32 v48, 1
	v_mov_b32_e32 v49, 0
	v_cmp_ne_u16_sdwa s6, v30, v14 src0_sel:BYTE_0 src1_sel:DWORD
	s_and_saveexec_b32 s23, s6
	s_cbranch_execz .LBB227_945
; %bb.940:                              ;   in Loop: Header=BB227_10 Depth=1
	v_mov_b32_e32 v48, 0x7f800001
	v_and_b32_e32 v34, 0x7f, v30
	v_mov_b32_e32 v49, 0
	s_mov_b32 s24, exec_lo
	v_cmpx_ne_u32_e32 0x7f, v34
	s_cbranch_execz .LBB227_944
; %bb.941:                              ;   in Loop: Header=BB227_10 Depth=1
	v_and_b32_e32 v15, 7, v30
	v_lshrrev_b32_e32 v31, 3, v34
	s_mov_b32 s25, exec_lo
	v_cmpx_gt_u32_e32 8, v34
; %bb.942:                              ;   in Loop: Header=BB227_10 Depth=1
	v_ffbh_u32_e32 v31, v15
	v_min_u32_e32 v31, 32, v31
	v_subrev_nc_u32_e32 v34, 28, v31
	v_sub_nc_u32_e32 v31, 29, v31
	v_lshlrev_b64 v[34:35], v34, v[15:16]
	v_and_b32_e32 v15, 7, v34
; %bb.943:                              ;   in Loop: Header=BB227_10 Depth=1
	s_or_b32 exec_lo, exec_lo, s25
	v_lshlrev_b32_e32 v34, 24, v30
	v_lshlrev_b32_e32 v15, 20, v15
	v_lshl_add_u32 v31, v31, 23, 0x3c000000
	v_and_b32_e32 v34, 0x80000000, v34
	v_or3_b32 v15, v15, v34, v31
	v_mov_b32_e32 v49, v16
	v_mov_b32_e32 v48, v15
.LBB227_944:                            ;   in Loop: Header=BB227_10 Depth=1
	s_or_b32 exec_lo, exec_lo, s24
.LBB227_945:                            ;   in Loop: Header=BB227_10 Depth=1
	s_or_b32 exec_lo, exec_lo, s23
.LBB227_946:                            ;   in Loop: Header=BB227_10 Depth=1
	s_or_b32 exec_lo, exec_lo, s17
	v_cmp_ne_u16_sdwa s6, v30, v16 src0_sel:BYTE_1 src1_sel:DWORD
	s_and_saveexec_b32 s17, s6
	s_cbranch_execz .LBB227_954
; %bb.947:                              ;   in Loop: Header=BB227_10 Depth=1
	v_mov_b32_e32 v102, v16
	v_mov_b32_e32 v14, 0x80
	v_mov_b32_e32 v25, v102
	v_cmp_ne_u16_sdwa s6, v30, v14 src0_sel:BYTE_1 src1_sel:DWORD
	v_mov_b32_e32 v26, v103
	s_and_saveexec_b32 s23, s6
	s_cbranch_execz .LBB227_953
; %bb.948:                              ;   in Loop: Header=BB227_10 Depth=1
	s_clause 0x1
	buffer_load_dword v25, off, s[0:3], s32 offset:192
	buffer_load_dword v26, off, s[0:3], s32 offset:196
	v_mov_b32_e32 v14, 0xffff
	s_waitcnt vmcnt(1)
	v_mov_b32_e32 v25, v16
	s_mov_b32 s24, exec_lo
	v_and_b32_sdwa v15, v14, v30 dst_sel:DWORD dst_unused:UNUSED_PAD src0_sel:DWORD src1_sel:BYTE_1
	v_and_b32_e32 v31, 0x7f, v15
	s_waitcnt vmcnt(0)
	v_mov_b32_e32 v14, v26
	buffer_store_dword v13, off, s[0:3], s32 offset:192 ; 4-byte Folded Spill
	buffer_store_dword v14, off, s[0:3], s32 offset:196 ; 4-byte Folded Spill
	v_cmpx_ne_u32_e32 0x7f, v31
	s_cbranch_execz .LBB227_952
; %bb.949:                              ;   in Loop: Header=BB227_10 Depth=1
	v_and_b32_e32 v15, 7, v15
	v_lshrrev_b32_e32 v25, 3, v31
	s_mov_b32 s25, exec_lo
	v_cmpx_gt_u32_e32 8, v31
; %bb.950:                              ;   in Loop: Header=BB227_10 Depth=1
	v_ffbh_u32_e32 v25, v15
	v_min_u32_e32 v25, 32, v25
	v_subrev_nc_u32_e32 v26, 28, v25
	v_sub_nc_u32_e32 v25, 29, v25
	v_lshlrev_b64 v[34:35], v26, v[15:16]
	v_and_b32_e32 v15, 7, v34
; %bb.951:                              ;   in Loop: Header=BB227_10 Depth=1
	s_or_b32 exec_lo, exec_lo, s25
	v_lshlrev_b32_e32 v26, 16, v30
	v_lshlrev_b32_e32 v15, 20, v15
	v_lshl_add_u32 v25, v25, 23, 0x3c000000
	v_and_b32_e32 v26, 0x80000000, v26
	v_or3_b32 v26, v15, v26, v25
	v_mov_b32_e32 v25, v16
.LBB227_952:                            ;   in Loop: Header=BB227_10 Depth=1
	s_or_b32 exec_lo, exec_lo, s24
.LBB227_953:                            ;   in Loop: Header=BB227_10 Depth=1
	s_or_b32 exec_lo, exec_lo, s23
.LBB227_954:                            ;   in Loop: Header=BB227_10 Depth=1
	s_or_b32 exec_lo, exec_lo, s17
	buffer_load_dword v14, off, s[0:3], s32 offset:216 ; 4-byte Folded Reload
	v_mov_b32_e32 v30, 0
	v_mov_b32_e32 v34, 0
	;; [unrolled: 1-line block ×4, first 2 shown]
	s_waitcnt vmcnt(0)
	v_add_co_u32 v28, s6, v28, v14
	v_add_co_ci_u32_e64 v29, null, 0, v29, s6
	flat_load_ushort v15, v[28:29]
	s_waitcnt vmcnt(0) lgkmcnt(0)
	v_and_b32_e32 v28, 0xffff, v15
	v_cmp_ne_u16_sdwa s6, v15, v16 src0_sel:BYTE_0 src1_sel:DWORD
	s_and_saveexec_b32 s17, s6
	s_cbranch_execz .LBB227_962
; %bb.955:                              ;   in Loop: Header=BB227_10 Depth=1
	v_mov_b32_e32 v14, 0x80
	v_bfrev_b32_e32 v34, 1
	v_mov_b32_e32 v35, 0
	v_cmp_ne_u16_sdwa s6, v28, v14 src0_sel:BYTE_0 src1_sel:DWORD
	s_and_saveexec_b32 s23, s6
	s_cbranch_execz .LBB227_961
; %bb.956:                              ;   in Loop: Header=BB227_10 Depth=1
	v_mov_b32_e32 v34, 0x7f800001
	v_and_b32_e32 v36, 0x7f, v28
	v_mov_b32_e32 v35, 0
	s_mov_b32 s24, exec_lo
	v_cmpx_ne_u32_e32 0x7f, v36
	s_cbranch_execz .LBB227_960
; %bb.957:                              ;   in Loop: Header=BB227_10 Depth=1
	v_and_b32_e32 v15, 7, v28
	v_lshrrev_b32_e32 v29, 3, v36
	s_mov_b32 s25, exec_lo
	v_cmpx_gt_u32_e32 8, v36
; %bb.958:                              ;   in Loop: Header=BB227_10 Depth=1
	v_ffbh_u32_e32 v29, v15
	v_min_u32_e32 v29, 32, v29
	v_subrev_nc_u32_e32 v34, 28, v29
	v_sub_nc_u32_e32 v29, 29, v29
	v_lshlrev_b64 v[34:35], v34, v[15:16]
	v_and_b32_e32 v15, 7, v34
; %bb.959:                              ;   in Loop: Header=BB227_10 Depth=1
	s_or_b32 exec_lo, exec_lo, s25
	v_lshlrev_b32_e32 v34, 24, v28
	v_lshlrev_b32_e32 v15, 20, v15
	v_lshl_add_u32 v29, v29, 23, 0x3c000000
	v_and_b32_e32 v34, 0x80000000, v34
	v_or3_b32 v15, v15, v34, v29
	v_mov_b32_e32 v35, v16
	v_mov_b32_e32 v34, v15
.LBB227_960:                            ;   in Loop: Header=BB227_10 Depth=1
	s_or_b32 exec_lo, exec_lo, s24
.LBB227_961:                            ;   in Loop: Header=BB227_10 Depth=1
	s_or_b32 exec_lo, exec_lo, s23
.LBB227_962:                            ;   in Loop: Header=BB227_10 Depth=1
	s_or_b32 exec_lo, exec_lo, s17
	v_cmp_ne_u16_sdwa s6, v28, v16 src0_sel:BYTE_1 src1_sel:DWORD
	s_and_saveexec_b32 s17, s6
	s_cbranch_execz .LBB227_970
; %bb.963:                              ;   in Loop: Header=BB227_10 Depth=1
	v_mov_b32_e32 v102, v16
	v_mov_b32_e32 v14, 0x80
	;; [unrolled: 1-line block ×3, first 2 shown]
	v_cmp_ne_u16_sdwa s6, v28, v14 src0_sel:BYTE_1 src1_sel:DWORD
	v_mov_b32_e32 v31, v103
	s_and_saveexec_b32 s23, s6
	s_cbranch_execz .LBB227_969
; %bb.964:                              ;   in Loop: Header=BB227_10 Depth=1
	s_clause 0x1
	buffer_load_dword v30, off, s[0:3], s32 offset:192
	buffer_load_dword v31, off, s[0:3], s32 offset:196
	v_mov_b32_e32 v14, 0xffff
	s_waitcnt vmcnt(1)
	v_mov_b32_e32 v30, v16
	s_mov_b32 s24, exec_lo
	v_and_b32_sdwa v15, v14, v28 dst_sel:DWORD dst_unused:UNUSED_PAD src0_sel:DWORD src1_sel:BYTE_1
	v_and_b32_e32 v36, 0x7f, v15
	s_waitcnt vmcnt(0)
	v_mov_b32_e32 v14, v31
	buffer_store_dword v13, off, s[0:3], s32 offset:192 ; 4-byte Folded Spill
	buffer_store_dword v14, off, s[0:3], s32 offset:196 ; 4-byte Folded Spill
	v_cmpx_ne_u32_e32 0x7f, v36
	s_cbranch_execz .LBB227_968
; %bb.965:                              ;   in Loop: Header=BB227_10 Depth=1
	v_and_b32_e32 v15, 7, v15
	v_lshrrev_b32_e32 v29, 3, v36
	s_mov_b32 s25, exec_lo
	v_cmpx_gt_u32_e32 8, v36
; %bb.966:                              ;   in Loop: Header=BB227_10 Depth=1
	v_ffbh_u32_e32 v29, v15
	v_min_u32_e32 v29, 32, v29
	v_subrev_nc_u32_e32 v30, 28, v29
	v_sub_nc_u32_e32 v29, 29, v29
	v_lshlrev_b64 v[30:31], v30, v[15:16]
	v_and_b32_e32 v15, 7, v30
; %bb.967:                              ;   in Loop: Header=BB227_10 Depth=1
	s_or_b32 exec_lo, exec_lo, s25
	v_lshlrev_b32_e32 v28, 16, v28
	v_lshlrev_b32_e32 v15, 20, v15
	v_lshl_add_u32 v29, v29, 23, 0x3c000000
	v_mov_b32_e32 v30, v16
	v_and_b32_e32 v28, 0x80000000, v28
	v_or3_b32 v31, v15, v28, v29
.LBB227_968:                            ;   in Loop: Header=BB227_10 Depth=1
	s_or_b32 exec_lo, exec_lo, s24
.LBB227_969:                            ;   in Loop: Header=BB227_10 Depth=1
	s_or_b32 exec_lo, exec_lo, s23
.LBB227_970:                            ;   in Loop: Header=BB227_10 Depth=1
	s_or_b32 exec_lo, exec_lo, s17
	buffer_load_dword v14, off, s[0:3], s32 offset:204 ; 4-byte Folded Reload
	v_add_co_u32 v50, s6, 0xf00, v68
	v_add_co_ci_u32_e64 v51, null, 0, v69, s6
	v_mov_b32_e32 v36, 0
	v_mov_b32_e32 v68, 0
	;; [unrolled: 1-line block ×4, first 2 shown]
	s_waitcnt vmcnt(0)
	v_add_co_u32 v28, s6, v50, v14
	v_add_co_ci_u32_e64 v29, null, 0, v51, s6
	flat_load_ushort v15, v[28:29]
	s_waitcnt vmcnt(0) lgkmcnt(0)
	v_and_b32_e32 v28, 0xffff, v15
	v_cmp_ne_u16_sdwa s6, v15, v16 src0_sel:BYTE_0 src1_sel:DWORD
	s_and_saveexec_b32 s17, s6
	s_cbranch_execz .LBB227_978
; %bb.971:                              ;   in Loop: Header=BB227_10 Depth=1
	v_mov_b32_e32 v14, 0x80
	v_bfrev_b32_e32 v68, 1
	v_mov_b32_e32 v69, 0
	v_cmp_ne_u16_sdwa s6, v28, v14 src0_sel:BYTE_0 src1_sel:DWORD
	s_and_saveexec_b32 s23, s6
	s_cbranch_execz .LBB227_977
; %bb.972:                              ;   in Loop: Header=BB227_10 Depth=1
	v_mov_b32_e32 v68, 0x7f800001
	v_and_b32_e32 v38, 0x7f, v28
	v_mov_b32_e32 v69, 0
	s_mov_b32 s24, exec_lo
	v_cmpx_ne_u32_e32 0x7f, v38
	s_cbranch_execz .LBB227_976
; %bb.973:                              ;   in Loop: Header=BB227_10 Depth=1
	v_and_b32_e32 v15, 7, v28
	v_lshrrev_b32_e32 v29, 3, v38
	s_mov_b32 s25, exec_lo
	v_cmpx_gt_u32_e32 8, v38
; %bb.974:                              ;   in Loop: Header=BB227_10 Depth=1
	v_ffbh_u32_e32 v29, v15
	v_min_u32_e32 v29, 32, v29
	v_subrev_nc_u32_e32 v38, 28, v29
	v_sub_nc_u32_e32 v29, 29, v29
	v_lshlrev_b64 v[38:39], v38, v[15:16]
	v_and_b32_e32 v15, 7, v38
; %bb.975:                              ;   in Loop: Header=BB227_10 Depth=1
	s_or_b32 exec_lo, exec_lo, s25
	v_lshlrev_b32_e32 v38, 24, v28
	v_lshlrev_b32_e32 v15, 20, v15
	v_lshl_add_u32 v29, v29, 23, 0x3c000000
	v_and_b32_e32 v38, 0x80000000, v38
	v_or3_b32 v15, v15, v38, v29
	v_mov_b32_e32 v69, v16
	v_mov_b32_e32 v68, v15
.LBB227_976:                            ;   in Loop: Header=BB227_10 Depth=1
	s_or_b32 exec_lo, exec_lo, s24
.LBB227_977:                            ;   in Loop: Header=BB227_10 Depth=1
	s_or_b32 exec_lo, exec_lo, s23
.LBB227_978:                            ;   in Loop: Header=BB227_10 Depth=1
	s_or_b32 exec_lo, exec_lo, s17
	v_cmp_ne_u16_sdwa s6, v28, v16 src0_sel:BYTE_1 src1_sel:DWORD
	s_and_saveexec_b32 s17, s6
	s_cbranch_execz .LBB227_986
; %bb.979:                              ;   in Loop: Header=BB227_10 Depth=1
	v_mov_b32_e32 v102, v16
	v_mov_b32_e32 v14, 0x80
	;; [unrolled: 1-line block ×3, first 2 shown]
	v_cmp_ne_u16_sdwa s6, v28, v14 src0_sel:BYTE_1 src1_sel:DWORD
	v_mov_b32_e32 v37, v103
	s_and_saveexec_b32 s23, s6
	s_cbranch_execz .LBB227_985
; %bb.980:                              ;   in Loop: Header=BB227_10 Depth=1
	s_clause 0x1
	buffer_load_dword v36, off, s[0:3], s32 offset:192
	buffer_load_dword v37, off, s[0:3], s32 offset:196
	v_mov_b32_e32 v14, 0xffff
	s_waitcnt vmcnt(1)
	v_mov_b32_e32 v36, v16
	s_mov_b32 s24, exec_lo
	v_and_b32_sdwa v15, v14, v28 dst_sel:DWORD dst_unused:UNUSED_PAD src0_sel:DWORD src1_sel:BYTE_1
	v_and_b32_e32 v38, 0x7f, v15
	s_waitcnt vmcnt(0)
	v_mov_b32_e32 v14, v37
	buffer_store_dword v13, off, s[0:3], s32 offset:192 ; 4-byte Folded Spill
	buffer_store_dword v14, off, s[0:3], s32 offset:196 ; 4-byte Folded Spill
	v_cmpx_ne_u32_e32 0x7f, v38
	s_cbranch_execz .LBB227_984
; %bb.981:                              ;   in Loop: Header=BB227_10 Depth=1
	v_and_b32_e32 v15, 7, v15
	v_lshrrev_b32_e32 v29, 3, v38
	s_mov_b32 s25, exec_lo
	v_cmpx_gt_u32_e32 8, v38
; %bb.982:                              ;   in Loop: Header=BB227_10 Depth=1
	v_ffbh_u32_e32 v29, v15
	v_min_u32_e32 v29, 32, v29
	v_subrev_nc_u32_e32 v36, 28, v29
	v_sub_nc_u32_e32 v29, 29, v29
	v_lshlrev_b64 v[36:37], v36, v[15:16]
	v_and_b32_e32 v15, 7, v36
; %bb.983:                              ;   in Loop: Header=BB227_10 Depth=1
	s_or_b32 exec_lo, exec_lo, s25
	v_lshlrev_b32_e32 v28, 16, v28
	v_lshlrev_b32_e32 v15, 20, v15
	v_lshl_add_u32 v29, v29, 23, 0x3c000000
	v_mov_b32_e32 v36, v16
	v_and_b32_e32 v28, 0x80000000, v28
	v_or3_b32 v37, v15, v28, v29
.LBB227_984:                            ;   in Loop: Header=BB227_10 Depth=1
	s_or_b32 exec_lo, exec_lo, s24
.LBB227_985:                            ;   in Loop: Header=BB227_10 Depth=1
	s_or_b32 exec_lo, exec_lo, s23
.LBB227_986:                            ;   in Loop: Header=BB227_10 Depth=1
	s_or_b32 exec_lo, exec_lo, s17
	buffer_load_dword v14, off, s[0:3], s32 offset:208 ; 4-byte Folded Reload
	v_mov_b32_e32 v38, 0
	v_mov_b32_e32 v39, 0
	s_waitcnt vmcnt(0)
	v_add_co_u32 v28, s6, v50, v14
	v_add_co_ci_u32_e64 v29, null, 0, v51, s6
	flat_load_ushort v15, v[28:29]
	v_mov_b32_e32 v28, 0
	v_mov_b32_e32 v29, 0
	s_waitcnt vmcnt(0) lgkmcnt(0)
	v_and_b32_e32 v54, 0xffff, v15
	v_cmp_ne_u16_sdwa s6, v15, v16 src0_sel:BYTE_0 src1_sel:DWORD
	s_and_saveexec_b32 s17, s6
	s_cbranch_execz .LBB227_994
; %bb.987:                              ;   in Loop: Header=BB227_10 Depth=1
	v_mov_b32_e32 v14, 0x80
	v_bfrev_b32_e32 v38, 1
	v_mov_b32_e32 v39, 0
	v_cmp_ne_u16_sdwa s6, v54, v14 src0_sel:BYTE_0 src1_sel:DWORD
	s_and_saveexec_b32 s23, s6
	s_cbranch_execz .LBB227_993
; %bb.988:                              ;   in Loop: Header=BB227_10 Depth=1
	v_mov_b32_e32 v38, 0x7f800001
	v_and_b32_e32 v52, 0x7f, v54
	v_mov_b32_e32 v39, 0
	s_mov_b32 s24, exec_lo
	v_cmpx_ne_u32_e32 0x7f, v52
	s_cbranch_execz .LBB227_992
; %bb.989:                              ;   in Loop: Header=BB227_10 Depth=1
	v_and_b32_e32 v15, 7, v54
	v_lshrrev_b32_e32 v38, 3, v52
	s_mov_b32 s25, exec_lo
	v_cmpx_gt_u32_e32 8, v52
; %bb.990:                              ;   in Loop: Header=BB227_10 Depth=1
	v_ffbh_u32_e32 v38, v15
	v_min_u32_e32 v38, 32, v38
	v_subrev_nc_u32_e32 v39, 28, v38
	v_sub_nc_u32_e32 v38, 29, v38
	v_lshlrev_b64 v[64:65], v39, v[15:16]
	v_and_b32_e32 v15, 7, v64
; %bb.991:                              ;   in Loop: Header=BB227_10 Depth=1
	s_or_b32 exec_lo, exec_lo, s25
	v_lshlrev_b32_e32 v39, 24, v54
	v_lshlrev_b32_e32 v15, 20, v15
	v_lshl_add_u32 v38, v38, 23, 0x3c000000
	v_and_b32_e32 v39, 0x80000000, v39
	v_or3_b32 v15, v15, v39, v38
	v_mov_b32_e32 v39, v16
	v_mov_b32_e32 v38, v15
.LBB227_992:                            ;   in Loop: Header=BB227_10 Depth=1
	s_or_b32 exec_lo, exec_lo, s24
.LBB227_993:                            ;   in Loop: Header=BB227_10 Depth=1
	s_or_b32 exec_lo, exec_lo, s23
.LBB227_994:                            ;   in Loop: Header=BB227_10 Depth=1
	s_or_b32 exec_lo, exec_lo, s17
	v_cmp_ne_u16_sdwa s6, v54, v16 src0_sel:BYTE_1 src1_sel:DWORD
	s_and_saveexec_b32 s17, s6
	s_cbranch_execz .LBB227_1002
; %bb.995:                              ;   in Loop: Header=BB227_10 Depth=1
	v_mov_b32_e32 v102, v16
	v_mov_b32_e32 v14, 0x80
	;; [unrolled: 1-line block ×3, first 2 shown]
	v_cmp_ne_u16_sdwa s6, v54, v14 src0_sel:BYTE_1 src1_sel:DWORD
	v_mov_b32_e32 v29, v103
	s_and_saveexec_b32 s23, s6
	s_cbranch_execz .LBB227_1001
; %bb.996:                              ;   in Loop: Header=BB227_10 Depth=1
	s_clause 0x1
	buffer_load_dword v28, off, s[0:3], s32 offset:192
	buffer_load_dword v29, off, s[0:3], s32 offset:196
	v_mov_b32_e32 v14, 0xffff
	s_waitcnt vmcnt(1)
	v_mov_b32_e32 v28, v16
	s_mov_b32 s24, exec_lo
	v_and_b32_sdwa v15, v14, v54 dst_sel:DWORD dst_unused:UNUSED_PAD src0_sel:DWORD src1_sel:BYTE_1
	v_and_b32_e32 v55, 0x7f, v15
	s_waitcnt vmcnt(0)
	v_mov_b32_e32 v14, v29
	buffer_store_dword v13, off, s[0:3], s32 offset:192 ; 4-byte Folded Spill
	buffer_store_dword v14, off, s[0:3], s32 offset:196 ; 4-byte Folded Spill
	v_cmpx_ne_u32_e32 0x7f, v55
	s_cbranch_execz .LBB227_1000
; %bb.997:                              ;   in Loop: Header=BB227_10 Depth=1
	v_and_b32_e32 v15, 7, v15
	v_lshrrev_b32_e32 v28, 3, v55
	s_mov_b32 s25, exec_lo
	v_cmpx_gt_u32_e32 8, v55
; %bb.998:                              ;   in Loop: Header=BB227_10 Depth=1
	v_ffbh_u32_e32 v28, v15
	v_min_u32_e32 v28, 32, v28
	v_subrev_nc_u32_e32 v29, 28, v28
	v_sub_nc_u32_e32 v28, 29, v28
	v_lshlrev_b64 v[64:65], v29, v[15:16]
	v_and_b32_e32 v15, 7, v64
; %bb.999:                              ;   in Loop: Header=BB227_10 Depth=1
	s_or_b32 exec_lo, exec_lo, s25
	v_lshlrev_b32_e32 v29, 16, v54
	v_lshlrev_b32_e32 v15, 20, v15
	v_lshl_add_u32 v28, v28, 23, 0x3c000000
	v_and_b32_e32 v29, 0x80000000, v29
	v_or3_b32 v29, v15, v29, v28
	v_mov_b32_e32 v28, v16
.LBB227_1000:                           ;   in Loop: Header=BB227_10 Depth=1
	s_or_b32 exec_lo, exec_lo, s24
.LBB227_1001:                           ;   in Loop: Header=BB227_10 Depth=1
	s_or_b32 exec_lo, exec_lo, s23
.LBB227_1002:                           ;   in Loop: Header=BB227_10 Depth=1
	s_or_b32 exec_lo, exec_lo, s17
	buffer_load_dword v14, off, s[0:3], s32 offset:212 ; 4-byte Folded Reload
	v_mov_b32_e32 v70, 0
	v_mov_b32_e32 v71, 0
	s_waitcnt vmcnt(0)
	v_add_co_u32 v54, s6, v50, v14
	v_add_co_ci_u32_e64 v55, null, 0, v51, s6
	flat_load_ushort v15, v[54:55]
	v_mov_b32_e32 v54, 0
	v_mov_b32_e32 v55, 0
	s_waitcnt vmcnt(0) lgkmcnt(0)
	v_and_b32_e32 v64, 0xffff, v15
	v_cmp_ne_u16_sdwa s6, v15, v16 src0_sel:BYTE_0 src1_sel:DWORD
	s_and_saveexec_b32 s17, s6
	s_cbranch_execz .LBB227_1010
; %bb.1003:                             ;   in Loop: Header=BB227_10 Depth=1
	v_mov_b32_e32 v14, 0x80
	v_bfrev_b32_e32 v54, 1
	v_mov_b32_e32 v55, 0
	v_cmp_ne_u16_sdwa s6, v64, v14 src0_sel:BYTE_0 src1_sel:DWORD
	s_and_saveexec_b32 s23, s6
	s_cbranch_execz .LBB227_1009
; %bb.1004:                             ;   in Loop: Header=BB227_10 Depth=1
	v_mov_b32_e32 v54, 0x7f800001
	v_and_b32_e32 v65, 0x7f, v64
	v_mov_b32_e32 v55, 0
	s_mov_b32 s24, exec_lo
	v_cmpx_ne_u32_e32 0x7f, v65
	s_cbranch_execz .LBB227_1008
; %bb.1005:                             ;   in Loop: Header=BB227_10 Depth=1
	v_and_b32_e32 v15, 7, v64
	v_lshrrev_b32_e32 v52, 3, v65
	s_mov_b32 s25, exec_lo
	v_cmpx_gt_u32_e32 8, v65
; %bb.1006:                             ;   in Loop: Header=BB227_10 Depth=1
	v_ffbh_u32_e32 v52, v15
	v_min_u32_e32 v52, 32, v52
	v_subrev_nc_u32_e32 v54, 28, v52
	v_sub_nc_u32_e32 v52, 29, v52
	v_lshlrev_b64 v[54:55], v54, v[15:16]
	v_and_b32_e32 v15, 7, v54
; %bb.1007:                             ;   in Loop: Header=BB227_10 Depth=1
	s_or_b32 exec_lo, exec_lo, s25
	v_lshlrev_b32_e32 v54, 24, v64
	v_lshlrev_b32_e32 v15, 20, v15
	v_lshl_add_u32 v52, v52, 23, 0x3c000000
	v_and_b32_e32 v54, 0x80000000, v54
	v_or3_b32 v15, v15, v54, v52
	v_mov_b32_e32 v55, v16
	v_mov_b32_e32 v54, v15
.LBB227_1008:                           ;   in Loop: Header=BB227_10 Depth=1
	s_or_b32 exec_lo, exec_lo, s24
.LBB227_1009:                           ;   in Loop: Header=BB227_10 Depth=1
	s_or_b32 exec_lo, exec_lo, s23
.LBB227_1010:                           ;   in Loop: Header=BB227_10 Depth=1
	s_or_b32 exec_lo, exec_lo, s17
	v_cmp_ne_u16_sdwa s6, v64, v16 src0_sel:BYTE_1 src1_sel:DWORD
	s_and_saveexec_b32 s17, s6
	s_cbranch_execz .LBB227_1018
; %bb.1011:                             ;   in Loop: Header=BB227_10 Depth=1
	v_mov_b32_e32 v102, v16
	v_mov_b32_e32 v14, 0x80
	;; [unrolled: 1-line block ×3, first 2 shown]
	v_cmp_ne_u16_sdwa s6, v64, v14 src0_sel:BYTE_1 src1_sel:DWORD
	v_mov_b32_e32 v71, v103
	s_and_saveexec_b32 s23, s6
	s_cbranch_execz .LBB227_1017
; %bb.1012:                             ;   in Loop: Header=BB227_10 Depth=1
	s_clause 0x1
	buffer_load_dword v70, off, s[0:3], s32 offset:192
	buffer_load_dword v71, off, s[0:3], s32 offset:196
	v_mov_b32_e32 v14, 0xffff
	s_waitcnt vmcnt(1)
	v_mov_b32_e32 v70, v16
	s_mov_b32 s24, exec_lo
	v_and_b32_sdwa v15, v14, v64 dst_sel:DWORD dst_unused:UNUSED_PAD src0_sel:DWORD src1_sel:BYTE_1
	v_and_b32_e32 v65, 0x7f, v15
	s_waitcnt vmcnt(0)
	v_mov_b32_e32 v14, v71
	buffer_store_dword v13, off, s[0:3], s32 offset:192 ; 4-byte Folded Spill
	buffer_store_dword v14, off, s[0:3], s32 offset:196 ; 4-byte Folded Spill
	v_cmpx_ne_u32_e32 0x7f, v65
	s_cbranch_execz .LBB227_1016
; %bb.1013:                             ;   in Loop: Header=BB227_10 Depth=1
	v_and_b32_e32 v15, 7, v15
	v_lshrrev_b32_e32 v52, 3, v65
	s_mov_b32 s25, exec_lo
	v_cmpx_gt_u32_e32 8, v65
; %bb.1014:                             ;   in Loop: Header=BB227_10 Depth=1
	v_ffbh_u32_e32 v52, v15
	v_min_u32_e32 v52, 32, v52
	v_subrev_nc_u32_e32 v65, 28, v52
	v_sub_nc_u32_e32 v52, 29, v52
	v_lshlrev_b64 v[70:71], v65, v[15:16]
	v_and_b32_e32 v15, 7, v70
; %bb.1015:                             ;   in Loop: Header=BB227_10 Depth=1
	s_or_b32 exec_lo, exec_lo, s25
	v_lshlrev_b32_e32 v64, 16, v64
	v_lshlrev_b32_e32 v15, 20, v15
	v_lshl_add_u32 v52, v52, 23, 0x3c000000
	v_mov_b32_e32 v70, v16
	v_and_b32_e32 v64, 0x80000000, v64
	v_or3_b32 v71, v15, v64, v52
.LBB227_1016:                           ;   in Loop: Header=BB227_10 Depth=1
	s_or_b32 exec_lo, exec_lo, s24
.LBB227_1017:                           ;   in Loop: Header=BB227_10 Depth=1
	s_or_b32 exec_lo, exec_lo, s23
.LBB227_1018:                           ;   in Loop: Header=BB227_10 Depth=1
	s_or_b32 exec_lo, exec_lo, s17
	buffer_load_dword v14, off, s[0:3], s32 offset:216 ; 4-byte Folded Reload
	v_mov_b32_e32 v64, 0
	v_mov_b32_e32 v65, 0
	s_waitcnt vmcnt(0)
	v_add_co_u32 v50, s6, v50, v14
	v_add_co_ci_u32_e64 v51, null, 0, v51, s6
	flat_load_ushort v15, v[50:51]
	v_mov_b32_e32 v50, 0
	v_mov_b32_e32 v51, 0
	s_waitcnt vmcnt(0) lgkmcnt(0)
	v_and_b32_e32 v67, 0xffff, v15
	v_cmp_ne_u16_sdwa s6, v15, v16 src0_sel:BYTE_0 src1_sel:DWORD
	s_and_saveexec_b32 s17, s6
	s_cbranch_execz .LBB227_1026
; %bb.1019:                             ;   in Loop: Header=BB227_10 Depth=1
	v_mov_b32_e32 v14, 0x80
	v_bfrev_b32_e32 v50, 1
	v_mov_b32_e32 v51, 0
	v_cmp_ne_u16_sdwa s6, v67, v14 src0_sel:BYTE_0 src1_sel:DWORD
	s_and_saveexec_b32 s23, s6
	s_cbranch_execz .LBB227_1025
; %bb.1020:                             ;   in Loop: Header=BB227_10 Depth=1
	v_mov_b32_e32 v50, 0x7f800001
	v_and_b32_e32 v52, 0x7f, v67
	v_mov_b32_e32 v51, 0
	s_mov_b32 s24, exec_lo
	v_cmpx_ne_u32_e32 0x7f, v52
	s_cbranch_execz .LBB227_1024
; %bb.1021:                             ;   in Loop: Header=BB227_10 Depth=1
	v_and_b32_e32 v15, 7, v67
	v_lshrrev_b32_e32 v50, 3, v52
	s_mov_b32 s25, exec_lo
	v_cmpx_gt_u32_e32 8, v52
; %bb.1022:                             ;   in Loop: Header=BB227_10 Depth=1
	v_ffbh_u32_e32 v50, v15
	v_min_u32_e32 v50, 32, v50
	v_subrev_nc_u32_e32 v51, 28, v50
	v_sub_nc_u32_e32 v50, 29, v50
	v_lshlrev_b64 v[51:52], v51, v[15:16]
	v_and_b32_e32 v15, 7, v51
; %bb.1023:                             ;   in Loop: Header=BB227_10 Depth=1
	s_or_b32 exec_lo, exec_lo, s25
	v_lshlrev_b32_e32 v51, 24, v67
	v_lshlrev_b32_e32 v15, 20, v15
	v_lshl_add_u32 v50, v50, 23, 0x3c000000
	v_and_b32_e32 v51, 0x80000000, v51
	v_or3_b32 v15, v15, v51, v50
	v_mov_b32_e32 v51, v16
	v_mov_b32_e32 v50, v15
.LBB227_1024:                           ;   in Loop: Header=BB227_10 Depth=1
	s_or_b32 exec_lo, exec_lo, s24
.LBB227_1025:                           ;   in Loop: Header=BB227_10 Depth=1
	s_or_b32 exec_lo, exec_lo, s23
.LBB227_1026:                           ;   in Loop: Header=BB227_10 Depth=1
	s_or_b32 exec_lo, exec_lo, s17
	v_mov_b32_e32 v12, v82
	v_mov_b32_e32 v13, v83
	v_cmp_ne_u16_sdwa s6, v67, v16 src0_sel:BYTE_1 src1_sel:DWORD
	s_and_saveexec_b32 s17, s6
	s_cbranch_execz .LBB227_1034
; %bb.1027:                             ;   in Loop: Header=BB227_10 Depth=1
	v_mov_b32_e32 v102, v16
	v_mov_b32_e32 v14, 0x80
	;; [unrolled: 1-line block ×3, first 2 shown]
	v_cmp_ne_u16_sdwa s6, v67, v14 src0_sel:BYTE_1 src1_sel:DWORD
	v_mov_b32_e32 v65, v103
	s_and_saveexec_b32 s23, s6
	s_cbranch_execz .LBB227_1033
; %bb.1028:                             ;   in Loop: Header=BB227_10 Depth=1
	s_clause 0x1
	buffer_load_dword v64, off, s[0:3], s32 offset:192
	buffer_load_dword v65, off, s[0:3], s32 offset:196
	v_mov_b32_e32 v14, 0xffff
	s_waitcnt vmcnt(1)
	v_mov_b32_e32 v64, v16
	s_mov_b32 s24, exec_lo
	v_and_b32_sdwa v15, v14, v67 dst_sel:DWORD dst_unused:UNUSED_PAD src0_sel:DWORD src1_sel:BYTE_1
	v_and_b32_e32 v82, 0x7f, v15
	s_waitcnt vmcnt(0)
	v_mov_b32_e32 v14, v65
	buffer_store_dword v13, off, s[0:3], s32 offset:192 ; 4-byte Folded Spill
	buffer_store_dword v14, off, s[0:3], s32 offset:196 ; 4-byte Folded Spill
	v_cmpx_ne_u32_e32 0x7f, v82
	s_cbranch_execz .LBB227_1032
; %bb.1029:                             ;   in Loop: Header=BB227_10 Depth=1
	v_and_b32_e32 v15, 7, v15
	v_lshrrev_b32_e32 v52, 3, v82
	s_mov_b32 s25, exec_lo
	v_cmpx_gt_u32_e32 8, v82
; %bb.1030:                             ;   in Loop: Header=BB227_10 Depth=1
	v_ffbh_u32_e32 v52, v15
	v_min_u32_e32 v52, 32, v52
	v_subrev_nc_u32_e32 v64, 28, v52
	v_sub_nc_u32_e32 v52, 29, v52
	v_lshlrev_b64 v[64:65], v64, v[15:16]
	v_and_b32_e32 v15, 7, v64
; %bb.1031:                             ;   in Loop: Header=BB227_10 Depth=1
	s_or_b32 exec_lo, exec_lo, s25
	v_lshlrev_b32_e32 v64, 16, v67
	v_lshlrev_b32_e32 v15, 20, v15
	v_lshl_add_u32 v52, v52, 23, 0x3c000000
	v_and_b32_e32 v64, 0x80000000, v64
	v_or3_b32 v65, v15, v64, v52
	v_mov_b32_e32 v64, v16
.LBB227_1032:                           ;   in Loop: Header=BB227_10 Depth=1
	s_or_b32 exec_lo, exec_lo, s24
.LBB227_1033:                           ;   in Loop: Header=BB227_10 Depth=1
	s_or_b32 exec_lo, exec_lo, s23
.LBB227_1034:                           ;   in Loop: Header=BB227_10 Depth=1
	s_or_b32 exec_lo, exec_lo, s17
	v_or_b32_e32 v14, v71, v55
	v_or_b32_e32 v52, v26, v49
	v_or_b32_e32 v26, v17, v80
	v_or_b32_e32 v15, v8, v10
	v_or_b32_e32 v10, v45, v5
	buffer_store_dword v14, off, s[0:3], s32 offset:824 ; 4-byte Folded Spill
	v_or_b32_e32 v14, v70, v54
	v_or_b32_e32 v85, v113, v85
	v_or_b32_e32 v84, v112, v84
	v_or_b32_e32 v71, v57, v115
	v_or_b32_e32 v82, v56, v114
	buffer_store_dword v14, off, s[0:3], s32 offset:828 ; 4-byte Folded Spill
	;; [unrolled: 6-line block ×3, first 2 shown]
	v_or_b32_e32 v14, v28, v38
	buffer_store_dword v0, off, s[0:3], s32 offset:856 ; 4-byte Folded Spill
	v_or_b32_e32 v0, v126, v21
	v_or_b32_e32 v28, v18, v81
	v_or_b32_e32 v70, v60, v118
	buffer_store_dword v14, off, s[0:3], s32 offset:836 ; 4-byte Folded Spill
	v_or_b32_e32 v14, v37, v69
	buffer_store_dword v0, off, s[0:3], s32 offset:860 ; 4-byte Folded Spill
	v_or_b32_e32 v0, v123, v7
	v_or_b32_e32 v37, v25, v48
	v_or_b32_e32 v25, v9, v11
	buffer_store_dword v14, off, s[0:3], s32 offset:840 ; 4-byte Folded Spill
	;; [unrolled: 6-line block ×4, first 2 shown]
	v_or_b32_e32 v14, v30, v34
	v_or_b32_e32 v30, v1, v24
	;; [unrolled: 1-line block ×5, first 2 shown]
	buffer_store_dword v14, off, s[0:3], s32 offset:852 ; 4-byte Folded Spill
	s_clause 0x1
	buffer_load_dword v0, off, s[0:3], s32 offset:788
	buffer_load_dword v1, off, s[0:3], s32 offset:792
	v_or_b32_e32 v6, v44, v4
	v_or_b32_e32 v54, v77, v47
	;; [unrolled: 1-line block ×18, first 2 shown]
	s_waitcnt vmcnt(1)
	v_or_b32_e32 v80, v98, v0
	s_waitcnt vmcnt(0)
	v_or_b32_e32 v81, v99, v1
	s_clause 0x1
	buffer_load_dword v0, off, s[0:3], s32 offset:780
	buffer_load_dword v1, off, s[0:3], s32 offset:784
	s_waitcnt vmcnt(1)
	v_or_b32_e32 v5, v86, v0
	s_waitcnt vmcnt(0)
	v_or_b32_e32 v98, v87, v1
	s_clause 0x3
	buffer_load_dword v0, off, s[0:3], s32 offset:764
	buffer_load_dword v1, off, s[0:3], s32 offset:768
	buffer_load_dword v2, off, s[0:3], s32 offset:772
	buffer_load_dword v3, off, s[0:3], s32 offset:776
	s_waitcnt vmcnt(1)
	v_or_b32_e32 v11, v2, v0
	s_waitcnt vmcnt(0)
	v_or_b32_e32 v86, v3, v1
	s_clause 0x3
	buffer_load_dword v0, off, s[0:3], s32 offset:748
	buffer_load_dword v1, off, s[0:3], s32 offset:752
	buffer_load_dword v2, off, s[0:3], s32 offset:756
	buffer_load_dword v3, off, s[0:3], s32 offset:760
	s_waitcnt vmcnt(1)
	v_or_b32_e32 v19, v2, v0
	s_waitcnt vmcnt(0)
	v_or_b32_e32 v102, v3, v1
	s_clause 0x3
	buffer_load_dword v0, off, s[0:3], s32 offset:732
	buffer_load_dword v1, off, s[0:3], s32 offset:736
	buffer_load_dword v2, off, s[0:3], s32 offset:740
	buffer_load_dword v3, off, s[0:3], s32 offset:744
	s_waitcnt vmcnt(1)
	v_or_b32_e32 v113, v2, v0
	s_waitcnt vmcnt(0)
	v_or_b32_e32 v112, v3, v1
	s_clause 0x3
	buffer_load_dword v0, off, s[0:3], s32 offset:716
	buffer_load_dword v1, off, s[0:3], s32 offset:720
	buffer_load_dword v2, off, s[0:3], s32 offset:724
	buffer_load_dword v3, off, s[0:3], s32 offset:728
	s_waitcnt vmcnt(1)
	v_or_b32_e32 v115, v2, v0
	s_waitcnt vmcnt(0)
	v_or_b32_e32 v114, v3, v1
	s_clause 0x3
	buffer_load_dword v0, off, s[0:3], s32 offset:700
	buffer_load_dword v1, off, s[0:3], s32 offset:704
	buffer_load_dword v2, off, s[0:3], s32 offset:708
	buffer_load_dword v3, off, s[0:3], s32 offset:712
	s_waitcnt vmcnt(1)
	v_or_b32_e32 v117, v2, v0
	s_waitcnt vmcnt(0)
	v_or_b32_e32 v116, v3, v1
	s_clause 0x3
	buffer_load_dword v0, off, s[0:3], s32 offset:684
	buffer_load_dword v1, off, s[0:3], s32 offset:688
	buffer_load_dword v2, off, s[0:3], s32 offset:692
	buffer_load_dword v3, off, s[0:3], s32 offset:696
	s_waitcnt vmcnt(1)
	v_or_b32_e32 v119, v2, v0
	s_waitcnt vmcnt(0)
	v_or_b32_e32 v118, v3, v1
	s_clause 0x3
	buffer_load_dword v0, off, s[0:3], s32 offset:668
	buffer_load_dword v1, off, s[0:3], s32 offset:672
	buffer_load_dword v2, off, s[0:3], s32 offset:676
	buffer_load_dword v3, off, s[0:3], s32 offset:680
	s_waitcnt vmcnt(1)
	v_or_b32_e32 v41, v2, v0
	s_waitcnt vmcnt(0)
	v_or_b32_e32 v40, v3, v1
	s_clause 0x3
	buffer_load_dword v0, off, s[0:3], s32 offset:652
	buffer_load_dword v1, off, s[0:3], s32 offset:656
	buffer_load_dword v2, off, s[0:3], s32 offset:660
	buffer_load_dword v3, off, s[0:3], s32 offset:664
	s_waitcnt vmcnt(1)
	v_or_b32_e32 v43, v2, v0
	s_waitcnt vmcnt(0)
	v_or_b32_e32 v42, v3, v1
	s_clause 0x3
	buffer_load_dword v0, off, s[0:3], s32 offset:636
	buffer_load_dword v1, off, s[0:3], s32 offset:640
	buffer_load_dword v2, off, s[0:3], s32 offset:644
	buffer_load_dword v3, off, s[0:3], s32 offset:648
	s_waitcnt vmcnt(1)
	v_or_b32_e32 v45, v2, v0
	s_waitcnt vmcnt(0)
	v_or_b32_e32 v44, v3, v1
	s_clause 0x3
	buffer_load_dword v0, off, s[0:3], s32 offset:620
	buffer_load_dword v1, off, s[0:3], s32 offset:624
	buffer_load_dword v2, off, s[0:3], s32 offset:628
	buffer_load_dword v3, off, s[0:3], s32 offset:632
	s_waitcnt vmcnt(1)
	v_or_b32_e32 v47, v2, v0
	s_waitcnt vmcnt(0)
	v_or_b32_e32 v46, v3, v1
	s_clause 0x3
	buffer_load_dword v0, off, s[0:3], s32 offset:604
	buffer_load_dword v1, off, s[0:3], s32 offset:608
	buffer_load_dword v2, off, s[0:3], s32 offset:612
	buffer_load_dword v3, off, s[0:3], s32 offset:616
	s_waitcnt vmcnt(1)
	v_or_b32_e32 v57, v2, v0
	s_waitcnt vmcnt(0)
	v_or_b32_e32 v56, v3, v1
	s_clause 0x3
	buffer_load_dword v0, off, s[0:3], s32 offset:588
	buffer_load_dword v1, off, s[0:3], s32 offset:592
	buffer_load_dword v2, off, s[0:3], s32 offset:596
	buffer_load_dword v3, off, s[0:3], s32 offset:600
	s_waitcnt vmcnt(1)
	v_or_b32_e32 v59, v2, v0
	s_waitcnt vmcnt(0)
	v_or_b32_e32 v58, v3, v1
	s_clause 0x3
	buffer_load_dword v0, off, s[0:3], s32 offset:572
	buffer_load_dword v1, off, s[0:3], s32 offset:576
	buffer_load_dword v2, off, s[0:3], s32 offset:580
	buffer_load_dword v3, off, s[0:3], s32 offset:584
	s_waitcnt vmcnt(1)
	v_or_b32_e32 v61, v2, v0
	s_waitcnt vmcnt(0)
	v_or_b32_e32 v60, v3, v1
	s_clause 0x3
	buffer_load_dword v0, off, s[0:3], s32 offset:556
	buffer_load_dword v1, off, s[0:3], s32 offset:560
	buffer_load_dword v2, off, s[0:3], s32 offset:564
	buffer_load_dword v3, off, s[0:3], s32 offset:568
	s_waitcnt vmcnt(1)
	v_or_b32_e32 v63, v2, v0
	s_waitcnt vmcnt(0)
	v_or_b32_e32 v62, v3, v1
	s_clause 0x3
	buffer_load_dword v0, off, s[0:3], s32 offset:540
	buffer_load_dword v1, off, s[0:3], s32 offset:544
	buffer_load_dword v2, off, s[0:3], s32 offset:548
	buffer_load_dword v3, off, s[0:3], s32 offset:552
	s_waitcnt vmcnt(1)
	v_or_b32_e32 v73, v2, v0
	s_waitcnt vmcnt(0)
	v_or_b32_e32 v72, v3, v1
	s_clause 0x3
	buffer_load_dword v0, off, s[0:3], s32 offset:524
	buffer_load_dword v1, off, s[0:3], s32 offset:528
	buffer_load_dword v2, off, s[0:3], s32 offset:532
	buffer_load_dword v3, off, s[0:3], s32 offset:536
	s_waitcnt vmcnt(1)
	v_or_b32_e32 v75, v2, v0
	s_waitcnt vmcnt(0)
	v_or_b32_e32 v74, v3, v1
	s_clause 0x3
	buffer_load_dword v0, off, s[0:3], s32 offset:508
	buffer_load_dword v1, off, s[0:3], s32 offset:512
	buffer_load_dword v2, off, s[0:3], s32 offset:516
	buffer_load_dword v3, off, s[0:3], s32 offset:520
	s_waitcnt vmcnt(1)
	v_or_b32_e32 v77, v2, v0
	s_waitcnt vmcnt(0)
	v_or_b32_e32 v76, v3, v1
	s_clause 0x3
	buffer_load_dword v0, off, s[0:3], s32 offset:492
	buffer_load_dword v1, off, s[0:3], s32 offset:496
	buffer_load_dword v2, off, s[0:3], s32 offset:500
	buffer_load_dword v3, off, s[0:3], s32 offset:504
	s_waitcnt vmcnt(1)
	v_or_b32_e32 v79, v2, v0
	s_waitcnt vmcnt(0)
	v_or_b32_e32 v78, v3, v1
	s_clause 0x3
	buffer_load_dword v0, off, s[0:3], s32 offset:476
	buffer_load_dword v1, off, s[0:3], s32 offset:480
	buffer_load_dword v2, off, s[0:3], s32 offset:484
	buffer_load_dword v3, off, s[0:3], s32 offset:488
	s_waitcnt vmcnt(1)
	v_or_b32_e32 v89, v2, v0
	s_waitcnt vmcnt(0)
	v_or_b32_e32 v88, v3, v1
	s_clause 0x3
	buffer_load_dword v0, off, s[0:3], s32 offset:460
	buffer_load_dword v1, off, s[0:3], s32 offset:464
	buffer_load_dword v2, off, s[0:3], s32 offset:468
	buffer_load_dword v3, off, s[0:3], s32 offset:472
	s_waitcnt vmcnt(1)
	v_or_b32_e32 v91, v2, v0
	s_waitcnt vmcnt(0)
	v_or_b32_e32 v90, v3, v1
	s_clause 0x3
	buffer_load_dword v0, off, s[0:3], s32 offset:444
	buffer_load_dword v1, off, s[0:3], s32 offset:448
	buffer_load_dword v2, off, s[0:3], s32 offset:452
	buffer_load_dword v3, off, s[0:3], s32 offset:456
	s_waitcnt vmcnt(1)
	v_or_b32_e32 v93, v2, v0
	s_waitcnt vmcnt(0)
	v_or_b32_e32 v92, v3, v1
	s_clause 0x3
	buffer_load_dword v0, off, s[0:3], s32 offset:428
	buffer_load_dword v1, off, s[0:3], s32 offset:432
	buffer_load_dword v2, off, s[0:3], s32 offset:436
	buffer_load_dword v3, off, s[0:3], s32 offset:440
	s_waitcnt vmcnt(1)
	v_or_b32_e32 v95, v2, v0
	s_waitcnt vmcnt(0)
	v_or_b32_e32 v94, v3, v1
	s_clause 0x3
	buffer_load_dword v0, off, s[0:3], s32 offset:412
	buffer_load_dword v1, off, s[0:3], s32 offset:416
	buffer_load_dword v2, off, s[0:3], s32 offset:420
	buffer_load_dword v3, off, s[0:3], s32 offset:424
	s_waitcnt vmcnt(1)
	v_or_b32_e32 v105, v2, v0
	s_waitcnt vmcnt(0)
	v_or_b32_e32 v104, v3, v1
	s_clause 0x3
	buffer_load_dword v0, off, s[0:3], s32 offset:396
	buffer_load_dword v1, off, s[0:3], s32 offset:400
	buffer_load_dword v2, off, s[0:3], s32 offset:404
	buffer_load_dword v3, off, s[0:3], s32 offset:408
	s_waitcnt vmcnt(1)
	v_or_b32_e32 v107, v2, v0
	s_waitcnt vmcnt(0)
	v_or_b32_e32 v106, v3, v1
	s_clause 0x3
	buffer_load_dword v0, off, s[0:3], s32 offset:380
	buffer_load_dword v1, off, s[0:3], s32 offset:384
	buffer_load_dword v2, off, s[0:3], s32 offset:388
	buffer_load_dword v3, off, s[0:3], s32 offset:392
	s_waitcnt vmcnt(1)
	v_or_b32_e32 v109, v2, v0
	s_waitcnt vmcnt(0)
	v_or_b32_e32 v108, v3, v1
	s_clause 0x3
	buffer_load_dword v0, off, s[0:3], s32 offset:364
	buffer_load_dword v1, off, s[0:3], s32 offset:368
	buffer_load_dword v2, off, s[0:3], s32 offset:372
	buffer_load_dword v3, off, s[0:3], s32 offset:376
	s_waitcnt vmcnt(1)
	v_or_b32_e32 v111, v2, v0
	s_waitcnt vmcnt(0)
	v_or_b32_e32 v110, v3, v1
	s_clause 0x3
	buffer_load_dword v0, off, s[0:3], s32 offset:348
	buffer_load_dword v1, off, s[0:3], s32 offset:352
	buffer_load_dword v2, off, s[0:3], s32 offset:356
	buffer_load_dword v3, off, s[0:3], s32 offset:360
	s_waitcnt vmcnt(1)
	v_or_b32_e32 v121, v2, v0
	s_waitcnt vmcnt(0)
	v_or_b32_e32 v120, v3, v1
	s_clause 0x3
	buffer_load_dword v0, off, s[0:3], s32 offset:332
	buffer_load_dword v1, off, s[0:3], s32 offset:336
	buffer_load_dword v2, off, s[0:3], s32 offset:340
	buffer_load_dword v3, off, s[0:3], s32 offset:344
	s_waitcnt vmcnt(1)
	v_or_b32_e32 v123, v2, v0
	s_waitcnt vmcnt(0)
	v_or_b32_e32 v122, v3, v1
	s_clause 0x3
	buffer_load_dword v0, off, s[0:3], s32 offset:316
	buffer_load_dword v1, off, s[0:3], s32 offset:320
	buffer_load_dword v2, off, s[0:3], s32 offset:324
	buffer_load_dword v3, off, s[0:3], s32 offset:328
	s_waitcnt vmcnt(1)
	v_or_b32_e32 v125, v2, v0
	s_waitcnt vmcnt(0)
	v_or_b32_e32 v124, v3, v1
	s_clause 0x3
	buffer_load_dword v0, off, s[0:3], s32 offset:300
	buffer_load_dword v1, off, s[0:3], s32 offset:304
	buffer_load_dword v2, off, s[0:3], s32 offset:308
	buffer_load_dword v3, off, s[0:3], s32 offset:312
	s_waitcnt vmcnt(1)
	v_or_b32_e32 v127, v2, v0
	s_waitcnt vmcnt(0)
	v_or_b32_e32 v126, v3, v1
	s_clause 0x3
	buffer_load_dword v0, off, s[0:3], s32 offset:284
	buffer_load_dword v1, off, s[0:3], s32 offset:288
	buffer_load_dword v2, off, s[0:3], s32 offset:292
	buffer_load_dword v3, off, s[0:3], s32 offset:296
	s_waitcnt vmcnt(1)
	v_or_b32_e32 v18, v2, v0
	s_waitcnt vmcnt(0)
	v_or_b32_e32 v17, v3, v1
	s_clause 0x3
	buffer_load_dword v0, off, s[0:3], s32 offset:268
	buffer_load_dword v1, off, s[0:3], s32 offset:272
	buffer_load_dword v2, off, s[0:3], s32 offset:276
	buffer_load_dword v3, off, s[0:3], s32 offset:280
	s_waitcnt vmcnt(1)
	v_or_b32_e32 v14, v2, v0
	s_waitcnt vmcnt(0)
	v_or_b32_e32 v27, v3, v1
	s_clause 0x3
	buffer_load_dword v0, off, s[0:3], s32 offset:252
	buffer_load_dword v1, off, s[0:3], s32 offset:256
	buffer_load_dword v2, off, s[0:3], s32 offset:260
	buffer_load_dword v3, off, s[0:3], s32 offset:264
	s_waitcnt vmcnt(1)
	v_or_b32_e32 v53, v2, v0
	s_waitcnt vmcnt(0)
	v_or_b32_e32 v99, v3, v1
	s_clause 0x3
	buffer_load_dword v2, off, s[0:3], s32 offset:236
	buffer_load_dword v3, off, s[0:3], s32 offset:240
	buffer_load_dword v0, off, s[0:3], s32 offset:244
	buffer_load_dword v1, off, s[0:3], s32 offset:248
	s_waitcnt vmcnt(1)
	v_or_b32_e32 v20, v0, v2
	s_waitcnt vmcnt(0)
	v_or_b32_e32 v22, v1, v3
	s_clause 0x1
	buffer_load_dword v2, off, s[0:3], s32 offset:228
	buffer_load_dword v3, off, s[0:3], s32 offset:232
	v_mul_f32_e32 v20, v66, v20
	s_waitcnt vmcnt(1)
	v_or_b32_e32 v87, v2, v12
	s_waitcnt vmcnt(0)
	v_or_b32_e32 v83, v3, v13
	s_clause 0x3
	buffer_load_dword v0, off, s[0:3], s32 offset:892
	buffer_load_dword v1, off, s[0:3], s32 offset:896
	;; [unrolled: 1-line block ×4, first 2 shown]
	v_mul_f32_e32 v65, v66, v87
	s_waitcnt vmcnt(1)
	v_mul_f32_e32 v50, v2, v20
	v_mul_f32_e32 v20, v66, v22
	v_mul_f32_e32 v22, v66, v83
	v_fmac_f32_e32 v50, v0, v65
	s_waitcnt vmcnt(0)
	v_mul_f32_e32 v65, v3, v20
	v_mul_f32_e32 v20, v66, v53
	v_fmac_f32_e32 v65, v1, v22
	s_clause 0x3
	buffer_load_dword v0, off, s[0:3], s32 offset:908
	buffer_load_dword v1, off, s[0:3], s32 offset:912
	;; [unrolled: 1-line block ×4, first 2 shown]
	s_waitcnt vmcnt(3)
	v_fmac_f32_e32 v50, v0, v20
	v_mul_f32_e32 v0, v66, v99
	s_waitcnt vmcnt(2)
	v_fmac_f32_e32 v65, v1, v0
	v_mul_f32_e32 v0, v66, v14
	s_waitcnt vmcnt(1)
	v_fmac_f32_e32 v50, v2, v0
	v_mul_f32_e32 v0, v66, v27
	s_waitcnt vmcnt(0)
	v_fmac_f32_e32 v65, v3, v0
	s_clause 0x3
	buffer_load_dword v1, off, s[0:3], s32 offset:924
	buffer_load_dword v2, off, s[0:3], s32 offset:928
	buffer_load_dword v3, off, s[0:3], s32 offset:932
	buffer_load_dword v4, off, s[0:3], s32 offset:936
	v_mul_f32_e32 v0, v66, v18
	s_waitcnt vmcnt(3)
	v_fmac_f32_e32 v50, v1, v0
	v_mul_f32_e32 v0, v66, v17
	s_waitcnt vmcnt(2)
	v_fmac_f32_e32 v65, v2, v0
	v_mul_f32_e32 v0, v66, v127
	s_waitcnt vmcnt(1)
	v_fmac_f32_e32 v50, v3, v0
	v_mul_f32_e32 v0, v66, v126
	s_waitcnt vmcnt(0)
	v_fmac_f32_e32 v65, v4, v0
	s_clause 0x3
	buffer_load_dword v1, off, s[0:3], s32 offset:940
	buffer_load_dword v2, off, s[0:3], s32 offset:944
	buffer_load_dword v3, off, s[0:3], s32 offset:948
	buffer_load_dword v4, off, s[0:3], s32 offset:952
	v_mul_f32_e32 v0, v66, v125
	;; [unrolled: 17-line block ×24, first 2 shown]
	s_waitcnt vmcnt(3)
	v_fmac_f32_e32 v50, v1, v0
	v_mul_f32_e32 v0, v66, v21
	s_waitcnt vmcnt(2)
	v_fmac_f32_e32 v65, v2, v0
	v_mul_f32_e32 v0, v66, v8
	s_waitcnt vmcnt(1)
	v_fmac_f32_e32 v50, v3, v0
	buffer_load_dword v0, off, s[0:3], s32 offset:868 ; 4-byte Folded Reload
	s_waitcnt vmcnt(0)
	v_mul_f32_e32 v0, v66, v0
	v_fmac_f32_e32 v65, v4, v0
	s_clause 0x3
	buffer_load_dword v1, off, s[0:3], s32 offset:1312
	buffer_load_dword v2, off, s[0:3], s32 offset:1316
	;; [unrolled: 1-line block ×4, first 2 shown]
	v_mul_f32_e32 v0, v66, v9
	s_waitcnt vmcnt(3)
	v_fmac_f32_e32 v50, v1, v0
	buffer_load_dword v0, off, s[0:3], s32 offset:864 ; 4-byte Folded Reload
	s_waitcnt vmcnt(0)
	v_mul_f32_e32 v0, v66, v0
	v_fmac_f32_e32 v65, v2, v0
	buffer_load_dword v0, off, s[0:3], s32 offset:860 ; 4-byte Folded Reload
	s_waitcnt vmcnt(0)
	v_mul_f32_e32 v0, v66, v0
	;; [unrolled: 4-line block ×3, first 2 shown]
	v_fmac_f32_e32 v65, v4, v0
	s_clause 0x3
	buffer_load_dword v1, off, s[0:3], s32 offset:1328
	buffer_load_dword v2, off, s[0:3], s32 offset:1332
	;; [unrolled: 1-line block ×4, first 2 shown]
	v_mul_f32_e32 v0, v66, v15
	s_waitcnt vmcnt(3)
	v_fmac_f32_e32 v50, v1, v0
	v_mul_f32_e32 v0, v66, v25
	s_waitcnt vmcnt(2)
	v_fmac_f32_e32 v65, v2, v0
	;; [unrolled: 3-line block ×4, first 2 shown]
	s_clause 0x3
	buffer_load_dword v1, off, s[0:3], s32 offset:1344
	buffer_load_dword v2, off, s[0:3], s32 offset:1348
	;; [unrolled: 1-line block ×4, first 2 shown]
	v_mul_f32_e32 v0, v66, v29
	s_waitcnt vmcnt(3)
	v_fmac_f32_e32 v50, v1, v0
	v_mul_f32_e32 v0, v66, v30
	s_waitcnt vmcnt(2)
	v_fmac_f32_e32 v65, v2, v0
	v_mul_f32_e32 v0, v66, v31
	s_waitcnt vmcnt(1)
	v_fmac_f32_e32 v50, v3, v0
	v_mul_f32_e32 v0, v66, v36
	s_waitcnt vmcnt(0)
	v_fmac_f32_e32 v65, v4, v0
	s_clause 0x3
	buffer_load_dword v1, off, s[0:3], s32 offset:1360
	buffer_load_dword v2, off, s[0:3], s32 offset:1364
	;; [unrolled: 1-line block ×4, first 2 shown]
	v_mul_f32_e32 v0, v66, v37
	s_waitcnt vmcnt(3)
	v_fmac_f32_e32 v50, v1, v0
	v_mul_f32_e32 v0, v66, v52
	s_waitcnt vmcnt(2)
	v_fmac_f32_e32 v65, v2, v0
	buffer_load_dword v0, off, s[0:3], s32 offset:852 ; 4-byte Folded Reload
	s_waitcnt vmcnt(0)
	v_mul_f32_e32 v0, v66, v0
	v_fmac_f32_e32 v50, v3, v0
	buffer_load_dword v0, off, s[0:3], s32 offset:848 ; 4-byte Folded Reload
	s_waitcnt vmcnt(0)
	v_mul_f32_e32 v0, v66, v0
	v_fmac_f32_e32 v65, v4, v0
	s_clause 0x4
	buffer_load_dword v0, off, s[0:3], s32 offset:844
	buffer_load_dword v1, off, s[0:3], s32 offset:1376
	;; [unrolled: 1-line block ×5, first 2 shown]
	s_waitcnt vmcnt(4)
	v_mul_f32_e32 v0, v66, v0
	s_waitcnt vmcnt(3)
	v_fmac_f32_e32 v50, v1, v0
	s_clause 0x1
	buffer_load_dword v0, off, s[0:3], s32 offset:840
	buffer_load_dword v1, off, s[0:3], s32 offset:824
	s_waitcnt vmcnt(1)
	v_mul_f32_e32 v0, v66, v0
	s_waitcnt vmcnt(0)
	v_mul_f32_e32 v1, v66, v1
	v_fmac_f32_e32 v65, v2, v0
	buffer_load_dword v0, off, s[0:3], s32 offset:836 ; 4-byte Folded Reload
	v_mul_f32_e32 v2, v66, v51
	s_waitcnt vmcnt(0)
	v_mul_f32_e32 v0, v66, v0
	v_fmac_f32_e32 v50, v3, v0
	buffer_load_dword v0, off, s[0:3], s32 offset:832 ; 4-byte Folded Reload
	v_mul_f32_e32 v3, v66, v64
	s_waitcnt vmcnt(0)
	v_mul_f32_e32 v0, v66, v0
	v_fmac_f32_e32 v65, v4, v0
	s_clause 0x4
	buffer_load_dword v0, off, s[0:3], s32 offset:828
	buffer_load_dword v4, off, s[0:3], s32 offset:1392
	;; [unrolled: 1-line block ×5, first 2 shown]
	s_waitcnt vmcnt(2)
	v_fmac_f32_e32 v65, v5, v1
	buffer_load_dword v1, off, s[0:3], s32 offset:1100 ; 4-byte Folded Reload
	v_mul_f32_e32 v0, v66, v0
	s_waitcnt vmcnt(1)
	v_fmac_f32_e32 v65, v7, v2
	v_fmac_f32_e32 v50, v4, v0
	;; [unrolled: 1-line block ×3, first 2 shown]
	v_add_f32_e32 v0, v50, v65
	s_waitcnt vmcnt(0)
	ds_bpermute_b32 v1, v1, v0
	s_mov_b32 s17, exec_lo
	buffer_load_dword v6, off, s[0:3], s32 offset:820 ; 4-byte Folded Reload
	s_and_b32 s6, s17, vcc_lo
	s_mov_b32 exec_lo, s6
	s_cbranch_execz .LBB227_9
; %bb.1035:                             ;   in Loop: Header=BB227_10 Depth=1
	s_clause 0x2
	buffer_load_dword v3, off, s[0:3], s32 offset:200
	buffer_load_dword v5, off, s[0:3], s32 offset:796
	;; [unrolled: 1-line block ×3, first 2 shown]
	s_waitcnt lgkmcnt(0)
	v_add_f32_e32 v0, v0, v1
	s_load_dword s23, s[8:9], 0x0
	s_waitcnt vmcnt(2)
	v_sub_nc_u32_e32 v2, 1, v3
	s_waitcnt vmcnt(1)
	v_cmp_lt_i32_e64 s6, v5, v3
	v_add_nc_u32_e32 v2, v2, v5
	v_cvt_f32_i32_e32 v2, v2
	s_waitcnt vmcnt(0)
	v_mul_f32_e32 v2, v4, v2
	buffer_load_dword v4, off, s[0:3], s32 offset:880 ; 4-byte Folded Reload
	v_cndmask_b32_e64 v1, 0, v2, s5
	buffer_load_dword v2, off, s[0:3], s32 offset:1408 ; 4-byte Folded Reload
	s_waitcnt vmcnt(0)
	v_fmac_f32_e32 v1, v2, v0
	buffer_load_dword v2, off, s[0:3], s32 offset:800 ; 4-byte Folded Reload
	v_max_f32_e32 v0, v4, v4
	v_max_f32_e32 v0, v0, v1
	v_cndmask_b32_e64 v1, 0, v1, s6
	v_cndmask_b32_e64 v4, v4, v0, s6
	buffer_store_dword v4, off, s[0:3], s32 offset:880 ; 4-byte Folded Spill
	s_waitcnt vmcnt(0) lgkmcnt(0)
	v_add_nc_u32_e32 v2, s23, v2
	ds_write_b32 v2, v1
	s_branch .LBB227_9
.LBB227_1036:
	s_or_b32 exec_lo, exec_lo, s22
	s_clause 0x10
	buffer_load_dword v13, off, s[0:3], s32 offset:1420
	buffer_load_dword v15, off, s[0:3], s32 offset:1440
	;; [unrolled: 1-line block ×17, first 2 shown]
	v_mov_b32_e32 v12, 32
.LBB227_1037:
	s_or_b32 exec_lo, exec_lo, s13
	s_waitcnt vmcnt(1)
	v_xor_b32_e32 v0, 16, v21
	s_waitcnt lgkmcnt(0)
	v_xor_b32_e32 v1, 8, v21
	s_waitcnt vmcnt(0)
	v_max_f32_e32 v4, v5, v5
	v_and_b32_e32 v97, 31, v13
	s_lshr_b32 s8, s21, 16
	v_cmp_lt_i32_e32 vcc_lo, v0, v12
	v_cndmask_b32_e32 v0, v21, v0, vcc_lo
	v_cmp_lt_i32_e32 vcc_lo, v1, v12
	v_lshlrev_b32_e32 v2, 2, v0
	v_cndmask_b32_e32 v1, v21, v1, vcc_lo
	ds_bpermute_b32 v0, v2, v5
	v_xor_b32_e32 v5, 2, v21
	v_lshlrev_b32_e32 v3, 2, v1
	s_waitcnt lgkmcnt(0)
	v_max_f32_e32 v0, v0, v0
	v_max_f32_e32 v0, v4, v0
	v_xor_b32_e32 v4, 4, v21
	ds_bpermute_b32 v1, v3, v0
	v_cmp_lt_i32_e32 vcc_lo, v4, v12
	v_cndmask_b32_e32 v4, v21, v4, vcc_lo
	v_cmp_lt_i32_e32 vcc_lo, v5, v12
	v_lshlrev_b32_e32 v4, 2, v4
	v_cndmask_b32_e32 v5, v21, v5, vcc_lo
	v_cmp_eq_u32_e32 vcc_lo, 0, v97
	v_lshlrev_b32_e32 v96, 2, v5
	buffer_load_dword v5, off, s[0:3], s32 offset:1416 ; 4-byte Folded Reload
	s_waitcnt lgkmcnt(0)
	v_max_f32_e32 v1, v1, v1
	v_max_f32_e32 v0, v0, v1
	ds_bpermute_b32 v1, v4, v0
	s_waitcnt lgkmcnt(0)
	v_max_f32_e32 v1, v1, v1
	v_max_f32_e32 v0, v0, v1
	ds_bpermute_b32 v1, v96, v0
	s_waitcnt vmcnt(0)
	v_lshlrev_b32_e32 v5, 2, v5
	s_and_saveexec_b32 s5, vcc_lo
	s_cbranch_execz .LBB227_1039
; %bb.1038:
	s_waitcnt lgkmcnt(0)
	v_max_f32_e32 v1, v1, v1
	v_max_f32_e32 v0, v0, v0
	;; [unrolled: 1-line block ×3, first 2 shown]
	ds_write_b32 v5, v0 offset:1024
.LBB227_1039:
	s_or_b32 exec_lo, exec_lo, s5
	v_cmp_gt_u32_e64 s5, 4, v97
	v_mov_b32_e32 v0, 0xff7fffff
	v_lshlrev_b32_e32 v6, 2, v97
	s_waitcnt lgkmcnt(0)
	s_waitcnt_vscnt null, 0x0
	s_barrier
	buffer_gl0_inv
	s_and_saveexec_b32 s6, s5
; %bb.1040:
	ds_read_b32 v0, v6 offset:1024
; %bb.1041:
	s_or_b32 exec_lo, exec_lo, s6
	s_waitcnt lgkmcnt(0)
	ds_bpermute_b32 v1, v96, v0
	v_xor_b32_e32 v7, 1, v21
	v_max_f32_e32 v0, v0, v0
	v_cmp_lt_i32_e64 s6, v7, v12
	v_cndmask_b32_e64 v7, v21, v7, s6
	v_lshlrev_b32_e32 v101, 2, v7
	buffer_load_dword v7, off, s[0:3], s32 offset:808 ; 4-byte Folded Reload
	s_waitcnt lgkmcnt(0)
	v_max_f32_e32 v1, v1, v1
	v_max_f32_e32 v0, v0, v1
	ds_bpermute_b32 v1, v101, v0
	s_waitcnt lgkmcnt(0)
	v_max_f32_e32 v1, v1, v1
	v_max_f32_e32 v0, v0, v1
	v_lshlrev_b32_e32 v1, 2, v16
	ds_bpermute_b32 v0, v1, v0
	buffer_load_dword v1, off, s[0:3], s32 offset:200 ; 4-byte Folded Reload
	s_waitcnt vmcnt(1)
	v_subrev_nc_u32_e32 v7, s7, v7
	v_lshl_add_u32 v7, v7, 4, s20
	s_waitcnt vmcnt(0)
	v_min_i32_e32 v1, v7, v1
	v_mov_b32_e32 v7, 0
	v_subrev_nc_u32_e32 v1, s20, v1
	v_cmp_lt_i32_e64 s6, v13, v1
	s_and_saveexec_b32 s9, s6
	s_cbranch_execz .LBB227_1045
; %bb.1042:
	s_getpc_b64 s[22:23]
	s_add_u32 s22, s22, llvm.amdgcn.dynlds.offset.table@rel32@lo+4
	s_addc_u32 s23, s23, llvm.amdgcn.dynlds.offset.table@rel32@hi+12
	s_ashr_i32 s17, s16, 31
	v_mov_b32_e32 v7, 0
	s_lshl_b64 s[24:25], s[16:17], 2
	v_mov_b32_e32 v9, v13
	s_add_u32 s22, s22, s24
	s_addc_u32 s23, s23, s25
	s_mov_b32 s13, 0
	s_load_dword s7, s[22:23], 0x0
	s_waitcnt lgkmcnt(0)
	v_lshl_add_u32 v8, v13, 2, s7
	.p2align	6
.LBB227_1043:                           ; =>This Inner Loop Header: Depth=1
	ds_read_b32 v12, v8
	v_add_nc_u32_e32 v9, 0x80, v9
	v_cmp_ge_i32_e64 s7, v9, v1
	s_or_b32 s13, s7, s13
	s_waitcnt lgkmcnt(0)
	v_sub_f32_e32 v12, v12, v0
	v_mul_f32_e32 v12, 0x3fb8aa3b, v12
	v_exp_f32_e32 v12, v12
	ds_write_b32 v8, v12
	v_add_f32_e32 v7, v7, v12
	v_add_nc_u32_e32 v8, 0x200, v8
	s_andn2_b32 exec_lo, exec_lo, s13
	s_cbranch_execnz .LBB227_1043
; %bb.1044:
	s_or_b32 exec_lo, exec_lo, s13
.LBB227_1045:
	s_or_b32 exec_lo, exec_lo, s9
	ds_bpermute_b32 v2, v2, v7
	s_waitcnt lgkmcnt(0)
	v_add_f32_e32 v2, v7, v2
	ds_bpermute_b32 v3, v3, v2
	s_waitcnt lgkmcnt(0)
	v_add_f32_e32 v2, v2, v3
	;; [unrolled: 3-line block ×5, first 2 shown]
	s_and_saveexec_b32 s7, vcc_lo
; %bb.1046:
	ds_write_b32 v5, v2 offset:1040
; %bb.1047:
	s_or_b32 exec_lo, exec_lo, s7
	s_waitcnt lgkmcnt(0)
	s_barrier
	buffer_gl0_inv
	s_and_saveexec_b32 s7, s5
; %bb.1048:
	ds_read_b32 v2, v6 offset:1040
; %bb.1049:
	s_or_b32 exec_lo, exec_lo, s7
	s_waitcnt lgkmcnt(0)
	ds_bpermute_b32 v3, v96, v2
	v_lshlrev_b32_e32 v4, 2, v21
	s_waitcnt lgkmcnt(0)
	v_add_f32_e32 v2, v2, v3
	ds_bpermute_b32 v3, v101, v2
	s_waitcnt lgkmcnt(0)
	v_add_f32_e32 v2, v2, v3
	v_and_b32_e32 v3, 0xffffff80, v4
	ds_bpermute_b32 v2, v3, v2
	s_and_saveexec_b32 s5, s6
	s_cbranch_execz .LBB227_1052
; %bb.1050:
	s_waitcnt lgkmcnt(0)
	v_add_f32_e32 v4, 0x358637bd, v2
	s_getpc_b64 s[6:7]
	s_add_u32 s6, s6, llvm.amdgcn.dynlds.offset.table@rel32@lo+4
	s_addc_u32 s7, s7, llvm.amdgcn.dynlds.offset.table@rel32@hi+12
	s_ashr_i32 s17, s16, 31
	s_lshl_b64 s[22:23], s[16:17], 2
	v_div_scale_f32 v3, null, v4, v4, 1.0
	v_div_scale_f32 v7, vcc_lo, 1.0, v4, 1.0
	s_add_u32 s6, s6, s22
	v_rcp_f32_e32 v5, v3
	s_addc_u32 s7, s7, s23
	s_load_dword s6, s[6:7], 0x0
	v_fma_f32 v6, -v3, v5, 1.0
	v_fmac_f32_e32 v5, v6, v5
	v_mul_f32_e32 v6, v7, v5
	v_fma_f32 v8, -v3, v6, v7
	v_fmac_f32_e32 v6, v8, v5
	v_fma_f32 v3, -v3, v6, v7
	v_div_fmas_f32 v5, v3, v5, v6
	s_waitcnt lgkmcnt(0)
	v_lshl_add_u32 v3, v13, 2, s6
	s_mov_b32 s6, 0
	v_div_fixup_f32 v4, v5, v4, 1.0
	v_mov_b32_e32 v5, v13
.LBB227_1051:                           ; =>This Inner Loop Header: Depth=1
	ds_read_b32 v6, v3
	v_add_nc_u32_e32 v5, 0x80, v5
	v_cmp_ge_i32_e32 vcc_lo, v5, v1
	s_or_b32 s6, vcc_lo, s6
	s_waitcnt lgkmcnt(0)
	v_mul_f32_e32 v6, v4, v6
	ds_write_b32 v3, v6
	v_add_nc_u32_e32 v3, 0x200, v3
	s_andn2_b32 exec_lo, exec_lo, s6
	s_cbranch_execnz .LBB227_1051
.LBB227_1052:
	s_or_b32 exec_lo, exec_lo, s5
	s_and_b32 s5, 0xffff, s8
	s_mov_b32 s8, exec_lo
	s_cmp_lg_u32 s5, 0
	s_waitcnt lgkmcnt(0)
	s_cselect_b32 s5, -1, 0
	s_barrier
	s_cmp_lg_u32 s5, 0
	buffer_gl0_inv
	s_addc_u32 s5, s11, 0
	s_mul_i32 s6, s5, s18
	s_mul_i32 s6, s6, s15
	v_cmpx_eq_u32_e32 0, v13
	s_cbranch_execz .LBB227_1054
; %bb.1053:
	s_ashr_i32 s7, s6, 31
	s_mul_i32 s12, s5, s12
	s_lshl_b64 s[22:23], s[6:7], 2
	s_ashr_i32 s13, s12, 31
	v_add_co_u32 v1, vcc_lo, v28, s22
	v_add_co_ci_u32_e64 v3, null, s23, v25, vcc_lo
	s_lshl_b64 s[12:13], s[12:13], 2
	s_ashr_i32 s15, s14, 31
	v_add_co_u32 v1, vcc_lo, v1, s12
	v_add_co_ci_u32_e64 v4, null, s13, v3, vcc_lo
	v_add_co_u32 v3, vcc_lo, v24, s22
	v_add_co_ci_u32_e64 v5, null, s23, v22, vcc_lo
	s_lshl_b64 s[22:23], s[14:15], 2
	v_add_co_u32 v6, vcc_lo, v3, s12
	v_add_co_ci_u32_e64 v7, null, s13, v5, vcc_lo
	v_add_co_u32 v3, vcc_lo, v1, s22
	v_add_co_ci_u32_e64 v4, null, s23, v4, vcc_lo
	;; [unrolled: 2-line block ×3, first 2 shown]
	flat_store_dword v[3:4], v0
	flat_store_dword v[5:6], v2
.LBB227_1054:
	s_or_b32 exec_lo, exec_lo, s8
	s_and_saveexec_b32 s7, s4
	s_xor_b32 s4, exec_lo, s7
	s_cbranch_execz .LBB227_1056
; %bb.1055:
                                        ; implicit-def: $vgpr0
                                        ; kill: killed $vgpr0
	s_ashr_i32 s17, s16, 31
                                        ; implicit-def: $vgpr0
                                        ; kill: killed $vgpr0
                                        ; implicit-def: $vgpr18
                                        ; implicit-def: $vgpr10
                                        ; implicit-def: $vgpr11
                                        ; implicit-def: $vgpr14
                                        ; implicit-def: $vgpr15
                                        ; implicit-def: $vgpr26_vgpr27
                                        ; implicit-def: $vgpr19
                                        ; implicit-def: $vgpr20
                                        ; implicit-def: $vgpr17
                                        ; implicit-def: $vgpr0
	buffer_store_dword v0, off, s[0:3], s32 offset:220 ; 4-byte Folded Spill
	buffer_store_dword v1, off, s[0:3], s32 offset:224 ; 4-byte Folded Spill
                                        ; implicit-def: $vgpr0
                                        ; kill: killed $vgpr0
                                        ; implicit-def: $vgpr0_vgpr1
                                        ; kill: killed $vgpr0_vgpr1
.LBB227_1056:
	s_or_saveexec_b32 s7, s4
	v_mov_b32_e32 v0, s16
	v_mov_b32_e32 v86, 0
	;; [unrolled: 1-line block ×3, first 2 shown]
	v_and_b32_e32 v102, 3, v13
	v_mov_b32_e32 v85, 0
	v_mov_b32_e32 v84, 0
	;; [unrolled: 1-line block ×31, first 2 shown]
	s_xor_b32 exec_lo, exec_lo, s7
	s_cbranch_execz .LBB227_2148
; %bb.1057:
	v_add_co_u32 v0, vcc_lo, v10, v19
	v_add_co_ci_u32_e64 v1, null, v11, v20, vcc_lo
	buffer_store_dword v96, off, s[0:3], s32 offset:700 ; 4-byte Folded Spill
	buffer_store_dword v97, off, s[0:3], s32 offset:692 ; 4-byte Folded Spill
	;; [unrolled: 1-line block ×3, first 2 shown]
	flat_load_dword v87, v[26:27]
	s_ashr_i32 s17, s16, 31
	buffer_store_dword v0, off, s[0:3], s32 offset:668 ; 4-byte Folded Spill
	buffer_store_dword v1, off, s[0:3], s32 offset:672 ; 4-byte Folded Spill
	v_add_nc_u32_e32 v0, -1, v18
	s_getpc_b64 s[8:9]
	s_add_u32 s8, s8, llvm.amdgcn.dynlds.offset.table@rel32@lo+4
	s_addc_u32 s9, s9, llvm.amdgcn.dynlds.offset.table@rel32@hi+12
	v_and_b32_e32 v2, 12, v17
	s_lshl_b64 s[12:13], s[16:17], 2
	v_lshlrev_b32_e32 v4, 4, v102
	buffer_store_dword v0, off, s[0:3], s32 offset:676 ; 4-byte Folded Spill
	v_or_b32_e32 v0, 0xf80, v17
	s_add_u32 s8, s8, s12
	s_addc_u32 s9, s9, s13
	v_and_b32_e32 v27, 0x7c, v17
	v_mov_b32_e32 v9, 0
	buffer_store_dword v0, off, s[0:3], s32 offset:684 ; 4-byte Folded Spill
	s_clause 0x2
	buffer_load_dword v0, off, s[0:3], s32 offset:220
	buffer_load_dword v1, off, s[0:3], s32 offset:224
	;; [unrolled: 1-line block ×3, first 2 shown]
	buffer_store_dword v102, off, s[0:3], s32 offset:716 ; 4-byte Folded Spill
	s_load_dword s4, s[8:9], 0x0
	v_mov_b32_e32 v99, 0x80
	v_bfrev_b32_e32 v11, 1
	v_mov_b32_e32 v13, 0x7f800001
	v_mov_b32_e32 v101, 0xff
	;; [unrolled: 1-line block ×34, first 2 shown]
	s_mov_b32 s8, 0
	s_waitcnt vmcnt(3) lgkmcnt(0)
	v_mov_b32_e32 v114, v87
	s_waitcnt vmcnt(1)
	v_lshlrev_b64 v[0:1], 2, v[0:1]
	s_waitcnt vmcnt(0)
	v_lshl_add_u32 v3, v5, 4, s20
	v_add3_u32 v112, v3, v2, 3
	s_clause 0x1
	buffer_load_dword v2, off, s[0:3], s32 offset:1432
	buffer_load_dword v3, off, s[0:3], s32 offset:1436
	s_waitcnt vmcnt(1)
	v_add_co_u32 v0, vcc_lo, v2, v0
	s_waitcnt vmcnt(0)
	v_add_co_ci_u32_e64 v1, null, v3, v1, vcc_lo
	v_lshl_or_b32 v2, v5, 6, v4
	v_add_co_u32 v14, vcc_lo, v14, v0
	v_add_co_ci_u32_e64 v15, null, v15, v1, vcc_lo
	v_add_nc_u32_e32 v113, s4, v2
	s_branch .LBB227_1059
.LBB227_1058:                           ;   in Loop: Header=BB227_1059 Depth=1
	s_or_b32 exec_lo, exec_lo, s4
	v_mul_f32_e32 v6, v1, v6
	v_mul_f32_e32 v12, v1, v26
	v_add_co_u32 v14, vcc_lo, v14, 16
	v_add_co_ci_u32_e64 v15, null, 0, v15, vcc_lo
	v_fmac_f32_e32 v6, v0, v98
	v_fmac_f32_e32 v12, v0, v7
	v_add_nc_u32_e32 v112, 64, v112
	v_add_nc_u32_e32 v113, 0x100, v113
	buffer_load_dword v7, off, s[0:3], s32 offset:652 ; 4-byte Folded Reload
	v_fmac_f32_e32 v6, v2, v25
	v_fmac_f32_e32 v12, v2, v23
	v_fmac_f32_e32 v6, v3, v24
	v_fmac_f32_e32 v12, v3, v22
	v_add_f32_e32 v33, v33, v6
	v_mul_f32_e32 v6, v1, v97
	v_add_f32_e32 v32, v32, v12
	v_fmac_f32_e32 v6, v0, v96
	v_fmac_f32_e32 v6, v2, v127
	v_fmac_f32_e32 v6, v3, v126
	v_add_f32_e32 v34, v34, v6
	v_mul_f32_e32 v6, v1, v30
	v_fmac_f32_e32 v6, v0, v28
	v_fmac_f32_e32 v6, v2, v125
	v_fmac_f32_e32 v6, v3, v124
	v_add_f32_e32 v35, v35, v6
	v_mul_f32_e32 v6, v1, v123
	;; [unrolled: 5-line block ×13, first 2 shown]
	v_fmac_f32_e32 v6, v0, v119
	v_fmac_f32_e32 v6, v2, v117
	;; [unrolled: 1-line block ×3, first 2 shown]
	v_add_f32_e32 v55, v55, v6
	buffer_load_dword v6, off, s[0:3], s32 offset:660 ; 4-byte Folded Reload
	s_waitcnt vmcnt(0)
	v_mul_f32_e32 v6, v1, v6
	v_fmac_f32_e32 v6, v0, v7
	buffer_load_dword v7, off, s[0:3], s32 offset:644 ; 4-byte Folded Reload
	s_waitcnt vmcnt(0)
	v_fmac_f32_e32 v6, v2, v7
	buffer_load_dword v7, off, s[0:3], s32 offset:636 ; 4-byte Folded Reload
	s_waitcnt vmcnt(0)
	v_fmac_f32_e32 v6, v3, v7
	buffer_load_dword v7, off, s[0:3], s32 offset:620 ; 4-byte Folded Reload
	v_add_f32_e32 v64, v64, v6
	buffer_load_dword v6, off, s[0:3], s32 offset:628 ; 4-byte Folded Reload
	s_waitcnt vmcnt(0)
	v_mul_f32_e32 v6, v1, v6
	v_fmac_f32_e32 v6, v0, v7
	buffer_load_dword v7, off, s[0:3], s32 offset:612 ; 4-byte Folded Reload
	s_waitcnt vmcnt(0)
	v_fmac_f32_e32 v6, v2, v7
	buffer_load_dword v7, off, s[0:3], s32 offset:604 ; 4-byte Folded Reload
	s_waitcnt vmcnt(0)
	v_fmac_f32_e32 v6, v3, v7
	buffer_load_dword v7, off, s[0:3], s32 offset:596 ; 4-byte Folded Reload
	;; [unrolled: 12-line block ×14, first 2 shown]
	v_add_f32_e32 v85, v85, v6
	buffer_load_dword v6, off, s[0:3], s32 offset:208 ; 4-byte Folded Reload
	s_waitcnt vmcnt(0)
	v_mul_f32_e32 v6, v1, v6
	v_mul_f32_e32 v1, v1, v10
	v_fmac_f32_e32 v6, v0, v7
	buffer_load_dword v7, off, s[0:3], s32 offset:204 ; 4-byte Folded Reload
	v_fmac_f32_e32 v1, v0, v8
	v_fmac_f32_e32 v1, v2, v5
	;; [unrolled: 1-line block ×3, first 2 shown]
	v_add_f32_e32 v31, v31, v1
	s_waitcnt vmcnt(0)
	v_fmac_f32_e32 v6, v2, v7
	s_clause 0x2
	buffer_load_dword v7, off, s[0:3], s32 offset:192
	buffer_load_dword v0, off, s[0:3], s32 offset:220
	;; [unrolled: 1-line block ×3, first 2 shown]
	s_waitcnt vmcnt(0)
	v_mov_b32_e32 v1, v0
	v_fmac_f32_e32 v6, v3, v7
	v_add_nc_u32_e32 v1, 4, v1
	v_add_f32_e32 v86, v86, v6
	v_mov_b32_e32 v0, v1
	buffer_store_dword v0, off, s[0:3], s32 offset:220 ; 4-byte Folded Spill
	buffer_store_dword v1, off, s[0:3], s32 offset:224 ; 4-byte Folded Spill
	buffer_load_dword v0, off, s[0:3], s32 offset:808 ; 4-byte Folded Reload
	s_waitcnt vmcnt(0)
	v_cmp_ge_i32_e32 vcc_lo, v1, v0
	s_or_b32 s8, vcc_lo, s8
	s_andn2_b32 exec_lo, exec_lo, s8
	s_cbranch_execz .LBB227_2147
.LBB227_1059:                           ; =>This Inner Loop Header: Depth=1
	flat_load_dword v0, v[14:15]
	s_clause 0x2
	buffer_load_dword v1, off, s[0:3], s32 offset:804
	buffer_load_dword v2, off, s[0:3], s32 offset:668
	;; [unrolled: 1-line block ×3, first 2 shown]
	v_mov_b32_e32 v20, 0
	v_mov_b32_e32 v18, 0
	;; [unrolled: 1-line block ×4, first 2 shown]
	s_waitcnt vmcnt(0) lgkmcnt(0)
	v_mad_i64_i32 v[16:17], null, v0, v1, v[2:3]
	ds_read_b128 v[0:3], v113
	v_add_co_u32 v4, vcc_lo, v16, v27
	v_add_co_ci_u32_e64 v5, null, 0, v17, vcc_lo
	flat_load_dword v6, v[4:5]
	s_waitcnt vmcnt(0) lgkmcnt(0)
	v_cmp_ne_u16_sdwa s9, v6, v9 src0_sel:BYTE_0 src1_sel:DWORD
	s_and_saveexec_b32 s4, s9
	s_cbranch_execz .LBB227_1067
; %bb.1060:                             ;   in Loop: Header=BB227_1059 Depth=1
	v_bfrev_b32_e32 v18, 1
	v_mov_b32_e32 v19, 0
	v_cmp_ne_u16_sdwa s11, v6, v99 src0_sel:BYTE_0 src1_sel:DWORD
	s_and_saveexec_b32 s9, s11
	s_cbranch_execz .LBB227_1066
; %bb.1061:                             ;   in Loop: Header=BB227_1059 Depth=1
	v_mov_b32_e32 v18, 0x7f800001
	v_and_b32_e32 v10, 0x7f, v6
	v_mov_b32_e32 v19, 0
	s_mov_b32 s11, exec_lo
	v_cmpx_ne_u32_e32 0x7f, v10
	s_cbranch_execz .LBB227_1065
; %bb.1062:                             ;   in Loop: Header=BB227_1059 Depth=1
	v_and_b32_e32 v8, 7, v6
	v_lshrrev_b32_e32 v7, 3, v10
	s_mov_b32 s12, exec_lo
	v_cmpx_gt_u32_e32 8, v10
; %bb.1063:                             ;   in Loop: Header=BB227_1059 Depth=1
	v_ffbh_u32_e32 v7, v8
	v_min_u32_e32 v7, 32, v7
	v_subrev_nc_u32_e32 v10, 28, v7
	v_sub_nc_u32_e32 v7, 29, v7
	v_lshlrev_b64 v[18:19], v10, v[8:9]
	v_and_b32_e32 v8, 7, v18
; %bb.1064:                             ;   in Loop: Header=BB227_1059 Depth=1
	s_or_b32 exec_lo, exec_lo, s12
	v_lshlrev_b32_e32 v10, 24, v6
	v_lshlrev_b32_e32 v8, 20, v8
	v_lshl_add_u32 v7, v7, 23, 0x3c000000
	v_and_b32_e32 v10, 0x80000000, v10
	v_or3_b32 v8, v8, v10, v7
	v_mov_b32_e32 v19, v9
	v_mov_b32_e32 v18, v8
.LBB227_1065:                           ;   in Loop: Header=BB227_1059 Depth=1
	s_or_b32 exec_lo, exec_lo, s11
.LBB227_1066:                           ;   in Loop: Header=BB227_1059 Depth=1
	s_or_b32 exec_lo, exec_lo, s9
.LBB227_1067:                           ;   in Loop: Header=BB227_1059 Depth=1
	s_or_b32 exec_lo, exec_lo, s4
	v_cmp_ne_u16_sdwa s9, v6, v9 src0_sel:BYTE_1 src1_sel:DWORD
	s_and_saveexec_b32 s4, s9
	s_cbranch_execz .LBB227_1075
; %bb.1068:                             ;   in Loop: Header=BB227_1059 Depth=1
	v_mov_b32_e32 v10, v9
	v_mov_b32_e32 v21, v11
	v_cmp_ne_u16_sdwa s11, v6, v99 src0_sel:BYTE_1 src1_sel:DWORD
	v_mov_b32_e32 v20, v10
	s_and_saveexec_b32 s9, s11
	s_cbranch_execz .LBB227_1074
; %bb.1069:                             ;   in Loop: Header=BB227_1059 Depth=1
	v_mov_b32_e32 v7, 0xffff
	v_mov_b32_e32 v12, v9
	;; [unrolled: 1-line block ×3, first 2 shown]
	s_mov_b32 s11, exec_lo
	v_and_b32_sdwa v7, v7, v6 dst_sel:DWORD dst_unused:UNUSED_PAD src0_sel:DWORD src1_sel:BYTE_1
	v_mov_b32_e32 v20, v12
	v_and_b32_e32 v10, 0x7f, v7
	v_cmpx_ne_u32_e32 0x7f, v10
	s_cbranch_execz .LBB227_1073
; %bb.1070:                             ;   in Loop: Header=BB227_1059 Depth=1
	v_and_b32_e32 v8, 7, v7
	v_lshrrev_b32_e32 v7, 3, v10
	s_mov_b32 s12, exec_lo
	v_cmpx_gt_u32_e32 8, v10
; %bb.1071:                             ;   in Loop: Header=BB227_1059 Depth=1
	v_ffbh_u32_e32 v7, v8
	v_min_u32_e32 v7, 32, v7
	v_subrev_nc_u32_e32 v10, 28, v7
	v_sub_nc_u32_e32 v7, 29, v7
	v_lshlrev_b64 v[20:21], v10, v[8:9]
	v_and_b32_e32 v8, 7, v20
; %bb.1072:                             ;   in Loop: Header=BB227_1059 Depth=1
	s_or_b32 exec_lo, exec_lo, s12
	v_lshlrev_b32_e32 v10, 16, v6
	v_lshlrev_b32_e32 v8, 20, v8
	v_lshl_add_u32 v7, v7, 23, 0x3c000000
	v_mov_b32_e32 v20, v9
	v_and_b32_e32 v10, 0x80000000, v10
	v_or3_b32 v21, v8, v10, v7
.LBB227_1073:                           ;   in Loop: Header=BB227_1059 Depth=1
	s_or_b32 exec_lo, exec_lo, s11
.LBB227_1074:                           ;   in Loop: Header=BB227_1059 Depth=1
	s_or_b32 exec_lo, exec_lo, s9
.LBB227_1075:                           ;   in Loop: Header=BB227_1059 Depth=1
	s_or_b32 exec_lo, exec_lo, s4
	v_mov_b32_e32 v24, 0
	v_mov_b32_e32 v22, 0
	v_and_b32_sdwa v7, v6, v101 dst_sel:DWORD dst_unused:UNUSED_PAD src0_sel:WORD_1 src1_sel:DWORD
	v_mov_b32_e32 v25, 0
	v_mov_b32_e32 v23, 0
	s_mov_b32 s4, exec_lo
	v_cmpx_ne_u16_e32 0, v7
	s_cbranch_execz .LBB227_1083
; %bb.1076:                             ;   in Loop: Header=BB227_1059 Depth=1
	v_bfrev_b32_e32 v22, 1
	v_mov_b32_e32 v23, 0
	s_mov_b32 s9, exec_lo
	v_cmpx_ne_u16_e32 0x80, v7
	s_cbranch_execz .LBB227_1082
; %bb.1077:                             ;   in Loop: Header=BB227_1059 Depth=1
	v_mov_b32_e32 v22, 0x7f800001
	v_bfe_u32 v10, v6, 16, 7
	v_mov_b32_e32 v23, 0
	s_mov_b32 s11, exec_lo
	v_cmpx_ne_u32_e32 0x7f, v10
	s_cbranch_execz .LBB227_1081
; %bb.1078:                             ;   in Loop: Header=BB227_1059 Depth=1
	v_mov_b32_e32 v7, 7
	s_mov_b32 s12, exec_lo
	v_and_b32_sdwa v8, v6, v7 dst_sel:DWORD dst_unused:UNUSED_PAD src0_sel:WORD_1 src1_sel:DWORD
	v_lshrrev_b32_e32 v7, 3, v10
	v_cmpx_gt_u32_e32 8, v10
; %bb.1079:                             ;   in Loop: Header=BB227_1059 Depth=1
	v_ffbh_u32_e32 v7, v8
	v_min_u32_e32 v7, 32, v7
	v_subrev_nc_u32_e32 v10, 28, v7
	v_sub_nc_u32_e32 v7, 29, v7
	v_lshlrev_b64 v[22:23], v10, v[8:9]
	v_and_b32_e32 v8, 7, v22
; %bb.1080:                             ;   in Loop: Header=BB227_1059 Depth=1
	s_or_b32 exec_lo, exec_lo, s12
	v_mov_b32_e32 v10, 24
	v_lshlrev_b32_e32 v8, 20, v8
	v_lshl_add_u32 v7, v7, 23, 0x3c000000
	v_lshlrev_b32_sdwa v10, v10, v6 dst_sel:DWORD dst_unused:UNUSED_PAD src0_sel:DWORD src1_sel:WORD_1
	v_and_b32_e32 v10, 0x80000000, v10
	v_or3_b32 v8, v8, v10, v7
	v_mov_b32_e32 v23, v9
	v_mov_b32_e32 v22, v8
.LBB227_1081:                           ;   in Loop: Header=BB227_1059 Depth=1
	s_or_b32 exec_lo, exec_lo, s11
.LBB227_1082:                           ;   in Loop: Header=BB227_1059 Depth=1
	s_or_b32 exec_lo, exec_lo, s9
.LBB227_1083:                           ;   in Loop: Header=BB227_1059 Depth=1
	s_or_b32 exec_lo, exec_lo, s4
	s_mov_b32 s4, exec_lo
	v_cmpx_lt_u32_e32 0xffffff, v6
	s_cbranch_execz .LBB227_1091
; %bb.1084:                             ;   in Loop: Header=BB227_1059 Depth=1
	v_mov_b32_e32 v10, v9
	v_mov_b32_e32 v25, v11
	v_cmp_ne_u32_sdwa s11, v6, v99 src0_sel:BYTE_3 src1_sel:DWORD
	v_mov_b32_e32 v24, v10
	s_and_saveexec_b32 s9, s11
	s_cbranch_execz .LBB227_1090
; %bb.1085:                             ;   in Loop: Header=BB227_1059 Depth=1
	v_mov_b32_e32 v12, v9
	v_mov_b32_e32 v25, v13
	v_bfe_u32 v10, v6, 24, 7
	s_mov_b32 s11, exec_lo
	v_mov_b32_e32 v24, v12
	v_cmpx_ne_u32_e32 0x7f, v10
	s_cbranch_execz .LBB227_1089
; %bb.1086:                             ;   in Loop: Header=BB227_1059 Depth=1
	v_mov_b32_e32 v7, 7
	s_mov_b32 s12, exec_lo
	v_and_b32_sdwa v8, v6, v7 dst_sel:DWORD dst_unused:UNUSED_PAD src0_sel:BYTE_3 src1_sel:DWORD
	v_lshrrev_b32_e32 v7, 3, v10
	v_cmpx_gt_u32_e32 8, v10
; %bb.1087:                             ;   in Loop: Header=BB227_1059 Depth=1
	v_ffbh_u32_e32 v7, v8
	v_min_u32_e32 v7, 32, v7
	v_subrev_nc_u32_e32 v10, 28, v7
	v_sub_nc_u32_e32 v7, 29, v7
	v_lshlrev_b64 v[24:25], v10, v[8:9]
	v_and_b32_e32 v8, 7, v24
; %bb.1088:                             ;   in Loop: Header=BB227_1059 Depth=1
	s_or_b32 exec_lo, exec_lo, s12
	v_mov_b32_e32 v10, 24
	v_lshlrev_b32_e32 v8, 20, v8
	v_lshl_add_u32 v7, v7, 23, 0x3c000000
	v_mov_b32_e32 v24, v9
	v_lshlrev_b32_sdwa v6, v10, v6 dst_sel:DWORD dst_unused:UNUSED_PAD src0_sel:DWORD src1_sel:BYTE_3
	v_and_b32_e32 v6, 0x80000000, v6
	v_or3_b32 v25, v8, v6, v7
.LBB227_1089:                           ;   in Loop: Header=BB227_1059 Depth=1
	s_or_b32 exec_lo, exec_lo, s11
.LBB227_1090:                           ;   in Loop: Header=BB227_1059 Depth=1
	s_or_b32 exec_lo, exec_lo, s9
.LBB227_1091:                           ;   in Loop: Header=BB227_1059 Depth=1
	s_or_b32 exec_lo, exec_lo, s4
	v_or_b32_e32 v6, v21, v19
	v_or_b32_e32 v7, v20, v18
	s_clause 0x2
	buffer_load_dword v18, off, s[0:3], s32 offset:220
	buffer_load_dword v19, off, s[0:3], s32 offset:224
	;; [unrolled: 1-line block ×3, first 2 shown]
	v_or_b32_e32 v8, v24, v22
	v_or_b32_e32 v10, v25, v23
	v_mul_f32_e32 v6, v114, v6
	v_add_nc_u32_e32 v43, -3, v112
	v_add_nc_u32_e32 v45, -2, v112
	;; [unrolled: 1-line block ×3, first 2 shown]
	buffer_store_dword v6, off, s[0:3], s32 offset:208 ; 4-byte Folded Spill
	v_mul_f32_e32 v6, v87, v7
	buffer_store_dword v6, off, s[0:3], s32 offset:212 ; 4-byte Folded Spill
	v_mul_f32_e32 v6, v87, v8
	;; [unrolled: 2-line block ×3, first 2 shown]
	buffer_store_dword v6, off, s[0:3], s32 offset:192 ; 4-byte Folded Spill
	s_waitcnt vmcnt(0)
	v_cmp_eq_u32_e32 vcc_lo, v12, v18
	s_and_saveexec_b32 s9, vcc_lo
	s_cbranch_execz .LBB227_1093
; %bb.1092:                             ;   in Loop: Header=BB227_1059 Depth=1
	s_clause 0x1
	buffer_load_dword v6, off, s[0:3], s32 offset:200
	buffer_load_dword v7, off, s[0:3], s32 offset:212
	s_waitcnt vmcnt(1)
	v_cmp_lt_i32_e64 s4, v43, v6
	s_waitcnt vmcnt(0)
	v_cndmask_b32_e64 v7, 0, v7, s4
	v_cmp_lt_i32_e64 s4, v45, v6
	buffer_store_dword v7, off, s[0:3], s32 offset:212 ; 4-byte Folded Spill
	buffer_load_dword v7, off, s[0:3], s32 offset:208 ; 4-byte Folded Reload
	s_waitcnt vmcnt(0)
	v_cndmask_b32_e64 v7, 0, v7, s4
	v_cmp_lt_i32_e64 s4, v44, v6
	buffer_store_dword v7, off, s[0:3], s32 offset:208 ; 4-byte Folded Spill
	buffer_load_dword v7, off, s[0:3], s32 offset:204 ; 4-byte Folded Reload
	s_waitcnt vmcnt(0)
	v_cndmask_b32_e64 v7, 0, v7, s4
	v_cmp_lt_i32_e64 s4, v112, v6
	buffer_load_dword v6, off, s[0:3], s32 offset:192 ; 4-byte Folded Reload
	buffer_store_dword v7, off, s[0:3], s32 offset:204 ; 4-byte Folded Spill
	s_waitcnt vmcnt(0)
	v_cndmask_b32_e64 v6, 0, v6, s4
	buffer_store_dword v6, off, s[0:3], s32 offset:192 ; 4-byte Folded Spill
.LBB227_1093:                           ;   in Loop: Header=BB227_1059 Depth=1
	s_or_b32 exec_lo, exec_lo, s9
	flat_load_dword v6, v[4:5] offset:128
	v_mov_b32_e32 v20, 0
	v_mov_b32_e32 v18, 0
	;; [unrolled: 1-line block ×4, first 2 shown]
	s_waitcnt vmcnt(0) lgkmcnt(0)
	v_cmp_ne_u16_sdwa s4, v6, v9 src0_sel:BYTE_0 src1_sel:DWORD
	s_and_saveexec_b32 s9, s4
	s_cbranch_execz .LBB227_1101
; %bb.1094:                             ;   in Loop: Header=BB227_1059 Depth=1
	v_bfrev_b32_e32 v18, 1
	v_mov_b32_e32 v19, 0
	v_cmp_ne_u16_sdwa s4, v6, v99 src0_sel:BYTE_0 src1_sel:DWORD
	s_and_saveexec_b32 s11, s4
	s_cbranch_execz .LBB227_1100
; %bb.1095:                             ;   in Loop: Header=BB227_1059 Depth=1
	v_mov_b32_e32 v18, 0x7f800001
	v_and_b32_e32 v10, 0x7f, v6
	v_mov_b32_e32 v19, 0
	s_mov_b32 s12, exec_lo
	v_cmpx_ne_u32_e32 0x7f, v10
	s_cbranch_execz .LBB227_1099
; %bb.1096:                             ;   in Loop: Header=BB227_1059 Depth=1
	v_and_b32_e32 v8, 7, v6
	v_lshrrev_b32_e32 v7, 3, v10
	s_mov_b32 s13, exec_lo
	v_cmpx_gt_u32_e32 8, v10
; %bb.1097:                             ;   in Loop: Header=BB227_1059 Depth=1
	v_ffbh_u32_e32 v7, v8
	v_min_u32_e32 v7, 32, v7
	v_subrev_nc_u32_e32 v10, 28, v7
	v_sub_nc_u32_e32 v7, 29, v7
	v_lshlrev_b64 v[18:19], v10, v[8:9]
	v_and_b32_e32 v8, 7, v18
; %bb.1098:                             ;   in Loop: Header=BB227_1059 Depth=1
	s_or_b32 exec_lo, exec_lo, s13
	v_lshlrev_b32_e32 v10, 24, v6
	v_lshlrev_b32_e32 v8, 20, v8
	v_lshl_add_u32 v7, v7, 23, 0x3c000000
	v_and_b32_e32 v10, 0x80000000, v10
	v_or3_b32 v8, v8, v10, v7
	v_mov_b32_e32 v19, v9
	v_mov_b32_e32 v18, v8
.LBB227_1099:                           ;   in Loop: Header=BB227_1059 Depth=1
	s_or_b32 exec_lo, exec_lo, s12
.LBB227_1100:                           ;   in Loop: Header=BB227_1059 Depth=1
	s_or_b32 exec_lo, exec_lo, s11
.LBB227_1101:                           ;   in Loop: Header=BB227_1059 Depth=1
	s_or_b32 exec_lo, exec_lo, s9
	v_cmp_ne_u16_sdwa s4, v6, v9 src0_sel:BYTE_1 src1_sel:DWORD
	s_and_saveexec_b32 s9, s4
	s_cbranch_execz .LBB227_1109
; %bb.1102:                             ;   in Loop: Header=BB227_1059 Depth=1
	v_mov_b32_e32 v10, v9
	v_mov_b32_e32 v21, v11
	v_cmp_ne_u16_sdwa s4, v6, v99 src0_sel:BYTE_1 src1_sel:DWORD
	v_mov_b32_e32 v20, v10
	s_and_saveexec_b32 s11, s4
	s_cbranch_execz .LBB227_1108
; %bb.1103:                             ;   in Loop: Header=BB227_1059 Depth=1
	v_mov_b32_e32 v7, 0xffff
	v_mov_b32_e32 v12, v9
	;; [unrolled: 1-line block ×3, first 2 shown]
	s_mov_b32 s12, exec_lo
	v_and_b32_sdwa v7, v7, v6 dst_sel:DWORD dst_unused:UNUSED_PAD src0_sel:DWORD src1_sel:BYTE_1
	v_mov_b32_e32 v20, v12
	v_and_b32_e32 v10, 0x7f, v7
	v_cmpx_ne_u32_e32 0x7f, v10
	s_cbranch_execz .LBB227_1107
; %bb.1104:                             ;   in Loop: Header=BB227_1059 Depth=1
	v_and_b32_e32 v8, 7, v7
	v_lshrrev_b32_e32 v7, 3, v10
	s_mov_b32 s13, exec_lo
	v_cmpx_gt_u32_e32 8, v10
; %bb.1105:                             ;   in Loop: Header=BB227_1059 Depth=1
	v_ffbh_u32_e32 v7, v8
	v_min_u32_e32 v7, 32, v7
	v_subrev_nc_u32_e32 v10, 28, v7
	v_sub_nc_u32_e32 v7, 29, v7
	v_lshlrev_b64 v[20:21], v10, v[8:9]
	v_and_b32_e32 v8, 7, v20
; %bb.1106:                             ;   in Loop: Header=BB227_1059 Depth=1
	s_or_b32 exec_lo, exec_lo, s13
	v_lshlrev_b32_e32 v10, 16, v6
	v_lshlrev_b32_e32 v8, 20, v8
	v_lshl_add_u32 v7, v7, 23, 0x3c000000
	v_mov_b32_e32 v20, v9
	v_and_b32_e32 v10, 0x80000000, v10
	v_or3_b32 v21, v8, v10, v7
.LBB227_1107:                           ;   in Loop: Header=BB227_1059 Depth=1
	s_or_b32 exec_lo, exec_lo, s12
.LBB227_1108:                           ;   in Loop: Header=BB227_1059 Depth=1
	s_or_b32 exec_lo, exec_lo, s11
.LBB227_1109:                           ;   in Loop: Header=BB227_1059 Depth=1
	s_or_b32 exec_lo, exec_lo, s9
	v_mov_b32_e32 v24, 0
	v_mov_b32_e32 v22, 0
	v_and_b32_sdwa v7, v6, v101 dst_sel:DWORD dst_unused:UNUSED_PAD src0_sel:WORD_1 src1_sel:DWORD
	v_mov_b32_e32 v25, 0
	v_mov_b32_e32 v23, 0
	s_mov_b32 s9, exec_lo
	v_cmpx_ne_u16_e32 0, v7
	s_cbranch_execz .LBB227_1117
; %bb.1110:                             ;   in Loop: Header=BB227_1059 Depth=1
	v_bfrev_b32_e32 v22, 1
	v_mov_b32_e32 v23, 0
	s_mov_b32 s11, exec_lo
	v_cmpx_ne_u16_e32 0x80, v7
	s_cbranch_execz .LBB227_1116
; %bb.1111:                             ;   in Loop: Header=BB227_1059 Depth=1
	v_mov_b32_e32 v22, 0x7f800001
	v_bfe_u32 v10, v6, 16, 7
	v_mov_b32_e32 v23, 0
	s_mov_b32 s12, exec_lo
	v_cmpx_ne_u32_e32 0x7f, v10
	s_cbranch_execz .LBB227_1115
; %bb.1112:                             ;   in Loop: Header=BB227_1059 Depth=1
	v_mov_b32_e32 v7, 7
	s_mov_b32 s13, exec_lo
	v_and_b32_sdwa v8, v6, v7 dst_sel:DWORD dst_unused:UNUSED_PAD src0_sel:WORD_1 src1_sel:DWORD
	v_lshrrev_b32_e32 v7, 3, v10
	v_cmpx_gt_u32_e32 8, v10
; %bb.1113:                             ;   in Loop: Header=BB227_1059 Depth=1
	v_ffbh_u32_e32 v7, v8
	v_min_u32_e32 v7, 32, v7
	v_subrev_nc_u32_e32 v10, 28, v7
	v_sub_nc_u32_e32 v7, 29, v7
	v_lshlrev_b64 v[22:23], v10, v[8:9]
	v_and_b32_e32 v8, 7, v22
; %bb.1114:                             ;   in Loop: Header=BB227_1059 Depth=1
	s_or_b32 exec_lo, exec_lo, s13
	v_mov_b32_e32 v10, 24
	v_lshlrev_b32_e32 v8, 20, v8
	v_lshl_add_u32 v7, v7, 23, 0x3c000000
	v_lshlrev_b32_sdwa v10, v10, v6 dst_sel:DWORD dst_unused:UNUSED_PAD src0_sel:DWORD src1_sel:WORD_1
	v_and_b32_e32 v10, 0x80000000, v10
	v_or3_b32 v8, v8, v10, v7
	v_mov_b32_e32 v23, v9
	v_mov_b32_e32 v22, v8
.LBB227_1115:                           ;   in Loop: Header=BB227_1059 Depth=1
	s_or_b32 exec_lo, exec_lo, s12
.LBB227_1116:                           ;   in Loop: Header=BB227_1059 Depth=1
	s_or_b32 exec_lo, exec_lo, s11
.LBB227_1117:                           ;   in Loop: Header=BB227_1059 Depth=1
	s_or_b32 exec_lo, exec_lo, s9
	s_mov_b32 s9, exec_lo
	v_cmpx_lt_u32_e32 0xffffff, v6
	s_cbranch_execz .LBB227_1125
; %bb.1118:                             ;   in Loop: Header=BB227_1059 Depth=1
	v_mov_b32_e32 v10, v9
	v_mov_b32_e32 v25, v11
	v_cmp_ne_u32_sdwa s4, v6, v99 src0_sel:BYTE_3 src1_sel:DWORD
	v_mov_b32_e32 v24, v10
	s_and_saveexec_b32 s11, s4
	s_cbranch_execz .LBB227_1124
; %bb.1119:                             ;   in Loop: Header=BB227_1059 Depth=1
	v_mov_b32_e32 v12, v9
	v_mov_b32_e32 v25, v13
	v_bfe_u32 v10, v6, 24, 7
	s_mov_b32 s12, exec_lo
	v_mov_b32_e32 v24, v12
	v_cmpx_ne_u32_e32 0x7f, v10
	s_cbranch_execz .LBB227_1123
; %bb.1120:                             ;   in Loop: Header=BB227_1059 Depth=1
	v_mov_b32_e32 v7, 7
	s_mov_b32 s13, exec_lo
	v_and_b32_sdwa v8, v6, v7 dst_sel:DWORD dst_unused:UNUSED_PAD src0_sel:BYTE_3 src1_sel:DWORD
	v_lshrrev_b32_e32 v7, 3, v10
	v_cmpx_gt_u32_e32 8, v10
; %bb.1121:                             ;   in Loop: Header=BB227_1059 Depth=1
	v_ffbh_u32_e32 v7, v8
	v_min_u32_e32 v7, 32, v7
	v_subrev_nc_u32_e32 v10, 28, v7
	v_sub_nc_u32_e32 v7, 29, v7
	v_lshlrev_b64 v[24:25], v10, v[8:9]
	v_and_b32_e32 v8, 7, v24
; %bb.1122:                             ;   in Loop: Header=BB227_1059 Depth=1
	s_or_b32 exec_lo, exec_lo, s13
	v_mov_b32_e32 v10, 24
	v_lshlrev_b32_e32 v8, 20, v8
	v_lshl_add_u32 v7, v7, 23, 0x3c000000
	v_mov_b32_e32 v24, v9
	v_lshlrev_b32_sdwa v6, v10, v6 dst_sel:DWORD dst_unused:UNUSED_PAD src0_sel:DWORD src1_sel:BYTE_3
	v_and_b32_e32 v6, 0x80000000, v6
	v_or3_b32 v25, v8, v6, v7
.LBB227_1123:                           ;   in Loop: Header=BB227_1059 Depth=1
	s_or_b32 exec_lo, exec_lo, s12
.LBB227_1124:                           ;   in Loop: Header=BB227_1059 Depth=1
	s_or_b32 exec_lo, exec_lo, s11
.LBB227_1125:                           ;   in Loop: Header=BB227_1059 Depth=1
	s_or_b32 exec_lo, exec_lo, s9
	v_or_b32_e32 v6, v21, v19
	v_or_b32_e32 v7, v20, v18
	v_or_b32_e32 v8, v24, v22
	v_or_b32_e32 v10, v25, v23
	v_mul_f32_e32 v6, v114, v6
	buffer_store_dword v6, off, s[0:3], s32 offset:236 ; 4-byte Folded Spill
	v_mul_f32_e32 v6, v87, v7
	buffer_store_dword v6, off, s[0:3], s32 offset:244 ; 4-byte Folded Spill
	;; [unrolled: 2-line block ×4, first 2 shown]
	s_and_saveexec_b32 s9, vcc_lo
	s_cbranch_execz .LBB227_1127
; %bb.1126:                             ;   in Loop: Header=BB227_1059 Depth=1
	s_clause 0x1
	buffer_load_dword v6, off, s[0:3], s32 offset:200
	buffer_load_dword v7, off, s[0:3], s32 offset:244
	s_waitcnt vmcnt(1)
	v_cmp_lt_i32_e64 s4, v43, v6
	s_waitcnt vmcnt(0)
	v_cndmask_b32_e64 v7, 0, v7, s4
	v_cmp_lt_i32_e64 s4, v45, v6
	buffer_store_dword v7, off, s[0:3], s32 offset:244 ; 4-byte Folded Spill
	buffer_load_dword v7, off, s[0:3], s32 offset:236 ; 4-byte Folded Reload
	s_waitcnt vmcnt(0)
	v_cndmask_b32_e64 v7, 0, v7, s4
	v_cmp_lt_i32_e64 s4, v44, v6
	buffer_store_dword v7, off, s[0:3], s32 offset:236 ; 4-byte Folded Spill
	buffer_load_dword v7, off, s[0:3], s32 offset:228 ; 4-byte Folded Reload
	s_waitcnt vmcnt(0)
	v_cndmask_b32_e64 v7, 0, v7, s4
	v_cmp_lt_i32_e64 s4, v112, v6
	buffer_load_dword v6, off, s[0:3], s32 offset:216 ; 4-byte Folded Reload
	buffer_store_dword v7, off, s[0:3], s32 offset:228 ; 4-byte Folded Spill
	s_waitcnt vmcnt(0)
	v_cndmask_b32_e64 v6, 0, v6, s4
	buffer_store_dword v6, off, s[0:3], s32 offset:216 ; 4-byte Folded Spill
.LBB227_1127:                           ;   in Loop: Header=BB227_1059 Depth=1
	s_or_b32 exec_lo, exec_lo, s9
	flat_load_dword v6, v[4:5] offset:256
	v_mov_b32_e32 v20, 0
	v_mov_b32_e32 v18, 0
	;; [unrolled: 1-line block ×4, first 2 shown]
	s_waitcnt vmcnt(0) lgkmcnt(0)
	v_cmp_ne_u16_sdwa s4, v6, v9 src0_sel:BYTE_0 src1_sel:DWORD
	s_and_saveexec_b32 s9, s4
	s_cbranch_execz .LBB227_1135
; %bb.1128:                             ;   in Loop: Header=BB227_1059 Depth=1
	v_bfrev_b32_e32 v18, 1
	v_mov_b32_e32 v19, 0
	v_cmp_ne_u16_sdwa s4, v6, v99 src0_sel:BYTE_0 src1_sel:DWORD
	s_and_saveexec_b32 s11, s4
	s_cbranch_execz .LBB227_1134
; %bb.1129:                             ;   in Loop: Header=BB227_1059 Depth=1
	v_mov_b32_e32 v18, 0x7f800001
	v_and_b32_e32 v10, 0x7f, v6
	v_mov_b32_e32 v19, 0
	s_mov_b32 s12, exec_lo
	v_cmpx_ne_u32_e32 0x7f, v10
	s_cbranch_execz .LBB227_1133
; %bb.1130:                             ;   in Loop: Header=BB227_1059 Depth=1
	v_and_b32_e32 v8, 7, v6
	v_lshrrev_b32_e32 v7, 3, v10
	s_mov_b32 s13, exec_lo
	v_cmpx_gt_u32_e32 8, v10
; %bb.1131:                             ;   in Loop: Header=BB227_1059 Depth=1
	v_ffbh_u32_e32 v7, v8
	v_min_u32_e32 v7, 32, v7
	v_subrev_nc_u32_e32 v10, 28, v7
	v_sub_nc_u32_e32 v7, 29, v7
	v_lshlrev_b64 v[18:19], v10, v[8:9]
	v_and_b32_e32 v8, 7, v18
; %bb.1132:                             ;   in Loop: Header=BB227_1059 Depth=1
	s_or_b32 exec_lo, exec_lo, s13
	v_lshlrev_b32_e32 v10, 24, v6
	v_lshlrev_b32_e32 v8, 20, v8
	v_lshl_add_u32 v7, v7, 23, 0x3c000000
	v_and_b32_e32 v10, 0x80000000, v10
	v_or3_b32 v8, v8, v10, v7
	v_mov_b32_e32 v19, v9
	v_mov_b32_e32 v18, v8
.LBB227_1133:                           ;   in Loop: Header=BB227_1059 Depth=1
	s_or_b32 exec_lo, exec_lo, s12
.LBB227_1134:                           ;   in Loop: Header=BB227_1059 Depth=1
	s_or_b32 exec_lo, exec_lo, s11
.LBB227_1135:                           ;   in Loop: Header=BB227_1059 Depth=1
	s_or_b32 exec_lo, exec_lo, s9
	v_cmp_ne_u16_sdwa s4, v6, v9 src0_sel:BYTE_1 src1_sel:DWORD
	s_and_saveexec_b32 s9, s4
	s_cbranch_execz .LBB227_1143
; %bb.1136:                             ;   in Loop: Header=BB227_1059 Depth=1
	v_mov_b32_e32 v10, v9
	v_mov_b32_e32 v21, v11
	v_cmp_ne_u16_sdwa s4, v6, v99 src0_sel:BYTE_1 src1_sel:DWORD
	v_mov_b32_e32 v20, v10
	s_and_saveexec_b32 s11, s4
	s_cbranch_execz .LBB227_1142
; %bb.1137:                             ;   in Loop: Header=BB227_1059 Depth=1
	v_mov_b32_e32 v7, 0xffff
	v_mov_b32_e32 v12, v9
	;; [unrolled: 1-line block ×3, first 2 shown]
	s_mov_b32 s12, exec_lo
	v_and_b32_sdwa v7, v7, v6 dst_sel:DWORD dst_unused:UNUSED_PAD src0_sel:DWORD src1_sel:BYTE_1
	v_mov_b32_e32 v20, v12
	v_and_b32_e32 v10, 0x7f, v7
	v_cmpx_ne_u32_e32 0x7f, v10
	s_cbranch_execz .LBB227_1141
; %bb.1138:                             ;   in Loop: Header=BB227_1059 Depth=1
	v_and_b32_e32 v8, 7, v7
	v_lshrrev_b32_e32 v7, 3, v10
	s_mov_b32 s13, exec_lo
	v_cmpx_gt_u32_e32 8, v10
; %bb.1139:                             ;   in Loop: Header=BB227_1059 Depth=1
	v_ffbh_u32_e32 v7, v8
	v_min_u32_e32 v7, 32, v7
	v_subrev_nc_u32_e32 v10, 28, v7
	v_sub_nc_u32_e32 v7, 29, v7
	v_lshlrev_b64 v[20:21], v10, v[8:9]
	v_and_b32_e32 v8, 7, v20
; %bb.1140:                             ;   in Loop: Header=BB227_1059 Depth=1
	s_or_b32 exec_lo, exec_lo, s13
	v_lshlrev_b32_e32 v10, 16, v6
	v_lshlrev_b32_e32 v8, 20, v8
	v_lshl_add_u32 v7, v7, 23, 0x3c000000
	v_mov_b32_e32 v20, v9
	v_and_b32_e32 v10, 0x80000000, v10
	v_or3_b32 v21, v8, v10, v7
.LBB227_1141:                           ;   in Loop: Header=BB227_1059 Depth=1
	s_or_b32 exec_lo, exec_lo, s12
.LBB227_1142:                           ;   in Loop: Header=BB227_1059 Depth=1
	s_or_b32 exec_lo, exec_lo, s11
.LBB227_1143:                           ;   in Loop: Header=BB227_1059 Depth=1
	s_or_b32 exec_lo, exec_lo, s9
	v_mov_b32_e32 v24, 0
	v_mov_b32_e32 v22, 0
	v_and_b32_sdwa v7, v6, v101 dst_sel:DWORD dst_unused:UNUSED_PAD src0_sel:WORD_1 src1_sel:DWORD
	v_mov_b32_e32 v25, 0
	v_mov_b32_e32 v23, 0
	s_mov_b32 s9, exec_lo
	v_cmpx_ne_u16_e32 0, v7
	s_cbranch_execz .LBB227_1151
; %bb.1144:                             ;   in Loop: Header=BB227_1059 Depth=1
	v_bfrev_b32_e32 v22, 1
	v_mov_b32_e32 v23, 0
	s_mov_b32 s11, exec_lo
	v_cmpx_ne_u16_e32 0x80, v7
	s_cbranch_execz .LBB227_1150
; %bb.1145:                             ;   in Loop: Header=BB227_1059 Depth=1
	v_mov_b32_e32 v22, 0x7f800001
	v_bfe_u32 v10, v6, 16, 7
	v_mov_b32_e32 v23, 0
	s_mov_b32 s12, exec_lo
	v_cmpx_ne_u32_e32 0x7f, v10
	s_cbranch_execz .LBB227_1149
; %bb.1146:                             ;   in Loop: Header=BB227_1059 Depth=1
	v_mov_b32_e32 v7, 7
	s_mov_b32 s13, exec_lo
	v_and_b32_sdwa v8, v6, v7 dst_sel:DWORD dst_unused:UNUSED_PAD src0_sel:WORD_1 src1_sel:DWORD
	v_lshrrev_b32_e32 v7, 3, v10
	v_cmpx_gt_u32_e32 8, v10
; %bb.1147:                             ;   in Loop: Header=BB227_1059 Depth=1
	v_ffbh_u32_e32 v7, v8
	v_min_u32_e32 v7, 32, v7
	v_subrev_nc_u32_e32 v10, 28, v7
	v_sub_nc_u32_e32 v7, 29, v7
	v_lshlrev_b64 v[22:23], v10, v[8:9]
	v_and_b32_e32 v8, 7, v22
; %bb.1148:                             ;   in Loop: Header=BB227_1059 Depth=1
	s_or_b32 exec_lo, exec_lo, s13
	v_mov_b32_e32 v10, 24
	v_lshlrev_b32_e32 v8, 20, v8
	v_lshl_add_u32 v7, v7, 23, 0x3c000000
	v_lshlrev_b32_sdwa v10, v10, v6 dst_sel:DWORD dst_unused:UNUSED_PAD src0_sel:DWORD src1_sel:WORD_1
	v_and_b32_e32 v10, 0x80000000, v10
	v_or3_b32 v8, v8, v10, v7
	v_mov_b32_e32 v23, v9
	v_mov_b32_e32 v22, v8
.LBB227_1149:                           ;   in Loop: Header=BB227_1059 Depth=1
	s_or_b32 exec_lo, exec_lo, s12
.LBB227_1150:                           ;   in Loop: Header=BB227_1059 Depth=1
	s_or_b32 exec_lo, exec_lo, s11
.LBB227_1151:                           ;   in Loop: Header=BB227_1059 Depth=1
	s_or_b32 exec_lo, exec_lo, s9
	s_mov_b32 s9, exec_lo
	v_cmpx_lt_u32_e32 0xffffff, v6
	s_cbranch_execz .LBB227_1159
; %bb.1152:                             ;   in Loop: Header=BB227_1059 Depth=1
	v_mov_b32_e32 v10, v9
	v_mov_b32_e32 v25, v11
	v_cmp_ne_u32_sdwa s4, v6, v99 src0_sel:BYTE_3 src1_sel:DWORD
	v_mov_b32_e32 v24, v10
	s_and_saveexec_b32 s11, s4
	s_cbranch_execz .LBB227_1158
; %bb.1153:                             ;   in Loop: Header=BB227_1059 Depth=1
	v_mov_b32_e32 v12, v9
	v_mov_b32_e32 v25, v13
	v_bfe_u32 v10, v6, 24, 7
	s_mov_b32 s12, exec_lo
	v_mov_b32_e32 v24, v12
	v_cmpx_ne_u32_e32 0x7f, v10
	s_cbranch_execz .LBB227_1157
; %bb.1154:                             ;   in Loop: Header=BB227_1059 Depth=1
	v_mov_b32_e32 v7, 7
	s_mov_b32 s13, exec_lo
	v_and_b32_sdwa v8, v6, v7 dst_sel:DWORD dst_unused:UNUSED_PAD src0_sel:BYTE_3 src1_sel:DWORD
	v_lshrrev_b32_e32 v7, 3, v10
	v_cmpx_gt_u32_e32 8, v10
; %bb.1155:                             ;   in Loop: Header=BB227_1059 Depth=1
	v_ffbh_u32_e32 v7, v8
	v_min_u32_e32 v7, 32, v7
	v_subrev_nc_u32_e32 v10, 28, v7
	v_sub_nc_u32_e32 v7, 29, v7
	v_lshlrev_b64 v[24:25], v10, v[8:9]
	v_and_b32_e32 v8, 7, v24
; %bb.1156:                             ;   in Loop: Header=BB227_1059 Depth=1
	s_or_b32 exec_lo, exec_lo, s13
	v_mov_b32_e32 v10, 24
	v_lshlrev_b32_e32 v8, 20, v8
	v_lshl_add_u32 v7, v7, 23, 0x3c000000
	v_mov_b32_e32 v24, v9
	v_lshlrev_b32_sdwa v6, v10, v6 dst_sel:DWORD dst_unused:UNUSED_PAD src0_sel:DWORD src1_sel:BYTE_3
	v_and_b32_e32 v6, 0x80000000, v6
	v_or3_b32 v25, v8, v6, v7
.LBB227_1157:                           ;   in Loop: Header=BB227_1059 Depth=1
	s_or_b32 exec_lo, exec_lo, s12
.LBB227_1158:                           ;   in Loop: Header=BB227_1059 Depth=1
	s_or_b32 exec_lo, exec_lo, s11
.LBB227_1159:                           ;   in Loop: Header=BB227_1059 Depth=1
	s_or_b32 exec_lo, exec_lo, s9
	v_or_b32_e32 v6, v21, v19
	v_or_b32_e32 v7, v20, v18
	;; [unrolled: 1-line block ×4, first 2 shown]
	v_mul_f32_e32 v6, v114, v6
	buffer_store_dword v6, off, s[0:3], s32 offset:268 ; 4-byte Folded Spill
	v_mul_f32_e32 v6, v87, v7
	buffer_store_dword v6, off, s[0:3], s32 offset:276 ; 4-byte Folded Spill
	;; [unrolled: 2-line block ×4, first 2 shown]
	s_and_saveexec_b32 s9, vcc_lo
	s_cbranch_execz .LBB227_1161
; %bb.1160:                             ;   in Loop: Header=BB227_1059 Depth=1
	s_clause 0x1
	buffer_load_dword v6, off, s[0:3], s32 offset:200
	buffer_load_dword v7, off, s[0:3], s32 offset:276
	s_waitcnt vmcnt(1)
	v_cmp_lt_i32_e64 s4, v43, v6
	s_waitcnt vmcnt(0)
	v_cndmask_b32_e64 v7, 0, v7, s4
	v_cmp_lt_i32_e64 s4, v45, v6
	buffer_store_dword v7, off, s[0:3], s32 offset:276 ; 4-byte Folded Spill
	buffer_load_dword v7, off, s[0:3], s32 offset:268 ; 4-byte Folded Reload
	s_waitcnt vmcnt(0)
	v_cndmask_b32_e64 v7, 0, v7, s4
	v_cmp_lt_i32_e64 s4, v44, v6
	buffer_store_dword v7, off, s[0:3], s32 offset:268 ; 4-byte Folded Spill
	buffer_load_dword v7, off, s[0:3], s32 offset:260 ; 4-byte Folded Reload
	s_waitcnt vmcnt(0)
	v_cndmask_b32_e64 v7, 0, v7, s4
	v_cmp_lt_i32_e64 s4, v112, v6
	buffer_load_dword v6, off, s[0:3], s32 offset:252 ; 4-byte Folded Reload
	buffer_store_dword v7, off, s[0:3], s32 offset:260 ; 4-byte Folded Spill
	s_waitcnt vmcnt(0)
	v_cndmask_b32_e64 v6, 0, v6, s4
	buffer_store_dword v6, off, s[0:3], s32 offset:252 ; 4-byte Folded Spill
.LBB227_1161:                           ;   in Loop: Header=BB227_1059 Depth=1
	s_or_b32 exec_lo, exec_lo, s9
	flat_load_dword v6, v[4:5] offset:384
	v_mov_b32_e32 v20, 0
	v_mov_b32_e32 v18, 0
	;; [unrolled: 1-line block ×4, first 2 shown]
	s_waitcnt vmcnt(0) lgkmcnt(0)
	v_cmp_ne_u16_sdwa s4, v6, v9 src0_sel:BYTE_0 src1_sel:DWORD
	s_and_saveexec_b32 s9, s4
	s_cbranch_execz .LBB227_1169
; %bb.1162:                             ;   in Loop: Header=BB227_1059 Depth=1
	v_bfrev_b32_e32 v18, 1
	v_mov_b32_e32 v19, 0
	v_cmp_ne_u16_sdwa s4, v6, v99 src0_sel:BYTE_0 src1_sel:DWORD
	s_and_saveexec_b32 s11, s4
	s_cbranch_execz .LBB227_1168
; %bb.1163:                             ;   in Loop: Header=BB227_1059 Depth=1
	v_mov_b32_e32 v18, 0x7f800001
	v_and_b32_e32 v10, 0x7f, v6
	v_mov_b32_e32 v19, 0
	s_mov_b32 s12, exec_lo
	v_cmpx_ne_u32_e32 0x7f, v10
	s_cbranch_execz .LBB227_1167
; %bb.1164:                             ;   in Loop: Header=BB227_1059 Depth=1
	v_and_b32_e32 v8, 7, v6
	v_lshrrev_b32_e32 v7, 3, v10
	s_mov_b32 s13, exec_lo
	v_cmpx_gt_u32_e32 8, v10
; %bb.1165:                             ;   in Loop: Header=BB227_1059 Depth=1
	v_ffbh_u32_e32 v7, v8
	v_min_u32_e32 v7, 32, v7
	v_subrev_nc_u32_e32 v10, 28, v7
	v_sub_nc_u32_e32 v7, 29, v7
	v_lshlrev_b64 v[18:19], v10, v[8:9]
	v_and_b32_e32 v8, 7, v18
; %bb.1166:                             ;   in Loop: Header=BB227_1059 Depth=1
	s_or_b32 exec_lo, exec_lo, s13
	v_lshlrev_b32_e32 v10, 24, v6
	v_lshlrev_b32_e32 v8, 20, v8
	v_lshl_add_u32 v7, v7, 23, 0x3c000000
	v_and_b32_e32 v10, 0x80000000, v10
	v_or3_b32 v8, v8, v10, v7
	v_mov_b32_e32 v19, v9
	v_mov_b32_e32 v18, v8
.LBB227_1167:                           ;   in Loop: Header=BB227_1059 Depth=1
	s_or_b32 exec_lo, exec_lo, s12
.LBB227_1168:                           ;   in Loop: Header=BB227_1059 Depth=1
	s_or_b32 exec_lo, exec_lo, s11
.LBB227_1169:                           ;   in Loop: Header=BB227_1059 Depth=1
	s_or_b32 exec_lo, exec_lo, s9
	v_cmp_ne_u16_sdwa s4, v6, v9 src0_sel:BYTE_1 src1_sel:DWORD
	s_and_saveexec_b32 s9, s4
	s_cbranch_execz .LBB227_1177
; %bb.1170:                             ;   in Loop: Header=BB227_1059 Depth=1
	v_mov_b32_e32 v10, v9
	v_mov_b32_e32 v21, v11
	v_cmp_ne_u16_sdwa s4, v6, v99 src0_sel:BYTE_1 src1_sel:DWORD
	v_mov_b32_e32 v20, v10
	s_and_saveexec_b32 s11, s4
	s_cbranch_execz .LBB227_1176
; %bb.1171:                             ;   in Loop: Header=BB227_1059 Depth=1
	v_mov_b32_e32 v7, 0xffff
	v_mov_b32_e32 v12, v9
	;; [unrolled: 1-line block ×3, first 2 shown]
	s_mov_b32 s12, exec_lo
	v_and_b32_sdwa v7, v7, v6 dst_sel:DWORD dst_unused:UNUSED_PAD src0_sel:DWORD src1_sel:BYTE_1
	v_mov_b32_e32 v20, v12
	v_and_b32_e32 v10, 0x7f, v7
	v_cmpx_ne_u32_e32 0x7f, v10
	s_cbranch_execz .LBB227_1175
; %bb.1172:                             ;   in Loop: Header=BB227_1059 Depth=1
	v_and_b32_e32 v8, 7, v7
	v_lshrrev_b32_e32 v7, 3, v10
	s_mov_b32 s13, exec_lo
	v_cmpx_gt_u32_e32 8, v10
; %bb.1173:                             ;   in Loop: Header=BB227_1059 Depth=1
	v_ffbh_u32_e32 v7, v8
	v_min_u32_e32 v7, 32, v7
	v_subrev_nc_u32_e32 v10, 28, v7
	v_sub_nc_u32_e32 v7, 29, v7
	v_lshlrev_b64 v[20:21], v10, v[8:9]
	v_and_b32_e32 v8, 7, v20
; %bb.1174:                             ;   in Loop: Header=BB227_1059 Depth=1
	s_or_b32 exec_lo, exec_lo, s13
	v_lshlrev_b32_e32 v10, 16, v6
	v_lshlrev_b32_e32 v8, 20, v8
	v_lshl_add_u32 v7, v7, 23, 0x3c000000
	v_mov_b32_e32 v20, v9
	v_and_b32_e32 v10, 0x80000000, v10
	v_or3_b32 v21, v8, v10, v7
.LBB227_1175:                           ;   in Loop: Header=BB227_1059 Depth=1
	s_or_b32 exec_lo, exec_lo, s12
.LBB227_1176:                           ;   in Loop: Header=BB227_1059 Depth=1
	s_or_b32 exec_lo, exec_lo, s11
.LBB227_1177:                           ;   in Loop: Header=BB227_1059 Depth=1
	s_or_b32 exec_lo, exec_lo, s9
	v_mov_b32_e32 v24, 0
	v_mov_b32_e32 v22, 0
	v_and_b32_sdwa v7, v6, v101 dst_sel:DWORD dst_unused:UNUSED_PAD src0_sel:WORD_1 src1_sel:DWORD
	v_mov_b32_e32 v25, 0
	v_mov_b32_e32 v23, 0
	s_mov_b32 s9, exec_lo
	v_cmpx_ne_u16_e32 0, v7
	s_cbranch_execz .LBB227_1185
; %bb.1178:                             ;   in Loop: Header=BB227_1059 Depth=1
	v_bfrev_b32_e32 v22, 1
	v_mov_b32_e32 v23, 0
	s_mov_b32 s11, exec_lo
	v_cmpx_ne_u16_e32 0x80, v7
	s_cbranch_execz .LBB227_1184
; %bb.1179:                             ;   in Loop: Header=BB227_1059 Depth=1
	v_mov_b32_e32 v22, 0x7f800001
	v_bfe_u32 v10, v6, 16, 7
	v_mov_b32_e32 v23, 0
	s_mov_b32 s12, exec_lo
	v_cmpx_ne_u32_e32 0x7f, v10
	s_cbranch_execz .LBB227_1183
; %bb.1180:                             ;   in Loop: Header=BB227_1059 Depth=1
	v_mov_b32_e32 v7, 7
	s_mov_b32 s13, exec_lo
	v_and_b32_sdwa v8, v6, v7 dst_sel:DWORD dst_unused:UNUSED_PAD src0_sel:WORD_1 src1_sel:DWORD
	v_lshrrev_b32_e32 v7, 3, v10
	v_cmpx_gt_u32_e32 8, v10
; %bb.1181:                             ;   in Loop: Header=BB227_1059 Depth=1
	v_ffbh_u32_e32 v7, v8
	v_min_u32_e32 v7, 32, v7
	v_subrev_nc_u32_e32 v10, 28, v7
	v_sub_nc_u32_e32 v7, 29, v7
	v_lshlrev_b64 v[22:23], v10, v[8:9]
	v_and_b32_e32 v8, 7, v22
; %bb.1182:                             ;   in Loop: Header=BB227_1059 Depth=1
	s_or_b32 exec_lo, exec_lo, s13
	v_mov_b32_e32 v10, 24
	v_lshlrev_b32_e32 v8, 20, v8
	v_lshl_add_u32 v7, v7, 23, 0x3c000000
	v_lshlrev_b32_sdwa v10, v10, v6 dst_sel:DWORD dst_unused:UNUSED_PAD src0_sel:DWORD src1_sel:WORD_1
	v_and_b32_e32 v10, 0x80000000, v10
	v_or3_b32 v8, v8, v10, v7
	v_mov_b32_e32 v23, v9
	v_mov_b32_e32 v22, v8
.LBB227_1183:                           ;   in Loop: Header=BB227_1059 Depth=1
	s_or_b32 exec_lo, exec_lo, s12
.LBB227_1184:                           ;   in Loop: Header=BB227_1059 Depth=1
	s_or_b32 exec_lo, exec_lo, s11
.LBB227_1185:                           ;   in Loop: Header=BB227_1059 Depth=1
	s_or_b32 exec_lo, exec_lo, s9
	s_mov_b32 s9, exec_lo
	v_cmpx_lt_u32_e32 0xffffff, v6
	s_cbranch_execz .LBB227_1193
; %bb.1186:                             ;   in Loop: Header=BB227_1059 Depth=1
	v_mov_b32_e32 v10, v9
	v_mov_b32_e32 v25, v11
	v_cmp_ne_u32_sdwa s4, v6, v99 src0_sel:BYTE_3 src1_sel:DWORD
	v_mov_b32_e32 v24, v10
	s_and_saveexec_b32 s11, s4
	s_cbranch_execz .LBB227_1192
; %bb.1187:                             ;   in Loop: Header=BB227_1059 Depth=1
	v_mov_b32_e32 v12, v9
	v_mov_b32_e32 v25, v13
	v_bfe_u32 v10, v6, 24, 7
	s_mov_b32 s12, exec_lo
	v_mov_b32_e32 v24, v12
	v_cmpx_ne_u32_e32 0x7f, v10
	s_cbranch_execz .LBB227_1191
; %bb.1188:                             ;   in Loop: Header=BB227_1059 Depth=1
	v_mov_b32_e32 v7, 7
	s_mov_b32 s13, exec_lo
	v_and_b32_sdwa v8, v6, v7 dst_sel:DWORD dst_unused:UNUSED_PAD src0_sel:BYTE_3 src1_sel:DWORD
	v_lshrrev_b32_e32 v7, 3, v10
	v_cmpx_gt_u32_e32 8, v10
; %bb.1189:                             ;   in Loop: Header=BB227_1059 Depth=1
	v_ffbh_u32_e32 v7, v8
	v_min_u32_e32 v7, 32, v7
	v_subrev_nc_u32_e32 v10, 28, v7
	v_sub_nc_u32_e32 v7, 29, v7
	v_lshlrev_b64 v[24:25], v10, v[8:9]
	v_and_b32_e32 v8, 7, v24
; %bb.1190:                             ;   in Loop: Header=BB227_1059 Depth=1
	s_or_b32 exec_lo, exec_lo, s13
	v_mov_b32_e32 v10, 24
	v_lshlrev_b32_e32 v8, 20, v8
	v_lshl_add_u32 v7, v7, 23, 0x3c000000
	v_mov_b32_e32 v24, v9
	v_lshlrev_b32_sdwa v6, v10, v6 dst_sel:DWORD dst_unused:UNUSED_PAD src0_sel:DWORD src1_sel:BYTE_3
	v_and_b32_e32 v6, 0x80000000, v6
	v_or3_b32 v25, v8, v6, v7
.LBB227_1191:                           ;   in Loop: Header=BB227_1059 Depth=1
	s_or_b32 exec_lo, exec_lo, s12
.LBB227_1192:                           ;   in Loop: Header=BB227_1059 Depth=1
	s_or_b32 exec_lo, exec_lo, s11
.LBB227_1193:                           ;   in Loop: Header=BB227_1059 Depth=1
	s_or_b32 exec_lo, exec_lo, s9
	v_or_b32_e32 v6, v21, v19
	v_or_b32_e32 v7, v20, v18
	;; [unrolled: 1-line block ×4, first 2 shown]
	v_mul_f32_e32 v6, v114, v6
	buffer_store_dword v6, off, s[0:3], s32 offset:308 ; 4-byte Folded Spill
	v_mul_f32_e32 v6, v87, v7
	buffer_store_dword v6, off, s[0:3], s32 offset:300 ; 4-byte Folded Spill
	;; [unrolled: 2-line block ×4, first 2 shown]
	s_and_saveexec_b32 s9, vcc_lo
	s_cbranch_execz .LBB227_1195
; %bb.1194:                             ;   in Loop: Header=BB227_1059 Depth=1
	s_clause 0x1
	buffer_load_dword v6, off, s[0:3], s32 offset:200
	buffer_load_dword v7, off, s[0:3], s32 offset:300
	s_waitcnt vmcnt(1)
	v_cmp_lt_i32_e64 s4, v43, v6
	s_waitcnt vmcnt(0)
	v_cndmask_b32_e64 v7, 0, v7, s4
	v_cmp_lt_i32_e64 s4, v45, v6
	buffer_store_dword v7, off, s[0:3], s32 offset:300 ; 4-byte Folded Spill
	buffer_load_dword v7, off, s[0:3], s32 offset:308 ; 4-byte Folded Reload
	s_waitcnt vmcnt(0)
	v_cndmask_b32_e64 v7, 0, v7, s4
	v_cmp_lt_i32_e64 s4, v44, v6
	buffer_store_dword v7, off, s[0:3], s32 offset:308 ; 4-byte Folded Spill
	buffer_load_dword v7, off, s[0:3], s32 offset:292 ; 4-byte Folded Reload
	s_waitcnt vmcnt(0)
	v_cndmask_b32_e64 v7, 0, v7, s4
	v_cmp_lt_i32_e64 s4, v112, v6
	buffer_load_dword v6, off, s[0:3], s32 offset:284 ; 4-byte Folded Reload
	buffer_store_dword v7, off, s[0:3], s32 offset:292 ; 4-byte Folded Spill
	s_waitcnt vmcnt(0)
	v_cndmask_b32_e64 v6, 0, v6, s4
	buffer_store_dword v6, off, s[0:3], s32 offset:284 ; 4-byte Folded Spill
.LBB227_1195:                           ;   in Loop: Header=BB227_1059 Depth=1
	s_or_b32 exec_lo, exec_lo, s9
	flat_load_dword v6, v[4:5] offset:512
	v_mov_b32_e32 v20, 0
	v_mov_b32_e32 v18, 0
	v_mov_b32_e32 v21, 0
	v_mov_b32_e32 v19, 0
	s_waitcnt vmcnt(0) lgkmcnt(0)
	v_cmp_ne_u16_sdwa s4, v6, v9 src0_sel:BYTE_0 src1_sel:DWORD
	s_and_saveexec_b32 s9, s4
	s_cbranch_execz .LBB227_1203
; %bb.1196:                             ;   in Loop: Header=BB227_1059 Depth=1
	v_bfrev_b32_e32 v18, 1
	v_mov_b32_e32 v19, 0
	v_cmp_ne_u16_sdwa s4, v6, v99 src0_sel:BYTE_0 src1_sel:DWORD
	s_and_saveexec_b32 s11, s4
	s_cbranch_execz .LBB227_1202
; %bb.1197:                             ;   in Loop: Header=BB227_1059 Depth=1
	v_mov_b32_e32 v18, 0x7f800001
	v_and_b32_e32 v10, 0x7f, v6
	v_mov_b32_e32 v19, 0
	s_mov_b32 s12, exec_lo
	v_cmpx_ne_u32_e32 0x7f, v10
	s_cbranch_execz .LBB227_1201
; %bb.1198:                             ;   in Loop: Header=BB227_1059 Depth=1
	v_and_b32_e32 v8, 7, v6
	v_lshrrev_b32_e32 v7, 3, v10
	s_mov_b32 s13, exec_lo
	v_cmpx_gt_u32_e32 8, v10
; %bb.1199:                             ;   in Loop: Header=BB227_1059 Depth=1
	v_ffbh_u32_e32 v7, v8
	v_min_u32_e32 v7, 32, v7
	v_subrev_nc_u32_e32 v10, 28, v7
	v_sub_nc_u32_e32 v7, 29, v7
	v_lshlrev_b64 v[18:19], v10, v[8:9]
	v_and_b32_e32 v8, 7, v18
; %bb.1200:                             ;   in Loop: Header=BB227_1059 Depth=1
	s_or_b32 exec_lo, exec_lo, s13
	v_lshlrev_b32_e32 v10, 24, v6
	v_lshlrev_b32_e32 v8, 20, v8
	v_lshl_add_u32 v7, v7, 23, 0x3c000000
	v_and_b32_e32 v10, 0x80000000, v10
	v_or3_b32 v8, v8, v10, v7
	v_mov_b32_e32 v19, v9
	v_mov_b32_e32 v18, v8
.LBB227_1201:                           ;   in Loop: Header=BB227_1059 Depth=1
	s_or_b32 exec_lo, exec_lo, s12
.LBB227_1202:                           ;   in Loop: Header=BB227_1059 Depth=1
	s_or_b32 exec_lo, exec_lo, s11
.LBB227_1203:                           ;   in Loop: Header=BB227_1059 Depth=1
	s_or_b32 exec_lo, exec_lo, s9
	v_cmp_ne_u16_sdwa s4, v6, v9 src0_sel:BYTE_1 src1_sel:DWORD
	s_and_saveexec_b32 s9, s4
	s_cbranch_execz .LBB227_1211
; %bb.1204:                             ;   in Loop: Header=BB227_1059 Depth=1
	v_mov_b32_e32 v10, v9
	v_mov_b32_e32 v21, v11
	v_cmp_ne_u16_sdwa s4, v6, v99 src0_sel:BYTE_1 src1_sel:DWORD
	v_mov_b32_e32 v20, v10
	s_and_saveexec_b32 s11, s4
	s_cbranch_execz .LBB227_1210
; %bb.1205:                             ;   in Loop: Header=BB227_1059 Depth=1
	v_mov_b32_e32 v7, 0xffff
	v_mov_b32_e32 v12, v9
	;; [unrolled: 1-line block ×3, first 2 shown]
	s_mov_b32 s12, exec_lo
	v_and_b32_sdwa v7, v7, v6 dst_sel:DWORD dst_unused:UNUSED_PAD src0_sel:DWORD src1_sel:BYTE_1
	v_mov_b32_e32 v20, v12
	v_and_b32_e32 v10, 0x7f, v7
	v_cmpx_ne_u32_e32 0x7f, v10
	s_cbranch_execz .LBB227_1209
; %bb.1206:                             ;   in Loop: Header=BB227_1059 Depth=1
	v_and_b32_e32 v8, 7, v7
	v_lshrrev_b32_e32 v7, 3, v10
	s_mov_b32 s13, exec_lo
	v_cmpx_gt_u32_e32 8, v10
; %bb.1207:                             ;   in Loop: Header=BB227_1059 Depth=1
	v_ffbh_u32_e32 v7, v8
	v_min_u32_e32 v7, 32, v7
	v_subrev_nc_u32_e32 v10, 28, v7
	v_sub_nc_u32_e32 v7, 29, v7
	v_lshlrev_b64 v[20:21], v10, v[8:9]
	v_and_b32_e32 v8, 7, v20
; %bb.1208:                             ;   in Loop: Header=BB227_1059 Depth=1
	s_or_b32 exec_lo, exec_lo, s13
	v_lshlrev_b32_e32 v10, 16, v6
	v_lshlrev_b32_e32 v8, 20, v8
	v_lshl_add_u32 v7, v7, 23, 0x3c000000
	v_mov_b32_e32 v20, v9
	v_and_b32_e32 v10, 0x80000000, v10
	v_or3_b32 v21, v8, v10, v7
.LBB227_1209:                           ;   in Loop: Header=BB227_1059 Depth=1
	s_or_b32 exec_lo, exec_lo, s12
.LBB227_1210:                           ;   in Loop: Header=BB227_1059 Depth=1
	s_or_b32 exec_lo, exec_lo, s11
.LBB227_1211:                           ;   in Loop: Header=BB227_1059 Depth=1
	s_or_b32 exec_lo, exec_lo, s9
	v_mov_b32_e32 v24, 0
	v_mov_b32_e32 v22, 0
	v_and_b32_sdwa v7, v6, v101 dst_sel:DWORD dst_unused:UNUSED_PAD src0_sel:WORD_1 src1_sel:DWORD
	v_mov_b32_e32 v25, 0
	v_mov_b32_e32 v23, 0
	s_mov_b32 s9, exec_lo
	v_cmpx_ne_u16_e32 0, v7
	s_cbranch_execz .LBB227_1219
; %bb.1212:                             ;   in Loop: Header=BB227_1059 Depth=1
	v_bfrev_b32_e32 v22, 1
	v_mov_b32_e32 v23, 0
	s_mov_b32 s11, exec_lo
	v_cmpx_ne_u16_e32 0x80, v7
	s_cbranch_execz .LBB227_1218
; %bb.1213:                             ;   in Loop: Header=BB227_1059 Depth=1
	v_mov_b32_e32 v22, 0x7f800001
	v_bfe_u32 v10, v6, 16, 7
	v_mov_b32_e32 v23, 0
	s_mov_b32 s12, exec_lo
	v_cmpx_ne_u32_e32 0x7f, v10
	s_cbranch_execz .LBB227_1217
; %bb.1214:                             ;   in Loop: Header=BB227_1059 Depth=1
	v_mov_b32_e32 v7, 7
	s_mov_b32 s13, exec_lo
	v_and_b32_sdwa v8, v6, v7 dst_sel:DWORD dst_unused:UNUSED_PAD src0_sel:WORD_1 src1_sel:DWORD
	v_lshrrev_b32_e32 v7, 3, v10
	v_cmpx_gt_u32_e32 8, v10
; %bb.1215:                             ;   in Loop: Header=BB227_1059 Depth=1
	v_ffbh_u32_e32 v7, v8
	v_min_u32_e32 v7, 32, v7
	v_subrev_nc_u32_e32 v10, 28, v7
	v_sub_nc_u32_e32 v7, 29, v7
	v_lshlrev_b64 v[22:23], v10, v[8:9]
	v_and_b32_e32 v8, 7, v22
; %bb.1216:                             ;   in Loop: Header=BB227_1059 Depth=1
	s_or_b32 exec_lo, exec_lo, s13
	v_mov_b32_e32 v10, 24
	v_lshlrev_b32_e32 v8, 20, v8
	v_lshl_add_u32 v7, v7, 23, 0x3c000000
	v_lshlrev_b32_sdwa v10, v10, v6 dst_sel:DWORD dst_unused:UNUSED_PAD src0_sel:DWORD src1_sel:WORD_1
	v_and_b32_e32 v10, 0x80000000, v10
	v_or3_b32 v8, v8, v10, v7
	v_mov_b32_e32 v23, v9
	v_mov_b32_e32 v22, v8
.LBB227_1217:                           ;   in Loop: Header=BB227_1059 Depth=1
	s_or_b32 exec_lo, exec_lo, s12
.LBB227_1218:                           ;   in Loop: Header=BB227_1059 Depth=1
	s_or_b32 exec_lo, exec_lo, s11
.LBB227_1219:                           ;   in Loop: Header=BB227_1059 Depth=1
	s_or_b32 exec_lo, exec_lo, s9
	s_mov_b32 s9, exec_lo
	v_cmpx_lt_u32_e32 0xffffff, v6
	s_cbranch_execz .LBB227_1227
; %bb.1220:                             ;   in Loop: Header=BB227_1059 Depth=1
	v_mov_b32_e32 v10, v9
	v_mov_b32_e32 v25, v11
	v_cmp_ne_u32_sdwa s4, v6, v99 src0_sel:BYTE_3 src1_sel:DWORD
	v_mov_b32_e32 v24, v10
	s_and_saveexec_b32 s11, s4
	s_cbranch_execz .LBB227_1226
; %bb.1221:                             ;   in Loop: Header=BB227_1059 Depth=1
	v_mov_b32_e32 v12, v9
	v_mov_b32_e32 v25, v13
	v_bfe_u32 v10, v6, 24, 7
	s_mov_b32 s12, exec_lo
	v_mov_b32_e32 v24, v12
	v_cmpx_ne_u32_e32 0x7f, v10
	s_cbranch_execz .LBB227_1225
; %bb.1222:                             ;   in Loop: Header=BB227_1059 Depth=1
	v_mov_b32_e32 v7, 7
	s_mov_b32 s13, exec_lo
	v_and_b32_sdwa v8, v6, v7 dst_sel:DWORD dst_unused:UNUSED_PAD src0_sel:BYTE_3 src1_sel:DWORD
	v_lshrrev_b32_e32 v7, 3, v10
	v_cmpx_gt_u32_e32 8, v10
; %bb.1223:                             ;   in Loop: Header=BB227_1059 Depth=1
	v_ffbh_u32_e32 v7, v8
	v_min_u32_e32 v7, 32, v7
	v_subrev_nc_u32_e32 v10, 28, v7
	v_sub_nc_u32_e32 v7, 29, v7
	v_lshlrev_b64 v[24:25], v10, v[8:9]
	v_and_b32_e32 v8, 7, v24
; %bb.1224:                             ;   in Loop: Header=BB227_1059 Depth=1
	s_or_b32 exec_lo, exec_lo, s13
	v_mov_b32_e32 v10, 24
	v_lshlrev_b32_e32 v8, 20, v8
	v_lshl_add_u32 v7, v7, 23, 0x3c000000
	v_mov_b32_e32 v24, v9
	v_lshlrev_b32_sdwa v6, v10, v6 dst_sel:DWORD dst_unused:UNUSED_PAD src0_sel:DWORD src1_sel:BYTE_3
	v_and_b32_e32 v6, 0x80000000, v6
	v_or3_b32 v25, v8, v6, v7
.LBB227_1225:                           ;   in Loop: Header=BB227_1059 Depth=1
	s_or_b32 exec_lo, exec_lo, s12
.LBB227_1226:                           ;   in Loop: Header=BB227_1059 Depth=1
	s_or_b32 exec_lo, exec_lo, s11
.LBB227_1227:                           ;   in Loop: Header=BB227_1059 Depth=1
	s_or_b32 exec_lo, exec_lo, s9
	v_or_b32_e32 v6, v21, v19
	v_or_b32_e32 v7, v20, v18
	;; [unrolled: 1-line block ×4, first 2 shown]
	v_mul_f32_e32 v6, v114, v6
	buffer_store_dword v6, off, s[0:3], s32 offset:340 ; 4-byte Folded Spill
	v_mul_f32_e32 v6, v87, v7
	buffer_store_dword v6, off, s[0:3], s32 offset:332 ; 4-byte Folded Spill
	;; [unrolled: 2-line block ×4, first 2 shown]
	s_and_saveexec_b32 s9, vcc_lo
	s_cbranch_execz .LBB227_1229
; %bb.1228:                             ;   in Loop: Header=BB227_1059 Depth=1
	s_clause 0x1
	buffer_load_dword v6, off, s[0:3], s32 offset:200
	buffer_load_dword v7, off, s[0:3], s32 offset:332
	s_waitcnt vmcnt(1)
	v_cmp_lt_i32_e64 s4, v43, v6
	s_waitcnt vmcnt(0)
	v_cndmask_b32_e64 v7, 0, v7, s4
	v_cmp_lt_i32_e64 s4, v45, v6
	buffer_store_dword v7, off, s[0:3], s32 offset:332 ; 4-byte Folded Spill
	buffer_load_dword v7, off, s[0:3], s32 offset:340 ; 4-byte Folded Reload
	s_waitcnt vmcnt(0)
	v_cndmask_b32_e64 v7, 0, v7, s4
	v_cmp_lt_i32_e64 s4, v44, v6
	buffer_store_dword v7, off, s[0:3], s32 offset:340 ; 4-byte Folded Spill
	buffer_load_dword v7, off, s[0:3], s32 offset:324 ; 4-byte Folded Reload
	s_waitcnt vmcnt(0)
	v_cndmask_b32_e64 v7, 0, v7, s4
	v_cmp_lt_i32_e64 s4, v112, v6
	buffer_load_dword v6, off, s[0:3], s32 offset:316 ; 4-byte Folded Reload
	buffer_store_dword v7, off, s[0:3], s32 offset:324 ; 4-byte Folded Spill
	s_waitcnt vmcnt(0)
	v_cndmask_b32_e64 v6, 0, v6, s4
	buffer_store_dword v6, off, s[0:3], s32 offset:316 ; 4-byte Folded Spill
.LBB227_1229:                           ;   in Loop: Header=BB227_1059 Depth=1
	s_or_b32 exec_lo, exec_lo, s9
	flat_load_dword v6, v[4:5] offset:640
	v_mov_b32_e32 v20, 0
	v_mov_b32_e32 v18, 0
	;; [unrolled: 1-line block ×4, first 2 shown]
	s_waitcnt vmcnt(0) lgkmcnt(0)
	v_cmp_ne_u16_sdwa s4, v6, v9 src0_sel:BYTE_0 src1_sel:DWORD
	s_and_saveexec_b32 s9, s4
	s_cbranch_execz .LBB227_1237
; %bb.1230:                             ;   in Loop: Header=BB227_1059 Depth=1
	v_bfrev_b32_e32 v18, 1
	v_mov_b32_e32 v19, 0
	v_cmp_ne_u16_sdwa s4, v6, v99 src0_sel:BYTE_0 src1_sel:DWORD
	s_and_saveexec_b32 s11, s4
	s_cbranch_execz .LBB227_1236
; %bb.1231:                             ;   in Loop: Header=BB227_1059 Depth=1
	v_mov_b32_e32 v18, 0x7f800001
	v_and_b32_e32 v10, 0x7f, v6
	v_mov_b32_e32 v19, 0
	s_mov_b32 s12, exec_lo
	v_cmpx_ne_u32_e32 0x7f, v10
	s_cbranch_execz .LBB227_1235
; %bb.1232:                             ;   in Loop: Header=BB227_1059 Depth=1
	v_and_b32_e32 v8, 7, v6
	v_lshrrev_b32_e32 v7, 3, v10
	s_mov_b32 s13, exec_lo
	v_cmpx_gt_u32_e32 8, v10
; %bb.1233:                             ;   in Loop: Header=BB227_1059 Depth=1
	v_ffbh_u32_e32 v7, v8
	v_min_u32_e32 v7, 32, v7
	v_subrev_nc_u32_e32 v10, 28, v7
	v_sub_nc_u32_e32 v7, 29, v7
	v_lshlrev_b64 v[18:19], v10, v[8:9]
	v_and_b32_e32 v8, 7, v18
; %bb.1234:                             ;   in Loop: Header=BB227_1059 Depth=1
	s_or_b32 exec_lo, exec_lo, s13
	v_lshlrev_b32_e32 v10, 24, v6
	v_lshlrev_b32_e32 v8, 20, v8
	v_lshl_add_u32 v7, v7, 23, 0x3c000000
	v_and_b32_e32 v10, 0x80000000, v10
	v_or3_b32 v8, v8, v10, v7
	v_mov_b32_e32 v19, v9
	v_mov_b32_e32 v18, v8
.LBB227_1235:                           ;   in Loop: Header=BB227_1059 Depth=1
	s_or_b32 exec_lo, exec_lo, s12
.LBB227_1236:                           ;   in Loop: Header=BB227_1059 Depth=1
	s_or_b32 exec_lo, exec_lo, s11
.LBB227_1237:                           ;   in Loop: Header=BB227_1059 Depth=1
	s_or_b32 exec_lo, exec_lo, s9
	v_cmp_ne_u16_sdwa s4, v6, v9 src0_sel:BYTE_1 src1_sel:DWORD
	s_and_saveexec_b32 s9, s4
	s_cbranch_execz .LBB227_1245
; %bb.1238:                             ;   in Loop: Header=BB227_1059 Depth=1
	v_mov_b32_e32 v10, v9
	v_mov_b32_e32 v21, v11
	v_cmp_ne_u16_sdwa s4, v6, v99 src0_sel:BYTE_1 src1_sel:DWORD
	v_mov_b32_e32 v20, v10
	s_and_saveexec_b32 s11, s4
	s_cbranch_execz .LBB227_1244
; %bb.1239:                             ;   in Loop: Header=BB227_1059 Depth=1
	v_mov_b32_e32 v7, 0xffff
	v_mov_b32_e32 v12, v9
	;; [unrolled: 1-line block ×3, first 2 shown]
	s_mov_b32 s12, exec_lo
	v_and_b32_sdwa v7, v7, v6 dst_sel:DWORD dst_unused:UNUSED_PAD src0_sel:DWORD src1_sel:BYTE_1
	v_mov_b32_e32 v20, v12
	v_and_b32_e32 v10, 0x7f, v7
	v_cmpx_ne_u32_e32 0x7f, v10
	s_cbranch_execz .LBB227_1243
; %bb.1240:                             ;   in Loop: Header=BB227_1059 Depth=1
	v_and_b32_e32 v8, 7, v7
	v_lshrrev_b32_e32 v7, 3, v10
	s_mov_b32 s13, exec_lo
	v_cmpx_gt_u32_e32 8, v10
; %bb.1241:                             ;   in Loop: Header=BB227_1059 Depth=1
	v_ffbh_u32_e32 v7, v8
	v_min_u32_e32 v7, 32, v7
	v_subrev_nc_u32_e32 v10, 28, v7
	v_sub_nc_u32_e32 v7, 29, v7
	v_lshlrev_b64 v[20:21], v10, v[8:9]
	v_and_b32_e32 v8, 7, v20
; %bb.1242:                             ;   in Loop: Header=BB227_1059 Depth=1
	s_or_b32 exec_lo, exec_lo, s13
	v_lshlrev_b32_e32 v10, 16, v6
	v_lshlrev_b32_e32 v8, 20, v8
	v_lshl_add_u32 v7, v7, 23, 0x3c000000
	v_mov_b32_e32 v20, v9
	v_and_b32_e32 v10, 0x80000000, v10
	v_or3_b32 v21, v8, v10, v7
.LBB227_1243:                           ;   in Loop: Header=BB227_1059 Depth=1
	s_or_b32 exec_lo, exec_lo, s12
.LBB227_1244:                           ;   in Loop: Header=BB227_1059 Depth=1
	s_or_b32 exec_lo, exec_lo, s11
.LBB227_1245:                           ;   in Loop: Header=BB227_1059 Depth=1
	s_or_b32 exec_lo, exec_lo, s9
	v_mov_b32_e32 v24, 0
	v_mov_b32_e32 v22, 0
	v_and_b32_sdwa v7, v6, v101 dst_sel:DWORD dst_unused:UNUSED_PAD src0_sel:WORD_1 src1_sel:DWORD
	v_mov_b32_e32 v25, 0
	v_mov_b32_e32 v23, 0
	s_mov_b32 s9, exec_lo
	v_cmpx_ne_u16_e32 0, v7
	s_cbranch_execz .LBB227_1253
; %bb.1246:                             ;   in Loop: Header=BB227_1059 Depth=1
	v_bfrev_b32_e32 v22, 1
	v_mov_b32_e32 v23, 0
	s_mov_b32 s11, exec_lo
	v_cmpx_ne_u16_e32 0x80, v7
	s_cbranch_execz .LBB227_1252
; %bb.1247:                             ;   in Loop: Header=BB227_1059 Depth=1
	v_mov_b32_e32 v22, 0x7f800001
	v_bfe_u32 v10, v6, 16, 7
	v_mov_b32_e32 v23, 0
	s_mov_b32 s12, exec_lo
	v_cmpx_ne_u32_e32 0x7f, v10
	s_cbranch_execz .LBB227_1251
; %bb.1248:                             ;   in Loop: Header=BB227_1059 Depth=1
	v_mov_b32_e32 v7, 7
	s_mov_b32 s13, exec_lo
	v_and_b32_sdwa v8, v6, v7 dst_sel:DWORD dst_unused:UNUSED_PAD src0_sel:WORD_1 src1_sel:DWORD
	v_lshrrev_b32_e32 v7, 3, v10
	v_cmpx_gt_u32_e32 8, v10
; %bb.1249:                             ;   in Loop: Header=BB227_1059 Depth=1
	v_ffbh_u32_e32 v7, v8
	v_min_u32_e32 v7, 32, v7
	v_subrev_nc_u32_e32 v10, 28, v7
	v_sub_nc_u32_e32 v7, 29, v7
	v_lshlrev_b64 v[22:23], v10, v[8:9]
	v_and_b32_e32 v8, 7, v22
; %bb.1250:                             ;   in Loop: Header=BB227_1059 Depth=1
	s_or_b32 exec_lo, exec_lo, s13
	v_mov_b32_e32 v10, 24
	v_lshlrev_b32_e32 v8, 20, v8
	v_lshl_add_u32 v7, v7, 23, 0x3c000000
	v_lshlrev_b32_sdwa v10, v10, v6 dst_sel:DWORD dst_unused:UNUSED_PAD src0_sel:DWORD src1_sel:WORD_1
	v_and_b32_e32 v10, 0x80000000, v10
	v_or3_b32 v8, v8, v10, v7
	v_mov_b32_e32 v23, v9
	v_mov_b32_e32 v22, v8
.LBB227_1251:                           ;   in Loop: Header=BB227_1059 Depth=1
	s_or_b32 exec_lo, exec_lo, s12
.LBB227_1252:                           ;   in Loop: Header=BB227_1059 Depth=1
	s_or_b32 exec_lo, exec_lo, s11
.LBB227_1253:                           ;   in Loop: Header=BB227_1059 Depth=1
	s_or_b32 exec_lo, exec_lo, s9
	s_mov_b32 s9, exec_lo
	v_cmpx_lt_u32_e32 0xffffff, v6
	s_cbranch_execz .LBB227_1261
; %bb.1254:                             ;   in Loop: Header=BB227_1059 Depth=1
	v_mov_b32_e32 v10, v9
	v_mov_b32_e32 v25, v11
	v_cmp_ne_u32_sdwa s4, v6, v99 src0_sel:BYTE_3 src1_sel:DWORD
	v_mov_b32_e32 v24, v10
	s_and_saveexec_b32 s11, s4
	s_cbranch_execz .LBB227_1260
; %bb.1255:                             ;   in Loop: Header=BB227_1059 Depth=1
	v_mov_b32_e32 v12, v9
	v_mov_b32_e32 v25, v13
	v_bfe_u32 v10, v6, 24, 7
	s_mov_b32 s12, exec_lo
	v_mov_b32_e32 v24, v12
	v_cmpx_ne_u32_e32 0x7f, v10
	s_cbranch_execz .LBB227_1259
; %bb.1256:                             ;   in Loop: Header=BB227_1059 Depth=1
	v_mov_b32_e32 v7, 7
	s_mov_b32 s13, exec_lo
	v_and_b32_sdwa v8, v6, v7 dst_sel:DWORD dst_unused:UNUSED_PAD src0_sel:BYTE_3 src1_sel:DWORD
	v_lshrrev_b32_e32 v7, 3, v10
	v_cmpx_gt_u32_e32 8, v10
; %bb.1257:                             ;   in Loop: Header=BB227_1059 Depth=1
	v_ffbh_u32_e32 v7, v8
	v_min_u32_e32 v7, 32, v7
	v_subrev_nc_u32_e32 v10, 28, v7
	v_sub_nc_u32_e32 v7, 29, v7
	v_lshlrev_b64 v[24:25], v10, v[8:9]
	v_and_b32_e32 v8, 7, v24
; %bb.1258:                             ;   in Loop: Header=BB227_1059 Depth=1
	s_or_b32 exec_lo, exec_lo, s13
	v_mov_b32_e32 v10, 24
	v_lshlrev_b32_e32 v8, 20, v8
	v_lshl_add_u32 v7, v7, 23, 0x3c000000
	v_mov_b32_e32 v24, v9
	v_lshlrev_b32_sdwa v6, v10, v6 dst_sel:DWORD dst_unused:UNUSED_PAD src0_sel:DWORD src1_sel:BYTE_3
	v_and_b32_e32 v6, 0x80000000, v6
	v_or3_b32 v25, v8, v6, v7
.LBB227_1259:                           ;   in Loop: Header=BB227_1059 Depth=1
	s_or_b32 exec_lo, exec_lo, s12
.LBB227_1260:                           ;   in Loop: Header=BB227_1059 Depth=1
	s_or_b32 exec_lo, exec_lo, s11
.LBB227_1261:                           ;   in Loop: Header=BB227_1059 Depth=1
	s_or_b32 exec_lo, exec_lo, s9
	v_or_b32_e32 v6, v21, v19
	v_or_b32_e32 v7, v20, v18
	;; [unrolled: 1-line block ×4, first 2 shown]
	v_mul_f32_e32 v6, v114, v6
	buffer_store_dword v6, off, s[0:3], s32 offset:364 ; 4-byte Folded Spill
	v_mul_f32_e32 v6, v87, v7
	buffer_store_dword v6, off, s[0:3], s32 offset:372 ; 4-byte Folded Spill
	;; [unrolled: 2-line block ×4, first 2 shown]
	s_and_saveexec_b32 s9, vcc_lo
	s_cbranch_execz .LBB227_1263
; %bb.1262:                             ;   in Loop: Header=BB227_1059 Depth=1
	s_clause 0x1
	buffer_load_dword v6, off, s[0:3], s32 offset:200
	buffer_load_dword v7, off, s[0:3], s32 offset:372
	s_waitcnt vmcnt(1)
	v_cmp_lt_i32_e64 s4, v43, v6
	s_waitcnt vmcnt(0)
	v_cndmask_b32_e64 v7, 0, v7, s4
	v_cmp_lt_i32_e64 s4, v45, v6
	buffer_store_dword v7, off, s[0:3], s32 offset:372 ; 4-byte Folded Spill
	buffer_load_dword v7, off, s[0:3], s32 offset:364 ; 4-byte Folded Reload
	s_waitcnt vmcnt(0)
	v_cndmask_b32_e64 v7, 0, v7, s4
	v_cmp_lt_i32_e64 s4, v44, v6
	buffer_store_dword v7, off, s[0:3], s32 offset:364 ; 4-byte Folded Spill
	buffer_load_dword v7, off, s[0:3], s32 offset:356 ; 4-byte Folded Reload
	s_waitcnt vmcnt(0)
	v_cndmask_b32_e64 v7, 0, v7, s4
	v_cmp_lt_i32_e64 s4, v112, v6
	buffer_load_dword v6, off, s[0:3], s32 offset:348 ; 4-byte Folded Reload
	buffer_store_dword v7, off, s[0:3], s32 offset:356 ; 4-byte Folded Spill
	s_waitcnt vmcnt(0)
	v_cndmask_b32_e64 v6, 0, v6, s4
	buffer_store_dword v6, off, s[0:3], s32 offset:348 ; 4-byte Folded Spill
.LBB227_1263:                           ;   in Loop: Header=BB227_1059 Depth=1
	s_or_b32 exec_lo, exec_lo, s9
	flat_load_dword v6, v[4:5] offset:768
	v_mov_b32_e32 v20, 0
	v_mov_b32_e32 v18, 0
	;; [unrolled: 1-line block ×4, first 2 shown]
	s_waitcnt vmcnt(0) lgkmcnt(0)
	v_cmp_ne_u16_sdwa s4, v6, v9 src0_sel:BYTE_0 src1_sel:DWORD
	s_and_saveexec_b32 s9, s4
	s_cbranch_execz .LBB227_1271
; %bb.1264:                             ;   in Loop: Header=BB227_1059 Depth=1
	v_bfrev_b32_e32 v18, 1
	v_mov_b32_e32 v19, 0
	v_cmp_ne_u16_sdwa s4, v6, v99 src0_sel:BYTE_0 src1_sel:DWORD
	s_and_saveexec_b32 s11, s4
	s_cbranch_execz .LBB227_1270
; %bb.1265:                             ;   in Loop: Header=BB227_1059 Depth=1
	v_mov_b32_e32 v18, 0x7f800001
	v_and_b32_e32 v10, 0x7f, v6
	v_mov_b32_e32 v19, 0
	s_mov_b32 s12, exec_lo
	v_cmpx_ne_u32_e32 0x7f, v10
	s_cbranch_execz .LBB227_1269
; %bb.1266:                             ;   in Loop: Header=BB227_1059 Depth=1
	v_and_b32_e32 v8, 7, v6
	v_lshrrev_b32_e32 v7, 3, v10
	s_mov_b32 s13, exec_lo
	v_cmpx_gt_u32_e32 8, v10
; %bb.1267:                             ;   in Loop: Header=BB227_1059 Depth=1
	v_ffbh_u32_e32 v7, v8
	v_min_u32_e32 v7, 32, v7
	v_subrev_nc_u32_e32 v10, 28, v7
	v_sub_nc_u32_e32 v7, 29, v7
	v_lshlrev_b64 v[18:19], v10, v[8:9]
	v_and_b32_e32 v8, 7, v18
; %bb.1268:                             ;   in Loop: Header=BB227_1059 Depth=1
	s_or_b32 exec_lo, exec_lo, s13
	v_lshlrev_b32_e32 v10, 24, v6
	v_lshlrev_b32_e32 v8, 20, v8
	v_lshl_add_u32 v7, v7, 23, 0x3c000000
	v_and_b32_e32 v10, 0x80000000, v10
	v_or3_b32 v8, v8, v10, v7
	v_mov_b32_e32 v19, v9
	v_mov_b32_e32 v18, v8
.LBB227_1269:                           ;   in Loop: Header=BB227_1059 Depth=1
	s_or_b32 exec_lo, exec_lo, s12
.LBB227_1270:                           ;   in Loop: Header=BB227_1059 Depth=1
	s_or_b32 exec_lo, exec_lo, s11
.LBB227_1271:                           ;   in Loop: Header=BB227_1059 Depth=1
	s_or_b32 exec_lo, exec_lo, s9
	v_cmp_ne_u16_sdwa s4, v6, v9 src0_sel:BYTE_1 src1_sel:DWORD
	s_and_saveexec_b32 s9, s4
	s_cbranch_execz .LBB227_1279
; %bb.1272:                             ;   in Loop: Header=BB227_1059 Depth=1
	v_mov_b32_e32 v10, v9
	v_mov_b32_e32 v21, v11
	v_cmp_ne_u16_sdwa s4, v6, v99 src0_sel:BYTE_1 src1_sel:DWORD
	v_mov_b32_e32 v20, v10
	s_and_saveexec_b32 s11, s4
	s_cbranch_execz .LBB227_1278
; %bb.1273:                             ;   in Loop: Header=BB227_1059 Depth=1
	v_mov_b32_e32 v7, 0xffff
	v_mov_b32_e32 v12, v9
	;; [unrolled: 1-line block ×3, first 2 shown]
	s_mov_b32 s12, exec_lo
	v_and_b32_sdwa v7, v7, v6 dst_sel:DWORD dst_unused:UNUSED_PAD src0_sel:DWORD src1_sel:BYTE_1
	v_mov_b32_e32 v20, v12
	v_and_b32_e32 v10, 0x7f, v7
	v_cmpx_ne_u32_e32 0x7f, v10
	s_cbranch_execz .LBB227_1277
; %bb.1274:                             ;   in Loop: Header=BB227_1059 Depth=1
	v_and_b32_e32 v8, 7, v7
	v_lshrrev_b32_e32 v7, 3, v10
	s_mov_b32 s13, exec_lo
	v_cmpx_gt_u32_e32 8, v10
; %bb.1275:                             ;   in Loop: Header=BB227_1059 Depth=1
	v_ffbh_u32_e32 v7, v8
	v_min_u32_e32 v7, 32, v7
	v_subrev_nc_u32_e32 v10, 28, v7
	v_sub_nc_u32_e32 v7, 29, v7
	v_lshlrev_b64 v[20:21], v10, v[8:9]
	v_and_b32_e32 v8, 7, v20
; %bb.1276:                             ;   in Loop: Header=BB227_1059 Depth=1
	s_or_b32 exec_lo, exec_lo, s13
	v_lshlrev_b32_e32 v10, 16, v6
	v_lshlrev_b32_e32 v8, 20, v8
	v_lshl_add_u32 v7, v7, 23, 0x3c000000
	v_mov_b32_e32 v20, v9
	v_and_b32_e32 v10, 0x80000000, v10
	v_or3_b32 v21, v8, v10, v7
.LBB227_1277:                           ;   in Loop: Header=BB227_1059 Depth=1
	s_or_b32 exec_lo, exec_lo, s12
.LBB227_1278:                           ;   in Loop: Header=BB227_1059 Depth=1
	s_or_b32 exec_lo, exec_lo, s11
.LBB227_1279:                           ;   in Loop: Header=BB227_1059 Depth=1
	s_or_b32 exec_lo, exec_lo, s9
	v_mov_b32_e32 v24, 0
	v_mov_b32_e32 v22, 0
	v_and_b32_sdwa v7, v6, v101 dst_sel:DWORD dst_unused:UNUSED_PAD src0_sel:WORD_1 src1_sel:DWORD
	v_mov_b32_e32 v25, 0
	v_mov_b32_e32 v23, 0
	s_mov_b32 s9, exec_lo
	v_cmpx_ne_u16_e32 0, v7
	s_cbranch_execz .LBB227_1287
; %bb.1280:                             ;   in Loop: Header=BB227_1059 Depth=1
	v_bfrev_b32_e32 v22, 1
	v_mov_b32_e32 v23, 0
	s_mov_b32 s11, exec_lo
	v_cmpx_ne_u16_e32 0x80, v7
	s_cbranch_execz .LBB227_1286
; %bb.1281:                             ;   in Loop: Header=BB227_1059 Depth=1
	v_mov_b32_e32 v22, 0x7f800001
	v_bfe_u32 v10, v6, 16, 7
	v_mov_b32_e32 v23, 0
	s_mov_b32 s12, exec_lo
	v_cmpx_ne_u32_e32 0x7f, v10
	s_cbranch_execz .LBB227_1285
; %bb.1282:                             ;   in Loop: Header=BB227_1059 Depth=1
	v_mov_b32_e32 v7, 7
	s_mov_b32 s13, exec_lo
	v_and_b32_sdwa v8, v6, v7 dst_sel:DWORD dst_unused:UNUSED_PAD src0_sel:WORD_1 src1_sel:DWORD
	v_lshrrev_b32_e32 v7, 3, v10
	v_cmpx_gt_u32_e32 8, v10
; %bb.1283:                             ;   in Loop: Header=BB227_1059 Depth=1
	v_ffbh_u32_e32 v7, v8
	v_min_u32_e32 v7, 32, v7
	v_subrev_nc_u32_e32 v10, 28, v7
	v_sub_nc_u32_e32 v7, 29, v7
	v_lshlrev_b64 v[22:23], v10, v[8:9]
	v_and_b32_e32 v8, 7, v22
; %bb.1284:                             ;   in Loop: Header=BB227_1059 Depth=1
	s_or_b32 exec_lo, exec_lo, s13
	v_mov_b32_e32 v10, 24
	v_lshlrev_b32_e32 v8, 20, v8
	v_lshl_add_u32 v7, v7, 23, 0x3c000000
	v_lshlrev_b32_sdwa v10, v10, v6 dst_sel:DWORD dst_unused:UNUSED_PAD src0_sel:DWORD src1_sel:WORD_1
	v_and_b32_e32 v10, 0x80000000, v10
	v_or3_b32 v8, v8, v10, v7
	v_mov_b32_e32 v23, v9
	v_mov_b32_e32 v22, v8
.LBB227_1285:                           ;   in Loop: Header=BB227_1059 Depth=1
	s_or_b32 exec_lo, exec_lo, s12
.LBB227_1286:                           ;   in Loop: Header=BB227_1059 Depth=1
	s_or_b32 exec_lo, exec_lo, s11
.LBB227_1287:                           ;   in Loop: Header=BB227_1059 Depth=1
	s_or_b32 exec_lo, exec_lo, s9
	s_mov_b32 s9, exec_lo
	v_cmpx_lt_u32_e32 0xffffff, v6
	s_cbranch_execz .LBB227_1295
; %bb.1288:                             ;   in Loop: Header=BB227_1059 Depth=1
	v_mov_b32_e32 v10, v9
	v_mov_b32_e32 v25, v11
	v_cmp_ne_u32_sdwa s4, v6, v99 src0_sel:BYTE_3 src1_sel:DWORD
	v_mov_b32_e32 v24, v10
	s_and_saveexec_b32 s11, s4
	s_cbranch_execz .LBB227_1294
; %bb.1289:                             ;   in Loop: Header=BB227_1059 Depth=1
	v_mov_b32_e32 v12, v9
	v_mov_b32_e32 v25, v13
	v_bfe_u32 v10, v6, 24, 7
	s_mov_b32 s12, exec_lo
	v_mov_b32_e32 v24, v12
	v_cmpx_ne_u32_e32 0x7f, v10
	s_cbranch_execz .LBB227_1293
; %bb.1290:                             ;   in Loop: Header=BB227_1059 Depth=1
	v_mov_b32_e32 v7, 7
	s_mov_b32 s13, exec_lo
	v_and_b32_sdwa v8, v6, v7 dst_sel:DWORD dst_unused:UNUSED_PAD src0_sel:BYTE_3 src1_sel:DWORD
	v_lshrrev_b32_e32 v7, 3, v10
	v_cmpx_gt_u32_e32 8, v10
; %bb.1291:                             ;   in Loop: Header=BB227_1059 Depth=1
	v_ffbh_u32_e32 v7, v8
	v_min_u32_e32 v7, 32, v7
	v_subrev_nc_u32_e32 v10, 28, v7
	v_sub_nc_u32_e32 v7, 29, v7
	v_lshlrev_b64 v[24:25], v10, v[8:9]
	v_and_b32_e32 v8, 7, v24
; %bb.1292:                             ;   in Loop: Header=BB227_1059 Depth=1
	s_or_b32 exec_lo, exec_lo, s13
	v_mov_b32_e32 v10, 24
	v_lshlrev_b32_e32 v8, 20, v8
	v_lshl_add_u32 v7, v7, 23, 0x3c000000
	v_mov_b32_e32 v24, v9
	v_lshlrev_b32_sdwa v6, v10, v6 dst_sel:DWORD dst_unused:UNUSED_PAD src0_sel:DWORD src1_sel:BYTE_3
	v_and_b32_e32 v6, 0x80000000, v6
	v_or3_b32 v25, v8, v6, v7
.LBB227_1293:                           ;   in Loop: Header=BB227_1059 Depth=1
	s_or_b32 exec_lo, exec_lo, s12
.LBB227_1294:                           ;   in Loop: Header=BB227_1059 Depth=1
	s_or_b32 exec_lo, exec_lo, s11
.LBB227_1295:                           ;   in Loop: Header=BB227_1059 Depth=1
	s_or_b32 exec_lo, exec_lo, s9
	v_or_b32_e32 v6, v21, v19
	v_or_b32_e32 v7, v20, v18
	;; [unrolled: 1-line block ×4, first 2 shown]
	v_mul_f32_e32 v6, v114, v6
	buffer_store_dword v6, off, s[0:3], s32 offset:396 ; 4-byte Folded Spill
	v_mul_f32_e32 v6, v87, v7
	buffer_store_dword v6, off, s[0:3], s32 offset:404 ; 4-byte Folded Spill
	;; [unrolled: 2-line block ×4, first 2 shown]
	s_and_saveexec_b32 s9, vcc_lo
	s_cbranch_execz .LBB227_1297
; %bb.1296:                             ;   in Loop: Header=BB227_1059 Depth=1
	s_clause 0x1
	buffer_load_dword v6, off, s[0:3], s32 offset:200
	buffer_load_dword v7, off, s[0:3], s32 offset:404
	s_waitcnt vmcnt(1)
	v_cmp_lt_i32_e64 s4, v43, v6
	s_waitcnt vmcnt(0)
	v_cndmask_b32_e64 v7, 0, v7, s4
	v_cmp_lt_i32_e64 s4, v45, v6
	buffer_store_dword v7, off, s[0:3], s32 offset:404 ; 4-byte Folded Spill
	buffer_load_dword v7, off, s[0:3], s32 offset:396 ; 4-byte Folded Reload
	s_waitcnt vmcnt(0)
	v_cndmask_b32_e64 v7, 0, v7, s4
	v_cmp_lt_i32_e64 s4, v44, v6
	buffer_store_dword v7, off, s[0:3], s32 offset:396 ; 4-byte Folded Spill
	buffer_load_dword v7, off, s[0:3], s32 offset:388 ; 4-byte Folded Reload
	s_waitcnt vmcnt(0)
	v_cndmask_b32_e64 v7, 0, v7, s4
	v_cmp_lt_i32_e64 s4, v112, v6
	buffer_load_dword v6, off, s[0:3], s32 offset:380 ; 4-byte Folded Reload
	buffer_store_dword v7, off, s[0:3], s32 offset:388 ; 4-byte Folded Spill
	s_waitcnt vmcnt(0)
	v_cndmask_b32_e64 v6, 0, v6, s4
	buffer_store_dword v6, off, s[0:3], s32 offset:380 ; 4-byte Folded Spill
.LBB227_1297:                           ;   in Loop: Header=BB227_1059 Depth=1
	s_or_b32 exec_lo, exec_lo, s9
	flat_load_dword v6, v[4:5] offset:896
	v_mov_b32_e32 v20, 0
	v_mov_b32_e32 v18, 0
	;; [unrolled: 1-line block ×4, first 2 shown]
	s_waitcnt vmcnt(0) lgkmcnt(0)
	v_cmp_ne_u16_sdwa s4, v6, v9 src0_sel:BYTE_0 src1_sel:DWORD
	s_and_saveexec_b32 s9, s4
	s_cbranch_execz .LBB227_1305
; %bb.1298:                             ;   in Loop: Header=BB227_1059 Depth=1
	v_bfrev_b32_e32 v18, 1
	v_mov_b32_e32 v19, 0
	v_cmp_ne_u16_sdwa s4, v6, v99 src0_sel:BYTE_0 src1_sel:DWORD
	s_and_saveexec_b32 s11, s4
	s_cbranch_execz .LBB227_1304
; %bb.1299:                             ;   in Loop: Header=BB227_1059 Depth=1
	v_mov_b32_e32 v18, 0x7f800001
	v_and_b32_e32 v10, 0x7f, v6
	v_mov_b32_e32 v19, 0
	s_mov_b32 s12, exec_lo
	v_cmpx_ne_u32_e32 0x7f, v10
	s_cbranch_execz .LBB227_1303
; %bb.1300:                             ;   in Loop: Header=BB227_1059 Depth=1
	v_and_b32_e32 v8, 7, v6
	v_lshrrev_b32_e32 v7, 3, v10
	s_mov_b32 s13, exec_lo
	v_cmpx_gt_u32_e32 8, v10
; %bb.1301:                             ;   in Loop: Header=BB227_1059 Depth=1
	v_ffbh_u32_e32 v7, v8
	v_min_u32_e32 v7, 32, v7
	v_subrev_nc_u32_e32 v10, 28, v7
	v_sub_nc_u32_e32 v7, 29, v7
	v_lshlrev_b64 v[18:19], v10, v[8:9]
	v_and_b32_e32 v8, 7, v18
; %bb.1302:                             ;   in Loop: Header=BB227_1059 Depth=1
	s_or_b32 exec_lo, exec_lo, s13
	v_lshlrev_b32_e32 v10, 24, v6
	v_lshlrev_b32_e32 v8, 20, v8
	v_lshl_add_u32 v7, v7, 23, 0x3c000000
	v_and_b32_e32 v10, 0x80000000, v10
	v_or3_b32 v8, v8, v10, v7
	v_mov_b32_e32 v19, v9
	v_mov_b32_e32 v18, v8
.LBB227_1303:                           ;   in Loop: Header=BB227_1059 Depth=1
	s_or_b32 exec_lo, exec_lo, s12
.LBB227_1304:                           ;   in Loop: Header=BB227_1059 Depth=1
	s_or_b32 exec_lo, exec_lo, s11
.LBB227_1305:                           ;   in Loop: Header=BB227_1059 Depth=1
	s_or_b32 exec_lo, exec_lo, s9
	v_cmp_ne_u16_sdwa s4, v6, v9 src0_sel:BYTE_1 src1_sel:DWORD
	s_and_saveexec_b32 s9, s4
	s_cbranch_execz .LBB227_1313
; %bb.1306:                             ;   in Loop: Header=BB227_1059 Depth=1
	v_mov_b32_e32 v10, v9
	v_mov_b32_e32 v21, v11
	v_cmp_ne_u16_sdwa s4, v6, v99 src0_sel:BYTE_1 src1_sel:DWORD
	v_mov_b32_e32 v20, v10
	s_and_saveexec_b32 s11, s4
	s_cbranch_execz .LBB227_1312
; %bb.1307:                             ;   in Loop: Header=BB227_1059 Depth=1
	v_mov_b32_e32 v7, 0xffff
	v_mov_b32_e32 v12, v9
	;; [unrolled: 1-line block ×3, first 2 shown]
	s_mov_b32 s12, exec_lo
	v_and_b32_sdwa v7, v7, v6 dst_sel:DWORD dst_unused:UNUSED_PAD src0_sel:DWORD src1_sel:BYTE_1
	v_mov_b32_e32 v20, v12
	v_and_b32_e32 v10, 0x7f, v7
	v_cmpx_ne_u32_e32 0x7f, v10
	s_cbranch_execz .LBB227_1311
; %bb.1308:                             ;   in Loop: Header=BB227_1059 Depth=1
	v_and_b32_e32 v8, 7, v7
	v_lshrrev_b32_e32 v7, 3, v10
	s_mov_b32 s13, exec_lo
	v_cmpx_gt_u32_e32 8, v10
; %bb.1309:                             ;   in Loop: Header=BB227_1059 Depth=1
	v_ffbh_u32_e32 v7, v8
	v_min_u32_e32 v7, 32, v7
	v_subrev_nc_u32_e32 v10, 28, v7
	v_sub_nc_u32_e32 v7, 29, v7
	v_lshlrev_b64 v[20:21], v10, v[8:9]
	v_and_b32_e32 v8, 7, v20
; %bb.1310:                             ;   in Loop: Header=BB227_1059 Depth=1
	s_or_b32 exec_lo, exec_lo, s13
	v_lshlrev_b32_e32 v10, 16, v6
	v_lshlrev_b32_e32 v8, 20, v8
	v_lshl_add_u32 v7, v7, 23, 0x3c000000
	v_mov_b32_e32 v20, v9
	v_and_b32_e32 v10, 0x80000000, v10
	v_or3_b32 v21, v8, v10, v7
.LBB227_1311:                           ;   in Loop: Header=BB227_1059 Depth=1
	s_or_b32 exec_lo, exec_lo, s12
.LBB227_1312:                           ;   in Loop: Header=BB227_1059 Depth=1
	s_or_b32 exec_lo, exec_lo, s11
.LBB227_1313:                           ;   in Loop: Header=BB227_1059 Depth=1
	s_or_b32 exec_lo, exec_lo, s9
	v_mov_b32_e32 v24, 0
	v_mov_b32_e32 v22, 0
	v_and_b32_sdwa v7, v6, v101 dst_sel:DWORD dst_unused:UNUSED_PAD src0_sel:WORD_1 src1_sel:DWORD
	v_mov_b32_e32 v25, 0
	v_mov_b32_e32 v23, 0
	s_mov_b32 s9, exec_lo
	v_cmpx_ne_u16_e32 0, v7
	s_cbranch_execz .LBB227_1321
; %bb.1314:                             ;   in Loop: Header=BB227_1059 Depth=1
	v_bfrev_b32_e32 v22, 1
	v_mov_b32_e32 v23, 0
	s_mov_b32 s11, exec_lo
	v_cmpx_ne_u16_e32 0x80, v7
	s_cbranch_execz .LBB227_1320
; %bb.1315:                             ;   in Loop: Header=BB227_1059 Depth=1
	v_mov_b32_e32 v22, 0x7f800001
	v_bfe_u32 v10, v6, 16, 7
	v_mov_b32_e32 v23, 0
	s_mov_b32 s12, exec_lo
	v_cmpx_ne_u32_e32 0x7f, v10
	s_cbranch_execz .LBB227_1319
; %bb.1316:                             ;   in Loop: Header=BB227_1059 Depth=1
	v_mov_b32_e32 v7, 7
	s_mov_b32 s13, exec_lo
	v_and_b32_sdwa v8, v6, v7 dst_sel:DWORD dst_unused:UNUSED_PAD src0_sel:WORD_1 src1_sel:DWORD
	v_lshrrev_b32_e32 v7, 3, v10
	v_cmpx_gt_u32_e32 8, v10
; %bb.1317:                             ;   in Loop: Header=BB227_1059 Depth=1
	v_ffbh_u32_e32 v7, v8
	v_min_u32_e32 v7, 32, v7
	v_subrev_nc_u32_e32 v10, 28, v7
	v_sub_nc_u32_e32 v7, 29, v7
	v_lshlrev_b64 v[22:23], v10, v[8:9]
	v_and_b32_e32 v8, 7, v22
; %bb.1318:                             ;   in Loop: Header=BB227_1059 Depth=1
	s_or_b32 exec_lo, exec_lo, s13
	v_mov_b32_e32 v10, 24
	v_lshlrev_b32_e32 v8, 20, v8
	v_lshl_add_u32 v7, v7, 23, 0x3c000000
	v_lshlrev_b32_sdwa v10, v10, v6 dst_sel:DWORD dst_unused:UNUSED_PAD src0_sel:DWORD src1_sel:WORD_1
	v_and_b32_e32 v10, 0x80000000, v10
	v_or3_b32 v8, v8, v10, v7
	v_mov_b32_e32 v23, v9
	v_mov_b32_e32 v22, v8
.LBB227_1319:                           ;   in Loop: Header=BB227_1059 Depth=1
	s_or_b32 exec_lo, exec_lo, s12
.LBB227_1320:                           ;   in Loop: Header=BB227_1059 Depth=1
	s_or_b32 exec_lo, exec_lo, s11
.LBB227_1321:                           ;   in Loop: Header=BB227_1059 Depth=1
	s_or_b32 exec_lo, exec_lo, s9
	s_mov_b32 s9, exec_lo
	v_cmpx_lt_u32_e32 0xffffff, v6
	s_cbranch_execz .LBB227_1329
; %bb.1322:                             ;   in Loop: Header=BB227_1059 Depth=1
	v_mov_b32_e32 v10, v9
	v_mov_b32_e32 v25, v11
	v_cmp_ne_u32_sdwa s4, v6, v99 src0_sel:BYTE_3 src1_sel:DWORD
	v_mov_b32_e32 v24, v10
	s_and_saveexec_b32 s11, s4
	s_cbranch_execz .LBB227_1328
; %bb.1323:                             ;   in Loop: Header=BB227_1059 Depth=1
	v_mov_b32_e32 v12, v9
	v_mov_b32_e32 v25, v13
	v_bfe_u32 v10, v6, 24, 7
	s_mov_b32 s12, exec_lo
	v_mov_b32_e32 v24, v12
	v_cmpx_ne_u32_e32 0x7f, v10
	s_cbranch_execz .LBB227_1327
; %bb.1324:                             ;   in Loop: Header=BB227_1059 Depth=1
	v_mov_b32_e32 v7, 7
	s_mov_b32 s13, exec_lo
	v_and_b32_sdwa v8, v6, v7 dst_sel:DWORD dst_unused:UNUSED_PAD src0_sel:BYTE_3 src1_sel:DWORD
	v_lshrrev_b32_e32 v7, 3, v10
	v_cmpx_gt_u32_e32 8, v10
; %bb.1325:                             ;   in Loop: Header=BB227_1059 Depth=1
	v_ffbh_u32_e32 v7, v8
	v_min_u32_e32 v7, 32, v7
	v_subrev_nc_u32_e32 v10, 28, v7
	v_sub_nc_u32_e32 v7, 29, v7
	v_lshlrev_b64 v[24:25], v10, v[8:9]
	v_and_b32_e32 v8, 7, v24
; %bb.1326:                             ;   in Loop: Header=BB227_1059 Depth=1
	s_or_b32 exec_lo, exec_lo, s13
	v_mov_b32_e32 v10, 24
	v_lshlrev_b32_e32 v8, 20, v8
	v_lshl_add_u32 v7, v7, 23, 0x3c000000
	v_mov_b32_e32 v24, v9
	v_lshlrev_b32_sdwa v6, v10, v6 dst_sel:DWORD dst_unused:UNUSED_PAD src0_sel:DWORD src1_sel:BYTE_3
	v_and_b32_e32 v6, 0x80000000, v6
	v_or3_b32 v25, v8, v6, v7
.LBB227_1327:                           ;   in Loop: Header=BB227_1059 Depth=1
	s_or_b32 exec_lo, exec_lo, s12
.LBB227_1328:                           ;   in Loop: Header=BB227_1059 Depth=1
	s_or_b32 exec_lo, exec_lo, s11
.LBB227_1329:                           ;   in Loop: Header=BB227_1059 Depth=1
	s_or_b32 exec_lo, exec_lo, s9
	v_or_b32_e32 v6, v21, v19
	v_or_b32_e32 v7, v20, v18
	;; [unrolled: 1-line block ×4, first 2 shown]
	v_mul_f32_e32 v6, v114, v6
	buffer_store_dword v6, off, s[0:3], s32 offset:428 ; 4-byte Folded Spill
	v_mul_f32_e32 v6, v87, v7
	buffer_store_dword v6, off, s[0:3], s32 offset:436 ; 4-byte Folded Spill
	;; [unrolled: 2-line block ×4, first 2 shown]
	s_and_saveexec_b32 s9, vcc_lo
	s_cbranch_execz .LBB227_1331
; %bb.1330:                             ;   in Loop: Header=BB227_1059 Depth=1
	s_clause 0x1
	buffer_load_dword v6, off, s[0:3], s32 offset:200
	buffer_load_dword v7, off, s[0:3], s32 offset:436
	s_waitcnt vmcnt(1)
	v_cmp_lt_i32_e64 s4, v43, v6
	s_waitcnt vmcnt(0)
	v_cndmask_b32_e64 v7, 0, v7, s4
	v_cmp_lt_i32_e64 s4, v45, v6
	buffer_store_dword v7, off, s[0:3], s32 offset:436 ; 4-byte Folded Spill
	buffer_load_dword v7, off, s[0:3], s32 offset:428 ; 4-byte Folded Reload
	s_waitcnt vmcnt(0)
	v_cndmask_b32_e64 v7, 0, v7, s4
	v_cmp_lt_i32_e64 s4, v44, v6
	buffer_store_dword v7, off, s[0:3], s32 offset:428 ; 4-byte Folded Spill
	buffer_load_dword v7, off, s[0:3], s32 offset:420 ; 4-byte Folded Reload
	s_waitcnt vmcnt(0)
	v_cndmask_b32_e64 v7, 0, v7, s4
	v_cmp_lt_i32_e64 s4, v112, v6
	buffer_load_dword v6, off, s[0:3], s32 offset:412 ; 4-byte Folded Reload
	buffer_store_dword v7, off, s[0:3], s32 offset:420 ; 4-byte Folded Spill
	s_waitcnt vmcnt(0)
	v_cndmask_b32_e64 v6, 0, v6, s4
	buffer_store_dword v6, off, s[0:3], s32 offset:412 ; 4-byte Folded Spill
.LBB227_1331:                           ;   in Loop: Header=BB227_1059 Depth=1
	s_or_b32 exec_lo, exec_lo, s9
	flat_load_dword v6, v[4:5] offset:1024
	v_mov_b32_e32 v20, 0
	v_mov_b32_e32 v18, 0
	;; [unrolled: 1-line block ×4, first 2 shown]
	s_waitcnt vmcnt(0) lgkmcnt(0)
	v_cmp_ne_u16_sdwa s4, v6, v9 src0_sel:BYTE_0 src1_sel:DWORD
	s_and_saveexec_b32 s9, s4
	s_cbranch_execz .LBB227_1339
; %bb.1332:                             ;   in Loop: Header=BB227_1059 Depth=1
	v_bfrev_b32_e32 v18, 1
	v_mov_b32_e32 v19, 0
	v_cmp_ne_u16_sdwa s4, v6, v99 src0_sel:BYTE_0 src1_sel:DWORD
	s_and_saveexec_b32 s11, s4
	s_cbranch_execz .LBB227_1338
; %bb.1333:                             ;   in Loop: Header=BB227_1059 Depth=1
	v_mov_b32_e32 v18, 0x7f800001
	v_and_b32_e32 v10, 0x7f, v6
	v_mov_b32_e32 v19, 0
	s_mov_b32 s12, exec_lo
	v_cmpx_ne_u32_e32 0x7f, v10
	s_cbranch_execz .LBB227_1337
; %bb.1334:                             ;   in Loop: Header=BB227_1059 Depth=1
	v_and_b32_e32 v8, 7, v6
	v_lshrrev_b32_e32 v7, 3, v10
	s_mov_b32 s13, exec_lo
	v_cmpx_gt_u32_e32 8, v10
; %bb.1335:                             ;   in Loop: Header=BB227_1059 Depth=1
	v_ffbh_u32_e32 v7, v8
	v_min_u32_e32 v7, 32, v7
	v_subrev_nc_u32_e32 v10, 28, v7
	v_sub_nc_u32_e32 v7, 29, v7
	v_lshlrev_b64 v[18:19], v10, v[8:9]
	v_and_b32_e32 v8, 7, v18
; %bb.1336:                             ;   in Loop: Header=BB227_1059 Depth=1
	s_or_b32 exec_lo, exec_lo, s13
	v_lshlrev_b32_e32 v10, 24, v6
	v_lshlrev_b32_e32 v8, 20, v8
	v_lshl_add_u32 v7, v7, 23, 0x3c000000
	v_and_b32_e32 v10, 0x80000000, v10
	v_or3_b32 v8, v8, v10, v7
	v_mov_b32_e32 v19, v9
	v_mov_b32_e32 v18, v8
.LBB227_1337:                           ;   in Loop: Header=BB227_1059 Depth=1
	s_or_b32 exec_lo, exec_lo, s12
.LBB227_1338:                           ;   in Loop: Header=BB227_1059 Depth=1
	s_or_b32 exec_lo, exec_lo, s11
.LBB227_1339:                           ;   in Loop: Header=BB227_1059 Depth=1
	s_or_b32 exec_lo, exec_lo, s9
	v_cmp_ne_u16_sdwa s4, v6, v9 src0_sel:BYTE_1 src1_sel:DWORD
	s_and_saveexec_b32 s9, s4
	s_cbranch_execz .LBB227_1347
; %bb.1340:                             ;   in Loop: Header=BB227_1059 Depth=1
	v_mov_b32_e32 v10, v9
	v_mov_b32_e32 v21, v11
	v_cmp_ne_u16_sdwa s4, v6, v99 src0_sel:BYTE_1 src1_sel:DWORD
	v_mov_b32_e32 v20, v10
	s_and_saveexec_b32 s11, s4
	s_cbranch_execz .LBB227_1346
; %bb.1341:                             ;   in Loop: Header=BB227_1059 Depth=1
	v_mov_b32_e32 v7, 0xffff
	v_mov_b32_e32 v12, v9
	v_mov_b32_e32 v21, v13
	s_mov_b32 s12, exec_lo
	v_and_b32_sdwa v7, v7, v6 dst_sel:DWORD dst_unused:UNUSED_PAD src0_sel:DWORD src1_sel:BYTE_1
	v_mov_b32_e32 v20, v12
	v_and_b32_e32 v10, 0x7f, v7
	v_cmpx_ne_u32_e32 0x7f, v10
	s_cbranch_execz .LBB227_1345
; %bb.1342:                             ;   in Loop: Header=BB227_1059 Depth=1
	v_and_b32_e32 v8, 7, v7
	v_lshrrev_b32_e32 v7, 3, v10
	s_mov_b32 s13, exec_lo
	v_cmpx_gt_u32_e32 8, v10
; %bb.1343:                             ;   in Loop: Header=BB227_1059 Depth=1
	v_ffbh_u32_e32 v7, v8
	v_min_u32_e32 v7, 32, v7
	v_subrev_nc_u32_e32 v10, 28, v7
	v_sub_nc_u32_e32 v7, 29, v7
	v_lshlrev_b64 v[20:21], v10, v[8:9]
	v_and_b32_e32 v8, 7, v20
; %bb.1344:                             ;   in Loop: Header=BB227_1059 Depth=1
	s_or_b32 exec_lo, exec_lo, s13
	v_lshlrev_b32_e32 v10, 16, v6
	v_lshlrev_b32_e32 v8, 20, v8
	v_lshl_add_u32 v7, v7, 23, 0x3c000000
	v_mov_b32_e32 v20, v9
	v_and_b32_e32 v10, 0x80000000, v10
	v_or3_b32 v21, v8, v10, v7
.LBB227_1345:                           ;   in Loop: Header=BB227_1059 Depth=1
	s_or_b32 exec_lo, exec_lo, s12
.LBB227_1346:                           ;   in Loop: Header=BB227_1059 Depth=1
	s_or_b32 exec_lo, exec_lo, s11
.LBB227_1347:                           ;   in Loop: Header=BB227_1059 Depth=1
	s_or_b32 exec_lo, exec_lo, s9
	v_mov_b32_e32 v24, 0
	v_mov_b32_e32 v22, 0
	v_and_b32_sdwa v7, v6, v101 dst_sel:DWORD dst_unused:UNUSED_PAD src0_sel:WORD_1 src1_sel:DWORD
	v_mov_b32_e32 v25, 0
	v_mov_b32_e32 v23, 0
	s_mov_b32 s9, exec_lo
	v_cmpx_ne_u16_e32 0, v7
	s_cbranch_execz .LBB227_1355
; %bb.1348:                             ;   in Loop: Header=BB227_1059 Depth=1
	v_bfrev_b32_e32 v22, 1
	v_mov_b32_e32 v23, 0
	s_mov_b32 s11, exec_lo
	v_cmpx_ne_u16_e32 0x80, v7
	s_cbranch_execz .LBB227_1354
; %bb.1349:                             ;   in Loop: Header=BB227_1059 Depth=1
	v_mov_b32_e32 v22, 0x7f800001
	v_bfe_u32 v10, v6, 16, 7
	v_mov_b32_e32 v23, 0
	s_mov_b32 s12, exec_lo
	v_cmpx_ne_u32_e32 0x7f, v10
	s_cbranch_execz .LBB227_1353
; %bb.1350:                             ;   in Loop: Header=BB227_1059 Depth=1
	v_mov_b32_e32 v7, 7
	s_mov_b32 s13, exec_lo
	v_and_b32_sdwa v8, v6, v7 dst_sel:DWORD dst_unused:UNUSED_PAD src0_sel:WORD_1 src1_sel:DWORD
	v_lshrrev_b32_e32 v7, 3, v10
	v_cmpx_gt_u32_e32 8, v10
; %bb.1351:                             ;   in Loop: Header=BB227_1059 Depth=1
	v_ffbh_u32_e32 v7, v8
	v_min_u32_e32 v7, 32, v7
	v_subrev_nc_u32_e32 v10, 28, v7
	v_sub_nc_u32_e32 v7, 29, v7
	v_lshlrev_b64 v[22:23], v10, v[8:9]
	v_and_b32_e32 v8, 7, v22
; %bb.1352:                             ;   in Loop: Header=BB227_1059 Depth=1
	s_or_b32 exec_lo, exec_lo, s13
	v_mov_b32_e32 v10, 24
	v_lshlrev_b32_e32 v8, 20, v8
	v_lshl_add_u32 v7, v7, 23, 0x3c000000
	v_lshlrev_b32_sdwa v10, v10, v6 dst_sel:DWORD dst_unused:UNUSED_PAD src0_sel:DWORD src1_sel:WORD_1
	v_and_b32_e32 v10, 0x80000000, v10
	v_or3_b32 v8, v8, v10, v7
	v_mov_b32_e32 v23, v9
	v_mov_b32_e32 v22, v8
.LBB227_1353:                           ;   in Loop: Header=BB227_1059 Depth=1
	s_or_b32 exec_lo, exec_lo, s12
.LBB227_1354:                           ;   in Loop: Header=BB227_1059 Depth=1
	s_or_b32 exec_lo, exec_lo, s11
.LBB227_1355:                           ;   in Loop: Header=BB227_1059 Depth=1
	s_or_b32 exec_lo, exec_lo, s9
	s_mov_b32 s9, exec_lo
	v_cmpx_lt_u32_e32 0xffffff, v6
	s_cbranch_execz .LBB227_1363
; %bb.1356:                             ;   in Loop: Header=BB227_1059 Depth=1
	v_mov_b32_e32 v10, v9
	v_mov_b32_e32 v25, v11
	v_cmp_ne_u32_sdwa s4, v6, v99 src0_sel:BYTE_3 src1_sel:DWORD
	v_mov_b32_e32 v24, v10
	s_and_saveexec_b32 s11, s4
	s_cbranch_execz .LBB227_1362
; %bb.1357:                             ;   in Loop: Header=BB227_1059 Depth=1
	v_mov_b32_e32 v12, v9
	v_mov_b32_e32 v25, v13
	v_bfe_u32 v10, v6, 24, 7
	s_mov_b32 s12, exec_lo
	v_mov_b32_e32 v24, v12
	v_cmpx_ne_u32_e32 0x7f, v10
	s_cbranch_execz .LBB227_1361
; %bb.1358:                             ;   in Loop: Header=BB227_1059 Depth=1
	v_mov_b32_e32 v7, 7
	s_mov_b32 s13, exec_lo
	v_and_b32_sdwa v8, v6, v7 dst_sel:DWORD dst_unused:UNUSED_PAD src0_sel:BYTE_3 src1_sel:DWORD
	v_lshrrev_b32_e32 v7, 3, v10
	v_cmpx_gt_u32_e32 8, v10
; %bb.1359:                             ;   in Loop: Header=BB227_1059 Depth=1
	v_ffbh_u32_e32 v7, v8
	v_min_u32_e32 v7, 32, v7
	v_subrev_nc_u32_e32 v10, 28, v7
	v_sub_nc_u32_e32 v7, 29, v7
	v_lshlrev_b64 v[24:25], v10, v[8:9]
	v_and_b32_e32 v8, 7, v24
; %bb.1360:                             ;   in Loop: Header=BB227_1059 Depth=1
	s_or_b32 exec_lo, exec_lo, s13
	v_mov_b32_e32 v10, 24
	v_lshlrev_b32_e32 v8, 20, v8
	v_lshl_add_u32 v7, v7, 23, 0x3c000000
	v_mov_b32_e32 v24, v9
	v_lshlrev_b32_sdwa v6, v10, v6 dst_sel:DWORD dst_unused:UNUSED_PAD src0_sel:DWORD src1_sel:BYTE_3
	v_and_b32_e32 v6, 0x80000000, v6
	v_or3_b32 v25, v8, v6, v7
.LBB227_1361:                           ;   in Loop: Header=BB227_1059 Depth=1
	s_or_b32 exec_lo, exec_lo, s12
.LBB227_1362:                           ;   in Loop: Header=BB227_1059 Depth=1
	s_or_b32 exec_lo, exec_lo, s11
.LBB227_1363:                           ;   in Loop: Header=BB227_1059 Depth=1
	s_or_b32 exec_lo, exec_lo, s9
	v_or_b32_e32 v6, v21, v19
	v_or_b32_e32 v7, v20, v18
	;; [unrolled: 1-line block ×4, first 2 shown]
	v_mul_f32_e32 v6, v114, v6
	buffer_store_dword v6, off, s[0:3], s32 offset:468 ; 4-byte Folded Spill
	v_mul_f32_e32 v6, v87, v7
	buffer_store_dword v6, off, s[0:3], s32 offset:460 ; 4-byte Folded Spill
	;; [unrolled: 2-line block ×4, first 2 shown]
	s_and_saveexec_b32 s9, vcc_lo
	s_cbranch_execz .LBB227_1365
; %bb.1364:                             ;   in Loop: Header=BB227_1059 Depth=1
	s_clause 0x1
	buffer_load_dword v6, off, s[0:3], s32 offset:200
	buffer_load_dword v7, off, s[0:3], s32 offset:460
	s_waitcnt vmcnt(1)
	v_cmp_lt_i32_e64 s4, v43, v6
	s_waitcnt vmcnt(0)
	v_cndmask_b32_e64 v7, 0, v7, s4
	v_cmp_lt_i32_e64 s4, v45, v6
	buffer_store_dword v7, off, s[0:3], s32 offset:460 ; 4-byte Folded Spill
	buffer_load_dword v7, off, s[0:3], s32 offset:468 ; 4-byte Folded Reload
	s_waitcnt vmcnt(0)
	v_cndmask_b32_e64 v7, 0, v7, s4
	v_cmp_lt_i32_e64 s4, v44, v6
	buffer_store_dword v7, off, s[0:3], s32 offset:468 ; 4-byte Folded Spill
	buffer_load_dword v7, off, s[0:3], s32 offset:452 ; 4-byte Folded Reload
	s_waitcnt vmcnt(0)
	v_cndmask_b32_e64 v7, 0, v7, s4
	v_cmp_lt_i32_e64 s4, v112, v6
	buffer_load_dword v6, off, s[0:3], s32 offset:444 ; 4-byte Folded Reload
	buffer_store_dword v7, off, s[0:3], s32 offset:452 ; 4-byte Folded Spill
	s_waitcnt vmcnt(0)
	v_cndmask_b32_e64 v6, 0, v6, s4
	buffer_store_dword v6, off, s[0:3], s32 offset:444 ; 4-byte Folded Spill
.LBB227_1365:                           ;   in Loop: Header=BB227_1059 Depth=1
	s_or_b32 exec_lo, exec_lo, s9
	flat_load_dword v6, v[4:5] offset:1152
	v_mov_b32_e32 v20, 0
	v_mov_b32_e32 v18, 0
	;; [unrolled: 1-line block ×4, first 2 shown]
	s_waitcnt vmcnt(0) lgkmcnt(0)
	v_cmp_ne_u16_sdwa s4, v6, v9 src0_sel:BYTE_0 src1_sel:DWORD
	s_and_saveexec_b32 s9, s4
	s_cbranch_execz .LBB227_1373
; %bb.1366:                             ;   in Loop: Header=BB227_1059 Depth=1
	v_bfrev_b32_e32 v18, 1
	v_mov_b32_e32 v19, 0
	v_cmp_ne_u16_sdwa s4, v6, v99 src0_sel:BYTE_0 src1_sel:DWORD
	s_and_saveexec_b32 s11, s4
	s_cbranch_execz .LBB227_1372
; %bb.1367:                             ;   in Loop: Header=BB227_1059 Depth=1
	v_mov_b32_e32 v18, 0x7f800001
	v_and_b32_e32 v10, 0x7f, v6
	v_mov_b32_e32 v19, 0
	s_mov_b32 s12, exec_lo
	v_cmpx_ne_u32_e32 0x7f, v10
	s_cbranch_execz .LBB227_1371
; %bb.1368:                             ;   in Loop: Header=BB227_1059 Depth=1
	v_and_b32_e32 v8, 7, v6
	v_lshrrev_b32_e32 v7, 3, v10
	s_mov_b32 s13, exec_lo
	v_cmpx_gt_u32_e32 8, v10
; %bb.1369:                             ;   in Loop: Header=BB227_1059 Depth=1
	v_ffbh_u32_e32 v7, v8
	v_min_u32_e32 v7, 32, v7
	v_subrev_nc_u32_e32 v10, 28, v7
	v_sub_nc_u32_e32 v7, 29, v7
	v_lshlrev_b64 v[18:19], v10, v[8:9]
	v_and_b32_e32 v8, 7, v18
; %bb.1370:                             ;   in Loop: Header=BB227_1059 Depth=1
	s_or_b32 exec_lo, exec_lo, s13
	v_lshlrev_b32_e32 v10, 24, v6
	v_lshlrev_b32_e32 v8, 20, v8
	v_lshl_add_u32 v7, v7, 23, 0x3c000000
	v_and_b32_e32 v10, 0x80000000, v10
	v_or3_b32 v8, v8, v10, v7
	v_mov_b32_e32 v19, v9
	v_mov_b32_e32 v18, v8
.LBB227_1371:                           ;   in Loop: Header=BB227_1059 Depth=1
	s_or_b32 exec_lo, exec_lo, s12
.LBB227_1372:                           ;   in Loop: Header=BB227_1059 Depth=1
	s_or_b32 exec_lo, exec_lo, s11
.LBB227_1373:                           ;   in Loop: Header=BB227_1059 Depth=1
	s_or_b32 exec_lo, exec_lo, s9
	v_cmp_ne_u16_sdwa s4, v6, v9 src0_sel:BYTE_1 src1_sel:DWORD
	s_and_saveexec_b32 s9, s4
	s_cbranch_execz .LBB227_1381
; %bb.1374:                             ;   in Loop: Header=BB227_1059 Depth=1
	v_mov_b32_e32 v10, v9
	v_mov_b32_e32 v21, v11
	v_cmp_ne_u16_sdwa s4, v6, v99 src0_sel:BYTE_1 src1_sel:DWORD
	v_mov_b32_e32 v20, v10
	s_and_saveexec_b32 s11, s4
	s_cbranch_execz .LBB227_1380
; %bb.1375:                             ;   in Loop: Header=BB227_1059 Depth=1
	v_mov_b32_e32 v7, 0xffff
	v_mov_b32_e32 v12, v9
	;; [unrolled: 1-line block ×3, first 2 shown]
	s_mov_b32 s12, exec_lo
	v_and_b32_sdwa v7, v7, v6 dst_sel:DWORD dst_unused:UNUSED_PAD src0_sel:DWORD src1_sel:BYTE_1
	v_mov_b32_e32 v20, v12
	v_and_b32_e32 v10, 0x7f, v7
	v_cmpx_ne_u32_e32 0x7f, v10
	s_cbranch_execz .LBB227_1379
; %bb.1376:                             ;   in Loop: Header=BB227_1059 Depth=1
	v_and_b32_e32 v8, 7, v7
	v_lshrrev_b32_e32 v7, 3, v10
	s_mov_b32 s13, exec_lo
	v_cmpx_gt_u32_e32 8, v10
; %bb.1377:                             ;   in Loop: Header=BB227_1059 Depth=1
	v_ffbh_u32_e32 v7, v8
	v_min_u32_e32 v7, 32, v7
	v_subrev_nc_u32_e32 v10, 28, v7
	v_sub_nc_u32_e32 v7, 29, v7
	v_lshlrev_b64 v[20:21], v10, v[8:9]
	v_and_b32_e32 v8, 7, v20
; %bb.1378:                             ;   in Loop: Header=BB227_1059 Depth=1
	s_or_b32 exec_lo, exec_lo, s13
	v_lshlrev_b32_e32 v10, 16, v6
	v_lshlrev_b32_e32 v8, 20, v8
	v_lshl_add_u32 v7, v7, 23, 0x3c000000
	v_mov_b32_e32 v20, v9
	v_and_b32_e32 v10, 0x80000000, v10
	v_or3_b32 v21, v8, v10, v7
.LBB227_1379:                           ;   in Loop: Header=BB227_1059 Depth=1
	s_or_b32 exec_lo, exec_lo, s12
.LBB227_1380:                           ;   in Loop: Header=BB227_1059 Depth=1
	s_or_b32 exec_lo, exec_lo, s11
.LBB227_1381:                           ;   in Loop: Header=BB227_1059 Depth=1
	s_or_b32 exec_lo, exec_lo, s9
	v_mov_b32_e32 v24, 0
	v_mov_b32_e32 v22, 0
	v_and_b32_sdwa v7, v6, v101 dst_sel:DWORD dst_unused:UNUSED_PAD src0_sel:WORD_1 src1_sel:DWORD
	v_mov_b32_e32 v25, 0
	v_mov_b32_e32 v23, 0
	s_mov_b32 s9, exec_lo
	v_cmpx_ne_u16_e32 0, v7
	s_cbranch_execz .LBB227_1389
; %bb.1382:                             ;   in Loop: Header=BB227_1059 Depth=1
	v_bfrev_b32_e32 v22, 1
	v_mov_b32_e32 v23, 0
	s_mov_b32 s11, exec_lo
	v_cmpx_ne_u16_e32 0x80, v7
	s_cbranch_execz .LBB227_1388
; %bb.1383:                             ;   in Loop: Header=BB227_1059 Depth=1
	v_mov_b32_e32 v22, 0x7f800001
	v_bfe_u32 v10, v6, 16, 7
	v_mov_b32_e32 v23, 0
	s_mov_b32 s12, exec_lo
	v_cmpx_ne_u32_e32 0x7f, v10
	s_cbranch_execz .LBB227_1387
; %bb.1384:                             ;   in Loop: Header=BB227_1059 Depth=1
	v_mov_b32_e32 v7, 7
	s_mov_b32 s13, exec_lo
	v_and_b32_sdwa v8, v6, v7 dst_sel:DWORD dst_unused:UNUSED_PAD src0_sel:WORD_1 src1_sel:DWORD
	v_lshrrev_b32_e32 v7, 3, v10
	v_cmpx_gt_u32_e32 8, v10
; %bb.1385:                             ;   in Loop: Header=BB227_1059 Depth=1
	v_ffbh_u32_e32 v7, v8
	v_min_u32_e32 v7, 32, v7
	v_subrev_nc_u32_e32 v10, 28, v7
	v_sub_nc_u32_e32 v7, 29, v7
	v_lshlrev_b64 v[22:23], v10, v[8:9]
	v_and_b32_e32 v8, 7, v22
; %bb.1386:                             ;   in Loop: Header=BB227_1059 Depth=1
	s_or_b32 exec_lo, exec_lo, s13
	v_mov_b32_e32 v10, 24
	v_lshlrev_b32_e32 v8, 20, v8
	v_lshl_add_u32 v7, v7, 23, 0x3c000000
	v_lshlrev_b32_sdwa v10, v10, v6 dst_sel:DWORD dst_unused:UNUSED_PAD src0_sel:DWORD src1_sel:WORD_1
	v_and_b32_e32 v10, 0x80000000, v10
	v_or3_b32 v8, v8, v10, v7
	v_mov_b32_e32 v23, v9
	v_mov_b32_e32 v22, v8
.LBB227_1387:                           ;   in Loop: Header=BB227_1059 Depth=1
	s_or_b32 exec_lo, exec_lo, s12
.LBB227_1388:                           ;   in Loop: Header=BB227_1059 Depth=1
	s_or_b32 exec_lo, exec_lo, s11
.LBB227_1389:                           ;   in Loop: Header=BB227_1059 Depth=1
	s_or_b32 exec_lo, exec_lo, s9
	s_mov_b32 s9, exec_lo
	v_cmpx_lt_u32_e32 0xffffff, v6
	s_cbranch_execz .LBB227_1397
; %bb.1390:                             ;   in Loop: Header=BB227_1059 Depth=1
	v_mov_b32_e32 v10, v9
	v_mov_b32_e32 v25, v11
	v_cmp_ne_u32_sdwa s4, v6, v99 src0_sel:BYTE_3 src1_sel:DWORD
	v_mov_b32_e32 v24, v10
	s_and_saveexec_b32 s11, s4
	s_cbranch_execz .LBB227_1396
; %bb.1391:                             ;   in Loop: Header=BB227_1059 Depth=1
	v_mov_b32_e32 v12, v9
	v_mov_b32_e32 v25, v13
	v_bfe_u32 v10, v6, 24, 7
	s_mov_b32 s12, exec_lo
	v_mov_b32_e32 v24, v12
	v_cmpx_ne_u32_e32 0x7f, v10
	s_cbranch_execz .LBB227_1395
; %bb.1392:                             ;   in Loop: Header=BB227_1059 Depth=1
	v_mov_b32_e32 v7, 7
	s_mov_b32 s13, exec_lo
	v_and_b32_sdwa v8, v6, v7 dst_sel:DWORD dst_unused:UNUSED_PAD src0_sel:BYTE_3 src1_sel:DWORD
	v_lshrrev_b32_e32 v7, 3, v10
	v_cmpx_gt_u32_e32 8, v10
; %bb.1393:                             ;   in Loop: Header=BB227_1059 Depth=1
	v_ffbh_u32_e32 v7, v8
	v_min_u32_e32 v7, 32, v7
	v_subrev_nc_u32_e32 v10, 28, v7
	v_sub_nc_u32_e32 v7, 29, v7
	v_lshlrev_b64 v[24:25], v10, v[8:9]
	v_and_b32_e32 v8, 7, v24
; %bb.1394:                             ;   in Loop: Header=BB227_1059 Depth=1
	s_or_b32 exec_lo, exec_lo, s13
	v_mov_b32_e32 v10, 24
	v_lshlrev_b32_e32 v8, 20, v8
	v_lshl_add_u32 v7, v7, 23, 0x3c000000
	v_mov_b32_e32 v24, v9
	v_lshlrev_b32_sdwa v6, v10, v6 dst_sel:DWORD dst_unused:UNUSED_PAD src0_sel:DWORD src1_sel:BYTE_3
	v_and_b32_e32 v6, 0x80000000, v6
	v_or3_b32 v25, v8, v6, v7
.LBB227_1395:                           ;   in Loop: Header=BB227_1059 Depth=1
	s_or_b32 exec_lo, exec_lo, s12
.LBB227_1396:                           ;   in Loop: Header=BB227_1059 Depth=1
	s_or_b32 exec_lo, exec_lo, s11
.LBB227_1397:                           ;   in Loop: Header=BB227_1059 Depth=1
	s_or_b32 exec_lo, exec_lo, s9
	v_or_b32_e32 v6, v21, v19
	v_or_b32_e32 v7, v20, v18
	;; [unrolled: 1-line block ×4, first 2 shown]
	v_mul_f32_e32 v6, v114, v6
	buffer_store_dword v6, off, s[0:3], s32 offset:500 ; 4-byte Folded Spill
	v_mul_f32_e32 v6, v87, v7
	buffer_store_dword v6, off, s[0:3], s32 offset:492 ; 4-byte Folded Spill
	;; [unrolled: 2-line block ×4, first 2 shown]
	s_and_saveexec_b32 s9, vcc_lo
	s_cbranch_execz .LBB227_1399
; %bb.1398:                             ;   in Loop: Header=BB227_1059 Depth=1
	s_clause 0x1
	buffer_load_dword v6, off, s[0:3], s32 offset:200
	buffer_load_dword v7, off, s[0:3], s32 offset:492
	s_waitcnt vmcnt(1)
	v_cmp_lt_i32_e64 s4, v43, v6
	s_waitcnt vmcnt(0)
	v_cndmask_b32_e64 v7, 0, v7, s4
	v_cmp_lt_i32_e64 s4, v45, v6
	buffer_store_dword v7, off, s[0:3], s32 offset:492 ; 4-byte Folded Spill
	buffer_load_dword v7, off, s[0:3], s32 offset:500 ; 4-byte Folded Reload
	s_waitcnt vmcnt(0)
	v_cndmask_b32_e64 v7, 0, v7, s4
	v_cmp_lt_i32_e64 s4, v44, v6
	buffer_store_dword v7, off, s[0:3], s32 offset:500 ; 4-byte Folded Spill
	buffer_load_dword v7, off, s[0:3], s32 offset:484 ; 4-byte Folded Reload
	s_waitcnt vmcnt(0)
	v_cndmask_b32_e64 v7, 0, v7, s4
	v_cmp_lt_i32_e64 s4, v112, v6
	buffer_load_dword v6, off, s[0:3], s32 offset:476 ; 4-byte Folded Reload
	buffer_store_dword v7, off, s[0:3], s32 offset:484 ; 4-byte Folded Spill
	s_waitcnt vmcnt(0)
	v_cndmask_b32_e64 v6, 0, v6, s4
	buffer_store_dword v6, off, s[0:3], s32 offset:476 ; 4-byte Folded Spill
.LBB227_1399:                           ;   in Loop: Header=BB227_1059 Depth=1
	s_or_b32 exec_lo, exec_lo, s9
	flat_load_dword v6, v[4:5] offset:1280
	v_mov_b32_e32 v20, 0
	v_mov_b32_e32 v18, 0
	;; [unrolled: 1-line block ×4, first 2 shown]
	s_waitcnt vmcnt(0) lgkmcnt(0)
	v_cmp_ne_u16_sdwa s4, v6, v9 src0_sel:BYTE_0 src1_sel:DWORD
	s_and_saveexec_b32 s9, s4
	s_cbranch_execz .LBB227_1407
; %bb.1400:                             ;   in Loop: Header=BB227_1059 Depth=1
	v_bfrev_b32_e32 v18, 1
	v_mov_b32_e32 v19, 0
	v_cmp_ne_u16_sdwa s4, v6, v99 src0_sel:BYTE_0 src1_sel:DWORD
	s_and_saveexec_b32 s11, s4
	s_cbranch_execz .LBB227_1406
; %bb.1401:                             ;   in Loop: Header=BB227_1059 Depth=1
	v_mov_b32_e32 v18, 0x7f800001
	v_and_b32_e32 v10, 0x7f, v6
	v_mov_b32_e32 v19, 0
	s_mov_b32 s12, exec_lo
	v_cmpx_ne_u32_e32 0x7f, v10
	s_cbranch_execz .LBB227_1405
; %bb.1402:                             ;   in Loop: Header=BB227_1059 Depth=1
	v_and_b32_e32 v8, 7, v6
	v_lshrrev_b32_e32 v7, 3, v10
	s_mov_b32 s13, exec_lo
	v_cmpx_gt_u32_e32 8, v10
; %bb.1403:                             ;   in Loop: Header=BB227_1059 Depth=1
	v_ffbh_u32_e32 v7, v8
	v_min_u32_e32 v7, 32, v7
	v_subrev_nc_u32_e32 v10, 28, v7
	v_sub_nc_u32_e32 v7, 29, v7
	v_lshlrev_b64 v[18:19], v10, v[8:9]
	v_and_b32_e32 v8, 7, v18
; %bb.1404:                             ;   in Loop: Header=BB227_1059 Depth=1
	s_or_b32 exec_lo, exec_lo, s13
	v_lshlrev_b32_e32 v10, 24, v6
	v_lshlrev_b32_e32 v8, 20, v8
	v_lshl_add_u32 v7, v7, 23, 0x3c000000
	v_and_b32_e32 v10, 0x80000000, v10
	v_or3_b32 v8, v8, v10, v7
	v_mov_b32_e32 v19, v9
	v_mov_b32_e32 v18, v8
.LBB227_1405:                           ;   in Loop: Header=BB227_1059 Depth=1
	s_or_b32 exec_lo, exec_lo, s12
.LBB227_1406:                           ;   in Loop: Header=BB227_1059 Depth=1
	s_or_b32 exec_lo, exec_lo, s11
.LBB227_1407:                           ;   in Loop: Header=BB227_1059 Depth=1
	s_or_b32 exec_lo, exec_lo, s9
	v_cmp_ne_u16_sdwa s4, v6, v9 src0_sel:BYTE_1 src1_sel:DWORD
	s_and_saveexec_b32 s9, s4
	s_cbranch_execz .LBB227_1415
; %bb.1408:                             ;   in Loop: Header=BB227_1059 Depth=1
	v_mov_b32_e32 v10, v9
	v_mov_b32_e32 v21, v11
	v_cmp_ne_u16_sdwa s4, v6, v99 src0_sel:BYTE_1 src1_sel:DWORD
	v_mov_b32_e32 v20, v10
	s_and_saveexec_b32 s11, s4
	s_cbranch_execz .LBB227_1414
; %bb.1409:                             ;   in Loop: Header=BB227_1059 Depth=1
	v_mov_b32_e32 v7, 0xffff
	v_mov_b32_e32 v12, v9
	;; [unrolled: 1-line block ×3, first 2 shown]
	s_mov_b32 s12, exec_lo
	v_and_b32_sdwa v7, v7, v6 dst_sel:DWORD dst_unused:UNUSED_PAD src0_sel:DWORD src1_sel:BYTE_1
	v_mov_b32_e32 v20, v12
	v_and_b32_e32 v10, 0x7f, v7
	v_cmpx_ne_u32_e32 0x7f, v10
	s_cbranch_execz .LBB227_1413
; %bb.1410:                             ;   in Loop: Header=BB227_1059 Depth=1
	v_and_b32_e32 v8, 7, v7
	v_lshrrev_b32_e32 v7, 3, v10
	s_mov_b32 s13, exec_lo
	v_cmpx_gt_u32_e32 8, v10
; %bb.1411:                             ;   in Loop: Header=BB227_1059 Depth=1
	v_ffbh_u32_e32 v7, v8
	v_min_u32_e32 v7, 32, v7
	v_subrev_nc_u32_e32 v10, 28, v7
	v_sub_nc_u32_e32 v7, 29, v7
	v_lshlrev_b64 v[20:21], v10, v[8:9]
	v_and_b32_e32 v8, 7, v20
; %bb.1412:                             ;   in Loop: Header=BB227_1059 Depth=1
	s_or_b32 exec_lo, exec_lo, s13
	v_lshlrev_b32_e32 v10, 16, v6
	v_lshlrev_b32_e32 v8, 20, v8
	v_lshl_add_u32 v7, v7, 23, 0x3c000000
	v_mov_b32_e32 v20, v9
	v_and_b32_e32 v10, 0x80000000, v10
	v_or3_b32 v21, v8, v10, v7
.LBB227_1413:                           ;   in Loop: Header=BB227_1059 Depth=1
	s_or_b32 exec_lo, exec_lo, s12
.LBB227_1414:                           ;   in Loop: Header=BB227_1059 Depth=1
	s_or_b32 exec_lo, exec_lo, s11
.LBB227_1415:                           ;   in Loop: Header=BB227_1059 Depth=1
	s_or_b32 exec_lo, exec_lo, s9
	v_mov_b32_e32 v24, 0
	v_mov_b32_e32 v22, 0
	v_and_b32_sdwa v7, v6, v101 dst_sel:DWORD dst_unused:UNUSED_PAD src0_sel:WORD_1 src1_sel:DWORD
	v_mov_b32_e32 v25, 0
	v_mov_b32_e32 v23, 0
	s_mov_b32 s9, exec_lo
	v_cmpx_ne_u16_e32 0, v7
	s_cbranch_execz .LBB227_1423
; %bb.1416:                             ;   in Loop: Header=BB227_1059 Depth=1
	v_bfrev_b32_e32 v22, 1
	v_mov_b32_e32 v23, 0
	s_mov_b32 s11, exec_lo
	v_cmpx_ne_u16_e32 0x80, v7
	s_cbranch_execz .LBB227_1422
; %bb.1417:                             ;   in Loop: Header=BB227_1059 Depth=1
	v_mov_b32_e32 v22, 0x7f800001
	v_bfe_u32 v10, v6, 16, 7
	v_mov_b32_e32 v23, 0
	s_mov_b32 s12, exec_lo
	v_cmpx_ne_u32_e32 0x7f, v10
	s_cbranch_execz .LBB227_1421
; %bb.1418:                             ;   in Loop: Header=BB227_1059 Depth=1
	v_mov_b32_e32 v7, 7
	s_mov_b32 s13, exec_lo
	v_and_b32_sdwa v8, v6, v7 dst_sel:DWORD dst_unused:UNUSED_PAD src0_sel:WORD_1 src1_sel:DWORD
	v_lshrrev_b32_e32 v7, 3, v10
	v_cmpx_gt_u32_e32 8, v10
; %bb.1419:                             ;   in Loop: Header=BB227_1059 Depth=1
	v_ffbh_u32_e32 v7, v8
	v_min_u32_e32 v7, 32, v7
	v_subrev_nc_u32_e32 v10, 28, v7
	v_sub_nc_u32_e32 v7, 29, v7
	v_lshlrev_b64 v[22:23], v10, v[8:9]
	v_and_b32_e32 v8, 7, v22
; %bb.1420:                             ;   in Loop: Header=BB227_1059 Depth=1
	s_or_b32 exec_lo, exec_lo, s13
	v_mov_b32_e32 v10, 24
	v_lshlrev_b32_e32 v8, 20, v8
	v_lshl_add_u32 v7, v7, 23, 0x3c000000
	v_lshlrev_b32_sdwa v10, v10, v6 dst_sel:DWORD dst_unused:UNUSED_PAD src0_sel:DWORD src1_sel:WORD_1
	v_and_b32_e32 v10, 0x80000000, v10
	v_or3_b32 v8, v8, v10, v7
	v_mov_b32_e32 v23, v9
	v_mov_b32_e32 v22, v8
.LBB227_1421:                           ;   in Loop: Header=BB227_1059 Depth=1
	s_or_b32 exec_lo, exec_lo, s12
.LBB227_1422:                           ;   in Loop: Header=BB227_1059 Depth=1
	s_or_b32 exec_lo, exec_lo, s11
.LBB227_1423:                           ;   in Loop: Header=BB227_1059 Depth=1
	s_or_b32 exec_lo, exec_lo, s9
	s_mov_b32 s9, exec_lo
	v_cmpx_lt_u32_e32 0xffffff, v6
	s_cbranch_execz .LBB227_1431
; %bb.1424:                             ;   in Loop: Header=BB227_1059 Depth=1
	v_mov_b32_e32 v10, v9
	v_mov_b32_e32 v25, v11
	v_cmp_ne_u32_sdwa s4, v6, v99 src0_sel:BYTE_3 src1_sel:DWORD
	v_mov_b32_e32 v24, v10
	s_and_saveexec_b32 s11, s4
	s_cbranch_execz .LBB227_1430
; %bb.1425:                             ;   in Loop: Header=BB227_1059 Depth=1
	v_mov_b32_e32 v12, v9
	v_mov_b32_e32 v25, v13
	v_bfe_u32 v10, v6, 24, 7
	s_mov_b32 s12, exec_lo
	v_mov_b32_e32 v24, v12
	v_cmpx_ne_u32_e32 0x7f, v10
	s_cbranch_execz .LBB227_1429
; %bb.1426:                             ;   in Loop: Header=BB227_1059 Depth=1
	v_mov_b32_e32 v7, 7
	s_mov_b32 s13, exec_lo
	v_and_b32_sdwa v8, v6, v7 dst_sel:DWORD dst_unused:UNUSED_PAD src0_sel:BYTE_3 src1_sel:DWORD
	v_lshrrev_b32_e32 v7, 3, v10
	v_cmpx_gt_u32_e32 8, v10
; %bb.1427:                             ;   in Loop: Header=BB227_1059 Depth=1
	v_ffbh_u32_e32 v7, v8
	v_min_u32_e32 v7, 32, v7
	v_subrev_nc_u32_e32 v10, 28, v7
	v_sub_nc_u32_e32 v7, 29, v7
	v_lshlrev_b64 v[24:25], v10, v[8:9]
	v_and_b32_e32 v8, 7, v24
; %bb.1428:                             ;   in Loop: Header=BB227_1059 Depth=1
	s_or_b32 exec_lo, exec_lo, s13
	v_mov_b32_e32 v10, 24
	v_lshlrev_b32_e32 v8, 20, v8
	v_lshl_add_u32 v7, v7, 23, 0x3c000000
	v_mov_b32_e32 v24, v9
	v_lshlrev_b32_sdwa v6, v10, v6 dst_sel:DWORD dst_unused:UNUSED_PAD src0_sel:DWORD src1_sel:BYTE_3
	v_and_b32_e32 v6, 0x80000000, v6
	v_or3_b32 v25, v8, v6, v7
.LBB227_1429:                           ;   in Loop: Header=BB227_1059 Depth=1
	s_or_b32 exec_lo, exec_lo, s12
.LBB227_1430:                           ;   in Loop: Header=BB227_1059 Depth=1
	s_or_b32 exec_lo, exec_lo, s11
.LBB227_1431:                           ;   in Loop: Header=BB227_1059 Depth=1
	s_or_b32 exec_lo, exec_lo, s9
	v_or_b32_e32 v6, v21, v19
	v_or_b32_e32 v7, v20, v18
	;; [unrolled: 1-line block ×4, first 2 shown]
	v_mul_f32_e32 v6, v114, v6
	buffer_store_dword v6, off, s[0:3], s32 offset:524 ; 4-byte Folded Spill
	v_mul_f32_e32 v6, v87, v7
	buffer_store_dword v6, off, s[0:3], s32 offset:532 ; 4-byte Folded Spill
	;; [unrolled: 2-line block ×4, first 2 shown]
	s_and_saveexec_b32 s9, vcc_lo
	s_cbranch_execz .LBB227_1433
; %bb.1432:                             ;   in Loop: Header=BB227_1059 Depth=1
	s_clause 0x1
	buffer_load_dword v6, off, s[0:3], s32 offset:200
	buffer_load_dword v7, off, s[0:3], s32 offset:532
	s_waitcnt vmcnt(1)
	v_cmp_lt_i32_e64 s4, v43, v6
	s_waitcnt vmcnt(0)
	v_cndmask_b32_e64 v7, 0, v7, s4
	v_cmp_lt_i32_e64 s4, v45, v6
	buffer_store_dword v7, off, s[0:3], s32 offset:532 ; 4-byte Folded Spill
	buffer_load_dword v7, off, s[0:3], s32 offset:524 ; 4-byte Folded Reload
	s_waitcnt vmcnt(0)
	v_cndmask_b32_e64 v7, 0, v7, s4
	v_cmp_lt_i32_e64 s4, v44, v6
	buffer_store_dword v7, off, s[0:3], s32 offset:524 ; 4-byte Folded Spill
	buffer_load_dword v7, off, s[0:3], s32 offset:516 ; 4-byte Folded Reload
	s_waitcnt vmcnt(0)
	v_cndmask_b32_e64 v7, 0, v7, s4
	v_cmp_lt_i32_e64 s4, v112, v6
	buffer_load_dword v6, off, s[0:3], s32 offset:508 ; 4-byte Folded Reload
	buffer_store_dword v7, off, s[0:3], s32 offset:516 ; 4-byte Folded Spill
	s_waitcnt vmcnt(0)
	v_cndmask_b32_e64 v6, 0, v6, s4
	buffer_store_dword v6, off, s[0:3], s32 offset:508 ; 4-byte Folded Spill
.LBB227_1433:                           ;   in Loop: Header=BB227_1059 Depth=1
	s_or_b32 exec_lo, exec_lo, s9
	flat_load_dword v6, v[4:5] offset:1408
	v_mov_b32_e32 v20, 0
	v_mov_b32_e32 v18, 0
	;; [unrolled: 1-line block ×4, first 2 shown]
	s_waitcnt vmcnt(0) lgkmcnt(0)
	v_cmp_ne_u16_sdwa s4, v6, v9 src0_sel:BYTE_0 src1_sel:DWORD
	s_and_saveexec_b32 s9, s4
	s_cbranch_execz .LBB227_1441
; %bb.1434:                             ;   in Loop: Header=BB227_1059 Depth=1
	v_bfrev_b32_e32 v18, 1
	v_mov_b32_e32 v19, 0
	v_cmp_ne_u16_sdwa s4, v6, v99 src0_sel:BYTE_0 src1_sel:DWORD
	s_and_saveexec_b32 s11, s4
	s_cbranch_execz .LBB227_1440
; %bb.1435:                             ;   in Loop: Header=BB227_1059 Depth=1
	v_mov_b32_e32 v18, 0x7f800001
	v_and_b32_e32 v10, 0x7f, v6
	v_mov_b32_e32 v19, 0
	s_mov_b32 s12, exec_lo
	v_cmpx_ne_u32_e32 0x7f, v10
	s_cbranch_execz .LBB227_1439
; %bb.1436:                             ;   in Loop: Header=BB227_1059 Depth=1
	v_and_b32_e32 v8, 7, v6
	v_lshrrev_b32_e32 v7, 3, v10
	s_mov_b32 s13, exec_lo
	v_cmpx_gt_u32_e32 8, v10
; %bb.1437:                             ;   in Loop: Header=BB227_1059 Depth=1
	v_ffbh_u32_e32 v7, v8
	v_min_u32_e32 v7, 32, v7
	v_subrev_nc_u32_e32 v10, 28, v7
	v_sub_nc_u32_e32 v7, 29, v7
	v_lshlrev_b64 v[18:19], v10, v[8:9]
	v_and_b32_e32 v8, 7, v18
; %bb.1438:                             ;   in Loop: Header=BB227_1059 Depth=1
	s_or_b32 exec_lo, exec_lo, s13
	v_lshlrev_b32_e32 v10, 24, v6
	v_lshlrev_b32_e32 v8, 20, v8
	v_lshl_add_u32 v7, v7, 23, 0x3c000000
	v_and_b32_e32 v10, 0x80000000, v10
	v_or3_b32 v8, v8, v10, v7
	v_mov_b32_e32 v19, v9
	v_mov_b32_e32 v18, v8
.LBB227_1439:                           ;   in Loop: Header=BB227_1059 Depth=1
	s_or_b32 exec_lo, exec_lo, s12
.LBB227_1440:                           ;   in Loop: Header=BB227_1059 Depth=1
	s_or_b32 exec_lo, exec_lo, s11
.LBB227_1441:                           ;   in Loop: Header=BB227_1059 Depth=1
	s_or_b32 exec_lo, exec_lo, s9
	v_cmp_ne_u16_sdwa s4, v6, v9 src0_sel:BYTE_1 src1_sel:DWORD
	s_and_saveexec_b32 s9, s4
	s_cbranch_execz .LBB227_1449
; %bb.1442:                             ;   in Loop: Header=BB227_1059 Depth=1
	v_mov_b32_e32 v10, v9
	v_mov_b32_e32 v21, v11
	v_cmp_ne_u16_sdwa s4, v6, v99 src0_sel:BYTE_1 src1_sel:DWORD
	v_mov_b32_e32 v20, v10
	s_and_saveexec_b32 s11, s4
	s_cbranch_execz .LBB227_1448
; %bb.1443:                             ;   in Loop: Header=BB227_1059 Depth=1
	v_mov_b32_e32 v7, 0xffff
	v_mov_b32_e32 v12, v9
	;; [unrolled: 1-line block ×3, first 2 shown]
	s_mov_b32 s12, exec_lo
	v_and_b32_sdwa v7, v7, v6 dst_sel:DWORD dst_unused:UNUSED_PAD src0_sel:DWORD src1_sel:BYTE_1
	v_mov_b32_e32 v20, v12
	v_and_b32_e32 v10, 0x7f, v7
	v_cmpx_ne_u32_e32 0x7f, v10
	s_cbranch_execz .LBB227_1447
; %bb.1444:                             ;   in Loop: Header=BB227_1059 Depth=1
	v_and_b32_e32 v8, 7, v7
	v_lshrrev_b32_e32 v7, 3, v10
	s_mov_b32 s13, exec_lo
	v_cmpx_gt_u32_e32 8, v10
; %bb.1445:                             ;   in Loop: Header=BB227_1059 Depth=1
	v_ffbh_u32_e32 v7, v8
	v_min_u32_e32 v7, 32, v7
	v_subrev_nc_u32_e32 v10, 28, v7
	v_sub_nc_u32_e32 v7, 29, v7
	v_lshlrev_b64 v[20:21], v10, v[8:9]
	v_and_b32_e32 v8, 7, v20
; %bb.1446:                             ;   in Loop: Header=BB227_1059 Depth=1
	s_or_b32 exec_lo, exec_lo, s13
	v_lshlrev_b32_e32 v10, 16, v6
	v_lshlrev_b32_e32 v8, 20, v8
	v_lshl_add_u32 v7, v7, 23, 0x3c000000
	v_mov_b32_e32 v20, v9
	v_and_b32_e32 v10, 0x80000000, v10
	v_or3_b32 v21, v8, v10, v7
.LBB227_1447:                           ;   in Loop: Header=BB227_1059 Depth=1
	s_or_b32 exec_lo, exec_lo, s12
.LBB227_1448:                           ;   in Loop: Header=BB227_1059 Depth=1
	s_or_b32 exec_lo, exec_lo, s11
.LBB227_1449:                           ;   in Loop: Header=BB227_1059 Depth=1
	s_or_b32 exec_lo, exec_lo, s9
	v_mov_b32_e32 v24, 0
	v_mov_b32_e32 v22, 0
	v_and_b32_sdwa v7, v6, v101 dst_sel:DWORD dst_unused:UNUSED_PAD src0_sel:WORD_1 src1_sel:DWORD
	v_mov_b32_e32 v25, 0
	v_mov_b32_e32 v23, 0
	s_mov_b32 s9, exec_lo
	v_cmpx_ne_u16_e32 0, v7
	s_cbranch_execz .LBB227_1457
; %bb.1450:                             ;   in Loop: Header=BB227_1059 Depth=1
	v_bfrev_b32_e32 v22, 1
	v_mov_b32_e32 v23, 0
	s_mov_b32 s11, exec_lo
	v_cmpx_ne_u16_e32 0x80, v7
	s_cbranch_execz .LBB227_1456
; %bb.1451:                             ;   in Loop: Header=BB227_1059 Depth=1
	v_mov_b32_e32 v22, 0x7f800001
	v_bfe_u32 v10, v6, 16, 7
	v_mov_b32_e32 v23, 0
	s_mov_b32 s12, exec_lo
	v_cmpx_ne_u32_e32 0x7f, v10
	s_cbranch_execz .LBB227_1455
; %bb.1452:                             ;   in Loop: Header=BB227_1059 Depth=1
	v_mov_b32_e32 v7, 7
	s_mov_b32 s13, exec_lo
	v_and_b32_sdwa v8, v6, v7 dst_sel:DWORD dst_unused:UNUSED_PAD src0_sel:WORD_1 src1_sel:DWORD
	v_lshrrev_b32_e32 v7, 3, v10
	v_cmpx_gt_u32_e32 8, v10
; %bb.1453:                             ;   in Loop: Header=BB227_1059 Depth=1
	v_ffbh_u32_e32 v7, v8
	v_min_u32_e32 v7, 32, v7
	v_subrev_nc_u32_e32 v10, 28, v7
	v_sub_nc_u32_e32 v7, 29, v7
	v_lshlrev_b64 v[22:23], v10, v[8:9]
	v_and_b32_e32 v8, 7, v22
; %bb.1454:                             ;   in Loop: Header=BB227_1059 Depth=1
	s_or_b32 exec_lo, exec_lo, s13
	v_mov_b32_e32 v10, 24
	v_lshlrev_b32_e32 v8, 20, v8
	v_lshl_add_u32 v7, v7, 23, 0x3c000000
	v_lshlrev_b32_sdwa v10, v10, v6 dst_sel:DWORD dst_unused:UNUSED_PAD src0_sel:DWORD src1_sel:WORD_1
	v_and_b32_e32 v10, 0x80000000, v10
	v_or3_b32 v8, v8, v10, v7
	v_mov_b32_e32 v23, v9
	v_mov_b32_e32 v22, v8
.LBB227_1455:                           ;   in Loop: Header=BB227_1059 Depth=1
	s_or_b32 exec_lo, exec_lo, s12
.LBB227_1456:                           ;   in Loop: Header=BB227_1059 Depth=1
	s_or_b32 exec_lo, exec_lo, s11
.LBB227_1457:                           ;   in Loop: Header=BB227_1059 Depth=1
	s_or_b32 exec_lo, exec_lo, s9
	s_mov_b32 s9, exec_lo
	v_cmpx_lt_u32_e32 0xffffff, v6
	s_cbranch_execz .LBB227_1465
; %bb.1458:                             ;   in Loop: Header=BB227_1059 Depth=1
	v_mov_b32_e32 v10, v9
	v_mov_b32_e32 v25, v11
	v_cmp_ne_u32_sdwa s4, v6, v99 src0_sel:BYTE_3 src1_sel:DWORD
	v_mov_b32_e32 v24, v10
	s_and_saveexec_b32 s11, s4
	s_cbranch_execz .LBB227_1464
; %bb.1459:                             ;   in Loop: Header=BB227_1059 Depth=1
	v_mov_b32_e32 v12, v9
	v_mov_b32_e32 v25, v13
	v_bfe_u32 v10, v6, 24, 7
	s_mov_b32 s12, exec_lo
	v_mov_b32_e32 v24, v12
	v_cmpx_ne_u32_e32 0x7f, v10
	s_cbranch_execz .LBB227_1463
; %bb.1460:                             ;   in Loop: Header=BB227_1059 Depth=1
	v_mov_b32_e32 v7, 7
	s_mov_b32 s13, exec_lo
	v_and_b32_sdwa v8, v6, v7 dst_sel:DWORD dst_unused:UNUSED_PAD src0_sel:BYTE_3 src1_sel:DWORD
	v_lshrrev_b32_e32 v7, 3, v10
	v_cmpx_gt_u32_e32 8, v10
; %bb.1461:                             ;   in Loop: Header=BB227_1059 Depth=1
	v_ffbh_u32_e32 v7, v8
	v_min_u32_e32 v7, 32, v7
	v_subrev_nc_u32_e32 v10, 28, v7
	v_sub_nc_u32_e32 v7, 29, v7
	v_lshlrev_b64 v[24:25], v10, v[8:9]
	v_and_b32_e32 v8, 7, v24
; %bb.1462:                             ;   in Loop: Header=BB227_1059 Depth=1
	s_or_b32 exec_lo, exec_lo, s13
	v_mov_b32_e32 v10, 24
	v_lshlrev_b32_e32 v8, 20, v8
	v_lshl_add_u32 v7, v7, 23, 0x3c000000
	v_mov_b32_e32 v24, v9
	v_lshlrev_b32_sdwa v6, v10, v6 dst_sel:DWORD dst_unused:UNUSED_PAD src0_sel:DWORD src1_sel:BYTE_3
	v_and_b32_e32 v6, 0x80000000, v6
	v_or3_b32 v25, v8, v6, v7
.LBB227_1463:                           ;   in Loop: Header=BB227_1059 Depth=1
	s_or_b32 exec_lo, exec_lo, s12
.LBB227_1464:                           ;   in Loop: Header=BB227_1059 Depth=1
	s_or_b32 exec_lo, exec_lo, s11
.LBB227_1465:                           ;   in Loop: Header=BB227_1059 Depth=1
	s_or_b32 exec_lo, exec_lo, s9
	v_or_b32_e32 v6, v21, v19
	v_or_b32_e32 v7, v20, v18
	;; [unrolled: 1-line block ×4, first 2 shown]
	v_mul_f32_e32 v6, v114, v6
	buffer_store_dword v6, off, s[0:3], s32 offset:556 ; 4-byte Folded Spill
	v_mul_f32_e32 v6, v87, v7
	buffer_store_dword v6, off, s[0:3], s32 offset:564 ; 4-byte Folded Spill
	;; [unrolled: 2-line block ×4, first 2 shown]
	s_and_saveexec_b32 s9, vcc_lo
	s_cbranch_execz .LBB227_1467
; %bb.1466:                             ;   in Loop: Header=BB227_1059 Depth=1
	s_clause 0x1
	buffer_load_dword v6, off, s[0:3], s32 offset:200
	buffer_load_dword v7, off, s[0:3], s32 offset:564
	s_waitcnt vmcnt(1)
	v_cmp_lt_i32_e64 s4, v43, v6
	s_waitcnt vmcnt(0)
	v_cndmask_b32_e64 v7, 0, v7, s4
	v_cmp_lt_i32_e64 s4, v45, v6
	buffer_store_dword v7, off, s[0:3], s32 offset:564 ; 4-byte Folded Spill
	buffer_load_dword v7, off, s[0:3], s32 offset:556 ; 4-byte Folded Reload
	s_waitcnt vmcnt(0)
	v_cndmask_b32_e64 v7, 0, v7, s4
	v_cmp_lt_i32_e64 s4, v44, v6
	buffer_store_dword v7, off, s[0:3], s32 offset:556 ; 4-byte Folded Spill
	buffer_load_dword v7, off, s[0:3], s32 offset:548 ; 4-byte Folded Reload
	s_waitcnt vmcnt(0)
	v_cndmask_b32_e64 v7, 0, v7, s4
	v_cmp_lt_i32_e64 s4, v112, v6
	buffer_load_dword v6, off, s[0:3], s32 offset:540 ; 4-byte Folded Reload
	buffer_store_dword v7, off, s[0:3], s32 offset:548 ; 4-byte Folded Spill
	s_waitcnt vmcnt(0)
	v_cndmask_b32_e64 v6, 0, v6, s4
	buffer_store_dword v6, off, s[0:3], s32 offset:540 ; 4-byte Folded Spill
.LBB227_1467:                           ;   in Loop: Header=BB227_1059 Depth=1
	s_or_b32 exec_lo, exec_lo, s9
	flat_load_dword v6, v[4:5] offset:1536
	v_mov_b32_e32 v20, 0
	v_mov_b32_e32 v18, 0
	v_mov_b32_e32 v21, 0
	v_mov_b32_e32 v19, 0
	s_waitcnt vmcnt(0) lgkmcnt(0)
	v_cmp_ne_u16_sdwa s4, v6, v9 src0_sel:BYTE_0 src1_sel:DWORD
	s_and_saveexec_b32 s9, s4
	s_cbranch_execz .LBB227_1475
; %bb.1468:                             ;   in Loop: Header=BB227_1059 Depth=1
	v_bfrev_b32_e32 v18, 1
	v_mov_b32_e32 v19, 0
	v_cmp_ne_u16_sdwa s4, v6, v99 src0_sel:BYTE_0 src1_sel:DWORD
	s_and_saveexec_b32 s11, s4
	s_cbranch_execz .LBB227_1474
; %bb.1469:                             ;   in Loop: Header=BB227_1059 Depth=1
	v_mov_b32_e32 v18, 0x7f800001
	v_and_b32_e32 v10, 0x7f, v6
	v_mov_b32_e32 v19, 0
	s_mov_b32 s12, exec_lo
	v_cmpx_ne_u32_e32 0x7f, v10
	s_cbranch_execz .LBB227_1473
; %bb.1470:                             ;   in Loop: Header=BB227_1059 Depth=1
	v_and_b32_e32 v8, 7, v6
	v_lshrrev_b32_e32 v7, 3, v10
	s_mov_b32 s13, exec_lo
	v_cmpx_gt_u32_e32 8, v10
; %bb.1471:                             ;   in Loop: Header=BB227_1059 Depth=1
	v_ffbh_u32_e32 v7, v8
	v_min_u32_e32 v7, 32, v7
	v_subrev_nc_u32_e32 v10, 28, v7
	v_sub_nc_u32_e32 v7, 29, v7
	v_lshlrev_b64 v[18:19], v10, v[8:9]
	v_and_b32_e32 v8, 7, v18
; %bb.1472:                             ;   in Loop: Header=BB227_1059 Depth=1
	s_or_b32 exec_lo, exec_lo, s13
	v_lshlrev_b32_e32 v10, 24, v6
	v_lshlrev_b32_e32 v8, 20, v8
	v_lshl_add_u32 v7, v7, 23, 0x3c000000
	v_and_b32_e32 v10, 0x80000000, v10
	v_or3_b32 v8, v8, v10, v7
	v_mov_b32_e32 v19, v9
	v_mov_b32_e32 v18, v8
.LBB227_1473:                           ;   in Loop: Header=BB227_1059 Depth=1
	s_or_b32 exec_lo, exec_lo, s12
.LBB227_1474:                           ;   in Loop: Header=BB227_1059 Depth=1
	s_or_b32 exec_lo, exec_lo, s11
.LBB227_1475:                           ;   in Loop: Header=BB227_1059 Depth=1
	s_or_b32 exec_lo, exec_lo, s9
	v_cmp_ne_u16_sdwa s4, v6, v9 src0_sel:BYTE_1 src1_sel:DWORD
	s_and_saveexec_b32 s9, s4
	s_cbranch_execz .LBB227_1483
; %bb.1476:                             ;   in Loop: Header=BB227_1059 Depth=1
	v_mov_b32_e32 v10, v9
	v_mov_b32_e32 v21, v11
	v_cmp_ne_u16_sdwa s4, v6, v99 src0_sel:BYTE_1 src1_sel:DWORD
	v_mov_b32_e32 v20, v10
	s_and_saveexec_b32 s11, s4
	s_cbranch_execz .LBB227_1482
; %bb.1477:                             ;   in Loop: Header=BB227_1059 Depth=1
	v_mov_b32_e32 v7, 0xffff
	v_mov_b32_e32 v12, v9
	;; [unrolled: 1-line block ×3, first 2 shown]
	s_mov_b32 s12, exec_lo
	v_and_b32_sdwa v7, v7, v6 dst_sel:DWORD dst_unused:UNUSED_PAD src0_sel:DWORD src1_sel:BYTE_1
	v_mov_b32_e32 v20, v12
	v_and_b32_e32 v10, 0x7f, v7
	v_cmpx_ne_u32_e32 0x7f, v10
	s_cbranch_execz .LBB227_1481
; %bb.1478:                             ;   in Loop: Header=BB227_1059 Depth=1
	v_and_b32_e32 v8, 7, v7
	v_lshrrev_b32_e32 v7, 3, v10
	s_mov_b32 s13, exec_lo
	v_cmpx_gt_u32_e32 8, v10
; %bb.1479:                             ;   in Loop: Header=BB227_1059 Depth=1
	v_ffbh_u32_e32 v7, v8
	v_min_u32_e32 v7, 32, v7
	v_subrev_nc_u32_e32 v10, 28, v7
	v_sub_nc_u32_e32 v7, 29, v7
	v_lshlrev_b64 v[20:21], v10, v[8:9]
	v_and_b32_e32 v8, 7, v20
; %bb.1480:                             ;   in Loop: Header=BB227_1059 Depth=1
	s_or_b32 exec_lo, exec_lo, s13
	v_lshlrev_b32_e32 v10, 16, v6
	v_lshlrev_b32_e32 v8, 20, v8
	v_lshl_add_u32 v7, v7, 23, 0x3c000000
	v_mov_b32_e32 v20, v9
	v_and_b32_e32 v10, 0x80000000, v10
	v_or3_b32 v21, v8, v10, v7
.LBB227_1481:                           ;   in Loop: Header=BB227_1059 Depth=1
	s_or_b32 exec_lo, exec_lo, s12
.LBB227_1482:                           ;   in Loop: Header=BB227_1059 Depth=1
	s_or_b32 exec_lo, exec_lo, s11
.LBB227_1483:                           ;   in Loop: Header=BB227_1059 Depth=1
	s_or_b32 exec_lo, exec_lo, s9
	v_mov_b32_e32 v22, 0
	v_mov_b32_e32 v24, 0
	v_and_b32_sdwa v7, v6, v101 dst_sel:DWORD dst_unused:UNUSED_PAD src0_sel:WORD_1 src1_sel:DWORD
	v_mov_b32_e32 v23, 0
	v_mov_b32_e32 v25, 0
	s_mov_b32 s9, exec_lo
	v_cmpx_ne_u16_e32 0, v7
	s_cbranch_execz .LBB227_1491
; %bb.1484:                             ;   in Loop: Header=BB227_1059 Depth=1
	v_bfrev_b32_e32 v24, 1
	v_mov_b32_e32 v25, 0
	s_mov_b32 s11, exec_lo
	v_cmpx_ne_u16_e32 0x80, v7
	s_cbranch_execz .LBB227_1490
; %bb.1485:                             ;   in Loop: Header=BB227_1059 Depth=1
	v_mov_b32_e32 v24, 0x7f800001
	v_bfe_u32 v10, v6, 16, 7
	v_mov_b32_e32 v25, 0
	s_mov_b32 s12, exec_lo
	v_cmpx_ne_u32_e32 0x7f, v10
	s_cbranch_execz .LBB227_1489
; %bb.1486:                             ;   in Loop: Header=BB227_1059 Depth=1
	v_mov_b32_e32 v7, 7
	s_mov_b32 s13, exec_lo
	v_and_b32_sdwa v8, v6, v7 dst_sel:DWORD dst_unused:UNUSED_PAD src0_sel:WORD_1 src1_sel:DWORD
	v_lshrrev_b32_e32 v7, 3, v10
	v_cmpx_gt_u32_e32 8, v10
; %bb.1487:                             ;   in Loop: Header=BB227_1059 Depth=1
	v_ffbh_u32_e32 v7, v8
	v_min_u32_e32 v7, 32, v7
	v_subrev_nc_u32_e32 v10, 28, v7
	v_sub_nc_u32_e32 v7, 29, v7
	v_lshlrev_b64 v[24:25], v10, v[8:9]
	v_and_b32_e32 v8, 7, v24
; %bb.1488:                             ;   in Loop: Header=BB227_1059 Depth=1
	s_or_b32 exec_lo, exec_lo, s13
	v_mov_b32_e32 v10, 24
	v_lshlrev_b32_e32 v8, 20, v8
	v_lshl_add_u32 v7, v7, 23, 0x3c000000
	v_lshlrev_b32_sdwa v10, v10, v6 dst_sel:DWORD dst_unused:UNUSED_PAD src0_sel:DWORD src1_sel:WORD_1
	v_and_b32_e32 v10, 0x80000000, v10
	v_or3_b32 v8, v8, v10, v7
	v_mov_b32_e32 v25, v9
	v_mov_b32_e32 v24, v8
.LBB227_1489:                           ;   in Loop: Header=BB227_1059 Depth=1
	s_or_b32 exec_lo, exec_lo, s12
.LBB227_1490:                           ;   in Loop: Header=BB227_1059 Depth=1
	s_or_b32 exec_lo, exec_lo, s11
.LBB227_1491:                           ;   in Loop: Header=BB227_1059 Depth=1
	s_or_b32 exec_lo, exec_lo, s9
	s_mov_b32 s9, exec_lo
	v_cmpx_lt_u32_e32 0xffffff, v6
	s_cbranch_execz .LBB227_1499
; %bb.1492:                             ;   in Loop: Header=BB227_1059 Depth=1
	v_mov_b32_e32 v10, v9
	v_mov_b32_e32 v23, v11
	v_cmp_ne_u32_sdwa s4, v6, v99 src0_sel:BYTE_3 src1_sel:DWORD
	v_mov_b32_e32 v22, v10
	s_and_saveexec_b32 s11, s4
	s_cbranch_execz .LBB227_1498
; %bb.1493:                             ;   in Loop: Header=BB227_1059 Depth=1
	v_mov_b32_e32 v12, v9
	v_mov_b32_e32 v23, v13
	v_bfe_u32 v10, v6, 24, 7
	s_mov_b32 s12, exec_lo
	v_mov_b32_e32 v22, v12
	v_cmpx_ne_u32_e32 0x7f, v10
	s_cbranch_execz .LBB227_1497
; %bb.1494:                             ;   in Loop: Header=BB227_1059 Depth=1
	v_mov_b32_e32 v7, 7
	s_mov_b32 s13, exec_lo
	v_and_b32_sdwa v8, v6, v7 dst_sel:DWORD dst_unused:UNUSED_PAD src0_sel:BYTE_3 src1_sel:DWORD
	v_lshrrev_b32_e32 v7, 3, v10
	v_cmpx_gt_u32_e32 8, v10
; %bb.1495:                             ;   in Loop: Header=BB227_1059 Depth=1
	v_ffbh_u32_e32 v7, v8
	v_min_u32_e32 v7, 32, v7
	v_subrev_nc_u32_e32 v10, 28, v7
	v_sub_nc_u32_e32 v7, 29, v7
	v_lshlrev_b64 v[22:23], v10, v[8:9]
	v_and_b32_e32 v8, 7, v22
; %bb.1496:                             ;   in Loop: Header=BB227_1059 Depth=1
	s_or_b32 exec_lo, exec_lo, s13
	v_mov_b32_e32 v10, 24
	v_lshlrev_b32_e32 v8, 20, v8
	v_lshl_add_u32 v7, v7, 23, 0x3c000000
	v_mov_b32_e32 v22, v9
	v_lshlrev_b32_sdwa v6, v10, v6 dst_sel:DWORD dst_unused:UNUSED_PAD src0_sel:DWORD src1_sel:BYTE_3
	v_and_b32_e32 v6, 0x80000000, v6
	v_or3_b32 v23, v8, v6, v7
.LBB227_1497:                           ;   in Loop: Header=BB227_1059 Depth=1
	s_or_b32 exec_lo, exec_lo, s12
.LBB227_1498:                           ;   in Loop: Header=BB227_1059 Depth=1
	s_or_b32 exec_lo, exec_lo, s11
.LBB227_1499:                           ;   in Loop: Header=BB227_1059 Depth=1
	s_or_b32 exec_lo, exec_lo, s9
	v_or_b32_e32 v6, v21, v19
	v_or_b32_e32 v7, v20, v18
	v_or_b32_e32 v8, v22, v24
	v_or_b32_e32 v10, v23, v25
	v_mul_f32_e32 v6, v114, v6
	buffer_store_dword v6, off, s[0:3], s32 offset:588 ; 4-byte Folded Spill
	v_mul_f32_e32 v6, v87, v7
	buffer_store_dword v6, off, s[0:3], s32 offset:596 ; 4-byte Folded Spill
	;; [unrolled: 2-line block ×4, first 2 shown]
	s_and_saveexec_b32 s9, vcc_lo
	s_cbranch_execz .LBB227_1501
; %bb.1500:                             ;   in Loop: Header=BB227_1059 Depth=1
	s_clause 0x1
	buffer_load_dword v6, off, s[0:3], s32 offset:200
	buffer_load_dword v7, off, s[0:3], s32 offset:596
	s_waitcnt vmcnt(1)
	v_cmp_lt_i32_e64 s4, v43, v6
	s_waitcnt vmcnt(0)
	v_cndmask_b32_e64 v7, 0, v7, s4
	v_cmp_lt_i32_e64 s4, v45, v6
	buffer_store_dword v7, off, s[0:3], s32 offset:596 ; 4-byte Folded Spill
	buffer_load_dword v7, off, s[0:3], s32 offset:588 ; 4-byte Folded Reload
	s_waitcnt vmcnt(0)
	v_cndmask_b32_e64 v7, 0, v7, s4
	v_cmp_lt_i32_e64 s4, v44, v6
	buffer_store_dword v7, off, s[0:3], s32 offset:588 ; 4-byte Folded Spill
	buffer_load_dword v7, off, s[0:3], s32 offset:580 ; 4-byte Folded Reload
	s_waitcnt vmcnt(0)
	v_cndmask_b32_e64 v7, 0, v7, s4
	v_cmp_lt_i32_e64 s4, v112, v6
	buffer_load_dword v6, off, s[0:3], s32 offset:572 ; 4-byte Folded Reload
	buffer_store_dword v7, off, s[0:3], s32 offset:580 ; 4-byte Folded Spill
	s_waitcnt vmcnt(0)
	v_cndmask_b32_e64 v6, 0, v6, s4
	buffer_store_dword v6, off, s[0:3], s32 offset:572 ; 4-byte Folded Spill
.LBB227_1501:                           ;   in Loop: Header=BB227_1059 Depth=1
	s_or_b32 exec_lo, exec_lo, s9
	flat_load_dword v6, v[4:5] offset:1664
	v_mov_b32_e32 v20, 0
	v_mov_b32_e32 v18, 0
	;; [unrolled: 1-line block ×4, first 2 shown]
	s_waitcnt vmcnt(0) lgkmcnt(0)
	v_cmp_ne_u16_sdwa s4, v6, v9 src0_sel:BYTE_0 src1_sel:DWORD
	s_and_saveexec_b32 s9, s4
	s_cbranch_execz .LBB227_1509
; %bb.1502:                             ;   in Loop: Header=BB227_1059 Depth=1
	v_bfrev_b32_e32 v18, 1
	v_mov_b32_e32 v19, 0
	v_cmp_ne_u16_sdwa s4, v6, v99 src0_sel:BYTE_0 src1_sel:DWORD
	s_and_saveexec_b32 s11, s4
	s_cbranch_execz .LBB227_1508
; %bb.1503:                             ;   in Loop: Header=BB227_1059 Depth=1
	v_mov_b32_e32 v18, 0x7f800001
	v_and_b32_e32 v10, 0x7f, v6
	v_mov_b32_e32 v19, 0
	s_mov_b32 s12, exec_lo
	v_cmpx_ne_u32_e32 0x7f, v10
	s_cbranch_execz .LBB227_1507
; %bb.1504:                             ;   in Loop: Header=BB227_1059 Depth=1
	v_and_b32_e32 v8, 7, v6
	v_lshrrev_b32_e32 v7, 3, v10
	s_mov_b32 s13, exec_lo
	v_cmpx_gt_u32_e32 8, v10
; %bb.1505:                             ;   in Loop: Header=BB227_1059 Depth=1
	v_ffbh_u32_e32 v7, v8
	v_min_u32_e32 v7, 32, v7
	v_subrev_nc_u32_e32 v10, 28, v7
	v_sub_nc_u32_e32 v7, 29, v7
	v_lshlrev_b64 v[18:19], v10, v[8:9]
	v_and_b32_e32 v8, 7, v18
; %bb.1506:                             ;   in Loop: Header=BB227_1059 Depth=1
	s_or_b32 exec_lo, exec_lo, s13
	v_lshlrev_b32_e32 v10, 24, v6
	v_lshlrev_b32_e32 v8, 20, v8
	v_lshl_add_u32 v7, v7, 23, 0x3c000000
	v_and_b32_e32 v10, 0x80000000, v10
	v_or3_b32 v8, v8, v10, v7
	v_mov_b32_e32 v19, v9
	v_mov_b32_e32 v18, v8
.LBB227_1507:                           ;   in Loop: Header=BB227_1059 Depth=1
	s_or_b32 exec_lo, exec_lo, s12
.LBB227_1508:                           ;   in Loop: Header=BB227_1059 Depth=1
	s_or_b32 exec_lo, exec_lo, s11
.LBB227_1509:                           ;   in Loop: Header=BB227_1059 Depth=1
	s_or_b32 exec_lo, exec_lo, s9
	v_cmp_ne_u16_sdwa s4, v6, v9 src0_sel:BYTE_1 src1_sel:DWORD
	s_and_saveexec_b32 s9, s4
	s_cbranch_execz .LBB227_1517
; %bb.1510:                             ;   in Loop: Header=BB227_1059 Depth=1
	v_mov_b32_e32 v10, v9
	v_mov_b32_e32 v21, v11
	v_cmp_ne_u16_sdwa s4, v6, v99 src0_sel:BYTE_1 src1_sel:DWORD
	v_mov_b32_e32 v20, v10
	s_and_saveexec_b32 s11, s4
	s_cbranch_execz .LBB227_1516
; %bb.1511:                             ;   in Loop: Header=BB227_1059 Depth=1
	v_mov_b32_e32 v7, 0xffff
	v_mov_b32_e32 v12, v9
	;; [unrolled: 1-line block ×3, first 2 shown]
	s_mov_b32 s12, exec_lo
	v_and_b32_sdwa v7, v7, v6 dst_sel:DWORD dst_unused:UNUSED_PAD src0_sel:DWORD src1_sel:BYTE_1
	v_mov_b32_e32 v20, v12
	v_and_b32_e32 v10, 0x7f, v7
	v_cmpx_ne_u32_e32 0x7f, v10
	s_cbranch_execz .LBB227_1515
; %bb.1512:                             ;   in Loop: Header=BB227_1059 Depth=1
	v_and_b32_e32 v8, 7, v7
	v_lshrrev_b32_e32 v7, 3, v10
	s_mov_b32 s13, exec_lo
	v_cmpx_gt_u32_e32 8, v10
; %bb.1513:                             ;   in Loop: Header=BB227_1059 Depth=1
	v_ffbh_u32_e32 v7, v8
	v_min_u32_e32 v7, 32, v7
	v_subrev_nc_u32_e32 v10, 28, v7
	v_sub_nc_u32_e32 v7, 29, v7
	v_lshlrev_b64 v[20:21], v10, v[8:9]
	v_and_b32_e32 v8, 7, v20
; %bb.1514:                             ;   in Loop: Header=BB227_1059 Depth=1
	s_or_b32 exec_lo, exec_lo, s13
	v_lshlrev_b32_e32 v10, 16, v6
	v_lshlrev_b32_e32 v8, 20, v8
	v_lshl_add_u32 v7, v7, 23, 0x3c000000
	v_mov_b32_e32 v20, v9
	v_and_b32_e32 v10, 0x80000000, v10
	v_or3_b32 v21, v8, v10, v7
.LBB227_1515:                           ;   in Loop: Header=BB227_1059 Depth=1
	s_or_b32 exec_lo, exec_lo, s12
.LBB227_1516:                           ;   in Loop: Header=BB227_1059 Depth=1
	s_or_b32 exec_lo, exec_lo, s11
.LBB227_1517:                           ;   in Loop: Header=BB227_1059 Depth=1
	s_or_b32 exec_lo, exec_lo, s9
	v_mov_b32_e32 v22, 0
	v_mov_b32_e32 v24, 0
	v_and_b32_sdwa v7, v6, v101 dst_sel:DWORD dst_unused:UNUSED_PAD src0_sel:WORD_1 src1_sel:DWORD
	v_mov_b32_e32 v23, 0
	v_mov_b32_e32 v25, 0
	s_mov_b32 s9, exec_lo
	v_cmpx_ne_u16_e32 0, v7
	s_cbranch_execz .LBB227_1525
; %bb.1518:                             ;   in Loop: Header=BB227_1059 Depth=1
	v_bfrev_b32_e32 v24, 1
	v_mov_b32_e32 v25, 0
	s_mov_b32 s11, exec_lo
	v_cmpx_ne_u16_e32 0x80, v7
	s_cbranch_execz .LBB227_1524
; %bb.1519:                             ;   in Loop: Header=BB227_1059 Depth=1
	v_mov_b32_e32 v24, 0x7f800001
	v_bfe_u32 v10, v6, 16, 7
	v_mov_b32_e32 v25, 0
	s_mov_b32 s12, exec_lo
	v_cmpx_ne_u32_e32 0x7f, v10
	s_cbranch_execz .LBB227_1523
; %bb.1520:                             ;   in Loop: Header=BB227_1059 Depth=1
	v_mov_b32_e32 v7, 7
	s_mov_b32 s13, exec_lo
	v_and_b32_sdwa v8, v6, v7 dst_sel:DWORD dst_unused:UNUSED_PAD src0_sel:WORD_1 src1_sel:DWORD
	v_lshrrev_b32_e32 v7, 3, v10
	v_cmpx_gt_u32_e32 8, v10
; %bb.1521:                             ;   in Loop: Header=BB227_1059 Depth=1
	v_ffbh_u32_e32 v7, v8
	v_min_u32_e32 v7, 32, v7
	v_subrev_nc_u32_e32 v10, 28, v7
	v_sub_nc_u32_e32 v7, 29, v7
	v_lshlrev_b64 v[24:25], v10, v[8:9]
	v_and_b32_e32 v8, 7, v24
; %bb.1522:                             ;   in Loop: Header=BB227_1059 Depth=1
	s_or_b32 exec_lo, exec_lo, s13
	v_mov_b32_e32 v10, 24
	v_lshlrev_b32_e32 v8, 20, v8
	v_lshl_add_u32 v7, v7, 23, 0x3c000000
	v_lshlrev_b32_sdwa v10, v10, v6 dst_sel:DWORD dst_unused:UNUSED_PAD src0_sel:DWORD src1_sel:WORD_1
	v_and_b32_e32 v10, 0x80000000, v10
	v_or3_b32 v8, v8, v10, v7
	v_mov_b32_e32 v25, v9
	v_mov_b32_e32 v24, v8
.LBB227_1523:                           ;   in Loop: Header=BB227_1059 Depth=1
	s_or_b32 exec_lo, exec_lo, s12
.LBB227_1524:                           ;   in Loop: Header=BB227_1059 Depth=1
	s_or_b32 exec_lo, exec_lo, s11
.LBB227_1525:                           ;   in Loop: Header=BB227_1059 Depth=1
	s_or_b32 exec_lo, exec_lo, s9
	s_mov_b32 s9, exec_lo
	v_cmpx_lt_u32_e32 0xffffff, v6
	s_cbranch_execz .LBB227_1533
; %bb.1526:                             ;   in Loop: Header=BB227_1059 Depth=1
	v_mov_b32_e32 v10, v9
	v_mov_b32_e32 v23, v11
	v_cmp_ne_u32_sdwa s4, v6, v99 src0_sel:BYTE_3 src1_sel:DWORD
	v_mov_b32_e32 v22, v10
	s_and_saveexec_b32 s11, s4
	s_cbranch_execz .LBB227_1532
; %bb.1527:                             ;   in Loop: Header=BB227_1059 Depth=1
	v_mov_b32_e32 v12, v9
	v_mov_b32_e32 v23, v13
	v_bfe_u32 v10, v6, 24, 7
	s_mov_b32 s12, exec_lo
	v_mov_b32_e32 v22, v12
	v_cmpx_ne_u32_e32 0x7f, v10
	s_cbranch_execz .LBB227_1531
; %bb.1528:                             ;   in Loop: Header=BB227_1059 Depth=1
	v_mov_b32_e32 v7, 7
	s_mov_b32 s13, exec_lo
	v_and_b32_sdwa v8, v6, v7 dst_sel:DWORD dst_unused:UNUSED_PAD src0_sel:BYTE_3 src1_sel:DWORD
	v_lshrrev_b32_e32 v7, 3, v10
	v_cmpx_gt_u32_e32 8, v10
; %bb.1529:                             ;   in Loop: Header=BB227_1059 Depth=1
	v_ffbh_u32_e32 v7, v8
	v_min_u32_e32 v7, 32, v7
	v_subrev_nc_u32_e32 v10, 28, v7
	v_sub_nc_u32_e32 v7, 29, v7
	v_lshlrev_b64 v[22:23], v10, v[8:9]
	v_and_b32_e32 v8, 7, v22
; %bb.1530:                             ;   in Loop: Header=BB227_1059 Depth=1
	s_or_b32 exec_lo, exec_lo, s13
	v_mov_b32_e32 v10, 24
	v_lshlrev_b32_e32 v8, 20, v8
	v_lshl_add_u32 v7, v7, 23, 0x3c000000
	v_mov_b32_e32 v22, v9
	v_lshlrev_b32_sdwa v6, v10, v6 dst_sel:DWORD dst_unused:UNUSED_PAD src0_sel:DWORD src1_sel:BYTE_3
	v_and_b32_e32 v6, 0x80000000, v6
	v_or3_b32 v23, v8, v6, v7
.LBB227_1531:                           ;   in Loop: Header=BB227_1059 Depth=1
	s_or_b32 exec_lo, exec_lo, s12
.LBB227_1532:                           ;   in Loop: Header=BB227_1059 Depth=1
	s_or_b32 exec_lo, exec_lo, s11
.LBB227_1533:                           ;   in Loop: Header=BB227_1059 Depth=1
	s_or_b32 exec_lo, exec_lo, s9
	v_or_b32_e32 v6, v21, v19
	v_or_b32_e32 v7, v20, v18
	;; [unrolled: 1-line block ×4, first 2 shown]
	v_mul_f32_e32 v6, v114, v6
	buffer_store_dword v6, off, s[0:3], s32 offset:628 ; 4-byte Folded Spill
	v_mul_f32_e32 v6, v87, v7
	buffer_store_dword v6, off, s[0:3], s32 offset:620 ; 4-byte Folded Spill
	;; [unrolled: 2-line block ×4, first 2 shown]
	s_and_saveexec_b32 s9, vcc_lo
	s_cbranch_execz .LBB227_1535
; %bb.1534:                             ;   in Loop: Header=BB227_1059 Depth=1
	s_clause 0x1
	buffer_load_dword v6, off, s[0:3], s32 offset:200
	buffer_load_dword v7, off, s[0:3], s32 offset:620
	s_waitcnt vmcnt(1)
	v_cmp_lt_i32_e64 s4, v43, v6
	s_waitcnt vmcnt(0)
	v_cndmask_b32_e64 v7, 0, v7, s4
	v_cmp_lt_i32_e64 s4, v45, v6
	buffer_store_dword v7, off, s[0:3], s32 offset:620 ; 4-byte Folded Spill
	buffer_load_dword v7, off, s[0:3], s32 offset:628 ; 4-byte Folded Reload
	s_waitcnt vmcnt(0)
	v_cndmask_b32_e64 v7, 0, v7, s4
	v_cmp_lt_i32_e64 s4, v44, v6
	buffer_store_dword v7, off, s[0:3], s32 offset:628 ; 4-byte Folded Spill
	buffer_load_dword v7, off, s[0:3], s32 offset:612 ; 4-byte Folded Reload
	s_waitcnt vmcnt(0)
	v_cndmask_b32_e64 v7, 0, v7, s4
	v_cmp_lt_i32_e64 s4, v112, v6
	buffer_load_dword v6, off, s[0:3], s32 offset:604 ; 4-byte Folded Reload
	buffer_store_dword v7, off, s[0:3], s32 offset:612 ; 4-byte Folded Spill
	s_waitcnt vmcnt(0)
	v_cndmask_b32_e64 v6, 0, v6, s4
	buffer_store_dword v6, off, s[0:3], s32 offset:604 ; 4-byte Folded Spill
.LBB227_1535:                           ;   in Loop: Header=BB227_1059 Depth=1
	s_or_b32 exec_lo, exec_lo, s9
	flat_load_dword v6, v[4:5] offset:1792
	v_mov_b32_e32 v20, 0
	v_mov_b32_e32 v18, 0
	;; [unrolled: 1-line block ×4, first 2 shown]
	s_waitcnt vmcnt(0) lgkmcnt(0)
	v_cmp_ne_u16_sdwa s4, v6, v9 src0_sel:BYTE_0 src1_sel:DWORD
	s_and_saveexec_b32 s9, s4
	s_cbranch_execz .LBB227_1543
; %bb.1536:                             ;   in Loop: Header=BB227_1059 Depth=1
	v_bfrev_b32_e32 v18, 1
	v_mov_b32_e32 v19, 0
	v_cmp_ne_u16_sdwa s4, v6, v99 src0_sel:BYTE_0 src1_sel:DWORD
	s_and_saveexec_b32 s11, s4
	s_cbranch_execz .LBB227_1542
; %bb.1537:                             ;   in Loop: Header=BB227_1059 Depth=1
	v_mov_b32_e32 v18, 0x7f800001
	v_and_b32_e32 v10, 0x7f, v6
	v_mov_b32_e32 v19, 0
	s_mov_b32 s12, exec_lo
	v_cmpx_ne_u32_e32 0x7f, v10
	s_cbranch_execz .LBB227_1541
; %bb.1538:                             ;   in Loop: Header=BB227_1059 Depth=1
	v_and_b32_e32 v8, 7, v6
	v_lshrrev_b32_e32 v7, 3, v10
	s_mov_b32 s13, exec_lo
	v_cmpx_gt_u32_e32 8, v10
; %bb.1539:                             ;   in Loop: Header=BB227_1059 Depth=1
	v_ffbh_u32_e32 v7, v8
	v_min_u32_e32 v7, 32, v7
	v_subrev_nc_u32_e32 v10, 28, v7
	v_sub_nc_u32_e32 v7, 29, v7
	v_lshlrev_b64 v[18:19], v10, v[8:9]
	v_and_b32_e32 v8, 7, v18
; %bb.1540:                             ;   in Loop: Header=BB227_1059 Depth=1
	s_or_b32 exec_lo, exec_lo, s13
	v_lshlrev_b32_e32 v10, 24, v6
	v_lshlrev_b32_e32 v8, 20, v8
	v_lshl_add_u32 v7, v7, 23, 0x3c000000
	v_and_b32_e32 v10, 0x80000000, v10
	v_or3_b32 v8, v8, v10, v7
	v_mov_b32_e32 v19, v9
	v_mov_b32_e32 v18, v8
.LBB227_1541:                           ;   in Loop: Header=BB227_1059 Depth=1
	s_or_b32 exec_lo, exec_lo, s12
.LBB227_1542:                           ;   in Loop: Header=BB227_1059 Depth=1
	s_or_b32 exec_lo, exec_lo, s11
.LBB227_1543:                           ;   in Loop: Header=BB227_1059 Depth=1
	s_or_b32 exec_lo, exec_lo, s9
	v_cmp_ne_u16_sdwa s4, v6, v9 src0_sel:BYTE_1 src1_sel:DWORD
	s_and_saveexec_b32 s9, s4
	s_cbranch_execz .LBB227_1551
; %bb.1544:                             ;   in Loop: Header=BB227_1059 Depth=1
	v_mov_b32_e32 v10, v9
	v_mov_b32_e32 v21, v11
	v_cmp_ne_u16_sdwa s4, v6, v99 src0_sel:BYTE_1 src1_sel:DWORD
	v_mov_b32_e32 v20, v10
	s_and_saveexec_b32 s11, s4
	s_cbranch_execz .LBB227_1550
; %bb.1545:                             ;   in Loop: Header=BB227_1059 Depth=1
	v_mov_b32_e32 v7, 0xffff
	v_mov_b32_e32 v12, v9
	;; [unrolled: 1-line block ×3, first 2 shown]
	s_mov_b32 s12, exec_lo
	v_and_b32_sdwa v7, v7, v6 dst_sel:DWORD dst_unused:UNUSED_PAD src0_sel:DWORD src1_sel:BYTE_1
	v_mov_b32_e32 v20, v12
	v_and_b32_e32 v10, 0x7f, v7
	v_cmpx_ne_u32_e32 0x7f, v10
	s_cbranch_execz .LBB227_1549
; %bb.1546:                             ;   in Loop: Header=BB227_1059 Depth=1
	v_and_b32_e32 v8, 7, v7
	v_lshrrev_b32_e32 v7, 3, v10
	s_mov_b32 s13, exec_lo
	v_cmpx_gt_u32_e32 8, v10
; %bb.1547:                             ;   in Loop: Header=BB227_1059 Depth=1
	v_ffbh_u32_e32 v7, v8
	v_min_u32_e32 v7, 32, v7
	v_subrev_nc_u32_e32 v10, 28, v7
	v_sub_nc_u32_e32 v7, 29, v7
	v_lshlrev_b64 v[20:21], v10, v[8:9]
	v_and_b32_e32 v8, 7, v20
; %bb.1548:                             ;   in Loop: Header=BB227_1059 Depth=1
	s_or_b32 exec_lo, exec_lo, s13
	v_lshlrev_b32_e32 v10, 16, v6
	v_lshlrev_b32_e32 v8, 20, v8
	v_lshl_add_u32 v7, v7, 23, 0x3c000000
	v_mov_b32_e32 v20, v9
	v_and_b32_e32 v10, 0x80000000, v10
	v_or3_b32 v21, v8, v10, v7
.LBB227_1549:                           ;   in Loop: Header=BB227_1059 Depth=1
	s_or_b32 exec_lo, exec_lo, s12
.LBB227_1550:                           ;   in Loop: Header=BB227_1059 Depth=1
	s_or_b32 exec_lo, exec_lo, s11
.LBB227_1551:                           ;   in Loop: Header=BB227_1059 Depth=1
	s_or_b32 exec_lo, exec_lo, s9
	v_mov_b32_e32 v22, 0
	v_mov_b32_e32 v24, 0
	v_and_b32_sdwa v7, v6, v101 dst_sel:DWORD dst_unused:UNUSED_PAD src0_sel:WORD_1 src1_sel:DWORD
	v_mov_b32_e32 v23, 0
	v_mov_b32_e32 v25, 0
	s_mov_b32 s9, exec_lo
	v_cmpx_ne_u16_e32 0, v7
	s_cbranch_execz .LBB227_1559
; %bb.1552:                             ;   in Loop: Header=BB227_1059 Depth=1
	v_bfrev_b32_e32 v24, 1
	v_mov_b32_e32 v25, 0
	s_mov_b32 s11, exec_lo
	v_cmpx_ne_u16_e32 0x80, v7
	s_cbranch_execz .LBB227_1558
; %bb.1553:                             ;   in Loop: Header=BB227_1059 Depth=1
	v_mov_b32_e32 v24, 0x7f800001
	v_bfe_u32 v10, v6, 16, 7
	v_mov_b32_e32 v25, 0
	s_mov_b32 s12, exec_lo
	v_cmpx_ne_u32_e32 0x7f, v10
	s_cbranch_execz .LBB227_1557
; %bb.1554:                             ;   in Loop: Header=BB227_1059 Depth=1
	v_mov_b32_e32 v7, 7
	s_mov_b32 s13, exec_lo
	v_and_b32_sdwa v8, v6, v7 dst_sel:DWORD dst_unused:UNUSED_PAD src0_sel:WORD_1 src1_sel:DWORD
	v_lshrrev_b32_e32 v7, 3, v10
	v_cmpx_gt_u32_e32 8, v10
; %bb.1555:                             ;   in Loop: Header=BB227_1059 Depth=1
	v_ffbh_u32_e32 v7, v8
	v_min_u32_e32 v7, 32, v7
	v_subrev_nc_u32_e32 v10, 28, v7
	v_sub_nc_u32_e32 v7, 29, v7
	v_lshlrev_b64 v[24:25], v10, v[8:9]
	v_and_b32_e32 v8, 7, v24
; %bb.1556:                             ;   in Loop: Header=BB227_1059 Depth=1
	s_or_b32 exec_lo, exec_lo, s13
	v_mov_b32_e32 v10, 24
	v_lshlrev_b32_e32 v8, 20, v8
	v_lshl_add_u32 v7, v7, 23, 0x3c000000
	v_lshlrev_b32_sdwa v10, v10, v6 dst_sel:DWORD dst_unused:UNUSED_PAD src0_sel:DWORD src1_sel:WORD_1
	v_and_b32_e32 v10, 0x80000000, v10
	v_or3_b32 v8, v8, v10, v7
	v_mov_b32_e32 v25, v9
	v_mov_b32_e32 v24, v8
.LBB227_1557:                           ;   in Loop: Header=BB227_1059 Depth=1
	s_or_b32 exec_lo, exec_lo, s12
.LBB227_1558:                           ;   in Loop: Header=BB227_1059 Depth=1
	s_or_b32 exec_lo, exec_lo, s11
.LBB227_1559:                           ;   in Loop: Header=BB227_1059 Depth=1
	s_or_b32 exec_lo, exec_lo, s9
	s_mov_b32 s9, exec_lo
	v_cmpx_lt_u32_e32 0xffffff, v6
	s_cbranch_execz .LBB227_1567
; %bb.1560:                             ;   in Loop: Header=BB227_1059 Depth=1
	v_mov_b32_e32 v10, v9
	v_mov_b32_e32 v23, v11
	v_cmp_ne_u32_sdwa s4, v6, v99 src0_sel:BYTE_3 src1_sel:DWORD
	v_mov_b32_e32 v22, v10
	s_and_saveexec_b32 s11, s4
	s_cbranch_execz .LBB227_1566
; %bb.1561:                             ;   in Loop: Header=BB227_1059 Depth=1
	v_mov_b32_e32 v12, v9
	v_mov_b32_e32 v23, v13
	v_bfe_u32 v10, v6, 24, 7
	s_mov_b32 s12, exec_lo
	v_mov_b32_e32 v22, v12
	v_cmpx_ne_u32_e32 0x7f, v10
	s_cbranch_execz .LBB227_1565
; %bb.1562:                             ;   in Loop: Header=BB227_1059 Depth=1
	v_mov_b32_e32 v7, 7
	s_mov_b32 s13, exec_lo
	v_and_b32_sdwa v8, v6, v7 dst_sel:DWORD dst_unused:UNUSED_PAD src0_sel:BYTE_3 src1_sel:DWORD
	v_lshrrev_b32_e32 v7, 3, v10
	v_cmpx_gt_u32_e32 8, v10
; %bb.1563:                             ;   in Loop: Header=BB227_1059 Depth=1
	v_ffbh_u32_e32 v7, v8
	v_min_u32_e32 v7, 32, v7
	v_subrev_nc_u32_e32 v10, 28, v7
	v_sub_nc_u32_e32 v7, 29, v7
	v_lshlrev_b64 v[22:23], v10, v[8:9]
	v_and_b32_e32 v8, 7, v22
; %bb.1564:                             ;   in Loop: Header=BB227_1059 Depth=1
	s_or_b32 exec_lo, exec_lo, s13
	v_mov_b32_e32 v10, 24
	v_lshlrev_b32_e32 v8, 20, v8
	v_lshl_add_u32 v7, v7, 23, 0x3c000000
	v_mov_b32_e32 v22, v9
	v_lshlrev_b32_sdwa v6, v10, v6 dst_sel:DWORD dst_unused:UNUSED_PAD src0_sel:DWORD src1_sel:BYTE_3
	v_and_b32_e32 v6, 0x80000000, v6
	v_or3_b32 v23, v8, v6, v7
.LBB227_1565:                           ;   in Loop: Header=BB227_1059 Depth=1
	s_or_b32 exec_lo, exec_lo, s12
.LBB227_1566:                           ;   in Loop: Header=BB227_1059 Depth=1
	s_or_b32 exec_lo, exec_lo, s11
.LBB227_1567:                           ;   in Loop: Header=BB227_1059 Depth=1
	s_or_b32 exec_lo, exec_lo, s9
	v_or_b32_e32 v6, v21, v19
	v_or_b32_e32 v7, v20, v18
	;; [unrolled: 1-line block ×4, first 2 shown]
	v_mul_f32_e32 v6, v114, v6
	buffer_store_dword v6, off, s[0:3], s32 offset:660 ; 4-byte Folded Spill
	v_mul_f32_e32 v6, v87, v7
	buffer_store_dword v6, off, s[0:3], s32 offset:652 ; 4-byte Folded Spill
	;; [unrolled: 2-line block ×4, first 2 shown]
	s_and_saveexec_b32 s9, vcc_lo
	s_cbranch_execz .LBB227_1569
; %bb.1568:                             ;   in Loop: Header=BB227_1059 Depth=1
	s_clause 0x1
	buffer_load_dword v6, off, s[0:3], s32 offset:200
	buffer_load_dword v7, off, s[0:3], s32 offset:652
	s_waitcnt vmcnt(1)
	v_cmp_lt_i32_e64 s4, v43, v6
	s_waitcnt vmcnt(0)
	v_cndmask_b32_e64 v7, 0, v7, s4
	v_cmp_lt_i32_e64 s4, v45, v6
	buffer_store_dword v7, off, s[0:3], s32 offset:652 ; 4-byte Folded Spill
	buffer_load_dword v7, off, s[0:3], s32 offset:660 ; 4-byte Folded Reload
	s_waitcnt vmcnt(0)
	v_cndmask_b32_e64 v7, 0, v7, s4
	v_cmp_lt_i32_e64 s4, v44, v6
	buffer_store_dword v7, off, s[0:3], s32 offset:660 ; 4-byte Folded Spill
	buffer_load_dword v7, off, s[0:3], s32 offset:644 ; 4-byte Folded Reload
	s_waitcnt vmcnt(0)
	v_cndmask_b32_e64 v7, 0, v7, s4
	v_cmp_lt_i32_e64 s4, v112, v6
	buffer_load_dword v6, off, s[0:3], s32 offset:636 ; 4-byte Folded Reload
	buffer_store_dword v7, off, s[0:3], s32 offset:644 ; 4-byte Folded Spill
	s_waitcnt vmcnt(0)
	v_cndmask_b32_e64 v6, 0, v6, s4
	buffer_store_dword v6, off, s[0:3], s32 offset:636 ; 4-byte Folded Spill
.LBB227_1569:                           ;   in Loop: Header=BB227_1059 Depth=1
	s_or_b32 exec_lo, exec_lo, s9
	flat_load_dword v6, v[4:5] offset:1920
	v_mov_b32_e32 v20, 0
	v_mov_b32_e32 v18, 0
	;; [unrolled: 1-line block ×4, first 2 shown]
	s_waitcnt vmcnt(0) lgkmcnt(0)
	v_cmp_ne_u16_sdwa s4, v6, v9 src0_sel:BYTE_0 src1_sel:DWORD
	s_and_saveexec_b32 s9, s4
	s_cbranch_execz .LBB227_1577
; %bb.1570:                             ;   in Loop: Header=BB227_1059 Depth=1
	v_bfrev_b32_e32 v18, 1
	v_mov_b32_e32 v19, 0
	v_cmp_ne_u16_sdwa s4, v6, v99 src0_sel:BYTE_0 src1_sel:DWORD
	s_and_saveexec_b32 s11, s4
	s_cbranch_execz .LBB227_1576
; %bb.1571:                             ;   in Loop: Header=BB227_1059 Depth=1
	v_mov_b32_e32 v18, 0x7f800001
	v_and_b32_e32 v10, 0x7f, v6
	v_mov_b32_e32 v19, 0
	s_mov_b32 s12, exec_lo
	v_cmpx_ne_u32_e32 0x7f, v10
	s_cbranch_execz .LBB227_1575
; %bb.1572:                             ;   in Loop: Header=BB227_1059 Depth=1
	v_and_b32_e32 v8, 7, v6
	v_lshrrev_b32_e32 v7, 3, v10
	s_mov_b32 s13, exec_lo
	v_cmpx_gt_u32_e32 8, v10
; %bb.1573:                             ;   in Loop: Header=BB227_1059 Depth=1
	v_ffbh_u32_e32 v7, v8
	v_min_u32_e32 v7, 32, v7
	v_subrev_nc_u32_e32 v10, 28, v7
	v_sub_nc_u32_e32 v7, 29, v7
	v_lshlrev_b64 v[18:19], v10, v[8:9]
	v_and_b32_e32 v8, 7, v18
; %bb.1574:                             ;   in Loop: Header=BB227_1059 Depth=1
	s_or_b32 exec_lo, exec_lo, s13
	v_lshlrev_b32_e32 v10, 24, v6
	v_lshlrev_b32_e32 v8, 20, v8
	v_lshl_add_u32 v7, v7, 23, 0x3c000000
	v_and_b32_e32 v10, 0x80000000, v10
	v_or3_b32 v8, v8, v10, v7
	v_mov_b32_e32 v19, v9
	v_mov_b32_e32 v18, v8
.LBB227_1575:                           ;   in Loop: Header=BB227_1059 Depth=1
	s_or_b32 exec_lo, exec_lo, s12
.LBB227_1576:                           ;   in Loop: Header=BB227_1059 Depth=1
	s_or_b32 exec_lo, exec_lo, s11
.LBB227_1577:                           ;   in Loop: Header=BB227_1059 Depth=1
	s_or_b32 exec_lo, exec_lo, s9
	v_cmp_ne_u16_sdwa s4, v6, v9 src0_sel:BYTE_1 src1_sel:DWORD
	s_and_saveexec_b32 s9, s4
	s_cbranch_execz .LBB227_1585
; %bb.1578:                             ;   in Loop: Header=BB227_1059 Depth=1
	v_mov_b32_e32 v10, v9
	v_mov_b32_e32 v21, v11
	v_cmp_ne_u16_sdwa s4, v6, v99 src0_sel:BYTE_1 src1_sel:DWORD
	v_mov_b32_e32 v20, v10
	s_and_saveexec_b32 s11, s4
	s_cbranch_execz .LBB227_1584
; %bb.1579:                             ;   in Loop: Header=BB227_1059 Depth=1
	v_mov_b32_e32 v7, 0xffff
	v_mov_b32_e32 v12, v9
	;; [unrolled: 1-line block ×3, first 2 shown]
	s_mov_b32 s12, exec_lo
	v_and_b32_sdwa v7, v7, v6 dst_sel:DWORD dst_unused:UNUSED_PAD src0_sel:DWORD src1_sel:BYTE_1
	v_mov_b32_e32 v20, v12
	v_and_b32_e32 v10, 0x7f, v7
	v_cmpx_ne_u32_e32 0x7f, v10
	s_cbranch_execz .LBB227_1583
; %bb.1580:                             ;   in Loop: Header=BB227_1059 Depth=1
	v_and_b32_e32 v8, 7, v7
	v_lshrrev_b32_e32 v7, 3, v10
	s_mov_b32 s13, exec_lo
	v_cmpx_gt_u32_e32 8, v10
; %bb.1581:                             ;   in Loop: Header=BB227_1059 Depth=1
	v_ffbh_u32_e32 v7, v8
	v_min_u32_e32 v7, 32, v7
	v_subrev_nc_u32_e32 v10, 28, v7
	v_sub_nc_u32_e32 v7, 29, v7
	v_lshlrev_b64 v[20:21], v10, v[8:9]
	v_and_b32_e32 v8, 7, v20
; %bb.1582:                             ;   in Loop: Header=BB227_1059 Depth=1
	s_or_b32 exec_lo, exec_lo, s13
	v_lshlrev_b32_e32 v10, 16, v6
	v_lshlrev_b32_e32 v8, 20, v8
	v_lshl_add_u32 v7, v7, 23, 0x3c000000
	v_mov_b32_e32 v20, v9
	v_and_b32_e32 v10, 0x80000000, v10
	v_or3_b32 v21, v8, v10, v7
.LBB227_1583:                           ;   in Loop: Header=BB227_1059 Depth=1
	s_or_b32 exec_lo, exec_lo, s12
.LBB227_1584:                           ;   in Loop: Header=BB227_1059 Depth=1
	s_or_b32 exec_lo, exec_lo, s11
.LBB227_1585:                           ;   in Loop: Header=BB227_1059 Depth=1
	s_or_b32 exec_lo, exec_lo, s9
	v_mov_b32_e32 v22, 0
	v_mov_b32_e32 v24, 0
	v_and_b32_sdwa v7, v6, v101 dst_sel:DWORD dst_unused:UNUSED_PAD src0_sel:WORD_1 src1_sel:DWORD
	v_mov_b32_e32 v23, 0
	v_mov_b32_e32 v25, 0
	s_mov_b32 s9, exec_lo
	v_cmpx_ne_u16_e32 0, v7
	s_cbranch_execz .LBB227_1593
; %bb.1586:                             ;   in Loop: Header=BB227_1059 Depth=1
	v_bfrev_b32_e32 v24, 1
	v_mov_b32_e32 v25, 0
	s_mov_b32 s11, exec_lo
	v_cmpx_ne_u16_e32 0x80, v7
	s_cbranch_execz .LBB227_1592
; %bb.1587:                             ;   in Loop: Header=BB227_1059 Depth=1
	v_mov_b32_e32 v24, 0x7f800001
	v_bfe_u32 v10, v6, 16, 7
	v_mov_b32_e32 v25, 0
	s_mov_b32 s12, exec_lo
	v_cmpx_ne_u32_e32 0x7f, v10
	s_cbranch_execz .LBB227_1591
; %bb.1588:                             ;   in Loop: Header=BB227_1059 Depth=1
	v_mov_b32_e32 v7, 7
	s_mov_b32 s13, exec_lo
	v_and_b32_sdwa v8, v6, v7 dst_sel:DWORD dst_unused:UNUSED_PAD src0_sel:WORD_1 src1_sel:DWORD
	v_lshrrev_b32_e32 v7, 3, v10
	v_cmpx_gt_u32_e32 8, v10
; %bb.1589:                             ;   in Loop: Header=BB227_1059 Depth=1
	v_ffbh_u32_e32 v7, v8
	v_min_u32_e32 v7, 32, v7
	v_subrev_nc_u32_e32 v10, 28, v7
	v_sub_nc_u32_e32 v7, 29, v7
	v_lshlrev_b64 v[24:25], v10, v[8:9]
	v_and_b32_e32 v8, 7, v24
; %bb.1590:                             ;   in Loop: Header=BB227_1059 Depth=1
	s_or_b32 exec_lo, exec_lo, s13
	v_mov_b32_e32 v10, 24
	v_lshlrev_b32_e32 v8, 20, v8
	v_lshl_add_u32 v7, v7, 23, 0x3c000000
	v_lshlrev_b32_sdwa v10, v10, v6 dst_sel:DWORD dst_unused:UNUSED_PAD src0_sel:DWORD src1_sel:WORD_1
	v_and_b32_e32 v10, 0x80000000, v10
	v_or3_b32 v8, v8, v10, v7
	v_mov_b32_e32 v25, v9
	v_mov_b32_e32 v24, v8
.LBB227_1591:                           ;   in Loop: Header=BB227_1059 Depth=1
	s_or_b32 exec_lo, exec_lo, s12
.LBB227_1592:                           ;   in Loop: Header=BB227_1059 Depth=1
	s_or_b32 exec_lo, exec_lo, s11
.LBB227_1593:                           ;   in Loop: Header=BB227_1059 Depth=1
	s_or_b32 exec_lo, exec_lo, s9
	s_mov_b32 s9, exec_lo
	v_cmpx_lt_u32_e32 0xffffff, v6
	s_cbranch_execz .LBB227_1601
; %bb.1594:                             ;   in Loop: Header=BB227_1059 Depth=1
	v_mov_b32_e32 v10, v9
	v_mov_b32_e32 v23, v11
	v_cmp_ne_u32_sdwa s4, v6, v99 src0_sel:BYTE_3 src1_sel:DWORD
	v_mov_b32_e32 v22, v10
	s_and_saveexec_b32 s11, s4
	s_cbranch_execz .LBB227_1600
; %bb.1595:                             ;   in Loop: Header=BB227_1059 Depth=1
	v_mov_b32_e32 v12, v9
	v_mov_b32_e32 v23, v13
	v_bfe_u32 v10, v6, 24, 7
	s_mov_b32 s12, exec_lo
	v_mov_b32_e32 v22, v12
	v_cmpx_ne_u32_e32 0x7f, v10
	s_cbranch_execz .LBB227_1599
; %bb.1596:                             ;   in Loop: Header=BB227_1059 Depth=1
	v_mov_b32_e32 v7, 7
	s_mov_b32 s13, exec_lo
	v_and_b32_sdwa v8, v6, v7 dst_sel:DWORD dst_unused:UNUSED_PAD src0_sel:BYTE_3 src1_sel:DWORD
	v_lshrrev_b32_e32 v7, 3, v10
	v_cmpx_gt_u32_e32 8, v10
; %bb.1597:                             ;   in Loop: Header=BB227_1059 Depth=1
	v_ffbh_u32_e32 v7, v8
	v_min_u32_e32 v7, 32, v7
	v_subrev_nc_u32_e32 v10, 28, v7
	v_sub_nc_u32_e32 v7, 29, v7
	v_lshlrev_b64 v[22:23], v10, v[8:9]
	v_and_b32_e32 v8, 7, v22
; %bb.1598:                             ;   in Loop: Header=BB227_1059 Depth=1
	s_or_b32 exec_lo, exec_lo, s13
	v_mov_b32_e32 v10, 24
	v_lshlrev_b32_e32 v8, 20, v8
	v_lshl_add_u32 v7, v7, 23, 0x3c000000
	v_mov_b32_e32 v22, v9
	v_lshlrev_b32_sdwa v6, v10, v6 dst_sel:DWORD dst_unused:UNUSED_PAD src0_sel:DWORD src1_sel:BYTE_3
	v_and_b32_e32 v6, 0x80000000, v6
	v_or3_b32 v23, v8, v6, v7
.LBB227_1599:                           ;   in Loop: Header=BB227_1059 Depth=1
	s_or_b32 exec_lo, exec_lo, s12
.LBB227_1600:                           ;   in Loop: Header=BB227_1059 Depth=1
	s_or_b32 exec_lo, exec_lo, s11
.LBB227_1601:                           ;   in Loop: Header=BB227_1059 Depth=1
	s_or_b32 exec_lo, exec_lo, s9
	v_or_b32_e32 v6, v21, v19
	v_or_b32_e32 v7, v20, v18
	;; [unrolled: 1-line block ×4, first 2 shown]
	v_mul_f32_e32 v118, v114, v6
	v_mul_f32_e32 v119, v87, v7
	;; [unrolled: 1-line block ×4, first 2 shown]
	s_and_saveexec_b32 s9, vcc_lo
	s_cbranch_execz .LBB227_1603
; %bb.1602:                             ;   in Loop: Header=BB227_1059 Depth=1
	buffer_load_dword v6, off, s[0:3], s32 offset:200 ; 4-byte Folded Reload
	s_waitcnt vmcnt(0)
	v_cmp_lt_i32_e64 s4, v43, v6
	v_cndmask_b32_e64 v119, 0, v119, s4
	v_cmp_lt_i32_e64 s4, v45, v6
	v_cndmask_b32_e64 v118, 0, v118, s4
	;; [unrolled: 2-line block ×4, first 2 shown]
.LBB227_1603:                           ;   in Loop: Header=BB227_1059 Depth=1
	s_or_b32 exec_lo, exec_lo, s9
	v_add_co_u32 v4, s4, 0x800, v4
	v_add_co_ci_u32_e64 v5, null, 0, v5, s4
	v_mov_b32_e32 v20, 0
	v_mov_b32_e32 v18, 0
	;; [unrolled: 1-line block ×3, first 2 shown]
	flat_load_dword v6, v[4:5]
	v_mov_b32_e32 v19, 0
	s_waitcnt vmcnt(0) lgkmcnt(0)
	v_cmp_ne_u16_sdwa s4, v6, v9 src0_sel:BYTE_0 src1_sel:DWORD
	s_and_saveexec_b32 s9, s4
	s_cbranch_execz .LBB227_1611
; %bb.1604:                             ;   in Loop: Header=BB227_1059 Depth=1
	v_bfrev_b32_e32 v18, 1
	v_mov_b32_e32 v19, 0
	v_cmp_ne_u16_sdwa s4, v6, v99 src0_sel:BYTE_0 src1_sel:DWORD
	s_and_saveexec_b32 s11, s4
	s_cbranch_execz .LBB227_1610
; %bb.1605:                             ;   in Loop: Header=BB227_1059 Depth=1
	v_mov_b32_e32 v18, 0x7f800001
	v_and_b32_e32 v10, 0x7f, v6
	v_mov_b32_e32 v19, 0
	s_mov_b32 s12, exec_lo
	v_cmpx_ne_u32_e32 0x7f, v10
	s_cbranch_execz .LBB227_1609
; %bb.1606:                             ;   in Loop: Header=BB227_1059 Depth=1
	v_and_b32_e32 v8, 7, v6
	v_lshrrev_b32_e32 v7, 3, v10
	s_mov_b32 s13, exec_lo
	v_cmpx_gt_u32_e32 8, v10
; %bb.1607:                             ;   in Loop: Header=BB227_1059 Depth=1
	v_ffbh_u32_e32 v7, v8
	v_min_u32_e32 v7, 32, v7
	v_subrev_nc_u32_e32 v10, 28, v7
	v_sub_nc_u32_e32 v7, 29, v7
	v_lshlrev_b64 v[18:19], v10, v[8:9]
	v_and_b32_e32 v8, 7, v18
; %bb.1608:                             ;   in Loop: Header=BB227_1059 Depth=1
	s_or_b32 exec_lo, exec_lo, s13
	v_lshlrev_b32_e32 v10, 24, v6
	v_lshlrev_b32_e32 v8, 20, v8
	v_lshl_add_u32 v7, v7, 23, 0x3c000000
	v_and_b32_e32 v10, 0x80000000, v10
	v_or3_b32 v8, v8, v10, v7
	v_mov_b32_e32 v19, v9
	v_mov_b32_e32 v18, v8
.LBB227_1609:                           ;   in Loop: Header=BB227_1059 Depth=1
	s_or_b32 exec_lo, exec_lo, s12
.LBB227_1610:                           ;   in Loop: Header=BB227_1059 Depth=1
	s_or_b32 exec_lo, exec_lo, s11
.LBB227_1611:                           ;   in Loop: Header=BB227_1059 Depth=1
	s_or_b32 exec_lo, exec_lo, s9
	v_cmp_ne_u16_sdwa s4, v6, v9 src0_sel:BYTE_1 src1_sel:DWORD
	s_and_saveexec_b32 s9, s4
	s_cbranch_execz .LBB227_1619
; %bb.1612:                             ;   in Loop: Header=BB227_1059 Depth=1
	v_mov_b32_e32 v10, v9
	v_mov_b32_e32 v21, v11
	v_cmp_ne_u16_sdwa s4, v6, v99 src0_sel:BYTE_1 src1_sel:DWORD
	v_mov_b32_e32 v20, v10
	s_and_saveexec_b32 s11, s4
	s_cbranch_execz .LBB227_1618
; %bb.1613:                             ;   in Loop: Header=BB227_1059 Depth=1
	v_mov_b32_e32 v7, 0xffff
	v_mov_b32_e32 v12, v9
	;; [unrolled: 1-line block ×3, first 2 shown]
	s_mov_b32 s12, exec_lo
	v_and_b32_sdwa v7, v7, v6 dst_sel:DWORD dst_unused:UNUSED_PAD src0_sel:DWORD src1_sel:BYTE_1
	v_mov_b32_e32 v20, v12
	v_and_b32_e32 v10, 0x7f, v7
	v_cmpx_ne_u32_e32 0x7f, v10
	s_cbranch_execz .LBB227_1617
; %bb.1614:                             ;   in Loop: Header=BB227_1059 Depth=1
	v_and_b32_e32 v8, 7, v7
	v_lshrrev_b32_e32 v7, 3, v10
	s_mov_b32 s13, exec_lo
	v_cmpx_gt_u32_e32 8, v10
; %bb.1615:                             ;   in Loop: Header=BB227_1059 Depth=1
	v_ffbh_u32_e32 v7, v8
	v_min_u32_e32 v7, 32, v7
	v_subrev_nc_u32_e32 v10, 28, v7
	v_sub_nc_u32_e32 v7, 29, v7
	v_lshlrev_b64 v[20:21], v10, v[8:9]
	v_and_b32_e32 v8, 7, v20
; %bb.1616:                             ;   in Loop: Header=BB227_1059 Depth=1
	s_or_b32 exec_lo, exec_lo, s13
	v_lshlrev_b32_e32 v10, 16, v6
	v_lshlrev_b32_e32 v8, 20, v8
	v_lshl_add_u32 v7, v7, 23, 0x3c000000
	v_mov_b32_e32 v20, v9
	v_and_b32_e32 v10, 0x80000000, v10
	v_or3_b32 v21, v8, v10, v7
.LBB227_1617:                           ;   in Loop: Header=BB227_1059 Depth=1
	s_or_b32 exec_lo, exec_lo, s12
.LBB227_1618:                           ;   in Loop: Header=BB227_1059 Depth=1
	s_or_b32 exec_lo, exec_lo, s11
.LBB227_1619:                           ;   in Loop: Header=BB227_1059 Depth=1
	s_or_b32 exec_lo, exec_lo, s9
	v_mov_b32_e32 v22, 0
	v_mov_b32_e32 v24, 0
	v_and_b32_sdwa v7, v6, v101 dst_sel:DWORD dst_unused:UNUSED_PAD src0_sel:WORD_1 src1_sel:DWORD
	v_mov_b32_e32 v23, 0
	v_mov_b32_e32 v25, 0
	s_mov_b32 s9, exec_lo
	v_cmpx_ne_u16_e32 0, v7
	s_cbranch_execz .LBB227_1627
; %bb.1620:                             ;   in Loop: Header=BB227_1059 Depth=1
	v_bfrev_b32_e32 v24, 1
	v_mov_b32_e32 v25, 0
	s_mov_b32 s11, exec_lo
	v_cmpx_ne_u16_e32 0x80, v7
	s_cbranch_execz .LBB227_1626
; %bb.1621:                             ;   in Loop: Header=BB227_1059 Depth=1
	v_mov_b32_e32 v24, 0x7f800001
	v_bfe_u32 v10, v6, 16, 7
	v_mov_b32_e32 v25, 0
	s_mov_b32 s12, exec_lo
	v_cmpx_ne_u32_e32 0x7f, v10
	s_cbranch_execz .LBB227_1625
; %bb.1622:                             ;   in Loop: Header=BB227_1059 Depth=1
	v_mov_b32_e32 v7, 7
	s_mov_b32 s13, exec_lo
	v_and_b32_sdwa v8, v6, v7 dst_sel:DWORD dst_unused:UNUSED_PAD src0_sel:WORD_1 src1_sel:DWORD
	v_lshrrev_b32_e32 v7, 3, v10
	v_cmpx_gt_u32_e32 8, v10
; %bb.1623:                             ;   in Loop: Header=BB227_1059 Depth=1
	v_ffbh_u32_e32 v7, v8
	v_min_u32_e32 v7, 32, v7
	v_subrev_nc_u32_e32 v10, 28, v7
	v_sub_nc_u32_e32 v7, 29, v7
	v_lshlrev_b64 v[24:25], v10, v[8:9]
	v_and_b32_e32 v8, 7, v24
; %bb.1624:                             ;   in Loop: Header=BB227_1059 Depth=1
	s_or_b32 exec_lo, exec_lo, s13
	v_mov_b32_e32 v10, 24
	v_lshlrev_b32_e32 v8, 20, v8
	v_lshl_add_u32 v7, v7, 23, 0x3c000000
	v_lshlrev_b32_sdwa v10, v10, v6 dst_sel:DWORD dst_unused:UNUSED_PAD src0_sel:DWORD src1_sel:WORD_1
	v_and_b32_e32 v10, 0x80000000, v10
	v_or3_b32 v8, v8, v10, v7
	v_mov_b32_e32 v25, v9
	v_mov_b32_e32 v24, v8
.LBB227_1625:                           ;   in Loop: Header=BB227_1059 Depth=1
	s_or_b32 exec_lo, exec_lo, s12
.LBB227_1626:                           ;   in Loop: Header=BB227_1059 Depth=1
	s_or_b32 exec_lo, exec_lo, s11
.LBB227_1627:                           ;   in Loop: Header=BB227_1059 Depth=1
	s_or_b32 exec_lo, exec_lo, s9
	s_mov_b32 s9, exec_lo
	v_cmpx_lt_u32_e32 0xffffff, v6
	s_cbranch_execz .LBB227_1635
; %bb.1628:                             ;   in Loop: Header=BB227_1059 Depth=1
	v_mov_b32_e32 v10, v9
	v_mov_b32_e32 v23, v11
	v_cmp_ne_u32_sdwa s4, v6, v99 src0_sel:BYTE_3 src1_sel:DWORD
	v_mov_b32_e32 v22, v10
	s_and_saveexec_b32 s11, s4
	s_cbranch_execz .LBB227_1634
; %bb.1629:                             ;   in Loop: Header=BB227_1059 Depth=1
	v_mov_b32_e32 v12, v9
	v_mov_b32_e32 v23, v13
	v_bfe_u32 v10, v6, 24, 7
	s_mov_b32 s12, exec_lo
	v_mov_b32_e32 v22, v12
	v_cmpx_ne_u32_e32 0x7f, v10
	s_cbranch_execz .LBB227_1633
; %bb.1630:                             ;   in Loop: Header=BB227_1059 Depth=1
	v_mov_b32_e32 v7, 7
	s_mov_b32 s13, exec_lo
	v_and_b32_sdwa v8, v6, v7 dst_sel:DWORD dst_unused:UNUSED_PAD src0_sel:BYTE_3 src1_sel:DWORD
	v_lshrrev_b32_e32 v7, 3, v10
	v_cmpx_gt_u32_e32 8, v10
; %bb.1631:                             ;   in Loop: Header=BB227_1059 Depth=1
	v_ffbh_u32_e32 v7, v8
	v_min_u32_e32 v7, 32, v7
	v_subrev_nc_u32_e32 v10, 28, v7
	v_sub_nc_u32_e32 v7, 29, v7
	v_lshlrev_b64 v[22:23], v10, v[8:9]
	v_and_b32_e32 v8, 7, v22
; %bb.1632:                             ;   in Loop: Header=BB227_1059 Depth=1
	s_or_b32 exec_lo, exec_lo, s13
	v_mov_b32_e32 v10, 24
	v_lshlrev_b32_e32 v8, 20, v8
	v_lshl_add_u32 v7, v7, 23, 0x3c000000
	v_mov_b32_e32 v22, v9
	v_lshlrev_b32_sdwa v6, v10, v6 dst_sel:DWORD dst_unused:UNUSED_PAD src0_sel:DWORD src1_sel:BYTE_3
	v_and_b32_e32 v6, 0x80000000, v6
	v_or3_b32 v23, v8, v6, v7
.LBB227_1633:                           ;   in Loop: Header=BB227_1059 Depth=1
	s_or_b32 exec_lo, exec_lo, s12
.LBB227_1634:                           ;   in Loop: Header=BB227_1059 Depth=1
	s_or_b32 exec_lo, exec_lo, s11
.LBB227_1635:                           ;   in Loop: Header=BB227_1059 Depth=1
	s_or_b32 exec_lo, exec_lo, s9
	v_or_b32_e32 v6, v21, v19
	v_or_b32_e32 v7, v20, v18
	;; [unrolled: 1-line block ×4, first 2 shown]
	v_mul_f32_e32 v42, v114, v6
	v_mul_f32_e32 v46, v87, v7
	;; [unrolled: 1-line block ×4, first 2 shown]
	s_and_saveexec_b32 s9, vcc_lo
	s_cbranch_execz .LBB227_1637
; %bb.1636:                             ;   in Loop: Header=BB227_1059 Depth=1
	buffer_load_dword v6, off, s[0:3], s32 offset:200 ; 4-byte Folded Reload
	s_waitcnt vmcnt(0)
	v_cmp_lt_i32_e64 s4, v43, v6
	v_cndmask_b32_e64 v46, 0, v46, s4
	v_cmp_lt_i32_e64 s4, v45, v6
	v_cndmask_b32_e64 v42, 0, v42, s4
	;; [unrolled: 2-line block ×4, first 2 shown]
.LBB227_1637:                           ;   in Loop: Header=BB227_1059 Depth=1
	s_or_b32 exec_lo, exec_lo, s9
	flat_load_dword v6, v[4:5] offset:128
	v_mov_b32_e32 v20, 0
	v_mov_b32_e32 v18, 0
	;; [unrolled: 1-line block ×4, first 2 shown]
	s_waitcnt vmcnt(0) lgkmcnt(0)
	v_cmp_ne_u16_sdwa s4, v6, v9 src0_sel:BYTE_0 src1_sel:DWORD
	s_and_saveexec_b32 s9, s4
	s_cbranch_execz .LBB227_1645
; %bb.1638:                             ;   in Loop: Header=BB227_1059 Depth=1
	v_bfrev_b32_e32 v18, 1
	v_mov_b32_e32 v19, 0
	v_cmp_ne_u16_sdwa s4, v6, v99 src0_sel:BYTE_0 src1_sel:DWORD
	s_and_saveexec_b32 s11, s4
	s_cbranch_execz .LBB227_1644
; %bb.1639:                             ;   in Loop: Header=BB227_1059 Depth=1
	v_mov_b32_e32 v18, 0x7f800001
	v_and_b32_e32 v10, 0x7f, v6
	v_mov_b32_e32 v19, 0
	s_mov_b32 s12, exec_lo
	v_cmpx_ne_u32_e32 0x7f, v10
	s_cbranch_execz .LBB227_1643
; %bb.1640:                             ;   in Loop: Header=BB227_1059 Depth=1
	v_and_b32_e32 v8, 7, v6
	v_lshrrev_b32_e32 v7, 3, v10
	s_mov_b32 s13, exec_lo
	v_cmpx_gt_u32_e32 8, v10
; %bb.1641:                             ;   in Loop: Header=BB227_1059 Depth=1
	v_ffbh_u32_e32 v7, v8
	v_min_u32_e32 v7, 32, v7
	v_subrev_nc_u32_e32 v10, 28, v7
	v_sub_nc_u32_e32 v7, 29, v7
	v_lshlrev_b64 v[18:19], v10, v[8:9]
	v_and_b32_e32 v8, 7, v18
; %bb.1642:                             ;   in Loop: Header=BB227_1059 Depth=1
	s_or_b32 exec_lo, exec_lo, s13
	v_lshlrev_b32_e32 v10, 24, v6
	v_lshlrev_b32_e32 v8, 20, v8
	v_lshl_add_u32 v7, v7, 23, 0x3c000000
	v_and_b32_e32 v10, 0x80000000, v10
	v_or3_b32 v8, v8, v10, v7
	v_mov_b32_e32 v19, v9
	v_mov_b32_e32 v18, v8
.LBB227_1643:                           ;   in Loop: Header=BB227_1059 Depth=1
	s_or_b32 exec_lo, exec_lo, s12
.LBB227_1644:                           ;   in Loop: Header=BB227_1059 Depth=1
	s_or_b32 exec_lo, exec_lo, s11
.LBB227_1645:                           ;   in Loop: Header=BB227_1059 Depth=1
	s_or_b32 exec_lo, exec_lo, s9
	v_cmp_ne_u16_sdwa s4, v6, v9 src0_sel:BYTE_1 src1_sel:DWORD
	s_and_saveexec_b32 s9, s4
	s_cbranch_execz .LBB227_1653
; %bb.1646:                             ;   in Loop: Header=BB227_1059 Depth=1
	v_mov_b32_e32 v10, v9
	v_mov_b32_e32 v21, v11
	v_cmp_ne_u16_sdwa s4, v6, v99 src0_sel:BYTE_1 src1_sel:DWORD
	v_mov_b32_e32 v20, v10
	s_and_saveexec_b32 s11, s4
	s_cbranch_execz .LBB227_1652
; %bb.1647:                             ;   in Loop: Header=BB227_1059 Depth=1
	v_mov_b32_e32 v7, 0xffff
	v_mov_b32_e32 v12, v9
	;; [unrolled: 1-line block ×3, first 2 shown]
	s_mov_b32 s12, exec_lo
	v_and_b32_sdwa v7, v7, v6 dst_sel:DWORD dst_unused:UNUSED_PAD src0_sel:DWORD src1_sel:BYTE_1
	v_mov_b32_e32 v20, v12
	v_and_b32_e32 v10, 0x7f, v7
	v_cmpx_ne_u32_e32 0x7f, v10
	s_cbranch_execz .LBB227_1651
; %bb.1648:                             ;   in Loop: Header=BB227_1059 Depth=1
	v_and_b32_e32 v8, 7, v7
	v_lshrrev_b32_e32 v7, 3, v10
	s_mov_b32 s13, exec_lo
	v_cmpx_gt_u32_e32 8, v10
; %bb.1649:                             ;   in Loop: Header=BB227_1059 Depth=1
	v_ffbh_u32_e32 v7, v8
	v_min_u32_e32 v7, 32, v7
	v_subrev_nc_u32_e32 v10, 28, v7
	v_sub_nc_u32_e32 v7, 29, v7
	v_lshlrev_b64 v[20:21], v10, v[8:9]
	v_and_b32_e32 v8, 7, v20
; %bb.1650:                             ;   in Loop: Header=BB227_1059 Depth=1
	s_or_b32 exec_lo, exec_lo, s13
	v_lshlrev_b32_e32 v10, 16, v6
	v_lshlrev_b32_e32 v8, 20, v8
	v_lshl_add_u32 v7, v7, 23, 0x3c000000
	v_mov_b32_e32 v20, v9
	v_and_b32_e32 v10, 0x80000000, v10
	v_or3_b32 v21, v8, v10, v7
.LBB227_1651:                           ;   in Loop: Header=BB227_1059 Depth=1
	s_or_b32 exec_lo, exec_lo, s12
.LBB227_1652:                           ;   in Loop: Header=BB227_1059 Depth=1
	s_or_b32 exec_lo, exec_lo, s11
.LBB227_1653:                           ;   in Loop: Header=BB227_1059 Depth=1
	s_or_b32 exec_lo, exec_lo, s9
	v_mov_b32_e32 v22, 0
	v_mov_b32_e32 v24, 0
	v_and_b32_sdwa v7, v6, v101 dst_sel:DWORD dst_unused:UNUSED_PAD src0_sel:WORD_1 src1_sel:DWORD
	v_mov_b32_e32 v23, 0
	v_mov_b32_e32 v25, 0
	s_mov_b32 s9, exec_lo
	v_cmpx_ne_u16_e32 0, v7
	s_cbranch_execz .LBB227_1661
; %bb.1654:                             ;   in Loop: Header=BB227_1059 Depth=1
	v_bfrev_b32_e32 v24, 1
	v_mov_b32_e32 v25, 0
	s_mov_b32 s11, exec_lo
	v_cmpx_ne_u16_e32 0x80, v7
	s_cbranch_execz .LBB227_1660
; %bb.1655:                             ;   in Loop: Header=BB227_1059 Depth=1
	v_mov_b32_e32 v24, 0x7f800001
	v_bfe_u32 v10, v6, 16, 7
	v_mov_b32_e32 v25, 0
	s_mov_b32 s12, exec_lo
	v_cmpx_ne_u32_e32 0x7f, v10
	s_cbranch_execz .LBB227_1659
; %bb.1656:                             ;   in Loop: Header=BB227_1059 Depth=1
	v_mov_b32_e32 v7, 7
	s_mov_b32 s13, exec_lo
	v_and_b32_sdwa v8, v6, v7 dst_sel:DWORD dst_unused:UNUSED_PAD src0_sel:WORD_1 src1_sel:DWORD
	v_lshrrev_b32_e32 v7, 3, v10
	v_cmpx_gt_u32_e32 8, v10
; %bb.1657:                             ;   in Loop: Header=BB227_1059 Depth=1
	v_ffbh_u32_e32 v7, v8
	v_min_u32_e32 v7, 32, v7
	v_subrev_nc_u32_e32 v10, 28, v7
	v_sub_nc_u32_e32 v7, 29, v7
	v_lshlrev_b64 v[24:25], v10, v[8:9]
	v_and_b32_e32 v8, 7, v24
; %bb.1658:                             ;   in Loop: Header=BB227_1059 Depth=1
	s_or_b32 exec_lo, exec_lo, s13
	v_mov_b32_e32 v10, 24
	v_lshlrev_b32_e32 v8, 20, v8
	v_lshl_add_u32 v7, v7, 23, 0x3c000000
	v_lshlrev_b32_sdwa v10, v10, v6 dst_sel:DWORD dst_unused:UNUSED_PAD src0_sel:DWORD src1_sel:WORD_1
	v_and_b32_e32 v10, 0x80000000, v10
	v_or3_b32 v8, v8, v10, v7
	v_mov_b32_e32 v25, v9
	v_mov_b32_e32 v24, v8
.LBB227_1659:                           ;   in Loop: Header=BB227_1059 Depth=1
	s_or_b32 exec_lo, exec_lo, s12
.LBB227_1660:                           ;   in Loop: Header=BB227_1059 Depth=1
	s_or_b32 exec_lo, exec_lo, s11
.LBB227_1661:                           ;   in Loop: Header=BB227_1059 Depth=1
	s_or_b32 exec_lo, exec_lo, s9
	s_mov_b32 s9, exec_lo
	v_cmpx_lt_u32_e32 0xffffff, v6
	s_cbranch_execz .LBB227_1669
; %bb.1662:                             ;   in Loop: Header=BB227_1059 Depth=1
	v_mov_b32_e32 v10, v9
	v_mov_b32_e32 v23, v11
	v_cmp_ne_u32_sdwa s4, v6, v99 src0_sel:BYTE_3 src1_sel:DWORD
	v_mov_b32_e32 v22, v10
	s_and_saveexec_b32 s11, s4
	s_cbranch_execz .LBB227_1668
; %bb.1663:                             ;   in Loop: Header=BB227_1059 Depth=1
	v_mov_b32_e32 v12, v9
	v_mov_b32_e32 v23, v13
	v_bfe_u32 v10, v6, 24, 7
	s_mov_b32 s12, exec_lo
	v_mov_b32_e32 v22, v12
	v_cmpx_ne_u32_e32 0x7f, v10
	s_cbranch_execz .LBB227_1667
; %bb.1664:                             ;   in Loop: Header=BB227_1059 Depth=1
	v_mov_b32_e32 v7, 7
	s_mov_b32 s13, exec_lo
	v_and_b32_sdwa v8, v6, v7 dst_sel:DWORD dst_unused:UNUSED_PAD src0_sel:BYTE_3 src1_sel:DWORD
	v_lshrrev_b32_e32 v7, 3, v10
	v_cmpx_gt_u32_e32 8, v10
; %bb.1665:                             ;   in Loop: Header=BB227_1059 Depth=1
	v_ffbh_u32_e32 v7, v8
	v_min_u32_e32 v7, 32, v7
	v_subrev_nc_u32_e32 v10, 28, v7
	v_sub_nc_u32_e32 v7, 29, v7
	v_lshlrev_b64 v[22:23], v10, v[8:9]
	v_and_b32_e32 v8, 7, v22
; %bb.1666:                             ;   in Loop: Header=BB227_1059 Depth=1
	s_or_b32 exec_lo, exec_lo, s13
	v_mov_b32_e32 v10, 24
	v_lshlrev_b32_e32 v8, 20, v8
	v_lshl_add_u32 v7, v7, 23, 0x3c000000
	v_mov_b32_e32 v22, v9
	v_lshlrev_b32_sdwa v6, v10, v6 dst_sel:DWORD dst_unused:UNUSED_PAD src0_sel:DWORD src1_sel:BYTE_3
	v_and_b32_e32 v6, 0x80000000, v6
	v_or3_b32 v23, v8, v6, v7
.LBB227_1667:                           ;   in Loop: Header=BB227_1059 Depth=1
	s_or_b32 exec_lo, exec_lo, s12
.LBB227_1668:                           ;   in Loop: Header=BB227_1059 Depth=1
	s_or_b32 exec_lo, exec_lo, s11
.LBB227_1669:                           ;   in Loop: Header=BB227_1059 Depth=1
	s_or_b32 exec_lo, exec_lo, s9
	v_or_b32_e32 v6, v21, v19
	v_or_b32_e32 v7, v20, v18
	;; [unrolled: 1-line block ×4, first 2 shown]
	v_mul_f32_e32 v57, v114, v6
	v_mul_f32_e32 v58, v87, v7
	;; [unrolled: 1-line block ×4, first 2 shown]
	s_and_saveexec_b32 s9, vcc_lo
	s_cbranch_execz .LBB227_1671
; %bb.1670:                             ;   in Loop: Header=BB227_1059 Depth=1
	buffer_load_dword v6, off, s[0:3], s32 offset:200 ; 4-byte Folded Reload
	s_waitcnt vmcnt(0)
	v_cmp_lt_i32_e64 s4, v43, v6
	v_cndmask_b32_e64 v58, 0, v58, s4
	v_cmp_lt_i32_e64 s4, v45, v6
	v_cndmask_b32_e64 v57, 0, v57, s4
	;; [unrolled: 2-line block ×4, first 2 shown]
.LBB227_1671:                           ;   in Loop: Header=BB227_1059 Depth=1
	s_or_b32 exec_lo, exec_lo, s9
	flat_load_dword v6, v[4:5] offset:256
	v_mov_b32_e32 v20, 0
	v_mov_b32_e32 v18, 0
	;; [unrolled: 1-line block ×4, first 2 shown]
	s_waitcnt vmcnt(0) lgkmcnt(0)
	v_cmp_ne_u16_sdwa s4, v6, v9 src0_sel:BYTE_0 src1_sel:DWORD
	s_and_saveexec_b32 s9, s4
	s_cbranch_execz .LBB227_1679
; %bb.1672:                             ;   in Loop: Header=BB227_1059 Depth=1
	v_bfrev_b32_e32 v18, 1
	v_mov_b32_e32 v19, 0
	v_cmp_ne_u16_sdwa s4, v6, v99 src0_sel:BYTE_0 src1_sel:DWORD
	s_and_saveexec_b32 s11, s4
	s_cbranch_execz .LBB227_1678
; %bb.1673:                             ;   in Loop: Header=BB227_1059 Depth=1
	v_mov_b32_e32 v18, 0x7f800001
	v_and_b32_e32 v10, 0x7f, v6
	v_mov_b32_e32 v19, 0
	s_mov_b32 s12, exec_lo
	v_cmpx_ne_u32_e32 0x7f, v10
	s_cbranch_execz .LBB227_1677
; %bb.1674:                             ;   in Loop: Header=BB227_1059 Depth=1
	v_and_b32_e32 v8, 7, v6
	v_lshrrev_b32_e32 v7, 3, v10
	s_mov_b32 s13, exec_lo
	v_cmpx_gt_u32_e32 8, v10
; %bb.1675:                             ;   in Loop: Header=BB227_1059 Depth=1
	v_ffbh_u32_e32 v7, v8
	v_min_u32_e32 v7, 32, v7
	v_subrev_nc_u32_e32 v10, 28, v7
	v_sub_nc_u32_e32 v7, 29, v7
	v_lshlrev_b64 v[18:19], v10, v[8:9]
	v_and_b32_e32 v8, 7, v18
; %bb.1676:                             ;   in Loop: Header=BB227_1059 Depth=1
	s_or_b32 exec_lo, exec_lo, s13
	v_lshlrev_b32_e32 v10, 24, v6
	v_lshlrev_b32_e32 v8, 20, v8
	v_lshl_add_u32 v7, v7, 23, 0x3c000000
	v_and_b32_e32 v10, 0x80000000, v10
	v_or3_b32 v8, v8, v10, v7
	v_mov_b32_e32 v19, v9
	v_mov_b32_e32 v18, v8
.LBB227_1677:                           ;   in Loop: Header=BB227_1059 Depth=1
	s_or_b32 exec_lo, exec_lo, s12
.LBB227_1678:                           ;   in Loop: Header=BB227_1059 Depth=1
	s_or_b32 exec_lo, exec_lo, s11
.LBB227_1679:                           ;   in Loop: Header=BB227_1059 Depth=1
	s_or_b32 exec_lo, exec_lo, s9
	v_cmp_ne_u16_sdwa s4, v6, v9 src0_sel:BYTE_1 src1_sel:DWORD
	s_and_saveexec_b32 s9, s4
	s_cbranch_execz .LBB227_1687
; %bb.1680:                             ;   in Loop: Header=BB227_1059 Depth=1
	v_mov_b32_e32 v10, v9
	v_mov_b32_e32 v21, v11
	v_cmp_ne_u16_sdwa s4, v6, v99 src0_sel:BYTE_1 src1_sel:DWORD
	v_mov_b32_e32 v20, v10
	s_and_saveexec_b32 s11, s4
	s_cbranch_execz .LBB227_1686
; %bb.1681:                             ;   in Loop: Header=BB227_1059 Depth=1
	v_mov_b32_e32 v7, 0xffff
	v_mov_b32_e32 v12, v9
	;; [unrolled: 1-line block ×3, first 2 shown]
	s_mov_b32 s12, exec_lo
	v_and_b32_sdwa v7, v7, v6 dst_sel:DWORD dst_unused:UNUSED_PAD src0_sel:DWORD src1_sel:BYTE_1
	v_mov_b32_e32 v20, v12
	v_and_b32_e32 v10, 0x7f, v7
	v_cmpx_ne_u32_e32 0x7f, v10
	s_cbranch_execz .LBB227_1685
; %bb.1682:                             ;   in Loop: Header=BB227_1059 Depth=1
	v_and_b32_e32 v8, 7, v7
	v_lshrrev_b32_e32 v7, 3, v10
	s_mov_b32 s13, exec_lo
	v_cmpx_gt_u32_e32 8, v10
; %bb.1683:                             ;   in Loop: Header=BB227_1059 Depth=1
	v_ffbh_u32_e32 v7, v8
	v_min_u32_e32 v7, 32, v7
	v_subrev_nc_u32_e32 v10, 28, v7
	v_sub_nc_u32_e32 v7, 29, v7
	v_lshlrev_b64 v[20:21], v10, v[8:9]
	v_and_b32_e32 v8, 7, v20
; %bb.1684:                             ;   in Loop: Header=BB227_1059 Depth=1
	s_or_b32 exec_lo, exec_lo, s13
	v_lshlrev_b32_e32 v10, 16, v6
	v_lshlrev_b32_e32 v8, 20, v8
	v_lshl_add_u32 v7, v7, 23, 0x3c000000
	v_mov_b32_e32 v20, v9
	v_and_b32_e32 v10, 0x80000000, v10
	v_or3_b32 v21, v8, v10, v7
.LBB227_1685:                           ;   in Loop: Header=BB227_1059 Depth=1
	s_or_b32 exec_lo, exec_lo, s12
.LBB227_1686:                           ;   in Loop: Header=BB227_1059 Depth=1
	s_or_b32 exec_lo, exec_lo, s11
.LBB227_1687:                           ;   in Loop: Header=BB227_1059 Depth=1
	s_or_b32 exec_lo, exec_lo, s9
	v_mov_b32_e32 v22, 0
	v_mov_b32_e32 v24, 0
	v_and_b32_sdwa v7, v6, v101 dst_sel:DWORD dst_unused:UNUSED_PAD src0_sel:WORD_1 src1_sel:DWORD
	v_mov_b32_e32 v23, 0
	v_mov_b32_e32 v25, 0
	s_mov_b32 s9, exec_lo
	v_cmpx_ne_u16_e32 0, v7
	s_cbranch_execz .LBB227_1695
; %bb.1688:                             ;   in Loop: Header=BB227_1059 Depth=1
	v_bfrev_b32_e32 v24, 1
	v_mov_b32_e32 v25, 0
	s_mov_b32 s11, exec_lo
	v_cmpx_ne_u16_e32 0x80, v7
	s_cbranch_execz .LBB227_1694
; %bb.1689:                             ;   in Loop: Header=BB227_1059 Depth=1
	v_mov_b32_e32 v24, 0x7f800001
	v_bfe_u32 v10, v6, 16, 7
	v_mov_b32_e32 v25, 0
	s_mov_b32 s12, exec_lo
	v_cmpx_ne_u32_e32 0x7f, v10
	s_cbranch_execz .LBB227_1693
; %bb.1690:                             ;   in Loop: Header=BB227_1059 Depth=1
	v_mov_b32_e32 v7, 7
	s_mov_b32 s13, exec_lo
	v_and_b32_sdwa v8, v6, v7 dst_sel:DWORD dst_unused:UNUSED_PAD src0_sel:WORD_1 src1_sel:DWORD
	v_lshrrev_b32_e32 v7, 3, v10
	v_cmpx_gt_u32_e32 8, v10
; %bb.1691:                             ;   in Loop: Header=BB227_1059 Depth=1
	v_ffbh_u32_e32 v7, v8
	v_min_u32_e32 v7, 32, v7
	v_subrev_nc_u32_e32 v10, 28, v7
	v_sub_nc_u32_e32 v7, 29, v7
	v_lshlrev_b64 v[24:25], v10, v[8:9]
	v_and_b32_e32 v8, 7, v24
; %bb.1692:                             ;   in Loop: Header=BB227_1059 Depth=1
	s_or_b32 exec_lo, exec_lo, s13
	v_mov_b32_e32 v10, 24
	v_lshlrev_b32_e32 v8, 20, v8
	v_lshl_add_u32 v7, v7, 23, 0x3c000000
	v_lshlrev_b32_sdwa v10, v10, v6 dst_sel:DWORD dst_unused:UNUSED_PAD src0_sel:DWORD src1_sel:WORD_1
	v_and_b32_e32 v10, 0x80000000, v10
	v_or3_b32 v8, v8, v10, v7
	v_mov_b32_e32 v25, v9
	v_mov_b32_e32 v24, v8
.LBB227_1693:                           ;   in Loop: Header=BB227_1059 Depth=1
	s_or_b32 exec_lo, exec_lo, s12
.LBB227_1694:                           ;   in Loop: Header=BB227_1059 Depth=1
	s_or_b32 exec_lo, exec_lo, s11
.LBB227_1695:                           ;   in Loop: Header=BB227_1059 Depth=1
	s_or_b32 exec_lo, exec_lo, s9
	s_mov_b32 s9, exec_lo
	v_cmpx_lt_u32_e32 0xffffff, v6
	s_cbranch_execz .LBB227_1703
; %bb.1696:                             ;   in Loop: Header=BB227_1059 Depth=1
	v_mov_b32_e32 v10, v9
	v_mov_b32_e32 v23, v11
	v_cmp_ne_u32_sdwa s4, v6, v99 src0_sel:BYTE_3 src1_sel:DWORD
	v_mov_b32_e32 v22, v10
	s_and_saveexec_b32 s11, s4
	s_cbranch_execz .LBB227_1702
; %bb.1697:                             ;   in Loop: Header=BB227_1059 Depth=1
	v_mov_b32_e32 v12, v9
	v_mov_b32_e32 v23, v13
	v_bfe_u32 v10, v6, 24, 7
	s_mov_b32 s12, exec_lo
	v_mov_b32_e32 v22, v12
	v_cmpx_ne_u32_e32 0x7f, v10
	s_cbranch_execz .LBB227_1701
; %bb.1698:                             ;   in Loop: Header=BB227_1059 Depth=1
	v_mov_b32_e32 v7, 7
	s_mov_b32 s13, exec_lo
	v_and_b32_sdwa v8, v6, v7 dst_sel:DWORD dst_unused:UNUSED_PAD src0_sel:BYTE_3 src1_sel:DWORD
	v_lshrrev_b32_e32 v7, 3, v10
	v_cmpx_gt_u32_e32 8, v10
; %bb.1699:                             ;   in Loop: Header=BB227_1059 Depth=1
	v_ffbh_u32_e32 v7, v8
	v_min_u32_e32 v7, 32, v7
	v_subrev_nc_u32_e32 v10, 28, v7
	v_sub_nc_u32_e32 v7, 29, v7
	v_lshlrev_b64 v[22:23], v10, v[8:9]
	v_and_b32_e32 v8, 7, v22
; %bb.1700:                             ;   in Loop: Header=BB227_1059 Depth=1
	s_or_b32 exec_lo, exec_lo, s13
	v_mov_b32_e32 v10, 24
	v_lshlrev_b32_e32 v8, 20, v8
	v_lshl_add_u32 v7, v7, 23, 0x3c000000
	v_mov_b32_e32 v22, v9
	v_lshlrev_b32_sdwa v6, v10, v6 dst_sel:DWORD dst_unused:UNUSED_PAD src0_sel:DWORD src1_sel:BYTE_3
	v_and_b32_e32 v6, 0x80000000, v6
	v_or3_b32 v23, v8, v6, v7
.LBB227_1701:                           ;   in Loop: Header=BB227_1059 Depth=1
	s_or_b32 exec_lo, exec_lo, s12
.LBB227_1702:                           ;   in Loop: Header=BB227_1059 Depth=1
	s_or_b32 exec_lo, exec_lo, s11
.LBB227_1703:                           ;   in Loop: Header=BB227_1059 Depth=1
	s_or_b32 exec_lo, exec_lo, s9
	v_or_b32_e32 v6, v21, v19
	v_or_b32_e32 v7, v20, v18
	;; [unrolled: 1-line block ×4, first 2 shown]
	v_mul_f32_e32 v62, v114, v6
	v_mul_f32_e32 v61, v87, v7
	;; [unrolled: 1-line block ×4, first 2 shown]
	s_and_saveexec_b32 s9, vcc_lo
	s_cbranch_execz .LBB227_1705
; %bb.1704:                             ;   in Loop: Header=BB227_1059 Depth=1
	buffer_load_dword v6, off, s[0:3], s32 offset:200 ; 4-byte Folded Reload
	s_waitcnt vmcnt(0)
	v_cmp_lt_i32_e64 s4, v43, v6
	v_cndmask_b32_e64 v61, 0, v61, s4
	v_cmp_lt_i32_e64 s4, v45, v6
	v_cndmask_b32_e64 v62, 0, v62, s4
	;; [unrolled: 2-line block ×4, first 2 shown]
.LBB227_1705:                           ;   in Loop: Header=BB227_1059 Depth=1
	s_or_b32 exec_lo, exec_lo, s9
	flat_load_dword v6, v[4:5] offset:384
	v_mov_b32_e32 v20, 0
	v_mov_b32_e32 v18, 0
	v_mov_b32_e32 v21, 0
	v_mov_b32_e32 v19, 0
	s_waitcnt vmcnt(0) lgkmcnt(0)
	v_cmp_ne_u16_sdwa s4, v6, v9 src0_sel:BYTE_0 src1_sel:DWORD
	s_and_saveexec_b32 s9, s4
	s_cbranch_execz .LBB227_1713
; %bb.1706:                             ;   in Loop: Header=BB227_1059 Depth=1
	v_bfrev_b32_e32 v18, 1
	v_mov_b32_e32 v19, 0
	v_cmp_ne_u16_sdwa s4, v6, v99 src0_sel:BYTE_0 src1_sel:DWORD
	s_and_saveexec_b32 s11, s4
	s_cbranch_execz .LBB227_1712
; %bb.1707:                             ;   in Loop: Header=BB227_1059 Depth=1
	v_mov_b32_e32 v18, 0x7f800001
	v_and_b32_e32 v10, 0x7f, v6
	v_mov_b32_e32 v19, 0
	s_mov_b32 s12, exec_lo
	v_cmpx_ne_u32_e32 0x7f, v10
	s_cbranch_execz .LBB227_1711
; %bb.1708:                             ;   in Loop: Header=BB227_1059 Depth=1
	v_and_b32_e32 v8, 7, v6
	v_lshrrev_b32_e32 v7, 3, v10
	s_mov_b32 s13, exec_lo
	v_cmpx_gt_u32_e32 8, v10
; %bb.1709:                             ;   in Loop: Header=BB227_1059 Depth=1
	v_ffbh_u32_e32 v7, v8
	v_min_u32_e32 v7, 32, v7
	v_subrev_nc_u32_e32 v10, 28, v7
	v_sub_nc_u32_e32 v7, 29, v7
	v_lshlrev_b64 v[18:19], v10, v[8:9]
	v_and_b32_e32 v8, 7, v18
; %bb.1710:                             ;   in Loop: Header=BB227_1059 Depth=1
	s_or_b32 exec_lo, exec_lo, s13
	v_lshlrev_b32_e32 v10, 24, v6
	v_lshlrev_b32_e32 v8, 20, v8
	v_lshl_add_u32 v7, v7, 23, 0x3c000000
	v_and_b32_e32 v10, 0x80000000, v10
	v_or3_b32 v8, v8, v10, v7
	v_mov_b32_e32 v19, v9
	v_mov_b32_e32 v18, v8
.LBB227_1711:                           ;   in Loop: Header=BB227_1059 Depth=1
	s_or_b32 exec_lo, exec_lo, s12
.LBB227_1712:                           ;   in Loop: Header=BB227_1059 Depth=1
	s_or_b32 exec_lo, exec_lo, s11
.LBB227_1713:                           ;   in Loop: Header=BB227_1059 Depth=1
	s_or_b32 exec_lo, exec_lo, s9
	v_cmp_ne_u16_sdwa s4, v6, v9 src0_sel:BYTE_1 src1_sel:DWORD
	s_and_saveexec_b32 s9, s4
	s_cbranch_execz .LBB227_1721
; %bb.1714:                             ;   in Loop: Header=BB227_1059 Depth=1
	v_mov_b32_e32 v10, v9
	v_mov_b32_e32 v21, v11
	v_cmp_ne_u16_sdwa s4, v6, v99 src0_sel:BYTE_1 src1_sel:DWORD
	v_mov_b32_e32 v20, v10
	s_and_saveexec_b32 s11, s4
	s_cbranch_execz .LBB227_1720
; %bb.1715:                             ;   in Loop: Header=BB227_1059 Depth=1
	v_mov_b32_e32 v7, 0xffff
	v_mov_b32_e32 v12, v9
	;; [unrolled: 1-line block ×3, first 2 shown]
	s_mov_b32 s12, exec_lo
	v_and_b32_sdwa v7, v7, v6 dst_sel:DWORD dst_unused:UNUSED_PAD src0_sel:DWORD src1_sel:BYTE_1
	v_mov_b32_e32 v20, v12
	v_and_b32_e32 v10, 0x7f, v7
	v_cmpx_ne_u32_e32 0x7f, v10
	s_cbranch_execz .LBB227_1719
; %bb.1716:                             ;   in Loop: Header=BB227_1059 Depth=1
	v_and_b32_e32 v8, 7, v7
	v_lshrrev_b32_e32 v7, 3, v10
	s_mov_b32 s13, exec_lo
	v_cmpx_gt_u32_e32 8, v10
; %bb.1717:                             ;   in Loop: Header=BB227_1059 Depth=1
	v_ffbh_u32_e32 v7, v8
	v_min_u32_e32 v7, 32, v7
	v_subrev_nc_u32_e32 v10, 28, v7
	v_sub_nc_u32_e32 v7, 29, v7
	v_lshlrev_b64 v[20:21], v10, v[8:9]
	v_and_b32_e32 v8, 7, v20
; %bb.1718:                             ;   in Loop: Header=BB227_1059 Depth=1
	s_or_b32 exec_lo, exec_lo, s13
	v_lshlrev_b32_e32 v10, 16, v6
	v_lshlrev_b32_e32 v8, 20, v8
	v_lshl_add_u32 v7, v7, 23, 0x3c000000
	v_mov_b32_e32 v20, v9
	v_and_b32_e32 v10, 0x80000000, v10
	v_or3_b32 v21, v8, v10, v7
.LBB227_1719:                           ;   in Loop: Header=BB227_1059 Depth=1
	s_or_b32 exec_lo, exec_lo, s12
.LBB227_1720:                           ;   in Loop: Header=BB227_1059 Depth=1
	s_or_b32 exec_lo, exec_lo, s11
.LBB227_1721:                           ;   in Loop: Header=BB227_1059 Depth=1
	s_or_b32 exec_lo, exec_lo, s9
	v_mov_b32_e32 v22, 0
	v_mov_b32_e32 v24, 0
	v_and_b32_sdwa v7, v6, v101 dst_sel:DWORD dst_unused:UNUSED_PAD src0_sel:WORD_1 src1_sel:DWORD
	v_mov_b32_e32 v23, 0
	v_mov_b32_e32 v25, 0
	s_mov_b32 s9, exec_lo
	v_cmpx_ne_u16_e32 0, v7
	s_cbranch_execz .LBB227_1729
; %bb.1722:                             ;   in Loop: Header=BB227_1059 Depth=1
	v_bfrev_b32_e32 v24, 1
	v_mov_b32_e32 v25, 0
	s_mov_b32 s11, exec_lo
	v_cmpx_ne_u16_e32 0x80, v7
	s_cbranch_execz .LBB227_1728
; %bb.1723:                             ;   in Loop: Header=BB227_1059 Depth=1
	v_mov_b32_e32 v24, 0x7f800001
	v_bfe_u32 v10, v6, 16, 7
	v_mov_b32_e32 v25, 0
	s_mov_b32 s12, exec_lo
	v_cmpx_ne_u32_e32 0x7f, v10
	s_cbranch_execz .LBB227_1727
; %bb.1724:                             ;   in Loop: Header=BB227_1059 Depth=1
	v_mov_b32_e32 v7, 7
	s_mov_b32 s13, exec_lo
	v_and_b32_sdwa v8, v6, v7 dst_sel:DWORD dst_unused:UNUSED_PAD src0_sel:WORD_1 src1_sel:DWORD
	v_lshrrev_b32_e32 v7, 3, v10
	v_cmpx_gt_u32_e32 8, v10
; %bb.1725:                             ;   in Loop: Header=BB227_1059 Depth=1
	v_ffbh_u32_e32 v7, v8
	v_min_u32_e32 v7, 32, v7
	v_subrev_nc_u32_e32 v10, 28, v7
	v_sub_nc_u32_e32 v7, 29, v7
	v_lshlrev_b64 v[24:25], v10, v[8:9]
	v_and_b32_e32 v8, 7, v24
; %bb.1726:                             ;   in Loop: Header=BB227_1059 Depth=1
	s_or_b32 exec_lo, exec_lo, s13
	v_mov_b32_e32 v10, 24
	v_lshlrev_b32_e32 v8, 20, v8
	v_lshl_add_u32 v7, v7, 23, 0x3c000000
	v_lshlrev_b32_sdwa v10, v10, v6 dst_sel:DWORD dst_unused:UNUSED_PAD src0_sel:DWORD src1_sel:WORD_1
	v_and_b32_e32 v10, 0x80000000, v10
	v_or3_b32 v8, v8, v10, v7
	v_mov_b32_e32 v25, v9
	v_mov_b32_e32 v24, v8
.LBB227_1727:                           ;   in Loop: Header=BB227_1059 Depth=1
	s_or_b32 exec_lo, exec_lo, s12
.LBB227_1728:                           ;   in Loop: Header=BB227_1059 Depth=1
	s_or_b32 exec_lo, exec_lo, s11
.LBB227_1729:                           ;   in Loop: Header=BB227_1059 Depth=1
	s_or_b32 exec_lo, exec_lo, s9
	s_mov_b32 s9, exec_lo
	v_cmpx_lt_u32_e32 0xffffff, v6
	s_cbranch_execz .LBB227_1737
; %bb.1730:                             ;   in Loop: Header=BB227_1059 Depth=1
	v_mov_b32_e32 v10, v9
	v_mov_b32_e32 v23, v11
	v_cmp_ne_u32_sdwa s4, v6, v99 src0_sel:BYTE_3 src1_sel:DWORD
	v_mov_b32_e32 v22, v10
	s_and_saveexec_b32 s11, s4
	s_cbranch_execz .LBB227_1736
; %bb.1731:                             ;   in Loop: Header=BB227_1059 Depth=1
	v_mov_b32_e32 v12, v9
	v_mov_b32_e32 v23, v13
	v_bfe_u32 v10, v6, 24, 7
	s_mov_b32 s12, exec_lo
	v_mov_b32_e32 v22, v12
	v_cmpx_ne_u32_e32 0x7f, v10
	s_cbranch_execz .LBB227_1735
; %bb.1732:                             ;   in Loop: Header=BB227_1059 Depth=1
	v_mov_b32_e32 v7, 7
	s_mov_b32 s13, exec_lo
	v_and_b32_sdwa v8, v6, v7 dst_sel:DWORD dst_unused:UNUSED_PAD src0_sel:BYTE_3 src1_sel:DWORD
	v_lshrrev_b32_e32 v7, 3, v10
	v_cmpx_gt_u32_e32 8, v10
; %bb.1733:                             ;   in Loop: Header=BB227_1059 Depth=1
	v_ffbh_u32_e32 v7, v8
	v_min_u32_e32 v7, 32, v7
	v_subrev_nc_u32_e32 v10, 28, v7
	v_sub_nc_u32_e32 v7, 29, v7
	v_lshlrev_b64 v[22:23], v10, v[8:9]
	v_and_b32_e32 v8, 7, v22
; %bb.1734:                             ;   in Loop: Header=BB227_1059 Depth=1
	s_or_b32 exec_lo, exec_lo, s13
	v_mov_b32_e32 v10, 24
	v_lshlrev_b32_e32 v8, 20, v8
	v_lshl_add_u32 v7, v7, 23, 0x3c000000
	v_mov_b32_e32 v22, v9
	v_lshlrev_b32_sdwa v6, v10, v6 dst_sel:DWORD dst_unused:UNUSED_PAD src0_sel:DWORD src1_sel:BYTE_3
	v_and_b32_e32 v6, 0x80000000, v6
	v_or3_b32 v23, v8, v6, v7
.LBB227_1735:                           ;   in Loop: Header=BB227_1059 Depth=1
	s_or_b32 exec_lo, exec_lo, s12
.LBB227_1736:                           ;   in Loop: Header=BB227_1059 Depth=1
	s_or_b32 exec_lo, exec_lo, s11
.LBB227_1737:                           ;   in Loop: Header=BB227_1059 Depth=1
	s_or_b32 exec_lo, exec_lo, s9
	v_or_b32_e32 v6, v21, v19
	v_or_b32_e32 v7, v20, v18
	;; [unrolled: 1-line block ×4, first 2 shown]
	v_mul_f32_e32 v74, v114, v6
	v_mul_f32_e32 v73, v87, v7
	;; [unrolled: 1-line block ×4, first 2 shown]
	s_and_saveexec_b32 s9, vcc_lo
	s_cbranch_execz .LBB227_1739
; %bb.1738:                             ;   in Loop: Header=BB227_1059 Depth=1
	buffer_load_dword v6, off, s[0:3], s32 offset:200 ; 4-byte Folded Reload
	s_waitcnt vmcnt(0)
	v_cmp_lt_i32_e64 s4, v43, v6
	v_cndmask_b32_e64 v73, 0, v73, s4
	v_cmp_lt_i32_e64 s4, v45, v6
	v_cndmask_b32_e64 v74, 0, v74, s4
	;; [unrolled: 2-line block ×4, first 2 shown]
.LBB227_1739:                           ;   in Loop: Header=BB227_1059 Depth=1
	s_or_b32 exec_lo, exec_lo, s9
	flat_load_dword v6, v[4:5] offset:512
	v_mov_b32_e32 v20, 0
	v_mov_b32_e32 v18, 0
	;; [unrolled: 1-line block ×4, first 2 shown]
	s_waitcnt vmcnt(0) lgkmcnt(0)
	v_cmp_ne_u16_sdwa s4, v6, v9 src0_sel:BYTE_0 src1_sel:DWORD
	s_and_saveexec_b32 s9, s4
	s_cbranch_execz .LBB227_1747
; %bb.1740:                             ;   in Loop: Header=BB227_1059 Depth=1
	v_bfrev_b32_e32 v18, 1
	v_mov_b32_e32 v19, 0
	v_cmp_ne_u16_sdwa s4, v6, v99 src0_sel:BYTE_0 src1_sel:DWORD
	s_and_saveexec_b32 s11, s4
	s_cbranch_execz .LBB227_1746
; %bb.1741:                             ;   in Loop: Header=BB227_1059 Depth=1
	v_mov_b32_e32 v18, 0x7f800001
	v_and_b32_e32 v10, 0x7f, v6
	v_mov_b32_e32 v19, 0
	s_mov_b32 s12, exec_lo
	v_cmpx_ne_u32_e32 0x7f, v10
	s_cbranch_execz .LBB227_1745
; %bb.1742:                             ;   in Loop: Header=BB227_1059 Depth=1
	v_and_b32_e32 v8, 7, v6
	v_lshrrev_b32_e32 v7, 3, v10
	s_mov_b32 s13, exec_lo
	v_cmpx_gt_u32_e32 8, v10
; %bb.1743:                             ;   in Loop: Header=BB227_1059 Depth=1
	v_ffbh_u32_e32 v7, v8
	v_min_u32_e32 v7, 32, v7
	v_subrev_nc_u32_e32 v10, 28, v7
	v_sub_nc_u32_e32 v7, 29, v7
	v_lshlrev_b64 v[18:19], v10, v[8:9]
	v_and_b32_e32 v8, 7, v18
; %bb.1744:                             ;   in Loop: Header=BB227_1059 Depth=1
	s_or_b32 exec_lo, exec_lo, s13
	v_lshlrev_b32_e32 v10, 24, v6
	v_lshlrev_b32_e32 v8, 20, v8
	v_lshl_add_u32 v7, v7, 23, 0x3c000000
	v_and_b32_e32 v10, 0x80000000, v10
	v_or3_b32 v8, v8, v10, v7
	v_mov_b32_e32 v19, v9
	v_mov_b32_e32 v18, v8
.LBB227_1745:                           ;   in Loop: Header=BB227_1059 Depth=1
	s_or_b32 exec_lo, exec_lo, s12
.LBB227_1746:                           ;   in Loop: Header=BB227_1059 Depth=1
	s_or_b32 exec_lo, exec_lo, s11
.LBB227_1747:                           ;   in Loop: Header=BB227_1059 Depth=1
	s_or_b32 exec_lo, exec_lo, s9
	v_cmp_ne_u16_sdwa s4, v6, v9 src0_sel:BYTE_1 src1_sel:DWORD
	s_and_saveexec_b32 s9, s4
	s_cbranch_execz .LBB227_1755
; %bb.1748:                             ;   in Loop: Header=BB227_1059 Depth=1
	v_mov_b32_e32 v10, v9
	v_mov_b32_e32 v21, v11
	v_cmp_ne_u16_sdwa s4, v6, v99 src0_sel:BYTE_1 src1_sel:DWORD
	v_mov_b32_e32 v20, v10
	s_and_saveexec_b32 s11, s4
	s_cbranch_execz .LBB227_1754
; %bb.1749:                             ;   in Loop: Header=BB227_1059 Depth=1
	v_mov_b32_e32 v7, 0xffff
	v_mov_b32_e32 v12, v9
	;; [unrolled: 1-line block ×3, first 2 shown]
	s_mov_b32 s12, exec_lo
	v_and_b32_sdwa v7, v7, v6 dst_sel:DWORD dst_unused:UNUSED_PAD src0_sel:DWORD src1_sel:BYTE_1
	v_mov_b32_e32 v20, v12
	v_and_b32_e32 v10, 0x7f, v7
	v_cmpx_ne_u32_e32 0x7f, v10
	s_cbranch_execz .LBB227_1753
; %bb.1750:                             ;   in Loop: Header=BB227_1059 Depth=1
	v_and_b32_e32 v8, 7, v7
	v_lshrrev_b32_e32 v7, 3, v10
	s_mov_b32 s13, exec_lo
	v_cmpx_gt_u32_e32 8, v10
; %bb.1751:                             ;   in Loop: Header=BB227_1059 Depth=1
	v_ffbh_u32_e32 v7, v8
	v_min_u32_e32 v7, 32, v7
	v_subrev_nc_u32_e32 v10, 28, v7
	v_sub_nc_u32_e32 v7, 29, v7
	v_lshlrev_b64 v[20:21], v10, v[8:9]
	v_and_b32_e32 v8, 7, v20
; %bb.1752:                             ;   in Loop: Header=BB227_1059 Depth=1
	s_or_b32 exec_lo, exec_lo, s13
	v_lshlrev_b32_e32 v10, 16, v6
	v_lshlrev_b32_e32 v8, 20, v8
	v_lshl_add_u32 v7, v7, 23, 0x3c000000
	v_mov_b32_e32 v20, v9
	v_and_b32_e32 v10, 0x80000000, v10
	v_or3_b32 v21, v8, v10, v7
.LBB227_1753:                           ;   in Loop: Header=BB227_1059 Depth=1
	s_or_b32 exec_lo, exec_lo, s12
.LBB227_1754:                           ;   in Loop: Header=BB227_1059 Depth=1
	s_or_b32 exec_lo, exec_lo, s11
.LBB227_1755:                           ;   in Loop: Header=BB227_1059 Depth=1
	s_or_b32 exec_lo, exec_lo, s9
	v_mov_b32_e32 v22, 0
	v_mov_b32_e32 v24, 0
	v_and_b32_sdwa v7, v6, v101 dst_sel:DWORD dst_unused:UNUSED_PAD src0_sel:WORD_1 src1_sel:DWORD
	v_mov_b32_e32 v23, 0
	v_mov_b32_e32 v25, 0
	s_mov_b32 s9, exec_lo
	v_cmpx_ne_u16_e32 0, v7
	s_cbranch_execz .LBB227_1763
; %bb.1756:                             ;   in Loop: Header=BB227_1059 Depth=1
	v_bfrev_b32_e32 v24, 1
	v_mov_b32_e32 v25, 0
	s_mov_b32 s11, exec_lo
	v_cmpx_ne_u16_e32 0x80, v7
	s_cbranch_execz .LBB227_1762
; %bb.1757:                             ;   in Loop: Header=BB227_1059 Depth=1
	v_mov_b32_e32 v24, 0x7f800001
	v_bfe_u32 v10, v6, 16, 7
	v_mov_b32_e32 v25, 0
	s_mov_b32 s12, exec_lo
	v_cmpx_ne_u32_e32 0x7f, v10
	s_cbranch_execz .LBB227_1761
; %bb.1758:                             ;   in Loop: Header=BB227_1059 Depth=1
	v_mov_b32_e32 v7, 7
	s_mov_b32 s13, exec_lo
	v_and_b32_sdwa v8, v6, v7 dst_sel:DWORD dst_unused:UNUSED_PAD src0_sel:WORD_1 src1_sel:DWORD
	v_lshrrev_b32_e32 v7, 3, v10
	v_cmpx_gt_u32_e32 8, v10
; %bb.1759:                             ;   in Loop: Header=BB227_1059 Depth=1
	v_ffbh_u32_e32 v7, v8
	v_min_u32_e32 v7, 32, v7
	v_subrev_nc_u32_e32 v10, 28, v7
	v_sub_nc_u32_e32 v7, 29, v7
	v_lshlrev_b64 v[24:25], v10, v[8:9]
	v_and_b32_e32 v8, 7, v24
; %bb.1760:                             ;   in Loop: Header=BB227_1059 Depth=1
	s_or_b32 exec_lo, exec_lo, s13
	v_mov_b32_e32 v10, 24
	v_lshlrev_b32_e32 v8, 20, v8
	v_lshl_add_u32 v7, v7, 23, 0x3c000000
	v_lshlrev_b32_sdwa v10, v10, v6 dst_sel:DWORD dst_unused:UNUSED_PAD src0_sel:DWORD src1_sel:WORD_1
	v_and_b32_e32 v10, 0x80000000, v10
	v_or3_b32 v8, v8, v10, v7
	v_mov_b32_e32 v25, v9
	v_mov_b32_e32 v24, v8
.LBB227_1761:                           ;   in Loop: Header=BB227_1059 Depth=1
	s_or_b32 exec_lo, exec_lo, s12
.LBB227_1762:                           ;   in Loop: Header=BB227_1059 Depth=1
	s_or_b32 exec_lo, exec_lo, s11
.LBB227_1763:                           ;   in Loop: Header=BB227_1059 Depth=1
	s_or_b32 exec_lo, exec_lo, s9
	s_mov_b32 s9, exec_lo
	v_cmpx_lt_u32_e32 0xffffff, v6
	s_cbranch_execz .LBB227_1771
; %bb.1764:                             ;   in Loop: Header=BB227_1059 Depth=1
	v_mov_b32_e32 v10, v9
	v_mov_b32_e32 v23, v11
	v_cmp_ne_u32_sdwa s4, v6, v99 src0_sel:BYTE_3 src1_sel:DWORD
	v_mov_b32_e32 v22, v10
	s_and_saveexec_b32 s11, s4
	s_cbranch_execz .LBB227_1770
; %bb.1765:                             ;   in Loop: Header=BB227_1059 Depth=1
	v_mov_b32_e32 v12, v9
	v_mov_b32_e32 v23, v13
	v_bfe_u32 v10, v6, 24, 7
	s_mov_b32 s12, exec_lo
	v_mov_b32_e32 v22, v12
	v_cmpx_ne_u32_e32 0x7f, v10
	s_cbranch_execz .LBB227_1769
; %bb.1766:                             ;   in Loop: Header=BB227_1059 Depth=1
	v_mov_b32_e32 v7, 7
	s_mov_b32 s13, exec_lo
	v_and_b32_sdwa v8, v6, v7 dst_sel:DWORD dst_unused:UNUSED_PAD src0_sel:BYTE_3 src1_sel:DWORD
	v_lshrrev_b32_e32 v7, 3, v10
	v_cmpx_gt_u32_e32 8, v10
; %bb.1767:                             ;   in Loop: Header=BB227_1059 Depth=1
	v_ffbh_u32_e32 v7, v8
	v_min_u32_e32 v7, 32, v7
	v_subrev_nc_u32_e32 v10, 28, v7
	v_sub_nc_u32_e32 v7, 29, v7
	v_lshlrev_b64 v[22:23], v10, v[8:9]
	v_and_b32_e32 v8, 7, v22
; %bb.1768:                             ;   in Loop: Header=BB227_1059 Depth=1
	s_or_b32 exec_lo, exec_lo, s13
	v_mov_b32_e32 v10, 24
	v_lshlrev_b32_e32 v8, 20, v8
	v_lshl_add_u32 v7, v7, 23, 0x3c000000
	v_mov_b32_e32 v22, v9
	v_lshlrev_b32_sdwa v6, v10, v6 dst_sel:DWORD dst_unused:UNUSED_PAD src0_sel:DWORD src1_sel:BYTE_3
	v_and_b32_e32 v6, 0x80000000, v6
	v_or3_b32 v23, v8, v6, v7
.LBB227_1769:                           ;   in Loop: Header=BB227_1059 Depth=1
	s_or_b32 exec_lo, exec_lo, s12
.LBB227_1770:                           ;   in Loop: Header=BB227_1059 Depth=1
	s_or_b32 exec_lo, exec_lo, s11
.LBB227_1771:                           ;   in Loop: Header=BB227_1059 Depth=1
	s_or_b32 exec_lo, exec_lo, s9
	v_or_b32_e32 v6, v21, v19
	v_or_b32_e32 v7, v20, v18
	v_or_b32_e32 v8, v22, v24
	v_or_b32_e32 v10, v23, v25
	v_mul_f32_e32 v78, v114, v6
	v_mul_f32_e32 v77, v87, v7
	;; [unrolled: 1-line block ×4, first 2 shown]
	s_and_saveexec_b32 s9, vcc_lo
	s_cbranch_execz .LBB227_1773
; %bb.1772:                             ;   in Loop: Header=BB227_1059 Depth=1
	buffer_load_dword v6, off, s[0:3], s32 offset:200 ; 4-byte Folded Reload
	s_waitcnt vmcnt(0)
	v_cmp_lt_i32_e64 s4, v43, v6
	v_cndmask_b32_e64 v77, 0, v77, s4
	v_cmp_lt_i32_e64 s4, v45, v6
	v_cndmask_b32_e64 v78, 0, v78, s4
	;; [unrolled: 2-line block ×4, first 2 shown]
.LBB227_1773:                           ;   in Loop: Header=BB227_1059 Depth=1
	s_or_b32 exec_lo, exec_lo, s9
	flat_load_dword v6, v[4:5] offset:640
	v_mov_b32_e32 v20, 0
	v_mov_b32_e32 v18, 0
	;; [unrolled: 1-line block ×4, first 2 shown]
	s_waitcnt vmcnt(0) lgkmcnt(0)
	v_cmp_ne_u16_sdwa s4, v6, v9 src0_sel:BYTE_0 src1_sel:DWORD
	s_and_saveexec_b32 s9, s4
	s_cbranch_execz .LBB227_1781
; %bb.1774:                             ;   in Loop: Header=BB227_1059 Depth=1
	v_bfrev_b32_e32 v18, 1
	v_mov_b32_e32 v19, 0
	v_cmp_ne_u16_sdwa s4, v6, v99 src0_sel:BYTE_0 src1_sel:DWORD
	s_and_saveexec_b32 s11, s4
	s_cbranch_execz .LBB227_1780
; %bb.1775:                             ;   in Loop: Header=BB227_1059 Depth=1
	v_mov_b32_e32 v18, 0x7f800001
	v_and_b32_e32 v10, 0x7f, v6
	v_mov_b32_e32 v19, 0
	s_mov_b32 s12, exec_lo
	v_cmpx_ne_u32_e32 0x7f, v10
	s_cbranch_execz .LBB227_1779
; %bb.1776:                             ;   in Loop: Header=BB227_1059 Depth=1
	v_and_b32_e32 v8, 7, v6
	v_lshrrev_b32_e32 v7, 3, v10
	s_mov_b32 s13, exec_lo
	v_cmpx_gt_u32_e32 8, v10
; %bb.1777:                             ;   in Loop: Header=BB227_1059 Depth=1
	v_ffbh_u32_e32 v7, v8
	v_min_u32_e32 v7, 32, v7
	v_subrev_nc_u32_e32 v10, 28, v7
	v_sub_nc_u32_e32 v7, 29, v7
	v_lshlrev_b64 v[18:19], v10, v[8:9]
	v_and_b32_e32 v8, 7, v18
; %bb.1778:                             ;   in Loop: Header=BB227_1059 Depth=1
	s_or_b32 exec_lo, exec_lo, s13
	v_lshlrev_b32_e32 v10, 24, v6
	v_lshlrev_b32_e32 v8, 20, v8
	v_lshl_add_u32 v7, v7, 23, 0x3c000000
	v_and_b32_e32 v10, 0x80000000, v10
	v_or3_b32 v8, v8, v10, v7
	v_mov_b32_e32 v19, v9
	v_mov_b32_e32 v18, v8
.LBB227_1779:                           ;   in Loop: Header=BB227_1059 Depth=1
	s_or_b32 exec_lo, exec_lo, s12
.LBB227_1780:                           ;   in Loop: Header=BB227_1059 Depth=1
	s_or_b32 exec_lo, exec_lo, s11
.LBB227_1781:                           ;   in Loop: Header=BB227_1059 Depth=1
	s_or_b32 exec_lo, exec_lo, s9
	v_cmp_ne_u16_sdwa s4, v6, v9 src0_sel:BYTE_1 src1_sel:DWORD
	s_and_saveexec_b32 s9, s4
	s_cbranch_execz .LBB227_1789
; %bb.1782:                             ;   in Loop: Header=BB227_1059 Depth=1
	v_mov_b32_e32 v10, v9
	v_mov_b32_e32 v21, v11
	v_cmp_ne_u16_sdwa s4, v6, v99 src0_sel:BYTE_1 src1_sel:DWORD
	v_mov_b32_e32 v20, v10
	s_and_saveexec_b32 s11, s4
	s_cbranch_execz .LBB227_1788
; %bb.1783:                             ;   in Loop: Header=BB227_1059 Depth=1
	v_mov_b32_e32 v7, 0xffff
	v_mov_b32_e32 v12, v9
	;; [unrolled: 1-line block ×3, first 2 shown]
	s_mov_b32 s12, exec_lo
	v_and_b32_sdwa v7, v7, v6 dst_sel:DWORD dst_unused:UNUSED_PAD src0_sel:DWORD src1_sel:BYTE_1
	v_mov_b32_e32 v20, v12
	v_and_b32_e32 v10, 0x7f, v7
	v_cmpx_ne_u32_e32 0x7f, v10
	s_cbranch_execz .LBB227_1787
; %bb.1784:                             ;   in Loop: Header=BB227_1059 Depth=1
	v_and_b32_e32 v8, 7, v7
	v_lshrrev_b32_e32 v7, 3, v10
	s_mov_b32 s13, exec_lo
	v_cmpx_gt_u32_e32 8, v10
; %bb.1785:                             ;   in Loop: Header=BB227_1059 Depth=1
	v_ffbh_u32_e32 v7, v8
	v_min_u32_e32 v7, 32, v7
	v_subrev_nc_u32_e32 v10, 28, v7
	v_sub_nc_u32_e32 v7, 29, v7
	v_lshlrev_b64 v[20:21], v10, v[8:9]
	v_and_b32_e32 v8, 7, v20
; %bb.1786:                             ;   in Loop: Header=BB227_1059 Depth=1
	s_or_b32 exec_lo, exec_lo, s13
	v_lshlrev_b32_e32 v10, 16, v6
	v_lshlrev_b32_e32 v8, 20, v8
	v_lshl_add_u32 v7, v7, 23, 0x3c000000
	v_mov_b32_e32 v20, v9
	v_and_b32_e32 v10, 0x80000000, v10
	v_or3_b32 v21, v8, v10, v7
.LBB227_1787:                           ;   in Loop: Header=BB227_1059 Depth=1
	s_or_b32 exec_lo, exec_lo, s12
.LBB227_1788:                           ;   in Loop: Header=BB227_1059 Depth=1
	s_or_b32 exec_lo, exec_lo, s11
.LBB227_1789:                           ;   in Loop: Header=BB227_1059 Depth=1
	s_or_b32 exec_lo, exec_lo, s9
	v_mov_b32_e32 v22, 0
	v_mov_b32_e32 v24, 0
	v_and_b32_sdwa v7, v6, v101 dst_sel:DWORD dst_unused:UNUSED_PAD src0_sel:WORD_1 src1_sel:DWORD
	v_mov_b32_e32 v23, 0
	v_mov_b32_e32 v25, 0
	s_mov_b32 s9, exec_lo
	v_cmpx_ne_u16_e32 0, v7
	s_cbranch_execz .LBB227_1797
; %bb.1790:                             ;   in Loop: Header=BB227_1059 Depth=1
	v_bfrev_b32_e32 v24, 1
	v_mov_b32_e32 v25, 0
	s_mov_b32 s11, exec_lo
	v_cmpx_ne_u16_e32 0x80, v7
	s_cbranch_execz .LBB227_1796
; %bb.1791:                             ;   in Loop: Header=BB227_1059 Depth=1
	v_mov_b32_e32 v24, 0x7f800001
	v_bfe_u32 v10, v6, 16, 7
	v_mov_b32_e32 v25, 0
	s_mov_b32 s12, exec_lo
	v_cmpx_ne_u32_e32 0x7f, v10
	s_cbranch_execz .LBB227_1795
; %bb.1792:                             ;   in Loop: Header=BB227_1059 Depth=1
	v_mov_b32_e32 v7, 7
	s_mov_b32 s13, exec_lo
	v_and_b32_sdwa v8, v6, v7 dst_sel:DWORD dst_unused:UNUSED_PAD src0_sel:WORD_1 src1_sel:DWORD
	v_lshrrev_b32_e32 v7, 3, v10
	v_cmpx_gt_u32_e32 8, v10
; %bb.1793:                             ;   in Loop: Header=BB227_1059 Depth=1
	v_ffbh_u32_e32 v7, v8
	v_min_u32_e32 v7, 32, v7
	v_subrev_nc_u32_e32 v10, 28, v7
	v_sub_nc_u32_e32 v7, 29, v7
	v_lshlrev_b64 v[24:25], v10, v[8:9]
	v_and_b32_e32 v8, 7, v24
; %bb.1794:                             ;   in Loop: Header=BB227_1059 Depth=1
	s_or_b32 exec_lo, exec_lo, s13
	v_mov_b32_e32 v10, 24
	v_lshlrev_b32_e32 v8, 20, v8
	v_lshl_add_u32 v7, v7, 23, 0x3c000000
	v_lshlrev_b32_sdwa v10, v10, v6 dst_sel:DWORD dst_unused:UNUSED_PAD src0_sel:DWORD src1_sel:WORD_1
	v_and_b32_e32 v10, 0x80000000, v10
	v_or3_b32 v8, v8, v10, v7
	v_mov_b32_e32 v25, v9
	v_mov_b32_e32 v24, v8
.LBB227_1795:                           ;   in Loop: Header=BB227_1059 Depth=1
	s_or_b32 exec_lo, exec_lo, s12
.LBB227_1796:                           ;   in Loop: Header=BB227_1059 Depth=1
	s_or_b32 exec_lo, exec_lo, s11
.LBB227_1797:                           ;   in Loop: Header=BB227_1059 Depth=1
	s_or_b32 exec_lo, exec_lo, s9
	s_mov_b32 s9, exec_lo
	v_cmpx_lt_u32_e32 0xffffff, v6
	s_cbranch_execz .LBB227_1805
; %bb.1798:                             ;   in Loop: Header=BB227_1059 Depth=1
	v_mov_b32_e32 v10, v9
	v_mov_b32_e32 v23, v11
	v_cmp_ne_u32_sdwa s4, v6, v99 src0_sel:BYTE_3 src1_sel:DWORD
	v_mov_b32_e32 v22, v10
	s_and_saveexec_b32 s11, s4
	s_cbranch_execz .LBB227_1804
; %bb.1799:                             ;   in Loop: Header=BB227_1059 Depth=1
	v_mov_b32_e32 v12, v9
	v_mov_b32_e32 v23, v13
	v_bfe_u32 v10, v6, 24, 7
	s_mov_b32 s12, exec_lo
	v_mov_b32_e32 v22, v12
	v_cmpx_ne_u32_e32 0x7f, v10
	s_cbranch_execz .LBB227_1803
; %bb.1800:                             ;   in Loop: Header=BB227_1059 Depth=1
	v_mov_b32_e32 v7, 7
	s_mov_b32 s13, exec_lo
	v_and_b32_sdwa v8, v6, v7 dst_sel:DWORD dst_unused:UNUSED_PAD src0_sel:BYTE_3 src1_sel:DWORD
	v_lshrrev_b32_e32 v7, 3, v10
	v_cmpx_gt_u32_e32 8, v10
; %bb.1801:                             ;   in Loop: Header=BB227_1059 Depth=1
	v_ffbh_u32_e32 v7, v8
	v_min_u32_e32 v7, 32, v7
	v_subrev_nc_u32_e32 v10, 28, v7
	v_sub_nc_u32_e32 v7, 29, v7
	v_lshlrev_b64 v[22:23], v10, v[8:9]
	v_and_b32_e32 v8, 7, v22
; %bb.1802:                             ;   in Loop: Header=BB227_1059 Depth=1
	s_or_b32 exec_lo, exec_lo, s13
	v_mov_b32_e32 v10, 24
	v_lshlrev_b32_e32 v8, 20, v8
	v_lshl_add_u32 v7, v7, 23, 0x3c000000
	v_mov_b32_e32 v22, v9
	v_lshlrev_b32_sdwa v6, v10, v6 dst_sel:DWORD dst_unused:UNUSED_PAD src0_sel:DWORD src1_sel:BYTE_3
	v_and_b32_e32 v6, 0x80000000, v6
	v_or3_b32 v23, v8, v6, v7
.LBB227_1803:                           ;   in Loop: Header=BB227_1059 Depth=1
	s_or_b32 exec_lo, exec_lo, s12
.LBB227_1804:                           ;   in Loop: Header=BB227_1059 Depth=1
	s_or_b32 exec_lo, exec_lo, s11
.LBB227_1805:                           ;   in Loop: Header=BB227_1059 Depth=1
	s_or_b32 exec_lo, exec_lo, s9
	v_or_b32_e32 v6, v21, v19
	v_or_b32_e32 v7, v20, v18
	;; [unrolled: 1-line block ×4, first 2 shown]
	v_mul_f32_e32 v100, v114, v6
	v_mul_f32_e32 v89, v87, v7
	;; [unrolled: 1-line block ×4, first 2 shown]
	s_and_saveexec_b32 s9, vcc_lo
	s_cbranch_execz .LBB227_1807
; %bb.1806:                             ;   in Loop: Header=BB227_1059 Depth=1
	buffer_load_dword v6, off, s[0:3], s32 offset:200 ; 4-byte Folded Reload
	s_waitcnt vmcnt(0)
	v_cmp_lt_i32_e64 s4, v43, v6
	v_cndmask_b32_e64 v89, 0, v89, s4
	v_cmp_lt_i32_e64 s4, v45, v6
	v_cndmask_b32_e64 v100, 0, v100, s4
	v_cmp_lt_i32_e64 s4, v44, v6
	v_cndmask_b32_e64 v88, 0, v88, s4
	v_cmp_lt_i32_e64 s4, v112, v6
	v_cndmask_b32_e64 v79, 0, v79, s4
.LBB227_1807:                           ;   in Loop: Header=BB227_1059 Depth=1
	s_or_b32 exec_lo, exec_lo, s9
	flat_load_dword v6, v[4:5] offset:768
	v_mov_b32_e32 v20, 0
	v_mov_b32_e32 v18, 0
	v_mov_b32_e32 v21, 0
	v_mov_b32_e32 v19, 0
	s_waitcnt vmcnt(0) lgkmcnt(0)
	v_cmp_ne_u16_sdwa s4, v6, v9 src0_sel:BYTE_0 src1_sel:DWORD
	s_and_saveexec_b32 s9, s4
	s_cbranch_execz .LBB227_1815
; %bb.1808:                             ;   in Loop: Header=BB227_1059 Depth=1
	v_bfrev_b32_e32 v18, 1
	v_mov_b32_e32 v19, 0
	v_cmp_ne_u16_sdwa s4, v6, v99 src0_sel:BYTE_0 src1_sel:DWORD
	s_and_saveexec_b32 s11, s4
	s_cbranch_execz .LBB227_1814
; %bb.1809:                             ;   in Loop: Header=BB227_1059 Depth=1
	v_mov_b32_e32 v18, 0x7f800001
	v_and_b32_e32 v10, 0x7f, v6
	v_mov_b32_e32 v19, 0
	s_mov_b32 s12, exec_lo
	v_cmpx_ne_u32_e32 0x7f, v10
	s_cbranch_execz .LBB227_1813
; %bb.1810:                             ;   in Loop: Header=BB227_1059 Depth=1
	v_and_b32_e32 v8, 7, v6
	v_lshrrev_b32_e32 v7, 3, v10
	s_mov_b32 s13, exec_lo
	v_cmpx_gt_u32_e32 8, v10
; %bb.1811:                             ;   in Loop: Header=BB227_1059 Depth=1
	v_ffbh_u32_e32 v7, v8
	v_min_u32_e32 v7, 32, v7
	v_subrev_nc_u32_e32 v10, 28, v7
	v_sub_nc_u32_e32 v7, 29, v7
	v_lshlrev_b64 v[18:19], v10, v[8:9]
	v_and_b32_e32 v8, 7, v18
; %bb.1812:                             ;   in Loop: Header=BB227_1059 Depth=1
	s_or_b32 exec_lo, exec_lo, s13
	v_lshlrev_b32_e32 v10, 24, v6
	v_lshlrev_b32_e32 v8, 20, v8
	v_lshl_add_u32 v7, v7, 23, 0x3c000000
	v_and_b32_e32 v10, 0x80000000, v10
	v_or3_b32 v8, v8, v10, v7
	v_mov_b32_e32 v19, v9
	v_mov_b32_e32 v18, v8
.LBB227_1813:                           ;   in Loop: Header=BB227_1059 Depth=1
	s_or_b32 exec_lo, exec_lo, s12
.LBB227_1814:                           ;   in Loop: Header=BB227_1059 Depth=1
	s_or_b32 exec_lo, exec_lo, s11
.LBB227_1815:                           ;   in Loop: Header=BB227_1059 Depth=1
	s_or_b32 exec_lo, exec_lo, s9
	v_cmp_ne_u16_sdwa s4, v6, v9 src0_sel:BYTE_1 src1_sel:DWORD
	s_and_saveexec_b32 s9, s4
	s_cbranch_execz .LBB227_1823
; %bb.1816:                             ;   in Loop: Header=BB227_1059 Depth=1
	v_mov_b32_e32 v10, v9
	v_mov_b32_e32 v21, v11
	v_cmp_ne_u16_sdwa s4, v6, v99 src0_sel:BYTE_1 src1_sel:DWORD
	v_mov_b32_e32 v20, v10
	s_and_saveexec_b32 s11, s4
	s_cbranch_execz .LBB227_1822
; %bb.1817:                             ;   in Loop: Header=BB227_1059 Depth=1
	v_mov_b32_e32 v7, 0xffff
	v_mov_b32_e32 v12, v9
	;; [unrolled: 1-line block ×3, first 2 shown]
	s_mov_b32 s12, exec_lo
	v_and_b32_sdwa v7, v7, v6 dst_sel:DWORD dst_unused:UNUSED_PAD src0_sel:DWORD src1_sel:BYTE_1
	v_mov_b32_e32 v20, v12
	v_and_b32_e32 v10, 0x7f, v7
	v_cmpx_ne_u32_e32 0x7f, v10
	s_cbranch_execz .LBB227_1821
; %bb.1818:                             ;   in Loop: Header=BB227_1059 Depth=1
	v_and_b32_e32 v8, 7, v7
	v_lshrrev_b32_e32 v7, 3, v10
	s_mov_b32 s13, exec_lo
	v_cmpx_gt_u32_e32 8, v10
; %bb.1819:                             ;   in Loop: Header=BB227_1059 Depth=1
	v_ffbh_u32_e32 v7, v8
	v_min_u32_e32 v7, 32, v7
	v_subrev_nc_u32_e32 v10, 28, v7
	v_sub_nc_u32_e32 v7, 29, v7
	v_lshlrev_b64 v[20:21], v10, v[8:9]
	v_and_b32_e32 v8, 7, v20
; %bb.1820:                             ;   in Loop: Header=BB227_1059 Depth=1
	s_or_b32 exec_lo, exec_lo, s13
	v_lshlrev_b32_e32 v10, 16, v6
	v_lshlrev_b32_e32 v8, 20, v8
	v_lshl_add_u32 v7, v7, 23, 0x3c000000
	v_mov_b32_e32 v20, v9
	v_and_b32_e32 v10, 0x80000000, v10
	v_or3_b32 v21, v8, v10, v7
.LBB227_1821:                           ;   in Loop: Header=BB227_1059 Depth=1
	s_or_b32 exec_lo, exec_lo, s12
.LBB227_1822:                           ;   in Loop: Header=BB227_1059 Depth=1
	s_or_b32 exec_lo, exec_lo, s11
.LBB227_1823:                           ;   in Loop: Header=BB227_1059 Depth=1
	s_or_b32 exec_lo, exec_lo, s9
	v_mov_b32_e32 v22, 0
	v_mov_b32_e32 v24, 0
	v_and_b32_sdwa v7, v6, v101 dst_sel:DWORD dst_unused:UNUSED_PAD src0_sel:WORD_1 src1_sel:DWORD
	v_mov_b32_e32 v23, 0
	v_mov_b32_e32 v25, 0
	s_mov_b32 s9, exec_lo
	v_cmpx_ne_u16_e32 0, v7
	s_cbranch_execz .LBB227_1831
; %bb.1824:                             ;   in Loop: Header=BB227_1059 Depth=1
	v_bfrev_b32_e32 v24, 1
	v_mov_b32_e32 v25, 0
	s_mov_b32 s11, exec_lo
	v_cmpx_ne_u16_e32 0x80, v7
	s_cbranch_execz .LBB227_1830
; %bb.1825:                             ;   in Loop: Header=BB227_1059 Depth=1
	v_mov_b32_e32 v24, 0x7f800001
	v_bfe_u32 v10, v6, 16, 7
	v_mov_b32_e32 v25, 0
	s_mov_b32 s12, exec_lo
	v_cmpx_ne_u32_e32 0x7f, v10
	s_cbranch_execz .LBB227_1829
; %bb.1826:                             ;   in Loop: Header=BB227_1059 Depth=1
	v_mov_b32_e32 v7, 7
	s_mov_b32 s13, exec_lo
	v_and_b32_sdwa v8, v6, v7 dst_sel:DWORD dst_unused:UNUSED_PAD src0_sel:WORD_1 src1_sel:DWORD
	v_lshrrev_b32_e32 v7, 3, v10
	v_cmpx_gt_u32_e32 8, v10
; %bb.1827:                             ;   in Loop: Header=BB227_1059 Depth=1
	v_ffbh_u32_e32 v7, v8
	v_min_u32_e32 v7, 32, v7
	v_subrev_nc_u32_e32 v10, 28, v7
	v_sub_nc_u32_e32 v7, 29, v7
	v_lshlrev_b64 v[24:25], v10, v[8:9]
	v_and_b32_e32 v8, 7, v24
; %bb.1828:                             ;   in Loop: Header=BB227_1059 Depth=1
	s_or_b32 exec_lo, exec_lo, s13
	v_mov_b32_e32 v10, 24
	v_lshlrev_b32_e32 v8, 20, v8
	v_lshl_add_u32 v7, v7, 23, 0x3c000000
	v_lshlrev_b32_sdwa v10, v10, v6 dst_sel:DWORD dst_unused:UNUSED_PAD src0_sel:DWORD src1_sel:WORD_1
	v_and_b32_e32 v10, 0x80000000, v10
	v_or3_b32 v8, v8, v10, v7
	v_mov_b32_e32 v25, v9
	v_mov_b32_e32 v24, v8
.LBB227_1829:                           ;   in Loop: Header=BB227_1059 Depth=1
	s_or_b32 exec_lo, exec_lo, s12
.LBB227_1830:                           ;   in Loop: Header=BB227_1059 Depth=1
	s_or_b32 exec_lo, exec_lo, s11
.LBB227_1831:                           ;   in Loop: Header=BB227_1059 Depth=1
	s_or_b32 exec_lo, exec_lo, s9
	s_mov_b32 s9, exec_lo
	v_cmpx_lt_u32_e32 0xffffff, v6
	s_cbranch_execz .LBB227_1839
; %bb.1832:                             ;   in Loop: Header=BB227_1059 Depth=1
	v_mov_b32_e32 v10, v9
	v_mov_b32_e32 v23, v11
	v_cmp_ne_u32_sdwa s4, v6, v99 src0_sel:BYTE_3 src1_sel:DWORD
	v_mov_b32_e32 v22, v10
	s_and_saveexec_b32 s11, s4
	s_cbranch_execz .LBB227_1838
; %bb.1833:                             ;   in Loop: Header=BB227_1059 Depth=1
	v_mov_b32_e32 v12, v9
	v_mov_b32_e32 v23, v13
	v_bfe_u32 v10, v6, 24, 7
	s_mov_b32 s12, exec_lo
	v_mov_b32_e32 v22, v12
	v_cmpx_ne_u32_e32 0x7f, v10
	s_cbranch_execz .LBB227_1837
; %bb.1834:                             ;   in Loop: Header=BB227_1059 Depth=1
	v_mov_b32_e32 v7, 7
	s_mov_b32 s13, exec_lo
	v_and_b32_sdwa v8, v6, v7 dst_sel:DWORD dst_unused:UNUSED_PAD src0_sel:BYTE_3 src1_sel:DWORD
	v_lshrrev_b32_e32 v7, 3, v10
	v_cmpx_gt_u32_e32 8, v10
; %bb.1835:                             ;   in Loop: Header=BB227_1059 Depth=1
	v_ffbh_u32_e32 v7, v8
	v_min_u32_e32 v7, 32, v7
	v_subrev_nc_u32_e32 v10, 28, v7
	v_sub_nc_u32_e32 v7, 29, v7
	v_lshlrev_b64 v[22:23], v10, v[8:9]
	v_and_b32_e32 v8, 7, v22
; %bb.1836:                             ;   in Loop: Header=BB227_1059 Depth=1
	s_or_b32 exec_lo, exec_lo, s13
	v_mov_b32_e32 v10, 24
	v_lshlrev_b32_e32 v8, 20, v8
	v_lshl_add_u32 v7, v7, 23, 0x3c000000
	v_mov_b32_e32 v22, v9
	v_lshlrev_b32_sdwa v6, v10, v6 dst_sel:DWORD dst_unused:UNUSED_PAD src0_sel:DWORD src1_sel:BYTE_3
	v_and_b32_e32 v6, 0x80000000, v6
	v_or3_b32 v23, v8, v6, v7
.LBB227_1837:                           ;   in Loop: Header=BB227_1059 Depth=1
	s_or_b32 exec_lo, exec_lo, s12
.LBB227_1838:                           ;   in Loop: Header=BB227_1059 Depth=1
	s_or_b32 exec_lo, exec_lo, s11
.LBB227_1839:                           ;   in Loop: Header=BB227_1059 Depth=1
	s_or_b32 exec_lo, exec_lo, s9
	v_or_b32_e32 v6, v21, v19
	v_or_b32_e32 v7, v20, v18
	;; [unrolled: 1-line block ×4, first 2 shown]
	v_mul_f32_e32 v91, v114, v6
	v_mul_f32_e32 v90, v87, v7
	;; [unrolled: 1-line block ×4, first 2 shown]
	s_and_saveexec_b32 s9, vcc_lo
	s_cbranch_execz .LBB227_1841
; %bb.1840:                             ;   in Loop: Header=BB227_1059 Depth=1
	buffer_load_dword v6, off, s[0:3], s32 offset:200 ; 4-byte Folded Reload
	s_waitcnt vmcnt(0)
	v_cmp_lt_i32_e64 s4, v43, v6
	v_cndmask_b32_e64 v90, 0, v90, s4
	v_cmp_lt_i32_e64 s4, v45, v6
	v_cndmask_b32_e64 v91, 0, v91, s4
	;; [unrolled: 2-line block ×4, first 2 shown]
.LBB227_1841:                           ;   in Loop: Header=BB227_1059 Depth=1
	s_or_b32 exec_lo, exec_lo, s9
	flat_load_dword v6, v[4:5] offset:896
	v_mov_b32_e32 v20, 0
	v_mov_b32_e32 v18, 0
	;; [unrolled: 1-line block ×4, first 2 shown]
	s_waitcnt vmcnt(0) lgkmcnt(0)
	v_cmp_ne_u16_sdwa s4, v6, v9 src0_sel:BYTE_0 src1_sel:DWORD
	s_and_saveexec_b32 s9, s4
	s_cbranch_execz .LBB227_1849
; %bb.1842:                             ;   in Loop: Header=BB227_1059 Depth=1
	v_bfrev_b32_e32 v18, 1
	v_mov_b32_e32 v19, 0
	v_cmp_ne_u16_sdwa s4, v6, v99 src0_sel:BYTE_0 src1_sel:DWORD
	s_and_saveexec_b32 s11, s4
	s_cbranch_execz .LBB227_1848
; %bb.1843:                             ;   in Loop: Header=BB227_1059 Depth=1
	v_mov_b32_e32 v18, 0x7f800001
	v_and_b32_e32 v10, 0x7f, v6
	v_mov_b32_e32 v19, 0
	s_mov_b32 s12, exec_lo
	v_cmpx_ne_u32_e32 0x7f, v10
	s_cbranch_execz .LBB227_1847
; %bb.1844:                             ;   in Loop: Header=BB227_1059 Depth=1
	v_and_b32_e32 v8, 7, v6
	v_lshrrev_b32_e32 v7, 3, v10
	s_mov_b32 s13, exec_lo
	v_cmpx_gt_u32_e32 8, v10
; %bb.1845:                             ;   in Loop: Header=BB227_1059 Depth=1
	v_ffbh_u32_e32 v7, v8
	v_min_u32_e32 v7, 32, v7
	v_subrev_nc_u32_e32 v10, 28, v7
	v_sub_nc_u32_e32 v7, 29, v7
	v_lshlrev_b64 v[18:19], v10, v[8:9]
	v_and_b32_e32 v8, 7, v18
; %bb.1846:                             ;   in Loop: Header=BB227_1059 Depth=1
	s_or_b32 exec_lo, exec_lo, s13
	v_lshlrev_b32_e32 v10, 24, v6
	v_lshlrev_b32_e32 v8, 20, v8
	v_lshl_add_u32 v7, v7, 23, 0x3c000000
	v_and_b32_e32 v10, 0x80000000, v10
	v_or3_b32 v8, v8, v10, v7
	v_mov_b32_e32 v19, v9
	v_mov_b32_e32 v18, v8
.LBB227_1847:                           ;   in Loop: Header=BB227_1059 Depth=1
	s_or_b32 exec_lo, exec_lo, s12
.LBB227_1848:                           ;   in Loop: Header=BB227_1059 Depth=1
	s_or_b32 exec_lo, exec_lo, s11
.LBB227_1849:                           ;   in Loop: Header=BB227_1059 Depth=1
	s_or_b32 exec_lo, exec_lo, s9
	v_cmp_ne_u16_sdwa s4, v6, v9 src0_sel:BYTE_1 src1_sel:DWORD
	s_and_saveexec_b32 s9, s4
	s_cbranch_execz .LBB227_1857
; %bb.1850:                             ;   in Loop: Header=BB227_1059 Depth=1
	v_mov_b32_e32 v10, v9
	v_mov_b32_e32 v21, v11
	v_cmp_ne_u16_sdwa s4, v6, v99 src0_sel:BYTE_1 src1_sel:DWORD
	v_mov_b32_e32 v20, v10
	s_and_saveexec_b32 s11, s4
	s_cbranch_execz .LBB227_1856
; %bb.1851:                             ;   in Loop: Header=BB227_1059 Depth=1
	v_mov_b32_e32 v7, 0xffff
	v_mov_b32_e32 v12, v9
	;; [unrolled: 1-line block ×3, first 2 shown]
	s_mov_b32 s12, exec_lo
	v_and_b32_sdwa v7, v7, v6 dst_sel:DWORD dst_unused:UNUSED_PAD src0_sel:DWORD src1_sel:BYTE_1
	v_mov_b32_e32 v20, v12
	v_and_b32_e32 v10, 0x7f, v7
	v_cmpx_ne_u32_e32 0x7f, v10
	s_cbranch_execz .LBB227_1855
; %bb.1852:                             ;   in Loop: Header=BB227_1059 Depth=1
	v_and_b32_e32 v8, 7, v7
	v_lshrrev_b32_e32 v7, 3, v10
	s_mov_b32 s13, exec_lo
	v_cmpx_gt_u32_e32 8, v10
; %bb.1853:                             ;   in Loop: Header=BB227_1059 Depth=1
	v_ffbh_u32_e32 v7, v8
	v_min_u32_e32 v7, 32, v7
	v_subrev_nc_u32_e32 v10, 28, v7
	v_sub_nc_u32_e32 v7, 29, v7
	v_lshlrev_b64 v[20:21], v10, v[8:9]
	v_and_b32_e32 v8, 7, v20
; %bb.1854:                             ;   in Loop: Header=BB227_1059 Depth=1
	s_or_b32 exec_lo, exec_lo, s13
	v_lshlrev_b32_e32 v10, 16, v6
	v_lshlrev_b32_e32 v8, 20, v8
	v_lshl_add_u32 v7, v7, 23, 0x3c000000
	v_mov_b32_e32 v20, v9
	v_and_b32_e32 v10, 0x80000000, v10
	v_or3_b32 v21, v8, v10, v7
.LBB227_1855:                           ;   in Loop: Header=BB227_1059 Depth=1
	s_or_b32 exec_lo, exec_lo, s12
.LBB227_1856:                           ;   in Loop: Header=BB227_1059 Depth=1
	s_or_b32 exec_lo, exec_lo, s11
.LBB227_1857:                           ;   in Loop: Header=BB227_1059 Depth=1
	s_or_b32 exec_lo, exec_lo, s9
	v_mov_b32_e32 v22, 0
	v_mov_b32_e32 v24, 0
	v_and_b32_sdwa v7, v6, v101 dst_sel:DWORD dst_unused:UNUSED_PAD src0_sel:WORD_1 src1_sel:DWORD
	v_mov_b32_e32 v23, 0
	v_mov_b32_e32 v25, 0
	s_mov_b32 s9, exec_lo
	v_cmpx_ne_u16_e32 0, v7
	s_cbranch_execz .LBB227_1865
; %bb.1858:                             ;   in Loop: Header=BB227_1059 Depth=1
	v_bfrev_b32_e32 v24, 1
	v_mov_b32_e32 v25, 0
	s_mov_b32 s11, exec_lo
	v_cmpx_ne_u16_e32 0x80, v7
	s_cbranch_execz .LBB227_1864
; %bb.1859:                             ;   in Loop: Header=BB227_1059 Depth=1
	v_mov_b32_e32 v24, 0x7f800001
	v_bfe_u32 v10, v6, 16, 7
	v_mov_b32_e32 v25, 0
	s_mov_b32 s12, exec_lo
	v_cmpx_ne_u32_e32 0x7f, v10
	s_cbranch_execz .LBB227_1863
; %bb.1860:                             ;   in Loop: Header=BB227_1059 Depth=1
	v_mov_b32_e32 v7, 7
	s_mov_b32 s13, exec_lo
	v_and_b32_sdwa v8, v6, v7 dst_sel:DWORD dst_unused:UNUSED_PAD src0_sel:WORD_1 src1_sel:DWORD
	v_lshrrev_b32_e32 v7, 3, v10
	v_cmpx_gt_u32_e32 8, v10
; %bb.1861:                             ;   in Loop: Header=BB227_1059 Depth=1
	v_ffbh_u32_e32 v7, v8
	v_min_u32_e32 v7, 32, v7
	v_subrev_nc_u32_e32 v10, 28, v7
	v_sub_nc_u32_e32 v7, 29, v7
	v_lshlrev_b64 v[24:25], v10, v[8:9]
	v_and_b32_e32 v8, 7, v24
; %bb.1862:                             ;   in Loop: Header=BB227_1059 Depth=1
	s_or_b32 exec_lo, exec_lo, s13
	v_mov_b32_e32 v10, 24
	v_lshlrev_b32_e32 v8, 20, v8
	v_lshl_add_u32 v7, v7, 23, 0x3c000000
	v_lshlrev_b32_sdwa v10, v10, v6 dst_sel:DWORD dst_unused:UNUSED_PAD src0_sel:DWORD src1_sel:WORD_1
	v_and_b32_e32 v10, 0x80000000, v10
	v_or3_b32 v8, v8, v10, v7
	v_mov_b32_e32 v25, v9
	v_mov_b32_e32 v24, v8
.LBB227_1863:                           ;   in Loop: Header=BB227_1059 Depth=1
	s_or_b32 exec_lo, exec_lo, s12
.LBB227_1864:                           ;   in Loop: Header=BB227_1059 Depth=1
	s_or_b32 exec_lo, exec_lo, s11
.LBB227_1865:                           ;   in Loop: Header=BB227_1059 Depth=1
	s_or_b32 exec_lo, exec_lo, s9
	s_mov_b32 s9, exec_lo
	v_cmpx_lt_u32_e32 0xffffff, v6
	s_cbranch_execz .LBB227_1873
; %bb.1866:                             ;   in Loop: Header=BB227_1059 Depth=1
	v_mov_b32_e32 v10, v9
	v_mov_b32_e32 v23, v11
	v_cmp_ne_u32_sdwa s4, v6, v99 src0_sel:BYTE_3 src1_sel:DWORD
	v_mov_b32_e32 v22, v10
	s_and_saveexec_b32 s11, s4
	s_cbranch_execz .LBB227_1872
; %bb.1867:                             ;   in Loop: Header=BB227_1059 Depth=1
	v_mov_b32_e32 v12, v9
	v_mov_b32_e32 v23, v13
	v_bfe_u32 v10, v6, 24, 7
	s_mov_b32 s12, exec_lo
	v_mov_b32_e32 v22, v12
	v_cmpx_ne_u32_e32 0x7f, v10
	s_cbranch_execz .LBB227_1871
; %bb.1868:                             ;   in Loop: Header=BB227_1059 Depth=1
	v_mov_b32_e32 v7, 7
	s_mov_b32 s13, exec_lo
	v_and_b32_sdwa v8, v6, v7 dst_sel:DWORD dst_unused:UNUSED_PAD src0_sel:BYTE_3 src1_sel:DWORD
	v_lshrrev_b32_e32 v7, 3, v10
	v_cmpx_gt_u32_e32 8, v10
; %bb.1869:                             ;   in Loop: Header=BB227_1059 Depth=1
	v_ffbh_u32_e32 v7, v8
	v_min_u32_e32 v7, 32, v7
	v_subrev_nc_u32_e32 v10, 28, v7
	v_sub_nc_u32_e32 v7, 29, v7
	v_lshlrev_b64 v[22:23], v10, v[8:9]
	v_and_b32_e32 v8, 7, v22
; %bb.1870:                             ;   in Loop: Header=BB227_1059 Depth=1
	s_or_b32 exec_lo, exec_lo, s13
	v_mov_b32_e32 v10, 24
	v_lshlrev_b32_e32 v8, 20, v8
	v_lshl_add_u32 v7, v7, 23, 0x3c000000
	v_mov_b32_e32 v22, v9
	v_lshlrev_b32_sdwa v6, v10, v6 dst_sel:DWORD dst_unused:UNUSED_PAD src0_sel:DWORD src1_sel:BYTE_3
	v_and_b32_e32 v6, 0x80000000, v6
	v_or3_b32 v23, v8, v6, v7
.LBB227_1871:                           ;   in Loop: Header=BB227_1059 Depth=1
	s_or_b32 exec_lo, exec_lo, s12
.LBB227_1872:                           ;   in Loop: Header=BB227_1059 Depth=1
	s_or_b32 exec_lo, exec_lo, s11
.LBB227_1873:                           ;   in Loop: Header=BB227_1059 Depth=1
	s_or_b32 exec_lo, exec_lo, s9
	v_or_b32_e32 v6, v21, v19
	v_or_b32_e32 v7, v20, v18
	;; [unrolled: 1-line block ×4, first 2 shown]
	v_mul_f32_e32 v95, v114, v6
	v_mul_f32_e32 v94, v87, v7
	;; [unrolled: 1-line block ×4, first 2 shown]
	s_and_saveexec_b32 s9, vcc_lo
	s_cbranch_execz .LBB227_1875
; %bb.1874:                             ;   in Loop: Header=BB227_1059 Depth=1
	buffer_load_dword v6, off, s[0:3], s32 offset:200 ; 4-byte Folded Reload
	s_waitcnt vmcnt(0)
	v_cmp_lt_i32_e64 s4, v43, v6
	v_cndmask_b32_e64 v94, 0, v94, s4
	v_cmp_lt_i32_e64 s4, v45, v6
	v_cndmask_b32_e64 v95, 0, v95, s4
	;; [unrolled: 2-line block ×4, first 2 shown]
.LBB227_1875:                           ;   in Loop: Header=BB227_1059 Depth=1
	s_or_b32 exec_lo, exec_lo, s9
	flat_load_dword v6, v[4:5] offset:1024
	v_mov_b32_e32 v20, 0
	v_mov_b32_e32 v18, 0
	v_mov_b32_e32 v21, 0
	v_mov_b32_e32 v19, 0
	s_waitcnt vmcnt(0) lgkmcnt(0)
	v_cmp_ne_u16_sdwa s4, v6, v9 src0_sel:BYTE_0 src1_sel:DWORD
	s_and_saveexec_b32 s9, s4
	s_cbranch_execz .LBB227_1883
; %bb.1876:                             ;   in Loop: Header=BB227_1059 Depth=1
	v_bfrev_b32_e32 v18, 1
	v_mov_b32_e32 v19, 0
	v_cmp_ne_u16_sdwa s4, v6, v99 src0_sel:BYTE_0 src1_sel:DWORD
	s_and_saveexec_b32 s11, s4
	s_cbranch_execz .LBB227_1882
; %bb.1877:                             ;   in Loop: Header=BB227_1059 Depth=1
	v_mov_b32_e32 v18, 0x7f800001
	v_and_b32_e32 v10, 0x7f, v6
	v_mov_b32_e32 v19, 0
	s_mov_b32 s12, exec_lo
	v_cmpx_ne_u32_e32 0x7f, v10
	s_cbranch_execz .LBB227_1881
; %bb.1878:                             ;   in Loop: Header=BB227_1059 Depth=1
	v_and_b32_e32 v8, 7, v6
	v_lshrrev_b32_e32 v7, 3, v10
	s_mov_b32 s13, exec_lo
	v_cmpx_gt_u32_e32 8, v10
; %bb.1879:                             ;   in Loop: Header=BB227_1059 Depth=1
	v_ffbh_u32_e32 v7, v8
	v_min_u32_e32 v7, 32, v7
	v_subrev_nc_u32_e32 v10, 28, v7
	v_sub_nc_u32_e32 v7, 29, v7
	v_lshlrev_b64 v[18:19], v10, v[8:9]
	v_and_b32_e32 v8, 7, v18
; %bb.1880:                             ;   in Loop: Header=BB227_1059 Depth=1
	s_or_b32 exec_lo, exec_lo, s13
	v_lshlrev_b32_e32 v10, 24, v6
	v_lshlrev_b32_e32 v8, 20, v8
	v_lshl_add_u32 v7, v7, 23, 0x3c000000
	v_and_b32_e32 v10, 0x80000000, v10
	v_or3_b32 v8, v8, v10, v7
	v_mov_b32_e32 v19, v9
	v_mov_b32_e32 v18, v8
.LBB227_1881:                           ;   in Loop: Header=BB227_1059 Depth=1
	s_or_b32 exec_lo, exec_lo, s12
.LBB227_1882:                           ;   in Loop: Header=BB227_1059 Depth=1
	s_or_b32 exec_lo, exec_lo, s11
.LBB227_1883:                           ;   in Loop: Header=BB227_1059 Depth=1
	s_or_b32 exec_lo, exec_lo, s9
	v_cmp_ne_u16_sdwa s4, v6, v9 src0_sel:BYTE_1 src1_sel:DWORD
	s_and_saveexec_b32 s9, s4
	s_cbranch_execz .LBB227_1891
; %bb.1884:                             ;   in Loop: Header=BB227_1059 Depth=1
	v_mov_b32_e32 v10, v9
	v_mov_b32_e32 v21, v11
	v_cmp_ne_u16_sdwa s4, v6, v99 src0_sel:BYTE_1 src1_sel:DWORD
	v_mov_b32_e32 v20, v10
	s_and_saveexec_b32 s11, s4
	s_cbranch_execz .LBB227_1890
; %bb.1885:                             ;   in Loop: Header=BB227_1059 Depth=1
	v_mov_b32_e32 v7, 0xffff
	v_mov_b32_e32 v12, v9
	;; [unrolled: 1-line block ×3, first 2 shown]
	s_mov_b32 s12, exec_lo
	v_and_b32_sdwa v7, v7, v6 dst_sel:DWORD dst_unused:UNUSED_PAD src0_sel:DWORD src1_sel:BYTE_1
	v_mov_b32_e32 v20, v12
	v_and_b32_e32 v10, 0x7f, v7
	v_cmpx_ne_u32_e32 0x7f, v10
	s_cbranch_execz .LBB227_1889
; %bb.1886:                             ;   in Loop: Header=BB227_1059 Depth=1
	v_and_b32_e32 v8, 7, v7
	v_lshrrev_b32_e32 v7, 3, v10
	s_mov_b32 s13, exec_lo
	v_cmpx_gt_u32_e32 8, v10
; %bb.1887:                             ;   in Loop: Header=BB227_1059 Depth=1
	v_ffbh_u32_e32 v7, v8
	v_min_u32_e32 v7, 32, v7
	v_subrev_nc_u32_e32 v10, 28, v7
	v_sub_nc_u32_e32 v7, 29, v7
	v_lshlrev_b64 v[20:21], v10, v[8:9]
	v_and_b32_e32 v8, 7, v20
; %bb.1888:                             ;   in Loop: Header=BB227_1059 Depth=1
	s_or_b32 exec_lo, exec_lo, s13
	v_lshlrev_b32_e32 v10, 16, v6
	v_lshlrev_b32_e32 v8, 20, v8
	v_lshl_add_u32 v7, v7, 23, 0x3c000000
	v_mov_b32_e32 v20, v9
	v_and_b32_e32 v10, 0x80000000, v10
	v_or3_b32 v21, v8, v10, v7
.LBB227_1889:                           ;   in Loop: Header=BB227_1059 Depth=1
	s_or_b32 exec_lo, exec_lo, s12
.LBB227_1890:                           ;   in Loop: Header=BB227_1059 Depth=1
	s_or_b32 exec_lo, exec_lo, s11
.LBB227_1891:                           ;   in Loop: Header=BB227_1059 Depth=1
	s_or_b32 exec_lo, exec_lo, s9
	v_mov_b32_e32 v22, 0
	v_mov_b32_e32 v24, 0
	v_and_b32_sdwa v7, v6, v101 dst_sel:DWORD dst_unused:UNUSED_PAD src0_sel:WORD_1 src1_sel:DWORD
	v_mov_b32_e32 v23, 0
	v_mov_b32_e32 v25, 0
	s_mov_b32 s9, exec_lo
	v_cmpx_ne_u16_e32 0, v7
	s_cbranch_execz .LBB227_1899
; %bb.1892:                             ;   in Loop: Header=BB227_1059 Depth=1
	v_bfrev_b32_e32 v24, 1
	v_mov_b32_e32 v25, 0
	s_mov_b32 s11, exec_lo
	v_cmpx_ne_u16_e32 0x80, v7
	s_cbranch_execz .LBB227_1898
; %bb.1893:                             ;   in Loop: Header=BB227_1059 Depth=1
	v_mov_b32_e32 v24, 0x7f800001
	v_bfe_u32 v10, v6, 16, 7
	v_mov_b32_e32 v25, 0
	s_mov_b32 s12, exec_lo
	v_cmpx_ne_u32_e32 0x7f, v10
	s_cbranch_execz .LBB227_1897
; %bb.1894:                             ;   in Loop: Header=BB227_1059 Depth=1
	v_mov_b32_e32 v7, 7
	s_mov_b32 s13, exec_lo
	v_and_b32_sdwa v8, v6, v7 dst_sel:DWORD dst_unused:UNUSED_PAD src0_sel:WORD_1 src1_sel:DWORD
	v_lshrrev_b32_e32 v7, 3, v10
	v_cmpx_gt_u32_e32 8, v10
; %bb.1895:                             ;   in Loop: Header=BB227_1059 Depth=1
	v_ffbh_u32_e32 v7, v8
	v_min_u32_e32 v7, 32, v7
	v_subrev_nc_u32_e32 v10, 28, v7
	v_sub_nc_u32_e32 v7, 29, v7
	v_lshlrev_b64 v[24:25], v10, v[8:9]
	v_and_b32_e32 v8, 7, v24
; %bb.1896:                             ;   in Loop: Header=BB227_1059 Depth=1
	s_or_b32 exec_lo, exec_lo, s13
	v_mov_b32_e32 v10, 24
	v_lshlrev_b32_e32 v8, 20, v8
	v_lshl_add_u32 v7, v7, 23, 0x3c000000
	v_lshlrev_b32_sdwa v10, v10, v6 dst_sel:DWORD dst_unused:UNUSED_PAD src0_sel:DWORD src1_sel:WORD_1
	v_and_b32_e32 v10, 0x80000000, v10
	v_or3_b32 v8, v8, v10, v7
	v_mov_b32_e32 v25, v9
	v_mov_b32_e32 v24, v8
.LBB227_1897:                           ;   in Loop: Header=BB227_1059 Depth=1
	s_or_b32 exec_lo, exec_lo, s12
.LBB227_1898:                           ;   in Loop: Header=BB227_1059 Depth=1
	s_or_b32 exec_lo, exec_lo, s11
.LBB227_1899:                           ;   in Loop: Header=BB227_1059 Depth=1
	s_or_b32 exec_lo, exec_lo, s9
	s_mov_b32 s9, exec_lo
	v_cmpx_lt_u32_e32 0xffffff, v6
	s_cbranch_execz .LBB227_1907
; %bb.1900:                             ;   in Loop: Header=BB227_1059 Depth=1
	v_mov_b32_e32 v10, v9
	v_mov_b32_e32 v23, v11
	v_cmp_ne_u32_sdwa s4, v6, v99 src0_sel:BYTE_3 src1_sel:DWORD
	v_mov_b32_e32 v22, v10
	s_and_saveexec_b32 s11, s4
	s_cbranch_execz .LBB227_1906
; %bb.1901:                             ;   in Loop: Header=BB227_1059 Depth=1
	v_mov_b32_e32 v12, v9
	v_mov_b32_e32 v23, v13
	v_bfe_u32 v10, v6, 24, 7
	s_mov_b32 s12, exec_lo
	v_mov_b32_e32 v22, v12
	v_cmpx_ne_u32_e32 0x7f, v10
	s_cbranch_execz .LBB227_1905
; %bb.1902:                             ;   in Loop: Header=BB227_1059 Depth=1
	v_mov_b32_e32 v7, 7
	s_mov_b32 s13, exec_lo
	v_and_b32_sdwa v8, v6, v7 dst_sel:DWORD dst_unused:UNUSED_PAD src0_sel:BYTE_3 src1_sel:DWORD
	v_lshrrev_b32_e32 v7, 3, v10
	v_cmpx_gt_u32_e32 8, v10
; %bb.1903:                             ;   in Loop: Header=BB227_1059 Depth=1
	v_ffbh_u32_e32 v7, v8
	v_min_u32_e32 v7, 32, v7
	v_subrev_nc_u32_e32 v10, 28, v7
	v_sub_nc_u32_e32 v7, 29, v7
	v_lshlrev_b64 v[22:23], v10, v[8:9]
	v_and_b32_e32 v8, 7, v22
; %bb.1904:                             ;   in Loop: Header=BB227_1059 Depth=1
	s_or_b32 exec_lo, exec_lo, s13
	v_mov_b32_e32 v10, 24
	v_lshlrev_b32_e32 v8, 20, v8
	v_lshl_add_u32 v7, v7, 23, 0x3c000000
	v_mov_b32_e32 v22, v9
	v_lshlrev_b32_sdwa v6, v10, v6 dst_sel:DWORD dst_unused:UNUSED_PAD src0_sel:DWORD src1_sel:BYTE_3
	v_and_b32_e32 v6, 0x80000000, v6
	v_or3_b32 v23, v8, v6, v7
.LBB227_1905:                           ;   in Loop: Header=BB227_1059 Depth=1
	s_or_b32 exec_lo, exec_lo, s12
.LBB227_1906:                           ;   in Loop: Header=BB227_1059 Depth=1
	s_or_b32 exec_lo, exec_lo, s11
.LBB227_1907:                           ;   in Loop: Header=BB227_1059 Depth=1
	s_or_b32 exec_lo, exec_lo, s9
	v_or_b32_e32 v6, v21, v19
	v_or_b32_e32 v7, v20, v18
	;; [unrolled: 1-line block ×4, first 2 shown]
	v_mul_f32_e32 v107, v114, v6
	v_mul_f32_e32 v106, v87, v7
	;; [unrolled: 1-line block ×4, first 2 shown]
	s_and_saveexec_b32 s9, vcc_lo
	s_cbranch_execz .LBB227_1909
; %bb.1908:                             ;   in Loop: Header=BB227_1059 Depth=1
	buffer_load_dword v6, off, s[0:3], s32 offset:200 ; 4-byte Folded Reload
	s_waitcnt vmcnt(0)
	v_cmp_lt_i32_e64 s4, v43, v6
	v_cndmask_b32_e64 v106, 0, v106, s4
	v_cmp_lt_i32_e64 s4, v45, v6
	v_cndmask_b32_e64 v107, 0, v107, s4
	v_cmp_lt_i32_e64 s4, v44, v6
	v_cndmask_b32_e64 v105, 0, v105, s4
	v_cmp_lt_i32_e64 s4, v112, v6
	v_cndmask_b32_e64 v104, 0, v104, s4
.LBB227_1909:                           ;   in Loop: Header=BB227_1059 Depth=1
	s_or_b32 exec_lo, exec_lo, s9
	flat_load_dword v6, v[4:5] offset:1152
	v_mov_b32_e32 v20, 0
	v_mov_b32_e32 v18, 0
	;; [unrolled: 1-line block ×4, first 2 shown]
	s_waitcnt vmcnt(0) lgkmcnt(0)
	v_cmp_ne_u16_sdwa s4, v6, v9 src0_sel:BYTE_0 src1_sel:DWORD
	s_and_saveexec_b32 s9, s4
	s_cbranch_execz .LBB227_1917
; %bb.1910:                             ;   in Loop: Header=BB227_1059 Depth=1
	v_bfrev_b32_e32 v18, 1
	v_mov_b32_e32 v19, 0
	v_cmp_ne_u16_sdwa s4, v6, v99 src0_sel:BYTE_0 src1_sel:DWORD
	s_and_saveexec_b32 s11, s4
	s_cbranch_execz .LBB227_1916
; %bb.1911:                             ;   in Loop: Header=BB227_1059 Depth=1
	v_mov_b32_e32 v18, 0x7f800001
	v_and_b32_e32 v10, 0x7f, v6
	v_mov_b32_e32 v19, 0
	s_mov_b32 s12, exec_lo
	v_cmpx_ne_u32_e32 0x7f, v10
	s_cbranch_execz .LBB227_1915
; %bb.1912:                             ;   in Loop: Header=BB227_1059 Depth=1
	v_and_b32_e32 v8, 7, v6
	v_lshrrev_b32_e32 v7, 3, v10
	s_mov_b32 s13, exec_lo
	v_cmpx_gt_u32_e32 8, v10
; %bb.1913:                             ;   in Loop: Header=BB227_1059 Depth=1
	v_ffbh_u32_e32 v7, v8
	v_min_u32_e32 v7, 32, v7
	v_subrev_nc_u32_e32 v10, 28, v7
	v_sub_nc_u32_e32 v7, 29, v7
	v_lshlrev_b64 v[18:19], v10, v[8:9]
	v_and_b32_e32 v8, 7, v18
; %bb.1914:                             ;   in Loop: Header=BB227_1059 Depth=1
	s_or_b32 exec_lo, exec_lo, s13
	v_lshlrev_b32_e32 v10, 24, v6
	v_lshlrev_b32_e32 v8, 20, v8
	v_lshl_add_u32 v7, v7, 23, 0x3c000000
	v_and_b32_e32 v10, 0x80000000, v10
	v_or3_b32 v8, v8, v10, v7
	v_mov_b32_e32 v19, v9
	v_mov_b32_e32 v18, v8
.LBB227_1915:                           ;   in Loop: Header=BB227_1059 Depth=1
	s_or_b32 exec_lo, exec_lo, s12
.LBB227_1916:                           ;   in Loop: Header=BB227_1059 Depth=1
	s_or_b32 exec_lo, exec_lo, s11
.LBB227_1917:                           ;   in Loop: Header=BB227_1059 Depth=1
	s_or_b32 exec_lo, exec_lo, s9
	v_cmp_ne_u16_sdwa s4, v6, v9 src0_sel:BYTE_1 src1_sel:DWORD
	s_and_saveexec_b32 s9, s4
	s_cbranch_execz .LBB227_1925
; %bb.1918:                             ;   in Loop: Header=BB227_1059 Depth=1
	v_mov_b32_e32 v10, v9
	v_mov_b32_e32 v21, v11
	v_cmp_ne_u16_sdwa s4, v6, v99 src0_sel:BYTE_1 src1_sel:DWORD
	v_mov_b32_e32 v20, v10
	s_and_saveexec_b32 s11, s4
	s_cbranch_execz .LBB227_1924
; %bb.1919:                             ;   in Loop: Header=BB227_1059 Depth=1
	v_mov_b32_e32 v7, 0xffff
	v_mov_b32_e32 v12, v9
	;; [unrolled: 1-line block ×3, first 2 shown]
	s_mov_b32 s12, exec_lo
	v_and_b32_sdwa v7, v7, v6 dst_sel:DWORD dst_unused:UNUSED_PAD src0_sel:DWORD src1_sel:BYTE_1
	v_mov_b32_e32 v20, v12
	v_and_b32_e32 v10, 0x7f, v7
	v_cmpx_ne_u32_e32 0x7f, v10
	s_cbranch_execz .LBB227_1923
; %bb.1920:                             ;   in Loop: Header=BB227_1059 Depth=1
	v_and_b32_e32 v8, 7, v7
	v_lshrrev_b32_e32 v7, 3, v10
	s_mov_b32 s13, exec_lo
	v_cmpx_gt_u32_e32 8, v10
; %bb.1921:                             ;   in Loop: Header=BB227_1059 Depth=1
	v_ffbh_u32_e32 v7, v8
	v_min_u32_e32 v7, 32, v7
	v_subrev_nc_u32_e32 v10, 28, v7
	v_sub_nc_u32_e32 v7, 29, v7
	v_lshlrev_b64 v[20:21], v10, v[8:9]
	v_and_b32_e32 v8, 7, v20
; %bb.1922:                             ;   in Loop: Header=BB227_1059 Depth=1
	s_or_b32 exec_lo, exec_lo, s13
	v_lshlrev_b32_e32 v10, 16, v6
	v_lshlrev_b32_e32 v8, 20, v8
	v_lshl_add_u32 v7, v7, 23, 0x3c000000
	v_mov_b32_e32 v20, v9
	v_and_b32_e32 v10, 0x80000000, v10
	v_or3_b32 v21, v8, v10, v7
.LBB227_1923:                           ;   in Loop: Header=BB227_1059 Depth=1
	s_or_b32 exec_lo, exec_lo, s12
.LBB227_1924:                           ;   in Loop: Header=BB227_1059 Depth=1
	s_or_b32 exec_lo, exec_lo, s11
.LBB227_1925:                           ;   in Loop: Header=BB227_1059 Depth=1
	s_or_b32 exec_lo, exec_lo, s9
	v_mov_b32_e32 v22, 0
	v_mov_b32_e32 v24, 0
	v_and_b32_sdwa v7, v6, v101 dst_sel:DWORD dst_unused:UNUSED_PAD src0_sel:WORD_1 src1_sel:DWORD
	v_mov_b32_e32 v23, 0
	v_mov_b32_e32 v25, 0
	s_mov_b32 s9, exec_lo
	v_cmpx_ne_u16_e32 0, v7
	s_cbranch_execz .LBB227_1933
; %bb.1926:                             ;   in Loop: Header=BB227_1059 Depth=1
	v_bfrev_b32_e32 v24, 1
	v_mov_b32_e32 v25, 0
	s_mov_b32 s11, exec_lo
	v_cmpx_ne_u16_e32 0x80, v7
	s_cbranch_execz .LBB227_1932
; %bb.1927:                             ;   in Loop: Header=BB227_1059 Depth=1
	v_mov_b32_e32 v24, 0x7f800001
	v_bfe_u32 v10, v6, 16, 7
	v_mov_b32_e32 v25, 0
	s_mov_b32 s12, exec_lo
	v_cmpx_ne_u32_e32 0x7f, v10
	s_cbranch_execz .LBB227_1931
; %bb.1928:                             ;   in Loop: Header=BB227_1059 Depth=1
	v_mov_b32_e32 v7, 7
	s_mov_b32 s13, exec_lo
	v_and_b32_sdwa v8, v6, v7 dst_sel:DWORD dst_unused:UNUSED_PAD src0_sel:WORD_1 src1_sel:DWORD
	v_lshrrev_b32_e32 v7, 3, v10
	v_cmpx_gt_u32_e32 8, v10
; %bb.1929:                             ;   in Loop: Header=BB227_1059 Depth=1
	v_ffbh_u32_e32 v7, v8
	v_min_u32_e32 v7, 32, v7
	v_subrev_nc_u32_e32 v10, 28, v7
	v_sub_nc_u32_e32 v7, 29, v7
	v_lshlrev_b64 v[24:25], v10, v[8:9]
	v_and_b32_e32 v8, 7, v24
; %bb.1930:                             ;   in Loop: Header=BB227_1059 Depth=1
	s_or_b32 exec_lo, exec_lo, s13
	v_mov_b32_e32 v10, 24
	v_lshlrev_b32_e32 v8, 20, v8
	v_lshl_add_u32 v7, v7, 23, 0x3c000000
	v_lshlrev_b32_sdwa v10, v10, v6 dst_sel:DWORD dst_unused:UNUSED_PAD src0_sel:DWORD src1_sel:WORD_1
	v_and_b32_e32 v10, 0x80000000, v10
	v_or3_b32 v8, v8, v10, v7
	v_mov_b32_e32 v25, v9
	v_mov_b32_e32 v24, v8
.LBB227_1931:                           ;   in Loop: Header=BB227_1059 Depth=1
	s_or_b32 exec_lo, exec_lo, s12
.LBB227_1932:                           ;   in Loop: Header=BB227_1059 Depth=1
	s_or_b32 exec_lo, exec_lo, s11
.LBB227_1933:                           ;   in Loop: Header=BB227_1059 Depth=1
	s_or_b32 exec_lo, exec_lo, s9
	s_mov_b32 s9, exec_lo
	v_cmpx_lt_u32_e32 0xffffff, v6
	s_cbranch_execz .LBB227_1941
; %bb.1934:                             ;   in Loop: Header=BB227_1059 Depth=1
	v_mov_b32_e32 v10, v9
	v_mov_b32_e32 v23, v11
	v_cmp_ne_u32_sdwa s4, v6, v99 src0_sel:BYTE_3 src1_sel:DWORD
	v_mov_b32_e32 v22, v10
	s_and_saveexec_b32 s11, s4
	s_cbranch_execz .LBB227_1940
; %bb.1935:                             ;   in Loop: Header=BB227_1059 Depth=1
	v_mov_b32_e32 v12, v9
	v_mov_b32_e32 v23, v13
	v_bfe_u32 v10, v6, 24, 7
	s_mov_b32 s12, exec_lo
	v_mov_b32_e32 v22, v12
	v_cmpx_ne_u32_e32 0x7f, v10
	s_cbranch_execz .LBB227_1939
; %bb.1936:                             ;   in Loop: Header=BB227_1059 Depth=1
	v_mov_b32_e32 v7, 7
	s_mov_b32 s13, exec_lo
	v_and_b32_sdwa v8, v6, v7 dst_sel:DWORD dst_unused:UNUSED_PAD src0_sel:BYTE_3 src1_sel:DWORD
	v_lshrrev_b32_e32 v7, 3, v10
	v_cmpx_gt_u32_e32 8, v10
; %bb.1937:                             ;   in Loop: Header=BB227_1059 Depth=1
	v_ffbh_u32_e32 v7, v8
	v_min_u32_e32 v7, 32, v7
	v_subrev_nc_u32_e32 v10, 28, v7
	v_sub_nc_u32_e32 v7, 29, v7
	v_lshlrev_b64 v[22:23], v10, v[8:9]
	v_and_b32_e32 v8, 7, v22
; %bb.1938:                             ;   in Loop: Header=BB227_1059 Depth=1
	s_or_b32 exec_lo, exec_lo, s13
	v_mov_b32_e32 v10, 24
	v_lshlrev_b32_e32 v8, 20, v8
	v_lshl_add_u32 v7, v7, 23, 0x3c000000
	v_mov_b32_e32 v22, v9
	v_lshlrev_b32_sdwa v6, v10, v6 dst_sel:DWORD dst_unused:UNUSED_PAD src0_sel:DWORD src1_sel:BYTE_3
	v_and_b32_e32 v6, 0x80000000, v6
	v_or3_b32 v23, v8, v6, v7
.LBB227_1939:                           ;   in Loop: Header=BB227_1059 Depth=1
	s_or_b32 exec_lo, exec_lo, s12
.LBB227_1940:                           ;   in Loop: Header=BB227_1059 Depth=1
	s_or_b32 exec_lo, exec_lo, s11
.LBB227_1941:                           ;   in Loop: Header=BB227_1059 Depth=1
	s_or_b32 exec_lo, exec_lo, s9
	v_or_b32_e32 v6, v21, v19
	v_or_b32_e32 v7, v20, v18
	;; [unrolled: 1-line block ×4, first 2 shown]
	v_mul_f32_e32 v111, v114, v6
	v_mul_f32_e32 v110, v87, v7
	;; [unrolled: 1-line block ×4, first 2 shown]
	s_and_saveexec_b32 s9, vcc_lo
	s_cbranch_execz .LBB227_1943
; %bb.1942:                             ;   in Loop: Header=BB227_1059 Depth=1
	buffer_load_dword v6, off, s[0:3], s32 offset:200 ; 4-byte Folded Reload
	s_waitcnt vmcnt(0)
	v_cmp_lt_i32_e64 s4, v43, v6
	v_cndmask_b32_e64 v110, 0, v110, s4
	v_cmp_lt_i32_e64 s4, v45, v6
	v_cndmask_b32_e64 v111, 0, v111, s4
	;; [unrolled: 2-line block ×4, first 2 shown]
.LBB227_1943:                           ;   in Loop: Header=BB227_1059 Depth=1
	s_or_b32 exec_lo, exec_lo, s9
	flat_load_dword v6, v[4:5] offset:1280
	v_mov_b32_e32 v20, 0
	v_mov_b32_e32 v18, 0
	;; [unrolled: 1-line block ×4, first 2 shown]
	s_waitcnt vmcnt(0) lgkmcnt(0)
	v_cmp_ne_u16_sdwa s4, v6, v9 src0_sel:BYTE_0 src1_sel:DWORD
	s_and_saveexec_b32 s9, s4
	s_cbranch_execz .LBB227_1951
; %bb.1944:                             ;   in Loop: Header=BB227_1059 Depth=1
	v_bfrev_b32_e32 v18, 1
	v_mov_b32_e32 v19, 0
	v_cmp_ne_u16_sdwa s4, v6, v99 src0_sel:BYTE_0 src1_sel:DWORD
	s_and_saveexec_b32 s11, s4
	s_cbranch_execz .LBB227_1950
; %bb.1945:                             ;   in Loop: Header=BB227_1059 Depth=1
	v_mov_b32_e32 v18, 0x7f800001
	v_and_b32_e32 v10, 0x7f, v6
	v_mov_b32_e32 v19, 0
	s_mov_b32 s12, exec_lo
	v_cmpx_ne_u32_e32 0x7f, v10
	s_cbranch_execz .LBB227_1949
; %bb.1946:                             ;   in Loop: Header=BB227_1059 Depth=1
	v_and_b32_e32 v8, 7, v6
	v_lshrrev_b32_e32 v7, 3, v10
	s_mov_b32 s13, exec_lo
	v_cmpx_gt_u32_e32 8, v10
; %bb.1947:                             ;   in Loop: Header=BB227_1059 Depth=1
	v_ffbh_u32_e32 v7, v8
	v_min_u32_e32 v7, 32, v7
	v_subrev_nc_u32_e32 v10, 28, v7
	v_sub_nc_u32_e32 v7, 29, v7
	v_lshlrev_b64 v[18:19], v10, v[8:9]
	v_and_b32_e32 v8, 7, v18
; %bb.1948:                             ;   in Loop: Header=BB227_1059 Depth=1
	s_or_b32 exec_lo, exec_lo, s13
	v_lshlrev_b32_e32 v10, 24, v6
	v_lshlrev_b32_e32 v8, 20, v8
	v_lshl_add_u32 v7, v7, 23, 0x3c000000
	v_and_b32_e32 v10, 0x80000000, v10
	v_or3_b32 v8, v8, v10, v7
	v_mov_b32_e32 v19, v9
	v_mov_b32_e32 v18, v8
.LBB227_1949:                           ;   in Loop: Header=BB227_1059 Depth=1
	s_or_b32 exec_lo, exec_lo, s12
.LBB227_1950:                           ;   in Loop: Header=BB227_1059 Depth=1
	s_or_b32 exec_lo, exec_lo, s11
.LBB227_1951:                           ;   in Loop: Header=BB227_1059 Depth=1
	s_or_b32 exec_lo, exec_lo, s9
	v_cmp_ne_u16_sdwa s4, v6, v9 src0_sel:BYTE_1 src1_sel:DWORD
	s_and_saveexec_b32 s9, s4
	s_cbranch_execz .LBB227_1959
; %bb.1952:                             ;   in Loop: Header=BB227_1059 Depth=1
	v_mov_b32_e32 v10, v9
	v_mov_b32_e32 v21, v11
	v_cmp_ne_u16_sdwa s4, v6, v99 src0_sel:BYTE_1 src1_sel:DWORD
	v_mov_b32_e32 v20, v10
	s_and_saveexec_b32 s11, s4
	s_cbranch_execz .LBB227_1958
; %bb.1953:                             ;   in Loop: Header=BB227_1059 Depth=1
	v_mov_b32_e32 v7, 0xffff
	v_mov_b32_e32 v12, v9
	;; [unrolled: 1-line block ×3, first 2 shown]
	s_mov_b32 s12, exec_lo
	v_and_b32_sdwa v7, v7, v6 dst_sel:DWORD dst_unused:UNUSED_PAD src0_sel:DWORD src1_sel:BYTE_1
	v_mov_b32_e32 v20, v12
	v_and_b32_e32 v10, 0x7f, v7
	v_cmpx_ne_u32_e32 0x7f, v10
	s_cbranch_execz .LBB227_1957
; %bb.1954:                             ;   in Loop: Header=BB227_1059 Depth=1
	v_and_b32_e32 v8, 7, v7
	v_lshrrev_b32_e32 v7, 3, v10
	s_mov_b32 s13, exec_lo
	v_cmpx_gt_u32_e32 8, v10
; %bb.1955:                             ;   in Loop: Header=BB227_1059 Depth=1
	v_ffbh_u32_e32 v7, v8
	v_min_u32_e32 v7, 32, v7
	v_subrev_nc_u32_e32 v10, 28, v7
	v_sub_nc_u32_e32 v7, 29, v7
	v_lshlrev_b64 v[20:21], v10, v[8:9]
	v_and_b32_e32 v8, 7, v20
; %bb.1956:                             ;   in Loop: Header=BB227_1059 Depth=1
	s_or_b32 exec_lo, exec_lo, s13
	v_lshlrev_b32_e32 v10, 16, v6
	v_lshlrev_b32_e32 v8, 20, v8
	v_lshl_add_u32 v7, v7, 23, 0x3c000000
	v_mov_b32_e32 v20, v9
	v_and_b32_e32 v10, 0x80000000, v10
	v_or3_b32 v21, v8, v10, v7
.LBB227_1957:                           ;   in Loop: Header=BB227_1059 Depth=1
	s_or_b32 exec_lo, exec_lo, s12
.LBB227_1958:                           ;   in Loop: Header=BB227_1059 Depth=1
	s_or_b32 exec_lo, exec_lo, s11
.LBB227_1959:                           ;   in Loop: Header=BB227_1059 Depth=1
	s_or_b32 exec_lo, exec_lo, s9
	v_mov_b32_e32 v22, 0
	v_mov_b32_e32 v24, 0
	v_and_b32_sdwa v7, v6, v101 dst_sel:DWORD dst_unused:UNUSED_PAD src0_sel:WORD_1 src1_sel:DWORD
	v_mov_b32_e32 v23, 0
	v_mov_b32_e32 v25, 0
	s_mov_b32 s9, exec_lo
	v_cmpx_ne_u16_e32 0, v7
	s_cbranch_execz .LBB227_1967
; %bb.1960:                             ;   in Loop: Header=BB227_1059 Depth=1
	v_bfrev_b32_e32 v24, 1
	v_mov_b32_e32 v25, 0
	s_mov_b32 s11, exec_lo
	v_cmpx_ne_u16_e32 0x80, v7
	s_cbranch_execz .LBB227_1966
; %bb.1961:                             ;   in Loop: Header=BB227_1059 Depth=1
	v_mov_b32_e32 v24, 0x7f800001
	v_bfe_u32 v10, v6, 16, 7
	v_mov_b32_e32 v25, 0
	s_mov_b32 s12, exec_lo
	v_cmpx_ne_u32_e32 0x7f, v10
	s_cbranch_execz .LBB227_1965
; %bb.1962:                             ;   in Loop: Header=BB227_1059 Depth=1
	v_mov_b32_e32 v7, 7
	s_mov_b32 s13, exec_lo
	v_and_b32_sdwa v8, v6, v7 dst_sel:DWORD dst_unused:UNUSED_PAD src0_sel:WORD_1 src1_sel:DWORD
	v_lshrrev_b32_e32 v7, 3, v10
	v_cmpx_gt_u32_e32 8, v10
; %bb.1963:                             ;   in Loop: Header=BB227_1059 Depth=1
	v_ffbh_u32_e32 v7, v8
	v_min_u32_e32 v7, 32, v7
	v_subrev_nc_u32_e32 v10, 28, v7
	v_sub_nc_u32_e32 v7, 29, v7
	v_lshlrev_b64 v[24:25], v10, v[8:9]
	v_and_b32_e32 v8, 7, v24
; %bb.1964:                             ;   in Loop: Header=BB227_1059 Depth=1
	s_or_b32 exec_lo, exec_lo, s13
	v_mov_b32_e32 v10, 24
	v_lshlrev_b32_e32 v8, 20, v8
	v_lshl_add_u32 v7, v7, 23, 0x3c000000
	v_lshlrev_b32_sdwa v10, v10, v6 dst_sel:DWORD dst_unused:UNUSED_PAD src0_sel:DWORD src1_sel:WORD_1
	v_and_b32_e32 v10, 0x80000000, v10
	v_or3_b32 v8, v8, v10, v7
	v_mov_b32_e32 v25, v9
	v_mov_b32_e32 v24, v8
.LBB227_1965:                           ;   in Loop: Header=BB227_1059 Depth=1
	s_or_b32 exec_lo, exec_lo, s12
.LBB227_1966:                           ;   in Loop: Header=BB227_1059 Depth=1
	s_or_b32 exec_lo, exec_lo, s11
.LBB227_1967:                           ;   in Loop: Header=BB227_1059 Depth=1
	s_or_b32 exec_lo, exec_lo, s9
	s_mov_b32 s9, exec_lo
	v_cmpx_lt_u32_e32 0xffffff, v6
	s_cbranch_execz .LBB227_1975
; %bb.1968:                             ;   in Loop: Header=BB227_1059 Depth=1
	v_mov_b32_e32 v10, v9
	v_mov_b32_e32 v23, v11
	v_cmp_ne_u32_sdwa s4, v6, v99 src0_sel:BYTE_3 src1_sel:DWORD
	v_mov_b32_e32 v22, v10
	s_and_saveexec_b32 s11, s4
	s_cbranch_execz .LBB227_1974
; %bb.1969:                             ;   in Loop: Header=BB227_1059 Depth=1
	v_mov_b32_e32 v12, v9
	v_mov_b32_e32 v23, v13
	v_bfe_u32 v10, v6, 24, 7
	s_mov_b32 s12, exec_lo
	v_mov_b32_e32 v22, v12
	v_cmpx_ne_u32_e32 0x7f, v10
	s_cbranch_execz .LBB227_1973
; %bb.1970:                             ;   in Loop: Header=BB227_1059 Depth=1
	v_mov_b32_e32 v7, 7
	s_mov_b32 s13, exec_lo
	v_and_b32_sdwa v8, v6, v7 dst_sel:DWORD dst_unused:UNUSED_PAD src0_sel:BYTE_3 src1_sel:DWORD
	v_lshrrev_b32_e32 v7, 3, v10
	v_cmpx_gt_u32_e32 8, v10
; %bb.1971:                             ;   in Loop: Header=BB227_1059 Depth=1
	v_ffbh_u32_e32 v7, v8
	v_min_u32_e32 v7, 32, v7
	v_subrev_nc_u32_e32 v10, 28, v7
	v_sub_nc_u32_e32 v7, 29, v7
	v_lshlrev_b64 v[22:23], v10, v[8:9]
	v_and_b32_e32 v8, 7, v22
; %bb.1972:                             ;   in Loop: Header=BB227_1059 Depth=1
	s_or_b32 exec_lo, exec_lo, s13
	v_mov_b32_e32 v10, 24
	v_lshlrev_b32_e32 v8, 20, v8
	v_lshl_add_u32 v7, v7, 23, 0x3c000000
	v_mov_b32_e32 v22, v9
	v_lshlrev_b32_sdwa v6, v10, v6 dst_sel:DWORD dst_unused:UNUSED_PAD src0_sel:DWORD src1_sel:BYTE_3
	v_and_b32_e32 v6, 0x80000000, v6
	v_or3_b32 v23, v8, v6, v7
.LBB227_1973:                           ;   in Loop: Header=BB227_1059 Depth=1
	s_or_b32 exec_lo, exec_lo, s12
.LBB227_1974:                           ;   in Loop: Header=BB227_1059 Depth=1
	s_or_b32 exec_lo, exec_lo, s11
.LBB227_1975:                           ;   in Loop: Header=BB227_1059 Depth=1
	s_or_b32 exec_lo, exec_lo, s9
	v_or_b32_e32 v6, v21, v19
	v_or_b32_e32 v7, v20, v18
	;; [unrolled: 1-line block ×4, first 2 shown]
	v_mul_f32_e32 v123, v114, v6
	v_mul_f32_e32 v122, v87, v7
	;; [unrolled: 1-line block ×4, first 2 shown]
	s_and_saveexec_b32 s9, vcc_lo
	s_cbranch_execz .LBB227_1977
; %bb.1976:                             ;   in Loop: Header=BB227_1059 Depth=1
	buffer_load_dword v6, off, s[0:3], s32 offset:200 ; 4-byte Folded Reload
	s_waitcnt vmcnt(0)
	v_cmp_lt_i32_e64 s4, v43, v6
	v_cndmask_b32_e64 v122, 0, v122, s4
	v_cmp_lt_i32_e64 s4, v45, v6
	v_cndmask_b32_e64 v123, 0, v123, s4
	v_cmp_lt_i32_e64 s4, v44, v6
	v_cndmask_b32_e64 v121, 0, v121, s4
	v_cmp_lt_i32_e64 s4, v112, v6
	v_cndmask_b32_e64 v120, 0, v120, s4
.LBB227_1977:                           ;   in Loop: Header=BB227_1059 Depth=1
	s_or_b32 exec_lo, exec_lo, s9
	flat_load_dword v6, v[4:5] offset:1408
	v_mov_b32_e32 v20, 0
	v_mov_b32_e32 v18, 0
	;; [unrolled: 1-line block ×4, first 2 shown]
	s_waitcnt vmcnt(0) lgkmcnt(0)
	v_cmp_ne_u16_sdwa s4, v6, v9 src0_sel:BYTE_0 src1_sel:DWORD
	s_and_saveexec_b32 s9, s4
	s_cbranch_execz .LBB227_1985
; %bb.1978:                             ;   in Loop: Header=BB227_1059 Depth=1
	v_bfrev_b32_e32 v18, 1
	v_mov_b32_e32 v19, 0
	v_cmp_ne_u16_sdwa s4, v6, v99 src0_sel:BYTE_0 src1_sel:DWORD
	s_and_saveexec_b32 s11, s4
	s_cbranch_execz .LBB227_1984
; %bb.1979:                             ;   in Loop: Header=BB227_1059 Depth=1
	v_mov_b32_e32 v18, 0x7f800001
	v_and_b32_e32 v10, 0x7f, v6
	v_mov_b32_e32 v19, 0
	s_mov_b32 s12, exec_lo
	v_cmpx_ne_u32_e32 0x7f, v10
	s_cbranch_execz .LBB227_1983
; %bb.1980:                             ;   in Loop: Header=BB227_1059 Depth=1
	v_and_b32_e32 v8, 7, v6
	v_lshrrev_b32_e32 v7, 3, v10
	s_mov_b32 s13, exec_lo
	v_cmpx_gt_u32_e32 8, v10
; %bb.1981:                             ;   in Loop: Header=BB227_1059 Depth=1
	v_ffbh_u32_e32 v7, v8
	v_min_u32_e32 v7, 32, v7
	v_subrev_nc_u32_e32 v10, 28, v7
	v_sub_nc_u32_e32 v7, 29, v7
	v_lshlrev_b64 v[18:19], v10, v[8:9]
	v_and_b32_e32 v8, 7, v18
; %bb.1982:                             ;   in Loop: Header=BB227_1059 Depth=1
	s_or_b32 exec_lo, exec_lo, s13
	v_lshlrev_b32_e32 v10, 24, v6
	v_lshlrev_b32_e32 v8, 20, v8
	v_lshl_add_u32 v7, v7, 23, 0x3c000000
	v_and_b32_e32 v10, 0x80000000, v10
	v_or3_b32 v8, v8, v10, v7
	v_mov_b32_e32 v19, v9
	v_mov_b32_e32 v18, v8
.LBB227_1983:                           ;   in Loop: Header=BB227_1059 Depth=1
	s_or_b32 exec_lo, exec_lo, s12
.LBB227_1984:                           ;   in Loop: Header=BB227_1059 Depth=1
	s_or_b32 exec_lo, exec_lo, s11
.LBB227_1985:                           ;   in Loop: Header=BB227_1059 Depth=1
	s_or_b32 exec_lo, exec_lo, s9
	v_cmp_ne_u16_sdwa s4, v6, v9 src0_sel:BYTE_1 src1_sel:DWORD
	s_and_saveexec_b32 s9, s4
	s_cbranch_execz .LBB227_1993
; %bb.1986:                             ;   in Loop: Header=BB227_1059 Depth=1
	v_mov_b32_e32 v10, v9
	v_mov_b32_e32 v21, v11
	v_cmp_ne_u16_sdwa s4, v6, v99 src0_sel:BYTE_1 src1_sel:DWORD
	v_mov_b32_e32 v20, v10
	s_and_saveexec_b32 s11, s4
	s_cbranch_execz .LBB227_1992
; %bb.1987:                             ;   in Loop: Header=BB227_1059 Depth=1
	v_mov_b32_e32 v7, 0xffff
	v_mov_b32_e32 v12, v9
	;; [unrolled: 1-line block ×3, first 2 shown]
	s_mov_b32 s12, exec_lo
	v_and_b32_sdwa v7, v7, v6 dst_sel:DWORD dst_unused:UNUSED_PAD src0_sel:DWORD src1_sel:BYTE_1
	v_mov_b32_e32 v20, v12
	v_and_b32_e32 v10, 0x7f, v7
	v_cmpx_ne_u32_e32 0x7f, v10
	s_cbranch_execz .LBB227_1991
; %bb.1988:                             ;   in Loop: Header=BB227_1059 Depth=1
	v_and_b32_e32 v8, 7, v7
	v_lshrrev_b32_e32 v7, 3, v10
	s_mov_b32 s13, exec_lo
	v_cmpx_gt_u32_e32 8, v10
; %bb.1989:                             ;   in Loop: Header=BB227_1059 Depth=1
	v_ffbh_u32_e32 v7, v8
	v_min_u32_e32 v7, 32, v7
	v_subrev_nc_u32_e32 v10, 28, v7
	v_sub_nc_u32_e32 v7, 29, v7
	v_lshlrev_b64 v[20:21], v10, v[8:9]
	v_and_b32_e32 v8, 7, v20
; %bb.1990:                             ;   in Loop: Header=BB227_1059 Depth=1
	s_or_b32 exec_lo, exec_lo, s13
	v_lshlrev_b32_e32 v10, 16, v6
	v_lshlrev_b32_e32 v8, 20, v8
	v_lshl_add_u32 v7, v7, 23, 0x3c000000
	v_mov_b32_e32 v20, v9
	v_and_b32_e32 v10, 0x80000000, v10
	v_or3_b32 v21, v8, v10, v7
.LBB227_1991:                           ;   in Loop: Header=BB227_1059 Depth=1
	s_or_b32 exec_lo, exec_lo, s12
.LBB227_1992:                           ;   in Loop: Header=BB227_1059 Depth=1
	s_or_b32 exec_lo, exec_lo, s11
.LBB227_1993:                           ;   in Loop: Header=BB227_1059 Depth=1
	s_or_b32 exec_lo, exec_lo, s9
	v_mov_b32_e32 v22, 0
	v_mov_b32_e32 v24, 0
	v_and_b32_sdwa v7, v6, v101 dst_sel:DWORD dst_unused:UNUSED_PAD src0_sel:WORD_1 src1_sel:DWORD
	v_mov_b32_e32 v23, 0
	v_mov_b32_e32 v25, 0
	s_mov_b32 s9, exec_lo
	v_cmpx_ne_u16_e32 0, v7
	s_cbranch_execz .LBB227_2001
; %bb.1994:                             ;   in Loop: Header=BB227_1059 Depth=1
	v_bfrev_b32_e32 v24, 1
	v_mov_b32_e32 v25, 0
	s_mov_b32 s11, exec_lo
	v_cmpx_ne_u16_e32 0x80, v7
	s_cbranch_execz .LBB227_2000
; %bb.1995:                             ;   in Loop: Header=BB227_1059 Depth=1
	v_mov_b32_e32 v24, 0x7f800001
	v_bfe_u32 v10, v6, 16, 7
	v_mov_b32_e32 v25, 0
	s_mov_b32 s12, exec_lo
	v_cmpx_ne_u32_e32 0x7f, v10
	s_cbranch_execz .LBB227_1999
; %bb.1996:                             ;   in Loop: Header=BB227_1059 Depth=1
	v_mov_b32_e32 v7, 7
	s_mov_b32 s13, exec_lo
	v_and_b32_sdwa v8, v6, v7 dst_sel:DWORD dst_unused:UNUSED_PAD src0_sel:WORD_1 src1_sel:DWORD
	v_lshrrev_b32_e32 v7, 3, v10
	v_cmpx_gt_u32_e32 8, v10
; %bb.1997:                             ;   in Loop: Header=BB227_1059 Depth=1
	v_ffbh_u32_e32 v7, v8
	v_min_u32_e32 v7, 32, v7
	v_subrev_nc_u32_e32 v10, 28, v7
	v_sub_nc_u32_e32 v7, 29, v7
	v_lshlrev_b64 v[24:25], v10, v[8:9]
	v_and_b32_e32 v8, 7, v24
; %bb.1998:                             ;   in Loop: Header=BB227_1059 Depth=1
	s_or_b32 exec_lo, exec_lo, s13
	v_mov_b32_e32 v10, 24
	v_lshlrev_b32_e32 v8, 20, v8
	v_lshl_add_u32 v7, v7, 23, 0x3c000000
	v_lshlrev_b32_sdwa v10, v10, v6 dst_sel:DWORD dst_unused:UNUSED_PAD src0_sel:DWORD src1_sel:WORD_1
	v_and_b32_e32 v10, 0x80000000, v10
	v_or3_b32 v8, v8, v10, v7
	v_mov_b32_e32 v25, v9
	v_mov_b32_e32 v24, v8
.LBB227_1999:                           ;   in Loop: Header=BB227_1059 Depth=1
	s_or_b32 exec_lo, exec_lo, s12
.LBB227_2000:                           ;   in Loop: Header=BB227_1059 Depth=1
	s_or_b32 exec_lo, exec_lo, s11
.LBB227_2001:                           ;   in Loop: Header=BB227_1059 Depth=1
	s_or_b32 exec_lo, exec_lo, s9
	s_mov_b32 s9, exec_lo
	v_cmpx_lt_u32_e32 0xffffff, v6
	s_cbranch_execz .LBB227_2009
; %bb.2002:                             ;   in Loop: Header=BB227_1059 Depth=1
	v_mov_b32_e32 v10, v9
	v_mov_b32_e32 v23, v11
	v_cmp_ne_u32_sdwa s4, v6, v99 src0_sel:BYTE_3 src1_sel:DWORD
	v_mov_b32_e32 v22, v10
	s_and_saveexec_b32 s11, s4
	s_cbranch_execz .LBB227_2008
; %bb.2003:                             ;   in Loop: Header=BB227_1059 Depth=1
	v_mov_b32_e32 v12, v9
	v_mov_b32_e32 v23, v13
	v_bfe_u32 v10, v6, 24, 7
	s_mov_b32 s12, exec_lo
	v_mov_b32_e32 v22, v12
	v_cmpx_ne_u32_e32 0x7f, v10
	s_cbranch_execz .LBB227_2007
; %bb.2004:                             ;   in Loop: Header=BB227_1059 Depth=1
	v_mov_b32_e32 v7, 7
	s_mov_b32 s13, exec_lo
	v_and_b32_sdwa v8, v6, v7 dst_sel:DWORD dst_unused:UNUSED_PAD src0_sel:BYTE_3 src1_sel:DWORD
	v_lshrrev_b32_e32 v7, 3, v10
	v_cmpx_gt_u32_e32 8, v10
; %bb.2005:                             ;   in Loop: Header=BB227_1059 Depth=1
	v_ffbh_u32_e32 v7, v8
	v_min_u32_e32 v7, 32, v7
	v_subrev_nc_u32_e32 v10, 28, v7
	v_sub_nc_u32_e32 v7, 29, v7
	v_lshlrev_b64 v[22:23], v10, v[8:9]
	v_and_b32_e32 v8, 7, v22
; %bb.2006:                             ;   in Loop: Header=BB227_1059 Depth=1
	s_or_b32 exec_lo, exec_lo, s13
	v_mov_b32_e32 v10, 24
	v_lshlrev_b32_e32 v8, 20, v8
	v_lshl_add_u32 v7, v7, 23, 0x3c000000
	v_mov_b32_e32 v22, v9
	v_lshlrev_b32_sdwa v6, v10, v6 dst_sel:DWORD dst_unused:UNUSED_PAD src0_sel:DWORD src1_sel:BYTE_3
	v_and_b32_e32 v6, 0x80000000, v6
	v_or3_b32 v23, v8, v6, v7
.LBB227_2007:                           ;   in Loop: Header=BB227_1059 Depth=1
	s_or_b32 exec_lo, exec_lo, s12
.LBB227_2008:                           ;   in Loop: Header=BB227_1059 Depth=1
	s_or_b32 exec_lo, exec_lo, s11
.LBB227_2009:                           ;   in Loop: Header=BB227_1059 Depth=1
	s_or_b32 exec_lo, exec_lo, s9
	v_or_b32_e32 v6, v21, v19
	v_or_b32_e32 v7, v20, v18
	;; [unrolled: 1-line block ×4, first 2 shown]
	v_mul_f32_e32 v30, v114, v6
	v_mul_f32_e32 v28, v87, v7
	v_mul_f32_e32 v125, v87, v8
	v_mul_f32_e32 v124, v114, v10
	s_and_saveexec_b32 s9, vcc_lo
	s_cbranch_execz .LBB227_2011
; %bb.2010:                             ;   in Loop: Header=BB227_1059 Depth=1
	buffer_load_dword v6, off, s[0:3], s32 offset:200 ; 4-byte Folded Reload
	s_waitcnt vmcnt(0)
	v_cmp_lt_i32_e64 s4, v43, v6
	v_cndmask_b32_e64 v28, 0, v28, s4
	v_cmp_lt_i32_e64 s4, v45, v6
	v_cndmask_b32_e64 v30, 0, v30, s4
	;; [unrolled: 2-line block ×4, first 2 shown]
.LBB227_2011:                           ;   in Loop: Header=BB227_1059 Depth=1
	s_or_b32 exec_lo, exec_lo, s9
	flat_load_dword v6, v[4:5] offset:1536
	v_mov_b32_e32 v20, 0
	v_mov_b32_e32 v18, 0
	;; [unrolled: 1-line block ×4, first 2 shown]
	s_waitcnt vmcnt(0) lgkmcnt(0)
	v_cmp_ne_u16_sdwa s4, v6, v9 src0_sel:BYTE_0 src1_sel:DWORD
	s_and_saveexec_b32 s9, s4
	s_cbranch_execz .LBB227_2019
; %bb.2012:                             ;   in Loop: Header=BB227_1059 Depth=1
	v_bfrev_b32_e32 v18, 1
	v_mov_b32_e32 v19, 0
	v_cmp_ne_u16_sdwa s4, v6, v99 src0_sel:BYTE_0 src1_sel:DWORD
	s_and_saveexec_b32 s11, s4
	s_cbranch_execz .LBB227_2018
; %bb.2013:                             ;   in Loop: Header=BB227_1059 Depth=1
	v_mov_b32_e32 v18, 0x7f800001
	v_and_b32_e32 v10, 0x7f, v6
	v_mov_b32_e32 v19, 0
	s_mov_b32 s12, exec_lo
	v_cmpx_ne_u32_e32 0x7f, v10
	s_cbranch_execz .LBB227_2017
; %bb.2014:                             ;   in Loop: Header=BB227_1059 Depth=1
	v_and_b32_e32 v8, 7, v6
	v_lshrrev_b32_e32 v7, 3, v10
	s_mov_b32 s13, exec_lo
	v_cmpx_gt_u32_e32 8, v10
; %bb.2015:                             ;   in Loop: Header=BB227_1059 Depth=1
	v_ffbh_u32_e32 v7, v8
	v_min_u32_e32 v7, 32, v7
	v_subrev_nc_u32_e32 v10, 28, v7
	v_sub_nc_u32_e32 v7, 29, v7
	v_lshlrev_b64 v[18:19], v10, v[8:9]
	v_and_b32_e32 v8, 7, v18
; %bb.2016:                             ;   in Loop: Header=BB227_1059 Depth=1
	s_or_b32 exec_lo, exec_lo, s13
	v_lshlrev_b32_e32 v10, 24, v6
	v_lshlrev_b32_e32 v8, 20, v8
	v_lshl_add_u32 v7, v7, 23, 0x3c000000
	v_and_b32_e32 v10, 0x80000000, v10
	v_or3_b32 v8, v8, v10, v7
	v_mov_b32_e32 v19, v9
	v_mov_b32_e32 v18, v8
.LBB227_2017:                           ;   in Loop: Header=BB227_1059 Depth=1
	s_or_b32 exec_lo, exec_lo, s12
.LBB227_2018:                           ;   in Loop: Header=BB227_1059 Depth=1
	s_or_b32 exec_lo, exec_lo, s11
.LBB227_2019:                           ;   in Loop: Header=BB227_1059 Depth=1
	s_or_b32 exec_lo, exec_lo, s9
	v_cmp_ne_u16_sdwa s4, v6, v9 src0_sel:BYTE_1 src1_sel:DWORD
	s_and_saveexec_b32 s9, s4
	s_cbranch_execz .LBB227_2027
; %bb.2020:                             ;   in Loop: Header=BB227_1059 Depth=1
	v_mov_b32_e32 v10, v9
	v_mov_b32_e32 v21, v11
	v_cmp_ne_u16_sdwa s4, v6, v99 src0_sel:BYTE_1 src1_sel:DWORD
	v_mov_b32_e32 v20, v10
	s_and_saveexec_b32 s11, s4
	s_cbranch_execz .LBB227_2026
; %bb.2021:                             ;   in Loop: Header=BB227_1059 Depth=1
	v_mov_b32_e32 v7, 0xffff
	v_mov_b32_e32 v12, v9
	;; [unrolled: 1-line block ×3, first 2 shown]
	s_mov_b32 s12, exec_lo
	v_and_b32_sdwa v7, v7, v6 dst_sel:DWORD dst_unused:UNUSED_PAD src0_sel:DWORD src1_sel:BYTE_1
	v_mov_b32_e32 v20, v12
	v_and_b32_e32 v10, 0x7f, v7
	v_cmpx_ne_u32_e32 0x7f, v10
	s_cbranch_execz .LBB227_2025
; %bb.2022:                             ;   in Loop: Header=BB227_1059 Depth=1
	v_and_b32_e32 v8, 7, v7
	v_lshrrev_b32_e32 v7, 3, v10
	s_mov_b32 s13, exec_lo
	v_cmpx_gt_u32_e32 8, v10
; %bb.2023:                             ;   in Loop: Header=BB227_1059 Depth=1
	v_ffbh_u32_e32 v7, v8
	v_min_u32_e32 v7, 32, v7
	v_subrev_nc_u32_e32 v10, 28, v7
	v_sub_nc_u32_e32 v7, 29, v7
	v_lshlrev_b64 v[20:21], v10, v[8:9]
	v_and_b32_e32 v8, 7, v20
; %bb.2024:                             ;   in Loop: Header=BB227_1059 Depth=1
	s_or_b32 exec_lo, exec_lo, s13
	v_lshlrev_b32_e32 v10, 16, v6
	v_lshlrev_b32_e32 v8, 20, v8
	v_lshl_add_u32 v7, v7, 23, 0x3c000000
	v_mov_b32_e32 v20, v9
	v_and_b32_e32 v10, 0x80000000, v10
	v_or3_b32 v21, v8, v10, v7
.LBB227_2025:                           ;   in Loop: Header=BB227_1059 Depth=1
	s_or_b32 exec_lo, exec_lo, s12
.LBB227_2026:                           ;   in Loop: Header=BB227_1059 Depth=1
	s_or_b32 exec_lo, exec_lo, s11
.LBB227_2027:                           ;   in Loop: Header=BB227_1059 Depth=1
	s_or_b32 exec_lo, exec_lo, s9
	v_mov_b32_e32 v22, 0
	v_mov_b32_e32 v24, 0
	v_and_b32_sdwa v7, v6, v101 dst_sel:DWORD dst_unused:UNUSED_PAD src0_sel:WORD_1 src1_sel:DWORD
	v_mov_b32_e32 v23, 0
	v_mov_b32_e32 v25, 0
	s_mov_b32 s9, exec_lo
	v_cmpx_ne_u16_e32 0, v7
	s_cbranch_execz .LBB227_2035
; %bb.2028:                             ;   in Loop: Header=BB227_1059 Depth=1
	v_bfrev_b32_e32 v24, 1
	v_mov_b32_e32 v25, 0
	s_mov_b32 s11, exec_lo
	v_cmpx_ne_u16_e32 0x80, v7
	s_cbranch_execz .LBB227_2034
; %bb.2029:                             ;   in Loop: Header=BB227_1059 Depth=1
	v_mov_b32_e32 v24, 0x7f800001
	v_bfe_u32 v10, v6, 16, 7
	v_mov_b32_e32 v25, 0
	s_mov_b32 s12, exec_lo
	v_cmpx_ne_u32_e32 0x7f, v10
	s_cbranch_execz .LBB227_2033
; %bb.2030:                             ;   in Loop: Header=BB227_1059 Depth=1
	v_mov_b32_e32 v7, 7
	s_mov_b32 s13, exec_lo
	v_and_b32_sdwa v8, v6, v7 dst_sel:DWORD dst_unused:UNUSED_PAD src0_sel:WORD_1 src1_sel:DWORD
	v_lshrrev_b32_e32 v7, 3, v10
	v_cmpx_gt_u32_e32 8, v10
; %bb.2031:                             ;   in Loop: Header=BB227_1059 Depth=1
	v_ffbh_u32_e32 v7, v8
	v_min_u32_e32 v7, 32, v7
	v_subrev_nc_u32_e32 v10, 28, v7
	v_sub_nc_u32_e32 v7, 29, v7
	v_lshlrev_b64 v[24:25], v10, v[8:9]
	v_and_b32_e32 v8, 7, v24
; %bb.2032:                             ;   in Loop: Header=BB227_1059 Depth=1
	s_or_b32 exec_lo, exec_lo, s13
	v_mov_b32_e32 v10, 24
	v_lshlrev_b32_e32 v8, 20, v8
	v_lshl_add_u32 v7, v7, 23, 0x3c000000
	v_lshlrev_b32_sdwa v10, v10, v6 dst_sel:DWORD dst_unused:UNUSED_PAD src0_sel:DWORD src1_sel:WORD_1
	v_and_b32_e32 v10, 0x80000000, v10
	v_or3_b32 v8, v8, v10, v7
	v_mov_b32_e32 v25, v9
	v_mov_b32_e32 v24, v8
.LBB227_2033:                           ;   in Loop: Header=BB227_1059 Depth=1
	s_or_b32 exec_lo, exec_lo, s12
.LBB227_2034:                           ;   in Loop: Header=BB227_1059 Depth=1
	s_or_b32 exec_lo, exec_lo, s11
.LBB227_2035:                           ;   in Loop: Header=BB227_1059 Depth=1
	s_or_b32 exec_lo, exec_lo, s9
	s_mov_b32 s9, exec_lo
	v_cmpx_lt_u32_e32 0xffffff, v6
	s_cbranch_execz .LBB227_2043
; %bb.2036:                             ;   in Loop: Header=BB227_1059 Depth=1
	v_mov_b32_e32 v10, v9
	v_mov_b32_e32 v23, v11
	v_cmp_ne_u32_sdwa s4, v6, v99 src0_sel:BYTE_3 src1_sel:DWORD
	v_mov_b32_e32 v22, v10
	s_and_saveexec_b32 s11, s4
	s_cbranch_execz .LBB227_2042
; %bb.2037:                             ;   in Loop: Header=BB227_1059 Depth=1
	v_mov_b32_e32 v12, v9
	v_mov_b32_e32 v23, v13
	v_bfe_u32 v10, v6, 24, 7
	s_mov_b32 s12, exec_lo
	v_mov_b32_e32 v22, v12
	v_cmpx_ne_u32_e32 0x7f, v10
	s_cbranch_execz .LBB227_2041
; %bb.2038:                             ;   in Loop: Header=BB227_1059 Depth=1
	v_mov_b32_e32 v7, 7
	s_mov_b32 s13, exec_lo
	v_and_b32_sdwa v8, v6, v7 dst_sel:DWORD dst_unused:UNUSED_PAD src0_sel:BYTE_3 src1_sel:DWORD
	v_lshrrev_b32_e32 v7, 3, v10
	v_cmpx_gt_u32_e32 8, v10
; %bb.2039:                             ;   in Loop: Header=BB227_1059 Depth=1
	v_ffbh_u32_e32 v7, v8
	v_min_u32_e32 v7, 32, v7
	v_subrev_nc_u32_e32 v10, 28, v7
	v_sub_nc_u32_e32 v7, 29, v7
	v_lshlrev_b64 v[22:23], v10, v[8:9]
	v_and_b32_e32 v8, 7, v22
; %bb.2040:                             ;   in Loop: Header=BB227_1059 Depth=1
	s_or_b32 exec_lo, exec_lo, s13
	v_mov_b32_e32 v10, 24
	v_lshlrev_b32_e32 v8, 20, v8
	v_lshl_add_u32 v7, v7, 23, 0x3c000000
	v_mov_b32_e32 v22, v9
	v_lshlrev_b32_sdwa v6, v10, v6 dst_sel:DWORD dst_unused:UNUSED_PAD src0_sel:DWORD src1_sel:BYTE_3
	v_and_b32_e32 v6, 0x80000000, v6
	v_or3_b32 v23, v8, v6, v7
.LBB227_2041:                           ;   in Loop: Header=BB227_1059 Depth=1
	s_or_b32 exec_lo, exec_lo, s12
.LBB227_2042:                           ;   in Loop: Header=BB227_1059 Depth=1
	s_or_b32 exec_lo, exec_lo, s11
.LBB227_2043:                           ;   in Loop: Header=BB227_1059 Depth=1
	s_or_b32 exec_lo, exec_lo, s9
	v_or_b32_e32 v6, v21, v19
	v_or_b32_e32 v7, v20, v18
	;; [unrolled: 1-line block ×4, first 2 shown]
	v_mul_f32_e32 v97, v114, v6
	v_mul_f32_e32 v96, v87, v7
	;; [unrolled: 1-line block ×4, first 2 shown]
	s_and_saveexec_b32 s9, vcc_lo
	s_cbranch_execz .LBB227_2045
; %bb.2044:                             ;   in Loop: Header=BB227_1059 Depth=1
	buffer_load_dword v6, off, s[0:3], s32 offset:200 ; 4-byte Folded Reload
	s_waitcnt vmcnt(0)
	v_cmp_lt_i32_e64 s4, v43, v6
	v_cndmask_b32_e64 v96, 0, v96, s4
	v_cmp_lt_i32_e64 s4, v45, v6
	v_cndmask_b32_e64 v97, 0, v97, s4
	;; [unrolled: 2-line block ×4, first 2 shown]
.LBB227_2045:                           ;   in Loop: Header=BB227_1059 Depth=1
	s_or_b32 exec_lo, exec_lo, s9
	flat_load_dword v6, v[4:5] offset:1664
	v_mov_b32_e32 v20, 0
	v_mov_b32_e32 v18, 0
	;; [unrolled: 1-line block ×4, first 2 shown]
	s_waitcnt vmcnt(0) lgkmcnt(0)
	v_cmp_ne_u16_sdwa s4, v6, v9 src0_sel:BYTE_0 src1_sel:DWORD
	s_and_saveexec_b32 s9, s4
	s_cbranch_execz .LBB227_2053
; %bb.2046:                             ;   in Loop: Header=BB227_1059 Depth=1
	v_bfrev_b32_e32 v18, 1
	v_mov_b32_e32 v19, 0
	v_cmp_ne_u16_sdwa s4, v6, v99 src0_sel:BYTE_0 src1_sel:DWORD
	s_and_saveexec_b32 s11, s4
	s_cbranch_execz .LBB227_2052
; %bb.2047:                             ;   in Loop: Header=BB227_1059 Depth=1
	v_mov_b32_e32 v18, 0x7f800001
	v_and_b32_e32 v10, 0x7f, v6
	v_mov_b32_e32 v19, 0
	s_mov_b32 s12, exec_lo
	v_cmpx_ne_u32_e32 0x7f, v10
	s_cbranch_execz .LBB227_2051
; %bb.2048:                             ;   in Loop: Header=BB227_1059 Depth=1
	v_and_b32_e32 v8, 7, v6
	v_lshrrev_b32_e32 v7, 3, v10
	s_mov_b32 s13, exec_lo
	v_cmpx_gt_u32_e32 8, v10
; %bb.2049:                             ;   in Loop: Header=BB227_1059 Depth=1
	v_ffbh_u32_e32 v7, v8
	v_min_u32_e32 v7, 32, v7
	v_subrev_nc_u32_e32 v10, 28, v7
	v_sub_nc_u32_e32 v7, 29, v7
	v_lshlrev_b64 v[18:19], v10, v[8:9]
	v_and_b32_e32 v8, 7, v18
; %bb.2050:                             ;   in Loop: Header=BB227_1059 Depth=1
	s_or_b32 exec_lo, exec_lo, s13
	v_lshlrev_b32_e32 v10, 24, v6
	v_lshlrev_b32_e32 v8, 20, v8
	v_lshl_add_u32 v7, v7, 23, 0x3c000000
	v_and_b32_e32 v10, 0x80000000, v10
	v_or3_b32 v8, v8, v10, v7
	v_mov_b32_e32 v19, v9
	v_mov_b32_e32 v18, v8
.LBB227_2051:                           ;   in Loop: Header=BB227_1059 Depth=1
	s_or_b32 exec_lo, exec_lo, s12
.LBB227_2052:                           ;   in Loop: Header=BB227_1059 Depth=1
	s_or_b32 exec_lo, exec_lo, s11
.LBB227_2053:                           ;   in Loop: Header=BB227_1059 Depth=1
	s_or_b32 exec_lo, exec_lo, s9
	v_cmp_ne_u16_sdwa s4, v6, v9 src0_sel:BYTE_1 src1_sel:DWORD
	s_and_saveexec_b32 s9, s4
	s_cbranch_execz .LBB227_2061
; %bb.2054:                             ;   in Loop: Header=BB227_1059 Depth=1
	v_mov_b32_e32 v10, v9
	v_mov_b32_e32 v21, v11
	v_cmp_ne_u16_sdwa s4, v6, v99 src0_sel:BYTE_1 src1_sel:DWORD
	v_mov_b32_e32 v20, v10
	s_and_saveexec_b32 s11, s4
	s_cbranch_execz .LBB227_2060
; %bb.2055:                             ;   in Loop: Header=BB227_1059 Depth=1
	v_mov_b32_e32 v7, 0xffff
	v_mov_b32_e32 v12, v9
	;; [unrolled: 1-line block ×3, first 2 shown]
	s_mov_b32 s12, exec_lo
	v_and_b32_sdwa v7, v7, v6 dst_sel:DWORD dst_unused:UNUSED_PAD src0_sel:DWORD src1_sel:BYTE_1
	v_mov_b32_e32 v20, v12
	v_and_b32_e32 v10, 0x7f, v7
	v_cmpx_ne_u32_e32 0x7f, v10
	s_cbranch_execz .LBB227_2059
; %bb.2056:                             ;   in Loop: Header=BB227_1059 Depth=1
	v_and_b32_e32 v8, 7, v7
	v_lshrrev_b32_e32 v7, 3, v10
	s_mov_b32 s13, exec_lo
	v_cmpx_gt_u32_e32 8, v10
; %bb.2057:                             ;   in Loop: Header=BB227_1059 Depth=1
	v_ffbh_u32_e32 v7, v8
	v_min_u32_e32 v7, 32, v7
	v_subrev_nc_u32_e32 v10, 28, v7
	v_sub_nc_u32_e32 v7, 29, v7
	v_lshlrev_b64 v[20:21], v10, v[8:9]
	v_and_b32_e32 v8, 7, v20
; %bb.2058:                             ;   in Loop: Header=BB227_1059 Depth=1
	s_or_b32 exec_lo, exec_lo, s13
	v_lshlrev_b32_e32 v10, 16, v6
	v_lshlrev_b32_e32 v8, 20, v8
	v_lshl_add_u32 v7, v7, 23, 0x3c000000
	v_mov_b32_e32 v20, v9
	v_and_b32_e32 v10, 0x80000000, v10
	v_or3_b32 v21, v8, v10, v7
.LBB227_2059:                           ;   in Loop: Header=BB227_1059 Depth=1
	s_or_b32 exec_lo, exec_lo, s12
.LBB227_2060:                           ;   in Loop: Header=BB227_1059 Depth=1
	s_or_b32 exec_lo, exec_lo, s11
.LBB227_2061:                           ;   in Loop: Header=BB227_1059 Depth=1
	s_or_b32 exec_lo, exec_lo, s9
	v_mov_b32_e32 v22, 0
	v_mov_b32_e32 v24, 0
	v_and_b32_sdwa v7, v6, v101 dst_sel:DWORD dst_unused:UNUSED_PAD src0_sel:WORD_1 src1_sel:DWORD
	v_mov_b32_e32 v23, 0
	v_mov_b32_e32 v25, 0
	s_mov_b32 s9, exec_lo
	v_cmpx_ne_u16_e32 0, v7
	s_cbranch_execz .LBB227_2069
; %bb.2062:                             ;   in Loop: Header=BB227_1059 Depth=1
	v_bfrev_b32_e32 v24, 1
	v_mov_b32_e32 v25, 0
	s_mov_b32 s11, exec_lo
	v_cmpx_ne_u16_e32 0x80, v7
	s_cbranch_execz .LBB227_2068
; %bb.2063:                             ;   in Loop: Header=BB227_1059 Depth=1
	v_mov_b32_e32 v24, 0x7f800001
	v_bfe_u32 v10, v6, 16, 7
	v_mov_b32_e32 v25, 0
	s_mov_b32 s12, exec_lo
	v_cmpx_ne_u32_e32 0x7f, v10
	s_cbranch_execz .LBB227_2067
; %bb.2064:                             ;   in Loop: Header=BB227_1059 Depth=1
	v_mov_b32_e32 v7, 7
	s_mov_b32 s13, exec_lo
	v_and_b32_sdwa v8, v6, v7 dst_sel:DWORD dst_unused:UNUSED_PAD src0_sel:WORD_1 src1_sel:DWORD
	v_lshrrev_b32_e32 v7, 3, v10
	v_cmpx_gt_u32_e32 8, v10
; %bb.2065:                             ;   in Loop: Header=BB227_1059 Depth=1
	v_ffbh_u32_e32 v7, v8
	v_min_u32_e32 v7, 32, v7
	v_subrev_nc_u32_e32 v10, 28, v7
	v_sub_nc_u32_e32 v7, 29, v7
	v_lshlrev_b64 v[24:25], v10, v[8:9]
	v_and_b32_e32 v8, 7, v24
; %bb.2066:                             ;   in Loop: Header=BB227_1059 Depth=1
	s_or_b32 exec_lo, exec_lo, s13
	v_mov_b32_e32 v10, 24
	v_lshlrev_b32_e32 v8, 20, v8
	v_lshl_add_u32 v7, v7, 23, 0x3c000000
	v_lshlrev_b32_sdwa v10, v10, v6 dst_sel:DWORD dst_unused:UNUSED_PAD src0_sel:DWORD src1_sel:WORD_1
	v_and_b32_e32 v10, 0x80000000, v10
	v_or3_b32 v8, v8, v10, v7
	v_mov_b32_e32 v25, v9
	v_mov_b32_e32 v24, v8
.LBB227_2067:                           ;   in Loop: Header=BB227_1059 Depth=1
	s_or_b32 exec_lo, exec_lo, s12
.LBB227_2068:                           ;   in Loop: Header=BB227_1059 Depth=1
	s_or_b32 exec_lo, exec_lo, s11
.LBB227_2069:                           ;   in Loop: Header=BB227_1059 Depth=1
	s_or_b32 exec_lo, exec_lo, s9
	s_mov_b32 s9, exec_lo
	v_cmpx_lt_u32_e32 0xffffff, v6
	s_cbranch_execz .LBB227_2077
; %bb.2070:                             ;   in Loop: Header=BB227_1059 Depth=1
	v_mov_b32_e32 v10, v9
	v_mov_b32_e32 v23, v11
	v_cmp_ne_u32_sdwa s4, v6, v99 src0_sel:BYTE_3 src1_sel:DWORD
	v_mov_b32_e32 v22, v10
	s_and_saveexec_b32 s11, s4
	s_cbranch_execz .LBB227_2076
; %bb.2071:                             ;   in Loop: Header=BB227_1059 Depth=1
	v_mov_b32_e32 v12, v9
	v_mov_b32_e32 v23, v13
	v_bfe_u32 v10, v6, 24, 7
	s_mov_b32 s12, exec_lo
	v_mov_b32_e32 v22, v12
	v_cmpx_ne_u32_e32 0x7f, v10
	s_cbranch_execz .LBB227_2075
; %bb.2072:                             ;   in Loop: Header=BB227_1059 Depth=1
	v_mov_b32_e32 v7, 7
	s_mov_b32 s13, exec_lo
	v_and_b32_sdwa v8, v6, v7 dst_sel:DWORD dst_unused:UNUSED_PAD src0_sel:BYTE_3 src1_sel:DWORD
	v_lshrrev_b32_e32 v7, 3, v10
	v_cmpx_gt_u32_e32 8, v10
; %bb.2073:                             ;   in Loop: Header=BB227_1059 Depth=1
	v_ffbh_u32_e32 v7, v8
	v_min_u32_e32 v7, 32, v7
	v_subrev_nc_u32_e32 v10, 28, v7
	v_sub_nc_u32_e32 v7, 29, v7
	v_lshlrev_b64 v[22:23], v10, v[8:9]
	v_and_b32_e32 v8, 7, v22
; %bb.2074:                             ;   in Loop: Header=BB227_1059 Depth=1
	s_or_b32 exec_lo, exec_lo, s13
	v_mov_b32_e32 v10, 24
	v_lshlrev_b32_e32 v8, 20, v8
	v_lshl_add_u32 v7, v7, 23, 0x3c000000
	v_mov_b32_e32 v22, v9
	v_lshlrev_b32_sdwa v6, v10, v6 dst_sel:DWORD dst_unused:UNUSED_PAD src0_sel:DWORD src1_sel:BYTE_3
	v_and_b32_e32 v6, 0x80000000, v6
	v_or3_b32 v23, v8, v6, v7
.LBB227_2075:                           ;   in Loop: Header=BB227_1059 Depth=1
	s_or_b32 exec_lo, exec_lo, s12
.LBB227_2076:                           ;   in Loop: Header=BB227_1059 Depth=1
	s_or_b32 exec_lo, exec_lo, s11
.LBB227_2077:                           ;   in Loop: Header=BB227_1059 Depth=1
	s_or_b32 exec_lo, exec_lo, s9
	v_or_b32_e32 v6, v21, v19
	v_or_b32_e32 v7, v20, v18
	;; [unrolled: 1-line block ×4, first 2 shown]
	v_mul_f32_e32 v6, v114, v6
	v_mul_f32_e32 v98, v87, v7
	;; [unrolled: 1-line block ×4, first 2 shown]
	s_and_saveexec_b32 s9, vcc_lo
	s_cbranch_execz .LBB227_2079
; %bb.2078:                             ;   in Loop: Header=BB227_1059 Depth=1
	buffer_load_dword v7, off, s[0:3], s32 offset:200 ; 4-byte Folded Reload
	s_waitcnt vmcnt(0)
	v_cmp_lt_i32_e64 s4, v43, v7
	v_cndmask_b32_e64 v98, 0, v98, s4
	v_cmp_lt_i32_e64 s4, v45, v7
	v_cndmask_b32_e64 v6, 0, v6, s4
	;; [unrolled: 2-line block ×4, first 2 shown]
.LBB227_2079:                           ;   in Loop: Header=BB227_1059 Depth=1
	s_or_b32 exec_lo, exec_lo, s9
	flat_load_dword v7, v[4:5] offset:1792
	v_mov_b32_e32 v18, 0
	v_mov_b32_e32 v4, 0
	;; [unrolled: 1-line block ×4, first 2 shown]
	s_waitcnt vmcnt(0) lgkmcnt(0)
	v_cmp_ne_u16_sdwa s4, v7, v9 src0_sel:BYTE_0 src1_sel:DWORD
	s_and_saveexec_b32 s9, s4
	s_cbranch_execz .LBB227_2087
; %bb.2080:                             ;   in Loop: Header=BB227_1059 Depth=1
	v_bfrev_b32_e32 v4, 1
	v_mov_b32_e32 v5, 0
	v_cmp_ne_u16_sdwa s4, v7, v99 src0_sel:BYTE_0 src1_sel:DWORD
	s_and_saveexec_b32 s11, s4
	s_cbranch_execz .LBB227_2086
; %bb.2081:                             ;   in Loop: Header=BB227_1059 Depth=1
	v_mov_b32_e32 v4, 0x7f800001
	v_and_b32_e32 v10, 0x7f, v7
	v_mov_b32_e32 v5, 0
	s_mov_b32 s12, exec_lo
	v_cmpx_ne_u32_e32 0x7f, v10
	s_cbranch_execz .LBB227_2085
; %bb.2082:                             ;   in Loop: Header=BB227_1059 Depth=1
	v_and_b32_e32 v8, 7, v7
	v_lshrrev_b32_e32 v4, 3, v10
	s_mov_b32 s13, exec_lo
	v_cmpx_gt_u32_e32 8, v10
; %bb.2083:                             ;   in Loop: Header=BB227_1059 Depth=1
	v_ffbh_u32_e32 v4, v8
	v_min_u32_e32 v4, 32, v4
	v_subrev_nc_u32_e32 v5, 28, v4
	v_sub_nc_u32_e32 v4, 29, v4
	v_lshlrev_b64 v[20:21], v5, v[8:9]
	v_and_b32_e32 v8, 7, v20
; %bb.2084:                             ;   in Loop: Header=BB227_1059 Depth=1
	s_or_b32 exec_lo, exec_lo, s13
	v_lshlrev_b32_e32 v5, 24, v7
	v_lshlrev_b32_e32 v8, 20, v8
	v_lshl_add_u32 v4, v4, 23, 0x3c000000
	v_and_b32_e32 v5, 0x80000000, v5
	v_or3_b32 v8, v8, v5, v4
	v_mov_b32_e32 v4, v8
	v_mov_b32_e32 v5, v9
.LBB227_2085:                           ;   in Loop: Header=BB227_1059 Depth=1
	s_or_b32 exec_lo, exec_lo, s12
.LBB227_2086:                           ;   in Loop: Header=BB227_1059 Depth=1
	s_or_b32 exec_lo, exec_lo, s11
.LBB227_2087:                           ;   in Loop: Header=BB227_1059 Depth=1
	s_or_b32 exec_lo, exec_lo, s9
	v_cmp_ne_u16_sdwa s4, v7, v9 src0_sel:BYTE_1 src1_sel:DWORD
	s_and_saveexec_b32 s9, s4
	s_cbranch_execz .LBB227_2095
; %bb.2088:                             ;   in Loop: Header=BB227_1059 Depth=1
	v_mov_b32_e32 v10, v9
	v_mov_b32_e32 v19, v11
	v_cmp_ne_u16_sdwa s4, v7, v99 src0_sel:BYTE_1 src1_sel:DWORD
	v_mov_b32_e32 v18, v10
	s_and_saveexec_b32 s11, s4
	s_cbranch_execz .LBB227_2094
; %bb.2089:                             ;   in Loop: Header=BB227_1059 Depth=1
	v_mov_b32_e32 v8, 0xffff
	v_mov_b32_e32 v12, v9
	;; [unrolled: 1-line block ×3, first 2 shown]
	s_mov_b32 s12, exec_lo
	v_and_b32_sdwa v8, v8, v7 dst_sel:DWORD dst_unused:UNUSED_PAD src0_sel:DWORD src1_sel:BYTE_1
	v_mov_b32_e32 v18, v12
	v_and_b32_e32 v20, 0x7f, v8
	v_cmpx_ne_u32_e32 0x7f, v20
	s_cbranch_execz .LBB227_2093
; %bb.2090:                             ;   in Loop: Header=BB227_1059 Depth=1
	v_and_b32_e32 v8, 7, v8
	v_lshrrev_b32_e32 v10, 3, v20
	s_mov_b32 s13, exec_lo
	v_cmpx_gt_u32_e32 8, v20
; %bb.2091:                             ;   in Loop: Header=BB227_1059 Depth=1
	v_ffbh_u32_e32 v10, v8
	v_min_u32_e32 v10, 32, v10
	v_subrev_nc_u32_e32 v12, 28, v10
	v_sub_nc_u32_e32 v10, 29, v10
	v_lshlrev_b64 v[18:19], v12, v[8:9]
	v_and_b32_e32 v8, 7, v18
; %bb.2092:                             ;   in Loop: Header=BB227_1059 Depth=1
	s_or_b32 exec_lo, exec_lo, s13
	v_lshlrev_b32_e32 v12, 16, v7
	v_lshlrev_b32_e32 v8, 20, v8
	v_lshl_add_u32 v10, v10, 23, 0x3c000000
	v_mov_b32_e32 v18, v9
	v_and_b32_e32 v12, 0x80000000, v12
	v_or3_b32 v19, v8, v12, v10
.LBB227_2093:                           ;   in Loop: Header=BB227_1059 Depth=1
	s_or_b32 exec_lo, exec_lo, s12
.LBB227_2094:                           ;   in Loop: Header=BB227_1059 Depth=1
	s_or_b32 exec_lo, exec_lo, s11
.LBB227_2095:                           ;   in Loop: Header=BB227_1059 Depth=1
	s_or_b32 exec_lo, exec_lo, s9
	v_mov_b32_e32 v20, 0
	v_mov_b32_e32 v22, 0
	v_and_b32_sdwa v8, v7, v101 dst_sel:DWORD dst_unused:UNUSED_PAD src0_sel:WORD_1 src1_sel:DWORD
	v_mov_b32_e32 v21, 0
	v_mov_b32_e32 v23, 0
	s_mov_b32 s9, exec_lo
	v_cmpx_ne_u16_e32 0, v8
	s_cbranch_execz .LBB227_2103
; %bb.2096:                             ;   in Loop: Header=BB227_1059 Depth=1
	v_bfrev_b32_e32 v22, 1
	v_mov_b32_e32 v23, 0
	s_mov_b32 s11, exec_lo
	v_cmpx_ne_u16_e32 0x80, v8
	s_cbranch_execz .LBB227_2102
; %bb.2097:                             ;   in Loop: Header=BB227_1059 Depth=1
	v_mov_b32_e32 v22, 0x7f800001
	v_bfe_u32 v12, v7, 16, 7
	v_mov_b32_e32 v23, 0
	s_mov_b32 s12, exec_lo
	v_cmpx_ne_u32_e32 0x7f, v12
	s_cbranch_execz .LBB227_2101
; %bb.2098:                             ;   in Loop: Header=BB227_1059 Depth=1
	v_mov_b32_e32 v8, 7
	v_lshrrev_b32_e32 v10, 3, v12
	s_mov_b32 s13, exec_lo
	v_and_b32_sdwa v8, v7, v8 dst_sel:DWORD dst_unused:UNUSED_PAD src0_sel:WORD_1 src1_sel:DWORD
	v_cmpx_gt_u32_e32 8, v12
; %bb.2099:                             ;   in Loop: Header=BB227_1059 Depth=1
	v_ffbh_u32_e32 v10, v8
	v_min_u32_e32 v10, 32, v10
	v_subrev_nc_u32_e32 v12, 28, v10
	v_sub_nc_u32_e32 v10, 29, v10
	v_lshlrev_b64 v[22:23], v12, v[8:9]
	v_and_b32_e32 v8, 7, v22
; %bb.2100:                             ;   in Loop: Header=BB227_1059 Depth=1
	s_or_b32 exec_lo, exec_lo, s13
	v_mov_b32_e32 v12, 24
	v_lshlrev_b32_e32 v8, 20, v8
	v_lshl_add_u32 v10, v10, 23, 0x3c000000
	v_lshlrev_b32_sdwa v12, v12, v7 dst_sel:DWORD dst_unused:UNUSED_PAD src0_sel:DWORD src1_sel:WORD_1
	v_and_b32_e32 v12, 0x80000000, v12
	v_or3_b32 v8, v8, v12, v10
	v_mov_b32_e32 v23, v9
	v_mov_b32_e32 v22, v8
.LBB227_2101:                           ;   in Loop: Header=BB227_1059 Depth=1
	s_or_b32 exec_lo, exec_lo, s12
.LBB227_2102:                           ;   in Loop: Header=BB227_1059 Depth=1
	s_or_b32 exec_lo, exec_lo, s11
.LBB227_2103:                           ;   in Loop: Header=BB227_1059 Depth=1
	s_or_b32 exec_lo, exec_lo, s9
	s_mov_b32 s9, exec_lo
	v_cmpx_lt_u32_e32 0xffffff, v7
	s_cbranch_execz .LBB227_2111
; %bb.2104:                             ;   in Loop: Header=BB227_1059 Depth=1
	v_mov_b32_e32 v10, v9
	v_mov_b32_e32 v21, v11
	v_cmp_ne_u32_sdwa s4, v7, v99 src0_sel:BYTE_3 src1_sel:DWORD
	v_mov_b32_e32 v20, v10
	s_and_saveexec_b32 s11, s4
	s_cbranch_execz .LBB227_2110
; %bb.2105:                             ;   in Loop: Header=BB227_1059 Depth=1
	v_mov_b32_e32 v12, v9
	v_mov_b32_e32 v21, v13
	v_bfe_u32 v26, v7, 24, 7
	s_mov_b32 s12, exec_lo
	v_mov_b32_e32 v20, v12
	v_cmpx_ne_u32_e32 0x7f, v26
	s_cbranch_execz .LBB227_2109
; %bb.2106:                             ;   in Loop: Header=BB227_1059 Depth=1
	v_mov_b32_e32 v8, 7
	v_lshrrev_b32_e32 v10, 3, v26
	s_mov_b32 s13, exec_lo
	v_and_b32_sdwa v8, v7, v8 dst_sel:DWORD dst_unused:UNUSED_PAD src0_sel:BYTE_3 src1_sel:DWORD
	v_cmpx_gt_u32_e32 8, v26
; %bb.2107:                             ;   in Loop: Header=BB227_1059 Depth=1
	v_ffbh_u32_e32 v10, v8
	v_min_u32_e32 v10, 32, v10
	v_subrev_nc_u32_e32 v12, 28, v10
	v_sub_nc_u32_e32 v10, 29, v10
	v_lshlrev_b64 v[20:21], v12, v[8:9]
	v_and_b32_e32 v8, 7, v20
; %bb.2108:                             ;   in Loop: Header=BB227_1059 Depth=1
	s_or_b32 exec_lo, exec_lo, s13
	v_mov_b32_e32 v12, 24
	v_lshlrev_b32_e32 v8, 20, v8
	v_lshl_add_u32 v10, v10, 23, 0x3c000000
	v_mov_b32_e32 v20, v9
	v_lshlrev_b32_sdwa v7, v12, v7 dst_sel:DWORD dst_unused:UNUSED_PAD src0_sel:DWORD src1_sel:BYTE_3
	v_and_b32_e32 v7, 0x80000000, v7
	v_or3_b32 v21, v8, v7, v10
.LBB227_2109:                           ;   in Loop: Header=BB227_1059 Depth=1
	s_or_b32 exec_lo, exec_lo, s12
.LBB227_2110:                           ;   in Loop: Header=BB227_1059 Depth=1
	s_or_b32 exec_lo, exec_lo, s11
.LBB227_2111:                           ;   in Loop: Header=BB227_1059 Depth=1
	s_or_b32 exec_lo, exec_lo, s9
	v_or_b32_e32 v5, v19, v5
	v_or_b32_e32 v4, v18, v4
	;; [unrolled: 1-line block ×4, first 2 shown]
	v_mul_f32_e32 v26, v114, v5
	v_mul_f32_e32 v7, v87, v4
	;; [unrolled: 1-line block ×4, first 2 shown]
	s_and_saveexec_b32 s9, vcc_lo
	s_cbranch_execz .LBB227_2113
; %bb.2112:                             ;   in Loop: Header=BB227_1059 Depth=1
	buffer_load_dword v4, off, s[0:3], s32 offset:200 ; 4-byte Folded Reload
	s_waitcnt vmcnt(0)
	v_cmp_lt_i32_e64 s4, v43, v4
	v_cndmask_b32_e64 v7, 0, v7, s4
	v_cmp_lt_i32_e64 s4, v45, v4
	v_cndmask_b32_e64 v26, 0, v26, s4
	;; [unrolled: 2-line block ×4, first 2 shown]
.LBB227_2113:                           ;   in Loop: Header=BB227_1059 Depth=1
	s_or_b32 exec_lo, exec_lo, s9
	buffer_load_dword v4, off, s[0:3], s32 offset:684 ; 4-byte Folded Reload
	s_waitcnt vmcnt(0)
	v_add_co_u32 v4, s4, v16, v4
	v_add_co_ci_u32_e64 v5, null, 0, v17, s4
	v_mov_b32_e32 v16, 0
	v_mov_b32_e32 v17, 0
	flat_load_dword v29, v[4:5]
	v_mov_b32_e32 v4, 0
	v_mov_b32_e32 v5, 0
	s_waitcnt vmcnt(0) lgkmcnt(0)
	v_cmp_ne_u16_sdwa s4, v29, v9 src0_sel:BYTE_0 src1_sel:DWORD
	s_and_saveexec_b32 s9, s4
	s_cbranch_execz .LBB227_2121
; %bb.2114:                             ;   in Loop: Header=BB227_1059 Depth=1
	v_bfrev_b32_e32 v4, 1
	v_mov_b32_e32 v5, 0
	v_cmp_ne_u16_sdwa s4, v29, v99 src0_sel:BYTE_0 src1_sel:DWORD
	s_and_saveexec_b32 s11, s4
	s_cbranch_execz .LBB227_2120
; %bb.2115:                             ;   in Loop: Header=BB227_1059 Depth=1
	v_mov_b32_e32 v4, 0x7f800001
	v_and_b32_e32 v10, 0x7f, v29
	v_mov_b32_e32 v5, 0
	s_mov_b32 s12, exec_lo
	v_cmpx_ne_u32_e32 0x7f, v10
	s_cbranch_execz .LBB227_2119
; %bb.2116:                             ;   in Loop: Header=BB227_1059 Depth=1
	v_and_b32_e32 v8, 7, v29
	v_lshrrev_b32_e32 v4, 3, v10
	s_mov_b32 s13, exec_lo
	v_cmpx_gt_u32_e32 8, v10
; %bb.2117:                             ;   in Loop: Header=BB227_1059 Depth=1
	v_ffbh_u32_e32 v4, v8
	v_min_u32_e32 v4, 32, v4
	v_subrev_nc_u32_e32 v5, 28, v4
	v_sub_nc_u32_e32 v4, 29, v4
	v_lshlrev_b64 v[18:19], v5, v[8:9]
	v_and_b32_e32 v8, 7, v18
; %bb.2118:                             ;   in Loop: Header=BB227_1059 Depth=1
	s_or_b32 exec_lo, exec_lo, s13
	v_lshlrev_b32_e32 v5, 24, v29
	v_lshlrev_b32_e32 v8, 20, v8
	v_lshl_add_u32 v4, v4, 23, 0x3c000000
	v_and_b32_e32 v5, 0x80000000, v5
	v_or3_b32 v8, v8, v5, v4
	v_mov_b32_e32 v4, v8
	v_mov_b32_e32 v5, v9
.LBB227_2119:                           ;   in Loop: Header=BB227_1059 Depth=1
	s_or_b32 exec_lo, exec_lo, s12
.LBB227_2120:                           ;   in Loop: Header=BB227_1059 Depth=1
	s_or_b32 exec_lo, exec_lo, s11
.LBB227_2121:                           ;   in Loop: Header=BB227_1059 Depth=1
	s_or_b32 exec_lo, exec_lo, s9
	v_cmp_ne_u16_sdwa s4, v29, v9 src0_sel:BYTE_1 src1_sel:DWORD
	s_and_saveexec_b32 s9, s4
	s_cbranch_execz .LBB227_2129
; %bb.2122:                             ;   in Loop: Header=BB227_1059 Depth=1
	v_mov_b32_e32 v10, v9
	v_mov_b32_e32 v17, v11
	v_cmp_ne_u16_sdwa s4, v29, v99 src0_sel:BYTE_1 src1_sel:DWORD
	v_mov_b32_e32 v16, v10
	s_and_saveexec_b32 s11, s4
	s_cbranch_execz .LBB227_2128
; %bb.2123:                             ;   in Loop: Header=BB227_1059 Depth=1
	v_mov_b32_e32 v8, 0xffff
	v_mov_b32_e32 v12, v9
	;; [unrolled: 1-line block ×3, first 2 shown]
	s_mov_b32 s12, exec_lo
	v_and_b32_sdwa v8, v8, v29 dst_sel:DWORD dst_unused:UNUSED_PAD src0_sel:DWORD src1_sel:BYTE_1
	v_mov_b32_e32 v16, v12
	v_and_b32_e32 v18, 0x7f, v8
	v_cmpx_ne_u32_e32 0x7f, v18
	s_cbranch_execz .LBB227_2127
; %bb.2124:                             ;   in Loop: Header=BB227_1059 Depth=1
	v_and_b32_e32 v8, 7, v8
	v_lshrrev_b32_e32 v10, 3, v18
	s_mov_b32 s13, exec_lo
	v_cmpx_gt_u32_e32 8, v18
; %bb.2125:                             ;   in Loop: Header=BB227_1059 Depth=1
	v_ffbh_u32_e32 v10, v8
	v_min_u32_e32 v10, 32, v10
	v_subrev_nc_u32_e32 v12, 28, v10
	v_sub_nc_u32_e32 v10, 29, v10
	v_lshlrev_b64 v[16:17], v12, v[8:9]
	v_and_b32_e32 v8, 7, v16
; %bb.2126:                             ;   in Loop: Header=BB227_1059 Depth=1
	s_or_b32 exec_lo, exec_lo, s13
	v_lshlrev_b32_e32 v12, 16, v29
	v_lshlrev_b32_e32 v8, 20, v8
	v_lshl_add_u32 v10, v10, 23, 0x3c000000
	v_mov_b32_e32 v16, v9
	v_and_b32_e32 v12, 0x80000000, v12
	v_or3_b32 v17, v8, v12, v10
.LBB227_2127:                           ;   in Loop: Header=BB227_1059 Depth=1
	s_or_b32 exec_lo, exec_lo, s12
.LBB227_2128:                           ;   in Loop: Header=BB227_1059 Depth=1
	s_or_b32 exec_lo, exec_lo, s11
.LBB227_2129:                           ;   in Loop: Header=BB227_1059 Depth=1
	s_or_b32 exec_lo, exec_lo, s9
	v_mov_b32_e32 v18, 0
	v_mov_b32_e32 v20, 0
	v_and_b32_sdwa v8, v29, v101 dst_sel:DWORD dst_unused:UNUSED_PAD src0_sel:WORD_1 src1_sel:DWORD
	v_mov_b32_e32 v19, 0
	v_mov_b32_e32 v21, 0
	s_mov_b32 s9, exec_lo
	v_cmpx_ne_u16_e32 0, v8
	s_cbranch_execz .LBB227_2137
; %bb.2130:                             ;   in Loop: Header=BB227_1059 Depth=1
	v_bfrev_b32_e32 v20, 1
	v_mov_b32_e32 v21, 0
	s_mov_b32 s11, exec_lo
	v_cmpx_ne_u16_e32 0x80, v8
	s_cbranch_execz .LBB227_2136
; %bb.2131:                             ;   in Loop: Header=BB227_1059 Depth=1
	v_mov_b32_e32 v20, 0x7f800001
	v_bfe_u32 v12, v29, 16, 7
	v_mov_b32_e32 v21, 0
	s_mov_b32 s12, exec_lo
	v_cmpx_ne_u32_e32 0x7f, v12
	s_cbranch_execz .LBB227_2135
; %bb.2132:                             ;   in Loop: Header=BB227_1059 Depth=1
	v_mov_b32_e32 v8, 7
	v_lshrrev_b32_e32 v10, 3, v12
	s_mov_b32 s13, exec_lo
	v_and_b32_sdwa v8, v29, v8 dst_sel:DWORD dst_unused:UNUSED_PAD src0_sel:WORD_1 src1_sel:DWORD
	v_cmpx_gt_u32_e32 8, v12
; %bb.2133:                             ;   in Loop: Header=BB227_1059 Depth=1
	v_ffbh_u32_e32 v10, v8
	v_min_u32_e32 v10, 32, v10
	v_subrev_nc_u32_e32 v12, 28, v10
	v_sub_nc_u32_e32 v10, 29, v10
	v_lshlrev_b64 v[20:21], v12, v[8:9]
	v_and_b32_e32 v8, 7, v20
; %bb.2134:                             ;   in Loop: Header=BB227_1059 Depth=1
	s_or_b32 exec_lo, exec_lo, s13
	v_mov_b32_e32 v12, 24
	v_lshlrev_b32_e32 v8, 20, v8
	v_lshl_add_u32 v10, v10, 23, 0x3c000000
	v_lshlrev_b32_sdwa v12, v12, v29 dst_sel:DWORD dst_unused:UNUSED_PAD src0_sel:DWORD src1_sel:WORD_1
	v_and_b32_e32 v12, 0x80000000, v12
	v_or3_b32 v8, v8, v12, v10
	v_mov_b32_e32 v21, v9
	v_mov_b32_e32 v20, v8
.LBB227_2135:                           ;   in Loop: Header=BB227_1059 Depth=1
	s_or_b32 exec_lo, exec_lo, s12
.LBB227_2136:                           ;   in Loop: Header=BB227_1059 Depth=1
	s_or_b32 exec_lo, exec_lo, s11
.LBB227_2137:                           ;   in Loop: Header=BB227_1059 Depth=1
	s_or_b32 exec_lo, exec_lo, s9
	s_mov_b32 s9, exec_lo
	v_cmpx_lt_u32_e32 0xffffff, v29
	s_cbranch_execz .LBB227_2145
; %bb.2138:                             ;   in Loop: Header=BB227_1059 Depth=1
	v_mov_b32_e32 v10, v9
	v_mov_b32_e32 v19, v11
	v_cmp_ne_u32_sdwa s4, v29, v99 src0_sel:BYTE_3 src1_sel:DWORD
	v_mov_b32_e32 v18, v10
	s_and_saveexec_b32 s11, s4
	s_cbranch_execz .LBB227_2144
; %bb.2139:                             ;   in Loop: Header=BB227_1059 Depth=1
	v_mov_b32_e32 v12, v9
	v_mov_b32_e32 v19, v13
	v_bfe_u32 v115, v29, 24, 7
	s_mov_b32 s12, exec_lo
	v_mov_b32_e32 v18, v12
	v_cmpx_ne_u32_e32 0x7f, v115
	s_cbranch_execz .LBB227_2143
; %bb.2140:                             ;   in Loop: Header=BB227_1059 Depth=1
	v_mov_b32_e32 v8, 7
	v_lshrrev_b32_e32 v10, 3, v115
	s_mov_b32 s13, exec_lo
	v_and_b32_sdwa v8, v29, v8 dst_sel:DWORD dst_unused:UNUSED_PAD src0_sel:BYTE_3 src1_sel:DWORD
	v_cmpx_gt_u32_e32 8, v115
; %bb.2141:                             ;   in Loop: Header=BB227_1059 Depth=1
	v_ffbh_u32_e32 v10, v8
	v_min_u32_e32 v10, 32, v10
	v_subrev_nc_u32_e32 v12, 28, v10
	v_sub_nc_u32_e32 v10, 29, v10
	v_lshlrev_b64 v[18:19], v12, v[8:9]
	v_and_b32_e32 v8, 7, v18
; %bb.2142:                             ;   in Loop: Header=BB227_1059 Depth=1
	s_or_b32 exec_lo, exec_lo, s13
	v_mov_b32_e32 v12, 24
	v_lshlrev_b32_e32 v8, 20, v8
	v_lshl_add_u32 v10, v10, 23, 0x3c000000
	v_mov_b32_e32 v18, v9
	v_lshlrev_b32_sdwa v12, v12, v29 dst_sel:DWORD dst_unused:UNUSED_PAD src0_sel:DWORD src1_sel:BYTE_3
	v_and_b32_e32 v12, 0x80000000, v12
	v_or3_b32 v19, v8, v12, v10
.LBB227_2143:                           ;   in Loop: Header=BB227_1059 Depth=1
	s_or_b32 exec_lo, exec_lo, s12
.LBB227_2144:                           ;   in Loop: Header=BB227_1059 Depth=1
	s_or_b32 exec_lo, exec_lo, s11
.LBB227_2145:                           ;   in Loop: Header=BB227_1059 Depth=1
	s_or_b32 exec_lo, exec_lo, s9
	v_or_b32_e32 v5, v17, v5
	v_or_b32_e32 v4, v16, v4
	;; [unrolled: 1-line block ×4, first 2 shown]
	v_mul_f32_e32 v10, v114, v5
	v_mul_f32_e32 v8, v87, v4
	v_mul_f32_e32 v5, v87, v12
	v_mul_f32_e32 v4, v114, v16
	s_and_saveexec_b32 s4, vcc_lo
	s_cbranch_execz .LBB227_1058
; %bb.2146:                             ;   in Loop: Header=BB227_1059 Depth=1
	buffer_load_dword v12, off, s[0:3], s32 offset:200 ; 4-byte Folded Reload
	s_waitcnt vmcnt(0)
	v_cmp_lt_i32_e32 vcc_lo, v43, v12
	v_cndmask_b32_e32 v8, 0, v8, vcc_lo
	v_cmp_lt_i32_e32 vcc_lo, v45, v12
	v_cndmask_b32_e32 v10, 0, v10, vcc_lo
	;; [unrolled: 2-line block ×4, first 2 shown]
	s_branch .LBB227_1058
.LBB227_2147:
	s_or_b32 exec_lo, exec_lo, s8
	s_clause 0x3
	buffer_load_dword v101, off, s[0:3], s32 offset:708
	buffer_load_dword v97, off, s[0:3], s32 offset:692
	;; [unrolled: 1-line block ×4, first 2 shown]
	v_mov_b32_e32 v0, s16
	v_mov_b32_e32 v1, s17
.LBB227_2148:
	s_or_b32 exec_lo, exec_lo, s7
	v_lshlrev_b64 v[0:1], 2, v[0:1]
	s_getpc_b64 s[8:9]
	s_add_u32 s8, s8, llvm.amdgcn.dynlds.offset.table@rel32@lo+4
	s_addc_u32 s9, s9, llvm.amdgcn.dynlds.offset.table@rel32@hi+12
	s_waitcnt vmcnt(0) lgkmcnt(0)
	s_waitcnt_vscnt null, 0x0
	s_barrier
	buffer_gl0_inv
	ds_bpermute_b32 v2, v96, v84
	v_add_co_u32 v0, vcc_lo, s8, v0
	v_add_co_ci_u32_e64 v1, null, s9, v1, vcc_lo
	ds_bpermute_b32 v3, v96, v83
	ds_bpermute_b32 v4, v96, v82
	;; [unrolled: 1-line block ×3, first 2 shown]
	global_load_dword v87, v[0:1], off
	ds_bpermute_b32 v0, v96, v86
	ds_bpermute_b32 v1, v96, v85
	;; [unrolled: 1-line block ×28, first 2 shown]
	v_lshrrev_b32_e32 v96, 2, v97
	v_and_b32_e32 v99, 28, v97
	s_clause 0x1
	buffer_load_dword v97, off, s[0:3], s32 offset:1416
	buffer_load_dword v100, off, s[0:3], s32 offset:1420
	s_waitcnt lgkmcnt(27)
	v_add_f32_e32 v0, v86, v0
	s_waitcnt lgkmcnt(26)
	v_add_f32_e32 v1, v85, v1
	v_add_f32_e32 v2, v84, v2
	;; [unrolled: 1-line block ×5, first 2 shown]
	s_waitcnt lgkmcnt(25)
	v_add_f32_e32 v6, v80, v6
	s_waitcnt lgkmcnt(24)
	v_add_f32_e32 v7, v71, v7
	;; [unrolled: 2-line block ×26, first 2 shown]
	ds_bpermute_b32 v32, v101, v0
	ds_bpermute_b32 v33, v101, v1
	;; [unrolled: 1-line block ×32, first 2 shown]
	s_waitcnt lgkmcnt(31)
	v_add_f32_e32 v0, v0, v32
	s_waitcnt lgkmcnt(30)
	v_add_f32_e32 v1, v1, v33
	;; [unrolled: 2-line block ×32, first 2 shown]
	s_mov_b32 s4, exec_lo
	s_waitcnt vmcnt(2)
	v_add_nc_u32_e32 v33, v87, v99
	s_waitcnt vmcnt(1)
	v_lshlrev_b32_e32 v97, 10, v97
	s_waitcnt vmcnt(0)
	v_and_b32_e32 v100, 0x3c3, v100
	v_cmpx_eq_u32_e32 64, v100
	s_cbranch_execz .LBB227_2150
; %bb.2149:
	v_add_nc_u32_e32 v32, v33, v97
	v_add_nc_u32_e32 v34, 0xfffff800, v32
	;; [unrolled: 1-line block ×8, first 2 shown]
	ds_write_b32 v34, v0
	ds_write_b32 v35, v1
	;; [unrolled: 1-line block ×7, first 2 shown]
	v_add_nc_u32_e32 v34, 0xfffff8e0, v32
	v_add_nc_u32_e32 v35, 0xfffff900, v32
	v_add_nc_u32_e32 v36, 0xfffff920, v32
	v_add_nc_u32_e32 v37, 0xfffff940, v32
	v_add_nc_u32_e32 v38, 0xfffff960, v32
	ds_write_b32 v34, v7
	ds_write_b32 v35, v8
	ds_write_b32 v36, v9
	ds_write_b32 v37, v10
	ds_write_b32 v38, v11
	v_add_nc_u32_e32 v34, 0xfffff980, v32
	v_add_nc_u32_e32 v35, 0xfffff9a0, v32
	v_add_nc_u32_e32 v36, 0xfffff9c0, v32
	v_add_nc_u32_e32 v37, 0xfffff9e0, v32
	v_add_nc_u32_e32 v38, 0xfffffa00, v32
	ds_write_b32 v34, v12
	ds_write_b32 v35, v13
	ds_write_b32 v36, v14
	ds_write_b32 v37, v15
	ds_write_b32 v38, v16
	;; [unrolled: 10-line block ×5, first 2 shown]
.LBB227_2150:
	s_or_b32 exec_lo, exec_lo, s4
	buffer_load_dword v35, off, s[0:3], s32 offset:1420 ; 4-byte Folded Reload
	v_lshlrev_b32_e32 v32, 2, v96
	s_mov_b32 s7, exec_lo
	v_cmp_eq_u32_e32 vcc_lo, 0, v102
	s_waitcnt vmcnt(0) lgkmcnt(0)
	s_barrier
	v_add3_u32 v32, v87, v97, v32
	buffer_gl0_inv
	v_cmpx_gt_u32_e32 64, v35
	s_cbranch_execz .LBB227_2185
; %bb.2151:
	s_and_saveexec_b32 s4, vcc_lo
	s_cbranch_execnz .LBB227_2225
; %bb.2152:
	s_or_b32 exec_lo, exec_lo, s4
	s_and_saveexec_b32 s4, vcc_lo
	s_cbranch_execnz .LBB227_2226
.LBB227_2153:
	s_or_b32 exec_lo, exec_lo, s4
	s_and_saveexec_b32 s4, vcc_lo
	s_cbranch_execnz .LBB227_2227
.LBB227_2154:
	s_or_b32 exec_lo, exec_lo, s4
	s_and_saveexec_b32 s4, vcc_lo
	s_cbranch_execnz .LBB227_2228
.LBB227_2155:
	s_or_b32 exec_lo, exec_lo, s4
	s_and_saveexec_b32 s4, vcc_lo
	s_cbranch_execnz .LBB227_2229
.LBB227_2156:
	s_or_b32 exec_lo, exec_lo, s4
	s_and_saveexec_b32 s4, vcc_lo
	s_cbranch_execnz .LBB227_2230
.LBB227_2157:
	s_or_b32 exec_lo, exec_lo, s4
	s_and_saveexec_b32 s4, vcc_lo
	s_cbranch_execnz .LBB227_2231
.LBB227_2158:
	s_or_b32 exec_lo, exec_lo, s4
	s_and_saveexec_b32 s4, vcc_lo
	s_cbranch_execnz .LBB227_2232
.LBB227_2159:
	s_or_b32 exec_lo, exec_lo, s4
	s_and_saveexec_b32 s4, vcc_lo
	s_cbranch_execnz .LBB227_2233
.LBB227_2160:
	s_or_b32 exec_lo, exec_lo, s4
	s_and_saveexec_b32 s4, vcc_lo
	s_cbranch_execnz .LBB227_2234
.LBB227_2161:
	s_or_b32 exec_lo, exec_lo, s4
	s_and_saveexec_b32 s4, vcc_lo
	s_cbranch_execnz .LBB227_2235
.LBB227_2162:
	s_or_b32 exec_lo, exec_lo, s4
	s_and_saveexec_b32 s4, vcc_lo
	s_cbranch_execnz .LBB227_2236
.LBB227_2163:
	s_or_b32 exec_lo, exec_lo, s4
	s_and_saveexec_b32 s4, vcc_lo
	s_cbranch_execnz .LBB227_2237
.LBB227_2164:
	s_or_b32 exec_lo, exec_lo, s4
	s_and_saveexec_b32 s4, vcc_lo
	s_cbranch_execnz .LBB227_2238
.LBB227_2165:
	s_or_b32 exec_lo, exec_lo, s4
	s_and_saveexec_b32 s4, vcc_lo
	s_cbranch_execnz .LBB227_2239
.LBB227_2166:
	s_or_b32 exec_lo, exec_lo, s4
	s_and_saveexec_b32 s4, vcc_lo
	s_cbranch_execnz .LBB227_2240
.LBB227_2167:
	s_or_b32 exec_lo, exec_lo, s4
	s_and_saveexec_b32 s4, vcc_lo
	s_cbranch_execnz .LBB227_2241
.LBB227_2168:
	s_or_b32 exec_lo, exec_lo, s4
	s_and_saveexec_b32 s4, vcc_lo
	s_cbranch_execnz .LBB227_2242
.LBB227_2169:
	s_or_b32 exec_lo, exec_lo, s4
	s_and_saveexec_b32 s4, vcc_lo
	s_cbranch_execnz .LBB227_2243
.LBB227_2170:
	s_or_b32 exec_lo, exec_lo, s4
	s_and_saveexec_b32 s4, vcc_lo
	s_cbranch_execnz .LBB227_2244
.LBB227_2171:
	s_or_b32 exec_lo, exec_lo, s4
	s_and_saveexec_b32 s4, vcc_lo
	s_cbranch_execnz .LBB227_2245
.LBB227_2172:
	s_or_b32 exec_lo, exec_lo, s4
	s_and_saveexec_b32 s4, vcc_lo
	s_cbranch_execnz .LBB227_2246
.LBB227_2173:
	s_or_b32 exec_lo, exec_lo, s4
	s_and_saveexec_b32 s4, vcc_lo
	s_cbranch_execnz .LBB227_2247
.LBB227_2174:
	s_or_b32 exec_lo, exec_lo, s4
	s_and_saveexec_b32 s4, vcc_lo
	s_cbranch_execnz .LBB227_2248
.LBB227_2175:
	s_or_b32 exec_lo, exec_lo, s4
	s_and_saveexec_b32 s4, vcc_lo
	s_cbranch_execnz .LBB227_2249
.LBB227_2176:
	s_or_b32 exec_lo, exec_lo, s4
	s_and_saveexec_b32 s4, vcc_lo
	s_cbranch_execnz .LBB227_2250
.LBB227_2177:
	s_or_b32 exec_lo, exec_lo, s4
	s_and_saveexec_b32 s4, vcc_lo
	s_cbranch_execnz .LBB227_2251
.LBB227_2178:
	s_or_b32 exec_lo, exec_lo, s4
	s_and_saveexec_b32 s4, vcc_lo
	s_cbranch_execnz .LBB227_2252
.LBB227_2179:
	s_or_b32 exec_lo, exec_lo, s4
	s_and_saveexec_b32 s4, vcc_lo
	s_cbranch_execnz .LBB227_2253
.LBB227_2180:
	s_or_b32 exec_lo, exec_lo, s4
	s_and_saveexec_b32 s4, vcc_lo
	s_cbranch_execnz .LBB227_2254
.LBB227_2181:
	s_or_b32 exec_lo, exec_lo, s4
	s_and_saveexec_b32 s4, vcc_lo
	s_cbranch_execnz .LBB227_2255
.LBB227_2182:
	s_or_b32 exec_lo, exec_lo, s4
	s_and_saveexec_b32 s4, vcc_lo
	s_cbranch_execz .LBB227_2184
.LBB227_2183:
	ds_read_b32 v34, v32 offset:992
	s_waitcnt lgkmcnt(0)
	v_add_f32_e32 v31, v34, v31
.LBB227_2184:
	s_or_b32 exec_lo, exec_lo, s4
.LBB227_2185:
	s_or_b32 exec_lo, exec_lo, s7
	v_and_b32_e32 v34, 0x3e3, v35
	s_mov_b32 s7, exec_lo
	s_barrier
	buffer_gl0_inv
	v_cmpx_eq_u32_e32 32, v34
	s_cbranch_execz .LBB227_2187
; %bb.2186:
	ds_write2_b32 v33, v0, v1 offset1:8
	ds_write2_b32 v33, v2, v3 offset0:16 offset1:24
	ds_write2_b32 v33, v4, v5 offset0:32 offset1:40
	;; [unrolled: 1-line block ×15, first 2 shown]
.LBB227_2187:
	s_or_b32 exec_lo, exec_lo, s7
	s_mov_b32 s7, exec_lo
	s_waitcnt lgkmcnt(0)
	s_barrier
	buffer_gl0_inv
	v_cmpx_gt_u32_e32 32, v35
	s_cbranch_execz .LBB227_2222
; %bb.2188:
	s_and_saveexec_b32 s4, vcc_lo
	s_cbranch_execnz .LBB227_2256
; %bb.2189:
	s_or_b32 exec_lo, exec_lo, s4
	s_and_saveexec_b32 s4, vcc_lo
	s_cbranch_execnz .LBB227_2257
.LBB227_2190:
	s_or_b32 exec_lo, exec_lo, s4
	s_and_saveexec_b32 s4, vcc_lo
	s_cbranch_execnz .LBB227_2258
.LBB227_2191:
	s_or_b32 exec_lo, exec_lo, s4
	s_and_saveexec_b32 s4, vcc_lo
	s_cbranch_execnz .LBB227_2259
.LBB227_2192:
	s_or_b32 exec_lo, exec_lo, s4
	s_and_saveexec_b32 s4, vcc_lo
	s_cbranch_execnz .LBB227_2260
.LBB227_2193:
	s_or_b32 exec_lo, exec_lo, s4
	s_and_saveexec_b32 s4, vcc_lo
	s_cbranch_execnz .LBB227_2261
.LBB227_2194:
	s_or_b32 exec_lo, exec_lo, s4
	s_and_saveexec_b32 s4, vcc_lo
	s_cbranch_execnz .LBB227_2262
.LBB227_2195:
	s_or_b32 exec_lo, exec_lo, s4
	s_and_saveexec_b32 s4, vcc_lo
	s_cbranch_execnz .LBB227_2263
.LBB227_2196:
	s_or_b32 exec_lo, exec_lo, s4
	s_and_saveexec_b32 s4, vcc_lo
	s_cbranch_execnz .LBB227_2264
.LBB227_2197:
	s_or_b32 exec_lo, exec_lo, s4
	s_and_saveexec_b32 s4, vcc_lo
	s_cbranch_execnz .LBB227_2265
.LBB227_2198:
	s_or_b32 exec_lo, exec_lo, s4
	s_and_saveexec_b32 s4, vcc_lo
	s_cbranch_execnz .LBB227_2266
.LBB227_2199:
	s_or_b32 exec_lo, exec_lo, s4
	s_and_saveexec_b32 s4, vcc_lo
	s_cbranch_execnz .LBB227_2267
.LBB227_2200:
	s_or_b32 exec_lo, exec_lo, s4
	s_and_saveexec_b32 s4, vcc_lo
	s_cbranch_execnz .LBB227_2268
.LBB227_2201:
	s_or_b32 exec_lo, exec_lo, s4
	s_and_saveexec_b32 s4, vcc_lo
	s_cbranch_execnz .LBB227_2269
.LBB227_2202:
	s_or_b32 exec_lo, exec_lo, s4
	s_and_saveexec_b32 s4, vcc_lo
	s_cbranch_execnz .LBB227_2270
.LBB227_2203:
	s_or_b32 exec_lo, exec_lo, s4
	s_and_saveexec_b32 s4, vcc_lo
	s_cbranch_execnz .LBB227_2271
.LBB227_2204:
	s_or_b32 exec_lo, exec_lo, s4
	s_and_saveexec_b32 s4, vcc_lo
	s_cbranch_execnz .LBB227_2272
.LBB227_2205:
	s_or_b32 exec_lo, exec_lo, s4
	s_and_saveexec_b32 s4, vcc_lo
	s_cbranch_execnz .LBB227_2273
.LBB227_2206:
	s_or_b32 exec_lo, exec_lo, s4
	s_and_saveexec_b32 s4, vcc_lo
	s_cbranch_execnz .LBB227_2274
.LBB227_2207:
	s_or_b32 exec_lo, exec_lo, s4
	s_and_saveexec_b32 s4, vcc_lo
	s_cbranch_execnz .LBB227_2275
.LBB227_2208:
	s_or_b32 exec_lo, exec_lo, s4
	s_and_saveexec_b32 s4, vcc_lo
	s_cbranch_execnz .LBB227_2276
.LBB227_2209:
	s_or_b32 exec_lo, exec_lo, s4
	s_and_saveexec_b32 s4, vcc_lo
	s_cbranch_execnz .LBB227_2277
.LBB227_2210:
	s_or_b32 exec_lo, exec_lo, s4
	s_and_saveexec_b32 s4, vcc_lo
	s_cbranch_execnz .LBB227_2278
.LBB227_2211:
	s_or_b32 exec_lo, exec_lo, s4
	s_and_saveexec_b32 s4, vcc_lo
	s_cbranch_execnz .LBB227_2279
.LBB227_2212:
	s_or_b32 exec_lo, exec_lo, s4
	s_and_saveexec_b32 s4, vcc_lo
	s_cbranch_execnz .LBB227_2280
.LBB227_2213:
	s_or_b32 exec_lo, exec_lo, s4
	s_and_saveexec_b32 s4, vcc_lo
	s_cbranch_execnz .LBB227_2281
.LBB227_2214:
	s_or_b32 exec_lo, exec_lo, s4
	s_and_saveexec_b32 s4, vcc_lo
	s_cbranch_execnz .LBB227_2282
.LBB227_2215:
	s_or_b32 exec_lo, exec_lo, s4
	s_and_saveexec_b32 s4, vcc_lo
	s_cbranch_execnz .LBB227_2283
.LBB227_2216:
	s_or_b32 exec_lo, exec_lo, s4
	s_and_saveexec_b32 s4, vcc_lo
	s_cbranch_execnz .LBB227_2284
.LBB227_2217:
	s_or_b32 exec_lo, exec_lo, s4
	s_and_saveexec_b32 s4, vcc_lo
	s_cbranch_execnz .LBB227_2285
.LBB227_2218:
	s_or_b32 exec_lo, exec_lo, s4
	s_and_saveexec_b32 s4, vcc_lo
	s_cbranch_execnz .LBB227_2286
.LBB227_2219:
	s_or_b32 exec_lo, exec_lo, s4
	s_and_saveexec_b32 s4, vcc_lo
	s_cbranch_execz .LBB227_2221
.LBB227_2220:
	ds_read_b32 v32, v32 offset:992
	s_waitcnt lgkmcnt(0)
	v_add_f32_e32 v31, v32, v31
.LBB227_2221:
	s_or_b32 exec_lo, exec_lo, s4
.LBB227_2222:
	s_or_b32 exec_lo, exec_lo, s7
	v_cmp_eq_u32_e32 vcc_lo, 0, v34
	s_barrier
	buffer_gl0_inv
	s_and_b32 exec_lo, exec_lo, vcc_lo
	s_cbranch_execz .LBB227_2224
; %bb.2223:
	s_clause 0x1
	buffer_load_dword v32, off, s[0:3], s32 offset:1428
	buffer_load_dword v33, off, s[0:3], s32 offset:1424
	s_lshl_b32 s6, s6, 8
	s_mul_i32 s4, s10, s5
	s_ashr_i32 s7, s6, 31
	s_ashr_i32 s5, s4, 31
	s_lshl_b64 s[6:7], s[6:7], 2
	s_lshl_b64 s[4:5], s[4:5], 2
	s_waitcnt vmcnt(1)
	v_add_co_u32 v32, vcc_lo, v32, s6
	s_waitcnt vmcnt(0)
	v_add_co_ci_u32_e64 v33, null, s7, v33, vcc_lo
	s_lshl_b32 s6, s14, 8
	v_add_co_u32 v32, vcc_lo, v32, s4
	s_ashr_i32 s7, s6, 31
	v_add_co_ci_u32_e64 v33, null, s5, v33, vcc_lo
	s_lshl_b64 s[4:5], s[6:7], 2
	v_add_co_u32 v32, vcc_lo, v32, s4
	v_add_co_ci_u32_e64 v33, null, s5, v33, vcc_lo
	v_add_co_u32 v32, vcc_lo, v32, v35
	v_add_co_ci_u32_e64 v33, null, 0, v33, vcc_lo
	flat_store_dword v[32:33], v0
	flat_store_dword v[32:33], v1 offset:32
	flat_store_dword v[32:33], v2 offset:64
	;; [unrolled: 1-line block ×31, first 2 shown]
.LBB227_2224:
	s_or_b32 exec_lo, exec_lo, s19
	s_clause 0x2f
	buffer_load_dword v127, off, s[0:3], s32
	buffer_load_dword v126, off, s[0:3], s32 offset:4
	buffer_load_dword v125, off, s[0:3], s32 offset:8
	buffer_load_dword v124, off, s[0:3], s32 offset:12
	buffer_load_dword v123, off, s[0:3], s32 offset:16
	buffer_load_dword v122, off, s[0:3], s32 offset:20
	buffer_load_dword v121, off, s[0:3], s32 offset:24
	buffer_load_dword v120, off, s[0:3], s32 offset:28
	buffer_load_dword v111, off, s[0:3], s32 offset:32
	buffer_load_dword v110, off, s[0:3], s32 offset:36
	buffer_load_dword v109, off, s[0:3], s32 offset:40
	buffer_load_dword v108, off, s[0:3], s32 offset:44
	buffer_load_dword v107, off, s[0:3], s32 offset:48
	buffer_load_dword v106, off, s[0:3], s32 offset:52
	buffer_load_dword v105, off, s[0:3], s32 offset:56
	buffer_load_dword v104, off, s[0:3], s32 offset:60
	buffer_load_dword v95, off, s[0:3], s32 offset:64
	buffer_load_dword v94, off, s[0:3], s32 offset:68
	buffer_load_dword v93, off, s[0:3], s32 offset:72
	buffer_load_dword v92, off, s[0:3], s32 offset:76
	buffer_load_dword v91, off, s[0:3], s32 offset:80
	buffer_load_dword v90, off, s[0:3], s32 offset:84
	buffer_load_dword v89, off, s[0:3], s32 offset:88
	buffer_load_dword v88, off, s[0:3], s32 offset:92
	buffer_load_dword v79, off, s[0:3], s32 offset:96
	buffer_load_dword v78, off, s[0:3], s32 offset:100
	buffer_load_dword v77, off, s[0:3], s32 offset:104
	buffer_load_dword v76, off, s[0:3], s32 offset:108
	buffer_load_dword v75, off, s[0:3], s32 offset:112
	buffer_load_dword v74, off, s[0:3], s32 offset:116
	buffer_load_dword v73, off, s[0:3], s32 offset:120
	buffer_load_dword v72, off, s[0:3], s32 offset:124
	buffer_load_dword v63, off, s[0:3], s32 offset:128
	buffer_load_dword v62, off, s[0:3], s32 offset:132
	buffer_load_dword v61, off, s[0:3], s32 offset:136
	buffer_load_dword v60, off, s[0:3], s32 offset:140
	buffer_load_dword v59, off, s[0:3], s32 offset:144
	buffer_load_dword v58, off, s[0:3], s32 offset:148
	buffer_load_dword v57, off, s[0:3], s32 offset:152
	buffer_load_dword v56, off, s[0:3], s32 offset:156
	buffer_load_dword v47, off, s[0:3], s32 offset:160
	buffer_load_dword v46, off, s[0:3], s32 offset:164
	buffer_load_dword v45, off, s[0:3], s32 offset:168
	buffer_load_dword v44, off, s[0:3], s32 offset:172
	buffer_load_dword v43, off, s[0:3], s32 offset:176
	buffer_load_dword v42, off, s[0:3], s32 offset:180
	buffer_load_dword v41, off, s[0:3], s32 offset:184
	buffer_load_dword v40, off, s[0:3], s32 offset:188
	s_waitcnt vmcnt(0) lgkmcnt(0)
	s_setpc_b64 s[30:31]
.LBB227_2225:
	ds_read_b32 v34, v32
	s_waitcnt lgkmcnt(0)
	v_add_f32_e32 v0, v34, v0
	s_or_b32 exec_lo, exec_lo, s4
	s_and_saveexec_b32 s4, vcc_lo
	s_cbranch_execz .LBB227_2153
.LBB227_2226:
	ds_read_b32 v34, v32 offset:32
	s_waitcnt lgkmcnt(0)
	v_add_f32_e32 v1, v34, v1
	s_or_b32 exec_lo, exec_lo, s4
	s_and_saveexec_b32 s4, vcc_lo
	s_cbranch_execz .LBB227_2154
.LBB227_2227:
	ds_read_b32 v34, v32 offset:64
	s_waitcnt lgkmcnt(0)
	v_add_f32_e32 v2, v34, v2
	s_or_b32 exec_lo, exec_lo, s4
	s_and_saveexec_b32 s4, vcc_lo
	s_cbranch_execz .LBB227_2155
.LBB227_2228:
	ds_read_b32 v34, v32 offset:96
	s_waitcnt lgkmcnt(0)
	v_add_f32_e32 v3, v34, v3
	s_or_b32 exec_lo, exec_lo, s4
	s_and_saveexec_b32 s4, vcc_lo
	s_cbranch_execz .LBB227_2156
.LBB227_2229:
	ds_read_b32 v34, v32 offset:128
	s_waitcnt lgkmcnt(0)
	v_add_f32_e32 v4, v34, v4
	s_or_b32 exec_lo, exec_lo, s4
	s_and_saveexec_b32 s4, vcc_lo
	s_cbranch_execz .LBB227_2157
.LBB227_2230:
	ds_read_b32 v34, v32 offset:160
	s_waitcnt lgkmcnt(0)
	v_add_f32_e32 v5, v34, v5
	s_or_b32 exec_lo, exec_lo, s4
	s_and_saveexec_b32 s4, vcc_lo
	s_cbranch_execz .LBB227_2158
.LBB227_2231:
	ds_read_b32 v34, v32 offset:192
	s_waitcnt lgkmcnt(0)
	v_add_f32_e32 v6, v34, v6
	s_or_b32 exec_lo, exec_lo, s4
	s_and_saveexec_b32 s4, vcc_lo
	s_cbranch_execz .LBB227_2159
.LBB227_2232:
	ds_read_b32 v34, v32 offset:224
	s_waitcnt lgkmcnt(0)
	v_add_f32_e32 v7, v34, v7
	s_or_b32 exec_lo, exec_lo, s4
	s_and_saveexec_b32 s4, vcc_lo
	s_cbranch_execz .LBB227_2160
.LBB227_2233:
	ds_read_b32 v34, v32 offset:256
	s_waitcnt lgkmcnt(0)
	v_add_f32_e32 v8, v34, v8
	s_or_b32 exec_lo, exec_lo, s4
	s_and_saveexec_b32 s4, vcc_lo
	s_cbranch_execz .LBB227_2161
.LBB227_2234:
	ds_read_b32 v34, v32 offset:288
	s_waitcnt lgkmcnt(0)
	v_add_f32_e32 v9, v34, v9
	s_or_b32 exec_lo, exec_lo, s4
	s_and_saveexec_b32 s4, vcc_lo
	s_cbranch_execz .LBB227_2162
.LBB227_2235:
	ds_read_b32 v34, v32 offset:320
	s_waitcnt lgkmcnt(0)
	v_add_f32_e32 v10, v34, v10
	s_or_b32 exec_lo, exec_lo, s4
	s_and_saveexec_b32 s4, vcc_lo
	s_cbranch_execz .LBB227_2163
.LBB227_2236:
	ds_read_b32 v34, v32 offset:352
	s_waitcnt lgkmcnt(0)
	v_add_f32_e32 v11, v34, v11
	s_or_b32 exec_lo, exec_lo, s4
	s_and_saveexec_b32 s4, vcc_lo
	s_cbranch_execz .LBB227_2164
.LBB227_2237:
	ds_read_b32 v34, v32 offset:384
	s_waitcnt lgkmcnt(0)
	v_add_f32_e32 v12, v34, v12
	s_or_b32 exec_lo, exec_lo, s4
	s_and_saveexec_b32 s4, vcc_lo
	s_cbranch_execz .LBB227_2165
.LBB227_2238:
	ds_read_b32 v34, v32 offset:416
	s_waitcnt lgkmcnt(0)
	v_add_f32_e32 v13, v34, v13
	s_or_b32 exec_lo, exec_lo, s4
	s_and_saveexec_b32 s4, vcc_lo
	s_cbranch_execz .LBB227_2166
.LBB227_2239:
	ds_read_b32 v34, v32 offset:448
	s_waitcnt lgkmcnt(0)
	v_add_f32_e32 v14, v34, v14
	s_or_b32 exec_lo, exec_lo, s4
	s_and_saveexec_b32 s4, vcc_lo
	s_cbranch_execz .LBB227_2167
.LBB227_2240:
	ds_read_b32 v34, v32 offset:480
	s_waitcnt lgkmcnt(0)
	v_add_f32_e32 v15, v34, v15
	s_or_b32 exec_lo, exec_lo, s4
	s_and_saveexec_b32 s4, vcc_lo
	s_cbranch_execz .LBB227_2168
.LBB227_2241:
	ds_read_b32 v34, v32 offset:512
	s_waitcnt lgkmcnt(0)
	v_add_f32_e32 v16, v34, v16
	s_or_b32 exec_lo, exec_lo, s4
	s_and_saveexec_b32 s4, vcc_lo
	s_cbranch_execz .LBB227_2169
.LBB227_2242:
	ds_read_b32 v34, v32 offset:544
	s_waitcnt lgkmcnt(0)
	v_add_f32_e32 v17, v34, v17
	s_or_b32 exec_lo, exec_lo, s4
	s_and_saveexec_b32 s4, vcc_lo
	s_cbranch_execz .LBB227_2170
.LBB227_2243:
	ds_read_b32 v34, v32 offset:576
	s_waitcnt lgkmcnt(0)
	v_add_f32_e32 v18, v34, v18
	s_or_b32 exec_lo, exec_lo, s4
	s_and_saveexec_b32 s4, vcc_lo
	s_cbranch_execz .LBB227_2171
.LBB227_2244:
	ds_read_b32 v34, v32 offset:608
	s_waitcnt lgkmcnt(0)
	v_add_f32_e32 v19, v34, v19
	s_or_b32 exec_lo, exec_lo, s4
	s_and_saveexec_b32 s4, vcc_lo
	s_cbranch_execz .LBB227_2172
.LBB227_2245:
	ds_read_b32 v34, v32 offset:640
	s_waitcnt lgkmcnt(0)
	v_add_f32_e32 v20, v34, v20
	s_or_b32 exec_lo, exec_lo, s4
	s_and_saveexec_b32 s4, vcc_lo
	s_cbranch_execz .LBB227_2173
.LBB227_2246:
	ds_read_b32 v34, v32 offset:672
	s_waitcnt lgkmcnt(0)
	v_add_f32_e32 v21, v34, v21
	s_or_b32 exec_lo, exec_lo, s4
	s_and_saveexec_b32 s4, vcc_lo
	s_cbranch_execz .LBB227_2174
.LBB227_2247:
	ds_read_b32 v34, v32 offset:704
	s_waitcnt lgkmcnt(0)
	v_add_f32_e32 v22, v34, v22
	s_or_b32 exec_lo, exec_lo, s4
	s_and_saveexec_b32 s4, vcc_lo
	s_cbranch_execz .LBB227_2175
.LBB227_2248:
	ds_read_b32 v34, v32 offset:736
	s_waitcnt lgkmcnt(0)
	v_add_f32_e32 v23, v34, v23
	s_or_b32 exec_lo, exec_lo, s4
	s_and_saveexec_b32 s4, vcc_lo
	s_cbranch_execz .LBB227_2176
.LBB227_2249:
	ds_read_b32 v34, v32 offset:768
	s_waitcnt lgkmcnt(0)
	v_add_f32_e32 v24, v34, v24
	s_or_b32 exec_lo, exec_lo, s4
	s_and_saveexec_b32 s4, vcc_lo
	s_cbranch_execz .LBB227_2177
.LBB227_2250:
	ds_read_b32 v34, v32 offset:800
	s_waitcnt lgkmcnt(0)
	v_add_f32_e32 v25, v34, v25
	s_or_b32 exec_lo, exec_lo, s4
	s_and_saveexec_b32 s4, vcc_lo
	s_cbranch_execz .LBB227_2178
.LBB227_2251:
	ds_read_b32 v34, v32 offset:832
	s_waitcnt lgkmcnt(0)
	v_add_f32_e32 v26, v34, v26
	s_or_b32 exec_lo, exec_lo, s4
	s_and_saveexec_b32 s4, vcc_lo
	s_cbranch_execz .LBB227_2179
.LBB227_2252:
	ds_read_b32 v34, v32 offset:864
	s_waitcnt lgkmcnt(0)
	v_add_f32_e32 v27, v34, v27
	s_or_b32 exec_lo, exec_lo, s4
	s_and_saveexec_b32 s4, vcc_lo
	s_cbranch_execz .LBB227_2180
.LBB227_2253:
	ds_read_b32 v34, v32 offset:896
	s_waitcnt lgkmcnt(0)
	v_add_f32_e32 v28, v34, v28
	s_or_b32 exec_lo, exec_lo, s4
	s_and_saveexec_b32 s4, vcc_lo
	s_cbranch_execz .LBB227_2181
.LBB227_2254:
	ds_read_b32 v34, v32 offset:928
	s_waitcnt lgkmcnt(0)
	v_add_f32_e32 v29, v34, v29
	s_or_b32 exec_lo, exec_lo, s4
	s_and_saveexec_b32 s4, vcc_lo
	s_cbranch_execz .LBB227_2182
.LBB227_2255:
	ds_read_b32 v34, v32 offset:960
	s_waitcnt lgkmcnt(0)
	v_add_f32_e32 v30, v34, v30
	s_or_b32 exec_lo, exec_lo, s4
	s_and_saveexec_b32 s4, vcc_lo
	s_cbranch_execnz .LBB227_2183
	s_branch .LBB227_2184
.LBB227_2256:
	ds_read_b32 v33, v32
	s_waitcnt lgkmcnt(0)
	v_add_f32_e32 v0, v33, v0
	s_or_b32 exec_lo, exec_lo, s4
	s_and_saveexec_b32 s4, vcc_lo
	s_cbranch_execz .LBB227_2190
.LBB227_2257:
	ds_read_b32 v33, v32 offset:32
	s_waitcnt lgkmcnt(0)
	v_add_f32_e32 v1, v33, v1
	s_or_b32 exec_lo, exec_lo, s4
	s_and_saveexec_b32 s4, vcc_lo
	s_cbranch_execz .LBB227_2191
.LBB227_2258:
	ds_read_b32 v33, v32 offset:64
	s_waitcnt lgkmcnt(0)
	v_add_f32_e32 v2, v33, v2
	s_or_b32 exec_lo, exec_lo, s4
	s_and_saveexec_b32 s4, vcc_lo
	s_cbranch_execz .LBB227_2192
.LBB227_2259:
	ds_read_b32 v33, v32 offset:96
	s_waitcnt lgkmcnt(0)
	v_add_f32_e32 v3, v33, v3
	s_or_b32 exec_lo, exec_lo, s4
	s_and_saveexec_b32 s4, vcc_lo
	s_cbranch_execz .LBB227_2193
.LBB227_2260:
	ds_read_b32 v33, v32 offset:128
	s_waitcnt lgkmcnt(0)
	v_add_f32_e32 v4, v33, v4
	s_or_b32 exec_lo, exec_lo, s4
	s_and_saveexec_b32 s4, vcc_lo
	s_cbranch_execz .LBB227_2194
.LBB227_2261:
	ds_read_b32 v33, v32 offset:160
	s_waitcnt lgkmcnt(0)
	v_add_f32_e32 v5, v33, v5
	s_or_b32 exec_lo, exec_lo, s4
	s_and_saveexec_b32 s4, vcc_lo
	s_cbranch_execz .LBB227_2195
.LBB227_2262:
	ds_read_b32 v33, v32 offset:192
	s_waitcnt lgkmcnt(0)
	v_add_f32_e32 v6, v33, v6
	s_or_b32 exec_lo, exec_lo, s4
	s_and_saveexec_b32 s4, vcc_lo
	s_cbranch_execz .LBB227_2196
.LBB227_2263:
	ds_read_b32 v33, v32 offset:224
	s_waitcnt lgkmcnt(0)
	v_add_f32_e32 v7, v33, v7
	s_or_b32 exec_lo, exec_lo, s4
	s_and_saveexec_b32 s4, vcc_lo
	s_cbranch_execz .LBB227_2197
.LBB227_2264:
	ds_read_b32 v33, v32 offset:256
	s_waitcnt lgkmcnt(0)
	v_add_f32_e32 v8, v33, v8
	s_or_b32 exec_lo, exec_lo, s4
	s_and_saveexec_b32 s4, vcc_lo
	s_cbranch_execz .LBB227_2198
.LBB227_2265:
	ds_read_b32 v33, v32 offset:288
	s_waitcnt lgkmcnt(0)
	v_add_f32_e32 v9, v33, v9
	s_or_b32 exec_lo, exec_lo, s4
	s_and_saveexec_b32 s4, vcc_lo
	s_cbranch_execz .LBB227_2199
.LBB227_2266:
	ds_read_b32 v33, v32 offset:320
	s_waitcnt lgkmcnt(0)
	v_add_f32_e32 v10, v33, v10
	s_or_b32 exec_lo, exec_lo, s4
	s_and_saveexec_b32 s4, vcc_lo
	s_cbranch_execz .LBB227_2200
.LBB227_2267:
	ds_read_b32 v33, v32 offset:352
	s_waitcnt lgkmcnt(0)
	v_add_f32_e32 v11, v33, v11
	s_or_b32 exec_lo, exec_lo, s4
	s_and_saveexec_b32 s4, vcc_lo
	s_cbranch_execz .LBB227_2201
.LBB227_2268:
	ds_read_b32 v33, v32 offset:384
	s_waitcnt lgkmcnt(0)
	v_add_f32_e32 v12, v33, v12
	s_or_b32 exec_lo, exec_lo, s4
	s_and_saveexec_b32 s4, vcc_lo
	s_cbranch_execz .LBB227_2202
.LBB227_2269:
	ds_read_b32 v33, v32 offset:416
	s_waitcnt lgkmcnt(0)
	v_add_f32_e32 v13, v33, v13
	s_or_b32 exec_lo, exec_lo, s4
	s_and_saveexec_b32 s4, vcc_lo
	s_cbranch_execz .LBB227_2203
.LBB227_2270:
	ds_read_b32 v33, v32 offset:448
	s_waitcnt lgkmcnt(0)
	v_add_f32_e32 v14, v33, v14
	s_or_b32 exec_lo, exec_lo, s4
	s_and_saveexec_b32 s4, vcc_lo
	s_cbranch_execz .LBB227_2204
.LBB227_2271:
	ds_read_b32 v33, v32 offset:480
	s_waitcnt lgkmcnt(0)
	v_add_f32_e32 v15, v33, v15
	s_or_b32 exec_lo, exec_lo, s4
	s_and_saveexec_b32 s4, vcc_lo
	s_cbranch_execz .LBB227_2205
.LBB227_2272:
	ds_read_b32 v33, v32 offset:512
	s_waitcnt lgkmcnt(0)
	v_add_f32_e32 v16, v33, v16
	s_or_b32 exec_lo, exec_lo, s4
	s_and_saveexec_b32 s4, vcc_lo
	s_cbranch_execz .LBB227_2206
.LBB227_2273:
	ds_read_b32 v33, v32 offset:544
	s_waitcnt lgkmcnt(0)
	v_add_f32_e32 v17, v33, v17
	s_or_b32 exec_lo, exec_lo, s4
	s_and_saveexec_b32 s4, vcc_lo
	s_cbranch_execz .LBB227_2207
.LBB227_2274:
	ds_read_b32 v33, v32 offset:576
	s_waitcnt lgkmcnt(0)
	v_add_f32_e32 v18, v33, v18
	s_or_b32 exec_lo, exec_lo, s4
	s_and_saveexec_b32 s4, vcc_lo
	s_cbranch_execz .LBB227_2208
.LBB227_2275:
	ds_read_b32 v33, v32 offset:608
	s_waitcnt lgkmcnt(0)
	v_add_f32_e32 v19, v33, v19
	s_or_b32 exec_lo, exec_lo, s4
	s_and_saveexec_b32 s4, vcc_lo
	s_cbranch_execz .LBB227_2209
.LBB227_2276:
	ds_read_b32 v33, v32 offset:640
	s_waitcnt lgkmcnt(0)
	v_add_f32_e32 v20, v33, v20
	s_or_b32 exec_lo, exec_lo, s4
	s_and_saveexec_b32 s4, vcc_lo
	s_cbranch_execz .LBB227_2210
.LBB227_2277:
	ds_read_b32 v33, v32 offset:672
	s_waitcnt lgkmcnt(0)
	v_add_f32_e32 v21, v33, v21
	s_or_b32 exec_lo, exec_lo, s4
	s_and_saveexec_b32 s4, vcc_lo
	s_cbranch_execz .LBB227_2211
.LBB227_2278:
	ds_read_b32 v33, v32 offset:704
	s_waitcnt lgkmcnt(0)
	v_add_f32_e32 v22, v33, v22
	s_or_b32 exec_lo, exec_lo, s4
	s_and_saveexec_b32 s4, vcc_lo
	s_cbranch_execz .LBB227_2212
.LBB227_2279:
	ds_read_b32 v33, v32 offset:736
	s_waitcnt lgkmcnt(0)
	v_add_f32_e32 v23, v33, v23
	s_or_b32 exec_lo, exec_lo, s4
	s_and_saveexec_b32 s4, vcc_lo
	s_cbranch_execz .LBB227_2213
.LBB227_2280:
	ds_read_b32 v33, v32 offset:768
	s_waitcnt lgkmcnt(0)
	v_add_f32_e32 v24, v33, v24
	s_or_b32 exec_lo, exec_lo, s4
	s_and_saveexec_b32 s4, vcc_lo
	s_cbranch_execz .LBB227_2214
.LBB227_2281:
	ds_read_b32 v33, v32 offset:800
	s_waitcnt lgkmcnt(0)
	v_add_f32_e32 v25, v33, v25
	s_or_b32 exec_lo, exec_lo, s4
	s_and_saveexec_b32 s4, vcc_lo
	s_cbranch_execz .LBB227_2215
.LBB227_2282:
	ds_read_b32 v33, v32 offset:832
	s_waitcnt lgkmcnt(0)
	v_add_f32_e32 v26, v33, v26
	s_or_b32 exec_lo, exec_lo, s4
	s_and_saveexec_b32 s4, vcc_lo
	s_cbranch_execz .LBB227_2216
.LBB227_2283:
	ds_read_b32 v33, v32 offset:864
	s_waitcnt lgkmcnt(0)
	v_add_f32_e32 v27, v33, v27
	s_or_b32 exec_lo, exec_lo, s4
	s_and_saveexec_b32 s4, vcc_lo
	s_cbranch_execz .LBB227_2217
.LBB227_2284:
	ds_read_b32 v33, v32 offset:896
	s_waitcnt lgkmcnt(0)
	v_add_f32_e32 v28, v33, v28
	s_or_b32 exec_lo, exec_lo, s4
	s_and_saveexec_b32 s4, vcc_lo
	s_cbranch_execz .LBB227_2218
.LBB227_2285:
	ds_read_b32 v33, v32 offset:928
	s_waitcnt lgkmcnt(0)
	v_add_f32_e32 v29, v33, v29
	s_or_b32 exec_lo, exec_lo, s4
	s_and_saveexec_b32 s4, vcc_lo
	s_cbranch_execz .LBB227_2219
.LBB227_2286:
	ds_read_b32 v33, v32 offset:960
	s_waitcnt lgkmcnt(0)
	v_add_f32_e32 v30, v33, v30
	s_or_b32 exec_lo, exec_lo, s4
	s_and_saveexec_b32 s4, vcc_lo
	s_cbranch_execnz .LBB227_2220
	s_branch .LBB227_2221
.Lfunc_end227:
	.size	_ZN4vllm22paged_attention_kernelIfhLi256ELi16ELi128ELNS_18Fp8KVCacheDataTypeE1ELb0ELi512EEEvPfS2_PT_PKS3_PKT0_S9_ifPKiSB_iPKfiiiSD_SD_iiiii, .Lfunc_end227-_ZN4vllm22paged_attention_kernelIfhLi256ELi16ELi128ELNS_18Fp8KVCacheDataTypeE1ELb0ELi512EEEvPfS2_PT_PKS3_PKT0_S9_ifPKiSB_iPKfiiiSD_SD_iiiii
                                        ; -- End function
	.set .L_ZN4vllm22paged_attention_kernelIfhLi256ELi16ELi128ELNS_18Fp8KVCacheDataTypeE1ELb0ELi512EEEvPfS2_PT_PKS3_PKT0_S9_ifPKiSB_iPKfiiiSD_SD_iiiii.num_vgpr, 128
	.set .L_ZN4vllm22paged_attention_kernelIfhLi256ELi16ELi128ELNS_18Fp8KVCacheDataTypeE1ELb0ELi512EEEvPfS2_PT_PKS3_PKT0_S9_ifPKiSB_iPKfiiiSD_SD_iiiii.num_agpr, 0
	.set .L_ZN4vllm22paged_attention_kernelIfhLi256ELi16ELi128ELNS_18Fp8KVCacheDataTypeE1ELb0ELi512EEEvPfS2_PT_PKS3_PKT0_S9_ifPKiSB_iPKfiiiSD_SD_iiiii.numbered_sgpr, 33
	.set .L_ZN4vllm22paged_attention_kernelIfhLi256ELi16ELi128ELNS_18Fp8KVCacheDataTypeE1ELb0ELi512EEEvPfS2_PT_PKS3_PKT0_S9_ifPKiSB_iPKfiiiSD_SD_iiiii.num_named_barrier, 0
	.set .L_ZN4vllm22paged_attention_kernelIfhLi256ELi16ELi128ELNS_18Fp8KVCacheDataTypeE1ELb0ELi512EEEvPfS2_PT_PKS3_PKT0_S9_ifPKiSB_iPKfiiiSD_SD_iiiii.private_seg_size, 1504
	.set .L_ZN4vllm22paged_attention_kernelIfhLi256ELi16ELi128ELNS_18Fp8KVCacheDataTypeE1ELb0ELi512EEEvPfS2_PT_PKS3_PKT0_S9_ifPKiSB_iPKfiiiSD_SD_iiiii.uses_vcc, 1
	.set .L_ZN4vllm22paged_attention_kernelIfhLi256ELi16ELi128ELNS_18Fp8KVCacheDataTypeE1ELb0ELi512EEEvPfS2_PT_PKS3_PKT0_S9_ifPKiSB_iPKfiiiSD_SD_iiiii.uses_flat_scratch, 0
	.set .L_ZN4vllm22paged_attention_kernelIfhLi256ELi16ELi128ELNS_18Fp8KVCacheDataTypeE1ELb0ELi512EEEvPfS2_PT_PKS3_PKT0_S9_ifPKiSB_iPKfiiiSD_SD_iiiii.has_dyn_sized_stack, 0
	.set .L_ZN4vllm22paged_attention_kernelIfhLi256ELi16ELi128ELNS_18Fp8KVCacheDataTypeE1ELb0ELi512EEEvPfS2_PT_PKS3_PKT0_S9_ifPKiSB_iPKfiiiSD_SD_iiiii.has_recursion, 0
	.set .L_ZN4vllm22paged_attention_kernelIfhLi256ELi16ELi128ELNS_18Fp8KVCacheDataTypeE1ELb0ELi512EEEvPfS2_PT_PKS3_PKT0_S9_ifPKiSB_iPKfiiiSD_SD_iiiii.has_indirect_call, 0
	.section	.AMDGPU.csdata,"",@progbits
; Function info:
; codeLenInByte = 84316
; TotalNumSgprs: 35
; NumVgprs: 128
; ScratchSize: 1504
; MemoryBound: 0
	.section	.text._ZN4vllm25paged_attention_v2_kernelIfhLi256ELi16ELi128ELNS_18Fp8KVCacheDataTypeE1ELb0ELi512EEEvPfS2_PT_PKS3_PKT0_S9_ifPKiSB_iPKfiiiSD_SD_iiiii,"axG",@progbits,_ZN4vllm25paged_attention_v2_kernelIfhLi256ELi16ELi128ELNS_18Fp8KVCacheDataTypeE1ELb0ELi512EEEvPfS2_PT_PKS3_PKT0_S9_ifPKiSB_iPKfiiiSD_SD_iiiii,comdat
	.protected	_ZN4vllm25paged_attention_v2_kernelIfhLi256ELi16ELi128ELNS_18Fp8KVCacheDataTypeE1ELb0ELi512EEEvPfS2_PT_PKS3_PKT0_S9_ifPKiSB_iPKfiiiSD_SD_iiiii ; -- Begin function _ZN4vllm25paged_attention_v2_kernelIfhLi256ELi16ELi128ELNS_18Fp8KVCacheDataTypeE1ELb0ELi512EEEvPfS2_PT_PKS3_PKT0_S9_ifPKiSB_iPKfiiiSD_SD_iiiii
	.globl	_ZN4vllm25paged_attention_v2_kernelIfhLi256ELi16ELi128ELNS_18Fp8KVCacheDataTypeE1ELb0ELi512EEEvPfS2_PT_PKS3_PKT0_S9_ifPKiSB_iPKfiiiSD_SD_iiiii
	.p2align	8
	.type	_ZN4vllm25paged_attention_v2_kernelIfhLi256ELi16ELi128ELNS_18Fp8KVCacheDataTypeE1ELb0ELi512EEEvPfS2_PT_PKS3_PKT0_S9_ifPKiSB_iPKfiiiSD_SD_iiiii,@function
_ZN4vllm25paged_attention_v2_kernelIfhLi256ELi16ELi128ELNS_18Fp8KVCacheDataTypeE1ELb0ELi512EEEvPfS2_PT_PKS3_PKT0_S9_ifPKiSB_iPKfiiiSD_SD_iiiii: ; @_ZN4vllm25paged_attention_v2_kernelIfhLi256ELi16ELi128ELNS_18Fp8KVCacheDataTypeE1ELb0ELi512EEEvPfS2_PT_PKS3_PKT0_S9_ifPKiSB_iPKfiiiSD_SD_iiiii
; %bb.0:
	s_clause 0x5
	s_load_dwordx8 s[24:31], s[4:5], 0x0
	s_load_dwordx8 s[16:23], s[4:5], 0x20
	s_load_dwordx2 s[10:11], s[4:5], 0x40
	s_load_dwordx2 s[34:35], s[4:5], 0x50
	s_load_dword s13, s[4:5], 0x48
	s_load_dwordx8 s[36:43], s[4:5], 0x58
	s_add_u32 s0, s0, s9
	s_addc_u32 s1, s1, 0
	v_mov_b32_e32 v31, v0
	s_mov_b32 s14, s8
	s_add_u32 s8, s4, 0x90
	s_addc_u32 s9, s5, 0
	s_getpc_b64 s[4:5]
	s_add_u32 s4, s4, _ZN4vllm22paged_attention_kernelIfhLi256ELi16ELi128ELNS_18Fp8KVCacheDataTypeE1ELb0ELi512EEEvPfS2_PT_PKS3_PKT0_S9_ifPKiSB_iPKfiiiSD_SD_iiiii@rel32@lo+4
	s_addc_u32 s5, s5, _ZN4vllm22paged_attention_kernelIfhLi256ELi16ELi128ELNS_18Fp8KVCacheDataTypeE1ELb0ELi512EEEvPfS2_PT_PKS3_PKT0_S9_ifPKiSB_iPKfiiiSD_SD_iiiii@rel32@hi+12
	s_mov_b32 s12, s6
	s_mov_b32 s15, 26
	s_mov_b32 s32, 0
	s_waitcnt lgkmcnt(0)
	v_mov_b32_e32 v0, s24
	v_mov_b32_e32 v1, s25
	;; [unrolled: 1-line block ×28, first 2 shown]
	s_mov_b32 s13, s7
	s_swappc_b64 s[30:31], s[4:5]
	s_endpgm
	.section	.rodata,"a",@progbits
	.p2align	6, 0x0
	.amdhsa_kernel _ZN4vllm25paged_attention_v2_kernelIfhLi256ELi16ELi128ELNS_18Fp8KVCacheDataTypeE1ELb0ELi512EEEvPfS2_PT_PKS3_PKT0_S9_ifPKiSB_iPKfiiiSD_SD_iiiii
		.amdhsa_group_segment_fixed_size 1056
		.amdhsa_private_segment_fixed_size 1504
		.amdhsa_kernarg_size 400
		.amdhsa_user_sgpr_count 6
		.amdhsa_user_sgpr_private_segment_buffer 1
		.amdhsa_user_sgpr_dispatch_ptr 0
		.amdhsa_user_sgpr_queue_ptr 0
		.amdhsa_user_sgpr_kernarg_segment_ptr 1
		.amdhsa_user_sgpr_dispatch_id 0
		.amdhsa_user_sgpr_flat_scratch_init 0
		.amdhsa_user_sgpr_private_segment_size 0
		.amdhsa_wavefront_size32 1
		.amdhsa_uses_dynamic_stack 0
		.amdhsa_system_sgpr_private_segment_wavefront_offset 1
		.amdhsa_system_sgpr_workgroup_id_x 1
		.amdhsa_system_sgpr_workgroup_id_y 1
		.amdhsa_system_sgpr_workgroup_id_z 1
		.amdhsa_system_sgpr_workgroup_info 0
		.amdhsa_system_vgpr_workitem_id 0
		.amdhsa_next_free_vgpr 128
		.amdhsa_next_free_sgpr 44
		.amdhsa_reserve_vcc 1
		.amdhsa_reserve_flat_scratch 0
		.amdhsa_float_round_mode_32 0
		.amdhsa_float_round_mode_16_64 0
		.amdhsa_float_denorm_mode_32 3
		.amdhsa_float_denorm_mode_16_64 3
		.amdhsa_dx10_clamp 1
		.amdhsa_ieee_mode 1
		.amdhsa_fp16_overflow 0
		.amdhsa_workgroup_processor_mode 1
		.amdhsa_memory_ordered 1
		.amdhsa_forward_progress 1
		.amdhsa_shared_vgpr_count 0
		.amdhsa_exception_fp_ieee_invalid_op 0
		.amdhsa_exception_fp_denorm_src 0
		.amdhsa_exception_fp_ieee_div_zero 0
		.amdhsa_exception_fp_ieee_overflow 0
		.amdhsa_exception_fp_ieee_underflow 0
		.amdhsa_exception_fp_ieee_inexact 0
		.amdhsa_exception_int_div_zero 0
	.end_amdhsa_kernel
	.section	.text._ZN4vllm25paged_attention_v2_kernelIfhLi256ELi16ELi128ELNS_18Fp8KVCacheDataTypeE1ELb0ELi512EEEvPfS2_PT_PKS3_PKT0_S9_ifPKiSB_iPKfiiiSD_SD_iiiii,"axG",@progbits,_ZN4vllm25paged_attention_v2_kernelIfhLi256ELi16ELi128ELNS_18Fp8KVCacheDataTypeE1ELb0ELi512EEEvPfS2_PT_PKS3_PKT0_S9_ifPKiSB_iPKfiiiSD_SD_iiiii,comdat
.Lfunc_end228:
	.size	_ZN4vllm25paged_attention_v2_kernelIfhLi256ELi16ELi128ELNS_18Fp8KVCacheDataTypeE1ELb0ELi512EEEvPfS2_PT_PKS3_PKT0_S9_ifPKiSB_iPKfiiiSD_SD_iiiii, .Lfunc_end228-_ZN4vllm25paged_attention_v2_kernelIfhLi256ELi16ELi128ELNS_18Fp8KVCacheDataTypeE1ELb0ELi512EEEvPfS2_PT_PKS3_PKT0_S9_ifPKiSB_iPKfiiiSD_SD_iiiii
                                        ; -- End function
	.set _ZN4vllm25paged_attention_v2_kernelIfhLi256ELi16ELi128ELNS_18Fp8KVCacheDataTypeE1ELb0ELi512EEEvPfS2_PT_PKS3_PKT0_S9_ifPKiSB_iPKfiiiSD_SD_iiiii.num_vgpr, max(32, .L_ZN4vllm22paged_attention_kernelIfhLi256ELi16ELi128ELNS_18Fp8KVCacheDataTypeE1ELb0ELi512EEEvPfS2_PT_PKS3_PKT0_S9_ifPKiSB_iPKfiiiSD_SD_iiiii.num_vgpr)
	.set _ZN4vllm25paged_attention_v2_kernelIfhLi256ELi16ELi128ELNS_18Fp8KVCacheDataTypeE1ELb0ELi512EEEvPfS2_PT_PKS3_PKT0_S9_ifPKiSB_iPKfiiiSD_SD_iiiii.num_agpr, max(0, .L_ZN4vllm22paged_attention_kernelIfhLi256ELi16ELi128ELNS_18Fp8KVCacheDataTypeE1ELb0ELi512EEEvPfS2_PT_PKS3_PKT0_S9_ifPKiSB_iPKfiiiSD_SD_iiiii.num_agpr)
	.set _ZN4vllm25paged_attention_v2_kernelIfhLi256ELi16ELi128ELNS_18Fp8KVCacheDataTypeE1ELb0ELi512EEEvPfS2_PT_PKS3_PKT0_S9_ifPKiSB_iPKfiiiSD_SD_iiiii.numbered_sgpr, max(44, .L_ZN4vllm22paged_attention_kernelIfhLi256ELi16ELi128ELNS_18Fp8KVCacheDataTypeE1ELb0ELi512EEEvPfS2_PT_PKS3_PKT0_S9_ifPKiSB_iPKfiiiSD_SD_iiiii.numbered_sgpr)
	.set _ZN4vllm25paged_attention_v2_kernelIfhLi256ELi16ELi128ELNS_18Fp8KVCacheDataTypeE1ELb0ELi512EEEvPfS2_PT_PKS3_PKT0_S9_ifPKiSB_iPKfiiiSD_SD_iiiii.num_named_barrier, max(0, .L_ZN4vllm22paged_attention_kernelIfhLi256ELi16ELi128ELNS_18Fp8KVCacheDataTypeE1ELb0ELi512EEEvPfS2_PT_PKS3_PKT0_S9_ifPKiSB_iPKfiiiSD_SD_iiiii.num_named_barrier)
	.set _ZN4vllm25paged_attention_v2_kernelIfhLi256ELi16ELi128ELNS_18Fp8KVCacheDataTypeE1ELb0ELi512EEEvPfS2_PT_PKS3_PKT0_S9_ifPKiSB_iPKfiiiSD_SD_iiiii.private_seg_size, 0+max(.L_ZN4vllm22paged_attention_kernelIfhLi256ELi16ELi128ELNS_18Fp8KVCacheDataTypeE1ELb0ELi512EEEvPfS2_PT_PKS3_PKT0_S9_ifPKiSB_iPKfiiiSD_SD_iiiii.private_seg_size)
	.set _ZN4vllm25paged_attention_v2_kernelIfhLi256ELi16ELi128ELNS_18Fp8KVCacheDataTypeE1ELb0ELi512EEEvPfS2_PT_PKS3_PKT0_S9_ifPKiSB_iPKfiiiSD_SD_iiiii.uses_vcc, or(1, .L_ZN4vllm22paged_attention_kernelIfhLi256ELi16ELi128ELNS_18Fp8KVCacheDataTypeE1ELb0ELi512EEEvPfS2_PT_PKS3_PKT0_S9_ifPKiSB_iPKfiiiSD_SD_iiiii.uses_vcc)
	.set _ZN4vllm25paged_attention_v2_kernelIfhLi256ELi16ELi128ELNS_18Fp8KVCacheDataTypeE1ELb0ELi512EEEvPfS2_PT_PKS3_PKT0_S9_ifPKiSB_iPKfiiiSD_SD_iiiii.uses_flat_scratch, or(0, .L_ZN4vllm22paged_attention_kernelIfhLi256ELi16ELi128ELNS_18Fp8KVCacheDataTypeE1ELb0ELi512EEEvPfS2_PT_PKS3_PKT0_S9_ifPKiSB_iPKfiiiSD_SD_iiiii.uses_flat_scratch)
	.set _ZN4vllm25paged_attention_v2_kernelIfhLi256ELi16ELi128ELNS_18Fp8KVCacheDataTypeE1ELb0ELi512EEEvPfS2_PT_PKS3_PKT0_S9_ifPKiSB_iPKfiiiSD_SD_iiiii.has_dyn_sized_stack, or(0, .L_ZN4vllm22paged_attention_kernelIfhLi256ELi16ELi128ELNS_18Fp8KVCacheDataTypeE1ELb0ELi512EEEvPfS2_PT_PKS3_PKT0_S9_ifPKiSB_iPKfiiiSD_SD_iiiii.has_dyn_sized_stack)
	.set _ZN4vllm25paged_attention_v2_kernelIfhLi256ELi16ELi128ELNS_18Fp8KVCacheDataTypeE1ELb0ELi512EEEvPfS2_PT_PKS3_PKT0_S9_ifPKiSB_iPKfiiiSD_SD_iiiii.has_recursion, or(0, .L_ZN4vllm22paged_attention_kernelIfhLi256ELi16ELi128ELNS_18Fp8KVCacheDataTypeE1ELb0ELi512EEEvPfS2_PT_PKS3_PKT0_S9_ifPKiSB_iPKfiiiSD_SD_iiiii.has_recursion)
	.set _ZN4vllm25paged_attention_v2_kernelIfhLi256ELi16ELi128ELNS_18Fp8KVCacheDataTypeE1ELb0ELi512EEEvPfS2_PT_PKS3_PKT0_S9_ifPKiSB_iPKfiiiSD_SD_iiiii.has_indirect_call, or(0, .L_ZN4vllm22paged_attention_kernelIfhLi256ELi16ELi128ELNS_18Fp8KVCacheDataTypeE1ELb0ELi512EEEvPfS2_PT_PKS3_PKT0_S9_ifPKiSB_iPKfiiiSD_SD_iiiii.has_indirect_call)
	.section	.AMDGPU.csdata,"",@progbits
; Kernel info:
; codeLenInByte = 240
; TotalNumSgprs: 46
; NumVgprs: 128
; ScratchSize: 1504
; MemoryBound: 0
; FloatMode: 240
; IeeeMode: 1
; LDSByteSize: 1056 bytes/workgroup (compile time only)
; SGPRBlocks: 0
; VGPRBlocks: 15
; NumSGPRsForWavesPerEU: 46
; NumVGPRsForWavesPerEU: 128
; Occupancy: 8
; WaveLimiterHint : 1
; COMPUTE_PGM_RSRC2:SCRATCH_EN: 1
; COMPUTE_PGM_RSRC2:USER_SGPR: 6
; COMPUTE_PGM_RSRC2:TRAP_HANDLER: 0
; COMPUTE_PGM_RSRC2:TGID_X_EN: 1
; COMPUTE_PGM_RSRC2:TGID_Y_EN: 1
; COMPUTE_PGM_RSRC2:TGID_Z_EN: 1
; COMPUTE_PGM_RSRC2:TIDIG_COMP_CNT: 0
	.section	.text._ZN4vllm25paged_attention_v2_kernelIfhLi32ELi32ELi128ELNS_18Fp8KVCacheDataTypeE1ELb1ELi512EEEvPfS2_PT_PKS3_PKT0_S9_ifPKiSB_iPKfiiiSD_SD_iiiii,"axG",@progbits,_ZN4vllm25paged_attention_v2_kernelIfhLi32ELi32ELi128ELNS_18Fp8KVCacheDataTypeE1ELb1ELi512EEEvPfS2_PT_PKS3_PKT0_S9_ifPKiSB_iPKfiiiSD_SD_iiiii,comdat
	.protected	_ZN4vllm25paged_attention_v2_kernelIfhLi32ELi32ELi128ELNS_18Fp8KVCacheDataTypeE1ELb1ELi512EEEvPfS2_PT_PKS3_PKT0_S9_ifPKiSB_iPKfiiiSD_SD_iiiii ; -- Begin function _ZN4vllm25paged_attention_v2_kernelIfhLi32ELi32ELi128ELNS_18Fp8KVCacheDataTypeE1ELb1ELi512EEEvPfS2_PT_PKS3_PKT0_S9_ifPKiSB_iPKfiiiSD_SD_iiiii
	.globl	_ZN4vllm25paged_attention_v2_kernelIfhLi32ELi32ELi128ELNS_18Fp8KVCacheDataTypeE1ELb1ELi512EEEvPfS2_PT_PKS3_PKT0_S9_ifPKiSB_iPKfiiiSD_SD_iiiii
	.p2align	8
	.type	_ZN4vllm25paged_attention_v2_kernelIfhLi32ELi32ELi128ELNS_18Fp8KVCacheDataTypeE1ELb1ELi512EEEvPfS2_PT_PKS3_PKT0_S9_ifPKiSB_iPKfiiiSD_SD_iiiii,@function
_ZN4vllm25paged_attention_v2_kernelIfhLi32ELi32ELi128ELNS_18Fp8KVCacheDataTypeE1ELb1ELi512EEEvPfS2_PT_PKS3_PKT0_S9_ifPKiSB_iPKfiiiSD_SD_iiiii: ; @_ZN4vllm25paged_attention_v2_kernelIfhLi32ELi32ELi128ELNS_18Fp8KVCacheDataTypeE1ELb1ELi512EEEvPfS2_PT_PKS3_PKT0_S9_ifPKiSB_iPKfiiiSD_SD_iiiii
; %bb.0:
	s_load_dwordx2 s[0:1], s[4:5], 0x40
	s_mov_b32 s30, s7
	s_ashr_i32 s31, s7, 31
	s_lshl_b64 s[2:3], s[30:31], 2
	s_waitcnt lgkmcnt(0)
	s_add_u32 s0, s0, s2
	s_addc_u32 s1, s1, s3
	s_lshl_b32 s40, s8, 9
	s_load_dword s31, s[0:1], 0x0
	s_waitcnt lgkmcnt(0)
	s_cmp_ge_i32 s40, s31
	s_cbranch_scc1 .LBB229_596
; %bb.1:
	s_clause 0x1
	s_load_dword s9, s[4:5], 0x90
	s_load_dwordx2 s[2:3], s[4:5], 0x30
	s_mov_b32 s42, 0
	s_waitcnt lgkmcnt(0)
	s_abs_i32 s10, s9
	s_abs_i32 s0, s2
	v_cvt_f32_u32_e32 v1, s0
	s_sub_i32 s7, 0, s0
	v_rcp_iflag_f32_e32 v1, v1
	v_mul_f32_e32 v1, 0x4f7ffffe, v1
	v_cvt_u32_f32_e32 v1, v1
	v_readfirstlane_b32 s1, v1
	s_mul_i32 s7, s7, s1
	s_mul_hi_u32 s7, s1, s7
	s_add_i32 s1, s1, s7
	s_xor_b32 s7, s9, s2
	s_mul_hi_u32 s1, s10, s1
	s_ashr_i32 s7, s7, 31
	s_mul_i32 s11, s1, s0
	s_sub_i32 s10, s10, s11
	s_add_i32 s11, s1, 1
	s_sub_i32 s12, s10, s0
	s_cmp_ge_u32 s10, s0
	s_cselect_b32 s1, s11, s1
	s_cselect_b32 s10, s12, s10
	s_add_i32 s11, s1, 1
	s_cmp_ge_u32 s10, s0
	s_cselect_b32 s0, s11, s1
	s_abs_i32 s13, s6
	s_xor_b32 s0, s0, s7
	s_sub_i32 s10, s0, s7
	s_load_dwordx2 s[0:1], s[4:5], 0x50
	s_abs_i32 s12, s10
	v_cvt_f32_u32_e32 v1, s12
	s_sub_i32 s11, 0, s12
	v_rcp_iflag_f32_e32 v1, v1
	v_mul_f32_e32 v1, 0x4f7ffffe, v1
	v_cvt_u32_f32_e32 v1, v1
	v_readfirstlane_b32 s7, v1
	s_mul_i32 s11, s11, s7
	s_mul_hi_u32 s11, s7, s11
	s_add_i32 s7, s7, s11
	s_waitcnt lgkmcnt(0)
	s_cmp_eq_u64 s[0:1], 0
	s_mul_hi_u32 s14, s13, s7
	s_cbranch_scc1 .LBB229_3
; %bb.2:
	s_ashr_i32 s7, s6, 31
	s_lshl_b64 s[16:17], s[6:7], 2
	s_add_u32 s0, s0, s16
	s_addc_u32 s1, s1, s17
	s_load_dword s42, s[0:1], 0x0
.LBB229_3:
	s_load_dwordx4 s[16:19], s[4:5], 0x58
	s_ashr_i32 s0, s6, 31
	s_ashr_i32 s1, s10, 31
	s_lshl_b32 s10, s6, 5
	s_mov_b32 s7, exec_lo
	v_cmpx_gt_u32_e32 8, v0
	s_cbranch_execz .LBB229_5
; %bb.4:
	s_load_dwordx2 s[20:21], s[4:5], 0x18
	s_waitcnt lgkmcnt(0)
	s_mul_i32 s22, s16, s30
	v_lshlrev_b32_e32 v5, 4, v0
	s_ashr_i32 s23, s22, 31
	s_lshl_b64 s[22:23], s[22:23], 2
	s_add_u32 s15, s20, s22
	s_addc_u32 s16, s21, s23
	s_ashr_i32 s11, s10, 31
	s_lshl_b64 s[20:21], s[10:11], 2
	s_add_u32 s20, s15, s20
	s_addc_u32 s21, s16, s21
	global_load_dwordx4 v[1:4], v5, s[20:21]
	s_waitcnt vmcnt(0)
	ds_write_b128 v5, v[1:4]
.LBB229_5:
	s_or_b32 exec_lo, exec_lo, s7
	s_load_dwordx4 s[20:23], s[4:5], 0x78
	s_mul_i32 s7, s14, s12
	s_xor_b32 s0, s0, s1
	s_sub_i32 s1, s13, s7
	s_add_i32 s7, s14, 1
	s_sub_i32 s11, s1, s12
	s_cmp_ge_u32 s1, s12
	s_mov_b32 s13, -1
	s_cselect_b32 s7, s7, s14
	s_cselect_b32 s1, s11, s1
	s_add_i32 s11, s7, 1
	s_cmp_ge_u32 s1, s12
                                        ; implicit-def: $sgpr19
	s_cselect_b32 s1, s11, s7
	s_load_dword s7, s[4:5], 0x88
	s_xor_b32 s1, s1, s0
	s_add_i32 s12, s31, -1
	s_sub_i32 s1, s1, s0
	s_abs_i32 s33, s12
	s_waitcnt lgkmcnt(0)
	s_abs_i32 s11, s23
	s_barrier
	v_cvt_f32_u32_e32 v1, s11
	s_sub_i32 s0, 0, s11
	buffer_gl0_inv
	v_rcp_iflag_f32_e32 v1, v1
	v_mul_f32_e32 v1, 0x4f7ffffe, v1
	v_cvt_u32_f32_e32 v1, v1
	v_readfirstlane_b32 s16, v1
	s_mul_i32 s0, s0, s16
	s_mul_hi_u32 s0, s16, s0
	s_add_i32 s16, s16, s0
	s_cmp_lt_i32 s7, 0
	s_mul_hi_u32 s0, s33, s16
	s_cbranch_scc0 .LBB229_7
; %bb.6:
	s_mul_i32 s2, s20, s2
	s_mov_b32 s13, 0
	s_add_i32 s2, s1, s2
	s_mul_i32 s2, s2, s7
	s_sub_i32 s19, 1, s2
.LBB229_7:
	s_load_dwordx2 s[34:35], s[4:5], 0x38
	s_ashr_i32 s2, s12, 31
	s_andn2_b32 vcc_lo, exec_lo, s13
	s_ashr_i32 s23, s23, 31
	s_cbranch_vccnz .LBB229_9
; %bb.8:
	s_mul_i32 s12, s9, s20
	s_add_i32 s12, s12, s6
	s_mul_i32 s7, s12, s7
	s_add_i32 s19, s7, 1
.LBB229_9:
	s_clause 0x5
	s_load_dword s20, s[4:5], 0x48
	s_load_dwordx2 s[38:39], s[4:5], 0x28
	s_load_dwordx4 s[24:27], s[4:5], 0x0
	s_load_dwordx2 s[28:29], s[4:5], 0x10
	s_load_dword s7, s[4:5], 0x98
	s_load_dwordx4 s[12:15], s[4:5], 0x68
	s_mul_i32 s36, s0, s11
	s_xor_b32 s2, s2, s23
	s_sub_i32 s33, s33, s36
	s_add_i32 s41, s0, 1
	v_lshrrev_b32_e32 v109, 5, v0
	v_and_b32_e32 v110, 31, v0
	v_mov_b32_e32 v113, 0xff7fffff
	s_mul_i32 s18, s1, s18
	v_lshl_add_u32 v111, v109, 5, s40
	v_lshlrev_b32_e32 v112, 2, v110
	s_waitcnt lgkmcnt(0)
	s_mul_i32 s36, s20, s30
	s_sub_i32 s20, s33, s11
	s_ashr_i32 s37, s36, 31
	s_cmp_ge_u32 s33, s11
	s_cselect_b32 s0, s41, s0
	s_cselect_b32 s20, s20, s33
	s_add_i32 s33, s0, 1
	s_cmp_ge_u32 s20, s11
	s_cselect_b32 s0, s33, s0
	s_add_i32 s20, s31, 31
	s_lshl_b32 s43, s8, 4
	s_ashr_i32 s33, s20, 31
	v_add_nc_u32_e32 v33, s43, v109
	s_lshr_b32 s33, s33, 27
	s_add_i32 s41, s43, 16
	s_add_i32 s20, s20, s33
	s_xor_b32 s44, s0, s2
	s_ashr_i32 s33, s20, 5
	v_ashrrev_i32_e32 v34, 31, v33
	s_min_i32 s20, s41, s33
	s_sub_i32 s41, s44, s2
	v_cmp_gt_i32_e64 s0, s20, v33
	s_and_saveexec_b32 s44, s0
	s_cbranch_execz .LBB229_273
; %bb.10:
	s_load_dwordx2 s[46:47], s[4:5], 0x20
	s_sub_i32 s4, s41, s21
	s_ashr_i32 s1, s18, 31
	v_mov_b32_e32 v36, 0
	v_subrev_nc_u32_e32 v37, s31, v110
	v_lshlrev_b32_e32 v35, 4, v110
	v_lshlrev_b64 v[43:44], 2, v[33:34]
	v_lshl_or_b32 v39, v109, 7, v112
	v_cmp_neq_f32_e64 vcc_lo, s42, 0
	v_add_nc_u32_e32 v121, 1, v37
	v_lshl_add_u32 v114, v109, 5, s40
	v_mov_b32_e32 v115, 0xff7fffff
	v_mov_b32_e32 v116, 0x80
	v_bfrev_b32_e32 v38, 1
	v_mov_b32_e32 v117, 0xffff
	v_mov_b32_e32 v40, 0x7f800001
	;; [unrolled: 1-line block ×6, first 2 shown]
	s_waitcnt lgkmcnt(0)
	s_add_u32 s2, s46, s18
	s_addc_u32 s1, s47, s1
	s_abs_i32 s5, s22
	s_lshl_b64 s[46:47], s[36:37], 2
	v_cvt_f32_u32_e32 v1, s5
	s_sub_i32 s45, 0, s5
	v_add_nc_u32_e32 v122, 0xa0, v39
	v_mov_b32_e32 v124, v33
	v_rcp_iflag_f32_e32 v1, v1
	v_mul_f32_e32 v1, 0x4f7ffffe, v1
	v_cvt_u32_f32_e32 v45, v1
	ds_read_b128 v[1:4], v36
	ds_read_b128 v[5:8], v36 offset:16
	ds_read_b128 v[9:12], v36 offset:32
	;; [unrolled: 1-line block ×7, first 2 shown]
	v_mul_lo_u32 v41, s45, v45
	s_mov_b32 s45, 0
	v_mul_hi_u32 v37, v45, v41
	v_add_co_u32 v41, s2, s2, v35
	v_add_co_ci_u32_e64 v42, null, s1, 0, s2
	s_add_u32 s1, s34, s46
	s_addc_u32 s2, s35, s47
	v_add_co_u32 v43, s1, s1, v43
	v_add_co_ci_u32_e64 v44, null, s2, v44, s1
	v_add_nc_u32_e32 v123, v45, v37
	s_mov_b32 s46, s17
	s_branch .LBB229_16
.LBB229_11:                             ;   in Loop: Header=BB229_16 Depth=1
	s_or_b32 exec_lo, exec_lo, s51
	v_lshlrev_b32_sdwa v39, v120, v125 dst_sel:DWORD dst_unused:UNUSED_PAD src0_sel:DWORD src1_sel:BYTE_3
	v_lshlrev_b32_e32 v35, 20, v35
	v_lshl_add_u32 v37, v37, 23, 0x3c000000
	v_mov_b32_e32 v107, v36
	v_and_b32_e32 v39, 0x80000000, v39
	v_or3_b32 v108, v35, v39, v37
.LBB229_12:                             ;   in Loop: Header=BB229_16 Depth=1
	s_or_b32 exec_lo, exec_lo, s50
.LBB229_13:                             ;   in Loop: Header=BB229_16 Depth=1
	s_or_b32 exec_lo, exec_lo, s49
.LBB229_14:                             ;   in Loop: Header=BB229_16 Depth=1
	s_or_b32 exec_lo, exec_lo, s48
	v_or_b32_e32 v54, v56, v54
	v_or_b32_e32 v53, v55, v53
	;; [unrolled: 1-line block ×5, first 2 shown]
	s_waitcnt lgkmcnt(0)
	v_mul_f32_e32 v54, s47, v54
	v_mul_f32_e32 v53, s47, v53
	v_or_b32_e32 v64, v66, v64
	v_or_b32_e32 v63, v65, v63
	v_or_b32_e32 v56, v62, v60
	v_or_b32_e32 v47, v52, v50
	v_or_b32_e32 v48, v51, v49
	v_mul_f32_e32 v49, s47, v59
	v_mul_f32_e32 v46, s47, v46
	v_mul_f32_e32 v45, s47, v45
	v_mul_f32_e32 v50, v5, v53
	v_mul_f32_e32 v51, v6, v54
	v_or_b32_e32 v72, v74, v72
	v_or_b32_e32 v71, v73, v71
	v_mul_f32_e32 v64, s47, v64
	v_mul_f32_e32 v63, s47, v63
	v_or_b32_e32 v67, v69, v67
	v_mul_f32_e32 v56, s47, v56
	v_mul_f32_e32 v48, s47, v48
	;; [unrolled: 1-line block ×3, first 2 shown]
	v_fmac_f32_e32 v50, v1, v45
	v_fmac_f32_e32 v51, v2, v46
	v_or_b32_e32 v80, v82, v80
	v_or_b32_e32 v79, v81, v79
	v_mul_f32_e32 v72, s47, v72
	v_or_b32_e32 v75, v77, v75
	v_mul_f32_e32 v66, s47, v71
	;; [unrolled: 2-line block ×3, first 2 shown]
	v_mul_f32_e32 v47, s47, v47
	v_mul_f32_e32 v46, v8, v56
	v_fmac_f32_e32 v49, v3, v48
	v_fmac_f32_e32 v50, v9, v63
	;; [unrolled: 1-line block ×3, first 2 shown]
	v_or_b32_e32 v88, v90, v88
	v_or_b32_e32 v87, v89, v87
	v_or_b32_e32 v81, v86, v84
	v_or_b32_e32 v83, v85, v83
	v_mul_f32_e32 v80, s47, v80
	v_mul_f32_e32 v74, s47, v79
	v_or_b32_e32 v73, v78, v76
	v_mul_f32_e32 v71, s47, v75
	v_mul_f32_e32 v55, s47, v68
	v_fmac_f32_e32 v46, v4, v47
	v_fmac_f32_e32 v49, v11, v60
	v_fmac_f32_e32 v50, v13, v66
	v_fmac_f32_e32 v51, v14, v72
	v_or_b32_e32 v35, v98, v96
	v_or_b32_e32 v37, v97, v95
	;; [unrolled: 1-line block ×3, first 2 shown]
	v_mul_f32_e32 v88, s47, v88
	v_mul_f32_e32 v87, s47, v87
	;; [unrolled: 1-line block ×5, first 2 shown]
	v_fmac_f32_e32 v46, v12, v55
	v_fmac_f32_e32 v49, v15, v71
	v_fmac_f32_e32 v50, v17, v74
	v_fmac_f32_e32 v51, v18, v80
	v_or_b32_e32 v95, v101, v99
	v_mul_f32_e32 v35, s47, v35
	v_mul_f32_e32 v37, s47, v37
	v_or_b32_e32 v89, v94, v92
	v_mul_f32_e32 v82, s47, v91
	v_or_b32_e32 v53, v104, v58
	v_or_b32_e32 v45, v103, v57
	v_fmac_f32_e32 v46, v16, v65
	v_fmac_f32_e32 v49, v19, v81
	;; [unrolled: 1-line block ×4, first 2 shown]
	v_or_b32_e32 v39, v102, v100
	v_mul_f32_e32 v90, s47, v95
	v_mul_f32_e32 v89, s47, v89
	;; [unrolled: 1-line block ×4, first 2 shown]
	v_or_b32_e32 v53, v107, v105
	v_fmac_f32_e32 v46, v20, v79
	v_fmac_f32_e32 v49, v23, v82
	;; [unrolled: 1-line block ×4, first 2 shown]
	v_mul_f32_e32 v39, s47, v39
	v_add_nc_u32_e32 v52, v121, v114
	v_or_b32_e32 v47, v108, v106
	v_mul_f32_e32 v35, s47, v53
	v_fmac_f32_e32 v46, v24, v89
	v_fmac_f32_e32 v49, v27, v90
	v_fmac_f32_e32 v50, v29, v45
	v_fmac_f32_e32 v51, v30, v48
	v_cvt_f32_i32_e32 v37, v52
	v_mul_f32_e32 v45, s47, v47
	v_fmac_f32_e32 v46, v28, v39
	v_fmac_f32_e32 v49, v31, v35
	v_add_f32_e32 v35, v50, v51
	v_mul_f32_e32 v37, s42, v37
	v_add_nc_u32_e32 v39, v110, v114
	v_fmac_f32_e32 v46, v32, v45
	v_add_f32_e32 v35, v35, v49
	v_cndmask_b32_e32 v37, 0, v37, vcc_lo
	v_cmp_gt_i32_e64 s1, s31, v39
	v_add_f32_e32 v35, v46, v35
	v_fmac_f32_e32 v37, s3, v35
	v_max_f32_e32 v35, v113, v113
	v_max_f32_e32 v35, v35, v37
	v_cndmask_b32_e64 v37, 0, v37, s1
	v_cndmask_b32_e64 v113, v113, v35, s1
	ds_write_b32 v122, v37
.LBB229_15:                             ;   in Loop: Header=BB229_16 Depth=1
	s_or_b32 exec_lo, exec_lo, s2
	v_add_nc_u32_e32 v124, 4, v124
	v_add_co_u32 v43, s2, v43, 16
	v_add_co_ci_u32_e64 v44, null, 0, v44, s2
	v_cmp_le_i32_e64 s1, s20, v124
	v_add_nc_u32_e32 v114, 0x80, v114
	v_add_nc_u32_e32 v122, 0x200, v122
	s_or_b32 s45, s1, s45
	s_andn2_b32 exec_lo, exec_lo, s45
	s_cbranch_execz .LBB229_272
.LBB229_16:                             ; =>This Inner Loop Header: Depth=1
	v_sub_nc_u32_e32 v35, 0, v114
	v_max_i32_e32 v35, v114, v35
	v_mul_hi_u32 v37, v35, s16
	v_mul_lo_u32 v39, v37, s11
	v_sub_nc_u32_e32 v35, v35, v39
	v_add_nc_u32_e32 v39, 1, v37
	v_subrev_nc_u32_e32 v45, s11, v35
	v_cmp_le_u32_e64 s1, s11, v35
	v_cndmask_b32_e64 v37, v37, v39, s1
	v_cndmask_b32_e64 v35, v35, v45, s1
	v_ashrrev_i32_e32 v39, 31, v114
	v_add_nc_u32_e32 v45, 1, v37
	v_cmp_le_u32_e64 s1, s11, v35
	v_xor_b32_e32 v39, s23, v39
	v_cndmask_b32_e64 v35, v37, v45, s1
	v_xor_b32_e32 v35, v35, v39
	v_sub_nc_u32_e32 v35, v35, v39
	v_add_nc_u32_e32 v37, s19, v35
	v_cmp_ge_i32_e64 s2, s4, v35
	v_sub_nc_u32_e32 v39, 0, v37
	v_max_i32_e32 v39, v37, v39
	v_ashrrev_i32_e32 v37, 31, v37
	v_mul_hi_u32 v45, v39, v123
	v_mul_lo_u32 v45, v45, s5
	v_sub_nc_u32_e32 v39, v39, v45
	v_subrev_nc_u32_e32 v45, s5, v39
	v_cmp_le_u32_e64 s1, s5, v39
	v_cndmask_b32_e64 v39, v39, v45, s1
	v_subrev_nc_u32_e32 v45, s5, v39
	v_cmp_le_u32_e64 s1, s5, v39
	v_cndmask_b32_e64 v39, v39, v45, s1
	v_xor_b32_e32 v39, v39, v37
	v_sub_nc_u32_e32 v37, v39, v37
	v_cmp_ne_u32_e64 s1, 0, v37
	s_and_b32 s1, s1, s2
	s_and_saveexec_b32 s2, s1
	s_xor_b32 s1, exec_lo, s2
; %bb.17:                               ;   in Loop: Header=BB229_16 Depth=1
	ds_write_b32 v122, v115
; %bb.18:                               ;   in Loop: Header=BB229_16 Depth=1
	s_andn2_saveexec_b32 s2, s1
	s_cbranch_execz .LBB229_15
; %bb.19:                               ;   in Loop: Header=BB229_16 Depth=1
	global_load_dword v35, v[43:44], off
	s_load_dword s47, s[12:13], 0x0
	v_mov_b32_e32 v47, 0
	v_mov_b32_e32 v45, 0
	;; [unrolled: 1-line block ×4, first 2 shown]
	s_waitcnt vmcnt(0)
	v_mad_i64_i32 v[57:58], null, v35, s46, v[41:42]
	global_load_dword v53, v[57:58], off
	s_waitcnt vmcnt(0)
	v_cmp_ne_u16_sdwa s1, v53, v36 src0_sel:BYTE_0 src1_sel:DWORD
	s_and_saveexec_b32 s48, s1
	s_cbranch_execz .LBB229_27
; %bb.20:                               ;   in Loop: Header=BB229_16 Depth=1
	v_bfrev_b32_e32 v45, 1
	v_mov_b32_e32 v46, 0
	v_cmp_ne_u16_sdwa s1, v53, v116 src0_sel:BYTE_0 src1_sel:DWORD
	s_and_saveexec_b32 s49, s1
	s_cbranch_execz .LBB229_26
; %bb.21:                               ;   in Loop: Header=BB229_16 Depth=1
	v_mov_b32_e32 v45, 0x7f800001
	v_and_b32_e32 v39, 0x7f, v53
	v_mov_b32_e32 v46, 0
	s_mov_b32 s50, exec_lo
	v_cmpx_ne_u32_e32 0x7f, v39
	s_cbranch_execz .LBB229_25
; %bb.22:                               ;   in Loop: Header=BB229_16 Depth=1
	v_and_b32_e32 v35, 7, v53
	v_lshrrev_b32_e32 v37, 3, v39
	s_mov_b32 s51, exec_lo
	v_cmpx_gt_u32_e32 8, v39
; %bb.23:                               ;   in Loop: Header=BB229_16 Depth=1
	v_ffbh_u32_e32 v37, v35
	v_min_u32_e32 v37, 32, v37
	v_subrev_nc_u32_e32 v39, 28, v37
	v_sub_nc_u32_e32 v37, 29, v37
	v_lshlrev_b64 v[45:46], v39, v[35:36]
	v_and_b32_e32 v35, 7, v45
; %bb.24:                               ;   in Loop: Header=BB229_16 Depth=1
	s_or_b32 exec_lo, exec_lo, s51
	v_lshlrev_b32_e32 v39, 24, v53
	v_lshlrev_b32_e32 v35, 20, v35
	v_lshl_add_u32 v37, v37, 23, 0x3c000000
	v_and_b32_e32 v39, 0x80000000, v39
	v_or3_b32 v35, v35, v39, v37
	v_mov_b32_e32 v46, v36
	v_mov_b32_e32 v45, v35
.LBB229_25:                             ;   in Loop: Header=BB229_16 Depth=1
	s_or_b32 exec_lo, exec_lo, s50
.LBB229_26:                             ;   in Loop: Header=BB229_16 Depth=1
	s_or_b32 exec_lo, exec_lo, s49
.LBB229_27:                             ;   in Loop: Header=BB229_16 Depth=1
	s_or_b32 exec_lo, exec_lo, s48
	v_cmp_ne_u16_sdwa s1, v53, v36 src0_sel:BYTE_1 src1_sel:DWORD
	s_and_saveexec_b32 s48, s1
	s_cbranch_execz .LBB229_35
; %bb.28:                               ;   in Loop: Header=BB229_16 Depth=1
	v_mov_b32_e32 v37, v36
	v_mov_b32_e32 v48, v38
	v_cmp_ne_u16_sdwa s1, v53, v116 src0_sel:BYTE_1 src1_sel:DWORD
	v_mov_b32_e32 v47, v37
	s_and_saveexec_b32 s49, s1
	s_cbranch_execz .LBB229_34
; %bb.29:                               ;   in Loop: Header=BB229_16 Depth=1
	v_and_b32_sdwa v35, v117, v53 dst_sel:DWORD dst_unused:UNUSED_PAD src0_sel:DWORD src1_sel:BYTE_1
	v_mov_b32_e32 v39, v36
	v_mov_b32_e32 v48, v40
	s_mov_b32 s50, exec_lo
	v_and_b32_e32 v49, 0x7f, v35
	v_mov_b32_e32 v47, v39
	v_cmpx_ne_u32_e32 0x7f, v49
	s_cbranch_execz .LBB229_33
; %bb.30:                               ;   in Loop: Header=BB229_16 Depth=1
	v_and_b32_e32 v35, 7, v35
	v_lshrrev_b32_e32 v37, 3, v49
	s_mov_b32 s51, exec_lo
	v_cmpx_gt_u32_e32 8, v49
; %bb.31:                               ;   in Loop: Header=BB229_16 Depth=1
	v_ffbh_u32_e32 v37, v35
	v_min_u32_e32 v37, 32, v37
	v_subrev_nc_u32_e32 v39, 28, v37
	v_sub_nc_u32_e32 v37, 29, v37
	v_lshlrev_b64 v[47:48], v39, v[35:36]
	v_and_b32_e32 v35, 7, v47
; %bb.32:                               ;   in Loop: Header=BB229_16 Depth=1
	s_or_b32 exec_lo, exec_lo, s51
	v_lshlrev_b32_e32 v39, 16, v53
	v_lshlrev_b32_e32 v35, 20, v35
	v_lshl_add_u32 v37, v37, 23, 0x3c000000
	v_mov_b32_e32 v47, v36
	v_and_b32_e32 v39, 0x80000000, v39
	v_or3_b32 v48, v35, v39, v37
.LBB229_33:                             ;   in Loop: Header=BB229_16 Depth=1
	s_or_b32 exec_lo, exec_lo, s50
.LBB229_34:                             ;   in Loop: Header=BB229_16 Depth=1
	s_or_b32 exec_lo, exec_lo, s49
.LBB229_35:                             ;   in Loop: Header=BB229_16 Depth=1
	s_or_b32 exec_lo, exec_lo, s48
	v_mov_b32_e32 v51, 0
	v_mov_b32_e32 v49, 0
	v_and_b32_sdwa v35, v53, v118 dst_sel:DWORD dst_unused:UNUSED_PAD src0_sel:WORD_1 src1_sel:DWORD
	v_mov_b32_e32 v52, 0
	v_mov_b32_e32 v50, 0
	s_mov_b32 s48, exec_lo
	v_cmpx_ne_u16_e32 0, v35
	s_cbranch_execz .LBB229_43
; %bb.36:                               ;   in Loop: Header=BB229_16 Depth=1
	v_bfrev_b32_e32 v49, 1
	v_mov_b32_e32 v50, 0
	s_mov_b32 s49, exec_lo
	v_cmpx_ne_u16_e32 0x80, v35
	s_cbranch_execz .LBB229_42
; %bb.37:                               ;   in Loop: Header=BB229_16 Depth=1
	v_mov_b32_e32 v49, 0x7f800001
	v_bfe_u32 v39, v53, 16, 7
	v_mov_b32_e32 v50, 0
	s_mov_b32 s50, exec_lo
	v_cmpx_ne_u32_e32 0x7f, v39
	s_cbranch_execz .LBB229_41
; %bb.38:                               ;   in Loop: Header=BB229_16 Depth=1
	v_and_b32_sdwa v35, v53, v119 dst_sel:DWORD dst_unused:UNUSED_PAD src0_sel:WORD_1 src1_sel:DWORD
	v_lshrrev_b32_e32 v37, 3, v39
	s_mov_b32 s51, exec_lo
	v_cmpx_gt_u32_e32 8, v39
; %bb.39:                               ;   in Loop: Header=BB229_16 Depth=1
	v_ffbh_u32_e32 v37, v35
	v_min_u32_e32 v37, 32, v37
	v_subrev_nc_u32_e32 v39, 28, v37
	v_sub_nc_u32_e32 v37, 29, v37
	v_lshlrev_b64 v[49:50], v39, v[35:36]
	v_and_b32_e32 v35, 7, v49
; %bb.40:                               ;   in Loop: Header=BB229_16 Depth=1
	s_or_b32 exec_lo, exec_lo, s51
	v_lshlrev_b32_sdwa v39, v120, v53 dst_sel:DWORD dst_unused:UNUSED_PAD src0_sel:DWORD src1_sel:WORD_1
	v_lshlrev_b32_e32 v35, 20, v35
	v_lshl_add_u32 v37, v37, 23, 0x3c000000
	v_and_b32_e32 v39, 0x80000000, v39
	v_or3_b32 v35, v35, v39, v37
	v_mov_b32_e32 v50, v36
	v_mov_b32_e32 v49, v35
.LBB229_41:                             ;   in Loop: Header=BB229_16 Depth=1
	s_or_b32 exec_lo, exec_lo, s50
.LBB229_42:                             ;   in Loop: Header=BB229_16 Depth=1
	s_or_b32 exec_lo, exec_lo, s49
.LBB229_43:                             ;   in Loop: Header=BB229_16 Depth=1
	s_or_b32 exec_lo, exec_lo, s48
	s_mov_b32 s48, exec_lo
	v_cmpx_lt_u32_e32 0xffffff, v53
	s_cbranch_execz .LBB229_51
; %bb.44:                               ;   in Loop: Header=BB229_16 Depth=1
	v_mov_b32_e32 v37, v36
	v_mov_b32_e32 v52, v38
	v_cmp_ne_u32_sdwa s1, v53, v116 src0_sel:BYTE_3 src1_sel:DWORD
	v_mov_b32_e32 v51, v37
	s_and_saveexec_b32 s49, s1
	s_cbranch_execz .LBB229_50
; %bb.45:                               ;   in Loop: Header=BB229_16 Depth=1
	v_mov_b32_e32 v39, v36
	v_mov_b32_e32 v52, v40
	v_bfe_u32 v54, v53, 24, 7
	s_mov_b32 s50, exec_lo
	v_mov_b32_e32 v51, v39
	v_cmpx_ne_u32_e32 0x7f, v54
	s_cbranch_execz .LBB229_49
; %bb.46:                               ;   in Loop: Header=BB229_16 Depth=1
	v_and_b32_sdwa v35, v53, v119 dst_sel:DWORD dst_unused:UNUSED_PAD src0_sel:BYTE_3 src1_sel:DWORD
	v_lshrrev_b32_e32 v37, 3, v54
	s_mov_b32 s51, exec_lo
	v_cmpx_gt_u32_e32 8, v54
; %bb.47:                               ;   in Loop: Header=BB229_16 Depth=1
	v_ffbh_u32_e32 v37, v35
	v_min_u32_e32 v37, 32, v37
	v_subrev_nc_u32_e32 v39, 28, v37
	v_sub_nc_u32_e32 v37, 29, v37
	v_lshlrev_b64 v[51:52], v39, v[35:36]
	v_and_b32_e32 v35, 7, v51
; %bb.48:                               ;   in Loop: Header=BB229_16 Depth=1
	s_or_b32 exec_lo, exec_lo, s51
	v_lshlrev_b32_sdwa v39, v120, v53 dst_sel:DWORD dst_unused:UNUSED_PAD src0_sel:DWORD src1_sel:BYTE_3
	v_lshlrev_b32_e32 v35, 20, v35
	v_lshl_add_u32 v37, v37, 23, 0x3c000000
	v_mov_b32_e32 v51, v36
	v_and_b32_e32 v39, 0x80000000, v39
	v_or3_b32 v52, v35, v39, v37
.LBB229_49:                             ;   in Loop: Header=BB229_16 Depth=1
	s_or_b32 exec_lo, exec_lo, s50
.LBB229_50:                             ;   in Loop: Header=BB229_16 Depth=1
	s_or_b32 exec_lo, exec_lo, s49
.LBB229_51:                             ;   in Loop: Header=BB229_16 Depth=1
	s_or_b32 exec_lo, exec_lo, s48
	global_load_dword v63, v[57:58], off offset:4
	v_mov_b32_e32 v55, 0
	v_mov_b32_e32 v53, 0
	;; [unrolled: 1-line block ×4, first 2 shown]
	s_waitcnt vmcnt(0)
	v_cmp_ne_u16_sdwa s1, v63, v36 src0_sel:BYTE_0 src1_sel:DWORD
	s_and_saveexec_b32 s48, s1
	s_cbranch_execz .LBB229_59
; %bb.52:                               ;   in Loop: Header=BB229_16 Depth=1
	v_bfrev_b32_e32 v53, 1
	v_mov_b32_e32 v54, 0
	v_cmp_ne_u16_sdwa s1, v63, v116 src0_sel:BYTE_0 src1_sel:DWORD
	s_and_saveexec_b32 s49, s1
	s_cbranch_execz .LBB229_58
; %bb.53:                               ;   in Loop: Header=BB229_16 Depth=1
	v_mov_b32_e32 v53, 0x7f800001
	v_and_b32_e32 v39, 0x7f, v63
	v_mov_b32_e32 v54, 0
	s_mov_b32 s50, exec_lo
	v_cmpx_ne_u32_e32 0x7f, v39
	s_cbranch_execz .LBB229_57
; %bb.54:                               ;   in Loop: Header=BB229_16 Depth=1
	v_and_b32_e32 v35, 7, v63
	v_lshrrev_b32_e32 v37, 3, v39
	s_mov_b32 s51, exec_lo
	v_cmpx_gt_u32_e32 8, v39
; %bb.55:                               ;   in Loop: Header=BB229_16 Depth=1
	v_ffbh_u32_e32 v37, v35
	v_min_u32_e32 v37, 32, v37
	v_subrev_nc_u32_e32 v39, 28, v37
	v_sub_nc_u32_e32 v37, 29, v37
	v_lshlrev_b64 v[53:54], v39, v[35:36]
	v_and_b32_e32 v35, 7, v53
; %bb.56:                               ;   in Loop: Header=BB229_16 Depth=1
	s_or_b32 exec_lo, exec_lo, s51
	v_lshlrev_b32_e32 v39, 24, v63
	v_lshlrev_b32_e32 v35, 20, v35
	v_lshl_add_u32 v37, v37, 23, 0x3c000000
	v_and_b32_e32 v39, 0x80000000, v39
	v_or3_b32 v35, v35, v39, v37
	v_mov_b32_e32 v54, v36
	v_mov_b32_e32 v53, v35
.LBB229_57:                             ;   in Loop: Header=BB229_16 Depth=1
	s_or_b32 exec_lo, exec_lo, s50
.LBB229_58:                             ;   in Loop: Header=BB229_16 Depth=1
	s_or_b32 exec_lo, exec_lo, s49
.LBB229_59:                             ;   in Loop: Header=BB229_16 Depth=1
	s_or_b32 exec_lo, exec_lo, s48
	v_cmp_ne_u16_sdwa s1, v63, v36 src0_sel:BYTE_1 src1_sel:DWORD
	s_and_saveexec_b32 s48, s1
	s_cbranch_execz .LBB229_67
; %bb.60:                               ;   in Loop: Header=BB229_16 Depth=1
	v_mov_b32_e32 v37, v36
	v_mov_b32_e32 v56, v38
	v_cmp_ne_u16_sdwa s1, v63, v116 src0_sel:BYTE_1 src1_sel:DWORD
	v_mov_b32_e32 v55, v37
	s_and_saveexec_b32 s49, s1
	s_cbranch_execz .LBB229_66
; %bb.61:                               ;   in Loop: Header=BB229_16 Depth=1
	v_and_b32_sdwa v35, v117, v63 dst_sel:DWORD dst_unused:UNUSED_PAD src0_sel:DWORD src1_sel:BYTE_1
	v_mov_b32_e32 v39, v36
	v_mov_b32_e32 v56, v40
	s_mov_b32 s50, exec_lo
	v_and_b32_e32 v59, 0x7f, v35
	v_mov_b32_e32 v55, v39
	v_cmpx_ne_u32_e32 0x7f, v59
	s_cbranch_execz .LBB229_65
; %bb.62:                               ;   in Loop: Header=BB229_16 Depth=1
	v_and_b32_e32 v35, 7, v35
	v_lshrrev_b32_e32 v37, 3, v59
	s_mov_b32 s51, exec_lo
	v_cmpx_gt_u32_e32 8, v59
; %bb.63:                               ;   in Loop: Header=BB229_16 Depth=1
	v_ffbh_u32_e32 v37, v35
	v_min_u32_e32 v37, 32, v37
	v_subrev_nc_u32_e32 v39, 28, v37
	v_sub_nc_u32_e32 v37, 29, v37
	v_lshlrev_b64 v[55:56], v39, v[35:36]
	v_and_b32_e32 v35, 7, v55
; %bb.64:                               ;   in Loop: Header=BB229_16 Depth=1
	s_or_b32 exec_lo, exec_lo, s51
	v_lshlrev_b32_e32 v39, 16, v63
	v_lshlrev_b32_e32 v35, 20, v35
	v_lshl_add_u32 v37, v37, 23, 0x3c000000
	v_mov_b32_e32 v55, v36
	v_and_b32_e32 v39, 0x80000000, v39
	v_or3_b32 v56, v35, v39, v37
.LBB229_65:                             ;   in Loop: Header=BB229_16 Depth=1
	s_or_b32 exec_lo, exec_lo, s50
.LBB229_66:                             ;   in Loop: Header=BB229_16 Depth=1
	s_or_b32 exec_lo, exec_lo, s49
.LBB229_67:                             ;   in Loop: Header=BB229_16 Depth=1
	s_or_b32 exec_lo, exec_lo, s48
	v_mov_b32_e32 v61, 0
	v_mov_b32_e32 v59, 0
	v_and_b32_sdwa v35, v63, v118 dst_sel:DWORD dst_unused:UNUSED_PAD src0_sel:WORD_1 src1_sel:DWORD
	v_mov_b32_e32 v62, 0
	v_mov_b32_e32 v60, 0
	s_mov_b32 s48, exec_lo
	v_cmpx_ne_u16_e32 0, v35
	s_cbranch_execz .LBB229_75
; %bb.68:                               ;   in Loop: Header=BB229_16 Depth=1
	v_bfrev_b32_e32 v59, 1
	v_mov_b32_e32 v60, 0
	s_mov_b32 s49, exec_lo
	v_cmpx_ne_u16_e32 0x80, v35
	s_cbranch_execz .LBB229_74
; %bb.69:                               ;   in Loop: Header=BB229_16 Depth=1
	v_mov_b32_e32 v59, 0x7f800001
	v_bfe_u32 v39, v63, 16, 7
	v_mov_b32_e32 v60, 0
	s_mov_b32 s50, exec_lo
	v_cmpx_ne_u32_e32 0x7f, v39
	s_cbranch_execz .LBB229_73
; %bb.70:                               ;   in Loop: Header=BB229_16 Depth=1
	v_and_b32_sdwa v35, v63, v119 dst_sel:DWORD dst_unused:UNUSED_PAD src0_sel:WORD_1 src1_sel:DWORD
	v_lshrrev_b32_e32 v37, 3, v39
	s_mov_b32 s51, exec_lo
	v_cmpx_gt_u32_e32 8, v39
; %bb.71:                               ;   in Loop: Header=BB229_16 Depth=1
	v_ffbh_u32_e32 v37, v35
	v_min_u32_e32 v37, 32, v37
	v_subrev_nc_u32_e32 v39, 28, v37
	v_sub_nc_u32_e32 v37, 29, v37
	v_lshlrev_b64 v[59:60], v39, v[35:36]
	v_and_b32_e32 v35, 7, v59
; %bb.72:                               ;   in Loop: Header=BB229_16 Depth=1
	s_or_b32 exec_lo, exec_lo, s51
	v_lshlrev_b32_sdwa v39, v120, v63 dst_sel:DWORD dst_unused:UNUSED_PAD src0_sel:DWORD src1_sel:WORD_1
	v_lshlrev_b32_e32 v35, 20, v35
	v_lshl_add_u32 v37, v37, 23, 0x3c000000
	v_and_b32_e32 v39, 0x80000000, v39
	v_or3_b32 v35, v35, v39, v37
	v_mov_b32_e32 v60, v36
	v_mov_b32_e32 v59, v35
.LBB229_73:                             ;   in Loop: Header=BB229_16 Depth=1
	s_or_b32 exec_lo, exec_lo, s50
.LBB229_74:                             ;   in Loop: Header=BB229_16 Depth=1
	s_or_b32 exec_lo, exec_lo, s49
.LBB229_75:                             ;   in Loop: Header=BB229_16 Depth=1
	s_or_b32 exec_lo, exec_lo, s48
	s_mov_b32 s48, exec_lo
	v_cmpx_lt_u32_e32 0xffffff, v63
	s_cbranch_execz .LBB229_83
; %bb.76:                               ;   in Loop: Header=BB229_16 Depth=1
	v_mov_b32_e32 v37, v36
	v_mov_b32_e32 v62, v38
	v_cmp_ne_u32_sdwa s1, v63, v116 src0_sel:BYTE_3 src1_sel:DWORD
	v_mov_b32_e32 v61, v37
	s_and_saveexec_b32 s49, s1
	s_cbranch_execz .LBB229_82
; %bb.77:                               ;   in Loop: Header=BB229_16 Depth=1
	v_mov_b32_e32 v39, v36
	v_mov_b32_e32 v62, v40
	v_bfe_u32 v64, v63, 24, 7
	s_mov_b32 s50, exec_lo
	v_mov_b32_e32 v61, v39
	v_cmpx_ne_u32_e32 0x7f, v64
	s_cbranch_execz .LBB229_81
; %bb.78:                               ;   in Loop: Header=BB229_16 Depth=1
	v_and_b32_sdwa v35, v63, v119 dst_sel:DWORD dst_unused:UNUSED_PAD src0_sel:BYTE_3 src1_sel:DWORD
	v_lshrrev_b32_e32 v37, 3, v64
	s_mov_b32 s51, exec_lo
	v_cmpx_gt_u32_e32 8, v64
; %bb.79:                               ;   in Loop: Header=BB229_16 Depth=1
	v_ffbh_u32_e32 v37, v35
	v_min_u32_e32 v37, 32, v37
	v_subrev_nc_u32_e32 v39, 28, v37
	v_sub_nc_u32_e32 v37, 29, v37
	v_lshlrev_b64 v[61:62], v39, v[35:36]
	v_and_b32_e32 v35, 7, v61
; %bb.80:                               ;   in Loop: Header=BB229_16 Depth=1
	s_or_b32 exec_lo, exec_lo, s51
	v_lshlrev_b32_sdwa v39, v120, v63 dst_sel:DWORD dst_unused:UNUSED_PAD src0_sel:DWORD src1_sel:BYTE_3
	v_lshlrev_b32_e32 v35, 20, v35
	v_lshl_add_u32 v37, v37, 23, 0x3c000000
	v_mov_b32_e32 v61, v36
	v_and_b32_e32 v39, 0x80000000, v39
	v_or3_b32 v62, v35, v39, v37
.LBB229_81:                             ;   in Loop: Header=BB229_16 Depth=1
	s_or_b32 exec_lo, exec_lo, s50
.LBB229_82:                             ;   in Loop: Header=BB229_16 Depth=1
	s_or_b32 exec_lo, exec_lo, s49
.LBB229_83:                             ;   in Loop: Header=BB229_16 Depth=1
	s_or_b32 exec_lo, exec_lo, s48
	global_load_dword v71, v[57:58], off offset:8
	v_mov_b32_e32 v65, 0
	v_mov_b32_e32 v63, 0
	;; [unrolled: 1-line block ×4, first 2 shown]
	s_waitcnt vmcnt(0)
	v_cmp_ne_u16_sdwa s1, v71, v36 src0_sel:BYTE_0 src1_sel:DWORD
	s_and_saveexec_b32 s48, s1
	s_cbranch_execz .LBB229_91
; %bb.84:                               ;   in Loop: Header=BB229_16 Depth=1
	v_bfrev_b32_e32 v63, 1
	v_mov_b32_e32 v64, 0
	v_cmp_ne_u16_sdwa s1, v71, v116 src0_sel:BYTE_0 src1_sel:DWORD
	s_and_saveexec_b32 s49, s1
	s_cbranch_execz .LBB229_90
; %bb.85:                               ;   in Loop: Header=BB229_16 Depth=1
	v_mov_b32_e32 v63, 0x7f800001
	v_and_b32_e32 v39, 0x7f, v71
	v_mov_b32_e32 v64, 0
	s_mov_b32 s50, exec_lo
	v_cmpx_ne_u32_e32 0x7f, v39
	s_cbranch_execz .LBB229_89
; %bb.86:                               ;   in Loop: Header=BB229_16 Depth=1
	v_and_b32_e32 v35, 7, v71
	v_lshrrev_b32_e32 v37, 3, v39
	s_mov_b32 s51, exec_lo
	v_cmpx_gt_u32_e32 8, v39
; %bb.87:                               ;   in Loop: Header=BB229_16 Depth=1
	v_ffbh_u32_e32 v37, v35
	v_min_u32_e32 v37, 32, v37
	v_subrev_nc_u32_e32 v39, 28, v37
	v_sub_nc_u32_e32 v37, 29, v37
	v_lshlrev_b64 v[63:64], v39, v[35:36]
	v_and_b32_e32 v35, 7, v63
; %bb.88:                               ;   in Loop: Header=BB229_16 Depth=1
	s_or_b32 exec_lo, exec_lo, s51
	v_lshlrev_b32_e32 v39, 24, v71
	v_lshlrev_b32_e32 v35, 20, v35
	v_lshl_add_u32 v37, v37, 23, 0x3c000000
	v_and_b32_e32 v39, 0x80000000, v39
	v_or3_b32 v35, v35, v39, v37
	v_mov_b32_e32 v64, v36
	v_mov_b32_e32 v63, v35
.LBB229_89:                             ;   in Loop: Header=BB229_16 Depth=1
	s_or_b32 exec_lo, exec_lo, s50
.LBB229_90:                             ;   in Loop: Header=BB229_16 Depth=1
	s_or_b32 exec_lo, exec_lo, s49
.LBB229_91:                             ;   in Loop: Header=BB229_16 Depth=1
	s_or_b32 exec_lo, exec_lo, s48
	v_cmp_ne_u16_sdwa s1, v71, v36 src0_sel:BYTE_1 src1_sel:DWORD
	s_and_saveexec_b32 s48, s1
	s_cbranch_execz .LBB229_99
; %bb.92:                               ;   in Loop: Header=BB229_16 Depth=1
	v_mov_b32_e32 v37, v36
	v_mov_b32_e32 v66, v38
	v_cmp_ne_u16_sdwa s1, v71, v116 src0_sel:BYTE_1 src1_sel:DWORD
	v_mov_b32_e32 v65, v37
	s_and_saveexec_b32 s49, s1
	s_cbranch_execz .LBB229_98
; %bb.93:                               ;   in Loop: Header=BB229_16 Depth=1
	v_and_b32_sdwa v35, v117, v71 dst_sel:DWORD dst_unused:UNUSED_PAD src0_sel:DWORD src1_sel:BYTE_1
	v_mov_b32_e32 v39, v36
	v_mov_b32_e32 v66, v40
	s_mov_b32 s50, exec_lo
	v_and_b32_e32 v67, 0x7f, v35
	v_mov_b32_e32 v65, v39
	v_cmpx_ne_u32_e32 0x7f, v67
	s_cbranch_execz .LBB229_97
; %bb.94:                               ;   in Loop: Header=BB229_16 Depth=1
	v_and_b32_e32 v35, 7, v35
	v_lshrrev_b32_e32 v37, 3, v67
	s_mov_b32 s51, exec_lo
	v_cmpx_gt_u32_e32 8, v67
; %bb.95:                               ;   in Loop: Header=BB229_16 Depth=1
	v_ffbh_u32_e32 v37, v35
	v_min_u32_e32 v37, 32, v37
	v_subrev_nc_u32_e32 v39, 28, v37
	v_sub_nc_u32_e32 v37, 29, v37
	v_lshlrev_b64 v[65:66], v39, v[35:36]
	v_and_b32_e32 v35, 7, v65
; %bb.96:                               ;   in Loop: Header=BB229_16 Depth=1
	s_or_b32 exec_lo, exec_lo, s51
	v_lshlrev_b32_e32 v39, 16, v71
	v_lshlrev_b32_e32 v35, 20, v35
	v_lshl_add_u32 v37, v37, 23, 0x3c000000
	v_mov_b32_e32 v65, v36
	v_and_b32_e32 v39, 0x80000000, v39
	v_or3_b32 v66, v35, v39, v37
.LBB229_97:                             ;   in Loop: Header=BB229_16 Depth=1
	s_or_b32 exec_lo, exec_lo, s50
.LBB229_98:                             ;   in Loop: Header=BB229_16 Depth=1
	s_or_b32 exec_lo, exec_lo, s49
.LBB229_99:                             ;   in Loop: Header=BB229_16 Depth=1
	s_or_b32 exec_lo, exec_lo, s48
	v_mov_b32_e32 v69, 0
	v_mov_b32_e32 v67, 0
	v_and_b32_sdwa v35, v71, v118 dst_sel:DWORD dst_unused:UNUSED_PAD src0_sel:WORD_1 src1_sel:DWORD
	v_mov_b32_e32 v70, 0
	v_mov_b32_e32 v68, 0
	s_mov_b32 s48, exec_lo
	v_cmpx_ne_u16_e32 0, v35
	s_cbranch_execz .LBB229_107
; %bb.100:                              ;   in Loop: Header=BB229_16 Depth=1
	v_bfrev_b32_e32 v67, 1
	v_mov_b32_e32 v68, 0
	s_mov_b32 s49, exec_lo
	v_cmpx_ne_u16_e32 0x80, v35
	s_cbranch_execz .LBB229_106
; %bb.101:                              ;   in Loop: Header=BB229_16 Depth=1
	v_mov_b32_e32 v67, 0x7f800001
	v_bfe_u32 v39, v71, 16, 7
	v_mov_b32_e32 v68, 0
	s_mov_b32 s50, exec_lo
	v_cmpx_ne_u32_e32 0x7f, v39
	s_cbranch_execz .LBB229_105
; %bb.102:                              ;   in Loop: Header=BB229_16 Depth=1
	v_and_b32_sdwa v35, v71, v119 dst_sel:DWORD dst_unused:UNUSED_PAD src0_sel:WORD_1 src1_sel:DWORD
	v_lshrrev_b32_e32 v37, 3, v39
	s_mov_b32 s51, exec_lo
	v_cmpx_gt_u32_e32 8, v39
; %bb.103:                              ;   in Loop: Header=BB229_16 Depth=1
	v_ffbh_u32_e32 v37, v35
	v_min_u32_e32 v37, 32, v37
	v_subrev_nc_u32_e32 v39, 28, v37
	v_sub_nc_u32_e32 v37, 29, v37
	v_lshlrev_b64 v[67:68], v39, v[35:36]
	v_and_b32_e32 v35, 7, v67
; %bb.104:                              ;   in Loop: Header=BB229_16 Depth=1
	s_or_b32 exec_lo, exec_lo, s51
	v_lshlrev_b32_sdwa v39, v120, v71 dst_sel:DWORD dst_unused:UNUSED_PAD src0_sel:DWORD src1_sel:WORD_1
	v_lshlrev_b32_e32 v35, 20, v35
	v_lshl_add_u32 v37, v37, 23, 0x3c000000
	v_and_b32_e32 v39, 0x80000000, v39
	v_or3_b32 v35, v35, v39, v37
	v_mov_b32_e32 v68, v36
	v_mov_b32_e32 v67, v35
.LBB229_105:                            ;   in Loop: Header=BB229_16 Depth=1
	s_or_b32 exec_lo, exec_lo, s50
.LBB229_106:                            ;   in Loop: Header=BB229_16 Depth=1
	s_or_b32 exec_lo, exec_lo, s49
.LBB229_107:                            ;   in Loop: Header=BB229_16 Depth=1
	s_or_b32 exec_lo, exec_lo, s48
	s_mov_b32 s48, exec_lo
	v_cmpx_lt_u32_e32 0xffffff, v71
	s_cbranch_execz .LBB229_115
; %bb.108:                              ;   in Loop: Header=BB229_16 Depth=1
	v_mov_b32_e32 v37, v36
	v_mov_b32_e32 v70, v38
	v_cmp_ne_u32_sdwa s1, v71, v116 src0_sel:BYTE_3 src1_sel:DWORD
	v_mov_b32_e32 v69, v37
	s_and_saveexec_b32 s49, s1
	s_cbranch_execz .LBB229_114
; %bb.109:                              ;   in Loop: Header=BB229_16 Depth=1
	v_mov_b32_e32 v39, v36
	v_mov_b32_e32 v70, v40
	v_bfe_u32 v72, v71, 24, 7
	s_mov_b32 s50, exec_lo
	v_mov_b32_e32 v69, v39
	v_cmpx_ne_u32_e32 0x7f, v72
	s_cbranch_execz .LBB229_113
; %bb.110:                              ;   in Loop: Header=BB229_16 Depth=1
	v_and_b32_sdwa v35, v71, v119 dst_sel:DWORD dst_unused:UNUSED_PAD src0_sel:BYTE_3 src1_sel:DWORD
	v_lshrrev_b32_e32 v37, 3, v72
	s_mov_b32 s51, exec_lo
	v_cmpx_gt_u32_e32 8, v72
; %bb.111:                              ;   in Loop: Header=BB229_16 Depth=1
	v_ffbh_u32_e32 v37, v35
	v_min_u32_e32 v37, 32, v37
	v_subrev_nc_u32_e32 v39, 28, v37
	v_sub_nc_u32_e32 v37, 29, v37
	v_lshlrev_b64 v[69:70], v39, v[35:36]
	v_and_b32_e32 v35, 7, v69
; %bb.112:                              ;   in Loop: Header=BB229_16 Depth=1
	s_or_b32 exec_lo, exec_lo, s51
	v_lshlrev_b32_sdwa v39, v120, v71 dst_sel:DWORD dst_unused:UNUSED_PAD src0_sel:DWORD src1_sel:BYTE_3
	v_lshlrev_b32_e32 v35, 20, v35
	v_lshl_add_u32 v37, v37, 23, 0x3c000000
	v_mov_b32_e32 v69, v36
	v_and_b32_e32 v39, 0x80000000, v39
	v_or3_b32 v70, v35, v39, v37
.LBB229_113:                            ;   in Loop: Header=BB229_16 Depth=1
	s_or_b32 exec_lo, exec_lo, s50
.LBB229_114:                            ;   in Loop: Header=BB229_16 Depth=1
	s_or_b32 exec_lo, exec_lo, s49
.LBB229_115:                            ;   in Loop: Header=BB229_16 Depth=1
	s_or_b32 exec_lo, exec_lo, s48
	global_load_dword v79, v[57:58], off offset:12
	v_mov_b32_e32 v73, 0
	v_mov_b32_e32 v71, 0
	;; [unrolled: 1-line block ×4, first 2 shown]
	s_waitcnt vmcnt(0)
	v_cmp_ne_u16_sdwa s1, v79, v36 src0_sel:BYTE_0 src1_sel:DWORD
	s_and_saveexec_b32 s48, s1
	s_cbranch_execz .LBB229_123
; %bb.116:                              ;   in Loop: Header=BB229_16 Depth=1
	v_bfrev_b32_e32 v71, 1
	v_mov_b32_e32 v72, 0
	v_cmp_ne_u16_sdwa s1, v79, v116 src0_sel:BYTE_0 src1_sel:DWORD
	s_and_saveexec_b32 s49, s1
	s_cbranch_execz .LBB229_122
; %bb.117:                              ;   in Loop: Header=BB229_16 Depth=1
	v_mov_b32_e32 v71, 0x7f800001
	v_and_b32_e32 v39, 0x7f, v79
	v_mov_b32_e32 v72, 0
	s_mov_b32 s50, exec_lo
	v_cmpx_ne_u32_e32 0x7f, v39
	s_cbranch_execz .LBB229_121
; %bb.118:                              ;   in Loop: Header=BB229_16 Depth=1
	v_and_b32_e32 v35, 7, v79
	v_lshrrev_b32_e32 v37, 3, v39
	s_mov_b32 s51, exec_lo
	v_cmpx_gt_u32_e32 8, v39
; %bb.119:                              ;   in Loop: Header=BB229_16 Depth=1
	v_ffbh_u32_e32 v37, v35
	v_min_u32_e32 v37, 32, v37
	v_subrev_nc_u32_e32 v39, 28, v37
	v_sub_nc_u32_e32 v37, 29, v37
	v_lshlrev_b64 v[71:72], v39, v[35:36]
	v_and_b32_e32 v35, 7, v71
; %bb.120:                              ;   in Loop: Header=BB229_16 Depth=1
	s_or_b32 exec_lo, exec_lo, s51
	v_lshlrev_b32_e32 v39, 24, v79
	v_lshlrev_b32_e32 v35, 20, v35
	v_lshl_add_u32 v37, v37, 23, 0x3c000000
	v_and_b32_e32 v39, 0x80000000, v39
	v_or3_b32 v35, v35, v39, v37
	v_mov_b32_e32 v72, v36
	v_mov_b32_e32 v71, v35
.LBB229_121:                            ;   in Loop: Header=BB229_16 Depth=1
	s_or_b32 exec_lo, exec_lo, s50
.LBB229_122:                            ;   in Loop: Header=BB229_16 Depth=1
	s_or_b32 exec_lo, exec_lo, s49
.LBB229_123:                            ;   in Loop: Header=BB229_16 Depth=1
	s_or_b32 exec_lo, exec_lo, s48
	v_cmp_ne_u16_sdwa s1, v79, v36 src0_sel:BYTE_1 src1_sel:DWORD
	s_and_saveexec_b32 s48, s1
	s_cbranch_execz .LBB229_131
; %bb.124:                              ;   in Loop: Header=BB229_16 Depth=1
	v_mov_b32_e32 v37, v36
	v_mov_b32_e32 v74, v38
	v_cmp_ne_u16_sdwa s1, v79, v116 src0_sel:BYTE_1 src1_sel:DWORD
	v_mov_b32_e32 v73, v37
	s_and_saveexec_b32 s49, s1
	s_cbranch_execz .LBB229_130
; %bb.125:                              ;   in Loop: Header=BB229_16 Depth=1
	v_and_b32_sdwa v35, v117, v79 dst_sel:DWORD dst_unused:UNUSED_PAD src0_sel:DWORD src1_sel:BYTE_1
	v_mov_b32_e32 v39, v36
	v_mov_b32_e32 v74, v40
	s_mov_b32 s50, exec_lo
	v_and_b32_e32 v75, 0x7f, v35
	v_mov_b32_e32 v73, v39
	v_cmpx_ne_u32_e32 0x7f, v75
	s_cbranch_execz .LBB229_129
; %bb.126:                              ;   in Loop: Header=BB229_16 Depth=1
	v_and_b32_e32 v35, 7, v35
	v_lshrrev_b32_e32 v37, 3, v75
	s_mov_b32 s51, exec_lo
	v_cmpx_gt_u32_e32 8, v75
; %bb.127:                              ;   in Loop: Header=BB229_16 Depth=1
	v_ffbh_u32_e32 v37, v35
	v_min_u32_e32 v37, 32, v37
	v_subrev_nc_u32_e32 v39, 28, v37
	v_sub_nc_u32_e32 v37, 29, v37
	v_lshlrev_b64 v[73:74], v39, v[35:36]
	v_and_b32_e32 v35, 7, v73
; %bb.128:                              ;   in Loop: Header=BB229_16 Depth=1
	s_or_b32 exec_lo, exec_lo, s51
	v_lshlrev_b32_e32 v39, 16, v79
	v_lshlrev_b32_e32 v35, 20, v35
	v_lshl_add_u32 v37, v37, 23, 0x3c000000
	v_mov_b32_e32 v73, v36
	v_and_b32_e32 v39, 0x80000000, v39
	v_or3_b32 v74, v35, v39, v37
.LBB229_129:                            ;   in Loop: Header=BB229_16 Depth=1
	s_or_b32 exec_lo, exec_lo, s50
.LBB229_130:                            ;   in Loop: Header=BB229_16 Depth=1
	s_or_b32 exec_lo, exec_lo, s49
.LBB229_131:                            ;   in Loop: Header=BB229_16 Depth=1
	s_or_b32 exec_lo, exec_lo, s48
	v_mov_b32_e32 v77, 0
	v_mov_b32_e32 v75, 0
	v_and_b32_sdwa v35, v79, v118 dst_sel:DWORD dst_unused:UNUSED_PAD src0_sel:WORD_1 src1_sel:DWORD
	v_mov_b32_e32 v78, 0
	v_mov_b32_e32 v76, 0
	s_mov_b32 s48, exec_lo
	v_cmpx_ne_u16_e32 0, v35
	s_cbranch_execz .LBB229_139
; %bb.132:                              ;   in Loop: Header=BB229_16 Depth=1
	v_bfrev_b32_e32 v75, 1
	v_mov_b32_e32 v76, 0
	s_mov_b32 s49, exec_lo
	v_cmpx_ne_u16_e32 0x80, v35
	s_cbranch_execz .LBB229_138
; %bb.133:                              ;   in Loop: Header=BB229_16 Depth=1
	v_mov_b32_e32 v75, 0x7f800001
	v_bfe_u32 v39, v79, 16, 7
	v_mov_b32_e32 v76, 0
	s_mov_b32 s50, exec_lo
	v_cmpx_ne_u32_e32 0x7f, v39
	s_cbranch_execz .LBB229_137
; %bb.134:                              ;   in Loop: Header=BB229_16 Depth=1
	v_and_b32_sdwa v35, v79, v119 dst_sel:DWORD dst_unused:UNUSED_PAD src0_sel:WORD_1 src1_sel:DWORD
	v_lshrrev_b32_e32 v37, 3, v39
	s_mov_b32 s51, exec_lo
	v_cmpx_gt_u32_e32 8, v39
; %bb.135:                              ;   in Loop: Header=BB229_16 Depth=1
	v_ffbh_u32_e32 v37, v35
	v_min_u32_e32 v37, 32, v37
	v_subrev_nc_u32_e32 v39, 28, v37
	v_sub_nc_u32_e32 v37, 29, v37
	v_lshlrev_b64 v[75:76], v39, v[35:36]
	v_and_b32_e32 v35, 7, v75
; %bb.136:                              ;   in Loop: Header=BB229_16 Depth=1
	s_or_b32 exec_lo, exec_lo, s51
	v_lshlrev_b32_sdwa v39, v120, v79 dst_sel:DWORD dst_unused:UNUSED_PAD src0_sel:DWORD src1_sel:WORD_1
	v_lshlrev_b32_e32 v35, 20, v35
	v_lshl_add_u32 v37, v37, 23, 0x3c000000
	v_and_b32_e32 v39, 0x80000000, v39
	v_or3_b32 v35, v35, v39, v37
	v_mov_b32_e32 v76, v36
	v_mov_b32_e32 v75, v35
.LBB229_137:                            ;   in Loop: Header=BB229_16 Depth=1
	s_or_b32 exec_lo, exec_lo, s50
.LBB229_138:                            ;   in Loop: Header=BB229_16 Depth=1
	s_or_b32 exec_lo, exec_lo, s49
.LBB229_139:                            ;   in Loop: Header=BB229_16 Depth=1
	s_or_b32 exec_lo, exec_lo, s48
	s_mov_b32 s48, exec_lo
	v_cmpx_lt_u32_e32 0xffffff, v79
	s_cbranch_execz .LBB229_147
; %bb.140:                              ;   in Loop: Header=BB229_16 Depth=1
	v_mov_b32_e32 v37, v36
	v_mov_b32_e32 v78, v38
	v_cmp_ne_u32_sdwa s1, v79, v116 src0_sel:BYTE_3 src1_sel:DWORD
	v_mov_b32_e32 v77, v37
	s_and_saveexec_b32 s49, s1
	s_cbranch_execz .LBB229_146
; %bb.141:                              ;   in Loop: Header=BB229_16 Depth=1
	v_mov_b32_e32 v39, v36
	v_mov_b32_e32 v78, v40
	v_bfe_u32 v80, v79, 24, 7
	s_mov_b32 s50, exec_lo
	v_mov_b32_e32 v77, v39
	v_cmpx_ne_u32_e32 0x7f, v80
	s_cbranch_execz .LBB229_145
; %bb.142:                              ;   in Loop: Header=BB229_16 Depth=1
	v_and_b32_sdwa v35, v79, v119 dst_sel:DWORD dst_unused:UNUSED_PAD src0_sel:BYTE_3 src1_sel:DWORD
	v_lshrrev_b32_e32 v37, 3, v80
	s_mov_b32 s51, exec_lo
	v_cmpx_gt_u32_e32 8, v80
; %bb.143:                              ;   in Loop: Header=BB229_16 Depth=1
	v_ffbh_u32_e32 v37, v35
	v_min_u32_e32 v37, 32, v37
	v_subrev_nc_u32_e32 v39, 28, v37
	v_sub_nc_u32_e32 v37, 29, v37
	v_lshlrev_b64 v[77:78], v39, v[35:36]
	v_and_b32_e32 v35, 7, v77
; %bb.144:                              ;   in Loop: Header=BB229_16 Depth=1
	s_or_b32 exec_lo, exec_lo, s51
	v_lshlrev_b32_sdwa v39, v120, v79 dst_sel:DWORD dst_unused:UNUSED_PAD src0_sel:DWORD src1_sel:BYTE_3
	v_lshlrev_b32_e32 v35, 20, v35
	v_lshl_add_u32 v37, v37, 23, 0x3c000000
	v_mov_b32_e32 v77, v36
	v_and_b32_e32 v39, 0x80000000, v39
	v_or3_b32 v78, v35, v39, v37
.LBB229_145:                            ;   in Loop: Header=BB229_16 Depth=1
	s_or_b32 exec_lo, exec_lo, s50
.LBB229_146:                            ;   in Loop: Header=BB229_16 Depth=1
	s_or_b32 exec_lo, exec_lo, s49
.LBB229_147:                            ;   in Loop: Header=BB229_16 Depth=1
	s_or_b32 exec_lo, exec_lo, s48
	global_load_dword v87, v[57:58], off offset:512
	v_mov_b32_e32 v81, 0
	v_mov_b32_e32 v79, 0
	;; [unrolled: 1-line block ×4, first 2 shown]
	s_waitcnt vmcnt(0)
	v_cmp_ne_u16_sdwa s1, v87, v36 src0_sel:BYTE_0 src1_sel:DWORD
	s_and_saveexec_b32 s48, s1
	s_cbranch_execz .LBB229_155
; %bb.148:                              ;   in Loop: Header=BB229_16 Depth=1
	v_bfrev_b32_e32 v79, 1
	v_mov_b32_e32 v80, 0
	v_cmp_ne_u16_sdwa s1, v87, v116 src0_sel:BYTE_0 src1_sel:DWORD
	s_and_saveexec_b32 s49, s1
	s_cbranch_execz .LBB229_154
; %bb.149:                              ;   in Loop: Header=BB229_16 Depth=1
	v_mov_b32_e32 v79, 0x7f800001
	v_and_b32_e32 v39, 0x7f, v87
	v_mov_b32_e32 v80, 0
	s_mov_b32 s50, exec_lo
	v_cmpx_ne_u32_e32 0x7f, v39
	s_cbranch_execz .LBB229_153
; %bb.150:                              ;   in Loop: Header=BB229_16 Depth=1
	v_and_b32_e32 v35, 7, v87
	v_lshrrev_b32_e32 v37, 3, v39
	s_mov_b32 s51, exec_lo
	v_cmpx_gt_u32_e32 8, v39
; %bb.151:                              ;   in Loop: Header=BB229_16 Depth=1
	v_ffbh_u32_e32 v37, v35
	v_min_u32_e32 v37, 32, v37
	v_subrev_nc_u32_e32 v39, 28, v37
	v_sub_nc_u32_e32 v37, 29, v37
	v_lshlrev_b64 v[79:80], v39, v[35:36]
	v_and_b32_e32 v35, 7, v79
; %bb.152:                              ;   in Loop: Header=BB229_16 Depth=1
	s_or_b32 exec_lo, exec_lo, s51
	v_lshlrev_b32_e32 v39, 24, v87
	v_lshlrev_b32_e32 v35, 20, v35
	v_lshl_add_u32 v37, v37, 23, 0x3c000000
	v_and_b32_e32 v39, 0x80000000, v39
	v_or3_b32 v35, v35, v39, v37
	v_mov_b32_e32 v80, v36
	v_mov_b32_e32 v79, v35
.LBB229_153:                            ;   in Loop: Header=BB229_16 Depth=1
	s_or_b32 exec_lo, exec_lo, s50
.LBB229_154:                            ;   in Loop: Header=BB229_16 Depth=1
	s_or_b32 exec_lo, exec_lo, s49
.LBB229_155:                            ;   in Loop: Header=BB229_16 Depth=1
	s_or_b32 exec_lo, exec_lo, s48
	v_cmp_ne_u16_sdwa s1, v87, v36 src0_sel:BYTE_1 src1_sel:DWORD
	s_and_saveexec_b32 s48, s1
	s_cbranch_execz .LBB229_163
; %bb.156:                              ;   in Loop: Header=BB229_16 Depth=1
	v_mov_b32_e32 v37, v36
	v_mov_b32_e32 v82, v38
	v_cmp_ne_u16_sdwa s1, v87, v116 src0_sel:BYTE_1 src1_sel:DWORD
	v_mov_b32_e32 v81, v37
	s_and_saveexec_b32 s49, s1
	s_cbranch_execz .LBB229_162
; %bb.157:                              ;   in Loop: Header=BB229_16 Depth=1
	v_and_b32_sdwa v35, v117, v87 dst_sel:DWORD dst_unused:UNUSED_PAD src0_sel:DWORD src1_sel:BYTE_1
	v_mov_b32_e32 v39, v36
	v_mov_b32_e32 v82, v40
	s_mov_b32 s50, exec_lo
	v_and_b32_e32 v83, 0x7f, v35
	v_mov_b32_e32 v81, v39
	v_cmpx_ne_u32_e32 0x7f, v83
	s_cbranch_execz .LBB229_161
; %bb.158:                              ;   in Loop: Header=BB229_16 Depth=1
	v_and_b32_e32 v35, 7, v35
	v_lshrrev_b32_e32 v37, 3, v83
	s_mov_b32 s51, exec_lo
	v_cmpx_gt_u32_e32 8, v83
; %bb.159:                              ;   in Loop: Header=BB229_16 Depth=1
	v_ffbh_u32_e32 v37, v35
	v_min_u32_e32 v37, 32, v37
	v_subrev_nc_u32_e32 v39, 28, v37
	v_sub_nc_u32_e32 v37, 29, v37
	v_lshlrev_b64 v[81:82], v39, v[35:36]
	v_and_b32_e32 v35, 7, v81
; %bb.160:                              ;   in Loop: Header=BB229_16 Depth=1
	s_or_b32 exec_lo, exec_lo, s51
	v_lshlrev_b32_e32 v39, 16, v87
	v_lshlrev_b32_e32 v35, 20, v35
	v_lshl_add_u32 v37, v37, 23, 0x3c000000
	v_mov_b32_e32 v81, v36
	v_and_b32_e32 v39, 0x80000000, v39
	v_or3_b32 v82, v35, v39, v37
.LBB229_161:                            ;   in Loop: Header=BB229_16 Depth=1
	s_or_b32 exec_lo, exec_lo, s50
.LBB229_162:                            ;   in Loop: Header=BB229_16 Depth=1
	s_or_b32 exec_lo, exec_lo, s49
.LBB229_163:                            ;   in Loop: Header=BB229_16 Depth=1
	s_or_b32 exec_lo, exec_lo, s48
	v_mov_b32_e32 v85, 0
	v_mov_b32_e32 v83, 0
	v_and_b32_sdwa v35, v87, v118 dst_sel:DWORD dst_unused:UNUSED_PAD src0_sel:WORD_1 src1_sel:DWORD
	v_mov_b32_e32 v86, 0
	v_mov_b32_e32 v84, 0
	s_mov_b32 s48, exec_lo
	v_cmpx_ne_u16_e32 0, v35
	s_cbranch_execz .LBB229_171
; %bb.164:                              ;   in Loop: Header=BB229_16 Depth=1
	v_bfrev_b32_e32 v83, 1
	v_mov_b32_e32 v84, 0
	s_mov_b32 s49, exec_lo
	v_cmpx_ne_u16_e32 0x80, v35
	s_cbranch_execz .LBB229_170
; %bb.165:                              ;   in Loop: Header=BB229_16 Depth=1
	v_mov_b32_e32 v83, 0x7f800001
	v_bfe_u32 v39, v87, 16, 7
	v_mov_b32_e32 v84, 0
	s_mov_b32 s50, exec_lo
	v_cmpx_ne_u32_e32 0x7f, v39
	s_cbranch_execz .LBB229_169
; %bb.166:                              ;   in Loop: Header=BB229_16 Depth=1
	v_and_b32_sdwa v35, v87, v119 dst_sel:DWORD dst_unused:UNUSED_PAD src0_sel:WORD_1 src1_sel:DWORD
	v_lshrrev_b32_e32 v37, 3, v39
	s_mov_b32 s51, exec_lo
	v_cmpx_gt_u32_e32 8, v39
; %bb.167:                              ;   in Loop: Header=BB229_16 Depth=1
	v_ffbh_u32_e32 v37, v35
	v_min_u32_e32 v37, 32, v37
	v_subrev_nc_u32_e32 v39, 28, v37
	v_sub_nc_u32_e32 v37, 29, v37
	v_lshlrev_b64 v[83:84], v39, v[35:36]
	v_and_b32_e32 v35, 7, v83
; %bb.168:                              ;   in Loop: Header=BB229_16 Depth=1
	s_or_b32 exec_lo, exec_lo, s51
	v_lshlrev_b32_sdwa v39, v120, v87 dst_sel:DWORD dst_unused:UNUSED_PAD src0_sel:DWORD src1_sel:WORD_1
	v_lshlrev_b32_e32 v35, 20, v35
	v_lshl_add_u32 v37, v37, 23, 0x3c000000
	v_and_b32_e32 v39, 0x80000000, v39
	v_or3_b32 v35, v35, v39, v37
	v_mov_b32_e32 v84, v36
	v_mov_b32_e32 v83, v35
.LBB229_169:                            ;   in Loop: Header=BB229_16 Depth=1
	s_or_b32 exec_lo, exec_lo, s50
.LBB229_170:                            ;   in Loop: Header=BB229_16 Depth=1
	s_or_b32 exec_lo, exec_lo, s49
.LBB229_171:                            ;   in Loop: Header=BB229_16 Depth=1
	s_or_b32 exec_lo, exec_lo, s48
	s_mov_b32 s48, exec_lo
	v_cmpx_lt_u32_e32 0xffffff, v87
	s_cbranch_execz .LBB229_179
; %bb.172:                              ;   in Loop: Header=BB229_16 Depth=1
	v_mov_b32_e32 v37, v36
	v_mov_b32_e32 v86, v38
	v_cmp_ne_u32_sdwa s1, v87, v116 src0_sel:BYTE_3 src1_sel:DWORD
	v_mov_b32_e32 v85, v37
	s_and_saveexec_b32 s49, s1
	s_cbranch_execz .LBB229_178
; %bb.173:                              ;   in Loop: Header=BB229_16 Depth=1
	v_mov_b32_e32 v39, v36
	v_mov_b32_e32 v86, v40
	v_bfe_u32 v88, v87, 24, 7
	s_mov_b32 s50, exec_lo
	v_mov_b32_e32 v85, v39
	v_cmpx_ne_u32_e32 0x7f, v88
	s_cbranch_execz .LBB229_177
; %bb.174:                              ;   in Loop: Header=BB229_16 Depth=1
	v_and_b32_sdwa v35, v87, v119 dst_sel:DWORD dst_unused:UNUSED_PAD src0_sel:BYTE_3 src1_sel:DWORD
	v_lshrrev_b32_e32 v37, 3, v88
	s_mov_b32 s51, exec_lo
	v_cmpx_gt_u32_e32 8, v88
; %bb.175:                              ;   in Loop: Header=BB229_16 Depth=1
	v_ffbh_u32_e32 v37, v35
	v_min_u32_e32 v37, 32, v37
	v_subrev_nc_u32_e32 v39, 28, v37
	v_sub_nc_u32_e32 v37, 29, v37
	v_lshlrev_b64 v[85:86], v39, v[35:36]
	v_and_b32_e32 v35, 7, v85
; %bb.176:                              ;   in Loop: Header=BB229_16 Depth=1
	s_or_b32 exec_lo, exec_lo, s51
	v_lshlrev_b32_sdwa v39, v120, v87 dst_sel:DWORD dst_unused:UNUSED_PAD src0_sel:DWORD src1_sel:BYTE_3
	v_lshlrev_b32_e32 v35, 20, v35
	v_lshl_add_u32 v37, v37, 23, 0x3c000000
	v_mov_b32_e32 v85, v36
	v_and_b32_e32 v39, 0x80000000, v39
	v_or3_b32 v86, v35, v39, v37
.LBB229_177:                            ;   in Loop: Header=BB229_16 Depth=1
	s_or_b32 exec_lo, exec_lo, s50
.LBB229_178:                            ;   in Loop: Header=BB229_16 Depth=1
	s_or_b32 exec_lo, exec_lo, s49
.LBB229_179:                            ;   in Loop: Header=BB229_16 Depth=1
	s_or_b32 exec_lo, exec_lo, s48
	global_load_dword v95, v[57:58], off offset:516
	v_mov_b32_e32 v89, 0
	v_mov_b32_e32 v87, 0
	;; [unrolled: 1-line block ×4, first 2 shown]
	s_waitcnt vmcnt(0)
	v_cmp_ne_u16_sdwa s1, v95, v36 src0_sel:BYTE_0 src1_sel:DWORD
	s_and_saveexec_b32 s48, s1
	s_cbranch_execz .LBB229_187
; %bb.180:                              ;   in Loop: Header=BB229_16 Depth=1
	v_bfrev_b32_e32 v87, 1
	v_mov_b32_e32 v88, 0
	v_cmp_ne_u16_sdwa s1, v95, v116 src0_sel:BYTE_0 src1_sel:DWORD
	s_and_saveexec_b32 s49, s1
	s_cbranch_execz .LBB229_186
; %bb.181:                              ;   in Loop: Header=BB229_16 Depth=1
	v_mov_b32_e32 v87, 0x7f800001
	v_and_b32_e32 v39, 0x7f, v95
	v_mov_b32_e32 v88, 0
	s_mov_b32 s50, exec_lo
	v_cmpx_ne_u32_e32 0x7f, v39
	s_cbranch_execz .LBB229_185
; %bb.182:                              ;   in Loop: Header=BB229_16 Depth=1
	v_and_b32_e32 v35, 7, v95
	v_lshrrev_b32_e32 v37, 3, v39
	s_mov_b32 s51, exec_lo
	v_cmpx_gt_u32_e32 8, v39
; %bb.183:                              ;   in Loop: Header=BB229_16 Depth=1
	v_ffbh_u32_e32 v37, v35
	v_min_u32_e32 v37, 32, v37
	v_subrev_nc_u32_e32 v39, 28, v37
	v_sub_nc_u32_e32 v37, 29, v37
	v_lshlrev_b64 v[87:88], v39, v[35:36]
	v_and_b32_e32 v35, 7, v87
; %bb.184:                              ;   in Loop: Header=BB229_16 Depth=1
	s_or_b32 exec_lo, exec_lo, s51
	v_lshlrev_b32_e32 v39, 24, v95
	v_lshlrev_b32_e32 v35, 20, v35
	v_lshl_add_u32 v37, v37, 23, 0x3c000000
	v_and_b32_e32 v39, 0x80000000, v39
	v_or3_b32 v35, v35, v39, v37
	v_mov_b32_e32 v88, v36
	v_mov_b32_e32 v87, v35
.LBB229_185:                            ;   in Loop: Header=BB229_16 Depth=1
	s_or_b32 exec_lo, exec_lo, s50
.LBB229_186:                            ;   in Loop: Header=BB229_16 Depth=1
	s_or_b32 exec_lo, exec_lo, s49
.LBB229_187:                            ;   in Loop: Header=BB229_16 Depth=1
	s_or_b32 exec_lo, exec_lo, s48
	v_cmp_ne_u16_sdwa s1, v95, v36 src0_sel:BYTE_1 src1_sel:DWORD
	s_and_saveexec_b32 s48, s1
	s_cbranch_execz .LBB229_195
; %bb.188:                              ;   in Loop: Header=BB229_16 Depth=1
	v_mov_b32_e32 v37, v36
	v_mov_b32_e32 v90, v38
	v_cmp_ne_u16_sdwa s1, v95, v116 src0_sel:BYTE_1 src1_sel:DWORD
	v_mov_b32_e32 v89, v37
	s_and_saveexec_b32 s49, s1
	s_cbranch_execz .LBB229_194
; %bb.189:                              ;   in Loop: Header=BB229_16 Depth=1
	v_and_b32_sdwa v35, v117, v95 dst_sel:DWORD dst_unused:UNUSED_PAD src0_sel:DWORD src1_sel:BYTE_1
	v_mov_b32_e32 v39, v36
	v_mov_b32_e32 v90, v40
	s_mov_b32 s50, exec_lo
	v_and_b32_e32 v91, 0x7f, v35
	v_mov_b32_e32 v89, v39
	v_cmpx_ne_u32_e32 0x7f, v91
	s_cbranch_execz .LBB229_193
; %bb.190:                              ;   in Loop: Header=BB229_16 Depth=1
	v_and_b32_e32 v35, 7, v35
	v_lshrrev_b32_e32 v37, 3, v91
	s_mov_b32 s51, exec_lo
	v_cmpx_gt_u32_e32 8, v91
; %bb.191:                              ;   in Loop: Header=BB229_16 Depth=1
	v_ffbh_u32_e32 v37, v35
	v_min_u32_e32 v37, 32, v37
	v_subrev_nc_u32_e32 v39, 28, v37
	v_sub_nc_u32_e32 v37, 29, v37
	v_lshlrev_b64 v[89:90], v39, v[35:36]
	v_and_b32_e32 v35, 7, v89
; %bb.192:                              ;   in Loop: Header=BB229_16 Depth=1
	s_or_b32 exec_lo, exec_lo, s51
	v_lshlrev_b32_e32 v39, 16, v95
	v_lshlrev_b32_e32 v35, 20, v35
	v_lshl_add_u32 v37, v37, 23, 0x3c000000
	v_mov_b32_e32 v89, v36
	v_and_b32_e32 v39, 0x80000000, v39
	v_or3_b32 v90, v35, v39, v37
.LBB229_193:                            ;   in Loop: Header=BB229_16 Depth=1
	s_or_b32 exec_lo, exec_lo, s50
.LBB229_194:                            ;   in Loop: Header=BB229_16 Depth=1
	s_or_b32 exec_lo, exec_lo, s49
.LBB229_195:                            ;   in Loop: Header=BB229_16 Depth=1
	s_or_b32 exec_lo, exec_lo, s48
	v_mov_b32_e32 v93, 0
	v_mov_b32_e32 v91, 0
	v_and_b32_sdwa v35, v95, v118 dst_sel:DWORD dst_unused:UNUSED_PAD src0_sel:WORD_1 src1_sel:DWORD
	v_mov_b32_e32 v94, 0
	v_mov_b32_e32 v92, 0
	s_mov_b32 s48, exec_lo
	v_cmpx_ne_u16_e32 0, v35
	s_cbranch_execz .LBB229_203
; %bb.196:                              ;   in Loop: Header=BB229_16 Depth=1
	v_bfrev_b32_e32 v91, 1
	v_mov_b32_e32 v92, 0
	s_mov_b32 s49, exec_lo
	v_cmpx_ne_u16_e32 0x80, v35
	s_cbranch_execz .LBB229_202
; %bb.197:                              ;   in Loop: Header=BB229_16 Depth=1
	v_mov_b32_e32 v91, 0x7f800001
	v_bfe_u32 v39, v95, 16, 7
	v_mov_b32_e32 v92, 0
	s_mov_b32 s50, exec_lo
	v_cmpx_ne_u32_e32 0x7f, v39
	s_cbranch_execz .LBB229_201
; %bb.198:                              ;   in Loop: Header=BB229_16 Depth=1
	v_and_b32_sdwa v35, v95, v119 dst_sel:DWORD dst_unused:UNUSED_PAD src0_sel:WORD_1 src1_sel:DWORD
	v_lshrrev_b32_e32 v37, 3, v39
	s_mov_b32 s51, exec_lo
	v_cmpx_gt_u32_e32 8, v39
; %bb.199:                              ;   in Loop: Header=BB229_16 Depth=1
	v_ffbh_u32_e32 v37, v35
	v_min_u32_e32 v37, 32, v37
	v_subrev_nc_u32_e32 v39, 28, v37
	v_sub_nc_u32_e32 v37, 29, v37
	v_lshlrev_b64 v[91:92], v39, v[35:36]
	v_and_b32_e32 v35, 7, v91
; %bb.200:                              ;   in Loop: Header=BB229_16 Depth=1
	s_or_b32 exec_lo, exec_lo, s51
	v_lshlrev_b32_sdwa v39, v120, v95 dst_sel:DWORD dst_unused:UNUSED_PAD src0_sel:DWORD src1_sel:WORD_1
	v_lshlrev_b32_e32 v35, 20, v35
	v_lshl_add_u32 v37, v37, 23, 0x3c000000
	v_and_b32_e32 v39, 0x80000000, v39
	v_or3_b32 v35, v35, v39, v37
	v_mov_b32_e32 v92, v36
	v_mov_b32_e32 v91, v35
.LBB229_201:                            ;   in Loop: Header=BB229_16 Depth=1
	s_or_b32 exec_lo, exec_lo, s50
.LBB229_202:                            ;   in Loop: Header=BB229_16 Depth=1
	s_or_b32 exec_lo, exec_lo, s49
.LBB229_203:                            ;   in Loop: Header=BB229_16 Depth=1
	s_or_b32 exec_lo, exec_lo, s48
	s_mov_b32 s48, exec_lo
	v_cmpx_lt_u32_e32 0xffffff, v95
	s_cbranch_execz .LBB229_211
; %bb.204:                              ;   in Loop: Header=BB229_16 Depth=1
	v_mov_b32_e32 v37, v36
	v_mov_b32_e32 v94, v38
	v_cmp_ne_u32_sdwa s1, v95, v116 src0_sel:BYTE_3 src1_sel:DWORD
	v_mov_b32_e32 v93, v37
	s_and_saveexec_b32 s49, s1
	s_cbranch_execz .LBB229_210
; %bb.205:                              ;   in Loop: Header=BB229_16 Depth=1
	v_mov_b32_e32 v39, v36
	v_mov_b32_e32 v94, v40
	v_bfe_u32 v96, v95, 24, 7
	s_mov_b32 s50, exec_lo
	v_mov_b32_e32 v93, v39
	v_cmpx_ne_u32_e32 0x7f, v96
	s_cbranch_execz .LBB229_209
; %bb.206:                              ;   in Loop: Header=BB229_16 Depth=1
	v_and_b32_sdwa v35, v95, v119 dst_sel:DWORD dst_unused:UNUSED_PAD src0_sel:BYTE_3 src1_sel:DWORD
	v_lshrrev_b32_e32 v37, 3, v96
	s_mov_b32 s51, exec_lo
	v_cmpx_gt_u32_e32 8, v96
; %bb.207:                              ;   in Loop: Header=BB229_16 Depth=1
	v_ffbh_u32_e32 v37, v35
	v_min_u32_e32 v37, 32, v37
	v_subrev_nc_u32_e32 v39, 28, v37
	v_sub_nc_u32_e32 v37, 29, v37
	v_lshlrev_b64 v[93:94], v39, v[35:36]
	v_and_b32_e32 v35, 7, v93
; %bb.208:                              ;   in Loop: Header=BB229_16 Depth=1
	s_or_b32 exec_lo, exec_lo, s51
	v_lshlrev_b32_sdwa v39, v120, v95 dst_sel:DWORD dst_unused:UNUSED_PAD src0_sel:DWORD src1_sel:BYTE_3
	v_lshlrev_b32_e32 v35, 20, v35
	v_lshl_add_u32 v37, v37, 23, 0x3c000000
	v_mov_b32_e32 v93, v36
	v_and_b32_e32 v39, 0x80000000, v39
	v_or3_b32 v94, v35, v39, v37
.LBB229_209:                            ;   in Loop: Header=BB229_16 Depth=1
	s_or_b32 exec_lo, exec_lo, s50
.LBB229_210:                            ;   in Loop: Header=BB229_16 Depth=1
	s_or_b32 exec_lo, exec_lo, s49
.LBB229_211:                            ;   in Loop: Header=BB229_16 Depth=1
	s_or_b32 exec_lo, exec_lo, s48
	global_load_dword v103, v[57:58], off offset:520
	v_mov_b32_e32 v97, 0
	v_mov_b32_e32 v95, 0
	;; [unrolled: 1-line block ×4, first 2 shown]
	s_waitcnt vmcnt(0)
	v_cmp_ne_u16_sdwa s1, v103, v36 src0_sel:BYTE_0 src1_sel:DWORD
	s_and_saveexec_b32 s48, s1
	s_cbranch_execz .LBB229_219
; %bb.212:                              ;   in Loop: Header=BB229_16 Depth=1
	v_bfrev_b32_e32 v95, 1
	v_mov_b32_e32 v96, 0
	v_cmp_ne_u16_sdwa s1, v103, v116 src0_sel:BYTE_0 src1_sel:DWORD
	s_and_saveexec_b32 s49, s1
	s_cbranch_execz .LBB229_218
; %bb.213:                              ;   in Loop: Header=BB229_16 Depth=1
	v_mov_b32_e32 v95, 0x7f800001
	v_and_b32_e32 v39, 0x7f, v103
	v_mov_b32_e32 v96, 0
	s_mov_b32 s50, exec_lo
	v_cmpx_ne_u32_e32 0x7f, v39
	s_cbranch_execz .LBB229_217
; %bb.214:                              ;   in Loop: Header=BB229_16 Depth=1
	v_and_b32_e32 v35, 7, v103
	v_lshrrev_b32_e32 v37, 3, v39
	s_mov_b32 s51, exec_lo
	v_cmpx_gt_u32_e32 8, v39
; %bb.215:                              ;   in Loop: Header=BB229_16 Depth=1
	v_ffbh_u32_e32 v37, v35
	v_min_u32_e32 v37, 32, v37
	v_subrev_nc_u32_e32 v39, 28, v37
	v_sub_nc_u32_e32 v37, 29, v37
	v_lshlrev_b64 v[95:96], v39, v[35:36]
	v_and_b32_e32 v35, 7, v95
; %bb.216:                              ;   in Loop: Header=BB229_16 Depth=1
	s_or_b32 exec_lo, exec_lo, s51
	v_lshlrev_b32_e32 v39, 24, v103
	v_lshlrev_b32_e32 v35, 20, v35
	v_lshl_add_u32 v37, v37, 23, 0x3c000000
	v_and_b32_e32 v39, 0x80000000, v39
	v_or3_b32 v35, v35, v39, v37
	v_mov_b32_e32 v96, v36
	v_mov_b32_e32 v95, v35
.LBB229_217:                            ;   in Loop: Header=BB229_16 Depth=1
	s_or_b32 exec_lo, exec_lo, s50
.LBB229_218:                            ;   in Loop: Header=BB229_16 Depth=1
	s_or_b32 exec_lo, exec_lo, s49
.LBB229_219:                            ;   in Loop: Header=BB229_16 Depth=1
	s_or_b32 exec_lo, exec_lo, s48
	v_cmp_ne_u16_sdwa s1, v103, v36 src0_sel:BYTE_1 src1_sel:DWORD
	s_and_saveexec_b32 s48, s1
	s_cbranch_execz .LBB229_227
; %bb.220:                              ;   in Loop: Header=BB229_16 Depth=1
	v_mov_b32_e32 v37, v36
	v_mov_b32_e32 v98, v38
	v_cmp_ne_u16_sdwa s1, v103, v116 src0_sel:BYTE_1 src1_sel:DWORD
	v_mov_b32_e32 v97, v37
	s_and_saveexec_b32 s49, s1
	s_cbranch_execz .LBB229_226
; %bb.221:                              ;   in Loop: Header=BB229_16 Depth=1
	v_and_b32_sdwa v35, v117, v103 dst_sel:DWORD dst_unused:UNUSED_PAD src0_sel:DWORD src1_sel:BYTE_1
	v_mov_b32_e32 v39, v36
	v_mov_b32_e32 v98, v40
	s_mov_b32 s50, exec_lo
	v_and_b32_e32 v99, 0x7f, v35
	v_mov_b32_e32 v97, v39
	v_cmpx_ne_u32_e32 0x7f, v99
	s_cbranch_execz .LBB229_225
; %bb.222:                              ;   in Loop: Header=BB229_16 Depth=1
	v_and_b32_e32 v35, 7, v35
	v_lshrrev_b32_e32 v37, 3, v99
	s_mov_b32 s51, exec_lo
	v_cmpx_gt_u32_e32 8, v99
; %bb.223:                              ;   in Loop: Header=BB229_16 Depth=1
	v_ffbh_u32_e32 v37, v35
	v_min_u32_e32 v37, 32, v37
	v_subrev_nc_u32_e32 v39, 28, v37
	v_sub_nc_u32_e32 v37, 29, v37
	v_lshlrev_b64 v[97:98], v39, v[35:36]
	v_and_b32_e32 v35, 7, v97
; %bb.224:                              ;   in Loop: Header=BB229_16 Depth=1
	s_or_b32 exec_lo, exec_lo, s51
	v_lshlrev_b32_e32 v39, 16, v103
	v_lshlrev_b32_e32 v35, 20, v35
	v_lshl_add_u32 v37, v37, 23, 0x3c000000
	v_mov_b32_e32 v97, v36
	v_and_b32_e32 v39, 0x80000000, v39
	v_or3_b32 v98, v35, v39, v37
.LBB229_225:                            ;   in Loop: Header=BB229_16 Depth=1
	s_or_b32 exec_lo, exec_lo, s50
.LBB229_226:                            ;   in Loop: Header=BB229_16 Depth=1
	s_or_b32 exec_lo, exec_lo, s49
.LBB229_227:                            ;   in Loop: Header=BB229_16 Depth=1
	s_or_b32 exec_lo, exec_lo, s48
	v_mov_b32_e32 v101, 0
	v_mov_b32_e32 v99, 0
	v_and_b32_sdwa v35, v103, v118 dst_sel:DWORD dst_unused:UNUSED_PAD src0_sel:WORD_1 src1_sel:DWORD
	v_mov_b32_e32 v102, 0
	v_mov_b32_e32 v100, 0
	s_mov_b32 s48, exec_lo
	v_cmpx_ne_u16_e32 0, v35
	s_cbranch_execz .LBB229_235
; %bb.228:                              ;   in Loop: Header=BB229_16 Depth=1
	v_bfrev_b32_e32 v99, 1
	v_mov_b32_e32 v100, 0
	s_mov_b32 s49, exec_lo
	v_cmpx_ne_u16_e32 0x80, v35
	s_cbranch_execz .LBB229_234
; %bb.229:                              ;   in Loop: Header=BB229_16 Depth=1
	v_mov_b32_e32 v99, 0x7f800001
	v_bfe_u32 v39, v103, 16, 7
	v_mov_b32_e32 v100, 0
	s_mov_b32 s50, exec_lo
	v_cmpx_ne_u32_e32 0x7f, v39
	s_cbranch_execz .LBB229_233
; %bb.230:                              ;   in Loop: Header=BB229_16 Depth=1
	v_and_b32_sdwa v35, v103, v119 dst_sel:DWORD dst_unused:UNUSED_PAD src0_sel:WORD_1 src1_sel:DWORD
	v_lshrrev_b32_e32 v37, 3, v39
	s_mov_b32 s51, exec_lo
	v_cmpx_gt_u32_e32 8, v39
; %bb.231:                              ;   in Loop: Header=BB229_16 Depth=1
	v_ffbh_u32_e32 v37, v35
	v_min_u32_e32 v37, 32, v37
	v_subrev_nc_u32_e32 v39, 28, v37
	v_sub_nc_u32_e32 v37, 29, v37
	v_lshlrev_b64 v[99:100], v39, v[35:36]
	v_and_b32_e32 v35, 7, v99
; %bb.232:                              ;   in Loop: Header=BB229_16 Depth=1
	s_or_b32 exec_lo, exec_lo, s51
	v_lshlrev_b32_sdwa v39, v120, v103 dst_sel:DWORD dst_unused:UNUSED_PAD src0_sel:DWORD src1_sel:WORD_1
	v_lshlrev_b32_e32 v35, 20, v35
	v_lshl_add_u32 v37, v37, 23, 0x3c000000
	v_and_b32_e32 v39, 0x80000000, v39
	v_or3_b32 v35, v35, v39, v37
	v_mov_b32_e32 v100, v36
	v_mov_b32_e32 v99, v35
.LBB229_233:                            ;   in Loop: Header=BB229_16 Depth=1
	s_or_b32 exec_lo, exec_lo, s50
.LBB229_234:                            ;   in Loop: Header=BB229_16 Depth=1
	s_or_b32 exec_lo, exec_lo, s49
.LBB229_235:                            ;   in Loop: Header=BB229_16 Depth=1
	s_or_b32 exec_lo, exec_lo, s48
	s_mov_b32 s48, exec_lo
	v_cmpx_lt_u32_e32 0xffffff, v103
	s_cbranch_execz .LBB229_243
; %bb.236:                              ;   in Loop: Header=BB229_16 Depth=1
	v_mov_b32_e32 v37, v36
	v_mov_b32_e32 v102, v38
	v_cmp_ne_u32_sdwa s1, v103, v116 src0_sel:BYTE_3 src1_sel:DWORD
	v_mov_b32_e32 v101, v37
	s_and_saveexec_b32 s49, s1
	s_cbranch_execz .LBB229_242
; %bb.237:                              ;   in Loop: Header=BB229_16 Depth=1
	v_mov_b32_e32 v39, v36
	v_mov_b32_e32 v102, v40
	v_bfe_u32 v104, v103, 24, 7
	s_mov_b32 s50, exec_lo
	v_mov_b32_e32 v101, v39
	v_cmpx_ne_u32_e32 0x7f, v104
	s_cbranch_execz .LBB229_241
; %bb.238:                              ;   in Loop: Header=BB229_16 Depth=1
	v_and_b32_sdwa v35, v103, v119 dst_sel:DWORD dst_unused:UNUSED_PAD src0_sel:BYTE_3 src1_sel:DWORD
	v_lshrrev_b32_e32 v37, 3, v104
	s_mov_b32 s51, exec_lo
	v_cmpx_gt_u32_e32 8, v104
; %bb.239:                              ;   in Loop: Header=BB229_16 Depth=1
	v_ffbh_u32_e32 v37, v35
	v_min_u32_e32 v37, 32, v37
	v_subrev_nc_u32_e32 v39, 28, v37
	v_sub_nc_u32_e32 v37, 29, v37
	v_lshlrev_b64 v[101:102], v39, v[35:36]
	v_and_b32_e32 v35, 7, v101
; %bb.240:                              ;   in Loop: Header=BB229_16 Depth=1
	s_or_b32 exec_lo, exec_lo, s51
	v_lshlrev_b32_sdwa v39, v120, v103 dst_sel:DWORD dst_unused:UNUSED_PAD src0_sel:DWORD src1_sel:BYTE_3
	v_lshlrev_b32_e32 v35, 20, v35
	v_lshl_add_u32 v37, v37, 23, 0x3c000000
	v_mov_b32_e32 v101, v36
	v_and_b32_e32 v39, 0x80000000, v39
	v_or3_b32 v102, v35, v39, v37
.LBB229_241:                            ;   in Loop: Header=BB229_16 Depth=1
	s_or_b32 exec_lo, exec_lo, s50
.LBB229_242:                            ;   in Loop: Header=BB229_16 Depth=1
	s_or_b32 exec_lo, exec_lo, s49
.LBB229_243:                            ;   in Loop: Header=BB229_16 Depth=1
	s_or_b32 exec_lo, exec_lo, s48
	global_load_dword v125, v[57:58], off offset:524
	v_mov_b32_e32 v103, 0
	v_mov_b32_e32 v57, 0
	;; [unrolled: 1-line block ×4, first 2 shown]
	s_waitcnt vmcnt(0)
	v_cmp_ne_u16_sdwa s1, v125, v36 src0_sel:BYTE_0 src1_sel:DWORD
	s_and_saveexec_b32 s48, s1
	s_cbranch_execz .LBB229_251
; %bb.244:                              ;   in Loop: Header=BB229_16 Depth=1
	v_bfrev_b32_e32 v57, 1
	v_mov_b32_e32 v58, 0
	v_cmp_ne_u16_sdwa s1, v125, v116 src0_sel:BYTE_0 src1_sel:DWORD
	s_and_saveexec_b32 s49, s1
	s_cbranch_execz .LBB229_250
; %bb.245:                              ;   in Loop: Header=BB229_16 Depth=1
	v_mov_b32_e32 v57, 0x7f800001
	v_and_b32_e32 v39, 0x7f, v125
	v_mov_b32_e32 v58, 0
	s_mov_b32 s50, exec_lo
	v_cmpx_ne_u32_e32 0x7f, v39
	s_cbranch_execz .LBB229_249
; %bb.246:                              ;   in Loop: Header=BB229_16 Depth=1
	v_and_b32_e32 v35, 7, v125
	v_lshrrev_b32_e32 v37, 3, v39
	s_mov_b32 s51, exec_lo
	v_cmpx_gt_u32_e32 8, v39
; %bb.247:                              ;   in Loop: Header=BB229_16 Depth=1
	v_ffbh_u32_e32 v37, v35
	v_min_u32_e32 v37, 32, v37
	v_subrev_nc_u32_e32 v39, 28, v37
	v_sub_nc_u32_e32 v37, 29, v37
	v_lshlrev_b64 v[57:58], v39, v[35:36]
	v_and_b32_e32 v35, 7, v57
; %bb.248:                              ;   in Loop: Header=BB229_16 Depth=1
	s_or_b32 exec_lo, exec_lo, s51
	v_lshlrev_b32_e32 v39, 24, v125
	v_lshlrev_b32_e32 v35, 20, v35
	v_lshl_add_u32 v37, v37, 23, 0x3c000000
	v_and_b32_e32 v39, 0x80000000, v39
	v_or3_b32 v35, v35, v39, v37
	v_mov_b32_e32 v58, v36
	v_mov_b32_e32 v57, v35
.LBB229_249:                            ;   in Loop: Header=BB229_16 Depth=1
	s_or_b32 exec_lo, exec_lo, s50
.LBB229_250:                            ;   in Loop: Header=BB229_16 Depth=1
	s_or_b32 exec_lo, exec_lo, s49
.LBB229_251:                            ;   in Loop: Header=BB229_16 Depth=1
	s_or_b32 exec_lo, exec_lo, s48
	v_cmp_ne_u16_sdwa s1, v125, v36 src0_sel:BYTE_1 src1_sel:DWORD
	s_and_saveexec_b32 s48, s1
	s_cbranch_execz .LBB229_259
; %bb.252:                              ;   in Loop: Header=BB229_16 Depth=1
	v_mov_b32_e32 v37, v36
	v_mov_b32_e32 v104, v38
	v_cmp_ne_u16_sdwa s1, v125, v116 src0_sel:BYTE_1 src1_sel:DWORD
	v_mov_b32_e32 v103, v37
	s_and_saveexec_b32 s49, s1
	s_cbranch_execz .LBB229_258
; %bb.253:                              ;   in Loop: Header=BB229_16 Depth=1
	v_and_b32_sdwa v35, v117, v125 dst_sel:DWORD dst_unused:UNUSED_PAD src0_sel:DWORD src1_sel:BYTE_1
	v_mov_b32_e32 v39, v36
	v_mov_b32_e32 v104, v40
	s_mov_b32 s50, exec_lo
	v_and_b32_e32 v105, 0x7f, v35
	v_mov_b32_e32 v103, v39
	v_cmpx_ne_u32_e32 0x7f, v105
	s_cbranch_execz .LBB229_257
; %bb.254:                              ;   in Loop: Header=BB229_16 Depth=1
	v_and_b32_e32 v35, 7, v35
	v_lshrrev_b32_e32 v37, 3, v105
	s_mov_b32 s51, exec_lo
	v_cmpx_gt_u32_e32 8, v105
; %bb.255:                              ;   in Loop: Header=BB229_16 Depth=1
	v_ffbh_u32_e32 v37, v35
	v_min_u32_e32 v37, 32, v37
	v_subrev_nc_u32_e32 v39, 28, v37
	v_sub_nc_u32_e32 v37, 29, v37
	v_lshlrev_b64 v[103:104], v39, v[35:36]
	v_and_b32_e32 v35, 7, v103
; %bb.256:                              ;   in Loop: Header=BB229_16 Depth=1
	s_or_b32 exec_lo, exec_lo, s51
	v_lshlrev_b32_e32 v39, 16, v125
	v_lshlrev_b32_e32 v35, 20, v35
	v_lshl_add_u32 v37, v37, 23, 0x3c000000
	v_mov_b32_e32 v103, v36
	v_and_b32_e32 v39, 0x80000000, v39
	v_or3_b32 v104, v35, v39, v37
.LBB229_257:                            ;   in Loop: Header=BB229_16 Depth=1
	s_or_b32 exec_lo, exec_lo, s50
.LBB229_258:                            ;   in Loop: Header=BB229_16 Depth=1
	s_or_b32 exec_lo, exec_lo, s49
.LBB229_259:                            ;   in Loop: Header=BB229_16 Depth=1
	s_or_b32 exec_lo, exec_lo, s48
	v_mov_b32_e32 v107, 0
	v_mov_b32_e32 v105, 0
	v_and_b32_sdwa v35, v125, v118 dst_sel:DWORD dst_unused:UNUSED_PAD src0_sel:WORD_1 src1_sel:DWORD
	v_mov_b32_e32 v108, 0
	v_mov_b32_e32 v106, 0
	s_mov_b32 s48, exec_lo
	v_cmpx_ne_u16_e32 0, v35
	s_cbranch_execz .LBB229_267
; %bb.260:                              ;   in Loop: Header=BB229_16 Depth=1
	v_bfrev_b32_e32 v105, 1
	v_mov_b32_e32 v106, 0
	s_mov_b32 s49, exec_lo
	v_cmpx_ne_u16_e32 0x80, v35
	s_cbranch_execz .LBB229_266
; %bb.261:                              ;   in Loop: Header=BB229_16 Depth=1
	v_mov_b32_e32 v105, 0x7f800001
	v_bfe_u32 v39, v125, 16, 7
	v_mov_b32_e32 v106, 0
	s_mov_b32 s50, exec_lo
	v_cmpx_ne_u32_e32 0x7f, v39
	s_cbranch_execz .LBB229_265
; %bb.262:                              ;   in Loop: Header=BB229_16 Depth=1
	v_and_b32_sdwa v35, v125, v119 dst_sel:DWORD dst_unused:UNUSED_PAD src0_sel:WORD_1 src1_sel:DWORD
	v_lshrrev_b32_e32 v37, 3, v39
	s_mov_b32 s51, exec_lo
	v_cmpx_gt_u32_e32 8, v39
; %bb.263:                              ;   in Loop: Header=BB229_16 Depth=1
	v_ffbh_u32_e32 v37, v35
	v_min_u32_e32 v37, 32, v37
	v_subrev_nc_u32_e32 v39, 28, v37
	v_sub_nc_u32_e32 v37, 29, v37
	v_lshlrev_b64 v[105:106], v39, v[35:36]
	v_and_b32_e32 v35, 7, v105
; %bb.264:                              ;   in Loop: Header=BB229_16 Depth=1
	s_or_b32 exec_lo, exec_lo, s51
	v_lshlrev_b32_sdwa v39, v120, v125 dst_sel:DWORD dst_unused:UNUSED_PAD src0_sel:DWORD src1_sel:WORD_1
	v_lshlrev_b32_e32 v35, 20, v35
	v_lshl_add_u32 v37, v37, 23, 0x3c000000
	v_and_b32_e32 v39, 0x80000000, v39
	v_or3_b32 v35, v35, v39, v37
	v_mov_b32_e32 v106, v36
	v_mov_b32_e32 v105, v35
.LBB229_265:                            ;   in Loop: Header=BB229_16 Depth=1
	s_or_b32 exec_lo, exec_lo, s50
.LBB229_266:                            ;   in Loop: Header=BB229_16 Depth=1
	s_or_b32 exec_lo, exec_lo, s49
.LBB229_267:                            ;   in Loop: Header=BB229_16 Depth=1
	s_or_b32 exec_lo, exec_lo, s48
	s_mov_b32 s48, exec_lo
	v_cmpx_lt_u32_e32 0xffffff, v125
	s_cbranch_execz .LBB229_14
; %bb.268:                              ;   in Loop: Header=BB229_16 Depth=1
	v_mov_b32_e32 v37, v36
	v_mov_b32_e32 v108, v38
	v_cmp_ne_u32_sdwa s1, v125, v116 src0_sel:BYTE_3 src1_sel:DWORD
	v_mov_b32_e32 v107, v37
	s_and_saveexec_b32 s49, s1
	s_cbranch_execz .LBB229_13
; %bb.269:                              ;   in Loop: Header=BB229_16 Depth=1
	v_mov_b32_e32 v39, v36
	v_mov_b32_e32 v108, v40
	v_bfe_u32 v126, v125, 24, 7
	s_mov_b32 s50, exec_lo
	v_mov_b32_e32 v107, v39
	v_cmpx_ne_u32_e32 0x7f, v126
	s_cbranch_execz .LBB229_12
; %bb.270:                              ;   in Loop: Header=BB229_16 Depth=1
	v_and_b32_sdwa v35, v125, v119 dst_sel:DWORD dst_unused:UNUSED_PAD src0_sel:BYTE_3 src1_sel:DWORD
	v_lshrrev_b32_e32 v37, 3, v126
	s_mov_b32 s51, exec_lo
	v_cmpx_gt_u32_e32 8, v126
	s_cbranch_execz .LBB229_11
; %bb.271:                              ;   in Loop: Header=BB229_16 Depth=1
	v_ffbh_u32_e32 v37, v35
	v_min_u32_e32 v37, 32, v37
	v_subrev_nc_u32_e32 v39, 28, v37
	v_sub_nc_u32_e32 v37, 29, v37
	v_lshlrev_b64 v[107:108], v39, v[35:36]
	v_and_b32_e32 v35, 7, v107
	s_branch .LBB229_11
.LBB229_272:
	s_or_b32 exec_lo, exec_lo, s45
.LBB229_273:
	s_or_b32 exec_lo, exec_lo, s44
	s_waitcnt lgkmcnt(7)
	v_mbcnt_lo_u32_b32 v1, -1, 0
	s_waitcnt lgkmcnt(6)
	v_max_f32_e32 v5, v113, v113
	v_xor_b32_e32 v2, 16, v1
	v_xor_b32_e32 v4, 8, v1
	v_cmp_gt_i32_e32 vcc_lo, 32, v2
	v_cndmask_b32_e32 v2, v1, v2, vcc_lo
	v_cmp_gt_i32_e32 vcc_lo, 32, v4
	v_lshlrev_b32_e32 v2, 2, v2
	v_cndmask_b32_e32 v4, v1, v4, vcc_lo
	ds_bpermute_b32 v3, v2, v113
	s_waitcnt lgkmcnt(0)
	v_max_f32_e32 v6, v3, v3
	v_lshlrev_b32_e32 v3, 2, v4
	v_max_f32_e32 v4, v5, v6
	v_xor_b32_e32 v6, 4, v1
	ds_bpermute_b32 v5, v3, v4
	v_cmp_gt_i32_e32 vcc_lo, 32, v6
	v_cndmask_b32_e32 v6, v1, v6, vcc_lo
	v_lshlrev_b32_e32 v27, 2, v6
	v_xor_b32_e32 v6, 2, v1
	v_cmp_gt_i32_e32 vcc_lo, 32, v6
	s_waitcnt lgkmcnt(0)
	v_max_f32_e32 v5, v5, v5
	v_cndmask_b32_e32 v6, v1, v6, vcc_lo
	v_max_f32_e32 v4, v4, v5
	v_lshlrev_b32_e32 v26, 2, v6
	v_xor_b32_e32 v6, 1, v1
	ds_bpermute_b32 v5, v27, v4
	v_cmp_gt_i32_e32 vcc_lo, 32, v6
	v_cndmask_b32_e32 v6, v1, v6, vcc_lo
	v_cmp_eq_u32_e32 vcc_lo, 0, v110
	v_lshlrev_b32_e32 v25, 2, v6
	s_waitcnt lgkmcnt(0)
	v_max_f32_e32 v5, v5, v5
	v_max_f32_e32 v4, v4, v5
	ds_bpermute_b32 v5, v26, v4
	s_waitcnt lgkmcnt(0)
	v_max_f32_e32 v5, v5, v5
	v_max_f32_e32 v1, v4, v5
	v_lshlrev_b32_e32 v5, 2, v109
	ds_bpermute_b32 v4, v25, v1
	s_and_saveexec_b32 s1, vcc_lo
	s_cbranch_execz .LBB229_275
; %bb.274:
	s_waitcnt lgkmcnt(0)
	v_max_f32_e32 v4, v4, v4
	v_max_f32_e32 v1, v1, v1
	;; [unrolled: 1-line block ×3, first 2 shown]
	ds_write_b32 v5, v1 offset:128
.LBB229_275:
	s_or_b32 exec_lo, exec_lo, s1
	v_cmp_gt_u32_e64 s1, 4, v110
	v_mov_b32_e32 v1, 0xff7fffff
	s_waitcnt lgkmcnt(0)
	s_barrier
	buffer_gl0_inv
	s_and_saveexec_b32 s2, s1
; %bb.276:
	ds_read_b32 v1, v112 offset:128
; %bb.277:
	s_or_b32 exec_lo, exec_lo, s2
	s_waitcnt lgkmcnt(0)
	ds_bpermute_b32 v4, v26, v1
	v_max_f32_e32 v1, v1, v1
	v_mov_b32_e32 v6, 0
	s_sub_i32 s2, s20, s43
	s_lshl_b32 s2, s2, 5
	s_add_i32 s2, s2, s40
	s_min_i32 s2, s2, s31
	s_sub_i32 s4, s2, s40
	v_cmp_gt_i32_e64 s2, s4, v0
	s_waitcnt lgkmcnt(0)
	v_max_f32_e32 v4, v4, v4
	v_max_f32_e32 v1, v1, v4
	ds_bpermute_b32 v4, v25, v1
	s_waitcnt lgkmcnt(0)
	v_max_f32_e32 v4, v4, v4
	v_max_f32_e32 v1, v1, v4
	v_lshl_add_u32 v4, v0, 2, 0xa0
	ds_bpermute_b32 v1, v6, v1
	s_and_saveexec_b32 s5, s2
	s_cbranch_execz .LBB229_281
; %bb.278:
	v_lshl_add_u32 v7, v0, 2, 0xa0
	v_mov_b32_e32 v6, 0
	v_mov_b32_e32 v8, v0
	s_mov_b32 s12, 0
	.p2align	6
.LBB229_279:                            ; =>This Inner Loop Header: Depth=1
	ds_read_b32 v9, v7
	v_add_nc_u32_e32 v8, 0x80, v8
	v_cmp_le_i32_e64 s3, s4, v8
	s_or_b32 s12, s3, s12
	s_waitcnt lgkmcnt(0)
	v_sub_f32_e32 v9, v9, v1
	v_mul_f32_e32 v9, 0x3fb8aa3b, v9
	v_exp_f32_e32 v9, v9
	ds_write_b32 v7, v9
	v_add_f32_e32 v6, v6, v9
	v_add_nc_u32_e32 v7, 0x200, v7
	s_andn2_b32 exec_lo, exec_lo, s12
	s_cbranch_execnz .LBB229_279
; %bb.280:
	s_or_b32 exec_lo, exec_lo, s12
.LBB229_281:
	s_or_b32 exec_lo, exec_lo, s5
	ds_bpermute_b32 v2, v2, v6
	s_waitcnt lgkmcnt(0)
	v_add_f32_e32 v2, v6, v2
	ds_bpermute_b32 v3, v3, v2
	s_waitcnt lgkmcnt(0)
	v_add_f32_e32 v2, v2, v3
	ds_bpermute_b32 v3, v27, v2
	s_waitcnt lgkmcnt(0)
	v_add_f32_e32 v2, v2, v3
	ds_bpermute_b32 v3, v26, v2
	s_waitcnt lgkmcnt(0)
	v_add_f32_e32 v2, v2, v3
	ds_bpermute_b32 v3, v25, v2
	s_waitcnt lgkmcnt(0)
	v_add_f32_e32 v2, v2, v3
	s_and_saveexec_b32 s3, vcc_lo
; %bb.282:
	ds_write_b32 v5, v2 offset:144
; %bb.283:
	s_or_b32 exec_lo, exec_lo, s3
	s_waitcnt lgkmcnt(0)
	s_barrier
	buffer_gl0_inv
	s_and_saveexec_b32 s3, s1
; %bb.284:
	ds_read_b32 v2, v112 offset:144
; %bb.285:
	s_or_b32 exec_lo, exec_lo, s3
	s_waitcnt lgkmcnt(0)
	ds_bpermute_b32 v3, v26, v2
	s_waitcnt lgkmcnt(0)
	v_add_f32_e32 v2, v2, v3
	ds_bpermute_b32 v3, v25, v2
	s_waitcnt lgkmcnt(0)
	v_add_f32_e32 v2, v2, v3
	v_mov_b32_e32 v3, 0
	ds_bpermute_b32 v2, v3, v2
	s_and_saveexec_b32 s1, s2
	s_cbranch_execz .LBB229_288
; %bb.286:
	s_waitcnt lgkmcnt(0)
	v_add_f32_e32 v3, 0x358637bd, v2
	s_mov_b32 s2, 0
	v_div_scale_f32 v5, null, v3, v3, 1.0
	v_div_scale_f32 v8, vcc_lo, 1.0, v3, 1.0
	v_rcp_f32_e32 v6, v5
	v_fma_f32 v7, -v5, v6, 1.0
	v_fmac_f32_e32 v6, v7, v6
	v_mul_f32_e32 v7, v8, v6
	v_fma_f32 v9, -v5, v7, v8
	v_fmac_f32_e32 v7, v9, v6
	v_fma_f32 v5, -v5, v7, v8
	v_div_fmas_f32 v5, v5, v6, v7
	v_div_fixup_f32 v3, v5, v3, 1.0
	v_mov_b32_e32 v5, v0
.LBB229_287:                            ; =>This Inner Loop Header: Depth=1
	ds_read_b32 v6, v4
	v_add_nc_u32_e32 v5, 0x80, v5
	v_cmp_le_i32_e32 vcc_lo, s4, v5
	s_or_b32 s2, vcc_lo, s2
	s_waitcnt lgkmcnt(0)
	v_mul_f32_e32 v6, v3, v6
	ds_write_b32 v4, v6
	v_add_nc_u32_e32 v4, 0x200, v4
	s_andn2_b32 exec_lo, exec_lo, s2
	s_cbranch_execnz .LBB229_287
.LBB229_288:
	s_or_b32 exec_lo, exec_lo, s1
	s_mul_i32 s1, s7, s30
	s_waitcnt lgkmcnt(0)
	s_mul_i32 s2, s1, s9
	s_mov_b32 s1, exec_lo
	s_barrier
	buffer_gl0_inv
	v_cmpx_eq_u32_e32 0, v0
	s_cbranch_execz .LBB229_290
; %bb.289:
	s_ashr_i32 s3, s2, 31
	s_mul_i32 s12, s7, s6
	s_lshl_b64 s[4:5], s[2:3], 2
	v_mov_b32_e32 v3, 0
	s_add_u32 s3, s26, s4
	s_addc_u32 s6, s27, s5
	s_ashr_i32 s13, s12, 31
	s_lshl_b64 s[12:13], s[12:13], 2
	s_add_u32 s3, s3, s12
	s_addc_u32 s6, s6, s13
	s_ashr_i32 s9, s8, 31
	s_lshl_b64 s[26:27], s[8:9], 2
	s_add_u32 s42, s3, s26
	s_addc_u32 s43, s6, s27
	s_add_u32 s3, s24, s4
	s_addc_u32 s4, s25, s5
	;; [unrolled: 2-line block ×4, first 2 shown]
	global_store_dword v3, v1, s[42:43]
	global_store_dword v3, v2, s[4:5]
.LBB229_290:
	s_or_b32 exec_lo, exec_lo, s1
	v_mov_b32_e32 v37, 0
	v_and_b32_e32 v28, 7, v0
	v_mov_b32_e32 v38, 0
	v_mov_b32_e32 v36, 0
	;; [unrolled: 1-line block ×7, first 2 shown]
	s_and_saveexec_b32 s1, s0
	s_cbranch_execz .LBB229_568
; %bb.291:
	s_sub_i32 s3, s41, s21
	s_ashr_i32 s0, s18, 31
	s_add_u32 s5, s38, s18
	s_addc_u32 s0, s39, s0
	s_abs_i32 s4, s22
	v_lshlrev_b32_e32 v3, 2, v0
	v_cvt_f32_u32_e32 v1, s4
	s_sub_i32 s6, 0, s4
	v_lshlrev_b32_e32 v5, 4, v28
	s_lshl_b64 s[12:13], s[36:37], 2
	v_and_b32_e32 v43, 28, v3
	v_rcp_iflag_f32_e32 v4, v1
	v_lshlrev_b64 v[1:2], 2, v[33:34]
	v_and_b32_e32 v3, 0x7c, v3
	s_add_i32 s33, s33, -1
	v_lshl_or_b32 v5, v109, 7, v5
	v_mov_b32_e32 v6, 0
	v_mov_b32_e32 v34, 0x80
	v_add_co_u32 v13, s5, s5, v3
	v_bfrev_b32_e32 v8, 1
	v_mul_f32_e32 v4, 0x4f7ffffe, v4
	v_mov_b32_e32 v39, 0xffff
	v_mov_b32_e32 v10, 0x7f800001
	;; [unrolled: 1-line block ×4, first 2 shown]
	v_cvt_u32_f32_e32 v4, v4
	v_mov_b32_e32 v42, 24
	v_mov_b32_e32 v29, 0
	;; [unrolled: 1-line block ×4, first 2 shown]
	v_mul_lo_u32 v7, s6, v4
	s_add_u32 s6, s34, s12
	s_addc_u32 s9, s35, s13
	v_add_co_u32 v11, vcc_lo, s6, v1
	v_mov_b32_e32 v32, 0
	v_mov_b32_e32 v35, 0
	;; [unrolled: 1-line block ×3, first 2 shown]
	v_mul_hi_u32 v7, v4, v7
	v_add_co_ci_u32_e64 v12, null, s9, v2, vcc_lo
	v_add_co_ci_u32_e64 v14, null, s0, 0, s5
	v_add_nc_u32_e32 v44, 0xa0, v5
	v_mov_b32_e32 v38, 0
	v_mov_b32_e32 v37, 0
	v_add_nc_u32_e32 v45, v4, v7
	s_mov_b32 s6, s17
	s_mov_b32 s5, 0
	s_branch .LBB229_294
.LBB229_292:                            ;   in Loop: Header=BB229_294 Depth=1
	s_or_b32 exec_lo, exec_lo, s0
	v_mul_f32_e32 v16, v1, v75
	v_mul_f32_e32 v17, v1, v73
	;; [unrolled: 1-line block ×8, first 2 shown]
	v_fmac_f32_e32 v16, v2, v74
	v_fmac_f32_e32 v17, v2, v72
	;; [unrolled: 1-line block ×24, first 2 shown]
	v_add_f32_e32 v30, v30, v16
	v_add_f32_e32 v31, v31, v17
	;; [unrolled: 1-line block ×8, first 2 shown]
.LBB229_293:                            ;   in Loop: Header=BB229_294 Depth=1
	s_or_b32 exec_lo, exec_lo, s9
	v_add_nc_u32_e32 v33, 4, v33
	v_add_co_u32 v11, s0, v11, 16
	v_add_co_ci_u32_e64 v12, null, 0, v12, s0
	v_cmp_le_i32_e32 vcc_lo, s20, v33
	v_add_nc_u32_e32 v111, 0x80, v111
	v_add_nc_u32_e32 v44, 0x200, v44
	s_or_b32 s5, vcc_lo, s5
	s_andn2_b32 exec_lo, exec_lo, s5
	s_cbranch_execz .LBB229_567
.LBB229_294:                            ; =>This Inner Loop Header: Depth=1
	v_sub_nc_u32_e32 v1, 0, v111
	v_max_i32_e32 v1, v111, v1
	v_mul_hi_u32 v2, v1, s16
	v_mul_lo_u32 v3, v2, s11
	v_sub_nc_u32_e32 v1, v1, v3
	v_add_nc_u32_e32 v3, 1, v2
	v_subrev_nc_u32_e32 v4, s11, v1
	v_cmp_le_u32_e32 vcc_lo, s11, v1
	v_cndmask_b32_e32 v2, v2, v3, vcc_lo
	v_cndmask_b32_e32 v1, v1, v4, vcc_lo
	v_ashrrev_i32_e32 v3, 31, v111
	v_add_nc_u32_e32 v4, 1, v2
	v_cmp_le_u32_e32 vcc_lo, s11, v1
	v_xor_b32_e32 v3, s23, v3
	v_cndmask_b32_e32 v1, v2, v4, vcc_lo
	v_xor_b32_e32 v1, v1, v3
	v_sub_nc_u32_e32 v1, v1, v3
	v_add_nc_u32_e32 v2, s19, v1
	v_cmp_lt_i32_e64 s0, s3, v1
	v_sub_nc_u32_e32 v3, 0, v2
	v_max_i32_e32 v3, v2, v3
	v_ashrrev_i32_e32 v2, 31, v2
	v_mul_hi_u32 v4, v3, v45
	v_mul_lo_u32 v4, v4, s4
	v_sub_nc_u32_e32 v3, v3, v4
	v_subrev_nc_u32_e32 v4, s4, v3
	v_cmp_le_u32_e32 vcc_lo, s4, v3
	v_cndmask_b32_e32 v3, v3, v4, vcc_lo
	v_subrev_nc_u32_e32 v4, s4, v3
	v_cmp_le_u32_e32 vcc_lo, s4, v3
	v_cndmask_b32_e32 v3, v3, v4, vcc_lo
	v_xor_b32_e32 v3, v3, v2
	v_sub_nc_u32_e32 v2, v3, v2
	v_cmp_eq_u32_e32 vcc_lo, 0, v2
	s_or_b32 s0, vcc_lo, s0
	s_and_saveexec_b32 s9, s0
	s_cbranch_execz .LBB229_293
; %bb.295:                              ;   in Loop: Header=BB229_294 Depth=1
	global_load_dword v1, v[11:12], off
	s_load_dword s12, s[14:15], 0x0
	v_mov_b32_e32 v19, 0
	v_mov_b32_e32 v17, 0
	;; [unrolled: 1-line block ×4, first 2 shown]
	s_waitcnt vmcnt(0)
	v_mad_i64_i32 v[15:16], null, v1, s6, v[13:14]
	ds_read_b128 v[1:4], v44
	global_load_dword v46, v[15:16], off
	s_waitcnt vmcnt(0)
	v_cmp_ne_u16_sdwa s13, v46, v6 src0_sel:BYTE_0 src1_sel:DWORD
	s_and_saveexec_b32 s0, s13
	s_cbranch_execz .LBB229_303
; %bb.296:                              ;   in Loop: Header=BB229_294 Depth=1
	v_bfrev_b32_e32 v17, 1
	v_mov_b32_e32 v18, 0
	v_cmp_ne_u16_sdwa s17, v46, v34 src0_sel:BYTE_0 src1_sel:DWORD
	s_and_saveexec_b32 s13, s17
	s_cbranch_execz .LBB229_302
; %bb.297:                              ;   in Loop: Header=BB229_294 Depth=1
	v_mov_b32_e32 v17, 0x7f800001
	v_and_b32_e32 v9, 0x7f, v46
	v_mov_b32_e32 v18, 0
	s_mov_b32 s17, exec_lo
	v_cmpx_ne_u32_e32 0x7f, v9
	s_cbranch_execz .LBB229_301
; %bb.298:                              ;   in Loop: Header=BB229_294 Depth=1
	v_and_b32_e32 v5, 7, v46
	v_lshrrev_b32_e32 v7, 3, v9
	s_mov_b32 s18, exec_lo
	v_cmpx_gt_u32_e32 8, v9
; %bb.299:                              ;   in Loop: Header=BB229_294 Depth=1
	v_ffbh_u32_e32 v7, v5
	v_min_u32_e32 v7, 32, v7
	v_subrev_nc_u32_e32 v9, 28, v7
	v_sub_nc_u32_e32 v7, 29, v7
	v_lshlrev_b64 v[17:18], v9, v[5:6]
	v_and_b32_e32 v5, 7, v17
; %bb.300:                              ;   in Loop: Header=BB229_294 Depth=1
	s_or_b32 exec_lo, exec_lo, s18
	v_lshlrev_b32_e32 v9, 24, v46
	v_lshlrev_b32_e32 v5, 20, v5
	v_lshl_add_u32 v7, v7, 23, 0x3c000000
	v_and_b32_e32 v9, 0x80000000, v9
	v_or3_b32 v5, v5, v9, v7
	v_mov_b32_e32 v18, v6
	v_mov_b32_e32 v17, v5
.LBB229_301:                            ;   in Loop: Header=BB229_294 Depth=1
	s_or_b32 exec_lo, exec_lo, s17
.LBB229_302:                            ;   in Loop: Header=BB229_294 Depth=1
	s_or_b32 exec_lo, exec_lo, s13
.LBB229_303:                            ;   in Loop: Header=BB229_294 Depth=1
	s_or_b32 exec_lo, exec_lo, s0
	v_cmp_ne_u16_sdwa s13, v46, v6 src0_sel:BYTE_1 src1_sel:DWORD
	s_and_saveexec_b32 s0, s13
	s_cbranch_execz .LBB229_311
; %bb.304:                              ;   in Loop: Header=BB229_294 Depth=1
	v_mov_b32_e32 v7, v6
	v_mov_b32_e32 v20, v8
	v_cmp_ne_u16_sdwa s17, v46, v34 src0_sel:BYTE_1 src1_sel:DWORD
	v_mov_b32_e32 v19, v7
	s_and_saveexec_b32 s13, s17
	s_cbranch_execz .LBB229_310
; %bb.305:                              ;   in Loop: Header=BB229_294 Depth=1
	v_and_b32_sdwa v5, v39, v46 dst_sel:DWORD dst_unused:UNUSED_PAD src0_sel:DWORD src1_sel:BYTE_1
	v_mov_b32_e32 v9, v6
	v_mov_b32_e32 v20, v10
	s_mov_b32 s17, exec_lo
	v_and_b32_e32 v21, 0x7f, v5
	v_mov_b32_e32 v19, v9
	v_cmpx_ne_u32_e32 0x7f, v21
	s_cbranch_execz .LBB229_309
; %bb.306:                              ;   in Loop: Header=BB229_294 Depth=1
	v_and_b32_e32 v5, 7, v5
	v_lshrrev_b32_e32 v7, 3, v21
	s_mov_b32 s18, exec_lo
	v_cmpx_gt_u32_e32 8, v21
; %bb.307:                              ;   in Loop: Header=BB229_294 Depth=1
	v_ffbh_u32_e32 v7, v5
	v_min_u32_e32 v7, 32, v7
	v_subrev_nc_u32_e32 v9, 28, v7
	v_sub_nc_u32_e32 v7, 29, v7
	v_lshlrev_b64 v[19:20], v9, v[5:6]
	v_and_b32_e32 v5, 7, v19
; %bb.308:                              ;   in Loop: Header=BB229_294 Depth=1
	s_or_b32 exec_lo, exec_lo, s18
	v_lshlrev_b32_e32 v9, 16, v46
	v_lshlrev_b32_e32 v5, 20, v5
	v_lshl_add_u32 v7, v7, 23, 0x3c000000
	v_mov_b32_e32 v19, v6
	v_and_b32_e32 v9, 0x80000000, v9
	v_or3_b32 v20, v5, v9, v7
.LBB229_309:                            ;   in Loop: Header=BB229_294 Depth=1
	s_or_b32 exec_lo, exec_lo, s17
.LBB229_310:                            ;   in Loop: Header=BB229_294 Depth=1
	s_or_b32 exec_lo, exec_lo, s13
.LBB229_311:                            ;   in Loop: Header=BB229_294 Depth=1
	s_or_b32 exec_lo, exec_lo, s0
	v_mov_b32_e32 v23, 0
	v_mov_b32_e32 v21, 0
	v_and_b32_sdwa v5, v46, v40 dst_sel:DWORD dst_unused:UNUSED_PAD src0_sel:WORD_1 src1_sel:DWORD
	v_mov_b32_e32 v24, 0
	v_mov_b32_e32 v22, 0
	s_mov_b32 s0, exec_lo
	v_cmpx_ne_u16_e32 0, v5
	s_cbranch_execz .LBB229_319
; %bb.312:                              ;   in Loop: Header=BB229_294 Depth=1
	v_bfrev_b32_e32 v21, 1
	v_mov_b32_e32 v22, 0
	s_mov_b32 s13, exec_lo
	v_cmpx_ne_u16_e32 0x80, v5
	s_cbranch_execz .LBB229_318
; %bb.313:                              ;   in Loop: Header=BB229_294 Depth=1
	v_mov_b32_e32 v21, 0x7f800001
	v_bfe_u32 v9, v46, 16, 7
	v_mov_b32_e32 v22, 0
	s_mov_b32 s17, exec_lo
	v_cmpx_ne_u32_e32 0x7f, v9
	s_cbranch_execz .LBB229_317
; %bb.314:                              ;   in Loop: Header=BB229_294 Depth=1
	v_and_b32_sdwa v5, v46, v41 dst_sel:DWORD dst_unused:UNUSED_PAD src0_sel:WORD_1 src1_sel:DWORD
	v_lshrrev_b32_e32 v7, 3, v9
	s_mov_b32 s18, exec_lo
	v_cmpx_gt_u32_e32 8, v9
; %bb.315:                              ;   in Loop: Header=BB229_294 Depth=1
	v_ffbh_u32_e32 v7, v5
	v_min_u32_e32 v7, 32, v7
	v_subrev_nc_u32_e32 v9, 28, v7
	v_sub_nc_u32_e32 v7, 29, v7
	v_lshlrev_b64 v[21:22], v9, v[5:6]
	v_and_b32_e32 v5, 7, v21
; %bb.316:                              ;   in Loop: Header=BB229_294 Depth=1
	s_or_b32 exec_lo, exec_lo, s18
	v_lshlrev_b32_sdwa v9, v42, v46 dst_sel:DWORD dst_unused:UNUSED_PAD src0_sel:DWORD src1_sel:WORD_1
	v_lshlrev_b32_e32 v5, 20, v5
	v_lshl_add_u32 v7, v7, 23, 0x3c000000
	v_and_b32_e32 v9, 0x80000000, v9
	v_or3_b32 v5, v5, v9, v7
	v_mov_b32_e32 v22, v6
	v_mov_b32_e32 v21, v5
.LBB229_317:                            ;   in Loop: Header=BB229_294 Depth=1
	s_or_b32 exec_lo, exec_lo, s17
.LBB229_318:                            ;   in Loop: Header=BB229_294 Depth=1
	s_or_b32 exec_lo, exec_lo, s13
.LBB229_319:                            ;   in Loop: Header=BB229_294 Depth=1
	s_or_b32 exec_lo, exec_lo, s0
	s_mov_b32 s0, exec_lo
	v_cmpx_lt_u32_e32 0xffffff, v46
	s_cbranch_execz .LBB229_327
; %bb.320:                              ;   in Loop: Header=BB229_294 Depth=1
	v_mov_b32_e32 v7, v6
	v_mov_b32_e32 v24, v8
	v_cmp_ne_u32_sdwa s17, v46, v34 src0_sel:BYTE_3 src1_sel:DWORD
	v_mov_b32_e32 v23, v7
	s_and_saveexec_b32 s13, s17
	s_cbranch_execz .LBB229_326
; %bb.321:                              ;   in Loop: Header=BB229_294 Depth=1
	v_mov_b32_e32 v9, v6
	v_mov_b32_e32 v24, v10
	v_bfe_u32 v47, v46, 24, 7
	s_mov_b32 s17, exec_lo
	v_mov_b32_e32 v23, v9
	v_cmpx_ne_u32_e32 0x7f, v47
	s_cbranch_execz .LBB229_325
; %bb.322:                              ;   in Loop: Header=BB229_294 Depth=1
	v_and_b32_sdwa v5, v46, v41 dst_sel:DWORD dst_unused:UNUSED_PAD src0_sel:BYTE_3 src1_sel:DWORD
	v_lshrrev_b32_e32 v7, 3, v47
	s_mov_b32 s18, exec_lo
	v_cmpx_gt_u32_e32 8, v47
; %bb.323:                              ;   in Loop: Header=BB229_294 Depth=1
	v_ffbh_u32_e32 v7, v5
	v_min_u32_e32 v7, 32, v7
	v_subrev_nc_u32_e32 v9, 28, v7
	v_sub_nc_u32_e32 v7, 29, v7
	v_lshlrev_b64 v[23:24], v9, v[5:6]
	v_and_b32_e32 v5, 7, v23
; %bb.324:                              ;   in Loop: Header=BB229_294 Depth=1
	s_or_b32 exec_lo, exec_lo, s18
	v_lshlrev_b32_sdwa v9, v42, v46 dst_sel:DWORD dst_unused:UNUSED_PAD src0_sel:DWORD src1_sel:BYTE_3
	v_lshlrev_b32_e32 v5, 20, v5
	v_lshl_add_u32 v7, v7, 23, 0x3c000000
	v_mov_b32_e32 v23, v6
	v_and_b32_e32 v9, 0x80000000, v9
	v_or3_b32 v24, v5, v9, v7
.LBB229_325:                            ;   in Loop: Header=BB229_294 Depth=1
	s_or_b32 exec_lo, exec_lo, s17
.LBB229_326:                            ;   in Loop: Header=BB229_294 Depth=1
	s_or_b32 exec_lo, exec_lo, s13
.LBB229_327:                            ;   in Loop: Header=BB229_294 Depth=1
	s_or_b32 exec_lo, exec_lo, s0
	v_add_nc_u32_e32 v50, v43, v111
	v_or_b32_e32 v5, v20, v18
	v_or_b32_e32 v7, v19, v17
	;; [unrolled: 1-line block ×4, first 2 shown]
	v_cmp_eq_u32_e32 vcc_lo, s33, v33
	s_waitcnt lgkmcnt(0)
	v_mul_f32_e32 v48, s12, v5
	v_mul_f32_e32 v49, s12, v7
	;; [unrolled: 1-line block ×4, first 2 shown]
	v_add_nc_u32_e32 v53, 1, v50
	v_add_nc_u32_e32 v52, 2, v50
	;; [unrolled: 1-line block ×3, first 2 shown]
	s_and_saveexec_b32 s13, vcc_lo
	s_cbranch_execz .LBB229_329
; %bb.328:                              ;   in Loop: Header=BB229_294 Depth=1
	v_cmp_gt_i32_e64 s0, s31, v50
	v_cndmask_b32_e64 v49, 0, v49, s0
	v_cmp_gt_i32_e64 s0, s31, v53
	v_cndmask_b32_e64 v48, 0, v48, s0
	;; [unrolled: 2-line block ×4, first 2 shown]
.LBB229_329:                            ;   in Loop: Header=BB229_294 Depth=1
	s_or_b32 exec_lo, exec_lo, s13
	global_load_dword v54, v[15:16], off offset:128
	v_mov_b32_e32 v19, 0
	v_mov_b32_e32 v17, 0
	;; [unrolled: 1-line block ×4, first 2 shown]
	s_waitcnt vmcnt(0)
	v_cmp_ne_u16_sdwa s0, v54, v6 src0_sel:BYTE_0 src1_sel:DWORD
	s_and_saveexec_b32 s13, s0
	s_cbranch_execz .LBB229_337
; %bb.330:                              ;   in Loop: Header=BB229_294 Depth=1
	v_bfrev_b32_e32 v17, 1
	v_mov_b32_e32 v18, 0
	v_cmp_ne_u16_sdwa s0, v54, v34 src0_sel:BYTE_0 src1_sel:DWORD
	s_and_saveexec_b32 s17, s0
	s_cbranch_execz .LBB229_336
; %bb.331:                              ;   in Loop: Header=BB229_294 Depth=1
	v_mov_b32_e32 v17, 0x7f800001
	v_and_b32_e32 v9, 0x7f, v54
	v_mov_b32_e32 v18, 0
	s_mov_b32 s18, exec_lo
	v_cmpx_ne_u32_e32 0x7f, v9
	s_cbranch_execz .LBB229_335
; %bb.332:                              ;   in Loop: Header=BB229_294 Depth=1
	v_and_b32_e32 v5, 7, v54
	v_lshrrev_b32_e32 v7, 3, v9
	s_mov_b32 s21, exec_lo
	v_cmpx_gt_u32_e32 8, v9
; %bb.333:                              ;   in Loop: Header=BB229_294 Depth=1
	v_ffbh_u32_e32 v7, v5
	v_min_u32_e32 v7, 32, v7
	v_subrev_nc_u32_e32 v9, 28, v7
	v_sub_nc_u32_e32 v7, 29, v7
	v_lshlrev_b64 v[17:18], v9, v[5:6]
	v_and_b32_e32 v5, 7, v17
; %bb.334:                              ;   in Loop: Header=BB229_294 Depth=1
	s_or_b32 exec_lo, exec_lo, s21
	v_lshlrev_b32_e32 v9, 24, v54
	v_lshlrev_b32_e32 v5, 20, v5
	v_lshl_add_u32 v7, v7, 23, 0x3c000000
	v_and_b32_e32 v9, 0x80000000, v9
	v_or3_b32 v5, v5, v9, v7
	v_mov_b32_e32 v18, v6
	v_mov_b32_e32 v17, v5
.LBB229_335:                            ;   in Loop: Header=BB229_294 Depth=1
	s_or_b32 exec_lo, exec_lo, s18
.LBB229_336:                            ;   in Loop: Header=BB229_294 Depth=1
	s_or_b32 exec_lo, exec_lo, s17
.LBB229_337:                            ;   in Loop: Header=BB229_294 Depth=1
	s_or_b32 exec_lo, exec_lo, s13
	v_cmp_ne_u16_sdwa s0, v54, v6 src0_sel:BYTE_1 src1_sel:DWORD
	s_and_saveexec_b32 s13, s0
	s_cbranch_execz .LBB229_345
; %bb.338:                              ;   in Loop: Header=BB229_294 Depth=1
	v_mov_b32_e32 v7, v6
	v_mov_b32_e32 v20, v8
	v_cmp_ne_u16_sdwa s0, v54, v34 src0_sel:BYTE_1 src1_sel:DWORD
	v_mov_b32_e32 v19, v7
	s_and_saveexec_b32 s17, s0
	s_cbranch_execz .LBB229_344
; %bb.339:                              ;   in Loop: Header=BB229_294 Depth=1
	v_and_b32_sdwa v5, v39, v54 dst_sel:DWORD dst_unused:UNUSED_PAD src0_sel:DWORD src1_sel:BYTE_1
	v_mov_b32_e32 v9, v6
	v_mov_b32_e32 v20, v10
	s_mov_b32 s18, exec_lo
	v_and_b32_e32 v21, 0x7f, v5
	v_mov_b32_e32 v19, v9
	v_cmpx_ne_u32_e32 0x7f, v21
	s_cbranch_execz .LBB229_343
; %bb.340:                              ;   in Loop: Header=BB229_294 Depth=1
	v_and_b32_e32 v5, 7, v5
	v_lshrrev_b32_e32 v7, 3, v21
	s_mov_b32 s21, exec_lo
	v_cmpx_gt_u32_e32 8, v21
; %bb.341:                              ;   in Loop: Header=BB229_294 Depth=1
	v_ffbh_u32_e32 v7, v5
	v_min_u32_e32 v7, 32, v7
	v_subrev_nc_u32_e32 v9, 28, v7
	v_sub_nc_u32_e32 v7, 29, v7
	v_lshlrev_b64 v[19:20], v9, v[5:6]
	v_and_b32_e32 v5, 7, v19
; %bb.342:                              ;   in Loop: Header=BB229_294 Depth=1
	s_or_b32 exec_lo, exec_lo, s21
	v_lshlrev_b32_e32 v9, 16, v54
	v_lshlrev_b32_e32 v5, 20, v5
	v_lshl_add_u32 v7, v7, 23, 0x3c000000
	v_mov_b32_e32 v19, v6
	v_and_b32_e32 v9, 0x80000000, v9
	v_or3_b32 v20, v5, v9, v7
.LBB229_343:                            ;   in Loop: Header=BB229_294 Depth=1
	s_or_b32 exec_lo, exec_lo, s18
.LBB229_344:                            ;   in Loop: Header=BB229_294 Depth=1
	s_or_b32 exec_lo, exec_lo, s17
.LBB229_345:                            ;   in Loop: Header=BB229_294 Depth=1
	s_or_b32 exec_lo, exec_lo, s13
	v_mov_b32_e32 v23, 0
	v_mov_b32_e32 v21, 0
	v_and_b32_sdwa v5, v54, v40 dst_sel:DWORD dst_unused:UNUSED_PAD src0_sel:WORD_1 src1_sel:DWORD
	v_mov_b32_e32 v24, 0
	v_mov_b32_e32 v22, 0
	s_mov_b32 s13, exec_lo
	v_cmpx_ne_u16_e32 0, v5
	s_cbranch_execz .LBB229_353
; %bb.346:                              ;   in Loop: Header=BB229_294 Depth=1
	v_bfrev_b32_e32 v21, 1
	v_mov_b32_e32 v22, 0
	s_mov_b32 s17, exec_lo
	v_cmpx_ne_u16_e32 0x80, v5
	s_cbranch_execz .LBB229_352
; %bb.347:                              ;   in Loop: Header=BB229_294 Depth=1
	v_mov_b32_e32 v21, 0x7f800001
	v_bfe_u32 v9, v54, 16, 7
	v_mov_b32_e32 v22, 0
	s_mov_b32 s18, exec_lo
	v_cmpx_ne_u32_e32 0x7f, v9
	s_cbranch_execz .LBB229_351
; %bb.348:                              ;   in Loop: Header=BB229_294 Depth=1
	v_and_b32_sdwa v5, v54, v41 dst_sel:DWORD dst_unused:UNUSED_PAD src0_sel:WORD_1 src1_sel:DWORD
	v_lshrrev_b32_e32 v7, 3, v9
	s_mov_b32 s21, exec_lo
	v_cmpx_gt_u32_e32 8, v9
; %bb.349:                              ;   in Loop: Header=BB229_294 Depth=1
	v_ffbh_u32_e32 v7, v5
	v_min_u32_e32 v7, 32, v7
	v_subrev_nc_u32_e32 v9, 28, v7
	v_sub_nc_u32_e32 v7, 29, v7
	v_lshlrev_b64 v[21:22], v9, v[5:6]
	v_and_b32_e32 v5, 7, v21
; %bb.350:                              ;   in Loop: Header=BB229_294 Depth=1
	s_or_b32 exec_lo, exec_lo, s21
	v_lshlrev_b32_sdwa v9, v42, v54 dst_sel:DWORD dst_unused:UNUSED_PAD src0_sel:DWORD src1_sel:WORD_1
	v_lshlrev_b32_e32 v5, 20, v5
	v_lshl_add_u32 v7, v7, 23, 0x3c000000
	v_and_b32_e32 v9, 0x80000000, v9
	v_or3_b32 v5, v5, v9, v7
	v_mov_b32_e32 v22, v6
	v_mov_b32_e32 v21, v5
.LBB229_351:                            ;   in Loop: Header=BB229_294 Depth=1
	s_or_b32 exec_lo, exec_lo, s18
.LBB229_352:                            ;   in Loop: Header=BB229_294 Depth=1
	s_or_b32 exec_lo, exec_lo, s17
.LBB229_353:                            ;   in Loop: Header=BB229_294 Depth=1
	s_or_b32 exec_lo, exec_lo, s13
	s_mov_b32 s13, exec_lo
	v_cmpx_lt_u32_e32 0xffffff, v54
	s_cbranch_execz .LBB229_361
; %bb.354:                              ;   in Loop: Header=BB229_294 Depth=1
	v_mov_b32_e32 v7, v6
	v_mov_b32_e32 v24, v8
	v_cmp_ne_u32_sdwa s0, v54, v34 src0_sel:BYTE_3 src1_sel:DWORD
	v_mov_b32_e32 v23, v7
	s_and_saveexec_b32 s17, s0
	s_cbranch_execz .LBB229_360
; %bb.355:                              ;   in Loop: Header=BB229_294 Depth=1
	v_mov_b32_e32 v9, v6
	v_mov_b32_e32 v24, v10
	v_bfe_u32 v55, v54, 24, 7
	s_mov_b32 s18, exec_lo
	v_mov_b32_e32 v23, v9
	v_cmpx_ne_u32_e32 0x7f, v55
	s_cbranch_execz .LBB229_359
; %bb.356:                              ;   in Loop: Header=BB229_294 Depth=1
	v_and_b32_sdwa v5, v54, v41 dst_sel:DWORD dst_unused:UNUSED_PAD src0_sel:BYTE_3 src1_sel:DWORD
	v_lshrrev_b32_e32 v7, 3, v55
	s_mov_b32 s21, exec_lo
	v_cmpx_gt_u32_e32 8, v55
; %bb.357:                              ;   in Loop: Header=BB229_294 Depth=1
	v_ffbh_u32_e32 v7, v5
	v_min_u32_e32 v7, 32, v7
	v_subrev_nc_u32_e32 v9, 28, v7
	v_sub_nc_u32_e32 v7, 29, v7
	v_lshlrev_b64 v[23:24], v9, v[5:6]
	v_and_b32_e32 v5, 7, v23
; %bb.358:                              ;   in Loop: Header=BB229_294 Depth=1
	s_or_b32 exec_lo, exec_lo, s21
	v_lshlrev_b32_sdwa v9, v42, v54 dst_sel:DWORD dst_unused:UNUSED_PAD src0_sel:DWORD src1_sel:BYTE_3
	v_lshlrev_b32_e32 v5, 20, v5
	v_lshl_add_u32 v7, v7, 23, 0x3c000000
	v_mov_b32_e32 v23, v6
	v_and_b32_e32 v9, 0x80000000, v9
	v_or3_b32 v24, v5, v9, v7
.LBB229_359:                            ;   in Loop: Header=BB229_294 Depth=1
	s_or_b32 exec_lo, exec_lo, s18
.LBB229_360:                            ;   in Loop: Header=BB229_294 Depth=1
	s_or_b32 exec_lo, exec_lo, s17
.LBB229_361:                            ;   in Loop: Header=BB229_294 Depth=1
	s_or_b32 exec_lo, exec_lo, s13
	v_or_b32_e32 v5, v20, v18
	v_or_b32_e32 v7, v19, v17
	;; [unrolled: 1-line block ×4, first 2 shown]
	s_mov_b32 s13, s12
	v_mul_f32_e32 v56, s13, v5
	v_mul_f32_e32 v57, s12, v7
	;; [unrolled: 1-line block ×4, first 2 shown]
	s_and_saveexec_b32 s17, vcc_lo
	s_cbranch_execz .LBB229_363
; %bb.362:                              ;   in Loop: Header=BB229_294 Depth=1
	v_cmp_gt_i32_e64 s0, s31, v50
	v_cndmask_b32_e64 v57, 0, v57, s0
	v_cmp_gt_i32_e64 s0, s31, v53
	v_cndmask_b32_e64 v56, 0, v56, s0
	;; [unrolled: 2-line block ×4, first 2 shown]
.LBB229_363:                            ;   in Loop: Header=BB229_294 Depth=1
	s_or_b32 exec_lo, exec_lo, s17
	global_load_dword v58, v[15:16], off offset:256
	v_mov_b32_e32 v19, 0
	v_mov_b32_e32 v17, 0
	;; [unrolled: 1-line block ×4, first 2 shown]
	s_waitcnt vmcnt(0)
	v_cmp_ne_u16_sdwa s0, v58, v6 src0_sel:BYTE_0 src1_sel:DWORD
	s_and_saveexec_b32 s17, s0
	s_cbranch_execz .LBB229_371
; %bb.364:                              ;   in Loop: Header=BB229_294 Depth=1
	v_bfrev_b32_e32 v17, 1
	v_mov_b32_e32 v18, 0
	v_cmp_ne_u16_sdwa s0, v58, v34 src0_sel:BYTE_0 src1_sel:DWORD
	s_and_saveexec_b32 s18, s0
	s_cbranch_execz .LBB229_370
; %bb.365:                              ;   in Loop: Header=BB229_294 Depth=1
	v_mov_b32_e32 v17, 0x7f800001
	v_and_b32_e32 v9, 0x7f, v58
	v_mov_b32_e32 v18, 0
	s_mov_b32 s21, exec_lo
	v_cmpx_ne_u32_e32 0x7f, v9
	s_cbranch_execz .LBB229_369
; %bb.366:                              ;   in Loop: Header=BB229_294 Depth=1
	v_and_b32_e32 v5, 7, v58
	v_lshrrev_b32_e32 v7, 3, v9
	s_mov_b32 s22, exec_lo
	v_cmpx_gt_u32_e32 8, v9
; %bb.367:                              ;   in Loop: Header=BB229_294 Depth=1
	v_ffbh_u32_e32 v7, v5
	v_min_u32_e32 v7, 32, v7
	v_subrev_nc_u32_e32 v9, 28, v7
	v_sub_nc_u32_e32 v7, 29, v7
	v_lshlrev_b64 v[17:18], v9, v[5:6]
	v_and_b32_e32 v5, 7, v17
; %bb.368:                              ;   in Loop: Header=BB229_294 Depth=1
	s_or_b32 exec_lo, exec_lo, s22
	v_lshlrev_b32_e32 v9, 24, v58
	v_lshlrev_b32_e32 v5, 20, v5
	v_lshl_add_u32 v7, v7, 23, 0x3c000000
	v_and_b32_e32 v9, 0x80000000, v9
	v_or3_b32 v5, v5, v9, v7
	v_mov_b32_e32 v18, v6
	v_mov_b32_e32 v17, v5
.LBB229_369:                            ;   in Loop: Header=BB229_294 Depth=1
	s_or_b32 exec_lo, exec_lo, s21
.LBB229_370:                            ;   in Loop: Header=BB229_294 Depth=1
	s_or_b32 exec_lo, exec_lo, s18
.LBB229_371:                            ;   in Loop: Header=BB229_294 Depth=1
	s_or_b32 exec_lo, exec_lo, s17
	v_cmp_ne_u16_sdwa s0, v58, v6 src0_sel:BYTE_1 src1_sel:DWORD
	s_and_saveexec_b32 s17, s0
	s_cbranch_execz .LBB229_379
; %bb.372:                              ;   in Loop: Header=BB229_294 Depth=1
	v_mov_b32_e32 v7, v6
	v_mov_b32_e32 v20, v8
	v_cmp_ne_u16_sdwa s0, v58, v34 src0_sel:BYTE_1 src1_sel:DWORD
	v_mov_b32_e32 v19, v7
	s_and_saveexec_b32 s18, s0
	s_cbranch_execz .LBB229_378
; %bb.373:                              ;   in Loop: Header=BB229_294 Depth=1
	v_and_b32_sdwa v5, v39, v58 dst_sel:DWORD dst_unused:UNUSED_PAD src0_sel:DWORD src1_sel:BYTE_1
	v_mov_b32_e32 v9, v6
	v_mov_b32_e32 v20, v10
	s_mov_b32 s21, exec_lo
	v_and_b32_e32 v21, 0x7f, v5
	v_mov_b32_e32 v19, v9
	v_cmpx_ne_u32_e32 0x7f, v21
	s_cbranch_execz .LBB229_377
; %bb.374:                              ;   in Loop: Header=BB229_294 Depth=1
	v_and_b32_e32 v5, 7, v5
	v_lshrrev_b32_e32 v7, 3, v21
	s_mov_b32 s22, exec_lo
	v_cmpx_gt_u32_e32 8, v21
; %bb.375:                              ;   in Loop: Header=BB229_294 Depth=1
	v_ffbh_u32_e32 v7, v5
	v_min_u32_e32 v7, 32, v7
	v_subrev_nc_u32_e32 v9, 28, v7
	v_sub_nc_u32_e32 v7, 29, v7
	v_lshlrev_b64 v[19:20], v9, v[5:6]
	v_and_b32_e32 v5, 7, v19
; %bb.376:                              ;   in Loop: Header=BB229_294 Depth=1
	s_or_b32 exec_lo, exec_lo, s22
	v_lshlrev_b32_e32 v9, 16, v58
	v_lshlrev_b32_e32 v5, 20, v5
	v_lshl_add_u32 v7, v7, 23, 0x3c000000
	v_mov_b32_e32 v19, v6
	v_and_b32_e32 v9, 0x80000000, v9
	v_or3_b32 v20, v5, v9, v7
.LBB229_377:                            ;   in Loop: Header=BB229_294 Depth=1
	s_or_b32 exec_lo, exec_lo, s21
.LBB229_378:                            ;   in Loop: Header=BB229_294 Depth=1
	s_or_b32 exec_lo, exec_lo, s18
.LBB229_379:                            ;   in Loop: Header=BB229_294 Depth=1
	s_or_b32 exec_lo, exec_lo, s17
	v_mov_b32_e32 v23, 0
	v_mov_b32_e32 v21, 0
	v_and_b32_sdwa v5, v58, v40 dst_sel:DWORD dst_unused:UNUSED_PAD src0_sel:WORD_1 src1_sel:DWORD
	v_mov_b32_e32 v24, 0
	v_mov_b32_e32 v22, 0
	s_mov_b32 s17, exec_lo
	v_cmpx_ne_u16_e32 0, v5
	s_cbranch_execz .LBB229_387
; %bb.380:                              ;   in Loop: Header=BB229_294 Depth=1
	v_bfrev_b32_e32 v21, 1
	v_mov_b32_e32 v22, 0
	s_mov_b32 s18, exec_lo
	v_cmpx_ne_u16_e32 0x80, v5
	s_cbranch_execz .LBB229_386
; %bb.381:                              ;   in Loop: Header=BB229_294 Depth=1
	v_mov_b32_e32 v21, 0x7f800001
	v_bfe_u32 v9, v58, 16, 7
	v_mov_b32_e32 v22, 0
	s_mov_b32 s21, exec_lo
	v_cmpx_ne_u32_e32 0x7f, v9
	s_cbranch_execz .LBB229_385
; %bb.382:                              ;   in Loop: Header=BB229_294 Depth=1
	v_and_b32_sdwa v5, v58, v41 dst_sel:DWORD dst_unused:UNUSED_PAD src0_sel:WORD_1 src1_sel:DWORD
	v_lshrrev_b32_e32 v7, 3, v9
	s_mov_b32 s22, exec_lo
	v_cmpx_gt_u32_e32 8, v9
; %bb.383:                              ;   in Loop: Header=BB229_294 Depth=1
	v_ffbh_u32_e32 v7, v5
	v_min_u32_e32 v7, 32, v7
	v_subrev_nc_u32_e32 v9, 28, v7
	v_sub_nc_u32_e32 v7, 29, v7
	v_lshlrev_b64 v[21:22], v9, v[5:6]
	v_and_b32_e32 v5, 7, v21
; %bb.384:                              ;   in Loop: Header=BB229_294 Depth=1
	s_or_b32 exec_lo, exec_lo, s22
	v_lshlrev_b32_sdwa v9, v42, v58 dst_sel:DWORD dst_unused:UNUSED_PAD src0_sel:DWORD src1_sel:WORD_1
	v_lshlrev_b32_e32 v5, 20, v5
	v_lshl_add_u32 v7, v7, 23, 0x3c000000
	v_and_b32_e32 v9, 0x80000000, v9
	v_or3_b32 v5, v5, v9, v7
	v_mov_b32_e32 v22, v6
	v_mov_b32_e32 v21, v5
.LBB229_385:                            ;   in Loop: Header=BB229_294 Depth=1
	s_or_b32 exec_lo, exec_lo, s21
.LBB229_386:                            ;   in Loop: Header=BB229_294 Depth=1
	s_or_b32 exec_lo, exec_lo, s18
.LBB229_387:                            ;   in Loop: Header=BB229_294 Depth=1
	s_or_b32 exec_lo, exec_lo, s17
	s_mov_b32 s17, exec_lo
	v_cmpx_lt_u32_e32 0xffffff, v58
	s_cbranch_execz .LBB229_395
; %bb.388:                              ;   in Loop: Header=BB229_294 Depth=1
	v_mov_b32_e32 v7, v6
	v_mov_b32_e32 v24, v8
	v_cmp_ne_u32_sdwa s0, v58, v34 src0_sel:BYTE_3 src1_sel:DWORD
	v_mov_b32_e32 v23, v7
	s_and_saveexec_b32 s18, s0
	s_cbranch_execz .LBB229_394
; %bb.389:                              ;   in Loop: Header=BB229_294 Depth=1
	v_mov_b32_e32 v9, v6
	v_mov_b32_e32 v24, v10
	v_bfe_u32 v59, v58, 24, 7
	s_mov_b32 s21, exec_lo
	v_mov_b32_e32 v23, v9
	v_cmpx_ne_u32_e32 0x7f, v59
	s_cbranch_execz .LBB229_393
; %bb.390:                              ;   in Loop: Header=BB229_294 Depth=1
	v_and_b32_sdwa v5, v58, v41 dst_sel:DWORD dst_unused:UNUSED_PAD src0_sel:BYTE_3 src1_sel:DWORD
	v_lshrrev_b32_e32 v7, 3, v59
	s_mov_b32 s22, exec_lo
	v_cmpx_gt_u32_e32 8, v59
; %bb.391:                              ;   in Loop: Header=BB229_294 Depth=1
	v_ffbh_u32_e32 v7, v5
	v_min_u32_e32 v7, 32, v7
	v_subrev_nc_u32_e32 v9, 28, v7
	v_sub_nc_u32_e32 v7, 29, v7
	v_lshlrev_b64 v[23:24], v9, v[5:6]
	v_and_b32_e32 v5, 7, v23
; %bb.392:                              ;   in Loop: Header=BB229_294 Depth=1
	s_or_b32 exec_lo, exec_lo, s22
	v_lshlrev_b32_sdwa v9, v42, v58 dst_sel:DWORD dst_unused:UNUSED_PAD src0_sel:DWORD src1_sel:BYTE_3
	v_lshlrev_b32_e32 v5, 20, v5
	v_lshl_add_u32 v7, v7, 23, 0x3c000000
	v_mov_b32_e32 v23, v6
	v_and_b32_e32 v9, 0x80000000, v9
	v_or3_b32 v24, v5, v9, v7
.LBB229_393:                            ;   in Loop: Header=BB229_294 Depth=1
	s_or_b32 exec_lo, exec_lo, s21
.LBB229_394:                            ;   in Loop: Header=BB229_294 Depth=1
	s_or_b32 exec_lo, exec_lo, s18
.LBB229_395:                            ;   in Loop: Header=BB229_294 Depth=1
	s_or_b32 exec_lo, exec_lo, s17
	v_or_b32_e32 v5, v20, v18
	v_or_b32_e32 v7, v19, v17
	;; [unrolled: 1-line block ×4, first 2 shown]
	v_mul_f32_e32 v60, s13, v5
	v_mul_f32_e32 v61, s12, v7
	;; [unrolled: 1-line block ×4, first 2 shown]
	s_and_saveexec_b32 s17, vcc_lo
	s_cbranch_execz .LBB229_397
; %bb.396:                              ;   in Loop: Header=BB229_294 Depth=1
	v_cmp_gt_i32_e64 s0, s31, v50
	v_cndmask_b32_e64 v61, 0, v61, s0
	v_cmp_gt_i32_e64 s0, s31, v53
	v_cndmask_b32_e64 v60, 0, v60, s0
	;; [unrolled: 2-line block ×4, first 2 shown]
.LBB229_397:                            ;   in Loop: Header=BB229_294 Depth=1
	s_or_b32 exec_lo, exec_lo, s17
	global_load_dword v62, v[15:16], off offset:384
	v_mov_b32_e32 v19, 0
	v_mov_b32_e32 v17, 0
	;; [unrolled: 1-line block ×4, first 2 shown]
	s_waitcnt vmcnt(0)
	v_cmp_ne_u16_sdwa s0, v62, v6 src0_sel:BYTE_0 src1_sel:DWORD
	s_and_saveexec_b32 s17, s0
	s_cbranch_execz .LBB229_405
; %bb.398:                              ;   in Loop: Header=BB229_294 Depth=1
	v_bfrev_b32_e32 v17, 1
	v_mov_b32_e32 v18, 0
	v_cmp_ne_u16_sdwa s0, v62, v34 src0_sel:BYTE_0 src1_sel:DWORD
	s_and_saveexec_b32 s18, s0
	s_cbranch_execz .LBB229_404
; %bb.399:                              ;   in Loop: Header=BB229_294 Depth=1
	v_mov_b32_e32 v17, 0x7f800001
	v_and_b32_e32 v9, 0x7f, v62
	v_mov_b32_e32 v18, 0
	s_mov_b32 s21, exec_lo
	v_cmpx_ne_u32_e32 0x7f, v9
	s_cbranch_execz .LBB229_403
; %bb.400:                              ;   in Loop: Header=BB229_294 Depth=1
	v_and_b32_e32 v5, 7, v62
	v_lshrrev_b32_e32 v7, 3, v9
	s_mov_b32 s22, exec_lo
	v_cmpx_gt_u32_e32 8, v9
; %bb.401:                              ;   in Loop: Header=BB229_294 Depth=1
	v_ffbh_u32_e32 v7, v5
	v_min_u32_e32 v7, 32, v7
	v_subrev_nc_u32_e32 v9, 28, v7
	v_sub_nc_u32_e32 v7, 29, v7
	v_lshlrev_b64 v[17:18], v9, v[5:6]
	v_and_b32_e32 v5, 7, v17
; %bb.402:                              ;   in Loop: Header=BB229_294 Depth=1
	s_or_b32 exec_lo, exec_lo, s22
	v_lshlrev_b32_e32 v9, 24, v62
	v_lshlrev_b32_e32 v5, 20, v5
	v_lshl_add_u32 v7, v7, 23, 0x3c000000
	v_and_b32_e32 v9, 0x80000000, v9
	v_or3_b32 v5, v5, v9, v7
	v_mov_b32_e32 v18, v6
	v_mov_b32_e32 v17, v5
.LBB229_403:                            ;   in Loop: Header=BB229_294 Depth=1
	s_or_b32 exec_lo, exec_lo, s21
.LBB229_404:                            ;   in Loop: Header=BB229_294 Depth=1
	s_or_b32 exec_lo, exec_lo, s18
.LBB229_405:                            ;   in Loop: Header=BB229_294 Depth=1
	s_or_b32 exec_lo, exec_lo, s17
	v_cmp_ne_u16_sdwa s0, v62, v6 src0_sel:BYTE_1 src1_sel:DWORD
	s_and_saveexec_b32 s17, s0
	s_cbranch_execz .LBB229_413
; %bb.406:                              ;   in Loop: Header=BB229_294 Depth=1
	v_mov_b32_e32 v7, v6
	v_mov_b32_e32 v20, v8
	v_cmp_ne_u16_sdwa s0, v62, v34 src0_sel:BYTE_1 src1_sel:DWORD
	v_mov_b32_e32 v19, v7
	s_and_saveexec_b32 s18, s0
	s_cbranch_execz .LBB229_412
; %bb.407:                              ;   in Loop: Header=BB229_294 Depth=1
	v_and_b32_sdwa v5, v39, v62 dst_sel:DWORD dst_unused:UNUSED_PAD src0_sel:DWORD src1_sel:BYTE_1
	v_mov_b32_e32 v9, v6
	v_mov_b32_e32 v20, v10
	s_mov_b32 s21, exec_lo
	v_and_b32_e32 v21, 0x7f, v5
	v_mov_b32_e32 v19, v9
	v_cmpx_ne_u32_e32 0x7f, v21
	s_cbranch_execz .LBB229_411
; %bb.408:                              ;   in Loop: Header=BB229_294 Depth=1
	v_and_b32_e32 v5, 7, v5
	v_lshrrev_b32_e32 v7, 3, v21
	s_mov_b32 s22, exec_lo
	v_cmpx_gt_u32_e32 8, v21
; %bb.409:                              ;   in Loop: Header=BB229_294 Depth=1
	v_ffbh_u32_e32 v7, v5
	v_min_u32_e32 v7, 32, v7
	v_subrev_nc_u32_e32 v9, 28, v7
	v_sub_nc_u32_e32 v7, 29, v7
	v_lshlrev_b64 v[19:20], v9, v[5:6]
	v_and_b32_e32 v5, 7, v19
; %bb.410:                              ;   in Loop: Header=BB229_294 Depth=1
	s_or_b32 exec_lo, exec_lo, s22
	v_lshlrev_b32_e32 v9, 16, v62
	v_lshlrev_b32_e32 v5, 20, v5
	v_lshl_add_u32 v7, v7, 23, 0x3c000000
	v_mov_b32_e32 v19, v6
	v_and_b32_e32 v9, 0x80000000, v9
	v_or3_b32 v20, v5, v9, v7
.LBB229_411:                            ;   in Loop: Header=BB229_294 Depth=1
	s_or_b32 exec_lo, exec_lo, s21
.LBB229_412:                            ;   in Loop: Header=BB229_294 Depth=1
	s_or_b32 exec_lo, exec_lo, s18
.LBB229_413:                            ;   in Loop: Header=BB229_294 Depth=1
	s_or_b32 exec_lo, exec_lo, s17
	v_mov_b32_e32 v23, 0
	v_mov_b32_e32 v21, 0
	v_and_b32_sdwa v5, v62, v40 dst_sel:DWORD dst_unused:UNUSED_PAD src0_sel:WORD_1 src1_sel:DWORD
	v_mov_b32_e32 v24, 0
	v_mov_b32_e32 v22, 0
	s_mov_b32 s17, exec_lo
	v_cmpx_ne_u16_e32 0, v5
	s_cbranch_execz .LBB229_421
; %bb.414:                              ;   in Loop: Header=BB229_294 Depth=1
	v_bfrev_b32_e32 v21, 1
	v_mov_b32_e32 v22, 0
	s_mov_b32 s18, exec_lo
	v_cmpx_ne_u16_e32 0x80, v5
	s_cbranch_execz .LBB229_420
; %bb.415:                              ;   in Loop: Header=BB229_294 Depth=1
	v_mov_b32_e32 v21, 0x7f800001
	v_bfe_u32 v9, v62, 16, 7
	v_mov_b32_e32 v22, 0
	s_mov_b32 s21, exec_lo
	v_cmpx_ne_u32_e32 0x7f, v9
	s_cbranch_execz .LBB229_419
; %bb.416:                              ;   in Loop: Header=BB229_294 Depth=1
	v_and_b32_sdwa v5, v62, v41 dst_sel:DWORD dst_unused:UNUSED_PAD src0_sel:WORD_1 src1_sel:DWORD
	v_lshrrev_b32_e32 v7, 3, v9
	s_mov_b32 s22, exec_lo
	v_cmpx_gt_u32_e32 8, v9
; %bb.417:                              ;   in Loop: Header=BB229_294 Depth=1
	v_ffbh_u32_e32 v7, v5
	v_min_u32_e32 v7, 32, v7
	v_subrev_nc_u32_e32 v9, 28, v7
	v_sub_nc_u32_e32 v7, 29, v7
	v_lshlrev_b64 v[21:22], v9, v[5:6]
	v_and_b32_e32 v5, 7, v21
; %bb.418:                              ;   in Loop: Header=BB229_294 Depth=1
	s_or_b32 exec_lo, exec_lo, s22
	v_lshlrev_b32_sdwa v9, v42, v62 dst_sel:DWORD dst_unused:UNUSED_PAD src0_sel:DWORD src1_sel:WORD_1
	v_lshlrev_b32_e32 v5, 20, v5
	v_lshl_add_u32 v7, v7, 23, 0x3c000000
	v_and_b32_e32 v9, 0x80000000, v9
	v_or3_b32 v5, v5, v9, v7
	v_mov_b32_e32 v22, v6
	v_mov_b32_e32 v21, v5
.LBB229_419:                            ;   in Loop: Header=BB229_294 Depth=1
	s_or_b32 exec_lo, exec_lo, s21
.LBB229_420:                            ;   in Loop: Header=BB229_294 Depth=1
	s_or_b32 exec_lo, exec_lo, s18
.LBB229_421:                            ;   in Loop: Header=BB229_294 Depth=1
	s_or_b32 exec_lo, exec_lo, s17
	s_mov_b32 s17, exec_lo
	v_cmpx_lt_u32_e32 0xffffff, v62
	s_cbranch_execz .LBB229_429
; %bb.422:                              ;   in Loop: Header=BB229_294 Depth=1
	v_mov_b32_e32 v7, v6
	v_mov_b32_e32 v24, v8
	v_cmp_ne_u32_sdwa s0, v62, v34 src0_sel:BYTE_3 src1_sel:DWORD
	v_mov_b32_e32 v23, v7
	s_and_saveexec_b32 s18, s0
	s_cbranch_execz .LBB229_428
; %bb.423:                              ;   in Loop: Header=BB229_294 Depth=1
	v_mov_b32_e32 v9, v6
	v_mov_b32_e32 v24, v10
	v_bfe_u32 v63, v62, 24, 7
	s_mov_b32 s21, exec_lo
	v_mov_b32_e32 v23, v9
	v_cmpx_ne_u32_e32 0x7f, v63
	s_cbranch_execz .LBB229_427
; %bb.424:                              ;   in Loop: Header=BB229_294 Depth=1
	v_and_b32_sdwa v5, v62, v41 dst_sel:DWORD dst_unused:UNUSED_PAD src0_sel:BYTE_3 src1_sel:DWORD
	v_lshrrev_b32_e32 v7, 3, v63
	s_mov_b32 s22, exec_lo
	v_cmpx_gt_u32_e32 8, v63
; %bb.425:                              ;   in Loop: Header=BB229_294 Depth=1
	v_ffbh_u32_e32 v7, v5
	v_min_u32_e32 v7, 32, v7
	v_subrev_nc_u32_e32 v9, 28, v7
	v_sub_nc_u32_e32 v7, 29, v7
	v_lshlrev_b64 v[23:24], v9, v[5:6]
	v_and_b32_e32 v5, 7, v23
; %bb.426:                              ;   in Loop: Header=BB229_294 Depth=1
	s_or_b32 exec_lo, exec_lo, s22
	v_lshlrev_b32_sdwa v9, v42, v62 dst_sel:DWORD dst_unused:UNUSED_PAD src0_sel:DWORD src1_sel:BYTE_3
	v_lshlrev_b32_e32 v5, 20, v5
	v_lshl_add_u32 v7, v7, 23, 0x3c000000
	v_mov_b32_e32 v23, v6
	v_and_b32_e32 v9, 0x80000000, v9
	v_or3_b32 v24, v5, v9, v7
.LBB229_427:                            ;   in Loop: Header=BB229_294 Depth=1
	s_or_b32 exec_lo, exec_lo, s21
.LBB229_428:                            ;   in Loop: Header=BB229_294 Depth=1
	s_or_b32 exec_lo, exec_lo, s18
.LBB229_429:                            ;   in Loop: Header=BB229_294 Depth=1
	s_or_b32 exec_lo, exec_lo, s17
	v_or_b32_e32 v5, v20, v18
	v_or_b32_e32 v7, v19, v17
	;; [unrolled: 1-line block ×4, first 2 shown]
	v_mul_f32_e32 v64, s13, v5
	v_mul_f32_e32 v65, s12, v7
	v_mul_f32_e32 v63, s12, v9
	v_mul_f32_e32 v62, s13, v17
	s_and_saveexec_b32 s17, vcc_lo
	s_cbranch_execz .LBB229_431
; %bb.430:                              ;   in Loop: Header=BB229_294 Depth=1
	v_cmp_gt_i32_e64 s0, s31, v50
	v_cndmask_b32_e64 v65, 0, v65, s0
	v_cmp_gt_i32_e64 s0, s31, v53
	v_cndmask_b32_e64 v64, 0, v64, s0
	;; [unrolled: 2-line block ×4, first 2 shown]
.LBB229_431:                            ;   in Loop: Header=BB229_294 Depth=1
	s_or_b32 exec_lo, exec_lo, s17
	global_load_dword v66, v[15:16], off offset:512
	v_mov_b32_e32 v19, 0
	v_mov_b32_e32 v17, 0
	;; [unrolled: 1-line block ×4, first 2 shown]
	s_waitcnt vmcnt(0)
	v_cmp_ne_u16_sdwa s0, v66, v6 src0_sel:BYTE_0 src1_sel:DWORD
	s_and_saveexec_b32 s17, s0
	s_cbranch_execz .LBB229_439
; %bb.432:                              ;   in Loop: Header=BB229_294 Depth=1
	v_bfrev_b32_e32 v17, 1
	v_mov_b32_e32 v18, 0
	v_cmp_ne_u16_sdwa s0, v66, v34 src0_sel:BYTE_0 src1_sel:DWORD
	s_and_saveexec_b32 s18, s0
	s_cbranch_execz .LBB229_438
; %bb.433:                              ;   in Loop: Header=BB229_294 Depth=1
	v_mov_b32_e32 v17, 0x7f800001
	v_and_b32_e32 v9, 0x7f, v66
	v_mov_b32_e32 v18, 0
	s_mov_b32 s21, exec_lo
	v_cmpx_ne_u32_e32 0x7f, v9
	s_cbranch_execz .LBB229_437
; %bb.434:                              ;   in Loop: Header=BB229_294 Depth=1
	v_and_b32_e32 v5, 7, v66
	v_lshrrev_b32_e32 v7, 3, v9
	s_mov_b32 s22, exec_lo
	v_cmpx_gt_u32_e32 8, v9
; %bb.435:                              ;   in Loop: Header=BB229_294 Depth=1
	v_ffbh_u32_e32 v7, v5
	v_min_u32_e32 v7, 32, v7
	v_subrev_nc_u32_e32 v9, 28, v7
	v_sub_nc_u32_e32 v7, 29, v7
	v_lshlrev_b64 v[17:18], v9, v[5:6]
	v_and_b32_e32 v5, 7, v17
; %bb.436:                              ;   in Loop: Header=BB229_294 Depth=1
	s_or_b32 exec_lo, exec_lo, s22
	v_lshlrev_b32_e32 v9, 24, v66
	v_lshlrev_b32_e32 v5, 20, v5
	v_lshl_add_u32 v7, v7, 23, 0x3c000000
	v_and_b32_e32 v9, 0x80000000, v9
	v_or3_b32 v5, v5, v9, v7
	v_mov_b32_e32 v18, v6
	v_mov_b32_e32 v17, v5
.LBB229_437:                            ;   in Loop: Header=BB229_294 Depth=1
	s_or_b32 exec_lo, exec_lo, s21
.LBB229_438:                            ;   in Loop: Header=BB229_294 Depth=1
	s_or_b32 exec_lo, exec_lo, s18
.LBB229_439:                            ;   in Loop: Header=BB229_294 Depth=1
	s_or_b32 exec_lo, exec_lo, s17
	v_cmp_ne_u16_sdwa s0, v66, v6 src0_sel:BYTE_1 src1_sel:DWORD
	s_and_saveexec_b32 s17, s0
	s_cbranch_execz .LBB229_447
; %bb.440:                              ;   in Loop: Header=BB229_294 Depth=1
	v_mov_b32_e32 v7, v6
	v_mov_b32_e32 v20, v8
	v_cmp_ne_u16_sdwa s0, v66, v34 src0_sel:BYTE_1 src1_sel:DWORD
	v_mov_b32_e32 v19, v7
	s_and_saveexec_b32 s18, s0
	s_cbranch_execz .LBB229_446
; %bb.441:                              ;   in Loop: Header=BB229_294 Depth=1
	v_and_b32_sdwa v5, v39, v66 dst_sel:DWORD dst_unused:UNUSED_PAD src0_sel:DWORD src1_sel:BYTE_1
	v_mov_b32_e32 v9, v6
	v_mov_b32_e32 v20, v10
	s_mov_b32 s21, exec_lo
	v_and_b32_e32 v21, 0x7f, v5
	v_mov_b32_e32 v19, v9
	v_cmpx_ne_u32_e32 0x7f, v21
	s_cbranch_execz .LBB229_445
; %bb.442:                              ;   in Loop: Header=BB229_294 Depth=1
	v_and_b32_e32 v5, 7, v5
	v_lshrrev_b32_e32 v7, 3, v21
	s_mov_b32 s22, exec_lo
	v_cmpx_gt_u32_e32 8, v21
; %bb.443:                              ;   in Loop: Header=BB229_294 Depth=1
	v_ffbh_u32_e32 v7, v5
	v_min_u32_e32 v7, 32, v7
	v_subrev_nc_u32_e32 v9, 28, v7
	v_sub_nc_u32_e32 v7, 29, v7
	v_lshlrev_b64 v[19:20], v9, v[5:6]
	v_and_b32_e32 v5, 7, v19
; %bb.444:                              ;   in Loop: Header=BB229_294 Depth=1
	s_or_b32 exec_lo, exec_lo, s22
	v_lshlrev_b32_e32 v9, 16, v66
	v_lshlrev_b32_e32 v5, 20, v5
	v_lshl_add_u32 v7, v7, 23, 0x3c000000
	v_mov_b32_e32 v19, v6
	v_and_b32_e32 v9, 0x80000000, v9
	v_or3_b32 v20, v5, v9, v7
.LBB229_445:                            ;   in Loop: Header=BB229_294 Depth=1
	s_or_b32 exec_lo, exec_lo, s21
.LBB229_446:                            ;   in Loop: Header=BB229_294 Depth=1
	s_or_b32 exec_lo, exec_lo, s18
.LBB229_447:                            ;   in Loop: Header=BB229_294 Depth=1
	s_or_b32 exec_lo, exec_lo, s17
	v_mov_b32_e32 v23, 0
	v_mov_b32_e32 v21, 0
	v_and_b32_sdwa v5, v66, v40 dst_sel:DWORD dst_unused:UNUSED_PAD src0_sel:WORD_1 src1_sel:DWORD
	v_mov_b32_e32 v24, 0
	v_mov_b32_e32 v22, 0
	s_mov_b32 s17, exec_lo
	v_cmpx_ne_u16_e32 0, v5
	s_cbranch_execz .LBB229_455
; %bb.448:                              ;   in Loop: Header=BB229_294 Depth=1
	v_bfrev_b32_e32 v21, 1
	v_mov_b32_e32 v22, 0
	s_mov_b32 s18, exec_lo
	v_cmpx_ne_u16_e32 0x80, v5
	s_cbranch_execz .LBB229_454
; %bb.449:                              ;   in Loop: Header=BB229_294 Depth=1
	v_mov_b32_e32 v21, 0x7f800001
	v_bfe_u32 v9, v66, 16, 7
	v_mov_b32_e32 v22, 0
	s_mov_b32 s21, exec_lo
	v_cmpx_ne_u32_e32 0x7f, v9
	s_cbranch_execz .LBB229_453
; %bb.450:                              ;   in Loop: Header=BB229_294 Depth=1
	v_and_b32_sdwa v5, v66, v41 dst_sel:DWORD dst_unused:UNUSED_PAD src0_sel:WORD_1 src1_sel:DWORD
	v_lshrrev_b32_e32 v7, 3, v9
	s_mov_b32 s22, exec_lo
	v_cmpx_gt_u32_e32 8, v9
; %bb.451:                              ;   in Loop: Header=BB229_294 Depth=1
	v_ffbh_u32_e32 v7, v5
	v_min_u32_e32 v7, 32, v7
	v_subrev_nc_u32_e32 v9, 28, v7
	v_sub_nc_u32_e32 v7, 29, v7
	v_lshlrev_b64 v[21:22], v9, v[5:6]
	v_and_b32_e32 v5, 7, v21
; %bb.452:                              ;   in Loop: Header=BB229_294 Depth=1
	s_or_b32 exec_lo, exec_lo, s22
	v_lshlrev_b32_sdwa v9, v42, v66 dst_sel:DWORD dst_unused:UNUSED_PAD src0_sel:DWORD src1_sel:WORD_1
	v_lshlrev_b32_e32 v5, 20, v5
	v_lshl_add_u32 v7, v7, 23, 0x3c000000
	v_and_b32_e32 v9, 0x80000000, v9
	v_or3_b32 v5, v5, v9, v7
	v_mov_b32_e32 v22, v6
	v_mov_b32_e32 v21, v5
.LBB229_453:                            ;   in Loop: Header=BB229_294 Depth=1
	s_or_b32 exec_lo, exec_lo, s21
.LBB229_454:                            ;   in Loop: Header=BB229_294 Depth=1
	s_or_b32 exec_lo, exec_lo, s18
.LBB229_455:                            ;   in Loop: Header=BB229_294 Depth=1
	s_or_b32 exec_lo, exec_lo, s17
	s_mov_b32 s17, exec_lo
	v_cmpx_lt_u32_e32 0xffffff, v66
	s_cbranch_execz .LBB229_463
; %bb.456:                              ;   in Loop: Header=BB229_294 Depth=1
	v_mov_b32_e32 v7, v6
	v_mov_b32_e32 v24, v8
	v_cmp_ne_u32_sdwa s0, v66, v34 src0_sel:BYTE_3 src1_sel:DWORD
	v_mov_b32_e32 v23, v7
	s_and_saveexec_b32 s18, s0
	s_cbranch_execz .LBB229_462
; %bb.457:                              ;   in Loop: Header=BB229_294 Depth=1
	v_mov_b32_e32 v9, v6
	v_mov_b32_e32 v24, v10
	v_bfe_u32 v67, v66, 24, 7
	s_mov_b32 s21, exec_lo
	v_mov_b32_e32 v23, v9
	v_cmpx_ne_u32_e32 0x7f, v67
	s_cbranch_execz .LBB229_461
; %bb.458:                              ;   in Loop: Header=BB229_294 Depth=1
	v_and_b32_sdwa v5, v66, v41 dst_sel:DWORD dst_unused:UNUSED_PAD src0_sel:BYTE_3 src1_sel:DWORD
	v_lshrrev_b32_e32 v7, 3, v67
	s_mov_b32 s22, exec_lo
	v_cmpx_gt_u32_e32 8, v67
; %bb.459:                              ;   in Loop: Header=BB229_294 Depth=1
	v_ffbh_u32_e32 v7, v5
	v_min_u32_e32 v7, 32, v7
	v_subrev_nc_u32_e32 v9, 28, v7
	v_sub_nc_u32_e32 v7, 29, v7
	v_lshlrev_b64 v[23:24], v9, v[5:6]
	v_and_b32_e32 v5, 7, v23
; %bb.460:                              ;   in Loop: Header=BB229_294 Depth=1
	s_or_b32 exec_lo, exec_lo, s22
	v_lshlrev_b32_sdwa v9, v42, v66 dst_sel:DWORD dst_unused:UNUSED_PAD src0_sel:DWORD src1_sel:BYTE_3
	v_lshlrev_b32_e32 v5, 20, v5
	v_lshl_add_u32 v7, v7, 23, 0x3c000000
	v_mov_b32_e32 v23, v6
	v_and_b32_e32 v9, 0x80000000, v9
	v_or3_b32 v24, v5, v9, v7
.LBB229_461:                            ;   in Loop: Header=BB229_294 Depth=1
	s_or_b32 exec_lo, exec_lo, s21
.LBB229_462:                            ;   in Loop: Header=BB229_294 Depth=1
	s_or_b32 exec_lo, exec_lo, s18
.LBB229_463:                            ;   in Loop: Header=BB229_294 Depth=1
	s_or_b32 exec_lo, exec_lo, s17
	v_or_b32_e32 v5, v20, v18
	v_or_b32_e32 v7, v19, v17
	;; [unrolled: 1-line block ×4, first 2 shown]
	v_mul_f32_e32 v68, s13, v5
	v_mul_f32_e32 v69, s12, v7
	;; [unrolled: 1-line block ×4, first 2 shown]
	s_and_saveexec_b32 s17, vcc_lo
	s_cbranch_execz .LBB229_465
; %bb.464:                              ;   in Loop: Header=BB229_294 Depth=1
	v_cmp_gt_i32_e64 s0, s31, v50
	v_cndmask_b32_e64 v69, 0, v69, s0
	v_cmp_gt_i32_e64 s0, s31, v53
	v_cndmask_b32_e64 v68, 0, v68, s0
	;; [unrolled: 2-line block ×4, first 2 shown]
.LBB229_465:                            ;   in Loop: Header=BB229_294 Depth=1
	s_or_b32 exec_lo, exec_lo, s17
	global_load_dword v70, v[15:16], off offset:640
	v_mov_b32_e32 v19, 0
	v_mov_b32_e32 v17, 0
	;; [unrolled: 1-line block ×4, first 2 shown]
	s_waitcnt vmcnt(0)
	v_cmp_ne_u16_sdwa s0, v70, v6 src0_sel:BYTE_0 src1_sel:DWORD
	s_and_saveexec_b32 s17, s0
	s_cbranch_execz .LBB229_473
; %bb.466:                              ;   in Loop: Header=BB229_294 Depth=1
	v_bfrev_b32_e32 v17, 1
	v_mov_b32_e32 v18, 0
	v_cmp_ne_u16_sdwa s0, v70, v34 src0_sel:BYTE_0 src1_sel:DWORD
	s_and_saveexec_b32 s18, s0
	s_cbranch_execz .LBB229_472
; %bb.467:                              ;   in Loop: Header=BB229_294 Depth=1
	v_mov_b32_e32 v17, 0x7f800001
	v_and_b32_e32 v9, 0x7f, v70
	v_mov_b32_e32 v18, 0
	s_mov_b32 s21, exec_lo
	v_cmpx_ne_u32_e32 0x7f, v9
	s_cbranch_execz .LBB229_471
; %bb.468:                              ;   in Loop: Header=BB229_294 Depth=1
	v_and_b32_e32 v5, 7, v70
	v_lshrrev_b32_e32 v7, 3, v9
	s_mov_b32 s22, exec_lo
	v_cmpx_gt_u32_e32 8, v9
; %bb.469:                              ;   in Loop: Header=BB229_294 Depth=1
	v_ffbh_u32_e32 v7, v5
	v_min_u32_e32 v7, 32, v7
	v_subrev_nc_u32_e32 v9, 28, v7
	v_sub_nc_u32_e32 v7, 29, v7
	v_lshlrev_b64 v[17:18], v9, v[5:6]
	v_and_b32_e32 v5, 7, v17
; %bb.470:                              ;   in Loop: Header=BB229_294 Depth=1
	s_or_b32 exec_lo, exec_lo, s22
	v_lshlrev_b32_e32 v9, 24, v70
	v_lshlrev_b32_e32 v5, 20, v5
	v_lshl_add_u32 v7, v7, 23, 0x3c000000
	v_and_b32_e32 v9, 0x80000000, v9
	v_or3_b32 v5, v5, v9, v7
	v_mov_b32_e32 v18, v6
	v_mov_b32_e32 v17, v5
.LBB229_471:                            ;   in Loop: Header=BB229_294 Depth=1
	s_or_b32 exec_lo, exec_lo, s21
.LBB229_472:                            ;   in Loop: Header=BB229_294 Depth=1
	s_or_b32 exec_lo, exec_lo, s18
.LBB229_473:                            ;   in Loop: Header=BB229_294 Depth=1
	s_or_b32 exec_lo, exec_lo, s17
	v_cmp_ne_u16_sdwa s0, v70, v6 src0_sel:BYTE_1 src1_sel:DWORD
	s_and_saveexec_b32 s17, s0
	s_cbranch_execz .LBB229_481
; %bb.474:                              ;   in Loop: Header=BB229_294 Depth=1
	v_mov_b32_e32 v7, v6
	v_mov_b32_e32 v20, v8
	v_cmp_ne_u16_sdwa s0, v70, v34 src0_sel:BYTE_1 src1_sel:DWORD
	v_mov_b32_e32 v19, v7
	s_and_saveexec_b32 s18, s0
	s_cbranch_execz .LBB229_480
; %bb.475:                              ;   in Loop: Header=BB229_294 Depth=1
	v_and_b32_sdwa v5, v39, v70 dst_sel:DWORD dst_unused:UNUSED_PAD src0_sel:DWORD src1_sel:BYTE_1
	v_mov_b32_e32 v9, v6
	v_mov_b32_e32 v20, v10
	s_mov_b32 s21, exec_lo
	v_and_b32_e32 v21, 0x7f, v5
	v_mov_b32_e32 v19, v9
	v_cmpx_ne_u32_e32 0x7f, v21
	s_cbranch_execz .LBB229_479
; %bb.476:                              ;   in Loop: Header=BB229_294 Depth=1
	v_and_b32_e32 v5, 7, v5
	v_lshrrev_b32_e32 v7, 3, v21
	s_mov_b32 s22, exec_lo
	v_cmpx_gt_u32_e32 8, v21
; %bb.477:                              ;   in Loop: Header=BB229_294 Depth=1
	v_ffbh_u32_e32 v7, v5
	v_min_u32_e32 v7, 32, v7
	v_subrev_nc_u32_e32 v9, 28, v7
	v_sub_nc_u32_e32 v7, 29, v7
	v_lshlrev_b64 v[19:20], v9, v[5:6]
	v_and_b32_e32 v5, 7, v19
; %bb.478:                              ;   in Loop: Header=BB229_294 Depth=1
	s_or_b32 exec_lo, exec_lo, s22
	v_lshlrev_b32_e32 v9, 16, v70
	v_lshlrev_b32_e32 v5, 20, v5
	v_lshl_add_u32 v7, v7, 23, 0x3c000000
	v_mov_b32_e32 v19, v6
	v_and_b32_e32 v9, 0x80000000, v9
	v_or3_b32 v20, v5, v9, v7
.LBB229_479:                            ;   in Loop: Header=BB229_294 Depth=1
	s_or_b32 exec_lo, exec_lo, s21
.LBB229_480:                            ;   in Loop: Header=BB229_294 Depth=1
	s_or_b32 exec_lo, exec_lo, s18
.LBB229_481:                            ;   in Loop: Header=BB229_294 Depth=1
	s_or_b32 exec_lo, exec_lo, s17
	v_mov_b32_e32 v23, 0
	v_mov_b32_e32 v21, 0
	v_and_b32_sdwa v5, v70, v40 dst_sel:DWORD dst_unused:UNUSED_PAD src0_sel:WORD_1 src1_sel:DWORD
	v_mov_b32_e32 v24, 0
	v_mov_b32_e32 v22, 0
	s_mov_b32 s17, exec_lo
	v_cmpx_ne_u16_e32 0, v5
	s_cbranch_execz .LBB229_489
; %bb.482:                              ;   in Loop: Header=BB229_294 Depth=1
	v_bfrev_b32_e32 v21, 1
	v_mov_b32_e32 v22, 0
	s_mov_b32 s18, exec_lo
	v_cmpx_ne_u16_e32 0x80, v5
	s_cbranch_execz .LBB229_488
; %bb.483:                              ;   in Loop: Header=BB229_294 Depth=1
	v_mov_b32_e32 v21, 0x7f800001
	v_bfe_u32 v9, v70, 16, 7
	v_mov_b32_e32 v22, 0
	s_mov_b32 s21, exec_lo
	v_cmpx_ne_u32_e32 0x7f, v9
	s_cbranch_execz .LBB229_487
; %bb.484:                              ;   in Loop: Header=BB229_294 Depth=1
	v_and_b32_sdwa v5, v70, v41 dst_sel:DWORD dst_unused:UNUSED_PAD src0_sel:WORD_1 src1_sel:DWORD
	v_lshrrev_b32_e32 v7, 3, v9
	s_mov_b32 s22, exec_lo
	v_cmpx_gt_u32_e32 8, v9
; %bb.485:                              ;   in Loop: Header=BB229_294 Depth=1
	v_ffbh_u32_e32 v7, v5
	v_min_u32_e32 v7, 32, v7
	v_subrev_nc_u32_e32 v9, 28, v7
	v_sub_nc_u32_e32 v7, 29, v7
	v_lshlrev_b64 v[21:22], v9, v[5:6]
	v_and_b32_e32 v5, 7, v21
; %bb.486:                              ;   in Loop: Header=BB229_294 Depth=1
	s_or_b32 exec_lo, exec_lo, s22
	v_lshlrev_b32_sdwa v9, v42, v70 dst_sel:DWORD dst_unused:UNUSED_PAD src0_sel:DWORD src1_sel:WORD_1
	v_lshlrev_b32_e32 v5, 20, v5
	v_lshl_add_u32 v7, v7, 23, 0x3c000000
	v_and_b32_e32 v9, 0x80000000, v9
	v_or3_b32 v5, v5, v9, v7
	v_mov_b32_e32 v22, v6
	v_mov_b32_e32 v21, v5
.LBB229_487:                            ;   in Loop: Header=BB229_294 Depth=1
	s_or_b32 exec_lo, exec_lo, s21
.LBB229_488:                            ;   in Loop: Header=BB229_294 Depth=1
	s_or_b32 exec_lo, exec_lo, s18
.LBB229_489:                            ;   in Loop: Header=BB229_294 Depth=1
	s_or_b32 exec_lo, exec_lo, s17
	s_mov_b32 s17, exec_lo
	v_cmpx_lt_u32_e32 0xffffff, v70
	s_cbranch_execz .LBB229_497
; %bb.490:                              ;   in Loop: Header=BB229_294 Depth=1
	v_mov_b32_e32 v7, v6
	v_mov_b32_e32 v24, v8
	v_cmp_ne_u32_sdwa s0, v70, v34 src0_sel:BYTE_3 src1_sel:DWORD
	v_mov_b32_e32 v23, v7
	s_and_saveexec_b32 s18, s0
	s_cbranch_execz .LBB229_496
; %bb.491:                              ;   in Loop: Header=BB229_294 Depth=1
	v_mov_b32_e32 v9, v6
	v_mov_b32_e32 v24, v10
	v_bfe_u32 v71, v70, 24, 7
	s_mov_b32 s21, exec_lo
	v_mov_b32_e32 v23, v9
	v_cmpx_ne_u32_e32 0x7f, v71
	s_cbranch_execz .LBB229_495
; %bb.492:                              ;   in Loop: Header=BB229_294 Depth=1
	v_and_b32_sdwa v5, v70, v41 dst_sel:DWORD dst_unused:UNUSED_PAD src0_sel:BYTE_3 src1_sel:DWORD
	v_lshrrev_b32_e32 v7, 3, v71
	s_mov_b32 s22, exec_lo
	v_cmpx_gt_u32_e32 8, v71
; %bb.493:                              ;   in Loop: Header=BB229_294 Depth=1
	v_ffbh_u32_e32 v7, v5
	v_min_u32_e32 v7, 32, v7
	v_subrev_nc_u32_e32 v9, 28, v7
	v_sub_nc_u32_e32 v7, 29, v7
	v_lshlrev_b64 v[23:24], v9, v[5:6]
	v_and_b32_e32 v5, 7, v23
; %bb.494:                              ;   in Loop: Header=BB229_294 Depth=1
	s_or_b32 exec_lo, exec_lo, s22
	v_lshlrev_b32_sdwa v9, v42, v70 dst_sel:DWORD dst_unused:UNUSED_PAD src0_sel:DWORD src1_sel:BYTE_3
	v_lshlrev_b32_e32 v5, 20, v5
	v_lshl_add_u32 v7, v7, 23, 0x3c000000
	v_mov_b32_e32 v23, v6
	v_and_b32_e32 v9, 0x80000000, v9
	v_or3_b32 v24, v5, v9, v7
.LBB229_495:                            ;   in Loop: Header=BB229_294 Depth=1
	s_or_b32 exec_lo, exec_lo, s21
.LBB229_496:                            ;   in Loop: Header=BB229_294 Depth=1
	s_or_b32 exec_lo, exec_lo, s18
.LBB229_497:                            ;   in Loop: Header=BB229_294 Depth=1
	s_or_b32 exec_lo, exec_lo, s17
	v_or_b32_e32 v5, v20, v18
	v_or_b32_e32 v7, v19, v17
	;; [unrolled: 1-line block ×4, first 2 shown]
	v_mul_f32_e32 v72, s13, v5
	v_mul_f32_e32 v73, s12, v7
	;; [unrolled: 1-line block ×4, first 2 shown]
	s_and_saveexec_b32 s17, vcc_lo
	s_cbranch_execz .LBB229_499
; %bb.498:                              ;   in Loop: Header=BB229_294 Depth=1
	v_cmp_gt_i32_e64 s0, s31, v50
	v_cndmask_b32_e64 v73, 0, v73, s0
	v_cmp_gt_i32_e64 s0, s31, v53
	v_cndmask_b32_e64 v72, 0, v72, s0
	;; [unrolled: 2-line block ×4, first 2 shown]
.LBB229_499:                            ;   in Loop: Header=BB229_294 Depth=1
	s_or_b32 exec_lo, exec_lo, s17
	global_load_dword v74, v[15:16], off offset:768
	v_mov_b32_e32 v19, 0
	v_mov_b32_e32 v17, 0
	;; [unrolled: 1-line block ×4, first 2 shown]
	s_waitcnt vmcnt(0)
	v_cmp_ne_u16_sdwa s0, v74, v6 src0_sel:BYTE_0 src1_sel:DWORD
	s_and_saveexec_b32 s17, s0
	s_cbranch_execz .LBB229_507
; %bb.500:                              ;   in Loop: Header=BB229_294 Depth=1
	v_bfrev_b32_e32 v17, 1
	v_mov_b32_e32 v18, 0
	v_cmp_ne_u16_sdwa s0, v74, v34 src0_sel:BYTE_0 src1_sel:DWORD
	s_and_saveexec_b32 s18, s0
	s_cbranch_execz .LBB229_506
; %bb.501:                              ;   in Loop: Header=BB229_294 Depth=1
	v_mov_b32_e32 v17, 0x7f800001
	v_and_b32_e32 v9, 0x7f, v74
	v_mov_b32_e32 v18, 0
	s_mov_b32 s21, exec_lo
	v_cmpx_ne_u32_e32 0x7f, v9
	s_cbranch_execz .LBB229_505
; %bb.502:                              ;   in Loop: Header=BB229_294 Depth=1
	v_and_b32_e32 v5, 7, v74
	v_lshrrev_b32_e32 v7, 3, v9
	s_mov_b32 s22, exec_lo
	v_cmpx_gt_u32_e32 8, v9
; %bb.503:                              ;   in Loop: Header=BB229_294 Depth=1
	v_ffbh_u32_e32 v7, v5
	v_min_u32_e32 v7, 32, v7
	v_subrev_nc_u32_e32 v9, 28, v7
	v_sub_nc_u32_e32 v7, 29, v7
	v_lshlrev_b64 v[17:18], v9, v[5:6]
	v_and_b32_e32 v5, 7, v17
; %bb.504:                              ;   in Loop: Header=BB229_294 Depth=1
	s_or_b32 exec_lo, exec_lo, s22
	v_lshlrev_b32_e32 v9, 24, v74
	v_lshlrev_b32_e32 v5, 20, v5
	v_lshl_add_u32 v7, v7, 23, 0x3c000000
	v_and_b32_e32 v9, 0x80000000, v9
	v_or3_b32 v5, v5, v9, v7
	v_mov_b32_e32 v18, v6
	v_mov_b32_e32 v17, v5
.LBB229_505:                            ;   in Loop: Header=BB229_294 Depth=1
	s_or_b32 exec_lo, exec_lo, s21
.LBB229_506:                            ;   in Loop: Header=BB229_294 Depth=1
	s_or_b32 exec_lo, exec_lo, s18
.LBB229_507:                            ;   in Loop: Header=BB229_294 Depth=1
	s_or_b32 exec_lo, exec_lo, s17
	v_cmp_ne_u16_sdwa s0, v74, v6 src0_sel:BYTE_1 src1_sel:DWORD
	s_and_saveexec_b32 s17, s0
	s_cbranch_execz .LBB229_515
; %bb.508:                              ;   in Loop: Header=BB229_294 Depth=1
	v_mov_b32_e32 v7, v6
	v_mov_b32_e32 v20, v8
	v_cmp_ne_u16_sdwa s0, v74, v34 src0_sel:BYTE_1 src1_sel:DWORD
	v_mov_b32_e32 v19, v7
	s_and_saveexec_b32 s18, s0
	s_cbranch_execz .LBB229_514
; %bb.509:                              ;   in Loop: Header=BB229_294 Depth=1
	v_and_b32_sdwa v5, v39, v74 dst_sel:DWORD dst_unused:UNUSED_PAD src0_sel:DWORD src1_sel:BYTE_1
	v_mov_b32_e32 v9, v6
	v_mov_b32_e32 v20, v10
	s_mov_b32 s21, exec_lo
	v_and_b32_e32 v21, 0x7f, v5
	v_mov_b32_e32 v19, v9
	v_cmpx_ne_u32_e32 0x7f, v21
	s_cbranch_execz .LBB229_513
; %bb.510:                              ;   in Loop: Header=BB229_294 Depth=1
	v_and_b32_e32 v5, 7, v5
	v_lshrrev_b32_e32 v7, 3, v21
	s_mov_b32 s22, exec_lo
	v_cmpx_gt_u32_e32 8, v21
; %bb.511:                              ;   in Loop: Header=BB229_294 Depth=1
	v_ffbh_u32_e32 v7, v5
	v_min_u32_e32 v7, 32, v7
	v_subrev_nc_u32_e32 v9, 28, v7
	v_sub_nc_u32_e32 v7, 29, v7
	v_lshlrev_b64 v[19:20], v9, v[5:6]
	v_and_b32_e32 v5, 7, v19
; %bb.512:                              ;   in Loop: Header=BB229_294 Depth=1
	s_or_b32 exec_lo, exec_lo, s22
	v_lshlrev_b32_e32 v9, 16, v74
	v_lshlrev_b32_e32 v5, 20, v5
	v_lshl_add_u32 v7, v7, 23, 0x3c000000
	v_mov_b32_e32 v19, v6
	v_and_b32_e32 v9, 0x80000000, v9
	v_or3_b32 v20, v5, v9, v7
.LBB229_513:                            ;   in Loop: Header=BB229_294 Depth=1
	s_or_b32 exec_lo, exec_lo, s21
.LBB229_514:                            ;   in Loop: Header=BB229_294 Depth=1
	s_or_b32 exec_lo, exec_lo, s18
.LBB229_515:                            ;   in Loop: Header=BB229_294 Depth=1
	s_or_b32 exec_lo, exec_lo, s17
	v_mov_b32_e32 v23, 0
	v_mov_b32_e32 v21, 0
	v_and_b32_sdwa v5, v74, v40 dst_sel:DWORD dst_unused:UNUSED_PAD src0_sel:WORD_1 src1_sel:DWORD
	v_mov_b32_e32 v24, 0
	v_mov_b32_e32 v22, 0
	s_mov_b32 s17, exec_lo
	v_cmpx_ne_u16_e32 0, v5
	s_cbranch_execz .LBB229_523
; %bb.516:                              ;   in Loop: Header=BB229_294 Depth=1
	v_bfrev_b32_e32 v21, 1
	v_mov_b32_e32 v22, 0
	s_mov_b32 s18, exec_lo
	v_cmpx_ne_u16_e32 0x80, v5
	s_cbranch_execz .LBB229_522
; %bb.517:                              ;   in Loop: Header=BB229_294 Depth=1
	v_mov_b32_e32 v21, 0x7f800001
	v_bfe_u32 v9, v74, 16, 7
	v_mov_b32_e32 v22, 0
	s_mov_b32 s21, exec_lo
	v_cmpx_ne_u32_e32 0x7f, v9
	s_cbranch_execz .LBB229_521
; %bb.518:                              ;   in Loop: Header=BB229_294 Depth=1
	v_and_b32_sdwa v5, v74, v41 dst_sel:DWORD dst_unused:UNUSED_PAD src0_sel:WORD_1 src1_sel:DWORD
	v_lshrrev_b32_e32 v7, 3, v9
	s_mov_b32 s22, exec_lo
	v_cmpx_gt_u32_e32 8, v9
; %bb.519:                              ;   in Loop: Header=BB229_294 Depth=1
	v_ffbh_u32_e32 v7, v5
	v_min_u32_e32 v7, 32, v7
	v_subrev_nc_u32_e32 v9, 28, v7
	v_sub_nc_u32_e32 v7, 29, v7
	v_lshlrev_b64 v[21:22], v9, v[5:6]
	v_and_b32_e32 v5, 7, v21
; %bb.520:                              ;   in Loop: Header=BB229_294 Depth=1
	s_or_b32 exec_lo, exec_lo, s22
	v_lshlrev_b32_sdwa v9, v42, v74 dst_sel:DWORD dst_unused:UNUSED_PAD src0_sel:DWORD src1_sel:WORD_1
	v_lshlrev_b32_e32 v5, 20, v5
	v_lshl_add_u32 v7, v7, 23, 0x3c000000
	v_and_b32_e32 v9, 0x80000000, v9
	v_or3_b32 v5, v5, v9, v7
	v_mov_b32_e32 v22, v6
	v_mov_b32_e32 v21, v5
.LBB229_521:                            ;   in Loop: Header=BB229_294 Depth=1
	s_or_b32 exec_lo, exec_lo, s21
.LBB229_522:                            ;   in Loop: Header=BB229_294 Depth=1
	s_or_b32 exec_lo, exec_lo, s18
.LBB229_523:                            ;   in Loop: Header=BB229_294 Depth=1
	s_or_b32 exec_lo, exec_lo, s17
	s_mov_b32 s17, exec_lo
	v_cmpx_lt_u32_e32 0xffffff, v74
	s_cbranch_execz .LBB229_531
; %bb.524:                              ;   in Loop: Header=BB229_294 Depth=1
	v_mov_b32_e32 v7, v6
	v_mov_b32_e32 v24, v8
	v_cmp_ne_u32_sdwa s0, v74, v34 src0_sel:BYTE_3 src1_sel:DWORD
	v_mov_b32_e32 v23, v7
	s_and_saveexec_b32 s18, s0
	s_cbranch_execz .LBB229_530
; %bb.525:                              ;   in Loop: Header=BB229_294 Depth=1
	v_mov_b32_e32 v9, v6
	v_mov_b32_e32 v24, v10
	v_bfe_u32 v75, v74, 24, 7
	s_mov_b32 s21, exec_lo
	v_mov_b32_e32 v23, v9
	v_cmpx_ne_u32_e32 0x7f, v75
	s_cbranch_execz .LBB229_529
; %bb.526:                              ;   in Loop: Header=BB229_294 Depth=1
	v_and_b32_sdwa v5, v74, v41 dst_sel:DWORD dst_unused:UNUSED_PAD src0_sel:BYTE_3 src1_sel:DWORD
	v_lshrrev_b32_e32 v7, 3, v75
	s_mov_b32 s22, exec_lo
	v_cmpx_gt_u32_e32 8, v75
; %bb.527:                              ;   in Loop: Header=BB229_294 Depth=1
	v_ffbh_u32_e32 v7, v5
	v_min_u32_e32 v7, 32, v7
	v_subrev_nc_u32_e32 v9, 28, v7
	v_sub_nc_u32_e32 v7, 29, v7
	v_lshlrev_b64 v[23:24], v9, v[5:6]
	v_and_b32_e32 v5, 7, v23
; %bb.528:                              ;   in Loop: Header=BB229_294 Depth=1
	s_or_b32 exec_lo, exec_lo, s22
	v_lshlrev_b32_sdwa v9, v42, v74 dst_sel:DWORD dst_unused:UNUSED_PAD src0_sel:DWORD src1_sel:BYTE_3
	v_lshlrev_b32_e32 v5, 20, v5
	v_lshl_add_u32 v7, v7, 23, 0x3c000000
	v_mov_b32_e32 v23, v6
	v_and_b32_e32 v9, 0x80000000, v9
	v_or3_b32 v24, v5, v9, v7
.LBB229_529:                            ;   in Loop: Header=BB229_294 Depth=1
	s_or_b32 exec_lo, exec_lo, s21
.LBB229_530:                            ;   in Loop: Header=BB229_294 Depth=1
	s_or_b32 exec_lo, exec_lo, s18
.LBB229_531:                            ;   in Loop: Header=BB229_294 Depth=1
	s_or_b32 exec_lo, exec_lo, s17
	v_or_b32_e32 v5, v20, v18
	v_or_b32_e32 v7, v19, v17
	;; [unrolled: 1-line block ×4, first 2 shown]
	v_mul_f32_e32 v74, s13, v5
	v_mul_f32_e32 v75, s12, v7
	;; [unrolled: 1-line block ×4, first 2 shown]
	s_and_saveexec_b32 s17, vcc_lo
	s_cbranch_execz .LBB229_533
; %bb.532:                              ;   in Loop: Header=BB229_294 Depth=1
	v_cmp_gt_i32_e64 s0, s31, v50
	v_cndmask_b32_e64 v75, 0, v75, s0
	v_cmp_gt_i32_e64 s0, s31, v53
	v_cndmask_b32_e64 v74, 0, v74, s0
	;; [unrolled: 2-line block ×4, first 2 shown]
.LBB229_533:                            ;   in Loop: Header=BB229_294 Depth=1
	s_or_b32 exec_lo, exec_lo, s17
	global_load_dword v76, v[15:16], off offset:896
	v_mov_b32_e32 v17, 0
	v_mov_b32_e32 v15, 0
	;; [unrolled: 1-line block ×4, first 2 shown]
	s_waitcnt vmcnt(0)
	v_cmp_ne_u16_sdwa s0, v76, v6 src0_sel:BYTE_0 src1_sel:DWORD
	s_and_saveexec_b32 s17, s0
	s_cbranch_execz .LBB229_541
; %bb.534:                              ;   in Loop: Header=BB229_294 Depth=1
	v_bfrev_b32_e32 v15, 1
	v_mov_b32_e32 v16, 0
	v_cmp_ne_u16_sdwa s0, v76, v34 src0_sel:BYTE_0 src1_sel:DWORD
	s_and_saveexec_b32 s18, s0
	s_cbranch_execz .LBB229_540
; %bb.535:                              ;   in Loop: Header=BB229_294 Depth=1
	v_mov_b32_e32 v15, 0x7f800001
	v_and_b32_e32 v9, 0x7f, v76
	v_mov_b32_e32 v16, 0
	s_mov_b32 s21, exec_lo
	v_cmpx_ne_u32_e32 0x7f, v9
	s_cbranch_execz .LBB229_539
; %bb.536:                              ;   in Loop: Header=BB229_294 Depth=1
	v_and_b32_e32 v5, 7, v76
	v_lshrrev_b32_e32 v7, 3, v9
	s_mov_b32 s22, exec_lo
	v_cmpx_gt_u32_e32 8, v9
; %bb.537:                              ;   in Loop: Header=BB229_294 Depth=1
	v_ffbh_u32_e32 v7, v5
	v_min_u32_e32 v7, 32, v7
	v_subrev_nc_u32_e32 v9, 28, v7
	v_sub_nc_u32_e32 v7, 29, v7
	v_lshlrev_b64 v[15:16], v9, v[5:6]
	v_and_b32_e32 v5, 7, v15
; %bb.538:                              ;   in Loop: Header=BB229_294 Depth=1
	s_or_b32 exec_lo, exec_lo, s22
	v_lshlrev_b32_e32 v9, 24, v76
	v_lshlrev_b32_e32 v5, 20, v5
	v_lshl_add_u32 v7, v7, 23, 0x3c000000
	v_and_b32_e32 v9, 0x80000000, v9
	v_or3_b32 v5, v5, v9, v7
	v_mov_b32_e32 v16, v6
	v_mov_b32_e32 v15, v5
.LBB229_539:                            ;   in Loop: Header=BB229_294 Depth=1
	s_or_b32 exec_lo, exec_lo, s21
.LBB229_540:                            ;   in Loop: Header=BB229_294 Depth=1
	s_or_b32 exec_lo, exec_lo, s18
.LBB229_541:                            ;   in Loop: Header=BB229_294 Depth=1
	s_or_b32 exec_lo, exec_lo, s17
	v_cmp_ne_u16_sdwa s0, v76, v6 src0_sel:BYTE_1 src1_sel:DWORD
	s_and_saveexec_b32 s17, s0
	s_cbranch_execz .LBB229_549
; %bb.542:                              ;   in Loop: Header=BB229_294 Depth=1
	v_mov_b32_e32 v7, v6
	v_mov_b32_e32 v18, v8
	v_cmp_ne_u16_sdwa s0, v76, v34 src0_sel:BYTE_1 src1_sel:DWORD
	v_mov_b32_e32 v17, v7
	s_and_saveexec_b32 s18, s0
	s_cbranch_execz .LBB229_548
; %bb.543:                              ;   in Loop: Header=BB229_294 Depth=1
	v_and_b32_sdwa v5, v39, v76 dst_sel:DWORD dst_unused:UNUSED_PAD src0_sel:DWORD src1_sel:BYTE_1
	v_mov_b32_e32 v9, v6
	v_mov_b32_e32 v18, v10
	s_mov_b32 s21, exec_lo
	v_and_b32_e32 v19, 0x7f, v5
	v_mov_b32_e32 v17, v9
	v_cmpx_ne_u32_e32 0x7f, v19
	s_cbranch_execz .LBB229_547
; %bb.544:                              ;   in Loop: Header=BB229_294 Depth=1
	v_and_b32_e32 v5, 7, v5
	v_lshrrev_b32_e32 v7, 3, v19
	s_mov_b32 s22, exec_lo
	v_cmpx_gt_u32_e32 8, v19
; %bb.545:                              ;   in Loop: Header=BB229_294 Depth=1
	v_ffbh_u32_e32 v7, v5
	v_min_u32_e32 v7, 32, v7
	v_subrev_nc_u32_e32 v9, 28, v7
	v_sub_nc_u32_e32 v7, 29, v7
	v_lshlrev_b64 v[17:18], v9, v[5:6]
	v_and_b32_e32 v5, 7, v17
; %bb.546:                              ;   in Loop: Header=BB229_294 Depth=1
	s_or_b32 exec_lo, exec_lo, s22
	v_lshlrev_b32_e32 v9, 16, v76
	v_lshlrev_b32_e32 v5, 20, v5
	v_lshl_add_u32 v7, v7, 23, 0x3c000000
	v_mov_b32_e32 v17, v6
	v_and_b32_e32 v9, 0x80000000, v9
	v_or3_b32 v18, v5, v9, v7
.LBB229_547:                            ;   in Loop: Header=BB229_294 Depth=1
	s_or_b32 exec_lo, exec_lo, s21
.LBB229_548:                            ;   in Loop: Header=BB229_294 Depth=1
	s_or_b32 exec_lo, exec_lo, s18
.LBB229_549:                            ;   in Loop: Header=BB229_294 Depth=1
	s_or_b32 exec_lo, exec_lo, s17
	v_mov_b32_e32 v21, 0
	v_mov_b32_e32 v19, 0
	v_and_b32_sdwa v5, v76, v40 dst_sel:DWORD dst_unused:UNUSED_PAD src0_sel:WORD_1 src1_sel:DWORD
	v_mov_b32_e32 v22, 0
	v_mov_b32_e32 v20, 0
	s_mov_b32 s17, exec_lo
	v_cmpx_ne_u16_e32 0, v5
	s_cbranch_execz .LBB229_557
; %bb.550:                              ;   in Loop: Header=BB229_294 Depth=1
	v_bfrev_b32_e32 v19, 1
	v_mov_b32_e32 v20, 0
	s_mov_b32 s18, exec_lo
	v_cmpx_ne_u16_e32 0x80, v5
	s_cbranch_execz .LBB229_556
; %bb.551:                              ;   in Loop: Header=BB229_294 Depth=1
	v_mov_b32_e32 v19, 0x7f800001
	v_bfe_u32 v9, v76, 16, 7
	v_mov_b32_e32 v20, 0
	s_mov_b32 s21, exec_lo
	v_cmpx_ne_u32_e32 0x7f, v9
	s_cbranch_execz .LBB229_555
; %bb.552:                              ;   in Loop: Header=BB229_294 Depth=1
	v_and_b32_sdwa v5, v76, v41 dst_sel:DWORD dst_unused:UNUSED_PAD src0_sel:WORD_1 src1_sel:DWORD
	v_lshrrev_b32_e32 v7, 3, v9
	s_mov_b32 s22, exec_lo
	v_cmpx_gt_u32_e32 8, v9
; %bb.553:                              ;   in Loop: Header=BB229_294 Depth=1
	v_ffbh_u32_e32 v7, v5
	v_min_u32_e32 v7, 32, v7
	v_subrev_nc_u32_e32 v9, 28, v7
	v_sub_nc_u32_e32 v7, 29, v7
	v_lshlrev_b64 v[19:20], v9, v[5:6]
	v_and_b32_e32 v5, 7, v19
; %bb.554:                              ;   in Loop: Header=BB229_294 Depth=1
	s_or_b32 exec_lo, exec_lo, s22
	v_lshlrev_b32_sdwa v9, v42, v76 dst_sel:DWORD dst_unused:UNUSED_PAD src0_sel:DWORD src1_sel:WORD_1
	v_lshlrev_b32_e32 v5, 20, v5
	v_lshl_add_u32 v7, v7, 23, 0x3c000000
	v_and_b32_e32 v9, 0x80000000, v9
	v_or3_b32 v5, v5, v9, v7
	v_mov_b32_e32 v20, v6
	v_mov_b32_e32 v19, v5
.LBB229_555:                            ;   in Loop: Header=BB229_294 Depth=1
	s_or_b32 exec_lo, exec_lo, s21
.LBB229_556:                            ;   in Loop: Header=BB229_294 Depth=1
	s_or_b32 exec_lo, exec_lo, s18
.LBB229_557:                            ;   in Loop: Header=BB229_294 Depth=1
	s_or_b32 exec_lo, exec_lo, s17
	s_mov_b32 s17, exec_lo
	v_cmpx_lt_u32_e32 0xffffff, v76
	s_cbranch_execz .LBB229_565
; %bb.558:                              ;   in Loop: Header=BB229_294 Depth=1
	v_mov_b32_e32 v7, v6
	v_mov_b32_e32 v22, v8
	v_cmp_ne_u32_sdwa s0, v76, v34 src0_sel:BYTE_3 src1_sel:DWORD
	v_mov_b32_e32 v21, v7
	s_and_saveexec_b32 s18, s0
	s_cbranch_execz .LBB229_564
; %bb.559:                              ;   in Loop: Header=BB229_294 Depth=1
	v_mov_b32_e32 v9, v6
	v_mov_b32_e32 v22, v10
	v_bfe_u32 v77, v76, 24, 7
	s_mov_b32 s21, exec_lo
	v_mov_b32_e32 v21, v9
	v_cmpx_ne_u32_e32 0x7f, v77
	s_cbranch_execz .LBB229_563
; %bb.560:                              ;   in Loop: Header=BB229_294 Depth=1
	v_and_b32_sdwa v5, v76, v41 dst_sel:DWORD dst_unused:UNUSED_PAD src0_sel:BYTE_3 src1_sel:DWORD
	v_lshrrev_b32_e32 v7, 3, v77
	s_mov_b32 s22, exec_lo
	v_cmpx_gt_u32_e32 8, v77
; %bb.561:                              ;   in Loop: Header=BB229_294 Depth=1
	v_ffbh_u32_e32 v7, v5
	v_min_u32_e32 v7, 32, v7
	v_subrev_nc_u32_e32 v9, 28, v7
	v_sub_nc_u32_e32 v7, 29, v7
	v_lshlrev_b64 v[21:22], v9, v[5:6]
	v_and_b32_e32 v5, 7, v21
; %bb.562:                              ;   in Loop: Header=BB229_294 Depth=1
	s_or_b32 exec_lo, exec_lo, s22
	v_lshlrev_b32_sdwa v9, v42, v76 dst_sel:DWORD dst_unused:UNUSED_PAD src0_sel:DWORD src1_sel:BYTE_3
	v_lshlrev_b32_e32 v5, 20, v5
	v_lshl_add_u32 v7, v7, 23, 0x3c000000
	v_mov_b32_e32 v21, v6
	v_and_b32_e32 v9, 0x80000000, v9
	v_or3_b32 v22, v5, v9, v7
.LBB229_563:                            ;   in Loop: Header=BB229_294 Depth=1
	s_or_b32 exec_lo, exec_lo, s21
.LBB229_564:                            ;   in Loop: Header=BB229_294 Depth=1
	s_or_b32 exec_lo, exec_lo, s18
.LBB229_565:                            ;   in Loop: Header=BB229_294 Depth=1
	s_or_b32 exec_lo, exec_lo, s17
	v_or_b32_e32 v5, v18, v16
	v_or_b32_e32 v7, v17, v15
	;; [unrolled: 1-line block ×4, first 2 shown]
	v_mul_f32_e32 v9, s13, v5
	v_mul_f32_e32 v15, s12, v7
	;; [unrolled: 1-line block ×4, first 2 shown]
	s_and_saveexec_b32 s0, vcc_lo
	s_cbranch_execz .LBB229_292
; %bb.566:                              ;   in Loop: Header=BB229_294 Depth=1
	v_cmp_gt_i32_e32 vcc_lo, s31, v50
	v_cndmask_b32_e32 v15, 0, v15, vcc_lo
	v_cmp_gt_i32_e32 vcc_lo, s31, v53
	v_cndmask_b32_e32 v9, 0, v9, vcc_lo
	;; [unrolled: 2-line block ×4, first 2 shown]
	s_branch .LBB229_292
.LBB229_567:
	s_or_b32 exec_lo, exec_lo, s5
.LBB229_568:
	s_or_b32 exec_lo, exec_lo, s1
	ds_bpermute_b32 v1, v27, v37
	ds_bpermute_b32 v2, v27, v38
	;; [unrolled: 1-line block ×8, first 2 shown]
	v_and_b32_e32 v19, 0x3c7, v0
	s_mov_b32 s0, exec_lo
	s_waitcnt lgkmcnt(0)
	s_waitcnt_vscnt null, 0x0
	s_barrier
	buffer_gl0_inv
	v_add_f32_e32 v1, v37, v1
	v_add_f32_e32 v2, v38, v2
	;; [unrolled: 1-line block ×8, first 2 shown]
	ds_bpermute_b32 v9, v26, v1
	ds_bpermute_b32 v10, v26, v2
	;; [unrolled: 1-line block ×8, first 2 shown]
	s_waitcnt lgkmcnt(7)
	v_add_f32_e32 v1, v1, v9
	s_waitcnt lgkmcnt(6)
	v_add_f32_e32 v2, v2, v10
	;; [unrolled: 2-line block ×8, first 2 shown]
	ds_bpermute_b32 v11, v25, v1
	ds_bpermute_b32 v12, v25, v2
	ds_bpermute_b32 v13, v25, v3
	ds_bpermute_b32 v14, v25, v4
	ds_bpermute_b32 v15, v25, v5
	ds_bpermute_b32 v16, v25, v6
	ds_bpermute_b32 v17, v25, v7
	ds_bpermute_b32 v18, v25, v8
	v_lshrrev_b32_e32 v9, 3, v110
	v_lshl_add_u32 v10, v9, 2, 0xa0
	s_waitcnt lgkmcnt(7)
	v_add_f32_e32 v1, v1, v11
	s_waitcnt lgkmcnt(6)
	v_add_f32_e32 v2, v2, v12
	;; [unrolled: 2-line block ×8, first 2 shown]
	v_cmpx_eq_u32_e32 64, v19
	s_cbranch_execz .LBB229_570
; %bb.569:
	v_lshl_add_u32 v11, v109, 7, v10
	v_add_nc_u32_e32 v12, 0xffffff00, v11
	v_add_nc_u32_e32 v15, 0xffffff30, v11
	;; [unrolled: 1-line block ×8, first 2 shown]
	ds_write_b32 v12, v1
	ds_write_b32 v13, v2
	;; [unrolled: 1-line block ×8, first 2 shown]
.LBB229_570:
	s_or_b32 exec_lo, exec_lo, s0
	v_and_b32_e32 v11, 0x3e0, v0
	v_lshlrev_b32_e32 v9, 2, v9
	s_mov_b32 s1, exec_lo
	v_cmp_eq_u32_e32 vcc_lo, 0, v28
	s_waitcnt lgkmcnt(0)
	v_lshlrev_b32_e32 v11, 2, v11
	s_barrier
	buffer_gl0_inv
	v_add3_u32 v9, 0xa0, v11, v9
	v_cmpx_gt_u32_e32 64, v0
	s_cbranch_execz .LBB229_581
; %bb.571:
	s_and_saveexec_b32 s0, vcc_lo
	s_cbranch_execnz .LBB229_597
; %bb.572:
	s_or_b32 exec_lo, exec_lo, s0
	s_and_saveexec_b32 s0, vcc_lo
	s_cbranch_execnz .LBB229_598
.LBB229_573:
	s_or_b32 exec_lo, exec_lo, s0
	s_and_saveexec_b32 s0, vcc_lo
	s_cbranch_execnz .LBB229_599
.LBB229_574:
	s_or_b32 exec_lo, exec_lo, s0
	s_and_saveexec_b32 s0, vcc_lo
	s_cbranch_execnz .LBB229_600
.LBB229_575:
	s_or_b32 exec_lo, exec_lo, s0
	s_and_saveexec_b32 s0, vcc_lo
	s_cbranch_execnz .LBB229_601
.LBB229_576:
	s_or_b32 exec_lo, exec_lo, s0
	s_and_saveexec_b32 s0, vcc_lo
	s_cbranch_execnz .LBB229_602
.LBB229_577:
	s_or_b32 exec_lo, exec_lo, s0
	s_and_saveexec_b32 s0, vcc_lo
	s_cbranch_execnz .LBB229_603
.LBB229_578:
	s_or_b32 exec_lo, exec_lo, s0
	s_and_saveexec_b32 s0, vcc_lo
	s_cbranch_execz .LBB229_580
.LBB229_579:
	ds_read_b32 v11, v9 offset:112
	s_waitcnt lgkmcnt(0)
	v_add_f32_e32 v8, v8, v11
.LBB229_580:
	s_or_b32 exec_lo, exec_lo, s0
.LBB229_581:
	s_or_b32 exec_lo, exec_lo, s1
	v_and_b32_e32 v11, 0x3e7, v0
	s_mov_b32 s1, exec_lo
	s_barrier
	buffer_gl0_inv
	v_cmpx_eq_u32_e32 32, v11
	s_cbranch_execz .LBB229_583
; %bb.582:
	ds_write2_b32 v10, v1, v2 offset1:4
	ds_write2_b32 v10, v3, v4 offset0:8 offset1:12
	ds_write2_b32 v10, v5, v6 offset0:16 offset1:20
	;; [unrolled: 1-line block ×3, first 2 shown]
.LBB229_583:
	s_or_b32 exec_lo, exec_lo, s1
	s_mov_b32 s1, exec_lo
	s_waitcnt lgkmcnt(0)
	s_barrier
	buffer_gl0_inv
	v_cmpx_gt_u32_e32 32, v0
	s_cbranch_execz .LBB229_594
; %bb.584:
	s_and_saveexec_b32 s0, vcc_lo
	s_cbranch_execnz .LBB229_604
; %bb.585:
	s_or_b32 exec_lo, exec_lo, s0
	s_and_saveexec_b32 s0, vcc_lo
	s_cbranch_execnz .LBB229_605
.LBB229_586:
	s_or_b32 exec_lo, exec_lo, s0
	s_and_saveexec_b32 s0, vcc_lo
	s_cbranch_execnz .LBB229_606
.LBB229_587:
	s_or_b32 exec_lo, exec_lo, s0
	s_and_saveexec_b32 s0, vcc_lo
	s_cbranch_execnz .LBB229_607
.LBB229_588:
	s_or_b32 exec_lo, exec_lo, s0
	s_and_saveexec_b32 s0, vcc_lo
	s_cbranch_execnz .LBB229_608
.LBB229_589:
	s_or_b32 exec_lo, exec_lo, s0
	s_and_saveexec_b32 s0, vcc_lo
	s_cbranch_execnz .LBB229_609
.LBB229_590:
	s_or_b32 exec_lo, exec_lo, s0
	s_and_saveexec_b32 s0, vcc_lo
	s_cbranch_execnz .LBB229_610
.LBB229_591:
	s_or_b32 exec_lo, exec_lo, s0
	s_and_saveexec_b32 s0, vcc_lo
	s_cbranch_execz .LBB229_593
.LBB229_592:
	ds_read_b32 v9, v9 offset:112
	s_waitcnt lgkmcnt(0)
	v_add_f32_e32 v8, v8, v9
.LBB229_593:
	s_or_b32 exec_lo, exec_lo, s0
.LBB229_594:
	s_or_b32 exec_lo, exec_lo, s1
	s_barrier
	buffer_gl0_inv
	s_mov_b32 s0, exec_lo
	v_cmpx_eq_u32_e32 0, v11
	s_cbranch_execz .LBB229_596
; %bb.595:
	s_lshl_b32 s0, s2, 5
	s_mul_i32 s2, s7, s10
	s_ashr_i32 s1, s0, 31
	v_lshrrev_b32_e32 v0, 1, v0
	s_lshl_b64 s[0:1], s[0:1], 2
	s_add_u32 s4, s28, s0
	s_addc_u32 s5, s29, s1
	s_ashr_i32 s3, s2, 31
	s_lshl_b64 s[0:1], s[2:3], 2
	s_add_u32 s2, s4, s0
	s_addc_u32 s3, s5, s1
	s_lshl_b32 s0, s8, 5
	s_ashr_i32 s1, s0, 31
	s_lshl_b64 s[0:1], s[0:1], 2
	s_add_u32 s0, s2, s0
	s_addc_u32 s1, s3, s1
	global_store_dword v0, v1, s[0:1]
	global_store_dword v0, v2, s[0:1] offset:16
	global_store_dword v0, v3, s[0:1] offset:32
	;; [unrolled: 1-line block ×7, first 2 shown]
.LBB229_596:
	s_endpgm
.LBB229_597:
	ds_read_b32 v11, v9
	s_waitcnt lgkmcnt(0)
	v_add_f32_e32 v1, v1, v11
	s_or_b32 exec_lo, exec_lo, s0
	s_and_saveexec_b32 s0, vcc_lo
	s_cbranch_execz .LBB229_573
.LBB229_598:
	ds_read_b32 v11, v9 offset:16
	s_waitcnt lgkmcnt(0)
	v_add_f32_e32 v2, v2, v11
	s_or_b32 exec_lo, exec_lo, s0
	s_and_saveexec_b32 s0, vcc_lo
	s_cbranch_execz .LBB229_574
.LBB229_599:
	ds_read_b32 v11, v9 offset:32
	s_waitcnt lgkmcnt(0)
	v_add_f32_e32 v3, v3, v11
	s_or_b32 exec_lo, exec_lo, s0
	s_and_saveexec_b32 s0, vcc_lo
	s_cbranch_execz .LBB229_575
.LBB229_600:
	ds_read_b32 v11, v9 offset:48
	s_waitcnt lgkmcnt(0)
	v_add_f32_e32 v4, v4, v11
	s_or_b32 exec_lo, exec_lo, s0
	s_and_saveexec_b32 s0, vcc_lo
	s_cbranch_execz .LBB229_576
.LBB229_601:
	ds_read_b32 v11, v9 offset:64
	s_waitcnt lgkmcnt(0)
	v_add_f32_e32 v5, v5, v11
	s_or_b32 exec_lo, exec_lo, s0
	s_and_saveexec_b32 s0, vcc_lo
	s_cbranch_execz .LBB229_577
.LBB229_602:
	ds_read_b32 v11, v9 offset:80
	s_waitcnt lgkmcnt(0)
	v_add_f32_e32 v6, v6, v11
	s_or_b32 exec_lo, exec_lo, s0
	s_and_saveexec_b32 s0, vcc_lo
	s_cbranch_execz .LBB229_578
.LBB229_603:
	ds_read_b32 v11, v9 offset:96
	s_waitcnt lgkmcnt(0)
	v_add_f32_e32 v7, v7, v11
	s_or_b32 exec_lo, exec_lo, s0
	s_and_saveexec_b32 s0, vcc_lo
	s_cbranch_execnz .LBB229_579
	s_branch .LBB229_580
.LBB229_604:
	ds_read_b32 v10, v9
	s_waitcnt lgkmcnt(0)
	v_add_f32_e32 v1, v1, v10
	s_or_b32 exec_lo, exec_lo, s0
	s_and_saveexec_b32 s0, vcc_lo
	s_cbranch_execz .LBB229_586
.LBB229_605:
	ds_read_b32 v10, v9 offset:16
	s_waitcnt lgkmcnt(0)
	v_add_f32_e32 v2, v2, v10
	s_or_b32 exec_lo, exec_lo, s0
	s_and_saveexec_b32 s0, vcc_lo
	s_cbranch_execz .LBB229_587
.LBB229_606:
	ds_read_b32 v10, v9 offset:32
	s_waitcnt lgkmcnt(0)
	v_add_f32_e32 v3, v3, v10
	s_or_b32 exec_lo, exec_lo, s0
	s_and_saveexec_b32 s0, vcc_lo
	s_cbranch_execz .LBB229_588
.LBB229_607:
	ds_read_b32 v10, v9 offset:48
	s_waitcnt lgkmcnt(0)
	v_add_f32_e32 v4, v4, v10
	s_or_b32 exec_lo, exec_lo, s0
	s_and_saveexec_b32 s0, vcc_lo
	s_cbranch_execz .LBB229_589
.LBB229_608:
	ds_read_b32 v10, v9 offset:64
	s_waitcnt lgkmcnt(0)
	v_add_f32_e32 v5, v5, v10
	s_or_b32 exec_lo, exec_lo, s0
	s_and_saveexec_b32 s0, vcc_lo
	s_cbranch_execz .LBB229_590
.LBB229_609:
	ds_read_b32 v10, v9 offset:80
	s_waitcnt lgkmcnt(0)
	v_add_f32_e32 v6, v6, v10
	s_or_b32 exec_lo, exec_lo, s0
	s_and_saveexec_b32 s0, vcc_lo
	s_cbranch_execz .LBB229_591
.LBB229_610:
	ds_read_b32 v10, v9 offset:96
	s_waitcnt lgkmcnt(0)
	v_add_f32_e32 v7, v7, v10
	s_or_b32 exec_lo, exec_lo, s0
	s_and_saveexec_b32 s0, vcc_lo
	s_cbranch_execnz .LBB229_592
	s_branch .LBB229_593
	.section	.rodata,"a",@progbits
	.p2align	6, 0x0
	.amdhsa_kernel _ZN4vllm25paged_attention_v2_kernelIfhLi32ELi32ELi128ELNS_18Fp8KVCacheDataTypeE1ELb1ELi512EEEvPfS2_PT_PKS3_PKT0_S9_ifPKiSB_iPKfiiiSD_SD_iiiii
		.amdhsa_group_segment_fixed_size 160
		.amdhsa_private_segment_fixed_size 0
		.amdhsa_kernarg_size 400
		.amdhsa_user_sgpr_count 6
		.amdhsa_user_sgpr_private_segment_buffer 1
		.amdhsa_user_sgpr_dispatch_ptr 0
		.amdhsa_user_sgpr_queue_ptr 0
		.amdhsa_user_sgpr_kernarg_segment_ptr 1
		.amdhsa_user_sgpr_dispatch_id 0
		.amdhsa_user_sgpr_flat_scratch_init 0
		.amdhsa_user_sgpr_private_segment_size 0
		.amdhsa_wavefront_size32 1
		.amdhsa_uses_dynamic_stack 0
		.amdhsa_system_sgpr_private_segment_wavefront_offset 0
		.amdhsa_system_sgpr_workgroup_id_x 1
		.amdhsa_system_sgpr_workgroup_id_y 1
		.amdhsa_system_sgpr_workgroup_id_z 1
		.amdhsa_system_sgpr_workgroup_info 0
		.amdhsa_system_vgpr_workitem_id 0
		.amdhsa_next_free_vgpr 127
		.amdhsa_next_free_sgpr 52
		.amdhsa_reserve_vcc 1
		.amdhsa_reserve_flat_scratch 0
		.amdhsa_float_round_mode_32 0
		.amdhsa_float_round_mode_16_64 0
		.amdhsa_float_denorm_mode_32 3
		.amdhsa_float_denorm_mode_16_64 3
		.amdhsa_dx10_clamp 1
		.amdhsa_ieee_mode 1
		.amdhsa_fp16_overflow 0
		.amdhsa_workgroup_processor_mode 1
		.amdhsa_memory_ordered 1
		.amdhsa_forward_progress 1
		.amdhsa_shared_vgpr_count 0
		.amdhsa_exception_fp_ieee_invalid_op 0
		.amdhsa_exception_fp_denorm_src 0
		.amdhsa_exception_fp_ieee_div_zero 0
		.amdhsa_exception_fp_ieee_overflow 0
		.amdhsa_exception_fp_ieee_underflow 0
		.amdhsa_exception_fp_ieee_inexact 0
		.amdhsa_exception_int_div_zero 0
	.end_amdhsa_kernel
	.section	.text._ZN4vllm25paged_attention_v2_kernelIfhLi32ELi32ELi128ELNS_18Fp8KVCacheDataTypeE1ELb1ELi512EEEvPfS2_PT_PKS3_PKT0_S9_ifPKiSB_iPKfiiiSD_SD_iiiii,"axG",@progbits,_ZN4vllm25paged_attention_v2_kernelIfhLi32ELi32ELi128ELNS_18Fp8KVCacheDataTypeE1ELb1ELi512EEEvPfS2_PT_PKS3_PKT0_S9_ifPKiSB_iPKfiiiSD_SD_iiiii,comdat
.Lfunc_end229:
	.size	_ZN4vllm25paged_attention_v2_kernelIfhLi32ELi32ELi128ELNS_18Fp8KVCacheDataTypeE1ELb1ELi512EEEvPfS2_PT_PKS3_PKT0_S9_ifPKiSB_iPKfiiiSD_SD_iiiii, .Lfunc_end229-_ZN4vllm25paged_attention_v2_kernelIfhLi32ELi32ELi128ELNS_18Fp8KVCacheDataTypeE1ELb1ELi512EEEvPfS2_PT_PKS3_PKT0_S9_ifPKiSB_iPKfiiiSD_SD_iiiii
                                        ; -- End function
	.set _ZN4vllm25paged_attention_v2_kernelIfhLi32ELi32ELi128ELNS_18Fp8KVCacheDataTypeE1ELb1ELi512EEEvPfS2_PT_PKS3_PKT0_S9_ifPKiSB_iPKfiiiSD_SD_iiiii.num_vgpr, 127
	.set _ZN4vllm25paged_attention_v2_kernelIfhLi32ELi32ELi128ELNS_18Fp8KVCacheDataTypeE1ELb1ELi512EEEvPfS2_PT_PKS3_PKT0_S9_ifPKiSB_iPKfiiiSD_SD_iiiii.num_agpr, 0
	.set _ZN4vllm25paged_attention_v2_kernelIfhLi32ELi32ELi128ELNS_18Fp8KVCacheDataTypeE1ELb1ELi512EEEvPfS2_PT_PKS3_PKT0_S9_ifPKiSB_iPKfiiiSD_SD_iiiii.numbered_sgpr, 52
	.set _ZN4vllm25paged_attention_v2_kernelIfhLi32ELi32ELi128ELNS_18Fp8KVCacheDataTypeE1ELb1ELi512EEEvPfS2_PT_PKS3_PKT0_S9_ifPKiSB_iPKfiiiSD_SD_iiiii.num_named_barrier, 0
	.set _ZN4vllm25paged_attention_v2_kernelIfhLi32ELi32ELi128ELNS_18Fp8KVCacheDataTypeE1ELb1ELi512EEEvPfS2_PT_PKS3_PKT0_S9_ifPKiSB_iPKfiiiSD_SD_iiiii.private_seg_size, 0
	.set _ZN4vllm25paged_attention_v2_kernelIfhLi32ELi32ELi128ELNS_18Fp8KVCacheDataTypeE1ELb1ELi512EEEvPfS2_PT_PKS3_PKT0_S9_ifPKiSB_iPKfiiiSD_SD_iiiii.uses_vcc, 1
	.set _ZN4vllm25paged_attention_v2_kernelIfhLi32ELi32ELi128ELNS_18Fp8KVCacheDataTypeE1ELb1ELi512EEEvPfS2_PT_PKS3_PKT0_S9_ifPKiSB_iPKfiiiSD_SD_iiiii.uses_flat_scratch, 0
	.set _ZN4vllm25paged_attention_v2_kernelIfhLi32ELi32ELi128ELNS_18Fp8KVCacheDataTypeE1ELb1ELi512EEEvPfS2_PT_PKS3_PKT0_S9_ifPKiSB_iPKfiiiSD_SD_iiiii.has_dyn_sized_stack, 0
	.set _ZN4vllm25paged_attention_v2_kernelIfhLi32ELi32ELi128ELNS_18Fp8KVCacheDataTypeE1ELb1ELi512EEEvPfS2_PT_PKS3_PKT0_S9_ifPKiSB_iPKfiiiSD_SD_iiiii.has_recursion, 0
	.set _ZN4vllm25paged_attention_v2_kernelIfhLi32ELi32ELi128ELNS_18Fp8KVCacheDataTypeE1ELb1ELi512EEEvPfS2_PT_PKS3_PKT0_S9_ifPKiSB_iPKfiiiSD_SD_iiiii.has_indirect_call, 0
	.section	.AMDGPU.csdata,"",@progbits
; Kernel info:
; codeLenInByte = 18672
; TotalNumSgprs: 54
; NumVgprs: 127
; ScratchSize: 0
; MemoryBound: 0
; FloatMode: 240
; IeeeMode: 1
; LDSByteSize: 160 bytes/workgroup (compile time only)
; SGPRBlocks: 0
; VGPRBlocks: 15
; NumSGPRsForWavesPerEU: 54
; NumVGPRsForWavesPerEU: 127
; Occupancy: 8
; WaveLimiterHint : 1
; COMPUTE_PGM_RSRC2:SCRATCH_EN: 0
; COMPUTE_PGM_RSRC2:USER_SGPR: 6
; COMPUTE_PGM_RSRC2:TRAP_HANDLER: 0
; COMPUTE_PGM_RSRC2:TGID_X_EN: 1
; COMPUTE_PGM_RSRC2:TGID_Y_EN: 1
; COMPUTE_PGM_RSRC2:TGID_Z_EN: 1
; COMPUTE_PGM_RSRC2:TIDIG_COMP_CNT: 0
	.section	.text._ZN4vllm25paged_attention_v2_kernelIfhLi64ELi32ELi128ELNS_18Fp8KVCacheDataTypeE1ELb1ELi512EEEvPfS2_PT_PKS3_PKT0_S9_ifPKiSB_iPKfiiiSD_SD_iiiii,"axG",@progbits,_ZN4vllm25paged_attention_v2_kernelIfhLi64ELi32ELi128ELNS_18Fp8KVCacheDataTypeE1ELb1ELi512EEEvPfS2_PT_PKS3_PKT0_S9_ifPKiSB_iPKfiiiSD_SD_iiiii,comdat
	.protected	_ZN4vllm25paged_attention_v2_kernelIfhLi64ELi32ELi128ELNS_18Fp8KVCacheDataTypeE1ELb1ELi512EEEvPfS2_PT_PKS3_PKT0_S9_ifPKiSB_iPKfiiiSD_SD_iiiii ; -- Begin function _ZN4vllm25paged_attention_v2_kernelIfhLi64ELi32ELi128ELNS_18Fp8KVCacheDataTypeE1ELb1ELi512EEEvPfS2_PT_PKS3_PKT0_S9_ifPKiSB_iPKfiiiSD_SD_iiiii
	.globl	_ZN4vllm25paged_attention_v2_kernelIfhLi64ELi32ELi128ELNS_18Fp8KVCacheDataTypeE1ELb1ELi512EEEvPfS2_PT_PKS3_PKT0_S9_ifPKiSB_iPKfiiiSD_SD_iiiii
	.p2align	8
	.type	_ZN4vllm25paged_attention_v2_kernelIfhLi64ELi32ELi128ELNS_18Fp8KVCacheDataTypeE1ELb1ELi512EEEvPfS2_PT_PKS3_PKT0_S9_ifPKiSB_iPKfiiiSD_SD_iiiii,@function
_ZN4vllm25paged_attention_v2_kernelIfhLi64ELi32ELi128ELNS_18Fp8KVCacheDataTypeE1ELb1ELi512EEEvPfS2_PT_PKS3_PKT0_S9_ifPKiSB_iPKfiiiSD_SD_iiiii: ; @_ZN4vllm25paged_attention_v2_kernelIfhLi64ELi32ELi128ELNS_18Fp8KVCacheDataTypeE1ELb1ELi512EEEvPfS2_PT_PKS3_PKT0_S9_ifPKiSB_iPKfiiiSD_SD_iiiii
; %bb.0:
	s_mov_b64 s[54:55], s[2:3]
	s_mov_b64 s[52:53], s[0:1]
	s_load_dwordx2 s[0:1], s[4:5], 0x40
	s_add_u32 s52, s52, s9
	s_addc_u32 s53, s53, 0
	s_mov_b32 s30, s7
	s_ashr_i32 s31, s7, 31
	s_lshl_b64 s[2:3], s[30:31], 2
	s_waitcnt lgkmcnt(0)
	s_add_u32 s0, s0, s2
	s_addc_u32 s1, s1, s3
	s_lshl_b32 s40, s8, 9
	s_load_dword s31, s[0:1], 0x0
	s_waitcnt lgkmcnt(0)
	s_cmp_ge_i32 s40, s31
	s_cbranch_scc1 .LBB230_1140
; %bb.1:
	s_clause 0x1
	s_load_dword s9, s[4:5], 0x90
	s_load_dwordx2 s[2:3], s[4:5], 0x30
	v_mov_b32_e32 v5, v0
	s_mov_b32 s42, 0
	s_waitcnt lgkmcnt(0)
	s_abs_i32 s10, s9
	s_abs_i32 s0, s2
	v_cvt_f32_u32_e32 v0, s0
	s_sub_i32 s7, 0, s0
	v_rcp_iflag_f32_e32 v0, v0
	v_mul_f32_e32 v0, 0x4f7ffffe, v0
	v_cvt_u32_f32_e32 v0, v0
	v_readfirstlane_b32 s1, v0
	s_mul_i32 s7, s7, s1
	s_mul_hi_u32 s7, s1, s7
	s_add_i32 s1, s1, s7
	s_xor_b32 s7, s9, s2
	s_mul_hi_u32 s1, s10, s1
	s_ashr_i32 s7, s7, 31
	s_mul_i32 s11, s1, s0
	s_sub_i32 s10, s10, s11
	s_add_i32 s11, s1, 1
	s_sub_i32 s12, s10, s0
	s_cmp_ge_u32 s10, s0
	s_cselect_b32 s1, s11, s1
	s_cselect_b32 s10, s12, s10
	s_add_i32 s11, s1, 1
	s_cmp_ge_u32 s10, s0
	s_cselect_b32 s0, s11, s1
	s_abs_i32 s13, s6
	s_xor_b32 s0, s0, s7
	s_sub_i32 s10, s0, s7
	s_load_dwordx2 s[0:1], s[4:5], 0x50
	s_abs_i32 s12, s10
	v_cvt_f32_u32_e32 v0, s12
	s_sub_i32 s11, 0, s12
	v_rcp_iflag_f32_e32 v0, v0
	v_mul_f32_e32 v0, 0x4f7ffffe, v0
	v_cvt_u32_f32_e32 v0, v0
	v_readfirstlane_b32 s7, v0
	s_mul_i32 s11, s11, s7
	s_mul_hi_u32 s11, s7, s11
	s_add_i32 s7, s7, s11
	s_waitcnt lgkmcnt(0)
	s_cmp_eq_u64 s[0:1], 0
	s_mul_hi_u32 s14, s13, s7
	s_cbranch_scc1 .LBB230_3
; %bb.2:
	s_ashr_i32 s7, s6, 31
	s_lshl_b64 s[16:17], s[6:7], 2
	s_add_u32 s0, s0, s16
	s_addc_u32 s1, s1, s17
	s_load_dword s42, s[0:1], 0x0
.LBB230_3:
	s_load_dwordx4 s[16:19], s[4:5], 0x58
	s_ashr_i32 s0, s6, 31
	s_ashr_i32 s1, s10, 31
	s_lshl_b32 s10, s6, 6
	s_mov_b32 s7, exec_lo
	v_cmpx_gt_u32_e32 16, v5
	s_cbranch_execz .LBB230_5
; %bb.4:
	s_load_dwordx2 s[20:21], s[4:5], 0x18
	s_waitcnt lgkmcnt(0)
	s_mul_i32 s22, s16, s30
	v_lshlrev_b32_e32 v4, 4, v5
	s_ashr_i32 s23, s22, 31
	s_lshl_b64 s[22:23], s[22:23], 2
	s_add_u32 s15, s20, s22
	s_addc_u32 s16, s21, s23
	s_ashr_i32 s11, s10, 31
	s_lshl_b64 s[20:21], s[10:11], 2
	s_add_u32 s20, s15, s20
	s_addc_u32 s21, s16, s21
	global_load_dwordx4 v[0:3], v4, s[20:21]
	s_waitcnt vmcnt(0)
	ds_write_b128 v4, v[0:3]
.LBB230_5:
	s_or_b32 exec_lo, exec_lo, s7
	s_load_dwordx4 s[20:23], s[4:5], 0x78
	s_mul_i32 s7, s14, s12
	s_xor_b32 s0, s0, s1
	s_sub_i32 s1, s13, s7
	s_add_i32 s7, s14, 1
	s_sub_i32 s11, s1, s12
	s_cmp_ge_u32 s1, s12
	s_mov_b32 s13, -1
	s_cselect_b32 s7, s7, s14
	s_cselect_b32 s1, s11, s1
	s_add_i32 s11, s7, 1
	s_cmp_ge_u32 s1, s12
                                        ; implicit-def: $sgpr19
	s_cselect_b32 s1, s11, s7
	s_load_dword s7, s[4:5], 0x88
	s_xor_b32 s1, s1, s0
	s_add_i32 s12, s31, -1
	s_sub_i32 s1, s1, s0
	s_abs_i32 s33, s12
	s_waitcnt lgkmcnt(0)
	s_abs_i32 s11, s23
	s_barrier
	v_cvt_f32_u32_e32 v0, s11
	s_sub_i32 s0, 0, s11
	buffer_gl0_inv
	v_rcp_iflag_f32_e32 v0, v0
	v_mul_f32_e32 v0, 0x4f7ffffe, v0
	v_cvt_u32_f32_e32 v0, v0
	v_readfirstlane_b32 s16, v0
	s_mul_i32 s0, s0, s16
	s_mul_hi_u32 s0, s16, s0
	s_add_i32 s16, s16, s0
	s_cmp_lt_i32 s7, 0
	s_mul_hi_u32 s0, s33, s16
	s_cbranch_scc0 .LBB230_7
; %bb.6:
	s_mul_i32 s2, s20, s2
	s_mov_b32 s13, 0
	s_add_i32 s2, s1, s2
	s_mul_i32 s2, s2, s7
	s_sub_i32 s19, 1, s2
.LBB230_7:
	s_load_dwordx2 s[34:35], s[4:5], 0x38
	s_ashr_i32 s2, s12, 31
	s_andn2_b32 vcc_lo, exec_lo, s13
	s_ashr_i32 s23, s23, 31
	s_cbranch_vccnz .LBB230_9
; %bb.8:
	s_mul_i32 s12, s9, s20
	s_add_i32 s12, s12, s6
	s_mul_i32 s7, s12, s7
	s_add_i32 s19, s7, 1
.LBB230_9:
	s_clause 0x5
	s_load_dword s20, s[4:5], 0x48
	s_load_dwordx2 s[38:39], s[4:5], 0x28
	s_load_dwordx4 s[24:27], s[4:5], 0x0
	s_load_dwordx2 s[28:29], s[4:5], 0x10
	s_load_dword s7, s[4:5], 0x98
	s_load_dwordx4 s[12:15], s[4:5], 0x68
	s_mul_i32 s36, s0, s11
	s_xor_b32 s2, s2, s23
	s_sub_i32 s33, s33, s36
	s_add_i32 s41, s0, 1
	v_lshrrev_b32_e32 v0, 5, v5
	v_and_b32_e32 v1, 31, v5
	v_mov_b32_e32 v99, 0xff7fffff
	s_mul_i32 s18, s1, s18
	buffer_store_dword v5, off, s[52:55], 0 offset:356 ; 4-byte Folded Spill
	v_lshl_add_u32 v127, v0, 5, s40
	v_lshlrev_b32_e32 v94, 2, v1
	buffer_store_dword v0, off, s[52:55], 0 offset:360 ; 4-byte Folded Spill
	buffer_store_dword v1, off, s[52:55], 0 offset:84 ; 4-byte Folded Spill
	s_waitcnt lgkmcnt(0)
	s_mul_i32 s36, s20, s30
	s_sub_i32 s20, s33, s11
	s_ashr_i32 s37, s36, 31
	s_cmp_ge_u32 s33, s11
	s_cselect_b32 s0, s41, s0
	s_cselect_b32 s20, s20, s33
	s_add_i32 s33, s0, 1
	s_cmp_ge_u32 s20, s11
	s_cselect_b32 s0, s33, s0
	s_add_i32 s20, s31, 31
	s_lshl_b32 s43, s8, 4
	s_ashr_i32 s33, s20, 31
	v_add_nc_u32_e32 v65, s43, v0
	s_lshr_b32 s33, s33, 27
	s_add_i32 s41, s43, 16
	s_add_i32 s20, s20, s33
	s_xor_b32 s44, s0, s2
	s_ashr_i32 s33, s20, 5
	v_ashrrev_i32_e32 v66, 31, v65
	s_min_i32 s20, s41, s33
	s_sub_i32 s41, s44, s2
	v_cmp_gt_i32_e64 s0, s20, v65
	s_and_saveexec_b32 s44, s0
	s_cbranch_execz .LBB230_529
; %bb.10:
	v_mov_b32_e32 v68, 0
	s_clause 0x1
	buffer_load_dword v4, off, s[52:55], 0 offset:84
	buffer_load_dword v6, off, s[52:55], 0 offset:360
	s_load_dwordx2 s[46:47], s[4:5], 0x20
	s_sub_i32 s4, s41, s21
	ds_read_b128 v[7:10], v68
	s_ashr_i32 s1, s18, 31
	v_lshlrev_b64 v[1:2], 2, v[65:66]
	v_cmp_neq_f32_e64 vcc_lo, s42, 0
	v_mov_b32_e32 v87, 0x80
	v_bfrev_b32_e32 v84, 1
	v_mov_b32_e32 v100, 0xffff
	v_mov_b32_e32 v82, 0x7f800001
	;; [unrolled: 1-line block ×5, first 2 shown]
	s_waitcnt lgkmcnt(0)
	buffer_store_dword v7, off, s[52:55], 0 offset:88 ; 4-byte Folded Spill
	buffer_store_dword v8, off, s[52:55], 0 offset:92 ; 4-byte Folded Spill
	;; [unrolled: 1-line block ×4, first 2 shown]
	ds_read_b128 v[7:10], v68 offset:16
	s_add_u32 s2, s46, s18
	s_addc_u32 s45, s47, s1
	s_abs_i32 s5, s22
	s_lshl_b64 s[46:47], s[36:37], 2
	v_cvt_f32_u32_e32 v5, s5
	s_sub_i32 s1, 0, s5
	s_waitcnt lgkmcnt(0)
	buffer_store_dword v7, off, s[52:55], 0 offset:104 ; 4-byte Folded Spill
	buffer_store_dword v8, off, s[52:55], 0 offset:108 ; 4-byte Folded Spill
	;; [unrolled: 1-line block ×4, first 2 shown]
	ds_read_b128 v[7:10], v68 offset:32
	v_rcp_iflag_f32_e32 v5, v5
	s_waitcnt lgkmcnt(0)
	buffer_store_dword v7, off, s[52:55], 0 offset:120 ; 4-byte Folded Spill
	buffer_store_dword v8, off, s[52:55], 0 offset:124 ; 4-byte Folded Spill
	;; [unrolled: 1-line block ×4, first 2 shown]
	ds_read_b128 v[7:10], v68 offset:48
	v_mul_f32_e32 v5, 0x4f7ffffe, v5
	s_waitcnt lgkmcnt(0)
	buffer_store_dword v7, off, s[52:55], 0 offset:136 ; 4-byte Folded Spill
	buffer_store_dword v8, off, s[52:55], 0 offset:140 ; 4-byte Folded Spill
	;; [unrolled: 1-line block ×4, first 2 shown]
	ds_read_b128 v[7:10], v68 offset:64
	v_cvt_u32_f32_e32 v5, v5
	s_waitcnt lgkmcnt(0)
	buffer_store_dword v7, off, s[52:55], 0 offset:152 ; 4-byte Folded Spill
	buffer_store_dword v8, off, s[52:55], 0 offset:156 ; 4-byte Folded Spill
	buffer_store_dword v9, off, s[52:55], 0 offset:160 ; 4-byte Folded Spill
	buffer_store_dword v10, off, s[52:55], 0 offset:164 ; 4-byte Folded Spill
	ds_read_b128 v[7:10], v68 offset:80
	s_waitcnt lgkmcnt(0)
	buffer_store_dword v7, off, s[52:55], 0 offset:168 ; 4-byte Folded Spill
	buffer_store_dword v8, off, s[52:55], 0 offset:172 ; 4-byte Folded Spill
	buffer_store_dword v9, off, s[52:55], 0 offset:176 ; 4-byte Folded Spill
	buffer_store_dword v10, off, s[52:55], 0 offset:180 ; 4-byte Folded Spill
	ds_read_b128 v[7:10], v68 offset:96
	;; [unrolled: 6-line block ×8, first 2 shown]
	v_mul_lo_u32 v7, s1, v5
	s_add_u32 s1, s34, s46
	s_addc_u32 s46, s35, s47
	v_add_co_u32 v73, s1, s1, v1
	v_add_co_ci_u32_e64 v74, null, s46, v2, s1
	s_mov_b32 s46, s17
	v_mul_hi_u32 v7, v5, v7
	s_waitcnt lgkmcnt(0)
	buffer_store_dword v8, off, s[52:55], 0 offset:280 ; 4-byte Folded Spill
	buffer_store_dword v9, off, s[52:55], 0 offset:284 ; 4-byte Folded Spill
	buffer_store_dword v10, off, s[52:55], 0 offset:288 ; 4-byte Folded Spill
	buffer_store_dword v11, off, s[52:55], 0 offset:292 ; 4-byte Folded Spill
	ds_read_b128 v[8:11], v68 offset:208
	s_waitcnt lgkmcnt(0)
	buffer_store_dword v8, off, s[52:55], 0 offset:296 ; 4-byte Folded Spill
	buffer_store_dword v9, off, s[52:55], 0 offset:300 ; 4-byte Folded Spill
	buffer_store_dword v10, off, s[52:55], 0 offset:304 ; 4-byte Folded Spill
	buffer_store_dword v11, off, s[52:55], 0 offset:308 ; 4-byte Folded Spill
	ds_read_b128 v[8:11], v68 offset:224
	;; [unrolled: 6-line block ×3, first 2 shown]
	s_waitcnt vmcnt(1)
	v_lshlrev_b32_e32 v3, 4, v4
	v_subrev_nc_u32_e32 v4, s31, v4
	s_waitcnt vmcnt(0)
	v_lshl_add_u32 v0, v6, 5, s40
	v_lshl_or_b32 v6, v6, 7, v94
	s_waitcnt lgkmcnt(0)
	buffer_store_dword v8, off, s[52:55], 0 offset:328 ; 4-byte Folded Spill
	buffer_store_dword v9, off, s[52:55], 0 offset:332 ; 4-byte Folded Spill
	;; [unrolled: 1-line block ×4, first 2 shown]
	v_add_nc_u32_e32 v1, 1, v4
	v_add_nc_u32_e32 v96, 0x120, v6
	buffer_store_dword v1, off, s[52:55], 0 offset:344 ; 4-byte Folded Spill
	v_add_co_u32 v1, s1, s2, v3
	v_add_co_ci_u32_e64 v2, null, s45, 0, s1
	buffer_store_dword v1, off, s[52:55], 0 offset:348 ; 4-byte Folded Spill
	buffer_store_dword v2, off, s[52:55], 0 offset:352 ; 4-byte Folded Spill
	v_add_nc_u32_e32 v1, v5, v7
	s_mov_b32 s45, 0
	buffer_store_dword v1, off, s[52:55], 0 offset:80 ; 4-byte Folded Spill
	s_branch .LBB230_16
.LBB230_11:                             ;   in Loop: Header=BB230_16 Depth=1
	s_or_b32 exec_lo, exec_lo, s51
	v_mov_b32_e32 v58, 24
	v_lshlrev_b32_e32 v67, 20, v67
	v_lshl_add_u32 v57, v57, 23, 0x3c000000
	v_lshlrev_b32_sdwa v58, v58, v93 dst_sel:DWORD dst_unused:UNUSED_PAD src0_sel:DWORD src1_sel:BYTE_3
	v_and_b32_e32 v58, 0x80000000, v58
	v_or3_b32 v58, v67, v58, v57
	v_mov_b32_e32 v57, v68
.LBB230_12:                             ;   in Loop: Header=BB230_16 Depth=1
	s_or_b32 exec_lo, exec_lo, s50
.LBB230_13:                             ;   in Loop: Header=BB230_16 Depth=1
	s_or_b32 exec_lo, exec_lo, s49
.LBB230_14:                             ;   in Loop: Header=BB230_16 Depth=1
	s_or_b32 exec_lo, exec_lo, s48
	v_or_b32_e32 v32, v34, v32
	v_or_b32_e32 v34, v33, v31
	v_or_b32_e32 v31, v36, v38
	v_or_b32_e32 v33, v35, v37
	s_clause 0x1
	buffer_load_dword v35, off, s[52:55], 0 offset:64
	buffer_load_dword v36, off, s[52:55], 0 offset:68
	v_or_b32_e32 v24, v26, v24
	v_or_b32_e32 v26, v25, v23
	;; [unrolled: 1-line block ×26, first 2 shown]
	s_waitcnt lgkmcnt(0)
	v_mul_f32_e32 v22, s47, v22
	v_mul_f32_e32 v27, s47, v27
	v_or_b32_e32 v7, v12, v14
	v_or_b32_e32 v14, v114, v112
	;; [unrolled: 1-line block ×6, first 2 shown]
	v_mul_f32_e32 v14, s47, v14
	v_or_b32_e32 v3, v3, v5
	v_mul_f32_e32 v20, s47, v20
	v_or_b32_e32 v5, v122, v120
	v_or_b32_e32 v9, v11, v13
	;; [unrolled: 1-line block ×5, first 2 shown]
	v_mul_f32_e32 v5, s47, v5
	v_or_b32_e32 v12, v121, v119
	v_or_b32_e32 v6, v123, v125
	;; [unrolled: 1-line block ×4, first 2 shown]
	v_mul_f32_e32 v1, s47, v1
	v_mul_f32_e32 v12, s47, v12
	v_or_b32_e32 v77, v79, v77
	v_mul_f32_e32 v2, s47, v2
	v_or_b32_e32 v78, v80, v78
	v_or_b32_e32 v58, v58, v86
	;; [unrolled: 1-line block ×3, first 2 shown]
	s_waitcnt vmcnt(1)
	v_or_b32_e32 v35, v97, v35
	s_waitcnt vmcnt(0)
	v_or_b32_e32 v29, v98, v36
	s_clause 0x1
	buffer_load_dword v36, off, s[52:55], 0 offset:72
	buffer_load_dword v37, off, s[52:55], 0 offset:76
	v_mul_f32_e32 v35, s47, v35
	v_mul_f32_e32 v29, s47, v29
	s_waitcnt vmcnt(1)
	v_or_b32_e32 v36, v101, v36
	s_waitcnt vmcnt(0)
	v_or_b32_e32 v30, v102, v37
	s_clause 0x3
	buffer_load_dword v37, off, s[52:55], 0 offset:32
	buffer_load_dword v38, off, s[52:55], 0 offset:36
	;; [unrolled: 1-line block ×4, first 2 shown]
	s_waitcnt vmcnt(1)
	v_or_b32_e32 v45, v43, v37
	s_waitcnt vmcnt(0)
	v_or_b32_e32 v38, v44, v38
	s_clause 0x3
	buffer_load_dword v43, off, s[52:55], 0 offset:48
	buffer_load_dword v44, off, s[52:55], 0 offset:52
	;; [unrolled: 1-line block ×4, first 2 shown]
	v_mul_f32_e32 v45, s47, v45
	v_mul_f32_e32 v38, s47, v38
	s_waitcnt vmcnt(1)
	v_or_b32_e32 v43, v51, v43
	s_waitcnt vmcnt(0)
	v_or_b32_e32 v37, v52, v44
	s_clause 0x3
	buffer_load_dword v51, off, s[52:55], 0
	buffer_load_dword v52, off, s[52:55], 0 offset:4
	buffer_load_dword v53, off, s[52:55], 0 offset:8
	buffer_load_dword v54, off, s[52:55], 0 offset:12
	v_mul_f32_e32 v37, s47, v37
	s_waitcnt vmcnt(0)
	v_or_b32_e32 v46, v54, v52
	v_or_b32_e32 v52, v53, v51
	s_clause 0x3
	buffer_load_dword v53, off, s[52:55], 0 offset:16
	buffer_load_dword v54, off, s[52:55], 0 offset:20
	;; [unrolled: 1-line block ×4, first 2 shown]
	v_mul_f32_e32 v46, s47, v46
	v_mul_f32_e32 v52, s47, v52
	s_waitcnt vmcnt(1)
	v_or_b32_e32 v51, v59, v53
	s_waitcnt vmcnt(0)
	v_or_b32_e32 v44, v60, v54
	v_or_b32_e32 v53, v90, v64
	;; [unrolled: 1-line block ×3, first 2 shown]
	s_clause 0x7
	buffer_load_dword v89, off, s[52:55], 0 offset:104
	buffer_load_dword v90, off, s[52:55], 0 offset:108
	;; [unrolled: 1-line block ×8, first 2 shown]
	s_waitcnt vmcnt(7)
	v_mul_f32_e32 v45, v89, v45
	s_waitcnt vmcnt(4)
	v_mul_f32_e32 v37, v92, v37
	s_waitcnt vmcnt(3)
	v_fmac_f32_e32 v45, v59, v52
	v_mul_f32_e32 v52, v90, v38
	v_mul_f32_e32 v38, s47, v43
	v_mul_f32_e32 v43, s47, v51
	s_waitcnt vmcnt(2)
	v_fmac_f32_e32 v52, v60, v46
	v_mul_f32_e32 v38, v91, v38
	s_waitcnt vmcnt(1)
	v_fmac_f32_e32 v38, v61, v43
	v_mul_f32_e32 v43, s47, v44
	s_waitcnt vmcnt(0)
	v_fmac_f32_e32 v37, v62, v43
	s_clause 0x3
	buffer_load_dword v59, off, s[52:55], 0 offset:120
	buffer_load_dword v60, off, s[52:55], 0 offset:124
	;; [unrolled: 1-line block ×4, first 2 shown]
	s_waitcnt vmcnt(3)
	v_fmac_f32_e32 v45, v59, v35
	s_waitcnt vmcnt(2)
	v_fmac_f32_e32 v52, v60, v29
	v_mul_f32_e32 v29, s47, v36
	s_waitcnt vmcnt(1)
	v_fmac_f32_e32 v38, v61, v29
	v_mul_f32_e32 v29, s47, v30
	s_waitcnt vmcnt(0)
	v_fmac_f32_e32 v37, v62, v29
	s_clause 0x3
	buffer_load_dword v59, off, s[52:55], 0 offset:136
	buffer_load_dword v60, off, s[52:55], 0 offset:140
	;; [unrolled: 1-line block ×4, first 2 shown]
	s_waitcnt vmcnt(3)
	v_fmac_f32_e32 v45, v59, v27
	s_waitcnt vmcnt(2)
	v_fmac_f32_e32 v52, v60, v22
	v_mul_f32_e32 v22, s47, v28
	s_clause 0x3
	buffer_load_dword v27, off, s[52:55], 0 offset:152
	buffer_load_dword v28, off, s[52:55], 0 offset:156
	;; [unrolled: 1-line block ×4, first 2 shown]
	s_waitcnt vmcnt(5)
	v_fmac_f32_e32 v38, v61, v22
	s_waitcnt vmcnt(3)
	v_fmac_f32_e32 v45, v27, v20
	;; [unrolled: 2-line block ×3, first 2 shown]
	v_mul_f32_e32 v14, s47, v21
	v_fmac_f32_e32 v37, v62, v14
	v_mul_f32_e32 v14, s47, v19
	s_clause 0x3
	buffer_load_dword v19, off, s[52:55], 0 offset:168
	buffer_load_dword v20, off, s[52:55], 0 offset:172
	;; [unrolled: 1-line block ×4, first 2 shown]
	s_waitcnt vmcnt(5)
	v_fmac_f32_e32 v38, v29, v14
	s_waitcnt vmcnt(3)
	v_fmac_f32_e32 v45, v19, v12
	s_waitcnt vmcnt(2)
	v_fmac_f32_e32 v52, v20, v5
	v_mul_f32_e32 v5, s47, v13
	v_fmac_f32_e32 v37, v30, v5
	v_mul_f32_e32 v5, s47, v6
	s_waitcnt vmcnt(1)
	v_fmac_f32_e32 v38, v21, v5
	v_mul_f32_e32 v5, s47, v11
	s_clause 0x3
	buffer_load_dword v11, off, s[52:55], 0 offset:184
	buffer_load_dword v12, off, s[52:55], 0 offset:188
	;; [unrolled: 1-line block ×4, first 2 shown]
	s_waitcnt vmcnt(3)
	v_fmac_f32_e32 v45, v11, v5
	s_waitcnt vmcnt(2)
	v_fmac_f32_e32 v52, v12, v2
	v_mul_f32_e32 v2, s47, v4
	v_fmac_f32_e32 v37, v22, v2
	v_mul_f32_e32 v2, s47, v3
	s_clause 0x3
	buffer_load_dword v3, off, s[52:55], 0 offset:200
	buffer_load_dword v4, off, s[52:55], 0 offset:204
	;; [unrolled: 1-line block ×4, first 2 shown]
	s_waitcnt vmcnt(4)
	v_fmac_f32_e32 v37, v14, v1
	v_fmac_f32_e32 v38, v13, v2
	v_mul_f32_e32 v2, s47, v10
	v_mul_f32_e32 v1, s47, v9
	s_waitcnt vmcnt(3)
	v_fmac_f32_e32 v45, v3, v2
	v_mul_f32_e32 v2, s47, v8
	s_waitcnt vmcnt(1)
	v_fmac_f32_e32 v38, v5, v1
	v_mul_f32_e32 v1, s47, v18
	v_fmac_f32_e32 v52, v4, v2
	s_clause 0x3
	buffer_load_dword v2, off, s[52:55], 0 offset:216
	buffer_load_dword v3, off, s[52:55], 0 offset:220
	;; [unrolled: 1-line block ×4, first 2 shown]
	s_waitcnt vmcnt(3)
	v_fmac_f32_e32 v45, v2, v1
	v_mul_f32_e32 v1, s47, v16
	s_waitcnt vmcnt(2)
	v_fmac_f32_e32 v52, v3, v1
	v_mul_f32_e32 v1, s47, v7
	v_fmac_f32_e32 v37, v6, v1
	s_clause 0x3
	buffer_load_dword v6, off, s[52:55], 0 offset:232
	buffer_load_dword v7, off, s[52:55], 0 offset:236
	buffer_load_dword v8, off, s[52:55], 0 offset:240
	buffer_load_dword v9, off, s[52:55], 0 offset:244
	v_mul_f32_e32 v1, s47, v17
	s_waitcnt vmcnt(5)
	v_fmac_f32_e32 v38, v4, v1
	v_mul_f32_e32 v1, s47, v26
	s_waitcnt vmcnt(3)
	v_fmac_f32_e32 v45, v6, v1
	v_mul_f32_e32 v1, s47, v24
	s_waitcnt vmcnt(2)
	v_fmac_f32_e32 v52, v7, v1
	v_mul_f32_e32 v1, s47, v15
	v_fmac_f32_e32 v37, v5, v1
	s_clause 0x3
	buffer_load_dword v2, off, s[52:55], 0 offset:248
	buffer_load_dword v3, off, s[52:55], 0 offset:252
	buffer_load_dword v4, off, s[52:55], 0 offset:256
	buffer_load_dword v5, off, s[52:55], 0 offset:260
	v_mul_f32_e32 v1, s47, v25
	s_waitcnt vmcnt(5)
	v_fmac_f32_e32 v38, v8, v1
	v_mul_f32_e32 v1, s47, v34
	;; [unrolled: 16-line block ×6, first 2 shown]
	s_waitcnt vmcnt(3)
	v_fmac_f32_e32 v45, v2, v1
	v_mul_f32_e32 v1, s47, v78
	v_mul_f32_e32 v2, s47, v58
	s_waitcnt vmcnt(2)
	v_fmac_f32_e32 v52, v3, v1
	v_mul_f32_e32 v1, s47, v55
	v_fmac_f32_e32 v37, v9, v1
	s_clause 0x3
	buffer_load_dword v6, off, s[52:55], 0 offset:328
	buffer_load_dword v7, off, s[52:55], 0 offset:332
	;; [unrolled: 1-line block ×4, first 2 shown]
	v_mul_f32_e32 v1, s47, v69
	s_waitcnt vmcnt(5)
	v_fmac_f32_e32 v38, v4, v1
	v_mul_f32_e32 v1, s47, v54
	s_waitcnt vmcnt(3)
	v_fmac_f32_e32 v45, v6, v1
	;; [unrolled: 3-line block ×3, first 2 shown]
	v_mul_f32_e32 v1, s47, v67
	v_fmac_f32_e32 v37, v5, v1
	v_mul_f32_e32 v1, s47, v57
	s_waitcnt vmcnt(0)
	v_fmac_f32_e32 v37, v9, v2
	buffer_load_dword v2, off, s[52:55], 0 offset:344 ; 4-byte Folded Reload
	v_fmac_f32_e32 v38, v8, v1
	v_add_f32_e32 v1, v45, v52
	v_add_f32_e32 v1, v1, v38
	;; [unrolled: 1-line block ×3, first 2 shown]
	s_waitcnt vmcnt(0)
	v_add_nc_u32_e32 v2, v2, v0
	v_cvt_f32_i32_e32 v2, v2
	v_mul_f32_e32 v2, s42, v2
	v_cndmask_b32_e32 v2, 0, v2, vcc_lo
	v_fmac_f32_e32 v2, s3, v1
	buffer_load_dword v1, off, s[52:55], 0 offset:84 ; 4-byte Folded Reload
	s_waitcnt vmcnt(0)
	v_add_nc_u32_e32 v1, v1, v0
	v_cmp_gt_i32_e64 s1, s31, v1
	v_max_f32_e32 v1, v99, v99
	v_max_f32_e32 v1, v1, v2
	v_cndmask_b32_e64 v2, 0, v2, s1
	v_cndmask_b32_e64 v99, v99, v1, s1
	ds_write_b32 v96, v2
.LBB230_15:                             ;   in Loop: Header=BB230_16 Depth=1
	s_or_b32 exec_lo, exec_lo, s2
	v_add_nc_u32_e32 v95, 4, v95
	v_add_co_u32 v73, s2, v73, 16
	v_add_co_ci_u32_e64 v74, null, 0, v74, s2
	v_cmp_le_i32_e64 s1, s20, v95
	v_add_nc_u32_e32 v0, 0x80, v0
	v_add_nc_u32_e32 v96, 0x200, v96
	s_or_b32 s45, s1, s45
	s_andn2_b32 exec_lo, exec_lo, s45
	s_cbranch_execz .LBB230_528
.LBB230_16:                             ; =>This Inner Loop Header: Depth=1
	v_sub_nc_u32_e32 v1, 0, v0
	v_max_i32_e32 v1, v0, v1
	v_mul_hi_u32 v2, v1, s16
	v_mul_lo_u32 v3, v2, s11
	v_sub_nc_u32_e32 v1, v1, v3
	v_add_nc_u32_e32 v3, 1, v2
	v_subrev_nc_u32_e32 v4, s11, v1
	v_cmp_le_u32_e64 s1, s11, v1
	v_cndmask_b32_e64 v2, v2, v3, s1
	v_cndmask_b32_e64 v1, v1, v4, s1
	v_ashrrev_i32_e32 v3, 31, v0
	v_add_nc_u32_e32 v4, 1, v2
	v_cmp_le_u32_e64 s1, s11, v1
	v_xor_b32_e32 v3, s23, v3
	v_cndmask_b32_e64 v1, v2, v4, s1
	buffer_load_dword v4, off, s[52:55], 0 offset:80 ; 4-byte Folded Reload
	v_xor_b32_e32 v1, v1, v3
	v_sub_nc_u32_e32 v1, v1, v3
	v_add_nc_u32_e32 v2, s19, v1
	v_cmp_ge_i32_e64 s2, s4, v1
	v_sub_nc_u32_e32 v3, 0, v2
	v_max_i32_e32 v3, v2, v3
	v_ashrrev_i32_e32 v2, 31, v2
	s_waitcnt vmcnt(0)
	v_mul_hi_u32 v4, v3, v4
	v_mul_lo_u32 v4, v4, s5
	v_sub_nc_u32_e32 v3, v3, v4
	v_subrev_nc_u32_e32 v4, s5, v3
	v_cmp_le_u32_e64 s1, s5, v3
	v_cndmask_b32_e64 v3, v3, v4, s1
	v_subrev_nc_u32_e32 v4, s5, v3
	v_cmp_le_u32_e64 s1, s5, v3
	v_cndmask_b32_e64 v3, v3, v4, s1
	v_xor_b32_e32 v3, v3, v2
	v_sub_nc_u32_e32 v2, v3, v2
	v_cmp_ne_u32_e64 s1, 0, v2
	s_and_b32 s1, s1, s2
	s_and_saveexec_b32 s2, s1
	s_xor_b32 s1, exec_lo, s2
; %bb.17:                               ;   in Loop: Header=BB230_16 Depth=1
	v_mov_b32_e32 v1, 0xff7fffff
	ds_write_b32 v96, v1
; %bb.18:                               ;   in Loop: Header=BB230_16 Depth=1
	s_andn2_saveexec_b32 s2, s1
	s_cbranch_execz .LBB230_15
; %bb.19:                               ;   in Loop: Header=BB230_16 Depth=1
	global_load_dword v1, v[73:74], off
	s_clause 0x1
	buffer_load_dword v2, off, s[52:55], 0 offset:348
	buffer_load_dword v3, off, s[52:55], 0 offset:352
	s_load_dword s47, s[12:13], 0x0
	s_waitcnt vmcnt(0)
	v_mad_i64_i32 v[89:90], null, v1, s46, v[2:3]
	v_mov_b32_e32 v2, 0
	v_mov_b32_e32 v3, 0
	global_load_dword v1, v[89:90], off
	buffer_store_dword v2, off, s[52:55], 0 offset:8 ; 4-byte Folded Spill
	buffer_store_dword v3, off, s[52:55], 0 offset:12 ; 4-byte Folded Spill
	v_mov_b32_e32 v2, 0
	v_mov_b32_e32 v3, 0
	buffer_store_dword v2, off, s[52:55], 0 ; 4-byte Folded Spill
	buffer_store_dword v3, off, s[52:55], 0 offset:4 ; 4-byte Folded Spill
	s_waitcnt vmcnt(0)
	v_cmp_ne_u16_sdwa s1, v1, v68 src0_sel:BYTE_0 src1_sel:DWORD
	s_and_saveexec_b32 s48, s1
	s_cbranch_execz .LBB230_27
; %bb.20:                               ;   in Loop: Header=BB230_16 Depth=1
	v_bfrev_b32_e32 v2, 1
	v_mov_b32_e32 v3, 0
	v_cmp_ne_u16_sdwa s1, v1, v87 src0_sel:BYTE_0 src1_sel:DWORD
	buffer_store_dword v2, off, s[52:55], 0 ; 4-byte Folded Spill
	buffer_store_dword v3, off, s[52:55], 0 offset:4 ; 4-byte Folded Spill
	s_and_saveexec_b32 s49, s1
	s_cbranch_execz .LBB230_26
; %bb.21:                               ;   in Loop: Header=BB230_16 Depth=1
	v_mov_b32_e32 v4, 0x7f800001
	v_and_b32_e32 v3, 0x7f, v1
	v_mov_b32_e32 v5, 0
	s_mov_b32 s50, exec_lo
	buffer_store_dword v4, off, s[52:55], 0 ; 4-byte Folded Spill
	buffer_store_dword v5, off, s[52:55], 0 offset:4 ; 4-byte Folded Spill
	v_cmpx_ne_u32_e32 0x7f, v3
	s_cbranch_execz .LBB230_25
; %bb.22:                               ;   in Loop: Header=BB230_16 Depth=1
	v_and_b32_e32 v67, 7, v1
	v_lshrrev_b32_e32 v2, 3, v3
	s_mov_b32 s51, exec_lo
	v_cmpx_gt_u32_e32 8, v3
; %bb.23:                               ;   in Loop: Header=BB230_16 Depth=1
	v_ffbh_u32_e32 v2, v67
	v_min_u32_e32 v2, 32, v2
	v_subrev_nc_u32_e32 v3, 28, v2
	v_sub_nc_u32_e32 v2, 29, v2
	v_lshlrev_b64 v[3:4], v3, v[67:68]
	v_and_b32_e32 v67, 7, v3
; %bb.24:                               ;   in Loop: Header=BB230_16 Depth=1
	s_or_b32 exec_lo, exec_lo, s51
	v_lshlrev_b32_e32 v3, 24, v1
	v_lshlrev_b32_e32 v4, 20, v67
	v_lshl_add_u32 v2, v2, 23, 0x3c000000
	v_and_b32_e32 v3, 0x80000000, v3
	v_or3_b32 v67, v4, v3, v2
	buffer_store_dword v67, off, s[52:55], 0 ; 4-byte Folded Spill
	buffer_store_dword v68, off, s[52:55], 0 offset:4 ; 4-byte Folded Spill
.LBB230_25:                             ;   in Loop: Header=BB230_16 Depth=1
	s_or_b32 exec_lo, exec_lo, s50
.LBB230_26:                             ;   in Loop: Header=BB230_16 Depth=1
	s_or_b32 exec_lo, exec_lo, s49
.LBB230_27:                             ;   in Loop: Header=BB230_16 Depth=1
	s_or_b32 exec_lo, exec_lo, s48
	v_cmp_ne_u16_sdwa s1, v1, v68 src0_sel:BYTE_1 src1_sel:DWORD
	s_and_saveexec_b32 s48, s1
	s_cbranch_execz .LBB230_35
; %bb.28:                               ;   in Loop: Header=BB230_16 Depth=1
	v_mov_b32_e32 v83, v68
	v_cmp_ne_u16_sdwa s1, v1, v87 src0_sel:BYTE_1 src1_sel:DWORD
	buffer_store_dword v83, off, s[52:55], 0 offset:8 ; 4-byte Folded Spill
	buffer_store_dword v84, off, s[52:55], 0 offset:12 ; 4-byte Folded Spill
	s_and_saveexec_b32 s49, s1
	s_cbranch_execz .LBB230_34
; %bb.29:                               ;   in Loop: Header=BB230_16 Depth=1
	v_and_b32_sdwa v2, v100, v1 dst_sel:DWORD dst_unused:UNUSED_PAD src0_sel:DWORD src1_sel:BYTE_1
	v_mov_b32_e32 v81, v68
	s_mov_b32 s50, exec_lo
	buffer_store_dword v81, off, s[52:55], 0 offset:8 ; 4-byte Folded Spill
	buffer_store_dword v82, off, s[52:55], 0 offset:12 ; 4-byte Folded Spill
	v_and_b32_e32 v3, 0x7f, v2
	v_cmpx_ne_u32_e32 0x7f, v3
	s_cbranch_execz .LBB230_33
; %bb.30:                               ;   in Loop: Header=BB230_16 Depth=1
	v_and_b32_e32 v67, 7, v2
	v_lshrrev_b32_e32 v2, 3, v3
	s_mov_b32 s51, exec_lo
	v_cmpx_gt_u32_e32 8, v3
; %bb.31:                               ;   in Loop: Header=BB230_16 Depth=1
	v_ffbh_u32_e32 v2, v67
	v_min_u32_e32 v2, 32, v2
	v_subrev_nc_u32_e32 v3, 28, v2
	v_sub_nc_u32_e32 v2, 29, v2
	v_lshlrev_b64 v[3:4], v3, v[67:68]
	v_and_b32_e32 v67, 7, v3
; %bb.32:                               ;   in Loop: Header=BB230_16 Depth=1
	s_or_b32 exec_lo, exec_lo, s51
	v_lshlrev_b32_e32 v3, 16, v1
	v_lshlrev_b32_e32 v4, 20, v67
	v_lshl_add_u32 v2, v2, 23, 0x3c000000
	v_and_b32_e32 v3, 0x80000000, v3
	v_or3_b32 v3, v4, v3, v2
	v_mov_b32_e32 v2, v68
	buffer_store_dword v2, off, s[52:55], 0 offset:8 ; 4-byte Folded Spill
	buffer_store_dword v3, off, s[52:55], 0 offset:12 ; 4-byte Folded Spill
.LBB230_33:                             ;   in Loop: Header=BB230_16 Depth=1
	s_or_b32 exec_lo, exec_lo, s50
.LBB230_34:                             ;   in Loop: Header=BB230_16 Depth=1
	s_or_b32 exec_lo, exec_lo, s49
.LBB230_35:                             ;   in Loop: Header=BB230_16 Depth=1
	s_or_b32 exec_lo, exec_lo, s48
	v_mov_b32_e32 v3, 0
	v_mov_b32_e32 v4, 0
	v_and_b32_sdwa v2, v1, v88 dst_sel:DWORD dst_unused:UNUSED_PAD src0_sel:WORD_1 src1_sel:DWORD
	s_mov_b32 s48, exec_lo
	buffer_store_dword v3, off, s[52:55], 0 offset:24 ; 4-byte Folded Spill
	buffer_store_dword v4, off, s[52:55], 0 offset:28 ; 4-byte Folded Spill
	v_mov_b32_e32 v3, 0
	v_mov_b32_e32 v4, 0
	buffer_store_dword v3, off, s[52:55], 0 offset:16 ; 4-byte Folded Spill
	buffer_store_dword v4, off, s[52:55], 0 offset:20 ; 4-byte Folded Spill
	v_cmpx_ne_u16_e32 0, v2
	s_cbranch_execz .LBB230_43
; %bb.36:                               ;   in Loop: Header=BB230_16 Depth=1
	v_bfrev_b32_e32 v3, 1
	v_mov_b32_e32 v4, 0
	s_mov_b32 s49, exec_lo
	buffer_store_dword v3, off, s[52:55], 0 offset:16 ; 4-byte Folded Spill
	buffer_store_dword v4, off, s[52:55], 0 offset:20 ; 4-byte Folded Spill
	v_cmpx_ne_u16_e32 0x80, v2
	s_cbranch_execz .LBB230_42
; %bb.37:                               ;   in Loop: Header=BB230_16 Depth=1
	v_mov_b32_e32 v4, 0x7f800001
	v_bfe_u32 v3, v1, 16, 7
	v_mov_b32_e32 v5, 0
	s_mov_b32 s50, exec_lo
	buffer_store_dword v4, off, s[52:55], 0 offset:16 ; 4-byte Folded Spill
	buffer_store_dword v5, off, s[52:55], 0 offset:20 ; 4-byte Folded Spill
	v_cmpx_ne_u32_e32 0x7f, v3
	s_cbranch_execz .LBB230_41
; %bb.38:                               ;   in Loop: Header=BB230_16 Depth=1
	v_mov_b32_e32 v2, 7
	s_mov_b32 s51, exec_lo
	v_and_b32_sdwa v67, v1, v2 dst_sel:DWORD dst_unused:UNUSED_PAD src0_sel:WORD_1 src1_sel:DWORD
	v_lshrrev_b32_e32 v2, 3, v3
	v_cmpx_gt_u32_e32 8, v3
; %bb.39:                               ;   in Loop: Header=BB230_16 Depth=1
	v_ffbh_u32_e32 v2, v67
	v_min_u32_e32 v2, 32, v2
	v_subrev_nc_u32_e32 v3, 28, v2
	v_sub_nc_u32_e32 v2, 29, v2
	v_lshlrev_b64 v[3:4], v3, v[67:68]
	v_and_b32_e32 v67, 7, v3
; %bb.40:                               ;   in Loop: Header=BB230_16 Depth=1
	s_or_b32 exec_lo, exec_lo, s51
	v_mov_b32_e32 v3, 24
	v_lshlrev_b32_e32 v4, 20, v67
	v_lshl_add_u32 v2, v2, 23, 0x3c000000
	v_lshlrev_b32_sdwa v3, v3, v1 dst_sel:DWORD dst_unused:UNUSED_PAD src0_sel:DWORD src1_sel:WORD_1
	v_and_b32_e32 v3, 0x80000000, v3
	v_or3_b32 v67, v4, v3, v2
	buffer_store_dword v67, off, s[52:55], 0 offset:16 ; 4-byte Folded Spill
	buffer_store_dword v68, off, s[52:55], 0 offset:20 ; 4-byte Folded Spill
.LBB230_41:                             ;   in Loop: Header=BB230_16 Depth=1
	s_or_b32 exec_lo, exec_lo, s50
.LBB230_42:                             ;   in Loop: Header=BB230_16 Depth=1
	s_or_b32 exec_lo, exec_lo, s49
.LBB230_43:                             ;   in Loop: Header=BB230_16 Depth=1
	s_or_b32 exec_lo, exec_lo, s48
	s_mov_b32 s48, exec_lo
	v_cmpx_lt_u32_e32 0xffffff, v1
	s_cbranch_execz .LBB230_51
; %bb.44:                               ;   in Loop: Header=BB230_16 Depth=1
	v_mov_b32_e32 v83, v68
	v_cmp_ne_u32_sdwa s1, v1, v87 src0_sel:BYTE_3 src1_sel:DWORD
	buffer_store_dword v83, off, s[52:55], 0 offset:24 ; 4-byte Folded Spill
	buffer_store_dword v84, off, s[52:55], 0 offset:28 ; 4-byte Folded Spill
	s_and_saveexec_b32 s49, s1
	s_cbranch_execz .LBB230_50
; %bb.45:                               ;   in Loop: Header=BB230_16 Depth=1
	v_bfe_u32 v3, v1, 24, 7
	v_mov_b32_e32 v81, v68
	s_mov_b32 s50, exec_lo
	buffer_store_dword v81, off, s[52:55], 0 offset:24 ; 4-byte Folded Spill
	buffer_store_dword v82, off, s[52:55], 0 offset:28 ; 4-byte Folded Spill
	v_cmpx_ne_u32_e32 0x7f, v3
	s_cbranch_execz .LBB230_49
; %bb.46:                               ;   in Loop: Header=BB230_16 Depth=1
	v_mov_b32_e32 v2, 7
	s_mov_b32 s51, exec_lo
	v_and_b32_sdwa v67, v1, v2 dst_sel:DWORD dst_unused:UNUSED_PAD src0_sel:BYTE_3 src1_sel:DWORD
	v_lshrrev_b32_e32 v2, 3, v3
	v_cmpx_gt_u32_e32 8, v3
; %bb.47:                               ;   in Loop: Header=BB230_16 Depth=1
	v_ffbh_u32_e32 v2, v67
	v_min_u32_e32 v2, 32, v2
	v_subrev_nc_u32_e32 v3, 28, v2
	v_sub_nc_u32_e32 v2, 29, v2
	v_lshlrev_b64 v[3:4], v3, v[67:68]
	v_and_b32_e32 v67, 7, v3
; %bb.48:                               ;   in Loop: Header=BB230_16 Depth=1
	s_or_b32 exec_lo, exec_lo, s51
	v_mov_b32_e32 v3, 24
	v_lshl_add_u32 v2, v2, 23, 0x3c000000
	v_lshlrev_b32_sdwa v1, v3, v1 dst_sel:DWORD dst_unused:UNUSED_PAD src0_sel:DWORD src1_sel:BYTE_3
	v_lshlrev_b32_e32 v3, 20, v67
	v_and_b32_e32 v1, 0x80000000, v1
	v_or3_b32 v2, v3, v1, v2
	v_mov_b32_e32 v1, v68
	buffer_store_dword v1, off, s[52:55], 0 offset:24 ; 4-byte Folded Spill
	buffer_store_dword v2, off, s[52:55], 0 offset:28 ; 4-byte Folded Spill
.LBB230_49:                             ;   in Loop: Header=BB230_16 Depth=1
	s_or_b32 exec_lo, exec_lo, s50
.LBB230_50:                             ;   in Loop: Header=BB230_16 Depth=1
	s_or_b32 exec_lo, exec_lo, s49
.LBB230_51:                             ;   in Loop: Header=BB230_16 Depth=1
	s_or_b32 exec_lo, exec_lo, s48
	global_load_dword v1, v[89:90], off offset:4
	v_mov_b32_e32 v2, 0
	v_mov_b32_e32 v3, 0
	buffer_store_dword v2, off, s[52:55], 0 offset:40 ; 4-byte Folded Spill
	buffer_store_dword v3, off, s[52:55], 0 offset:44 ; 4-byte Folded Spill
	v_mov_b32_e32 v2, 0
	v_mov_b32_e32 v3, 0
	buffer_store_dword v2, off, s[52:55], 0 offset:32 ; 4-byte Folded Spill
	buffer_store_dword v3, off, s[52:55], 0 offset:36 ; 4-byte Folded Spill
	s_waitcnt vmcnt(0)
	v_cmp_ne_u16_sdwa s1, v1, v68 src0_sel:BYTE_0 src1_sel:DWORD
	s_and_saveexec_b32 s48, s1
	s_cbranch_execz .LBB230_59
; %bb.52:                               ;   in Loop: Header=BB230_16 Depth=1
	v_bfrev_b32_e32 v2, 1
	v_mov_b32_e32 v3, 0
	v_cmp_ne_u16_sdwa s1, v1, v87 src0_sel:BYTE_0 src1_sel:DWORD
	buffer_store_dword v2, off, s[52:55], 0 offset:32 ; 4-byte Folded Spill
	buffer_store_dword v3, off, s[52:55], 0 offset:36 ; 4-byte Folded Spill
	s_and_saveexec_b32 s49, s1
	s_cbranch_execz .LBB230_58
; %bb.53:                               ;   in Loop: Header=BB230_16 Depth=1
	v_mov_b32_e32 v4, 0x7f800001
	v_and_b32_e32 v3, 0x7f, v1
	v_mov_b32_e32 v5, 0
	s_mov_b32 s50, exec_lo
	buffer_store_dword v4, off, s[52:55], 0 offset:32 ; 4-byte Folded Spill
	buffer_store_dword v5, off, s[52:55], 0 offset:36 ; 4-byte Folded Spill
	v_cmpx_ne_u32_e32 0x7f, v3
	s_cbranch_execz .LBB230_57
; %bb.54:                               ;   in Loop: Header=BB230_16 Depth=1
	v_and_b32_e32 v67, 7, v1
	v_lshrrev_b32_e32 v2, 3, v3
	s_mov_b32 s51, exec_lo
	v_cmpx_gt_u32_e32 8, v3
; %bb.55:                               ;   in Loop: Header=BB230_16 Depth=1
	v_ffbh_u32_e32 v2, v67
	v_min_u32_e32 v2, 32, v2
	v_subrev_nc_u32_e32 v3, 28, v2
	v_sub_nc_u32_e32 v2, 29, v2
	v_lshlrev_b64 v[3:4], v3, v[67:68]
	v_and_b32_e32 v67, 7, v3
; %bb.56:                               ;   in Loop: Header=BB230_16 Depth=1
	s_or_b32 exec_lo, exec_lo, s51
	v_lshlrev_b32_e32 v3, 24, v1
	v_lshlrev_b32_e32 v4, 20, v67
	v_lshl_add_u32 v2, v2, 23, 0x3c000000
	v_and_b32_e32 v3, 0x80000000, v3
	v_or3_b32 v67, v4, v3, v2
	buffer_store_dword v67, off, s[52:55], 0 offset:32 ; 4-byte Folded Spill
	buffer_store_dword v68, off, s[52:55], 0 offset:36 ; 4-byte Folded Spill
.LBB230_57:                             ;   in Loop: Header=BB230_16 Depth=1
	s_or_b32 exec_lo, exec_lo, s50
.LBB230_58:                             ;   in Loop: Header=BB230_16 Depth=1
	s_or_b32 exec_lo, exec_lo, s49
.LBB230_59:                             ;   in Loop: Header=BB230_16 Depth=1
	s_or_b32 exec_lo, exec_lo, s48
	v_cmp_ne_u16_sdwa s1, v1, v68 src0_sel:BYTE_1 src1_sel:DWORD
	s_and_saveexec_b32 s48, s1
	s_cbranch_execz .LBB230_67
; %bb.60:                               ;   in Loop: Header=BB230_16 Depth=1
	v_mov_b32_e32 v83, v68
	v_cmp_ne_u16_sdwa s1, v1, v87 src0_sel:BYTE_1 src1_sel:DWORD
	buffer_store_dword v83, off, s[52:55], 0 offset:40 ; 4-byte Folded Spill
	buffer_store_dword v84, off, s[52:55], 0 offset:44 ; 4-byte Folded Spill
	s_and_saveexec_b32 s49, s1
	s_cbranch_execz .LBB230_66
; %bb.61:                               ;   in Loop: Header=BB230_16 Depth=1
	v_and_b32_sdwa v2, v100, v1 dst_sel:DWORD dst_unused:UNUSED_PAD src0_sel:DWORD src1_sel:BYTE_1
	v_mov_b32_e32 v81, v68
	s_mov_b32 s50, exec_lo
	buffer_store_dword v81, off, s[52:55], 0 offset:40 ; 4-byte Folded Spill
	buffer_store_dword v82, off, s[52:55], 0 offset:44 ; 4-byte Folded Spill
	v_and_b32_e32 v3, 0x7f, v2
	v_cmpx_ne_u32_e32 0x7f, v3
	s_cbranch_execz .LBB230_65
; %bb.62:                               ;   in Loop: Header=BB230_16 Depth=1
	v_and_b32_e32 v67, 7, v2
	v_lshrrev_b32_e32 v2, 3, v3
	s_mov_b32 s51, exec_lo
	v_cmpx_gt_u32_e32 8, v3
; %bb.63:                               ;   in Loop: Header=BB230_16 Depth=1
	v_ffbh_u32_e32 v2, v67
	v_min_u32_e32 v2, 32, v2
	v_subrev_nc_u32_e32 v3, 28, v2
	v_sub_nc_u32_e32 v2, 29, v2
	v_lshlrev_b64 v[3:4], v3, v[67:68]
	v_and_b32_e32 v67, 7, v3
; %bb.64:                               ;   in Loop: Header=BB230_16 Depth=1
	s_or_b32 exec_lo, exec_lo, s51
	v_lshlrev_b32_e32 v3, 16, v1
	v_lshlrev_b32_e32 v4, 20, v67
	v_lshl_add_u32 v2, v2, 23, 0x3c000000
	v_and_b32_e32 v3, 0x80000000, v3
	v_or3_b32 v3, v4, v3, v2
	v_mov_b32_e32 v2, v68
	buffer_store_dword v2, off, s[52:55], 0 offset:40 ; 4-byte Folded Spill
	buffer_store_dword v3, off, s[52:55], 0 offset:44 ; 4-byte Folded Spill
.LBB230_65:                             ;   in Loop: Header=BB230_16 Depth=1
	s_or_b32 exec_lo, exec_lo, s50
.LBB230_66:                             ;   in Loop: Header=BB230_16 Depth=1
	s_or_b32 exec_lo, exec_lo, s49
.LBB230_67:                             ;   in Loop: Header=BB230_16 Depth=1
	s_or_b32 exec_lo, exec_lo, s48
	v_mov_b32_e32 v3, 0
	v_mov_b32_e32 v4, 0
	v_and_b32_sdwa v2, v1, v88 dst_sel:DWORD dst_unused:UNUSED_PAD src0_sel:WORD_1 src1_sel:DWORD
	s_mov_b32 s48, exec_lo
	buffer_store_dword v3, off, s[52:55], 0 offset:56 ; 4-byte Folded Spill
	buffer_store_dword v4, off, s[52:55], 0 offset:60 ; 4-byte Folded Spill
	v_mov_b32_e32 v3, 0
	v_mov_b32_e32 v4, 0
	buffer_store_dword v3, off, s[52:55], 0 offset:48 ; 4-byte Folded Spill
	buffer_store_dword v4, off, s[52:55], 0 offset:52 ; 4-byte Folded Spill
	v_cmpx_ne_u16_e32 0, v2
	s_cbranch_execz .LBB230_75
; %bb.68:                               ;   in Loop: Header=BB230_16 Depth=1
	v_bfrev_b32_e32 v3, 1
	v_mov_b32_e32 v4, 0
	s_mov_b32 s49, exec_lo
	buffer_store_dword v3, off, s[52:55], 0 offset:48 ; 4-byte Folded Spill
	buffer_store_dword v4, off, s[52:55], 0 offset:52 ; 4-byte Folded Spill
	v_cmpx_ne_u16_e32 0x80, v2
	s_cbranch_execz .LBB230_74
; %bb.69:                               ;   in Loop: Header=BB230_16 Depth=1
	v_mov_b32_e32 v4, 0x7f800001
	v_bfe_u32 v3, v1, 16, 7
	v_mov_b32_e32 v5, 0
	s_mov_b32 s50, exec_lo
	buffer_store_dword v4, off, s[52:55], 0 offset:48 ; 4-byte Folded Spill
	buffer_store_dword v5, off, s[52:55], 0 offset:52 ; 4-byte Folded Spill
	v_cmpx_ne_u32_e32 0x7f, v3
	s_cbranch_execz .LBB230_73
; %bb.70:                               ;   in Loop: Header=BB230_16 Depth=1
	v_mov_b32_e32 v2, 7
	s_mov_b32 s51, exec_lo
	v_and_b32_sdwa v67, v1, v2 dst_sel:DWORD dst_unused:UNUSED_PAD src0_sel:WORD_1 src1_sel:DWORD
	v_lshrrev_b32_e32 v2, 3, v3
	v_cmpx_gt_u32_e32 8, v3
; %bb.71:                               ;   in Loop: Header=BB230_16 Depth=1
	v_ffbh_u32_e32 v2, v67
	v_min_u32_e32 v2, 32, v2
	v_subrev_nc_u32_e32 v3, 28, v2
	v_sub_nc_u32_e32 v2, 29, v2
	v_lshlrev_b64 v[3:4], v3, v[67:68]
	v_and_b32_e32 v67, 7, v3
; %bb.72:                               ;   in Loop: Header=BB230_16 Depth=1
	s_or_b32 exec_lo, exec_lo, s51
	v_mov_b32_e32 v3, 24
	v_lshlrev_b32_e32 v4, 20, v67
	v_lshl_add_u32 v2, v2, 23, 0x3c000000
	v_lshlrev_b32_sdwa v3, v3, v1 dst_sel:DWORD dst_unused:UNUSED_PAD src0_sel:DWORD src1_sel:WORD_1
	v_and_b32_e32 v3, 0x80000000, v3
	v_or3_b32 v67, v4, v3, v2
	buffer_store_dword v67, off, s[52:55], 0 offset:48 ; 4-byte Folded Spill
	buffer_store_dword v68, off, s[52:55], 0 offset:52 ; 4-byte Folded Spill
.LBB230_73:                             ;   in Loop: Header=BB230_16 Depth=1
	s_or_b32 exec_lo, exec_lo, s50
.LBB230_74:                             ;   in Loop: Header=BB230_16 Depth=1
	s_or_b32 exec_lo, exec_lo, s49
.LBB230_75:                             ;   in Loop: Header=BB230_16 Depth=1
	s_or_b32 exec_lo, exec_lo, s48
	s_mov_b32 s48, exec_lo
	v_cmpx_lt_u32_e32 0xffffff, v1
	s_cbranch_execz .LBB230_83
; %bb.76:                               ;   in Loop: Header=BB230_16 Depth=1
	v_mov_b32_e32 v83, v68
	v_cmp_ne_u32_sdwa s1, v1, v87 src0_sel:BYTE_3 src1_sel:DWORD
	buffer_store_dword v83, off, s[52:55], 0 offset:56 ; 4-byte Folded Spill
	buffer_store_dword v84, off, s[52:55], 0 offset:60 ; 4-byte Folded Spill
	s_and_saveexec_b32 s49, s1
	s_cbranch_execz .LBB230_82
; %bb.77:                               ;   in Loop: Header=BB230_16 Depth=1
	v_bfe_u32 v3, v1, 24, 7
	v_mov_b32_e32 v81, v68
	s_mov_b32 s50, exec_lo
	buffer_store_dword v81, off, s[52:55], 0 offset:56 ; 4-byte Folded Spill
	buffer_store_dword v82, off, s[52:55], 0 offset:60 ; 4-byte Folded Spill
	v_cmpx_ne_u32_e32 0x7f, v3
	s_cbranch_execz .LBB230_81
; %bb.78:                               ;   in Loop: Header=BB230_16 Depth=1
	v_mov_b32_e32 v2, 7
	s_mov_b32 s51, exec_lo
	v_and_b32_sdwa v67, v1, v2 dst_sel:DWORD dst_unused:UNUSED_PAD src0_sel:BYTE_3 src1_sel:DWORD
	v_lshrrev_b32_e32 v2, 3, v3
	v_cmpx_gt_u32_e32 8, v3
; %bb.79:                               ;   in Loop: Header=BB230_16 Depth=1
	v_ffbh_u32_e32 v2, v67
	v_min_u32_e32 v2, 32, v2
	v_subrev_nc_u32_e32 v3, 28, v2
	v_sub_nc_u32_e32 v2, 29, v2
	v_lshlrev_b64 v[3:4], v3, v[67:68]
	v_and_b32_e32 v67, 7, v3
; %bb.80:                               ;   in Loop: Header=BB230_16 Depth=1
	s_or_b32 exec_lo, exec_lo, s51
	v_mov_b32_e32 v3, 24
	v_lshl_add_u32 v2, v2, 23, 0x3c000000
	v_lshlrev_b32_sdwa v1, v3, v1 dst_sel:DWORD dst_unused:UNUSED_PAD src0_sel:DWORD src1_sel:BYTE_3
	v_lshlrev_b32_e32 v3, 20, v67
	v_and_b32_e32 v1, 0x80000000, v1
	v_or3_b32 v2, v3, v1, v2
	v_mov_b32_e32 v1, v68
	buffer_store_dword v1, off, s[52:55], 0 offset:56 ; 4-byte Folded Spill
	buffer_store_dword v2, off, s[52:55], 0 offset:60 ; 4-byte Folded Spill
.LBB230_81:                             ;   in Loop: Header=BB230_16 Depth=1
	s_or_b32 exec_lo, exec_lo, s50
.LBB230_82:                             ;   in Loop: Header=BB230_16 Depth=1
	s_or_b32 exec_lo, exec_lo, s49
.LBB230_83:                             ;   in Loop: Header=BB230_16 Depth=1
	s_or_b32 exec_lo, exec_lo, s48
	global_load_dword v1, v[89:90], off offset:8
	v_mov_b32_e32 v97, 0
	v_mov_b32_e32 v2, 0
	;; [unrolled: 1-line block ×4, first 2 shown]
	buffer_store_dword v2, off, s[52:55], 0 offset:64 ; 4-byte Folded Spill
	buffer_store_dword v3, off, s[52:55], 0 offset:68 ; 4-byte Folded Spill
	s_waitcnt vmcnt(0)
	v_cmp_ne_u16_sdwa s1, v1, v68 src0_sel:BYTE_0 src1_sel:DWORD
	s_and_saveexec_b32 s48, s1
	s_cbranch_execz .LBB230_91
; %bb.84:                               ;   in Loop: Header=BB230_16 Depth=1
	v_bfrev_b32_e32 v2, 1
	v_mov_b32_e32 v3, 0
	v_cmp_ne_u16_sdwa s1, v1, v87 src0_sel:BYTE_0 src1_sel:DWORD
	buffer_store_dword v2, off, s[52:55], 0 offset:64 ; 4-byte Folded Spill
	buffer_store_dword v3, off, s[52:55], 0 offset:68 ; 4-byte Folded Spill
	s_and_saveexec_b32 s49, s1
	s_cbranch_execz .LBB230_90
; %bb.85:                               ;   in Loop: Header=BB230_16 Depth=1
	v_mov_b32_e32 v4, 0x7f800001
	v_and_b32_e32 v3, 0x7f, v1
	v_mov_b32_e32 v5, 0
	s_mov_b32 s50, exec_lo
	buffer_store_dword v4, off, s[52:55], 0 offset:64 ; 4-byte Folded Spill
	buffer_store_dword v5, off, s[52:55], 0 offset:68 ; 4-byte Folded Spill
	v_cmpx_ne_u32_e32 0x7f, v3
	s_cbranch_execz .LBB230_89
; %bb.86:                               ;   in Loop: Header=BB230_16 Depth=1
	v_and_b32_e32 v67, 7, v1
	v_lshrrev_b32_e32 v2, 3, v3
	s_mov_b32 s51, exec_lo
	v_cmpx_gt_u32_e32 8, v3
; %bb.87:                               ;   in Loop: Header=BB230_16 Depth=1
	v_ffbh_u32_e32 v2, v67
	v_min_u32_e32 v2, 32, v2
	v_subrev_nc_u32_e32 v3, 28, v2
	v_sub_nc_u32_e32 v2, 29, v2
	v_lshlrev_b64 v[3:4], v3, v[67:68]
	v_and_b32_e32 v67, 7, v3
; %bb.88:                               ;   in Loop: Header=BB230_16 Depth=1
	s_or_b32 exec_lo, exec_lo, s51
	v_lshlrev_b32_e32 v3, 24, v1
	v_lshlrev_b32_e32 v4, 20, v67
	v_lshl_add_u32 v2, v2, 23, 0x3c000000
	v_and_b32_e32 v3, 0x80000000, v3
	v_or3_b32 v67, v4, v3, v2
	buffer_store_dword v67, off, s[52:55], 0 offset:64 ; 4-byte Folded Spill
	buffer_store_dword v68, off, s[52:55], 0 offset:68 ; 4-byte Folded Spill
.LBB230_89:                             ;   in Loop: Header=BB230_16 Depth=1
	s_or_b32 exec_lo, exec_lo, s50
.LBB230_90:                             ;   in Loop: Header=BB230_16 Depth=1
	s_or_b32 exec_lo, exec_lo, s49
.LBB230_91:                             ;   in Loop: Header=BB230_16 Depth=1
	s_or_b32 exec_lo, exec_lo, s48
	v_cmp_ne_u16_sdwa s1, v1, v68 src0_sel:BYTE_1 src1_sel:DWORD
	s_and_saveexec_b32 s48, s1
	s_cbranch_execz .LBB230_99
; %bb.92:                               ;   in Loop: Header=BB230_16 Depth=1
	v_mov_b32_e32 v83, v68
	v_mov_b32_e32 v98, v84
	v_cmp_ne_u16_sdwa s1, v1, v87 src0_sel:BYTE_1 src1_sel:DWORD
	v_mov_b32_e32 v97, v83
	s_and_saveexec_b32 s49, s1
	s_cbranch_execz .LBB230_98
; %bb.93:                               ;   in Loop: Header=BB230_16 Depth=1
	v_and_b32_sdwa v2, v100, v1 dst_sel:DWORD dst_unused:UNUSED_PAD src0_sel:DWORD src1_sel:BYTE_1
	v_mov_b32_e32 v81, v68
	v_mov_b32_e32 v98, v82
	s_mov_b32 s50, exec_lo
	v_and_b32_e32 v3, 0x7f, v2
	v_mov_b32_e32 v97, v81
	v_cmpx_ne_u32_e32 0x7f, v3
	s_cbranch_execz .LBB230_97
; %bb.94:                               ;   in Loop: Header=BB230_16 Depth=1
	v_and_b32_e32 v67, 7, v2
	v_lshrrev_b32_e32 v2, 3, v3
	s_mov_b32 s51, exec_lo
	v_cmpx_gt_u32_e32 8, v3
; %bb.95:                               ;   in Loop: Header=BB230_16 Depth=1
	v_ffbh_u32_e32 v2, v67
	v_min_u32_e32 v2, 32, v2
	v_subrev_nc_u32_e32 v3, 28, v2
	v_sub_nc_u32_e32 v2, 29, v2
	v_lshlrev_b64 v[3:4], v3, v[67:68]
	v_and_b32_e32 v67, 7, v3
; %bb.96:                               ;   in Loop: Header=BB230_16 Depth=1
	s_or_b32 exec_lo, exec_lo, s51
	v_lshlrev_b32_e32 v3, 16, v1
	v_lshlrev_b32_e32 v4, 20, v67
	v_lshl_add_u32 v2, v2, 23, 0x3c000000
	v_mov_b32_e32 v97, v68
	v_and_b32_e32 v3, 0x80000000, v3
	v_or3_b32 v98, v4, v3, v2
.LBB230_97:                             ;   in Loop: Header=BB230_16 Depth=1
	s_or_b32 exec_lo, exec_lo, s50
.LBB230_98:                             ;   in Loop: Header=BB230_16 Depth=1
	s_or_b32 exec_lo, exec_lo, s49
.LBB230_99:                             ;   in Loop: Header=BB230_16 Depth=1
	s_or_b32 exec_lo, exec_lo, s48
	v_mov_b32_e32 v101, 0
	v_mov_b32_e32 v3, 0
	v_and_b32_sdwa v2, v1, v88 dst_sel:DWORD dst_unused:UNUSED_PAD src0_sel:WORD_1 src1_sel:DWORD
	v_mov_b32_e32 v102, 0
	v_mov_b32_e32 v4, 0
	s_mov_b32 s48, exec_lo
	buffer_store_dword v3, off, s[52:55], 0 offset:72 ; 4-byte Folded Spill
	buffer_store_dword v4, off, s[52:55], 0 offset:76 ; 4-byte Folded Spill
	v_cmpx_ne_u16_e32 0, v2
	s_cbranch_execz .LBB230_107
; %bb.100:                              ;   in Loop: Header=BB230_16 Depth=1
	v_bfrev_b32_e32 v3, 1
	v_mov_b32_e32 v4, 0
	s_mov_b32 s49, exec_lo
	buffer_store_dword v3, off, s[52:55], 0 offset:72 ; 4-byte Folded Spill
	buffer_store_dword v4, off, s[52:55], 0 offset:76 ; 4-byte Folded Spill
	v_cmpx_ne_u16_e32 0x80, v2
	s_cbranch_execz .LBB230_106
; %bb.101:                              ;   in Loop: Header=BB230_16 Depth=1
	v_mov_b32_e32 v4, 0x7f800001
	v_bfe_u32 v3, v1, 16, 7
	v_mov_b32_e32 v5, 0
	s_mov_b32 s50, exec_lo
	buffer_store_dword v4, off, s[52:55], 0 offset:72 ; 4-byte Folded Spill
	buffer_store_dword v5, off, s[52:55], 0 offset:76 ; 4-byte Folded Spill
	v_cmpx_ne_u32_e32 0x7f, v3
	s_cbranch_execz .LBB230_105
; %bb.102:                              ;   in Loop: Header=BB230_16 Depth=1
	v_mov_b32_e32 v2, 7
	s_mov_b32 s51, exec_lo
	v_and_b32_sdwa v67, v1, v2 dst_sel:DWORD dst_unused:UNUSED_PAD src0_sel:WORD_1 src1_sel:DWORD
	v_lshrrev_b32_e32 v2, 3, v3
	v_cmpx_gt_u32_e32 8, v3
; %bb.103:                              ;   in Loop: Header=BB230_16 Depth=1
	v_ffbh_u32_e32 v2, v67
	v_min_u32_e32 v2, 32, v2
	v_subrev_nc_u32_e32 v3, 28, v2
	v_sub_nc_u32_e32 v2, 29, v2
	v_lshlrev_b64 v[3:4], v3, v[67:68]
	v_and_b32_e32 v67, 7, v3
; %bb.104:                              ;   in Loop: Header=BB230_16 Depth=1
	s_or_b32 exec_lo, exec_lo, s51
	v_mov_b32_e32 v3, 24
	v_lshlrev_b32_e32 v4, 20, v67
	v_lshl_add_u32 v2, v2, 23, 0x3c000000
	v_lshlrev_b32_sdwa v3, v3, v1 dst_sel:DWORD dst_unused:UNUSED_PAD src0_sel:DWORD src1_sel:WORD_1
	v_and_b32_e32 v3, 0x80000000, v3
	v_or3_b32 v67, v4, v3, v2
	buffer_store_dword v67, off, s[52:55], 0 offset:72 ; 4-byte Folded Spill
	buffer_store_dword v68, off, s[52:55], 0 offset:76 ; 4-byte Folded Spill
.LBB230_105:                            ;   in Loop: Header=BB230_16 Depth=1
	s_or_b32 exec_lo, exec_lo, s50
.LBB230_106:                            ;   in Loop: Header=BB230_16 Depth=1
	s_or_b32 exec_lo, exec_lo, s49
.LBB230_107:                            ;   in Loop: Header=BB230_16 Depth=1
	s_or_b32 exec_lo, exec_lo, s48
	s_mov_b32 s48, exec_lo
	v_cmpx_lt_u32_e32 0xffffff, v1
	s_cbranch_execz .LBB230_115
; %bb.108:                              ;   in Loop: Header=BB230_16 Depth=1
	v_mov_b32_e32 v83, v68
	v_mov_b32_e32 v102, v84
	v_cmp_ne_u32_sdwa s1, v1, v87 src0_sel:BYTE_3 src1_sel:DWORD
	v_mov_b32_e32 v101, v83
	s_and_saveexec_b32 s49, s1
	s_cbranch_execz .LBB230_114
; %bb.109:                              ;   in Loop: Header=BB230_16 Depth=1
	v_mov_b32_e32 v81, v68
	v_mov_b32_e32 v102, v82
	v_bfe_u32 v3, v1, 24, 7
	s_mov_b32 s50, exec_lo
	v_mov_b32_e32 v101, v81
	v_cmpx_ne_u32_e32 0x7f, v3
	s_cbranch_execz .LBB230_113
; %bb.110:                              ;   in Loop: Header=BB230_16 Depth=1
	v_mov_b32_e32 v2, 7
	s_mov_b32 s51, exec_lo
	v_and_b32_sdwa v67, v1, v2 dst_sel:DWORD dst_unused:UNUSED_PAD src0_sel:BYTE_3 src1_sel:DWORD
	v_lshrrev_b32_e32 v2, 3, v3
	v_cmpx_gt_u32_e32 8, v3
; %bb.111:                              ;   in Loop: Header=BB230_16 Depth=1
	v_ffbh_u32_e32 v2, v67
	v_min_u32_e32 v2, 32, v2
	v_subrev_nc_u32_e32 v3, 28, v2
	v_sub_nc_u32_e32 v2, 29, v2
	v_lshlrev_b64 v[3:4], v3, v[67:68]
	v_and_b32_e32 v67, 7, v3
; %bb.112:                              ;   in Loop: Header=BB230_16 Depth=1
	s_or_b32 exec_lo, exec_lo, s51
	v_mov_b32_e32 v3, 24
	v_lshl_add_u32 v2, v2, 23, 0x3c000000
	v_mov_b32_e32 v101, v68
	v_lshlrev_b32_sdwa v1, v3, v1 dst_sel:DWORD dst_unused:UNUSED_PAD src0_sel:DWORD src1_sel:BYTE_3
	v_lshlrev_b32_e32 v3, 20, v67
	v_and_b32_e32 v1, 0x80000000, v1
	v_or3_b32 v102, v3, v1, v2
.LBB230_113:                            ;   in Loop: Header=BB230_16 Depth=1
	s_or_b32 exec_lo, exec_lo, s50
.LBB230_114:                            ;   in Loop: Header=BB230_16 Depth=1
	s_or_b32 exec_lo, exec_lo, s49
.LBB230_115:                            ;   in Loop: Header=BB230_16 Depth=1
	s_or_b32 exec_lo, exec_lo, s48
	global_load_dword v1, v[89:90], off offset:12
	v_mov_b32_e32 v105, 0
	v_mov_b32_e32 v103, 0
	;; [unrolled: 1-line block ×4, first 2 shown]
	s_waitcnt vmcnt(0)
	v_cmp_ne_u16_sdwa s1, v1, v68 src0_sel:BYTE_0 src1_sel:DWORD
	s_and_saveexec_b32 s48, s1
	s_cbranch_execz .LBB230_123
; %bb.116:                              ;   in Loop: Header=BB230_16 Depth=1
	v_bfrev_b32_e32 v103, 1
	v_mov_b32_e32 v104, 0
	v_cmp_ne_u16_sdwa s1, v1, v87 src0_sel:BYTE_0 src1_sel:DWORD
	s_and_saveexec_b32 s49, s1
	s_cbranch_execz .LBB230_122
; %bb.117:                              ;   in Loop: Header=BB230_16 Depth=1
	v_mov_b32_e32 v103, 0x7f800001
	v_and_b32_e32 v3, 0x7f, v1
	v_mov_b32_e32 v104, 0
	s_mov_b32 s50, exec_lo
	v_cmpx_ne_u32_e32 0x7f, v3
	s_cbranch_execz .LBB230_121
; %bb.118:                              ;   in Loop: Header=BB230_16 Depth=1
	v_and_b32_e32 v67, 7, v1
	v_lshrrev_b32_e32 v2, 3, v3
	s_mov_b32 s51, exec_lo
	v_cmpx_gt_u32_e32 8, v3
; %bb.119:                              ;   in Loop: Header=BB230_16 Depth=1
	v_ffbh_u32_e32 v2, v67
	v_min_u32_e32 v2, 32, v2
	v_subrev_nc_u32_e32 v3, 28, v2
	v_sub_nc_u32_e32 v2, 29, v2
	v_lshlrev_b64 v[3:4], v3, v[67:68]
	v_and_b32_e32 v67, 7, v3
; %bb.120:                              ;   in Loop: Header=BB230_16 Depth=1
	s_or_b32 exec_lo, exec_lo, s51
	v_lshlrev_b32_e32 v3, 24, v1
	v_lshlrev_b32_e32 v4, 20, v67
	v_lshl_add_u32 v2, v2, 23, 0x3c000000
	v_and_b32_e32 v3, 0x80000000, v3
	v_or3_b32 v67, v4, v3, v2
	v_mov_b32_e32 v104, v68
	v_mov_b32_e32 v103, v67
.LBB230_121:                            ;   in Loop: Header=BB230_16 Depth=1
	s_or_b32 exec_lo, exec_lo, s50
.LBB230_122:                            ;   in Loop: Header=BB230_16 Depth=1
	s_or_b32 exec_lo, exec_lo, s49
.LBB230_123:                            ;   in Loop: Header=BB230_16 Depth=1
	s_or_b32 exec_lo, exec_lo, s48
	v_cmp_ne_u16_sdwa s1, v1, v68 src0_sel:BYTE_1 src1_sel:DWORD
	s_and_saveexec_b32 s48, s1
	s_cbranch_execz .LBB230_131
; %bb.124:                              ;   in Loop: Header=BB230_16 Depth=1
	v_mov_b32_e32 v83, v68
	v_mov_b32_e32 v106, v84
	v_cmp_ne_u16_sdwa s1, v1, v87 src0_sel:BYTE_1 src1_sel:DWORD
	v_mov_b32_e32 v105, v83
	s_and_saveexec_b32 s49, s1
	s_cbranch_execz .LBB230_130
; %bb.125:                              ;   in Loop: Header=BB230_16 Depth=1
	v_and_b32_sdwa v2, v100, v1 dst_sel:DWORD dst_unused:UNUSED_PAD src0_sel:DWORD src1_sel:BYTE_1
	v_mov_b32_e32 v81, v68
	v_mov_b32_e32 v106, v82
	s_mov_b32 s50, exec_lo
	v_and_b32_e32 v3, 0x7f, v2
	v_mov_b32_e32 v105, v81
	v_cmpx_ne_u32_e32 0x7f, v3
	s_cbranch_execz .LBB230_129
; %bb.126:                              ;   in Loop: Header=BB230_16 Depth=1
	v_and_b32_e32 v67, 7, v2
	v_lshrrev_b32_e32 v2, 3, v3
	s_mov_b32 s51, exec_lo
	v_cmpx_gt_u32_e32 8, v3
; %bb.127:                              ;   in Loop: Header=BB230_16 Depth=1
	v_ffbh_u32_e32 v2, v67
	v_min_u32_e32 v2, 32, v2
	v_subrev_nc_u32_e32 v3, 28, v2
	v_sub_nc_u32_e32 v2, 29, v2
	v_lshlrev_b64 v[3:4], v3, v[67:68]
	v_and_b32_e32 v67, 7, v3
; %bb.128:                              ;   in Loop: Header=BB230_16 Depth=1
	s_or_b32 exec_lo, exec_lo, s51
	v_lshlrev_b32_e32 v3, 16, v1
	v_lshlrev_b32_e32 v4, 20, v67
	v_lshl_add_u32 v2, v2, 23, 0x3c000000
	v_mov_b32_e32 v105, v68
	v_and_b32_e32 v3, 0x80000000, v3
	v_or3_b32 v106, v4, v3, v2
.LBB230_129:                            ;   in Loop: Header=BB230_16 Depth=1
	s_or_b32 exec_lo, exec_lo, s50
.LBB230_130:                            ;   in Loop: Header=BB230_16 Depth=1
	s_or_b32 exec_lo, exec_lo, s49
.LBB230_131:                            ;   in Loop: Header=BB230_16 Depth=1
	s_or_b32 exec_lo, exec_lo, s48
	v_mov_b32_e32 v109, 0
	v_mov_b32_e32 v107, 0
	v_and_b32_sdwa v2, v1, v88 dst_sel:DWORD dst_unused:UNUSED_PAD src0_sel:WORD_1 src1_sel:DWORD
	v_mov_b32_e32 v110, 0
	v_mov_b32_e32 v108, 0
	s_mov_b32 s48, exec_lo
	v_cmpx_ne_u16_e32 0, v2
	s_cbranch_execz .LBB230_139
; %bb.132:                              ;   in Loop: Header=BB230_16 Depth=1
	v_bfrev_b32_e32 v107, 1
	v_mov_b32_e32 v108, 0
	s_mov_b32 s49, exec_lo
	v_cmpx_ne_u16_e32 0x80, v2
	s_cbranch_execz .LBB230_138
; %bb.133:                              ;   in Loop: Header=BB230_16 Depth=1
	v_mov_b32_e32 v107, 0x7f800001
	v_bfe_u32 v3, v1, 16, 7
	v_mov_b32_e32 v108, 0
	s_mov_b32 s50, exec_lo
	v_cmpx_ne_u32_e32 0x7f, v3
	s_cbranch_execz .LBB230_137
; %bb.134:                              ;   in Loop: Header=BB230_16 Depth=1
	v_mov_b32_e32 v2, 7
	s_mov_b32 s51, exec_lo
	v_and_b32_sdwa v67, v1, v2 dst_sel:DWORD dst_unused:UNUSED_PAD src0_sel:WORD_1 src1_sel:DWORD
	v_lshrrev_b32_e32 v2, 3, v3
	v_cmpx_gt_u32_e32 8, v3
; %bb.135:                              ;   in Loop: Header=BB230_16 Depth=1
	v_ffbh_u32_e32 v2, v67
	v_min_u32_e32 v2, 32, v2
	v_subrev_nc_u32_e32 v3, 28, v2
	v_sub_nc_u32_e32 v2, 29, v2
	v_lshlrev_b64 v[3:4], v3, v[67:68]
	v_and_b32_e32 v67, 7, v3
; %bb.136:                              ;   in Loop: Header=BB230_16 Depth=1
	s_or_b32 exec_lo, exec_lo, s51
	v_mov_b32_e32 v3, 24
	v_lshlrev_b32_e32 v4, 20, v67
	v_lshl_add_u32 v2, v2, 23, 0x3c000000
	v_lshlrev_b32_sdwa v3, v3, v1 dst_sel:DWORD dst_unused:UNUSED_PAD src0_sel:DWORD src1_sel:WORD_1
	v_and_b32_e32 v3, 0x80000000, v3
	v_or3_b32 v67, v4, v3, v2
	v_mov_b32_e32 v108, v68
	v_mov_b32_e32 v107, v67
.LBB230_137:                            ;   in Loop: Header=BB230_16 Depth=1
	s_or_b32 exec_lo, exec_lo, s50
.LBB230_138:                            ;   in Loop: Header=BB230_16 Depth=1
	s_or_b32 exec_lo, exec_lo, s49
.LBB230_139:                            ;   in Loop: Header=BB230_16 Depth=1
	s_or_b32 exec_lo, exec_lo, s48
	s_mov_b32 s48, exec_lo
	v_cmpx_lt_u32_e32 0xffffff, v1
	s_cbranch_execz .LBB230_147
; %bb.140:                              ;   in Loop: Header=BB230_16 Depth=1
	v_mov_b32_e32 v83, v68
	v_mov_b32_e32 v110, v84
	v_cmp_ne_u32_sdwa s1, v1, v87 src0_sel:BYTE_3 src1_sel:DWORD
	v_mov_b32_e32 v109, v83
	s_and_saveexec_b32 s49, s1
	s_cbranch_execz .LBB230_146
; %bb.141:                              ;   in Loop: Header=BB230_16 Depth=1
	v_mov_b32_e32 v81, v68
	v_mov_b32_e32 v110, v82
	v_bfe_u32 v3, v1, 24, 7
	s_mov_b32 s50, exec_lo
	v_mov_b32_e32 v109, v81
	v_cmpx_ne_u32_e32 0x7f, v3
	s_cbranch_execz .LBB230_145
; %bb.142:                              ;   in Loop: Header=BB230_16 Depth=1
	v_mov_b32_e32 v2, 7
	s_mov_b32 s51, exec_lo
	v_and_b32_sdwa v67, v1, v2 dst_sel:DWORD dst_unused:UNUSED_PAD src0_sel:BYTE_3 src1_sel:DWORD
	v_lshrrev_b32_e32 v2, 3, v3
	v_cmpx_gt_u32_e32 8, v3
; %bb.143:                              ;   in Loop: Header=BB230_16 Depth=1
	v_ffbh_u32_e32 v2, v67
	v_min_u32_e32 v2, 32, v2
	v_subrev_nc_u32_e32 v3, 28, v2
	v_sub_nc_u32_e32 v2, 29, v2
	v_lshlrev_b64 v[3:4], v3, v[67:68]
	v_and_b32_e32 v67, 7, v3
; %bb.144:                              ;   in Loop: Header=BB230_16 Depth=1
	s_or_b32 exec_lo, exec_lo, s51
	v_mov_b32_e32 v3, 24
	v_lshl_add_u32 v2, v2, 23, 0x3c000000
	v_mov_b32_e32 v109, v68
	v_lshlrev_b32_sdwa v1, v3, v1 dst_sel:DWORD dst_unused:UNUSED_PAD src0_sel:DWORD src1_sel:BYTE_3
	v_lshlrev_b32_e32 v3, 20, v67
	v_and_b32_e32 v1, 0x80000000, v1
	v_or3_b32 v110, v3, v1, v2
.LBB230_145:                            ;   in Loop: Header=BB230_16 Depth=1
	s_or_b32 exec_lo, exec_lo, s50
.LBB230_146:                            ;   in Loop: Header=BB230_16 Depth=1
	s_or_b32 exec_lo, exec_lo, s49
.LBB230_147:                            ;   in Loop: Header=BB230_16 Depth=1
	s_or_b32 exec_lo, exec_lo, s48
	global_load_dword v1, v[89:90], off offset:512
	v_mov_b32_e32 v113, 0
	v_mov_b32_e32 v111, 0
	v_mov_b32_e32 v114, 0
	v_mov_b32_e32 v112, 0
	s_waitcnt vmcnt(0)
	v_cmp_ne_u16_sdwa s1, v1, v68 src0_sel:BYTE_0 src1_sel:DWORD
	s_and_saveexec_b32 s48, s1
	s_cbranch_execz .LBB230_155
; %bb.148:                              ;   in Loop: Header=BB230_16 Depth=1
	v_bfrev_b32_e32 v111, 1
	v_mov_b32_e32 v112, 0
	v_cmp_ne_u16_sdwa s1, v1, v87 src0_sel:BYTE_0 src1_sel:DWORD
	s_and_saveexec_b32 s49, s1
	s_cbranch_execz .LBB230_154
; %bb.149:                              ;   in Loop: Header=BB230_16 Depth=1
	v_mov_b32_e32 v111, 0x7f800001
	v_and_b32_e32 v3, 0x7f, v1
	v_mov_b32_e32 v112, 0
	s_mov_b32 s50, exec_lo
	v_cmpx_ne_u32_e32 0x7f, v3
	s_cbranch_execz .LBB230_153
; %bb.150:                              ;   in Loop: Header=BB230_16 Depth=1
	v_and_b32_e32 v67, 7, v1
	v_lshrrev_b32_e32 v2, 3, v3
	s_mov_b32 s51, exec_lo
	v_cmpx_gt_u32_e32 8, v3
; %bb.151:                              ;   in Loop: Header=BB230_16 Depth=1
	v_ffbh_u32_e32 v2, v67
	v_min_u32_e32 v2, 32, v2
	v_subrev_nc_u32_e32 v3, 28, v2
	v_sub_nc_u32_e32 v2, 29, v2
	v_lshlrev_b64 v[3:4], v3, v[67:68]
	v_and_b32_e32 v67, 7, v3
; %bb.152:                              ;   in Loop: Header=BB230_16 Depth=1
	s_or_b32 exec_lo, exec_lo, s51
	v_lshlrev_b32_e32 v3, 24, v1
	v_lshlrev_b32_e32 v4, 20, v67
	v_lshl_add_u32 v2, v2, 23, 0x3c000000
	v_and_b32_e32 v3, 0x80000000, v3
	v_or3_b32 v67, v4, v3, v2
	v_mov_b32_e32 v112, v68
	v_mov_b32_e32 v111, v67
.LBB230_153:                            ;   in Loop: Header=BB230_16 Depth=1
	s_or_b32 exec_lo, exec_lo, s50
.LBB230_154:                            ;   in Loop: Header=BB230_16 Depth=1
	s_or_b32 exec_lo, exec_lo, s49
.LBB230_155:                            ;   in Loop: Header=BB230_16 Depth=1
	s_or_b32 exec_lo, exec_lo, s48
	v_cmp_ne_u16_sdwa s1, v1, v68 src0_sel:BYTE_1 src1_sel:DWORD
	s_and_saveexec_b32 s48, s1
	s_cbranch_execz .LBB230_163
; %bb.156:                              ;   in Loop: Header=BB230_16 Depth=1
	v_mov_b32_e32 v83, v68
	v_mov_b32_e32 v114, v84
	v_cmp_ne_u16_sdwa s1, v1, v87 src0_sel:BYTE_1 src1_sel:DWORD
	v_mov_b32_e32 v113, v83
	s_and_saveexec_b32 s49, s1
	s_cbranch_execz .LBB230_162
; %bb.157:                              ;   in Loop: Header=BB230_16 Depth=1
	v_and_b32_sdwa v2, v100, v1 dst_sel:DWORD dst_unused:UNUSED_PAD src0_sel:DWORD src1_sel:BYTE_1
	v_mov_b32_e32 v81, v68
	v_mov_b32_e32 v114, v82
	s_mov_b32 s50, exec_lo
	v_and_b32_e32 v3, 0x7f, v2
	v_mov_b32_e32 v113, v81
	v_cmpx_ne_u32_e32 0x7f, v3
	s_cbranch_execz .LBB230_161
; %bb.158:                              ;   in Loop: Header=BB230_16 Depth=1
	v_and_b32_e32 v67, 7, v2
	v_lshrrev_b32_e32 v2, 3, v3
	s_mov_b32 s51, exec_lo
	v_cmpx_gt_u32_e32 8, v3
; %bb.159:                              ;   in Loop: Header=BB230_16 Depth=1
	v_ffbh_u32_e32 v2, v67
	v_min_u32_e32 v2, 32, v2
	v_subrev_nc_u32_e32 v3, 28, v2
	v_sub_nc_u32_e32 v2, 29, v2
	v_lshlrev_b64 v[3:4], v3, v[67:68]
	v_and_b32_e32 v67, 7, v3
; %bb.160:                              ;   in Loop: Header=BB230_16 Depth=1
	s_or_b32 exec_lo, exec_lo, s51
	v_lshlrev_b32_e32 v3, 16, v1
	v_lshlrev_b32_e32 v4, 20, v67
	v_lshl_add_u32 v2, v2, 23, 0x3c000000
	v_mov_b32_e32 v113, v68
	v_and_b32_e32 v3, 0x80000000, v3
	v_or3_b32 v114, v4, v3, v2
.LBB230_161:                            ;   in Loop: Header=BB230_16 Depth=1
	s_or_b32 exec_lo, exec_lo, s50
.LBB230_162:                            ;   in Loop: Header=BB230_16 Depth=1
	s_or_b32 exec_lo, exec_lo, s49
.LBB230_163:                            ;   in Loop: Header=BB230_16 Depth=1
	s_or_b32 exec_lo, exec_lo, s48
	v_mov_b32_e32 v115, 0
	v_mov_b32_e32 v117, 0
	v_and_b32_sdwa v2, v1, v88 dst_sel:DWORD dst_unused:UNUSED_PAD src0_sel:WORD_1 src1_sel:DWORD
	v_mov_b32_e32 v116, 0
	v_mov_b32_e32 v118, 0
	s_mov_b32 s48, exec_lo
	v_cmpx_ne_u16_e32 0, v2
	s_cbranch_execz .LBB230_171
; %bb.164:                              ;   in Loop: Header=BB230_16 Depth=1
	v_bfrev_b32_e32 v117, 1
	v_mov_b32_e32 v118, 0
	s_mov_b32 s49, exec_lo
	v_cmpx_ne_u16_e32 0x80, v2
	s_cbranch_execz .LBB230_170
; %bb.165:                              ;   in Loop: Header=BB230_16 Depth=1
	v_mov_b32_e32 v117, 0x7f800001
	v_bfe_u32 v3, v1, 16, 7
	v_mov_b32_e32 v118, 0
	s_mov_b32 s50, exec_lo
	v_cmpx_ne_u32_e32 0x7f, v3
	s_cbranch_execz .LBB230_169
; %bb.166:                              ;   in Loop: Header=BB230_16 Depth=1
	v_mov_b32_e32 v2, 7
	s_mov_b32 s51, exec_lo
	v_and_b32_sdwa v67, v1, v2 dst_sel:DWORD dst_unused:UNUSED_PAD src0_sel:WORD_1 src1_sel:DWORD
	v_lshrrev_b32_e32 v2, 3, v3
	v_cmpx_gt_u32_e32 8, v3
; %bb.167:                              ;   in Loop: Header=BB230_16 Depth=1
	v_ffbh_u32_e32 v2, v67
	v_min_u32_e32 v2, 32, v2
	v_subrev_nc_u32_e32 v3, 28, v2
	v_sub_nc_u32_e32 v2, 29, v2
	v_lshlrev_b64 v[3:4], v3, v[67:68]
	v_and_b32_e32 v67, 7, v3
; %bb.168:                              ;   in Loop: Header=BB230_16 Depth=1
	s_or_b32 exec_lo, exec_lo, s51
	v_mov_b32_e32 v3, 24
	v_lshlrev_b32_e32 v4, 20, v67
	v_lshl_add_u32 v2, v2, 23, 0x3c000000
	v_lshlrev_b32_sdwa v3, v3, v1 dst_sel:DWORD dst_unused:UNUSED_PAD src0_sel:DWORD src1_sel:WORD_1
	v_and_b32_e32 v3, 0x80000000, v3
	v_or3_b32 v67, v4, v3, v2
	v_mov_b32_e32 v118, v68
	v_mov_b32_e32 v117, v67
.LBB230_169:                            ;   in Loop: Header=BB230_16 Depth=1
	s_or_b32 exec_lo, exec_lo, s50
.LBB230_170:                            ;   in Loop: Header=BB230_16 Depth=1
	s_or_b32 exec_lo, exec_lo, s49
.LBB230_171:                            ;   in Loop: Header=BB230_16 Depth=1
	s_or_b32 exec_lo, exec_lo, s48
	s_mov_b32 s48, exec_lo
	v_cmpx_lt_u32_e32 0xffffff, v1
	s_cbranch_execz .LBB230_179
; %bb.172:                              ;   in Loop: Header=BB230_16 Depth=1
	v_mov_b32_e32 v83, v68
	v_mov_b32_e32 v116, v84
	v_cmp_ne_u32_sdwa s1, v1, v87 src0_sel:BYTE_3 src1_sel:DWORD
	v_mov_b32_e32 v115, v83
	s_and_saveexec_b32 s49, s1
	s_cbranch_execz .LBB230_178
; %bb.173:                              ;   in Loop: Header=BB230_16 Depth=1
	v_mov_b32_e32 v81, v68
	v_mov_b32_e32 v116, v82
	v_bfe_u32 v3, v1, 24, 7
	s_mov_b32 s50, exec_lo
	v_mov_b32_e32 v115, v81
	v_cmpx_ne_u32_e32 0x7f, v3
	s_cbranch_execz .LBB230_177
; %bb.174:                              ;   in Loop: Header=BB230_16 Depth=1
	v_mov_b32_e32 v2, 7
	s_mov_b32 s51, exec_lo
	v_and_b32_sdwa v67, v1, v2 dst_sel:DWORD dst_unused:UNUSED_PAD src0_sel:BYTE_3 src1_sel:DWORD
	v_lshrrev_b32_e32 v2, 3, v3
	v_cmpx_gt_u32_e32 8, v3
; %bb.175:                              ;   in Loop: Header=BB230_16 Depth=1
	v_ffbh_u32_e32 v2, v67
	v_min_u32_e32 v2, 32, v2
	v_subrev_nc_u32_e32 v3, 28, v2
	v_sub_nc_u32_e32 v2, 29, v2
	v_lshlrev_b64 v[3:4], v3, v[67:68]
	v_and_b32_e32 v67, 7, v3
; %bb.176:                              ;   in Loop: Header=BB230_16 Depth=1
	s_or_b32 exec_lo, exec_lo, s51
	v_mov_b32_e32 v3, 24
	v_lshl_add_u32 v2, v2, 23, 0x3c000000
	v_mov_b32_e32 v115, v68
	v_lshlrev_b32_sdwa v1, v3, v1 dst_sel:DWORD dst_unused:UNUSED_PAD src0_sel:DWORD src1_sel:BYTE_3
	v_lshlrev_b32_e32 v3, 20, v67
	v_and_b32_e32 v1, 0x80000000, v1
	v_or3_b32 v116, v3, v1, v2
.LBB230_177:                            ;   in Loop: Header=BB230_16 Depth=1
	s_or_b32 exec_lo, exec_lo, s50
.LBB230_178:                            ;   in Loop: Header=BB230_16 Depth=1
	s_or_b32 exec_lo, exec_lo, s49
.LBB230_179:                            ;   in Loop: Header=BB230_16 Depth=1
	s_or_b32 exec_lo, exec_lo, s48
	global_load_dword v1, v[89:90], off offset:516
	v_mov_b32_e32 v121, 0
	v_mov_b32_e32 v119, 0
	;; [unrolled: 1-line block ×4, first 2 shown]
	s_waitcnt vmcnt(0)
	v_cmp_ne_u16_sdwa s1, v1, v68 src0_sel:BYTE_0 src1_sel:DWORD
	s_and_saveexec_b32 s48, s1
	s_cbranch_execz .LBB230_187
; %bb.180:                              ;   in Loop: Header=BB230_16 Depth=1
	v_bfrev_b32_e32 v119, 1
	v_mov_b32_e32 v120, 0
	v_cmp_ne_u16_sdwa s1, v1, v87 src0_sel:BYTE_0 src1_sel:DWORD
	s_and_saveexec_b32 s49, s1
	s_cbranch_execz .LBB230_186
; %bb.181:                              ;   in Loop: Header=BB230_16 Depth=1
	v_mov_b32_e32 v119, 0x7f800001
	v_and_b32_e32 v3, 0x7f, v1
	v_mov_b32_e32 v120, 0
	s_mov_b32 s50, exec_lo
	v_cmpx_ne_u32_e32 0x7f, v3
	s_cbranch_execz .LBB230_185
; %bb.182:                              ;   in Loop: Header=BB230_16 Depth=1
	v_and_b32_e32 v67, 7, v1
	v_lshrrev_b32_e32 v2, 3, v3
	s_mov_b32 s51, exec_lo
	v_cmpx_gt_u32_e32 8, v3
; %bb.183:                              ;   in Loop: Header=BB230_16 Depth=1
	v_ffbh_u32_e32 v2, v67
	v_min_u32_e32 v2, 32, v2
	v_subrev_nc_u32_e32 v3, 28, v2
	v_sub_nc_u32_e32 v2, 29, v2
	v_lshlrev_b64 v[3:4], v3, v[67:68]
	v_and_b32_e32 v67, 7, v3
; %bb.184:                              ;   in Loop: Header=BB230_16 Depth=1
	s_or_b32 exec_lo, exec_lo, s51
	v_lshlrev_b32_e32 v3, 24, v1
	v_lshlrev_b32_e32 v4, 20, v67
	v_lshl_add_u32 v2, v2, 23, 0x3c000000
	v_and_b32_e32 v3, 0x80000000, v3
	v_or3_b32 v67, v4, v3, v2
	v_mov_b32_e32 v120, v68
	v_mov_b32_e32 v119, v67
.LBB230_185:                            ;   in Loop: Header=BB230_16 Depth=1
	s_or_b32 exec_lo, exec_lo, s50
.LBB230_186:                            ;   in Loop: Header=BB230_16 Depth=1
	s_or_b32 exec_lo, exec_lo, s49
.LBB230_187:                            ;   in Loop: Header=BB230_16 Depth=1
	s_or_b32 exec_lo, exec_lo, s48
	v_cmp_ne_u16_sdwa s1, v1, v68 src0_sel:BYTE_1 src1_sel:DWORD
	s_and_saveexec_b32 s48, s1
	s_cbranch_execz .LBB230_195
; %bb.188:                              ;   in Loop: Header=BB230_16 Depth=1
	v_mov_b32_e32 v83, v68
	v_mov_b32_e32 v122, v84
	v_cmp_ne_u16_sdwa s1, v1, v87 src0_sel:BYTE_1 src1_sel:DWORD
	v_mov_b32_e32 v121, v83
	s_and_saveexec_b32 s49, s1
	s_cbranch_execz .LBB230_194
; %bb.189:                              ;   in Loop: Header=BB230_16 Depth=1
	v_and_b32_sdwa v2, v100, v1 dst_sel:DWORD dst_unused:UNUSED_PAD src0_sel:DWORD src1_sel:BYTE_1
	v_mov_b32_e32 v81, v68
	v_mov_b32_e32 v122, v82
	s_mov_b32 s50, exec_lo
	v_and_b32_e32 v3, 0x7f, v2
	v_mov_b32_e32 v121, v81
	v_cmpx_ne_u32_e32 0x7f, v3
	s_cbranch_execz .LBB230_193
; %bb.190:                              ;   in Loop: Header=BB230_16 Depth=1
	v_and_b32_e32 v67, 7, v2
	v_lshrrev_b32_e32 v2, 3, v3
	s_mov_b32 s51, exec_lo
	v_cmpx_gt_u32_e32 8, v3
; %bb.191:                              ;   in Loop: Header=BB230_16 Depth=1
	v_ffbh_u32_e32 v2, v67
	v_min_u32_e32 v2, 32, v2
	v_subrev_nc_u32_e32 v3, 28, v2
	v_sub_nc_u32_e32 v2, 29, v2
	v_lshlrev_b64 v[3:4], v3, v[67:68]
	v_and_b32_e32 v67, 7, v3
; %bb.192:                              ;   in Loop: Header=BB230_16 Depth=1
	s_or_b32 exec_lo, exec_lo, s51
	v_lshlrev_b32_e32 v3, 16, v1
	v_lshlrev_b32_e32 v4, 20, v67
	v_lshl_add_u32 v2, v2, 23, 0x3c000000
	v_mov_b32_e32 v121, v68
	v_and_b32_e32 v3, 0x80000000, v3
	v_or3_b32 v122, v4, v3, v2
.LBB230_193:                            ;   in Loop: Header=BB230_16 Depth=1
	s_or_b32 exec_lo, exec_lo, s50
.LBB230_194:                            ;   in Loop: Header=BB230_16 Depth=1
	s_or_b32 exec_lo, exec_lo, s49
.LBB230_195:                            ;   in Loop: Header=BB230_16 Depth=1
	s_or_b32 exec_lo, exec_lo, s48
	v_mov_b32_e32 v123, 0
	v_mov_b32_e32 v125, 0
	v_and_b32_sdwa v2, v1, v88 dst_sel:DWORD dst_unused:UNUSED_PAD src0_sel:WORD_1 src1_sel:DWORD
	v_mov_b32_e32 v124, 0
	v_mov_b32_e32 v126, 0
	s_mov_b32 s48, exec_lo
	v_cmpx_ne_u16_e32 0, v2
	s_cbranch_execz .LBB230_203
; %bb.196:                              ;   in Loop: Header=BB230_16 Depth=1
	v_bfrev_b32_e32 v125, 1
	v_mov_b32_e32 v126, 0
	s_mov_b32 s49, exec_lo
	v_cmpx_ne_u16_e32 0x80, v2
	s_cbranch_execz .LBB230_202
; %bb.197:                              ;   in Loop: Header=BB230_16 Depth=1
	v_mov_b32_e32 v125, 0x7f800001
	v_bfe_u32 v3, v1, 16, 7
	v_mov_b32_e32 v126, 0
	s_mov_b32 s50, exec_lo
	v_cmpx_ne_u32_e32 0x7f, v3
	s_cbranch_execz .LBB230_201
; %bb.198:                              ;   in Loop: Header=BB230_16 Depth=1
	v_mov_b32_e32 v2, 7
	s_mov_b32 s51, exec_lo
	v_and_b32_sdwa v67, v1, v2 dst_sel:DWORD dst_unused:UNUSED_PAD src0_sel:WORD_1 src1_sel:DWORD
	v_lshrrev_b32_e32 v2, 3, v3
	v_cmpx_gt_u32_e32 8, v3
; %bb.199:                              ;   in Loop: Header=BB230_16 Depth=1
	v_ffbh_u32_e32 v2, v67
	v_min_u32_e32 v2, 32, v2
	v_subrev_nc_u32_e32 v3, 28, v2
	v_sub_nc_u32_e32 v2, 29, v2
	v_lshlrev_b64 v[3:4], v3, v[67:68]
	v_and_b32_e32 v67, 7, v3
; %bb.200:                              ;   in Loop: Header=BB230_16 Depth=1
	s_or_b32 exec_lo, exec_lo, s51
	v_mov_b32_e32 v3, 24
	v_lshlrev_b32_e32 v4, 20, v67
	v_lshl_add_u32 v2, v2, 23, 0x3c000000
	v_lshlrev_b32_sdwa v3, v3, v1 dst_sel:DWORD dst_unused:UNUSED_PAD src0_sel:DWORD src1_sel:WORD_1
	v_and_b32_e32 v3, 0x80000000, v3
	v_or3_b32 v67, v4, v3, v2
	v_mov_b32_e32 v126, v68
	v_mov_b32_e32 v125, v67
.LBB230_201:                            ;   in Loop: Header=BB230_16 Depth=1
	s_or_b32 exec_lo, exec_lo, s50
.LBB230_202:                            ;   in Loop: Header=BB230_16 Depth=1
	s_or_b32 exec_lo, exec_lo, s49
.LBB230_203:                            ;   in Loop: Header=BB230_16 Depth=1
	s_or_b32 exec_lo, exec_lo, s48
	s_mov_b32 s48, exec_lo
	v_cmpx_lt_u32_e32 0xffffff, v1
	s_cbranch_execz .LBB230_211
; %bb.204:                              ;   in Loop: Header=BB230_16 Depth=1
	v_mov_b32_e32 v83, v68
	v_mov_b32_e32 v124, v84
	v_cmp_ne_u32_sdwa s1, v1, v87 src0_sel:BYTE_3 src1_sel:DWORD
	v_mov_b32_e32 v123, v83
	s_and_saveexec_b32 s49, s1
	s_cbranch_execz .LBB230_210
; %bb.205:                              ;   in Loop: Header=BB230_16 Depth=1
	v_mov_b32_e32 v81, v68
	v_mov_b32_e32 v124, v82
	v_bfe_u32 v3, v1, 24, 7
	s_mov_b32 s50, exec_lo
	v_mov_b32_e32 v123, v81
	v_cmpx_ne_u32_e32 0x7f, v3
	s_cbranch_execz .LBB230_209
; %bb.206:                              ;   in Loop: Header=BB230_16 Depth=1
	v_mov_b32_e32 v2, 7
	s_mov_b32 s51, exec_lo
	v_and_b32_sdwa v67, v1, v2 dst_sel:DWORD dst_unused:UNUSED_PAD src0_sel:BYTE_3 src1_sel:DWORD
	v_lshrrev_b32_e32 v2, 3, v3
	v_cmpx_gt_u32_e32 8, v3
; %bb.207:                              ;   in Loop: Header=BB230_16 Depth=1
	v_ffbh_u32_e32 v2, v67
	v_min_u32_e32 v2, 32, v2
	v_subrev_nc_u32_e32 v3, 28, v2
	v_sub_nc_u32_e32 v2, 29, v2
	v_lshlrev_b64 v[3:4], v3, v[67:68]
	v_and_b32_e32 v67, 7, v3
; %bb.208:                              ;   in Loop: Header=BB230_16 Depth=1
	s_or_b32 exec_lo, exec_lo, s51
	v_mov_b32_e32 v3, 24
	v_lshl_add_u32 v2, v2, 23, 0x3c000000
	v_mov_b32_e32 v123, v68
	v_lshlrev_b32_sdwa v1, v3, v1 dst_sel:DWORD dst_unused:UNUSED_PAD src0_sel:DWORD src1_sel:BYTE_3
	v_lshlrev_b32_e32 v3, 20, v67
	v_and_b32_e32 v1, 0x80000000, v1
	v_or3_b32 v124, v3, v1, v2
.LBB230_209:                            ;   in Loop: Header=BB230_16 Depth=1
	s_or_b32 exec_lo, exec_lo, s50
.LBB230_210:                            ;   in Loop: Header=BB230_16 Depth=1
	s_or_b32 exec_lo, exec_lo, s49
.LBB230_211:                            ;   in Loop: Header=BB230_16 Depth=1
	s_or_b32 exec_lo, exec_lo, s48
	global_load_dword v7, v[89:90], off offset:520
	v_mov_b32_e32 v1, 0
	v_mov_b32_e32 v75, 0
	;; [unrolled: 1-line block ×4, first 2 shown]
	s_waitcnt vmcnt(0)
	v_cmp_ne_u16_sdwa s1, v7, v68 src0_sel:BYTE_0 src1_sel:DWORD
	s_and_saveexec_b32 s48, s1
	s_cbranch_execz .LBB230_219
; %bb.212:                              ;   in Loop: Header=BB230_16 Depth=1
	v_bfrev_b32_e32 v75, 1
	v_mov_b32_e32 v76, 0
	v_cmp_ne_u16_sdwa s1, v7, v87 src0_sel:BYTE_0 src1_sel:DWORD
	s_and_saveexec_b32 s49, s1
	s_cbranch_execz .LBB230_218
; %bb.213:                              ;   in Loop: Header=BB230_16 Depth=1
	v_mov_b32_e32 v75, 0x7f800001
	v_and_b32_e32 v4, 0x7f, v7
	v_mov_b32_e32 v76, 0
	s_mov_b32 s50, exec_lo
	v_cmpx_ne_u32_e32 0x7f, v4
	s_cbranch_execz .LBB230_217
; %bb.214:                              ;   in Loop: Header=BB230_16 Depth=1
	v_and_b32_e32 v67, 7, v7
	v_lshrrev_b32_e32 v3, 3, v4
	s_mov_b32 s51, exec_lo
	v_cmpx_gt_u32_e32 8, v4
; %bb.215:                              ;   in Loop: Header=BB230_16 Depth=1
	v_ffbh_u32_e32 v3, v67
	v_min_u32_e32 v3, 32, v3
	v_subrev_nc_u32_e32 v4, 28, v3
	v_sub_nc_u32_e32 v3, 29, v3
	v_lshlrev_b64 v[4:5], v4, v[67:68]
	v_and_b32_e32 v67, 7, v4
; %bb.216:                              ;   in Loop: Header=BB230_16 Depth=1
	s_or_b32 exec_lo, exec_lo, s51
	v_lshlrev_b32_e32 v4, 24, v7
	v_lshlrev_b32_e32 v5, 20, v67
	v_lshl_add_u32 v3, v3, 23, 0x3c000000
	v_and_b32_e32 v4, 0x80000000, v4
	v_or3_b32 v67, v5, v4, v3
	v_mov_b32_e32 v76, v68
	v_mov_b32_e32 v75, v67
.LBB230_217:                            ;   in Loop: Header=BB230_16 Depth=1
	s_or_b32 exec_lo, exec_lo, s50
.LBB230_218:                            ;   in Loop: Header=BB230_16 Depth=1
	s_or_b32 exec_lo, exec_lo, s49
.LBB230_219:                            ;   in Loop: Header=BB230_16 Depth=1
	s_or_b32 exec_lo, exec_lo, s48
	v_cmp_ne_u16_sdwa s1, v7, v68 src0_sel:BYTE_1 src1_sel:DWORD
	s_and_saveexec_b32 s48, s1
	s_cbranch_execz .LBB230_227
; %bb.220:                              ;   in Loop: Header=BB230_16 Depth=1
	v_mov_b32_e32 v83, v68
	v_cmp_ne_u16_sdwa s1, v7, v87 src0_sel:BYTE_1 src1_sel:DWORD
	v_mov_b32_e32 v1, v83
	v_mov_b32_e32 v2, v84
	s_and_saveexec_b32 s49, s1
	s_cbranch_execz .LBB230_226
; %bb.221:                              ;   in Loop: Header=BB230_16 Depth=1
	v_mov_b32_e32 v81, v68
	v_and_b32_sdwa v4, v100, v7 dst_sel:DWORD dst_unused:UNUSED_PAD src0_sel:DWORD src1_sel:BYTE_1
	s_mov_b32 s50, exec_lo
	v_mov_b32_e32 v1, v81
	v_and_b32_e32 v3, 0x7f, v4
	v_mov_b32_e32 v2, v82
	v_cmpx_ne_u32_e32 0x7f, v3
	s_cbranch_execz .LBB230_225
; %bb.222:                              ;   in Loop: Header=BB230_16 Depth=1
	v_and_b32_e32 v67, 7, v4
	v_lshrrev_b32_e32 v1, 3, v3
	s_mov_b32 s51, exec_lo
	v_cmpx_gt_u32_e32 8, v3
; %bb.223:                              ;   in Loop: Header=BB230_16 Depth=1
	v_ffbh_u32_e32 v1, v67
	v_min_u32_e32 v1, 32, v1
	v_subrev_nc_u32_e32 v2, 28, v1
	v_sub_nc_u32_e32 v1, 29, v1
	v_lshlrev_b64 v[2:3], v2, v[67:68]
	v_and_b32_e32 v67, 7, v2
; %bb.224:                              ;   in Loop: Header=BB230_16 Depth=1
	s_or_b32 exec_lo, exec_lo, s51
	v_lshlrev_b32_e32 v2, 16, v7
	v_lshlrev_b32_e32 v3, 20, v67
	v_lshl_add_u32 v1, v1, 23, 0x3c000000
	v_and_b32_e32 v2, 0x80000000, v2
	v_or3_b32 v2, v3, v2, v1
	v_mov_b32_e32 v1, v68
.LBB230_225:                            ;   in Loop: Header=BB230_16 Depth=1
	s_or_b32 exec_lo, exec_lo, s50
.LBB230_226:                            ;   in Loop: Header=BB230_16 Depth=1
	s_or_b32 exec_lo, exec_lo, s49
.LBB230_227:                            ;   in Loop: Header=BB230_16 Depth=1
	s_or_b32 exec_lo, exec_lo, s48
	v_mov_b32_e32 v3, 0
	v_mov_b32_e32 v5, 0
	v_and_b32_sdwa v8, v7, v88 dst_sel:DWORD dst_unused:UNUSED_PAD src0_sel:WORD_1 src1_sel:DWORD
	v_mov_b32_e32 v4, 0
	v_mov_b32_e32 v6, 0
	s_mov_b32 s48, exec_lo
	v_cmpx_ne_u16_e32 0, v8
	s_cbranch_execz .LBB230_235
; %bb.228:                              ;   in Loop: Header=BB230_16 Depth=1
	v_bfrev_b32_e32 v5, 1
	v_mov_b32_e32 v6, 0
	s_mov_b32 s49, exec_lo
	v_cmpx_ne_u16_e32 0x80, v8
	s_cbranch_execz .LBB230_234
; %bb.229:                              ;   in Loop: Header=BB230_16 Depth=1
	v_mov_b32_e32 v5, 0x7f800001
	v_bfe_u32 v8, v7, 16, 7
	v_mov_b32_e32 v6, 0
	s_mov_b32 s50, exec_lo
	v_cmpx_ne_u32_e32 0x7f, v8
	s_cbranch_execz .LBB230_233
; %bb.230:                              ;   in Loop: Header=BB230_16 Depth=1
	v_mov_b32_e32 v5, 7
	s_mov_b32 s51, exec_lo
	v_and_b32_sdwa v67, v7, v5 dst_sel:DWORD dst_unused:UNUSED_PAD src0_sel:WORD_1 src1_sel:DWORD
	v_lshrrev_b32_e32 v5, 3, v8
	v_cmpx_gt_u32_e32 8, v8
; %bb.231:                              ;   in Loop: Header=BB230_16 Depth=1
	v_ffbh_u32_e32 v5, v67
	v_min_u32_e32 v5, 32, v5
	v_subrev_nc_u32_e32 v6, 28, v5
	v_sub_nc_u32_e32 v5, 29, v5
	v_lshlrev_b64 v[8:9], v6, v[67:68]
	v_and_b32_e32 v67, 7, v8
; %bb.232:                              ;   in Loop: Header=BB230_16 Depth=1
	s_or_b32 exec_lo, exec_lo, s51
	v_mov_b32_e32 v6, 24
	v_lshlrev_b32_e32 v8, 20, v67
	v_lshl_add_u32 v5, v5, 23, 0x3c000000
	v_lshlrev_b32_sdwa v6, v6, v7 dst_sel:DWORD dst_unused:UNUSED_PAD src0_sel:DWORD src1_sel:WORD_1
	v_and_b32_e32 v6, 0x80000000, v6
	v_or3_b32 v67, v8, v6, v5
	v_mov_b32_e32 v5, v67
	v_mov_b32_e32 v6, v68
.LBB230_233:                            ;   in Loop: Header=BB230_16 Depth=1
	s_or_b32 exec_lo, exec_lo, s50
.LBB230_234:                            ;   in Loop: Header=BB230_16 Depth=1
	s_or_b32 exec_lo, exec_lo, s49
.LBB230_235:                            ;   in Loop: Header=BB230_16 Depth=1
	s_or_b32 exec_lo, exec_lo, s48
	s_mov_b32 s48, exec_lo
	v_cmpx_lt_u32_e32 0xffffff, v7
	s_cbranch_execz .LBB230_243
; %bb.236:                              ;   in Loop: Header=BB230_16 Depth=1
	v_mov_b32_e32 v83, v68
	v_cmp_ne_u32_sdwa s1, v7, v87 src0_sel:BYTE_3 src1_sel:DWORD
	v_mov_b32_e32 v3, v83
	v_mov_b32_e32 v4, v84
	s_and_saveexec_b32 s49, s1
	s_cbranch_execz .LBB230_242
; %bb.237:                              ;   in Loop: Header=BB230_16 Depth=1
	v_mov_b32_e32 v81, v68
	v_bfe_u32 v8, v7, 24, 7
	s_mov_b32 s50, exec_lo
	v_mov_b32_e32 v3, v81
	v_mov_b32_e32 v4, v82
	v_cmpx_ne_u32_e32 0x7f, v8
	s_cbranch_execz .LBB230_241
; %bb.238:                              ;   in Loop: Header=BB230_16 Depth=1
	v_mov_b32_e32 v3, 7
	s_mov_b32 s51, exec_lo
	v_and_b32_sdwa v67, v7, v3 dst_sel:DWORD dst_unused:UNUSED_PAD src0_sel:BYTE_3 src1_sel:DWORD
	v_lshrrev_b32_e32 v3, 3, v8
	v_cmpx_gt_u32_e32 8, v8
; %bb.239:                              ;   in Loop: Header=BB230_16 Depth=1
	v_ffbh_u32_e32 v3, v67
	v_min_u32_e32 v3, 32, v3
	v_subrev_nc_u32_e32 v4, 28, v3
	v_sub_nc_u32_e32 v3, 29, v3
	v_lshlrev_b64 v[8:9], v4, v[67:68]
	v_and_b32_e32 v67, 7, v8
; %bb.240:                              ;   in Loop: Header=BB230_16 Depth=1
	s_or_b32 exec_lo, exec_lo, s51
	v_mov_b32_e32 v4, 24
	v_lshl_add_u32 v3, v3, 23, 0x3c000000
	v_lshlrev_b32_sdwa v4, v4, v7 dst_sel:DWORD dst_unused:UNUSED_PAD src0_sel:DWORD src1_sel:BYTE_3
	v_lshlrev_b32_e32 v7, 20, v67
	v_and_b32_e32 v4, 0x80000000, v4
	v_or3_b32 v4, v7, v4, v3
	v_mov_b32_e32 v3, v68
.LBB230_241:                            ;   in Loop: Header=BB230_16 Depth=1
	s_or_b32 exec_lo, exec_lo, s50
.LBB230_242:                            ;   in Loop: Header=BB230_16 Depth=1
	s_or_b32 exec_lo, exec_lo, s49
.LBB230_243:                            ;   in Loop: Header=BB230_16 Depth=1
	s_or_b32 exec_lo, exec_lo, s48
	global_load_dword v15, v[89:90], off offset:524
	v_mov_b32_e32 v9, 0
	v_mov_b32_e32 v7, 0
	;; [unrolled: 1-line block ×4, first 2 shown]
	s_waitcnt vmcnt(0)
	v_cmp_ne_u16_sdwa s1, v15, v68 src0_sel:BYTE_0 src1_sel:DWORD
	s_and_saveexec_b32 s48, s1
	s_cbranch_execz .LBB230_251
; %bb.244:                              ;   in Loop: Header=BB230_16 Depth=1
	v_bfrev_b32_e32 v7, 1
	v_mov_b32_e32 v8, 0
	v_cmp_ne_u16_sdwa s1, v15, v87 src0_sel:BYTE_0 src1_sel:DWORD
	s_and_saveexec_b32 s49, s1
	s_cbranch_execz .LBB230_250
; %bb.245:                              ;   in Loop: Header=BB230_16 Depth=1
	v_mov_b32_e32 v7, 0x7f800001
	v_and_b32_e32 v11, 0x7f, v15
	v_mov_b32_e32 v8, 0
	s_mov_b32 s50, exec_lo
	v_cmpx_ne_u32_e32 0x7f, v11
	s_cbranch_execz .LBB230_249
; %bb.246:                              ;   in Loop: Header=BB230_16 Depth=1
	v_and_b32_e32 v67, 7, v15
	v_lshrrev_b32_e32 v7, 3, v11
	s_mov_b32 s51, exec_lo
	v_cmpx_gt_u32_e32 8, v11
; %bb.247:                              ;   in Loop: Header=BB230_16 Depth=1
	v_ffbh_u32_e32 v7, v67
	v_min_u32_e32 v7, 32, v7
	v_subrev_nc_u32_e32 v8, 28, v7
	v_sub_nc_u32_e32 v7, 29, v7
	v_lshlrev_b64 v[11:12], v8, v[67:68]
	v_and_b32_e32 v67, 7, v11
; %bb.248:                              ;   in Loop: Header=BB230_16 Depth=1
	s_or_b32 exec_lo, exec_lo, s51
	v_lshlrev_b32_e32 v8, 24, v15
	v_lshlrev_b32_e32 v11, 20, v67
	v_lshl_add_u32 v7, v7, 23, 0x3c000000
	v_and_b32_e32 v8, 0x80000000, v8
	v_or3_b32 v67, v11, v8, v7
	v_mov_b32_e32 v7, v67
	v_mov_b32_e32 v8, v68
.LBB230_249:                            ;   in Loop: Header=BB230_16 Depth=1
	s_or_b32 exec_lo, exec_lo, s50
.LBB230_250:                            ;   in Loop: Header=BB230_16 Depth=1
	s_or_b32 exec_lo, exec_lo, s49
.LBB230_251:                            ;   in Loop: Header=BB230_16 Depth=1
	s_or_b32 exec_lo, exec_lo, s48
	v_cmp_ne_u16_sdwa s1, v15, v68 src0_sel:BYTE_1 src1_sel:DWORD
	s_and_saveexec_b32 s48, s1
	s_cbranch_execz .LBB230_259
; %bb.252:                              ;   in Loop: Header=BB230_16 Depth=1
	v_mov_b32_e32 v83, v68
	v_cmp_ne_u16_sdwa s1, v15, v87 src0_sel:BYTE_1 src1_sel:DWORD
	v_mov_b32_e32 v9, v83
	v_mov_b32_e32 v10, v84
	s_and_saveexec_b32 s49, s1
	s_cbranch_execz .LBB230_258
; %bb.253:                              ;   in Loop: Header=BB230_16 Depth=1
	v_mov_b32_e32 v81, v68
	v_and_b32_sdwa v12, v100, v15 dst_sel:DWORD dst_unused:UNUSED_PAD src0_sel:DWORD src1_sel:BYTE_1
	s_mov_b32 s50, exec_lo
	v_mov_b32_e32 v9, v81
	v_and_b32_e32 v11, 0x7f, v12
	v_mov_b32_e32 v10, v82
	v_cmpx_ne_u32_e32 0x7f, v11
	s_cbranch_execz .LBB230_257
; %bb.254:                              ;   in Loop: Header=BB230_16 Depth=1
	v_and_b32_e32 v67, 7, v12
	v_lshrrev_b32_e32 v9, 3, v11
	s_mov_b32 s51, exec_lo
	v_cmpx_gt_u32_e32 8, v11
; %bb.255:                              ;   in Loop: Header=BB230_16 Depth=1
	v_ffbh_u32_e32 v9, v67
	v_min_u32_e32 v9, 32, v9
	v_subrev_nc_u32_e32 v10, 28, v9
	v_sub_nc_u32_e32 v9, 29, v9
	v_lshlrev_b64 v[10:11], v10, v[67:68]
	v_and_b32_e32 v67, 7, v10
; %bb.256:                              ;   in Loop: Header=BB230_16 Depth=1
	s_or_b32 exec_lo, exec_lo, s51
	v_lshlrev_b32_e32 v10, 16, v15
	v_lshlrev_b32_e32 v11, 20, v67
	v_lshl_add_u32 v9, v9, 23, 0x3c000000
	v_and_b32_e32 v10, 0x80000000, v10
	v_or3_b32 v10, v11, v10, v9
	v_mov_b32_e32 v9, v68
.LBB230_257:                            ;   in Loop: Header=BB230_16 Depth=1
	s_or_b32 exec_lo, exec_lo, s50
.LBB230_258:                            ;   in Loop: Header=BB230_16 Depth=1
	s_or_b32 exec_lo, exec_lo, s49
.LBB230_259:                            ;   in Loop: Header=BB230_16 Depth=1
	s_or_b32 exec_lo, exec_lo, s48
	v_mov_b32_e32 v11, 0
	v_mov_b32_e32 v13, 0
	v_and_b32_sdwa v16, v15, v88 dst_sel:DWORD dst_unused:UNUSED_PAD src0_sel:WORD_1 src1_sel:DWORD
	v_mov_b32_e32 v12, 0
	v_mov_b32_e32 v14, 0
	s_mov_b32 s48, exec_lo
	v_cmpx_ne_u16_e32 0, v16
	s_cbranch_execz .LBB230_267
; %bb.260:                              ;   in Loop: Header=BB230_16 Depth=1
	v_bfrev_b32_e32 v13, 1
	v_mov_b32_e32 v14, 0
	s_mov_b32 s49, exec_lo
	v_cmpx_ne_u16_e32 0x80, v16
	s_cbranch_execz .LBB230_266
; %bb.261:                              ;   in Loop: Header=BB230_16 Depth=1
	v_mov_b32_e32 v13, 0x7f800001
	v_bfe_u32 v16, v15, 16, 7
	v_mov_b32_e32 v14, 0
	s_mov_b32 s50, exec_lo
	v_cmpx_ne_u32_e32 0x7f, v16
	s_cbranch_execz .LBB230_265
; %bb.262:                              ;   in Loop: Header=BB230_16 Depth=1
	v_mov_b32_e32 v13, 7
	s_mov_b32 s51, exec_lo
	v_and_b32_sdwa v67, v15, v13 dst_sel:DWORD dst_unused:UNUSED_PAD src0_sel:WORD_1 src1_sel:DWORD
	v_lshrrev_b32_e32 v13, 3, v16
	v_cmpx_gt_u32_e32 8, v16
; %bb.263:                              ;   in Loop: Header=BB230_16 Depth=1
	v_ffbh_u32_e32 v13, v67
	v_min_u32_e32 v13, 32, v13
	v_subrev_nc_u32_e32 v14, 28, v13
	v_sub_nc_u32_e32 v13, 29, v13
	v_lshlrev_b64 v[16:17], v14, v[67:68]
	v_and_b32_e32 v67, 7, v16
; %bb.264:                              ;   in Loop: Header=BB230_16 Depth=1
	s_or_b32 exec_lo, exec_lo, s51
	v_mov_b32_e32 v14, 24
	v_lshlrev_b32_e32 v16, 20, v67
	v_lshl_add_u32 v13, v13, 23, 0x3c000000
	v_lshlrev_b32_sdwa v14, v14, v15 dst_sel:DWORD dst_unused:UNUSED_PAD src0_sel:DWORD src1_sel:WORD_1
	v_and_b32_e32 v14, 0x80000000, v14
	v_or3_b32 v67, v16, v14, v13
	v_mov_b32_e32 v13, v67
	v_mov_b32_e32 v14, v68
.LBB230_265:                            ;   in Loop: Header=BB230_16 Depth=1
	s_or_b32 exec_lo, exec_lo, s50
.LBB230_266:                            ;   in Loop: Header=BB230_16 Depth=1
	s_or_b32 exec_lo, exec_lo, s49
.LBB230_267:                            ;   in Loop: Header=BB230_16 Depth=1
	s_or_b32 exec_lo, exec_lo, s48
	s_mov_b32 s48, exec_lo
	v_cmpx_lt_u32_e32 0xffffff, v15
	s_cbranch_execz .LBB230_275
; %bb.268:                              ;   in Loop: Header=BB230_16 Depth=1
	v_mov_b32_e32 v83, v68
	v_cmp_ne_u32_sdwa s1, v15, v87 src0_sel:BYTE_3 src1_sel:DWORD
	v_mov_b32_e32 v11, v83
	v_mov_b32_e32 v12, v84
	s_and_saveexec_b32 s49, s1
	s_cbranch_execz .LBB230_274
; %bb.269:                              ;   in Loop: Header=BB230_16 Depth=1
	v_mov_b32_e32 v81, v68
	v_bfe_u32 v16, v15, 24, 7
	s_mov_b32 s50, exec_lo
	v_mov_b32_e32 v11, v81
	v_mov_b32_e32 v12, v82
	v_cmpx_ne_u32_e32 0x7f, v16
	s_cbranch_execz .LBB230_273
; %bb.270:                              ;   in Loop: Header=BB230_16 Depth=1
	v_mov_b32_e32 v11, 7
	s_mov_b32 s51, exec_lo
	v_and_b32_sdwa v67, v15, v11 dst_sel:DWORD dst_unused:UNUSED_PAD src0_sel:BYTE_3 src1_sel:DWORD
	v_lshrrev_b32_e32 v11, 3, v16
	v_cmpx_gt_u32_e32 8, v16
; %bb.271:                              ;   in Loop: Header=BB230_16 Depth=1
	v_ffbh_u32_e32 v11, v67
	v_min_u32_e32 v11, 32, v11
	v_subrev_nc_u32_e32 v12, 28, v11
	v_sub_nc_u32_e32 v11, 29, v11
	v_lshlrev_b64 v[16:17], v12, v[67:68]
	v_and_b32_e32 v67, 7, v16
; %bb.272:                              ;   in Loop: Header=BB230_16 Depth=1
	s_or_b32 exec_lo, exec_lo, s51
	v_mov_b32_e32 v12, 24
	v_lshl_add_u32 v11, v11, 23, 0x3c000000
	v_lshlrev_b32_sdwa v12, v12, v15 dst_sel:DWORD dst_unused:UNUSED_PAD src0_sel:DWORD src1_sel:BYTE_3
	v_lshlrev_b32_e32 v15, 20, v67
	v_and_b32_e32 v12, 0x80000000, v12
	v_or3_b32 v12, v15, v12, v11
	v_mov_b32_e32 v11, v68
.LBB230_273:                            ;   in Loop: Header=BB230_16 Depth=1
	s_or_b32 exec_lo, exec_lo, s50
.LBB230_274:                            ;   in Loop: Header=BB230_16 Depth=1
	s_or_b32 exec_lo, exec_lo, s49
.LBB230_275:                            ;   in Loop: Header=BB230_16 Depth=1
	s_or_b32 exec_lo, exec_lo, s48
	global_load_dword v23, v[89:90], off offset:1024
	v_mov_b32_e32 v17, 0
	v_mov_b32_e32 v15, 0
	;; [unrolled: 1-line block ×4, first 2 shown]
	s_waitcnt vmcnt(0)
	v_cmp_ne_u16_sdwa s1, v23, v68 src0_sel:BYTE_0 src1_sel:DWORD
	s_and_saveexec_b32 s48, s1
	s_cbranch_execz .LBB230_283
; %bb.276:                              ;   in Loop: Header=BB230_16 Depth=1
	v_bfrev_b32_e32 v15, 1
	v_mov_b32_e32 v16, 0
	v_cmp_ne_u16_sdwa s1, v23, v87 src0_sel:BYTE_0 src1_sel:DWORD
	s_and_saveexec_b32 s49, s1
	s_cbranch_execz .LBB230_282
; %bb.277:                              ;   in Loop: Header=BB230_16 Depth=1
	v_mov_b32_e32 v15, 0x7f800001
	v_and_b32_e32 v19, 0x7f, v23
	v_mov_b32_e32 v16, 0
	s_mov_b32 s50, exec_lo
	v_cmpx_ne_u32_e32 0x7f, v19
	s_cbranch_execz .LBB230_281
; %bb.278:                              ;   in Loop: Header=BB230_16 Depth=1
	v_and_b32_e32 v67, 7, v23
	v_lshrrev_b32_e32 v15, 3, v19
	s_mov_b32 s51, exec_lo
	v_cmpx_gt_u32_e32 8, v19
; %bb.279:                              ;   in Loop: Header=BB230_16 Depth=1
	v_ffbh_u32_e32 v15, v67
	v_min_u32_e32 v15, 32, v15
	v_subrev_nc_u32_e32 v16, 28, v15
	v_sub_nc_u32_e32 v15, 29, v15
	v_lshlrev_b64 v[19:20], v16, v[67:68]
	v_and_b32_e32 v67, 7, v19
; %bb.280:                              ;   in Loop: Header=BB230_16 Depth=1
	s_or_b32 exec_lo, exec_lo, s51
	v_lshlrev_b32_e32 v16, 24, v23
	v_lshlrev_b32_e32 v19, 20, v67
	v_lshl_add_u32 v15, v15, 23, 0x3c000000
	v_and_b32_e32 v16, 0x80000000, v16
	v_or3_b32 v67, v19, v16, v15
	v_mov_b32_e32 v15, v67
	v_mov_b32_e32 v16, v68
.LBB230_281:                            ;   in Loop: Header=BB230_16 Depth=1
	s_or_b32 exec_lo, exec_lo, s50
.LBB230_282:                            ;   in Loop: Header=BB230_16 Depth=1
	s_or_b32 exec_lo, exec_lo, s49
.LBB230_283:                            ;   in Loop: Header=BB230_16 Depth=1
	s_or_b32 exec_lo, exec_lo, s48
	v_cmp_ne_u16_sdwa s1, v23, v68 src0_sel:BYTE_1 src1_sel:DWORD
	s_and_saveexec_b32 s48, s1
	s_cbranch_execz .LBB230_291
; %bb.284:                              ;   in Loop: Header=BB230_16 Depth=1
	v_mov_b32_e32 v83, v68
	v_cmp_ne_u16_sdwa s1, v23, v87 src0_sel:BYTE_1 src1_sel:DWORD
	v_mov_b32_e32 v17, v83
	v_mov_b32_e32 v18, v84
	s_and_saveexec_b32 s49, s1
	s_cbranch_execz .LBB230_290
; %bb.285:                              ;   in Loop: Header=BB230_16 Depth=1
	v_mov_b32_e32 v81, v68
	v_and_b32_sdwa v20, v100, v23 dst_sel:DWORD dst_unused:UNUSED_PAD src0_sel:DWORD src1_sel:BYTE_1
	s_mov_b32 s50, exec_lo
	v_mov_b32_e32 v17, v81
	v_and_b32_e32 v19, 0x7f, v20
	v_mov_b32_e32 v18, v82
	v_cmpx_ne_u32_e32 0x7f, v19
	s_cbranch_execz .LBB230_289
; %bb.286:                              ;   in Loop: Header=BB230_16 Depth=1
	v_and_b32_e32 v67, 7, v20
	v_lshrrev_b32_e32 v17, 3, v19
	s_mov_b32 s51, exec_lo
	v_cmpx_gt_u32_e32 8, v19
; %bb.287:                              ;   in Loop: Header=BB230_16 Depth=1
	v_ffbh_u32_e32 v17, v67
	v_min_u32_e32 v17, 32, v17
	v_subrev_nc_u32_e32 v18, 28, v17
	v_sub_nc_u32_e32 v17, 29, v17
	v_lshlrev_b64 v[18:19], v18, v[67:68]
	v_and_b32_e32 v67, 7, v18
; %bb.288:                              ;   in Loop: Header=BB230_16 Depth=1
	s_or_b32 exec_lo, exec_lo, s51
	v_lshlrev_b32_e32 v18, 16, v23
	v_lshlrev_b32_e32 v19, 20, v67
	v_lshl_add_u32 v17, v17, 23, 0x3c000000
	v_and_b32_e32 v18, 0x80000000, v18
	v_or3_b32 v18, v19, v18, v17
	v_mov_b32_e32 v17, v68
.LBB230_289:                            ;   in Loop: Header=BB230_16 Depth=1
	s_or_b32 exec_lo, exec_lo, s50
.LBB230_290:                            ;   in Loop: Header=BB230_16 Depth=1
	s_or_b32 exec_lo, exec_lo, s49
.LBB230_291:                            ;   in Loop: Header=BB230_16 Depth=1
	s_or_b32 exec_lo, exec_lo, s48
	v_mov_b32_e32 v19, 0
	v_mov_b32_e32 v21, 0
	v_and_b32_sdwa v24, v23, v88 dst_sel:DWORD dst_unused:UNUSED_PAD src0_sel:WORD_1 src1_sel:DWORD
	v_mov_b32_e32 v20, 0
	v_mov_b32_e32 v22, 0
	s_mov_b32 s48, exec_lo
	v_cmpx_ne_u16_e32 0, v24
	s_cbranch_execz .LBB230_299
; %bb.292:                              ;   in Loop: Header=BB230_16 Depth=1
	v_bfrev_b32_e32 v21, 1
	v_mov_b32_e32 v22, 0
	s_mov_b32 s49, exec_lo
	v_cmpx_ne_u16_e32 0x80, v24
	s_cbranch_execz .LBB230_298
; %bb.293:                              ;   in Loop: Header=BB230_16 Depth=1
	v_mov_b32_e32 v21, 0x7f800001
	v_bfe_u32 v24, v23, 16, 7
	v_mov_b32_e32 v22, 0
	s_mov_b32 s50, exec_lo
	v_cmpx_ne_u32_e32 0x7f, v24
	s_cbranch_execz .LBB230_297
; %bb.294:                              ;   in Loop: Header=BB230_16 Depth=1
	v_mov_b32_e32 v21, 7
	s_mov_b32 s51, exec_lo
	v_and_b32_sdwa v67, v23, v21 dst_sel:DWORD dst_unused:UNUSED_PAD src0_sel:WORD_1 src1_sel:DWORD
	v_lshrrev_b32_e32 v21, 3, v24
	v_cmpx_gt_u32_e32 8, v24
; %bb.295:                              ;   in Loop: Header=BB230_16 Depth=1
	v_ffbh_u32_e32 v21, v67
	v_min_u32_e32 v21, 32, v21
	v_subrev_nc_u32_e32 v22, 28, v21
	v_sub_nc_u32_e32 v21, 29, v21
	v_lshlrev_b64 v[24:25], v22, v[67:68]
	v_and_b32_e32 v67, 7, v24
; %bb.296:                              ;   in Loop: Header=BB230_16 Depth=1
	s_or_b32 exec_lo, exec_lo, s51
	v_mov_b32_e32 v22, 24
	v_lshlrev_b32_e32 v24, 20, v67
	v_lshl_add_u32 v21, v21, 23, 0x3c000000
	v_lshlrev_b32_sdwa v22, v22, v23 dst_sel:DWORD dst_unused:UNUSED_PAD src0_sel:DWORD src1_sel:WORD_1
	v_and_b32_e32 v22, 0x80000000, v22
	v_or3_b32 v67, v24, v22, v21
	v_mov_b32_e32 v21, v67
	v_mov_b32_e32 v22, v68
.LBB230_297:                            ;   in Loop: Header=BB230_16 Depth=1
	s_or_b32 exec_lo, exec_lo, s50
.LBB230_298:                            ;   in Loop: Header=BB230_16 Depth=1
	s_or_b32 exec_lo, exec_lo, s49
.LBB230_299:                            ;   in Loop: Header=BB230_16 Depth=1
	s_or_b32 exec_lo, exec_lo, s48
	s_mov_b32 s48, exec_lo
	v_cmpx_lt_u32_e32 0xffffff, v23
	s_cbranch_execz .LBB230_307
; %bb.300:                              ;   in Loop: Header=BB230_16 Depth=1
	v_mov_b32_e32 v83, v68
	v_cmp_ne_u32_sdwa s1, v23, v87 src0_sel:BYTE_3 src1_sel:DWORD
	v_mov_b32_e32 v19, v83
	v_mov_b32_e32 v20, v84
	s_and_saveexec_b32 s49, s1
	s_cbranch_execz .LBB230_306
; %bb.301:                              ;   in Loop: Header=BB230_16 Depth=1
	v_mov_b32_e32 v81, v68
	v_bfe_u32 v24, v23, 24, 7
	s_mov_b32 s50, exec_lo
	v_mov_b32_e32 v19, v81
	v_mov_b32_e32 v20, v82
	v_cmpx_ne_u32_e32 0x7f, v24
	s_cbranch_execz .LBB230_305
; %bb.302:                              ;   in Loop: Header=BB230_16 Depth=1
	v_mov_b32_e32 v19, 7
	s_mov_b32 s51, exec_lo
	v_and_b32_sdwa v67, v23, v19 dst_sel:DWORD dst_unused:UNUSED_PAD src0_sel:BYTE_3 src1_sel:DWORD
	v_lshrrev_b32_e32 v19, 3, v24
	v_cmpx_gt_u32_e32 8, v24
; %bb.303:                              ;   in Loop: Header=BB230_16 Depth=1
	v_ffbh_u32_e32 v19, v67
	v_min_u32_e32 v19, 32, v19
	v_subrev_nc_u32_e32 v20, 28, v19
	v_sub_nc_u32_e32 v19, 29, v19
	v_lshlrev_b64 v[24:25], v20, v[67:68]
	v_and_b32_e32 v67, 7, v24
; %bb.304:                              ;   in Loop: Header=BB230_16 Depth=1
	s_or_b32 exec_lo, exec_lo, s51
	v_mov_b32_e32 v20, 24
	v_lshl_add_u32 v19, v19, 23, 0x3c000000
	v_lshlrev_b32_sdwa v20, v20, v23 dst_sel:DWORD dst_unused:UNUSED_PAD src0_sel:DWORD src1_sel:BYTE_3
	v_lshlrev_b32_e32 v23, 20, v67
	v_and_b32_e32 v20, 0x80000000, v20
	v_or3_b32 v20, v23, v20, v19
	v_mov_b32_e32 v19, v68
.LBB230_305:                            ;   in Loop: Header=BB230_16 Depth=1
	s_or_b32 exec_lo, exec_lo, s50
.LBB230_306:                            ;   in Loop: Header=BB230_16 Depth=1
	s_or_b32 exec_lo, exec_lo, s49
.LBB230_307:                            ;   in Loop: Header=BB230_16 Depth=1
	s_or_b32 exec_lo, exec_lo, s48
	global_load_dword v31, v[89:90], off offset:1028
	v_mov_b32_e32 v25, 0
	v_mov_b32_e32 v23, 0
	;; [unrolled: 1-line block ×4, first 2 shown]
	s_waitcnt vmcnt(0)
	v_cmp_ne_u16_sdwa s1, v31, v68 src0_sel:BYTE_0 src1_sel:DWORD
	s_and_saveexec_b32 s48, s1
	s_cbranch_execz .LBB230_315
; %bb.308:                              ;   in Loop: Header=BB230_16 Depth=1
	v_bfrev_b32_e32 v23, 1
	v_mov_b32_e32 v24, 0
	v_cmp_ne_u16_sdwa s1, v31, v87 src0_sel:BYTE_0 src1_sel:DWORD
	s_and_saveexec_b32 s49, s1
	s_cbranch_execz .LBB230_314
; %bb.309:                              ;   in Loop: Header=BB230_16 Depth=1
	v_mov_b32_e32 v23, 0x7f800001
	v_and_b32_e32 v27, 0x7f, v31
	v_mov_b32_e32 v24, 0
	s_mov_b32 s50, exec_lo
	v_cmpx_ne_u32_e32 0x7f, v27
	s_cbranch_execz .LBB230_313
; %bb.310:                              ;   in Loop: Header=BB230_16 Depth=1
	v_and_b32_e32 v67, 7, v31
	v_lshrrev_b32_e32 v23, 3, v27
	s_mov_b32 s51, exec_lo
	v_cmpx_gt_u32_e32 8, v27
; %bb.311:                              ;   in Loop: Header=BB230_16 Depth=1
	v_ffbh_u32_e32 v23, v67
	v_min_u32_e32 v23, 32, v23
	v_subrev_nc_u32_e32 v24, 28, v23
	v_sub_nc_u32_e32 v23, 29, v23
	v_lshlrev_b64 v[27:28], v24, v[67:68]
	v_and_b32_e32 v67, 7, v27
; %bb.312:                              ;   in Loop: Header=BB230_16 Depth=1
	s_or_b32 exec_lo, exec_lo, s51
	v_lshlrev_b32_e32 v24, 24, v31
	v_lshlrev_b32_e32 v27, 20, v67
	v_lshl_add_u32 v23, v23, 23, 0x3c000000
	v_and_b32_e32 v24, 0x80000000, v24
	v_or3_b32 v67, v27, v24, v23
	v_mov_b32_e32 v23, v67
	v_mov_b32_e32 v24, v68
.LBB230_313:                            ;   in Loop: Header=BB230_16 Depth=1
	s_or_b32 exec_lo, exec_lo, s50
.LBB230_314:                            ;   in Loop: Header=BB230_16 Depth=1
	s_or_b32 exec_lo, exec_lo, s49
.LBB230_315:                            ;   in Loop: Header=BB230_16 Depth=1
	s_or_b32 exec_lo, exec_lo, s48
	v_cmp_ne_u16_sdwa s1, v31, v68 src0_sel:BYTE_1 src1_sel:DWORD
	s_and_saveexec_b32 s48, s1
	s_cbranch_execz .LBB230_323
; %bb.316:                              ;   in Loop: Header=BB230_16 Depth=1
	v_mov_b32_e32 v83, v68
	v_cmp_ne_u16_sdwa s1, v31, v87 src0_sel:BYTE_1 src1_sel:DWORD
	v_mov_b32_e32 v25, v83
	v_mov_b32_e32 v26, v84
	s_and_saveexec_b32 s49, s1
	s_cbranch_execz .LBB230_322
; %bb.317:                              ;   in Loop: Header=BB230_16 Depth=1
	v_mov_b32_e32 v81, v68
	v_and_b32_sdwa v28, v100, v31 dst_sel:DWORD dst_unused:UNUSED_PAD src0_sel:DWORD src1_sel:BYTE_1
	s_mov_b32 s50, exec_lo
	v_mov_b32_e32 v25, v81
	v_and_b32_e32 v27, 0x7f, v28
	v_mov_b32_e32 v26, v82
	v_cmpx_ne_u32_e32 0x7f, v27
	s_cbranch_execz .LBB230_321
; %bb.318:                              ;   in Loop: Header=BB230_16 Depth=1
	v_and_b32_e32 v67, 7, v28
	v_lshrrev_b32_e32 v25, 3, v27
	s_mov_b32 s51, exec_lo
	v_cmpx_gt_u32_e32 8, v27
; %bb.319:                              ;   in Loop: Header=BB230_16 Depth=1
	v_ffbh_u32_e32 v25, v67
	v_min_u32_e32 v25, 32, v25
	v_subrev_nc_u32_e32 v26, 28, v25
	v_sub_nc_u32_e32 v25, 29, v25
	v_lshlrev_b64 v[26:27], v26, v[67:68]
	v_and_b32_e32 v67, 7, v26
; %bb.320:                              ;   in Loop: Header=BB230_16 Depth=1
	s_or_b32 exec_lo, exec_lo, s51
	v_lshlrev_b32_e32 v26, 16, v31
	v_lshlrev_b32_e32 v27, 20, v67
	v_lshl_add_u32 v25, v25, 23, 0x3c000000
	v_and_b32_e32 v26, 0x80000000, v26
	v_or3_b32 v26, v27, v26, v25
	v_mov_b32_e32 v25, v68
.LBB230_321:                            ;   in Loop: Header=BB230_16 Depth=1
	s_or_b32 exec_lo, exec_lo, s50
.LBB230_322:                            ;   in Loop: Header=BB230_16 Depth=1
	s_or_b32 exec_lo, exec_lo, s49
.LBB230_323:                            ;   in Loop: Header=BB230_16 Depth=1
	s_or_b32 exec_lo, exec_lo, s48
	v_mov_b32_e32 v27, 0
	v_mov_b32_e32 v29, 0
	v_and_b32_sdwa v32, v31, v88 dst_sel:DWORD dst_unused:UNUSED_PAD src0_sel:WORD_1 src1_sel:DWORD
	v_mov_b32_e32 v28, 0
	v_mov_b32_e32 v30, 0
	s_mov_b32 s48, exec_lo
	v_cmpx_ne_u16_e32 0, v32
	s_cbranch_execz .LBB230_331
; %bb.324:                              ;   in Loop: Header=BB230_16 Depth=1
	v_bfrev_b32_e32 v29, 1
	v_mov_b32_e32 v30, 0
	s_mov_b32 s49, exec_lo
	v_cmpx_ne_u16_e32 0x80, v32
	s_cbranch_execz .LBB230_330
; %bb.325:                              ;   in Loop: Header=BB230_16 Depth=1
	v_mov_b32_e32 v29, 0x7f800001
	v_bfe_u32 v32, v31, 16, 7
	v_mov_b32_e32 v30, 0
	s_mov_b32 s50, exec_lo
	v_cmpx_ne_u32_e32 0x7f, v32
	s_cbranch_execz .LBB230_329
; %bb.326:                              ;   in Loop: Header=BB230_16 Depth=1
	v_mov_b32_e32 v29, 7
	s_mov_b32 s51, exec_lo
	v_and_b32_sdwa v67, v31, v29 dst_sel:DWORD dst_unused:UNUSED_PAD src0_sel:WORD_1 src1_sel:DWORD
	v_lshrrev_b32_e32 v29, 3, v32
	v_cmpx_gt_u32_e32 8, v32
; %bb.327:                              ;   in Loop: Header=BB230_16 Depth=1
	v_ffbh_u32_e32 v29, v67
	v_min_u32_e32 v29, 32, v29
	v_subrev_nc_u32_e32 v30, 28, v29
	v_sub_nc_u32_e32 v29, 29, v29
	v_lshlrev_b64 v[32:33], v30, v[67:68]
	v_and_b32_e32 v67, 7, v32
; %bb.328:                              ;   in Loop: Header=BB230_16 Depth=1
	s_or_b32 exec_lo, exec_lo, s51
	v_mov_b32_e32 v30, 24
	v_lshlrev_b32_e32 v32, 20, v67
	v_lshl_add_u32 v29, v29, 23, 0x3c000000
	v_lshlrev_b32_sdwa v30, v30, v31 dst_sel:DWORD dst_unused:UNUSED_PAD src0_sel:DWORD src1_sel:WORD_1
	v_and_b32_e32 v30, 0x80000000, v30
	v_or3_b32 v67, v32, v30, v29
	v_mov_b32_e32 v29, v67
	v_mov_b32_e32 v30, v68
.LBB230_329:                            ;   in Loop: Header=BB230_16 Depth=1
	s_or_b32 exec_lo, exec_lo, s50
.LBB230_330:                            ;   in Loop: Header=BB230_16 Depth=1
	s_or_b32 exec_lo, exec_lo, s49
.LBB230_331:                            ;   in Loop: Header=BB230_16 Depth=1
	s_or_b32 exec_lo, exec_lo, s48
	s_mov_b32 s48, exec_lo
	v_cmpx_lt_u32_e32 0xffffff, v31
	s_cbranch_execz .LBB230_339
; %bb.332:                              ;   in Loop: Header=BB230_16 Depth=1
	v_mov_b32_e32 v83, v68
	v_cmp_ne_u32_sdwa s1, v31, v87 src0_sel:BYTE_3 src1_sel:DWORD
	v_mov_b32_e32 v27, v83
	v_mov_b32_e32 v28, v84
	s_and_saveexec_b32 s49, s1
	s_cbranch_execz .LBB230_338
; %bb.333:                              ;   in Loop: Header=BB230_16 Depth=1
	v_mov_b32_e32 v81, v68
	v_bfe_u32 v32, v31, 24, 7
	s_mov_b32 s50, exec_lo
	v_mov_b32_e32 v27, v81
	v_mov_b32_e32 v28, v82
	v_cmpx_ne_u32_e32 0x7f, v32
	s_cbranch_execz .LBB230_337
; %bb.334:                              ;   in Loop: Header=BB230_16 Depth=1
	v_mov_b32_e32 v27, 7
	s_mov_b32 s51, exec_lo
	v_and_b32_sdwa v67, v31, v27 dst_sel:DWORD dst_unused:UNUSED_PAD src0_sel:BYTE_3 src1_sel:DWORD
	v_lshrrev_b32_e32 v27, 3, v32
	v_cmpx_gt_u32_e32 8, v32
; %bb.335:                              ;   in Loop: Header=BB230_16 Depth=1
	v_ffbh_u32_e32 v27, v67
	v_min_u32_e32 v27, 32, v27
	v_subrev_nc_u32_e32 v28, 28, v27
	v_sub_nc_u32_e32 v27, 29, v27
	v_lshlrev_b64 v[32:33], v28, v[67:68]
	v_and_b32_e32 v67, 7, v32
; %bb.336:                              ;   in Loop: Header=BB230_16 Depth=1
	s_or_b32 exec_lo, exec_lo, s51
	v_mov_b32_e32 v28, 24
	v_lshl_add_u32 v27, v27, 23, 0x3c000000
	v_lshlrev_b32_sdwa v28, v28, v31 dst_sel:DWORD dst_unused:UNUSED_PAD src0_sel:DWORD src1_sel:BYTE_3
	v_lshlrev_b32_e32 v31, 20, v67
	v_and_b32_e32 v28, 0x80000000, v28
	v_or3_b32 v28, v31, v28, v27
	v_mov_b32_e32 v27, v68
.LBB230_337:                            ;   in Loop: Header=BB230_16 Depth=1
	s_or_b32 exec_lo, exec_lo, s50
.LBB230_338:                            ;   in Loop: Header=BB230_16 Depth=1
	s_or_b32 exec_lo, exec_lo, s49
.LBB230_339:                            ;   in Loop: Header=BB230_16 Depth=1
	s_or_b32 exec_lo, exec_lo, s48
	global_load_dword v39, v[89:90], off offset:1032
	v_mov_b32_e32 v33, 0
	v_mov_b32_e32 v31, 0
	;; [unrolled: 1-line block ×4, first 2 shown]
	s_waitcnt vmcnt(0)
	v_cmp_ne_u16_sdwa s1, v39, v68 src0_sel:BYTE_0 src1_sel:DWORD
	s_and_saveexec_b32 s48, s1
	s_cbranch_execz .LBB230_347
; %bb.340:                              ;   in Loop: Header=BB230_16 Depth=1
	v_bfrev_b32_e32 v31, 1
	v_mov_b32_e32 v32, 0
	v_cmp_ne_u16_sdwa s1, v39, v87 src0_sel:BYTE_0 src1_sel:DWORD
	s_and_saveexec_b32 s49, s1
	s_cbranch_execz .LBB230_346
; %bb.341:                              ;   in Loop: Header=BB230_16 Depth=1
	v_mov_b32_e32 v31, 0x7f800001
	v_and_b32_e32 v35, 0x7f, v39
	v_mov_b32_e32 v32, 0
	s_mov_b32 s50, exec_lo
	v_cmpx_ne_u32_e32 0x7f, v35
	s_cbranch_execz .LBB230_345
; %bb.342:                              ;   in Loop: Header=BB230_16 Depth=1
	v_and_b32_e32 v67, 7, v39
	v_lshrrev_b32_e32 v31, 3, v35
	s_mov_b32 s51, exec_lo
	v_cmpx_gt_u32_e32 8, v35
; %bb.343:                              ;   in Loop: Header=BB230_16 Depth=1
	v_ffbh_u32_e32 v31, v67
	v_min_u32_e32 v31, 32, v31
	v_subrev_nc_u32_e32 v32, 28, v31
	v_sub_nc_u32_e32 v31, 29, v31
	v_lshlrev_b64 v[35:36], v32, v[67:68]
	v_and_b32_e32 v67, 7, v35
; %bb.344:                              ;   in Loop: Header=BB230_16 Depth=1
	s_or_b32 exec_lo, exec_lo, s51
	v_lshlrev_b32_e32 v32, 24, v39
	v_lshlrev_b32_e32 v35, 20, v67
	v_lshl_add_u32 v31, v31, 23, 0x3c000000
	v_and_b32_e32 v32, 0x80000000, v32
	v_or3_b32 v67, v35, v32, v31
	v_mov_b32_e32 v31, v67
	v_mov_b32_e32 v32, v68
.LBB230_345:                            ;   in Loop: Header=BB230_16 Depth=1
	s_or_b32 exec_lo, exec_lo, s50
.LBB230_346:                            ;   in Loop: Header=BB230_16 Depth=1
	s_or_b32 exec_lo, exec_lo, s49
.LBB230_347:                            ;   in Loop: Header=BB230_16 Depth=1
	s_or_b32 exec_lo, exec_lo, s48
	v_cmp_ne_u16_sdwa s1, v39, v68 src0_sel:BYTE_1 src1_sel:DWORD
	s_and_saveexec_b32 s48, s1
	s_cbranch_execz .LBB230_355
; %bb.348:                              ;   in Loop: Header=BB230_16 Depth=1
	v_mov_b32_e32 v83, v68
	v_cmp_ne_u16_sdwa s1, v39, v87 src0_sel:BYTE_1 src1_sel:DWORD
	v_mov_b32_e32 v33, v83
	v_mov_b32_e32 v34, v84
	s_and_saveexec_b32 s49, s1
	s_cbranch_execz .LBB230_354
; %bb.349:                              ;   in Loop: Header=BB230_16 Depth=1
	v_mov_b32_e32 v81, v68
	v_and_b32_sdwa v36, v100, v39 dst_sel:DWORD dst_unused:UNUSED_PAD src0_sel:DWORD src1_sel:BYTE_1
	s_mov_b32 s50, exec_lo
	v_mov_b32_e32 v33, v81
	v_and_b32_e32 v35, 0x7f, v36
	v_mov_b32_e32 v34, v82
	v_cmpx_ne_u32_e32 0x7f, v35
	s_cbranch_execz .LBB230_353
; %bb.350:                              ;   in Loop: Header=BB230_16 Depth=1
	v_and_b32_e32 v67, 7, v36
	v_lshrrev_b32_e32 v33, 3, v35
	s_mov_b32 s51, exec_lo
	v_cmpx_gt_u32_e32 8, v35
; %bb.351:                              ;   in Loop: Header=BB230_16 Depth=1
	v_ffbh_u32_e32 v33, v67
	v_min_u32_e32 v33, 32, v33
	v_subrev_nc_u32_e32 v34, 28, v33
	v_sub_nc_u32_e32 v33, 29, v33
	v_lshlrev_b64 v[34:35], v34, v[67:68]
	v_and_b32_e32 v67, 7, v34
; %bb.352:                              ;   in Loop: Header=BB230_16 Depth=1
	s_or_b32 exec_lo, exec_lo, s51
	v_lshlrev_b32_e32 v34, 16, v39
	v_lshlrev_b32_e32 v35, 20, v67
	v_lshl_add_u32 v33, v33, 23, 0x3c000000
	v_and_b32_e32 v34, 0x80000000, v34
	v_or3_b32 v34, v35, v34, v33
	v_mov_b32_e32 v33, v68
.LBB230_353:                            ;   in Loop: Header=BB230_16 Depth=1
	s_or_b32 exec_lo, exec_lo, s50
.LBB230_354:                            ;   in Loop: Header=BB230_16 Depth=1
	s_or_b32 exec_lo, exec_lo, s49
.LBB230_355:                            ;   in Loop: Header=BB230_16 Depth=1
	s_or_b32 exec_lo, exec_lo, s48
	v_mov_b32_e32 v35, 0
	v_mov_b32_e32 v37, 0
	v_and_b32_sdwa v40, v39, v88 dst_sel:DWORD dst_unused:UNUSED_PAD src0_sel:WORD_1 src1_sel:DWORD
	v_mov_b32_e32 v36, 0
	v_mov_b32_e32 v38, 0
	s_mov_b32 s48, exec_lo
	v_cmpx_ne_u16_e32 0, v40
	s_cbranch_execz .LBB230_363
; %bb.356:                              ;   in Loop: Header=BB230_16 Depth=1
	v_bfrev_b32_e32 v37, 1
	v_mov_b32_e32 v38, 0
	s_mov_b32 s49, exec_lo
	v_cmpx_ne_u16_e32 0x80, v40
	s_cbranch_execz .LBB230_362
; %bb.357:                              ;   in Loop: Header=BB230_16 Depth=1
	v_mov_b32_e32 v37, 0x7f800001
	v_bfe_u32 v40, v39, 16, 7
	v_mov_b32_e32 v38, 0
	s_mov_b32 s50, exec_lo
	v_cmpx_ne_u32_e32 0x7f, v40
	s_cbranch_execz .LBB230_361
; %bb.358:                              ;   in Loop: Header=BB230_16 Depth=1
	v_mov_b32_e32 v37, 7
	s_mov_b32 s51, exec_lo
	v_and_b32_sdwa v67, v39, v37 dst_sel:DWORD dst_unused:UNUSED_PAD src0_sel:WORD_1 src1_sel:DWORD
	v_lshrrev_b32_e32 v37, 3, v40
	v_cmpx_gt_u32_e32 8, v40
; %bb.359:                              ;   in Loop: Header=BB230_16 Depth=1
	v_ffbh_u32_e32 v37, v67
	v_min_u32_e32 v37, 32, v37
	v_subrev_nc_u32_e32 v38, 28, v37
	v_sub_nc_u32_e32 v37, 29, v37
	v_lshlrev_b64 v[40:41], v38, v[67:68]
	v_and_b32_e32 v67, 7, v40
; %bb.360:                              ;   in Loop: Header=BB230_16 Depth=1
	s_or_b32 exec_lo, exec_lo, s51
	v_mov_b32_e32 v38, 24
	v_lshlrev_b32_e32 v40, 20, v67
	v_lshl_add_u32 v37, v37, 23, 0x3c000000
	v_lshlrev_b32_sdwa v38, v38, v39 dst_sel:DWORD dst_unused:UNUSED_PAD src0_sel:DWORD src1_sel:WORD_1
	v_and_b32_e32 v38, 0x80000000, v38
	v_or3_b32 v67, v40, v38, v37
	v_mov_b32_e32 v37, v67
	v_mov_b32_e32 v38, v68
.LBB230_361:                            ;   in Loop: Header=BB230_16 Depth=1
	s_or_b32 exec_lo, exec_lo, s50
.LBB230_362:                            ;   in Loop: Header=BB230_16 Depth=1
	s_or_b32 exec_lo, exec_lo, s49
.LBB230_363:                            ;   in Loop: Header=BB230_16 Depth=1
	s_or_b32 exec_lo, exec_lo, s48
	s_mov_b32 s48, exec_lo
	v_cmpx_lt_u32_e32 0xffffff, v39
	s_cbranch_execz .LBB230_371
; %bb.364:                              ;   in Loop: Header=BB230_16 Depth=1
	v_mov_b32_e32 v83, v68
	v_cmp_ne_u32_sdwa s1, v39, v87 src0_sel:BYTE_3 src1_sel:DWORD
	v_mov_b32_e32 v35, v83
	v_mov_b32_e32 v36, v84
	s_and_saveexec_b32 s49, s1
	s_cbranch_execz .LBB230_370
; %bb.365:                              ;   in Loop: Header=BB230_16 Depth=1
	v_mov_b32_e32 v81, v68
	v_bfe_u32 v40, v39, 24, 7
	s_mov_b32 s50, exec_lo
	v_mov_b32_e32 v35, v81
	v_mov_b32_e32 v36, v82
	v_cmpx_ne_u32_e32 0x7f, v40
	s_cbranch_execz .LBB230_369
; %bb.366:                              ;   in Loop: Header=BB230_16 Depth=1
	v_mov_b32_e32 v35, 7
	s_mov_b32 s51, exec_lo
	v_and_b32_sdwa v67, v39, v35 dst_sel:DWORD dst_unused:UNUSED_PAD src0_sel:BYTE_3 src1_sel:DWORD
	v_lshrrev_b32_e32 v35, 3, v40
	v_cmpx_gt_u32_e32 8, v40
; %bb.367:                              ;   in Loop: Header=BB230_16 Depth=1
	v_ffbh_u32_e32 v35, v67
	v_min_u32_e32 v35, 32, v35
	v_subrev_nc_u32_e32 v36, 28, v35
	v_sub_nc_u32_e32 v35, 29, v35
	v_lshlrev_b64 v[40:41], v36, v[67:68]
	v_and_b32_e32 v67, 7, v40
; %bb.368:                              ;   in Loop: Header=BB230_16 Depth=1
	s_or_b32 exec_lo, exec_lo, s51
	v_mov_b32_e32 v36, 24
	v_lshl_add_u32 v35, v35, 23, 0x3c000000
	v_lshlrev_b32_sdwa v36, v36, v39 dst_sel:DWORD dst_unused:UNUSED_PAD src0_sel:DWORD src1_sel:BYTE_3
	v_lshlrev_b32_e32 v39, 20, v67
	v_and_b32_e32 v36, 0x80000000, v36
	v_or3_b32 v36, v39, v36, v35
	v_mov_b32_e32 v35, v68
.LBB230_369:                            ;   in Loop: Header=BB230_16 Depth=1
	s_or_b32 exec_lo, exec_lo, s50
.LBB230_370:                            ;   in Loop: Header=BB230_16 Depth=1
	s_or_b32 exec_lo, exec_lo, s49
.LBB230_371:                            ;   in Loop: Header=BB230_16 Depth=1
	s_or_b32 exec_lo, exec_lo, s48
	global_load_dword v47, v[89:90], off offset:1036
	v_mov_b32_e32 v41, 0
	v_mov_b32_e32 v39, 0
	;; [unrolled: 1-line block ×4, first 2 shown]
	s_waitcnt vmcnt(0)
	v_cmp_ne_u16_sdwa s1, v47, v68 src0_sel:BYTE_0 src1_sel:DWORD
	s_and_saveexec_b32 s48, s1
	s_cbranch_execz .LBB230_379
; %bb.372:                              ;   in Loop: Header=BB230_16 Depth=1
	v_bfrev_b32_e32 v39, 1
	v_mov_b32_e32 v40, 0
	v_cmp_ne_u16_sdwa s1, v47, v87 src0_sel:BYTE_0 src1_sel:DWORD
	s_and_saveexec_b32 s49, s1
	s_cbranch_execz .LBB230_378
; %bb.373:                              ;   in Loop: Header=BB230_16 Depth=1
	v_mov_b32_e32 v39, 0x7f800001
	v_and_b32_e32 v43, 0x7f, v47
	v_mov_b32_e32 v40, 0
	s_mov_b32 s50, exec_lo
	v_cmpx_ne_u32_e32 0x7f, v43
	s_cbranch_execz .LBB230_377
; %bb.374:                              ;   in Loop: Header=BB230_16 Depth=1
	v_and_b32_e32 v67, 7, v47
	v_lshrrev_b32_e32 v39, 3, v43
	s_mov_b32 s51, exec_lo
	v_cmpx_gt_u32_e32 8, v43
; %bb.375:                              ;   in Loop: Header=BB230_16 Depth=1
	v_ffbh_u32_e32 v39, v67
	v_min_u32_e32 v39, 32, v39
	v_subrev_nc_u32_e32 v40, 28, v39
	v_sub_nc_u32_e32 v39, 29, v39
	v_lshlrev_b64 v[43:44], v40, v[67:68]
	v_and_b32_e32 v67, 7, v43
; %bb.376:                              ;   in Loop: Header=BB230_16 Depth=1
	s_or_b32 exec_lo, exec_lo, s51
	v_lshlrev_b32_e32 v40, 24, v47
	v_lshlrev_b32_e32 v43, 20, v67
	v_lshl_add_u32 v39, v39, 23, 0x3c000000
	v_and_b32_e32 v40, 0x80000000, v40
	v_or3_b32 v67, v43, v40, v39
	v_mov_b32_e32 v39, v67
	v_mov_b32_e32 v40, v68
.LBB230_377:                            ;   in Loop: Header=BB230_16 Depth=1
	s_or_b32 exec_lo, exec_lo, s50
.LBB230_378:                            ;   in Loop: Header=BB230_16 Depth=1
	s_or_b32 exec_lo, exec_lo, s49
.LBB230_379:                            ;   in Loop: Header=BB230_16 Depth=1
	s_or_b32 exec_lo, exec_lo, s48
	v_cmp_ne_u16_sdwa s1, v47, v68 src0_sel:BYTE_1 src1_sel:DWORD
	s_and_saveexec_b32 s48, s1
	s_cbranch_execz .LBB230_387
; %bb.380:                              ;   in Loop: Header=BB230_16 Depth=1
	v_mov_b32_e32 v83, v68
	v_cmp_ne_u16_sdwa s1, v47, v87 src0_sel:BYTE_1 src1_sel:DWORD
	v_mov_b32_e32 v41, v83
	v_mov_b32_e32 v42, v84
	s_and_saveexec_b32 s49, s1
	s_cbranch_execz .LBB230_386
; %bb.381:                              ;   in Loop: Header=BB230_16 Depth=1
	v_mov_b32_e32 v81, v68
	v_and_b32_sdwa v44, v100, v47 dst_sel:DWORD dst_unused:UNUSED_PAD src0_sel:DWORD src1_sel:BYTE_1
	s_mov_b32 s50, exec_lo
	v_mov_b32_e32 v41, v81
	v_and_b32_e32 v43, 0x7f, v44
	v_mov_b32_e32 v42, v82
	v_cmpx_ne_u32_e32 0x7f, v43
	s_cbranch_execz .LBB230_385
; %bb.382:                              ;   in Loop: Header=BB230_16 Depth=1
	v_and_b32_e32 v67, 7, v44
	v_lshrrev_b32_e32 v41, 3, v43
	s_mov_b32 s51, exec_lo
	v_cmpx_gt_u32_e32 8, v43
; %bb.383:                              ;   in Loop: Header=BB230_16 Depth=1
	v_ffbh_u32_e32 v41, v67
	v_min_u32_e32 v41, 32, v41
	v_subrev_nc_u32_e32 v42, 28, v41
	v_sub_nc_u32_e32 v41, 29, v41
	v_lshlrev_b64 v[42:43], v42, v[67:68]
	v_and_b32_e32 v67, 7, v42
; %bb.384:                              ;   in Loop: Header=BB230_16 Depth=1
	s_or_b32 exec_lo, exec_lo, s51
	v_lshlrev_b32_e32 v42, 16, v47
	v_lshlrev_b32_e32 v43, 20, v67
	v_lshl_add_u32 v41, v41, 23, 0x3c000000
	v_and_b32_e32 v42, 0x80000000, v42
	v_or3_b32 v42, v43, v42, v41
	v_mov_b32_e32 v41, v68
.LBB230_385:                            ;   in Loop: Header=BB230_16 Depth=1
	s_or_b32 exec_lo, exec_lo, s50
.LBB230_386:                            ;   in Loop: Header=BB230_16 Depth=1
	s_or_b32 exec_lo, exec_lo, s49
.LBB230_387:                            ;   in Loop: Header=BB230_16 Depth=1
	s_or_b32 exec_lo, exec_lo, s48
	v_mov_b32_e32 v43, 0
	v_mov_b32_e32 v45, 0
	v_and_b32_sdwa v48, v47, v88 dst_sel:DWORD dst_unused:UNUSED_PAD src0_sel:WORD_1 src1_sel:DWORD
	v_mov_b32_e32 v44, 0
	v_mov_b32_e32 v46, 0
	s_mov_b32 s48, exec_lo
	v_cmpx_ne_u16_e32 0, v48
	s_cbranch_execz .LBB230_395
; %bb.388:                              ;   in Loop: Header=BB230_16 Depth=1
	v_bfrev_b32_e32 v45, 1
	v_mov_b32_e32 v46, 0
	s_mov_b32 s49, exec_lo
	v_cmpx_ne_u16_e32 0x80, v48
	s_cbranch_execz .LBB230_394
; %bb.389:                              ;   in Loop: Header=BB230_16 Depth=1
	v_mov_b32_e32 v45, 0x7f800001
	v_bfe_u32 v48, v47, 16, 7
	v_mov_b32_e32 v46, 0
	s_mov_b32 s50, exec_lo
	v_cmpx_ne_u32_e32 0x7f, v48
	s_cbranch_execz .LBB230_393
; %bb.390:                              ;   in Loop: Header=BB230_16 Depth=1
	v_mov_b32_e32 v45, 7
	s_mov_b32 s51, exec_lo
	v_and_b32_sdwa v67, v47, v45 dst_sel:DWORD dst_unused:UNUSED_PAD src0_sel:WORD_1 src1_sel:DWORD
	v_lshrrev_b32_e32 v45, 3, v48
	v_cmpx_gt_u32_e32 8, v48
; %bb.391:                              ;   in Loop: Header=BB230_16 Depth=1
	v_ffbh_u32_e32 v45, v67
	v_min_u32_e32 v45, 32, v45
	v_subrev_nc_u32_e32 v46, 28, v45
	v_sub_nc_u32_e32 v45, 29, v45
	v_lshlrev_b64 v[48:49], v46, v[67:68]
	v_and_b32_e32 v67, 7, v48
; %bb.392:                              ;   in Loop: Header=BB230_16 Depth=1
	s_or_b32 exec_lo, exec_lo, s51
	v_mov_b32_e32 v46, 24
	v_lshlrev_b32_e32 v48, 20, v67
	v_lshl_add_u32 v45, v45, 23, 0x3c000000
	v_lshlrev_b32_sdwa v46, v46, v47 dst_sel:DWORD dst_unused:UNUSED_PAD src0_sel:DWORD src1_sel:WORD_1
	v_and_b32_e32 v46, 0x80000000, v46
	v_or3_b32 v67, v48, v46, v45
	v_mov_b32_e32 v45, v67
	v_mov_b32_e32 v46, v68
.LBB230_393:                            ;   in Loop: Header=BB230_16 Depth=1
	s_or_b32 exec_lo, exec_lo, s50
.LBB230_394:                            ;   in Loop: Header=BB230_16 Depth=1
	s_or_b32 exec_lo, exec_lo, s49
.LBB230_395:                            ;   in Loop: Header=BB230_16 Depth=1
	s_or_b32 exec_lo, exec_lo, s48
	s_mov_b32 s48, exec_lo
	v_cmpx_lt_u32_e32 0xffffff, v47
	s_cbranch_execz .LBB230_403
; %bb.396:                              ;   in Loop: Header=BB230_16 Depth=1
	v_mov_b32_e32 v83, v68
	v_cmp_ne_u32_sdwa s1, v47, v87 src0_sel:BYTE_3 src1_sel:DWORD
	v_mov_b32_e32 v43, v83
	v_mov_b32_e32 v44, v84
	s_and_saveexec_b32 s49, s1
	s_cbranch_execz .LBB230_402
; %bb.397:                              ;   in Loop: Header=BB230_16 Depth=1
	v_mov_b32_e32 v81, v68
	v_bfe_u32 v48, v47, 24, 7
	s_mov_b32 s50, exec_lo
	v_mov_b32_e32 v43, v81
	v_mov_b32_e32 v44, v82
	v_cmpx_ne_u32_e32 0x7f, v48
	s_cbranch_execz .LBB230_401
; %bb.398:                              ;   in Loop: Header=BB230_16 Depth=1
	v_mov_b32_e32 v43, 7
	s_mov_b32 s51, exec_lo
	v_and_b32_sdwa v67, v47, v43 dst_sel:DWORD dst_unused:UNUSED_PAD src0_sel:BYTE_3 src1_sel:DWORD
	v_lshrrev_b32_e32 v43, 3, v48
	v_cmpx_gt_u32_e32 8, v48
; %bb.399:                              ;   in Loop: Header=BB230_16 Depth=1
	v_ffbh_u32_e32 v43, v67
	v_min_u32_e32 v43, 32, v43
	v_subrev_nc_u32_e32 v44, 28, v43
	v_sub_nc_u32_e32 v43, 29, v43
	v_lshlrev_b64 v[48:49], v44, v[67:68]
	v_and_b32_e32 v67, 7, v48
; %bb.400:                              ;   in Loop: Header=BB230_16 Depth=1
	s_or_b32 exec_lo, exec_lo, s51
	v_mov_b32_e32 v44, 24
	v_lshl_add_u32 v43, v43, 23, 0x3c000000
	v_lshlrev_b32_sdwa v44, v44, v47 dst_sel:DWORD dst_unused:UNUSED_PAD src0_sel:DWORD src1_sel:BYTE_3
	v_lshlrev_b32_e32 v47, 20, v67
	v_and_b32_e32 v44, 0x80000000, v44
	v_or3_b32 v44, v47, v44, v43
	v_mov_b32_e32 v43, v68
.LBB230_401:                            ;   in Loop: Header=BB230_16 Depth=1
	s_or_b32 exec_lo, exec_lo, s50
.LBB230_402:                            ;   in Loop: Header=BB230_16 Depth=1
	s_or_b32 exec_lo, exec_lo, s49
.LBB230_403:                            ;   in Loop: Header=BB230_16 Depth=1
	s_or_b32 exec_lo, exec_lo, s48
	global_load_dword v55, v[89:90], off offset:1536
	v_mov_b32_e32 v49, 0
	v_mov_b32_e32 v47, 0
	;; [unrolled: 1-line block ×4, first 2 shown]
	s_waitcnt vmcnt(0)
	v_cmp_ne_u16_sdwa s1, v55, v68 src0_sel:BYTE_0 src1_sel:DWORD
	s_and_saveexec_b32 s48, s1
	s_cbranch_execz .LBB230_411
; %bb.404:                              ;   in Loop: Header=BB230_16 Depth=1
	v_bfrev_b32_e32 v47, 1
	v_mov_b32_e32 v48, 0
	v_cmp_ne_u16_sdwa s1, v55, v87 src0_sel:BYTE_0 src1_sel:DWORD
	s_and_saveexec_b32 s49, s1
	s_cbranch_execz .LBB230_410
; %bb.405:                              ;   in Loop: Header=BB230_16 Depth=1
	v_mov_b32_e32 v47, 0x7f800001
	v_and_b32_e32 v51, 0x7f, v55
	v_mov_b32_e32 v48, 0
	s_mov_b32 s50, exec_lo
	v_cmpx_ne_u32_e32 0x7f, v51
	s_cbranch_execz .LBB230_409
; %bb.406:                              ;   in Loop: Header=BB230_16 Depth=1
	v_and_b32_e32 v67, 7, v55
	v_lshrrev_b32_e32 v47, 3, v51
	s_mov_b32 s51, exec_lo
	v_cmpx_gt_u32_e32 8, v51
; %bb.407:                              ;   in Loop: Header=BB230_16 Depth=1
	v_ffbh_u32_e32 v47, v67
	v_min_u32_e32 v47, 32, v47
	v_subrev_nc_u32_e32 v48, 28, v47
	v_sub_nc_u32_e32 v47, 29, v47
	v_lshlrev_b64 v[51:52], v48, v[67:68]
	v_and_b32_e32 v67, 7, v51
; %bb.408:                              ;   in Loop: Header=BB230_16 Depth=1
	s_or_b32 exec_lo, exec_lo, s51
	v_lshlrev_b32_e32 v48, 24, v55
	v_lshlrev_b32_e32 v51, 20, v67
	v_lshl_add_u32 v47, v47, 23, 0x3c000000
	v_and_b32_e32 v48, 0x80000000, v48
	v_or3_b32 v67, v51, v48, v47
	v_mov_b32_e32 v47, v67
	v_mov_b32_e32 v48, v68
.LBB230_409:                            ;   in Loop: Header=BB230_16 Depth=1
	s_or_b32 exec_lo, exec_lo, s50
.LBB230_410:                            ;   in Loop: Header=BB230_16 Depth=1
	s_or_b32 exec_lo, exec_lo, s49
.LBB230_411:                            ;   in Loop: Header=BB230_16 Depth=1
	s_or_b32 exec_lo, exec_lo, s48
	v_cmp_ne_u16_sdwa s1, v55, v68 src0_sel:BYTE_1 src1_sel:DWORD
	s_and_saveexec_b32 s48, s1
	s_cbranch_execz .LBB230_419
; %bb.412:                              ;   in Loop: Header=BB230_16 Depth=1
	v_mov_b32_e32 v83, v68
	v_cmp_ne_u16_sdwa s1, v55, v87 src0_sel:BYTE_1 src1_sel:DWORD
	v_mov_b32_e32 v49, v83
	v_mov_b32_e32 v50, v84
	s_and_saveexec_b32 s49, s1
	s_cbranch_execz .LBB230_418
; %bb.413:                              ;   in Loop: Header=BB230_16 Depth=1
	v_mov_b32_e32 v81, v68
	v_and_b32_sdwa v52, v100, v55 dst_sel:DWORD dst_unused:UNUSED_PAD src0_sel:DWORD src1_sel:BYTE_1
	s_mov_b32 s50, exec_lo
	v_mov_b32_e32 v49, v81
	v_and_b32_e32 v51, 0x7f, v52
	v_mov_b32_e32 v50, v82
	v_cmpx_ne_u32_e32 0x7f, v51
	s_cbranch_execz .LBB230_417
; %bb.414:                              ;   in Loop: Header=BB230_16 Depth=1
	v_and_b32_e32 v67, 7, v52
	v_lshrrev_b32_e32 v49, 3, v51
	s_mov_b32 s51, exec_lo
	v_cmpx_gt_u32_e32 8, v51
; %bb.415:                              ;   in Loop: Header=BB230_16 Depth=1
	v_ffbh_u32_e32 v49, v67
	v_min_u32_e32 v49, 32, v49
	v_subrev_nc_u32_e32 v50, 28, v49
	v_sub_nc_u32_e32 v49, 29, v49
	v_lshlrev_b64 v[50:51], v50, v[67:68]
	v_and_b32_e32 v67, 7, v50
; %bb.416:                              ;   in Loop: Header=BB230_16 Depth=1
	s_or_b32 exec_lo, exec_lo, s51
	v_lshlrev_b32_e32 v50, 16, v55
	v_lshlrev_b32_e32 v51, 20, v67
	v_lshl_add_u32 v49, v49, 23, 0x3c000000
	v_and_b32_e32 v50, 0x80000000, v50
	v_or3_b32 v50, v51, v50, v49
	v_mov_b32_e32 v49, v68
.LBB230_417:                            ;   in Loop: Header=BB230_16 Depth=1
	s_or_b32 exec_lo, exec_lo, s50
.LBB230_418:                            ;   in Loop: Header=BB230_16 Depth=1
	s_or_b32 exec_lo, exec_lo, s49
.LBB230_419:                            ;   in Loop: Header=BB230_16 Depth=1
	s_or_b32 exec_lo, exec_lo, s48
	v_mov_b32_e32 v51, 0
	v_mov_b32_e32 v53, 0
	v_and_b32_sdwa v56, v55, v88 dst_sel:DWORD dst_unused:UNUSED_PAD src0_sel:WORD_1 src1_sel:DWORD
	v_mov_b32_e32 v52, 0
	v_mov_b32_e32 v54, 0
	s_mov_b32 s48, exec_lo
	v_cmpx_ne_u16_e32 0, v56
	s_cbranch_execz .LBB230_427
; %bb.420:                              ;   in Loop: Header=BB230_16 Depth=1
	v_bfrev_b32_e32 v53, 1
	v_mov_b32_e32 v54, 0
	s_mov_b32 s49, exec_lo
	v_cmpx_ne_u16_e32 0x80, v56
	s_cbranch_execz .LBB230_426
; %bb.421:                              ;   in Loop: Header=BB230_16 Depth=1
	v_mov_b32_e32 v53, 0x7f800001
	v_bfe_u32 v56, v55, 16, 7
	v_mov_b32_e32 v54, 0
	s_mov_b32 s50, exec_lo
	v_cmpx_ne_u32_e32 0x7f, v56
	s_cbranch_execz .LBB230_425
; %bb.422:                              ;   in Loop: Header=BB230_16 Depth=1
	v_mov_b32_e32 v53, 7
	s_mov_b32 s51, exec_lo
	v_and_b32_sdwa v67, v55, v53 dst_sel:DWORD dst_unused:UNUSED_PAD src0_sel:WORD_1 src1_sel:DWORD
	v_lshrrev_b32_e32 v53, 3, v56
	v_cmpx_gt_u32_e32 8, v56
; %bb.423:                              ;   in Loop: Header=BB230_16 Depth=1
	v_ffbh_u32_e32 v53, v67
	v_min_u32_e32 v53, 32, v53
	v_subrev_nc_u32_e32 v54, 28, v53
	v_sub_nc_u32_e32 v53, 29, v53
	v_lshlrev_b64 v[56:57], v54, v[67:68]
	v_and_b32_e32 v67, 7, v56
; %bb.424:                              ;   in Loop: Header=BB230_16 Depth=1
	s_or_b32 exec_lo, exec_lo, s51
	v_mov_b32_e32 v54, 24
	v_lshlrev_b32_e32 v56, 20, v67
	v_lshl_add_u32 v53, v53, 23, 0x3c000000
	v_lshlrev_b32_sdwa v54, v54, v55 dst_sel:DWORD dst_unused:UNUSED_PAD src0_sel:DWORD src1_sel:WORD_1
	v_and_b32_e32 v54, 0x80000000, v54
	v_or3_b32 v67, v56, v54, v53
	v_mov_b32_e32 v53, v67
	v_mov_b32_e32 v54, v68
.LBB230_425:                            ;   in Loop: Header=BB230_16 Depth=1
	s_or_b32 exec_lo, exec_lo, s50
.LBB230_426:                            ;   in Loop: Header=BB230_16 Depth=1
	s_or_b32 exec_lo, exec_lo, s49
.LBB230_427:                            ;   in Loop: Header=BB230_16 Depth=1
	s_or_b32 exec_lo, exec_lo, s48
	s_mov_b32 s48, exec_lo
	v_cmpx_lt_u32_e32 0xffffff, v55
	s_cbranch_execz .LBB230_435
; %bb.428:                              ;   in Loop: Header=BB230_16 Depth=1
	v_mov_b32_e32 v83, v68
	v_cmp_ne_u32_sdwa s1, v55, v87 src0_sel:BYTE_3 src1_sel:DWORD
	v_mov_b32_e32 v51, v83
	v_mov_b32_e32 v52, v84
	s_and_saveexec_b32 s49, s1
	s_cbranch_execz .LBB230_434
; %bb.429:                              ;   in Loop: Header=BB230_16 Depth=1
	v_mov_b32_e32 v81, v68
	v_bfe_u32 v56, v55, 24, 7
	s_mov_b32 s50, exec_lo
	v_mov_b32_e32 v51, v81
	v_mov_b32_e32 v52, v82
	v_cmpx_ne_u32_e32 0x7f, v56
	s_cbranch_execz .LBB230_433
; %bb.430:                              ;   in Loop: Header=BB230_16 Depth=1
	v_mov_b32_e32 v51, 7
	s_mov_b32 s51, exec_lo
	v_and_b32_sdwa v67, v55, v51 dst_sel:DWORD dst_unused:UNUSED_PAD src0_sel:BYTE_3 src1_sel:DWORD
	v_lshrrev_b32_e32 v51, 3, v56
	v_cmpx_gt_u32_e32 8, v56
; %bb.431:                              ;   in Loop: Header=BB230_16 Depth=1
	v_ffbh_u32_e32 v51, v67
	v_min_u32_e32 v51, 32, v51
	v_subrev_nc_u32_e32 v52, 28, v51
	v_sub_nc_u32_e32 v51, 29, v51
	v_lshlrev_b64 v[56:57], v52, v[67:68]
	v_and_b32_e32 v67, 7, v56
; %bb.432:                              ;   in Loop: Header=BB230_16 Depth=1
	s_or_b32 exec_lo, exec_lo, s51
	v_mov_b32_e32 v52, 24
	v_lshl_add_u32 v51, v51, 23, 0x3c000000
	v_lshlrev_b32_sdwa v52, v52, v55 dst_sel:DWORD dst_unused:UNUSED_PAD src0_sel:DWORD src1_sel:BYTE_3
	v_lshlrev_b32_e32 v55, 20, v67
	v_and_b32_e32 v52, 0x80000000, v52
	v_or3_b32 v52, v55, v52, v51
	v_mov_b32_e32 v51, v68
.LBB230_433:                            ;   in Loop: Header=BB230_16 Depth=1
	s_or_b32 exec_lo, exec_lo, s50
.LBB230_434:                            ;   in Loop: Header=BB230_16 Depth=1
	s_or_b32 exec_lo, exec_lo, s49
.LBB230_435:                            ;   in Loop: Header=BB230_16 Depth=1
	s_or_b32 exec_lo, exec_lo, s48
	global_load_dword v57, v[89:90], off offset:1540
	v_mov_b32_e32 v71, 0
	v_mov_b32_e32 v55, 0
	;; [unrolled: 1-line block ×4, first 2 shown]
	s_waitcnt vmcnt(0)
	v_cmp_ne_u16_sdwa s1, v57, v68 src0_sel:BYTE_0 src1_sel:DWORD
	s_and_saveexec_b32 s48, s1
	s_cbranch_execz .LBB230_443
; %bb.436:                              ;   in Loop: Header=BB230_16 Depth=1
	v_bfrev_b32_e32 v55, 1
	v_mov_b32_e32 v56, 0
	v_cmp_ne_u16_sdwa s1, v57, v87 src0_sel:BYTE_0 src1_sel:DWORD
	s_and_saveexec_b32 s49, s1
	s_cbranch_execz .LBB230_442
; %bb.437:                              ;   in Loop: Header=BB230_16 Depth=1
	v_mov_b32_e32 v55, 0x7f800001
	v_and_b32_e32 v58, 0x7f, v57
	v_mov_b32_e32 v56, 0
	s_mov_b32 s50, exec_lo
	v_cmpx_ne_u32_e32 0x7f, v58
	s_cbranch_execz .LBB230_441
; %bb.438:                              ;   in Loop: Header=BB230_16 Depth=1
	v_and_b32_e32 v67, 7, v57
	v_lshrrev_b32_e32 v55, 3, v58
	s_mov_b32 s51, exec_lo
	v_cmpx_gt_u32_e32 8, v58
; %bb.439:                              ;   in Loop: Header=BB230_16 Depth=1
	v_ffbh_u32_e32 v55, v67
	v_min_u32_e32 v55, 32, v55
	v_subrev_nc_u32_e32 v56, 28, v55
	v_sub_nc_u32_e32 v55, 29, v55
	v_lshlrev_b64 v[58:59], v56, v[67:68]
	v_and_b32_e32 v67, 7, v58
; %bb.440:                              ;   in Loop: Header=BB230_16 Depth=1
	s_or_b32 exec_lo, exec_lo, s51
	v_lshlrev_b32_e32 v56, 24, v57
	v_lshlrev_b32_e32 v58, 20, v67
	v_lshl_add_u32 v55, v55, 23, 0x3c000000
	v_and_b32_e32 v56, 0x80000000, v56
	v_or3_b32 v67, v58, v56, v55
	v_mov_b32_e32 v55, v67
	v_mov_b32_e32 v56, v68
.LBB230_441:                            ;   in Loop: Header=BB230_16 Depth=1
	s_or_b32 exec_lo, exec_lo, s50
.LBB230_442:                            ;   in Loop: Header=BB230_16 Depth=1
	s_or_b32 exec_lo, exec_lo, s49
.LBB230_443:                            ;   in Loop: Header=BB230_16 Depth=1
	s_or_b32 exec_lo, exec_lo, s48
	v_cmp_ne_u16_sdwa s1, v57, v68 src0_sel:BYTE_1 src1_sel:DWORD
	s_and_saveexec_b32 s48, s1
	s_cbranch_execz .LBB230_451
; %bb.444:                              ;   in Loop: Header=BB230_16 Depth=1
	v_mov_b32_e32 v83, v68
	v_cmp_ne_u16_sdwa s1, v57, v87 src0_sel:BYTE_1 src1_sel:DWORD
	v_mov_b32_e32 v71, v83
	v_mov_b32_e32 v72, v84
	s_and_saveexec_b32 s49, s1
	s_cbranch_execz .LBB230_450
; %bb.445:                              ;   in Loop: Header=BB230_16 Depth=1
	v_mov_b32_e32 v81, v68
	v_and_b32_sdwa v58, v100, v57 dst_sel:DWORD dst_unused:UNUSED_PAD src0_sel:DWORD src1_sel:BYTE_1
	s_mov_b32 s50, exec_lo
	v_mov_b32_e32 v71, v81
	v_and_b32_e32 v59, 0x7f, v58
	v_mov_b32_e32 v72, v82
	v_cmpx_ne_u32_e32 0x7f, v59
	s_cbranch_execz .LBB230_449
; %bb.446:                              ;   in Loop: Header=BB230_16 Depth=1
	v_and_b32_e32 v67, 7, v58
	v_lshrrev_b32_e32 v58, 3, v59
	s_mov_b32 s51, exec_lo
	v_cmpx_gt_u32_e32 8, v59
; %bb.447:                              ;   in Loop: Header=BB230_16 Depth=1
	v_ffbh_u32_e32 v58, v67
	v_min_u32_e32 v58, 32, v58
	v_subrev_nc_u32_e32 v59, 28, v58
	v_sub_nc_u32_e32 v58, 29, v58
	v_lshlrev_b64 v[59:60], v59, v[67:68]
	v_and_b32_e32 v67, 7, v59
; %bb.448:                              ;   in Loop: Header=BB230_16 Depth=1
	s_or_b32 exec_lo, exec_lo, s51
	v_lshlrev_b32_e32 v59, 16, v57
	v_lshlrev_b32_e32 v60, 20, v67
	v_lshl_add_u32 v58, v58, 23, 0x3c000000
	v_mov_b32_e32 v71, v68
	v_and_b32_e32 v59, 0x80000000, v59
	v_or3_b32 v72, v60, v59, v58
.LBB230_449:                            ;   in Loop: Header=BB230_16 Depth=1
	s_or_b32 exec_lo, exec_lo, s50
.LBB230_450:                            ;   in Loop: Header=BB230_16 Depth=1
	s_or_b32 exec_lo, exec_lo, s49
.LBB230_451:                            ;   in Loop: Header=BB230_16 Depth=1
	s_or_b32 exec_lo, exec_lo, s48
	v_mov_b32_e32 v59, 0
	v_mov_b32_e32 v61, 0
	v_and_b32_sdwa v58, v57, v88 dst_sel:DWORD dst_unused:UNUSED_PAD src0_sel:WORD_1 src1_sel:DWORD
	v_mov_b32_e32 v60, 0
	v_mov_b32_e32 v62, 0
	s_mov_b32 s48, exec_lo
	v_cmpx_ne_u16_e32 0, v58
	s_cbranch_execz .LBB230_459
; %bb.452:                              ;   in Loop: Header=BB230_16 Depth=1
	v_bfrev_b32_e32 v61, 1
	v_mov_b32_e32 v62, 0
	s_mov_b32 s49, exec_lo
	v_cmpx_ne_u16_e32 0x80, v58
	s_cbranch_execz .LBB230_458
; %bb.453:                              ;   in Loop: Header=BB230_16 Depth=1
	v_mov_b32_e32 v61, 0x7f800001
	v_bfe_u32 v63, v57, 16, 7
	v_mov_b32_e32 v62, 0
	s_mov_b32 s50, exec_lo
	v_cmpx_ne_u32_e32 0x7f, v63
	s_cbranch_execz .LBB230_457
; %bb.454:                              ;   in Loop: Header=BB230_16 Depth=1
	v_mov_b32_e32 v58, 7
	s_mov_b32 s51, exec_lo
	v_and_b32_sdwa v67, v57, v58 dst_sel:DWORD dst_unused:UNUSED_PAD src0_sel:WORD_1 src1_sel:DWORD
	v_lshrrev_b32_e32 v58, 3, v63
	v_cmpx_gt_u32_e32 8, v63
; %bb.455:                              ;   in Loop: Header=BB230_16 Depth=1
	v_ffbh_u32_e32 v58, v67
	v_min_u32_e32 v58, 32, v58
	v_subrev_nc_u32_e32 v61, 28, v58
	v_sub_nc_u32_e32 v58, 29, v58
	v_lshlrev_b64 v[61:62], v61, v[67:68]
	v_and_b32_e32 v67, 7, v61
; %bb.456:                              ;   in Loop: Header=BB230_16 Depth=1
	s_or_b32 exec_lo, exec_lo, s51
	v_mov_b32_e32 v61, 24
	v_lshlrev_b32_e32 v62, 20, v67
	v_lshl_add_u32 v58, v58, 23, 0x3c000000
	v_lshlrev_b32_sdwa v61, v61, v57 dst_sel:DWORD dst_unused:UNUSED_PAD src0_sel:DWORD src1_sel:WORD_1
	v_and_b32_e32 v61, 0x80000000, v61
	v_or3_b32 v67, v62, v61, v58
	v_mov_b32_e32 v61, v67
	v_mov_b32_e32 v62, v68
.LBB230_457:                            ;   in Loop: Header=BB230_16 Depth=1
	s_or_b32 exec_lo, exec_lo, s50
.LBB230_458:                            ;   in Loop: Header=BB230_16 Depth=1
	s_or_b32 exec_lo, exec_lo, s49
.LBB230_459:                            ;   in Loop: Header=BB230_16 Depth=1
	s_or_b32 exec_lo, exec_lo, s48
	s_mov_b32 s48, exec_lo
	v_cmpx_lt_u32_e32 0xffffff, v57
	s_cbranch_execz .LBB230_467
; %bb.460:                              ;   in Loop: Header=BB230_16 Depth=1
	v_mov_b32_e32 v83, v68
	v_cmp_ne_u32_sdwa s1, v57, v87 src0_sel:BYTE_3 src1_sel:DWORD
	v_mov_b32_e32 v59, v83
	v_mov_b32_e32 v60, v84
	s_and_saveexec_b32 s49, s1
	s_cbranch_execz .LBB230_466
; %bb.461:                              ;   in Loop: Header=BB230_16 Depth=1
	v_mov_b32_e32 v81, v68
	v_bfe_u32 v63, v57, 24, 7
	s_mov_b32 s50, exec_lo
	v_mov_b32_e32 v59, v81
	v_mov_b32_e32 v60, v82
	v_cmpx_ne_u32_e32 0x7f, v63
	s_cbranch_execz .LBB230_465
; %bb.462:                              ;   in Loop: Header=BB230_16 Depth=1
	v_mov_b32_e32 v58, 7
	s_mov_b32 s51, exec_lo
	v_and_b32_sdwa v67, v57, v58 dst_sel:DWORD dst_unused:UNUSED_PAD src0_sel:BYTE_3 src1_sel:DWORD
	v_lshrrev_b32_e32 v58, 3, v63
	v_cmpx_gt_u32_e32 8, v63
; %bb.463:                              ;   in Loop: Header=BB230_16 Depth=1
	v_ffbh_u32_e32 v58, v67
	v_min_u32_e32 v58, 32, v58
	v_subrev_nc_u32_e32 v59, 28, v58
	v_sub_nc_u32_e32 v58, 29, v58
	v_lshlrev_b64 v[59:60], v59, v[67:68]
	v_and_b32_e32 v67, 7, v59
; %bb.464:                              ;   in Loop: Header=BB230_16 Depth=1
	s_or_b32 exec_lo, exec_lo, s51
	v_mov_b32_e32 v59, 24
	v_lshl_add_u32 v58, v58, 23, 0x3c000000
	v_lshlrev_b32_sdwa v57, v59, v57 dst_sel:DWORD dst_unused:UNUSED_PAD src0_sel:DWORD src1_sel:BYTE_3
	v_lshlrev_b32_e32 v59, 20, v67
	v_and_b32_e32 v57, 0x80000000, v57
	v_or3_b32 v60, v59, v57, v58
	v_mov_b32_e32 v59, v68
.LBB230_465:                            ;   in Loop: Header=BB230_16 Depth=1
	s_or_b32 exec_lo, exec_lo, s50
.LBB230_466:                            ;   in Loop: Header=BB230_16 Depth=1
	s_or_b32 exec_lo, exec_lo, s49
.LBB230_467:                            ;   in Loop: Header=BB230_16 Depth=1
	s_or_b32 exec_lo, exec_lo, s48
	global_load_dword v57, v[89:90], off offset:1544
	v_mov_b32_e32 v79, 0
	v_mov_b32_e32 v77, 0
	v_mov_b32_e32 v80, 0
	v_mov_b32_e32 v78, 0
	s_waitcnt vmcnt(0)
	v_cmp_ne_u16_sdwa s1, v57, v68 src0_sel:BYTE_0 src1_sel:DWORD
	s_and_saveexec_b32 s48, s1
	s_cbranch_execz .LBB230_475
; %bb.468:                              ;   in Loop: Header=BB230_16 Depth=1
	v_bfrev_b32_e32 v77, 1
	v_mov_b32_e32 v78, 0
	v_cmp_ne_u16_sdwa s1, v57, v87 src0_sel:BYTE_0 src1_sel:DWORD
	s_and_saveexec_b32 s49, s1
	s_cbranch_execz .LBB230_474
; %bb.469:                              ;   in Loop: Header=BB230_16 Depth=1
	v_mov_b32_e32 v77, 0x7f800001
	v_and_b32_e32 v63, 0x7f, v57
	v_mov_b32_e32 v78, 0
	s_mov_b32 s50, exec_lo
	v_cmpx_ne_u32_e32 0x7f, v63
	s_cbranch_execz .LBB230_473
; %bb.470:                              ;   in Loop: Header=BB230_16 Depth=1
	v_and_b32_e32 v67, 7, v57
	v_lshrrev_b32_e32 v58, 3, v63
	s_mov_b32 s51, exec_lo
	v_cmpx_gt_u32_e32 8, v63
; %bb.471:                              ;   in Loop: Header=BB230_16 Depth=1
	v_ffbh_u32_e32 v58, v67
	v_min_u32_e32 v58, 32, v58
	v_subrev_nc_u32_e32 v63, 28, v58
	v_sub_nc_u32_e32 v58, 29, v58
	v_lshlrev_b64 v[63:64], v63, v[67:68]
	v_and_b32_e32 v67, 7, v63
; %bb.472:                              ;   in Loop: Header=BB230_16 Depth=1
	s_or_b32 exec_lo, exec_lo, s51
	v_lshlrev_b32_e32 v63, 24, v57
	v_lshlrev_b32_e32 v64, 20, v67
	v_lshl_add_u32 v58, v58, 23, 0x3c000000
	v_and_b32_e32 v63, 0x80000000, v63
	v_or3_b32 v67, v64, v63, v58
	v_mov_b32_e32 v78, v68
	v_mov_b32_e32 v77, v67
.LBB230_473:                            ;   in Loop: Header=BB230_16 Depth=1
	s_or_b32 exec_lo, exec_lo, s50
.LBB230_474:                            ;   in Loop: Header=BB230_16 Depth=1
	s_or_b32 exec_lo, exec_lo, s49
.LBB230_475:                            ;   in Loop: Header=BB230_16 Depth=1
	s_or_b32 exec_lo, exec_lo, s48
	v_cmp_ne_u16_sdwa s1, v57, v68 src0_sel:BYTE_1 src1_sel:DWORD
	s_and_saveexec_b32 s48, s1
	s_cbranch_execz .LBB230_483
; %bb.476:                              ;   in Loop: Header=BB230_16 Depth=1
	v_mov_b32_e32 v83, v68
	v_cmp_ne_u16_sdwa s1, v57, v87 src0_sel:BYTE_1 src1_sel:DWORD
	v_mov_b32_e32 v79, v83
	v_mov_b32_e32 v80, v84
	s_and_saveexec_b32 s49, s1
	s_cbranch_execz .LBB230_482
; %bb.477:                              ;   in Loop: Header=BB230_16 Depth=1
	v_mov_b32_e32 v81, v68
	v_and_b32_sdwa v58, v100, v57 dst_sel:DWORD dst_unused:UNUSED_PAD src0_sel:DWORD src1_sel:BYTE_1
	s_mov_b32 s50, exec_lo
	v_mov_b32_e32 v79, v81
	v_and_b32_e32 v63, 0x7f, v58
	v_mov_b32_e32 v80, v82
	v_cmpx_ne_u32_e32 0x7f, v63
	s_cbranch_execz .LBB230_481
; %bb.478:                              ;   in Loop: Header=BB230_16 Depth=1
	v_and_b32_e32 v67, 7, v58
	v_lshrrev_b32_e32 v58, 3, v63
	s_mov_b32 s51, exec_lo
	v_cmpx_gt_u32_e32 8, v63
; %bb.479:                              ;   in Loop: Header=BB230_16 Depth=1
	v_ffbh_u32_e32 v58, v67
	v_min_u32_e32 v58, 32, v58
	v_subrev_nc_u32_e32 v63, 28, v58
	v_sub_nc_u32_e32 v58, 29, v58
	v_lshlrev_b64 v[63:64], v63, v[67:68]
	v_and_b32_e32 v67, 7, v63
; %bb.480:                              ;   in Loop: Header=BB230_16 Depth=1
	s_or_b32 exec_lo, exec_lo, s51
	v_lshlrev_b32_e32 v63, 16, v57
	v_lshlrev_b32_e32 v64, 20, v67
	v_lshl_add_u32 v58, v58, 23, 0x3c000000
	v_mov_b32_e32 v79, v68
	v_and_b32_e32 v63, 0x80000000, v63
	v_or3_b32 v80, v64, v63, v58
.LBB230_481:                            ;   in Loop: Header=BB230_16 Depth=1
	s_or_b32 exec_lo, exec_lo, s50
.LBB230_482:                            ;   in Loop: Header=BB230_16 Depth=1
	s_or_b32 exec_lo, exec_lo, s49
.LBB230_483:                            ;   in Loop: Header=BB230_16 Depth=1
	s_or_b32 exec_lo, exec_lo, s48
	v_mov_b32_e32 v69, 0
	v_mov_b32_e32 v91, 0
	v_and_b32_sdwa v58, v57, v88 dst_sel:DWORD dst_unused:UNUSED_PAD src0_sel:WORD_1 src1_sel:DWORD
	v_mov_b32_e32 v70, 0
	v_mov_b32_e32 v92, 0
	s_mov_b32 s48, exec_lo
	v_cmpx_ne_u16_e32 0, v58
	s_cbranch_execz .LBB230_491
; %bb.484:                              ;   in Loop: Header=BB230_16 Depth=1
	v_bfrev_b32_e32 v91, 1
	v_mov_b32_e32 v92, 0
	s_mov_b32 s49, exec_lo
	v_cmpx_ne_u16_e32 0x80, v58
	s_cbranch_execz .LBB230_490
; %bb.485:                              ;   in Loop: Header=BB230_16 Depth=1
	v_mov_b32_e32 v91, 0x7f800001
	v_bfe_u32 v63, v57, 16, 7
	v_mov_b32_e32 v92, 0
	s_mov_b32 s50, exec_lo
	v_cmpx_ne_u32_e32 0x7f, v63
	s_cbranch_execz .LBB230_489
; %bb.486:                              ;   in Loop: Header=BB230_16 Depth=1
	v_mov_b32_e32 v58, 7
	s_mov_b32 s51, exec_lo
	v_and_b32_sdwa v67, v57, v58 dst_sel:DWORD dst_unused:UNUSED_PAD src0_sel:WORD_1 src1_sel:DWORD
	v_lshrrev_b32_e32 v58, 3, v63
	v_cmpx_gt_u32_e32 8, v63
; %bb.487:                              ;   in Loop: Header=BB230_16 Depth=1
	v_ffbh_u32_e32 v58, v67
	v_min_u32_e32 v58, 32, v58
	v_subrev_nc_u32_e32 v63, 28, v58
	v_sub_nc_u32_e32 v58, 29, v58
	v_lshlrev_b64 v[63:64], v63, v[67:68]
	v_and_b32_e32 v67, 7, v63
; %bb.488:                              ;   in Loop: Header=BB230_16 Depth=1
	s_or_b32 exec_lo, exec_lo, s51
	v_mov_b32_e32 v63, 24
	v_lshlrev_b32_e32 v64, 20, v67
	v_lshl_add_u32 v58, v58, 23, 0x3c000000
	v_lshlrev_b32_sdwa v63, v63, v57 dst_sel:DWORD dst_unused:UNUSED_PAD src0_sel:DWORD src1_sel:WORD_1
	v_and_b32_e32 v63, 0x80000000, v63
	v_or3_b32 v67, v64, v63, v58
	v_mov_b32_e32 v92, v68
	v_mov_b32_e32 v91, v67
.LBB230_489:                            ;   in Loop: Header=BB230_16 Depth=1
	s_or_b32 exec_lo, exec_lo, s50
.LBB230_490:                            ;   in Loop: Header=BB230_16 Depth=1
	s_or_b32 exec_lo, exec_lo, s49
.LBB230_491:                            ;   in Loop: Header=BB230_16 Depth=1
	s_or_b32 exec_lo, exec_lo, s48
	s_mov_b32 s48, exec_lo
	v_cmpx_lt_u32_e32 0xffffff, v57
	s_cbranch_execz .LBB230_499
; %bb.492:                              ;   in Loop: Header=BB230_16 Depth=1
	v_mov_b32_e32 v83, v68
	v_cmp_ne_u32_sdwa s1, v57, v87 src0_sel:BYTE_3 src1_sel:DWORD
	v_mov_b32_e32 v69, v83
	v_mov_b32_e32 v70, v84
	s_and_saveexec_b32 s49, s1
	s_cbranch_execz .LBB230_498
; %bb.493:                              ;   in Loop: Header=BB230_16 Depth=1
	v_mov_b32_e32 v81, v68
	v_bfe_u32 v63, v57, 24, 7
	s_mov_b32 s50, exec_lo
	v_mov_b32_e32 v69, v81
	v_mov_b32_e32 v70, v82
	v_cmpx_ne_u32_e32 0x7f, v63
	s_cbranch_execz .LBB230_497
; %bb.494:                              ;   in Loop: Header=BB230_16 Depth=1
	v_mov_b32_e32 v58, 7
	s_mov_b32 s51, exec_lo
	v_and_b32_sdwa v67, v57, v58 dst_sel:DWORD dst_unused:UNUSED_PAD src0_sel:BYTE_3 src1_sel:DWORD
	v_lshrrev_b32_e32 v58, 3, v63
	v_cmpx_gt_u32_e32 8, v63
; %bb.495:                              ;   in Loop: Header=BB230_16 Depth=1
	v_ffbh_u32_e32 v58, v67
	v_min_u32_e32 v58, 32, v58
	v_subrev_nc_u32_e32 v63, 28, v58
	v_sub_nc_u32_e32 v58, 29, v58
	v_lshlrev_b64 v[63:64], v63, v[67:68]
	v_and_b32_e32 v67, 7, v63
; %bb.496:                              ;   in Loop: Header=BB230_16 Depth=1
	s_or_b32 exec_lo, exec_lo, s51
	v_mov_b32_e32 v63, 24
	v_lshl_add_u32 v58, v58, 23, 0x3c000000
	v_mov_b32_e32 v69, v68
	v_lshlrev_b32_sdwa v57, v63, v57 dst_sel:DWORD dst_unused:UNUSED_PAD src0_sel:DWORD src1_sel:BYTE_3
	v_lshlrev_b32_e32 v63, 20, v67
	v_and_b32_e32 v57, 0x80000000, v57
	v_or3_b32 v70, v63, v57, v58
.LBB230_497:                            ;   in Loop: Header=BB230_16 Depth=1
	s_or_b32 exec_lo, exec_lo, s50
.LBB230_498:                            ;   in Loop: Header=BB230_16 Depth=1
	s_or_b32 exec_lo, exec_lo, s49
.LBB230_499:                            ;   in Loop: Header=BB230_16 Depth=1
	s_or_b32 exec_lo, exec_lo, s48
	global_load_dword v93, v[89:90], off offset:1548
	v_mov_b32_e32 v89, 0
	v_mov_b32_e32 v63, 0
	;; [unrolled: 1-line block ×4, first 2 shown]
	s_waitcnt vmcnt(0)
	v_cmp_ne_u16_sdwa s1, v93, v68 src0_sel:BYTE_0 src1_sel:DWORD
	s_and_saveexec_b32 s48, s1
	s_cbranch_execz .LBB230_507
; %bb.500:                              ;   in Loop: Header=BB230_16 Depth=1
	v_bfrev_b32_e32 v63, 1
	v_mov_b32_e32 v64, 0
	v_cmp_ne_u16_sdwa s1, v93, v87 src0_sel:BYTE_0 src1_sel:DWORD
	s_and_saveexec_b32 s49, s1
	s_cbranch_execz .LBB230_506
; %bb.501:                              ;   in Loop: Header=BB230_16 Depth=1
	v_mov_b32_e32 v63, 0x7f800001
	v_and_b32_e32 v58, 0x7f, v93
	v_mov_b32_e32 v64, 0
	s_mov_b32 s50, exec_lo
	v_cmpx_ne_u32_e32 0x7f, v58
	s_cbranch_execz .LBB230_505
; %bb.502:                              ;   in Loop: Header=BB230_16 Depth=1
	v_and_b32_e32 v67, 7, v93
	v_lshrrev_b32_e32 v57, 3, v58
	s_mov_b32 s51, exec_lo
	v_cmpx_gt_u32_e32 8, v58
; %bb.503:                              ;   in Loop: Header=BB230_16 Depth=1
	v_ffbh_u32_e32 v57, v67
	v_min_u32_e32 v57, 32, v57
	v_subrev_nc_u32_e32 v58, 28, v57
	v_sub_nc_u32_e32 v57, 29, v57
	v_lshlrev_b64 v[63:64], v58, v[67:68]
	v_and_b32_e32 v67, 7, v63
; %bb.504:                              ;   in Loop: Header=BB230_16 Depth=1
	s_or_b32 exec_lo, exec_lo, s51
	v_lshlrev_b32_e32 v58, 24, v93
	v_lshlrev_b32_e32 v63, 20, v67
	v_lshl_add_u32 v57, v57, 23, 0x3c000000
	v_and_b32_e32 v58, 0x80000000, v58
	v_or3_b32 v67, v63, v58, v57
	v_mov_b32_e32 v63, v67
	v_mov_b32_e32 v64, v68
.LBB230_505:                            ;   in Loop: Header=BB230_16 Depth=1
	s_or_b32 exec_lo, exec_lo, s50
.LBB230_506:                            ;   in Loop: Header=BB230_16 Depth=1
	s_or_b32 exec_lo, exec_lo, s49
.LBB230_507:                            ;   in Loop: Header=BB230_16 Depth=1
	s_or_b32 exec_lo, exec_lo, s48
	v_cmp_ne_u16_sdwa s1, v93, v68 src0_sel:BYTE_1 src1_sel:DWORD
	s_and_saveexec_b32 s48, s1
	s_cbranch_execz .LBB230_515
; %bb.508:                              ;   in Loop: Header=BB230_16 Depth=1
	v_mov_b32_e32 v83, v68
	v_mov_b32_e32 v90, v84
	v_cmp_ne_u16_sdwa s1, v93, v87 src0_sel:BYTE_1 src1_sel:DWORD
	v_mov_b32_e32 v89, v83
	s_and_saveexec_b32 s49, s1
	s_cbranch_execz .LBB230_514
; %bb.509:                              ;   in Loop: Header=BB230_16 Depth=1
	v_and_b32_sdwa v57, v100, v93 dst_sel:DWORD dst_unused:UNUSED_PAD src0_sel:DWORD src1_sel:BYTE_1
	v_mov_b32_e32 v81, v68
	v_mov_b32_e32 v90, v82
	s_mov_b32 s50, exec_lo
	v_and_b32_e32 v58, 0x7f, v57
	v_mov_b32_e32 v89, v81
	v_cmpx_ne_u32_e32 0x7f, v58
	s_cbranch_execz .LBB230_513
; %bb.510:                              ;   in Loop: Header=BB230_16 Depth=1
	v_and_b32_e32 v67, 7, v57
	v_lshrrev_b32_e32 v57, 3, v58
	s_mov_b32 s51, exec_lo
	v_cmpx_gt_u32_e32 8, v58
; %bb.511:                              ;   in Loop: Header=BB230_16 Depth=1
	v_ffbh_u32_e32 v57, v67
	v_min_u32_e32 v57, 32, v57
	v_subrev_nc_u32_e32 v58, 28, v57
	v_sub_nc_u32_e32 v57, 29, v57
	v_lshlrev_b64 v[85:86], v58, v[67:68]
	v_and_b32_e32 v67, 7, v85
; %bb.512:                              ;   in Loop: Header=BB230_16 Depth=1
	s_or_b32 exec_lo, exec_lo, s51
	v_lshlrev_b32_e32 v58, 16, v93
	v_lshlrev_b32_e32 v67, 20, v67
	v_lshl_add_u32 v57, v57, 23, 0x3c000000
	v_mov_b32_e32 v89, v68
	v_and_b32_e32 v58, 0x80000000, v58
	v_or3_b32 v90, v67, v58, v57
.LBB230_513:                            ;   in Loop: Header=BB230_16 Depth=1
	s_or_b32 exec_lo, exec_lo, s50
.LBB230_514:                            ;   in Loop: Header=BB230_16 Depth=1
	s_or_b32 exec_lo, exec_lo, s49
.LBB230_515:                            ;   in Loop: Header=BB230_16 Depth=1
	s_or_b32 exec_lo, exec_lo, s48
	v_mov_b32_e32 v57, 0
	v_mov_b32_e32 v85, 0
	v_and_b32_sdwa v67, v93, v88 dst_sel:DWORD dst_unused:UNUSED_PAD src0_sel:WORD_1 src1_sel:DWORD
	v_mov_b32_e32 v58, 0
	v_mov_b32_e32 v86, 0
	s_mov_b32 s48, exec_lo
	v_cmpx_ne_u16_e32 0, v67
	s_cbranch_execz .LBB230_523
; %bb.516:                              ;   in Loop: Header=BB230_16 Depth=1
	v_bfrev_b32_e32 v85, 1
	v_mov_b32_e32 v86, 0
	s_mov_b32 s49, exec_lo
	v_cmpx_ne_u16_e32 0x80, v67
	s_cbranch_execz .LBB230_522
; %bb.517:                              ;   in Loop: Header=BB230_16 Depth=1
	v_mov_b32_e32 v85, 0x7f800001
	v_bfe_u32 v83, v93, 16, 7
	v_mov_b32_e32 v86, 0
	s_mov_b32 s50, exec_lo
	v_cmpx_ne_u32_e32 0x7f, v83
	s_cbranch_execz .LBB230_521
; %bb.518:                              ;   in Loop: Header=BB230_16 Depth=1
	v_mov_b32_e32 v67, 7
	v_lshrrev_b32_e32 v81, 3, v83
	s_mov_b32 s51, exec_lo
	v_and_b32_sdwa v67, v93, v67 dst_sel:DWORD dst_unused:UNUSED_PAD src0_sel:WORD_1 src1_sel:DWORD
	v_cmpx_gt_u32_e32 8, v83
; %bb.519:                              ;   in Loop: Header=BB230_16 Depth=1
	v_ffbh_u32_e32 v81, v67
	v_min_u32_e32 v81, 32, v81
	v_subrev_nc_u32_e32 v83, 28, v81
	v_sub_nc_u32_e32 v81, 29, v81
	v_lshlrev_b64 v[85:86], v83, v[67:68]
	v_and_b32_e32 v67, 7, v85
; %bb.520:                              ;   in Loop: Header=BB230_16 Depth=1
	s_or_b32 exec_lo, exec_lo, s51
	v_mov_b32_e32 v83, 24
	v_lshlrev_b32_e32 v67, 20, v67
	v_lshl_add_u32 v81, v81, 23, 0x3c000000
	v_lshlrev_b32_sdwa v83, v83, v93 dst_sel:DWORD dst_unused:UNUSED_PAD src0_sel:DWORD src1_sel:WORD_1
	v_and_b32_e32 v83, 0x80000000, v83
	v_or3_b32 v67, v67, v83, v81
	v_mov_b32_e32 v86, v68
	v_mov_b32_e32 v85, v67
.LBB230_521:                            ;   in Loop: Header=BB230_16 Depth=1
	s_or_b32 exec_lo, exec_lo, s50
.LBB230_522:                            ;   in Loop: Header=BB230_16 Depth=1
	s_or_b32 exec_lo, exec_lo, s49
.LBB230_523:                            ;   in Loop: Header=BB230_16 Depth=1
	s_or_b32 exec_lo, exec_lo, s48
	s_mov_b32 s48, exec_lo
	v_cmpx_lt_u32_e32 0xffffff, v93
	s_cbranch_execz .LBB230_14
; %bb.524:                              ;   in Loop: Header=BB230_16 Depth=1
	v_mov_b32_e32 v83, v68
	v_cmp_ne_u32_sdwa s1, v93, v87 src0_sel:BYTE_3 src1_sel:DWORD
	v_mov_b32_e32 v57, v83
	v_mov_b32_e32 v58, v84
	s_and_saveexec_b32 s49, s1
	s_cbranch_execz .LBB230_13
; %bb.525:                              ;   in Loop: Header=BB230_16 Depth=1
	v_mov_b32_e32 v81, v68
	v_bfe_u32 v83, v93, 24, 7
	s_mov_b32 s50, exec_lo
	v_mov_b32_e32 v57, v81
	v_mov_b32_e32 v58, v82
	v_cmpx_ne_u32_e32 0x7f, v83
	s_cbranch_execz .LBB230_12
; %bb.526:                              ;   in Loop: Header=BB230_16 Depth=1
	v_mov_b32_e32 v57, 7
	s_mov_b32 s51, exec_lo
	v_and_b32_sdwa v67, v93, v57 dst_sel:DWORD dst_unused:UNUSED_PAD src0_sel:BYTE_3 src1_sel:DWORD
	v_lshrrev_b32_e32 v57, 3, v83
	v_cmpx_gt_u32_e32 8, v83
	s_cbranch_execz .LBB230_11
; %bb.527:                              ;   in Loop: Header=BB230_16 Depth=1
	v_ffbh_u32_e32 v57, v67
	v_mov_b32_e32 v81, v99
	v_min_u32_e32 v57, 32, v57
	v_subrev_nc_u32_e32 v58, 28, v57
	v_sub_nc_u32_e32 v57, 29, v57
	v_lshlrev_b64 v[99:100], v58, v[67:68]
	v_mov_b32_e32 v100, 0xffff
	v_and_b32_e32 v67, 7, v99
	v_mov_b32_e32 v99, v81
	s_branch .LBB230_11
.LBB230_528:
	s_or_b32 exec_lo, exec_lo, s45
.LBB230_529:
	s_or_b32 exec_lo, exec_lo, s44
	v_mbcnt_lo_u32_b32 v0, -1, 0
	v_max_f32_e32 v4, v99, v99
	v_xor_b32_e32 v1, 16, v0
	v_xor_b32_e32 v3, 8, v0
	v_cmp_gt_i32_e32 vcc_lo, 32, v1
	v_cndmask_b32_e32 v1, v0, v1, vcc_lo
	v_cmp_gt_i32_e32 vcc_lo, 32, v3
	v_lshlrev_b32_e32 v1, 2, v1
	v_cndmask_b32_e32 v3, v0, v3, vcc_lo
	ds_bpermute_b32 v2, v1, v99
	s_waitcnt lgkmcnt(0)
	v_max_f32_e32 v5, v2, v2
	v_lshlrev_b32_e32 v2, 2, v3
	v_max_f32_e32 v3, v4, v5
	v_xor_b32_e32 v5, 4, v0
	ds_bpermute_b32 v4, v2, v3
	v_cmp_gt_i32_e32 vcc_lo, 32, v5
	v_cndmask_b32_e32 v5, v0, v5, vcc_lo
	v_lshlrev_b32_e32 v27, 2, v5
	v_xor_b32_e32 v5, 2, v0
	v_cmp_gt_i32_e32 vcc_lo, 32, v5
	s_waitcnt lgkmcnt(0)
	v_max_f32_e32 v4, v4, v4
	v_cndmask_b32_e32 v5, v0, v5, vcc_lo
	v_max_f32_e32 v3, v3, v4
	v_lshlrev_b32_e32 v26, 2, v5
	v_xor_b32_e32 v5, 1, v0
	ds_bpermute_b32 v4, v27, v3
	v_cmp_gt_i32_e32 vcc_lo, 32, v5
	v_cndmask_b32_e32 v5, v0, v5, vcc_lo
	v_lshlrev_b32_e32 v25, 2, v5
	s_waitcnt lgkmcnt(0)
	v_max_f32_e32 v4, v4, v4
	v_max_f32_e32 v3, v3, v4
	ds_bpermute_b32 v4, v26, v3
	s_waitcnt lgkmcnt(0)
	v_max_f32_e32 v4, v4, v4
	v_max_f32_e32 v0, v3, v4
	buffer_load_dword v4, off, s[52:55], 0 offset:84 ; 4-byte Folded Reload
	ds_bpermute_b32 v3, v25, v0
	s_waitcnt vmcnt(0)
	v_cmp_eq_u32_e32 vcc_lo, 0, v4
	buffer_load_dword v4, off, s[52:55], 0 offset:360 ; 4-byte Folded Reload
	s_waitcnt vmcnt(0)
	v_lshlrev_b32_e32 v4, 2, v4
	s_and_saveexec_b32 s1, vcc_lo
	s_cbranch_execz .LBB230_531
; %bb.530:
	s_waitcnt lgkmcnt(0)
	v_max_f32_e32 v3, v3, v3
	v_max_f32_e32 v0, v0, v0
	;; [unrolled: 1-line block ×3, first 2 shown]
	ds_write_b32 v4, v0 offset:256
.LBB230_531:
	s_or_b32 exec_lo, exec_lo, s1
	buffer_load_dword v0, off, s[52:55], 0 offset:84 ; 4-byte Folded Reload
	s_waitcnt vmcnt(0) lgkmcnt(0)
	s_waitcnt_vscnt null, 0x0
	s_barrier
	buffer_gl0_inv
	v_cmp_gt_u32_e64 s1, 4, v0
	v_mov_b32_e32 v0, 0xff7fffff
	s_and_saveexec_b32 s2, s1
; %bb.532:
	ds_read_b32 v0, v94 offset:256
; %bb.533:
	s_or_b32 exec_lo, exec_lo, s2
	s_waitcnt lgkmcnt(0)
	ds_bpermute_b32 v3, v26, v0
	v_max_f32_e32 v0, v0, v0
	v_mov_b32_e32 v5, 0
	s_sub_i32 s2, s20, s43
	s_lshl_b32 s2, s2, 5
	s_add_i32 s2, s2, s40
	s_min_i32 s2, s2, s31
	s_sub_i32 s4, s2, s40
	s_waitcnt lgkmcnt(0)
	v_max_f32_e32 v3, v3, v3
	v_max_f32_e32 v0, v0, v3
	ds_bpermute_b32 v3, v25, v0
	s_waitcnt lgkmcnt(0)
	v_max_f32_e32 v3, v3, v3
	v_max_f32_e32 v0, v0, v3
	buffer_load_dword v3, off, s[52:55], 0 offset:356 ; 4-byte Folded Reload
	ds_bpermute_b32 v0, v5, v0
	s_waitcnt vmcnt(0)
	v_cmp_gt_i32_e64 s2, s4, v3
	v_lshl_add_u32 v3, v3, 2, 0x120
	s_and_saveexec_b32 s5, s2
	s_cbranch_execz .LBB230_537
; %bb.534:
	buffer_load_dword v7, off, s[52:55], 0 offset:356 ; 4-byte Folded Reload
	v_mov_b32_e32 v5, 0
	s_mov_b32 s12, 0
	s_waitcnt vmcnt(0)
	v_lshl_add_u32 v6, v7, 2, 0x120
	.p2align	6
.LBB230_535:                            ; =>This Inner Loop Header: Depth=1
	ds_read_b32 v8, v6
	v_add_nc_u32_e32 v7, 0x80, v7
	v_cmp_le_i32_e64 s3, s4, v7
	s_or_b32 s12, s3, s12
	s_waitcnt lgkmcnt(0)
	v_sub_f32_e32 v8, v8, v0
	v_mul_f32_e32 v8, 0x3fb8aa3b, v8
	v_exp_f32_e32 v8, v8
	ds_write_b32 v6, v8
	v_add_f32_e32 v5, v5, v8
	v_add_nc_u32_e32 v6, 0x200, v6
	s_andn2_b32 exec_lo, exec_lo, s12
	s_cbranch_execnz .LBB230_535
; %bb.536:
	s_or_b32 exec_lo, exec_lo, s12
.LBB230_537:
	s_or_b32 exec_lo, exec_lo, s5
	ds_bpermute_b32 v1, v1, v5
	s_waitcnt lgkmcnt(0)
	v_add_f32_e32 v1, v5, v1
	ds_bpermute_b32 v2, v2, v1
	s_waitcnt lgkmcnt(0)
	v_add_f32_e32 v1, v1, v2
	;; [unrolled: 3-line block ×5, first 2 shown]
	s_and_saveexec_b32 s3, vcc_lo
; %bb.538:
	ds_write_b32 v4, v1 offset:272
; %bb.539:
	s_or_b32 exec_lo, exec_lo, s3
	s_waitcnt lgkmcnt(0)
	s_barrier
	buffer_gl0_inv
	s_and_saveexec_b32 s3, s1
; %bb.540:
	ds_read_b32 v1, v94 offset:272
; %bb.541:
	s_or_b32 exec_lo, exec_lo, s3
	s_waitcnt lgkmcnt(0)
	ds_bpermute_b32 v2, v26, v1
	s_waitcnt lgkmcnt(0)
	v_add_f32_e32 v1, v1, v2
	ds_bpermute_b32 v2, v25, v1
	s_waitcnt lgkmcnt(0)
	v_add_f32_e32 v1, v1, v2
	v_mov_b32_e32 v2, 0
	ds_bpermute_b32 v1, v2, v1
	s_and_saveexec_b32 s1, s2
	s_cbranch_execz .LBB230_544
; %bb.542:
	s_waitcnt lgkmcnt(0)
	v_add_f32_e32 v2, 0x358637bd, v1
	s_mov_b32 s2, 0
	v_div_scale_f32 v4, null, v2, v2, 1.0
	v_div_scale_f32 v7, vcc_lo, 1.0, v2, 1.0
	v_rcp_f32_e32 v5, v4
	v_fma_f32 v6, -v4, v5, 1.0
	v_fmac_f32_e32 v5, v6, v5
	v_mul_f32_e32 v6, v7, v5
	v_fma_f32 v8, -v4, v6, v7
	v_fmac_f32_e32 v6, v8, v5
	v_fma_f32 v4, -v4, v6, v7
	v_div_fmas_f32 v4, v4, v5, v6
	v_div_fixup_f32 v2, v4, v2, 1.0
	buffer_load_dword v4, off, s[52:55], 0 offset:356 ; 4-byte Folded Reload
.LBB230_543:                            ; =>This Inner Loop Header: Depth=1
	ds_read_b32 v5, v3
	s_waitcnt vmcnt(0)
	v_add_nc_u32_e32 v4, 0x80, v4
	v_cmp_le_i32_e32 vcc_lo, s4, v4
	s_or_b32 s2, vcc_lo, s2
	s_waitcnt lgkmcnt(0)
	v_mul_f32_e32 v5, v2, v5
	ds_write_b32 v3, v5
	v_add_nc_u32_e32 v3, 0x200, v3
	s_andn2_b32 exec_lo, exec_lo, s2
	s_cbranch_execnz .LBB230_543
.LBB230_544:
	s_or_b32 exec_lo, exec_lo, s1
	s_waitcnt lgkmcnt(0)
	buffer_load_dword v2, off, s[52:55], 0 offset:356 ; 4-byte Folded Reload
	s_mul_i32 s1, s7, s30
	s_barrier
	s_mul_i32 s2, s1, s9
	s_mov_b32 s1, exec_lo
	s_waitcnt vmcnt(0)
	buffer_gl0_inv
	v_cmpx_eq_u32_e32 0, v2
	s_cbranch_execz .LBB230_546
; %bb.545:
	s_ashr_i32 s3, s2, 31
	s_mul_i32 s12, s7, s6
	s_lshl_b64 s[4:5], s[2:3], 2
	v_mov_b32_e32 v2, 0
	s_add_u32 s3, s26, s4
	s_addc_u32 s6, s27, s5
	s_ashr_i32 s13, s12, 31
	s_lshl_b64 s[12:13], s[12:13], 2
	s_add_u32 s3, s3, s12
	s_addc_u32 s6, s6, s13
	s_ashr_i32 s9, s8, 31
	s_lshl_b64 s[26:27], s[8:9], 2
	s_add_u32 s42, s3, s26
	s_addc_u32 s43, s6, s27
	s_add_u32 s3, s24, s4
	s_addc_u32 s4, s25, s5
	;; [unrolled: 2-line block ×4, first 2 shown]
	global_store_dword v2, v0, s[42:43]
	global_store_dword v2, v1, s[4:5]
.LBB230_546:
	s_or_b32 exec_lo, exec_lo, s1
	buffer_load_dword v0, off, s[52:55], 0 offset:356 ; 4-byte Folded Reload
	v_mov_b32_e32 v43, 0
	v_mov_b32_e32 v44, 0
	;; [unrolled: 1-line block ×16, first 2 shown]
	s_waitcnt vmcnt(0)
	v_and_b32_e32 v28, 7, v0
	s_and_saveexec_b32 s1, s0
	s_cbranch_execz .LBB230_1096
; %bb.547:
	s_clause 0x1
	buffer_load_dword v1, off, s[52:55], 0 offset:356
	buffer_load_dword v9, off, s[52:55], 0 offset:360
	s_sub_i32 s3, s41, s21
	s_ashr_i32 s0, s18, 31
	s_add_u32 s5, s38, s18
	s_addc_u32 s0, s39, s0
	s_abs_i32 s4, s22
	v_lshlrev_b32_e32 v4, 4, v28
	v_cvt_f32_u32_e32 v0, s4
	s_sub_i32 s6, 0, s4
	s_lshl_b64 s[12:13], s[36:37], 2
	s_add_i32 s33, s33, -1
	v_mov_b32_e32 v6, 0
	v_rcp_iflag_f32_e32 v0, v0
	v_mov_b32_e32 v45, 0x80
	v_bfrev_b32_e32 v8, 1
	v_mov_b32_e32 v46, 0xffff
	v_mov_b32_e32 v10, 0x7f800001
	v_mov_b32_e32 v47, 0xff
	v_mov_b32_e32 v48, 7
	v_mov_b32_e32 v49, 24
	v_mov_b32_e32 v29, 0
	v_mov_b32_e32 v30, 0
	v_mul_f32_e32 v0, 0x4f7ffffe, v0
	v_mov_b32_e32 v31, 0
	v_mov_b32_e32 v32, 0
	;; [unrolled: 1-line block ×4, first 2 shown]
	v_cvt_u32_f32_e32 v5, v0
	v_mov_b32_e32 v35, 0
	v_mov_b32_e32 v36, 0
	;; [unrolled: 1-line block ×4, first 2 shown]
	v_mul_lo_u32 v7, s6, v5
	s_add_u32 s6, s34, s12
	s_addc_u32 s9, s35, s13
	v_mov_b32_e32 v39, 0
	v_mov_b32_e32 v40, 0
	;; [unrolled: 1-line block ×5, first 2 shown]
	v_mul_hi_u32 v7, v5, v7
	v_mov_b32_e32 v43, 0
	v_add_nc_u32_e32 v51, v5, v7
	s_waitcnt vmcnt(1)
	v_lshlrev_b32_e32 v3, 2, v1
	v_lshlrev_b64 v[1:2], 2, v[65:66]
	s_waitcnt vmcnt(0)
	v_lshl_or_b32 v4, v9, 7, v4
	v_and_b32_e32 v0, 28, v3
	v_and_b32_e32 v3, 0x7c, v3
	v_add_co_u32 v11, vcc_lo, s6, v1
	v_add_co_ci_u32_e64 v12, null, s9, v2, vcc_lo
	v_add_co_u32 v13, s5, s5, v3
	v_add_co_ci_u32_e64 v14, null, s0, 0, s5
	v_add_nc_u32_e32 v50, 0x120, v4
	s_mov_b32 s6, s17
	s_mov_b32 s5, 0
	s_branch .LBB230_550
.LBB230_548:                            ;   in Loop: Header=BB230_550 Depth=1
	s_or_b32 exec_lo, exec_lo, s0
	v_mul_f32_e32 v16, v1, v114
	v_mul_f32_e32 v17, v1, v112
	;; [unrolled: 1-line block ×5, first 2 shown]
	v_fmac_f32_e32 v16, v2, v113
	v_fmac_f32_e32 v17, v2, v111
	;; [unrolled: 1-line block ×15, first 2 shown]
	v_add_f32_e32 v30, v30, v16
	v_add_f32_e32 v31, v31, v17
	;; [unrolled: 1-line block ×4, first 2 shown]
	v_mul_f32_e32 v16, v1, v92
	v_mul_f32_e32 v17, v1, v88
	;; [unrolled: 1-line block ×5, first 2 shown]
	v_fmac_f32_e32 v16, v2, v91
	v_fmac_f32_e32 v17, v2, v87
	;; [unrolled: 1-line block ×4, first 2 shown]
	v_add_f32_e32 v34, v34, v20
	v_fmac_f32_e32 v16, v3, v90
	v_fmac_f32_e32 v17, v3, v86
	;; [unrolled: 1-line block ×4, first 2 shown]
	v_mul_f32_e32 v20, v1, v76
	v_fmac_f32_e32 v16, v4, v89
	v_fmac_f32_e32 v17, v4, v85
	v_fmac_f32_e32 v18, v4, v81
	v_fmac_f32_e32 v19, v4, v77
	v_fmac_f32_e32 v21, v2, v95
	v_add_f32_e32 v36, v36, v16
	v_add_f32_e32 v37, v37, v17
	;; [unrolled: 1-line block ×4, first 2 shown]
	v_mul_f32_e32 v16, v1, v72
	v_mul_f32_e32 v17, v1, v68
	;; [unrolled: 1-line block ×5, first 2 shown]
	v_fmac_f32_e32 v20, v2, v75
	v_fmac_f32_e32 v16, v2, v71
	;; [unrolled: 1-line block ×20, first 2 shown]
	v_add_f32_e32 v35, v35, v21
	v_add_f32_e32 v40, v40, v20
	;; [unrolled: 1-line block ×7, first 2 shown]
.LBB230_549:                            ;   in Loop: Header=BB230_550 Depth=1
	s_or_b32 exec_lo, exec_lo, s9
	v_add_nc_u32_e32 v65, 4, v65
	v_add_co_u32 v11, s0, v11, 16
	v_add_co_ci_u32_e64 v12, null, 0, v12, s0
	v_cmp_le_i32_e32 vcc_lo, s20, v65
	v_add_nc_u32_e32 v127, 0x80, v127
	v_add_nc_u32_e32 v50, 0x200, v50
	s_or_b32 s5, vcc_lo, s5
	s_andn2_b32 exec_lo, exec_lo, s5
	s_cbranch_execz .LBB230_1095
.LBB230_550:                            ; =>This Inner Loop Header: Depth=1
	v_sub_nc_u32_e32 v1, 0, v127
	v_max_i32_e32 v1, v127, v1
	v_mul_hi_u32 v2, v1, s16
	v_mul_lo_u32 v3, v2, s11
	v_sub_nc_u32_e32 v1, v1, v3
	v_add_nc_u32_e32 v3, 1, v2
	v_subrev_nc_u32_e32 v4, s11, v1
	v_cmp_le_u32_e32 vcc_lo, s11, v1
	v_cndmask_b32_e32 v2, v2, v3, vcc_lo
	v_cndmask_b32_e32 v1, v1, v4, vcc_lo
	v_ashrrev_i32_e32 v3, 31, v127
	v_add_nc_u32_e32 v4, 1, v2
	v_cmp_le_u32_e32 vcc_lo, s11, v1
	v_xor_b32_e32 v3, s23, v3
	v_cndmask_b32_e32 v1, v2, v4, vcc_lo
	v_xor_b32_e32 v1, v1, v3
	v_sub_nc_u32_e32 v1, v1, v3
	v_add_nc_u32_e32 v2, s19, v1
	v_cmp_lt_i32_e64 s0, s3, v1
	v_sub_nc_u32_e32 v3, 0, v2
	v_max_i32_e32 v3, v2, v3
	v_ashrrev_i32_e32 v2, 31, v2
	v_mul_hi_u32 v4, v3, v51
	v_mul_lo_u32 v4, v4, s4
	v_sub_nc_u32_e32 v3, v3, v4
	v_subrev_nc_u32_e32 v4, s4, v3
	v_cmp_le_u32_e32 vcc_lo, s4, v3
	v_cndmask_b32_e32 v3, v3, v4, vcc_lo
	v_subrev_nc_u32_e32 v4, s4, v3
	v_cmp_le_u32_e32 vcc_lo, s4, v3
	v_cndmask_b32_e32 v3, v3, v4, vcc_lo
	v_xor_b32_e32 v3, v3, v2
	v_sub_nc_u32_e32 v2, v3, v2
	v_cmp_eq_u32_e32 vcc_lo, 0, v2
	s_or_b32 s0, vcc_lo, s0
	s_and_saveexec_b32 s9, s0
	s_cbranch_execz .LBB230_549
; %bb.551:                              ;   in Loop: Header=BB230_550 Depth=1
	global_load_dword v1, v[11:12], off
	s_load_dword s12, s[14:15], 0x0
	v_mov_b32_e32 v19, 0
	v_mov_b32_e32 v17, 0
	;; [unrolled: 1-line block ×4, first 2 shown]
	s_waitcnt vmcnt(0)
	v_mad_i64_i32 v[15:16], null, v1, s6, v[13:14]
	ds_read_b128 v[1:4], v50
	global_load_dword v52, v[15:16], off
	s_waitcnt vmcnt(0)
	v_cmp_ne_u16_sdwa s13, v52, v6 src0_sel:BYTE_0 src1_sel:DWORD
	s_and_saveexec_b32 s0, s13
	s_cbranch_execz .LBB230_559
; %bb.552:                              ;   in Loop: Header=BB230_550 Depth=1
	v_bfrev_b32_e32 v17, 1
	v_mov_b32_e32 v18, 0
	v_cmp_ne_u16_sdwa s17, v52, v45 src0_sel:BYTE_0 src1_sel:DWORD
	s_and_saveexec_b32 s13, s17
	s_cbranch_execz .LBB230_558
; %bb.553:                              ;   in Loop: Header=BB230_550 Depth=1
	v_mov_b32_e32 v17, 0x7f800001
	v_and_b32_e32 v9, 0x7f, v52
	v_mov_b32_e32 v18, 0
	s_mov_b32 s17, exec_lo
	v_cmpx_ne_u32_e32 0x7f, v9
	s_cbranch_execz .LBB230_557
; %bb.554:                              ;   in Loop: Header=BB230_550 Depth=1
	v_and_b32_e32 v5, 7, v52
	v_lshrrev_b32_e32 v7, 3, v9
	s_mov_b32 s18, exec_lo
	v_cmpx_gt_u32_e32 8, v9
; %bb.555:                              ;   in Loop: Header=BB230_550 Depth=1
	v_ffbh_u32_e32 v7, v5
	v_min_u32_e32 v7, 32, v7
	v_subrev_nc_u32_e32 v9, 28, v7
	v_sub_nc_u32_e32 v7, 29, v7
	v_lshlrev_b64 v[17:18], v9, v[5:6]
	v_and_b32_e32 v5, 7, v17
; %bb.556:                              ;   in Loop: Header=BB230_550 Depth=1
	s_or_b32 exec_lo, exec_lo, s18
	v_lshlrev_b32_e32 v9, 24, v52
	v_lshlrev_b32_e32 v5, 20, v5
	v_lshl_add_u32 v7, v7, 23, 0x3c000000
	v_and_b32_e32 v9, 0x80000000, v9
	v_or3_b32 v5, v5, v9, v7
	v_mov_b32_e32 v18, v6
	v_mov_b32_e32 v17, v5
.LBB230_557:                            ;   in Loop: Header=BB230_550 Depth=1
	s_or_b32 exec_lo, exec_lo, s17
.LBB230_558:                            ;   in Loop: Header=BB230_550 Depth=1
	s_or_b32 exec_lo, exec_lo, s13
.LBB230_559:                            ;   in Loop: Header=BB230_550 Depth=1
	s_or_b32 exec_lo, exec_lo, s0
	v_cmp_ne_u16_sdwa s13, v52, v6 src0_sel:BYTE_1 src1_sel:DWORD
	s_and_saveexec_b32 s0, s13
	s_cbranch_execz .LBB230_567
; %bb.560:                              ;   in Loop: Header=BB230_550 Depth=1
	v_mov_b32_e32 v7, v6
	v_mov_b32_e32 v20, v8
	v_cmp_ne_u16_sdwa s17, v52, v45 src0_sel:BYTE_1 src1_sel:DWORD
	v_mov_b32_e32 v19, v7
	s_and_saveexec_b32 s13, s17
	s_cbranch_execz .LBB230_566
; %bb.561:                              ;   in Loop: Header=BB230_550 Depth=1
	v_and_b32_sdwa v5, v46, v52 dst_sel:DWORD dst_unused:UNUSED_PAD src0_sel:DWORD src1_sel:BYTE_1
	v_mov_b32_e32 v9, v6
	v_mov_b32_e32 v20, v10
	s_mov_b32 s17, exec_lo
	v_and_b32_e32 v21, 0x7f, v5
	v_mov_b32_e32 v19, v9
	v_cmpx_ne_u32_e32 0x7f, v21
	s_cbranch_execz .LBB230_565
; %bb.562:                              ;   in Loop: Header=BB230_550 Depth=1
	v_and_b32_e32 v5, 7, v5
	v_lshrrev_b32_e32 v7, 3, v21
	s_mov_b32 s18, exec_lo
	v_cmpx_gt_u32_e32 8, v21
; %bb.563:                              ;   in Loop: Header=BB230_550 Depth=1
	v_ffbh_u32_e32 v7, v5
	v_min_u32_e32 v7, 32, v7
	v_subrev_nc_u32_e32 v9, 28, v7
	v_sub_nc_u32_e32 v7, 29, v7
	v_lshlrev_b64 v[19:20], v9, v[5:6]
	v_and_b32_e32 v5, 7, v19
; %bb.564:                              ;   in Loop: Header=BB230_550 Depth=1
	s_or_b32 exec_lo, exec_lo, s18
	v_lshlrev_b32_e32 v9, 16, v52
	v_lshlrev_b32_e32 v5, 20, v5
	v_lshl_add_u32 v7, v7, 23, 0x3c000000
	v_mov_b32_e32 v19, v6
	v_and_b32_e32 v9, 0x80000000, v9
	v_or3_b32 v20, v5, v9, v7
.LBB230_565:                            ;   in Loop: Header=BB230_550 Depth=1
	s_or_b32 exec_lo, exec_lo, s17
.LBB230_566:                            ;   in Loop: Header=BB230_550 Depth=1
	s_or_b32 exec_lo, exec_lo, s13
.LBB230_567:                            ;   in Loop: Header=BB230_550 Depth=1
	s_or_b32 exec_lo, exec_lo, s0
	v_mov_b32_e32 v23, 0
	v_mov_b32_e32 v21, 0
	v_and_b32_sdwa v5, v52, v47 dst_sel:DWORD dst_unused:UNUSED_PAD src0_sel:WORD_1 src1_sel:DWORD
	v_mov_b32_e32 v24, 0
	v_mov_b32_e32 v22, 0
	s_mov_b32 s0, exec_lo
	v_cmpx_ne_u16_e32 0, v5
	s_cbranch_execz .LBB230_575
; %bb.568:                              ;   in Loop: Header=BB230_550 Depth=1
	v_bfrev_b32_e32 v21, 1
	v_mov_b32_e32 v22, 0
	s_mov_b32 s13, exec_lo
	v_cmpx_ne_u16_e32 0x80, v5
	s_cbranch_execz .LBB230_574
; %bb.569:                              ;   in Loop: Header=BB230_550 Depth=1
	v_mov_b32_e32 v21, 0x7f800001
	v_bfe_u32 v9, v52, 16, 7
	v_mov_b32_e32 v22, 0
	s_mov_b32 s17, exec_lo
	v_cmpx_ne_u32_e32 0x7f, v9
	s_cbranch_execz .LBB230_573
; %bb.570:                              ;   in Loop: Header=BB230_550 Depth=1
	v_and_b32_sdwa v5, v52, v48 dst_sel:DWORD dst_unused:UNUSED_PAD src0_sel:WORD_1 src1_sel:DWORD
	v_lshrrev_b32_e32 v7, 3, v9
	s_mov_b32 s18, exec_lo
	v_cmpx_gt_u32_e32 8, v9
; %bb.571:                              ;   in Loop: Header=BB230_550 Depth=1
	v_ffbh_u32_e32 v7, v5
	v_min_u32_e32 v7, 32, v7
	v_subrev_nc_u32_e32 v9, 28, v7
	v_sub_nc_u32_e32 v7, 29, v7
	v_lshlrev_b64 v[21:22], v9, v[5:6]
	v_and_b32_e32 v5, 7, v21
; %bb.572:                              ;   in Loop: Header=BB230_550 Depth=1
	s_or_b32 exec_lo, exec_lo, s18
	v_lshlrev_b32_sdwa v9, v49, v52 dst_sel:DWORD dst_unused:UNUSED_PAD src0_sel:DWORD src1_sel:WORD_1
	v_lshlrev_b32_e32 v5, 20, v5
	v_lshl_add_u32 v7, v7, 23, 0x3c000000
	v_and_b32_e32 v9, 0x80000000, v9
	v_or3_b32 v5, v5, v9, v7
	v_mov_b32_e32 v22, v6
	v_mov_b32_e32 v21, v5
.LBB230_573:                            ;   in Loop: Header=BB230_550 Depth=1
	s_or_b32 exec_lo, exec_lo, s17
.LBB230_574:                            ;   in Loop: Header=BB230_550 Depth=1
	s_or_b32 exec_lo, exec_lo, s13
.LBB230_575:                            ;   in Loop: Header=BB230_550 Depth=1
	s_or_b32 exec_lo, exec_lo, s0
	s_mov_b32 s0, exec_lo
	v_cmpx_lt_u32_e32 0xffffff, v52
	s_cbranch_execz .LBB230_583
; %bb.576:                              ;   in Loop: Header=BB230_550 Depth=1
	v_mov_b32_e32 v7, v6
	v_mov_b32_e32 v24, v8
	v_cmp_ne_u32_sdwa s17, v52, v45 src0_sel:BYTE_3 src1_sel:DWORD
	v_mov_b32_e32 v23, v7
	s_and_saveexec_b32 s13, s17
	s_cbranch_execz .LBB230_582
; %bb.577:                              ;   in Loop: Header=BB230_550 Depth=1
	v_mov_b32_e32 v9, v6
	v_mov_b32_e32 v24, v10
	v_bfe_u32 v53, v52, 24, 7
	s_mov_b32 s17, exec_lo
	v_mov_b32_e32 v23, v9
	v_cmpx_ne_u32_e32 0x7f, v53
	s_cbranch_execz .LBB230_581
; %bb.578:                              ;   in Loop: Header=BB230_550 Depth=1
	v_and_b32_sdwa v5, v52, v48 dst_sel:DWORD dst_unused:UNUSED_PAD src0_sel:BYTE_3 src1_sel:DWORD
	v_lshrrev_b32_e32 v7, 3, v53
	s_mov_b32 s18, exec_lo
	v_cmpx_gt_u32_e32 8, v53
; %bb.579:                              ;   in Loop: Header=BB230_550 Depth=1
	v_ffbh_u32_e32 v7, v5
	v_min_u32_e32 v7, 32, v7
	v_subrev_nc_u32_e32 v9, 28, v7
	v_sub_nc_u32_e32 v7, 29, v7
	v_lshlrev_b64 v[23:24], v9, v[5:6]
	v_and_b32_e32 v5, 7, v23
; %bb.580:                              ;   in Loop: Header=BB230_550 Depth=1
	s_or_b32 exec_lo, exec_lo, s18
	v_lshlrev_b32_sdwa v9, v49, v52 dst_sel:DWORD dst_unused:UNUSED_PAD src0_sel:DWORD src1_sel:BYTE_3
	v_lshlrev_b32_e32 v5, 20, v5
	v_lshl_add_u32 v7, v7, 23, 0x3c000000
	v_mov_b32_e32 v23, v6
	v_and_b32_e32 v9, 0x80000000, v9
	v_or3_b32 v24, v5, v9, v7
.LBB230_581:                            ;   in Loop: Header=BB230_550 Depth=1
	s_or_b32 exec_lo, exec_lo, s17
.LBB230_582:                            ;   in Loop: Header=BB230_550 Depth=1
	s_or_b32 exec_lo, exec_lo, s13
.LBB230_583:                            ;   in Loop: Header=BB230_550 Depth=1
	s_or_b32 exec_lo, exec_lo, s0
	v_add_nc_u32_e32 v56, v0, v127
	v_or_b32_e32 v5, v20, v18
	v_or_b32_e32 v7, v19, v17
	;; [unrolled: 1-line block ×4, first 2 shown]
	v_cmp_eq_u32_e32 vcc_lo, s33, v65
	s_waitcnt lgkmcnt(0)
	v_mul_f32_e32 v54, s12, v5
	v_mul_f32_e32 v55, s12, v7
	;; [unrolled: 1-line block ×4, first 2 shown]
	v_add_nc_u32_e32 v59, 1, v56
	v_add_nc_u32_e32 v58, 2, v56
	;; [unrolled: 1-line block ×3, first 2 shown]
	s_and_saveexec_b32 s13, vcc_lo
	s_cbranch_execz .LBB230_585
; %bb.584:                              ;   in Loop: Header=BB230_550 Depth=1
	v_cmp_gt_i32_e64 s0, s31, v56
	v_cndmask_b32_e64 v55, 0, v55, s0
	v_cmp_gt_i32_e64 s0, s31, v59
	v_cndmask_b32_e64 v54, 0, v54, s0
	;; [unrolled: 2-line block ×4, first 2 shown]
.LBB230_585:                            ;   in Loop: Header=BB230_550 Depth=1
	s_or_b32 exec_lo, exec_lo, s13
	global_load_dword v60, v[15:16], off offset:128
	v_mov_b32_e32 v19, 0
	v_mov_b32_e32 v17, 0
	;; [unrolled: 1-line block ×4, first 2 shown]
	s_waitcnt vmcnt(0)
	v_cmp_ne_u16_sdwa s0, v60, v6 src0_sel:BYTE_0 src1_sel:DWORD
	s_and_saveexec_b32 s13, s0
	s_cbranch_execz .LBB230_593
; %bb.586:                              ;   in Loop: Header=BB230_550 Depth=1
	v_bfrev_b32_e32 v17, 1
	v_mov_b32_e32 v18, 0
	v_cmp_ne_u16_sdwa s0, v60, v45 src0_sel:BYTE_0 src1_sel:DWORD
	s_and_saveexec_b32 s17, s0
	s_cbranch_execz .LBB230_592
; %bb.587:                              ;   in Loop: Header=BB230_550 Depth=1
	v_mov_b32_e32 v17, 0x7f800001
	v_and_b32_e32 v9, 0x7f, v60
	v_mov_b32_e32 v18, 0
	s_mov_b32 s18, exec_lo
	v_cmpx_ne_u32_e32 0x7f, v9
	s_cbranch_execz .LBB230_591
; %bb.588:                              ;   in Loop: Header=BB230_550 Depth=1
	v_and_b32_e32 v5, 7, v60
	v_lshrrev_b32_e32 v7, 3, v9
	s_mov_b32 s21, exec_lo
	v_cmpx_gt_u32_e32 8, v9
; %bb.589:                              ;   in Loop: Header=BB230_550 Depth=1
	v_ffbh_u32_e32 v7, v5
	v_min_u32_e32 v7, 32, v7
	v_subrev_nc_u32_e32 v9, 28, v7
	v_sub_nc_u32_e32 v7, 29, v7
	v_lshlrev_b64 v[17:18], v9, v[5:6]
	v_and_b32_e32 v5, 7, v17
; %bb.590:                              ;   in Loop: Header=BB230_550 Depth=1
	s_or_b32 exec_lo, exec_lo, s21
	v_lshlrev_b32_e32 v9, 24, v60
	v_lshlrev_b32_e32 v5, 20, v5
	v_lshl_add_u32 v7, v7, 23, 0x3c000000
	v_and_b32_e32 v9, 0x80000000, v9
	v_or3_b32 v5, v5, v9, v7
	v_mov_b32_e32 v18, v6
	v_mov_b32_e32 v17, v5
.LBB230_591:                            ;   in Loop: Header=BB230_550 Depth=1
	s_or_b32 exec_lo, exec_lo, s18
.LBB230_592:                            ;   in Loop: Header=BB230_550 Depth=1
	s_or_b32 exec_lo, exec_lo, s17
.LBB230_593:                            ;   in Loop: Header=BB230_550 Depth=1
	s_or_b32 exec_lo, exec_lo, s13
	v_cmp_ne_u16_sdwa s0, v60, v6 src0_sel:BYTE_1 src1_sel:DWORD
	s_and_saveexec_b32 s13, s0
	s_cbranch_execz .LBB230_601
; %bb.594:                              ;   in Loop: Header=BB230_550 Depth=1
	v_mov_b32_e32 v7, v6
	v_mov_b32_e32 v20, v8
	v_cmp_ne_u16_sdwa s0, v60, v45 src0_sel:BYTE_1 src1_sel:DWORD
	v_mov_b32_e32 v19, v7
	s_and_saveexec_b32 s17, s0
	s_cbranch_execz .LBB230_600
; %bb.595:                              ;   in Loop: Header=BB230_550 Depth=1
	v_and_b32_sdwa v5, v46, v60 dst_sel:DWORD dst_unused:UNUSED_PAD src0_sel:DWORD src1_sel:BYTE_1
	v_mov_b32_e32 v9, v6
	v_mov_b32_e32 v20, v10
	s_mov_b32 s18, exec_lo
	v_and_b32_e32 v21, 0x7f, v5
	v_mov_b32_e32 v19, v9
	v_cmpx_ne_u32_e32 0x7f, v21
	s_cbranch_execz .LBB230_599
; %bb.596:                              ;   in Loop: Header=BB230_550 Depth=1
	v_and_b32_e32 v5, 7, v5
	v_lshrrev_b32_e32 v7, 3, v21
	s_mov_b32 s21, exec_lo
	v_cmpx_gt_u32_e32 8, v21
; %bb.597:                              ;   in Loop: Header=BB230_550 Depth=1
	v_ffbh_u32_e32 v7, v5
	v_min_u32_e32 v7, 32, v7
	v_subrev_nc_u32_e32 v9, 28, v7
	v_sub_nc_u32_e32 v7, 29, v7
	v_lshlrev_b64 v[19:20], v9, v[5:6]
	v_and_b32_e32 v5, 7, v19
; %bb.598:                              ;   in Loop: Header=BB230_550 Depth=1
	s_or_b32 exec_lo, exec_lo, s21
	v_lshlrev_b32_e32 v9, 16, v60
	v_lshlrev_b32_e32 v5, 20, v5
	v_lshl_add_u32 v7, v7, 23, 0x3c000000
	v_mov_b32_e32 v19, v6
	v_and_b32_e32 v9, 0x80000000, v9
	v_or3_b32 v20, v5, v9, v7
.LBB230_599:                            ;   in Loop: Header=BB230_550 Depth=1
	s_or_b32 exec_lo, exec_lo, s18
.LBB230_600:                            ;   in Loop: Header=BB230_550 Depth=1
	s_or_b32 exec_lo, exec_lo, s17
.LBB230_601:                            ;   in Loop: Header=BB230_550 Depth=1
	s_or_b32 exec_lo, exec_lo, s13
	v_mov_b32_e32 v23, 0
	v_mov_b32_e32 v21, 0
	v_and_b32_sdwa v5, v60, v47 dst_sel:DWORD dst_unused:UNUSED_PAD src0_sel:WORD_1 src1_sel:DWORD
	v_mov_b32_e32 v24, 0
	v_mov_b32_e32 v22, 0
	s_mov_b32 s13, exec_lo
	v_cmpx_ne_u16_e32 0, v5
	s_cbranch_execz .LBB230_609
; %bb.602:                              ;   in Loop: Header=BB230_550 Depth=1
	v_bfrev_b32_e32 v21, 1
	v_mov_b32_e32 v22, 0
	s_mov_b32 s17, exec_lo
	v_cmpx_ne_u16_e32 0x80, v5
	s_cbranch_execz .LBB230_608
; %bb.603:                              ;   in Loop: Header=BB230_550 Depth=1
	v_mov_b32_e32 v21, 0x7f800001
	v_bfe_u32 v9, v60, 16, 7
	v_mov_b32_e32 v22, 0
	s_mov_b32 s18, exec_lo
	v_cmpx_ne_u32_e32 0x7f, v9
	s_cbranch_execz .LBB230_607
; %bb.604:                              ;   in Loop: Header=BB230_550 Depth=1
	v_and_b32_sdwa v5, v60, v48 dst_sel:DWORD dst_unused:UNUSED_PAD src0_sel:WORD_1 src1_sel:DWORD
	v_lshrrev_b32_e32 v7, 3, v9
	s_mov_b32 s21, exec_lo
	v_cmpx_gt_u32_e32 8, v9
; %bb.605:                              ;   in Loop: Header=BB230_550 Depth=1
	v_ffbh_u32_e32 v7, v5
	v_min_u32_e32 v7, 32, v7
	v_subrev_nc_u32_e32 v9, 28, v7
	v_sub_nc_u32_e32 v7, 29, v7
	v_lshlrev_b64 v[21:22], v9, v[5:6]
	v_and_b32_e32 v5, 7, v21
; %bb.606:                              ;   in Loop: Header=BB230_550 Depth=1
	s_or_b32 exec_lo, exec_lo, s21
	v_lshlrev_b32_sdwa v9, v49, v60 dst_sel:DWORD dst_unused:UNUSED_PAD src0_sel:DWORD src1_sel:WORD_1
	v_lshlrev_b32_e32 v5, 20, v5
	v_lshl_add_u32 v7, v7, 23, 0x3c000000
	v_and_b32_e32 v9, 0x80000000, v9
	v_or3_b32 v5, v5, v9, v7
	v_mov_b32_e32 v22, v6
	v_mov_b32_e32 v21, v5
.LBB230_607:                            ;   in Loop: Header=BB230_550 Depth=1
	s_or_b32 exec_lo, exec_lo, s18
.LBB230_608:                            ;   in Loop: Header=BB230_550 Depth=1
	s_or_b32 exec_lo, exec_lo, s17
.LBB230_609:                            ;   in Loop: Header=BB230_550 Depth=1
	s_or_b32 exec_lo, exec_lo, s13
	s_mov_b32 s13, exec_lo
	v_cmpx_lt_u32_e32 0xffffff, v60
	s_cbranch_execz .LBB230_617
; %bb.610:                              ;   in Loop: Header=BB230_550 Depth=1
	v_mov_b32_e32 v7, v6
	v_mov_b32_e32 v24, v8
	v_cmp_ne_u32_sdwa s0, v60, v45 src0_sel:BYTE_3 src1_sel:DWORD
	v_mov_b32_e32 v23, v7
	s_and_saveexec_b32 s17, s0
	s_cbranch_execz .LBB230_616
; %bb.611:                              ;   in Loop: Header=BB230_550 Depth=1
	v_mov_b32_e32 v9, v6
	v_mov_b32_e32 v24, v10
	v_bfe_u32 v61, v60, 24, 7
	s_mov_b32 s18, exec_lo
	v_mov_b32_e32 v23, v9
	v_cmpx_ne_u32_e32 0x7f, v61
	s_cbranch_execz .LBB230_615
; %bb.612:                              ;   in Loop: Header=BB230_550 Depth=1
	v_and_b32_sdwa v5, v60, v48 dst_sel:DWORD dst_unused:UNUSED_PAD src0_sel:BYTE_3 src1_sel:DWORD
	v_lshrrev_b32_e32 v7, 3, v61
	s_mov_b32 s21, exec_lo
	v_cmpx_gt_u32_e32 8, v61
; %bb.613:                              ;   in Loop: Header=BB230_550 Depth=1
	v_ffbh_u32_e32 v7, v5
	v_min_u32_e32 v7, 32, v7
	v_subrev_nc_u32_e32 v9, 28, v7
	v_sub_nc_u32_e32 v7, 29, v7
	v_lshlrev_b64 v[23:24], v9, v[5:6]
	v_and_b32_e32 v5, 7, v23
; %bb.614:                              ;   in Loop: Header=BB230_550 Depth=1
	s_or_b32 exec_lo, exec_lo, s21
	v_lshlrev_b32_sdwa v9, v49, v60 dst_sel:DWORD dst_unused:UNUSED_PAD src0_sel:DWORD src1_sel:BYTE_3
	v_lshlrev_b32_e32 v5, 20, v5
	v_lshl_add_u32 v7, v7, 23, 0x3c000000
	v_mov_b32_e32 v23, v6
	v_and_b32_e32 v9, 0x80000000, v9
	v_or3_b32 v24, v5, v9, v7
.LBB230_615:                            ;   in Loop: Header=BB230_550 Depth=1
	s_or_b32 exec_lo, exec_lo, s18
.LBB230_616:                            ;   in Loop: Header=BB230_550 Depth=1
	s_or_b32 exec_lo, exec_lo, s17
.LBB230_617:                            ;   in Loop: Header=BB230_550 Depth=1
	s_or_b32 exec_lo, exec_lo, s13
	v_or_b32_e32 v5, v20, v18
	v_or_b32_e32 v7, v19, v17
	;; [unrolled: 1-line block ×4, first 2 shown]
	s_mov_b32 s13, s12
	v_mul_f32_e32 v62, s13, v5
	v_mul_f32_e32 v63, s12, v7
	;; [unrolled: 1-line block ×4, first 2 shown]
	s_and_saveexec_b32 s17, vcc_lo
	s_cbranch_execz .LBB230_619
; %bb.618:                              ;   in Loop: Header=BB230_550 Depth=1
	v_cmp_gt_i32_e64 s0, s31, v56
	v_cndmask_b32_e64 v63, 0, v63, s0
	v_cmp_gt_i32_e64 s0, s31, v59
	v_cndmask_b32_e64 v62, 0, v62, s0
	;; [unrolled: 2-line block ×4, first 2 shown]
.LBB230_619:                            ;   in Loop: Header=BB230_550 Depth=1
	s_or_b32 exec_lo, exec_lo, s17
	global_load_dword v64, v[15:16], off offset:256
	v_mov_b32_e32 v19, 0
	v_mov_b32_e32 v17, 0
	;; [unrolled: 1-line block ×4, first 2 shown]
	s_waitcnt vmcnt(0)
	v_cmp_ne_u16_sdwa s0, v64, v6 src0_sel:BYTE_0 src1_sel:DWORD
	s_and_saveexec_b32 s17, s0
	s_cbranch_execz .LBB230_627
; %bb.620:                              ;   in Loop: Header=BB230_550 Depth=1
	v_bfrev_b32_e32 v17, 1
	v_mov_b32_e32 v18, 0
	v_cmp_ne_u16_sdwa s0, v64, v45 src0_sel:BYTE_0 src1_sel:DWORD
	s_and_saveexec_b32 s18, s0
	s_cbranch_execz .LBB230_626
; %bb.621:                              ;   in Loop: Header=BB230_550 Depth=1
	v_mov_b32_e32 v17, 0x7f800001
	v_and_b32_e32 v9, 0x7f, v64
	v_mov_b32_e32 v18, 0
	s_mov_b32 s21, exec_lo
	v_cmpx_ne_u32_e32 0x7f, v9
	s_cbranch_execz .LBB230_625
; %bb.622:                              ;   in Loop: Header=BB230_550 Depth=1
	v_and_b32_e32 v5, 7, v64
	v_lshrrev_b32_e32 v7, 3, v9
	s_mov_b32 s22, exec_lo
	v_cmpx_gt_u32_e32 8, v9
; %bb.623:                              ;   in Loop: Header=BB230_550 Depth=1
	v_ffbh_u32_e32 v7, v5
	v_min_u32_e32 v7, 32, v7
	v_subrev_nc_u32_e32 v9, 28, v7
	v_sub_nc_u32_e32 v7, 29, v7
	v_lshlrev_b64 v[17:18], v9, v[5:6]
	v_and_b32_e32 v5, 7, v17
; %bb.624:                              ;   in Loop: Header=BB230_550 Depth=1
	s_or_b32 exec_lo, exec_lo, s22
	v_lshlrev_b32_e32 v9, 24, v64
	v_lshlrev_b32_e32 v5, 20, v5
	v_lshl_add_u32 v7, v7, 23, 0x3c000000
	v_and_b32_e32 v9, 0x80000000, v9
	v_or3_b32 v5, v5, v9, v7
	v_mov_b32_e32 v18, v6
	v_mov_b32_e32 v17, v5
.LBB230_625:                            ;   in Loop: Header=BB230_550 Depth=1
	s_or_b32 exec_lo, exec_lo, s21
.LBB230_626:                            ;   in Loop: Header=BB230_550 Depth=1
	s_or_b32 exec_lo, exec_lo, s18
.LBB230_627:                            ;   in Loop: Header=BB230_550 Depth=1
	s_or_b32 exec_lo, exec_lo, s17
	v_cmp_ne_u16_sdwa s0, v64, v6 src0_sel:BYTE_1 src1_sel:DWORD
	s_and_saveexec_b32 s17, s0
	s_cbranch_execz .LBB230_635
; %bb.628:                              ;   in Loop: Header=BB230_550 Depth=1
	v_mov_b32_e32 v7, v6
	v_mov_b32_e32 v20, v8
	v_cmp_ne_u16_sdwa s0, v64, v45 src0_sel:BYTE_1 src1_sel:DWORD
	v_mov_b32_e32 v19, v7
	s_and_saveexec_b32 s18, s0
	s_cbranch_execz .LBB230_634
; %bb.629:                              ;   in Loop: Header=BB230_550 Depth=1
	v_and_b32_sdwa v5, v46, v64 dst_sel:DWORD dst_unused:UNUSED_PAD src0_sel:DWORD src1_sel:BYTE_1
	v_mov_b32_e32 v9, v6
	v_mov_b32_e32 v20, v10
	s_mov_b32 s21, exec_lo
	v_and_b32_e32 v21, 0x7f, v5
	v_mov_b32_e32 v19, v9
	v_cmpx_ne_u32_e32 0x7f, v21
	s_cbranch_execz .LBB230_633
; %bb.630:                              ;   in Loop: Header=BB230_550 Depth=1
	v_and_b32_e32 v5, 7, v5
	v_lshrrev_b32_e32 v7, 3, v21
	s_mov_b32 s22, exec_lo
	v_cmpx_gt_u32_e32 8, v21
; %bb.631:                              ;   in Loop: Header=BB230_550 Depth=1
	v_ffbh_u32_e32 v7, v5
	v_min_u32_e32 v7, 32, v7
	v_subrev_nc_u32_e32 v9, 28, v7
	v_sub_nc_u32_e32 v7, 29, v7
	v_lshlrev_b64 v[19:20], v9, v[5:6]
	v_and_b32_e32 v5, 7, v19
; %bb.632:                              ;   in Loop: Header=BB230_550 Depth=1
	s_or_b32 exec_lo, exec_lo, s22
	v_lshlrev_b32_e32 v9, 16, v64
	v_lshlrev_b32_e32 v5, 20, v5
	v_lshl_add_u32 v7, v7, 23, 0x3c000000
	v_mov_b32_e32 v19, v6
	v_and_b32_e32 v9, 0x80000000, v9
	v_or3_b32 v20, v5, v9, v7
.LBB230_633:                            ;   in Loop: Header=BB230_550 Depth=1
	s_or_b32 exec_lo, exec_lo, s21
.LBB230_634:                            ;   in Loop: Header=BB230_550 Depth=1
	s_or_b32 exec_lo, exec_lo, s18
.LBB230_635:                            ;   in Loop: Header=BB230_550 Depth=1
	s_or_b32 exec_lo, exec_lo, s17
	v_mov_b32_e32 v23, 0
	v_mov_b32_e32 v21, 0
	v_and_b32_sdwa v5, v64, v47 dst_sel:DWORD dst_unused:UNUSED_PAD src0_sel:WORD_1 src1_sel:DWORD
	v_mov_b32_e32 v24, 0
	v_mov_b32_e32 v22, 0
	s_mov_b32 s17, exec_lo
	v_cmpx_ne_u16_e32 0, v5
	s_cbranch_execz .LBB230_643
; %bb.636:                              ;   in Loop: Header=BB230_550 Depth=1
	v_bfrev_b32_e32 v21, 1
	v_mov_b32_e32 v22, 0
	s_mov_b32 s18, exec_lo
	v_cmpx_ne_u16_e32 0x80, v5
	s_cbranch_execz .LBB230_642
; %bb.637:                              ;   in Loop: Header=BB230_550 Depth=1
	v_mov_b32_e32 v21, 0x7f800001
	v_bfe_u32 v9, v64, 16, 7
	v_mov_b32_e32 v22, 0
	s_mov_b32 s21, exec_lo
	v_cmpx_ne_u32_e32 0x7f, v9
	s_cbranch_execz .LBB230_641
; %bb.638:                              ;   in Loop: Header=BB230_550 Depth=1
	v_and_b32_sdwa v5, v64, v48 dst_sel:DWORD dst_unused:UNUSED_PAD src0_sel:WORD_1 src1_sel:DWORD
	v_lshrrev_b32_e32 v7, 3, v9
	s_mov_b32 s22, exec_lo
	v_cmpx_gt_u32_e32 8, v9
; %bb.639:                              ;   in Loop: Header=BB230_550 Depth=1
	v_ffbh_u32_e32 v7, v5
	v_min_u32_e32 v7, 32, v7
	v_subrev_nc_u32_e32 v9, 28, v7
	v_sub_nc_u32_e32 v7, 29, v7
	v_lshlrev_b64 v[21:22], v9, v[5:6]
	v_and_b32_e32 v5, 7, v21
; %bb.640:                              ;   in Loop: Header=BB230_550 Depth=1
	s_or_b32 exec_lo, exec_lo, s22
	v_lshlrev_b32_sdwa v9, v49, v64 dst_sel:DWORD dst_unused:UNUSED_PAD src0_sel:DWORD src1_sel:WORD_1
	v_lshlrev_b32_e32 v5, 20, v5
	v_lshl_add_u32 v7, v7, 23, 0x3c000000
	v_and_b32_e32 v9, 0x80000000, v9
	v_or3_b32 v5, v5, v9, v7
	v_mov_b32_e32 v22, v6
	v_mov_b32_e32 v21, v5
.LBB230_641:                            ;   in Loop: Header=BB230_550 Depth=1
	s_or_b32 exec_lo, exec_lo, s21
.LBB230_642:                            ;   in Loop: Header=BB230_550 Depth=1
	s_or_b32 exec_lo, exec_lo, s18
.LBB230_643:                            ;   in Loop: Header=BB230_550 Depth=1
	s_or_b32 exec_lo, exec_lo, s17
	s_mov_b32 s17, exec_lo
	v_cmpx_lt_u32_e32 0xffffff, v64
	s_cbranch_execz .LBB230_651
; %bb.644:                              ;   in Loop: Header=BB230_550 Depth=1
	v_mov_b32_e32 v7, v6
	v_mov_b32_e32 v24, v8
	v_cmp_ne_u32_sdwa s0, v64, v45 src0_sel:BYTE_3 src1_sel:DWORD
	v_mov_b32_e32 v23, v7
	s_and_saveexec_b32 s18, s0
	s_cbranch_execz .LBB230_650
; %bb.645:                              ;   in Loop: Header=BB230_550 Depth=1
	v_mov_b32_e32 v9, v6
	v_mov_b32_e32 v24, v10
	v_bfe_u32 v66, v64, 24, 7
	s_mov_b32 s21, exec_lo
	v_mov_b32_e32 v23, v9
	v_cmpx_ne_u32_e32 0x7f, v66
	s_cbranch_execz .LBB230_649
; %bb.646:                              ;   in Loop: Header=BB230_550 Depth=1
	v_and_b32_sdwa v5, v64, v48 dst_sel:DWORD dst_unused:UNUSED_PAD src0_sel:BYTE_3 src1_sel:DWORD
	v_lshrrev_b32_e32 v7, 3, v66
	s_mov_b32 s22, exec_lo
	v_cmpx_gt_u32_e32 8, v66
; %bb.647:                              ;   in Loop: Header=BB230_550 Depth=1
	v_ffbh_u32_e32 v7, v5
	v_min_u32_e32 v7, 32, v7
	v_subrev_nc_u32_e32 v9, 28, v7
	v_sub_nc_u32_e32 v7, 29, v7
	v_lshlrev_b64 v[23:24], v9, v[5:6]
	v_and_b32_e32 v5, 7, v23
; %bb.648:                              ;   in Loop: Header=BB230_550 Depth=1
	s_or_b32 exec_lo, exec_lo, s22
	v_lshlrev_b32_sdwa v9, v49, v64 dst_sel:DWORD dst_unused:UNUSED_PAD src0_sel:DWORD src1_sel:BYTE_3
	v_lshlrev_b32_e32 v5, 20, v5
	v_lshl_add_u32 v7, v7, 23, 0x3c000000
	v_mov_b32_e32 v23, v6
	v_and_b32_e32 v9, 0x80000000, v9
	v_or3_b32 v24, v5, v9, v7
.LBB230_649:                            ;   in Loop: Header=BB230_550 Depth=1
	s_or_b32 exec_lo, exec_lo, s21
.LBB230_650:                            ;   in Loop: Header=BB230_550 Depth=1
	s_or_b32 exec_lo, exec_lo, s18
.LBB230_651:                            ;   in Loop: Header=BB230_550 Depth=1
	s_or_b32 exec_lo, exec_lo, s17
	v_or_b32_e32 v5, v20, v18
	v_or_b32_e32 v7, v19, v17
	;; [unrolled: 1-line block ×4, first 2 shown]
	v_mul_f32_e32 v67, s13, v5
	v_mul_f32_e32 v68, s12, v7
	;; [unrolled: 1-line block ×4, first 2 shown]
	s_and_saveexec_b32 s17, vcc_lo
	s_cbranch_execz .LBB230_653
; %bb.652:                              ;   in Loop: Header=BB230_550 Depth=1
	v_cmp_gt_i32_e64 s0, s31, v56
	v_cndmask_b32_e64 v68, 0, v68, s0
	v_cmp_gt_i32_e64 s0, s31, v59
	v_cndmask_b32_e64 v67, 0, v67, s0
	;; [unrolled: 2-line block ×4, first 2 shown]
.LBB230_653:                            ;   in Loop: Header=BB230_550 Depth=1
	s_or_b32 exec_lo, exec_lo, s17
	global_load_dword v69, v[15:16], off offset:384
	v_mov_b32_e32 v19, 0
	v_mov_b32_e32 v17, 0
	;; [unrolled: 1-line block ×4, first 2 shown]
	s_waitcnt vmcnt(0)
	v_cmp_ne_u16_sdwa s0, v69, v6 src0_sel:BYTE_0 src1_sel:DWORD
	s_and_saveexec_b32 s17, s0
	s_cbranch_execz .LBB230_661
; %bb.654:                              ;   in Loop: Header=BB230_550 Depth=1
	v_bfrev_b32_e32 v17, 1
	v_mov_b32_e32 v18, 0
	v_cmp_ne_u16_sdwa s0, v69, v45 src0_sel:BYTE_0 src1_sel:DWORD
	s_and_saveexec_b32 s18, s0
	s_cbranch_execz .LBB230_660
; %bb.655:                              ;   in Loop: Header=BB230_550 Depth=1
	v_mov_b32_e32 v17, 0x7f800001
	v_and_b32_e32 v9, 0x7f, v69
	v_mov_b32_e32 v18, 0
	s_mov_b32 s21, exec_lo
	v_cmpx_ne_u32_e32 0x7f, v9
	s_cbranch_execz .LBB230_659
; %bb.656:                              ;   in Loop: Header=BB230_550 Depth=1
	v_and_b32_e32 v5, 7, v69
	v_lshrrev_b32_e32 v7, 3, v9
	s_mov_b32 s22, exec_lo
	v_cmpx_gt_u32_e32 8, v9
; %bb.657:                              ;   in Loop: Header=BB230_550 Depth=1
	v_ffbh_u32_e32 v7, v5
	v_min_u32_e32 v7, 32, v7
	v_subrev_nc_u32_e32 v9, 28, v7
	v_sub_nc_u32_e32 v7, 29, v7
	v_lshlrev_b64 v[17:18], v9, v[5:6]
	v_and_b32_e32 v5, 7, v17
; %bb.658:                              ;   in Loop: Header=BB230_550 Depth=1
	s_or_b32 exec_lo, exec_lo, s22
	v_lshlrev_b32_e32 v9, 24, v69
	v_lshlrev_b32_e32 v5, 20, v5
	v_lshl_add_u32 v7, v7, 23, 0x3c000000
	v_and_b32_e32 v9, 0x80000000, v9
	v_or3_b32 v5, v5, v9, v7
	v_mov_b32_e32 v18, v6
	v_mov_b32_e32 v17, v5
.LBB230_659:                            ;   in Loop: Header=BB230_550 Depth=1
	s_or_b32 exec_lo, exec_lo, s21
.LBB230_660:                            ;   in Loop: Header=BB230_550 Depth=1
	s_or_b32 exec_lo, exec_lo, s18
.LBB230_661:                            ;   in Loop: Header=BB230_550 Depth=1
	s_or_b32 exec_lo, exec_lo, s17
	v_cmp_ne_u16_sdwa s0, v69, v6 src0_sel:BYTE_1 src1_sel:DWORD
	s_and_saveexec_b32 s17, s0
	s_cbranch_execz .LBB230_669
; %bb.662:                              ;   in Loop: Header=BB230_550 Depth=1
	v_mov_b32_e32 v7, v6
	v_mov_b32_e32 v20, v8
	v_cmp_ne_u16_sdwa s0, v69, v45 src0_sel:BYTE_1 src1_sel:DWORD
	v_mov_b32_e32 v19, v7
	s_and_saveexec_b32 s18, s0
	s_cbranch_execz .LBB230_668
; %bb.663:                              ;   in Loop: Header=BB230_550 Depth=1
	v_and_b32_sdwa v5, v46, v69 dst_sel:DWORD dst_unused:UNUSED_PAD src0_sel:DWORD src1_sel:BYTE_1
	v_mov_b32_e32 v9, v6
	v_mov_b32_e32 v20, v10
	s_mov_b32 s21, exec_lo
	v_and_b32_e32 v21, 0x7f, v5
	v_mov_b32_e32 v19, v9
	v_cmpx_ne_u32_e32 0x7f, v21
	s_cbranch_execz .LBB230_667
; %bb.664:                              ;   in Loop: Header=BB230_550 Depth=1
	v_and_b32_e32 v5, 7, v5
	v_lshrrev_b32_e32 v7, 3, v21
	s_mov_b32 s22, exec_lo
	v_cmpx_gt_u32_e32 8, v21
; %bb.665:                              ;   in Loop: Header=BB230_550 Depth=1
	v_ffbh_u32_e32 v7, v5
	v_min_u32_e32 v7, 32, v7
	v_subrev_nc_u32_e32 v9, 28, v7
	v_sub_nc_u32_e32 v7, 29, v7
	v_lshlrev_b64 v[19:20], v9, v[5:6]
	v_and_b32_e32 v5, 7, v19
; %bb.666:                              ;   in Loop: Header=BB230_550 Depth=1
	s_or_b32 exec_lo, exec_lo, s22
	v_lshlrev_b32_e32 v9, 16, v69
	v_lshlrev_b32_e32 v5, 20, v5
	v_lshl_add_u32 v7, v7, 23, 0x3c000000
	v_mov_b32_e32 v19, v6
	v_and_b32_e32 v9, 0x80000000, v9
	v_or3_b32 v20, v5, v9, v7
.LBB230_667:                            ;   in Loop: Header=BB230_550 Depth=1
	s_or_b32 exec_lo, exec_lo, s21
.LBB230_668:                            ;   in Loop: Header=BB230_550 Depth=1
	s_or_b32 exec_lo, exec_lo, s18
.LBB230_669:                            ;   in Loop: Header=BB230_550 Depth=1
	s_or_b32 exec_lo, exec_lo, s17
	v_mov_b32_e32 v23, 0
	v_mov_b32_e32 v21, 0
	v_and_b32_sdwa v5, v69, v47 dst_sel:DWORD dst_unused:UNUSED_PAD src0_sel:WORD_1 src1_sel:DWORD
	v_mov_b32_e32 v24, 0
	v_mov_b32_e32 v22, 0
	s_mov_b32 s17, exec_lo
	v_cmpx_ne_u16_e32 0, v5
	s_cbranch_execz .LBB230_677
; %bb.670:                              ;   in Loop: Header=BB230_550 Depth=1
	v_bfrev_b32_e32 v21, 1
	v_mov_b32_e32 v22, 0
	s_mov_b32 s18, exec_lo
	v_cmpx_ne_u16_e32 0x80, v5
	s_cbranch_execz .LBB230_676
; %bb.671:                              ;   in Loop: Header=BB230_550 Depth=1
	v_mov_b32_e32 v21, 0x7f800001
	v_bfe_u32 v9, v69, 16, 7
	v_mov_b32_e32 v22, 0
	s_mov_b32 s21, exec_lo
	v_cmpx_ne_u32_e32 0x7f, v9
	s_cbranch_execz .LBB230_675
; %bb.672:                              ;   in Loop: Header=BB230_550 Depth=1
	v_and_b32_sdwa v5, v69, v48 dst_sel:DWORD dst_unused:UNUSED_PAD src0_sel:WORD_1 src1_sel:DWORD
	v_lshrrev_b32_e32 v7, 3, v9
	s_mov_b32 s22, exec_lo
	v_cmpx_gt_u32_e32 8, v9
; %bb.673:                              ;   in Loop: Header=BB230_550 Depth=1
	v_ffbh_u32_e32 v7, v5
	v_min_u32_e32 v7, 32, v7
	v_subrev_nc_u32_e32 v9, 28, v7
	v_sub_nc_u32_e32 v7, 29, v7
	v_lshlrev_b64 v[21:22], v9, v[5:6]
	v_and_b32_e32 v5, 7, v21
; %bb.674:                              ;   in Loop: Header=BB230_550 Depth=1
	s_or_b32 exec_lo, exec_lo, s22
	v_lshlrev_b32_sdwa v9, v49, v69 dst_sel:DWORD dst_unused:UNUSED_PAD src0_sel:DWORD src1_sel:WORD_1
	v_lshlrev_b32_e32 v5, 20, v5
	v_lshl_add_u32 v7, v7, 23, 0x3c000000
	v_and_b32_e32 v9, 0x80000000, v9
	v_or3_b32 v5, v5, v9, v7
	v_mov_b32_e32 v22, v6
	v_mov_b32_e32 v21, v5
.LBB230_675:                            ;   in Loop: Header=BB230_550 Depth=1
	s_or_b32 exec_lo, exec_lo, s21
.LBB230_676:                            ;   in Loop: Header=BB230_550 Depth=1
	s_or_b32 exec_lo, exec_lo, s18
.LBB230_677:                            ;   in Loop: Header=BB230_550 Depth=1
	s_or_b32 exec_lo, exec_lo, s17
	s_mov_b32 s17, exec_lo
	v_cmpx_lt_u32_e32 0xffffff, v69
	s_cbranch_execz .LBB230_685
; %bb.678:                              ;   in Loop: Header=BB230_550 Depth=1
	v_mov_b32_e32 v7, v6
	v_mov_b32_e32 v24, v8
	v_cmp_ne_u32_sdwa s0, v69, v45 src0_sel:BYTE_3 src1_sel:DWORD
	v_mov_b32_e32 v23, v7
	s_and_saveexec_b32 s18, s0
	s_cbranch_execz .LBB230_684
; %bb.679:                              ;   in Loop: Header=BB230_550 Depth=1
	v_mov_b32_e32 v9, v6
	v_mov_b32_e32 v24, v10
	v_bfe_u32 v70, v69, 24, 7
	s_mov_b32 s21, exec_lo
	v_mov_b32_e32 v23, v9
	v_cmpx_ne_u32_e32 0x7f, v70
	s_cbranch_execz .LBB230_683
; %bb.680:                              ;   in Loop: Header=BB230_550 Depth=1
	v_and_b32_sdwa v5, v69, v48 dst_sel:DWORD dst_unused:UNUSED_PAD src0_sel:BYTE_3 src1_sel:DWORD
	v_lshrrev_b32_e32 v7, 3, v70
	s_mov_b32 s22, exec_lo
	v_cmpx_gt_u32_e32 8, v70
; %bb.681:                              ;   in Loop: Header=BB230_550 Depth=1
	v_ffbh_u32_e32 v7, v5
	v_min_u32_e32 v7, 32, v7
	v_subrev_nc_u32_e32 v9, 28, v7
	v_sub_nc_u32_e32 v7, 29, v7
	v_lshlrev_b64 v[23:24], v9, v[5:6]
	v_and_b32_e32 v5, 7, v23
; %bb.682:                              ;   in Loop: Header=BB230_550 Depth=1
	s_or_b32 exec_lo, exec_lo, s22
	v_lshlrev_b32_sdwa v9, v49, v69 dst_sel:DWORD dst_unused:UNUSED_PAD src0_sel:DWORD src1_sel:BYTE_3
	v_lshlrev_b32_e32 v5, 20, v5
	v_lshl_add_u32 v7, v7, 23, 0x3c000000
	v_mov_b32_e32 v23, v6
	v_and_b32_e32 v9, 0x80000000, v9
	v_or3_b32 v24, v5, v9, v7
.LBB230_683:                            ;   in Loop: Header=BB230_550 Depth=1
	s_or_b32 exec_lo, exec_lo, s21
.LBB230_684:                            ;   in Loop: Header=BB230_550 Depth=1
	s_or_b32 exec_lo, exec_lo, s18
.LBB230_685:                            ;   in Loop: Header=BB230_550 Depth=1
	s_or_b32 exec_lo, exec_lo, s17
	v_or_b32_e32 v5, v20, v18
	v_or_b32_e32 v7, v19, v17
	;; [unrolled: 1-line block ×4, first 2 shown]
	v_mul_f32_e32 v71, s13, v5
	v_mul_f32_e32 v72, s12, v7
	;; [unrolled: 1-line block ×4, first 2 shown]
	s_and_saveexec_b32 s17, vcc_lo
	s_cbranch_execz .LBB230_687
; %bb.686:                              ;   in Loop: Header=BB230_550 Depth=1
	v_cmp_gt_i32_e64 s0, s31, v56
	v_cndmask_b32_e64 v72, 0, v72, s0
	v_cmp_gt_i32_e64 s0, s31, v59
	v_cndmask_b32_e64 v71, 0, v71, s0
	;; [unrolled: 2-line block ×4, first 2 shown]
.LBB230_687:                            ;   in Loop: Header=BB230_550 Depth=1
	s_or_b32 exec_lo, exec_lo, s17
	global_load_dword v73, v[15:16], off offset:512
	v_mov_b32_e32 v19, 0
	v_mov_b32_e32 v17, 0
	;; [unrolled: 1-line block ×4, first 2 shown]
	s_waitcnt vmcnt(0)
	v_cmp_ne_u16_sdwa s0, v73, v6 src0_sel:BYTE_0 src1_sel:DWORD
	s_and_saveexec_b32 s17, s0
	s_cbranch_execz .LBB230_695
; %bb.688:                              ;   in Loop: Header=BB230_550 Depth=1
	v_bfrev_b32_e32 v17, 1
	v_mov_b32_e32 v18, 0
	v_cmp_ne_u16_sdwa s0, v73, v45 src0_sel:BYTE_0 src1_sel:DWORD
	s_and_saveexec_b32 s18, s0
	s_cbranch_execz .LBB230_694
; %bb.689:                              ;   in Loop: Header=BB230_550 Depth=1
	v_mov_b32_e32 v17, 0x7f800001
	v_and_b32_e32 v9, 0x7f, v73
	v_mov_b32_e32 v18, 0
	s_mov_b32 s21, exec_lo
	v_cmpx_ne_u32_e32 0x7f, v9
	s_cbranch_execz .LBB230_693
; %bb.690:                              ;   in Loop: Header=BB230_550 Depth=1
	v_and_b32_e32 v5, 7, v73
	v_lshrrev_b32_e32 v7, 3, v9
	s_mov_b32 s22, exec_lo
	v_cmpx_gt_u32_e32 8, v9
; %bb.691:                              ;   in Loop: Header=BB230_550 Depth=1
	v_ffbh_u32_e32 v7, v5
	v_min_u32_e32 v7, 32, v7
	v_subrev_nc_u32_e32 v9, 28, v7
	v_sub_nc_u32_e32 v7, 29, v7
	v_lshlrev_b64 v[17:18], v9, v[5:6]
	v_and_b32_e32 v5, 7, v17
; %bb.692:                              ;   in Loop: Header=BB230_550 Depth=1
	s_or_b32 exec_lo, exec_lo, s22
	v_lshlrev_b32_e32 v9, 24, v73
	v_lshlrev_b32_e32 v5, 20, v5
	v_lshl_add_u32 v7, v7, 23, 0x3c000000
	v_and_b32_e32 v9, 0x80000000, v9
	v_or3_b32 v5, v5, v9, v7
	v_mov_b32_e32 v18, v6
	v_mov_b32_e32 v17, v5
.LBB230_693:                            ;   in Loop: Header=BB230_550 Depth=1
	s_or_b32 exec_lo, exec_lo, s21
.LBB230_694:                            ;   in Loop: Header=BB230_550 Depth=1
	s_or_b32 exec_lo, exec_lo, s18
.LBB230_695:                            ;   in Loop: Header=BB230_550 Depth=1
	s_or_b32 exec_lo, exec_lo, s17
	v_cmp_ne_u16_sdwa s0, v73, v6 src0_sel:BYTE_1 src1_sel:DWORD
	s_and_saveexec_b32 s17, s0
	s_cbranch_execz .LBB230_703
; %bb.696:                              ;   in Loop: Header=BB230_550 Depth=1
	v_mov_b32_e32 v7, v6
	v_mov_b32_e32 v20, v8
	v_cmp_ne_u16_sdwa s0, v73, v45 src0_sel:BYTE_1 src1_sel:DWORD
	v_mov_b32_e32 v19, v7
	s_and_saveexec_b32 s18, s0
	s_cbranch_execz .LBB230_702
; %bb.697:                              ;   in Loop: Header=BB230_550 Depth=1
	v_and_b32_sdwa v5, v46, v73 dst_sel:DWORD dst_unused:UNUSED_PAD src0_sel:DWORD src1_sel:BYTE_1
	v_mov_b32_e32 v9, v6
	v_mov_b32_e32 v20, v10
	s_mov_b32 s21, exec_lo
	v_and_b32_e32 v21, 0x7f, v5
	v_mov_b32_e32 v19, v9
	v_cmpx_ne_u32_e32 0x7f, v21
	s_cbranch_execz .LBB230_701
; %bb.698:                              ;   in Loop: Header=BB230_550 Depth=1
	v_and_b32_e32 v5, 7, v5
	v_lshrrev_b32_e32 v7, 3, v21
	s_mov_b32 s22, exec_lo
	v_cmpx_gt_u32_e32 8, v21
; %bb.699:                              ;   in Loop: Header=BB230_550 Depth=1
	v_ffbh_u32_e32 v7, v5
	v_min_u32_e32 v7, 32, v7
	v_subrev_nc_u32_e32 v9, 28, v7
	v_sub_nc_u32_e32 v7, 29, v7
	v_lshlrev_b64 v[19:20], v9, v[5:6]
	v_and_b32_e32 v5, 7, v19
; %bb.700:                              ;   in Loop: Header=BB230_550 Depth=1
	s_or_b32 exec_lo, exec_lo, s22
	v_lshlrev_b32_e32 v9, 16, v73
	v_lshlrev_b32_e32 v5, 20, v5
	v_lshl_add_u32 v7, v7, 23, 0x3c000000
	v_mov_b32_e32 v19, v6
	v_and_b32_e32 v9, 0x80000000, v9
	v_or3_b32 v20, v5, v9, v7
.LBB230_701:                            ;   in Loop: Header=BB230_550 Depth=1
	s_or_b32 exec_lo, exec_lo, s21
.LBB230_702:                            ;   in Loop: Header=BB230_550 Depth=1
	s_or_b32 exec_lo, exec_lo, s18
.LBB230_703:                            ;   in Loop: Header=BB230_550 Depth=1
	s_or_b32 exec_lo, exec_lo, s17
	v_mov_b32_e32 v23, 0
	v_mov_b32_e32 v21, 0
	v_and_b32_sdwa v5, v73, v47 dst_sel:DWORD dst_unused:UNUSED_PAD src0_sel:WORD_1 src1_sel:DWORD
	v_mov_b32_e32 v24, 0
	v_mov_b32_e32 v22, 0
	s_mov_b32 s17, exec_lo
	v_cmpx_ne_u16_e32 0, v5
	s_cbranch_execz .LBB230_711
; %bb.704:                              ;   in Loop: Header=BB230_550 Depth=1
	v_bfrev_b32_e32 v21, 1
	v_mov_b32_e32 v22, 0
	s_mov_b32 s18, exec_lo
	v_cmpx_ne_u16_e32 0x80, v5
	s_cbranch_execz .LBB230_710
; %bb.705:                              ;   in Loop: Header=BB230_550 Depth=1
	v_mov_b32_e32 v21, 0x7f800001
	v_bfe_u32 v9, v73, 16, 7
	v_mov_b32_e32 v22, 0
	s_mov_b32 s21, exec_lo
	v_cmpx_ne_u32_e32 0x7f, v9
	s_cbranch_execz .LBB230_709
; %bb.706:                              ;   in Loop: Header=BB230_550 Depth=1
	v_and_b32_sdwa v5, v73, v48 dst_sel:DWORD dst_unused:UNUSED_PAD src0_sel:WORD_1 src1_sel:DWORD
	v_lshrrev_b32_e32 v7, 3, v9
	s_mov_b32 s22, exec_lo
	v_cmpx_gt_u32_e32 8, v9
; %bb.707:                              ;   in Loop: Header=BB230_550 Depth=1
	v_ffbh_u32_e32 v7, v5
	v_min_u32_e32 v7, 32, v7
	v_subrev_nc_u32_e32 v9, 28, v7
	v_sub_nc_u32_e32 v7, 29, v7
	v_lshlrev_b64 v[21:22], v9, v[5:6]
	v_and_b32_e32 v5, 7, v21
; %bb.708:                              ;   in Loop: Header=BB230_550 Depth=1
	s_or_b32 exec_lo, exec_lo, s22
	v_lshlrev_b32_sdwa v9, v49, v73 dst_sel:DWORD dst_unused:UNUSED_PAD src0_sel:DWORD src1_sel:WORD_1
	v_lshlrev_b32_e32 v5, 20, v5
	v_lshl_add_u32 v7, v7, 23, 0x3c000000
	v_and_b32_e32 v9, 0x80000000, v9
	v_or3_b32 v5, v5, v9, v7
	v_mov_b32_e32 v22, v6
	v_mov_b32_e32 v21, v5
.LBB230_709:                            ;   in Loop: Header=BB230_550 Depth=1
	s_or_b32 exec_lo, exec_lo, s21
.LBB230_710:                            ;   in Loop: Header=BB230_550 Depth=1
	s_or_b32 exec_lo, exec_lo, s18
.LBB230_711:                            ;   in Loop: Header=BB230_550 Depth=1
	s_or_b32 exec_lo, exec_lo, s17
	s_mov_b32 s17, exec_lo
	v_cmpx_lt_u32_e32 0xffffff, v73
	s_cbranch_execz .LBB230_719
; %bb.712:                              ;   in Loop: Header=BB230_550 Depth=1
	v_mov_b32_e32 v7, v6
	v_mov_b32_e32 v24, v8
	v_cmp_ne_u32_sdwa s0, v73, v45 src0_sel:BYTE_3 src1_sel:DWORD
	v_mov_b32_e32 v23, v7
	s_and_saveexec_b32 s18, s0
	s_cbranch_execz .LBB230_718
; %bb.713:                              ;   in Loop: Header=BB230_550 Depth=1
	v_mov_b32_e32 v9, v6
	v_mov_b32_e32 v24, v10
	v_bfe_u32 v74, v73, 24, 7
	s_mov_b32 s21, exec_lo
	v_mov_b32_e32 v23, v9
	v_cmpx_ne_u32_e32 0x7f, v74
	s_cbranch_execz .LBB230_717
; %bb.714:                              ;   in Loop: Header=BB230_550 Depth=1
	v_and_b32_sdwa v5, v73, v48 dst_sel:DWORD dst_unused:UNUSED_PAD src0_sel:BYTE_3 src1_sel:DWORD
	v_lshrrev_b32_e32 v7, 3, v74
	s_mov_b32 s22, exec_lo
	v_cmpx_gt_u32_e32 8, v74
; %bb.715:                              ;   in Loop: Header=BB230_550 Depth=1
	v_ffbh_u32_e32 v7, v5
	v_min_u32_e32 v7, 32, v7
	v_subrev_nc_u32_e32 v9, 28, v7
	v_sub_nc_u32_e32 v7, 29, v7
	v_lshlrev_b64 v[23:24], v9, v[5:6]
	v_and_b32_e32 v5, 7, v23
; %bb.716:                              ;   in Loop: Header=BB230_550 Depth=1
	s_or_b32 exec_lo, exec_lo, s22
	v_lshlrev_b32_sdwa v9, v49, v73 dst_sel:DWORD dst_unused:UNUSED_PAD src0_sel:DWORD src1_sel:BYTE_3
	v_lshlrev_b32_e32 v5, 20, v5
	v_lshl_add_u32 v7, v7, 23, 0x3c000000
	v_mov_b32_e32 v23, v6
	v_and_b32_e32 v9, 0x80000000, v9
	v_or3_b32 v24, v5, v9, v7
.LBB230_717:                            ;   in Loop: Header=BB230_550 Depth=1
	s_or_b32 exec_lo, exec_lo, s21
.LBB230_718:                            ;   in Loop: Header=BB230_550 Depth=1
	s_or_b32 exec_lo, exec_lo, s18
.LBB230_719:                            ;   in Loop: Header=BB230_550 Depth=1
	s_or_b32 exec_lo, exec_lo, s17
	v_or_b32_e32 v5, v20, v18
	v_or_b32_e32 v7, v19, v17
	;; [unrolled: 1-line block ×4, first 2 shown]
	v_mul_f32_e32 v75, s13, v5
	v_mul_f32_e32 v76, s12, v7
	;; [unrolled: 1-line block ×4, first 2 shown]
	s_and_saveexec_b32 s17, vcc_lo
	s_cbranch_execz .LBB230_721
; %bb.720:                              ;   in Loop: Header=BB230_550 Depth=1
	v_cmp_gt_i32_e64 s0, s31, v56
	v_cndmask_b32_e64 v76, 0, v76, s0
	v_cmp_gt_i32_e64 s0, s31, v59
	v_cndmask_b32_e64 v75, 0, v75, s0
	;; [unrolled: 2-line block ×4, first 2 shown]
.LBB230_721:                            ;   in Loop: Header=BB230_550 Depth=1
	s_or_b32 exec_lo, exec_lo, s17
	global_load_dword v77, v[15:16], off offset:640
	v_mov_b32_e32 v19, 0
	v_mov_b32_e32 v17, 0
	;; [unrolled: 1-line block ×4, first 2 shown]
	s_waitcnt vmcnt(0)
	v_cmp_ne_u16_sdwa s0, v77, v6 src0_sel:BYTE_0 src1_sel:DWORD
	s_and_saveexec_b32 s17, s0
	s_cbranch_execz .LBB230_729
; %bb.722:                              ;   in Loop: Header=BB230_550 Depth=1
	v_bfrev_b32_e32 v17, 1
	v_mov_b32_e32 v18, 0
	v_cmp_ne_u16_sdwa s0, v77, v45 src0_sel:BYTE_0 src1_sel:DWORD
	s_and_saveexec_b32 s18, s0
	s_cbranch_execz .LBB230_728
; %bb.723:                              ;   in Loop: Header=BB230_550 Depth=1
	v_mov_b32_e32 v17, 0x7f800001
	v_and_b32_e32 v9, 0x7f, v77
	v_mov_b32_e32 v18, 0
	s_mov_b32 s21, exec_lo
	v_cmpx_ne_u32_e32 0x7f, v9
	s_cbranch_execz .LBB230_727
; %bb.724:                              ;   in Loop: Header=BB230_550 Depth=1
	v_and_b32_e32 v5, 7, v77
	v_lshrrev_b32_e32 v7, 3, v9
	s_mov_b32 s22, exec_lo
	v_cmpx_gt_u32_e32 8, v9
; %bb.725:                              ;   in Loop: Header=BB230_550 Depth=1
	v_ffbh_u32_e32 v7, v5
	v_min_u32_e32 v7, 32, v7
	v_subrev_nc_u32_e32 v9, 28, v7
	v_sub_nc_u32_e32 v7, 29, v7
	v_lshlrev_b64 v[17:18], v9, v[5:6]
	v_and_b32_e32 v5, 7, v17
; %bb.726:                              ;   in Loop: Header=BB230_550 Depth=1
	s_or_b32 exec_lo, exec_lo, s22
	v_lshlrev_b32_e32 v9, 24, v77
	v_lshlrev_b32_e32 v5, 20, v5
	v_lshl_add_u32 v7, v7, 23, 0x3c000000
	v_and_b32_e32 v9, 0x80000000, v9
	v_or3_b32 v5, v5, v9, v7
	v_mov_b32_e32 v18, v6
	v_mov_b32_e32 v17, v5
.LBB230_727:                            ;   in Loop: Header=BB230_550 Depth=1
	s_or_b32 exec_lo, exec_lo, s21
.LBB230_728:                            ;   in Loop: Header=BB230_550 Depth=1
	s_or_b32 exec_lo, exec_lo, s18
.LBB230_729:                            ;   in Loop: Header=BB230_550 Depth=1
	s_or_b32 exec_lo, exec_lo, s17
	v_cmp_ne_u16_sdwa s0, v77, v6 src0_sel:BYTE_1 src1_sel:DWORD
	s_and_saveexec_b32 s17, s0
	s_cbranch_execz .LBB230_737
; %bb.730:                              ;   in Loop: Header=BB230_550 Depth=1
	v_mov_b32_e32 v7, v6
	v_mov_b32_e32 v20, v8
	v_cmp_ne_u16_sdwa s0, v77, v45 src0_sel:BYTE_1 src1_sel:DWORD
	v_mov_b32_e32 v19, v7
	s_and_saveexec_b32 s18, s0
	s_cbranch_execz .LBB230_736
; %bb.731:                              ;   in Loop: Header=BB230_550 Depth=1
	v_and_b32_sdwa v5, v46, v77 dst_sel:DWORD dst_unused:UNUSED_PAD src0_sel:DWORD src1_sel:BYTE_1
	v_mov_b32_e32 v9, v6
	v_mov_b32_e32 v20, v10
	s_mov_b32 s21, exec_lo
	v_and_b32_e32 v21, 0x7f, v5
	v_mov_b32_e32 v19, v9
	v_cmpx_ne_u32_e32 0x7f, v21
	s_cbranch_execz .LBB230_735
; %bb.732:                              ;   in Loop: Header=BB230_550 Depth=1
	v_and_b32_e32 v5, 7, v5
	v_lshrrev_b32_e32 v7, 3, v21
	s_mov_b32 s22, exec_lo
	v_cmpx_gt_u32_e32 8, v21
; %bb.733:                              ;   in Loop: Header=BB230_550 Depth=1
	v_ffbh_u32_e32 v7, v5
	v_min_u32_e32 v7, 32, v7
	v_subrev_nc_u32_e32 v9, 28, v7
	v_sub_nc_u32_e32 v7, 29, v7
	v_lshlrev_b64 v[19:20], v9, v[5:6]
	v_and_b32_e32 v5, 7, v19
; %bb.734:                              ;   in Loop: Header=BB230_550 Depth=1
	s_or_b32 exec_lo, exec_lo, s22
	v_lshlrev_b32_e32 v9, 16, v77
	v_lshlrev_b32_e32 v5, 20, v5
	v_lshl_add_u32 v7, v7, 23, 0x3c000000
	v_mov_b32_e32 v19, v6
	v_and_b32_e32 v9, 0x80000000, v9
	v_or3_b32 v20, v5, v9, v7
.LBB230_735:                            ;   in Loop: Header=BB230_550 Depth=1
	s_or_b32 exec_lo, exec_lo, s21
.LBB230_736:                            ;   in Loop: Header=BB230_550 Depth=1
	s_or_b32 exec_lo, exec_lo, s18
.LBB230_737:                            ;   in Loop: Header=BB230_550 Depth=1
	s_or_b32 exec_lo, exec_lo, s17
	v_mov_b32_e32 v23, 0
	v_mov_b32_e32 v21, 0
	v_and_b32_sdwa v5, v77, v47 dst_sel:DWORD dst_unused:UNUSED_PAD src0_sel:WORD_1 src1_sel:DWORD
	v_mov_b32_e32 v24, 0
	v_mov_b32_e32 v22, 0
	s_mov_b32 s17, exec_lo
	v_cmpx_ne_u16_e32 0, v5
	s_cbranch_execz .LBB230_745
; %bb.738:                              ;   in Loop: Header=BB230_550 Depth=1
	v_bfrev_b32_e32 v21, 1
	v_mov_b32_e32 v22, 0
	s_mov_b32 s18, exec_lo
	v_cmpx_ne_u16_e32 0x80, v5
	s_cbranch_execz .LBB230_744
; %bb.739:                              ;   in Loop: Header=BB230_550 Depth=1
	v_mov_b32_e32 v21, 0x7f800001
	v_bfe_u32 v9, v77, 16, 7
	v_mov_b32_e32 v22, 0
	s_mov_b32 s21, exec_lo
	v_cmpx_ne_u32_e32 0x7f, v9
	s_cbranch_execz .LBB230_743
; %bb.740:                              ;   in Loop: Header=BB230_550 Depth=1
	v_and_b32_sdwa v5, v77, v48 dst_sel:DWORD dst_unused:UNUSED_PAD src0_sel:WORD_1 src1_sel:DWORD
	v_lshrrev_b32_e32 v7, 3, v9
	s_mov_b32 s22, exec_lo
	v_cmpx_gt_u32_e32 8, v9
; %bb.741:                              ;   in Loop: Header=BB230_550 Depth=1
	v_ffbh_u32_e32 v7, v5
	v_min_u32_e32 v7, 32, v7
	v_subrev_nc_u32_e32 v9, 28, v7
	v_sub_nc_u32_e32 v7, 29, v7
	v_lshlrev_b64 v[21:22], v9, v[5:6]
	v_and_b32_e32 v5, 7, v21
; %bb.742:                              ;   in Loop: Header=BB230_550 Depth=1
	s_or_b32 exec_lo, exec_lo, s22
	v_lshlrev_b32_sdwa v9, v49, v77 dst_sel:DWORD dst_unused:UNUSED_PAD src0_sel:DWORD src1_sel:WORD_1
	v_lshlrev_b32_e32 v5, 20, v5
	v_lshl_add_u32 v7, v7, 23, 0x3c000000
	v_and_b32_e32 v9, 0x80000000, v9
	v_or3_b32 v5, v5, v9, v7
	v_mov_b32_e32 v22, v6
	v_mov_b32_e32 v21, v5
.LBB230_743:                            ;   in Loop: Header=BB230_550 Depth=1
	s_or_b32 exec_lo, exec_lo, s21
.LBB230_744:                            ;   in Loop: Header=BB230_550 Depth=1
	s_or_b32 exec_lo, exec_lo, s18
.LBB230_745:                            ;   in Loop: Header=BB230_550 Depth=1
	s_or_b32 exec_lo, exec_lo, s17
	s_mov_b32 s17, exec_lo
	v_cmpx_lt_u32_e32 0xffffff, v77
	s_cbranch_execz .LBB230_753
; %bb.746:                              ;   in Loop: Header=BB230_550 Depth=1
	v_mov_b32_e32 v7, v6
	v_mov_b32_e32 v24, v8
	v_cmp_ne_u32_sdwa s0, v77, v45 src0_sel:BYTE_3 src1_sel:DWORD
	v_mov_b32_e32 v23, v7
	s_and_saveexec_b32 s18, s0
	s_cbranch_execz .LBB230_752
; %bb.747:                              ;   in Loop: Header=BB230_550 Depth=1
	v_mov_b32_e32 v9, v6
	v_mov_b32_e32 v24, v10
	v_bfe_u32 v78, v77, 24, 7
	s_mov_b32 s21, exec_lo
	v_mov_b32_e32 v23, v9
	v_cmpx_ne_u32_e32 0x7f, v78
	s_cbranch_execz .LBB230_751
; %bb.748:                              ;   in Loop: Header=BB230_550 Depth=1
	v_and_b32_sdwa v5, v77, v48 dst_sel:DWORD dst_unused:UNUSED_PAD src0_sel:BYTE_3 src1_sel:DWORD
	v_lshrrev_b32_e32 v7, 3, v78
	s_mov_b32 s22, exec_lo
	v_cmpx_gt_u32_e32 8, v78
; %bb.749:                              ;   in Loop: Header=BB230_550 Depth=1
	v_ffbh_u32_e32 v7, v5
	v_min_u32_e32 v7, 32, v7
	v_subrev_nc_u32_e32 v9, 28, v7
	v_sub_nc_u32_e32 v7, 29, v7
	v_lshlrev_b64 v[23:24], v9, v[5:6]
	v_and_b32_e32 v5, 7, v23
; %bb.750:                              ;   in Loop: Header=BB230_550 Depth=1
	s_or_b32 exec_lo, exec_lo, s22
	v_lshlrev_b32_sdwa v9, v49, v77 dst_sel:DWORD dst_unused:UNUSED_PAD src0_sel:DWORD src1_sel:BYTE_3
	v_lshlrev_b32_e32 v5, 20, v5
	v_lshl_add_u32 v7, v7, 23, 0x3c000000
	v_mov_b32_e32 v23, v6
	v_and_b32_e32 v9, 0x80000000, v9
	v_or3_b32 v24, v5, v9, v7
.LBB230_751:                            ;   in Loop: Header=BB230_550 Depth=1
	s_or_b32 exec_lo, exec_lo, s21
.LBB230_752:                            ;   in Loop: Header=BB230_550 Depth=1
	s_or_b32 exec_lo, exec_lo, s18
.LBB230_753:                            ;   in Loop: Header=BB230_550 Depth=1
	s_or_b32 exec_lo, exec_lo, s17
	v_or_b32_e32 v5, v20, v18
	v_or_b32_e32 v7, v19, v17
	;; [unrolled: 1-line block ×4, first 2 shown]
	v_mul_f32_e32 v79, s13, v5
	v_mul_f32_e32 v80, s12, v7
	v_mul_f32_e32 v78, s12, v9
	v_mul_f32_e32 v77, s13, v17
	s_and_saveexec_b32 s17, vcc_lo
	s_cbranch_execz .LBB230_755
; %bb.754:                              ;   in Loop: Header=BB230_550 Depth=1
	v_cmp_gt_i32_e64 s0, s31, v56
	v_cndmask_b32_e64 v80, 0, v80, s0
	v_cmp_gt_i32_e64 s0, s31, v59
	v_cndmask_b32_e64 v79, 0, v79, s0
	;; [unrolled: 2-line block ×4, first 2 shown]
.LBB230_755:                            ;   in Loop: Header=BB230_550 Depth=1
	s_or_b32 exec_lo, exec_lo, s17
	global_load_dword v81, v[15:16], off offset:768
	v_mov_b32_e32 v19, 0
	v_mov_b32_e32 v17, 0
	;; [unrolled: 1-line block ×4, first 2 shown]
	s_waitcnt vmcnt(0)
	v_cmp_ne_u16_sdwa s0, v81, v6 src0_sel:BYTE_0 src1_sel:DWORD
	s_and_saveexec_b32 s17, s0
	s_cbranch_execz .LBB230_763
; %bb.756:                              ;   in Loop: Header=BB230_550 Depth=1
	v_bfrev_b32_e32 v17, 1
	v_mov_b32_e32 v18, 0
	v_cmp_ne_u16_sdwa s0, v81, v45 src0_sel:BYTE_0 src1_sel:DWORD
	s_and_saveexec_b32 s18, s0
	s_cbranch_execz .LBB230_762
; %bb.757:                              ;   in Loop: Header=BB230_550 Depth=1
	v_mov_b32_e32 v17, 0x7f800001
	v_and_b32_e32 v9, 0x7f, v81
	v_mov_b32_e32 v18, 0
	s_mov_b32 s21, exec_lo
	v_cmpx_ne_u32_e32 0x7f, v9
	s_cbranch_execz .LBB230_761
; %bb.758:                              ;   in Loop: Header=BB230_550 Depth=1
	v_and_b32_e32 v5, 7, v81
	v_lshrrev_b32_e32 v7, 3, v9
	s_mov_b32 s22, exec_lo
	v_cmpx_gt_u32_e32 8, v9
; %bb.759:                              ;   in Loop: Header=BB230_550 Depth=1
	v_ffbh_u32_e32 v7, v5
	v_min_u32_e32 v7, 32, v7
	v_subrev_nc_u32_e32 v9, 28, v7
	v_sub_nc_u32_e32 v7, 29, v7
	v_lshlrev_b64 v[17:18], v9, v[5:6]
	v_and_b32_e32 v5, 7, v17
; %bb.760:                              ;   in Loop: Header=BB230_550 Depth=1
	s_or_b32 exec_lo, exec_lo, s22
	v_lshlrev_b32_e32 v9, 24, v81
	v_lshlrev_b32_e32 v5, 20, v5
	v_lshl_add_u32 v7, v7, 23, 0x3c000000
	v_and_b32_e32 v9, 0x80000000, v9
	v_or3_b32 v5, v5, v9, v7
	v_mov_b32_e32 v18, v6
	v_mov_b32_e32 v17, v5
.LBB230_761:                            ;   in Loop: Header=BB230_550 Depth=1
	s_or_b32 exec_lo, exec_lo, s21
.LBB230_762:                            ;   in Loop: Header=BB230_550 Depth=1
	s_or_b32 exec_lo, exec_lo, s18
.LBB230_763:                            ;   in Loop: Header=BB230_550 Depth=1
	s_or_b32 exec_lo, exec_lo, s17
	v_cmp_ne_u16_sdwa s0, v81, v6 src0_sel:BYTE_1 src1_sel:DWORD
	s_and_saveexec_b32 s17, s0
	s_cbranch_execz .LBB230_771
; %bb.764:                              ;   in Loop: Header=BB230_550 Depth=1
	v_mov_b32_e32 v7, v6
	v_mov_b32_e32 v20, v8
	v_cmp_ne_u16_sdwa s0, v81, v45 src0_sel:BYTE_1 src1_sel:DWORD
	v_mov_b32_e32 v19, v7
	s_and_saveexec_b32 s18, s0
	s_cbranch_execz .LBB230_770
; %bb.765:                              ;   in Loop: Header=BB230_550 Depth=1
	v_and_b32_sdwa v5, v46, v81 dst_sel:DWORD dst_unused:UNUSED_PAD src0_sel:DWORD src1_sel:BYTE_1
	v_mov_b32_e32 v9, v6
	v_mov_b32_e32 v20, v10
	s_mov_b32 s21, exec_lo
	v_and_b32_e32 v21, 0x7f, v5
	v_mov_b32_e32 v19, v9
	v_cmpx_ne_u32_e32 0x7f, v21
	s_cbranch_execz .LBB230_769
; %bb.766:                              ;   in Loop: Header=BB230_550 Depth=1
	v_and_b32_e32 v5, 7, v5
	v_lshrrev_b32_e32 v7, 3, v21
	s_mov_b32 s22, exec_lo
	v_cmpx_gt_u32_e32 8, v21
; %bb.767:                              ;   in Loop: Header=BB230_550 Depth=1
	v_ffbh_u32_e32 v7, v5
	v_min_u32_e32 v7, 32, v7
	v_subrev_nc_u32_e32 v9, 28, v7
	v_sub_nc_u32_e32 v7, 29, v7
	v_lshlrev_b64 v[19:20], v9, v[5:6]
	v_and_b32_e32 v5, 7, v19
; %bb.768:                              ;   in Loop: Header=BB230_550 Depth=1
	s_or_b32 exec_lo, exec_lo, s22
	v_lshlrev_b32_e32 v9, 16, v81
	v_lshlrev_b32_e32 v5, 20, v5
	v_lshl_add_u32 v7, v7, 23, 0x3c000000
	v_mov_b32_e32 v19, v6
	v_and_b32_e32 v9, 0x80000000, v9
	v_or3_b32 v20, v5, v9, v7
.LBB230_769:                            ;   in Loop: Header=BB230_550 Depth=1
	s_or_b32 exec_lo, exec_lo, s21
.LBB230_770:                            ;   in Loop: Header=BB230_550 Depth=1
	s_or_b32 exec_lo, exec_lo, s18
.LBB230_771:                            ;   in Loop: Header=BB230_550 Depth=1
	s_or_b32 exec_lo, exec_lo, s17
	v_mov_b32_e32 v23, 0
	v_mov_b32_e32 v21, 0
	v_and_b32_sdwa v5, v81, v47 dst_sel:DWORD dst_unused:UNUSED_PAD src0_sel:WORD_1 src1_sel:DWORD
	v_mov_b32_e32 v24, 0
	v_mov_b32_e32 v22, 0
	s_mov_b32 s17, exec_lo
	v_cmpx_ne_u16_e32 0, v5
	s_cbranch_execz .LBB230_779
; %bb.772:                              ;   in Loop: Header=BB230_550 Depth=1
	v_bfrev_b32_e32 v21, 1
	v_mov_b32_e32 v22, 0
	s_mov_b32 s18, exec_lo
	v_cmpx_ne_u16_e32 0x80, v5
	s_cbranch_execz .LBB230_778
; %bb.773:                              ;   in Loop: Header=BB230_550 Depth=1
	v_mov_b32_e32 v21, 0x7f800001
	v_bfe_u32 v9, v81, 16, 7
	v_mov_b32_e32 v22, 0
	s_mov_b32 s21, exec_lo
	v_cmpx_ne_u32_e32 0x7f, v9
	s_cbranch_execz .LBB230_777
; %bb.774:                              ;   in Loop: Header=BB230_550 Depth=1
	v_and_b32_sdwa v5, v81, v48 dst_sel:DWORD dst_unused:UNUSED_PAD src0_sel:WORD_1 src1_sel:DWORD
	v_lshrrev_b32_e32 v7, 3, v9
	s_mov_b32 s22, exec_lo
	v_cmpx_gt_u32_e32 8, v9
; %bb.775:                              ;   in Loop: Header=BB230_550 Depth=1
	v_ffbh_u32_e32 v7, v5
	v_min_u32_e32 v7, 32, v7
	v_subrev_nc_u32_e32 v9, 28, v7
	v_sub_nc_u32_e32 v7, 29, v7
	v_lshlrev_b64 v[21:22], v9, v[5:6]
	v_and_b32_e32 v5, 7, v21
; %bb.776:                              ;   in Loop: Header=BB230_550 Depth=1
	s_or_b32 exec_lo, exec_lo, s22
	v_lshlrev_b32_sdwa v9, v49, v81 dst_sel:DWORD dst_unused:UNUSED_PAD src0_sel:DWORD src1_sel:WORD_1
	v_lshlrev_b32_e32 v5, 20, v5
	v_lshl_add_u32 v7, v7, 23, 0x3c000000
	v_and_b32_e32 v9, 0x80000000, v9
	v_or3_b32 v5, v5, v9, v7
	v_mov_b32_e32 v22, v6
	v_mov_b32_e32 v21, v5
.LBB230_777:                            ;   in Loop: Header=BB230_550 Depth=1
	s_or_b32 exec_lo, exec_lo, s21
.LBB230_778:                            ;   in Loop: Header=BB230_550 Depth=1
	s_or_b32 exec_lo, exec_lo, s18
.LBB230_779:                            ;   in Loop: Header=BB230_550 Depth=1
	s_or_b32 exec_lo, exec_lo, s17
	s_mov_b32 s17, exec_lo
	v_cmpx_lt_u32_e32 0xffffff, v81
	s_cbranch_execz .LBB230_787
; %bb.780:                              ;   in Loop: Header=BB230_550 Depth=1
	v_mov_b32_e32 v7, v6
	v_mov_b32_e32 v24, v8
	v_cmp_ne_u32_sdwa s0, v81, v45 src0_sel:BYTE_3 src1_sel:DWORD
	v_mov_b32_e32 v23, v7
	s_and_saveexec_b32 s18, s0
	s_cbranch_execz .LBB230_786
; %bb.781:                              ;   in Loop: Header=BB230_550 Depth=1
	v_mov_b32_e32 v9, v6
	v_mov_b32_e32 v24, v10
	v_bfe_u32 v82, v81, 24, 7
	s_mov_b32 s21, exec_lo
	v_mov_b32_e32 v23, v9
	v_cmpx_ne_u32_e32 0x7f, v82
	s_cbranch_execz .LBB230_785
; %bb.782:                              ;   in Loop: Header=BB230_550 Depth=1
	v_and_b32_sdwa v5, v81, v48 dst_sel:DWORD dst_unused:UNUSED_PAD src0_sel:BYTE_3 src1_sel:DWORD
	v_lshrrev_b32_e32 v7, 3, v82
	s_mov_b32 s22, exec_lo
	v_cmpx_gt_u32_e32 8, v82
; %bb.783:                              ;   in Loop: Header=BB230_550 Depth=1
	v_ffbh_u32_e32 v7, v5
	v_min_u32_e32 v7, 32, v7
	v_subrev_nc_u32_e32 v9, 28, v7
	v_sub_nc_u32_e32 v7, 29, v7
	v_lshlrev_b64 v[23:24], v9, v[5:6]
	v_and_b32_e32 v5, 7, v23
; %bb.784:                              ;   in Loop: Header=BB230_550 Depth=1
	s_or_b32 exec_lo, exec_lo, s22
	v_lshlrev_b32_sdwa v9, v49, v81 dst_sel:DWORD dst_unused:UNUSED_PAD src0_sel:DWORD src1_sel:BYTE_3
	v_lshlrev_b32_e32 v5, 20, v5
	v_lshl_add_u32 v7, v7, 23, 0x3c000000
	v_mov_b32_e32 v23, v6
	v_and_b32_e32 v9, 0x80000000, v9
	v_or3_b32 v24, v5, v9, v7
.LBB230_785:                            ;   in Loop: Header=BB230_550 Depth=1
	s_or_b32 exec_lo, exec_lo, s21
.LBB230_786:                            ;   in Loop: Header=BB230_550 Depth=1
	s_or_b32 exec_lo, exec_lo, s18
.LBB230_787:                            ;   in Loop: Header=BB230_550 Depth=1
	s_or_b32 exec_lo, exec_lo, s17
	v_or_b32_e32 v5, v20, v18
	v_or_b32_e32 v7, v19, v17
	;; [unrolled: 1-line block ×4, first 2 shown]
	v_mul_f32_e32 v83, s13, v5
	v_mul_f32_e32 v84, s12, v7
	;; [unrolled: 1-line block ×4, first 2 shown]
	s_and_saveexec_b32 s17, vcc_lo
	s_cbranch_execz .LBB230_789
; %bb.788:                              ;   in Loop: Header=BB230_550 Depth=1
	v_cmp_gt_i32_e64 s0, s31, v56
	v_cndmask_b32_e64 v84, 0, v84, s0
	v_cmp_gt_i32_e64 s0, s31, v59
	v_cndmask_b32_e64 v83, 0, v83, s0
	;; [unrolled: 2-line block ×4, first 2 shown]
.LBB230_789:                            ;   in Loop: Header=BB230_550 Depth=1
	s_or_b32 exec_lo, exec_lo, s17
	global_load_dword v85, v[15:16], off offset:896
	v_mov_b32_e32 v19, 0
	v_mov_b32_e32 v17, 0
	;; [unrolled: 1-line block ×4, first 2 shown]
	s_waitcnt vmcnt(0)
	v_cmp_ne_u16_sdwa s0, v85, v6 src0_sel:BYTE_0 src1_sel:DWORD
	s_and_saveexec_b32 s17, s0
	s_cbranch_execz .LBB230_797
; %bb.790:                              ;   in Loop: Header=BB230_550 Depth=1
	v_bfrev_b32_e32 v17, 1
	v_mov_b32_e32 v18, 0
	v_cmp_ne_u16_sdwa s0, v85, v45 src0_sel:BYTE_0 src1_sel:DWORD
	s_and_saveexec_b32 s18, s0
	s_cbranch_execz .LBB230_796
; %bb.791:                              ;   in Loop: Header=BB230_550 Depth=1
	v_mov_b32_e32 v17, 0x7f800001
	v_and_b32_e32 v9, 0x7f, v85
	v_mov_b32_e32 v18, 0
	s_mov_b32 s21, exec_lo
	v_cmpx_ne_u32_e32 0x7f, v9
	s_cbranch_execz .LBB230_795
; %bb.792:                              ;   in Loop: Header=BB230_550 Depth=1
	v_and_b32_e32 v5, 7, v85
	v_lshrrev_b32_e32 v7, 3, v9
	s_mov_b32 s22, exec_lo
	v_cmpx_gt_u32_e32 8, v9
; %bb.793:                              ;   in Loop: Header=BB230_550 Depth=1
	v_ffbh_u32_e32 v7, v5
	v_min_u32_e32 v7, 32, v7
	v_subrev_nc_u32_e32 v9, 28, v7
	v_sub_nc_u32_e32 v7, 29, v7
	v_lshlrev_b64 v[17:18], v9, v[5:6]
	v_and_b32_e32 v5, 7, v17
; %bb.794:                              ;   in Loop: Header=BB230_550 Depth=1
	s_or_b32 exec_lo, exec_lo, s22
	v_lshlrev_b32_e32 v9, 24, v85
	v_lshlrev_b32_e32 v5, 20, v5
	v_lshl_add_u32 v7, v7, 23, 0x3c000000
	v_and_b32_e32 v9, 0x80000000, v9
	v_or3_b32 v5, v5, v9, v7
	v_mov_b32_e32 v18, v6
	v_mov_b32_e32 v17, v5
.LBB230_795:                            ;   in Loop: Header=BB230_550 Depth=1
	s_or_b32 exec_lo, exec_lo, s21
.LBB230_796:                            ;   in Loop: Header=BB230_550 Depth=1
	s_or_b32 exec_lo, exec_lo, s18
.LBB230_797:                            ;   in Loop: Header=BB230_550 Depth=1
	s_or_b32 exec_lo, exec_lo, s17
	v_cmp_ne_u16_sdwa s0, v85, v6 src0_sel:BYTE_1 src1_sel:DWORD
	s_and_saveexec_b32 s17, s0
	s_cbranch_execz .LBB230_805
; %bb.798:                              ;   in Loop: Header=BB230_550 Depth=1
	v_mov_b32_e32 v7, v6
	v_mov_b32_e32 v20, v8
	v_cmp_ne_u16_sdwa s0, v85, v45 src0_sel:BYTE_1 src1_sel:DWORD
	v_mov_b32_e32 v19, v7
	s_and_saveexec_b32 s18, s0
	s_cbranch_execz .LBB230_804
; %bb.799:                              ;   in Loop: Header=BB230_550 Depth=1
	v_and_b32_sdwa v5, v46, v85 dst_sel:DWORD dst_unused:UNUSED_PAD src0_sel:DWORD src1_sel:BYTE_1
	v_mov_b32_e32 v9, v6
	v_mov_b32_e32 v20, v10
	s_mov_b32 s21, exec_lo
	v_and_b32_e32 v21, 0x7f, v5
	v_mov_b32_e32 v19, v9
	v_cmpx_ne_u32_e32 0x7f, v21
	s_cbranch_execz .LBB230_803
; %bb.800:                              ;   in Loop: Header=BB230_550 Depth=1
	v_and_b32_e32 v5, 7, v5
	v_lshrrev_b32_e32 v7, 3, v21
	s_mov_b32 s22, exec_lo
	v_cmpx_gt_u32_e32 8, v21
; %bb.801:                              ;   in Loop: Header=BB230_550 Depth=1
	v_ffbh_u32_e32 v7, v5
	v_min_u32_e32 v7, 32, v7
	v_subrev_nc_u32_e32 v9, 28, v7
	v_sub_nc_u32_e32 v7, 29, v7
	v_lshlrev_b64 v[19:20], v9, v[5:6]
	v_and_b32_e32 v5, 7, v19
; %bb.802:                              ;   in Loop: Header=BB230_550 Depth=1
	s_or_b32 exec_lo, exec_lo, s22
	v_lshlrev_b32_e32 v9, 16, v85
	v_lshlrev_b32_e32 v5, 20, v5
	v_lshl_add_u32 v7, v7, 23, 0x3c000000
	v_mov_b32_e32 v19, v6
	v_and_b32_e32 v9, 0x80000000, v9
	v_or3_b32 v20, v5, v9, v7
.LBB230_803:                            ;   in Loop: Header=BB230_550 Depth=1
	s_or_b32 exec_lo, exec_lo, s21
.LBB230_804:                            ;   in Loop: Header=BB230_550 Depth=1
	s_or_b32 exec_lo, exec_lo, s18
.LBB230_805:                            ;   in Loop: Header=BB230_550 Depth=1
	s_or_b32 exec_lo, exec_lo, s17
	v_mov_b32_e32 v23, 0
	v_mov_b32_e32 v21, 0
	v_and_b32_sdwa v5, v85, v47 dst_sel:DWORD dst_unused:UNUSED_PAD src0_sel:WORD_1 src1_sel:DWORD
	v_mov_b32_e32 v24, 0
	v_mov_b32_e32 v22, 0
	s_mov_b32 s17, exec_lo
	v_cmpx_ne_u16_e32 0, v5
	s_cbranch_execz .LBB230_813
; %bb.806:                              ;   in Loop: Header=BB230_550 Depth=1
	v_bfrev_b32_e32 v21, 1
	v_mov_b32_e32 v22, 0
	s_mov_b32 s18, exec_lo
	v_cmpx_ne_u16_e32 0x80, v5
	s_cbranch_execz .LBB230_812
; %bb.807:                              ;   in Loop: Header=BB230_550 Depth=1
	v_mov_b32_e32 v21, 0x7f800001
	v_bfe_u32 v9, v85, 16, 7
	v_mov_b32_e32 v22, 0
	s_mov_b32 s21, exec_lo
	v_cmpx_ne_u32_e32 0x7f, v9
	s_cbranch_execz .LBB230_811
; %bb.808:                              ;   in Loop: Header=BB230_550 Depth=1
	v_and_b32_sdwa v5, v85, v48 dst_sel:DWORD dst_unused:UNUSED_PAD src0_sel:WORD_1 src1_sel:DWORD
	v_lshrrev_b32_e32 v7, 3, v9
	s_mov_b32 s22, exec_lo
	v_cmpx_gt_u32_e32 8, v9
; %bb.809:                              ;   in Loop: Header=BB230_550 Depth=1
	v_ffbh_u32_e32 v7, v5
	v_min_u32_e32 v7, 32, v7
	v_subrev_nc_u32_e32 v9, 28, v7
	v_sub_nc_u32_e32 v7, 29, v7
	v_lshlrev_b64 v[21:22], v9, v[5:6]
	v_and_b32_e32 v5, 7, v21
; %bb.810:                              ;   in Loop: Header=BB230_550 Depth=1
	s_or_b32 exec_lo, exec_lo, s22
	v_lshlrev_b32_sdwa v9, v49, v85 dst_sel:DWORD dst_unused:UNUSED_PAD src0_sel:DWORD src1_sel:WORD_1
	v_lshlrev_b32_e32 v5, 20, v5
	v_lshl_add_u32 v7, v7, 23, 0x3c000000
	v_and_b32_e32 v9, 0x80000000, v9
	v_or3_b32 v5, v5, v9, v7
	v_mov_b32_e32 v22, v6
	v_mov_b32_e32 v21, v5
.LBB230_811:                            ;   in Loop: Header=BB230_550 Depth=1
	s_or_b32 exec_lo, exec_lo, s21
.LBB230_812:                            ;   in Loop: Header=BB230_550 Depth=1
	s_or_b32 exec_lo, exec_lo, s18
.LBB230_813:                            ;   in Loop: Header=BB230_550 Depth=1
	s_or_b32 exec_lo, exec_lo, s17
	s_mov_b32 s17, exec_lo
	v_cmpx_lt_u32_e32 0xffffff, v85
	s_cbranch_execz .LBB230_821
; %bb.814:                              ;   in Loop: Header=BB230_550 Depth=1
	v_mov_b32_e32 v7, v6
	v_mov_b32_e32 v24, v8
	v_cmp_ne_u32_sdwa s0, v85, v45 src0_sel:BYTE_3 src1_sel:DWORD
	v_mov_b32_e32 v23, v7
	s_and_saveexec_b32 s18, s0
	s_cbranch_execz .LBB230_820
; %bb.815:                              ;   in Loop: Header=BB230_550 Depth=1
	v_mov_b32_e32 v9, v6
	v_mov_b32_e32 v24, v10
	v_bfe_u32 v86, v85, 24, 7
	s_mov_b32 s21, exec_lo
	v_mov_b32_e32 v23, v9
	v_cmpx_ne_u32_e32 0x7f, v86
	s_cbranch_execz .LBB230_819
; %bb.816:                              ;   in Loop: Header=BB230_550 Depth=1
	v_and_b32_sdwa v5, v85, v48 dst_sel:DWORD dst_unused:UNUSED_PAD src0_sel:BYTE_3 src1_sel:DWORD
	v_lshrrev_b32_e32 v7, 3, v86
	s_mov_b32 s22, exec_lo
	v_cmpx_gt_u32_e32 8, v86
; %bb.817:                              ;   in Loop: Header=BB230_550 Depth=1
	v_ffbh_u32_e32 v7, v5
	v_min_u32_e32 v7, 32, v7
	v_subrev_nc_u32_e32 v9, 28, v7
	v_sub_nc_u32_e32 v7, 29, v7
	v_lshlrev_b64 v[23:24], v9, v[5:6]
	v_and_b32_e32 v5, 7, v23
; %bb.818:                              ;   in Loop: Header=BB230_550 Depth=1
	s_or_b32 exec_lo, exec_lo, s22
	v_lshlrev_b32_sdwa v9, v49, v85 dst_sel:DWORD dst_unused:UNUSED_PAD src0_sel:DWORD src1_sel:BYTE_3
	v_lshlrev_b32_e32 v5, 20, v5
	v_lshl_add_u32 v7, v7, 23, 0x3c000000
	v_mov_b32_e32 v23, v6
	v_and_b32_e32 v9, 0x80000000, v9
	v_or3_b32 v24, v5, v9, v7
.LBB230_819:                            ;   in Loop: Header=BB230_550 Depth=1
	s_or_b32 exec_lo, exec_lo, s21
.LBB230_820:                            ;   in Loop: Header=BB230_550 Depth=1
	s_or_b32 exec_lo, exec_lo, s18
.LBB230_821:                            ;   in Loop: Header=BB230_550 Depth=1
	s_or_b32 exec_lo, exec_lo, s17
	v_or_b32_e32 v5, v20, v18
	v_or_b32_e32 v7, v19, v17
	;; [unrolled: 1-line block ×4, first 2 shown]
	v_mul_f32_e32 v87, s13, v5
	v_mul_f32_e32 v88, s12, v7
	;; [unrolled: 1-line block ×4, first 2 shown]
	s_and_saveexec_b32 s17, vcc_lo
	s_cbranch_execz .LBB230_823
; %bb.822:                              ;   in Loop: Header=BB230_550 Depth=1
	v_cmp_gt_i32_e64 s0, s31, v56
	v_cndmask_b32_e64 v88, 0, v88, s0
	v_cmp_gt_i32_e64 s0, s31, v59
	v_cndmask_b32_e64 v87, 0, v87, s0
	v_cmp_gt_i32_e64 s0, s31, v58
	v_cndmask_b32_e64 v86, 0, v86, s0
	v_cmp_gt_i32_e64 s0, s31, v57
	v_cndmask_b32_e64 v85, 0, v85, s0
.LBB230_823:                            ;   in Loop: Header=BB230_550 Depth=1
	s_or_b32 exec_lo, exec_lo, s17
	global_load_dword v89, v[15:16], off offset:1024
	v_mov_b32_e32 v19, 0
	v_mov_b32_e32 v17, 0
	;; [unrolled: 1-line block ×4, first 2 shown]
	s_waitcnt vmcnt(0)
	v_cmp_ne_u16_sdwa s0, v89, v6 src0_sel:BYTE_0 src1_sel:DWORD
	s_and_saveexec_b32 s17, s0
	s_cbranch_execz .LBB230_831
; %bb.824:                              ;   in Loop: Header=BB230_550 Depth=1
	v_bfrev_b32_e32 v17, 1
	v_mov_b32_e32 v18, 0
	v_cmp_ne_u16_sdwa s0, v89, v45 src0_sel:BYTE_0 src1_sel:DWORD
	s_and_saveexec_b32 s18, s0
	s_cbranch_execz .LBB230_830
; %bb.825:                              ;   in Loop: Header=BB230_550 Depth=1
	v_mov_b32_e32 v17, 0x7f800001
	v_and_b32_e32 v9, 0x7f, v89
	v_mov_b32_e32 v18, 0
	s_mov_b32 s21, exec_lo
	v_cmpx_ne_u32_e32 0x7f, v9
	s_cbranch_execz .LBB230_829
; %bb.826:                              ;   in Loop: Header=BB230_550 Depth=1
	v_and_b32_e32 v5, 7, v89
	v_lshrrev_b32_e32 v7, 3, v9
	s_mov_b32 s22, exec_lo
	v_cmpx_gt_u32_e32 8, v9
; %bb.827:                              ;   in Loop: Header=BB230_550 Depth=1
	v_ffbh_u32_e32 v7, v5
	v_min_u32_e32 v7, 32, v7
	v_subrev_nc_u32_e32 v9, 28, v7
	v_sub_nc_u32_e32 v7, 29, v7
	v_lshlrev_b64 v[17:18], v9, v[5:6]
	v_and_b32_e32 v5, 7, v17
; %bb.828:                              ;   in Loop: Header=BB230_550 Depth=1
	s_or_b32 exec_lo, exec_lo, s22
	v_lshlrev_b32_e32 v9, 24, v89
	v_lshlrev_b32_e32 v5, 20, v5
	v_lshl_add_u32 v7, v7, 23, 0x3c000000
	v_and_b32_e32 v9, 0x80000000, v9
	v_or3_b32 v5, v5, v9, v7
	v_mov_b32_e32 v18, v6
	v_mov_b32_e32 v17, v5
.LBB230_829:                            ;   in Loop: Header=BB230_550 Depth=1
	s_or_b32 exec_lo, exec_lo, s21
.LBB230_830:                            ;   in Loop: Header=BB230_550 Depth=1
	s_or_b32 exec_lo, exec_lo, s18
.LBB230_831:                            ;   in Loop: Header=BB230_550 Depth=1
	s_or_b32 exec_lo, exec_lo, s17
	v_cmp_ne_u16_sdwa s0, v89, v6 src0_sel:BYTE_1 src1_sel:DWORD
	s_and_saveexec_b32 s17, s0
	s_cbranch_execz .LBB230_839
; %bb.832:                              ;   in Loop: Header=BB230_550 Depth=1
	v_mov_b32_e32 v7, v6
	v_mov_b32_e32 v20, v8
	v_cmp_ne_u16_sdwa s0, v89, v45 src0_sel:BYTE_1 src1_sel:DWORD
	v_mov_b32_e32 v19, v7
	s_and_saveexec_b32 s18, s0
	s_cbranch_execz .LBB230_838
; %bb.833:                              ;   in Loop: Header=BB230_550 Depth=1
	v_and_b32_sdwa v5, v46, v89 dst_sel:DWORD dst_unused:UNUSED_PAD src0_sel:DWORD src1_sel:BYTE_1
	v_mov_b32_e32 v9, v6
	v_mov_b32_e32 v20, v10
	s_mov_b32 s21, exec_lo
	v_and_b32_e32 v21, 0x7f, v5
	v_mov_b32_e32 v19, v9
	v_cmpx_ne_u32_e32 0x7f, v21
	s_cbranch_execz .LBB230_837
; %bb.834:                              ;   in Loop: Header=BB230_550 Depth=1
	v_and_b32_e32 v5, 7, v5
	v_lshrrev_b32_e32 v7, 3, v21
	s_mov_b32 s22, exec_lo
	v_cmpx_gt_u32_e32 8, v21
; %bb.835:                              ;   in Loop: Header=BB230_550 Depth=1
	v_ffbh_u32_e32 v7, v5
	v_min_u32_e32 v7, 32, v7
	v_subrev_nc_u32_e32 v9, 28, v7
	v_sub_nc_u32_e32 v7, 29, v7
	v_lshlrev_b64 v[19:20], v9, v[5:6]
	v_and_b32_e32 v5, 7, v19
; %bb.836:                              ;   in Loop: Header=BB230_550 Depth=1
	s_or_b32 exec_lo, exec_lo, s22
	v_lshlrev_b32_e32 v9, 16, v89
	v_lshlrev_b32_e32 v5, 20, v5
	v_lshl_add_u32 v7, v7, 23, 0x3c000000
	v_mov_b32_e32 v19, v6
	v_and_b32_e32 v9, 0x80000000, v9
	v_or3_b32 v20, v5, v9, v7
.LBB230_837:                            ;   in Loop: Header=BB230_550 Depth=1
	s_or_b32 exec_lo, exec_lo, s21
.LBB230_838:                            ;   in Loop: Header=BB230_550 Depth=1
	s_or_b32 exec_lo, exec_lo, s18
.LBB230_839:                            ;   in Loop: Header=BB230_550 Depth=1
	s_or_b32 exec_lo, exec_lo, s17
	v_mov_b32_e32 v23, 0
	v_mov_b32_e32 v21, 0
	v_and_b32_sdwa v5, v89, v47 dst_sel:DWORD dst_unused:UNUSED_PAD src0_sel:WORD_1 src1_sel:DWORD
	v_mov_b32_e32 v24, 0
	v_mov_b32_e32 v22, 0
	s_mov_b32 s17, exec_lo
	v_cmpx_ne_u16_e32 0, v5
	s_cbranch_execz .LBB230_847
; %bb.840:                              ;   in Loop: Header=BB230_550 Depth=1
	v_bfrev_b32_e32 v21, 1
	v_mov_b32_e32 v22, 0
	s_mov_b32 s18, exec_lo
	v_cmpx_ne_u16_e32 0x80, v5
	s_cbranch_execz .LBB230_846
; %bb.841:                              ;   in Loop: Header=BB230_550 Depth=1
	v_mov_b32_e32 v21, 0x7f800001
	v_bfe_u32 v9, v89, 16, 7
	v_mov_b32_e32 v22, 0
	s_mov_b32 s21, exec_lo
	v_cmpx_ne_u32_e32 0x7f, v9
	s_cbranch_execz .LBB230_845
; %bb.842:                              ;   in Loop: Header=BB230_550 Depth=1
	v_and_b32_sdwa v5, v89, v48 dst_sel:DWORD dst_unused:UNUSED_PAD src0_sel:WORD_1 src1_sel:DWORD
	v_lshrrev_b32_e32 v7, 3, v9
	s_mov_b32 s22, exec_lo
	v_cmpx_gt_u32_e32 8, v9
; %bb.843:                              ;   in Loop: Header=BB230_550 Depth=1
	v_ffbh_u32_e32 v7, v5
	v_min_u32_e32 v7, 32, v7
	v_subrev_nc_u32_e32 v9, 28, v7
	v_sub_nc_u32_e32 v7, 29, v7
	v_lshlrev_b64 v[21:22], v9, v[5:6]
	v_and_b32_e32 v5, 7, v21
; %bb.844:                              ;   in Loop: Header=BB230_550 Depth=1
	s_or_b32 exec_lo, exec_lo, s22
	v_lshlrev_b32_sdwa v9, v49, v89 dst_sel:DWORD dst_unused:UNUSED_PAD src0_sel:DWORD src1_sel:WORD_1
	v_lshlrev_b32_e32 v5, 20, v5
	v_lshl_add_u32 v7, v7, 23, 0x3c000000
	v_and_b32_e32 v9, 0x80000000, v9
	v_or3_b32 v5, v5, v9, v7
	v_mov_b32_e32 v22, v6
	v_mov_b32_e32 v21, v5
.LBB230_845:                            ;   in Loop: Header=BB230_550 Depth=1
	s_or_b32 exec_lo, exec_lo, s21
.LBB230_846:                            ;   in Loop: Header=BB230_550 Depth=1
	s_or_b32 exec_lo, exec_lo, s18
.LBB230_847:                            ;   in Loop: Header=BB230_550 Depth=1
	s_or_b32 exec_lo, exec_lo, s17
	s_mov_b32 s17, exec_lo
	v_cmpx_lt_u32_e32 0xffffff, v89
	s_cbranch_execz .LBB230_855
; %bb.848:                              ;   in Loop: Header=BB230_550 Depth=1
	v_mov_b32_e32 v7, v6
	v_mov_b32_e32 v24, v8
	v_cmp_ne_u32_sdwa s0, v89, v45 src0_sel:BYTE_3 src1_sel:DWORD
	v_mov_b32_e32 v23, v7
	s_and_saveexec_b32 s18, s0
	s_cbranch_execz .LBB230_854
; %bb.849:                              ;   in Loop: Header=BB230_550 Depth=1
	v_mov_b32_e32 v9, v6
	v_mov_b32_e32 v24, v10
	v_bfe_u32 v90, v89, 24, 7
	s_mov_b32 s21, exec_lo
	v_mov_b32_e32 v23, v9
	v_cmpx_ne_u32_e32 0x7f, v90
	s_cbranch_execz .LBB230_853
; %bb.850:                              ;   in Loop: Header=BB230_550 Depth=1
	v_and_b32_sdwa v5, v89, v48 dst_sel:DWORD dst_unused:UNUSED_PAD src0_sel:BYTE_3 src1_sel:DWORD
	v_lshrrev_b32_e32 v7, 3, v90
	s_mov_b32 s22, exec_lo
	v_cmpx_gt_u32_e32 8, v90
; %bb.851:                              ;   in Loop: Header=BB230_550 Depth=1
	v_ffbh_u32_e32 v7, v5
	v_min_u32_e32 v7, 32, v7
	v_subrev_nc_u32_e32 v9, 28, v7
	v_sub_nc_u32_e32 v7, 29, v7
	v_lshlrev_b64 v[23:24], v9, v[5:6]
	v_and_b32_e32 v5, 7, v23
; %bb.852:                              ;   in Loop: Header=BB230_550 Depth=1
	s_or_b32 exec_lo, exec_lo, s22
	v_lshlrev_b32_sdwa v9, v49, v89 dst_sel:DWORD dst_unused:UNUSED_PAD src0_sel:DWORD src1_sel:BYTE_3
	v_lshlrev_b32_e32 v5, 20, v5
	v_lshl_add_u32 v7, v7, 23, 0x3c000000
	v_mov_b32_e32 v23, v6
	v_and_b32_e32 v9, 0x80000000, v9
	v_or3_b32 v24, v5, v9, v7
.LBB230_853:                            ;   in Loop: Header=BB230_550 Depth=1
	s_or_b32 exec_lo, exec_lo, s21
.LBB230_854:                            ;   in Loop: Header=BB230_550 Depth=1
	s_or_b32 exec_lo, exec_lo, s18
.LBB230_855:                            ;   in Loop: Header=BB230_550 Depth=1
	s_or_b32 exec_lo, exec_lo, s17
	v_or_b32_e32 v5, v20, v18
	v_or_b32_e32 v7, v19, v17
	;; [unrolled: 1-line block ×4, first 2 shown]
	v_mul_f32_e32 v91, s13, v5
	v_mul_f32_e32 v92, s12, v7
	;; [unrolled: 1-line block ×4, first 2 shown]
	s_and_saveexec_b32 s17, vcc_lo
	s_cbranch_execz .LBB230_857
; %bb.856:                              ;   in Loop: Header=BB230_550 Depth=1
	v_cmp_gt_i32_e64 s0, s31, v56
	v_cndmask_b32_e64 v92, 0, v92, s0
	v_cmp_gt_i32_e64 s0, s31, v59
	v_cndmask_b32_e64 v91, 0, v91, s0
	;; [unrolled: 2-line block ×4, first 2 shown]
.LBB230_857:                            ;   in Loop: Header=BB230_550 Depth=1
	s_or_b32 exec_lo, exec_lo, s17
	global_load_dword v93, v[15:16], off offset:1152
	v_mov_b32_e32 v19, 0
	v_mov_b32_e32 v17, 0
	;; [unrolled: 1-line block ×4, first 2 shown]
	s_waitcnt vmcnt(0)
	v_cmp_ne_u16_sdwa s0, v93, v6 src0_sel:BYTE_0 src1_sel:DWORD
	s_and_saveexec_b32 s17, s0
	s_cbranch_execz .LBB230_865
; %bb.858:                              ;   in Loop: Header=BB230_550 Depth=1
	v_bfrev_b32_e32 v17, 1
	v_mov_b32_e32 v18, 0
	v_cmp_ne_u16_sdwa s0, v93, v45 src0_sel:BYTE_0 src1_sel:DWORD
	s_and_saveexec_b32 s18, s0
	s_cbranch_execz .LBB230_864
; %bb.859:                              ;   in Loop: Header=BB230_550 Depth=1
	v_mov_b32_e32 v17, 0x7f800001
	v_and_b32_e32 v9, 0x7f, v93
	v_mov_b32_e32 v18, 0
	s_mov_b32 s21, exec_lo
	v_cmpx_ne_u32_e32 0x7f, v9
	s_cbranch_execz .LBB230_863
; %bb.860:                              ;   in Loop: Header=BB230_550 Depth=1
	v_and_b32_e32 v5, 7, v93
	v_lshrrev_b32_e32 v7, 3, v9
	s_mov_b32 s22, exec_lo
	v_cmpx_gt_u32_e32 8, v9
; %bb.861:                              ;   in Loop: Header=BB230_550 Depth=1
	v_ffbh_u32_e32 v7, v5
	v_min_u32_e32 v7, 32, v7
	v_subrev_nc_u32_e32 v9, 28, v7
	v_sub_nc_u32_e32 v7, 29, v7
	v_lshlrev_b64 v[17:18], v9, v[5:6]
	v_and_b32_e32 v5, 7, v17
; %bb.862:                              ;   in Loop: Header=BB230_550 Depth=1
	s_or_b32 exec_lo, exec_lo, s22
	v_lshlrev_b32_e32 v9, 24, v93
	v_lshlrev_b32_e32 v5, 20, v5
	v_lshl_add_u32 v7, v7, 23, 0x3c000000
	v_and_b32_e32 v9, 0x80000000, v9
	v_or3_b32 v5, v5, v9, v7
	v_mov_b32_e32 v18, v6
	v_mov_b32_e32 v17, v5
.LBB230_863:                            ;   in Loop: Header=BB230_550 Depth=1
	s_or_b32 exec_lo, exec_lo, s21
.LBB230_864:                            ;   in Loop: Header=BB230_550 Depth=1
	s_or_b32 exec_lo, exec_lo, s18
.LBB230_865:                            ;   in Loop: Header=BB230_550 Depth=1
	s_or_b32 exec_lo, exec_lo, s17
	v_cmp_ne_u16_sdwa s0, v93, v6 src0_sel:BYTE_1 src1_sel:DWORD
	s_and_saveexec_b32 s17, s0
	s_cbranch_execz .LBB230_873
; %bb.866:                              ;   in Loop: Header=BB230_550 Depth=1
	v_mov_b32_e32 v7, v6
	v_mov_b32_e32 v20, v8
	v_cmp_ne_u16_sdwa s0, v93, v45 src0_sel:BYTE_1 src1_sel:DWORD
	v_mov_b32_e32 v19, v7
	s_and_saveexec_b32 s18, s0
	s_cbranch_execz .LBB230_872
; %bb.867:                              ;   in Loop: Header=BB230_550 Depth=1
	v_and_b32_sdwa v5, v46, v93 dst_sel:DWORD dst_unused:UNUSED_PAD src0_sel:DWORD src1_sel:BYTE_1
	v_mov_b32_e32 v9, v6
	v_mov_b32_e32 v20, v10
	s_mov_b32 s21, exec_lo
	v_and_b32_e32 v21, 0x7f, v5
	v_mov_b32_e32 v19, v9
	v_cmpx_ne_u32_e32 0x7f, v21
	s_cbranch_execz .LBB230_871
; %bb.868:                              ;   in Loop: Header=BB230_550 Depth=1
	v_and_b32_e32 v5, 7, v5
	v_lshrrev_b32_e32 v7, 3, v21
	s_mov_b32 s22, exec_lo
	v_cmpx_gt_u32_e32 8, v21
; %bb.869:                              ;   in Loop: Header=BB230_550 Depth=1
	v_ffbh_u32_e32 v7, v5
	v_min_u32_e32 v7, 32, v7
	v_subrev_nc_u32_e32 v9, 28, v7
	v_sub_nc_u32_e32 v7, 29, v7
	v_lshlrev_b64 v[19:20], v9, v[5:6]
	v_and_b32_e32 v5, 7, v19
; %bb.870:                              ;   in Loop: Header=BB230_550 Depth=1
	s_or_b32 exec_lo, exec_lo, s22
	v_lshlrev_b32_e32 v9, 16, v93
	v_lshlrev_b32_e32 v5, 20, v5
	v_lshl_add_u32 v7, v7, 23, 0x3c000000
	v_mov_b32_e32 v19, v6
	v_and_b32_e32 v9, 0x80000000, v9
	v_or3_b32 v20, v5, v9, v7
.LBB230_871:                            ;   in Loop: Header=BB230_550 Depth=1
	s_or_b32 exec_lo, exec_lo, s21
.LBB230_872:                            ;   in Loop: Header=BB230_550 Depth=1
	s_or_b32 exec_lo, exec_lo, s18
.LBB230_873:                            ;   in Loop: Header=BB230_550 Depth=1
	s_or_b32 exec_lo, exec_lo, s17
	v_mov_b32_e32 v23, 0
	v_mov_b32_e32 v21, 0
	v_and_b32_sdwa v5, v93, v47 dst_sel:DWORD dst_unused:UNUSED_PAD src0_sel:WORD_1 src1_sel:DWORD
	v_mov_b32_e32 v24, 0
	v_mov_b32_e32 v22, 0
	s_mov_b32 s17, exec_lo
	v_cmpx_ne_u16_e32 0, v5
	s_cbranch_execz .LBB230_881
; %bb.874:                              ;   in Loop: Header=BB230_550 Depth=1
	v_bfrev_b32_e32 v21, 1
	v_mov_b32_e32 v22, 0
	s_mov_b32 s18, exec_lo
	v_cmpx_ne_u16_e32 0x80, v5
	s_cbranch_execz .LBB230_880
; %bb.875:                              ;   in Loop: Header=BB230_550 Depth=1
	v_mov_b32_e32 v21, 0x7f800001
	v_bfe_u32 v9, v93, 16, 7
	v_mov_b32_e32 v22, 0
	s_mov_b32 s21, exec_lo
	v_cmpx_ne_u32_e32 0x7f, v9
	s_cbranch_execz .LBB230_879
; %bb.876:                              ;   in Loop: Header=BB230_550 Depth=1
	v_and_b32_sdwa v5, v93, v48 dst_sel:DWORD dst_unused:UNUSED_PAD src0_sel:WORD_1 src1_sel:DWORD
	v_lshrrev_b32_e32 v7, 3, v9
	s_mov_b32 s22, exec_lo
	v_cmpx_gt_u32_e32 8, v9
; %bb.877:                              ;   in Loop: Header=BB230_550 Depth=1
	v_ffbh_u32_e32 v7, v5
	v_min_u32_e32 v7, 32, v7
	v_subrev_nc_u32_e32 v9, 28, v7
	v_sub_nc_u32_e32 v7, 29, v7
	v_lshlrev_b64 v[21:22], v9, v[5:6]
	v_and_b32_e32 v5, 7, v21
; %bb.878:                              ;   in Loop: Header=BB230_550 Depth=1
	s_or_b32 exec_lo, exec_lo, s22
	v_lshlrev_b32_sdwa v9, v49, v93 dst_sel:DWORD dst_unused:UNUSED_PAD src0_sel:DWORD src1_sel:WORD_1
	v_lshlrev_b32_e32 v5, 20, v5
	v_lshl_add_u32 v7, v7, 23, 0x3c000000
	v_and_b32_e32 v9, 0x80000000, v9
	v_or3_b32 v5, v5, v9, v7
	v_mov_b32_e32 v22, v6
	v_mov_b32_e32 v21, v5
.LBB230_879:                            ;   in Loop: Header=BB230_550 Depth=1
	s_or_b32 exec_lo, exec_lo, s21
.LBB230_880:                            ;   in Loop: Header=BB230_550 Depth=1
	s_or_b32 exec_lo, exec_lo, s18
.LBB230_881:                            ;   in Loop: Header=BB230_550 Depth=1
	s_or_b32 exec_lo, exec_lo, s17
	s_mov_b32 s17, exec_lo
	v_cmpx_lt_u32_e32 0xffffff, v93
	s_cbranch_execz .LBB230_889
; %bb.882:                              ;   in Loop: Header=BB230_550 Depth=1
	v_mov_b32_e32 v7, v6
	v_mov_b32_e32 v24, v8
	v_cmp_ne_u32_sdwa s0, v93, v45 src0_sel:BYTE_3 src1_sel:DWORD
	v_mov_b32_e32 v23, v7
	s_and_saveexec_b32 s18, s0
	s_cbranch_execz .LBB230_888
; %bb.883:                              ;   in Loop: Header=BB230_550 Depth=1
	v_mov_b32_e32 v9, v6
	v_mov_b32_e32 v24, v10
	v_bfe_u32 v94, v93, 24, 7
	s_mov_b32 s21, exec_lo
	v_mov_b32_e32 v23, v9
	v_cmpx_ne_u32_e32 0x7f, v94
	s_cbranch_execz .LBB230_887
; %bb.884:                              ;   in Loop: Header=BB230_550 Depth=1
	v_and_b32_sdwa v5, v93, v48 dst_sel:DWORD dst_unused:UNUSED_PAD src0_sel:BYTE_3 src1_sel:DWORD
	v_lshrrev_b32_e32 v7, 3, v94
	s_mov_b32 s22, exec_lo
	v_cmpx_gt_u32_e32 8, v94
; %bb.885:                              ;   in Loop: Header=BB230_550 Depth=1
	v_ffbh_u32_e32 v7, v5
	v_min_u32_e32 v7, 32, v7
	v_subrev_nc_u32_e32 v9, 28, v7
	v_sub_nc_u32_e32 v7, 29, v7
	v_lshlrev_b64 v[23:24], v9, v[5:6]
	v_and_b32_e32 v5, 7, v23
; %bb.886:                              ;   in Loop: Header=BB230_550 Depth=1
	s_or_b32 exec_lo, exec_lo, s22
	v_lshlrev_b32_sdwa v9, v49, v93 dst_sel:DWORD dst_unused:UNUSED_PAD src0_sel:DWORD src1_sel:BYTE_3
	v_lshlrev_b32_e32 v5, 20, v5
	v_lshl_add_u32 v7, v7, 23, 0x3c000000
	v_mov_b32_e32 v23, v6
	v_and_b32_e32 v9, 0x80000000, v9
	v_or3_b32 v24, v5, v9, v7
.LBB230_887:                            ;   in Loop: Header=BB230_550 Depth=1
	s_or_b32 exec_lo, exec_lo, s21
.LBB230_888:                            ;   in Loop: Header=BB230_550 Depth=1
	s_or_b32 exec_lo, exec_lo, s18
.LBB230_889:                            ;   in Loop: Header=BB230_550 Depth=1
	s_or_b32 exec_lo, exec_lo, s17
	v_or_b32_e32 v5, v20, v18
	v_or_b32_e32 v7, v19, v17
	;; [unrolled: 1-line block ×4, first 2 shown]
	v_mul_f32_e32 v95, s13, v5
	v_mul_f32_e32 v96, s12, v7
	;; [unrolled: 1-line block ×4, first 2 shown]
	s_and_saveexec_b32 s17, vcc_lo
	s_cbranch_execz .LBB230_891
; %bb.890:                              ;   in Loop: Header=BB230_550 Depth=1
	v_cmp_gt_i32_e64 s0, s31, v56
	v_cndmask_b32_e64 v96, 0, v96, s0
	v_cmp_gt_i32_e64 s0, s31, v59
	v_cndmask_b32_e64 v95, 0, v95, s0
	;; [unrolled: 2-line block ×4, first 2 shown]
.LBB230_891:                            ;   in Loop: Header=BB230_550 Depth=1
	s_or_b32 exec_lo, exec_lo, s17
	global_load_dword v97, v[15:16], off offset:1280
	v_mov_b32_e32 v19, 0
	v_mov_b32_e32 v17, 0
	;; [unrolled: 1-line block ×4, first 2 shown]
	s_waitcnt vmcnt(0)
	v_cmp_ne_u16_sdwa s0, v97, v6 src0_sel:BYTE_0 src1_sel:DWORD
	s_and_saveexec_b32 s17, s0
	s_cbranch_execz .LBB230_899
; %bb.892:                              ;   in Loop: Header=BB230_550 Depth=1
	v_bfrev_b32_e32 v17, 1
	v_mov_b32_e32 v18, 0
	v_cmp_ne_u16_sdwa s0, v97, v45 src0_sel:BYTE_0 src1_sel:DWORD
	s_and_saveexec_b32 s18, s0
	s_cbranch_execz .LBB230_898
; %bb.893:                              ;   in Loop: Header=BB230_550 Depth=1
	v_mov_b32_e32 v17, 0x7f800001
	v_and_b32_e32 v9, 0x7f, v97
	v_mov_b32_e32 v18, 0
	s_mov_b32 s21, exec_lo
	v_cmpx_ne_u32_e32 0x7f, v9
	s_cbranch_execz .LBB230_897
; %bb.894:                              ;   in Loop: Header=BB230_550 Depth=1
	v_and_b32_e32 v5, 7, v97
	v_lshrrev_b32_e32 v7, 3, v9
	s_mov_b32 s22, exec_lo
	v_cmpx_gt_u32_e32 8, v9
; %bb.895:                              ;   in Loop: Header=BB230_550 Depth=1
	v_ffbh_u32_e32 v7, v5
	v_min_u32_e32 v7, 32, v7
	v_subrev_nc_u32_e32 v9, 28, v7
	v_sub_nc_u32_e32 v7, 29, v7
	v_lshlrev_b64 v[17:18], v9, v[5:6]
	v_and_b32_e32 v5, 7, v17
; %bb.896:                              ;   in Loop: Header=BB230_550 Depth=1
	s_or_b32 exec_lo, exec_lo, s22
	v_lshlrev_b32_e32 v9, 24, v97
	v_lshlrev_b32_e32 v5, 20, v5
	v_lshl_add_u32 v7, v7, 23, 0x3c000000
	v_and_b32_e32 v9, 0x80000000, v9
	v_or3_b32 v5, v5, v9, v7
	v_mov_b32_e32 v18, v6
	v_mov_b32_e32 v17, v5
.LBB230_897:                            ;   in Loop: Header=BB230_550 Depth=1
	s_or_b32 exec_lo, exec_lo, s21
.LBB230_898:                            ;   in Loop: Header=BB230_550 Depth=1
	s_or_b32 exec_lo, exec_lo, s18
.LBB230_899:                            ;   in Loop: Header=BB230_550 Depth=1
	s_or_b32 exec_lo, exec_lo, s17
	v_cmp_ne_u16_sdwa s0, v97, v6 src0_sel:BYTE_1 src1_sel:DWORD
	s_and_saveexec_b32 s17, s0
	s_cbranch_execz .LBB230_907
; %bb.900:                              ;   in Loop: Header=BB230_550 Depth=1
	v_mov_b32_e32 v7, v6
	v_mov_b32_e32 v20, v8
	v_cmp_ne_u16_sdwa s0, v97, v45 src0_sel:BYTE_1 src1_sel:DWORD
	v_mov_b32_e32 v19, v7
	s_and_saveexec_b32 s18, s0
	s_cbranch_execz .LBB230_906
; %bb.901:                              ;   in Loop: Header=BB230_550 Depth=1
	v_and_b32_sdwa v5, v46, v97 dst_sel:DWORD dst_unused:UNUSED_PAD src0_sel:DWORD src1_sel:BYTE_1
	v_mov_b32_e32 v9, v6
	v_mov_b32_e32 v20, v10
	s_mov_b32 s21, exec_lo
	v_and_b32_e32 v21, 0x7f, v5
	v_mov_b32_e32 v19, v9
	v_cmpx_ne_u32_e32 0x7f, v21
	s_cbranch_execz .LBB230_905
; %bb.902:                              ;   in Loop: Header=BB230_550 Depth=1
	v_and_b32_e32 v5, 7, v5
	v_lshrrev_b32_e32 v7, 3, v21
	s_mov_b32 s22, exec_lo
	v_cmpx_gt_u32_e32 8, v21
; %bb.903:                              ;   in Loop: Header=BB230_550 Depth=1
	v_ffbh_u32_e32 v7, v5
	v_min_u32_e32 v7, 32, v7
	v_subrev_nc_u32_e32 v9, 28, v7
	v_sub_nc_u32_e32 v7, 29, v7
	v_lshlrev_b64 v[19:20], v9, v[5:6]
	v_and_b32_e32 v5, 7, v19
; %bb.904:                              ;   in Loop: Header=BB230_550 Depth=1
	s_or_b32 exec_lo, exec_lo, s22
	v_lshlrev_b32_e32 v9, 16, v97
	v_lshlrev_b32_e32 v5, 20, v5
	v_lshl_add_u32 v7, v7, 23, 0x3c000000
	v_mov_b32_e32 v19, v6
	v_and_b32_e32 v9, 0x80000000, v9
	v_or3_b32 v20, v5, v9, v7
.LBB230_905:                            ;   in Loop: Header=BB230_550 Depth=1
	s_or_b32 exec_lo, exec_lo, s21
.LBB230_906:                            ;   in Loop: Header=BB230_550 Depth=1
	s_or_b32 exec_lo, exec_lo, s18
.LBB230_907:                            ;   in Loop: Header=BB230_550 Depth=1
	s_or_b32 exec_lo, exec_lo, s17
	v_mov_b32_e32 v23, 0
	v_mov_b32_e32 v21, 0
	v_and_b32_sdwa v5, v97, v47 dst_sel:DWORD dst_unused:UNUSED_PAD src0_sel:WORD_1 src1_sel:DWORD
	v_mov_b32_e32 v24, 0
	v_mov_b32_e32 v22, 0
	s_mov_b32 s17, exec_lo
	v_cmpx_ne_u16_e32 0, v5
	s_cbranch_execz .LBB230_915
; %bb.908:                              ;   in Loop: Header=BB230_550 Depth=1
	v_bfrev_b32_e32 v21, 1
	v_mov_b32_e32 v22, 0
	s_mov_b32 s18, exec_lo
	v_cmpx_ne_u16_e32 0x80, v5
	s_cbranch_execz .LBB230_914
; %bb.909:                              ;   in Loop: Header=BB230_550 Depth=1
	v_mov_b32_e32 v21, 0x7f800001
	v_bfe_u32 v9, v97, 16, 7
	v_mov_b32_e32 v22, 0
	s_mov_b32 s21, exec_lo
	v_cmpx_ne_u32_e32 0x7f, v9
	s_cbranch_execz .LBB230_913
; %bb.910:                              ;   in Loop: Header=BB230_550 Depth=1
	v_and_b32_sdwa v5, v97, v48 dst_sel:DWORD dst_unused:UNUSED_PAD src0_sel:WORD_1 src1_sel:DWORD
	v_lshrrev_b32_e32 v7, 3, v9
	s_mov_b32 s22, exec_lo
	v_cmpx_gt_u32_e32 8, v9
; %bb.911:                              ;   in Loop: Header=BB230_550 Depth=1
	v_ffbh_u32_e32 v7, v5
	v_min_u32_e32 v7, 32, v7
	v_subrev_nc_u32_e32 v9, 28, v7
	v_sub_nc_u32_e32 v7, 29, v7
	v_lshlrev_b64 v[21:22], v9, v[5:6]
	v_and_b32_e32 v5, 7, v21
; %bb.912:                              ;   in Loop: Header=BB230_550 Depth=1
	s_or_b32 exec_lo, exec_lo, s22
	v_lshlrev_b32_sdwa v9, v49, v97 dst_sel:DWORD dst_unused:UNUSED_PAD src0_sel:DWORD src1_sel:WORD_1
	v_lshlrev_b32_e32 v5, 20, v5
	v_lshl_add_u32 v7, v7, 23, 0x3c000000
	v_and_b32_e32 v9, 0x80000000, v9
	v_or3_b32 v5, v5, v9, v7
	v_mov_b32_e32 v22, v6
	v_mov_b32_e32 v21, v5
.LBB230_913:                            ;   in Loop: Header=BB230_550 Depth=1
	s_or_b32 exec_lo, exec_lo, s21
.LBB230_914:                            ;   in Loop: Header=BB230_550 Depth=1
	s_or_b32 exec_lo, exec_lo, s18
.LBB230_915:                            ;   in Loop: Header=BB230_550 Depth=1
	s_or_b32 exec_lo, exec_lo, s17
	s_mov_b32 s17, exec_lo
	v_cmpx_lt_u32_e32 0xffffff, v97
	s_cbranch_execz .LBB230_923
; %bb.916:                              ;   in Loop: Header=BB230_550 Depth=1
	v_mov_b32_e32 v7, v6
	v_mov_b32_e32 v24, v8
	v_cmp_ne_u32_sdwa s0, v97, v45 src0_sel:BYTE_3 src1_sel:DWORD
	v_mov_b32_e32 v23, v7
	s_and_saveexec_b32 s18, s0
	s_cbranch_execz .LBB230_922
; %bb.917:                              ;   in Loop: Header=BB230_550 Depth=1
	v_mov_b32_e32 v9, v6
	v_mov_b32_e32 v24, v10
	v_bfe_u32 v98, v97, 24, 7
	s_mov_b32 s21, exec_lo
	v_mov_b32_e32 v23, v9
	v_cmpx_ne_u32_e32 0x7f, v98
	s_cbranch_execz .LBB230_921
; %bb.918:                              ;   in Loop: Header=BB230_550 Depth=1
	v_and_b32_sdwa v5, v97, v48 dst_sel:DWORD dst_unused:UNUSED_PAD src0_sel:BYTE_3 src1_sel:DWORD
	v_lshrrev_b32_e32 v7, 3, v98
	s_mov_b32 s22, exec_lo
	v_cmpx_gt_u32_e32 8, v98
; %bb.919:                              ;   in Loop: Header=BB230_550 Depth=1
	v_ffbh_u32_e32 v7, v5
	v_min_u32_e32 v7, 32, v7
	v_subrev_nc_u32_e32 v9, 28, v7
	v_sub_nc_u32_e32 v7, 29, v7
	v_lshlrev_b64 v[23:24], v9, v[5:6]
	v_and_b32_e32 v5, 7, v23
; %bb.920:                              ;   in Loop: Header=BB230_550 Depth=1
	s_or_b32 exec_lo, exec_lo, s22
	v_lshlrev_b32_sdwa v9, v49, v97 dst_sel:DWORD dst_unused:UNUSED_PAD src0_sel:DWORD src1_sel:BYTE_3
	v_lshlrev_b32_e32 v5, 20, v5
	v_lshl_add_u32 v7, v7, 23, 0x3c000000
	v_mov_b32_e32 v23, v6
	v_and_b32_e32 v9, 0x80000000, v9
	v_or3_b32 v24, v5, v9, v7
.LBB230_921:                            ;   in Loop: Header=BB230_550 Depth=1
	s_or_b32 exec_lo, exec_lo, s21
.LBB230_922:                            ;   in Loop: Header=BB230_550 Depth=1
	s_or_b32 exec_lo, exec_lo, s18
.LBB230_923:                            ;   in Loop: Header=BB230_550 Depth=1
	s_or_b32 exec_lo, exec_lo, s17
	v_or_b32_e32 v5, v20, v18
	v_or_b32_e32 v7, v19, v17
	;; [unrolled: 1-line block ×4, first 2 shown]
	v_mul_f32_e32 v99, s13, v5
	v_mul_f32_e32 v100, s12, v7
	;; [unrolled: 1-line block ×4, first 2 shown]
	s_and_saveexec_b32 s17, vcc_lo
	s_cbranch_execz .LBB230_925
; %bb.924:                              ;   in Loop: Header=BB230_550 Depth=1
	v_cmp_gt_i32_e64 s0, s31, v56
	v_cndmask_b32_e64 v100, 0, v100, s0
	v_cmp_gt_i32_e64 s0, s31, v59
	v_cndmask_b32_e64 v99, 0, v99, s0
	;; [unrolled: 2-line block ×4, first 2 shown]
.LBB230_925:                            ;   in Loop: Header=BB230_550 Depth=1
	s_or_b32 exec_lo, exec_lo, s17
	global_load_dword v101, v[15:16], off offset:1408
	v_mov_b32_e32 v19, 0
	v_mov_b32_e32 v17, 0
	;; [unrolled: 1-line block ×4, first 2 shown]
	s_waitcnt vmcnt(0)
	v_cmp_ne_u16_sdwa s0, v101, v6 src0_sel:BYTE_0 src1_sel:DWORD
	s_and_saveexec_b32 s17, s0
	s_cbranch_execz .LBB230_933
; %bb.926:                              ;   in Loop: Header=BB230_550 Depth=1
	v_bfrev_b32_e32 v17, 1
	v_mov_b32_e32 v18, 0
	v_cmp_ne_u16_sdwa s0, v101, v45 src0_sel:BYTE_0 src1_sel:DWORD
	s_and_saveexec_b32 s18, s0
	s_cbranch_execz .LBB230_932
; %bb.927:                              ;   in Loop: Header=BB230_550 Depth=1
	v_mov_b32_e32 v17, 0x7f800001
	v_and_b32_e32 v9, 0x7f, v101
	v_mov_b32_e32 v18, 0
	s_mov_b32 s21, exec_lo
	v_cmpx_ne_u32_e32 0x7f, v9
	s_cbranch_execz .LBB230_931
; %bb.928:                              ;   in Loop: Header=BB230_550 Depth=1
	v_and_b32_e32 v5, 7, v101
	v_lshrrev_b32_e32 v7, 3, v9
	s_mov_b32 s22, exec_lo
	v_cmpx_gt_u32_e32 8, v9
; %bb.929:                              ;   in Loop: Header=BB230_550 Depth=1
	v_ffbh_u32_e32 v7, v5
	v_min_u32_e32 v7, 32, v7
	v_subrev_nc_u32_e32 v9, 28, v7
	v_sub_nc_u32_e32 v7, 29, v7
	v_lshlrev_b64 v[17:18], v9, v[5:6]
	v_and_b32_e32 v5, 7, v17
; %bb.930:                              ;   in Loop: Header=BB230_550 Depth=1
	s_or_b32 exec_lo, exec_lo, s22
	v_lshlrev_b32_e32 v9, 24, v101
	v_lshlrev_b32_e32 v5, 20, v5
	v_lshl_add_u32 v7, v7, 23, 0x3c000000
	v_and_b32_e32 v9, 0x80000000, v9
	v_or3_b32 v5, v5, v9, v7
	v_mov_b32_e32 v18, v6
	v_mov_b32_e32 v17, v5
.LBB230_931:                            ;   in Loop: Header=BB230_550 Depth=1
	s_or_b32 exec_lo, exec_lo, s21
.LBB230_932:                            ;   in Loop: Header=BB230_550 Depth=1
	s_or_b32 exec_lo, exec_lo, s18
.LBB230_933:                            ;   in Loop: Header=BB230_550 Depth=1
	s_or_b32 exec_lo, exec_lo, s17
	v_cmp_ne_u16_sdwa s0, v101, v6 src0_sel:BYTE_1 src1_sel:DWORD
	s_and_saveexec_b32 s17, s0
	s_cbranch_execz .LBB230_941
; %bb.934:                              ;   in Loop: Header=BB230_550 Depth=1
	v_mov_b32_e32 v7, v6
	v_mov_b32_e32 v20, v8
	v_cmp_ne_u16_sdwa s0, v101, v45 src0_sel:BYTE_1 src1_sel:DWORD
	v_mov_b32_e32 v19, v7
	s_and_saveexec_b32 s18, s0
	s_cbranch_execz .LBB230_940
; %bb.935:                              ;   in Loop: Header=BB230_550 Depth=1
	v_and_b32_sdwa v5, v46, v101 dst_sel:DWORD dst_unused:UNUSED_PAD src0_sel:DWORD src1_sel:BYTE_1
	v_mov_b32_e32 v9, v6
	v_mov_b32_e32 v20, v10
	s_mov_b32 s21, exec_lo
	v_and_b32_e32 v21, 0x7f, v5
	v_mov_b32_e32 v19, v9
	v_cmpx_ne_u32_e32 0x7f, v21
	s_cbranch_execz .LBB230_939
; %bb.936:                              ;   in Loop: Header=BB230_550 Depth=1
	v_and_b32_e32 v5, 7, v5
	v_lshrrev_b32_e32 v7, 3, v21
	s_mov_b32 s22, exec_lo
	v_cmpx_gt_u32_e32 8, v21
; %bb.937:                              ;   in Loop: Header=BB230_550 Depth=1
	v_ffbh_u32_e32 v7, v5
	v_min_u32_e32 v7, 32, v7
	v_subrev_nc_u32_e32 v9, 28, v7
	v_sub_nc_u32_e32 v7, 29, v7
	v_lshlrev_b64 v[19:20], v9, v[5:6]
	v_and_b32_e32 v5, 7, v19
; %bb.938:                              ;   in Loop: Header=BB230_550 Depth=1
	s_or_b32 exec_lo, exec_lo, s22
	v_lshlrev_b32_e32 v9, 16, v101
	v_lshlrev_b32_e32 v5, 20, v5
	v_lshl_add_u32 v7, v7, 23, 0x3c000000
	v_mov_b32_e32 v19, v6
	v_and_b32_e32 v9, 0x80000000, v9
	v_or3_b32 v20, v5, v9, v7
.LBB230_939:                            ;   in Loop: Header=BB230_550 Depth=1
	s_or_b32 exec_lo, exec_lo, s21
.LBB230_940:                            ;   in Loop: Header=BB230_550 Depth=1
	s_or_b32 exec_lo, exec_lo, s18
.LBB230_941:                            ;   in Loop: Header=BB230_550 Depth=1
	s_or_b32 exec_lo, exec_lo, s17
	v_mov_b32_e32 v23, 0
	v_mov_b32_e32 v21, 0
	v_and_b32_sdwa v5, v101, v47 dst_sel:DWORD dst_unused:UNUSED_PAD src0_sel:WORD_1 src1_sel:DWORD
	v_mov_b32_e32 v24, 0
	v_mov_b32_e32 v22, 0
	s_mov_b32 s17, exec_lo
	v_cmpx_ne_u16_e32 0, v5
	s_cbranch_execz .LBB230_949
; %bb.942:                              ;   in Loop: Header=BB230_550 Depth=1
	v_bfrev_b32_e32 v21, 1
	v_mov_b32_e32 v22, 0
	s_mov_b32 s18, exec_lo
	v_cmpx_ne_u16_e32 0x80, v5
	s_cbranch_execz .LBB230_948
; %bb.943:                              ;   in Loop: Header=BB230_550 Depth=1
	v_mov_b32_e32 v21, 0x7f800001
	v_bfe_u32 v9, v101, 16, 7
	v_mov_b32_e32 v22, 0
	s_mov_b32 s21, exec_lo
	v_cmpx_ne_u32_e32 0x7f, v9
	s_cbranch_execz .LBB230_947
; %bb.944:                              ;   in Loop: Header=BB230_550 Depth=1
	v_and_b32_sdwa v5, v101, v48 dst_sel:DWORD dst_unused:UNUSED_PAD src0_sel:WORD_1 src1_sel:DWORD
	v_lshrrev_b32_e32 v7, 3, v9
	s_mov_b32 s22, exec_lo
	v_cmpx_gt_u32_e32 8, v9
; %bb.945:                              ;   in Loop: Header=BB230_550 Depth=1
	v_ffbh_u32_e32 v7, v5
	v_min_u32_e32 v7, 32, v7
	v_subrev_nc_u32_e32 v9, 28, v7
	v_sub_nc_u32_e32 v7, 29, v7
	v_lshlrev_b64 v[21:22], v9, v[5:6]
	v_and_b32_e32 v5, 7, v21
; %bb.946:                              ;   in Loop: Header=BB230_550 Depth=1
	s_or_b32 exec_lo, exec_lo, s22
	v_lshlrev_b32_sdwa v9, v49, v101 dst_sel:DWORD dst_unused:UNUSED_PAD src0_sel:DWORD src1_sel:WORD_1
	v_lshlrev_b32_e32 v5, 20, v5
	v_lshl_add_u32 v7, v7, 23, 0x3c000000
	v_and_b32_e32 v9, 0x80000000, v9
	v_or3_b32 v5, v5, v9, v7
	v_mov_b32_e32 v22, v6
	v_mov_b32_e32 v21, v5
.LBB230_947:                            ;   in Loop: Header=BB230_550 Depth=1
	s_or_b32 exec_lo, exec_lo, s21
.LBB230_948:                            ;   in Loop: Header=BB230_550 Depth=1
	s_or_b32 exec_lo, exec_lo, s18
.LBB230_949:                            ;   in Loop: Header=BB230_550 Depth=1
	s_or_b32 exec_lo, exec_lo, s17
	s_mov_b32 s17, exec_lo
	v_cmpx_lt_u32_e32 0xffffff, v101
	s_cbranch_execz .LBB230_957
; %bb.950:                              ;   in Loop: Header=BB230_550 Depth=1
	v_mov_b32_e32 v7, v6
	v_mov_b32_e32 v24, v8
	v_cmp_ne_u32_sdwa s0, v101, v45 src0_sel:BYTE_3 src1_sel:DWORD
	v_mov_b32_e32 v23, v7
	s_and_saveexec_b32 s18, s0
	s_cbranch_execz .LBB230_956
; %bb.951:                              ;   in Loop: Header=BB230_550 Depth=1
	v_mov_b32_e32 v9, v6
	v_mov_b32_e32 v24, v10
	v_bfe_u32 v102, v101, 24, 7
	s_mov_b32 s21, exec_lo
	v_mov_b32_e32 v23, v9
	v_cmpx_ne_u32_e32 0x7f, v102
	s_cbranch_execz .LBB230_955
; %bb.952:                              ;   in Loop: Header=BB230_550 Depth=1
	v_and_b32_sdwa v5, v101, v48 dst_sel:DWORD dst_unused:UNUSED_PAD src0_sel:BYTE_3 src1_sel:DWORD
	v_lshrrev_b32_e32 v7, 3, v102
	s_mov_b32 s22, exec_lo
	v_cmpx_gt_u32_e32 8, v102
; %bb.953:                              ;   in Loop: Header=BB230_550 Depth=1
	v_ffbh_u32_e32 v7, v5
	v_min_u32_e32 v7, 32, v7
	v_subrev_nc_u32_e32 v9, 28, v7
	v_sub_nc_u32_e32 v7, 29, v7
	v_lshlrev_b64 v[23:24], v9, v[5:6]
	v_and_b32_e32 v5, 7, v23
; %bb.954:                              ;   in Loop: Header=BB230_550 Depth=1
	s_or_b32 exec_lo, exec_lo, s22
	v_lshlrev_b32_sdwa v9, v49, v101 dst_sel:DWORD dst_unused:UNUSED_PAD src0_sel:DWORD src1_sel:BYTE_3
	v_lshlrev_b32_e32 v5, 20, v5
	v_lshl_add_u32 v7, v7, 23, 0x3c000000
	v_mov_b32_e32 v23, v6
	v_and_b32_e32 v9, 0x80000000, v9
	v_or3_b32 v24, v5, v9, v7
.LBB230_955:                            ;   in Loop: Header=BB230_550 Depth=1
	s_or_b32 exec_lo, exec_lo, s21
.LBB230_956:                            ;   in Loop: Header=BB230_550 Depth=1
	s_or_b32 exec_lo, exec_lo, s18
.LBB230_957:                            ;   in Loop: Header=BB230_550 Depth=1
	s_or_b32 exec_lo, exec_lo, s17
	v_or_b32_e32 v5, v20, v18
	v_or_b32_e32 v7, v19, v17
	v_or_b32_e32 v9, v23, v21
	v_or_b32_e32 v17, v24, v22
	v_mul_f32_e32 v103, s13, v5
	v_mul_f32_e32 v104, s12, v7
	;; [unrolled: 1-line block ×4, first 2 shown]
	s_and_saveexec_b32 s17, vcc_lo
	s_cbranch_execz .LBB230_959
; %bb.958:                              ;   in Loop: Header=BB230_550 Depth=1
	v_cmp_gt_i32_e64 s0, s31, v56
	v_cndmask_b32_e64 v104, 0, v104, s0
	v_cmp_gt_i32_e64 s0, s31, v59
	v_cndmask_b32_e64 v103, 0, v103, s0
	;; [unrolled: 2-line block ×4, first 2 shown]
.LBB230_959:                            ;   in Loop: Header=BB230_550 Depth=1
	s_or_b32 exec_lo, exec_lo, s17
	global_load_dword v105, v[15:16], off offset:1536
	v_mov_b32_e32 v19, 0
	v_mov_b32_e32 v17, 0
	;; [unrolled: 1-line block ×4, first 2 shown]
	s_waitcnt vmcnt(0)
	v_cmp_ne_u16_sdwa s0, v105, v6 src0_sel:BYTE_0 src1_sel:DWORD
	s_and_saveexec_b32 s17, s0
	s_cbranch_execz .LBB230_967
; %bb.960:                              ;   in Loop: Header=BB230_550 Depth=1
	v_bfrev_b32_e32 v17, 1
	v_mov_b32_e32 v18, 0
	v_cmp_ne_u16_sdwa s0, v105, v45 src0_sel:BYTE_0 src1_sel:DWORD
	s_and_saveexec_b32 s18, s0
	s_cbranch_execz .LBB230_966
; %bb.961:                              ;   in Loop: Header=BB230_550 Depth=1
	v_mov_b32_e32 v17, 0x7f800001
	v_and_b32_e32 v9, 0x7f, v105
	v_mov_b32_e32 v18, 0
	s_mov_b32 s21, exec_lo
	v_cmpx_ne_u32_e32 0x7f, v9
	s_cbranch_execz .LBB230_965
; %bb.962:                              ;   in Loop: Header=BB230_550 Depth=1
	v_and_b32_e32 v5, 7, v105
	v_lshrrev_b32_e32 v7, 3, v9
	s_mov_b32 s22, exec_lo
	v_cmpx_gt_u32_e32 8, v9
; %bb.963:                              ;   in Loop: Header=BB230_550 Depth=1
	v_ffbh_u32_e32 v7, v5
	v_min_u32_e32 v7, 32, v7
	v_subrev_nc_u32_e32 v9, 28, v7
	v_sub_nc_u32_e32 v7, 29, v7
	v_lshlrev_b64 v[17:18], v9, v[5:6]
	v_and_b32_e32 v5, 7, v17
; %bb.964:                              ;   in Loop: Header=BB230_550 Depth=1
	s_or_b32 exec_lo, exec_lo, s22
	v_lshlrev_b32_e32 v9, 24, v105
	v_lshlrev_b32_e32 v5, 20, v5
	v_lshl_add_u32 v7, v7, 23, 0x3c000000
	v_and_b32_e32 v9, 0x80000000, v9
	v_or3_b32 v5, v5, v9, v7
	v_mov_b32_e32 v18, v6
	v_mov_b32_e32 v17, v5
.LBB230_965:                            ;   in Loop: Header=BB230_550 Depth=1
	s_or_b32 exec_lo, exec_lo, s21
.LBB230_966:                            ;   in Loop: Header=BB230_550 Depth=1
	s_or_b32 exec_lo, exec_lo, s18
.LBB230_967:                            ;   in Loop: Header=BB230_550 Depth=1
	s_or_b32 exec_lo, exec_lo, s17
	v_cmp_ne_u16_sdwa s0, v105, v6 src0_sel:BYTE_1 src1_sel:DWORD
	s_and_saveexec_b32 s17, s0
	s_cbranch_execz .LBB230_975
; %bb.968:                              ;   in Loop: Header=BB230_550 Depth=1
	v_mov_b32_e32 v7, v6
	v_mov_b32_e32 v20, v8
	v_cmp_ne_u16_sdwa s0, v105, v45 src0_sel:BYTE_1 src1_sel:DWORD
	v_mov_b32_e32 v19, v7
	s_and_saveexec_b32 s18, s0
	s_cbranch_execz .LBB230_974
; %bb.969:                              ;   in Loop: Header=BB230_550 Depth=1
	v_and_b32_sdwa v5, v46, v105 dst_sel:DWORD dst_unused:UNUSED_PAD src0_sel:DWORD src1_sel:BYTE_1
	v_mov_b32_e32 v9, v6
	v_mov_b32_e32 v20, v10
	s_mov_b32 s21, exec_lo
	v_and_b32_e32 v21, 0x7f, v5
	v_mov_b32_e32 v19, v9
	v_cmpx_ne_u32_e32 0x7f, v21
	s_cbranch_execz .LBB230_973
; %bb.970:                              ;   in Loop: Header=BB230_550 Depth=1
	v_and_b32_e32 v5, 7, v5
	v_lshrrev_b32_e32 v7, 3, v21
	s_mov_b32 s22, exec_lo
	v_cmpx_gt_u32_e32 8, v21
; %bb.971:                              ;   in Loop: Header=BB230_550 Depth=1
	v_ffbh_u32_e32 v7, v5
	v_min_u32_e32 v7, 32, v7
	v_subrev_nc_u32_e32 v9, 28, v7
	v_sub_nc_u32_e32 v7, 29, v7
	v_lshlrev_b64 v[19:20], v9, v[5:6]
	v_and_b32_e32 v5, 7, v19
; %bb.972:                              ;   in Loop: Header=BB230_550 Depth=1
	s_or_b32 exec_lo, exec_lo, s22
	v_lshlrev_b32_e32 v9, 16, v105
	v_lshlrev_b32_e32 v5, 20, v5
	v_lshl_add_u32 v7, v7, 23, 0x3c000000
	v_mov_b32_e32 v19, v6
	v_and_b32_e32 v9, 0x80000000, v9
	v_or3_b32 v20, v5, v9, v7
.LBB230_973:                            ;   in Loop: Header=BB230_550 Depth=1
	s_or_b32 exec_lo, exec_lo, s21
.LBB230_974:                            ;   in Loop: Header=BB230_550 Depth=1
	s_or_b32 exec_lo, exec_lo, s18
.LBB230_975:                            ;   in Loop: Header=BB230_550 Depth=1
	s_or_b32 exec_lo, exec_lo, s17
	v_mov_b32_e32 v23, 0
	v_mov_b32_e32 v21, 0
	v_and_b32_sdwa v5, v105, v47 dst_sel:DWORD dst_unused:UNUSED_PAD src0_sel:WORD_1 src1_sel:DWORD
	v_mov_b32_e32 v24, 0
	v_mov_b32_e32 v22, 0
	s_mov_b32 s17, exec_lo
	v_cmpx_ne_u16_e32 0, v5
	s_cbranch_execz .LBB230_983
; %bb.976:                              ;   in Loop: Header=BB230_550 Depth=1
	v_bfrev_b32_e32 v21, 1
	v_mov_b32_e32 v22, 0
	s_mov_b32 s18, exec_lo
	v_cmpx_ne_u16_e32 0x80, v5
	s_cbranch_execz .LBB230_982
; %bb.977:                              ;   in Loop: Header=BB230_550 Depth=1
	v_mov_b32_e32 v21, 0x7f800001
	v_bfe_u32 v9, v105, 16, 7
	v_mov_b32_e32 v22, 0
	s_mov_b32 s21, exec_lo
	v_cmpx_ne_u32_e32 0x7f, v9
	s_cbranch_execz .LBB230_981
; %bb.978:                              ;   in Loop: Header=BB230_550 Depth=1
	v_and_b32_sdwa v5, v105, v48 dst_sel:DWORD dst_unused:UNUSED_PAD src0_sel:WORD_1 src1_sel:DWORD
	v_lshrrev_b32_e32 v7, 3, v9
	s_mov_b32 s22, exec_lo
	v_cmpx_gt_u32_e32 8, v9
; %bb.979:                              ;   in Loop: Header=BB230_550 Depth=1
	v_ffbh_u32_e32 v7, v5
	v_min_u32_e32 v7, 32, v7
	v_subrev_nc_u32_e32 v9, 28, v7
	v_sub_nc_u32_e32 v7, 29, v7
	v_lshlrev_b64 v[21:22], v9, v[5:6]
	v_and_b32_e32 v5, 7, v21
; %bb.980:                              ;   in Loop: Header=BB230_550 Depth=1
	s_or_b32 exec_lo, exec_lo, s22
	v_lshlrev_b32_sdwa v9, v49, v105 dst_sel:DWORD dst_unused:UNUSED_PAD src0_sel:DWORD src1_sel:WORD_1
	v_lshlrev_b32_e32 v5, 20, v5
	v_lshl_add_u32 v7, v7, 23, 0x3c000000
	v_and_b32_e32 v9, 0x80000000, v9
	v_or3_b32 v5, v5, v9, v7
	v_mov_b32_e32 v22, v6
	v_mov_b32_e32 v21, v5
.LBB230_981:                            ;   in Loop: Header=BB230_550 Depth=1
	s_or_b32 exec_lo, exec_lo, s21
.LBB230_982:                            ;   in Loop: Header=BB230_550 Depth=1
	s_or_b32 exec_lo, exec_lo, s18
.LBB230_983:                            ;   in Loop: Header=BB230_550 Depth=1
	s_or_b32 exec_lo, exec_lo, s17
	s_mov_b32 s17, exec_lo
	v_cmpx_lt_u32_e32 0xffffff, v105
	s_cbranch_execz .LBB230_991
; %bb.984:                              ;   in Loop: Header=BB230_550 Depth=1
	v_mov_b32_e32 v7, v6
	v_mov_b32_e32 v24, v8
	v_cmp_ne_u32_sdwa s0, v105, v45 src0_sel:BYTE_3 src1_sel:DWORD
	v_mov_b32_e32 v23, v7
	s_and_saveexec_b32 s18, s0
	s_cbranch_execz .LBB230_990
; %bb.985:                              ;   in Loop: Header=BB230_550 Depth=1
	v_mov_b32_e32 v9, v6
	v_mov_b32_e32 v24, v10
	v_bfe_u32 v106, v105, 24, 7
	s_mov_b32 s21, exec_lo
	v_mov_b32_e32 v23, v9
	v_cmpx_ne_u32_e32 0x7f, v106
	s_cbranch_execz .LBB230_989
; %bb.986:                              ;   in Loop: Header=BB230_550 Depth=1
	v_and_b32_sdwa v5, v105, v48 dst_sel:DWORD dst_unused:UNUSED_PAD src0_sel:BYTE_3 src1_sel:DWORD
	v_lshrrev_b32_e32 v7, 3, v106
	s_mov_b32 s22, exec_lo
	v_cmpx_gt_u32_e32 8, v106
; %bb.987:                              ;   in Loop: Header=BB230_550 Depth=1
	v_ffbh_u32_e32 v7, v5
	v_min_u32_e32 v7, 32, v7
	v_subrev_nc_u32_e32 v9, 28, v7
	v_sub_nc_u32_e32 v7, 29, v7
	v_lshlrev_b64 v[23:24], v9, v[5:6]
	v_and_b32_e32 v5, 7, v23
; %bb.988:                              ;   in Loop: Header=BB230_550 Depth=1
	s_or_b32 exec_lo, exec_lo, s22
	v_lshlrev_b32_sdwa v9, v49, v105 dst_sel:DWORD dst_unused:UNUSED_PAD src0_sel:DWORD src1_sel:BYTE_3
	v_lshlrev_b32_e32 v5, 20, v5
	v_lshl_add_u32 v7, v7, 23, 0x3c000000
	v_mov_b32_e32 v23, v6
	v_and_b32_e32 v9, 0x80000000, v9
	v_or3_b32 v24, v5, v9, v7
.LBB230_989:                            ;   in Loop: Header=BB230_550 Depth=1
	s_or_b32 exec_lo, exec_lo, s21
.LBB230_990:                            ;   in Loop: Header=BB230_550 Depth=1
	s_or_b32 exec_lo, exec_lo, s18
.LBB230_991:                            ;   in Loop: Header=BB230_550 Depth=1
	s_or_b32 exec_lo, exec_lo, s17
	v_or_b32_e32 v5, v20, v18
	v_or_b32_e32 v7, v19, v17
	;; [unrolled: 1-line block ×4, first 2 shown]
	v_mul_f32_e32 v107, s13, v5
	v_mul_f32_e32 v108, s12, v7
	;; [unrolled: 1-line block ×4, first 2 shown]
	s_and_saveexec_b32 s17, vcc_lo
	s_cbranch_execz .LBB230_993
; %bb.992:                              ;   in Loop: Header=BB230_550 Depth=1
	v_cmp_gt_i32_e64 s0, s31, v56
	v_cndmask_b32_e64 v108, 0, v108, s0
	v_cmp_gt_i32_e64 s0, s31, v59
	v_cndmask_b32_e64 v107, 0, v107, s0
	;; [unrolled: 2-line block ×4, first 2 shown]
.LBB230_993:                            ;   in Loop: Header=BB230_550 Depth=1
	s_or_b32 exec_lo, exec_lo, s17
	global_load_dword v109, v[15:16], off offset:1664
	v_mov_b32_e32 v19, 0
	v_mov_b32_e32 v17, 0
	;; [unrolled: 1-line block ×4, first 2 shown]
	s_waitcnt vmcnt(0)
	v_cmp_ne_u16_sdwa s0, v109, v6 src0_sel:BYTE_0 src1_sel:DWORD
	s_and_saveexec_b32 s17, s0
	s_cbranch_execz .LBB230_1001
; %bb.994:                              ;   in Loop: Header=BB230_550 Depth=1
	v_bfrev_b32_e32 v17, 1
	v_mov_b32_e32 v18, 0
	v_cmp_ne_u16_sdwa s0, v109, v45 src0_sel:BYTE_0 src1_sel:DWORD
	s_and_saveexec_b32 s18, s0
	s_cbranch_execz .LBB230_1000
; %bb.995:                              ;   in Loop: Header=BB230_550 Depth=1
	v_mov_b32_e32 v17, 0x7f800001
	v_and_b32_e32 v9, 0x7f, v109
	v_mov_b32_e32 v18, 0
	s_mov_b32 s21, exec_lo
	v_cmpx_ne_u32_e32 0x7f, v9
	s_cbranch_execz .LBB230_999
; %bb.996:                              ;   in Loop: Header=BB230_550 Depth=1
	v_and_b32_e32 v5, 7, v109
	v_lshrrev_b32_e32 v7, 3, v9
	s_mov_b32 s22, exec_lo
	v_cmpx_gt_u32_e32 8, v9
; %bb.997:                              ;   in Loop: Header=BB230_550 Depth=1
	v_ffbh_u32_e32 v7, v5
	v_min_u32_e32 v7, 32, v7
	v_subrev_nc_u32_e32 v9, 28, v7
	v_sub_nc_u32_e32 v7, 29, v7
	v_lshlrev_b64 v[17:18], v9, v[5:6]
	v_and_b32_e32 v5, 7, v17
; %bb.998:                              ;   in Loop: Header=BB230_550 Depth=1
	s_or_b32 exec_lo, exec_lo, s22
	v_lshlrev_b32_e32 v9, 24, v109
	v_lshlrev_b32_e32 v5, 20, v5
	v_lshl_add_u32 v7, v7, 23, 0x3c000000
	v_and_b32_e32 v9, 0x80000000, v9
	v_or3_b32 v5, v5, v9, v7
	v_mov_b32_e32 v18, v6
	v_mov_b32_e32 v17, v5
.LBB230_999:                            ;   in Loop: Header=BB230_550 Depth=1
	s_or_b32 exec_lo, exec_lo, s21
.LBB230_1000:                           ;   in Loop: Header=BB230_550 Depth=1
	s_or_b32 exec_lo, exec_lo, s18
.LBB230_1001:                           ;   in Loop: Header=BB230_550 Depth=1
	s_or_b32 exec_lo, exec_lo, s17
	v_cmp_ne_u16_sdwa s0, v109, v6 src0_sel:BYTE_1 src1_sel:DWORD
	s_and_saveexec_b32 s17, s0
	s_cbranch_execz .LBB230_1009
; %bb.1002:                             ;   in Loop: Header=BB230_550 Depth=1
	v_mov_b32_e32 v7, v6
	v_mov_b32_e32 v20, v8
	v_cmp_ne_u16_sdwa s0, v109, v45 src0_sel:BYTE_1 src1_sel:DWORD
	v_mov_b32_e32 v19, v7
	s_and_saveexec_b32 s18, s0
	s_cbranch_execz .LBB230_1008
; %bb.1003:                             ;   in Loop: Header=BB230_550 Depth=1
	v_and_b32_sdwa v5, v46, v109 dst_sel:DWORD dst_unused:UNUSED_PAD src0_sel:DWORD src1_sel:BYTE_1
	v_mov_b32_e32 v9, v6
	v_mov_b32_e32 v20, v10
	s_mov_b32 s21, exec_lo
	v_and_b32_e32 v21, 0x7f, v5
	v_mov_b32_e32 v19, v9
	v_cmpx_ne_u32_e32 0x7f, v21
	s_cbranch_execz .LBB230_1007
; %bb.1004:                             ;   in Loop: Header=BB230_550 Depth=1
	v_and_b32_e32 v5, 7, v5
	v_lshrrev_b32_e32 v7, 3, v21
	s_mov_b32 s22, exec_lo
	v_cmpx_gt_u32_e32 8, v21
; %bb.1005:                             ;   in Loop: Header=BB230_550 Depth=1
	v_ffbh_u32_e32 v7, v5
	v_min_u32_e32 v7, 32, v7
	v_subrev_nc_u32_e32 v9, 28, v7
	v_sub_nc_u32_e32 v7, 29, v7
	v_lshlrev_b64 v[19:20], v9, v[5:6]
	v_and_b32_e32 v5, 7, v19
; %bb.1006:                             ;   in Loop: Header=BB230_550 Depth=1
	s_or_b32 exec_lo, exec_lo, s22
	v_lshlrev_b32_e32 v9, 16, v109
	v_lshlrev_b32_e32 v5, 20, v5
	v_lshl_add_u32 v7, v7, 23, 0x3c000000
	v_mov_b32_e32 v19, v6
	v_and_b32_e32 v9, 0x80000000, v9
	v_or3_b32 v20, v5, v9, v7
.LBB230_1007:                           ;   in Loop: Header=BB230_550 Depth=1
	s_or_b32 exec_lo, exec_lo, s21
.LBB230_1008:                           ;   in Loop: Header=BB230_550 Depth=1
	s_or_b32 exec_lo, exec_lo, s18
.LBB230_1009:                           ;   in Loop: Header=BB230_550 Depth=1
	s_or_b32 exec_lo, exec_lo, s17
	v_mov_b32_e32 v23, 0
	v_mov_b32_e32 v21, 0
	v_and_b32_sdwa v5, v109, v47 dst_sel:DWORD dst_unused:UNUSED_PAD src0_sel:WORD_1 src1_sel:DWORD
	v_mov_b32_e32 v24, 0
	v_mov_b32_e32 v22, 0
	s_mov_b32 s17, exec_lo
	v_cmpx_ne_u16_e32 0, v5
	s_cbranch_execz .LBB230_1017
; %bb.1010:                             ;   in Loop: Header=BB230_550 Depth=1
	v_bfrev_b32_e32 v21, 1
	v_mov_b32_e32 v22, 0
	s_mov_b32 s18, exec_lo
	v_cmpx_ne_u16_e32 0x80, v5
	s_cbranch_execz .LBB230_1016
; %bb.1011:                             ;   in Loop: Header=BB230_550 Depth=1
	v_mov_b32_e32 v21, 0x7f800001
	v_bfe_u32 v9, v109, 16, 7
	v_mov_b32_e32 v22, 0
	s_mov_b32 s21, exec_lo
	v_cmpx_ne_u32_e32 0x7f, v9
	s_cbranch_execz .LBB230_1015
; %bb.1012:                             ;   in Loop: Header=BB230_550 Depth=1
	v_and_b32_sdwa v5, v109, v48 dst_sel:DWORD dst_unused:UNUSED_PAD src0_sel:WORD_1 src1_sel:DWORD
	v_lshrrev_b32_e32 v7, 3, v9
	s_mov_b32 s22, exec_lo
	v_cmpx_gt_u32_e32 8, v9
; %bb.1013:                             ;   in Loop: Header=BB230_550 Depth=1
	v_ffbh_u32_e32 v7, v5
	v_min_u32_e32 v7, 32, v7
	v_subrev_nc_u32_e32 v9, 28, v7
	v_sub_nc_u32_e32 v7, 29, v7
	v_lshlrev_b64 v[21:22], v9, v[5:6]
	v_and_b32_e32 v5, 7, v21
; %bb.1014:                             ;   in Loop: Header=BB230_550 Depth=1
	s_or_b32 exec_lo, exec_lo, s22
	v_lshlrev_b32_sdwa v9, v49, v109 dst_sel:DWORD dst_unused:UNUSED_PAD src0_sel:DWORD src1_sel:WORD_1
	v_lshlrev_b32_e32 v5, 20, v5
	v_lshl_add_u32 v7, v7, 23, 0x3c000000
	v_and_b32_e32 v9, 0x80000000, v9
	v_or3_b32 v5, v5, v9, v7
	v_mov_b32_e32 v22, v6
	v_mov_b32_e32 v21, v5
.LBB230_1015:                           ;   in Loop: Header=BB230_550 Depth=1
	s_or_b32 exec_lo, exec_lo, s21
.LBB230_1016:                           ;   in Loop: Header=BB230_550 Depth=1
	s_or_b32 exec_lo, exec_lo, s18
.LBB230_1017:                           ;   in Loop: Header=BB230_550 Depth=1
	s_or_b32 exec_lo, exec_lo, s17
	s_mov_b32 s17, exec_lo
	v_cmpx_lt_u32_e32 0xffffff, v109
	s_cbranch_execz .LBB230_1025
; %bb.1018:                             ;   in Loop: Header=BB230_550 Depth=1
	v_mov_b32_e32 v7, v6
	v_mov_b32_e32 v24, v8
	v_cmp_ne_u32_sdwa s0, v109, v45 src0_sel:BYTE_3 src1_sel:DWORD
	v_mov_b32_e32 v23, v7
	s_and_saveexec_b32 s18, s0
	s_cbranch_execz .LBB230_1024
; %bb.1019:                             ;   in Loop: Header=BB230_550 Depth=1
	v_mov_b32_e32 v9, v6
	v_mov_b32_e32 v24, v10
	v_bfe_u32 v110, v109, 24, 7
	s_mov_b32 s21, exec_lo
	v_mov_b32_e32 v23, v9
	v_cmpx_ne_u32_e32 0x7f, v110
	s_cbranch_execz .LBB230_1023
; %bb.1020:                             ;   in Loop: Header=BB230_550 Depth=1
	v_and_b32_sdwa v5, v109, v48 dst_sel:DWORD dst_unused:UNUSED_PAD src0_sel:BYTE_3 src1_sel:DWORD
	v_lshrrev_b32_e32 v7, 3, v110
	s_mov_b32 s22, exec_lo
	v_cmpx_gt_u32_e32 8, v110
; %bb.1021:                             ;   in Loop: Header=BB230_550 Depth=1
	v_ffbh_u32_e32 v7, v5
	v_min_u32_e32 v7, 32, v7
	v_subrev_nc_u32_e32 v9, 28, v7
	v_sub_nc_u32_e32 v7, 29, v7
	v_lshlrev_b64 v[23:24], v9, v[5:6]
	v_and_b32_e32 v5, 7, v23
; %bb.1022:                             ;   in Loop: Header=BB230_550 Depth=1
	s_or_b32 exec_lo, exec_lo, s22
	v_lshlrev_b32_sdwa v9, v49, v109 dst_sel:DWORD dst_unused:UNUSED_PAD src0_sel:DWORD src1_sel:BYTE_3
	v_lshlrev_b32_e32 v5, 20, v5
	v_lshl_add_u32 v7, v7, 23, 0x3c000000
	v_mov_b32_e32 v23, v6
	v_and_b32_e32 v9, 0x80000000, v9
	v_or3_b32 v24, v5, v9, v7
.LBB230_1023:                           ;   in Loop: Header=BB230_550 Depth=1
	s_or_b32 exec_lo, exec_lo, s21
.LBB230_1024:                           ;   in Loop: Header=BB230_550 Depth=1
	s_or_b32 exec_lo, exec_lo, s18
.LBB230_1025:                           ;   in Loop: Header=BB230_550 Depth=1
	s_or_b32 exec_lo, exec_lo, s17
	v_or_b32_e32 v5, v20, v18
	v_or_b32_e32 v7, v19, v17
	;; [unrolled: 1-line block ×4, first 2 shown]
	v_mul_f32_e32 v111, s13, v5
	v_mul_f32_e32 v112, s12, v7
	;; [unrolled: 1-line block ×4, first 2 shown]
	s_and_saveexec_b32 s17, vcc_lo
	s_cbranch_execz .LBB230_1027
; %bb.1026:                             ;   in Loop: Header=BB230_550 Depth=1
	v_cmp_gt_i32_e64 s0, s31, v56
	v_cndmask_b32_e64 v112, 0, v112, s0
	v_cmp_gt_i32_e64 s0, s31, v59
	v_cndmask_b32_e64 v111, 0, v111, s0
	v_cmp_gt_i32_e64 s0, s31, v58
	v_cndmask_b32_e64 v110, 0, v110, s0
	v_cmp_gt_i32_e64 s0, s31, v57
	v_cndmask_b32_e64 v109, 0, v109, s0
.LBB230_1027:                           ;   in Loop: Header=BB230_550 Depth=1
	s_or_b32 exec_lo, exec_lo, s17
	global_load_dword v113, v[15:16], off offset:1792
	v_mov_b32_e32 v19, 0
	v_mov_b32_e32 v17, 0
	;; [unrolled: 1-line block ×4, first 2 shown]
	s_waitcnt vmcnt(0)
	v_cmp_ne_u16_sdwa s0, v113, v6 src0_sel:BYTE_0 src1_sel:DWORD
	s_and_saveexec_b32 s17, s0
	s_cbranch_execz .LBB230_1035
; %bb.1028:                             ;   in Loop: Header=BB230_550 Depth=1
	v_bfrev_b32_e32 v17, 1
	v_mov_b32_e32 v18, 0
	v_cmp_ne_u16_sdwa s0, v113, v45 src0_sel:BYTE_0 src1_sel:DWORD
	s_and_saveexec_b32 s18, s0
	s_cbranch_execz .LBB230_1034
; %bb.1029:                             ;   in Loop: Header=BB230_550 Depth=1
	v_mov_b32_e32 v17, 0x7f800001
	v_and_b32_e32 v9, 0x7f, v113
	v_mov_b32_e32 v18, 0
	s_mov_b32 s21, exec_lo
	v_cmpx_ne_u32_e32 0x7f, v9
	s_cbranch_execz .LBB230_1033
; %bb.1030:                             ;   in Loop: Header=BB230_550 Depth=1
	v_and_b32_e32 v5, 7, v113
	v_lshrrev_b32_e32 v7, 3, v9
	s_mov_b32 s22, exec_lo
	v_cmpx_gt_u32_e32 8, v9
; %bb.1031:                             ;   in Loop: Header=BB230_550 Depth=1
	v_ffbh_u32_e32 v7, v5
	v_min_u32_e32 v7, 32, v7
	v_subrev_nc_u32_e32 v9, 28, v7
	v_sub_nc_u32_e32 v7, 29, v7
	v_lshlrev_b64 v[17:18], v9, v[5:6]
	v_and_b32_e32 v5, 7, v17
; %bb.1032:                             ;   in Loop: Header=BB230_550 Depth=1
	s_or_b32 exec_lo, exec_lo, s22
	v_lshlrev_b32_e32 v9, 24, v113
	v_lshlrev_b32_e32 v5, 20, v5
	v_lshl_add_u32 v7, v7, 23, 0x3c000000
	v_and_b32_e32 v9, 0x80000000, v9
	v_or3_b32 v5, v5, v9, v7
	v_mov_b32_e32 v18, v6
	v_mov_b32_e32 v17, v5
.LBB230_1033:                           ;   in Loop: Header=BB230_550 Depth=1
	s_or_b32 exec_lo, exec_lo, s21
.LBB230_1034:                           ;   in Loop: Header=BB230_550 Depth=1
	s_or_b32 exec_lo, exec_lo, s18
.LBB230_1035:                           ;   in Loop: Header=BB230_550 Depth=1
	s_or_b32 exec_lo, exec_lo, s17
	v_cmp_ne_u16_sdwa s0, v113, v6 src0_sel:BYTE_1 src1_sel:DWORD
	s_and_saveexec_b32 s17, s0
	s_cbranch_execz .LBB230_1043
; %bb.1036:                             ;   in Loop: Header=BB230_550 Depth=1
	v_mov_b32_e32 v7, v6
	v_mov_b32_e32 v20, v8
	v_cmp_ne_u16_sdwa s0, v113, v45 src0_sel:BYTE_1 src1_sel:DWORD
	v_mov_b32_e32 v19, v7
	s_and_saveexec_b32 s18, s0
	s_cbranch_execz .LBB230_1042
; %bb.1037:                             ;   in Loop: Header=BB230_550 Depth=1
	v_and_b32_sdwa v5, v46, v113 dst_sel:DWORD dst_unused:UNUSED_PAD src0_sel:DWORD src1_sel:BYTE_1
	v_mov_b32_e32 v9, v6
	v_mov_b32_e32 v20, v10
	s_mov_b32 s21, exec_lo
	v_and_b32_e32 v21, 0x7f, v5
	v_mov_b32_e32 v19, v9
	v_cmpx_ne_u32_e32 0x7f, v21
	s_cbranch_execz .LBB230_1041
; %bb.1038:                             ;   in Loop: Header=BB230_550 Depth=1
	v_and_b32_e32 v5, 7, v5
	v_lshrrev_b32_e32 v7, 3, v21
	s_mov_b32 s22, exec_lo
	v_cmpx_gt_u32_e32 8, v21
; %bb.1039:                             ;   in Loop: Header=BB230_550 Depth=1
	v_ffbh_u32_e32 v7, v5
	v_min_u32_e32 v7, 32, v7
	v_subrev_nc_u32_e32 v9, 28, v7
	v_sub_nc_u32_e32 v7, 29, v7
	v_lshlrev_b64 v[19:20], v9, v[5:6]
	v_and_b32_e32 v5, 7, v19
; %bb.1040:                             ;   in Loop: Header=BB230_550 Depth=1
	s_or_b32 exec_lo, exec_lo, s22
	v_lshlrev_b32_e32 v9, 16, v113
	v_lshlrev_b32_e32 v5, 20, v5
	v_lshl_add_u32 v7, v7, 23, 0x3c000000
	v_mov_b32_e32 v19, v6
	v_and_b32_e32 v9, 0x80000000, v9
	v_or3_b32 v20, v5, v9, v7
.LBB230_1041:                           ;   in Loop: Header=BB230_550 Depth=1
	s_or_b32 exec_lo, exec_lo, s21
.LBB230_1042:                           ;   in Loop: Header=BB230_550 Depth=1
	s_or_b32 exec_lo, exec_lo, s18
.LBB230_1043:                           ;   in Loop: Header=BB230_550 Depth=1
	s_or_b32 exec_lo, exec_lo, s17
	v_mov_b32_e32 v23, 0
	v_mov_b32_e32 v21, 0
	v_and_b32_sdwa v5, v113, v47 dst_sel:DWORD dst_unused:UNUSED_PAD src0_sel:WORD_1 src1_sel:DWORD
	v_mov_b32_e32 v24, 0
	v_mov_b32_e32 v22, 0
	s_mov_b32 s17, exec_lo
	v_cmpx_ne_u16_e32 0, v5
	s_cbranch_execz .LBB230_1051
; %bb.1044:                             ;   in Loop: Header=BB230_550 Depth=1
	v_bfrev_b32_e32 v21, 1
	v_mov_b32_e32 v22, 0
	s_mov_b32 s18, exec_lo
	v_cmpx_ne_u16_e32 0x80, v5
	s_cbranch_execz .LBB230_1050
; %bb.1045:                             ;   in Loop: Header=BB230_550 Depth=1
	v_mov_b32_e32 v21, 0x7f800001
	v_bfe_u32 v9, v113, 16, 7
	v_mov_b32_e32 v22, 0
	s_mov_b32 s21, exec_lo
	v_cmpx_ne_u32_e32 0x7f, v9
	s_cbranch_execz .LBB230_1049
; %bb.1046:                             ;   in Loop: Header=BB230_550 Depth=1
	v_and_b32_sdwa v5, v113, v48 dst_sel:DWORD dst_unused:UNUSED_PAD src0_sel:WORD_1 src1_sel:DWORD
	v_lshrrev_b32_e32 v7, 3, v9
	s_mov_b32 s22, exec_lo
	v_cmpx_gt_u32_e32 8, v9
; %bb.1047:                             ;   in Loop: Header=BB230_550 Depth=1
	v_ffbh_u32_e32 v7, v5
	v_min_u32_e32 v7, 32, v7
	v_subrev_nc_u32_e32 v9, 28, v7
	v_sub_nc_u32_e32 v7, 29, v7
	v_lshlrev_b64 v[21:22], v9, v[5:6]
	v_and_b32_e32 v5, 7, v21
; %bb.1048:                             ;   in Loop: Header=BB230_550 Depth=1
	s_or_b32 exec_lo, exec_lo, s22
	v_lshlrev_b32_sdwa v9, v49, v113 dst_sel:DWORD dst_unused:UNUSED_PAD src0_sel:DWORD src1_sel:WORD_1
	v_lshlrev_b32_e32 v5, 20, v5
	v_lshl_add_u32 v7, v7, 23, 0x3c000000
	v_and_b32_e32 v9, 0x80000000, v9
	v_or3_b32 v5, v5, v9, v7
	v_mov_b32_e32 v22, v6
	v_mov_b32_e32 v21, v5
.LBB230_1049:                           ;   in Loop: Header=BB230_550 Depth=1
	s_or_b32 exec_lo, exec_lo, s21
.LBB230_1050:                           ;   in Loop: Header=BB230_550 Depth=1
	s_or_b32 exec_lo, exec_lo, s18
.LBB230_1051:                           ;   in Loop: Header=BB230_550 Depth=1
	s_or_b32 exec_lo, exec_lo, s17
	s_mov_b32 s17, exec_lo
	v_cmpx_lt_u32_e32 0xffffff, v113
	s_cbranch_execz .LBB230_1059
; %bb.1052:                             ;   in Loop: Header=BB230_550 Depth=1
	v_mov_b32_e32 v7, v6
	v_mov_b32_e32 v24, v8
	v_cmp_ne_u32_sdwa s0, v113, v45 src0_sel:BYTE_3 src1_sel:DWORD
	v_mov_b32_e32 v23, v7
	s_and_saveexec_b32 s18, s0
	s_cbranch_execz .LBB230_1058
; %bb.1053:                             ;   in Loop: Header=BB230_550 Depth=1
	v_mov_b32_e32 v9, v6
	v_mov_b32_e32 v24, v10
	v_bfe_u32 v114, v113, 24, 7
	s_mov_b32 s21, exec_lo
	v_mov_b32_e32 v23, v9
	v_cmpx_ne_u32_e32 0x7f, v114
	s_cbranch_execz .LBB230_1057
; %bb.1054:                             ;   in Loop: Header=BB230_550 Depth=1
	v_and_b32_sdwa v5, v113, v48 dst_sel:DWORD dst_unused:UNUSED_PAD src0_sel:BYTE_3 src1_sel:DWORD
	v_lshrrev_b32_e32 v7, 3, v114
	s_mov_b32 s22, exec_lo
	v_cmpx_gt_u32_e32 8, v114
; %bb.1055:                             ;   in Loop: Header=BB230_550 Depth=1
	v_ffbh_u32_e32 v7, v5
	v_min_u32_e32 v7, 32, v7
	v_subrev_nc_u32_e32 v9, 28, v7
	v_sub_nc_u32_e32 v7, 29, v7
	v_lshlrev_b64 v[23:24], v9, v[5:6]
	v_and_b32_e32 v5, 7, v23
; %bb.1056:                             ;   in Loop: Header=BB230_550 Depth=1
	s_or_b32 exec_lo, exec_lo, s22
	v_lshlrev_b32_sdwa v9, v49, v113 dst_sel:DWORD dst_unused:UNUSED_PAD src0_sel:DWORD src1_sel:BYTE_3
	v_lshlrev_b32_e32 v5, 20, v5
	v_lshl_add_u32 v7, v7, 23, 0x3c000000
	v_mov_b32_e32 v23, v6
	v_and_b32_e32 v9, 0x80000000, v9
	v_or3_b32 v24, v5, v9, v7
.LBB230_1057:                           ;   in Loop: Header=BB230_550 Depth=1
	s_or_b32 exec_lo, exec_lo, s21
.LBB230_1058:                           ;   in Loop: Header=BB230_550 Depth=1
	s_or_b32 exec_lo, exec_lo, s18
.LBB230_1059:                           ;   in Loop: Header=BB230_550 Depth=1
	s_or_b32 exec_lo, exec_lo, s17
	v_or_b32_e32 v5, v20, v18
	v_or_b32_e32 v7, v19, v17
	v_or_b32_e32 v9, v23, v21
	v_or_b32_e32 v17, v24, v22
	v_mul_f32_e32 v113, s13, v5
	v_mul_f32_e32 v114, s12, v7
	;; [unrolled: 1-line block ×4, first 2 shown]
	s_and_saveexec_b32 s17, vcc_lo
	s_cbranch_execz .LBB230_1061
; %bb.1060:                             ;   in Loop: Header=BB230_550 Depth=1
	v_cmp_gt_i32_e64 s0, s31, v56
	v_cndmask_b32_e64 v114, 0, v114, s0
	v_cmp_gt_i32_e64 s0, s31, v59
	v_cndmask_b32_e64 v113, 0, v113, s0
	;; [unrolled: 2-line block ×4, first 2 shown]
.LBB230_1061:                           ;   in Loop: Header=BB230_550 Depth=1
	s_or_b32 exec_lo, exec_lo, s17
	global_load_dword v115, v[15:16], off offset:1920
	v_mov_b32_e32 v17, 0
	v_mov_b32_e32 v15, 0
	;; [unrolled: 1-line block ×4, first 2 shown]
	s_waitcnt vmcnt(0)
	v_cmp_ne_u16_sdwa s0, v115, v6 src0_sel:BYTE_0 src1_sel:DWORD
	s_and_saveexec_b32 s17, s0
	s_cbranch_execz .LBB230_1069
; %bb.1062:                             ;   in Loop: Header=BB230_550 Depth=1
	v_bfrev_b32_e32 v15, 1
	v_mov_b32_e32 v16, 0
	v_cmp_ne_u16_sdwa s0, v115, v45 src0_sel:BYTE_0 src1_sel:DWORD
	s_and_saveexec_b32 s18, s0
	s_cbranch_execz .LBB230_1068
; %bb.1063:                             ;   in Loop: Header=BB230_550 Depth=1
	v_mov_b32_e32 v15, 0x7f800001
	v_and_b32_e32 v9, 0x7f, v115
	v_mov_b32_e32 v16, 0
	s_mov_b32 s21, exec_lo
	v_cmpx_ne_u32_e32 0x7f, v9
	s_cbranch_execz .LBB230_1067
; %bb.1064:                             ;   in Loop: Header=BB230_550 Depth=1
	v_and_b32_e32 v5, 7, v115
	v_lshrrev_b32_e32 v7, 3, v9
	s_mov_b32 s22, exec_lo
	v_cmpx_gt_u32_e32 8, v9
; %bb.1065:                             ;   in Loop: Header=BB230_550 Depth=1
	v_ffbh_u32_e32 v7, v5
	v_min_u32_e32 v7, 32, v7
	v_subrev_nc_u32_e32 v9, 28, v7
	v_sub_nc_u32_e32 v7, 29, v7
	v_lshlrev_b64 v[15:16], v9, v[5:6]
	v_and_b32_e32 v5, 7, v15
; %bb.1066:                             ;   in Loop: Header=BB230_550 Depth=1
	s_or_b32 exec_lo, exec_lo, s22
	v_lshlrev_b32_e32 v9, 24, v115
	v_lshlrev_b32_e32 v5, 20, v5
	v_lshl_add_u32 v7, v7, 23, 0x3c000000
	v_and_b32_e32 v9, 0x80000000, v9
	v_or3_b32 v5, v5, v9, v7
	v_mov_b32_e32 v16, v6
	v_mov_b32_e32 v15, v5
.LBB230_1067:                           ;   in Loop: Header=BB230_550 Depth=1
	s_or_b32 exec_lo, exec_lo, s21
.LBB230_1068:                           ;   in Loop: Header=BB230_550 Depth=1
	s_or_b32 exec_lo, exec_lo, s18
.LBB230_1069:                           ;   in Loop: Header=BB230_550 Depth=1
	s_or_b32 exec_lo, exec_lo, s17
	v_cmp_ne_u16_sdwa s0, v115, v6 src0_sel:BYTE_1 src1_sel:DWORD
	s_and_saveexec_b32 s17, s0
	s_cbranch_execz .LBB230_1077
; %bb.1070:                             ;   in Loop: Header=BB230_550 Depth=1
	v_mov_b32_e32 v7, v6
	v_mov_b32_e32 v18, v8
	v_cmp_ne_u16_sdwa s0, v115, v45 src0_sel:BYTE_1 src1_sel:DWORD
	v_mov_b32_e32 v17, v7
	s_and_saveexec_b32 s18, s0
	s_cbranch_execz .LBB230_1076
; %bb.1071:                             ;   in Loop: Header=BB230_550 Depth=1
	v_and_b32_sdwa v5, v46, v115 dst_sel:DWORD dst_unused:UNUSED_PAD src0_sel:DWORD src1_sel:BYTE_1
	v_mov_b32_e32 v9, v6
	v_mov_b32_e32 v18, v10
	s_mov_b32 s21, exec_lo
	v_and_b32_e32 v19, 0x7f, v5
	v_mov_b32_e32 v17, v9
	v_cmpx_ne_u32_e32 0x7f, v19
	s_cbranch_execz .LBB230_1075
; %bb.1072:                             ;   in Loop: Header=BB230_550 Depth=1
	v_and_b32_e32 v5, 7, v5
	v_lshrrev_b32_e32 v7, 3, v19
	s_mov_b32 s22, exec_lo
	v_cmpx_gt_u32_e32 8, v19
; %bb.1073:                             ;   in Loop: Header=BB230_550 Depth=1
	v_ffbh_u32_e32 v7, v5
	v_min_u32_e32 v7, 32, v7
	v_subrev_nc_u32_e32 v9, 28, v7
	v_sub_nc_u32_e32 v7, 29, v7
	v_lshlrev_b64 v[17:18], v9, v[5:6]
	v_and_b32_e32 v5, 7, v17
; %bb.1074:                             ;   in Loop: Header=BB230_550 Depth=1
	s_or_b32 exec_lo, exec_lo, s22
	v_lshlrev_b32_e32 v9, 16, v115
	v_lshlrev_b32_e32 v5, 20, v5
	v_lshl_add_u32 v7, v7, 23, 0x3c000000
	v_mov_b32_e32 v17, v6
	v_and_b32_e32 v9, 0x80000000, v9
	v_or3_b32 v18, v5, v9, v7
.LBB230_1075:                           ;   in Loop: Header=BB230_550 Depth=1
	s_or_b32 exec_lo, exec_lo, s21
.LBB230_1076:                           ;   in Loop: Header=BB230_550 Depth=1
	s_or_b32 exec_lo, exec_lo, s18
.LBB230_1077:                           ;   in Loop: Header=BB230_550 Depth=1
	s_or_b32 exec_lo, exec_lo, s17
	v_mov_b32_e32 v21, 0
	v_mov_b32_e32 v19, 0
	v_and_b32_sdwa v5, v115, v47 dst_sel:DWORD dst_unused:UNUSED_PAD src0_sel:WORD_1 src1_sel:DWORD
	v_mov_b32_e32 v22, 0
	v_mov_b32_e32 v20, 0
	s_mov_b32 s17, exec_lo
	v_cmpx_ne_u16_e32 0, v5
	s_cbranch_execz .LBB230_1085
; %bb.1078:                             ;   in Loop: Header=BB230_550 Depth=1
	v_bfrev_b32_e32 v19, 1
	v_mov_b32_e32 v20, 0
	s_mov_b32 s18, exec_lo
	v_cmpx_ne_u16_e32 0x80, v5
	s_cbranch_execz .LBB230_1084
; %bb.1079:                             ;   in Loop: Header=BB230_550 Depth=1
	v_mov_b32_e32 v19, 0x7f800001
	v_bfe_u32 v9, v115, 16, 7
	v_mov_b32_e32 v20, 0
	s_mov_b32 s21, exec_lo
	v_cmpx_ne_u32_e32 0x7f, v9
	s_cbranch_execz .LBB230_1083
; %bb.1080:                             ;   in Loop: Header=BB230_550 Depth=1
	v_and_b32_sdwa v5, v115, v48 dst_sel:DWORD dst_unused:UNUSED_PAD src0_sel:WORD_1 src1_sel:DWORD
	v_lshrrev_b32_e32 v7, 3, v9
	s_mov_b32 s22, exec_lo
	v_cmpx_gt_u32_e32 8, v9
; %bb.1081:                             ;   in Loop: Header=BB230_550 Depth=1
	v_ffbh_u32_e32 v7, v5
	v_min_u32_e32 v7, 32, v7
	v_subrev_nc_u32_e32 v9, 28, v7
	v_sub_nc_u32_e32 v7, 29, v7
	v_lshlrev_b64 v[19:20], v9, v[5:6]
	v_and_b32_e32 v5, 7, v19
; %bb.1082:                             ;   in Loop: Header=BB230_550 Depth=1
	s_or_b32 exec_lo, exec_lo, s22
	v_lshlrev_b32_sdwa v9, v49, v115 dst_sel:DWORD dst_unused:UNUSED_PAD src0_sel:DWORD src1_sel:WORD_1
	v_lshlrev_b32_e32 v5, 20, v5
	v_lshl_add_u32 v7, v7, 23, 0x3c000000
	v_and_b32_e32 v9, 0x80000000, v9
	v_or3_b32 v5, v5, v9, v7
	v_mov_b32_e32 v20, v6
	v_mov_b32_e32 v19, v5
.LBB230_1083:                           ;   in Loop: Header=BB230_550 Depth=1
	s_or_b32 exec_lo, exec_lo, s21
.LBB230_1084:                           ;   in Loop: Header=BB230_550 Depth=1
	s_or_b32 exec_lo, exec_lo, s18
.LBB230_1085:                           ;   in Loop: Header=BB230_550 Depth=1
	s_or_b32 exec_lo, exec_lo, s17
	s_mov_b32 s17, exec_lo
	v_cmpx_lt_u32_e32 0xffffff, v115
	s_cbranch_execz .LBB230_1093
; %bb.1086:                             ;   in Loop: Header=BB230_550 Depth=1
	v_mov_b32_e32 v7, v6
	v_mov_b32_e32 v22, v8
	v_cmp_ne_u32_sdwa s0, v115, v45 src0_sel:BYTE_3 src1_sel:DWORD
	v_mov_b32_e32 v21, v7
	s_and_saveexec_b32 s18, s0
	s_cbranch_execz .LBB230_1092
; %bb.1087:                             ;   in Loop: Header=BB230_550 Depth=1
	v_mov_b32_e32 v9, v6
	v_mov_b32_e32 v22, v10
	v_bfe_u32 v116, v115, 24, 7
	s_mov_b32 s21, exec_lo
	v_mov_b32_e32 v21, v9
	v_cmpx_ne_u32_e32 0x7f, v116
	s_cbranch_execz .LBB230_1091
; %bb.1088:                             ;   in Loop: Header=BB230_550 Depth=1
	v_and_b32_sdwa v5, v115, v48 dst_sel:DWORD dst_unused:UNUSED_PAD src0_sel:BYTE_3 src1_sel:DWORD
	v_lshrrev_b32_e32 v7, 3, v116
	s_mov_b32 s22, exec_lo
	v_cmpx_gt_u32_e32 8, v116
; %bb.1089:                             ;   in Loop: Header=BB230_550 Depth=1
	v_ffbh_u32_e32 v7, v5
	v_min_u32_e32 v7, 32, v7
	v_subrev_nc_u32_e32 v9, 28, v7
	v_sub_nc_u32_e32 v7, 29, v7
	v_lshlrev_b64 v[21:22], v9, v[5:6]
	v_and_b32_e32 v5, 7, v21
; %bb.1090:                             ;   in Loop: Header=BB230_550 Depth=1
	s_or_b32 exec_lo, exec_lo, s22
	v_lshlrev_b32_sdwa v9, v49, v115 dst_sel:DWORD dst_unused:UNUSED_PAD src0_sel:DWORD src1_sel:BYTE_3
	v_lshlrev_b32_e32 v5, 20, v5
	v_lshl_add_u32 v7, v7, 23, 0x3c000000
	v_mov_b32_e32 v21, v6
	v_and_b32_e32 v9, 0x80000000, v9
	v_or3_b32 v22, v5, v9, v7
.LBB230_1091:                           ;   in Loop: Header=BB230_550 Depth=1
	s_or_b32 exec_lo, exec_lo, s21
.LBB230_1092:                           ;   in Loop: Header=BB230_550 Depth=1
	s_or_b32 exec_lo, exec_lo, s18
.LBB230_1093:                           ;   in Loop: Header=BB230_550 Depth=1
	s_or_b32 exec_lo, exec_lo, s17
	v_or_b32_e32 v5, v18, v16
	v_or_b32_e32 v7, v17, v15
	;; [unrolled: 1-line block ×4, first 2 shown]
	v_mul_f32_e32 v9, s13, v5
	v_mul_f32_e32 v15, s12, v7
	;; [unrolled: 1-line block ×4, first 2 shown]
	s_and_saveexec_b32 s0, vcc_lo
	s_cbranch_execz .LBB230_548
; %bb.1094:                             ;   in Loop: Header=BB230_550 Depth=1
	v_cmp_gt_i32_e32 vcc_lo, s31, v56
	v_cndmask_b32_e32 v15, 0, v15, vcc_lo
	v_cmp_gt_i32_e32 vcc_lo, s31, v59
	v_cndmask_b32_e32 v9, 0, v9, vcc_lo
	;; [unrolled: 2-line block ×4, first 2 shown]
	s_branch .LBB230_548
.LBB230_1095:
	s_or_b32 exec_lo, exec_lo, s5
.LBB230_1096:
	s_or_b32 exec_lo, exec_lo, s1
	ds_bpermute_b32 v0, v27, v43
	ds_bpermute_b32 v9, v27, v35
	;; [unrolled: 1-line block ×16, first 2 shown]
	s_mov_b32 s0, exec_lo
	s_waitcnt lgkmcnt(15)
	v_add_f32_e32 v0, v43, v0
	s_waitcnt lgkmcnt(14)
	v_add_f32_e32 v9, v35, v9
	;; [unrolled: 2-line block ×5, first 2 shown]
	ds_bpermute_b32 v16, v26, v0
	ds_bpermute_b32 v27, v26, v9
	s_waitcnt lgkmcnt(12)
	v_add_f32_e32 v2, v42, v2
	ds_bpermute_b32 v17, v26, v1
	ds_bpermute_b32 v24, v26, v8
	s_waitcnt lgkmcnt(12)
	v_add_f32_e32 v4, v40, v4
	s_waitcnt lgkmcnt(11)
	v_add_f32_e32 v5, v39, v5
	ds_bpermute_b32 v18, v26, v2
	v_add_f32_e32 v3, v41, v3
	s_waitcnt lgkmcnt(11)
	v_add_f32_e32 v6, v38, v6
	ds_bpermute_b32 v20, v26, v4
	ds_bpermute_b32 v21, v26, v5
	s_waitcnt lgkmcnt(12)
	v_add_f32_e32 v7, v37, v7
	s_waitcnt lgkmcnt(11)
	v_add_f32_e32 v10, v34, v10
	;; [unrolled: 2-line block ×6, first 2 shown]
	ds_bpermute_b32 v19, v26, v3
	ds_bpermute_b32 v22, v26, v6
	s_waitcnt lgkmcnt(8)
	v_add_f32_e32 v0, v0, v16
	ds_bpermute_b32 v16, v26, v12
	s_waitcnt lgkmcnt(8)
	v_add_f32_e32 v9, v9, v27
	s_waitcnt lgkmcnt(7)
	v_add_f32_e32 v1, v1, v17
	;; [unrolled: 2-line block ×3, first 2 shown]
	ds_bpermute_b32 v23, v26, v7
	ds_bpermute_b32 v30, v26, v10
	s_waitcnt lgkmcnt(7)
	v_add_f32_e32 v2, v2, v18
	ds_bpermute_b32 v18, v25, v1
	ds_bpermute_b32 v27, v25, v8
	;; [unrolled: 1-line block ×3, first 2 shown]
	s_waitcnt lgkmcnt(9)
	v_add_f32_e32 v4, v4, v20
	ds_bpermute_b32 v20, v26, v13
	s_waitcnt lgkmcnt(9)
	v_add_f32_e32 v5, v5, v21
	ds_bpermute_b32 v21, v26, v14
	ds_bpermute_b32 v26, v26, v15
	ds_bpermute_b32 v17, v25, v0
	s_waitcnt lgkmcnt(11)
	v_add_f32_e32 v3, v3, v19
	s_waitcnt lgkmcnt(10)
	v_add_f32_e32 v6, v6, v22
	ds_bpermute_b32 v19, v25, v2
	s_waitcnt lgkmcnt(10)
	v_add_f32_e32 v12, v12, v16
	ds_bpermute_b32 v16, v25, v9
	ds_bpermute_b32 v22, v25, v3
	;; [unrolled: 1-line block ×3, first 2 shown]
	s_waitcnt lgkmcnt(12)
	v_add_f32_e32 v7, v7, v23
	s_waitcnt lgkmcnt(11)
	v_add_f32_e32 v10, v10, v30
	ds_bpermute_b32 v23, v25, v4
	s_waitcnt lgkmcnt(11)
	v_add_f32_e32 v1, v1, v18
	s_waitcnt lgkmcnt(10)
	v_add_f32_e32 v8, v8, v27
	;; [unrolled: 2-line block ×3, first 2 shown]
	ds_bpermute_b32 v32, v25, v6
	s_waitcnt lgkmcnt(9)
	v_add_f32_e32 v13, v13, v20
	ds_bpermute_b32 v24, v25, v7
	s_waitcnt lgkmcnt(9)
	v_add_f32_e32 v14, v14, v21
	s_waitcnt lgkmcnt(8)
	v_add_f32_e32 v15, v15, v26
	ds_bpermute_b32 v30, v25, v10
	ds_bpermute_b32 v31, v25, v11
	ds_bpermute_b32 v20, v25, v12
	ds_bpermute_b32 v21, v25, v13
	s_clause 0x1
	buffer_load_dword v27, off, s[52:55], 0 offset:356
	buffer_load_dword v18, off, s[52:55], 0 offset:360
	s_waitcnt lgkmcnt(9)
	v_add_f32_e32 v9, v9, v16
	buffer_load_dword v16, off, s[52:55], 0 offset:84 ; 4-byte Folded Reload
	ds_bpermute_b32 v26, v25, v14
	ds_bpermute_b32 v25, v25, v15
	v_add_f32_e32 v0, v0, v17
	v_add_f32_e32 v2, v2, v19
	s_waitcnt lgkmcnt(10)
	v_add_f32_e32 v3, v3, v22
	s_waitcnt lgkmcnt(8)
	v_add_f32_e32 v4, v4, v23
	v_add_f32_e32 v5, v5, v29
	s_waitcnt lgkmcnt(7)
	v_add_f32_e32 v6, v6, v32
	s_waitcnt vmcnt(0) lgkmcnt(0)
	s_waitcnt_vscnt null, 0x0
	v_add_f32_e32 v7, v7, v24
	s_barrier
	buffer_gl0_inv
	v_add_f32_e32 v10, v10, v30
	v_add_f32_e32 v11, v11, v31
	;; [unrolled: 1-line block ×6, first 2 shown]
	v_and_b32_e32 v19, 0x3c7, v27
	v_lshlrev_b32_e32 v18, 8, v18
	v_lshrrev_b32_e32 v16, 3, v16
	v_lshl_add_u32 v17, v16, 2, 0x120
	v_cmpx_eq_u32_e32 64, v19
	s_cbranch_execz .LBB230_1098
; %bb.1097:
	v_add_nc_u32_e32 v19, v17, v18
	v_add_nc_u32_e32 v20, 0xfffffe00, v19
	;; [unrolled: 1-line block ×7, first 2 shown]
	ds_write_b32 v20, v0
	ds_write_b32 v21, v1
	;; [unrolled: 1-line block ×6, first 2 shown]
	v_add_nc_u32_e32 v20, 0xfffffe60, v19
	v_add_nc_u32_e32 v21, 0xfffffe70, v19
	v_add_nc_u32_e32 v22, 0xfffffe80, v19
	v_add_nc_u32_e32 v23, 0xfffffe90, v19
	v_add_nc_u32_e32 v24, 0xfffffea0, v19
	ds_write_b32 v20, v6
	ds_write_b32 v21, v7
	;; [unrolled: 1-line block ×5, first 2 shown]
	v_add_nc_u32_e32 v20, 0xfffffeb0, v19
	v_add_nc_u32_e32 v21, 0xfffffec0, v19
	;; [unrolled: 1-line block ×5, first 2 shown]
	ds_write_b32 v20, v11
	ds_write_b32 v21, v12
	ds_write_b32 v22, v13
	ds_write_b32 v23, v14
	ds_write_b32 v19, v15
.LBB230_1098:
	s_or_b32 exec_lo, exec_lo, s0
	v_lshlrev_b32_e32 v16, 2, v16
	s_mov_b32 s1, exec_lo
	v_cmp_eq_u32_e32 vcc_lo, 0, v28
	s_waitcnt lgkmcnt(0)
	s_barrier
	v_add3_u32 v16, 0x120, v18, v16
	buffer_gl0_inv
	v_cmpx_gt_u32_e32 64, v27
	s_cbranch_execz .LBB230_1117
; %bb.1099:
	s_and_saveexec_b32 s0, vcc_lo
	s_cbranch_execnz .LBB230_1141
; %bb.1100:
	s_or_b32 exec_lo, exec_lo, s0
	s_and_saveexec_b32 s0, vcc_lo
	s_cbranch_execnz .LBB230_1142
.LBB230_1101:
	s_or_b32 exec_lo, exec_lo, s0
	s_and_saveexec_b32 s0, vcc_lo
	s_cbranch_execnz .LBB230_1143
.LBB230_1102:
	s_or_b32 exec_lo, exec_lo, s0
	s_and_saveexec_b32 s0, vcc_lo
	s_cbranch_execnz .LBB230_1144
.LBB230_1103:
	s_or_b32 exec_lo, exec_lo, s0
	s_and_saveexec_b32 s0, vcc_lo
	s_cbranch_execnz .LBB230_1145
.LBB230_1104:
	s_or_b32 exec_lo, exec_lo, s0
	s_and_saveexec_b32 s0, vcc_lo
	s_cbranch_execnz .LBB230_1146
.LBB230_1105:
	s_or_b32 exec_lo, exec_lo, s0
	s_and_saveexec_b32 s0, vcc_lo
	s_cbranch_execnz .LBB230_1147
.LBB230_1106:
	s_or_b32 exec_lo, exec_lo, s0
	s_and_saveexec_b32 s0, vcc_lo
	s_cbranch_execnz .LBB230_1148
.LBB230_1107:
	s_or_b32 exec_lo, exec_lo, s0
	s_and_saveexec_b32 s0, vcc_lo
	s_cbranch_execnz .LBB230_1149
.LBB230_1108:
	s_or_b32 exec_lo, exec_lo, s0
	s_and_saveexec_b32 s0, vcc_lo
	s_cbranch_execnz .LBB230_1150
.LBB230_1109:
	s_or_b32 exec_lo, exec_lo, s0
	s_and_saveexec_b32 s0, vcc_lo
	s_cbranch_execnz .LBB230_1151
.LBB230_1110:
	s_or_b32 exec_lo, exec_lo, s0
	s_and_saveexec_b32 s0, vcc_lo
	s_cbranch_execnz .LBB230_1152
.LBB230_1111:
	s_or_b32 exec_lo, exec_lo, s0
	s_and_saveexec_b32 s0, vcc_lo
	s_cbranch_execnz .LBB230_1153
.LBB230_1112:
	s_or_b32 exec_lo, exec_lo, s0
	s_and_saveexec_b32 s0, vcc_lo
	s_cbranch_execnz .LBB230_1154
.LBB230_1113:
	s_or_b32 exec_lo, exec_lo, s0
	s_and_saveexec_b32 s0, vcc_lo
	s_cbranch_execnz .LBB230_1155
.LBB230_1114:
	s_or_b32 exec_lo, exec_lo, s0
	s_and_saveexec_b32 s0, vcc_lo
	s_cbranch_execz .LBB230_1116
.LBB230_1115:
	ds_read_b32 v18, v16 offset:240
	s_waitcnt lgkmcnt(0)
	v_add_f32_e32 v15, v15, v18
.LBB230_1116:
	s_or_b32 exec_lo, exec_lo, s0
.LBB230_1117:
	s_or_b32 exec_lo, exec_lo, s1
	v_and_b32_e32 v18, 0x3e7, v27
	s_mov_b32 s1, exec_lo
	s_barrier
	buffer_gl0_inv
	v_cmpx_eq_u32_e32 32, v18
	s_cbranch_execz .LBB230_1119
; %bb.1118:
	ds_write2_b32 v17, v0, v1 offset1:4
	ds_write2_b32 v17, v2, v3 offset0:8 offset1:12
	ds_write2_b32 v17, v4, v5 offset0:16 offset1:20
	;; [unrolled: 1-line block ×7, first 2 shown]
.LBB230_1119:
	s_or_b32 exec_lo, exec_lo, s1
	s_mov_b32 s1, exec_lo
	s_waitcnt lgkmcnt(0)
	s_barrier
	buffer_gl0_inv
	v_cmpx_gt_u32_e32 32, v27
	s_cbranch_execz .LBB230_1138
; %bb.1120:
	s_and_saveexec_b32 s0, vcc_lo
	s_cbranch_execnz .LBB230_1156
; %bb.1121:
	s_or_b32 exec_lo, exec_lo, s0
	s_and_saveexec_b32 s0, vcc_lo
	s_cbranch_execnz .LBB230_1157
.LBB230_1122:
	s_or_b32 exec_lo, exec_lo, s0
	s_and_saveexec_b32 s0, vcc_lo
	s_cbranch_execnz .LBB230_1158
.LBB230_1123:
	s_or_b32 exec_lo, exec_lo, s0
	s_and_saveexec_b32 s0, vcc_lo
	s_cbranch_execnz .LBB230_1159
.LBB230_1124:
	s_or_b32 exec_lo, exec_lo, s0
	s_and_saveexec_b32 s0, vcc_lo
	s_cbranch_execnz .LBB230_1160
.LBB230_1125:
	s_or_b32 exec_lo, exec_lo, s0
	s_and_saveexec_b32 s0, vcc_lo
	s_cbranch_execnz .LBB230_1161
.LBB230_1126:
	s_or_b32 exec_lo, exec_lo, s0
	s_and_saveexec_b32 s0, vcc_lo
	s_cbranch_execnz .LBB230_1162
.LBB230_1127:
	s_or_b32 exec_lo, exec_lo, s0
	s_and_saveexec_b32 s0, vcc_lo
	s_cbranch_execnz .LBB230_1163
.LBB230_1128:
	s_or_b32 exec_lo, exec_lo, s0
	s_and_saveexec_b32 s0, vcc_lo
	s_cbranch_execnz .LBB230_1164
.LBB230_1129:
	s_or_b32 exec_lo, exec_lo, s0
	s_and_saveexec_b32 s0, vcc_lo
	s_cbranch_execnz .LBB230_1165
.LBB230_1130:
	s_or_b32 exec_lo, exec_lo, s0
	s_and_saveexec_b32 s0, vcc_lo
	s_cbranch_execnz .LBB230_1166
.LBB230_1131:
	s_or_b32 exec_lo, exec_lo, s0
	s_and_saveexec_b32 s0, vcc_lo
	s_cbranch_execnz .LBB230_1167
.LBB230_1132:
	s_or_b32 exec_lo, exec_lo, s0
	s_and_saveexec_b32 s0, vcc_lo
	s_cbranch_execnz .LBB230_1168
.LBB230_1133:
	s_or_b32 exec_lo, exec_lo, s0
	s_and_saveexec_b32 s0, vcc_lo
	s_cbranch_execnz .LBB230_1169
.LBB230_1134:
	s_or_b32 exec_lo, exec_lo, s0
	s_and_saveexec_b32 s0, vcc_lo
	s_cbranch_execnz .LBB230_1170
.LBB230_1135:
	s_or_b32 exec_lo, exec_lo, s0
	s_and_saveexec_b32 s0, vcc_lo
	s_cbranch_execz .LBB230_1137
.LBB230_1136:
	ds_read_b32 v16, v16 offset:240
	s_waitcnt lgkmcnt(0)
	v_add_f32_e32 v15, v15, v16
.LBB230_1137:
	s_or_b32 exec_lo, exec_lo, s0
.LBB230_1138:
	s_or_b32 exec_lo, exec_lo, s1
	s_barrier
	buffer_gl0_inv
	s_mov_b32 s0, exec_lo
	v_cmpx_eq_u32_e32 0, v18
	s_cbranch_execz .LBB230_1140
; %bb.1139:
	s_lshl_b32 s0, s2, 6
	s_mul_i32 s2, s7, s10
	s_ashr_i32 s1, s0, 31
	v_lshrrev_b32_e32 v16, 1, v27
	s_lshl_b64 s[0:1], s[0:1], 2
	s_add_u32 s4, s28, s0
	s_addc_u32 s5, s29, s1
	s_ashr_i32 s3, s2, 31
	s_lshl_b64 s[0:1], s[2:3], 2
	s_add_u32 s2, s4, s0
	s_addc_u32 s3, s5, s1
	s_lshl_b32 s0, s8, 6
	s_ashr_i32 s1, s0, 31
	s_lshl_b64 s[0:1], s[0:1], 2
	s_add_u32 s0, s2, s0
	s_addc_u32 s1, s3, s1
	global_store_dword v16, v0, s[0:1]
	global_store_dword v16, v1, s[0:1] offset:16
	global_store_dword v16, v2, s[0:1] offset:32
	;; [unrolled: 1-line block ×15, first 2 shown]
.LBB230_1140:
	s_endpgm
.LBB230_1141:
	ds_read_b32 v18, v16
	s_waitcnt lgkmcnt(0)
	v_add_f32_e32 v0, v0, v18
	s_or_b32 exec_lo, exec_lo, s0
	s_and_saveexec_b32 s0, vcc_lo
	s_cbranch_execz .LBB230_1101
.LBB230_1142:
	ds_read_b32 v18, v16 offset:16
	s_waitcnt lgkmcnt(0)
	v_add_f32_e32 v1, v1, v18
	s_or_b32 exec_lo, exec_lo, s0
	s_and_saveexec_b32 s0, vcc_lo
	s_cbranch_execz .LBB230_1102
.LBB230_1143:
	ds_read_b32 v18, v16 offset:32
	s_waitcnt lgkmcnt(0)
	v_add_f32_e32 v2, v2, v18
	s_or_b32 exec_lo, exec_lo, s0
	s_and_saveexec_b32 s0, vcc_lo
	s_cbranch_execz .LBB230_1103
.LBB230_1144:
	ds_read_b32 v18, v16 offset:48
	s_waitcnt lgkmcnt(0)
	v_add_f32_e32 v3, v3, v18
	s_or_b32 exec_lo, exec_lo, s0
	s_and_saveexec_b32 s0, vcc_lo
	s_cbranch_execz .LBB230_1104
.LBB230_1145:
	ds_read_b32 v18, v16 offset:64
	s_waitcnt lgkmcnt(0)
	v_add_f32_e32 v4, v4, v18
	s_or_b32 exec_lo, exec_lo, s0
	s_and_saveexec_b32 s0, vcc_lo
	s_cbranch_execz .LBB230_1105
.LBB230_1146:
	ds_read_b32 v18, v16 offset:80
	s_waitcnt lgkmcnt(0)
	v_add_f32_e32 v5, v5, v18
	s_or_b32 exec_lo, exec_lo, s0
	s_and_saveexec_b32 s0, vcc_lo
	s_cbranch_execz .LBB230_1106
.LBB230_1147:
	ds_read_b32 v18, v16 offset:96
	s_waitcnt lgkmcnt(0)
	v_add_f32_e32 v6, v6, v18
	s_or_b32 exec_lo, exec_lo, s0
	s_and_saveexec_b32 s0, vcc_lo
	s_cbranch_execz .LBB230_1107
.LBB230_1148:
	ds_read_b32 v18, v16 offset:112
	s_waitcnt lgkmcnt(0)
	v_add_f32_e32 v7, v7, v18
	s_or_b32 exec_lo, exec_lo, s0
	s_and_saveexec_b32 s0, vcc_lo
	s_cbranch_execz .LBB230_1108
.LBB230_1149:
	ds_read_b32 v18, v16 offset:128
	s_waitcnt lgkmcnt(0)
	v_add_f32_e32 v8, v8, v18
	s_or_b32 exec_lo, exec_lo, s0
	s_and_saveexec_b32 s0, vcc_lo
	s_cbranch_execz .LBB230_1109
.LBB230_1150:
	ds_read_b32 v18, v16 offset:144
	s_waitcnt lgkmcnt(0)
	v_add_f32_e32 v9, v9, v18
	s_or_b32 exec_lo, exec_lo, s0
	s_and_saveexec_b32 s0, vcc_lo
	s_cbranch_execz .LBB230_1110
.LBB230_1151:
	ds_read_b32 v18, v16 offset:160
	s_waitcnt lgkmcnt(0)
	v_add_f32_e32 v10, v10, v18
	s_or_b32 exec_lo, exec_lo, s0
	s_and_saveexec_b32 s0, vcc_lo
	s_cbranch_execz .LBB230_1111
.LBB230_1152:
	ds_read_b32 v18, v16 offset:176
	s_waitcnt lgkmcnt(0)
	v_add_f32_e32 v11, v11, v18
	s_or_b32 exec_lo, exec_lo, s0
	s_and_saveexec_b32 s0, vcc_lo
	s_cbranch_execz .LBB230_1112
.LBB230_1153:
	ds_read_b32 v18, v16 offset:192
	s_waitcnt lgkmcnt(0)
	v_add_f32_e32 v12, v12, v18
	s_or_b32 exec_lo, exec_lo, s0
	s_and_saveexec_b32 s0, vcc_lo
	s_cbranch_execz .LBB230_1113
.LBB230_1154:
	ds_read_b32 v18, v16 offset:208
	s_waitcnt lgkmcnt(0)
	v_add_f32_e32 v13, v13, v18
	s_or_b32 exec_lo, exec_lo, s0
	s_and_saveexec_b32 s0, vcc_lo
	s_cbranch_execz .LBB230_1114
.LBB230_1155:
	ds_read_b32 v18, v16 offset:224
	s_waitcnt lgkmcnt(0)
	v_add_f32_e32 v14, v14, v18
	s_or_b32 exec_lo, exec_lo, s0
	s_and_saveexec_b32 s0, vcc_lo
	s_cbranch_execnz .LBB230_1115
	s_branch .LBB230_1116
.LBB230_1156:
	ds_read_b32 v17, v16
	s_waitcnt lgkmcnt(0)
	v_add_f32_e32 v0, v0, v17
	s_or_b32 exec_lo, exec_lo, s0
	s_and_saveexec_b32 s0, vcc_lo
	s_cbranch_execz .LBB230_1122
.LBB230_1157:
	ds_read_b32 v17, v16 offset:16
	s_waitcnt lgkmcnt(0)
	v_add_f32_e32 v1, v1, v17
	s_or_b32 exec_lo, exec_lo, s0
	s_and_saveexec_b32 s0, vcc_lo
	s_cbranch_execz .LBB230_1123
.LBB230_1158:
	ds_read_b32 v17, v16 offset:32
	s_waitcnt lgkmcnt(0)
	v_add_f32_e32 v2, v2, v17
	s_or_b32 exec_lo, exec_lo, s0
	s_and_saveexec_b32 s0, vcc_lo
	s_cbranch_execz .LBB230_1124
.LBB230_1159:
	ds_read_b32 v17, v16 offset:48
	s_waitcnt lgkmcnt(0)
	v_add_f32_e32 v3, v3, v17
	s_or_b32 exec_lo, exec_lo, s0
	s_and_saveexec_b32 s0, vcc_lo
	s_cbranch_execz .LBB230_1125
.LBB230_1160:
	ds_read_b32 v17, v16 offset:64
	s_waitcnt lgkmcnt(0)
	v_add_f32_e32 v4, v4, v17
	s_or_b32 exec_lo, exec_lo, s0
	s_and_saveexec_b32 s0, vcc_lo
	s_cbranch_execz .LBB230_1126
.LBB230_1161:
	ds_read_b32 v17, v16 offset:80
	s_waitcnt lgkmcnt(0)
	v_add_f32_e32 v5, v5, v17
	s_or_b32 exec_lo, exec_lo, s0
	s_and_saveexec_b32 s0, vcc_lo
	s_cbranch_execz .LBB230_1127
.LBB230_1162:
	ds_read_b32 v17, v16 offset:96
	s_waitcnt lgkmcnt(0)
	v_add_f32_e32 v6, v6, v17
	s_or_b32 exec_lo, exec_lo, s0
	s_and_saveexec_b32 s0, vcc_lo
	s_cbranch_execz .LBB230_1128
.LBB230_1163:
	ds_read_b32 v17, v16 offset:112
	s_waitcnt lgkmcnt(0)
	v_add_f32_e32 v7, v7, v17
	s_or_b32 exec_lo, exec_lo, s0
	s_and_saveexec_b32 s0, vcc_lo
	s_cbranch_execz .LBB230_1129
.LBB230_1164:
	ds_read_b32 v17, v16 offset:128
	s_waitcnt lgkmcnt(0)
	v_add_f32_e32 v8, v8, v17
	s_or_b32 exec_lo, exec_lo, s0
	s_and_saveexec_b32 s0, vcc_lo
	s_cbranch_execz .LBB230_1130
.LBB230_1165:
	ds_read_b32 v17, v16 offset:144
	s_waitcnt lgkmcnt(0)
	v_add_f32_e32 v9, v9, v17
	s_or_b32 exec_lo, exec_lo, s0
	s_and_saveexec_b32 s0, vcc_lo
	s_cbranch_execz .LBB230_1131
.LBB230_1166:
	ds_read_b32 v17, v16 offset:160
	s_waitcnt lgkmcnt(0)
	v_add_f32_e32 v10, v10, v17
	s_or_b32 exec_lo, exec_lo, s0
	s_and_saveexec_b32 s0, vcc_lo
	s_cbranch_execz .LBB230_1132
.LBB230_1167:
	ds_read_b32 v17, v16 offset:176
	s_waitcnt lgkmcnt(0)
	v_add_f32_e32 v11, v11, v17
	s_or_b32 exec_lo, exec_lo, s0
	s_and_saveexec_b32 s0, vcc_lo
	s_cbranch_execz .LBB230_1133
.LBB230_1168:
	ds_read_b32 v17, v16 offset:192
	s_waitcnt lgkmcnt(0)
	v_add_f32_e32 v12, v12, v17
	s_or_b32 exec_lo, exec_lo, s0
	s_and_saveexec_b32 s0, vcc_lo
	s_cbranch_execz .LBB230_1134
.LBB230_1169:
	ds_read_b32 v17, v16 offset:208
	s_waitcnt lgkmcnt(0)
	v_add_f32_e32 v13, v13, v17
	s_or_b32 exec_lo, exec_lo, s0
	s_and_saveexec_b32 s0, vcc_lo
	s_cbranch_execz .LBB230_1135
.LBB230_1170:
	ds_read_b32 v17, v16 offset:224
	s_waitcnt lgkmcnt(0)
	v_add_f32_e32 v14, v14, v17
	s_or_b32 exec_lo, exec_lo, s0
	s_and_saveexec_b32 s0, vcc_lo
	s_cbranch_execnz .LBB230_1136
	s_branch .LBB230_1137
	.section	.rodata,"a",@progbits
	.p2align	6, 0x0
	.amdhsa_kernel _ZN4vllm25paged_attention_v2_kernelIfhLi64ELi32ELi128ELNS_18Fp8KVCacheDataTypeE1ELb1ELi512EEEvPfS2_PT_PKS3_PKT0_S9_ifPKiSB_iPKfiiiSD_SD_iiiii
		.amdhsa_group_segment_fixed_size 288
		.amdhsa_private_segment_fixed_size 368
		.amdhsa_kernarg_size 400
		.amdhsa_user_sgpr_count 6
		.amdhsa_user_sgpr_private_segment_buffer 1
		.amdhsa_user_sgpr_dispatch_ptr 0
		.amdhsa_user_sgpr_queue_ptr 0
		.amdhsa_user_sgpr_kernarg_segment_ptr 1
		.amdhsa_user_sgpr_dispatch_id 0
		.amdhsa_user_sgpr_flat_scratch_init 0
		.amdhsa_user_sgpr_private_segment_size 0
		.amdhsa_wavefront_size32 1
		.amdhsa_uses_dynamic_stack 0
		.amdhsa_system_sgpr_private_segment_wavefront_offset 1
		.amdhsa_system_sgpr_workgroup_id_x 1
		.amdhsa_system_sgpr_workgroup_id_y 1
		.amdhsa_system_sgpr_workgroup_id_z 1
		.amdhsa_system_sgpr_workgroup_info 0
		.amdhsa_system_vgpr_workitem_id 0
		.amdhsa_next_free_vgpr 128
		.amdhsa_next_free_sgpr 56
		.amdhsa_reserve_vcc 1
		.amdhsa_reserve_flat_scratch 0
		.amdhsa_float_round_mode_32 0
		.amdhsa_float_round_mode_16_64 0
		.amdhsa_float_denorm_mode_32 3
		.amdhsa_float_denorm_mode_16_64 3
		.amdhsa_dx10_clamp 1
		.amdhsa_ieee_mode 1
		.amdhsa_fp16_overflow 0
		.amdhsa_workgroup_processor_mode 1
		.amdhsa_memory_ordered 1
		.amdhsa_forward_progress 1
		.amdhsa_shared_vgpr_count 0
		.amdhsa_exception_fp_ieee_invalid_op 0
		.amdhsa_exception_fp_denorm_src 0
		.amdhsa_exception_fp_ieee_div_zero 0
		.amdhsa_exception_fp_ieee_overflow 0
		.amdhsa_exception_fp_ieee_underflow 0
		.amdhsa_exception_fp_ieee_inexact 0
		.amdhsa_exception_int_div_zero 0
	.end_amdhsa_kernel
	.section	.text._ZN4vllm25paged_attention_v2_kernelIfhLi64ELi32ELi128ELNS_18Fp8KVCacheDataTypeE1ELb1ELi512EEEvPfS2_PT_PKS3_PKT0_S9_ifPKiSB_iPKfiiiSD_SD_iiiii,"axG",@progbits,_ZN4vllm25paged_attention_v2_kernelIfhLi64ELi32ELi128ELNS_18Fp8KVCacheDataTypeE1ELb1ELi512EEEvPfS2_PT_PKS3_PKT0_S9_ifPKiSB_iPKfiiiSD_SD_iiiii,comdat
.Lfunc_end230:
	.size	_ZN4vllm25paged_attention_v2_kernelIfhLi64ELi32ELi128ELNS_18Fp8KVCacheDataTypeE1ELb1ELi512EEEvPfS2_PT_PKS3_PKT0_S9_ifPKiSB_iPKfiiiSD_SD_iiiii, .Lfunc_end230-_ZN4vllm25paged_attention_v2_kernelIfhLi64ELi32ELi128ELNS_18Fp8KVCacheDataTypeE1ELb1ELi512EEEvPfS2_PT_PKS3_PKT0_S9_ifPKiSB_iPKfiiiSD_SD_iiiii
                                        ; -- End function
	.set _ZN4vllm25paged_attention_v2_kernelIfhLi64ELi32ELi128ELNS_18Fp8KVCacheDataTypeE1ELb1ELi512EEEvPfS2_PT_PKS3_PKT0_S9_ifPKiSB_iPKfiiiSD_SD_iiiii.num_vgpr, 128
	.set _ZN4vllm25paged_attention_v2_kernelIfhLi64ELi32ELi128ELNS_18Fp8KVCacheDataTypeE1ELb1ELi512EEEvPfS2_PT_PKS3_PKT0_S9_ifPKiSB_iPKfiiiSD_SD_iiiii.num_agpr, 0
	.set _ZN4vllm25paged_attention_v2_kernelIfhLi64ELi32ELi128ELNS_18Fp8KVCacheDataTypeE1ELb1ELi512EEEvPfS2_PT_PKS3_PKT0_S9_ifPKiSB_iPKfiiiSD_SD_iiiii.numbered_sgpr, 56
	.set _ZN4vllm25paged_attention_v2_kernelIfhLi64ELi32ELi128ELNS_18Fp8KVCacheDataTypeE1ELb1ELi512EEEvPfS2_PT_PKS3_PKT0_S9_ifPKiSB_iPKfiiiSD_SD_iiiii.num_named_barrier, 0
	.set _ZN4vllm25paged_attention_v2_kernelIfhLi64ELi32ELi128ELNS_18Fp8KVCacheDataTypeE1ELb1ELi512EEEvPfS2_PT_PKS3_PKT0_S9_ifPKiSB_iPKfiiiSD_SD_iiiii.private_seg_size, 368
	.set _ZN4vllm25paged_attention_v2_kernelIfhLi64ELi32ELi128ELNS_18Fp8KVCacheDataTypeE1ELb1ELi512EEEvPfS2_PT_PKS3_PKT0_S9_ifPKiSB_iPKfiiiSD_SD_iiiii.uses_vcc, 1
	.set _ZN4vllm25paged_attention_v2_kernelIfhLi64ELi32ELi128ELNS_18Fp8KVCacheDataTypeE1ELb1ELi512EEEvPfS2_PT_PKS3_PKT0_S9_ifPKiSB_iPKfiiiSD_SD_iiiii.uses_flat_scratch, 0
	.set _ZN4vllm25paged_attention_v2_kernelIfhLi64ELi32ELi128ELNS_18Fp8KVCacheDataTypeE1ELb1ELi512EEEvPfS2_PT_PKS3_PKT0_S9_ifPKiSB_iPKfiiiSD_SD_iiiii.has_dyn_sized_stack, 0
	.set _ZN4vllm25paged_attention_v2_kernelIfhLi64ELi32ELi128ELNS_18Fp8KVCacheDataTypeE1ELb1ELi512EEEvPfS2_PT_PKS3_PKT0_S9_ifPKiSB_iPKfiiiSD_SD_iiiii.has_recursion, 0
	.set _ZN4vllm25paged_attention_v2_kernelIfhLi64ELi32ELi128ELNS_18Fp8KVCacheDataTypeE1ELb1ELi512EEEvPfS2_PT_PKS3_PKT0_S9_ifPKiSB_iPKfiiiSD_SD_iiiii.has_indirect_call, 0
	.section	.AMDGPU.csdata,"",@progbits
; Kernel info:
; codeLenInByte = 36752
; TotalNumSgprs: 58
; NumVgprs: 128
; ScratchSize: 368
; MemoryBound: 0
; FloatMode: 240
; IeeeMode: 1
; LDSByteSize: 288 bytes/workgroup (compile time only)
; SGPRBlocks: 0
; VGPRBlocks: 15
; NumSGPRsForWavesPerEU: 58
; NumVGPRsForWavesPerEU: 128
; Occupancy: 8
; WaveLimiterHint : 1
; COMPUTE_PGM_RSRC2:SCRATCH_EN: 1
; COMPUTE_PGM_RSRC2:USER_SGPR: 6
; COMPUTE_PGM_RSRC2:TRAP_HANDLER: 0
; COMPUTE_PGM_RSRC2:TGID_X_EN: 1
; COMPUTE_PGM_RSRC2:TGID_Y_EN: 1
; COMPUTE_PGM_RSRC2:TGID_Z_EN: 1
; COMPUTE_PGM_RSRC2:TIDIG_COMP_CNT: 0
	.text
	.p2align	2                               ; -- Begin function _ZN4vllm22paged_attention_kernelIfhLi80ELi32ELi128ELNS_18Fp8KVCacheDataTypeE1ELb1ELi512EEEvPfS2_PT_PKS3_PKT0_S9_ifPKiSB_iPKfiiiSD_SD_iiiii
	.type	_ZN4vllm22paged_attention_kernelIfhLi80ELi32ELi128ELNS_18Fp8KVCacheDataTypeE1ELb1ELi512EEEvPfS2_PT_PKS3_PKT0_S9_ifPKiSB_iPKfiiiSD_SD_iiiii,@function
_ZN4vllm22paged_attention_kernelIfhLi80ELi32ELi128ELNS_18Fp8KVCacheDataTypeE1ELb1ELi512EEEvPfS2_PT_PKS3_PKT0_S9_ifPKiSB_iPKfiiiSD_SD_iiiii: ; @_ZN4vllm22paged_attention_kernelIfhLi80ELi32ELi128ELNS_18Fp8KVCacheDataTypeE1ELb1ELi512EEEvPfS2_PT_PKS3_PKT0_S9_ifPKiSB_iPKfiiiSD_SD_iiiii
; %bb.0:
	s_waitcnt vmcnt(0) expcnt(0) lgkmcnt(0)
	buffer_store_dword v40, off, s[0:3], s32 offset:196 ; 4-byte Folded Spill
	buffer_store_dword v41, off, s[0:3], s32 offset:192 ; 4-byte Folded Spill
	;; [unrolled: 1-line block ×48, first 2 shown]
	s_mov_b32 s18, s13
	s_ashr_i32 s19, s13, 31
	v_mov_b32_e32 v32, v0
	s_lshl_b64 s[4:5], s[18:19], 2
	buffer_store_dword v26, off, s[0:3], s32 offset:472 ; 4-byte Folded Spill
	buffer_store_dword v27, off, s[0:3], s32 offset:476 ; 4-byte Folded Spill
	;; [unrolled: 1-line block ×7, first 2 shown]
	v_add_co_u32 v0, vcc_lo, v16, s4
	v_mov_b32_e32 v22, v1
	v_add_co_ci_u32_e64 v1, null, s5, v17, vcc_lo
	v_mov_b32_e32 v33, v3
	v_mov_b32_e32 v34, v2
	s_lshl_b32 s7, s14, 9
	flat_load_dword v88, v[0:1]
	s_clause 0x1
	buffer_load_dword v2, off, s[0:3], s32 offset:4
	buffer_load_dword v3, off, s[0:3], s32
	s_mov_b32 s19, exec_lo
	s_waitcnt vmcnt(2) lgkmcnt(0)
	v_cmpx_lt_i32_e64 s7, v88
	s_cbranch_execz .LBB231_1412
; %bb.1:
	v_sub_nc_u32_e32 v0, 0, v12
	s_clause 0x1
	s_load_dword s4, s[8:9], 0x10
	s_load_dword s5, s[8:9], 0x0
	s_mov_b32 s16, s15
	v_max_i32_e32 v0, v12, v0
	v_cvt_f32_u32_e32 v1, v0
	v_sub_nc_u32_e32 v4, 0, v0
	v_rcp_iflag_f32_e32 v1, v1
	s_waitcnt lgkmcnt(0)
	s_lshr_b32 s4, s4, 16
	s_cmp_lg_u32 s4, 0
	s_cselect_b32 s4, -1, 0
	v_mul_f32_e32 v1, 0x4f7ffffe, v1
	s_cmp_lg_u32 s4, 0
	s_addc_u32 s15, s5, 0
	s_mov_b32 s5, exec_lo
	v_cvt_u32_f32_e32 v1, v1
	s_abs_i32 s4, s15
	v_mul_lo_u32 v4, v4, v1
	v_mul_hi_u32 v4, v1, v4
	v_add_nc_u32_e32 v1, v1, v4
	v_mul_hi_u32 v1, s4, v1
	v_mul_lo_u32 v4, v1, v0
	v_add_nc_u32_e32 v5, 1, v1
	v_sub_nc_u32_e32 v4, s4, v4
	s_abs_i32 s4, s12
	v_sub_nc_u32_e32 v16, v4, v0
	v_cmp_ge_u32_e32 vcc_lo, v4, v0
	v_cndmask_b32_e32 v1, v1, v5, vcc_lo
	v_cndmask_b32_e32 v4, v4, v16, vcc_lo
	v_xor_b32_e32 v5, s15, v12
	v_add_nc_u32_e32 v16, 1, v1
	v_cmp_ge_u32_e32 vcc_lo, v4, v0
	v_ashrrev_i32_e32 v5, 31, v5
	v_cndmask_b32_e32 v0, v1, v16, vcc_lo
	v_xor_b32_e32 v0, v0, v5
	v_sub_nc_u32_e32 v5, v0, v5
	v_sub_nc_u32_e32 v0, 0, v5
	v_max_i32_e32 v4, v5, v0
	v_cvt_f32_u32_e32 v0, v4
	v_sub_nc_u32_e32 v1, 0, v4
	v_rcp_iflag_f32_e32 v0, v0
	v_mul_f32_e32 v0, 0x4f7ffffe, v0
	v_cvt_u32_f32_e32 v0, v0
	v_mul_lo_u32 v1, v1, v0
	v_mul_hi_u32 v1, v0, v1
	v_add_nc_u32_e32 v0, v0, v1
	v_mad_u64_u32 v[0:1], null, s4, v0, 0
	v_mov_b32_e32 v0, 0
	buffer_store_dword v0, off, s[0:3], s32 offset:488 ; 4-byte Folded Spill
	v_cmpx_ne_u64_e32 0, v[19:20]
	s_cbranch_execz .LBB231_3
; %bb.2:
	s_ashr_i32 s13, s12, 31
	s_lshl_b64 s[10:11], s[12:13], 2
	v_add_co_u32 v16, vcc_lo, v19, s10
	v_add_co_ci_u32_e64 v17, null, s11, v20, vcc_lo
	flat_load_dword v0, v[16:17]
	s_waitcnt vmcnt(0) lgkmcnt(0)
	buffer_store_dword v0, off, s[0:3], s32 offset:488 ; 4-byte Folded Spill
.LBB231_3:
	s_or_b32 exec_lo, exec_lo, s5
	v_and_b32_e32 v19, 0x3ff, v31
	v_ashrrev_i32_e32 v0, 31, v5
	s_ashr_i32 s5, s12, 31
	s_mul_i32 s10, s12, 0x50
	s_mov_b32 s6, exec_lo
	v_cmpx_gt_u32_e32 20, v19
	s_cbranch_execz .LBB231_5
; %bb.4:
	v_mul_lo_u32 v16, v21, s18
	s_ashr_i32 s11, s10, 31
	s_lshl_b64 s[20:21], s[10:11], 2
	v_ashrrev_i32_e32 v17, 31, v16
	v_lshlrev_b64 v[20:21], 2, v[16:17]
	v_lshlrev_b32_e32 v17, 4, v19
	v_add_co_u32 v5, vcc_lo, v6, v20
	v_add_co_ci_u32_e64 v6, null, v7, v21, vcc_lo
	v_add_co_u32 v5, vcc_lo, v5, s20
	v_add_co_ci_u32_e64 v6, null, s21, v6, vcc_lo
	;; [unrolled: 2-line block ×3, first 2 shown]
	flat_load_dwordx4 v[24:27], v[5:6]
	s_waitcnt vmcnt(0) lgkmcnt(0)
	ds_write_b128 v17, v[24:27]
.LBB231_5:
	s_or_b32 exec_lo, exec_lo, s6
	s_waitcnt vmcnt(0)
	v_sub_nc_u32_e32 v5, 0, v3
	v_mul_lo_u32 v6, v1, v4
	v_add_nc_u32_e32 v17, 1, v1
	v_max_i32_e32 v47, v3, v5
	v_sub_nc_u32_e32 v6, s4, v6
	v_cvt_f32_u32_e32 v5, v47
	s_mov_b32 s4, exec_lo
	v_sub_nc_u32_e32 v16, v6, v4
	v_rcp_iflag_f32_e32 v5, v5
	v_cmp_ge_u32_e32 vcc_lo, v6, v4
	v_cndmask_b32_e32 v1, v1, v17, vcc_lo
	v_cndmask_b32_e32 v6, v6, v16, vcc_lo
	v_xor_b32_e32 v16, s5, v0
	v_mul_f32_e32 v5, 0x4f7ffffe, v5
	v_add_nc_u32_e32 v20, 1, v1
	v_cmp_ge_u32_e32 vcc_lo, v6, v4
	v_cvt_u32_f32_e32 v7, v5
	v_sub_nc_u32_e32 v5, 0, v47
	v_cndmask_b32_e32 v0, v1, v20, vcc_lo
	v_mul_lo_u32 v21, v5, v7
	v_add_nc_u32_e32 v5, -1, v88
	v_xor_b32_e32 v6, v0, v16
	v_mul_hi_u32 v17, v7, v21
	v_sub_nc_u32_e32 v21, 0, v5
	v_max_i32_e32 v4, v5, v21
	v_add_nc_u32_e32 v1, v7, v17
	buffer_store_dword v1, off, s[0:3], s32 offset:224 ; 4-byte Folded Spill
	v_mad_u64_u32 v[0:1], null, v4, v1, 0
	v_sub_nc_u32_e32 v0, v6, v16
                                        ; implicit-def: $vgpr6
	s_waitcnt lgkmcnt(0)
	s_waitcnt_vscnt null, 0x0
	s_barrier
	buffer_gl0_inv
	buffer_store_dword v6, off, s[0:3], s32 offset:208 ; 4-byte Folded Spill
	buffer_store_dword v7, off, s[0:3], s32 offset:212 ; 4-byte Folded Spill
	v_cmpx_gt_i32_e32 0, v2
	s_xor_b32 s4, exec_lo, s4
	s_cbranch_execz .LBB231_7
; %bb.6:
	v_mad_u64_u32 v[6:7], null, v28, v12, v[0:1]
                                        ; implicit-def: $vgpr28
	v_mul_lo_u32 v2, v6, v2
	v_sub_nc_u32_e32 v2, 1, v2
	buffer_store_dword v2, off, s[0:3], s32 offset:208 ; 4-byte Folded Spill
	buffer_store_dword v3, off, s[0:3], s32 offset:212 ; 4-byte Folded Spill
                                        ; implicit-def: $vgpr2
.LBB231_7:
	s_or_saveexec_b32 s4, s4
	v_ashrrev_i32_e32 v5, 31, v5
	v_ashrrev_i32_e32 v3, 31, v3
	buffer_store_dword v3, off, s[0:3], s32 offset:216 ; 4-byte Folded Spill
	s_xor_b32 exec_lo, exec_lo, s4
	s_cbranch_execz .LBB231_9
; %bb.8:
	v_mad_u64_u32 v[6:7], null, s15, v28, s[12:13]
	v_mad_u64_u32 v[2:3], null, v6, v2, 1
	buffer_store_dword v2, off, s[0:3], s32 offset:208 ; 4-byte Folded Spill
	buffer_store_dword v3, off, s[0:3], s32 offset:212 ; 4-byte Folded Spill
.LBB231_9:
	s_or_b32 exec_lo, exec_lo, s4
	s_clause 0x1
	s_load_dword s20, s[8:9], 0x14
	s_load_dword s11, s[8:9], 0x8
	buffer_load_dword v7, off, s[0:3], s32 offset:216 ; 4-byte Folded Reload
	v_mul_lo_u32 v2, v1, v47
	v_add_nc_u32_e32 v3, 31, v88
	v_add_nc_u32_e32 v6, 1, v1
	v_lshrrev_b32_e32 v12, 5, v19
	s_lshl_b32 s13, s14, 4
	v_and_b32_e32 v24, 31, v19
	s_add_i32 s4, s13, 16
	v_mov_b32_e32 v89, 0xff7fffff
	v_sub_nc_u32_e32 v4, v4, v2
	v_mul_lo_u32 v2, v18, s18
	v_mul_lo_u32 v18, v0, v23
	buffer_store_dword v12, off, s[0:3], s32 offset:824 ; 4-byte Folded Spill
	v_sub_nc_u32_e32 v20, 0, v30
	v_sub_nc_u32_e32 v16, v4, v47
	v_cmp_ge_u32_e32 vcc_lo, v4, v47
	v_lshl_add_u32 v27, v12, 5, s7
	v_lshlrev_b32_e32 v23, 2, v24
	v_cndmask_b32_e32 v1, v1, v6, vcc_lo
	v_cndmask_b32_e32 v4, v4, v16, vcc_lo
	v_cmp_ge_u32_e32 vcc_lo, v4, v47
	v_add_nc_u32_e32 v4, s13, v12
	v_ashrrev_i32_e32 v12, 31, v18
	s_waitcnt vmcnt(0)
	v_xor_b32_e32 v5, v5, v7
	v_ashrrev_i32_e32 v7, 31, v3
	v_lshrrev_b32_e32 v6, 27, v7
	v_add_nc_u32_e32 v7, 1, v1
	v_add_nc_u32_e32 v3, v3, v6
	v_cndmask_b32_e32 v1, v1, v7, vcc_lo
	v_ashrrev_i32_e32 v21, 5, v3
	v_xor_b32_e32 v0, v1, v5
	v_ashrrev_i32_e32 v3, 31, v2
	v_min_i32_e32 v1, s4, v21
	v_sub_nc_u32_e32 v0, v0, v5
	v_ashrrev_i32_e32 v5, 31, v4
	buffer_store_dword v1, off, s[0:3], s32 offset:220 ; 4-byte Folded Spill
	buffer_store_dword v4, off, s[0:3], s32 offset:200 ; 4-byte Folded Spill
	;; [unrolled: 1-line block ×3, first 2 shown]
	v_lshlrev_b64 v[16:17], 2, v[2:3]
	v_sub_nc_u32_e32 v0, v0, v29
	buffer_store_dword v0, off, s[0:3], s32 offset:228 ; 4-byte Folded Spill
	buffer_store_dword v24, off, s[0:3], s32 offset:468 ; 4-byte Folded Spill
	v_cmp_lt_i32_e64 s4, v4, v1
	s_mov_b32 s21, exec_lo
	s_and_b32 s5, s21, s4
	buffer_store_dword v19, off, s[0:3], s32 offset:828 ; 4-byte Folded Spill
	s_mov_b32 exec_lo, s5
	s_cbranch_execz .LBB231_657
; %bb.10:
	buffer_store_dword v21, off, s[0:3], s32 offset:884 ; 4-byte Folded Spill
	buffer_store_dword v34, off, s[0:3], s32 offset:868 ; 4-byte Folded Spill
	;; [unrolled: 1-line block ×9, first 2 shown]
	buffer_load_dword v7, off, s[0:3], s32 offset:468 ; 4-byte Folded Reload
	v_max_i32_e32 v10, v30, v20
	v_add_co_u32 v2, vcc_lo, v8, v18
	buffer_store_dword v18, off, s[0:3], s32 offset:896 ; 4-byte Folded Spill
	buffer_store_dword v12, off, s[0:3], s32 offset:892 ; 4-byte Folded Spill
	v_cvt_f32_u32_e32 v0, v10
	v_add_co_ci_u32_e64 v3, null, v9, v12, vcc_lo
	v_mov_b32_e32 v29, 0
	s_ashr_i32 s17, s16, 31
	v_rcp_iflag_f32_e32 v4, v0
	s_clause 0x3
	buffer_load_dword v0, off, s[0:3], s32 offset:488
	buffer_load_dword v8, off, s[0:3], s32 offset:200
	;; [unrolled: 1-line block ×4, first 2 shown]
	buffer_store_dword v23, off, s[0:3], s32 offset:900 ; 4-byte Folded Spill
	buffer_store_dword v10, off, s[0:3], s32 offset:464 ; 4-byte Folded Spill
	s_getpc_b64 s[8:9]
	s_add_u32 s8, s8, llvm.amdgcn.dynlds.offset.table@rel32@lo+4
	s_addc_u32 s9, s9, llvm.amdgcn.dynlds.offset.table@rel32@hi+12
	s_lshl_b64 s[24:25], s[16:17], 2
	v_mov_b32_e32 v53, 0x80
	s_add_u32 s8, s8, s24
	v_mul_f32_e32 v4, 0x4f7ffffe, v4
	s_addc_u32 s9, s9, s25
	v_bfrev_b32_e32 v38, 1
	v_mov_b32_e32 v48, 0xff
	v_mov_b32_e32 v89, 0xff7fffff
	v_cvt_u32_f32_e32 v4, v4
	v_mov_b32_e32 v71, 0x7f800001
	s_mov_b32 s22, 0
	s_waitcnt vmcnt(4)
	v_lshlrev_b32_e32 v5, 4, v7
	v_add_co_u32 v2, s5, v2, v5
	v_add_co_ci_u32_e64 v3, null, 0, v3, s5
	buffer_store_dword v2, off, s[0:3], s32 offset:492 ; 4-byte Folded Spill
	buffer_store_dword v3, off, s[0:3], s32 offset:496 ; 4-byte Folded Spill
	s_waitcnt vmcnt(3)
	v_cmp_neq_f32_e32 vcc_lo, 0, v0
	s_waitcnt vmcnt(1)
	v_lshlrev_b64 v[0:1], 2, v[8:9]
	s_waitcnt vmcnt(0)
	v_lshl_add_u32 v20, v6, 5, s7
	v_lshl_or_b32 v52, v6, 7, v23
	v_sub_nc_u32_e32 v6, v7, v88
	v_sub_nc_u32_e32 v7, 0, v10
	ds_read_b128 v[9:12], v29
	v_add_co_u32 v0, s5, v16, v0
	v_add_nc_u32_e32 v3, 1, v6
	v_mul_lo_u32 v2, v7, v4
	v_mov_b32_e32 v49, v8
	s_waitcnt lgkmcnt(0)
	buffer_store_dword v9, off, s[0:3], s32 offset:500 ; 4-byte Folded Spill
	buffer_store_dword v10, off, s[0:3], s32 offset:504 ; 4-byte Folded Spill
	;; [unrolled: 1-line block ×4, first 2 shown]
	ds_read_b128 v[9:12], v29 offset:16
	v_mul_hi_u32 v2, v4, v2
	s_waitcnt lgkmcnt(0)
	buffer_store_dword v9, off, s[0:3], s32 offset:516 ; 4-byte Folded Spill
	buffer_store_dword v10, off, s[0:3], s32 offset:520 ; 4-byte Folded Spill
	buffer_store_dword v11, off, s[0:3], s32 offset:524 ; 4-byte Folded Spill
	buffer_store_dword v12, off, s[0:3], s32 offset:528 ; 4-byte Folded Spill
	ds_read_b128 v[9:12], v29 offset:32
	s_waitcnt lgkmcnt(0)
	buffer_store_dword v9, off, s[0:3], s32 offset:532 ; 4-byte Folded Spill
	buffer_store_dword v10, off, s[0:3], s32 offset:536 ; 4-byte Folded Spill
	buffer_store_dword v11, off, s[0:3], s32 offset:540 ; 4-byte Folded Spill
	buffer_store_dword v12, off, s[0:3], s32 offset:544 ; 4-byte Folded Spill
	ds_read_b128 v[9:12], v29 offset:48
	;; [unrolled: 6-line block ×4, first 2 shown]
	s_waitcnt lgkmcnt(0)
	buffer_store_dword v9, off, s[0:3], s32 offset:580 ; 4-byte Folded Spill
	buffer_store_dword v10, off, s[0:3], s32 offset:584 ; 4-byte Folded Spill
	;; [unrolled: 1-line block ×7, first 2 shown]
	s_load_dword s17, s[8:9], 0x0
	buffer_store_dword v14, off, s[0:3], s32 offset:844 ; 4-byte Folded Spill
	buffer_store_dword v15, off, s[0:3], s32 offset:840 ; 4-byte Folded Spill
	v_add_co_ci_u32_e64 v1, null, v17, v1, s5
	v_add_co_u32 v94, s5, v14, v0
	v_add_nc_u32_e32 v0, v4, v2
	v_add_co_ci_u32_e64 v95, null, v15, v1, s5
	buffer_store_dword v0, off, s[0:3], s32 offset:460 ; 4-byte Folded Spill
	ds_read_b128 v[0:3], v29 offset:96
	s_waitcnt lgkmcnt(0)
	buffer_store_dword v0, off, s[0:3], s32 offset:600 ; 4-byte Folded Spill
	buffer_store_dword v1, off, s[0:3], s32 offset:604 ; 4-byte Folded Spill
	buffer_store_dword v2, off, s[0:3], s32 offset:608 ; 4-byte Folded Spill
	buffer_store_dword v3, off, s[0:3], s32 offset:612 ; 4-byte Folded Spill
	ds_read_b128 v[0:3], v29 offset:112
	s_waitcnt lgkmcnt(0)
	buffer_store_dword v0, off, s[0:3], s32 offset:616 ; 4-byte Folded Spill
	buffer_store_dword v1, off, s[0:3], s32 offset:620 ; 4-byte Folded Spill
	buffer_store_dword v2, off, s[0:3], s32 offset:624 ; 4-byte Folded Spill
	;; [unrolled: 6-line block ×14, first 2 shown]
	buffer_store_dword v3, off, s[0:3], s32 offset:820 ; 4-byte Folded Spill
	s_branch .LBB231_16
.LBB231_11:                             ;   in Loop: Header=BB231_16 Depth=1
	s_or_b32 exec_lo, exec_lo, s26
	v_mov_b32_e32 v1, 24
	v_lshlrev_b32_e32 v12, 20, v28
	v_lshl_add_u32 v0, v0, 23, 0x3c000000
	v_lshlrev_b32_sdwa v1, v1, v67 dst_sel:DWORD dst_unused:UNUSED_PAD src0_sel:DWORD src1_sel:BYTE_3
	v_and_b32_e32 v1, 0x80000000, v1
	v_or3_b32 v1, v12, v1, v0
	v_mov_b32_e32 v0, v29
.LBB231_12:                             ;   in Loop: Header=BB231_16 Depth=1
	s_or_b32 exec_lo, exec_lo, s25
.LBB231_13:                             ;   in Loop: Header=BB231_16 Depth=1
	s_or_b32 exec_lo, exec_lo, s24
.LBB231_14:                             ;   in Loop: Header=BB231_16 Depth=1
	s_or_b32 exec_lo, exec_lo, s23
	v_or_b32_e32 v28, v106, v6
	v_or_b32_e32 v6, v127, v9
	;; [unrolled: 1-line block ×7, first 2 shown]
	s_clause 0x3
	buffer_load_dword v2, off, s[0:3], s32 offset:424
	buffer_load_dword v3, off, s[0:3], s32 offset:428
	;; [unrolled: 1-line block ×4, first 2 shown]
	v_or_b32_e32 v69, v65, v69
	v_or_b32_e32 v30, v64, v68
	;; [unrolled: 1-line block ×30, first 2 shown]
	v_mul_f32_e32 v39, v66, v39
	v_or_b32_e32 v23, v108, v23
	v_mul_f32_e32 v35, v66, v35
	v_or_b32_e32 v34, v124, v122
	;; [unrolled: 2-line block ×4, first 2 shown]
	v_or_b32_e32 v24, v109, v24
	v_or_b32_e32 v11, v11, v121
	;; [unrolled: 1-line block ×4, first 2 shown]
	v_mul_f32_e32 v4, v66, v4
	v_or_b32_e32 v17, v22, v17
	v_or_b32_e32 v22, v107, v7
	;; [unrolled: 1-line block ×4, first 2 shown]
	v_mul_f32_e32 v1, v66, v1
	s_waitcnt vmcnt(1)
	v_or_b32_e32 v80, v54, v2
	s_waitcnt vmcnt(0)
	v_or_b32_e32 v55, v55, v3
	s_clause 0x3
	buffer_load_dword v2, off, s[0:3], s32 offset:440
	buffer_load_dword v3, off, s[0:3], s32 offset:444
	buffer_load_dword v64, off, s[0:3], s32 offset:448
	buffer_load_dword v65, off, s[0:3], s32 offset:452
	s_waitcnt vmcnt(1)
	v_or_b32_e32 v64, v2, v64
	s_waitcnt vmcnt(0)
	v_or_b32_e32 v54, v3, v65
	s_clause 0x3
	buffer_load_dword v2, off, s[0:3], s32 offset:392
	buffer_load_dword v3, off, s[0:3], s32 offset:396
	buffer_load_dword v81, off, s[0:3], s32 offset:400
	buffer_load_dword v82, off, s[0:3], s32 offset:404
	s_waitcnt vmcnt(0)
	v_or_b32_e32 v65, v82, v3
	v_or_b32_e32 v82, v81, v2
	s_clause 0x3
	buffer_load_dword v2, off, s[0:3], s32 offset:408
	buffer_load_dword v3, off, s[0:3], s32 offset:412
	buffer_load_dword v96, off, s[0:3], s32 offset:416
	buffer_load_dword v97, off, s[0:3], s32 offset:420
	s_waitcnt vmcnt(1)
	v_or_b32_e32 v83, v2, v96
	s_waitcnt vmcnt(0)
	v_or_b32_e32 v81, v3, v97
	s_clause 0x3
	buffer_load_dword v2, off, s[0:3], s32 offset:360
	buffer_load_dword v3, off, s[0:3], s32 offset:364
	buffer_load_dword v97, off, s[0:3], s32 offset:368
	buffer_load_dword v98, off, s[0:3], s32 offset:372
	s_waitcnt vmcnt(0)
	v_or_b32_e32 v96, v98, v3
	;; [unrolled: 17-line block ×5, first 2 shown]
	s_waitcnt vmcnt(0)
	v_or_b32_e32 v57, v57, v3
	s_clause 0x3
	buffer_load_dword v2, off, s[0:3], s32 offset:280
	buffer_load_dword v3, off, s[0:3], s32 offset:284
	buffer_load_dword v58, off, s[0:3], s32 offset:288
	buffer_load_dword v59, off, s[0:3], s32 offset:292
	s_waitcnt vmcnt(1)
	v_or_b32_e32 v58, v2, v58
	s_waitcnt vmcnt(0)
	v_or_b32_e32 v56, v3, v59
	s_clause 0x3
	buffer_load_dword v2, off, s[0:3], s32 offset:232
	buffer_load_dword v3, off, s[0:3], s32 offset:236
	buffer_load_dword v72, off, s[0:3], s32 offset:240
	buffer_load_dword v73, off, s[0:3], s32 offset:244
	s_waitcnt vmcnt(0)
	v_or_b32_e32 v63, v73, v3
	v_or_b32_e32 v73, v72, v2
	s_clause 0x7
	buffer_load_dword v2, off, s[0:3], s32 offset:248
	buffer_load_dword v3, off, s[0:3], s32 offset:252
	;; [unrolled: 1-line block ×8, first 2 shown]
	v_mul_f32_e32 v26, v66, v63
	s_waitcnt vmcnt(5)
	v_or_b32_e32 v72, v2, v74
	v_or_b32_e32 v2, v32, v51
	;; [unrolled: 1-line block ×3, first 2 shown]
	v_mul_f32_e32 v0, v66, v62
	s_waitcnt vmcnt(4)
	v_or_b32_e32 v59, v3, v75
	v_mul_f32_e32 v25, v66, v73
	v_or_b32_e32 v3, v31, v50
	v_mul_f32_e32 v2, v66, v2
	s_waitcnt vmcnt(3)
	v_mul_f32_e32 v0, v76, v0
	s_clause 0x3
	buffer_load_dword v73, off, s[0:3], s32 offset:500
	buffer_load_dword v74, off, s[0:3], s32 offset:504
	;; [unrolled: 1-line block ×4, first 2 shown]
	v_mul_f32_e32 v50, v66, v59
	v_mul_f32_e32 v3, v66, v3
	s_waitcnt vmcnt(3)
	v_fmac_f32_e32 v0, v73, v25
	v_mul_f32_e32 v25, v66, v57
	v_mul_f32_e32 v31, v77, v25
	;; [unrolled: 1-line block ×3, first 2 shown]
	s_waitcnt vmcnt(2)
	v_fmac_f32_e32 v31, v74, v26
	v_mul_f32_e32 v26, v66, v72
	v_mul_f32_e32 v25, v78, v25
	s_waitcnt vmcnt(1)
	v_fmac_f32_e32 v25, v75, v26
	v_mul_f32_e32 v26, v66, v56
	s_clause 0x3
	buffer_load_dword v56, off, s[0:3], s32 offset:532
	buffer_load_dword v57, off, s[0:3], s32 offset:536
	;; [unrolled: 1-line block ×4, first 2 shown]
	v_mul_f32_e32 v26, v79, v26
	s_waitcnt vmcnt(4)
	v_fmac_f32_e32 v26, v76, v50
	v_mul_f32_e32 v50, v66, v41
	s_waitcnt vmcnt(3)
	v_fmac_f32_e32 v0, v56, v50
	;; [unrolled: 3-line block ×5, first 2 shown]
	s_clause 0x3
	buffer_load_dword v56, off, s[0:3], s32 offset:548
	buffer_load_dword v57, off, s[0:3], s32 offset:552
	buffer_load_dword v58, off, s[0:3], s32 offset:556
	buffer_load_dword v59, off, s[0:3], s32 offset:560
	v_mul_f32_e32 v50, v66, v114
	s_waitcnt vmcnt(3)
	v_fmac_f32_e32 v0, v56, v50
	v_mul_f32_e32 v50, v66, v112
	s_waitcnt vmcnt(2)
	v_fmac_f32_e32 v31, v57, v50
	;; [unrolled: 3-line block ×3, first 2 shown]
	v_mul_f32_e32 v50, v66, v113
	s_clause 0x3
	buffer_load_dword v112, off, s[0:3], s32 offset:564
	buffer_load_dword v113, off, s[0:3], s32 offset:568
	;; [unrolled: 1-line block ×4, first 2 shown]
	s_waitcnt vmcnt(4)
	v_fmac_f32_e32 v26, v59, v50
	v_mul_f32_e32 v50, v66, v98
	s_waitcnt vmcnt(3)
	v_fmac_f32_e32 v0, v112, v50
	v_mul_f32_e32 v50, v66, v96
	;; [unrolled: 3-line block ×4, first 2 shown]
	s_clause 0x3
	buffer_load_dword v96, off, s[0:3], s32 offset:580
	buffer_load_dword v97, off, s[0:3], s32 offset:584
	buffer_load_dword v98, off, s[0:3], s32 offset:588
	buffer_load_dword v99, off, s[0:3], s32 offset:592
	s_waitcnt vmcnt(4)
	v_fmac_f32_e32 v26, v115, v50
	v_mul_f32_e32 v50, v66, v82
	s_waitcnt vmcnt(3)
	v_fmac_f32_e32 v0, v96, v50
	v_mul_f32_e32 v50, v66, v65
	s_waitcnt vmcnt(2)
	v_fmac_f32_e32 v31, v97, v50
	v_mul_f32_e32 v50, v66, v83
	s_waitcnt vmcnt(1)
	v_fmac_f32_e32 v25, v98, v50
	v_mul_f32_e32 v50, v66, v81
	s_waitcnt vmcnt(0)
	v_fmac_f32_e32 v26, v99, v50
	v_mul_f32_e32 v50, v66, v80
	s_clause 0x3
	buffer_load_dword v80, off, s[0:3], s32 offset:600
	buffer_load_dword v81, off, s[0:3], s32 offset:604
	;; [unrolled: 1-line block ×4, first 2 shown]
	s_waitcnt vmcnt(3)
	v_fmac_f32_e32 v0, v80, v50
	v_mul_f32_e32 v50, v66, v55
	s_waitcnt vmcnt(2)
	v_fmac_f32_e32 v31, v81, v50
	v_mul_f32_e32 v50, v66, v64
	s_waitcnt vmcnt(1)
	v_fmac_f32_e32 v25, v82, v50
	v_mul_f32_e32 v50, v66, v54
	s_waitcnt vmcnt(0)
	v_fmac_f32_e32 v26, v83, v50
	s_clause 0x3
	buffer_load_dword v80, off, s[0:3], s32 offset:616
	buffer_load_dword v81, off, s[0:3], s32 offset:620
	buffer_load_dword v82, off, s[0:3], s32 offset:624
	buffer_load_dword v83, off, s[0:3], s32 offset:628
	v_mul_f32_e32 v50, v66, v30
	s_waitcnt vmcnt(3)
	v_fmac_f32_e32 v0, v80, v50
	v_mul_f32_e32 v50, v66, v69
	s_waitcnt vmcnt(2)
	v_fmac_f32_e32 v31, v81, v50
	v_mul_f32_e32 v50, v66, v70
	s_waitcnt vmcnt(1)
	v_fmac_f32_e32 v25, v82, v50
	v_mul_f32_e32 v50, v66, v68
	s_waitcnt vmcnt(0)
	v_fmac_f32_e32 v26, v83, v50
	s_clause 0x3
	buffer_load_dword v80, off, s[0:3], s32 offset:632
	buffer_load_dword v81, off, s[0:3], s32 offset:636
	buffer_load_dword v82, off, s[0:3], s32 offset:640
	buffer_load_dword v83, off, s[0:3], s32 offset:644
	v_mul_f32_e32 v50, v66, v86
	;; [unrolled: 17-line block ×4, first 2 shown]
	s_waitcnt vmcnt(3)
	v_fmac_f32_e32 v0, v80, v50
	v_mul_f32_e32 v50, v66, v117
	s_waitcnt vmcnt(1)
	v_fmac_f32_e32 v25, v82, v39
	v_mul_f32_e32 v39, v66, v116
	v_fmac_f32_e32 v31, v81, v50
	s_waitcnt vmcnt(0)
	v_fmac_f32_e32 v26, v83, v39
	s_clause 0x3
	buffer_load_dword v80, off, s[0:3], s32 offset:680
	buffer_load_dword v81, off, s[0:3], s32 offset:684
	;; [unrolled: 1-line block ×4, first 2 shown]
	v_mul_f32_e32 v39, v66, v45
	s_waitcnt vmcnt(3)
	v_fmac_f32_e32 v0, v80, v39
	v_mul_f32_e32 v39, v66, v44
	s_waitcnt vmcnt(2)
	v_fmac_f32_e32 v31, v81, v39
	;; [unrolled: 3-line block ×4, first 2 shown]
	s_clause 0x3
	buffer_load_dword v80, off, s[0:3], s32 offset:696
	buffer_load_dword v81, off, s[0:3], s32 offset:700
	;; [unrolled: 1-line block ×4, first 2 shown]
	v_mul_f32_e32 v39, v66, v60
	s_waitcnt vmcnt(3)
	v_fmac_f32_e32 v0, v80, v39
	v_mul_f32_e32 v39, v66, v67
	s_clause 0x3
	buffer_load_dword v67, off, s[0:3], s32 offset:712
	buffer_load_dword v68, off, s[0:3], s32 offset:716
	;; [unrolled: 1-line block ×4, first 2 shown]
	s_waitcnt vmcnt(6)
	v_fmac_f32_e32 v31, v81, v39
	v_mul_f32_e32 v39, v66, v61
	s_waitcnt vmcnt(5)
	v_fmac_f32_e32 v25, v82, v39
	s_waitcnt vmcnt(3)
	v_fmac_f32_e32 v0, v67, v36
	;; [unrolled: 2-line block ×3, first 2 shown]
	v_mul_f32_e32 v35, v66, v37
	s_waitcnt vmcnt(1)
	v_fmac_f32_e32 v25, v69, v23
	v_mul_f32_e32 v23, v66, v34
	v_fmac_f32_e32 v26, v83, v35
	s_clause 0x3
	buffer_load_dword v34, off, s[0:3], s32 offset:728
	buffer_load_dword v35, off, s[0:3], s32 offset:732
	;; [unrolled: 1-line block ×4, first 2 shown]
	s_waitcnt vmcnt(3)
	v_fmac_f32_e32 v0, v34, v23
	v_mul_f32_e32 v23, v66, v33
	s_waitcnt vmcnt(1)
	v_fmac_f32_e32 v25, v36, v4
	v_mul_f32_e32 v4, v66, v19
	v_fmac_f32_e32 v31, v35, v23
	s_clause 0x3
	buffer_load_dword v33, off, s[0:3], s32 offset:744
	buffer_load_dword v34, off, s[0:3], s32 offset:748
	;; [unrolled: 1-line block ×4, first 2 shown]
	v_mul_f32_e32 v23, v66, v24
	v_fmac_f32_e32 v26, v70, v23
	s_clause 0x3
	buffer_load_dword v67, off, s[0:3], s32 offset:760
	buffer_load_dword v68, off, s[0:3], s32 offset:764
	;; [unrolled: 1-line block ×4, first 2 shown]
	s_waitcnt vmcnt(7)
	v_fmac_f32_e32 v0, v33, v4
	v_mul_f32_e32 v4, v66, v11
	s_waitcnt vmcnt(6)
	v_fmac_f32_e32 v31, v34, v4
	v_mul_f32_e32 v4, v66, v5
	v_fmac_f32_e32 v26, v37, v4
	v_mul_f32_e32 v4, v66, v18
	s_waitcnt vmcnt(5)
	v_fmac_f32_e32 v25, v35, v4
	v_mul_f32_e32 v4, v66, v15
	s_waitcnt vmcnt(3)
	;; [unrolled: 3-line block ×3, first 2 shown]
	v_fmac_f32_e32 v31, v68, v4
	v_mul_f32_e32 v4, v66, v10
	v_fmac_f32_e32 v26, v36, v4
	s_clause 0x3
	buffer_load_dword v33, off, s[0:3], s32 offset:776
	buffer_load_dword v34, off, s[0:3], s32 offset:780
	;; [unrolled: 1-line block ×4, first 2 shown]
	v_mul_f32_e32 v4, v66, v14
	s_waitcnt vmcnt(5)
	v_fmac_f32_e32 v25, v69, v4
	v_mul_f32_e32 v4, v66, v28
	s_waitcnt vmcnt(3)
	v_fmac_f32_e32 v0, v33, v4
	;; [unrolled: 3-line block ×3, first 2 shown]
	v_mul_f32_e32 v4, v66, v8
	v_fmac_f32_e32 v26, v70, v4
	v_mul_f32_e32 v4, v66, v7
	s_clause 0x3
	buffer_load_dword v7, off, s[0:3], s32 offset:792
	buffer_load_dword v8, off, s[0:3], s32 offset:796
	;; [unrolled: 1-line block ×4, first 2 shown]
	s_waitcnt vmcnt(5)
	v_fmac_f32_e32 v25, v35, v4
	v_mul_f32_e32 v4, v66, v21
	s_waitcnt vmcnt(3)
	v_fmac_f32_e32 v0, v7, v4
	v_mul_f32_e32 v4, v66, v17
	;; [unrolled: 3-line block ×3, first 2 shown]
	v_fmac_f32_e32 v26, v36, v4
	v_mul_f32_e32 v4, v66, v16
	s_waitcnt vmcnt(1)
	v_fmac_f32_e32 v25, v9, v4
	s_clause 0x3
	buffer_load_dword v4, off, s[0:3], s32 offset:808
	buffer_load_dword v5, off, s[0:3], s32 offset:812
	;; [unrolled: 1-line block ×4, first 2 shown]
	s_load_dword s23, s[8:9], 0x0
	s_waitcnt vmcnt(3)
	v_fmac_f32_e32 v0, v4, v3
	s_waitcnt vmcnt(2)
	v_fmac_f32_e32 v31, v5, v2
	v_mul_f32_e32 v2, v66, v12
	v_mul_f32_e32 v3, v66, v32
	v_add_f32_e32 v0, v0, v31
	v_fmac_f32_e32 v26, v10, v2
	buffer_load_dword v2, off, s[0:3], s32 offset:488 ; 4-byte Folded Reload
	s_waitcnt vmcnt(2)
	v_fmac_f32_e32 v25, v6, v3
	s_waitcnt vmcnt(1)
	v_fmac_f32_e32 v26, v7, v1
	buffer_load_dword v1, off, s[0:3], s32 offset:596 ; 4-byte Folded Reload
	v_add_f32_e32 v0, v25, v0
	v_add_f32_e32 v0, v26, v0
	s_waitcnt vmcnt(0)
	v_add_nc_u32_e32 v1, v1, v20
	v_cvt_f32_i32_e32 v1, v1
	v_mul_f32_e32 v1, v2, v1
	v_cndmask_b32_e32 v1, 0, v1, vcc_lo
	v_fmac_f32_e32 v1, v13, v0
	buffer_load_dword v0, off, s[0:3], s32 offset:468 ; 4-byte Folded Reload
	s_waitcnt vmcnt(0)
	v_add_nc_u32_e32 v0, v0, v20
	v_cmp_lt_i32_e64 s5, v0, v88
	s_waitcnt lgkmcnt(0)
	v_add_nc_u32_e32 v0, s23, v52
	v_cndmask_b32_e64 v2, 0, v1, s5
	ds_write_b32 v0, v2
	v_max_f32_e32 v0, v89, v89
	v_max_f32_e32 v0, v0, v1
	v_cndmask_b32_e64 v89, v89, v0, s5
.LBB231_15:                             ;   in Loop: Header=BB231_16 Depth=1
	s_or_b32 exec_lo, exec_lo, s6
	buffer_load_dword v0, off, s[0:3], s32 offset:220 ; 4-byte Folded Reload
	v_add_nc_u32_e32 v49, 4, v49
	v_add_co_u32 v94, s5, v94, 16
	v_add_co_ci_u32_e64 v95, null, 0, v95, s5
	v_add_nc_u32_e32 v20, 0x80, v20
	v_add_nc_u32_e32 v52, 0x200, v52
	s_waitcnt vmcnt(0)
	v_cmp_ge_i32_e64 s5, v49, v0
	s_or_b32 s22, s5, s22
	s_andn2_b32 exec_lo, exec_lo, s22
	s_cbranch_execz .LBB231_656
.LBB231_16:                             ; =>This Inner Loop Header: Depth=1
	s_clause 0x1
	buffer_load_dword v1, off, s[0:3], s32 offset:224
	buffer_load_dword v4, off, s[0:3], s32 offset:216
	v_sub_nc_u32_e32 v0, 0, v20
	v_max_i32_e32 v0, v20, v0
	s_waitcnt vmcnt(1)
	v_mul_hi_u32 v1, v0, v1
	v_mul_lo_u32 v2, v1, v47
	v_sub_nc_u32_e32 v0, v0, v2
	v_add_nc_u32_e32 v2, 1, v1
	v_sub_nc_u32_e32 v3, v0, v47
	v_cmp_ge_u32_e64 s5, v0, v47
	v_cndmask_b32_e64 v1, v1, v2, s5
	v_cndmask_b32_e64 v0, v0, v3, s5
	v_ashrrev_i32_e32 v2, 31, v20
	v_add_nc_u32_e32 v3, 1, v1
	v_cmp_ge_u32_e64 s5, v0, v47
	s_waitcnt vmcnt(0)
	v_xor_b32_e32 v2, v2, v4
	v_cndmask_b32_e64 v0, v1, v3, s5
	v_xor_b32_e32 v0, v0, v2
	v_sub_nc_u32_e32 v0, v0, v2
	s_clause 0x3
	buffer_load_dword v1, off, s[0:3], s32 offset:208
	buffer_load_dword v2, off, s[0:3], s32 offset:212
	;; [unrolled: 1-line block ×4, first 2 shown]
	s_waitcnt vmcnt(3)
	v_add_nc_u32_e32 v1, v0, v1
	s_waitcnt vmcnt(2)
	v_sub_nc_u32_e32 v2, 0, v1
	v_max_i32_e32 v2, v1, v2
	v_ashrrev_i32_e32 v1, 31, v1
	s_waitcnt vmcnt(1)
	v_mul_hi_u32 v3, v2, v3
	s_waitcnt vmcnt(0)
	v_mul_lo_u32 v3, v3, v4
	v_sub_nc_u32_e32 v2, v2, v3
	v_sub_nc_u32_e32 v3, v2, v4
	v_cmp_ge_u32_e64 s5, v2, v4
	v_cndmask_b32_e64 v2, v2, v3, s5
	v_sub_nc_u32_e32 v3, v2, v4
	v_cmp_ge_u32_e64 s5, v2, v4
	v_cndmask_b32_e64 v2, v2, v3, s5
	v_xor_b32_e32 v2, v2, v1
	v_sub_nc_u32_e32 v1, v2, v1
	v_cmp_ne_u32_e64 s5, 0, v1
	buffer_load_dword v1, off, s[0:3], s32 offset:228 ; 4-byte Folded Reload
	s_waitcnt vmcnt(0)
	v_cmp_le_i32_e64 s6, v0, v1
	s_and_b32 s5, s5, s6
	s_and_saveexec_b32 s6, s5
	s_xor_b32 s5, exec_lo, s6
; %bb.17:                               ;   in Loop: Header=BB231_16 Depth=1
	v_add_nc_u32_e32 v0, s17, v52
	v_mov_b32_e32 v1, 0xff7fffff
	ds_write_b32 v0, v1
; %bb.18:                               ;   in Loop: Header=BB231_16 Depth=1
	s_andn2_saveexec_b32 s6, s5
	s_cbranch_execz .LBB231_15
; %bb.19:                               ;   in Loop: Header=BB231_16 Depth=1
	flat_load_dword v0, v[94:95]
	s_clause 0x2
	buffer_load_dword v1, off, s[0:3], s32 offset:456
	buffer_load_dword v2, off, s[0:3], s32 offset:492
	;; [unrolled: 1-line block ×3, first 2 shown]
	s_waitcnt vmcnt(0) lgkmcnt(0)
	v_mad_i64_i32 v[18:19], null, v0, v1, v[2:3]
	flat_load_dword v0, v[18:19]
	s_clause 0x1
	buffer_load_dword v1, off, s[0:3], s32 offset:480
	buffer_load_dword v2, off, s[0:3], s32 offset:484
	s_waitcnt vmcnt(2) lgkmcnt(0)
	v_cmp_ne_u16_sdwa s5, v0, v29 src0_sel:BYTE_0 src1_sel:DWORD
	s_waitcnt vmcnt(0)
	flat_load_dword v66, v[1:2]
	v_mov_b32_e32 v1, 0
	v_mov_b32_e32 v2, 0
	buffer_store_dword v1, off, s[0:3], s32 offset:240 ; 4-byte Folded Spill
	buffer_store_dword v2, off, s[0:3], s32 offset:244 ; 4-byte Folded Spill
	v_mov_b32_e32 v1, 0
	v_mov_b32_e32 v2, 0
	buffer_store_dword v1, off, s[0:3], s32 offset:232 ; 4-byte Folded Spill
	buffer_store_dword v2, off, s[0:3], s32 offset:236 ; 4-byte Folded Spill
	s_and_saveexec_b32 s23, s5
	s_cbranch_execz .LBB231_27
; %bb.20:                               ;   in Loop: Header=BB231_16 Depth=1
	v_bfrev_b32_e32 v1, 1
	v_mov_b32_e32 v2, 0
	v_cmp_ne_u16_sdwa s5, v0, v53 src0_sel:BYTE_0 src1_sel:DWORD
	buffer_store_dword v1, off, s[0:3], s32 offset:232 ; 4-byte Folded Spill
	buffer_store_dword v2, off, s[0:3], s32 offset:236 ; 4-byte Folded Spill
	s_and_saveexec_b32 s24, s5
	s_cbranch_execz .LBB231_26
; %bb.21:                               ;   in Loop: Header=BB231_16 Depth=1
	v_mov_b32_e32 v3, 0x7f800001
	v_and_b32_e32 v2, 0x7f, v0
	v_mov_b32_e32 v4, 0
	s_mov_b32 s25, exec_lo
	buffer_store_dword v3, off, s[0:3], s32 offset:232 ; 4-byte Folded Spill
	buffer_store_dword v4, off, s[0:3], s32 offset:236 ; 4-byte Folded Spill
	v_cmpx_ne_u32_e32 0x7f, v2
	s_cbranch_execz .LBB231_25
; %bb.22:                               ;   in Loop: Header=BB231_16 Depth=1
	v_and_b32_e32 v28, 7, v0
	v_lshrrev_b32_e32 v1, 3, v2
	s_mov_b32 s26, exec_lo
	v_cmpx_gt_u32_e32 8, v2
; %bb.23:                               ;   in Loop: Header=BB231_16 Depth=1
	v_ffbh_u32_e32 v1, v28
	v_min_u32_e32 v1, 32, v1
	v_subrev_nc_u32_e32 v2, 28, v1
	v_sub_nc_u32_e32 v1, 29, v1
	v_lshlrev_b64 v[2:3], v2, v[28:29]
	v_and_b32_e32 v28, 7, v2
; %bb.24:                               ;   in Loop: Header=BB231_16 Depth=1
	s_or_b32 exec_lo, exec_lo, s26
	v_lshlrev_b32_e32 v2, 24, v0
	v_lshlrev_b32_e32 v3, 20, v28
	v_lshl_add_u32 v1, v1, 23, 0x3c000000
	v_and_b32_e32 v2, 0x80000000, v2
	v_or3_b32 v28, v3, v2, v1
	buffer_store_dword v28, off, s[0:3], s32 offset:232 ; 4-byte Folded Spill
	buffer_store_dword v29, off, s[0:3], s32 offset:236 ; 4-byte Folded Spill
.LBB231_25:                             ;   in Loop: Header=BB231_16 Depth=1
	s_or_b32 exec_lo, exec_lo, s25
.LBB231_26:                             ;   in Loop: Header=BB231_16 Depth=1
	s_or_b32 exec_lo, exec_lo, s24
.LBB231_27:                             ;   in Loop: Header=BB231_16 Depth=1
	s_or_b32 exec_lo, exec_lo, s23
	v_cmp_ne_u16_sdwa s5, v0, v29 src0_sel:BYTE_1 src1_sel:DWORD
	s_and_saveexec_b32 s23, s5
	s_cbranch_execz .LBB231_35
; %bb.28:                               ;   in Loop: Header=BB231_16 Depth=1
	v_mov_b32_e32 v37, v29
	v_cmp_ne_u16_sdwa s5, v0, v53 src0_sel:BYTE_1 src1_sel:DWORD
	buffer_store_dword v37, off, s[0:3], s32 offset:240 ; 4-byte Folded Spill
	buffer_store_dword v38, off, s[0:3], s32 offset:244 ; 4-byte Folded Spill
	s_and_saveexec_b32 s24, s5
	s_cbranch_execz .LBB231_34
; %bb.29:                               ;   in Loop: Header=BB231_16 Depth=1
	v_mov_b32_e32 v1, 0xffff
	v_mov_b32_e32 v70, v29
	s_mov_b32 s25, exec_lo
	buffer_store_dword v70, off, s[0:3], s32 offset:240 ; 4-byte Folded Spill
	buffer_store_dword v71, off, s[0:3], s32 offset:244 ; 4-byte Folded Spill
	v_and_b32_sdwa v1, v1, v0 dst_sel:DWORD dst_unused:UNUSED_PAD src0_sel:DWORD src1_sel:BYTE_1
	v_and_b32_e32 v2, 0x7f, v1
	v_cmpx_ne_u32_e32 0x7f, v2
	s_cbranch_execz .LBB231_33
; %bb.30:                               ;   in Loop: Header=BB231_16 Depth=1
	v_and_b32_e32 v28, 7, v1
	v_lshrrev_b32_e32 v1, 3, v2
	s_mov_b32 s26, exec_lo
	v_cmpx_gt_u32_e32 8, v2
; %bb.31:                               ;   in Loop: Header=BB231_16 Depth=1
	v_ffbh_u32_e32 v1, v28
	v_min_u32_e32 v1, 32, v1
	v_subrev_nc_u32_e32 v2, 28, v1
	v_sub_nc_u32_e32 v1, 29, v1
	v_lshlrev_b64 v[2:3], v2, v[28:29]
	v_and_b32_e32 v28, 7, v2
; %bb.32:                               ;   in Loop: Header=BB231_16 Depth=1
	s_or_b32 exec_lo, exec_lo, s26
	v_lshlrev_b32_e32 v2, 16, v0
	v_lshlrev_b32_e32 v3, 20, v28
	v_lshl_add_u32 v1, v1, 23, 0x3c000000
	v_and_b32_e32 v2, 0x80000000, v2
	v_or3_b32 v2, v3, v2, v1
	v_mov_b32_e32 v1, v29
	buffer_store_dword v1, off, s[0:3], s32 offset:240 ; 4-byte Folded Spill
	buffer_store_dword v2, off, s[0:3], s32 offset:244 ; 4-byte Folded Spill
.LBB231_33:                             ;   in Loop: Header=BB231_16 Depth=1
	s_or_b32 exec_lo, exec_lo, s25
.LBB231_34:                             ;   in Loop: Header=BB231_16 Depth=1
	s_or_b32 exec_lo, exec_lo, s24
.LBB231_35:                             ;   in Loop: Header=BB231_16 Depth=1
	s_or_b32 exec_lo, exec_lo, s23
	v_mov_b32_e32 v2, 0
	v_mov_b32_e32 v3, 0
	v_and_b32_sdwa v1, v0, v48 dst_sel:DWORD dst_unused:UNUSED_PAD src0_sel:WORD_1 src1_sel:DWORD
	s_mov_b32 s23, exec_lo
	buffer_store_dword v2, off, s[0:3], s32 offset:248 ; 4-byte Folded Spill
	buffer_store_dword v3, off, s[0:3], s32 offset:252 ; 4-byte Folded Spill
	v_mov_b32_e32 v2, 0
	v_mov_b32_e32 v3, 0
	buffer_store_dword v2, off, s[0:3], s32 offset:256 ; 4-byte Folded Spill
	buffer_store_dword v3, off, s[0:3], s32 offset:260 ; 4-byte Folded Spill
	v_cmpx_ne_u16_e32 0, v1
	s_cbranch_execz .LBB231_43
; %bb.36:                               ;   in Loop: Header=BB231_16 Depth=1
	v_cmp_ne_u16_e64 s5, 0x80, v1
	v_bfrev_b32_e32 v1, 1
	v_mov_b32_e32 v2, 0
	buffer_store_dword v1, off, s[0:3], s32 offset:256 ; 4-byte Folded Spill
	buffer_store_dword v2, off, s[0:3], s32 offset:260 ; 4-byte Folded Spill
	s_and_saveexec_b32 s24, s5
	s_cbranch_execz .LBB231_42
; %bb.37:                               ;   in Loop: Header=BB231_16 Depth=1
	v_mov_b32_e32 v3, 0x7f800001
	v_bfe_u32 v2, v0, 16, 7
	v_mov_b32_e32 v4, 0
	s_mov_b32 s25, exec_lo
	buffer_store_dword v3, off, s[0:3], s32 offset:256 ; 4-byte Folded Spill
	buffer_store_dword v4, off, s[0:3], s32 offset:260 ; 4-byte Folded Spill
	v_cmpx_ne_u32_e32 0x7f, v2
	s_cbranch_execz .LBB231_41
; %bb.38:                               ;   in Loop: Header=BB231_16 Depth=1
	v_mov_b32_e32 v1, 7
	s_mov_b32 s26, exec_lo
	v_and_b32_sdwa v28, v0, v1 dst_sel:DWORD dst_unused:UNUSED_PAD src0_sel:WORD_1 src1_sel:DWORD
	v_lshrrev_b32_e32 v1, 3, v2
	v_cmpx_gt_u32_e32 8, v2
; %bb.39:                               ;   in Loop: Header=BB231_16 Depth=1
	v_ffbh_u32_e32 v1, v28
	v_min_u32_e32 v1, 32, v1
	v_subrev_nc_u32_e32 v2, 28, v1
	v_sub_nc_u32_e32 v1, 29, v1
	v_lshlrev_b64 v[2:3], v2, v[28:29]
	v_and_b32_e32 v28, 7, v2
; %bb.40:                               ;   in Loop: Header=BB231_16 Depth=1
	s_or_b32 exec_lo, exec_lo, s26
	v_mov_b32_e32 v2, 24
	v_lshlrev_b32_e32 v3, 20, v28
	v_lshl_add_u32 v1, v1, 23, 0x3c000000
	v_lshlrev_b32_sdwa v2, v2, v0 dst_sel:DWORD dst_unused:UNUSED_PAD src0_sel:DWORD src1_sel:WORD_1
	v_and_b32_e32 v2, 0x80000000, v2
	v_or3_b32 v28, v3, v2, v1
	buffer_store_dword v28, off, s[0:3], s32 offset:256 ; 4-byte Folded Spill
	buffer_store_dword v29, off, s[0:3], s32 offset:260 ; 4-byte Folded Spill
.LBB231_41:                             ;   in Loop: Header=BB231_16 Depth=1
	s_or_b32 exec_lo, exec_lo, s25
.LBB231_42:                             ;   in Loop: Header=BB231_16 Depth=1
	s_or_b32 exec_lo, exec_lo, s24
.LBB231_43:                             ;   in Loop: Header=BB231_16 Depth=1
	s_or_b32 exec_lo, exec_lo, s23
	s_mov_b32 s23, exec_lo
	v_cmpx_lt_u32_e32 0xffffff, v0
	s_cbranch_execz .LBB231_51
; %bb.44:                               ;   in Loop: Header=BB231_16 Depth=1
	v_mov_b32_e32 v37, v29
	v_cmp_ne_u32_sdwa s5, v0, v53 src0_sel:BYTE_3 src1_sel:DWORD
	buffer_store_dword v37, off, s[0:3], s32 offset:248 ; 4-byte Folded Spill
	buffer_store_dword v38, off, s[0:3], s32 offset:252 ; 4-byte Folded Spill
	s_and_saveexec_b32 s24, s5
	s_cbranch_execz .LBB231_50
; %bb.45:                               ;   in Loop: Header=BB231_16 Depth=1
	v_bfe_u32 v2, v0, 24, 7
	v_mov_b32_e32 v70, v29
	s_mov_b32 s25, exec_lo
	buffer_store_dword v70, off, s[0:3], s32 offset:248 ; 4-byte Folded Spill
	buffer_store_dword v71, off, s[0:3], s32 offset:252 ; 4-byte Folded Spill
	v_cmpx_ne_u32_e32 0x7f, v2
	s_cbranch_execz .LBB231_49
; %bb.46:                               ;   in Loop: Header=BB231_16 Depth=1
	v_mov_b32_e32 v1, 7
	s_mov_b32 s26, exec_lo
	v_and_b32_sdwa v28, v0, v1 dst_sel:DWORD dst_unused:UNUSED_PAD src0_sel:BYTE_3 src1_sel:DWORD
	v_lshrrev_b32_e32 v1, 3, v2
	v_cmpx_gt_u32_e32 8, v2
; %bb.47:                               ;   in Loop: Header=BB231_16 Depth=1
	v_ffbh_u32_e32 v1, v28
	v_min_u32_e32 v1, 32, v1
	v_subrev_nc_u32_e32 v2, 28, v1
	v_sub_nc_u32_e32 v1, 29, v1
	v_lshlrev_b64 v[2:3], v2, v[28:29]
	v_and_b32_e32 v28, 7, v2
; %bb.48:                               ;   in Loop: Header=BB231_16 Depth=1
	s_or_b32 exec_lo, exec_lo, s26
	v_mov_b32_e32 v2, 24
	v_lshl_add_u32 v1, v1, 23, 0x3c000000
	v_lshlrev_b32_sdwa v0, v2, v0 dst_sel:DWORD dst_unused:UNUSED_PAD src0_sel:DWORD src1_sel:BYTE_3
	v_lshlrev_b32_e32 v2, 20, v28
	v_and_b32_e32 v0, 0x80000000, v0
	v_or3_b32 v1, v2, v0, v1
	v_mov_b32_e32 v0, v29
	buffer_store_dword v0, off, s[0:3], s32 offset:248 ; 4-byte Folded Spill
	buffer_store_dword v1, off, s[0:3], s32 offset:252 ; 4-byte Folded Spill
.LBB231_49:                             ;   in Loop: Header=BB231_16 Depth=1
	s_or_b32 exec_lo, exec_lo, s25
.LBB231_50:                             ;   in Loop: Header=BB231_16 Depth=1
	s_or_b32 exec_lo, exec_lo, s24
.LBB231_51:                             ;   in Loop: Header=BB231_16 Depth=1
	s_or_b32 exec_lo, exec_lo, s23
	flat_load_dword v0, v[18:19] offset:4
	v_mov_b32_e32 v1, 0
	v_mov_b32_e32 v2, 0
	buffer_store_dword v1, off, s[0:3], s32 offset:272 ; 4-byte Folded Spill
	buffer_store_dword v2, off, s[0:3], s32 offset:276 ; 4-byte Folded Spill
	v_mov_b32_e32 v1, 0
	v_mov_b32_e32 v2, 0
	buffer_store_dword v1, off, s[0:3], s32 offset:264 ; 4-byte Folded Spill
	buffer_store_dword v2, off, s[0:3], s32 offset:268 ; 4-byte Folded Spill
	s_waitcnt vmcnt(0) lgkmcnt(0)
	v_cmp_ne_u16_sdwa s5, v0, v29 src0_sel:BYTE_0 src1_sel:DWORD
	s_and_saveexec_b32 s23, s5
	s_cbranch_execz .LBB231_59
; %bb.52:                               ;   in Loop: Header=BB231_16 Depth=1
	v_bfrev_b32_e32 v1, 1
	v_mov_b32_e32 v2, 0
	v_cmp_ne_u16_sdwa s5, v0, v53 src0_sel:BYTE_0 src1_sel:DWORD
	buffer_store_dword v1, off, s[0:3], s32 offset:264 ; 4-byte Folded Spill
	buffer_store_dword v2, off, s[0:3], s32 offset:268 ; 4-byte Folded Spill
	s_and_saveexec_b32 s24, s5
	s_cbranch_execz .LBB231_58
; %bb.53:                               ;   in Loop: Header=BB231_16 Depth=1
	v_mov_b32_e32 v3, 0x7f800001
	v_and_b32_e32 v2, 0x7f, v0
	v_mov_b32_e32 v4, 0
	s_mov_b32 s25, exec_lo
	buffer_store_dword v3, off, s[0:3], s32 offset:264 ; 4-byte Folded Spill
	buffer_store_dword v4, off, s[0:3], s32 offset:268 ; 4-byte Folded Spill
	v_cmpx_ne_u32_e32 0x7f, v2
	s_cbranch_execz .LBB231_57
; %bb.54:                               ;   in Loop: Header=BB231_16 Depth=1
	v_and_b32_e32 v28, 7, v0
	v_lshrrev_b32_e32 v1, 3, v2
	s_mov_b32 s26, exec_lo
	v_cmpx_gt_u32_e32 8, v2
; %bb.55:                               ;   in Loop: Header=BB231_16 Depth=1
	v_ffbh_u32_e32 v1, v28
	v_min_u32_e32 v1, 32, v1
	v_subrev_nc_u32_e32 v2, 28, v1
	v_sub_nc_u32_e32 v1, 29, v1
	v_lshlrev_b64 v[2:3], v2, v[28:29]
	v_and_b32_e32 v28, 7, v2
; %bb.56:                               ;   in Loop: Header=BB231_16 Depth=1
	s_or_b32 exec_lo, exec_lo, s26
	v_lshlrev_b32_e32 v2, 24, v0
	v_lshlrev_b32_e32 v3, 20, v28
	v_lshl_add_u32 v1, v1, 23, 0x3c000000
	v_and_b32_e32 v2, 0x80000000, v2
	v_or3_b32 v28, v3, v2, v1
	buffer_store_dword v28, off, s[0:3], s32 offset:264 ; 4-byte Folded Spill
	buffer_store_dword v29, off, s[0:3], s32 offset:268 ; 4-byte Folded Spill
.LBB231_57:                             ;   in Loop: Header=BB231_16 Depth=1
	s_or_b32 exec_lo, exec_lo, s25
.LBB231_58:                             ;   in Loop: Header=BB231_16 Depth=1
	s_or_b32 exec_lo, exec_lo, s24
.LBB231_59:                             ;   in Loop: Header=BB231_16 Depth=1
	s_or_b32 exec_lo, exec_lo, s23
	v_cmp_ne_u16_sdwa s5, v0, v29 src0_sel:BYTE_1 src1_sel:DWORD
	s_and_saveexec_b32 s23, s5
	s_cbranch_execz .LBB231_67
; %bb.60:                               ;   in Loop: Header=BB231_16 Depth=1
	v_mov_b32_e32 v37, v29
	v_cmp_ne_u16_sdwa s5, v0, v53 src0_sel:BYTE_1 src1_sel:DWORD
	buffer_store_dword v37, off, s[0:3], s32 offset:272 ; 4-byte Folded Spill
	buffer_store_dword v38, off, s[0:3], s32 offset:276 ; 4-byte Folded Spill
	s_and_saveexec_b32 s24, s5
	s_cbranch_execz .LBB231_66
; %bb.61:                               ;   in Loop: Header=BB231_16 Depth=1
	v_mov_b32_e32 v1, 0xffff
	v_mov_b32_e32 v70, v29
	s_mov_b32 s25, exec_lo
	buffer_store_dword v70, off, s[0:3], s32 offset:272 ; 4-byte Folded Spill
	buffer_store_dword v71, off, s[0:3], s32 offset:276 ; 4-byte Folded Spill
	v_and_b32_sdwa v1, v1, v0 dst_sel:DWORD dst_unused:UNUSED_PAD src0_sel:DWORD src1_sel:BYTE_1
	v_and_b32_e32 v2, 0x7f, v1
	v_cmpx_ne_u32_e32 0x7f, v2
	s_cbranch_execz .LBB231_65
; %bb.62:                               ;   in Loop: Header=BB231_16 Depth=1
	v_and_b32_e32 v28, 7, v1
	v_lshrrev_b32_e32 v1, 3, v2
	s_mov_b32 s26, exec_lo
	v_cmpx_gt_u32_e32 8, v2
; %bb.63:                               ;   in Loop: Header=BB231_16 Depth=1
	v_ffbh_u32_e32 v1, v28
	v_min_u32_e32 v1, 32, v1
	v_subrev_nc_u32_e32 v2, 28, v1
	v_sub_nc_u32_e32 v1, 29, v1
	v_lshlrev_b64 v[2:3], v2, v[28:29]
	v_and_b32_e32 v28, 7, v2
; %bb.64:                               ;   in Loop: Header=BB231_16 Depth=1
	s_or_b32 exec_lo, exec_lo, s26
	v_lshlrev_b32_e32 v2, 16, v0
	v_lshlrev_b32_e32 v3, 20, v28
	v_lshl_add_u32 v1, v1, 23, 0x3c000000
	v_and_b32_e32 v2, 0x80000000, v2
	v_or3_b32 v2, v3, v2, v1
	v_mov_b32_e32 v1, v29
	buffer_store_dword v1, off, s[0:3], s32 offset:272 ; 4-byte Folded Spill
	buffer_store_dword v2, off, s[0:3], s32 offset:276 ; 4-byte Folded Spill
.LBB231_65:                             ;   in Loop: Header=BB231_16 Depth=1
	s_or_b32 exec_lo, exec_lo, s25
.LBB231_66:                             ;   in Loop: Header=BB231_16 Depth=1
	s_or_b32 exec_lo, exec_lo, s24
.LBB231_67:                             ;   in Loop: Header=BB231_16 Depth=1
	s_or_b32 exec_lo, exec_lo, s23
	v_mov_b32_e32 v2, 0
	v_mov_b32_e32 v3, 0
	v_and_b32_sdwa v1, v0, v48 dst_sel:DWORD dst_unused:UNUSED_PAD src0_sel:WORD_1 src1_sel:DWORD
	s_mov_b32 s23, exec_lo
	buffer_store_dword v2, off, s[0:3], s32 offset:280 ; 4-byte Folded Spill
	buffer_store_dword v3, off, s[0:3], s32 offset:284 ; 4-byte Folded Spill
	v_mov_b32_e32 v2, 0
	v_mov_b32_e32 v3, 0
	buffer_store_dword v2, off, s[0:3], s32 offset:288 ; 4-byte Folded Spill
	buffer_store_dword v3, off, s[0:3], s32 offset:292 ; 4-byte Folded Spill
	v_cmpx_ne_u16_e32 0, v1
	s_cbranch_execz .LBB231_75
; %bb.68:                               ;   in Loop: Header=BB231_16 Depth=1
	v_cmp_ne_u16_e64 s5, 0x80, v1
	v_bfrev_b32_e32 v1, 1
	v_mov_b32_e32 v2, 0
	buffer_store_dword v1, off, s[0:3], s32 offset:288 ; 4-byte Folded Spill
	buffer_store_dword v2, off, s[0:3], s32 offset:292 ; 4-byte Folded Spill
	s_and_saveexec_b32 s24, s5
	s_cbranch_execz .LBB231_74
; %bb.69:                               ;   in Loop: Header=BB231_16 Depth=1
	v_mov_b32_e32 v3, 0x7f800001
	v_bfe_u32 v2, v0, 16, 7
	v_mov_b32_e32 v4, 0
	s_mov_b32 s25, exec_lo
	buffer_store_dword v3, off, s[0:3], s32 offset:288 ; 4-byte Folded Spill
	buffer_store_dword v4, off, s[0:3], s32 offset:292 ; 4-byte Folded Spill
	v_cmpx_ne_u32_e32 0x7f, v2
	s_cbranch_execz .LBB231_73
; %bb.70:                               ;   in Loop: Header=BB231_16 Depth=1
	v_mov_b32_e32 v1, 7
	s_mov_b32 s26, exec_lo
	v_and_b32_sdwa v28, v0, v1 dst_sel:DWORD dst_unused:UNUSED_PAD src0_sel:WORD_1 src1_sel:DWORD
	v_lshrrev_b32_e32 v1, 3, v2
	v_cmpx_gt_u32_e32 8, v2
; %bb.71:                               ;   in Loop: Header=BB231_16 Depth=1
	v_ffbh_u32_e32 v1, v28
	v_min_u32_e32 v1, 32, v1
	v_subrev_nc_u32_e32 v2, 28, v1
	v_sub_nc_u32_e32 v1, 29, v1
	v_lshlrev_b64 v[2:3], v2, v[28:29]
	v_and_b32_e32 v28, 7, v2
; %bb.72:                               ;   in Loop: Header=BB231_16 Depth=1
	s_or_b32 exec_lo, exec_lo, s26
	v_mov_b32_e32 v2, 24
	v_lshlrev_b32_e32 v3, 20, v28
	v_lshl_add_u32 v1, v1, 23, 0x3c000000
	v_lshlrev_b32_sdwa v2, v2, v0 dst_sel:DWORD dst_unused:UNUSED_PAD src0_sel:DWORD src1_sel:WORD_1
	v_and_b32_e32 v2, 0x80000000, v2
	v_or3_b32 v28, v3, v2, v1
	buffer_store_dword v28, off, s[0:3], s32 offset:288 ; 4-byte Folded Spill
	buffer_store_dword v29, off, s[0:3], s32 offset:292 ; 4-byte Folded Spill
.LBB231_73:                             ;   in Loop: Header=BB231_16 Depth=1
	s_or_b32 exec_lo, exec_lo, s25
.LBB231_74:                             ;   in Loop: Header=BB231_16 Depth=1
	s_or_b32 exec_lo, exec_lo, s24
.LBB231_75:                             ;   in Loop: Header=BB231_16 Depth=1
	s_or_b32 exec_lo, exec_lo, s23
	s_mov_b32 s23, exec_lo
	v_cmpx_lt_u32_e32 0xffffff, v0
	s_cbranch_execz .LBB231_83
; %bb.76:                               ;   in Loop: Header=BB231_16 Depth=1
	v_mov_b32_e32 v37, v29
	v_cmp_ne_u32_sdwa s5, v0, v53 src0_sel:BYTE_3 src1_sel:DWORD
	buffer_store_dword v37, off, s[0:3], s32 offset:280 ; 4-byte Folded Spill
	buffer_store_dword v38, off, s[0:3], s32 offset:284 ; 4-byte Folded Spill
	s_and_saveexec_b32 s24, s5
	s_cbranch_execz .LBB231_82
; %bb.77:                               ;   in Loop: Header=BB231_16 Depth=1
	v_bfe_u32 v2, v0, 24, 7
	v_mov_b32_e32 v70, v29
	s_mov_b32 s25, exec_lo
	buffer_store_dword v70, off, s[0:3], s32 offset:280 ; 4-byte Folded Spill
	buffer_store_dword v71, off, s[0:3], s32 offset:284 ; 4-byte Folded Spill
	v_cmpx_ne_u32_e32 0x7f, v2
	s_cbranch_execz .LBB231_81
; %bb.78:                               ;   in Loop: Header=BB231_16 Depth=1
	v_mov_b32_e32 v1, 7
	s_mov_b32 s26, exec_lo
	v_and_b32_sdwa v28, v0, v1 dst_sel:DWORD dst_unused:UNUSED_PAD src0_sel:BYTE_3 src1_sel:DWORD
	v_lshrrev_b32_e32 v1, 3, v2
	v_cmpx_gt_u32_e32 8, v2
; %bb.79:                               ;   in Loop: Header=BB231_16 Depth=1
	v_ffbh_u32_e32 v1, v28
	v_min_u32_e32 v1, 32, v1
	v_subrev_nc_u32_e32 v2, 28, v1
	v_sub_nc_u32_e32 v1, 29, v1
	v_lshlrev_b64 v[2:3], v2, v[28:29]
	v_and_b32_e32 v28, 7, v2
; %bb.80:                               ;   in Loop: Header=BB231_16 Depth=1
	s_or_b32 exec_lo, exec_lo, s26
	v_mov_b32_e32 v2, 24
	v_lshl_add_u32 v1, v1, 23, 0x3c000000
	v_lshlrev_b32_sdwa v0, v2, v0 dst_sel:DWORD dst_unused:UNUSED_PAD src0_sel:DWORD src1_sel:BYTE_3
	v_lshlrev_b32_e32 v2, 20, v28
	v_and_b32_e32 v0, 0x80000000, v0
	v_or3_b32 v1, v2, v0, v1
	v_mov_b32_e32 v0, v29
	buffer_store_dword v0, off, s[0:3], s32 offset:280 ; 4-byte Folded Spill
	buffer_store_dword v1, off, s[0:3], s32 offset:284 ; 4-byte Folded Spill
.LBB231_81:                             ;   in Loop: Header=BB231_16 Depth=1
	s_or_b32 exec_lo, exec_lo, s25
.LBB231_82:                             ;   in Loop: Header=BB231_16 Depth=1
	s_or_b32 exec_lo, exec_lo, s24
.LBB231_83:                             ;   in Loop: Header=BB231_16 Depth=1
	s_or_b32 exec_lo, exec_lo, s23
	flat_load_dword v0, v[18:19] offset:8
	v_mov_b32_e32 v1, 0
	v_mov_b32_e32 v2, 0
	buffer_store_dword v1, off, s[0:3], s32 offset:304 ; 4-byte Folded Spill
	buffer_store_dword v2, off, s[0:3], s32 offset:308 ; 4-byte Folded Spill
	v_mov_b32_e32 v1, 0
	v_mov_b32_e32 v2, 0
	buffer_store_dword v1, off, s[0:3], s32 offset:296 ; 4-byte Folded Spill
	buffer_store_dword v2, off, s[0:3], s32 offset:300 ; 4-byte Folded Spill
	s_waitcnt vmcnt(0) lgkmcnt(0)
	v_cmp_ne_u16_sdwa s5, v0, v29 src0_sel:BYTE_0 src1_sel:DWORD
	s_and_saveexec_b32 s23, s5
	s_cbranch_execz .LBB231_91
; %bb.84:                               ;   in Loop: Header=BB231_16 Depth=1
	v_bfrev_b32_e32 v1, 1
	v_mov_b32_e32 v2, 0
	v_cmp_ne_u16_sdwa s5, v0, v53 src0_sel:BYTE_0 src1_sel:DWORD
	buffer_store_dword v1, off, s[0:3], s32 offset:296 ; 4-byte Folded Spill
	buffer_store_dword v2, off, s[0:3], s32 offset:300 ; 4-byte Folded Spill
	s_and_saveexec_b32 s24, s5
	s_cbranch_execz .LBB231_90
; %bb.85:                               ;   in Loop: Header=BB231_16 Depth=1
	v_mov_b32_e32 v3, 0x7f800001
	v_and_b32_e32 v2, 0x7f, v0
	v_mov_b32_e32 v4, 0
	s_mov_b32 s25, exec_lo
	buffer_store_dword v3, off, s[0:3], s32 offset:296 ; 4-byte Folded Spill
	buffer_store_dword v4, off, s[0:3], s32 offset:300 ; 4-byte Folded Spill
	v_cmpx_ne_u32_e32 0x7f, v2
	s_cbranch_execz .LBB231_89
; %bb.86:                               ;   in Loop: Header=BB231_16 Depth=1
	v_and_b32_e32 v28, 7, v0
	v_lshrrev_b32_e32 v1, 3, v2
	s_mov_b32 s26, exec_lo
	v_cmpx_gt_u32_e32 8, v2
; %bb.87:                               ;   in Loop: Header=BB231_16 Depth=1
	v_ffbh_u32_e32 v1, v28
	v_min_u32_e32 v1, 32, v1
	v_subrev_nc_u32_e32 v2, 28, v1
	v_sub_nc_u32_e32 v1, 29, v1
	v_lshlrev_b64 v[2:3], v2, v[28:29]
	v_and_b32_e32 v28, 7, v2
; %bb.88:                               ;   in Loop: Header=BB231_16 Depth=1
	s_or_b32 exec_lo, exec_lo, s26
	v_lshlrev_b32_e32 v2, 24, v0
	v_lshlrev_b32_e32 v3, 20, v28
	v_lshl_add_u32 v1, v1, 23, 0x3c000000
	v_and_b32_e32 v2, 0x80000000, v2
	v_or3_b32 v28, v3, v2, v1
	buffer_store_dword v28, off, s[0:3], s32 offset:296 ; 4-byte Folded Spill
	buffer_store_dword v29, off, s[0:3], s32 offset:300 ; 4-byte Folded Spill
.LBB231_89:                             ;   in Loop: Header=BB231_16 Depth=1
	s_or_b32 exec_lo, exec_lo, s25
.LBB231_90:                             ;   in Loop: Header=BB231_16 Depth=1
	s_or_b32 exec_lo, exec_lo, s24
.LBB231_91:                             ;   in Loop: Header=BB231_16 Depth=1
	s_or_b32 exec_lo, exec_lo, s23
	v_cmp_ne_u16_sdwa s5, v0, v29 src0_sel:BYTE_1 src1_sel:DWORD
	s_and_saveexec_b32 s23, s5
	s_cbranch_execz .LBB231_99
; %bb.92:                               ;   in Loop: Header=BB231_16 Depth=1
	v_mov_b32_e32 v37, v29
	v_cmp_ne_u16_sdwa s5, v0, v53 src0_sel:BYTE_1 src1_sel:DWORD
	buffer_store_dword v37, off, s[0:3], s32 offset:304 ; 4-byte Folded Spill
	buffer_store_dword v38, off, s[0:3], s32 offset:308 ; 4-byte Folded Spill
	s_and_saveexec_b32 s24, s5
	s_cbranch_execz .LBB231_98
; %bb.93:                               ;   in Loop: Header=BB231_16 Depth=1
	v_mov_b32_e32 v1, 0xffff
	v_mov_b32_e32 v70, v29
	s_mov_b32 s25, exec_lo
	buffer_store_dword v70, off, s[0:3], s32 offset:304 ; 4-byte Folded Spill
	buffer_store_dword v71, off, s[0:3], s32 offset:308 ; 4-byte Folded Spill
	v_and_b32_sdwa v1, v1, v0 dst_sel:DWORD dst_unused:UNUSED_PAD src0_sel:DWORD src1_sel:BYTE_1
	v_and_b32_e32 v2, 0x7f, v1
	v_cmpx_ne_u32_e32 0x7f, v2
	s_cbranch_execz .LBB231_97
; %bb.94:                               ;   in Loop: Header=BB231_16 Depth=1
	v_and_b32_e32 v28, 7, v1
	v_lshrrev_b32_e32 v1, 3, v2
	s_mov_b32 s26, exec_lo
	v_cmpx_gt_u32_e32 8, v2
; %bb.95:                               ;   in Loop: Header=BB231_16 Depth=1
	v_ffbh_u32_e32 v1, v28
	v_min_u32_e32 v1, 32, v1
	v_subrev_nc_u32_e32 v2, 28, v1
	v_sub_nc_u32_e32 v1, 29, v1
	v_lshlrev_b64 v[2:3], v2, v[28:29]
	v_and_b32_e32 v28, 7, v2
; %bb.96:                               ;   in Loop: Header=BB231_16 Depth=1
	s_or_b32 exec_lo, exec_lo, s26
	v_lshlrev_b32_e32 v2, 16, v0
	v_lshlrev_b32_e32 v3, 20, v28
	v_lshl_add_u32 v1, v1, 23, 0x3c000000
	v_and_b32_e32 v2, 0x80000000, v2
	v_or3_b32 v2, v3, v2, v1
	v_mov_b32_e32 v1, v29
	buffer_store_dword v1, off, s[0:3], s32 offset:304 ; 4-byte Folded Spill
	buffer_store_dword v2, off, s[0:3], s32 offset:308 ; 4-byte Folded Spill
.LBB231_97:                             ;   in Loop: Header=BB231_16 Depth=1
	s_or_b32 exec_lo, exec_lo, s25
.LBB231_98:                             ;   in Loop: Header=BB231_16 Depth=1
	s_or_b32 exec_lo, exec_lo, s24
.LBB231_99:                             ;   in Loop: Header=BB231_16 Depth=1
	s_or_b32 exec_lo, exec_lo, s23
	v_mov_b32_e32 v2, 0
	v_mov_b32_e32 v3, 0
	v_and_b32_sdwa v1, v0, v48 dst_sel:DWORD dst_unused:UNUSED_PAD src0_sel:WORD_1 src1_sel:DWORD
	s_mov_b32 s23, exec_lo
	buffer_store_dword v2, off, s[0:3], s32 offset:312 ; 4-byte Folded Spill
	buffer_store_dword v3, off, s[0:3], s32 offset:316 ; 4-byte Folded Spill
	v_mov_b32_e32 v2, 0
	v_mov_b32_e32 v3, 0
	buffer_store_dword v2, off, s[0:3], s32 offset:320 ; 4-byte Folded Spill
	buffer_store_dword v3, off, s[0:3], s32 offset:324 ; 4-byte Folded Spill
	v_cmpx_ne_u16_e32 0, v1
	s_cbranch_execz .LBB231_107
; %bb.100:                              ;   in Loop: Header=BB231_16 Depth=1
	v_cmp_ne_u16_e64 s5, 0x80, v1
	v_bfrev_b32_e32 v1, 1
	v_mov_b32_e32 v2, 0
	buffer_store_dword v1, off, s[0:3], s32 offset:320 ; 4-byte Folded Spill
	buffer_store_dword v2, off, s[0:3], s32 offset:324 ; 4-byte Folded Spill
	s_and_saveexec_b32 s24, s5
	s_cbranch_execz .LBB231_106
; %bb.101:                              ;   in Loop: Header=BB231_16 Depth=1
	v_mov_b32_e32 v3, 0x7f800001
	v_bfe_u32 v2, v0, 16, 7
	v_mov_b32_e32 v4, 0
	s_mov_b32 s25, exec_lo
	buffer_store_dword v3, off, s[0:3], s32 offset:320 ; 4-byte Folded Spill
	buffer_store_dword v4, off, s[0:3], s32 offset:324 ; 4-byte Folded Spill
	v_cmpx_ne_u32_e32 0x7f, v2
	s_cbranch_execz .LBB231_105
; %bb.102:                              ;   in Loop: Header=BB231_16 Depth=1
	v_mov_b32_e32 v1, 7
	s_mov_b32 s26, exec_lo
	v_and_b32_sdwa v28, v0, v1 dst_sel:DWORD dst_unused:UNUSED_PAD src0_sel:WORD_1 src1_sel:DWORD
	v_lshrrev_b32_e32 v1, 3, v2
	v_cmpx_gt_u32_e32 8, v2
; %bb.103:                              ;   in Loop: Header=BB231_16 Depth=1
	v_ffbh_u32_e32 v1, v28
	v_min_u32_e32 v1, 32, v1
	v_subrev_nc_u32_e32 v2, 28, v1
	v_sub_nc_u32_e32 v1, 29, v1
	v_lshlrev_b64 v[2:3], v2, v[28:29]
	v_and_b32_e32 v28, 7, v2
; %bb.104:                              ;   in Loop: Header=BB231_16 Depth=1
	s_or_b32 exec_lo, exec_lo, s26
	v_mov_b32_e32 v2, 24
	v_lshlrev_b32_e32 v3, 20, v28
	v_lshl_add_u32 v1, v1, 23, 0x3c000000
	v_lshlrev_b32_sdwa v2, v2, v0 dst_sel:DWORD dst_unused:UNUSED_PAD src0_sel:DWORD src1_sel:WORD_1
	v_and_b32_e32 v2, 0x80000000, v2
	v_or3_b32 v28, v3, v2, v1
	buffer_store_dword v28, off, s[0:3], s32 offset:320 ; 4-byte Folded Spill
	buffer_store_dword v29, off, s[0:3], s32 offset:324 ; 4-byte Folded Spill
.LBB231_105:                            ;   in Loop: Header=BB231_16 Depth=1
	s_or_b32 exec_lo, exec_lo, s25
.LBB231_106:                            ;   in Loop: Header=BB231_16 Depth=1
	s_or_b32 exec_lo, exec_lo, s24
.LBB231_107:                            ;   in Loop: Header=BB231_16 Depth=1
	s_or_b32 exec_lo, exec_lo, s23
	s_mov_b32 s23, exec_lo
	v_cmpx_lt_u32_e32 0xffffff, v0
	s_cbranch_execz .LBB231_115
; %bb.108:                              ;   in Loop: Header=BB231_16 Depth=1
	v_mov_b32_e32 v37, v29
	v_cmp_ne_u32_sdwa s5, v0, v53 src0_sel:BYTE_3 src1_sel:DWORD
	buffer_store_dword v37, off, s[0:3], s32 offset:312 ; 4-byte Folded Spill
	buffer_store_dword v38, off, s[0:3], s32 offset:316 ; 4-byte Folded Spill
	s_and_saveexec_b32 s24, s5
	s_cbranch_execz .LBB231_114
; %bb.109:                              ;   in Loop: Header=BB231_16 Depth=1
	v_bfe_u32 v2, v0, 24, 7
	v_mov_b32_e32 v70, v29
	s_mov_b32 s25, exec_lo
	buffer_store_dword v70, off, s[0:3], s32 offset:312 ; 4-byte Folded Spill
	buffer_store_dword v71, off, s[0:3], s32 offset:316 ; 4-byte Folded Spill
	v_cmpx_ne_u32_e32 0x7f, v2
	s_cbranch_execz .LBB231_113
; %bb.110:                              ;   in Loop: Header=BB231_16 Depth=1
	v_mov_b32_e32 v1, 7
	s_mov_b32 s26, exec_lo
	v_and_b32_sdwa v28, v0, v1 dst_sel:DWORD dst_unused:UNUSED_PAD src0_sel:BYTE_3 src1_sel:DWORD
	v_lshrrev_b32_e32 v1, 3, v2
	v_cmpx_gt_u32_e32 8, v2
; %bb.111:                              ;   in Loop: Header=BB231_16 Depth=1
	v_ffbh_u32_e32 v1, v28
	v_min_u32_e32 v1, 32, v1
	v_subrev_nc_u32_e32 v2, 28, v1
	v_sub_nc_u32_e32 v1, 29, v1
	v_lshlrev_b64 v[2:3], v2, v[28:29]
	v_and_b32_e32 v28, 7, v2
; %bb.112:                              ;   in Loop: Header=BB231_16 Depth=1
	s_or_b32 exec_lo, exec_lo, s26
	v_mov_b32_e32 v2, 24
	v_lshl_add_u32 v1, v1, 23, 0x3c000000
	v_lshlrev_b32_sdwa v0, v2, v0 dst_sel:DWORD dst_unused:UNUSED_PAD src0_sel:DWORD src1_sel:BYTE_3
	v_lshlrev_b32_e32 v2, 20, v28
	v_and_b32_e32 v0, 0x80000000, v0
	v_or3_b32 v1, v2, v0, v1
	v_mov_b32_e32 v0, v29
	buffer_store_dword v0, off, s[0:3], s32 offset:312 ; 4-byte Folded Spill
	buffer_store_dword v1, off, s[0:3], s32 offset:316 ; 4-byte Folded Spill
.LBB231_113:                            ;   in Loop: Header=BB231_16 Depth=1
	s_or_b32 exec_lo, exec_lo, s25
.LBB231_114:                            ;   in Loop: Header=BB231_16 Depth=1
	s_or_b32 exec_lo, exec_lo, s24
.LBB231_115:                            ;   in Loop: Header=BB231_16 Depth=1
	s_or_b32 exec_lo, exec_lo, s23
	flat_load_dword v0, v[18:19] offset:12
	v_mov_b32_e32 v1, 0
	v_mov_b32_e32 v2, 0
	buffer_store_dword v1, off, s[0:3], s32 offset:336 ; 4-byte Folded Spill
	buffer_store_dword v2, off, s[0:3], s32 offset:340 ; 4-byte Folded Spill
	v_mov_b32_e32 v1, 0
	v_mov_b32_e32 v2, 0
	buffer_store_dword v1, off, s[0:3], s32 offset:328 ; 4-byte Folded Spill
	buffer_store_dword v2, off, s[0:3], s32 offset:332 ; 4-byte Folded Spill
	s_waitcnt vmcnt(0) lgkmcnt(0)
	v_cmp_ne_u16_sdwa s5, v0, v29 src0_sel:BYTE_0 src1_sel:DWORD
	s_and_saveexec_b32 s23, s5
	s_cbranch_execz .LBB231_123
; %bb.116:                              ;   in Loop: Header=BB231_16 Depth=1
	v_bfrev_b32_e32 v1, 1
	v_mov_b32_e32 v2, 0
	v_cmp_ne_u16_sdwa s5, v0, v53 src0_sel:BYTE_0 src1_sel:DWORD
	buffer_store_dword v1, off, s[0:3], s32 offset:328 ; 4-byte Folded Spill
	buffer_store_dword v2, off, s[0:3], s32 offset:332 ; 4-byte Folded Spill
	s_and_saveexec_b32 s24, s5
	s_cbranch_execz .LBB231_122
; %bb.117:                              ;   in Loop: Header=BB231_16 Depth=1
	v_mov_b32_e32 v3, 0x7f800001
	v_and_b32_e32 v2, 0x7f, v0
	v_mov_b32_e32 v4, 0
	s_mov_b32 s25, exec_lo
	buffer_store_dword v3, off, s[0:3], s32 offset:328 ; 4-byte Folded Spill
	buffer_store_dword v4, off, s[0:3], s32 offset:332 ; 4-byte Folded Spill
	v_cmpx_ne_u32_e32 0x7f, v2
	s_cbranch_execz .LBB231_121
; %bb.118:                              ;   in Loop: Header=BB231_16 Depth=1
	v_and_b32_e32 v28, 7, v0
	v_lshrrev_b32_e32 v1, 3, v2
	s_mov_b32 s26, exec_lo
	v_cmpx_gt_u32_e32 8, v2
; %bb.119:                              ;   in Loop: Header=BB231_16 Depth=1
	v_ffbh_u32_e32 v1, v28
	v_min_u32_e32 v1, 32, v1
	v_subrev_nc_u32_e32 v2, 28, v1
	v_sub_nc_u32_e32 v1, 29, v1
	v_lshlrev_b64 v[2:3], v2, v[28:29]
	v_and_b32_e32 v28, 7, v2
; %bb.120:                              ;   in Loop: Header=BB231_16 Depth=1
	s_or_b32 exec_lo, exec_lo, s26
	v_lshlrev_b32_e32 v2, 24, v0
	v_lshlrev_b32_e32 v3, 20, v28
	v_lshl_add_u32 v1, v1, 23, 0x3c000000
	v_and_b32_e32 v2, 0x80000000, v2
	v_or3_b32 v28, v3, v2, v1
	buffer_store_dword v28, off, s[0:3], s32 offset:328 ; 4-byte Folded Spill
	buffer_store_dword v29, off, s[0:3], s32 offset:332 ; 4-byte Folded Spill
.LBB231_121:                            ;   in Loop: Header=BB231_16 Depth=1
	s_or_b32 exec_lo, exec_lo, s25
.LBB231_122:                            ;   in Loop: Header=BB231_16 Depth=1
	s_or_b32 exec_lo, exec_lo, s24
.LBB231_123:                            ;   in Loop: Header=BB231_16 Depth=1
	s_or_b32 exec_lo, exec_lo, s23
	v_cmp_ne_u16_sdwa s5, v0, v29 src0_sel:BYTE_1 src1_sel:DWORD
	s_and_saveexec_b32 s23, s5
	s_cbranch_execz .LBB231_131
; %bb.124:                              ;   in Loop: Header=BB231_16 Depth=1
	v_mov_b32_e32 v37, v29
	v_cmp_ne_u16_sdwa s5, v0, v53 src0_sel:BYTE_1 src1_sel:DWORD
	buffer_store_dword v37, off, s[0:3], s32 offset:336 ; 4-byte Folded Spill
	buffer_store_dword v38, off, s[0:3], s32 offset:340 ; 4-byte Folded Spill
	s_and_saveexec_b32 s24, s5
	s_cbranch_execz .LBB231_130
; %bb.125:                              ;   in Loop: Header=BB231_16 Depth=1
	v_mov_b32_e32 v1, 0xffff
	v_mov_b32_e32 v70, v29
	s_mov_b32 s25, exec_lo
	buffer_store_dword v70, off, s[0:3], s32 offset:336 ; 4-byte Folded Spill
	buffer_store_dword v71, off, s[0:3], s32 offset:340 ; 4-byte Folded Spill
	v_and_b32_sdwa v1, v1, v0 dst_sel:DWORD dst_unused:UNUSED_PAD src0_sel:DWORD src1_sel:BYTE_1
	v_and_b32_e32 v2, 0x7f, v1
	v_cmpx_ne_u32_e32 0x7f, v2
	s_cbranch_execz .LBB231_129
; %bb.126:                              ;   in Loop: Header=BB231_16 Depth=1
	v_and_b32_e32 v28, 7, v1
	v_lshrrev_b32_e32 v1, 3, v2
	s_mov_b32 s26, exec_lo
	v_cmpx_gt_u32_e32 8, v2
; %bb.127:                              ;   in Loop: Header=BB231_16 Depth=1
	v_ffbh_u32_e32 v1, v28
	v_min_u32_e32 v1, 32, v1
	v_subrev_nc_u32_e32 v2, 28, v1
	v_sub_nc_u32_e32 v1, 29, v1
	v_lshlrev_b64 v[2:3], v2, v[28:29]
	v_and_b32_e32 v28, 7, v2
; %bb.128:                              ;   in Loop: Header=BB231_16 Depth=1
	s_or_b32 exec_lo, exec_lo, s26
	v_lshlrev_b32_e32 v2, 16, v0
	v_lshlrev_b32_e32 v3, 20, v28
	v_lshl_add_u32 v1, v1, 23, 0x3c000000
	v_and_b32_e32 v2, 0x80000000, v2
	v_or3_b32 v2, v3, v2, v1
	v_mov_b32_e32 v1, v29
	buffer_store_dword v1, off, s[0:3], s32 offset:336 ; 4-byte Folded Spill
	buffer_store_dword v2, off, s[0:3], s32 offset:340 ; 4-byte Folded Spill
.LBB231_129:                            ;   in Loop: Header=BB231_16 Depth=1
	s_or_b32 exec_lo, exec_lo, s25
.LBB231_130:                            ;   in Loop: Header=BB231_16 Depth=1
	s_or_b32 exec_lo, exec_lo, s24
.LBB231_131:                            ;   in Loop: Header=BB231_16 Depth=1
	s_or_b32 exec_lo, exec_lo, s23
	v_mov_b32_e32 v2, 0
	v_mov_b32_e32 v3, 0
	v_and_b32_sdwa v1, v0, v48 dst_sel:DWORD dst_unused:UNUSED_PAD src0_sel:WORD_1 src1_sel:DWORD
	s_mov_b32 s23, exec_lo
	buffer_store_dword v2, off, s[0:3], s32 offset:344 ; 4-byte Folded Spill
	buffer_store_dword v3, off, s[0:3], s32 offset:348 ; 4-byte Folded Spill
	v_mov_b32_e32 v2, 0
	v_mov_b32_e32 v3, 0
	buffer_store_dword v2, off, s[0:3], s32 offset:352 ; 4-byte Folded Spill
	buffer_store_dword v3, off, s[0:3], s32 offset:356 ; 4-byte Folded Spill
	v_cmpx_ne_u16_e32 0, v1
	s_cbranch_execz .LBB231_139
; %bb.132:                              ;   in Loop: Header=BB231_16 Depth=1
	v_cmp_ne_u16_e64 s5, 0x80, v1
	v_bfrev_b32_e32 v1, 1
	v_mov_b32_e32 v2, 0
	buffer_store_dword v1, off, s[0:3], s32 offset:352 ; 4-byte Folded Spill
	buffer_store_dword v2, off, s[0:3], s32 offset:356 ; 4-byte Folded Spill
	s_and_saveexec_b32 s24, s5
	s_cbranch_execz .LBB231_138
; %bb.133:                              ;   in Loop: Header=BB231_16 Depth=1
	v_mov_b32_e32 v3, 0x7f800001
	v_bfe_u32 v2, v0, 16, 7
	v_mov_b32_e32 v4, 0
	s_mov_b32 s25, exec_lo
	buffer_store_dword v3, off, s[0:3], s32 offset:352 ; 4-byte Folded Spill
	buffer_store_dword v4, off, s[0:3], s32 offset:356 ; 4-byte Folded Spill
	v_cmpx_ne_u32_e32 0x7f, v2
	s_cbranch_execz .LBB231_137
; %bb.134:                              ;   in Loop: Header=BB231_16 Depth=1
	v_mov_b32_e32 v1, 7
	s_mov_b32 s26, exec_lo
	v_and_b32_sdwa v28, v0, v1 dst_sel:DWORD dst_unused:UNUSED_PAD src0_sel:WORD_1 src1_sel:DWORD
	v_lshrrev_b32_e32 v1, 3, v2
	v_cmpx_gt_u32_e32 8, v2
; %bb.135:                              ;   in Loop: Header=BB231_16 Depth=1
	v_ffbh_u32_e32 v1, v28
	v_min_u32_e32 v1, 32, v1
	v_subrev_nc_u32_e32 v2, 28, v1
	v_sub_nc_u32_e32 v1, 29, v1
	v_lshlrev_b64 v[2:3], v2, v[28:29]
	v_and_b32_e32 v28, 7, v2
; %bb.136:                              ;   in Loop: Header=BB231_16 Depth=1
	s_or_b32 exec_lo, exec_lo, s26
	v_mov_b32_e32 v2, 24
	v_lshlrev_b32_e32 v3, 20, v28
	v_lshl_add_u32 v1, v1, 23, 0x3c000000
	v_lshlrev_b32_sdwa v2, v2, v0 dst_sel:DWORD dst_unused:UNUSED_PAD src0_sel:DWORD src1_sel:WORD_1
	v_and_b32_e32 v2, 0x80000000, v2
	v_or3_b32 v28, v3, v2, v1
	buffer_store_dword v28, off, s[0:3], s32 offset:352 ; 4-byte Folded Spill
	buffer_store_dword v29, off, s[0:3], s32 offset:356 ; 4-byte Folded Spill
.LBB231_137:                            ;   in Loop: Header=BB231_16 Depth=1
	s_or_b32 exec_lo, exec_lo, s25
.LBB231_138:                            ;   in Loop: Header=BB231_16 Depth=1
	s_or_b32 exec_lo, exec_lo, s24
.LBB231_139:                            ;   in Loop: Header=BB231_16 Depth=1
	s_or_b32 exec_lo, exec_lo, s23
	s_mov_b32 s23, exec_lo
	v_cmpx_lt_u32_e32 0xffffff, v0
	s_cbranch_execz .LBB231_147
; %bb.140:                              ;   in Loop: Header=BB231_16 Depth=1
	v_mov_b32_e32 v37, v29
	v_cmp_ne_u32_sdwa s5, v0, v53 src0_sel:BYTE_3 src1_sel:DWORD
	buffer_store_dword v37, off, s[0:3], s32 offset:344 ; 4-byte Folded Spill
	buffer_store_dword v38, off, s[0:3], s32 offset:348 ; 4-byte Folded Spill
	s_and_saveexec_b32 s24, s5
	s_cbranch_execz .LBB231_146
; %bb.141:                              ;   in Loop: Header=BB231_16 Depth=1
	v_bfe_u32 v2, v0, 24, 7
	v_mov_b32_e32 v70, v29
	s_mov_b32 s25, exec_lo
	buffer_store_dword v70, off, s[0:3], s32 offset:344 ; 4-byte Folded Spill
	buffer_store_dword v71, off, s[0:3], s32 offset:348 ; 4-byte Folded Spill
	v_cmpx_ne_u32_e32 0x7f, v2
	s_cbranch_execz .LBB231_145
; %bb.142:                              ;   in Loop: Header=BB231_16 Depth=1
	v_mov_b32_e32 v1, 7
	s_mov_b32 s26, exec_lo
	v_and_b32_sdwa v28, v0, v1 dst_sel:DWORD dst_unused:UNUSED_PAD src0_sel:BYTE_3 src1_sel:DWORD
	v_lshrrev_b32_e32 v1, 3, v2
	v_cmpx_gt_u32_e32 8, v2
; %bb.143:                              ;   in Loop: Header=BB231_16 Depth=1
	v_ffbh_u32_e32 v1, v28
	v_min_u32_e32 v1, 32, v1
	v_subrev_nc_u32_e32 v2, 28, v1
	v_sub_nc_u32_e32 v1, 29, v1
	v_lshlrev_b64 v[2:3], v2, v[28:29]
	v_and_b32_e32 v28, 7, v2
; %bb.144:                              ;   in Loop: Header=BB231_16 Depth=1
	s_or_b32 exec_lo, exec_lo, s26
	v_mov_b32_e32 v2, 24
	v_lshl_add_u32 v1, v1, 23, 0x3c000000
	v_lshlrev_b32_sdwa v0, v2, v0 dst_sel:DWORD dst_unused:UNUSED_PAD src0_sel:DWORD src1_sel:BYTE_3
	v_lshlrev_b32_e32 v2, 20, v28
	v_and_b32_e32 v0, 0x80000000, v0
	v_or3_b32 v1, v2, v0, v1
	v_mov_b32_e32 v0, v29
	buffer_store_dword v0, off, s[0:3], s32 offset:344 ; 4-byte Folded Spill
	buffer_store_dword v1, off, s[0:3], s32 offset:348 ; 4-byte Folded Spill
.LBB231_145:                            ;   in Loop: Header=BB231_16 Depth=1
	s_or_b32 exec_lo, exec_lo, s25
.LBB231_146:                            ;   in Loop: Header=BB231_16 Depth=1
	s_or_b32 exec_lo, exec_lo, s24
.LBB231_147:                            ;   in Loop: Header=BB231_16 Depth=1
	s_or_b32 exec_lo, exec_lo, s23
	flat_load_dword v0, v[18:19] offset:512
	v_mov_b32_e32 v1, 0
	v_mov_b32_e32 v2, 0
	buffer_store_dword v1, off, s[0:3], s32 offset:368 ; 4-byte Folded Spill
	buffer_store_dword v2, off, s[0:3], s32 offset:372 ; 4-byte Folded Spill
	v_mov_b32_e32 v1, 0
	v_mov_b32_e32 v2, 0
	buffer_store_dword v1, off, s[0:3], s32 offset:360 ; 4-byte Folded Spill
	buffer_store_dword v2, off, s[0:3], s32 offset:364 ; 4-byte Folded Spill
	s_waitcnt vmcnt(0) lgkmcnt(0)
	v_cmp_ne_u16_sdwa s5, v0, v29 src0_sel:BYTE_0 src1_sel:DWORD
	s_and_saveexec_b32 s23, s5
	s_cbranch_execz .LBB231_155
; %bb.148:                              ;   in Loop: Header=BB231_16 Depth=1
	v_bfrev_b32_e32 v1, 1
	v_mov_b32_e32 v2, 0
	v_cmp_ne_u16_sdwa s5, v0, v53 src0_sel:BYTE_0 src1_sel:DWORD
	buffer_store_dword v1, off, s[0:3], s32 offset:360 ; 4-byte Folded Spill
	buffer_store_dword v2, off, s[0:3], s32 offset:364 ; 4-byte Folded Spill
	s_and_saveexec_b32 s24, s5
	s_cbranch_execz .LBB231_154
; %bb.149:                              ;   in Loop: Header=BB231_16 Depth=1
	v_mov_b32_e32 v3, 0x7f800001
	v_and_b32_e32 v2, 0x7f, v0
	v_mov_b32_e32 v4, 0
	s_mov_b32 s25, exec_lo
	buffer_store_dword v3, off, s[0:3], s32 offset:360 ; 4-byte Folded Spill
	buffer_store_dword v4, off, s[0:3], s32 offset:364 ; 4-byte Folded Spill
	v_cmpx_ne_u32_e32 0x7f, v2
	s_cbranch_execz .LBB231_153
; %bb.150:                              ;   in Loop: Header=BB231_16 Depth=1
	v_and_b32_e32 v28, 7, v0
	v_lshrrev_b32_e32 v1, 3, v2
	s_mov_b32 s26, exec_lo
	v_cmpx_gt_u32_e32 8, v2
; %bb.151:                              ;   in Loop: Header=BB231_16 Depth=1
	v_ffbh_u32_e32 v1, v28
	v_min_u32_e32 v1, 32, v1
	v_subrev_nc_u32_e32 v2, 28, v1
	v_sub_nc_u32_e32 v1, 29, v1
	v_lshlrev_b64 v[2:3], v2, v[28:29]
	v_and_b32_e32 v28, 7, v2
; %bb.152:                              ;   in Loop: Header=BB231_16 Depth=1
	s_or_b32 exec_lo, exec_lo, s26
	v_lshlrev_b32_e32 v2, 24, v0
	v_lshlrev_b32_e32 v3, 20, v28
	v_lshl_add_u32 v1, v1, 23, 0x3c000000
	v_and_b32_e32 v2, 0x80000000, v2
	v_or3_b32 v28, v3, v2, v1
	buffer_store_dword v28, off, s[0:3], s32 offset:360 ; 4-byte Folded Spill
	buffer_store_dword v29, off, s[0:3], s32 offset:364 ; 4-byte Folded Spill
.LBB231_153:                            ;   in Loop: Header=BB231_16 Depth=1
	s_or_b32 exec_lo, exec_lo, s25
.LBB231_154:                            ;   in Loop: Header=BB231_16 Depth=1
	s_or_b32 exec_lo, exec_lo, s24
.LBB231_155:                            ;   in Loop: Header=BB231_16 Depth=1
	s_or_b32 exec_lo, exec_lo, s23
	v_cmp_ne_u16_sdwa s5, v0, v29 src0_sel:BYTE_1 src1_sel:DWORD
	s_and_saveexec_b32 s23, s5
	s_cbranch_execz .LBB231_163
; %bb.156:                              ;   in Loop: Header=BB231_16 Depth=1
	v_mov_b32_e32 v37, v29
	v_cmp_ne_u16_sdwa s5, v0, v53 src0_sel:BYTE_1 src1_sel:DWORD
	buffer_store_dword v37, off, s[0:3], s32 offset:368 ; 4-byte Folded Spill
	buffer_store_dword v38, off, s[0:3], s32 offset:372 ; 4-byte Folded Spill
	s_and_saveexec_b32 s24, s5
	s_cbranch_execz .LBB231_162
; %bb.157:                              ;   in Loop: Header=BB231_16 Depth=1
	v_mov_b32_e32 v1, 0xffff
	v_mov_b32_e32 v70, v29
	s_mov_b32 s25, exec_lo
	buffer_store_dword v70, off, s[0:3], s32 offset:368 ; 4-byte Folded Spill
	buffer_store_dword v71, off, s[0:3], s32 offset:372 ; 4-byte Folded Spill
	v_and_b32_sdwa v1, v1, v0 dst_sel:DWORD dst_unused:UNUSED_PAD src0_sel:DWORD src1_sel:BYTE_1
	v_and_b32_e32 v2, 0x7f, v1
	v_cmpx_ne_u32_e32 0x7f, v2
	s_cbranch_execz .LBB231_161
; %bb.158:                              ;   in Loop: Header=BB231_16 Depth=1
	v_and_b32_e32 v28, 7, v1
	v_lshrrev_b32_e32 v1, 3, v2
	s_mov_b32 s26, exec_lo
	v_cmpx_gt_u32_e32 8, v2
; %bb.159:                              ;   in Loop: Header=BB231_16 Depth=1
	v_ffbh_u32_e32 v1, v28
	v_min_u32_e32 v1, 32, v1
	v_subrev_nc_u32_e32 v2, 28, v1
	v_sub_nc_u32_e32 v1, 29, v1
	v_lshlrev_b64 v[2:3], v2, v[28:29]
	v_and_b32_e32 v28, 7, v2
; %bb.160:                              ;   in Loop: Header=BB231_16 Depth=1
	s_or_b32 exec_lo, exec_lo, s26
	v_lshlrev_b32_e32 v2, 16, v0
	v_lshlrev_b32_e32 v3, 20, v28
	v_lshl_add_u32 v1, v1, 23, 0x3c000000
	v_and_b32_e32 v2, 0x80000000, v2
	v_or3_b32 v2, v3, v2, v1
	v_mov_b32_e32 v1, v29
	buffer_store_dword v1, off, s[0:3], s32 offset:368 ; 4-byte Folded Spill
	buffer_store_dword v2, off, s[0:3], s32 offset:372 ; 4-byte Folded Spill
.LBB231_161:                            ;   in Loop: Header=BB231_16 Depth=1
	s_or_b32 exec_lo, exec_lo, s25
.LBB231_162:                            ;   in Loop: Header=BB231_16 Depth=1
	s_or_b32 exec_lo, exec_lo, s24
.LBB231_163:                            ;   in Loop: Header=BB231_16 Depth=1
	s_or_b32 exec_lo, exec_lo, s23
	v_mov_b32_e32 v2, 0
	v_mov_b32_e32 v3, 0
	v_and_b32_sdwa v1, v0, v48 dst_sel:DWORD dst_unused:UNUSED_PAD src0_sel:WORD_1 src1_sel:DWORD
	s_mov_b32 s23, exec_lo
	buffer_store_dword v2, off, s[0:3], s32 offset:376 ; 4-byte Folded Spill
	buffer_store_dword v3, off, s[0:3], s32 offset:380 ; 4-byte Folded Spill
	v_mov_b32_e32 v2, 0
	v_mov_b32_e32 v3, 0
	buffer_store_dword v2, off, s[0:3], s32 offset:384 ; 4-byte Folded Spill
	buffer_store_dword v3, off, s[0:3], s32 offset:388 ; 4-byte Folded Spill
	v_cmpx_ne_u16_e32 0, v1
	s_cbranch_execz .LBB231_171
; %bb.164:                              ;   in Loop: Header=BB231_16 Depth=1
	v_cmp_ne_u16_e64 s5, 0x80, v1
	v_bfrev_b32_e32 v1, 1
	v_mov_b32_e32 v2, 0
	buffer_store_dword v1, off, s[0:3], s32 offset:384 ; 4-byte Folded Spill
	buffer_store_dword v2, off, s[0:3], s32 offset:388 ; 4-byte Folded Spill
	s_and_saveexec_b32 s24, s5
	s_cbranch_execz .LBB231_170
; %bb.165:                              ;   in Loop: Header=BB231_16 Depth=1
	v_mov_b32_e32 v3, 0x7f800001
	v_bfe_u32 v2, v0, 16, 7
	v_mov_b32_e32 v4, 0
	s_mov_b32 s25, exec_lo
	buffer_store_dword v3, off, s[0:3], s32 offset:384 ; 4-byte Folded Spill
	buffer_store_dword v4, off, s[0:3], s32 offset:388 ; 4-byte Folded Spill
	v_cmpx_ne_u32_e32 0x7f, v2
	s_cbranch_execz .LBB231_169
; %bb.166:                              ;   in Loop: Header=BB231_16 Depth=1
	v_mov_b32_e32 v1, 7
	s_mov_b32 s26, exec_lo
	v_and_b32_sdwa v28, v0, v1 dst_sel:DWORD dst_unused:UNUSED_PAD src0_sel:WORD_1 src1_sel:DWORD
	v_lshrrev_b32_e32 v1, 3, v2
	v_cmpx_gt_u32_e32 8, v2
; %bb.167:                              ;   in Loop: Header=BB231_16 Depth=1
	v_ffbh_u32_e32 v1, v28
	v_min_u32_e32 v1, 32, v1
	v_subrev_nc_u32_e32 v2, 28, v1
	v_sub_nc_u32_e32 v1, 29, v1
	v_lshlrev_b64 v[2:3], v2, v[28:29]
	v_and_b32_e32 v28, 7, v2
; %bb.168:                              ;   in Loop: Header=BB231_16 Depth=1
	s_or_b32 exec_lo, exec_lo, s26
	v_mov_b32_e32 v2, 24
	v_lshlrev_b32_e32 v3, 20, v28
	v_lshl_add_u32 v1, v1, 23, 0x3c000000
	v_lshlrev_b32_sdwa v2, v2, v0 dst_sel:DWORD dst_unused:UNUSED_PAD src0_sel:DWORD src1_sel:WORD_1
	v_and_b32_e32 v2, 0x80000000, v2
	v_or3_b32 v28, v3, v2, v1
	buffer_store_dword v28, off, s[0:3], s32 offset:384 ; 4-byte Folded Spill
	buffer_store_dword v29, off, s[0:3], s32 offset:388 ; 4-byte Folded Spill
.LBB231_169:                            ;   in Loop: Header=BB231_16 Depth=1
	s_or_b32 exec_lo, exec_lo, s25
.LBB231_170:                            ;   in Loop: Header=BB231_16 Depth=1
	s_or_b32 exec_lo, exec_lo, s24
.LBB231_171:                            ;   in Loop: Header=BB231_16 Depth=1
	s_or_b32 exec_lo, exec_lo, s23
	s_mov_b32 s23, exec_lo
	v_cmpx_lt_u32_e32 0xffffff, v0
	s_cbranch_execz .LBB231_179
; %bb.172:                              ;   in Loop: Header=BB231_16 Depth=1
	v_mov_b32_e32 v37, v29
	v_cmp_ne_u32_sdwa s5, v0, v53 src0_sel:BYTE_3 src1_sel:DWORD
	buffer_store_dword v37, off, s[0:3], s32 offset:376 ; 4-byte Folded Spill
	buffer_store_dword v38, off, s[0:3], s32 offset:380 ; 4-byte Folded Spill
	s_and_saveexec_b32 s24, s5
	s_cbranch_execz .LBB231_178
; %bb.173:                              ;   in Loop: Header=BB231_16 Depth=1
	v_bfe_u32 v2, v0, 24, 7
	v_mov_b32_e32 v70, v29
	s_mov_b32 s25, exec_lo
	buffer_store_dword v70, off, s[0:3], s32 offset:376 ; 4-byte Folded Spill
	buffer_store_dword v71, off, s[0:3], s32 offset:380 ; 4-byte Folded Spill
	v_cmpx_ne_u32_e32 0x7f, v2
	s_cbranch_execz .LBB231_177
; %bb.174:                              ;   in Loop: Header=BB231_16 Depth=1
	v_mov_b32_e32 v1, 7
	s_mov_b32 s26, exec_lo
	v_and_b32_sdwa v28, v0, v1 dst_sel:DWORD dst_unused:UNUSED_PAD src0_sel:BYTE_3 src1_sel:DWORD
	v_lshrrev_b32_e32 v1, 3, v2
	v_cmpx_gt_u32_e32 8, v2
; %bb.175:                              ;   in Loop: Header=BB231_16 Depth=1
	v_ffbh_u32_e32 v1, v28
	v_min_u32_e32 v1, 32, v1
	v_subrev_nc_u32_e32 v2, 28, v1
	v_sub_nc_u32_e32 v1, 29, v1
	v_lshlrev_b64 v[2:3], v2, v[28:29]
	v_and_b32_e32 v28, 7, v2
; %bb.176:                              ;   in Loop: Header=BB231_16 Depth=1
	s_or_b32 exec_lo, exec_lo, s26
	v_mov_b32_e32 v2, 24
	v_lshl_add_u32 v1, v1, 23, 0x3c000000
	v_lshlrev_b32_sdwa v0, v2, v0 dst_sel:DWORD dst_unused:UNUSED_PAD src0_sel:DWORD src1_sel:BYTE_3
	v_lshlrev_b32_e32 v2, 20, v28
	v_and_b32_e32 v0, 0x80000000, v0
	v_or3_b32 v1, v2, v0, v1
	v_mov_b32_e32 v0, v29
	buffer_store_dword v0, off, s[0:3], s32 offset:376 ; 4-byte Folded Spill
	buffer_store_dword v1, off, s[0:3], s32 offset:380 ; 4-byte Folded Spill
.LBB231_177:                            ;   in Loop: Header=BB231_16 Depth=1
	s_or_b32 exec_lo, exec_lo, s25
.LBB231_178:                            ;   in Loop: Header=BB231_16 Depth=1
	s_or_b32 exec_lo, exec_lo, s24
.LBB231_179:                            ;   in Loop: Header=BB231_16 Depth=1
	s_or_b32 exec_lo, exec_lo, s23
	flat_load_dword v0, v[18:19] offset:516
	v_mov_b32_e32 v1, 0
	v_mov_b32_e32 v2, 0
	buffer_store_dword v1, off, s[0:3], s32 offset:400 ; 4-byte Folded Spill
	buffer_store_dword v2, off, s[0:3], s32 offset:404 ; 4-byte Folded Spill
	v_mov_b32_e32 v1, 0
	v_mov_b32_e32 v2, 0
	buffer_store_dword v1, off, s[0:3], s32 offset:392 ; 4-byte Folded Spill
	buffer_store_dword v2, off, s[0:3], s32 offset:396 ; 4-byte Folded Spill
	s_waitcnt vmcnt(0) lgkmcnt(0)
	v_cmp_ne_u16_sdwa s5, v0, v29 src0_sel:BYTE_0 src1_sel:DWORD
	s_and_saveexec_b32 s23, s5
	s_cbranch_execz .LBB231_187
; %bb.180:                              ;   in Loop: Header=BB231_16 Depth=1
	v_bfrev_b32_e32 v1, 1
	v_mov_b32_e32 v2, 0
	v_cmp_ne_u16_sdwa s5, v0, v53 src0_sel:BYTE_0 src1_sel:DWORD
	buffer_store_dword v1, off, s[0:3], s32 offset:392 ; 4-byte Folded Spill
	buffer_store_dword v2, off, s[0:3], s32 offset:396 ; 4-byte Folded Spill
	s_and_saveexec_b32 s24, s5
	s_cbranch_execz .LBB231_186
; %bb.181:                              ;   in Loop: Header=BB231_16 Depth=1
	v_mov_b32_e32 v3, 0x7f800001
	v_and_b32_e32 v2, 0x7f, v0
	v_mov_b32_e32 v4, 0
	s_mov_b32 s25, exec_lo
	buffer_store_dword v3, off, s[0:3], s32 offset:392 ; 4-byte Folded Spill
	buffer_store_dword v4, off, s[0:3], s32 offset:396 ; 4-byte Folded Spill
	v_cmpx_ne_u32_e32 0x7f, v2
	s_cbranch_execz .LBB231_185
; %bb.182:                              ;   in Loop: Header=BB231_16 Depth=1
	v_and_b32_e32 v28, 7, v0
	v_lshrrev_b32_e32 v1, 3, v2
	s_mov_b32 s26, exec_lo
	v_cmpx_gt_u32_e32 8, v2
; %bb.183:                              ;   in Loop: Header=BB231_16 Depth=1
	v_ffbh_u32_e32 v1, v28
	v_min_u32_e32 v1, 32, v1
	v_subrev_nc_u32_e32 v2, 28, v1
	v_sub_nc_u32_e32 v1, 29, v1
	v_lshlrev_b64 v[2:3], v2, v[28:29]
	v_and_b32_e32 v28, 7, v2
; %bb.184:                              ;   in Loop: Header=BB231_16 Depth=1
	s_or_b32 exec_lo, exec_lo, s26
	v_lshlrev_b32_e32 v2, 24, v0
	v_lshlrev_b32_e32 v3, 20, v28
	v_lshl_add_u32 v1, v1, 23, 0x3c000000
	v_and_b32_e32 v2, 0x80000000, v2
	v_or3_b32 v28, v3, v2, v1
	buffer_store_dword v28, off, s[0:3], s32 offset:392 ; 4-byte Folded Spill
	buffer_store_dword v29, off, s[0:3], s32 offset:396 ; 4-byte Folded Spill
.LBB231_185:                            ;   in Loop: Header=BB231_16 Depth=1
	s_or_b32 exec_lo, exec_lo, s25
.LBB231_186:                            ;   in Loop: Header=BB231_16 Depth=1
	s_or_b32 exec_lo, exec_lo, s24
.LBB231_187:                            ;   in Loop: Header=BB231_16 Depth=1
	s_or_b32 exec_lo, exec_lo, s23
	v_cmp_ne_u16_sdwa s5, v0, v29 src0_sel:BYTE_1 src1_sel:DWORD
	s_and_saveexec_b32 s23, s5
	s_cbranch_execz .LBB231_195
; %bb.188:                              ;   in Loop: Header=BB231_16 Depth=1
	v_mov_b32_e32 v37, v29
	v_cmp_ne_u16_sdwa s5, v0, v53 src0_sel:BYTE_1 src1_sel:DWORD
	buffer_store_dword v37, off, s[0:3], s32 offset:400 ; 4-byte Folded Spill
	buffer_store_dword v38, off, s[0:3], s32 offset:404 ; 4-byte Folded Spill
	s_and_saveexec_b32 s24, s5
	s_cbranch_execz .LBB231_194
; %bb.189:                              ;   in Loop: Header=BB231_16 Depth=1
	v_mov_b32_e32 v1, 0xffff
	v_mov_b32_e32 v70, v29
	s_mov_b32 s25, exec_lo
	buffer_store_dword v70, off, s[0:3], s32 offset:400 ; 4-byte Folded Spill
	buffer_store_dword v71, off, s[0:3], s32 offset:404 ; 4-byte Folded Spill
	v_and_b32_sdwa v1, v1, v0 dst_sel:DWORD dst_unused:UNUSED_PAD src0_sel:DWORD src1_sel:BYTE_1
	v_and_b32_e32 v2, 0x7f, v1
	v_cmpx_ne_u32_e32 0x7f, v2
	s_cbranch_execz .LBB231_193
; %bb.190:                              ;   in Loop: Header=BB231_16 Depth=1
	v_and_b32_e32 v28, 7, v1
	v_lshrrev_b32_e32 v1, 3, v2
	s_mov_b32 s26, exec_lo
	v_cmpx_gt_u32_e32 8, v2
; %bb.191:                              ;   in Loop: Header=BB231_16 Depth=1
	v_ffbh_u32_e32 v1, v28
	v_min_u32_e32 v1, 32, v1
	v_subrev_nc_u32_e32 v2, 28, v1
	v_sub_nc_u32_e32 v1, 29, v1
	v_lshlrev_b64 v[2:3], v2, v[28:29]
	v_and_b32_e32 v28, 7, v2
; %bb.192:                              ;   in Loop: Header=BB231_16 Depth=1
	s_or_b32 exec_lo, exec_lo, s26
	v_lshlrev_b32_e32 v2, 16, v0
	v_lshlrev_b32_e32 v3, 20, v28
	v_lshl_add_u32 v1, v1, 23, 0x3c000000
	v_and_b32_e32 v2, 0x80000000, v2
	v_or3_b32 v2, v3, v2, v1
	v_mov_b32_e32 v1, v29
	buffer_store_dword v1, off, s[0:3], s32 offset:400 ; 4-byte Folded Spill
	buffer_store_dword v2, off, s[0:3], s32 offset:404 ; 4-byte Folded Spill
.LBB231_193:                            ;   in Loop: Header=BB231_16 Depth=1
	s_or_b32 exec_lo, exec_lo, s25
.LBB231_194:                            ;   in Loop: Header=BB231_16 Depth=1
	s_or_b32 exec_lo, exec_lo, s24
.LBB231_195:                            ;   in Loop: Header=BB231_16 Depth=1
	s_or_b32 exec_lo, exec_lo, s23
	v_mov_b32_e32 v2, 0
	v_mov_b32_e32 v3, 0
	v_and_b32_sdwa v1, v0, v48 dst_sel:DWORD dst_unused:UNUSED_PAD src0_sel:WORD_1 src1_sel:DWORD
	s_mov_b32 s23, exec_lo
	buffer_store_dword v2, off, s[0:3], s32 offset:408 ; 4-byte Folded Spill
	buffer_store_dword v3, off, s[0:3], s32 offset:412 ; 4-byte Folded Spill
	v_mov_b32_e32 v2, 0
	v_mov_b32_e32 v3, 0
	buffer_store_dword v2, off, s[0:3], s32 offset:416 ; 4-byte Folded Spill
	buffer_store_dword v3, off, s[0:3], s32 offset:420 ; 4-byte Folded Spill
	v_cmpx_ne_u16_e32 0, v1
	s_cbranch_execz .LBB231_203
; %bb.196:                              ;   in Loop: Header=BB231_16 Depth=1
	v_cmp_ne_u16_e64 s5, 0x80, v1
	v_bfrev_b32_e32 v1, 1
	v_mov_b32_e32 v2, 0
	buffer_store_dword v1, off, s[0:3], s32 offset:416 ; 4-byte Folded Spill
	buffer_store_dword v2, off, s[0:3], s32 offset:420 ; 4-byte Folded Spill
	s_and_saveexec_b32 s24, s5
	s_cbranch_execz .LBB231_202
; %bb.197:                              ;   in Loop: Header=BB231_16 Depth=1
	v_mov_b32_e32 v3, 0x7f800001
	v_bfe_u32 v2, v0, 16, 7
	v_mov_b32_e32 v4, 0
	s_mov_b32 s25, exec_lo
	buffer_store_dword v3, off, s[0:3], s32 offset:416 ; 4-byte Folded Spill
	buffer_store_dword v4, off, s[0:3], s32 offset:420 ; 4-byte Folded Spill
	v_cmpx_ne_u32_e32 0x7f, v2
	s_cbranch_execz .LBB231_201
; %bb.198:                              ;   in Loop: Header=BB231_16 Depth=1
	v_mov_b32_e32 v1, 7
	s_mov_b32 s26, exec_lo
	v_and_b32_sdwa v28, v0, v1 dst_sel:DWORD dst_unused:UNUSED_PAD src0_sel:WORD_1 src1_sel:DWORD
	v_lshrrev_b32_e32 v1, 3, v2
	v_cmpx_gt_u32_e32 8, v2
; %bb.199:                              ;   in Loop: Header=BB231_16 Depth=1
	v_ffbh_u32_e32 v1, v28
	v_min_u32_e32 v1, 32, v1
	v_subrev_nc_u32_e32 v2, 28, v1
	v_sub_nc_u32_e32 v1, 29, v1
	v_lshlrev_b64 v[2:3], v2, v[28:29]
	v_and_b32_e32 v28, 7, v2
; %bb.200:                              ;   in Loop: Header=BB231_16 Depth=1
	s_or_b32 exec_lo, exec_lo, s26
	v_mov_b32_e32 v2, 24
	v_lshlrev_b32_e32 v3, 20, v28
	v_lshl_add_u32 v1, v1, 23, 0x3c000000
	v_lshlrev_b32_sdwa v2, v2, v0 dst_sel:DWORD dst_unused:UNUSED_PAD src0_sel:DWORD src1_sel:WORD_1
	v_and_b32_e32 v2, 0x80000000, v2
	v_or3_b32 v28, v3, v2, v1
	buffer_store_dword v28, off, s[0:3], s32 offset:416 ; 4-byte Folded Spill
	buffer_store_dword v29, off, s[0:3], s32 offset:420 ; 4-byte Folded Spill
.LBB231_201:                            ;   in Loop: Header=BB231_16 Depth=1
	s_or_b32 exec_lo, exec_lo, s25
.LBB231_202:                            ;   in Loop: Header=BB231_16 Depth=1
	s_or_b32 exec_lo, exec_lo, s24
.LBB231_203:                            ;   in Loop: Header=BB231_16 Depth=1
	s_or_b32 exec_lo, exec_lo, s23
	s_mov_b32 s23, exec_lo
	v_cmpx_lt_u32_e32 0xffffff, v0
	s_cbranch_execz .LBB231_211
; %bb.204:                              ;   in Loop: Header=BB231_16 Depth=1
	v_mov_b32_e32 v37, v29
	v_cmp_ne_u32_sdwa s5, v0, v53 src0_sel:BYTE_3 src1_sel:DWORD
	buffer_store_dword v37, off, s[0:3], s32 offset:408 ; 4-byte Folded Spill
	buffer_store_dword v38, off, s[0:3], s32 offset:412 ; 4-byte Folded Spill
	s_and_saveexec_b32 s24, s5
	s_cbranch_execz .LBB231_210
; %bb.205:                              ;   in Loop: Header=BB231_16 Depth=1
	v_bfe_u32 v2, v0, 24, 7
	v_mov_b32_e32 v70, v29
	s_mov_b32 s25, exec_lo
	buffer_store_dword v70, off, s[0:3], s32 offset:408 ; 4-byte Folded Spill
	buffer_store_dword v71, off, s[0:3], s32 offset:412 ; 4-byte Folded Spill
	v_cmpx_ne_u32_e32 0x7f, v2
	s_cbranch_execz .LBB231_209
; %bb.206:                              ;   in Loop: Header=BB231_16 Depth=1
	v_mov_b32_e32 v1, 7
	s_mov_b32 s26, exec_lo
	v_and_b32_sdwa v28, v0, v1 dst_sel:DWORD dst_unused:UNUSED_PAD src0_sel:BYTE_3 src1_sel:DWORD
	v_lshrrev_b32_e32 v1, 3, v2
	v_cmpx_gt_u32_e32 8, v2
; %bb.207:                              ;   in Loop: Header=BB231_16 Depth=1
	v_ffbh_u32_e32 v1, v28
	v_min_u32_e32 v1, 32, v1
	v_subrev_nc_u32_e32 v2, 28, v1
	v_sub_nc_u32_e32 v1, 29, v1
	v_lshlrev_b64 v[2:3], v2, v[28:29]
	v_and_b32_e32 v28, 7, v2
; %bb.208:                              ;   in Loop: Header=BB231_16 Depth=1
	s_or_b32 exec_lo, exec_lo, s26
	v_mov_b32_e32 v2, 24
	v_lshl_add_u32 v1, v1, 23, 0x3c000000
	v_lshlrev_b32_sdwa v0, v2, v0 dst_sel:DWORD dst_unused:UNUSED_PAD src0_sel:DWORD src1_sel:BYTE_3
	v_lshlrev_b32_e32 v2, 20, v28
	v_and_b32_e32 v0, 0x80000000, v0
	v_or3_b32 v1, v2, v0, v1
	v_mov_b32_e32 v0, v29
	buffer_store_dword v0, off, s[0:3], s32 offset:408 ; 4-byte Folded Spill
	buffer_store_dword v1, off, s[0:3], s32 offset:412 ; 4-byte Folded Spill
.LBB231_209:                            ;   in Loop: Header=BB231_16 Depth=1
	s_or_b32 exec_lo, exec_lo, s25
.LBB231_210:                            ;   in Loop: Header=BB231_16 Depth=1
	s_or_b32 exec_lo, exec_lo, s24
.LBB231_211:                            ;   in Loop: Header=BB231_16 Depth=1
	s_or_b32 exec_lo, exec_lo, s23
	flat_load_dword v0, v[18:19] offset:520
	v_mov_b32_e32 v1, 0
	v_mov_b32_e32 v2, 0
	buffer_store_dword v1, off, s[0:3], s32 offset:432 ; 4-byte Folded Spill
	buffer_store_dword v2, off, s[0:3], s32 offset:436 ; 4-byte Folded Spill
	v_mov_b32_e32 v1, 0
	v_mov_b32_e32 v2, 0
	buffer_store_dword v1, off, s[0:3], s32 offset:424 ; 4-byte Folded Spill
	buffer_store_dword v2, off, s[0:3], s32 offset:428 ; 4-byte Folded Spill
	s_waitcnt vmcnt(0) lgkmcnt(0)
	v_cmp_ne_u16_sdwa s5, v0, v29 src0_sel:BYTE_0 src1_sel:DWORD
	s_and_saveexec_b32 s23, s5
	s_cbranch_execz .LBB231_219
; %bb.212:                              ;   in Loop: Header=BB231_16 Depth=1
	v_bfrev_b32_e32 v1, 1
	v_mov_b32_e32 v2, 0
	v_cmp_ne_u16_sdwa s5, v0, v53 src0_sel:BYTE_0 src1_sel:DWORD
	buffer_store_dword v1, off, s[0:3], s32 offset:424 ; 4-byte Folded Spill
	buffer_store_dword v2, off, s[0:3], s32 offset:428 ; 4-byte Folded Spill
	s_and_saveexec_b32 s24, s5
	s_cbranch_execz .LBB231_218
; %bb.213:                              ;   in Loop: Header=BB231_16 Depth=1
	v_mov_b32_e32 v3, 0x7f800001
	v_and_b32_e32 v2, 0x7f, v0
	v_mov_b32_e32 v4, 0
	s_mov_b32 s25, exec_lo
	buffer_store_dword v3, off, s[0:3], s32 offset:424 ; 4-byte Folded Spill
	buffer_store_dword v4, off, s[0:3], s32 offset:428 ; 4-byte Folded Spill
	v_cmpx_ne_u32_e32 0x7f, v2
	s_cbranch_execz .LBB231_217
; %bb.214:                              ;   in Loop: Header=BB231_16 Depth=1
	v_and_b32_e32 v28, 7, v0
	v_lshrrev_b32_e32 v1, 3, v2
	s_mov_b32 s26, exec_lo
	v_cmpx_gt_u32_e32 8, v2
; %bb.215:                              ;   in Loop: Header=BB231_16 Depth=1
	v_ffbh_u32_e32 v1, v28
	v_min_u32_e32 v1, 32, v1
	v_subrev_nc_u32_e32 v2, 28, v1
	v_sub_nc_u32_e32 v1, 29, v1
	v_lshlrev_b64 v[2:3], v2, v[28:29]
	v_and_b32_e32 v28, 7, v2
; %bb.216:                              ;   in Loop: Header=BB231_16 Depth=1
	s_or_b32 exec_lo, exec_lo, s26
	v_lshlrev_b32_e32 v2, 24, v0
	v_lshlrev_b32_e32 v3, 20, v28
	v_lshl_add_u32 v1, v1, 23, 0x3c000000
	v_and_b32_e32 v2, 0x80000000, v2
	v_or3_b32 v28, v3, v2, v1
	buffer_store_dword v28, off, s[0:3], s32 offset:424 ; 4-byte Folded Spill
	buffer_store_dword v29, off, s[0:3], s32 offset:428 ; 4-byte Folded Spill
.LBB231_217:                            ;   in Loop: Header=BB231_16 Depth=1
	s_or_b32 exec_lo, exec_lo, s25
.LBB231_218:                            ;   in Loop: Header=BB231_16 Depth=1
	s_or_b32 exec_lo, exec_lo, s24
.LBB231_219:                            ;   in Loop: Header=BB231_16 Depth=1
	s_or_b32 exec_lo, exec_lo, s23
	v_cmp_ne_u16_sdwa s5, v0, v29 src0_sel:BYTE_1 src1_sel:DWORD
	s_and_saveexec_b32 s23, s5
	s_cbranch_execz .LBB231_227
; %bb.220:                              ;   in Loop: Header=BB231_16 Depth=1
	v_mov_b32_e32 v37, v29
	v_cmp_ne_u16_sdwa s5, v0, v53 src0_sel:BYTE_1 src1_sel:DWORD
	buffer_store_dword v37, off, s[0:3], s32 offset:432 ; 4-byte Folded Spill
	buffer_store_dword v38, off, s[0:3], s32 offset:436 ; 4-byte Folded Spill
	s_and_saveexec_b32 s24, s5
	s_cbranch_execz .LBB231_226
; %bb.221:                              ;   in Loop: Header=BB231_16 Depth=1
	v_mov_b32_e32 v1, 0xffff
	v_mov_b32_e32 v70, v29
	s_mov_b32 s25, exec_lo
	buffer_store_dword v70, off, s[0:3], s32 offset:432 ; 4-byte Folded Spill
	buffer_store_dword v71, off, s[0:3], s32 offset:436 ; 4-byte Folded Spill
	v_and_b32_sdwa v1, v1, v0 dst_sel:DWORD dst_unused:UNUSED_PAD src0_sel:DWORD src1_sel:BYTE_1
	v_and_b32_e32 v2, 0x7f, v1
	v_cmpx_ne_u32_e32 0x7f, v2
	s_cbranch_execz .LBB231_225
; %bb.222:                              ;   in Loop: Header=BB231_16 Depth=1
	v_and_b32_e32 v28, 7, v1
	v_lshrrev_b32_e32 v1, 3, v2
	s_mov_b32 s26, exec_lo
	v_cmpx_gt_u32_e32 8, v2
; %bb.223:                              ;   in Loop: Header=BB231_16 Depth=1
	v_ffbh_u32_e32 v1, v28
	v_min_u32_e32 v1, 32, v1
	v_subrev_nc_u32_e32 v2, 28, v1
	v_sub_nc_u32_e32 v1, 29, v1
	v_lshlrev_b64 v[2:3], v2, v[28:29]
	v_and_b32_e32 v28, 7, v2
; %bb.224:                              ;   in Loop: Header=BB231_16 Depth=1
	s_or_b32 exec_lo, exec_lo, s26
	v_lshlrev_b32_e32 v2, 16, v0
	v_lshlrev_b32_e32 v3, 20, v28
	v_lshl_add_u32 v1, v1, 23, 0x3c000000
	v_and_b32_e32 v2, 0x80000000, v2
	v_or3_b32 v2, v3, v2, v1
	v_mov_b32_e32 v1, v29
	buffer_store_dword v1, off, s[0:3], s32 offset:432 ; 4-byte Folded Spill
	buffer_store_dword v2, off, s[0:3], s32 offset:436 ; 4-byte Folded Spill
.LBB231_225:                            ;   in Loop: Header=BB231_16 Depth=1
	s_or_b32 exec_lo, exec_lo, s25
.LBB231_226:                            ;   in Loop: Header=BB231_16 Depth=1
	s_or_b32 exec_lo, exec_lo, s24
.LBB231_227:                            ;   in Loop: Header=BB231_16 Depth=1
	s_or_b32 exec_lo, exec_lo, s23
	v_mov_b32_e32 v2, 0
	v_mov_b32_e32 v3, 0
	v_and_b32_sdwa v1, v0, v48 dst_sel:DWORD dst_unused:UNUSED_PAD src0_sel:WORD_1 src1_sel:DWORD
	s_mov_b32 s23, exec_lo
	buffer_store_dword v2, off, s[0:3], s32 offset:440 ; 4-byte Folded Spill
	buffer_store_dword v3, off, s[0:3], s32 offset:444 ; 4-byte Folded Spill
	v_mov_b32_e32 v2, 0
	v_mov_b32_e32 v3, 0
	buffer_store_dword v2, off, s[0:3], s32 offset:448 ; 4-byte Folded Spill
	buffer_store_dword v3, off, s[0:3], s32 offset:452 ; 4-byte Folded Spill
	v_cmpx_ne_u16_e32 0, v1
	s_cbranch_execz .LBB231_235
; %bb.228:                              ;   in Loop: Header=BB231_16 Depth=1
	v_cmp_ne_u16_e64 s5, 0x80, v1
	v_bfrev_b32_e32 v1, 1
	v_mov_b32_e32 v2, 0
	buffer_store_dword v1, off, s[0:3], s32 offset:448 ; 4-byte Folded Spill
	buffer_store_dword v2, off, s[0:3], s32 offset:452 ; 4-byte Folded Spill
	s_and_saveexec_b32 s24, s5
	s_cbranch_execz .LBB231_234
; %bb.229:                              ;   in Loop: Header=BB231_16 Depth=1
	v_mov_b32_e32 v3, 0x7f800001
	v_bfe_u32 v2, v0, 16, 7
	v_mov_b32_e32 v4, 0
	s_mov_b32 s25, exec_lo
	buffer_store_dword v3, off, s[0:3], s32 offset:448 ; 4-byte Folded Spill
	buffer_store_dword v4, off, s[0:3], s32 offset:452 ; 4-byte Folded Spill
	v_cmpx_ne_u32_e32 0x7f, v2
	s_cbranch_execz .LBB231_233
; %bb.230:                              ;   in Loop: Header=BB231_16 Depth=1
	v_mov_b32_e32 v1, 7
	s_mov_b32 s26, exec_lo
	v_and_b32_sdwa v28, v0, v1 dst_sel:DWORD dst_unused:UNUSED_PAD src0_sel:WORD_1 src1_sel:DWORD
	v_lshrrev_b32_e32 v1, 3, v2
	v_cmpx_gt_u32_e32 8, v2
; %bb.231:                              ;   in Loop: Header=BB231_16 Depth=1
	v_ffbh_u32_e32 v1, v28
	v_min_u32_e32 v1, 32, v1
	v_subrev_nc_u32_e32 v2, 28, v1
	v_sub_nc_u32_e32 v1, 29, v1
	v_lshlrev_b64 v[2:3], v2, v[28:29]
	v_and_b32_e32 v28, 7, v2
; %bb.232:                              ;   in Loop: Header=BB231_16 Depth=1
	s_or_b32 exec_lo, exec_lo, s26
	v_mov_b32_e32 v2, 24
	v_lshlrev_b32_e32 v3, 20, v28
	v_lshl_add_u32 v1, v1, 23, 0x3c000000
	v_lshlrev_b32_sdwa v2, v2, v0 dst_sel:DWORD dst_unused:UNUSED_PAD src0_sel:DWORD src1_sel:WORD_1
	v_and_b32_e32 v2, 0x80000000, v2
	v_or3_b32 v28, v3, v2, v1
	buffer_store_dword v28, off, s[0:3], s32 offset:448 ; 4-byte Folded Spill
	buffer_store_dword v29, off, s[0:3], s32 offset:452 ; 4-byte Folded Spill
.LBB231_233:                            ;   in Loop: Header=BB231_16 Depth=1
	s_or_b32 exec_lo, exec_lo, s25
.LBB231_234:                            ;   in Loop: Header=BB231_16 Depth=1
	s_or_b32 exec_lo, exec_lo, s24
.LBB231_235:                            ;   in Loop: Header=BB231_16 Depth=1
	s_or_b32 exec_lo, exec_lo, s23
	s_mov_b32 s23, exec_lo
	v_cmpx_lt_u32_e32 0xffffff, v0
	s_cbranch_execz .LBB231_243
; %bb.236:                              ;   in Loop: Header=BB231_16 Depth=1
	v_mov_b32_e32 v37, v29
	v_cmp_ne_u32_sdwa s5, v0, v53 src0_sel:BYTE_3 src1_sel:DWORD
	buffer_store_dword v37, off, s[0:3], s32 offset:440 ; 4-byte Folded Spill
	buffer_store_dword v38, off, s[0:3], s32 offset:444 ; 4-byte Folded Spill
	s_and_saveexec_b32 s24, s5
	s_cbranch_execz .LBB231_242
; %bb.237:                              ;   in Loop: Header=BB231_16 Depth=1
	v_bfe_u32 v2, v0, 24, 7
	v_mov_b32_e32 v70, v29
	s_mov_b32 s25, exec_lo
	buffer_store_dword v70, off, s[0:3], s32 offset:440 ; 4-byte Folded Spill
	buffer_store_dword v71, off, s[0:3], s32 offset:444 ; 4-byte Folded Spill
	v_cmpx_ne_u32_e32 0x7f, v2
	s_cbranch_execz .LBB231_241
; %bb.238:                              ;   in Loop: Header=BB231_16 Depth=1
	v_mov_b32_e32 v1, 7
	s_mov_b32 s26, exec_lo
	v_and_b32_sdwa v28, v0, v1 dst_sel:DWORD dst_unused:UNUSED_PAD src0_sel:BYTE_3 src1_sel:DWORD
	v_lshrrev_b32_e32 v1, 3, v2
	v_cmpx_gt_u32_e32 8, v2
; %bb.239:                              ;   in Loop: Header=BB231_16 Depth=1
	v_ffbh_u32_e32 v1, v28
	v_min_u32_e32 v1, 32, v1
	v_subrev_nc_u32_e32 v2, 28, v1
	v_sub_nc_u32_e32 v1, 29, v1
	v_lshlrev_b64 v[2:3], v2, v[28:29]
	v_and_b32_e32 v28, 7, v2
; %bb.240:                              ;   in Loop: Header=BB231_16 Depth=1
	s_or_b32 exec_lo, exec_lo, s26
	v_mov_b32_e32 v2, 24
	v_lshl_add_u32 v1, v1, 23, 0x3c000000
	v_lshlrev_b32_sdwa v0, v2, v0 dst_sel:DWORD dst_unused:UNUSED_PAD src0_sel:DWORD src1_sel:BYTE_3
	v_lshlrev_b32_e32 v2, 20, v28
	v_and_b32_e32 v0, 0x80000000, v0
	v_or3_b32 v1, v2, v0, v1
	v_mov_b32_e32 v0, v29
	buffer_store_dword v0, off, s[0:3], s32 offset:440 ; 4-byte Folded Spill
	buffer_store_dword v1, off, s[0:3], s32 offset:444 ; 4-byte Folded Spill
.LBB231_241:                            ;   in Loop: Header=BB231_16 Depth=1
	s_or_b32 exec_lo, exec_lo, s25
.LBB231_242:                            ;   in Loop: Header=BB231_16 Depth=1
	s_or_b32 exec_lo, exec_lo, s24
.LBB231_243:                            ;   in Loop: Header=BB231_16 Depth=1
	s_or_b32 exec_lo, exec_lo, s23
	flat_load_dword v0, v[18:19] offset:524
	v_mov_b32_e32 v64, 0
	v_mov_b32_e32 v68, 0
	;; [unrolled: 1-line block ×4, first 2 shown]
	s_waitcnt vmcnt(0) lgkmcnt(0)
	v_cmp_ne_u16_sdwa s5, v0, v29 src0_sel:BYTE_0 src1_sel:DWORD
	s_and_saveexec_b32 s23, s5
	s_cbranch_execz .LBB231_251
; %bb.244:                              ;   in Loop: Header=BB231_16 Depth=1
	v_bfrev_b32_e32 v68, 1
	v_mov_b32_e32 v69, 0
	v_cmp_ne_u16_sdwa s5, v0, v53 src0_sel:BYTE_0 src1_sel:DWORD
	s_and_saveexec_b32 s24, s5
	s_cbranch_execz .LBB231_250
; %bb.245:                              ;   in Loop: Header=BB231_16 Depth=1
	v_mov_b32_e32 v68, 0x7f800001
	v_and_b32_e32 v2, 0x7f, v0
	v_mov_b32_e32 v69, 0
	s_mov_b32 s25, exec_lo
	v_cmpx_ne_u32_e32 0x7f, v2
	s_cbranch_execz .LBB231_249
; %bb.246:                              ;   in Loop: Header=BB231_16 Depth=1
	v_and_b32_e32 v28, 7, v0
	v_lshrrev_b32_e32 v1, 3, v2
	s_mov_b32 s26, exec_lo
	v_cmpx_gt_u32_e32 8, v2
; %bb.247:                              ;   in Loop: Header=BB231_16 Depth=1
	v_ffbh_u32_e32 v1, v28
	v_min_u32_e32 v1, 32, v1
	v_subrev_nc_u32_e32 v2, 28, v1
	v_sub_nc_u32_e32 v1, 29, v1
	v_lshlrev_b64 v[2:3], v2, v[28:29]
	v_and_b32_e32 v28, 7, v2
; %bb.248:                              ;   in Loop: Header=BB231_16 Depth=1
	s_or_b32 exec_lo, exec_lo, s26
	v_lshlrev_b32_e32 v2, 24, v0
	v_lshlrev_b32_e32 v3, 20, v28
	v_lshl_add_u32 v1, v1, 23, 0x3c000000
	v_and_b32_e32 v2, 0x80000000, v2
	v_or3_b32 v28, v3, v2, v1
	v_mov_b32_e32 v69, v29
	v_mov_b32_e32 v68, v28
.LBB231_249:                            ;   in Loop: Header=BB231_16 Depth=1
	s_or_b32 exec_lo, exec_lo, s25
.LBB231_250:                            ;   in Loop: Header=BB231_16 Depth=1
	s_or_b32 exec_lo, exec_lo, s24
.LBB231_251:                            ;   in Loop: Header=BB231_16 Depth=1
	s_or_b32 exec_lo, exec_lo, s23
	v_cmp_ne_u16_sdwa s5, v0, v29 src0_sel:BYTE_1 src1_sel:DWORD
	s_and_saveexec_b32 s23, s5
	s_cbranch_execz .LBB231_259
; %bb.252:                              ;   in Loop: Header=BB231_16 Depth=1
	v_mov_b32_e32 v37, v29
	v_mov_b32_e32 v65, v38
	v_cmp_ne_u16_sdwa s5, v0, v53 src0_sel:BYTE_1 src1_sel:DWORD
	v_mov_b32_e32 v64, v37
	s_and_saveexec_b32 s24, s5
	s_cbranch_execz .LBB231_258
; %bb.253:                              ;   in Loop: Header=BB231_16 Depth=1
	v_mov_b32_e32 v1, 0xffff
	v_mov_b32_e32 v70, v29
	s_mov_b32 s25, exec_lo
	v_and_b32_sdwa v1, v1, v0 dst_sel:DWORD dst_unused:UNUSED_PAD src0_sel:DWORD src1_sel:BYTE_1
	v_mov_b32_e32 v64, v70
	v_mov_b32_e32 v65, v71
	v_and_b32_e32 v2, 0x7f, v1
	v_cmpx_ne_u32_e32 0x7f, v2
	s_cbranch_execz .LBB231_257
; %bb.254:                              ;   in Loop: Header=BB231_16 Depth=1
	v_and_b32_e32 v28, 7, v1
	v_lshrrev_b32_e32 v1, 3, v2
	s_mov_b32 s26, exec_lo
	v_cmpx_gt_u32_e32 8, v2
; %bb.255:                              ;   in Loop: Header=BB231_16 Depth=1
	v_ffbh_u32_e32 v1, v28
	v_min_u32_e32 v1, 32, v1
	v_subrev_nc_u32_e32 v2, 28, v1
	v_sub_nc_u32_e32 v1, 29, v1
	v_lshlrev_b64 v[2:3], v2, v[28:29]
	v_and_b32_e32 v28, 7, v2
; %bb.256:                              ;   in Loop: Header=BB231_16 Depth=1
	s_or_b32 exec_lo, exec_lo, s26
	v_lshlrev_b32_e32 v2, 16, v0
	v_lshlrev_b32_e32 v3, 20, v28
	v_lshl_add_u32 v1, v1, 23, 0x3c000000
	v_mov_b32_e32 v64, v29
	v_and_b32_e32 v2, 0x80000000, v2
	v_or3_b32 v65, v3, v2, v1
.LBB231_257:                            ;   in Loop: Header=BB231_16 Depth=1
	s_or_b32 exec_lo, exec_lo, s25
.LBB231_258:                            ;   in Loop: Header=BB231_16 Depth=1
	s_or_b32 exec_lo, exec_lo, s24
.LBB231_259:                            ;   in Loop: Header=BB231_16 Depth=1
	s_or_b32 exec_lo, exec_lo, s23
	v_mov_b32_e32 v80, 0
	v_mov_b32_e32 v82, 0
	v_and_b32_sdwa v1, v0, v48 dst_sel:DWORD dst_unused:UNUSED_PAD src0_sel:WORD_1 src1_sel:DWORD
	v_mov_b32_e32 v81, 0
	v_mov_b32_e32 v83, 0
	s_mov_b32 s23, exec_lo
	v_cmpx_ne_u16_e32 0, v1
	s_cbranch_execz .LBB231_267
; %bb.260:                              ;   in Loop: Header=BB231_16 Depth=1
	v_bfrev_b32_e32 v82, 1
	v_mov_b32_e32 v83, 0
	s_mov_b32 s24, exec_lo
	v_cmpx_ne_u16_e32 0x80, v1
	s_cbranch_execz .LBB231_266
; %bb.261:                              ;   in Loop: Header=BB231_16 Depth=1
	v_mov_b32_e32 v82, 0x7f800001
	v_bfe_u32 v2, v0, 16, 7
	v_mov_b32_e32 v83, 0
	s_mov_b32 s25, exec_lo
	v_cmpx_ne_u32_e32 0x7f, v2
	s_cbranch_execz .LBB231_265
; %bb.262:                              ;   in Loop: Header=BB231_16 Depth=1
	v_mov_b32_e32 v1, 7
	s_mov_b32 s26, exec_lo
	v_and_b32_sdwa v28, v0, v1 dst_sel:DWORD dst_unused:UNUSED_PAD src0_sel:WORD_1 src1_sel:DWORD
	v_lshrrev_b32_e32 v1, 3, v2
	v_cmpx_gt_u32_e32 8, v2
; %bb.263:                              ;   in Loop: Header=BB231_16 Depth=1
	v_ffbh_u32_e32 v1, v28
	v_min_u32_e32 v1, 32, v1
	v_subrev_nc_u32_e32 v2, 28, v1
	v_sub_nc_u32_e32 v1, 29, v1
	v_lshlrev_b64 v[2:3], v2, v[28:29]
	v_and_b32_e32 v28, 7, v2
; %bb.264:                              ;   in Loop: Header=BB231_16 Depth=1
	s_or_b32 exec_lo, exec_lo, s26
	v_mov_b32_e32 v2, 24
	v_lshlrev_b32_e32 v3, 20, v28
	v_lshl_add_u32 v1, v1, 23, 0x3c000000
	v_lshlrev_b32_sdwa v2, v2, v0 dst_sel:DWORD dst_unused:UNUSED_PAD src0_sel:DWORD src1_sel:WORD_1
	v_and_b32_e32 v2, 0x80000000, v2
	v_or3_b32 v28, v3, v2, v1
	v_mov_b32_e32 v83, v29
	v_mov_b32_e32 v82, v28
.LBB231_265:                            ;   in Loop: Header=BB231_16 Depth=1
	s_or_b32 exec_lo, exec_lo, s25
.LBB231_266:                            ;   in Loop: Header=BB231_16 Depth=1
	s_or_b32 exec_lo, exec_lo, s24
.LBB231_267:                            ;   in Loop: Header=BB231_16 Depth=1
	s_or_b32 exec_lo, exec_lo, s23
	s_mov_b32 s23, exec_lo
	v_cmpx_lt_u32_e32 0xffffff, v0
	s_cbranch_execz .LBB231_275
; %bb.268:                              ;   in Loop: Header=BB231_16 Depth=1
	v_mov_b32_e32 v37, v29
	v_mov_b32_e32 v81, v38
	v_cmp_ne_u32_sdwa s5, v0, v53 src0_sel:BYTE_3 src1_sel:DWORD
	v_mov_b32_e32 v80, v37
	s_and_saveexec_b32 s24, s5
	s_cbranch_execz .LBB231_274
; %bb.269:                              ;   in Loop: Header=BB231_16 Depth=1
	v_mov_b32_e32 v70, v29
	v_mov_b32_e32 v81, v71
	v_bfe_u32 v2, v0, 24, 7
	s_mov_b32 s25, exec_lo
	v_mov_b32_e32 v80, v70
	v_cmpx_ne_u32_e32 0x7f, v2
	s_cbranch_execz .LBB231_273
; %bb.270:                              ;   in Loop: Header=BB231_16 Depth=1
	v_mov_b32_e32 v1, 7
	s_mov_b32 s26, exec_lo
	v_and_b32_sdwa v28, v0, v1 dst_sel:DWORD dst_unused:UNUSED_PAD src0_sel:BYTE_3 src1_sel:DWORD
	v_lshrrev_b32_e32 v1, 3, v2
	v_cmpx_gt_u32_e32 8, v2
; %bb.271:                              ;   in Loop: Header=BB231_16 Depth=1
	v_ffbh_u32_e32 v1, v28
	v_min_u32_e32 v1, 32, v1
	v_subrev_nc_u32_e32 v2, 28, v1
	v_sub_nc_u32_e32 v1, 29, v1
	v_lshlrev_b64 v[2:3], v2, v[28:29]
	v_and_b32_e32 v28, 7, v2
; %bb.272:                              ;   in Loop: Header=BB231_16 Depth=1
	s_or_b32 exec_lo, exec_lo, s26
	v_mov_b32_e32 v2, 24
	v_lshl_add_u32 v1, v1, 23, 0x3c000000
	v_mov_b32_e32 v80, v29
	v_lshlrev_b32_sdwa v0, v2, v0 dst_sel:DWORD dst_unused:UNUSED_PAD src0_sel:DWORD src1_sel:BYTE_3
	v_lshlrev_b32_e32 v2, 20, v28
	v_and_b32_e32 v0, 0x80000000, v0
	v_or3_b32 v81, v2, v0, v1
.LBB231_273:                            ;   in Loop: Header=BB231_16 Depth=1
	s_or_b32 exec_lo, exec_lo, s25
.LBB231_274:                            ;   in Loop: Header=BB231_16 Depth=1
	s_or_b32 exec_lo, exec_lo, s24
.LBB231_275:                            ;   in Loop: Header=BB231_16 Depth=1
	s_or_b32 exec_lo, exec_lo, s23
	flat_load_dword v0, v[18:19] offset:1024
	v_mov_b32_e32 v86, 0
	v_mov_b32_e32 v84, 0
	;; [unrolled: 1-line block ×4, first 2 shown]
	s_waitcnt vmcnt(0) lgkmcnt(0)
	v_cmp_ne_u16_sdwa s5, v0, v29 src0_sel:BYTE_0 src1_sel:DWORD
	s_and_saveexec_b32 s23, s5
	s_cbranch_execz .LBB231_283
; %bb.276:                              ;   in Loop: Header=BB231_16 Depth=1
	v_bfrev_b32_e32 v84, 1
	v_mov_b32_e32 v85, 0
	v_cmp_ne_u16_sdwa s5, v0, v53 src0_sel:BYTE_0 src1_sel:DWORD
	s_and_saveexec_b32 s24, s5
	s_cbranch_execz .LBB231_282
; %bb.277:                              ;   in Loop: Header=BB231_16 Depth=1
	v_mov_b32_e32 v84, 0x7f800001
	v_and_b32_e32 v2, 0x7f, v0
	v_mov_b32_e32 v85, 0
	s_mov_b32 s25, exec_lo
	v_cmpx_ne_u32_e32 0x7f, v2
	s_cbranch_execz .LBB231_281
; %bb.278:                              ;   in Loop: Header=BB231_16 Depth=1
	v_and_b32_e32 v28, 7, v0
	v_lshrrev_b32_e32 v1, 3, v2
	s_mov_b32 s26, exec_lo
	v_cmpx_gt_u32_e32 8, v2
; %bb.279:                              ;   in Loop: Header=BB231_16 Depth=1
	v_ffbh_u32_e32 v1, v28
	v_min_u32_e32 v1, 32, v1
	v_subrev_nc_u32_e32 v2, 28, v1
	v_sub_nc_u32_e32 v1, 29, v1
	v_lshlrev_b64 v[2:3], v2, v[28:29]
	v_and_b32_e32 v28, 7, v2
; %bb.280:                              ;   in Loop: Header=BB231_16 Depth=1
	s_or_b32 exec_lo, exec_lo, s26
	v_lshlrev_b32_e32 v2, 24, v0
	v_lshlrev_b32_e32 v3, 20, v28
	v_lshl_add_u32 v1, v1, 23, 0x3c000000
	v_and_b32_e32 v2, 0x80000000, v2
	v_or3_b32 v28, v3, v2, v1
	v_mov_b32_e32 v85, v29
	v_mov_b32_e32 v84, v28
.LBB231_281:                            ;   in Loop: Header=BB231_16 Depth=1
	s_or_b32 exec_lo, exec_lo, s25
.LBB231_282:                            ;   in Loop: Header=BB231_16 Depth=1
	s_or_b32 exec_lo, exec_lo, s24
.LBB231_283:                            ;   in Loop: Header=BB231_16 Depth=1
	s_or_b32 exec_lo, exec_lo, s23
	v_cmp_ne_u16_sdwa s5, v0, v29 src0_sel:BYTE_1 src1_sel:DWORD
	s_and_saveexec_b32 s23, s5
	s_cbranch_execz .LBB231_291
; %bb.284:                              ;   in Loop: Header=BB231_16 Depth=1
	v_mov_b32_e32 v37, v29
	v_mov_b32_e32 v87, v38
	v_cmp_ne_u16_sdwa s5, v0, v53 src0_sel:BYTE_1 src1_sel:DWORD
	v_mov_b32_e32 v86, v37
	s_and_saveexec_b32 s24, s5
	s_cbranch_execz .LBB231_290
; %bb.285:                              ;   in Loop: Header=BB231_16 Depth=1
	v_mov_b32_e32 v1, 0xffff
	v_mov_b32_e32 v70, v29
	;; [unrolled: 1-line block ×3, first 2 shown]
	s_mov_b32 s25, exec_lo
	v_and_b32_sdwa v1, v1, v0 dst_sel:DWORD dst_unused:UNUSED_PAD src0_sel:DWORD src1_sel:BYTE_1
	v_mov_b32_e32 v86, v70
	v_and_b32_e32 v2, 0x7f, v1
	v_cmpx_ne_u32_e32 0x7f, v2
	s_cbranch_execz .LBB231_289
; %bb.286:                              ;   in Loop: Header=BB231_16 Depth=1
	v_and_b32_e32 v28, 7, v1
	v_lshrrev_b32_e32 v1, 3, v2
	s_mov_b32 s26, exec_lo
	v_cmpx_gt_u32_e32 8, v2
; %bb.287:                              ;   in Loop: Header=BB231_16 Depth=1
	v_ffbh_u32_e32 v1, v28
	v_min_u32_e32 v1, 32, v1
	v_subrev_nc_u32_e32 v2, 28, v1
	v_sub_nc_u32_e32 v1, 29, v1
	v_lshlrev_b64 v[2:3], v2, v[28:29]
	v_and_b32_e32 v28, 7, v2
; %bb.288:                              ;   in Loop: Header=BB231_16 Depth=1
	s_or_b32 exec_lo, exec_lo, s26
	v_lshlrev_b32_e32 v2, 16, v0
	v_lshlrev_b32_e32 v3, 20, v28
	v_lshl_add_u32 v1, v1, 23, 0x3c000000
	v_mov_b32_e32 v86, v29
	v_and_b32_e32 v2, 0x80000000, v2
	v_or3_b32 v87, v3, v2, v1
.LBB231_289:                            ;   in Loop: Header=BB231_16 Depth=1
	s_or_b32 exec_lo, exec_lo, s25
.LBB231_290:                            ;   in Loop: Header=BB231_16 Depth=1
	s_or_b32 exec_lo, exec_lo, s24
.LBB231_291:                            ;   in Loop: Header=BB231_16 Depth=1
	s_or_b32 exec_lo, exec_lo, s23
	v_mov_b32_e32 v96, 0
	v_mov_b32_e32 v98, 0
	v_and_b32_sdwa v1, v0, v48 dst_sel:DWORD dst_unused:UNUSED_PAD src0_sel:WORD_1 src1_sel:DWORD
	v_mov_b32_e32 v97, 0
	v_mov_b32_e32 v99, 0
	s_mov_b32 s23, exec_lo
	v_cmpx_ne_u16_e32 0, v1
	s_cbranch_execz .LBB231_299
; %bb.292:                              ;   in Loop: Header=BB231_16 Depth=1
	v_bfrev_b32_e32 v98, 1
	v_mov_b32_e32 v99, 0
	s_mov_b32 s24, exec_lo
	v_cmpx_ne_u16_e32 0x80, v1
	s_cbranch_execz .LBB231_298
; %bb.293:                              ;   in Loop: Header=BB231_16 Depth=1
	v_mov_b32_e32 v98, 0x7f800001
	v_bfe_u32 v2, v0, 16, 7
	v_mov_b32_e32 v99, 0
	s_mov_b32 s25, exec_lo
	v_cmpx_ne_u32_e32 0x7f, v2
	s_cbranch_execz .LBB231_297
; %bb.294:                              ;   in Loop: Header=BB231_16 Depth=1
	v_mov_b32_e32 v1, 7
	s_mov_b32 s26, exec_lo
	v_and_b32_sdwa v28, v0, v1 dst_sel:DWORD dst_unused:UNUSED_PAD src0_sel:WORD_1 src1_sel:DWORD
	v_lshrrev_b32_e32 v1, 3, v2
	v_cmpx_gt_u32_e32 8, v2
; %bb.295:                              ;   in Loop: Header=BB231_16 Depth=1
	v_ffbh_u32_e32 v1, v28
	v_min_u32_e32 v1, 32, v1
	v_subrev_nc_u32_e32 v2, 28, v1
	v_sub_nc_u32_e32 v1, 29, v1
	v_lshlrev_b64 v[2:3], v2, v[28:29]
	v_and_b32_e32 v28, 7, v2
; %bb.296:                              ;   in Loop: Header=BB231_16 Depth=1
	s_or_b32 exec_lo, exec_lo, s26
	v_mov_b32_e32 v2, 24
	v_lshlrev_b32_e32 v3, 20, v28
	v_lshl_add_u32 v1, v1, 23, 0x3c000000
	v_lshlrev_b32_sdwa v2, v2, v0 dst_sel:DWORD dst_unused:UNUSED_PAD src0_sel:DWORD src1_sel:WORD_1
	v_and_b32_e32 v2, 0x80000000, v2
	v_or3_b32 v28, v3, v2, v1
	v_mov_b32_e32 v99, v29
	v_mov_b32_e32 v98, v28
.LBB231_297:                            ;   in Loop: Header=BB231_16 Depth=1
	s_or_b32 exec_lo, exec_lo, s25
.LBB231_298:                            ;   in Loop: Header=BB231_16 Depth=1
	s_or_b32 exec_lo, exec_lo, s24
.LBB231_299:                            ;   in Loop: Header=BB231_16 Depth=1
	s_or_b32 exec_lo, exec_lo, s23
	s_mov_b32 s23, exec_lo
	v_cmpx_lt_u32_e32 0xffffff, v0
	s_cbranch_execz .LBB231_307
; %bb.300:                              ;   in Loop: Header=BB231_16 Depth=1
	v_mov_b32_e32 v37, v29
	v_mov_b32_e32 v97, v38
	v_cmp_ne_u32_sdwa s5, v0, v53 src0_sel:BYTE_3 src1_sel:DWORD
	v_mov_b32_e32 v96, v37
	s_and_saveexec_b32 s24, s5
	s_cbranch_execz .LBB231_306
; %bb.301:                              ;   in Loop: Header=BB231_16 Depth=1
	v_mov_b32_e32 v70, v29
	v_mov_b32_e32 v97, v71
	v_bfe_u32 v2, v0, 24, 7
	s_mov_b32 s25, exec_lo
	v_mov_b32_e32 v96, v70
	v_cmpx_ne_u32_e32 0x7f, v2
	s_cbranch_execz .LBB231_305
; %bb.302:                              ;   in Loop: Header=BB231_16 Depth=1
	v_mov_b32_e32 v1, 7
	s_mov_b32 s26, exec_lo
	v_and_b32_sdwa v28, v0, v1 dst_sel:DWORD dst_unused:UNUSED_PAD src0_sel:BYTE_3 src1_sel:DWORD
	v_lshrrev_b32_e32 v1, 3, v2
	v_cmpx_gt_u32_e32 8, v2
; %bb.303:                              ;   in Loop: Header=BB231_16 Depth=1
	v_ffbh_u32_e32 v1, v28
	v_min_u32_e32 v1, 32, v1
	v_subrev_nc_u32_e32 v2, 28, v1
	v_sub_nc_u32_e32 v1, 29, v1
	v_lshlrev_b64 v[2:3], v2, v[28:29]
	v_and_b32_e32 v28, 7, v2
; %bb.304:                              ;   in Loop: Header=BB231_16 Depth=1
	s_or_b32 exec_lo, exec_lo, s26
	v_mov_b32_e32 v2, 24
	v_lshl_add_u32 v1, v1, 23, 0x3c000000
	v_mov_b32_e32 v96, v29
	v_lshlrev_b32_sdwa v0, v2, v0 dst_sel:DWORD dst_unused:UNUSED_PAD src0_sel:DWORD src1_sel:BYTE_3
	v_lshlrev_b32_e32 v2, 20, v28
	v_and_b32_e32 v0, 0x80000000, v0
	v_or3_b32 v97, v2, v0, v1
.LBB231_305:                            ;   in Loop: Header=BB231_16 Depth=1
	s_or_b32 exec_lo, exec_lo, s25
.LBB231_306:                            ;   in Loop: Header=BB231_16 Depth=1
	s_or_b32 exec_lo, exec_lo, s24
.LBB231_307:                            ;   in Loop: Header=BB231_16 Depth=1
	s_or_b32 exec_lo, exec_lo, s23
	flat_load_dword v0, v[18:19] offset:1028
	v_mov_b32_e32 v102, 0
	v_mov_b32_e32 v100, 0
	;; [unrolled: 1-line block ×4, first 2 shown]
	s_waitcnt vmcnt(0) lgkmcnt(0)
	v_cmp_ne_u16_sdwa s5, v0, v29 src0_sel:BYTE_0 src1_sel:DWORD
	s_and_saveexec_b32 s23, s5
	s_cbranch_execz .LBB231_315
; %bb.308:                              ;   in Loop: Header=BB231_16 Depth=1
	v_bfrev_b32_e32 v100, 1
	v_mov_b32_e32 v101, 0
	v_cmp_ne_u16_sdwa s5, v0, v53 src0_sel:BYTE_0 src1_sel:DWORD
	s_and_saveexec_b32 s24, s5
	s_cbranch_execz .LBB231_314
; %bb.309:                              ;   in Loop: Header=BB231_16 Depth=1
	v_mov_b32_e32 v100, 0x7f800001
	v_and_b32_e32 v2, 0x7f, v0
	v_mov_b32_e32 v101, 0
	s_mov_b32 s25, exec_lo
	v_cmpx_ne_u32_e32 0x7f, v2
	s_cbranch_execz .LBB231_313
; %bb.310:                              ;   in Loop: Header=BB231_16 Depth=1
	v_and_b32_e32 v28, 7, v0
	v_lshrrev_b32_e32 v1, 3, v2
	s_mov_b32 s26, exec_lo
	v_cmpx_gt_u32_e32 8, v2
; %bb.311:                              ;   in Loop: Header=BB231_16 Depth=1
	v_ffbh_u32_e32 v1, v28
	v_min_u32_e32 v1, 32, v1
	v_subrev_nc_u32_e32 v2, 28, v1
	v_sub_nc_u32_e32 v1, 29, v1
	v_lshlrev_b64 v[2:3], v2, v[28:29]
	v_and_b32_e32 v28, 7, v2
; %bb.312:                              ;   in Loop: Header=BB231_16 Depth=1
	s_or_b32 exec_lo, exec_lo, s26
	v_lshlrev_b32_e32 v2, 24, v0
	v_lshlrev_b32_e32 v3, 20, v28
	v_lshl_add_u32 v1, v1, 23, 0x3c000000
	v_and_b32_e32 v2, 0x80000000, v2
	v_or3_b32 v28, v3, v2, v1
	v_mov_b32_e32 v101, v29
	v_mov_b32_e32 v100, v28
.LBB231_313:                            ;   in Loop: Header=BB231_16 Depth=1
	s_or_b32 exec_lo, exec_lo, s25
.LBB231_314:                            ;   in Loop: Header=BB231_16 Depth=1
	s_or_b32 exec_lo, exec_lo, s24
.LBB231_315:                            ;   in Loop: Header=BB231_16 Depth=1
	s_or_b32 exec_lo, exec_lo, s23
	v_cmp_ne_u16_sdwa s5, v0, v29 src0_sel:BYTE_1 src1_sel:DWORD
	s_and_saveexec_b32 s23, s5
	s_cbranch_execz .LBB231_323
; %bb.316:                              ;   in Loop: Header=BB231_16 Depth=1
	v_mov_b32_e32 v37, v29
	v_mov_b32_e32 v103, v38
	v_cmp_ne_u16_sdwa s5, v0, v53 src0_sel:BYTE_1 src1_sel:DWORD
	v_mov_b32_e32 v102, v37
	s_and_saveexec_b32 s24, s5
	s_cbranch_execz .LBB231_322
; %bb.317:                              ;   in Loop: Header=BB231_16 Depth=1
	v_mov_b32_e32 v1, 0xffff
	v_mov_b32_e32 v70, v29
	;; [unrolled: 1-line block ×3, first 2 shown]
	s_mov_b32 s25, exec_lo
	v_and_b32_sdwa v1, v1, v0 dst_sel:DWORD dst_unused:UNUSED_PAD src0_sel:DWORD src1_sel:BYTE_1
	v_mov_b32_e32 v102, v70
	v_and_b32_e32 v2, 0x7f, v1
	v_cmpx_ne_u32_e32 0x7f, v2
	s_cbranch_execz .LBB231_321
; %bb.318:                              ;   in Loop: Header=BB231_16 Depth=1
	v_and_b32_e32 v28, 7, v1
	v_lshrrev_b32_e32 v1, 3, v2
	s_mov_b32 s26, exec_lo
	v_cmpx_gt_u32_e32 8, v2
; %bb.319:                              ;   in Loop: Header=BB231_16 Depth=1
	v_ffbh_u32_e32 v1, v28
	v_min_u32_e32 v1, 32, v1
	v_subrev_nc_u32_e32 v2, 28, v1
	v_sub_nc_u32_e32 v1, 29, v1
	v_lshlrev_b64 v[2:3], v2, v[28:29]
	v_and_b32_e32 v28, 7, v2
; %bb.320:                              ;   in Loop: Header=BB231_16 Depth=1
	s_or_b32 exec_lo, exec_lo, s26
	v_lshlrev_b32_e32 v2, 16, v0
	v_lshlrev_b32_e32 v3, 20, v28
	v_lshl_add_u32 v1, v1, 23, 0x3c000000
	v_mov_b32_e32 v102, v29
	v_and_b32_e32 v2, 0x80000000, v2
	v_or3_b32 v103, v3, v2, v1
.LBB231_321:                            ;   in Loop: Header=BB231_16 Depth=1
	s_or_b32 exec_lo, exec_lo, s25
.LBB231_322:                            ;   in Loop: Header=BB231_16 Depth=1
	s_or_b32 exec_lo, exec_lo, s24
.LBB231_323:                            ;   in Loop: Header=BB231_16 Depth=1
	s_or_b32 exec_lo, exec_lo, s23
	v_mov_b32_e32 v112, 0
	v_mov_b32_e32 v114, 0
	v_and_b32_sdwa v1, v0, v48 dst_sel:DWORD dst_unused:UNUSED_PAD src0_sel:WORD_1 src1_sel:DWORD
	v_mov_b32_e32 v113, 0
	v_mov_b32_e32 v115, 0
	s_mov_b32 s23, exec_lo
	v_cmpx_ne_u16_e32 0, v1
	s_cbranch_execz .LBB231_331
; %bb.324:                              ;   in Loop: Header=BB231_16 Depth=1
	v_bfrev_b32_e32 v114, 1
	v_mov_b32_e32 v115, 0
	s_mov_b32 s24, exec_lo
	v_cmpx_ne_u16_e32 0x80, v1
	s_cbranch_execz .LBB231_330
; %bb.325:                              ;   in Loop: Header=BB231_16 Depth=1
	v_mov_b32_e32 v114, 0x7f800001
	v_bfe_u32 v2, v0, 16, 7
	v_mov_b32_e32 v115, 0
	s_mov_b32 s25, exec_lo
	v_cmpx_ne_u32_e32 0x7f, v2
	s_cbranch_execz .LBB231_329
; %bb.326:                              ;   in Loop: Header=BB231_16 Depth=1
	v_mov_b32_e32 v1, 7
	s_mov_b32 s26, exec_lo
	v_and_b32_sdwa v28, v0, v1 dst_sel:DWORD dst_unused:UNUSED_PAD src0_sel:WORD_1 src1_sel:DWORD
	v_lshrrev_b32_e32 v1, 3, v2
	v_cmpx_gt_u32_e32 8, v2
; %bb.327:                              ;   in Loop: Header=BB231_16 Depth=1
	v_ffbh_u32_e32 v1, v28
	v_min_u32_e32 v1, 32, v1
	v_subrev_nc_u32_e32 v2, 28, v1
	v_sub_nc_u32_e32 v1, 29, v1
	v_lshlrev_b64 v[2:3], v2, v[28:29]
	v_and_b32_e32 v28, 7, v2
; %bb.328:                              ;   in Loop: Header=BB231_16 Depth=1
	s_or_b32 exec_lo, exec_lo, s26
	v_mov_b32_e32 v2, 24
	v_lshlrev_b32_e32 v3, 20, v28
	v_lshl_add_u32 v1, v1, 23, 0x3c000000
	v_lshlrev_b32_sdwa v2, v2, v0 dst_sel:DWORD dst_unused:UNUSED_PAD src0_sel:DWORD src1_sel:WORD_1
	v_and_b32_e32 v2, 0x80000000, v2
	v_or3_b32 v28, v3, v2, v1
	v_mov_b32_e32 v115, v29
	v_mov_b32_e32 v114, v28
.LBB231_329:                            ;   in Loop: Header=BB231_16 Depth=1
	s_or_b32 exec_lo, exec_lo, s25
.LBB231_330:                            ;   in Loop: Header=BB231_16 Depth=1
	s_or_b32 exec_lo, exec_lo, s24
.LBB231_331:                            ;   in Loop: Header=BB231_16 Depth=1
	s_or_b32 exec_lo, exec_lo, s23
	s_mov_b32 s23, exec_lo
	v_cmpx_lt_u32_e32 0xffffff, v0
	s_cbranch_execz .LBB231_339
; %bb.332:                              ;   in Loop: Header=BB231_16 Depth=1
	v_mov_b32_e32 v37, v29
	v_mov_b32_e32 v113, v38
	v_cmp_ne_u32_sdwa s5, v0, v53 src0_sel:BYTE_3 src1_sel:DWORD
	v_mov_b32_e32 v112, v37
	s_and_saveexec_b32 s24, s5
	s_cbranch_execz .LBB231_338
; %bb.333:                              ;   in Loop: Header=BB231_16 Depth=1
	v_mov_b32_e32 v70, v29
	v_mov_b32_e32 v113, v71
	v_bfe_u32 v2, v0, 24, 7
	s_mov_b32 s25, exec_lo
	v_mov_b32_e32 v112, v70
	v_cmpx_ne_u32_e32 0x7f, v2
	s_cbranch_execz .LBB231_337
; %bb.334:                              ;   in Loop: Header=BB231_16 Depth=1
	v_mov_b32_e32 v1, 7
	s_mov_b32 s26, exec_lo
	v_and_b32_sdwa v28, v0, v1 dst_sel:DWORD dst_unused:UNUSED_PAD src0_sel:BYTE_3 src1_sel:DWORD
	v_lshrrev_b32_e32 v1, 3, v2
	v_cmpx_gt_u32_e32 8, v2
; %bb.335:                              ;   in Loop: Header=BB231_16 Depth=1
	v_ffbh_u32_e32 v1, v28
	v_min_u32_e32 v1, 32, v1
	v_subrev_nc_u32_e32 v2, 28, v1
	v_sub_nc_u32_e32 v1, 29, v1
	v_lshlrev_b64 v[2:3], v2, v[28:29]
	v_and_b32_e32 v28, 7, v2
; %bb.336:                              ;   in Loop: Header=BB231_16 Depth=1
	s_or_b32 exec_lo, exec_lo, s26
	v_mov_b32_e32 v2, 24
	v_lshl_add_u32 v1, v1, 23, 0x3c000000
	v_mov_b32_e32 v112, v29
	v_lshlrev_b32_sdwa v0, v2, v0 dst_sel:DWORD dst_unused:UNUSED_PAD src0_sel:DWORD src1_sel:BYTE_3
	v_lshlrev_b32_e32 v2, 20, v28
	v_and_b32_e32 v0, 0x80000000, v0
	v_or3_b32 v113, v2, v0, v1
.LBB231_337:                            ;   in Loop: Header=BB231_16 Depth=1
	s_or_b32 exec_lo, exec_lo, s25
.LBB231_338:                            ;   in Loop: Header=BB231_16 Depth=1
	s_or_b32 exec_lo, exec_lo, s24
.LBB231_339:                            ;   in Loop: Header=BB231_16 Depth=1
	s_or_b32 exec_lo, exec_lo, s23
	flat_load_dword v0, v[18:19] offset:1032
	v_mov_b32_e32 v118, 0
	v_mov_b32_e32 v116, 0
	;; [unrolled: 1-line block ×4, first 2 shown]
	s_waitcnt vmcnt(0) lgkmcnt(0)
	v_cmp_ne_u16_sdwa s5, v0, v29 src0_sel:BYTE_0 src1_sel:DWORD
	s_and_saveexec_b32 s23, s5
	s_cbranch_execz .LBB231_347
; %bb.340:                              ;   in Loop: Header=BB231_16 Depth=1
	v_bfrev_b32_e32 v116, 1
	v_mov_b32_e32 v117, 0
	v_cmp_ne_u16_sdwa s5, v0, v53 src0_sel:BYTE_0 src1_sel:DWORD
	s_and_saveexec_b32 s24, s5
	s_cbranch_execz .LBB231_346
; %bb.341:                              ;   in Loop: Header=BB231_16 Depth=1
	v_mov_b32_e32 v116, 0x7f800001
	v_and_b32_e32 v2, 0x7f, v0
	v_mov_b32_e32 v117, 0
	s_mov_b32 s25, exec_lo
	v_cmpx_ne_u32_e32 0x7f, v2
	s_cbranch_execz .LBB231_345
; %bb.342:                              ;   in Loop: Header=BB231_16 Depth=1
	v_and_b32_e32 v28, 7, v0
	v_lshrrev_b32_e32 v1, 3, v2
	s_mov_b32 s26, exec_lo
	v_cmpx_gt_u32_e32 8, v2
; %bb.343:                              ;   in Loop: Header=BB231_16 Depth=1
	v_ffbh_u32_e32 v1, v28
	v_min_u32_e32 v1, 32, v1
	v_subrev_nc_u32_e32 v2, 28, v1
	v_sub_nc_u32_e32 v1, 29, v1
	v_lshlrev_b64 v[2:3], v2, v[28:29]
	v_and_b32_e32 v28, 7, v2
; %bb.344:                              ;   in Loop: Header=BB231_16 Depth=1
	s_or_b32 exec_lo, exec_lo, s26
	v_lshlrev_b32_e32 v2, 24, v0
	v_lshlrev_b32_e32 v3, 20, v28
	v_lshl_add_u32 v1, v1, 23, 0x3c000000
	v_and_b32_e32 v2, 0x80000000, v2
	v_or3_b32 v28, v3, v2, v1
	v_mov_b32_e32 v117, v29
	v_mov_b32_e32 v116, v28
.LBB231_345:                            ;   in Loop: Header=BB231_16 Depth=1
	s_or_b32 exec_lo, exec_lo, s25
.LBB231_346:                            ;   in Loop: Header=BB231_16 Depth=1
	s_or_b32 exec_lo, exec_lo, s24
.LBB231_347:                            ;   in Loop: Header=BB231_16 Depth=1
	s_or_b32 exec_lo, exec_lo, s23
	v_cmp_ne_u16_sdwa s5, v0, v29 src0_sel:BYTE_1 src1_sel:DWORD
	s_and_saveexec_b32 s23, s5
	s_cbranch_execz .LBB231_355
; %bb.348:                              ;   in Loop: Header=BB231_16 Depth=1
	v_mov_b32_e32 v37, v29
	v_mov_b32_e32 v119, v38
	v_cmp_ne_u16_sdwa s5, v0, v53 src0_sel:BYTE_1 src1_sel:DWORD
	v_mov_b32_e32 v118, v37
	s_and_saveexec_b32 s24, s5
	s_cbranch_execz .LBB231_354
; %bb.349:                              ;   in Loop: Header=BB231_16 Depth=1
	v_mov_b32_e32 v1, 0xffff
	v_mov_b32_e32 v70, v29
	;; [unrolled: 1-line block ×3, first 2 shown]
	s_mov_b32 s25, exec_lo
	v_and_b32_sdwa v1, v1, v0 dst_sel:DWORD dst_unused:UNUSED_PAD src0_sel:DWORD src1_sel:BYTE_1
	v_mov_b32_e32 v118, v70
	v_and_b32_e32 v2, 0x7f, v1
	v_cmpx_ne_u32_e32 0x7f, v2
	s_cbranch_execz .LBB231_353
; %bb.350:                              ;   in Loop: Header=BB231_16 Depth=1
	v_and_b32_e32 v28, 7, v1
	v_lshrrev_b32_e32 v1, 3, v2
	s_mov_b32 s26, exec_lo
	v_cmpx_gt_u32_e32 8, v2
; %bb.351:                              ;   in Loop: Header=BB231_16 Depth=1
	v_ffbh_u32_e32 v1, v28
	v_min_u32_e32 v1, 32, v1
	v_subrev_nc_u32_e32 v2, 28, v1
	v_sub_nc_u32_e32 v1, 29, v1
	v_lshlrev_b64 v[2:3], v2, v[28:29]
	v_and_b32_e32 v28, 7, v2
; %bb.352:                              ;   in Loop: Header=BB231_16 Depth=1
	s_or_b32 exec_lo, exec_lo, s26
	v_lshlrev_b32_e32 v2, 16, v0
	v_lshlrev_b32_e32 v3, 20, v28
	v_lshl_add_u32 v1, v1, 23, 0x3c000000
	v_mov_b32_e32 v118, v29
	v_and_b32_e32 v2, 0x80000000, v2
	v_or3_b32 v119, v3, v2, v1
.LBB231_353:                            ;   in Loop: Header=BB231_16 Depth=1
	s_or_b32 exec_lo, exec_lo, s25
.LBB231_354:                            ;   in Loop: Header=BB231_16 Depth=1
	s_or_b32 exec_lo, exec_lo, s24
.LBB231_355:                            ;   in Loop: Header=BB231_16 Depth=1
	s_or_b32 exec_lo, exec_lo, s23
	v_mov_b32_e32 v39, 0
	v_mov_b32_e32 v41, 0
	v_and_b32_sdwa v1, v0, v48 dst_sel:DWORD dst_unused:UNUSED_PAD src0_sel:WORD_1 src1_sel:DWORD
	v_mov_b32_e32 v40, 0
	v_mov_b32_e32 v42, 0
	s_mov_b32 s23, exec_lo
	v_cmpx_ne_u16_e32 0, v1
	s_cbranch_execz .LBB231_363
; %bb.356:                              ;   in Loop: Header=BB231_16 Depth=1
	v_bfrev_b32_e32 v41, 1
	v_mov_b32_e32 v42, 0
	s_mov_b32 s24, exec_lo
	v_cmpx_ne_u16_e32 0x80, v1
	s_cbranch_execz .LBB231_362
; %bb.357:                              ;   in Loop: Header=BB231_16 Depth=1
	v_mov_b32_e32 v41, 0x7f800001
	v_bfe_u32 v2, v0, 16, 7
	v_mov_b32_e32 v42, 0
	s_mov_b32 s25, exec_lo
	v_cmpx_ne_u32_e32 0x7f, v2
	s_cbranch_execz .LBB231_361
; %bb.358:                              ;   in Loop: Header=BB231_16 Depth=1
	v_mov_b32_e32 v1, 7
	s_mov_b32 s26, exec_lo
	v_and_b32_sdwa v28, v0, v1 dst_sel:DWORD dst_unused:UNUSED_PAD src0_sel:WORD_1 src1_sel:DWORD
	v_lshrrev_b32_e32 v1, 3, v2
	v_cmpx_gt_u32_e32 8, v2
; %bb.359:                              ;   in Loop: Header=BB231_16 Depth=1
	v_ffbh_u32_e32 v1, v28
	v_min_u32_e32 v1, 32, v1
	v_subrev_nc_u32_e32 v2, 28, v1
	v_sub_nc_u32_e32 v1, 29, v1
	v_lshlrev_b64 v[2:3], v2, v[28:29]
	v_and_b32_e32 v28, 7, v2
; %bb.360:                              ;   in Loop: Header=BB231_16 Depth=1
	s_or_b32 exec_lo, exec_lo, s26
	v_mov_b32_e32 v2, 24
	v_lshlrev_b32_e32 v3, 20, v28
	v_lshl_add_u32 v1, v1, 23, 0x3c000000
	v_lshlrev_b32_sdwa v2, v2, v0 dst_sel:DWORD dst_unused:UNUSED_PAD src0_sel:DWORD src1_sel:WORD_1
	v_and_b32_e32 v2, 0x80000000, v2
	v_or3_b32 v28, v3, v2, v1
	v_mov_b32_e32 v42, v29
	v_mov_b32_e32 v41, v28
.LBB231_361:                            ;   in Loop: Header=BB231_16 Depth=1
	s_or_b32 exec_lo, exec_lo, s25
.LBB231_362:                            ;   in Loop: Header=BB231_16 Depth=1
	s_or_b32 exec_lo, exec_lo, s24
.LBB231_363:                            ;   in Loop: Header=BB231_16 Depth=1
	s_or_b32 exec_lo, exec_lo, s23
	s_mov_b32 s23, exec_lo
	v_cmpx_lt_u32_e32 0xffffff, v0
	s_cbranch_execz .LBB231_371
; %bb.364:                              ;   in Loop: Header=BB231_16 Depth=1
	v_mov_b32_e32 v37, v29
	v_mov_b32_e32 v40, v38
	v_cmp_ne_u32_sdwa s5, v0, v53 src0_sel:BYTE_3 src1_sel:DWORD
	v_mov_b32_e32 v39, v37
	s_and_saveexec_b32 s24, s5
	s_cbranch_execz .LBB231_370
; %bb.365:                              ;   in Loop: Header=BB231_16 Depth=1
	v_mov_b32_e32 v70, v29
	v_bfe_u32 v2, v0, 24, 7
	s_mov_b32 s25, exec_lo
	v_mov_b32_e32 v39, v70
	v_mov_b32_e32 v40, v71
	v_cmpx_ne_u32_e32 0x7f, v2
	s_cbranch_execz .LBB231_369
; %bb.366:                              ;   in Loop: Header=BB231_16 Depth=1
	v_mov_b32_e32 v1, 7
	s_mov_b32 s26, exec_lo
	v_and_b32_sdwa v28, v0, v1 dst_sel:DWORD dst_unused:UNUSED_PAD src0_sel:BYTE_3 src1_sel:DWORD
	v_lshrrev_b32_e32 v1, 3, v2
	v_cmpx_gt_u32_e32 8, v2
; %bb.367:                              ;   in Loop: Header=BB231_16 Depth=1
	v_ffbh_u32_e32 v1, v28
	v_min_u32_e32 v1, 32, v1
	v_subrev_nc_u32_e32 v2, 28, v1
	v_sub_nc_u32_e32 v1, 29, v1
	v_lshlrev_b64 v[2:3], v2, v[28:29]
	v_and_b32_e32 v28, 7, v2
; %bb.368:                              ;   in Loop: Header=BB231_16 Depth=1
	s_or_b32 exec_lo, exec_lo, s26
	v_mov_b32_e32 v2, 24
	v_lshl_add_u32 v1, v1, 23, 0x3c000000
	v_mov_b32_e32 v39, v29
	v_lshlrev_b32_sdwa v0, v2, v0 dst_sel:DWORD dst_unused:UNUSED_PAD src0_sel:DWORD src1_sel:BYTE_3
	v_lshlrev_b32_e32 v2, 20, v28
	v_and_b32_e32 v0, 0x80000000, v0
	v_or3_b32 v40, v2, v0, v1
.LBB231_369:                            ;   in Loop: Header=BB231_16 Depth=1
	s_or_b32 exec_lo, exec_lo, s25
.LBB231_370:                            ;   in Loop: Header=BB231_16 Depth=1
	s_or_b32 exec_lo, exec_lo, s24
.LBB231_371:                            ;   in Loop: Header=BB231_16 Depth=1
	s_or_b32 exec_lo, exec_lo, s23
	flat_load_dword v0, v[18:19] offset:1036
	v_mov_b32_e32 v45, 0
	v_mov_b32_e32 v43, 0
	;; [unrolled: 1-line block ×4, first 2 shown]
	s_waitcnt vmcnt(0) lgkmcnt(0)
	v_cmp_ne_u16_sdwa s5, v0, v29 src0_sel:BYTE_0 src1_sel:DWORD
	s_and_saveexec_b32 s23, s5
	s_cbranch_execz .LBB231_379
; %bb.372:                              ;   in Loop: Header=BB231_16 Depth=1
	v_bfrev_b32_e32 v43, 1
	v_mov_b32_e32 v44, 0
	v_cmp_ne_u16_sdwa s5, v0, v53 src0_sel:BYTE_0 src1_sel:DWORD
	s_and_saveexec_b32 s24, s5
	s_cbranch_execz .LBB231_378
; %bb.373:                              ;   in Loop: Header=BB231_16 Depth=1
	v_mov_b32_e32 v43, 0x7f800001
	v_and_b32_e32 v2, 0x7f, v0
	v_mov_b32_e32 v44, 0
	s_mov_b32 s25, exec_lo
	v_cmpx_ne_u32_e32 0x7f, v2
	s_cbranch_execz .LBB231_377
; %bb.374:                              ;   in Loop: Header=BB231_16 Depth=1
	v_and_b32_e32 v28, 7, v0
	v_lshrrev_b32_e32 v1, 3, v2
	s_mov_b32 s26, exec_lo
	v_cmpx_gt_u32_e32 8, v2
; %bb.375:                              ;   in Loop: Header=BB231_16 Depth=1
	v_ffbh_u32_e32 v1, v28
	v_min_u32_e32 v1, 32, v1
	v_subrev_nc_u32_e32 v2, 28, v1
	v_sub_nc_u32_e32 v1, 29, v1
	v_lshlrev_b64 v[2:3], v2, v[28:29]
	v_and_b32_e32 v28, 7, v2
; %bb.376:                              ;   in Loop: Header=BB231_16 Depth=1
	s_or_b32 exec_lo, exec_lo, s26
	v_lshlrev_b32_e32 v2, 24, v0
	v_lshlrev_b32_e32 v3, 20, v28
	v_lshl_add_u32 v1, v1, 23, 0x3c000000
	v_and_b32_e32 v2, 0x80000000, v2
	v_or3_b32 v28, v3, v2, v1
	v_mov_b32_e32 v44, v29
	v_mov_b32_e32 v43, v28
.LBB231_377:                            ;   in Loop: Header=BB231_16 Depth=1
	s_or_b32 exec_lo, exec_lo, s25
.LBB231_378:                            ;   in Loop: Header=BB231_16 Depth=1
	s_or_b32 exec_lo, exec_lo, s24
.LBB231_379:                            ;   in Loop: Header=BB231_16 Depth=1
	s_or_b32 exec_lo, exec_lo, s23
	v_cmp_ne_u16_sdwa s5, v0, v29 src0_sel:BYTE_1 src1_sel:DWORD
	s_and_saveexec_b32 s23, s5
	s_cbranch_execz .LBB231_387
; %bb.380:                              ;   in Loop: Header=BB231_16 Depth=1
	v_mov_b32_e32 v37, v29
	v_mov_b32_e32 v46, v38
	v_cmp_ne_u16_sdwa s5, v0, v53 src0_sel:BYTE_1 src1_sel:DWORD
	v_mov_b32_e32 v45, v37
	s_and_saveexec_b32 s24, s5
	s_cbranch_execz .LBB231_386
; %bb.381:                              ;   in Loop: Header=BB231_16 Depth=1
	v_mov_b32_e32 v1, 0xffff
	v_mov_b32_e32 v70, v29
	s_mov_b32 s25, exec_lo
	v_and_b32_sdwa v1, v1, v0 dst_sel:DWORD dst_unused:UNUSED_PAD src0_sel:DWORD src1_sel:BYTE_1
	v_mov_b32_e32 v45, v70
	v_mov_b32_e32 v46, v71
	v_and_b32_e32 v2, 0x7f, v1
	v_cmpx_ne_u32_e32 0x7f, v2
	s_cbranch_execz .LBB231_385
; %bb.382:                              ;   in Loop: Header=BB231_16 Depth=1
	v_and_b32_e32 v28, 7, v1
	v_lshrrev_b32_e32 v1, 3, v2
	s_mov_b32 s26, exec_lo
	v_cmpx_gt_u32_e32 8, v2
; %bb.383:                              ;   in Loop: Header=BB231_16 Depth=1
	v_ffbh_u32_e32 v1, v28
	v_min_u32_e32 v1, 32, v1
	v_subrev_nc_u32_e32 v2, 28, v1
	v_sub_nc_u32_e32 v1, 29, v1
	v_lshlrev_b64 v[2:3], v2, v[28:29]
	v_and_b32_e32 v28, 7, v2
; %bb.384:                              ;   in Loop: Header=BB231_16 Depth=1
	s_or_b32 exec_lo, exec_lo, s26
	v_lshlrev_b32_e32 v2, 16, v0
	v_lshlrev_b32_e32 v3, 20, v28
	v_lshl_add_u32 v1, v1, 23, 0x3c000000
	v_mov_b32_e32 v45, v29
	v_and_b32_e32 v2, 0x80000000, v2
	v_or3_b32 v46, v3, v2, v1
.LBB231_385:                            ;   in Loop: Header=BB231_16 Depth=1
	s_or_b32 exec_lo, exec_lo, s25
.LBB231_386:                            ;   in Loop: Header=BB231_16 Depth=1
	s_or_b32 exec_lo, exec_lo, s24
.LBB231_387:                            ;   in Loop: Header=BB231_16 Depth=1
	s_or_b32 exec_lo, exec_lo, s23
	v_mov_b32_e32 v56, 0
	v_mov_b32_e32 v58, 0
	v_and_b32_sdwa v1, v0, v48 dst_sel:DWORD dst_unused:UNUSED_PAD src0_sel:WORD_1 src1_sel:DWORD
	v_mov_b32_e32 v57, 0
	v_mov_b32_e32 v59, 0
	s_mov_b32 s23, exec_lo
	v_cmpx_ne_u16_e32 0, v1
	s_cbranch_execz .LBB231_395
; %bb.388:                              ;   in Loop: Header=BB231_16 Depth=1
	v_bfrev_b32_e32 v58, 1
	v_mov_b32_e32 v59, 0
	s_mov_b32 s24, exec_lo
	v_cmpx_ne_u16_e32 0x80, v1
	s_cbranch_execz .LBB231_394
; %bb.389:                              ;   in Loop: Header=BB231_16 Depth=1
	v_mov_b32_e32 v58, 0x7f800001
	v_bfe_u32 v2, v0, 16, 7
	v_mov_b32_e32 v59, 0
	s_mov_b32 s25, exec_lo
	v_cmpx_ne_u32_e32 0x7f, v2
	s_cbranch_execz .LBB231_393
; %bb.390:                              ;   in Loop: Header=BB231_16 Depth=1
	v_mov_b32_e32 v1, 7
	s_mov_b32 s26, exec_lo
	v_and_b32_sdwa v28, v0, v1 dst_sel:DWORD dst_unused:UNUSED_PAD src0_sel:WORD_1 src1_sel:DWORD
	v_lshrrev_b32_e32 v1, 3, v2
	v_cmpx_gt_u32_e32 8, v2
; %bb.391:                              ;   in Loop: Header=BB231_16 Depth=1
	v_ffbh_u32_e32 v1, v28
	v_min_u32_e32 v1, 32, v1
	v_subrev_nc_u32_e32 v2, 28, v1
	v_sub_nc_u32_e32 v1, 29, v1
	v_lshlrev_b64 v[2:3], v2, v[28:29]
	v_and_b32_e32 v28, 7, v2
; %bb.392:                              ;   in Loop: Header=BB231_16 Depth=1
	s_or_b32 exec_lo, exec_lo, s26
	v_mov_b32_e32 v2, 24
	v_lshlrev_b32_e32 v3, 20, v28
	v_lshl_add_u32 v1, v1, 23, 0x3c000000
	v_lshlrev_b32_sdwa v2, v2, v0 dst_sel:DWORD dst_unused:UNUSED_PAD src0_sel:DWORD src1_sel:WORD_1
	v_and_b32_e32 v2, 0x80000000, v2
	v_or3_b32 v28, v3, v2, v1
	v_mov_b32_e32 v59, v29
	v_mov_b32_e32 v58, v28
.LBB231_393:                            ;   in Loop: Header=BB231_16 Depth=1
	s_or_b32 exec_lo, exec_lo, s25
.LBB231_394:                            ;   in Loop: Header=BB231_16 Depth=1
	s_or_b32 exec_lo, exec_lo, s24
.LBB231_395:                            ;   in Loop: Header=BB231_16 Depth=1
	s_or_b32 exec_lo, exec_lo, s23
	s_mov_b32 s23, exec_lo
	v_cmpx_lt_u32_e32 0xffffff, v0
	s_cbranch_execz .LBB231_403
; %bb.396:                              ;   in Loop: Header=BB231_16 Depth=1
	v_mov_b32_e32 v37, v29
	v_mov_b32_e32 v57, v38
	v_cmp_ne_u32_sdwa s5, v0, v53 src0_sel:BYTE_3 src1_sel:DWORD
	v_mov_b32_e32 v56, v37
	s_and_saveexec_b32 s24, s5
	s_cbranch_execz .LBB231_402
; %bb.397:                              ;   in Loop: Header=BB231_16 Depth=1
	v_mov_b32_e32 v70, v29
	v_bfe_u32 v2, v0, 24, 7
	s_mov_b32 s25, exec_lo
	v_mov_b32_e32 v56, v70
	v_mov_b32_e32 v57, v71
	v_cmpx_ne_u32_e32 0x7f, v2
	s_cbranch_execz .LBB231_401
; %bb.398:                              ;   in Loop: Header=BB231_16 Depth=1
	v_mov_b32_e32 v1, 7
	s_mov_b32 s26, exec_lo
	v_and_b32_sdwa v28, v0, v1 dst_sel:DWORD dst_unused:UNUSED_PAD src0_sel:BYTE_3 src1_sel:DWORD
	v_lshrrev_b32_e32 v1, 3, v2
	v_cmpx_gt_u32_e32 8, v2
; %bb.399:                              ;   in Loop: Header=BB231_16 Depth=1
	v_ffbh_u32_e32 v1, v28
	v_min_u32_e32 v1, 32, v1
	v_subrev_nc_u32_e32 v2, 28, v1
	v_sub_nc_u32_e32 v1, 29, v1
	v_lshlrev_b64 v[2:3], v2, v[28:29]
	v_and_b32_e32 v28, 7, v2
; %bb.400:                              ;   in Loop: Header=BB231_16 Depth=1
	s_or_b32 exec_lo, exec_lo, s26
	v_mov_b32_e32 v2, 24
	v_lshl_add_u32 v1, v1, 23, 0x3c000000
	v_mov_b32_e32 v56, v29
	v_lshlrev_b32_sdwa v0, v2, v0 dst_sel:DWORD dst_unused:UNUSED_PAD src0_sel:DWORD src1_sel:BYTE_3
	v_lshlrev_b32_e32 v2, 20, v28
	v_and_b32_e32 v0, 0x80000000, v0
	v_or3_b32 v57, v2, v0, v1
.LBB231_401:                            ;   in Loop: Header=BB231_16 Depth=1
	s_or_b32 exec_lo, exec_lo, s25
.LBB231_402:                            ;   in Loop: Header=BB231_16 Depth=1
	s_or_b32 exec_lo, exec_lo, s24
.LBB231_403:                            ;   in Loop: Header=BB231_16 Depth=1
	s_or_b32 exec_lo, exec_lo, s23
	flat_load_dword v0, v[18:19] offset:1536
	v_mov_b32_e32 v62, 0
	v_mov_b32_e32 v60, 0
	v_mov_b32_e32 v63, 0
	v_mov_b32_e32 v61, 0
	s_waitcnt vmcnt(0) lgkmcnt(0)
	v_cmp_ne_u16_sdwa s5, v0, v29 src0_sel:BYTE_0 src1_sel:DWORD
	s_and_saveexec_b32 s23, s5
	s_cbranch_execz .LBB231_411
; %bb.404:                              ;   in Loop: Header=BB231_16 Depth=1
	v_bfrev_b32_e32 v60, 1
	v_mov_b32_e32 v61, 0
	v_cmp_ne_u16_sdwa s5, v0, v53 src0_sel:BYTE_0 src1_sel:DWORD
	s_and_saveexec_b32 s24, s5
	s_cbranch_execz .LBB231_410
; %bb.405:                              ;   in Loop: Header=BB231_16 Depth=1
	v_mov_b32_e32 v60, 0x7f800001
	v_and_b32_e32 v2, 0x7f, v0
	v_mov_b32_e32 v61, 0
	s_mov_b32 s25, exec_lo
	v_cmpx_ne_u32_e32 0x7f, v2
	s_cbranch_execz .LBB231_409
; %bb.406:                              ;   in Loop: Header=BB231_16 Depth=1
	v_and_b32_e32 v28, 7, v0
	v_lshrrev_b32_e32 v1, 3, v2
	s_mov_b32 s26, exec_lo
	v_cmpx_gt_u32_e32 8, v2
; %bb.407:                              ;   in Loop: Header=BB231_16 Depth=1
	v_ffbh_u32_e32 v1, v28
	v_min_u32_e32 v1, 32, v1
	v_subrev_nc_u32_e32 v2, 28, v1
	v_sub_nc_u32_e32 v1, 29, v1
	v_lshlrev_b64 v[2:3], v2, v[28:29]
	v_and_b32_e32 v28, 7, v2
; %bb.408:                              ;   in Loop: Header=BB231_16 Depth=1
	s_or_b32 exec_lo, exec_lo, s26
	v_lshlrev_b32_e32 v2, 24, v0
	v_lshlrev_b32_e32 v3, 20, v28
	v_lshl_add_u32 v1, v1, 23, 0x3c000000
	v_and_b32_e32 v2, 0x80000000, v2
	v_or3_b32 v28, v3, v2, v1
	v_mov_b32_e32 v61, v29
	v_mov_b32_e32 v60, v28
.LBB231_409:                            ;   in Loop: Header=BB231_16 Depth=1
	s_or_b32 exec_lo, exec_lo, s25
.LBB231_410:                            ;   in Loop: Header=BB231_16 Depth=1
	s_or_b32 exec_lo, exec_lo, s24
.LBB231_411:                            ;   in Loop: Header=BB231_16 Depth=1
	s_or_b32 exec_lo, exec_lo, s23
	v_cmp_ne_u16_sdwa s5, v0, v29 src0_sel:BYTE_1 src1_sel:DWORD
	s_and_saveexec_b32 s23, s5
	s_cbranch_execz .LBB231_419
; %bb.412:                              ;   in Loop: Header=BB231_16 Depth=1
	v_mov_b32_e32 v37, v29
	v_mov_b32_e32 v63, v38
	v_cmp_ne_u16_sdwa s5, v0, v53 src0_sel:BYTE_1 src1_sel:DWORD
	v_mov_b32_e32 v62, v37
	s_and_saveexec_b32 s24, s5
	s_cbranch_execz .LBB231_418
; %bb.413:                              ;   in Loop: Header=BB231_16 Depth=1
	v_mov_b32_e32 v1, 0xffff
	v_mov_b32_e32 v70, v29
	s_mov_b32 s25, exec_lo
	v_and_b32_sdwa v1, v1, v0 dst_sel:DWORD dst_unused:UNUSED_PAD src0_sel:DWORD src1_sel:BYTE_1
	v_mov_b32_e32 v62, v70
	v_mov_b32_e32 v63, v71
	v_and_b32_e32 v2, 0x7f, v1
	v_cmpx_ne_u32_e32 0x7f, v2
	s_cbranch_execz .LBB231_417
; %bb.414:                              ;   in Loop: Header=BB231_16 Depth=1
	v_and_b32_e32 v28, 7, v1
	v_lshrrev_b32_e32 v1, 3, v2
	s_mov_b32 s26, exec_lo
	v_cmpx_gt_u32_e32 8, v2
; %bb.415:                              ;   in Loop: Header=BB231_16 Depth=1
	v_ffbh_u32_e32 v1, v28
	v_min_u32_e32 v1, 32, v1
	v_subrev_nc_u32_e32 v2, 28, v1
	v_sub_nc_u32_e32 v1, 29, v1
	v_lshlrev_b64 v[2:3], v2, v[28:29]
	v_and_b32_e32 v28, 7, v2
; %bb.416:                              ;   in Loop: Header=BB231_16 Depth=1
	s_or_b32 exec_lo, exec_lo, s26
	v_lshlrev_b32_e32 v2, 16, v0
	v_lshlrev_b32_e32 v3, 20, v28
	v_lshl_add_u32 v1, v1, 23, 0x3c000000
	v_mov_b32_e32 v62, v29
	v_and_b32_e32 v2, 0x80000000, v2
	v_or3_b32 v63, v3, v2, v1
.LBB231_417:                            ;   in Loop: Header=BB231_16 Depth=1
	s_or_b32 exec_lo, exec_lo, s25
.LBB231_418:                            ;   in Loop: Header=BB231_16 Depth=1
	s_or_b32 exec_lo, exec_lo, s24
.LBB231_419:                            ;   in Loop: Header=BB231_16 Depth=1
	s_or_b32 exec_lo, exec_lo, s23
	v_mov_b32_e32 v72, 0
	v_mov_b32_e32 v74, 0
	v_and_b32_sdwa v1, v0, v48 dst_sel:DWORD dst_unused:UNUSED_PAD src0_sel:WORD_1 src1_sel:DWORD
	v_mov_b32_e32 v73, 0
	v_mov_b32_e32 v75, 0
	s_mov_b32 s23, exec_lo
	v_cmpx_ne_u16_e32 0, v1
	s_cbranch_execz .LBB231_427
; %bb.420:                              ;   in Loop: Header=BB231_16 Depth=1
	v_bfrev_b32_e32 v74, 1
	v_mov_b32_e32 v75, 0
	s_mov_b32 s24, exec_lo
	v_cmpx_ne_u16_e32 0x80, v1
	s_cbranch_execz .LBB231_426
; %bb.421:                              ;   in Loop: Header=BB231_16 Depth=1
	v_mov_b32_e32 v74, 0x7f800001
	v_bfe_u32 v2, v0, 16, 7
	v_mov_b32_e32 v75, 0
	s_mov_b32 s25, exec_lo
	v_cmpx_ne_u32_e32 0x7f, v2
	s_cbranch_execz .LBB231_425
; %bb.422:                              ;   in Loop: Header=BB231_16 Depth=1
	v_mov_b32_e32 v1, 7
	s_mov_b32 s26, exec_lo
	v_and_b32_sdwa v28, v0, v1 dst_sel:DWORD dst_unused:UNUSED_PAD src0_sel:WORD_1 src1_sel:DWORD
	v_lshrrev_b32_e32 v1, 3, v2
	v_cmpx_gt_u32_e32 8, v2
; %bb.423:                              ;   in Loop: Header=BB231_16 Depth=1
	v_ffbh_u32_e32 v1, v28
	v_min_u32_e32 v1, 32, v1
	v_subrev_nc_u32_e32 v2, 28, v1
	v_sub_nc_u32_e32 v1, 29, v1
	v_lshlrev_b64 v[2:3], v2, v[28:29]
	v_and_b32_e32 v28, 7, v2
; %bb.424:                              ;   in Loop: Header=BB231_16 Depth=1
	s_or_b32 exec_lo, exec_lo, s26
	v_mov_b32_e32 v2, 24
	v_lshlrev_b32_e32 v3, 20, v28
	v_lshl_add_u32 v1, v1, 23, 0x3c000000
	v_lshlrev_b32_sdwa v2, v2, v0 dst_sel:DWORD dst_unused:UNUSED_PAD src0_sel:DWORD src1_sel:WORD_1
	v_and_b32_e32 v2, 0x80000000, v2
	v_or3_b32 v28, v3, v2, v1
	v_mov_b32_e32 v75, v29
	v_mov_b32_e32 v74, v28
.LBB231_425:                            ;   in Loop: Header=BB231_16 Depth=1
	s_or_b32 exec_lo, exec_lo, s25
.LBB231_426:                            ;   in Loop: Header=BB231_16 Depth=1
	s_or_b32 exec_lo, exec_lo, s24
.LBB231_427:                            ;   in Loop: Header=BB231_16 Depth=1
	s_or_b32 exec_lo, exec_lo, s23
	s_mov_b32 s23, exec_lo
	v_cmpx_lt_u32_e32 0xffffff, v0
	s_cbranch_execz .LBB231_435
; %bb.428:                              ;   in Loop: Header=BB231_16 Depth=1
	v_mov_b32_e32 v37, v29
	v_mov_b32_e32 v73, v38
	v_cmp_ne_u32_sdwa s5, v0, v53 src0_sel:BYTE_3 src1_sel:DWORD
	v_mov_b32_e32 v72, v37
	s_and_saveexec_b32 s24, s5
	s_cbranch_execz .LBB231_434
; %bb.429:                              ;   in Loop: Header=BB231_16 Depth=1
	v_mov_b32_e32 v70, v29
	v_mov_b32_e32 v73, v71
	v_bfe_u32 v2, v0, 24, 7
	s_mov_b32 s25, exec_lo
	v_mov_b32_e32 v72, v70
	v_cmpx_ne_u32_e32 0x7f, v2
	s_cbranch_execz .LBB231_433
; %bb.430:                              ;   in Loop: Header=BB231_16 Depth=1
	v_mov_b32_e32 v1, 7
	s_mov_b32 s26, exec_lo
	v_and_b32_sdwa v28, v0, v1 dst_sel:DWORD dst_unused:UNUSED_PAD src0_sel:BYTE_3 src1_sel:DWORD
	v_lshrrev_b32_e32 v1, 3, v2
	v_cmpx_gt_u32_e32 8, v2
; %bb.431:                              ;   in Loop: Header=BB231_16 Depth=1
	v_ffbh_u32_e32 v1, v28
	v_min_u32_e32 v1, 32, v1
	v_subrev_nc_u32_e32 v2, 28, v1
	v_sub_nc_u32_e32 v1, 29, v1
	v_lshlrev_b64 v[2:3], v2, v[28:29]
	v_and_b32_e32 v28, 7, v2
; %bb.432:                              ;   in Loop: Header=BB231_16 Depth=1
	s_or_b32 exec_lo, exec_lo, s26
	v_mov_b32_e32 v2, 24
	v_lshl_add_u32 v1, v1, 23, 0x3c000000
	v_mov_b32_e32 v72, v29
	v_lshlrev_b32_sdwa v0, v2, v0 dst_sel:DWORD dst_unused:UNUSED_PAD src0_sel:DWORD src1_sel:BYTE_3
	v_lshlrev_b32_e32 v2, 20, v28
	v_and_b32_e32 v0, 0x80000000, v0
	v_or3_b32 v73, v2, v0, v1
.LBB231_433:                            ;   in Loop: Header=BB231_16 Depth=1
	s_or_b32 exec_lo, exec_lo, s25
.LBB231_434:                            ;   in Loop: Header=BB231_16 Depth=1
	s_or_b32 exec_lo, exec_lo, s24
.LBB231_435:                            ;   in Loop: Header=BB231_16 Depth=1
	s_or_b32 exec_lo, exec_lo, s23
	flat_load_dword v0, v[18:19] offset:1540
	v_mov_b32_e32 v78, 0
	v_mov_b32_e32 v76, 0
	;; [unrolled: 1-line block ×4, first 2 shown]
	s_waitcnt vmcnt(0) lgkmcnt(0)
	v_cmp_ne_u16_sdwa s5, v0, v29 src0_sel:BYTE_0 src1_sel:DWORD
	s_and_saveexec_b32 s23, s5
	s_cbranch_execz .LBB231_443
; %bb.436:                              ;   in Loop: Header=BB231_16 Depth=1
	v_bfrev_b32_e32 v76, 1
	v_mov_b32_e32 v77, 0
	v_cmp_ne_u16_sdwa s5, v0, v53 src0_sel:BYTE_0 src1_sel:DWORD
	s_and_saveexec_b32 s24, s5
	s_cbranch_execz .LBB231_442
; %bb.437:                              ;   in Loop: Header=BB231_16 Depth=1
	v_mov_b32_e32 v76, 0x7f800001
	v_and_b32_e32 v2, 0x7f, v0
	v_mov_b32_e32 v77, 0
	s_mov_b32 s25, exec_lo
	v_cmpx_ne_u32_e32 0x7f, v2
	s_cbranch_execz .LBB231_441
; %bb.438:                              ;   in Loop: Header=BB231_16 Depth=1
	v_and_b32_e32 v28, 7, v0
	v_lshrrev_b32_e32 v1, 3, v2
	s_mov_b32 s26, exec_lo
	v_cmpx_gt_u32_e32 8, v2
; %bb.439:                              ;   in Loop: Header=BB231_16 Depth=1
	v_ffbh_u32_e32 v1, v28
	v_min_u32_e32 v1, 32, v1
	v_subrev_nc_u32_e32 v2, 28, v1
	v_sub_nc_u32_e32 v1, 29, v1
	v_lshlrev_b64 v[2:3], v2, v[28:29]
	v_and_b32_e32 v28, 7, v2
; %bb.440:                              ;   in Loop: Header=BB231_16 Depth=1
	s_or_b32 exec_lo, exec_lo, s26
	v_lshlrev_b32_e32 v2, 24, v0
	v_lshlrev_b32_e32 v3, 20, v28
	v_lshl_add_u32 v1, v1, 23, 0x3c000000
	v_and_b32_e32 v2, 0x80000000, v2
	v_or3_b32 v28, v3, v2, v1
	v_mov_b32_e32 v77, v29
	v_mov_b32_e32 v76, v28
.LBB231_441:                            ;   in Loop: Header=BB231_16 Depth=1
	s_or_b32 exec_lo, exec_lo, s25
.LBB231_442:                            ;   in Loop: Header=BB231_16 Depth=1
	s_or_b32 exec_lo, exec_lo, s24
.LBB231_443:                            ;   in Loop: Header=BB231_16 Depth=1
	s_or_b32 exec_lo, exec_lo, s23
	v_cmp_ne_u16_sdwa s5, v0, v29 src0_sel:BYTE_1 src1_sel:DWORD
	s_and_saveexec_b32 s23, s5
	s_cbranch_execz .LBB231_451
; %bb.444:                              ;   in Loop: Header=BB231_16 Depth=1
	v_mov_b32_e32 v37, v29
	v_mov_b32_e32 v79, v38
	v_cmp_ne_u16_sdwa s5, v0, v53 src0_sel:BYTE_1 src1_sel:DWORD
	v_mov_b32_e32 v78, v37
	s_and_saveexec_b32 s24, s5
	s_cbranch_execz .LBB231_450
; %bb.445:                              ;   in Loop: Header=BB231_16 Depth=1
	v_mov_b32_e32 v1, 0xffff
	v_mov_b32_e32 v70, v29
	;; [unrolled: 1-line block ×3, first 2 shown]
	s_mov_b32 s25, exec_lo
	v_and_b32_sdwa v1, v1, v0 dst_sel:DWORD dst_unused:UNUSED_PAD src0_sel:DWORD src1_sel:BYTE_1
	v_mov_b32_e32 v78, v70
	v_and_b32_e32 v2, 0x7f, v1
	v_cmpx_ne_u32_e32 0x7f, v2
	s_cbranch_execz .LBB231_449
; %bb.446:                              ;   in Loop: Header=BB231_16 Depth=1
	v_and_b32_e32 v28, 7, v1
	v_lshrrev_b32_e32 v1, 3, v2
	s_mov_b32 s26, exec_lo
	v_cmpx_gt_u32_e32 8, v2
; %bb.447:                              ;   in Loop: Header=BB231_16 Depth=1
	v_ffbh_u32_e32 v1, v28
	v_min_u32_e32 v1, 32, v1
	v_subrev_nc_u32_e32 v2, 28, v1
	v_sub_nc_u32_e32 v1, 29, v1
	v_lshlrev_b64 v[2:3], v2, v[28:29]
	v_and_b32_e32 v28, 7, v2
; %bb.448:                              ;   in Loop: Header=BB231_16 Depth=1
	s_or_b32 exec_lo, exec_lo, s26
	v_lshlrev_b32_e32 v2, 16, v0
	v_lshlrev_b32_e32 v3, 20, v28
	v_lshl_add_u32 v1, v1, 23, 0x3c000000
	v_mov_b32_e32 v78, v29
	v_and_b32_e32 v2, 0x80000000, v2
	v_or3_b32 v79, v3, v2, v1
.LBB231_449:                            ;   in Loop: Header=BB231_16 Depth=1
	s_or_b32 exec_lo, exec_lo, s25
.LBB231_450:                            ;   in Loop: Header=BB231_16 Depth=1
	s_or_b32 exec_lo, exec_lo, s24
.LBB231_451:                            ;   in Loop: Header=BB231_16 Depth=1
	s_or_b32 exec_lo, exec_lo, s23
	v_mov_b32_e32 v108, 0
	v_mov_b32_e32 v23, 0
	v_and_b32_sdwa v1, v0, v48 dst_sel:DWORD dst_unused:UNUSED_PAD src0_sel:WORD_1 src1_sel:DWORD
	v_mov_b32_e32 v109, 0
	v_mov_b32_e32 v24, 0
	s_mov_b32 s23, exec_lo
	v_cmpx_ne_u16_e32 0, v1
	s_cbranch_execz .LBB231_459
; %bb.452:                              ;   in Loop: Header=BB231_16 Depth=1
	v_bfrev_b32_e32 v23, 1
	v_mov_b32_e32 v24, 0
	s_mov_b32 s24, exec_lo
	v_cmpx_ne_u16_e32 0x80, v1
	s_cbranch_execz .LBB231_458
; %bb.453:                              ;   in Loop: Header=BB231_16 Depth=1
	v_mov_b32_e32 v23, 0x7f800001
	v_bfe_u32 v2, v0, 16, 7
	v_mov_b32_e32 v24, 0
	s_mov_b32 s25, exec_lo
	v_cmpx_ne_u32_e32 0x7f, v2
	s_cbranch_execz .LBB231_457
; %bb.454:                              ;   in Loop: Header=BB231_16 Depth=1
	v_mov_b32_e32 v1, 7
	s_mov_b32 s26, exec_lo
	v_and_b32_sdwa v28, v0, v1 dst_sel:DWORD dst_unused:UNUSED_PAD src0_sel:WORD_1 src1_sel:DWORD
	v_lshrrev_b32_e32 v1, 3, v2
	v_cmpx_gt_u32_e32 8, v2
; %bb.455:                              ;   in Loop: Header=BB231_16 Depth=1
	v_ffbh_u32_e32 v1, v28
	v_min_u32_e32 v1, 32, v1
	v_subrev_nc_u32_e32 v2, 28, v1
	v_sub_nc_u32_e32 v1, 29, v1
	v_lshlrev_b64 v[2:3], v2, v[28:29]
	v_and_b32_e32 v28, 7, v2
; %bb.456:                              ;   in Loop: Header=BB231_16 Depth=1
	s_or_b32 exec_lo, exec_lo, s26
	v_mov_b32_e32 v2, 24
	v_lshlrev_b32_e32 v3, 20, v28
	v_lshl_add_u32 v1, v1, 23, 0x3c000000
	v_lshlrev_b32_sdwa v2, v2, v0 dst_sel:DWORD dst_unused:UNUSED_PAD src0_sel:DWORD src1_sel:WORD_1
	v_and_b32_e32 v2, 0x80000000, v2
	v_or3_b32 v28, v3, v2, v1
	v_mov_b32_e32 v23, v28
	v_mov_b32_e32 v24, v29
.LBB231_457:                            ;   in Loop: Header=BB231_16 Depth=1
	s_or_b32 exec_lo, exec_lo, s25
.LBB231_458:                            ;   in Loop: Header=BB231_16 Depth=1
	s_or_b32 exec_lo, exec_lo, s24
.LBB231_459:                            ;   in Loop: Header=BB231_16 Depth=1
	s_or_b32 exec_lo, exec_lo, s23
	s_mov_b32 s23, exec_lo
	v_cmpx_lt_u32_e32 0xffffff, v0
	s_cbranch_execz .LBB231_467
; %bb.460:                              ;   in Loop: Header=BB231_16 Depth=1
	v_mov_b32_e32 v37, v29
	v_mov_b32_e32 v109, v38
	v_cmp_ne_u32_sdwa s5, v0, v53 src0_sel:BYTE_3 src1_sel:DWORD
	v_mov_b32_e32 v108, v37
	s_and_saveexec_b32 s24, s5
	s_cbranch_execz .LBB231_466
; %bb.461:                              ;   in Loop: Header=BB231_16 Depth=1
	v_mov_b32_e32 v70, v29
	v_mov_b32_e32 v109, v71
	v_bfe_u32 v2, v0, 24, 7
	s_mov_b32 s25, exec_lo
	v_mov_b32_e32 v108, v70
	v_cmpx_ne_u32_e32 0x7f, v2
	s_cbranch_execz .LBB231_465
; %bb.462:                              ;   in Loop: Header=BB231_16 Depth=1
	v_mov_b32_e32 v1, 7
	s_mov_b32 s26, exec_lo
	v_and_b32_sdwa v28, v0, v1 dst_sel:DWORD dst_unused:UNUSED_PAD src0_sel:BYTE_3 src1_sel:DWORD
	v_lshrrev_b32_e32 v1, 3, v2
	v_cmpx_gt_u32_e32 8, v2
; %bb.463:                              ;   in Loop: Header=BB231_16 Depth=1
	v_ffbh_u32_e32 v1, v28
	v_min_u32_e32 v1, 32, v1
	v_subrev_nc_u32_e32 v2, 28, v1
	v_sub_nc_u32_e32 v1, 29, v1
	v_lshlrev_b64 v[2:3], v2, v[28:29]
	v_and_b32_e32 v28, 7, v2
; %bb.464:                              ;   in Loop: Header=BB231_16 Depth=1
	s_or_b32 exec_lo, exec_lo, s26
	v_mov_b32_e32 v2, 24
	v_lshl_add_u32 v1, v1, 23, 0x3c000000
	v_mov_b32_e32 v108, v29
	v_lshlrev_b32_sdwa v0, v2, v0 dst_sel:DWORD dst_unused:UNUSED_PAD src0_sel:DWORD src1_sel:BYTE_3
	v_lshlrev_b32_e32 v2, 20, v28
	v_and_b32_e32 v0, 0x80000000, v0
	v_or3_b32 v109, v2, v0, v1
.LBB231_465:                            ;   in Loop: Header=BB231_16 Depth=1
	s_or_b32 exec_lo, exec_lo, s25
.LBB231_466:                            ;   in Loop: Header=BB231_16 Depth=1
	s_or_b32 exec_lo, exec_lo, s24
.LBB231_467:                            ;   in Loop: Header=BB231_16 Depth=1
	s_or_b32 exec_lo, exec_lo, s23
	flat_load_dword v0, v[18:19] offset:1544
	v_mov_b32_e32 v124, 0
	v_mov_b32_e32 v122, 0
	;; [unrolled: 1-line block ×4, first 2 shown]
	s_waitcnt vmcnt(0) lgkmcnt(0)
	v_cmp_ne_u16_sdwa s5, v0, v29 src0_sel:BYTE_0 src1_sel:DWORD
	s_and_saveexec_b32 s23, s5
	s_cbranch_execz .LBB231_475
; %bb.468:                              ;   in Loop: Header=BB231_16 Depth=1
	v_bfrev_b32_e32 v122, 1
	v_mov_b32_e32 v123, 0
	v_cmp_ne_u16_sdwa s5, v0, v53 src0_sel:BYTE_0 src1_sel:DWORD
	s_and_saveexec_b32 s24, s5
	s_cbranch_execz .LBB231_474
; %bb.469:                              ;   in Loop: Header=BB231_16 Depth=1
	v_mov_b32_e32 v122, 0x7f800001
	v_and_b32_e32 v2, 0x7f, v0
	v_mov_b32_e32 v123, 0
	s_mov_b32 s25, exec_lo
	v_cmpx_ne_u32_e32 0x7f, v2
	s_cbranch_execz .LBB231_473
; %bb.470:                              ;   in Loop: Header=BB231_16 Depth=1
	v_and_b32_e32 v28, 7, v0
	v_lshrrev_b32_e32 v1, 3, v2
	s_mov_b32 s26, exec_lo
	v_cmpx_gt_u32_e32 8, v2
; %bb.471:                              ;   in Loop: Header=BB231_16 Depth=1
	v_ffbh_u32_e32 v1, v28
	v_min_u32_e32 v1, 32, v1
	v_subrev_nc_u32_e32 v2, 28, v1
	v_sub_nc_u32_e32 v1, 29, v1
	v_lshlrev_b64 v[2:3], v2, v[28:29]
	v_and_b32_e32 v28, 7, v2
; %bb.472:                              ;   in Loop: Header=BB231_16 Depth=1
	s_or_b32 exec_lo, exec_lo, s26
	v_lshlrev_b32_e32 v2, 24, v0
	v_lshlrev_b32_e32 v3, 20, v28
	v_lshl_add_u32 v1, v1, 23, 0x3c000000
	v_and_b32_e32 v2, 0x80000000, v2
	v_or3_b32 v28, v3, v2, v1
	v_mov_b32_e32 v123, v29
	v_mov_b32_e32 v122, v28
.LBB231_473:                            ;   in Loop: Header=BB231_16 Depth=1
	s_or_b32 exec_lo, exec_lo, s25
.LBB231_474:                            ;   in Loop: Header=BB231_16 Depth=1
	s_or_b32 exec_lo, exec_lo, s24
.LBB231_475:                            ;   in Loop: Header=BB231_16 Depth=1
	s_or_b32 exec_lo, exec_lo, s23
	v_cmp_ne_u16_sdwa s5, v0, v29 src0_sel:BYTE_1 src1_sel:DWORD
	s_and_saveexec_b32 s23, s5
	s_cbranch_execz .LBB231_483
; %bb.476:                              ;   in Loop: Header=BB231_16 Depth=1
	v_mov_b32_e32 v37, v29
	v_mov_b32_e32 v125, v38
	v_cmp_ne_u16_sdwa s5, v0, v53 src0_sel:BYTE_1 src1_sel:DWORD
	v_mov_b32_e32 v124, v37
	s_and_saveexec_b32 s24, s5
	s_cbranch_execz .LBB231_482
; %bb.477:                              ;   in Loop: Header=BB231_16 Depth=1
	v_mov_b32_e32 v1, 0xffff
	v_mov_b32_e32 v70, v29
	;; [unrolled: 1-line block ×3, first 2 shown]
	s_mov_b32 s25, exec_lo
	v_and_b32_sdwa v1, v1, v0 dst_sel:DWORD dst_unused:UNUSED_PAD src0_sel:DWORD src1_sel:BYTE_1
	v_mov_b32_e32 v124, v70
	v_and_b32_e32 v2, 0x7f, v1
	v_cmpx_ne_u32_e32 0x7f, v2
	s_cbranch_execz .LBB231_481
; %bb.478:                              ;   in Loop: Header=BB231_16 Depth=1
	v_and_b32_e32 v28, 7, v1
	v_lshrrev_b32_e32 v1, 3, v2
	s_mov_b32 s26, exec_lo
	v_cmpx_gt_u32_e32 8, v2
; %bb.479:                              ;   in Loop: Header=BB231_16 Depth=1
	v_ffbh_u32_e32 v1, v28
	v_min_u32_e32 v1, 32, v1
	v_subrev_nc_u32_e32 v2, 28, v1
	v_sub_nc_u32_e32 v1, 29, v1
	v_lshlrev_b64 v[2:3], v2, v[28:29]
	v_and_b32_e32 v28, 7, v2
; %bb.480:                              ;   in Loop: Header=BB231_16 Depth=1
	s_or_b32 exec_lo, exec_lo, s26
	v_lshlrev_b32_e32 v2, 16, v0
	v_lshlrev_b32_e32 v3, 20, v28
	v_lshl_add_u32 v1, v1, 23, 0x3c000000
	v_mov_b32_e32 v124, v29
	v_and_b32_e32 v2, 0x80000000, v2
	v_or3_b32 v125, v3, v2, v1
.LBB231_481:                            ;   in Loop: Header=BB231_16 Depth=1
	s_or_b32 exec_lo, exec_lo, s25
.LBB231_482:                            ;   in Loop: Header=BB231_16 Depth=1
	s_or_b32 exec_lo, exec_lo, s24
.LBB231_483:                            ;   in Loop: Header=BB231_16 Depth=1
	s_or_b32 exec_lo, exec_lo, s23
	v_mov_b32_e32 v110, 0
	v_mov_b32_e32 v4, 0
	v_and_b32_sdwa v1, v0, v48 dst_sel:DWORD dst_unused:UNUSED_PAD src0_sel:WORD_1 src1_sel:DWORD
	v_mov_b32_e32 v111, 0
	v_mov_b32_e32 v5, 0
	s_mov_b32 s23, exec_lo
	v_cmpx_ne_u16_e32 0, v1
	s_cbranch_execz .LBB231_491
; %bb.484:                              ;   in Loop: Header=BB231_16 Depth=1
	v_bfrev_b32_e32 v4, 1
	v_mov_b32_e32 v5, 0
	s_mov_b32 s24, exec_lo
	v_cmpx_ne_u16_e32 0x80, v1
	s_cbranch_execz .LBB231_490
; %bb.485:                              ;   in Loop: Header=BB231_16 Depth=1
	v_mov_b32_e32 v4, 0x7f800001
	v_bfe_u32 v2, v0, 16, 7
	v_mov_b32_e32 v5, 0
	s_mov_b32 s25, exec_lo
	v_cmpx_ne_u32_e32 0x7f, v2
	s_cbranch_execz .LBB231_489
; %bb.486:                              ;   in Loop: Header=BB231_16 Depth=1
	v_mov_b32_e32 v1, 7
	s_mov_b32 s26, exec_lo
	v_and_b32_sdwa v28, v0, v1 dst_sel:DWORD dst_unused:UNUSED_PAD src0_sel:WORD_1 src1_sel:DWORD
	v_lshrrev_b32_e32 v1, 3, v2
	v_cmpx_gt_u32_e32 8, v2
; %bb.487:                              ;   in Loop: Header=BB231_16 Depth=1
	v_ffbh_u32_e32 v1, v28
	v_min_u32_e32 v1, 32, v1
	v_subrev_nc_u32_e32 v2, 28, v1
	v_sub_nc_u32_e32 v1, 29, v1
	v_lshlrev_b64 v[2:3], v2, v[28:29]
	v_and_b32_e32 v28, 7, v2
; %bb.488:                              ;   in Loop: Header=BB231_16 Depth=1
	s_or_b32 exec_lo, exec_lo, s26
	v_mov_b32_e32 v2, 24
	v_lshlrev_b32_e32 v3, 20, v28
	v_lshl_add_u32 v1, v1, 23, 0x3c000000
	v_lshlrev_b32_sdwa v2, v2, v0 dst_sel:DWORD dst_unused:UNUSED_PAD src0_sel:DWORD src1_sel:WORD_1
	v_and_b32_e32 v2, 0x80000000, v2
	v_or3_b32 v28, v3, v2, v1
	v_mov_b32_e32 v4, v28
	v_mov_b32_e32 v5, v29
.LBB231_489:                            ;   in Loop: Header=BB231_16 Depth=1
	s_or_b32 exec_lo, exec_lo, s25
.LBB231_490:                            ;   in Loop: Header=BB231_16 Depth=1
	s_or_b32 exec_lo, exec_lo, s24
.LBB231_491:                            ;   in Loop: Header=BB231_16 Depth=1
	s_or_b32 exec_lo, exec_lo, s23
	s_mov_b32 s23, exec_lo
	v_cmpx_lt_u32_e32 0xffffff, v0
	s_cbranch_execz .LBB231_499
; %bb.492:                              ;   in Loop: Header=BB231_16 Depth=1
	v_mov_b32_e32 v37, v29
	v_mov_b32_e32 v111, v38
	v_cmp_ne_u32_sdwa s5, v0, v53 src0_sel:BYTE_3 src1_sel:DWORD
	v_mov_b32_e32 v110, v37
	s_and_saveexec_b32 s24, s5
	s_cbranch_execz .LBB231_498
; %bb.493:                              ;   in Loop: Header=BB231_16 Depth=1
	v_mov_b32_e32 v70, v29
	v_mov_b32_e32 v111, v71
	v_bfe_u32 v2, v0, 24, 7
	s_mov_b32 s25, exec_lo
	v_mov_b32_e32 v110, v70
	v_cmpx_ne_u32_e32 0x7f, v2
	s_cbranch_execz .LBB231_497
; %bb.494:                              ;   in Loop: Header=BB231_16 Depth=1
	v_mov_b32_e32 v1, 7
	s_mov_b32 s26, exec_lo
	v_and_b32_sdwa v28, v0, v1 dst_sel:DWORD dst_unused:UNUSED_PAD src0_sel:BYTE_3 src1_sel:DWORD
	v_lshrrev_b32_e32 v1, 3, v2
	v_cmpx_gt_u32_e32 8, v2
; %bb.495:                              ;   in Loop: Header=BB231_16 Depth=1
	v_ffbh_u32_e32 v1, v28
	v_min_u32_e32 v1, 32, v1
	v_subrev_nc_u32_e32 v2, 28, v1
	v_sub_nc_u32_e32 v1, 29, v1
	v_lshlrev_b64 v[2:3], v2, v[28:29]
	v_and_b32_e32 v28, 7, v2
; %bb.496:                              ;   in Loop: Header=BB231_16 Depth=1
	s_or_b32 exec_lo, exec_lo, s26
	v_mov_b32_e32 v2, 24
	v_lshl_add_u32 v1, v1, 23, 0x3c000000
	v_mov_b32_e32 v110, v29
	v_lshlrev_b32_sdwa v0, v2, v0 dst_sel:DWORD dst_unused:UNUSED_PAD src0_sel:DWORD src1_sel:BYTE_3
	v_lshlrev_b32_e32 v2, 20, v28
	v_and_b32_e32 v0, 0x80000000, v0
	v_or3_b32 v111, v2, v0, v1
.LBB231_497:                            ;   in Loop: Header=BB231_16 Depth=1
	s_or_b32 exec_lo, exec_lo, s25
.LBB231_498:                            ;   in Loop: Header=BB231_16 Depth=1
	s_or_b32 exec_lo, exec_lo, s24
.LBB231_499:                            ;   in Loop: Header=BB231_16 Depth=1
	s_or_b32 exec_lo, exec_lo, s23
	flat_load_dword v0, v[18:19] offset:1548
	v_mov_b32_e32 v10, 0
	v_mov_b32_e32 v120, 0
	;; [unrolled: 1-line block ×4, first 2 shown]
	s_waitcnt vmcnt(0) lgkmcnt(0)
	v_cmp_ne_u16_sdwa s5, v0, v29 src0_sel:BYTE_0 src1_sel:DWORD
	s_and_saveexec_b32 s23, s5
	s_cbranch_execz .LBB231_507
; %bb.500:                              ;   in Loop: Header=BB231_16 Depth=1
	v_bfrev_b32_e32 v120, 1
	v_mov_b32_e32 v121, 0
	v_cmp_ne_u16_sdwa s5, v0, v53 src0_sel:BYTE_0 src1_sel:DWORD
	s_and_saveexec_b32 s24, s5
	s_cbranch_execz .LBB231_506
; %bb.501:                              ;   in Loop: Header=BB231_16 Depth=1
	v_mov_b32_e32 v120, 0x7f800001
	v_and_b32_e32 v2, 0x7f, v0
	v_mov_b32_e32 v121, 0
	s_mov_b32 s25, exec_lo
	v_cmpx_ne_u32_e32 0x7f, v2
	s_cbranch_execz .LBB231_505
; %bb.502:                              ;   in Loop: Header=BB231_16 Depth=1
	v_and_b32_e32 v28, 7, v0
	v_lshrrev_b32_e32 v1, 3, v2
	s_mov_b32 s26, exec_lo
	v_cmpx_gt_u32_e32 8, v2
; %bb.503:                              ;   in Loop: Header=BB231_16 Depth=1
	v_ffbh_u32_e32 v1, v28
	v_min_u32_e32 v1, 32, v1
	v_subrev_nc_u32_e32 v2, 28, v1
	v_sub_nc_u32_e32 v1, 29, v1
	v_lshlrev_b64 v[2:3], v2, v[28:29]
	v_and_b32_e32 v28, 7, v2
; %bb.504:                              ;   in Loop: Header=BB231_16 Depth=1
	s_or_b32 exec_lo, exec_lo, s26
	v_lshlrev_b32_e32 v2, 24, v0
	v_lshlrev_b32_e32 v3, 20, v28
	v_lshl_add_u32 v1, v1, 23, 0x3c000000
	v_and_b32_e32 v2, 0x80000000, v2
	v_or3_b32 v28, v3, v2, v1
	v_mov_b32_e32 v121, v29
	v_mov_b32_e32 v120, v28
.LBB231_505:                            ;   in Loop: Header=BB231_16 Depth=1
	s_or_b32 exec_lo, exec_lo, s25
.LBB231_506:                            ;   in Loop: Header=BB231_16 Depth=1
	s_or_b32 exec_lo, exec_lo, s24
.LBB231_507:                            ;   in Loop: Header=BB231_16 Depth=1
	s_or_b32 exec_lo, exec_lo, s23
	v_cmp_ne_u16_sdwa s5, v0, v29 src0_sel:BYTE_1 src1_sel:DWORD
	s_and_saveexec_b32 s23, s5
	s_cbranch_execz .LBB231_515
; %bb.508:                              ;   in Loop: Header=BB231_16 Depth=1
	v_mov_b32_e32 v37, v29
	v_cmp_ne_u16_sdwa s5, v0, v53 src0_sel:BYTE_1 src1_sel:DWORD
	v_mov_b32_e32 v10, v37
	v_mov_b32_e32 v11, v38
	s_and_saveexec_b32 s24, s5
	s_cbranch_execz .LBB231_514
; %bb.509:                              ;   in Loop: Header=BB231_16 Depth=1
	v_mov_b32_e32 v1, 0xffff
	v_mov_b32_e32 v70, v29
	s_mov_b32 s25, exec_lo
	v_and_b32_sdwa v1, v1, v0 dst_sel:DWORD dst_unused:UNUSED_PAD src0_sel:DWORD src1_sel:BYTE_1
	v_mov_b32_e32 v10, v70
	v_mov_b32_e32 v11, v71
	v_and_b32_e32 v2, 0x7f, v1
	v_cmpx_ne_u32_e32 0x7f, v2
	s_cbranch_execz .LBB231_513
; %bb.510:                              ;   in Loop: Header=BB231_16 Depth=1
	v_and_b32_e32 v28, 7, v1
	v_lshrrev_b32_e32 v1, 3, v2
	s_mov_b32 s26, exec_lo
	v_cmpx_gt_u32_e32 8, v2
; %bb.511:                              ;   in Loop: Header=BB231_16 Depth=1
	v_ffbh_u32_e32 v1, v28
	v_min_u32_e32 v1, 32, v1
	v_subrev_nc_u32_e32 v2, 28, v1
	v_sub_nc_u32_e32 v1, 29, v1
	v_lshlrev_b64 v[2:3], v2, v[28:29]
	v_and_b32_e32 v28, 7, v2
; %bb.512:                              ;   in Loop: Header=BB231_16 Depth=1
	s_or_b32 exec_lo, exec_lo, s26
	v_lshlrev_b32_e32 v2, 16, v0
	v_lshlrev_b32_e32 v3, 20, v28
	v_lshl_add_u32 v1, v1, 23, 0x3c000000
	v_mov_b32_e32 v10, v29
	v_and_b32_e32 v2, 0x80000000, v2
	v_or3_b32 v11, v3, v2, v1
.LBB231_513:                            ;   in Loop: Header=BB231_16 Depth=1
	s_or_b32 exec_lo, exec_lo, s25
.LBB231_514:                            ;   in Loop: Header=BB231_16 Depth=1
	s_or_b32 exec_lo, exec_lo, s24
.LBB231_515:                            ;   in Loop: Header=BB231_16 Depth=1
	s_or_b32 exec_lo, exec_lo, s23
	v_mov_b32_e32 v33, 0
	v_mov_b32_e32 v2, 0
	v_and_b32_sdwa v1, v0, v48 dst_sel:DWORD dst_unused:UNUSED_PAD src0_sel:WORD_1 src1_sel:DWORD
	v_mov_b32_e32 v34, 0
	v_mov_b32_e32 v3, 0
	s_mov_b32 s23, exec_lo
	v_cmpx_ne_u16_e32 0, v1
	s_cbranch_execz .LBB231_523
; %bb.516:                              ;   in Loop: Header=BB231_16 Depth=1
	v_bfrev_b32_e32 v2, 1
	v_mov_b32_e32 v3, 0
	s_mov_b32 s24, exec_lo
	v_cmpx_ne_u16_e32 0x80, v1
	s_cbranch_execz .LBB231_522
; %bb.517:                              ;   in Loop: Header=BB231_16 Depth=1
	v_mov_b32_e32 v2, 0x7f800001
	v_bfe_u32 v6, v0, 16, 7
	v_mov_b32_e32 v3, 0
	s_mov_b32 s25, exec_lo
	v_cmpx_ne_u32_e32 0x7f, v6
	s_cbranch_execz .LBB231_521
; %bb.518:                              ;   in Loop: Header=BB231_16 Depth=1
	v_mov_b32_e32 v1, 7
	s_mov_b32 s26, exec_lo
	v_and_b32_sdwa v28, v0, v1 dst_sel:DWORD dst_unused:UNUSED_PAD src0_sel:WORD_1 src1_sel:DWORD
	v_lshrrev_b32_e32 v1, 3, v6
	v_cmpx_gt_u32_e32 8, v6
; %bb.519:                              ;   in Loop: Header=BB231_16 Depth=1
	v_ffbh_u32_e32 v1, v28
	v_min_u32_e32 v1, 32, v1
	v_subrev_nc_u32_e32 v2, 28, v1
	v_sub_nc_u32_e32 v1, 29, v1
	v_lshlrev_b64 v[2:3], v2, v[28:29]
	v_and_b32_e32 v28, 7, v2
; %bb.520:                              ;   in Loop: Header=BB231_16 Depth=1
	s_or_b32 exec_lo, exec_lo, s26
	v_mov_b32_e32 v2, 24
	v_lshlrev_b32_e32 v3, 20, v28
	v_lshl_add_u32 v1, v1, 23, 0x3c000000
	v_lshlrev_b32_sdwa v2, v2, v0 dst_sel:DWORD dst_unused:UNUSED_PAD src0_sel:DWORD src1_sel:WORD_1
	v_and_b32_e32 v2, 0x80000000, v2
	v_or3_b32 v28, v3, v2, v1
	v_mov_b32_e32 v2, v28
	v_mov_b32_e32 v3, v29
.LBB231_521:                            ;   in Loop: Header=BB231_16 Depth=1
	s_or_b32 exec_lo, exec_lo, s25
.LBB231_522:                            ;   in Loop: Header=BB231_16 Depth=1
	s_or_b32 exec_lo, exec_lo, s24
.LBB231_523:                            ;   in Loop: Header=BB231_16 Depth=1
	s_or_b32 exec_lo, exec_lo, s23
	s_mov_b32 s23, exec_lo
	v_cmpx_lt_u32_e32 0xffffff, v0
	s_cbranch_execz .LBB231_531
; %bb.524:                              ;   in Loop: Header=BB231_16 Depth=1
	v_mov_b32_e32 v37, v29
	v_cmp_ne_u32_sdwa s5, v0, v53 src0_sel:BYTE_3 src1_sel:DWORD
	v_mov_b32_e32 v33, v37
	v_mov_b32_e32 v34, v38
	s_and_saveexec_b32 s24, s5
	s_cbranch_execz .LBB231_530
; %bb.525:                              ;   in Loop: Header=BB231_16 Depth=1
	v_mov_b32_e32 v70, v29
	v_bfe_u32 v6, v0, 24, 7
	s_mov_b32 s25, exec_lo
	v_mov_b32_e32 v33, v70
	v_mov_b32_e32 v34, v71
	v_cmpx_ne_u32_e32 0x7f, v6
	s_cbranch_execz .LBB231_529
; %bb.526:                              ;   in Loop: Header=BB231_16 Depth=1
	v_mov_b32_e32 v1, 7
	s_mov_b32 s26, exec_lo
	v_and_b32_sdwa v28, v0, v1 dst_sel:DWORD dst_unused:UNUSED_PAD src0_sel:BYTE_3 src1_sel:DWORD
	v_lshrrev_b32_e32 v1, 3, v6
	v_cmpx_gt_u32_e32 8, v6
; %bb.527:                              ;   in Loop: Header=BB231_16 Depth=1
	v_ffbh_u32_e32 v1, v28
	v_min_u32_e32 v1, 32, v1
	v_subrev_nc_u32_e32 v6, 28, v1
	v_sub_nc_u32_e32 v1, 29, v1
	v_lshlrev_b64 v[6:7], v6, v[28:29]
	v_and_b32_e32 v28, 7, v6
; %bb.528:                              ;   in Loop: Header=BB231_16 Depth=1
	s_or_b32 exec_lo, exec_lo, s26
	v_mov_b32_e32 v6, 24
	v_lshl_add_u32 v1, v1, 23, 0x3c000000
	v_mov_b32_e32 v33, v29
	v_lshlrev_b32_sdwa v0, v6, v0 dst_sel:DWORD dst_unused:UNUSED_PAD src0_sel:DWORD src1_sel:BYTE_3
	v_lshlrev_b32_e32 v6, 20, v28
	v_and_b32_e32 v0, 0x80000000, v0
	v_or3_b32 v34, v6, v0, v1
.LBB231_529:                            ;   in Loop: Header=BB231_16 Depth=1
	s_or_b32 exec_lo, exec_lo, s25
.LBB231_530:                            ;   in Loop: Header=BB231_16 Depth=1
	s_or_b32 exec_lo, exec_lo, s24
.LBB231_531:                            ;   in Loop: Header=BB231_16 Depth=1
	s_or_b32 exec_lo, exec_lo, s23
	v_add_co_u32 v0, s5, 0x800, v18
	v_add_co_ci_u32_e64 v1, null, 0, v19, s5
	v_mov_b32_e32 v14, 0
	v_mov_b32_e32 v18, 0
	;; [unrolled: 1-line block ×3, first 2 shown]
	flat_load_dword v6, v[0:1]
	v_mov_b32_e32 v19, 0
	s_waitcnt vmcnt(0) lgkmcnt(0)
	v_cmp_ne_u16_sdwa s5, v6, v29 src0_sel:BYTE_0 src1_sel:DWORD
	s_and_saveexec_b32 s23, s5
	s_cbranch_execz .LBB231_539
; %bb.532:                              ;   in Loop: Header=BB231_16 Depth=1
	v_bfrev_b32_e32 v18, 1
	v_mov_b32_e32 v19, 0
	v_cmp_ne_u16_sdwa s5, v6, v53 src0_sel:BYTE_0 src1_sel:DWORD
	s_and_saveexec_b32 s24, s5
	s_cbranch_execz .LBB231_538
; %bb.533:                              ;   in Loop: Header=BB231_16 Depth=1
	v_mov_b32_e32 v18, 0x7f800001
	v_and_b32_e32 v8, 0x7f, v6
	v_mov_b32_e32 v19, 0
	s_mov_b32 s25, exec_lo
	v_cmpx_ne_u32_e32 0x7f, v8
	s_cbranch_execz .LBB231_537
; %bb.534:                              ;   in Loop: Header=BB231_16 Depth=1
	v_and_b32_e32 v28, 7, v6
	v_lshrrev_b32_e32 v7, 3, v8
	s_mov_b32 s26, exec_lo
	v_cmpx_gt_u32_e32 8, v8
; %bb.535:                              ;   in Loop: Header=BB231_16 Depth=1
	v_ffbh_u32_e32 v7, v28
	v_min_u32_e32 v7, 32, v7
	v_subrev_nc_u32_e32 v8, 28, v7
	v_sub_nc_u32_e32 v7, 29, v7
	v_lshlrev_b64 v[8:9], v8, v[28:29]
	v_and_b32_e32 v28, 7, v8
; %bb.536:                              ;   in Loop: Header=BB231_16 Depth=1
	s_or_b32 exec_lo, exec_lo, s26
	v_lshlrev_b32_e32 v8, 24, v6
	v_lshlrev_b32_e32 v9, 20, v28
	v_lshl_add_u32 v7, v7, 23, 0x3c000000
	v_and_b32_e32 v8, 0x80000000, v8
	v_or3_b32 v28, v9, v8, v7
	v_mov_b32_e32 v18, v28
	v_mov_b32_e32 v19, v29
.LBB231_537:                            ;   in Loop: Header=BB231_16 Depth=1
	s_or_b32 exec_lo, exec_lo, s25
.LBB231_538:                            ;   in Loop: Header=BB231_16 Depth=1
	s_or_b32 exec_lo, exec_lo, s24
.LBB231_539:                            ;   in Loop: Header=BB231_16 Depth=1
	s_or_b32 exec_lo, exec_lo, s23
	v_cmp_ne_u16_sdwa s5, v6, v29 src0_sel:BYTE_1 src1_sel:DWORD
	s_and_saveexec_b32 s23, s5
	s_cbranch_execz .LBB231_547
; %bb.540:                              ;   in Loop: Header=BB231_16 Depth=1
	v_mov_b32_e32 v37, v29
	v_cmp_ne_u16_sdwa s5, v6, v53 src0_sel:BYTE_1 src1_sel:DWORD
	v_mov_b32_e32 v14, v37
	v_mov_b32_e32 v15, v38
	s_and_saveexec_b32 s24, s5
	s_cbranch_execz .LBB231_546
; %bb.541:                              ;   in Loop: Header=BB231_16 Depth=1
	v_mov_b32_e32 v7, 0xffff
	v_mov_b32_e32 v70, v29
	s_mov_b32 s25, exec_lo
	v_and_b32_sdwa v7, v7, v6 dst_sel:DWORD dst_unused:UNUSED_PAD src0_sel:DWORD src1_sel:BYTE_1
	v_mov_b32_e32 v14, v70
	v_mov_b32_e32 v15, v71
	v_and_b32_e32 v8, 0x7f, v7
	v_cmpx_ne_u32_e32 0x7f, v8
	s_cbranch_execz .LBB231_545
; %bb.542:                              ;   in Loop: Header=BB231_16 Depth=1
	v_and_b32_e32 v28, 7, v7
	v_lshrrev_b32_e32 v7, 3, v8
	s_mov_b32 s26, exec_lo
	v_cmpx_gt_u32_e32 8, v8
; %bb.543:                              ;   in Loop: Header=BB231_16 Depth=1
	v_ffbh_u32_e32 v7, v28
	v_min_u32_e32 v7, 32, v7
	v_subrev_nc_u32_e32 v8, 28, v7
	v_sub_nc_u32_e32 v7, 29, v7
	v_lshlrev_b64 v[8:9], v8, v[28:29]
	v_and_b32_e32 v28, 7, v8
; %bb.544:                              ;   in Loop: Header=BB231_16 Depth=1
	s_or_b32 exec_lo, exec_lo, s26
	v_lshlrev_b32_e32 v8, 16, v6
	v_lshlrev_b32_e32 v9, 20, v28
	v_lshl_add_u32 v7, v7, 23, 0x3c000000
	v_mov_b32_e32 v14, v29
	v_and_b32_e32 v8, 0x80000000, v8
	v_or3_b32 v15, v9, v8, v7
.LBB231_545:                            ;   in Loop: Header=BB231_16 Depth=1
	s_or_b32 exec_lo, exec_lo, s25
.LBB231_546:                            ;   in Loop: Header=BB231_16 Depth=1
	s_or_b32 exec_lo, exec_lo, s24
.LBB231_547:                            ;   in Loop: Header=BB231_16 Depth=1
	s_or_b32 exec_lo, exec_lo, s23
	v_mov_b32_e32 v90, 0
	v_mov_b32_e32 v92, 0
	v_and_b32_sdwa v7, v6, v48 dst_sel:DWORD dst_unused:UNUSED_PAD src0_sel:WORD_1 src1_sel:DWORD
	v_mov_b32_e32 v91, 0
	v_mov_b32_e32 v93, 0
	s_mov_b32 s23, exec_lo
	v_cmpx_ne_u16_e32 0, v7
	s_cbranch_execz .LBB231_555
; %bb.548:                              ;   in Loop: Header=BB231_16 Depth=1
	v_bfrev_b32_e32 v92, 1
	v_mov_b32_e32 v93, 0
	s_mov_b32 s24, exec_lo
	v_cmpx_ne_u16_e32 0x80, v7
	s_cbranch_execz .LBB231_554
; %bb.549:                              ;   in Loop: Header=BB231_16 Depth=1
	v_mov_b32_e32 v92, 0x7f800001
	v_bfe_u32 v8, v6, 16, 7
	v_mov_b32_e32 v93, 0
	s_mov_b32 s25, exec_lo
	v_cmpx_ne_u32_e32 0x7f, v8
	s_cbranch_execz .LBB231_553
; %bb.550:                              ;   in Loop: Header=BB231_16 Depth=1
	v_mov_b32_e32 v7, 7
	s_mov_b32 s26, exec_lo
	v_and_b32_sdwa v28, v6, v7 dst_sel:DWORD dst_unused:UNUSED_PAD src0_sel:WORD_1 src1_sel:DWORD
	v_lshrrev_b32_e32 v7, 3, v8
	v_cmpx_gt_u32_e32 8, v8
; %bb.551:                              ;   in Loop: Header=BB231_16 Depth=1
	v_ffbh_u32_e32 v7, v28
	v_min_u32_e32 v7, 32, v7
	v_subrev_nc_u32_e32 v8, 28, v7
	v_sub_nc_u32_e32 v7, 29, v7
	v_lshlrev_b64 v[8:9], v8, v[28:29]
	v_and_b32_e32 v28, 7, v8
; %bb.552:                              ;   in Loop: Header=BB231_16 Depth=1
	s_or_b32 exec_lo, exec_lo, s26
	v_mov_b32_e32 v8, 24
	v_lshlrev_b32_e32 v9, 20, v28
	v_lshl_add_u32 v7, v7, 23, 0x3c000000
	v_lshlrev_b32_sdwa v8, v8, v6 dst_sel:DWORD dst_unused:UNUSED_PAD src0_sel:DWORD src1_sel:WORD_1
	v_and_b32_e32 v8, 0x80000000, v8
	v_or3_b32 v28, v9, v8, v7
	v_mov_b32_e32 v93, v29
	v_mov_b32_e32 v92, v28
.LBB231_553:                            ;   in Loop: Header=BB231_16 Depth=1
	s_or_b32 exec_lo, exec_lo, s25
.LBB231_554:                            ;   in Loop: Header=BB231_16 Depth=1
	s_or_b32 exec_lo, exec_lo, s24
.LBB231_555:                            ;   in Loop: Header=BB231_16 Depth=1
	s_or_b32 exec_lo, exec_lo, s23
	s_mov_b32 s23, exec_lo
	v_cmpx_lt_u32_e32 0xffffff, v6
	s_cbranch_execz .LBB231_563
; %bb.556:                              ;   in Loop: Header=BB231_16 Depth=1
	v_mov_b32_e32 v37, v29
	v_mov_b32_e32 v91, v38
	v_cmp_ne_u32_sdwa s5, v6, v53 src0_sel:BYTE_3 src1_sel:DWORD
	v_mov_b32_e32 v90, v37
	s_and_saveexec_b32 s24, s5
	s_cbranch_execz .LBB231_562
; %bb.557:                              ;   in Loop: Header=BB231_16 Depth=1
	v_mov_b32_e32 v70, v29
	v_mov_b32_e32 v91, v71
	v_bfe_u32 v8, v6, 24, 7
	s_mov_b32 s25, exec_lo
	v_mov_b32_e32 v90, v70
	v_cmpx_ne_u32_e32 0x7f, v8
	s_cbranch_execz .LBB231_561
; %bb.558:                              ;   in Loop: Header=BB231_16 Depth=1
	v_mov_b32_e32 v7, 7
	s_mov_b32 s26, exec_lo
	v_and_b32_sdwa v28, v6, v7 dst_sel:DWORD dst_unused:UNUSED_PAD src0_sel:BYTE_3 src1_sel:DWORD
	v_lshrrev_b32_e32 v7, 3, v8
	v_cmpx_gt_u32_e32 8, v8
; %bb.559:                              ;   in Loop: Header=BB231_16 Depth=1
	v_ffbh_u32_e32 v7, v28
	v_min_u32_e32 v7, 32, v7
	v_subrev_nc_u32_e32 v8, 28, v7
	v_sub_nc_u32_e32 v7, 29, v7
	v_lshlrev_b64 v[8:9], v8, v[28:29]
	v_and_b32_e32 v28, 7, v8
; %bb.560:                              ;   in Loop: Header=BB231_16 Depth=1
	s_or_b32 exec_lo, exec_lo, s26
	v_mov_b32_e32 v8, 24
	v_lshl_add_u32 v7, v7, 23, 0x3c000000
	v_mov_b32_e32 v90, v29
	v_lshlrev_b32_sdwa v6, v8, v6 dst_sel:DWORD dst_unused:UNUSED_PAD src0_sel:DWORD src1_sel:BYTE_3
	v_lshlrev_b32_e32 v8, 20, v28
	v_and_b32_e32 v6, 0x80000000, v6
	v_or3_b32 v91, v8, v6, v7
.LBB231_561:                            ;   in Loop: Header=BB231_16 Depth=1
	s_or_b32 exec_lo, exec_lo, s25
.LBB231_562:                            ;   in Loop: Header=BB231_16 Depth=1
	s_or_b32 exec_lo, exec_lo, s24
.LBB231_563:                            ;   in Loop: Header=BB231_16 Depth=1
	s_or_b32 exec_lo, exec_lo, s23
	flat_load_dword v16, v[0:1] offset:4
	v_mov_b32_e32 v106, 0
	v_mov_b32_e32 v6, 0
	;; [unrolled: 1-line block ×4, first 2 shown]
	s_waitcnt vmcnt(0) lgkmcnt(0)
	v_cmp_ne_u16_sdwa s5, v16, v29 src0_sel:BYTE_0 src1_sel:DWORD
	s_and_saveexec_b32 s23, s5
	s_cbranch_execz .LBB231_571
; %bb.564:                              ;   in Loop: Header=BB231_16 Depth=1
	v_bfrev_b32_e32 v6, 1
	v_mov_b32_e32 v7, 0
	v_cmp_ne_u16_sdwa s5, v16, v53 src0_sel:BYTE_0 src1_sel:DWORD
	s_and_saveexec_b32 s24, s5
	s_cbranch_execz .LBB231_570
; %bb.565:                              ;   in Loop: Header=BB231_16 Depth=1
	v_mov_b32_e32 v6, 0x7f800001
	v_and_b32_e32 v8, 0x7f, v16
	v_mov_b32_e32 v7, 0
	s_mov_b32 s25, exec_lo
	v_cmpx_ne_u32_e32 0x7f, v8
	s_cbranch_execz .LBB231_569
; %bb.566:                              ;   in Loop: Header=BB231_16 Depth=1
	v_and_b32_e32 v28, 7, v16
	v_lshrrev_b32_e32 v6, 3, v8
	s_mov_b32 s26, exec_lo
	v_cmpx_gt_u32_e32 8, v8
; %bb.567:                              ;   in Loop: Header=BB231_16 Depth=1
	v_ffbh_u32_e32 v6, v28
	v_min_u32_e32 v6, 32, v6
	v_subrev_nc_u32_e32 v7, 28, v6
	v_sub_nc_u32_e32 v6, 29, v6
	v_lshlrev_b64 v[7:8], v7, v[28:29]
	v_and_b32_e32 v28, 7, v7
; %bb.568:                              ;   in Loop: Header=BB231_16 Depth=1
	s_or_b32 exec_lo, exec_lo, s26
	v_lshlrev_b32_e32 v7, 24, v16
	v_lshlrev_b32_e32 v8, 20, v28
	v_lshl_add_u32 v6, v6, 23, 0x3c000000
	v_and_b32_e32 v7, 0x80000000, v7
	v_or3_b32 v28, v8, v7, v6
	v_mov_b32_e32 v6, v28
	v_mov_b32_e32 v7, v29
.LBB231_569:                            ;   in Loop: Header=BB231_16 Depth=1
	s_or_b32 exec_lo, exec_lo, s25
.LBB231_570:                            ;   in Loop: Header=BB231_16 Depth=1
	s_or_b32 exec_lo, exec_lo, s24
.LBB231_571:                            ;   in Loop: Header=BB231_16 Depth=1
	s_or_b32 exec_lo, exec_lo, s23
	v_cmp_ne_u16_sdwa s5, v16, v29 src0_sel:BYTE_1 src1_sel:DWORD
	s_and_saveexec_b32 s23, s5
	s_cbranch_execz .LBB231_579
; %bb.572:                              ;   in Loop: Header=BB231_16 Depth=1
	v_mov_b32_e32 v37, v29
	v_mov_b32_e32 v107, v38
	v_cmp_ne_u16_sdwa s5, v16, v53 src0_sel:BYTE_1 src1_sel:DWORD
	v_mov_b32_e32 v106, v37
	s_and_saveexec_b32 s24, s5
	s_cbranch_execz .LBB231_578
; %bb.573:                              ;   in Loop: Header=BB231_16 Depth=1
	v_mov_b32_e32 v8, 0xffff
	v_mov_b32_e32 v70, v29
	;; [unrolled: 1-line block ×3, first 2 shown]
	s_mov_b32 s25, exec_lo
	v_and_b32_sdwa v8, v8, v16 dst_sel:DWORD dst_unused:UNUSED_PAD src0_sel:DWORD src1_sel:BYTE_1
	v_mov_b32_e32 v106, v70
	v_and_b32_e32 v9, 0x7f, v8
	v_cmpx_ne_u32_e32 0x7f, v9
	s_cbranch_execz .LBB231_577
; %bb.574:                              ;   in Loop: Header=BB231_16 Depth=1
	v_and_b32_e32 v28, 7, v8
	v_lshrrev_b32_e32 v8, 3, v9
	s_mov_b32 s26, exec_lo
	v_cmpx_gt_u32_e32 8, v9
; %bb.575:                              ;   in Loop: Header=BB231_16 Depth=1
	v_ffbh_u32_e32 v8, v28
	v_min_u32_e32 v8, 32, v8
	v_subrev_nc_u32_e32 v9, 28, v8
	v_sub_nc_u32_e32 v8, 29, v8
	v_lshlrev_b64 v[21:22], v9, v[28:29]
	v_and_b32_e32 v28, 7, v21
; %bb.576:                              ;   in Loop: Header=BB231_16 Depth=1
	s_or_b32 exec_lo, exec_lo, s26
	v_lshlrev_b32_e32 v9, 16, v16
	v_lshlrev_b32_e32 v12, 20, v28
	v_lshl_add_u32 v8, v8, 23, 0x3c000000
	v_mov_b32_e32 v106, v29
	v_and_b32_e32 v9, 0x80000000, v9
	v_or3_b32 v107, v12, v9, v8
.LBB231_577:                            ;   in Loop: Header=BB231_16 Depth=1
	s_or_b32 exec_lo, exec_lo, s25
.LBB231_578:                            ;   in Loop: Header=BB231_16 Depth=1
	s_or_b32 exec_lo, exec_lo, s24
.LBB231_579:                            ;   in Loop: Header=BB231_16 Depth=1
	s_or_b32 exec_lo, exec_lo, s23
	v_mov_b32_e32 v126, 0
	v_mov_b32_e32 v8, 0
	v_and_b32_sdwa v12, v16, v48 dst_sel:DWORD dst_unused:UNUSED_PAD src0_sel:WORD_1 src1_sel:DWORD
	v_mov_b32_e32 v127, 0
	v_mov_b32_e32 v9, 0
	s_mov_b32 s23, exec_lo
	v_cmpx_ne_u16_e32 0, v12
	s_cbranch_execz .LBB231_587
; %bb.580:                              ;   in Loop: Header=BB231_16 Depth=1
	v_bfrev_b32_e32 v8, 1
	v_mov_b32_e32 v9, 0
	s_mov_b32 s24, exec_lo
	v_cmpx_ne_u16_e32 0x80, v12
	s_cbranch_execz .LBB231_586
; %bb.581:                              ;   in Loop: Header=BB231_16 Depth=1
	v_mov_b32_e32 v8, 0x7f800001
	v_bfe_u32 v12, v16, 16, 7
	v_mov_b32_e32 v9, 0
	s_mov_b32 s25, exec_lo
	v_cmpx_ne_u32_e32 0x7f, v12
	s_cbranch_execz .LBB231_585
; %bb.582:                              ;   in Loop: Header=BB231_16 Depth=1
	v_mov_b32_e32 v8, 7
	s_mov_b32 s26, exec_lo
	v_and_b32_sdwa v28, v16, v8 dst_sel:DWORD dst_unused:UNUSED_PAD src0_sel:WORD_1 src1_sel:DWORD
	v_lshrrev_b32_e32 v8, 3, v12
	v_cmpx_gt_u32_e32 8, v12
; %bb.583:                              ;   in Loop: Header=BB231_16 Depth=1
	v_ffbh_u32_e32 v8, v28
	v_min_u32_e32 v8, 32, v8
	v_subrev_nc_u32_e32 v9, 28, v8
	v_sub_nc_u32_e32 v8, 29, v8
	v_lshlrev_b64 v[21:22], v9, v[28:29]
	v_and_b32_e32 v28, 7, v21
; %bb.584:                              ;   in Loop: Header=BB231_16 Depth=1
	s_or_b32 exec_lo, exec_lo, s26
	v_mov_b32_e32 v9, 24
	v_lshlrev_b32_e32 v12, 20, v28
	v_lshl_add_u32 v8, v8, 23, 0x3c000000
	v_lshlrev_b32_sdwa v9, v9, v16 dst_sel:DWORD dst_unused:UNUSED_PAD src0_sel:DWORD src1_sel:WORD_1
	v_and_b32_e32 v9, 0x80000000, v9
	v_or3_b32 v28, v12, v9, v8
	v_mov_b32_e32 v8, v28
	v_mov_b32_e32 v9, v29
.LBB231_585:                            ;   in Loop: Header=BB231_16 Depth=1
	s_or_b32 exec_lo, exec_lo, s25
.LBB231_586:                            ;   in Loop: Header=BB231_16 Depth=1
	s_or_b32 exec_lo, exec_lo, s24
.LBB231_587:                            ;   in Loop: Header=BB231_16 Depth=1
	s_or_b32 exec_lo, exec_lo, s23
	s_mov_b32 s23, exec_lo
	v_cmpx_lt_u32_e32 0xffffff, v16
	s_cbranch_execz .LBB231_595
; %bb.588:                              ;   in Loop: Header=BB231_16 Depth=1
	v_mov_b32_e32 v37, v29
	v_mov_b32_e32 v127, v38
	v_cmp_ne_u32_sdwa s5, v16, v53 src0_sel:BYTE_3 src1_sel:DWORD
	v_mov_b32_e32 v126, v37
	s_and_saveexec_b32 s24, s5
	s_cbranch_execz .LBB231_594
; %bb.589:                              ;   in Loop: Header=BB231_16 Depth=1
	v_mov_b32_e32 v70, v29
	v_mov_b32_e32 v127, v71
	v_bfe_u32 v17, v16, 24, 7
	s_mov_b32 s25, exec_lo
	v_mov_b32_e32 v126, v70
	v_cmpx_ne_u32_e32 0x7f, v17
	s_cbranch_execz .LBB231_593
; %bb.590:                              ;   in Loop: Header=BB231_16 Depth=1
	v_mov_b32_e32 v12, 7
	s_mov_b32 s26, exec_lo
	v_and_b32_sdwa v28, v16, v12 dst_sel:DWORD dst_unused:UNUSED_PAD src0_sel:BYTE_3 src1_sel:DWORD
	v_lshrrev_b32_e32 v12, 3, v17
	v_cmpx_gt_u32_e32 8, v17
; %bb.591:                              ;   in Loop: Header=BB231_16 Depth=1
	v_ffbh_u32_e32 v12, v28
	v_min_u32_e32 v12, 32, v12
	v_subrev_nc_u32_e32 v17, 28, v12
	v_sub_nc_u32_e32 v12, 29, v12
	v_lshlrev_b64 v[21:22], v17, v[28:29]
	v_and_b32_e32 v28, 7, v21
; %bb.592:                              ;   in Loop: Header=BB231_16 Depth=1
	s_or_b32 exec_lo, exec_lo, s26
	v_mov_b32_e32 v17, 24
	v_lshl_add_u32 v12, v12, 23, 0x3c000000
	v_mov_b32_e32 v126, v29
	v_lshlrev_b32_sdwa v16, v17, v16 dst_sel:DWORD dst_unused:UNUSED_PAD src0_sel:DWORD src1_sel:BYTE_3
	v_lshlrev_b32_e32 v17, 20, v28
	v_and_b32_e32 v16, 0x80000000, v16
	v_or3_b32 v127, v17, v16, v12
.LBB231_593:                            ;   in Loop: Header=BB231_16 Depth=1
	s_or_b32 exec_lo, exec_lo, s25
.LBB231_594:                            ;   in Loop: Header=BB231_16 Depth=1
	s_or_b32 exec_lo, exec_lo, s24
.LBB231_595:                            ;   in Loop: Header=BB231_16 Depth=1
	s_or_b32 exec_lo, exec_lo, s23
	flat_load_dword v25, v[0:1] offset:8
	v_mov_b32_e32 v21, 0
	v_mov_b32_e32 v16, 0
	;; [unrolled: 1-line block ×4, first 2 shown]
	s_waitcnt vmcnt(0) lgkmcnt(0)
	v_cmp_ne_u16_sdwa s5, v25, v29 src0_sel:BYTE_0 src1_sel:DWORD
	s_and_saveexec_b32 s23, s5
	s_cbranch_execz .LBB231_603
; %bb.596:                              ;   in Loop: Header=BB231_16 Depth=1
	v_bfrev_b32_e32 v16, 1
	v_mov_b32_e32 v17, 0
	v_cmp_ne_u16_sdwa s5, v25, v53 src0_sel:BYTE_0 src1_sel:DWORD
	s_and_saveexec_b32 s24, s5
	s_cbranch_execz .LBB231_602
; %bb.597:                              ;   in Loop: Header=BB231_16 Depth=1
	v_mov_b32_e32 v16, 0x7f800001
	v_and_b32_e32 v26, 0x7f, v25
	v_mov_b32_e32 v17, 0
	s_mov_b32 s25, exec_lo
	v_cmpx_ne_u32_e32 0x7f, v26
	s_cbranch_execz .LBB231_601
; %bb.598:                              ;   in Loop: Header=BB231_16 Depth=1
	v_and_b32_e32 v28, 7, v25
	v_lshrrev_b32_e32 v12, 3, v26
	s_mov_b32 s26, exec_lo
	v_cmpx_gt_u32_e32 8, v26
; %bb.599:                              ;   in Loop: Header=BB231_16 Depth=1
	v_ffbh_u32_e32 v12, v28
	v_min_u32_e32 v12, 32, v12
	v_subrev_nc_u32_e32 v16, 28, v12
	v_sub_nc_u32_e32 v12, 29, v12
	v_lshlrev_b64 v[16:17], v16, v[28:29]
	v_and_b32_e32 v28, 7, v16
; %bb.600:                              ;   in Loop: Header=BB231_16 Depth=1
	s_or_b32 exec_lo, exec_lo, s26
	v_lshlrev_b32_e32 v16, 24, v25
	v_lshlrev_b32_e32 v17, 20, v28
	v_lshl_add_u32 v12, v12, 23, 0x3c000000
	v_and_b32_e32 v16, 0x80000000, v16
	v_or3_b32 v28, v17, v16, v12
	v_mov_b32_e32 v16, v28
	v_mov_b32_e32 v17, v29
.LBB231_601:                            ;   in Loop: Header=BB231_16 Depth=1
	s_or_b32 exec_lo, exec_lo, s25
.LBB231_602:                            ;   in Loop: Header=BB231_16 Depth=1
	s_or_b32 exec_lo, exec_lo, s24
.LBB231_603:                            ;   in Loop: Header=BB231_16 Depth=1
	s_or_b32 exec_lo, exec_lo, s23
	v_cmp_ne_u16_sdwa s5, v25, v29 src0_sel:BYTE_1 src1_sel:DWORD
	s_and_saveexec_b32 s23, s5
	s_cbranch_execz .LBB231_611
; %bb.604:                              ;   in Loop: Header=BB231_16 Depth=1
	v_mov_b32_e32 v37, v29
	v_cmp_ne_u16_sdwa s5, v25, v53 src0_sel:BYTE_1 src1_sel:DWORD
	v_mov_b32_e32 v21, v37
	v_mov_b32_e32 v22, v38
	s_and_saveexec_b32 s24, s5
	s_cbranch_execz .LBB231_610
; %bb.605:                              ;   in Loop: Header=BB231_16 Depth=1
	v_mov_b32_e32 v12, 0xffff
	v_mov_b32_e32 v70, v29
	s_mov_b32 s25, exec_lo
	v_and_b32_sdwa v28, v12, v25 dst_sel:DWORD dst_unused:UNUSED_PAD src0_sel:DWORD src1_sel:BYTE_1
	v_mov_b32_e32 v21, v70
	v_mov_b32_e32 v22, v71
	v_and_b32_e32 v26, 0x7f, v28
	v_cmpx_ne_u32_e32 0x7f, v26
	s_cbranch_execz .LBB231_609
; %bb.606:                              ;   in Loop: Header=BB231_16 Depth=1
	v_and_b32_e32 v28, 7, v28
	v_lshrrev_b32_e32 v12, 3, v26
	s_mov_b32 s26, exec_lo
	v_cmpx_gt_u32_e32 8, v26
; %bb.607:                              ;   in Loop: Header=BB231_16 Depth=1
	v_ffbh_u32_e32 v12, v28
	v_min_u32_e32 v12, 32, v12
	v_subrev_nc_u32_e32 v21, 28, v12
	v_sub_nc_u32_e32 v12, 29, v12
	v_lshlrev_b64 v[21:22], v21, v[28:29]
	v_and_b32_e32 v28, 7, v21
; %bb.608:                              ;   in Loop: Header=BB231_16 Depth=1
	s_or_b32 exec_lo, exec_lo, s26
	v_lshlrev_b32_e32 v21, 16, v25
	v_lshlrev_b32_e32 v22, 20, v28
	v_lshl_add_u32 v12, v12, 23, 0x3c000000
	v_and_b32_e32 v21, 0x80000000, v21
	v_or3_b32 v22, v22, v21, v12
	v_mov_b32_e32 v21, v29
.LBB231_609:                            ;   in Loop: Header=BB231_16 Depth=1
	s_or_b32 exec_lo, exec_lo, s25
.LBB231_610:                            ;   in Loop: Header=BB231_16 Depth=1
	s_or_b32 exec_lo, exec_lo, s24
.LBB231_611:                            ;   in Loop: Header=BB231_16 Depth=1
	s_or_b32 exec_lo, exec_lo, s23
	v_mov_b32_e32 v104, 0
	v_mov_b32_e32 v35, 0
	v_and_b32_sdwa v12, v25, v48 dst_sel:DWORD dst_unused:UNUSED_PAD src0_sel:WORD_1 src1_sel:DWORD
	v_mov_b32_e32 v105, 0
	v_mov_b32_e32 v36, 0
	s_mov_b32 s23, exec_lo
	v_cmpx_ne_u16_e32 0, v12
	s_cbranch_execz .LBB231_619
; %bb.612:                              ;   in Loop: Header=BB231_16 Depth=1
	v_bfrev_b32_e32 v35, 1
	v_mov_b32_e32 v36, 0
	s_mov_b32 s24, exec_lo
	v_cmpx_ne_u16_e32 0x80, v12
	s_cbranch_execz .LBB231_618
; %bb.613:                              ;   in Loop: Header=BB231_16 Depth=1
	v_mov_b32_e32 v35, 0x7f800001
	v_bfe_u32 v26, v25, 16, 7
	v_mov_b32_e32 v36, 0
	s_mov_b32 s25, exec_lo
	v_cmpx_ne_u32_e32 0x7f, v26
	s_cbranch_execz .LBB231_617
; %bb.614:                              ;   in Loop: Header=BB231_16 Depth=1
	v_mov_b32_e32 v12, 7
	s_mov_b32 s26, exec_lo
	v_and_b32_sdwa v28, v25, v12 dst_sel:DWORD dst_unused:UNUSED_PAD src0_sel:WORD_1 src1_sel:DWORD
	v_lshrrev_b32_e32 v12, 3, v26
	v_cmpx_gt_u32_e32 8, v26
; %bb.615:                              ;   in Loop: Header=BB231_16 Depth=1
	v_ffbh_u32_e32 v12, v28
	v_min_u32_e32 v12, 32, v12
	v_subrev_nc_u32_e32 v26, 28, v12
	v_sub_nc_u32_e32 v12, 29, v12
	v_lshlrev_b64 v[31:32], v26, v[28:29]
	v_and_b32_e32 v28, 7, v31
; %bb.616:                              ;   in Loop: Header=BB231_16 Depth=1
	s_or_b32 exec_lo, exec_lo, s26
	v_mov_b32_e32 v26, 24
	v_lshlrev_b32_e32 v28, 20, v28
	v_lshl_add_u32 v12, v12, 23, 0x3c000000
	v_lshlrev_b32_sdwa v26, v26, v25 dst_sel:DWORD dst_unused:UNUSED_PAD src0_sel:DWORD src1_sel:WORD_1
	v_and_b32_e32 v26, 0x80000000, v26
	v_or3_b32 v28, v28, v26, v12
	v_mov_b32_e32 v36, v29
	v_mov_b32_e32 v35, v28
.LBB231_617:                            ;   in Loop: Header=BB231_16 Depth=1
	s_or_b32 exec_lo, exec_lo, s25
.LBB231_618:                            ;   in Loop: Header=BB231_16 Depth=1
	s_or_b32 exec_lo, exec_lo, s24
.LBB231_619:                            ;   in Loop: Header=BB231_16 Depth=1
	s_or_b32 exec_lo, exec_lo, s23
	s_mov_b32 s23, exec_lo
	v_cmpx_lt_u32_e32 0xffffff, v25
	s_cbranch_execz .LBB231_627
; %bb.620:                              ;   in Loop: Header=BB231_16 Depth=1
	v_mov_b32_e32 v37, v29
	v_mov_b32_e32 v105, v38
	v_cmp_ne_u32_sdwa s5, v25, v53 src0_sel:BYTE_3 src1_sel:DWORD
	v_mov_b32_e32 v104, v37
	s_and_saveexec_b32 s24, s5
	s_cbranch_execz .LBB231_626
; %bb.621:                              ;   in Loop: Header=BB231_16 Depth=1
	v_mov_b32_e32 v70, v29
	v_mov_b32_e32 v105, v71
	v_bfe_u32 v26, v25, 24, 7
	s_mov_b32 s25, exec_lo
	v_mov_b32_e32 v104, v70
	v_cmpx_ne_u32_e32 0x7f, v26
	s_cbranch_execz .LBB231_625
; %bb.622:                              ;   in Loop: Header=BB231_16 Depth=1
	v_mov_b32_e32 v12, 7
	s_mov_b32 s26, exec_lo
	v_and_b32_sdwa v28, v25, v12 dst_sel:DWORD dst_unused:UNUSED_PAD src0_sel:BYTE_3 src1_sel:DWORD
	v_lshrrev_b32_e32 v12, 3, v26
	v_cmpx_gt_u32_e32 8, v26
; %bb.623:                              ;   in Loop: Header=BB231_16 Depth=1
	v_ffbh_u32_e32 v12, v28
	v_min_u32_e32 v12, 32, v12
	v_subrev_nc_u32_e32 v26, 28, v12
	v_sub_nc_u32_e32 v12, 29, v12
	v_lshlrev_b64 v[31:32], v26, v[28:29]
	v_and_b32_e32 v28, 7, v31
; %bb.624:                              ;   in Loop: Header=BB231_16 Depth=1
	s_or_b32 exec_lo, exec_lo, s26
	v_mov_b32_e32 v26, 24
	v_lshl_add_u32 v12, v12, 23, 0x3c000000
	v_mov_b32_e32 v104, v29
	v_lshlrev_b32_sdwa v25, v26, v25 dst_sel:DWORD dst_unused:UNUSED_PAD src0_sel:DWORD src1_sel:BYTE_3
	v_lshlrev_b32_e32 v26, 20, v28
	v_and_b32_e32 v25, 0x80000000, v25
	v_or3_b32 v105, v26, v25, v12
.LBB231_625:                            ;   in Loop: Header=BB231_16 Depth=1
	s_or_b32 exec_lo, exec_lo, s25
.LBB231_626:                            ;   in Loop: Header=BB231_16 Depth=1
	s_or_b32 exec_lo, exec_lo, s24
.LBB231_627:                            ;   in Loop: Header=BB231_16 Depth=1
	s_or_b32 exec_lo, exec_lo, s23
	flat_load_dword v67, v[0:1] offset:12
	v_mov_b32_e32 v31, 0
	v_mov_b32_e32 v50, 0
	;; [unrolled: 1-line block ×4, first 2 shown]
	s_waitcnt vmcnt(0) lgkmcnt(0)
	v_cmp_ne_u16_sdwa s5, v67, v29 src0_sel:BYTE_0 src1_sel:DWORD
	s_and_saveexec_b32 s23, s5
	s_cbranch_execz .LBB231_635
; %bb.628:                              ;   in Loop: Header=BB231_16 Depth=1
	v_bfrev_b32_e32 v50, 1
	v_mov_b32_e32 v51, 0
	v_cmp_ne_u16_sdwa s5, v67, v53 src0_sel:BYTE_0 src1_sel:DWORD
	s_and_saveexec_b32 s24, s5
	s_cbranch_execz .LBB231_634
; %bb.629:                              ;   in Loop: Header=BB231_16 Depth=1
	v_mov_b32_e32 v50, 0x7f800001
	v_and_b32_e32 v1, 0x7f, v67
	v_mov_b32_e32 v51, 0
	s_mov_b32 s25, exec_lo
	v_cmpx_ne_u32_e32 0x7f, v1
	s_cbranch_execz .LBB231_633
; %bb.630:                              ;   in Loop: Header=BB231_16 Depth=1
	v_and_b32_e32 v28, 7, v67
	v_lshrrev_b32_e32 v0, 3, v1
	s_mov_b32 s26, exec_lo
	v_cmpx_gt_u32_e32 8, v1
; %bb.631:                              ;   in Loop: Header=BB231_16 Depth=1
	v_ffbh_u32_e32 v0, v28
	v_min_u32_e32 v0, 32, v0
	v_subrev_nc_u32_e32 v1, 28, v0
	v_sub_nc_u32_e32 v0, 29, v0
	v_lshlrev_b64 v[25:26], v1, v[28:29]
	v_and_b32_e32 v28, 7, v25
; %bb.632:                              ;   in Loop: Header=BB231_16 Depth=1
	s_or_b32 exec_lo, exec_lo, s26
	v_lshlrev_b32_e32 v1, 24, v67
	v_lshlrev_b32_e32 v12, 20, v28
	v_lshl_add_u32 v0, v0, 23, 0x3c000000
	v_and_b32_e32 v1, 0x80000000, v1
	v_or3_b32 v28, v12, v1, v0
	v_mov_b32_e32 v51, v29
	v_mov_b32_e32 v50, v28
.LBB231_633:                            ;   in Loop: Header=BB231_16 Depth=1
	s_or_b32 exec_lo, exec_lo, s25
.LBB231_634:                            ;   in Loop: Header=BB231_16 Depth=1
	s_or_b32 exec_lo, exec_lo, s24
.LBB231_635:                            ;   in Loop: Header=BB231_16 Depth=1
	s_or_b32 exec_lo, exec_lo, s23
	v_cmp_ne_u16_sdwa s5, v67, v29 src0_sel:BYTE_1 src1_sel:DWORD
	s_and_saveexec_b32 s23, s5
	s_cbranch_execz .LBB231_643
; %bb.636:                              ;   in Loop: Header=BB231_16 Depth=1
	v_mov_b32_e32 v37, v29
	v_cmp_ne_u16_sdwa s5, v67, v53 src0_sel:BYTE_1 src1_sel:DWORD
	v_mov_b32_e32 v31, v37
	v_mov_b32_e32 v32, v38
	s_and_saveexec_b32 s24, s5
	s_cbranch_execz .LBB231_642
; %bb.637:                              ;   in Loop: Header=BB231_16 Depth=1
	v_mov_b32_e32 v0, 0xffff
	v_mov_b32_e32 v70, v29
	s_mov_b32 s25, exec_lo
	v_and_b32_sdwa v0, v0, v67 dst_sel:DWORD dst_unused:UNUSED_PAD src0_sel:DWORD src1_sel:BYTE_1
	v_mov_b32_e32 v31, v70
	v_mov_b32_e32 v32, v71
	v_and_b32_e32 v1, 0x7f, v0
	v_cmpx_ne_u32_e32 0x7f, v1
	s_cbranch_execz .LBB231_641
; %bb.638:                              ;   in Loop: Header=BB231_16 Depth=1
	v_and_b32_e32 v28, 7, v0
	v_lshrrev_b32_e32 v0, 3, v1
	s_mov_b32 s26, exec_lo
	v_cmpx_gt_u32_e32 8, v1
; %bb.639:                              ;   in Loop: Header=BB231_16 Depth=1
	v_ffbh_u32_e32 v0, v28
	v_min_u32_e32 v0, 32, v0
	v_subrev_nc_u32_e32 v1, 28, v0
	v_sub_nc_u32_e32 v0, 29, v0
	v_lshlrev_b64 v[25:26], v1, v[28:29]
	v_and_b32_e32 v28, 7, v25
; %bb.640:                              ;   in Loop: Header=BB231_16 Depth=1
	s_or_b32 exec_lo, exec_lo, s26
	v_lshlrev_b32_e32 v1, 16, v67
	v_lshlrev_b32_e32 v12, 20, v28
	v_lshl_add_u32 v0, v0, 23, 0x3c000000
	v_mov_b32_e32 v31, v29
	v_and_b32_e32 v1, 0x80000000, v1
	v_or3_b32 v32, v12, v1, v0
.LBB231_641:                            ;   in Loop: Header=BB231_16 Depth=1
	s_or_b32 exec_lo, exec_lo, s25
.LBB231_642:                            ;   in Loop: Header=BB231_16 Depth=1
	s_or_b32 exec_lo, exec_lo, s24
.LBB231_643:                            ;   in Loop: Header=BB231_16 Depth=1
	s_or_b32 exec_lo, exec_lo, s23
	v_mov_b32_e32 v0, 0
	v_mov_b32_e32 v25, 0
	v_and_b32_sdwa v12, v67, v48 dst_sel:DWORD dst_unused:UNUSED_PAD src0_sel:WORD_1 src1_sel:DWORD
	v_mov_b32_e32 v1, 0
	v_mov_b32_e32 v26, 0
	s_mov_b32 s23, exec_lo
	v_cmpx_ne_u16_e32 0, v12
	s_cbranch_execz .LBB231_651
; %bb.644:                              ;   in Loop: Header=BB231_16 Depth=1
	v_bfrev_b32_e32 v25, 1
	v_mov_b32_e32 v26, 0
	s_mov_b32 s24, exec_lo
	v_cmpx_ne_u16_e32 0x80, v12
	s_cbranch_execz .LBB231_650
; %bb.645:                              ;   in Loop: Header=BB231_16 Depth=1
	v_mov_b32_e32 v25, 0x7f800001
	v_bfe_u32 v37, v67, 16, 7
	v_mov_b32_e32 v26, 0
	s_mov_b32 s25, exec_lo
	v_cmpx_ne_u32_e32 0x7f, v37
	s_cbranch_execz .LBB231_649
; %bb.646:                              ;   in Loop: Header=BB231_16 Depth=1
	v_mov_b32_e32 v12, 7
	s_mov_b32 s26, exec_lo
	v_and_b32_sdwa v28, v67, v12 dst_sel:DWORD dst_unused:UNUSED_PAD src0_sel:WORD_1 src1_sel:DWORD
	v_lshrrev_b32_e32 v12, 3, v37
	v_cmpx_gt_u32_e32 8, v37
; %bb.647:                              ;   in Loop: Header=BB231_16 Depth=1
	v_ffbh_u32_e32 v12, v28
	v_min_u32_e32 v12, 32, v12
	v_subrev_nc_u32_e32 v25, 28, v12
	v_sub_nc_u32_e32 v12, 29, v12
	v_lshlrev_b64 v[25:26], v25, v[28:29]
	v_and_b32_e32 v28, 7, v25
; %bb.648:                              ;   in Loop: Header=BB231_16 Depth=1
	s_or_b32 exec_lo, exec_lo, s26
	v_mov_b32_e32 v25, 24
	v_lshlrev_b32_e32 v26, 20, v28
	v_lshl_add_u32 v12, v12, 23, 0x3c000000
	v_lshlrev_b32_sdwa v25, v25, v67 dst_sel:DWORD dst_unused:UNUSED_PAD src0_sel:DWORD src1_sel:WORD_1
	v_and_b32_e32 v25, 0x80000000, v25
	v_or3_b32 v28, v26, v25, v12
	v_mov_b32_e32 v25, v28
	v_mov_b32_e32 v26, v29
.LBB231_649:                            ;   in Loop: Header=BB231_16 Depth=1
	s_or_b32 exec_lo, exec_lo, s25
.LBB231_650:                            ;   in Loop: Header=BB231_16 Depth=1
	s_or_b32 exec_lo, exec_lo, s24
.LBB231_651:                            ;   in Loop: Header=BB231_16 Depth=1
	s_or_b32 exec_lo, exec_lo, s23
	s_mov_b32 s23, exec_lo
	v_cmpx_lt_u32_e32 0xffffff, v67
	s_cbranch_execz .LBB231_14
; %bb.652:                              ;   in Loop: Header=BB231_16 Depth=1
	v_mov_b32_e32 v37, v29
	v_cmp_ne_u32_sdwa s5, v67, v53 src0_sel:BYTE_3 src1_sel:DWORD
	v_mov_b32_e32 v0, v37
	v_mov_b32_e32 v1, v38
	s_and_saveexec_b32 s24, s5
	s_cbranch_execz .LBB231_13
; %bb.653:                              ;   in Loop: Header=BB231_16 Depth=1
	v_mov_b32_e32 v70, v29
	v_bfe_u32 v37, v67, 24, 7
	s_mov_b32 s25, exec_lo
	v_mov_b32_e32 v0, v70
	v_mov_b32_e32 v1, v71
	v_cmpx_ne_u32_e32 0x7f, v37
	s_cbranch_execz .LBB231_12
; %bb.654:                              ;   in Loop: Header=BB231_16 Depth=1
	v_mov_b32_e32 v0, 7
	s_mov_b32 s26, exec_lo
	v_and_b32_sdwa v28, v67, v0 dst_sel:DWORD dst_unused:UNUSED_PAD src0_sel:BYTE_3 src1_sel:DWORD
	v_lshrrev_b32_e32 v0, 3, v37
	v_cmpx_gt_u32_e32 8, v37
	s_cbranch_execz .LBB231_11
; %bb.655:                              ;   in Loop: Header=BB231_16 Depth=1
	v_ffbh_u32_e32 v0, v28
	v_min_u32_e32 v0, 32, v0
	v_subrev_nc_u32_e32 v1, 28, v0
	v_sub_nc_u32_e32 v0, 29, v0
	v_lshlrev_b64 v[54:55], v1, v[28:29]
	v_and_b32_e32 v28, 7, v54
	s_branch .LBB231_11
.LBB231_656:
	s_or_b32 exec_lo, exec_lo, s22
	s_clause 0x10
	buffer_load_dword v19, off, s[0:3], s32 offset:828
	buffer_load_dword v15, off, s[0:3], s32 offset:840
	;; [unrolled: 1-line block ×17, first 2 shown]
.LBB231_657:
	s_or_b32 exec_lo, exec_lo, s21
	v_mbcnt_lo_u32_b32 v0, -1, 0
	v_max_f32_e32 v4, v89, v89
	s_waitcnt lgkmcnt(0)
	s_lshr_b32 s8, s20, 16
	v_xor_b32_e32 v1, 16, v0
	v_xor_b32_e32 v3, 8, v0
	;; [unrolled: 1-line block ×3, first 2 shown]
	v_cmp_gt_i32_e32 vcc_lo, 32, v1
	v_cndmask_b32_e32 v1, v0, v1, vcc_lo
	v_cmp_gt_i32_e32 vcc_lo, 32, v3
	v_lshlrev_b32_e32 v2, 2, v1
	v_cndmask_b32_e32 v3, v0, v3, vcc_lo
	v_cmp_gt_i32_e32 vcc_lo, 32, v5
	ds_bpermute_b32 v1, v2, v89
	v_lshlrev_b32_e32 v3, 2, v3
	v_cndmask_b32_e32 v5, v0, v5, vcc_lo
	v_lshlrev_b32_e32 v28, 2, v5
	v_xor_b32_e32 v5, 2, v0
	v_cmp_gt_i32_e32 vcc_lo, 32, v5
	v_cndmask_b32_e32 v5, v0, v5, vcc_lo
	s_waitcnt lgkmcnt(0)
	v_max_f32_e32 v1, v1, v1
	v_lshlrev_b32_e32 v26, 2, v5
	v_xor_b32_e32 v5, 1, v0
	v_max_f32_e32 v1, v4, v1
	v_cmp_gt_i32_e32 vcc_lo, 32, v5
	ds_bpermute_b32 v4, v3, v1
	v_cndmask_b32_e32 v5, v0, v5, vcc_lo
	v_lshlrev_b32_e32 v25, 2, v5
	s_waitcnt lgkmcnt(0)
	v_max_f32_e32 v4, v4, v4
	v_max_f32_e32 v1, v1, v4
	ds_bpermute_b32 v4, v28, v1
	s_waitcnt lgkmcnt(0)
	v_max_f32_e32 v4, v4, v4
	v_max_f32_e32 v1, v1, v4
	ds_bpermute_b32 v4, v26, v1
	s_waitcnt lgkmcnt(0)
	v_max_f32_e32 v4, v4, v4
	v_max_f32_e32 v0, v1, v4
	buffer_load_dword v4, off, s[0:3], s32 offset:468 ; 4-byte Folded Reload
	ds_bpermute_b32 v1, v25, v0
	s_waitcnt vmcnt(0)
	v_cmp_eq_u32_e32 vcc_lo, 0, v4
	buffer_load_dword v4, off, s[0:3], s32 offset:824 ; 4-byte Folded Reload
	s_waitcnt vmcnt(0)
	v_lshlrev_b32_e32 v4, 2, v4
	s_and_saveexec_b32 s5, vcc_lo
	s_cbranch_execz .LBB231_659
; %bb.658:
	s_waitcnt lgkmcnt(0)
	v_max_f32_e32 v1, v1, v1
	v_max_f32_e32 v0, v0, v0
	;; [unrolled: 1-line block ×3, first 2 shown]
	ds_write_b32 v4, v0 offset:320
.LBB231_659:
	s_or_b32 exec_lo, exec_lo, s5
	buffer_load_dword v0, off, s[0:3], s32 offset:468 ; 4-byte Folded Reload
	s_waitcnt vmcnt(0) lgkmcnt(0)
	s_waitcnt_vscnt null, 0x0
	s_barrier
	buffer_gl0_inv
	v_cmp_gt_u32_e64 s5, 4, v0
	v_mov_b32_e32 v0, 0xff7fffff
	s_and_saveexec_b32 s6, s5
; %bb.660:
	ds_read_b32 v0, v23 offset:320
; %bb.661:
	s_or_b32 exec_lo, exec_lo, s6
	buffer_load_dword v5, off, s[0:3], s32 offset:220 ; 4-byte Folded Reload
	s_waitcnt lgkmcnt(0)
	ds_bpermute_b32 v1, v26, v0
	v_max_f32_e32 v0, v0, v0
	s_waitcnt lgkmcnt(0)
	v_max_f32_e32 v1, v1, v1
	v_max_f32_e32 v0, v0, v1
	ds_bpermute_b32 v1, v25, v0
	s_waitcnt lgkmcnt(0)
	v_max_f32_e32 v1, v1, v1
	v_max_f32_e32 v0, v0, v1
	s_waitcnt vmcnt(0)
	v_subrev_nc_u32_e32 v6, s13, v5
	v_mov_b32_e32 v5, 0
	v_lshl_add_u32 v1, v6, 5, s7
	ds_bpermute_b32 v0, v5, v0
	v_min_i32_e32 v1, v1, v88
	v_subrev_nc_u32_e32 v1, s7, v1
	v_cmp_lt_i32_e64 s6, v19, v1
	s_and_saveexec_b32 s9, s6
	s_cbranch_execz .LBB231_665
; %bb.662:
	s_getpc_b64 s[20:21]
	s_add_u32 s20, s20, llvm.amdgcn.dynlds.offset.table@rel32@lo+4
	s_addc_u32 s21, s21, llvm.amdgcn.dynlds.offset.table@rel32@hi+12
	s_ashr_i32 s17, s16, 31
	v_mov_b32_e32 v5, 0
	s_lshl_b64 s[22:23], s[16:17], 2
	v_mov_b32_e32 v7, v19
	s_add_u32 s20, s20, s22
	s_addc_u32 s21, s21, s23
	s_mov_b32 s13, 0
	s_load_dword s7, s[20:21], 0x0
	s_waitcnt lgkmcnt(0)
	v_lshl_add_u32 v6, v19, 2, s7
	.p2align	6
.LBB231_663:                            ; =>This Inner Loop Header: Depth=1
	ds_read_b32 v8, v6
	v_add_nc_u32_e32 v7, 0x80, v7
	v_cmp_ge_i32_e64 s7, v7, v1
	s_or_b32 s13, s7, s13
	s_waitcnt lgkmcnt(0)
	v_sub_f32_e32 v8, v8, v0
	v_mul_f32_e32 v8, 0x3fb8aa3b, v8
	v_exp_f32_e32 v8, v8
	ds_write_b32 v6, v8
	v_add_f32_e32 v5, v5, v8
	v_add_nc_u32_e32 v6, 0x200, v6
	s_andn2_b32 exec_lo, exec_lo, s13
	s_cbranch_execnz .LBB231_663
; %bb.664:
	s_or_b32 exec_lo, exec_lo, s13
.LBB231_665:
	s_or_b32 exec_lo, exec_lo, s9
	ds_bpermute_b32 v2, v2, v5
	s_waitcnt lgkmcnt(0)
	v_add_f32_e32 v2, v5, v2
	ds_bpermute_b32 v3, v3, v2
	s_waitcnt lgkmcnt(0)
	v_add_f32_e32 v2, v2, v3
	;; [unrolled: 3-line block ×5, first 2 shown]
	s_and_saveexec_b32 s7, vcc_lo
; %bb.666:
	ds_write_b32 v4, v2 offset:336
; %bb.667:
	s_or_b32 exec_lo, exec_lo, s7
	s_waitcnt lgkmcnt(0)
	s_barrier
	buffer_gl0_inv
	s_and_saveexec_b32 s7, s5
; %bb.668:
	ds_read_b32 v2, v23 offset:336
; %bb.669:
	s_or_b32 exec_lo, exec_lo, s7
	s_waitcnt lgkmcnt(0)
	ds_bpermute_b32 v3, v26, v2
	s_waitcnt lgkmcnt(0)
	v_add_f32_e32 v2, v2, v3
	ds_bpermute_b32 v3, v25, v2
	s_waitcnt lgkmcnt(0)
	v_add_f32_e32 v2, v2, v3
	v_mov_b32_e32 v3, 0
	ds_bpermute_b32 v2, v3, v2
	s_and_saveexec_b32 s5, s6
	s_cbranch_execz .LBB231_672
; %bb.670:
	s_waitcnt lgkmcnt(0)
	v_add_f32_e32 v4, 0x358637bd, v2
	s_getpc_b64 s[6:7]
	s_add_u32 s6, s6, llvm.amdgcn.dynlds.offset.table@rel32@lo+4
	s_addc_u32 s7, s7, llvm.amdgcn.dynlds.offset.table@rel32@hi+12
	s_ashr_i32 s17, s16, 31
	s_lshl_b64 s[20:21], s[16:17], 2
	v_div_scale_f32 v3, null, v4, v4, 1.0
	v_div_scale_f32 v7, vcc_lo, 1.0, v4, 1.0
	s_add_u32 s6, s6, s20
	v_rcp_f32_e32 v5, v3
	s_addc_u32 s7, s7, s21
	s_load_dword s6, s[6:7], 0x0
	v_fma_f32 v6, -v3, v5, 1.0
	v_fmac_f32_e32 v5, v6, v5
	v_mul_f32_e32 v6, v7, v5
	v_fma_f32 v8, -v3, v6, v7
	v_fmac_f32_e32 v6, v8, v5
	v_fma_f32 v3, -v3, v6, v7
	v_div_fmas_f32 v5, v3, v5, v6
	s_waitcnt lgkmcnt(0)
	v_lshl_add_u32 v3, v19, 2, s6
	s_mov_b32 s6, 0
	v_div_fixup_f32 v4, v5, v4, 1.0
	v_mov_b32_e32 v5, v19
.LBB231_671:                            ; =>This Inner Loop Header: Depth=1
	ds_read_b32 v6, v3
	v_add_nc_u32_e32 v5, 0x80, v5
	v_cmp_ge_i32_e32 vcc_lo, v5, v1
	s_or_b32 s6, vcc_lo, s6
	s_waitcnt lgkmcnt(0)
	v_mul_f32_e32 v6, v4, v6
	ds_write_b32 v3, v6
	v_add_nc_u32_e32 v3, 0x200, v3
	s_andn2_b32 exec_lo, exec_lo, s6
	s_cbranch_execnz .LBB231_671
.LBB231_672:
	s_or_b32 exec_lo, exec_lo, s5
	s_and_b32 s5, 0xffff, s8
	s_mov_b32 s8, exec_lo
	s_cmp_lg_u32 s5, 0
	s_waitcnt lgkmcnt(0)
	s_cselect_b32 s5, -1, 0
	s_barrier
	s_cmp_lg_u32 s5, 0
	buffer_gl0_inv
	s_addc_u32 s5, s11, 0
	s_mul_i32 s6, s5, s18
	s_mul_i32 s6, s6, s15
	v_cmpx_eq_u32_e32 0, v19
	s_cbranch_execz .LBB231_674
; %bb.673:
	s_ashr_i32 s7, s6, 31
	s_mul_i32 s12, s5, s12
	s_lshl_b64 s[20:21], s[6:7], 2
	s_ashr_i32 s13, s12, 31
	v_add_co_u32 v1, vcc_lo, v34, s20
	v_add_co_ci_u32_e64 v3, null, s21, v33, vcc_lo
	s_lshl_b64 s[12:13], s[12:13], 2
	s_ashr_i32 s15, s14, 31
	v_add_co_u32 v1, vcc_lo, v1, s12
	v_add_co_ci_u32_e64 v4, null, s13, v3, vcc_lo
	v_add_co_u32 v3, vcc_lo, v32, s20
	v_add_co_ci_u32_e64 v5, null, s21, v22, vcc_lo
	s_lshl_b64 s[20:21], s[14:15], 2
	v_add_co_u32 v6, vcc_lo, v3, s12
	v_add_co_ci_u32_e64 v7, null, s13, v5, vcc_lo
	v_add_co_u32 v3, vcc_lo, v1, s20
	v_add_co_ci_u32_e64 v4, null, s21, v4, vcc_lo
	;; [unrolled: 2-line block ×3, first 2 shown]
	flat_store_dword v[3:4], v0
	flat_store_dword v[5:6], v2
.LBB231_674:
	s_or_b32 exec_lo, exec_lo, s8
	s_ashr_i32 s17, s16, 31
	s_getpc_b64 s[8:9]
	s_add_u32 s8, s8, llvm.amdgcn.dynlds.offset.table@rel32@lo+4
	s_addc_u32 s9, s9, llvm.amdgcn.dynlds.offset.table@rel32@hi+12
	s_lshl_b64 s[12:13], s[16:17], 2
	v_mov_b32_e32 v65, 0
	v_and_b32_e32 v38, 7, v19
	v_mov_b32_e32 v66, 0
	v_mov_b32_e32 v64, 0
	;; [unrolled: 1-line block ×19, first 2 shown]
	s_add_u32 s8, s8, s12
	s_addc_u32 s9, s9, s13
	s_and_saveexec_b32 s7, s4
	s_cbranch_execz .LBB231_1360
; %bb.675:
	buffer_load_dword v0, off, s[0:3], s32 offset:828 ; 4-byte Folded Reload
	v_max_i32_e32 v20, v30, v20
	v_add_co_u32 v3, vcc_lo, v10, v18
	v_mov_b32_e32 v10, 0
	s_load_dword s4, s[8:9], 0x0
	v_sub_nc_u32_e32 v8, 0, v20
	v_add_co_ci_u32_e64 v4, null, v11, v12, vcc_lo
	v_lshlrev_b32_e32 v6, 4, v38
	v_mov_b32_e32 v7, 0
	v_mov_b32_e32 v68, 0x80
	v_bfrev_b32_e32 v9, 1
	v_mov_b32_e32 v69, 0xffff
	v_mov_b32_e32 v11, 0x7f800001
	;; [unrolled: 1-line block ×18, first 2 shown]
	s_mov_b32 s11, 0
	s_waitcnt vmcnt(0)
	v_lshlrev_b32_e32 v2, 2, v0
	v_cvt_f32_u32_e32 v0, v20
	v_rcp_iflag_f32_e32 v5, v0
	v_add_nc_u32_e32 v0, -1, v21
	buffer_store_dword v0, off, s[0:3], s32 offset:304 ; 4-byte Folded Spill
	s_clause 0x1
	buffer_load_dword v0, off, s[0:3], s32 offset:200
	buffer_load_dword v1, off, s[0:3], s32 offset:204
	buffer_store_dword v10, off, s[0:3], s32 offset:232 ; 4-byte Folded Spill
	v_mov_b32_e32 v10, 0
	v_mul_f32_e32 v5, 0x4f7ffffe, v5
	buffer_store_dword v38, off, s[0:3], s32 offset:328 ; 4-byte Folded Spill
	buffer_store_dword v10, off, s[0:3], s32 offset:240 ; 4-byte Folded Spill
	v_mov_b32_e32 v10, 0
	v_cvt_u32_f32_e32 v5, v5
	buffer_store_dword v10, off, s[0:3], s32 offset:248 ; 4-byte Folded Spill
	v_mov_b32_e32 v10, 0
	v_mul_lo_u32 v8, v8, v5
	buffer_store_dword v10, off, s[0:3], s32 offset:256 ; 4-byte Folded Spill
	v_and_b32_e32 v10, 28, v2
	v_and_b32_e32 v2, 0x7c, v2
	v_mul_hi_u32 v8, v5, v8
	buffer_store_dword v10, off, s[0:3], s32 offset:312 ; 4-byte Folded Spill
	buffer_load_dword v10, off, s[0:3], s32 offset:824 ; 4-byte Folded Reload
	s_waitcnt vmcnt(1)
	v_lshlrev_b64 v[0:1], 2, v[0:1]
	v_add_co_u32 v0, vcc_lo, v16, v0
	v_add_co_ci_u32_e64 v1, null, v17, v1, vcc_lo
	v_add_co_u32 v2, vcc_lo, v3, v2
	v_add_co_ci_u32_e64 v3, null, 0, v4, vcc_lo
	v_add_co_u32 v14, vcc_lo, v14, v0
	v_add_nc_u32_e32 v0, v5, v8
	buffer_store_dword v2, off, s[0:3], s32 offset:320 ; 4-byte Folded Spill
	buffer_store_dword v3, off, s[0:3], s32 offset:324 ; 4-byte Folded Spill
	v_add_co_ci_u32_e64 v15, null, v15, v1, vcc_lo
	buffer_store_dword v0, off, s[0:3], s32 offset:288 ; 4-byte Folded Spill
	v_mov_b32_e32 v0, 0
	s_waitcnt vmcnt(0)
	v_lshl_or_b32 v6, v10, 7, v6
	buffer_store_dword v0, off, s[0:3], s32 offset:264 ; 4-byte Folded Spill
	v_mov_b32_e32 v0, 0
	s_waitcnt lgkmcnt(0)
	v_add_nc_u32_e32 v82, s4, v6
	buffer_store_dword v0, off, s[0:3], s32 offset:272 ; 4-byte Folded Spill
	v_mov_b32_e32 v0, 0
	buffer_store_dword v0, off, s[0:3], s32 offset:280 ; 4-byte Folded Spill
	s_branch .LBB231_678
.LBB231_676:                            ;   in Loop: Header=BB231_678 Depth=1
	s_or_b32 exec_lo, exec_lo, s4
	v_mul_f32_e32 v17, v1, v31
	v_mul_f32_e32 v10, v1, v37
	;; [unrolled: 1-line block ×5, first 2 shown]
	v_fmac_f32_e32 v17, v0, v83
	v_fmac_f32_e32 v10, v0, v36
	;; [unrolled: 1-line block ×11, first 2 shown]
	buffer_load_dword v12, off, s[0:3], s32 offset:232 ; 4-byte Folded Reload
	v_fmac_f32_e32 v10, v3, v23
	v_fmac_f32_e32 v16, v3, v32
	;; [unrolled: 1-line block ×4, first 2 shown]
	v_mul_f32_e32 v13, v1, v106
	v_fmac_f32_e32 v13, v0, v105
	v_fmac_f32_e32 v13, v2, v104
	;; [unrolled: 1-line block ×3, first 2 shown]
	s_waitcnt vmcnt(0)
	v_add_f32_e32 v12, v12, v10
	buffer_load_dword v10, off, s[0:3], s32 offset:240 ; 4-byte Folded Reload
	buffer_store_dword v12, off, s[0:3], s32 offset:232 ; 4-byte Folded Spill
	v_mul_f32_e32 v12, v1, v110
	v_fmac_f32_e32 v12, v0, v109
	v_fmac_f32_e32 v12, v2, v108
	;; [unrolled: 1-line block ×3, first 2 shown]
	s_waitcnt vmcnt(0)
	v_add_f32_e32 v10, v10, v16
	v_mul_f32_e32 v16, v1, v94
	buffer_store_dword v10, off, s[0:3], s32 offset:240 ; 4-byte Folded Spill
	buffer_load_dword v10, off, s[0:3], s32 offset:248 ; 4-byte Folded Reload
	v_fmac_f32_e32 v16, v0, v93
	v_fmac_f32_e32 v16, v2, v92
	;; [unrolled: 1-line block ×3, first 2 shown]
	v_add_f32_e32 v48, v48, v16
	v_mul_f32_e32 v16, v1, v57
	v_fmac_f32_e32 v16, v0, v56
	v_fmac_f32_e32 v16, v2, v46
	;; [unrolled: 1-line block ×3, first 2 shown]
	v_add_f32_e32 v53, v53, v16
	v_mul_f32_e32 v16, v1, v96
	v_fmac_f32_e32 v16, v0, v87
	v_fmac_f32_e32 v16, v2, v86
	;; [unrolled: 1-line block ×3, first 2 shown]
	v_add_f32_e32 v65, v65, v16
	s_waitcnt vmcnt(0)
	v_add_f32_e32 v10, v10, v17
	v_mul_f32_e32 v17, v1, v90
	buffer_store_dword v10, off, s[0:3], s32 offset:248 ; 4-byte Folded Spill
	buffer_load_dword v10, off, s[0:3], s32 offset:256 ; 4-byte Folded Reload
	v_fmac_f32_e32 v17, v0, v89
	v_fmac_f32_e32 v17, v2, v79
	;; [unrolled: 1-line block ×3, first 2 shown]
	v_add_f32_e32 v49, v49, v17
	v_mul_f32_e32 v17, v1, v44
	v_fmac_f32_e32 v17, v0, v43
	v_fmac_f32_e32 v17, v2, v42
	;; [unrolled: 1-line block ×3, first 2 shown]
	v_add_f32_e32 v54, v54, v17
	s_waitcnt vmcnt(0)
	v_add_f32_e32 v10, v10, v18
	buffer_load_dword v18, off, s[0:3], s32 offset:264 ; 4-byte Folded Reload
	buffer_store_dword v10, off, s[0:3], s32 offset:256 ; 4-byte Folded Spill
	buffer_load_dword v10, off, s[0:3], s32 offset:296 ; 4-byte Folded Reload
	s_waitcnt vmcnt(0)
	v_add_f32_e32 v19, v10, v19
	v_mul_f32_e32 v10, v1, v122
	v_fmac_f32_e32 v10, v0, v121
	v_fmac_f32_e32 v10, v2, v120
	;; [unrolled: 1-line block ×3, first 2 shown]
	v_add_f32_e32 v18, v18, v10
	buffer_load_dword v10, off, s[0:3], s32 offset:272 ; 4-byte Folded Reload
	buffer_store_dword v18, off, s[0:3], s32 offset:264 ; 4-byte Folded Spill
	s_waitcnt vmcnt(0)
	v_add_f32_e32 v10, v10, v12
	v_mul_f32_e32 v12, v1, v73
	buffer_store_dword v10, off, s[0:3], s32 offset:272 ; 4-byte Folded Spill
	buffer_load_dword v10, off, s[0:3], s32 offset:280 ; 4-byte Folded Reload
	v_fmac_f32_e32 v12, v0, v72
	v_fmac_f32_e32 v12, v2, v63
	;; [unrolled: 1-line block ×3, first 2 shown]
	v_add_f32_e32 v51, v51, v12
	v_mul_f32_e32 v12, v1, v116
	v_fmac_f32_e32 v12, v0, v115
	v_fmac_f32_e32 v12, v2, v114
	;; [unrolled: 1-line block ×3, first 2 shown]
	v_add_f32_e32 v64, v64, v12
	s_waitcnt vmcnt(0)
	v_add_f32_e32 v10, v10, v13
	v_mul_f32_e32 v13, v1, v61
	buffer_store_dword v10, off, s[0:3], s32 offset:280 ; 4-byte Folded Spill
	v_mul_f32_e32 v10, v1, v77
	v_fmac_f32_e32 v13, v0, v60
	v_fmac_f32_e32 v10, v0, v76
	v_fmac_f32_e32 v13, v2, v59
	v_fmac_f32_e32 v10, v2, v75
	v_fmac_f32_e32 v13, v3, v58
	v_fmac_f32_e32 v10, v3, v74
	v_add_f32_e32 v52, v52, v13
	v_mul_f32_e32 v13, v1, v112
	v_add_f32_e32 v50, v50, v10
	v_mul_f32_e32 v10, v1, v40
	v_mul_f32_e32 v1, v1, v8
	v_fmac_f32_e32 v13, v0, v103
	v_fmac_f32_e32 v10, v0, v119
	;; [unrolled: 1-line block ×9, first 2 shown]
	v_add_f32_e32 v66, v66, v13
	v_add_f32_e32 v55, v55, v10
	;; [unrolled: 1-line block ×3, first 2 shown]
.LBB231_677:                            ;   in Loop: Header=BB231_678 Depth=1
	s_or_b32 exec_lo, exec_lo, s12
	s_clause 0x1
	buffer_load_dword v0, off, s[0:3], s32 offset:200
	buffer_load_dword v1, off, s[0:3], s32 offset:204
	v_add_co_u32 v14, s4, v14, 16
	v_add_co_ci_u32_e64 v15, null, 0, v15, s4
	v_add_nc_u32_e32 v27, 0x80, v27
	v_add_nc_u32_e32 v82, 0x200, v82
	s_waitcnt vmcnt(1)
	v_mov_b32_e32 v2, v0
	buffer_load_dword v0, off, s[0:3], s32 offset:220 ; 4-byte Folded Reload
	v_add_nc_u32_e32 v2, 4, v2
	s_waitcnt vmcnt(1)
	v_mov_b32_e32 v1, v2
	buffer_store_dword v1, off, s[0:3], s32 offset:200 ; 4-byte Folded Spill
	buffer_store_dword v2, off, s[0:3], s32 offset:204 ; 4-byte Folded Spill
	s_waitcnt vmcnt(0)
	v_cmp_ge_i32_e32 vcc_lo, v2, v0
	s_or_b32 s11, vcc_lo, s11
	s_andn2_b32 exec_lo, exec_lo, s11
	s_cbranch_execz .LBB231_1359
.LBB231_678:                            ; =>This Inner Loop Header: Depth=1
	s_clause 0x1
	buffer_load_dword v1, off, s[0:3], s32 offset:224
	buffer_load_dword v4, off, s[0:3], s32 offset:216
	v_sub_nc_u32_e32 v0, 0, v27
	v_max_i32_e32 v0, v27, v0
	s_waitcnt vmcnt(1)
	v_mul_hi_u32 v1, v0, v1
	v_mul_lo_u32 v2, v1, v47
	v_sub_nc_u32_e32 v0, v0, v2
	v_add_nc_u32_e32 v2, 1, v1
	v_sub_nc_u32_e32 v3, v0, v47
	v_cmp_ge_u32_e32 vcc_lo, v0, v47
	v_cndmask_b32_e32 v1, v1, v2, vcc_lo
	v_cndmask_b32_e32 v0, v0, v3, vcc_lo
	v_ashrrev_i32_e32 v2, 31, v27
	v_add_nc_u32_e32 v3, 1, v1
	v_cmp_ge_u32_e32 vcc_lo, v0, v47
	s_waitcnt vmcnt(0)
	v_xor_b32_e32 v2, v2, v4
	v_cndmask_b32_e32 v0, v1, v3, vcc_lo
	v_xor_b32_e32 v0, v0, v2
	v_sub_nc_u32_e32 v0, v0, v2
	s_clause 0x2
	buffer_load_dword v1, off, s[0:3], s32 offset:208
	buffer_load_dword v2, off, s[0:3], s32 offset:212
	;; [unrolled: 1-line block ×3, first 2 shown]
	s_waitcnt vmcnt(2)
	v_add_nc_u32_e32 v1, v0, v1
	s_waitcnt vmcnt(1)
	v_sub_nc_u32_e32 v2, 0, v1
	v_max_i32_e32 v2, v1, v2
	v_ashrrev_i32_e32 v1, 31, v1
	s_waitcnt vmcnt(0)
	v_mul_hi_u32 v3, v2, v3
	v_mul_lo_u32 v3, v3, v20
	v_sub_nc_u32_e32 v2, v2, v3
	v_sub_nc_u32_e32 v3, v2, v20
	v_cmp_ge_u32_e32 vcc_lo, v2, v20
	v_cndmask_b32_e32 v2, v2, v3, vcc_lo
	v_sub_nc_u32_e32 v3, v2, v20
	v_cmp_ge_u32_e32 vcc_lo, v2, v20
	v_cndmask_b32_e32 v2, v2, v3, vcc_lo
	v_xor_b32_e32 v2, v2, v1
	v_sub_nc_u32_e32 v1, v2, v1
	v_cmp_eq_u32_e32 vcc_lo, 0, v1
	buffer_load_dword v1, off, s[0:3], s32 offset:228 ; 4-byte Folded Reload
	s_waitcnt vmcnt(0)
	v_cmp_gt_i32_e64 s4, v0, v1
	s_or_b32 s4, vcc_lo, s4
	s_and_saveexec_b32 s12, s4
	s_cbranch_execz .LBB231_677
; %bb.679:                              ;   in Loop: Header=BB231_678 Depth=1
	buffer_store_dword v19, off, s[0:3], s32 offset:296 ; 4-byte Folded Spill
	flat_load_dword v0, v[14:15]
	s_clause 0x2
	buffer_load_dword v1, off, s[0:3], s32 offset:456
	buffer_load_dword v2, off, s[0:3], s32 offset:320
	;; [unrolled: 1-line block ×3, first 2 shown]
	v_mov_b32_e32 v18, 0
	v_mov_b32_e32 v16, 0
	;; [unrolled: 1-line block ×4, first 2 shown]
	s_waitcnt vmcnt(0) lgkmcnt(0)
	v_mad_i64_i32 v[4:5], null, v0, v1, v[2:3]
	flat_load_dword v12, v[4:5]
	s_clause 0x1
	buffer_load_dword v0, off, s[0:3], s32 offset:472
	buffer_load_dword v1, off, s[0:3], s32 offset:476
	s_waitcnt vmcnt(2) lgkmcnt(0)
	v_cmp_ne_u16_sdwa s13, v12, v7 src0_sel:BYTE_0 src1_sel:DWORD
	s_waitcnt vmcnt(0)
	flat_load_dword v84, v[0:1]
	ds_read_b128 v[0:3], v82
	s_and_saveexec_b32 s4, s13
	s_cbranch_execz .LBB231_687
; %bb.680:                              ;   in Loop: Header=BB231_678 Depth=1
	v_bfrev_b32_e32 v16, 1
	v_mov_b32_e32 v17, 0
	v_cmp_ne_u16_sdwa s15, v12, v68 src0_sel:BYTE_0 src1_sel:DWORD
	s_and_saveexec_b32 s13, s15
	s_cbranch_execz .LBB231_686
; %bb.681:                              ;   in Loop: Header=BB231_678 Depth=1
	v_mov_b32_e32 v16, 0x7f800001
	v_and_b32_e32 v10, 0x7f, v12
	v_mov_b32_e32 v17, 0
	s_mov_b32 s15, exec_lo
	v_cmpx_ne_u32_e32 0x7f, v10
	s_cbranch_execz .LBB231_685
; %bb.682:                              ;   in Loop: Header=BB231_678 Depth=1
	v_and_b32_e32 v6, 7, v12
	v_lshrrev_b32_e32 v8, 3, v10
	s_mov_b32 s16, exec_lo
	v_cmpx_gt_u32_e32 8, v10
; %bb.683:                              ;   in Loop: Header=BB231_678 Depth=1
	v_ffbh_u32_e32 v8, v6
	v_min_u32_e32 v8, 32, v8
	v_subrev_nc_u32_e32 v10, 28, v8
	v_sub_nc_u32_e32 v8, 29, v8
	v_lshlrev_b64 v[16:17], v10, v[6:7]
	v_and_b32_e32 v6, 7, v16
; %bb.684:                              ;   in Loop: Header=BB231_678 Depth=1
	s_or_b32 exec_lo, exec_lo, s16
	v_lshlrev_b32_e32 v10, 24, v12
	v_lshlrev_b32_e32 v6, 20, v6
	v_lshl_add_u32 v8, v8, 23, 0x3c000000
	v_and_b32_e32 v10, 0x80000000, v10
	v_or3_b32 v6, v6, v10, v8
	v_mov_b32_e32 v17, v7
	v_mov_b32_e32 v16, v6
.LBB231_685:                            ;   in Loop: Header=BB231_678 Depth=1
	s_or_b32 exec_lo, exec_lo, s15
.LBB231_686:                            ;   in Loop: Header=BB231_678 Depth=1
	s_or_b32 exec_lo, exec_lo, s13
.LBB231_687:                            ;   in Loop: Header=BB231_678 Depth=1
	s_or_b32 exec_lo, exec_lo, s4
	v_cmp_ne_u16_sdwa s13, v12, v7 src0_sel:BYTE_1 src1_sel:DWORD
	s_and_saveexec_b32 s4, s13
	s_cbranch_execz .LBB231_695
; %bb.688:                              ;   in Loop: Header=BB231_678 Depth=1
	v_mov_b32_e32 v8, v7
	v_mov_b32_e32 v19, v9
	v_cmp_ne_u16_sdwa s15, v12, v68 src0_sel:BYTE_1 src1_sel:DWORD
	v_mov_b32_e32 v18, v8
	s_and_saveexec_b32 s13, s15
	s_cbranch_execz .LBB231_694
; %bb.689:                              ;   in Loop: Header=BB231_678 Depth=1
	v_and_b32_sdwa v6, v69, v12 dst_sel:DWORD dst_unused:UNUSED_PAD src0_sel:DWORD src1_sel:BYTE_1
	v_mov_b32_e32 v10, v7
	v_mov_b32_e32 v19, v11
	s_mov_b32 s15, exec_lo
	v_and_b32_e32 v13, 0x7f, v6
	v_mov_b32_e32 v18, v10
	v_cmpx_ne_u32_e32 0x7f, v13
	s_cbranch_execz .LBB231_693
; %bb.690:                              ;   in Loop: Header=BB231_678 Depth=1
	v_and_b32_e32 v6, 7, v6
	v_lshrrev_b32_e32 v8, 3, v13
	s_mov_b32 s16, exec_lo
	v_cmpx_gt_u32_e32 8, v13
; %bb.691:                              ;   in Loop: Header=BB231_678 Depth=1
	v_ffbh_u32_e32 v8, v6
	v_min_u32_e32 v8, 32, v8
	v_subrev_nc_u32_e32 v10, 28, v8
	v_sub_nc_u32_e32 v8, 29, v8
	v_lshlrev_b64 v[18:19], v10, v[6:7]
	v_and_b32_e32 v6, 7, v18
; %bb.692:                              ;   in Loop: Header=BB231_678 Depth=1
	s_or_b32 exec_lo, exec_lo, s16
	v_lshlrev_b32_e32 v10, 16, v12
	v_lshlrev_b32_e32 v6, 20, v6
	v_lshl_add_u32 v8, v8, 23, 0x3c000000
	v_mov_b32_e32 v18, v7
	v_and_b32_e32 v10, 0x80000000, v10
	v_or3_b32 v19, v6, v10, v8
.LBB231_693:                            ;   in Loop: Header=BB231_678 Depth=1
	s_or_b32 exec_lo, exec_lo, s15
.LBB231_694:                            ;   in Loop: Header=BB231_678 Depth=1
	s_or_b32 exec_lo, exec_lo, s13
.LBB231_695:                            ;   in Loop: Header=BB231_678 Depth=1
	s_or_b32 exec_lo, exec_lo, s4
	v_mov_b32_e32 v23, 0
	v_mov_b32_e32 v21, 0
	v_and_b32_sdwa v6, v12, v70 dst_sel:DWORD dst_unused:UNUSED_PAD src0_sel:WORD_1 src1_sel:DWORD
	v_mov_b32_e32 v24, 0
	v_mov_b32_e32 v22, 0
	s_mov_b32 s4, exec_lo
	v_cmpx_ne_u16_e32 0, v6
	s_cbranch_execz .LBB231_703
; %bb.696:                              ;   in Loop: Header=BB231_678 Depth=1
	v_bfrev_b32_e32 v21, 1
	v_mov_b32_e32 v22, 0
	s_mov_b32 s13, exec_lo
	v_cmpx_ne_u16_e32 0x80, v6
	s_cbranch_execz .LBB231_702
; %bb.697:                              ;   in Loop: Header=BB231_678 Depth=1
	v_mov_b32_e32 v21, 0x7f800001
	v_bfe_u32 v10, v12, 16, 7
	v_mov_b32_e32 v22, 0
	s_mov_b32 s15, exec_lo
	v_cmpx_ne_u32_e32 0x7f, v10
	s_cbranch_execz .LBB231_701
; %bb.698:                              ;   in Loop: Header=BB231_678 Depth=1
	v_and_b32_sdwa v6, v12, v71 dst_sel:DWORD dst_unused:UNUSED_PAD src0_sel:WORD_1 src1_sel:DWORD
	v_lshrrev_b32_e32 v8, 3, v10
	s_mov_b32 s16, exec_lo
	v_cmpx_gt_u32_e32 8, v10
; %bb.699:                              ;   in Loop: Header=BB231_678 Depth=1
	v_ffbh_u32_e32 v8, v6
	v_min_u32_e32 v8, 32, v8
	v_subrev_nc_u32_e32 v10, 28, v8
	v_sub_nc_u32_e32 v8, 29, v8
	v_lshlrev_b64 v[21:22], v10, v[6:7]
	v_and_b32_e32 v6, 7, v21
; %bb.700:                              ;   in Loop: Header=BB231_678 Depth=1
	s_or_b32 exec_lo, exec_lo, s16
	v_lshlrev_b32_sdwa v10, v80, v12 dst_sel:DWORD dst_unused:UNUSED_PAD src0_sel:DWORD src1_sel:WORD_1
	v_lshlrev_b32_e32 v6, 20, v6
	v_lshl_add_u32 v8, v8, 23, 0x3c000000
	v_and_b32_e32 v10, 0x80000000, v10
	v_or3_b32 v6, v6, v10, v8
	v_mov_b32_e32 v22, v7
	v_mov_b32_e32 v21, v6
.LBB231_701:                            ;   in Loop: Header=BB231_678 Depth=1
	s_or_b32 exec_lo, exec_lo, s15
.LBB231_702:                            ;   in Loop: Header=BB231_678 Depth=1
	s_or_b32 exec_lo, exec_lo, s13
.LBB231_703:                            ;   in Loop: Header=BB231_678 Depth=1
	s_or_b32 exec_lo, exec_lo, s4
	s_mov_b32 s4, exec_lo
	v_cmpx_lt_u32_e32 0xffffff, v12
	s_cbranch_execz .LBB231_711
; %bb.704:                              ;   in Loop: Header=BB231_678 Depth=1
	v_mov_b32_e32 v8, v7
	v_mov_b32_e32 v24, v9
	v_cmp_ne_u32_sdwa s15, v12, v68 src0_sel:BYTE_3 src1_sel:DWORD
	v_mov_b32_e32 v23, v8
	s_and_saveexec_b32 s13, s15
	s_cbranch_execz .LBB231_710
; %bb.705:                              ;   in Loop: Header=BB231_678 Depth=1
	v_mov_b32_e32 v10, v7
	v_mov_b32_e32 v24, v11
	v_bfe_u32 v13, v12, 24, 7
	s_mov_b32 s15, exec_lo
	v_mov_b32_e32 v23, v10
	v_cmpx_ne_u32_e32 0x7f, v13
	s_cbranch_execz .LBB231_709
; %bb.706:                              ;   in Loop: Header=BB231_678 Depth=1
	v_and_b32_sdwa v6, v12, v71 dst_sel:DWORD dst_unused:UNUSED_PAD src0_sel:BYTE_3 src1_sel:DWORD
	v_lshrrev_b32_e32 v8, 3, v13
	s_mov_b32 s16, exec_lo
	v_cmpx_gt_u32_e32 8, v13
; %bb.707:                              ;   in Loop: Header=BB231_678 Depth=1
	v_ffbh_u32_e32 v8, v6
	v_min_u32_e32 v8, 32, v8
	v_subrev_nc_u32_e32 v10, 28, v8
	v_sub_nc_u32_e32 v8, 29, v8
	v_lshlrev_b64 v[23:24], v10, v[6:7]
	v_and_b32_e32 v6, 7, v23
; %bb.708:                              ;   in Loop: Header=BB231_678 Depth=1
	s_or_b32 exec_lo, exec_lo, s16
	v_lshlrev_b32_sdwa v10, v80, v12 dst_sel:DWORD dst_unused:UNUSED_PAD src0_sel:DWORD src1_sel:BYTE_3
	v_lshlrev_b32_e32 v6, 20, v6
	v_lshl_add_u32 v8, v8, 23, 0x3c000000
	v_mov_b32_e32 v23, v7
	v_and_b32_e32 v10, 0x80000000, v10
	v_or3_b32 v24, v6, v10, v8
.LBB231_709:                            ;   in Loop: Header=BB231_678 Depth=1
	s_or_b32 exec_lo, exec_lo, s15
.LBB231_710:                            ;   in Loop: Header=BB231_678 Depth=1
	s_or_b32 exec_lo, exec_lo, s13
.LBB231_711:                            ;   in Loop: Header=BB231_678 Depth=1
	s_or_b32 exec_lo, exec_lo, s4
	buffer_load_dword v6, off, s[0:3], s32 offset:312 ; 4-byte Folded Reload
	v_or_b32_e32 v8, v18, v16
	v_or_b32_e32 v10, v23, v21
	;; [unrolled: 1-line block ×3, first 2 shown]
	s_waitcnt vmcnt(1) lgkmcnt(1)
	v_mul_f32_e32 v87, v84, v8
	v_mul_f32_e32 v86, v84, v10
	;; [unrolled: 1-line block ×3, first 2 shown]
	s_waitcnt vmcnt(0)
	v_add_nc_u32_e32 v97, v6, v27
	v_or_b32_e32 v6, v19, v17
	s_clause 0x2
	buffer_load_dword v16, off, s[0:3], s32 offset:200
	buffer_load_dword v17, off, s[0:3], s32 offset:204
	;; [unrolled: 1-line block ×3, first 2 shown]
	v_add_nc_u32_e32 v100, 1, v97
	v_mul_f32_e32 v96, v84, v6
	v_add_nc_u32_e32 v99, 2, v97
	v_add_nc_u32_e32 v98, 3, v97
	s_waitcnt vmcnt(0)
	v_cmp_eq_u32_e32 vcc_lo, v13, v16
	s_and_saveexec_b32 s13, vcc_lo
	s_cbranch_execz .LBB231_713
; %bb.712:                              ;   in Loop: Header=BB231_678 Depth=1
	v_cmp_lt_i32_e64 s4, v97, v88
	v_cndmask_b32_e64 v87, 0, v87, s4
	v_cmp_lt_i32_e64 s4, v100, v88
	v_cndmask_b32_e64 v96, 0, v96, s4
	;; [unrolled: 2-line block ×4, first 2 shown]
.LBB231_713:                            ;   in Loop: Header=BB231_678 Depth=1
	s_or_b32 exec_lo, exec_lo, s13
	flat_load_dword v12, v[4:5] offset:128
	v_mov_b32_e32 v18, 0
	v_mov_b32_e32 v16, 0
	;; [unrolled: 1-line block ×4, first 2 shown]
	s_waitcnt vmcnt(0) lgkmcnt(0)
	v_cmp_ne_u16_sdwa s4, v12, v7 src0_sel:BYTE_0 src1_sel:DWORD
	s_and_saveexec_b32 s13, s4
	s_cbranch_execz .LBB231_721
; %bb.714:                              ;   in Loop: Header=BB231_678 Depth=1
	v_bfrev_b32_e32 v16, 1
	v_mov_b32_e32 v17, 0
	v_cmp_ne_u16_sdwa s4, v12, v68 src0_sel:BYTE_0 src1_sel:DWORD
	s_and_saveexec_b32 s15, s4
	s_cbranch_execz .LBB231_720
; %bb.715:                              ;   in Loop: Header=BB231_678 Depth=1
	v_mov_b32_e32 v16, 0x7f800001
	v_and_b32_e32 v10, 0x7f, v12
	v_mov_b32_e32 v17, 0
	s_mov_b32 s16, exec_lo
	v_cmpx_ne_u32_e32 0x7f, v10
	s_cbranch_execz .LBB231_719
; %bb.716:                              ;   in Loop: Header=BB231_678 Depth=1
	v_and_b32_e32 v6, 7, v12
	v_lshrrev_b32_e32 v8, 3, v10
	s_mov_b32 s17, exec_lo
	v_cmpx_gt_u32_e32 8, v10
; %bb.717:                              ;   in Loop: Header=BB231_678 Depth=1
	v_ffbh_u32_e32 v8, v6
	v_min_u32_e32 v8, 32, v8
	v_subrev_nc_u32_e32 v10, 28, v8
	v_sub_nc_u32_e32 v8, 29, v8
	v_lshlrev_b64 v[16:17], v10, v[6:7]
	v_and_b32_e32 v6, 7, v16
; %bb.718:                              ;   in Loop: Header=BB231_678 Depth=1
	s_or_b32 exec_lo, exec_lo, s17
	v_lshlrev_b32_e32 v10, 24, v12
	v_lshlrev_b32_e32 v6, 20, v6
	v_lshl_add_u32 v8, v8, 23, 0x3c000000
	v_and_b32_e32 v10, 0x80000000, v10
	v_or3_b32 v6, v6, v10, v8
	v_mov_b32_e32 v17, v7
	v_mov_b32_e32 v16, v6
.LBB231_719:                            ;   in Loop: Header=BB231_678 Depth=1
	s_or_b32 exec_lo, exec_lo, s16
.LBB231_720:                            ;   in Loop: Header=BB231_678 Depth=1
	s_or_b32 exec_lo, exec_lo, s15
.LBB231_721:                            ;   in Loop: Header=BB231_678 Depth=1
	s_or_b32 exec_lo, exec_lo, s13
	v_cmp_ne_u16_sdwa s4, v12, v7 src0_sel:BYTE_1 src1_sel:DWORD
	s_and_saveexec_b32 s13, s4
	s_cbranch_execz .LBB231_729
; %bb.722:                              ;   in Loop: Header=BB231_678 Depth=1
	v_mov_b32_e32 v8, v7
	v_mov_b32_e32 v19, v9
	v_cmp_ne_u16_sdwa s4, v12, v68 src0_sel:BYTE_1 src1_sel:DWORD
	v_mov_b32_e32 v18, v8
	s_and_saveexec_b32 s15, s4
	s_cbranch_execz .LBB231_728
; %bb.723:                              ;   in Loop: Header=BB231_678 Depth=1
	v_and_b32_sdwa v6, v69, v12 dst_sel:DWORD dst_unused:UNUSED_PAD src0_sel:DWORD src1_sel:BYTE_1
	v_mov_b32_e32 v10, v7
	v_mov_b32_e32 v19, v11
	s_mov_b32 s16, exec_lo
	v_and_b32_e32 v13, 0x7f, v6
	v_mov_b32_e32 v18, v10
	v_cmpx_ne_u32_e32 0x7f, v13
	s_cbranch_execz .LBB231_727
; %bb.724:                              ;   in Loop: Header=BB231_678 Depth=1
	v_and_b32_e32 v6, 7, v6
	v_lshrrev_b32_e32 v8, 3, v13
	s_mov_b32 s17, exec_lo
	v_cmpx_gt_u32_e32 8, v13
; %bb.725:                              ;   in Loop: Header=BB231_678 Depth=1
	v_ffbh_u32_e32 v8, v6
	v_min_u32_e32 v8, 32, v8
	v_subrev_nc_u32_e32 v10, 28, v8
	v_sub_nc_u32_e32 v8, 29, v8
	v_lshlrev_b64 v[18:19], v10, v[6:7]
	v_and_b32_e32 v6, 7, v18
; %bb.726:                              ;   in Loop: Header=BB231_678 Depth=1
	s_or_b32 exec_lo, exec_lo, s17
	v_lshlrev_b32_e32 v10, 16, v12
	v_lshlrev_b32_e32 v6, 20, v6
	v_lshl_add_u32 v8, v8, 23, 0x3c000000
	v_mov_b32_e32 v18, v7
	v_and_b32_e32 v10, 0x80000000, v10
	v_or3_b32 v19, v6, v10, v8
.LBB231_727:                            ;   in Loop: Header=BB231_678 Depth=1
	s_or_b32 exec_lo, exec_lo, s16
.LBB231_728:                            ;   in Loop: Header=BB231_678 Depth=1
	s_or_b32 exec_lo, exec_lo, s15
.LBB231_729:                            ;   in Loop: Header=BB231_678 Depth=1
	s_or_b32 exec_lo, exec_lo, s13
	v_mov_b32_e32 v23, 0
	v_mov_b32_e32 v21, 0
	v_and_b32_sdwa v6, v12, v70 dst_sel:DWORD dst_unused:UNUSED_PAD src0_sel:WORD_1 src1_sel:DWORD
	v_mov_b32_e32 v24, 0
	v_mov_b32_e32 v22, 0
	s_mov_b32 s13, exec_lo
	v_cmpx_ne_u16_e32 0, v6
	s_cbranch_execz .LBB231_737
; %bb.730:                              ;   in Loop: Header=BB231_678 Depth=1
	v_bfrev_b32_e32 v21, 1
	v_mov_b32_e32 v22, 0
	s_mov_b32 s15, exec_lo
	v_cmpx_ne_u16_e32 0x80, v6
	s_cbranch_execz .LBB231_736
; %bb.731:                              ;   in Loop: Header=BB231_678 Depth=1
	v_mov_b32_e32 v21, 0x7f800001
	v_bfe_u32 v10, v12, 16, 7
	v_mov_b32_e32 v22, 0
	s_mov_b32 s16, exec_lo
	v_cmpx_ne_u32_e32 0x7f, v10
	s_cbranch_execz .LBB231_735
; %bb.732:                              ;   in Loop: Header=BB231_678 Depth=1
	v_and_b32_sdwa v6, v12, v71 dst_sel:DWORD dst_unused:UNUSED_PAD src0_sel:WORD_1 src1_sel:DWORD
	v_lshrrev_b32_e32 v8, 3, v10
	s_mov_b32 s17, exec_lo
	v_cmpx_gt_u32_e32 8, v10
; %bb.733:                              ;   in Loop: Header=BB231_678 Depth=1
	v_ffbh_u32_e32 v8, v6
	v_min_u32_e32 v8, 32, v8
	v_subrev_nc_u32_e32 v10, 28, v8
	v_sub_nc_u32_e32 v8, 29, v8
	v_lshlrev_b64 v[21:22], v10, v[6:7]
	v_and_b32_e32 v6, 7, v21
; %bb.734:                              ;   in Loop: Header=BB231_678 Depth=1
	s_or_b32 exec_lo, exec_lo, s17
	v_lshlrev_b32_sdwa v10, v80, v12 dst_sel:DWORD dst_unused:UNUSED_PAD src0_sel:DWORD src1_sel:WORD_1
	v_lshlrev_b32_e32 v6, 20, v6
	v_lshl_add_u32 v8, v8, 23, 0x3c000000
	v_and_b32_e32 v10, 0x80000000, v10
	v_or3_b32 v6, v6, v10, v8
	v_mov_b32_e32 v22, v7
	v_mov_b32_e32 v21, v6
.LBB231_735:                            ;   in Loop: Header=BB231_678 Depth=1
	s_or_b32 exec_lo, exec_lo, s16
.LBB231_736:                            ;   in Loop: Header=BB231_678 Depth=1
	s_or_b32 exec_lo, exec_lo, s15
.LBB231_737:                            ;   in Loop: Header=BB231_678 Depth=1
	s_or_b32 exec_lo, exec_lo, s13
	s_mov_b32 s13, exec_lo
	v_cmpx_lt_u32_e32 0xffffff, v12
	s_cbranch_execz .LBB231_745
; %bb.738:                              ;   in Loop: Header=BB231_678 Depth=1
	v_mov_b32_e32 v8, v7
	v_mov_b32_e32 v24, v9
	v_cmp_ne_u32_sdwa s4, v12, v68 src0_sel:BYTE_3 src1_sel:DWORD
	v_mov_b32_e32 v23, v8
	s_and_saveexec_b32 s15, s4
	s_cbranch_execz .LBB231_744
; %bb.739:                              ;   in Loop: Header=BB231_678 Depth=1
	v_mov_b32_e32 v10, v7
	v_mov_b32_e32 v24, v11
	v_bfe_u32 v13, v12, 24, 7
	s_mov_b32 s16, exec_lo
	v_mov_b32_e32 v23, v10
	v_cmpx_ne_u32_e32 0x7f, v13
	s_cbranch_execz .LBB231_743
; %bb.740:                              ;   in Loop: Header=BB231_678 Depth=1
	v_and_b32_sdwa v6, v12, v71 dst_sel:DWORD dst_unused:UNUSED_PAD src0_sel:BYTE_3 src1_sel:DWORD
	v_lshrrev_b32_e32 v8, 3, v13
	s_mov_b32 s17, exec_lo
	v_cmpx_gt_u32_e32 8, v13
; %bb.741:                              ;   in Loop: Header=BB231_678 Depth=1
	v_ffbh_u32_e32 v8, v6
	v_min_u32_e32 v8, 32, v8
	v_subrev_nc_u32_e32 v10, 28, v8
	v_sub_nc_u32_e32 v8, 29, v8
	v_lshlrev_b64 v[23:24], v10, v[6:7]
	v_and_b32_e32 v6, 7, v23
; %bb.742:                              ;   in Loop: Header=BB231_678 Depth=1
	s_or_b32 exec_lo, exec_lo, s17
	v_lshlrev_b32_sdwa v10, v80, v12 dst_sel:DWORD dst_unused:UNUSED_PAD src0_sel:DWORD src1_sel:BYTE_3
	v_lshlrev_b32_e32 v6, 20, v6
	v_lshl_add_u32 v8, v8, 23, 0x3c000000
	v_mov_b32_e32 v23, v7
	v_and_b32_e32 v10, 0x80000000, v10
	v_or3_b32 v24, v6, v10, v8
.LBB231_743:                            ;   in Loop: Header=BB231_678 Depth=1
	s_or_b32 exec_lo, exec_lo, s16
.LBB231_744:                            ;   in Loop: Header=BB231_678 Depth=1
	s_or_b32 exec_lo, exec_lo, s15
.LBB231_745:                            ;   in Loop: Header=BB231_678 Depth=1
	s_or_b32 exec_lo, exec_lo, s13
	v_or_b32_e32 v6, v19, v17
	v_or_b32_e32 v8, v18, v16
	;; [unrolled: 1-line block ×4, first 2 shown]
	v_mul_f32_e32 v112, v84, v6
	v_mul_f32_e32 v103, v84, v8
	;; [unrolled: 1-line block ×4, first 2 shown]
	s_and_saveexec_b32 s13, vcc_lo
	s_cbranch_execz .LBB231_747
; %bb.746:                              ;   in Loop: Header=BB231_678 Depth=1
	v_cmp_lt_i32_e64 s4, v97, v88
	v_cndmask_b32_e64 v103, 0, v103, s4
	v_cmp_lt_i32_e64 s4, v100, v88
	v_cndmask_b32_e64 v112, 0, v112, s4
	;; [unrolled: 2-line block ×4, first 2 shown]
.LBB231_747:                            ;   in Loop: Header=BB231_678 Depth=1
	s_or_b32 exec_lo, exec_lo, s13
	flat_load_dword v12, v[4:5] offset:256
	v_mov_b32_e32 v18, 0
	v_mov_b32_e32 v16, 0
	;; [unrolled: 1-line block ×4, first 2 shown]
	s_waitcnt vmcnt(0) lgkmcnt(0)
	v_cmp_ne_u16_sdwa s4, v12, v7 src0_sel:BYTE_0 src1_sel:DWORD
	s_and_saveexec_b32 s13, s4
	s_cbranch_execz .LBB231_755
; %bb.748:                              ;   in Loop: Header=BB231_678 Depth=1
	v_bfrev_b32_e32 v16, 1
	v_mov_b32_e32 v17, 0
	v_cmp_ne_u16_sdwa s4, v12, v68 src0_sel:BYTE_0 src1_sel:DWORD
	s_and_saveexec_b32 s15, s4
	s_cbranch_execz .LBB231_754
; %bb.749:                              ;   in Loop: Header=BB231_678 Depth=1
	v_mov_b32_e32 v16, 0x7f800001
	v_and_b32_e32 v10, 0x7f, v12
	v_mov_b32_e32 v17, 0
	s_mov_b32 s16, exec_lo
	v_cmpx_ne_u32_e32 0x7f, v10
	s_cbranch_execz .LBB231_753
; %bb.750:                              ;   in Loop: Header=BB231_678 Depth=1
	v_and_b32_e32 v6, 7, v12
	v_lshrrev_b32_e32 v8, 3, v10
	s_mov_b32 s17, exec_lo
	v_cmpx_gt_u32_e32 8, v10
; %bb.751:                              ;   in Loop: Header=BB231_678 Depth=1
	v_ffbh_u32_e32 v8, v6
	v_min_u32_e32 v8, 32, v8
	v_subrev_nc_u32_e32 v10, 28, v8
	v_sub_nc_u32_e32 v8, 29, v8
	v_lshlrev_b64 v[16:17], v10, v[6:7]
	v_and_b32_e32 v6, 7, v16
; %bb.752:                              ;   in Loop: Header=BB231_678 Depth=1
	s_or_b32 exec_lo, exec_lo, s17
	v_lshlrev_b32_e32 v10, 24, v12
	v_lshlrev_b32_e32 v6, 20, v6
	v_lshl_add_u32 v8, v8, 23, 0x3c000000
	v_and_b32_e32 v10, 0x80000000, v10
	v_or3_b32 v6, v6, v10, v8
	v_mov_b32_e32 v17, v7
	v_mov_b32_e32 v16, v6
.LBB231_753:                            ;   in Loop: Header=BB231_678 Depth=1
	s_or_b32 exec_lo, exec_lo, s16
.LBB231_754:                            ;   in Loop: Header=BB231_678 Depth=1
	s_or_b32 exec_lo, exec_lo, s15
.LBB231_755:                            ;   in Loop: Header=BB231_678 Depth=1
	s_or_b32 exec_lo, exec_lo, s13
	v_cmp_ne_u16_sdwa s4, v12, v7 src0_sel:BYTE_1 src1_sel:DWORD
	s_and_saveexec_b32 s13, s4
	s_cbranch_execz .LBB231_763
; %bb.756:                              ;   in Loop: Header=BB231_678 Depth=1
	v_mov_b32_e32 v8, v7
	v_mov_b32_e32 v19, v9
	v_cmp_ne_u16_sdwa s4, v12, v68 src0_sel:BYTE_1 src1_sel:DWORD
	v_mov_b32_e32 v18, v8
	s_and_saveexec_b32 s15, s4
	s_cbranch_execz .LBB231_762
; %bb.757:                              ;   in Loop: Header=BB231_678 Depth=1
	v_and_b32_sdwa v6, v69, v12 dst_sel:DWORD dst_unused:UNUSED_PAD src0_sel:DWORD src1_sel:BYTE_1
	v_mov_b32_e32 v10, v7
	v_mov_b32_e32 v19, v11
	s_mov_b32 s16, exec_lo
	v_and_b32_e32 v13, 0x7f, v6
	v_mov_b32_e32 v18, v10
	v_cmpx_ne_u32_e32 0x7f, v13
	s_cbranch_execz .LBB231_761
; %bb.758:                              ;   in Loop: Header=BB231_678 Depth=1
	v_and_b32_e32 v6, 7, v6
	v_lshrrev_b32_e32 v8, 3, v13
	s_mov_b32 s17, exec_lo
	v_cmpx_gt_u32_e32 8, v13
; %bb.759:                              ;   in Loop: Header=BB231_678 Depth=1
	v_ffbh_u32_e32 v8, v6
	v_min_u32_e32 v8, 32, v8
	v_subrev_nc_u32_e32 v10, 28, v8
	v_sub_nc_u32_e32 v8, 29, v8
	v_lshlrev_b64 v[18:19], v10, v[6:7]
	v_and_b32_e32 v6, 7, v18
; %bb.760:                              ;   in Loop: Header=BB231_678 Depth=1
	s_or_b32 exec_lo, exec_lo, s17
	v_lshlrev_b32_e32 v10, 16, v12
	v_lshlrev_b32_e32 v6, 20, v6
	v_lshl_add_u32 v8, v8, 23, 0x3c000000
	v_mov_b32_e32 v18, v7
	v_and_b32_e32 v10, 0x80000000, v10
	v_or3_b32 v19, v6, v10, v8
.LBB231_761:                            ;   in Loop: Header=BB231_678 Depth=1
	s_or_b32 exec_lo, exec_lo, s16
.LBB231_762:                            ;   in Loop: Header=BB231_678 Depth=1
	s_or_b32 exec_lo, exec_lo, s15
.LBB231_763:                            ;   in Loop: Header=BB231_678 Depth=1
	s_or_b32 exec_lo, exec_lo, s13
	v_mov_b32_e32 v23, 0
	v_mov_b32_e32 v21, 0
	v_and_b32_sdwa v6, v12, v70 dst_sel:DWORD dst_unused:UNUSED_PAD src0_sel:WORD_1 src1_sel:DWORD
	v_mov_b32_e32 v24, 0
	v_mov_b32_e32 v22, 0
	s_mov_b32 s13, exec_lo
	v_cmpx_ne_u16_e32 0, v6
	s_cbranch_execz .LBB231_771
; %bb.764:                              ;   in Loop: Header=BB231_678 Depth=1
	v_bfrev_b32_e32 v21, 1
	v_mov_b32_e32 v22, 0
	s_mov_b32 s15, exec_lo
	v_cmpx_ne_u16_e32 0x80, v6
	s_cbranch_execz .LBB231_770
; %bb.765:                              ;   in Loop: Header=BB231_678 Depth=1
	v_mov_b32_e32 v21, 0x7f800001
	v_bfe_u32 v10, v12, 16, 7
	v_mov_b32_e32 v22, 0
	s_mov_b32 s16, exec_lo
	v_cmpx_ne_u32_e32 0x7f, v10
	s_cbranch_execz .LBB231_769
; %bb.766:                              ;   in Loop: Header=BB231_678 Depth=1
	v_and_b32_sdwa v6, v12, v71 dst_sel:DWORD dst_unused:UNUSED_PAD src0_sel:WORD_1 src1_sel:DWORD
	v_lshrrev_b32_e32 v8, 3, v10
	s_mov_b32 s17, exec_lo
	v_cmpx_gt_u32_e32 8, v10
; %bb.767:                              ;   in Loop: Header=BB231_678 Depth=1
	v_ffbh_u32_e32 v8, v6
	v_min_u32_e32 v8, 32, v8
	v_subrev_nc_u32_e32 v10, 28, v8
	v_sub_nc_u32_e32 v8, 29, v8
	v_lshlrev_b64 v[21:22], v10, v[6:7]
	v_and_b32_e32 v6, 7, v21
; %bb.768:                              ;   in Loop: Header=BB231_678 Depth=1
	s_or_b32 exec_lo, exec_lo, s17
	v_lshlrev_b32_sdwa v10, v80, v12 dst_sel:DWORD dst_unused:UNUSED_PAD src0_sel:DWORD src1_sel:WORD_1
	v_lshlrev_b32_e32 v6, 20, v6
	v_lshl_add_u32 v8, v8, 23, 0x3c000000
	v_and_b32_e32 v10, 0x80000000, v10
	v_or3_b32 v6, v6, v10, v8
	v_mov_b32_e32 v22, v7
	v_mov_b32_e32 v21, v6
.LBB231_769:                            ;   in Loop: Header=BB231_678 Depth=1
	s_or_b32 exec_lo, exec_lo, s16
.LBB231_770:                            ;   in Loop: Header=BB231_678 Depth=1
	s_or_b32 exec_lo, exec_lo, s15
.LBB231_771:                            ;   in Loop: Header=BB231_678 Depth=1
	s_or_b32 exec_lo, exec_lo, s13
	s_mov_b32 s13, exec_lo
	v_cmpx_lt_u32_e32 0xffffff, v12
	s_cbranch_execz .LBB231_779
; %bb.772:                              ;   in Loop: Header=BB231_678 Depth=1
	v_mov_b32_e32 v8, v7
	v_mov_b32_e32 v24, v9
	v_cmp_ne_u32_sdwa s4, v12, v68 src0_sel:BYTE_3 src1_sel:DWORD
	v_mov_b32_e32 v23, v8
	s_and_saveexec_b32 s15, s4
	s_cbranch_execz .LBB231_778
; %bb.773:                              ;   in Loop: Header=BB231_678 Depth=1
	v_mov_b32_e32 v10, v7
	v_mov_b32_e32 v24, v11
	v_bfe_u32 v13, v12, 24, 7
	s_mov_b32 s16, exec_lo
	v_mov_b32_e32 v23, v10
	v_cmpx_ne_u32_e32 0x7f, v13
	s_cbranch_execz .LBB231_777
; %bb.774:                              ;   in Loop: Header=BB231_678 Depth=1
	v_and_b32_sdwa v6, v12, v71 dst_sel:DWORD dst_unused:UNUSED_PAD src0_sel:BYTE_3 src1_sel:DWORD
	v_lshrrev_b32_e32 v8, 3, v13
	s_mov_b32 s17, exec_lo
	v_cmpx_gt_u32_e32 8, v13
; %bb.775:                              ;   in Loop: Header=BB231_678 Depth=1
	v_ffbh_u32_e32 v8, v6
	v_min_u32_e32 v8, 32, v8
	v_subrev_nc_u32_e32 v10, 28, v8
	v_sub_nc_u32_e32 v8, 29, v8
	v_lshlrev_b64 v[23:24], v10, v[6:7]
	v_and_b32_e32 v6, 7, v23
; %bb.776:                              ;   in Loop: Header=BB231_678 Depth=1
	s_or_b32 exec_lo, exec_lo, s17
	v_lshlrev_b32_sdwa v10, v80, v12 dst_sel:DWORD dst_unused:UNUSED_PAD src0_sel:DWORD src1_sel:BYTE_3
	v_lshlrev_b32_e32 v6, 20, v6
	v_lshl_add_u32 v8, v8, 23, 0x3c000000
	v_mov_b32_e32 v23, v7
	v_and_b32_e32 v10, 0x80000000, v10
	v_or3_b32 v24, v6, v10, v8
.LBB231_777:                            ;   in Loop: Header=BB231_678 Depth=1
	s_or_b32 exec_lo, exec_lo, s16
.LBB231_778:                            ;   in Loop: Header=BB231_678 Depth=1
	s_or_b32 exec_lo, exec_lo, s15
.LBB231_779:                            ;   in Loop: Header=BB231_678 Depth=1
	s_or_b32 exec_lo, exec_lo, s13
	v_or_b32_e32 v6, v19, v17
	v_or_b32_e32 v8, v18, v16
	;; [unrolled: 1-line block ×4, first 2 shown]
	v_mul_f32_e32 v116, v84, v6
	v_mul_f32_e32 v115, v84, v8
	;; [unrolled: 1-line block ×4, first 2 shown]
	s_and_saveexec_b32 s13, vcc_lo
	s_cbranch_execz .LBB231_781
; %bb.780:                              ;   in Loop: Header=BB231_678 Depth=1
	v_cmp_lt_i32_e64 s4, v97, v88
	v_cndmask_b32_e64 v115, 0, v115, s4
	v_cmp_lt_i32_e64 s4, v100, v88
	v_cndmask_b32_e64 v116, 0, v116, s4
	;; [unrolled: 2-line block ×4, first 2 shown]
.LBB231_781:                            ;   in Loop: Header=BB231_678 Depth=1
	s_or_b32 exec_lo, exec_lo, s13
	flat_load_dword v12, v[4:5] offset:384
	v_mov_b32_e32 v18, 0
	v_mov_b32_e32 v16, 0
	v_mov_b32_e32 v19, 0
	v_mov_b32_e32 v17, 0
	s_waitcnt vmcnt(0) lgkmcnt(0)
	v_cmp_ne_u16_sdwa s4, v12, v7 src0_sel:BYTE_0 src1_sel:DWORD
	s_and_saveexec_b32 s13, s4
	s_cbranch_execz .LBB231_789
; %bb.782:                              ;   in Loop: Header=BB231_678 Depth=1
	v_bfrev_b32_e32 v16, 1
	v_mov_b32_e32 v17, 0
	v_cmp_ne_u16_sdwa s4, v12, v68 src0_sel:BYTE_0 src1_sel:DWORD
	s_and_saveexec_b32 s15, s4
	s_cbranch_execz .LBB231_788
; %bb.783:                              ;   in Loop: Header=BB231_678 Depth=1
	v_mov_b32_e32 v16, 0x7f800001
	v_and_b32_e32 v10, 0x7f, v12
	v_mov_b32_e32 v17, 0
	s_mov_b32 s16, exec_lo
	v_cmpx_ne_u32_e32 0x7f, v10
	s_cbranch_execz .LBB231_787
; %bb.784:                              ;   in Loop: Header=BB231_678 Depth=1
	v_and_b32_e32 v6, 7, v12
	v_lshrrev_b32_e32 v8, 3, v10
	s_mov_b32 s17, exec_lo
	v_cmpx_gt_u32_e32 8, v10
; %bb.785:                              ;   in Loop: Header=BB231_678 Depth=1
	v_ffbh_u32_e32 v8, v6
	v_min_u32_e32 v8, 32, v8
	v_subrev_nc_u32_e32 v10, 28, v8
	v_sub_nc_u32_e32 v8, 29, v8
	v_lshlrev_b64 v[16:17], v10, v[6:7]
	v_and_b32_e32 v6, 7, v16
; %bb.786:                              ;   in Loop: Header=BB231_678 Depth=1
	s_or_b32 exec_lo, exec_lo, s17
	v_lshlrev_b32_e32 v10, 24, v12
	v_lshlrev_b32_e32 v6, 20, v6
	v_lshl_add_u32 v8, v8, 23, 0x3c000000
	v_and_b32_e32 v10, 0x80000000, v10
	v_or3_b32 v6, v6, v10, v8
	v_mov_b32_e32 v17, v7
	v_mov_b32_e32 v16, v6
.LBB231_787:                            ;   in Loop: Header=BB231_678 Depth=1
	s_or_b32 exec_lo, exec_lo, s16
.LBB231_788:                            ;   in Loop: Header=BB231_678 Depth=1
	s_or_b32 exec_lo, exec_lo, s15
.LBB231_789:                            ;   in Loop: Header=BB231_678 Depth=1
	s_or_b32 exec_lo, exec_lo, s13
	v_cmp_ne_u16_sdwa s4, v12, v7 src0_sel:BYTE_1 src1_sel:DWORD
	s_and_saveexec_b32 s13, s4
	s_cbranch_execz .LBB231_797
; %bb.790:                              ;   in Loop: Header=BB231_678 Depth=1
	v_mov_b32_e32 v8, v7
	v_mov_b32_e32 v19, v9
	v_cmp_ne_u16_sdwa s4, v12, v68 src0_sel:BYTE_1 src1_sel:DWORD
	v_mov_b32_e32 v18, v8
	s_and_saveexec_b32 s15, s4
	s_cbranch_execz .LBB231_796
; %bb.791:                              ;   in Loop: Header=BB231_678 Depth=1
	v_and_b32_sdwa v6, v69, v12 dst_sel:DWORD dst_unused:UNUSED_PAD src0_sel:DWORD src1_sel:BYTE_1
	v_mov_b32_e32 v10, v7
	v_mov_b32_e32 v19, v11
	s_mov_b32 s16, exec_lo
	v_and_b32_e32 v13, 0x7f, v6
	v_mov_b32_e32 v18, v10
	v_cmpx_ne_u32_e32 0x7f, v13
	s_cbranch_execz .LBB231_795
; %bb.792:                              ;   in Loop: Header=BB231_678 Depth=1
	v_and_b32_e32 v6, 7, v6
	v_lshrrev_b32_e32 v8, 3, v13
	s_mov_b32 s17, exec_lo
	v_cmpx_gt_u32_e32 8, v13
; %bb.793:                              ;   in Loop: Header=BB231_678 Depth=1
	v_ffbh_u32_e32 v8, v6
	v_min_u32_e32 v8, 32, v8
	v_subrev_nc_u32_e32 v10, 28, v8
	v_sub_nc_u32_e32 v8, 29, v8
	v_lshlrev_b64 v[18:19], v10, v[6:7]
	v_and_b32_e32 v6, 7, v18
; %bb.794:                              ;   in Loop: Header=BB231_678 Depth=1
	s_or_b32 exec_lo, exec_lo, s17
	v_lshlrev_b32_e32 v10, 16, v12
	v_lshlrev_b32_e32 v6, 20, v6
	v_lshl_add_u32 v8, v8, 23, 0x3c000000
	v_mov_b32_e32 v18, v7
	v_and_b32_e32 v10, 0x80000000, v10
	v_or3_b32 v19, v6, v10, v8
.LBB231_795:                            ;   in Loop: Header=BB231_678 Depth=1
	s_or_b32 exec_lo, exec_lo, s16
.LBB231_796:                            ;   in Loop: Header=BB231_678 Depth=1
	s_or_b32 exec_lo, exec_lo, s15
.LBB231_797:                            ;   in Loop: Header=BB231_678 Depth=1
	s_or_b32 exec_lo, exec_lo, s13
	v_mov_b32_e32 v23, 0
	v_mov_b32_e32 v21, 0
	v_and_b32_sdwa v6, v12, v70 dst_sel:DWORD dst_unused:UNUSED_PAD src0_sel:WORD_1 src1_sel:DWORD
	v_mov_b32_e32 v24, 0
	v_mov_b32_e32 v22, 0
	s_mov_b32 s13, exec_lo
	v_cmpx_ne_u16_e32 0, v6
	s_cbranch_execz .LBB231_805
; %bb.798:                              ;   in Loop: Header=BB231_678 Depth=1
	v_bfrev_b32_e32 v21, 1
	v_mov_b32_e32 v22, 0
	s_mov_b32 s15, exec_lo
	v_cmpx_ne_u16_e32 0x80, v6
	s_cbranch_execz .LBB231_804
; %bb.799:                              ;   in Loop: Header=BB231_678 Depth=1
	v_mov_b32_e32 v21, 0x7f800001
	v_bfe_u32 v10, v12, 16, 7
	v_mov_b32_e32 v22, 0
	s_mov_b32 s16, exec_lo
	v_cmpx_ne_u32_e32 0x7f, v10
	s_cbranch_execz .LBB231_803
; %bb.800:                              ;   in Loop: Header=BB231_678 Depth=1
	v_and_b32_sdwa v6, v12, v71 dst_sel:DWORD dst_unused:UNUSED_PAD src0_sel:WORD_1 src1_sel:DWORD
	v_lshrrev_b32_e32 v8, 3, v10
	s_mov_b32 s17, exec_lo
	v_cmpx_gt_u32_e32 8, v10
; %bb.801:                              ;   in Loop: Header=BB231_678 Depth=1
	v_ffbh_u32_e32 v8, v6
	v_min_u32_e32 v8, 32, v8
	v_subrev_nc_u32_e32 v10, 28, v8
	v_sub_nc_u32_e32 v8, 29, v8
	v_lshlrev_b64 v[21:22], v10, v[6:7]
	v_and_b32_e32 v6, 7, v21
; %bb.802:                              ;   in Loop: Header=BB231_678 Depth=1
	s_or_b32 exec_lo, exec_lo, s17
	v_lshlrev_b32_sdwa v10, v80, v12 dst_sel:DWORD dst_unused:UNUSED_PAD src0_sel:DWORD src1_sel:WORD_1
	v_lshlrev_b32_e32 v6, 20, v6
	v_lshl_add_u32 v8, v8, 23, 0x3c000000
	v_and_b32_e32 v10, 0x80000000, v10
	v_or3_b32 v6, v6, v10, v8
	v_mov_b32_e32 v22, v7
	v_mov_b32_e32 v21, v6
.LBB231_803:                            ;   in Loop: Header=BB231_678 Depth=1
	s_or_b32 exec_lo, exec_lo, s16
.LBB231_804:                            ;   in Loop: Header=BB231_678 Depth=1
	s_or_b32 exec_lo, exec_lo, s15
.LBB231_805:                            ;   in Loop: Header=BB231_678 Depth=1
	s_or_b32 exec_lo, exec_lo, s13
	s_mov_b32 s13, exec_lo
	v_cmpx_lt_u32_e32 0xffffff, v12
	s_cbranch_execz .LBB231_813
; %bb.806:                              ;   in Loop: Header=BB231_678 Depth=1
	v_mov_b32_e32 v8, v7
	v_mov_b32_e32 v24, v9
	v_cmp_ne_u32_sdwa s4, v12, v68 src0_sel:BYTE_3 src1_sel:DWORD
	v_mov_b32_e32 v23, v8
	s_and_saveexec_b32 s15, s4
	s_cbranch_execz .LBB231_812
; %bb.807:                              ;   in Loop: Header=BB231_678 Depth=1
	v_mov_b32_e32 v10, v7
	v_mov_b32_e32 v24, v11
	v_bfe_u32 v13, v12, 24, 7
	s_mov_b32 s16, exec_lo
	v_mov_b32_e32 v23, v10
	v_cmpx_ne_u32_e32 0x7f, v13
	s_cbranch_execz .LBB231_811
; %bb.808:                              ;   in Loop: Header=BB231_678 Depth=1
	v_and_b32_sdwa v6, v12, v71 dst_sel:DWORD dst_unused:UNUSED_PAD src0_sel:BYTE_3 src1_sel:DWORD
	v_lshrrev_b32_e32 v8, 3, v13
	s_mov_b32 s17, exec_lo
	v_cmpx_gt_u32_e32 8, v13
; %bb.809:                              ;   in Loop: Header=BB231_678 Depth=1
	v_ffbh_u32_e32 v8, v6
	v_min_u32_e32 v8, 32, v8
	v_subrev_nc_u32_e32 v10, 28, v8
	v_sub_nc_u32_e32 v8, 29, v8
	v_lshlrev_b64 v[23:24], v10, v[6:7]
	v_and_b32_e32 v6, 7, v23
; %bb.810:                              ;   in Loop: Header=BB231_678 Depth=1
	s_or_b32 exec_lo, exec_lo, s17
	v_lshlrev_b32_sdwa v10, v80, v12 dst_sel:DWORD dst_unused:UNUSED_PAD src0_sel:DWORD src1_sel:BYTE_3
	v_lshlrev_b32_e32 v6, 20, v6
	v_lshl_add_u32 v8, v8, 23, 0x3c000000
	v_mov_b32_e32 v23, v7
	v_and_b32_e32 v10, 0x80000000, v10
	v_or3_b32 v24, v6, v10, v8
.LBB231_811:                            ;   in Loop: Header=BB231_678 Depth=1
	s_or_b32 exec_lo, exec_lo, s16
.LBB231_812:                            ;   in Loop: Header=BB231_678 Depth=1
	s_or_b32 exec_lo, exec_lo, s15
.LBB231_813:                            ;   in Loop: Header=BB231_678 Depth=1
	s_or_b32 exec_lo, exec_lo, s13
	v_or_b32_e32 v6, v19, v17
	v_or_b32_e32 v8, v18, v16
	;; [unrolled: 1-line block ×4, first 2 shown]
	v_mul_f32_e32 v40, v84, v6
	v_mul_f32_e32 v119, v84, v8
	;; [unrolled: 1-line block ×4, first 2 shown]
	s_and_saveexec_b32 s13, vcc_lo
	s_cbranch_execz .LBB231_815
; %bb.814:                              ;   in Loop: Header=BB231_678 Depth=1
	v_cmp_lt_i32_e64 s4, v97, v88
	v_cndmask_b32_e64 v119, 0, v119, s4
	v_cmp_lt_i32_e64 s4, v100, v88
	v_cndmask_b32_e64 v40, 0, v40, s4
	;; [unrolled: 2-line block ×4, first 2 shown]
.LBB231_815:                            ;   in Loop: Header=BB231_678 Depth=1
	s_or_b32 exec_lo, exec_lo, s13
	flat_load_dword v12, v[4:5] offset:512
	v_mov_b32_e32 v18, 0
	v_mov_b32_e32 v16, 0
	;; [unrolled: 1-line block ×4, first 2 shown]
	s_waitcnt vmcnt(0) lgkmcnt(0)
	v_cmp_ne_u16_sdwa s4, v12, v7 src0_sel:BYTE_0 src1_sel:DWORD
	s_and_saveexec_b32 s13, s4
	s_cbranch_execz .LBB231_823
; %bb.816:                              ;   in Loop: Header=BB231_678 Depth=1
	v_bfrev_b32_e32 v16, 1
	v_mov_b32_e32 v17, 0
	v_cmp_ne_u16_sdwa s4, v12, v68 src0_sel:BYTE_0 src1_sel:DWORD
	s_and_saveexec_b32 s15, s4
	s_cbranch_execz .LBB231_822
; %bb.817:                              ;   in Loop: Header=BB231_678 Depth=1
	v_mov_b32_e32 v16, 0x7f800001
	v_and_b32_e32 v10, 0x7f, v12
	v_mov_b32_e32 v17, 0
	s_mov_b32 s16, exec_lo
	v_cmpx_ne_u32_e32 0x7f, v10
	s_cbranch_execz .LBB231_821
; %bb.818:                              ;   in Loop: Header=BB231_678 Depth=1
	v_and_b32_e32 v6, 7, v12
	v_lshrrev_b32_e32 v8, 3, v10
	s_mov_b32 s17, exec_lo
	v_cmpx_gt_u32_e32 8, v10
; %bb.819:                              ;   in Loop: Header=BB231_678 Depth=1
	v_ffbh_u32_e32 v8, v6
	v_min_u32_e32 v8, 32, v8
	v_subrev_nc_u32_e32 v10, 28, v8
	v_sub_nc_u32_e32 v8, 29, v8
	v_lshlrev_b64 v[16:17], v10, v[6:7]
	v_and_b32_e32 v6, 7, v16
; %bb.820:                              ;   in Loop: Header=BB231_678 Depth=1
	s_or_b32 exec_lo, exec_lo, s17
	v_lshlrev_b32_e32 v10, 24, v12
	v_lshlrev_b32_e32 v6, 20, v6
	v_lshl_add_u32 v8, v8, 23, 0x3c000000
	v_and_b32_e32 v10, 0x80000000, v10
	v_or3_b32 v6, v6, v10, v8
	v_mov_b32_e32 v17, v7
	v_mov_b32_e32 v16, v6
.LBB231_821:                            ;   in Loop: Header=BB231_678 Depth=1
	s_or_b32 exec_lo, exec_lo, s16
.LBB231_822:                            ;   in Loop: Header=BB231_678 Depth=1
	s_or_b32 exec_lo, exec_lo, s15
.LBB231_823:                            ;   in Loop: Header=BB231_678 Depth=1
	s_or_b32 exec_lo, exec_lo, s13
	v_cmp_ne_u16_sdwa s4, v12, v7 src0_sel:BYTE_1 src1_sel:DWORD
	s_and_saveexec_b32 s13, s4
	s_cbranch_execz .LBB231_831
; %bb.824:                              ;   in Loop: Header=BB231_678 Depth=1
	v_mov_b32_e32 v8, v7
	v_mov_b32_e32 v19, v9
	v_cmp_ne_u16_sdwa s4, v12, v68 src0_sel:BYTE_1 src1_sel:DWORD
	v_mov_b32_e32 v18, v8
	s_and_saveexec_b32 s15, s4
	s_cbranch_execz .LBB231_830
; %bb.825:                              ;   in Loop: Header=BB231_678 Depth=1
	v_and_b32_sdwa v6, v69, v12 dst_sel:DWORD dst_unused:UNUSED_PAD src0_sel:DWORD src1_sel:BYTE_1
	v_mov_b32_e32 v10, v7
	v_mov_b32_e32 v19, v11
	s_mov_b32 s16, exec_lo
	v_and_b32_e32 v13, 0x7f, v6
	v_mov_b32_e32 v18, v10
	v_cmpx_ne_u32_e32 0x7f, v13
	s_cbranch_execz .LBB231_829
; %bb.826:                              ;   in Loop: Header=BB231_678 Depth=1
	v_and_b32_e32 v6, 7, v6
	v_lshrrev_b32_e32 v8, 3, v13
	s_mov_b32 s17, exec_lo
	v_cmpx_gt_u32_e32 8, v13
; %bb.827:                              ;   in Loop: Header=BB231_678 Depth=1
	v_ffbh_u32_e32 v8, v6
	v_min_u32_e32 v8, 32, v8
	v_subrev_nc_u32_e32 v10, 28, v8
	v_sub_nc_u32_e32 v8, 29, v8
	v_lshlrev_b64 v[18:19], v10, v[6:7]
	v_and_b32_e32 v6, 7, v18
; %bb.828:                              ;   in Loop: Header=BB231_678 Depth=1
	s_or_b32 exec_lo, exec_lo, s17
	v_lshlrev_b32_e32 v10, 16, v12
	v_lshlrev_b32_e32 v6, 20, v6
	v_lshl_add_u32 v8, v8, 23, 0x3c000000
	v_mov_b32_e32 v18, v7
	v_and_b32_e32 v10, 0x80000000, v10
	v_or3_b32 v19, v6, v10, v8
.LBB231_829:                            ;   in Loop: Header=BB231_678 Depth=1
	s_or_b32 exec_lo, exec_lo, s16
.LBB231_830:                            ;   in Loop: Header=BB231_678 Depth=1
	s_or_b32 exec_lo, exec_lo, s15
.LBB231_831:                            ;   in Loop: Header=BB231_678 Depth=1
	s_or_b32 exec_lo, exec_lo, s13
	v_mov_b32_e32 v23, 0
	v_mov_b32_e32 v21, 0
	v_and_b32_sdwa v6, v12, v70 dst_sel:DWORD dst_unused:UNUSED_PAD src0_sel:WORD_1 src1_sel:DWORD
	v_mov_b32_e32 v24, 0
	v_mov_b32_e32 v22, 0
	s_mov_b32 s13, exec_lo
	v_cmpx_ne_u16_e32 0, v6
	s_cbranch_execz .LBB231_839
; %bb.832:                              ;   in Loop: Header=BB231_678 Depth=1
	v_bfrev_b32_e32 v21, 1
	v_mov_b32_e32 v22, 0
	s_mov_b32 s15, exec_lo
	v_cmpx_ne_u16_e32 0x80, v6
	s_cbranch_execz .LBB231_838
; %bb.833:                              ;   in Loop: Header=BB231_678 Depth=1
	v_mov_b32_e32 v21, 0x7f800001
	v_bfe_u32 v10, v12, 16, 7
	v_mov_b32_e32 v22, 0
	s_mov_b32 s16, exec_lo
	v_cmpx_ne_u32_e32 0x7f, v10
	s_cbranch_execz .LBB231_837
; %bb.834:                              ;   in Loop: Header=BB231_678 Depth=1
	v_and_b32_sdwa v6, v12, v71 dst_sel:DWORD dst_unused:UNUSED_PAD src0_sel:WORD_1 src1_sel:DWORD
	v_lshrrev_b32_e32 v8, 3, v10
	s_mov_b32 s17, exec_lo
	v_cmpx_gt_u32_e32 8, v10
; %bb.835:                              ;   in Loop: Header=BB231_678 Depth=1
	v_ffbh_u32_e32 v8, v6
	v_min_u32_e32 v8, 32, v8
	v_subrev_nc_u32_e32 v10, 28, v8
	v_sub_nc_u32_e32 v8, 29, v8
	v_lshlrev_b64 v[21:22], v10, v[6:7]
	v_and_b32_e32 v6, 7, v21
; %bb.836:                              ;   in Loop: Header=BB231_678 Depth=1
	s_or_b32 exec_lo, exec_lo, s17
	v_lshlrev_b32_sdwa v10, v80, v12 dst_sel:DWORD dst_unused:UNUSED_PAD src0_sel:DWORD src1_sel:WORD_1
	v_lshlrev_b32_e32 v6, 20, v6
	v_lshl_add_u32 v8, v8, 23, 0x3c000000
	v_and_b32_e32 v10, 0x80000000, v10
	v_or3_b32 v6, v6, v10, v8
	v_mov_b32_e32 v22, v7
	v_mov_b32_e32 v21, v6
.LBB231_837:                            ;   in Loop: Header=BB231_678 Depth=1
	s_or_b32 exec_lo, exec_lo, s16
.LBB231_838:                            ;   in Loop: Header=BB231_678 Depth=1
	s_or_b32 exec_lo, exec_lo, s15
.LBB231_839:                            ;   in Loop: Header=BB231_678 Depth=1
	s_or_b32 exec_lo, exec_lo, s13
	s_mov_b32 s13, exec_lo
	v_cmpx_lt_u32_e32 0xffffff, v12
	s_cbranch_execz .LBB231_847
; %bb.840:                              ;   in Loop: Header=BB231_678 Depth=1
	v_mov_b32_e32 v8, v7
	v_mov_b32_e32 v24, v9
	v_cmp_ne_u32_sdwa s4, v12, v68 src0_sel:BYTE_3 src1_sel:DWORD
	v_mov_b32_e32 v23, v8
	s_and_saveexec_b32 s15, s4
	s_cbranch_execz .LBB231_846
; %bb.841:                              ;   in Loop: Header=BB231_678 Depth=1
	v_mov_b32_e32 v10, v7
	v_mov_b32_e32 v24, v11
	v_bfe_u32 v13, v12, 24, 7
	s_mov_b32 s16, exec_lo
	v_mov_b32_e32 v23, v10
	v_cmpx_ne_u32_e32 0x7f, v13
	s_cbranch_execz .LBB231_845
; %bb.842:                              ;   in Loop: Header=BB231_678 Depth=1
	v_and_b32_sdwa v6, v12, v71 dst_sel:DWORD dst_unused:UNUSED_PAD src0_sel:BYTE_3 src1_sel:DWORD
	v_lshrrev_b32_e32 v8, 3, v13
	s_mov_b32 s17, exec_lo
	v_cmpx_gt_u32_e32 8, v13
; %bb.843:                              ;   in Loop: Header=BB231_678 Depth=1
	v_ffbh_u32_e32 v8, v6
	v_min_u32_e32 v8, 32, v8
	v_subrev_nc_u32_e32 v10, 28, v8
	v_sub_nc_u32_e32 v8, 29, v8
	v_lshlrev_b64 v[23:24], v10, v[6:7]
	v_and_b32_e32 v6, 7, v23
; %bb.844:                              ;   in Loop: Header=BB231_678 Depth=1
	s_or_b32 exec_lo, exec_lo, s17
	v_lshlrev_b32_sdwa v10, v80, v12 dst_sel:DWORD dst_unused:UNUSED_PAD src0_sel:DWORD src1_sel:BYTE_3
	v_lshlrev_b32_e32 v6, 20, v6
	v_lshl_add_u32 v8, v8, 23, 0x3c000000
	v_mov_b32_e32 v23, v7
	v_and_b32_e32 v10, 0x80000000, v10
	v_or3_b32 v24, v6, v10, v8
.LBB231_845:                            ;   in Loop: Header=BB231_678 Depth=1
	s_or_b32 exec_lo, exec_lo, s16
.LBB231_846:                            ;   in Loop: Header=BB231_678 Depth=1
	s_or_b32 exec_lo, exec_lo, s15
.LBB231_847:                            ;   in Loop: Header=BB231_678 Depth=1
	s_or_b32 exec_lo, exec_lo, s13
	v_or_b32_e32 v6, v19, v17
	v_or_b32_e32 v8, v18, v16
	;; [unrolled: 1-line block ×4, first 2 shown]
	v_mul_f32_e32 v44, v84, v6
	v_mul_f32_e32 v43, v84, v8
	;; [unrolled: 1-line block ×4, first 2 shown]
	s_and_saveexec_b32 s13, vcc_lo
	s_cbranch_execz .LBB231_849
; %bb.848:                              ;   in Loop: Header=BB231_678 Depth=1
	v_cmp_lt_i32_e64 s4, v97, v88
	v_cndmask_b32_e64 v43, 0, v43, s4
	v_cmp_lt_i32_e64 s4, v100, v88
	v_cndmask_b32_e64 v44, 0, v44, s4
	;; [unrolled: 2-line block ×4, first 2 shown]
.LBB231_849:                            ;   in Loop: Header=BB231_678 Depth=1
	s_or_b32 exec_lo, exec_lo, s13
	flat_load_dword v12, v[4:5] offset:640
	v_mov_b32_e32 v18, 0
	v_mov_b32_e32 v16, 0
	v_mov_b32_e32 v19, 0
	v_mov_b32_e32 v17, 0
	s_waitcnt vmcnt(0) lgkmcnt(0)
	v_cmp_ne_u16_sdwa s4, v12, v7 src0_sel:BYTE_0 src1_sel:DWORD
	s_and_saveexec_b32 s13, s4
	s_cbranch_execz .LBB231_857
; %bb.850:                              ;   in Loop: Header=BB231_678 Depth=1
	v_bfrev_b32_e32 v16, 1
	v_mov_b32_e32 v17, 0
	v_cmp_ne_u16_sdwa s4, v12, v68 src0_sel:BYTE_0 src1_sel:DWORD
	s_and_saveexec_b32 s15, s4
	s_cbranch_execz .LBB231_856
; %bb.851:                              ;   in Loop: Header=BB231_678 Depth=1
	v_mov_b32_e32 v16, 0x7f800001
	v_and_b32_e32 v10, 0x7f, v12
	v_mov_b32_e32 v17, 0
	s_mov_b32 s16, exec_lo
	v_cmpx_ne_u32_e32 0x7f, v10
	s_cbranch_execz .LBB231_855
; %bb.852:                              ;   in Loop: Header=BB231_678 Depth=1
	v_and_b32_e32 v6, 7, v12
	v_lshrrev_b32_e32 v8, 3, v10
	s_mov_b32 s17, exec_lo
	v_cmpx_gt_u32_e32 8, v10
; %bb.853:                              ;   in Loop: Header=BB231_678 Depth=1
	v_ffbh_u32_e32 v8, v6
	v_min_u32_e32 v8, 32, v8
	v_subrev_nc_u32_e32 v10, 28, v8
	v_sub_nc_u32_e32 v8, 29, v8
	v_lshlrev_b64 v[16:17], v10, v[6:7]
	v_and_b32_e32 v6, 7, v16
; %bb.854:                              ;   in Loop: Header=BB231_678 Depth=1
	s_or_b32 exec_lo, exec_lo, s17
	v_lshlrev_b32_e32 v10, 24, v12
	v_lshlrev_b32_e32 v6, 20, v6
	v_lshl_add_u32 v8, v8, 23, 0x3c000000
	v_and_b32_e32 v10, 0x80000000, v10
	v_or3_b32 v6, v6, v10, v8
	v_mov_b32_e32 v17, v7
	v_mov_b32_e32 v16, v6
.LBB231_855:                            ;   in Loop: Header=BB231_678 Depth=1
	s_or_b32 exec_lo, exec_lo, s16
.LBB231_856:                            ;   in Loop: Header=BB231_678 Depth=1
	s_or_b32 exec_lo, exec_lo, s15
.LBB231_857:                            ;   in Loop: Header=BB231_678 Depth=1
	s_or_b32 exec_lo, exec_lo, s13
	v_cmp_ne_u16_sdwa s4, v12, v7 src0_sel:BYTE_1 src1_sel:DWORD
	s_and_saveexec_b32 s13, s4
	s_cbranch_execz .LBB231_865
; %bb.858:                              ;   in Loop: Header=BB231_678 Depth=1
	v_mov_b32_e32 v8, v7
	v_mov_b32_e32 v19, v9
	v_cmp_ne_u16_sdwa s4, v12, v68 src0_sel:BYTE_1 src1_sel:DWORD
	v_mov_b32_e32 v18, v8
	s_and_saveexec_b32 s15, s4
	s_cbranch_execz .LBB231_864
; %bb.859:                              ;   in Loop: Header=BB231_678 Depth=1
	v_and_b32_sdwa v6, v69, v12 dst_sel:DWORD dst_unused:UNUSED_PAD src0_sel:DWORD src1_sel:BYTE_1
	v_mov_b32_e32 v10, v7
	v_mov_b32_e32 v19, v11
	s_mov_b32 s16, exec_lo
	v_and_b32_e32 v13, 0x7f, v6
	v_mov_b32_e32 v18, v10
	v_cmpx_ne_u32_e32 0x7f, v13
	s_cbranch_execz .LBB231_863
; %bb.860:                              ;   in Loop: Header=BB231_678 Depth=1
	v_and_b32_e32 v6, 7, v6
	v_lshrrev_b32_e32 v8, 3, v13
	s_mov_b32 s17, exec_lo
	v_cmpx_gt_u32_e32 8, v13
; %bb.861:                              ;   in Loop: Header=BB231_678 Depth=1
	v_ffbh_u32_e32 v8, v6
	v_min_u32_e32 v8, 32, v8
	v_subrev_nc_u32_e32 v10, 28, v8
	v_sub_nc_u32_e32 v8, 29, v8
	v_lshlrev_b64 v[18:19], v10, v[6:7]
	v_and_b32_e32 v6, 7, v18
; %bb.862:                              ;   in Loop: Header=BB231_678 Depth=1
	s_or_b32 exec_lo, exec_lo, s17
	v_lshlrev_b32_e32 v10, 16, v12
	v_lshlrev_b32_e32 v6, 20, v6
	v_lshl_add_u32 v8, v8, 23, 0x3c000000
	v_mov_b32_e32 v18, v7
	v_and_b32_e32 v10, 0x80000000, v10
	v_or3_b32 v19, v6, v10, v8
.LBB231_863:                            ;   in Loop: Header=BB231_678 Depth=1
	s_or_b32 exec_lo, exec_lo, s16
.LBB231_864:                            ;   in Loop: Header=BB231_678 Depth=1
	s_or_b32 exec_lo, exec_lo, s15
.LBB231_865:                            ;   in Loop: Header=BB231_678 Depth=1
	s_or_b32 exec_lo, exec_lo, s13
	v_mov_b32_e32 v23, 0
	v_mov_b32_e32 v21, 0
	v_and_b32_sdwa v6, v12, v70 dst_sel:DWORD dst_unused:UNUSED_PAD src0_sel:WORD_1 src1_sel:DWORD
	v_mov_b32_e32 v24, 0
	v_mov_b32_e32 v22, 0
	s_mov_b32 s13, exec_lo
	v_cmpx_ne_u16_e32 0, v6
	s_cbranch_execz .LBB231_873
; %bb.866:                              ;   in Loop: Header=BB231_678 Depth=1
	v_bfrev_b32_e32 v21, 1
	v_mov_b32_e32 v22, 0
	s_mov_b32 s15, exec_lo
	v_cmpx_ne_u16_e32 0x80, v6
	s_cbranch_execz .LBB231_872
; %bb.867:                              ;   in Loop: Header=BB231_678 Depth=1
	v_mov_b32_e32 v21, 0x7f800001
	v_bfe_u32 v10, v12, 16, 7
	v_mov_b32_e32 v22, 0
	s_mov_b32 s16, exec_lo
	v_cmpx_ne_u32_e32 0x7f, v10
	s_cbranch_execz .LBB231_871
; %bb.868:                              ;   in Loop: Header=BB231_678 Depth=1
	v_and_b32_sdwa v6, v12, v71 dst_sel:DWORD dst_unused:UNUSED_PAD src0_sel:WORD_1 src1_sel:DWORD
	v_lshrrev_b32_e32 v8, 3, v10
	s_mov_b32 s17, exec_lo
	v_cmpx_gt_u32_e32 8, v10
; %bb.869:                              ;   in Loop: Header=BB231_678 Depth=1
	v_ffbh_u32_e32 v8, v6
	v_min_u32_e32 v8, 32, v8
	v_subrev_nc_u32_e32 v10, 28, v8
	v_sub_nc_u32_e32 v8, 29, v8
	v_lshlrev_b64 v[21:22], v10, v[6:7]
	v_and_b32_e32 v6, 7, v21
; %bb.870:                              ;   in Loop: Header=BB231_678 Depth=1
	s_or_b32 exec_lo, exec_lo, s17
	v_lshlrev_b32_sdwa v10, v80, v12 dst_sel:DWORD dst_unused:UNUSED_PAD src0_sel:DWORD src1_sel:WORD_1
	v_lshlrev_b32_e32 v6, 20, v6
	v_lshl_add_u32 v8, v8, 23, 0x3c000000
	v_and_b32_e32 v10, 0x80000000, v10
	v_or3_b32 v6, v6, v10, v8
	v_mov_b32_e32 v22, v7
	v_mov_b32_e32 v21, v6
.LBB231_871:                            ;   in Loop: Header=BB231_678 Depth=1
	s_or_b32 exec_lo, exec_lo, s16
.LBB231_872:                            ;   in Loop: Header=BB231_678 Depth=1
	s_or_b32 exec_lo, exec_lo, s15
.LBB231_873:                            ;   in Loop: Header=BB231_678 Depth=1
	s_or_b32 exec_lo, exec_lo, s13
	s_mov_b32 s13, exec_lo
	v_cmpx_lt_u32_e32 0xffffff, v12
	s_cbranch_execz .LBB231_881
; %bb.874:                              ;   in Loop: Header=BB231_678 Depth=1
	v_mov_b32_e32 v8, v7
	v_mov_b32_e32 v24, v9
	v_cmp_ne_u32_sdwa s4, v12, v68 src0_sel:BYTE_3 src1_sel:DWORD
	v_mov_b32_e32 v23, v8
	s_and_saveexec_b32 s15, s4
	s_cbranch_execz .LBB231_880
; %bb.875:                              ;   in Loop: Header=BB231_678 Depth=1
	v_mov_b32_e32 v10, v7
	v_mov_b32_e32 v24, v11
	v_bfe_u32 v13, v12, 24, 7
	s_mov_b32 s16, exec_lo
	v_mov_b32_e32 v23, v10
	v_cmpx_ne_u32_e32 0x7f, v13
	s_cbranch_execz .LBB231_879
; %bb.876:                              ;   in Loop: Header=BB231_678 Depth=1
	v_and_b32_sdwa v6, v12, v71 dst_sel:DWORD dst_unused:UNUSED_PAD src0_sel:BYTE_3 src1_sel:DWORD
	v_lshrrev_b32_e32 v8, 3, v13
	s_mov_b32 s17, exec_lo
	v_cmpx_gt_u32_e32 8, v13
; %bb.877:                              ;   in Loop: Header=BB231_678 Depth=1
	v_ffbh_u32_e32 v8, v6
	v_min_u32_e32 v8, 32, v8
	v_subrev_nc_u32_e32 v10, 28, v8
	v_sub_nc_u32_e32 v8, 29, v8
	v_lshlrev_b64 v[23:24], v10, v[6:7]
	v_and_b32_e32 v6, 7, v23
; %bb.878:                              ;   in Loop: Header=BB231_678 Depth=1
	s_or_b32 exec_lo, exec_lo, s17
	v_lshlrev_b32_sdwa v10, v80, v12 dst_sel:DWORD dst_unused:UNUSED_PAD src0_sel:DWORD src1_sel:BYTE_3
	v_lshlrev_b32_e32 v6, 20, v6
	v_lshl_add_u32 v8, v8, 23, 0x3c000000
	v_mov_b32_e32 v23, v7
	v_and_b32_e32 v10, 0x80000000, v10
	v_or3_b32 v24, v6, v10, v8
.LBB231_879:                            ;   in Loop: Header=BB231_678 Depth=1
	s_or_b32 exec_lo, exec_lo, s16
.LBB231_880:                            ;   in Loop: Header=BB231_678 Depth=1
	s_or_b32 exec_lo, exec_lo, s15
.LBB231_881:                            ;   in Loop: Header=BB231_678 Depth=1
	s_or_b32 exec_lo, exec_lo, s13
	v_or_b32_e32 v6, v19, v17
	v_or_b32_e32 v8, v18, v16
	;; [unrolled: 1-line block ×4, first 2 shown]
	v_mul_f32_e32 v57, v84, v6
	v_mul_f32_e32 v56, v84, v8
	;; [unrolled: 1-line block ×4, first 2 shown]
	s_and_saveexec_b32 s13, vcc_lo
	s_cbranch_execz .LBB231_883
; %bb.882:                              ;   in Loop: Header=BB231_678 Depth=1
	v_cmp_lt_i32_e64 s4, v97, v88
	v_cndmask_b32_e64 v56, 0, v56, s4
	v_cmp_lt_i32_e64 s4, v100, v88
	v_cndmask_b32_e64 v57, 0, v57, s4
	;; [unrolled: 2-line block ×4, first 2 shown]
.LBB231_883:                            ;   in Loop: Header=BB231_678 Depth=1
	s_or_b32 exec_lo, exec_lo, s13
	flat_load_dword v12, v[4:5] offset:768
	v_mov_b32_e32 v18, 0
	v_mov_b32_e32 v16, 0
	;; [unrolled: 1-line block ×4, first 2 shown]
	s_waitcnt vmcnt(0) lgkmcnt(0)
	v_cmp_ne_u16_sdwa s4, v12, v7 src0_sel:BYTE_0 src1_sel:DWORD
	s_and_saveexec_b32 s13, s4
	s_cbranch_execz .LBB231_891
; %bb.884:                              ;   in Loop: Header=BB231_678 Depth=1
	v_bfrev_b32_e32 v16, 1
	v_mov_b32_e32 v17, 0
	v_cmp_ne_u16_sdwa s4, v12, v68 src0_sel:BYTE_0 src1_sel:DWORD
	s_and_saveexec_b32 s15, s4
	s_cbranch_execz .LBB231_890
; %bb.885:                              ;   in Loop: Header=BB231_678 Depth=1
	v_mov_b32_e32 v16, 0x7f800001
	v_and_b32_e32 v10, 0x7f, v12
	v_mov_b32_e32 v17, 0
	s_mov_b32 s16, exec_lo
	v_cmpx_ne_u32_e32 0x7f, v10
	s_cbranch_execz .LBB231_889
; %bb.886:                              ;   in Loop: Header=BB231_678 Depth=1
	v_and_b32_e32 v6, 7, v12
	v_lshrrev_b32_e32 v8, 3, v10
	s_mov_b32 s17, exec_lo
	v_cmpx_gt_u32_e32 8, v10
; %bb.887:                              ;   in Loop: Header=BB231_678 Depth=1
	v_ffbh_u32_e32 v8, v6
	v_min_u32_e32 v8, 32, v8
	v_subrev_nc_u32_e32 v10, 28, v8
	v_sub_nc_u32_e32 v8, 29, v8
	v_lshlrev_b64 v[16:17], v10, v[6:7]
	v_and_b32_e32 v6, 7, v16
; %bb.888:                              ;   in Loop: Header=BB231_678 Depth=1
	s_or_b32 exec_lo, exec_lo, s17
	v_lshlrev_b32_e32 v10, 24, v12
	v_lshlrev_b32_e32 v6, 20, v6
	v_lshl_add_u32 v8, v8, 23, 0x3c000000
	v_and_b32_e32 v10, 0x80000000, v10
	v_or3_b32 v6, v6, v10, v8
	v_mov_b32_e32 v17, v7
	v_mov_b32_e32 v16, v6
.LBB231_889:                            ;   in Loop: Header=BB231_678 Depth=1
	s_or_b32 exec_lo, exec_lo, s16
.LBB231_890:                            ;   in Loop: Header=BB231_678 Depth=1
	s_or_b32 exec_lo, exec_lo, s15
.LBB231_891:                            ;   in Loop: Header=BB231_678 Depth=1
	s_or_b32 exec_lo, exec_lo, s13
	v_cmp_ne_u16_sdwa s4, v12, v7 src0_sel:BYTE_1 src1_sel:DWORD
	s_and_saveexec_b32 s13, s4
	s_cbranch_execz .LBB231_899
; %bb.892:                              ;   in Loop: Header=BB231_678 Depth=1
	v_mov_b32_e32 v8, v7
	v_mov_b32_e32 v19, v9
	v_cmp_ne_u16_sdwa s4, v12, v68 src0_sel:BYTE_1 src1_sel:DWORD
	v_mov_b32_e32 v18, v8
	s_and_saveexec_b32 s15, s4
	s_cbranch_execz .LBB231_898
; %bb.893:                              ;   in Loop: Header=BB231_678 Depth=1
	v_and_b32_sdwa v6, v69, v12 dst_sel:DWORD dst_unused:UNUSED_PAD src0_sel:DWORD src1_sel:BYTE_1
	v_mov_b32_e32 v10, v7
	v_mov_b32_e32 v19, v11
	s_mov_b32 s16, exec_lo
	v_and_b32_e32 v13, 0x7f, v6
	v_mov_b32_e32 v18, v10
	v_cmpx_ne_u32_e32 0x7f, v13
	s_cbranch_execz .LBB231_897
; %bb.894:                              ;   in Loop: Header=BB231_678 Depth=1
	v_and_b32_e32 v6, 7, v6
	v_lshrrev_b32_e32 v8, 3, v13
	s_mov_b32 s17, exec_lo
	v_cmpx_gt_u32_e32 8, v13
; %bb.895:                              ;   in Loop: Header=BB231_678 Depth=1
	v_ffbh_u32_e32 v8, v6
	v_min_u32_e32 v8, 32, v8
	v_subrev_nc_u32_e32 v10, 28, v8
	v_sub_nc_u32_e32 v8, 29, v8
	v_lshlrev_b64 v[18:19], v10, v[6:7]
	v_and_b32_e32 v6, 7, v18
; %bb.896:                              ;   in Loop: Header=BB231_678 Depth=1
	s_or_b32 exec_lo, exec_lo, s17
	v_lshlrev_b32_e32 v10, 16, v12
	v_lshlrev_b32_e32 v6, 20, v6
	v_lshl_add_u32 v8, v8, 23, 0x3c000000
	v_mov_b32_e32 v18, v7
	v_and_b32_e32 v10, 0x80000000, v10
	v_or3_b32 v19, v6, v10, v8
.LBB231_897:                            ;   in Loop: Header=BB231_678 Depth=1
	s_or_b32 exec_lo, exec_lo, s16
.LBB231_898:                            ;   in Loop: Header=BB231_678 Depth=1
	s_or_b32 exec_lo, exec_lo, s15
.LBB231_899:                            ;   in Loop: Header=BB231_678 Depth=1
	s_or_b32 exec_lo, exec_lo, s13
	v_mov_b32_e32 v23, 0
	v_mov_b32_e32 v21, 0
	v_and_b32_sdwa v6, v12, v70 dst_sel:DWORD dst_unused:UNUSED_PAD src0_sel:WORD_1 src1_sel:DWORD
	v_mov_b32_e32 v24, 0
	v_mov_b32_e32 v22, 0
	s_mov_b32 s13, exec_lo
	v_cmpx_ne_u16_e32 0, v6
	s_cbranch_execz .LBB231_907
; %bb.900:                              ;   in Loop: Header=BB231_678 Depth=1
	v_bfrev_b32_e32 v21, 1
	v_mov_b32_e32 v22, 0
	s_mov_b32 s15, exec_lo
	v_cmpx_ne_u16_e32 0x80, v6
	s_cbranch_execz .LBB231_906
; %bb.901:                              ;   in Loop: Header=BB231_678 Depth=1
	v_mov_b32_e32 v21, 0x7f800001
	v_bfe_u32 v10, v12, 16, 7
	v_mov_b32_e32 v22, 0
	s_mov_b32 s16, exec_lo
	v_cmpx_ne_u32_e32 0x7f, v10
	s_cbranch_execz .LBB231_905
; %bb.902:                              ;   in Loop: Header=BB231_678 Depth=1
	v_and_b32_sdwa v6, v12, v71 dst_sel:DWORD dst_unused:UNUSED_PAD src0_sel:WORD_1 src1_sel:DWORD
	v_lshrrev_b32_e32 v8, 3, v10
	s_mov_b32 s17, exec_lo
	v_cmpx_gt_u32_e32 8, v10
; %bb.903:                              ;   in Loop: Header=BB231_678 Depth=1
	v_ffbh_u32_e32 v8, v6
	v_min_u32_e32 v8, 32, v8
	v_subrev_nc_u32_e32 v10, 28, v8
	v_sub_nc_u32_e32 v8, 29, v8
	v_lshlrev_b64 v[21:22], v10, v[6:7]
	v_and_b32_e32 v6, 7, v21
; %bb.904:                              ;   in Loop: Header=BB231_678 Depth=1
	s_or_b32 exec_lo, exec_lo, s17
	v_lshlrev_b32_sdwa v10, v80, v12 dst_sel:DWORD dst_unused:UNUSED_PAD src0_sel:DWORD src1_sel:WORD_1
	v_lshlrev_b32_e32 v6, 20, v6
	v_lshl_add_u32 v8, v8, 23, 0x3c000000
	v_and_b32_e32 v10, 0x80000000, v10
	v_or3_b32 v6, v6, v10, v8
	v_mov_b32_e32 v22, v7
	v_mov_b32_e32 v21, v6
.LBB231_905:                            ;   in Loop: Header=BB231_678 Depth=1
	s_or_b32 exec_lo, exec_lo, s16
.LBB231_906:                            ;   in Loop: Header=BB231_678 Depth=1
	s_or_b32 exec_lo, exec_lo, s15
.LBB231_907:                            ;   in Loop: Header=BB231_678 Depth=1
	s_or_b32 exec_lo, exec_lo, s13
	s_mov_b32 s13, exec_lo
	v_cmpx_lt_u32_e32 0xffffff, v12
	s_cbranch_execz .LBB231_915
; %bb.908:                              ;   in Loop: Header=BB231_678 Depth=1
	v_mov_b32_e32 v8, v7
	v_mov_b32_e32 v24, v9
	v_cmp_ne_u32_sdwa s4, v12, v68 src0_sel:BYTE_3 src1_sel:DWORD
	v_mov_b32_e32 v23, v8
	s_and_saveexec_b32 s15, s4
	s_cbranch_execz .LBB231_914
; %bb.909:                              ;   in Loop: Header=BB231_678 Depth=1
	v_mov_b32_e32 v10, v7
	v_mov_b32_e32 v24, v11
	v_bfe_u32 v13, v12, 24, 7
	s_mov_b32 s16, exec_lo
	v_mov_b32_e32 v23, v10
	v_cmpx_ne_u32_e32 0x7f, v13
	s_cbranch_execz .LBB231_913
; %bb.910:                              ;   in Loop: Header=BB231_678 Depth=1
	v_and_b32_sdwa v6, v12, v71 dst_sel:DWORD dst_unused:UNUSED_PAD src0_sel:BYTE_3 src1_sel:DWORD
	v_lshrrev_b32_e32 v8, 3, v13
	s_mov_b32 s17, exec_lo
	v_cmpx_gt_u32_e32 8, v13
; %bb.911:                              ;   in Loop: Header=BB231_678 Depth=1
	v_ffbh_u32_e32 v8, v6
	v_min_u32_e32 v8, 32, v8
	v_subrev_nc_u32_e32 v10, 28, v8
	v_sub_nc_u32_e32 v8, 29, v8
	v_lshlrev_b64 v[23:24], v10, v[6:7]
	v_and_b32_e32 v6, 7, v23
; %bb.912:                              ;   in Loop: Header=BB231_678 Depth=1
	s_or_b32 exec_lo, exec_lo, s17
	v_lshlrev_b32_sdwa v10, v80, v12 dst_sel:DWORD dst_unused:UNUSED_PAD src0_sel:DWORD src1_sel:BYTE_3
	v_lshlrev_b32_e32 v6, 20, v6
	v_lshl_add_u32 v8, v8, 23, 0x3c000000
	v_mov_b32_e32 v23, v7
	v_and_b32_e32 v10, 0x80000000, v10
	v_or3_b32 v24, v6, v10, v8
.LBB231_913:                            ;   in Loop: Header=BB231_678 Depth=1
	s_or_b32 exec_lo, exec_lo, s16
.LBB231_914:                            ;   in Loop: Header=BB231_678 Depth=1
	s_or_b32 exec_lo, exec_lo, s15
.LBB231_915:                            ;   in Loop: Header=BB231_678 Depth=1
	s_or_b32 exec_lo, exec_lo, s13
	v_or_b32_e32 v6, v19, v17
	v_or_b32_e32 v8, v18, v16
	;; [unrolled: 1-line block ×4, first 2 shown]
	v_mul_f32_e32 v61, v84, v6
	v_mul_f32_e32 v60, v84, v8
	;; [unrolled: 1-line block ×4, first 2 shown]
	s_and_saveexec_b32 s13, vcc_lo
	s_cbranch_execz .LBB231_917
; %bb.916:                              ;   in Loop: Header=BB231_678 Depth=1
	v_cmp_lt_i32_e64 s4, v97, v88
	v_cndmask_b32_e64 v60, 0, v60, s4
	v_cmp_lt_i32_e64 s4, v100, v88
	v_cndmask_b32_e64 v61, 0, v61, s4
	v_cmp_lt_i32_e64 s4, v99, v88
	v_cndmask_b32_e64 v59, 0, v59, s4
	v_cmp_lt_i32_e64 s4, v98, v88
	v_cndmask_b32_e64 v58, 0, v58, s4
.LBB231_917:                            ;   in Loop: Header=BB231_678 Depth=1
	s_or_b32 exec_lo, exec_lo, s13
	flat_load_dword v12, v[4:5] offset:896
	v_mov_b32_e32 v18, 0
	v_mov_b32_e32 v16, 0
	;; [unrolled: 1-line block ×4, first 2 shown]
	s_waitcnt vmcnt(0) lgkmcnt(0)
	v_cmp_ne_u16_sdwa s4, v12, v7 src0_sel:BYTE_0 src1_sel:DWORD
	s_and_saveexec_b32 s13, s4
	s_cbranch_execz .LBB231_925
; %bb.918:                              ;   in Loop: Header=BB231_678 Depth=1
	v_bfrev_b32_e32 v16, 1
	v_mov_b32_e32 v17, 0
	v_cmp_ne_u16_sdwa s4, v12, v68 src0_sel:BYTE_0 src1_sel:DWORD
	s_and_saveexec_b32 s15, s4
	s_cbranch_execz .LBB231_924
; %bb.919:                              ;   in Loop: Header=BB231_678 Depth=1
	v_mov_b32_e32 v16, 0x7f800001
	v_and_b32_e32 v10, 0x7f, v12
	v_mov_b32_e32 v17, 0
	s_mov_b32 s16, exec_lo
	v_cmpx_ne_u32_e32 0x7f, v10
	s_cbranch_execz .LBB231_923
; %bb.920:                              ;   in Loop: Header=BB231_678 Depth=1
	v_and_b32_e32 v6, 7, v12
	v_lshrrev_b32_e32 v8, 3, v10
	s_mov_b32 s17, exec_lo
	v_cmpx_gt_u32_e32 8, v10
; %bb.921:                              ;   in Loop: Header=BB231_678 Depth=1
	v_ffbh_u32_e32 v8, v6
	v_min_u32_e32 v8, 32, v8
	v_subrev_nc_u32_e32 v10, 28, v8
	v_sub_nc_u32_e32 v8, 29, v8
	v_lshlrev_b64 v[16:17], v10, v[6:7]
	v_and_b32_e32 v6, 7, v16
; %bb.922:                              ;   in Loop: Header=BB231_678 Depth=1
	s_or_b32 exec_lo, exec_lo, s17
	v_lshlrev_b32_e32 v10, 24, v12
	v_lshlrev_b32_e32 v6, 20, v6
	v_lshl_add_u32 v8, v8, 23, 0x3c000000
	v_and_b32_e32 v10, 0x80000000, v10
	v_or3_b32 v6, v6, v10, v8
	v_mov_b32_e32 v17, v7
	v_mov_b32_e32 v16, v6
.LBB231_923:                            ;   in Loop: Header=BB231_678 Depth=1
	s_or_b32 exec_lo, exec_lo, s16
.LBB231_924:                            ;   in Loop: Header=BB231_678 Depth=1
	s_or_b32 exec_lo, exec_lo, s15
.LBB231_925:                            ;   in Loop: Header=BB231_678 Depth=1
	s_or_b32 exec_lo, exec_lo, s13
	v_cmp_ne_u16_sdwa s4, v12, v7 src0_sel:BYTE_1 src1_sel:DWORD
	s_and_saveexec_b32 s13, s4
	s_cbranch_execz .LBB231_933
; %bb.926:                              ;   in Loop: Header=BB231_678 Depth=1
	v_mov_b32_e32 v8, v7
	v_mov_b32_e32 v19, v9
	v_cmp_ne_u16_sdwa s4, v12, v68 src0_sel:BYTE_1 src1_sel:DWORD
	v_mov_b32_e32 v18, v8
	s_and_saveexec_b32 s15, s4
	s_cbranch_execz .LBB231_932
; %bb.927:                              ;   in Loop: Header=BB231_678 Depth=1
	v_and_b32_sdwa v6, v69, v12 dst_sel:DWORD dst_unused:UNUSED_PAD src0_sel:DWORD src1_sel:BYTE_1
	v_mov_b32_e32 v10, v7
	v_mov_b32_e32 v19, v11
	s_mov_b32 s16, exec_lo
	v_and_b32_e32 v13, 0x7f, v6
	v_mov_b32_e32 v18, v10
	v_cmpx_ne_u32_e32 0x7f, v13
	s_cbranch_execz .LBB231_931
; %bb.928:                              ;   in Loop: Header=BB231_678 Depth=1
	v_and_b32_e32 v6, 7, v6
	v_lshrrev_b32_e32 v8, 3, v13
	s_mov_b32 s17, exec_lo
	v_cmpx_gt_u32_e32 8, v13
; %bb.929:                              ;   in Loop: Header=BB231_678 Depth=1
	v_ffbh_u32_e32 v8, v6
	v_min_u32_e32 v8, 32, v8
	v_subrev_nc_u32_e32 v10, 28, v8
	v_sub_nc_u32_e32 v8, 29, v8
	v_lshlrev_b64 v[18:19], v10, v[6:7]
	v_and_b32_e32 v6, 7, v18
; %bb.930:                              ;   in Loop: Header=BB231_678 Depth=1
	s_or_b32 exec_lo, exec_lo, s17
	v_lshlrev_b32_e32 v10, 16, v12
	v_lshlrev_b32_e32 v6, 20, v6
	v_lshl_add_u32 v8, v8, 23, 0x3c000000
	v_mov_b32_e32 v18, v7
	v_and_b32_e32 v10, 0x80000000, v10
	v_or3_b32 v19, v6, v10, v8
.LBB231_931:                            ;   in Loop: Header=BB231_678 Depth=1
	s_or_b32 exec_lo, exec_lo, s16
.LBB231_932:                            ;   in Loop: Header=BB231_678 Depth=1
	s_or_b32 exec_lo, exec_lo, s15
.LBB231_933:                            ;   in Loop: Header=BB231_678 Depth=1
	s_or_b32 exec_lo, exec_lo, s13
	v_mov_b32_e32 v23, 0
	v_mov_b32_e32 v21, 0
	v_and_b32_sdwa v6, v12, v70 dst_sel:DWORD dst_unused:UNUSED_PAD src0_sel:WORD_1 src1_sel:DWORD
	v_mov_b32_e32 v24, 0
	v_mov_b32_e32 v22, 0
	s_mov_b32 s13, exec_lo
	v_cmpx_ne_u16_e32 0, v6
	s_cbranch_execz .LBB231_941
; %bb.934:                              ;   in Loop: Header=BB231_678 Depth=1
	v_bfrev_b32_e32 v21, 1
	v_mov_b32_e32 v22, 0
	s_mov_b32 s15, exec_lo
	v_cmpx_ne_u16_e32 0x80, v6
	s_cbranch_execz .LBB231_940
; %bb.935:                              ;   in Loop: Header=BB231_678 Depth=1
	v_mov_b32_e32 v21, 0x7f800001
	v_bfe_u32 v10, v12, 16, 7
	v_mov_b32_e32 v22, 0
	s_mov_b32 s16, exec_lo
	v_cmpx_ne_u32_e32 0x7f, v10
	s_cbranch_execz .LBB231_939
; %bb.936:                              ;   in Loop: Header=BB231_678 Depth=1
	v_and_b32_sdwa v6, v12, v71 dst_sel:DWORD dst_unused:UNUSED_PAD src0_sel:WORD_1 src1_sel:DWORD
	v_lshrrev_b32_e32 v8, 3, v10
	s_mov_b32 s17, exec_lo
	v_cmpx_gt_u32_e32 8, v10
; %bb.937:                              ;   in Loop: Header=BB231_678 Depth=1
	v_ffbh_u32_e32 v8, v6
	v_min_u32_e32 v8, 32, v8
	v_subrev_nc_u32_e32 v10, 28, v8
	v_sub_nc_u32_e32 v8, 29, v8
	v_lshlrev_b64 v[21:22], v10, v[6:7]
	v_and_b32_e32 v6, 7, v21
; %bb.938:                              ;   in Loop: Header=BB231_678 Depth=1
	s_or_b32 exec_lo, exec_lo, s17
	v_lshlrev_b32_sdwa v10, v80, v12 dst_sel:DWORD dst_unused:UNUSED_PAD src0_sel:DWORD src1_sel:WORD_1
	v_lshlrev_b32_e32 v6, 20, v6
	v_lshl_add_u32 v8, v8, 23, 0x3c000000
	v_and_b32_e32 v10, 0x80000000, v10
	v_or3_b32 v6, v6, v10, v8
	v_mov_b32_e32 v22, v7
	v_mov_b32_e32 v21, v6
.LBB231_939:                            ;   in Loop: Header=BB231_678 Depth=1
	s_or_b32 exec_lo, exec_lo, s16
.LBB231_940:                            ;   in Loop: Header=BB231_678 Depth=1
	s_or_b32 exec_lo, exec_lo, s15
.LBB231_941:                            ;   in Loop: Header=BB231_678 Depth=1
	s_or_b32 exec_lo, exec_lo, s13
	s_mov_b32 s13, exec_lo
	v_cmpx_lt_u32_e32 0xffffff, v12
	s_cbranch_execz .LBB231_949
; %bb.942:                              ;   in Loop: Header=BB231_678 Depth=1
	v_mov_b32_e32 v8, v7
	v_mov_b32_e32 v24, v9
	v_cmp_ne_u32_sdwa s4, v12, v68 src0_sel:BYTE_3 src1_sel:DWORD
	v_mov_b32_e32 v23, v8
	s_and_saveexec_b32 s15, s4
	s_cbranch_execz .LBB231_948
; %bb.943:                              ;   in Loop: Header=BB231_678 Depth=1
	v_mov_b32_e32 v10, v7
	v_mov_b32_e32 v24, v11
	v_bfe_u32 v13, v12, 24, 7
	s_mov_b32 s16, exec_lo
	v_mov_b32_e32 v23, v10
	v_cmpx_ne_u32_e32 0x7f, v13
	s_cbranch_execz .LBB231_947
; %bb.944:                              ;   in Loop: Header=BB231_678 Depth=1
	v_and_b32_sdwa v6, v12, v71 dst_sel:DWORD dst_unused:UNUSED_PAD src0_sel:BYTE_3 src1_sel:DWORD
	v_lshrrev_b32_e32 v8, 3, v13
	s_mov_b32 s17, exec_lo
	v_cmpx_gt_u32_e32 8, v13
; %bb.945:                              ;   in Loop: Header=BB231_678 Depth=1
	v_ffbh_u32_e32 v8, v6
	v_min_u32_e32 v8, 32, v8
	v_subrev_nc_u32_e32 v10, 28, v8
	v_sub_nc_u32_e32 v8, 29, v8
	v_lshlrev_b64 v[23:24], v10, v[6:7]
	v_and_b32_e32 v6, 7, v23
; %bb.946:                              ;   in Loop: Header=BB231_678 Depth=1
	s_or_b32 exec_lo, exec_lo, s17
	v_lshlrev_b32_sdwa v10, v80, v12 dst_sel:DWORD dst_unused:UNUSED_PAD src0_sel:DWORD src1_sel:BYTE_3
	v_lshlrev_b32_e32 v6, 20, v6
	v_lshl_add_u32 v8, v8, 23, 0x3c000000
	v_mov_b32_e32 v23, v7
	v_and_b32_e32 v10, 0x80000000, v10
	v_or3_b32 v24, v6, v10, v8
.LBB231_947:                            ;   in Loop: Header=BB231_678 Depth=1
	s_or_b32 exec_lo, exec_lo, s16
.LBB231_948:                            ;   in Loop: Header=BB231_678 Depth=1
	s_or_b32 exec_lo, exec_lo, s15
.LBB231_949:                            ;   in Loop: Header=BB231_678 Depth=1
	s_or_b32 exec_lo, exec_lo, s13
	v_or_b32_e32 v6, v19, v17
	v_or_b32_e32 v8, v18, v16
	;; [unrolled: 1-line block ×4, first 2 shown]
	v_mul_f32_e32 v73, v84, v6
	v_mul_f32_e32 v72, v84, v8
	v_mul_f32_e32 v63, v84, v10
	v_mul_f32_e32 v62, v84, v12
	s_and_saveexec_b32 s13, vcc_lo
	s_cbranch_execz .LBB231_951
; %bb.950:                              ;   in Loop: Header=BB231_678 Depth=1
	v_cmp_lt_i32_e64 s4, v97, v88
	v_cndmask_b32_e64 v72, 0, v72, s4
	v_cmp_lt_i32_e64 s4, v100, v88
	v_cndmask_b32_e64 v73, 0, v73, s4
	v_cmp_lt_i32_e64 s4, v99, v88
	v_cndmask_b32_e64 v63, 0, v63, s4
	v_cmp_lt_i32_e64 s4, v98, v88
	v_cndmask_b32_e64 v62, 0, v62, s4
.LBB231_951:                            ;   in Loop: Header=BB231_678 Depth=1
	s_or_b32 exec_lo, exec_lo, s13
	flat_load_dword v12, v[4:5] offset:1024
	v_mov_b32_e32 v18, 0
	v_mov_b32_e32 v16, 0
	;; [unrolled: 1-line block ×4, first 2 shown]
	s_waitcnt vmcnt(0) lgkmcnt(0)
	v_cmp_ne_u16_sdwa s4, v12, v7 src0_sel:BYTE_0 src1_sel:DWORD
	s_and_saveexec_b32 s13, s4
	s_cbranch_execz .LBB231_959
; %bb.952:                              ;   in Loop: Header=BB231_678 Depth=1
	v_bfrev_b32_e32 v16, 1
	v_mov_b32_e32 v17, 0
	v_cmp_ne_u16_sdwa s4, v12, v68 src0_sel:BYTE_0 src1_sel:DWORD
	s_and_saveexec_b32 s15, s4
	s_cbranch_execz .LBB231_958
; %bb.953:                              ;   in Loop: Header=BB231_678 Depth=1
	v_mov_b32_e32 v16, 0x7f800001
	v_and_b32_e32 v10, 0x7f, v12
	v_mov_b32_e32 v17, 0
	s_mov_b32 s16, exec_lo
	v_cmpx_ne_u32_e32 0x7f, v10
	s_cbranch_execz .LBB231_957
; %bb.954:                              ;   in Loop: Header=BB231_678 Depth=1
	v_and_b32_e32 v6, 7, v12
	v_lshrrev_b32_e32 v8, 3, v10
	s_mov_b32 s17, exec_lo
	v_cmpx_gt_u32_e32 8, v10
; %bb.955:                              ;   in Loop: Header=BB231_678 Depth=1
	v_ffbh_u32_e32 v8, v6
	v_min_u32_e32 v8, 32, v8
	v_subrev_nc_u32_e32 v10, 28, v8
	v_sub_nc_u32_e32 v8, 29, v8
	v_lshlrev_b64 v[16:17], v10, v[6:7]
	v_and_b32_e32 v6, 7, v16
; %bb.956:                              ;   in Loop: Header=BB231_678 Depth=1
	s_or_b32 exec_lo, exec_lo, s17
	v_lshlrev_b32_e32 v10, 24, v12
	v_lshlrev_b32_e32 v6, 20, v6
	v_lshl_add_u32 v8, v8, 23, 0x3c000000
	v_and_b32_e32 v10, 0x80000000, v10
	v_or3_b32 v6, v6, v10, v8
	v_mov_b32_e32 v17, v7
	v_mov_b32_e32 v16, v6
.LBB231_957:                            ;   in Loop: Header=BB231_678 Depth=1
	s_or_b32 exec_lo, exec_lo, s16
.LBB231_958:                            ;   in Loop: Header=BB231_678 Depth=1
	s_or_b32 exec_lo, exec_lo, s15
.LBB231_959:                            ;   in Loop: Header=BB231_678 Depth=1
	s_or_b32 exec_lo, exec_lo, s13
	v_cmp_ne_u16_sdwa s4, v12, v7 src0_sel:BYTE_1 src1_sel:DWORD
	s_and_saveexec_b32 s13, s4
	s_cbranch_execz .LBB231_967
; %bb.960:                              ;   in Loop: Header=BB231_678 Depth=1
	v_mov_b32_e32 v8, v7
	v_mov_b32_e32 v19, v9
	v_cmp_ne_u16_sdwa s4, v12, v68 src0_sel:BYTE_1 src1_sel:DWORD
	v_mov_b32_e32 v18, v8
	s_and_saveexec_b32 s15, s4
	s_cbranch_execz .LBB231_966
; %bb.961:                              ;   in Loop: Header=BB231_678 Depth=1
	v_and_b32_sdwa v6, v69, v12 dst_sel:DWORD dst_unused:UNUSED_PAD src0_sel:DWORD src1_sel:BYTE_1
	v_mov_b32_e32 v10, v7
	v_mov_b32_e32 v19, v11
	s_mov_b32 s16, exec_lo
	v_and_b32_e32 v13, 0x7f, v6
	v_mov_b32_e32 v18, v10
	v_cmpx_ne_u32_e32 0x7f, v13
	s_cbranch_execz .LBB231_965
; %bb.962:                              ;   in Loop: Header=BB231_678 Depth=1
	v_and_b32_e32 v6, 7, v6
	v_lshrrev_b32_e32 v8, 3, v13
	s_mov_b32 s17, exec_lo
	v_cmpx_gt_u32_e32 8, v13
; %bb.963:                              ;   in Loop: Header=BB231_678 Depth=1
	v_ffbh_u32_e32 v8, v6
	v_min_u32_e32 v8, 32, v8
	v_subrev_nc_u32_e32 v10, 28, v8
	v_sub_nc_u32_e32 v8, 29, v8
	v_lshlrev_b64 v[18:19], v10, v[6:7]
	v_and_b32_e32 v6, 7, v18
; %bb.964:                              ;   in Loop: Header=BB231_678 Depth=1
	s_or_b32 exec_lo, exec_lo, s17
	v_lshlrev_b32_e32 v10, 16, v12
	v_lshlrev_b32_e32 v6, 20, v6
	v_lshl_add_u32 v8, v8, 23, 0x3c000000
	v_mov_b32_e32 v18, v7
	v_and_b32_e32 v10, 0x80000000, v10
	v_or3_b32 v19, v6, v10, v8
.LBB231_965:                            ;   in Loop: Header=BB231_678 Depth=1
	s_or_b32 exec_lo, exec_lo, s16
.LBB231_966:                            ;   in Loop: Header=BB231_678 Depth=1
	s_or_b32 exec_lo, exec_lo, s15
.LBB231_967:                            ;   in Loop: Header=BB231_678 Depth=1
	s_or_b32 exec_lo, exec_lo, s13
	v_mov_b32_e32 v23, 0
	v_mov_b32_e32 v21, 0
	v_and_b32_sdwa v6, v12, v70 dst_sel:DWORD dst_unused:UNUSED_PAD src0_sel:WORD_1 src1_sel:DWORD
	v_mov_b32_e32 v24, 0
	v_mov_b32_e32 v22, 0
	s_mov_b32 s13, exec_lo
	v_cmpx_ne_u16_e32 0, v6
	s_cbranch_execz .LBB231_975
; %bb.968:                              ;   in Loop: Header=BB231_678 Depth=1
	v_bfrev_b32_e32 v21, 1
	v_mov_b32_e32 v22, 0
	s_mov_b32 s15, exec_lo
	v_cmpx_ne_u16_e32 0x80, v6
	s_cbranch_execz .LBB231_974
; %bb.969:                              ;   in Loop: Header=BB231_678 Depth=1
	v_mov_b32_e32 v21, 0x7f800001
	v_bfe_u32 v10, v12, 16, 7
	v_mov_b32_e32 v22, 0
	s_mov_b32 s16, exec_lo
	v_cmpx_ne_u32_e32 0x7f, v10
	s_cbranch_execz .LBB231_973
; %bb.970:                              ;   in Loop: Header=BB231_678 Depth=1
	v_and_b32_sdwa v6, v12, v71 dst_sel:DWORD dst_unused:UNUSED_PAD src0_sel:WORD_1 src1_sel:DWORD
	v_lshrrev_b32_e32 v8, 3, v10
	s_mov_b32 s17, exec_lo
	v_cmpx_gt_u32_e32 8, v10
; %bb.971:                              ;   in Loop: Header=BB231_678 Depth=1
	v_ffbh_u32_e32 v8, v6
	v_min_u32_e32 v8, 32, v8
	v_subrev_nc_u32_e32 v10, 28, v8
	v_sub_nc_u32_e32 v8, 29, v8
	v_lshlrev_b64 v[21:22], v10, v[6:7]
	v_and_b32_e32 v6, 7, v21
; %bb.972:                              ;   in Loop: Header=BB231_678 Depth=1
	s_or_b32 exec_lo, exec_lo, s17
	v_lshlrev_b32_sdwa v10, v80, v12 dst_sel:DWORD dst_unused:UNUSED_PAD src0_sel:DWORD src1_sel:WORD_1
	v_lshlrev_b32_e32 v6, 20, v6
	v_lshl_add_u32 v8, v8, 23, 0x3c000000
	v_and_b32_e32 v10, 0x80000000, v10
	v_or3_b32 v6, v6, v10, v8
	v_mov_b32_e32 v22, v7
	v_mov_b32_e32 v21, v6
.LBB231_973:                            ;   in Loop: Header=BB231_678 Depth=1
	s_or_b32 exec_lo, exec_lo, s16
.LBB231_974:                            ;   in Loop: Header=BB231_678 Depth=1
	s_or_b32 exec_lo, exec_lo, s15
.LBB231_975:                            ;   in Loop: Header=BB231_678 Depth=1
	s_or_b32 exec_lo, exec_lo, s13
	s_mov_b32 s13, exec_lo
	v_cmpx_lt_u32_e32 0xffffff, v12
	s_cbranch_execz .LBB231_983
; %bb.976:                              ;   in Loop: Header=BB231_678 Depth=1
	v_mov_b32_e32 v8, v7
	v_mov_b32_e32 v24, v9
	v_cmp_ne_u32_sdwa s4, v12, v68 src0_sel:BYTE_3 src1_sel:DWORD
	v_mov_b32_e32 v23, v8
	s_and_saveexec_b32 s15, s4
	s_cbranch_execz .LBB231_982
; %bb.977:                              ;   in Loop: Header=BB231_678 Depth=1
	v_mov_b32_e32 v10, v7
	v_mov_b32_e32 v24, v11
	v_bfe_u32 v13, v12, 24, 7
	s_mov_b32 s16, exec_lo
	v_mov_b32_e32 v23, v10
	v_cmpx_ne_u32_e32 0x7f, v13
	s_cbranch_execz .LBB231_981
; %bb.978:                              ;   in Loop: Header=BB231_678 Depth=1
	v_and_b32_sdwa v6, v12, v71 dst_sel:DWORD dst_unused:UNUSED_PAD src0_sel:BYTE_3 src1_sel:DWORD
	v_lshrrev_b32_e32 v8, 3, v13
	s_mov_b32 s17, exec_lo
	v_cmpx_gt_u32_e32 8, v13
; %bb.979:                              ;   in Loop: Header=BB231_678 Depth=1
	v_ffbh_u32_e32 v8, v6
	v_min_u32_e32 v8, 32, v8
	v_subrev_nc_u32_e32 v10, 28, v8
	v_sub_nc_u32_e32 v8, 29, v8
	v_lshlrev_b64 v[23:24], v10, v[6:7]
	v_and_b32_e32 v6, 7, v23
; %bb.980:                              ;   in Loop: Header=BB231_678 Depth=1
	s_or_b32 exec_lo, exec_lo, s17
	v_lshlrev_b32_sdwa v10, v80, v12 dst_sel:DWORD dst_unused:UNUSED_PAD src0_sel:DWORD src1_sel:BYTE_3
	v_lshlrev_b32_e32 v6, 20, v6
	v_lshl_add_u32 v8, v8, 23, 0x3c000000
	v_mov_b32_e32 v23, v7
	v_and_b32_e32 v10, 0x80000000, v10
	v_or3_b32 v24, v6, v10, v8
.LBB231_981:                            ;   in Loop: Header=BB231_678 Depth=1
	s_or_b32 exec_lo, exec_lo, s16
.LBB231_982:                            ;   in Loop: Header=BB231_678 Depth=1
	s_or_b32 exec_lo, exec_lo, s15
.LBB231_983:                            ;   in Loop: Header=BB231_678 Depth=1
	s_or_b32 exec_lo, exec_lo, s13
	v_or_b32_e32 v6, v19, v17
	v_or_b32_e32 v8, v18, v16
	v_or_b32_e32 v10, v23, v21
	v_or_b32_e32 v12, v24, v22
	v_mul_f32_e32 v77, v84, v6
	v_mul_f32_e32 v76, v84, v8
	;; [unrolled: 1-line block ×4, first 2 shown]
	s_and_saveexec_b32 s13, vcc_lo
	s_cbranch_execz .LBB231_985
; %bb.984:                              ;   in Loop: Header=BB231_678 Depth=1
	v_cmp_lt_i32_e64 s4, v97, v88
	v_cndmask_b32_e64 v76, 0, v76, s4
	v_cmp_lt_i32_e64 s4, v100, v88
	v_cndmask_b32_e64 v77, 0, v77, s4
	;; [unrolled: 2-line block ×4, first 2 shown]
.LBB231_985:                            ;   in Loop: Header=BB231_678 Depth=1
	s_or_b32 exec_lo, exec_lo, s13
	flat_load_dword v12, v[4:5] offset:1152
	v_mov_b32_e32 v18, 0
	v_mov_b32_e32 v16, 0
	;; [unrolled: 1-line block ×4, first 2 shown]
	s_waitcnt vmcnt(0) lgkmcnt(0)
	v_cmp_ne_u16_sdwa s4, v12, v7 src0_sel:BYTE_0 src1_sel:DWORD
	s_and_saveexec_b32 s13, s4
	s_cbranch_execz .LBB231_993
; %bb.986:                              ;   in Loop: Header=BB231_678 Depth=1
	v_bfrev_b32_e32 v16, 1
	v_mov_b32_e32 v17, 0
	v_cmp_ne_u16_sdwa s4, v12, v68 src0_sel:BYTE_0 src1_sel:DWORD
	s_and_saveexec_b32 s15, s4
	s_cbranch_execz .LBB231_992
; %bb.987:                              ;   in Loop: Header=BB231_678 Depth=1
	v_mov_b32_e32 v16, 0x7f800001
	v_and_b32_e32 v10, 0x7f, v12
	v_mov_b32_e32 v17, 0
	s_mov_b32 s16, exec_lo
	v_cmpx_ne_u32_e32 0x7f, v10
	s_cbranch_execz .LBB231_991
; %bb.988:                              ;   in Loop: Header=BB231_678 Depth=1
	v_and_b32_e32 v6, 7, v12
	v_lshrrev_b32_e32 v8, 3, v10
	s_mov_b32 s17, exec_lo
	v_cmpx_gt_u32_e32 8, v10
; %bb.989:                              ;   in Loop: Header=BB231_678 Depth=1
	v_ffbh_u32_e32 v8, v6
	v_min_u32_e32 v8, 32, v8
	v_subrev_nc_u32_e32 v10, 28, v8
	v_sub_nc_u32_e32 v8, 29, v8
	v_lshlrev_b64 v[16:17], v10, v[6:7]
	v_and_b32_e32 v6, 7, v16
; %bb.990:                              ;   in Loop: Header=BB231_678 Depth=1
	s_or_b32 exec_lo, exec_lo, s17
	v_lshlrev_b32_e32 v10, 24, v12
	v_lshlrev_b32_e32 v6, 20, v6
	v_lshl_add_u32 v8, v8, 23, 0x3c000000
	v_and_b32_e32 v10, 0x80000000, v10
	v_or3_b32 v6, v6, v10, v8
	v_mov_b32_e32 v17, v7
	v_mov_b32_e32 v16, v6
.LBB231_991:                            ;   in Loop: Header=BB231_678 Depth=1
	s_or_b32 exec_lo, exec_lo, s16
.LBB231_992:                            ;   in Loop: Header=BB231_678 Depth=1
	s_or_b32 exec_lo, exec_lo, s15
.LBB231_993:                            ;   in Loop: Header=BB231_678 Depth=1
	s_or_b32 exec_lo, exec_lo, s13
	v_cmp_ne_u16_sdwa s4, v12, v7 src0_sel:BYTE_1 src1_sel:DWORD
	s_and_saveexec_b32 s13, s4
	s_cbranch_execz .LBB231_1001
; %bb.994:                              ;   in Loop: Header=BB231_678 Depth=1
	v_mov_b32_e32 v8, v7
	v_mov_b32_e32 v19, v9
	v_cmp_ne_u16_sdwa s4, v12, v68 src0_sel:BYTE_1 src1_sel:DWORD
	v_mov_b32_e32 v18, v8
	s_and_saveexec_b32 s15, s4
	s_cbranch_execz .LBB231_1000
; %bb.995:                              ;   in Loop: Header=BB231_678 Depth=1
	v_and_b32_sdwa v6, v69, v12 dst_sel:DWORD dst_unused:UNUSED_PAD src0_sel:DWORD src1_sel:BYTE_1
	v_mov_b32_e32 v10, v7
	v_mov_b32_e32 v19, v11
	s_mov_b32 s16, exec_lo
	v_and_b32_e32 v13, 0x7f, v6
	v_mov_b32_e32 v18, v10
	v_cmpx_ne_u32_e32 0x7f, v13
	s_cbranch_execz .LBB231_999
; %bb.996:                              ;   in Loop: Header=BB231_678 Depth=1
	v_and_b32_e32 v6, 7, v6
	v_lshrrev_b32_e32 v8, 3, v13
	s_mov_b32 s17, exec_lo
	v_cmpx_gt_u32_e32 8, v13
; %bb.997:                              ;   in Loop: Header=BB231_678 Depth=1
	v_ffbh_u32_e32 v8, v6
	v_min_u32_e32 v8, 32, v8
	v_subrev_nc_u32_e32 v10, 28, v8
	v_sub_nc_u32_e32 v8, 29, v8
	v_lshlrev_b64 v[18:19], v10, v[6:7]
	v_and_b32_e32 v6, 7, v18
; %bb.998:                              ;   in Loop: Header=BB231_678 Depth=1
	s_or_b32 exec_lo, exec_lo, s17
	v_lshlrev_b32_e32 v10, 16, v12
	v_lshlrev_b32_e32 v6, 20, v6
	v_lshl_add_u32 v8, v8, 23, 0x3c000000
	v_mov_b32_e32 v18, v7
	v_and_b32_e32 v10, 0x80000000, v10
	v_or3_b32 v19, v6, v10, v8
.LBB231_999:                            ;   in Loop: Header=BB231_678 Depth=1
	s_or_b32 exec_lo, exec_lo, s16
.LBB231_1000:                           ;   in Loop: Header=BB231_678 Depth=1
	s_or_b32 exec_lo, exec_lo, s15
.LBB231_1001:                           ;   in Loop: Header=BB231_678 Depth=1
	s_or_b32 exec_lo, exec_lo, s13
	v_mov_b32_e32 v23, 0
	v_mov_b32_e32 v21, 0
	v_and_b32_sdwa v6, v12, v70 dst_sel:DWORD dst_unused:UNUSED_PAD src0_sel:WORD_1 src1_sel:DWORD
	v_mov_b32_e32 v24, 0
	v_mov_b32_e32 v22, 0
	s_mov_b32 s13, exec_lo
	v_cmpx_ne_u16_e32 0, v6
	s_cbranch_execz .LBB231_1009
; %bb.1002:                             ;   in Loop: Header=BB231_678 Depth=1
	v_bfrev_b32_e32 v21, 1
	v_mov_b32_e32 v22, 0
	s_mov_b32 s15, exec_lo
	v_cmpx_ne_u16_e32 0x80, v6
	s_cbranch_execz .LBB231_1008
; %bb.1003:                             ;   in Loop: Header=BB231_678 Depth=1
	v_mov_b32_e32 v21, 0x7f800001
	v_bfe_u32 v10, v12, 16, 7
	v_mov_b32_e32 v22, 0
	s_mov_b32 s16, exec_lo
	v_cmpx_ne_u32_e32 0x7f, v10
	s_cbranch_execz .LBB231_1007
; %bb.1004:                             ;   in Loop: Header=BB231_678 Depth=1
	v_and_b32_sdwa v6, v12, v71 dst_sel:DWORD dst_unused:UNUSED_PAD src0_sel:WORD_1 src1_sel:DWORD
	v_lshrrev_b32_e32 v8, 3, v10
	s_mov_b32 s17, exec_lo
	v_cmpx_gt_u32_e32 8, v10
; %bb.1005:                             ;   in Loop: Header=BB231_678 Depth=1
	v_ffbh_u32_e32 v8, v6
	v_min_u32_e32 v8, 32, v8
	v_subrev_nc_u32_e32 v10, 28, v8
	v_sub_nc_u32_e32 v8, 29, v8
	v_lshlrev_b64 v[21:22], v10, v[6:7]
	v_and_b32_e32 v6, 7, v21
; %bb.1006:                             ;   in Loop: Header=BB231_678 Depth=1
	s_or_b32 exec_lo, exec_lo, s17
	v_lshlrev_b32_sdwa v10, v80, v12 dst_sel:DWORD dst_unused:UNUSED_PAD src0_sel:DWORD src1_sel:WORD_1
	v_lshlrev_b32_e32 v6, 20, v6
	v_lshl_add_u32 v8, v8, 23, 0x3c000000
	v_and_b32_e32 v10, 0x80000000, v10
	v_or3_b32 v6, v6, v10, v8
	v_mov_b32_e32 v22, v7
	v_mov_b32_e32 v21, v6
.LBB231_1007:                           ;   in Loop: Header=BB231_678 Depth=1
	s_or_b32 exec_lo, exec_lo, s16
.LBB231_1008:                           ;   in Loop: Header=BB231_678 Depth=1
	s_or_b32 exec_lo, exec_lo, s15
.LBB231_1009:                           ;   in Loop: Header=BB231_678 Depth=1
	s_or_b32 exec_lo, exec_lo, s13
	s_mov_b32 s13, exec_lo
	v_cmpx_lt_u32_e32 0xffffff, v12
	s_cbranch_execz .LBB231_1017
; %bb.1010:                             ;   in Loop: Header=BB231_678 Depth=1
	v_mov_b32_e32 v8, v7
	v_mov_b32_e32 v24, v9
	v_cmp_ne_u32_sdwa s4, v12, v68 src0_sel:BYTE_3 src1_sel:DWORD
	v_mov_b32_e32 v23, v8
	s_and_saveexec_b32 s15, s4
	s_cbranch_execz .LBB231_1016
; %bb.1011:                             ;   in Loop: Header=BB231_678 Depth=1
	v_mov_b32_e32 v10, v7
	v_mov_b32_e32 v24, v11
	v_bfe_u32 v13, v12, 24, 7
	s_mov_b32 s16, exec_lo
	v_mov_b32_e32 v23, v10
	v_cmpx_ne_u32_e32 0x7f, v13
	s_cbranch_execz .LBB231_1015
; %bb.1012:                             ;   in Loop: Header=BB231_678 Depth=1
	v_and_b32_sdwa v6, v12, v71 dst_sel:DWORD dst_unused:UNUSED_PAD src0_sel:BYTE_3 src1_sel:DWORD
	v_lshrrev_b32_e32 v8, 3, v13
	s_mov_b32 s17, exec_lo
	v_cmpx_gt_u32_e32 8, v13
; %bb.1013:                             ;   in Loop: Header=BB231_678 Depth=1
	v_ffbh_u32_e32 v8, v6
	v_min_u32_e32 v8, 32, v8
	v_subrev_nc_u32_e32 v10, 28, v8
	v_sub_nc_u32_e32 v8, 29, v8
	v_lshlrev_b64 v[23:24], v10, v[6:7]
	v_and_b32_e32 v6, 7, v23
; %bb.1014:                             ;   in Loop: Header=BB231_678 Depth=1
	s_or_b32 exec_lo, exec_lo, s17
	v_lshlrev_b32_sdwa v10, v80, v12 dst_sel:DWORD dst_unused:UNUSED_PAD src0_sel:DWORD src1_sel:BYTE_3
	v_lshlrev_b32_e32 v6, 20, v6
	v_lshl_add_u32 v8, v8, 23, 0x3c000000
	v_mov_b32_e32 v23, v7
	v_and_b32_e32 v10, 0x80000000, v10
	v_or3_b32 v24, v6, v10, v8
.LBB231_1015:                           ;   in Loop: Header=BB231_678 Depth=1
	s_or_b32 exec_lo, exec_lo, s16
.LBB231_1016:                           ;   in Loop: Header=BB231_678 Depth=1
	s_or_b32 exec_lo, exec_lo, s15
.LBB231_1017:                           ;   in Loop: Header=BB231_678 Depth=1
	s_or_b32 exec_lo, exec_lo, s13
	v_or_b32_e32 v6, v19, v17
	v_or_b32_e32 v8, v18, v16
	;; [unrolled: 1-line block ×4, first 2 shown]
	v_mul_f32_e32 v90, v84, v6
	v_mul_f32_e32 v89, v84, v8
	;; [unrolled: 1-line block ×4, first 2 shown]
	s_and_saveexec_b32 s13, vcc_lo
	s_cbranch_execz .LBB231_1019
; %bb.1018:                             ;   in Loop: Header=BB231_678 Depth=1
	v_cmp_lt_i32_e64 s4, v97, v88
	v_cndmask_b32_e64 v89, 0, v89, s4
	v_cmp_lt_i32_e64 s4, v100, v88
	v_cndmask_b32_e64 v90, 0, v90, s4
	;; [unrolled: 2-line block ×4, first 2 shown]
.LBB231_1019:                           ;   in Loop: Header=BB231_678 Depth=1
	s_or_b32 exec_lo, exec_lo, s13
	flat_load_dword v12, v[4:5] offset:1280
	v_mov_b32_e32 v18, 0
	v_mov_b32_e32 v16, 0
	;; [unrolled: 1-line block ×4, first 2 shown]
	s_waitcnt vmcnt(0) lgkmcnt(0)
	v_cmp_ne_u16_sdwa s4, v12, v7 src0_sel:BYTE_0 src1_sel:DWORD
	s_and_saveexec_b32 s13, s4
	s_cbranch_execz .LBB231_1027
; %bb.1020:                             ;   in Loop: Header=BB231_678 Depth=1
	v_bfrev_b32_e32 v16, 1
	v_mov_b32_e32 v17, 0
	v_cmp_ne_u16_sdwa s4, v12, v68 src0_sel:BYTE_0 src1_sel:DWORD
	s_and_saveexec_b32 s15, s4
	s_cbranch_execz .LBB231_1026
; %bb.1021:                             ;   in Loop: Header=BB231_678 Depth=1
	v_mov_b32_e32 v16, 0x7f800001
	v_and_b32_e32 v10, 0x7f, v12
	v_mov_b32_e32 v17, 0
	s_mov_b32 s16, exec_lo
	v_cmpx_ne_u32_e32 0x7f, v10
	s_cbranch_execz .LBB231_1025
; %bb.1022:                             ;   in Loop: Header=BB231_678 Depth=1
	v_and_b32_e32 v6, 7, v12
	v_lshrrev_b32_e32 v8, 3, v10
	s_mov_b32 s17, exec_lo
	v_cmpx_gt_u32_e32 8, v10
; %bb.1023:                             ;   in Loop: Header=BB231_678 Depth=1
	v_ffbh_u32_e32 v8, v6
	v_min_u32_e32 v8, 32, v8
	v_subrev_nc_u32_e32 v10, 28, v8
	v_sub_nc_u32_e32 v8, 29, v8
	v_lshlrev_b64 v[16:17], v10, v[6:7]
	v_and_b32_e32 v6, 7, v16
; %bb.1024:                             ;   in Loop: Header=BB231_678 Depth=1
	s_or_b32 exec_lo, exec_lo, s17
	v_lshlrev_b32_e32 v10, 24, v12
	v_lshlrev_b32_e32 v6, 20, v6
	v_lshl_add_u32 v8, v8, 23, 0x3c000000
	v_and_b32_e32 v10, 0x80000000, v10
	v_or3_b32 v6, v6, v10, v8
	v_mov_b32_e32 v17, v7
	v_mov_b32_e32 v16, v6
.LBB231_1025:                           ;   in Loop: Header=BB231_678 Depth=1
	s_or_b32 exec_lo, exec_lo, s16
.LBB231_1026:                           ;   in Loop: Header=BB231_678 Depth=1
	s_or_b32 exec_lo, exec_lo, s15
.LBB231_1027:                           ;   in Loop: Header=BB231_678 Depth=1
	s_or_b32 exec_lo, exec_lo, s13
	v_cmp_ne_u16_sdwa s4, v12, v7 src0_sel:BYTE_1 src1_sel:DWORD
	s_and_saveexec_b32 s13, s4
	s_cbranch_execz .LBB231_1035
; %bb.1028:                             ;   in Loop: Header=BB231_678 Depth=1
	v_mov_b32_e32 v8, v7
	v_mov_b32_e32 v19, v9
	v_cmp_ne_u16_sdwa s4, v12, v68 src0_sel:BYTE_1 src1_sel:DWORD
	v_mov_b32_e32 v18, v8
	s_and_saveexec_b32 s15, s4
	s_cbranch_execz .LBB231_1034
; %bb.1029:                             ;   in Loop: Header=BB231_678 Depth=1
	v_and_b32_sdwa v6, v69, v12 dst_sel:DWORD dst_unused:UNUSED_PAD src0_sel:DWORD src1_sel:BYTE_1
	v_mov_b32_e32 v10, v7
	v_mov_b32_e32 v19, v11
	s_mov_b32 s16, exec_lo
	v_and_b32_e32 v13, 0x7f, v6
	v_mov_b32_e32 v18, v10
	v_cmpx_ne_u32_e32 0x7f, v13
	s_cbranch_execz .LBB231_1033
; %bb.1030:                             ;   in Loop: Header=BB231_678 Depth=1
	v_and_b32_e32 v6, 7, v6
	v_lshrrev_b32_e32 v8, 3, v13
	s_mov_b32 s17, exec_lo
	v_cmpx_gt_u32_e32 8, v13
; %bb.1031:                             ;   in Loop: Header=BB231_678 Depth=1
	v_ffbh_u32_e32 v8, v6
	v_min_u32_e32 v8, 32, v8
	v_subrev_nc_u32_e32 v10, 28, v8
	v_sub_nc_u32_e32 v8, 29, v8
	v_lshlrev_b64 v[18:19], v10, v[6:7]
	v_and_b32_e32 v6, 7, v18
; %bb.1032:                             ;   in Loop: Header=BB231_678 Depth=1
	s_or_b32 exec_lo, exec_lo, s17
	v_lshlrev_b32_e32 v10, 16, v12
	v_lshlrev_b32_e32 v6, 20, v6
	v_lshl_add_u32 v8, v8, 23, 0x3c000000
	v_mov_b32_e32 v18, v7
	v_and_b32_e32 v10, 0x80000000, v10
	v_or3_b32 v19, v6, v10, v8
.LBB231_1033:                           ;   in Loop: Header=BB231_678 Depth=1
	s_or_b32 exec_lo, exec_lo, s16
.LBB231_1034:                           ;   in Loop: Header=BB231_678 Depth=1
	s_or_b32 exec_lo, exec_lo, s15
.LBB231_1035:                           ;   in Loop: Header=BB231_678 Depth=1
	s_or_b32 exec_lo, exec_lo, s13
	v_mov_b32_e32 v23, 0
	v_mov_b32_e32 v21, 0
	v_and_b32_sdwa v6, v12, v70 dst_sel:DWORD dst_unused:UNUSED_PAD src0_sel:WORD_1 src1_sel:DWORD
	v_mov_b32_e32 v24, 0
	v_mov_b32_e32 v22, 0
	s_mov_b32 s13, exec_lo
	v_cmpx_ne_u16_e32 0, v6
	s_cbranch_execz .LBB231_1043
; %bb.1036:                             ;   in Loop: Header=BB231_678 Depth=1
	v_bfrev_b32_e32 v21, 1
	v_mov_b32_e32 v22, 0
	s_mov_b32 s15, exec_lo
	v_cmpx_ne_u16_e32 0x80, v6
	s_cbranch_execz .LBB231_1042
; %bb.1037:                             ;   in Loop: Header=BB231_678 Depth=1
	v_mov_b32_e32 v21, 0x7f800001
	v_bfe_u32 v10, v12, 16, 7
	v_mov_b32_e32 v22, 0
	s_mov_b32 s16, exec_lo
	v_cmpx_ne_u32_e32 0x7f, v10
	s_cbranch_execz .LBB231_1041
; %bb.1038:                             ;   in Loop: Header=BB231_678 Depth=1
	v_and_b32_sdwa v6, v12, v71 dst_sel:DWORD dst_unused:UNUSED_PAD src0_sel:WORD_1 src1_sel:DWORD
	v_lshrrev_b32_e32 v8, 3, v10
	s_mov_b32 s17, exec_lo
	v_cmpx_gt_u32_e32 8, v10
; %bb.1039:                             ;   in Loop: Header=BB231_678 Depth=1
	v_ffbh_u32_e32 v8, v6
	v_min_u32_e32 v8, 32, v8
	v_subrev_nc_u32_e32 v10, 28, v8
	v_sub_nc_u32_e32 v8, 29, v8
	v_lshlrev_b64 v[21:22], v10, v[6:7]
	v_and_b32_e32 v6, 7, v21
; %bb.1040:                             ;   in Loop: Header=BB231_678 Depth=1
	s_or_b32 exec_lo, exec_lo, s17
	v_lshlrev_b32_sdwa v10, v80, v12 dst_sel:DWORD dst_unused:UNUSED_PAD src0_sel:DWORD src1_sel:WORD_1
	v_lshlrev_b32_e32 v6, 20, v6
	v_lshl_add_u32 v8, v8, 23, 0x3c000000
	v_and_b32_e32 v10, 0x80000000, v10
	v_or3_b32 v6, v6, v10, v8
	v_mov_b32_e32 v22, v7
	v_mov_b32_e32 v21, v6
.LBB231_1041:                           ;   in Loop: Header=BB231_678 Depth=1
	s_or_b32 exec_lo, exec_lo, s16
.LBB231_1042:                           ;   in Loop: Header=BB231_678 Depth=1
	s_or_b32 exec_lo, exec_lo, s15
.LBB231_1043:                           ;   in Loop: Header=BB231_678 Depth=1
	s_or_b32 exec_lo, exec_lo, s13
	s_mov_b32 s13, exec_lo
	v_cmpx_lt_u32_e32 0xffffff, v12
	s_cbranch_execz .LBB231_1051
; %bb.1044:                             ;   in Loop: Header=BB231_678 Depth=1
	v_mov_b32_e32 v8, v7
	v_mov_b32_e32 v24, v9
	v_cmp_ne_u32_sdwa s4, v12, v68 src0_sel:BYTE_3 src1_sel:DWORD
	v_mov_b32_e32 v23, v8
	s_and_saveexec_b32 s15, s4
	s_cbranch_execz .LBB231_1050
; %bb.1045:                             ;   in Loop: Header=BB231_678 Depth=1
	v_mov_b32_e32 v10, v7
	v_mov_b32_e32 v24, v11
	v_bfe_u32 v13, v12, 24, 7
	s_mov_b32 s16, exec_lo
	v_mov_b32_e32 v23, v10
	v_cmpx_ne_u32_e32 0x7f, v13
	s_cbranch_execz .LBB231_1049
; %bb.1046:                             ;   in Loop: Header=BB231_678 Depth=1
	v_and_b32_sdwa v6, v12, v71 dst_sel:DWORD dst_unused:UNUSED_PAD src0_sel:BYTE_3 src1_sel:DWORD
	v_lshrrev_b32_e32 v8, 3, v13
	s_mov_b32 s17, exec_lo
	v_cmpx_gt_u32_e32 8, v13
; %bb.1047:                             ;   in Loop: Header=BB231_678 Depth=1
	v_ffbh_u32_e32 v8, v6
	v_min_u32_e32 v8, 32, v8
	v_subrev_nc_u32_e32 v10, 28, v8
	v_sub_nc_u32_e32 v8, 29, v8
	v_lshlrev_b64 v[23:24], v10, v[6:7]
	v_and_b32_e32 v6, 7, v23
; %bb.1048:                             ;   in Loop: Header=BB231_678 Depth=1
	s_or_b32 exec_lo, exec_lo, s17
	v_lshlrev_b32_sdwa v10, v80, v12 dst_sel:DWORD dst_unused:UNUSED_PAD src0_sel:DWORD src1_sel:BYTE_3
	v_lshlrev_b32_e32 v6, 20, v6
	v_lshl_add_u32 v8, v8, 23, 0x3c000000
	v_mov_b32_e32 v23, v7
	v_and_b32_e32 v10, 0x80000000, v10
	v_or3_b32 v24, v6, v10, v8
.LBB231_1049:                           ;   in Loop: Header=BB231_678 Depth=1
	s_or_b32 exec_lo, exec_lo, s16
.LBB231_1050:                           ;   in Loop: Header=BB231_678 Depth=1
	s_or_b32 exec_lo, exec_lo, s15
.LBB231_1051:                           ;   in Loop: Header=BB231_678 Depth=1
	s_or_b32 exec_lo, exec_lo, s13
	v_or_b32_e32 v6, v19, v17
	v_or_b32_e32 v8, v18, v16
	;; [unrolled: 1-line block ×4, first 2 shown]
	v_mul_f32_e32 v94, v84, v6
	v_mul_f32_e32 v93, v84, v8
	;; [unrolled: 1-line block ×4, first 2 shown]
	s_and_saveexec_b32 s13, vcc_lo
	s_cbranch_execz .LBB231_1053
; %bb.1052:                             ;   in Loop: Header=BB231_678 Depth=1
	v_cmp_lt_i32_e64 s4, v97, v88
	v_cndmask_b32_e64 v93, 0, v93, s4
	v_cmp_lt_i32_e64 s4, v100, v88
	v_cndmask_b32_e64 v94, 0, v94, s4
	;; [unrolled: 2-line block ×4, first 2 shown]
.LBB231_1053:                           ;   in Loop: Header=BB231_678 Depth=1
	s_or_b32 exec_lo, exec_lo, s13
	flat_load_dword v12, v[4:5] offset:1408
	v_mov_b32_e32 v18, 0
	v_mov_b32_e32 v16, 0
	;; [unrolled: 1-line block ×4, first 2 shown]
	s_waitcnt vmcnt(0) lgkmcnt(0)
	v_cmp_ne_u16_sdwa s4, v12, v7 src0_sel:BYTE_0 src1_sel:DWORD
	s_and_saveexec_b32 s13, s4
	s_cbranch_execz .LBB231_1061
; %bb.1054:                             ;   in Loop: Header=BB231_678 Depth=1
	v_bfrev_b32_e32 v16, 1
	v_mov_b32_e32 v17, 0
	v_cmp_ne_u16_sdwa s4, v12, v68 src0_sel:BYTE_0 src1_sel:DWORD
	s_and_saveexec_b32 s15, s4
	s_cbranch_execz .LBB231_1060
; %bb.1055:                             ;   in Loop: Header=BB231_678 Depth=1
	v_mov_b32_e32 v16, 0x7f800001
	v_and_b32_e32 v10, 0x7f, v12
	v_mov_b32_e32 v17, 0
	s_mov_b32 s16, exec_lo
	v_cmpx_ne_u32_e32 0x7f, v10
	s_cbranch_execz .LBB231_1059
; %bb.1056:                             ;   in Loop: Header=BB231_678 Depth=1
	v_and_b32_e32 v6, 7, v12
	v_lshrrev_b32_e32 v8, 3, v10
	s_mov_b32 s17, exec_lo
	v_cmpx_gt_u32_e32 8, v10
; %bb.1057:                             ;   in Loop: Header=BB231_678 Depth=1
	v_ffbh_u32_e32 v8, v6
	v_min_u32_e32 v8, 32, v8
	v_subrev_nc_u32_e32 v10, 28, v8
	v_sub_nc_u32_e32 v8, 29, v8
	v_lshlrev_b64 v[16:17], v10, v[6:7]
	v_and_b32_e32 v6, 7, v16
; %bb.1058:                             ;   in Loop: Header=BB231_678 Depth=1
	s_or_b32 exec_lo, exec_lo, s17
	v_lshlrev_b32_e32 v10, 24, v12
	v_lshlrev_b32_e32 v6, 20, v6
	v_lshl_add_u32 v8, v8, 23, 0x3c000000
	v_and_b32_e32 v10, 0x80000000, v10
	v_or3_b32 v6, v6, v10, v8
	v_mov_b32_e32 v17, v7
	v_mov_b32_e32 v16, v6
.LBB231_1059:                           ;   in Loop: Header=BB231_678 Depth=1
	s_or_b32 exec_lo, exec_lo, s16
.LBB231_1060:                           ;   in Loop: Header=BB231_678 Depth=1
	s_or_b32 exec_lo, exec_lo, s15
.LBB231_1061:                           ;   in Loop: Header=BB231_678 Depth=1
	s_or_b32 exec_lo, exec_lo, s13
	v_cmp_ne_u16_sdwa s4, v12, v7 src0_sel:BYTE_1 src1_sel:DWORD
	s_and_saveexec_b32 s13, s4
	s_cbranch_execz .LBB231_1069
; %bb.1062:                             ;   in Loop: Header=BB231_678 Depth=1
	v_mov_b32_e32 v8, v7
	v_mov_b32_e32 v19, v9
	v_cmp_ne_u16_sdwa s4, v12, v68 src0_sel:BYTE_1 src1_sel:DWORD
	v_mov_b32_e32 v18, v8
	s_and_saveexec_b32 s15, s4
	s_cbranch_execz .LBB231_1068
; %bb.1063:                             ;   in Loop: Header=BB231_678 Depth=1
	v_and_b32_sdwa v6, v69, v12 dst_sel:DWORD dst_unused:UNUSED_PAD src0_sel:DWORD src1_sel:BYTE_1
	v_mov_b32_e32 v10, v7
	v_mov_b32_e32 v19, v11
	s_mov_b32 s16, exec_lo
	v_and_b32_e32 v13, 0x7f, v6
	v_mov_b32_e32 v18, v10
	v_cmpx_ne_u32_e32 0x7f, v13
	s_cbranch_execz .LBB231_1067
; %bb.1064:                             ;   in Loop: Header=BB231_678 Depth=1
	v_and_b32_e32 v6, 7, v6
	v_lshrrev_b32_e32 v8, 3, v13
	s_mov_b32 s17, exec_lo
	v_cmpx_gt_u32_e32 8, v13
; %bb.1065:                             ;   in Loop: Header=BB231_678 Depth=1
	v_ffbh_u32_e32 v8, v6
	v_min_u32_e32 v8, 32, v8
	v_subrev_nc_u32_e32 v10, 28, v8
	v_sub_nc_u32_e32 v8, 29, v8
	v_lshlrev_b64 v[18:19], v10, v[6:7]
	v_and_b32_e32 v6, 7, v18
; %bb.1066:                             ;   in Loop: Header=BB231_678 Depth=1
	s_or_b32 exec_lo, exec_lo, s17
	v_lshlrev_b32_e32 v10, 16, v12
	v_lshlrev_b32_e32 v6, 20, v6
	v_lshl_add_u32 v8, v8, 23, 0x3c000000
	v_mov_b32_e32 v18, v7
	v_and_b32_e32 v10, 0x80000000, v10
	v_or3_b32 v19, v6, v10, v8
.LBB231_1067:                           ;   in Loop: Header=BB231_678 Depth=1
	s_or_b32 exec_lo, exec_lo, s16
.LBB231_1068:                           ;   in Loop: Header=BB231_678 Depth=1
	s_or_b32 exec_lo, exec_lo, s15
.LBB231_1069:                           ;   in Loop: Header=BB231_678 Depth=1
	s_or_b32 exec_lo, exec_lo, s13
	v_mov_b32_e32 v23, 0
	v_mov_b32_e32 v21, 0
	v_and_b32_sdwa v6, v12, v70 dst_sel:DWORD dst_unused:UNUSED_PAD src0_sel:WORD_1 src1_sel:DWORD
	v_mov_b32_e32 v24, 0
	v_mov_b32_e32 v22, 0
	s_mov_b32 s13, exec_lo
	v_cmpx_ne_u16_e32 0, v6
	s_cbranch_execz .LBB231_1077
; %bb.1070:                             ;   in Loop: Header=BB231_678 Depth=1
	v_bfrev_b32_e32 v21, 1
	v_mov_b32_e32 v22, 0
	s_mov_b32 s15, exec_lo
	v_cmpx_ne_u16_e32 0x80, v6
	s_cbranch_execz .LBB231_1076
; %bb.1071:                             ;   in Loop: Header=BB231_678 Depth=1
	v_mov_b32_e32 v21, 0x7f800001
	v_bfe_u32 v10, v12, 16, 7
	v_mov_b32_e32 v22, 0
	s_mov_b32 s16, exec_lo
	v_cmpx_ne_u32_e32 0x7f, v10
	s_cbranch_execz .LBB231_1075
; %bb.1072:                             ;   in Loop: Header=BB231_678 Depth=1
	v_and_b32_sdwa v6, v12, v71 dst_sel:DWORD dst_unused:UNUSED_PAD src0_sel:WORD_1 src1_sel:DWORD
	v_lshrrev_b32_e32 v8, 3, v10
	s_mov_b32 s17, exec_lo
	v_cmpx_gt_u32_e32 8, v10
; %bb.1073:                             ;   in Loop: Header=BB231_678 Depth=1
	v_ffbh_u32_e32 v8, v6
	v_min_u32_e32 v8, 32, v8
	v_subrev_nc_u32_e32 v10, 28, v8
	v_sub_nc_u32_e32 v8, 29, v8
	v_lshlrev_b64 v[21:22], v10, v[6:7]
	v_and_b32_e32 v6, 7, v21
; %bb.1074:                             ;   in Loop: Header=BB231_678 Depth=1
	s_or_b32 exec_lo, exec_lo, s17
	v_lshlrev_b32_sdwa v10, v80, v12 dst_sel:DWORD dst_unused:UNUSED_PAD src0_sel:DWORD src1_sel:WORD_1
	v_lshlrev_b32_e32 v6, 20, v6
	v_lshl_add_u32 v8, v8, 23, 0x3c000000
	v_and_b32_e32 v10, 0x80000000, v10
	v_or3_b32 v6, v6, v10, v8
	v_mov_b32_e32 v22, v7
	v_mov_b32_e32 v21, v6
.LBB231_1075:                           ;   in Loop: Header=BB231_678 Depth=1
	s_or_b32 exec_lo, exec_lo, s16
.LBB231_1076:                           ;   in Loop: Header=BB231_678 Depth=1
	s_or_b32 exec_lo, exec_lo, s15
.LBB231_1077:                           ;   in Loop: Header=BB231_678 Depth=1
	s_or_b32 exec_lo, exec_lo, s13
	s_mov_b32 s13, exec_lo
	v_cmpx_lt_u32_e32 0xffffff, v12
	s_cbranch_execz .LBB231_1085
; %bb.1078:                             ;   in Loop: Header=BB231_678 Depth=1
	v_mov_b32_e32 v8, v7
	v_mov_b32_e32 v24, v9
	v_cmp_ne_u32_sdwa s4, v12, v68 src0_sel:BYTE_3 src1_sel:DWORD
	v_mov_b32_e32 v23, v8
	s_and_saveexec_b32 s15, s4
	s_cbranch_execz .LBB231_1084
; %bb.1079:                             ;   in Loop: Header=BB231_678 Depth=1
	v_mov_b32_e32 v10, v7
	v_mov_b32_e32 v24, v11
	v_bfe_u32 v13, v12, 24, 7
	s_mov_b32 s16, exec_lo
	v_mov_b32_e32 v23, v10
	v_cmpx_ne_u32_e32 0x7f, v13
	s_cbranch_execz .LBB231_1083
; %bb.1080:                             ;   in Loop: Header=BB231_678 Depth=1
	v_and_b32_sdwa v6, v12, v71 dst_sel:DWORD dst_unused:UNUSED_PAD src0_sel:BYTE_3 src1_sel:DWORD
	v_lshrrev_b32_e32 v8, 3, v13
	s_mov_b32 s17, exec_lo
	v_cmpx_gt_u32_e32 8, v13
; %bb.1081:                             ;   in Loop: Header=BB231_678 Depth=1
	v_ffbh_u32_e32 v8, v6
	v_min_u32_e32 v8, 32, v8
	v_subrev_nc_u32_e32 v10, 28, v8
	v_sub_nc_u32_e32 v8, 29, v8
	v_lshlrev_b64 v[23:24], v10, v[6:7]
	v_and_b32_e32 v6, 7, v23
; %bb.1082:                             ;   in Loop: Header=BB231_678 Depth=1
	s_or_b32 exec_lo, exec_lo, s17
	v_lshlrev_b32_sdwa v10, v80, v12 dst_sel:DWORD dst_unused:UNUSED_PAD src0_sel:DWORD src1_sel:BYTE_3
	v_lshlrev_b32_e32 v6, 20, v6
	v_lshl_add_u32 v8, v8, 23, 0x3c000000
	v_mov_b32_e32 v23, v7
	v_and_b32_e32 v10, 0x80000000, v10
	v_or3_b32 v24, v6, v10, v8
.LBB231_1083:                           ;   in Loop: Header=BB231_678 Depth=1
	s_or_b32 exec_lo, exec_lo, s16
.LBB231_1084:                           ;   in Loop: Header=BB231_678 Depth=1
	s_or_b32 exec_lo, exec_lo, s15
.LBB231_1085:                           ;   in Loop: Header=BB231_678 Depth=1
	s_or_b32 exec_lo, exec_lo, s13
	v_or_b32_e32 v6, v19, v17
	v_or_b32_e32 v8, v18, v16
	;; [unrolled: 1-line block ×4, first 2 shown]
	v_mul_f32_e32 v106, v84, v6
	v_mul_f32_e32 v105, v84, v8
	v_mul_f32_e32 v104, v84, v10
	v_mul_f32_e32 v95, v84, v12
	s_and_saveexec_b32 s13, vcc_lo
	s_cbranch_execz .LBB231_1087
; %bb.1086:                             ;   in Loop: Header=BB231_678 Depth=1
	v_cmp_lt_i32_e64 s4, v97, v88
	v_cndmask_b32_e64 v105, 0, v105, s4
	v_cmp_lt_i32_e64 s4, v100, v88
	v_cndmask_b32_e64 v106, 0, v106, s4
	;; [unrolled: 2-line block ×4, first 2 shown]
.LBB231_1087:                           ;   in Loop: Header=BB231_678 Depth=1
	s_or_b32 exec_lo, exec_lo, s13
	flat_load_dword v12, v[4:5] offset:1536
	v_mov_b32_e32 v18, 0
	v_mov_b32_e32 v16, 0
	;; [unrolled: 1-line block ×4, first 2 shown]
	s_waitcnt vmcnt(0) lgkmcnt(0)
	v_cmp_ne_u16_sdwa s4, v12, v7 src0_sel:BYTE_0 src1_sel:DWORD
	s_and_saveexec_b32 s13, s4
	s_cbranch_execz .LBB231_1095
; %bb.1088:                             ;   in Loop: Header=BB231_678 Depth=1
	v_bfrev_b32_e32 v16, 1
	v_mov_b32_e32 v17, 0
	v_cmp_ne_u16_sdwa s4, v12, v68 src0_sel:BYTE_0 src1_sel:DWORD
	s_and_saveexec_b32 s15, s4
	s_cbranch_execz .LBB231_1094
; %bb.1089:                             ;   in Loop: Header=BB231_678 Depth=1
	v_mov_b32_e32 v16, 0x7f800001
	v_and_b32_e32 v10, 0x7f, v12
	v_mov_b32_e32 v17, 0
	s_mov_b32 s16, exec_lo
	v_cmpx_ne_u32_e32 0x7f, v10
	s_cbranch_execz .LBB231_1093
; %bb.1090:                             ;   in Loop: Header=BB231_678 Depth=1
	v_and_b32_e32 v6, 7, v12
	v_lshrrev_b32_e32 v8, 3, v10
	s_mov_b32 s17, exec_lo
	v_cmpx_gt_u32_e32 8, v10
; %bb.1091:                             ;   in Loop: Header=BB231_678 Depth=1
	v_ffbh_u32_e32 v8, v6
	v_min_u32_e32 v8, 32, v8
	v_subrev_nc_u32_e32 v10, 28, v8
	v_sub_nc_u32_e32 v8, 29, v8
	v_lshlrev_b64 v[16:17], v10, v[6:7]
	v_and_b32_e32 v6, 7, v16
; %bb.1092:                             ;   in Loop: Header=BB231_678 Depth=1
	s_or_b32 exec_lo, exec_lo, s17
	v_lshlrev_b32_e32 v10, 24, v12
	v_lshlrev_b32_e32 v6, 20, v6
	v_lshl_add_u32 v8, v8, 23, 0x3c000000
	v_and_b32_e32 v10, 0x80000000, v10
	v_or3_b32 v6, v6, v10, v8
	v_mov_b32_e32 v17, v7
	v_mov_b32_e32 v16, v6
.LBB231_1093:                           ;   in Loop: Header=BB231_678 Depth=1
	s_or_b32 exec_lo, exec_lo, s16
.LBB231_1094:                           ;   in Loop: Header=BB231_678 Depth=1
	s_or_b32 exec_lo, exec_lo, s15
.LBB231_1095:                           ;   in Loop: Header=BB231_678 Depth=1
	s_or_b32 exec_lo, exec_lo, s13
	v_cmp_ne_u16_sdwa s4, v12, v7 src0_sel:BYTE_1 src1_sel:DWORD
	s_and_saveexec_b32 s13, s4
	s_cbranch_execz .LBB231_1103
; %bb.1096:                             ;   in Loop: Header=BB231_678 Depth=1
	v_mov_b32_e32 v8, v7
	v_mov_b32_e32 v19, v9
	v_cmp_ne_u16_sdwa s4, v12, v68 src0_sel:BYTE_1 src1_sel:DWORD
	v_mov_b32_e32 v18, v8
	s_and_saveexec_b32 s15, s4
	s_cbranch_execz .LBB231_1102
; %bb.1097:                             ;   in Loop: Header=BB231_678 Depth=1
	v_and_b32_sdwa v6, v69, v12 dst_sel:DWORD dst_unused:UNUSED_PAD src0_sel:DWORD src1_sel:BYTE_1
	v_mov_b32_e32 v10, v7
	v_mov_b32_e32 v19, v11
	s_mov_b32 s16, exec_lo
	v_and_b32_e32 v13, 0x7f, v6
	v_mov_b32_e32 v18, v10
	v_cmpx_ne_u32_e32 0x7f, v13
	s_cbranch_execz .LBB231_1101
; %bb.1098:                             ;   in Loop: Header=BB231_678 Depth=1
	v_and_b32_e32 v6, 7, v6
	v_lshrrev_b32_e32 v8, 3, v13
	s_mov_b32 s17, exec_lo
	v_cmpx_gt_u32_e32 8, v13
; %bb.1099:                             ;   in Loop: Header=BB231_678 Depth=1
	v_ffbh_u32_e32 v8, v6
	v_min_u32_e32 v8, 32, v8
	v_subrev_nc_u32_e32 v10, 28, v8
	v_sub_nc_u32_e32 v8, 29, v8
	v_lshlrev_b64 v[18:19], v10, v[6:7]
	v_and_b32_e32 v6, 7, v18
; %bb.1100:                             ;   in Loop: Header=BB231_678 Depth=1
	s_or_b32 exec_lo, exec_lo, s17
	v_lshlrev_b32_e32 v10, 16, v12
	v_lshlrev_b32_e32 v6, 20, v6
	v_lshl_add_u32 v8, v8, 23, 0x3c000000
	v_mov_b32_e32 v18, v7
	v_and_b32_e32 v10, 0x80000000, v10
	v_or3_b32 v19, v6, v10, v8
.LBB231_1101:                           ;   in Loop: Header=BB231_678 Depth=1
	s_or_b32 exec_lo, exec_lo, s16
.LBB231_1102:                           ;   in Loop: Header=BB231_678 Depth=1
	s_or_b32 exec_lo, exec_lo, s15
.LBB231_1103:                           ;   in Loop: Header=BB231_678 Depth=1
	s_or_b32 exec_lo, exec_lo, s13
	v_mov_b32_e32 v23, 0
	v_mov_b32_e32 v21, 0
	v_and_b32_sdwa v6, v12, v70 dst_sel:DWORD dst_unused:UNUSED_PAD src0_sel:WORD_1 src1_sel:DWORD
	v_mov_b32_e32 v24, 0
	v_mov_b32_e32 v22, 0
	s_mov_b32 s13, exec_lo
	v_cmpx_ne_u16_e32 0, v6
	s_cbranch_execz .LBB231_1111
; %bb.1104:                             ;   in Loop: Header=BB231_678 Depth=1
	v_bfrev_b32_e32 v21, 1
	v_mov_b32_e32 v22, 0
	s_mov_b32 s15, exec_lo
	v_cmpx_ne_u16_e32 0x80, v6
	s_cbranch_execz .LBB231_1110
; %bb.1105:                             ;   in Loop: Header=BB231_678 Depth=1
	v_mov_b32_e32 v21, 0x7f800001
	v_bfe_u32 v10, v12, 16, 7
	v_mov_b32_e32 v22, 0
	s_mov_b32 s16, exec_lo
	v_cmpx_ne_u32_e32 0x7f, v10
	s_cbranch_execz .LBB231_1109
; %bb.1106:                             ;   in Loop: Header=BB231_678 Depth=1
	v_and_b32_sdwa v6, v12, v71 dst_sel:DWORD dst_unused:UNUSED_PAD src0_sel:WORD_1 src1_sel:DWORD
	v_lshrrev_b32_e32 v8, 3, v10
	s_mov_b32 s17, exec_lo
	v_cmpx_gt_u32_e32 8, v10
; %bb.1107:                             ;   in Loop: Header=BB231_678 Depth=1
	v_ffbh_u32_e32 v8, v6
	v_min_u32_e32 v8, 32, v8
	v_subrev_nc_u32_e32 v10, 28, v8
	v_sub_nc_u32_e32 v8, 29, v8
	v_lshlrev_b64 v[21:22], v10, v[6:7]
	v_and_b32_e32 v6, 7, v21
; %bb.1108:                             ;   in Loop: Header=BB231_678 Depth=1
	s_or_b32 exec_lo, exec_lo, s17
	v_lshlrev_b32_sdwa v10, v80, v12 dst_sel:DWORD dst_unused:UNUSED_PAD src0_sel:DWORD src1_sel:WORD_1
	v_lshlrev_b32_e32 v6, 20, v6
	v_lshl_add_u32 v8, v8, 23, 0x3c000000
	v_and_b32_e32 v10, 0x80000000, v10
	v_or3_b32 v6, v6, v10, v8
	v_mov_b32_e32 v22, v7
	v_mov_b32_e32 v21, v6
.LBB231_1109:                           ;   in Loop: Header=BB231_678 Depth=1
	s_or_b32 exec_lo, exec_lo, s16
.LBB231_1110:                           ;   in Loop: Header=BB231_678 Depth=1
	s_or_b32 exec_lo, exec_lo, s15
.LBB231_1111:                           ;   in Loop: Header=BB231_678 Depth=1
	s_or_b32 exec_lo, exec_lo, s13
	s_mov_b32 s13, exec_lo
	v_cmpx_lt_u32_e32 0xffffff, v12
	s_cbranch_execz .LBB231_1119
; %bb.1112:                             ;   in Loop: Header=BB231_678 Depth=1
	v_mov_b32_e32 v8, v7
	v_mov_b32_e32 v24, v9
	v_cmp_ne_u32_sdwa s4, v12, v68 src0_sel:BYTE_3 src1_sel:DWORD
	v_mov_b32_e32 v23, v8
	s_and_saveexec_b32 s15, s4
	s_cbranch_execz .LBB231_1118
; %bb.1113:                             ;   in Loop: Header=BB231_678 Depth=1
	v_mov_b32_e32 v10, v7
	v_mov_b32_e32 v24, v11
	v_bfe_u32 v13, v12, 24, 7
	s_mov_b32 s16, exec_lo
	v_mov_b32_e32 v23, v10
	v_cmpx_ne_u32_e32 0x7f, v13
	s_cbranch_execz .LBB231_1117
; %bb.1114:                             ;   in Loop: Header=BB231_678 Depth=1
	v_and_b32_sdwa v6, v12, v71 dst_sel:DWORD dst_unused:UNUSED_PAD src0_sel:BYTE_3 src1_sel:DWORD
	v_lshrrev_b32_e32 v8, 3, v13
	s_mov_b32 s17, exec_lo
	v_cmpx_gt_u32_e32 8, v13
; %bb.1115:                             ;   in Loop: Header=BB231_678 Depth=1
	v_ffbh_u32_e32 v8, v6
	v_min_u32_e32 v8, 32, v8
	v_subrev_nc_u32_e32 v10, 28, v8
	v_sub_nc_u32_e32 v8, 29, v8
	v_lshlrev_b64 v[23:24], v10, v[6:7]
	v_and_b32_e32 v6, 7, v23
; %bb.1116:                             ;   in Loop: Header=BB231_678 Depth=1
	s_or_b32 exec_lo, exec_lo, s17
	v_lshlrev_b32_sdwa v10, v80, v12 dst_sel:DWORD dst_unused:UNUSED_PAD src0_sel:DWORD src1_sel:BYTE_3
	v_lshlrev_b32_e32 v6, 20, v6
	v_lshl_add_u32 v8, v8, 23, 0x3c000000
	v_mov_b32_e32 v23, v7
	v_and_b32_e32 v10, 0x80000000, v10
	v_or3_b32 v24, v6, v10, v8
.LBB231_1117:                           ;   in Loop: Header=BB231_678 Depth=1
	s_or_b32 exec_lo, exec_lo, s16
.LBB231_1118:                           ;   in Loop: Header=BB231_678 Depth=1
	s_or_b32 exec_lo, exec_lo, s15
.LBB231_1119:                           ;   in Loop: Header=BB231_678 Depth=1
	s_or_b32 exec_lo, exec_lo, s13
	v_or_b32_e32 v6, v19, v17
	v_or_b32_e32 v8, v18, v16
	;; [unrolled: 1-line block ×4, first 2 shown]
	v_mul_f32_e32 v110, v84, v6
	v_mul_f32_e32 v109, v84, v8
	;; [unrolled: 1-line block ×4, first 2 shown]
	s_and_saveexec_b32 s13, vcc_lo
	s_cbranch_execz .LBB231_1121
; %bb.1120:                             ;   in Loop: Header=BB231_678 Depth=1
	v_cmp_lt_i32_e64 s4, v97, v88
	v_cndmask_b32_e64 v109, 0, v109, s4
	v_cmp_lt_i32_e64 s4, v100, v88
	v_cndmask_b32_e64 v110, 0, v110, s4
	;; [unrolled: 2-line block ×4, first 2 shown]
.LBB231_1121:                           ;   in Loop: Header=BB231_678 Depth=1
	s_or_b32 exec_lo, exec_lo, s13
	flat_load_dword v12, v[4:5] offset:1664
	v_mov_b32_e32 v18, 0
	v_mov_b32_e32 v16, 0
	;; [unrolled: 1-line block ×4, first 2 shown]
	s_waitcnt vmcnt(0) lgkmcnt(0)
	v_cmp_ne_u16_sdwa s4, v12, v7 src0_sel:BYTE_0 src1_sel:DWORD
	s_and_saveexec_b32 s13, s4
	s_cbranch_execz .LBB231_1129
; %bb.1122:                             ;   in Loop: Header=BB231_678 Depth=1
	v_bfrev_b32_e32 v16, 1
	v_mov_b32_e32 v17, 0
	v_cmp_ne_u16_sdwa s4, v12, v68 src0_sel:BYTE_0 src1_sel:DWORD
	s_and_saveexec_b32 s15, s4
	s_cbranch_execz .LBB231_1128
; %bb.1123:                             ;   in Loop: Header=BB231_678 Depth=1
	v_mov_b32_e32 v16, 0x7f800001
	v_and_b32_e32 v10, 0x7f, v12
	v_mov_b32_e32 v17, 0
	s_mov_b32 s16, exec_lo
	v_cmpx_ne_u32_e32 0x7f, v10
	s_cbranch_execz .LBB231_1127
; %bb.1124:                             ;   in Loop: Header=BB231_678 Depth=1
	v_and_b32_e32 v6, 7, v12
	v_lshrrev_b32_e32 v8, 3, v10
	s_mov_b32 s17, exec_lo
	v_cmpx_gt_u32_e32 8, v10
; %bb.1125:                             ;   in Loop: Header=BB231_678 Depth=1
	v_ffbh_u32_e32 v8, v6
	v_min_u32_e32 v8, 32, v8
	v_subrev_nc_u32_e32 v10, 28, v8
	v_sub_nc_u32_e32 v8, 29, v8
	v_lshlrev_b64 v[16:17], v10, v[6:7]
	v_and_b32_e32 v6, 7, v16
; %bb.1126:                             ;   in Loop: Header=BB231_678 Depth=1
	s_or_b32 exec_lo, exec_lo, s17
	v_lshlrev_b32_e32 v10, 24, v12
	v_lshlrev_b32_e32 v6, 20, v6
	v_lshl_add_u32 v8, v8, 23, 0x3c000000
	v_and_b32_e32 v10, 0x80000000, v10
	v_or3_b32 v6, v6, v10, v8
	v_mov_b32_e32 v17, v7
	v_mov_b32_e32 v16, v6
.LBB231_1127:                           ;   in Loop: Header=BB231_678 Depth=1
	s_or_b32 exec_lo, exec_lo, s16
.LBB231_1128:                           ;   in Loop: Header=BB231_678 Depth=1
	s_or_b32 exec_lo, exec_lo, s15
.LBB231_1129:                           ;   in Loop: Header=BB231_678 Depth=1
	s_or_b32 exec_lo, exec_lo, s13
	v_cmp_ne_u16_sdwa s4, v12, v7 src0_sel:BYTE_1 src1_sel:DWORD
	s_and_saveexec_b32 s13, s4
	s_cbranch_execz .LBB231_1137
; %bb.1130:                             ;   in Loop: Header=BB231_678 Depth=1
	v_mov_b32_e32 v8, v7
	v_mov_b32_e32 v19, v9
	v_cmp_ne_u16_sdwa s4, v12, v68 src0_sel:BYTE_1 src1_sel:DWORD
	v_mov_b32_e32 v18, v8
	s_and_saveexec_b32 s15, s4
	s_cbranch_execz .LBB231_1136
; %bb.1131:                             ;   in Loop: Header=BB231_678 Depth=1
	v_and_b32_sdwa v6, v69, v12 dst_sel:DWORD dst_unused:UNUSED_PAD src0_sel:DWORD src1_sel:BYTE_1
	v_mov_b32_e32 v10, v7
	v_mov_b32_e32 v19, v11
	s_mov_b32 s16, exec_lo
	v_and_b32_e32 v13, 0x7f, v6
	v_mov_b32_e32 v18, v10
	v_cmpx_ne_u32_e32 0x7f, v13
	s_cbranch_execz .LBB231_1135
; %bb.1132:                             ;   in Loop: Header=BB231_678 Depth=1
	v_and_b32_e32 v6, 7, v6
	v_lshrrev_b32_e32 v8, 3, v13
	s_mov_b32 s17, exec_lo
	v_cmpx_gt_u32_e32 8, v13
; %bb.1133:                             ;   in Loop: Header=BB231_678 Depth=1
	v_ffbh_u32_e32 v8, v6
	v_min_u32_e32 v8, 32, v8
	v_subrev_nc_u32_e32 v10, 28, v8
	v_sub_nc_u32_e32 v8, 29, v8
	v_lshlrev_b64 v[18:19], v10, v[6:7]
	v_and_b32_e32 v6, 7, v18
; %bb.1134:                             ;   in Loop: Header=BB231_678 Depth=1
	s_or_b32 exec_lo, exec_lo, s17
	v_lshlrev_b32_e32 v10, 16, v12
	v_lshlrev_b32_e32 v6, 20, v6
	v_lshl_add_u32 v8, v8, 23, 0x3c000000
	v_mov_b32_e32 v18, v7
	v_and_b32_e32 v10, 0x80000000, v10
	v_or3_b32 v19, v6, v10, v8
.LBB231_1135:                           ;   in Loop: Header=BB231_678 Depth=1
	s_or_b32 exec_lo, exec_lo, s16
.LBB231_1136:                           ;   in Loop: Header=BB231_678 Depth=1
	s_or_b32 exec_lo, exec_lo, s15
.LBB231_1137:                           ;   in Loop: Header=BB231_678 Depth=1
	s_or_b32 exec_lo, exec_lo, s13
	v_mov_b32_e32 v21, 0
	v_mov_b32_e32 v23, 0
	v_and_b32_sdwa v6, v12, v70 dst_sel:DWORD dst_unused:UNUSED_PAD src0_sel:WORD_1 src1_sel:DWORD
	v_mov_b32_e32 v22, 0
	v_mov_b32_e32 v24, 0
	s_mov_b32 s13, exec_lo
	v_cmpx_ne_u16_e32 0, v6
	s_cbranch_execz .LBB231_1145
; %bb.1138:                             ;   in Loop: Header=BB231_678 Depth=1
	v_bfrev_b32_e32 v23, 1
	v_mov_b32_e32 v24, 0
	s_mov_b32 s15, exec_lo
	v_cmpx_ne_u16_e32 0x80, v6
	s_cbranch_execz .LBB231_1144
; %bb.1139:                             ;   in Loop: Header=BB231_678 Depth=1
	v_mov_b32_e32 v23, 0x7f800001
	v_bfe_u32 v10, v12, 16, 7
	v_mov_b32_e32 v24, 0
	s_mov_b32 s16, exec_lo
	v_cmpx_ne_u32_e32 0x7f, v10
	s_cbranch_execz .LBB231_1143
; %bb.1140:                             ;   in Loop: Header=BB231_678 Depth=1
	v_and_b32_sdwa v6, v12, v71 dst_sel:DWORD dst_unused:UNUSED_PAD src0_sel:WORD_1 src1_sel:DWORD
	v_lshrrev_b32_e32 v8, 3, v10
	s_mov_b32 s17, exec_lo
	v_cmpx_gt_u32_e32 8, v10
; %bb.1141:                             ;   in Loop: Header=BB231_678 Depth=1
	v_ffbh_u32_e32 v8, v6
	v_min_u32_e32 v8, 32, v8
	v_subrev_nc_u32_e32 v10, 28, v8
	v_sub_nc_u32_e32 v8, 29, v8
	v_lshlrev_b64 v[23:24], v10, v[6:7]
	v_and_b32_e32 v6, 7, v23
; %bb.1142:                             ;   in Loop: Header=BB231_678 Depth=1
	s_or_b32 exec_lo, exec_lo, s17
	v_lshlrev_b32_sdwa v10, v80, v12 dst_sel:DWORD dst_unused:UNUSED_PAD src0_sel:DWORD src1_sel:WORD_1
	v_lshlrev_b32_e32 v6, 20, v6
	v_lshl_add_u32 v8, v8, 23, 0x3c000000
	v_and_b32_e32 v10, 0x80000000, v10
	v_or3_b32 v6, v6, v10, v8
	v_mov_b32_e32 v24, v7
	v_mov_b32_e32 v23, v6
.LBB231_1143:                           ;   in Loop: Header=BB231_678 Depth=1
	s_or_b32 exec_lo, exec_lo, s16
.LBB231_1144:                           ;   in Loop: Header=BB231_678 Depth=1
	s_or_b32 exec_lo, exec_lo, s15
.LBB231_1145:                           ;   in Loop: Header=BB231_678 Depth=1
	s_or_b32 exec_lo, exec_lo, s13
	s_mov_b32 s13, exec_lo
	v_cmpx_lt_u32_e32 0xffffff, v12
	s_cbranch_execz .LBB231_1153
; %bb.1146:                             ;   in Loop: Header=BB231_678 Depth=1
	v_mov_b32_e32 v8, v7
	v_mov_b32_e32 v22, v9
	v_cmp_ne_u32_sdwa s4, v12, v68 src0_sel:BYTE_3 src1_sel:DWORD
	v_mov_b32_e32 v21, v8
	s_and_saveexec_b32 s15, s4
	s_cbranch_execz .LBB231_1152
; %bb.1147:                             ;   in Loop: Header=BB231_678 Depth=1
	v_mov_b32_e32 v10, v7
	v_mov_b32_e32 v22, v11
	v_bfe_u32 v13, v12, 24, 7
	s_mov_b32 s16, exec_lo
	v_mov_b32_e32 v21, v10
	v_cmpx_ne_u32_e32 0x7f, v13
	s_cbranch_execz .LBB231_1151
; %bb.1148:                             ;   in Loop: Header=BB231_678 Depth=1
	v_and_b32_sdwa v6, v12, v71 dst_sel:DWORD dst_unused:UNUSED_PAD src0_sel:BYTE_3 src1_sel:DWORD
	v_lshrrev_b32_e32 v8, 3, v13
	s_mov_b32 s17, exec_lo
	v_cmpx_gt_u32_e32 8, v13
; %bb.1149:                             ;   in Loop: Header=BB231_678 Depth=1
	v_ffbh_u32_e32 v8, v6
	v_min_u32_e32 v8, 32, v8
	v_subrev_nc_u32_e32 v10, 28, v8
	v_sub_nc_u32_e32 v8, 29, v8
	v_lshlrev_b64 v[21:22], v10, v[6:7]
	v_and_b32_e32 v6, 7, v21
; %bb.1150:                             ;   in Loop: Header=BB231_678 Depth=1
	s_or_b32 exec_lo, exec_lo, s17
	v_lshlrev_b32_sdwa v10, v80, v12 dst_sel:DWORD dst_unused:UNUSED_PAD src0_sel:DWORD src1_sel:BYTE_3
	v_lshlrev_b32_e32 v6, 20, v6
	v_lshl_add_u32 v8, v8, 23, 0x3c000000
	v_mov_b32_e32 v21, v7
	v_and_b32_e32 v10, 0x80000000, v10
	v_or3_b32 v22, v6, v10, v8
.LBB231_1151:                           ;   in Loop: Header=BB231_678 Depth=1
	s_or_b32 exec_lo, exec_lo, s16
.LBB231_1152:                           ;   in Loop: Header=BB231_678 Depth=1
	s_or_b32 exec_lo, exec_lo, s15
.LBB231_1153:                           ;   in Loop: Header=BB231_678 Depth=1
	s_or_b32 exec_lo, exec_lo, s13
	v_or_b32_e32 v6, v19, v17
	v_or_b32_e32 v8, v18, v16
	;; [unrolled: 1-line block ×4, first 2 shown]
	v_mul_f32_e32 v122, v84, v6
	v_mul_f32_e32 v121, v84, v8
	;; [unrolled: 1-line block ×4, first 2 shown]
	s_and_saveexec_b32 s13, vcc_lo
	s_cbranch_execz .LBB231_1155
; %bb.1154:                             ;   in Loop: Header=BB231_678 Depth=1
	v_cmp_lt_i32_e64 s4, v97, v88
	v_cndmask_b32_e64 v121, 0, v121, s4
	v_cmp_lt_i32_e64 s4, v100, v88
	v_cndmask_b32_e64 v122, 0, v122, s4
	;; [unrolled: 2-line block ×4, first 2 shown]
.LBB231_1155:                           ;   in Loop: Header=BB231_678 Depth=1
	s_or_b32 exec_lo, exec_lo, s13
	flat_load_dword v12, v[4:5] offset:1792
	v_mov_b32_e32 v18, 0
	v_mov_b32_e32 v16, 0
	;; [unrolled: 1-line block ×4, first 2 shown]
	s_waitcnt vmcnt(0) lgkmcnt(0)
	v_cmp_ne_u16_sdwa s4, v12, v7 src0_sel:BYTE_0 src1_sel:DWORD
	s_and_saveexec_b32 s13, s4
	s_cbranch_execz .LBB231_1163
; %bb.1156:                             ;   in Loop: Header=BB231_678 Depth=1
	v_bfrev_b32_e32 v16, 1
	v_mov_b32_e32 v17, 0
	v_cmp_ne_u16_sdwa s4, v12, v68 src0_sel:BYTE_0 src1_sel:DWORD
	s_and_saveexec_b32 s15, s4
	s_cbranch_execz .LBB231_1162
; %bb.1157:                             ;   in Loop: Header=BB231_678 Depth=1
	v_mov_b32_e32 v16, 0x7f800001
	v_and_b32_e32 v10, 0x7f, v12
	v_mov_b32_e32 v17, 0
	s_mov_b32 s16, exec_lo
	v_cmpx_ne_u32_e32 0x7f, v10
	s_cbranch_execz .LBB231_1161
; %bb.1158:                             ;   in Loop: Header=BB231_678 Depth=1
	v_and_b32_e32 v6, 7, v12
	v_lshrrev_b32_e32 v8, 3, v10
	s_mov_b32 s17, exec_lo
	v_cmpx_gt_u32_e32 8, v10
; %bb.1159:                             ;   in Loop: Header=BB231_678 Depth=1
	v_ffbh_u32_e32 v8, v6
	v_min_u32_e32 v8, 32, v8
	v_subrev_nc_u32_e32 v10, 28, v8
	v_sub_nc_u32_e32 v8, 29, v8
	v_lshlrev_b64 v[16:17], v10, v[6:7]
	v_and_b32_e32 v6, 7, v16
; %bb.1160:                             ;   in Loop: Header=BB231_678 Depth=1
	s_or_b32 exec_lo, exec_lo, s17
	v_lshlrev_b32_e32 v10, 24, v12
	v_lshlrev_b32_e32 v6, 20, v6
	v_lshl_add_u32 v8, v8, 23, 0x3c000000
	v_and_b32_e32 v10, 0x80000000, v10
	v_or3_b32 v6, v6, v10, v8
	v_mov_b32_e32 v17, v7
	v_mov_b32_e32 v16, v6
.LBB231_1161:                           ;   in Loop: Header=BB231_678 Depth=1
	s_or_b32 exec_lo, exec_lo, s16
.LBB231_1162:                           ;   in Loop: Header=BB231_678 Depth=1
	s_or_b32 exec_lo, exec_lo, s15
.LBB231_1163:                           ;   in Loop: Header=BB231_678 Depth=1
	s_or_b32 exec_lo, exec_lo, s13
	v_cmp_ne_u16_sdwa s4, v12, v7 src0_sel:BYTE_1 src1_sel:DWORD
	s_and_saveexec_b32 s13, s4
	s_cbranch_execz .LBB231_1171
; %bb.1164:                             ;   in Loop: Header=BB231_678 Depth=1
	v_mov_b32_e32 v8, v7
	v_mov_b32_e32 v19, v9
	v_cmp_ne_u16_sdwa s4, v12, v68 src0_sel:BYTE_1 src1_sel:DWORD
	v_mov_b32_e32 v18, v8
	s_and_saveexec_b32 s15, s4
	s_cbranch_execz .LBB231_1170
; %bb.1165:                             ;   in Loop: Header=BB231_678 Depth=1
	v_and_b32_sdwa v6, v69, v12 dst_sel:DWORD dst_unused:UNUSED_PAD src0_sel:DWORD src1_sel:BYTE_1
	v_mov_b32_e32 v10, v7
	v_mov_b32_e32 v19, v11
	s_mov_b32 s16, exec_lo
	v_and_b32_e32 v13, 0x7f, v6
	v_mov_b32_e32 v18, v10
	v_cmpx_ne_u32_e32 0x7f, v13
	s_cbranch_execz .LBB231_1169
; %bb.1166:                             ;   in Loop: Header=BB231_678 Depth=1
	v_and_b32_e32 v6, 7, v6
	v_lshrrev_b32_e32 v8, 3, v13
	s_mov_b32 s17, exec_lo
	v_cmpx_gt_u32_e32 8, v13
; %bb.1167:                             ;   in Loop: Header=BB231_678 Depth=1
	v_ffbh_u32_e32 v8, v6
	v_min_u32_e32 v8, 32, v8
	v_subrev_nc_u32_e32 v10, 28, v8
	v_sub_nc_u32_e32 v8, 29, v8
	v_lshlrev_b64 v[18:19], v10, v[6:7]
	v_and_b32_e32 v6, 7, v18
; %bb.1168:                             ;   in Loop: Header=BB231_678 Depth=1
	s_or_b32 exec_lo, exec_lo, s17
	v_lshlrev_b32_e32 v10, 16, v12
	v_lshlrev_b32_e32 v6, 20, v6
	v_lshl_add_u32 v8, v8, 23, 0x3c000000
	v_mov_b32_e32 v18, v7
	v_and_b32_e32 v10, 0x80000000, v10
	v_or3_b32 v19, v6, v10, v8
.LBB231_1169:                           ;   in Loop: Header=BB231_678 Depth=1
	s_or_b32 exec_lo, exec_lo, s16
.LBB231_1170:                           ;   in Loop: Header=BB231_678 Depth=1
	s_or_b32 exec_lo, exec_lo, s15
.LBB231_1171:                           ;   in Loop: Header=BB231_678 Depth=1
	s_or_b32 exec_lo, exec_lo, s13
	v_mov_b32_e32 v21, 0
	v_mov_b32_e32 v23, 0
	v_and_b32_sdwa v6, v12, v70 dst_sel:DWORD dst_unused:UNUSED_PAD src0_sel:WORD_1 src1_sel:DWORD
	v_mov_b32_e32 v22, 0
	v_mov_b32_e32 v24, 0
	s_mov_b32 s13, exec_lo
	v_cmpx_ne_u16_e32 0, v6
	s_cbranch_execz .LBB231_1179
; %bb.1172:                             ;   in Loop: Header=BB231_678 Depth=1
	v_bfrev_b32_e32 v23, 1
	v_mov_b32_e32 v24, 0
	s_mov_b32 s15, exec_lo
	v_cmpx_ne_u16_e32 0x80, v6
	s_cbranch_execz .LBB231_1178
; %bb.1173:                             ;   in Loop: Header=BB231_678 Depth=1
	v_mov_b32_e32 v23, 0x7f800001
	v_bfe_u32 v10, v12, 16, 7
	v_mov_b32_e32 v24, 0
	s_mov_b32 s16, exec_lo
	v_cmpx_ne_u32_e32 0x7f, v10
	s_cbranch_execz .LBB231_1177
; %bb.1174:                             ;   in Loop: Header=BB231_678 Depth=1
	v_and_b32_sdwa v6, v12, v71 dst_sel:DWORD dst_unused:UNUSED_PAD src0_sel:WORD_1 src1_sel:DWORD
	v_lshrrev_b32_e32 v8, 3, v10
	s_mov_b32 s17, exec_lo
	v_cmpx_gt_u32_e32 8, v10
; %bb.1175:                             ;   in Loop: Header=BB231_678 Depth=1
	v_ffbh_u32_e32 v8, v6
	v_min_u32_e32 v8, 32, v8
	v_subrev_nc_u32_e32 v10, 28, v8
	v_sub_nc_u32_e32 v8, 29, v8
	v_lshlrev_b64 v[23:24], v10, v[6:7]
	v_and_b32_e32 v6, 7, v23
; %bb.1176:                             ;   in Loop: Header=BB231_678 Depth=1
	s_or_b32 exec_lo, exec_lo, s17
	v_lshlrev_b32_sdwa v10, v80, v12 dst_sel:DWORD dst_unused:UNUSED_PAD src0_sel:DWORD src1_sel:WORD_1
	v_lshlrev_b32_e32 v6, 20, v6
	v_lshl_add_u32 v8, v8, 23, 0x3c000000
	v_and_b32_e32 v10, 0x80000000, v10
	v_or3_b32 v6, v6, v10, v8
	v_mov_b32_e32 v24, v7
	v_mov_b32_e32 v23, v6
.LBB231_1177:                           ;   in Loop: Header=BB231_678 Depth=1
	s_or_b32 exec_lo, exec_lo, s16
.LBB231_1178:                           ;   in Loop: Header=BB231_678 Depth=1
	s_or_b32 exec_lo, exec_lo, s15
.LBB231_1179:                           ;   in Loop: Header=BB231_678 Depth=1
	s_or_b32 exec_lo, exec_lo, s13
	s_mov_b32 s13, exec_lo
	v_cmpx_lt_u32_e32 0xffffff, v12
	s_cbranch_execz .LBB231_1187
; %bb.1180:                             ;   in Loop: Header=BB231_678 Depth=1
	v_mov_b32_e32 v8, v7
	v_mov_b32_e32 v22, v9
	v_cmp_ne_u32_sdwa s4, v12, v68 src0_sel:BYTE_3 src1_sel:DWORD
	v_mov_b32_e32 v21, v8
	s_and_saveexec_b32 s15, s4
	s_cbranch_execz .LBB231_1186
; %bb.1181:                             ;   in Loop: Header=BB231_678 Depth=1
	v_mov_b32_e32 v10, v7
	v_mov_b32_e32 v22, v11
	v_bfe_u32 v13, v12, 24, 7
	s_mov_b32 s16, exec_lo
	v_mov_b32_e32 v21, v10
	v_cmpx_ne_u32_e32 0x7f, v13
	s_cbranch_execz .LBB231_1185
; %bb.1182:                             ;   in Loop: Header=BB231_678 Depth=1
	v_and_b32_sdwa v6, v12, v71 dst_sel:DWORD dst_unused:UNUSED_PAD src0_sel:BYTE_3 src1_sel:DWORD
	v_lshrrev_b32_e32 v8, 3, v13
	s_mov_b32 s17, exec_lo
	v_cmpx_gt_u32_e32 8, v13
; %bb.1183:                             ;   in Loop: Header=BB231_678 Depth=1
	v_ffbh_u32_e32 v8, v6
	v_min_u32_e32 v8, 32, v8
	v_subrev_nc_u32_e32 v10, 28, v8
	v_sub_nc_u32_e32 v8, 29, v8
	v_lshlrev_b64 v[21:22], v10, v[6:7]
	v_and_b32_e32 v6, 7, v21
; %bb.1184:                             ;   in Loop: Header=BB231_678 Depth=1
	s_or_b32 exec_lo, exec_lo, s17
	v_lshlrev_b32_sdwa v10, v80, v12 dst_sel:DWORD dst_unused:UNUSED_PAD src0_sel:DWORD src1_sel:BYTE_3
	v_lshlrev_b32_e32 v6, 20, v6
	v_lshl_add_u32 v8, v8, 23, 0x3c000000
	v_mov_b32_e32 v21, v7
	v_and_b32_e32 v10, 0x80000000, v10
	v_or3_b32 v22, v6, v10, v8
.LBB231_1185:                           ;   in Loop: Header=BB231_678 Depth=1
	s_or_b32 exec_lo, exec_lo, s16
.LBB231_1186:                           ;   in Loop: Header=BB231_678 Depth=1
	s_or_b32 exec_lo, exec_lo, s15
.LBB231_1187:                           ;   in Loop: Header=BB231_678 Depth=1
	s_or_b32 exec_lo, exec_lo, s13
	v_or_b32_e32 v6, v19, v17
	v_or_b32_e32 v8, v18, v16
	;; [unrolled: 1-line block ×4, first 2 shown]
	v_mul_f32_e32 v126, v84, v6
	v_mul_f32_e32 v125, v84, v8
	;; [unrolled: 1-line block ×4, first 2 shown]
	s_and_saveexec_b32 s13, vcc_lo
	s_cbranch_execz .LBB231_1189
; %bb.1188:                             ;   in Loop: Header=BB231_678 Depth=1
	v_cmp_lt_i32_e64 s4, v97, v88
	v_cndmask_b32_e64 v125, 0, v125, s4
	v_cmp_lt_i32_e64 s4, v100, v88
	v_cndmask_b32_e64 v126, 0, v126, s4
	;; [unrolled: 2-line block ×4, first 2 shown]
.LBB231_1189:                           ;   in Loop: Header=BB231_678 Depth=1
	s_or_b32 exec_lo, exec_lo, s13
	flat_load_dword v12, v[4:5] offset:1920
	v_mov_b32_e32 v18, 0
	v_mov_b32_e32 v16, 0
	;; [unrolled: 1-line block ×4, first 2 shown]
	s_waitcnt vmcnt(0) lgkmcnt(0)
	v_cmp_ne_u16_sdwa s4, v12, v7 src0_sel:BYTE_0 src1_sel:DWORD
	s_and_saveexec_b32 s13, s4
	s_cbranch_execz .LBB231_1197
; %bb.1190:                             ;   in Loop: Header=BB231_678 Depth=1
	v_bfrev_b32_e32 v16, 1
	v_mov_b32_e32 v17, 0
	v_cmp_ne_u16_sdwa s4, v12, v68 src0_sel:BYTE_0 src1_sel:DWORD
	s_and_saveexec_b32 s15, s4
	s_cbranch_execz .LBB231_1196
; %bb.1191:                             ;   in Loop: Header=BB231_678 Depth=1
	v_mov_b32_e32 v16, 0x7f800001
	v_and_b32_e32 v10, 0x7f, v12
	v_mov_b32_e32 v17, 0
	s_mov_b32 s16, exec_lo
	v_cmpx_ne_u32_e32 0x7f, v10
	s_cbranch_execz .LBB231_1195
; %bb.1192:                             ;   in Loop: Header=BB231_678 Depth=1
	v_and_b32_e32 v6, 7, v12
	v_lshrrev_b32_e32 v8, 3, v10
	s_mov_b32 s17, exec_lo
	v_cmpx_gt_u32_e32 8, v10
; %bb.1193:                             ;   in Loop: Header=BB231_678 Depth=1
	v_ffbh_u32_e32 v8, v6
	v_min_u32_e32 v8, 32, v8
	v_subrev_nc_u32_e32 v10, 28, v8
	v_sub_nc_u32_e32 v8, 29, v8
	v_lshlrev_b64 v[16:17], v10, v[6:7]
	v_and_b32_e32 v6, 7, v16
; %bb.1194:                             ;   in Loop: Header=BB231_678 Depth=1
	s_or_b32 exec_lo, exec_lo, s17
	v_lshlrev_b32_e32 v10, 24, v12
	v_lshlrev_b32_e32 v6, 20, v6
	v_lshl_add_u32 v8, v8, 23, 0x3c000000
	v_and_b32_e32 v10, 0x80000000, v10
	v_or3_b32 v6, v6, v10, v8
	v_mov_b32_e32 v17, v7
	v_mov_b32_e32 v16, v6
.LBB231_1195:                           ;   in Loop: Header=BB231_678 Depth=1
	s_or_b32 exec_lo, exec_lo, s16
.LBB231_1196:                           ;   in Loop: Header=BB231_678 Depth=1
	s_or_b32 exec_lo, exec_lo, s15
.LBB231_1197:                           ;   in Loop: Header=BB231_678 Depth=1
	s_or_b32 exec_lo, exec_lo, s13
	v_cmp_ne_u16_sdwa s4, v12, v7 src0_sel:BYTE_1 src1_sel:DWORD
	s_and_saveexec_b32 s13, s4
	s_cbranch_execz .LBB231_1205
; %bb.1198:                             ;   in Loop: Header=BB231_678 Depth=1
	v_mov_b32_e32 v8, v7
	v_mov_b32_e32 v19, v9
	v_cmp_ne_u16_sdwa s4, v12, v68 src0_sel:BYTE_1 src1_sel:DWORD
	v_mov_b32_e32 v18, v8
	s_and_saveexec_b32 s15, s4
	s_cbranch_execz .LBB231_1204
; %bb.1199:                             ;   in Loop: Header=BB231_678 Depth=1
	v_and_b32_sdwa v6, v69, v12 dst_sel:DWORD dst_unused:UNUSED_PAD src0_sel:DWORD src1_sel:BYTE_1
	v_mov_b32_e32 v10, v7
	v_mov_b32_e32 v19, v11
	s_mov_b32 s16, exec_lo
	v_and_b32_e32 v13, 0x7f, v6
	v_mov_b32_e32 v18, v10
	v_cmpx_ne_u32_e32 0x7f, v13
	s_cbranch_execz .LBB231_1203
; %bb.1200:                             ;   in Loop: Header=BB231_678 Depth=1
	v_and_b32_e32 v6, 7, v6
	v_lshrrev_b32_e32 v8, 3, v13
	s_mov_b32 s17, exec_lo
	v_cmpx_gt_u32_e32 8, v13
; %bb.1201:                             ;   in Loop: Header=BB231_678 Depth=1
	v_ffbh_u32_e32 v8, v6
	v_min_u32_e32 v8, 32, v8
	v_subrev_nc_u32_e32 v10, 28, v8
	v_sub_nc_u32_e32 v8, 29, v8
	v_lshlrev_b64 v[18:19], v10, v[6:7]
	v_and_b32_e32 v6, 7, v18
; %bb.1202:                             ;   in Loop: Header=BB231_678 Depth=1
	s_or_b32 exec_lo, exec_lo, s17
	v_lshlrev_b32_e32 v10, 16, v12
	v_lshlrev_b32_e32 v6, 20, v6
	v_lshl_add_u32 v8, v8, 23, 0x3c000000
	v_mov_b32_e32 v18, v7
	v_and_b32_e32 v10, 0x80000000, v10
	v_or3_b32 v19, v6, v10, v8
.LBB231_1203:                           ;   in Loop: Header=BB231_678 Depth=1
	s_or_b32 exec_lo, exec_lo, s16
.LBB231_1204:                           ;   in Loop: Header=BB231_678 Depth=1
	s_or_b32 exec_lo, exec_lo, s15
.LBB231_1205:                           ;   in Loop: Header=BB231_678 Depth=1
	s_or_b32 exec_lo, exec_lo, s13
	v_mov_b32_e32 v21, 0
	v_mov_b32_e32 v23, 0
	v_and_b32_sdwa v6, v12, v70 dst_sel:DWORD dst_unused:UNUSED_PAD src0_sel:WORD_1 src1_sel:DWORD
	v_mov_b32_e32 v22, 0
	v_mov_b32_e32 v24, 0
	s_mov_b32 s13, exec_lo
	v_cmpx_ne_u16_e32 0, v6
	s_cbranch_execz .LBB231_1213
; %bb.1206:                             ;   in Loop: Header=BB231_678 Depth=1
	v_bfrev_b32_e32 v23, 1
	v_mov_b32_e32 v24, 0
	s_mov_b32 s15, exec_lo
	v_cmpx_ne_u16_e32 0x80, v6
	s_cbranch_execz .LBB231_1212
; %bb.1207:                             ;   in Loop: Header=BB231_678 Depth=1
	v_mov_b32_e32 v23, 0x7f800001
	v_bfe_u32 v10, v12, 16, 7
	v_mov_b32_e32 v24, 0
	s_mov_b32 s16, exec_lo
	v_cmpx_ne_u32_e32 0x7f, v10
	s_cbranch_execz .LBB231_1211
; %bb.1208:                             ;   in Loop: Header=BB231_678 Depth=1
	v_and_b32_sdwa v6, v12, v71 dst_sel:DWORD dst_unused:UNUSED_PAD src0_sel:WORD_1 src1_sel:DWORD
	v_lshrrev_b32_e32 v8, 3, v10
	s_mov_b32 s17, exec_lo
	v_cmpx_gt_u32_e32 8, v10
; %bb.1209:                             ;   in Loop: Header=BB231_678 Depth=1
	v_ffbh_u32_e32 v8, v6
	v_min_u32_e32 v8, 32, v8
	v_subrev_nc_u32_e32 v10, 28, v8
	v_sub_nc_u32_e32 v8, 29, v8
	v_lshlrev_b64 v[23:24], v10, v[6:7]
	v_and_b32_e32 v6, 7, v23
; %bb.1210:                             ;   in Loop: Header=BB231_678 Depth=1
	s_or_b32 exec_lo, exec_lo, s17
	v_lshlrev_b32_sdwa v10, v80, v12 dst_sel:DWORD dst_unused:UNUSED_PAD src0_sel:DWORD src1_sel:WORD_1
	v_lshlrev_b32_e32 v6, 20, v6
	v_lshl_add_u32 v8, v8, 23, 0x3c000000
	v_and_b32_e32 v10, 0x80000000, v10
	v_or3_b32 v6, v6, v10, v8
	v_mov_b32_e32 v24, v7
	v_mov_b32_e32 v23, v6
.LBB231_1211:                           ;   in Loop: Header=BB231_678 Depth=1
	s_or_b32 exec_lo, exec_lo, s16
.LBB231_1212:                           ;   in Loop: Header=BB231_678 Depth=1
	s_or_b32 exec_lo, exec_lo, s15
.LBB231_1213:                           ;   in Loop: Header=BB231_678 Depth=1
	s_or_b32 exec_lo, exec_lo, s13
	s_mov_b32 s13, exec_lo
	v_cmpx_lt_u32_e32 0xffffff, v12
	s_cbranch_execz .LBB231_1221
; %bb.1214:                             ;   in Loop: Header=BB231_678 Depth=1
	v_mov_b32_e32 v8, v7
	v_mov_b32_e32 v22, v9
	v_cmp_ne_u32_sdwa s4, v12, v68 src0_sel:BYTE_3 src1_sel:DWORD
	v_mov_b32_e32 v21, v8
	s_and_saveexec_b32 s15, s4
	s_cbranch_execz .LBB231_1220
; %bb.1215:                             ;   in Loop: Header=BB231_678 Depth=1
	v_mov_b32_e32 v10, v7
	v_mov_b32_e32 v22, v11
	v_bfe_u32 v13, v12, 24, 7
	s_mov_b32 s16, exec_lo
	v_mov_b32_e32 v21, v10
	v_cmpx_ne_u32_e32 0x7f, v13
	s_cbranch_execz .LBB231_1219
; %bb.1216:                             ;   in Loop: Header=BB231_678 Depth=1
	v_and_b32_sdwa v6, v12, v71 dst_sel:DWORD dst_unused:UNUSED_PAD src0_sel:BYTE_3 src1_sel:DWORD
	v_lshrrev_b32_e32 v8, 3, v13
	s_mov_b32 s17, exec_lo
	v_cmpx_gt_u32_e32 8, v13
; %bb.1217:                             ;   in Loop: Header=BB231_678 Depth=1
	v_ffbh_u32_e32 v8, v6
	v_min_u32_e32 v8, 32, v8
	v_subrev_nc_u32_e32 v10, 28, v8
	v_sub_nc_u32_e32 v8, 29, v8
	v_lshlrev_b64 v[21:22], v10, v[6:7]
	v_and_b32_e32 v6, 7, v21
; %bb.1218:                             ;   in Loop: Header=BB231_678 Depth=1
	s_or_b32 exec_lo, exec_lo, s17
	v_lshlrev_b32_sdwa v10, v80, v12 dst_sel:DWORD dst_unused:UNUSED_PAD src0_sel:DWORD src1_sel:BYTE_3
	v_lshlrev_b32_e32 v6, 20, v6
	v_lshl_add_u32 v8, v8, 23, 0x3c000000
	v_mov_b32_e32 v21, v7
	v_and_b32_e32 v10, 0x80000000, v10
	v_or3_b32 v22, v6, v10, v8
.LBB231_1219:                           ;   in Loop: Header=BB231_678 Depth=1
	s_or_b32 exec_lo, exec_lo, s16
.LBB231_1220:                           ;   in Loop: Header=BB231_678 Depth=1
	s_or_b32 exec_lo, exec_lo, s15
.LBB231_1221:                           ;   in Loop: Header=BB231_678 Depth=1
	s_or_b32 exec_lo, exec_lo, s13
	v_or_b32_e32 v6, v19, v17
	v_or_b32_e32 v8, v18, v16
	;; [unrolled: 1-line block ×4, first 2 shown]
	v_mul_f32_e32 v81, v84, v6
	v_mul_f32_e32 v67, v84, v8
	;; [unrolled: 1-line block ×4, first 2 shown]
	s_and_saveexec_b32 s13, vcc_lo
	s_cbranch_execz .LBB231_1223
; %bb.1222:                             ;   in Loop: Header=BB231_678 Depth=1
	v_cmp_lt_i32_e64 s4, v97, v88
	v_cndmask_b32_e64 v67, 0, v67, s4
	v_cmp_lt_i32_e64 s4, v100, v88
	v_cndmask_b32_e64 v81, 0, v81, s4
	;; [unrolled: 2-line block ×4, first 2 shown]
.LBB231_1223:                           ;   in Loop: Header=BB231_678 Depth=1
	s_or_b32 exec_lo, exec_lo, s13
	v_add_co_u32 v4, s4, 0x800, v4
	v_add_co_ci_u32_e64 v5, null, 0, v5, s4
	v_mov_b32_e32 v18, 0
	v_mov_b32_e32 v16, 0
	;; [unrolled: 1-line block ×3, first 2 shown]
	flat_load_dword v12, v[4:5]
	v_mov_b32_e32 v17, 0
	s_waitcnt vmcnt(0) lgkmcnt(0)
	v_cmp_ne_u16_sdwa s4, v12, v7 src0_sel:BYTE_0 src1_sel:DWORD
	s_and_saveexec_b32 s13, s4
	s_cbranch_execz .LBB231_1231
; %bb.1224:                             ;   in Loop: Header=BB231_678 Depth=1
	v_bfrev_b32_e32 v16, 1
	v_mov_b32_e32 v17, 0
	v_cmp_ne_u16_sdwa s4, v12, v68 src0_sel:BYTE_0 src1_sel:DWORD
	s_and_saveexec_b32 s15, s4
	s_cbranch_execz .LBB231_1230
; %bb.1225:                             ;   in Loop: Header=BB231_678 Depth=1
	v_mov_b32_e32 v16, 0x7f800001
	v_and_b32_e32 v10, 0x7f, v12
	v_mov_b32_e32 v17, 0
	s_mov_b32 s16, exec_lo
	v_cmpx_ne_u32_e32 0x7f, v10
	s_cbranch_execz .LBB231_1229
; %bb.1226:                             ;   in Loop: Header=BB231_678 Depth=1
	v_and_b32_e32 v6, 7, v12
	v_lshrrev_b32_e32 v8, 3, v10
	s_mov_b32 s17, exec_lo
	v_cmpx_gt_u32_e32 8, v10
; %bb.1227:                             ;   in Loop: Header=BB231_678 Depth=1
	v_ffbh_u32_e32 v8, v6
	v_min_u32_e32 v8, 32, v8
	v_subrev_nc_u32_e32 v10, 28, v8
	v_sub_nc_u32_e32 v8, 29, v8
	v_lshlrev_b64 v[16:17], v10, v[6:7]
	v_and_b32_e32 v6, 7, v16
; %bb.1228:                             ;   in Loop: Header=BB231_678 Depth=1
	s_or_b32 exec_lo, exec_lo, s17
	v_lshlrev_b32_e32 v10, 24, v12
	v_lshlrev_b32_e32 v6, 20, v6
	v_lshl_add_u32 v8, v8, 23, 0x3c000000
	v_and_b32_e32 v10, 0x80000000, v10
	v_or3_b32 v6, v6, v10, v8
	v_mov_b32_e32 v17, v7
	v_mov_b32_e32 v16, v6
.LBB231_1229:                           ;   in Loop: Header=BB231_678 Depth=1
	s_or_b32 exec_lo, exec_lo, s16
.LBB231_1230:                           ;   in Loop: Header=BB231_678 Depth=1
	s_or_b32 exec_lo, exec_lo, s15
.LBB231_1231:                           ;   in Loop: Header=BB231_678 Depth=1
	s_or_b32 exec_lo, exec_lo, s13
	v_cmp_ne_u16_sdwa s4, v12, v7 src0_sel:BYTE_1 src1_sel:DWORD
	s_and_saveexec_b32 s13, s4
	s_cbranch_execz .LBB231_1239
; %bb.1232:                             ;   in Loop: Header=BB231_678 Depth=1
	v_mov_b32_e32 v8, v7
	v_mov_b32_e32 v19, v9
	v_cmp_ne_u16_sdwa s4, v12, v68 src0_sel:BYTE_1 src1_sel:DWORD
	v_mov_b32_e32 v18, v8
	s_and_saveexec_b32 s15, s4
	s_cbranch_execz .LBB231_1238
; %bb.1233:                             ;   in Loop: Header=BB231_678 Depth=1
	v_and_b32_sdwa v6, v69, v12 dst_sel:DWORD dst_unused:UNUSED_PAD src0_sel:DWORD src1_sel:BYTE_1
	v_mov_b32_e32 v10, v7
	v_mov_b32_e32 v19, v11
	s_mov_b32 s16, exec_lo
	v_and_b32_e32 v13, 0x7f, v6
	v_mov_b32_e32 v18, v10
	v_cmpx_ne_u32_e32 0x7f, v13
	s_cbranch_execz .LBB231_1237
; %bb.1234:                             ;   in Loop: Header=BB231_678 Depth=1
	v_and_b32_e32 v6, 7, v6
	v_lshrrev_b32_e32 v8, 3, v13
	s_mov_b32 s17, exec_lo
	v_cmpx_gt_u32_e32 8, v13
; %bb.1235:                             ;   in Loop: Header=BB231_678 Depth=1
	v_ffbh_u32_e32 v8, v6
	v_min_u32_e32 v8, 32, v8
	v_subrev_nc_u32_e32 v10, 28, v8
	v_sub_nc_u32_e32 v8, 29, v8
	v_lshlrev_b64 v[18:19], v10, v[6:7]
	v_and_b32_e32 v6, 7, v18
; %bb.1236:                             ;   in Loop: Header=BB231_678 Depth=1
	s_or_b32 exec_lo, exec_lo, s17
	v_lshlrev_b32_e32 v10, 16, v12
	v_lshlrev_b32_e32 v6, 20, v6
	v_lshl_add_u32 v8, v8, 23, 0x3c000000
	v_mov_b32_e32 v18, v7
	v_and_b32_e32 v10, 0x80000000, v10
	v_or3_b32 v19, v6, v10, v8
.LBB231_1237:                           ;   in Loop: Header=BB231_678 Depth=1
	s_or_b32 exec_lo, exec_lo, s16
.LBB231_1238:                           ;   in Loop: Header=BB231_678 Depth=1
	s_or_b32 exec_lo, exec_lo, s15
.LBB231_1239:                           ;   in Loop: Header=BB231_678 Depth=1
	s_or_b32 exec_lo, exec_lo, s13
	v_mov_b32_e32 v21, 0
	v_mov_b32_e32 v23, 0
	v_and_b32_sdwa v6, v12, v70 dst_sel:DWORD dst_unused:UNUSED_PAD src0_sel:WORD_1 src1_sel:DWORD
	v_mov_b32_e32 v22, 0
	v_mov_b32_e32 v24, 0
	s_mov_b32 s13, exec_lo
	v_cmpx_ne_u16_e32 0, v6
	s_cbranch_execz .LBB231_1247
; %bb.1240:                             ;   in Loop: Header=BB231_678 Depth=1
	v_bfrev_b32_e32 v23, 1
	v_mov_b32_e32 v24, 0
	s_mov_b32 s15, exec_lo
	v_cmpx_ne_u16_e32 0x80, v6
	s_cbranch_execz .LBB231_1246
; %bb.1241:                             ;   in Loop: Header=BB231_678 Depth=1
	v_mov_b32_e32 v23, 0x7f800001
	v_bfe_u32 v10, v12, 16, 7
	v_mov_b32_e32 v24, 0
	s_mov_b32 s16, exec_lo
	v_cmpx_ne_u32_e32 0x7f, v10
	s_cbranch_execz .LBB231_1245
; %bb.1242:                             ;   in Loop: Header=BB231_678 Depth=1
	v_and_b32_sdwa v6, v12, v71 dst_sel:DWORD dst_unused:UNUSED_PAD src0_sel:WORD_1 src1_sel:DWORD
	v_lshrrev_b32_e32 v8, 3, v10
	s_mov_b32 s17, exec_lo
	v_cmpx_gt_u32_e32 8, v10
; %bb.1243:                             ;   in Loop: Header=BB231_678 Depth=1
	v_ffbh_u32_e32 v8, v6
	v_min_u32_e32 v8, 32, v8
	v_subrev_nc_u32_e32 v10, 28, v8
	v_sub_nc_u32_e32 v8, 29, v8
	v_lshlrev_b64 v[23:24], v10, v[6:7]
	v_and_b32_e32 v6, 7, v23
; %bb.1244:                             ;   in Loop: Header=BB231_678 Depth=1
	s_or_b32 exec_lo, exec_lo, s17
	v_lshlrev_b32_sdwa v10, v80, v12 dst_sel:DWORD dst_unused:UNUSED_PAD src0_sel:DWORD src1_sel:WORD_1
	v_lshlrev_b32_e32 v6, 20, v6
	v_lshl_add_u32 v8, v8, 23, 0x3c000000
	v_and_b32_e32 v10, 0x80000000, v10
	v_or3_b32 v6, v6, v10, v8
	v_mov_b32_e32 v24, v7
	v_mov_b32_e32 v23, v6
.LBB231_1245:                           ;   in Loop: Header=BB231_678 Depth=1
	s_or_b32 exec_lo, exec_lo, s16
.LBB231_1246:                           ;   in Loop: Header=BB231_678 Depth=1
	s_or_b32 exec_lo, exec_lo, s15
.LBB231_1247:                           ;   in Loop: Header=BB231_678 Depth=1
	s_or_b32 exec_lo, exec_lo, s13
	s_mov_b32 s13, exec_lo
	v_cmpx_lt_u32_e32 0xffffff, v12
	s_cbranch_execz .LBB231_1255
; %bb.1248:                             ;   in Loop: Header=BB231_678 Depth=1
	v_mov_b32_e32 v8, v7
	v_mov_b32_e32 v22, v9
	v_cmp_ne_u32_sdwa s4, v12, v68 src0_sel:BYTE_3 src1_sel:DWORD
	v_mov_b32_e32 v21, v8
	s_and_saveexec_b32 s15, s4
	s_cbranch_execz .LBB231_1254
; %bb.1249:                             ;   in Loop: Header=BB231_678 Depth=1
	v_mov_b32_e32 v10, v7
	v_mov_b32_e32 v22, v11
	v_bfe_u32 v13, v12, 24, 7
	s_mov_b32 s16, exec_lo
	v_mov_b32_e32 v21, v10
	v_cmpx_ne_u32_e32 0x7f, v13
	s_cbranch_execz .LBB231_1253
; %bb.1250:                             ;   in Loop: Header=BB231_678 Depth=1
	v_and_b32_sdwa v6, v12, v71 dst_sel:DWORD dst_unused:UNUSED_PAD src0_sel:BYTE_3 src1_sel:DWORD
	v_lshrrev_b32_e32 v8, 3, v13
	s_mov_b32 s17, exec_lo
	v_cmpx_gt_u32_e32 8, v13
; %bb.1251:                             ;   in Loop: Header=BB231_678 Depth=1
	v_ffbh_u32_e32 v8, v6
	v_min_u32_e32 v8, 32, v8
	v_subrev_nc_u32_e32 v10, 28, v8
	v_sub_nc_u32_e32 v8, 29, v8
	v_lshlrev_b64 v[21:22], v10, v[6:7]
	v_and_b32_e32 v6, 7, v21
; %bb.1252:                             ;   in Loop: Header=BB231_678 Depth=1
	s_or_b32 exec_lo, exec_lo, s17
	v_lshlrev_b32_sdwa v10, v80, v12 dst_sel:DWORD dst_unused:UNUSED_PAD src0_sel:DWORD src1_sel:BYTE_3
	v_lshlrev_b32_e32 v6, 20, v6
	v_lshl_add_u32 v8, v8, 23, 0x3c000000
	v_mov_b32_e32 v21, v7
	v_and_b32_e32 v10, 0x80000000, v10
	v_or3_b32 v22, v6, v10, v8
.LBB231_1253:                           ;   in Loop: Header=BB231_678 Depth=1
	s_or_b32 exec_lo, exec_lo, s16
.LBB231_1254:                           ;   in Loop: Header=BB231_678 Depth=1
	s_or_b32 exec_lo, exec_lo, s15
.LBB231_1255:                           ;   in Loop: Header=BB231_678 Depth=1
	s_or_b32 exec_lo, exec_lo, s13
	v_or_b32_e32 v6, v19, v17
	v_or_b32_e32 v8, v18, v16
	;; [unrolled: 1-line block ×4, first 2 shown]
	v_mul_f32_e32 v31, v84, v6
	v_mul_f32_e32 v83, v84, v8
	;; [unrolled: 1-line block ×4, first 2 shown]
	s_and_saveexec_b32 s13, vcc_lo
	s_cbranch_execz .LBB231_1257
; %bb.1256:                             ;   in Loop: Header=BB231_678 Depth=1
	v_cmp_lt_i32_e64 s4, v97, v88
	v_cndmask_b32_e64 v83, 0, v83, s4
	v_cmp_lt_i32_e64 s4, v100, v88
	v_cndmask_b32_e64 v31, 0, v31, s4
	;; [unrolled: 2-line block ×4, first 2 shown]
.LBB231_1257:                           ;   in Loop: Header=BB231_678 Depth=1
	s_or_b32 exec_lo, exec_lo, s13
	flat_load_dword v32, v[4:5] offset:128
	v_mov_b32_e32 v18, 0
	v_mov_b32_e32 v16, 0
	;; [unrolled: 1-line block ×4, first 2 shown]
	s_waitcnt vmcnt(0) lgkmcnt(0)
	v_cmp_ne_u16_sdwa s4, v32, v7 src0_sel:BYTE_0 src1_sel:DWORD
	s_and_saveexec_b32 s13, s4
	s_cbranch_execz .LBB231_1265
; %bb.1258:                             ;   in Loop: Header=BB231_678 Depth=1
	v_bfrev_b32_e32 v16, 1
	v_mov_b32_e32 v17, 0
	v_cmp_ne_u16_sdwa s4, v32, v68 src0_sel:BYTE_0 src1_sel:DWORD
	s_and_saveexec_b32 s15, s4
	s_cbranch_execz .LBB231_1264
; %bb.1259:                             ;   in Loop: Header=BB231_678 Depth=1
	v_mov_b32_e32 v16, 0x7f800001
	v_and_b32_e32 v10, 0x7f, v32
	v_mov_b32_e32 v17, 0
	s_mov_b32 s16, exec_lo
	v_cmpx_ne_u32_e32 0x7f, v10
	s_cbranch_execz .LBB231_1263
; %bb.1260:                             ;   in Loop: Header=BB231_678 Depth=1
	v_and_b32_e32 v6, 7, v32
	v_lshrrev_b32_e32 v8, 3, v10
	s_mov_b32 s17, exec_lo
	v_cmpx_gt_u32_e32 8, v10
; %bb.1261:                             ;   in Loop: Header=BB231_678 Depth=1
	v_ffbh_u32_e32 v8, v6
	v_min_u32_e32 v8, 32, v8
	v_subrev_nc_u32_e32 v10, 28, v8
	v_sub_nc_u32_e32 v8, 29, v8
	v_lshlrev_b64 v[16:17], v10, v[6:7]
	v_and_b32_e32 v6, 7, v16
; %bb.1262:                             ;   in Loop: Header=BB231_678 Depth=1
	s_or_b32 exec_lo, exec_lo, s17
	v_lshlrev_b32_e32 v10, 24, v32
	v_lshlrev_b32_e32 v6, 20, v6
	v_lshl_add_u32 v8, v8, 23, 0x3c000000
	v_and_b32_e32 v10, 0x80000000, v10
	v_or3_b32 v6, v6, v10, v8
	v_mov_b32_e32 v17, v7
	v_mov_b32_e32 v16, v6
.LBB231_1263:                           ;   in Loop: Header=BB231_678 Depth=1
	s_or_b32 exec_lo, exec_lo, s16
.LBB231_1264:                           ;   in Loop: Header=BB231_678 Depth=1
	s_or_b32 exec_lo, exec_lo, s15
.LBB231_1265:                           ;   in Loop: Header=BB231_678 Depth=1
	s_or_b32 exec_lo, exec_lo, s13
	v_cmp_ne_u16_sdwa s4, v32, v7 src0_sel:BYTE_1 src1_sel:DWORD
	s_and_saveexec_b32 s13, s4
	s_cbranch_execz .LBB231_1273
; %bb.1266:                             ;   in Loop: Header=BB231_678 Depth=1
	v_mov_b32_e32 v8, v7
	v_mov_b32_e32 v19, v9
	v_cmp_ne_u16_sdwa s4, v32, v68 src0_sel:BYTE_1 src1_sel:DWORD
	v_mov_b32_e32 v18, v8
	s_and_saveexec_b32 s15, s4
	s_cbranch_execz .LBB231_1272
; %bb.1267:                             ;   in Loop: Header=BB231_678 Depth=1
	v_and_b32_sdwa v6, v69, v32 dst_sel:DWORD dst_unused:UNUSED_PAD src0_sel:DWORD src1_sel:BYTE_1
	v_mov_b32_e32 v10, v7
	v_mov_b32_e32 v19, v11
	s_mov_b32 s16, exec_lo
	v_and_b32_e32 v21, 0x7f, v6
	v_mov_b32_e32 v18, v10
	v_cmpx_ne_u32_e32 0x7f, v21
	s_cbranch_execz .LBB231_1271
; %bb.1268:                             ;   in Loop: Header=BB231_678 Depth=1
	v_and_b32_e32 v6, 7, v6
	v_lshrrev_b32_e32 v8, 3, v21
	s_mov_b32 s17, exec_lo
	v_cmpx_gt_u32_e32 8, v21
; %bb.1269:                             ;   in Loop: Header=BB231_678 Depth=1
	v_ffbh_u32_e32 v8, v6
	v_min_u32_e32 v8, 32, v8
	v_subrev_nc_u32_e32 v10, 28, v8
	v_sub_nc_u32_e32 v8, 29, v8
	v_lshlrev_b64 v[18:19], v10, v[6:7]
	v_and_b32_e32 v6, 7, v18
; %bb.1270:                             ;   in Loop: Header=BB231_678 Depth=1
	s_or_b32 exec_lo, exec_lo, s17
	v_lshlrev_b32_e32 v10, 16, v32
	v_lshlrev_b32_e32 v6, 20, v6
	v_lshl_add_u32 v8, v8, 23, 0x3c000000
	v_mov_b32_e32 v18, v7
	v_and_b32_e32 v10, 0x80000000, v10
	v_or3_b32 v19, v6, v10, v8
.LBB231_1271:                           ;   in Loop: Header=BB231_678 Depth=1
	s_or_b32 exec_lo, exec_lo, s16
.LBB231_1272:                           ;   in Loop: Header=BB231_678 Depth=1
	s_or_b32 exec_lo, exec_lo, s15
.LBB231_1273:                           ;   in Loop: Header=BB231_678 Depth=1
	s_or_b32 exec_lo, exec_lo, s13
	v_mov_b32_e32 v21, 0
	v_mov_b32_e32 v23, 0
	v_and_b32_sdwa v6, v32, v70 dst_sel:DWORD dst_unused:UNUSED_PAD src0_sel:WORD_1 src1_sel:DWORD
	v_mov_b32_e32 v22, 0
	v_mov_b32_e32 v24, 0
	s_mov_b32 s13, exec_lo
	v_cmpx_ne_u16_e32 0, v6
	s_cbranch_execz .LBB231_1281
; %bb.1274:                             ;   in Loop: Header=BB231_678 Depth=1
	v_bfrev_b32_e32 v23, 1
	v_mov_b32_e32 v24, 0
	s_mov_b32 s15, exec_lo
	v_cmpx_ne_u16_e32 0x80, v6
	s_cbranch_execz .LBB231_1280
; %bb.1275:                             ;   in Loop: Header=BB231_678 Depth=1
	v_mov_b32_e32 v23, 0x7f800001
	v_bfe_u32 v10, v32, 16, 7
	v_mov_b32_e32 v24, 0
	s_mov_b32 s16, exec_lo
	v_cmpx_ne_u32_e32 0x7f, v10
	s_cbranch_execz .LBB231_1279
; %bb.1276:                             ;   in Loop: Header=BB231_678 Depth=1
	v_and_b32_sdwa v6, v32, v71 dst_sel:DWORD dst_unused:UNUSED_PAD src0_sel:WORD_1 src1_sel:DWORD
	v_lshrrev_b32_e32 v8, 3, v10
	s_mov_b32 s17, exec_lo
	v_cmpx_gt_u32_e32 8, v10
; %bb.1277:                             ;   in Loop: Header=BB231_678 Depth=1
	v_ffbh_u32_e32 v8, v6
	v_min_u32_e32 v8, 32, v8
	v_subrev_nc_u32_e32 v10, 28, v8
	v_sub_nc_u32_e32 v8, 29, v8
	v_lshlrev_b64 v[23:24], v10, v[6:7]
	v_and_b32_e32 v6, 7, v23
; %bb.1278:                             ;   in Loop: Header=BB231_678 Depth=1
	s_or_b32 exec_lo, exec_lo, s17
	v_lshlrev_b32_sdwa v10, v80, v32 dst_sel:DWORD dst_unused:UNUSED_PAD src0_sel:DWORD src1_sel:WORD_1
	v_lshlrev_b32_e32 v6, 20, v6
	v_lshl_add_u32 v8, v8, 23, 0x3c000000
	v_and_b32_e32 v10, 0x80000000, v10
	v_or3_b32 v6, v6, v10, v8
	v_mov_b32_e32 v24, v7
	v_mov_b32_e32 v23, v6
.LBB231_1279:                           ;   in Loop: Header=BB231_678 Depth=1
	s_or_b32 exec_lo, exec_lo, s16
.LBB231_1280:                           ;   in Loop: Header=BB231_678 Depth=1
	s_or_b32 exec_lo, exec_lo, s15
.LBB231_1281:                           ;   in Loop: Header=BB231_678 Depth=1
	s_or_b32 exec_lo, exec_lo, s13
	s_mov_b32 s13, exec_lo
	v_cmpx_lt_u32_e32 0xffffff, v32
	s_cbranch_execz .LBB231_1289
; %bb.1282:                             ;   in Loop: Header=BB231_678 Depth=1
	v_mov_b32_e32 v8, v7
	v_mov_b32_e32 v22, v9
	v_cmp_ne_u32_sdwa s4, v32, v68 src0_sel:BYTE_3 src1_sel:DWORD
	v_mov_b32_e32 v21, v8
	s_and_saveexec_b32 s15, s4
	s_cbranch_execz .LBB231_1288
; %bb.1283:                             ;   in Loop: Header=BB231_678 Depth=1
	v_mov_b32_e32 v10, v7
	v_mov_b32_e32 v22, v11
	v_bfe_u32 v33, v32, 24, 7
	s_mov_b32 s16, exec_lo
	v_mov_b32_e32 v21, v10
	v_cmpx_ne_u32_e32 0x7f, v33
	s_cbranch_execz .LBB231_1287
; %bb.1284:                             ;   in Loop: Header=BB231_678 Depth=1
	v_and_b32_sdwa v6, v32, v71 dst_sel:DWORD dst_unused:UNUSED_PAD src0_sel:BYTE_3 src1_sel:DWORD
	v_lshrrev_b32_e32 v8, 3, v33
	s_mov_b32 s17, exec_lo
	v_cmpx_gt_u32_e32 8, v33
; %bb.1285:                             ;   in Loop: Header=BB231_678 Depth=1
	v_ffbh_u32_e32 v8, v6
	v_min_u32_e32 v8, 32, v8
	v_subrev_nc_u32_e32 v10, 28, v8
	v_sub_nc_u32_e32 v8, 29, v8
	v_lshlrev_b64 v[21:22], v10, v[6:7]
	v_and_b32_e32 v6, 7, v21
; %bb.1286:                             ;   in Loop: Header=BB231_678 Depth=1
	s_or_b32 exec_lo, exec_lo, s17
	v_lshlrev_b32_sdwa v10, v80, v32 dst_sel:DWORD dst_unused:UNUSED_PAD src0_sel:DWORD src1_sel:BYTE_3
	v_lshlrev_b32_e32 v6, 20, v6
	v_lshl_add_u32 v8, v8, 23, 0x3c000000
	v_mov_b32_e32 v21, v7
	v_and_b32_e32 v10, 0x80000000, v10
	v_or3_b32 v22, v6, v10, v8
.LBB231_1287:                           ;   in Loop: Header=BB231_678 Depth=1
	s_or_b32 exec_lo, exec_lo, s16
.LBB231_1288:                           ;   in Loop: Header=BB231_678 Depth=1
	s_or_b32 exec_lo, exec_lo, s15
.LBB231_1289:                           ;   in Loop: Header=BB231_678 Depth=1
	s_or_b32 exec_lo, exec_lo, s13
	v_or_b32_e32 v6, v19, v17
	v_or_b32_e32 v8, v18, v16
	;; [unrolled: 1-line block ×4, first 2 shown]
	v_mul_f32_e32 v35, v84, v6
	v_mul_f32_e32 v34, v84, v8
	;; [unrolled: 1-line block ×4, first 2 shown]
	s_and_saveexec_b32 s13, vcc_lo
	s_cbranch_execz .LBB231_1291
; %bb.1290:                             ;   in Loop: Header=BB231_678 Depth=1
	v_cmp_lt_i32_e64 s4, v97, v88
	v_cndmask_b32_e64 v34, 0, v34, s4
	v_cmp_lt_i32_e64 s4, v100, v88
	v_cndmask_b32_e64 v35, 0, v35, s4
	;; [unrolled: 2-line block ×4, first 2 shown]
.LBB231_1291:                           ;   in Loop: Header=BB231_678 Depth=1
	s_or_b32 exec_lo, exec_lo, s13
	flat_load_dword v36, v[4:5] offset:256
	v_mov_b32_e32 v18, 0
	v_mov_b32_e32 v16, 0
	;; [unrolled: 1-line block ×4, first 2 shown]
	s_waitcnt vmcnt(0) lgkmcnt(0)
	v_cmp_ne_u16_sdwa s4, v36, v7 src0_sel:BYTE_0 src1_sel:DWORD
	s_and_saveexec_b32 s13, s4
	s_cbranch_execz .LBB231_1299
; %bb.1292:                             ;   in Loop: Header=BB231_678 Depth=1
	v_bfrev_b32_e32 v16, 1
	v_mov_b32_e32 v17, 0
	v_cmp_ne_u16_sdwa s4, v36, v68 src0_sel:BYTE_0 src1_sel:DWORD
	s_and_saveexec_b32 s15, s4
	s_cbranch_execz .LBB231_1298
; %bb.1293:                             ;   in Loop: Header=BB231_678 Depth=1
	v_mov_b32_e32 v16, 0x7f800001
	v_and_b32_e32 v10, 0x7f, v36
	v_mov_b32_e32 v17, 0
	s_mov_b32 s16, exec_lo
	v_cmpx_ne_u32_e32 0x7f, v10
	s_cbranch_execz .LBB231_1297
; %bb.1294:                             ;   in Loop: Header=BB231_678 Depth=1
	v_and_b32_e32 v6, 7, v36
	v_lshrrev_b32_e32 v8, 3, v10
	s_mov_b32 s17, exec_lo
	v_cmpx_gt_u32_e32 8, v10
; %bb.1295:                             ;   in Loop: Header=BB231_678 Depth=1
	v_ffbh_u32_e32 v8, v6
	v_min_u32_e32 v8, 32, v8
	v_subrev_nc_u32_e32 v10, 28, v8
	v_sub_nc_u32_e32 v8, 29, v8
	v_lshlrev_b64 v[16:17], v10, v[6:7]
	v_and_b32_e32 v6, 7, v16
; %bb.1296:                             ;   in Loop: Header=BB231_678 Depth=1
	s_or_b32 exec_lo, exec_lo, s17
	v_lshlrev_b32_e32 v10, 24, v36
	v_lshlrev_b32_e32 v6, 20, v6
	v_lshl_add_u32 v8, v8, 23, 0x3c000000
	v_and_b32_e32 v10, 0x80000000, v10
	v_or3_b32 v6, v6, v10, v8
	v_mov_b32_e32 v17, v7
	v_mov_b32_e32 v16, v6
.LBB231_1297:                           ;   in Loop: Header=BB231_678 Depth=1
	s_or_b32 exec_lo, exec_lo, s16
.LBB231_1298:                           ;   in Loop: Header=BB231_678 Depth=1
	s_or_b32 exec_lo, exec_lo, s15
.LBB231_1299:                           ;   in Loop: Header=BB231_678 Depth=1
	s_or_b32 exec_lo, exec_lo, s13
	v_cmp_ne_u16_sdwa s4, v36, v7 src0_sel:BYTE_1 src1_sel:DWORD
	s_and_saveexec_b32 s13, s4
	s_cbranch_execz .LBB231_1307
; %bb.1300:                             ;   in Loop: Header=BB231_678 Depth=1
	v_mov_b32_e32 v8, v7
	v_mov_b32_e32 v19, v9
	v_cmp_ne_u16_sdwa s4, v36, v68 src0_sel:BYTE_1 src1_sel:DWORD
	v_mov_b32_e32 v18, v8
	s_and_saveexec_b32 s15, s4
	s_cbranch_execz .LBB231_1306
; %bb.1301:                             ;   in Loop: Header=BB231_678 Depth=1
	v_and_b32_sdwa v6, v69, v36 dst_sel:DWORD dst_unused:UNUSED_PAD src0_sel:DWORD src1_sel:BYTE_1
	v_mov_b32_e32 v10, v7
	v_mov_b32_e32 v19, v11
	s_mov_b32 s16, exec_lo
	v_and_b32_e32 v21, 0x7f, v6
	v_mov_b32_e32 v18, v10
	v_cmpx_ne_u32_e32 0x7f, v21
	s_cbranch_execz .LBB231_1305
; %bb.1302:                             ;   in Loop: Header=BB231_678 Depth=1
	v_and_b32_e32 v6, 7, v6
	v_lshrrev_b32_e32 v8, 3, v21
	s_mov_b32 s17, exec_lo
	v_cmpx_gt_u32_e32 8, v21
; %bb.1303:                             ;   in Loop: Header=BB231_678 Depth=1
	v_ffbh_u32_e32 v8, v6
	v_min_u32_e32 v8, 32, v8
	v_subrev_nc_u32_e32 v10, 28, v8
	v_sub_nc_u32_e32 v8, 29, v8
	v_lshlrev_b64 v[18:19], v10, v[6:7]
	v_and_b32_e32 v6, 7, v18
; %bb.1304:                             ;   in Loop: Header=BB231_678 Depth=1
	s_or_b32 exec_lo, exec_lo, s17
	v_lshlrev_b32_e32 v10, 16, v36
	v_lshlrev_b32_e32 v6, 20, v6
	v_lshl_add_u32 v8, v8, 23, 0x3c000000
	v_mov_b32_e32 v18, v7
	v_and_b32_e32 v10, 0x80000000, v10
	v_or3_b32 v19, v6, v10, v8
.LBB231_1305:                           ;   in Loop: Header=BB231_678 Depth=1
	s_or_b32 exec_lo, exec_lo, s16
.LBB231_1306:                           ;   in Loop: Header=BB231_678 Depth=1
	s_or_b32 exec_lo, exec_lo, s15
.LBB231_1307:                           ;   in Loop: Header=BB231_678 Depth=1
	s_or_b32 exec_lo, exec_lo, s13
	v_mov_b32_e32 v21, 0
	v_mov_b32_e32 v23, 0
	v_and_b32_sdwa v6, v36, v70 dst_sel:DWORD dst_unused:UNUSED_PAD src0_sel:WORD_1 src1_sel:DWORD
	v_mov_b32_e32 v22, 0
	v_mov_b32_e32 v24, 0
	s_mov_b32 s13, exec_lo
	v_cmpx_ne_u16_e32 0, v6
	s_cbranch_execz .LBB231_1315
; %bb.1308:                             ;   in Loop: Header=BB231_678 Depth=1
	v_bfrev_b32_e32 v23, 1
	v_mov_b32_e32 v24, 0
	s_mov_b32 s15, exec_lo
	v_cmpx_ne_u16_e32 0x80, v6
	s_cbranch_execz .LBB231_1314
; %bb.1309:                             ;   in Loop: Header=BB231_678 Depth=1
	v_mov_b32_e32 v23, 0x7f800001
	v_bfe_u32 v10, v36, 16, 7
	v_mov_b32_e32 v24, 0
	s_mov_b32 s16, exec_lo
	v_cmpx_ne_u32_e32 0x7f, v10
	s_cbranch_execz .LBB231_1313
; %bb.1310:                             ;   in Loop: Header=BB231_678 Depth=1
	v_and_b32_sdwa v6, v36, v71 dst_sel:DWORD dst_unused:UNUSED_PAD src0_sel:WORD_1 src1_sel:DWORD
	v_lshrrev_b32_e32 v8, 3, v10
	s_mov_b32 s17, exec_lo
	v_cmpx_gt_u32_e32 8, v10
; %bb.1311:                             ;   in Loop: Header=BB231_678 Depth=1
	v_ffbh_u32_e32 v8, v6
	v_min_u32_e32 v8, 32, v8
	v_subrev_nc_u32_e32 v10, 28, v8
	v_sub_nc_u32_e32 v8, 29, v8
	v_lshlrev_b64 v[23:24], v10, v[6:7]
	v_and_b32_e32 v6, 7, v23
; %bb.1312:                             ;   in Loop: Header=BB231_678 Depth=1
	s_or_b32 exec_lo, exec_lo, s17
	v_lshlrev_b32_sdwa v10, v80, v36 dst_sel:DWORD dst_unused:UNUSED_PAD src0_sel:DWORD src1_sel:WORD_1
	v_lshlrev_b32_e32 v6, 20, v6
	v_lshl_add_u32 v8, v8, 23, 0x3c000000
	v_and_b32_e32 v10, 0x80000000, v10
	v_or3_b32 v6, v6, v10, v8
	v_mov_b32_e32 v24, v7
	v_mov_b32_e32 v23, v6
.LBB231_1313:                           ;   in Loop: Header=BB231_678 Depth=1
	s_or_b32 exec_lo, exec_lo, s16
.LBB231_1314:                           ;   in Loop: Header=BB231_678 Depth=1
	s_or_b32 exec_lo, exec_lo, s15
.LBB231_1315:                           ;   in Loop: Header=BB231_678 Depth=1
	s_or_b32 exec_lo, exec_lo, s13
	s_mov_b32 s13, exec_lo
	v_cmpx_lt_u32_e32 0xffffff, v36
	s_cbranch_execz .LBB231_1323
; %bb.1316:                             ;   in Loop: Header=BB231_678 Depth=1
	v_mov_b32_e32 v8, v7
	v_mov_b32_e32 v22, v9
	v_cmp_ne_u32_sdwa s4, v36, v68 src0_sel:BYTE_3 src1_sel:DWORD
	v_mov_b32_e32 v21, v8
	s_and_saveexec_b32 s15, s4
	s_cbranch_execz .LBB231_1322
; %bb.1317:                             ;   in Loop: Header=BB231_678 Depth=1
	v_mov_b32_e32 v10, v7
	v_mov_b32_e32 v22, v11
	v_bfe_u32 v37, v36, 24, 7
	s_mov_b32 s16, exec_lo
	v_mov_b32_e32 v21, v10
	v_cmpx_ne_u32_e32 0x7f, v37
	s_cbranch_execz .LBB231_1321
; %bb.1318:                             ;   in Loop: Header=BB231_678 Depth=1
	v_and_b32_sdwa v6, v36, v71 dst_sel:DWORD dst_unused:UNUSED_PAD src0_sel:BYTE_3 src1_sel:DWORD
	v_lshrrev_b32_e32 v8, 3, v37
	s_mov_b32 s17, exec_lo
	v_cmpx_gt_u32_e32 8, v37
; %bb.1319:                             ;   in Loop: Header=BB231_678 Depth=1
	v_ffbh_u32_e32 v8, v6
	v_min_u32_e32 v8, 32, v8
	v_subrev_nc_u32_e32 v10, 28, v8
	v_sub_nc_u32_e32 v8, 29, v8
	v_lshlrev_b64 v[21:22], v10, v[6:7]
	v_and_b32_e32 v6, 7, v21
; %bb.1320:                             ;   in Loop: Header=BB231_678 Depth=1
	s_or_b32 exec_lo, exec_lo, s17
	v_lshlrev_b32_sdwa v10, v80, v36 dst_sel:DWORD dst_unused:UNUSED_PAD src0_sel:DWORD src1_sel:BYTE_3
	v_lshlrev_b32_e32 v6, 20, v6
	v_lshl_add_u32 v8, v8, 23, 0x3c000000
	v_mov_b32_e32 v21, v7
	v_and_b32_e32 v10, 0x80000000, v10
	v_or3_b32 v22, v6, v10, v8
.LBB231_1321:                           ;   in Loop: Header=BB231_678 Depth=1
	s_or_b32 exec_lo, exec_lo, s16
.LBB231_1322:                           ;   in Loop: Header=BB231_678 Depth=1
	s_or_b32 exec_lo, exec_lo, s15
.LBB231_1323:                           ;   in Loop: Header=BB231_678 Depth=1
	s_or_b32 exec_lo, exec_lo, s13
	v_or_b32_e32 v6, v19, v17
	v_or_b32_e32 v8, v18, v16
	;; [unrolled: 1-line block ×4, first 2 shown]
	v_mul_f32_e32 v37, v84, v6
	v_mul_f32_e32 v36, v84, v8
	v_mul_f32_e32 v24, v84, v10
	v_mul_f32_e32 v23, v84, v16
	s_and_saveexec_b32 s13, vcc_lo
	s_cbranch_execz .LBB231_1325
; %bb.1324:                             ;   in Loop: Header=BB231_678 Depth=1
	v_cmp_lt_i32_e64 s4, v97, v88
	v_cndmask_b32_e64 v36, 0, v36, s4
	v_cmp_lt_i32_e64 s4, v100, v88
	v_cndmask_b32_e64 v37, 0, v37, s4
	;; [unrolled: 2-line block ×4, first 2 shown]
.LBB231_1325:                           ;   in Loop: Header=BB231_678 Depth=1
	s_or_b32 exec_lo, exec_lo, s13
	flat_load_dword v38, v[4:5] offset:384
	v_mov_b32_e32 v16, 0
	v_mov_b32_e32 v4, 0
	;; [unrolled: 1-line block ×4, first 2 shown]
	s_waitcnt vmcnt(0) lgkmcnt(0)
	v_cmp_ne_u16_sdwa s4, v38, v7 src0_sel:BYTE_0 src1_sel:DWORD
	s_and_saveexec_b32 s13, s4
	s_cbranch_execz .LBB231_1333
; %bb.1326:                             ;   in Loop: Header=BB231_678 Depth=1
	v_bfrev_b32_e32 v4, 1
	v_mov_b32_e32 v5, 0
	v_cmp_ne_u16_sdwa s4, v38, v68 src0_sel:BYTE_0 src1_sel:DWORD
	s_and_saveexec_b32 s15, s4
	s_cbranch_execz .LBB231_1332
; %bb.1327:                             ;   in Loop: Header=BB231_678 Depth=1
	v_mov_b32_e32 v4, 0x7f800001
	v_and_b32_e32 v8, 0x7f, v38
	v_mov_b32_e32 v5, 0
	s_mov_b32 s16, exec_lo
	v_cmpx_ne_u32_e32 0x7f, v8
	s_cbranch_execz .LBB231_1331
; %bb.1328:                             ;   in Loop: Header=BB231_678 Depth=1
	v_and_b32_e32 v6, 7, v38
	v_lshrrev_b32_e32 v4, 3, v8
	s_mov_b32 s17, exec_lo
	v_cmpx_gt_u32_e32 8, v8
; %bb.1329:                             ;   in Loop: Header=BB231_678 Depth=1
	v_ffbh_u32_e32 v4, v6
	v_min_u32_e32 v4, 32, v4
	v_subrev_nc_u32_e32 v5, 28, v4
	v_sub_nc_u32_e32 v4, 29, v4
	v_lshlrev_b64 v[5:6], v5, v[6:7]
	v_and_b32_e32 v6, 7, v5
; %bb.1330:                             ;   in Loop: Header=BB231_678 Depth=1
	s_or_b32 exec_lo, exec_lo, s17
	v_lshlrev_b32_e32 v5, 24, v38
	v_lshlrev_b32_e32 v6, 20, v6
	v_lshl_add_u32 v4, v4, 23, 0x3c000000
	v_and_b32_e32 v5, 0x80000000, v5
	v_or3_b32 v6, v6, v5, v4
	v_mov_b32_e32 v4, v6
	v_mov_b32_e32 v5, v7
.LBB231_1331:                           ;   in Loop: Header=BB231_678 Depth=1
	s_or_b32 exec_lo, exec_lo, s16
.LBB231_1332:                           ;   in Loop: Header=BB231_678 Depth=1
	s_or_b32 exec_lo, exec_lo, s15
.LBB231_1333:                           ;   in Loop: Header=BB231_678 Depth=1
	s_or_b32 exec_lo, exec_lo, s13
	v_cmp_ne_u16_sdwa s4, v38, v7 src0_sel:BYTE_1 src1_sel:DWORD
	s_and_saveexec_b32 s13, s4
	s_cbranch_execz .LBB231_1341
; %bb.1334:                             ;   in Loop: Header=BB231_678 Depth=1
	v_mov_b32_e32 v8, v7
	v_mov_b32_e32 v17, v9
	v_cmp_ne_u16_sdwa s4, v38, v68 src0_sel:BYTE_1 src1_sel:DWORD
	v_mov_b32_e32 v16, v8
	s_and_saveexec_b32 s15, s4
	s_cbranch_execz .LBB231_1340
; %bb.1335:                             ;   in Loop: Header=BB231_678 Depth=1
	v_and_b32_sdwa v6, v69, v38 dst_sel:DWORD dst_unused:UNUSED_PAD src0_sel:DWORD src1_sel:BYTE_1
	v_mov_b32_e32 v10, v7
	v_mov_b32_e32 v17, v11
	s_mov_b32 s16, exec_lo
	v_and_b32_e32 v18, 0x7f, v6
	v_mov_b32_e32 v16, v10
	v_cmpx_ne_u32_e32 0x7f, v18
	s_cbranch_execz .LBB231_1339
; %bb.1336:                             ;   in Loop: Header=BB231_678 Depth=1
	v_and_b32_e32 v6, 7, v6
	v_lshrrev_b32_e32 v8, 3, v18
	s_mov_b32 s17, exec_lo
	v_cmpx_gt_u32_e32 8, v18
; %bb.1337:                             ;   in Loop: Header=BB231_678 Depth=1
	v_ffbh_u32_e32 v8, v6
	v_min_u32_e32 v8, 32, v8
	v_subrev_nc_u32_e32 v10, 28, v8
	v_sub_nc_u32_e32 v8, 29, v8
	v_lshlrev_b64 v[16:17], v10, v[6:7]
	v_and_b32_e32 v6, 7, v16
; %bb.1338:                             ;   in Loop: Header=BB231_678 Depth=1
	s_or_b32 exec_lo, exec_lo, s17
	v_lshlrev_b32_e32 v10, 16, v38
	v_lshlrev_b32_e32 v6, 20, v6
	v_lshl_add_u32 v8, v8, 23, 0x3c000000
	v_mov_b32_e32 v16, v7
	v_and_b32_e32 v10, 0x80000000, v10
	v_or3_b32 v17, v6, v10, v8
.LBB231_1339:                           ;   in Loop: Header=BB231_678 Depth=1
	s_or_b32 exec_lo, exec_lo, s16
.LBB231_1340:                           ;   in Loop: Header=BB231_678 Depth=1
	s_or_b32 exec_lo, exec_lo, s15
.LBB231_1341:                           ;   in Loop: Header=BB231_678 Depth=1
	s_or_b32 exec_lo, exec_lo, s13
	v_mov_b32_e32 v18, 0
	v_mov_b32_e32 v21, 0
	v_and_b32_sdwa v6, v38, v70 dst_sel:DWORD dst_unused:UNUSED_PAD src0_sel:WORD_1 src1_sel:DWORD
	v_mov_b32_e32 v19, 0
	v_mov_b32_e32 v22, 0
	s_mov_b32 s13, exec_lo
	v_cmpx_ne_u16_e32 0, v6
	s_cbranch_execz .LBB231_1349
; %bb.1342:                             ;   in Loop: Header=BB231_678 Depth=1
	v_bfrev_b32_e32 v21, 1
	v_mov_b32_e32 v22, 0
	s_mov_b32 s15, exec_lo
	v_cmpx_ne_u16_e32 0x80, v6
	s_cbranch_execz .LBB231_1348
; %bb.1343:                             ;   in Loop: Header=BB231_678 Depth=1
	v_mov_b32_e32 v21, 0x7f800001
	v_bfe_u32 v10, v38, 16, 7
	v_mov_b32_e32 v22, 0
	s_mov_b32 s16, exec_lo
	v_cmpx_ne_u32_e32 0x7f, v10
	s_cbranch_execz .LBB231_1347
; %bb.1344:                             ;   in Loop: Header=BB231_678 Depth=1
	v_and_b32_sdwa v6, v38, v71 dst_sel:DWORD dst_unused:UNUSED_PAD src0_sel:WORD_1 src1_sel:DWORD
	v_lshrrev_b32_e32 v8, 3, v10
	s_mov_b32 s17, exec_lo
	v_cmpx_gt_u32_e32 8, v10
; %bb.1345:                             ;   in Loop: Header=BB231_678 Depth=1
	v_ffbh_u32_e32 v8, v6
	v_min_u32_e32 v8, 32, v8
	v_subrev_nc_u32_e32 v10, 28, v8
	v_sub_nc_u32_e32 v8, 29, v8
	v_lshlrev_b64 v[21:22], v10, v[6:7]
	v_and_b32_e32 v6, 7, v21
; %bb.1346:                             ;   in Loop: Header=BB231_678 Depth=1
	s_or_b32 exec_lo, exec_lo, s17
	v_lshlrev_b32_sdwa v10, v80, v38 dst_sel:DWORD dst_unused:UNUSED_PAD src0_sel:DWORD src1_sel:WORD_1
	v_lshlrev_b32_e32 v6, 20, v6
	v_lshl_add_u32 v8, v8, 23, 0x3c000000
	v_and_b32_e32 v10, 0x80000000, v10
	v_or3_b32 v6, v6, v10, v8
	v_mov_b32_e32 v22, v7
	v_mov_b32_e32 v21, v6
.LBB231_1347:                           ;   in Loop: Header=BB231_678 Depth=1
	s_or_b32 exec_lo, exec_lo, s16
.LBB231_1348:                           ;   in Loop: Header=BB231_678 Depth=1
	s_or_b32 exec_lo, exec_lo, s15
.LBB231_1349:                           ;   in Loop: Header=BB231_678 Depth=1
	s_or_b32 exec_lo, exec_lo, s13
	s_mov_b32 s13, exec_lo
	v_cmpx_lt_u32_e32 0xffffff, v38
	s_cbranch_execz .LBB231_1357
; %bb.1350:                             ;   in Loop: Header=BB231_678 Depth=1
	v_mov_b32_e32 v8, v7
	v_mov_b32_e32 v19, v9
	v_cmp_ne_u32_sdwa s4, v38, v68 src0_sel:BYTE_3 src1_sel:DWORD
	v_mov_b32_e32 v18, v8
	s_and_saveexec_b32 s15, s4
	s_cbranch_execz .LBB231_1356
; %bb.1351:                             ;   in Loop: Header=BB231_678 Depth=1
	v_mov_b32_e32 v10, v7
	v_mov_b32_e32 v19, v11
	;; [unrolled: 1-line block ×3, first 2 shown]
	v_bfe_u32 v39, v38, 24, 7
	s_mov_b32 s16, exec_lo
	v_mov_b32_e32 v18, v10
	v_cmpx_ne_u32_e32 0x7f, v39
	s_cbranch_execz .LBB231_1355
; %bb.1352:                             ;   in Loop: Header=BB231_678 Depth=1
	v_and_b32_sdwa v6, v38, v71 dst_sel:DWORD dst_unused:UNUSED_PAD src0_sel:BYTE_3 src1_sel:DWORD
	v_lshrrev_b32_e32 v8, 3, v39
	s_mov_b32 s17, exec_lo
	v_cmpx_gt_u32_e32 8, v39
; %bb.1353:                             ;   in Loop: Header=BB231_678 Depth=1
	v_ffbh_u32_e32 v8, v6
	v_min_u32_e32 v8, 32, v8
	v_subrev_nc_u32_e32 v10, 28, v8
	v_sub_nc_u32_e32 v8, 29, v8
	v_lshlrev_b64 v[18:19], v10, v[6:7]
	v_and_b32_e32 v6, 7, v18
; %bb.1354:                             ;   in Loop: Header=BB231_678 Depth=1
	s_or_b32 exec_lo, exec_lo, s17
	v_lshlrev_b32_sdwa v10, v80, v38 dst_sel:DWORD dst_unused:UNUSED_PAD src0_sel:DWORD src1_sel:BYTE_3
	v_lshlrev_b32_e32 v6, 20, v6
	v_lshl_add_u32 v8, v8, 23, 0x3c000000
	v_mov_b32_e32 v18, v7
	v_and_b32_e32 v10, 0x80000000, v10
	v_or3_b32 v19, v6, v10, v8
.LBB231_1355:                           ;   in Loop: Header=BB231_678 Depth=1
	s_or_b32 exec_lo, exec_lo, s16
	v_mov_b32_e32 v39, v30
.LBB231_1356:                           ;   in Loop: Header=BB231_678 Depth=1
	s_or_b32 exec_lo, exec_lo, s15
.LBB231_1357:                           ;   in Loop: Header=BB231_678 Depth=1
	s_or_b32 exec_lo, exec_lo, s13
	v_or_b32_e32 v5, v17, v5
	v_or_b32_e32 v4, v16, v4
	;; [unrolled: 1-line block ×4, first 2 shown]
	v_mul_f32_e32 v8, v84, v5
	v_mul_f32_e32 v6, v84, v4
	;; [unrolled: 1-line block ×4, first 2 shown]
	s_and_saveexec_b32 s4, vcc_lo
	s_cbranch_execz .LBB231_676
; %bb.1358:                             ;   in Loop: Header=BB231_678 Depth=1
	v_cmp_lt_i32_e32 vcc_lo, v97, v88
	v_cndmask_b32_e32 v6, 0, v6, vcc_lo
	v_cmp_lt_i32_e32 vcc_lo, v100, v88
	v_cndmask_b32_e32 v8, 0, v8, vcc_lo
	;; [unrolled: 2-line block ×4, first 2 shown]
	s_branch .LBB231_676
.LBB231_1359:
	s_or_b32 exec_lo, exec_lo, s11
	s_clause 0x7
	buffer_load_dword v38, off, s[0:3], s32 offset:328
	buffer_load_dword v37, off, s[0:3], s32 offset:232
	;; [unrolled: 1-line block ×8, first 2 shown]
.LBB231_1360:
	s_or_b32 exec_lo, exec_lo, s7
	ds_bpermute_b32 v0, v28, v65
	ds_bpermute_b32 v2, v28, v64
	s_waitcnt vmcnt(3)
	ds_bpermute_b32 v15, v28, v34
	ds_bpermute_b32 v6, v28, v52
	;; [unrolled: 1-line block ×11, first 2 shown]
	s_waitcnt vmcnt(0)
	ds_bpermute_b32 v11, v28, v24
	ds_bpermute_b32 v12, v28, v23
	;; [unrolled: 1-line block ×6, first 2 shown]
	v_mov_b32_e32 v35, v19
	s_waitcnt lgkmcnt(18)
	v_add_f32_e32 v0, v65, v0
	s_waitcnt lgkmcnt(17)
	v_add_f32_e32 v2, v64, v2
	;; [unrolled: 2-line block ×5, first 2 shown]
	ds_bpermute_b32 v20, v26, v0
	ds_bpermute_b32 v22, v26, v2
	;; [unrolled: 1-line block ×3, first 2 shown]
	s_waitcnt lgkmcnt(16)
	v_add_f32_e32 v7, v51, v7
	ds_bpermute_b32 v28, v26, v6
	s_waitcnt lgkmcnt(0)
	s_waitcnt_vscnt null, 0x0
	s_barrier
	buffer_gl0_inv
	ds_bpermute_b32 v29, v26, v7
	v_add_f32_e32 v1, v66, v1
	v_add_f32_e32 v5, v53, v5
	;; [unrolled: 1-line block ×5, first 2 shown]
	ds_bpermute_b32 v21, v26, v1
	ds_bpermute_b32 v27, v26, v5
	v_add_f32_e32 v9, v49, v9
	v_add_f32_e32 v10, v48, v10
	;; [unrolled: 1-line block ×9, first 2 shown]
	ds_bpermute_b32 v20, v25, v0
	ds_bpermute_b32 v22, v25, v2
	v_add_f32_e32 v16, v33, v16
	s_waitcnt lgkmcnt(4)
	v_add_f32_e32 v7, v7, v29
	ds_bpermute_b32 v29, v25, v6
	v_add_f32_e32 v18, v37, v18
	v_add_f32_e32 v19, v39, v19
	ds_bpermute_b32 v23, v26, v3
	ds_bpermute_b32 v24, v26, v4
	s_waitcnt lgkmcnt(6)
	v_add_f32_e32 v1, v1, v21
	ds_bpermute_b32 v30, v26, v8
	ds_bpermute_b32 v31, v26, v9
	ds_bpermute_b32 v32, v26, v10
	ds_bpermute_b32 v33, v26, v11
	ds_bpermute_b32 v21, v25, v1
	ds_bpermute_b32 v34, v26, v12
	ds_bpermute_b32 v35, v26, v13
	ds_bpermute_b32 v36, v26, v14
	s_waitcnt lgkmcnt(13)
	v_add_f32_e32 v5, v5, v27
	ds_bpermute_b32 v27, v26, v18
	s_waitcnt lgkmcnt(13)
	v_add_f32_e32 v0, v0, v20
	ds_bpermute_b32 v20, v26, v15
	;; [unrolled: 3-line block ×3, first 2 shown]
	s_waitcnt lgkmcnt(13)
	v_add_f32_e32 v6, v6, v29
	buffer_load_dword v29, off, s[0:3], s32 offset:828 ; 4-byte Folded Reload
	ds_bpermute_b32 v28, v25, v5
	s_waitcnt lgkmcnt(13)
	v_add_f32_e32 v3, v3, v23
	s_waitcnt lgkmcnt(12)
	v_add_f32_e32 v4, v4, v24
	s_load_dword s4, s[8:9], 0x0
	s_waitcnt lgkmcnt(0)
	v_add_f32_e32 v8, v8, v30
	v_add_f32_e32 v9, v9, v31
	;; [unrolled: 1-line block ×5, first 2 shown]
	ds_bpermute_b32 v21, v26, v16
	ds_bpermute_b32 v26, v26, v19
	v_add_f32_e32 v12, v12, v34
	v_add_f32_e32 v13, v13, v35
	;; [unrolled: 1-line block ×5, first 2 shown]
	ds_bpermute_b32 v23, v25, v3
	v_add_f32_e32 v17, v17, v22
	ds_bpermute_b32 v24, v25, v4
	ds_bpermute_b32 v30, v25, v7
	ds_bpermute_b32 v20, v25, v15
	ds_bpermute_b32 v31, v25, v8
	ds_bpermute_b32 v22, v25, v17
	ds_bpermute_b32 v37, v25, v9
	ds_bpermute_b32 v32, v25, v10
	ds_bpermute_b32 v33, v25, v11
	ds_bpermute_b32 v34, v25, v12
	ds_bpermute_b32 v35, v25, v13
	ds_bpermute_b32 v36, v25, v14
	s_waitcnt lgkmcnt(13)
	v_add_f32_e32 v16, v16, v21
	s_waitcnt lgkmcnt(12)
	v_add_f32_e32 v19, v19, v26
	ds_bpermute_b32 v26, v25, v18
	v_add_f32_e32 v5, v5, v28
	s_mov_b32 s7, exec_lo
	ds_bpermute_b32 v21, v25, v16
	ds_bpermute_b32 v25, v25, v19
	s_waitcnt lgkmcnt(14)
	v_add_f32_e32 v3, v3, v23
	s_waitcnt lgkmcnt(13)
	v_add_f32_e32 v4, v4, v24
	;; [unrolled: 2-line block ×4, first 2 shown]
	buffer_load_dword v20, off, s[0:3], s32 offset:468 ; 4-byte Folded Reload
	s_waitcnt lgkmcnt(9)
	v_add_f32_e32 v17, v17, v22
	buffer_load_dword v22, off, s[0:3], s32 offset:824 ; 4-byte Folded Reload
	v_add_f32_e32 v8, v8, v31
	s_waitcnt lgkmcnt(8)
	v_add_f32_e32 v9, v9, v37
	s_waitcnt lgkmcnt(7)
	;; [unrolled: 2-line block ×9, first 2 shown]
	v_add_f32_e32 v19, v19, v25
	s_waitcnt vmcnt(2)
	v_and_b32_e32 v23, 0x3c7, v29
	s_waitcnt vmcnt(1)
	v_lshrrev_b32_e32 v20, 3, v20
	s_waitcnt vmcnt(0)
	v_mul_u32_u24_e32 v22, 0x140, v22
	v_lshl_add_u32 v21, v20, 2, s4
	v_cmpx_eq_u32_e32 64, v23
	s_cbranch_execz .LBB231_1362
; %bb.1361:
	v_add_nc_u32_e32 v23, v21, v22
	v_add_nc_u32_e32 v24, 0xfffffd80, v23
	;; [unrolled: 1-line block ×6, first 2 shown]
	ds_write_b32 v24, v0
	ds_write_b32 v25, v1
	ds_write_b32 v26, v2
	ds_write_b32 v27, v3
	ds_write_b32 v28, v4
	v_add_nc_u32_e32 v24, 0xfffffdd0, v23
	v_add_nc_u32_e32 v25, 0xfffffde0, v23
	v_add_nc_u32_e32 v26, 0xfffffdf0, v23
	v_add_nc_u32_e32 v27, 0xfffffe00, v23
	v_add_nc_u32_e32 v28, 0xfffffe10, v23
	ds_write_b32 v24, v5
	ds_write_b32 v25, v6
	ds_write_b32 v26, v7
	ds_write_b32 v27, v8
	ds_write_b32 v28, v9
	v_add_nc_u32_e32 v24, 0xfffffe20, v23
	v_add_nc_u32_e32 v25, 0xfffffe30, v23
	v_add_nc_u32_e32 v26, 0xfffffe40, v23
	v_add_nc_u32_e32 v27, 0xfffffe50, v23
	v_add_nc_u32_e32 v28, 0xfffffe60, v23
	;; [unrolled: 10-line block ×3, first 2 shown]
	ds_write_b32 v24, v15
	ds_write_b32 v25, v16
	;; [unrolled: 1-line block ×5, first 2 shown]
.LBB231_1362:
	s_or_b32 exec_lo, exec_lo, s7
	v_lshlrev_b32_e32 v20, 2, v20
	s_mov_b32 s7, exec_lo
	v_cmp_eq_u32_e32 vcc_lo, 0, v38
	s_waitcnt lgkmcnt(0)
	s_barrier
	v_add3_u32 v20, s4, v22, v20
	buffer_gl0_inv
	v_cmpx_gt_u32_e32 64, v29
	s_cbranch_execz .LBB231_1385
; %bb.1363:
	s_and_saveexec_b32 s4, vcc_lo
	s_cbranch_execnz .LBB231_1413
; %bb.1364:
	s_or_b32 exec_lo, exec_lo, s4
	s_and_saveexec_b32 s4, vcc_lo
	s_cbranch_execnz .LBB231_1414
.LBB231_1365:
	s_or_b32 exec_lo, exec_lo, s4
	s_and_saveexec_b32 s4, vcc_lo
	s_cbranch_execnz .LBB231_1415
.LBB231_1366:
	s_or_b32 exec_lo, exec_lo, s4
	s_and_saveexec_b32 s4, vcc_lo
	s_cbranch_execnz .LBB231_1416
.LBB231_1367:
	s_or_b32 exec_lo, exec_lo, s4
	s_and_saveexec_b32 s4, vcc_lo
	s_cbranch_execnz .LBB231_1417
.LBB231_1368:
	s_or_b32 exec_lo, exec_lo, s4
	s_and_saveexec_b32 s4, vcc_lo
	s_cbranch_execnz .LBB231_1418
.LBB231_1369:
	s_or_b32 exec_lo, exec_lo, s4
	s_and_saveexec_b32 s4, vcc_lo
	s_cbranch_execnz .LBB231_1419
.LBB231_1370:
	s_or_b32 exec_lo, exec_lo, s4
	s_and_saveexec_b32 s4, vcc_lo
	s_cbranch_execnz .LBB231_1420
.LBB231_1371:
	s_or_b32 exec_lo, exec_lo, s4
	s_and_saveexec_b32 s4, vcc_lo
	s_cbranch_execnz .LBB231_1421
.LBB231_1372:
	s_or_b32 exec_lo, exec_lo, s4
	s_and_saveexec_b32 s4, vcc_lo
	s_cbranch_execnz .LBB231_1422
.LBB231_1373:
	s_or_b32 exec_lo, exec_lo, s4
	s_and_saveexec_b32 s4, vcc_lo
	s_cbranch_execnz .LBB231_1423
.LBB231_1374:
	s_or_b32 exec_lo, exec_lo, s4
	s_and_saveexec_b32 s4, vcc_lo
	s_cbranch_execnz .LBB231_1424
.LBB231_1375:
	s_or_b32 exec_lo, exec_lo, s4
	s_and_saveexec_b32 s4, vcc_lo
	s_cbranch_execnz .LBB231_1425
.LBB231_1376:
	s_or_b32 exec_lo, exec_lo, s4
	s_and_saveexec_b32 s4, vcc_lo
	s_cbranch_execnz .LBB231_1426
.LBB231_1377:
	s_or_b32 exec_lo, exec_lo, s4
	s_and_saveexec_b32 s4, vcc_lo
	s_cbranch_execnz .LBB231_1427
.LBB231_1378:
	s_or_b32 exec_lo, exec_lo, s4
	s_and_saveexec_b32 s4, vcc_lo
	s_cbranch_execnz .LBB231_1428
.LBB231_1379:
	s_or_b32 exec_lo, exec_lo, s4
	s_and_saveexec_b32 s4, vcc_lo
	s_cbranch_execnz .LBB231_1429
.LBB231_1380:
	s_or_b32 exec_lo, exec_lo, s4
	s_and_saveexec_b32 s4, vcc_lo
	s_cbranch_execnz .LBB231_1430
.LBB231_1381:
	s_or_b32 exec_lo, exec_lo, s4
	s_and_saveexec_b32 s4, vcc_lo
	s_cbranch_execnz .LBB231_1431
.LBB231_1382:
	s_or_b32 exec_lo, exec_lo, s4
	s_and_saveexec_b32 s4, vcc_lo
	s_cbranch_execz .LBB231_1384
.LBB231_1383:
	ds_read_b32 v22, v20 offset:304
	s_waitcnt lgkmcnt(0)
	v_add_f32_e32 v19, v22, v19
.LBB231_1384:
	s_or_b32 exec_lo, exec_lo, s4
.LBB231_1385:
	s_or_b32 exec_lo, exec_lo, s7
	v_and_b32_e32 v22, 0x3e7, v29
	s_mov_b32 s7, exec_lo
	s_barrier
	buffer_gl0_inv
	v_cmpx_eq_u32_e32 32, v22
	s_cbranch_execz .LBB231_1387
; %bb.1386:
	ds_write2_b32 v21, v0, v1 offset1:4
	ds_write2_b32 v21, v2, v3 offset0:8 offset1:12
	ds_write2_b32 v21, v4, v5 offset0:16 offset1:20
	;; [unrolled: 1-line block ×9, first 2 shown]
.LBB231_1387:
	s_or_b32 exec_lo, exec_lo, s7
	s_mov_b32 s7, exec_lo
	s_waitcnt lgkmcnt(0)
	s_barrier
	buffer_gl0_inv
	v_cmpx_gt_u32_e32 32, v29
	s_cbranch_execz .LBB231_1410
; %bb.1388:
	s_and_saveexec_b32 s4, vcc_lo
	s_cbranch_execnz .LBB231_1432
; %bb.1389:
	s_or_b32 exec_lo, exec_lo, s4
	s_and_saveexec_b32 s4, vcc_lo
	s_cbranch_execnz .LBB231_1433
.LBB231_1390:
	s_or_b32 exec_lo, exec_lo, s4
	s_and_saveexec_b32 s4, vcc_lo
	s_cbranch_execnz .LBB231_1434
.LBB231_1391:
	s_or_b32 exec_lo, exec_lo, s4
	s_and_saveexec_b32 s4, vcc_lo
	s_cbranch_execnz .LBB231_1435
.LBB231_1392:
	s_or_b32 exec_lo, exec_lo, s4
	s_and_saveexec_b32 s4, vcc_lo
	s_cbranch_execnz .LBB231_1436
.LBB231_1393:
	s_or_b32 exec_lo, exec_lo, s4
	s_and_saveexec_b32 s4, vcc_lo
	s_cbranch_execnz .LBB231_1437
.LBB231_1394:
	s_or_b32 exec_lo, exec_lo, s4
	s_and_saveexec_b32 s4, vcc_lo
	s_cbranch_execnz .LBB231_1438
.LBB231_1395:
	s_or_b32 exec_lo, exec_lo, s4
	s_and_saveexec_b32 s4, vcc_lo
	s_cbranch_execnz .LBB231_1439
.LBB231_1396:
	s_or_b32 exec_lo, exec_lo, s4
	s_and_saveexec_b32 s4, vcc_lo
	s_cbranch_execnz .LBB231_1440
.LBB231_1397:
	s_or_b32 exec_lo, exec_lo, s4
	s_and_saveexec_b32 s4, vcc_lo
	s_cbranch_execnz .LBB231_1441
.LBB231_1398:
	s_or_b32 exec_lo, exec_lo, s4
	s_and_saveexec_b32 s4, vcc_lo
	s_cbranch_execnz .LBB231_1442
.LBB231_1399:
	s_or_b32 exec_lo, exec_lo, s4
	s_and_saveexec_b32 s4, vcc_lo
	s_cbranch_execnz .LBB231_1443
.LBB231_1400:
	s_or_b32 exec_lo, exec_lo, s4
	s_and_saveexec_b32 s4, vcc_lo
	s_cbranch_execnz .LBB231_1444
.LBB231_1401:
	s_or_b32 exec_lo, exec_lo, s4
	s_and_saveexec_b32 s4, vcc_lo
	s_cbranch_execnz .LBB231_1445
.LBB231_1402:
	s_or_b32 exec_lo, exec_lo, s4
	s_and_saveexec_b32 s4, vcc_lo
	s_cbranch_execnz .LBB231_1446
.LBB231_1403:
	s_or_b32 exec_lo, exec_lo, s4
	s_and_saveexec_b32 s4, vcc_lo
	s_cbranch_execnz .LBB231_1447
.LBB231_1404:
	s_or_b32 exec_lo, exec_lo, s4
	s_and_saveexec_b32 s4, vcc_lo
	s_cbranch_execnz .LBB231_1448
.LBB231_1405:
	s_or_b32 exec_lo, exec_lo, s4
	s_and_saveexec_b32 s4, vcc_lo
	s_cbranch_execnz .LBB231_1449
.LBB231_1406:
	s_or_b32 exec_lo, exec_lo, s4
	s_and_saveexec_b32 s4, vcc_lo
	s_cbranch_execnz .LBB231_1450
.LBB231_1407:
	s_or_b32 exec_lo, exec_lo, s4
	s_and_saveexec_b32 s4, vcc_lo
	s_cbranch_execz .LBB231_1409
.LBB231_1408:
	ds_read_b32 v20, v20 offset:304
	s_waitcnt lgkmcnt(0)
	v_add_f32_e32 v19, v20, v19
.LBB231_1409:
	s_or_b32 exec_lo, exec_lo, s4
.LBB231_1410:
	s_or_b32 exec_lo, exec_lo, s7
	v_cmp_eq_u32_e32 vcc_lo, 0, v22
	s_barrier
	buffer_gl0_inv
	s_and_b32 exec_lo, exec_lo, vcc_lo
	s_cbranch_execz .LBB231_1412
; %bb.1411:
	s_clause 0x1
	buffer_load_dword v20, off, s[0:3], s32 offset:836
	buffer_load_dword v21, off, s[0:3], s32 offset:832
	s_mulk_i32 s6, 0x50
	s_mul_i32 s4, s10, s5
	s_ashr_i32 s7, s6, 31
	s_ashr_i32 s5, s4, 31
	s_lshl_b64 s[6:7], s[6:7], 2
	s_lshl_b64 s[4:5], s[4:5], 2
	v_lshrrev_b32_e32 v22, 1, v29
	s_waitcnt vmcnt(1)
	v_add_co_u32 v20, vcc_lo, v20, s6
	s_waitcnt vmcnt(0)
	v_add_co_ci_u32_e64 v21, null, s7, v21, vcc_lo
	s_mul_i32 s6, s14, 0x50
	v_add_co_u32 v20, vcc_lo, v20, s4
	s_ashr_i32 s7, s6, 31
	v_add_co_ci_u32_e64 v21, null, s5, v21, vcc_lo
	s_lshl_b64 s[4:5], s[6:7], 2
	v_add_co_u32 v20, vcc_lo, v20, s4
	v_add_co_ci_u32_e64 v21, null, s5, v21, vcc_lo
	v_add_co_u32 v20, vcc_lo, v20, v22
	v_add_co_ci_u32_e64 v21, null, 0, v21, vcc_lo
	flat_store_dword v[20:21], v0
	flat_store_dword v[20:21], v1 offset:16
	flat_store_dword v[20:21], v2 offset:32
	;; [unrolled: 1-line block ×19, first 2 shown]
.LBB231_1412:
	s_or_b32 exec_lo, exec_lo, s19
	s_clause 0x2f
	buffer_load_dword v127, off, s[0:3], s32 offset:8
	buffer_load_dword v126, off, s[0:3], s32 offset:12
	;; [unrolled: 1-line block ×48, first 2 shown]
	s_waitcnt vmcnt(0) lgkmcnt(0)
	s_setpc_b64 s[30:31]
.LBB231_1413:
	ds_read_b32 v22, v20
	s_waitcnt lgkmcnt(0)
	v_add_f32_e32 v0, v22, v0
	s_or_b32 exec_lo, exec_lo, s4
	s_and_saveexec_b32 s4, vcc_lo
	s_cbranch_execz .LBB231_1365
.LBB231_1414:
	ds_read_b32 v22, v20 offset:16
	s_waitcnt lgkmcnt(0)
	v_add_f32_e32 v1, v22, v1
	s_or_b32 exec_lo, exec_lo, s4
	s_and_saveexec_b32 s4, vcc_lo
	s_cbranch_execz .LBB231_1366
.LBB231_1415:
	ds_read_b32 v22, v20 offset:32
	s_waitcnt lgkmcnt(0)
	v_add_f32_e32 v2, v22, v2
	s_or_b32 exec_lo, exec_lo, s4
	s_and_saveexec_b32 s4, vcc_lo
	s_cbranch_execz .LBB231_1367
.LBB231_1416:
	ds_read_b32 v22, v20 offset:48
	s_waitcnt lgkmcnt(0)
	v_add_f32_e32 v3, v22, v3
	s_or_b32 exec_lo, exec_lo, s4
	s_and_saveexec_b32 s4, vcc_lo
	s_cbranch_execz .LBB231_1368
.LBB231_1417:
	ds_read_b32 v22, v20 offset:64
	s_waitcnt lgkmcnt(0)
	v_add_f32_e32 v4, v22, v4
	s_or_b32 exec_lo, exec_lo, s4
	s_and_saveexec_b32 s4, vcc_lo
	s_cbranch_execz .LBB231_1369
.LBB231_1418:
	ds_read_b32 v22, v20 offset:80
	s_waitcnt lgkmcnt(0)
	v_add_f32_e32 v5, v22, v5
	s_or_b32 exec_lo, exec_lo, s4
	s_and_saveexec_b32 s4, vcc_lo
	s_cbranch_execz .LBB231_1370
.LBB231_1419:
	ds_read_b32 v22, v20 offset:96
	s_waitcnt lgkmcnt(0)
	v_add_f32_e32 v6, v22, v6
	s_or_b32 exec_lo, exec_lo, s4
	s_and_saveexec_b32 s4, vcc_lo
	s_cbranch_execz .LBB231_1371
.LBB231_1420:
	ds_read_b32 v22, v20 offset:112
	s_waitcnt lgkmcnt(0)
	v_add_f32_e32 v7, v22, v7
	s_or_b32 exec_lo, exec_lo, s4
	s_and_saveexec_b32 s4, vcc_lo
	s_cbranch_execz .LBB231_1372
.LBB231_1421:
	ds_read_b32 v22, v20 offset:128
	s_waitcnt lgkmcnt(0)
	v_add_f32_e32 v8, v22, v8
	s_or_b32 exec_lo, exec_lo, s4
	s_and_saveexec_b32 s4, vcc_lo
	s_cbranch_execz .LBB231_1373
.LBB231_1422:
	ds_read_b32 v22, v20 offset:144
	s_waitcnt lgkmcnt(0)
	v_add_f32_e32 v9, v22, v9
	s_or_b32 exec_lo, exec_lo, s4
	s_and_saveexec_b32 s4, vcc_lo
	s_cbranch_execz .LBB231_1374
.LBB231_1423:
	ds_read_b32 v22, v20 offset:160
	s_waitcnt lgkmcnt(0)
	v_add_f32_e32 v10, v22, v10
	s_or_b32 exec_lo, exec_lo, s4
	s_and_saveexec_b32 s4, vcc_lo
	s_cbranch_execz .LBB231_1375
.LBB231_1424:
	ds_read_b32 v22, v20 offset:176
	s_waitcnt lgkmcnt(0)
	v_add_f32_e32 v11, v22, v11
	s_or_b32 exec_lo, exec_lo, s4
	s_and_saveexec_b32 s4, vcc_lo
	s_cbranch_execz .LBB231_1376
.LBB231_1425:
	ds_read_b32 v22, v20 offset:192
	s_waitcnt lgkmcnt(0)
	v_add_f32_e32 v12, v22, v12
	s_or_b32 exec_lo, exec_lo, s4
	s_and_saveexec_b32 s4, vcc_lo
	s_cbranch_execz .LBB231_1377
.LBB231_1426:
	ds_read_b32 v22, v20 offset:208
	s_waitcnt lgkmcnt(0)
	v_add_f32_e32 v13, v22, v13
	s_or_b32 exec_lo, exec_lo, s4
	s_and_saveexec_b32 s4, vcc_lo
	s_cbranch_execz .LBB231_1378
.LBB231_1427:
	ds_read_b32 v22, v20 offset:224
	s_waitcnt lgkmcnt(0)
	v_add_f32_e32 v14, v22, v14
	s_or_b32 exec_lo, exec_lo, s4
	s_and_saveexec_b32 s4, vcc_lo
	s_cbranch_execz .LBB231_1379
.LBB231_1428:
	ds_read_b32 v22, v20 offset:240
	s_waitcnt lgkmcnt(0)
	v_add_f32_e32 v15, v22, v15
	s_or_b32 exec_lo, exec_lo, s4
	s_and_saveexec_b32 s4, vcc_lo
	s_cbranch_execz .LBB231_1380
.LBB231_1429:
	ds_read_b32 v22, v20 offset:256
	s_waitcnt lgkmcnt(0)
	v_add_f32_e32 v16, v22, v16
	s_or_b32 exec_lo, exec_lo, s4
	s_and_saveexec_b32 s4, vcc_lo
	s_cbranch_execz .LBB231_1381
.LBB231_1430:
	ds_read_b32 v22, v20 offset:272
	s_waitcnt lgkmcnt(0)
	v_add_f32_e32 v17, v22, v17
	s_or_b32 exec_lo, exec_lo, s4
	s_and_saveexec_b32 s4, vcc_lo
	s_cbranch_execz .LBB231_1382
.LBB231_1431:
	ds_read_b32 v22, v20 offset:288
	s_waitcnt lgkmcnt(0)
	v_add_f32_e32 v18, v22, v18
	s_or_b32 exec_lo, exec_lo, s4
	s_and_saveexec_b32 s4, vcc_lo
	s_cbranch_execnz .LBB231_1383
	s_branch .LBB231_1384
.LBB231_1432:
	ds_read_b32 v21, v20
	s_waitcnt lgkmcnt(0)
	v_add_f32_e32 v0, v21, v0
	s_or_b32 exec_lo, exec_lo, s4
	s_and_saveexec_b32 s4, vcc_lo
	s_cbranch_execz .LBB231_1390
.LBB231_1433:
	ds_read_b32 v21, v20 offset:16
	s_waitcnt lgkmcnt(0)
	v_add_f32_e32 v1, v21, v1
	s_or_b32 exec_lo, exec_lo, s4
	s_and_saveexec_b32 s4, vcc_lo
	s_cbranch_execz .LBB231_1391
.LBB231_1434:
	ds_read_b32 v21, v20 offset:32
	s_waitcnt lgkmcnt(0)
	v_add_f32_e32 v2, v21, v2
	s_or_b32 exec_lo, exec_lo, s4
	s_and_saveexec_b32 s4, vcc_lo
	s_cbranch_execz .LBB231_1392
.LBB231_1435:
	ds_read_b32 v21, v20 offset:48
	s_waitcnt lgkmcnt(0)
	v_add_f32_e32 v3, v21, v3
	s_or_b32 exec_lo, exec_lo, s4
	s_and_saveexec_b32 s4, vcc_lo
	s_cbranch_execz .LBB231_1393
.LBB231_1436:
	ds_read_b32 v21, v20 offset:64
	s_waitcnt lgkmcnt(0)
	v_add_f32_e32 v4, v21, v4
	s_or_b32 exec_lo, exec_lo, s4
	s_and_saveexec_b32 s4, vcc_lo
	s_cbranch_execz .LBB231_1394
.LBB231_1437:
	ds_read_b32 v21, v20 offset:80
	s_waitcnt lgkmcnt(0)
	v_add_f32_e32 v5, v21, v5
	s_or_b32 exec_lo, exec_lo, s4
	s_and_saveexec_b32 s4, vcc_lo
	s_cbranch_execz .LBB231_1395
.LBB231_1438:
	ds_read_b32 v21, v20 offset:96
	s_waitcnt lgkmcnt(0)
	v_add_f32_e32 v6, v21, v6
	s_or_b32 exec_lo, exec_lo, s4
	s_and_saveexec_b32 s4, vcc_lo
	s_cbranch_execz .LBB231_1396
.LBB231_1439:
	ds_read_b32 v21, v20 offset:112
	s_waitcnt lgkmcnt(0)
	v_add_f32_e32 v7, v21, v7
	s_or_b32 exec_lo, exec_lo, s4
	s_and_saveexec_b32 s4, vcc_lo
	s_cbranch_execz .LBB231_1397
.LBB231_1440:
	ds_read_b32 v21, v20 offset:128
	s_waitcnt lgkmcnt(0)
	v_add_f32_e32 v8, v21, v8
	s_or_b32 exec_lo, exec_lo, s4
	s_and_saveexec_b32 s4, vcc_lo
	s_cbranch_execz .LBB231_1398
.LBB231_1441:
	ds_read_b32 v21, v20 offset:144
	s_waitcnt lgkmcnt(0)
	v_add_f32_e32 v9, v21, v9
	s_or_b32 exec_lo, exec_lo, s4
	s_and_saveexec_b32 s4, vcc_lo
	s_cbranch_execz .LBB231_1399
.LBB231_1442:
	ds_read_b32 v21, v20 offset:160
	s_waitcnt lgkmcnt(0)
	v_add_f32_e32 v10, v21, v10
	s_or_b32 exec_lo, exec_lo, s4
	s_and_saveexec_b32 s4, vcc_lo
	s_cbranch_execz .LBB231_1400
.LBB231_1443:
	ds_read_b32 v21, v20 offset:176
	s_waitcnt lgkmcnt(0)
	v_add_f32_e32 v11, v21, v11
	s_or_b32 exec_lo, exec_lo, s4
	s_and_saveexec_b32 s4, vcc_lo
	s_cbranch_execz .LBB231_1401
.LBB231_1444:
	ds_read_b32 v21, v20 offset:192
	s_waitcnt lgkmcnt(0)
	v_add_f32_e32 v12, v21, v12
	s_or_b32 exec_lo, exec_lo, s4
	s_and_saveexec_b32 s4, vcc_lo
	s_cbranch_execz .LBB231_1402
.LBB231_1445:
	ds_read_b32 v21, v20 offset:208
	s_waitcnt lgkmcnt(0)
	v_add_f32_e32 v13, v21, v13
	s_or_b32 exec_lo, exec_lo, s4
	s_and_saveexec_b32 s4, vcc_lo
	s_cbranch_execz .LBB231_1403
.LBB231_1446:
	ds_read_b32 v21, v20 offset:224
	s_waitcnt lgkmcnt(0)
	v_add_f32_e32 v14, v21, v14
	s_or_b32 exec_lo, exec_lo, s4
	s_and_saveexec_b32 s4, vcc_lo
	s_cbranch_execz .LBB231_1404
.LBB231_1447:
	ds_read_b32 v21, v20 offset:240
	s_waitcnt lgkmcnt(0)
	v_add_f32_e32 v15, v21, v15
	s_or_b32 exec_lo, exec_lo, s4
	s_and_saveexec_b32 s4, vcc_lo
	s_cbranch_execz .LBB231_1405
.LBB231_1448:
	ds_read_b32 v21, v20 offset:256
	s_waitcnt lgkmcnt(0)
	v_add_f32_e32 v16, v21, v16
	s_or_b32 exec_lo, exec_lo, s4
	s_and_saveexec_b32 s4, vcc_lo
	s_cbranch_execz .LBB231_1406
.LBB231_1449:
	ds_read_b32 v21, v20 offset:272
	s_waitcnt lgkmcnt(0)
	v_add_f32_e32 v17, v21, v17
	s_or_b32 exec_lo, exec_lo, s4
	s_and_saveexec_b32 s4, vcc_lo
	s_cbranch_execz .LBB231_1407
.LBB231_1450:
	ds_read_b32 v21, v20 offset:288
	s_waitcnt lgkmcnt(0)
	v_add_f32_e32 v18, v21, v18
	s_or_b32 exec_lo, exec_lo, s4
	s_and_saveexec_b32 s4, vcc_lo
	s_cbranch_execnz .LBB231_1408
	s_branch .LBB231_1409
.Lfunc_end231:
	.size	_ZN4vllm22paged_attention_kernelIfhLi80ELi32ELi128ELNS_18Fp8KVCacheDataTypeE1ELb1ELi512EEEvPfS2_PT_PKS3_PKT0_S9_ifPKiSB_iPKfiiiSD_SD_iiiii, .Lfunc_end231-_ZN4vllm22paged_attention_kernelIfhLi80ELi32ELi128ELNS_18Fp8KVCacheDataTypeE1ELb1ELi512EEEvPfS2_PT_PKS3_PKT0_S9_ifPKiSB_iPKfiiiSD_SD_iiiii
                                        ; -- End function
	.set .L_ZN4vllm22paged_attention_kernelIfhLi80ELi32ELi128ELNS_18Fp8KVCacheDataTypeE1ELb1ELi512EEEvPfS2_PT_PKS3_PKT0_S9_ifPKiSB_iPKfiiiSD_SD_iiiii.num_vgpr, 128
	.set .L_ZN4vllm22paged_attention_kernelIfhLi80ELi32ELi128ELNS_18Fp8KVCacheDataTypeE1ELb1ELi512EEEvPfS2_PT_PKS3_PKT0_S9_ifPKiSB_iPKfiiiSD_SD_iiiii.num_agpr, 0
	.set .L_ZN4vllm22paged_attention_kernelIfhLi80ELi32ELi128ELNS_18Fp8KVCacheDataTypeE1ELb1ELi512EEEvPfS2_PT_PKS3_PKT0_S9_ifPKiSB_iPKfiiiSD_SD_iiiii.numbered_sgpr, 33
	.set .L_ZN4vllm22paged_attention_kernelIfhLi80ELi32ELi128ELNS_18Fp8KVCacheDataTypeE1ELb1ELi512EEEvPfS2_PT_PKS3_PKT0_S9_ifPKiSB_iPKfiiiSD_SD_iiiii.num_named_barrier, 0
	.set .L_ZN4vllm22paged_attention_kernelIfhLi80ELi32ELi128ELNS_18Fp8KVCacheDataTypeE1ELb1ELi512EEEvPfS2_PT_PKS3_PKT0_S9_ifPKiSB_iPKfiiiSD_SD_iiiii.private_seg_size, 908
	.set .L_ZN4vllm22paged_attention_kernelIfhLi80ELi32ELi128ELNS_18Fp8KVCacheDataTypeE1ELb1ELi512EEEvPfS2_PT_PKS3_PKT0_S9_ifPKiSB_iPKfiiiSD_SD_iiiii.uses_vcc, 1
	.set .L_ZN4vllm22paged_attention_kernelIfhLi80ELi32ELi128ELNS_18Fp8KVCacheDataTypeE1ELb1ELi512EEEvPfS2_PT_PKS3_PKT0_S9_ifPKiSB_iPKfiiiSD_SD_iiiii.uses_flat_scratch, 0
	.set .L_ZN4vllm22paged_attention_kernelIfhLi80ELi32ELi128ELNS_18Fp8KVCacheDataTypeE1ELb1ELi512EEEvPfS2_PT_PKS3_PKT0_S9_ifPKiSB_iPKfiiiSD_SD_iiiii.has_dyn_sized_stack, 0
	.set .L_ZN4vllm22paged_attention_kernelIfhLi80ELi32ELi128ELNS_18Fp8KVCacheDataTypeE1ELb1ELi512EEEvPfS2_PT_PKS3_PKT0_S9_ifPKiSB_iPKfiiiSD_SD_iiiii.has_recursion, 0
	.set .L_ZN4vllm22paged_attention_kernelIfhLi80ELi32ELi128ELNS_18Fp8KVCacheDataTypeE1ELb1ELi512EEEvPfS2_PT_PKS3_PKT0_S9_ifPKiSB_iPKfiiiSD_SD_iiiii.has_indirect_call, 0
	.section	.AMDGPU.csdata,"",@progbits
; Function info:
; codeLenInByte = 48784
; TotalNumSgprs: 35
; NumVgprs: 128
; ScratchSize: 908
; MemoryBound: 0
	.section	.text._ZN4vllm25paged_attention_v2_kernelIfhLi80ELi32ELi128ELNS_18Fp8KVCacheDataTypeE1ELb1ELi512EEEvPfS2_PT_PKS3_PKT0_S9_ifPKiSB_iPKfiiiSD_SD_iiiii,"axG",@progbits,_ZN4vllm25paged_attention_v2_kernelIfhLi80ELi32ELi128ELNS_18Fp8KVCacheDataTypeE1ELb1ELi512EEEvPfS2_PT_PKS3_PKT0_S9_ifPKiSB_iPKfiiiSD_SD_iiiii,comdat
	.protected	_ZN4vllm25paged_attention_v2_kernelIfhLi80ELi32ELi128ELNS_18Fp8KVCacheDataTypeE1ELb1ELi512EEEvPfS2_PT_PKS3_PKT0_S9_ifPKiSB_iPKfiiiSD_SD_iiiii ; -- Begin function _ZN4vllm25paged_attention_v2_kernelIfhLi80ELi32ELi128ELNS_18Fp8KVCacheDataTypeE1ELb1ELi512EEEvPfS2_PT_PKS3_PKT0_S9_ifPKiSB_iPKfiiiSD_SD_iiiii
	.globl	_ZN4vllm25paged_attention_v2_kernelIfhLi80ELi32ELi128ELNS_18Fp8KVCacheDataTypeE1ELb1ELi512EEEvPfS2_PT_PKS3_PKT0_S9_ifPKiSB_iPKfiiiSD_SD_iiiii
	.p2align	8
	.type	_ZN4vllm25paged_attention_v2_kernelIfhLi80ELi32ELi128ELNS_18Fp8KVCacheDataTypeE1ELb1ELi512EEEvPfS2_PT_PKS3_PKT0_S9_ifPKiSB_iPKfiiiSD_SD_iiiii,@function
_ZN4vllm25paged_attention_v2_kernelIfhLi80ELi32ELi128ELNS_18Fp8KVCacheDataTypeE1ELb1ELi512EEEvPfS2_PT_PKS3_PKT0_S9_ifPKiSB_iPKfiiiSD_SD_iiiii: ; @_ZN4vllm25paged_attention_v2_kernelIfhLi80ELi32ELi128ELNS_18Fp8KVCacheDataTypeE1ELb1ELi512EEEvPfS2_PT_PKS3_PKT0_S9_ifPKiSB_iPKfiiiSD_SD_iiiii
; %bb.0:
	s_mov_b32 s14, s8
	s_clause 0x7
	s_load_dwordx4 s[36:39], s[4:5], 0x78
	s_load_dword s8, s[4:5], 0x88
	s_load_dwordx8 s[40:47], s[4:5], 0x0
	s_load_dwordx8 s[24:31], s[4:5], 0x20
	s_load_dwordx2 s[10:11], s[4:5], 0x40
	s_load_dwordx2 s[34:35], s[4:5], 0x50
	s_load_dword s13, s[4:5], 0x48
	s_load_dwordx8 s[16:23], s[4:5], 0x58
	s_add_u32 s0, s0, s9
	s_mov_b32 s32, 0
	s_addc_u32 s1, s1, 0
	v_mov_b32_e32 v31, v0
	s_mov_b32 s12, s6
	s_mov_b32 s15, 31
	s_waitcnt lgkmcnt(0)
	v_mov_b32_e32 v1, s39
	v_mov_b32_e32 v2, s8
	;; [unrolled: 1-line block ×4, first 2 shown]
	buffer_store_dword v1, off, s[0:3], s32
	buffer_store_dword v2, off, s[0:3], s32 offset:4
	v_mov_b32_e32 v1, s41
	v_mov_b32_e32 v2, s42
	;; [unrolled: 1-line block ×29, first 2 shown]
	s_add_u32 s8, s4, 0x90
	s_addc_u32 s9, s5, 0
	s_getpc_b64 s[4:5]
	s_add_u32 s4, s4, _ZN4vllm22paged_attention_kernelIfhLi80ELi32ELi128ELNS_18Fp8KVCacheDataTypeE1ELb1ELi512EEEvPfS2_PT_PKS3_PKT0_S9_ifPKiSB_iPKfiiiSD_SD_iiiii@rel32@lo+4
	s_addc_u32 s5, s5, _ZN4vllm22paged_attention_kernelIfhLi80ELi32ELi128ELNS_18Fp8KVCacheDataTypeE1ELb1ELi512EEEvPfS2_PT_PKS3_PKT0_S9_ifPKiSB_iPKfiiiSD_SD_iiiii@rel32@hi+12
	s_mov_b32 s13, s7
	s_swappc_b64 s[30:31], s[4:5]
	s_endpgm
	.section	.rodata,"a",@progbits
	.p2align	6, 0x0
	.amdhsa_kernel _ZN4vllm25paged_attention_v2_kernelIfhLi80ELi32ELi128ELNS_18Fp8KVCacheDataTypeE1ELb1ELi512EEEvPfS2_PT_PKS3_PKT0_S9_ifPKiSB_iPKfiiiSD_SD_iiiii
		.amdhsa_group_segment_fixed_size 352
		.amdhsa_private_segment_fixed_size 908
		.amdhsa_kernarg_size 400
		.amdhsa_user_sgpr_count 6
		.amdhsa_user_sgpr_private_segment_buffer 1
		.amdhsa_user_sgpr_dispatch_ptr 0
		.amdhsa_user_sgpr_queue_ptr 0
		.amdhsa_user_sgpr_kernarg_segment_ptr 1
		.amdhsa_user_sgpr_dispatch_id 0
		.amdhsa_user_sgpr_flat_scratch_init 0
		.amdhsa_user_sgpr_private_segment_size 0
		.amdhsa_wavefront_size32 1
		.amdhsa_uses_dynamic_stack 0
		.amdhsa_system_sgpr_private_segment_wavefront_offset 1
		.amdhsa_system_sgpr_workgroup_id_x 1
		.amdhsa_system_sgpr_workgroup_id_y 1
		.amdhsa_system_sgpr_workgroup_id_z 1
		.amdhsa_system_sgpr_workgroup_info 0
		.amdhsa_system_vgpr_workitem_id 0
		.amdhsa_next_free_vgpr 128
		.amdhsa_next_free_sgpr 48
		.amdhsa_reserve_vcc 1
		.amdhsa_reserve_flat_scratch 0
		.amdhsa_float_round_mode_32 0
		.amdhsa_float_round_mode_16_64 0
		.amdhsa_float_denorm_mode_32 3
		.amdhsa_float_denorm_mode_16_64 3
		.amdhsa_dx10_clamp 1
		.amdhsa_ieee_mode 1
		.amdhsa_fp16_overflow 0
		.amdhsa_workgroup_processor_mode 1
		.amdhsa_memory_ordered 1
		.amdhsa_forward_progress 1
		.amdhsa_shared_vgpr_count 0
		.amdhsa_exception_fp_ieee_invalid_op 0
		.amdhsa_exception_fp_denorm_src 0
		.amdhsa_exception_fp_ieee_div_zero 0
		.amdhsa_exception_fp_ieee_overflow 0
		.amdhsa_exception_fp_ieee_underflow 0
		.amdhsa_exception_fp_ieee_inexact 0
		.amdhsa_exception_int_div_zero 0
	.end_amdhsa_kernel
	.section	.text._ZN4vllm25paged_attention_v2_kernelIfhLi80ELi32ELi128ELNS_18Fp8KVCacheDataTypeE1ELb1ELi512EEEvPfS2_PT_PKS3_PKT0_S9_ifPKiSB_iPKfiiiSD_SD_iiiii,"axG",@progbits,_ZN4vllm25paged_attention_v2_kernelIfhLi80ELi32ELi128ELNS_18Fp8KVCacheDataTypeE1ELb1ELi512EEEvPfS2_PT_PKS3_PKT0_S9_ifPKiSB_iPKfiiiSD_SD_iiiii,comdat
.Lfunc_end232:
	.size	_ZN4vllm25paged_attention_v2_kernelIfhLi80ELi32ELi128ELNS_18Fp8KVCacheDataTypeE1ELb1ELi512EEEvPfS2_PT_PKS3_PKT0_S9_ifPKiSB_iPKfiiiSD_SD_iiiii, .Lfunc_end232-_ZN4vllm25paged_attention_v2_kernelIfhLi80ELi32ELi128ELNS_18Fp8KVCacheDataTypeE1ELb1ELi512EEEvPfS2_PT_PKS3_PKT0_S9_ifPKiSB_iPKfiiiSD_SD_iiiii
                                        ; -- End function
	.set _ZN4vllm25paged_attention_v2_kernelIfhLi80ELi32ELi128ELNS_18Fp8KVCacheDataTypeE1ELb1ELi512EEEvPfS2_PT_PKS3_PKT0_S9_ifPKiSB_iPKfiiiSD_SD_iiiii.num_vgpr, max(32, .L_ZN4vllm22paged_attention_kernelIfhLi80ELi32ELi128ELNS_18Fp8KVCacheDataTypeE1ELb1ELi512EEEvPfS2_PT_PKS3_PKT0_S9_ifPKiSB_iPKfiiiSD_SD_iiiii.num_vgpr)
	.set _ZN4vllm25paged_attention_v2_kernelIfhLi80ELi32ELi128ELNS_18Fp8KVCacheDataTypeE1ELb1ELi512EEEvPfS2_PT_PKS3_PKT0_S9_ifPKiSB_iPKfiiiSD_SD_iiiii.num_agpr, max(0, .L_ZN4vllm22paged_attention_kernelIfhLi80ELi32ELi128ELNS_18Fp8KVCacheDataTypeE1ELb1ELi512EEEvPfS2_PT_PKS3_PKT0_S9_ifPKiSB_iPKfiiiSD_SD_iiiii.num_agpr)
	.set _ZN4vllm25paged_attention_v2_kernelIfhLi80ELi32ELi128ELNS_18Fp8KVCacheDataTypeE1ELb1ELi512EEEvPfS2_PT_PKS3_PKT0_S9_ifPKiSB_iPKfiiiSD_SD_iiiii.numbered_sgpr, max(48, .L_ZN4vllm22paged_attention_kernelIfhLi80ELi32ELi128ELNS_18Fp8KVCacheDataTypeE1ELb1ELi512EEEvPfS2_PT_PKS3_PKT0_S9_ifPKiSB_iPKfiiiSD_SD_iiiii.numbered_sgpr)
	.set _ZN4vllm25paged_attention_v2_kernelIfhLi80ELi32ELi128ELNS_18Fp8KVCacheDataTypeE1ELb1ELi512EEEvPfS2_PT_PKS3_PKT0_S9_ifPKiSB_iPKfiiiSD_SD_iiiii.num_named_barrier, max(0, .L_ZN4vllm22paged_attention_kernelIfhLi80ELi32ELi128ELNS_18Fp8KVCacheDataTypeE1ELb1ELi512EEEvPfS2_PT_PKS3_PKT0_S9_ifPKiSB_iPKfiiiSD_SD_iiiii.num_named_barrier)
	.set _ZN4vllm25paged_attention_v2_kernelIfhLi80ELi32ELi128ELNS_18Fp8KVCacheDataTypeE1ELb1ELi512EEEvPfS2_PT_PKS3_PKT0_S9_ifPKiSB_iPKfiiiSD_SD_iiiii.private_seg_size, 0+max(.L_ZN4vllm22paged_attention_kernelIfhLi80ELi32ELi128ELNS_18Fp8KVCacheDataTypeE1ELb1ELi512EEEvPfS2_PT_PKS3_PKT0_S9_ifPKiSB_iPKfiiiSD_SD_iiiii.private_seg_size)
	.set _ZN4vllm25paged_attention_v2_kernelIfhLi80ELi32ELi128ELNS_18Fp8KVCacheDataTypeE1ELb1ELi512EEEvPfS2_PT_PKS3_PKT0_S9_ifPKiSB_iPKfiiiSD_SD_iiiii.uses_vcc, or(1, .L_ZN4vllm22paged_attention_kernelIfhLi80ELi32ELi128ELNS_18Fp8KVCacheDataTypeE1ELb1ELi512EEEvPfS2_PT_PKS3_PKT0_S9_ifPKiSB_iPKfiiiSD_SD_iiiii.uses_vcc)
	.set _ZN4vllm25paged_attention_v2_kernelIfhLi80ELi32ELi128ELNS_18Fp8KVCacheDataTypeE1ELb1ELi512EEEvPfS2_PT_PKS3_PKT0_S9_ifPKiSB_iPKfiiiSD_SD_iiiii.uses_flat_scratch, or(0, .L_ZN4vllm22paged_attention_kernelIfhLi80ELi32ELi128ELNS_18Fp8KVCacheDataTypeE1ELb1ELi512EEEvPfS2_PT_PKS3_PKT0_S9_ifPKiSB_iPKfiiiSD_SD_iiiii.uses_flat_scratch)
	.set _ZN4vllm25paged_attention_v2_kernelIfhLi80ELi32ELi128ELNS_18Fp8KVCacheDataTypeE1ELb1ELi512EEEvPfS2_PT_PKS3_PKT0_S9_ifPKiSB_iPKfiiiSD_SD_iiiii.has_dyn_sized_stack, or(0, .L_ZN4vllm22paged_attention_kernelIfhLi80ELi32ELi128ELNS_18Fp8KVCacheDataTypeE1ELb1ELi512EEEvPfS2_PT_PKS3_PKT0_S9_ifPKiSB_iPKfiiiSD_SD_iiiii.has_dyn_sized_stack)
	.set _ZN4vllm25paged_attention_v2_kernelIfhLi80ELi32ELi128ELNS_18Fp8KVCacheDataTypeE1ELb1ELi512EEEvPfS2_PT_PKS3_PKT0_S9_ifPKiSB_iPKfiiiSD_SD_iiiii.has_recursion, or(0, .L_ZN4vllm22paged_attention_kernelIfhLi80ELi32ELi128ELNS_18Fp8KVCacheDataTypeE1ELb1ELi512EEEvPfS2_PT_PKS3_PKT0_S9_ifPKiSB_iPKfiiiSD_SD_iiiii.has_recursion)
	.set _ZN4vllm25paged_attention_v2_kernelIfhLi80ELi32ELi128ELNS_18Fp8KVCacheDataTypeE1ELb1ELi512EEEvPfS2_PT_PKS3_PKT0_S9_ifPKiSB_iPKfiiiSD_SD_iiiii.has_indirect_call, or(0, .L_ZN4vllm22paged_attention_kernelIfhLi80ELi32ELi128ELNS_18Fp8KVCacheDataTypeE1ELb1ELi512EEEvPfS2_PT_PKS3_PKT0_S9_ifPKiSB_iPKfiiiSD_SD_iiiii.has_indirect_call)
	.section	.AMDGPU.csdata,"",@progbits
; Kernel info:
; codeLenInByte = 292
; TotalNumSgprs: 50
; NumVgprs: 128
; ScratchSize: 908
; MemoryBound: 0
; FloatMode: 240
; IeeeMode: 1
; LDSByteSize: 352 bytes/workgroup (compile time only)
; SGPRBlocks: 0
; VGPRBlocks: 15
; NumSGPRsForWavesPerEU: 50
; NumVGPRsForWavesPerEU: 128
; Occupancy: 8
; WaveLimiterHint : 1
; COMPUTE_PGM_RSRC2:SCRATCH_EN: 1
; COMPUTE_PGM_RSRC2:USER_SGPR: 6
; COMPUTE_PGM_RSRC2:TRAP_HANDLER: 0
; COMPUTE_PGM_RSRC2:TGID_X_EN: 1
; COMPUTE_PGM_RSRC2:TGID_Y_EN: 1
; COMPUTE_PGM_RSRC2:TGID_Z_EN: 1
; COMPUTE_PGM_RSRC2:TIDIG_COMP_CNT: 0
	.text
	.p2align	2                               ; -- Begin function _ZN4vllm22paged_attention_kernelIfhLi96ELi32ELi128ELNS_18Fp8KVCacheDataTypeE1ELb1ELi512EEEvPfS2_PT_PKS3_PKT0_S9_ifPKiSB_iPKfiiiSD_SD_iiiii
	.type	_ZN4vllm22paged_attention_kernelIfhLi96ELi32ELi128ELNS_18Fp8KVCacheDataTypeE1ELb1ELi512EEEvPfS2_PT_PKS3_PKT0_S9_ifPKiSB_iPKfiiiSD_SD_iiiii,@function
_ZN4vllm22paged_attention_kernelIfhLi96ELi32ELi128ELNS_18Fp8KVCacheDataTypeE1ELb1ELi512EEEvPfS2_PT_PKS3_PKT0_S9_ifPKiSB_iPKfiiiSD_SD_iiiii: ; @_ZN4vllm22paged_attention_kernelIfhLi96ELi32ELi128ELNS_18Fp8KVCacheDataTypeE1ELb1ELi512EEEvPfS2_PT_PKS3_PKT0_S9_ifPKiSB_iPKfiiiSD_SD_iiiii
; %bb.0:
	s_waitcnt vmcnt(0) expcnt(0) lgkmcnt(0)
	buffer_store_dword v40, off, s[0:3], s32 offset:196 ; 4-byte Folded Spill
	buffer_store_dword v41, off, s[0:3], s32 offset:192 ; 4-byte Folded Spill
	buffer_store_dword v42, off, s[0:3], s32 offset:188 ; 4-byte Folded Spill
	buffer_store_dword v43, off, s[0:3], s32 offset:184 ; 4-byte Folded Spill
	buffer_store_dword v44, off, s[0:3], s32 offset:180 ; 4-byte Folded Spill
	buffer_store_dword v45, off, s[0:3], s32 offset:176 ; 4-byte Folded Spill
	buffer_store_dword v46, off, s[0:3], s32 offset:172 ; 4-byte Folded Spill
	buffer_store_dword v47, off, s[0:3], s32 offset:168 ; 4-byte Folded Spill
	buffer_store_dword v56, off, s[0:3], s32 offset:164 ; 4-byte Folded Spill
	buffer_store_dword v57, off, s[0:3], s32 offset:160 ; 4-byte Folded Spill
	buffer_store_dword v58, off, s[0:3], s32 offset:156 ; 4-byte Folded Spill
	buffer_store_dword v59, off, s[0:3], s32 offset:152 ; 4-byte Folded Spill
	buffer_store_dword v60, off, s[0:3], s32 offset:148 ; 4-byte Folded Spill
	buffer_store_dword v61, off, s[0:3], s32 offset:144 ; 4-byte Folded Spill
	buffer_store_dword v62, off, s[0:3], s32 offset:140 ; 4-byte Folded Spill
	buffer_store_dword v63, off, s[0:3], s32 offset:136 ; 4-byte Folded Spill
	buffer_store_dword v72, off, s[0:3], s32 offset:132 ; 4-byte Folded Spill
	buffer_store_dword v73, off, s[0:3], s32 offset:128 ; 4-byte Folded Spill
	buffer_store_dword v74, off, s[0:3], s32 offset:124 ; 4-byte Folded Spill
	buffer_store_dword v75, off, s[0:3], s32 offset:120 ; 4-byte Folded Spill
	buffer_store_dword v76, off, s[0:3], s32 offset:116 ; 4-byte Folded Spill
	buffer_store_dword v77, off, s[0:3], s32 offset:112 ; 4-byte Folded Spill
	buffer_store_dword v78, off, s[0:3], s32 offset:108 ; 4-byte Folded Spill
	buffer_store_dword v79, off, s[0:3], s32 offset:104 ; 4-byte Folded Spill
	buffer_store_dword v88, off, s[0:3], s32 offset:100 ; 4-byte Folded Spill
	buffer_store_dword v89, off, s[0:3], s32 offset:96 ; 4-byte Folded Spill
	buffer_store_dword v90, off, s[0:3], s32 offset:92 ; 4-byte Folded Spill
	buffer_store_dword v91, off, s[0:3], s32 offset:88 ; 4-byte Folded Spill
	buffer_store_dword v92, off, s[0:3], s32 offset:84 ; 4-byte Folded Spill
	buffer_store_dword v93, off, s[0:3], s32 offset:80 ; 4-byte Folded Spill
	buffer_store_dword v94, off, s[0:3], s32 offset:76 ; 4-byte Folded Spill
	buffer_store_dword v95, off, s[0:3], s32 offset:72 ; 4-byte Folded Spill
	buffer_store_dword v104, off, s[0:3], s32 offset:68 ; 4-byte Folded Spill
	buffer_store_dword v105, off, s[0:3], s32 offset:64 ; 4-byte Folded Spill
	buffer_store_dword v106, off, s[0:3], s32 offset:60 ; 4-byte Folded Spill
	buffer_store_dword v107, off, s[0:3], s32 offset:56 ; 4-byte Folded Spill
	buffer_store_dword v108, off, s[0:3], s32 offset:52 ; 4-byte Folded Spill
	buffer_store_dword v109, off, s[0:3], s32 offset:48 ; 4-byte Folded Spill
	buffer_store_dword v110, off, s[0:3], s32 offset:44 ; 4-byte Folded Spill
	buffer_store_dword v111, off, s[0:3], s32 offset:40 ; 4-byte Folded Spill
	buffer_store_dword v120, off, s[0:3], s32 offset:36 ; 4-byte Folded Spill
	buffer_store_dword v121, off, s[0:3], s32 offset:32 ; 4-byte Folded Spill
	buffer_store_dword v122, off, s[0:3], s32 offset:28 ; 4-byte Folded Spill
	buffer_store_dword v123, off, s[0:3], s32 offset:24 ; 4-byte Folded Spill
	buffer_store_dword v124, off, s[0:3], s32 offset:20 ; 4-byte Folded Spill
	buffer_store_dword v125, off, s[0:3], s32 offset:16 ; 4-byte Folded Spill
	buffer_store_dword v126, off, s[0:3], s32 offset:12 ; 4-byte Folded Spill
	buffer_store_dword v127, off, s[0:3], s32 offset:8 ; 4-byte Folded Spill
	s_mov_b32 s18, s13
	s_ashr_i32 s19, s13, 31
	buffer_store_dword v26, off, s[0:3], s32 offset:592 ; 4-byte Folded Spill
	buffer_store_dword v27, off, s[0:3], s32 offset:596 ; 4-byte Folded Spill
	;; [unrolled: 1-line block ×8, first 2 shown]
	s_lshl_b64 s[4:5], s[18:19], 2
	v_mov_b32_e32 v27, v0
	v_add_co_u32 v0, vcc_lo, v16, s4
	v_mov_b32_e32 v24, v1
	v_add_co_ci_u32_e64 v1, null, s5, v17, vcc_lo
	v_mov_b32_e32 v32, v3
	v_mov_b32_e32 v33, v2
	s_lshl_b32 s7, s14, 9
	flat_load_dword v38, v[0:1]
	s_clause 0x1
	buffer_load_dword v2, off, s[0:3], s32 offset:4
	buffer_load_dword v3, off, s[0:3], s32
	s_mov_b32 s19, exec_lo
	s_waitcnt vmcnt(2) lgkmcnt(0)
	v_cmpx_lt_i32_e64 s7, v38
	s_cbranch_execz .LBB233_1684
; %bb.1:
	v_sub_nc_u32_e32 v0, 0, v12
	s_clause 0x1
	s_load_dword s4, s[8:9], 0x10
	s_load_dword s5, s[8:9], 0x0
	s_mov_b32 s16, s15
	v_max_i32_e32 v0, v12, v0
	v_cvt_f32_u32_e32 v1, v0
	v_sub_nc_u32_e32 v4, 0, v0
	v_rcp_iflag_f32_e32 v1, v1
	s_waitcnt lgkmcnt(0)
	s_lshr_b32 s4, s4, 16
	s_cmp_lg_u32 s4, 0
	s_cselect_b32 s4, -1, 0
	v_mul_f32_e32 v1, 0x4f7ffffe, v1
	s_cmp_lg_u32 s4, 0
	s_addc_u32 s15, s5, 0
	s_mov_b32 s5, exec_lo
	v_cvt_u32_f32_e32 v1, v1
	s_abs_i32 s4, s15
	v_mul_lo_u32 v4, v4, v1
	v_mul_hi_u32 v4, v1, v4
	v_add_nc_u32_e32 v1, v1, v4
	v_mul_hi_u32 v1, s4, v1
	v_mul_lo_u32 v4, v1, v0
	v_add_nc_u32_e32 v5, 1, v1
	v_sub_nc_u32_e32 v4, s4, v4
	s_abs_i32 s4, s12
	v_sub_nc_u32_e32 v13, v4, v0
	v_cmp_ge_u32_e32 vcc_lo, v4, v0
	v_cndmask_b32_e32 v1, v1, v5, vcc_lo
	v_cndmask_b32_e32 v4, v4, v13, vcc_lo
	v_xor_b32_e32 v5, s15, v12
	v_add_nc_u32_e32 v13, 1, v1
	v_cmp_ge_u32_e32 vcc_lo, v4, v0
	v_ashrrev_i32_e32 v5, 31, v5
	v_cndmask_b32_e32 v0, v1, v13, vcc_lo
	v_xor_b32_e32 v0, v0, v5
	v_sub_nc_u32_e32 v5, v0, v5
	v_sub_nc_u32_e32 v0, 0, v5
	v_max_i32_e32 v4, v5, v0
	v_cvt_f32_u32_e32 v0, v4
	v_sub_nc_u32_e32 v1, 0, v4
	v_rcp_iflag_f32_e32 v0, v0
	v_mul_f32_e32 v0, 0x4f7ffffe, v0
	v_cvt_u32_f32_e32 v0, v0
	v_mul_lo_u32 v1, v1, v0
	v_mul_hi_u32 v1, v0, v1
	v_add_nc_u32_e32 v0, v0, v1
	v_mad_u64_u32 v[0:1], null, s4, v0, 0
	v_mov_b32_e32 v0, 0
	buffer_store_dword v0, off, s[0:3], s32 offset:612 ; 4-byte Folded Spill
	v_cmpx_ne_u64_e32 0, v[19:20]
	s_cbranch_execz .LBB233_3
; %bb.2:
	s_ashr_i32 s13, s12, 31
	s_lshl_b64 s[10:11], s[12:13], 2
	v_add_co_u32 v16, vcc_lo, v19, s10
	v_add_co_ci_u32_e64 v17, null, s11, v20, vcc_lo
	flat_load_dword v0, v[16:17]
	s_waitcnt vmcnt(0) lgkmcnt(0)
	buffer_store_dword v0, off, s[0:3], s32 offset:612 ; 4-byte Folded Spill
.LBB233_3:
	s_or_b32 exec_lo, exec_lo, s5
	v_and_b32_e32 v13, 0x3ff, v31
	v_ashrrev_i32_e32 v0, 31, v5
	s_ashr_i32 s5, s12, 31
	s_mul_i32 s10, s12, 0x60
	s_mov_b32 s6, exec_lo
	buffer_store_dword v13, off, s[0:3], s32 offset:588 ; 4-byte Folded Spill
	v_cmpx_gt_u32_e32 24, v13
	s_cbranch_execz .LBB233_5
; %bb.4:
	buffer_load_dword v5, off, s[0:3], s32 offset:588 ; 4-byte Folded Reload
	v_mul_lo_u32 v16, v21, s18
	s_ashr_i32 s11, s10, 31
	s_lshl_b64 s[20:21], s[10:11], 2
	v_ashrrev_i32_e32 v17, 31, v16
	v_lshlrev_b64 v[19:20], 2, v[16:17]
	s_waitcnt vmcnt(0)
	v_lshlrev_b32_e32 v17, 4, v5
	v_add_co_u32 v5, vcc_lo, v6, v19
	v_add_co_ci_u32_e64 v6, null, v7, v20, vcc_lo
	v_add_co_u32 v5, vcc_lo, v5, s20
	v_add_co_ci_u32_e64 v6, null, s21, v6, vcc_lo
	;; [unrolled: 2-line block ×3, first 2 shown]
	flat_load_dwordx4 v[19:22], v[5:6]
	s_waitcnt vmcnt(0) lgkmcnt(0)
	ds_write_b128 v17, v[19:22]
.LBB233_5:
	s_or_b32 exec_lo, exec_lo, s6
	s_waitcnt vmcnt(0)
	v_sub_nc_u32_e32 v5, 0, v3
	v_mul_lo_u32 v6, v1, v4
	v_add_nc_u32_e32 v17, 1, v1
	v_max_i32_e32 v47, v3, v5
	v_sub_nc_u32_e32 v6, s4, v6
	v_cvt_f32_u32_e32 v5, v47
	s_mov_b32 s4, exec_lo
	v_sub_nc_u32_e32 v16, v6, v4
	v_rcp_iflag_f32_e32 v5, v5
	v_cmp_ge_u32_e32 vcc_lo, v6, v4
	v_cndmask_b32_e32 v1, v1, v17, vcc_lo
	v_cndmask_b32_e32 v6, v6, v16, vcc_lo
	v_xor_b32_e32 v16, s5, v0
	v_mul_f32_e32 v5, 0x4f7ffffe, v5
	v_add_nc_u32_e32 v19, 1, v1
	v_cmp_ge_u32_e32 vcc_lo, v6, v4
	v_cvt_u32_f32_e32 v7, v5
	v_sub_nc_u32_e32 v5, 0, v47
	v_cndmask_b32_e32 v0, v1, v19, vcc_lo
	v_mul_lo_u32 v13, v5, v7
	v_add_nc_u32_e32 v5, -1, v38
	v_xor_b32_e32 v6, v0, v16
	v_mul_hi_u32 v17, v7, v13
	v_sub_nc_u32_e32 v13, 0, v5
	v_max_i32_e32 v4, v5, v13
	v_add_nc_u32_e32 v1, v7, v17
	buffer_store_dword v1, off, s[0:3], s32 offset:224 ; 4-byte Folded Spill
	v_mad_u64_u32 v[0:1], null, v4, v1, 0
	v_sub_nc_u32_e32 v0, v6, v16
                                        ; implicit-def: $vgpr6
	s_waitcnt lgkmcnt(0)
	s_waitcnt_vscnt null, 0x0
	s_barrier
	buffer_gl0_inv
	buffer_store_dword v6, off, s[0:3], s32 offset:208 ; 4-byte Folded Spill
	buffer_store_dword v7, off, s[0:3], s32 offset:212 ; 4-byte Folded Spill
	v_cmpx_gt_i32_e32 0, v2
	s_xor_b32 s4, exec_lo, s4
	s_cbranch_execz .LBB233_7
; %bb.6:
	v_mad_u64_u32 v[6:7], null, v28, v12, v[0:1]
                                        ; implicit-def: $vgpr28
	v_mul_lo_u32 v2, v6, v2
	v_sub_nc_u32_e32 v2, 1, v2
	buffer_store_dword v2, off, s[0:3], s32 offset:208 ; 4-byte Folded Spill
	buffer_store_dword v3, off, s[0:3], s32 offset:212 ; 4-byte Folded Spill
                                        ; implicit-def: $vgpr2
.LBB233_7:
	s_or_saveexec_b32 s4, s4
	v_ashrrev_i32_e32 v5, 31, v5
	v_ashrrev_i32_e32 v3, 31, v3
	buffer_store_dword v3, off, s[0:3], s32 offset:216 ; 4-byte Folded Spill
	s_xor_b32 exec_lo, exec_lo, s4
	s_cbranch_execz .LBB233_9
; %bb.8:
	v_mad_u64_u32 v[6:7], null, s15, v28, s[12:13]
	v_mad_u64_u32 v[2:3], null, v6, v2, 1
	buffer_store_dword v2, off, s[0:3], s32 offset:208 ; 4-byte Folded Spill
	buffer_store_dword v3, off, s[0:3], s32 offset:212 ; 4-byte Folded Spill
.LBB233_9:
	s_or_b32 exec_lo, exec_lo, s4
	s_clause 0x1
	s_load_dword s20, s[8:9], 0x14
	s_load_dword s11, s[8:9], 0x8
	s_clause 0x1
	buffer_load_dword v7, off, s[0:3], s32 offset:216
	buffer_load_dword v13, off, s[0:3], s32 offset:588
	v_mul_lo_u32 v2, v1, v47
	v_add_nc_u32_e32 v3, 31, v38
	v_add_nc_u32_e32 v6, 1, v1
	s_lshl_b32 s13, s14, 4
	v_mov_b32_e32 v21, 0xff7fffff
	s_add_i32 s4, s13, 16
	v_sub_nc_u32_e32 v20, 0, v30
	v_sub_nc_u32_e32 v4, v4, v2
	v_mul_lo_u32 v2, v18, s18
	v_mul_lo_u32 v18, v0, v23
	v_sub_nc_u32_e32 v16, v4, v47
	v_cmp_ge_u32_e32 vcc_lo, v4, v47
	v_cndmask_b32_e32 v1, v1, v6, vcc_lo
	v_cndmask_b32_e32 v4, v4, v16, vcc_lo
	v_cmp_ge_u32_e32 vcc_lo, v4, v47
	s_waitcnt vmcnt(1)
	v_xor_b32_e32 v5, v5, v7
	v_ashrrev_i32_e32 v7, 31, v3
	s_waitcnt vmcnt(0)
	v_lshrrev_b32_e32 v12, 5, v13
	v_and_b32_e32 v13, 31, v13
	v_lshrrev_b32_e32 v6, 27, v7
	v_add_nc_u32_e32 v7, 1, v1
	v_add_nc_u32_e32 v4, s13, v12
	buffer_store_dword v12, off, s[0:3], s32 offset:1012 ; 4-byte Folded Spill
	v_lshl_add_u32 v22, v12, 5, s7
	v_add_nc_u32_e32 v3, v3, v6
	v_cndmask_b32_e32 v1, v1, v7, vcc_lo
	v_ashrrev_i32_e32 v12, 31, v18
	v_ashrrev_i32_e32 v19, 5, v3
	v_xor_b32_e32 v0, v1, v5
	v_ashrrev_i32_e32 v3, 31, v2
	v_min_i32_e32 v1, s4, v19
	v_sub_nc_u32_e32 v0, v0, v5
	v_ashrrev_i32_e32 v5, 31, v4
	buffer_store_dword v4, off, s[0:3], s32 offset:200 ; 4-byte Folded Spill
	buffer_store_dword v5, off, s[0:3], s32 offset:204 ; 4-byte Folded Spill
	;; [unrolled: 1-line block ×3, first 2 shown]
	v_sub_nc_u32_e32 v0, v0, v29
	v_lshlrev_b64 v[16:17], 2, v[2:3]
	buffer_store_dword v0, off, s[0:3], s32 offset:228 ; 4-byte Folded Spill
	buffer_store_dword v13, off, s[0:3], s32 offset:584 ; 4-byte Folded Spill
	v_lshlrev_b32_e32 v13, 2, v13
	v_cmp_lt_i32_e64 s4, v4, v1
	s_and_saveexec_b32 s21, s4
	s_cbranch_execz .LBB233_785
; %bb.10:
	buffer_store_dword v19, off, s[0:3], s32 offset:1072 ; 4-byte Folded Spill
	buffer_store_dword v33, off, s[0:3], s32 offset:1056 ; 4-byte Folded Spill
	;; [unrolled: 1-line block ×9, first 2 shown]
	buffer_load_dword v7, off, s[0:3], s32 offset:584 ; 4-byte Folded Reload
	v_max_i32_e32 v10, v30, v20
	v_add_co_u32 v2, vcc_lo, v8, v18
	buffer_store_dword v18, off, s[0:3], s32 offset:1068 ; 4-byte Folded Spill
	buffer_store_dword v12, off, s[0:3], s32 offset:1080 ; 4-byte Folded Spill
	v_cvt_f32_u32_e32 v0, v10
	v_add_co_ci_u32_e64 v3, null, v9, v12, vcc_lo
	v_mov_b32_e32 v29, 0
	s_ashr_i32 s17, s16, 31
	v_rcp_iflag_f32_e32 v4, v0
	s_clause 0x3
	buffer_load_dword v0, off, s[0:3], s32 offset:612
	buffer_load_dword v8, off, s[0:3], s32 offset:200
	;; [unrolled: 1-line block ×4, first 2 shown]
	buffer_store_dword v13, off, s[0:3], s32 offset:1084 ; 4-byte Folded Spill
	buffer_store_dword v10, off, s[0:3], s32 offset:572 ; 4-byte Folded Spill
	s_getpc_b64 s[8:9]
	s_add_u32 s8, s8, llvm.amdgcn.dynlds.offset.table@rel32@lo+4
	s_addc_u32 s9, s9, llvm.amdgcn.dynlds.offset.table@rel32@hi+12
	s_lshl_b64 s[24:25], s[16:17], 2
	v_mov_b32_e32 v121, 0x80
	s_add_u32 s8, s8, s24
	v_mul_f32_e32 v4, 0x4f7ffffe, v4
	s_addc_u32 s9, s9, s25
	v_bfrev_b32_e32 v46, 1
	v_mov_b32_e32 v60, 0xff
	v_mov_b32_e32 v21, 0xff7fffff
	v_cvt_u32_f32_e32 v4, v4
	v_mov_b32_e32 v117, 0x7f800001
	s_mov_b32 s22, 0
	s_waitcnt vmcnt(4)
	v_lshlrev_b32_e32 v5, 4, v7
	v_add_co_u32 v2, s5, v2, v5
	v_add_co_ci_u32_e64 v3, null, 0, v3, s5
	buffer_store_dword v2, off, s[0:3], s32 offset:616 ; 4-byte Folded Spill
	buffer_store_dword v3, off, s[0:3], s32 offset:620 ; 4-byte Folded Spill
	s_waitcnt vmcnt(3)
	v_cmp_neq_f32_e32 vcc_lo, 0, v0
	s_waitcnt vmcnt(1)
	v_lshlrev_b64 v[0:1], 2, v[8:9]
	s_waitcnt vmcnt(0)
	v_lshl_add_u32 v27, v6, 5, s7
	v_lshl_or_b32 v120, v6, 7, v13
	v_sub_nc_u32_e32 v6, v7, v38
	v_sub_nc_u32_e32 v7, 0, v10
	ds_read_b128 v[9:12], v29
	v_add_co_u32 v0, s5, v16, v0
	v_add_nc_u32_e32 v3, 1, v6
	v_mul_lo_u32 v2, v7, v4
	v_mov_b32_e32 v61, v8
	s_waitcnt lgkmcnt(0)
	buffer_store_dword v9, off, s[0:3], s32 offset:624 ; 4-byte Folded Spill
	buffer_store_dword v10, off, s[0:3], s32 offset:628 ; 4-byte Folded Spill
	;; [unrolled: 1-line block ×4, first 2 shown]
	ds_read_b128 v[9:12], v29 offset:16
	v_mul_hi_u32 v2, v4, v2
	s_waitcnt lgkmcnt(0)
	buffer_store_dword v9, off, s[0:3], s32 offset:640 ; 4-byte Folded Spill
	buffer_store_dword v10, off, s[0:3], s32 offset:644 ; 4-byte Folded Spill
	buffer_store_dword v11, off, s[0:3], s32 offset:648 ; 4-byte Folded Spill
	buffer_store_dword v12, off, s[0:3], s32 offset:652 ; 4-byte Folded Spill
	ds_read_b128 v[9:12], v29 offset:32
	s_waitcnt lgkmcnt(0)
	buffer_store_dword v9, off, s[0:3], s32 offset:656 ; 4-byte Folded Spill
	buffer_store_dword v10, off, s[0:3], s32 offset:660 ; 4-byte Folded Spill
	buffer_store_dword v11, off, s[0:3], s32 offset:664 ; 4-byte Folded Spill
	buffer_store_dword v12, off, s[0:3], s32 offset:668 ; 4-byte Folded Spill
	ds_read_b128 v[9:12], v29 offset:48
	;; [unrolled: 6-line block ×4, first 2 shown]
	s_waitcnt lgkmcnt(0)
	buffer_store_dword v9, off, s[0:3], s32 offset:704 ; 4-byte Folded Spill
	buffer_store_dword v10, off, s[0:3], s32 offset:708 ; 4-byte Folded Spill
	buffer_store_dword v11, off, s[0:3], s32 offset:712 ; 4-byte Folded Spill
	buffer_store_dword v12, off, s[0:3], s32 offset:716 ; 4-byte Folded Spill
	buffer_store_dword v3, off, s[0:3], s32 offset:720 ; 4-byte Folded Spill
	buffer_store_dword v16, off, s[0:3], s32 offset:1060 ; 4-byte Folded Spill
	buffer_store_dword v17, off, s[0:3], s32 offset:1064 ; 4-byte Folded Spill
	s_load_dword s17, s[8:9], 0x0
	buffer_store_dword v14, off, s[0:3], s32 offset:1028 ; 4-byte Folded Spill
	buffer_store_dword v15, off, s[0:3], s32 offset:1024 ; 4-byte Folded Spill
	v_add_co_ci_u32_e64 v1, null, v17, v1, s5
	v_add_co_u32 v126, s5, v14, v0
	v_add_nc_u32_e32 v0, v4, v2
	v_add_co_ci_u32_e64 v127, null, v15, v1, s5
	buffer_store_dword v0, off, s[0:3], s32 offset:576 ; 4-byte Folded Spill
	ds_read_b128 v[0:3], v29 offset:96
	s_waitcnt lgkmcnt(0)
	buffer_store_dword v0, off, s[0:3], s32 offset:724 ; 4-byte Folded Spill
	buffer_store_dword v1, off, s[0:3], s32 offset:728 ; 4-byte Folded Spill
	buffer_store_dword v2, off, s[0:3], s32 offset:732 ; 4-byte Folded Spill
	buffer_store_dword v3, off, s[0:3], s32 offset:736 ; 4-byte Folded Spill
	ds_read_b128 v[0:3], v29 offset:112
	s_waitcnt lgkmcnt(0)
	buffer_store_dword v0, off, s[0:3], s32 offset:740 ; 4-byte Folded Spill
	buffer_store_dword v1, off, s[0:3], s32 offset:744 ; 4-byte Folded Spill
	buffer_store_dword v2, off, s[0:3], s32 offset:748 ; 4-byte Folded Spill
	;; [unrolled: 6-line block ×18, first 2 shown]
	buffer_store_dword v3, off, s[0:3], s32 offset:1008 ; 4-byte Folded Spill
	s_branch .LBB233_16
.LBB233_11:                             ;   in Loop: Header=BB233_16 Depth=1
	s_or_b32 exec_lo, exec_lo, s26
	v_mov_b32_e32 v17, 24
	v_lshlrev_b32_e32 v28, 20, v28
	v_lshl_add_u32 v16, v16, 23, 0x3c000000
	v_lshlrev_b32_sdwa v17, v17, v57 dst_sel:DWORD dst_unused:UNUSED_PAD src0_sel:DWORD src1_sel:BYTE_3
	v_and_b32_e32 v17, 0x80000000, v17
	v_or3_b32 v17, v28, v17, v16
	v_mov_b32_e32 v16, v29
.LBB233_12:                             ;   in Loop: Header=BB233_16 Depth=1
	s_or_b32 exec_lo, exec_lo, s25
.LBB233_13:                             ;   in Loop: Header=BB233_16 Depth=1
	s_or_b32 exec_lo, exec_lo, s24
.LBB233_14:                             ;   in Loop: Header=BB233_16 Depth=1
	s_or_b32 exec_lo, exec_lo, s23
	v_or_b32_e32 v25, v25, v32
	v_or_b32_e32 v7, v3, v7
	;; [unrolled: 1-line block ×8, first 2 shown]
	s_clause 0x3
	buffer_load_dword v0, off, s[0:3], s32 offset:544
	buffer_load_dword v1, off, s[0:3], s32 offset:548
	;; [unrolled: 1-line block ×4, first 2 shown]
	v_or_b32_e32 v37, v37, v65
	v_or_b32_e32 v64, v36, v64
	;; [unrolled: 1-line block ×37, first 2 shown]
	v_mul_f32_e32 v35, v56, v35
	v_mul_f32_e32 v49, v56, v49
	;; [unrolled: 1-line block ×4, first 2 shown]
	v_or_b32_e32 v14, v14, v23
	v_or_b32_e32 v23, v110, v108
	;; [unrolled: 1-line block ×3, first 2 shown]
	v_mul_f32_e32 v10, v56, v10
	v_mul_f32_e32 v9, v56, v9
	;; [unrolled: 1-line block ×6, first 2 shown]
	v_or_b32_e32 v44, v123, v44
	v_or_b32_e32 v43, v122, v43
	s_waitcnt vmcnt(1)
	v_or_b32_e32 v65, v2, v0
	s_waitcnt vmcnt(0)
	v_or_b32_e32 v53, v3, v1
	s_clause 0x1
	buffer_load_dword v0, off, s[0:3], s32 offset:560
	buffer_load_dword v1, off, s[0:3], s32 offset:564
	v_mul_f32_e32 v65, v56, v65
	v_mul_f32_e32 v53, v56, v53
	s_waitcnt vmcnt(1)
	v_or_b32_e32 v67, v72, v0
	s_waitcnt vmcnt(0)
	v_or_b32_e32 v66, v73, v1
	s_clause 0x3
	buffer_load_dword v0, off, s[0:3], s32 offset:512
	buffer_load_dword v1, off, s[0:3], s32 offset:516
	buffer_load_dword v2, off, s[0:3], s32 offset:520
	buffer_load_dword v3, off, s[0:3], s32 offset:524
	s_waitcnt vmcnt(1)
	v_or_b32_e32 v81, v2, v0
	s_waitcnt vmcnt(0)
	v_or_b32_e32 v69, v3, v1
	s_clause 0x3
	buffer_load_dword v0, off, s[0:3], s32 offset:528
	buffer_load_dword v1, off, s[0:3], s32 offset:532
	buffer_load_dword v2, off, s[0:3], s32 offset:536
	buffer_load_dword v3, off, s[0:3], s32 offset:540
	v_mul_f32_e32 v81, v56, v81
	v_mul_f32_e32 v69, v56, v69
	s_waitcnt vmcnt(1)
	v_or_b32_e32 v83, v0, v2
	s_waitcnt vmcnt(0)
	v_or_b32_e32 v82, v1, v3
	s_clause 0x3
	buffer_load_dword v0, off, s[0:3], s32 offset:480
	buffer_load_dword v1, off, s[0:3], s32 offset:484
	buffer_load_dword v2, off, s[0:3], s32 offset:488
	buffer_load_dword v3, off, s[0:3], s32 offset:492
	s_waitcnt vmcnt(1)
	v_or_b32_e32 v85, v2, v0
	s_waitcnt vmcnt(0)
	v_or_b32_e32 v84, v3, v1
	s_clause 0x3
	buffer_load_dword v0, off, s[0:3], s32 offset:496
	buffer_load_dword v1, off, s[0:3], s32 offset:500
	;; [unrolled: 20-line block ×9, first 2 shown]
	buffer_load_dword v88, off, s[0:3], s32 offset:280
	buffer_load_dword v89, off, s[0:3], s32 offset:284
	;; [unrolled: 1-line block ×4, first 2 shown]
	v_mul_f32_e32 v0, v56, v0
	v_mul_f32_e32 v1, v56, v1
	s_waitcnt vmcnt(3)
	v_or_b32_e32 v2, v2, v88
	s_waitcnt vmcnt(2)
	v_or_b32_e32 v3, v3, v89
	;; [unrolled: 2-line block ×3, first 2 shown]
	v_or_b32_e32 v89, v92, v90
	s_clause 0x7
	buffer_load_dword v91, off, s[0:3], s32 offset:240
	buffer_load_dword v92, off, s[0:3], s32 offset:244
	;; [unrolled: 1-line block ×8, first 2 shown]
	v_mul_f32_e32 v2, v56, v2
	v_mul_f32_e32 v88, v56, v88
	;; [unrolled: 1-line block ×4, first 2 shown]
	s_waitcnt vmcnt(3)
	v_mul_f32_e32 v0, v104, v0
	v_or_b32_e32 v91, v91, v93
	v_or_b32_e32 v90, v92, v94
	s_clause 0x3
	buffer_load_dword v92, off, s[0:3], s32 offset:624
	buffer_load_dword v93, off, s[0:3], s32 offset:628
	;; [unrolled: 1-line block ×4, first 2 shown]
	s_waitcnt vmcnt(6)
	v_mul_f32_e32 v1, v105, v1
	s_waitcnt vmcnt(5)
	v_mul_f32_e32 v2, v106, v2
	;; [unrolled: 2-line block ×3, first 2 shown]
	s_waitcnt vmcnt(3)
	v_fmac_f32_e32 v0, v92, v89
	s_waitcnt vmcnt(2)
	v_fmac_f32_e32 v1, v93, v88
	v_mul_f32_e32 v88, v56, v91
	s_waitcnt vmcnt(1)
	v_fmac_f32_e32 v2, v94, v88
	v_mul_f32_e32 v88, v56, v90
	s_waitcnt vmcnt(0)
	v_fmac_f32_e32 v3, v95, v88
	s_clause 0x3
	buffer_load_dword v88, off, s[0:3], s32 offset:656
	buffer_load_dword v89, off, s[0:3], s32 offset:660
	buffer_load_dword v90, off, s[0:3], s32 offset:664
	buffer_load_dword v91, off, s[0:3], s32 offset:668
	s_waitcnt vmcnt(3)
	v_fmac_f32_e32 v0, v88, v77
	s_waitcnt vmcnt(2)
	v_fmac_f32_e32 v1, v89, v76
	v_mul_f32_e32 v76, v56, v79
	s_waitcnt vmcnt(1)
	v_fmac_f32_e32 v2, v90, v76
	v_mul_f32_e32 v76, v56, v78
	s_waitcnt vmcnt(0)
	v_fmac_f32_e32 v3, v91, v76
	s_clause 0x3
	buffer_load_dword v76, off, s[0:3], s32 offset:672
	buffer_load_dword v77, off, s[0:3], s32 offset:676
	buffer_load_dword v78, off, s[0:3], s32 offset:680
	buffer_load_dword v79, off, s[0:3], s32 offset:684
	;; [unrolled: 15-line block ×7, first 2 shown]
	s_waitcnt vmcnt(3)
	v_fmac_f32_e32 v0, v72, v85
	s_waitcnt vmcnt(2)
	v_fmac_f32_e32 v1, v73, v84
	v_mul_f32_e32 v84, v56, v97
	s_waitcnt vmcnt(1)
	v_fmac_f32_e32 v2, v74, v84
	v_mul_f32_e32 v84, v56, v96
	s_clause 0x3
	buffer_load_dword v96, off, s[0:3], s32 offset:772
	buffer_load_dword v97, off, s[0:3], s32 offset:776
	;; [unrolled: 1-line block ×4, first 2 shown]
	s_waitcnt vmcnt(4)
	v_fmac_f32_e32 v3, v75, v84
	s_waitcnt vmcnt(3)
	v_fmac_f32_e32 v0, v96, v81
	;; [unrolled: 2-line block ×3, first 2 shown]
	v_mul_f32_e32 v69, v56, v83
	s_waitcnt vmcnt(1)
	v_fmac_f32_e32 v2, v98, v69
	v_mul_f32_e32 v69, v56, v82
	s_clause 0x3
	buffer_load_dword v81, off, s[0:3], s32 offset:788
	buffer_load_dword v82, off, s[0:3], s32 offset:792
	;; [unrolled: 1-line block ×4, first 2 shown]
	s_waitcnt vmcnt(4)
	v_fmac_f32_e32 v3, v99, v69
	s_waitcnt vmcnt(3)
	v_fmac_f32_e32 v0, v81, v65
	;; [unrolled: 2-line block ×3, first 2 shown]
	v_mul_f32_e32 v53, v56, v67
	s_waitcnt vmcnt(1)
	v_fmac_f32_e32 v2, v83, v53
	v_mul_f32_e32 v53, v56, v66
	s_waitcnt vmcnt(0)
	v_fmac_f32_e32 v3, v84, v53
	s_clause 0x3
	buffer_load_dword v81, off, s[0:3], s32 offset:804
	buffer_load_dword v82, off, s[0:3], s32 offset:808
	;; [unrolled: 1-line block ×4, first 2 shown]
	s_waitcnt vmcnt(3)
	v_fmac_f32_e32 v0, v81, v49
	s_waitcnt vmcnt(2)
	v_fmac_f32_e32 v1, v82, v35
	v_mul_f32_e32 v35, v56, v51
	s_waitcnt vmcnt(1)
	v_fmac_f32_e32 v2, v83, v35
	v_mul_f32_e32 v35, v56, v50
	s_waitcnt vmcnt(0)
	v_fmac_f32_e32 v3, v84, v35
	s_clause 0x3
	buffer_load_dword v81, off, s[0:3], s32 offset:820
	buffer_load_dword v82, off, s[0:3], s32 offset:824
	buffer_load_dword v83, off, s[0:3], s32 offset:828
	buffer_load_dword v84, off, s[0:3], s32 offset:832
	s_waitcnt vmcnt(3)
	v_fmac_f32_e32 v0, v81, v13
	s_waitcnt vmcnt(2)
	v_fmac_f32_e32 v1, v82, v12
	v_mul_f32_e32 v12, v56, v33
	s_waitcnt vmcnt(1)
	v_fmac_f32_e32 v2, v83, v12
	v_mul_f32_e32 v12, v56, v24
	s_waitcnt vmcnt(0)
	v_fmac_f32_e32 v3, v84, v12
	s_clause 0x3
	buffer_load_dword v81, off, s[0:3], s32 offset:836
	buffer_load_dword v82, off, s[0:3], s32 offset:840
	;; [unrolled: 1-line block ×4, first 2 shown]
	v_mul_f32_e32 v12, v56, v23
	s_waitcnt vmcnt(3)
	v_fmac_f32_e32 v0, v81, v12
	v_mul_f32_e32 v12, v56, v21
	s_waitcnt vmcnt(1)
	v_fmac_f32_e32 v2, v83, v10
	v_mul_f32_e32 v10, v56, v11
	v_fmac_f32_e32 v1, v82, v12
	s_waitcnt vmcnt(0)
	v_fmac_f32_e32 v3, v84, v10
	v_mul_f32_e32 v10, v56, v14
	s_clause 0x3
	buffer_load_dword v11, off, s[0:3], s32 offset:852
	buffer_load_dword v12, off, s[0:3], s32 offset:856
	;; [unrolled: 1-line block ×4, first 2 shown]
	s_waitcnt vmcnt(3)
	v_fmac_f32_e32 v0, v11, v10
	s_waitcnt vmcnt(2)
	v_fmac_f32_e32 v1, v12, v9
	v_mul_f32_e32 v9, v56, v20
	s_waitcnt vmcnt(1)
	v_fmac_f32_e32 v2, v13, v9
	s_clause 0x3
	buffer_load_dword v10, off, s[0:3], s32 offset:868
	buffer_load_dword v11, off, s[0:3], s32 offset:872
	;; [unrolled: 1-line block ×4, first 2 shown]
	v_mul_f32_e32 v9, v56, v15
	v_or_b32_e32 v15, v16, v102
	s_waitcnt vmcnt(4)
	v_fmac_f32_e32 v3, v14, v9
	v_mul_f32_e32 v9, v56, v32
	v_mul_f32_e32 v14, v56, v113
	s_waitcnt vmcnt(3)
	v_fmac_f32_e32 v0, v10, v9
	s_waitcnt vmcnt(2)
	v_fmac_f32_e32 v1, v11, v7
	v_mul_f32_e32 v7, v56, v8
	s_waitcnt vmcnt(0)
	v_fmac_f32_e32 v3, v13, v6
	v_mul_f32_e32 v6, v56, v30
	v_mul_f32_e32 v11, v56, v100
	;; [unrolled: 1-line block ×3, first 2 shown]
	v_fmac_f32_e32 v2, v12, v7
	s_clause 0x3
	buffer_load_dword v7, off, s[0:3], s32 offset:884
	buffer_load_dword v8, off, s[0:3], s32 offset:888
	buffer_load_dword v9, off, s[0:3], s32 offset:892
	buffer_load_dword v10, off, s[0:3], s32 offset:896
	v_mul_f32_e32 v12, v56, v86
	s_waitcnt vmcnt(3)
	v_fmac_f32_e32 v0, v7, v6
	v_mul_f32_e32 v6, v56, v31
	s_waitcnt vmcnt(2)
	v_fmac_f32_e32 v1, v8, v6
	v_mul_f32_e32 v6, v56, v25
	s_waitcnt vmcnt(1)
	v_fmac_f32_e32 v2, v9, v6
	v_mul_f32_e32 v6, v56, v26
	s_waitcnt vmcnt(0)
	v_fmac_f32_e32 v3, v10, v6
	s_clause 0x3
	buffer_load_dword v7, off, s[0:3], s32 offset:900
	buffer_load_dword v8, off, s[0:3], s32 offset:904
	buffer_load_dword v9, off, s[0:3], s32 offset:908
	buffer_load_dword v10, off, s[0:3], s32 offset:912
	v_mul_f32_e32 v6, v56, v48
	s_waitcnt vmcnt(3)
	v_fmac_f32_e32 v0, v7, v6
	v_mul_f32_e32 v6, v56, v19
	s_waitcnt vmcnt(2)
	v_fmac_f32_e32 v1, v8, v6
	v_mul_f32_e32 v6, v56, v34
	s_waitcnt vmcnt(1)
	v_fmac_f32_e32 v2, v9, v6
	v_mul_f32_e32 v6, v56, v18
	s_waitcnt vmcnt(0)
	;; [unrolled: 17-line block ×3, first 2 shown]
	v_fmac_f32_e32 v3, v10, v6
	s_clause 0xb
	buffer_load_dword v7, off, s[0:3], s32 offset:932
	buffer_load_dword v8, off, s[0:3], s32 offset:936
	;; [unrolled: 1-line block ×12, first 2 shown]
	v_mul_f32_e32 v6, v56, v80
	s_waitcnt vmcnt(11)
	v_fmac_f32_e32 v0, v7, v6
	v_mul_f32_e32 v6, v56, v55
	v_mul_f32_e32 v7, v56, v44
	s_waitcnt vmcnt(7)
	v_fmac_f32_e32 v0, v18, v5
	v_fmac_f32_e32 v1, v8, v6
	v_mul_f32_e32 v6, v56, v68
	v_mul_f32_e32 v8, v56, v28
	;; [unrolled: 1-line block ×3, first 2 shown]
	s_waitcnt vmcnt(6)
	v_fmac_f32_e32 v1, v19, v4
	v_fmac_f32_e32 v2, v9, v6
	v_mul_f32_e32 v6, v56, v54
	v_mul_f32_e32 v4, v56, v71
	v_mul_f32_e32 v9, v56, v87
	s_waitcnt vmcnt(2)
	v_fmac_f32_e32 v1, v24, v14
	v_or_b32_e32 v14, v17, v103
	v_fmac_f32_e32 v3, v10, v6
	v_mul_f32_e32 v6, v56, v112
	v_fmac_f32_e32 v2, v20, v4
	v_mul_f32_e32 v10, v56, v43
	v_mul_f32_e32 v4, v56, v101
	v_fmac_f32_e32 v3, v21, v13
	v_fmac_f32_e32 v0, v23, v6
	s_clause 0x4
	buffer_load_dword v6, off, s[0:3], s32 offset:720
	buffer_load_dword v16, off, s[0:3], s32 offset:980
	;; [unrolled: 1-line block ×5, first 2 shown]
	s_waitcnt vmcnt(6)
	v_fmac_f32_e32 v2, v25, v12
	s_waitcnt vmcnt(5)
	v_fmac_f32_e32 v3, v26, v9
	;; [unrolled: 2-line block ×4, first 2 shown]
	v_mul_f32_e32 v8, v56, v15
	s_waitcnt vmcnt(1)
	v_fmac_f32_e32 v2, v18, v5
	s_clause 0x3
	buffer_load_dword v15, off, s[0:3], s32 offset:996
	buffer_load_dword v16, off, s[0:3], s32 offset:1000
	;; [unrolled: 1-line block ×4, first 2 shown]
	v_add_nc_u32_e32 v6, v6, v27
	s_waitcnt vmcnt(4)
	v_fmac_f32_e32 v3, v19, v4
	s_load_dword s23, s[8:9], 0x0
	v_cvt_f32_i32_e32 v5, v6
	v_mul_f32_e32 v6, v56, v14
	s_waitcnt vmcnt(3)
	v_fmac_f32_e32 v0, v15, v10
	s_waitcnt vmcnt(2)
	v_fmac_f32_e32 v1, v16, v7
	;; [unrolled: 2-line block ×4, first 2 shown]
	v_add_f32_e32 v0, v0, v1
	buffer_load_dword v1, off, s[0:3], s32 offset:612 ; 4-byte Folded Reload
	v_add_f32_e32 v0, v2, v0
	buffer_load_dword v2, off, s[0:3], s32 offset:584 ; 4-byte Folded Reload
	v_add_f32_e32 v0, v3, v0
	s_clause 0x1
	buffer_load_dword v3, off, s[0:3], s32 offset:608
	buffer_load_dword v21, off, s[0:3], s32 offset:580
	s_waitcnt vmcnt(3)
	v_mul_f32_e32 v1, v1, v5
	v_cndmask_b32_e32 v1, 0, v1, vcc_lo
	s_waitcnt vmcnt(2)
	v_add_nc_u32_e32 v2, v2, v27
	s_waitcnt vmcnt(1)
	v_fmac_f32_e32 v1, v3, v0
	s_waitcnt vmcnt(0)
	v_max_f32_e32 v0, v21, v21
	v_cmp_lt_i32_e64 s5, v2, v38
	s_waitcnt lgkmcnt(0)
	v_add_nc_u32_e32 v2, s23, v120
	v_max_f32_e32 v0, v0, v1
	v_cndmask_b32_e64 v1, 0, v1, s5
	v_cndmask_b32_e64 v21, v21, v0, s5
	ds_write_b32 v2, v1
.LBB233_15:                             ;   in Loop: Header=BB233_16 Depth=1
	s_or_b32 exec_lo, exec_lo, s6
	buffer_load_dword v0, off, s[0:3], s32 offset:220 ; 4-byte Folded Reload
	v_add_nc_u32_e32 v61, 4, v61
	v_add_co_u32 v126, s5, v126, 16
	v_add_co_ci_u32_e64 v127, null, 0, v127, s5
	v_add_nc_u32_e32 v27, 0x80, v27
	v_add_nc_u32_e32 v120, 0x200, v120
	s_waitcnt vmcnt(0)
	v_cmp_ge_i32_e64 s5, v61, v0
	s_or_b32 s22, s5, s22
	s_andn2_b32 exec_lo, exec_lo, s22
	s_cbranch_execz .LBB233_784
.LBB233_16:                             ; =>This Inner Loop Header: Depth=1
	s_clause 0x1
	buffer_load_dword v1, off, s[0:3], s32 offset:224
	buffer_load_dword v4, off, s[0:3], s32 offset:216
	v_sub_nc_u32_e32 v0, 0, v27
	v_max_i32_e32 v0, v27, v0
	s_waitcnt vmcnt(1)
	v_mul_hi_u32 v1, v0, v1
	v_mul_lo_u32 v2, v1, v47
	v_sub_nc_u32_e32 v0, v0, v2
	v_add_nc_u32_e32 v2, 1, v1
	v_sub_nc_u32_e32 v3, v0, v47
	v_cmp_ge_u32_e64 s5, v0, v47
	v_cndmask_b32_e64 v1, v1, v2, s5
	v_cndmask_b32_e64 v0, v0, v3, s5
	v_ashrrev_i32_e32 v2, 31, v27
	v_add_nc_u32_e32 v3, 1, v1
	v_cmp_ge_u32_e64 s5, v0, v47
	s_waitcnt vmcnt(0)
	v_xor_b32_e32 v2, v2, v4
	v_cndmask_b32_e64 v0, v1, v3, s5
	v_xor_b32_e32 v0, v0, v2
	v_sub_nc_u32_e32 v0, v0, v2
	s_clause 0x3
	buffer_load_dword v1, off, s[0:3], s32 offset:208
	buffer_load_dword v2, off, s[0:3], s32 offset:212
	;; [unrolled: 1-line block ×4, first 2 shown]
	s_waitcnt vmcnt(3)
	v_add_nc_u32_e32 v1, v0, v1
	s_waitcnt vmcnt(2)
	v_sub_nc_u32_e32 v2, 0, v1
	v_max_i32_e32 v2, v1, v2
	v_ashrrev_i32_e32 v1, 31, v1
	s_waitcnt vmcnt(1)
	v_mul_hi_u32 v3, v2, v3
	s_waitcnt vmcnt(0)
	v_mul_lo_u32 v3, v3, v4
	v_sub_nc_u32_e32 v2, v2, v3
	v_sub_nc_u32_e32 v3, v2, v4
	v_cmp_ge_u32_e64 s5, v2, v4
	v_cndmask_b32_e64 v2, v2, v3, s5
	v_sub_nc_u32_e32 v3, v2, v4
	v_cmp_ge_u32_e64 s5, v2, v4
	v_cndmask_b32_e64 v2, v2, v3, s5
	v_xor_b32_e32 v2, v2, v1
	v_sub_nc_u32_e32 v1, v2, v1
	v_cmp_ne_u32_e64 s5, 0, v1
	buffer_load_dword v1, off, s[0:3], s32 offset:228 ; 4-byte Folded Reload
	s_waitcnt vmcnt(0)
	v_cmp_le_i32_e64 s6, v0, v1
	s_and_b32 s5, s5, s6
	s_and_saveexec_b32 s6, s5
	s_xor_b32 s5, exec_lo, s6
; %bb.17:                               ;   in Loop: Header=BB233_16 Depth=1
	v_add_nc_u32_e32 v0, s17, v120
	v_mov_b32_e32 v1, 0xff7fffff
	ds_write_b32 v0, v1
; %bb.18:                               ;   in Loop: Header=BB233_16 Depth=1
	s_andn2_saveexec_b32 s6, s5
	s_cbranch_execz .LBB233_15
; %bb.19:                               ;   in Loop: Header=BB233_16 Depth=1
	buffer_store_dword v21, off, s[0:3], s32 offset:580 ; 4-byte Folded Spill
	flat_load_dword v0, v[126:127]
	s_clause 0x2
	buffer_load_dword v1, off, s[0:3], s32 offset:568
	buffer_load_dword v2, off, s[0:3], s32 offset:616
	;; [unrolled: 1-line block ×3, first 2 shown]
	v_mov_b32_e32 v90, 0
	v_mov_b32_e32 v91, 0
	s_waitcnt vmcnt(0) lgkmcnt(0)
	v_mad_i64_i32 v[118:119], null, v0, v1, v[2:3]
	flat_load_dword v0, v[118:119]
	s_clause 0x1
	buffer_load_dword v1, off, s[0:3], s32 offset:600
	buffer_load_dword v2, off, s[0:3], s32 offset:604
	s_waitcnt vmcnt(2) lgkmcnt(0)
	v_cmp_ne_u16_sdwa s5, v0, v29 src0_sel:BYTE_0 src1_sel:DWORD
	s_waitcnt vmcnt(0)
	flat_load_dword v56, v[1:2]
	v_mov_b32_e32 v1, 0
	v_mov_b32_e32 v2, 0
	buffer_store_dword v1, off, s[0:3], s32 offset:232 ; 4-byte Folded Spill
	buffer_store_dword v2, off, s[0:3], s32 offset:236 ; 4-byte Folded Spill
	s_and_saveexec_b32 s23, s5
	s_cbranch_execz .LBB233_27
; %bb.20:                               ;   in Loop: Header=BB233_16 Depth=1
	v_bfrev_b32_e32 v90, 1
	v_mov_b32_e32 v91, 0
	v_cmp_ne_u16_sdwa s5, v0, v121 src0_sel:BYTE_0 src1_sel:DWORD
	s_and_saveexec_b32 s24, s5
	s_cbranch_execz .LBB233_26
; %bb.21:                               ;   in Loop: Header=BB233_16 Depth=1
	v_mov_b32_e32 v90, 0x7f800001
	v_and_b32_e32 v2, 0x7f, v0
	v_mov_b32_e32 v91, 0
	s_mov_b32 s25, exec_lo
	v_cmpx_ne_u32_e32 0x7f, v2
	s_cbranch_execz .LBB233_25
; %bb.22:                               ;   in Loop: Header=BB233_16 Depth=1
	v_and_b32_e32 v28, 7, v0
	v_lshrrev_b32_e32 v1, 3, v2
	s_mov_b32 s26, exec_lo
	v_cmpx_gt_u32_e32 8, v2
; %bb.23:                               ;   in Loop: Header=BB233_16 Depth=1
	v_ffbh_u32_e32 v1, v28
	v_min_u32_e32 v1, 32, v1
	v_subrev_nc_u32_e32 v2, 28, v1
	v_sub_nc_u32_e32 v1, 29, v1
	v_lshlrev_b64 v[2:3], v2, v[28:29]
	v_and_b32_e32 v28, 7, v2
; %bb.24:                               ;   in Loop: Header=BB233_16 Depth=1
	s_or_b32 exec_lo, exec_lo, s26
	v_lshlrev_b32_e32 v2, 24, v0
	v_lshlrev_b32_e32 v3, 20, v28
	v_lshl_add_u32 v1, v1, 23, 0x3c000000
	v_and_b32_e32 v2, 0x80000000, v2
	v_or3_b32 v28, v3, v2, v1
	v_mov_b32_e32 v91, v29
	v_mov_b32_e32 v90, v28
.LBB233_25:                             ;   in Loop: Header=BB233_16 Depth=1
	s_or_b32 exec_lo, exec_lo, s25
.LBB233_26:                             ;   in Loop: Header=BB233_16 Depth=1
	s_or_b32 exec_lo, exec_lo, s24
.LBB233_27:                             ;   in Loop: Header=BB233_16 Depth=1
	s_or_b32 exec_lo, exec_lo, s23
	v_cmp_ne_u16_sdwa s5, v0, v29 src0_sel:BYTE_1 src1_sel:DWORD
	s_and_saveexec_b32 s23, s5
	s_cbranch_execz .LBB233_35
; %bb.28:                               ;   in Loop: Header=BB233_16 Depth=1
	v_mov_b32_e32 v45, v29
	v_cmp_ne_u16_sdwa s5, v0, v121 src0_sel:BYTE_1 src1_sel:DWORD
	buffer_store_dword v45, off, s[0:3], s32 offset:232 ; 4-byte Folded Spill
	buffer_store_dword v46, off, s[0:3], s32 offset:236 ; 4-byte Folded Spill
	s_and_saveexec_b32 s24, s5
	s_cbranch_execz .LBB233_34
; %bb.29:                               ;   in Loop: Header=BB233_16 Depth=1
	v_mov_b32_e32 v1, 0xffff
	v_mov_b32_e32 v116, v29
	s_mov_b32 s25, exec_lo
	buffer_store_dword v116, off, s[0:3], s32 offset:232 ; 4-byte Folded Spill
	buffer_store_dword v117, off, s[0:3], s32 offset:236 ; 4-byte Folded Spill
	v_and_b32_sdwa v1, v1, v0 dst_sel:DWORD dst_unused:UNUSED_PAD src0_sel:DWORD src1_sel:BYTE_1
	v_and_b32_e32 v2, 0x7f, v1
	v_cmpx_ne_u32_e32 0x7f, v2
	s_cbranch_execz .LBB233_33
; %bb.30:                               ;   in Loop: Header=BB233_16 Depth=1
	v_and_b32_e32 v28, 7, v1
	v_lshrrev_b32_e32 v1, 3, v2
	s_mov_b32 s26, exec_lo
	v_cmpx_gt_u32_e32 8, v2
; %bb.31:                               ;   in Loop: Header=BB233_16 Depth=1
	v_ffbh_u32_e32 v1, v28
	v_min_u32_e32 v1, 32, v1
	v_subrev_nc_u32_e32 v2, 28, v1
	v_sub_nc_u32_e32 v1, 29, v1
	v_lshlrev_b64 v[2:3], v2, v[28:29]
	v_and_b32_e32 v28, 7, v2
; %bb.32:                               ;   in Loop: Header=BB233_16 Depth=1
	s_or_b32 exec_lo, exec_lo, s26
	v_lshlrev_b32_e32 v2, 16, v0
	v_lshlrev_b32_e32 v3, 20, v28
	v_lshl_add_u32 v1, v1, 23, 0x3c000000
	v_and_b32_e32 v2, 0x80000000, v2
	v_or3_b32 v2, v3, v2, v1
	v_mov_b32_e32 v1, v29
	buffer_store_dword v1, off, s[0:3], s32 offset:232 ; 4-byte Folded Spill
	buffer_store_dword v2, off, s[0:3], s32 offset:236 ; 4-byte Folded Spill
.LBB233_33:                             ;   in Loop: Header=BB233_16 Depth=1
	s_or_b32 exec_lo, exec_lo, s25
.LBB233_34:                             ;   in Loop: Header=BB233_16 Depth=1
	s_or_b32 exec_lo, exec_lo, s24
.LBB233_35:                             ;   in Loop: Header=BB233_16 Depth=1
	s_or_b32 exec_lo, exec_lo, s23
	v_mov_b32_e32 v2, 0
	v_mov_b32_e32 v3, 0
	v_and_b32_sdwa v1, v0, v60 dst_sel:DWORD dst_unused:UNUSED_PAD src0_sel:WORD_1 src1_sel:DWORD
	s_mov_b32 s23, exec_lo
	buffer_store_dword v2, off, s[0:3], s32 offset:240 ; 4-byte Folded Spill
	buffer_store_dword v3, off, s[0:3], s32 offset:244 ; 4-byte Folded Spill
	v_mov_b32_e32 v2, 0
	v_mov_b32_e32 v3, 0
	buffer_store_dword v2, off, s[0:3], s32 offset:248 ; 4-byte Folded Spill
	buffer_store_dword v3, off, s[0:3], s32 offset:252 ; 4-byte Folded Spill
	v_cmpx_ne_u16_e32 0, v1
	s_cbranch_execz .LBB233_43
; %bb.36:                               ;   in Loop: Header=BB233_16 Depth=1
	v_cmp_ne_u16_e64 s5, 0x80, v1
	v_bfrev_b32_e32 v1, 1
	v_mov_b32_e32 v2, 0
	buffer_store_dword v1, off, s[0:3], s32 offset:248 ; 4-byte Folded Spill
	buffer_store_dword v2, off, s[0:3], s32 offset:252 ; 4-byte Folded Spill
	s_and_saveexec_b32 s24, s5
	s_cbranch_execz .LBB233_42
; %bb.37:                               ;   in Loop: Header=BB233_16 Depth=1
	v_mov_b32_e32 v3, 0x7f800001
	v_bfe_u32 v2, v0, 16, 7
	v_mov_b32_e32 v4, 0
	s_mov_b32 s25, exec_lo
	buffer_store_dword v3, off, s[0:3], s32 offset:248 ; 4-byte Folded Spill
	buffer_store_dword v4, off, s[0:3], s32 offset:252 ; 4-byte Folded Spill
	v_cmpx_ne_u32_e32 0x7f, v2
	s_cbranch_execz .LBB233_41
; %bb.38:                               ;   in Loop: Header=BB233_16 Depth=1
	v_mov_b32_e32 v1, 7
	s_mov_b32 s26, exec_lo
	v_and_b32_sdwa v28, v0, v1 dst_sel:DWORD dst_unused:UNUSED_PAD src0_sel:WORD_1 src1_sel:DWORD
	v_lshrrev_b32_e32 v1, 3, v2
	v_cmpx_gt_u32_e32 8, v2
; %bb.39:                               ;   in Loop: Header=BB233_16 Depth=1
	v_ffbh_u32_e32 v1, v28
	v_min_u32_e32 v1, 32, v1
	v_subrev_nc_u32_e32 v2, 28, v1
	v_sub_nc_u32_e32 v1, 29, v1
	v_lshlrev_b64 v[2:3], v2, v[28:29]
	v_and_b32_e32 v28, 7, v2
; %bb.40:                               ;   in Loop: Header=BB233_16 Depth=1
	s_or_b32 exec_lo, exec_lo, s26
	v_mov_b32_e32 v2, 24
	v_lshlrev_b32_e32 v3, 20, v28
	v_lshl_add_u32 v1, v1, 23, 0x3c000000
	v_lshlrev_b32_sdwa v2, v2, v0 dst_sel:DWORD dst_unused:UNUSED_PAD src0_sel:DWORD src1_sel:WORD_1
	v_and_b32_e32 v2, 0x80000000, v2
	v_or3_b32 v28, v3, v2, v1
	buffer_store_dword v28, off, s[0:3], s32 offset:248 ; 4-byte Folded Spill
	buffer_store_dword v29, off, s[0:3], s32 offset:252 ; 4-byte Folded Spill
.LBB233_41:                             ;   in Loop: Header=BB233_16 Depth=1
	s_or_b32 exec_lo, exec_lo, s25
.LBB233_42:                             ;   in Loop: Header=BB233_16 Depth=1
	s_or_b32 exec_lo, exec_lo, s24
.LBB233_43:                             ;   in Loop: Header=BB233_16 Depth=1
	s_or_b32 exec_lo, exec_lo, s23
	s_mov_b32 s23, exec_lo
	v_cmpx_lt_u32_e32 0xffffff, v0
	s_cbranch_execz .LBB233_51
; %bb.44:                               ;   in Loop: Header=BB233_16 Depth=1
	v_mov_b32_e32 v45, v29
	v_cmp_ne_u32_sdwa s5, v0, v121 src0_sel:BYTE_3 src1_sel:DWORD
	buffer_store_dword v45, off, s[0:3], s32 offset:240 ; 4-byte Folded Spill
	buffer_store_dword v46, off, s[0:3], s32 offset:244 ; 4-byte Folded Spill
	s_and_saveexec_b32 s24, s5
	s_cbranch_execz .LBB233_50
; %bb.45:                               ;   in Loop: Header=BB233_16 Depth=1
	v_bfe_u32 v2, v0, 24, 7
	v_mov_b32_e32 v116, v29
	s_mov_b32 s25, exec_lo
	buffer_store_dword v116, off, s[0:3], s32 offset:240 ; 4-byte Folded Spill
	buffer_store_dword v117, off, s[0:3], s32 offset:244 ; 4-byte Folded Spill
	v_cmpx_ne_u32_e32 0x7f, v2
	s_cbranch_execz .LBB233_49
; %bb.46:                               ;   in Loop: Header=BB233_16 Depth=1
	v_mov_b32_e32 v1, 7
	s_mov_b32 s26, exec_lo
	v_and_b32_sdwa v28, v0, v1 dst_sel:DWORD dst_unused:UNUSED_PAD src0_sel:BYTE_3 src1_sel:DWORD
	v_lshrrev_b32_e32 v1, 3, v2
	v_cmpx_gt_u32_e32 8, v2
; %bb.47:                               ;   in Loop: Header=BB233_16 Depth=1
	v_ffbh_u32_e32 v1, v28
	v_min_u32_e32 v1, 32, v1
	v_subrev_nc_u32_e32 v2, 28, v1
	v_sub_nc_u32_e32 v1, 29, v1
	v_lshlrev_b64 v[2:3], v2, v[28:29]
	v_and_b32_e32 v28, 7, v2
; %bb.48:                               ;   in Loop: Header=BB233_16 Depth=1
	s_or_b32 exec_lo, exec_lo, s26
	v_mov_b32_e32 v2, 24
	v_lshl_add_u32 v1, v1, 23, 0x3c000000
	v_lshlrev_b32_sdwa v0, v2, v0 dst_sel:DWORD dst_unused:UNUSED_PAD src0_sel:DWORD src1_sel:BYTE_3
	v_lshlrev_b32_e32 v2, 20, v28
	v_and_b32_e32 v0, 0x80000000, v0
	v_or3_b32 v1, v2, v0, v1
	v_mov_b32_e32 v0, v29
	buffer_store_dword v0, off, s[0:3], s32 offset:240 ; 4-byte Folded Spill
	buffer_store_dword v1, off, s[0:3], s32 offset:244 ; 4-byte Folded Spill
.LBB233_49:                             ;   in Loop: Header=BB233_16 Depth=1
	s_or_b32 exec_lo, exec_lo, s25
.LBB233_50:                             ;   in Loop: Header=BB233_16 Depth=1
	s_or_b32 exec_lo, exec_lo, s24
.LBB233_51:                             ;   in Loop: Header=BB233_16 Depth=1
	s_or_b32 exec_lo, exec_lo, s23
	flat_load_dword v0, v[118:119] offset:4
	v_mov_b32_e32 v1, 0
	v_mov_b32_e32 v2, 0
	buffer_store_dword v1, off, s[0:3], s32 offset:264 ; 4-byte Folded Spill
	buffer_store_dword v2, off, s[0:3], s32 offset:268 ; 4-byte Folded Spill
	v_mov_b32_e32 v1, 0
	v_mov_b32_e32 v2, 0
	buffer_store_dword v1, off, s[0:3], s32 offset:256 ; 4-byte Folded Spill
	buffer_store_dword v2, off, s[0:3], s32 offset:260 ; 4-byte Folded Spill
	s_waitcnt vmcnt(0) lgkmcnt(0)
	v_cmp_ne_u16_sdwa s5, v0, v29 src0_sel:BYTE_0 src1_sel:DWORD
	s_and_saveexec_b32 s23, s5
	s_cbranch_execz .LBB233_59
; %bb.52:                               ;   in Loop: Header=BB233_16 Depth=1
	v_bfrev_b32_e32 v1, 1
	v_mov_b32_e32 v2, 0
	v_cmp_ne_u16_sdwa s5, v0, v121 src0_sel:BYTE_0 src1_sel:DWORD
	buffer_store_dword v1, off, s[0:3], s32 offset:256 ; 4-byte Folded Spill
	buffer_store_dword v2, off, s[0:3], s32 offset:260 ; 4-byte Folded Spill
	s_and_saveexec_b32 s24, s5
	s_cbranch_execz .LBB233_58
; %bb.53:                               ;   in Loop: Header=BB233_16 Depth=1
	v_mov_b32_e32 v3, 0x7f800001
	v_and_b32_e32 v2, 0x7f, v0
	v_mov_b32_e32 v4, 0
	s_mov_b32 s25, exec_lo
	buffer_store_dword v3, off, s[0:3], s32 offset:256 ; 4-byte Folded Spill
	buffer_store_dword v4, off, s[0:3], s32 offset:260 ; 4-byte Folded Spill
	v_cmpx_ne_u32_e32 0x7f, v2
	s_cbranch_execz .LBB233_57
; %bb.54:                               ;   in Loop: Header=BB233_16 Depth=1
	v_and_b32_e32 v28, 7, v0
	v_lshrrev_b32_e32 v1, 3, v2
	s_mov_b32 s26, exec_lo
	v_cmpx_gt_u32_e32 8, v2
; %bb.55:                               ;   in Loop: Header=BB233_16 Depth=1
	v_ffbh_u32_e32 v1, v28
	v_min_u32_e32 v1, 32, v1
	v_subrev_nc_u32_e32 v2, 28, v1
	v_sub_nc_u32_e32 v1, 29, v1
	v_lshlrev_b64 v[2:3], v2, v[28:29]
	v_and_b32_e32 v28, 7, v2
; %bb.56:                               ;   in Loop: Header=BB233_16 Depth=1
	s_or_b32 exec_lo, exec_lo, s26
	v_lshlrev_b32_e32 v2, 24, v0
	v_lshlrev_b32_e32 v3, 20, v28
	v_lshl_add_u32 v1, v1, 23, 0x3c000000
	v_and_b32_e32 v2, 0x80000000, v2
	v_or3_b32 v28, v3, v2, v1
	buffer_store_dword v28, off, s[0:3], s32 offset:256 ; 4-byte Folded Spill
	buffer_store_dword v29, off, s[0:3], s32 offset:260 ; 4-byte Folded Spill
.LBB233_57:                             ;   in Loop: Header=BB233_16 Depth=1
	s_or_b32 exec_lo, exec_lo, s25
.LBB233_58:                             ;   in Loop: Header=BB233_16 Depth=1
	s_or_b32 exec_lo, exec_lo, s24
.LBB233_59:                             ;   in Loop: Header=BB233_16 Depth=1
	s_or_b32 exec_lo, exec_lo, s23
	v_cmp_ne_u16_sdwa s5, v0, v29 src0_sel:BYTE_1 src1_sel:DWORD
	s_and_saveexec_b32 s23, s5
	s_cbranch_execz .LBB233_67
; %bb.60:                               ;   in Loop: Header=BB233_16 Depth=1
	v_mov_b32_e32 v45, v29
	v_cmp_ne_u16_sdwa s5, v0, v121 src0_sel:BYTE_1 src1_sel:DWORD
	buffer_store_dword v45, off, s[0:3], s32 offset:264 ; 4-byte Folded Spill
	buffer_store_dword v46, off, s[0:3], s32 offset:268 ; 4-byte Folded Spill
	s_and_saveexec_b32 s24, s5
	s_cbranch_execz .LBB233_66
; %bb.61:                               ;   in Loop: Header=BB233_16 Depth=1
	v_mov_b32_e32 v1, 0xffff
	v_mov_b32_e32 v116, v29
	s_mov_b32 s25, exec_lo
	buffer_store_dword v116, off, s[0:3], s32 offset:264 ; 4-byte Folded Spill
	buffer_store_dword v117, off, s[0:3], s32 offset:268 ; 4-byte Folded Spill
	v_and_b32_sdwa v1, v1, v0 dst_sel:DWORD dst_unused:UNUSED_PAD src0_sel:DWORD src1_sel:BYTE_1
	v_and_b32_e32 v2, 0x7f, v1
	v_cmpx_ne_u32_e32 0x7f, v2
	s_cbranch_execz .LBB233_65
; %bb.62:                               ;   in Loop: Header=BB233_16 Depth=1
	v_and_b32_e32 v28, 7, v1
	v_lshrrev_b32_e32 v1, 3, v2
	s_mov_b32 s26, exec_lo
	v_cmpx_gt_u32_e32 8, v2
; %bb.63:                               ;   in Loop: Header=BB233_16 Depth=1
	v_ffbh_u32_e32 v1, v28
	v_min_u32_e32 v1, 32, v1
	v_subrev_nc_u32_e32 v2, 28, v1
	v_sub_nc_u32_e32 v1, 29, v1
	v_lshlrev_b64 v[2:3], v2, v[28:29]
	v_and_b32_e32 v28, 7, v2
; %bb.64:                               ;   in Loop: Header=BB233_16 Depth=1
	s_or_b32 exec_lo, exec_lo, s26
	v_lshlrev_b32_e32 v2, 16, v0
	v_lshlrev_b32_e32 v3, 20, v28
	v_lshl_add_u32 v1, v1, 23, 0x3c000000
	v_and_b32_e32 v2, 0x80000000, v2
	v_or3_b32 v2, v3, v2, v1
	v_mov_b32_e32 v1, v29
	buffer_store_dword v1, off, s[0:3], s32 offset:264 ; 4-byte Folded Spill
	buffer_store_dword v2, off, s[0:3], s32 offset:268 ; 4-byte Folded Spill
.LBB233_65:                             ;   in Loop: Header=BB233_16 Depth=1
	s_or_b32 exec_lo, exec_lo, s25
.LBB233_66:                             ;   in Loop: Header=BB233_16 Depth=1
	s_or_b32 exec_lo, exec_lo, s24
.LBB233_67:                             ;   in Loop: Header=BB233_16 Depth=1
	s_or_b32 exec_lo, exec_lo, s23
	v_mov_b32_e32 v2, 0
	v_mov_b32_e32 v3, 0
	v_and_b32_sdwa v1, v0, v60 dst_sel:DWORD dst_unused:UNUSED_PAD src0_sel:WORD_1 src1_sel:DWORD
	s_mov_b32 s23, exec_lo
	buffer_store_dword v2, off, s[0:3], s32 offset:272 ; 4-byte Folded Spill
	buffer_store_dword v3, off, s[0:3], s32 offset:276 ; 4-byte Folded Spill
	v_mov_b32_e32 v2, 0
	v_mov_b32_e32 v3, 0
	buffer_store_dword v2, off, s[0:3], s32 offset:280 ; 4-byte Folded Spill
	buffer_store_dword v3, off, s[0:3], s32 offset:284 ; 4-byte Folded Spill
	v_cmpx_ne_u16_e32 0, v1
	s_cbranch_execz .LBB233_75
; %bb.68:                               ;   in Loop: Header=BB233_16 Depth=1
	v_cmp_ne_u16_e64 s5, 0x80, v1
	v_bfrev_b32_e32 v1, 1
	v_mov_b32_e32 v2, 0
	buffer_store_dword v1, off, s[0:3], s32 offset:280 ; 4-byte Folded Spill
	buffer_store_dword v2, off, s[0:3], s32 offset:284 ; 4-byte Folded Spill
	s_and_saveexec_b32 s24, s5
	s_cbranch_execz .LBB233_74
; %bb.69:                               ;   in Loop: Header=BB233_16 Depth=1
	v_mov_b32_e32 v3, 0x7f800001
	v_bfe_u32 v2, v0, 16, 7
	v_mov_b32_e32 v4, 0
	s_mov_b32 s25, exec_lo
	buffer_store_dword v3, off, s[0:3], s32 offset:280 ; 4-byte Folded Spill
	buffer_store_dword v4, off, s[0:3], s32 offset:284 ; 4-byte Folded Spill
	v_cmpx_ne_u32_e32 0x7f, v2
	s_cbranch_execz .LBB233_73
; %bb.70:                               ;   in Loop: Header=BB233_16 Depth=1
	v_mov_b32_e32 v1, 7
	s_mov_b32 s26, exec_lo
	v_and_b32_sdwa v28, v0, v1 dst_sel:DWORD dst_unused:UNUSED_PAD src0_sel:WORD_1 src1_sel:DWORD
	v_lshrrev_b32_e32 v1, 3, v2
	v_cmpx_gt_u32_e32 8, v2
; %bb.71:                               ;   in Loop: Header=BB233_16 Depth=1
	v_ffbh_u32_e32 v1, v28
	v_min_u32_e32 v1, 32, v1
	v_subrev_nc_u32_e32 v2, 28, v1
	v_sub_nc_u32_e32 v1, 29, v1
	v_lshlrev_b64 v[2:3], v2, v[28:29]
	v_and_b32_e32 v28, 7, v2
; %bb.72:                               ;   in Loop: Header=BB233_16 Depth=1
	s_or_b32 exec_lo, exec_lo, s26
	v_mov_b32_e32 v2, 24
	v_lshlrev_b32_e32 v3, 20, v28
	v_lshl_add_u32 v1, v1, 23, 0x3c000000
	v_lshlrev_b32_sdwa v2, v2, v0 dst_sel:DWORD dst_unused:UNUSED_PAD src0_sel:DWORD src1_sel:WORD_1
	v_and_b32_e32 v2, 0x80000000, v2
	v_or3_b32 v28, v3, v2, v1
	buffer_store_dword v28, off, s[0:3], s32 offset:280 ; 4-byte Folded Spill
	buffer_store_dword v29, off, s[0:3], s32 offset:284 ; 4-byte Folded Spill
.LBB233_73:                             ;   in Loop: Header=BB233_16 Depth=1
	s_or_b32 exec_lo, exec_lo, s25
.LBB233_74:                             ;   in Loop: Header=BB233_16 Depth=1
	s_or_b32 exec_lo, exec_lo, s24
.LBB233_75:                             ;   in Loop: Header=BB233_16 Depth=1
	s_or_b32 exec_lo, exec_lo, s23
	s_mov_b32 s23, exec_lo
	v_cmpx_lt_u32_e32 0xffffff, v0
	s_cbranch_execz .LBB233_83
; %bb.76:                               ;   in Loop: Header=BB233_16 Depth=1
	v_mov_b32_e32 v45, v29
	v_cmp_ne_u32_sdwa s5, v0, v121 src0_sel:BYTE_3 src1_sel:DWORD
	buffer_store_dword v45, off, s[0:3], s32 offset:272 ; 4-byte Folded Spill
	buffer_store_dword v46, off, s[0:3], s32 offset:276 ; 4-byte Folded Spill
	s_and_saveexec_b32 s24, s5
	s_cbranch_execz .LBB233_82
; %bb.77:                               ;   in Loop: Header=BB233_16 Depth=1
	v_bfe_u32 v2, v0, 24, 7
	v_mov_b32_e32 v116, v29
	s_mov_b32 s25, exec_lo
	buffer_store_dword v116, off, s[0:3], s32 offset:272 ; 4-byte Folded Spill
	buffer_store_dword v117, off, s[0:3], s32 offset:276 ; 4-byte Folded Spill
	v_cmpx_ne_u32_e32 0x7f, v2
	s_cbranch_execz .LBB233_81
; %bb.78:                               ;   in Loop: Header=BB233_16 Depth=1
	v_mov_b32_e32 v1, 7
	s_mov_b32 s26, exec_lo
	v_and_b32_sdwa v28, v0, v1 dst_sel:DWORD dst_unused:UNUSED_PAD src0_sel:BYTE_3 src1_sel:DWORD
	v_lshrrev_b32_e32 v1, 3, v2
	v_cmpx_gt_u32_e32 8, v2
; %bb.79:                               ;   in Loop: Header=BB233_16 Depth=1
	v_ffbh_u32_e32 v1, v28
	v_min_u32_e32 v1, 32, v1
	v_subrev_nc_u32_e32 v2, 28, v1
	v_sub_nc_u32_e32 v1, 29, v1
	v_lshlrev_b64 v[2:3], v2, v[28:29]
	v_and_b32_e32 v28, 7, v2
; %bb.80:                               ;   in Loop: Header=BB233_16 Depth=1
	s_or_b32 exec_lo, exec_lo, s26
	v_mov_b32_e32 v2, 24
	v_lshl_add_u32 v1, v1, 23, 0x3c000000
	v_lshlrev_b32_sdwa v0, v2, v0 dst_sel:DWORD dst_unused:UNUSED_PAD src0_sel:DWORD src1_sel:BYTE_3
	v_lshlrev_b32_e32 v2, 20, v28
	v_and_b32_e32 v0, 0x80000000, v0
	v_or3_b32 v1, v2, v0, v1
	v_mov_b32_e32 v0, v29
	buffer_store_dword v0, off, s[0:3], s32 offset:272 ; 4-byte Folded Spill
	buffer_store_dword v1, off, s[0:3], s32 offset:276 ; 4-byte Folded Spill
.LBB233_81:                             ;   in Loop: Header=BB233_16 Depth=1
	s_or_b32 exec_lo, exec_lo, s25
.LBB233_82:                             ;   in Loop: Header=BB233_16 Depth=1
	s_or_b32 exec_lo, exec_lo, s24
.LBB233_83:                             ;   in Loop: Header=BB233_16 Depth=1
	s_or_b32 exec_lo, exec_lo, s23
	flat_load_dword v0, v[118:119] offset:8
	v_mov_b32_e32 v1, 0
	v_mov_b32_e32 v2, 0
	buffer_store_dword v1, off, s[0:3], s32 offset:296 ; 4-byte Folded Spill
	buffer_store_dword v2, off, s[0:3], s32 offset:300 ; 4-byte Folded Spill
	v_mov_b32_e32 v1, 0
	v_mov_b32_e32 v2, 0
	buffer_store_dword v1, off, s[0:3], s32 offset:288 ; 4-byte Folded Spill
	buffer_store_dword v2, off, s[0:3], s32 offset:292 ; 4-byte Folded Spill
	s_waitcnt vmcnt(0) lgkmcnt(0)
	v_cmp_ne_u16_sdwa s5, v0, v29 src0_sel:BYTE_0 src1_sel:DWORD
	s_and_saveexec_b32 s23, s5
	s_cbranch_execz .LBB233_91
; %bb.84:                               ;   in Loop: Header=BB233_16 Depth=1
	v_bfrev_b32_e32 v1, 1
	v_mov_b32_e32 v2, 0
	v_cmp_ne_u16_sdwa s5, v0, v121 src0_sel:BYTE_0 src1_sel:DWORD
	buffer_store_dword v1, off, s[0:3], s32 offset:288 ; 4-byte Folded Spill
	buffer_store_dword v2, off, s[0:3], s32 offset:292 ; 4-byte Folded Spill
	s_and_saveexec_b32 s24, s5
	s_cbranch_execz .LBB233_90
; %bb.85:                               ;   in Loop: Header=BB233_16 Depth=1
	v_mov_b32_e32 v3, 0x7f800001
	v_and_b32_e32 v2, 0x7f, v0
	v_mov_b32_e32 v4, 0
	s_mov_b32 s25, exec_lo
	buffer_store_dword v3, off, s[0:3], s32 offset:288 ; 4-byte Folded Spill
	buffer_store_dword v4, off, s[0:3], s32 offset:292 ; 4-byte Folded Spill
	v_cmpx_ne_u32_e32 0x7f, v2
	s_cbranch_execz .LBB233_89
; %bb.86:                               ;   in Loop: Header=BB233_16 Depth=1
	v_and_b32_e32 v28, 7, v0
	v_lshrrev_b32_e32 v1, 3, v2
	s_mov_b32 s26, exec_lo
	v_cmpx_gt_u32_e32 8, v2
; %bb.87:                               ;   in Loop: Header=BB233_16 Depth=1
	v_ffbh_u32_e32 v1, v28
	v_min_u32_e32 v1, 32, v1
	v_subrev_nc_u32_e32 v2, 28, v1
	v_sub_nc_u32_e32 v1, 29, v1
	v_lshlrev_b64 v[2:3], v2, v[28:29]
	v_and_b32_e32 v28, 7, v2
; %bb.88:                               ;   in Loop: Header=BB233_16 Depth=1
	s_or_b32 exec_lo, exec_lo, s26
	v_lshlrev_b32_e32 v2, 24, v0
	v_lshlrev_b32_e32 v3, 20, v28
	v_lshl_add_u32 v1, v1, 23, 0x3c000000
	v_and_b32_e32 v2, 0x80000000, v2
	v_or3_b32 v28, v3, v2, v1
	buffer_store_dword v28, off, s[0:3], s32 offset:288 ; 4-byte Folded Spill
	buffer_store_dword v29, off, s[0:3], s32 offset:292 ; 4-byte Folded Spill
.LBB233_89:                             ;   in Loop: Header=BB233_16 Depth=1
	s_or_b32 exec_lo, exec_lo, s25
.LBB233_90:                             ;   in Loop: Header=BB233_16 Depth=1
	s_or_b32 exec_lo, exec_lo, s24
.LBB233_91:                             ;   in Loop: Header=BB233_16 Depth=1
	s_or_b32 exec_lo, exec_lo, s23
	v_cmp_ne_u16_sdwa s5, v0, v29 src0_sel:BYTE_1 src1_sel:DWORD
	s_and_saveexec_b32 s23, s5
	s_cbranch_execz .LBB233_99
; %bb.92:                               ;   in Loop: Header=BB233_16 Depth=1
	v_mov_b32_e32 v45, v29
	v_cmp_ne_u16_sdwa s5, v0, v121 src0_sel:BYTE_1 src1_sel:DWORD
	buffer_store_dword v45, off, s[0:3], s32 offset:296 ; 4-byte Folded Spill
	buffer_store_dword v46, off, s[0:3], s32 offset:300 ; 4-byte Folded Spill
	s_and_saveexec_b32 s24, s5
	s_cbranch_execz .LBB233_98
; %bb.93:                               ;   in Loop: Header=BB233_16 Depth=1
	v_mov_b32_e32 v1, 0xffff
	v_mov_b32_e32 v116, v29
	s_mov_b32 s25, exec_lo
	buffer_store_dword v116, off, s[0:3], s32 offset:296 ; 4-byte Folded Spill
	buffer_store_dword v117, off, s[0:3], s32 offset:300 ; 4-byte Folded Spill
	v_and_b32_sdwa v1, v1, v0 dst_sel:DWORD dst_unused:UNUSED_PAD src0_sel:DWORD src1_sel:BYTE_1
	v_and_b32_e32 v2, 0x7f, v1
	v_cmpx_ne_u32_e32 0x7f, v2
	s_cbranch_execz .LBB233_97
; %bb.94:                               ;   in Loop: Header=BB233_16 Depth=1
	v_and_b32_e32 v28, 7, v1
	v_lshrrev_b32_e32 v1, 3, v2
	s_mov_b32 s26, exec_lo
	v_cmpx_gt_u32_e32 8, v2
; %bb.95:                               ;   in Loop: Header=BB233_16 Depth=1
	v_ffbh_u32_e32 v1, v28
	v_min_u32_e32 v1, 32, v1
	v_subrev_nc_u32_e32 v2, 28, v1
	v_sub_nc_u32_e32 v1, 29, v1
	v_lshlrev_b64 v[2:3], v2, v[28:29]
	v_and_b32_e32 v28, 7, v2
; %bb.96:                               ;   in Loop: Header=BB233_16 Depth=1
	s_or_b32 exec_lo, exec_lo, s26
	v_lshlrev_b32_e32 v2, 16, v0
	v_lshlrev_b32_e32 v3, 20, v28
	v_lshl_add_u32 v1, v1, 23, 0x3c000000
	v_and_b32_e32 v2, 0x80000000, v2
	v_or3_b32 v2, v3, v2, v1
	v_mov_b32_e32 v1, v29
	buffer_store_dword v1, off, s[0:3], s32 offset:296 ; 4-byte Folded Spill
	buffer_store_dword v2, off, s[0:3], s32 offset:300 ; 4-byte Folded Spill
.LBB233_97:                             ;   in Loop: Header=BB233_16 Depth=1
	s_or_b32 exec_lo, exec_lo, s25
.LBB233_98:                             ;   in Loop: Header=BB233_16 Depth=1
	s_or_b32 exec_lo, exec_lo, s24
.LBB233_99:                             ;   in Loop: Header=BB233_16 Depth=1
	s_or_b32 exec_lo, exec_lo, s23
	v_mov_b32_e32 v2, 0
	v_mov_b32_e32 v3, 0
	v_and_b32_sdwa v1, v0, v60 dst_sel:DWORD dst_unused:UNUSED_PAD src0_sel:WORD_1 src1_sel:DWORD
	s_mov_b32 s23, exec_lo
	buffer_store_dword v2, off, s[0:3], s32 offset:304 ; 4-byte Folded Spill
	buffer_store_dword v3, off, s[0:3], s32 offset:308 ; 4-byte Folded Spill
	v_mov_b32_e32 v2, 0
	v_mov_b32_e32 v3, 0
	buffer_store_dword v2, off, s[0:3], s32 offset:312 ; 4-byte Folded Spill
	buffer_store_dword v3, off, s[0:3], s32 offset:316 ; 4-byte Folded Spill
	v_cmpx_ne_u16_e32 0, v1
	s_cbranch_execz .LBB233_107
; %bb.100:                              ;   in Loop: Header=BB233_16 Depth=1
	v_cmp_ne_u16_e64 s5, 0x80, v1
	v_bfrev_b32_e32 v1, 1
	v_mov_b32_e32 v2, 0
	buffer_store_dword v1, off, s[0:3], s32 offset:312 ; 4-byte Folded Spill
	buffer_store_dword v2, off, s[0:3], s32 offset:316 ; 4-byte Folded Spill
	s_and_saveexec_b32 s24, s5
	s_cbranch_execz .LBB233_106
; %bb.101:                              ;   in Loop: Header=BB233_16 Depth=1
	v_mov_b32_e32 v3, 0x7f800001
	v_bfe_u32 v2, v0, 16, 7
	v_mov_b32_e32 v4, 0
	s_mov_b32 s25, exec_lo
	buffer_store_dword v3, off, s[0:3], s32 offset:312 ; 4-byte Folded Spill
	buffer_store_dword v4, off, s[0:3], s32 offset:316 ; 4-byte Folded Spill
	v_cmpx_ne_u32_e32 0x7f, v2
	s_cbranch_execz .LBB233_105
; %bb.102:                              ;   in Loop: Header=BB233_16 Depth=1
	v_mov_b32_e32 v1, 7
	s_mov_b32 s26, exec_lo
	v_and_b32_sdwa v28, v0, v1 dst_sel:DWORD dst_unused:UNUSED_PAD src0_sel:WORD_1 src1_sel:DWORD
	v_lshrrev_b32_e32 v1, 3, v2
	v_cmpx_gt_u32_e32 8, v2
; %bb.103:                              ;   in Loop: Header=BB233_16 Depth=1
	v_ffbh_u32_e32 v1, v28
	v_min_u32_e32 v1, 32, v1
	v_subrev_nc_u32_e32 v2, 28, v1
	v_sub_nc_u32_e32 v1, 29, v1
	v_lshlrev_b64 v[2:3], v2, v[28:29]
	v_and_b32_e32 v28, 7, v2
; %bb.104:                              ;   in Loop: Header=BB233_16 Depth=1
	s_or_b32 exec_lo, exec_lo, s26
	v_mov_b32_e32 v2, 24
	v_lshlrev_b32_e32 v3, 20, v28
	v_lshl_add_u32 v1, v1, 23, 0x3c000000
	v_lshlrev_b32_sdwa v2, v2, v0 dst_sel:DWORD dst_unused:UNUSED_PAD src0_sel:DWORD src1_sel:WORD_1
	v_and_b32_e32 v2, 0x80000000, v2
	v_or3_b32 v28, v3, v2, v1
	buffer_store_dword v28, off, s[0:3], s32 offset:312 ; 4-byte Folded Spill
	buffer_store_dword v29, off, s[0:3], s32 offset:316 ; 4-byte Folded Spill
.LBB233_105:                            ;   in Loop: Header=BB233_16 Depth=1
	s_or_b32 exec_lo, exec_lo, s25
.LBB233_106:                            ;   in Loop: Header=BB233_16 Depth=1
	s_or_b32 exec_lo, exec_lo, s24
.LBB233_107:                            ;   in Loop: Header=BB233_16 Depth=1
	s_or_b32 exec_lo, exec_lo, s23
	s_mov_b32 s23, exec_lo
	v_cmpx_lt_u32_e32 0xffffff, v0
	s_cbranch_execz .LBB233_115
; %bb.108:                              ;   in Loop: Header=BB233_16 Depth=1
	v_mov_b32_e32 v45, v29
	v_cmp_ne_u32_sdwa s5, v0, v121 src0_sel:BYTE_3 src1_sel:DWORD
	buffer_store_dword v45, off, s[0:3], s32 offset:304 ; 4-byte Folded Spill
	buffer_store_dword v46, off, s[0:3], s32 offset:308 ; 4-byte Folded Spill
	s_and_saveexec_b32 s24, s5
	s_cbranch_execz .LBB233_114
; %bb.109:                              ;   in Loop: Header=BB233_16 Depth=1
	v_bfe_u32 v2, v0, 24, 7
	v_mov_b32_e32 v116, v29
	s_mov_b32 s25, exec_lo
	buffer_store_dword v116, off, s[0:3], s32 offset:304 ; 4-byte Folded Spill
	buffer_store_dword v117, off, s[0:3], s32 offset:308 ; 4-byte Folded Spill
	v_cmpx_ne_u32_e32 0x7f, v2
	s_cbranch_execz .LBB233_113
; %bb.110:                              ;   in Loop: Header=BB233_16 Depth=1
	v_mov_b32_e32 v1, 7
	s_mov_b32 s26, exec_lo
	v_and_b32_sdwa v28, v0, v1 dst_sel:DWORD dst_unused:UNUSED_PAD src0_sel:BYTE_3 src1_sel:DWORD
	v_lshrrev_b32_e32 v1, 3, v2
	v_cmpx_gt_u32_e32 8, v2
; %bb.111:                              ;   in Loop: Header=BB233_16 Depth=1
	v_ffbh_u32_e32 v1, v28
	v_min_u32_e32 v1, 32, v1
	v_subrev_nc_u32_e32 v2, 28, v1
	v_sub_nc_u32_e32 v1, 29, v1
	v_lshlrev_b64 v[2:3], v2, v[28:29]
	v_and_b32_e32 v28, 7, v2
; %bb.112:                              ;   in Loop: Header=BB233_16 Depth=1
	s_or_b32 exec_lo, exec_lo, s26
	v_mov_b32_e32 v2, 24
	v_lshl_add_u32 v1, v1, 23, 0x3c000000
	v_lshlrev_b32_sdwa v0, v2, v0 dst_sel:DWORD dst_unused:UNUSED_PAD src0_sel:DWORD src1_sel:BYTE_3
	v_lshlrev_b32_e32 v2, 20, v28
	v_and_b32_e32 v0, 0x80000000, v0
	v_or3_b32 v1, v2, v0, v1
	v_mov_b32_e32 v0, v29
	buffer_store_dword v0, off, s[0:3], s32 offset:304 ; 4-byte Folded Spill
	buffer_store_dword v1, off, s[0:3], s32 offset:308 ; 4-byte Folded Spill
.LBB233_113:                            ;   in Loop: Header=BB233_16 Depth=1
	s_or_b32 exec_lo, exec_lo, s25
.LBB233_114:                            ;   in Loop: Header=BB233_16 Depth=1
	s_or_b32 exec_lo, exec_lo, s24
.LBB233_115:                            ;   in Loop: Header=BB233_16 Depth=1
	s_or_b32 exec_lo, exec_lo, s23
	flat_load_dword v0, v[118:119] offset:12
	v_mov_b32_e32 v1, 0
	v_mov_b32_e32 v2, 0
	buffer_store_dword v1, off, s[0:3], s32 offset:328 ; 4-byte Folded Spill
	buffer_store_dword v2, off, s[0:3], s32 offset:332 ; 4-byte Folded Spill
	v_mov_b32_e32 v1, 0
	v_mov_b32_e32 v2, 0
	buffer_store_dword v1, off, s[0:3], s32 offset:320 ; 4-byte Folded Spill
	buffer_store_dword v2, off, s[0:3], s32 offset:324 ; 4-byte Folded Spill
	s_waitcnt vmcnt(0) lgkmcnt(0)
	v_cmp_ne_u16_sdwa s5, v0, v29 src0_sel:BYTE_0 src1_sel:DWORD
	s_and_saveexec_b32 s23, s5
	s_cbranch_execz .LBB233_123
; %bb.116:                              ;   in Loop: Header=BB233_16 Depth=1
	v_bfrev_b32_e32 v1, 1
	v_mov_b32_e32 v2, 0
	v_cmp_ne_u16_sdwa s5, v0, v121 src0_sel:BYTE_0 src1_sel:DWORD
	buffer_store_dword v1, off, s[0:3], s32 offset:320 ; 4-byte Folded Spill
	buffer_store_dword v2, off, s[0:3], s32 offset:324 ; 4-byte Folded Spill
	s_and_saveexec_b32 s24, s5
	s_cbranch_execz .LBB233_122
; %bb.117:                              ;   in Loop: Header=BB233_16 Depth=1
	v_mov_b32_e32 v3, 0x7f800001
	v_and_b32_e32 v2, 0x7f, v0
	v_mov_b32_e32 v4, 0
	s_mov_b32 s25, exec_lo
	buffer_store_dword v3, off, s[0:3], s32 offset:320 ; 4-byte Folded Spill
	buffer_store_dword v4, off, s[0:3], s32 offset:324 ; 4-byte Folded Spill
	v_cmpx_ne_u32_e32 0x7f, v2
	s_cbranch_execz .LBB233_121
; %bb.118:                              ;   in Loop: Header=BB233_16 Depth=1
	v_and_b32_e32 v28, 7, v0
	v_lshrrev_b32_e32 v1, 3, v2
	s_mov_b32 s26, exec_lo
	v_cmpx_gt_u32_e32 8, v2
; %bb.119:                              ;   in Loop: Header=BB233_16 Depth=1
	v_ffbh_u32_e32 v1, v28
	v_min_u32_e32 v1, 32, v1
	v_subrev_nc_u32_e32 v2, 28, v1
	v_sub_nc_u32_e32 v1, 29, v1
	v_lshlrev_b64 v[2:3], v2, v[28:29]
	v_and_b32_e32 v28, 7, v2
; %bb.120:                              ;   in Loop: Header=BB233_16 Depth=1
	s_or_b32 exec_lo, exec_lo, s26
	v_lshlrev_b32_e32 v2, 24, v0
	v_lshlrev_b32_e32 v3, 20, v28
	v_lshl_add_u32 v1, v1, 23, 0x3c000000
	v_and_b32_e32 v2, 0x80000000, v2
	v_or3_b32 v28, v3, v2, v1
	buffer_store_dword v28, off, s[0:3], s32 offset:320 ; 4-byte Folded Spill
	buffer_store_dword v29, off, s[0:3], s32 offset:324 ; 4-byte Folded Spill
.LBB233_121:                            ;   in Loop: Header=BB233_16 Depth=1
	s_or_b32 exec_lo, exec_lo, s25
.LBB233_122:                            ;   in Loop: Header=BB233_16 Depth=1
	s_or_b32 exec_lo, exec_lo, s24
.LBB233_123:                            ;   in Loop: Header=BB233_16 Depth=1
	s_or_b32 exec_lo, exec_lo, s23
	v_cmp_ne_u16_sdwa s5, v0, v29 src0_sel:BYTE_1 src1_sel:DWORD
	s_and_saveexec_b32 s23, s5
	s_cbranch_execz .LBB233_131
; %bb.124:                              ;   in Loop: Header=BB233_16 Depth=1
	v_mov_b32_e32 v45, v29
	v_cmp_ne_u16_sdwa s5, v0, v121 src0_sel:BYTE_1 src1_sel:DWORD
	buffer_store_dword v45, off, s[0:3], s32 offset:328 ; 4-byte Folded Spill
	buffer_store_dword v46, off, s[0:3], s32 offset:332 ; 4-byte Folded Spill
	s_and_saveexec_b32 s24, s5
	s_cbranch_execz .LBB233_130
; %bb.125:                              ;   in Loop: Header=BB233_16 Depth=1
	v_mov_b32_e32 v1, 0xffff
	v_mov_b32_e32 v116, v29
	s_mov_b32 s25, exec_lo
	buffer_store_dword v116, off, s[0:3], s32 offset:328 ; 4-byte Folded Spill
	buffer_store_dword v117, off, s[0:3], s32 offset:332 ; 4-byte Folded Spill
	v_and_b32_sdwa v1, v1, v0 dst_sel:DWORD dst_unused:UNUSED_PAD src0_sel:DWORD src1_sel:BYTE_1
	v_and_b32_e32 v2, 0x7f, v1
	v_cmpx_ne_u32_e32 0x7f, v2
	s_cbranch_execz .LBB233_129
; %bb.126:                              ;   in Loop: Header=BB233_16 Depth=1
	v_and_b32_e32 v28, 7, v1
	v_lshrrev_b32_e32 v1, 3, v2
	s_mov_b32 s26, exec_lo
	v_cmpx_gt_u32_e32 8, v2
; %bb.127:                              ;   in Loop: Header=BB233_16 Depth=1
	v_ffbh_u32_e32 v1, v28
	v_min_u32_e32 v1, 32, v1
	v_subrev_nc_u32_e32 v2, 28, v1
	v_sub_nc_u32_e32 v1, 29, v1
	v_lshlrev_b64 v[2:3], v2, v[28:29]
	v_and_b32_e32 v28, 7, v2
; %bb.128:                              ;   in Loop: Header=BB233_16 Depth=1
	s_or_b32 exec_lo, exec_lo, s26
	v_lshlrev_b32_e32 v2, 16, v0
	v_lshlrev_b32_e32 v3, 20, v28
	v_lshl_add_u32 v1, v1, 23, 0x3c000000
	v_and_b32_e32 v2, 0x80000000, v2
	v_or3_b32 v2, v3, v2, v1
	v_mov_b32_e32 v1, v29
	buffer_store_dword v1, off, s[0:3], s32 offset:328 ; 4-byte Folded Spill
	buffer_store_dword v2, off, s[0:3], s32 offset:332 ; 4-byte Folded Spill
.LBB233_129:                            ;   in Loop: Header=BB233_16 Depth=1
	s_or_b32 exec_lo, exec_lo, s25
.LBB233_130:                            ;   in Loop: Header=BB233_16 Depth=1
	s_or_b32 exec_lo, exec_lo, s24
.LBB233_131:                            ;   in Loop: Header=BB233_16 Depth=1
	s_or_b32 exec_lo, exec_lo, s23
	v_mov_b32_e32 v2, 0
	v_mov_b32_e32 v3, 0
	v_and_b32_sdwa v1, v0, v60 dst_sel:DWORD dst_unused:UNUSED_PAD src0_sel:WORD_1 src1_sel:DWORD
	s_mov_b32 s23, exec_lo
	buffer_store_dword v2, off, s[0:3], s32 offset:336 ; 4-byte Folded Spill
	buffer_store_dword v3, off, s[0:3], s32 offset:340 ; 4-byte Folded Spill
	v_mov_b32_e32 v2, 0
	v_mov_b32_e32 v3, 0
	buffer_store_dword v2, off, s[0:3], s32 offset:344 ; 4-byte Folded Spill
	buffer_store_dword v3, off, s[0:3], s32 offset:348 ; 4-byte Folded Spill
	v_cmpx_ne_u16_e32 0, v1
	s_cbranch_execz .LBB233_139
; %bb.132:                              ;   in Loop: Header=BB233_16 Depth=1
	v_cmp_ne_u16_e64 s5, 0x80, v1
	v_bfrev_b32_e32 v1, 1
	v_mov_b32_e32 v2, 0
	buffer_store_dword v1, off, s[0:3], s32 offset:344 ; 4-byte Folded Spill
	buffer_store_dword v2, off, s[0:3], s32 offset:348 ; 4-byte Folded Spill
	s_and_saveexec_b32 s24, s5
	s_cbranch_execz .LBB233_138
; %bb.133:                              ;   in Loop: Header=BB233_16 Depth=1
	v_mov_b32_e32 v3, 0x7f800001
	v_bfe_u32 v2, v0, 16, 7
	v_mov_b32_e32 v4, 0
	s_mov_b32 s25, exec_lo
	buffer_store_dword v3, off, s[0:3], s32 offset:344 ; 4-byte Folded Spill
	buffer_store_dword v4, off, s[0:3], s32 offset:348 ; 4-byte Folded Spill
	v_cmpx_ne_u32_e32 0x7f, v2
	s_cbranch_execz .LBB233_137
; %bb.134:                              ;   in Loop: Header=BB233_16 Depth=1
	v_mov_b32_e32 v1, 7
	s_mov_b32 s26, exec_lo
	v_and_b32_sdwa v28, v0, v1 dst_sel:DWORD dst_unused:UNUSED_PAD src0_sel:WORD_1 src1_sel:DWORD
	v_lshrrev_b32_e32 v1, 3, v2
	v_cmpx_gt_u32_e32 8, v2
; %bb.135:                              ;   in Loop: Header=BB233_16 Depth=1
	v_ffbh_u32_e32 v1, v28
	v_min_u32_e32 v1, 32, v1
	v_subrev_nc_u32_e32 v2, 28, v1
	v_sub_nc_u32_e32 v1, 29, v1
	v_lshlrev_b64 v[2:3], v2, v[28:29]
	v_and_b32_e32 v28, 7, v2
; %bb.136:                              ;   in Loop: Header=BB233_16 Depth=1
	s_or_b32 exec_lo, exec_lo, s26
	v_mov_b32_e32 v2, 24
	v_lshlrev_b32_e32 v3, 20, v28
	v_lshl_add_u32 v1, v1, 23, 0x3c000000
	v_lshlrev_b32_sdwa v2, v2, v0 dst_sel:DWORD dst_unused:UNUSED_PAD src0_sel:DWORD src1_sel:WORD_1
	v_and_b32_e32 v2, 0x80000000, v2
	v_or3_b32 v28, v3, v2, v1
	buffer_store_dword v28, off, s[0:3], s32 offset:344 ; 4-byte Folded Spill
	buffer_store_dword v29, off, s[0:3], s32 offset:348 ; 4-byte Folded Spill
.LBB233_137:                            ;   in Loop: Header=BB233_16 Depth=1
	s_or_b32 exec_lo, exec_lo, s25
.LBB233_138:                            ;   in Loop: Header=BB233_16 Depth=1
	s_or_b32 exec_lo, exec_lo, s24
.LBB233_139:                            ;   in Loop: Header=BB233_16 Depth=1
	s_or_b32 exec_lo, exec_lo, s23
	s_mov_b32 s23, exec_lo
	v_cmpx_lt_u32_e32 0xffffff, v0
	s_cbranch_execz .LBB233_147
; %bb.140:                              ;   in Loop: Header=BB233_16 Depth=1
	v_mov_b32_e32 v45, v29
	v_cmp_ne_u32_sdwa s5, v0, v121 src0_sel:BYTE_3 src1_sel:DWORD
	buffer_store_dword v45, off, s[0:3], s32 offset:336 ; 4-byte Folded Spill
	buffer_store_dword v46, off, s[0:3], s32 offset:340 ; 4-byte Folded Spill
	s_and_saveexec_b32 s24, s5
	s_cbranch_execz .LBB233_146
; %bb.141:                              ;   in Loop: Header=BB233_16 Depth=1
	v_bfe_u32 v2, v0, 24, 7
	v_mov_b32_e32 v116, v29
	s_mov_b32 s25, exec_lo
	buffer_store_dword v116, off, s[0:3], s32 offset:336 ; 4-byte Folded Spill
	buffer_store_dword v117, off, s[0:3], s32 offset:340 ; 4-byte Folded Spill
	v_cmpx_ne_u32_e32 0x7f, v2
	s_cbranch_execz .LBB233_145
; %bb.142:                              ;   in Loop: Header=BB233_16 Depth=1
	v_mov_b32_e32 v1, 7
	s_mov_b32 s26, exec_lo
	v_and_b32_sdwa v28, v0, v1 dst_sel:DWORD dst_unused:UNUSED_PAD src0_sel:BYTE_3 src1_sel:DWORD
	v_lshrrev_b32_e32 v1, 3, v2
	v_cmpx_gt_u32_e32 8, v2
; %bb.143:                              ;   in Loop: Header=BB233_16 Depth=1
	v_ffbh_u32_e32 v1, v28
	v_min_u32_e32 v1, 32, v1
	v_subrev_nc_u32_e32 v2, 28, v1
	v_sub_nc_u32_e32 v1, 29, v1
	v_lshlrev_b64 v[2:3], v2, v[28:29]
	v_and_b32_e32 v28, 7, v2
; %bb.144:                              ;   in Loop: Header=BB233_16 Depth=1
	s_or_b32 exec_lo, exec_lo, s26
	v_mov_b32_e32 v2, 24
	v_lshl_add_u32 v1, v1, 23, 0x3c000000
	v_lshlrev_b32_sdwa v0, v2, v0 dst_sel:DWORD dst_unused:UNUSED_PAD src0_sel:DWORD src1_sel:BYTE_3
	v_lshlrev_b32_e32 v2, 20, v28
	v_and_b32_e32 v0, 0x80000000, v0
	v_or3_b32 v1, v2, v0, v1
	v_mov_b32_e32 v0, v29
	buffer_store_dword v0, off, s[0:3], s32 offset:336 ; 4-byte Folded Spill
	buffer_store_dword v1, off, s[0:3], s32 offset:340 ; 4-byte Folded Spill
.LBB233_145:                            ;   in Loop: Header=BB233_16 Depth=1
	s_or_b32 exec_lo, exec_lo, s25
.LBB233_146:                            ;   in Loop: Header=BB233_16 Depth=1
	s_or_b32 exec_lo, exec_lo, s24
.LBB233_147:                            ;   in Loop: Header=BB233_16 Depth=1
	s_or_b32 exec_lo, exec_lo, s23
	flat_load_dword v0, v[118:119] offset:512
	v_mov_b32_e32 v1, 0
	v_mov_b32_e32 v2, 0
	buffer_store_dword v1, off, s[0:3], s32 offset:360 ; 4-byte Folded Spill
	buffer_store_dword v2, off, s[0:3], s32 offset:364 ; 4-byte Folded Spill
	v_mov_b32_e32 v1, 0
	v_mov_b32_e32 v2, 0
	buffer_store_dword v1, off, s[0:3], s32 offset:352 ; 4-byte Folded Spill
	buffer_store_dword v2, off, s[0:3], s32 offset:356 ; 4-byte Folded Spill
	s_waitcnt vmcnt(0) lgkmcnt(0)
	v_cmp_ne_u16_sdwa s5, v0, v29 src0_sel:BYTE_0 src1_sel:DWORD
	s_and_saveexec_b32 s23, s5
	s_cbranch_execz .LBB233_155
; %bb.148:                              ;   in Loop: Header=BB233_16 Depth=1
	v_bfrev_b32_e32 v1, 1
	v_mov_b32_e32 v2, 0
	v_cmp_ne_u16_sdwa s5, v0, v121 src0_sel:BYTE_0 src1_sel:DWORD
	buffer_store_dword v1, off, s[0:3], s32 offset:352 ; 4-byte Folded Spill
	buffer_store_dword v2, off, s[0:3], s32 offset:356 ; 4-byte Folded Spill
	s_and_saveexec_b32 s24, s5
	s_cbranch_execz .LBB233_154
; %bb.149:                              ;   in Loop: Header=BB233_16 Depth=1
	v_mov_b32_e32 v3, 0x7f800001
	v_and_b32_e32 v2, 0x7f, v0
	v_mov_b32_e32 v4, 0
	s_mov_b32 s25, exec_lo
	buffer_store_dword v3, off, s[0:3], s32 offset:352 ; 4-byte Folded Spill
	buffer_store_dword v4, off, s[0:3], s32 offset:356 ; 4-byte Folded Spill
	v_cmpx_ne_u32_e32 0x7f, v2
	s_cbranch_execz .LBB233_153
; %bb.150:                              ;   in Loop: Header=BB233_16 Depth=1
	v_and_b32_e32 v28, 7, v0
	v_lshrrev_b32_e32 v1, 3, v2
	s_mov_b32 s26, exec_lo
	v_cmpx_gt_u32_e32 8, v2
; %bb.151:                              ;   in Loop: Header=BB233_16 Depth=1
	v_ffbh_u32_e32 v1, v28
	v_min_u32_e32 v1, 32, v1
	v_subrev_nc_u32_e32 v2, 28, v1
	v_sub_nc_u32_e32 v1, 29, v1
	v_lshlrev_b64 v[2:3], v2, v[28:29]
	v_and_b32_e32 v28, 7, v2
; %bb.152:                              ;   in Loop: Header=BB233_16 Depth=1
	s_or_b32 exec_lo, exec_lo, s26
	v_lshlrev_b32_e32 v2, 24, v0
	v_lshlrev_b32_e32 v3, 20, v28
	v_lshl_add_u32 v1, v1, 23, 0x3c000000
	v_and_b32_e32 v2, 0x80000000, v2
	v_or3_b32 v28, v3, v2, v1
	buffer_store_dword v28, off, s[0:3], s32 offset:352 ; 4-byte Folded Spill
	buffer_store_dword v29, off, s[0:3], s32 offset:356 ; 4-byte Folded Spill
.LBB233_153:                            ;   in Loop: Header=BB233_16 Depth=1
	s_or_b32 exec_lo, exec_lo, s25
.LBB233_154:                            ;   in Loop: Header=BB233_16 Depth=1
	s_or_b32 exec_lo, exec_lo, s24
.LBB233_155:                            ;   in Loop: Header=BB233_16 Depth=1
	s_or_b32 exec_lo, exec_lo, s23
	v_cmp_ne_u16_sdwa s5, v0, v29 src0_sel:BYTE_1 src1_sel:DWORD
	s_and_saveexec_b32 s23, s5
	s_cbranch_execz .LBB233_163
; %bb.156:                              ;   in Loop: Header=BB233_16 Depth=1
	v_mov_b32_e32 v45, v29
	v_cmp_ne_u16_sdwa s5, v0, v121 src0_sel:BYTE_1 src1_sel:DWORD
	buffer_store_dword v45, off, s[0:3], s32 offset:360 ; 4-byte Folded Spill
	buffer_store_dword v46, off, s[0:3], s32 offset:364 ; 4-byte Folded Spill
	s_and_saveexec_b32 s24, s5
	s_cbranch_execz .LBB233_162
; %bb.157:                              ;   in Loop: Header=BB233_16 Depth=1
	v_mov_b32_e32 v1, 0xffff
	v_mov_b32_e32 v116, v29
	s_mov_b32 s25, exec_lo
	buffer_store_dword v116, off, s[0:3], s32 offset:360 ; 4-byte Folded Spill
	buffer_store_dword v117, off, s[0:3], s32 offset:364 ; 4-byte Folded Spill
	v_and_b32_sdwa v1, v1, v0 dst_sel:DWORD dst_unused:UNUSED_PAD src0_sel:DWORD src1_sel:BYTE_1
	v_and_b32_e32 v2, 0x7f, v1
	v_cmpx_ne_u32_e32 0x7f, v2
	s_cbranch_execz .LBB233_161
; %bb.158:                              ;   in Loop: Header=BB233_16 Depth=1
	v_and_b32_e32 v28, 7, v1
	v_lshrrev_b32_e32 v1, 3, v2
	s_mov_b32 s26, exec_lo
	v_cmpx_gt_u32_e32 8, v2
; %bb.159:                              ;   in Loop: Header=BB233_16 Depth=1
	v_ffbh_u32_e32 v1, v28
	v_min_u32_e32 v1, 32, v1
	v_subrev_nc_u32_e32 v2, 28, v1
	v_sub_nc_u32_e32 v1, 29, v1
	v_lshlrev_b64 v[2:3], v2, v[28:29]
	v_and_b32_e32 v28, 7, v2
; %bb.160:                              ;   in Loop: Header=BB233_16 Depth=1
	s_or_b32 exec_lo, exec_lo, s26
	v_lshlrev_b32_e32 v2, 16, v0
	v_lshlrev_b32_e32 v3, 20, v28
	v_lshl_add_u32 v1, v1, 23, 0x3c000000
	v_and_b32_e32 v2, 0x80000000, v2
	v_or3_b32 v2, v3, v2, v1
	v_mov_b32_e32 v1, v29
	buffer_store_dword v1, off, s[0:3], s32 offset:360 ; 4-byte Folded Spill
	buffer_store_dword v2, off, s[0:3], s32 offset:364 ; 4-byte Folded Spill
.LBB233_161:                            ;   in Loop: Header=BB233_16 Depth=1
	s_or_b32 exec_lo, exec_lo, s25
.LBB233_162:                            ;   in Loop: Header=BB233_16 Depth=1
	s_or_b32 exec_lo, exec_lo, s24
.LBB233_163:                            ;   in Loop: Header=BB233_16 Depth=1
	s_or_b32 exec_lo, exec_lo, s23
	v_mov_b32_e32 v2, 0
	v_mov_b32_e32 v3, 0
	v_and_b32_sdwa v1, v0, v60 dst_sel:DWORD dst_unused:UNUSED_PAD src0_sel:WORD_1 src1_sel:DWORD
	s_mov_b32 s23, exec_lo
	buffer_store_dword v2, off, s[0:3], s32 offset:368 ; 4-byte Folded Spill
	buffer_store_dword v3, off, s[0:3], s32 offset:372 ; 4-byte Folded Spill
	v_mov_b32_e32 v2, 0
	v_mov_b32_e32 v3, 0
	buffer_store_dword v2, off, s[0:3], s32 offset:376 ; 4-byte Folded Spill
	buffer_store_dword v3, off, s[0:3], s32 offset:380 ; 4-byte Folded Spill
	v_cmpx_ne_u16_e32 0, v1
	s_cbranch_execz .LBB233_171
; %bb.164:                              ;   in Loop: Header=BB233_16 Depth=1
	v_cmp_ne_u16_e64 s5, 0x80, v1
	v_bfrev_b32_e32 v1, 1
	v_mov_b32_e32 v2, 0
	buffer_store_dword v1, off, s[0:3], s32 offset:376 ; 4-byte Folded Spill
	buffer_store_dword v2, off, s[0:3], s32 offset:380 ; 4-byte Folded Spill
	s_and_saveexec_b32 s24, s5
	s_cbranch_execz .LBB233_170
; %bb.165:                              ;   in Loop: Header=BB233_16 Depth=1
	v_mov_b32_e32 v3, 0x7f800001
	v_bfe_u32 v2, v0, 16, 7
	v_mov_b32_e32 v4, 0
	s_mov_b32 s25, exec_lo
	buffer_store_dword v3, off, s[0:3], s32 offset:376 ; 4-byte Folded Spill
	buffer_store_dword v4, off, s[0:3], s32 offset:380 ; 4-byte Folded Spill
	v_cmpx_ne_u32_e32 0x7f, v2
	s_cbranch_execz .LBB233_169
; %bb.166:                              ;   in Loop: Header=BB233_16 Depth=1
	v_mov_b32_e32 v1, 7
	s_mov_b32 s26, exec_lo
	v_and_b32_sdwa v28, v0, v1 dst_sel:DWORD dst_unused:UNUSED_PAD src0_sel:WORD_1 src1_sel:DWORD
	v_lshrrev_b32_e32 v1, 3, v2
	v_cmpx_gt_u32_e32 8, v2
; %bb.167:                              ;   in Loop: Header=BB233_16 Depth=1
	v_ffbh_u32_e32 v1, v28
	v_min_u32_e32 v1, 32, v1
	v_subrev_nc_u32_e32 v2, 28, v1
	v_sub_nc_u32_e32 v1, 29, v1
	v_lshlrev_b64 v[2:3], v2, v[28:29]
	v_and_b32_e32 v28, 7, v2
; %bb.168:                              ;   in Loop: Header=BB233_16 Depth=1
	s_or_b32 exec_lo, exec_lo, s26
	v_mov_b32_e32 v2, 24
	v_lshlrev_b32_e32 v3, 20, v28
	v_lshl_add_u32 v1, v1, 23, 0x3c000000
	v_lshlrev_b32_sdwa v2, v2, v0 dst_sel:DWORD dst_unused:UNUSED_PAD src0_sel:DWORD src1_sel:WORD_1
	v_and_b32_e32 v2, 0x80000000, v2
	v_or3_b32 v28, v3, v2, v1
	buffer_store_dword v28, off, s[0:3], s32 offset:376 ; 4-byte Folded Spill
	buffer_store_dword v29, off, s[0:3], s32 offset:380 ; 4-byte Folded Spill
.LBB233_169:                            ;   in Loop: Header=BB233_16 Depth=1
	s_or_b32 exec_lo, exec_lo, s25
.LBB233_170:                            ;   in Loop: Header=BB233_16 Depth=1
	s_or_b32 exec_lo, exec_lo, s24
.LBB233_171:                            ;   in Loop: Header=BB233_16 Depth=1
	s_or_b32 exec_lo, exec_lo, s23
	s_mov_b32 s23, exec_lo
	v_cmpx_lt_u32_e32 0xffffff, v0
	s_cbranch_execz .LBB233_179
; %bb.172:                              ;   in Loop: Header=BB233_16 Depth=1
	v_mov_b32_e32 v45, v29
	v_cmp_ne_u32_sdwa s5, v0, v121 src0_sel:BYTE_3 src1_sel:DWORD
	buffer_store_dword v45, off, s[0:3], s32 offset:368 ; 4-byte Folded Spill
	buffer_store_dword v46, off, s[0:3], s32 offset:372 ; 4-byte Folded Spill
	s_and_saveexec_b32 s24, s5
	s_cbranch_execz .LBB233_178
; %bb.173:                              ;   in Loop: Header=BB233_16 Depth=1
	v_bfe_u32 v2, v0, 24, 7
	v_mov_b32_e32 v116, v29
	s_mov_b32 s25, exec_lo
	buffer_store_dword v116, off, s[0:3], s32 offset:368 ; 4-byte Folded Spill
	buffer_store_dword v117, off, s[0:3], s32 offset:372 ; 4-byte Folded Spill
	v_cmpx_ne_u32_e32 0x7f, v2
	s_cbranch_execz .LBB233_177
; %bb.174:                              ;   in Loop: Header=BB233_16 Depth=1
	v_mov_b32_e32 v1, 7
	s_mov_b32 s26, exec_lo
	v_and_b32_sdwa v28, v0, v1 dst_sel:DWORD dst_unused:UNUSED_PAD src0_sel:BYTE_3 src1_sel:DWORD
	v_lshrrev_b32_e32 v1, 3, v2
	v_cmpx_gt_u32_e32 8, v2
; %bb.175:                              ;   in Loop: Header=BB233_16 Depth=1
	v_ffbh_u32_e32 v1, v28
	v_min_u32_e32 v1, 32, v1
	v_subrev_nc_u32_e32 v2, 28, v1
	v_sub_nc_u32_e32 v1, 29, v1
	v_lshlrev_b64 v[2:3], v2, v[28:29]
	v_and_b32_e32 v28, 7, v2
; %bb.176:                              ;   in Loop: Header=BB233_16 Depth=1
	s_or_b32 exec_lo, exec_lo, s26
	v_mov_b32_e32 v2, 24
	v_lshl_add_u32 v1, v1, 23, 0x3c000000
	v_lshlrev_b32_sdwa v0, v2, v0 dst_sel:DWORD dst_unused:UNUSED_PAD src0_sel:DWORD src1_sel:BYTE_3
	v_lshlrev_b32_e32 v2, 20, v28
	v_and_b32_e32 v0, 0x80000000, v0
	v_or3_b32 v1, v2, v0, v1
	v_mov_b32_e32 v0, v29
	buffer_store_dword v0, off, s[0:3], s32 offset:368 ; 4-byte Folded Spill
	buffer_store_dword v1, off, s[0:3], s32 offset:372 ; 4-byte Folded Spill
.LBB233_177:                            ;   in Loop: Header=BB233_16 Depth=1
	s_or_b32 exec_lo, exec_lo, s25
.LBB233_178:                            ;   in Loop: Header=BB233_16 Depth=1
	s_or_b32 exec_lo, exec_lo, s24
.LBB233_179:                            ;   in Loop: Header=BB233_16 Depth=1
	s_or_b32 exec_lo, exec_lo, s23
	flat_load_dword v0, v[118:119] offset:516
	v_mov_b32_e32 v1, 0
	v_mov_b32_e32 v2, 0
	buffer_store_dword v1, off, s[0:3], s32 offset:392 ; 4-byte Folded Spill
	buffer_store_dword v2, off, s[0:3], s32 offset:396 ; 4-byte Folded Spill
	v_mov_b32_e32 v1, 0
	v_mov_b32_e32 v2, 0
	buffer_store_dword v1, off, s[0:3], s32 offset:384 ; 4-byte Folded Spill
	buffer_store_dword v2, off, s[0:3], s32 offset:388 ; 4-byte Folded Spill
	s_waitcnt vmcnt(0) lgkmcnt(0)
	v_cmp_ne_u16_sdwa s5, v0, v29 src0_sel:BYTE_0 src1_sel:DWORD
	s_and_saveexec_b32 s23, s5
	s_cbranch_execz .LBB233_187
; %bb.180:                              ;   in Loop: Header=BB233_16 Depth=1
	v_bfrev_b32_e32 v1, 1
	v_mov_b32_e32 v2, 0
	v_cmp_ne_u16_sdwa s5, v0, v121 src0_sel:BYTE_0 src1_sel:DWORD
	buffer_store_dword v1, off, s[0:3], s32 offset:384 ; 4-byte Folded Spill
	buffer_store_dword v2, off, s[0:3], s32 offset:388 ; 4-byte Folded Spill
	s_and_saveexec_b32 s24, s5
	s_cbranch_execz .LBB233_186
; %bb.181:                              ;   in Loop: Header=BB233_16 Depth=1
	v_mov_b32_e32 v3, 0x7f800001
	v_and_b32_e32 v2, 0x7f, v0
	v_mov_b32_e32 v4, 0
	s_mov_b32 s25, exec_lo
	buffer_store_dword v3, off, s[0:3], s32 offset:384 ; 4-byte Folded Spill
	buffer_store_dword v4, off, s[0:3], s32 offset:388 ; 4-byte Folded Spill
	v_cmpx_ne_u32_e32 0x7f, v2
	s_cbranch_execz .LBB233_185
; %bb.182:                              ;   in Loop: Header=BB233_16 Depth=1
	v_and_b32_e32 v28, 7, v0
	v_lshrrev_b32_e32 v1, 3, v2
	s_mov_b32 s26, exec_lo
	v_cmpx_gt_u32_e32 8, v2
; %bb.183:                              ;   in Loop: Header=BB233_16 Depth=1
	v_ffbh_u32_e32 v1, v28
	v_min_u32_e32 v1, 32, v1
	v_subrev_nc_u32_e32 v2, 28, v1
	v_sub_nc_u32_e32 v1, 29, v1
	v_lshlrev_b64 v[2:3], v2, v[28:29]
	v_and_b32_e32 v28, 7, v2
; %bb.184:                              ;   in Loop: Header=BB233_16 Depth=1
	s_or_b32 exec_lo, exec_lo, s26
	v_lshlrev_b32_e32 v2, 24, v0
	v_lshlrev_b32_e32 v3, 20, v28
	v_lshl_add_u32 v1, v1, 23, 0x3c000000
	v_and_b32_e32 v2, 0x80000000, v2
	v_or3_b32 v28, v3, v2, v1
	buffer_store_dword v28, off, s[0:3], s32 offset:384 ; 4-byte Folded Spill
	buffer_store_dword v29, off, s[0:3], s32 offset:388 ; 4-byte Folded Spill
.LBB233_185:                            ;   in Loop: Header=BB233_16 Depth=1
	s_or_b32 exec_lo, exec_lo, s25
.LBB233_186:                            ;   in Loop: Header=BB233_16 Depth=1
	s_or_b32 exec_lo, exec_lo, s24
.LBB233_187:                            ;   in Loop: Header=BB233_16 Depth=1
	s_or_b32 exec_lo, exec_lo, s23
	v_cmp_ne_u16_sdwa s5, v0, v29 src0_sel:BYTE_1 src1_sel:DWORD
	s_and_saveexec_b32 s23, s5
	s_cbranch_execz .LBB233_195
; %bb.188:                              ;   in Loop: Header=BB233_16 Depth=1
	v_mov_b32_e32 v45, v29
	v_cmp_ne_u16_sdwa s5, v0, v121 src0_sel:BYTE_1 src1_sel:DWORD
	buffer_store_dword v45, off, s[0:3], s32 offset:392 ; 4-byte Folded Spill
	buffer_store_dword v46, off, s[0:3], s32 offset:396 ; 4-byte Folded Spill
	s_and_saveexec_b32 s24, s5
	s_cbranch_execz .LBB233_194
; %bb.189:                              ;   in Loop: Header=BB233_16 Depth=1
	v_mov_b32_e32 v1, 0xffff
	v_mov_b32_e32 v116, v29
	s_mov_b32 s25, exec_lo
	buffer_store_dword v116, off, s[0:3], s32 offset:392 ; 4-byte Folded Spill
	buffer_store_dword v117, off, s[0:3], s32 offset:396 ; 4-byte Folded Spill
	v_and_b32_sdwa v1, v1, v0 dst_sel:DWORD dst_unused:UNUSED_PAD src0_sel:DWORD src1_sel:BYTE_1
	v_and_b32_e32 v2, 0x7f, v1
	v_cmpx_ne_u32_e32 0x7f, v2
	s_cbranch_execz .LBB233_193
; %bb.190:                              ;   in Loop: Header=BB233_16 Depth=1
	v_and_b32_e32 v28, 7, v1
	v_lshrrev_b32_e32 v1, 3, v2
	s_mov_b32 s26, exec_lo
	v_cmpx_gt_u32_e32 8, v2
; %bb.191:                              ;   in Loop: Header=BB233_16 Depth=1
	v_ffbh_u32_e32 v1, v28
	v_min_u32_e32 v1, 32, v1
	v_subrev_nc_u32_e32 v2, 28, v1
	v_sub_nc_u32_e32 v1, 29, v1
	v_lshlrev_b64 v[2:3], v2, v[28:29]
	v_and_b32_e32 v28, 7, v2
; %bb.192:                              ;   in Loop: Header=BB233_16 Depth=1
	s_or_b32 exec_lo, exec_lo, s26
	v_lshlrev_b32_e32 v2, 16, v0
	v_lshlrev_b32_e32 v3, 20, v28
	v_lshl_add_u32 v1, v1, 23, 0x3c000000
	v_and_b32_e32 v2, 0x80000000, v2
	v_or3_b32 v2, v3, v2, v1
	v_mov_b32_e32 v1, v29
	buffer_store_dword v1, off, s[0:3], s32 offset:392 ; 4-byte Folded Spill
	buffer_store_dword v2, off, s[0:3], s32 offset:396 ; 4-byte Folded Spill
.LBB233_193:                            ;   in Loop: Header=BB233_16 Depth=1
	s_or_b32 exec_lo, exec_lo, s25
.LBB233_194:                            ;   in Loop: Header=BB233_16 Depth=1
	s_or_b32 exec_lo, exec_lo, s24
.LBB233_195:                            ;   in Loop: Header=BB233_16 Depth=1
	s_or_b32 exec_lo, exec_lo, s23
	v_mov_b32_e32 v2, 0
	v_mov_b32_e32 v3, 0
	v_and_b32_sdwa v1, v0, v60 dst_sel:DWORD dst_unused:UNUSED_PAD src0_sel:WORD_1 src1_sel:DWORD
	s_mov_b32 s23, exec_lo
	buffer_store_dword v2, off, s[0:3], s32 offset:400 ; 4-byte Folded Spill
	buffer_store_dword v3, off, s[0:3], s32 offset:404 ; 4-byte Folded Spill
	v_mov_b32_e32 v2, 0
	v_mov_b32_e32 v3, 0
	buffer_store_dword v2, off, s[0:3], s32 offset:408 ; 4-byte Folded Spill
	buffer_store_dword v3, off, s[0:3], s32 offset:412 ; 4-byte Folded Spill
	v_cmpx_ne_u16_e32 0, v1
	s_cbranch_execz .LBB233_203
; %bb.196:                              ;   in Loop: Header=BB233_16 Depth=1
	v_cmp_ne_u16_e64 s5, 0x80, v1
	v_bfrev_b32_e32 v1, 1
	v_mov_b32_e32 v2, 0
	buffer_store_dword v1, off, s[0:3], s32 offset:408 ; 4-byte Folded Spill
	buffer_store_dword v2, off, s[0:3], s32 offset:412 ; 4-byte Folded Spill
	s_and_saveexec_b32 s24, s5
	s_cbranch_execz .LBB233_202
; %bb.197:                              ;   in Loop: Header=BB233_16 Depth=1
	v_mov_b32_e32 v3, 0x7f800001
	v_bfe_u32 v2, v0, 16, 7
	v_mov_b32_e32 v4, 0
	s_mov_b32 s25, exec_lo
	buffer_store_dword v3, off, s[0:3], s32 offset:408 ; 4-byte Folded Spill
	buffer_store_dword v4, off, s[0:3], s32 offset:412 ; 4-byte Folded Spill
	v_cmpx_ne_u32_e32 0x7f, v2
	s_cbranch_execz .LBB233_201
; %bb.198:                              ;   in Loop: Header=BB233_16 Depth=1
	v_mov_b32_e32 v1, 7
	s_mov_b32 s26, exec_lo
	v_and_b32_sdwa v28, v0, v1 dst_sel:DWORD dst_unused:UNUSED_PAD src0_sel:WORD_1 src1_sel:DWORD
	v_lshrrev_b32_e32 v1, 3, v2
	v_cmpx_gt_u32_e32 8, v2
; %bb.199:                              ;   in Loop: Header=BB233_16 Depth=1
	v_ffbh_u32_e32 v1, v28
	v_min_u32_e32 v1, 32, v1
	v_subrev_nc_u32_e32 v2, 28, v1
	v_sub_nc_u32_e32 v1, 29, v1
	v_lshlrev_b64 v[2:3], v2, v[28:29]
	v_and_b32_e32 v28, 7, v2
; %bb.200:                              ;   in Loop: Header=BB233_16 Depth=1
	s_or_b32 exec_lo, exec_lo, s26
	v_mov_b32_e32 v2, 24
	v_lshlrev_b32_e32 v3, 20, v28
	v_lshl_add_u32 v1, v1, 23, 0x3c000000
	v_lshlrev_b32_sdwa v2, v2, v0 dst_sel:DWORD dst_unused:UNUSED_PAD src0_sel:DWORD src1_sel:WORD_1
	v_and_b32_e32 v2, 0x80000000, v2
	v_or3_b32 v28, v3, v2, v1
	buffer_store_dword v28, off, s[0:3], s32 offset:408 ; 4-byte Folded Spill
	buffer_store_dword v29, off, s[0:3], s32 offset:412 ; 4-byte Folded Spill
.LBB233_201:                            ;   in Loop: Header=BB233_16 Depth=1
	s_or_b32 exec_lo, exec_lo, s25
.LBB233_202:                            ;   in Loop: Header=BB233_16 Depth=1
	s_or_b32 exec_lo, exec_lo, s24
.LBB233_203:                            ;   in Loop: Header=BB233_16 Depth=1
	s_or_b32 exec_lo, exec_lo, s23
	s_mov_b32 s23, exec_lo
	v_cmpx_lt_u32_e32 0xffffff, v0
	s_cbranch_execz .LBB233_211
; %bb.204:                              ;   in Loop: Header=BB233_16 Depth=1
	v_mov_b32_e32 v45, v29
	v_cmp_ne_u32_sdwa s5, v0, v121 src0_sel:BYTE_3 src1_sel:DWORD
	buffer_store_dword v45, off, s[0:3], s32 offset:400 ; 4-byte Folded Spill
	buffer_store_dword v46, off, s[0:3], s32 offset:404 ; 4-byte Folded Spill
	s_and_saveexec_b32 s24, s5
	s_cbranch_execz .LBB233_210
; %bb.205:                              ;   in Loop: Header=BB233_16 Depth=1
	v_bfe_u32 v2, v0, 24, 7
	v_mov_b32_e32 v116, v29
	s_mov_b32 s25, exec_lo
	buffer_store_dword v116, off, s[0:3], s32 offset:400 ; 4-byte Folded Spill
	buffer_store_dword v117, off, s[0:3], s32 offset:404 ; 4-byte Folded Spill
	v_cmpx_ne_u32_e32 0x7f, v2
	s_cbranch_execz .LBB233_209
; %bb.206:                              ;   in Loop: Header=BB233_16 Depth=1
	v_mov_b32_e32 v1, 7
	s_mov_b32 s26, exec_lo
	v_and_b32_sdwa v28, v0, v1 dst_sel:DWORD dst_unused:UNUSED_PAD src0_sel:BYTE_3 src1_sel:DWORD
	v_lshrrev_b32_e32 v1, 3, v2
	v_cmpx_gt_u32_e32 8, v2
; %bb.207:                              ;   in Loop: Header=BB233_16 Depth=1
	v_ffbh_u32_e32 v1, v28
	v_min_u32_e32 v1, 32, v1
	v_subrev_nc_u32_e32 v2, 28, v1
	v_sub_nc_u32_e32 v1, 29, v1
	v_lshlrev_b64 v[2:3], v2, v[28:29]
	v_and_b32_e32 v28, 7, v2
; %bb.208:                              ;   in Loop: Header=BB233_16 Depth=1
	s_or_b32 exec_lo, exec_lo, s26
	v_mov_b32_e32 v2, 24
	v_lshl_add_u32 v1, v1, 23, 0x3c000000
	v_lshlrev_b32_sdwa v0, v2, v0 dst_sel:DWORD dst_unused:UNUSED_PAD src0_sel:DWORD src1_sel:BYTE_3
	v_lshlrev_b32_e32 v2, 20, v28
	v_and_b32_e32 v0, 0x80000000, v0
	v_or3_b32 v1, v2, v0, v1
	v_mov_b32_e32 v0, v29
	buffer_store_dword v0, off, s[0:3], s32 offset:400 ; 4-byte Folded Spill
	buffer_store_dword v1, off, s[0:3], s32 offset:404 ; 4-byte Folded Spill
.LBB233_209:                            ;   in Loop: Header=BB233_16 Depth=1
	s_or_b32 exec_lo, exec_lo, s25
.LBB233_210:                            ;   in Loop: Header=BB233_16 Depth=1
	s_or_b32 exec_lo, exec_lo, s24
.LBB233_211:                            ;   in Loop: Header=BB233_16 Depth=1
	s_or_b32 exec_lo, exec_lo, s23
	flat_load_dword v0, v[118:119] offset:520
	v_mov_b32_e32 v1, 0
	v_mov_b32_e32 v2, 0
	buffer_store_dword v1, off, s[0:3], s32 offset:424 ; 4-byte Folded Spill
	buffer_store_dword v2, off, s[0:3], s32 offset:428 ; 4-byte Folded Spill
	v_mov_b32_e32 v1, 0
	v_mov_b32_e32 v2, 0
	buffer_store_dword v1, off, s[0:3], s32 offset:416 ; 4-byte Folded Spill
	buffer_store_dword v2, off, s[0:3], s32 offset:420 ; 4-byte Folded Spill
	s_waitcnt vmcnt(0) lgkmcnt(0)
	v_cmp_ne_u16_sdwa s5, v0, v29 src0_sel:BYTE_0 src1_sel:DWORD
	s_and_saveexec_b32 s23, s5
	s_cbranch_execz .LBB233_219
; %bb.212:                              ;   in Loop: Header=BB233_16 Depth=1
	v_bfrev_b32_e32 v1, 1
	v_mov_b32_e32 v2, 0
	v_cmp_ne_u16_sdwa s5, v0, v121 src0_sel:BYTE_0 src1_sel:DWORD
	buffer_store_dword v1, off, s[0:3], s32 offset:416 ; 4-byte Folded Spill
	buffer_store_dword v2, off, s[0:3], s32 offset:420 ; 4-byte Folded Spill
	s_and_saveexec_b32 s24, s5
	s_cbranch_execz .LBB233_218
; %bb.213:                              ;   in Loop: Header=BB233_16 Depth=1
	v_mov_b32_e32 v3, 0x7f800001
	v_and_b32_e32 v2, 0x7f, v0
	v_mov_b32_e32 v4, 0
	s_mov_b32 s25, exec_lo
	buffer_store_dword v3, off, s[0:3], s32 offset:416 ; 4-byte Folded Spill
	buffer_store_dword v4, off, s[0:3], s32 offset:420 ; 4-byte Folded Spill
	v_cmpx_ne_u32_e32 0x7f, v2
	s_cbranch_execz .LBB233_217
; %bb.214:                              ;   in Loop: Header=BB233_16 Depth=1
	v_and_b32_e32 v28, 7, v0
	v_lshrrev_b32_e32 v1, 3, v2
	s_mov_b32 s26, exec_lo
	v_cmpx_gt_u32_e32 8, v2
; %bb.215:                              ;   in Loop: Header=BB233_16 Depth=1
	v_ffbh_u32_e32 v1, v28
	v_min_u32_e32 v1, 32, v1
	v_subrev_nc_u32_e32 v2, 28, v1
	v_sub_nc_u32_e32 v1, 29, v1
	v_lshlrev_b64 v[2:3], v2, v[28:29]
	v_and_b32_e32 v28, 7, v2
; %bb.216:                              ;   in Loop: Header=BB233_16 Depth=1
	s_or_b32 exec_lo, exec_lo, s26
	v_lshlrev_b32_e32 v2, 24, v0
	v_lshlrev_b32_e32 v3, 20, v28
	v_lshl_add_u32 v1, v1, 23, 0x3c000000
	v_and_b32_e32 v2, 0x80000000, v2
	v_or3_b32 v28, v3, v2, v1
	buffer_store_dword v28, off, s[0:3], s32 offset:416 ; 4-byte Folded Spill
	buffer_store_dword v29, off, s[0:3], s32 offset:420 ; 4-byte Folded Spill
.LBB233_217:                            ;   in Loop: Header=BB233_16 Depth=1
	s_or_b32 exec_lo, exec_lo, s25
.LBB233_218:                            ;   in Loop: Header=BB233_16 Depth=1
	s_or_b32 exec_lo, exec_lo, s24
.LBB233_219:                            ;   in Loop: Header=BB233_16 Depth=1
	s_or_b32 exec_lo, exec_lo, s23
	v_cmp_ne_u16_sdwa s5, v0, v29 src0_sel:BYTE_1 src1_sel:DWORD
	s_and_saveexec_b32 s23, s5
	s_cbranch_execz .LBB233_227
; %bb.220:                              ;   in Loop: Header=BB233_16 Depth=1
	v_mov_b32_e32 v45, v29
	v_cmp_ne_u16_sdwa s5, v0, v121 src0_sel:BYTE_1 src1_sel:DWORD
	buffer_store_dword v45, off, s[0:3], s32 offset:424 ; 4-byte Folded Spill
	buffer_store_dword v46, off, s[0:3], s32 offset:428 ; 4-byte Folded Spill
	s_and_saveexec_b32 s24, s5
	s_cbranch_execz .LBB233_226
; %bb.221:                              ;   in Loop: Header=BB233_16 Depth=1
	v_mov_b32_e32 v1, 0xffff
	v_mov_b32_e32 v116, v29
	s_mov_b32 s25, exec_lo
	buffer_store_dword v116, off, s[0:3], s32 offset:424 ; 4-byte Folded Spill
	buffer_store_dword v117, off, s[0:3], s32 offset:428 ; 4-byte Folded Spill
	v_and_b32_sdwa v1, v1, v0 dst_sel:DWORD dst_unused:UNUSED_PAD src0_sel:DWORD src1_sel:BYTE_1
	v_and_b32_e32 v2, 0x7f, v1
	v_cmpx_ne_u32_e32 0x7f, v2
	s_cbranch_execz .LBB233_225
; %bb.222:                              ;   in Loop: Header=BB233_16 Depth=1
	v_and_b32_e32 v28, 7, v1
	v_lshrrev_b32_e32 v1, 3, v2
	s_mov_b32 s26, exec_lo
	v_cmpx_gt_u32_e32 8, v2
; %bb.223:                              ;   in Loop: Header=BB233_16 Depth=1
	v_ffbh_u32_e32 v1, v28
	v_min_u32_e32 v1, 32, v1
	v_subrev_nc_u32_e32 v2, 28, v1
	v_sub_nc_u32_e32 v1, 29, v1
	v_lshlrev_b64 v[2:3], v2, v[28:29]
	v_and_b32_e32 v28, 7, v2
; %bb.224:                              ;   in Loop: Header=BB233_16 Depth=1
	s_or_b32 exec_lo, exec_lo, s26
	v_lshlrev_b32_e32 v2, 16, v0
	v_lshlrev_b32_e32 v3, 20, v28
	v_lshl_add_u32 v1, v1, 23, 0x3c000000
	v_and_b32_e32 v2, 0x80000000, v2
	v_or3_b32 v2, v3, v2, v1
	v_mov_b32_e32 v1, v29
	buffer_store_dword v1, off, s[0:3], s32 offset:424 ; 4-byte Folded Spill
	buffer_store_dword v2, off, s[0:3], s32 offset:428 ; 4-byte Folded Spill
.LBB233_225:                            ;   in Loop: Header=BB233_16 Depth=1
	s_or_b32 exec_lo, exec_lo, s25
.LBB233_226:                            ;   in Loop: Header=BB233_16 Depth=1
	s_or_b32 exec_lo, exec_lo, s24
.LBB233_227:                            ;   in Loop: Header=BB233_16 Depth=1
	s_or_b32 exec_lo, exec_lo, s23
	v_mov_b32_e32 v2, 0
	v_mov_b32_e32 v3, 0
	v_and_b32_sdwa v1, v0, v60 dst_sel:DWORD dst_unused:UNUSED_PAD src0_sel:WORD_1 src1_sel:DWORD
	s_mov_b32 s23, exec_lo
	buffer_store_dword v2, off, s[0:3], s32 offset:432 ; 4-byte Folded Spill
	buffer_store_dword v3, off, s[0:3], s32 offset:436 ; 4-byte Folded Spill
	v_mov_b32_e32 v2, 0
	v_mov_b32_e32 v3, 0
	buffer_store_dword v2, off, s[0:3], s32 offset:440 ; 4-byte Folded Spill
	buffer_store_dword v3, off, s[0:3], s32 offset:444 ; 4-byte Folded Spill
	v_cmpx_ne_u16_e32 0, v1
	s_cbranch_execz .LBB233_235
; %bb.228:                              ;   in Loop: Header=BB233_16 Depth=1
	v_cmp_ne_u16_e64 s5, 0x80, v1
	v_bfrev_b32_e32 v1, 1
	v_mov_b32_e32 v2, 0
	buffer_store_dword v1, off, s[0:3], s32 offset:440 ; 4-byte Folded Spill
	buffer_store_dword v2, off, s[0:3], s32 offset:444 ; 4-byte Folded Spill
	s_and_saveexec_b32 s24, s5
	s_cbranch_execz .LBB233_234
; %bb.229:                              ;   in Loop: Header=BB233_16 Depth=1
	v_mov_b32_e32 v3, 0x7f800001
	v_bfe_u32 v2, v0, 16, 7
	v_mov_b32_e32 v4, 0
	s_mov_b32 s25, exec_lo
	buffer_store_dword v3, off, s[0:3], s32 offset:440 ; 4-byte Folded Spill
	buffer_store_dword v4, off, s[0:3], s32 offset:444 ; 4-byte Folded Spill
	v_cmpx_ne_u32_e32 0x7f, v2
	s_cbranch_execz .LBB233_233
; %bb.230:                              ;   in Loop: Header=BB233_16 Depth=1
	v_mov_b32_e32 v1, 7
	s_mov_b32 s26, exec_lo
	v_and_b32_sdwa v28, v0, v1 dst_sel:DWORD dst_unused:UNUSED_PAD src0_sel:WORD_1 src1_sel:DWORD
	v_lshrrev_b32_e32 v1, 3, v2
	v_cmpx_gt_u32_e32 8, v2
; %bb.231:                              ;   in Loop: Header=BB233_16 Depth=1
	v_ffbh_u32_e32 v1, v28
	v_min_u32_e32 v1, 32, v1
	v_subrev_nc_u32_e32 v2, 28, v1
	v_sub_nc_u32_e32 v1, 29, v1
	v_lshlrev_b64 v[2:3], v2, v[28:29]
	v_and_b32_e32 v28, 7, v2
; %bb.232:                              ;   in Loop: Header=BB233_16 Depth=1
	s_or_b32 exec_lo, exec_lo, s26
	v_mov_b32_e32 v2, 24
	v_lshlrev_b32_e32 v3, 20, v28
	v_lshl_add_u32 v1, v1, 23, 0x3c000000
	v_lshlrev_b32_sdwa v2, v2, v0 dst_sel:DWORD dst_unused:UNUSED_PAD src0_sel:DWORD src1_sel:WORD_1
	v_and_b32_e32 v2, 0x80000000, v2
	v_or3_b32 v28, v3, v2, v1
	buffer_store_dword v28, off, s[0:3], s32 offset:440 ; 4-byte Folded Spill
	buffer_store_dword v29, off, s[0:3], s32 offset:444 ; 4-byte Folded Spill
.LBB233_233:                            ;   in Loop: Header=BB233_16 Depth=1
	s_or_b32 exec_lo, exec_lo, s25
.LBB233_234:                            ;   in Loop: Header=BB233_16 Depth=1
	s_or_b32 exec_lo, exec_lo, s24
.LBB233_235:                            ;   in Loop: Header=BB233_16 Depth=1
	s_or_b32 exec_lo, exec_lo, s23
	s_mov_b32 s23, exec_lo
	v_cmpx_lt_u32_e32 0xffffff, v0
	s_cbranch_execz .LBB233_243
; %bb.236:                              ;   in Loop: Header=BB233_16 Depth=1
	v_mov_b32_e32 v45, v29
	v_cmp_ne_u32_sdwa s5, v0, v121 src0_sel:BYTE_3 src1_sel:DWORD
	buffer_store_dword v45, off, s[0:3], s32 offset:432 ; 4-byte Folded Spill
	buffer_store_dword v46, off, s[0:3], s32 offset:436 ; 4-byte Folded Spill
	s_and_saveexec_b32 s24, s5
	s_cbranch_execz .LBB233_242
; %bb.237:                              ;   in Loop: Header=BB233_16 Depth=1
	v_bfe_u32 v2, v0, 24, 7
	v_mov_b32_e32 v116, v29
	s_mov_b32 s25, exec_lo
	buffer_store_dword v116, off, s[0:3], s32 offset:432 ; 4-byte Folded Spill
	buffer_store_dword v117, off, s[0:3], s32 offset:436 ; 4-byte Folded Spill
	v_cmpx_ne_u32_e32 0x7f, v2
	s_cbranch_execz .LBB233_241
; %bb.238:                              ;   in Loop: Header=BB233_16 Depth=1
	v_mov_b32_e32 v1, 7
	s_mov_b32 s26, exec_lo
	v_and_b32_sdwa v28, v0, v1 dst_sel:DWORD dst_unused:UNUSED_PAD src0_sel:BYTE_3 src1_sel:DWORD
	v_lshrrev_b32_e32 v1, 3, v2
	v_cmpx_gt_u32_e32 8, v2
; %bb.239:                              ;   in Loop: Header=BB233_16 Depth=1
	v_ffbh_u32_e32 v1, v28
	v_min_u32_e32 v1, 32, v1
	v_subrev_nc_u32_e32 v2, 28, v1
	v_sub_nc_u32_e32 v1, 29, v1
	v_lshlrev_b64 v[2:3], v2, v[28:29]
	v_and_b32_e32 v28, 7, v2
; %bb.240:                              ;   in Loop: Header=BB233_16 Depth=1
	s_or_b32 exec_lo, exec_lo, s26
	v_mov_b32_e32 v2, 24
	v_lshl_add_u32 v1, v1, 23, 0x3c000000
	v_lshlrev_b32_sdwa v0, v2, v0 dst_sel:DWORD dst_unused:UNUSED_PAD src0_sel:DWORD src1_sel:BYTE_3
	v_lshlrev_b32_e32 v2, 20, v28
	v_and_b32_e32 v0, 0x80000000, v0
	v_or3_b32 v1, v2, v0, v1
	v_mov_b32_e32 v0, v29
	buffer_store_dword v0, off, s[0:3], s32 offset:432 ; 4-byte Folded Spill
	buffer_store_dword v1, off, s[0:3], s32 offset:436 ; 4-byte Folded Spill
.LBB233_241:                            ;   in Loop: Header=BB233_16 Depth=1
	s_or_b32 exec_lo, exec_lo, s25
.LBB233_242:                            ;   in Loop: Header=BB233_16 Depth=1
	s_or_b32 exec_lo, exec_lo, s24
.LBB233_243:                            ;   in Loop: Header=BB233_16 Depth=1
	s_or_b32 exec_lo, exec_lo, s23
	flat_load_dword v0, v[118:119] offset:524
	v_mov_b32_e32 v1, 0
	v_mov_b32_e32 v2, 0
	buffer_store_dword v1, off, s[0:3], s32 offset:456 ; 4-byte Folded Spill
	buffer_store_dword v2, off, s[0:3], s32 offset:460 ; 4-byte Folded Spill
	v_mov_b32_e32 v1, 0
	v_mov_b32_e32 v2, 0
	buffer_store_dword v1, off, s[0:3], s32 offset:448 ; 4-byte Folded Spill
	buffer_store_dword v2, off, s[0:3], s32 offset:452 ; 4-byte Folded Spill
	s_waitcnt vmcnt(0) lgkmcnt(0)
	v_cmp_ne_u16_sdwa s5, v0, v29 src0_sel:BYTE_0 src1_sel:DWORD
	s_and_saveexec_b32 s23, s5
	s_cbranch_execz .LBB233_251
; %bb.244:                              ;   in Loop: Header=BB233_16 Depth=1
	v_bfrev_b32_e32 v1, 1
	v_mov_b32_e32 v2, 0
	v_cmp_ne_u16_sdwa s5, v0, v121 src0_sel:BYTE_0 src1_sel:DWORD
	buffer_store_dword v1, off, s[0:3], s32 offset:448 ; 4-byte Folded Spill
	buffer_store_dword v2, off, s[0:3], s32 offset:452 ; 4-byte Folded Spill
	s_and_saveexec_b32 s24, s5
	s_cbranch_execz .LBB233_250
; %bb.245:                              ;   in Loop: Header=BB233_16 Depth=1
	v_mov_b32_e32 v3, 0x7f800001
	v_and_b32_e32 v2, 0x7f, v0
	v_mov_b32_e32 v4, 0
	s_mov_b32 s25, exec_lo
	buffer_store_dword v3, off, s[0:3], s32 offset:448 ; 4-byte Folded Spill
	buffer_store_dword v4, off, s[0:3], s32 offset:452 ; 4-byte Folded Spill
	v_cmpx_ne_u32_e32 0x7f, v2
	s_cbranch_execz .LBB233_249
; %bb.246:                              ;   in Loop: Header=BB233_16 Depth=1
	v_and_b32_e32 v28, 7, v0
	v_lshrrev_b32_e32 v1, 3, v2
	s_mov_b32 s26, exec_lo
	v_cmpx_gt_u32_e32 8, v2
; %bb.247:                              ;   in Loop: Header=BB233_16 Depth=1
	v_ffbh_u32_e32 v1, v28
	v_min_u32_e32 v1, 32, v1
	v_subrev_nc_u32_e32 v2, 28, v1
	v_sub_nc_u32_e32 v1, 29, v1
	v_lshlrev_b64 v[2:3], v2, v[28:29]
	v_and_b32_e32 v28, 7, v2
; %bb.248:                              ;   in Loop: Header=BB233_16 Depth=1
	s_or_b32 exec_lo, exec_lo, s26
	v_lshlrev_b32_e32 v2, 24, v0
	v_lshlrev_b32_e32 v3, 20, v28
	v_lshl_add_u32 v1, v1, 23, 0x3c000000
	v_and_b32_e32 v2, 0x80000000, v2
	v_or3_b32 v28, v3, v2, v1
	buffer_store_dword v28, off, s[0:3], s32 offset:448 ; 4-byte Folded Spill
	buffer_store_dword v29, off, s[0:3], s32 offset:452 ; 4-byte Folded Spill
.LBB233_249:                            ;   in Loop: Header=BB233_16 Depth=1
	s_or_b32 exec_lo, exec_lo, s25
.LBB233_250:                            ;   in Loop: Header=BB233_16 Depth=1
	s_or_b32 exec_lo, exec_lo, s24
.LBB233_251:                            ;   in Loop: Header=BB233_16 Depth=1
	s_or_b32 exec_lo, exec_lo, s23
	v_cmp_ne_u16_sdwa s5, v0, v29 src0_sel:BYTE_1 src1_sel:DWORD
	s_and_saveexec_b32 s23, s5
	s_cbranch_execz .LBB233_259
; %bb.252:                              ;   in Loop: Header=BB233_16 Depth=1
	v_mov_b32_e32 v45, v29
	v_cmp_ne_u16_sdwa s5, v0, v121 src0_sel:BYTE_1 src1_sel:DWORD
	buffer_store_dword v45, off, s[0:3], s32 offset:456 ; 4-byte Folded Spill
	buffer_store_dword v46, off, s[0:3], s32 offset:460 ; 4-byte Folded Spill
	s_and_saveexec_b32 s24, s5
	s_cbranch_execz .LBB233_258
; %bb.253:                              ;   in Loop: Header=BB233_16 Depth=1
	v_mov_b32_e32 v1, 0xffff
	v_mov_b32_e32 v116, v29
	s_mov_b32 s25, exec_lo
	buffer_store_dword v116, off, s[0:3], s32 offset:456 ; 4-byte Folded Spill
	buffer_store_dword v117, off, s[0:3], s32 offset:460 ; 4-byte Folded Spill
	v_and_b32_sdwa v1, v1, v0 dst_sel:DWORD dst_unused:UNUSED_PAD src0_sel:DWORD src1_sel:BYTE_1
	v_and_b32_e32 v2, 0x7f, v1
	v_cmpx_ne_u32_e32 0x7f, v2
	s_cbranch_execz .LBB233_257
; %bb.254:                              ;   in Loop: Header=BB233_16 Depth=1
	v_and_b32_e32 v28, 7, v1
	v_lshrrev_b32_e32 v1, 3, v2
	s_mov_b32 s26, exec_lo
	v_cmpx_gt_u32_e32 8, v2
; %bb.255:                              ;   in Loop: Header=BB233_16 Depth=1
	v_ffbh_u32_e32 v1, v28
	v_min_u32_e32 v1, 32, v1
	v_subrev_nc_u32_e32 v2, 28, v1
	v_sub_nc_u32_e32 v1, 29, v1
	v_lshlrev_b64 v[2:3], v2, v[28:29]
	v_and_b32_e32 v28, 7, v2
; %bb.256:                              ;   in Loop: Header=BB233_16 Depth=1
	s_or_b32 exec_lo, exec_lo, s26
	v_lshlrev_b32_e32 v2, 16, v0
	v_lshlrev_b32_e32 v3, 20, v28
	v_lshl_add_u32 v1, v1, 23, 0x3c000000
	v_and_b32_e32 v2, 0x80000000, v2
	v_or3_b32 v2, v3, v2, v1
	v_mov_b32_e32 v1, v29
	buffer_store_dword v1, off, s[0:3], s32 offset:456 ; 4-byte Folded Spill
	buffer_store_dword v2, off, s[0:3], s32 offset:460 ; 4-byte Folded Spill
.LBB233_257:                            ;   in Loop: Header=BB233_16 Depth=1
	s_or_b32 exec_lo, exec_lo, s25
.LBB233_258:                            ;   in Loop: Header=BB233_16 Depth=1
	s_or_b32 exec_lo, exec_lo, s24
.LBB233_259:                            ;   in Loop: Header=BB233_16 Depth=1
	s_or_b32 exec_lo, exec_lo, s23
	v_mov_b32_e32 v2, 0
	v_mov_b32_e32 v3, 0
	v_and_b32_sdwa v1, v0, v60 dst_sel:DWORD dst_unused:UNUSED_PAD src0_sel:WORD_1 src1_sel:DWORD
	s_mov_b32 s23, exec_lo
	buffer_store_dword v2, off, s[0:3], s32 offset:464 ; 4-byte Folded Spill
	buffer_store_dword v3, off, s[0:3], s32 offset:468 ; 4-byte Folded Spill
	v_mov_b32_e32 v2, 0
	v_mov_b32_e32 v3, 0
	buffer_store_dword v2, off, s[0:3], s32 offset:472 ; 4-byte Folded Spill
	buffer_store_dword v3, off, s[0:3], s32 offset:476 ; 4-byte Folded Spill
	v_cmpx_ne_u16_e32 0, v1
	s_cbranch_execz .LBB233_267
; %bb.260:                              ;   in Loop: Header=BB233_16 Depth=1
	v_cmp_ne_u16_e64 s5, 0x80, v1
	v_bfrev_b32_e32 v1, 1
	v_mov_b32_e32 v2, 0
	buffer_store_dword v1, off, s[0:3], s32 offset:472 ; 4-byte Folded Spill
	buffer_store_dword v2, off, s[0:3], s32 offset:476 ; 4-byte Folded Spill
	s_and_saveexec_b32 s24, s5
	s_cbranch_execz .LBB233_266
; %bb.261:                              ;   in Loop: Header=BB233_16 Depth=1
	v_mov_b32_e32 v3, 0x7f800001
	v_bfe_u32 v2, v0, 16, 7
	v_mov_b32_e32 v4, 0
	s_mov_b32 s25, exec_lo
	buffer_store_dword v3, off, s[0:3], s32 offset:472 ; 4-byte Folded Spill
	buffer_store_dword v4, off, s[0:3], s32 offset:476 ; 4-byte Folded Spill
	v_cmpx_ne_u32_e32 0x7f, v2
	s_cbranch_execz .LBB233_265
; %bb.262:                              ;   in Loop: Header=BB233_16 Depth=1
	v_mov_b32_e32 v1, 7
	s_mov_b32 s26, exec_lo
	v_and_b32_sdwa v28, v0, v1 dst_sel:DWORD dst_unused:UNUSED_PAD src0_sel:WORD_1 src1_sel:DWORD
	v_lshrrev_b32_e32 v1, 3, v2
	v_cmpx_gt_u32_e32 8, v2
; %bb.263:                              ;   in Loop: Header=BB233_16 Depth=1
	v_ffbh_u32_e32 v1, v28
	v_min_u32_e32 v1, 32, v1
	v_subrev_nc_u32_e32 v2, 28, v1
	v_sub_nc_u32_e32 v1, 29, v1
	v_lshlrev_b64 v[2:3], v2, v[28:29]
	v_and_b32_e32 v28, 7, v2
; %bb.264:                              ;   in Loop: Header=BB233_16 Depth=1
	s_or_b32 exec_lo, exec_lo, s26
	v_mov_b32_e32 v2, 24
	v_lshlrev_b32_e32 v3, 20, v28
	v_lshl_add_u32 v1, v1, 23, 0x3c000000
	v_lshlrev_b32_sdwa v2, v2, v0 dst_sel:DWORD dst_unused:UNUSED_PAD src0_sel:DWORD src1_sel:WORD_1
	v_and_b32_e32 v2, 0x80000000, v2
	v_or3_b32 v28, v3, v2, v1
	buffer_store_dword v28, off, s[0:3], s32 offset:472 ; 4-byte Folded Spill
	buffer_store_dword v29, off, s[0:3], s32 offset:476 ; 4-byte Folded Spill
.LBB233_265:                            ;   in Loop: Header=BB233_16 Depth=1
	s_or_b32 exec_lo, exec_lo, s25
.LBB233_266:                            ;   in Loop: Header=BB233_16 Depth=1
	s_or_b32 exec_lo, exec_lo, s24
.LBB233_267:                            ;   in Loop: Header=BB233_16 Depth=1
	s_or_b32 exec_lo, exec_lo, s23
	s_mov_b32 s23, exec_lo
	v_cmpx_lt_u32_e32 0xffffff, v0
	s_cbranch_execz .LBB233_275
; %bb.268:                              ;   in Loop: Header=BB233_16 Depth=1
	v_mov_b32_e32 v45, v29
	v_cmp_ne_u32_sdwa s5, v0, v121 src0_sel:BYTE_3 src1_sel:DWORD
	buffer_store_dword v45, off, s[0:3], s32 offset:464 ; 4-byte Folded Spill
	buffer_store_dword v46, off, s[0:3], s32 offset:468 ; 4-byte Folded Spill
	s_and_saveexec_b32 s24, s5
	s_cbranch_execz .LBB233_274
; %bb.269:                              ;   in Loop: Header=BB233_16 Depth=1
	v_bfe_u32 v2, v0, 24, 7
	v_mov_b32_e32 v116, v29
	s_mov_b32 s25, exec_lo
	buffer_store_dword v116, off, s[0:3], s32 offset:464 ; 4-byte Folded Spill
	buffer_store_dword v117, off, s[0:3], s32 offset:468 ; 4-byte Folded Spill
	v_cmpx_ne_u32_e32 0x7f, v2
	s_cbranch_execz .LBB233_273
; %bb.270:                              ;   in Loop: Header=BB233_16 Depth=1
	v_mov_b32_e32 v1, 7
	s_mov_b32 s26, exec_lo
	v_and_b32_sdwa v28, v0, v1 dst_sel:DWORD dst_unused:UNUSED_PAD src0_sel:BYTE_3 src1_sel:DWORD
	v_lshrrev_b32_e32 v1, 3, v2
	v_cmpx_gt_u32_e32 8, v2
; %bb.271:                              ;   in Loop: Header=BB233_16 Depth=1
	v_ffbh_u32_e32 v1, v28
	v_min_u32_e32 v1, 32, v1
	v_subrev_nc_u32_e32 v2, 28, v1
	v_sub_nc_u32_e32 v1, 29, v1
	v_lshlrev_b64 v[2:3], v2, v[28:29]
	v_and_b32_e32 v28, 7, v2
; %bb.272:                              ;   in Loop: Header=BB233_16 Depth=1
	s_or_b32 exec_lo, exec_lo, s26
	v_mov_b32_e32 v2, 24
	v_lshl_add_u32 v1, v1, 23, 0x3c000000
	v_lshlrev_b32_sdwa v0, v2, v0 dst_sel:DWORD dst_unused:UNUSED_PAD src0_sel:DWORD src1_sel:BYTE_3
	v_lshlrev_b32_e32 v2, 20, v28
	v_and_b32_e32 v0, 0x80000000, v0
	v_or3_b32 v1, v2, v0, v1
	v_mov_b32_e32 v0, v29
	buffer_store_dword v0, off, s[0:3], s32 offset:464 ; 4-byte Folded Spill
	buffer_store_dword v1, off, s[0:3], s32 offset:468 ; 4-byte Folded Spill
.LBB233_273:                            ;   in Loop: Header=BB233_16 Depth=1
	s_or_b32 exec_lo, exec_lo, s25
.LBB233_274:                            ;   in Loop: Header=BB233_16 Depth=1
	s_or_b32 exec_lo, exec_lo, s24
.LBB233_275:                            ;   in Loop: Header=BB233_16 Depth=1
	s_or_b32 exec_lo, exec_lo, s23
	flat_load_dword v0, v[118:119] offset:1024
	v_mov_b32_e32 v1, 0
	v_mov_b32_e32 v2, 0
	buffer_store_dword v1, off, s[0:3], s32 offset:488 ; 4-byte Folded Spill
	buffer_store_dword v2, off, s[0:3], s32 offset:492 ; 4-byte Folded Spill
	v_mov_b32_e32 v1, 0
	v_mov_b32_e32 v2, 0
	buffer_store_dword v1, off, s[0:3], s32 offset:480 ; 4-byte Folded Spill
	buffer_store_dword v2, off, s[0:3], s32 offset:484 ; 4-byte Folded Spill
	s_waitcnt vmcnt(0) lgkmcnt(0)
	v_cmp_ne_u16_sdwa s5, v0, v29 src0_sel:BYTE_0 src1_sel:DWORD
	s_and_saveexec_b32 s23, s5
	s_cbranch_execz .LBB233_283
; %bb.276:                              ;   in Loop: Header=BB233_16 Depth=1
	v_bfrev_b32_e32 v1, 1
	v_mov_b32_e32 v2, 0
	v_cmp_ne_u16_sdwa s5, v0, v121 src0_sel:BYTE_0 src1_sel:DWORD
	buffer_store_dword v1, off, s[0:3], s32 offset:480 ; 4-byte Folded Spill
	buffer_store_dword v2, off, s[0:3], s32 offset:484 ; 4-byte Folded Spill
	s_and_saveexec_b32 s24, s5
	s_cbranch_execz .LBB233_282
; %bb.277:                              ;   in Loop: Header=BB233_16 Depth=1
	v_mov_b32_e32 v3, 0x7f800001
	v_and_b32_e32 v2, 0x7f, v0
	v_mov_b32_e32 v4, 0
	s_mov_b32 s25, exec_lo
	buffer_store_dword v3, off, s[0:3], s32 offset:480 ; 4-byte Folded Spill
	buffer_store_dword v4, off, s[0:3], s32 offset:484 ; 4-byte Folded Spill
	v_cmpx_ne_u32_e32 0x7f, v2
	s_cbranch_execz .LBB233_281
; %bb.278:                              ;   in Loop: Header=BB233_16 Depth=1
	v_and_b32_e32 v28, 7, v0
	v_lshrrev_b32_e32 v1, 3, v2
	s_mov_b32 s26, exec_lo
	v_cmpx_gt_u32_e32 8, v2
; %bb.279:                              ;   in Loop: Header=BB233_16 Depth=1
	v_ffbh_u32_e32 v1, v28
	v_min_u32_e32 v1, 32, v1
	v_subrev_nc_u32_e32 v2, 28, v1
	v_sub_nc_u32_e32 v1, 29, v1
	v_lshlrev_b64 v[2:3], v2, v[28:29]
	v_and_b32_e32 v28, 7, v2
; %bb.280:                              ;   in Loop: Header=BB233_16 Depth=1
	s_or_b32 exec_lo, exec_lo, s26
	v_lshlrev_b32_e32 v2, 24, v0
	v_lshlrev_b32_e32 v3, 20, v28
	v_lshl_add_u32 v1, v1, 23, 0x3c000000
	v_and_b32_e32 v2, 0x80000000, v2
	v_or3_b32 v28, v3, v2, v1
	buffer_store_dword v28, off, s[0:3], s32 offset:480 ; 4-byte Folded Spill
	buffer_store_dword v29, off, s[0:3], s32 offset:484 ; 4-byte Folded Spill
.LBB233_281:                            ;   in Loop: Header=BB233_16 Depth=1
	s_or_b32 exec_lo, exec_lo, s25
.LBB233_282:                            ;   in Loop: Header=BB233_16 Depth=1
	s_or_b32 exec_lo, exec_lo, s24
.LBB233_283:                            ;   in Loop: Header=BB233_16 Depth=1
	s_or_b32 exec_lo, exec_lo, s23
	v_cmp_ne_u16_sdwa s5, v0, v29 src0_sel:BYTE_1 src1_sel:DWORD
	s_and_saveexec_b32 s23, s5
	s_cbranch_execz .LBB233_291
; %bb.284:                              ;   in Loop: Header=BB233_16 Depth=1
	v_mov_b32_e32 v45, v29
	v_cmp_ne_u16_sdwa s5, v0, v121 src0_sel:BYTE_1 src1_sel:DWORD
	buffer_store_dword v45, off, s[0:3], s32 offset:488 ; 4-byte Folded Spill
	buffer_store_dword v46, off, s[0:3], s32 offset:492 ; 4-byte Folded Spill
	s_and_saveexec_b32 s24, s5
	s_cbranch_execz .LBB233_290
; %bb.285:                              ;   in Loop: Header=BB233_16 Depth=1
	v_mov_b32_e32 v1, 0xffff
	v_mov_b32_e32 v116, v29
	s_mov_b32 s25, exec_lo
	buffer_store_dword v116, off, s[0:3], s32 offset:488 ; 4-byte Folded Spill
	buffer_store_dword v117, off, s[0:3], s32 offset:492 ; 4-byte Folded Spill
	v_and_b32_sdwa v1, v1, v0 dst_sel:DWORD dst_unused:UNUSED_PAD src0_sel:DWORD src1_sel:BYTE_1
	v_and_b32_e32 v2, 0x7f, v1
	v_cmpx_ne_u32_e32 0x7f, v2
	s_cbranch_execz .LBB233_289
; %bb.286:                              ;   in Loop: Header=BB233_16 Depth=1
	v_and_b32_e32 v28, 7, v1
	v_lshrrev_b32_e32 v1, 3, v2
	s_mov_b32 s26, exec_lo
	v_cmpx_gt_u32_e32 8, v2
; %bb.287:                              ;   in Loop: Header=BB233_16 Depth=1
	v_ffbh_u32_e32 v1, v28
	v_min_u32_e32 v1, 32, v1
	v_subrev_nc_u32_e32 v2, 28, v1
	v_sub_nc_u32_e32 v1, 29, v1
	v_lshlrev_b64 v[2:3], v2, v[28:29]
	v_and_b32_e32 v28, 7, v2
; %bb.288:                              ;   in Loop: Header=BB233_16 Depth=1
	s_or_b32 exec_lo, exec_lo, s26
	v_lshlrev_b32_e32 v2, 16, v0
	v_lshlrev_b32_e32 v3, 20, v28
	v_lshl_add_u32 v1, v1, 23, 0x3c000000
	v_and_b32_e32 v2, 0x80000000, v2
	v_or3_b32 v2, v3, v2, v1
	v_mov_b32_e32 v1, v29
	buffer_store_dword v1, off, s[0:3], s32 offset:488 ; 4-byte Folded Spill
	buffer_store_dword v2, off, s[0:3], s32 offset:492 ; 4-byte Folded Spill
.LBB233_289:                            ;   in Loop: Header=BB233_16 Depth=1
	s_or_b32 exec_lo, exec_lo, s25
.LBB233_290:                            ;   in Loop: Header=BB233_16 Depth=1
	s_or_b32 exec_lo, exec_lo, s24
.LBB233_291:                            ;   in Loop: Header=BB233_16 Depth=1
	s_or_b32 exec_lo, exec_lo, s23
	v_mov_b32_e32 v2, 0
	v_mov_b32_e32 v3, 0
	v_and_b32_sdwa v1, v0, v60 dst_sel:DWORD dst_unused:UNUSED_PAD src0_sel:WORD_1 src1_sel:DWORD
	s_mov_b32 s23, exec_lo
	buffer_store_dword v2, off, s[0:3], s32 offset:496 ; 4-byte Folded Spill
	buffer_store_dword v3, off, s[0:3], s32 offset:500 ; 4-byte Folded Spill
	v_mov_b32_e32 v2, 0
	v_mov_b32_e32 v3, 0
	buffer_store_dword v2, off, s[0:3], s32 offset:504 ; 4-byte Folded Spill
	buffer_store_dword v3, off, s[0:3], s32 offset:508 ; 4-byte Folded Spill
	v_cmpx_ne_u16_e32 0, v1
	s_cbranch_execz .LBB233_299
; %bb.292:                              ;   in Loop: Header=BB233_16 Depth=1
	v_cmp_ne_u16_e64 s5, 0x80, v1
	v_bfrev_b32_e32 v1, 1
	v_mov_b32_e32 v2, 0
	buffer_store_dword v1, off, s[0:3], s32 offset:504 ; 4-byte Folded Spill
	buffer_store_dword v2, off, s[0:3], s32 offset:508 ; 4-byte Folded Spill
	s_and_saveexec_b32 s24, s5
	s_cbranch_execz .LBB233_298
; %bb.293:                              ;   in Loop: Header=BB233_16 Depth=1
	v_mov_b32_e32 v3, 0x7f800001
	v_bfe_u32 v2, v0, 16, 7
	v_mov_b32_e32 v4, 0
	s_mov_b32 s25, exec_lo
	buffer_store_dword v3, off, s[0:3], s32 offset:504 ; 4-byte Folded Spill
	buffer_store_dword v4, off, s[0:3], s32 offset:508 ; 4-byte Folded Spill
	v_cmpx_ne_u32_e32 0x7f, v2
	s_cbranch_execz .LBB233_297
; %bb.294:                              ;   in Loop: Header=BB233_16 Depth=1
	v_mov_b32_e32 v1, 7
	s_mov_b32 s26, exec_lo
	v_and_b32_sdwa v28, v0, v1 dst_sel:DWORD dst_unused:UNUSED_PAD src0_sel:WORD_1 src1_sel:DWORD
	v_lshrrev_b32_e32 v1, 3, v2
	v_cmpx_gt_u32_e32 8, v2
; %bb.295:                              ;   in Loop: Header=BB233_16 Depth=1
	v_ffbh_u32_e32 v1, v28
	v_min_u32_e32 v1, 32, v1
	v_subrev_nc_u32_e32 v2, 28, v1
	v_sub_nc_u32_e32 v1, 29, v1
	v_lshlrev_b64 v[2:3], v2, v[28:29]
	v_and_b32_e32 v28, 7, v2
; %bb.296:                              ;   in Loop: Header=BB233_16 Depth=1
	s_or_b32 exec_lo, exec_lo, s26
	v_mov_b32_e32 v2, 24
	v_lshlrev_b32_e32 v3, 20, v28
	v_lshl_add_u32 v1, v1, 23, 0x3c000000
	v_lshlrev_b32_sdwa v2, v2, v0 dst_sel:DWORD dst_unused:UNUSED_PAD src0_sel:DWORD src1_sel:WORD_1
	v_and_b32_e32 v2, 0x80000000, v2
	v_or3_b32 v28, v3, v2, v1
	buffer_store_dword v28, off, s[0:3], s32 offset:504 ; 4-byte Folded Spill
	buffer_store_dword v29, off, s[0:3], s32 offset:508 ; 4-byte Folded Spill
.LBB233_297:                            ;   in Loop: Header=BB233_16 Depth=1
	s_or_b32 exec_lo, exec_lo, s25
.LBB233_298:                            ;   in Loop: Header=BB233_16 Depth=1
	s_or_b32 exec_lo, exec_lo, s24
.LBB233_299:                            ;   in Loop: Header=BB233_16 Depth=1
	s_or_b32 exec_lo, exec_lo, s23
	s_mov_b32 s23, exec_lo
	v_cmpx_lt_u32_e32 0xffffff, v0
	s_cbranch_execz .LBB233_307
; %bb.300:                              ;   in Loop: Header=BB233_16 Depth=1
	v_mov_b32_e32 v45, v29
	v_cmp_ne_u32_sdwa s5, v0, v121 src0_sel:BYTE_3 src1_sel:DWORD
	buffer_store_dword v45, off, s[0:3], s32 offset:496 ; 4-byte Folded Spill
	buffer_store_dword v46, off, s[0:3], s32 offset:500 ; 4-byte Folded Spill
	s_and_saveexec_b32 s24, s5
	s_cbranch_execz .LBB233_306
; %bb.301:                              ;   in Loop: Header=BB233_16 Depth=1
	v_bfe_u32 v2, v0, 24, 7
	v_mov_b32_e32 v116, v29
	s_mov_b32 s25, exec_lo
	buffer_store_dword v116, off, s[0:3], s32 offset:496 ; 4-byte Folded Spill
	buffer_store_dword v117, off, s[0:3], s32 offset:500 ; 4-byte Folded Spill
	v_cmpx_ne_u32_e32 0x7f, v2
	s_cbranch_execz .LBB233_305
; %bb.302:                              ;   in Loop: Header=BB233_16 Depth=1
	v_mov_b32_e32 v1, 7
	s_mov_b32 s26, exec_lo
	v_and_b32_sdwa v28, v0, v1 dst_sel:DWORD dst_unused:UNUSED_PAD src0_sel:BYTE_3 src1_sel:DWORD
	v_lshrrev_b32_e32 v1, 3, v2
	v_cmpx_gt_u32_e32 8, v2
; %bb.303:                              ;   in Loop: Header=BB233_16 Depth=1
	v_ffbh_u32_e32 v1, v28
	v_min_u32_e32 v1, 32, v1
	v_subrev_nc_u32_e32 v2, 28, v1
	v_sub_nc_u32_e32 v1, 29, v1
	v_lshlrev_b64 v[2:3], v2, v[28:29]
	v_and_b32_e32 v28, 7, v2
; %bb.304:                              ;   in Loop: Header=BB233_16 Depth=1
	s_or_b32 exec_lo, exec_lo, s26
	v_mov_b32_e32 v2, 24
	v_lshl_add_u32 v1, v1, 23, 0x3c000000
	v_lshlrev_b32_sdwa v0, v2, v0 dst_sel:DWORD dst_unused:UNUSED_PAD src0_sel:DWORD src1_sel:BYTE_3
	v_lshlrev_b32_e32 v2, 20, v28
	v_and_b32_e32 v0, 0x80000000, v0
	v_or3_b32 v1, v2, v0, v1
	v_mov_b32_e32 v0, v29
	buffer_store_dword v0, off, s[0:3], s32 offset:496 ; 4-byte Folded Spill
	buffer_store_dword v1, off, s[0:3], s32 offset:500 ; 4-byte Folded Spill
.LBB233_305:                            ;   in Loop: Header=BB233_16 Depth=1
	s_or_b32 exec_lo, exec_lo, s25
.LBB233_306:                            ;   in Loop: Header=BB233_16 Depth=1
	s_or_b32 exec_lo, exec_lo, s24
.LBB233_307:                            ;   in Loop: Header=BB233_16 Depth=1
	s_or_b32 exec_lo, exec_lo, s23
	flat_load_dword v0, v[118:119] offset:1028
	v_mov_b32_e32 v1, 0
	v_mov_b32_e32 v2, 0
	buffer_store_dword v1, off, s[0:3], s32 offset:520 ; 4-byte Folded Spill
	buffer_store_dword v2, off, s[0:3], s32 offset:524 ; 4-byte Folded Spill
	v_mov_b32_e32 v1, 0
	v_mov_b32_e32 v2, 0
	buffer_store_dword v1, off, s[0:3], s32 offset:512 ; 4-byte Folded Spill
	buffer_store_dword v2, off, s[0:3], s32 offset:516 ; 4-byte Folded Spill
	s_waitcnt vmcnt(0) lgkmcnt(0)
	v_cmp_ne_u16_sdwa s5, v0, v29 src0_sel:BYTE_0 src1_sel:DWORD
	s_and_saveexec_b32 s23, s5
	s_cbranch_execz .LBB233_315
; %bb.308:                              ;   in Loop: Header=BB233_16 Depth=1
	v_bfrev_b32_e32 v1, 1
	v_mov_b32_e32 v2, 0
	v_cmp_ne_u16_sdwa s5, v0, v121 src0_sel:BYTE_0 src1_sel:DWORD
	buffer_store_dword v1, off, s[0:3], s32 offset:512 ; 4-byte Folded Spill
	buffer_store_dword v2, off, s[0:3], s32 offset:516 ; 4-byte Folded Spill
	s_and_saveexec_b32 s24, s5
	s_cbranch_execz .LBB233_314
; %bb.309:                              ;   in Loop: Header=BB233_16 Depth=1
	v_mov_b32_e32 v3, 0x7f800001
	v_and_b32_e32 v2, 0x7f, v0
	v_mov_b32_e32 v4, 0
	s_mov_b32 s25, exec_lo
	buffer_store_dword v3, off, s[0:3], s32 offset:512 ; 4-byte Folded Spill
	buffer_store_dword v4, off, s[0:3], s32 offset:516 ; 4-byte Folded Spill
	v_cmpx_ne_u32_e32 0x7f, v2
	s_cbranch_execz .LBB233_313
; %bb.310:                              ;   in Loop: Header=BB233_16 Depth=1
	v_and_b32_e32 v28, 7, v0
	v_lshrrev_b32_e32 v1, 3, v2
	s_mov_b32 s26, exec_lo
	v_cmpx_gt_u32_e32 8, v2
; %bb.311:                              ;   in Loop: Header=BB233_16 Depth=1
	v_ffbh_u32_e32 v1, v28
	v_min_u32_e32 v1, 32, v1
	v_subrev_nc_u32_e32 v2, 28, v1
	v_sub_nc_u32_e32 v1, 29, v1
	v_lshlrev_b64 v[2:3], v2, v[28:29]
	v_and_b32_e32 v28, 7, v2
; %bb.312:                              ;   in Loop: Header=BB233_16 Depth=1
	s_or_b32 exec_lo, exec_lo, s26
	v_lshlrev_b32_e32 v2, 24, v0
	v_lshlrev_b32_e32 v3, 20, v28
	v_lshl_add_u32 v1, v1, 23, 0x3c000000
	v_and_b32_e32 v2, 0x80000000, v2
	v_or3_b32 v28, v3, v2, v1
	buffer_store_dword v28, off, s[0:3], s32 offset:512 ; 4-byte Folded Spill
	buffer_store_dword v29, off, s[0:3], s32 offset:516 ; 4-byte Folded Spill
.LBB233_313:                            ;   in Loop: Header=BB233_16 Depth=1
	s_or_b32 exec_lo, exec_lo, s25
.LBB233_314:                            ;   in Loop: Header=BB233_16 Depth=1
	s_or_b32 exec_lo, exec_lo, s24
.LBB233_315:                            ;   in Loop: Header=BB233_16 Depth=1
	s_or_b32 exec_lo, exec_lo, s23
	v_cmp_ne_u16_sdwa s5, v0, v29 src0_sel:BYTE_1 src1_sel:DWORD
	s_and_saveexec_b32 s23, s5
	s_cbranch_execz .LBB233_323
; %bb.316:                              ;   in Loop: Header=BB233_16 Depth=1
	v_mov_b32_e32 v45, v29
	v_cmp_ne_u16_sdwa s5, v0, v121 src0_sel:BYTE_1 src1_sel:DWORD
	buffer_store_dword v45, off, s[0:3], s32 offset:520 ; 4-byte Folded Spill
	buffer_store_dword v46, off, s[0:3], s32 offset:524 ; 4-byte Folded Spill
	s_and_saveexec_b32 s24, s5
	s_cbranch_execz .LBB233_322
; %bb.317:                              ;   in Loop: Header=BB233_16 Depth=1
	v_mov_b32_e32 v1, 0xffff
	v_mov_b32_e32 v116, v29
	s_mov_b32 s25, exec_lo
	buffer_store_dword v116, off, s[0:3], s32 offset:520 ; 4-byte Folded Spill
	buffer_store_dword v117, off, s[0:3], s32 offset:524 ; 4-byte Folded Spill
	v_and_b32_sdwa v1, v1, v0 dst_sel:DWORD dst_unused:UNUSED_PAD src0_sel:DWORD src1_sel:BYTE_1
	v_and_b32_e32 v2, 0x7f, v1
	v_cmpx_ne_u32_e32 0x7f, v2
	s_cbranch_execz .LBB233_321
; %bb.318:                              ;   in Loop: Header=BB233_16 Depth=1
	v_and_b32_e32 v28, 7, v1
	v_lshrrev_b32_e32 v1, 3, v2
	s_mov_b32 s26, exec_lo
	v_cmpx_gt_u32_e32 8, v2
; %bb.319:                              ;   in Loop: Header=BB233_16 Depth=1
	v_ffbh_u32_e32 v1, v28
	v_min_u32_e32 v1, 32, v1
	v_subrev_nc_u32_e32 v2, 28, v1
	v_sub_nc_u32_e32 v1, 29, v1
	v_lshlrev_b64 v[2:3], v2, v[28:29]
	v_and_b32_e32 v28, 7, v2
; %bb.320:                              ;   in Loop: Header=BB233_16 Depth=1
	s_or_b32 exec_lo, exec_lo, s26
	v_lshlrev_b32_e32 v2, 16, v0
	v_lshlrev_b32_e32 v3, 20, v28
	v_lshl_add_u32 v1, v1, 23, 0x3c000000
	v_and_b32_e32 v2, 0x80000000, v2
	v_or3_b32 v2, v3, v2, v1
	v_mov_b32_e32 v1, v29
	buffer_store_dword v1, off, s[0:3], s32 offset:520 ; 4-byte Folded Spill
	buffer_store_dword v2, off, s[0:3], s32 offset:524 ; 4-byte Folded Spill
.LBB233_321:                            ;   in Loop: Header=BB233_16 Depth=1
	s_or_b32 exec_lo, exec_lo, s25
.LBB233_322:                            ;   in Loop: Header=BB233_16 Depth=1
	s_or_b32 exec_lo, exec_lo, s24
.LBB233_323:                            ;   in Loop: Header=BB233_16 Depth=1
	s_or_b32 exec_lo, exec_lo, s23
	v_mov_b32_e32 v2, 0
	v_mov_b32_e32 v3, 0
	v_and_b32_sdwa v1, v0, v60 dst_sel:DWORD dst_unused:UNUSED_PAD src0_sel:WORD_1 src1_sel:DWORD
	s_mov_b32 s23, exec_lo
	buffer_store_dword v2, off, s[0:3], s32 offset:528 ; 4-byte Folded Spill
	buffer_store_dword v3, off, s[0:3], s32 offset:532 ; 4-byte Folded Spill
	v_mov_b32_e32 v2, 0
	v_mov_b32_e32 v3, 0
	buffer_store_dword v2, off, s[0:3], s32 offset:536 ; 4-byte Folded Spill
	buffer_store_dword v3, off, s[0:3], s32 offset:540 ; 4-byte Folded Spill
	v_cmpx_ne_u16_e32 0, v1
	s_cbranch_execz .LBB233_331
; %bb.324:                              ;   in Loop: Header=BB233_16 Depth=1
	v_cmp_ne_u16_e64 s5, 0x80, v1
	v_bfrev_b32_e32 v1, 1
	v_mov_b32_e32 v2, 0
	buffer_store_dword v1, off, s[0:3], s32 offset:536 ; 4-byte Folded Spill
	buffer_store_dword v2, off, s[0:3], s32 offset:540 ; 4-byte Folded Spill
	s_and_saveexec_b32 s24, s5
	s_cbranch_execz .LBB233_330
; %bb.325:                              ;   in Loop: Header=BB233_16 Depth=1
	v_mov_b32_e32 v3, 0x7f800001
	v_bfe_u32 v2, v0, 16, 7
	v_mov_b32_e32 v4, 0
	s_mov_b32 s25, exec_lo
	buffer_store_dword v3, off, s[0:3], s32 offset:536 ; 4-byte Folded Spill
	buffer_store_dword v4, off, s[0:3], s32 offset:540 ; 4-byte Folded Spill
	v_cmpx_ne_u32_e32 0x7f, v2
	s_cbranch_execz .LBB233_329
; %bb.326:                              ;   in Loop: Header=BB233_16 Depth=1
	v_mov_b32_e32 v1, 7
	s_mov_b32 s26, exec_lo
	v_and_b32_sdwa v28, v0, v1 dst_sel:DWORD dst_unused:UNUSED_PAD src0_sel:WORD_1 src1_sel:DWORD
	v_lshrrev_b32_e32 v1, 3, v2
	v_cmpx_gt_u32_e32 8, v2
; %bb.327:                              ;   in Loop: Header=BB233_16 Depth=1
	v_ffbh_u32_e32 v1, v28
	v_min_u32_e32 v1, 32, v1
	v_subrev_nc_u32_e32 v2, 28, v1
	v_sub_nc_u32_e32 v1, 29, v1
	v_lshlrev_b64 v[2:3], v2, v[28:29]
	v_and_b32_e32 v28, 7, v2
; %bb.328:                              ;   in Loop: Header=BB233_16 Depth=1
	s_or_b32 exec_lo, exec_lo, s26
	v_mov_b32_e32 v2, 24
	v_lshlrev_b32_e32 v3, 20, v28
	v_lshl_add_u32 v1, v1, 23, 0x3c000000
	v_lshlrev_b32_sdwa v2, v2, v0 dst_sel:DWORD dst_unused:UNUSED_PAD src0_sel:DWORD src1_sel:WORD_1
	v_and_b32_e32 v2, 0x80000000, v2
	v_or3_b32 v28, v3, v2, v1
	buffer_store_dword v28, off, s[0:3], s32 offset:536 ; 4-byte Folded Spill
	buffer_store_dword v29, off, s[0:3], s32 offset:540 ; 4-byte Folded Spill
.LBB233_329:                            ;   in Loop: Header=BB233_16 Depth=1
	s_or_b32 exec_lo, exec_lo, s25
.LBB233_330:                            ;   in Loop: Header=BB233_16 Depth=1
	s_or_b32 exec_lo, exec_lo, s24
.LBB233_331:                            ;   in Loop: Header=BB233_16 Depth=1
	s_or_b32 exec_lo, exec_lo, s23
	s_mov_b32 s23, exec_lo
	v_cmpx_lt_u32_e32 0xffffff, v0
	s_cbranch_execz .LBB233_339
; %bb.332:                              ;   in Loop: Header=BB233_16 Depth=1
	v_mov_b32_e32 v45, v29
	v_cmp_ne_u32_sdwa s5, v0, v121 src0_sel:BYTE_3 src1_sel:DWORD
	buffer_store_dword v45, off, s[0:3], s32 offset:528 ; 4-byte Folded Spill
	buffer_store_dword v46, off, s[0:3], s32 offset:532 ; 4-byte Folded Spill
	s_and_saveexec_b32 s24, s5
	s_cbranch_execz .LBB233_338
; %bb.333:                              ;   in Loop: Header=BB233_16 Depth=1
	v_bfe_u32 v2, v0, 24, 7
	v_mov_b32_e32 v116, v29
	s_mov_b32 s25, exec_lo
	buffer_store_dword v116, off, s[0:3], s32 offset:528 ; 4-byte Folded Spill
	buffer_store_dword v117, off, s[0:3], s32 offset:532 ; 4-byte Folded Spill
	v_cmpx_ne_u32_e32 0x7f, v2
	s_cbranch_execz .LBB233_337
; %bb.334:                              ;   in Loop: Header=BB233_16 Depth=1
	v_mov_b32_e32 v1, 7
	s_mov_b32 s26, exec_lo
	v_and_b32_sdwa v28, v0, v1 dst_sel:DWORD dst_unused:UNUSED_PAD src0_sel:BYTE_3 src1_sel:DWORD
	v_lshrrev_b32_e32 v1, 3, v2
	v_cmpx_gt_u32_e32 8, v2
; %bb.335:                              ;   in Loop: Header=BB233_16 Depth=1
	v_ffbh_u32_e32 v1, v28
	v_min_u32_e32 v1, 32, v1
	v_subrev_nc_u32_e32 v2, 28, v1
	v_sub_nc_u32_e32 v1, 29, v1
	v_lshlrev_b64 v[2:3], v2, v[28:29]
	v_and_b32_e32 v28, 7, v2
; %bb.336:                              ;   in Loop: Header=BB233_16 Depth=1
	s_or_b32 exec_lo, exec_lo, s26
	v_mov_b32_e32 v2, 24
	v_lshl_add_u32 v1, v1, 23, 0x3c000000
	v_lshlrev_b32_sdwa v0, v2, v0 dst_sel:DWORD dst_unused:UNUSED_PAD src0_sel:DWORD src1_sel:BYTE_3
	v_lshlrev_b32_e32 v2, 20, v28
	v_and_b32_e32 v0, 0x80000000, v0
	v_or3_b32 v1, v2, v0, v1
	v_mov_b32_e32 v0, v29
	buffer_store_dword v0, off, s[0:3], s32 offset:528 ; 4-byte Folded Spill
	buffer_store_dword v1, off, s[0:3], s32 offset:532 ; 4-byte Folded Spill
.LBB233_337:                            ;   in Loop: Header=BB233_16 Depth=1
	s_or_b32 exec_lo, exec_lo, s25
.LBB233_338:                            ;   in Loop: Header=BB233_16 Depth=1
	s_or_b32 exec_lo, exec_lo, s24
.LBB233_339:                            ;   in Loop: Header=BB233_16 Depth=1
	s_or_b32 exec_lo, exec_lo, s23
	flat_load_dword v0, v[118:119] offset:1032
	v_mov_b32_e32 v1, 0
	v_mov_b32_e32 v2, 0
	buffer_store_dword v1, off, s[0:3], s32 offset:552 ; 4-byte Folded Spill
	buffer_store_dword v2, off, s[0:3], s32 offset:556 ; 4-byte Folded Spill
	v_mov_b32_e32 v1, 0
	v_mov_b32_e32 v2, 0
	buffer_store_dword v1, off, s[0:3], s32 offset:544 ; 4-byte Folded Spill
	buffer_store_dword v2, off, s[0:3], s32 offset:548 ; 4-byte Folded Spill
	s_waitcnt vmcnt(0) lgkmcnt(0)
	v_cmp_ne_u16_sdwa s5, v0, v29 src0_sel:BYTE_0 src1_sel:DWORD
	s_and_saveexec_b32 s23, s5
	s_cbranch_execz .LBB233_347
; %bb.340:                              ;   in Loop: Header=BB233_16 Depth=1
	v_bfrev_b32_e32 v1, 1
	v_mov_b32_e32 v2, 0
	v_cmp_ne_u16_sdwa s5, v0, v121 src0_sel:BYTE_0 src1_sel:DWORD
	buffer_store_dword v1, off, s[0:3], s32 offset:544 ; 4-byte Folded Spill
	buffer_store_dword v2, off, s[0:3], s32 offset:548 ; 4-byte Folded Spill
	s_and_saveexec_b32 s24, s5
	s_cbranch_execz .LBB233_346
; %bb.341:                              ;   in Loop: Header=BB233_16 Depth=1
	v_mov_b32_e32 v3, 0x7f800001
	v_and_b32_e32 v2, 0x7f, v0
	v_mov_b32_e32 v4, 0
	s_mov_b32 s25, exec_lo
	buffer_store_dword v3, off, s[0:3], s32 offset:544 ; 4-byte Folded Spill
	buffer_store_dword v4, off, s[0:3], s32 offset:548 ; 4-byte Folded Spill
	v_cmpx_ne_u32_e32 0x7f, v2
	s_cbranch_execz .LBB233_345
; %bb.342:                              ;   in Loop: Header=BB233_16 Depth=1
	v_and_b32_e32 v28, 7, v0
	v_lshrrev_b32_e32 v1, 3, v2
	s_mov_b32 s26, exec_lo
	v_cmpx_gt_u32_e32 8, v2
; %bb.343:                              ;   in Loop: Header=BB233_16 Depth=1
	v_ffbh_u32_e32 v1, v28
	v_min_u32_e32 v1, 32, v1
	v_subrev_nc_u32_e32 v2, 28, v1
	v_sub_nc_u32_e32 v1, 29, v1
	v_lshlrev_b64 v[2:3], v2, v[28:29]
	v_and_b32_e32 v28, 7, v2
; %bb.344:                              ;   in Loop: Header=BB233_16 Depth=1
	s_or_b32 exec_lo, exec_lo, s26
	v_lshlrev_b32_e32 v2, 24, v0
	v_lshlrev_b32_e32 v3, 20, v28
	v_lshl_add_u32 v1, v1, 23, 0x3c000000
	v_and_b32_e32 v2, 0x80000000, v2
	v_or3_b32 v28, v3, v2, v1
	buffer_store_dword v28, off, s[0:3], s32 offset:544 ; 4-byte Folded Spill
	buffer_store_dword v29, off, s[0:3], s32 offset:548 ; 4-byte Folded Spill
.LBB233_345:                            ;   in Loop: Header=BB233_16 Depth=1
	s_or_b32 exec_lo, exec_lo, s25
.LBB233_346:                            ;   in Loop: Header=BB233_16 Depth=1
	s_or_b32 exec_lo, exec_lo, s24
.LBB233_347:                            ;   in Loop: Header=BB233_16 Depth=1
	s_or_b32 exec_lo, exec_lo, s23
	v_cmp_ne_u16_sdwa s5, v0, v29 src0_sel:BYTE_1 src1_sel:DWORD
	s_and_saveexec_b32 s23, s5
	s_cbranch_execz .LBB233_355
; %bb.348:                              ;   in Loop: Header=BB233_16 Depth=1
	v_mov_b32_e32 v45, v29
	v_cmp_ne_u16_sdwa s5, v0, v121 src0_sel:BYTE_1 src1_sel:DWORD
	buffer_store_dword v45, off, s[0:3], s32 offset:552 ; 4-byte Folded Spill
	buffer_store_dword v46, off, s[0:3], s32 offset:556 ; 4-byte Folded Spill
	s_and_saveexec_b32 s24, s5
	s_cbranch_execz .LBB233_354
; %bb.349:                              ;   in Loop: Header=BB233_16 Depth=1
	v_mov_b32_e32 v1, 0xffff
	v_mov_b32_e32 v116, v29
	s_mov_b32 s25, exec_lo
	buffer_store_dword v116, off, s[0:3], s32 offset:552 ; 4-byte Folded Spill
	buffer_store_dword v117, off, s[0:3], s32 offset:556 ; 4-byte Folded Spill
	v_and_b32_sdwa v1, v1, v0 dst_sel:DWORD dst_unused:UNUSED_PAD src0_sel:DWORD src1_sel:BYTE_1
	v_and_b32_e32 v2, 0x7f, v1
	v_cmpx_ne_u32_e32 0x7f, v2
	s_cbranch_execz .LBB233_353
; %bb.350:                              ;   in Loop: Header=BB233_16 Depth=1
	v_and_b32_e32 v28, 7, v1
	v_lshrrev_b32_e32 v1, 3, v2
	s_mov_b32 s26, exec_lo
	v_cmpx_gt_u32_e32 8, v2
; %bb.351:                              ;   in Loop: Header=BB233_16 Depth=1
	v_ffbh_u32_e32 v1, v28
	v_min_u32_e32 v1, 32, v1
	v_subrev_nc_u32_e32 v2, 28, v1
	v_sub_nc_u32_e32 v1, 29, v1
	v_lshlrev_b64 v[2:3], v2, v[28:29]
	v_and_b32_e32 v28, 7, v2
; %bb.352:                              ;   in Loop: Header=BB233_16 Depth=1
	s_or_b32 exec_lo, exec_lo, s26
	v_lshlrev_b32_e32 v2, 16, v0
	v_lshlrev_b32_e32 v3, 20, v28
	v_lshl_add_u32 v1, v1, 23, 0x3c000000
	v_and_b32_e32 v2, 0x80000000, v2
	v_or3_b32 v2, v3, v2, v1
	v_mov_b32_e32 v1, v29
	buffer_store_dword v1, off, s[0:3], s32 offset:552 ; 4-byte Folded Spill
	buffer_store_dword v2, off, s[0:3], s32 offset:556 ; 4-byte Folded Spill
.LBB233_353:                            ;   in Loop: Header=BB233_16 Depth=1
	s_or_b32 exec_lo, exec_lo, s25
.LBB233_354:                            ;   in Loop: Header=BB233_16 Depth=1
	s_or_b32 exec_lo, exec_lo, s24
.LBB233_355:                            ;   in Loop: Header=BB233_16 Depth=1
	s_or_b32 exec_lo, exec_lo, s23
	v_mov_b32_e32 v72, 0
	v_mov_b32_e32 v2, 0
	v_and_b32_sdwa v1, v0, v60 dst_sel:DWORD dst_unused:UNUSED_PAD src0_sel:WORD_1 src1_sel:DWORD
	v_mov_b32_e32 v73, 0
	v_mov_b32_e32 v3, 0
	s_mov_b32 s23, exec_lo
	buffer_store_dword v2, off, s[0:3], s32 offset:560 ; 4-byte Folded Spill
	buffer_store_dword v3, off, s[0:3], s32 offset:564 ; 4-byte Folded Spill
	v_cmpx_ne_u16_e32 0, v1
	s_cbranch_execz .LBB233_363
; %bb.356:                              ;   in Loop: Header=BB233_16 Depth=1
	v_cmp_ne_u16_e64 s5, 0x80, v1
	v_bfrev_b32_e32 v1, 1
	v_mov_b32_e32 v2, 0
	buffer_store_dword v1, off, s[0:3], s32 offset:560 ; 4-byte Folded Spill
	buffer_store_dword v2, off, s[0:3], s32 offset:564 ; 4-byte Folded Spill
	s_and_saveexec_b32 s24, s5
	s_cbranch_execz .LBB233_362
; %bb.357:                              ;   in Loop: Header=BB233_16 Depth=1
	v_mov_b32_e32 v3, 0x7f800001
	v_bfe_u32 v2, v0, 16, 7
	v_mov_b32_e32 v4, 0
	s_mov_b32 s25, exec_lo
	buffer_store_dword v3, off, s[0:3], s32 offset:560 ; 4-byte Folded Spill
	buffer_store_dword v4, off, s[0:3], s32 offset:564 ; 4-byte Folded Spill
	v_cmpx_ne_u32_e32 0x7f, v2
	s_cbranch_execz .LBB233_361
; %bb.358:                              ;   in Loop: Header=BB233_16 Depth=1
	v_mov_b32_e32 v1, 7
	s_mov_b32 s26, exec_lo
	v_and_b32_sdwa v28, v0, v1 dst_sel:DWORD dst_unused:UNUSED_PAD src0_sel:WORD_1 src1_sel:DWORD
	v_lshrrev_b32_e32 v1, 3, v2
	v_cmpx_gt_u32_e32 8, v2
; %bb.359:                              ;   in Loop: Header=BB233_16 Depth=1
	v_ffbh_u32_e32 v1, v28
	v_min_u32_e32 v1, 32, v1
	v_subrev_nc_u32_e32 v2, 28, v1
	v_sub_nc_u32_e32 v1, 29, v1
	v_lshlrev_b64 v[2:3], v2, v[28:29]
	v_and_b32_e32 v28, 7, v2
; %bb.360:                              ;   in Loop: Header=BB233_16 Depth=1
	s_or_b32 exec_lo, exec_lo, s26
	v_mov_b32_e32 v2, 24
	v_lshlrev_b32_e32 v3, 20, v28
	v_lshl_add_u32 v1, v1, 23, 0x3c000000
	v_lshlrev_b32_sdwa v2, v2, v0 dst_sel:DWORD dst_unused:UNUSED_PAD src0_sel:DWORD src1_sel:WORD_1
	v_and_b32_e32 v2, 0x80000000, v2
	v_or3_b32 v28, v3, v2, v1
	buffer_store_dword v28, off, s[0:3], s32 offset:560 ; 4-byte Folded Spill
	buffer_store_dword v29, off, s[0:3], s32 offset:564 ; 4-byte Folded Spill
.LBB233_361:                            ;   in Loop: Header=BB233_16 Depth=1
	s_or_b32 exec_lo, exec_lo, s25
.LBB233_362:                            ;   in Loop: Header=BB233_16 Depth=1
	s_or_b32 exec_lo, exec_lo, s24
.LBB233_363:                            ;   in Loop: Header=BB233_16 Depth=1
	s_or_b32 exec_lo, exec_lo, s23
	s_mov_b32 s23, exec_lo
	v_cmpx_lt_u32_e32 0xffffff, v0
	s_cbranch_execz .LBB233_371
; %bb.364:                              ;   in Loop: Header=BB233_16 Depth=1
	v_mov_b32_e32 v45, v29
	v_mov_b32_e32 v73, v46
	v_cmp_ne_u32_sdwa s5, v0, v121 src0_sel:BYTE_3 src1_sel:DWORD
	v_mov_b32_e32 v72, v45
	s_and_saveexec_b32 s24, s5
	s_cbranch_execz .LBB233_370
; %bb.365:                              ;   in Loop: Header=BB233_16 Depth=1
	v_mov_b32_e32 v116, v29
	v_bfe_u32 v2, v0, 24, 7
	s_mov_b32 s25, exec_lo
	v_mov_b32_e32 v72, v116
	v_mov_b32_e32 v73, v117
	v_cmpx_ne_u32_e32 0x7f, v2
	s_cbranch_execz .LBB233_369
; %bb.366:                              ;   in Loop: Header=BB233_16 Depth=1
	v_mov_b32_e32 v1, 7
	s_mov_b32 s26, exec_lo
	v_and_b32_sdwa v28, v0, v1 dst_sel:DWORD dst_unused:UNUSED_PAD src0_sel:BYTE_3 src1_sel:DWORD
	v_lshrrev_b32_e32 v1, 3, v2
	v_cmpx_gt_u32_e32 8, v2
; %bb.367:                              ;   in Loop: Header=BB233_16 Depth=1
	v_ffbh_u32_e32 v1, v28
	v_min_u32_e32 v1, 32, v1
	v_subrev_nc_u32_e32 v2, 28, v1
	v_sub_nc_u32_e32 v1, 29, v1
	v_lshlrev_b64 v[2:3], v2, v[28:29]
	v_and_b32_e32 v28, 7, v2
; %bb.368:                              ;   in Loop: Header=BB233_16 Depth=1
	s_or_b32 exec_lo, exec_lo, s26
	v_mov_b32_e32 v2, 24
	v_lshl_add_u32 v1, v1, 23, 0x3c000000
	v_mov_b32_e32 v72, v29
	v_lshlrev_b32_sdwa v0, v2, v0 dst_sel:DWORD dst_unused:UNUSED_PAD src0_sel:DWORD src1_sel:BYTE_3
	v_lshlrev_b32_e32 v2, 20, v28
	v_and_b32_e32 v0, 0x80000000, v0
	v_or3_b32 v73, v2, v0, v1
.LBB233_369:                            ;   in Loop: Header=BB233_16 Depth=1
	s_or_b32 exec_lo, exec_lo, s25
.LBB233_370:                            ;   in Loop: Header=BB233_16 Depth=1
	s_or_b32 exec_lo, exec_lo, s24
.LBB233_371:                            ;   in Loop: Header=BB233_16 Depth=1
	s_or_b32 exec_lo, exec_lo, s23
	flat_load_dword v0, v[118:119] offset:1036
	v_mov_b32_e32 v78, 0
	v_mov_b32_e32 v76, 0
	v_mov_b32_e32 v79, 0
	v_mov_b32_e32 v77, 0
	s_waitcnt vmcnt(0) lgkmcnt(0)
	v_cmp_ne_u16_sdwa s5, v0, v29 src0_sel:BYTE_0 src1_sel:DWORD
	s_and_saveexec_b32 s23, s5
	s_cbranch_execz .LBB233_379
; %bb.372:                              ;   in Loop: Header=BB233_16 Depth=1
	v_bfrev_b32_e32 v76, 1
	v_mov_b32_e32 v77, 0
	v_cmp_ne_u16_sdwa s5, v0, v121 src0_sel:BYTE_0 src1_sel:DWORD
	s_and_saveexec_b32 s24, s5
	s_cbranch_execz .LBB233_378
; %bb.373:                              ;   in Loop: Header=BB233_16 Depth=1
	v_mov_b32_e32 v76, 0x7f800001
	v_and_b32_e32 v2, 0x7f, v0
	v_mov_b32_e32 v77, 0
	s_mov_b32 s25, exec_lo
	v_cmpx_ne_u32_e32 0x7f, v2
	s_cbranch_execz .LBB233_377
; %bb.374:                              ;   in Loop: Header=BB233_16 Depth=1
	v_and_b32_e32 v28, 7, v0
	v_lshrrev_b32_e32 v1, 3, v2
	s_mov_b32 s26, exec_lo
	v_cmpx_gt_u32_e32 8, v2
; %bb.375:                              ;   in Loop: Header=BB233_16 Depth=1
	v_ffbh_u32_e32 v1, v28
	v_min_u32_e32 v1, 32, v1
	v_subrev_nc_u32_e32 v2, 28, v1
	v_sub_nc_u32_e32 v1, 29, v1
	v_lshlrev_b64 v[2:3], v2, v[28:29]
	v_and_b32_e32 v28, 7, v2
; %bb.376:                              ;   in Loop: Header=BB233_16 Depth=1
	s_or_b32 exec_lo, exec_lo, s26
	v_lshlrev_b32_e32 v2, 24, v0
	v_lshlrev_b32_e32 v3, 20, v28
	v_lshl_add_u32 v1, v1, 23, 0x3c000000
	v_and_b32_e32 v2, 0x80000000, v2
	v_or3_b32 v28, v3, v2, v1
	v_mov_b32_e32 v77, v29
	v_mov_b32_e32 v76, v28
.LBB233_377:                            ;   in Loop: Header=BB233_16 Depth=1
	s_or_b32 exec_lo, exec_lo, s25
.LBB233_378:                            ;   in Loop: Header=BB233_16 Depth=1
	s_or_b32 exec_lo, exec_lo, s24
.LBB233_379:                            ;   in Loop: Header=BB233_16 Depth=1
	s_or_b32 exec_lo, exec_lo, s23
	v_cmp_ne_u16_sdwa s5, v0, v29 src0_sel:BYTE_1 src1_sel:DWORD
	s_and_saveexec_b32 s23, s5
	s_cbranch_execz .LBB233_387
; %bb.380:                              ;   in Loop: Header=BB233_16 Depth=1
	v_mov_b32_e32 v45, v29
	v_mov_b32_e32 v79, v46
	v_cmp_ne_u16_sdwa s5, v0, v121 src0_sel:BYTE_1 src1_sel:DWORD
	v_mov_b32_e32 v78, v45
	s_and_saveexec_b32 s24, s5
	s_cbranch_execz .LBB233_386
; %bb.381:                              ;   in Loop: Header=BB233_16 Depth=1
	v_mov_b32_e32 v1, 0xffff
	v_mov_b32_e32 v116, v29
	s_mov_b32 s25, exec_lo
	v_and_b32_sdwa v1, v1, v0 dst_sel:DWORD dst_unused:UNUSED_PAD src0_sel:DWORD src1_sel:BYTE_1
	v_mov_b32_e32 v78, v116
	v_mov_b32_e32 v79, v117
	v_and_b32_e32 v2, 0x7f, v1
	v_cmpx_ne_u32_e32 0x7f, v2
	s_cbranch_execz .LBB233_385
; %bb.382:                              ;   in Loop: Header=BB233_16 Depth=1
	v_and_b32_e32 v28, 7, v1
	v_lshrrev_b32_e32 v1, 3, v2
	s_mov_b32 s26, exec_lo
	v_cmpx_gt_u32_e32 8, v2
; %bb.383:                              ;   in Loop: Header=BB233_16 Depth=1
	v_ffbh_u32_e32 v1, v28
	v_min_u32_e32 v1, 32, v1
	v_subrev_nc_u32_e32 v2, 28, v1
	v_sub_nc_u32_e32 v1, 29, v1
	v_lshlrev_b64 v[2:3], v2, v[28:29]
	v_and_b32_e32 v28, 7, v2
; %bb.384:                              ;   in Loop: Header=BB233_16 Depth=1
	s_or_b32 exec_lo, exec_lo, s26
	v_lshlrev_b32_e32 v2, 16, v0
	v_lshlrev_b32_e32 v3, 20, v28
	v_lshl_add_u32 v1, v1, 23, 0x3c000000
	v_mov_b32_e32 v78, v29
	v_and_b32_e32 v2, 0x80000000, v2
	v_or3_b32 v79, v3, v2, v1
.LBB233_385:                            ;   in Loop: Header=BB233_16 Depth=1
	s_or_b32 exec_lo, exec_lo, s25
.LBB233_386:                            ;   in Loop: Header=BB233_16 Depth=1
	s_or_b32 exec_lo, exec_lo, s24
.LBB233_387:                            ;   in Loop: Header=BB233_16 Depth=1
	s_or_b32 exec_lo, exec_lo, s23
	v_mov_b32_e32 v88, 0
	v_mov_b32_e32 v62, 0
	v_and_b32_sdwa v1, v0, v60 dst_sel:DWORD dst_unused:UNUSED_PAD src0_sel:WORD_1 src1_sel:DWORD
	v_mov_b32_e32 v89, 0
	v_mov_b32_e32 v63, 0
	s_mov_b32 s23, exec_lo
	v_cmpx_ne_u16_e32 0, v1
	s_cbranch_execz .LBB233_395
; %bb.388:                              ;   in Loop: Header=BB233_16 Depth=1
	v_bfrev_b32_e32 v62, 1
	v_mov_b32_e32 v63, 0
	s_mov_b32 s24, exec_lo
	v_cmpx_ne_u16_e32 0x80, v1
	s_cbranch_execz .LBB233_394
; %bb.389:                              ;   in Loop: Header=BB233_16 Depth=1
	v_mov_b32_e32 v62, 0x7f800001
	v_bfe_u32 v2, v0, 16, 7
	v_mov_b32_e32 v63, 0
	s_mov_b32 s25, exec_lo
	v_cmpx_ne_u32_e32 0x7f, v2
	s_cbranch_execz .LBB233_393
; %bb.390:                              ;   in Loop: Header=BB233_16 Depth=1
	v_mov_b32_e32 v1, 7
	s_mov_b32 s26, exec_lo
	v_and_b32_sdwa v28, v0, v1 dst_sel:DWORD dst_unused:UNUSED_PAD src0_sel:WORD_1 src1_sel:DWORD
	v_lshrrev_b32_e32 v1, 3, v2
	v_cmpx_gt_u32_e32 8, v2
; %bb.391:                              ;   in Loop: Header=BB233_16 Depth=1
	v_ffbh_u32_e32 v1, v28
	v_min_u32_e32 v1, 32, v1
	v_subrev_nc_u32_e32 v2, 28, v1
	v_sub_nc_u32_e32 v1, 29, v1
	v_lshlrev_b64 v[2:3], v2, v[28:29]
	v_and_b32_e32 v28, 7, v2
; %bb.392:                              ;   in Loop: Header=BB233_16 Depth=1
	s_or_b32 exec_lo, exec_lo, s26
	v_mov_b32_e32 v2, 24
	v_lshlrev_b32_e32 v3, 20, v28
	v_lshl_add_u32 v1, v1, 23, 0x3c000000
	v_lshlrev_b32_sdwa v2, v2, v0 dst_sel:DWORD dst_unused:UNUSED_PAD src0_sel:DWORD src1_sel:WORD_1
	v_and_b32_e32 v2, 0x80000000, v2
	v_or3_b32 v28, v3, v2, v1
	v_mov_b32_e32 v63, v29
	v_mov_b32_e32 v62, v28
.LBB233_393:                            ;   in Loop: Header=BB233_16 Depth=1
	s_or_b32 exec_lo, exec_lo, s25
.LBB233_394:                            ;   in Loop: Header=BB233_16 Depth=1
	s_or_b32 exec_lo, exec_lo, s24
.LBB233_395:                            ;   in Loop: Header=BB233_16 Depth=1
	s_or_b32 exec_lo, exec_lo, s23
	s_mov_b32 s23, exec_lo
	v_cmpx_lt_u32_e32 0xffffff, v0
	s_cbranch_execz .LBB233_403
; %bb.396:                              ;   in Loop: Header=BB233_16 Depth=1
	v_mov_b32_e32 v45, v29
	v_mov_b32_e32 v89, v46
	v_cmp_ne_u32_sdwa s5, v0, v121 src0_sel:BYTE_3 src1_sel:DWORD
	v_mov_b32_e32 v88, v45
	s_and_saveexec_b32 s24, s5
	s_cbranch_execz .LBB233_402
; %bb.397:                              ;   in Loop: Header=BB233_16 Depth=1
	v_mov_b32_e32 v116, v29
	v_bfe_u32 v2, v0, 24, 7
	s_mov_b32 s25, exec_lo
	v_mov_b32_e32 v88, v116
	v_mov_b32_e32 v89, v117
	v_cmpx_ne_u32_e32 0x7f, v2
	s_cbranch_execz .LBB233_401
; %bb.398:                              ;   in Loop: Header=BB233_16 Depth=1
	v_mov_b32_e32 v1, 7
	s_mov_b32 s26, exec_lo
	v_and_b32_sdwa v28, v0, v1 dst_sel:DWORD dst_unused:UNUSED_PAD src0_sel:BYTE_3 src1_sel:DWORD
	v_lshrrev_b32_e32 v1, 3, v2
	v_cmpx_gt_u32_e32 8, v2
; %bb.399:                              ;   in Loop: Header=BB233_16 Depth=1
	v_ffbh_u32_e32 v1, v28
	v_min_u32_e32 v1, 32, v1
	v_subrev_nc_u32_e32 v2, 28, v1
	v_sub_nc_u32_e32 v1, 29, v1
	v_lshlrev_b64 v[2:3], v2, v[28:29]
	v_and_b32_e32 v28, 7, v2
; %bb.400:                              ;   in Loop: Header=BB233_16 Depth=1
	s_or_b32 exec_lo, exec_lo, s26
	v_mov_b32_e32 v2, 24
	v_lshl_add_u32 v1, v1, 23, 0x3c000000
	v_mov_b32_e32 v88, v29
	v_lshlrev_b32_sdwa v0, v2, v0 dst_sel:DWORD dst_unused:UNUSED_PAD src0_sel:DWORD src1_sel:BYTE_3
	v_lshlrev_b32_e32 v2, 20, v28
	v_and_b32_e32 v0, 0x80000000, v0
	v_or3_b32 v89, v2, v0, v1
.LBB233_401:                            ;   in Loop: Header=BB233_16 Depth=1
	s_or_b32 exec_lo, exec_lo, s25
.LBB233_402:                            ;   in Loop: Header=BB233_16 Depth=1
	s_or_b32 exec_lo, exec_lo, s24
.LBB233_403:                            ;   in Loop: Header=BB233_16 Depth=1
	s_or_b32 exec_lo, exec_lo, s23
	flat_load_dword v0, v[118:119] offset:1536
	v_mov_b32_e32 v94, 0
	v_mov_b32_e32 v92, 0
	;; [unrolled: 1-line block ×4, first 2 shown]
	s_waitcnt vmcnt(0) lgkmcnt(0)
	v_cmp_ne_u16_sdwa s5, v0, v29 src0_sel:BYTE_0 src1_sel:DWORD
	s_and_saveexec_b32 s23, s5
	s_cbranch_execz .LBB233_411
; %bb.404:                              ;   in Loop: Header=BB233_16 Depth=1
	v_bfrev_b32_e32 v92, 1
	v_mov_b32_e32 v93, 0
	v_cmp_ne_u16_sdwa s5, v0, v121 src0_sel:BYTE_0 src1_sel:DWORD
	s_and_saveexec_b32 s24, s5
	s_cbranch_execz .LBB233_410
; %bb.405:                              ;   in Loop: Header=BB233_16 Depth=1
	v_mov_b32_e32 v92, 0x7f800001
	v_and_b32_e32 v2, 0x7f, v0
	v_mov_b32_e32 v93, 0
	s_mov_b32 s25, exec_lo
	v_cmpx_ne_u32_e32 0x7f, v2
	s_cbranch_execz .LBB233_409
; %bb.406:                              ;   in Loop: Header=BB233_16 Depth=1
	v_and_b32_e32 v28, 7, v0
	v_lshrrev_b32_e32 v1, 3, v2
	s_mov_b32 s26, exec_lo
	v_cmpx_gt_u32_e32 8, v2
; %bb.407:                              ;   in Loop: Header=BB233_16 Depth=1
	v_ffbh_u32_e32 v1, v28
	v_min_u32_e32 v1, 32, v1
	v_subrev_nc_u32_e32 v2, 28, v1
	v_sub_nc_u32_e32 v1, 29, v1
	v_lshlrev_b64 v[2:3], v2, v[28:29]
	v_and_b32_e32 v28, 7, v2
; %bb.408:                              ;   in Loop: Header=BB233_16 Depth=1
	s_or_b32 exec_lo, exec_lo, s26
	v_lshlrev_b32_e32 v2, 24, v0
	v_lshlrev_b32_e32 v3, 20, v28
	v_lshl_add_u32 v1, v1, 23, 0x3c000000
	v_and_b32_e32 v2, 0x80000000, v2
	v_or3_b32 v28, v3, v2, v1
	v_mov_b32_e32 v93, v29
	v_mov_b32_e32 v92, v28
.LBB233_409:                            ;   in Loop: Header=BB233_16 Depth=1
	s_or_b32 exec_lo, exec_lo, s25
.LBB233_410:                            ;   in Loop: Header=BB233_16 Depth=1
	s_or_b32 exec_lo, exec_lo, s24
.LBB233_411:                            ;   in Loop: Header=BB233_16 Depth=1
	s_or_b32 exec_lo, exec_lo, s23
	v_cmp_ne_u16_sdwa s5, v0, v29 src0_sel:BYTE_1 src1_sel:DWORD
	s_and_saveexec_b32 s23, s5
	s_cbranch_execz .LBB233_419
; %bb.412:                              ;   in Loop: Header=BB233_16 Depth=1
	v_mov_b32_e32 v45, v29
	v_mov_b32_e32 v95, v46
	v_cmp_ne_u16_sdwa s5, v0, v121 src0_sel:BYTE_1 src1_sel:DWORD
	v_mov_b32_e32 v94, v45
	s_and_saveexec_b32 s24, s5
	s_cbranch_execz .LBB233_418
; %bb.413:                              ;   in Loop: Header=BB233_16 Depth=1
	v_mov_b32_e32 v1, 0xffff
	v_mov_b32_e32 v116, v29
	s_mov_b32 s25, exec_lo
	v_and_b32_sdwa v1, v1, v0 dst_sel:DWORD dst_unused:UNUSED_PAD src0_sel:DWORD src1_sel:BYTE_1
	v_mov_b32_e32 v94, v116
	v_mov_b32_e32 v95, v117
	v_and_b32_e32 v2, 0x7f, v1
	v_cmpx_ne_u32_e32 0x7f, v2
	s_cbranch_execz .LBB233_417
; %bb.414:                              ;   in Loop: Header=BB233_16 Depth=1
	v_and_b32_e32 v28, 7, v1
	v_lshrrev_b32_e32 v1, 3, v2
	s_mov_b32 s26, exec_lo
	v_cmpx_gt_u32_e32 8, v2
; %bb.415:                              ;   in Loop: Header=BB233_16 Depth=1
	v_ffbh_u32_e32 v1, v28
	v_min_u32_e32 v1, 32, v1
	v_subrev_nc_u32_e32 v2, 28, v1
	v_sub_nc_u32_e32 v1, 29, v1
	v_lshlrev_b64 v[2:3], v2, v[28:29]
	v_and_b32_e32 v28, 7, v2
; %bb.416:                              ;   in Loop: Header=BB233_16 Depth=1
	s_or_b32 exec_lo, exec_lo, s26
	v_lshlrev_b32_e32 v2, 16, v0
	v_lshlrev_b32_e32 v3, 20, v28
	v_lshl_add_u32 v1, v1, 23, 0x3c000000
	v_mov_b32_e32 v94, v29
	v_and_b32_e32 v2, 0x80000000, v2
	v_or3_b32 v95, v3, v2, v1
.LBB233_417:                            ;   in Loop: Header=BB233_16 Depth=1
	s_or_b32 exec_lo, exec_lo, s25
.LBB233_418:                            ;   in Loop: Header=BB233_16 Depth=1
	s_or_b32 exec_lo, exec_lo, s24
.LBB233_419:                            ;   in Loop: Header=BB233_16 Depth=1
	s_or_b32 exec_lo, exec_lo, s23
	v_mov_b32_e32 v104, 0
	v_mov_b32_e32 v106, 0
	v_and_b32_sdwa v1, v0, v60 dst_sel:DWORD dst_unused:UNUSED_PAD src0_sel:WORD_1 src1_sel:DWORD
	v_mov_b32_e32 v105, 0
	v_mov_b32_e32 v107, 0
	s_mov_b32 s23, exec_lo
	v_cmpx_ne_u16_e32 0, v1
	s_cbranch_execz .LBB233_427
; %bb.420:                              ;   in Loop: Header=BB233_16 Depth=1
	v_bfrev_b32_e32 v106, 1
	v_mov_b32_e32 v107, 0
	s_mov_b32 s24, exec_lo
	v_cmpx_ne_u16_e32 0x80, v1
	s_cbranch_execz .LBB233_426
; %bb.421:                              ;   in Loop: Header=BB233_16 Depth=1
	v_mov_b32_e32 v106, 0x7f800001
	v_bfe_u32 v2, v0, 16, 7
	v_mov_b32_e32 v107, 0
	s_mov_b32 s25, exec_lo
	v_cmpx_ne_u32_e32 0x7f, v2
	s_cbranch_execz .LBB233_425
; %bb.422:                              ;   in Loop: Header=BB233_16 Depth=1
	v_mov_b32_e32 v1, 7
	s_mov_b32 s26, exec_lo
	v_and_b32_sdwa v28, v0, v1 dst_sel:DWORD dst_unused:UNUSED_PAD src0_sel:WORD_1 src1_sel:DWORD
	v_lshrrev_b32_e32 v1, 3, v2
	v_cmpx_gt_u32_e32 8, v2
; %bb.423:                              ;   in Loop: Header=BB233_16 Depth=1
	v_ffbh_u32_e32 v1, v28
	v_min_u32_e32 v1, 32, v1
	v_subrev_nc_u32_e32 v2, 28, v1
	v_sub_nc_u32_e32 v1, 29, v1
	v_lshlrev_b64 v[2:3], v2, v[28:29]
	v_and_b32_e32 v28, 7, v2
; %bb.424:                              ;   in Loop: Header=BB233_16 Depth=1
	s_or_b32 exec_lo, exec_lo, s26
	v_mov_b32_e32 v2, 24
	v_lshlrev_b32_e32 v3, 20, v28
	v_lshl_add_u32 v1, v1, 23, 0x3c000000
	v_lshlrev_b32_sdwa v2, v2, v0 dst_sel:DWORD dst_unused:UNUSED_PAD src0_sel:DWORD src1_sel:WORD_1
	v_and_b32_e32 v2, 0x80000000, v2
	v_or3_b32 v28, v3, v2, v1
	v_mov_b32_e32 v107, v29
	v_mov_b32_e32 v106, v28
.LBB233_425:                            ;   in Loop: Header=BB233_16 Depth=1
	s_or_b32 exec_lo, exec_lo, s25
.LBB233_426:                            ;   in Loop: Header=BB233_16 Depth=1
	s_or_b32 exec_lo, exec_lo, s24
.LBB233_427:                            ;   in Loop: Header=BB233_16 Depth=1
	s_or_b32 exec_lo, exec_lo, s23
	s_mov_b32 s23, exec_lo
	v_cmpx_lt_u32_e32 0xffffff, v0
	s_cbranch_execz .LBB233_435
; %bb.428:                              ;   in Loop: Header=BB233_16 Depth=1
	v_mov_b32_e32 v45, v29
	v_mov_b32_e32 v105, v46
	v_cmp_ne_u32_sdwa s5, v0, v121 src0_sel:BYTE_3 src1_sel:DWORD
	v_mov_b32_e32 v104, v45
	s_and_saveexec_b32 s24, s5
	s_cbranch_execz .LBB233_434
; %bb.429:                              ;   in Loop: Header=BB233_16 Depth=1
	v_mov_b32_e32 v116, v29
	v_bfe_u32 v2, v0, 24, 7
	s_mov_b32 s25, exec_lo
	v_mov_b32_e32 v104, v116
	v_mov_b32_e32 v105, v117
	v_cmpx_ne_u32_e32 0x7f, v2
	s_cbranch_execz .LBB233_433
; %bb.430:                              ;   in Loop: Header=BB233_16 Depth=1
	v_mov_b32_e32 v1, 7
	s_mov_b32 s26, exec_lo
	v_and_b32_sdwa v28, v0, v1 dst_sel:DWORD dst_unused:UNUSED_PAD src0_sel:BYTE_3 src1_sel:DWORD
	v_lshrrev_b32_e32 v1, 3, v2
	v_cmpx_gt_u32_e32 8, v2
; %bb.431:                              ;   in Loop: Header=BB233_16 Depth=1
	v_ffbh_u32_e32 v1, v28
	v_min_u32_e32 v1, 32, v1
	v_subrev_nc_u32_e32 v2, 28, v1
	v_sub_nc_u32_e32 v1, 29, v1
	v_lshlrev_b64 v[2:3], v2, v[28:29]
	v_and_b32_e32 v28, 7, v2
; %bb.432:                              ;   in Loop: Header=BB233_16 Depth=1
	s_or_b32 exec_lo, exec_lo, s26
	v_mov_b32_e32 v2, 24
	v_lshl_add_u32 v1, v1, 23, 0x3c000000
	v_mov_b32_e32 v104, v29
	v_lshlrev_b32_sdwa v0, v2, v0 dst_sel:DWORD dst_unused:UNUSED_PAD src0_sel:DWORD src1_sel:BYTE_3
	v_lshlrev_b32_e32 v2, 20, v28
	v_and_b32_e32 v0, 0x80000000, v0
	v_or3_b32 v105, v2, v0, v1
.LBB233_433:                            ;   in Loop: Header=BB233_16 Depth=1
	s_or_b32 exec_lo, exec_lo, s25
.LBB233_434:                            ;   in Loop: Header=BB233_16 Depth=1
	s_or_b32 exec_lo, exec_lo, s24
.LBB233_435:                            ;   in Loop: Header=BB233_16 Depth=1
	s_or_b32 exec_lo, exec_lo, s23
	flat_load_dword v0, v[118:119] offset:1540
	v_mov_b32_e32 v110, 0
	v_mov_b32_e32 v108, 0
	;; [unrolled: 1-line block ×4, first 2 shown]
	s_waitcnt vmcnt(0) lgkmcnt(0)
	v_cmp_ne_u16_sdwa s5, v0, v29 src0_sel:BYTE_0 src1_sel:DWORD
	s_and_saveexec_b32 s23, s5
	s_cbranch_execz .LBB233_443
; %bb.436:                              ;   in Loop: Header=BB233_16 Depth=1
	v_bfrev_b32_e32 v108, 1
	v_mov_b32_e32 v109, 0
	v_cmp_ne_u16_sdwa s5, v0, v121 src0_sel:BYTE_0 src1_sel:DWORD
	s_and_saveexec_b32 s24, s5
	s_cbranch_execz .LBB233_442
; %bb.437:                              ;   in Loop: Header=BB233_16 Depth=1
	v_mov_b32_e32 v108, 0x7f800001
	v_and_b32_e32 v2, 0x7f, v0
	v_mov_b32_e32 v109, 0
	s_mov_b32 s25, exec_lo
	v_cmpx_ne_u32_e32 0x7f, v2
	s_cbranch_execz .LBB233_441
; %bb.438:                              ;   in Loop: Header=BB233_16 Depth=1
	v_and_b32_e32 v28, 7, v0
	v_lshrrev_b32_e32 v1, 3, v2
	s_mov_b32 s26, exec_lo
	v_cmpx_gt_u32_e32 8, v2
; %bb.439:                              ;   in Loop: Header=BB233_16 Depth=1
	v_ffbh_u32_e32 v1, v28
	v_min_u32_e32 v1, 32, v1
	v_subrev_nc_u32_e32 v2, 28, v1
	v_sub_nc_u32_e32 v1, 29, v1
	v_lshlrev_b64 v[2:3], v2, v[28:29]
	v_and_b32_e32 v28, 7, v2
; %bb.440:                              ;   in Loop: Header=BB233_16 Depth=1
	s_or_b32 exec_lo, exec_lo, s26
	v_lshlrev_b32_e32 v2, 24, v0
	v_lshlrev_b32_e32 v3, 20, v28
	v_lshl_add_u32 v1, v1, 23, 0x3c000000
	v_and_b32_e32 v2, 0x80000000, v2
	v_or3_b32 v28, v3, v2, v1
	v_mov_b32_e32 v109, v29
	v_mov_b32_e32 v108, v28
.LBB233_441:                            ;   in Loop: Header=BB233_16 Depth=1
	s_or_b32 exec_lo, exec_lo, s25
.LBB233_442:                            ;   in Loop: Header=BB233_16 Depth=1
	s_or_b32 exec_lo, exec_lo, s24
.LBB233_443:                            ;   in Loop: Header=BB233_16 Depth=1
	s_or_b32 exec_lo, exec_lo, s23
	v_cmp_ne_u16_sdwa s5, v0, v29 src0_sel:BYTE_1 src1_sel:DWORD
	s_and_saveexec_b32 s23, s5
	s_cbranch_execz .LBB233_451
; %bb.444:                              ;   in Loop: Header=BB233_16 Depth=1
	v_mov_b32_e32 v45, v29
	v_mov_b32_e32 v111, v46
	v_cmp_ne_u16_sdwa s5, v0, v121 src0_sel:BYTE_1 src1_sel:DWORD
	v_mov_b32_e32 v110, v45
	s_and_saveexec_b32 s24, s5
	s_cbranch_execz .LBB233_450
; %bb.445:                              ;   in Loop: Header=BB233_16 Depth=1
	v_mov_b32_e32 v1, 0xffff
	v_mov_b32_e32 v116, v29
	s_mov_b32 s25, exec_lo
	v_and_b32_sdwa v1, v1, v0 dst_sel:DWORD dst_unused:UNUSED_PAD src0_sel:DWORD src1_sel:BYTE_1
	v_mov_b32_e32 v110, v116
	v_mov_b32_e32 v111, v117
	v_and_b32_e32 v2, 0x7f, v1
	v_cmpx_ne_u32_e32 0x7f, v2
	s_cbranch_execz .LBB233_449
; %bb.446:                              ;   in Loop: Header=BB233_16 Depth=1
	v_and_b32_e32 v28, 7, v1
	v_lshrrev_b32_e32 v1, 3, v2
	s_mov_b32 s26, exec_lo
	v_cmpx_gt_u32_e32 8, v2
; %bb.447:                              ;   in Loop: Header=BB233_16 Depth=1
	v_ffbh_u32_e32 v1, v28
	v_min_u32_e32 v1, 32, v1
	v_subrev_nc_u32_e32 v2, 28, v1
	v_sub_nc_u32_e32 v1, 29, v1
	v_lshlrev_b64 v[2:3], v2, v[28:29]
	v_and_b32_e32 v28, 7, v2
; %bb.448:                              ;   in Loop: Header=BB233_16 Depth=1
	s_or_b32 exec_lo, exec_lo, s26
	v_lshlrev_b32_e32 v2, 16, v0
	v_lshlrev_b32_e32 v3, 20, v28
	v_lshl_add_u32 v1, v1, 23, 0x3c000000
	v_mov_b32_e32 v110, v29
	v_and_b32_e32 v2, 0x80000000, v2
	v_or3_b32 v111, v3, v2, v1
.LBB233_449:                            ;   in Loop: Header=BB233_16 Depth=1
	s_or_b32 exec_lo, exec_lo, s25
.LBB233_450:                            ;   in Loop: Header=BB233_16 Depth=1
	s_or_b32 exec_lo, exec_lo, s24
.LBB233_451:                            ;   in Loop: Header=BB233_16 Depth=1
	s_or_b32 exec_lo, exec_lo, s23
	v_mov_b32_e32 v10, 0
	v_mov_b32_e32 v12, 0
	v_and_b32_sdwa v1, v0, v60 dst_sel:DWORD dst_unused:UNUSED_PAD src0_sel:WORD_1 src1_sel:DWORD
	v_mov_b32_e32 v11, 0
	v_mov_b32_e32 v13, 0
	s_mov_b32 s23, exec_lo
	v_cmpx_ne_u16_e32 0, v1
	s_cbranch_execz .LBB233_459
; %bb.452:                              ;   in Loop: Header=BB233_16 Depth=1
	v_bfrev_b32_e32 v12, 1
	v_mov_b32_e32 v13, 0
	s_mov_b32 s24, exec_lo
	v_cmpx_ne_u16_e32 0x80, v1
	s_cbranch_execz .LBB233_458
; %bb.453:                              ;   in Loop: Header=BB233_16 Depth=1
	v_mov_b32_e32 v12, 0x7f800001
	v_bfe_u32 v2, v0, 16, 7
	v_mov_b32_e32 v13, 0
	s_mov_b32 s25, exec_lo
	v_cmpx_ne_u32_e32 0x7f, v2
	s_cbranch_execz .LBB233_457
; %bb.454:                              ;   in Loop: Header=BB233_16 Depth=1
	v_mov_b32_e32 v1, 7
	s_mov_b32 s26, exec_lo
	v_and_b32_sdwa v28, v0, v1 dst_sel:DWORD dst_unused:UNUSED_PAD src0_sel:WORD_1 src1_sel:DWORD
	v_lshrrev_b32_e32 v1, 3, v2
	v_cmpx_gt_u32_e32 8, v2
; %bb.455:                              ;   in Loop: Header=BB233_16 Depth=1
	v_ffbh_u32_e32 v1, v28
	v_min_u32_e32 v1, 32, v1
	v_subrev_nc_u32_e32 v2, 28, v1
	v_sub_nc_u32_e32 v1, 29, v1
	v_lshlrev_b64 v[2:3], v2, v[28:29]
	v_and_b32_e32 v28, 7, v2
; %bb.456:                              ;   in Loop: Header=BB233_16 Depth=1
	s_or_b32 exec_lo, exec_lo, s26
	v_mov_b32_e32 v2, 24
	v_lshlrev_b32_e32 v3, 20, v28
	v_lshl_add_u32 v1, v1, 23, 0x3c000000
	v_lshlrev_b32_sdwa v2, v2, v0 dst_sel:DWORD dst_unused:UNUSED_PAD src0_sel:DWORD src1_sel:WORD_1
	v_and_b32_e32 v2, 0x80000000, v2
	v_or3_b32 v28, v3, v2, v1
	v_mov_b32_e32 v12, v28
	v_mov_b32_e32 v13, v29
.LBB233_457:                            ;   in Loop: Header=BB233_16 Depth=1
	s_or_b32 exec_lo, exec_lo, s25
.LBB233_458:                            ;   in Loop: Header=BB233_16 Depth=1
	s_or_b32 exec_lo, exec_lo, s24
.LBB233_459:                            ;   in Loop: Header=BB233_16 Depth=1
	s_or_b32 exec_lo, exec_lo, s23
	s_mov_b32 s23, exec_lo
	v_cmpx_lt_u32_e32 0xffffff, v0
	s_cbranch_execz .LBB233_467
; %bb.460:                              ;   in Loop: Header=BB233_16 Depth=1
	v_mov_b32_e32 v45, v29
	v_cmp_ne_u32_sdwa s5, v0, v121 src0_sel:BYTE_3 src1_sel:DWORD
	v_mov_b32_e32 v10, v45
	v_mov_b32_e32 v11, v46
	s_and_saveexec_b32 s24, s5
	s_cbranch_execz .LBB233_466
; %bb.461:                              ;   in Loop: Header=BB233_16 Depth=1
	v_mov_b32_e32 v116, v29
	v_bfe_u32 v2, v0, 24, 7
	s_mov_b32 s25, exec_lo
	v_mov_b32_e32 v10, v116
	v_mov_b32_e32 v11, v117
	v_cmpx_ne_u32_e32 0x7f, v2
	s_cbranch_execz .LBB233_465
; %bb.462:                              ;   in Loop: Header=BB233_16 Depth=1
	v_mov_b32_e32 v1, 7
	s_mov_b32 s26, exec_lo
	v_and_b32_sdwa v28, v0, v1 dst_sel:DWORD dst_unused:UNUSED_PAD src0_sel:BYTE_3 src1_sel:DWORD
	v_lshrrev_b32_e32 v1, 3, v2
	v_cmpx_gt_u32_e32 8, v2
; %bb.463:                              ;   in Loop: Header=BB233_16 Depth=1
	v_ffbh_u32_e32 v1, v28
	v_min_u32_e32 v1, 32, v1
	v_subrev_nc_u32_e32 v2, 28, v1
	v_sub_nc_u32_e32 v1, 29, v1
	v_lshlrev_b64 v[2:3], v2, v[28:29]
	v_and_b32_e32 v28, 7, v2
; %bb.464:                              ;   in Loop: Header=BB233_16 Depth=1
	s_or_b32 exec_lo, exec_lo, s26
	v_mov_b32_e32 v2, 24
	v_lshl_add_u32 v1, v1, 23, 0x3c000000
	v_mov_b32_e32 v10, v29
	v_lshlrev_b32_sdwa v0, v2, v0 dst_sel:DWORD dst_unused:UNUSED_PAD src0_sel:DWORD src1_sel:BYTE_3
	v_lshlrev_b32_e32 v2, 20, v28
	v_and_b32_e32 v0, 0x80000000, v0
	v_or3_b32 v11, v2, v0, v1
.LBB233_465:                            ;   in Loop: Header=BB233_16 Depth=1
	s_or_b32 exec_lo, exec_lo, s25
.LBB233_466:                            ;   in Loop: Header=BB233_16 Depth=1
	s_or_b32 exec_lo, exec_lo, s24
.LBB233_467:                            ;   in Loop: Header=BB233_16 Depth=1
	s_or_b32 exec_lo, exec_lo, s23
	flat_load_dword v2, v[118:119] offset:1544
	v_mov_b32_e32 v14, 0
	v_mov_b32_e32 v23, 0
	;; [unrolled: 1-line block ×4, first 2 shown]
	s_waitcnt vmcnt(0) lgkmcnt(0)
	v_cmp_ne_u16_sdwa s5, v2, v29 src0_sel:BYTE_0 src1_sel:DWORD
	s_and_saveexec_b32 s23, s5
	s_cbranch_execz .LBB233_475
; %bb.468:                              ;   in Loop: Header=BB233_16 Depth=1
	v_bfrev_b32_e32 v23, 1
	v_mov_b32_e32 v24, 0
	v_cmp_ne_u16_sdwa s5, v2, v121 src0_sel:BYTE_0 src1_sel:DWORD
	s_and_saveexec_b32 s24, s5
	s_cbranch_execz .LBB233_474
; %bb.469:                              ;   in Loop: Header=BB233_16 Depth=1
	v_mov_b32_e32 v23, 0x7f800001
	v_and_b32_e32 v1, 0x7f, v2
	v_mov_b32_e32 v24, 0
	s_mov_b32 s25, exec_lo
	v_cmpx_ne_u32_e32 0x7f, v1
	s_cbranch_execz .LBB233_473
; %bb.470:                              ;   in Loop: Header=BB233_16 Depth=1
	v_and_b32_e32 v28, 7, v2
	v_lshrrev_b32_e32 v0, 3, v1
	s_mov_b32 s26, exec_lo
	v_cmpx_gt_u32_e32 8, v1
; %bb.471:                              ;   in Loop: Header=BB233_16 Depth=1
	v_ffbh_u32_e32 v0, v28
	v_min_u32_e32 v0, 32, v0
	v_subrev_nc_u32_e32 v1, 28, v0
	v_sub_nc_u32_e32 v0, 29, v0
	v_lshlrev_b64 v[3:4], v1, v[28:29]
	v_and_b32_e32 v28, 7, v3
; %bb.472:                              ;   in Loop: Header=BB233_16 Depth=1
	s_or_b32 exec_lo, exec_lo, s26
	v_lshlrev_b32_e32 v1, 24, v2
	v_lshlrev_b32_e32 v3, 20, v28
	v_lshl_add_u32 v0, v0, 23, 0x3c000000
	v_and_b32_e32 v1, 0x80000000, v1
	v_or3_b32 v28, v3, v1, v0
	v_mov_b32_e32 v23, v28
	v_mov_b32_e32 v24, v29
.LBB233_473:                            ;   in Loop: Header=BB233_16 Depth=1
	s_or_b32 exec_lo, exec_lo, s25
.LBB233_474:                            ;   in Loop: Header=BB233_16 Depth=1
	s_or_b32 exec_lo, exec_lo, s24
.LBB233_475:                            ;   in Loop: Header=BB233_16 Depth=1
	s_or_b32 exec_lo, exec_lo, s23
	v_cmp_ne_u16_sdwa s5, v2, v29 src0_sel:BYTE_1 src1_sel:DWORD
	s_and_saveexec_b32 s23, s5
	s_cbranch_execz .LBB233_483
; %bb.476:                              ;   in Loop: Header=BB233_16 Depth=1
	v_mov_b32_e32 v45, v29
	v_cmp_ne_u16_sdwa s5, v2, v121 src0_sel:BYTE_1 src1_sel:DWORD
	v_mov_b32_e32 v14, v45
	v_mov_b32_e32 v15, v46
	s_and_saveexec_b32 s24, s5
	s_cbranch_execz .LBB233_482
; %bb.477:                              ;   in Loop: Header=BB233_16 Depth=1
	v_mov_b32_e32 v0, 0xffff
	v_mov_b32_e32 v116, v29
	s_mov_b32 s25, exec_lo
	v_and_b32_sdwa v0, v0, v2 dst_sel:DWORD dst_unused:UNUSED_PAD src0_sel:DWORD src1_sel:BYTE_1
	v_mov_b32_e32 v14, v116
	v_mov_b32_e32 v15, v117
	v_and_b32_e32 v1, 0x7f, v0
	v_cmpx_ne_u32_e32 0x7f, v1
	s_cbranch_execz .LBB233_481
; %bb.478:                              ;   in Loop: Header=BB233_16 Depth=1
	v_and_b32_e32 v28, 7, v0
	v_lshrrev_b32_e32 v0, 3, v1
	s_mov_b32 s26, exec_lo
	v_cmpx_gt_u32_e32 8, v1
; %bb.479:                              ;   in Loop: Header=BB233_16 Depth=1
	v_ffbh_u32_e32 v0, v28
	v_min_u32_e32 v0, 32, v0
	v_subrev_nc_u32_e32 v1, 28, v0
	v_sub_nc_u32_e32 v0, 29, v0
	v_lshlrev_b64 v[3:4], v1, v[28:29]
	v_and_b32_e32 v28, 7, v3
; %bb.480:                              ;   in Loop: Header=BB233_16 Depth=1
	s_or_b32 exec_lo, exec_lo, s26
	v_lshlrev_b32_e32 v1, 16, v2
	v_lshlrev_b32_e32 v3, 20, v28
	v_lshl_add_u32 v0, v0, 23, 0x3c000000
	v_mov_b32_e32 v14, v29
	v_and_b32_e32 v1, 0x80000000, v1
	v_or3_b32 v15, v3, v1, v0
.LBB233_481:                            ;   in Loop: Header=BB233_16 Depth=1
	s_or_b32 exec_lo, exec_lo, s25
.LBB233_482:                            ;   in Loop: Header=BB233_16 Depth=1
	s_or_b32 exec_lo, exec_lo, s24
.LBB233_483:                            ;   in Loop: Header=BB233_16 Depth=1
	s_or_b32 exec_lo, exec_lo, s23
	v_mov_b32_e32 v124, 0
	v_mov_b32_e32 v0, 0
	v_and_b32_sdwa v3, v2, v60 dst_sel:DWORD dst_unused:UNUSED_PAD src0_sel:WORD_1 src1_sel:DWORD
	v_mov_b32_e32 v125, 0
	v_mov_b32_e32 v1, 0
	s_mov_b32 s23, exec_lo
	v_cmpx_ne_u16_e32 0, v3
	s_cbranch_execz .LBB233_491
; %bb.484:                              ;   in Loop: Header=BB233_16 Depth=1
	v_bfrev_b32_e32 v0, 1
	v_mov_b32_e32 v1, 0
	s_mov_b32 s24, exec_lo
	v_cmpx_ne_u16_e32 0x80, v3
	s_cbranch_execz .LBB233_490
; %bb.485:                              ;   in Loop: Header=BB233_16 Depth=1
	v_mov_b32_e32 v0, 0x7f800001
	v_bfe_u32 v3, v2, 16, 7
	v_mov_b32_e32 v1, 0
	s_mov_b32 s25, exec_lo
	v_cmpx_ne_u32_e32 0x7f, v3
	s_cbranch_execz .LBB233_489
; %bb.486:                              ;   in Loop: Header=BB233_16 Depth=1
	v_mov_b32_e32 v0, 7
	s_mov_b32 s26, exec_lo
	v_and_b32_sdwa v28, v2, v0 dst_sel:DWORD dst_unused:UNUSED_PAD src0_sel:WORD_1 src1_sel:DWORD
	v_lshrrev_b32_e32 v0, 3, v3
	v_cmpx_gt_u32_e32 8, v3
; %bb.487:                              ;   in Loop: Header=BB233_16 Depth=1
	v_ffbh_u32_e32 v0, v28
	v_min_u32_e32 v0, 32, v0
	v_subrev_nc_u32_e32 v1, 28, v0
	v_sub_nc_u32_e32 v0, 29, v0
	v_lshlrev_b64 v[3:4], v1, v[28:29]
	v_and_b32_e32 v28, 7, v3
; %bb.488:                              ;   in Loop: Header=BB233_16 Depth=1
	s_or_b32 exec_lo, exec_lo, s26
	v_mov_b32_e32 v1, 24
	v_lshlrev_b32_e32 v3, 20, v28
	v_lshl_add_u32 v0, v0, 23, 0x3c000000
	v_lshlrev_b32_sdwa v1, v1, v2 dst_sel:DWORD dst_unused:UNUSED_PAD src0_sel:DWORD src1_sel:WORD_1
	v_and_b32_e32 v1, 0x80000000, v1
	v_or3_b32 v28, v3, v1, v0
	v_mov_b32_e32 v0, v28
	v_mov_b32_e32 v1, v29
.LBB233_489:                            ;   in Loop: Header=BB233_16 Depth=1
	s_or_b32 exec_lo, exec_lo, s25
.LBB233_490:                            ;   in Loop: Header=BB233_16 Depth=1
	s_or_b32 exec_lo, exec_lo, s24
.LBB233_491:                            ;   in Loop: Header=BB233_16 Depth=1
	s_or_b32 exec_lo, exec_lo, s23
	s_mov_b32 s23, exec_lo
	v_cmpx_lt_u32_e32 0xffffff, v2
	s_cbranch_execz .LBB233_499
; %bb.492:                              ;   in Loop: Header=BB233_16 Depth=1
	v_mov_b32_e32 v45, v29
	v_mov_b32_e32 v125, v46
	v_cmp_ne_u32_sdwa s5, v2, v121 src0_sel:BYTE_3 src1_sel:DWORD
	v_mov_b32_e32 v124, v45
	s_and_saveexec_b32 s24, s5
	s_cbranch_execz .LBB233_498
; %bb.493:                              ;   in Loop: Header=BB233_16 Depth=1
	v_mov_b32_e32 v116, v29
	v_mov_b32_e32 v125, v117
	v_bfe_u32 v4, v2, 24, 7
	s_mov_b32 s25, exec_lo
	v_mov_b32_e32 v124, v116
	v_cmpx_ne_u32_e32 0x7f, v4
	s_cbranch_execz .LBB233_497
; %bb.494:                              ;   in Loop: Header=BB233_16 Depth=1
	v_mov_b32_e32 v3, 7
	s_mov_b32 s26, exec_lo
	v_and_b32_sdwa v28, v2, v3 dst_sel:DWORD dst_unused:UNUSED_PAD src0_sel:BYTE_3 src1_sel:DWORD
	v_lshrrev_b32_e32 v3, 3, v4
	v_cmpx_gt_u32_e32 8, v4
; %bb.495:                              ;   in Loop: Header=BB233_16 Depth=1
	v_ffbh_u32_e32 v3, v28
	v_min_u32_e32 v3, 32, v3
	v_subrev_nc_u32_e32 v4, 28, v3
	v_sub_nc_u32_e32 v3, 29, v3
	v_lshlrev_b64 v[4:5], v4, v[28:29]
	v_and_b32_e32 v28, 7, v4
; %bb.496:                              ;   in Loop: Header=BB233_16 Depth=1
	s_or_b32 exec_lo, exec_lo, s26
	v_mov_b32_e32 v4, 24
	v_lshl_add_u32 v3, v3, 23, 0x3c000000
	v_mov_b32_e32 v124, v29
	v_lshlrev_b32_sdwa v2, v4, v2 dst_sel:DWORD dst_unused:UNUSED_PAD src0_sel:DWORD src1_sel:BYTE_3
	v_lshlrev_b32_e32 v4, 20, v28
	v_and_b32_e32 v2, 0x80000000, v2
	v_or3_b32 v125, v4, v2, v3
.LBB233_497:                            ;   in Loop: Header=BB233_16 Depth=1
	s_or_b32 exec_lo, exec_lo, s25
.LBB233_498:                            ;   in Loop: Header=BB233_16 Depth=1
	s_or_b32 exec_lo, exec_lo, s24
.LBB233_499:                            ;   in Loop: Header=BB233_16 Depth=1
	s_or_b32 exec_lo, exec_lo, s23
	flat_load_dword v4, v[118:119] offset:1548
	v_mov_b32_e32 v2, 0
	v_mov_b32_e32 v6, 0
	;; [unrolled: 1-line block ×4, first 2 shown]
	s_waitcnt vmcnt(0) lgkmcnt(0)
	v_cmp_ne_u16_sdwa s5, v4, v29 src0_sel:BYTE_0 src1_sel:DWORD
	s_and_saveexec_b32 s23, s5
	s_cbranch_execz .LBB233_507
; %bb.500:                              ;   in Loop: Header=BB233_16 Depth=1
	v_bfrev_b32_e32 v6, 1
	v_mov_b32_e32 v7, 0
	v_cmp_ne_u16_sdwa s5, v4, v121 src0_sel:BYTE_0 src1_sel:DWORD
	s_and_saveexec_b32 s24, s5
	s_cbranch_execz .LBB233_506
; %bb.501:                              ;   in Loop: Header=BB233_16 Depth=1
	v_mov_b32_e32 v6, 0x7f800001
	v_and_b32_e32 v8, 0x7f, v4
	v_mov_b32_e32 v7, 0
	s_mov_b32 s25, exec_lo
	v_cmpx_ne_u32_e32 0x7f, v8
	s_cbranch_execz .LBB233_505
; %bb.502:                              ;   in Loop: Header=BB233_16 Depth=1
	v_and_b32_e32 v28, 7, v4
	v_lshrrev_b32_e32 v5, 3, v8
	s_mov_b32 s26, exec_lo
	v_cmpx_gt_u32_e32 8, v8
; %bb.503:                              ;   in Loop: Header=BB233_16 Depth=1
	v_ffbh_u32_e32 v5, v28
	v_min_u32_e32 v5, 32, v5
	v_subrev_nc_u32_e32 v6, 28, v5
	v_sub_nc_u32_e32 v5, 29, v5
	v_lshlrev_b64 v[6:7], v6, v[28:29]
	v_and_b32_e32 v28, 7, v6
; %bb.504:                              ;   in Loop: Header=BB233_16 Depth=1
	s_or_b32 exec_lo, exec_lo, s26
	v_lshlrev_b32_e32 v6, 24, v4
	v_lshlrev_b32_e32 v7, 20, v28
	v_lshl_add_u32 v5, v5, 23, 0x3c000000
	v_and_b32_e32 v6, 0x80000000, v6
	v_or3_b32 v28, v7, v6, v5
	v_mov_b32_e32 v6, v28
	v_mov_b32_e32 v7, v29
.LBB233_505:                            ;   in Loop: Header=BB233_16 Depth=1
	s_or_b32 exec_lo, exec_lo, s25
.LBB233_506:                            ;   in Loop: Header=BB233_16 Depth=1
	s_or_b32 exec_lo, exec_lo, s24
.LBB233_507:                            ;   in Loop: Header=BB233_16 Depth=1
	s_or_b32 exec_lo, exec_lo, s23
	v_cmp_ne_u16_sdwa s5, v4, v29 src0_sel:BYTE_1 src1_sel:DWORD
	s_and_saveexec_b32 s23, s5
	s_cbranch_execz .LBB233_515
; %bb.508:                              ;   in Loop: Header=BB233_16 Depth=1
	v_mov_b32_e32 v45, v29
	v_cmp_ne_u16_sdwa s5, v4, v121 src0_sel:BYTE_1 src1_sel:DWORD
	v_mov_b32_e32 v2, v45
	v_mov_b32_e32 v3, v46
	s_and_saveexec_b32 s24, s5
	s_cbranch_execz .LBB233_514
; %bb.509:                              ;   in Loop: Header=BB233_16 Depth=1
	v_mov_b32_e32 v2, 0xffff
	v_mov_b32_e32 v116, v29
	s_mov_b32 s25, exec_lo
	v_and_b32_sdwa v8, v2, v4 dst_sel:DWORD dst_unused:UNUSED_PAD src0_sel:DWORD src1_sel:BYTE_1
	v_mov_b32_e32 v2, v116
	v_mov_b32_e32 v3, v117
	v_and_b32_e32 v5, 0x7f, v8
	v_cmpx_ne_u32_e32 0x7f, v5
	s_cbranch_execz .LBB233_513
; %bb.510:                              ;   in Loop: Header=BB233_16 Depth=1
	v_and_b32_e32 v28, 7, v8
	v_lshrrev_b32_e32 v2, 3, v5
	s_mov_b32 s26, exec_lo
	v_cmpx_gt_u32_e32 8, v5
; %bb.511:                              ;   in Loop: Header=BB233_16 Depth=1
	v_ffbh_u32_e32 v2, v28
	v_min_u32_e32 v2, 32, v2
	v_subrev_nc_u32_e32 v3, 28, v2
	v_sub_nc_u32_e32 v2, 29, v2
	v_lshlrev_b64 v[8:9], v3, v[28:29]
	v_and_b32_e32 v28, 7, v8
; %bb.512:                              ;   in Loop: Header=BB233_16 Depth=1
	s_or_b32 exec_lo, exec_lo, s26
	v_lshlrev_b32_e32 v3, 16, v4
	v_lshlrev_b32_e32 v5, 20, v28
	v_lshl_add_u32 v2, v2, 23, 0x3c000000
	v_and_b32_e32 v3, 0x80000000, v3
	v_or3_b32 v3, v5, v3, v2
	v_mov_b32_e32 v2, v29
.LBB233_513:                            ;   in Loop: Header=BB233_16 Depth=1
	s_or_b32 exec_lo, exec_lo, s25
.LBB233_514:                            ;   in Loop: Header=BB233_16 Depth=1
	s_or_b32 exec_lo, exec_lo, s24
.LBB233_515:                            ;   in Loop: Header=BB233_16 Depth=1
	s_or_b32 exec_lo, exec_lo, s23
	v_mov_b32_e32 v8, 0
	v_mov_b32_e32 v20, 0
	v_and_b32_sdwa v5, v4, v60 dst_sel:DWORD dst_unused:UNUSED_PAD src0_sel:WORD_1 src1_sel:DWORD
	v_mov_b32_e32 v9, 0
	v_mov_b32_e32 v21, 0
	s_mov_b32 s23, exec_lo
	v_cmpx_ne_u16_e32 0, v5
	s_cbranch_execz .LBB233_523
; %bb.516:                              ;   in Loop: Header=BB233_16 Depth=1
	v_bfrev_b32_e32 v20, 1
	v_mov_b32_e32 v21, 0
	s_mov_b32 s24, exec_lo
	v_cmpx_ne_u16_e32 0x80, v5
	s_cbranch_execz .LBB233_522
; %bb.517:                              ;   in Loop: Header=BB233_16 Depth=1
	v_mov_b32_e32 v20, 0x7f800001
	v_bfe_u32 v16, v4, 16, 7
	v_mov_b32_e32 v21, 0
	s_mov_b32 s25, exec_lo
	v_cmpx_ne_u32_e32 0x7f, v16
	s_cbranch_execz .LBB233_521
; %bb.518:                              ;   in Loop: Header=BB233_16 Depth=1
	v_mov_b32_e32 v5, 7
	s_mov_b32 s26, exec_lo
	v_and_b32_sdwa v28, v4, v5 dst_sel:DWORD dst_unused:UNUSED_PAD src0_sel:WORD_1 src1_sel:DWORD
	v_lshrrev_b32_e32 v5, 3, v16
	v_cmpx_gt_u32_e32 8, v16
; %bb.519:                              ;   in Loop: Header=BB233_16 Depth=1
	v_ffbh_u32_e32 v5, v28
	v_min_u32_e32 v5, 32, v5
	v_subrev_nc_u32_e32 v16, 28, v5
	v_sub_nc_u32_e32 v5, 29, v5
	v_lshlrev_b64 v[16:17], v16, v[28:29]
	v_and_b32_e32 v28, 7, v16
; %bb.520:                              ;   in Loop: Header=BB233_16 Depth=1
	s_or_b32 exec_lo, exec_lo, s26
	v_mov_b32_e32 v16, 24
	v_lshlrev_b32_e32 v17, 20, v28
	v_lshl_add_u32 v5, v5, 23, 0x3c000000
	v_lshlrev_b32_sdwa v16, v16, v4 dst_sel:DWORD dst_unused:UNUSED_PAD src0_sel:DWORD src1_sel:WORD_1
	v_and_b32_e32 v16, 0x80000000, v16
	v_or3_b32 v28, v17, v16, v5
	v_mov_b32_e32 v20, v28
	v_mov_b32_e32 v21, v29
.LBB233_521:                            ;   in Loop: Header=BB233_16 Depth=1
	s_or_b32 exec_lo, exec_lo, s25
.LBB233_522:                            ;   in Loop: Header=BB233_16 Depth=1
	s_or_b32 exec_lo, exec_lo, s24
.LBB233_523:                            ;   in Loop: Header=BB233_16 Depth=1
	s_or_b32 exec_lo, exec_lo, s23
	s_mov_b32 s23, exec_lo
	v_cmpx_lt_u32_e32 0xffffff, v4
	s_cbranch_execz .LBB233_531
; %bb.524:                              ;   in Loop: Header=BB233_16 Depth=1
	v_mov_b32_e32 v45, v29
	v_cmp_ne_u32_sdwa s5, v4, v121 src0_sel:BYTE_3 src1_sel:DWORD
	v_mov_b32_e32 v8, v45
	v_mov_b32_e32 v9, v46
	s_and_saveexec_b32 s24, s5
	s_cbranch_execz .LBB233_530
; %bb.525:                              ;   in Loop: Header=BB233_16 Depth=1
	v_mov_b32_e32 v116, v29
	v_bfe_u32 v16, v4, 24, 7
	s_mov_b32 s25, exec_lo
	v_mov_b32_e32 v8, v116
	v_mov_b32_e32 v9, v117
	v_cmpx_ne_u32_e32 0x7f, v16
	s_cbranch_execz .LBB233_529
; %bb.526:                              ;   in Loop: Header=BB233_16 Depth=1
	v_mov_b32_e32 v5, 7
	s_mov_b32 s26, exec_lo
	v_and_b32_sdwa v28, v4, v5 dst_sel:DWORD dst_unused:UNUSED_PAD src0_sel:BYTE_3 src1_sel:DWORD
	v_lshrrev_b32_e32 v5, 3, v16
	v_cmpx_gt_u32_e32 8, v16
; %bb.527:                              ;   in Loop: Header=BB233_16 Depth=1
	v_ffbh_u32_e32 v5, v28
	v_min_u32_e32 v5, 32, v5
	v_subrev_nc_u32_e32 v8, 28, v5
	v_sub_nc_u32_e32 v5, 29, v5
	v_lshlrev_b64 v[8:9], v8, v[28:29]
	v_and_b32_e32 v28, 7, v8
; %bb.528:                              ;   in Loop: Header=BB233_16 Depth=1
	s_or_b32 exec_lo, exec_lo, s26
	v_mov_b32_e32 v8, 24
	v_lshl_add_u32 v5, v5, 23, 0x3c000000
	v_lshlrev_b32_sdwa v4, v8, v4 dst_sel:DWORD dst_unused:UNUSED_PAD src0_sel:DWORD src1_sel:BYTE_3
	v_lshlrev_b32_e32 v8, 20, v28
	v_and_b32_e32 v4, 0x80000000, v4
	v_or3_b32 v9, v8, v4, v5
	v_mov_b32_e32 v8, v29
.LBB233_529:                            ;   in Loop: Header=BB233_16 Depth=1
	s_or_b32 exec_lo, exec_lo, s25
.LBB233_530:                            ;   in Loop: Header=BB233_16 Depth=1
	s_or_b32 exec_lo, exec_lo, s24
.LBB233_531:                            ;   in Loop: Header=BB233_16 Depth=1
	s_or_b32 exec_lo, exec_lo, s23
	v_add_co_u32 v16, s5, 0x800, v118
	v_add_co_ci_u32_e64 v17, null, 0, v119, s5
	v_mov_b32_e32 v30, 0
	v_mov_b32_e32 v118, 0
	;; [unrolled: 1-line block ×3, first 2 shown]
	flat_load_dword v4, v[16:17]
	v_mov_b32_e32 v119, 0
	s_waitcnt vmcnt(0) lgkmcnt(0)
	v_cmp_ne_u16_sdwa s5, v4, v29 src0_sel:BYTE_0 src1_sel:DWORD
	s_and_saveexec_b32 s23, s5
	s_cbranch_execz .LBB233_539
; %bb.532:                              ;   in Loop: Header=BB233_16 Depth=1
	v_bfrev_b32_e32 v118, 1
	v_mov_b32_e32 v119, 0
	v_cmp_ne_u16_sdwa s5, v4, v121 src0_sel:BYTE_0 src1_sel:DWORD
	s_and_saveexec_b32 s24, s5
	s_cbranch_execz .LBB233_538
; %bb.533:                              ;   in Loop: Header=BB233_16 Depth=1
	v_mov_b32_e32 v118, 0x7f800001
	v_and_b32_e32 v18, 0x7f, v4
	v_mov_b32_e32 v119, 0
	s_mov_b32 s25, exec_lo
	v_cmpx_ne_u32_e32 0x7f, v18
	s_cbranch_execz .LBB233_537
; %bb.534:                              ;   in Loop: Header=BB233_16 Depth=1
	v_and_b32_e32 v28, 7, v4
	v_lshrrev_b32_e32 v5, 3, v18
	s_mov_b32 s26, exec_lo
	v_cmpx_gt_u32_e32 8, v18
; %bb.535:                              ;   in Loop: Header=BB233_16 Depth=1
	v_ffbh_u32_e32 v5, v28
	v_min_u32_e32 v5, 32, v5
	v_subrev_nc_u32_e32 v18, 28, v5
	v_sub_nc_u32_e32 v5, 29, v5
	v_lshlrev_b64 v[18:19], v18, v[28:29]
	v_and_b32_e32 v28, 7, v18
; %bb.536:                              ;   in Loop: Header=BB233_16 Depth=1
	s_or_b32 exec_lo, exec_lo, s26
	v_lshlrev_b32_e32 v18, 24, v4
	v_lshlrev_b32_e32 v19, 20, v28
	v_lshl_add_u32 v5, v5, 23, 0x3c000000
	v_and_b32_e32 v18, 0x80000000, v18
	v_or3_b32 v28, v19, v18, v5
	v_mov_b32_e32 v119, v29
	v_mov_b32_e32 v118, v28
.LBB233_537:                            ;   in Loop: Header=BB233_16 Depth=1
	s_or_b32 exec_lo, exec_lo, s25
.LBB233_538:                            ;   in Loop: Header=BB233_16 Depth=1
	s_or_b32 exec_lo, exec_lo, s24
.LBB233_539:                            ;   in Loop: Header=BB233_16 Depth=1
	s_or_b32 exec_lo, exec_lo, s23
	v_cmp_ne_u16_sdwa s5, v4, v29 src0_sel:BYTE_1 src1_sel:DWORD
	s_and_saveexec_b32 s23, s5
	s_cbranch_execz .LBB233_547
; %bb.540:                              ;   in Loop: Header=BB233_16 Depth=1
	v_mov_b32_e32 v45, v29
	v_cmp_ne_u16_sdwa s5, v4, v121 src0_sel:BYTE_1 src1_sel:DWORD
	v_mov_b32_e32 v30, v45
	v_mov_b32_e32 v31, v46
	s_and_saveexec_b32 s24, s5
	s_cbranch_execz .LBB233_546
; %bb.541:                              ;   in Loop: Header=BB233_16 Depth=1
	v_mov_b32_e32 v5, 0xffff
	v_mov_b32_e32 v116, v29
	s_mov_b32 s25, exec_lo
	v_and_b32_sdwa v5, v5, v4 dst_sel:DWORD dst_unused:UNUSED_PAD src0_sel:DWORD src1_sel:BYTE_1
	v_mov_b32_e32 v30, v116
	v_mov_b32_e32 v31, v117
	v_and_b32_e32 v18, 0x7f, v5
	v_cmpx_ne_u32_e32 0x7f, v18
	s_cbranch_execz .LBB233_545
; %bb.542:                              ;   in Loop: Header=BB233_16 Depth=1
	v_and_b32_e32 v28, 7, v5
	v_lshrrev_b32_e32 v5, 3, v18
	s_mov_b32 s26, exec_lo
	v_cmpx_gt_u32_e32 8, v18
; %bb.543:                              ;   in Loop: Header=BB233_16 Depth=1
	v_ffbh_u32_e32 v5, v28
	v_min_u32_e32 v5, 32, v5
	v_subrev_nc_u32_e32 v18, 28, v5
	v_sub_nc_u32_e32 v5, 29, v5
	v_lshlrev_b64 v[18:19], v18, v[28:29]
	v_and_b32_e32 v28, 7, v18
; %bb.544:                              ;   in Loop: Header=BB233_16 Depth=1
	s_or_b32 exec_lo, exec_lo, s26
	v_lshlrev_b32_e32 v18, 16, v4
	v_lshlrev_b32_e32 v19, 20, v28
	v_lshl_add_u32 v5, v5, 23, 0x3c000000
	v_mov_b32_e32 v30, v29
	v_and_b32_e32 v18, 0x80000000, v18
	v_or3_b32 v31, v19, v18, v5
.LBB233_545:                            ;   in Loop: Header=BB233_16 Depth=1
	s_or_b32 exec_lo, exec_lo, s25
.LBB233_546:                            ;   in Loop: Header=BB233_16 Depth=1
	s_or_b32 exec_lo, exec_lo, s24
.LBB233_547:                            ;   in Loop: Header=BB233_16 Depth=1
	s_or_b32 exec_lo, exec_lo, s23
	v_mov_b32_e32 v25, 0
	v_mov_b32_e32 v32, 0
	v_and_b32_sdwa v5, v4, v60 dst_sel:DWORD dst_unused:UNUSED_PAD src0_sel:WORD_1 src1_sel:DWORD
	v_mov_b32_e32 v26, 0
	v_mov_b32_e32 v33, 0
	s_mov_b32 s23, exec_lo
	v_cmpx_ne_u16_e32 0, v5
	s_cbranch_execz .LBB233_555
; %bb.548:                              ;   in Loop: Header=BB233_16 Depth=1
	v_bfrev_b32_e32 v32, 1
	v_mov_b32_e32 v33, 0
	s_mov_b32 s24, exec_lo
	v_cmpx_ne_u16_e32 0x80, v5
	s_cbranch_execz .LBB233_554
; %bb.549:                              ;   in Loop: Header=BB233_16 Depth=1
	v_mov_b32_e32 v32, 0x7f800001
	v_bfe_u32 v18, v4, 16, 7
	v_mov_b32_e32 v33, 0
	s_mov_b32 s25, exec_lo
	v_cmpx_ne_u32_e32 0x7f, v18
	s_cbranch_execz .LBB233_553
; %bb.550:                              ;   in Loop: Header=BB233_16 Depth=1
	v_mov_b32_e32 v5, 7
	s_mov_b32 s26, exec_lo
	v_and_b32_sdwa v28, v4, v5 dst_sel:DWORD dst_unused:UNUSED_PAD src0_sel:WORD_1 src1_sel:DWORD
	v_lshrrev_b32_e32 v5, 3, v18
	v_cmpx_gt_u32_e32 8, v18
; %bb.551:                              ;   in Loop: Header=BB233_16 Depth=1
	v_ffbh_u32_e32 v5, v28
	v_min_u32_e32 v5, 32, v5
	v_subrev_nc_u32_e32 v18, 28, v5
	v_sub_nc_u32_e32 v5, 29, v5
	v_lshlrev_b64 v[18:19], v18, v[28:29]
	v_and_b32_e32 v28, 7, v18
; %bb.552:                              ;   in Loop: Header=BB233_16 Depth=1
	s_or_b32 exec_lo, exec_lo, s26
	v_mov_b32_e32 v18, 24
	v_lshlrev_b32_e32 v19, 20, v28
	v_lshl_add_u32 v5, v5, 23, 0x3c000000
	v_lshlrev_b32_sdwa v18, v18, v4 dst_sel:DWORD dst_unused:UNUSED_PAD src0_sel:DWORD src1_sel:WORD_1
	v_and_b32_e32 v18, 0x80000000, v18
	v_or3_b32 v28, v19, v18, v5
	v_mov_b32_e32 v33, v29
	v_mov_b32_e32 v32, v28
.LBB233_553:                            ;   in Loop: Header=BB233_16 Depth=1
	s_or_b32 exec_lo, exec_lo, s25
.LBB233_554:                            ;   in Loop: Header=BB233_16 Depth=1
	s_or_b32 exec_lo, exec_lo, s24
.LBB233_555:                            ;   in Loop: Header=BB233_16 Depth=1
	s_or_b32 exec_lo, exec_lo, s23
	s_mov_b32 s23, exec_lo
	v_cmpx_lt_u32_e32 0xffffff, v4
	s_cbranch_execz .LBB233_563
; %bb.556:                              ;   in Loop: Header=BB233_16 Depth=1
	v_mov_b32_e32 v45, v29
	v_cmp_ne_u32_sdwa s5, v4, v121 src0_sel:BYTE_3 src1_sel:DWORD
	v_mov_b32_e32 v25, v45
	v_mov_b32_e32 v26, v46
	s_and_saveexec_b32 s24, s5
	s_cbranch_execz .LBB233_562
; %bb.557:                              ;   in Loop: Header=BB233_16 Depth=1
	v_mov_b32_e32 v116, v29
	v_bfe_u32 v18, v4, 24, 7
	s_mov_b32 s25, exec_lo
	v_mov_b32_e32 v25, v116
	v_mov_b32_e32 v26, v117
	v_cmpx_ne_u32_e32 0x7f, v18
	s_cbranch_execz .LBB233_561
; %bb.558:                              ;   in Loop: Header=BB233_16 Depth=1
	v_mov_b32_e32 v5, 7
	s_mov_b32 s26, exec_lo
	v_and_b32_sdwa v28, v4, v5 dst_sel:DWORD dst_unused:UNUSED_PAD src0_sel:BYTE_3 src1_sel:DWORD
	v_lshrrev_b32_e32 v5, 3, v18
	v_cmpx_gt_u32_e32 8, v18
; %bb.559:                              ;   in Loop: Header=BB233_16 Depth=1
	v_ffbh_u32_e32 v5, v28
	v_min_u32_e32 v5, 32, v5
	v_subrev_nc_u32_e32 v18, 28, v5
	v_sub_nc_u32_e32 v5, 29, v5
	v_lshlrev_b64 v[18:19], v18, v[28:29]
	v_and_b32_e32 v28, 7, v18
; %bb.560:                              ;   in Loop: Header=BB233_16 Depth=1
	s_or_b32 exec_lo, exec_lo, s26
	v_mov_b32_e32 v18, 24
	v_lshl_add_u32 v5, v5, 23, 0x3c000000
	v_mov_b32_e32 v25, v29
	v_lshlrev_b32_sdwa v4, v18, v4 dst_sel:DWORD dst_unused:UNUSED_PAD src0_sel:DWORD src1_sel:BYTE_3
	v_lshlrev_b32_e32 v18, 20, v28
	v_and_b32_e32 v4, 0x80000000, v4
	v_or3_b32 v26, v18, v4, v5
.LBB233_561:                            ;   in Loop: Header=BB233_16 Depth=1
	s_or_b32 exec_lo, exec_lo, s25
.LBB233_562:                            ;   in Loop: Header=BB233_16 Depth=1
	s_or_b32 exec_lo, exec_lo, s24
.LBB233_563:                            ;   in Loop: Header=BB233_16 Depth=1
	s_or_b32 exec_lo, exec_lo, s23
	flat_load_dword v4, v[16:17] offset:4
	v_mov_b32_e32 v18, 0
	v_mov_b32_e32 v48, 0
	;; [unrolled: 1-line block ×4, first 2 shown]
	s_waitcnt vmcnt(0) lgkmcnt(0)
	v_cmp_ne_u16_sdwa s5, v4, v29 src0_sel:BYTE_0 src1_sel:DWORD
	s_and_saveexec_b32 s23, s5
	s_cbranch_execz .LBB233_571
; %bb.564:                              ;   in Loop: Header=BB233_16 Depth=1
	v_bfrev_b32_e32 v48, 1
	v_mov_b32_e32 v49, 0
	v_cmp_ne_u16_sdwa s5, v4, v121 src0_sel:BYTE_0 src1_sel:DWORD
	s_and_saveexec_b32 s24, s5
	s_cbranch_execz .LBB233_570
; %bb.565:                              ;   in Loop: Header=BB233_16 Depth=1
	v_mov_b32_e32 v48, 0x7f800001
	v_and_b32_e32 v34, 0x7f, v4
	v_mov_b32_e32 v49, 0
	s_mov_b32 s25, exec_lo
	v_cmpx_ne_u32_e32 0x7f, v34
	s_cbranch_execz .LBB233_569
; %bb.566:                              ;   in Loop: Header=BB233_16 Depth=1
	v_and_b32_e32 v28, 7, v4
	v_lshrrev_b32_e32 v5, 3, v34
	s_mov_b32 s26, exec_lo
	v_cmpx_gt_u32_e32 8, v34
; %bb.567:                              ;   in Loop: Header=BB233_16 Depth=1
	v_ffbh_u32_e32 v5, v28
	v_min_u32_e32 v5, 32, v5
	v_subrev_nc_u32_e32 v34, 28, v5
	v_sub_nc_u32_e32 v5, 29, v5
	v_lshlrev_b64 v[34:35], v34, v[28:29]
	v_and_b32_e32 v28, 7, v34
; %bb.568:                              ;   in Loop: Header=BB233_16 Depth=1
	s_or_b32 exec_lo, exec_lo, s26
	v_lshlrev_b32_e32 v34, 24, v4
	v_lshlrev_b32_e32 v28, 20, v28
	v_lshl_add_u32 v5, v5, 23, 0x3c000000
	v_and_b32_e32 v34, 0x80000000, v34
	v_or3_b32 v28, v28, v34, v5
	v_mov_b32_e32 v49, v29
	v_mov_b32_e32 v48, v28
.LBB233_569:                            ;   in Loop: Header=BB233_16 Depth=1
	s_or_b32 exec_lo, exec_lo, s25
.LBB233_570:                            ;   in Loop: Header=BB233_16 Depth=1
	s_or_b32 exec_lo, exec_lo, s24
.LBB233_571:                            ;   in Loop: Header=BB233_16 Depth=1
	s_or_b32 exec_lo, exec_lo, s23
	v_cmp_ne_u16_sdwa s5, v4, v29 src0_sel:BYTE_1 src1_sel:DWORD
	s_and_saveexec_b32 s23, s5
	s_cbranch_execz .LBB233_579
; %bb.572:                              ;   in Loop: Header=BB233_16 Depth=1
	v_mov_b32_e32 v45, v29
	v_cmp_ne_u16_sdwa s5, v4, v121 src0_sel:BYTE_1 src1_sel:DWORD
	v_mov_b32_e32 v18, v45
	v_mov_b32_e32 v19, v46
	s_and_saveexec_b32 s24, s5
	s_cbranch_execz .LBB233_578
; %bb.573:                              ;   in Loop: Header=BB233_16 Depth=1
	v_mov_b32_e32 v5, 0xffff
	v_mov_b32_e32 v116, v29
	s_mov_b32 s25, exec_lo
	v_and_b32_sdwa v5, v5, v4 dst_sel:DWORD dst_unused:UNUSED_PAD src0_sel:DWORD src1_sel:BYTE_1
	v_mov_b32_e32 v18, v116
	v_mov_b32_e32 v19, v117
	v_and_b32_e32 v34, 0x7f, v5
	v_cmpx_ne_u32_e32 0x7f, v34
	s_cbranch_execz .LBB233_577
; %bb.574:                              ;   in Loop: Header=BB233_16 Depth=1
	v_and_b32_e32 v28, 7, v5
	v_lshrrev_b32_e32 v5, 3, v34
	s_mov_b32 s26, exec_lo
	v_cmpx_gt_u32_e32 8, v34
; %bb.575:                              ;   in Loop: Header=BB233_16 Depth=1
	v_ffbh_u32_e32 v5, v28
	v_min_u32_e32 v5, 32, v5
	v_subrev_nc_u32_e32 v18, 28, v5
	v_sub_nc_u32_e32 v5, 29, v5
	v_lshlrev_b64 v[18:19], v18, v[28:29]
	v_and_b32_e32 v28, 7, v18
; %bb.576:                              ;   in Loop: Header=BB233_16 Depth=1
	s_or_b32 exec_lo, exec_lo, s26
	v_lshlrev_b32_e32 v18, 16, v4
	v_lshlrev_b32_e32 v19, 20, v28
	v_lshl_add_u32 v5, v5, 23, 0x3c000000
	v_and_b32_e32 v18, 0x80000000, v18
	v_or3_b32 v19, v19, v18, v5
	v_mov_b32_e32 v18, v29
.LBB233_577:                            ;   in Loop: Header=BB233_16 Depth=1
	s_or_b32 exec_lo, exec_lo, s25
.LBB233_578:                            ;   in Loop: Header=BB233_16 Depth=1
	s_or_b32 exec_lo, exec_lo, s24
.LBB233_579:                            ;   in Loop: Header=BB233_16 Depth=1
	s_or_b32 exec_lo, exec_lo, s23
	v_mov_b32_e32 v50, 0
	v_mov_b32_e32 v34, 0
	v_and_b32_sdwa v5, v4, v60 dst_sel:DWORD dst_unused:UNUSED_PAD src0_sel:WORD_1 src1_sel:DWORD
	v_mov_b32_e32 v51, 0
	v_mov_b32_e32 v35, 0
	s_mov_b32 s23, exec_lo
	v_cmpx_ne_u16_e32 0, v5
	s_cbranch_execz .LBB233_587
; %bb.580:                              ;   in Loop: Header=BB233_16 Depth=1
	v_bfrev_b32_e32 v34, 1
	v_mov_b32_e32 v35, 0
	s_mov_b32 s24, exec_lo
	v_cmpx_ne_u16_e32 0x80, v5
	s_cbranch_execz .LBB233_586
; %bb.581:                              ;   in Loop: Header=BB233_16 Depth=1
	v_mov_b32_e32 v34, 0x7f800001
	v_bfe_u32 v36, v4, 16, 7
	v_mov_b32_e32 v35, 0
	s_mov_b32 s25, exec_lo
	v_cmpx_ne_u32_e32 0x7f, v36
	s_cbranch_execz .LBB233_585
; %bb.582:                              ;   in Loop: Header=BB233_16 Depth=1
	v_mov_b32_e32 v5, 7
	s_mov_b32 s26, exec_lo
	v_and_b32_sdwa v28, v4, v5 dst_sel:DWORD dst_unused:UNUSED_PAD src0_sel:WORD_1 src1_sel:DWORD
	v_lshrrev_b32_e32 v5, 3, v36
	v_cmpx_gt_u32_e32 8, v36
; %bb.583:                              ;   in Loop: Header=BB233_16 Depth=1
	v_ffbh_u32_e32 v5, v28
	v_min_u32_e32 v5, 32, v5
	v_subrev_nc_u32_e32 v34, 28, v5
	v_sub_nc_u32_e32 v5, 29, v5
	v_lshlrev_b64 v[34:35], v34, v[28:29]
	v_and_b32_e32 v28, 7, v34
; %bb.584:                              ;   in Loop: Header=BB233_16 Depth=1
	s_or_b32 exec_lo, exec_lo, s26
	v_mov_b32_e32 v34, 24
	v_lshlrev_b32_e32 v28, 20, v28
	v_lshl_add_u32 v5, v5, 23, 0x3c000000
	v_lshlrev_b32_sdwa v34, v34, v4 dst_sel:DWORD dst_unused:UNUSED_PAD src0_sel:DWORD src1_sel:WORD_1
	v_and_b32_e32 v34, 0x80000000, v34
	v_or3_b32 v28, v28, v34, v5
	v_mov_b32_e32 v35, v29
	v_mov_b32_e32 v34, v28
.LBB233_585:                            ;   in Loop: Header=BB233_16 Depth=1
	s_or_b32 exec_lo, exec_lo, s25
.LBB233_586:                            ;   in Loop: Header=BB233_16 Depth=1
	s_or_b32 exec_lo, exec_lo, s24
.LBB233_587:                            ;   in Loop: Header=BB233_16 Depth=1
	s_or_b32 exec_lo, exec_lo, s23
	s_mov_b32 s23, exec_lo
	v_cmpx_lt_u32_e32 0xffffff, v4
	s_cbranch_execz .LBB233_595
; %bb.588:                              ;   in Loop: Header=BB233_16 Depth=1
	v_mov_b32_e32 v45, v29
	v_mov_b32_e32 v51, v46
	v_cmp_ne_u32_sdwa s5, v4, v121 src0_sel:BYTE_3 src1_sel:DWORD
	v_mov_b32_e32 v50, v45
	s_and_saveexec_b32 s24, s5
	s_cbranch_execz .LBB233_594
; %bb.589:                              ;   in Loop: Header=BB233_16 Depth=1
	v_mov_b32_e32 v116, v29
	v_bfe_u32 v36, v4, 24, 7
	s_mov_b32 s25, exec_lo
	v_mov_b32_e32 v50, v116
	v_mov_b32_e32 v51, v117
	v_cmpx_ne_u32_e32 0x7f, v36
	s_cbranch_execz .LBB233_593
; %bb.590:                              ;   in Loop: Header=BB233_16 Depth=1
	v_mov_b32_e32 v5, 7
	s_mov_b32 s26, exec_lo
	v_and_b32_sdwa v28, v4, v5 dst_sel:DWORD dst_unused:UNUSED_PAD src0_sel:BYTE_3 src1_sel:DWORD
	v_lshrrev_b32_e32 v5, 3, v36
	v_cmpx_gt_u32_e32 8, v36
; %bb.591:                              ;   in Loop: Header=BB233_16 Depth=1
	v_ffbh_u32_e32 v5, v28
	v_min_u32_e32 v5, 32, v5
	v_subrev_nc_u32_e32 v36, 28, v5
	v_sub_nc_u32_e32 v5, 29, v5
	v_lshlrev_b64 v[36:37], v36, v[28:29]
	v_and_b32_e32 v28, 7, v36
; %bb.592:                              ;   in Loop: Header=BB233_16 Depth=1
	s_or_b32 exec_lo, exec_lo, s26
	v_mov_b32_e32 v36, 24
	v_lshlrev_b32_e32 v28, 20, v28
	v_lshl_add_u32 v5, v5, 23, 0x3c000000
	v_mov_b32_e32 v50, v29
	v_lshlrev_b32_sdwa v4, v36, v4 dst_sel:DWORD dst_unused:UNUSED_PAD src0_sel:DWORD src1_sel:BYTE_3
	v_and_b32_e32 v4, 0x80000000, v4
	v_or3_b32 v51, v28, v4, v5
.LBB233_593:                            ;   in Loop: Header=BB233_16 Depth=1
	s_or_b32 exec_lo, exec_lo, s25
.LBB233_594:                            ;   in Loop: Header=BB233_16 Depth=1
	s_or_b32 exec_lo, exec_lo, s24
.LBB233_595:                            ;   in Loop: Header=BB233_16 Depth=1
	s_or_b32 exec_lo, exec_lo, s23
	flat_load_dword v4, v[16:17] offset:8
	v_mov_b32_e32 v36, 0
	v_mov_b32_e32 v64, 0
	;; [unrolled: 1-line block ×4, first 2 shown]
	s_waitcnt vmcnt(0) lgkmcnt(0)
	v_cmp_ne_u16_sdwa s5, v4, v29 src0_sel:BYTE_0 src1_sel:DWORD
	s_and_saveexec_b32 s23, s5
	s_cbranch_execz .LBB233_603
; %bb.596:                              ;   in Loop: Header=BB233_16 Depth=1
	v_bfrev_b32_e32 v64, 1
	v_mov_b32_e32 v65, 0
	v_cmp_ne_u16_sdwa s5, v4, v121 src0_sel:BYTE_0 src1_sel:DWORD
	s_and_saveexec_b32 s24, s5
	s_cbranch_execz .LBB233_602
; %bb.597:                              ;   in Loop: Header=BB233_16 Depth=1
	v_mov_b32_e32 v64, 0x7f800001
	v_and_b32_e32 v39, 0x7f, v4
	v_mov_b32_e32 v65, 0
	s_mov_b32 s25, exec_lo
	v_cmpx_ne_u32_e32 0x7f, v39
	s_cbranch_execz .LBB233_601
; %bb.598:                              ;   in Loop: Header=BB233_16 Depth=1
	v_and_b32_e32 v28, 7, v4
	v_lshrrev_b32_e32 v5, 3, v39
	s_mov_b32 s26, exec_lo
	v_cmpx_gt_u32_e32 8, v39
; %bb.599:                              ;   in Loop: Header=BB233_16 Depth=1
	v_ffbh_u32_e32 v5, v28
	v_min_u32_e32 v5, 32, v5
	v_subrev_nc_u32_e32 v39, 28, v5
	v_sub_nc_u32_e32 v5, 29, v5
	v_lshlrev_b64 v[52:53], v39, v[28:29]
	v_and_b32_e32 v28, 7, v52
; %bb.600:                              ;   in Loop: Header=BB233_16 Depth=1
	s_or_b32 exec_lo, exec_lo, s26
	v_lshlrev_b32_e32 v39, 24, v4
	v_lshlrev_b32_e32 v28, 20, v28
	v_lshl_add_u32 v5, v5, 23, 0x3c000000
	v_and_b32_e32 v39, 0x80000000, v39
	v_or3_b32 v28, v28, v39, v5
	v_mov_b32_e32 v65, v29
	v_mov_b32_e32 v64, v28
.LBB233_601:                            ;   in Loop: Header=BB233_16 Depth=1
	s_or_b32 exec_lo, exec_lo, s25
.LBB233_602:                            ;   in Loop: Header=BB233_16 Depth=1
	s_or_b32 exec_lo, exec_lo, s24
.LBB233_603:                            ;   in Loop: Header=BB233_16 Depth=1
	s_or_b32 exec_lo, exec_lo, s23
	v_cmp_ne_u16_sdwa s5, v4, v29 src0_sel:BYTE_1 src1_sel:DWORD
	s_and_saveexec_b32 s23, s5
	s_cbranch_execz .LBB233_611
; %bb.604:                              ;   in Loop: Header=BB233_16 Depth=1
	v_mov_b32_e32 v45, v29
	v_cmp_ne_u16_sdwa s5, v4, v121 src0_sel:BYTE_1 src1_sel:DWORD
	v_mov_b32_e32 v36, v45
	v_mov_b32_e32 v37, v46
	s_and_saveexec_b32 s24, s5
	s_cbranch_execz .LBB233_610
; %bb.605:                              ;   in Loop: Header=BB233_16 Depth=1
	v_mov_b32_e32 v5, 0xffff
	v_mov_b32_e32 v116, v29
	s_mov_b32 s25, exec_lo
	v_and_b32_sdwa v5, v5, v4 dst_sel:DWORD dst_unused:UNUSED_PAD src0_sel:DWORD src1_sel:BYTE_1
	v_mov_b32_e32 v36, v116
	v_mov_b32_e32 v37, v117
	v_and_b32_e32 v39, 0x7f, v5
	v_cmpx_ne_u32_e32 0x7f, v39
	s_cbranch_execz .LBB233_609
; %bb.606:                              ;   in Loop: Header=BB233_16 Depth=1
	v_and_b32_e32 v28, 7, v5
	v_lshrrev_b32_e32 v5, 3, v39
	s_mov_b32 s26, exec_lo
	v_cmpx_gt_u32_e32 8, v39
; %bb.607:                              ;   in Loop: Header=BB233_16 Depth=1
	v_ffbh_u32_e32 v5, v28
	v_min_u32_e32 v5, 32, v5
	v_subrev_nc_u32_e32 v36, 28, v5
	v_sub_nc_u32_e32 v5, 29, v5
	v_lshlrev_b64 v[36:37], v36, v[28:29]
	v_and_b32_e32 v28, 7, v36
; %bb.608:                              ;   in Loop: Header=BB233_16 Depth=1
	s_or_b32 exec_lo, exec_lo, s26
	v_lshlrev_b32_e32 v36, 16, v4
	v_lshlrev_b32_e32 v28, 20, v28
	v_lshl_add_u32 v5, v5, 23, 0x3c000000
	v_and_b32_e32 v36, 0x80000000, v36
	v_or3_b32 v37, v28, v36, v5
	v_mov_b32_e32 v36, v29
.LBB233_609:                            ;   in Loop: Header=BB233_16 Depth=1
	s_or_b32 exec_lo, exec_lo, s25
.LBB233_610:                            ;   in Loop: Header=BB233_16 Depth=1
	s_or_b32 exec_lo, exec_lo, s24
.LBB233_611:                            ;   in Loop: Header=BB233_16 Depth=1
	s_or_b32 exec_lo, exec_lo, s23
	v_mov_b32_e32 v66, 0
	v_mov_b32_e32 v52, 0
	v_and_b32_sdwa v5, v4, v60 dst_sel:DWORD dst_unused:UNUSED_PAD src0_sel:WORD_1 src1_sel:DWORD
	v_mov_b32_e32 v67, 0
	v_mov_b32_e32 v53, 0
	s_mov_b32 s23, exec_lo
	v_cmpx_ne_u16_e32 0, v5
	s_cbranch_execz .LBB233_619
; %bb.612:                              ;   in Loop: Header=BB233_16 Depth=1
	v_bfrev_b32_e32 v52, 1
	v_mov_b32_e32 v53, 0
	s_mov_b32 s24, exec_lo
	v_cmpx_ne_u16_e32 0x80, v5
	s_cbranch_execz .LBB233_618
; %bb.613:                              ;   in Loop: Header=BB233_16 Depth=1
	v_mov_b32_e32 v52, 0x7f800001
	v_bfe_u32 v39, v4, 16, 7
	v_mov_b32_e32 v53, 0
	s_mov_b32 s25, exec_lo
	v_cmpx_ne_u32_e32 0x7f, v39
	s_cbranch_execz .LBB233_617
; %bb.614:                              ;   in Loop: Header=BB233_16 Depth=1
	v_mov_b32_e32 v5, 7
	s_mov_b32 s26, exec_lo
	v_and_b32_sdwa v28, v4, v5 dst_sel:DWORD dst_unused:UNUSED_PAD src0_sel:WORD_1 src1_sel:DWORD
	v_lshrrev_b32_e32 v5, 3, v39
	v_cmpx_gt_u32_e32 8, v39
; %bb.615:                              ;   in Loop: Header=BB233_16 Depth=1
	v_ffbh_u32_e32 v5, v28
	v_min_u32_e32 v5, 32, v5
	v_subrev_nc_u32_e32 v39, 28, v5
	v_sub_nc_u32_e32 v5, 29, v5
	v_lshlrev_b64 v[52:53], v39, v[28:29]
	v_and_b32_e32 v28, 7, v52
; %bb.616:                              ;   in Loop: Header=BB233_16 Depth=1
	s_or_b32 exec_lo, exec_lo, s26
	v_mov_b32_e32 v39, 24
	v_lshlrev_b32_e32 v28, 20, v28
	v_lshl_add_u32 v5, v5, 23, 0x3c000000
	v_lshlrev_b32_sdwa v39, v39, v4 dst_sel:DWORD dst_unused:UNUSED_PAD src0_sel:DWORD src1_sel:WORD_1
	v_and_b32_e32 v39, 0x80000000, v39
	v_or3_b32 v28, v28, v39, v5
	v_mov_b32_e32 v53, v29
	v_mov_b32_e32 v52, v28
.LBB233_617:                            ;   in Loop: Header=BB233_16 Depth=1
	s_or_b32 exec_lo, exec_lo, s25
.LBB233_618:                            ;   in Loop: Header=BB233_16 Depth=1
	s_or_b32 exec_lo, exec_lo, s24
.LBB233_619:                            ;   in Loop: Header=BB233_16 Depth=1
	s_or_b32 exec_lo, exec_lo, s23
	s_mov_b32 s23, exec_lo
	v_cmpx_lt_u32_e32 0xffffff, v4
	s_cbranch_execz .LBB233_627
; %bb.620:                              ;   in Loop: Header=BB233_16 Depth=1
	v_mov_b32_e32 v45, v29
	v_mov_b32_e32 v67, v46
	v_cmp_ne_u32_sdwa s5, v4, v121 src0_sel:BYTE_3 src1_sel:DWORD
	v_mov_b32_e32 v66, v45
	s_and_saveexec_b32 s24, s5
	s_cbranch_execz .LBB233_626
; %bb.621:                              ;   in Loop: Header=BB233_16 Depth=1
	v_mov_b32_e32 v116, v29
	v_bfe_u32 v39, v4, 24, 7
	s_mov_b32 s25, exec_lo
	v_mov_b32_e32 v66, v116
	v_mov_b32_e32 v67, v117
	v_cmpx_ne_u32_e32 0x7f, v39
	s_cbranch_execz .LBB233_625
; %bb.622:                              ;   in Loop: Header=BB233_16 Depth=1
	v_mov_b32_e32 v5, 7
	s_mov_b32 s26, exec_lo
	v_and_b32_sdwa v28, v4, v5 dst_sel:DWORD dst_unused:UNUSED_PAD src0_sel:BYTE_3 src1_sel:DWORD
	v_lshrrev_b32_e32 v5, 3, v39
	v_cmpx_gt_u32_e32 8, v39
; %bb.623:                              ;   in Loop: Header=BB233_16 Depth=1
	v_ffbh_u32_e32 v5, v28
	v_min_u32_e32 v5, 32, v5
	v_subrev_nc_u32_e32 v39, 28, v5
	v_sub_nc_u32_e32 v5, 29, v5
	v_lshlrev_b64 v[54:55], v39, v[28:29]
	v_and_b32_e32 v28, 7, v54
; %bb.624:                              ;   in Loop: Header=BB233_16 Depth=1
	s_or_b32 exec_lo, exec_lo, s26
	v_mov_b32_e32 v39, 24
	v_lshlrev_b32_e32 v28, 20, v28
	v_lshl_add_u32 v5, v5, 23, 0x3c000000
	v_mov_b32_e32 v66, v29
	v_lshlrev_b32_sdwa v4, v39, v4 dst_sel:DWORD dst_unused:UNUSED_PAD src0_sel:DWORD src1_sel:BYTE_3
	v_and_b32_e32 v4, 0x80000000, v4
	v_or3_b32 v67, v28, v4, v5
.LBB233_625:                            ;   in Loop: Header=BB233_16 Depth=1
	s_or_b32 exec_lo, exec_lo, s25
.LBB233_626:                            ;   in Loop: Header=BB233_16 Depth=1
	s_or_b32 exec_lo, exec_lo, s24
.LBB233_627:                            ;   in Loop: Header=BB233_16 Depth=1
	s_or_b32 exec_lo, exec_lo, s23
	flat_load_dword v4, v[16:17] offset:12
	v_mov_b32_e32 v54, 0
	v_mov_b32_e32 v80, 0
	;; [unrolled: 1-line block ×4, first 2 shown]
	s_waitcnt vmcnt(0) lgkmcnt(0)
	v_cmp_ne_u16_sdwa s5, v4, v29 src0_sel:BYTE_0 src1_sel:DWORD
	s_and_saveexec_b32 s23, s5
	s_cbranch_execz .LBB233_635
; %bb.628:                              ;   in Loop: Header=BB233_16 Depth=1
	v_bfrev_b32_e32 v80, 1
	v_mov_b32_e32 v81, 0
	v_cmp_ne_u16_sdwa s5, v4, v121 src0_sel:BYTE_0 src1_sel:DWORD
	s_and_saveexec_b32 s24, s5
	s_cbranch_execz .LBB233_634
; %bb.629:                              ;   in Loop: Header=BB233_16 Depth=1
	v_mov_b32_e32 v80, 0x7f800001
	v_and_b32_e32 v39, 0x7f, v4
	v_mov_b32_e32 v81, 0
	s_mov_b32 s25, exec_lo
	v_cmpx_ne_u32_e32 0x7f, v39
	s_cbranch_execz .LBB233_633
; %bb.630:                              ;   in Loop: Header=BB233_16 Depth=1
	v_and_b32_e32 v28, 7, v4
	v_lshrrev_b32_e32 v5, 3, v39
	s_mov_b32 s26, exec_lo
	v_cmpx_gt_u32_e32 8, v39
; %bb.631:                              ;   in Loop: Header=BB233_16 Depth=1
	v_ffbh_u32_e32 v5, v28
	v_min_u32_e32 v5, 32, v5
	v_subrev_nc_u32_e32 v39, 28, v5
	v_sub_nc_u32_e32 v5, 29, v5
	v_lshlrev_b64 v[68:69], v39, v[28:29]
	v_and_b32_e32 v28, 7, v68
; %bb.632:                              ;   in Loop: Header=BB233_16 Depth=1
	s_or_b32 exec_lo, exec_lo, s26
	v_lshlrev_b32_e32 v39, 24, v4
	v_lshlrev_b32_e32 v28, 20, v28
	v_lshl_add_u32 v5, v5, 23, 0x3c000000
	v_and_b32_e32 v39, 0x80000000, v39
	v_or3_b32 v28, v28, v39, v5
	v_mov_b32_e32 v81, v29
	v_mov_b32_e32 v80, v28
.LBB233_633:                            ;   in Loop: Header=BB233_16 Depth=1
	s_or_b32 exec_lo, exec_lo, s25
.LBB233_634:                            ;   in Loop: Header=BB233_16 Depth=1
	s_or_b32 exec_lo, exec_lo, s24
.LBB233_635:                            ;   in Loop: Header=BB233_16 Depth=1
	s_or_b32 exec_lo, exec_lo, s23
	v_cmp_ne_u16_sdwa s5, v4, v29 src0_sel:BYTE_1 src1_sel:DWORD
	s_and_saveexec_b32 s23, s5
	s_cbranch_execz .LBB233_643
; %bb.636:                              ;   in Loop: Header=BB233_16 Depth=1
	v_mov_b32_e32 v45, v29
	v_mov_b32_e32 v55, v46
	v_cmp_ne_u16_sdwa s5, v4, v121 src0_sel:BYTE_1 src1_sel:DWORD
	v_mov_b32_e32 v54, v45
	s_and_saveexec_b32 s24, s5
	s_cbranch_execz .LBB233_642
; %bb.637:                              ;   in Loop: Header=BB233_16 Depth=1
	v_mov_b32_e32 v5, 0xffff
	v_mov_b32_e32 v116, v29
	s_mov_b32 s25, exec_lo
	v_and_b32_sdwa v5, v5, v4 dst_sel:DWORD dst_unused:UNUSED_PAD src0_sel:DWORD src1_sel:BYTE_1
	v_mov_b32_e32 v54, v116
	v_mov_b32_e32 v55, v117
	v_and_b32_e32 v39, 0x7f, v5
	v_cmpx_ne_u32_e32 0x7f, v39
	s_cbranch_execz .LBB233_641
; %bb.638:                              ;   in Loop: Header=BB233_16 Depth=1
	v_and_b32_e32 v28, 7, v5
	v_lshrrev_b32_e32 v5, 3, v39
	s_mov_b32 s26, exec_lo
	v_cmpx_gt_u32_e32 8, v39
; %bb.639:                              ;   in Loop: Header=BB233_16 Depth=1
	v_ffbh_u32_e32 v5, v28
	v_min_u32_e32 v5, 32, v5
	v_subrev_nc_u32_e32 v39, 28, v5
	v_sub_nc_u32_e32 v5, 29, v5
	v_lshlrev_b64 v[54:55], v39, v[28:29]
	v_and_b32_e32 v28, 7, v54
; %bb.640:                              ;   in Loop: Header=BB233_16 Depth=1
	s_or_b32 exec_lo, exec_lo, s26
	v_lshlrev_b32_e32 v39, 16, v4
	v_lshlrev_b32_e32 v28, 20, v28
	v_lshl_add_u32 v5, v5, 23, 0x3c000000
	v_mov_b32_e32 v54, v29
	v_and_b32_e32 v39, 0x80000000, v39
	v_or3_b32 v55, v28, v39, v5
.LBB233_641:                            ;   in Loop: Header=BB233_16 Depth=1
	s_or_b32 exec_lo, exec_lo, s25
.LBB233_642:                            ;   in Loop: Header=BB233_16 Depth=1
	s_or_b32 exec_lo, exec_lo, s24
.LBB233_643:                            ;   in Loop: Header=BB233_16 Depth=1
	s_or_b32 exec_lo, exec_lo, s23
	v_mov_b32_e32 v82, 0
	v_mov_b32_e32 v68, 0
	v_and_b32_sdwa v5, v4, v60 dst_sel:DWORD dst_unused:UNUSED_PAD src0_sel:WORD_1 src1_sel:DWORD
	v_mov_b32_e32 v83, 0
	v_mov_b32_e32 v69, 0
	s_mov_b32 s23, exec_lo
	v_cmpx_ne_u16_e32 0, v5
	s_cbranch_execz .LBB233_651
; %bb.644:                              ;   in Loop: Header=BB233_16 Depth=1
	v_bfrev_b32_e32 v68, 1
	v_mov_b32_e32 v69, 0
	s_mov_b32 s24, exec_lo
	v_cmpx_ne_u16_e32 0x80, v5
	s_cbranch_execz .LBB233_650
; %bb.645:                              ;   in Loop: Header=BB233_16 Depth=1
	v_mov_b32_e32 v68, 0x7f800001
	v_bfe_u32 v39, v4, 16, 7
	v_mov_b32_e32 v69, 0
	s_mov_b32 s25, exec_lo
	v_cmpx_ne_u32_e32 0x7f, v39
	s_cbranch_execz .LBB233_649
; %bb.646:                              ;   in Loop: Header=BB233_16 Depth=1
	v_mov_b32_e32 v5, 7
	s_mov_b32 s26, exec_lo
	v_and_b32_sdwa v28, v4, v5 dst_sel:DWORD dst_unused:UNUSED_PAD src0_sel:WORD_1 src1_sel:DWORD
	v_lshrrev_b32_e32 v5, 3, v39
	v_cmpx_gt_u32_e32 8, v39
; %bb.647:                              ;   in Loop: Header=BB233_16 Depth=1
	v_ffbh_u32_e32 v5, v28
	v_min_u32_e32 v5, 32, v5
	v_subrev_nc_u32_e32 v39, 28, v5
	v_sub_nc_u32_e32 v5, 29, v5
	v_lshlrev_b64 v[68:69], v39, v[28:29]
	v_and_b32_e32 v28, 7, v68
; %bb.648:                              ;   in Loop: Header=BB233_16 Depth=1
	s_or_b32 exec_lo, exec_lo, s26
	v_mov_b32_e32 v39, 24
	v_lshlrev_b32_e32 v28, 20, v28
	v_lshl_add_u32 v5, v5, 23, 0x3c000000
	v_lshlrev_b32_sdwa v39, v39, v4 dst_sel:DWORD dst_unused:UNUSED_PAD src0_sel:DWORD src1_sel:WORD_1
	v_and_b32_e32 v39, 0x80000000, v39
	v_or3_b32 v28, v28, v39, v5
	v_mov_b32_e32 v69, v29
	v_mov_b32_e32 v68, v28
.LBB233_649:                            ;   in Loop: Header=BB233_16 Depth=1
	s_or_b32 exec_lo, exec_lo, s25
.LBB233_650:                            ;   in Loop: Header=BB233_16 Depth=1
	s_or_b32 exec_lo, exec_lo, s24
.LBB233_651:                            ;   in Loop: Header=BB233_16 Depth=1
	s_or_b32 exec_lo, exec_lo, s23
	s_mov_b32 s23, exec_lo
	v_cmpx_lt_u32_e32 0xffffff, v4
	s_cbranch_execz .LBB233_659
; %bb.652:                              ;   in Loop: Header=BB233_16 Depth=1
	v_mov_b32_e32 v45, v29
	v_mov_b32_e32 v83, v46
	v_cmp_ne_u32_sdwa s5, v4, v121 src0_sel:BYTE_3 src1_sel:DWORD
	v_mov_b32_e32 v82, v45
	s_and_saveexec_b32 s24, s5
	s_cbranch_execz .LBB233_658
; %bb.653:                              ;   in Loop: Header=BB233_16 Depth=1
	v_mov_b32_e32 v116, v29
	v_bfe_u32 v39, v4, 24, 7
	s_mov_b32 s25, exec_lo
	v_mov_b32_e32 v82, v116
	v_mov_b32_e32 v83, v117
	v_cmpx_ne_u32_e32 0x7f, v39
	s_cbranch_execz .LBB233_657
; %bb.654:                              ;   in Loop: Header=BB233_16 Depth=1
	v_mov_b32_e32 v5, 7
	s_mov_b32 s26, exec_lo
	v_and_b32_sdwa v28, v4, v5 dst_sel:DWORD dst_unused:UNUSED_PAD src0_sel:BYTE_3 src1_sel:DWORD
	v_lshrrev_b32_e32 v5, 3, v39
	v_cmpx_gt_u32_e32 8, v39
; %bb.655:                              ;   in Loop: Header=BB233_16 Depth=1
	v_ffbh_u32_e32 v5, v28
	v_min_u32_e32 v5, 32, v5
	v_subrev_nc_u32_e32 v39, 28, v5
	v_sub_nc_u32_e32 v5, 29, v5
	v_lshlrev_b64 v[70:71], v39, v[28:29]
	v_and_b32_e32 v28, 7, v70
; %bb.656:                              ;   in Loop: Header=BB233_16 Depth=1
	s_or_b32 exec_lo, exec_lo, s26
	v_mov_b32_e32 v39, 24
	v_lshlrev_b32_e32 v28, 20, v28
	v_lshl_add_u32 v5, v5, 23, 0x3c000000
	v_mov_b32_e32 v82, v29
	v_lshlrev_b32_sdwa v4, v39, v4 dst_sel:DWORD dst_unused:UNUSED_PAD src0_sel:DWORD src1_sel:BYTE_3
	v_and_b32_e32 v4, 0x80000000, v4
	v_or3_b32 v83, v28, v4, v5
.LBB233_657:                            ;   in Loop: Header=BB233_16 Depth=1
	s_or_b32 exec_lo, exec_lo, s25
.LBB233_658:                            ;   in Loop: Header=BB233_16 Depth=1
	s_or_b32 exec_lo, exec_lo, s24
.LBB233_659:                            ;   in Loop: Header=BB233_16 Depth=1
	s_or_b32 exec_lo, exec_lo, s23
	flat_load_dword v4, v[16:17] offset:512
	v_mov_b32_e32 v70, 0
	v_mov_b32_e32 v96, 0
	v_mov_b32_e32 v71, 0
	v_mov_b32_e32 v97, 0
	s_waitcnt vmcnt(0) lgkmcnt(0)
	v_cmp_ne_u16_sdwa s5, v4, v29 src0_sel:BYTE_0 src1_sel:DWORD
	s_and_saveexec_b32 s23, s5
	s_cbranch_execz .LBB233_667
; %bb.660:                              ;   in Loop: Header=BB233_16 Depth=1
	v_bfrev_b32_e32 v96, 1
	v_mov_b32_e32 v97, 0
	v_cmp_ne_u16_sdwa s5, v4, v121 src0_sel:BYTE_0 src1_sel:DWORD
	s_and_saveexec_b32 s24, s5
	s_cbranch_execz .LBB233_666
; %bb.661:                              ;   in Loop: Header=BB233_16 Depth=1
	v_mov_b32_e32 v96, 0x7f800001
	v_and_b32_e32 v39, 0x7f, v4
	v_mov_b32_e32 v97, 0
	s_mov_b32 s25, exec_lo
	v_cmpx_ne_u32_e32 0x7f, v39
	s_cbranch_execz .LBB233_665
; %bb.662:                              ;   in Loop: Header=BB233_16 Depth=1
	v_and_b32_e32 v28, 7, v4
	v_lshrrev_b32_e32 v5, 3, v39
	s_mov_b32 s26, exec_lo
	v_cmpx_gt_u32_e32 8, v39
; %bb.663:                              ;   in Loop: Header=BB233_16 Depth=1
	v_ffbh_u32_e32 v5, v28
	v_min_u32_e32 v5, 32, v5
	v_subrev_nc_u32_e32 v39, 28, v5
	v_sub_nc_u32_e32 v5, 29, v5
	v_lshlrev_b64 v[84:85], v39, v[28:29]
	v_and_b32_e32 v28, 7, v84
; %bb.664:                              ;   in Loop: Header=BB233_16 Depth=1
	s_or_b32 exec_lo, exec_lo, s26
	v_lshlrev_b32_e32 v39, 24, v4
	v_lshlrev_b32_e32 v28, 20, v28
	v_lshl_add_u32 v5, v5, 23, 0x3c000000
	v_and_b32_e32 v39, 0x80000000, v39
	v_or3_b32 v28, v28, v39, v5
	v_mov_b32_e32 v97, v29
	v_mov_b32_e32 v96, v28
.LBB233_665:                            ;   in Loop: Header=BB233_16 Depth=1
	s_or_b32 exec_lo, exec_lo, s25
.LBB233_666:                            ;   in Loop: Header=BB233_16 Depth=1
	s_or_b32 exec_lo, exec_lo, s24
.LBB233_667:                            ;   in Loop: Header=BB233_16 Depth=1
	s_or_b32 exec_lo, exec_lo, s23
	v_cmp_ne_u16_sdwa s5, v4, v29 src0_sel:BYTE_1 src1_sel:DWORD
	s_and_saveexec_b32 s23, s5
	s_cbranch_execz .LBB233_675
; %bb.668:                              ;   in Loop: Header=BB233_16 Depth=1
	v_mov_b32_e32 v45, v29
	v_mov_b32_e32 v71, v46
	v_cmp_ne_u16_sdwa s5, v4, v121 src0_sel:BYTE_1 src1_sel:DWORD
	v_mov_b32_e32 v70, v45
	s_and_saveexec_b32 s24, s5
	s_cbranch_execz .LBB233_674
; %bb.669:                              ;   in Loop: Header=BB233_16 Depth=1
	v_mov_b32_e32 v5, 0xffff
	v_mov_b32_e32 v116, v29
	s_mov_b32 s25, exec_lo
	v_and_b32_sdwa v5, v5, v4 dst_sel:DWORD dst_unused:UNUSED_PAD src0_sel:DWORD src1_sel:BYTE_1
	v_mov_b32_e32 v70, v116
	v_mov_b32_e32 v71, v117
	v_and_b32_e32 v39, 0x7f, v5
	v_cmpx_ne_u32_e32 0x7f, v39
	s_cbranch_execz .LBB233_673
; %bb.670:                              ;   in Loop: Header=BB233_16 Depth=1
	v_and_b32_e32 v28, 7, v5
	v_lshrrev_b32_e32 v5, 3, v39
	s_mov_b32 s26, exec_lo
	v_cmpx_gt_u32_e32 8, v39
; %bb.671:                              ;   in Loop: Header=BB233_16 Depth=1
	v_ffbh_u32_e32 v5, v28
	v_min_u32_e32 v5, 32, v5
	v_subrev_nc_u32_e32 v39, 28, v5
	v_sub_nc_u32_e32 v5, 29, v5
	v_lshlrev_b64 v[70:71], v39, v[28:29]
	v_and_b32_e32 v28, 7, v70
; %bb.672:                              ;   in Loop: Header=BB233_16 Depth=1
	s_or_b32 exec_lo, exec_lo, s26
	v_lshlrev_b32_e32 v39, 16, v4
	v_lshlrev_b32_e32 v28, 20, v28
	v_lshl_add_u32 v5, v5, 23, 0x3c000000
	v_mov_b32_e32 v70, v29
	v_and_b32_e32 v39, 0x80000000, v39
	v_or3_b32 v71, v28, v39, v5
.LBB233_673:                            ;   in Loop: Header=BB233_16 Depth=1
	s_or_b32 exec_lo, exec_lo, s25
.LBB233_674:                            ;   in Loop: Header=BB233_16 Depth=1
	s_or_b32 exec_lo, exec_lo, s24
.LBB233_675:                            ;   in Loop: Header=BB233_16 Depth=1
	s_or_b32 exec_lo, exec_lo, s23
	v_mov_b32_e32 v98, 0
	v_mov_b32_e32 v84, 0
	v_and_b32_sdwa v5, v4, v60 dst_sel:DWORD dst_unused:UNUSED_PAD src0_sel:WORD_1 src1_sel:DWORD
	v_mov_b32_e32 v99, 0
	v_mov_b32_e32 v85, 0
	s_mov_b32 s23, exec_lo
	v_cmpx_ne_u16_e32 0, v5
	s_cbranch_execz .LBB233_683
; %bb.676:                              ;   in Loop: Header=BB233_16 Depth=1
	v_bfrev_b32_e32 v84, 1
	v_mov_b32_e32 v85, 0
	s_mov_b32 s24, exec_lo
	v_cmpx_ne_u16_e32 0x80, v5
	s_cbranch_execz .LBB233_682
; %bb.677:                              ;   in Loop: Header=BB233_16 Depth=1
	v_mov_b32_e32 v84, 0x7f800001
	v_bfe_u32 v39, v4, 16, 7
	v_mov_b32_e32 v85, 0
	s_mov_b32 s25, exec_lo
	v_cmpx_ne_u32_e32 0x7f, v39
	s_cbranch_execz .LBB233_681
; %bb.678:                              ;   in Loop: Header=BB233_16 Depth=1
	v_mov_b32_e32 v5, 7
	s_mov_b32 s26, exec_lo
	v_and_b32_sdwa v28, v4, v5 dst_sel:DWORD dst_unused:UNUSED_PAD src0_sel:WORD_1 src1_sel:DWORD
	v_lshrrev_b32_e32 v5, 3, v39
	v_cmpx_gt_u32_e32 8, v39
; %bb.679:                              ;   in Loop: Header=BB233_16 Depth=1
	v_ffbh_u32_e32 v5, v28
	v_min_u32_e32 v5, 32, v5
	v_subrev_nc_u32_e32 v39, 28, v5
	v_sub_nc_u32_e32 v5, 29, v5
	v_lshlrev_b64 v[84:85], v39, v[28:29]
	v_and_b32_e32 v28, 7, v84
; %bb.680:                              ;   in Loop: Header=BB233_16 Depth=1
	s_or_b32 exec_lo, exec_lo, s26
	v_mov_b32_e32 v39, 24
	v_lshlrev_b32_e32 v28, 20, v28
	v_lshl_add_u32 v5, v5, 23, 0x3c000000
	v_lshlrev_b32_sdwa v39, v39, v4 dst_sel:DWORD dst_unused:UNUSED_PAD src0_sel:DWORD src1_sel:WORD_1
	v_and_b32_e32 v39, 0x80000000, v39
	v_or3_b32 v28, v28, v39, v5
	v_mov_b32_e32 v85, v29
	v_mov_b32_e32 v84, v28
.LBB233_681:                            ;   in Loop: Header=BB233_16 Depth=1
	s_or_b32 exec_lo, exec_lo, s25
.LBB233_682:                            ;   in Loop: Header=BB233_16 Depth=1
	s_or_b32 exec_lo, exec_lo, s24
.LBB233_683:                            ;   in Loop: Header=BB233_16 Depth=1
	s_or_b32 exec_lo, exec_lo, s23
	s_mov_b32 s23, exec_lo
	v_cmpx_lt_u32_e32 0xffffff, v4
	s_cbranch_execz .LBB233_691
; %bb.684:                              ;   in Loop: Header=BB233_16 Depth=1
	v_mov_b32_e32 v45, v29
	v_mov_b32_e32 v99, v46
	v_cmp_ne_u32_sdwa s5, v4, v121 src0_sel:BYTE_3 src1_sel:DWORD
	v_mov_b32_e32 v98, v45
	s_and_saveexec_b32 s24, s5
	s_cbranch_execz .LBB233_690
; %bb.685:                              ;   in Loop: Header=BB233_16 Depth=1
	v_mov_b32_e32 v116, v29
	v_bfe_u32 v39, v4, 24, 7
	s_mov_b32 s25, exec_lo
	v_mov_b32_e32 v98, v116
	v_mov_b32_e32 v99, v117
	v_cmpx_ne_u32_e32 0x7f, v39
	s_cbranch_execz .LBB233_689
; %bb.686:                              ;   in Loop: Header=BB233_16 Depth=1
	v_mov_b32_e32 v5, 7
	s_mov_b32 s26, exec_lo
	v_and_b32_sdwa v28, v4, v5 dst_sel:DWORD dst_unused:UNUSED_PAD src0_sel:BYTE_3 src1_sel:DWORD
	v_lshrrev_b32_e32 v5, 3, v39
	v_cmpx_gt_u32_e32 8, v39
; %bb.687:                              ;   in Loop: Header=BB233_16 Depth=1
	v_ffbh_u32_e32 v5, v28
	v_min_u32_e32 v5, 32, v5
	v_subrev_nc_u32_e32 v39, 28, v5
	v_sub_nc_u32_e32 v5, 29, v5
	v_lshlrev_b64 v[86:87], v39, v[28:29]
	v_and_b32_e32 v28, 7, v86
; %bb.688:                              ;   in Loop: Header=BB233_16 Depth=1
	s_or_b32 exec_lo, exec_lo, s26
	v_mov_b32_e32 v39, 24
	v_lshlrev_b32_e32 v28, 20, v28
	v_lshl_add_u32 v5, v5, 23, 0x3c000000
	v_mov_b32_e32 v98, v29
	v_lshlrev_b32_sdwa v4, v39, v4 dst_sel:DWORD dst_unused:UNUSED_PAD src0_sel:DWORD src1_sel:BYTE_3
	v_and_b32_e32 v4, 0x80000000, v4
	v_or3_b32 v99, v28, v4, v5
.LBB233_689:                            ;   in Loop: Header=BB233_16 Depth=1
	s_or_b32 exec_lo, exec_lo, s25
.LBB233_690:                            ;   in Loop: Header=BB233_16 Depth=1
	s_or_b32 exec_lo, exec_lo, s24
.LBB233_691:                            ;   in Loop: Header=BB233_16 Depth=1
	s_or_b32 exec_lo, exec_lo, s23
	flat_load_dword v39, v[16:17] offset:516
	v_mov_b32_e32 v4, 0
	v_mov_b32_e32 v112, 0
	;; [unrolled: 1-line block ×4, first 2 shown]
	s_waitcnt vmcnt(0) lgkmcnt(0)
	v_cmp_ne_u16_sdwa s5, v39, v29 src0_sel:BYTE_0 src1_sel:DWORD
	s_and_saveexec_b32 s23, s5
	s_cbranch_execz .LBB233_699
; %bb.692:                              ;   in Loop: Header=BB233_16 Depth=1
	v_bfrev_b32_e32 v112, 1
	v_mov_b32_e32 v113, 0
	v_cmp_ne_u16_sdwa s5, v39, v121 src0_sel:BYTE_0 src1_sel:DWORD
	s_and_saveexec_b32 s24, s5
	s_cbranch_execz .LBB233_698
; %bb.693:                              ;   in Loop: Header=BB233_16 Depth=1
	v_mov_b32_e32 v112, 0x7f800001
	v_and_b32_e32 v87, 0x7f, v39
	v_mov_b32_e32 v113, 0
	s_mov_b32 s25, exec_lo
	v_cmpx_ne_u32_e32 0x7f, v87
	s_cbranch_execz .LBB233_697
; %bb.694:                              ;   in Loop: Header=BB233_16 Depth=1
	v_and_b32_e32 v28, 7, v39
	v_lshrrev_b32_e32 v86, 3, v87
	s_mov_b32 s26, exec_lo
	v_cmpx_gt_u32_e32 8, v87
; %bb.695:                              ;   in Loop: Header=BB233_16 Depth=1
	v_ffbh_u32_e32 v86, v28
	v_min_u32_e32 v86, 32, v86
	v_subrev_nc_u32_e32 v87, 28, v86
	v_sub_nc_u32_e32 v86, 29, v86
	v_lshlrev_b64 v[100:101], v87, v[28:29]
	v_and_b32_e32 v28, 7, v100
; %bb.696:                              ;   in Loop: Header=BB233_16 Depth=1
	s_or_b32 exec_lo, exec_lo, s26
	v_lshlrev_b32_e32 v87, 24, v39
	v_lshlrev_b32_e32 v28, 20, v28
	v_lshl_add_u32 v86, v86, 23, 0x3c000000
	v_and_b32_e32 v87, 0x80000000, v87
	v_or3_b32 v28, v28, v87, v86
	v_mov_b32_e32 v113, v29
	v_mov_b32_e32 v112, v28
.LBB233_697:                            ;   in Loop: Header=BB233_16 Depth=1
	s_or_b32 exec_lo, exec_lo, s25
.LBB233_698:                            ;   in Loop: Header=BB233_16 Depth=1
	s_or_b32 exec_lo, exec_lo, s24
.LBB233_699:                            ;   in Loop: Header=BB233_16 Depth=1
	s_or_b32 exec_lo, exec_lo, s23
	v_cmp_ne_u16_sdwa s5, v39, v29 src0_sel:BYTE_1 src1_sel:DWORD
	s_and_saveexec_b32 s23, s5
	s_cbranch_execz .LBB233_707
; %bb.700:                              ;   in Loop: Header=BB233_16 Depth=1
	v_mov_b32_e32 v45, v29
	v_cmp_ne_u16_sdwa s5, v39, v121 src0_sel:BYTE_1 src1_sel:DWORD
	v_mov_b32_e32 v4, v45
	v_mov_b32_e32 v5, v46
	s_and_saveexec_b32 s24, s5
	s_cbranch_execz .LBB233_706
; %bb.701:                              ;   in Loop: Header=BB233_16 Depth=1
	v_mov_b32_e32 v4, 0xffff
	v_mov_b32_e32 v116, v29
	s_mov_b32 s25, exec_lo
	v_and_b32_sdwa v28, v4, v39 dst_sel:DWORD dst_unused:UNUSED_PAD src0_sel:DWORD src1_sel:BYTE_1
	v_mov_b32_e32 v4, v116
	v_mov_b32_e32 v5, v117
	v_and_b32_e32 v86, 0x7f, v28
	v_cmpx_ne_u32_e32 0x7f, v86
	s_cbranch_execz .LBB233_705
; %bb.702:                              ;   in Loop: Header=BB233_16 Depth=1
	v_and_b32_e32 v28, 7, v28
	v_lshrrev_b32_e32 v4, 3, v86
	s_mov_b32 s26, exec_lo
	v_cmpx_gt_u32_e32 8, v86
; %bb.703:                              ;   in Loop: Header=BB233_16 Depth=1
	v_ffbh_u32_e32 v4, v28
	v_min_u32_e32 v4, 32, v4
	v_subrev_nc_u32_e32 v5, 28, v4
	v_sub_nc_u32_e32 v4, 29, v4
	v_lshlrev_b64 v[86:87], v5, v[28:29]
	v_and_b32_e32 v28, 7, v86
; %bb.704:                              ;   in Loop: Header=BB233_16 Depth=1
	s_or_b32 exec_lo, exec_lo, s26
	v_lshlrev_b32_e32 v5, 16, v39
	v_lshlrev_b32_e32 v28, 20, v28
	v_lshl_add_u32 v4, v4, 23, 0x3c000000
	v_and_b32_e32 v5, 0x80000000, v5
	v_or3_b32 v5, v28, v5, v4
	v_mov_b32_e32 v4, v29
.LBB233_705:                            ;   in Loop: Header=BB233_16 Depth=1
	s_or_b32 exec_lo, exec_lo, s25
.LBB233_706:                            ;   in Loop: Header=BB233_16 Depth=1
	s_or_b32 exec_lo, exec_lo, s24
.LBB233_707:                            ;   in Loop: Header=BB233_16 Depth=1
	s_or_b32 exec_lo, exec_lo, s23
	v_mov_b32_e32 v86, 0
	v_mov_b32_e32 v114, 0
	v_and_b32_sdwa v28, v39, v60 dst_sel:DWORD dst_unused:UNUSED_PAD src0_sel:WORD_1 src1_sel:DWORD
	v_mov_b32_e32 v87, 0
	v_mov_b32_e32 v115, 0
	s_mov_b32 s23, exec_lo
	v_cmpx_ne_u16_e32 0, v28
	s_cbranch_execz .LBB233_715
; %bb.708:                              ;   in Loop: Header=BB233_16 Depth=1
	v_bfrev_b32_e32 v114, 1
	v_mov_b32_e32 v115, 0
	s_mov_b32 s24, exec_lo
	v_cmpx_ne_u16_e32 0x80, v28
	s_cbranch_execz .LBB233_714
; %bb.709:                              ;   in Loop: Header=BB233_16 Depth=1
	v_mov_b32_e32 v114, 0x7f800001
	v_bfe_u32 v101, v39, 16, 7
	v_mov_b32_e32 v115, 0
	s_mov_b32 s25, exec_lo
	v_cmpx_ne_u32_e32 0x7f, v101
	s_cbranch_execz .LBB233_713
; %bb.710:                              ;   in Loop: Header=BB233_16 Depth=1
	v_mov_b32_e32 v28, 7
	v_lshrrev_b32_e32 v100, 3, v101
	s_mov_b32 s26, exec_lo
	v_and_b32_sdwa v28, v39, v28 dst_sel:DWORD dst_unused:UNUSED_PAD src0_sel:WORD_1 src1_sel:DWORD
	v_cmpx_gt_u32_e32 8, v101
; %bb.711:                              ;   in Loop: Header=BB233_16 Depth=1
	v_ffbh_u32_e32 v100, v28
	v_min_u32_e32 v100, 32, v100
	v_subrev_nc_u32_e32 v101, 28, v100
	v_sub_nc_u32_e32 v100, 29, v100
	v_lshlrev_b64 v[101:102], v101, v[28:29]
	v_and_b32_e32 v28, 7, v101
; %bb.712:                              ;   in Loop: Header=BB233_16 Depth=1
	s_or_b32 exec_lo, exec_lo, s26
	v_mov_b32_e32 v101, 24
	v_lshlrev_b32_e32 v28, 20, v28
	v_lshl_add_u32 v100, v100, 23, 0x3c000000
	v_lshlrev_b32_sdwa v101, v101, v39 dst_sel:DWORD dst_unused:UNUSED_PAD src0_sel:DWORD src1_sel:WORD_1
	v_and_b32_e32 v101, 0x80000000, v101
	v_or3_b32 v28, v28, v101, v100
	v_mov_b32_e32 v115, v29
	v_mov_b32_e32 v114, v28
.LBB233_713:                            ;   in Loop: Header=BB233_16 Depth=1
	s_or_b32 exec_lo, exec_lo, s25
.LBB233_714:                            ;   in Loop: Header=BB233_16 Depth=1
	s_or_b32 exec_lo, exec_lo, s24
.LBB233_715:                            ;   in Loop: Header=BB233_16 Depth=1
	s_or_b32 exec_lo, exec_lo, s23
	s_mov_b32 s23, exec_lo
	v_cmpx_lt_u32_e32 0xffffff, v39
	s_cbranch_execz .LBB233_723
; %bb.716:                              ;   in Loop: Header=BB233_16 Depth=1
	v_mov_b32_e32 v45, v29
	v_mov_b32_e32 v87, v46
	v_cmp_ne_u32_sdwa s5, v39, v121 src0_sel:BYTE_3 src1_sel:DWORD
	v_mov_b32_e32 v86, v45
	s_and_saveexec_b32 s24, s5
	s_cbranch_execz .LBB233_722
; %bb.717:                              ;   in Loop: Header=BB233_16 Depth=1
	v_mov_b32_e32 v116, v29
	v_bfe_u32 v100, v39, 24, 7
	s_mov_b32 s25, exec_lo
	v_mov_b32_e32 v86, v116
	v_mov_b32_e32 v87, v117
	v_cmpx_ne_u32_e32 0x7f, v100
	s_cbranch_execz .LBB233_721
; %bb.718:                              ;   in Loop: Header=BB233_16 Depth=1
	v_mov_b32_e32 v28, 7
	v_lshrrev_b32_e32 v86, 3, v100
	s_mov_b32 s26, exec_lo
	v_and_b32_sdwa v28, v39, v28 dst_sel:DWORD dst_unused:UNUSED_PAD src0_sel:BYTE_3 src1_sel:DWORD
	v_cmpx_gt_u32_e32 8, v100
; %bb.719:                              ;   in Loop: Header=BB233_16 Depth=1
	v_ffbh_u32_e32 v86, v28
	v_min_u32_e32 v86, 32, v86
	v_subrev_nc_u32_e32 v87, 28, v86
	v_sub_nc_u32_e32 v86, 29, v86
	v_lshlrev_b64 v[100:101], v87, v[28:29]
	v_and_b32_e32 v28, 7, v100
; %bb.720:                              ;   in Loop: Header=BB233_16 Depth=1
	s_or_b32 exec_lo, exec_lo, s26
	v_mov_b32_e32 v87, 24
	v_lshlrev_b32_e32 v28, 20, v28
	v_lshl_add_u32 v86, v86, 23, 0x3c000000
	v_lshlrev_b32_sdwa v39, v87, v39 dst_sel:DWORD dst_unused:UNUSED_PAD src0_sel:DWORD src1_sel:BYTE_3
	v_and_b32_e32 v39, 0x80000000, v39
	v_or3_b32 v87, v28, v39, v86
	v_mov_b32_e32 v86, v29
.LBB233_721:                            ;   in Loop: Header=BB233_16 Depth=1
	s_or_b32 exec_lo, exec_lo, s25
.LBB233_722:                            ;   in Loop: Header=BB233_16 Depth=1
	s_or_b32 exec_lo, exec_lo, s24
.LBB233_723:                            ;   in Loop: Header=BB233_16 Depth=1
	s_or_b32 exec_lo, exec_lo, s23
	flat_load_dword v102, v[16:17] offset:520
	v_mov_b32_e32 v100, 0
	v_mov_b32_e32 v41, 0
	;; [unrolled: 1-line block ×4, first 2 shown]
	s_waitcnt vmcnt(0) lgkmcnt(0)
	v_cmp_ne_u16_sdwa s5, v102, v29 src0_sel:BYTE_0 src1_sel:DWORD
	s_and_saveexec_b32 s23, s5
	s_cbranch_execz .LBB233_731
; %bb.724:                              ;   in Loop: Header=BB233_16 Depth=1
	v_bfrev_b32_e32 v41, 1
	v_mov_b32_e32 v42, 0
	v_cmp_ne_u16_sdwa s5, v102, v121 src0_sel:BYTE_0 src1_sel:DWORD
	s_and_saveexec_b32 s24, s5
	s_cbranch_execz .LBB233_730
; %bb.725:                              ;   in Loop: Header=BB233_16 Depth=1
	v_mov_b32_e32 v41, 0x7f800001
	v_and_b32_e32 v103, 0x7f, v102
	v_mov_b32_e32 v42, 0
	s_mov_b32 s25, exec_lo
	v_cmpx_ne_u32_e32 0x7f, v103
	s_cbranch_execz .LBB233_729
; %bb.726:                              ;   in Loop: Header=BB233_16 Depth=1
	v_and_b32_e32 v28, 7, v102
	v_lshrrev_b32_e32 v39, 3, v103
	s_mov_b32 s26, exec_lo
	v_cmpx_gt_u32_e32 8, v103
; %bb.727:                              ;   in Loop: Header=BB233_16 Depth=1
	v_ffbh_u32_e32 v39, v28
	v_min_u32_e32 v39, 32, v39
	v_subrev_nc_u32_e32 v103, 28, v39
	v_sub_nc_u32_e32 v39, 29, v39
	v_lshlrev_b64 v[40:41], v103, v[28:29]
	v_and_b32_e32 v28, 7, v40
; %bb.728:                              ;   in Loop: Header=BB233_16 Depth=1
	s_or_b32 exec_lo, exec_lo, s26
	v_lshlrev_b32_e32 v103, 24, v102
	v_lshlrev_b32_e32 v28, 20, v28
	v_lshl_add_u32 v39, v39, 23, 0x3c000000
	v_and_b32_e32 v103, 0x80000000, v103
	v_or3_b32 v28, v28, v103, v39
	v_mov_b32_e32 v42, v29
	v_mov_b32_e32 v41, v28
.LBB233_729:                            ;   in Loop: Header=BB233_16 Depth=1
	s_or_b32 exec_lo, exec_lo, s25
.LBB233_730:                            ;   in Loop: Header=BB233_16 Depth=1
	s_or_b32 exec_lo, exec_lo, s24
.LBB233_731:                            ;   in Loop: Header=BB233_16 Depth=1
	s_or_b32 exec_lo, exec_lo, s23
	v_cmp_ne_u16_sdwa s5, v102, v29 src0_sel:BYTE_1 src1_sel:DWORD
	s_and_saveexec_b32 s23, s5
	s_cbranch_execz .LBB233_739
; %bb.732:                              ;   in Loop: Header=BB233_16 Depth=1
	v_mov_b32_e32 v45, v29
	v_mov_b32_e32 v101, v46
	v_cmp_ne_u16_sdwa s5, v102, v121 src0_sel:BYTE_1 src1_sel:DWORD
	v_mov_b32_e32 v100, v45
	s_and_saveexec_b32 s24, s5
	s_cbranch_execz .LBB233_738
; %bb.733:                              ;   in Loop: Header=BB233_16 Depth=1
	v_mov_b32_e32 v28, 0xffff
	v_mov_b32_e32 v116, v29
	s_mov_b32 s25, exec_lo
	v_and_b32_sdwa v28, v28, v102 dst_sel:DWORD dst_unused:UNUSED_PAD src0_sel:DWORD src1_sel:BYTE_1
	v_mov_b32_e32 v100, v116
	v_mov_b32_e32 v101, v117
	v_and_b32_e32 v103, 0x7f, v28
	v_cmpx_ne_u32_e32 0x7f, v103
	s_cbranch_execz .LBB233_737
; %bb.734:                              ;   in Loop: Header=BB233_16 Depth=1
	v_and_b32_e32 v28, 7, v28
	v_lshrrev_b32_e32 v39, 3, v103
	s_mov_b32 s26, exec_lo
	v_cmpx_gt_u32_e32 8, v103
; %bb.735:                              ;   in Loop: Header=BB233_16 Depth=1
	v_ffbh_u32_e32 v39, v28
	v_min_u32_e32 v39, 32, v39
	v_subrev_nc_u32_e32 v100, 28, v39
	v_sub_nc_u32_e32 v39, 29, v39
	v_lshlrev_b64 v[100:101], v100, v[28:29]
	v_and_b32_e32 v28, 7, v100
; %bb.736:                              ;   in Loop: Header=BB233_16 Depth=1
	s_or_b32 exec_lo, exec_lo, s26
	v_lshlrev_b32_e32 v100, 16, v102
	v_lshlrev_b32_e32 v28, 20, v28
	v_lshl_add_u32 v39, v39, 23, 0x3c000000
	v_and_b32_e32 v100, 0x80000000, v100
	v_or3_b32 v101, v28, v100, v39
	v_mov_b32_e32 v100, v29
.LBB233_737:                            ;   in Loop: Header=BB233_16 Depth=1
	s_or_b32 exec_lo, exec_lo, s25
.LBB233_738:                            ;   in Loop: Header=BB233_16 Depth=1
	s_or_b32 exec_lo, exec_lo, s24
.LBB233_739:                            ;   in Loop: Header=BB233_16 Depth=1
	s_or_b32 exec_lo, exec_lo, s23
	v_mov_b32_e32 v39, 0
	v_mov_b32_e32 v58, 0
	v_and_b32_sdwa v28, v102, v60 dst_sel:DWORD dst_unused:UNUSED_PAD src0_sel:WORD_1 src1_sel:DWORD
	v_mov_b32_e32 v40, 0
	v_mov_b32_e32 v59, 0
	s_mov_b32 s23, exec_lo
	v_cmpx_ne_u16_e32 0, v28
	s_cbranch_execz .LBB233_747
; %bb.740:                              ;   in Loop: Header=BB233_16 Depth=1
	v_bfrev_b32_e32 v58, 1
	v_mov_b32_e32 v59, 0
	s_mov_b32 s24, exec_lo
	v_cmpx_ne_u16_e32 0x80, v28
	s_cbranch_execz .LBB233_746
; %bb.741:                              ;   in Loop: Header=BB233_16 Depth=1
	v_mov_b32_e32 v58, 0x7f800001
	v_bfe_u32 v116, v102, 16, 7
	v_mov_b32_e32 v59, 0
	s_mov_b32 s25, exec_lo
	v_cmpx_ne_u32_e32 0x7f, v116
	s_cbranch_execz .LBB233_745
; %bb.742:                              ;   in Loop: Header=BB233_16 Depth=1
	v_mov_b32_e32 v28, 7
	v_lshrrev_b32_e32 v103, 3, v116
	s_mov_b32 s26, exec_lo
	v_and_b32_sdwa v28, v102, v28 dst_sel:DWORD dst_unused:UNUSED_PAD src0_sel:WORD_1 src1_sel:DWORD
	v_cmpx_gt_u32_e32 8, v116
; %bb.743:                              ;   in Loop: Header=BB233_16 Depth=1
	v_ffbh_u32_e32 v103, v28
	v_min_u32_e32 v103, 32, v103
	v_subrev_nc_u32_e32 v116, 28, v103
	v_sub_nc_u32_e32 v103, 29, v103
	v_lshlrev_b64 v[43:44], v116, v[28:29]
	v_and_b32_e32 v28, 7, v43
; %bb.744:                              ;   in Loop: Header=BB233_16 Depth=1
	s_or_b32 exec_lo, exec_lo, s26
	v_mov_b32_e32 v116, 24
	v_lshlrev_b32_e32 v28, 20, v28
	v_lshl_add_u32 v103, v103, 23, 0x3c000000
	v_lshlrev_b32_sdwa v116, v116, v102 dst_sel:DWORD dst_unused:UNUSED_PAD src0_sel:DWORD src1_sel:WORD_1
	v_and_b32_e32 v116, 0x80000000, v116
	v_or3_b32 v28, v28, v116, v103
	v_mov_b32_e32 v59, v29
	v_mov_b32_e32 v58, v28
.LBB233_745:                            ;   in Loop: Header=BB233_16 Depth=1
	s_or_b32 exec_lo, exec_lo, s25
.LBB233_746:                            ;   in Loop: Header=BB233_16 Depth=1
	s_or_b32 exec_lo, exec_lo, s24
.LBB233_747:                            ;   in Loop: Header=BB233_16 Depth=1
	s_or_b32 exec_lo, exec_lo, s23
	s_mov_b32 s23, exec_lo
	v_cmpx_lt_u32_e32 0xffffff, v102
	s_cbranch_execz .LBB233_755
; %bb.748:                              ;   in Loop: Header=BB233_16 Depth=1
	v_mov_b32_e32 v45, v29
	v_cmp_ne_u32_sdwa s5, v102, v121 src0_sel:BYTE_3 src1_sel:DWORD
	v_mov_b32_e32 v39, v45
	v_mov_b32_e32 v40, v46
	s_and_saveexec_b32 s24, s5
	s_cbranch_execz .LBB233_754
; %bb.749:                              ;   in Loop: Header=BB233_16 Depth=1
	v_mov_b32_e32 v116, v29
	v_bfe_u32 v103, v102, 24, 7
	s_mov_b32 s25, exec_lo
	v_mov_b32_e32 v39, v116
	v_mov_b32_e32 v40, v117
	v_cmpx_ne_u32_e32 0x7f, v103
	s_cbranch_execz .LBB233_753
; %bb.750:                              ;   in Loop: Header=BB233_16 Depth=1
	v_mov_b32_e32 v28, 7
	v_lshrrev_b32_e32 v39, 3, v103
	s_mov_b32 s26, exec_lo
	v_and_b32_sdwa v28, v102, v28 dst_sel:DWORD dst_unused:UNUSED_PAD src0_sel:BYTE_3 src1_sel:DWORD
	v_cmpx_gt_u32_e32 8, v103
; %bb.751:                              ;   in Loop: Header=BB233_16 Depth=1
	v_ffbh_u32_e32 v39, v28
	v_min_u32_e32 v39, 32, v39
	v_subrev_nc_u32_e32 v103, 28, v39
	v_sub_nc_u32_e32 v39, 29, v39
	v_lshlrev_b64 v[43:44], v103, v[28:29]
	v_and_b32_e32 v28, 7, v43
; %bb.752:                              ;   in Loop: Header=BB233_16 Depth=1
	s_or_b32 exec_lo, exec_lo, s26
	v_mov_b32_e32 v103, 24
	v_lshlrev_b32_e32 v28, 20, v28
	v_lshl_add_u32 v39, v39, 23, 0x3c000000
	v_lshlrev_b32_sdwa v102, v103, v102 dst_sel:DWORD dst_unused:UNUSED_PAD src0_sel:DWORD src1_sel:BYTE_3
	v_and_b32_e32 v102, 0x80000000, v102
	v_or3_b32 v40, v28, v102, v39
	v_mov_b32_e32 v39, v29
.LBB233_753:                            ;   in Loop: Header=BB233_16 Depth=1
	s_or_b32 exec_lo, exec_lo, s25
.LBB233_754:                            ;   in Loop: Header=BB233_16 Depth=1
	s_or_b32 exec_lo, exec_lo, s24
.LBB233_755:                            ;   in Loop: Header=BB233_16 Depth=1
	s_or_b32 exec_lo, exec_lo, s23
	flat_load_dword v57, v[16:17] offset:524
	v_mov_b32_e32 v122, 0
	v_mov_b32_e32 v43, 0
	v_mov_b32_e32 v123, 0
	v_mov_b32_e32 v44, 0
	s_waitcnt vmcnt(0) lgkmcnt(0)
	v_cmp_ne_u16_sdwa s5, v57, v29 src0_sel:BYTE_0 src1_sel:DWORD
	s_and_saveexec_b32 s23, s5
	s_cbranch_execz .LBB233_763
; %bb.756:                              ;   in Loop: Header=BB233_16 Depth=1
	v_bfrev_b32_e32 v43, 1
	v_mov_b32_e32 v44, 0
	v_cmp_ne_u16_sdwa s5, v57, v121 src0_sel:BYTE_0 src1_sel:DWORD
	s_and_saveexec_b32 s24, s5
	s_cbranch_execz .LBB233_762
; %bb.757:                              ;   in Loop: Header=BB233_16 Depth=1
	v_mov_b32_e32 v43, 0x7f800001
	v_and_b32_e32 v17, 0x7f, v57
	v_mov_b32_e32 v44, 0
	s_mov_b32 s25, exec_lo
	v_cmpx_ne_u32_e32 0x7f, v17
	s_cbranch_execz .LBB233_761
; %bb.758:                              ;   in Loop: Header=BB233_16 Depth=1
	v_and_b32_e32 v28, 7, v57
	v_lshrrev_b32_e32 v16, 3, v17
	s_mov_b32 s26, exec_lo
	v_cmpx_gt_u32_e32 8, v17
; %bb.759:                              ;   in Loop: Header=BB233_16 Depth=1
	v_ffbh_u32_e32 v16, v28
	v_min_u32_e32 v16, 32, v16
	v_subrev_nc_u32_e32 v17, 28, v16
	v_sub_nc_u32_e32 v16, 29, v16
	v_lshlrev_b64 v[102:103], v17, v[28:29]
	v_and_b32_e32 v28, 7, v102
; %bb.760:                              ;   in Loop: Header=BB233_16 Depth=1
	s_or_b32 exec_lo, exec_lo, s26
	v_lshlrev_b32_e32 v17, 24, v57
	v_lshlrev_b32_e32 v28, 20, v28
	v_lshl_add_u32 v16, v16, 23, 0x3c000000
	v_and_b32_e32 v17, 0x80000000, v17
	v_or3_b32 v28, v28, v17, v16
	v_mov_b32_e32 v44, v29
	v_mov_b32_e32 v43, v28
.LBB233_761:                            ;   in Loop: Header=BB233_16 Depth=1
	s_or_b32 exec_lo, exec_lo, s25
.LBB233_762:                            ;   in Loop: Header=BB233_16 Depth=1
	s_or_b32 exec_lo, exec_lo, s24
.LBB233_763:                            ;   in Loop: Header=BB233_16 Depth=1
	s_or_b32 exec_lo, exec_lo, s23
	v_cmp_ne_u16_sdwa s5, v57, v29 src0_sel:BYTE_1 src1_sel:DWORD
	s_and_saveexec_b32 s23, s5
	s_cbranch_execz .LBB233_771
; %bb.764:                              ;   in Loop: Header=BB233_16 Depth=1
	v_mov_b32_e32 v45, v29
	v_mov_b32_e32 v123, v46
	v_cmp_ne_u16_sdwa s5, v57, v121 src0_sel:BYTE_1 src1_sel:DWORD
	v_mov_b32_e32 v122, v45
	s_and_saveexec_b32 s24, s5
	s_cbranch_execz .LBB233_770
; %bb.765:                              ;   in Loop: Header=BB233_16 Depth=1
	v_mov_b32_e32 v16, 0xffff
	v_mov_b32_e32 v116, v29
	;; [unrolled: 1-line block ×3, first 2 shown]
	s_mov_b32 s25, exec_lo
	v_and_b32_sdwa v16, v16, v57 dst_sel:DWORD dst_unused:UNUSED_PAD src0_sel:DWORD src1_sel:BYTE_1
	v_mov_b32_e32 v122, v116
	v_and_b32_e32 v17, 0x7f, v16
	v_cmpx_ne_u32_e32 0x7f, v17
	s_cbranch_execz .LBB233_769
; %bb.766:                              ;   in Loop: Header=BB233_16 Depth=1
	v_and_b32_e32 v28, 7, v16
	v_lshrrev_b32_e32 v16, 3, v17
	s_mov_b32 s26, exec_lo
	v_cmpx_gt_u32_e32 8, v17
; %bb.767:                              ;   in Loop: Header=BB233_16 Depth=1
	v_ffbh_u32_e32 v16, v28
	v_min_u32_e32 v16, 32, v16
	v_subrev_nc_u32_e32 v17, 28, v16
	v_sub_nc_u32_e32 v16, 29, v16
	v_lshlrev_b64 v[102:103], v17, v[28:29]
	v_and_b32_e32 v28, 7, v102
; %bb.768:                              ;   in Loop: Header=BB233_16 Depth=1
	s_or_b32 exec_lo, exec_lo, s26
	v_lshlrev_b32_e32 v17, 16, v57
	v_lshlrev_b32_e32 v28, 20, v28
	v_lshl_add_u32 v16, v16, 23, 0x3c000000
	v_mov_b32_e32 v122, v29
	v_and_b32_e32 v17, 0x80000000, v17
	v_or3_b32 v123, v28, v17, v16
.LBB233_769:                            ;   in Loop: Header=BB233_16 Depth=1
	s_or_b32 exec_lo, exec_lo, s25
.LBB233_770:                            ;   in Loop: Header=BB233_16 Depth=1
	s_or_b32 exec_lo, exec_lo, s24
.LBB233_771:                            ;   in Loop: Header=BB233_16 Depth=1
	s_or_b32 exec_lo, exec_lo, s23
	v_mov_b32_e32 v16, 0
	v_mov_b32_e32 v102, 0
	v_and_b32_sdwa v28, v57, v60 dst_sel:DWORD dst_unused:UNUSED_PAD src0_sel:WORD_1 src1_sel:DWORD
	v_mov_b32_e32 v17, 0
	v_mov_b32_e32 v103, 0
	s_mov_b32 s23, exec_lo
	v_cmpx_ne_u16_e32 0, v28
	s_cbranch_execz .LBB233_779
; %bb.772:                              ;   in Loop: Header=BB233_16 Depth=1
	v_bfrev_b32_e32 v102, 1
	v_mov_b32_e32 v103, 0
	s_mov_b32 s24, exec_lo
	v_cmpx_ne_u16_e32 0x80, v28
	s_cbranch_execz .LBB233_778
; %bb.773:                              ;   in Loop: Header=BB233_16 Depth=1
	v_mov_b32_e32 v102, 0x7f800001
	v_bfe_u32 v116, v57, 16, 7
	v_mov_b32_e32 v103, 0
	s_mov_b32 s25, exec_lo
	v_cmpx_ne_u32_e32 0x7f, v116
	s_cbranch_execz .LBB233_777
; %bb.774:                              ;   in Loop: Header=BB233_16 Depth=1
	v_mov_b32_e32 v28, 7
	v_lshrrev_b32_e32 v102, 3, v116
	s_mov_b32 s26, exec_lo
	v_and_b32_sdwa v28, v57, v28 dst_sel:DWORD dst_unused:UNUSED_PAD src0_sel:WORD_1 src1_sel:DWORD
	v_cmpx_gt_u32_e32 8, v116
; %bb.775:                              ;   in Loop: Header=BB233_16 Depth=1
	v_ffbh_u32_e32 v102, v28
	v_min_u32_e32 v102, 32, v102
	v_subrev_nc_u32_e32 v103, 28, v102
	v_sub_nc_u32_e32 v102, 29, v102
	v_lshlrev_b64 v[74:75], v103, v[28:29]
	v_and_b32_e32 v28, 7, v74
; %bb.776:                              ;   in Loop: Header=BB233_16 Depth=1
	s_or_b32 exec_lo, exec_lo, s26
	v_mov_b32_e32 v103, 24
	v_lshlrev_b32_e32 v28, 20, v28
	v_lshl_add_u32 v102, v102, 23, 0x3c000000
	v_lshlrev_b32_sdwa v103, v103, v57 dst_sel:DWORD dst_unused:UNUSED_PAD src0_sel:DWORD src1_sel:WORD_1
	v_and_b32_e32 v103, 0x80000000, v103
	v_or3_b32 v28, v28, v103, v102
	v_mov_b32_e32 v103, v29
	v_mov_b32_e32 v102, v28
.LBB233_777:                            ;   in Loop: Header=BB233_16 Depth=1
	s_or_b32 exec_lo, exec_lo, s25
.LBB233_778:                            ;   in Loop: Header=BB233_16 Depth=1
	s_or_b32 exec_lo, exec_lo, s24
.LBB233_779:                            ;   in Loop: Header=BB233_16 Depth=1
	s_or_b32 exec_lo, exec_lo, s23
	s_mov_b32 s23, exec_lo
	v_cmpx_lt_u32_e32 0xffffff, v57
	s_cbranch_execz .LBB233_14
; %bb.780:                              ;   in Loop: Header=BB233_16 Depth=1
	v_mov_b32_e32 v45, v29
	v_cmp_ne_u32_sdwa s5, v57, v121 src0_sel:BYTE_3 src1_sel:DWORD
	v_mov_b32_e32 v16, v45
	v_mov_b32_e32 v17, v46
	s_and_saveexec_b32 s24, s5
	s_cbranch_execz .LBB233_13
; %bb.781:                              ;   in Loop: Header=BB233_16 Depth=1
	v_mov_b32_e32 v116, v29
	v_bfe_u32 v45, v57, 24, 7
	s_mov_b32 s25, exec_lo
	v_mov_b32_e32 v16, v116
	v_mov_b32_e32 v17, v117
	v_cmpx_ne_u32_e32 0x7f, v45
	s_cbranch_execz .LBB233_12
; %bb.782:                              ;   in Loop: Header=BB233_16 Depth=1
	v_mov_b32_e32 v16, 7
	s_mov_b32 s26, exec_lo
	v_and_b32_sdwa v28, v57, v16 dst_sel:DWORD dst_unused:UNUSED_PAD src0_sel:BYTE_3 src1_sel:DWORD
	v_lshrrev_b32_e32 v16, 3, v45
	v_cmpx_gt_u32_e32 8, v45
	s_cbranch_execz .LBB233_11
; %bb.783:                              ;   in Loop: Header=BB233_16 Depth=1
	v_ffbh_u32_e32 v16, v28
	v_min_u32_e32 v16, 32, v16
	v_subrev_nc_u32_e32 v17, 28, v16
	v_sub_nc_u32_e32 v16, 29, v16
	v_lshlrev_b64 v[74:75], v17, v[28:29]
	v_and_b32_e32 v28, 7, v74
	s_branch .LBB233_11
.LBB233_784:
	s_or_b32 exec_lo, exec_lo, s22
	s_clause 0xf
	buffer_load_dword v15, off, s[0:3], s32 offset:1024
	buffer_load_dword v14, off, s[0:3], s32 offset:1028
	;; [unrolled: 1-line block ×16, first 2 shown]
.LBB233_785:
	s_or_b32 exec_lo, exec_lo, s21
	v_mbcnt_lo_u32_b32 v0, -1, 0
	v_max_f32_e32 v4, v21, v21
	s_waitcnt lgkmcnt(0)
	s_lshr_b32 s8, s20, 16
	v_xor_b32_e32 v1, 16, v0
	v_xor_b32_e32 v3, 8, v0
	;; [unrolled: 1-line block ×3, first 2 shown]
	v_cmp_gt_i32_e32 vcc_lo, 32, v1
	v_cndmask_b32_e32 v1, v0, v1, vcc_lo
	v_cmp_gt_i32_e32 vcc_lo, 32, v3
	v_lshlrev_b32_e32 v2, 2, v1
	v_cndmask_b32_e32 v3, v0, v3, vcc_lo
	v_cmp_gt_i32_e32 vcc_lo, 32, v5
	ds_bpermute_b32 v1, v2, v21
	v_lshlrev_b32_e32 v3, 2, v3
	v_cndmask_b32_e32 v5, v0, v5, vcc_lo
	v_lshlrev_b32_e32 v34, 2, v5
	v_xor_b32_e32 v5, 2, v0
	v_cmp_gt_i32_e32 vcc_lo, 32, v5
	v_cndmask_b32_e32 v5, v0, v5, vcc_lo
	s_waitcnt lgkmcnt(0)
	v_max_f32_e32 v1, v1, v1
	v_lshlrev_b32_e32 v26, 2, v5
	v_xor_b32_e32 v5, 1, v0
	v_max_f32_e32 v1, v4, v1
	v_cmp_gt_i32_e32 vcc_lo, 32, v5
	ds_bpermute_b32 v4, v3, v1
	v_cndmask_b32_e32 v5, v0, v5, vcc_lo
	v_lshlrev_b32_e32 v25, 2, v5
	s_waitcnt lgkmcnt(0)
	v_max_f32_e32 v4, v4, v4
	v_max_f32_e32 v1, v1, v4
	ds_bpermute_b32 v4, v34, v1
	s_waitcnt lgkmcnt(0)
	v_max_f32_e32 v4, v4, v4
	v_max_f32_e32 v1, v1, v4
	ds_bpermute_b32 v4, v26, v1
	s_waitcnt lgkmcnt(0)
	v_max_f32_e32 v4, v4, v4
	v_max_f32_e32 v0, v1, v4
	buffer_load_dword v4, off, s[0:3], s32 offset:584 ; 4-byte Folded Reload
	ds_bpermute_b32 v1, v25, v0
	s_waitcnt vmcnt(0)
	v_cmp_eq_u32_e32 vcc_lo, 0, v4
	buffer_load_dword v4, off, s[0:3], s32 offset:1012 ; 4-byte Folded Reload
	s_waitcnt vmcnt(0)
	v_lshlrev_b32_e32 v4, 2, v4
	s_and_saveexec_b32 s5, vcc_lo
	s_cbranch_execz .LBB233_787
; %bb.786:
	s_waitcnt lgkmcnt(0)
	v_max_f32_e32 v1, v1, v1
	v_max_f32_e32 v0, v0, v0
	;; [unrolled: 1-line block ×3, first 2 shown]
	ds_write_b32 v4, v0 offset:384
.LBB233_787:
	s_or_b32 exec_lo, exec_lo, s5
	buffer_load_dword v0, off, s[0:3], s32 offset:584 ; 4-byte Folded Reload
	s_waitcnt vmcnt(0) lgkmcnt(0)
	s_waitcnt_vscnt null, 0x0
	s_barrier
	buffer_gl0_inv
	v_cmp_gt_u32_e64 s5, 4, v0
	v_mov_b32_e32 v0, 0xff7fffff
	s_and_saveexec_b32 s6, s5
; %bb.788:
	ds_read_b32 v0, v13 offset:384
; %bb.789:
	s_or_b32 exec_lo, exec_lo, s6
	buffer_load_dword v5, off, s[0:3], s32 offset:220 ; 4-byte Folded Reload
	s_waitcnt lgkmcnt(0)
	ds_bpermute_b32 v1, v26, v0
	v_max_f32_e32 v0, v0, v0
	s_waitcnt lgkmcnt(0)
	v_max_f32_e32 v1, v1, v1
	v_max_f32_e32 v0, v0, v1
	ds_bpermute_b32 v1, v25, v0
	s_waitcnt lgkmcnt(0)
	v_max_f32_e32 v1, v1, v1
	v_max_f32_e32 v0, v0, v1
	s_waitcnt vmcnt(0)
	v_subrev_nc_u32_e32 v6, s13, v5
	v_mov_b32_e32 v5, 0
	v_lshl_add_u32 v1, v6, 5, s7
	buffer_load_dword v6, off, s[0:3], s32 offset:588 ; 4-byte Folded Reload
	ds_bpermute_b32 v0, v5, v0
	v_min_i32_e32 v1, v1, v38
	v_subrev_nc_u32_e32 v1, s7, v1
	s_waitcnt vmcnt(0)
	v_cmp_lt_i32_e64 s6, v6, v1
	s_and_saveexec_b32 s9, s6
	s_cbranch_execz .LBB233_793
; %bb.790:
	buffer_load_dword v7, off, s[0:3], s32 offset:588 ; 4-byte Folded Reload
	s_getpc_b64 s[20:21]
	s_add_u32 s20, s20, llvm.amdgcn.dynlds.offset.table@rel32@lo+4
	s_addc_u32 s21, s21, llvm.amdgcn.dynlds.offset.table@rel32@hi+12
	s_ashr_i32 s17, s16, 31
	v_mov_b32_e32 v5, 0
	s_lshl_b64 s[22:23], s[16:17], 2
	s_mov_b32 s13, 0
	s_add_u32 s20, s20, s22
	s_addc_u32 s21, s21, s23
	s_load_dword s7, s[20:21], 0x0
	s_waitcnt vmcnt(0) lgkmcnt(0)
	v_lshl_add_u32 v6, v7, 2, s7
	.p2align	6
.LBB233_791:                            ; =>This Inner Loop Header: Depth=1
	ds_read_b32 v8, v6
	v_add_nc_u32_e32 v7, 0x80, v7
	v_cmp_ge_i32_e64 s7, v7, v1
	s_or_b32 s13, s7, s13
	s_waitcnt lgkmcnt(0)
	v_sub_f32_e32 v8, v8, v0
	v_mul_f32_e32 v8, 0x3fb8aa3b, v8
	v_exp_f32_e32 v8, v8
	ds_write_b32 v6, v8
	v_add_f32_e32 v5, v5, v8
	v_add_nc_u32_e32 v6, 0x200, v6
	s_andn2_b32 exec_lo, exec_lo, s13
	s_cbranch_execnz .LBB233_791
; %bb.792:
	s_or_b32 exec_lo, exec_lo, s13
.LBB233_793:
	s_or_b32 exec_lo, exec_lo, s9
	ds_bpermute_b32 v2, v2, v5
	s_waitcnt lgkmcnt(0)
	v_add_f32_e32 v2, v5, v2
	ds_bpermute_b32 v3, v3, v2
	s_waitcnt lgkmcnt(0)
	v_add_f32_e32 v2, v2, v3
	;; [unrolled: 3-line block ×5, first 2 shown]
	s_and_saveexec_b32 s7, vcc_lo
; %bb.794:
	ds_write_b32 v4, v2 offset:400
; %bb.795:
	s_or_b32 exec_lo, exec_lo, s7
	s_waitcnt lgkmcnt(0)
	s_barrier
	buffer_gl0_inv
	s_and_saveexec_b32 s7, s5
; %bb.796:
	ds_read_b32 v2, v13 offset:400
; %bb.797:
	s_or_b32 exec_lo, exec_lo, s7
	s_waitcnt lgkmcnt(0)
	ds_bpermute_b32 v3, v26, v2
	s_waitcnt lgkmcnt(0)
	v_add_f32_e32 v2, v2, v3
	ds_bpermute_b32 v3, v25, v2
	s_waitcnt lgkmcnt(0)
	v_add_f32_e32 v2, v2, v3
	v_mov_b32_e32 v3, 0
	ds_bpermute_b32 v2, v3, v2
	s_and_saveexec_b32 s5, s6
	s_cbranch_execz .LBB233_800
; %bb.798:
	s_waitcnt lgkmcnt(0)
	v_add_f32_e32 v4, 0x358637bd, v2
	s_getpc_b64 s[6:7]
	s_add_u32 s6, s6, llvm.amdgcn.dynlds.offset.table@rel32@lo+4
	s_addc_u32 s7, s7, llvm.amdgcn.dynlds.offset.table@rel32@hi+12
	s_ashr_i32 s17, s16, 31
	s_lshl_b64 s[20:21], s[16:17], 2
	v_div_scale_f32 v3, null, v4, v4, 1.0
	v_div_scale_f32 v7, vcc_lo, 1.0, v4, 1.0
	s_add_u32 s6, s6, s20
	v_rcp_f32_e32 v5, v3
	s_addc_u32 s7, s7, s21
	s_load_dword s6, s[6:7], 0x0
	v_fma_f32 v6, -v3, v5, 1.0
	v_fmac_f32_e32 v5, v6, v5
	v_mul_f32_e32 v6, v7, v5
	v_fma_f32 v8, -v3, v6, v7
	v_fmac_f32_e32 v6, v8, v5
	v_fma_f32 v3, -v3, v6, v7
	v_div_fmas_f32 v5, v3, v5, v6
	buffer_load_dword v6, off, s[0:3], s32 offset:588 ; 4-byte Folded Reload
	v_div_fixup_f32 v4, v5, v4, 1.0
	s_waitcnt vmcnt(0) lgkmcnt(0)
	v_lshl_add_u32 v3, v6, 2, s6
	v_mov_b32_e32 v5, v6
	s_mov_b32 s6, 0
.LBB233_799:                            ; =>This Inner Loop Header: Depth=1
	ds_read_b32 v6, v3
	v_add_nc_u32_e32 v5, 0x80, v5
	v_cmp_ge_i32_e32 vcc_lo, v5, v1
	s_or_b32 s6, vcc_lo, s6
	s_waitcnt lgkmcnt(0)
	v_mul_f32_e32 v6, v4, v6
	ds_write_b32 v3, v6
	v_add_nc_u32_e32 v3, 0x200, v3
	s_andn2_b32 exec_lo, exec_lo, s6
	s_cbranch_execnz .LBB233_799
.LBB233_800:
	s_or_b32 exec_lo, exec_lo, s5
	s_waitcnt lgkmcnt(0)
	buffer_load_dword v1, off, s[0:3], s32 offset:588 ; 4-byte Folded Reload
	s_and_b32 s5, 0xffff, s8
	s_mov_b32 s8, exec_lo
	s_cmp_lg_u32 s5, 0
	s_barrier
	s_cselect_b32 s5, -1, 0
	s_waitcnt vmcnt(0)
	buffer_gl0_inv
	s_cmp_lg_u32 s5, 0
	s_addc_u32 s5, s11, 0
	s_mul_i32 s6, s5, s18
	s_mul_i32 s6, s6, s15
	v_cmpx_eq_u32_e32 0, v1
	s_cbranch_execz .LBB233_802
; %bb.801:
	s_ashr_i32 s7, s6, 31
	s_mul_i32 s12, s5, s12
	s_lshl_b64 s[20:21], s[6:7], 2
	s_ashr_i32 s13, s12, 31
	v_add_co_u32 v1, vcc_lo, v33, s20
	v_add_co_ci_u32_e64 v3, null, s21, v32, vcc_lo
	s_lshl_b64 s[12:13], s[12:13], 2
	s_ashr_i32 s15, s14, 31
	v_add_co_u32 v1, vcc_lo, v1, s12
	v_add_co_ci_u32_e64 v4, null, s13, v3, vcc_lo
	v_add_co_u32 v3, vcc_lo, v27, s20
	v_add_co_ci_u32_e64 v5, null, s21, v24, vcc_lo
	s_lshl_b64 s[20:21], s[14:15], 2
	v_add_co_u32 v6, vcc_lo, v3, s12
	v_add_co_ci_u32_e64 v7, null, s13, v5, vcc_lo
	v_add_co_u32 v3, vcc_lo, v1, s20
	v_add_co_ci_u32_e64 v4, null, s21, v4, vcc_lo
	;; [unrolled: 2-line block ×3, first 2 shown]
	flat_store_dword v[3:4], v0
	flat_store_dword v[5:6], v2
.LBB233_802:
	s_or_b32 exec_lo, exec_lo, s8
	buffer_load_dword v0, off, s[0:3], s32 offset:588 ; 4-byte Folded Reload
	s_ashr_i32 s17, s16, 31
	s_getpc_b64 s[8:9]
	s_add_u32 s8, s8, llvm.amdgcn.dynlds.offset.table@rel32@lo+4
	s_addc_u32 s9, s9, llvm.amdgcn.dynlds.offset.table@rel32@hi+12
	s_lshl_b64 s[12:13], s[16:17], 2
	v_mov_b32_e32 v65, 0
	v_mov_b32_e32 v66, 0
	;; [unrolled: 1-line block ×24, first 2 shown]
	s_add_u32 s8, s8, s12
	s_addc_u32 s9, s9, s13
	s_waitcnt vmcnt(0)
	v_and_b32_e32 v54, 7, v0
	s_and_saveexec_b32 s7, s4
	s_cbranch_execz .LBB233_1624
; %bb.803:
	buffer_load_dword v0, off, s[0:3], s32 offset:588 ; 4-byte Folded Reload
	v_max_i32_e32 v71, v30, v20
	buffer_store_dword v34, off, s[0:3], s32 offset:456 ; 4-byte Folded Spill
	s_load_dword s4, s[8:9], 0x0
	v_add_co_u32 v3, vcc_lo, v10, v18
	v_mov_b32_e32 v10, 0
	v_sub_nc_u32_e32 v8, 0, v71
	v_add_co_ci_u32_e64 v4, null, v11, v12, vcc_lo
	v_lshlrev_b32_e32 v6, 4, v54
	v_mov_b32_e32 v7, 0
	v_mov_b32_e32 v81, 0x80
	v_bfrev_b32_e32 v9, 1
	v_mov_b32_e32 v11, 0x7f800001
	v_mov_b32_e32 v83, 0xff
	;; [unrolled: 1-line block ×3, first 2 shown]
	s_mov_b32 s11, 0
	s_waitcnt vmcnt(0)
	v_lshlrev_b32_e32 v2, 2, v0
	v_cvt_f32_u32_e32 v0, v71
	v_rcp_iflag_f32_e32 v5, v0
	v_add_nc_u32_e32 v0, -1, v19
	buffer_store_dword v0, off, s[0:3], s32 offset:432 ; 4-byte Folded Spill
	s_clause 0x1
	buffer_load_dword v0, off, s[0:3], s32 offset:200
	buffer_load_dword v1, off, s[0:3], s32 offset:204
	buffer_store_dword v10, off, s[0:3], s32 offset:240 ; 4-byte Folded Spill
	v_mov_b32_e32 v10, 0
	v_mul_f32_e32 v5, 0x4f7ffffe, v5
	buffer_store_dword v54, off, s[0:3], s32 offset:464 ; 4-byte Folded Spill
	buffer_store_dword v10, off, s[0:3], s32 offset:248 ; 4-byte Folded Spill
	v_mov_b32_e32 v10, 0
	v_cvt_u32_f32_e32 v5, v5
	buffer_store_dword v10, off, s[0:3], s32 offset:256 ; 4-byte Folded Spill
	v_mov_b32_e32 v10, 0
	v_mul_lo_u32 v8, v8, v5
	buffer_store_dword v10, off, s[0:3], s32 offset:264 ; 4-byte Folded Spill
	v_and_b32_e32 v10, 28, v2
	v_and_b32_e32 v2, 0x7c, v2
	v_mul_hi_u32 v8, v5, v8
	buffer_store_dword v10, off, s[0:3], s32 offset:440 ; 4-byte Folded Spill
	buffer_load_dword v10, off, s[0:3], s32 offset:1012 ; 4-byte Folded Reload
	s_waitcnt vmcnt(1)
	v_lshlrev_b64 v[0:1], 2, v[0:1]
	v_add_co_u32 v0, vcc_lo, v16, v0
	v_add_co_ci_u32_e64 v1, null, v17, v1, vcc_lo
	v_add_co_u32 v2, vcc_lo, v3, v2
	v_add_co_ci_u32_e64 v3, null, 0, v4, vcc_lo
	v_add_co_u32 v14, vcc_lo, v14, v0
	v_add_nc_u32_e32 v0, v5, v8
	buffer_store_dword v2, off, s[0:3], s32 offset:448 ; 4-byte Folded Spill
	buffer_store_dword v3, off, s[0:3], s32 offset:452 ; 4-byte Folded Spill
	v_add_co_ci_u32_e64 v15, null, v15, v1, vcc_lo
	v_mov_b32_e32 v5, 0
	buffer_store_dword v0, off, s[0:3], s32 offset:416 ; 4-byte Folded Spill
	v_mov_b32_e32 v0, 0
	s_waitcnt vmcnt(0)
	v_lshl_or_b32 v6, v10, 7, v6
	buffer_store_dword v0, off, s[0:3], s32 offset:272 ; 4-byte Folded Spill
	v_mov_b32_e32 v0, 0
	s_waitcnt lgkmcnt(0)
	v_add_nc_u32_e32 v87, s4, v6
	buffer_store_dword v0, off, s[0:3], s32 offset:280 ; 4-byte Folded Spill
	v_mov_b32_e32 v0, 0
	buffer_store_dword v0, off, s[0:3], s32 offset:288 ; 4-byte Folded Spill
	v_mov_b32_e32 v0, 0
	;; [unrolled: 2-line block ×16, first 2 shown]
	buffer_store_dword v0, off, s[0:3], s32 offset:400 ; 4-byte Folded Spill
	s_branch .LBB233_806
.LBB233_804:                            ;   in Loop: Header=BB233_806 Depth=1
	s_or_b32 exec_lo, exec_lo, s4
	buffer_load_dword v20, off, s[0:3], s32 offset:240 ; 4-byte Folded Reload
	v_mul_f32_e32 v10, v1, v84
	v_mul_f32_e32 v16, v1, v70
	;; [unrolled: 1-line block ×5, first 2 shown]
	v_fmac_f32_e32 v10, v0, v82
	v_fmac_f32_e32 v16, v0, v69
	;; [unrolled: 1-line block ×15, first 2 shown]
	s_waitcnt vmcnt(0)
	v_add_f32_e32 v20, v20, v10
	buffer_load_dword v10, off, s[0:3], s32 offset:248 ; 4-byte Folded Reload
	buffer_store_dword v20, off, s[0:3], s32 offset:240 ; 4-byte Folded Spill
	s_waitcnt vmcnt(0)
	v_add_f32_e32 v10, v10, v16
	v_mul_f32_e32 v16, v1, v33
	buffer_store_dword v10, off, s[0:3], s32 offset:248 ; 4-byte Folded Spill
	buffer_load_dword v10, off, s[0:3], s32 offset:256 ; 4-byte Folded Reload
	v_fmac_f32_e32 v16, v0, v32
	v_fmac_f32_e32 v16, v2, v31
	;; [unrolled: 1-line block ×3, first 2 shown]
	s_waitcnt vmcnt(0)
	v_add_f32_e32 v10, v10, v17
	v_mul_f32_e32 v17, v1, v96
	buffer_store_dword v10, off, s[0:3], s32 offset:256 ; 4-byte Folded Spill
	v_fmac_f32_e32 v17, v0, v13
	buffer_load_dword v10, off, s[0:3], s32 offset:264 ; 4-byte Folded Reload
	v_mul_f32_e32 v13, v1, v109
	v_fmac_f32_e32 v17, v2, v12
	buffer_load_dword v12, off, s[0:3], s32 offset:272 ; 4-byte Folded Reload
	v_fmac_f32_e32 v13, v0, v108
	v_fmac_f32_e32 v17, v3, v86
	;; [unrolled: 1-line block ×4, first 2 shown]
	s_waitcnt vmcnt(1)
	v_add_f32_e32 v10, v10, v18
	v_mul_f32_e32 v18, v1, v80
	s_waitcnt vmcnt(0)
	v_add_f32_e32 v12, v12, v19
	buffer_store_dword v10, off, s[0:3], s32 offset:264 ; 4-byte Folded Spill
	v_mul_f32_e32 v10, v1, v37
	v_fmac_f32_e32 v18, v0, v29
	buffer_store_dword v12, off, s[0:3], s32 offset:272 ; 4-byte Folded Spill
	buffer_load_dword v12, off, s[0:3], s32 offset:280 ; 4-byte Folded Reload
	v_fmac_f32_e32 v10, v0, v36
	v_fmac_f32_e32 v18, v2, v127
	v_fmac_f32_e32 v10, v2, v35
	v_fmac_f32_e32 v18, v3, v126
	v_fmac_f32_e32 v10, v3, v34
	s_waitcnt vmcnt(0)
	v_add_f32_e32 v12, v12, v10
	buffer_load_dword v10, off, s[0:3], s32 offset:288 ; 4-byte Folded Reload
	buffer_store_dword v12, off, s[0:3], s32 offset:280 ; 4-byte Folded Spill
	v_mul_f32_e32 v12, v1, v121
	v_fmac_f32_e32 v12, v0, v120
	v_fmac_f32_e32 v12, v2, v111
	v_fmac_f32_e32 v12, v3, v110
	s_waitcnt vmcnt(0)
	v_add_f32_e32 v10, v10, v16
	v_mul_f32_e32 v16, v1, v105
	buffer_store_dword v10, off, s[0:3], s32 offset:288 ; 4-byte Folded Spill
	buffer_load_dword v10, off, s[0:3], s32 offset:296 ; 4-byte Folded Reload
	v_fmac_f32_e32 v16, v0, v104
	v_fmac_f32_e32 v16, v2, v95
	v_fmac_f32_e32 v16, v3, v94
	s_waitcnt vmcnt(0)
	v_add_f32_e32 v10, v10, v17
	v_mul_f32_e32 v17, v1, v93
	buffer_store_dword v10, off, s[0:3], s32 offset:296 ; 4-byte Folded Spill
	buffer_load_dword v10, off, s[0:3], s32 offset:304 ; 4-byte Folded Reload
	v_fmac_f32_e32 v17, v0, v92
	v_fmac_f32_e32 v17, v2, v91
	;; [unrolled: 1-line block ×3, first 2 shown]
	s_waitcnt vmcnt(0)
	v_add_f32_e32 v10, v10, v18
	buffer_load_dword v18, off, s[0:3], s32 offset:312 ; 4-byte Folded Reload
	buffer_store_dword v10, off, s[0:3], s32 offset:304 ; 4-byte Folded Spill
	v_mul_f32_e32 v10, v1, v125
	v_fmac_f32_e32 v10, v0, v124
	v_fmac_f32_e32 v10, v2, v123
	;; [unrolled: 1-line block ×3, first 2 shown]
	s_waitcnt vmcnt(0)
	v_add_f32_e32 v18, v18, v10
	buffer_load_dword v10, off, s[0:3], s32 offset:320 ; 4-byte Folded Reload
	buffer_store_dword v18, off, s[0:3], s32 offset:312 ; 4-byte Folded Spill
	buffer_load_dword v18, off, s[0:3], s32 offset:352 ; 4-byte Folded Reload
	s_waitcnt vmcnt(1)
	v_add_f32_e32 v10, v10, v12
	v_mul_f32_e32 v12, v1, v77
	buffer_store_dword v10, off, s[0:3], s32 offset:320 ; 4-byte Folded Spill
	buffer_load_dword v10, off, s[0:3], s32 offset:328 ; 4-byte Folded Reload
	v_fmac_f32_e32 v12, v0, v76
	v_fmac_f32_e32 v12, v2, v75
	v_fmac_f32_e32 v12, v3, v74
	s_waitcnt vmcnt(0)
	v_add_f32_e32 v10, v10, v13
	v_mul_f32_e32 v13, v1, v73
	buffer_store_dword v10, off, s[0:3], s32 offset:328 ; 4-byte Folded Spill
	buffer_load_dword v10, off, s[0:3], s32 offset:336 ; 4-byte Folded Reload
	v_fmac_f32_e32 v13, v0, v72
	v_fmac_f32_e32 v13, v2, v63
	v_fmac_f32_e32 v13, v3, v62
	;; [unrolled: 8-line block ×3, first 2 shown]
	s_waitcnt vmcnt(0)
	v_add_f32_e32 v10, v10, v17
	v_mul_f32_e32 v17, v1, v57
	buffer_store_dword v10, off, s[0:3], s32 offset:344 ; 4-byte Folded Spill
	v_mul_f32_e32 v10, v1, v89
	v_fmac_f32_e32 v17, v0, v56
	v_fmac_f32_e32 v10, v0, v88
	;; [unrolled: 1-line block ×6, first 2 shown]
	v_add_f32_e32 v18, v18, v10
	buffer_load_dword v10, off, s[0:3], s32 offset:360 ; 4-byte Folded Reload
	buffer_store_dword v18, off, s[0:3], s32 offset:352 ; 4-byte Folded Spill
	s_waitcnt vmcnt(0)
	v_add_f32_e32 v10, v10, v12
	v_mul_f32_e32 v12, v1, v40
	buffer_store_dword v10, off, s[0:3], s32 offset:360 ; 4-byte Folded Spill
	buffer_load_dword v10, off, s[0:3], s32 offset:368 ; 4-byte Folded Reload
	v_fmac_f32_e32 v12, v0, v119
	v_fmac_f32_e32 v12, v2, v118
	;; [unrolled: 1-line block ×3, first 2 shown]
	s_waitcnt vmcnt(0)
	v_add_f32_e32 v10, v10, v13
	v_mul_f32_e32 v13, v1, v116
	buffer_store_dword v10, off, s[0:3], s32 offset:368 ; 4-byte Folded Spill
	buffer_load_dword v10, off, s[0:3], s32 offset:376 ; 4-byte Folded Reload
	v_fmac_f32_e32 v13, v0, v115
	v_fmac_f32_e32 v13, v2, v114
	;; [unrolled: 1-line block ×3, first 2 shown]
	s_waitcnt vmcnt(0)
	v_add_f32_e32 v10, v10, v16
	v_mul_f32_e32 v16, v1, v100
	buffer_store_dword v10, off, s[0:3], s32 offset:376 ; 4-byte Folded Spill
	buffer_load_dword v10, off, s[0:3], s32 offset:384 ; 4-byte Folded Reload
	v_fmac_f32_e32 v16, v0, v99
	v_fmac_f32_e32 v16, v2, v98
	s_waitcnt vmcnt(0)
	v_add_f32_e32 v10, v10, v17
	buffer_store_dword v10, off, s[0:3], s32 offset:384 ; 4-byte Folded Spill
	v_mul_f32_e32 v10, v1, v44
	v_mul_f32_e32 v1, v1, v8
	v_fmac_f32_e32 v10, v0, v43
	v_fmac_f32_e32 v1, v0, v6
	buffer_load_dword v0, off, s[0:3], s32 offset:232 ; 4-byte Folded Reload
	v_fmac_f32_e32 v10, v2, v42
	v_fmac_f32_e32 v1, v2, v5
	buffer_load_dword v5, off, s[0:3], s32 offset:424 ; 4-byte Folded Reload
	v_fmac_f32_e32 v10, v3, v41
	v_fmac_f32_e32 v1, v3, v4
	v_add_f32_e32 v97, v97, v1
	s_waitcnt vmcnt(1)
	v_fmac_f32_e32 v16, v3, v0
	buffer_load_dword v0, off, s[0:3], s32 offset:392 ; 4-byte Folded Reload
	s_waitcnt vmcnt(1)
	v_add_f32_e32 v5, v5, v10
	s_waitcnt vmcnt(0)
	v_add_f32_e32 v0, v0, v12
	buffer_store_dword v0, off, s[0:3], s32 offset:392 ; 4-byte Folded Spill
	buffer_load_dword v0, off, s[0:3], s32 offset:408 ; 4-byte Folded Reload
	s_waitcnt vmcnt(0)
	v_add_f32_e32 v0, v0, v13
	buffer_store_dword v0, off, s[0:3], s32 offset:408 ; 4-byte Folded Spill
	buffer_load_dword v0, off, s[0:3], s32 offset:400 ; 4-byte Folded Reload
	s_waitcnt vmcnt(0)
	v_add_f32_e32 v0, v0, v16
	buffer_store_dword v0, off, s[0:3], s32 offset:400 ; 4-byte Folded Spill
.LBB233_805:                            ;   in Loop: Header=BB233_806 Depth=1
	s_or_b32 exec_lo, exec_lo, s12
	s_clause 0x1
	buffer_load_dword v0, off, s[0:3], s32 offset:200
	buffer_load_dword v1, off, s[0:3], s32 offset:204
	v_add_co_u32 v14, s4, v14, 16
	v_add_co_ci_u32_e64 v15, null, 0, v15, s4
	v_add_nc_u32_e32 v22, 0x80, v22
	v_add_nc_u32_e32 v87, 0x200, v87
	s_waitcnt vmcnt(0)
	v_mov_b32_e32 v1, v0
	v_add_nc_u32_e32 v1, 4, v1
	v_mov_b32_e32 v0, v1
	buffer_store_dword v0, off, s[0:3], s32 offset:200 ; 4-byte Folded Spill
	buffer_store_dword v1, off, s[0:3], s32 offset:204 ; 4-byte Folded Spill
	buffer_load_dword v0, off, s[0:3], s32 offset:220 ; 4-byte Folded Reload
	s_waitcnt vmcnt(0)
	v_cmp_ge_i32_e32 vcc_lo, v1, v0
	s_or_b32 s11, vcc_lo, s11
	s_andn2_b32 exec_lo, exec_lo, s11
	s_cbranch_execz .LBB233_1623
.LBB233_806:                            ; =>This Inner Loop Header: Depth=1
	s_clause 0x1
	buffer_load_dword v1, off, s[0:3], s32 offset:224
	buffer_load_dword v4, off, s[0:3], s32 offset:216
	v_sub_nc_u32_e32 v0, 0, v22
	v_max_i32_e32 v0, v22, v0
	s_waitcnt vmcnt(1)
	v_mul_hi_u32 v1, v0, v1
	v_mul_lo_u32 v2, v1, v47
	v_sub_nc_u32_e32 v0, v0, v2
	v_add_nc_u32_e32 v2, 1, v1
	v_sub_nc_u32_e32 v3, v0, v47
	v_cmp_ge_u32_e32 vcc_lo, v0, v47
	v_cndmask_b32_e32 v1, v1, v2, vcc_lo
	v_cndmask_b32_e32 v0, v0, v3, vcc_lo
	v_ashrrev_i32_e32 v2, 31, v22
	v_add_nc_u32_e32 v3, 1, v1
	v_cmp_ge_u32_e32 vcc_lo, v0, v47
	s_waitcnt vmcnt(0)
	v_xor_b32_e32 v2, v2, v4
	v_cndmask_b32_e32 v0, v1, v3, vcc_lo
	v_xor_b32_e32 v0, v0, v2
	v_sub_nc_u32_e32 v0, v0, v2
	s_clause 0x2
	buffer_load_dword v1, off, s[0:3], s32 offset:208
	buffer_load_dword v2, off, s[0:3], s32 offset:212
	;; [unrolled: 1-line block ×3, first 2 shown]
	s_waitcnt vmcnt(2)
	v_add_nc_u32_e32 v1, v0, v1
	s_waitcnt vmcnt(1)
	v_sub_nc_u32_e32 v2, 0, v1
	v_max_i32_e32 v2, v1, v2
	v_ashrrev_i32_e32 v1, 31, v1
	s_waitcnt vmcnt(0)
	v_mul_hi_u32 v3, v2, v3
	v_mul_lo_u32 v3, v3, v71
	v_sub_nc_u32_e32 v2, v2, v3
	v_sub_nc_u32_e32 v3, v2, v71
	v_cmp_ge_u32_e32 vcc_lo, v2, v71
	v_cndmask_b32_e32 v2, v2, v3, vcc_lo
	v_sub_nc_u32_e32 v3, v2, v71
	v_cmp_ge_u32_e32 vcc_lo, v2, v71
	v_cndmask_b32_e32 v2, v2, v3, vcc_lo
	v_xor_b32_e32 v2, v2, v1
	v_sub_nc_u32_e32 v1, v2, v1
	v_cmp_eq_u32_e32 vcc_lo, 0, v1
	buffer_load_dword v1, off, s[0:3], s32 offset:228 ; 4-byte Folded Reload
	s_waitcnt vmcnt(0)
	v_cmp_gt_i32_e64 s4, v0, v1
	s_or_b32 s4, vcc_lo, s4
	s_and_saveexec_b32 s12, s4
	s_cbranch_execz .LBB233_805
; %bb.807:                              ;   in Loop: Header=BB233_806 Depth=1
	buffer_store_dword v5, off, s[0:3], s32 offset:424 ; 4-byte Folded Spill
	flat_load_dword v0, v[14:15]
	s_clause 0x2
	buffer_load_dword v1, off, s[0:3], s32 offset:568
	buffer_load_dword v2, off, s[0:3], s32 offset:448
	;; [unrolled: 1-line block ×3, first 2 shown]
	v_mov_b32_e32 v18, 0
	v_mov_b32_e32 v16, 0
	;; [unrolled: 1-line block ×4, first 2 shown]
	s_waitcnt vmcnt(0) lgkmcnt(0)
	v_mad_i64_i32 v[4:5], null, v0, v1, v[2:3]
	flat_load_dword v12, v[4:5]
	s_clause 0x1
	buffer_load_dword v0, off, s[0:3], s32 offset:592
	buffer_load_dword v1, off, s[0:3], s32 offset:596
	s_waitcnt vmcnt(2) lgkmcnt(0)
	v_cmp_ne_u16_sdwa s13, v12, v7 src0_sel:BYTE_0 src1_sel:DWORD
	s_waitcnt vmcnt(0)
	flat_load_dword v27, v[0:1]
	ds_read_b128 v[0:3], v87
	s_and_saveexec_b32 s4, s13
	s_cbranch_execz .LBB233_815
; %bb.808:                              ;   in Loop: Header=BB233_806 Depth=1
	v_bfrev_b32_e32 v16, 1
	v_mov_b32_e32 v17, 0
	v_cmp_ne_u16_sdwa s15, v12, v81 src0_sel:BYTE_0 src1_sel:DWORD
	s_and_saveexec_b32 s13, s15
	s_cbranch_execz .LBB233_814
; %bb.809:                              ;   in Loop: Header=BB233_806 Depth=1
	v_mov_b32_e32 v16, 0x7f800001
	v_and_b32_e32 v10, 0x7f, v12
	v_mov_b32_e32 v17, 0
	s_mov_b32 s15, exec_lo
	v_cmpx_ne_u32_e32 0x7f, v10
	s_cbranch_execz .LBB233_813
; %bb.810:                              ;   in Loop: Header=BB233_806 Depth=1
	v_and_b32_e32 v6, 7, v12
	v_lshrrev_b32_e32 v8, 3, v10
	s_mov_b32 s16, exec_lo
	v_cmpx_gt_u32_e32 8, v10
; %bb.811:                              ;   in Loop: Header=BB233_806 Depth=1
	v_ffbh_u32_e32 v8, v6
	v_min_u32_e32 v8, 32, v8
	v_subrev_nc_u32_e32 v10, 28, v8
	v_sub_nc_u32_e32 v8, 29, v8
	v_lshlrev_b64 v[16:17], v10, v[6:7]
	v_and_b32_e32 v6, 7, v16
; %bb.812:                              ;   in Loop: Header=BB233_806 Depth=1
	s_or_b32 exec_lo, exec_lo, s16
	v_lshlrev_b32_e32 v10, 24, v12
	v_lshlrev_b32_e32 v6, 20, v6
	v_lshl_add_u32 v8, v8, 23, 0x3c000000
	v_and_b32_e32 v10, 0x80000000, v10
	v_or3_b32 v6, v6, v10, v8
	v_mov_b32_e32 v17, v7
	v_mov_b32_e32 v16, v6
.LBB233_813:                            ;   in Loop: Header=BB233_806 Depth=1
	s_or_b32 exec_lo, exec_lo, s15
.LBB233_814:                            ;   in Loop: Header=BB233_806 Depth=1
	s_or_b32 exec_lo, exec_lo, s13
.LBB233_815:                            ;   in Loop: Header=BB233_806 Depth=1
	s_or_b32 exec_lo, exec_lo, s4
	v_cmp_ne_u16_sdwa s13, v12, v7 src0_sel:BYTE_1 src1_sel:DWORD
	s_and_saveexec_b32 s4, s13
	s_cbranch_execz .LBB233_823
; %bb.816:                              ;   in Loop: Header=BB233_806 Depth=1
	v_mov_b32_e32 v8, v7
	v_mov_b32_e32 v19, v9
	v_cmp_ne_u16_sdwa s15, v12, v81 src0_sel:BYTE_1 src1_sel:DWORD
	v_mov_b32_e32 v18, v8
	s_and_saveexec_b32 s13, s15
	s_cbranch_execz .LBB233_822
; %bb.817:                              ;   in Loop: Header=BB233_806 Depth=1
	v_mov_b32_e32 v6, 0xffff
	v_mov_b32_e32 v10, v7
	;; [unrolled: 1-line block ×3, first 2 shown]
	s_mov_b32 s15, exec_lo
	v_and_b32_sdwa v6, v6, v12 dst_sel:DWORD dst_unused:UNUSED_PAD src0_sel:DWORD src1_sel:BYTE_1
	v_mov_b32_e32 v18, v10
	v_and_b32_e32 v13, 0x7f, v6
	v_cmpx_ne_u32_e32 0x7f, v13
	s_cbranch_execz .LBB233_821
; %bb.818:                              ;   in Loop: Header=BB233_806 Depth=1
	v_and_b32_e32 v6, 7, v6
	v_lshrrev_b32_e32 v8, 3, v13
	s_mov_b32 s16, exec_lo
	v_cmpx_gt_u32_e32 8, v13
; %bb.819:                              ;   in Loop: Header=BB233_806 Depth=1
	v_ffbh_u32_e32 v8, v6
	v_min_u32_e32 v8, 32, v8
	v_subrev_nc_u32_e32 v10, 28, v8
	v_sub_nc_u32_e32 v8, 29, v8
	v_lshlrev_b64 v[18:19], v10, v[6:7]
	v_and_b32_e32 v6, 7, v18
; %bb.820:                              ;   in Loop: Header=BB233_806 Depth=1
	s_or_b32 exec_lo, exec_lo, s16
	v_lshlrev_b32_e32 v10, 16, v12
	v_lshlrev_b32_e32 v6, 20, v6
	v_lshl_add_u32 v8, v8, 23, 0x3c000000
	v_mov_b32_e32 v18, v7
	v_and_b32_e32 v10, 0x80000000, v10
	v_or3_b32 v19, v6, v10, v8
.LBB233_821:                            ;   in Loop: Header=BB233_806 Depth=1
	s_or_b32 exec_lo, exec_lo, s15
.LBB233_822:                            ;   in Loop: Header=BB233_806 Depth=1
	s_or_b32 exec_lo, exec_lo, s13
.LBB233_823:                            ;   in Loop: Header=BB233_806 Depth=1
	s_or_b32 exec_lo, exec_lo, s4
	v_mov_b32_e32 v23, 0
	v_mov_b32_e32 v20, 0
	v_and_b32_sdwa v6, v12, v83 dst_sel:DWORD dst_unused:UNUSED_PAD src0_sel:WORD_1 src1_sel:DWORD
	v_mov_b32_e32 v24, 0
	v_mov_b32_e32 v21, 0
	s_mov_b32 s4, exec_lo
	v_cmpx_ne_u16_e32 0, v6
	s_cbranch_execz .LBB233_831
; %bb.824:                              ;   in Loop: Header=BB233_806 Depth=1
	v_bfrev_b32_e32 v20, 1
	v_mov_b32_e32 v21, 0
	s_mov_b32 s13, exec_lo
	v_cmpx_ne_u16_e32 0x80, v6
	s_cbranch_execz .LBB233_830
; %bb.825:                              ;   in Loop: Header=BB233_806 Depth=1
	v_mov_b32_e32 v20, 0x7f800001
	v_bfe_u32 v10, v12, 16, 7
	v_mov_b32_e32 v21, 0
	s_mov_b32 s15, exec_lo
	v_cmpx_ne_u32_e32 0x7f, v10
	s_cbranch_execz .LBB233_829
; %bb.826:                              ;   in Loop: Header=BB233_806 Depth=1
	v_mov_b32_e32 v6, 7
	v_lshrrev_b32_e32 v8, 3, v10
	s_mov_b32 s16, exec_lo
	v_and_b32_sdwa v6, v12, v6 dst_sel:DWORD dst_unused:UNUSED_PAD src0_sel:WORD_1 src1_sel:DWORD
	v_cmpx_gt_u32_e32 8, v10
; %bb.827:                              ;   in Loop: Header=BB233_806 Depth=1
	v_ffbh_u32_e32 v8, v6
	v_min_u32_e32 v8, 32, v8
	v_subrev_nc_u32_e32 v10, 28, v8
	v_sub_nc_u32_e32 v8, 29, v8
	v_lshlrev_b64 v[20:21], v10, v[6:7]
	v_and_b32_e32 v6, 7, v20
; %bb.828:                              ;   in Loop: Header=BB233_806 Depth=1
	s_or_b32 exec_lo, exec_lo, s16
	v_mov_b32_e32 v10, 24
	v_lshlrev_b32_e32 v6, 20, v6
	v_lshl_add_u32 v8, v8, 23, 0x3c000000
	v_lshlrev_b32_sdwa v10, v10, v12 dst_sel:DWORD dst_unused:UNUSED_PAD src0_sel:DWORD src1_sel:WORD_1
	v_and_b32_e32 v10, 0x80000000, v10
	v_or3_b32 v6, v6, v10, v8
	v_mov_b32_e32 v21, v7
	v_mov_b32_e32 v20, v6
.LBB233_829:                            ;   in Loop: Header=BB233_806 Depth=1
	s_or_b32 exec_lo, exec_lo, s15
.LBB233_830:                            ;   in Loop: Header=BB233_806 Depth=1
	s_or_b32 exec_lo, exec_lo, s13
.LBB233_831:                            ;   in Loop: Header=BB233_806 Depth=1
	s_or_b32 exec_lo, exec_lo, s4
	s_mov_b32 s4, exec_lo
	v_cmpx_lt_u32_e32 0xffffff, v12
	s_cbranch_execz .LBB233_839
; %bb.832:                              ;   in Loop: Header=BB233_806 Depth=1
	v_mov_b32_e32 v8, v7
	v_mov_b32_e32 v24, v9
	v_cmp_ne_u32_sdwa s15, v12, v81 src0_sel:BYTE_3 src1_sel:DWORD
	v_mov_b32_e32 v23, v8
	s_and_saveexec_b32 s13, s15
	s_cbranch_execz .LBB233_838
; %bb.833:                              ;   in Loop: Header=BB233_806 Depth=1
	v_mov_b32_e32 v10, v7
	v_mov_b32_e32 v24, v11
	v_bfe_u32 v13, v12, 24, 7
	s_mov_b32 s15, exec_lo
	v_mov_b32_e32 v23, v10
	v_cmpx_ne_u32_e32 0x7f, v13
	s_cbranch_execz .LBB233_837
; %bb.834:                              ;   in Loop: Header=BB233_806 Depth=1
	v_mov_b32_e32 v6, 7
	v_lshrrev_b32_e32 v8, 3, v13
	s_mov_b32 s16, exec_lo
	v_and_b32_sdwa v6, v12, v6 dst_sel:DWORD dst_unused:UNUSED_PAD src0_sel:BYTE_3 src1_sel:DWORD
	v_cmpx_gt_u32_e32 8, v13
; %bb.835:                              ;   in Loop: Header=BB233_806 Depth=1
	v_ffbh_u32_e32 v8, v6
	v_min_u32_e32 v8, 32, v8
	v_subrev_nc_u32_e32 v10, 28, v8
	v_sub_nc_u32_e32 v8, 29, v8
	v_lshlrev_b64 v[23:24], v10, v[6:7]
	v_and_b32_e32 v6, 7, v23
; %bb.836:                              ;   in Loop: Header=BB233_806 Depth=1
	s_or_b32 exec_lo, exec_lo, s16
	v_mov_b32_e32 v10, 24
	v_lshlrev_b32_e32 v6, 20, v6
	v_lshl_add_u32 v8, v8, 23, 0x3c000000
	v_mov_b32_e32 v23, v7
	v_lshlrev_b32_sdwa v10, v10, v12 dst_sel:DWORD dst_unused:UNUSED_PAD src0_sel:DWORD src1_sel:BYTE_3
	v_and_b32_e32 v10, 0x80000000, v10
	v_or3_b32 v24, v6, v10, v8
.LBB233_837:                            ;   in Loop: Header=BB233_806 Depth=1
	s_or_b32 exec_lo, exec_lo, s15
.LBB233_838:                            ;   in Loop: Header=BB233_806 Depth=1
	s_or_b32 exec_lo, exec_lo, s13
.LBB233_839:                            ;   in Loop: Header=BB233_806 Depth=1
	s_or_b32 exec_lo, exec_lo, s4
	buffer_load_dword v6, off, s[0:3], s32 offset:440 ; 4-byte Folded Reload
	v_or_b32_e32 v8, v18, v16
	v_or_b32_e32 v10, v23, v20
	;; [unrolled: 1-line block ×3, first 2 shown]
	s_waitcnt vmcnt(1) lgkmcnt(1)
	v_mul_f32_e32 v99, v27, v8
	v_mul_f32_e32 v98, v27, v10
	s_waitcnt vmcnt(0)
	v_add_nc_u32_e32 v101, v6, v22
	v_or_b32_e32 v6, v19, v17
	s_clause 0x2
	buffer_load_dword v16, off, s[0:3], s32 offset:200
	buffer_load_dword v17, off, s[0:3], s32 offset:204
	buffer_load_dword v13, off, s[0:3], s32 offset:432
	v_add_nc_u32_e32 v112, 1, v101
	v_mul_f32_e32 v100, v27, v6
	v_mul_f32_e32 v6, v27, v12
	v_add_nc_u32_e32 v103, 2, v101
	v_add_nc_u32_e32 v102, 3, v101
	buffer_store_dword v6, off, s[0:3], s32 offset:232 ; 4-byte Folded Spill
	s_waitcnt vmcnt(0)
	v_cmp_eq_u32_e32 vcc_lo, v13, v16
	s_and_saveexec_b32 s13, vcc_lo
	s_cbranch_execz .LBB233_841
; %bb.840:                              ;   in Loop: Header=BB233_806 Depth=1
	buffer_load_dword v6, off, s[0:3], s32 offset:232 ; 4-byte Folded Reload
	v_cmp_lt_i32_e64 s4, v101, v38
	v_cndmask_b32_e64 v99, 0, v99, s4
	v_cmp_lt_i32_e64 s4, v112, v38
	v_cndmask_b32_e64 v100, 0, v100, s4
	;; [unrolled: 2-line block ×3, first 2 shown]
	v_cmp_lt_i32_e64 s4, v102, v38
	s_waitcnt vmcnt(0)
	v_cndmask_b32_e64 v6, 0, v6, s4
	buffer_store_dword v6, off, s[0:3], s32 offset:232 ; 4-byte Folded Spill
.LBB233_841:                            ;   in Loop: Header=BB233_806 Depth=1
	s_or_b32 exec_lo, exec_lo, s13
	flat_load_dword v12, v[4:5] offset:128
	v_mov_b32_e32 v18, 0
	v_mov_b32_e32 v16, 0
	;; [unrolled: 1-line block ×4, first 2 shown]
	s_waitcnt vmcnt(0) lgkmcnt(0)
	v_cmp_ne_u16_sdwa s4, v12, v7 src0_sel:BYTE_0 src1_sel:DWORD
	s_and_saveexec_b32 s13, s4
	s_cbranch_execz .LBB233_849
; %bb.842:                              ;   in Loop: Header=BB233_806 Depth=1
	v_bfrev_b32_e32 v16, 1
	v_mov_b32_e32 v17, 0
	v_cmp_ne_u16_sdwa s4, v12, v81 src0_sel:BYTE_0 src1_sel:DWORD
	s_and_saveexec_b32 s15, s4
	s_cbranch_execz .LBB233_848
; %bb.843:                              ;   in Loop: Header=BB233_806 Depth=1
	v_mov_b32_e32 v16, 0x7f800001
	v_and_b32_e32 v10, 0x7f, v12
	v_mov_b32_e32 v17, 0
	s_mov_b32 s16, exec_lo
	v_cmpx_ne_u32_e32 0x7f, v10
	s_cbranch_execz .LBB233_847
; %bb.844:                              ;   in Loop: Header=BB233_806 Depth=1
	v_and_b32_e32 v6, 7, v12
	v_lshrrev_b32_e32 v8, 3, v10
	s_mov_b32 s17, exec_lo
	v_cmpx_gt_u32_e32 8, v10
; %bb.845:                              ;   in Loop: Header=BB233_806 Depth=1
	v_ffbh_u32_e32 v8, v6
	v_min_u32_e32 v8, 32, v8
	v_subrev_nc_u32_e32 v10, 28, v8
	v_sub_nc_u32_e32 v8, 29, v8
	v_lshlrev_b64 v[16:17], v10, v[6:7]
	v_and_b32_e32 v6, 7, v16
; %bb.846:                              ;   in Loop: Header=BB233_806 Depth=1
	s_or_b32 exec_lo, exec_lo, s17
	v_lshlrev_b32_e32 v10, 24, v12
	v_lshlrev_b32_e32 v6, 20, v6
	v_lshl_add_u32 v8, v8, 23, 0x3c000000
	v_and_b32_e32 v10, 0x80000000, v10
	v_or3_b32 v6, v6, v10, v8
	v_mov_b32_e32 v17, v7
	v_mov_b32_e32 v16, v6
.LBB233_847:                            ;   in Loop: Header=BB233_806 Depth=1
	s_or_b32 exec_lo, exec_lo, s16
.LBB233_848:                            ;   in Loop: Header=BB233_806 Depth=1
	s_or_b32 exec_lo, exec_lo, s15
.LBB233_849:                            ;   in Loop: Header=BB233_806 Depth=1
	s_or_b32 exec_lo, exec_lo, s13
	v_cmp_ne_u16_sdwa s4, v12, v7 src0_sel:BYTE_1 src1_sel:DWORD
	s_and_saveexec_b32 s13, s4
	s_cbranch_execz .LBB233_857
; %bb.850:                              ;   in Loop: Header=BB233_806 Depth=1
	v_mov_b32_e32 v8, v7
	v_mov_b32_e32 v19, v9
	v_cmp_ne_u16_sdwa s4, v12, v81 src0_sel:BYTE_1 src1_sel:DWORD
	v_mov_b32_e32 v18, v8
	s_and_saveexec_b32 s15, s4
	s_cbranch_execz .LBB233_856
; %bb.851:                              ;   in Loop: Header=BB233_806 Depth=1
	v_mov_b32_e32 v6, 0xffff
	v_mov_b32_e32 v10, v7
	;; [unrolled: 1-line block ×3, first 2 shown]
	s_mov_b32 s16, exec_lo
	v_and_b32_sdwa v6, v6, v12 dst_sel:DWORD dst_unused:UNUSED_PAD src0_sel:DWORD src1_sel:BYTE_1
	v_mov_b32_e32 v18, v10
	v_and_b32_e32 v13, 0x7f, v6
	v_cmpx_ne_u32_e32 0x7f, v13
	s_cbranch_execz .LBB233_855
; %bb.852:                              ;   in Loop: Header=BB233_806 Depth=1
	v_and_b32_e32 v6, 7, v6
	v_lshrrev_b32_e32 v8, 3, v13
	s_mov_b32 s17, exec_lo
	v_cmpx_gt_u32_e32 8, v13
; %bb.853:                              ;   in Loop: Header=BB233_806 Depth=1
	v_ffbh_u32_e32 v8, v6
	v_min_u32_e32 v8, 32, v8
	v_subrev_nc_u32_e32 v10, 28, v8
	v_sub_nc_u32_e32 v8, 29, v8
	v_lshlrev_b64 v[18:19], v10, v[6:7]
	v_and_b32_e32 v6, 7, v18
; %bb.854:                              ;   in Loop: Header=BB233_806 Depth=1
	s_or_b32 exec_lo, exec_lo, s17
	v_lshlrev_b32_e32 v10, 16, v12
	v_lshlrev_b32_e32 v6, 20, v6
	v_lshl_add_u32 v8, v8, 23, 0x3c000000
	v_mov_b32_e32 v18, v7
	v_and_b32_e32 v10, 0x80000000, v10
	v_or3_b32 v19, v6, v10, v8
.LBB233_855:                            ;   in Loop: Header=BB233_806 Depth=1
	s_or_b32 exec_lo, exec_lo, s16
.LBB233_856:                            ;   in Loop: Header=BB233_806 Depth=1
	s_or_b32 exec_lo, exec_lo, s15
.LBB233_857:                            ;   in Loop: Header=BB233_806 Depth=1
	s_or_b32 exec_lo, exec_lo, s13
	v_mov_b32_e32 v23, 0
	v_mov_b32_e32 v20, 0
	v_and_b32_sdwa v6, v12, v83 dst_sel:DWORD dst_unused:UNUSED_PAD src0_sel:WORD_1 src1_sel:DWORD
	v_mov_b32_e32 v24, 0
	v_mov_b32_e32 v21, 0
	s_mov_b32 s13, exec_lo
	v_cmpx_ne_u16_e32 0, v6
	s_cbranch_execz .LBB233_865
; %bb.858:                              ;   in Loop: Header=BB233_806 Depth=1
	v_bfrev_b32_e32 v20, 1
	v_mov_b32_e32 v21, 0
	s_mov_b32 s15, exec_lo
	v_cmpx_ne_u16_e32 0x80, v6
	s_cbranch_execz .LBB233_864
; %bb.859:                              ;   in Loop: Header=BB233_806 Depth=1
	v_mov_b32_e32 v20, 0x7f800001
	v_bfe_u32 v10, v12, 16, 7
	v_mov_b32_e32 v21, 0
	s_mov_b32 s16, exec_lo
	v_cmpx_ne_u32_e32 0x7f, v10
	s_cbranch_execz .LBB233_863
; %bb.860:                              ;   in Loop: Header=BB233_806 Depth=1
	v_mov_b32_e32 v6, 7
	v_lshrrev_b32_e32 v8, 3, v10
	s_mov_b32 s17, exec_lo
	v_and_b32_sdwa v6, v12, v6 dst_sel:DWORD dst_unused:UNUSED_PAD src0_sel:WORD_1 src1_sel:DWORD
	v_cmpx_gt_u32_e32 8, v10
; %bb.861:                              ;   in Loop: Header=BB233_806 Depth=1
	v_ffbh_u32_e32 v8, v6
	v_min_u32_e32 v8, 32, v8
	v_subrev_nc_u32_e32 v10, 28, v8
	v_sub_nc_u32_e32 v8, 29, v8
	v_lshlrev_b64 v[20:21], v10, v[6:7]
	v_and_b32_e32 v6, 7, v20
; %bb.862:                              ;   in Loop: Header=BB233_806 Depth=1
	s_or_b32 exec_lo, exec_lo, s17
	v_mov_b32_e32 v10, 24
	v_lshlrev_b32_e32 v6, 20, v6
	v_lshl_add_u32 v8, v8, 23, 0x3c000000
	v_lshlrev_b32_sdwa v10, v10, v12 dst_sel:DWORD dst_unused:UNUSED_PAD src0_sel:DWORD src1_sel:WORD_1
	v_and_b32_e32 v10, 0x80000000, v10
	v_or3_b32 v6, v6, v10, v8
	v_mov_b32_e32 v21, v7
	v_mov_b32_e32 v20, v6
.LBB233_863:                            ;   in Loop: Header=BB233_806 Depth=1
	s_or_b32 exec_lo, exec_lo, s16
.LBB233_864:                            ;   in Loop: Header=BB233_806 Depth=1
	s_or_b32 exec_lo, exec_lo, s15
.LBB233_865:                            ;   in Loop: Header=BB233_806 Depth=1
	s_or_b32 exec_lo, exec_lo, s13
	s_mov_b32 s13, exec_lo
	v_cmpx_lt_u32_e32 0xffffff, v12
	s_cbranch_execz .LBB233_873
; %bb.866:                              ;   in Loop: Header=BB233_806 Depth=1
	v_mov_b32_e32 v8, v7
	v_mov_b32_e32 v24, v9
	v_cmp_ne_u32_sdwa s4, v12, v81 src0_sel:BYTE_3 src1_sel:DWORD
	v_mov_b32_e32 v23, v8
	s_and_saveexec_b32 s15, s4
	s_cbranch_execz .LBB233_872
; %bb.867:                              ;   in Loop: Header=BB233_806 Depth=1
	v_mov_b32_e32 v10, v7
	v_mov_b32_e32 v24, v11
	v_bfe_u32 v13, v12, 24, 7
	s_mov_b32 s16, exec_lo
	v_mov_b32_e32 v23, v10
	v_cmpx_ne_u32_e32 0x7f, v13
	s_cbranch_execz .LBB233_871
; %bb.868:                              ;   in Loop: Header=BB233_806 Depth=1
	v_mov_b32_e32 v6, 7
	v_lshrrev_b32_e32 v8, 3, v13
	s_mov_b32 s17, exec_lo
	v_and_b32_sdwa v6, v12, v6 dst_sel:DWORD dst_unused:UNUSED_PAD src0_sel:BYTE_3 src1_sel:DWORD
	v_cmpx_gt_u32_e32 8, v13
; %bb.869:                              ;   in Loop: Header=BB233_806 Depth=1
	v_ffbh_u32_e32 v8, v6
	v_min_u32_e32 v8, 32, v8
	v_subrev_nc_u32_e32 v10, 28, v8
	v_sub_nc_u32_e32 v8, 29, v8
	v_lshlrev_b64 v[23:24], v10, v[6:7]
	v_and_b32_e32 v6, 7, v23
; %bb.870:                              ;   in Loop: Header=BB233_806 Depth=1
	s_or_b32 exec_lo, exec_lo, s17
	v_mov_b32_e32 v10, 24
	v_lshlrev_b32_e32 v6, 20, v6
	v_lshl_add_u32 v8, v8, 23, 0x3c000000
	v_mov_b32_e32 v23, v7
	v_lshlrev_b32_sdwa v10, v10, v12 dst_sel:DWORD dst_unused:UNUSED_PAD src0_sel:DWORD src1_sel:BYTE_3
	v_and_b32_e32 v10, 0x80000000, v10
	v_or3_b32 v24, v6, v10, v8
.LBB233_871:                            ;   in Loop: Header=BB233_806 Depth=1
	s_or_b32 exec_lo, exec_lo, s16
.LBB233_872:                            ;   in Loop: Header=BB233_806 Depth=1
	s_or_b32 exec_lo, exec_lo, s15
.LBB233_873:                            ;   in Loop: Header=BB233_806 Depth=1
	s_or_b32 exec_lo, exec_lo, s13
	v_or_b32_e32 v6, v19, v17
	v_or_b32_e32 v8, v18, v16
	;; [unrolled: 1-line block ×4, first 2 shown]
	v_mul_f32_e32 v116, v27, v6
	v_mul_f32_e32 v115, v27, v8
	;; [unrolled: 1-line block ×4, first 2 shown]
	s_and_saveexec_b32 s13, vcc_lo
	s_cbranch_execz .LBB233_875
; %bb.874:                              ;   in Loop: Header=BB233_806 Depth=1
	v_cmp_lt_i32_e64 s4, v101, v38
	v_cndmask_b32_e64 v115, 0, v115, s4
	v_cmp_lt_i32_e64 s4, v112, v38
	v_cndmask_b32_e64 v116, 0, v116, s4
	;; [unrolled: 2-line block ×4, first 2 shown]
.LBB233_875:                            ;   in Loop: Header=BB233_806 Depth=1
	s_or_b32 exec_lo, exec_lo, s13
	flat_load_dword v12, v[4:5] offset:256
	v_mov_b32_e32 v18, 0
	v_mov_b32_e32 v16, 0
	;; [unrolled: 1-line block ×4, first 2 shown]
	s_waitcnt vmcnt(0) lgkmcnt(0)
	v_cmp_ne_u16_sdwa s4, v12, v7 src0_sel:BYTE_0 src1_sel:DWORD
	s_and_saveexec_b32 s13, s4
	s_cbranch_execz .LBB233_883
; %bb.876:                              ;   in Loop: Header=BB233_806 Depth=1
	v_bfrev_b32_e32 v16, 1
	v_mov_b32_e32 v17, 0
	v_cmp_ne_u16_sdwa s4, v12, v81 src0_sel:BYTE_0 src1_sel:DWORD
	s_and_saveexec_b32 s15, s4
	s_cbranch_execz .LBB233_882
; %bb.877:                              ;   in Loop: Header=BB233_806 Depth=1
	v_mov_b32_e32 v16, 0x7f800001
	v_and_b32_e32 v10, 0x7f, v12
	v_mov_b32_e32 v17, 0
	s_mov_b32 s16, exec_lo
	v_cmpx_ne_u32_e32 0x7f, v10
	s_cbranch_execz .LBB233_881
; %bb.878:                              ;   in Loop: Header=BB233_806 Depth=1
	v_and_b32_e32 v6, 7, v12
	v_lshrrev_b32_e32 v8, 3, v10
	s_mov_b32 s17, exec_lo
	v_cmpx_gt_u32_e32 8, v10
; %bb.879:                              ;   in Loop: Header=BB233_806 Depth=1
	v_ffbh_u32_e32 v8, v6
	v_min_u32_e32 v8, 32, v8
	v_subrev_nc_u32_e32 v10, 28, v8
	v_sub_nc_u32_e32 v8, 29, v8
	v_lshlrev_b64 v[16:17], v10, v[6:7]
	v_and_b32_e32 v6, 7, v16
; %bb.880:                              ;   in Loop: Header=BB233_806 Depth=1
	s_or_b32 exec_lo, exec_lo, s17
	v_lshlrev_b32_e32 v10, 24, v12
	v_lshlrev_b32_e32 v6, 20, v6
	v_lshl_add_u32 v8, v8, 23, 0x3c000000
	v_and_b32_e32 v10, 0x80000000, v10
	v_or3_b32 v6, v6, v10, v8
	v_mov_b32_e32 v17, v7
	v_mov_b32_e32 v16, v6
.LBB233_881:                            ;   in Loop: Header=BB233_806 Depth=1
	s_or_b32 exec_lo, exec_lo, s16
.LBB233_882:                            ;   in Loop: Header=BB233_806 Depth=1
	s_or_b32 exec_lo, exec_lo, s15
.LBB233_883:                            ;   in Loop: Header=BB233_806 Depth=1
	s_or_b32 exec_lo, exec_lo, s13
	v_cmp_ne_u16_sdwa s4, v12, v7 src0_sel:BYTE_1 src1_sel:DWORD
	s_and_saveexec_b32 s13, s4
	s_cbranch_execz .LBB233_891
; %bb.884:                              ;   in Loop: Header=BB233_806 Depth=1
	v_mov_b32_e32 v8, v7
	v_mov_b32_e32 v19, v9
	v_cmp_ne_u16_sdwa s4, v12, v81 src0_sel:BYTE_1 src1_sel:DWORD
	v_mov_b32_e32 v18, v8
	s_and_saveexec_b32 s15, s4
	s_cbranch_execz .LBB233_890
; %bb.885:                              ;   in Loop: Header=BB233_806 Depth=1
	v_mov_b32_e32 v6, 0xffff
	v_mov_b32_e32 v10, v7
	;; [unrolled: 1-line block ×3, first 2 shown]
	s_mov_b32 s16, exec_lo
	v_and_b32_sdwa v6, v6, v12 dst_sel:DWORD dst_unused:UNUSED_PAD src0_sel:DWORD src1_sel:BYTE_1
	v_mov_b32_e32 v18, v10
	v_and_b32_e32 v13, 0x7f, v6
	v_cmpx_ne_u32_e32 0x7f, v13
	s_cbranch_execz .LBB233_889
; %bb.886:                              ;   in Loop: Header=BB233_806 Depth=1
	v_and_b32_e32 v6, 7, v6
	v_lshrrev_b32_e32 v8, 3, v13
	s_mov_b32 s17, exec_lo
	v_cmpx_gt_u32_e32 8, v13
; %bb.887:                              ;   in Loop: Header=BB233_806 Depth=1
	v_ffbh_u32_e32 v8, v6
	v_min_u32_e32 v8, 32, v8
	v_subrev_nc_u32_e32 v10, 28, v8
	v_sub_nc_u32_e32 v8, 29, v8
	v_lshlrev_b64 v[18:19], v10, v[6:7]
	v_and_b32_e32 v6, 7, v18
; %bb.888:                              ;   in Loop: Header=BB233_806 Depth=1
	s_or_b32 exec_lo, exec_lo, s17
	v_lshlrev_b32_e32 v10, 16, v12
	v_lshlrev_b32_e32 v6, 20, v6
	v_lshl_add_u32 v8, v8, 23, 0x3c000000
	v_mov_b32_e32 v18, v7
	v_and_b32_e32 v10, 0x80000000, v10
	v_or3_b32 v19, v6, v10, v8
.LBB233_889:                            ;   in Loop: Header=BB233_806 Depth=1
	s_or_b32 exec_lo, exec_lo, s16
.LBB233_890:                            ;   in Loop: Header=BB233_806 Depth=1
	s_or_b32 exec_lo, exec_lo, s15
.LBB233_891:                            ;   in Loop: Header=BB233_806 Depth=1
	s_or_b32 exec_lo, exec_lo, s13
	v_mov_b32_e32 v23, 0
	v_mov_b32_e32 v20, 0
	v_and_b32_sdwa v6, v12, v83 dst_sel:DWORD dst_unused:UNUSED_PAD src0_sel:WORD_1 src1_sel:DWORD
	v_mov_b32_e32 v24, 0
	v_mov_b32_e32 v21, 0
	s_mov_b32 s13, exec_lo
	v_cmpx_ne_u16_e32 0, v6
	s_cbranch_execz .LBB233_899
; %bb.892:                              ;   in Loop: Header=BB233_806 Depth=1
	v_bfrev_b32_e32 v20, 1
	v_mov_b32_e32 v21, 0
	s_mov_b32 s15, exec_lo
	v_cmpx_ne_u16_e32 0x80, v6
	s_cbranch_execz .LBB233_898
; %bb.893:                              ;   in Loop: Header=BB233_806 Depth=1
	v_mov_b32_e32 v20, 0x7f800001
	v_bfe_u32 v10, v12, 16, 7
	v_mov_b32_e32 v21, 0
	s_mov_b32 s16, exec_lo
	v_cmpx_ne_u32_e32 0x7f, v10
	s_cbranch_execz .LBB233_897
; %bb.894:                              ;   in Loop: Header=BB233_806 Depth=1
	v_mov_b32_e32 v6, 7
	v_lshrrev_b32_e32 v8, 3, v10
	s_mov_b32 s17, exec_lo
	v_and_b32_sdwa v6, v12, v6 dst_sel:DWORD dst_unused:UNUSED_PAD src0_sel:WORD_1 src1_sel:DWORD
	v_cmpx_gt_u32_e32 8, v10
; %bb.895:                              ;   in Loop: Header=BB233_806 Depth=1
	v_ffbh_u32_e32 v8, v6
	v_min_u32_e32 v8, 32, v8
	v_subrev_nc_u32_e32 v10, 28, v8
	v_sub_nc_u32_e32 v8, 29, v8
	v_lshlrev_b64 v[20:21], v10, v[6:7]
	v_and_b32_e32 v6, 7, v20
; %bb.896:                              ;   in Loop: Header=BB233_806 Depth=1
	s_or_b32 exec_lo, exec_lo, s17
	v_mov_b32_e32 v10, 24
	v_lshlrev_b32_e32 v6, 20, v6
	v_lshl_add_u32 v8, v8, 23, 0x3c000000
	v_lshlrev_b32_sdwa v10, v10, v12 dst_sel:DWORD dst_unused:UNUSED_PAD src0_sel:DWORD src1_sel:WORD_1
	v_and_b32_e32 v10, 0x80000000, v10
	v_or3_b32 v6, v6, v10, v8
	v_mov_b32_e32 v21, v7
	v_mov_b32_e32 v20, v6
.LBB233_897:                            ;   in Loop: Header=BB233_806 Depth=1
	s_or_b32 exec_lo, exec_lo, s16
.LBB233_898:                            ;   in Loop: Header=BB233_806 Depth=1
	s_or_b32 exec_lo, exec_lo, s15
.LBB233_899:                            ;   in Loop: Header=BB233_806 Depth=1
	s_or_b32 exec_lo, exec_lo, s13
	s_mov_b32 s13, exec_lo
	v_cmpx_lt_u32_e32 0xffffff, v12
	s_cbranch_execz .LBB233_907
; %bb.900:                              ;   in Loop: Header=BB233_806 Depth=1
	v_mov_b32_e32 v8, v7
	v_mov_b32_e32 v24, v9
	v_cmp_ne_u32_sdwa s4, v12, v81 src0_sel:BYTE_3 src1_sel:DWORD
	v_mov_b32_e32 v23, v8
	s_and_saveexec_b32 s15, s4
	s_cbranch_execz .LBB233_906
; %bb.901:                              ;   in Loop: Header=BB233_806 Depth=1
	v_mov_b32_e32 v10, v7
	v_mov_b32_e32 v24, v11
	v_bfe_u32 v13, v12, 24, 7
	s_mov_b32 s16, exec_lo
	v_mov_b32_e32 v23, v10
	v_cmpx_ne_u32_e32 0x7f, v13
	s_cbranch_execz .LBB233_905
; %bb.902:                              ;   in Loop: Header=BB233_806 Depth=1
	v_mov_b32_e32 v6, 7
	v_lshrrev_b32_e32 v8, 3, v13
	s_mov_b32 s17, exec_lo
	v_and_b32_sdwa v6, v12, v6 dst_sel:DWORD dst_unused:UNUSED_PAD src0_sel:BYTE_3 src1_sel:DWORD
	v_cmpx_gt_u32_e32 8, v13
; %bb.903:                              ;   in Loop: Header=BB233_806 Depth=1
	v_ffbh_u32_e32 v8, v6
	v_min_u32_e32 v8, 32, v8
	v_subrev_nc_u32_e32 v10, 28, v8
	v_sub_nc_u32_e32 v8, 29, v8
	v_lshlrev_b64 v[23:24], v10, v[6:7]
	v_and_b32_e32 v6, 7, v23
; %bb.904:                              ;   in Loop: Header=BB233_806 Depth=1
	s_or_b32 exec_lo, exec_lo, s17
	v_mov_b32_e32 v10, 24
	v_lshlrev_b32_e32 v6, 20, v6
	v_lshl_add_u32 v8, v8, 23, 0x3c000000
	v_mov_b32_e32 v23, v7
	v_lshlrev_b32_sdwa v10, v10, v12 dst_sel:DWORD dst_unused:UNUSED_PAD src0_sel:DWORD src1_sel:BYTE_3
	v_and_b32_e32 v10, 0x80000000, v10
	v_or3_b32 v24, v6, v10, v8
.LBB233_905:                            ;   in Loop: Header=BB233_806 Depth=1
	s_or_b32 exec_lo, exec_lo, s16
.LBB233_906:                            ;   in Loop: Header=BB233_806 Depth=1
	s_or_b32 exec_lo, exec_lo, s15
.LBB233_907:                            ;   in Loop: Header=BB233_806 Depth=1
	s_or_b32 exec_lo, exec_lo, s13
	v_or_b32_e32 v6, v19, v17
	v_or_b32_e32 v8, v18, v16
	;; [unrolled: 1-line block ×4, first 2 shown]
	v_mul_f32_e32 v40, v27, v6
	v_mul_f32_e32 v119, v27, v8
	;; [unrolled: 1-line block ×4, first 2 shown]
	s_and_saveexec_b32 s13, vcc_lo
	s_cbranch_execz .LBB233_909
; %bb.908:                              ;   in Loop: Header=BB233_806 Depth=1
	v_cmp_lt_i32_e64 s4, v101, v38
	v_cndmask_b32_e64 v119, 0, v119, s4
	v_cmp_lt_i32_e64 s4, v112, v38
	v_cndmask_b32_e64 v40, 0, v40, s4
	;; [unrolled: 2-line block ×4, first 2 shown]
.LBB233_909:                            ;   in Loop: Header=BB233_806 Depth=1
	s_or_b32 exec_lo, exec_lo, s13
	flat_load_dword v12, v[4:5] offset:384
	v_mov_b32_e32 v18, 0
	v_mov_b32_e32 v16, 0
	;; [unrolled: 1-line block ×4, first 2 shown]
	s_waitcnt vmcnt(0) lgkmcnt(0)
	v_cmp_ne_u16_sdwa s4, v12, v7 src0_sel:BYTE_0 src1_sel:DWORD
	s_and_saveexec_b32 s13, s4
	s_cbranch_execz .LBB233_917
; %bb.910:                              ;   in Loop: Header=BB233_806 Depth=1
	v_bfrev_b32_e32 v16, 1
	v_mov_b32_e32 v17, 0
	v_cmp_ne_u16_sdwa s4, v12, v81 src0_sel:BYTE_0 src1_sel:DWORD
	s_and_saveexec_b32 s15, s4
	s_cbranch_execz .LBB233_916
; %bb.911:                              ;   in Loop: Header=BB233_806 Depth=1
	v_mov_b32_e32 v16, 0x7f800001
	v_and_b32_e32 v10, 0x7f, v12
	v_mov_b32_e32 v17, 0
	s_mov_b32 s16, exec_lo
	v_cmpx_ne_u32_e32 0x7f, v10
	s_cbranch_execz .LBB233_915
; %bb.912:                              ;   in Loop: Header=BB233_806 Depth=1
	v_and_b32_e32 v6, 7, v12
	v_lshrrev_b32_e32 v8, 3, v10
	s_mov_b32 s17, exec_lo
	v_cmpx_gt_u32_e32 8, v10
; %bb.913:                              ;   in Loop: Header=BB233_806 Depth=1
	v_ffbh_u32_e32 v8, v6
	v_min_u32_e32 v8, 32, v8
	v_subrev_nc_u32_e32 v10, 28, v8
	v_sub_nc_u32_e32 v8, 29, v8
	v_lshlrev_b64 v[16:17], v10, v[6:7]
	v_and_b32_e32 v6, 7, v16
; %bb.914:                              ;   in Loop: Header=BB233_806 Depth=1
	s_or_b32 exec_lo, exec_lo, s17
	v_lshlrev_b32_e32 v10, 24, v12
	v_lshlrev_b32_e32 v6, 20, v6
	v_lshl_add_u32 v8, v8, 23, 0x3c000000
	v_and_b32_e32 v10, 0x80000000, v10
	v_or3_b32 v6, v6, v10, v8
	v_mov_b32_e32 v17, v7
	v_mov_b32_e32 v16, v6
.LBB233_915:                            ;   in Loop: Header=BB233_806 Depth=1
	s_or_b32 exec_lo, exec_lo, s16
.LBB233_916:                            ;   in Loop: Header=BB233_806 Depth=1
	s_or_b32 exec_lo, exec_lo, s15
.LBB233_917:                            ;   in Loop: Header=BB233_806 Depth=1
	s_or_b32 exec_lo, exec_lo, s13
	v_cmp_ne_u16_sdwa s4, v12, v7 src0_sel:BYTE_1 src1_sel:DWORD
	s_and_saveexec_b32 s13, s4
	s_cbranch_execz .LBB233_925
; %bb.918:                              ;   in Loop: Header=BB233_806 Depth=1
	v_mov_b32_e32 v8, v7
	v_mov_b32_e32 v19, v9
	v_cmp_ne_u16_sdwa s4, v12, v81 src0_sel:BYTE_1 src1_sel:DWORD
	v_mov_b32_e32 v18, v8
	s_and_saveexec_b32 s15, s4
	s_cbranch_execz .LBB233_924
; %bb.919:                              ;   in Loop: Header=BB233_806 Depth=1
	v_mov_b32_e32 v6, 0xffff
	v_mov_b32_e32 v10, v7
	;; [unrolled: 1-line block ×3, first 2 shown]
	s_mov_b32 s16, exec_lo
	v_and_b32_sdwa v6, v6, v12 dst_sel:DWORD dst_unused:UNUSED_PAD src0_sel:DWORD src1_sel:BYTE_1
	v_mov_b32_e32 v18, v10
	v_and_b32_e32 v13, 0x7f, v6
	v_cmpx_ne_u32_e32 0x7f, v13
	s_cbranch_execz .LBB233_923
; %bb.920:                              ;   in Loop: Header=BB233_806 Depth=1
	v_and_b32_e32 v6, 7, v6
	v_lshrrev_b32_e32 v8, 3, v13
	s_mov_b32 s17, exec_lo
	v_cmpx_gt_u32_e32 8, v13
; %bb.921:                              ;   in Loop: Header=BB233_806 Depth=1
	v_ffbh_u32_e32 v8, v6
	v_min_u32_e32 v8, 32, v8
	v_subrev_nc_u32_e32 v10, 28, v8
	v_sub_nc_u32_e32 v8, 29, v8
	v_lshlrev_b64 v[18:19], v10, v[6:7]
	v_and_b32_e32 v6, 7, v18
; %bb.922:                              ;   in Loop: Header=BB233_806 Depth=1
	s_or_b32 exec_lo, exec_lo, s17
	v_lshlrev_b32_e32 v10, 16, v12
	v_lshlrev_b32_e32 v6, 20, v6
	v_lshl_add_u32 v8, v8, 23, 0x3c000000
	v_mov_b32_e32 v18, v7
	v_and_b32_e32 v10, 0x80000000, v10
	v_or3_b32 v19, v6, v10, v8
.LBB233_923:                            ;   in Loop: Header=BB233_806 Depth=1
	s_or_b32 exec_lo, exec_lo, s16
.LBB233_924:                            ;   in Loop: Header=BB233_806 Depth=1
	s_or_b32 exec_lo, exec_lo, s15
.LBB233_925:                            ;   in Loop: Header=BB233_806 Depth=1
	s_or_b32 exec_lo, exec_lo, s13
	v_mov_b32_e32 v23, 0
	v_mov_b32_e32 v20, 0
	v_and_b32_sdwa v6, v12, v83 dst_sel:DWORD dst_unused:UNUSED_PAD src0_sel:WORD_1 src1_sel:DWORD
	v_mov_b32_e32 v24, 0
	v_mov_b32_e32 v21, 0
	s_mov_b32 s13, exec_lo
	v_cmpx_ne_u16_e32 0, v6
	s_cbranch_execz .LBB233_933
; %bb.926:                              ;   in Loop: Header=BB233_806 Depth=1
	v_bfrev_b32_e32 v20, 1
	v_mov_b32_e32 v21, 0
	s_mov_b32 s15, exec_lo
	v_cmpx_ne_u16_e32 0x80, v6
	s_cbranch_execz .LBB233_932
; %bb.927:                              ;   in Loop: Header=BB233_806 Depth=1
	v_mov_b32_e32 v20, 0x7f800001
	v_bfe_u32 v10, v12, 16, 7
	v_mov_b32_e32 v21, 0
	s_mov_b32 s16, exec_lo
	v_cmpx_ne_u32_e32 0x7f, v10
	s_cbranch_execz .LBB233_931
; %bb.928:                              ;   in Loop: Header=BB233_806 Depth=1
	v_mov_b32_e32 v6, 7
	v_lshrrev_b32_e32 v8, 3, v10
	s_mov_b32 s17, exec_lo
	v_and_b32_sdwa v6, v12, v6 dst_sel:DWORD dst_unused:UNUSED_PAD src0_sel:WORD_1 src1_sel:DWORD
	v_cmpx_gt_u32_e32 8, v10
; %bb.929:                              ;   in Loop: Header=BB233_806 Depth=1
	v_ffbh_u32_e32 v8, v6
	v_min_u32_e32 v8, 32, v8
	v_subrev_nc_u32_e32 v10, 28, v8
	v_sub_nc_u32_e32 v8, 29, v8
	v_lshlrev_b64 v[20:21], v10, v[6:7]
	v_and_b32_e32 v6, 7, v20
; %bb.930:                              ;   in Loop: Header=BB233_806 Depth=1
	s_or_b32 exec_lo, exec_lo, s17
	v_mov_b32_e32 v10, 24
	v_lshlrev_b32_e32 v6, 20, v6
	v_lshl_add_u32 v8, v8, 23, 0x3c000000
	v_lshlrev_b32_sdwa v10, v10, v12 dst_sel:DWORD dst_unused:UNUSED_PAD src0_sel:DWORD src1_sel:WORD_1
	v_and_b32_e32 v10, 0x80000000, v10
	v_or3_b32 v6, v6, v10, v8
	v_mov_b32_e32 v21, v7
	v_mov_b32_e32 v20, v6
.LBB233_931:                            ;   in Loop: Header=BB233_806 Depth=1
	s_or_b32 exec_lo, exec_lo, s16
.LBB233_932:                            ;   in Loop: Header=BB233_806 Depth=1
	s_or_b32 exec_lo, exec_lo, s15
.LBB233_933:                            ;   in Loop: Header=BB233_806 Depth=1
	s_or_b32 exec_lo, exec_lo, s13
	s_mov_b32 s13, exec_lo
	v_cmpx_lt_u32_e32 0xffffff, v12
	s_cbranch_execz .LBB233_941
; %bb.934:                              ;   in Loop: Header=BB233_806 Depth=1
	v_mov_b32_e32 v8, v7
	v_mov_b32_e32 v24, v9
	v_cmp_ne_u32_sdwa s4, v12, v81 src0_sel:BYTE_3 src1_sel:DWORD
	v_mov_b32_e32 v23, v8
	s_and_saveexec_b32 s15, s4
	s_cbranch_execz .LBB233_940
; %bb.935:                              ;   in Loop: Header=BB233_806 Depth=1
	v_mov_b32_e32 v10, v7
	v_mov_b32_e32 v24, v11
	v_bfe_u32 v13, v12, 24, 7
	s_mov_b32 s16, exec_lo
	v_mov_b32_e32 v23, v10
	v_cmpx_ne_u32_e32 0x7f, v13
	s_cbranch_execz .LBB233_939
; %bb.936:                              ;   in Loop: Header=BB233_806 Depth=1
	v_mov_b32_e32 v6, 7
	v_lshrrev_b32_e32 v8, 3, v13
	s_mov_b32 s17, exec_lo
	v_and_b32_sdwa v6, v12, v6 dst_sel:DWORD dst_unused:UNUSED_PAD src0_sel:BYTE_3 src1_sel:DWORD
	v_cmpx_gt_u32_e32 8, v13
; %bb.937:                              ;   in Loop: Header=BB233_806 Depth=1
	v_ffbh_u32_e32 v8, v6
	v_min_u32_e32 v8, 32, v8
	v_subrev_nc_u32_e32 v10, 28, v8
	v_sub_nc_u32_e32 v8, 29, v8
	v_lshlrev_b64 v[23:24], v10, v[6:7]
	v_and_b32_e32 v6, 7, v23
; %bb.938:                              ;   in Loop: Header=BB233_806 Depth=1
	s_or_b32 exec_lo, exec_lo, s17
	v_mov_b32_e32 v10, 24
	v_lshlrev_b32_e32 v6, 20, v6
	v_lshl_add_u32 v8, v8, 23, 0x3c000000
	v_mov_b32_e32 v23, v7
	v_lshlrev_b32_sdwa v10, v10, v12 dst_sel:DWORD dst_unused:UNUSED_PAD src0_sel:DWORD src1_sel:BYTE_3
	v_and_b32_e32 v10, 0x80000000, v10
	v_or3_b32 v24, v6, v10, v8
.LBB233_939:                            ;   in Loop: Header=BB233_806 Depth=1
	s_or_b32 exec_lo, exec_lo, s16
.LBB233_940:                            ;   in Loop: Header=BB233_806 Depth=1
	s_or_b32 exec_lo, exec_lo, s15
.LBB233_941:                            ;   in Loop: Header=BB233_806 Depth=1
	s_or_b32 exec_lo, exec_lo, s13
	v_or_b32_e32 v6, v19, v17
	v_or_b32_e32 v8, v18, v16
	;; [unrolled: 1-line block ×4, first 2 shown]
	v_mul_f32_e32 v44, v27, v6
	v_mul_f32_e32 v43, v27, v8
	;; [unrolled: 1-line block ×4, first 2 shown]
	s_and_saveexec_b32 s13, vcc_lo
	s_cbranch_execz .LBB233_943
; %bb.942:                              ;   in Loop: Header=BB233_806 Depth=1
	v_cmp_lt_i32_e64 s4, v101, v38
	v_cndmask_b32_e64 v43, 0, v43, s4
	v_cmp_lt_i32_e64 s4, v112, v38
	v_cndmask_b32_e64 v44, 0, v44, s4
	;; [unrolled: 2-line block ×4, first 2 shown]
.LBB233_943:                            ;   in Loop: Header=BB233_806 Depth=1
	s_or_b32 exec_lo, exec_lo, s13
	flat_load_dword v12, v[4:5] offset:512
	v_mov_b32_e32 v18, 0
	v_mov_b32_e32 v16, 0
	;; [unrolled: 1-line block ×4, first 2 shown]
	s_waitcnt vmcnt(0) lgkmcnt(0)
	v_cmp_ne_u16_sdwa s4, v12, v7 src0_sel:BYTE_0 src1_sel:DWORD
	s_and_saveexec_b32 s13, s4
	s_cbranch_execz .LBB233_951
; %bb.944:                              ;   in Loop: Header=BB233_806 Depth=1
	v_bfrev_b32_e32 v16, 1
	v_mov_b32_e32 v17, 0
	v_cmp_ne_u16_sdwa s4, v12, v81 src0_sel:BYTE_0 src1_sel:DWORD
	s_and_saveexec_b32 s15, s4
	s_cbranch_execz .LBB233_950
; %bb.945:                              ;   in Loop: Header=BB233_806 Depth=1
	v_mov_b32_e32 v16, 0x7f800001
	v_and_b32_e32 v10, 0x7f, v12
	v_mov_b32_e32 v17, 0
	s_mov_b32 s16, exec_lo
	v_cmpx_ne_u32_e32 0x7f, v10
	s_cbranch_execz .LBB233_949
; %bb.946:                              ;   in Loop: Header=BB233_806 Depth=1
	v_and_b32_e32 v6, 7, v12
	v_lshrrev_b32_e32 v8, 3, v10
	s_mov_b32 s17, exec_lo
	v_cmpx_gt_u32_e32 8, v10
; %bb.947:                              ;   in Loop: Header=BB233_806 Depth=1
	v_ffbh_u32_e32 v8, v6
	v_min_u32_e32 v8, 32, v8
	v_subrev_nc_u32_e32 v10, 28, v8
	v_sub_nc_u32_e32 v8, 29, v8
	v_lshlrev_b64 v[16:17], v10, v[6:7]
	v_and_b32_e32 v6, 7, v16
; %bb.948:                              ;   in Loop: Header=BB233_806 Depth=1
	s_or_b32 exec_lo, exec_lo, s17
	v_lshlrev_b32_e32 v10, 24, v12
	v_lshlrev_b32_e32 v6, 20, v6
	v_lshl_add_u32 v8, v8, 23, 0x3c000000
	v_and_b32_e32 v10, 0x80000000, v10
	v_or3_b32 v6, v6, v10, v8
	v_mov_b32_e32 v17, v7
	v_mov_b32_e32 v16, v6
.LBB233_949:                            ;   in Loop: Header=BB233_806 Depth=1
	s_or_b32 exec_lo, exec_lo, s16
.LBB233_950:                            ;   in Loop: Header=BB233_806 Depth=1
	s_or_b32 exec_lo, exec_lo, s15
.LBB233_951:                            ;   in Loop: Header=BB233_806 Depth=1
	s_or_b32 exec_lo, exec_lo, s13
	v_cmp_ne_u16_sdwa s4, v12, v7 src0_sel:BYTE_1 src1_sel:DWORD
	s_and_saveexec_b32 s13, s4
	s_cbranch_execz .LBB233_959
; %bb.952:                              ;   in Loop: Header=BB233_806 Depth=1
	v_mov_b32_e32 v8, v7
	v_mov_b32_e32 v19, v9
	v_cmp_ne_u16_sdwa s4, v12, v81 src0_sel:BYTE_1 src1_sel:DWORD
	v_mov_b32_e32 v18, v8
	s_and_saveexec_b32 s15, s4
	s_cbranch_execz .LBB233_958
; %bb.953:                              ;   in Loop: Header=BB233_806 Depth=1
	v_mov_b32_e32 v6, 0xffff
	v_mov_b32_e32 v10, v7
	;; [unrolled: 1-line block ×3, first 2 shown]
	s_mov_b32 s16, exec_lo
	v_and_b32_sdwa v6, v6, v12 dst_sel:DWORD dst_unused:UNUSED_PAD src0_sel:DWORD src1_sel:BYTE_1
	v_mov_b32_e32 v18, v10
	v_and_b32_e32 v13, 0x7f, v6
	v_cmpx_ne_u32_e32 0x7f, v13
	s_cbranch_execz .LBB233_957
; %bb.954:                              ;   in Loop: Header=BB233_806 Depth=1
	v_and_b32_e32 v6, 7, v6
	v_lshrrev_b32_e32 v8, 3, v13
	s_mov_b32 s17, exec_lo
	v_cmpx_gt_u32_e32 8, v13
; %bb.955:                              ;   in Loop: Header=BB233_806 Depth=1
	v_ffbh_u32_e32 v8, v6
	v_min_u32_e32 v8, 32, v8
	v_subrev_nc_u32_e32 v10, 28, v8
	v_sub_nc_u32_e32 v8, 29, v8
	v_lshlrev_b64 v[18:19], v10, v[6:7]
	v_and_b32_e32 v6, 7, v18
; %bb.956:                              ;   in Loop: Header=BB233_806 Depth=1
	s_or_b32 exec_lo, exec_lo, s17
	v_lshlrev_b32_e32 v10, 16, v12
	v_lshlrev_b32_e32 v6, 20, v6
	v_lshl_add_u32 v8, v8, 23, 0x3c000000
	v_mov_b32_e32 v18, v7
	v_and_b32_e32 v10, 0x80000000, v10
	v_or3_b32 v19, v6, v10, v8
.LBB233_957:                            ;   in Loop: Header=BB233_806 Depth=1
	s_or_b32 exec_lo, exec_lo, s16
.LBB233_958:                            ;   in Loop: Header=BB233_806 Depth=1
	s_or_b32 exec_lo, exec_lo, s15
.LBB233_959:                            ;   in Loop: Header=BB233_806 Depth=1
	s_or_b32 exec_lo, exec_lo, s13
	v_mov_b32_e32 v23, 0
	v_mov_b32_e32 v20, 0
	v_and_b32_sdwa v6, v12, v83 dst_sel:DWORD dst_unused:UNUSED_PAD src0_sel:WORD_1 src1_sel:DWORD
	v_mov_b32_e32 v24, 0
	v_mov_b32_e32 v21, 0
	s_mov_b32 s13, exec_lo
	v_cmpx_ne_u16_e32 0, v6
	s_cbranch_execz .LBB233_967
; %bb.960:                              ;   in Loop: Header=BB233_806 Depth=1
	v_bfrev_b32_e32 v20, 1
	v_mov_b32_e32 v21, 0
	s_mov_b32 s15, exec_lo
	v_cmpx_ne_u16_e32 0x80, v6
	s_cbranch_execz .LBB233_966
; %bb.961:                              ;   in Loop: Header=BB233_806 Depth=1
	v_mov_b32_e32 v20, 0x7f800001
	v_bfe_u32 v10, v12, 16, 7
	v_mov_b32_e32 v21, 0
	s_mov_b32 s16, exec_lo
	v_cmpx_ne_u32_e32 0x7f, v10
	s_cbranch_execz .LBB233_965
; %bb.962:                              ;   in Loop: Header=BB233_806 Depth=1
	v_mov_b32_e32 v6, 7
	v_lshrrev_b32_e32 v8, 3, v10
	s_mov_b32 s17, exec_lo
	v_and_b32_sdwa v6, v12, v6 dst_sel:DWORD dst_unused:UNUSED_PAD src0_sel:WORD_1 src1_sel:DWORD
	v_cmpx_gt_u32_e32 8, v10
; %bb.963:                              ;   in Loop: Header=BB233_806 Depth=1
	v_ffbh_u32_e32 v8, v6
	v_min_u32_e32 v8, 32, v8
	v_subrev_nc_u32_e32 v10, 28, v8
	v_sub_nc_u32_e32 v8, 29, v8
	v_lshlrev_b64 v[20:21], v10, v[6:7]
	v_and_b32_e32 v6, 7, v20
; %bb.964:                              ;   in Loop: Header=BB233_806 Depth=1
	s_or_b32 exec_lo, exec_lo, s17
	v_mov_b32_e32 v10, 24
	v_lshlrev_b32_e32 v6, 20, v6
	v_lshl_add_u32 v8, v8, 23, 0x3c000000
	v_lshlrev_b32_sdwa v10, v10, v12 dst_sel:DWORD dst_unused:UNUSED_PAD src0_sel:DWORD src1_sel:WORD_1
	v_and_b32_e32 v10, 0x80000000, v10
	v_or3_b32 v6, v6, v10, v8
	v_mov_b32_e32 v21, v7
	v_mov_b32_e32 v20, v6
.LBB233_965:                            ;   in Loop: Header=BB233_806 Depth=1
	s_or_b32 exec_lo, exec_lo, s16
.LBB233_966:                            ;   in Loop: Header=BB233_806 Depth=1
	s_or_b32 exec_lo, exec_lo, s15
.LBB233_967:                            ;   in Loop: Header=BB233_806 Depth=1
	s_or_b32 exec_lo, exec_lo, s13
	s_mov_b32 s13, exec_lo
	v_cmpx_lt_u32_e32 0xffffff, v12
	s_cbranch_execz .LBB233_975
; %bb.968:                              ;   in Loop: Header=BB233_806 Depth=1
	v_mov_b32_e32 v8, v7
	v_mov_b32_e32 v24, v9
	v_cmp_ne_u32_sdwa s4, v12, v81 src0_sel:BYTE_3 src1_sel:DWORD
	v_mov_b32_e32 v23, v8
	s_and_saveexec_b32 s15, s4
	s_cbranch_execz .LBB233_974
; %bb.969:                              ;   in Loop: Header=BB233_806 Depth=1
	v_mov_b32_e32 v10, v7
	v_mov_b32_e32 v24, v11
	v_bfe_u32 v13, v12, 24, 7
	s_mov_b32 s16, exec_lo
	v_mov_b32_e32 v23, v10
	v_cmpx_ne_u32_e32 0x7f, v13
	s_cbranch_execz .LBB233_973
; %bb.970:                              ;   in Loop: Header=BB233_806 Depth=1
	v_mov_b32_e32 v6, 7
	v_lshrrev_b32_e32 v8, 3, v13
	s_mov_b32 s17, exec_lo
	v_and_b32_sdwa v6, v12, v6 dst_sel:DWORD dst_unused:UNUSED_PAD src0_sel:BYTE_3 src1_sel:DWORD
	v_cmpx_gt_u32_e32 8, v13
; %bb.971:                              ;   in Loop: Header=BB233_806 Depth=1
	v_ffbh_u32_e32 v8, v6
	v_min_u32_e32 v8, 32, v8
	v_subrev_nc_u32_e32 v10, 28, v8
	v_sub_nc_u32_e32 v8, 29, v8
	v_lshlrev_b64 v[23:24], v10, v[6:7]
	v_and_b32_e32 v6, 7, v23
; %bb.972:                              ;   in Loop: Header=BB233_806 Depth=1
	s_or_b32 exec_lo, exec_lo, s17
	v_mov_b32_e32 v10, 24
	v_lshlrev_b32_e32 v6, 20, v6
	v_lshl_add_u32 v8, v8, 23, 0x3c000000
	v_mov_b32_e32 v23, v7
	v_lshlrev_b32_sdwa v10, v10, v12 dst_sel:DWORD dst_unused:UNUSED_PAD src0_sel:DWORD src1_sel:BYTE_3
	v_and_b32_e32 v10, 0x80000000, v10
	v_or3_b32 v24, v6, v10, v8
.LBB233_973:                            ;   in Loop: Header=BB233_806 Depth=1
	s_or_b32 exec_lo, exec_lo, s16
.LBB233_974:                            ;   in Loop: Header=BB233_806 Depth=1
	s_or_b32 exec_lo, exec_lo, s15
.LBB233_975:                            ;   in Loop: Header=BB233_806 Depth=1
	s_or_b32 exec_lo, exec_lo, s13
	v_or_b32_e32 v6, v19, v17
	v_or_b32_e32 v8, v18, v16
	;; [unrolled: 1-line block ×4, first 2 shown]
	v_mul_f32_e32 v57, v27, v6
	v_mul_f32_e32 v56, v27, v8
	;; [unrolled: 1-line block ×4, first 2 shown]
	s_and_saveexec_b32 s13, vcc_lo
	s_cbranch_execz .LBB233_977
; %bb.976:                              ;   in Loop: Header=BB233_806 Depth=1
	v_cmp_lt_i32_e64 s4, v101, v38
	v_cndmask_b32_e64 v56, 0, v56, s4
	v_cmp_lt_i32_e64 s4, v112, v38
	v_cndmask_b32_e64 v57, 0, v57, s4
	;; [unrolled: 2-line block ×4, first 2 shown]
.LBB233_977:                            ;   in Loop: Header=BB233_806 Depth=1
	s_or_b32 exec_lo, exec_lo, s13
	flat_load_dword v12, v[4:5] offset:640
	v_mov_b32_e32 v18, 0
	v_mov_b32_e32 v16, 0
	;; [unrolled: 1-line block ×4, first 2 shown]
	s_waitcnt vmcnt(0) lgkmcnt(0)
	v_cmp_ne_u16_sdwa s4, v12, v7 src0_sel:BYTE_0 src1_sel:DWORD
	s_and_saveexec_b32 s13, s4
	s_cbranch_execz .LBB233_985
; %bb.978:                              ;   in Loop: Header=BB233_806 Depth=1
	v_bfrev_b32_e32 v16, 1
	v_mov_b32_e32 v17, 0
	v_cmp_ne_u16_sdwa s4, v12, v81 src0_sel:BYTE_0 src1_sel:DWORD
	s_and_saveexec_b32 s15, s4
	s_cbranch_execz .LBB233_984
; %bb.979:                              ;   in Loop: Header=BB233_806 Depth=1
	v_mov_b32_e32 v16, 0x7f800001
	v_and_b32_e32 v10, 0x7f, v12
	v_mov_b32_e32 v17, 0
	s_mov_b32 s16, exec_lo
	v_cmpx_ne_u32_e32 0x7f, v10
	s_cbranch_execz .LBB233_983
; %bb.980:                              ;   in Loop: Header=BB233_806 Depth=1
	v_and_b32_e32 v6, 7, v12
	v_lshrrev_b32_e32 v8, 3, v10
	s_mov_b32 s17, exec_lo
	v_cmpx_gt_u32_e32 8, v10
; %bb.981:                              ;   in Loop: Header=BB233_806 Depth=1
	v_ffbh_u32_e32 v8, v6
	v_min_u32_e32 v8, 32, v8
	v_subrev_nc_u32_e32 v10, 28, v8
	v_sub_nc_u32_e32 v8, 29, v8
	v_lshlrev_b64 v[16:17], v10, v[6:7]
	v_and_b32_e32 v6, 7, v16
; %bb.982:                              ;   in Loop: Header=BB233_806 Depth=1
	s_or_b32 exec_lo, exec_lo, s17
	v_lshlrev_b32_e32 v10, 24, v12
	v_lshlrev_b32_e32 v6, 20, v6
	v_lshl_add_u32 v8, v8, 23, 0x3c000000
	v_and_b32_e32 v10, 0x80000000, v10
	v_or3_b32 v6, v6, v10, v8
	v_mov_b32_e32 v17, v7
	v_mov_b32_e32 v16, v6
.LBB233_983:                            ;   in Loop: Header=BB233_806 Depth=1
	s_or_b32 exec_lo, exec_lo, s16
.LBB233_984:                            ;   in Loop: Header=BB233_806 Depth=1
	s_or_b32 exec_lo, exec_lo, s15
.LBB233_985:                            ;   in Loop: Header=BB233_806 Depth=1
	s_or_b32 exec_lo, exec_lo, s13
	v_cmp_ne_u16_sdwa s4, v12, v7 src0_sel:BYTE_1 src1_sel:DWORD
	s_and_saveexec_b32 s13, s4
	s_cbranch_execz .LBB233_993
; %bb.986:                              ;   in Loop: Header=BB233_806 Depth=1
	v_mov_b32_e32 v8, v7
	v_mov_b32_e32 v19, v9
	v_cmp_ne_u16_sdwa s4, v12, v81 src0_sel:BYTE_1 src1_sel:DWORD
	v_mov_b32_e32 v18, v8
	s_and_saveexec_b32 s15, s4
	s_cbranch_execz .LBB233_992
; %bb.987:                              ;   in Loop: Header=BB233_806 Depth=1
	v_mov_b32_e32 v6, 0xffff
	v_mov_b32_e32 v10, v7
	;; [unrolled: 1-line block ×3, first 2 shown]
	s_mov_b32 s16, exec_lo
	v_and_b32_sdwa v6, v6, v12 dst_sel:DWORD dst_unused:UNUSED_PAD src0_sel:DWORD src1_sel:BYTE_1
	v_mov_b32_e32 v18, v10
	v_and_b32_e32 v13, 0x7f, v6
	v_cmpx_ne_u32_e32 0x7f, v13
	s_cbranch_execz .LBB233_991
; %bb.988:                              ;   in Loop: Header=BB233_806 Depth=1
	v_and_b32_e32 v6, 7, v6
	v_lshrrev_b32_e32 v8, 3, v13
	s_mov_b32 s17, exec_lo
	v_cmpx_gt_u32_e32 8, v13
; %bb.989:                              ;   in Loop: Header=BB233_806 Depth=1
	v_ffbh_u32_e32 v8, v6
	v_min_u32_e32 v8, 32, v8
	v_subrev_nc_u32_e32 v10, 28, v8
	v_sub_nc_u32_e32 v8, 29, v8
	v_lshlrev_b64 v[18:19], v10, v[6:7]
	v_and_b32_e32 v6, 7, v18
; %bb.990:                              ;   in Loop: Header=BB233_806 Depth=1
	s_or_b32 exec_lo, exec_lo, s17
	v_lshlrev_b32_e32 v10, 16, v12
	v_lshlrev_b32_e32 v6, 20, v6
	v_lshl_add_u32 v8, v8, 23, 0x3c000000
	v_mov_b32_e32 v18, v7
	v_and_b32_e32 v10, 0x80000000, v10
	v_or3_b32 v19, v6, v10, v8
.LBB233_991:                            ;   in Loop: Header=BB233_806 Depth=1
	s_or_b32 exec_lo, exec_lo, s16
.LBB233_992:                            ;   in Loop: Header=BB233_806 Depth=1
	s_or_b32 exec_lo, exec_lo, s15
.LBB233_993:                            ;   in Loop: Header=BB233_806 Depth=1
	s_or_b32 exec_lo, exec_lo, s13
	v_mov_b32_e32 v23, 0
	v_mov_b32_e32 v20, 0
	v_and_b32_sdwa v6, v12, v83 dst_sel:DWORD dst_unused:UNUSED_PAD src0_sel:WORD_1 src1_sel:DWORD
	v_mov_b32_e32 v24, 0
	v_mov_b32_e32 v21, 0
	s_mov_b32 s13, exec_lo
	v_cmpx_ne_u16_e32 0, v6
	s_cbranch_execz .LBB233_1001
; %bb.994:                              ;   in Loop: Header=BB233_806 Depth=1
	v_bfrev_b32_e32 v20, 1
	v_mov_b32_e32 v21, 0
	s_mov_b32 s15, exec_lo
	v_cmpx_ne_u16_e32 0x80, v6
	s_cbranch_execz .LBB233_1000
; %bb.995:                              ;   in Loop: Header=BB233_806 Depth=1
	v_mov_b32_e32 v20, 0x7f800001
	v_bfe_u32 v10, v12, 16, 7
	v_mov_b32_e32 v21, 0
	s_mov_b32 s16, exec_lo
	v_cmpx_ne_u32_e32 0x7f, v10
	s_cbranch_execz .LBB233_999
; %bb.996:                              ;   in Loop: Header=BB233_806 Depth=1
	v_mov_b32_e32 v6, 7
	v_lshrrev_b32_e32 v8, 3, v10
	s_mov_b32 s17, exec_lo
	v_and_b32_sdwa v6, v12, v6 dst_sel:DWORD dst_unused:UNUSED_PAD src0_sel:WORD_1 src1_sel:DWORD
	v_cmpx_gt_u32_e32 8, v10
; %bb.997:                              ;   in Loop: Header=BB233_806 Depth=1
	v_ffbh_u32_e32 v8, v6
	v_min_u32_e32 v8, 32, v8
	v_subrev_nc_u32_e32 v10, 28, v8
	v_sub_nc_u32_e32 v8, 29, v8
	v_lshlrev_b64 v[20:21], v10, v[6:7]
	v_and_b32_e32 v6, 7, v20
; %bb.998:                              ;   in Loop: Header=BB233_806 Depth=1
	s_or_b32 exec_lo, exec_lo, s17
	v_mov_b32_e32 v10, 24
	v_lshlrev_b32_e32 v6, 20, v6
	v_lshl_add_u32 v8, v8, 23, 0x3c000000
	v_lshlrev_b32_sdwa v10, v10, v12 dst_sel:DWORD dst_unused:UNUSED_PAD src0_sel:DWORD src1_sel:WORD_1
	v_and_b32_e32 v10, 0x80000000, v10
	v_or3_b32 v6, v6, v10, v8
	v_mov_b32_e32 v21, v7
	v_mov_b32_e32 v20, v6
.LBB233_999:                            ;   in Loop: Header=BB233_806 Depth=1
	s_or_b32 exec_lo, exec_lo, s16
.LBB233_1000:                           ;   in Loop: Header=BB233_806 Depth=1
	s_or_b32 exec_lo, exec_lo, s15
.LBB233_1001:                           ;   in Loop: Header=BB233_806 Depth=1
	s_or_b32 exec_lo, exec_lo, s13
	s_mov_b32 s13, exec_lo
	v_cmpx_lt_u32_e32 0xffffff, v12
	s_cbranch_execz .LBB233_1009
; %bb.1002:                             ;   in Loop: Header=BB233_806 Depth=1
	v_mov_b32_e32 v8, v7
	v_mov_b32_e32 v24, v9
	v_cmp_ne_u32_sdwa s4, v12, v81 src0_sel:BYTE_3 src1_sel:DWORD
	v_mov_b32_e32 v23, v8
	s_and_saveexec_b32 s15, s4
	s_cbranch_execz .LBB233_1008
; %bb.1003:                             ;   in Loop: Header=BB233_806 Depth=1
	v_mov_b32_e32 v10, v7
	v_mov_b32_e32 v24, v11
	v_bfe_u32 v13, v12, 24, 7
	s_mov_b32 s16, exec_lo
	v_mov_b32_e32 v23, v10
	v_cmpx_ne_u32_e32 0x7f, v13
	s_cbranch_execz .LBB233_1007
; %bb.1004:                             ;   in Loop: Header=BB233_806 Depth=1
	v_mov_b32_e32 v6, 7
	v_lshrrev_b32_e32 v8, 3, v13
	s_mov_b32 s17, exec_lo
	v_and_b32_sdwa v6, v12, v6 dst_sel:DWORD dst_unused:UNUSED_PAD src0_sel:BYTE_3 src1_sel:DWORD
	v_cmpx_gt_u32_e32 8, v13
; %bb.1005:                             ;   in Loop: Header=BB233_806 Depth=1
	v_ffbh_u32_e32 v8, v6
	v_min_u32_e32 v8, 32, v8
	v_subrev_nc_u32_e32 v10, 28, v8
	v_sub_nc_u32_e32 v8, 29, v8
	v_lshlrev_b64 v[23:24], v10, v[6:7]
	v_and_b32_e32 v6, 7, v23
; %bb.1006:                             ;   in Loop: Header=BB233_806 Depth=1
	s_or_b32 exec_lo, exec_lo, s17
	v_mov_b32_e32 v10, 24
	v_lshlrev_b32_e32 v6, 20, v6
	v_lshl_add_u32 v8, v8, 23, 0x3c000000
	v_mov_b32_e32 v23, v7
	v_lshlrev_b32_sdwa v10, v10, v12 dst_sel:DWORD dst_unused:UNUSED_PAD src0_sel:DWORD src1_sel:BYTE_3
	v_and_b32_e32 v10, 0x80000000, v10
	v_or3_b32 v24, v6, v10, v8
.LBB233_1007:                           ;   in Loop: Header=BB233_806 Depth=1
	s_or_b32 exec_lo, exec_lo, s16
.LBB233_1008:                           ;   in Loop: Header=BB233_806 Depth=1
	s_or_b32 exec_lo, exec_lo, s15
.LBB233_1009:                           ;   in Loop: Header=BB233_806 Depth=1
	s_or_b32 exec_lo, exec_lo, s13
	v_or_b32_e32 v6, v19, v17
	v_or_b32_e32 v8, v18, v16
	;; [unrolled: 1-line block ×4, first 2 shown]
	v_mul_f32_e32 v61, v27, v6
	v_mul_f32_e32 v60, v27, v8
	;; [unrolled: 1-line block ×4, first 2 shown]
	s_and_saveexec_b32 s13, vcc_lo
	s_cbranch_execz .LBB233_1011
; %bb.1010:                             ;   in Loop: Header=BB233_806 Depth=1
	v_cmp_lt_i32_e64 s4, v101, v38
	v_cndmask_b32_e64 v60, 0, v60, s4
	v_cmp_lt_i32_e64 s4, v112, v38
	v_cndmask_b32_e64 v61, 0, v61, s4
	;; [unrolled: 2-line block ×4, first 2 shown]
.LBB233_1011:                           ;   in Loop: Header=BB233_806 Depth=1
	s_or_b32 exec_lo, exec_lo, s13
	flat_load_dword v12, v[4:5] offset:768
	v_mov_b32_e32 v18, 0
	v_mov_b32_e32 v16, 0
	;; [unrolled: 1-line block ×4, first 2 shown]
	s_waitcnt vmcnt(0) lgkmcnt(0)
	v_cmp_ne_u16_sdwa s4, v12, v7 src0_sel:BYTE_0 src1_sel:DWORD
	s_and_saveexec_b32 s13, s4
	s_cbranch_execz .LBB233_1019
; %bb.1012:                             ;   in Loop: Header=BB233_806 Depth=1
	v_bfrev_b32_e32 v16, 1
	v_mov_b32_e32 v17, 0
	v_cmp_ne_u16_sdwa s4, v12, v81 src0_sel:BYTE_0 src1_sel:DWORD
	s_and_saveexec_b32 s15, s4
	s_cbranch_execz .LBB233_1018
; %bb.1013:                             ;   in Loop: Header=BB233_806 Depth=1
	v_mov_b32_e32 v16, 0x7f800001
	v_and_b32_e32 v10, 0x7f, v12
	v_mov_b32_e32 v17, 0
	s_mov_b32 s16, exec_lo
	v_cmpx_ne_u32_e32 0x7f, v10
	s_cbranch_execz .LBB233_1017
; %bb.1014:                             ;   in Loop: Header=BB233_806 Depth=1
	v_and_b32_e32 v6, 7, v12
	v_lshrrev_b32_e32 v8, 3, v10
	s_mov_b32 s17, exec_lo
	v_cmpx_gt_u32_e32 8, v10
; %bb.1015:                             ;   in Loop: Header=BB233_806 Depth=1
	v_ffbh_u32_e32 v8, v6
	v_min_u32_e32 v8, 32, v8
	v_subrev_nc_u32_e32 v10, 28, v8
	v_sub_nc_u32_e32 v8, 29, v8
	v_lshlrev_b64 v[16:17], v10, v[6:7]
	v_and_b32_e32 v6, 7, v16
; %bb.1016:                             ;   in Loop: Header=BB233_806 Depth=1
	s_or_b32 exec_lo, exec_lo, s17
	v_lshlrev_b32_e32 v10, 24, v12
	v_lshlrev_b32_e32 v6, 20, v6
	v_lshl_add_u32 v8, v8, 23, 0x3c000000
	v_and_b32_e32 v10, 0x80000000, v10
	v_or3_b32 v6, v6, v10, v8
	v_mov_b32_e32 v17, v7
	v_mov_b32_e32 v16, v6
.LBB233_1017:                           ;   in Loop: Header=BB233_806 Depth=1
	s_or_b32 exec_lo, exec_lo, s16
.LBB233_1018:                           ;   in Loop: Header=BB233_806 Depth=1
	s_or_b32 exec_lo, exec_lo, s15
.LBB233_1019:                           ;   in Loop: Header=BB233_806 Depth=1
	s_or_b32 exec_lo, exec_lo, s13
	v_cmp_ne_u16_sdwa s4, v12, v7 src0_sel:BYTE_1 src1_sel:DWORD
	s_and_saveexec_b32 s13, s4
	s_cbranch_execz .LBB233_1027
; %bb.1020:                             ;   in Loop: Header=BB233_806 Depth=1
	v_mov_b32_e32 v8, v7
	v_mov_b32_e32 v19, v9
	v_cmp_ne_u16_sdwa s4, v12, v81 src0_sel:BYTE_1 src1_sel:DWORD
	v_mov_b32_e32 v18, v8
	s_and_saveexec_b32 s15, s4
	s_cbranch_execz .LBB233_1026
; %bb.1021:                             ;   in Loop: Header=BB233_806 Depth=1
	v_mov_b32_e32 v6, 0xffff
	v_mov_b32_e32 v10, v7
	;; [unrolled: 1-line block ×3, first 2 shown]
	s_mov_b32 s16, exec_lo
	v_and_b32_sdwa v6, v6, v12 dst_sel:DWORD dst_unused:UNUSED_PAD src0_sel:DWORD src1_sel:BYTE_1
	v_mov_b32_e32 v18, v10
	v_and_b32_e32 v13, 0x7f, v6
	v_cmpx_ne_u32_e32 0x7f, v13
	s_cbranch_execz .LBB233_1025
; %bb.1022:                             ;   in Loop: Header=BB233_806 Depth=1
	v_and_b32_e32 v6, 7, v6
	v_lshrrev_b32_e32 v8, 3, v13
	s_mov_b32 s17, exec_lo
	v_cmpx_gt_u32_e32 8, v13
; %bb.1023:                             ;   in Loop: Header=BB233_806 Depth=1
	v_ffbh_u32_e32 v8, v6
	v_min_u32_e32 v8, 32, v8
	v_subrev_nc_u32_e32 v10, 28, v8
	v_sub_nc_u32_e32 v8, 29, v8
	v_lshlrev_b64 v[18:19], v10, v[6:7]
	v_and_b32_e32 v6, 7, v18
; %bb.1024:                             ;   in Loop: Header=BB233_806 Depth=1
	s_or_b32 exec_lo, exec_lo, s17
	v_lshlrev_b32_e32 v10, 16, v12
	v_lshlrev_b32_e32 v6, 20, v6
	v_lshl_add_u32 v8, v8, 23, 0x3c000000
	v_mov_b32_e32 v18, v7
	v_and_b32_e32 v10, 0x80000000, v10
	v_or3_b32 v19, v6, v10, v8
.LBB233_1025:                           ;   in Loop: Header=BB233_806 Depth=1
	s_or_b32 exec_lo, exec_lo, s16
.LBB233_1026:                           ;   in Loop: Header=BB233_806 Depth=1
	s_or_b32 exec_lo, exec_lo, s15
.LBB233_1027:                           ;   in Loop: Header=BB233_806 Depth=1
	s_or_b32 exec_lo, exec_lo, s13
	v_mov_b32_e32 v23, 0
	v_mov_b32_e32 v20, 0
	v_and_b32_sdwa v6, v12, v83 dst_sel:DWORD dst_unused:UNUSED_PAD src0_sel:WORD_1 src1_sel:DWORD
	v_mov_b32_e32 v24, 0
	v_mov_b32_e32 v21, 0
	s_mov_b32 s13, exec_lo
	v_cmpx_ne_u16_e32 0, v6
	s_cbranch_execz .LBB233_1035
; %bb.1028:                             ;   in Loop: Header=BB233_806 Depth=1
	v_bfrev_b32_e32 v20, 1
	v_mov_b32_e32 v21, 0
	s_mov_b32 s15, exec_lo
	v_cmpx_ne_u16_e32 0x80, v6
	s_cbranch_execz .LBB233_1034
; %bb.1029:                             ;   in Loop: Header=BB233_806 Depth=1
	v_mov_b32_e32 v20, 0x7f800001
	v_bfe_u32 v10, v12, 16, 7
	v_mov_b32_e32 v21, 0
	s_mov_b32 s16, exec_lo
	v_cmpx_ne_u32_e32 0x7f, v10
	s_cbranch_execz .LBB233_1033
; %bb.1030:                             ;   in Loop: Header=BB233_806 Depth=1
	v_mov_b32_e32 v6, 7
	v_lshrrev_b32_e32 v8, 3, v10
	s_mov_b32 s17, exec_lo
	v_and_b32_sdwa v6, v12, v6 dst_sel:DWORD dst_unused:UNUSED_PAD src0_sel:WORD_1 src1_sel:DWORD
	v_cmpx_gt_u32_e32 8, v10
; %bb.1031:                             ;   in Loop: Header=BB233_806 Depth=1
	v_ffbh_u32_e32 v8, v6
	v_min_u32_e32 v8, 32, v8
	v_subrev_nc_u32_e32 v10, 28, v8
	v_sub_nc_u32_e32 v8, 29, v8
	v_lshlrev_b64 v[20:21], v10, v[6:7]
	v_and_b32_e32 v6, 7, v20
; %bb.1032:                             ;   in Loop: Header=BB233_806 Depth=1
	s_or_b32 exec_lo, exec_lo, s17
	v_mov_b32_e32 v10, 24
	v_lshlrev_b32_e32 v6, 20, v6
	v_lshl_add_u32 v8, v8, 23, 0x3c000000
	v_lshlrev_b32_sdwa v10, v10, v12 dst_sel:DWORD dst_unused:UNUSED_PAD src0_sel:DWORD src1_sel:WORD_1
	v_and_b32_e32 v10, 0x80000000, v10
	v_or3_b32 v6, v6, v10, v8
	v_mov_b32_e32 v21, v7
	v_mov_b32_e32 v20, v6
.LBB233_1033:                           ;   in Loop: Header=BB233_806 Depth=1
	s_or_b32 exec_lo, exec_lo, s16
.LBB233_1034:                           ;   in Loop: Header=BB233_806 Depth=1
	s_or_b32 exec_lo, exec_lo, s15
.LBB233_1035:                           ;   in Loop: Header=BB233_806 Depth=1
	s_or_b32 exec_lo, exec_lo, s13
	s_mov_b32 s13, exec_lo
	v_cmpx_lt_u32_e32 0xffffff, v12
	s_cbranch_execz .LBB233_1043
; %bb.1036:                             ;   in Loop: Header=BB233_806 Depth=1
	v_mov_b32_e32 v8, v7
	v_mov_b32_e32 v24, v9
	v_cmp_ne_u32_sdwa s4, v12, v81 src0_sel:BYTE_3 src1_sel:DWORD
	v_mov_b32_e32 v23, v8
	s_and_saveexec_b32 s15, s4
	s_cbranch_execz .LBB233_1042
; %bb.1037:                             ;   in Loop: Header=BB233_806 Depth=1
	v_mov_b32_e32 v10, v7
	v_mov_b32_e32 v24, v11
	v_bfe_u32 v13, v12, 24, 7
	s_mov_b32 s16, exec_lo
	v_mov_b32_e32 v23, v10
	v_cmpx_ne_u32_e32 0x7f, v13
	s_cbranch_execz .LBB233_1041
; %bb.1038:                             ;   in Loop: Header=BB233_806 Depth=1
	v_mov_b32_e32 v6, 7
	v_lshrrev_b32_e32 v8, 3, v13
	s_mov_b32 s17, exec_lo
	v_and_b32_sdwa v6, v12, v6 dst_sel:DWORD dst_unused:UNUSED_PAD src0_sel:BYTE_3 src1_sel:DWORD
	v_cmpx_gt_u32_e32 8, v13
; %bb.1039:                             ;   in Loop: Header=BB233_806 Depth=1
	v_ffbh_u32_e32 v8, v6
	v_min_u32_e32 v8, 32, v8
	v_subrev_nc_u32_e32 v10, 28, v8
	v_sub_nc_u32_e32 v8, 29, v8
	v_lshlrev_b64 v[23:24], v10, v[6:7]
	v_and_b32_e32 v6, 7, v23
; %bb.1040:                             ;   in Loop: Header=BB233_806 Depth=1
	s_or_b32 exec_lo, exec_lo, s17
	v_mov_b32_e32 v10, 24
	v_lshlrev_b32_e32 v6, 20, v6
	v_lshl_add_u32 v8, v8, 23, 0x3c000000
	v_mov_b32_e32 v23, v7
	v_lshlrev_b32_sdwa v10, v10, v12 dst_sel:DWORD dst_unused:UNUSED_PAD src0_sel:DWORD src1_sel:BYTE_3
	v_and_b32_e32 v10, 0x80000000, v10
	v_or3_b32 v24, v6, v10, v8
.LBB233_1041:                           ;   in Loop: Header=BB233_806 Depth=1
	s_or_b32 exec_lo, exec_lo, s16
.LBB233_1042:                           ;   in Loop: Header=BB233_806 Depth=1
	s_or_b32 exec_lo, exec_lo, s15
.LBB233_1043:                           ;   in Loop: Header=BB233_806 Depth=1
	s_or_b32 exec_lo, exec_lo, s13
	v_or_b32_e32 v6, v19, v17
	v_or_b32_e32 v8, v18, v16
	;; [unrolled: 1-line block ×4, first 2 shown]
	v_mul_f32_e32 v73, v27, v6
	v_mul_f32_e32 v72, v27, v8
	;; [unrolled: 1-line block ×4, first 2 shown]
	s_and_saveexec_b32 s13, vcc_lo
	s_cbranch_execz .LBB233_1045
; %bb.1044:                             ;   in Loop: Header=BB233_806 Depth=1
	v_cmp_lt_i32_e64 s4, v101, v38
	v_cndmask_b32_e64 v72, 0, v72, s4
	v_cmp_lt_i32_e64 s4, v112, v38
	v_cndmask_b32_e64 v73, 0, v73, s4
	;; [unrolled: 2-line block ×4, first 2 shown]
.LBB233_1045:                           ;   in Loop: Header=BB233_806 Depth=1
	s_or_b32 exec_lo, exec_lo, s13
	flat_load_dword v12, v[4:5] offset:896
	v_mov_b32_e32 v18, 0
	v_mov_b32_e32 v16, 0
	v_mov_b32_e32 v19, 0
	v_mov_b32_e32 v17, 0
	s_waitcnt vmcnt(0) lgkmcnt(0)
	v_cmp_ne_u16_sdwa s4, v12, v7 src0_sel:BYTE_0 src1_sel:DWORD
	s_and_saveexec_b32 s13, s4
	s_cbranch_execz .LBB233_1053
; %bb.1046:                             ;   in Loop: Header=BB233_806 Depth=1
	v_bfrev_b32_e32 v16, 1
	v_mov_b32_e32 v17, 0
	v_cmp_ne_u16_sdwa s4, v12, v81 src0_sel:BYTE_0 src1_sel:DWORD
	s_and_saveexec_b32 s15, s4
	s_cbranch_execz .LBB233_1052
; %bb.1047:                             ;   in Loop: Header=BB233_806 Depth=1
	v_mov_b32_e32 v16, 0x7f800001
	v_and_b32_e32 v10, 0x7f, v12
	v_mov_b32_e32 v17, 0
	s_mov_b32 s16, exec_lo
	v_cmpx_ne_u32_e32 0x7f, v10
	s_cbranch_execz .LBB233_1051
; %bb.1048:                             ;   in Loop: Header=BB233_806 Depth=1
	v_and_b32_e32 v6, 7, v12
	v_lshrrev_b32_e32 v8, 3, v10
	s_mov_b32 s17, exec_lo
	v_cmpx_gt_u32_e32 8, v10
; %bb.1049:                             ;   in Loop: Header=BB233_806 Depth=1
	v_ffbh_u32_e32 v8, v6
	v_min_u32_e32 v8, 32, v8
	v_subrev_nc_u32_e32 v10, 28, v8
	v_sub_nc_u32_e32 v8, 29, v8
	v_lshlrev_b64 v[16:17], v10, v[6:7]
	v_and_b32_e32 v6, 7, v16
; %bb.1050:                             ;   in Loop: Header=BB233_806 Depth=1
	s_or_b32 exec_lo, exec_lo, s17
	v_lshlrev_b32_e32 v10, 24, v12
	v_lshlrev_b32_e32 v6, 20, v6
	v_lshl_add_u32 v8, v8, 23, 0x3c000000
	v_and_b32_e32 v10, 0x80000000, v10
	v_or3_b32 v6, v6, v10, v8
	v_mov_b32_e32 v17, v7
	v_mov_b32_e32 v16, v6
.LBB233_1051:                           ;   in Loop: Header=BB233_806 Depth=1
	s_or_b32 exec_lo, exec_lo, s16
.LBB233_1052:                           ;   in Loop: Header=BB233_806 Depth=1
	s_or_b32 exec_lo, exec_lo, s15
.LBB233_1053:                           ;   in Loop: Header=BB233_806 Depth=1
	s_or_b32 exec_lo, exec_lo, s13
	v_cmp_ne_u16_sdwa s4, v12, v7 src0_sel:BYTE_1 src1_sel:DWORD
	s_and_saveexec_b32 s13, s4
	s_cbranch_execz .LBB233_1061
; %bb.1054:                             ;   in Loop: Header=BB233_806 Depth=1
	v_mov_b32_e32 v8, v7
	v_mov_b32_e32 v19, v9
	v_cmp_ne_u16_sdwa s4, v12, v81 src0_sel:BYTE_1 src1_sel:DWORD
	v_mov_b32_e32 v18, v8
	s_and_saveexec_b32 s15, s4
	s_cbranch_execz .LBB233_1060
; %bb.1055:                             ;   in Loop: Header=BB233_806 Depth=1
	v_mov_b32_e32 v6, 0xffff
	v_mov_b32_e32 v10, v7
	v_mov_b32_e32 v19, v11
	s_mov_b32 s16, exec_lo
	v_and_b32_sdwa v6, v6, v12 dst_sel:DWORD dst_unused:UNUSED_PAD src0_sel:DWORD src1_sel:BYTE_1
	v_mov_b32_e32 v18, v10
	v_and_b32_e32 v13, 0x7f, v6
	v_cmpx_ne_u32_e32 0x7f, v13
	s_cbranch_execz .LBB233_1059
; %bb.1056:                             ;   in Loop: Header=BB233_806 Depth=1
	v_and_b32_e32 v6, 7, v6
	v_lshrrev_b32_e32 v8, 3, v13
	s_mov_b32 s17, exec_lo
	v_cmpx_gt_u32_e32 8, v13
; %bb.1057:                             ;   in Loop: Header=BB233_806 Depth=1
	v_ffbh_u32_e32 v8, v6
	v_min_u32_e32 v8, 32, v8
	v_subrev_nc_u32_e32 v10, 28, v8
	v_sub_nc_u32_e32 v8, 29, v8
	v_lshlrev_b64 v[18:19], v10, v[6:7]
	v_and_b32_e32 v6, 7, v18
; %bb.1058:                             ;   in Loop: Header=BB233_806 Depth=1
	s_or_b32 exec_lo, exec_lo, s17
	v_lshlrev_b32_e32 v10, 16, v12
	v_lshlrev_b32_e32 v6, 20, v6
	v_lshl_add_u32 v8, v8, 23, 0x3c000000
	v_mov_b32_e32 v18, v7
	v_and_b32_e32 v10, 0x80000000, v10
	v_or3_b32 v19, v6, v10, v8
.LBB233_1059:                           ;   in Loop: Header=BB233_806 Depth=1
	s_or_b32 exec_lo, exec_lo, s16
.LBB233_1060:                           ;   in Loop: Header=BB233_806 Depth=1
	s_or_b32 exec_lo, exec_lo, s15
.LBB233_1061:                           ;   in Loop: Header=BB233_806 Depth=1
	s_or_b32 exec_lo, exec_lo, s13
	v_mov_b32_e32 v23, 0
	v_mov_b32_e32 v20, 0
	v_and_b32_sdwa v6, v12, v83 dst_sel:DWORD dst_unused:UNUSED_PAD src0_sel:WORD_1 src1_sel:DWORD
	v_mov_b32_e32 v24, 0
	v_mov_b32_e32 v21, 0
	s_mov_b32 s13, exec_lo
	v_cmpx_ne_u16_e32 0, v6
	s_cbranch_execz .LBB233_1069
; %bb.1062:                             ;   in Loop: Header=BB233_806 Depth=1
	v_bfrev_b32_e32 v20, 1
	v_mov_b32_e32 v21, 0
	s_mov_b32 s15, exec_lo
	v_cmpx_ne_u16_e32 0x80, v6
	s_cbranch_execz .LBB233_1068
; %bb.1063:                             ;   in Loop: Header=BB233_806 Depth=1
	v_mov_b32_e32 v20, 0x7f800001
	v_bfe_u32 v10, v12, 16, 7
	v_mov_b32_e32 v21, 0
	s_mov_b32 s16, exec_lo
	v_cmpx_ne_u32_e32 0x7f, v10
	s_cbranch_execz .LBB233_1067
; %bb.1064:                             ;   in Loop: Header=BB233_806 Depth=1
	v_mov_b32_e32 v6, 7
	v_lshrrev_b32_e32 v8, 3, v10
	s_mov_b32 s17, exec_lo
	v_and_b32_sdwa v6, v12, v6 dst_sel:DWORD dst_unused:UNUSED_PAD src0_sel:WORD_1 src1_sel:DWORD
	v_cmpx_gt_u32_e32 8, v10
; %bb.1065:                             ;   in Loop: Header=BB233_806 Depth=1
	v_ffbh_u32_e32 v8, v6
	v_min_u32_e32 v8, 32, v8
	v_subrev_nc_u32_e32 v10, 28, v8
	v_sub_nc_u32_e32 v8, 29, v8
	v_lshlrev_b64 v[20:21], v10, v[6:7]
	v_and_b32_e32 v6, 7, v20
; %bb.1066:                             ;   in Loop: Header=BB233_806 Depth=1
	s_or_b32 exec_lo, exec_lo, s17
	v_mov_b32_e32 v10, 24
	v_lshlrev_b32_e32 v6, 20, v6
	v_lshl_add_u32 v8, v8, 23, 0x3c000000
	v_lshlrev_b32_sdwa v10, v10, v12 dst_sel:DWORD dst_unused:UNUSED_PAD src0_sel:DWORD src1_sel:WORD_1
	v_and_b32_e32 v10, 0x80000000, v10
	v_or3_b32 v6, v6, v10, v8
	v_mov_b32_e32 v21, v7
	v_mov_b32_e32 v20, v6
.LBB233_1067:                           ;   in Loop: Header=BB233_806 Depth=1
	s_or_b32 exec_lo, exec_lo, s16
.LBB233_1068:                           ;   in Loop: Header=BB233_806 Depth=1
	s_or_b32 exec_lo, exec_lo, s15
.LBB233_1069:                           ;   in Loop: Header=BB233_806 Depth=1
	s_or_b32 exec_lo, exec_lo, s13
	s_mov_b32 s13, exec_lo
	v_cmpx_lt_u32_e32 0xffffff, v12
	s_cbranch_execz .LBB233_1077
; %bb.1070:                             ;   in Loop: Header=BB233_806 Depth=1
	v_mov_b32_e32 v8, v7
	v_mov_b32_e32 v24, v9
	v_cmp_ne_u32_sdwa s4, v12, v81 src0_sel:BYTE_3 src1_sel:DWORD
	v_mov_b32_e32 v23, v8
	s_and_saveexec_b32 s15, s4
	s_cbranch_execz .LBB233_1076
; %bb.1071:                             ;   in Loop: Header=BB233_806 Depth=1
	v_mov_b32_e32 v10, v7
	v_mov_b32_e32 v24, v11
	v_bfe_u32 v13, v12, 24, 7
	s_mov_b32 s16, exec_lo
	v_mov_b32_e32 v23, v10
	v_cmpx_ne_u32_e32 0x7f, v13
	s_cbranch_execz .LBB233_1075
; %bb.1072:                             ;   in Loop: Header=BB233_806 Depth=1
	v_mov_b32_e32 v6, 7
	v_lshrrev_b32_e32 v8, 3, v13
	s_mov_b32 s17, exec_lo
	v_and_b32_sdwa v6, v12, v6 dst_sel:DWORD dst_unused:UNUSED_PAD src0_sel:BYTE_3 src1_sel:DWORD
	v_cmpx_gt_u32_e32 8, v13
; %bb.1073:                             ;   in Loop: Header=BB233_806 Depth=1
	v_ffbh_u32_e32 v8, v6
	v_min_u32_e32 v8, 32, v8
	v_subrev_nc_u32_e32 v10, 28, v8
	v_sub_nc_u32_e32 v8, 29, v8
	v_lshlrev_b64 v[23:24], v10, v[6:7]
	v_and_b32_e32 v6, 7, v23
; %bb.1074:                             ;   in Loop: Header=BB233_806 Depth=1
	s_or_b32 exec_lo, exec_lo, s17
	v_mov_b32_e32 v10, 24
	v_lshlrev_b32_e32 v6, 20, v6
	v_lshl_add_u32 v8, v8, 23, 0x3c000000
	v_mov_b32_e32 v23, v7
	v_lshlrev_b32_sdwa v10, v10, v12 dst_sel:DWORD dst_unused:UNUSED_PAD src0_sel:DWORD src1_sel:BYTE_3
	v_and_b32_e32 v10, 0x80000000, v10
	v_or3_b32 v24, v6, v10, v8
.LBB233_1075:                           ;   in Loop: Header=BB233_806 Depth=1
	s_or_b32 exec_lo, exec_lo, s16
.LBB233_1076:                           ;   in Loop: Header=BB233_806 Depth=1
	s_or_b32 exec_lo, exec_lo, s15
.LBB233_1077:                           ;   in Loop: Header=BB233_806 Depth=1
	s_or_b32 exec_lo, exec_lo, s13
	v_or_b32_e32 v6, v19, v17
	v_or_b32_e32 v8, v18, v16
	;; [unrolled: 1-line block ×4, first 2 shown]
	v_mul_f32_e32 v77, v27, v6
	v_mul_f32_e32 v76, v27, v8
	;; [unrolled: 1-line block ×4, first 2 shown]
	s_and_saveexec_b32 s13, vcc_lo
	s_cbranch_execz .LBB233_1079
; %bb.1078:                             ;   in Loop: Header=BB233_806 Depth=1
	v_cmp_lt_i32_e64 s4, v101, v38
	v_cndmask_b32_e64 v76, 0, v76, s4
	v_cmp_lt_i32_e64 s4, v112, v38
	v_cndmask_b32_e64 v77, 0, v77, s4
	;; [unrolled: 2-line block ×4, first 2 shown]
.LBB233_1079:                           ;   in Loop: Header=BB233_806 Depth=1
	s_or_b32 exec_lo, exec_lo, s13
	flat_load_dword v12, v[4:5] offset:1024
	v_mov_b32_e32 v18, 0
	v_mov_b32_e32 v16, 0
	v_mov_b32_e32 v19, 0
	v_mov_b32_e32 v17, 0
	s_waitcnt vmcnt(0) lgkmcnt(0)
	v_cmp_ne_u16_sdwa s4, v12, v7 src0_sel:BYTE_0 src1_sel:DWORD
	s_and_saveexec_b32 s13, s4
	s_cbranch_execz .LBB233_1087
; %bb.1080:                             ;   in Loop: Header=BB233_806 Depth=1
	v_bfrev_b32_e32 v16, 1
	v_mov_b32_e32 v17, 0
	v_cmp_ne_u16_sdwa s4, v12, v81 src0_sel:BYTE_0 src1_sel:DWORD
	s_and_saveexec_b32 s15, s4
	s_cbranch_execz .LBB233_1086
; %bb.1081:                             ;   in Loop: Header=BB233_806 Depth=1
	v_mov_b32_e32 v16, 0x7f800001
	v_and_b32_e32 v10, 0x7f, v12
	v_mov_b32_e32 v17, 0
	s_mov_b32 s16, exec_lo
	v_cmpx_ne_u32_e32 0x7f, v10
	s_cbranch_execz .LBB233_1085
; %bb.1082:                             ;   in Loop: Header=BB233_806 Depth=1
	v_and_b32_e32 v6, 7, v12
	v_lshrrev_b32_e32 v8, 3, v10
	s_mov_b32 s17, exec_lo
	v_cmpx_gt_u32_e32 8, v10
; %bb.1083:                             ;   in Loop: Header=BB233_806 Depth=1
	v_ffbh_u32_e32 v8, v6
	v_min_u32_e32 v8, 32, v8
	v_subrev_nc_u32_e32 v10, 28, v8
	v_sub_nc_u32_e32 v8, 29, v8
	v_lshlrev_b64 v[16:17], v10, v[6:7]
	v_and_b32_e32 v6, 7, v16
; %bb.1084:                             ;   in Loop: Header=BB233_806 Depth=1
	s_or_b32 exec_lo, exec_lo, s17
	v_lshlrev_b32_e32 v10, 24, v12
	v_lshlrev_b32_e32 v6, 20, v6
	v_lshl_add_u32 v8, v8, 23, 0x3c000000
	v_and_b32_e32 v10, 0x80000000, v10
	v_or3_b32 v6, v6, v10, v8
	v_mov_b32_e32 v17, v7
	v_mov_b32_e32 v16, v6
.LBB233_1085:                           ;   in Loop: Header=BB233_806 Depth=1
	s_or_b32 exec_lo, exec_lo, s16
.LBB233_1086:                           ;   in Loop: Header=BB233_806 Depth=1
	s_or_b32 exec_lo, exec_lo, s15
.LBB233_1087:                           ;   in Loop: Header=BB233_806 Depth=1
	s_or_b32 exec_lo, exec_lo, s13
	v_cmp_ne_u16_sdwa s4, v12, v7 src0_sel:BYTE_1 src1_sel:DWORD
	s_and_saveexec_b32 s13, s4
	s_cbranch_execz .LBB233_1095
; %bb.1088:                             ;   in Loop: Header=BB233_806 Depth=1
	v_mov_b32_e32 v8, v7
	v_mov_b32_e32 v19, v9
	v_cmp_ne_u16_sdwa s4, v12, v81 src0_sel:BYTE_1 src1_sel:DWORD
	v_mov_b32_e32 v18, v8
	s_and_saveexec_b32 s15, s4
	s_cbranch_execz .LBB233_1094
; %bb.1089:                             ;   in Loop: Header=BB233_806 Depth=1
	v_mov_b32_e32 v6, 0xffff
	v_mov_b32_e32 v10, v7
	;; [unrolled: 1-line block ×3, first 2 shown]
	s_mov_b32 s16, exec_lo
	v_and_b32_sdwa v6, v6, v12 dst_sel:DWORD dst_unused:UNUSED_PAD src0_sel:DWORD src1_sel:BYTE_1
	v_mov_b32_e32 v18, v10
	v_and_b32_e32 v13, 0x7f, v6
	v_cmpx_ne_u32_e32 0x7f, v13
	s_cbranch_execz .LBB233_1093
; %bb.1090:                             ;   in Loop: Header=BB233_806 Depth=1
	v_and_b32_e32 v6, 7, v6
	v_lshrrev_b32_e32 v8, 3, v13
	s_mov_b32 s17, exec_lo
	v_cmpx_gt_u32_e32 8, v13
; %bb.1091:                             ;   in Loop: Header=BB233_806 Depth=1
	v_ffbh_u32_e32 v8, v6
	v_min_u32_e32 v8, 32, v8
	v_subrev_nc_u32_e32 v10, 28, v8
	v_sub_nc_u32_e32 v8, 29, v8
	v_lshlrev_b64 v[18:19], v10, v[6:7]
	v_and_b32_e32 v6, 7, v18
; %bb.1092:                             ;   in Loop: Header=BB233_806 Depth=1
	s_or_b32 exec_lo, exec_lo, s17
	v_lshlrev_b32_e32 v10, 16, v12
	v_lshlrev_b32_e32 v6, 20, v6
	v_lshl_add_u32 v8, v8, 23, 0x3c000000
	v_mov_b32_e32 v18, v7
	v_and_b32_e32 v10, 0x80000000, v10
	v_or3_b32 v19, v6, v10, v8
.LBB233_1093:                           ;   in Loop: Header=BB233_806 Depth=1
	s_or_b32 exec_lo, exec_lo, s16
.LBB233_1094:                           ;   in Loop: Header=BB233_806 Depth=1
	s_or_b32 exec_lo, exec_lo, s15
.LBB233_1095:                           ;   in Loop: Header=BB233_806 Depth=1
	s_or_b32 exec_lo, exec_lo, s13
	v_mov_b32_e32 v23, 0
	v_mov_b32_e32 v20, 0
	v_and_b32_sdwa v6, v12, v83 dst_sel:DWORD dst_unused:UNUSED_PAD src0_sel:WORD_1 src1_sel:DWORD
	v_mov_b32_e32 v24, 0
	v_mov_b32_e32 v21, 0
	s_mov_b32 s13, exec_lo
	v_cmpx_ne_u16_e32 0, v6
	s_cbranch_execz .LBB233_1103
; %bb.1096:                             ;   in Loop: Header=BB233_806 Depth=1
	v_bfrev_b32_e32 v20, 1
	v_mov_b32_e32 v21, 0
	s_mov_b32 s15, exec_lo
	v_cmpx_ne_u16_e32 0x80, v6
	s_cbranch_execz .LBB233_1102
; %bb.1097:                             ;   in Loop: Header=BB233_806 Depth=1
	v_mov_b32_e32 v20, 0x7f800001
	v_bfe_u32 v10, v12, 16, 7
	v_mov_b32_e32 v21, 0
	s_mov_b32 s16, exec_lo
	v_cmpx_ne_u32_e32 0x7f, v10
	s_cbranch_execz .LBB233_1101
; %bb.1098:                             ;   in Loop: Header=BB233_806 Depth=1
	v_mov_b32_e32 v6, 7
	v_lshrrev_b32_e32 v8, 3, v10
	s_mov_b32 s17, exec_lo
	v_and_b32_sdwa v6, v12, v6 dst_sel:DWORD dst_unused:UNUSED_PAD src0_sel:WORD_1 src1_sel:DWORD
	v_cmpx_gt_u32_e32 8, v10
; %bb.1099:                             ;   in Loop: Header=BB233_806 Depth=1
	v_ffbh_u32_e32 v8, v6
	v_min_u32_e32 v8, 32, v8
	v_subrev_nc_u32_e32 v10, 28, v8
	v_sub_nc_u32_e32 v8, 29, v8
	v_lshlrev_b64 v[20:21], v10, v[6:7]
	v_and_b32_e32 v6, 7, v20
; %bb.1100:                             ;   in Loop: Header=BB233_806 Depth=1
	s_or_b32 exec_lo, exec_lo, s17
	v_mov_b32_e32 v10, 24
	v_lshlrev_b32_e32 v6, 20, v6
	v_lshl_add_u32 v8, v8, 23, 0x3c000000
	v_lshlrev_b32_sdwa v10, v10, v12 dst_sel:DWORD dst_unused:UNUSED_PAD src0_sel:DWORD src1_sel:WORD_1
	v_and_b32_e32 v10, 0x80000000, v10
	v_or3_b32 v6, v6, v10, v8
	v_mov_b32_e32 v21, v7
	v_mov_b32_e32 v20, v6
.LBB233_1101:                           ;   in Loop: Header=BB233_806 Depth=1
	s_or_b32 exec_lo, exec_lo, s16
.LBB233_1102:                           ;   in Loop: Header=BB233_806 Depth=1
	s_or_b32 exec_lo, exec_lo, s15
.LBB233_1103:                           ;   in Loop: Header=BB233_806 Depth=1
	s_or_b32 exec_lo, exec_lo, s13
	s_mov_b32 s13, exec_lo
	v_cmpx_lt_u32_e32 0xffffff, v12
	s_cbranch_execz .LBB233_1111
; %bb.1104:                             ;   in Loop: Header=BB233_806 Depth=1
	v_mov_b32_e32 v8, v7
	v_mov_b32_e32 v24, v9
	v_cmp_ne_u32_sdwa s4, v12, v81 src0_sel:BYTE_3 src1_sel:DWORD
	v_mov_b32_e32 v23, v8
	s_and_saveexec_b32 s15, s4
	s_cbranch_execz .LBB233_1110
; %bb.1105:                             ;   in Loop: Header=BB233_806 Depth=1
	v_mov_b32_e32 v10, v7
	v_mov_b32_e32 v24, v11
	v_bfe_u32 v13, v12, 24, 7
	s_mov_b32 s16, exec_lo
	v_mov_b32_e32 v23, v10
	v_cmpx_ne_u32_e32 0x7f, v13
	s_cbranch_execz .LBB233_1109
; %bb.1106:                             ;   in Loop: Header=BB233_806 Depth=1
	v_mov_b32_e32 v6, 7
	v_lshrrev_b32_e32 v8, 3, v13
	s_mov_b32 s17, exec_lo
	v_and_b32_sdwa v6, v12, v6 dst_sel:DWORD dst_unused:UNUSED_PAD src0_sel:BYTE_3 src1_sel:DWORD
	v_cmpx_gt_u32_e32 8, v13
; %bb.1107:                             ;   in Loop: Header=BB233_806 Depth=1
	v_ffbh_u32_e32 v8, v6
	v_min_u32_e32 v8, 32, v8
	v_subrev_nc_u32_e32 v10, 28, v8
	v_sub_nc_u32_e32 v8, 29, v8
	v_lshlrev_b64 v[23:24], v10, v[6:7]
	v_and_b32_e32 v6, 7, v23
; %bb.1108:                             ;   in Loop: Header=BB233_806 Depth=1
	s_or_b32 exec_lo, exec_lo, s17
	v_mov_b32_e32 v10, 24
	v_lshlrev_b32_e32 v6, 20, v6
	v_lshl_add_u32 v8, v8, 23, 0x3c000000
	v_mov_b32_e32 v23, v7
	v_lshlrev_b32_sdwa v10, v10, v12 dst_sel:DWORD dst_unused:UNUSED_PAD src0_sel:DWORD src1_sel:BYTE_3
	v_and_b32_e32 v10, 0x80000000, v10
	v_or3_b32 v24, v6, v10, v8
.LBB233_1109:                           ;   in Loop: Header=BB233_806 Depth=1
	s_or_b32 exec_lo, exec_lo, s16
.LBB233_1110:                           ;   in Loop: Header=BB233_806 Depth=1
	s_or_b32 exec_lo, exec_lo, s15
.LBB233_1111:                           ;   in Loop: Header=BB233_806 Depth=1
	s_or_b32 exec_lo, exec_lo, s13
	v_or_b32_e32 v6, v19, v17
	v_or_b32_e32 v8, v18, v16
	;; [unrolled: 1-line block ×4, first 2 shown]
	v_mul_f32_e32 v89, v27, v6
	v_mul_f32_e32 v88, v27, v8
	;; [unrolled: 1-line block ×4, first 2 shown]
	s_and_saveexec_b32 s13, vcc_lo
	s_cbranch_execz .LBB233_1113
; %bb.1112:                             ;   in Loop: Header=BB233_806 Depth=1
	v_cmp_lt_i32_e64 s4, v101, v38
	v_cndmask_b32_e64 v88, 0, v88, s4
	v_cmp_lt_i32_e64 s4, v112, v38
	v_cndmask_b32_e64 v89, 0, v89, s4
	;; [unrolled: 2-line block ×4, first 2 shown]
.LBB233_1113:                           ;   in Loop: Header=BB233_806 Depth=1
	s_or_b32 exec_lo, exec_lo, s13
	flat_load_dword v12, v[4:5] offset:1152
	v_mov_b32_e32 v18, 0
	v_mov_b32_e32 v16, 0
	v_mov_b32_e32 v19, 0
	v_mov_b32_e32 v17, 0
	s_waitcnt vmcnt(0) lgkmcnt(0)
	v_cmp_ne_u16_sdwa s4, v12, v7 src0_sel:BYTE_0 src1_sel:DWORD
	s_and_saveexec_b32 s13, s4
	s_cbranch_execz .LBB233_1121
; %bb.1114:                             ;   in Loop: Header=BB233_806 Depth=1
	v_bfrev_b32_e32 v16, 1
	v_mov_b32_e32 v17, 0
	v_cmp_ne_u16_sdwa s4, v12, v81 src0_sel:BYTE_0 src1_sel:DWORD
	s_and_saveexec_b32 s15, s4
	s_cbranch_execz .LBB233_1120
; %bb.1115:                             ;   in Loop: Header=BB233_806 Depth=1
	v_mov_b32_e32 v16, 0x7f800001
	v_and_b32_e32 v10, 0x7f, v12
	v_mov_b32_e32 v17, 0
	s_mov_b32 s16, exec_lo
	v_cmpx_ne_u32_e32 0x7f, v10
	s_cbranch_execz .LBB233_1119
; %bb.1116:                             ;   in Loop: Header=BB233_806 Depth=1
	v_and_b32_e32 v6, 7, v12
	v_lshrrev_b32_e32 v8, 3, v10
	s_mov_b32 s17, exec_lo
	v_cmpx_gt_u32_e32 8, v10
; %bb.1117:                             ;   in Loop: Header=BB233_806 Depth=1
	v_ffbh_u32_e32 v8, v6
	v_min_u32_e32 v8, 32, v8
	v_subrev_nc_u32_e32 v10, 28, v8
	v_sub_nc_u32_e32 v8, 29, v8
	v_lshlrev_b64 v[16:17], v10, v[6:7]
	v_and_b32_e32 v6, 7, v16
; %bb.1118:                             ;   in Loop: Header=BB233_806 Depth=1
	s_or_b32 exec_lo, exec_lo, s17
	v_lshlrev_b32_e32 v10, 24, v12
	v_lshlrev_b32_e32 v6, 20, v6
	v_lshl_add_u32 v8, v8, 23, 0x3c000000
	v_and_b32_e32 v10, 0x80000000, v10
	v_or3_b32 v6, v6, v10, v8
	v_mov_b32_e32 v17, v7
	v_mov_b32_e32 v16, v6
.LBB233_1119:                           ;   in Loop: Header=BB233_806 Depth=1
	s_or_b32 exec_lo, exec_lo, s16
.LBB233_1120:                           ;   in Loop: Header=BB233_806 Depth=1
	s_or_b32 exec_lo, exec_lo, s15
.LBB233_1121:                           ;   in Loop: Header=BB233_806 Depth=1
	s_or_b32 exec_lo, exec_lo, s13
	v_cmp_ne_u16_sdwa s4, v12, v7 src0_sel:BYTE_1 src1_sel:DWORD
	s_and_saveexec_b32 s13, s4
	s_cbranch_execz .LBB233_1129
; %bb.1122:                             ;   in Loop: Header=BB233_806 Depth=1
	v_mov_b32_e32 v8, v7
	v_mov_b32_e32 v19, v9
	v_cmp_ne_u16_sdwa s4, v12, v81 src0_sel:BYTE_1 src1_sel:DWORD
	v_mov_b32_e32 v18, v8
	s_and_saveexec_b32 s15, s4
	s_cbranch_execz .LBB233_1128
; %bb.1123:                             ;   in Loop: Header=BB233_806 Depth=1
	v_mov_b32_e32 v6, 0xffff
	v_mov_b32_e32 v10, v7
	;; [unrolled: 1-line block ×3, first 2 shown]
	s_mov_b32 s16, exec_lo
	v_and_b32_sdwa v6, v6, v12 dst_sel:DWORD dst_unused:UNUSED_PAD src0_sel:DWORD src1_sel:BYTE_1
	v_mov_b32_e32 v18, v10
	v_and_b32_e32 v13, 0x7f, v6
	v_cmpx_ne_u32_e32 0x7f, v13
	s_cbranch_execz .LBB233_1127
; %bb.1124:                             ;   in Loop: Header=BB233_806 Depth=1
	v_and_b32_e32 v6, 7, v6
	v_lshrrev_b32_e32 v8, 3, v13
	s_mov_b32 s17, exec_lo
	v_cmpx_gt_u32_e32 8, v13
; %bb.1125:                             ;   in Loop: Header=BB233_806 Depth=1
	v_ffbh_u32_e32 v8, v6
	v_min_u32_e32 v8, 32, v8
	v_subrev_nc_u32_e32 v10, 28, v8
	v_sub_nc_u32_e32 v8, 29, v8
	v_lshlrev_b64 v[18:19], v10, v[6:7]
	v_and_b32_e32 v6, 7, v18
; %bb.1126:                             ;   in Loop: Header=BB233_806 Depth=1
	s_or_b32 exec_lo, exec_lo, s17
	v_lshlrev_b32_e32 v10, 16, v12
	v_lshlrev_b32_e32 v6, 20, v6
	v_lshl_add_u32 v8, v8, 23, 0x3c000000
	v_mov_b32_e32 v18, v7
	v_and_b32_e32 v10, 0x80000000, v10
	v_or3_b32 v19, v6, v10, v8
.LBB233_1127:                           ;   in Loop: Header=BB233_806 Depth=1
	s_or_b32 exec_lo, exec_lo, s16
.LBB233_1128:                           ;   in Loop: Header=BB233_806 Depth=1
	s_or_b32 exec_lo, exec_lo, s15
.LBB233_1129:                           ;   in Loop: Header=BB233_806 Depth=1
	s_or_b32 exec_lo, exec_lo, s13
	v_mov_b32_e32 v23, 0
	v_mov_b32_e32 v20, 0
	v_and_b32_sdwa v6, v12, v83 dst_sel:DWORD dst_unused:UNUSED_PAD src0_sel:WORD_1 src1_sel:DWORD
	v_mov_b32_e32 v24, 0
	v_mov_b32_e32 v21, 0
	s_mov_b32 s13, exec_lo
	v_cmpx_ne_u16_e32 0, v6
	s_cbranch_execz .LBB233_1137
; %bb.1130:                             ;   in Loop: Header=BB233_806 Depth=1
	v_bfrev_b32_e32 v20, 1
	v_mov_b32_e32 v21, 0
	s_mov_b32 s15, exec_lo
	v_cmpx_ne_u16_e32 0x80, v6
	s_cbranch_execz .LBB233_1136
; %bb.1131:                             ;   in Loop: Header=BB233_806 Depth=1
	v_mov_b32_e32 v20, 0x7f800001
	v_bfe_u32 v10, v12, 16, 7
	v_mov_b32_e32 v21, 0
	s_mov_b32 s16, exec_lo
	v_cmpx_ne_u32_e32 0x7f, v10
	s_cbranch_execz .LBB233_1135
; %bb.1132:                             ;   in Loop: Header=BB233_806 Depth=1
	v_mov_b32_e32 v6, 7
	v_lshrrev_b32_e32 v8, 3, v10
	s_mov_b32 s17, exec_lo
	v_and_b32_sdwa v6, v12, v6 dst_sel:DWORD dst_unused:UNUSED_PAD src0_sel:WORD_1 src1_sel:DWORD
	v_cmpx_gt_u32_e32 8, v10
; %bb.1133:                             ;   in Loop: Header=BB233_806 Depth=1
	v_ffbh_u32_e32 v8, v6
	v_min_u32_e32 v8, 32, v8
	v_subrev_nc_u32_e32 v10, 28, v8
	v_sub_nc_u32_e32 v8, 29, v8
	v_lshlrev_b64 v[20:21], v10, v[6:7]
	v_and_b32_e32 v6, 7, v20
; %bb.1134:                             ;   in Loop: Header=BB233_806 Depth=1
	s_or_b32 exec_lo, exec_lo, s17
	v_mov_b32_e32 v10, 24
	v_lshlrev_b32_e32 v6, 20, v6
	v_lshl_add_u32 v8, v8, 23, 0x3c000000
	v_lshlrev_b32_sdwa v10, v10, v12 dst_sel:DWORD dst_unused:UNUSED_PAD src0_sel:DWORD src1_sel:WORD_1
	v_and_b32_e32 v10, 0x80000000, v10
	v_or3_b32 v6, v6, v10, v8
	v_mov_b32_e32 v21, v7
	v_mov_b32_e32 v20, v6
.LBB233_1135:                           ;   in Loop: Header=BB233_806 Depth=1
	s_or_b32 exec_lo, exec_lo, s16
.LBB233_1136:                           ;   in Loop: Header=BB233_806 Depth=1
	s_or_b32 exec_lo, exec_lo, s15
.LBB233_1137:                           ;   in Loop: Header=BB233_806 Depth=1
	s_or_b32 exec_lo, exec_lo, s13
	s_mov_b32 s13, exec_lo
	v_cmpx_lt_u32_e32 0xffffff, v12
	s_cbranch_execz .LBB233_1145
; %bb.1138:                             ;   in Loop: Header=BB233_806 Depth=1
	v_mov_b32_e32 v8, v7
	v_mov_b32_e32 v24, v9
	v_cmp_ne_u32_sdwa s4, v12, v81 src0_sel:BYTE_3 src1_sel:DWORD
	v_mov_b32_e32 v23, v8
	s_and_saveexec_b32 s15, s4
	s_cbranch_execz .LBB233_1144
; %bb.1139:                             ;   in Loop: Header=BB233_806 Depth=1
	v_mov_b32_e32 v10, v7
	v_mov_b32_e32 v24, v11
	v_bfe_u32 v13, v12, 24, 7
	s_mov_b32 s16, exec_lo
	v_mov_b32_e32 v23, v10
	v_cmpx_ne_u32_e32 0x7f, v13
	s_cbranch_execz .LBB233_1143
; %bb.1140:                             ;   in Loop: Header=BB233_806 Depth=1
	v_mov_b32_e32 v6, 7
	v_lshrrev_b32_e32 v8, 3, v13
	s_mov_b32 s17, exec_lo
	v_and_b32_sdwa v6, v12, v6 dst_sel:DWORD dst_unused:UNUSED_PAD src0_sel:BYTE_3 src1_sel:DWORD
	v_cmpx_gt_u32_e32 8, v13
; %bb.1141:                             ;   in Loop: Header=BB233_806 Depth=1
	v_ffbh_u32_e32 v8, v6
	v_min_u32_e32 v8, 32, v8
	v_subrev_nc_u32_e32 v10, 28, v8
	v_sub_nc_u32_e32 v8, 29, v8
	v_lshlrev_b64 v[23:24], v10, v[6:7]
	v_and_b32_e32 v6, 7, v23
; %bb.1142:                             ;   in Loop: Header=BB233_806 Depth=1
	s_or_b32 exec_lo, exec_lo, s17
	v_mov_b32_e32 v10, 24
	v_lshlrev_b32_e32 v6, 20, v6
	v_lshl_add_u32 v8, v8, 23, 0x3c000000
	v_mov_b32_e32 v23, v7
	v_lshlrev_b32_sdwa v10, v10, v12 dst_sel:DWORD dst_unused:UNUSED_PAD src0_sel:DWORD src1_sel:BYTE_3
	v_and_b32_e32 v10, 0x80000000, v10
	v_or3_b32 v24, v6, v10, v8
.LBB233_1143:                           ;   in Loop: Header=BB233_806 Depth=1
	s_or_b32 exec_lo, exec_lo, s16
.LBB233_1144:                           ;   in Loop: Header=BB233_806 Depth=1
	s_or_b32 exec_lo, exec_lo, s15
.LBB233_1145:                           ;   in Loop: Header=BB233_806 Depth=1
	s_or_b32 exec_lo, exec_lo, s13
	v_or_b32_e32 v6, v19, v17
	v_or_b32_e32 v8, v18, v16
	;; [unrolled: 1-line block ×4, first 2 shown]
	v_mul_f32_e32 v93, v27, v6
	v_mul_f32_e32 v92, v27, v8
	;; [unrolled: 1-line block ×4, first 2 shown]
	s_and_saveexec_b32 s13, vcc_lo
	s_cbranch_execz .LBB233_1147
; %bb.1146:                             ;   in Loop: Header=BB233_806 Depth=1
	v_cmp_lt_i32_e64 s4, v101, v38
	v_cndmask_b32_e64 v92, 0, v92, s4
	v_cmp_lt_i32_e64 s4, v112, v38
	v_cndmask_b32_e64 v93, 0, v93, s4
	;; [unrolled: 2-line block ×4, first 2 shown]
.LBB233_1147:                           ;   in Loop: Header=BB233_806 Depth=1
	s_or_b32 exec_lo, exec_lo, s13
	flat_load_dword v12, v[4:5] offset:1280
	v_mov_b32_e32 v18, 0
	v_mov_b32_e32 v16, 0
	;; [unrolled: 1-line block ×4, first 2 shown]
	s_waitcnt vmcnt(0) lgkmcnt(0)
	v_cmp_ne_u16_sdwa s4, v12, v7 src0_sel:BYTE_0 src1_sel:DWORD
	s_and_saveexec_b32 s13, s4
	s_cbranch_execz .LBB233_1155
; %bb.1148:                             ;   in Loop: Header=BB233_806 Depth=1
	v_bfrev_b32_e32 v16, 1
	v_mov_b32_e32 v17, 0
	v_cmp_ne_u16_sdwa s4, v12, v81 src0_sel:BYTE_0 src1_sel:DWORD
	s_and_saveexec_b32 s15, s4
	s_cbranch_execz .LBB233_1154
; %bb.1149:                             ;   in Loop: Header=BB233_806 Depth=1
	v_mov_b32_e32 v16, 0x7f800001
	v_and_b32_e32 v10, 0x7f, v12
	v_mov_b32_e32 v17, 0
	s_mov_b32 s16, exec_lo
	v_cmpx_ne_u32_e32 0x7f, v10
	s_cbranch_execz .LBB233_1153
; %bb.1150:                             ;   in Loop: Header=BB233_806 Depth=1
	v_and_b32_e32 v6, 7, v12
	v_lshrrev_b32_e32 v8, 3, v10
	s_mov_b32 s17, exec_lo
	v_cmpx_gt_u32_e32 8, v10
; %bb.1151:                             ;   in Loop: Header=BB233_806 Depth=1
	v_ffbh_u32_e32 v8, v6
	v_min_u32_e32 v8, 32, v8
	v_subrev_nc_u32_e32 v10, 28, v8
	v_sub_nc_u32_e32 v8, 29, v8
	v_lshlrev_b64 v[16:17], v10, v[6:7]
	v_and_b32_e32 v6, 7, v16
; %bb.1152:                             ;   in Loop: Header=BB233_806 Depth=1
	s_or_b32 exec_lo, exec_lo, s17
	v_lshlrev_b32_e32 v10, 24, v12
	v_lshlrev_b32_e32 v6, 20, v6
	v_lshl_add_u32 v8, v8, 23, 0x3c000000
	v_and_b32_e32 v10, 0x80000000, v10
	v_or3_b32 v6, v6, v10, v8
	v_mov_b32_e32 v17, v7
	v_mov_b32_e32 v16, v6
.LBB233_1153:                           ;   in Loop: Header=BB233_806 Depth=1
	s_or_b32 exec_lo, exec_lo, s16
.LBB233_1154:                           ;   in Loop: Header=BB233_806 Depth=1
	s_or_b32 exec_lo, exec_lo, s15
.LBB233_1155:                           ;   in Loop: Header=BB233_806 Depth=1
	s_or_b32 exec_lo, exec_lo, s13
	v_cmp_ne_u16_sdwa s4, v12, v7 src0_sel:BYTE_1 src1_sel:DWORD
	s_and_saveexec_b32 s13, s4
	s_cbranch_execz .LBB233_1163
; %bb.1156:                             ;   in Loop: Header=BB233_806 Depth=1
	v_mov_b32_e32 v8, v7
	v_mov_b32_e32 v19, v9
	v_cmp_ne_u16_sdwa s4, v12, v81 src0_sel:BYTE_1 src1_sel:DWORD
	v_mov_b32_e32 v18, v8
	s_and_saveexec_b32 s15, s4
	s_cbranch_execz .LBB233_1162
; %bb.1157:                             ;   in Loop: Header=BB233_806 Depth=1
	v_mov_b32_e32 v6, 0xffff
	v_mov_b32_e32 v10, v7
	;; [unrolled: 1-line block ×3, first 2 shown]
	s_mov_b32 s16, exec_lo
	v_and_b32_sdwa v6, v6, v12 dst_sel:DWORD dst_unused:UNUSED_PAD src0_sel:DWORD src1_sel:BYTE_1
	v_mov_b32_e32 v18, v10
	v_and_b32_e32 v13, 0x7f, v6
	v_cmpx_ne_u32_e32 0x7f, v13
	s_cbranch_execz .LBB233_1161
; %bb.1158:                             ;   in Loop: Header=BB233_806 Depth=1
	v_and_b32_e32 v6, 7, v6
	v_lshrrev_b32_e32 v8, 3, v13
	s_mov_b32 s17, exec_lo
	v_cmpx_gt_u32_e32 8, v13
; %bb.1159:                             ;   in Loop: Header=BB233_806 Depth=1
	v_ffbh_u32_e32 v8, v6
	v_min_u32_e32 v8, 32, v8
	v_subrev_nc_u32_e32 v10, 28, v8
	v_sub_nc_u32_e32 v8, 29, v8
	v_lshlrev_b64 v[18:19], v10, v[6:7]
	v_and_b32_e32 v6, 7, v18
; %bb.1160:                             ;   in Loop: Header=BB233_806 Depth=1
	s_or_b32 exec_lo, exec_lo, s17
	v_lshlrev_b32_e32 v10, 16, v12
	v_lshlrev_b32_e32 v6, 20, v6
	v_lshl_add_u32 v8, v8, 23, 0x3c000000
	v_mov_b32_e32 v18, v7
	v_and_b32_e32 v10, 0x80000000, v10
	v_or3_b32 v19, v6, v10, v8
.LBB233_1161:                           ;   in Loop: Header=BB233_806 Depth=1
	s_or_b32 exec_lo, exec_lo, s16
.LBB233_1162:                           ;   in Loop: Header=BB233_806 Depth=1
	s_or_b32 exec_lo, exec_lo, s15
.LBB233_1163:                           ;   in Loop: Header=BB233_806 Depth=1
	s_or_b32 exec_lo, exec_lo, s13
	v_mov_b32_e32 v23, 0
	v_mov_b32_e32 v20, 0
	v_and_b32_sdwa v6, v12, v83 dst_sel:DWORD dst_unused:UNUSED_PAD src0_sel:WORD_1 src1_sel:DWORD
	v_mov_b32_e32 v24, 0
	v_mov_b32_e32 v21, 0
	s_mov_b32 s13, exec_lo
	v_cmpx_ne_u16_e32 0, v6
	s_cbranch_execz .LBB233_1171
; %bb.1164:                             ;   in Loop: Header=BB233_806 Depth=1
	v_bfrev_b32_e32 v20, 1
	v_mov_b32_e32 v21, 0
	s_mov_b32 s15, exec_lo
	v_cmpx_ne_u16_e32 0x80, v6
	s_cbranch_execz .LBB233_1170
; %bb.1165:                             ;   in Loop: Header=BB233_806 Depth=1
	v_mov_b32_e32 v20, 0x7f800001
	v_bfe_u32 v10, v12, 16, 7
	v_mov_b32_e32 v21, 0
	s_mov_b32 s16, exec_lo
	v_cmpx_ne_u32_e32 0x7f, v10
	s_cbranch_execz .LBB233_1169
; %bb.1166:                             ;   in Loop: Header=BB233_806 Depth=1
	v_mov_b32_e32 v6, 7
	v_lshrrev_b32_e32 v8, 3, v10
	s_mov_b32 s17, exec_lo
	v_and_b32_sdwa v6, v12, v6 dst_sel:DWORD dst_unused:UNUSED_PAD src0_sel:WORD_1 src1_sel:DWORD
	v_cmpx_gt_u32_e32 8, v10
; %bb.1167:                             ;   in Loop: Header=BB233_806 Depth=1
	v_ffbh_u32_e32 v8, v6
	v_min_u32_e32 v8, 32, v8
	v_subrev_nc_u32_e32 v10, 28, v8
	v_sub_nc_u32_e32 v8, 29, v8
	v_lshlrev_b64 v[20:21], v10, v[6:7]
	v_and_b32_e32 v6, 7, v20
; %bb.1168:                             ;   in Loop: Header=BB233_806 Depth=1
	s_or_b32 exec_lo, exec_lo, s17
	v_mov_b32_e32 v10, 24
	v_lshlrev_b32_e32 v6, 20, v6
	v_lshl_add_u32 v8, v8, 23, 0x3c000000
	v_lshlrev_b32_sdwa v10, v10, v12 dst_sel:DWORD dst_unused:UNUSED_PAD src0_sel:DWORD src1_sel:WORD_1
	v_and_b32_e32 v10, 0x80000000, v10
	v_or3_b32 v6, v6, v10, v8
	v_mov_b32_e32 v21, v7
	v_mov_b32_e32 v20, v6
.LBB233_1169:                           ;   in Loop: Header=BB233_806 Depth=1
	s_or_b32 exec_lo, exec_lo, s16
.LBB233_1170:                           ;   in Loop: Header=BB233_806 Depth=1
	s_or_b32 exec_lo, exec_lo, s15
.LBB233_1171:                           ;   in Loop: Header=BB233_806 Depth=1
	s_or_b32 exec_lo, exec_lo, s13
	s_mov_b32 s13, exec_lo
	v_cmpx_lt_u32_e32 0xffffff, v12
	s_cbranch_execz .LBB233_1179
; %bb.1172:                             ;   in Loop: Header=BB233_806 Depth=1
	v_mov_b32_e32 v8, v7
	v_mov_b32_e32 v24, v9
	v_cmp_ne_u32_sdwa s4, v12, v81 src0_sel:BYTE_3 src1_sel:DWORD
	v_mov_b32_e32 v23, v8
	s_and_saveexec_b32 s15, s4
	s_cbranch_execz .LBB233_1178
; %bb.1173:                             ;   in Loop: Header=BB233_806 Depth=1
	v_mov_b32_e32 v10, v7
	v_mov_b32_e32 v24, v11
	v_bfe_u32 v13, v12, 24, 7
	s_mov_b32 s16, exec_lo
	v_mov_b32_e32 v23, v10
	v_cmpx_ne_u32_e32 0x7f, v13
	s_cbranch_execz .LBB233_1177
; %bb.1174:                             ;   in Loop: Header=BB233_806 Depth=1
	v_mov_b32_e32 v6, 7
	v_lshrrev_b32_e32 v8, 3, v13
	s_mov_b32 s17, exec_lo
	v_and_b32_sdwa v6, v12, v6 dst_sel:DWORD dst_unused:UNUSED_PAD src0_sel:BYTE_3 src1_sel:DWORD
	v_cmpx_gt_u32_e32 8, v13
; %bb.1175:                             ;   in Loop: Header=BB233_806 Depth=1
	v_ffbh_u32_e32 v8, v6
	v_min_u32_e32 v8, 32, v8
	v_subrev_nc_u32_e32 v10, 28, v8
	v_sub_nc_u32_e32 v8, 29, v8
	v_lshlrev_b64 v[23:24], v10, v[6:7]
	v_and_b32_e32 v6, 7, v23
; %bb.1176:                             ;   in Loop: Header=BB233_806 Depth=1
	s_or_b32 exec_lo, exec_lo, s17
	v_mov_b32_e32 v10, 24
	v_lshlrev_b32_e32 v6, 20, v6
	v_lshl_add_u32 v8, v8, 23, 0x3c000000
	v_mov_b32_e32 v23, v7
	v_lshlrev_b32_sdwa v10, v10, v12 dst_sel:DWORD dst_unused:UNUSED_PAD src0_sel:DWORD src1_sel:BYTE_3
	v_and_b32_e32 v10, 0x80000000, v10
	v_or3_b32 v24, v6, v10, v8
.LBB233_1177:                           ;   in Loop: Header=BB233_806 Depth=1
	s_or_b32 exec_lo, exec_lo, s16
.LBB233_1178:                           ;   in Loop: Header=BB233_806 Depth=1
	s_or_b32 exec_lo, exec_lo, s15
.LBB233_1179:                           ;   in Loop: Header=BB233_806 Depth=1
	s_or_b32 exec_lo, exec_lo, s13
	v_or_b32_e32 v6, v19, v17
	v_or_b32_e32 v8, v18, v16
	;; [unrolled: 1-line block ×4, first 2 shown]
	v_mul_f32_e32 v105, v27, v6
	v_mul_f32_e32 v104, v27, v8
	;; [unrolled: 1-line block ×4, first 2 shown]
	s_and_saveexec_b32 s13, vcc_lo
	s_cbranch_execz .LBB233_1181
; %bb.1180:                             ;   in Loop: Header=BB233_806 Depth=1
	v_cmp_lt_i32_e64 s4, v101, v38
	v_cndmask_b32_e64 v104, 0, v104, s4
	v_cmp_lt_i32_e64 s4, v112, v38
	v_cndmask_b32_e64 v105, 0, v105, s4
	;; [unrolled: 2-line block ×4, first 2 shown]
.LBB233_1181:                           ;   in Loop: Header=BB233_806 Depth=1
	s_or_b32 exec_lo, exec_lo, s13
	flat_load_dword v12, v[4:5] offset:1408
	v_mov_b32_e32 v18, 0
	v_mov_b32_e32 v16, 0
	;; [unrolled: 1-line block ×4, first 2 shown]
	s_waitcnt vmcnt(0) lgkmcnt(0)
	v_cmp_ne_u16_sdwa s4, v12, v7 src0_sel:BYTE_0 src1_sel:DWORD
	s_and_saveexec_b32 s13, s4
	s_cbranch_execz .LBB233_1189
; %bb.1182:                             ;   in Loop: Header=BB233_806 Depth=1
	v_bfrev_b32_e32 v16, 1
	v_mov_b32_e32 v17, 0
	v_cmp_ne_u16_sdwa s4, v12, v81 src0_sel:BYTE_0 src1_sel:DWORD
	s_and_saveexec_b32 s15, s4
	s_cbranch_execz .LBB233_1188
; %bb.1183:                             ;   in Loop: Header=BB233_806 Depth=1
	v_mov_b32_e32 v16, 0x7f800001
	v_and_b32_e32 v10, 0x7f, v12
	v_mov_b32_e32 v17, 0
	s_mov_b32 s16, exec_lo
	v_cmpx_ne_u32_e32 0x7f, v10
	s_cbranch_execz .LBB233_1187
; %bb.1184:                             ;   in Loop: Header=BB233_806 Depth=1
	v_and_b32_e32 v6, 7, v12
	v_lshrrev_b32_e32 v8, 3, v10
	s_mov_b32 s17, exec_lo
	v_cmpx_gt_u32_e32 8, v10
; %bb.1185:                             ;   in Loop: Header=BB233_806 Depth=1
	v_ffbh_u32_e32 v8, v6
	v_min_u32_e32 v8, 32, v8
	v_subrev_nc_u32_e32 v10, 28, v8
	v_sub_nc_u32_e32 v8, 29, v8
	v_lshlrev_b64 v[16:17], v10, v[6:7]
	v_and_b32_e32 v6, 7, v16
; %bb.1186:                             ;   in Loop: Header=BB233_806 Depth=1
	s_or_b32 exec_lo, exec_lo, s17
	v_lshlrev_b32_e32 v10, 24, v12
	v_lshlrev_b32_e32 v6, 20, v6
	v_lshl_add_u32 v8, v8, 23, 0x3c000000
	v_and_b32_e32 v10, 0x80000000, v10
	v_or3_b32 v6, v6, v10, v8
	v_mov_b32_e32 v17, v7
	v_mov_b32_e32 v16, v6
.LBB233_1187:                           ;   in Loop: Header=BB233_806 Depth=1
	s_or_b32 exec_lo, exec_lo, s16
.LBB233_1188:                           ;   in Loop: Header=BB233_806 Depth=1
	s_or_b32 exec_lo, exec_lo, s15
.LBB233_1189:                           ;   in Loop: Header=BB233_806 Depth=1
	s_or_b32 exec_lo, exec_lo, s13
	v_cmp_ne_u16_sdwa s4, v12, v7 src0_sel:BYTE_1 src1_sel:DWORD
	s_and_saveexec_b32 s13, s4
	s_cbranch_execz .LBB233_1197
; %bb.1190:                             ;   in Loop: Header=BB233_806 Depth=1
	v_mov_b32_e32 v8, v7
	v_mov_b32_e32 v19, v9
	v_cmp_ne_u16_sdwa s4, v12, v81 src0_sel:BYTE_1 src1_sel:DWORD
	v_mov_b32_e32 v18, v8
	s_and_saveexec_b32 s15, s4
	s_cbranch_execz .LBB233_1196
; %bb.1191:                             ;   in Loop: Header=BB233_806 Depth=1
	v_mov_b32_e32 v6, 0xffff
	v_mov_b32_e32 v10, v7
	;; [unrolled: 1-line block ×3, first 2 shown]
	s_mov_b32 s16, exec_lo
	v_and_b32_sdwa v6, v6, v12 dst_sel:DWORD dst_unused:UNUSED_PAD src0_sel:DWORD src1_sel:BYTE_1
	v_mov_b32_e32 v18, v10
	v_and_b32_e32 v13, 0x7f, v6
	v_cmpx_ne_u32_e32 0x7f, v13
	s_cbranch_execz .LBB233_1195
; %bb.1192:                             ;   in Loop: Header=BB233_806 Depth=1
	v_and_b32_e32 v6, 7, v6
	v_lshrrev_b32_e32 v8, 3, v13
	s_mov_b32 s17, exec_lo
	v_cmpx_gt_u32_e32 8, v13
; %bb.1193:                             ;   in Loop: Header=BB233_806 Depth=1
	v_ffbh_u32_e32 v8, v6
	v_min_u32_e32 v8, 32, v8
	v_subrev_nc_u32_e32 v10, 28, v8
	v_sub_nc_u32_e32 v8, 29, v8
	v_lshlrev_b64 v[18:19], v10, v[6:7]
	v_and_b32_e32 v6, 7, v18
; %bb.1194:                             ;   in Loop: Header=BB233_806 Depth=1
	s_or_b32 exec_lo, exec_lo, s17
	v_lshlrev_b32_e32 v10, 16, v12
	v_lshlrev_b32_e32 v6, 20, v6
	v_lshl_add_u32 v8, v8, 23, 0x3c000000
	v_mov_b32_e32 v18, v7
	v_and_b32_e32 v10, 0x80000000, v10
	v_or3_b32 v19, v6, v10, v8
.LBB233_1195:                           ;   in Loop: Header=BB233_806 Depth=1
	s_or_b32 exec_lo, exec_lo, s16
.LBB233_1196:                           ;   in Loop: Header=BB233_806 Depth=1
	s_or_b32 exec_lo, exec_lo, s15
.LBB233_1197:                           ;   in Loop: Header=BB233_806 Depth=1
	s_or_b32 exec_lo, exec_lo, s13
	v_mov_b32_e32 v23, 0
	v_mov_b32_e32 v20, 0
	v_and_b32_sdwa v6, v12, v83 dst_sel:DWORD dst_unused:UNUSED_PAD src0_sel:WORD_1 src1_sel:DWORD
	v_mov_b32_e32 v24, 0
	v_mov_b32_e32 v21, 0
	s_mov_b32 s13, exec_lo
	v_cmpx_ne_u16_e32 0, v6
	s_cbranch_execz .LBB233_1205
; %bb.1198:                             ;   in Loop: Header=BB233_806 Depth=1
	v_bfrev_b32_e32 v20, 1
	v_mov_b32_e32 v21, 0
	s_mov_b32 s15, exec_lo
	v_cmpx_ne_u16_e32 0x80, v6
	s_cbranch_execz .LBB233_1204
; %bb.1199:                             ;   in Loop: Header=BB233_806 Depth=1
	v_mov_b32_e32 v20, 0x7f800001
	v_bfe_u32 v10, v12, 16, 7
	v_mov_b32_e32 v21, 0
	s_mov_b32 s16, exec_lo
	v_cmpx_ne_u32_e32 0x7f, v10
	s_cbranch_execz .LBB233_1203
; %bb.1200:                             ;   in Loop: Header=BB233_806 Depth=1
	v_mov_b32_e32 v6, 7
	v_lshrrev_b32_e32 v8, 3, v10
	s_mov_b32 s17, exec_lo
	v_and_b32_sdwa v6, v12, v6 dst_sel:DWORD dst_unused:UNUSED_PAD src0_sel:WORD_1 src1_sel:DWORD
	v_cmpx_gt_u32_e32 8, v10
; %bb.1201:                             ;   in Loop: Header=BB233_806 Depth=1
	v_ffbh_u32_e32 v8, v6
	v_min_u32_e32 v8, 32, v8
	v_subrev_nc_u32_e32 v10, 28, v8
	v_sub_nc_u32_e32 v8, 29, v8
	v_lshlrev_b64 v[20:21], v10, v[6:7]
	v_and_b32_e32 v6, 7, v20
; %bb.1202:                             ;   in Loop: Header=BB233_806 Depth=1
	s_or_b32 exec_lo, exec_lo, s17
	v_mov_b32_e32 v10, 24
	v_lshlrev_b32_e32 v6, 20, v6
	v_lshl_add_u32 v8, v8, 23, 0x3c000000
	v_lshlrev_b32_sdwa v10, v10, v12 dst_sel:DWORD dst_unused:UNUSED_PAD src0_sel:DWORD src1_sel:WORD_1
	v_and_b32_e32 v10, 0x80000000, v10
	v_or3_b32 v6, v6, v10, v8
	v_mov_b32_e32 v21, v7
	v_mov_b32_e32 v20, v6
.LBB233_1203:                           ;   in Loop: Header=BB233_806 Depth=1
	s_or_b32 exec_lo, exec_lo, s16
.LBB233_1204:                           ;   in Loop: Header=BB233_806 Depth=1
	s_or_b32 exec_lo, exec_lo, s15
.LBB233_1205:                           ;   in Loop: Header=BB233_806 Depth=1
	s_or_b32 exec_lo, exec_lo, s13
	s_mov_b32 s13, exec_lo
	v_cmpx_lt_u32_e32 0xffffff, v12
	s_cbranch_execz .LBB233_1213
; %bb.1206:                             ;   in Loop: Header=BB233_806 Depth=1
	v_mov_b32_e32 v8, v7
	v_mov_b32_e32 v24, v9
	v_cmp_ne_u32_sdwa s4, v12, v81 src0_sel:BYTE_3 src1_sel:DWORD
	v_mov_b32_e32 v23, v8
	s_and_saveexec_b32 s15, s4
	s_cbranch_execz .LBB233_1212
; %bb.1207:                             ;   in Loop: Header=BB233_806 Depth=1
	v_mov_b32_e32 v10, v7
	v_mov_b32_e32 v24, v11
	v_bfe_u32 v13, v12, 24, 7
	s_mov_b32 s16, exec_lo
	v_mov_b32_e32 v23, v10
	v_cmpx_ne_u32_e32 0x7f, v13
	s_cbranch_execz .LBB233_1211
; %bb.1208:                             ;   in Loop: Header=BB233_806 Depth=1
	v_mov_b32_e32 v6, 7
	v_lshrrev_b32_e32 v8, 3, v13
	s_mov_b32 s17, exec_lo
	v_and_b32_sdwa v6, v12, v6 dst_sel:DWORD dst_unused:UNUSED_PAD src0_sel:BYTE_3 src1_sel:DWORD
	v_cmpx_gt_u32_e32 8, v13
; %bb.1209:                             ;   in Loop: Header=BB233_806 Depth=1
	v_ffbh_u32_e32 v8, v6
	v_min_u32_e32 v8, 32, v8
	v_subrev_nc_u32_e32 v10, 28, v8
	v_sub_nc_u32_e32 v8, 29, v8
	v_lshlrev_b64 v[23:24], v10, v[6:7]
	v_and_b32_e32 v6, 7, v23
; %bb.1210:                             ;   in Loop: Header=BB233_806 Depth=1
	s_or_b32 exec_lo, exec_lo, s17
	v_mov_b32_e32 v10, 24
	v_lshlrev_b32_e32 v6, 20, v6
	v_lshl_add_u32 v8, v8, 23, 0x3c000000
	v_mov_b32_e32 v23, v7
	v_lshlrev_b32_sdwa v10, v10, v12 dst_sel:DWORD dst_unused:UNUSED_PAD src0_sel:DWORD src1_sel:BYTE_3
	v_and_b32_e32 v10, 0x80000000, v10
	v_or3_b32 v24, v6, v10, v8
.LBB233_1211:                           ;   in Loop: Header=BB233_806 Depth=1
	s_or_b32 exec_lo, exec_lo, s16
.LBB233_1212:                           ;   in Loop: Header=BB233_806 Depth=1
	s_or_b32 exec_lo, exec_lo, s15
.LBB233_1213:                           ;   in Loop: Header=BB233_806 Depth=1
	s_or_b32 exec_lo, exec_lo, s13
	v_or_b32_e32 v6, v19, v17
	v_or_b32_e32 v8, v18, v16
	;; [unrolled: 1-line block ×4, first 2 shown]
	v_mul_f32_e32 v109, v27, v6
	v_mul_f32_e32 v108, v27, v8
	;; [unrolled: 1-line block ×4, first 2 shown]
	s_and_saveexec_b32 s13, vcc_lo
	s_cbranch_execz .LBB233_1215
; %bb.1214:                             ;   in Loop: Header=BB233_806 Depth=1
	v_cmp_lt_i32_e64 s4, v101, v38
	v_cndmask_b32_e64 v108, 0, v108, s4
	v_cmp_lt_i32_e64 s4, v112, v38
	v_cndmask_b32_e64 v109, 0, v109, s4
	;; [unrolled: 2-line block ×4, first 2 shown]
.LBB233_1215:                           ;   in Loop: Header=BB233_806 Depth=1
	s_or_b32 exec_lo, exec_lo, s13
	flat_load_dword v12, v[4:5] offset:1536
	v_mov_b32_e32 v18, 0
	v_mov_b32_e32 v16, 0
	;; [unrolled: 1-line block ×4, first 2 shown]
	s_waitcnt vmcnt(0) lgkmcnt(0)
	v_cmp_ne_u16_sdwa s4, v12, v7 src0_sel:BYTE_0 src1_sel:DWORD
	s_and_saveexec_b32 s13, s4
	s_cbranch_execz .LBB233_1223
; %bb.1216:                             ;   in Loop: Header=BB233_806 Depth=1
	v_bfrev_b32_e32 v16, 1
	v_mov_b32_e32 v17, 0
	v_cmp_ne_u16_sdwa s4, v12, v81 src0_sel:BYTE_0 src1_sel:DWORD
	s_and_saveexec_b32 s15, s4
	s_cbranch_execz .LBB233_1222
; %bb.1217:                             ;   in Loop: Header=BB233_806 Depth=1
	v_mov_b32_e32 v16, 0x7f800001
	v_and_b32_e32 v10, 0x7f, v12
	v_mov_b32_e32 v17, 0
	s_mov_b32 s16, exec_lo
	v_cmpx_ne_u32_e32 0x7f, v10
	s_cbranch_execz .LBB233_1221
; %bb.1218:                             ;   in Loop: Header=BB233_806 Depth=1
	v_and_b32_e32 v6, 7, v12
	v_lshrrev_b32_e32 v8, 3, v10
	s_mov_b32 s17, exec_lo
	v_cmpx_gt_u32_e32 8, v10
; %bb.1219:                             ;   in Loop: Header=BB233_806 Depth=1
	v_ffbh_u32_e32 v8, v6
	v_min_u32_e32 v8, 32, v8
	v_subrev_nc_u32_e32 v10, 28, v8
	v_sub_nc_u32_e32 v8, 29, v8
	v_lshlrev_b64 v[16:17], v10, v[6:7]
	v_and_b32_e32 v6, 7, v16
; %bb.1220:                             ;   in Loop: Header=BB233_806 Depth=1
	s_or_b32 exec_lo, exec_lo, s17
	v_lshlrev_b32_e32 v10, 24, v12
	v_lshlrev_b32_e32 v6, 20, v6
	v_lshl_add_u32 v8, v8, 23, 0x3c000000
	v_and_b32_e32 v10, 0x80000000, v10
	v_or3_b32 v6, v6, v10, v8
	v_mov_b32_e32 v17, v7
	v_mov_b32_e32 v16, v6
.LBB233_1221:                           ;   in Loop: Header=BB233_806 Depth=1
	s_or_b32 exec_lo, exec_lo, s16
.LBB233_1222:                           ;   in Loop: Header=BB233_806 Depth=1
	s_or_b32 exec_lo, exec_lo, s15
.LBB233_1223:                           ;   in Loop: Header=BB233_806 Depth=1
	s_or_b32 exec_lo, exec_lo, s13
	v_cmp_ne_u16_sdwa s4, v12, v7 src0_sel:BYTE_1 src1_sel:DWORD
	s_and_saveexec_b32 s13, s4
	s_cbranch_execz .LBB233_1231
; %bb.1224:                             ;   in Loop: Header=BB233_806 Depth=1
	v_mov_b32_e32 v8, v7
	v_mov_b32_e32 v19, v9
	v_cmp_ne_u16_sdwa s4, v12, v81 src0_sel:BYTE_1 src1_sel:DWORD
	v_mov_b32_e32 v18, v8
	s_and_saveexec_b32 s15, s4
	s_cbranch_execz .LBB233_1230
; %bb.1225:                             ;   in Loop: Header=BB233_806 Depth=1
	v_mov_b32_e32 v6, 0xffff
	v_mov_b32_e32 v10, v7
	;; [unrolled: 1-line block ×3, first 2 shown]
	s_mov_b32 s16, exec_lo
	v_and_b32_sdwa v6, v6, v12 dst_sel:DWORD dst_unused:UNUSED_PAD src0_sel:DWORD src1_sel:BYTE_1
	v_mov_b32_e32 v18, v10
	v_and_b32_e32 v13, 0x7f, v6
	v_cmpx_ne_u32_e32 0x7f, v13
	s_cbranch_execz .LBB233_1229
; %bb.1226:                             ;   in Loop: Header=BB233_806 Depth=1
	v_and_b32_e32 v6, 7, v6
	v_lshrrev_b32_e32 v8, 3, v13
	s_mov_b32 s17, exec_lo
	v_cmpx_gt_u32_e32 8, v13
; %bb.1227:                             ;   in Loop: Header=BB233_806 Depth=1
	v_ffbh_u32_e32 v8, v6
	v_min_u32_e32 v8, 32, v8
	v_subrev_nc_u32_e32 v10, 28, v8
	v_sub_nc_u32_e32 v8, 29, v8
	v_lshlrev_b64 v[18:19], v10, v[6:7]
	v_and_b32_e32 v6, 7, v18
; %bb.1228:                             ;   in Loop: Header=BB233_806 Depth=1
	s_or_b32 exec_lo, exec_lo, s17
	v_lshlrev_b32_e32 v10, 16, v12
	v_lshlrev_b32_e32 v6, 20, v6
	v_lshl_add_u32 v8, v8, 23, 0x3c000000
	v_mov_b32_e32 v18, v7
	v_and_b32_e32 v10, 0x80000000, v10
	v_or3_b32 v19, v6, v10, v8
.LBB233_1229:                           ;   in Loop: Header=BB233_806 Depth=1
	s_or_b32 exec_lo, exec_lo, s16
.LBB233_1230:                           ;   in Loop: Header=BB233_806 Depth=1
	s_or_b32 exec_lo, exec_lo, s15
.LBB233_1231:                           ;   in Loop: Header=BB233_806 Depth=1
	s_or_b32 exec_lo, exec_lo, s13
	v_mov_b32_e32 v20, 0
	v_mov_b32_e32 v23, 0
	v_and_b32_sdwa v6, v12, v83 dst_sel:DWORD dst_unused:UNUSED_PAD src0_sel:WORD_1 src1_sel:DWORD
	v_mov_b32_e32 v21, 0
	v_mov_b32_e32 v24, 0
	s_mov_b32 s13, exec_lo
	v_cmpx_ne_u16_e32 0, v6
	s_cbranch_execz .LBB233_1239
; %bb.1232:                             ;   in Loop: Header=BB233_806 Depth=1
	v_bfrev_b32_e32 v23, 1
	v_mov_b32_e32 v24, 0
	s_mov_b32 s15, exec_lo
	v_cmpx_ne_u16_e32 0x80, v6
	s_cbranch_execz .LBB233_1238
; %bb.1233:                             ;   in Loop: Header=BB233_806 Depth=1
	v_mov_b32_e32 v23, 0x7f800001
	v_bfe_u32 v10, v12, 16, 7
	v_mov_b32_e32 v24, 0
	s_mov_b32 s16, exec_lo
	v_cmpx_ne_u32_e32 0x7f, v10
	s_cbranch_execz .LBB233_1237
; %bb.1234:                             ;   in Loop: Header=BB233_806 Depth=1
	v_mov_b32_e32 v6, 7
	v_lshrrev_b32_e32 v8, 3, v10
	s_mov_b32 s17, exec_lo
	v_and_b32_sdwa v6, v12, v6 dst_sel:DWORD dst_unused:UNUSED_PAD src0_sel:WORD_1 src1_sel:DWORD
	v_cmpx_gt_u32_e32 8, v10
; %bb.1235:                             ;   in Loop: Header=BB233_806 Depth=1
	v_ffbh_u32_e32 v8, v6
	v_min_u32_e32 v8, 32, v8
	v_subrev_nc_u32_e32 v10, 28, v8
	v_sub_nc_u32_e32 v8, 29, v8
	v_lshlrev_b64 v[23:24], v10, v[6:7]
	v_and_b32_e32 v6, 7, v23
; %bb.1236:                             ;   in Loop: Header=BB233_806 Depth=1
	s_or_b32 exec_lo, exec_lo, s17
	v_mov_b32_e32 v10, 24
	v_lshlrev_b32_e32 v6, 20, v6
	v_lshl_add_u32 v8, v8, 23, 0x3c000000
	v_lshlrev_b32_sdwa v10, v10, v12 dst_sel:DWORD dst_unused:UNUSED_PAD src0_sel:DWORD src1_sel:WORD_1
	v_and_b32_e32 v10, 0x80000000, v10
	v_or3_b32 v6, v6, v10, v8
	v_mov_b32_e32 v24, v7
	v_mov_b32_e32 v23, v6
.LBB233_1237:                           ;   in Loop: Header=BB233_806 Depth=1
	s_or_b32 exec_lo, exec_lo, s16
.LBB233_1238:                           ;   in Loop: Header=BB233_806 Depth=1
	s_or_b32 exec_lo, exec_lo, s15
.LBB233_1239:                           ;   in Loop: Header=BB233_806 Depth=1
	s_or_b32 exec_lo, exec_lo, s13
	s_mov_b32 s13, exec_lo
	v_cmpx_lt_u32_e32 0xffffff, v12
	s_cbranch_execz .LBB233_1247
; %bb.1240:                             ;   in Loop: Header=BB233_806 Depth=1
	v_mov_b32_e32 v8, v7
	v_mov_b32_e32 v21, v9
	v_cmp_ne_u32_sdwa s4, v12, v81 src0_sel:BYTE_3 src1_sel:DWORD
	v_mov_b32_e32 v20, v8
	s_and_saveexec_b32 s15, s4
	s_cbranch_execz .LBB233_1246
; %bb.1241:                             ;   in Loop: Header=BB233_806 Depth=1
	v_mov_b32_e32 v10, v7
	v_mov_b32_e32 v21, v11
	v_bfe_u32 v13, v12, 24, 7
	s_mov_b32 s16, exec_lo
	v_mov_b32_e32 v20, v10
	v_cmpx_ne_u32_e32 0x7f, v13
	s_cbranch_execz .LBB233_1245
; %bb.1242:                             ;   in Loop: Header=BB233_806 Depth=1
	v_mov_b32_e32 v6, 7
	v_lshrrev_b32_e32 v8, 3, v13
	s_mov_b32 s17, exec_lo
	v_and_b32_sdwa v6, v12, v6 dst_sel:DWORD dst_unused:UNUSED_PAD src0_sel:BYTE_3 src1_sel:DWORD
	v_cmpx_gt_u32_e32 8, v13
; %bb.1243:                             ;   in Loop: Header=BB233_806 Depth=1
	v_ffbh_u32_e32 v8, v6
	v_min_u32_e32 v8, 32, v8
	v_subrev_nc_u32_e32 v10, 28, v8
	v_sub_nc_u32_e32 v8, 29, v8
	v_lshlrev_b64 v[20:21], v10, v[6:7]
	v_and_b32_e32 v6, 7, v20
; %bb.1244:                             ;   in Loop: Header=BB233_806 Depth=1
	s_or_b32 exec_lo, exec_lo, s17
	v_mov_b32_e32 v10, 24
	v_lshlrev_b32_e32 v6, 20, v6
	v_lshl_add_u32 v8, v8, 23, 0x3c000000
	v_mov_b32_e32 v20, v7
	v_lshlrev_b32_sdwa v10, v10, v12 dst_sel:DWORD dst_unused:UNUSED_PAD src0_sel:DWORD src1_sel:BYTE_3
	v_and_b32_e32 v10, 0x80000000, v10
	v_or3_b32 v21, v6, v10, v8
.LBB233_1245:                           ;   in Loop: Header=BB233_806 Depth=1
	s_or_b32 exec_lo, exec_lo, s16
.LBB233_1246:                           ;   in Loop: Header=BB233_806 Depth=1
	s_or_b32 exec_lo, exec_lo, s15
.LBB233_1247:                           ;   in Loop: Header=BB233_806 Depth=1
	s_or_b32 exec_lo, exec_lo, s13
	v_or_b32_e32 v6, v19, v17
	v_or_b32_e32 v8, v18, v16
	;; [unrolled: 1-line block ×4, first 2 shown]
	v_mul_f32_e32 v121, v27, v6
	v_mul_f32_e32 v120, v27, v8
	;; [unrolled: 1-line block ×4, first 2 shown]
	s_and_saveexec_b32 s13, vcc_lo
	s_cbranch_execz .LBB233_1249
; %bb.1248:                             ;   in Loop: Header=BB233_806 Depth=1
	v_cmp_lt_i32_e64 s4, v101, v38
	v_cndmask_b32_e64 v120, 0, v120, s4
	v_cmp_lt_i32_e64 s4, v112, v38
	v_cndmask_b32_e64 v121, 0, v121, s4
	;; [unrolled: 2-line block ×4, first 2 shown]
.LBB233_1249:                           ;   in Loop: Header=BB233_806 Depth=1
	s_or_b32 exec_lo, exec_lo, s13
	flat_load_dword v12, v[4:5] offset:1664
	v_mov_b32_e32 v18, 0
	v_mov_b32_e32 v16, 0
	;; [unrolled: 1-line block ×4, first 2 shown]
	s_waitcnt vmcnt(0) lgkmcnt(0)
	v_cmp_ne_u16_sdwa s4, v12, v7 src0_sel:BYTE_0 src1_sel:DWORD
	s_and_saveexec_b32 s13, s4
	s_cbranch_execz .LBB233_1257
; %bb.1250:                             ;   in Loop: Header=BB233_806 Depth=1
	v_bfrev_b32_e32 v16, 1
	v_mov_b32_e32 v17, 0
	v_cmp_ne_u16_sdwa s4, v12, v81 src0_sel:BYTE_0 src1_sel:DWORD
	s_and_saveexec_b32 s15, s4
	s_cbranch_execz .LBB233_1256
; %bb.1251:                             ;   in Loop: Header=BB233_806 Depth=1
	v_mov_b32_e32 v16, 0x7f800001
	v_and_b32_e32 v10, 0x7f, v12
	v_mov_b32_e32 v17, 0
	s_mov_b32 s16, exec_lo
	v_cmpx_ne_u32_e32 0x7f, v10
	s_cbranch_execz .LBB233_1255
; %bb.1252:                             ;   in Loop: Header=BB233_806 Depth=1
	v_and_b32_e32 v6, 7, v12
	v_lshrrev_b32_e32 v8, 3, v10
	s_mov_b32 s17, exec_lo
	v_cmpx_gt_u32_e32 8, v10
; %bb.1253:                             ;   in Loop: Header=BB233_806 Depth=1
	v_ffbh_u32_e32 v8, v6
	v_min_u32_e32 v8, 32, v8
	v_subrev_nc_u32_e32 v10, 28, v8
	v_sub_nc_u32_e32 v8, 29, v8
	v_lshlrev_b64 v[16:17], v10, v[6:7]
	v_and_b32_e32 v6, 7, v16
; %bb.1254:                             ;   in Loop: Header=BB233_806 Depth=1
	s_or_b32 exec_lo, exec_lo, s17
	v_lshlrev_b32_e32 v10, 24, v12
	v_lshlrev_b32_e32 v6, 20, v6
	v_lshl_add_u32 v8, v8, 23, 0x3c000000
	v_and_b32_e32 v10, 0x80000000, v10
	v_or3_b32 v6, v6, v10, v8
	v_mov_b32_e32 v17, v7
	v_mov_b32_e32 v16, v6
.LBB233_1255:                           ;   in Loop: Header=BB233_806 Depth=1
	s_or_b32 exec_lo, exec_lo, s16
.LBB233_1256:                           ;   in Loop: Header=BB233_806 Depth=1
	s_or_b32 exec_lo, exec_lo, s15
.LBB233_1257:                           ;   in Loop: Header=BB233_806 Depth=1
	s_or_b32 exec_lo, exec_lo, s13
	v_cmp_ne_u16_sdwa s4, v12, v7 src0_sel:BYTE_1 src1_sel:DWORD
	s_and_saveexec_b32 s13, s4
	s_cbranch_execz .LBB233_1265
; %bb.1258:                             ;   in Loop: Header=BB233_806 Depth=1
	v_mov_b32_e32 v8, v7
	v_mov_b32_e32 v19, v9
	v_cmp_ne_u16_sdwa s4, v12, v81 src0_sel:BYTE_1 src1_sel:DWORD
	v_mov_b32_e32 v18, v8
	s_and_saveexec_b32 s15, s4
	s_cbranch_execz .LBB233_1264
; %bb.1259:                             ;   in Loop: Header=BB233_806 Depth=1
	v_mov_b32_e32 v6, 0xffff
	v_mov_b32_e32 v10, v7
	;; [unrolled: 1-line block ×3, first 2 shown]
	s_mov_b32 s16, exec_lo
	v_and_b32_sdwa v6, v6, v12 dst_sel:DWORD dst_unused:UNUSED_PAD src0_sel:DWORD src1_sel:BYTE_1
	v_mov_b32_e32 v18, v10
	v_and_b32_e32 v13, 0x7f, v6
	v_cmpx_ne_u32_e32 0x7f, v13
	s_cbranch_execz .LBB233_1263
; %bb.1260:                             ;   in Loop: Header=BB233_806 Depth=1
	v_and_b32_e32 v6, 7, v6
	v_lshrrev_b32_e32 v8, 3, v13
	s_mov_b32 s17, exec_lo
	v_cmpx_gt_u32_e32 8, v13
; %bb.1261:                             ;   in Loop: Header=BB233_806 Depth=1
	v_ffbh_u32_e32 v8, v6
	v_min_u32_e32 v8, 32, v8
	v_subrev_nc_u32_e32 v10, 28, v8
	v_sub_nc_u32_e32 v8, 29, v8
	v_lshlrev_b64 v[18:19], v10, v[6:7]
	v_and_b32_e32 v6, 7, v18
; %bb.1262:                             ;   in Loop: Header=BB233_806 Depth=1
	s_or_b32 exec_lo, exec_lo, s17
	v_lshlrev_b32_e32 v10, 16, v12
	v_lshlrev_b32_e32 v6, 20, v6
	v_lshl_add_u32 v8, v8, 23, 0x3c000000
	v_mov_b32_e32 v18, v7
	v_and_b32_e32 v10, 0x80000000, v10
	v_or3_b32 v19, v6, v10, v8
.LBB233_1263:                           ;   in Loop: Header=BB233_806 Depth=1
	s_or_b32 exec_lo, exec_lo, s16
.LBB233_1264:                           ;   in Loop: Header=BB233_806 Depth=1
	s_or_b32 exec_lo, exec_lo, s15
.LBB233_1265:                           ;   in Loop: Header=BB233_806 Depth=1
	s_or_b32 exec_lo, exec_lo, s13
	v_mov_b32_e32 v20, 0
	v_mov_b32_e32 v23, 0
	v_and_b32_sdwa v6, v12, v83 dst_sel:DWORD dst_unused:UNUSED_PAD src0_sel:WORD_1 src1_sel:DWORD
	v_mov_b32_e32 v21, 0
	v_mov_b32_e32 v24, 0
	s_mov_b32 s13, exec_lo
	v_cmpx_ne_u16_e32 0, v6
	s_cbranch_execz .LBB233_1273
; %bb.1266:                             ;   in Loop: Header=BB233_806 Depth=1
	v_bfrev_b32_e32 v23, 1
	v_mov_b32_e32 v24, 0
	s_mov_b32 s15, exec_lo
	v_cmpx_ne_u16_e32 0x80, v6
	s_cbranch_execz .LBB233_1272
; %bb.1267:                             ;   in Loop: Header=BB233_806 Depth=1
	v_mov_b32_e32 v23, 0x7f800001
	v_bfe_u32 v10, v12, 16, 7
	v_mov_b32_e32 v24, 0
	s_mov_b32 s16, exec_lo
	v_cmpx_ne_u32_e32 0x7f, v10
	s_cbranch_execz .LBB233_1271
; %bb.1268:                             ;   in Loop: Header=BB233_806 Depth=1
	v_mov_b32_e32 v6, 7
	v_lshrrev_b32_e32 v8, 3, v10
	s_mov_b32 s17, exec_lo
	v_and_b32_sdwa v6, v12, v6 dst_sel:DWORD dst_unused:UNUSED_PAD src0_sel:WORD_1 src1_sel:DWORD
	v_cmpx_gt_u32_e32 8, v10
; %bb.1269:                             ;   in Loop: Header=BB233_806 Depth=1
	v_ffbh_u32_e32 v8, v6
	v_min_u32_e32 v8, 32, v8
	v_subrev_nc_u32_e32 v10, 28, v8
	v_sub_nc_u32_e32 v8, 29, v8
	v_lshlrev_b64 v[23:24], v10, v[6:7]
	v_and_b32_e32 v6, 7, v23
; %bb.1270:                             ;   in Loop: Header=BB233_806 Depth=1
	s_or_b32 exec_lo, exec_lo, s17
	v_mov_b32_e32 v10, 24
	v_lshlrev_b32_e32 v6, 20, v6
	v_lshl_add_u32 v8, v8, 23, 0x3c000000
	v_lshlrev_b32_sdwa v10, v10, v12 dst_sel:DWORD dst_unused:UNUSED_PAD src0_sel:DWORD src1_sel:WORD_1
	v_and_b32_e32 v10, 0x80000000, v10
	v_or3_b32 v6, v6, v10, v8
	v_mov_b32_e32 v24, v7
	v_mov_b32_e32 v23, v6
.LBB233_1271:                           ;   in Loop: Header=BB233_806 Depth=1
	s_or_b32 exec_lo, exec_lo, s16
.LBB233_1272:                           ;   in Loop: Header=BB233_806 Depth=1
	s_or_b32 exec_lo, exec_lo, s15
.LBB233_1273:                           ;   in Loop: Header=BB233_806 Depth=1
	s_or_b32 exec_lo, exec_lo, s13
	s_mov_b32 s13, exec_lo
	v_cmpx_lt_u32_e32 0xffffff, v12
	s_cbranch_execz .LBB233_1281
; %bb.1274:                             ;   in Loop: Header=BB233_806 Depth=1
	v_mov_b32_e32 v8, v7
	v_mov_b32_e32 v21, v9
	v_cmp_ne_u32_sdwa s4, v12, v81 src0_sel:BYTE_3 src1_sel:DWORD
	v_mov_b32_e32 v20, v8
	s_and_saveexec_b32 s15, s4
	s_cbranch_execz .LBB233_1280
; %bb.1275:                             ;   in Loop: Header=BB233_806 Depth=1
	v_mov_b32_e32 v10, v7
	v_mov_b32_e32 v21, v11
	v_bfe_u32 v13, v12, 24, 7
	s_mov_b32 s16, exec_lo
	v_mov_b32_e32 v20, v10
	v_cmpx_ne_u32_e32 0x7f, v13
	s_cbranch_execz .LBB233_1279
; %bb.1276:                             ;   in Loop: Header=BB233_806 Depth=1
	v_mov_b32_e32 v6, 7
	v_lshrrev_b32_e32 v8, 3, v13
	s_mov_b32 s17, exec_lo
	v_and_b32_sdwa v6, v12, v6 dst_sel:DWORD dst_unused:UNUSED_PAD src0_sel:BYTE_3 src1_sel:DWORD
	v_cmpx_gt_u32_e32 8, v13
; %bb.1277:                             ;   in Loop: Header=BB233_806 Depth=1
	v_ffbh_u32_e32 v8, v6
	v_min_u32_e32 v8, 32, v8
	v_subrev_nc_u32_e32 v10, 28, v8
	v_sub_nc_u32_e32 v8, 29, v8
	v_lshlrev_b64 v[20:21], v10, v[6:7]
	v_and_b32_e32 v6, 7, v20
; %bb.1278:                             ;   in Loop: Header=BB233_806 Depth=1
	s_or_b32 exec_lo, exec_lo, s17
	v_mov_b32_e32 v10, 24
	v_lshlrev_b32_e32 v6, 20, v6
	v_lshl_add_u32 v8, v8, 23, 0x3c000000
	v_mov_b32_e32 v20, v7
	v_lshlrev_b32_sdwa v10, v10, v12 dst_sel:DWORD dst_unused:UNUSED_PAD src0_sel:DWORD src1_sel:BYTE_3
	v_and_b32_e32 v10, 0x80000000, v10
	v_or3_b32 v21, v6, v10, v8
.LBB233_1279:                           ;   in Loop: Header=BB233_806 Depth=1
	s_or_b32 exec_lo, exec_lo, s16
.LBB233_1280:                           ;   in Loop: Header=BB233_806 Depth=1
	s_or_b32 exec_lo, exec_lo, s15
.LBB233_1281:                           ;   in Loop: Header=BB233_806 Depth=1
	s_or_b32 exec_lo, exec_lo, s13
	v_or_b32_e32 v6, v19, v17
	v_or_b32_e32 v8, v18, v16
	;; [unrolled: 1-line block ×4, first 2 shown]
	v_mul_f32_e32 v125, v27, v6
	v_mul_f32_e32 v124, v27, v8
	;; [unrolled: 1-line block ×4, first 2 shown]
	s_and_saveexec_b32 s13, vcc_lo
	s_cbranch_execz .LBB233_1283
; %bb.1282:                             ;   in Loop: Header=BB233_806 Depth=1
	v_cmp_lt_i32_e64 s4, v101, v38
	v_cndmask_b32_e64 v124, 0, v124, s4
	v_cmp_lt_i32_e64 s4, v112, v38
	v_cndmask_b32_e64 v125, 0, v125, s4
	;; [unrolled: 2-line block ×4, first 2 shown]
.LBB233_1283:                           ;   in Loop: Header=BB233_806 Depth=1
	s_or_b32 exec_lo, exec_lo, s13
	flat_load_dword v12, v[4:5] offset:1792
	v_mov_b32_e32 v18, 0
	v_mov_b32_e32 v16, 0
	;; [unrolled: 1-line block ×4, first 2 shown]
	s_waitcnt vmcnt(0) lgkmcnt(0)
	v_cmp_ne_u16_sdwa s4, v12, v7 src0_sel:BYTE_0 src1_sel:DWORD
	s_and_saveexec_b32 s13, s4
	s_cbranch_execz .LBB233_1291
; %bb.1284:                             ;   in Loop: Header=BB233_806 Depth=1
	v_bfrev_b32_e32 v16, 1
	v_mov_b32_e32 v17, 0
	v_cmp_ne_u16_sdwa s4, v12, v81 src0_sel:BYTE_0 src1_sel:DWORD
	s_and_saveexec_b32 s15, s4
	s_cbranch_execz .LBB233_1290
; %bb.1285:                             ;   in Loop: Header=BB233_806 Depth=1
	v_mov_b32_e32 v16, 0x7f800001
	v_and_b32_e32 v10, 0x7f, v12
	v_mov_b32_e32 v17, 0
	s_mov_b32 s16, exec_lo
	v_cmpx_ne_u32_e32 0x7f, v10
	s_cbranch_execz .LBB233_1289
; %bb.1286:                             ;   in Loop: Header=BB233_806 Depth=1
	v_and_b32_e32 v6, 7, v12
	v_lshrrev_b32_e32 v8, 3, v10
	s_mov_b32 s17, exec_lo
	v_cmpx_gt_u32_e32 8, v10
; %bb.1287:                             ;   in Loop: Header=BB233_806 Depth=1
	v_ffbh_u32_e32 v8, v6
	v_min_u32_e32 v8, 32, v8
	v_subrev_nc_u32_e32 v10, 28, v8
	v_sub_nc_u32_e32 v8, 29, v8
	v_lshlrev_b64 v[16:17], v10, v[6:7]
	v_and_b32_e32 v6, 7, v16
; %bb.1288:                             ;   in Loop: Header=BB233_806 Depth=1
	s_or_b32 exec_lo, exec_lo, s17
	v_lshlrev_b32_e32 v10, 24, v12
	v_lshlrev_b32_e32 v6, 20, v6
	v_lshl_add_u32 v8, v8, 23, 0x3c000000
	v_and_b32_e32 v10, 0x80000000, v10
	v_or3_b32 v6, v6, v10, v8
	v_mov_b32_e32 v17, v7
	v_mov_b32_e32 v16, v6
.LBB233_1289:                           ;   in Loop: Header=BB233_806 Depth=1
	s_or_b32 exec_lo, exec_lo, s16
.LBB233_1290:                           ;   in Loop: Header=BB233_806 Depth=1
	s_or_b32 exec_lo, exec_lo, s15
.LBB233_1291:                           ;   in Loop: Header=BB233_806 Depth=1
	s_or_b32 exec_lo, exec_lo, s13
	v_cmp_ne_u16_sdwa s4, v12, v7 src0_sel:BYTE_1 src1_sel:DWORD
	s_and_saveexec_b32 s13, s4
	s_cbranch_execz .LBB233_1299
; %bb.1292:                             ;   in Loop: Header=BB233_806 Depth=1
	v_mov_b32_e32 v8, v7
	v_mov_b32_e32 v19, v9
	v_cmp_ne_u16_sdwa s4, v12, v81 src0_sel:BYTE_1 src1_sel:DWORD
	v_mov_b32_e32 v18, v8
	s_and_saveexec_b32 s15, s4
	s_cbranch_execz .LBB233_1298
; %bb.1293:                             ;   in Loop: Header=BB233_806 Depth=1
	v_mov_b32_e32 v6, 0xffff
	v_mov_b32_e32 v10, v7
	;; [unrolled: 1-line block ×3, first 2 shown]
	s_mov_b32 s16, exec_lo
	v_and_b32_sdwa v6, v6, v12 dst_sel:DWORD dst_unused:UNUSED_PAD src0_sel:DWORD src1_sel:BYTE_1
	v_mov_b32_e32 v18, v10
	v_and_b32_e32 v13, 0x7f, v6
	v_cmpx_ne_u32_e32 0x7f, v13
	s_cbranch_execz .LBB233_1297
; %bb.1294:                             ;   in Loop: Header=BB233_806 Depth=1
	v_and_b32_e32 v6, 7, v6
	v_lshrrev_b32_e32 v8, 3, v13
	s_mov_b32 s17, exec_lo
	v_cmpx_gt_u32_e32 8, v13
; %bb.1295:                             ;   in Loop: Header=BB233_806 Depth=1
	v_ffbh_u32_e32 v8, v6
	v_min_u32_e32 v8, 32, v8
	v_subrev_nc_u32_e32 v10, 28, v8
	v_sub_nc_u32_e32 v8, 29, v8
	v_lshlrev_b64 v[18:19], v10, v[6:7]
	v_and_b32_e32 v6, 7, v18
; %bb.1296:                             ;   in Loop: Header=BB233_806 Depth=1
	s_or_b32 exec_lo, exec_lo, s17
	v_lshlrev_b32_e32 v10, 16, v12
	v_lshlrev_b32_e32 v6, 20, v6
	v_lshl_add_u32 v8, v8, 23, 0x3c000000
	v_mov_b32_e32 v18, v7
	v_and_b32_e32 v10, 0x80000000, v10
	v_or3_b32 v19, v6, v10, v8
.LBB233_1297:                           ;   in Loop: Header=BB233_806 Depth=1
	s_or_b32 exec_lo, exec_lo, s16
.LBB233_1298:                           ;   in Loop: Header=BB233_806 Depth=1
	s_or_b32 exec_lo, exec_lo, s15
.LBB233_1299:                           ;   in Loop: Header=BB233_806 Depth=1
	s_or_b32 exec_lo, exec_lo, s13
	v_mov_b32_e32 v20, 0
	v_mov_b32_e32 v23, 0
	v_and_b32_sdwa v6, v12, v83 dst_sel:DWORD dst_unused:UNUSED_PAD src0_sel:WORD_1 src1_sel:DWORD
	v_mov_b32_e32 v21, 0
	v_mov_b32_e32 v24, 0
	s_mov_b32 s13, exec_lo
	v_cmpx_ne_u16_e32 0, v6
	s_cbranch_execz .LBB233_1307
; %bb.1300:                             ;   in Loop: Header=BB233_806 Depth=1
	v_bfrev_b32_e32 v23, 1
	v_mov_b32_e32 v24, 0
	s_mov_b32 s15, exec_lo
	v_cmpx_ne_u16_e32 0x80, v6
	s_cbranch_execz .LBB233_1306
; %bb.1301:                             ;   in Loop: Header=BB233_806 Depth=1
	v_mov_b32_e32 v23, 0x7f800001
	v_bfe_u32 v10, v12, 16, 7
	v_mov_b32_e32 v24, 0
	s_mov_b32 s16, exec_lo
	v_cmpx_ne_u32_e32 0x7f, v10
	s_cbranch_execz .LBB233_1305
; %bb.1302:                             ;   in Loop: Header=BB233_806 Depth=1
	v_mov_b32_e32 v6, 7
	v_lshrrev_b32_e32 v8, 3, v10
	s_mov_b32 s17, exec_lo
	v_and_b32_sdwa v6, v12, v6 dst_sel:DWORD dst_unused:UNUSED_PAD src0_sel:WORD_1 src1_sel:DWORD
	v_cmpx_gt_u32_e32 8, v10
; %bb.1303:                             ;   in Loop: Header=BB233_806 Depth=1
	v_ffbh_u32_e32 v8, v6
	v_min_u32_e32 v8, 32, v8
	v_subrev_nc_u32_e32 v10, 28, v8
	v_sub_nc_u32_e32 v8, 29, v8
	v_lshlrev_b64 v[23:24], v10, v[6:7]
	v_and_b32_e32 v6, 7, v23
; %bb.1304:                             ;   in Loop: Header=BB233_806 Depth=1
	s_or_b32 exec_lo, exec_lo, s17
	v_mov_b32_e32 v10, 24
	v_lshlrev_b32_e32 v6, 20, v6
	v_lshl_add_u32 v8, v8, 23, 0x3c000000
	v_lshlrev_b32_sdwa v10, v10, v12 dst_sel:DWORD dst_unused:UNUSED_PAD src0_sel:DWORD src1_sel:WORD_1
	v_and_b32_e32 v10, 0x80000000, v10
	v_or3_b32 v6, v6, v10, v8
	v_mov_b32_e32 v24, v7
	v_mov_b32_e32 v23, v6
.LBB233_1305:                           ;   in Loop: Header=BB233_806 Depth=1
	s_or_b32 exec_lo, exec_lo, s16
.LBB233_1306:                           ;   in Loop: Header=BB233_806 Depth=1
	s_or_b32 exec_lo, exec_lo, s15
.LBB233_1307:                           ;   in Loop: Header=BB233_806 Depth=1
	s_or_b32 exec_lo, exec_lo, s13
	s_mov_b32 s13, exec_lo
	v_cmpx_lt_u32_e32 0xffffff, v12
	s_cbranch_execz .LBB233_1315
; %bb.1308:                             ;   in Loop: Header=BB233_806 Depth=1
	v_mov_b32_e32 v8, v7
	v_mov_b32_e32 v21, v9
	v_cmp_ne_u32_sdwa s4, v12, v81 src0_sel:BYTE_3 src1_sel:DWORD
	v_mov_b32_e32 v20, v8
	s_and_saveexec_b32 s15, s4
	s_cbranch_execz .LBB233_1314
; %bb.1309:                             ;   in Loop: Header=BB233_806 Depth=1
	v_mov_b32_e32 v10, v7
	v_mov_b32_e32 v21, v11
	v_bfe_u32 v13, v12, 24, 7
	s_mov_b32 s16, exec_lo
	v_mov_b32_e32 v20, v10
	v_cmpx_ne_u32_e32 0x7f, v13
	s_cbranch_execz .LBB233_1313
; %bb.1310:                             ;   in Loop: Header=BB233_806 Depth=1
	v_mov_b32_e32 v6, 7
	v_lshrrev_b32_e32 v8, 3, v13
	s_mov_b32 s17, exec_lo
	v_and_b32_sdwa v6, v12, v6 dst_sel:DWORD dst_unused:UNUSED_PAD src0_sel:BYTE_3 src1_sel:DWORD
	v_cmpx_gt_u32_e32 8, v13
; %bb.1311:                             ;   in Loop: Header=BB233_806 Depth=1
	v_ffbh_u32_e32 v8, v6
	v_min_u32_e32 v8, 32, v8
	v_subrev_nc_u32_e32 v10, 28, v8
	v_sub_nc_u32_e32 v8, 29, v8
	v_lshlrev_b64 v[20:21], v10, v[6:7]
	v_and_b32_e32 v6, 7, v20
; %bb.1312:                             ;   in Loop: Header=BB233_806 Depth=1
	s_or_b32 exec_lo, exec_lo, s17
	v_mov_b32_e32 v10, 24
	v_lshlrev_b32_e32 v6, 20, v6
	v_lshl_add_u32 v8, v8, 23, 0x3c000000
	v_mov_b32_e32 v20, v7
	v_lshlrev_b32_sdwa v10, v10, v12 dst_sel:DWORD dst_unused:UNUSED_PAD src0_sel:DWORD src1_sel:BYTE_3
	v_and_b32_e32 v10, 0x80000000, v10
	v_or3_b32 v21, v6, v10, v8
.LBB233_1313:                           ;   in Loop: Header=BB233_806 Depth=1
	s_or_b32 exec_lo, exec_lo, s16
.LBB233_1314:                           ;   in Loop: Header=BB233_806 Depth=1
	s_or_b32 exec_lo, exec_lo, s15
.LBB233_1315:                           ;   in Loop: Header=BB233_806 Depth=1
	s_or_b32 exec_lo, exec_lo, s13
	v_or_b32_e32 v6, v19, v17
	v_or_b32_e32 v8, v18, v16
	;; [unrolled: 1-line block ×4, first 2 shown]
	v_mul_f32_e32 v80, v27, v6
	v_mul_f32_e32 v29, v27, v8
	;; [unrolled: 1-line block ×4, first 2 shown]
	s_and_saveexec_b32 s13, vcc_lo
	s_cbranch_execz .LBB233_1317
; %bb.1316:                             ;   in Loop: Header=BB233_806 Depth=1
	v_cmp_lt_i32_e64 s4, v101, v38
	v_cndmask_b32_e64 v29, 0, v29, s4
	v_cmp_lt_i32_e64 s4, v112, v38
	v_cndmask_b32_e64 v80, 0, v80, s4
	;; [unrolled: 2-line block ×4, first 2 shown]
.LBB233_1317:                           ;   in Loop: Header=BB233_806 Depth=1
	s_or_b32 exec_lo, exec_lo, s13
	flat_load_dword v12, v[4:5] offset:1920
	v_mov_b32_e32 v18, 0
	v_mov_b32_e32 v16, 0
	;; [unrolled: 1-line block ×4, first 2 shown]
	s_waitcnt vmcnt(0) lgkmcnt(0)
	v_cmp_ne_u16_sdwa s4, v12, v7 src0_sel:BYTE_0 src1_sel:DWORD
	s_and_saveexec_b32 s13, s4
	s_cbranch_execz .LBB233_1325
; %bb.1318:                             ;   in Loop: Header=BB233_806 Depth=1
	v_bfrev_b32_e32 v16, 1
	v_mov_b32_e32 v17, 0
	v_cmp_ne_u16_sdwa s4, v12, v81 src0_sel:BYTE_0 src1_sel:DWORD
	s_and_saveexec_b32 s15, s4
	s_cbranch_execz .LBB233_1324
; %bb.1319:                             ;   in Loop: Header=BB233_806 Depth=1
	v_mov_b32_e32 v16, 0x7f800001
	v_and_b32_e32 v10, 0x7f, v12
	v_mov_b32_e32 v17, 0
	s_mov_b32 s16, exec_lo
	v_cmpx_ne_u32_e32 0x7f, v10
	s_cbranch_execz .LBB233_1323
; %bb.1320:                             ;   in Loop: Header=BB233_806 Depth=1
	v_and_b32_e32 v6, 7, v12
	v_lshrrev_b32_e32 v8, 3, v10
	s_mov_b32 s17, exec_lo
	v_cmpx_gt_u32_e32 8, v10
; %bb.1321:                             ;   in Loop: Header=BB233_806 Depth=1
	v_ffbh_u32_e32 v8, v6
	v_min_u32_e32 v8, 32, v8
	v_subrev_nc_u32_e32 v10, 28, v8
	v_sub_nc_u32_e32 v8, 29, v8
	v_lshlrev_b64 v[16:17], v10, v[6:7]
	v_and_b32_e32 v6, 7, v16
; %bb.1322:                             ;   in Loop: Header=BB233_806 Depth=1
	s_or_b32 exec_lo, exec_lo, s17
	v_lshlrev_b32_e32 v10, 24, v12
	v_lshlrev_b32_e32 v6, 20, v6
	v_lshl_add_u32 v8, v8, 23, 0x3c000000
	v_and_b32_e32 v10, 0x80000000, v10
	v_or3_b32 v6, v6, v10, v8
	v_mov_b32_e32 v17, v7
	v_mov_b32_e32 v16, v6
.LBB233_1323:                           ;   in Loop: Header=BB233_806 Depth=1
	s_or_b32 exec_lo, exec_lo, s16
.LBB233_1324:                           ;   in Loop: Header=BB233_806 Depth=1
	s_or_b32 exec_lo, exec_lo, s15
.LBB233_1325:                           ;   in Loop: Header=BB233_806 Depth=1
	s_or_b32 exec_lo, exec_lo, s13
	v_cmp_ne_u16_sdwa s4, v12, v7 src0_sel:BYTE_1 src1_sel:DWORD
	s_and_saveexec_b32 s13, s4
	s_cbranch_execz .LBB233_1333
; %bb.1326:                             ;   in Loop: Header=BB233_806 Depth=1
	v_mov_b32_e32 v8, v7
	v_mov_b32_e32 v19, v9
	v_cmp_ne_u16_sdwa s4, v12, v81 src0_sel:BYTE_1 src1_sel:DWORD
	v_mov_b32_e32 v18, v8
	s_and_saveexec_b32 s15, s4
	s_cbranch_execz .LBB233_1332
; %bb.1327:                             ;   in Loop: Header=BB233_806 Depth=1
	v_mov_b32_e32 v6, 0xffff
	v_mov_b32_e32 v10, v7
	;; [unrolled: 1-line block ×3, first 2 shown]
	s_mov_b32 s16, exec_lo
	v_and_b32_sdwa v6, v6, v12 dst_sel:DWORD dst_unused:UNUSED_PAD src0_sel:DWORD src1_sel:BYTE_1
	v_mov_b32_e32 v18, v10
	v_and_b32_e32 v13, 0x7f, v6
	v_cmpx_ne_u32_e32 0x7f, v13
	s_cbranch_execz .LBB233_1331
; %bb.1328:                             ;   in Loop: Header=BB233_806 Depth=1
	v_and_b32_e32 v6, 7, v6
	v_lshrrev_b32_e32 v8, 3, v13
	s_mov_b32 s17, exec_lo
	v_cmpx_gt_u32_e32 8, v13
; %bb.1329:                             ;   in Loop: Header=BB233_806 Depth=1
	v_ffbh_u32_e32 v8, v6
	v_min_u32_e32 v8, 32, v8
	v_subrev_nc_u32_e32 v10, 28, v8
	v_sub_nc_u32_e32 v8, 29, v8
	v_lshlrev_b64 v[18:19], v10, v[6:7]
	v_and_b32_e32 v6, 7, v18
; %bb.1330:                             ;   in Loop: Header=BB233_806 Depth=1
	s_or_b32 exec_lo, exec_lo, s17
	v_lshlrev_b32_e32 v10, 16, v12
	v_lshlrev_b32_e32 v6, 20, v6
	v_lshl_add_u32 v8, v8, 23, 0x3c000000
	v_mov_b32_e32 v18, v7
	v_and_b32_e32 v10, 0x80000000, v10
	v_or3_b32 v19, v6, v10, v8
.LBB233_1331:                           ;   in Loop: Header=BB233_806 Depth=1
	s_or_b32 exec_lo, exec_lo, s16
.LBB233_1332:                           ;   in Loop: Header=BB233_806 Depth=1
	s_or_b32 exec_lo, exec_lo, s15
.LBB233_1333:                           ;   in Loop: Header=BB233_806 Depth=1
	s_or_b32 exec_lo, exec_lo, s13
	v_mov_b32_e32 v20, 0
	v_mov_b32_e32 v23, 0
	v_and_b32_sdwa v6, v12, v83 dst_sel:DWORD dst_unused:UNUSED_PAD src0_sel:WORD_1 src1_sel:DWORD
	v_mov_b32_e32 v21, 0
	v_mov_b32_e32 v24, 0
	s_mov_b32 s13, exec_lo
	v_cmpx_ne_u16_e32 0, v6
	s_cbranch_execz .LBB233_1341
; %bb.1334:                             ;   in Loop: Header=BB233_806 Depth=1
	v_bfrev_b32_e32 v23, 1
	v_mov_b32_e32 v24, 0
	s_mov_b32 s15, exec_lo
	v_cmpx_ne_u16_e32 0x80, v6
	s_cbranch_execz .LBB233_1340
; %bb.1335:                             ;   in Loop: Header=BB233_806 Depth=1
	v_mov_b32_e32 v23, 0x7f800001
	v_bfe_u32 v10, v12, 16, 7
	v_mov_b32_e32 v24, 0
	s_mov_b32 s16, exec_lo
	v_cmpx_ne_u32_e32 0x7f, v10
	s_cbranch_execz .LBB233_1339
; %bb.1336:                             ;   in Loop: Header=BB233_806 Depth=1
	v_mov_b32_e32 v6, 7
	v_lshrrev_b32_e32 v8, 3, v10
	s_mov_b32 s17, exec_lo
	v_and_b32_sdwa v6, v12, v6 dst_sel:DWORD dst_unused:UNUSED_PAD src0_sel:WORD_1 src1_sel:DWORD
	v_cmpx_gt_u32_e32 8, v10
; %bb.1337:                             ;   in Loop: Header=BB233_806 Depth=1
	v_ffbh_u32_e32 v8, v6
	v_min_u32_e32 v8, 32, v8
	v_subrev_nc_u32_e32 v10, 28, v8
	v_sub_nc_u32_e32 v8, 29, v8
	v_lshlrev_b64 v[23:24], v10, v[6:7]
	v_and_b32_e32 v6, 7, v23
; %bb.1338:                             ;   in Loop: Header=BB233_806 Depth=1
	s_or_b32 exec_lo, exec_lo, s17
	v_mov_b32_e32 v10, 24
	v_lshlrev_b32_e32 v6, 20, v6
	v_lshl_add_u32 v8, v8, 23, 0x3c000000
	v_lshlrev_b32_sdwa v10, v10, v12 dst_sel:DWORD dst_unused:UNUSED_PAD src0_sel:DWORD src1_sel:WORD_1
	v_and_b32_e32 v10, 0x80000000, v10
	v_or3_b32 v6, v6, v10, v8
	v_mov_b32_e32 v24, v7
	v_mov_b32_e32 v23, v6
.LBB233_1339:                           ;   in Loop: Header=BB233_806 Depth=1
	s_or_b32 exec_lo, exec_lo, s16
.LBB233_1340:                           ;   in Loop: Header=BB233_806 Depth=1
	s_or_b32 exec_lo, exec_lo, s15
.LBB233_1341:                           ;   in Loop: Header=BB233_806 Depth=1
	s_or_b32 exec_lo, exec_lo, s13
	s_mov_b32 s13, exec_lo
	v_cmpx_lt_u32_e32 0xffffff, v12
	s_cbranch_execz .LBB233_1349
; %bb.1342:                             ;   in Loop: Header=BB233_806 Depth=1
	v_mov_b32_e32 v8, v7
	v_mov_b32_e32 v21, v9
	v_cmp_ne_u32_sdwa s4, v12, v81 src0_sel:BYTE_3 src1_sel:DWORD
	v_mov_b32_e32 v20, v8
	s_and_saveexec_b32 s15, s4
	s_cbranch_execz .LBB233_1348
; %bb.1343:                             ;   in Loop: Header=BB233_806 Depth=1
	v_mov_b32_e32 v10, v7
	v_mov_b32_e32 v21, v11
	v_bfe_u32 v13, v12, 24, 7
	s_mov_b32 s16, exec_lo
	v_mov_b32_e32 v20, v10
	v_cmpx_ne_u32_e32 0x7f, v13
	s_cbranch_execz .LBB233_1347
; %bb.1344:                             ;   in Loop: Header=BB233_806 Depth=1
	v_mov_b32_e32 v6, 7
	v_lshrrev_b32_e32 v8, 3, v13
	s_mov_b32 s17, exec_lo
	v_and_b32_sdwa v6, v12, v6 dst_sel:DWORD dst_unused:UNUSED_PAD src0_sel:BYTE_3 src1_sel:DWORD
	v_cmpx_gt_u32_e32 8, v13
; %bb.1345:                             ;   in Loop: Header=BB233_806 Depth=1
	v_ffbh_u32_e32 v8, v6
	v_min_u32_e32 v8, 32, v8
	v_subrev_nc_u32_e32 v10, 28, v8
	v_sub_nc_u32_e32 v8, 29, v8
	v_lshlrev_b64 v[20:21], v10, v[6:7]
	v_and_b32_e32 v6, 7, v20
; %bb.1346:                             ;   in Loop: Header=BB233_806 Depth=1
	s_or_b32 exec_lo, exec_lo, s17
	v_mov_b32_e32 v10, 24
	v_lshlrev_b32_e32 v6, 20, v6
	v_lshl_add_u32 v8, v8, 23, 0x3c000000
	v_mov_b32_e32 v20, v7
	v_lshlrev_b32_sdwa v10, v10, v12 dst_sel:DWORD dst_unused:UNUSED_PAD src0_sel:DWORD src1_sel:BYTE_3
	v_and_b32_e32 v10, 0x80000000, v10
	v_or3_b32 v21, v6, v10, v8
.LBB233_1347:                           ;   in Loop: Header=BB233_806 Depth=1
	s_or_b32 exec_lo, exec_lo, s16
.LBB233_1348:                           ;   in Loop: Header=BB233_806 Depth=1
	s_or_b32 exec_lo, exec_lo, s15
.LBB233_1349:                           ;   in Loop: Header=BB233_806 Depth=1
	s_or_b32 exec_lo, exec_lo, s13
	v_or_b32_e32 v6, v19, v17
	v_or_b32_e32 v8, v18, v16
	;; [unrolled: 1-line block ×4, first 2 shown]
	v_mul_f32_e32 v96, v27, v6
	v_mul_f32_e32 v13, v27, v8
	;; [unrolled: 1-line block ×4, first 2 shown]
	s_and_saveexec_b32 s13, vcc_lo
	s_cbranch_execz .LBB233_1351
; %bb.1350:                             ;   in Loop: Header=BB233_806 Depth=1
	v_cmp_lt_i32_e64 s4, v101, v38
	v_cndmask_b32_e64 v13, 0, v13, s4
	v_cmp_lt_i32_e64 s4, v112, v38
	v_cndmask_b32_e64 v96, 0, v96, s4
	;; [unrolled: 2-line block ×4, first 2 shown]
.LBB233_1351:                           ;   in Loop: Header=BB233_806 Depth=1
	s_or_b32 exec_lo, exec_lo, s13
	v_add_co_u32 v4, s4, 0x800, v4
	v_add_co_ci_u32_e64 v5, null, 0, v5, s4
	v_mov_b32_e32 v18, 0
	v_mov_b32_e32 v16, 0
	;; [unrolled: 1-line block ×3, first 2 shown]
	flat_load_dword v30, v[4:5]
	v_mov_b32_e32 v17, 0
	s_waitcnt vmcnt(0) lgkmcnt(0)
	v_cmp_ne_u16_sdwa s4, v30, v7 src0_sel:BYTE_0 src1_sel:DWORD
	s_and_saveexec_b32 s13, s4
	s_cbranch_execz .LBB233_1359
; %bb.1352:                             ;   in Loop: Header=BB233_806 Depth=1
	v_bfrev_b32_e32 v16, 1
	v_mov_b32_e32 v17, 0
	v_cmp_ne_u16_sdwa s4, v30, v81 src0_sel:BYTE_0 src1_sel:DWORD
	s_and_saveexec_b32 s15, s4
	s_cbranch_execz .LBB233_1358
; %bb.1353:                             ;   in Loop: Header=BB233_806 Depth=1
	v_mov_b32_e32 v16, 0x7f800001
	v_and_b32_e32 v10, 0x7f, v30
	v_mov_b32_e32 v17, 0
	s_mov_b32 s16, exec_lo
	v_cmpx_ne_u32_e32 0x7f, v10
	s_cbranch_execz .LBB233_1357
; %bb.1354:                             ;   in Loop: Header=BB233_806 Depth=1
	v_and_b32_e32 v6, 7, v30
	v_lshrrev_b32_e32 v8, 3, v10
	s_mov_b32 s17, exec_lo
	v_cmpx_gt_u32_e32 8, v10
; %bb.1355:                             ;   in Loop: Header=BB233_806 Depth=1
	v_ffbh_u32_e32 v8, v6
	v_min_u32_e32 v8, 32, v8
	v_subrev_nc_u32_e32 v10, 28, v8
	v_sub_nc_u32_e32 v8, 29, v8
	v_lshlrev_b64 v[16:17], v10, v[6:7]
	v_and_b32_e32 v6, 7, v16
; %bb.1356:                             ;   in Loop: Header=BB233_806 Depth=1
	s_or_b32 exec_lo, exec_lo, s17
	v_lshlrev_b32_e32 v10, 24, v30
	v_lshlrev_b32_e32 v6, 20, v6
	v_lshl_add_u32 v8, v8, 23, 0x3c000000
	v_and_b32_e32 v10, 0x80000000, v10
	v_or3_b32 v6, v6, v10, v8
	v_mov_b32_e32 v17, v7
	v_mov_b32_e32 v16, v6
.LBB233_1357:                           ;   in Loop: Header=BB233_806 Depth=1
	s_or_b32 exec_lo, exec_lo, s16
.LBB233_1358:                           ;   in Loop: Header=BB233_806 Depth=1
	s_or_b32 exec_lo, exec_lo, s15
.LBB233_1359:                           ;   in Loop: Header=BB233_806 Depth=1
	s_or_b32 exec_lo, exec_lo, s13
	v_cmp_ne_u16_sdwa s4, v30, v7 src0_sel:BYTE_1 src1_sel:DWORD
	s_and_saveexec_b32 s13, s4
	s_cbranch_execz .LBB233_1367
; %bb.1360:                             ;   in Loop: Header=BB233_806 Depth=1
	v_mov_b32_e32 v8, v7
	v_mov_b32_e32 v19, v9
	v_cmp_ne_u16_sdwa s4, v30, v81 src0_sel:BYTE_1 src1_sel:DWORD
	v_mov_b32_e32 v18, v8
	s_and_saveexec_b32 s15, s4
	s_cbranch_execz .LBB233_1366
; %bb.1361:                             ;   in Loop: Header=BB233_806 Depth=1
	v_mov_b32_e32 v6, 0xffff
	v_mov_b32_e32 v10, v7
	;; [unrolled: 1-line block ×3, first 2 shown]
	s_mov_b32 s16, exec_lo
	v_and_b32_sdwa v6, v6, v30 dst_sel:DWORD dst_unused:UNUSED_PAD src0_sel:DWORD src1_sel:BYTE_1
	v_mov_b32_e32 v18, v10
	v_and_b32_e32 v20, 0x7f, v6
	v_cmpx_ne_u32_e32 0x7f, v20
	s_cbranch_execz .LBB233_1365
; %bb.1362:                             ;   in Loop: Header=BB233_806 Depth=1
	v_and_b32_e32 v6, 7, v6
	v_lshrrev_b32_e32 v8, 3, v20
	s_mov_b32 s17, exec_lo
	v_cmpx_gt_u32_e32 8, v20
; %bb.1363:                             ;   in Loop: Header=BB233_806 Depth=1
	v_ffbh_u32_e32 v8, v6
	v_min_u32_e32 v8, 32, v8
	v_subrev_nc_u32_e32 v10, 28, v8
	v_sub_nc_u32_e32 v8, 29, v8
	v_lshlrev_b64 v[18:19], v10, v[6:7]
	v_and_b32_e32 v6, 7, v18
; %bb.1364:                             ;   in Loop: Header=BB233_806 Depth=1
	s_or_b32 exec_lo, exec_lo, s17
	v_lshlrev_b32_e32 v10, 16, v30
	v_lshlrev_b32_e32 v6, 20, v6
	v_lshl_add_u32 v8, v8, 23, 0x3c000000
	v_mov_b32_e32 v18, v7
	v_and_b32_e32 v10, 0x80000000, v10
	v_or3_b32 v19, v6, v10, v8
.LBB233_1365:                           ;   in Loop: Header=BB233_806 Depth=1
	s_or_b32 exec_lo, exec_lo, s16
.LBB233_1366:                           ;   in Loop: Header=BB233_806 Depth=1
	s_or_b32 exec_lo, exec_lo, s15
.LBB233_1367:                           ;   in Loop: Header=BB233_806 Depth=1
	s_or_b32 exec_lo, exec_lo, s13
	v_mov_b32_e32 v20, 0
	v_mov_b32_e32 v23, 0
	v_and_b32_sdwa v6, v30, v83 dst_sel:DWORD dst_unused:UNUSED_PAD src0_sel:WORD_1 src1_sel:DWORD
	v_mov_b32_e32 v21, 0
	v_mov_b32_e32 v24, 0
	s_mov_b32 s13, exec_lo
	v_cmpx_ne_u16_e32 0, v6
	s_cbranch_execz .LBB233_1375
; %bb.1368:                             ;   in Loop: Header=BB233_806 Depth=1
	v_bfrev_b32_e32 v23, 1
	v_mov_b32_e32 v24, 0
	s_mov_b32 s15, exec_lo
	v_cmpx_ne_u16_e32 0x80, v6
	s_cbranch_execz .LBB233_1374
; %bb.1369:                             ;   in Loop: Header=BB233_806 Depth=1
	v_mov_b32_e32 v23, 0x7f800001
	v_bfe_u32 v10, v30, 16, 7
	v_mov_b32_e32 v24, 0
	s_mov_b32 s16, exec_lo
	v_cmpx_ne_u32_e32 0x7f, v10
	s_cbranch_execz .LBB233_1373
; %bb.1370:                             ;   in Loop: Header=BB233_806 Depth=1
	v_mov_b32_e32 v6, 7
	v_lshrrev_b32_e32 v8, 3, v10
	s_mov_b32 s17, exec_lo
	v_and_b32_sdwa v6, v30, v6 dst_sel:DWORD dst_unused:UNUSED_PAD src0_sel:WORD_1 src1_sel:DWORD
	v_cmpx_gt_u32_e32 8, v10
; %bb.1371:                             ;   in Loop: Header=BB233_806 Depth=1
	v_ffbh_u32_e32 v8, v6
	v_min_u32_e32 v8, 32, v8
	v_subrev_nc_u32_e32 v10, 28, v8
	v_sub_nc_u32_e32 v8, 29, v8
	v_lshlrev_b64 v[23:24], v10, v[6:7]
	v_and_b32_e32 v6, 7, v23
; %bb.1372:                             ;   in Loop: Header=BB233_806 Depth=1
	s_or_b32 exec_lo, exec_lo, s17
	v_mov_b32_e32 v10, 24
	v_lshlrev_b32_e32 v6, 20, v6
	v_lshl_add_u32 v8, v8, 23, 0x3c000000
	v_lshlrev_b32_sdwa v10, v10, v30 dst_sel:DWORD dst_unused:UNUSED_PAD src0_sel:DWORD src1_sel:WORD_1
	v_and_b32_e32 v10, 0x80000000, v10
	v_or3_b32 v6, v6, v10, v8
	v_mov_b32_e32 v24, v7
	v_mov_b32_e32 v23, v6
.LBB233_1373:                           ;   in Loop: Header=BB233_806 Depth=1
	s_or_b32 exec_lo, exec_lo, s16
.LBB233_1374:                           ;   in Loop: Header=BB233_806 Depth=1
	s_or_b32 exec_lo, exec_lo, s15
.LBB233_1375:                           ;   in Loop: Header=BB233_806 Depth=1
	s_or_b32 exec_lo, exec_lo, s13
	s_mov_b32 s13, exec_lo
	v_cmpx_lt_u32_e32 0xffffff, v30
	s_cbranch_execz .LBB233_1383
; %bb.1376:                             ;   in Loop: Header=BB233_806 Depth=1
	v_mov_b32_e32 v8, v7
	v_mov_b32_e32 v21, v9
	v_cmp_ne_u32_sdwa s4, v30, v81 src0_sel:BYTE_3 src1_sel:DWORD
	v_mov_b32_e32 v20, v8
	s_and_saveexec_b32 s15, s4
	s_cbranch_execz .LBB233_1382
; %bb.1377:                             ;   in Loop: Header=BB233_806 Depth=1
	v_mov_b32_e32 v10, v7
	v_mov_b32_e32 v21, v11
	v_bfe_u32 v31, v30, 24, 7
	s_mov_b32 s16, exec_lo
	v_mov_b32_e32 v20, v10
	v_cmpx_ne_u32_e32 0x7f, v31
	s_cbranch_execz .LBB233_1381
; %bb.1378:                             ;   in Loop: Header=BB233_806 Depth=1
	v_mov_b32_e32 v6, 7
	v_lshrrev_b32_e32 v8, 3, v31
	s_mov_b32 s17, exec_lo
	v_and_b32_sdwa v6, v30, v6 dst_sel:DWORD dst_unused:UNUSED_PAD src0_sel:BYTE_3 src1_sel:DWORD
	v_cmpx_gt_u32_e32 8, v31
; %bb.1379:                             ;   in Loop: Header=BB233_806 Depth=1
	v_ffbh_u32_e32 v8, v6
	v_min_u32_e32 v8, 32, v8
	v_subrev_nc_u32_e32 v10, 28, v8
	v_sub_nc_u32_e32 v8, 29, v8
	v_lshlrev_b64 v[20:21], v10, v[6:7]
	v_and_b32_e32 v6, 7, v20
; %bb.1380:                             ;   in Loop: Header=BB233_806 Depth=1
	s_or_b32 exec_lo, exec_lo, s17
	v_mov_b32_e32 v10, 24
	v_lshlrev_b32_e32 v6, 20, v6
	v_lshl_add_u32 v8, v8, 23, 0x3c000000
	v_mov_b32_e32 v20, v7
	v_lshlrev_b32_sdwa v10, v10, v30 dst_sel:DWORD dst_unused:UNUSED_PAD src0_sel:DWORD src1_sel:BYTE_3
	v_and_b32_e32 v10, 0x80000000, v10
	v_or3_b32 v21, v6, v10, v8
.LBB233_1381:                           ;   in Loop: Header=BB233_806 Depth=1
	s_or_b32 exec_lo, exec_lo, s16
.LBB233_1382:                           ;   in Loop: Header=BB233_806 Depth=1
	s_or_b32 exec_lo, exec_lo, s15
.LBB233_1383:                           ;   in Loop: Header=BB233_806 Depth=1
	s_or_b32 exec_lo, exec_lo, s13
	v_or_b32_e32 v6, v19, v17
	v_or_b32_e32 v8, v18, v16
	;; [unrolled: 1-line block ×4, first 2 shown]
	v_mul_f32_e32 v33, v27, v6
	v_mul_f32_e32 v32, v27, v8
	;; [unrolled: 1-line block ×4, first 2 shown]
	s_and_saveexec_b32 s13, vcc_lo
	s_cbranch_execz .LBB233_1385
; %bb.1384:                             ;   in Loop: Header=BB233_806 Depth=1
	v_cmp_lt_i32_e64 s4, v101, v38
	v_cndmask_b32_e64 v32, 0, v32, s4
	v_cmp_lt_i32_e64 s4, v112, v38
	v_cndmask_b32_e64 v33, 0, v33, s4
	;; [unrolled: 2-line block ×4, first 2 shown]
.LBB233_1385:                           ;   in Loop: Header=BB233_806 Depth=1
	s_or_b32 exec_lo, exec_lo, s13
	flat_load_dword v34, v[4:5] offset:128
	v_mov_b32_e32 v18, 0
	v_mov_b32_e32 v16, 0
	;; [unrolled: 1-line block ×4, first 2 shown]
	s_waitcnt vmcnt(0) lgkmcnt(0)
	v_cmp_ne_u16_sdwa s4, v34, v7 src0_sel:BYTE_0 src1_sel:DWORD
	s_and_saveexec_b32 s13, s4
	s_cbranch_execz .LBB233_1393
; %bb.1386:                             ;   in Loop: Header=BB233_806 Depth=1
	v_bfrev_b32_e32 v16, 1
	v_mov_b32_e32 v17, 0
	v_cmp_ne_u16_sdwa s4, v34, v81 src0_sel:BYTE_0 src1_sel:DWORD
	s_and_saveexec_b32 s15, s4
	s_cbranch_execz .LBB233_1392
; %bb.1387:                             ;   in Loop: Header=BB233_806 Depth=1
	v_mov_b32_e32 v16, 0x7f800001
	v_and_b32_e32 v10, 0x7f, v34
	v_mov_b32_e32 v17, 0
	s_mov_b32 s16, exec_lo
	v_cmpx_ne_u32_e32 0x7f, v10
	s_cbranch_execz .LBB233_1391
; %bb.1388:                             ;   in Loop: Header=BB233_806 Depth=1
	v_and_b32_e32 v6, 7, v34
	v_lshrrev_b32_e32 v8, 3, v10
	s_mov_b32 s17, exec_lo
	v_cmpx_gt_u32_e32 8, v10
; %bb.1389:                             ;   in Loop: Header=BB233_806 Depth=1
	v_ffbh_u32_e32 v8, v6
	v_min_u32_e32 v8, 32, v8
	v_subrev_nc_u32_e32 v10, 28, v8
	v_sub_nc_u32_e32 v8, 29, v8
	v_lshlrev_b64 v[16:17], v10, v[6:7]
	v_and_b32_e32 v6, 7, v16
; %bb.1390:                             ;   in Loop: Header=BB233_806 Depth=1
	s_or_b32 exec_lo, exec_lo, s17
	v_lshlrev_b32_e32 v10, 24, v34
	v_lshlrev_b32_e32 v6, 20, v6
	v_lshl_add_u32 v8, v8, 23, 0x3c000000
	v_and_b32_e32 v10, 0x80000000, v10
	v_or3_b32 v6, v6, v10, v8
	v_mov_b32_e32 v17, v7
	v_mov_b32_e32 v16, v6
.LBB233_1391:                           ;   in Loop: Header=BB233_806 Depth=1
	s_or_b32 exec_lo, exec_lo, s16
.LBB233_1392:                           ;   in Loop: Header=BB233_806 Depth=1
	s_or_b32 exec_lo, exec_lo, s15
.LBB233_1393:                           ;   in Loop: Header=BB233_806 Depth=1
	s_or_b32 exec_lo, exec_lo, s13
	v_cmp_ne_u16_sdwa s4, v34, v7 src0_sel:BYTE_1 src1_sel:DWORD
	s_and_saveexec_b32 s13, s4
	s_cbranch_execz .LBB233_1401
; %bb.1394:                             ;   in Loop: Header=BB233_806 Depth=1
	v_mov_b32_e32 v8, v7
	v_mov_b32_e32 v19, v9
	v_cmp_ne_u16_sdwa s4, v34, v81 src0_sel:BYTE_1 src1_sel:DWORD
	v_mov_b32_e32 v18, v8
	s_and_saveexec_b32 s15, s4
	s_cbranch_execz .LBB233_1400
; %bb.1395:                             ;   in Loop: Header=BB233_806 Depth=1
	v_mov_b32_e32 v6, 0xffff
	v_mov_b32_e32 v10, v7
	;; [unrolled: 1-line block ×3, first 2 shown]
	s_mov_b32 s16, exec_lo
	v_and_b32_sdwa v6, v6, v34 dst_sel:DWORD dst_unused:UNUSED_PAD src0_sel:DWORD src1_sel:BYTE_1
	v_mov_b32_e32 v18, v10
	v_and_b32_e32 v20, 0x7f, v6
	v_cmpx_ne_u32_e32 0x7f, v20
	s_cbranch_execz .LBB233_1399
; %bb.1396:                             ;   in Loop: Header=BB233_806 Depth=1
	v_and_b32_e32 v6, 7, v6
	v_lshrrev_b32_e32 v8, 3, v20
	s_mov_b32 s17, exec_lo
	v_cmpx_gt_u32_e32 8, v20
; %bb.1397:                             ;   in Loop: Header=BB233_806 Depth=1
	v_ffbh_u32_e32 v8, v6
	v_min_u32_e32 v8, 32, v8
	v_subrev_nc_u32_e32 v10, 28, v8
	v_sub_nc_u32_e32 v8, 29, v8
	v_lshlrev_b64 v[18:19], v10, v[6:7]
	v_and_b32_e32 v6, 7, v18
; %bb.1398:                             ;   in Loop: Header=BB233_806 Depth=1
	s_or_b32 exec_lo, exec_lo, s17
	v_lshlrev_b32_e32 v10, 16, v34
	v_lshlrev_b32_e32 v6, 20, v6
	v_lshl_add_u32 v8, v8, 23, 0x3c000000
	v_mov_b32_e32 v18, v7
	v_and_b32_e32 v10, 0x80000000, v10
	v_or3_b32 v19, v6, v10, v8
.LBB233_1399:                           ;   in Loop: Header=BB233_806 Depth=1
	s_or_b32 exec_lo, exec_lo, s16
.LBB233_1400:                           ;   in Loop: Header=BB233_806 Depth=1
	s_or_b32 exec_lo, exec_lo, s15
.LBB233_1401:                           ;   in Loop: Header=BB233_806 Depth=1
	s_or_b32 exec_lo, exec_lo, s13
	v_mov_b32_e32 v20, 0
	v_mov_b32_e32 v23, 0
	v_and_b32_sdwa v6, v34, v83 dst_sel:DWORD dst_unused:UNUSED_PAD src0_sel:WORD_1 src1_sel:DWORD
	v_mov_b32_e32 v21, 0
	v_mov_b32_e32 v24, 0
	s_mov_b32 s13, exec_lo
	v_cmpx_ne_u16_e32 0, v6
	s_cbranch_execz .LBB233_1409
; %bb.1402:                             ;   in Loop: Header=BB233_806 Depth=1
	v_bfrev_b32_e32 v23, 1
	v_mov_b32_e32 v24, 0
	s_mov_b32 s15, exec_lo
	v_cmpx_ne_u16_e32 0x80, v6
	s_cbranch_execz .LBB233_1408
; %bb.1403:                             ;   in Loop: Header=BB233_806 Depth=1
	v_mov_b32_e32 v23, 0x7f800001
	v_bfe_u32 v10, v34, 16, 7
	v_mov_b32_e32 v24, 0
	s_mov_b32 s16, exec_lo
	v_cmpx_ne_u32_e32 0x7f, v10
	s_cbranch_execz .LBB233_1407
; %bb.1404:                             ;   in Loop: Header=BB233_806 Depth=1
	v_mov_b32_e32 v6, 7
	v_lshrrev_b32_e32 v8, 3, v10
	s_mov_b32 s17, exec_lo
	v_and_b32_sdwa v6, v34, v6 dst_sel:DWORD dst_unused:UNUSED_PAD src0_sel:WORD_1 src1_sel:DWORD
	v_cmpx_gt_u32_e32 8, v10
; %bb.1405:                             ;   in Loop: Header=BB233_806 Depth=1
	v_ffbh_u32_e32 v8, v6
	v_min_u32_e32 v8, 32, v8
	v_subrev_nc_u32_e32 v10, 28, v8
	v_sub_nc_u32_e32 v8, 29, v8
	v_lshlrev_b64 v[23:24], v10, v[6:7]
	v_and_b32_e32 v6, 7, v23
; %bb.1406:                             ;   in Loop: Header=BB233_806 Depth=1
	s_or_b32 exec_lo, exec_lo, s17
	v_mov_b32_e32 v10, 24
	v_lshlrev_b32_e32 v6, 20, v6
	v_lshl_add_u32 v8, v8, 23, 0x3c000000
	v_lshlrev_b32_sdwa v10, v10, v34 dst_sel:DWORD dst_unused:UNUSED_PAD src0_sel:DWORD src1_sel:WORD_1
	v_and_b32_e32 v10, 0x80000000, v10
	v_or3_b32 v6, v6, v10, v8
	v_mov_b32_e32 v24, v7
	v_mov_b32_e32 v23, v6
.LBB233_1407:                           ;   in Loop: Header=BB233_806 Depth=1
	s_or_b32 exec_lo, exec_lo, s16
.LBB233_1408:                           ;   in Loop: Header=BB233_806 Depth=1
	s_or_b32 exec_lo, exec_lo, s15
.LBB233_1409:                           ;   in Loop: Header=BB233_806 Depth=1
	s_or_b32 exec_lo, exec_lo, s13
	s_mov_b32 s13, exec_lo
	v_cmpx_lt_u32_e32 0xffffff, v34
	s_cbranch_execz .LBB233_1417
; %bb.1410:                             ;   in Loop: Header=BB233_806 Depth=1
	v_mov_b32_e32 v8, v7
	v_mov_b32_e32 v21, v9
	v_cmp_ne_u32_sdwa s4, v34, v81 src0_sel:BYTE_3 src1_sel:DWORD
	v_mov_b32_e32 v20, v8
	s_and_saveexec_b32 s15, s4
	s_cbranch_execz .LBB233_1416
; %bb.1411:                             ;   in Loop: Header=BB233_806 Depth=1
	v_mov_b32_e32 v10, v7
	v_mov_b32_e32 v21, v11
	v_bfe_u32 v35, v34, 24, 7
	s_mov_b32 s16, exec_lo
	v_mov_b32_e32 v20, v10
	v_cmpx_ne_u32_e32 0x7f, v35
	s_cbranch_execz .LBB233_1415
; %bb.1412:                             ;   in Loop: Header=BB233_806 Depth=1
	v_mov_b32_e32 v6, 7
	v_lshrrev_b32_e32 v8, 3, v35
	s_mov_b32 s17, exec_lo
	v_and_b32_sdwa v6, v34, v6 dst_sel:DWORD dst_unused:UNUSED_PAD src0_sel:BYTE_3 src1_sel:DWORD
	v_cmpx_gt_u32_e32 8, v35
; %bb.1413:                             ;   in Loop: Header=BB233_806 Depth=1
	v_ffbh_u32_e32 v8, v6
	v_min_u32_e32 v8, 32, v8
	v_subrev_nc_u32_e32 v10, 28, v8
	v_sub_nc_u32_e32 v8, 29, v8
	v_lshlrev_b64 v[20:21], v10, v[6:7]
	v_and_b32_e32 v6, 7, v20
; %bb.1414:                             ;   in Loop: Header=BB233_806 Depth=1
	s_or_b32 exec_lo, exec_lo, s17
	v_mov_b32_e32 v10, 24
	v_lshlrev_b32_e32 v6, 20, v6
	v_lshl_add_u32 v8, v8, 23, 0x3c000000
	v_mov_b32_e32 v20, v7
	v_lshlrev_b32_sdwa v10, v10, v34 dst_sel:DWORD dst_unused:UNUSED_PAD src0_sel:DWORD src1_sel:BYTE_3
	v_and_b32_e32 v10, 0x80000000, v10
	v_or3_b32 v21, v6, v10, v8
.LBB233_1415:                           ;   in Loop: Header=BB233_806 Depth=1
	s_or_b32 exec_lo, exec_lo, s16
.LBB233_1416:                           ;   in Loop: Header=BB233_806 Depth=1
	s_or_b32 exec_lo, exec_lo, s15
.LBB233_1417:                           ;   in Loop: Header=BB233_806 Depth=1
	s_or_b32 exec_lo, exec_lo, s13
	v_or_b32_e32 v6, v19, v17
	v_or_b32_e32 v8, v18, v16
	;; [unrolled: 1-line block ×4, first 2 shown]
	v_mul_f32_e32 v37, v27, v6
	v_mul_f32_e32 v36, v27, v8
	v_mul_f32_e32 v35, v27, v10
	v_mul_f32_e32 v34, v27, v16
	s_and_saveexec_b32 s13, vcc_lo
	s_cbranch_execz .LBB233_1419
; %bb.1418:                             ;   in Loop: Header=BB233_806 Depth=1
	v_cmp_lt_i32_e64 s4, v101, v38
	v_cndmask_b32_e64 v36, 0, v36, s4
	v_cmp_lt_i32_e64 s4, v112, v38
	v_cndmask_b32_e64 v37, 0, v37, s4
	;; [unrolled: 2-line block ×4, first 2 shown]
.LBB233_1419:                           ;   in Loop: Header=BB233_806 Depth=1
	s_or_b32 exec_lo, exec_lo, s13
	flat_load_dword v39, v[4:5] offset:256
	v_mov_b32_e32 v18, 0
	v_mov_b32_e32 v16, 0
	;; [unrolled: 1-line block ×4, first 2 shown]
	s_waitcnt vmcnt(0) lgkmcnt(0)
	v_cmp_ne_u16_sdwa s4, v39, v7 src0_sel:BYTE_0 src1_sel:DWORD
	s_and_saveexec_b32 s13, s4
	s_cbranch_execz .LBB233_1427
; %bb.1420:                             ;   in Loop: Header=BB233_806 Depth=1
	v_bfrev_b32_e32 v16, 1
	v_mov_b32_e32 v17, 0
	v_cmp_ne_u16_sdwa s4, v39, v81 src0_sel:BYTE_0 src1_sel:DWORD
	s_and_saveexec_b32 s15, s4
	s_cbranch_execz .LBB233_1426
; %bb.1421:                             ;   in Loop: Header=BB233_806 Depth=1
	v_mov_b32_e32 v16, 0x7f800001
	v_and_b32_e32 v10, 0x7f, v39
	v_mov_b32_e32 v17, 0
	s_mov_b32 s16, exec_lo
	v_cmpx_ne_u32_e32 0x7f, v10
	s_cbranch_execz .LBB233_1425
; %bb.1422:                             ;   in Loop: Header=BB233_806 Depth=1
	v_and_b32_e32 v6, 7, v39
	v_lshrrev_b32_e32 v8, 3, v10
	s_mov_b32 s17, exec_lo
	v_cmpx_gt_u32_e32 8, v10
; %bb.1423:                             ;   in Loop: Header=BB233_806 Depth=1
	v_ffbh_u32_e32 v8, v6
	v_min_u32_e32 v8, 32, v8
	v_subrev_nc_u32_e32 v10, 28, v8
	v_sub_nc_u32_e32 v8, 29, v8
	v_lshlrev_b64 v[16:17], v10, v[6:7]
	v_and_b32_e32 v6, 7, v16
; %bb.1424:                             ;   in Loop: Header=BB233_806 Depth=1
	s_or_b32 exec_lo, exec_lo, s17
	v_lshlrev_b32_e32 v10, 24, v39
	v_lshlrev_b32_e32 v6, 20, v6
	v_lshl_add_u32 v8, v8, 23, 0x3c000000
	v_and_b32_e32 v10, 0x80000000, v10
	v_or3_b32 v6, v6, v10, v8
	v_mov_b32_e32 v17, v7
	v_mov_b32_e32 v16, v6
.LBB233_1425:                           ;   in Loop: Header=BB233_806 Depth=1
	s_or_b32 exec_lo, exec_lo, s16
.LBB233_1426:                           ;   in Loop: Header=BB233_806 Depth=1
	s_or_b32 exec_lo, exec_lo, s15
.LBB233_1427:                           ;   in Loop: Header=BB233_806 Depth=1
	s_or_b32 exec_lo, exec_lo, s13
	v_cmp_ne_u16_sdwa s4, v39, v7 src0_sel:BYTE_1 src1_sel:DWORD
	s_and_saveexec_b32 s13, s4
	s_cbranch_execz .LBB233_1435
; %bb.1428:                             ;   in Loop: Header=BB233_806 Depth=1
	v_mov_b32_e32 v8, v7
	v_mov_b32_e32 v19, v9
	v_cmp_ne_u16_sdwa s4, v39, v81 src0_sel:BYTE_1 src1_sel:DWORD
	v_mov_b32_e32 v18, v8
	s_and_saveexec_b32 s15, s4
	s_cbranch_execz .LBB233_1434
; %bb.1429:                             ;   in Loop: Header=BB233_806 Depth=1
	v_mov_b32_e32 v6, 0xffff
	v_mov_b32_e32 v10, v7
	;; [unrolled: 1-line block ×3, first 2 shown]
	s_mov_b32 s16, exec_lo
	v_and_b32_sdwa v6, v6, v39 dst_sel:DWORD dst_unused:UNUSED_PAD src0_sel:DWORD src1_sel:BYTE_1
	v_mov_b32_e32 v18, v10
	v_and_b32_e32 v20, 0x7f, v6
	v_cmpx_ne_u32_e32 0x7f, v20
	s_cbranch_execz .LBB233_1433
; %bb.1430:                             ;   in Loop: Header=BB233_806 Depth=1
	v_and_b32_e32 v6, 7, v6
	v_lshrrev_b32_e32 v8, 3, v20
	s_mov_b32 s17, exec_lo
	v_cmpx_gt_u32_e32 8, v20
; %bb.1431:                             ;   in Loop: Header=BB233_806 Depth=1
	v_ffbh_u32_e32 v8, v6
	v_min_u32_e32 v8, 32, v8
	v_subrev_nc_u32_e32 v10, 28, v8
	v_sub_nc_u32_e32 v8, 29, v8
	v_lshlrev_b64 v[18:19], v10, v[6:7]
	v_and_b32_e32 v6, 7, v18
; %bb.1432:                             ;   in Loop: Header=BB233_806 Depth=1
	s_or_b32 exec_lo, exec_lo, s17
	v_lshlrev_b32_e32 v10, 16, v39
	v_lshlrev_b32_e32 v6, 20, v6
	v_lshl_add_u32 v8, v8, 23, 0x3c000000
	v_mov_b32_e32 v18, v7
	v_and_b32_e32 v10, 0x80000000, v10
	v_or3_b32 v19, v6, v10, v8
.LBB233_1433:                           ;   in Loop: Header=BB233_806 Depth=1
	s_or_b32 exec_lo, exec_lo, s16
.LBB233_1434:                           ;   in Loop: Header=BB233_806 Depth=1
	s_or_b32 exec_lo, exec_lo, s15
.LBB233_1435:                           ;   in Loop: Header=BB233_806 Depth=1
	s_or_b32 exec_lo, exec_lo, s13
	v_mov_b32_e32 v20, 0
	v_mov_b32_e32 v23, 0
	v_and_b32_sdwa v6, v39, v83 dst_sel:DWORD dst_unused:UNUSED_PAD src0_sel:WORD_1 src1_sel:DWORD
	v_mov_b32_e32 v21, 0
	v_mov_b32_e32 v24, 0
	s_mov_b32 s13, exec_lo
	v_cmpx_ne_u16_e32 0, v6
	s_cbranch_execz .LBB233_1443
; %bb.1436:                             ;   in Loop: Header=BB233_806 Depth=1
	v_bfrev_b32_e32 v23, 1
	v_mov_b32_e32 v24, 0
	s_mov_b32 s15, exec_lo
	v_cmpx_ne_u16_e32 0x80, v6
	s_cbranch_execz .LBB233_1442
; %bb.1437:                             ;   in Loop: Header=BB233_806 Depth=1
	v_mov_b32_e32 v23, 0x7f800001
	v_bfe_u32 v10, v39, 16, 7
	v_mov_b32_e32 v24, 0
	s_mov_b32 s16, exec_lo
	v_cmpx_ne_u32_e32 0x7f, v10
	s_cbranch_execz .LBB233_1441
; %bb.1438:                             ;   in Loop: Header=BB233_806 Depth=1
	v_mov_b32_e32 v6, 7
	v_lshrrev_b32_e32 v8, 3, v10
	s_mov_b32 s17, exec_lo
	v_and_b32_sdwa v6, v39, v6 dst_sel:DWORD dst_unused:UNUSED_PAD src0_sel:WORD_1 src1_sel:DWORD
	v_cmpx_gt_u32_e32 8, v10
; %bb.1439:                             ;   in Loop: Header=BB233_806 Depth=1
	v_ffbh_u32_e32 v8, v6
	v_min_u32_e32 v8, 32, v8
	v_subrev_nc_u32_e32 v10, 28, v8
	v_sub_nc_u32_e32 v8, 29, v8
	v_lshlrev_b64 v[23:24], v10, v[6:7]
	v_and_b32_e32 v6, 7, v23
; %bb.1440:                             ;   in Loop: Header=BB233_806 Depth=1
	s_or_b32 exec_lo, exec_lo, s17
	v_mov_b32_e32 v10, 24
	v_lshlrev_b32_e32 v6, 20, v6
	v_lshl_add_u32 v8, v8, 23, 0x3c000000
	v_lshlrev_b32_sdwa v10, v10, v39 dst_sel:DWORD dst_unused:UNUSED_PAD src0_sel:DWORD src1_sel:WORD_1
	v_and_b32_e32 v10, 0x80000000, v10
	v_or3_b32 v6, v6, v10, v8
	v_mov_b32_e32 v24, v7
	v_mov_b32_e32 v23, v6
.LBB233_1441:                           ;   in Loop: Header=BB233_806 Depth=1
	s_or_b32 exec_lo, exec_lo, s16
.LBB233_1442:                           ;   in Loop: Header=BB233_806 Depth=1
	s_or_b32 exec_lo, exec_lo, s15
.LBB233_1443:                           ;   in Loop: Header=BB233_806 Depth=1
	s_or_b32 exec_lo, exec_lo, s13
	s_mov_b32 s13, exec_lo
	v_cmpx_lt_u32_e32 0xffffff, v39
	s_cbranch_execz .LBB233_1451
; %bb.1444:                             ;   in Loop: Header=BB233_806 Depth=1
	v_mov_b32_e32 v8, v7
	v_mov_b32_e32 v21, v9
	v_cmp_ne_u32_sdwa s4, v39, v81 src0_sel:BYTE_3 src1_sel:DWORD
	v_mov_b32_e32 v20, v8
	s_and_saveexec_b32 s15, s4
	s_cbranch_execz .LBB233_1450
; %bb.1445:                             ;   in Loop: Header=BB233_806 Depth=1
	v_mov_b32_e32 v10, v7
	v_mov_b32_e32 v21, v11
	v_bfe_u32 v48, v39, 24, 7
	s_mov_b32 s16, exec_lo
	v_mov_b32_e32 v20, v10
	v_cmpx_ne_u32_e32 0x7f, v48
	s_cbranch_execz .LBB233_1449
; %bb.1446:                             ;   in Loop: Header=BB233_806 Depth=1
	v_mov_b32_e32 v6, 7
	v_lshrrev_b32_e32 v8, 3, v48
	s_mov_b32 s17, exec_lo
	v_and_b32_sdwa v6, v39, v6 dst_sel:DWORD dst_unused:UNUSED_PAD src0_sel:BYTE_3 src1_sel:DWORD
	v_cmpx_gt_u32_e32 8, v48
; %bb.1447:                             ;   in Loop: Header=BB233_806 Depth=1
	v_ffbh_u32_e32 v8, v6
	v_min_u32_e32 v8, 32, v8
	v_subrev_nc_u32_e32 v10, 28, v8
	v_sub_nc_u32_e32 v8, 29, v8
	v_lshlrev_b64 v[20:21], v10, v[6:7]
	v_and_b32_e32 v6, 7, v20
; %bb.1448:                             ;   in Loop: Header=BB233_806 Depth=1
	s_or_b32 exec_lo, exec_lo, s17
	v_mov_b32_e32 v10, 24
	v_lshlrev_b32_e32 v6, 20, v6
	v_lshl_add_u32 v8, v8, 23, 0x3c000000
	v_mov_b32_e32 v20, v7
	v_lshlrev_b32_sdwa v10, v10, v39 dst_sel:DWORD dst_unused:UNUSED_PAD src0_sel:DWORD src1_sel:BYTE_3
	v_and_b32_e32 v10, 0x80000000, v10
	v_or3_b32 v21, v6, v10, v8
.LBB233_1449:                           ;   in Loop: Header=BB233_806 Depth=1
	s_or_b32 exec_lo, exec_lo, s16
.LBB233_1450:                           ;   in Loop: Header=BB233_806 Depth=1
	s_or_b32 exec_lo, exec_lo, s15
.LBB233_1451:                           ;   in Loop: Header=BB233_806 Depth=1
	s_or_b32 exec_lo, exec_lo, s13
	v_or_b32_e32 v6, v19, v17
	v_or_b32_e32 v8, v18, v16
	;; [unrolled: 1-line block ×4, first 2 shown]
	v_mul_f32_e32 v50, v27, v6
	v_mul_f32_e32 v49, v27, v8
	;; [unrolled: 1-line block ×4, first 2 shown]
	s_and_saveexec_b32 s13, vcc_lo
	s_cbranch_execz .LBB233_1453
; %bb.1452:                             ;   in Loop: Header=BB233_806 Depth=1
	v_cmp_lt_i32_e64 s4, v101, v38
	v_cndmask_b32_e64 v49, 0, v49, s4
	v_cmp_lt_i32_e64 s4, v112, v38
	v_cndmask_b32_e64 v50, 0, v50, s4
	;; [unrolled: 2-line block ×4, first 2 shown]
.LBB233_1453:                           ;   in Loop: Header=BB233_806 Depth=1
	s_or_b32 exec_lo, exec_lo, s13
	flat_load_dword v51, v[4:5] offset:384
	v_mov_b32_e32 v18, 0
	v_mov_b32_e32 v16, 0
	;; [unrolled: 1-line block ×4, first 2 shown]
	s_waitcnt vmcnt(0) lgkmcnt(0)
	v_cmp_ne_u16_sdwa s4, v51, v7 src0_sel:BYTE_0 src1_sel:DWORD
	s_and_saveexec_b32 s13, s4
	s_cbranch_execz .LBB233_1461
; %bb.1454:                             ;   in Loop: Header=BB233_806 Depth=1
	v_bfrev_b32_e32 v16, 1
	v_mov_b32_e32 v17, 0
	v_cmp_ne_u16_sdwa s4, v51, v81 src0_sel:BYTE_0 src1_sel:DWORD
	s_and_saveexec_b32 s15, s4
	s_cbranch_execz .LBB233_1460
; %bb.1455:                             ;   in Loop: Header=BB233_806 Depth=1
	v_mov_b32_e32 v16, 0x7f800001
	v_and_b32_e32 v10, 0x7f, v51
	v_mov_b32_e32 v17, 0
	s_mov_b32 s16, exec_lo
	v_cmpx_ne_u32_e32 0x7f, v10
	s_cbranch_execz .LBB233_1459
; %bb.1456:                             ;   in Loop: Header=BB233_806 Depth=1
	v_and_b32_e32 v6, 7, v51
	v_lshrrev_b32_e32 v8, 3, v10
	s_mov_b32 s17, exec_lo
	v_cmpx_gt_u32_e32 8, v10
; %bb.1457:                             ;   in Loop: Header=BB233_806 Depth=1
	v_ffbh_u32_e32 v8, v6
	v_min_u32_e32 v8, 32, v8
	v_subrev_nc_u32_e32 v10, 28, v8
	v_sub_nc_u32_e32 v8, 29, v8
	v_lshlrev_b64 v[16:17], v10, v[6:7]
	v_and_b32_e32 v6, 7, v16
; %bb.1458:                             ;   in Loop: Header=BB233_806 Depth=1
	s_or_b32 exec_lo, exec_lo, s17
	v_lshlrev_b32_e32 v10, 24, v51
	v_lshlrev_b32_e32 v6, 20, v6
	v_lshl_add_u32 v8, v8, 23, 0x3c000000
	v_and_b32_e32 v10, 0x80000000, v10
	v_or3_b32 v6, v6, v10, v8
	v_mov_b32_e32 v17, v7
	v_mov_b32_e32 v16, v6
.LBB233_1459:                           ;   in Loop: Header=BB233_806 Depth=1
	s_or_b32 exec_lo, exec_lo, s16
.LBB233_1460:                           ;   in Loop: Header=BB233_806 Depth=1
	s_or_b32 exec_lo, exec_lo, s15
.LBB233_1461:                           ;   in Loop: Header=BB233_806 Depth=1
	s_or_b32 exec_lo, exec_lo, s13
	v_cmp_ne_u16_sdwa s4, v51, v7 src0_sel:BYTE_1 src1_sel:DWORD
	s_and_saveexec_b32 s13, s4
	s_cbranch_execz .LBB233_1469
; %bb.1462:                             ;   in Loop: Header=BB233_806 Depth=1
	v_mov_b32_e32 v8, v7
	v_mov_b32_e32 v19, v9
	v_cmp_ne_u16_sdwa s4, v51, v81 src0_sel:BYTE_1 src1_sel:DWORD
	v_mov_b32_e32 v18, v8
	s_and_saveexec_b32 s15, s4
	s_cbranch_execz .LBB233_1468
; %bb.1463:                             ;   in Loop: Header=BB233_806 Depth=1
	v_mov_b32_e32 v6, 0xffff
	v_mov_b32_e32 v10, v7
	;; [unrolled: 1-line block ×3, first 2 shown]
	s_mov_b32 s16, exec_lo
	v_and_b32_sdwa v6, v6, v51 dst_sel:DWORD dst_unused:UNUSED_PAD src0_sel:DWORD src1_sel:BYTE_1
	v_mov_b32_e32 v18, v10
	v_and_b32_e32 v20, 0x7f, v6
	v_cmpx_ne_u32_e32 0x7f, v20
	s_cbranch_execz .LBB233_1467
; %bb.1464:                             ;   in Loop: Header=BB233_806 Depth=1
	v_and_b32_e32 v6, 7, v6
	v_lshrrev_b32_e32 v8, 3, v20
	s_mov_b32 s17, exec_lo
	v_cmpx_gt_u32_e32 8, v20
; %bb.1465:                             ;   in Loop: Header=BB233_806 Depth=1
	v_ffbh_u32_e32 v8, v6
	v_min_u32_e32 v8, 32, v8
	v_subrev_nc_u32_e32 v10, 28, v8
	v_sub_nc_u32_e32 v8, 29, v8
	v_lshlrev_b64 v[18:19], v10, v[6:7]
	v_and_b32_e32 v6, 7, v18
; %bb.1466:                             ;   in Loop: Header=BB233_806 Depth=1
	s_or_b32 exec_lo, exec_lo, s17
	v_lshlrev_b32_e32 v10, 16, v51
	v_lshlrev_b32_e32 v6, 20, v6
	v_lshl_add_u32 v8, v8, 23, 0x3c000000
	v_mov_b32_e32 v18, v7
	v_and_b32_e32 v10, 0x80000000, v10
	v_or3_b32 v19, v6, v10, v8
.LBB233_1467:                           ;   in Loop: Header=BB233_806 Depth=1
	s_or_b32 exec_lo, exec_lo, s16
.LBB233_1468:                           ;   in Loop: Header=BB233_806 Depth=1
	s_or_b32 exec_lo, exec_lo, s15
.LBB233_1469:                           ;   in Loop: Header=BB233_806 Depth=1
	s_or_b32 exec_lo, exec_lo, s13
	v_mov_b32_e32 v20, 0
	v_mov_b32_e32 v23, 0
	v_and_b32_sdwa v6, v51, v83 dst_sel:DWORD dst_unused:UNUSED_PAD src0_sel:WORD_1 src1_sel:DWORD
	v_mov_b32_e32 v21, 0
	v_mov_b32_e32 v24, 0
	s_mov_b32 s13, exec_lo
	v_cmpx_ne_u16_e32 0, v6
	s_cbranch_execz .LBB233_1477
; %bb.1470:                             ;   in Loop: Header=BB233_806 Depth=1
	v_bfrev_b32_e32 v23, 1
	v_mov_b32_e32 v24, 0
	s_mov_b32 s15, exec_lo
	v_cmpx_ne_u16_e32 0x80, v6
	s_cbranch_execz .LBB233_1476
; %bb.1471:                             ;   in Loop: Header=BB233_806 Depth=1
	v_mov_b32_e32 v23, 0x7f800001
	v_bfe_u32 v10, v51, 16, 7
	v_mov_b32_e32 v24, 0
	s_mov_b32 s16, exec_lo
	v_cmpx_ne_u32_e32 0x7f, v10
	s_cbranch_execz .LBB233_1475
; %bb.1472:                             ;   in Loop: Header=BB233_806 Depth=1
	v_mov_b32_e32 v6, 7
	v_lshrrev_b32_e32 v8, 3, v10
	s_mov_b32 s17, exec_lo
	v_and_b32_sdwa v6, v51, v6 dst_sel:DWORD dst_unused:UNUSED_PAD src0_sel:WORD_1 src1_sel:DWORD
	v_cmpx_gt_u32_e32 8, v10
; %bb.1473:                             ;   in Loop: Header=BB233_806 Depth=1
	v_ffbh_u32_e32 v8, v6
	v_min_u32_e32 v8, 32, v8
	v_subrev_nc_u32_e32 v10, 28, v8
	v_sub_nc_u32_e32 v8, 29, v8
	v_lshlrev_b64 v[23:24], v10, v[6:7]
	v_and_b32_e32 v6, 7, v23
; %bb.1474:                             ;   in Loop: Header=BB233_806 Depth=1
	s_or_b32 exec_lo, exec_lo, s17
	v_mov_b32_e32 v10, 24
	v_lshlrev_b32_e32 v6, 20, v6
	v_lshl_add_u32 v8, v8, 23, 0x3c000000
	v_lshlrev_b32_sdwa v10, v10, v51 dst_sel:DWORD dst_unused:UNUSED_PAD src0_sel:DWORD src1_sel:WORD_1
	v_and_b32_e32 v10, 0x80000000, v10
	v_or3_b32 v6, v6, v10, v8
	v_mov_b32_e32 v24, v7
	v_mov_b32_e32 v23, v6
.LBB233_1475:                           ;   in Loop: Header=BB233_806 Depth=1
	s_or_b32 exec_lo, exec_lo, s16
.LBB233_1476:                           ;   in Loop: Header=BB233_806 Depth=1
	s_or_b32 exec_lo, exec_lo, s15
.LBB233_1477:                           ;   in Loop: Header=BB233_806 Depth=1
	s_or_b32 exec_lo, exec_lo, s13
	s_mov_b32 s13, exec_lo
	v_cmpx_lt_u32_e32 0xffffff, v51
	s_cbranch_execz .LBB233_1485
; %bb.1478:                             ;   in Loop: Header=BB233_806 Depth=1
	v_mov_b32_e32 v8, v7
	v_mov_b32_e32 v21, v9
	v_cmp_ne_u32_sdwa s4, v51, v81 src0_sel:BYTE_3 src1_sel:DWORD
	v_mov_b32_e32 v20, v8
	s_and_saveexec_b32 s15, s4
	s_cbranch_execz .LBB233_1484
; %bb.1479:                             ;   in Loop: Header=BB233_806 Depth=1
	v_mov_b32_e32 v10, v7
	v_mov_b32_e32 v21, v11
	v_bfe_u32 v52, v51, 24, 7
	s_mov_b32 s16, exec_lo
	v_mov_b32_e32 v20, v10
	v_cmpx_ne_u32_e32 0x7f, v52
	s_cbranch_execz .LBB233_1483
; %bb.1480:                             ;   in Loop: Header=BB233_806 Depth=1
	v_mov_b32_e32 v6, 7
	v_lshrrev_b32_e32 v8, 3, v52
	s_mov_b32 s17, exec_lo
	v_and_b32_sdwa v6, v51, v6 dst_sel:DWORD dst_unused:UNUSED_PAD src0_sel:BYTE_3 src1_sel:DWORD
	v_cmpx_gt_u32_e32 8, v52
; %bb.1481:                             ;   in Loop: Header=BB233_806 Depth=1
	v_ffbh_u32_e32 v8, v6
	v_min_u32_e32 v8, 32, v8
	v_subrev_nc_u32_e32 v10, 28, v8
	v_sub_nc_u32_e32 v8, 29, v8
	v_lshlrev_b64 v[20:21], v10, v[6:7]
	v_and_b32_e32 v6, 7, v20
; %bb.1482:                             ;   in Loop: Header=BB233_806 Depth=1
	s_or_b32 exec_lo, exec_lo, s17
	v_mov_b32_e32 v10, 24
	v_lshlrev_b32_e32 v6, 20, v6
	v_lshl_add_u32 v8, v8, 23, 0x3c000000
	v_mov_b32_e32 v20, v7
	v_lshlrev_b32_sdwa v10, v10, v51 dst_sel:DWORD dst_unused:UNUSED_PAD src0_sel:DWORD src1_sel:BYTE_3
	v_and_b32_e32 v10, 0x80000000, v10
	v_or3_b32 v21, v6, v10, v8
.LBB233_1483:                           ;   in Loop: Header=BB233_806 Depth=1
	s_or_b32 exec_lo, exec_lo, s16
.LBB233_1484:                           ;   in Loop: Header=BB233_806 Depth=1
	s_or_b32 exec_lo, exec_lo, s15
.LBB233_1485:                           ;   in Loop: Header=BB233_806 Depth=1
	s_or_b32 exec_lo, exec_lo, s13
	v_or_b32_e32 v6, v19, v17
	v_or_b32_e32 v8, v18, v16
	;; [unrolled: 1-line block ×4, first 2 shown]
	v_mul_f32_e32 v54, v27, v6
	v_mul_f32_e32 v53, v27, v8
	;; [unrolled: 1-line block ×4, first 2 shown]
	s_and_saveexec_b32 s13, vcc_lo
	s_cbranch_execz .LBB233_1487
; %bb.1486:                             ;   in Loop: Header=BB233_806 Depth=1
	v_cmp_lt_i32_e64 s4, v101, v38
	v_cndmask_b32_e64 v53, 0, v53, s4
	v_cmp_lt_i32_e64 s4, v112, v38
	v_cndmask_b32_e64 v54, 0, v54, s4
	;; [unrolled: 2-line block ×4, first 2 shown]
.LBB233_1487:                           ;   in Loop: Header=BB233_806 Depth=1
	s_or_b32 exec_lo, exec_lo, s13
	flat_load_dword v55, v[4:5] offset:512
	v_mov_b32_e32 v18, 0
	v_mov_b32_e32 v16, 0
	;; [unrolled: 1-line block ×4, first 2 shown]
	s_waitcnt vmcnt(0) lgkmcnt(0)
	v_cmp_ne_u16_sdwa s4, v55, v7 src0_sel:BYTE_0 src1_sel:DWORD
	s_and_saveexec_b32 s13, s4
	s_cbranch_execz .LBB233_1495
; %bb.1488:                             ;   in Loop: Header=BB233_806 Depth=1
	v_bfrev_b32_e32 v16, 1
	v_mov_b32_e32 v17, 0
	v_cmp_ne_u16_sdwa s4, v55, v81 src0_sel:BYTE_0 src1_sel:DWORD
	s_and_saveexec_b32 s15, s4
	s_cbranch_execz .LBB233_1494
; %bb.1489:                             ;   in Loop: Header=BB233_806 Depth=1
	v_mov_b32_e32 v16, 0x7f800001
	v_and_b32_e32 v10, 0x7f, v55
	v_mov_b32_e32 v17, 0
	s_mov_b32 s16, exec_lo
	v_cmpx_ne_u32_e32 0x7f, v10
	s_cbranch_execz .LBB233_1493
; %bb.1490:                             ;   in Loop: Header=BB233_806 Depth=1
	v_and_b32_e32 v6, 7, v55
	v_lshrrev_b32_e32 v8, 3, v10
	s_mov_b32 s17, exec_lo
	v_cmpx_gt_u32_e32 8, v10
; %bb.1491:                             ;   in Loop: Header=BB233_806 Depth=1
	v_ffbh_u32_e32 v8, v6
	v_min_u32_e32 v8, 32, v8
	v_subrev_nc_u32_e32 v10, 28, v8
	v_sub_nc_u32_e32 v8, 29, v8
	v_lshlrev_b64 v[16:17], v10, v[6:7]
	v_and_b32_e32 v6, 7, v16
; %bb.1492:                             ;   in Loop: Header=BB233_806 Depth=1
	s_or_b32 exec_lo, exec_lo, s17
	v_lshlrev_b32_e32 v10, 24, v55
	v_lshlrev_b32_e32 v6, 20, v6
	v_lshl_add_u32 v8, v8, 23, 0x3c000000
	v_and_b32_e32 v10, 0x80000000, v10
	v_or3_b32 v6, v6, v10, v8
	v_mov_b32_e32 v17, v7
	v_mov_b32_e32 v16, v6
.LBB233_1493:                           ;   in Loop: Header=BB233_806 Depth=1
	s_or_b32 exec_lo, exec_lo, s16
.LBB233_1494:                           ;   in Loop: Header=BB233_806 Depth=1
	s_or_b32 exec_lo, exec_lo, s15
.LBB233_1495:                           ;   in Loop: Header=BB233_806 Depth=1
	s_or_b32 exec_lo, exec_lo, s13
	v_cmp_ne_u16_sdwa s4, v55, v7 src0_sel:BYTE_1 src1_sel:DWORD
	s_and_saveexec_b32 s13, s4
	s_cbranch_execz .LBB233_1503
; %bb.1496:                             ;   in Loop: Header=BB233_806 Depth=1
	v_mov_b32_e32 v8, v7
	v_mov_b32_e32 v19, v9
	v_cmp_ne_u16_sdwa s4, v55, v81 src0_sel:BYTE_1 src1_sel:DWORD
	v_mov_b32_e32 v18, v8
	s_and_saveexec_b32 s15, s4
	s_cbranch_execz .LBB233_1502
; %bb.1497:                             ;   in Loop: Header=BB233_806 Depth=1
	v_mov_b32_e32 v6, 0xffff
	v_mov_b32_e32 v10, v7
	;; [unrolled: 1-line block ×3, first 2 shown]
	s_mov_b32 s16, exec_lo
	v_and_b32_sdwa v6, v6, v55 dst_sel:DWORD dst_unused:UNUSED_PAD src0_sel:DWORD src1_sel:BYTE_1
	v_mov_b32_e32 v18, v10
	v_and_b32_e32 v20, 0x7f, v6
	v_cmpx_ne_u32_e32 0x7f, v20
	s_cbranch_execz .LBB233_1501
; %bb.1498:                             ;   in Loop: Header=BB233_806 Depth=1
	v_and_b32_e32 v6, 7, v6
	v_lshrrev_b32_e32 v8, 3, v20
	s_mov_b32 s17, exec_lo
	v_cmpx_gt_u32_e32 8, v20
; %bb.1499:                             ;   in Loop: Header=BB233_806 Depth=1
	v_ffbh_u32_e32 v8, v6
	v_min_u32_e32 v8, 32, v8
	v_subrev_nc_u32_e32 v10, 28, v8
	v_sub_nc_u32_e32 v8, 29, v8
	v_lshlrev_b64 v[18:19], v10, v[6:7]
	v_and_b32_e32 v6, 7, v18
; %bb.1500:                             ;   in Loop: Header=BB233_806 Depth=1
	s_or_b32 exec_lo, exec_lo, s17
	v_lshlrev_b32_e32 v10, 16, v55
	v_lshlrev_b32_e32 v6, 20, v6
	v_lshl_add_u32 v8, v8, 23, 0x3c000000
	v_mov_b32_e32 v18, v7
	v_and_b32_e32 v10, 0x80000000, v10
	v_or3_b32 v19, v6, v10, v8
.LBB233_1501:                           ;   in Loop: Header=BB233_806 Depth=1
	s_or_b32 exec_lo, exec_lo, s16
.LBB233_1502:                           ;   in Loop: Header=BB233_806 Depth=1
	s_or_b32 exec_lo, exec_lo, s15
.LBB233_1503:                           ;   in Loop: Header=BB233_806 Depth=1
	s_or_b32 exec_lo, exec_lo, s13
	v_mov_b32_e32 v20, 0
	v_mov_b32_e32 v23, 0
	v_and_b32_sdwa v6, v55, v83 dst_sel:DWORD dst_unused:UNUSED_PAD src0_sel:WORD_1 src1_sel:DWORD
	v_mov_b32_e32 v21, 0
	v_mov_b32_e32 v24, 0
	s_mov_b32 s13, exec_lo
	v_cmpx_ne_u16_e32 0, v6
	s_cbranch_execz .LBB233_1511
; %bb.1504:                             ;   in Loop: Header=BB233_806 Depth=1
	v_bfrev_b32_e32 v23, 1
	v_mov_b32_e32 v24, 0
	s_mov_b32 s15, exec_lo
	v_cmpx_ne_u16_e32 0x80, v6
	s_cbranch_execz .LBB233_1510
; %bb.1505:                             ;   in Loop: Header=BB233_806 Depth=1
	v_mov_b32_e32 v23, 0x7f800001
	v_bfe_u32 v10, v55, 16, 7
	v_mov_b32_e32 v24, 0
	s_mov_b32 s16, exec_lo
	v_cmpx_ne_u32_e32 0x7f, v10
	s_cbranch_execz .LBB233_1509
; %bb.1506:                             ;   in Loop: Header=BB233_806 Depth=1
	v_mov_b32_e32 v6, 7
	v_lshrrev_b32_e32 v8, 3, v10
	s_mov_b32 s17, exec_lo
	v_and_b32_sdwa v6, v55, v6 dst_sel:DWORD dst_unused:UNUSED_PAD src0_sel:WORD_1 src1_sel:DWORD
	v_cmpx_gt_u32_e32 8, v10
; %bb.1507:                             ;   in Loop: Header=BB233_806 Depth=1
	v_ffbh_u32_e32 v8, v6
	v_min_u32_e32 v8, 32, v8
	v_subrev_nc_u32_e32 v10, 28, v8
	v_sub_nc_u32_e32 v8, 29, v8
	v_lshlrev_b64 v[23:24], v10, v[6:7]
	v_and_b32_e32 v6, 7, v23
; %bb.1508:                             ;   in Loop: Header=BB233_806 Depth=1
	s_or_b32 exec_lo, exec_lo, s17
	v_mov_b32_e32 v10, 24
	v_lshlrev_b32_e32 v6, 20, v6
	v_lshl_add_u32 v8, v8, 23, 0x3c000000
	v_lshlrev_b32_sdwa v10, v10, v55 dst_sel:DWORD dst_unused:UNUSED_PAD src0_sel:DWORD src1_sel:WORD_1
	v_and_b32_e32 v10, 0x80000000, v10
	v_or3_b32 v6, v6, v10, v8
	v_mov_b32_e32 v24, v7
	v_mov_b32_e32 v23, v6
.LBB233_1509:                           ;   in Loop: Header=BB233_806 Depth=1
	s_or_b32 exec_lo, exec_lo, s16
.LBB233_1510:                           ;   in Loop: Header=BB233_806 Depth=1
	s_or_b32 exec_lo, exec_lo, s15
.LBB233_1511:                           ;   in Loop: Header=BB233_806 Depth=1
	s_or_b32 exec_lo, exec_lo, s13
	s_mov_b32 s13, exec_lo
	v_cmpx_lt_u32_e32 0xffffff, v55
	s_cbranch_execz .LBB233_1519
; %bb.1512:                             ;   in Loop: Header=BB233_806 Depth=1
	v_mov_b32_e32 v8, v7
	v_mov_b32_e32 v21, v9
	v_cmp_ne_u32_sdwa s4, v55, v81 src0_sel:BYTE_3 src1_sel:DWORD
	v_mov_b32_e32 v20, v8
	s_and_saveexec_b32 s15, s4
	s_cbranch_execz .LBB233_1518
; %bb.1513:                             ;   in Loop: Header=BB233_806 Depth=1
	v_mov_b32_e32 v10, v7
	v_mov_b32_e32 v21, v11
	v_bfe_u32 v64, v55, 24, 7
	s_mov_b32 s16, exec_lo
	v_mov_b32_e32 v20, v10
	v_cmpx_ne_u32_e32 0x7f, v64
	s_cbranch_execz .LBB233_1517
; %bb.1514:                             ;   in Loop: Header=BB233_806 Depth=1
	v_mov_b32_e32 v6, 7
	v_lshrrev_b32_e32 v8, 3, v64
	s_mov_b32 s17, exec_lo
	v_and_b32_sdwa v6, v55, v6 dst_sel:DWORD dst_unused:UNUSED_PAD src0_sel:BYTE_3 src1_sel:DWORD
	v_cmpx_gt_u32_e32 8, v64
; %bb.1515:                             ;   in Loop: Header=BB233_806 Depth=1
	v_ffbh_u32_e32 v8, v6
	v_min_u32_e32 v8, 32, v8
	v_subrev_nc_u32_e32 v10, 28, v8
	v_sub_nc_u32_e32 v8, 29, v8
	v_lshlrev_b64 v[20:21], v10, v[6:7]
	v_and_b32_e32 v6, 7, v20
; %bb.1516:                             ;   in Loop: Header=BB233_806 Depth=1
	s_or_b32 exec_lo, exec_lo, s17
	v_mov_b32_e32 v10, 24
	v_lshlrev_b32_e32 v6, 20, v6
	v_lshl_add_u32 v8, v8, 23, 0x3c000000
	v_mov_b32_e32 v20, v7
	v_lshlrev_b32_sdwa v10, v10, v55 dst_sel:DWORD dst_unused:UNUSED_PAD src0_sel:DWORD src1_sel:BYTE_3
	v_and_b32_e32 v10, 0x80000000, v10
	v_or3_b32 v21, v6, v10, v8
.LBB233_1517:                           ;   in Loop: Header=BB233_806 Depth=1
	s_or_b32 exec_lo, exec_lo, s16
.LBB233_1518:                           ;   in Loop: Header=BB233_806 Depth=1
	s_or_b32 exec_lo, exec_lo, s15
.LBB233_1519:                           ;   in Loop: Header=BB233_806 Depth=1
	s_or_b32 exec_lo, exec_lo, s13
	v_or_b32_e32 v6, v19, v17
	v_or_b32_e32 v8, v18, v16
	;; [unrolled: 1-line block ×4, first 2 shown]
	v_mul_f32_e32 v66, v27, v6
	v_mul_f32_e32 v65, v27, v8
	;; [unrolled: 1-line block ×4, first 2 shown]
	s_and_saveexec_b32 s13, vcc_lo
	s_cbranch_execz .LBB233_1521
; %bb.1520:                             ;   in Loop: Header=BB233_806 Depth=1
	v_cmp_lt_i32_e64 s4, v101, v38
	v_cndmask_b32_e64 v65, 0, v65, s4
	v_cmp_lt_i32_e64 s4, v112, v38
	v_cndmask_b32_e64 v66, 0, v66, s4
	v_cmp_lt_i32_e64 s4, v103, v38
	v_cndmask_b32_e64 v64, 0, v64, s4
	v_cmp_lt_i32_e64 s4, v102, v38
	v_cndmask_b32_e64 v55, 0, v55, s4
.LBB233_1521:                           ;   in Loop: Header=BB233_806 Depth=1
	s_or_b32 exec_lo, exec_lo, s13
	flat_load_dword v67, v[4:5] offset:640
	v_mov_b32_e32 v18, 0
	v_mov_b32_e32 v16, 0
	;; [unrolled: 1-line block ×4, first 2 shown]
	s_waitcnt vmcnt(0) lgkmcnt(0)
	v_cmp_ne_u16_sdwa s4, v67, v7 src0_sel:BYTE_0 src1_sel:DWORD
	s_and_saveexec_b32 s13, s4
	s_cbranch_execz .LBB233_1529
; %bb.1522:                             ;   in Loop: Header=BB233_806 Depth=1
	v_bfrev_b32_e32 v16, 1
	v_mov_b32_e32 v17, 0
	v_cmp_ne_u16_sdwa s4, v67, v81 src0_sel:BYTE_0 src1_sel:DWORD
	s_and_saveexec_b32 s15, s4
	s_cbranch_execz .LBB233_1528
; %bb.1523:                             ;   in Loop: Header=BB233_806 Depth=1
	v_mov_b32_e32 v16, 0x7f800001
	v_and_b32_e32 v10, 0x7f, v67
	v_mov_b32_e32 v17, 0
	s_mov_b32 s16, exec_lo
	v_cmpx_ne_u32_e32 0x7f, v10
	s_cbranch_execz .LBB233_1527
; %bb.1524:                             ;   in Loop: Header=BB233_806 Depth=1
	v_and_b32_e32 v6, 7, v67
	v_lshrrev_b32_e32 v8, 3, v10
	s_mov_b32 s17, exec_lo
	v_cmpx_gt_u32_e32 8, v10
; %bb.1525:                             ;   in Loop: Header=BB233_806 Depth=1
	v_ffbh_u32_e32 v8, v6
	v_min_u32_e32 v8, 32, v8
	v_subrev_nc_u32_e32 v10, 28, v8
	v_sub_nc_u32_e32 v8, 29, v8
	v_lshlrev_b64 v[16:17], v10, v[6:7]
	v_and_b32_e32 v6, 7, v16
; %bb.1526:                             ;   in Loop: Header=BB233_806 Depth=1
	s_or_b32 exec_lo, exec_lo, s17
	v_lshlrev_b32_e32 v10, 24, v67
	v_lshlrev_b32_e32 v6, 20, v6
	v_lshl_add_u32 v8, v8, 23, 0x3c000000
	v_and_b32_e32 v10, 0x80000000, v10
	v_or3_b32 v6, v6, v10, v8
	v_mov_b32_e32 v17, v7
	v_mov_b32_e32 v16, v6
.LBB233_1527:                           ;   in Loop: Header=BB233_806 Depth=1
	s_or_b32 exec_lo, exec_lo, s16
.LBB233_1528:                           ;   in Loop: Header=BB233_806 Depth=1
	s_or_b32 exec_lo, exec_lo, s15
.LBB233_1529:                           ;   in Loop: Header=BB233_806 Depth=1
	s_or_b32 exec_lo, exec_lo, s13
	v_cmp_ne_u16_sdwa s4, v67, v7 src0_sel:BYTE_1 src1_sel:DWORD
	s_and_saveexec_b32 s13, s4
	s_cbranch_execz .LBB233_1537
; %bb.1530:                             ;   in Loop: Header=BB233_806 Depth=1
	v_mov_b32_e32 v8, v7
	v_mov_b32_e32 v19, v9
	v_cmp_ne_u16_sdwa s4, v67, v81 src0_sel:BYTE_1 src1_sel:DWORD
	v_mov_b32_e32 v18, v8
	s_and_saveexec_b32 s15, s4
	s_cbranch_execz .LBB233_1536
; %bb.1531:                             ;   in Loop: Header=BB233_806 Depth=1
	v_mov_b32_e32 v6, 0xffff
	v_mov_b32_e32 v10, v7
	;; [unrolled: 1-line block ×3, first 2 shown]
	s_mov_b32 s16, exec_lo
	v_and_b32_sdwa v6, v6, v67 dst_sel:DWORD dst_unused:UNUSED_PAD src0_sel:DWORD src1_sel:BYTE_1
	v_mov_b32_e32 v18, v10
	v_and_b32_e32 v20, 0x7f, v6
	v_cmpx_ne_u32_e32 0x7f, v20
	s_cbranch_execz .LBB233_1535
; %bb.1532:                             ;   in Loop: Header=BB233_806 Depth=1
	v_and_b32_e32 v6, 7, v6
	v_lshrrev_b32_e32 v8, 3, v20
	s_mov_b32 s17, exec_lo
	v_cmpx_gt_u32_e32 8, v20
; %bb.1533:                             ;   in Loop: Header=BB233_806 Depth=1
	v_ffbh_u32_e32 v8, v6
	v_min_u32_e32 v8, 32, v8
	v_subrev_nc_u32_e32 v10, 28, v8
	v_sub_nc_u32_e32 v8, 29, v8
	v_lshlrev_b64 v[18:19], v10, v[6:7]
	v_and_b32_e32 v6, 7, v18
; %bb.1534:                             ;   in Loop: Header=BB233_806 Depth=1
	s_or_b32 exec_lo, exec_lo, s17
	v_lshlrev_b32_e32 v10, 16, v67
	v_lshlrev_b32_e32 v6, 20, v6
	v_lshl_add_u32 v8, v8, 23, 0x3c000000
	v_mov_b32_e32 v18, v7
	v_and_b32_e32 v10, 0x80000000, v10
	v_or3_b32 v19, v6, v10, v8
.LBB233_1535:                           ;   in Loop: Header=BB233_806 Depth=1
	s_or_b32 exec_lo, exec_lo, s16
.LBB233_1536:                           ;   in Loop: Header=BB233_806 Depth=1
	s_or_b32 exec_lo, exec_lo, s15
.LBB233_1537:                           ;   in Loop: Header=BB233_806 Depth=1
	s_or_b32 exec_lo, exec_lo, s13
	v_mov_b32_e32 v20, 0
	v_mov_b32_e32 v23, 0
	v_and_b32_sdwa v6, v67, v83 dst_sel:DWORD dst_unused:UNUSED_PAD src0_sel:WORD_1 src1_sel:DWORD
	v_mov_b32_e32 v21, 0
	v_mov_b32_e32 v24, 0
	s_mov_b32 s13, exec_lo
	v_cmpx_ne_u16_e32 0, v6
	s_cbranch_execz .LBB233_1545
; %bb.1538:                             ;   in Loop: Header=BB233_806 Depth=1
	v_bfrev_b32_e32 v23, 1
	v_mov_b32_e32 v24, 0
	s_mov_b32 s15, exec_lo
	v_cmpx_ne_u16_e32 0x80, v6
	s_cbranch_execz .LBB233_1544
; %bb.1539:                             ;   in Loop: Header=BB233_806 Depth=1
	v_mov_b32_e32 v23, 0x7f800001
	v_bfe_u32 v10, v67, 16, 7
	v_mov_b32_e32 v24, 0
	s_mov_b32 s16, exec_lo
	v_cmpx_ne_u32_e32 0x7f, v10
	s_cbranch_execz .LBB233_1543
; %bb.1540:                             ;   in Loop: Header=BB233_806 Depth=1
	v_mov_b32_e32 v6, 7
	v_lshrrev_b32_e32 v8, 3, v10
	s_mov_b32 s17, exec_lo
	v_and_b32_sdwa v6, v67, v6 dst_sel:DWORD dst_unused:UNUSED_PAD src0_sel:WORD_1 src1_sel:DWORD
	v_cmpx_gt_u32_e32 8, v10
; %bb.1541:                             ;   in Loop: Header=BB233_806 Depth=1
	v_ffbh_u32_e32 v8, v6
	v_min_u32_e32 v8, 32, v8
	v_subrev_nc_u32_e32 v10, 28, v8
	v_sub_nc_u32_e32 v8, 29, v8
	v_lshlrev_b64 v[23:24], v10, v[6:7]
	v_and_b32_e32 v6, 7, v23
; %bb.1542:                             ;   in Loop: Header=BB233_806 Depth=1
	s_or_b32 exec_lo, exec_lo, s17
	v_mov_b32_e32 v10, 24
	v_lshlrev_b32_e32 v6, 20, v6
	v_lshl_add_u32 v8, v8, 23, 0x3c000000
	v_lshlrev_b32_sdwa v10, v10, v67 dst_sel:DWORD dst_unused:UNUSED_PAD src0_sel:DWORD src1_sel:WORD_1
	v_and_b32_e32 v10, 0x80000000, v10
	v_or3_b32 v6, v6, v10, v8
	v_mov_b32_e32 v24, v7
	v_mov_b32_e32 v23, v6
.LBB233_1543:                           ;   in Loop: Header=BB233_806 Depth=1
	s_or_b32 exec_lo, exec_lo, s16
.LBB233_1544:                           ;   in Loop: Header=BB233_806 Depth=1
	s_or_b32 exec_lo, exec_lo, s15
.LBB233_1545:                           ;   in Loop: Header=BB233_806 Depth=1
	s_or_b32 exec_lo, exec_lo, s13
	s_mov_b32 s13, exec_lo
	v_cmpx_lt_u32_e32 0xffffff, v67
	s_cbranch_execz .LBB233_1553
; %bb.1546:                             ;   in Loop: Header=BB233_806 Depth=1
	v_mov_b32_e32 v8, v7
	v_mov_b32_e32 v21, v9
	v_cmp_ne_u32_sdwa s4, v67, v81 src0_sel:BYTE_3 src1_sel:DWORD
	v_mov_b32_e32 v20, v8
	s_and_saveexec_b32 s15, s4
	s_cbranch_execz .LBB233_1552
; %bb.1547:                             ;   in Loop: Header=BB233_806 Depth=1
	v_mov_b32_e32 v10, v7
	v_mov_b32_e32 v21, v11
	v_bfe_u32 v68, v67, 24, 7
	s_mov_b32 s16, exec_lo
	v_mov_b32_e32 v20, v10
	v_cmpx_ne_u32_e32 0x7f, v68
	s_cbranch_execz .LBB233_1551
; %bb.1548:                             ;   in Loop: Header=BB233_806 Depth=1
	v_mov_b32_e32 v6, 7
	v_lshrrev_b32_e32 v8, 3, v68
	s_mov_b32 s17, exec_lo
	v_and_b32_sdwa v6, v67, v6 dst_sel:DWORD dst_unused:UNUSED_PAD src0_sel:BYTE_3 src1_sel:DWORD
	v_cmpx_gt_u32_e32 8, v68
; %bb.1549:                             ;   in Loop: Header=BB233_806 Depth=1
	v_ffbh_u32_e32 v8, v6
	v_min_u32_e32 v8, 32, v8
	v_subrev_nc_u32_e32 v10, 28, v8
	v_sub_nc_u32_e32 v8, 29, v8
	v_lshlrev_b64 v[20:21], v10, v[6:7]
	v_and_b32_e32 v6, 7, v20
; %bb.1550:                             ;   in Loop: Header=BB233_806 Depth=1
	s_or_b32 exec_lo, exec_lo, s17
	v_mov_b32_e32 v10, 24
	v_lshlrev_b32_e32 v6, 20, v6
	v_lshl_add_u32 v8, v8, 23, 0x3c000000
	v_mov_b32_e32 v20, v7
	v_lshlrev_b32_sdwa v10, v10, v67 dst_sel:DWORD dst_unused:UNUSED_PAD src0_sel:DWORD src1_sel:BYTE_3
	v_and_b32_e32 v10, 0x80000000, v10
	v_or3_b32 v21, v6, v10, v8
.LBB233_1551:                           ;   in Loop: Header=BB233_806 Depth=1
	s_or_b32 exec_lo, exec_lo, s16
.LBB233_1552:                           ;   in Loop: Header=BB233_806 Depth=1
	s_or_b32 exec_lo, exec_lo, s15
.LBB233_1553:                           ;   in Loop: Header=BB233_806 Depth=1
	s_or_b32 exec_lo, exec_lo, s13
	v_or_b32_e32 v6, v19, v17
	v_or_b32_e32 v8, v18, v16
	v_or_b32_e32 v10, v20, v23
	v_or_b32_e32 v16, v21, v24
	v_mul_f32_e32 v70, v27, v6
	v_mul_f32_e32 v69, v27, v8
	;; [unrolled: 1-line block ×4, first 2 shown]
	s_and_saveexec_b32 s13, vcc_lo
	s_cbranch_execz .LBB233_1555
; %bb.1554:                             ;   in Loop: Header=BB233_806 Depth=1
	v_cmp_lt_i32_e64 s4, v101, v38
	v_cndmask_b32_e64 v69, 0, v69, s4
	v_cmp_lt_i32_e64 s4, v112, v38
	v_cndmask_b32_e64 v70, 0, v70, s4
	;; [unrolled: 2-line block ×4, first 2 shown]
.LBB233_1555:                           ;   in Loop: Header=BB233_806 Depth=1
	s_or_b32 exec_lo, exec_lo, s13
	flat_load_dword v82, v[4:5] offset:768
	v_mov_b32_e32 v18, 0
	v_mov_b32_e32 v16, 0
	;; [unrolled: 1-line block ×4, first 2 shown]
	s_waitcnt vmcnt(0) lgkmcnt(0)
	v_cmp_ne_u16_sdwa s4, v82, v7 src0_sel:BYTE_0 src1_sel:DWORD
	s_and_saveexec_b32 s13, s4
	s_cbranch_execz .LBB233_1563
; %bb.1556:                             ;   in Loop: Header=BB233_806 Depth=1
	v_bfrev_b32_e32 v16, 1
	v_mov_b32_e32 v17, 0
	v_cmp_ne_u16_sdwa s4, v82, v81 src0_sel:BYTE_0 src1_sel:DWORD
	s_and_saveexec_b32 s15, s4
	s_cbranch_execz .LBB233_1562
; %bb.1557:                             ;   in Loop: Header=BB233_806 Depth=1
	v_mov_b32_e32 v16, 0x7f800001
	v_and_b32_e32 v10, 0x7f, v82
	v_mov_b32_e32 v17, 0
	s_mov_b32 s16, exec_lo
	v_cmpx_ne_u32_e32 0x7f, v10
	s_cbranch_execz .LBB233_1561
; %bb.1558:                             ;   in Loop: Header=BB233_806 Depth=1
	v_and_b32_e32 v6, 7, v82
	v_lshrrev_b32_e32 v8, 3, v10
	s_mov_b32 s17, exec_lo
	v_cmpx_gt_u32_e32 8, v10
; %bb.1559:                             ;   in Loop: Header=BB233_806 Depth=1
	v_ffbh_u32_e32 v8, v6
	v_min_u32_e32 v8, 32, v8
	v_subrev_nc_u32_e32 v10, 28, v8
	v_sub_nc_u32_e32 v8, 29, v8
	v_lshlrev_b64 v[16:17], v10, v[6:7]
	v_and_b32_e32 v6, 7, v16
; %bb.1560:                             ;   in Loop: Header=BB233_806 Depth=1
	s_or_b32 exec_lo, exec_lo, s17
	v_lshlrev_b32_e32 v10, 24, v82
	v_lshlrev_b32_e32 v6, 20, v6
	v_lshl_add_u32 v8, v8, 23, 0x3c000000
	v_and_b32_e32 v10, 0x80000000, v10
	v_or3_b32 v6, v6, v10, v8
	v_mov_b32_e32 v17, v7
	v_mov_b32_e32 v16, v6
.LBB233_1561:                           ;   in Loop: Header=BB233_806 Depth=1
	s_or_b32 exec_lo, exec_lo, s16
.LBB233_1562:                           ;   in Loop: Header=BB233_806 Depth=1
	s_or_b32 exec_lo, exec_lo, s15
.LBB233_1563:                           ;   in Loop: Header=BB233_806 Depth=1
	s_or_b32 exec_lo, exec_lo, s13
	v_cmp_ne_u16_sdwa s4, v82, v7 src0_sel:BYTE_1 src1_sel:DWORD
	s_and_saveexec_b32 s13, s4
	s_cbranch_execz .LBB233_1571
; %bb.1564:                             ;   in Loop: Header=BB233_806 Depth=1
	v_mov_b32_e32 v8, v7
	v_mov_b32_e32 v19, v9
	v_cmp_ne_u16_sdwa s4, v82, v81 src0_sel:BYTE_1 src1_sel:DWORD
	v_mov_b32_e32 v18, v8
	s_and_saveexec_b32 s15, s4
	s_cbranch_execz .LBB233_1570
; %bb.1565:                             ;   in Loop: Header=BB233_806 Depth=1
	v_mov_b32_e32 v6, 0xffff
	v_mov_b32_e32 v10, v7
	;; [unrolled: 1-line block ×3, first 2 shown]
	s_mov_b32 s16, exec_lo
	v_and_b32_sdwa v6, v6, v82 dst_sel:DWORD dst_unused:UNUSED_PAD src0_sel:DWORD src1_sel:BYTE_1
	v_mov_b32_e32 v18, v10
	v_and_b32_e32 v20, 0x7f, v6
	v_cmpx_ne_u32_e32 0x7f, v20
	s_cbranch_execz .LBB233_1569
; %bb.1566:                             ;   in Loop: Header=BB233_806 Depth=1
	v_and_b32_e32 v6, 7, v6
	v_lshrrev_b32_e32 v8, 3, v20
	s_mov_b32 s17, exec_lo
	v_cmpx_gt_u32_e32 8, v20
; %bb.1567:                             ;   in Loop: Header=BB233_806 Depth=1
	v_ffbh_u32_e32 v8, v6
	v_min_u32_e32 v8, 32, v8
	v_subrev_nc_u32_e32 v10, 28, v8
	v_sub_nc_u32_e32 v8, 29, v8
	v_lshlrev_b64 v[18:19], v10, v[6:7]
	v_and_b32_e32 v6, 7, v18
; %bb.1568:                             ;   in Loop: Header=BB233_806 Depth=1
	s_or_b32 exec_lo, exec_lo, s17
	v_lshlrev_b32_e32 v10, 16, v82
	v_lshlrev_b32_e32 v6, 20, v6
	v_lshl_add_u32 v8, v8, 23, 0x3c000000
	v_mov_b32_e32 v18, v7
	v_and_b32_e32 v10, 0x80000000, v10
	v_or3_b32 v19, v6, v10, v8
.LBB233_1569:                           ;   in Loop: Header=BB233_806 Depth=1
	s_or_b32 exec_lo, exec_lo, s16
.LBB233_1570:                           ;   in Loop: Header=BB233_806 Depth=1
	s_or_b32 exec_lo, exec_lo, s15
.LBB233_1571:                           ;   in Loop: Header=BB233_806 Depth=1
	s_or_b32 exec_lo, exec_lo, s13
	v_mov_b32_e32 v20, 0
	v_mov_b32_e32 v23, 0
	v_and_b32_sdwa v6, v82, v83 dst_sel:DWORD dst_unused:UNUSED_PAD src0_sel:WORD_1 src1_sel:DWORD
	v_mov_b32_e32 v21, 0
	v_mov_b32_e32 v24, 0
	s_mov_b32 s13, exec_lo
	v_cmpx_ne_u16_e32 0, v6
	s_cbranch_execz .LBB233_1579
; %bb.1572:                             ;   in Loop: Header=BB233_806 Depth=1
	v_bfrev_b32_e32 v23, 1
	v_mov_b32_e32 v24, 0
	s_mov_b32 s15, exec_lo
	v_cmpx_ne_u16_e32 0x80, v6
	s_cbranch_execz .LBB233_1578
; %bb.1573:                             ;   in Loop: Header=BB233_806 Depth=1
	v_mov_b32_e32 v23, 0x7f800001
	v_bfe_u32 v10, v82, 16, 7
	v_mov_b32_e32 v24, 0
	s_mov_b32 s16, exec_lo
	v_cmpx_ne_u32_e32 0x7f, v10
	s_cbranch_execz .LBB233_1577
; %bb.1574:                             ;   in Loop: Header=BB233_806 Depth=1
	v_mov_b32_e32 v6, 7
	v_lshrrev_b32_e32 v8, 3, v10
	s_mov_b32 s17, exec_lo
	v_and_b32_sdwa v6, v82, v6 dst_sel:DWORD dst_unused:UNUSED_PAD src0_sel:WORD_1 src1_sel:DWORD
	v_cmpx_gt_u32_e32 8, v10
; %bb.1575:                             ;   in Loop: Header=BB233_806 Depth=1
	v_ffbh_u32_e32 v8, v6
	v_min_u32_e32 v8, 32, v8
	v_subrev_nc_u32_e32 v10, 28, v8
	v_sub_nc_u32_e32 v8, 29, v8
	v_lshlrev_b64 v[23:24], v10, v[6:7]
	v_and_b32_e32 v6, 7, v23
; %bb.1576:                             ;   in Loop: Header=BB233_806 Depth=1
	s_or_b32 exec_lo, exec_lo, s17
	v_mov_b32_e32 v10, 24
	v_lshlrev_b32_e32 v6, 20, v6
	v_lshl_add_u32 v8, v8, 23, 0x3c000000
	v_lshlrev_b32_sdwa v10, v10, v82 dst_sel:DWORD dst_unused:UNUSED_PAD src0_sel:DWORD src1_sel:WORD_1
	v_and_b32_e32 v10, 0x80000000, v10
	v_or3_b32 v6, v6, v10, v8
	v_mov_b32_e32 v24, v7
	v_mov_b32_e32 v23, v6
.LBB233_1577:                           ;   in Loop: Header=BB233_806 Depth=1
	s_or_b32 exec_lo, exec_lo, s16
.LBB233_1578:                           ;   in Loop: Header=BB233_806 Depth=1
	s_or_b32 exec_lo, exec_lo, s15
.LBB233_1579:                           ;   in Loop: Header=BB233_806 Depth=1
	s_or_b32 exec_lo, exec_lo, s13
	s_mov_b32 s13, exec_lo
	v_cmpx_lt_u32_e32 0xffffff, v82
	s_cbranch_execz .LBB233_1587
; %bb.1580:                             ;   in Loop: Header=BB233_806 Depth=1
	v_mov_b32_e32 v8, v7
	v_mov_b32_e32 v21, v9
	v_cmp_ne_u32_sdwa s4, v82, v81 src0_sel:BYTE_3 src1_sel:DWORD
	v_mov_b32_e32 v20, v8
	s_and_saveexec_b32 s15, s4
	s_cbranch_execz .LBB233_1586
; %bb.1581:                             ;   in Loop: Header=BB233_806 Depth=1
	v_mov_b32_e32 v10, v7
	v_mov_b32_e32 v21, v11
	v_bfe_u32 v84, v82, 24, 7
	s_mov_b32 s16, exec_lo
	v_mov_b32_e32 v20, v10
	v_cmpx_ne_u32_e32 0x7f, v84
	s_cbranch_execz .LBB233_1585
; %bb.1582:                             ;   in Loop: Header=BB233_806 Depth=1
	v_mov_b32_e32 v6, 7
	v_lshrrev_b32_e32 v8, 3, v84
	s_mov_b32 s17, exec_lo
	v_and_b32_sdwa v6, v82, v6 dst_sel:DWORD dst_unused:UNUSED_PAD src0_sel:BYTE_3 src1_sel:DWORD
	v_cmpx_gt_u32_e32 8, v84
; %bb.1583:                             ;   in Loop: Header=BB233_806 Depth=1
	v_ffbh_u32_e32 v8, v6
	v_min_u32_e32 v8, 32, v8
	v_subrev_nc_u32_e32 v10, 28, v8
	v_sub_nc_u32_e32 v8, 29, v8
	v_lshlrev_b64 v[20:21], v10, v[6:7]
	v_and_b32_e32 v6, 7, v20
; %bb.1584:                             ;   in Loop: Header=BB233_806 Depth=1
	s_or_b32 exec_lo, exec_lo, s17
	v_mov_b32_e32 v10, 24
	v_lshlrev_b32_e32 v6, 20, v6
	v_lshl_add_u32 v8, v8, 23, 0x3c000000
	v_mov_b32_e32 v20, v7
	v_lshlrev_b32_sdwa v10, v10, v82 dst_sel:DWORD dst_unused:UNUSED_PAD src0_sel:DWORD src1_sel:BYTE_3
	v_and_b32_e32 v10, 0x80000000, v10
	v_or3_b32 v21, v6, v10, v8
.LBB233_1585:                           ;   in Loop: Header=BB233_806 Depth=1
	s_or_b32 exec_lo, exec_lo, s16
.LBB233_1586:                           ;   in Loop: Header=BB233_806 Depth=1
	s_or_b32 exec_lo, exec_lo, s15
.LBB233_1587:                           ;   in Loop: Header=BB233_806 Depth=1
	s_or_b32 exec_lo, exec_lo, s13
	v_or_b32_e32 v6, v19, v17
	v_or_b32_e32 v8, v18, v16
	;; [unrolled: 1-line block ×4, first 2 shown]
	v_mul_f32_e32 v84, v27, v6
	v_mul_f32_e32 v82, v27, v8
	;; [unrolled: 1-line block ×4, first 2 shown]
	s_and_saveexec_b32 s13, vcc_lo
	s_cbranch_execz .LBB233_1589
; %bb.1588:                             ;   in Loop: Header=BB233_806 Depth=1
	v_cmp_lt_i32_e64 s4, v101, v38
	v_cndmask_b32_e64 v82, 0, v82, s4
	v_cmp_lt_i32_e64 s4, v112, v38
	v_cndmask_b32_e64 v84, 0, v84, s4
	;; [unrolled: 2-line block ×4, first 2 shown]
.LBB233_1589:                           ;   in Loop: Header=BB233_806 Depth=1
	s_or_b32 exec_lo, exec_lo, s13
	flat_load_dword v85, v[4:5] offset:896
	v_mov_b32_e32 v16, 0
	v_mov_b32_e32 v4, 0
	;; [unrolled: 1-line block ×4, first 2 shown]
	s_waitcnt vmcnt(0) lgkmcnt(0)
	v_cmp_ne_u16_sdwa s4, v85, v7 src0_sel:BYTE_0 src1_sel:DWORD
	s_and_saveexec_b32 s13, s4
	s_cbranch_execz .LBB233_1597
; %bb.1590:                             ;   in Loop: Header=BB233_806 Depth=1
	v_bfrev_b32_e32 v4, 1
	v_mov_b32_e32 v5, 0
	v_cmp_ne_u16_sdwa s4, v85, v81 src0_sel:BYTE_0 src1_sel:DWORD
	s_and_saveexec_b32 s15, s4
	s_cbranch_execz .LBB233_1596
; %bb.1591:                             ;   in Loop: Header=BB233_806 Depth=1
	v_mov_b32_e32 v4, 0x7f800001
	v_and_b32_e32 v8, 0x7f, v85
	v_mov_b32_e32 v5, 0
	s_mov_b32 s16, exec_lo
	v_cmpx_ne_u32_e32 0x7f, v8
	s_cbranch_execz .LBB233_1595
; %bb.1592:                             ;   in Loop: Header=BB233_806 Depth=1
	v_and_b32_e32 v6, 7, v85
	v_lshrrev_b32_e32 v4, 3, v8
	s_mov_b32 s17, exec_lo
	v_cmpx_gt_u32_e32 8, v8
; %bb.1593:                             ;   in Loop: Header=BB233_806 Depth=1
	v_ffbh_u32_e32 v4, v6
	v_min_u32_e32 v4, 32, v4
	v_subrev_nc_u32_e32 v5, 28, v4
	v_sub_nc_u32_e32 v4, 29, v4
	v_lshlrev_b64 v[5:6], v5, v[6:7]
	v_and_b32_e32 v6, 7, v5
; %bb.1594:                             ;   in Loop: Header=BB233_806 Depth=1
	s_or_b32 exec_lo, exec_lo, s17
	v_lshlrev_b32_e32 v5, 24, v85
	v_lshlrev_b32_e32 v6, 20, v6
	v_lshl_add_u32 v4, v4, 23, 0x3c000000
	v_and_b32_e32 v5, 0x80000000, v5
	v_or3_b32 v6, v6, v5, v4
	v_mov_b32_e32 v4, v6
	v_mov_b32_e32 v5, v7
.LBB233_1595:                           ;   in Loop: Header=BB233_806 Depth=1
	s_or_b32 exec_lo, exec_lo, s16
.LBB233_1596:                           ;   in Loop: Header=BB233_806 Depth=1
	s_or_b32 exec_lo, exec_lo, s15
.LBB233_1597:                           ;   in Loop: Header=BB233_806 Depth=1
	s_or_b32 exec_lo, exec_lo, s13
	v_cmp_ne_u16_sdwa s4, v85, v7 src0_sel:BYTE_1 src1_sel:DWORD
	s_and_saveexec_b32 s13, s4
	s_cbranch_execz .LBB233_1605
; %bb.1598:                             ;   in Loop: Header=BB233_806 Depth=1
	v_mov_b32_e32 v8, v7
	v_mov_b32_e32 v17, v9
	v_cmp_ne_u16_sdwa s4, v85, v81 src0_sel:BYTE_1 src1_sel:DWORD
	v_mov_b32_e32 v16, v8
	s_and_saveexec_b32 s15, s4
	s_cbranch_execz .LBB233_1604
; %bb.1599:                             ;   in Loop: Header=BB233_806 Depth=1
	v_mov_b32_e32 v6, 0xffff
	v_mov_b32_e32 v10, v7
	;; [unrolled: 1-line block ×3, first 2 shown]
	s_mov_b32 s16, exec_lo
	v_and_b32_sdwa v6, v6, v85 dst_sel:DWORD dst_unused:UNUSED_PAD src0_sel:DWORD src1_sel:BYTE_1
	v_mov_b32_e32 v16, v10
	v_and_b32_e32 v18, 0x7f, v6
	v_cmpx_ne_u32_e32 0x7f, v18
	s_cbranch_execz .LBB233_1603
; %bb.1600:                             ;   in Loop: Header=BB233_806 Depth=1
	v_and_b32_e32 v6, 7, v6
	v_lshrrev_b32_e32 v8, 3, v18
	s_mov_b32 s17, exec_lo
	v_cmpx_gt_u32_e32 8, v18
; %bb.1601:                             ;   in Loop: Header=BB233_806 Depth=1
	v_ffbh_u32_e32 v8, v6
	v_min_u32_e32 v8, 32, v8
	v_subrev_nc_u32_e32 v10, 28, v8
	v_sub_nc_u32_e32 v8, 29, v8
	v_lshlrev_b64 v[16:17], v10, v[6:7]
	v_and_b32_e32 v6, 7, v16
; %bb.1602:                             ;   in Loop: Header=BB233_806 Depth=1
	s_or_b32 exec_lo, exec_lo, s17
	v_lshlrev_b32_e32 v10, 16, v85
	v_lshlrev_b32_e32 v6, 20, v6
	v_lshl_add_u32 v8, v8, 23, 0x3c000000
	v_mov_b32_e32 v16, v7
	v_and_b32_e32 v10, 0x80000000, v10
	v_or3_b32 v17, v6, v10, v8
.LBB233_1603:                           ;   in Loop: Header=BB233_806 Depth=1
	s_or_b32 exec_lo, exec_lo, s16
.LBB233_1604:                           ;   in Loop: Header=BB233_806 Depth=1
	s_or_b32 exec_lo, exec_lo, s15
.LBB233_1605:                           ;   in Loop: Header=BB233_806 Depth=1
	s_or_b32 exec_lo, exec_lo, s13
	v_mov_b32_e32 v18, 0
	v_mov_b32_e32 v20, 0
	v_and_b32_sdwa v6, v85, v83 dst_sel:DWORD dst_unused:UNUSED_PAD src0_sel:WORD_1 src1_sel:DWORD
	v_mov_b32_e32 v19, 0
	v_mov_b32_e32 v21, 0
	s_mov_b32 s13, exec_lo
	v_cmpx_ne_u16_e32 0, v6
	s_cbranch_execz .LBB233_1613
; %bb.1606:                             ;   in Loop: Header=BB233_806 Depth=1
	v_bfrev_b32_e32 v20, 1
	v_mov_b32_e32 v21, 0
	s_mov_b32 s15, exec_lo
	v_cmpx_ne_u16_e32 0x80, v6
	s_cbranch_execz .LBB233_1612
; %bb.1607:                             ;   in Loop: Header=BB233_806 Depth=1
	v_mov_b32_e32 v20, 0x7f800001
	v_bfe_u32 v10, v85, 16, 7
	v_mov_b32_e32 v21, 0
	s_mov_b32 s16, exec_lo
	v_cmpx_ne_u32_e32 0x7f, v10
	s_cbranch_execz .LBB233_1611
; %bb.1608:                             ;   in Loop: Header=BB233_806 Depth=1
	v_mov_b32_e32 v6, 7
	v_lshrrev_b32_e32 v8, 3, v10
	s_mov_b32 s17, exec_lo
	v_and_b32_sdwa v6, v85, v6 dst_sel:DWORD dst_unused:UNUSED_PAD src0_sel:WORD_1 src1_sel:DWORD
	v_cmpx_gt_u32_e32 8, v10
; %bb.1609:                             ;   in Loop: Header=BB233_806 Depth=1
	v_ffbh_u32_e32 v8, v6
	v_min_u32_e32 v8, 32, v8
	v_subrev_nc_u32_e32 v10, 28, v8
	v_sub_nc_u32_e32 v8, 29, v8
	v_lshlrev_b64 v[20:21], v10, v[6:7]
	v_and_b32_e32 v6, 7, v20
; %bb.1610:                             ;   in Loop: Header=BB233_806 Depth=1
	s_or_b32 exec_lo, exec_lo, s17
	v_mov_b32_e32 v10, 24
	v_lshlrev_b32_e32 v6, 20, v6
	v_lshl_add_u32 v8, v8, 23, 0x3c000000
	v_lshlrev_b32_sdwa v10, v10, v85 dst_sel:DWORD dst_unused:UNUSED_PAD src0_sel:DWORD src1_sel:WORD_1
	v_and_b32_e32 v10, 0x80000000, v10
	v_or3_b32 v6, v6, v10, v8
	v_mov_b32_e32 v21, v7
	v_mov_b32_e32 v20, v6
.LBB233_1611:                           ;   in Loop: Header=BB233_806 Depth=1
	s_or_b32 exec_lo, exec_lo, s16
.LBB233_1612:                           ;   in Loop: Header=BB233_806 Depth=1
	s_or_b32 exec_lo, exec_lo, s15
.LBB233_1613:                           ;   in Loop: Header=BB233_806 Depth=1
	s_or_b32 exec_lo, exec_lo, s13
	s_mov_b32 s13, exec_lo
	v_cmpx_lt_u32_e32 0xffffff, v85
	s_cbranch_execz .LBB233_1621
; %bb.1614:                             ;   in Loop: Header=BB233_806 Depth=1
	v_mov_b32_e32 v8, v7
	v_mov_b32_e32 v19, v9
	v_cmp_ne_u32_sdwa s4, v85, v81 src0_sel:BYTE_3 src1_sel:DWORD
	v_mov_b32_e32 v18, v8
	s_and_saveexec_b32 s15, s4
	s_cbranch_execz .LBB233_1620
; %bb.1615:                             ;   in Loop: Header=BB233_806 Depth=1
	v_mov_b32_e32 v10, v7
	v_mov_b32_e32 v19, v11
	v_bfe_u32 v28, v85, 24, 7
	s_mov_b32 s16, exec_lo
	v_mov_b32_e32 v18, v10
	v_cmpx_ne_u32_e32 0x7f, v28
	s_cbranch_execz .LBB233_1619
; %bb.1616:                             ;   in Loop: Header=BB233_806 Depth=1
	v_mov_b32_e32 v6, 7
	v_lshrrev_b32_e32 v8, 3, v28
	s_mov_b32 s17, exec_lo
	v_and_b32_sdwa v6, v85, v6 dst_sel:DWORD dst_unused:UNUSED_PAD src0_sel:BYTE_3 src1_sel:DWORD
	v_cmpx_gt_u32_e32 8, v28
; %bb.1617:                             ;   in Loop: Header=BB233_806 Depth=1
	v_ffbh_u32_e32 v8, v6
	v_min_u32_e32 v8, 32, v8
	v_subrev_nc_u32_e32 v10, 28, v8
	v_sub_nc_u32_e32 v8, 29, v8
	v_lshlrev_b64 v[18:19], v10, v[6:7]
	v_and_b32_e32 v6, 7, v18
; %bb.1618:                             ;   in Loop: Header=BB233_806 Depth=1
	s_or_b32 exec_lo, exec_lo, s17
	v_mov_b32_e32 v10, 24
	v_lshlrev_b32_e32 v6, 20, v6
	v_lshl_add_u32 v8, v8, 23, 0x3c000000
	v_mov_b32_e32 v18, v7
	v_lshlrev_b32_sdwa v10, v10, v85 dst_sel:DWORD dst_unused:UNUSED_PAD src0_sel:DWORD src1_sel:BYTE_3
	v_and_b32_e32 v10, 0x80000000, v10
	v_or3_b32 v19, v6, v10, v8
.LBB233_1619:                           ;   in Loop: Header=BB233_806 Depth=1
	s_or_b32 exec_lo, exec_lo, s16
.LBB233_1620:                           ;   in Loop: Header=BB233_806 Depth=1
	s_or_b32 exec_lo, exec_lo, s15
.LBB233_1621:                           ;   in Loop: Header=BB233_806 Depth=1
	s_or_b32 exec_lo, exec_lo, s13
	v_or_b32_e32 v5, v17, v5
	v_or_b32_e32 v4, v16, v4
	;; [unrolled: 1-line block ×4, first 2 shown]
	v_mul_f32_e32 v8, v27, v5
	v_mul_f32_e32 v6, v27, v4
	v_mul_f32_e32 v5, v27, v10
	v_mul_f32_e32 v4, v27, v16
	s_and_saveexec_b32 s4, vcc_lo
	s_cbranch_execz .LBB233_804
; %bb.1622:                             ;   in Loop: Header=BB233_806 Depth=1
	v_cmp_lt_i32_e32 vcc_lo, v101, v38
	v_cndmask_b32_e32 v6, 0, v6, vcc_lo
	v_cmp_lt_i32_e32 vcc_lo, v112, v38
	v_cndmask_b32_e32 v8, 0, v8, vcc_lo
	;; [unrolled: 2-line block ×4, first 2 shown]
	s_branch .LBB233_804
.LBB233_1623:
	s_or_b32 exec_lo, exec_lo, s11
	s_clause 0x17
	buffer_load_dword v34, off, s[0:3], s32 offset:456
	buffer_load_dword v54, off, s[0:3], s32 offset:464
	;; [unrolled: 1-line block ×24, first 2 shown]
.LBB233_1624:
	s_or_b32 exec_lo, exec_lo, s7
	s_waitcnt vmcnt(0)
	ds_bpermute_b32 v1, v34, v66
	ds_bpermute_b32 v2, v34, v29
	;; [unrolled: 1-line block ×4, first 2 shown]
	v_mov_b32_e32 v10, v5
	ds_bpermute_b32 v5, v34, v21
	ds_bpermute_b32 v6, v34, v13
	;; [unrolled: 1-line block ×11, first 2 shown]
	s_waitcnt lgkmcnt(0)
	s_waitcnt_vscnt null, 0x0
	s_barrier
	buffer_gl0_inv
	s_load_dword s4, s[8:9], 0x0
	v_add_f32_e32 v1, v66, v1
	v_add_f32_e32 v2, v29, v2
	;; [unrolled: 1-line block ×4, first 2 shown]
	ds_bpermute_b32 v27, v34, v49
	v_add_f32_e32 v5, v21, v5
	v_add_f32_e32 v6, v13, v6
	ds_bpermute_b32 v11, v26, v1
	ds_bpermute_b32 v12, v26, v2
	;; [unrolled: 1-line block ×6, first 2 shown]
	v_add_f32_e32 v7, v24, v7
	v_add_f32_e32 v17, v55, v17
	;; [unrolled: 1-line block ×5, first 2 shown]
	ds_bpermute_b32 v28, v26, v7
	ds_bpermute_b32 v21, v34, v53
	;; [unrolled: 1-line block ×5, first 2 shown]
	v_add_f32_e32 v0, v65, v0
	v_add_f32_e32 v8, v23, v8
	ds_bpermute_b32 v23, v34, v51
	ds_bpermute_b32 v24, v34, v50
	s_waitcnt lgkmcnt(0)
	v_add_f32_e32 v1, v1, v11
	v_add_f32_e32 v2, v2, v12
	;; [unrolled: 1-line block ×5, first 2 shown]
	ds_bpermute_b32 v11, v25, v1
	ds_bpermute_b32 v12, v25, v2
	;; [unrolled: 1-line block ×5, first 2 shown]
	v_add_f32_e32 v6, v6, v16
	v_add_f32_e32 v7, v7, v28
	ds_bpermute_b32 v28, v26, v18
	v_add_f32_e32 v9, v64, v9
	ds_bpermute_b32 v10, v26, v0
	ds_bpermute_b32 v16, v25, v6
	;; [unrolled: 1-line block ×3, first 2 shown]
	s_mov_b32 s7, exec_lo
	ds_bpermute_b32 v30, v26, v9
	s_waitcnt lgkmcnt(9)
	v_add_f32_e32 v1, v1, v11
	s_waitcnt lgkmcnt(8)
	v_add_f32_e32 v2, v2, v12
	;; [unrolled: 2-line block ×5, first 2 shown]
	ds_bpermute_b32 v11, v34, v48
	ds_bpermute_b32 v12, v34, v39
	;; [unrolled: 1-line block ×5, first 2 shown]
	s_waitcnt lgkmcnt(7)
	v_add_f32_e32 v6, v6, v16
	v_add_f32_e32 v16, v17, v31
	;; [unrolled: 1-line block ×11, first 2 shown]
	ds_bpermute_b32 v28, v26, v21
	s_waitcnt lgkmcnt(6)
	v_add_f32_e32 v9, v9, v30
	ds_bpermute_b32 v27, v26, v20
	ds_bpermute_b32 v30, v26, v22
	s_waitcnt lgkmcnt(7)
	v_add_f32_e32 v11, v48, v11
	s_waitcnt lgkmcnt(6)
	v_add_f32_e32 v12, v39, v12
	;; [unrolled: 2-line block ×5, first 2 shown]
	ds_bpermute_b32 v31, v26, v23
	ds_bpermute_b32 v32, v26, v24
	;; [unrolled: 1-line block ×8, first 2 shown]
	v_add_f32_e32 v8, v8, v29
	ds_bpermute_b32 v29, v25, v7
	ds_bpermute_b32 v37, v25, v9
	s_waitcnt lgkmcnt(12)
	v_add_f32_e32 v21, v21, v28
	ds_bpermute_b32 v38, v25, v16
	s_waitcnt lgkmcnt(12)
	v_add_f32_e32 v20, v20, v27
	s_waitcnt lgkmcnt(11)
	v_add_f32_e32 v22, v22, v30
	ds_bpermute_b32 v39, v25, v17
	ds_bpermute_b32 v28, v25, v21
	;; [unrolled: 1-line block ×5, first 2 shown]
	s_waitcnt lgkmcnt(15)
	v_add_f32_e32 v23, v23, v31
	s_waitcnt lgkmcnt(14)
	v_add_f32_e32 v24, v24, v32
	;; [unrolled: 2-line block ×8, first 2 shown]
	ds_bpermute_b32 v10, v25, v8
	ds_bpermute_b32 v30, v25, v22
	;; [unrolled: 1-line block ×9, first 2 shown]
	s_waitcnt lgkmcnt(12)
	v_add_f32_e32 v15, v21, v28
	buffer_load_dword v21, off, s[0:3], s32 offset:584 ; 4-byte Folded Reload
	v_add_f32_e32 v11, v17, v39
	s_waitcnt lgkmcnt(11)
	v_add_f32_e32 v12, v18, v48
	v_add_f32_e32 v7, v7, v29
	;; [unrolled: 1-line block ×3, first 2 shown]
	s_waitcnt lgkmcnt(10)
	v_add_f32_e32 v13, v19, v49
	s_waitcnt lgkmcnt(9)
	v_add_f32_e32 v14, v20, v27
	;; [unrolled: 2-line block ×3, first 2 shown]
	v_add_f32_e32 v10, v16, v38
	s_waitcnt lgkmcnt(7)
	v_add_f32_e32 v16, v22, v30
	s_waitcnt lgkmcnt(6)
	v_add_f32_e32 v17, v23, v31
	buffer_load_dword v22, off, s[0:3], s32 offset:588 ; 4-byte Folded Reload
	s_waitcnt lgkmcnt(5)
	v_add_f32_e32 v18, v24, v32
	s_waitcnt lgkmcnt(4)
	v_add_f32_e32 v19, v33, v50
	;; [unrolled: 2-line block ×4, first 2 shown]
	buffer_load_dword v26, off, s[0:3], s32 offset:1012 ; 4-byte Folded Reload
	s_waitcnt vmcnt(2)
	v_lshrrev_b32_e32 v24, 3, v21
	v_add_f32_e32 v21, v35, v52
	v_lshl_add_u32 v25, v24, 2, s4
	s_waitcnt vmcnt(1)
	v_and_b32_e32 v27, 0x3c7, v22
	v_add_f32_e32 v22, v36, v53
	s_waitcnt vmcnt(0)
	v_mul_u32_u24_e32 v26, 0x180, v26
	v_cmpx_eq_u32_e32 64, v27
	s_cbranch_execz .LBB233_1626
; %bb.1625:
	v_add_nc_u32_e32 v27, v25, v26
	v_add_nc_u32_e32 v28, 0xfffffd00, v27
	;; [unrolled: 1-line block ×7, first 2 shown]
	ds_write_b32 v28, v0
	ds_write_b32 v29, v1
	ds_write_b32 v30, v2
	ds_write_b32 v31, v3
	v_add_nc_u32_e32 v28, 0xfffffd60, v27
	v_add_nc_u32_e32 v29, 0xfffffd70, v27
	v_add_nc_u32_e32 v30, 0xfffffd80, v27
	ds_write_b32 v32, v4
	ds_write_b32 v33, v5
	ds_write_b32 v28, v6
	ds_write_b32 v29, v7
	ds_write_b32 v30, v8
	v_add_nc_u32_e32 v28, 0xfffffd90, v27
	v_add_nc_u32_e32 v29, 0xfffffda0, v27
	v_add_nc_u32_e32 v30, 0xfffffdb0, v27
	v_add_nc_u32_e32 v31, 0xfffffdc0, v27
	v_add_nc_u32_e32 v32, 0xfffffdd0, v27
	ds_write_b32 v28, v9
	ds_write_b32 v29, v10
	ds_write_b32 v30, v11
	ds_write_b32 v31, v12
	ds_write_b32 v32, v13
	v_add_nc_u32_e32 v28, 0xfffffde0, v27
	v_add_nc_u32_e32 v29, 0xfffffdf0, v27
	;; [unrolled: 10-line block ×3, first 2 shown]
	v_add_nc_u32_e32 v30, 0xfffffe50, v27
	v_add_nc_u32_e32 v31, 0xfffffe60, v27
	;; [unrolled: 1-line block ×3, first 2 shown]
	ds_write_b32 v28, v19
	ds_write_b32 v29, v20
	;; [unrolled: 1-line block ×5, first 2 shown]
.LBB233_1626:
	s_or_b32 exec_lo, exec_lo, s7
	v_lshlrev_b32_e32 v24, 2, v24
	s_mov_b32 s7, exec_lo
	v_cmp_eq_u32_e32 vcc_lo, 0, v54
	v_add3_u32 v24, s4, v26, v24
	buffer_load_dword v26, off, s[0:3], s32 offset:588 ; 4-byte Folded Reload
	s_waitcnt vmcnt(0) lgkmcnt(0)
	s_barrier
	buffer_gl0_inv
	v_cmpx_gt_u32_e32 64, v26
	s_cbranch_execz .LBB233_1653
; %bb.1627:
	s_and_saveexec_b32 s4, vcc_lo
	s_cbranch_execnz .LBB233_1685
; %bb.1628:
	s_or_b32 exec_lo, exec_lo, s4
	s_and_saveexec_b32 s4, vcc_lo
	s_cbranch_execnz .LBB233_1686
.LBB233_1629:
	s_or_b32 exec_lo, exec_lo, s4
	s_and_saveexec_b32 s4, vcc_lo
	s_cbranch_execnz .LBB233_1687
.LBB233_1630:
	s_or_b32 exec_lo, exec_lo, s4
	s_and_saveexec_b32 s4, vcc_lo
	s_cbranch_execnz .LBB233_1688
.LBB233_1631:
	s_or_b32 exec_lo, exec_lo, s4
	s_and_saveexec_b32 s4, vcc_lo
	s_cbranch_execnz .LBB233_1689
.LBB233_1632:
	s_or_b32 exec_lo, exec_lo, s4
	s_and_saveexec_b32 s4, vcc_lo
	s_cbranch_execnz .LBB233_1690
.LBB233_1633:
	s_or_b32 exec_lo, exec_lo, s4
	s_and_saveexec_b32 s4, vcc_lo
	s_cbranch_execnz .LBB233_1691
.LBB233_1634:
	s_or_b32 exec_lo, exec_lo, s4
	s_and_saveexec_b32 s4, vcc_lo
	s_cbranch_execnz .LBB233_1692
.LBB233_1635:
	s_or_b32 exec_lo, exec_lo, s4
	s_and_saveexec_b32 s4, vcc_lo
	s_cbranch_execnz .LBB233_1693
.LBB233_1636:
	s_or_b32 exec_lo, exec_lo, s4
	s_and_saveexec_b32 s4, vcc_lo
	s_cbranch_execnz .LBB233_1694
.LBB233_1637:
	s_or_b32 exec_lo, exec_lo, s4
	s_and_saveexec_b32 s4, vcc_lo
	s_cbranch_execnz .LBB233_1695
.LBB233_1638:
	s_or_b32 exec_lo, exec_lo, s4
	s_and_saveexec_b32 s4, vcc_lo
	s_cbranch_execnz .LBB233_1696
.LBB233_1639:
	s_or_b32 exec_lo, exec_lo, s4
	s_and_saveexec_b32 s4, vcc_lo
	s_cbranch_execnz .LBB233_1697
.LBB233_1640:
	s_or_b32 exec_lo, exec_lo, s4
	s_and_saveexec_b32 s4, vcc_lo
	s_cbranch_execnz .LBB233_1698
.LBB233_1641:
	s_or_b32 exec_lo, exec_lo, s4
	s_and_saveexec_b32 s4, vcc_lo
	s_cbranch_execnz .LBB233_1699
.LBB233_1642:
	s_or_b32 exec_lo, exec_lo, s4
	s_and_saveexec_b32 s4, vcc_lo
	s_cbranch_execnz .LBB233_1700
.LBB233_1643:
	s_or_b32 exec_lo, exec_lo, s4
	s_and_saveexec_b32 s4, vcc_lo
	s_cbranch_execnz .LBB233_1701
.LBB233_1644:
	s_or_b32 exec_lo, exec_lo, s4
	s_and_saveexec_b32 s4, vcc_lo
	s_cbranch_execnz .LBB233_1702
.LBB233_1645:
	s_or_b32 exec_lo, exec_lo, s4
	s_and_saveexec_b32 s4, vcc_lo
	s_cbranch_execnz .LBB233_1703
.LBB233_1646:
	s_or_b32 exec_lo, exec_lo, s4
	s_and_saveexec_b32 s4, vcc_lo
	s_cbranch_execnz .LBB233_1704
.LBB233_1647:
	s_or_b32 exec_lo, exec_lo, s4
	s_and_saveexec_b32 s4, vcc_lo
	s_cbranch_execnz .LBB233_1705
.LBB233_1648:
	s_or_b32 exec_lo, exec_lo, s4
	s_and_saveexec_b32 s4, vcc_lo
	s_cbranch_execnz .LBB233_1706
.LBB233_1649:
	s_or_b32 exec_lo, exec_lo, s4
	s_and_saveexec_b32 s4, vcc_lo
	s_cbranch_execnz .LBB233_1707
.LBB233_1650:
	s_or_b32 exec_lo, exec_lo, s4
	s_and_saveexec_b32 s4, vcc_lo
	s_cbranch_execz .LBB233_1652
.LBB233_1651:
	ds_read_b32 v26, v24 offset:368
	s_waitcnt lgkmcnt(0)
	v_add_f32_e32 v23, v26, v23
.LBB233_1652:
	s_or_b32 exec_lo, exec_lo, s4
.LBB233_1653:
	s_or_b32 exec_lo, exec_lo, s7
	buffer_load_dword v26, off, s[0:3], s32 offset:588 ; 4-byte Folded Reload
	s_mov_b32 s7, exec_lo
	s_waitcnt vmcnt(0)
	s_barrier
	buffer_gl0_inv
	v_and_b32_e32 v26, 0x3e7, v26
	v_cmpx_eq_u32_e32 32, v26
	s_cbranch_execz .LBB233_1655
; %bb.1654:
	ds_write2_b32 v25, v0, v1 offset1:4
	ds_write2_b32 v25, v2, v3 offset0:8 offset1:12
	ds_write2_b32 v25, v4, v5 offset0:16 offset1:20
	;; [unrolled: 1-line block ×11, first 2 shown]
.LBB233_1655:
	s_or_b32 exec_lo, exec_lo, s7
	buffer_load_dword v25, off, s[0:3], s32 offset:588 ; 4-byte Folded Reload
	s_mov_b32 s7, exec_lo
	s_waitcnt vmcnt(0) lgkmcnt(0)
	s_barrier
	buffer_gl0_inv
	v_cmpx_gt_u32_e32 32, v25
	s_cbranch_execz .LBB233_1682
; %bb.1656:
	s_and_saveexec_b32 s4, vcc_lo
	s_cbranch_execnz .LBB233_1708
; %bb.1657:
	s_or_b32 exec_lo, exec_lo, s4
	s_and_saveexec_b32 s4, vcc_lo
	s_cbranch_execnz .LBB233_1709
.LBB233_1658:
	s_or_b32 exec_lo, exec_lo, s4
	s_and_saveexec_b32 s4, vcc_lo
	s_cbranch_execnz .LBB233_1710
.LBB233_1659:
	s_or_b32 exec_lo, exec_lo, s4
	s_and_saveexec_b32 s4, vcc_lo
	s_cbranch_execnz .LBB233_1711
.LBB233_1660:
	s_or_b32 exec_lo, exec_lo, s4
	s_and_saveexec_b32 s4, vcc_lo
	s_cbranch_execnz .LBB233_1712
.LBB233_1661:
	s_or_b32 exec_lo, exec_lo, s4
	s_and_saveexec_b32 s4, vcc_lo
	s_cbranch_execnz .LBB233_1713
.LBB233_1662:
	s_or_b32 exec_lo, exec_lo, s4
	s_and_saveexec_b32 s4, vcc_lo
	s_cbranch_execnz .LBB233_1714
.LBB233_1663:
	s_or_b32 exec_lo, exec_lo, s4
	s_and_saveexec_b32 s4, vcc_lo
	s_cbranch_execnz .LBB233_1715
.LBB233_1664:
	s_or_b32 exec_lo, exec_lo, s4
	s_and_saveexec_b32 s4, vcc_lo
	s_cbranch_execnz .LBB233_1716
.LBB233_1665:
	s_or_b32 exec_lo, exec_lo, s4
	s_and_saveexec_b32 s4, vcc_lo
	s_cbranch_execnz .LBB233_1717
.LBB233_1666:
	s_or_b32 exec_lo, exec_lo, s4
	s_and_saveexec_b32 s4, vcc_lo
	s_cbranch_execnz .LBB233_1718
.LBB233_1667:
	s_or_b32 exec_lo, exec_lo, s4
	s_and_saveexec_b32 s4, vcc_lo
	s_cbranch_execnz .LBB233_1719
.LBB233_1668:
	s_or_b32 exec_lo, exec_lo, s4
	s_and_saveexec_b32 s4, vcc_lo
	s_cbranch_execnz .LBB233_1720
.LBB233_1669:
	s_or_b32 exec_lo, exec_lo, s4
	s_and_saveexec_b32 s4, vcc_lo
	s_cbranch_execnz .LBB233_1721
.LBB233_1670:
	s_or_b32 exec_lo, exec_lo, s4
	s_and_saveexec_b32 s4, vcc_lo
	s_cbranch_execnz .LBB233_1722
.LBB233_1671:
	s_or_b32 exec_lo, exec_lo, s4
	s_and_saveexec_b32 s4, vcc_lo
	s_cbranch_execnz .LBB233_1723
.LBB233_1672:
	s_or_b32 exec_lo, exec_lo, s4
	s_and_saveexec_b32 s4, vcc_lo
	s_cbranch_execnz .LBB233_1724
.LBB233_1673:
	s_or_b32 exec_lo, exec_lo, s4
	s_and_saveexec_b32 s4, vcc_lo
	s_cbranch_execnz .LBB233_1725
.LBB233_1674:
	s_or_b32 exec_lo, exec_lo, s4
	s_and_saveexec_b32 s4, vcc_lo
	s_cbranch_execnz .LBB233_1726
.LBB233_1675:
	s_or_b32 exec_lo, exec_lo, s4
	s_and_saveexec_b32 s4, vcc_lo
	s_cbranch_execnz .LBB233_1727
.LBB233_1676:
	s_or_b32 exec_lo, exec_lo, s4
	s_and_saveexec_b32 s4, vcc_lo
	s_cbranch_execnz .LBB233_1728
.LBB233_1677:
	s_or_b32 exec_lo, exec_lo, s4
	s_and_saveexec_b32 s4, vcc_lo
	s_cbranch_execnz .LBB233_1729
.LBB233_1678:
	s_or_b32 exec_lo, exec_lo, s4
	s_and_saveexec_b32 s4, vcc_lo
	s_cbranch_execnz .LBB233_1730
.LBB233_1679:
	s_or_b32 exec_lo, exec_lo, s4
	s_and_saveexec_b32 s4, vcc_lo
	s_cbranch_execz .LBB233_1681
.LBB233_1680:
	ds_read_b32 v24, v24 offset:368
	s_waitcnt lgkmcnt(0)
	v_add_f32_e32 v23, v24, v23
.LBB233_1681:
	s_or_b32 exec_lo, exec_lo, s4
.LBB233_1682:
	s_or_b32 exec_lo, exec_lo, s7
	v_cmp_eq_u32_e32 vcc_lo, 0, v26
	s_barrier
	buffer_gl0_inv
	s_and_b32 exec_lo, exec_lo, vcc_lo
	s_cbranch_execz .LBB233_1684
; %bb.1683:
	s_clause 0x2
	buffer_load_dword v24, off, s[0:3], s32 offset:1020
	buffer_load_dword v25, off, s[0:3], s32 offset:1016
	;; [unrolled: 1-line block ×3, first 2 shown]
	s_mulk_i32 s6, 0x60
	s_mul_i32 s4, s10, s5
	s_ashr_i32 s7, s6, 31
	s_ashr_i32 s5, s4, 31
	s_lshl_b64 s[6:7], s[6:7], 2
	s_lshl_b64 s[4:5], s[4:5], 2
	s_waitcnt vmcnt(2)
	v_add_co_u32 v24, vcc_lo, v24, s6
	s_waitcnt vmcnt(1)
	v_add_co_ci_u32_e64 v25, null, s7, v25, vcc_lo
	s_mul_i32 s6, s14, 0x60
	v_add_co_u32 v24, vcc_lo, v24, s4
	s_ashr_i32 s7, s6, 31
	v_add_co_ci_u32_e64 v25, null, s5, v25, vcc_lo
	s_lshl_b64 s[4:5], s[6:7], 2
	s_waitcnt vmcnt(0)
	v_lshrrev_b32_e32 v26, 1, v26
	v_add_co_u32 v24, vcc_lo, v24, s4
	v_add_co_ci_u32_e64 v25, null, s5, v25, vcc_lo
	v_add_co_u32 v24, vcc_lo, v24, v26
	v_add_co_ci_u32_e64 v25, null, 0, v25, vcc_lo
	flat_store_dword v[24:25], v0
	flat_store_dword v[24:25], v1 offset:16
	flat_store_dword v[24:25], v2 offset:32
	;; [unrolled: 1-line block ×23, first 2 shown]
.LBB233_1684:
	s_or_b32 exec_lo, exec_lo, s19
	s_clause 0x2f
	buffer_load_dword v127, off, s[0:3], s32 offset:8
	buffer_load_dword v126, off, s[0:3], s32 offset:12
	;; [unrolled: 1-line block ×48, first 2 shown]
	s_waitcnt vmcnt(0) lgkmcnt(0)
	s_setpc_b64 s[30:31]
.LBB233_1685:
	ds_read_b32 v26, v24
	s_waitcnt lgkmcnt(0)
	v_add_f32_e32 v0, v26, v0
	s_or_b32 exec_lo, exec_lo, s4
	s_and_saveexec_b32 s4, vcc_lo
	s_cbranch_execz .LBB233_1629
.LBB233_1686:
	ds_read_b32 v26, v24 offset:16
	s_waitcnt lgkmcnt(0)
	v_add_f32_e32 v1, v26, v1
	s_or_b32 exec_lo, exec_lo, s4
	s_and_saveexec_b32 s4, vcc_lo
	s_cbranch_execz .LBB233_1630
.LBB233_1687:
	ds_read_b32 v26, v24 offset:32
	s_waitcnt lgkmcnt(0)
	v_add_f32_e32 v2, v26, v2
	s_or_b32 exec_lo, exec_lo, s4
	s_and_saveexec_b32 s4, vcc_lo
	s_cbranch_execz .LBB233_1631
.LBB233_1688:
	ds_read_b32 v26, v24 offset:48
	s_waitcnt lgkmcnt(0)
	v_add_f32_e32 v3, v26, v3
	s_or_b32 exec_lo, exec_lo, s4
	s_and_saveexec_b32 s4, vcc_lo
	s_cbranch_execz .LBB233_1632
.LBB233_1689:
	ds_read_b32 v26, v24 offset:64
	s_waitcnt lgkmcnt(0)
	v_add_f32_e32 v4, v26, v4
	s_or_b32 exec_lo, exec_lo, s4
	s_and_saveexec_b32 s4, vcc_lo
	s_cbranch_execz .LBB233_1633
.LBB233_1690:
	ds_read_b32 v26, v24 offset:80
	s_waitcnt lgkmcnt(0)
	v_add_f32_e32 v5, v26, v5
	s_or_b32 exec_lo, exec_lo, s4
	s_and_saveexec_b32 s4, vcc_lo
	s_cbranch_execz .LBB233_1634
.LBB233_1691:
	ds_read_b32 v26, v24 offset:96
	s_waitcnt lgkmcnt(0)
	v_add_f32_e32 v6, v26, v6
	s_or_b32 exec_lo, exec_lo, s4
	s_and_saveexec_b32 s4, vcc_lo
	s_cbranch_execz .LBB233_1635
.LBB233_1692:
	ds_read_b32 v26, v24 offset:112
	s_waitcnt lgkmcnt(0)
	v_add_f32_e32 v7, v26, v7
	s_or_b32 exec_lo, exec_lo, s4
	s_and_saveexec_b32 s4, vcc_lo
	s_cbranch_execz .LBB233_1636
.LBB233_1693:
	ds_read_b32 v26, v24 offset:128
	s_waitcnt lgkmcnt(0)
	v_add_f32_e32 v8, v26, v8
	s_or_b32 exec_lo, exec_lo, s4
	s_and_saveexec_b32 s4, vcc_lo
	s_cbranch_execz .LBB233_1637
.LBB233_1694:
	ds_read_b32 v26, v24 offset:144
	s_waitcnt lgkmcnt(0)
	v_add_f32_e32 v9, v26, v9
	s_or_b32 exec_lo, exec_lo, s4
	s_and_saveexec_b32 s4, vcc_lo
	s_cbranch_execz .LBB233_1638
.LBB233_1695:
	ds_read_b32 v26, v24 offset:160
	s_waitcnt lgkmcnt(0)
	v_add_f32_e32 v10, v26, v10
	s_or_b32 exec_lo, exec_lo, s4
	s_and_saveexec_b32 s4, vcc_lo
	s_cbranch_execz .LBB233_1639
.LBB233_1696:
	ds_read_b32 v26, v24 offset:176
	s_waitcnt lgkmcnt(0)
	v_add_f32_e32 v11, v26, v11
	s_or_b32 exec_lo, exec_lo, s4
	s_and_saveexec_b32 s4, vcc_lo
	s_cbranch_execz .LBB233_1640
.LBB233_1697:
	ds_read_b32 v26, v24 offset:192
	s_waitcnt lgkmcnt(0)
	v_add_f32_e32 v12, v26, v12
	s_or_b32 exec_lo, exec_lo, s4
	s_and_saveexec_b32 s4, vcc_lo
	s_cbranch_execz .LBB233_1641
.LBB233_1698:
	ds_read_b32 v26, v24 offset:208
	s_waitcnt lgkmcnt(0)
	v_add_f32_e32 v13, v26, v13
	s_or_b32 exec_lo, exec_lo, s4
	s_and_saveexec_b32 s4, vcc_lo
	s_cbranch_execz .LBB233_1642
.LBB233_1699:
	ds_read_b32 v26, v24 offset:224
	s_waitcnt lgkmcnt(0)
	v_add_f32_e32 v14, v26, v14
	s_or_b32 exec_lo, exec_lo, s4
	s_and_saveexec_b32 s4, vcc_lo
	s_cbranch_execz .LBB233_1643
.LBB233_1700:
	ds_read_b32 v26, v24 offset:240
	s_waitcnt lgkmcnt(0)
	v_add_f32_e32 v15, v26, v15
	s_or_b32 exec_lo, exec_lo, s4
	s_and_saveexec_b32 s4, vcc_lo
	s_cbranch_execz .LBB233_1644
.LBB233_1701:
	ds_read_b32 v26, v24 offset:256
	s_waitcnt lgkmcnt(0)
	v_add_f32_e32 v16, v26, v16
	s_or_b32 exec_lo, exec_lo, s4
	s_and_saveexec_b32 s4, vcc_lo
	s_cbranch_execz .LBB233_1645
.LBB233_1702:
	ds_read_b32 v26, v24 offset:272
	s_waitcnt lgkmcnt(0)
	v_add_f32_e32 v17, v26, v17
	s_or_b32 exec_lo, exec_lo, s4
	s_and_saveexec_b32 s4, vcc_lo
	s_cbranch_execz .LBB233_1646
.LBB233_1703:
	ds_read_b32 v26, v24 offset:288
	s_waitcnt lgkmcnt(0)
	v_add_f32_e32 v18, v26, v18
	s_or_b32 exec_lo, exec_lo, s4
	s_and_saveexec_b32 s4, vcc_lo
	s_cbranch_execz .LBB233_1647
.LBB233_1704:
	ds_read_b32 v26, v24 offset:304
	s_waitcnt lgkmcnt(0)
	v_add_f32_e32 v19, v26, v19
	s_or_b32 exec_lo, exec_lo, s4
	s_and_saveexec_b32 s4, vcc_lo
	s_cbranch_execz .LBB233_1648
.LBB233_1705:
	ds_read_b32 v26, v24 offset:320
	s_waitcnt lgkmcnt(0)
	v_add_f32_e32 v20, v26, v20
	s_or_b32 exec_lo, exec_lo, s4
	s_and_saveexec_b32 s4, vcc_lo
	s_cbranch_execz .LBB233_1649
.LBB233_1706:
	ds_read_b32 v26, v24 offset:336
	s_waitcnt lgkmcnt(0)
	v_add_f32_e32 v21, v26, v21
	s_or_b32 exec_lo, exec_lo, s4
	s_and_saveexec_b32 s4, vcc_lo
	s_cbranch_execz .LBB233_1650
.LBB233_1707:
	ds_read_b32 v26, v24 offset:352
	s_waitcnt lgkmcnt(0)
	v_add_f32_e32 v22, v26, v22
	s_or_b32 exec_lo, exec_lo, s4
	s_and_saveexec_b32 s4, vcc_lo
	s_cbranch_execnz .LBB233_1651
	s_branch .LBB233_1652
.LBB233_1708:
	ds_read_b32 v25, v24
	s_waitcnt lgkmcnt(0)
	v_add_f32_e32 v0, v25, v0
	s_or_b32 exec_lo, exec_lo, s4
	s_and_saveexec_b32 s4, vcc_lo
	s_cbranch_execz .LBB233_1658
.LBB233_1709:
	ds_read_b32 v25, v24 offset:16
	s_waitcnt lgkmcnt(0)
	v_add_f32_e32 v1, v25, v1
	s_or_b32 exec_lo, exec_lo, s4
	s_and_saveexec_b32 s4, vcc_lo
	s_cbranch_execz .LBB233_1659
.LBB233_1710:
	ds_read_b32 v25, v24 offset:32
	s_waitcnt lgkmcnt(0)
	v_add_f32_e32 v2, v25, v2
	s_or_b32 exec_lo, exec_lo, s4
	s_and_saveexec_b32 s4, vcc_lo
	s_cbranch_execz .LBB233_1660
.LBB233_1711:
	ds_read_b32 v25, v24 offset:48
	s_waitcnt lgkmcnt(0)
	v_add_f32_e32 v3, v25, v3
	s_or_b32 exec_lo, exec_lo, s4
	s_and_saveexec_b32 s4, vcc_lo
	s_cbranch_execz .LBB233_1661
.LBB233_1712:
	ds_read_b32 v25, v24 offset:64
	s_waitcnt lgkmcnt(0)
	v_add_f32_e32 v4, v25, v4
	s_or_b32 exec_lo, exec_lo, s4
	s_and_saveexec_b32 s4, vcc_lo
	s_cbranch_execz .LBB233_1662
.LBB233_1713:
	ds_read_b32 v25, v24 offset:80
	s_waitcnt lgkmcnt(0)
	v_add_f32_e32 v5, v25, v5
	s_or_b32 exec_lo, exec_lo, s4
	s_and_saveexec_b32 s4, vcc_lo
	s_cbranch_execz .LBB233_1663
.LBB233_1714:
	ds_read_b32 v25, v24 offset:96
	s_waitcnt lgkmcnt(0)
	v_add_f32_e32 v6, v25, v6
	s_or_b32 exec_lo, exec_lo, s4
	s_and_saveexec_b32 s4, vcc_lo
	s_cbranch_execz .LBB233_1664
.LBB233_1715:
	ds_read_b32 v25, v24 offset:112
	s_waitcnt lgkmcnt(0)
	v_add_f32_e32 v7, v25, v7
	s_or_b32 exec_lo, exec_lo, s4
	s_and_saveexec_b32 s4, vcc_lo
	s_cbranch_execz .LBB233_1665
.LBB233_1716:
	ds_read_b32 v25, v24 offset:128
	s_waitcnt lgkmcnt(0)
	v_add_f32_e32 v8, v25, v8
	s_or_b32 exec_lo, exec_lo, s4
	s_and_saveexec_b32 s4, vcc_lo
	s_cbranch_execz .LBB233_1666
.LBB233_1717:
	ds_read_b32 v25, v24 offset:144
	s_waitcnt lgkmcnt(0)
	v_add_f32_e32 v9, v25, v9
	s_or_b32 exec_lo, exec_lo, s4
	s_and_saveexec_b32 s4, vcc_lo
	s_cbranch_execz .LBB233_1667
.LBB233_1718:
	ds_read_b32 v25, v24 offset:160
	s_waitcnt lgkmcnt(0)
	v_add_f32_e32 v10, v25, v10
	s_or_b32 exec_lo, exec_lo, s4
	s_and_saveexec_b32 s4, vcc_lo
	s_cbranch_execz .LBB233_1668
.LBB233_1719:
	ds_read_b32 v25, v24 offset:176
	s_waitcnt lgkmcnt(0)
	v_add_f32_e32 v11, v25, v11
	s_or_b32 exec_lo, exec_lo, s4
	s_and_saveexec_b32 s4, vcc_lo
	s_cbranch_execz .LBB233_1669
.LBB233_1720:
	ds_read_b32 v25, v24 offset:192
	s_waitcnt lgkmcnt(0)
	v_add_f32_e32 v12, v25, v12
	s_or_b32 exec_lo, exec_lo, s4
	s_and_saveexec_b32 s4, vcc_lo
	s_cbranch_execz .LBB233_1670
.LBB233_1721:
	ds_read_b32 v25, v24 offset:208
	s_waitcnt lgkmcnt(0)
	v_add_f32_e32 v13, v25, v13
	s_or_b32 exec_lo, exec_lo, s4
	s_and_saveexec_b32 s4, vcc_lo
	s_cbranch_execz .LBB233_1671
.LBB233_1722:
	ds_read_b32 v25, v24 offset:224
	s_waitcnt lgkmcnt(0)
	v_add_f32_e32 v14, v25, v14
	s_or_b32 exec_lo, exec_lo, s4
	s_and_saveexec_b32 s4, vcc_lo
	s_cbranch_execz .LBB233_1672
.LBB233_1723:
	ds_read_b32 v25, v24 offset:240
	s_waitcnt lgkmcnt(0)
	v_add_f32_e32 v15, v25, v15
	s_or_b32 exec_lo, exec_lo, s4
	s_and_saveexec_b32 s4, vcc_lo
	s_cbranch_execz .LBB233_1673
.LBB233_1724:
	ds_read_b32 v25, v24 offset:256
	s_waitcnt lgkmcnt(0)
	v_add_f32_e32 v16, v25, v16
	s_or_b32 exec_lo, exec_lo, s4
	s_and_saveexec_b32 s4, vcc_lo
	s_cbranch_execz .LBB233_1674
.LBB233_1725:
	ds_read_b32 v25, v24 offset:272
	s_waitcnt lgkmcnt(0)
	v_add_f32_e32 v17, v25, v17
	s_or_b32 exec_lo, exec_lo, s4
	s_and_saveexec_b32 s4, vcc_lo
	s_cbranch_execz .LBB233_1675
.LBB233_1726:
	ds_read_b32 v25, v24 offset:288
	s_waitcnt lgkmcnt(0)
	v_add_f32_e32 v18, v25, v18
	s_or_b32 exec_lo, exec_lo, s4
	s_and_saveexec_b32 s4, vcc_lo
	s_cbranch_execz .LBB233_1676
.LBB233_1727:
	ds_read_b32 v25, v24 offset:304
	s_waitcnt lgkmcnt(0)
	v_add_f32_e32 v19, v25, v19
	s_or_b32 exec_lo, exec_lo, s4
	s_and_saveexec_b32 s4, vcc_lo
	s_cbranch_execz .LBB233_1677
.LBB233_1728:
	ds_read_b32 v25, v24 offset:320
	s_waitcnt lgkmcnt(0)
	v_add_f32_e32 v20, v25, v20
	s_or_b32 exec_lo, exec_lo, s4
	s_and_saveexec_b32 s4, vcc_lo
	s_cbranch_execz .LBB233_1678
.LBB233_1729:
	ds_read_b32 v25, v24 offset:336
	s_waitcnt lgkmcnt(0)
	v_add_f32_e32 v21, v25, v21
	s_or_b32 exec_lo, exec_lo, s4
	s_and_saveexec_b32 s4, vcc_lo
	s_cbranch_execz .LBB233_1679
.LBB233_1730:
	ds_read_b32 v25, v24 offset:352
	s_waitcnt lgkmcnt(0)
	v_add_f32_e32 v22, v25, v22
	s_or_b32 exec_lo, exec_lo, s4
	s_and_saveexec_b32 s4, vcc_lo
	s_cbranch_execnz .LBB233_1680
	s_branch .LBB233_1681
.Lfunc_end233:
	.size	_ZN4vllm22paged_attention_kernelIfhLi96ELi32ELi128ELNS_18Fp8KVCacheDataTypeE1ELb1ELi512EEEvPfS2_PT_PKS3_PKT0_S9_ifPKiSB_iPKfiiiSD_SD_iiiii, .Lfunc_end233-_ZN4vllm22paged_attention_kernelIfhLi96ELi32ELi128ELNS_18Fp8KVCacheDataTypeE1ELb1ELi512EEEvPfS2_PT_PKS3_PKT0_S9_ifPKiSB_iPKfiiiSD_SD_iiiii
                                        ; -- End function
	.set .L_ZN4vllm22paged_attention_kernelIfhLi96ELi32ELi128ELNS_18Fp8KVCacheDataTypeE1ELb1ELi512EEEvPfS2_PT_PKS3_PKT0_S9_ifPKiSB_iPKfiiiSD_SD_iiiii.num_vgpr, 128
	.set .L_ZN4vllm22paged_attention_kernelIfhLi96ELi32ELi128ELNS_18Fp8KVCacheDataTypeE1ELb1ELi512EEEvPfS2_PT_PKS3_PKT0_S9_ifPKiSB_iPKfiiiSD_SD_iiiii.num_agpr, 0
	.set .L_ZN4vllm22paged_attention_kernelIfhLi96ELi32ELi128ELNS_18Fp8KVCacheDataTypeE1ELb1ELi512EEEvPfS2_PT_PKS3_PKT0_S9_ifPKiSB_iPKfiiiSD_SD_iiiii.numbered_sgpr, 33
	.set .L_ZN4vllm22paged_attention_kernelIfhLi96ELi32ELi128ELNS_18Fp8KVCacheDataTypeE1ELb1ELi512EEEvPfS2_PT_PKS3_PKT0_S9_ifPKiSB_iPKfiiiSD_SD_iiiii.num_named_barrier, 0
	.set .L_ZN4vllm22paged_attention_kernelIfhLi96ELi32ELi128ELNS_18Fp8KVCacheDataTypeE1ELb1ELi512EEEvPfS2_PT_PKS3_PKT0_S9_ifPKiSB_iPKfiiiSD_SD_iiiii.private_seg_size, 1092
	.set .L_ZN4vllm22paged_attention_kernelIfhLi96ELi32ELi128ELNS_18Fp8KVCacheDataTypeE1ELb1ELi512EEEvPfS2_PT_PKS3_PKT0_S9_ifPKiSB_iPKfiiiSD_SD_iiiii.uses_vcc, 1
	.set .L_ZN4vllm22paged_attention_kernelIfhLi96ELi32ELi128ELNS_18Fp8KVCacheDataTypeE1ELb1ELi512EEEvPfS2_PT_PKS3_PKT0_S9_ifPKiSB_iPKfiiiSD_SD_iiiii.uses_flat_scratch, 0
	.set .L_ZN4vllm22paged_attention_kernelIfhLi96ELi32ELi128ELNS_18Fp8KVCacheDataTypeE1ELb1ELi512EEEvPfS2_PT_PKS3_PKT0_S9_ifPKiSB_iPKfiiiSD_SD_iiiii.has_dyn_sized_stack, 0
	.set .L_ZN4vllm22paged_attention_kernelIfhLi96ELi32ELi128ELNS_18Fp8KVCacheDataTypeE1ELb1ELi512EEEvPfS2_PT_PKS3_PKT0_S9_ifPKiSB_iPKfiiiSD_SD_iiiii.has_recursion, 0
	.set .L_ZN4vllm22paged_attention_kernelIfhLi96ELi32ELi128ELNS_18Fp8KVCacheDataTypeE1ELb1ELi512EEEvPfS2_PT_PKS3_PKT0_S9_ifPKiSB_iPKfiiiSD_SD_iiiii.has_indirect_call, 0
	.section	.AMDGPU.csdata,"",@progbits
; Function info:
; codeLenInByte = 59292
; TotalNumSgprs: 35
; NumVgprs: 128
; ScratchSize: 1092
; MemoryBound: 0
	.section	.text._ZN4vllm25paged_attention_v2_kernelIfhLi96ELi32ELi128ELNS_18Fp8KVCacheDataTypeE1ELb1ELi512EEEvPfS2_PT_PKS3_PKT0_S9_ifPKiSB_iPKfiiiSD_SD_iiiii,"axG",@progbits,_ZN4vllm25paged_attention_v2_kernelIfhLi96ELi32ELi128ELNS_18Fp8KVCacheDataTypeE1ELb1ELi512EEEvPfS2_PT_PKS3_PKT0_S9_ifPKiSB_iPKfiiiSD_SD_iiiii,comdat
	.protected	_ZN4vllm25paged_attention_v2_kernelIfhLi96ELi32ELi128ELNS_18Fp8KVCacheDataTypeE1ELb1ELi512EEEvPfS2_PT_PKS3_PKT0_S9_ifPKiSB_iPKfiiiSD_SD_iiiii ; -- Begin function _ZN4vllm25paged_attention_v2_kernelIfhLi96ELi32ELi128ELNS_18Fp8KVCacheDataTypeE1ELb1ELi512EEEvPfS2_PT_PKS3_PKT0_S9_ifPKiSB_iPKfiiiSD_SD_iiiii
	.globl	_ZN4vllm25paged_attention_v2_kernelIfhLi96ELi32ELi128ELNS_18Fp8KVCacheDataTypeE1ELb1ELi512EEEvPfS2_PT_PKS3_PKT0_S9_ifPKiSB_iPKfiiiSD_SD_iiiii
	.p2align	8
	.type	_ZN4vllm25paged_attention_v2_kernelIfhLi96ELi32ELi128ELNS_18Fp8KVCacheDataTypeE1ELb1ELi512EEEvPfS2_PT_PKS3_PKT0_S9_ifPKiSB_iPKfiiiSD_SD_iiiii,@function
_ZN4vllm25paged_attention_v2_kernelIfhLi96ELi32ELi128ELNS_18Fp8KVCacheDataTypeE1ELb1ELi512EEEvPfS2_PT_PKS3_PKT0_S9_ifPKiSB_iPKfiiiSD_SD_iiiii: ; @_ZN4vllm25paged_attention_v2_kernelIfhLi96ELi32ELi128ELNS_18Fp8KVCacheDataTypeE1ELb1ELi512EEEvPfS2_PT_PKS3_PKT0_S9_ifPKiSB_iPKfiiiSD_SD_iiiii
; %bb.0:
	s_mov_b32 s14, s8
	s_clause 0x7
	s_load_dwordx4 s[36:39], s[4:5], 0x78
	s_load_dword s8, s[4:5], 0x88
	s_load_dwordx8 s[40:47], s[4:5], 0x0
	s_load_dwordx8 s[24:31], s[4:5], 0x20
	s_load_dwordx2 s[10:11], s[4:5], 0x40
	s_load_dwordx2 s[34:35], s[4:5], 0x50
	s_load_dword s13, s[4:5], 0x48
	s_load_dwordx8 s[16:23], s[4:5], 0x58
	s_add_u32 s0, s0, s9
	s_mov_b32 s32, 0
	s_addc_u32 s1, s1, 0
	v_mov_b32_e32 v31, v0
	s_mov_b32 s12, s6
	s_mov_b32 s15, 33
	s_waitcnt lgkmcnt(0)
	v_mov_b32_e32 v1, s39
	v_mov_b32_e32 v2, s8
	v_mov_b32_e32 v0, s40
	v_mov_b32_e32 v3, s43
	buffer_store_dword v1, off, s[0:3], s32
	buffer_store_dword v2, off, s[0:3], s32 offset:4
	v_mov_b32_e32 v1, s41
	v_mov_b32_e32 v2, s42
	;; [unrolled: 1-line block ×29, first 2 shown]
	s_add_u32 s8, s4, 0x90
	s_addc_u32 s9, s5, 0
	s_getpc_b64 s[4:5]
	s_add_u32 s4, s4, _ZN4vllm22paged_attention_kernelIfhLi96ELi32ELi128ELNS_18Fp8KVCacheDataTypeE1ELb1ELi512EEEvPfS2_PT_PKS3_PKT0_S9_ifPKiSB_iPKfiiiSD_SD_iiiii@rel32@lo+4
	s_addc_u32 s5, s5, _ZN4vllm22paged_attention_kernelIfhLi96ELi32ELi128ELNS_18Fp8KVCacheDataTypeE1ELb1ELi512EEEvPfS2_PT_PKS3_PKT0_S9_ifPKiSB_iPKfiiiSD_SD_iiiii@rel32@hi+12
	s_mov_b32 s13, s7
	s_swappc_b64 s[30:31], s[4:5]
	s_endpgm
	.section	.rodata,"a",@progbits
	.p2align	6, 0x0
	.amdhsa_kernel _ZN4vllm25paged_attention_v2_kernelIfhLi96ELi32ELi128ELNS_18Fp8KVCacheDataTypeE1ELb1ELi512EEEvPfS2_PT_PKS3_PKT0_S9_ifPKiSB_iPKfiiiSD_SD_iiiii
		.amdhsa_group_segment_fixed_size 416
		.amdhsa_private_segment_fixed_size 1092
		.amdhsa_kernarg_size 400
		.amdhsa_user_sgpr_count 6
		.amdhsa_user_sgpr_private_segment_buffer 1
		.amdhsa_user_sgpr_dispatch_ptr 0
		.amdhsa_user_sgpr_queue_ptr 0
		.amdhsa_user_sgpr_kernarg_segment_ptr 1
		.amdhsa_user_sgpr_dispatch_id 0
		.amdhsa_user_sgpr_flat_scratch_init 0
		.amdhsa_user_sgpr_private_segment_size 0
		.amdhsa_wavefront_size32 1
		.amdhsa_uses_dynamic_stack 0
		.amdhsa_system_sgpr_private_segment_wavefront_offset 1
		.amdhsa_system_sgpr_workgroup_id_x 1
		.amdhsa_system_sgpr_workgroup_id_y 1
		.amdhsa_system_sgpr_workgroup_id_z 1
		.amdhsa_system_sgpr_workgroup_info 0
		.amdhsa_system_vgpr_workitem_id 0
		.amdhsa_next_free_vgpr 128
		.amdhsa_next_free_sgpr 48
		.amdhsa_reserve_vcc 1
		.amdhsa_reserve_flat_scratch 0
		.amdhsa_float_round_mode_32 0
		.amdhsa_float_round_mode_16_64 0
		.amdhsa_float_denorm_mode_32 3
		.amdhsa_float_denorm_mode_16_64 3
		.amdhsa_dx10_clamp 1
		.amdhsa_ieee_mode 1
		.amdhsa_fp16_overflow 0
		.amdhsa_workgroup_processor_mode 1
		.amdhsa_memory_ordered 1
		.amdhsa_forward_progress 1
		.amdhsa_shared_vgpr_count 0
		.amdhsa_exception_fp_ieee_invalid_op 0
		.amdhsa_exception_fp_denorm_src 0
		.amdhsa_exception_fp_ieee_div_zero 0
		.amdhsa_exception_fp_ieee_overflow 0
		.amdhsa_exception_fp_ieee_underflow 0
		.amdhsa_exception_fp_ieee_inexact 0
		.amdhsa_exception_int_div_zero 0
	.end_amdhsa_kernel
	.section	.text._ZN4vllm25paged_attention_v2_kernelIfhLi96ELi32ELi128ELNS_18Fp8KVCacheDataTypeE1ELb1ELi512EEEvPfS2_PT_PKS3_PKT0_S9_ifPKiSB_iPKfiiiSD_SD_iiiii,"axG",@progbits,_ZN4vllm25paged_attention_v2_kernelIfhLi96ELi32ELi128ELNS_18Fp8KVCacheDataTypeE1ELb1ELi512EEEvPfS2_PT_PKS3_PKT0_S9_ifPKiSB_iPKfiiiSD_SD_iiiii,comdat
.Lfunc_end234:
	.size	_ZN4vllm25paged_attention_v2_kernelIfhLi96ELi32ELi128ELNS_18Fp8KVCacheDataTypeE1ELb1ELi512EEEvPfS2_PT_PKS3_PKT0_S9_ifPKiSB_iPKfiiiSD_SD_iiiii, .Lfunc_end234-_ZN4vllm25paged_attention_v2_kernelIfhLi96ELi32ELi128ELNS_18Fp8KVCacheDataTypeE1ELb1ELi512EEEvPfS2_PT_PKS3_PKT0_S9_ifPKiSB_iPKfiiiSD_SD_iiiii
                                        ; -- End function
	.set _ZN4vllm25paged_attention_v2_kernelIfhLi96ELi32ELi128ELNS_18Fp8KVCacheDataTypeE1ELb1ELi512EEEvPfS2_PT_PKS3_PKT0_S9_ifPKiSB_iPKfiiiSD_SD_iiiii.num_vgpr, max(32, .L_ZN4vllm22paged_attention_kernelIfhLi96ELi32ELi128ELNS_18Fp8KVCacheDataTypeE1ELb1ELi512EEEvPfS2_PT_PKS3_PKT0_S9_ifPKiSB_iPKfiiiSD_SD_iiiii.num_vgpr)
	.set _ZN4vllm25paged_attention_v2_kernelIfhLi96ELi32ELi128ELNS_18Fp8KVCacheDataTypeE1ELb1ELi512EEEvPfS2_PT_PKS3_PKT0_S9_ifPKiSB_iPKfiiiSD_SD_iiiii.num_agpr, max(0, .L_ZN4vllm22paged_attention_kernelIfhLi96ELi32ELi128ELNS_18Fp8KVCacheDataTypeE1ELb1ELi512EEEvPfS2_PT_PKS3_PKT0_S9_ifPKiSB_iPKfiiiSD_SD_iiiii.num_agpr)
	.set _ZN4vllm25paged_attention_v2_kernelIfhLi96ELi32ELi128ELNS_18Fp8KVCacheDataTypeE1ELb1ELi512EEEvPfS2_PT_PKS3_PKT0_S9_ifPKiSB_iPKfiiiSD_SD_iiiii.numbered_sgpr, max(48, .L_ZN4vllm22paged_attention_kernelIfhLi96ELi32ELi128ELNS_18Fp8KVCacheDataTypeE1ELb1ELi512EEEvPfS2_PT_PKS3_PKT0_S9_ifPKiSB_iPKfiiiSD_SD_iiiii.numbered_sgpr)
	.set _ZN4vllm25paged_attention_v2_kernelIfhLi96ELi32ELi128ELNS_18Fp8KVCacheDataTypeE1ELb1ELi512EEEvPfS2_PT_PKS3_PKT0_S9_ifPKiSB_iPKfiiiSD_SD_iiiii.num_named_barrier, max(0, .L_ZN4vllm22paged_attention_kernelIfhLi96ELi32ELi128ELNS_18Fp8KVCacheDataTypeE1ELb1ELi512EEEvPfS2_PT_PKS3_PKT0_S9_ifPKiSB_iPKfiiiSD_SD_iiiii.num_named_barrier)
	.set _ZN4vllm25paged_attention_v2_kernelIfhLi96ELi32ELi128ELNS_18Fp8KVCacheDataTypeE1ELb1ELi512EEEvPfS2_PT_PKS3_PKT0_S9_ifPKiSB_iPKfiiiSD_SD_iiiii.private_seg_size, 0+max(.L_ZN4vllm22paged_attention_kernelIfhLi96ELi32ELi128ELNS_18Fp8KVCacheDataTypeE1ELb1ELi512EEEvPfS2_PT_PKS3_PKT0_S9_ifPKiSB_iPKfiiiSD_SD_iiiii.private_seg_size)
	.set _ZN4vllm25paged_attention_v2_kernelIfhLi96ELi32ELi128ELNS_18Fp8KVCacheDataTypeE1ELb1ELi512EEEvPfS2_PT_PKS3_PKT0_S9_ifPKiSB_iPKfiiiSD_SD_iiiii.uses_vcc, or(1, .L_ZN4vllm22paged_attention_kernelIfhLi96ELi32ELi128ELNS_18Fp8KVCacheDataTypeE1ELb1ELi512EEEvPfS2_PT_PKS3_PKT0_S9_ifPKiSB_iPKfiiiSD_SD_iiiii.uses_vcc)
	.set _ZN4vllm25paged_attention_v2_kernelIfhLi96ELi32ELi128ELNS_18Fp8KVCacheDataTypeE1ELb1ELi512EEEvPfS2_PT_PKS3_PKT0_S9_ifPKiSB_iPKfiiiSD_SD_iiiii.uses_flat_scratch, or(0, .L_ZN4vllm22paged_attention_kernelIfhLi96ELi32ELi128ELNS_18Fp8KVCacheDataTypeE1ELb1ELi512EEEvPfS2_PT_PKS3_PKT0_S9_ifPKiSB_iPKfiiiSD_SD_iiiii.uses_flat_scratch)
	.set _ZN4vllm25paged_attention_v2_kernelIfhLi96ELi32ELi128ELNS_18Fp8KVCacheDataTypeE1ELb1ELi512EEEvPfS2_PT_PKS3_PKT0_S9_ifPKiSB_iPKfiiiSD_SD_iiiii.has_dyn_sized_stack, or(0, .L_ZN4vllm22paged_attention_kernelIfhLi96ELi32ELi128ELNS_18Fp8KVCacheDataTypeE1ELb1ELi512EEEvPfS2_PT_PKS3_PKT0_S9_ifPKiSB_iPKfiiiSD_SD_iiiii.has_dyn_sized_stack)
	.set _ZN4vllm25paged_attention_v2_kernelIfhLi96ELi32ELi128ELNS_18Fp8KVCacheDataTypeE1ELb1ELi512EEEvPfS2_PT_PKS3_PKT0_S9_ifPKiSB_iPKfiiiSD_SD_iiiii.has_recursion, or(0, .L_ZN4vllm22paged_attention_kernelIfhLi96ELi32ELi128ELNS_18Fp8KVCacheDataTypeE1ELb1ELi512EEEvPfS2_PT_PKS3_PKT0_S9_ifPKiSB_iPKfiiiSD_SD_iiiii.has_recursion)
	.set _ZN4vllm25paged_attention_v2_kernelIfhLi96ELi32ELi128ELNS_18Fp8KVCacheDataTypeE1ELb1ELi512EEEvPfS2_PT_PKS3_PKT0_S9_ifPKiSB_iPKfiiiSD_SD_iiiii.has_indirect_call, or(0, .L_ZN4vllm22paged_attention_kernelIfhLi96ELi32ELi128ELNS_18Fp8KVCacheDataTypeE1ELb1ELi512EEEvPfS2_PT_PKS3_PKT0_S9_ifPKiSB_iPKfiiiSD_SD_iiiii.has_indirect_call)
	.section	.AMDGPU.csdata,"",@progbits
; Kernel info:
; codeLenInByte = 292
; TotalNumSgprs: 50
; NumVgprs: 128
; ScratchSize: 1092
; MemoryBound: 0
; FloatMode: 240
; IeeeMode: 1
; LDSByteSize: 416 bytes/workgroup (compile time only)
; SGPRBlocks: 0
; VGPRBlocks: 15
; NumSGPRsForWavesPerEU: 50
; NumVGPRsForWavesPerEU: 128
; Occupancy: 8
; WaveLimiterHint : 1
; COMPUTE_PGM_RSRC2:SCRATCH_EN: 1
; COMPUTE_PGM_RSRC2:USER_SGPR: 6
; COMPUTE_PGM_RSRC2:TRAP_HANDLER: 0
; COMPUTE_PGM_RSRC2:TGID_X_EN: 1
; COMPUTE_PGM_RSRC2:TGID_Y_EN: 1
; COMPUTE_PGM_RSRC2:TGID_Z_EN: 1
; COMPUTE_PGM_RSRC2:TIDIG_COMP_CNT: 0
	.text
	.p2align	2                               ; -- Begin function _ZN4vllm22paged_attention_kernelIfhLi112ELi32ELi128ELNS_18Fp8KVCacheDataTypeE1ELb1ELi512EEEvPfS2_PT_PKS3_PKT0_S9_ifPKiSB_iPKfiiiSD_SD_iiiii
	.type	_ZN4vllm22paged_attention_kernelIfhLi112ELi32ELi128ELNS_18Fp8KVCacheDataTypeE1ELb1ELi512EEEvPfS2_PT_PKS3_PKT0_S9_ifPKiSB_iPKfiiiSD_SD_iiiii,@function
_ZN4vllm22paged_attention_kernelIfhLi112ELi32ELi128ELNS_18Fp8KVCacheDataTypeE1ELb1ELi512EEEvPfS2_PT_PKS3_PKT0_S9_ifPKiSB_iPKfiiiSD_SD_iiiii: ; @_ZN4vllm22paged_attention_kernelIfhLi112ELi32ELi128ELNS_18Fp8KVCacheDataTypeE1ELb1ELi512EEEvPfS2_PT_PKS3_PKT0_S9_ifPKiSB_iPKfiiiSD_SD_iiiii
; %bb.0:
	s_waitcnt vmcnt(0) expcnt(0) lgkmcnt(0)
	buffer_store_dword v40, off, s[0:3], s32 offset:196 ; 4-byte Folded Spill
	buffer_store_dword v41, off, s[0:3], s32 offset:192 ; 4-byte Folded Spill
	;; [unrolled: 1-line block ×48, first 2 shown]
	s_mov_b32 s18, s13
	s_ashr_i32 s19, s13, 31
	buffer_store_dword v26, off, s[0:3], s32 offset:744 ; 4-byte Folded Spill
	buffer_store_dword v27, off, s[0:3], s32 offset:748 ; 4-byte Folded Spill
	;; [unrolled: 1-line block ×8, first 2 shown]
	s_lshl_b64 s[4:5], s[18:19], 2
	v_mov_b32_e32 v27, v0
	v_add_co_u32 v0, vcc_lo, v16, s4
	v_mov_b32_e32 v24, v1
	v_add_co_ci_u32_e64 v1, null, s5, v17, vcc_lo
	v_mov_b32_e32 v32, v3
	v_mov_b32_e32 v33, v2
	s_lshl_b32 s7, s14, 9
	flat_load_dword v122, v[0:1]
	s_clause 0x1
	buffer_load_dword v2, off, s[0:3], s32 offset:4
	buffer_load_dword v3, off, s[0:3], s32
	s_mov_b32 s19, exec_lo
	s_waitcnt vmcnt(2) lgkmcnt(0)
	v_cmpx_lt_i32_e64 s7, v122
	s_cbranch_execz .LBB235_1956
; %bb.1:
	v_sub_nc_u32_e32 v0, 0, v12
	s_clause 0x1
	s_load_dword s4, s[8:9], 0x10
	s_load_dword s5, s[8:9], 0x0
	s_mov_b32 s16, s15
	v_max_i32_e32 v0, v12, v0
	v_cvt_f32_u32_e32 v1, v0
	v_sub_nc_u32_e32 v4, 0, v0
	v_rcp_iflag_f32_e32 v1, v1
	s_waitcnt lgkmcnt(0)
	s_lshr_b32 s4, s4, 16
	s_cmp_lg_u32 s4, 0
	s_cselect_b32 s4, -1, 0
	v_mul_f32_e32 v1, 0x4f7ffffe, v1
	s_cmp_lg_u32 s4, 0
	s_addc_u32 s15, s5, 0
	s_mov_b32 s5, exec_lo
	v_cvt_u32_f32_e32 v1, v1
	s_abs_i32 s4, s15
	v_mul_lo_u32 v4, v4, v1
	v_mul_hi_u32 v4, v1, v4
	v_add_nc_u32_e32 v1, v1, v4
	v_mul_hi_u32 v1, s4, v1
	v_mul_lo_u32 v4, v1, v0
	v_add_nc_u32_e32 v5, 1, v1
	v_sub_nc_u32_e32 v4, s4, v4
	s_abs_i32 s4, s12
	v_sub_nc_u32_e32 v13, v4, v0
	v_cmp_ge_u32_e32 vcc_lo, v4, v0
	v_cndmask_b32_e32 v1, v1, v5, vcc_lo
	v_cndmask_b32_e32 v4, v4, v13, vcc_lo
	v_xor_b32_e32 v5, s15, v12
	v_add_nc_u32_e32 v13, 1, v1
	v_cmp_ge_u32_e32 vcc_lo, v4, v0
	v_ashrrev_i32_e32 v5, 31, v5
	v_cndmask_b32_e32 v0, v1, v13, vcc_lo
	v_xor_b32_e32 v0, v0, v5
	v_sub_nc_u32_e32 v5, v0, v5
	v_sub_nc_u32_e32 v0, 0, v5
	v_max_i32_e32 v4, v5, v0
	v_cvt_f32_u32_e32 v0, v4
	v_sub_nc_u32_e32 v1, 0, v4
	v_rcp_iflag_f32_e32 v0, v0
	v_mul_f32_e32 v0, 0x4f7ffffe, v0
	v_cvt_u32_f32_e32 v0, v0
	v_mul_lo_u32 v1, v1, v0
	v_mul_hi_u32 v1, v0, v1
	v_add_nc_u32_e32 v0, v0, v1
	v_mad_u64_u32 v[0:1], null, s4, v0, 0
	v_mov_b32_e32 v0, 0
	buffer_store_dword v0, off, s[0:3], s32 offset:764 ; 4-byte Folded Spill
	v_cmpx_ne_u64_e32 0, v[19:20]
	s_cbranch_execz .LBB235_3
; %bb.2:
	s_ashr_i32 s13, s12, 31
	s_lshl_b64 s[10:11], s[12:13], 2
	v_add_co_u32 v16, vcc_lo, v19, s10
	v_add_co_ci_u32_e64 v17, null, s11, v20, vcc_lo
	flat_load_dword v0, v[16:17]
	s_waitcnt vmcnt(0) lgkmcnt(0)
	buffer_store_dword v0, off, s[0:3], s32 offset:764 ; 4-byte Folded Spill
.LBB235_3:
	s_or_b32 exec_lo, exec_lo, s5
	v_and_b32_e32 v13, 0x3ff, v31
	v_ashrrev_i32_e32 v0, 31, v5
	s_ashr_i32 s5, s12, 31
	s_mul_i32 s10, s12, 0x70
	s_mov_b32 s6, exec_lo
	buffer_store_dword v13, off, s[0:3], s32 offset:740 ; 4-byte Folded Spill
	v_cmpx_gt_u32_e32 28, v13
	s_cbranch_execz .LBB235_5
; %bb.4:
	buffer_load_dword v5, off, s[0:3], s32 offset:740 ; 4-byte Folded Reload
	v_mul_lo_u32 v16, v21, s18
	s_ashr_i32 s11, s10, 31
	s_lshl_b64 s[20:21], s[10:11], 2
	v_ashrrev_i32_e32 v17, 31, v16
	v_lshlrev_b64 v[19:20], 2, v[16:17]
	s_waitcnt vmcnt(0)
	v_lshlrev_b32_e32 v17, 4, v5
	v_add_co_u32 v5, vcc_lo, v6, v19
	v_add_co_ci_u32_e64 v6, null, v7, v20, vcc_lo
	v_add_co_u32 v5, vcc_lo, v5, s20
	v_add_co_ci_u32_e64 v6, null, s21, v6, vcc_lo
	;; [unrolled: 2-line block ×3, first 2 shown]
	flat_load_dwordx4 v[19:22], v[5:6]
	s_waitcnt vmcnt(0) lgkmcnt(0)
	ds_write_b128 v17, v[19:22]
.LBB235_5:
	s_or_b32 exec_lo, exec_lo, s6
	s_waitcnt vmcnt(0)
	v_sub_nc_u32_e32 v5, 0, v3
	v_mul_lo_u32 v6, v1, v4
	v_max_i32_e32 v13, v3, v5
	v_sub_nc_u32_e32 v6, s4, v6
	v_cvt_f32_u32_e32 v5, v13
	buffer_store_dword v13, off, s[0:3], s32 offset:216 ; 4-byte Folded Spill
	s_mov_b32 s4, exec_lo
	v_sub_nc_u32_e32 v17, v6, v4
	v_rcp_iflag_f32_e32 v5, v5
	v_cmp_ge_u32_e32 vcc_lo, v6, v4
	v_cndmask_b32_e32 v6, v6, v17, vcc_lo
	v_mul_f32_e32 v5, 0x4f7ffffe, v5
	v_cvt_u32_f32_e32 v7, v5
	v_sub_nc_u32_e32 v5, 0, v13
	v_add_nc_u32_e32 v13, 1, v1
	v_mul_lo_u32 v16, v5, v7
	v_cndmask_b32_e32 v1, v1, v13, vcc_lo
	v_add_nc_u32_e32 v5, -1, v122
	v_cmp_ge_u32_e32 vcc_lo, v6, v4
	v_add_nc_u32_e32 v13, 1, v1
	v_sub_nc_u32_e32 v17, 0, v5
	v_mul_hi_u32 v19, v7, v16
	v_xor_b32_e32 v16, s5, v0
	v_cndmask_b32_e32 v0, v1, v13, vcc_lo
	v_max_i32_e32 v4, v5, v17
	v_xor_b32_e32 v6, v0, v16
	v_add_nc_u32_e32 v1, v7, v19
	buffer_store_dword v1, off, s[0:3], s32 offset:236 ; 4-byte Folded Spill
	v_mad_u64_u32 v[0:1], null, v4, v1, 0
	v_sub_nc_u32_e32 v0, v6, v16
                                        ; implicit-def: $vgpr6
	s_waitcnt lgkmcnt(0)
	s_waitcnt_vscnt null, 0x0
	s_barrier
	buffer_gl0_inv
	buffer_store_dword v6, off, s[0:3], s32 offset:220 ; 4-byte Folded Spill
	buffer_store_dword v7, off, s[0:3], s32 offset:224 ; 4-byte Folded Spill
	v_cmpx_gt_i32_e32 0, v2
	s_xor_b32 s4, exec_lo, s4
	s_cbranch_execz .LBB235_7
; %bb.6:
	v_mad_u64_u32 v[6:7], null, v28, v12, v[0:1]
                                        ; implicit-def: $vgpr28
	v_mul_lo_u32 v2, v6, v2
	v_sub_nc_u32_e32 v2, 1, v2
	buffer_store_dword v2, off, s[0:3], s32 offset:220 ; 4-byte Folded Spill
	buffer_store_dword v3, off, s[0:3], s32 offset:224 ; 4-byte Folded Spill
                                        ; implicit-def: $vgpr2
.LBB235_7:
	s_or_saveexec_b32 s4, s4
	v_ashrrev_i32_e32 v5, 31, v5
	v_ashrrev_i32_e32 v3, 31, v3
	buffer_store_dword v3, off, s[0:3], s32 offset:228 ; 4-byte Folded Spill
	s_xor_b32 exec_lo, exec_lo, s4
	s_cbranch_execz .LBB235_9
; %bb.8:
	v_mad_u64_u32 v[6:7], null, s15, v28, s[12:13]
	v_mad_u64_u32 v[2:3], null, v6, v2, 1
	buffer_store_dword v2, off, s[0:3], s32 offset:220 ; 4-byte Folded Spill
	buffer_store_dword v3, off, s[0:3], s32 offset:224 ; 4-byte Folded Spill
.LBB235_9:
	s_or_b32 exec_lo, exec_lo, s4
	buffer_load_dword v16, off, s[0:3], s32 offset:216 ; 4-byte Folded Reload
	s_clause 0x1
	s_load_dword s20, s[8:9], 0x14
	s_load_dword s11, s[8:9], 0x8
	s_clause 0x1
	buffer_load_dword v7, off, s[0:3], s32 offset:228
	buffer_load_dword v13, off, s[0:3], s32 offset:740
	v_add_nc_u32_e32 v3, 31, v122
	v_add_nc_u32_e32 v6, 1, v1
	s_lshl_b32 s13, s14, 4
	v_mov_b32_e32 v22, 0xff7fffff
	s_add_i32 s4, s13, 16
	v_sub_nc_u32_e32 v68, 0, v30
	s_waitcnt vmcnt(2)
	v_mul_lo_u32 v2, v1, v16
	s_waitcnt vmcnt(1)
	v_xor_b32_e32 v5, v5, v7
	v_ashrrev_i32_e32 v7, 31, v3
	s_waitcnt vmcnt(0)
	v_lshrrev_b32_e32 v17, 5, v13
	v_sub_nc_u32_e32 v4, v4, v2
	buffer_store_dword v17, off, s[0:3], s32 offset:1228 ; 4-byte Folded Spill
	v_mul_lo_u32 v2, v18, s18
	v_sub_nc_u32_e32 v12, v4, v16
	v_cmp_ge_u32_e32 vcc_lo, v4, v16
	v_cndmask_b32_e32 v1, v1, v6, vcc_lo
	v_cndmask_b32_e32 v4, v4, v12, vcc_lo
	v_lshrrev_b32_e32 v6, 27, v7
	v_and_b32_e32 v12, 31, v13
	v_mul_lo_u32 v13, v0, v23
	v_add_nc_u32_e32 v7, 1, v1
	v_cmp_ge_u32_e32 vcc_lo, v4, v16
	v_add_nc_u32_e32 v3, v3, v6
	v_add_nc_u32_e32 v4, s13, v17
	v_cndmask_b32_e32 v1, v1, v7, vcc_lo
	v_ashrrev_i32_e32 v67, 5, v3
	v_ashrrev_i32_e32 v3, 31, v2
	;; [unrolled: 1-line block ×3, first 2 shown]
	v_xor_b32_e32 v0, v1, v5
	v_lshl_add_u32 v1, v17, 5, s7
	v_lshlrev_b64 v[65:66], 2, v[2:3]
	v_sub_nc_u32_e32 v0, v0, v5
	v_ashrrev_i32_e32 v5, 31, v4
	buffer_store_dword v1, off, s[0:3], s32 offset:1240 ; 4-byte Folded Spill
	v_min_i32_e32 v1, s4, v67
	buffer_store_dword v4, off, s[0:3], s32 offset:200 ; 4-byte Folded Spill
	buffer_store_dword v5, off, s[0:3], s32 offset:204 ; 4-byte Folded Spill
	;; [unrolled: 1-line block ×3, first 2 shown]
	v_sub_nc_u32_e32 v0, v0, v29
	buffer_store_dword v0, off, s[0:3], s32 offset:240 ; 4-byte Folded Spill
	buffer_store_dword v12, off, s[0:3], s32 offset:736 ; 4-byte Folded Spill
	v_lshlrev_b32_e32 v12, 2, v12
	v_cmp_lt_i32_e64 s4, v4, v1
	s_and_saveexec_b32 s21, s4
	s_cbranch_execz .LBB235_913
; %bb.10:
	buffer_store_dword v67, off, s[0:3], s32 offset:1292 ; 4-byte Folded Spill
	buffer_store_dword v33, off, s[0:3], s32 offset:1276 ; 4-byte Folded Spill
	;; [unrolled: 1-line block ×9, first 2 shown]
	buffer_load_dword v7, off, s[0:3], s32 offset:736 ; 4-byte Folded Reload
	v_max_i32_e32 v10, v30, v68
	v_add_co_u32 v2, vcc_lo, v8, v13
	buffer_store_dword v13, off, s[0:3], s32 offset:1288 ; 4-byte Folded Spill
	buffer_store_dword v69, off, s[0:3], s32 offset:1300 ; 4-byte Folded Spill
	v_cvt_f32_u32_e32 v0, v10
	v_add_co_ci_u32_e64 v3, null, v9, v69, vcc_lo
	v_mov_b32_e32 v29, 0
	s_ashr_i32 s17, s16, 31
	v_rcp_iflag_f32_e32 v4, v0
	s_clause 0x3
	buffer_load_dword v0, off, s[0:3], s32 offset:764
	buffer_load_dword v8, off, s[0:3], s32 offset:200
	;; [unrolled: 1-line block ×4, first 2 shown]
	buffer_store_dword v12, off, s[0:3], s32 offset:1304 ; 4-byte Folded Spill
	buffer_store_dword v10, off, s[0:3], s32 offset:704 ; 4-byte Folded Spill
	s_getpc_b64 s[8:9]
	s_add_u32 s8, s8, llvm.amdgcn.dynlds.offset.table@rel32@lo+4
	s_addc_u32 s9, s9, llvm.amdgcn.dynlds.offset.table@rel32@hi+12
	s_lshl_b64 s[24:25], s[16:17], 2
	v_bfrev_b32_e32 v111, 1
	s_add_u32 s8, s8, s24
	v_mul_f32_e32 v4, 0x4f7ffffe, v4
	s_addc_u32 s9, s9, s25
	v_mov_b32_e32 v22, 0xff7fffff
	v_mov_b32_e32 v105, 0x7f800001
	s_mov_b32 s22, 0
	v_cvt_u32_f32_e32 v4, v4
	s_waitcnt vmcnt(4)
	v_lshlrev_b32_e32 v5, 4, v7
	v_add_co_u32 v2, s5, v2, v5
	v_add_co_ci_u32_e64 v3, null, 0, v3, s5
	buffer_store_dword v2, off, s[0:3], s32 offset:768 ; 4-byte Folded Spill
	buffer_store_dword v3, off, s[0:3], s32 offset:772 ; 4-byte Folded Spill
	s_waitcnt vmcnt(3)
	v_cmp_neq_f32_e32 vcc_lo, 0, v0
	s_waitcnt vmcnt(1)
	v_lshlrev_b64 v[0:1], 2, v[8:9]
	s_waitcnt vmcnt(0)
	v_lshl_add_u32 v20, v6, 5, s7
	v_lshl_or_b32 v21, v6, 7, v12
	v_sub_nc_u32_e32 v6, v7, v122
	v_sub_nc_u32_e32 v7, 0, v10
	ds_read_b128 v[9:12], v29
	v_add_co_u32 v0, s5, v65, v0
	v_add_nc_u32_e32 v3, 1, v6
	v_mul_lo_u32 v2, v7, v4
	s_waitcnt lgkmcnt(0)
	buffer_store_dword v9, off, s[0:3], s32 offset:776 ; 4-byte Folded Spill
	buffer_store_dword v10, off, s[0:3], s32 offset:780 ; 4-byte Folded Spill
	;; [unrolled: 1-line block ×4, first 2 shown]
	ds_read_b128 v[9:12], v29 offset:16
	v_mul_hi_u32 v5, v4, v2
	v_mov_b32_e32 v2, v8
	s_waitcnt lgkmcnt(0)
	buffer_store_dword v9, off, s[0:3], s32 offset:792 ; 4-byte Folded Spill
	buffer_store_dword v10, off, s[0:3], s32 offset:796 ; 4-byte Folded Spill
	buffer_store_dword v11, off, s[0:3], s32 offset:800 ; 4-byte Folded Spill
	buffer_store_dword v12, off, s[0:3], s32 offset:804 ; 4-byte Folded Spill
	ds_read_b128 v[9:12], v29 offset:32
	s_waitcnt lgkmcnt(0)
	buffer_store_dword v9, off, s[0:3], s32 offset:808 ; 4-byte Folded Spill
	buffer_store_dword v10, off, s[0:3], s32 offset:812 ; 4-byte Folded Spill
	buffer_store_dword v11, off, s[0:3], s32 offset:816 ; 4-byte Folded Spill
	buffer_store_dword v12, off, s[0:3], s32 offset:820 ; 4-byte Folded Spill
	ds_read_b128 v[9:12], v29 offset:48
	;; [unrolled: 6-line block ×4, first 2 shown]
	s_waitcnt lgkmcnt(0)
	buffer_store_dword v9, off, s[0:3], s32 offset:856 ; 4-byte Folded Spill
	buffer_store_dword v10, off, s[0:3], s32 offset:860 ; 4-byte Folded Spill
	;; [unrolled: 1-line block ×7, first 2 shown]
	s_load_dword s17, s[8:9], 0x0
	buffer_store_dword v14, off, s[0:3], s32 offset:1256 ; 4-byte Folded Spill
	buffer_store_dword v15, off, s[0:3], s32 offset:1252 ; 4-byte Folded Spill
	v_add_co_ci_u32_e64 v1, null, v66, v1, s5
	v_add_co_u32 v0, s5, v14, v0
	v_add_co_ci_u32_e64 v1, null, v15, v1, s5
	buffer_store_dword v0, off, s[0:3], s32 offset:208 ; 4-byte Folded Spill
	buffer_store_dword v1, off, s[0:3], s32 offset:212 ; 4-byte Folded Spill
	v_add_nc_u32_e32 v0, v4, v5
	ds_read_b128 v[3:6], v29 offset:96
	buffer_store_dword v0, off, s[0:3], s32 offset:708 ; 4-byte Folded Spill
	s_waitcnt lgkmcnt(0)
	buffer_store_dword v3, off, s[0:3], s32 offset:876 ; 4-byte Folded Spill
	buffer_store_dword v4, off, s[0:3], s32 offset:880 ; 4-byte Folded Spill
	buffer_store_dword v5, off, s[0:3], s32 offset:884 ; 4-byte Folded Spill
	buffer_store_dword v6, off, s[0:3], s32 offset:888 ; 4-byte Folded Spill
	ds_read_b128 v[3:6], v29 offset:112
	s_waitcnt lgkmcnt(0)
	buffer_store_dword v3, off, s[0:3], s32 offset:892 ; 4-byte Folded Spill
	buffer_store_dword v4, off, s[0:3], s32 offset:896 ; 4-byte Folded Spill
	buffer_store_dword v5, off, s[0:3], s32 offset:900 ; 4-byte Folded Spill
	buffer_store_dword v6, off, s[0:3], s32 offset:904 ; 4-byte Folded Spill
	ds_read_b128 v[3:6], v29 offset:128
	;; [unrolled: 6-line block ×21, first 2 shown]
	s_waitcnt lgkmcnt(0)
	buffer_store_dword v3, off, s[0:3], s32 offset:1212 ; 4-byte Folded Spill
	buffer_store_dword v4, off, s[0:3], s32 offset:1216 ; 4-byte Folded Spill
	;; [unrolled: 1-line block ×5, first 2 shown]
	s_branch .LBB235_16
.LBB235_11:                             ;   in Loop: Header=BB235_16 Depth=1
	s_or_b32 exec_lo, exec_lo, s26
	v_mov_b32_e32 v2, 24
	v_lshlrev_b32_e32 v26, 20, v28
	v_lshl_add_u32 v9, v9, 23, 0x3c000000
	v_lshlrev_b32_sdwa v8, v2, v8 dst_sel:DWORD dst_unused:UNUSED_PAD src0_sel:DWORD src1_sel:BYTE_3
	v_and_b32_e32 v8, 0x80000000, v8
	v_or3_b32 v27, v26, v8, v9
	v_mov_b32_e32 v26, v29
.LBB235_12:                             ;   in Loop: Header=BB235_16 Depth=1
	s_or_b32 exec_lo, exec_lo, s25
.LBB235_13:                             ;   in Loop: Header=BB235_16 Depth=1
	s_or_b32 exec_lo, exec_lo, s24
.LBB235_14:                             ;   in Loop: Header=BB235_16 Depth=1
	s_or_b32 exec_lo, exec_lo, s23
	v_or_b32_e32 v2, v89, v109
	v_or_b32_e32 v89, v0, v92
	v_or_b32_e32 v122, v53, v19
	v_or_b32_e32 v19, v25, v37
	v_or_b32_e32 v24, v24, v36
	buffer_store_dword v2, off, s[0:3], s32 offset:724 ; 4-byte Folded Spill
	v_or_b32_e32 v2, v15, v125
	v_or_b32_e32 v15, v1, v93
	v_or_b32_e32 v34, v34, v32
	v_or_b32_e32 v31, v31, v55
	v_or_b32_e32 v18, v52, v18
	buffer_store_dword v2, off, s[0:3], s32 offset:732 ; 4-byte Folded Spill
	;; [unrolled: 6-line block ×3, first 2 shown]
	s_clause 0x1
	buffer_load_dword v0, off, s[0:3], s32 offset:572
	buffer_load_dword v1, off, s[0:3], s32 offset:576
	v_or_b32_e32 v80, v101, v83
	v_or_b32_e32 v83, v84, v50
	;; [unrolled: 1-line block ×39, first 2 shown]
	v_mul_f32_e32 v7, v23, v7
	s_waitcnt vmcnt(1)
	v_or_b32_e32 v37, v4, v0
	s_waitcnt vmcnt(0)
	v_or_b32_e32 v36, v5, v1
	s_clause 0x1
	buffer_load_dword v0, off, s[0:3], s32 offset:692
	buffer_load_dword v1, off, s[0:3], s32 offset:696
	s_waitcnt vmcnt(1)
	v_or_b32_e32 v32, v12, v0
	s_waitcnt vmcnt(0)
	v_or_b32_e32 v25, v13, v1
	s_clause 0x3
	buffer_load_dword v0, off, s[0:3], s32 offset:548
	buffer_load_dword v1, off, s[0:3], s32 offset:552
	buffer_load_dword v2, off, s[0:3], s32 offset:556
	buffer_load_dword v3, off, s[0:3], s32 offset:560
	s_waitcnt vmcnt(1)
	v_or_b32_e32 v55, v2, v0
	s_waitcnt vmcnt(0)
	v_or_b32_e32 v52, v3, v1
	s_clause 0x3
	buffer_load_dword v0, off, s[0:3], s32 offset:564
	buffer_load_dword v1, off, s[0:3], s32 offset:568
	;; [unrolled: 9-line block ×26, first 2 shown]
	buffer_load_dword v2, off, s[0:3], s32 offset:588
	buffer_load_dword v3, off, s[0:3], s32 offset:592
	v_mul_f32_e32 v4, v23, v4
	v_mul_f32_e32 v5, v23, v5
	s_waitcnt vmcnt(1)
	v_or_b32_e32 v21, v0, v2
	s_waitcnt vmcnt(0)
	v_or_b32_e32 v8, v1, v3
	s_clause 0x7
	buffer_load_dword v0, off, s[0:3], s32 offset:252
	buffer_load_dword v1, off, s[0:3], s32 offset:256
	;; [unrolled: 1-line block ×8, first 2 shown]
	s_waitcnt vmcnt(3)
	v_mul_f32_e32 v4, v10, v4
	v_or_b32_e32 v20, v0, v2
	v_or_b32_e32 v22, v1, v3
	s_clause 0x3
	buffer_load_dword v0, off, s[0:3], s32 offset:776
	buffer_load_dword v1, off, s[0:3], s32 offset:780
	;; [unrolled: 1-line block ×4, first 2 shown]
	s_waitcnt vmcnt(3)
	v_fmac_f32_e32 v4, v0, v7
	v_mul_f32_e32 v7, v23, v9
	v_mul_f32_e32 v9, v11, v5
	v_mul_f32_e32 v5, v23, v21
	s_waitcnt vmcnt(2)
	v_fmac_f32_e32 v9, v1, v7
	v_mul_f32_e32 v7, v23, v20
	v_mul_f32_e32 v5, v12, v5
	v_mul_f32_e32 v20, v23, v22
	;; [unrolled: 5-line block ×3, first 2 shown]
	s_waitcnt vmcnt(0)
	v_fmac_f32_e32 v8, v3, v20
	s_clause 0x3
	buffer_load_dword v0, off, s[0:3], s32 offset:808
	buffer_load_dword v1, off, s[0:3], s32 offset:812
	;; [unrolled: 1-line block ×4, first 2 shown]
	s_waitcnt vmcnt(3)
	v_fmac_f32_e32 v4, v0, v7
	v_mul_f32_e32 v7, v23, v121
	s_waitcnt vmcnt(2)
	v_fmac_f32_e32 v9, v1, v7
	v_mul_f32_e32 v7, v23, v123
	s_waitcnt vmcnt(1)
	v_fmac_f32_e32 v5, v2, v7
	v_mul_f32_e32 v7, v23, v125
	s_waitcnt vmcnt(0)
	v_fmac_f32_e32 v8, v3, v7
	s_clause 0x3
	buffer_load_dword v0, off, s[0:3], s32 offset:824
	buffer_load_dword v1, off, s[0:3], s32 offset:828
	buffer_load_dword v2, off, s[0:3], s32 offset:832
	buffer_load_dword v3, off, s[0:3], s32 offset:836
	v_mul_f32_e32 v7, v23, v109
	s_waitcnt vmcnt(3)
	v_fmac_f32_e32 v4, v0, v7
	v_mul_f32_e32 v7, v23, v108
	s_waitcnt vmcnt(2)
	v_fmac_f32_e32 v9, v1, v7
	v_mul_f32_e32 v7, v23, v120
	s_waitcnt vmcnt(1)
	v_fmac_f32_e32 v5, v2, v7
	v_mul_f32_e32 v7, v23, v110
	s_waitcnt vmcnt(0)
	v_fmac_f32_e32 v8, v3, v7
	s_clause 0x3
	buffer_load_dword v0, off, s[0:3], s32 offset:840
	buffer_load_dword v1, off, s[0:3], s32 offset:844
	buffer_load_dword v2, off, s[0:3], s32 offset:848
	buffer_load_dword v3, off, s[0:3], s32 offset:852
	v_mul_f32_e32 v7, v23, v104
	;; [unrolled: 17-line block ×21, first 2 shown]
	s_waitcnt vmcnt(3)
	v_fmac_f32_e32 v4, v0, v7
	v_mul_f32_e32 v7, v23, v47
	s_waitcnt vmcnt(2)
	v_fmac_f32_e32 v9, v1, v7
	v_mul_f32_e32 v7, v23, v56
	s_waitcnt vmcnt(1)
	v_fmac_f32_e32 v5, v2, v7
	v_mul_f32_e32 v7, v23, v46
	s_waitcnt vmcnt(0)
	v_fmac_f32_e32 v8, v3, v7
	s_clause 0x7
	buffer_load_dword v0, off, s[0:3], s32 offset:1164
	buffer_load_dword v1, off, s[0:3], s32 offset:1168
	;; [unrolled: 1-line block ×8, first 2 shown]
	v_mul_f32_e32 v7, v23, v76
	s_waitcnt vmcnt(7)
	v_fmac_f32_e32 v4, v0, v7
	v_mul_f32_e32 v7, v23, v63
	v_mul_f32_e32 v0, v23, v28
	s_waitcnt vmcnt(6)
	v_fmac_f32_e32 v9, v1, v7
	v_mul_f32_e32 v7, v23, v72
	;; [unrolled: 4-line block ×3, first 2 shown]
	s_waitcnt vmcnt(2)
	v_fmac_f32_e32 v9, v11, v1
	v_mul_f32_e32 v1, v23, v78
	v_fmac_f32_e32 v8, v3, v7
	v_mul_f32_e32 v7, v23, v89
	s_waitcnt vmcnt(1)
	v_fmac_f32_e32 v5, v12, v1
	s_waitcnt vmcnt(0)
	v_fmac_f32_e32 v8, v13, v0
	s_clause 0x3
	buffer_load_dword v11, off, s[0:3], s32 offset:1196
	buffer_load_dword v12, off, s[0:3], s32 offset:1200
	;; [unrolled: 1-line block ×4, first 2 shown]
	v_fmac_f32_e32 v4, v10, v7
	v_mul_f32_e32 v0, v23, v88
	v_mul_f32_e32 v7, v23, v69
	;; [unrolled: 1-line block ×3, first 2 shown]
	buffer_load_dword v1, off, s[0:3], s32 offset:728 ; 4-byte Folded Reload
	s_waitcnt vmcnt(4)
	v_fmac_f32_e32 v4, v11, v0
	buffer_load_dword v0, off, s[0:3], s32 offset:724 ; 4-byte Folded Reload
	v_mul_f32_e32 v11, v23, v16
	s_waitcnt vmcnt(1)
	v_mul_f32_e32 v1, v23, v1
	v_fmac_f32_e32 v5, v13, v1
	s_waitcnt vmcnt(0)
	v_mul_f32_e32 v0, v23, v0
	v_fmac_f32_e32 v9, v12, v0
	buffer_load_dword v0, off, s[0:3], s32 offset:732 ; 4-byte Folded Reload
	v_mul_f32_e32 v12, v23, v17
	s_waitcnt vmcnt(0)
	v_mul_f32_e32 v0, v23, v0
	v_fmac_f32_e32 v8, v14, v0
	s_clause 0x3
	buffer_load_dword v0, off, s[0:3], s32 offset:1212
	buffer_load_dword v1, off, s[0:3], s32 offset:1216
	;; [unrolled: 1-line block ×4, first 2 shown]
	s_waitcnt vmcnt(3)
	v_fmac_f32_e32 v4, v0, v10
	s_waitcnt vmcnt(2)
	v_fmac_f32_e32 v9, v1, v7
	s_clause 0x1
	buffer_load_dword v20, off, s[0:3], s32 offset:712
	buffer_load_dword v1, off, s[0:3], s32 offset:872
	s_waitcnt vmcnt(3)
	v_fmac_f32_e32 v5, v2, v12
	s_clause 0x1
	buffer_load_dword v2, off, s[0:3], s32 offset:248
	buffer_load_dword v21, off, s[0:3], s32 offset:716
	v_add_f32_e32 v0, v4, v9
	buffer_load_dword v4, off, s[0:3], s32 offset:764 ; 4-byte Folded Reload
	s_waitcnt vmcnt(5)
	v_fmac_f32_e32 v8, v3, v11
	s_load_dword s23, s[8:9], 0x0
	v_add_f32_e32 v0, v5, v0
	s_clause 0x1
	buffer_load_dword v5, off, s[0:3], s32 offset:760
	buffer_load_dword v22, off, s[0:3], s32 offset:720
	v_add_f32_e32 v0, v8, v0
	s_waitcnt vmcnt(5)
	v_add_nc_u32_e32 v1, v1, v20
	v_cvt_f32_i32_e32 v1, v1
	s_waitcnt vmcnt(2)
	v_mul_f32_e32 v1, v4, v1
	buffer_load_dword v4, off, s[0:3], s32 offset:736 ; 4-byte Folded Reload
	v_cndmask_b32_e32 v1, 0, v1, vcc_lo
	s_waitcnt vmcnt(2)
	v_fmac_f32_e32 v1, v5, v0
	s_waitcnt vmcnt(1)
	v_max_f32_e32 v0, v22, v22
	v_max_f32_e32 v0, v0, v1
	s_waitcnt vmcnt(0)
	v_add_nc_u32_e32 v4, v4, v20
	v_cmp_lt_i32_e64 s5, v4, v2
	s_waitcnt lgkmcnt(0)
	v_add_nc_u32_e32 v4, s23, v21
	v_cndmask_b32_e64 v1, 0, v1, s5
	v_cndmask_b32_e64 v22, v22, v0, s5
	ds_write_b32 v4, v1
.LBB235_15:                             ;   in Loop: Header=BB235_16 Depth=1
	s_or_b32 exec_lo, exec_lo, s6
	s_clause 0x2
	buffer_load_dword v2, off, s[0:3], s32 offset:244
	buffer_load_dword v0, off, s[0:3], s32 offset:208
	;; [unrolled: 1-line block ×3, first 2 shown]
	v_add_nc_u32_e32 v20, 0x80, v20
	v_add_nc_u32_e32 v21, 0x200, v21
	s_waitcnt vmcnt(1)
	v_add_co_u32 v0, s5, v0, 16
	s_waitcnt vmcnt(0)
	v_add_co_ci_u32_e64 v1, null, 0, v1, s5
	v_add_nc_u32_e32 v2, 4, v2
	buffer_store_dword v0, off, s[0:3], s32 offset:208 ; 4-byte Folded Spill
	buffer_store_dword v1, off, s[0:3], s32 offset:212 ; 4-byte Folded Spill
	s_clause 0x1
	buffer_load_dword v0, off, s[0:3], s32 offset:232
	buffer_load_dword v122, off, s[0:3], s32 offset:248
	s_waitcnt vmcnt(1)
	v_cmp_ge_i32_e64 s5, v2, v0
	s_or_b32 s22, s5, s22
	s_andn2_b32 exec_lo, exec_lo, s22
	s_cbranch_execz .LBB235_912
.LBB235_16:                             ; =>This Inner Loop Header: Depth=1
	s_clause 0x2
	buffer_load_dword v1, off, s[0:3], s32 offset:236
	buffer_load_dword v7, off, s[0:3], s32 offset:216
	;; [unrolled: 1-line block ×3, first 2 shown]
	v_sub_nc_u32_e32 v0, 0, v20
	buffer_store_dword v2, off, s[0:3], s32 offset:244 ; 4-byte Folded Spill
	v_max_i32_e32 v0, v20, v0
	s_waitcnt vmcnt(2)
	v_mul_hi_u32 v1, v0, v1
	s_waitcnt vmcnt(1)
	v_mul_lo_u32 v4, v1, v7
	v_sub_nc_u32_e32 v0, v0, v4
	v_add_nc_u32_e32 v4, 1, v1
	v_sub_nc_u32_e32 v5, v0, v7
	v_cmp_ge_u32_e64 s5, v0, v7
	v_cndmask_b32_e64 v1, v1, v4, s5
	v_cndmask_b32_e64 v0, v0, v5, s5
	v_ashrrev_i32_e32 v4, 31, v20
	v_add_nc_u32_e32 v5, 1, v1
	v_cmp_ge_u32_e64 s5, v0, v7
	s_waitcnt vmcnt(0)
	v_xor_b32_e32 v4, v4, v8
	v_cndmask_b32_e64 v0, v1, v5, s5
	v_xor_b32_e32 v0, v0, v4
	v_sub_nc_u32_e32 v0, v0, v4
	s_clause 0x3
	buffer_load_dword v4, off, s[0:3], s32 offset:220
	buffer_load_dword v5, off, s[0:3], s32 offset:224
	;; [unrolled: 1-line block ×4, first 2 shown]
	s_waitcnt vmcnt(3)
	v_add_nc_u32_e32 v1, v0, v4
	v_sub_nc_u32_e32 v4, 0, v1
	v_max_i32_e32 v4, v1, v4
	v_ashrrev_i32_e32 v1, 31, v1
	s_waitcnt vmcnt(1)
	v_mul_hi_u32 v5, v4, v2
	s_waitcnt vmcnt(0)
	v_mul_lo_u32 v5, v5, v7
	v_sub_nc_u32_e32 v4, v4, v5
	v_sub_nc_u32_e32 v5, v4, v7
	v_cmp_ge_u32_e64 s5, v4, v7
	v_cndmask_b32_e64 v4, v4, v5, s5
	v_sub_nc_u32_e32 v5, v4, v7
	v_cmp_ge_u32_e64 s5, v4, v7
	v_cndmask_b32_e64 v4, v4, v5, s5
	v_xor_b32_e32 v4, v4, v1
	v_sub_nc_u32_e32 v1, v4, v1
	v_cmp_ne_u32_e64 s5, 0, v1
	buffer_load_dword v1, off, s[0:3], s32 offset:240 ; 4-byte Folded Reload
	s_waitcnt vmcnt(0)
	v_cmp_le_i32_e64 s6, v0, v1
	s_and_b32 s5, s5, s6
	s_and_saveexec_b32 s6, s5
	s_xor_b32 s5, exec_lo, s6
; %bb.17:                               ;   in Loop: Header=BB235_16 Depth=1
	v_add_nc_u32_e32 v0, s17, v21
	v_mov_b32_e32 v1, 0xff7fffff
	ds_write_b32 v0, v1
; %bb.18:                               ;   in Loop: Header=BB235_16 Depth=1
	s_andn2_saveexec_b32 s6, s5
	s_cbranch_execz .LBB235_15
; %bb.19:                               ;   in Loop: Header=BB235_16 Depth=1
	s_clause 0x1
	buffer_load_dword v0, off, s[0:3], s32 offset:208
	buffer_load_dword v1, off, s[0:3], s32 offset:212
	v_mov_b32_e32 v16, 0
	v_mov_b32_e32 v6, 0
	;; [unrolled: 1-line block ×4, first 2 shown]
	s_waitcnt vmcnt(0)
	flat_load_dword v0, v[0:1]
	s_clause 0x2
	buffer_load_dword v1, off, s[0:3], s32 offset:700
	buffer_load_dword v2, off, s[0:3], s32 offset:768
	buffer_load_dword v3, off, s[0:3], s32 offset:772
	s_waitcnt vmcnt(0) lgkmcnt(0)
	v_mad_i64_i32 v[120:121], null, v0, v1, v[2:3]
	flat_load_dword v0, v[120:121]
	s_clause 0x1
	buffer_load_dword v4, off, s[0:3], s32 offset:752
	buffer_load_dword v5, off, s[0:3], s32 offset:756
	s_waitcnt vmcnt(2) lgkmcnt(0)
	v_cmp_ne_u16_sdwa s5, v0, v29 src0_sel:BYTE_0 src1_sel:DWORD
	s_waitcnt vmcnt(0)
	flat_load_dword v23, v[4:5]
	s_and_saveexec_b32 s23, s5
	s_cbranch_execz .LBB235_27
; %bb.20:                               ;   in Loop: Header=BB235_16 Depth=1
	v_mov_b32_e32 v1, 0x80
	v_bfrev_b32_e32 v6, 1
	v_mov_b32_e32 v7, 0
	v_cmp_ne_u16_sdwa s5, v0, v1 src0_sel:BYTE_0 src1_sel:DWORD
	s_and_saveexec_b32 s24, s5
	s_cbranch_execz .LBB235_26
; %bb.21:                               ;   in Loop: Header=BB235_16 Depth=1
	v_mov_b32_e32 v6, 0x7f800001
	v_and_b32_e32 v4, 0x7f, v0
	v_mov_b32_e32 v7, 0
	s_mov_b32 s25, exec_lo
	v_cmpx_ne_u32_e32 0x7f, v4
	s_cbranch_execz .LBB235_25
; %bb.22:                               ;   in Loop: Header=BB235_16 Depth=1
	v_and_b32_e32 v28, 7, v0
	v_lshrrev_b32_e32 v1, 3, v4
	s_mov_b32 s26, exec_lo
	v_cmpx_gt_u32_e32 8, v4
; %bb.23:                               ;   in Loop: Header=BB235_16 Depth=1
	v_ffbh_u32_e32 v1, v28
	v_min_u32_e32 v1, 32, v1
	v_subrev_nc_u32_e32 v4, 28, v1
	v_sub_nc_u32_e32 v1, 29, v1
	v_lshlrev_b64 v[4:5], v4, v[28:29]
	v_and_b32_e32 v28, 7, v4
; %bb.24:                               ;   in Loop: Header=BB235_16 Depth=1
	s_or_b32 exec_lo, exec_lo, s26
	v_lshlrev_b32_e32 v4, 24, v0
	v_lshlrev_b32_e32 v5, 20, v28
	v_lshl_add_u32 v1, v1, 23, 0x3c000000
	v_and_b32_e32 v4, 0x80000000, v4
	v_or3_b32 v28, v5, v4, v1
	v_mov_b32_e32 v6, v28
	v_mov_b32_e32 v7, v29
.LBB235_25:                             ;   in Loop: Header=BB235_16 Depth=1
	s_or_b32 exec_lo, exec_lo, s25
.LBB235_26:                             ;   in Loop: Header=BB235_16 Depth=1
	s_or_b32 exec_lo, exec_lo, s24
.LBB235_27:                             ;   in Loop: Header=BB235_16 Depth=1
	s_or_b32 exec_lo, exec_lo, s23
	v_cmp_ne_u16_sdwa s5, v0, v29 src0_sel:BYTE_1 src1_sel:DWORD
	s_and_saveexec_b32 s23, s5
	s_cbranch_execz .LBB235_35
; %bb.28:                               ;   in Loop: Header=BB235_16 Depth=1
	v_mov_b32_e32 v110, v29
	v_mov_b32_e32 v1, 0x80
	;; [unrolled: 1-line block ×3, first 2 shown]
	v_cmp_ne_u16_sdwa s5, v0, v1 src0_sel:BYTE_1 src1_sel:DWORD
	v_mov_b32_e32 v17, v111
	s_and_saveexec_b32 s24, s5
	s_cbranch_execz .LBB235_34
; %bb.29:                               ;   in Loop: Header=BB235_16 Depth=1
	v_mov_b32_e32 v1, 0xffff
	v_mov_b32_e32 v104, v29
	s_mov_b32 s25, exec_lo
	v_and_b32_sdwa v1, v1, v0 dst_sel:DWORD dst_unused:UNUSED_PAD src0_sel:DWORD src1_sel:BYTE_1
	v_mov_b32_e32 v16, v104
	v_mov_b32_e32 v17, v105
	v_and_b32_e32 v4, 0x7f, v1
	v_cmpx_ne_u32_e32 0x7f, v4
	s_cbranch_execz .LBB235_33
; %bb.30:                               ;   in Loop: Header=BB235_16 Depth=1
	v_and_b32_e32 v28, 7, v1
	v_lshrrev_b32_e32 v1, 3, v4
	s_mov_b32 s26, exec_lo
	v_cmpx_gt_u32_e32 8, v4
; %bb.31:                               ;   in Loop: Header=BB235_16 Depth=1
	v_ffbh_u32_e32 v1, v28
	v_min_u32_e32 v1, 32, v1
	v_subrev_nc_u32_e32 v4, 28, v1
	v_sub_nc_u32_e32 v1, 29, v1
	v_lshlrev_b64 v[4:5], v4, v[28:29]
	v_and_b32_e32 v28, 7, v4
; %bb.32:                               ;   in Loop: Header=BB235_16 Depth=1
	s_or_b32 exec_lo, exec_lo, s26
	v_lshlrev_b32_e32 v4, 16, v0
	v_lshlrev_b32_e32 v5, 20, v28
	v_lshl_add_u32 v1, v1, 23, 0x3c000000
	v_mov_b32_e32 v16, v29
	v_and_b32_e32 v4, 0x80000000, v4
	v_or3_b32 v17, v5, v4, v1
.LBB235_33:                             ;   in Loop: Header=BB235_16 Depth=1
	s_or_b32 exec_lo, exec_lo, s25
.LBB235_34:                             ;   in Loop: Header=BB235_16 Depth=1
	s_or_b32 exec_lo, exec_lo, s24
.LBB235_35:                             ;   in Loop: Header=BB235_16 Depth=1
	s_or_b32 exec_lo, exec_lo, s23
	v_mov_b32_e32 v2, 0
	v_mov_b32_e32 v3, 0
	;; [unrolled: 1-line block ×3, first 2 shown]
	s_mov_b32 s23, exec_lo
	buffer_store_dword v2, off, s[0:3], s32 offset:252 ; 4-byte Folded Spill
	buffer_store_dword v3, off, s[0:3], s32 offset:256 ; 4-byte Folded Spill
	v_mov_b32_e32 v2, 0
	v_and_b32_sdwa v1, v0, v1 dst_sel:DWORD dst_unused:UNUSED_PAD src0_sel:WORD_1 src1_sel:DWORD
	v_mov_b32_e32 v3, 0
	buffer_store_dword v2, off, s[0:3], s32 offset:580 ; 4-byte Folded Spill
	buffer_store_dword v3, off, s[0:3], s32 offset:584 ; 4-byte Folded Spill
	v_cmpx_ne_u16_e32 0, v1
	s_cbranch_execz .LBB235_43
; %bb.36:                               ;   in Loop: Header=BB235_16 Depth=1
	v_cmp_ne_u16_e64 s5, 0x80, v1
	v_bfrev_b32_e32 v1, 1
	v_mov_b32_e32 v2, 0
	s_and_saveexec_b32 s24, s5
	s_cbranch_execz .LBB235_42
; %bb.37:                               ;   in Loop: Header=BB235_16 Depth=1
	v_mov_b32_e32 v1, 0x7f800001
	v_bfe_u32 v4, v0, 16, 7
	v_mov_b32_e32 v2, 0
	s_mov_b32 s25, exec_lo
	v_cmpx_ne_u32_e32 0x7f, v4
	s_cbranch_execz .LBB235_41
; %bb.38:                               ;   in Loop: Header=BB235_16 Depth=1
	v_mov_b32_e32 v1, 7
	s_mov_b32 s26, exec_lo
	v_and_b32_sdwa v28, v0, v1 dst_sel:DWORD dst_unused:UNUSED_PAD src0_sel:WORD_1 src1_sel:DWORD
	v_lshrrev_b32_e32 v1, 3, v4
	v_cmpx_gt_u32_e32 8, v4
; %bb.39:                               ;   in Loop: Header=BB235_16 Depth=1
	v_ffbh_u32_e32 v1, v28
	v_min_u32_e32 v1, 32, v1
	v_subrev_nc_u32_e32 v4, 28, v1
	v_sub_nc_u32_e32 v1, 29, v1
	v_lshlrev_b64 v[4:5], v4, v[28:29]
	v_and_b32_e32 v28, 7, v4
; %bb.40:                               ;   in Loop: Header=BB235_16 Depth=1
	s_or_b32 exec_lo, exec_lo, s26
	v_mov_b32_e32 v2, 24
	v_lshlrev_b32_e32 v5, 20, v28
	v_lshl_add_u32 v1, v1, 23, 0x3c000000
	v_lshlrev_b32_sdwa v4, v2, v0 dst_sel:DWORD dst_unused:UNUSED_PAD src0_sel:DWORD src1_sel:WORD_1
	v_and_b32_e32 v4, 0x80000000, v4
	v_or3_b32 v28, v5, v4, v1
	v_mov_b32_e32 v1, v28
	v_mov_b32_e32 v2, v29
.LBB235_41:                             ;   in Loop: Header=BB235_16 Depth=1
	s_or_b32 exec_lo, exec_lo, s25
.LBB235_42:                             ;   in Loop: Header=BB235_16 Depth=1
	s_or_b32 exec_lo, exec_lo, s24
	buffer_store_dword v1, off, s[0:3], s32 offset:580 ; 4-byte Folded Spill
	buffer_store_dword v2, off, s[0:3], s32 offset:584 ; 4-byte Folded Spill
.LBB235_43:                             ;   in Loop: Header=BB235_16 Depth=1
	s_or_b32 exec_lo, exec_lo, s23
	s_mov_b32 s23, exec_lo
	v_cmpx_lt_u32_e32 0xffffff, v0
	s_cbranch_execz .LBB235_51
; %bb.44:                               ;   in Loop: Header=BB235_16 Depth=1
	v_mov_b32_e32 v1, 0x80
	v_mov_b32_e32 v110, v29
	buffer_store_dword v110, off, s[0:3], s32 offset:252 ; 4-byte Folded Spill
	buffer_store_dword v111, off, s[0:3], s32 offset:256 ; 4-byte Folded Spill
	v_cmp_ne_u32_sdwa s5, v0, v1 src0_sel:BYTE_3 src1_sel:DWORD
	s_and_saveexec_b32 s24, s5
	s_cbranch_execz .LBB235_50
; %bb.45:                               ;   in Loop: Header=BB235_16 Depth=1
	v_bfe_u32 v4, v0, 24, 7
	v_mov_b32_e32 v104, v29
	s_mov_b32 s25, exec_lo
	buffer_store_dword v104, off, s[0:3], s32 offset:252 ; 4-byte Folded Spill
	buffer_store_dword v105, off, s[0:3], s32 offset:256 ; 4-byte Folded Spill
	v_cmpx_ne_u32_e32 0x7f, v4
	s_cbranch_execz .LBB235_49
; %bb.46:                               ;   in Loop: Header=BB235_16 Depth=1
	v_mov_b32_e32 v1, 7
	s_mov_b32 s26, exec_lo
	v_and_b32_sdwa v28, v0, v1 dst_sel:DWORD dst_unused:UNUSED_PAD src0_sel:BYTE_3 src1_sel:DWORD
	v_lshrrev_b32_e32 v1, 3, v4
	v_cmpx_gt_u32_e32 8, v4
; %bb.47:                               ;   in Loop: Header=BB235_16 Depth=1
	v_ffbh_u32_e32 v1, v28
	v_min_u32_e32 v1, 32, v1
	v_subrev_nc_u32_e32 v4, 28, v1
	v_sub_nc_u32_e32 v1, 29, v1
	v_lshlrev_b64 v[4:5], v4, v[28:29]
	v_and_b32_e32 v28, 7, v4
; %bb.48:                               ;   in Loop: Header=BB235_16 Depth=1
	s_or_b32 exec_lo, exec_lo, s26
	v_mov_b32_e32 v2, 24
	v_lshlrev_b32_e32 v4, 20, v28
	v_lshl_add_u32 v1, v1, 23, 0x3c000000
	v_lshlrev_b32_sdwa v0, v2, v0 dst_sel:DWORD dst_unused:UNUSED_PAD src0_sel:DWORD src1_sel:BYTE_3
	v_and_b32_e32 v0, 0x80000000, v0
	v_or3_b32 v1, v4, v0, v1
	v_mov_b32_e32 v0, v29
	buffer_store_dword v0, off, s[0:3], s32 offset:252 ; 4-byte Folded Spill
	buffer_store_dword v1, off, s[0:3], s32 offset:256 ; 4-byte Folded Spill
.LBB235_49:                             ;   in Loop: Header=BB235_16 Depth=1
	s_or_b32 exec_lo, exec_lo, s25
.LBB235_50:                             ;   in Loop: Header=BB235_16 Depth=1
	s_or_b32 exec_lo, exec_lo, s24
.LBB235_51:                             ;   in Loop: Header=BB235_16 Depth=1
	s_or_b32 exec_lo, exec_lo, s23
	flat_load_dword v0, v[120:121] offset:4
	v_mov_b32_e32 v1, 0
	v_mov_b32_e32 v2, 0
	buffer_store_dword v1, off, s[0:3], s32 offset:268 ; 4-byte Folded Spill
	buffer_store_dword v2, off, s[0:3], s32 offset:272 ; 4-byte Folded Spill
	v_mov_b32_e32 v1, 0
	v_mov_b32_e32 v2, 0
	buffer_store_dword v1, off, s[0:3], s32 offset:260 ; 4-byte Folded Spill
	buffer_store_dword v2, off, s[0:3], s32 offset:264 ; 4-byte Folded Spill
	s_waitcnt vmcnt(0) lgkmcnt(0)
	v_cmp_ne_u16_sdwa s5, v0, v29 src0_sel:BYTE_0 src1_sel:DWORD
	s_and_saveexec_b32 s23, s5
	s_cbranch_execz .LBB235_59
; %bb.52:                               ;   in Loop: Header=BB235_16 Depth=1
	v_bfrev_b32_e32 v1, 1
	v_mov_b32_e32 v2, 0
	buffer_store_dword v1, off, s[0:3], s32 offset:260 ; 4-byte Folded Spill
	buffer_store_dword v2, off, s[0:3], s32 offset:264 ; 4-byte Folded Spill
	v_mov_b32_e32 v1, 0x80
	v_cmp_ne_u16_sdwa s5, v0, v1 src0_sel:BYTE_0 src1_sel:DWORD
	s_and_saveexec_b32 s24, s5
	s_cbranch_execz .LBB235_58
; %bb.53:                               ;   in Loop: Header=BB235_16 Depth=1
	v_mov_b32_e32 v1, 0x7f800001
	v_and_b32_e32 v4, 0x7f, v0
	v_mov_b32_e32 v2, 0
	s_mov_b32 s25, exec_lo
	buffer_store_dword v1, off, s[0:3], s32 offset:260 ; 4-byte Folded Spill
	buffer_store_dword v2, off, s[0:3], s32 offset:264 ; 4-byte Folded Spill
	v_cmpx_ne_u32_e32 0x7f, v4
	s_cbranch_execz .LBB235_57
; %bb.54:                               ;   in Loop: Header=BB235_16 Depth=1
	v_and_b32_e32 v28, 7, v0
	v_lshrrev_b32_e32 v1, 3, v4
	s_mov_b32 s26, exec_lo
	v_cmpx_gt_u32_e32 8, v4
; %bb.55:                               ;   in Loop: Header=BB235_16 Depth=1
	v_ffbh_u32_e32 v1, v28
	v_min_u32_e32 v1, 32, v1
	v_subrev_nc_u32_e32 v4, 28, v1
	v_sub_nc_u32_e32 v1, 29, v1
	v_lshlrev_b64 v[4:5], v4, v[28:29]
	v_and_b32_e32 v28, 7, v4
; %bb.56:                               ;   in Loop: Header=BB235_16 Depth=1
	s_or_b32 exec_lo, exec_lo, s26
	v_lshlrev_b32_e32 v4, 24, v0
	v_lshlrev_b32_e32 v5, 20, v28
	v_lshl_add_u32 v1, v1, 23, 0x3c000000
	v_and_b32_e32 v4, 0x80000000, v4
	v_or3_b32 v28, v5, v4, v1
	buffer_store_dword v28, off, s[0:3], s32 offset:260 ; 4-byte Folded Spill
	buffer_store_dword v29, off, s[0:3], s32 offset:264 ; 4-byte Folded Spill
.LBB235_57:                             ;   in Loop: Header=BB235_16 Depth=1
	s_or_b32 exec_lo, exec_lo, s25
.LBB235_58:                             ;   in Loop: Header=BB235_16 Depth=1
	s_or_b32 exec_lo, exec_lo, s24
.LBB235_59:                             ;   in Loop: Header=BB235_16 Depth=1
	s_or_b32 exec_lo, exec_lo, s23
	v_cmp_ne_u16_sdwa s5, v0, v29 src0_sel:BYTE_1 src1_sel:DWORD
	s_and_saveexec_b32 s23, s5
	s_cbranch_execz .LBB235_67
; %bb.60:                               ;   in Loop: Header=BB235_16 Depth=1
	v_mov_b32_e32 v1, 0x80
	v_mov_b32_e32 v110, v29
	buffer_store_dword v110, off, s[0:3], s32 offset:268 ; 4-byte Folded Spill
	buffer_store_dword v111, off, s[0:3], s32 offset:272 ; 4-byte Folded Spill
	v_cmp_ne_u16_sdwa s5, v0, v1 src0_sel:BYTE_1 src1_sel:DWORD
	s_and_saveexec_b32 s24, s5
	s_cbranch_execz .LBB235_66
; %bb.61:                               ;   in Loop: Header=BB235_16 Depth=1
	v_mov_b32_e32 v1, 0xffff
	v_mov_b32_e32 v104, v29
	s_mov_b32 s25, exec_lo
	buffer_store_dword v104, off, s[0:3], s32 offset:268 ; 4-byte Folded Spill
	buffer_store_dword v105, off, s[0:3], s32 offset:272 ; 4-byte Folded Spill
	v_and_b32_sdwa v1, v1, v0 dst_sel:DWORD dst_unused:UNUSED_PAD src0_sel:DWORD src1_sel:BYTE_1
	v_and_b32_e32 v4, 0x7f, v1
	v_cmpx_ne_u32_e32 0x7f, v4
	s_cbranch_execz .LBB235_65
; %bb.62:                               ;   in Loop: Header=BB235_16 Depth=1
	v_and_b32_e32 v28, 7, v1
	v_lshrrev_b32_e32 v1, 3, v4
	s_mov_b32 s26, exec_lo
	v_cmpx_gt_u32_e32 8, v4
; %bb.63:                               ;   in Loop: Header=BB235_16 Depth=1
	v_ffbh_u32_e32 v1, v28
	v_min_u32_e32 v1, 32, v1
	v_subrev_nc_u32_e32 v4, 28, v1
	v_sub_nc_u32_e32 v1, 29, v1
	v_lshlrev_b64 v[4:5], v4, v[28:29]
	v_and_b32_e32 v28, 7, v4
; %bb.64:                               ;   in Loop: Header=BB235_16 Depth=1
	s_or_b32 exec_lo, exec_lo, s26
	v_lshlrev_b32_e32 v4, 16, v0
	v_lshlrev_b32_e32 v5, 20, v28
	v_lshl_add_u32 v1, v1, 23, 0x3c000000
	v_and_b32_e32 v4, 0x80000000, v4
	v_or3_b32 v2, v5, v4, v1
	v_mov_b32_e32 v1, v29
	buffer_store_dword v1, off, s[0:3], s32 offset:268 ; 4-byte Folded Spill
	buffer_store_dword v2, off, s[0:3], s32 offset:272 ; 4-byte Folded Spill
.LBB235_65:                             ;   in Loop: Header=BB235_16 Depth=1
	s_or_b32 exec_lo, exec_lo, s25
.LBB235_66:                             ;   in Loop: Header=BB235_16 Depth=1
	s_or_b32 exec_lo, exec_lo, s24
.LBB235_67:                             ;   in Loop: Header=BB235_16 Depth=1
	s_or_b32 exec_lo, exec_lo, s23
	v_mov_b32_e32 v2, 0
	v_mov_b32_e32 v3, 0
	;; [unrolled: 1-line block ×3, first 2 shown]
	s_mov_b32 s23, exec_lo
	buffer_store_dword v2, off, s[0:3], s32 offset:276 ; 4-byte Folded Spill
	buffer_store_dword v3, off, s[0:3], s32 offset:280 ; 4-byte Folded Spill
	v_mov_b32_e32 v2, 0
	v_and_b32_sdwa v1, v0, v1 dst_sel:DWORD dst_unused:UNUSED_PAD src0_sel:WORD_1 src1_sel:DWORD
	v_mov_b32_e32 v3, 0
	buffer_store_dword v2, off, s[0:3], s32 offset:588 ; 4-byte Folded Spill
	buffer_store_dword v3, off, s[0:3], s32 offset:592 ; 4-byte Folded Spill
	v_cmpx_ne_u16_e32 0, v1
	s_cbranch_execz .LBB235_75
; %bb.68:                               ;   in Loop: Header=BB235_16 Depth=1
	v_cmp_ne_u16_e64 s5, 0x80, v1
	v_bfrev_b32_e32 v1, 1
	v_mov_b32_e32 v2, 0
	s_and_saveexec_b32 s24, s5
	s_cbranch_execz .LBB235_74
; %bb.69:                               ;   in Loop: Header=BB235_16 Depth=1
	v_mov_b32_e32 v1, 0x7f800001
	v_bfe_u32 v4, v0, 16, 7
	v_mov_b32_e32 v2, 0
	s_mov_b32 s25, exec_lo
	v_cmpx_ne_u32_e32 0x7f, v4
	s_cbranch_execz .LBB235_73
; %bb.70:                               ;   in Loop: Header=BB235_16 Depth=1
	v_mov_b32_e32 v1, 7
	s_mov_b32 s26, exec_lo
	v_and_b32_sdwa v28, v0, v1 dst_sel:DWORD dst_unused:UNUSED_PAD src0_sel:WORD_1 src1_sel:DWORD
	v_lshrrev_b32_e32 v1, 3, v4
	v_cmpx_gt_u32_e32 8, v4
; %bb.71:                               ;   in Loop: Header=BB235_16 Depth=1
	v_ffbh_u32_e32 v1, v28
	v_min_u32_e32 v1, 32, v1
	v_subrev_nc_u32_e32 v4, 28, v1
	v_sub_nc_u32_e32 v1, 29, v1
	v_lshlrev_b64 v[4:5], v4, v[28:29]
	v_and_b32_e32 v28, 7, v4
; %bb.72:                               ;   in Loop: Header=BB235_16 Depth=1
	s_or_b32 exec_lo, exec_lo, s26
	v_mov_b32_e32 v2, 24
	v_lshlrev_b32_e32 v5, 20, v28
	v_lshl_add_u32 v1, v1, 23, 0x3c000000
	v_lshlrev_b32_sdwa v4, v2, v0 dst_sel:DWORD dst_unused:UNUSED_PAD src0_sel:DWORD src1_sel:WORD_1
	v_and_b32_e32 v4, 0x80000000, v4
	v_or3_b32 v28, v5, v4, v1
	v_mov_b32_e32 v1, v28
	v_mov_b32_e32 v2, v29
.LBB235_73:                             ;   in Loop: Header=BB235_16 Depth=1
	s_or_b32 exec_lo, exec_lo, s25
.LBB235_74:                             ;   in Loop: Header=BB235_16 Depth=1
	s_or_b32 exec_lo, exec_lo, s24
	buffer_store_dword v1, off, s[0:3], s32 offset:588 ; 4-byte Folded Spill
	buffer_store_dword v2, off, s[0:3], s32 offset:592 ; 4-byte Folded Spill
.LBB235_75:                             ;   in Loop: Header=BB235_16 Depth=1
	s_or_b32 exec_lo, exec_lo, s23
	s_mov_b32 s23, exec_lo
	v_cmpx_lt_u32_e32 0xffffff, v0
	s_cbranch_execz .LBB235_83
; %bb.76:                               ;   in Loop: Header=BB235_16 Depth=1
	v_mov_b32_e32 v1, 0x80
	v_mov_b32_e32 v110, v29
	buffer_store_dword v110, off, s[0:3], s32 offset:276 ; 4-byte Folded Spill
	buffer_store_dword v111, off, s[0:3], s32 offset:280 ; 4-byte Folded Spill
	v_cmp_ne_u32_sdwa s5, v0, v1 src0_sel:BYTE_3 src1_sel:DWORD
	s_and_saveexec_b32 s24, s5
	s_cbranch_execz .LBB235_82
; %bb.77:                               ;   in Loop: Header=BB235_16 Depth=1
	v_bfe_u32 v4, v0, 24, 7
	v_mov_b32_e32 v104, v29
	s_mov_b32 s25, exec_lo
	buffer_store_dword v104, off, s[0:3], s32 offset:276 ; 4-byte Folded Spill
	buffer_store_dword v105, off, s[0:3], s32 offset:280 ; 4-byte Folded Spill
	v_cmpx_ne_u32_e32 0x7f, v4
	s_cbranch_execz .LBB235_81
; %bb.78:                               ;   in Loop: Header=BB235_16 Depth=1
	v_mov_b32_e32 v1, 7
	s_mov_b32 s26, exec_lo
	v_and_b32_sdwa v28, v0, v1 dst_sel:DWORD dst_unused:UNUSED_PAD src0_sel:BYTE_3 src1_sel:DWORD
	v_lshrrev_b32_e32 v1, 3, v4
	v_cmpx_gt_u32_e32 8, v4
; %bb.79:                               ;   in Loop: Header=BB235_16 Depth=1
	v_ffbh_u32_e32 v1, v28
	v_min_u32_e32 v1, 32, v1
	v_subrev_nc_u32_e32 v4, 28, v1
	v_sub_nc_u32_e32 v1, 29, v1
	v_lshlrev_b64 v[4:5], v4, v[28:29]
	v_and_b32_e32 v28, 7, v4
; %bb.80:                               ;   in Loop: Header=BB235_16 Depth=1
	s_or_b32 exec_lo, exec_lo, s26
	v_mov_b32_e32 v2, 24
	v_lshlrev_b32_e32 v4, 20, v28
	v_lshl_add_u32 v1, v1, 23, 0x3c000000
	v_lshlrev_b32_sdwa v0, v2, v0 dst_sel:DWORD dst_unused:UNUSED_PAD src0_sel:DWORD src1_sel:BYTE_3
	v_and_b32_e32 v0, 0x80000000, v0
	v_or3_b32 v1, v4, v0, v1
	v_mov_b32_e32 v0, v29
	buffer_store_dword v0, off, s[0:3], s32 offset:276 ; 4-byte Folded Spill
	buffer_store_dword v1, off, s[0:3], s32 offset:280 ; 4-byte Folded Spill
.LBB235_81:                             ;   in Loop: Header=BB235_16 Depth=1
	s_or_b32 exec_lo, exec_lo, s25
.LBB235_82:                             ;   in Loop: Header=BB235_16 Depth=1
	s_or_b32 exec_lo, exec_lo, s24
.LBB235_83:                             ;   in Loop: Header=BB235_16 Depth=1
	s_or_b32 exec_lo, exec_lo, s23
	flat_load_dword v0, v[120:121] offset:8
	v_mov_b32_e32 v1, 0
	v_mov_b32_e32 v2, 0
	buffer_store_dword v1, off, s[0:3], s32 offset:292 ; 4-byte Folded Spill
	buffer_store_dword v2, off, s[0:3], s32 offset:296 ; 4-byte Folded Spill
	v_mov_b32_e32 v1, 0
	v_mov_b32_e32 v2, 0
	buffer_store_dword v1, off, s[0:3], s32 offset:284 ; 4-byte Folded Spill
	buffer_store_dword v2, off, s[0:3], s32 offset:288 ; 4-byte Folded Spill
	s_waitcnt vmcnt(0) lgkmcnt(0)
	v_cmp_ne_u16_sdwa s5, v0, v29 src0_sel:BYTE_0 src1_sel:DWORD
	s_and_saveexec_b32 s23, s5
	s_cbranch_execz .LBB235_91
; %bb.84:                               ;   in Loop: Header=BB235_16 Depth=1
	v_bfrev_b32_e32 v1, 1
	v_mov_b32_e32 v2, 0
	buffer_store_dword v1, off, s[0:3], s32 offset:284 ; 4-byte Folded Spill
	buffer_store_dword v2, off, s[0:3], s32 offset:288 ; 4-byte Folded Spill
	v_mov_b32_e32 v1, 0x80
	v_cmp_ne_u16_sdwa s5, v0, v1 src0_sel:BYTE_0 src1_sel:DWORD
	s_and_saveexec_b32 s24, s5
	s_cbranch_execz .LBB235_90
; %bb.85:                               ;   in Loop: Header=BB235_16 Depth=1
	v_mov_b32_e32 v1, 0x7f800001
	v_and_b32_e32 v4, 0x7f, v0
	v_mov_b32_e32 v2, 0
	s_mov_b32 s25, exec_lo
	buffer_store_dword v1, off, s[0:3], s32 offset:284 ; 4-byte Folded Spill
	buffer_store_dword v2, off, s[0:3], s32 offset:288 ; 4-byte Folded Spill
	v_cmpx_ne_u32_e32 0x7f, v4
	s_cbranch_execz .LBB235_89
; %bb.86:                               ;   in Loop: Header=BB235_16 Depth=1
	v_and_b32_e32 v28, 7, v0
	v_lshrrev_b32_e32 v1, 3, v4
	s_mov_b32 s26, exec_lo
	v_cmpx_gt_u32_e32 8, v4
; %bb.87:                               ;   in Loop: Header=BB235_16 Depth=1
	v_ffbh_u32_e32 v1, v28
	v_min_u32_e32 v1, 32, v1
	v_subrev_nc_u32_e32 v4, 28, v1
	v_sub_nc_u32_e32 v1, 29, v1
	v_lshlrev_b64 v[4:5], v4, v[28:29]
	v_and_b32_e32 v28, 7, v4
; %bb.88:                               ;   in Loop: Header=BB235_16 Depth=1
	s_or_b32 exec_lo, exec_lo, s26
	v_lshlrev_b32_e32 v4, 24, v0
	v_lshlrev_b32_e32 v5, 20, v28
	v_lshl_add_u32 v1, v1, 23, 0x3c000000
	v_and_b32_e32 v4, 0x80000000, v4
	v_or3_b32 v28, v5, v4, v1
	buffer_store_dword v28, off, s[0:3], s32 offset:284 ; 4-byte Folded Spill
	buffer_store_dword v29, off, s[0:3], s32 offset:288 ; 4-byte Folded Spill
.LBB235_89:                             ;   in Loop: Header=BB235_16 Depth=1
	s_or_b32 exec_lo, exec_lo, s25
.LBB235_90:                             ;   in Loop: Header=BB235_16 Depth=1
	s_or_b32 exec_lo, exec_lo, s24
.LBB235_91:                             ;   in Loop: Header=BB235_16 Depth=1
	s_or_b32 exec_lo, exec_lo, s23
	v_cmp_ne_u16_sdwa s5, v0, v29 src0_sel:BYTE_1 src1_sel:DWORD
	s_and_saveexec_b32 s23, s5
	s_cbranch_execz .LBB235_99
; %bb.92:                               ;   in Loop: Header=BB235_16 Depth=1
	v_mov_b32_e32 v1, 0x80
	v_mov_b32_e32 v110, v29
	buffer_store_dword v110, off, s[0:3], s32 offset:292 ; 4-byte Folded Spill
	buffer_store_dword v111, off, s[0:3], s32 offset:296 ; 4-byte Folded Spill
	v_cmp_ne_u16_sdwa s5, v0, v1 src0_sel:BYTE_1 src1_sel:DWORD
	s_and_saveexec_b32 s24, s5
	s_cbranch_execz .LBB235_98
; %bb.93:                               ;   in Loop: Header=BB235_16 Depth=1
	v_mov_b32_e32 v1, 0xffff
	v_mov_b32_e32 v104, v29
	s_mov_b32 s25, exec_lo
	buffer_store_dword v104, off, s[0:3], s32 offset:292 ; 4-byte Folded Spill
	buffer_store_dword v105, off, s[0:3], s32 offset:296 ; 4-byte Folded Spill
	v_and_b32_sdwa v1, v1, v0 dst_sel:DWORD dst_unused:UNUSED_PAD src0_sel:DWORD src1_sel:BYTE_1
	v_and_b32_e32 v4, 0x7f, v1
	v_cmpx_ne_u32_e32 0x7f, v4
	s_cbranch_execz .LBB235_97
; %bb.94:                               ;   in Loop: Header=BB235_16 Depth=1
	v_and_b32_e32 v28, 7, v1
	v_lshrrev_b32_e32 v1, 3, v4
	s_mov_b32 s26, exec_lo
	v_cmpx_gt_u32_e32 8, v4
; %bb.95:                               ;   in Loop: Header=BB235_16 Depth=1
	v_ffbh_u32_e32 v1, v28
	v_min_u32_e32 v1, 32, v1
	v_subrev_nc_u32_e32 v4, 28, v1
	v_sub_nc_u32_e32 v1, 29, v1
	v_lshlrev_b64 v[4:5], v4, v[28:29]
	v_and_b32_e32 v28, 7, v4
; %bb.96:                               ;   in Loop: Header=BB235_16 Depth=1
	s_or_b32 exec_lo, exec_lo, s26
	v_lshlrev_b32_e32 v4, 16, v0
	v_lshlrev_b32_e32 v5, 20, v28
	v_lshl_add_u32 v1, v1, 23, 0x3c000000
	v_and_b32_e32 v4, 0x80000000, v4
	v_or3_b32 v2, v5, v4, v1
	v_mov_b32_e32 v1, v29
	buffer_store_dword v1, off, s[0:3], s32 offset:292 ; 4-byte Folded Spill
	buffer_store_dword v2, off, s[0:3], s32 offset:296 ; 4-byte Folded Spill
.LBB235_97:                             ;   in Loop: Header=BB235_16 Depth=1
	s_or_b32 exec_lo, exec_lo, s25
.LBB235_98:                             ;   in Loop: Header=BB235_16 Depth=1
	s_or_b32 exec_lo, exec_lo, s24
.LBB235_99:                             ;   in Loop: Header=BB235_16 Depth=1
	s_or_b32 exec_lo, exec_lo, s23
	v_mov_b32_e32 v2, 0
	v_mov_b32_e32 v3, 0
	;; [unrolled: 1-line block ×3, first 2 shown]
	s_mov_b32 s23, exec_lo
	buffer_store_dword v2, off, s[0:3], s32 offset:300 ; 4-byte Folded Spill
	buffer_store_dword v3, off, s[0:3], s32 offset:304 ; 4-byte Folded Spill
	v_mov_b32_e32 v2, 0
	v_and_b32_sdwa v1, v0, v1 dst_sel:DWORD dst_unused:UNUSED_PAD src0_sel:WORD_1 src1_sel:DWORD
	v_mov_b32_e32 v3, 0
	buffer_store_dword v2, off, s[0:3], s32 offset:596 ; 4-byte Folded Spill
	buffer_store_dword v3, off, s[0:3], s32 offset:600 ; 4-byte Folded Spill
	v_cmpx_ne_u16_e32 0, v1
	s_cbranch_execz .LBB235_107
; %bb.100:                              ;   in Loop: Header=BB235_16 Depth=1
	v_cmp_ne_u16_e64 s5, 0x80, v1
	v_bfrev_b32_e32 v1, 1
	v_mov_b32_e32 v2, 0
	s_and_saveexec_b32 s24, s5
	s_cbranch_execz .LBB235_106
; %bb.101:                              ;   in Loop: Header=BB235_16 Depth=1
	v_mov_b32_e32 v1, 0x7f800001
	v_bfe_u32 v4, v0, 16, 7
	v_mov_b32_e32 v2, 0
	s_mov_b32 s25, exec_lo
	v_cmpx_ne_u32_e32 0x7f, v4
	s_cbranch_execz .LBB235_105
; %bb.102:                              ;   in Loop: Header=BB235_16 Depth=1
	v_mov_b32_e32 v1, 7
	s_mov_b32 s26, exec_lo
	v_and_b32_sdwa v28, v0, v1 dst_sel:DWORD dst_unused:UNUSED_PAD src0_sel:WORD_1 src1_sel:DWORD
	v_lshrrev_b32_e32 v1, 3, v4
	v_cmpx_gt_u32_e32 8, v4
; %bb.103:                              ;   in Loop: Header=BB235_16 Depth=1
	v_ffbh_u32_e32 v1, v28
	v_min_u32_e32 v1, 32, v1
	v_subrev_nc_u32_e32 v4, 28, v1
	v_sub_nc_u32_e32 v1, 29, v1
	v_lshlrev_b64 v[4:5], v4, v[28:29]
	v_and_b32_e32 v28, 7, v4
; %bb.104:                              ;   in Loop: Header=BB235_16 Depth=1
	s_or_b32 exec_lo, exec_lo, s26
	v_mov_b32_e32 v2, 24
	v_lshlrev_b32_e32 v5, 20, v28
	v_lshl_add_u32 v1, v1, 23, 0x3c000000
	v_lshlrev_b32_sdwa v4, v2, v0 dst_sel:DWORD dst_unused:UNUSED_PAD src0_sel:DWORD src1_sel:WORD_1
	v_and_b32_e32 v4, 0x80000000, v4
	v_or3_b32 v28, v5, v4, v1
	v_mov_b32_e32 v1, v28
	v_mov_b32_e32 v2, v29
.LBB235_105:                            ;   in Loop: Header=BB235_16 Depth=1
	s_or_b32 exec_lo, exec_lo, s25
.LBB235_106:                            ;   in Loop: Header=BB235_16 Depth=1
	s_or_b32 exec_lo, exec_lo, s24
	buffer_store_dword v1, off, s[0:3], s32 offset:596 ; 4-byte Folded Spill
	buffer_store_dword v2, off, s[0:3], s32 offset:600 ; 4-byte Folded Spill
.LBB235_107:                            ;   in Loop: Header=BB235_16 Depth=1
	s_or_b32 exec_lo, exec_lo, s23
	s_mov_b32 s23, exec_lo
	v_cmpx_lt_u32_e32 0xffffff, v0
	s_cbranch_execz .LBB235_115
; %bb.108:                              ;   in Loop: Header=BB235_16 Depth=1
	v_mov_b32_e32 v1, 0x80
	v_mov_b32_e32 v110, v29
	buffer_store_dword v110, off, s[0:3], s32 offset:300 ; 4-byte Folded Spill
	buffer_store_dword v111, off, s[0:3], s32 offset:304 ; 4-byte Folded Spill
	v_cmp_ne_u32_sdwa s5, v0, v1 src0_sel:BYTE_3 src1_sel:DWORD
	s_and_saveexec_b32 s24, s5
	s_cbranch_execz .LBB235_114
; %bb.109:                              ;   in Loop: Header=BB235_16 Depth=1
	v_bfe_u32 v4, v0, 24, 7
	v_mov_b32_e32 v104, v29
	s_mov_b32 s25, exec_lo
	buffer_store_dword v104, off, s[0:3], s32 offset:300 ; 4-byte Folded Spill
	buffer_store_dword v105, off, s[0:3], s32 offset:304 ; 4-byte Folded Spill
	v_cmpx_ne_u32_e32 0x7f, v4
	s_cbranch_execz .LBB235_113
; %bb.110:                              ;   in Loop: Header=BB235_16 Depth=1
	v_mov_b32_e32 v1, 7
	s_mov_b32 s26, exec_lo
	v_and_b32_sdwa v28, v0, v1 dst_sel:DWORD dst_unused:UNUSED_PAD src0_sel:BYTE_3 src1_sel:DWORD
	v_lshrrev_b32_e32 v1, 3, v4
	v_cmpx_gt_u32_e32 8, v4
; %bb.111:                              ;   in Loop: Header=BB235_16 Depth=1
	v_ffbh_u32_e32 v1, v28
	v_min_u32_e32 v1, 32, v1
	v_subrev_nc_u32_e32 v4, 28, v1
	v_sub_nc_u32_e32 v1, 29, v1
	v_lshlrev_b64 v[4:5], v4, v[28:29]
	v_and_b32_e32 v28, 7, v4
; %bb.112:                              ;   in Loop: Header=BB235_16 Depth=1
	s_or_b32 exec_lo, exec_lo, s26
	v_mov_b32_e32 v2, 24
	v_lshlrev_b32_e32 v4, 20, v28
	v_lshl_add_u32 v1, v1, 23, 0x3c000000
	v_lshlrev_b32_sdwa v0, v2, v0 dst_sel:DWORD dst_unused:UNUSED_PAD src0_sel:DWORD src1_sel:BYTE_3
	v_and_b32_e32 v0, 0x80000000, v0
	v_or3_b32 v1, v4, v0, v1
	v_mov_b32_e32 v0, v29
	buffer_store_dword v0, off, s[0:3], s32 offset:300 ; 4-byte Folded Spill
	buffer_store_dword v1, off, s[0:3], s32 offset:304 ; 4-byte Folded Spill
.LBB235_113:                            ;   in Loop: Header=BB235_16 Depth=1
	s_or_b32 exec_lo, exec_lo, s25
.LBB235_114:                            ;   in Loop: Header=BB235_16 Depth=1
	s_or_b32 exec_lo, exec_lo, s24
.LBB235_115:                            ;   in Loop: Header=BB235_16 Depth=1
	s_or_b32 exec_lo, exec_lo, s23
	flat_load_dword v0, v[120:121] offset:12
	v_mov_b32_e32 v1, 0
	v_mov_b32_e32 v2, 0
	buffer_store_dword v1, off, s[0:3], s32 offset:316 ; 4-byte Folded Spill
	buffer_store_dword v2, off, s[0:3], s32 offset:320 ; 4-byte Folded Spill
	v_mov_b32_e32 v1, 0
	v_mov_b32_e32 v2, 0
	buffer_store_dword v1, off, s[0:3], s32 offset:308 ; 4-byte Folded Spill
	buffer_store_dword v2, off, s[0:3], s32 offset:312 ; 4-byte Folded Spill
	s_waitcnt vmcnt(0) lgkmcnt(0)
	v_cmp_ne_u16_sdwa s5, v0, v29 src0_sel:BYTE_0 src1_sel:DWORD
	s_and_saveexec_b32 s23, s5
	s_cbranch_execz .LBB235_123
; %bb.116:                              ;   in Loop: Header=BB235_16 Depth=1
	v_bfrev_b32_e32 v1, 1
	v_mov_b32_e32 v2, 0
	buffer_store_dword v1, off, s[0:3], s32 offset:308 ; 4-byte Folded Spill
	buffer_store_dword v2, off, s[0:3], s32 offset:312 ; 4-byte Folded Spill
	v_mov_b32_e32 v1, 0x80
	v_cmp_ne_u16_sdwa s5, v0, v1 src0_sel:BYTE_0 src1_sel:DWORD
	s_and_saveexec_b32 s24, s5
	s_cbranch_execz .LBB235_122
; %bb.117:                              ;   in Loop: Header=BB235_16 Depth=1
	v_mov_b32_e32 v1, 0x7f800001
	v_and_b32_e32 v4, 0x7f, v0
	v_mov_b32_e32 v2, 0
	s_mov_b32 s25, exec_lo
	buffer_store_dword v1, off, s[0:3], s32 offset:308 ; 4-byte Folded Spill
	buffer_store_dword v2, off, s[0:3], s32 offset:312 ; 4-byte Folded Spill
	v_cmpx_ne_u32_e32 0x7f, v4
	s_cbranch_execz .LBB235_121
; %bb.118:                              ;   in Loop: Header=BB235_16 Depth=1
	v_and_b32_e32 v28, 7, v0
	v_lshrrev_b32_e32 v1, 3, v4
	s_mov_b32 s26, exec_lo
	v_cmpx_gt_u32_e32 8, v4
; %bb.119:                              ;   in Loop: Header=BB235_16 Depth=1
	v_ffbh_u32_e32 v1, v28
	v_min_u32_e32 v1, 32, v1
	v_subrev_nc_u32_e32 v4, 28, v1
	v_sub_nc_u32_e32 v1, 29, v1
	v_lshlrev_b64 v[4:5], v4, v[28:29]
	v_and_b32_e32 v28, 7, v4
; %bb.120:                              ;   in Loop: Header=BB235_16 Depth=1
	s_or_b32 exec_lo, exec_lo, s26
	v_lshlrev_b32_e32 v4, 24, v0
	v_lshlrev_b32_e32 v5, 20, v28
	v_lshl_add_u32 v1, v1, 23, 0x3c000000
	v_and_b32_e32 v4, 0x80000000, v4
	v_or3_b32 v28, v5, v4, v1
	buffer_store_dword v28, off, s[0:3], s32 offset:308 ; 4-byte Folded Spill
	buffer_store_dword v29, off, s[0:3], s32 offset:312 ; 4-byte Folded Spill
.LBB235_121:                            ;   in Loop: Header=BB235_16 Depth=1
	s_or_b32 exec_lo, exec_lo, s25
.LBB235_122:                            ;   in Loop: Header=BB235_16 Depth=1
	s_or_b32 exec_lo, exec_lo, s24
.LBB235_123:                            ;   in Loop: Header=BB235_16 Depth=1
	s_or_b32 exec_lo, exec_lo, s23
	v_cmp_ne_u16_sdwa s5, v0, v29 src0_sel:BYTE_1 src1_sel:DWORD
	s_and_saveexec_b32 s23, s5
	s_cbranch_execz .LBB235_131
; %bb.124:                              ;   in Loop: Header=BB235_16 Depth=1
	v_mov_b32_e32 v1, 0x80
	v_mov_b32_e32 v110, v29
	buffer_store_dword v110, off, s[0:3], s32 offset:316 ; 4-byte Folded Spill
	buffer_store_dword v111, off, s[0:3], s32 offset:320 ; 4-byte Folded Spill
	v_cmp_ne_u16_sdwa s5, v0, v1 src0_sel:BYTE_1 src1_sel:DWORD
	s_and_saveexec_b32 s24, s5
	s_cbranch_execz .LBB235_130
; %bb.125:                              ;   in Loop: Header=BB235_16 Depth=1
	v_mov_b32_e32 v1, 0xffff
	v_mov_b32_e32 v104, v29
	s_mov_b32 s25, exec_lo
	buffer_store_dword v104, off, s[0:3], s32 offset:316 ; 4-byte Folded Spill
	buffer_store_dword v105, off, s[0:3], s32 offset:320 ; 4-byte Folded Spill
	v_and_b32_sdwa v1, v1, v0 dst_sel:DWORD dst_unused:UNUSED_PAD src0_sel:DWORD src1_sel:BYTE_1
	v_and_b32_e32 v4, 0x7f, v1
	v_cmpx_ne_u32_e32 0x7f, v4
	s_cbranch_execz .LBB235_129
; %bb.126:                              ;   in Loop: Header=BB235_16 Depth=1
	v_and_b32_e32 v28, 7, v1
	v_lshrrev_b32_e32 v1, 3, v4
	s_mov_b32 s26, exec_lo
	v_cmpx_gt_u32_e32 8, v4
; %bb.127:                              ;   in Loop: Header=BB235_16 Depth=1
	v_ffbh_u32_e32 v1, v28
	v_min_u32_e32 v1, 32, v1
	v_subrev_nc_u32_e32 v4, 28, v1
	v_sub_nc_u32_e32 v1, 29, v1
	v_lshlrev_b64 v[4:5], v4, v[28:29]
	v_and_b32_e32 v28, 7, v4
; %bb.128:                              ;   in Loop: Header=BB235_16 Depth=1
	s_or_b32 exec_lo, exec_lo, s26
	v_lshlrev_b32_e32 v4, 16, v0
	v_lshlrev_b32_e32 v5, 20, v28
	v_lshl_add_u32 v1, v1, 23, 0x3c000000
	v_and_b32_e32 v4, 0x80000000, v4
	v_or3_b32 v2, v5, v4, v1
	v_mov_b32_e32 v1, v29
	buffer_store_dword v1, off, s[0:3], s32 offset:316 ; 4-byte Folded Spill
	buffer_store_dword v2, off, s[0:3], s32 offset:320 ; 4-byte Folded Spill
.LBB235_129:                            ;   in Loop: Header=BB235_16 Depth=1
	s_or_b32 exec_lo, exec_lo, s25
.LBB235_130:                            ;   in Loop: Header=BB235_16 Depth=1
	s_or_b32 exec_lo, exec_lo, s24
.LBB235_131:                            ;   in Loop: Header=BB235_16 Depth=1
	s_or_b32 exec_lo, exec_lo, s23
	v_mov_b32_e32 v2, 0
	v_mov_b32_e32 v3, 0
	;; [unrolled: 1-line block ×3, first 2 shown]
	s_mov_b32 s23, exec_lo
	buffer_store_dword v2, off, s[0:3], s32 offset:324 ; 4-byte Folded Spill
	buffer_store_dword v3, off, s[0:3], s32 offset:328 ; 4-byte Folded Spill
	v_mov_b32_e32 v2, 0
	v_and_b32_sdwa v1, v0, v1 dst_sel:DWORD dst_unused:UNUSED_PAD src0_sel:WORD_1 src1_sel:DWORD
	v_mov_b32_e32 v3, 0
	buffer_store_dword v2, off, s[0:3], s32 offset:604 ; 4-byte Folded Spill
	buffer_store_dword v3, off, s[0:3], s32 offset:608 ; 4-byte Folded Spill
	v_cmpx_ne_u16_e32 0, v1
	s_cbranch_execz .LBB235_139
; %bb.132:                              ;   in Loop: Header=BB235_16 Depth=1
	v_cmp_ne_u16_e64 s5, 0x80, v1
	v_bfrev_b32_e32 v1, 1
	v_mov_b32_e32 v2, 0
	s_and_saveexec_b32 s24, s5
	s_cbranch_execz .LBB235_138
; %bb.133:                              ;   in Loop: Header=BB235_16 Depth=1
	v_mov_b32_e32 v1, 0x7f800001
	v_bfe_u32 v4, v0, 16, 7
	v_mov_b32_e32 v2, 0
	s_mov_b32 s25, exec_lo
	v_cmpx_ne_u32_e32 0x7f, v4
	s_cbranch_execz .LBB235_137
; %bb.134:                              ;   in Loop: Header=BB235_16 Depth=1
	v_mov_b32_e32 v1, 7
	s_mov_b32 s26, exec_lo
	v_and_b32_sdwa v28, v0, v1 dst_sel:DWORD dst_unused:UNUSED_PAD src0_sel:WORD_1 src1_sel:DWORD
	v_lshrrev_b32_e32 v1, 3, v4
	v_cmpx_gt_u32_e32 8, v4
; %bb.135:                              ;   in Loop: Header=BB235_16 Depth=1
	v_ffbh_u32_e32 v1, v28
	v_min_u32_e32 v1, 32, v1
	v_subrev_nc_u32_e32 v4, 28, v1
	v_sub_nc_u32_e32 v1, 29, v1
	v_lshlrev_b64 v[4:5], v4, v[28:29]
	v_and_b32_e32 v28, 7, v4
; %bb.136:                              ;   in Loop: Header=BB235_16 Depth=1
	s_or_b32 exec_lo, exec_lo, s26
	v_mov_b32_e32 v2, 24
	v_lshlrev_b32_e32 v5, 20, v28
	v_lshl_add_u32 v1, v1, 23, 0x3c000000
	v_lshlrev_b32_sdwa v4, v2, v0 dst_sel:DWORD dst_unused:UNUSED_PAD src0_sel:DWORD src1_sel:WORD_1
	v_and_b32_e32 v4, 0x80000000, v4
	v_or3_b32 v28, v5, v4, v1
	v_mov_b32_e32 v1, v28
	v_mov_b32_e32 v2, v29
.LBB235_137:                            ;   in Loop: Header=BB235_16 Depth=1
	s_or_b32 exec_lo, exec_lo, s25
.LBB235_138:                            ;   in Loop: Header=BB235_16 Depth=1
	s_or_b32 exec_lo, exec_lo, s24
	buffer_store_dword v1, off, s[0:3], s32 offset:604 ; 4-byte Folded Spill
	buffer_store_dword v2, off, s[0:3], s32 offset:608 ; 4-byte Folded Spill
.LBB235_139:                            ;   in Loop: Header=BB235_16 Depth=1
	s_or_b32 exec_lo, exec_lo, s23
	s_mov_b32 s23, exec_lo
	v_cmpx_lt_u32_e32 0xffffff, v0
	s_cbranch_execz .LBB235_147
; %bb.140:                              ;   in Loop: Header=BB235_16 Depth=1
	v_mov_b32_e32 v1, 0x80
	v_mov_b32_e32 v110, v29
	buffer_store_dword v110, off, s[0:3], s32 offset:324 ; 4-byte Folded Spill
	buffer_store_dword v111, off, s[0:3], s32 offset:328 ; 4-byte Folded Spill
	v_cmp_ne_u32_sdwa s5, v0, v1 src0_sel:BYTE_3 src1_sel:DWORD
	s_and_saveexec_b32 s24, s5
	s_cbranch_execz .LBB235_146
; %bb.141:                              ;   in Loop: Header=BB235_16 Depth=1
	v_bfe_u32 v4, v0, 24, 7
	v_mov_b32_e32 v104, v29
	s_mov_b32 s25, exec_lo
	buffer_store_dword v104, off, s[0:3], s32 offset:324 ; 4-byte Folded Spill
	buffer_store_dword v105, off, s[0:3], s32 offset:328 ; 4-byte Folded Spill
	v_cmpx_ne_u32_e32 0x7f, v4
	s_cbranch_execz .LBB235_145
; %bb.142:                              ;   in Loop: Header=BB235_16 Depth=1
	v_mov_b32_e32 v1, 7
	s_mov_b32 s26, exec_lo
	v_and_b32_sdwa v28, v0, v1 dst_sel:DWORD dst_unused:UNUSED_PAD src0_sel:BYTE_3 src1_sel:DWORD
	v_lshrrev_b32_e32 v1, 3, v4
	v_cmpx_gt_u32_e32 8, v4
; %bb.143:                              ;   in Loop: Header=BB235_16 Depth=1
	v_ffbh_u32_e32 v1, v28
	v_min_u32_e32 v1, 32, v1
	v_subrev_nc_u32_e32 v4, 28, v1
	v_sub_nc_u32_e32 v1, 29, v1
	v_lshlrev_b64 v[4:5], v4, v[28:29]
	v_and_b32_e32 v28, 7, v4
; %bb.144:                              ;   in Loop: Header=BB235_16 Depth=1
	s_or_b32 exec_lo, exec_lo, s26
	v_mov_b32_e32 v2, 24
	v_lshlrev_b32_e32 v4, 20, v28
	v_lshl_add_u32 v1, v1, 23, 0x3c000000
	v_lshlrev_b32_sdwa v0, v2, v0 dst_sel:DWORD dst_unused:UNUSED_PAD src0_sel:DWORD src1_sel:BYTE_3
	v_and_b32_e32 v0, 0x80000000, v0
	v_or3_b32 v1, v4, v0, v1
	v_mov_b32_e32 v0, v29
	buffer_store_dword v0, off, s[0:3], s32 offset:324 ; 4-byte Folded Spill
	buffer_store_dword v1, off, s[0:3], s32 offset:328 ; 4-byte Folded Spill
.LBB235_145:                            ;   in Loop: Header=BB235_16 Depth=1
	s_or_b32 exec_lo, exec_lo, s25
.LBB235_146:                            ;   in Loop: Header=BB235_16 Depth=1
	s_or_b32 exec_lo, exec_lo, s24
.LBB235_147:                            ;   in Loop: Header=BB235_16 Depth=1
	s_or_b32 exec_lo, exec_lo, s23
	flat_load_dword v0, v[120:121] offset:512
	v_mov_b32_e32 v1, 0
	v_mov_b32_e32 v2, 0
	buffer_store_dword v1, off, s[0:3], s32 offset:340 ; 4-byte Folded Spill
	buffer_store_dword v2, off, s[0:3], s32 offset:344 ; 4-byte Folded Spill
	v_mov_b32_e32 v1, 0
	v_mov_b32_e32 v2, 0
	buffer_store_dword v1, off, s[0:3], s32 offset:332 ; 4-byte Folded Spill
	buffer_store_dword v2, off, s[0:3], s32 offset:336 ; 4-byte Folded Spill
	s_waitcnt vmcnt(0) lgkmcnt(0)
	v_cmp_ne_u16_sdwa s5, v0, v29 src0_sel:BYTE_0 src1_sel:DWORD
	s_and_saveexec_b32 s23, s5
	s_cbranch_execz .LBB235_155
; %bb.148:                              ;   in Loop: Header=BB235_16 Depth=1
	v_bfrev_b32_e32 v1, 1
	v_mov_b32_e32 v2, 0
	buffer_store_dword v1, off, s[0:3], s32 offset:332 ; 4-byte Folded Spill
	buffer_store_dword v2, off, s[0:3], s32 offset:336 ; 4-byte Folded Spill
	v_mov_b32_e32 v1, 0x80
	v_cmp_ne_u16_sdwa s5, v0, v1 src0_sel:BYTE_0 src1_sel:DWORD
	s_and_saveexec_b32 s24, s5
	s_cbranch_execz .LBB235_154
; %bb.149:                              ;   in Loop: Header=BB235_16 Depth=1
	v_mov_b32_e32 v1, 0x7f800001
	v_and_b32_e32 v4, 0x7f, v0
	v_mov_b32_e32 v2, 0
	s_mov_b32 s25, exec_lo
	buffer_store_dword v1, off, s[0:3], s32 offset:332 ; 4-byte Folded Spill
	buffer_store_dword v2, off, s[0:3], s32 offset:336 ; 4-byte Folded Spill
	v_cmpx_ne_u32_e32 0x7f, v4
	s_cbranch_execz .LBB235_153
; %bb.150:                              ;   in Loop: Header=BB235_16 Depth=1
	v_and_b32_e32 v28, 7, v0
	v_lshrrev_b32_e32 v1, 3, v4
	s_mov_b32 s26, exec_lo
	v_cmpx_gt_u32_e32 8, v4
; %bb.151:                              ;   in Loop: Header=BB235_16 Depth=1
	v_ffbh_u32_e32 v1, v28
	v_min_u32_e32 v1, 32, v1
	v_subrev_nc_u32_e32 v4, 28, v1
	v_sub_nc_u32_e32 v1, 29, v1
	v_lshlrev_b64 v[4:5], v4, v[28:29]
	v_and_b32_e32 v28, 7, v4
; %bb.152:                              ;   in Loop: Header=BB235_16 Depth=1
	s_or_b32 exec_lo, exec_lo, s26
	v_lshlrev_b32_e32 v4, 24, v0
	v_lshlrev_b32_e32 v5, 20, v28
	v_lshl_add_u32 v1, v1, 23, 0x3c000000
	v_and_b32_e32 v4, 0x80000000, v4
	v_or3_b32 v28, v5, v4, v1
	buffer_store_dword v28, off, s[0:3], s32 offset:332 ; 4-byte Folded Spill
	buffer_store_dword v29, off, s[0:3], s32 offset:336 ; 4-byte Folded Spill
.LBB235_153:                            ;   in Loop: Header=BB235_16 Depth=1
	s_or_b32 exec_lo, exec_lo, s25
.LBB235_154:                            ;   in Loop: Header=BB235_16 Depth=1
	s_or_b32 exec_lo, exec_lo, s24
.LBB235_155:                            ;   in Loop: Header=BB235_16 Depth=1
	s_or_b32 exec_lo, exec_lo, s23
	v_cmp_ne_u16_sdwa s5, v0, v29 src0_sel:BYTE_1 src1_sel:DWORD
	s_and_saveexec_b32 s23, s5
	s_cbranch_execz .LBB235_163
; %bb.156:                              ;   in Loop: Header=BB235_16 Depth=1
	v_mov_b32_e32 v1, 0x80
	v_mov_b32_e32 v110, v29
	buffer_store_dword v110, off, s[0:3], s32 offset:340 ; 4-byte Folded Spill
	buffer_store_dword v111, off, s[0:3], s32 offset:344 ; 4-byte Folded Spill
	v_cmp_ne_u16_sdwa s5, v0, v1 src0_sel:BYTE_1 src1_sel:DWORD
	s_and_saveexec_b32 s24, s5
	s_cbranch_execz .LBB235_162
; %bb.157:                              ;   in Loop: Header=BB235_16 Depth=1
	v_mov_b32_e32 v1, 0xffff
	v_mov_b32_e32 v104, v29
	s_mov_b32 s25, exec_lo
	buffer_store_dword v104, off, s[0:3], s32 offset:340 ; 4-byte Folded Spill
	buffer_store_dword v105, off, s[0:3], s32 offset:344 ; 4-byte Folded Spill
	v_and_b32_sdwa v1, v1, v0 dst_sel:DWORD dst_unused:UNUSED_PAD src0_sel:DWORD src1_sel:BYTE_1
	v_and_b32_e32 v4, 0x7f, v1
	v_cmpx_ne_u32_e32 0x7f, v4
	s_cbranch_execz .LBB235_161
; %bb.158:                              ;   in Loop: Header=BB235_16 Depth=1
	v_and_b32_e32 v28, 7, v1
	v_lshrrev_b32_e32 v1, 3, v4
	s_mov_b32 s26, exec_lo
	v_cmpx_gt_u32_e32 8, v4
; %bb.159:                              ;   in Loop: Header=BB235_16 Depth=1
	v_ffbh_u32_e32 v1, v28
	v_min_u32_e32 v1, 32, v1
	v_subrev_nc_u32_e32 v4, 28, v1
	v_sub_nc_u32_e32 v1, 29, v1
	v_lshlrev_b64 v[4:5], v4, v[28:29]
	v_and_b32_e32 v28, 7, v4
; %bb.160:                              ;   in Loop: Header=BB235_16 Depth=1
	s_or_b32 exec_lo, exec_lo, s26
	v_lshlrev_b32_e32 v4, 16, v0
	v_lshlrev_b32_e32 v5, 20, v28
	v_lshl_add_u32 v1, v1, 23, 0x3c000000
	v_and_b32_e32 v4, 0x80000000, v4
	v_or3_b32 v2, v5, v4, v1
	v_mov_b32_e32 v1, v29
	buffer_store_dword v1, off, s[0:3], s32 offset:340 ; 4-byte Folded Spill
	buffer_store_dword v2, off, s[0:3], s32 offset:344 ; 4-byte Folded Spill
.LBB235_161:                            ;   in Loop: Header=BB235_16 Depth=1
	s_or_b32 exec_lo, exec_lo, s25
.LBB235_162:                            ;   in Loop: Header=BB235_16 Depth=1
	s_or_b32 exec_lo, exec_lo, s24
.LBB235_163:                            ;   in Loop: Header=BB235_16 Depth=1
	s_or_b32 exec_lo, exec_lo, s23
	v_mov_b32_e32 v2, 0
	v_mov_b32_e32 v3, 0
	;; [unrolled: 1-line block ×3, first 2 shown]
	s_mov_b32 s23, exec_lo
	buffer_store_dword v2, off, s[0:3], s32 offset:348 ; 4-byte Folded Spill
	buffer_store_dword v3, off, s[0:3], s32 offset:352 ; 4-byte Folded Spill
	v_mov_b32_e32 v2, 0
	v_and_b32_sdwa v1, v0, v1 dst_sel:DWORD dst_unused:UNUSED_PAD src0_sel:WORD_1 src1_sel:DWORD
	v_mov_b32_e32 v3, 0
	buffer_store_dword v2, off, s[0:3], s32 offset:612 ; 4-byte Folded Spill
	buffer_store_dword v3, off, s[0:3], s32 offset:616 ; 4-byte Folded Spill
	v_cmpx_ne_u16_e32 0, v1
	s_cbranch_execz .LBB235_171
; %bb.164:                              ;   in Loop: Header=BB235_16 Depth=1
	v_cmp_ne_u16_e64 s5, 0x80, v1
	v_bfrev_b32_e32 v1, 1
	v_mov_b32_e32 v2, 0
	s_and_saveexec_b32 s24, s5
	s_cbranch_execz .LBB235_170
; %bb.165:                              ;   in Loop: Header=BB235_16 Depth=1
	v_mov_b32_e32 v1, 0x7f800001
	v_bfe_u32 v4, v0, 16, 7
	v_mov_b32_e32 v2, 0
	s_mov_b32 s25, exec_lo
	v_cmpx_ne_u32_e32 0x7f, v4
	s_cbranch_execz .LBB235_169
; %bb.166:                              ;   in Loop: Header=BB235_16 Depth=1
	v_mov_b32_e32 v1, 7
	s_mov_b32 s26, exec_lo
	v_and_b32_sdwa v28, v0, v1 dst_sel:DWORD dst_unused:UNUSED_PAD src0_sel:WORD_1 src1_sel:DWORD
	v_lshrrev_b32_e32 v1, 3, v4
	v_cmpx_gt_u32_e32 8, v4
; %bb.167:                              ;   in Loop: Header=BB235_16 Depth=1
	v_ffbh_u32_e32 v1, v28
	v_min_u32_e32 v1, 32, v1
	v_subrev_nc_u32_e32 v4, 28, v1
	v_sub_nc_u32_e32 v1, 29, v1
	v_lshlrev_b64 v[4:5], v4, v[28:29]
	v_and_b32_e32 v28, 7, v4
; %bb.168:                              ;   in Loop: Header=BB235_16 Depth=1
	s_or_b32 exec_lo, exec_lo, s26
	v_mov_b32_e32 v2, 24
	v_lshlrev_b32_e32 v5, 20, v28
	v_lshl_add_u32 v1, v1, 23, 0x3c000000
	v_lshlrev_b32_sdwa v4, v2, v0 dst_sel:DWORD dst_unused:UNUSED_PAD src0_sel:DWORD src1_sel:WORD_1
	v_and_b32_e32 v4, 0x80000000, v4
	v_or3_b32 v28, v5, v4, v1
	v_mov_b32_e32 v1, v28
	v_mov_b32_e32 v2, v29
.LBB235_169:                            ;   in Loop: Header=BB235_16 Depth=1
	s_or_b32 exec_lo, exec_lo, s25
.LBB235_170:                            ;   in Loop: Header=BB235_16 Depth=1
	s_or_b32 exec_lo, exec_lo, s24
	buffer_store_dword v1, off, s[0:3], s32 offset:612 ; 4-byte Folded Spill
	buffer_store_dword v2, off, s[0:3], s32 offset:616 ; 4-byte Folded Spill
.LBB235_171:                            ;   in Loop: Header=BB235_16 Depth=1
	s_or_b32 exec_lo, exec_lo, s23
	s_mov_b32 s23, exec_lo
	v_cmpx_lt_u32_e32 0xffffff, v0
	s_cbranch_execz .LBB235_179
; %bb.172:                              ;   in Loop: Header=BB235_16 Depth=1
	v_mov_b32_e32 v1, 0x80
	v_mov_b32_e32 v110, v29
	buffer_store_dword v110, off, s[0:3], s32 offset:348 ; 4-byte Folded Spill
	buffer_store_dword v111, off, s[0:3], s32 offset:352 ; 4-byte Folded Spill
	v_cmp_ne_u32_sdwa s5, v0, v1 src0_sel:BYTE_3 src1_sel:DWORD
	s_and_saveexec_b32 s24, s5
	s_cbranch_execz .LBB235_178
; %bb.173:                              ;   in Loop: Header=BB235_16 Depth=1
	v_bfe_u32 v4, v0, 24, 7
	v_mov_b32_e32 v104, v29
	s_mov_b32 s25, exec_lo
	buffer_store_dword v104, off, s[0:3], s32 offset:348 ; 4-byte Folded Spill
	buffer_store_dword v105, off, s[0:3], s32 offset:352 ; 4-byte Folded Spill
	v_cmpx_ne_u32_e32 0x7f, v4
	s_cbranch_execz .LBB235_177
; %bb.174:                              ;   in Loop: Header=BB235_16 Depth=1
	v_mov_b32_e32 v1, 7
	s_mov_b32 s26, exec_lo
	v_and_b32_sdwa v28, v0, v1 dst_sel:DWORD dst_unused:UNUSED_PAD src0_sel:BYTE_3 src1_sel:DWORD
	v_lshrrev_b32_e32 v1, 3, v4
	v_cmpx_gt_u32_e32 8, v4
; %bb.175:                              ;   in Loop: Header=BB235_16 Depth=1
	v_ffbh_u32_e32 v1, v28
	v_min_u32_e32 v1, 32, v1
	v_subrev_nc_u32_e32 v4, 28, v1
	v_sub_nc_u32_e32 v1, 29, v1
	v_lshlrev_b64 v[4:5], v4, v[28:29]
	v_and_b32_e32 v28, 7, v4
; %bb.176:                              ;   in Loop: Header=BB235_16 Depth=1
	s_or_b32 exec_lo, exec_lo, s26
	v_mov_b32_e32 v2, 24
	v_lshlrev_b32_e32 v4, 20, v28
	v_lshl_add_u32 v1, v1, 23, 0x3c000000
	v_lshlrev_b32_sdwa v0, v2, v0 dst_sel:DWORD dst_unused:UNUSED_PAD src0_sel:DWORD src1_sel:BYTE_3
	v_and_b32_e32 v0, 0x80000000, v0
	v_or3_b32 v1, v4, v0, v1
	v_mov_b32_e32 v0, v29
	buffer_store_dword v0, off, s[0:3], s32 offset:348 ; 4-byte Folded Spill
	buffer_store_dword v1, off, s[0:3], s32 offset:352 ; 4-byte Folded Spill
.LBB235_177:                            ;   in Loop: Header=BB235_16 Depth=1
	s_or_b32 exec_lo, exec_lo, s25
.LBB235_178:                            ;   in Loop: Header=BB235_16 Depth=1
	s_or_b32 exec_lo, exec_lo, s24
.LBB235_179:                            ;   in Loop: Header=BB235_16 Depth=1
	s_or_b32 exec_lo, exec_lo, s23
	flat_load_dword v0, v[120:121] offset:516
	v_mov_b32_e32 v1, 0
	v_mov_b32_e32 v2, 0
	buffer_store_dword v1, off, s[0:3], s32 offset:364 ; 4-byte Folded Spill
	buffer_store_dword v2, off, s[0:3], s32 offset:368 ; 4-byte Folded Spill
	v_mov_b32_e32 v1, 0
	v_mov_b32_e32 v2, 0
	buffer_store_dword v1, off, s[0:3], s32 offset:356 ; 4-byte Folded Spill
	buffer_store_dword v2, off, s[0:3], s32 offset:360 ; 4-byte Folded Spill
	s_waitcnt vmcnt(0) lgkmcnt(0)
	v_cmp_ne_u16_sdwa s5, v0, v29 src0_sel:BYTE_0 src1_sel:DWORD
	s_and_saveexec_b32 s23, s5
	s_cbranch_execz .LBB235_187
; %bb.180:                              ;   in Loop: Header=BB235_16 Depth=1
	v_bfrev_b32_e32 v1, 1
	v_mov_b32_e32 v2, 0
	buffer_store_dword v1, off, s[0:3], s32 offset:356 ; 4-byte Folded Spill
	buffer_store_dword v2, off, s[0:3], s32 offset:360 ; 4-byte Folded Spill
	v_mov_b32_e32 v1, 0x80
	v_cmp_ne_u16_sdwa s5, v0, v1 src0_sel:BYTE_0 src1_sel:DWORD
	s_and_saveexec_b32 s24, s5
	s_cbranch_execz .LBB235_186
; %bb.181:                              ;   in Loop: Header=BB235_16 Depth=1
	v_mov_b32_e32 v1, 0x7f800001
	v_and_b32_e32 v4, 0x7f, v0
	v_mov_b32_e32 v2, 0
	s_mov_b32 s25, exec_lo
	buffer_store_dword v1, off, s[0:3], s32 offset:356 ; 4-byte Folded Spill
	buffer_store_dword v2, off, s[0:3], s32 offset:360 ; 4-byte Folded Spill
	v_cmpx_ne_u32_e32 0x7f, v4
	s_cbranch_execz .LBB235_185
; %bb.182:                              ;   in Loop: Header=BB235_16 Depth=1
	v_and_b32_e32 v28, 7, v0
	v_lshrrev_b32_e32 v1, 3, v4
	s_mov_b32 s26, exec_lo
	v_cmpx_gt_u32_e32 8, v4
; %bb.183:                              ;   in Loop: Header=BB235_16 Depth=1
	v_ffbh_u32_e32 v1, v28
	v_min_u32_e32 v1, 32, v1
	v_subrev_nc_u32_e32 v4, 28, v1
	v_sub_nc_u32_e32 v1, 29, v1
	v_lshlrev_b64 v[4:5], v4, v[28:29]
	v_and_b32_e32 v28, 7, v4
; %bb.184:                              ;   in Loop: Header=BB235_16 Depth=1
	s_or_b32 exec_lo, exec_lo, s26
	v_lshlrev_b32_e32 v4, 24, v0
	v_lshlrev_b32_e32 v5, 20, v28
	v_lshl_add_u32 v1, v1, 23, 0x3c000000
	v_and_b32_e32 v4, 0x80000000, v4
	v_or3_b32 v28, v5, v4, v1
	buffer_store_dword v28, off, s[0:3], s32 offset:356 ; 4-byte Folded Spill
	buffer_store_dword v29, off, s[0:3], s32 offset:360 ; 4-byte Folded Spill
.LBB235_185:                            ;   in Loop: Header=BB235_16 Depth=1
	s_or_b32 exec_lo, exec_lo, s25
.LBB235_186:                            ;   in Loop: Header=BB235_16 Depth=1
	s_or_b32 exec_lo, exec_lo, s24
.LBB235_187:                            ;   in Loop: Header=BB235_16 Depth=1
	s_or_b32 exec_lo, exec_lo, s23
	v_cmp_ne_u16_sdwa s5, v0, v29 src0_sel:BYTE_1 src1_sel:DWORD
	s_and_saveexec_b32 s23, s5
	s_cbranch_execz .LBB235_195
; %bb.188:                              ;   in Loop: Header=BB235_16 Depth=1
	v_mov_b32_e32 v1, 0x80
	v_mov_b32_e32 v110, v29
	buffer_store_dword v110, off, s[0:3], s32 offset:364 ; 4-byte Folded Spill
	buffer_store_dword v111, off, s[0:3], s32 offset:368 ; 4-byte Folded Spill
	v_cmp_ne_u16_sdwa s5, v0, v1 src0_sel:BYTE_1 src1_sel:DWORD
	s_and_saveexec_b32 s24, s5
	s_cbranch_execz .LBB235_194
; %bb.189:                              ;   in Loop: Header=BB235_16 Depth=1
	v_mov_b32_e32 v1, 0xffff
	v_mov_b32_e32 v104, v29
	s_mov_b32 s25, exec_lo
	buffer_store_dword v104, off, s[0:3], s32 offset:364 ; 4-byte Folded Spill
	buffer_store_dword v105, off, s[0:3], s32 offset:368 ; 4-byte Folded Spill
	v_and_b32_sdwa v1, v1, v0 dst_sel:DWORD dst_unused:UNUSED_PAD src0_sel:DWORD src1_sel:BYTE_1
	v_and_b32_e32 v4, 0x7f, v1
	v_cmpx_ne_u32_e32 0x7f, v4
	s_cbranch_execz .LBB235_193
; %bb.190:                              ;   in Loop: Header=BB235_16 Depth=1
	v_and_b32_e32 v28, 7, v1
	v_lshrrev_b32_e32 v1, 3, v4
	s_mov_b32 s26, exec_lo
	v_cmpx_gt_u32_e32 8, v4
; %bb.191:                              ;   in Loop: Header=BB235_16 Depth=1
	v_ffbh_u32_e32 v1, v28
	v_min_u32_e32 v1, 32, v1
	v_subrev_nc_u32_e32 v4, 28, v1
	v_sub_nc_u32_e32 v1, 29, v1
	v_lshlrev_b64 v[4:5], v4, v[28:29]
	v_and_b32_e32 v28, 7, v4
; %bb.192:                              ;   in Loop: Header=BB235_16 Depth=1
	s_or_b32 exec_lo, exec_lo, s26
	v_lshlrev_b32_e32 v4, 16, v0
	v_lshlrev_b32_e32 v5, 20, v28
	v_lshl_add_u32 v1, v1, 23, 0x3c000000
	v_and_b32_e32 v4, 0x80000000, v4
	v_or3_b32 v2, v5, v4, v1
	v_mov_b32_e32 v1, v29
	buffer_store_dword v1, off, s[0:3], s32 offset:364 ; 4-byte Folded Spill
	buffer_store_dword v2, off, s[0:3], s32 offset:368 ; 4-byte Folded Spill
.LBB235_193:                            ;   in Loop: Header=BB235_16 Depth=1
	s_or_b32 exec_lo, exec_lo, s25
.LBB235_194:                            ;   in Loop: Header=BB235_16 Depth=1
	s_or_b32 exec_lo, exec_lo, s24
.LBB235_195:                            ;   in Loop: Header=BB235_16 Depth=1
	s_or_b32 exec_lo, exec_lo, s23
	v_mov_b32_e32 v2, 0
	v_mov_b32_e32 v3, 0
	;; [unrolled: 1-line block ×3, first 2 shown]
	s_mov_b32 s23, exec_lo
	buffer_store_dword v2, off, s[0:3], s32 offset:372 ; 4-byte Folded Spill
	buffer_store_dword v3, off, s[0:3], s32 offset:376 ; 4-byte Folded Spill
	v_mov_b32_e32 v2, 0
	v_and_b32_sdwa v1, v0, v1 dst_sel:DWORD dst_unused:UNUSED_PAD src0_sel:WORD_1 src1_sel:DWORD
	v_mov_b32_e32 v3, 0
	buffer_store_dword v2, off, s[0:3], s32 offset:620 ; 4-byte Folded Spill
	buffer_store_dword v3, off, s[0:3], s32 offset:624 ; 4-byte Folded Spill
	v_cmpx_ne_u16_e32 0, v1
	s_cbranch_execz .LBB235_203
; %bb.196:                              ;   in Loop: Header=BB235_16 Depth=1
	v_cmp_ne_u16_e64 s5, 0x80, v1
	v_bfrev_b32_e32 v1, 1
	v_mov_b32_e32 v2, 0
	s_and_saveexec_b32 s24, s5
	s_cbranch_execz .LBB235_202
; %bb.197:                              ;   in Loop: Header=BB235_16 Depth=1
	v_mov_b32_e32 v1, 0x7f800001
	v_bfe_u32 v4, v0, 16, 7
	v_mov_b32_e32 v2, 0
	s_mov_b32 s25, exec_lo
	v_cmpx_ne_u32_e32 0x7f, v4
	s_cbranch_execz .LBB235_201
; %bb.198:                              ;   in Loop: Header=BB235_16 Depth=1
	v_mov_b32_e32 v1, 7
	s_mov_b32 s26, exec_lo
	v_and_b32_sdwa v28, v0, v1 dst_sel:DWORD dst_unused:UNUSED_PAD src0_sel:WORD_1 src1_sel:DWORD
	v_lshrrev_b32_e32 v1, 3, v4
	v_cmpx_gt_u32_e32 8, v4
; %bb.199:                              ;   in Loop: Header=BB235_16 Depth=1
	v_ffbh_u32_e32 v1, v28
	v_min_u32_e32 v1, 32, v1
	v_subrev_nc_u32_e32 v4, 28, v1
	v_sub_nc_u32_e32 v1, 29, v1
	v_lshlrev_b64 v[4:5], v4, v[28:29]
	v_and_b32_e32 v28, 7, v4
; %bb.200:                              ;   in Loop: Header=BB235_16 Depth=1
	s_or_b32 exec_lo, exec_lo, s26
	v_mov_b32_e32 v2, 24
	v_lshlrev_b32_e32 v5, 20, v28
	v_lshl_add_u32 v1, v1, 23, 0x3c000000
	v_lshlrev_b32_sdwa v4, v2, v0 dst_sel:DWORD dst_unused:UNUSED_PAD src0_sel:DWORD src1_sel:WORD_1
	v_and_b32_e32 v4, 0x80000000, v4
	v_or3_b32 v28, v5, v4, v1
	v_mov_b32_e32 v1, v28
	v_mov_b32_e32 v2, v29
.LBB235_201:                            ;   in Loop: Header=BB235_16 Depth=1
	s_or_b32 exec_lo, exec_lo, s25
.LBB235_202:                            ;   in Loop: Header=BB235_16 Depth=1
	s_or_b32 exec_lo, exec_lo, s24
	buffer_store_dword v1, off, s[0:3], s32 offset:620 ; 4-byte Folded Spill
	buffer_store_dword v2, off, s[0:3], s32 offset:624 ; 4-byte Folded Spill
.LBB235_203:                            ;   in Loop: Header=BB235_16 Depth=1
	s_or_b32 exec_lo, exec_lo, s23
	s_mov_b32 s23, exec_lo
	v_cmpx_lt_u32_e32 0xffffff, v0
	s_cbranch_execz .LBB235_211
; %bb.204:                              ;   in Loop: Header=BB235_16 Depth=1
	v_mov_b32_e32 v1, 0x80
	v_mov_b32_e32 v110, v29
	buffer_store_dword v110, off, s[0:3], s32 offset:372 ; 4-byte Folded Spill
	buffer_store_dword v111, off, s[0:3], s32 offset:376 ; 4-byte Folded Spill
	v_cmp_ne_u32_sdwa s5, v0, v1 src0_sel:BYTE_3 src1_sel:DWORD
	s_and_saveexec_b32 s24, s5
	s_cbranch_execz .LBB235_210
; %bb.205:                              ;   in Loop: Header=BB235_16 Depth=1
	v_bfe_u32 v4, v0, 24, 7
	v_mov_b32_e32 v104, v29
	s_mov_b32 s25, exec_lo
	buffer_store_dword v104, off, s[0:3], s32 offset:372 ; 4-byte Folded Spill
	buffer_store_dword v105, off, s[0:3], s32 offset:376 ; 4-byte Folded Spill
	v_cmpx_ne_u32_e32 0x7f, v4
	s_cbranch_execz .LBB235_209
; %bb.206:                              ;   in Loop: Header=BB235_16 Depth=1
	v_mov_b32_e32 v1, 7
	s_mov_b32 s26, exec_lo
	v_and_b32_sdwa v28, v0, v1 dst_sel:DWORD dst_unused:UNUSED_PAD src0_sel:BYTE_3 src1_sel:DWORD
	v_lshrrev_b32_e32 v1, 3, v4
	v_cmpx_gt_u32_e32 8, v4
; %bb.207:                              ;   in Loop: Header=BB235_16 Depth=1
	v_ffbh_u32_e32 v1, v28
	v_min_u32_e32 v1, 32, v1
	v_subrev_nc_u32_e32 v4, 28, v1
	v_sub_nc_u32_e32 v1, 29, v1
	v_lshlrev_b64 v[4:5], v4, v[28:29]
	v_and_b32_e32 v28, 7, v4
; %bb.208:                              ;   in Loop: Header=BB235_16 Depth=1
	s_or_b32 exec_lo, exec_lo, s26
	v_mov_b32_e32 v2, 24
	v_lshlrev_b32_e32 v4, 20, v28
	v_lshl_add_u32 v1, v1, 23, 0x3c000000
	v_lshlrev_b32_sdwa v0, v2, v0 dst_sel:DWORD dst_unused:UNUSED_PAD src0_sel:DWORD src1_sel:BYTE_3
	v_and_b32_e32 v0, 0x80000000, v0
	v_or3_b32 v1, v4, v0, v1
	v_mov_b32_e32 v0, v29
	buffer_store_dword v0, off, s[0:3], s32 offset:372 ; 4-byte Folded Spill
	buffer_store_dword v1, off, s[0:3], s32 offset:376 ; 4-byte Folded Spill
.LBB235_209:                            ;   in Loop: Header=BB235_16 Depth=1
	s_or_b32 exec_lo, exec_lo, s25
.LBB235_210:                            ;   in Loop: Header=BB235_16 Depth=1
	s_or_b32 exec_lo, exec_lo, s24
.LBB235_211:                            ;   in Loop: Header=BB235_16 Depth=1
	s_or_b32 exec_lo, exec_lo, s23
	flat_load_dword v0, v[120:121] offset:520
	v_mov_b32_e32 v1, 0
	v_mov_b32_e32 v2, 0
	buffer_store_dword v1, off, s[0:3], s32 offset:388 ; 4-byte Folded Spill
	buffer_store_dword v2, off, s[0:3], s32 offset:392 ; 4-byte Folded Spill
	v_mov_b32_e32 v1, 0
	v_mov_b32_e32 v2, 0
	buffer_store_dword v1, off, s[0:3], s32 offset:380 ; 4-byte Folded Spill
	buffer_store_dword v2, off, s[0:3], s32 offset:384 ; 4-byte Folded Spill
	s_waitcnt vmcnt(0) lgkmcnt(0)
	v_cmp_ne_u16_sdwa s5, v0, v29 src0_sel:BYTE_0 src1_sel:DWORD
	s_and_saveexec_b32 s23, s5
	s_cbranch_execz .LBB235_219
; %bb.212:                              ;   in Loop: Header=BB235_16 Depth=1
	v_bfrev_b32_e32 v1, 1
	v_mov_b32_e32 v2, 0
	buffer_store_dword v1, off, s[0:3], s32 offset:380 ; 4-byte Folded Spill
	buffer_store_dword v2, off, s[0:3], s32 offset:384 ; 4-byte Folded Spill
	v_mov_b32_e32 v1, 0x80
	v_cmp_ne_u16_sdwa s5, v0, v1 src0_sel:BYTE_0 src1_sel:DWORD
	s_and_saveexec_b32 s24, s5
	s_cbranch_execz .LBB235_218
; %bb.213:                              ;   in Loop: Header=BB235_16 Depth=1
	v_mov_b32_e32 v1, 0x7f800001
	v_and_b32_e32 v4, 0x7f, v0
	v_mov_b32_e32 v2, 0
	s_mov_b32 s25, exec_lo
	buffer_store_dword v1, off, s[0:3], s32 offset:380 ; 4-byte Folded Spill
	buffer_store_dword v2, off, s[0:3], s32 offset:384 ; 4-byte Folded Spill
	v_cmpx_ne_u32_e32 0x7f, v4
	s_cbranch_execz .LBB235_217
; %bb.214:                              ;   in Loop: Header=BB235_16 Depth=1
	v_and_b32_e32 v28, 7, v0
	v_lshrrev_b32_e32 v1, 3, v4
	s_mov_b32 s26, exec_lo
	v_cmpx_gt_u32_e32 8, v4
; %bb.215:                              ;   in Loop: Header=BB235_16 Depth=1
	v_ffbh_u32_e32 v1, v28
	v_min_u32_e32 v1, 32, v1
	v_subrev_nc_u32_e32 v4, 28, v1
	v_sub_nc_u32_e32 v1, 29, v1
	v_lshlrev_b64 v[4:5], v4, v[28:29]
	v_and_b32_e32 v28, 7, v4
; %bb.216:                              ;   in Loop: Header=BB235_16 Depth=1
	s_or_b32 exec_lo, exec_lo, s26
	v_lshlrev_b32_e32 v4, 24, v0
	v_lshlrev_b32_e32 v5, 20, v28
	v_lshl_add_u32 v1, v1, 23, 0x3c000000
	v_and_b32_e32 v4, 0x80000000, v4
	v_or3_b32 v28, v5, v4, v1
	buffer_store_dword v28, off, s[0:3], s32 offset:380 ; 4-byte Folded Spill
	buffer_store_dword v29, off, s[0:3], s32 offset:384 ; 4-byte Folded Spill
.LBB235_217:                            ;   in Loop: Header=BB235_16 Depth=1
	s_or_b32 exec_lo, exec_lo, s25
.LBB235_218:                            ;   in Loop: Header=BB235_16 Depth=1
	s_or_b32 exec_lo, exec_lo, s24
.LBB235_219:                            ;   in Loop: Header=BB235_16 Depth=1
	s_or_b32 exec_lo, exec_lo, s23
	v_cmp_ne_u16_sdwa s5, v0, v29 src0_sel:BYTE_1 src1_sel:DWORD
	s_and_saveexec_b32 s23, s5
	s_cbranch_execz .LBB235_227
; %bb.220:                              ;   in Loop: Header=BB235_16 Depth=1
	v_mov_b32_e32 v1, 0x80
	v_mov_b32_e32 v110, v29
	buffer_store_dword v110, off, s[0:3], s32 offset:388 ; 4-byte Folded Spill
	buffer_store_dword v111, off, s[0:3], s32 offset:392 ; 4-byte Folded Spill
	v_cmp_ne_u16_sdwa s5, v0, v1 src0_sel:BYTE_1 src1_sel:DWORD
	s_and_saveexec_b32 s24, s5
	s_cbranch_execz .LBB235_226
; %bb.221:                              ;   in Loop: Header=BB235_16 Depth=1
	v_mov_b32_e32 v1, 0xffff
	v_mov_b32_e32 v104, v29
	s_mov_b32 s25, exec_lo
	buffer_store_dword v104, off, s[0:3], s32 offset:388 ; 4-byte Folded Spill
	buffer_store_dword v105, off, s[0:3], s32 offset:392 ; 4-byte Folded Spill
	v_and_b32_sdwa v1, v1, v0 dst_sel:DWORD dst_unused:UNUSED_PAD src0_sel:DWORD src1_sel:BYTE_1
	v_and_b32_e32 v4, 0x7f, v1
	v_cmpx_ne_u32_e32 0x7f, v4
	s_cbranch_execz .LBB235_225
; %bb.222:                              ;   in Loop: Header=BB235_16 Depth=1
	v_and_b32_e32 v28, 7, v1
	v_lshrrev_b32_e32 v1, 3, v4
	s_mov_b32 s26, exec_lo
	v_cmpx_gt_u32_e32 8, v4
; %bb.223:                              ;   in Loop: Header=BB235_16 Depth=1
	v_ffbh_u32_e32 v1, v28
	v_min_u32_e32 v1, 32, v1
	v_subrev_nc_u32_e32 v4, 28, v1
	v_sub_nc_u32_e32 v1, 29, v1
	v_lshlrev_b64 v[4:5], v4, v[28:29]
	v_and_b32_e32 v28, 7, v4
; %bb.224:                              ;   in Loop: Header=BB235_16 Depth=1
	s_or_b32 exec_lo, exec_lo, s26
	v_lshlrev_b32_e32 v4, 16, v0
	v_lshlrev_b32_e32 v5, 20, v28
	v_lshl_add_u32 v1, v1, 23, 0x3c000000
	v_and_b32_e32 v4, 0x80000000, v4
	v_or3_b32 v2, v5, v4, v1
	v_mov_b32_e32 v1, v29
	buffer_store_dword v1, off, s[0:3], s32 offset:388 ; 4-byte Folded Spill
	buffer_store_dword v2, off, s[0:3], s32 offset:392 ; 4-byte Folded Spill
.LBB235_225:                            ;   in Loop: Header=BB235_16 Depth=1
	s_or_b32 exec_lo, exec_lo, s25
.LBB235_226:                            ;   in Loop: Header=BB235_16 Depth=1
	s_or_b32 exec_lo, exec_lo, s24
.LBB235_227:                            ;   in Loop: Header=BB235_16 Depth=1
	s_or_b32 exec_lo, exec_lo, s23
	v_mov_b32_e32 v2, 0
	v_mov_b32_e32 v3, 0
	;; [unrolled: 1-line block ×3, first 2 shown]
	s_mov_b32 s23, exec_lo
	buffer_store_dword v2, off, s[0:3], s32 offset:396 ; 4-byte Folded Spill
	buffer_store_dword v3, off, s[0:3], s32 offset:400 ; 4-byte Folded Spill
	v_mov_b32_e32 v2, 0
	v_and_b32_sdwa v1, v0, v1 dst_sel:DWORD dst_unused:UNUSED_PAD src0_sel:WORD_1 src1_sel:DWORD
	v_mov_b32_e32 v3, 0
	buffer_store_dword v2, off, s[0:3], s32 offset:628 ; 4-byte Folded Spill
	buffer_store_dword v3, off, s[0:3], s32 offset:632 ; 4-byte Folded Spill
	v_cmpx_ne_u16_e32 0, v1
	s_cbranch_execz .LBB235_235
; %bb.228:                              ;   in Loop: Header=BB235_16 Depth=1
	v_cmp_ne_u16_e64 s5, 0x80, v1
	v_bfrev_b32_e32 v1, 1
	v_mov_b32_e32 v2, 0
	s_and_saveexec_b32 s24, s5
	s_cbranch_execz .LBB235_234
; %bb.229:                              ;   in Loop: Header=BB235_16 Depth=1
	v_mov_b32_e32 v1, 0x7f800001
	v_bfe_u32 v4, v0, 16, 7
	v_mov_b32_e32 v2, 0
	s_mov_b32 s25, exec_lo
	v_cmpx_ne_u32_e32 0x7f, v4
	s_cbranch_execz .LBB235_233
; %bb.230:                              ;   in Loop: Header=BB235_16 Depth=1
	v_mov_b32_e32 v1, 7
	s_mov_b32 s26, exec_lo
	v_and_b32_sdwa v28, v0, v1 dst_sel:DWORD dst_unused:UNUSED_PAD src0_sel:WORD_1 src1_sel:DWORD
	v_lshrrev_b32_e32 v1, 3, v4
	v_cmpx_gt_u32_e32 8, v4
; %bb.231:                              ;   in Loop: Header=BB235_16 Depth=1
	v_ffbh_u32_e32 v1, v28
	v_min_u32_e32 v1, 32, v1
	v_subrev_nc_u32_e32 v4, 28, v1
	v_sub_nc_u32_e32 v1, 29, v1
	v_lshlrev_b64 v[4:5], v4, v[28:29]
	v_and_b32_e32 v28, 7, v4
; %bb.232:                              ;   in Loop: Header=BB235_16 Depth=1
	s_or_b32 exec_lo, exec_lo, s26
	v_mov_b32_e32 v2, 24
	v_lshlrev_b32_e32 v5, 20, v28
	v_lshl_add_u32 v1, v1, 23, 0x3c000000
	v_lshlrev_b32_sdwa v4, v2, v0 dst_sel:DWORD dst_unused:UNUSED_PAD src0_sel:DWORD src1_sel:WORD_1
	v_and_b32_e32 v4, 0x80000000, v4
	v_or3_b32 v28, v5, v4, v1
	v_mov_b32_e32 v1, v28
	v_mov_b32_e32 v2, v29
.LBB235_233:                            ;   in Loop: Header=BB235_16 Depth=1
	s_or_b32 exec_lo, exec_lo, s25
.LBB235_234:                            ;   in Loop: Header=BB235_16 Depth=1
	s_or_b32 exec_lo, exec_lo, s24
	buffer_store_dword v1, off, s[0:3], s32 offset:628 ; 4-byte Folded Spill
	buffer_store_dword v2, off, s[0:3], s32 offset:632 ; 4-byte Folded Spill
.LBB235_235:                            ;   in Loop: Header=BB235_16 Depth=1
	s_or_b32 exec_lo, exec_lo, s23
	s_mov_b32 s23, exec_lo
	v_cmpx_lt_u32_e32 0xffffff, v0
	s_cbranch_execz .LBB235_243
; %bb.236:                              ;   in Loop: Header=BB235_16 Depth=1
	v_mov_b32_e32 v1, 0x80
	v_mov_b32_e32 v110, v29
	buffer_store_dword v110, off, s[0:3], s32 offset:396 ; 4-byte Folded Spill
	buffer_store_dword v111, off, s[0:3], s32 offset:400 ; 4-byte Folded Spill
	v_cmp_ne_u32_sdwa s5, v0, v1 src0_sel:BYTE_3 src1_sel:DWORD
	s_and_saveexec_b32 s24, s5
	s_cbranch_execz .LBB235_242
; %bb.237:                              ;   in Loop: Header=BB235_16 Depth=1
	v_bfe_u32 v4, v0, 24, 7
	v_mov_b32_e32 v104, v29
	s_mov_b32 s25, exec_lo
	buffer_store_dword v104, off, s[0:3], s32 offset:396 ; 4-byte Folded Spill
	buffer_store_dword v105, off, s[0:3], s32 offset:400 ; 4-byte Folded Spill
	v_cmpx_ne_u32_e32 0x7f, v4
	s_cbranch_execz .LBB235_241
; %bb.238:                              ;   in Loop: Header=BB235_16 Depth=1
	v_mov_b32_e32 v1, 7
	s_mov_b32 s26, exec_lo
	v_and_b32_sdwa v28, v0, v1 dst_sel:DWORD dst_unused:UNUSED_PAD src0_sel:BYTE_3 src1_sel:DWORD
	v_lshrrev_b32_e32 v1, 3, v4
	v_cmpx_gt_u32_e32 8, v4
; %bb.239:                              ;   in Loop: Header=BB235_16 Depth=1
	v_ffbh_u32_e32 v1, v28
	v_min_u32_e32 v1, 32, v1
	v_subrev_nc_u32_e32 v4, 28, v1
	v_sub_nc_u32_e32 v1, 29, v1
	v_lshlrev_b64 v[4:5], v4, v[28:29]
	v_and_b32_e32 v28, 7, v4
; %bb.240:                              ;   in Loop: Header=BB235_16 Depth=1
	s_or_b32 exec_lo, exec_lo, s26
	v_mov_b32_e32 v2, 24
	v_lshlrev_b32_e32 v4, 20, v28
	v_lshl_add_u32 v1, v1, 23, 0x3c000000
	v_lshlrev_b32_sdwa v0, v2, v0 dst_sel:DWORD dst_unused:UNUSED_PAD src0_sel:DWORD src1_sel:BYTE_3
	v_and_b32_e32 v0, 0x80000000, v0
	v_or3_b32 v1, v4, v0, v1
	v_mov_b32_e32 v0, v29
	buffer_store_dword v0, off, s[0:3], s32 offset:396 ; 4-byte Folded Spill
	buffer_store_dword v1, off, s[0:3], s32 offset:400 ; 4-byte Folded Spill
.LBB235_241:                            ;   in Loop: Header=BB235_16 Depth=1
	s_or_b32 exec_lo, exec_lo, s25
.LBB235_242:                            ;   in Loop: Header=BB235_16 Depth=1
	s_or_b32 exec_lo, exec_lo, s24
.LBB235_243:                            ;   in Loop: Header=BB235_16 Depth=1
	s_or_b32 exec_lo, exec_lo, s23
	flat_load_dword v0, v[120:121] offset:524
	v_mov_b32_e32 v1, 0
	v_mov_b32_e32 v2, 0
	buffer_store_dword v1, off, s[0:3], s32 offset:412 ; 4-byte Folded Spill
	buffer_store_dword v2, off, s[0:3], s32 offset:416 ; 4-byte Folded Spill
	v_mov_b32_e32 v1, 0
	v_mov_b32_e32 v2, 0
	buffer_store_dword v1, off, s[0:3], s32 offset:404 ; 4-byte Folded Spill
	buffer_store_dword v2, off, s[0:3], s32 offset:408 ; 4-byte Folded Spill
	s_waitcnt vmcnt(0) lgkmcnt(0)
	v_cmp_ne_u16_sdwa s5, v0, v29 src0_sel:BYTE_0 src1_sel:DWORD
	s_and_saveexec_b32 s23, s5
	s_cbranch_execz .LBB235_251
; %bb.244:                              ;   in Loop: Header=BB235_16 Depth=1
	v_bfrev_b32_e32 v1, 1
	v_mov_b32_e32 v2, 0
	buffer_store_dword v1, off, s[0:3], s32 offset:404 ; 4-byte Folded Spill
	buffer_store_dword v2, off, s[0:3], s32 offset:408 ; 4-byte Folded Spill
	v_mov_b32_e32 v1, 0x80
	v_cmp_ne_u16_sdwa s5, v0, v1 src0_sel:BYTE_0 src1_sel:DWORD
	s_and_saveexec_b32 s24, s5
	s_cbranch_execz .LBB235_250
; %bb.245:                              ;   in Loop: Header=BB235_16 Depth=1
	v_mov_b32_e32 v1, 0x7f800001
	v_and_b32_e32 v4, 0x7f, v0
	v_mov_b32_e32 v2, 0
	s_mov_b32 s25, exec_lo
	buffer_store_dword v1, off, s[0:3], s32 offset:404 ; 4-byte Folded Spill
	buffer_store_dword v2, off, s[0:3], s32 offset:408 ; 4-byte Folded Spill
	v_cmpx_ne_u32_e32 0x7f, v4
	s_cbranch_execz .LBB235_249
; %bb.246:                              ;   in Loop: Header=BB235_16 Depth=1
	v_and_b32_e32 v28, 7, v0
	v_lshrrev_b32_e32 v1, 3, v4
	s_mov_b32 s26, exec_lo
	v_cmpx_gt_u32_e32 8, v4
; %bb.247:                              ;   in Loop: Header=BB235_16 Depth=1
	v_ffbh_u32_e32 v1, v28
	v_min_u32_e32 v1, 32, v1
	v_subrev_nc_u32_e32 v4, 28, v1
	v_sub_nc_u32_e32 v1, 29, v1
	v_lshlrev_b64 v[4:5], v4, v[28:29]
	v_and_b32_e32 v28, 7, v4
; %bb.248:                              ;   in Loop: Header=BB235_16 Depth=1
	s_or_b32 exec_lo, exec_lo, s26
	v_lshlrev_b32_e32 v4, 24, v0
	v_lshlrev_b32_e32 v5, 20, v28
	v_lshl_add_u32 v1, v1, 23, 0x3c000000
	v_and_b32_e32 v4, 0x80000000, v4
	v_or3_b32 v28, v5, v4, v1
	buffer_store_dword v28, off, s[0:3], s32 offset:404 ; 4-byte Folded Spill
	buffer_store_dword v29, off, s[0:3], s32 offset:408 ; 4-byte Folded Spill
.LBB235_249:                            ;   in Loop: Header=BB235_16 Depth=1
	s_or_b32 exec_lo, exec_lo, s25
.LBB235_250:                            ;   in Loop: Header=BB235_16 Depth=1
	s_or_b32 exec_lo, exec_lo, s24
.LBB235_251:                            ;   in Loop: Header=BB235_16 Depth=1
	s_or_b32 exec_lo, exec_lo, s23
	v_cmp_ne_u16_sdwa s5, v0, v29 src0_sel:BYTE_1 src1_sel:DWORD
	s_and_saveexec_b32 s23, s5
	s_cbranch_execz .LBB235_259
; %bb.252:                              ;   in Loop: Header=BB235_16 Depth=1
	v_mov_b32_e32 v1, 0x80
	v_mov_b32_e32 v110, v29
	buffer_store_dword v110, off, s[0:3], s32 offset:412 ; 4-byte Folded Spill
	buffer_store_dword v111, off, s[0:3], s32 offset:416 ; 4-byte Folded Spill
	v_cmp_ne_u16_sdwa s5, v0, v1 src0_sel:BYTE_1 src1_sel:DWORD
	s_and_saveexec_b32 s24, s5
	s_cbranch_execz .LBB235_258
; %bb.253:                              ;   in Loop: Header=BB235_16 Depth=1
	v_mov_b32_e32 v1, 0xffff
	v_mov_b32_e32 v104, v29
	s_mov_b32 s25, exec_lo
	buffer_store_dword v104, off, s[0:3], s32 offset:412 ; 4-byte Folded Spill
	buffer_store_dword v105, off, s[0:3], s32 offset:416 ; 4-byte Folded Spill
	v_and_b32_sdwa v1, v1, v0 dst_sel:DWORD dst_unused:UNUSED_PAD src0_sel:DWORD src1_sel:BYTE_1
	v_and_b32_e32 v4, 0x7f, v1
	v_cmpx_ne_u32_e32 0x7f, v4
	s_cbranch_execz .LBB235_257
; %bb.254:                              ;   in Loop: Header=BB235_16 Depth=1
	v_and_b32_e32 v28, 7, v1
	v_lshrrev_b32_e32 v1, 3, v4
	s_mov_b32 s26, exec_lo
	v_cmpx_gt_u32_e32 8, v4
; %bb.255:                              ;   in Loop: Header=BB235_16 Depth=1
	v_ffbh_u32_e32 v1, v28
	v_min_u32_e32 v1, 32, v1
	v_subrev_nc_u32_e32 v4, 28, v1
	v_sub_nc_u32_e32 v1, 29, v1
	v_lshlrev_b64 v[4:5], v4, v[28:29]
	v_and_b32_e32 v28, 7, v4
; %bb.256:                              ;   in Loop: Header=BB235_16 Depth=1
	s_or_b32 exec_lo, exec_lo, s26
	v_lshlrev_b32_e32 v4, 16, v0
	v_lshlrev_b32_e32 v5, 20, v28
	v_lshl_add_u32 v1, v1, 23, 0x3c000000
	v_and_b32_e32 v4, 0x80000000, v4
	v_or3_b32 v2, v5, v4, v1
	v_mov_b32_e32 v1, v29
	buffer_store_dword v1, off, s[0:3], s32 offset:412 ; 4-byte Folded Spill
	buffer_store_dword v2, off, s[0:3], s32 offset:416 ; 4-byte Folded Spill
.LBB235_257:                            ;   in Loop: Header=BB235_16 Depth=1
	s_or_b32 exec_lo, exec_lo, s25
.LBB235_258:                            ;   in Loop: Header=BB235_16 Depth=1
	s_or_b32 exec_lo, exec_lo, s24
.LBB235_259:                            ;   in Loop: Header=BB235_16 Depth=1
	s_or_b32 exec_lo, exec_lo, s23
	v_mov_b32_e32 v2, 0
	v_mov_b32_e32 v3, 0
	;; [unrolled: 1-line block ×3, first 2 shown]
	s_mov_b32 s23, exec_lo
	buffer_store_dword v2, off, s[0:3], s32 offset:420 ; 4-byte Folded Spill
	buffer_store_dword v3, off, s[0:3], s32 offset:424 ; 4-byte Folded Spill
	v_mov_b32_e32 v2, 0
	v_and_b32_sdwa v1, v0, v1 dst_sel:DWORD dst_unused:UNUSED_PAD src0_sel:WORD_1 src1_sel:DWORD
	v_mov_b32_e32 v3, 0
	buffer_store_dword v2, off, s[0:3], s32 offset:636 ; 4-byte Folded Spill
	buffer_store_dword v3, off, s[0:3], s32 offset:640 ; 4-byte Folded Spill
	v_cmpx_ne_u16_e32 0, v1
	s_cbranch_execz .LBB235_267
; %bb.260:                              ;   in Loop: Header=BB235_16 Depth=1
	v_cmp_ne_u16_e64 s5, 0x80, v1
	v_bfrev_b32_e32 v1, 1
	v_mov_b32_e32 v2, 0
	s_and_saveexec_b32 s24, s5
	s_cbranch_execz .LBB235_266
; %bb.261:                              ;   in Loop: Header=BB235_16 Depth=1
	v_mov_b32_e32 v1, 0x7f800001
	v_bfe_u32 v4, v0, 16, 7
	v_mov_b32_e32 v2, 0
	s_mov_b32 s25, exec_lo
	v_cmpx_ne_u32_e32 0x7f, v4
	s_cbranch_execz .LBB235_265
; %bb.262:                              ;   in Loop: Header=BB235_16 Depth=1
	v_mov_b32_e32 v1, 7
	s_mov_b32 s26, exec_lo
	v_and_b32_sdwa v28, v0, v1 dst_sel:DWORD dst_unused:UNUSED_PAD src0_sel:WORD_1 src1_sel:DWORD
	v_lshrrev_b32_e32 v1, 3, v4
	v_cmpx_gt_u32_e32 8, v4
; %bb.263:                              ;   in Loop: Header=BB235_16 Depth=1
	v_ffbh_u32_e32 v1, v28
	v_min_u32_e32 v1, 32, v1
	v_subrev_nc_u32_e32 v4, 28, v1
	v_sub_nc_u32_e32 v1, 29, v1
	v_lshlrev_b64 v[4:5], v4, v[28:29]
	v_and_b32_e32 v28, 7, v4
; %bb.264:                              ;   in Loop: Header=BB235_16 Depth=1
	s_or_b32 exec_lo, exec_lo, s26
	v_mov_b32_e32 v2, 24
	v_lshlrev_b32_e32 v5, 20, v28
	v_lshl_add_u32 v1, v1, 23, 0x3c000000
	v_lshlrev_b32_sdwa v4, v2, v0 dst_sel:DWORD dst_unused:UNUSED_PAD src0_sel:DWORD src1_sel:WORD_1
	v_and_b32_e32 v4, 0x80000000, v4
	v_or3_b32 v28, v5, v4, v1
	v_mov_b32_e32 v1, v28
	v_mov_b32_e32 v2, v29
.LBB235_265:                            ;   in Loop: Header=BB235_16 Depth=1
	s_or_b32 exec_lo, exec_lo, s25
.LBB235_266:                            ;   in Loop: Header=BB235_16 Depth=1
	s_or_b32 exec_lo, exec_lo, s24
	buffer_store_dword v1, off, s[0:3], s32 offset:636 ; 4-byte Folded Spill
	buffer_store_dword v2, off, s[0:3], s32 offset:640 ; 4-byte Folded Spill
.LBB235_267:                            ;   in Loop: Header=BB235_16 Depth=1
	s_or_b32 exec_lo, exec_lo, s23
	s_mov_b32 s23, exec_lo
	v_cmpx_lt_u32_e32 0xffffff, v0
	s_cbranch_execz .LBB235_275
; %bb.268:                              ;   in Loop: Header=BB235_16 Depth=1
	v_mov_b32_e32 v1, 0x80
	v_mov_b32_e32 v110, v29
	buffer_store_dword v110, off, s[0:3], s32 offset:420 ; 4-byte Folded Spill
	buffer_store_dword v111, off, s[0:3], s32 offset:424 ; 4-byte Folded Spill
	v_cmp_ne_u32_sdwa s5, v0, v1 src0_sel:BYTE_3 src1_sel:DWORD
	s_and_saveexec_b32 s24, s5
	s_cbranch_execz .LBB235_274
; %bb.269:                              ;   in Loop: Header=BB235_16 Depth=1
	v_bfe_u32 v4, v0, 24, 7
	v_mov_b32_e32 v104, v29
	s_mov_b32 s25, exec_lo
	buffer_store_dword v104, off, s[0:3], s32 offset:420 ; 4-byte Folded Spill
	buffer_store_dword v105, off, s[0:3], s32 offset:424 ; 4-byte Folded Spill
	v_cmpx_ne_u32_e32 0x7f, v4
	s_cbranch_execz .LBB235_273
; %bb.270:                              ;   in Loop: Header=BB235_16 Depth=1
	v_mov_b32_e32 v1, 7
	s_mov_b32 s26, exec_lo
	v_and_b32_sdwa v28, v0, v1 dst_sel:DWORD dst_unused:UNUSED_PAD src0_sel:BYTE_3 src1_sel:DWORD
	v_lshrrev_b32_e32 v1, 3, v4
	v_cmpx_gt_u32_e32 8, v4
; %bb.271:                              ;   in Loop: Header=BB235_16 Depth=1
	v_ffbh_u32_e32 v1, v28
	v_min_u32_e32 v1, 32, v1
	v_subrev_nc_u32_e32 v4, 28, v1
	v_sub_nc_u32_e32 v1, 29, v1
	v_lshlrev_b64 v[4:5], v4, v[28:29]
	v_and_b32_e32 v28, 7, v4
; %bb.272:                              ;   in Loop: Header=BB235_16 Depth=1
	s_or_b32 exec_lo, exec_lo, s26
	v_mov_b32_e32 v2, 24
	v_lshlrev_b32_e32 v4, 20, v28
	v_lshl_add_u32 v1, v1, 23, 0x3c000000
	v_lshlrev_b32_sdwa v0, v2, v0 dst_sel:DWORD dst_unused:UNUSED_PAD src0_sel:DWORD src1_sel:BYTE_3
	v_and_b32_e32 v0, 0x80000000, v0
	v_or3_b32 v1, v4, v0, v1
	v_mov_b32_e32 v0, v29
	buffer_store_dword v0, off, s[0:3], s32 offset:420 ; 4-byte Folded Spill
	buffer_store_dword v1, off, s[0:3], s32 offset:424 ; 4-byte Folded Spill
.LBB235_273:                            ;   in Loop: Header=BB235_16 Depth=1
	s_or_b32 exec_lo, exec_lo, s25
.LBB235_274:                            ;   in Loop: Header=BB235_16 Depth=1
	s_or_b32 exec_lo, exec_lo, s24
.LBB235_275:                            ;   in Loop: Header=BB235_16 Depth=1
	s_or_b32 exec_lo, exec_lo, s23
	flat_load_dword v0, v[120:121] offset:1024
	v_mov_b32_e32 v1, 0
	v_mov_b32_e32 v2, 0
	buffer_store_dword v1, off, s[0:3], s32 offset:436 ; 4-byte Folded Spill
	buffer_store_dword v2, off, s[0:3], s32 offset:440 ; 4-byte Folded Spill
	v_mov_b32_e32 v1, 0
	v_mov_b32_e32 v2, 0
	buffer_store_dword v1, off, s[0:3], s32 offset:428 ; 4-byte Folded Spill
	buffer_store_dword v2, off, s[0:3], s32 offset:432 ; 4-byte Folded Spill
	s_waitcnt vmcnt(0) lgkmcnt(0)
	v_cmp_ne_u16_sdwa s5, v0, v29 src0_sel:BYTE_0 src1_sel:DWORD
	s_and_saveexec_b32 s23, s5
	s_cbranch_execz .LBB235_283
; %bb.276:                              ;   in Loop: Header=BB235_16 Depth=1
	v_bfrev_b32_e32 v1, 1
	v_mov_b32_e32 v2, 0
	buffer_store_dword v1, off, s[0:3], s32 offset:428 ; 4-byte Folded Spill
	buffer_store_dword v2, off, s[0:3], s32 offset:432 ; 4-byte Folded Spill
	v_mov_b32_e32 v1, 0x80
	v_cmp_ne_u16_sdwa s5, v0, v1 src0_sel:BYTE_0 src1_sel:DWORD
	s_and_saveexec_b32 s24, s5
	s_cbranch_execz .LBB235_282
; %bb.277:                              ;   in Loop: Header=BB235_16 Depth=1
	v_mov_b32_e32 v1, 0x7f800001
	v_and_b32_e32 v4, 0x7f, v0
	v_mov_b32_e32 v2, 0
	s_mov_b32 s25, exec_lo
	buffer_store_dword v1, off, s[0:3], s32 offset:428 ; 4-byte Folded Spill
	buffer_store_dword v2, off, s[0:3], s32 offset:432 ; 4-byte Folded Spill
	v_cmpx_ne_u32_e32 0x7f, v4
	s_cbranch_execz .LBB235_281
; %bb.278:                              ;   in Loop: Header=BB235_16 Depth=1
	v_and_b32_e32 v28, 7, v0
	v_lshrrev_b32_e32 v1, 3, v4
	s_mov_b32 s26, exec_lo
	v_cmpx_gt_u32_e32 8, v4
; %bb.279:                              ;   in Loop: Header=BB235_16 Depth=1
	v_ffbh_u32_e32 v1, v28
	v_min_u32_e32 v1, 32, v1
	v_subrev_nc_u32_e32 v4, 28, v1
	v_sub_nc_u32_e32 v1, 29, v1
	v_lshlrev_b64 v[4:5], v4, v[28:29]
	v_and_b32_e32 v28, 7, v4
; %bb.280:                              ;   in Loop: Header=BB235_16 Depth=1
	s_or_b32 exec_lo, exec_lo, s26
	v_lshlrev_b32_e32 v4, 24, v0
	v_lshlrev_b32_e32 v5, 20, v28
	v_lshl_add_u32 v1, v1, 23, 0x3c000000
	v_and_b32_e32 v4, 0x80000000, v4
	v_or3_b32 v28, v5, v4, v1
	buffer_store_dword v28, off, s[0:3], s32 offset:428 ; 4-byte Folded Spill
	buffer_store_dword v29, off, s[0:3], s32 offset:432 ; 4-byte Folded Spill
.LBB235_281:                            ;   in Loop: Header=BB235_16 Depth=1
	s_or_b32 exec_lo, exec_lo, s25
.LBB235_282:                            ;   in Loop: Header=BB235_16 Depth=1
	s_or_b32 exec_lo, exec_lo, s24
.LBB235_283:                            ;   in Loop: Header=BB235_16 Depth=1
	s_or_b32 exec_lo, exec_lo, s23
	v_cmp_ne_u16_sdwa s5, v0, v29 src0_sel:BYTE_1 src1_sel:DWORD
	s_and_saveexec_b32 s23, s5
	s_cbranch_execz .LBB235_291
; %bb.284:                              ;   in Loop: Header=BB235_16 Depth=1
	v_mov_b32_e32 v1, 0x80
	v_mov_b32_e32 v110, v29
	buffer_store_dword v110, off, s[0:3], s32 offset:436 ; 4-byte Folded Spill
	buffer_store_dword v111, off, s[0:3], s32 offset:440 ; 4-byte Folded Spill
	v_cmp_ne_u16_sdwa s5, v0, v1 src0_sel:BYTE_1 src1_sel:DWORD
	s_and_saveexec_b32 s24, s5
	s_cbranch_execz .LBB235_290
; %bb.285:                              ;   in Loop: Header=BB235_16 Depth=1
	v_mov_b32_e32 v1, 0xffff
	v_mov_b32_e32 v104, v29
	s_mov_b32 s25, exec_lo
	buffer_store_dword v104, off, s[0:3], s32 offset:436 ; 4-byte Folded Spill
	buffer_store_dword v105, off, s[0:3], s32 offset:440 ; 4-byte Folded Spill
	v_and_b32_sdwa v1, v1, v0 dst_sel:DWORD dst_unused:UNUSED_PAD src0_sel:DWORD src1_sel:BYTE_1
	v_and_b32_e32 v4, 0x7f, v1
	v_cmpx_ne_u32_e32 0x7f, v4
	s_cbranch_execz .LBB235_289
; %bb.286:                              ;   in Loop: Header=BB235_16 Depth=1
	v_and_b32_e32 v28, 7, v1
	v_lshrrev_b32_e32 v1, 3, v4
	s_mov_b32 s26, exec_lo
	v_cmpx_gt_u32_e32 8, v4
; %bb.287:                              ;   in Loop: Header=BB235_16 Depth=1
	v_ffbh_u32_e32 v1, v28
	v_min_u32_e32 v1, 32, v1
	v_subrev_nc_u32_e32 v4, 28, v1
	v_sub_nc_u32_e32 v1, 29, v1
	v_lshlrev_b64 v[4:5], v4, v[28:29]
	v_and_b32_e32 v28, 7, v4
; %bb.288:                              ;   in Loop: Header=BB235_16 Depth=1
	s_or_b32 exec_lo, exec_lo, s26
	v_lshlrev_b32_e32 v4, 16, v0
	v_lshlrev_b32_e32 v5, 20, v28
	v_lshl_add_u32 v1, v1, 23, 0x3c000000
	v_and_b32_e32 v4, 0x80000000, v4
	v_or3_b32 v2, v5, v4, v1
	v_mov_b32_e32 v1, v29
	buffer_store_dword v1, off, s[0:3], s32 offset:436 ; 4-byte Folded Spill
	buffer_store_dword v2, off, s[0:3], s32 offset:440 ; 4-byte Folded Spill
.LBB235_289:                            ;   in Loop: Header=BB235_16 Depth=1
	s_or_b32 exec_lo, exec_lo, s25
.LBB235_290:                            ;   in Loop: Header=BB235_16 Depth=1
	s_or_b32 exec_lo, exec_lo, s24
.LBB235_291:                            ;   in Loop: Header=BB235_16 Depth=1
	s_or_b32 exec_lo, exec_lo, s23
	v_mov_b32_e32 v2, 0
	v_mov_b32_e32 v3, 0
	v_mov_b32_e32 v1, 0xff
	s_mov_b32 s23, exec_lo
	buffer_store_dword v2, off, s[0:3], s32 offset:444 ; 4-byte Folded Spill
	buffer_store_dword v3, off, s[0:3], s32 offset:448 ; 4-byte Folded Spill
	v_mov_b32_e32 v2, 0
	v_and_b32_sdwa v1, v0, v1 dst_sel:DWORD dst_unused:UNUSED_PAD src0_sel:WORD_1 src1_sel:DWORD
	v_mov_b32_e32 v3, 0
	buffer_store_dword v2, off, s[0:3], s32 offset:644 ; 4-byte Folded Spill
	buffer_store_dword v3, off, s[0:3], s32 offset:648 ; 4-byte Folded Spill
	v_cmpx_ne_u16_e32 0, v1
	s_cbranch_execz .LBB235_299
; %bb.292:                              ;   in Loop: Header=BB235_16 Depth=1
	v_cmp_ne_u16_e64 s5, 0x80, v1
	v_bfrev_b32_e32 v1, 1
	v_mov_b32_e32 v2, 0
	s_and_saveexec_b32 s24, s5
	s_cbranch_execz .LBB235_298
; %bb.293:                              ;   in Loop: Header=BB235_16 Depth=1
	v_mov_b32_e32 v1, 0x7f800001
	v_bfe_u32 v4, v0, 16, 7
	v_mov_b32_e32 v2, 0
	s_mov_b32 s25, exec_lo
	v_cmpx_ne_u32_e32 0x7f, v4
	s_cbranch_execz .LBB235_297
; %bb.294:                              ;   in Loop: Header=BB235_16 Depth=1
	v_mov_b32_e32 v1, 7
	s_mov_b32 s26, exec_lo
	v_and_b32_sdwa v28, v0, v1 dst_sel:DWORD dst_unused:UNUSED_PAD src0_sel:WORD_1 src1_sel:DWORD
	v_lshrrev_b32_e32 v1, 3, v4
	v_cmpx_gt_u32_e32 8, v4
; %bb.295:                              ;   in Loop: Header=BB235_16 Depth=1
	v_ffbh_u32_e32 v1, v28
	v_min_u32_e32 v1, 32, v1
	v_subrev_nc_u32_e32 v4, 28, v1
	v_sub_nc_u32_e32 v1, 29, v1
	v_lshlrev_b64 v[4:5], v4, v[28:29]
	v_and_b32_e32 v28, 7, v4
; %bb.296:                              ;   in Loop: Header=BB235_16 Depth=1
	s_or_b32 exec_lo, exec_lo, s26
	v_mov_b32_e32 v2, 24
	v_lshlrev_b32_e32 v5, 20, v28
	v_lshl_add_u32 v1, v1, 23, 0x3c000000
	v_lshlrev_b32_sdwa v4, v2, v0 dst_sel:DWORD dst_unused:UNUSED_PAD src0_sel:DWORD src1_sel:WORD_1
	v_and_b32_e32 v4, 0x80000000, v4
	v_or3_b32 v28, v5, v4, v1
	v_mov_b32_e32 v1, v28
	v_mov_b32_e32 v2, v29
.LBB235_297:                            ;   in Loop: Header=BB235_16 Depth=1
	s_or_b32 exec_lo, exec_lo, s25
.LBB235_298:                            ;   in Loop: Header=BB235_16 Depth=1
	s_or_b32 exec_lo, exec_lo, s24
	buffer_store_dword v1, off, s[0:3], s32 offset:644 ; 4-byte Folded Spill
	buffer_store_dword v2, off, s[0:3], s32 offset:648 ; 4-byte Folded Spill
.LBB235_299:                            ;   in Loop: Header=BB235_16 Depth=1
	s_or_b32 exec_lo, exec_lo, s23
	s_mov_b32 s23, exec_lo
	v_cmpx_lt_u32_e32 0xffffff, v0
	s_cbranch_execz .LBB235_307
; %bb.300:                              ;   in Loop: Header=BB235_16 Depth=1
	v_mov_b32_e32 v1, 0x80
	v_mov_b32_e32 v110, v29
	buffer_store_dword v110, off, s[0:3], s32 offset:444 ; 4-byte Folded Spill
	buffer_store_dword v111, off, s[0:3], s32 offset:448 ; 4-byte Folded Spill
	v_cmp_ne_u32_sdwa s5, v0, v1 src0_sel:BYTE_3 src1_sel:DWORD
	s_and_saveexec_b32 s24, s5
	s_cbranch_execz .LBB235_306
; %bb.301:                              ;   in Loop: Header=BB235_16 Depth=1
	v_bfe_u32 v4, v0, 24, 7
	v_mov_b32_e32 v104, v29
	s_mov_b32 s25, exec_lo
	buffer_store_dword v104, off, s[0:3], s32 offset:444 ; 4-byte Folded Spill
	buffer_store_dword v105, off, s[0:3], s32 offset:448 ; 4-byte Folded Spill
	v_cmpx_ne_u32_e32 0x7f, v4
	s_cbranch_execz .LBB235_305
; %bb.302:                              ;   in Loop: Header=BB235_16 Depth=1
	v_mov_b32_e32 v1, 7
	s_mov_b32 s26, exec_lo
	v_and_b32_sdwa v28, v0, v1 dst_sel:DWORD dst_unused:UNUSED_PAD src0_sel:BYTE_3 src1_sel:DWORD
	v_lshrrev_b32_e32 v1, 3, v4
	v_cmpx_gt_u32_e32 8, v4
; %bb.303:                              ;   in Loop: Header=BB235_16 Depth=1
	v_ffbh_u32_e32 v1, v28
	v_min_u32_e32 v1, 32, v1
	v_subrev_nc_u32_e32 v4, 28, v1
	v_sub_nc_u32_e32 v1, 29, v1
	v_lshlrev_b64 v[4:5], v4, v[28:29]
	v_and_b32_e32 v28, 7, v4
; %bb.304:                              ;   in Loop: Header=BB235_16 Depth=1
	s_or_b32 exec_lo, exec_lo, s26
	v_mov_b32_e32 v2, 24
	v_lshlrev_b32_e32 v4, 20, v28
	v_lshl_add_u32 v1, v1, 23, 0x3c000000
	v_lshlrev_b32_sdwa v0, v2, v0 dst_sel:DWORD dst_unused:UNUSED_PAD src0_sel:DWORD src1_sel:BYTE_3
	v_and_b32_e32 v0, 0x80000000, v0
	v_or3_b32 v1, v4, v0, v1
	v_mov_b32_e32 v0, v29
	buffer_store_dword v0, off, s[0:3], s32 offset:444 ; 4-byte Folded Spill
	buffer_store_dword v1, off, s[0:3], s32 offset:448 ; 4-byte Folded Spill
.LBB235_305:                            ;   in Loop: Header=BB235_16 Depth=1
	s_or_b32 exec_lo, exec_lo, s25
.LBB235_306:                            ;   in Loop: Header=BB235_16 Depth=1
	s_or_b32 exec_lo, exec_lo, s24
.LBB235_307:                            ;   in Loop: Header=BB235_16 Depth=1
	s_or_b32 exec_lo, exec_lo, s23
	flat_load_dword v0, v[120:121] offset:1028
	v_mov_b32_e32 v1, 0
	v_mov_b32_e32 v2, 0
	buffer_store_dword v1, off, s[0:3], s32 offset:460 ; 4-byte Folded Spill
	buffer_store_dword v2, off, s[0:3], s32 offset:464 ; 4-byte Folded Spill
	v_mov_b32_e32 v1, 0
	v_mov_b32_e32 v2, 0
	buffer_store_dword v1, off, s[0:3], s32 offset:452 ; 4-byte Folded Spill
	buffer_store_dword v2, off, s[0:3], s32 offset:456 ; 4-byte Folded Spill
	s_waitcnt vmcnt(0) lgkmcnt(0)
	v_cmp_ne_u16_sdwa s5, v0, v29 src0_sel:BYTE_0 src1_sel:DWORD
	s_and_saveexec_b32 s23, s5
	s_cbranch_execz .LBB235_315
; %bb.308:                              ;   in Loop: Header=BB235_16 Depth=1
	v_bfrev_b32_e32 v1, 1
	v_mov_b32_e32 v2, 0
	buffer_store_dword v1, off, s[0:3], s32 offset:452 ; 4-byte Folded Spill
	buffer_store_dword v2, off, s[0:3], s32 offset:456 ; 4-byte Folded Spill
	v_mov_b32_e32 v1, 0x80
	v_cmp_ne_u16_sdwa s5, v0, v1 src0_sel:BYTE_0 src1_sel:DWORD
	s_and_saveexec_b32 s24, s5
	s_cbranch_execz .LBB235_314
; %bb.309:                              ;   in Loop: Header=BB235_16 Depth=1
	v_mov_b32_e32 v1, 0x7f800001
	v_and_b32_e32 v4, 0x7f, v0
	v_mov_b32_e32 v2, 0
	s_mov_b32 s25, exec_lo
	buffer_store_dword v1, off, s[0:3], s32 offset:452 ; 4-byte Folded Spill
	buffer_store_dword v2, off, s[0:3], s32 offset:456 ; 4-byte Folded Spill
	v_cmpx_ne_u32_e32 0x7f, v4
	s_cbranch_execz .LBB235_313
; %bb.310:                              ;   in Loop: Header=BB235_16 Depth=1
	v_and_b32_e32 v28, 7, v0
	v_lshrrev_b32_e32 v1, 3, v4
	s_mov_b32 s26, exec_lo
	v_cmpx_gt_u32_e32 8, v4
; %bb.311:                              ;   in Loop: Header=BB235_16 Depth=1
	v_ffbh_u32_e32 v1, v28
	v_min_u32_e32 v1, 32, v1
	v_subrev_nc_u32_e32 v4, 28, v1
	v_sub_nc_u32_e32 v1, 29, v1
	v_lshlrev_b64 v[4:5], v4, v[28:29]
	v_and_b32_e32 v28, 7, v4
; %bb.312:                              ;   in Loop: Header=BB235_16 Depth=1
	s_or_b32 exec_lo, exec_lo, s26
	v_lshlrev_b32_e32 v4, 24, v0
	v_lshlrev_b32_e32 v5, 20, v28
	v_lshl_add_u32 v1, v1, 23, 0x3c000000
	v_and_b32_e32 v4, 0x80000000, v4
	v_or3_b32 v28, v5, v4, v1
	buffer_store_dword v28, off, s[0:3], s32 offset:452 ; 4-byte Folded Spill
	buffer_store_dword v29, off, s[0:3], s32 offset:456 ; 4-byte Folded Spill
.LBB235_313:                            ;   in Loop: Header=BB235_16 Depth=1
	s_or_b32 exec_lo, exec_lo, s25
.LBB235_314:                            ;   in Loop: Header=BB235_16 Depth=1
	s_or_b32 exec_lo, exec_lo, s24
.LBB235_315:                            ;   in Loop: Header=BB235_16 Depth=1
	s_or_b32 exec_lo, exec_lo, s23
	v_cmp_ne_u16_sdwa s5, v0, v29 src0_sel:BYTE_1 src1_sel:DWORD
	s_and_saveexec_b32 s23, s5
	s_cbranch_execz .LBB235_323
; %bb.316:                              ;   in Loop: Header=BB235_16 Depth=1
	v_mov_b32_e32 v1, 0x80
	v_mov_b32_e32 v110, v29
	buffer_store_dword v110, off, s[0:3], s32 offset:460 ; 4-byte Folded Spill
	buffer_store_dword v111, off, s[0:3], s32 offset:464 ; 4-byte Folded Spill
	v_cmp_ne_u16_sdwa s5, v0, v1 src0_sel:BYTE_1 src1_sel:DWORD
	s_and_saveexec_b32 s24, s5
	s_cbranch_execz .LBB235_322
; %bb.317:                              ;   in Loop: Header=BB235_16 Depth=1
	v_mov_b32_e32 v1, 0xffff
	v_mov_b32_e32 v104, v29
	s_mov_b32 s25, exec_lo
	buffer_store_dword v104, off, s[0:3], s32 offset:460 ; 4-byte Folded Spill
	buffer_store_dword v105, off, s[0:3], s32 offset:464 ; 4-byte Folded Spill
	v_and_b32_sdwa v1, v1, v0 dst_sel:DWORD dst_unused:UNUSED_PAD src0_sel:DWORD src1_sel:BYTE_1
	v_and_b32_e32 v4, 0x7f, v1
	v_cmpx_ne_u32_e32 0x7f, v4
	s_cbranch_execz .LBB235_321
; %bb.318:                              ;   in Loop: Header=BB235_16 Depth=1
	v_and_b32_e32 v28, 7, v1
	v_lshrrev_b32_e32 v1, 3, v4
	s_mov_b32 s26, exec_lo
	v_cmpx_gt_u32_e32 8, v4
; %bb.319:                              ;   in Loop: Header=BB235_16 Depth=1
	v_ffbh_u32_e32 v1, v28
	v_min_u32_e32 v1, 32, v1
	v_subrev_nc_u32_e32 v4, 28, v1
	v_sub_nc_u32_e32 v1, 29, v1
	v_lshlrev_b64 v[4:5], v4, v[28:29]
	v_and_b32_e32 v28, 7, v4
; %bb.320:                              ;   in Loop: Header=BB235_16 Depth=1
	s_or_b32 exec_lo, exec_lo, s26
	v_lshlrev_b32_e32 v4, 16, v0
	v_lshlrev_b32_e32 v5, 20, v28
	v_lshl_add_u32 v1, v1, 23, 0x3c000000
	v_and_b32_e32 v4, 0x80000000, v4
	v_or3_b32 v2, v5, v4, v1
	v_mov_b32_e32 v1, v29
	buffer_store_dword v1, off, s[0:3], s32 offset:460 ; 4-byte Folded Spill
	buffer_store_dword v2, off, s[0:3], s32 offset:464 ; 4-byte Folded Spill
.LBB235_321:                            ;   in Loop: Header=BB235_16 Depth=1
	s_or_b32 exec_lo, exec_lo, s25
.LBB235_322:                            ;   in Loop: Header=BB235_16 Depth=1
	s_or_b32 exec_lo, exec_lo, s24
.LBB235_323:                            ;   in Loop: Header=BB235_16 Depth=1
	s_or_b32 exec_lo, exec_lo, s23
	v_mov_b32_e32 v2, 0
	v_mov_b32_e32 v3, 0
	;; [unrolled: 1-line block ×3, first 2 shown]
	s_mov_b32 s23, exec_lo
	buffer_store_dword v2, off, s[0:3], s32 offset:468 ; 4-byte Folded Spill
	buffer_store_dword v3, off, s[0:3], s32 offset:472 ; 4-byte Folded Spill
	v_mov_b32_e32 v2, 0
	v_and_b32_sdwa v1, v0, v1 dst_sel:DWORD dst_unused:UNUSED_PAD src0_sel:WORD_1 src1_sel:DWORD
	v_mov_b32_e32 v3, 0
	buffer_store_dword v2, off, s[0:3], s32 offset:652 ; 4-byte Folded Spill
	buffer_store_dword v3, off, s[0:3], s32 offset:656 ; 4-byte Folded Spill
	v_cmpx_ne_u16_e32 0, v1
	s_cbranch_execz .LBB235_331
; %bb.324:                              ;   in Loop: Header=BB235_16 Depth=1
	v_cmp_ne_u16_e64 s5, 0x80, v1
	v_bfrev_b32_e32 v1, 1
	v_mov_b32_e32 v2, 0
	s_and_saveexec_b32 s24, s5
	s_cbranch_execz .LBB235_330
; %bb.325:                              ;   in Loop: Header=BB235_16 Depth=1
	v_mov_b32_e32 v1, 0x7f800001
	v_bfe_u32 v4, v0, 16, 7
	v_mov_b32_e32 v2, 0
	s_mov_b32 s25, exec_lo
	v_cmpx_ne_u32_e32 0x7f, v4
	s_cbranch_execz .LBB235_329
; %bb.326:                              ;   in Loop: Header=BB235_16 Depth=1
	v_mov_b32_e32 v1, 7
	s_mov_b32 s26, exec_lo
	v_and_b32_sdwa v28, v0, v1 dst_sel:DWORD dst_unused:UNUSED_PAD src0_sel:WORD_1 src1_sel:DWORD
	v_lshrrev_b32_e32 v1, 3, v4
	v_cmpx_gt_u32_e32 8, v4
; %bb.327:                              ;   in Loop: Header=BB235_16 Depth=1
	v_ffbh_u32_e32 v1, v28
	v_min_u32_e32 v1, 32, v1
	v_subrev_nc_u32_e32 v4, 28, v1
	v_sub_nc_u32_e32 v1, 29, v1
	v_lshlrev_b64 v[4:5], v4, v[28:29]
	v_and_b32_e32 v28, 7, v4
; %bb.328:                              ;   in Loop: Header=BB235_16 Depth=1
	s_or_b32 exec_lo, exec_lo, s26
	v_mov_b32_e32 v2, 24
	v_lshlrev_b32_e32 v5, 20, v28
	v_lshl_add_u32 v1, v1, 23, 0x3c000000
	v_lshlrev_b32_sdwa v4, v2, v0 dst_sel:DWORD dst_unused:UNUSED_PAD src0_sel:DWORD src1_sel:WORD_1
	v_and_b32_e32 v4, 0x80000000, v4
	v_or3_b32 v28, v5, v4, v1
	v_mov_b32_e32 v1, v28
	v_mov_b32_e32 v2, v29
.LBB235_329:                            ;   in Loop: Header=BB235_16 Depth=1
	s_or_b32 exec_lo, exec_lo, s25
.LBB235_330:                            ;   in Loop: Header=BB235_16 Depth=1
	s_or_b32 exec_lo, exec_lo, s24
	buffer_store_dword v1, off, s[0:3], s32 offset:652 ; 4-byte Folded Spill
	buffer_store_dword v2, off, s[0:3], s32 offset:656 ; 4-byte Folded Spill
.LBB235_331:                            ;   in Loop: Header=BB235_16 Depth=1
	s_or_b32 exec_lo, exec_lo, s23
	s_mov_b32 s23, exec_lo
	v_cmpx_lt_u32_e32 0xffffff, v0
	s_cbranch_execz .LBB235_339
; %bb.332:                              ;   in Loop: Header=BB235_16 Depth=1
	v_mov_b32_e32 v1, 0x80
	v_mov_b32_e32 v110, v29
	buffer_store_dword v110, off, s[0:3], s32 offset:468 ; 4-byte Folded Spill
	buffer_store_dword v111, off, s[0:3], s32 offset:472 ; 4-byte Folded Spill
	v_cmp_ne_u32_sdwa s5, v0, v1 src0_sel:BYTE_3 src1_sel:DWORD
	s_and_saveexec_b32 s24, s5
	s_cbranch_execz .LBB235_338
; %bb.333:                              ;   in Loop: Header=BB235_16 Depth=1
	v_bfe_u32 v4, v0, 24, 7
	v_mov_b32_e32 v104, v29
	s_mov_b32 s25, exec_lo
	buffer_store_dword v104, off, s[0:3], s32 offset:468 ; 4-byte Folded Spill
	buffer_store_dword v105, off, s[0:3], s32 offset:472 ; 4-byte Folded Spill
	v_cmpx_ne_u32_e32 0x7f, v4
	s_cbranch_execz .LBB235_337
; %bb.334:                              ;   in Loop: Header=BB235_16 Depth=1
	v_mov_b32_e32 v1, 7
	s_mov_b32 s26, exec_lo
	v_and_b32_sdwa v28, v0, v1 dst_sel:DWORD dst_unused:UNUSED_PAD src0_sel:BYTE_3 src1_sel:DWORD
	v_lshrrev_b32_e32 v1, 3, v4
	v_cmpx_gt_u32_e32 8, v4
; %bb.335:                              ;   in Loop: Header=BB235_16 Depth=1
	v_ffbh_u32_e32 v1, v28
	v_min_u32_e32 v1, 32, v1
	v_subrev_nc_u32_e32 v4, 28, v1
	v_sub_nc_u32_e32 v1, 29, v1
	v_lshlrev_b64 v[4:5], v4, v[28:29]
	v_and_b32_e32 v28, 7, v4
; %bb.336:                              ;   in Loop: Header=BB235_16 Depth=1
	s_or_b32 exec_lo, exec_lo, s26
	v_mov_b32_e32 v2, 24
	v_lshlrev_b32_e32 v4, 20, v28
	v_lshl_add_u32 v1, v1, 23, 0x3c000000
	v_lshlrev_b32_sdwa v0, v2, v0 dst_sel:DWORD dst_unused:UNUSED_PAD src0_sel:DWORD src1_sel:BYTE_3
	v_and_b32_e32 v0, 0x80000000, v0
	v_or3_b32 v1, v4, v0, v1
	v_mov_b32_e32 v0, v29
	buffer_store_dword v0, off, s[0:3], s32 offset:468 ; 4-byte Folded Spill
	buffer_store_dword v1, off, s[0:3], s32 offset:472 ; 4-byte Folded Spill
.LBB235_337:                            ;   in Loop: Header=BB235_16 Depth=1
	s_or_b32 exec_lo, exec_lo, s25
.LBB235_338:                            ;   in Loop: Header=BB235_16 Depth=1
	s_or_b32 exec_lo, exec_lo, s24
.LBB235_339:                            ;   in Loop: Header=BB235_16 Depth=1
	s_or_b32 exec_lo, exec_lo, s23
	flat_load_dword v0, v[120:121] offset:1032
	v_mov_b32_e32 v1, 0
	v_mov_b32_e32 v2, 0
	buffer_store_dword v1, off, s[0:3], s32 offset:484 ; 4-byte Folded Spill
	buffer_store_dword v2, off, s[0:3], s32 offset:488 ; 4-byte Folded Spill
	v_mov_b32_e32 v1, 0
	v_mov_b32_e32 v2, 0
	buffer_store_dword v1, off, s[0:3], s32 offset:476 ; 4-byte Folded Spill
	buffer_store_dword v2, off, s[0:3], s32 offset:480 ; 4-byte Folded Spill
	s_waitcnt vmcnt(0) lgkmcnt(0)
	v_cmp_ne_u16_sdwa s5, v0, v29 src0_sel:BYTE_0 src1_sel:DWORD
	s_and_saveexec_b32 s23, s5
	s_cbranch_execz .LBB235_347
; %bb.340:                              ;   in Loop: Header=BB235_16 Depth=1
	v_bfrev_b32_e32 v1, 1
	v_mov_b32_e32 v2, 0
	buffer_store_dword v1, off, s[0:3], s32 offset:476 ; 4-byte Folded Spill
	buffer_store_dword v2, off, s[0:3], s32 offset:480 ; 4-byte Folded Spill
	v_mov_b32_e32 v1, 0x80
	v_cmp_ne_u16_sdwa s5, v0, v1 src0_sel:BYTE_0 src1_sel:DWORD
	s_and_saveexec_b32 s24, s5
	s_cbranch_execz .LBB235_346
; %bb.341:                              ;   in Loop: Header=BB235_16 Depth=1
	v_mov_b32_e32 v1, 0x7f800001
	v_and_b32_e32 v4, 0x7f, v0
	v_mov_b32_e32 v2, 0
	s_mov_b32 s25, exec_lo
	buffer_store_dword v1, off, s[0:3], s32 offset:476 ; 4-byte Folded Spill
	buffer_store_dword v2, off, s[0:3], s32 offset:480 ; 4-byte Folded Spill
	v_cmpx_ne_u32_e32 0x7f, v4
	s_cbranch_execz .LBB235_345
; %bb.342:                              ;   in Loop: Header=BB235_16 Depth=1
	v_and_b32_e32 v28, 7, v0
	v_lshrrev_b32_e32 v1, 3, v4
	s_mov_b32 s26, exec_lo
	v_cmpx_gt_u32_e32 8, v4
; %bb.343:                              ;   in Loop: Header=BB235_16 Depth=1
	v_ffbh_u32_e32 v1, v28
	v_min_u32_e32 v1, 32, v1
	v_subrev_nc_u32_e32 v4, 28, v1
	v_sub_nc_u32_e32 v1, 29, v1
	v_lshlrev_b64 v[4:5], v4, v[28:29]
	v_and_b32_e32 v28, 7, v4
; %bb.344:                              ;   in Loop: Header=BB235_16 Depth=1
	s_or_b32 exec_lo, exec_lo, s26
	v_lshlrev_b32_e32 v4, 24, v0
	v_lshlrev_b32_e32 v5, 20, v28
	v_lshl_add_u32 v1, v1, 23, 0x3c000000
	v_and_b32_e32 v4, 0x80000000, v4
	v_or3_b32 v28, v5, v4, v1
	buffer_store_dword v28, off, s[0:3], s32 offset:476 ; 4-byte Folded Spill
	buffer_store_dword v29, off, s[0:3], s32 offset:480 ; 4-byte Folded Spill
.LBB235_345:                            ;   in Loop: Header=BB235_16 Depth=1
	s_or_b32 exec_lo, exec_lo, s25
.LBB235_346:                            ;   in Loop: Header=BB235_16 Depth=1
	s_or_b32 exec_lo, exec_lo, s24
.LBB235_347:                            ;   in Loop: Header=BB235_16 Depth=1
	s_or_b32 exec_lo, exec_lo, s23
	v_cmp_ne_u16_sdwa s5, v0, v29 src0_sel:BYTE_1 src1_sel:DWORD
	s_and_saveexec_b32 s23, s5
	s_cbranch_execz .LBB235_355
; %bb.348:                              ;   in Loop: Header=BB235_16 Depth=1
	v_mov_b32_e32 v1, 0x80
	v_mov_b32_e32 v110, v29
	buffer_store_dword v110, off, s[0:3], s32 offset:484 ; 4-byte Folded Spill
	buffer_store_dword v111, off, s[0:3], s32 offset:488 ; 4-byte Folded Spill
	v_cmp_ne_u16_sdwa s5, v0, v1 src0_sel:BYTE_1 src1_sel:DWORD
	s_and_saveexec_b32 s24, s5
	s_cbranch_execz .LBB235_354
; %bb.349:                              ;   in Loop: Header=BB235_16 Depth=1
	v_mov_b32_e32 v1, 0xffff
	v_mov_b32_e32 v104, v29
	s_mov_b32 s25, exec_lo
	buffer_store_dword v104, off, s[0:3], s32 offset:484 ; 4-byte Folded Spill
	buffer_store_dword v105, off, s[0:3], s32 offset:488 ; 4-byte Folded Spill
	v_and_b32_sdwa v1, v1, v0 dst_sel:DWORD dst_unused:UNUSED_PAD src0_sel:DWORD src1_sel:BYTE_1
	v_and_b32_e32 v4, 0x7f, v1
	v_cmpx_ne_u32_e32 0x7f, v4
	s_cbranch_execz .LBB235_353
; %bb.350:                              ;   in Loop: Header=BB235_16 Depth=1
	v_and_b32_e32 v28, 7, v1
	v_lshrrev_b32_e32 v1, 3, v4
	s_mov_b32 s26, exec_lo
	v_cmpx_gt_u32_e32 8, v4
; %bb.351:                              ;   in Loop: Header=BB235_16 Depth=1
	v_ffbh_u32_e32 v1, v28
	v_min_u32_e32 v1, 32, v1
	v_subrev_nc_u32_e32 v4, 28, v1
	v_sub_nc_u32_e32 v1, 29, v1
	v_lshlrev_b64 v[4:5], v4, v[28:29]
	v_and_b32_e32 v28, 7, v4
; %bb.352:                              ;   in Loop: Header=BB235_16 Depth=1
	s_or_b32 exec_lo, exec_lo, s26
	v_lshlrev_b32_e32 v4, 16, v0
	v_lshlrev_b32_e32 v5, 20, v28
	v_lshl_add_u32 v1, v1, 23, 0x3c000000
	v_and_b32_e32 v4, 0x80000000, v4
	v_or3_b32 v2, v5, v4, v1
	v_mov_b32_e32 v1, v29
	buffer_store_dword v1, off, s[0:3], s32 offset:484 ; 4-byte Folded Spill
	buffer_store_dword v2, off, s[0:3], s32 offset:488 ; 4-byte Folded Spill
.LBB235_353:                            ;   in Loop: Header=BB235_16 Depth=1
	s_or_b32 exec_lo, exec_lo, s25
.LBB235_354:                            ;   in Loop: Header=BB235_16 Depth=1
	s_or_b32 exec_lo, exec_lo, s24
.LBB235_355:                            ;   in Loop: Header=BB235_16 Depth=1
	s_or_b32 exec_lo, exec_lo, s23
	v_mov_b32_e32 v2, 0
	v_mov_b32_e32 v3, 0
	;; [unrolled: 1-line block ×3, first 2 shown]
	s_mov_b32 s23, exec_lo
	buffer_store_dword v2, off, s[0:3], s32 offset:492 ; 4-byte Folded Spill
	buffer_store_dword v3, off, s[0:3], s32 offset:496 ; 4-byte Folded Spill
	v_mov_b32_e32 v2, 0
	v_and_b32_sdwa v1, v0, v1 dst_sel:DWORD dst_unused:UNUSED_PAD src0_sel:WORD_1 src1_sel:DWORD
	v_mov_b32_e32 v3, 0
	buffer_store_dword v2, off, s[0:3], s32 offset:660 ; 4-byte Folded Spill
	buffer_store_dword v3, off, s[0:3], s32 offset:664 ; 4-byte Folded Spill
	v_cmpx_ne_u16_e32 0, v1
	s_cbranch_execz .LBB235_363
; %bb.356:                              ;   in Loop: Header=BB235_16 Depth=1
	v_cmp_ne_u16_e64 s5, 0x80, v1
	v_bfrev_b32_e32 v1, 1
	v_mov_b32_e32 v2, 0
	s_and_saveexec_b32 s24, s5
	s_cbranch_execz .LBB235_362
; %bb.357:                              ;   in Loop: Header=BB235_16 Depth=1
	v_mov_b32_e32 v1, 0x7f800001
	v_bfe_u32 v4, v0, 16, 7
	v_mov_b32_e32 v2, 0
	s_mov_b32 s25, exec_lo
	v_cmpx_ne_u32_e32 0x7f, v4
	s_cbranch_execz .LBB235_361
; %bb.358:                              ;   in Loop: Header=BB235_16 Depth=1
	v_mov_b32_e32 v1, 7
	s_mov_b32 s26, exec_lo
	v_and_b32_sdwa v28, v0, v1 dst_sel:DWORD dst_unused:UNUSED_PAD src0_sel:WORD_1 src1_sel:DWORD
	v_lshrrev_b32_e32 v1, 3, v4
	v_cmpx_gt_u32_e32 8, v4
; %bb.359:                              ;   in Loop: Header=BB235_16 Depth=1
	v_ffbh_u32_e32 v1, v28
	v_min_u32_e32 v1, 32, v1
	v_subrev_nc_u32_e32 v4, 28, v1
	v_sub_nc_u32_e32 v1, 29, v1
	v_lshlrev_b64 v[4:5], v4, v[28:29]
	v_and_b32_e32 v28, 7, v4
; %bb.360:                              ;   in Loop: Header=BB235_16 Depth=1
	s_or_b32 exec_lo, exec_lo, s26
	v_mov_b32_e32 v2, 24
	v_lshlrev_b32_e32 v5, 20, v28
	v_lshl_add_u32 v1, v1, 23, 0x3c000000
	v_lshlrev_b32_sdwa v4, v2, v0 dst_sel:DWORD dst_unused:UNUSED_PAD src0_sel:DWORD src1_sel:WORD_1
	v_and_b32_e32 v4, 0x80000000, v4
	v_or3_b32 v28, v5, v4, v1
	v_mov_b32_e32 v1, v28
	v_mov_b32_e32 v2, v29
.LBB235_361:                            ;   in Loop: Header=BB235_16 Depth=1
	s_or_b32 exec_lo, exec_lo, s25
.LBB235_362:                            ;   in Loop: Header=BB235_16 Depth=1
	s_or_b32 exec_lo, exec_lo, s24
	buffer_store_dword v1, off, s[0:3], s32 offset:660 ; 4-byte Folded Spill
	buffer_store_dword v2, off, s[0:3], s32 offset:664 ; 4-byte Folded Spill
.LBB235_363:                            ;   in Loop: Header=BB235_16 Depth=1
	s_or_b32 exec_lo, exec_lo, s23
	s_mov_b32 s23, exec_lo
	v_cmpx_lt_u32_e32 0xffffff, v0
	s_cbranch_execz .LBB235_371
; %bb.364:                              ;   in Loop: Header=BB235_16 Depth=1
	v_mov_b32_e32 v1, 0x80
	v_mov_b32_e32 v110, v29
	buffer_store_dword v110, off, s[0:3], s32 offset:492 ; 4-byte Folded Spill
	buffer_store_dword v111, off, s[0:3], s32 offset:496 ; 4-byte Folded Spill
	v_cmp_ne_u32_sdwa s5, v0, v1 src0_sel:BYTE_3 src1_sel:DWORD
	s_and_saveexec_b32 s24, s5
	s_cbranch_execz .LBB235_370
; %bb.365:                              ;   in Loop: Header=BB235_16 Depth=1
	v_bfe_u32 v4, v0, 24, 7
	v_mov_b32_e32 v104, v29
	s_mov_b32 s25, exec_lo
	buffer_store_dword v104, off, s[0:3], s32 offset:492 ; 4-byte Folded Spill
	buffer_store_dword v105, off, s[0:3], s32 offset:496 ; 4-byte Folded Spill
	v_cmpx_ne_u32_e32 0x7f, v4
	s_cbranch_execz .LBB235_369
; %bb.366:                              ;   in Loop: Header=BB235_16 Depth=1
	v_mov_b32_e32 v1, 7
	s_mov_b32 s26, exec_lo
	v_and_b32_sdwa v28, v0, v1 dst_sel:DWORD dst_unused:UNUSED_PAD src0_sel:BYTE_3 src1_sel:DWORD
	v_lshrrev_b32_e32 v1, 3, v4
	v_cmpx_gt_u32_e32 8, v4
; %bb.367:                              ;   in Loop: Header=BB235_16 Depth=1
	v_ffbh_u32_e32 v1, v28
	v_min_u32_e32 v1, 32, v1
	v_subrev_nc_u32_e32 v4, 28, v1
	v_sub_nc_u32_e32 v1, 29, v1
	v_lshlrev_b64 v[4:5], v4, v[28:29]
	v_and_b32_e32 v28, 7, v4
; %bb.368:                              ;   in Loop: Header=BB235_16 Depth=1
	s_or_b32 exec_lo, exec_lo, s26
	v_mov_b32_e32 v2, 24
	v_lshlrev_b32_e32 v4, 20, v28
	v_lshl_add_u32 v1, v1, 23, 0x3c000000
	v_lshlrev_b32_sdwa v0, v2, v0 dst_sel:DWORD dst_unused:UNUSED_PAD src0_sel:DWORD src1_sel:BYTE_3
	v_and_b32_e32 v0, 0x80000000, v0
	v_or3_b32 v1, v4, v0, v1
	v_mov_b32_e32 v0, v29
	buffer_store_dword v0, off, s[0:3], s32 offset:492 ; 4-byte Folded Spill
	buffer_store_dword v1, off, s[0:3], s32 offset:496 ; 4-byte Folded Spill
.LBB235_369:                            ;   in Loop: Header=BB235_16 Depth=1
	s_or_b32 exec_lo, exec_lo, s25
.LBB235_370:                            ;   in Loop: Header=BB235_16 Depth=1
	s_or_b32 exec_lo, exec_lo, s24
.LBB235_371:                            ;   in Loop: Header=BB235_16 Depth=1
	s_or_b32 exec_lo, exec_lo, s23
	flat_load_dword v0, v[120:121] offset:1036
	v_mov_b32_e32 v1, 0
	v_mov_b32_e32 v2, 0
	buffer_store_dword v1, off, s[0:3], s32 offset:508 ; 4-byte Folded Spill
	buffer_store_dword v2, off, s[0:3], s32 offset:512 ; 4-byte Folded Spill
	v_mov_b32_e32 v1, 0
	v_mov_b32_e32 v2, 0
	buffer_store_dword v1, off, s[0:3], s32 offset:500 ; 4-byte Folded Spill
	buffer_store_dword v2, off, s[0:3], s32 offset:504 ; 4-byte Folded Spill
	s_waitcnt vmcnt(0) lgkmcnt(0)
	v_cmp_ne_u16_sdwa s5, v0, v29 src0_sel:BYTE_0 src1_sel:DWORD
	s_and_saveexec_b32 s23, s5
	s_cbranch_execz .LBB235_379
; %bb.372:                              ;   in Loop: Header=BB235_16 Depth=1
	v_bfrev_b32_e32 v1, 1
	v_mov_b32_e32 v2, 0
	buffer_store_dword v1, off, s[0:3], s32 offset:500 ; 4-byte Folded Spill
	buffer_store_dword v2, off, s[0:3], s32 offset:504 ; 4-byte Folded Spill
	v_mov_b32_e32 v1, 0x80
	v_cmp_ne_u16_sdwa s5, v0, v1 src0_sel:BYTE_0 src1_sel:DWORD
	s_and_saveexec_b32 s24, s5
	s_cbranch_execz .LBB235_378
; %bb.373:                              ;   in Loop: Header=BB235_16 Depth=1
	v_mov_b32_e32 v1, 0x7f800001
	v_and_b32_e32 v4, 0x7f, v0
	v_mov_b32_e32 v2, 0
	s_mov_b32 s25, exec_lo
	buffer_store_dword v1, off, s[0:3], s32 offset:500 ; 4-byte Folded Spill
	buffer_store_dword v2, off, s[0:3], s32 offset:504 ; 4-byte Folded Spill
	v_cmpx_ne_u32_e32 0x7f, v4
	s_cbranch_execz .LBB235_377
; %bb.374:                              ;   in Loop: Header=BB235_16 Depth=1
	v_and_b32_e32 v28, 7, v0
	v_lshrrev_b32_e32 v1, 3, v4
	s_mov_b32 s26, exec_lo
	v_cmpx_gt_u32_e32 8, v4
; %bb.375:                              ;   in Loop: Header=BB235_16 Depth=1
	v_ffbh_u32_e32 v1, v28
	v_min_u32_e32 v1, 32, v1
	v_subrev_nc_u32_e32 v4, 28, v1
	v_sub_nc_u32_e32 v1, 29, v1
	v_lshlrev_b64 v[4:5], v4, v[28:29]
	v_and_b32_e32 v28, 7, v4
; %bb.376:                              ;   in Loop: Header=BB235_16 Depth=1
	s_or_b32 exec_lo, exec_lo, s26
	v_lshlrev_b32_e32 v4, 24, v0
	v_lshlrev_b32_e32 v5, 20, v28
	v_lshl_add_u32 v1, v1, 23, 0x3c000000
	v_and_b32_e32 v4, 0x80000000, v4
	v_or3_b32 v28, v5, v4, v1
	buffer_store_dword v28, off, s[0:3], s32 offset:500 ; 4-byte Folded Spill
	buffer_store_dword v29, off, s[0:3], s32 offset:504 ; 4-byte Folded Spill
.LBB235_377:                            ;   in Loop: Header=BB235_16 Depth=1
	s_or_b32 exec_lo, exec_lo, s25
.LBB235_378:                            ;   in Loop: Header=BB235_16 Depth=1
	s_or_b32 exec_lo, exec_lo, s24
.LBB235_379:                            ;   in Loop: Header=BB235_16 Depth=1
	s_or_b32 exec_lo, exec_lo, s23
	v_cmp_ne_u16_sdwa s5, v0, v29 src0_sel:BYTE_1 src1_sel:DWORD
	s_and_saveexec_b32 s23, s5
	s_cbranch_execz .LBB235_387
; %bb.380:                              ;   in Loop: Header=BB235_16 Depth=1
	v_mov_b32_e32 v1, 0x80
	v_mov_b32_e32 v110, v29
	buffer_store_dword v110, off, s[0:3], s32 offset:508 ; 4-byte Folded Spill
	buffer_store_dword v111, off, s[0:3], s32 offset:512 ; 4-byte Folded Spill
	v_cmp_ne_u16_sdwa s5, v0, v1 src0_sel:BYTE_1 src1_sel:DWORD
	s_and_saveexec_b32 s24, s5
	s_cbranch_execz .LBB235_386
; %bb.381:                              ;   in Loop: Header=BB235_16 Depth=1
	v_mov_b32_e32 v1, 0xffff
	v_mov_b32_e32 v104, v29
	s_mov_b32 s25, exec_lo
	buffer_store_dword v104, off, s[0:3], s32 offset:508 ; 4-byte Folded Spill
	buffer_store_dword v105, off, s[0:3], s32 offset:512 ; 4-byte Folded Spill
	v_and_b32_sdwa v1, v1, v0 dst_sel:DWORD dst_unused:UNUSED_PAD src0_sel:DWORD src1_sel:BYTE_1
	v_and_b32_e32 v4, 0x7f, v1
	v_cmpx_ne_u32_e32 0x7f, v4
	s_cbranch_execz .LBB235_385
; %bb.382:                              ;   in Loop: Header=BB235_16 Depth=1
	v_and_b32_e32 v28, 7, v1
	v_lshrrev_b32_e32 v1, 3, v4
	s_mov_b32 s26, exec_lo
	v_cmpx_gt_u32_e32 8, v4
; %bb.383:                              ;   in Loop: Header=BB235_16 Depth=1
	v_ffbh_u32_e32 v1, v28
	v_min_u32_e32 v1, 32, v1
	v_subrev_nc_u32_e32 v4, 28, v1
	v_sub_nc_u32_e32 v1, 29, v1
	v_lshlrev_b64 v[4:5], v4, v[28:29]
	v_and_b32_e32 v28, 7, v4
; %bb.384:                              ;   in Loop: Header=BB235_16 Depth=1
	s_or_b32 exec_lo, exec_lo, s26
	v_lshlrev_b32_e32 v4, 16, v0
	v_lshlrev_b32_e32 v5, 20, v28
	v_lshl_add_u32 v1, v1, 23, 0x3c000000
	v_and_b32_e32 v4, 0x80000000, v4
	v_or3_b32 v2, v5, v4, v1
	v_mov_b32_e32 v1, v29
	buffer_store_dword v1, off, s[0:3], s32 offset:508 ; 4-byte Folded Spill
	buffer_store_dword v2, off, s[0:3], s32 offset:512 ; 4-byte Folded Spill
.LBB235_385:                            ;   in Loop: Header=BB235_16 Depth=1
	s_or_b32 exec_lo, exec_lo, s25
.LBB235_386:                            ;   in Loop: Header=BB235_16 Depth=1
	s_or_b32 exec_lo, exec_lo, s24
.LBB235_387:                            ;   in Loop: Header=BB235_16 Depth=1
	s_or_b32 exec_lo, exec_lo, s23
	v_mov_b32_e32 v2, 0
	v_mov_b32_e32 v3, 0
	;; [unrolled: 1-line block ×3, first 2 shown]
	s_mov_b32 s23, exec_lo
	buffer_store_dword v2, off, s[0:3], s32 offset:516 ; 4-byte Folded Spill
	buffer_store_dword v3, off, s[0:3], s32 offset:520 ; 4-byte Folded Spill
	v_mov_b32_e32 v2, 0
	v_and_b32_sdwa v1, v0, v1 dst_sel:DWORD dst_unused:UNUSED_PAD src0_sel:WORD_1 src1_sel:DWORD
	v_mov_b32_e32 v3, 0
	buffer_store_dword v2, off, s[0:3], s32 offset:668 ; 4-byte Folded Spill
	buffer_store_dword v3, off, s[0:3], s32 offset:672 ; 4-byte Folded Spill
	v_cmpx_ne_u16_e32 0, v1
	s_cbranch_execz .LBB235_395
; %bb.388:                              ;   in Loop: Header=BB235_16 Depth=1
	v_cmp_ne_u16_e64 s5, 0x80, v1
	v_bfrev_b32_e32 v1, 1
	v_mov_b32_e32 v2, 0
	s_and_saveexec_b32 s24, s5
	s_cbranch_execz .LBB235_394
; %bb.389:                              ;   in Loop: Header=BB235_16 Depth=1
	v_mov_b32_e32 v1, 0x7f800001
	v_bfe_u32 v4, v0, 16, 7
	v_mov_b32_e32 v2, 0
	s_mov_b32 s25, exec_lo
	v_cmpx_ne_u32_e32 0x7f, v4
	s_cbranch_execz .LBB235_393
; %bb.390:                              ;   in Loop: Header=BB235_16 Depth=1
	v_mov_b32_e32 v1, 7
	s_mov_b32 s26, exec_lo
	v_and_b32_sdwa v28, v0, v1 dst_sel:DWORD dst_unused:UNUSED_PAD src0_sel:WORD_1 src1_sel:DWORD
	v_lshrrev_b32_e32 v1, 3, v4
	v_cmpx_gt_u32_e32 8, v4
; %bb.391:                              ;   in Loop: Header=BB235_16 Depth=1
	v_ffbh_u32_e32 v1, v28
	v_min_u32_e32 v1, 32, v1
	v_subrev_nc_u32_e32 v4, 28, v1
	v_sub_nc_u32_e32 v1, 29, v1
	v_lshlrev_b64 v[4:5], v4, v[28:29]
	v_and_b32_e32 v28, 7, v4
; %bb.392:                              ;   in Loop: Header=BB235_16 Depth=1
	s_or_b32 exec_lo, exec_lo, s26
	v_mov_b32_e32 v2, 24
	v_lshlrev_b32_e32 v5, 20, v28
	v_lshl_add_u32 v1, v1, 23, 0x3c000000
	v_lshlrev_b32_sdwa v4, v2, v0 dst_sel:DWORD dst_unused:UNUSED_PAD src0_sel:DWORD src1_sel:WORD_1
	v_and_b32_e32 v4, 0x80000000, v4
	v_or3_b32 v28, v5, v4, v1
	v_mov_b32_e32 v1, v28
	v_mov_b32_e32 v2, v29
.LBB235_393:                            ;   in Loop: Header=BB235_16 Depth=1
	s_or_b32 exec_lo, exec_lo, s25
.LBB235_394:                            ;   in Loop: Header=BB235_16 Depth=1
	s_or_b32 exec_lo, exec_lo, s24
	buffer_store_dword v1, off, s[0:3], s32 offset:668 ; 4-byte Folded Spill
	buffer_store_dword v2, off, s[0:3], s32 offset:672 ; 4-byte Folded Spill
.LBB235_395:                            ;   in Loop: Header=BB235_16 Depth=1
	s_or_b32 exec_lo, exec_lo, s23
	s_mov_b32 s23, exec_lo
	v_cmpx_lt_u32_e32 0xffffff, v0
	s_cbranch_execz .LBB235_403
; %bb.396:                              ;   in Loop: Header=BB235_16 Depth=1
	v_mov_b32_e32 v1, 0x80
	v_mov_b32_e32 v110, v29
	buffer_store_dword v110, off, s[0:3], s32 offset:516 ; 4-byte Folded Spill
	buffer_store_dword v111, off, s[0:3], s32 offset:520 ; 4-byte Folded Spill
	v_cmp_ne_u32_sdwa s5, v0, v1 src0_sel:BYTE_3 src1_sel:DWORD
	s_and_saveexec_b32 s24, s5
	s_cbranch_execz .LBB235_402
; %bb.397:                              ;   in Loop: Header=BB235_16 Depth=1
	v_bfe_u32 v4, v0, 24, 7
	v_mov_b32_e32 v104, v29
	s_mov_b32 s25, exec_lo
	buffer_store_dword v104, off, s[0:3], s32 offset:516 ; 4-byte Folded Spill
	buffer_store_dword v105, off, s[0:3], s32 offset:520 ; 4-byte Folded Spill
	v_cmpx_ne_u32_e32 0x7f, v4
	s_cbranch_execz .LBB235_401
; %bb.398:                              ;   in Loop: Header=BB235_16 Depth=1
	v_mov_b32_e32 v1, 7
	s_mov_b32 s26, exec_lo
	v_and_b32_sdwa v28, v0, v1 dst_sel:DWORD dst_unused:UNUSED_PAD src0_sel:BYTE_3 src1_sel:DWORD
	v_lshrrev_b32_e32 v1, 3, v4
	v_cmpx_gt_u32_e32 8, v4
; %bb.399:                              ;   in Loop: Header=BB235_16 Depth=1
	v_ffbh_u32_e32 v1, v28
	v_min_u32_e32 v1, 32, v1
	v_subrev_nc_u32_e32 v4, 28, v1
	v_sub_nc_u32_e32 v1, 29, v1
	v_lshlrev_b64 v[4:5], v4, v[28:29]
	v_and_b32_e32 v28, 7, v4
; %bb.400:                              ;   in Loop: Header=BB235_16 Depth=1
	s_or_b32 exec_lo, exec_lo, s26
	v_mov_b32_e32 v2, 24
	v_lshlrev_b32_e32 v4, 20, v28
	v_lshl_add_u32 v1, v1, 23, 0x3c000000
	v_lshlrev_b32_sdwa v0, v2, v0 dst_sel:DWORD dst_unused:UNUSED_PAD src0_sel:DWORD src1_sel:BYTE_3
	v_and_b32_e32 v0, 0x80000000, v0
	v_or3_b32 v1, v4, v0, v1
	v_mov_b32_e32 v0, v29
	buffer_store_dword v0, off, s[0:3], s32 offset:516 ; 4-byte Folded Spill
	buffer_store_dword v1, off, s[0:3], s32 offset:520 ; 4-byte Folded Spill
.LBB235_401:                            ;   in Loop: Header=BB235_16 Depth=1
	s_or_b32 exec_lo, exec_lo, s25
.LBB235_402:                            ;   in Loop: Header=BB235_16 Depth=1
	s_or_b32 exec_lo, exec_lo, s24
.LBB235_403:                            ;   in Loop: Header=BB235_16 Depth=1
	s_or_b32 exec_lo, exec_lo, s23
	flat_load_dword v0, v[120:121] offset:1536
	v_mov_b32_e32 v1, 0
	v_mov_b32_e32 v2, 0
	buffer_store_dword v1, off, s[0:3], s32 offset:532 ; 4-byte Folded Spill
	buffer_store_dword v2, off, s[0:3], s32 offset:536 ; 4-byte Folded Spill
	v_mov_b32_e32 v1, 0
	v_mov_b32_e32 v2, 0
	buffer_store_dword v1, off, s[0:3], s32 offset:524 ; 4-byte Folded Spill
	buffer_store_dword v2, off, s[0:3], s32 offset:528 ; 4-byte Folded Spill
	s_waitcnt vmcnt(0) lgkmcnt(0)
	v_cmp_ne_u16_sdwa s5, v0, v29 src0_sel:BYTE_0 src1_sel:DWORD
	s_and_saveexec_b32 s23, s5
	s_cbranch_execz .LBB235_411
; %bb.404:                              ;   in Loop: Header=BB235_16 Depth=1
	v_bfrev_b32_e32 v1, 1
	v_mov_b32_e32 v2, 0
	buffer_store_dword v1, off, s[0:3], s32 offset:524 ; 4-byte Folded Spill
	buffer_store_dword v2, off, s[0:3], s32 offset:528 ; 4-byte Folded Spill
	v_mov_b32_e32 v1, 0x80
	v_cmp_ne_u16_sdwa s5, v0, v1 src0_sel:BYTE_0 src1_sel:DWORD
	s_and_saveexec_b32 s24, s5
	s_cbranch_execz .LBB235_410
; %bb.405:                              ;   in Loop: Header=BB235_16 Depth=1
	v_mov_b32_e32 v1, 0x7f800001
	v_and_b32_e32 v4, 0x7f, v0
	v_mov_b32_e32 v2, 0
	s_mov_b32 s25, exec_lo
	buffer_store_dword v1, off, s[0:3], s32 offset:524 ; 4-byte Folded Spill
	buffer_store_dword v2, off, s[0:3], s32 offset:528 ; 4-byte Folded Spill
	v_cmpx_ne_u32_e32 0x7f, v4
	s_cbranch_execz .LBB235_409
; %bb.406:                              ;   in Loop: Header=BB235_16 Depth=1
	v_and_b32_e32 v28, 7, v0
	v_lshrrev_b32_e32 v1, 3, v4
	s_mov_b32 s26, exec_lo
	v_cmpx_gt_u32_e32 8, v4
; %bb.407:                              ;   in Loop: Header=BB235_16 Depth=1
	v_ffbh_u32_e32 v1, v28
	v_min_u32_e32 v1, 32, v1
	v_subrev_nc_u32_e32 v4, 28, v1
	v_sub_nc_u32_e32 v1, 29, v1
	v_lshlrev_b64 v[4:5], v4, v[28:29]
	v_and_b32_e32 v28, 7, v4
; %bb.408:                              ;   in Loop: Header=BB235_16 Depth=1
	s_or_b32 exec_lo, exec_lo, s26
	v_lshlrev_b32_e32 v4, 24, v0
	v_lshlrev_b32_e32 v5, 20, v28
	v_lshl_add_u32 v1, v1, 23, 0x3c000000
	v_and_b32_e32 v4, 0x80000000, v4
	v_or3_b32 v28, v5, v4, v1
	buffer_store_dword v28, off, s[0:3], s32 offset:524 ; 4-byte Folded Spill
	buffer_store_dword v29, off, s[0:3], s32 offset:528 ; 4-byte Folded Spill
.LBB235_409:                            ;   in Loop: Header=BB235_16 Depth=1
	s_or_b32 exec_lo, exec_lo, s25
.LBB235_410:                            ;   in Loop: Header=BB235_16 Depth=1
	s_or_b32 exec_lo, exec_lo, s24
.LBB235_411:                            ;   in Loop: Header=BB235_16 Depth=1
	s_or_b32 exec_lo, exec_lo, s23
	v_cmp_ne_u16_sdwa s5, v0, v29 src0_sel:BYTE_1 src1_sel:DWORD
	s_and_saveexec_b32 s23, s5
	s_cbranch_execz .LBB235_419
; %bb.412:                              ;   in Loop: Header=BB235_16 Depth=1
	v_mov_b32_e32 v1, 0x80
	v_mov_b32_e32 v110, v29
	buffer_store_dword v110, off, s[0:3], s32 offset:532 ; 4-byte Folded Spill
	buffer_store_dword v111, off, s[0:3], s32 offset:536 ; 4-byte Folded Spill
	v_cmp_ne_u16_sdwa s5, v0, v1 src0_sel:BYTE_1 src1_sel:DWORD
	s_and_saveexec_b32 s24, s5
	s_cbranch_execz .LBB235_418
; %bb.413:                              ;   in Loop: Header=BB235_16 Depth=1
	v_mov_b32_e32 v1, 0xffff
	v_mov_b32_e32 v104, v29
	s_mov_b32 s25, exec_lo
	buffer_store_dword v104, off, s[0:3], s32 offset:532 ; 4-byte Folded Spill
	buffer_store_dword v105, off, s[0:3], s32 offset:536 ; 4-byte Folded Spill
	v_and_b32_sdwa v1, v1, v0 dst_sel:DWORD dst_unused:UNUSED_PAD src0_sel:DWORD src1_sel:BYTE_1
	v_and_b32_e32 v4, 0x7f, v1
	v_cmpx_ne_u32_e32 0x7f, v4
	s_cbranch_execz .LBB235_417
; %bb.414:                              ;   in Loop: Header=BB235_16 Depth=1
	v_and_b32_e32 v28, 7, v1
	v_lshrrev_b32_e32 v1, 3, v4
	s_mov_b32 s26, exec_lo
	v_cmpx_gt_u32_e32 8, v4
; %bb.415:                              ;   in Loop: Header=BB235_16 Depth=1
	v_ffbh_u32_e32 v1, v28
	v_min_u32_e32 v1, 32, v1
	v_subrev_nc_u32_e32 v4, 28, v1
	v_sub_nc_u32_e32 v1, 29, v1
	v_lshlrev_b64 v[4:5], v4, v[28:29]
	v_and_b32_e32 v28, 7, v4
; %bb.416:                              ;   in Loop: Header=BB235_16 Depth=1
	s_or_b32 exec_lo, exec_lo, s26
	v_lshlrev_b32_e32 v4, 16, v0
	v_lshlrev_b32_e32 v5, 20, v28
	v_lshl_add_u32 v1, v1, 23, 0x3c000000
	v_and_b32_e32 v4, 0x80000000, v4
	v_or3_b32 v2, v5, v4, v1
	v_mov_b32_e32 v1, v29
	buffer_store_dword v1, off, s[0:3], s32 offset:532 ; 4-byte Folded Spill
	buffer_store_dword v2, off, s[0:3], s32 offset:536 ; 4-byte Folded Spill
.LBB235_417:                            ;   in Loop: Header=BB235_16 Depth=1
	s_or_b32 exec_lo, exec_lo, s25
.LBB235_418:                            ;   in Loop: Header=BB235_16 Depth=1
	s_or_b32 exec_lo, exec_lo, s24
.LBB235_419:                            ;   in Loop: Header=BB235_16 Depth=1
	s_or_b32 exec_lo, exec_lo, s23
	v_mov_b32_e32 v2, 0
	v_mov_b32_e32 v3, 0
	;; [unrolled: 1-line block ×3, first 2 shown]
	s_mov_b32 s23, exec_lo
	buffer_store_dword v2, off, s[0:3], s32 offset:540 ; 4-byte Folded Spill
	buffer_store_dword v3, off, s[0:3], s32 offset:544 ; 4-byte Folded Spill
	v_mov_b32_e32 v2, 0
	v_and_b32_sdwa v1, v0, v1 dst_sel:DWORD dst_unused:UNUSED_PAD src0_sel:WORD_1 src1_sel:DWORD
	v_mov_b32_e32 v3, 0
	buffer_store_dword v2, off, s[0:3], s32 offset:676 ; 4-byte Folded Spill
	buffer_store_dword v3, off, s[0:3], s32 offset:680 ; 4-byte Folded Spill
	v_cmpx_ne_u16_e32 0, v1
	s_cbranch_execz .LBB235_427
; %bb.420:                              ;   in Loop: Header=BB235_16 Depth=1
	v_cmp_ne_u16_e64 s5, 0x80, v1
	v_bfrev_b32_e32 v1, 1
	v_mov_b32_e32 v2, 0
	s_and_saveexec_b32 s24, s5
	s_cbranch_execz .LBB235_426
; %bb.421:                              ;   in Loop: Header=BB235_16 Depth=1
	v_mov_b32_e32 v1, 0x7f800001
	v_bfe_u32 v4, v0, 16, 7
	v_mov_b32_e32 v2, 0
	s_mov_b32 s25, exec_lo
	v_cmpx_ne_u32_e32 0x7f, v4
	s_cbranch_execz .LBB235_425
; %bb.422:                              ;   in Loop: Header=BB235_16 Depth=1
	v_mov_b32_e32 v1, 7
	s_mov_b32 s26, exec_lo
	v_and_b32_sdwa v28, v0, v1 dst_sel:DWORD dst_unused:UNUSED_PAD src0_sel:WORD_1 src1_sel:DWORD
	v_lshrrev_b32_e32 v1, 3, v4
	v_cmpx_gt_u32_e32 8, v4
; %bb.423:                              ;   in Loop: Header=BB235_16 Depth=1
	v_ffbh_u32_e32 v1, v28
	v_min_u32_e32 v1, 32, v1
	v_subrev_nc_u32_e32 v4, 28, v1
	v_sub_nc_u32_e32 v1, 29, v1
	v_lshlrev_b64 v[4:5], v4, v[28:29]
	v_and_b32_e32 v28, 7, v4
; %bb.424:                              ;   in Loop: Header=BB235_16 Depth=1
	s_or_b32 exec_lo, exec_lo, s26
	v_mov_b32_e32 v2, 24
	v_lshlrev_b32_e32 v5, 20, v28
	v_lshl_add_u32 v1, v1, 23, 0x3c000000
	v_lshlrev_b32_sdwa v4, v2, v0 dst_sel:DWORD dst_unused:UNUSED_PAD src0_sel:DWORD src1_sel:WORD_1
	v_and_b32_e32 v4, 0x80000000, v4
	v_or3_b32 v28, v5, v4, v1
	v_mov_b32_e32 v1, v28
	v_mov_b32_e32 v2, v29
.LBB235_425:                            ;   in Loop: Header=BB235_16 Depth=1
	s_or_b32 exec_lo, exec_lo, s25
.LBB235_426:                            ;   in Loop: Header=BB235_16 Depth=1
	s_or_b32 exec_lo, exec_lo, s24
	buffer_store_dword v1, off, s[0:3], s32 offset:676 ; 4-byte Folded Spill
	buffer_store_dword v2, off, s[0:3], s32 offset:680 ; 4-byte Folded Spill
.LBB235_427:                            ;   in Loop: Header=BB235_16 Depth=1
	s_or_b32 exec_lo, exec_lo, s23
	s_mov_b32 s23, exec_lo
	v_cmpx_lt_u32_e32 0xffffff, v0
	s_cbranch_execz .LBB235_435
; %bb.428:                              ;   in Loop: Header=BB235_16 Depth=1
	v_mov_b32_e32 v1, 0x80
	v_mov_b32_e32 v110, v29
	buffer_store_dword v110, off, s[0:3], s32 offset:540 ; 4-byte Folded Spill
	buffer_store_dword v111, off, s[0:3], s32 offset:544 ; 4-byte Folded Spill
	v_cmp_ne_u32_sdwa s5, v0, v1 src0_sel:BYTE_3 src1_sel:DWORD
	s_and_saveexec_b32 s24, s5
	s_cbranch_execz .LBB235_434
; %bb.429:                              ;   in Loop: Header=BB235_16 Depth=1
	v_bfe_u32 v4, v0, 24, 7
	v_mov_b32_e32 v104, v29
	s_mov_b32 s25, exec_lo
	buffer_store_dword v104, off, s[0:3], s32 offset:540 ; 4-byte Folded Spill
	buffer_store_dword v105, off, s[0:3], s32 offset:544 ; 4-byte Folded Spill
	v_cmpx_ne_u32_e32 0x7f, v4
	s_cbranch_execz .LBB235_433
; %bb.430:                              ;   in Loop: Header=BB235_16 Depth=1
	v_mov_b32_e32 v1, 7
	s_mov_b32 s26, exec_lo
	v_and_b32_sdwa v28, v0, v1 dst_sel:DWORD dst_unused:UNUSED_PAD src0_sel:BYTE_3 src1_sel:DWORD
	v_lshrrev_b32_e32 v1, 3, v4
	v_cmpx_gt_u32_e32 8, v4
; %bb.431:                              ;   in Loop: Header=BB235_16 Depth=1
	v_ffbh_u32_e32 v1, v28
	v_min_u32_e32 v1, 32, v1
	v_subrev_nc_u32_e32 v4, 28, v1
	v_sub_nc_u32_e32 v1, 29, v1
	v_lshlrev_b64 v[4:5], v4, v[28:29]
	v_and_b32_e32 v28, 7, v4
; %bb.432:                              ;   in Loop: Header=BB235_16 Depth=1
	s_or_b32 exec_lo, exec_lo, s26
	v_mov_b32_e32 v2, 24
	v_lshlrev_b32_e32 v4, 20, v28
	v_lshl_add_u32 v1, v1, 23, 0x3c000000
	v_lshlrev_b32_sdwa v0, v2, v0 dst_sel:DWORD dst_unused:UNUSED_PAD src0_sel:DWORD src1_sel:BYTE_3
	v_and_b32_e32 v0, 0x80000000, v0
	v_or3_b32 v1, v4, v0, v1
	v_mov_b32_e32 v0, v29
	buffer_store_dword v0, off, s[0:3], s32 offset:540 ; 4-byte Folded Spill
	buffer_store_dword v1, off, s[0:3], s32 offset:544 ; 4-byte Folded Spill
.LBB235_433:                            ;   in Loop: Header=BB235_16 Depth=1
	s_or_b32 exec_lo, exec_lo, s25
.LBB235_434:                            ;   in Loop: Header=BB235_16 Depth=1
	s_or_b32 exec_lo, exec_lo, s24
.LBB235_435:                            ;   in Loop: Header=BB235_16 Depth=1
	s_or_b32 exec_lo, exec_lo, s23
	flat_load_dword v0, v[120:121] offset:1540
	v_mov_b32_e32 v1, 0
	v_mov_b32_e32 v2, 0
	buffer_store_dword v1, off, s[0:3], s32 offset:556 ; 4-byte Folded Spill
	buffer_store_dword v2, off, s[0:3], s32 offset:560 ; 4-byte Folded Spill
	v_mov_b32_e32 v1, 0
	v_mov_b32_e32 v2, 0
	buffer_store_dword v1, off, s[0:3], s32 offset:548 ; 4-byte Folded Spill
	buffer_store_dword v2, off, s[0:3], s32 offset:552 ; 4-byte Folded Spill
	s_waitcnt vmcnt(0) lgkmcnt(0)
	v_cmp_ne_u16_sdwa s5, v0, v29 src0_sel:BYTE_0 src1_sel:DWORD
	s_and_saveexec_b32 s23, s5
	s_cbranch_execz .LBB235_443
; %bb.436:                              ;   in Loop: Header=BB235_16 Depth=1
	v_bfrev_b32_e32 v1, 1
	v_mov_b32_e32 v2, 0
	buffer_store_dword v1, off, s[0:3], s32 offset:548 ; 4-byte Folded Spill
	buffer_store_dword v2, off, s[0:3], s32 offset:552 ; 4-byte Folded Spill
	v_mov_b32_e32 v1, 0x80
	v_cmp_ne_u16_sdwa s5, v0, v1 src0_sel:BYTE_0 src1_sel:DWORD
	s_and_saveexec_b32 s24, s5
	s_cbranch_execz .LBB235_442
; %bb.437:                              ;   in Loop: Header=BB235_16 Depth=1
	v_mov_b32_e32 v1, 0x7f800001
	v_and_b32_e32 v4, 0x7f, v0
	v_mov_b32_e32 v2, 0
	s_mov_b32 s25, exec_lo
	buffer_store_dword v1, off, s[0:3], s32 offset:548 ; 4-byte Folded Spill
	buffer_store_dword v2, off, s[0:3], s32 offset:552 ; 4-byte Folded Spill
	v_cmpx_ne_u32_e32 0x7f, v4
	s_cbranch_execz .LBB235_441
; %bb.438:                              ;   in Loop: Header=BB235_16 Depth=1
	v_and_b32_e32 v28, 7, v0
	v_lshrrev_b32_e32 v1, 3, v4
	s_mov_b32 s26, exec_lo
	v_cmpx_gt_u32_e32 8, v4
; %bb.439:                              ;   in Loop: Header=BB235_16 Depth=1
	v_ffbh_u32_e32 v1, v28
	v_min_u32_e32 v1, 32, v1
	v_subrev_nc_u32_e32 v4, 28, v1
	v_sub_nc_u32_e32 v1, 29, v1
	v_lshlrev_b64 v[4:5], v4, v[28:29]
	v_and_b32_e32 v28, 7, v4
; %bb.440:                              ;   in Loop: Header=BB235_16 Depth=1
	s_or_b32 exec_lo, exec_lo, s26
	v_lshlrev_b32_e32 v4, 24, v0
	v_lshlrev_b32_e32 v5, 20, v28
	v_lshl_add_u32 v1, v1, 23, 0x3c000000
	v_and_b32_e32 v4, 0x80000000, v4
	v_or3_b32 v28, v5, v4, v1
	buffer_store_dword v28, off, s[0:3], s32 offset:548 ; 4-byte Folded Spill
	buffer_store_dword v29, off, s[0:3], s32 offset:552 ; 4-byte Folded Spill
.LBB235_441:                            ;   in Loop: Header=BB235_16 Depth=1
	s_or_b32 exec_lo, exec_lo, s25
.LBB235_442:                            ;   in Loop: Header=BB235_16 Depth=1
	s_or_b32 exec_lo, exec_lo, s24
.LBB235_443:                            ;   in Loop: Header=BB235_16 Depth=1
	s_or_b32 exec_lo, exec_lo, s23
	v_cmp_ne_u16_sdwa s5, v0, v29 src0_sel:BYTE_1 src1_sel:DWORD
	s_and_saveexec_b32 s23, s5
	s_cbranch_execz .LBB235_451
; %bb.444:                              ;   in Loop: Header=BB235_16 Depth=1
	v_mov_b32_e32 v1, 0x80
	v_mov_b32_e32 v110, v29
	buffer_store_dword v110, off, s[0:3], s32 offset:556 ; 4-byte Folded Spill
	buffer_store_dword v111, off, s[0:3], s32 offset:560 ; 4-byte Folded Spill
	v_cmp_ne_u16_sdwa s5, v0, v1 src0_sel:BYTE_1 src1_sel:DWORD
	s_and_saveexec_b32 s24, s5
	s_cbranch_execz .LBB235_450
; %bb.445:                              ;   in Loop: Header=BB235_16 Depth=1
	v_mov_b32_e32 v1, 0xffff
	v_mov_b32_e32 v104, v29
	s_mov_b32 s25, exec_lo
	buffer_store_dword v104, off, s[0:3], s32 offset:556 ; 4-byte Folded Spill
	buffer_store_dword v105, off, s[0:3], s32 offset:560 ; 4-byte Folded Spill
	v_and_b32_sdwa v1, v1, v0 dst_sel:DWORD dst_unused:UNUSED_PAD src0_sel:DWORD src1_sel:BYTE_1
	v_and_b32_e32 v4, 0x7f, v1
	v_cmpx_ne_u32_e32 0x7f, v4
	s_cbranch_execz .LBB235_449
; %bb.446:                              ;   in Loop: Header=BB235_16 Depth=1
	v_and_b32_e32 v28, 7, v1
	v_lshrrev_b32_e32 v1, 3, v4
	s_mov_b32 s26, exec_lo
	v_cmpx_gt_u32_e32 8, v4
; %bb.447:                              ;   in Loop: Header=BB235_16 Depth=1
	v_ffbh_u32_e32 v1, v28
	v_min_u32_e32 v1, 32, v1
	v_subrev_nc_u32_e32 v4, 28, v1
	v_sub_nc_u32_e32 v1, 29, v1
	v_lshlrev_b64 v[4:5], v4, v[28:29]
	v_and_b32_e32 v28, 7, v4
; %bb.448:                              ;   in Loop: Header=BB235_16 Depth=1
	s_or_b32 exec_lo, exec_lo, s26
	v_lshlrev_b32_e32 v4, 16, v0
	v_lshlrev_b32_e32 v5, 20, v28
	v_lshl_add_u32 v1, v1, 23, 0x3c000000
	v_and_b32_e32 v4, 0x80000000, v4
	v_or3_b32 v2, v5, v4, v1
	v_mov_b32_e32 v1, v29
	buffer_store_dword v1, off, s[0:3], s32 offset:556 ; 4-byte Folded Spill
	buffer_store_dword v2, off, s[0:3], s32 offset:560 ; 4-byte Folded Spill
.LBB235_449:                            ;   in Loop: Header=BB235_16 Depth=1
	s_or_b32 exec_lo, exec_lo, s25
.LBB235_450:                            ;   in Loop: Header=BB235_16 Depth=1
	s_or_b32 exec_lo, exec_lo, s24
.LBB235_451:                            ;   in Loop: Header=BB235_16 Depth=1
	s_or_b32 exec_lo, exec_lo, s23
	v_mov_b32_e32 v2, 0
	v_mov_b32_e32 v3, 0
	;; [unrolled: 1-line block ×3, first 2 shown]
	s_mov_b32 s23, exec_lo
	buffer_store_dword v2, off, s[0:3], s32 offset:564 ; 4-byte Folded Spill
	buffer_store_dword v3, off, s[0:3], s32 offset:568 ; 4-byte Folded Spill
	v_mov_b32_e32 v2, 0
	v_and_b32_sdwa v1, v0, v1 dst_sel:DWORD dst_unused:UNUSED_PAD src0_sel:WORD_1 src1_sel:DWORD
	v_mov_b32_e32 v3, 0
	buffer_store_dword v2, off, s[0:3], s32 offset:684 ; 4-byte Folded Spill
	buffer_store_dword v3, off, s[0:3], s32 offset:688 ; 4-byte Folded Spill
	v_cmpx_ne_u16_e32 0, v1
	s_cbranch_execz .LBB235_459
; %bb.452:                              ;   in Loop: Header=BB235_16 Depth=1
	v_cmp_ne_u16_e64 s5, 0x80, v1
	v_bfrev_b32_e32 v1, 1
	v_mov_b32_e32 v2, 0
	s_and_saveexec_b32 s24, s5
	s_cbranch_execz .LBB235_458
; %bb.453:                              ;   in Loop: Header=BB235_16 Depth=1
	v_mov_b32_e32 v1, 0x7f800001
	v_bfe_u32 v4, v0, 16, 7
	v_mov_b32_e32 v2, 0
	s_mov_b32 s25, exec_lo
	v_cmpx_ne_u32_e32 0x7f, v4
	s_cbranch_execz .LBB235_457
; %bb.454:                              ;   in Loop: Header=BB235_16 Depth=1
	v_mov_b32_e32 v1, 7
	s_mov_b32 s26, exec_lo
	v_and_b32_sdwa v28, v0, v1 dst_sel:DWORD dst_unused:UNUSED_PAD src0_sel:WORD_1 src1_sel:DWORD
	v_lshrrev_b32_e32 v1, 3, v4
	v_cmpx_gt_u32_e32 8, v4
; %bb.455:                              ;   in Loop: Header=BB235_16 Depth=1
	v_ffbh_u32_e32 v1, v28
	v_min_u32_e32 v1, 32, v1
	v_subrev_nc_u32_e32 v4, 28, v1
	v_sub_nc_u32_e32 v1, 29, v1
	v_lshlrev_b64 v[4:5], v4, v[28:29]
	v_and_b32_e32 v28, 7, v4
; %bb.456:                              ;   in Loop: Header=BB235_16 Depth=1
	s_or_b32 exec_lo, exec_lo, s26
	v_mov_b32_e32 v2, 24
	v_lshlrev_b32_e32 v5, 20, v28
	v_lshl_add_u32 v1, v1, 23, 0x3c000000
	v_lshlrev_b32_sdwa v4, v2, v0 dst_sel:DWORD dst_unused:UNUSED_PAD src0_sel:DWORD src1_sel:WORD_1
	v_and_b32_e32 v4, 0x80000000, v4
	v_or3_b32 v28, v5, v4, v1
	v_mov_b32_e32 v1, v28
	v_mov_b32_e32 v2, v29
.LBB235_457:                            ;   in Loop: Header=BB235_16 Depth=1
	s_or_b32 exec_lo, exec_lo, s25
.LBB235_458:                            ;   in Loop: Header=BB235_16 Depth=1
	s_or_b32 exec_lo, exec_lo, s24
	buffer_store_dword v1, off, s[0:3], s32 offset:684 ; 4-byte Folded Spill
	buffer_store_dword v2, off, s[0:3], s32 offset:688 ; 4-byte Folded Spill
.LBB235_459:                            ;   in Loop: Header=BB235_16 Depth=1
	s_or_b32 exec_lo, exec_lo, s23
	s_mov_b32 s23, exec_lo
	v_cmpx_lt_u32_e32 0xffffff, v0
	s_cbranch_execz .LBB235_467
; %bb.460:                              ;   in Loop: Header=BB235_16 Depth=1
	v_mov_b32_e32 v1, 0x80
	v_mov_b32_e32 v110, v29
	buffer_store_dword v110, off, s[0:3], s32 offset:564 ; 4-byte Folded Spill
	buffer_store_dword v111, off, s[0:3], s32 offset:568 ; 4-byte Folded Spill
	v_cmp_ne_u32_sdwa s5, v0, v1 src0_sel:BYTE_3 src1_sel:DWORD
	s_and_saveexec_b32 s24, s5
	s_cbranch_execz .LBB235_466
; %bb.461:                              ;   in Loop: Header=BB235_16 Depth=1
	v_bfe_u32 v4, v0, 24, 7
	v_mov_b32_e32 v104, v29
	s_mov_b32 s25, exec_lo
	buffer_store_dword v104, off, s[0:3], s32 offset:564 ; 4-byte Folded Spill
	buffer_store_dword v105, off, s[0:3], s32 offset:568 ; 4-byte Folded Spill
	v_cmpx_ne_u32_e32 0x7f, v4
	s_cbranch_execz .LBB235_465
; %bb.462:                              ;   in Loop: Header=BB235_16 Depth=1
	v_mov_b32_e32 v1, 7
	s_mov_b32 s26, exec_lo
	v_and_b32_sdwa v28, v0, v1 dst_sel:DWORD dst_unused:UNUSED_PAD src0_sel:BYTE_3 src1_sel:DWORD
	v_lshrrev_b32_e32 v1, 3, v4
	v_cmpx_gt_u32_e32 8, v4
; %bb.463:                              ;   in Loop: Header=BB235_16 Depth=1
	v_ffbh_u32_e32 v1, v28
	v_min_u32_e32 v1, 32, v1
	v_subrev_nc_u32_e32 v4, 28, v1
	v_sub_nc_u32_e32 v1, 29, v1
	v_lshlrev_b64 v[4:5], v4, v[28:29]
	v_and_b32_e32 v28, 7, v4
; %bb.464:                              ;   in Loop: Header=BB235_16 Depth=1
	s_or_b32 exec_lo, exec_lo, s26
	v_mov_b32_e32 v2, 24
	v_lshlrev_b32_e32 v4, 20, v28
	v_lshl_add_u32 v1, v1, 23, 0x3c000000
	v_lshlrev_b32_sdwa v0, v2, v0 dst_sel:DWORD dst_unused:UNUSED_PAD src0_sel:DWORD src1_sel:BYTE_3
	v_and_b32_e32 v0, 0x80000000, v0
	v_or3_b32 v1, v4, v0, v1
	v_mov_b32_e32 v0, v29
	buffer_store_dword v0, off, s[0:3], s32 offset:564 ; 4-byte Folded Spill
	buffer_store_dword v1, off, s[0:3], s32 offset:568 ; 4-byte Folded Spill
.LBB235_465:                            ;   in Loop: Header=BB235_16 Depth=1
	s_or_b32 exec_lo, exec_lo, s25
.LBB235_466:                            ;   in Loop: Header=BB235_16 Depth=1
	s_or_b32 exec_lo, exec_lo, s24
.LBB235_467:                            ;   in Loop: Header=BB235_16 Depth=1
	s_or_b32 exec_lo, exec_lo, s23
	flat_load_dword v0, v[120:121] offset:1544
	v_mov_b32_e32 v4, 0
	v_mov_b32_e32 v1, 0
	;; [unrolled: 1-line block ×4, first 2 shown]
	buffer_store_dword v1, off, s[0:3], s32 offset:572 ; 4-byte Folded Spill
	buffer_store_dword v2, off, s[0:3], s32 offset:576 ; 4-byte Folded Spill
	s_waitcnt vmcnt(0) lgkmcnt(0)
	v_cmp_ne_u16_sdwa s5, v0, v29 src0_sel:BYTE_0 src1_sel:DWORD
	s_and_saveexec_b32 s23, s5
	s_cbranch_execz .LBB235_475
; %bb.468:                              ;   in Loop: Header=BB235_16 Depth=1
	v_bfrev_b32_e32 v1, 1
	v_mov_b32_e32 v2, 0
	buffer_store_dword v1, off, s[0:3], s32 offset:572 ; 4-byte Folded Spill
	buffer_store_dword v2, off, s[0:3], s32 offset:576 ; 4-byte Folded Spill
	v_mov_b32_e32 v1, 0x80
	v_cmp_ne_u16_sdwa s5, v0, v1 src0_sel:BYTE_0 src1_sel:DWORD
	s_and_saveexec_b32 s24, s5
	s_cbranch_execz .LBB235_474
; %bb.469:                              ;   in Loop: Header=BB235_16 Depth=1
	v_mov_b32_e32 v1, 0x7f800001
	v_and_b32_e32 v8, 0x7f, v0
	v_mov_b32_e32 v2, 0
	s_mov_b32 s25, exec_lo
	buffer_store_dword v1, off, s[0:3], s32 offset:572 ; 4-byte Folded Spill
	buffer_store_dword v2, off, s[0:3], s32 offset:576 ; 4-byte Folded Spill
	v_cmpx_ne_u32_e32 0x7f, v8
	s_cbranch_execz .LBB235_473
; %bb.470:                              ;   in Loop: Header=BB235_16 Depth=1
	v_and_b32_e32 v28, 7, v0
	v_lshrrev_b32_e32 v1, 3, v8
	s_mov_b32 s26, exec_lo
	v_cmpx_gt_u32_e32 8, v8
; %bb.471:                              ;   in Loop: Header=BB235_16 Depth=1
	v_ffbh_u32_e32 v1, v28
	v_min_u32_e32 v1, 32, v1
	v_subrev_nc_u32_e32 v8, 28, v1
	v_sub_nc_u32_e32 v1, 29, v1
	v_lshlrev_b64 v[8:9], v8, v[28:29]
	v_and_b32_e32 v28, 7, v8
; %bb.472:                              ;   in Loop: Header=BB235_16 Depth=1
	s_or_b32 exec_lo, exec_lo, s26
	v_lshlrev_b32_e32 v8, 24, v0
	v_lshlrev_b32_e32 v9, 20, v28
	v_lshl_add_u32 v1, v1, 23, 0x3c000000
	v_and_b32_e32 v8, 0x80000000, v8
	v_or3_b32 v28, v9, v8, v1
	buffer_store_dword v28, off, s[0:3], s32 offset:572 ; 4-byte Folded Spill
	buffer_store_dword v29, off, s[0:3], s32 offset:576 ; 4-byte Folded Spill
.LBB235_473:                            ;   in Loop: Header=BB235_16 Depth=1
	s_or_b32 exec_lo, exec_lo, s25
.LBB235_474:                            ;   in Loop: Header=BB235_16 Depth=1
	s_or_b32 exec_lo, exec_lo, s24
.LBB235_475:                            ;   in Loop: Header=BB235_16 Depth=1
	s_or_b32 exec_lo, exec_lo, s23
	v_cmp_ne_u16_sdwa s5, v0, v29 src0_sel:BYTE_1 src1_sel:DWORD
	s_and_saveexec_b32 s23, s5
	s_cbranch_execz .LBB235_483
; %bb.476:                              ;   in Loop: Header=BB235_16 Depth=1
	v_mov_b32_e32 v110, v29
	v_mov_b32_e32 v1, 0x80
	;; [unrolled: 1-line block ×3, first 2 shown]
	v_cmp_ne_u16_sdwa s5, v0, v1 src0_sel:BYTE_1 src1_sel:DWORD
	v_mov_b32_e32 v5, v111
	s_and_saveexec_b32 s24, s5
	s_cbranch_execz .LBB235_482
; %bb.477:                              ;   in Loop: Header=BB235_16 Depth=1
	v_mov_b32_e32 v1, 0xffff
	v_mov_b32_e32 v104, v29
	s_mov_b32 s25, exec_lo
	v_and_b32_sdwa v1, v1, v0 dst_sel:DWORD dst_unused:UNUSED_PAD src0_sel:DWORD src1_sel:BYTE_1
	v_mov_b32_e32 v4, v104
	v_mov_b32_e32 v5, v105
	v_and_b32_e32 v8, 0x7f, v1
	v_cmpx_ne_u32_e32 0x7f, v8
	s_cbranch_execz .LBB235_481
; %bb.478:                              ;   in Loop: Header=BB235_16 Depth=1
	v_and_b32_e32 v28, 7, v1
	v_lshrrev_b32_e32 v1, 3, v8
	s_mov_b32 s26, exec_lo
	v_cmpx_gt_u32_e32 8, v8
; %bb.479:                              ;   in Loop: Header=BB235_16 Depth=1
	v_ffbh_u32_e32 v1, v28
	v_min_u32_e32 v1, 32, v1
	v_subrev_nc_u32_e32 v4, 28, v1
	v_sub_nc_u32_e32 v1, 29, v1
	v_lshlrev_b64 v[4:5], v4, v[28:29]
	v_and_b32_e32 v28, 7, v4
; %bb.480:                              ;   in Loop: Header=BB235_16 Depth=1
	s_or_b32 exec_lo, exec_lo, s26
	v_lshlrev_b32_e32 v4, 16, v0
	v_lshlrev_b32_e32 v5, 20, v28
	v_lshl_add_u32 v1, v1, 23, 0x3c000000
	v_and_b32_e32 v4, 0x80000000, v4
	v_or3_b32 v5, v5, v4, v1
	v_mov_b32_e32 v4, v29
.LBB235_481:                            ;   in Loop: Header=BB235_16 Depth=1
	s_or_b32 exec_lo, exec_lo, s25
.LBB235_482:                            ;   in Loop: Header=BB235_16 Depth=1
	s_or_b32 exec_lo, exec_lo, s24
.LBB235_483:                            ;   in Loop: Header=BB235_16 Depth=1
	s_or_b32 exec_lo, exec_lo, s23
	v_mov_b32_e32 v1, 0xff
	v_mov_b32_e32 v12, 0
	;; [unrolled: 1-line block ×5, first 2 shown]
	v_and_b32_sdwa v1, v0, v1 dst_sel:DWORD dst_unused:UNUSED_PAD src0_sel:WORD_1 src1_sel:DWORD
	s_mov_b32 s23, exec_lo
	buffer_store_dword v2, off, s[0:3], s32 offset:692 ; 4-byte Folded Spill
	buffer_store_dword v3, off, s[0:3], s32 offset:696 ; 4-byte Folded Spill
	v_cmpx_ne_u16_e32 0, v1
	s_cbranch_execz .LBB235_491
; %bb.484:                              ;   in Loop: Header=BB235_16 Depth=1
	v_cmp_ne_u16_e64 s5, 0x80, v1
	v_bfrev_b32_e32 v1, 1
	v_mov_b32_e32 v2, 0
	s_and_saveexec_b32 s24, s5
	s_cbranch_execz .LBB235_490
; %bb.485:                              ;   in Loop: Header=BB235_16 Depth=1
	v_mov_b32_e32 v1, 0x7f800001
	v_bfe_u32 v8, v0, 16, 7
	v_mov_b32_e32 v2, 0
	s_mov_b32 s25, exec_lo
	v_cmpx_ne_u32_e32 0x7f, v8
	s_cbranch_execz .LBB235_489
; %bb.486:                              ;   in Loop: Header=BB235_16 Depth=1
	v_mov_b32_e32 v1, 7
	s_mov_b32 s26, exec_lo
	v_and_b32_sdwa v28, v0, v1 dst_sel:DWORD dst_unused:UNUSED_PAD src0_sel:WORD_1 src1_sel:DWORD
	v_lshrrev_b32_e32 v1, 3, v8
	v_cmpx_gt_u32_e32 8, v8
; %bb.487:                              ;   in Loop: Header=BB235_16 Depth=1
	v_ffbh_u32_e32 v1, v28
	v_min_u32_e32 v1, 32, v1
	v_subrev_nc_u32_e32 v8, 28, v1
	v_sub_nc_u32_e32 v1, 29, v1
	v_lshlrev_b64 v[8:9], v8, v[28:29]
	v_and_b32_e32 v28, 7, v8
; %bb.488:                              ;   in Loop: Header=BB235_16 Depth=1
	s_or_b32 exec_lo, exec_lo, s26
	v_mov_b32_e32 v2, 24
	v_lshlrev_b32_e32 v9, 20, v28
	v_lshl_add_u32 v1, v1, 23, 0x3c000000
	v_lshlrev_b32_sdwa v8, v2, v0 dst_sel:DWORD dst_unused:UNUSED_PAD src0_sel:DWORD src1_sel:WORD_1
	v_and_b32_e32 v8, 0x80000000, v8
	v_or3_b32 v28, v9, v8, v1
	v_mov_b32_e32 v1, v28
	v_mov_b32_e32 v2, v29
.LBB235_489:                            ;   in Loop: Header=BB235_16 Depth=1
	s_or_b32 exec_lo, exec_lo, s25
.LBB235_490:                            ;   in Loop: Header=BB235_16 Depth=1
	s_or_b32 exec_lo, exec_lo, s24
	buffer_store_dword v1, off, s[0:3], s32 offset:692 ; 4-byte Folded Spill
	buffer_store_dword v2, off, s[0:3], s32 offset:696 ; 4-byte Folded Spill
.LBB235_491:                            ;   in Loop: Header=BB235_16 Depth=1
	s_or_b32 exec_lo, exec_lo, s23
	s_mov_b32 s23, exec_lo
	v_cmpx_lt_u32_e32 0xffffff, v0
	s_cbranch_execz .LBB235_499
; %bb.492:                              ;   in Loop: Header=BB235_16 Depth=1
	v_mov_b32_e32 v110, v29
	v_mov_b32_e32 v1, 0x80
	v_mov_b32_e32 v12, v110
	v_cmp_ne_u32_sdwa s5, v0, v1 src0_sel:BYTE_3 src1_sel:DWORD
	v_mov_b32_e32 v13, v111
	s_and_saveexec_b32 s24, s5
	s_cbranch_execz .LBB235_498
; %bb.493:                              ;   in Loop: Header=BB235_16 Depth=1
	v_mov_b32_e32 v104, v29
	v_bfe_u32 v8, v0, 24, 7
	s_mov_b32 s25, exec_lo
	v_mov_b32_e32 v12, v104
	v_mov_b32_e32 v13, v105
	v_cmpx_ne_u32_e32 0x7f, v8
	s_cbranch_execz .LBB235_497
; %bb.494:                              ;   in Loop: Header=BB235_16 Depth=1
	v_mov_b32_e32 v1, 7
	s_mov_b32 s26, exec_lo
	v_and_b32_sdwa v28, v0, v1 dst_sel:DWORD dst_unused:UNUSED_PAD src0_sel:BYTE_3 src1_sel:DWORD
	v_lshrrev_b32_e32 v1, 3, v8
	v_cmpx_gt_u32_e32 8, v8
; %bb.495:                              ;   in Loop: Header=BB235_16 Depth=1
	v_ffbh_u32_e32 v1, v28
	v_min_u32_e32 v1, 32, v1
	v_subrev_nc_u32_e32 v8, 28, v1
	v_sub_nc_u32_e32 v1, 29, v1
	v_lshlrev_b64 v[8:9], v8, v[28:29]
	v_and_b32_e32 v28, 7, v8
; %bb.496:                              ;   in Loop: Header=BB235_16 Depth=1
	s_or_b32 exec_lo, exec_lo, s26
	v_mov_b32_e32 v2, 24
	v_lshlrev_b32_e32 v8, 20, v28
	v_lshl_add_u32 v1, v1, 23, 0x3c000000
	v_mov_b32_e32 v12, v29
	v_lshlrev_b32_sdwa v0, v2, v0 dst_sel:DWORD dst_unused:UNUSED_PAD src0_sel:DWORD src1_sel:BYTE_3
	v_and_b32_e32 v0, 0x80000000, v0
	v_or3_b32 v13, v8, v0, v1
.LBB235_497:                            ;   in Loop: Header=BB235_16 Depth=1
	s_or_b32 exec_lo, exec_lo, s25
.LBB235_498:                            ;   in Loop: Header=BB235_16 Depth=1
	s_or_b32 exec_lo, exec_lo, s24
.LBB235_499:                            ;   in Loop: Header=BB235_16 Depth=1
	s_or_b32 exec_lo, exec_lo, s23
	flat_load_dword v0, v[120:121] offset:1548
	v_mov_b32_e32 v34, 0
	v_mov_b32_e32 v32, 0
	;; [unrolled: 1-line block ×4, first 2 shown]
	s_waitcnt vmcnt(0) lgkmcnt(0)
	v_cmp_ne_u16_sdwa s5, v0, v29 src0_sel:BYTE_0 src1_sel:DWORD
	s_and_saveexec_b32 s23, s5
	s_cbranch_execz .LBB235_507
; %bb.500:                              ;   in Loop: Header=BB235_16 Depth=1
	v_mov_b32_e32 v1, 0x80
	v_bfrev_b32_e32 v32, 1
	v_mov_b32_e32 v33, 0
	v_cmp_ne_u16_sdwa s5, v0, v1 src0_sel:BYTE_0 src1_sel:DWORD
	s_and_saveexec_b32 s24, s5
	s_cbranch_execz .LBB235_506
; %bb.501:                              ;   in Loop: Header=BB235_16 Depth=1
	v_mov_b32_e32 v32, 0x7f800001
	v_and_b32_e32 v8, 0x7f, v0
	v_mov_b32_e32 v33, 0
	s_mov_b32 s25, exec_lo
	v_cmpx_ne_u32_e32 0x7f, v8
	s_cbranch_execz .LBB235_505
; %bb.502:                              ;   in Loop: Header=BB235_16 Depth=1
	v_and_b32_e32 v28, 7, v0
	v_lshrrev_b32_e32 v1, 3, v8
	s_mov_b32 s26, exec_lo
	v_cmpx_gt_u32_e32 8, v8
; %bb.503:                              ;   in Loop: Header=BB235_16 Depth=1
	v_ffbh_u32_e32 v1, v28
	v_min_u32_e32 v1, 32, v1
	v_subrev_nc_u32_e32 v8, 28, v1
	v_sub_nc_u32_e32 v1, 29, v1
	v_lshlrev_b64 v[8:9], v8, v[28:29]
	v_and_b32_e32 v28, 7, v8
; %bb.504:                              ;   in Loop: Header=BB235_16 Depth=1
	s_or_b32 exec_lo, exec_lo, s26
	v_lshlrev_b32_e32 v8, 24, v0
	v_lshlrev_b32_e32 v9, 20, v28
	v_lshl_add_u32 v1, v1, 23, 0x3c000000
	v_and_b32_e32 v8, 0x80000000, v8
	v_or3_b32 v28, v9, v8, v1
	v_mov_b32_e32 v33, v29
	v_mov_b32_e32 v32, v28
.LBB235_505:                            ;   in Loop: Header=BB235_16 Depth=1
	s_or_b32 exec_lo, exec_lo, s25
.LBB235_506:                            ;   in Loop: Header=BB235_16 Depth=1
	s_or_b32 exec_lo, exec_lo, s24
.LBB235_507:                            ;   in Loop: Header=BB235_16 Depth=1
	s_or_b32 exec_lo, exec_lo, s23
	v_cmp_ne_u16_sdwa s5, v0, v29 src0_sel:BYTE_1 src1_sel:DWORD
	s_and_saveexec_b32 s23, s5
	s_cbranch_execz .LBB235_515
; %bb.508:                              ;   in Loop: Header=BB235_16 Depth=1
	v_mov_b32_e32 v110, v29
	v_mov_b32_e32 v1, 0x80
	;; [unrolled: 1-line block ×3, first 2 shown]
	v_cmp_ne_u16_sdwa s5, v0, v1 src0_sel:BYTE_1 src1_sel:DWORD
	v_mov_b32_e32 v35, v111
	s_and_saveexec_b32 s24, s5
	s_cbranch_execz .LBB235_514
; %bb.509:                              ;   in Loop: Header=BB235_16 Depth=1
	v_mov_b32_e32 v1, 0xffff
	v_mov_b32_e32 v104, v29
	s_mov_b32 s25, exec_lo
	v_and_b32_sdwa v1, v1, v0 dst_sel:DWORD dst_unused:UNUSED_PAD src0_sel:DWORD src1_sel:BYTE_1
	v_mov_b32_e32 v34, v104
	v_mov_b32_e32 v35, v105
	v_and_b32_e32 v8, 0x7f, v1
	v_cmpx_ne_u32_e32 0x7f, v8
	s_cbranch_execz .LBB235_513
; %bb.510:                              ;   in Loop: Header=BB235_16 Depth=1
	v_and_b32_e32 v28, 7, v1
	v_lshrrev_b32_e32 v1, 3, v8
	s_mov_b32 s26, exec_lo
	v_cmpx_gt_u32_e32 8, v8
; %bb.511:                              ;   in Loop: Header=BB235_16 Depth=1
	v_ffbh_u32_e32 v1, v28
	v_min_u32_e32 v1, 32, v1
	v_subrev_nc_u32_e32 v8, 28, v1
	v_sub_nc_u32_e32 v1, 29, v1
	v_lshlrev_b64 v[8:9], v8, v[28:29]
	v_and_b32_e32 v28, 7, v8
; %bb.512:                              ;   in Loop: Header=BB235_16 Depth=1
	s_or_b32 exec_lo, exec_lo, s26
	v_lshlrev_b32_e32 v8, 16, v0
	v_lshlrev_b32_e32 v9, 20, v28
	v_lshl_add_u32 v1, v1, 23, 0x3c000000
	v_mov_b32_e32 v34, v29
	v_and_b32_e32 v8, 0x80000000, v8
	v_or3_b32 v35, v9, v8, v1
.LBB235_513:                            ;   in Loop: Header=BB235_16 Depth=1
	s_or_b32 exec_lo, exec_lo, s25
.LBB235_514:                            ;   in Loop: Header=BB235_16 Depth=1
	s_or_b32 exec_lo, exec_lo, s24
.LBB235_515:                            ;   in Loop: Header=BB235_16 Depth=1
	s_or_b32 exec_lo, exec_lo, s23
	v_mov_b32_e32 v1, 0xff
	v_mov_b32_e32 v24, 0
	;; [unrolled: 1-line block ×5, first 2 shown]
	v_and_b32_sdwa v1, v0, v1 dst_sel:DWORD dst_unused:UNUSED_PAD src0_sel:WORD_1 src1_sel:DWORD
	s_mov_b32 s23, exec_lo
	v_cmpx_ne_u16_e32 0, v1
	s_cbranch_execz .LBB235_523
; %bb.516:                              ;   in Loop: Header=BB235_16 Depth=1
	v_bfrev_b32_e32 v36, 1
	v_mov_b32_e32 v37, 0
	s_mov_b32 s24, exec_lo
	v_cmpx_ne_u16_e32 0x80, v1
	s_cbranch_execz .LBB235_522
; %bb.517:                              ;   in Loop: Header=BB235_16 Depth=1
	v_mov_b32_e32 v36, 0x7f800001
	v_bfe_u32 v8, v0, 16, 7
	v_mov_b32_e32 v37, 0
	s_mov_b32 s25, exec_lo
	v_cmpx_ne_u32_e32 0x7f, v8
	s_cbranch_execz .LBB235_521
; %bb.518:                              ;   in Loop: Header=BB235_16 Depth=1
	v_mov_b32_e32 v1, 7
	s_mov_b32 s26, exec_lo
	v_and_b32_sdwa v28, v0, v1 dst_sel:DWORD dst_unused:UNUSED_PAD src0_sel:WORD_1 src1_sel:DWORD
	v_lshrrev_b32_e32 v1, 3, v8
	v_cmpx_gt_u32_e32 8, v8
; %bb.519:                              ;   in Loop: Header=BB235_16 Depth=1
	v_ffbh_u32_e32 v1, v28
	v_min_u32_e32 v1, 32, v1
	v_subrev_nc_u32_e32 v8, 28, v1
	v_sub_nc_u32_e32 v1, 29, v1
	v_lshlrev_b64 v[8:9], v8, v[28:29]
	v_and_b32_e32 v28, 7, v8
; %bb.520:                              ;   in Loop: Header=BB235_16 Depth=1
	s_or_b32 exec_lo, exec_lo, s26
	v_mov_b32_e32 v2, 24
	v_lshlrev_b32_e32 v9, 20, v28
	v_lshl_add_u32 v1, v1, 23, 0x3c000000
	v_lshlrev_b32_sdwa v8, v2, v0 dst_sel:DWORD dst_unused:UNUSED_PAD src0_sel:DWORD src1_sel:WORD_1
	v_and_b32_e32 v8, 0x80000000, v8
	v_or3_b32 v28, v9, v8, v1
	v_mov_b32_e32 v37, v29
	v_mov_b32_e32 v36, v28
.LBB235_521:                            ;   in Loop: Header=BB235_16 Depth=1
	s_or_b32 exec_lo, exec_lo, s25
.LBB235_522:                            ;   in Loop: Header=BB235_16 Depth=1
	s_or_b32 exec_lo, exec_lo, s24
.LBB235_523:                            ;   in Loop: Header=BB235_16 Depth=1
	s_or_b32 exec_lo, exec_lo, s23
	s_mov_b32 s23, exec_lo
	v_cmpx_lt_u32_e32 0xffffff, v0
	s_cbranch_execz .LBB235_531
; %bb.524:                              ;   in Loop: Header=BB235_16 Depth=1
	v_mov_b32_e32 v110, v29
	v_mov_b32_e32 v1, 0x80
	;; [unrolled: 1-line block ×3, first 2 shown]
	v_cmp_ne_u32_sdwa s5, v0, v1 src0_sel:BYTE_3 src1_sel:DWORD
	v_mov_b32_e32 v25, v111
	s_and_saveexec_b32 s24, s5
	s_cbranch_execz .LBB235_530
; %bb.525:                              ;   in Loop: Header=BB235_16 Depth=1
	v_mov_b32_e32 v104, v29
	v_bfe_u32 v8, v0, 24, 7
	s_mov_b32 s25, exec_lo
	v_mov_b32_e32 v24, v104
	v_mov_b32_e32 v25, v105
	v_cmpx_ne_u32_e32 0x7f, v8
	s_cbranch_execz .LBB235_529
; %bb.526:                              ;   in Loop: Header=BB235_16 Depth=1
	v_mov_b32_e32 v1, 7
	s_mov_b32 s26, exec_lo
	v_and_b32_sdwa v28, v0, v1 dst_sel:DWORD dst_unused:UNUSED_PAD src0_sel:BYTE_3 src1_sel:DWORD
	v_lshrrev_b32_e32 v1, 3, v8
	v_cmpx_gt_u32_e32 8, v8
; %bb.527:                              ;   in Loop: Header=BB235_16 Depth=1
	v_ffbh_u32_e32 v1, v28
	v_min_u32_e32 v1, 32, v1
	v_subrev_nc_u32_e32 v8, 28, v1
	v_sub_nc_u32_e32 v1, 29, v1
	v_lshlrev_b64 v[8:9], v8, v[28:29]
	v_and_b32_e32 v28, 7, v8
; %bb.528:                              ;   in Loop: Header=BB235_16 Depth=1
	s_or_b32 exec_lo, exec_lo, s26
	v_mov_b32_e32 v2, 24
	v_lshlrev_b32_e32 v8, 20, v28
	v_lshl_add_u32 v1, v1, 23, 0x3c000000
	v_mov_b32_e32 v24, v29
	v_lshlrev_b32_sdwa v0, v2, v0 dst_sel:DWORD dst_unused:UNUSED_PAD src0_sel:DWORD src1_sel:BYTE_3
	v_and_b32_e32 v0, 0x80000000, v0
	v_or3_b32 v25, v8, v0, v1
.LBB235_529:                            ;   in Loop: Header=BB235_16 Depth=1
	s_or_b32 exec_lo, exec_lo, s25
.LBB235_530:                            ;   in Loop: Header=BB235_16 Depth=1
	s_or_b32 exec_lo, exec_lo, s24
.LBB235_531:                            ;   in Loop: Header=BB235_16 Depth=1
	s_or_b32 exec_lo, exec_lo, s23
	v_add_co_u32 v68, s5, 0x800, v120
	v_add_co_ci_u32_e64 v69, null, 0, v121, s5
	v_mov_b32_e32 v10, 0
	v_mov_b32_e32 v120, 0
	;; [unrolled: 1-line block ×3, first 2 shown]
	flat_load_dword v0, v[68:69]
	v_mov_b32_e32 v121, 0
	s_waitcnt vmcnt(0) lgkmcnt(0)
	v_cmp_ne_u16_sdwa s5, v0, v29 src0_sel:BYTE_0 src1_sel:DWORD
	s_and_saveexec_b32 s23, s5
	s_cbranch_execz .LBB235_539
; %bb.532:                              ;   in Loop: Header=BB235_16 Depth=1
	v_mov_b32_e32 v1, 0x80
	v_bfrev_b32_e32 v120, 1
	v_mov_b32_e32 v121, 0
	v_cmp_ne_u16_sdwa s5, v0, v1 src0_sel:BYTE_0 src1_sel:DWORD
	s_and_saveexec_b32 s24, s5
	s_cbranch_execz .LBB235_538
; %bb.533:                              ;   in Loop: Header=BB235_16 Depth=1
	v_mov_b32_e32 v120, 0x7f800001
	v_and_b32_e32 v8, 0x7f, v0
	v_mov_b32_e32 v121, 0
	s_mov_b32 s25, exec_lo
	v_cmpx_ne_u32_e32 0x7f, v8
	s_cbranch_execz .LBB235_537
; %bb.534:                              ;   in Loop: Header=BB235_16 Depth=1
	v_and_b32_e32 v28, 7, v0
	v_lshrrev_b32_e32 v1, 3, v8
	s_mov_b32 s26, exec_lo
	v_cmpx_gt_u32_e32 8, v8
; %bb.535:                              ;   in Loop: Header=BB235_16 Depth=1
	v_ffbh_u32_e32 v1, v28
	v_min_u32_e32 v1, 32, v1
	v_subrev_nc_u32_e32 v8, 28, v1
	v_sub_nc_u32_e32 v1, 29, v1
	v_lshlrev_b64 v[8:9], v8, v[28:29]
	v_and_b32_e32 v28, 7, v8
; %bb.536:                              ;   in Loop: Header=BB235_16 Depth=1
	s_or_b32 exec_lo, exec_lo, s26
	v_lshlrev_b32_e32 v8, 24, v0
	v_lshlrev_b32_e32 v9, 20, v28
	v_lshl_add_u32 v1, v1, 23, 0x3c000000
	v_and_b32_e32 v8, 0x80000000, v8
	v_or3_b32 v28, v9, v8, v1
	v_mov_b32_e32 v121, v29
	v_mov_b32_e32 v120, v28
.LBB235_537:                            ;   in Loop: Header=BB235_16 Depth=1
	s_or_b32 exec_lo, exec_lo, s25
.LBB235_538:                            ;   in Loop: Header=BB235_16 Depth=1
	s_or_b32 exec_lo, exec_lo, s24
.LBB235_539:                            ;   in Loop: Header=BB235_16 Depth=1
	s_or_b32 exec_lo, exec_lo, s23
	v_cmp_ne_u16_sdwa s5, v0, v29 src0_sel:BYTE_1 src1_sel:DWORD
	s_and_saveexec_b32 s23, s5
	s_cbranch_execz .LBB235_547
; %bb.540:                              ;   in Loop: Header=BB235_16 Depth=1
	v_mov_b32_e32 v110, v29
	v_mov_b32_e32 v1, 0x80
	;; [unrolled: 1-line block ×3, first 2 shown]
	v_cmp_ne_u16_sdwa s5, v0, v1 src0_sel:BYTE_1 src1_sel:DWORD
	v_mov_b32_e32 v11, v111
	s_and_saveexec_b32 s24, s5
	s_cbranch_execz .LBB235_546
; %bb.541:                              ;   in Loop: Header=BB235_16 Depth=1
	v_mov_b32_e32 v1, 0xffff
	v_mov_b32_e32 v104, v29
	s_mov_b32 s25, exec_lo
	v_and_b32_sdwa v1, v1, v0 dst_sel:DWORD dst_unused:UNUSED_PAD src0_sel:DWORD src1_sel:BYTE_1
	v_mov_b32_e32 v10, v104
	v_mov_b32_e32 v11, v105
	v_and_b32_e32 v8, 0x7f, v1
	v_cmpx_ne_u32_e32 0x7f, v8
	s_cbranch_execz .LBB235_545
; %bb.542:                              ;   in Loop: Header=BB235_16 Depth=1
	v_and_b32_e32 v28, 7, v1
	v_lshrrev_b32_e32 v1, 3, v8
	s_mov_b32 s26, exec_lo
	v_cmpx_gt_u32_e32 8, v8
; %bb.543:                              ;   in Loop: Header=BB235_16 Depth=1
	v_ffbh_u32_e32 v1, v28
	v_min_u32_e32 v1, 32, v1
	v_subrev_nc_u32_e32 v8, 28, v1
	v_sub_nc_u32_e32 v1, 29, v1
	v_lshlrev_b64 v[8:9], v8, v[28:29]
	v_and_b32_e32 v28, 7, v8
; %bb.544:                              ;   in Loop: Header=BB235_16 Depth=1
	s_or_b32 exec_lo, exec_lo, s26
	v_lshlrev_b32_e32 v8, 16, v0
	v_lshlrev_b32_e32 v9, 20, v28
	v_lshl_add_u32 v1, v1, 23, 0x3c000000
	v_mov_b32_e32 v10, v29
	v_and_b32_e32 v8, 0x80000000, v8
	v_or3_b32 v11, v9, v8, v1
.LBB235_545:                            ;   in Loop: Header=BB235_16 Depth=1
	s_or_b32 exec_lo, exec_lo, s25
.LBB235_546:                            ;   in Loop: Header=BB235_16 Depth=1
	s_or_b32 exec_lo, exec_lo, s24
.LBB235_547:                            ;   in Loop: Header=BB235_16 Depth=1
	s_or_b32 exec_lo, exec_lo, s23
	v_mov_b32_e32 v1, 0xff
	v_mov_b32_e32 v52, 0
	;; [unrolled: 1-line block ×5, first 2 shown]
	v_and_b32_sdwa v1, v0, v1 dst_sel:DWORD dst_unused:UNUSED_PAD src0_sel:WORD_1 src1_sel:DWORD
	s_mov_b32 s23, exec_lo
	v_cmpx_ne_u16_e32 0, v1
	s_cbranch_execz .LBB235_555
; %bb.548:                              ;   in Loop: Header=BB235_16 Depth=1
	v_bfrev_b32_e32 v18, 1
	v_mov_b32_e32 v19, 0
	s_mov_b32 s24, exec_lo
	v_cmpx_ne_u16_e32 0x80, v1
	s_cbranch_execz .LBB235_554
; %bb.549:                              ;   in Loop: Header=BB235_16 Depth=1
	v_mov_b32_e32 v18, 0x7f800001
	v_bfe_u32 v8, v0, 16, 7
	v_mov_b32_e32 v19, 0
	s_mov_b32 s25, exec_lo
	v_cmpx_ne_u32_e32 0x7f, v8
	s_cbranch_execz .LBB235_553
; %bb.550:                              ;   in Loop: Header=BB235_16 Depth=1
	v_mov_b32_e32 v1, 7
	s_mov_b32 s26, exec_lo
	v_and_b32_sdwa v28, v0, v1 dst_sel:DWORD dst_unused:UNUSED_PAD src0_sel:WORD_1 src1_sel:DWORD
	v_lshrrev_b32_e32 v1, 3, v8
	v_cmpx_gt_u32_e32 8, v8
; %bb.551:                              ;   in Loop: Header=BB235_16 Depth=1
	v_ffbh_u32_e32 v1, v28
	v_min_u32_e32 v1, 32, v1
	v_subrev_nc_u32_e32 v8, 28, v1
	v_sub_nc_u32_e32 v1, 29, v1
	v_lshlrev_b64 v[8:9], v8, v[28:29]
	v_and_b32_e32 v28, 7, v8
; %bb.552:                              ;   in Loop: Header=BB235_16 Depth=1
	s_or_b32 exec_lo, exec_lo, s26
	v_mov_b32_e32 v2, 24
	v_lshlrev_b32_e32 v9, 20, v28
	v_lshl_add_u32 v1, v1, 23, 0x3c000000
	v_lshlrev_b32_sdwa v8, v2, v0 dst_sel:DWORD dst_unused:UNUSED_PAD src0_sel:DWORD src1_sel:WORD_1
	v_and_b32_e32 v8, 0x80000000, v8
	v_or3_b32 v28, v9, v8, v1
	v_mov_b32_e32 v18, v28
	v_mov_b32_e32 v19, v29
.LBB235_553:                            ;   in Loop: Header=BB235_16 Depth=1
	s_or_b32 exec_lo, exec_lo, s25
.LBB235_554:                            ;   in Loop: Header=BB235_16 Depth=1
	s_or_b32 exec_lo, exec_lo, s24
.LBB235_555:                            ;   in Loop: Header=BB235_16 Depth=1
	s_or_b32 exec_lo, exec_lo, s23
	s_mov_b32 s23, exec_lo
	v_cmpx_lt_u32_e32 0xffffff, v0
	s_cbranch_execz .LBB235_563
; %bb.556:                              ;   in Loop: Header=BB235_16 Depth=1
	v_mov_b32_e32 v110, v29
	v_mov_b32_e32 v1, 0x80
	;; [unrolled: 1-line block ×3, first 2 shown]
	v_cmp_ne_u32_sdwa s5, v0, v1 src0_sel:BYTE_3 src1_sel:DWORD
	v_mov_b32_e32 v53, v111
	s_and_saveexec_b32 s24, s5
	s_cbranch_execz .LBB235_562
; %bb.557:                              ;   in Loop: Header=BB235_16 Depth=1
	v_mov_b32_e32 v104, v29
	v_bfe_u32 v8, v0, 24, 7
	s_mov_b32 s25, exec_lo
	v_mov_b32_e32 v52, v104
	v_mov_b32_e32 v53, v105
	v_cmpx_ne_u32_e32 0x7f, v8
	s_cbranch_execz .LBB235_561
; %bb.558:                              ;   in Loop: Header=BB235_16 Depth=1
	v_mov_b32_e32 v1, 7
	s_mov_b32 s26, exec_lo
	v_and_b32_sdwa v28, v0, v1 dst_sel:DWORD dst_unused:UNUSED_PAD src0_sel:BYTE_3 src1_sel:DWORD
	v_lshrrev_b32_e32 v1, 3, v8
	v_cmpx_gt_u32_e32 8, v8
; %bb.559:                              ;   in Loop: Header=BB235_16 Depth=1
	v_ffbh_u32_e32 v1, v28
	v_min_u32_e32 v1, 32, v1
	v_subrev_nc_u32_e32 v8, 28, v1
	v_sub_nc_u32_e32 v1, 29, v1
	v_lshlrev_b64 v[8:9], v8, v[28:29]
	v_and_b32_e32 v28, 7, v8
; %bb.560:                              ;   in Loop: Header=BB235_16 Depth=1
	s_or_b32 exec_lo, exec_lo, s26
	v_mov_b32_e32 v2, 24
	v_lshlrev_b32_e32 v8, 20, v28
	v_lshl_add_u32 v1, v1, 23, 0x3c000000
	v_mov_b32_e32 v52, v29
	v_lshlrev_b32_sdwa v0, v2, v0 dst_sel:DWORD dst_unused:UNUSED_PAD src0_sel:DWORD src1_sel:BYTE_3
	v_and_b32_e32 v0, 0x80000000, v0
	v_or3_b32 v53, v8, v0, v1
.LBB235_561:                            ;   in Loop: Header=BB235_16 Depth=1
	s_or_b32 exec_lo, exec_lo, s25
.LBB235_562:                            ;   in Loop: Header=BB235_16 Depth=1
	s_or_b32 exec_lo, exec_lo, s24
.LBB235_563:                            ;   in Loop: Header=BB235_16 Depth=1
	s_or_b32 exec_lo, exec_lo, s23
	flat_load_dword v0, v[68:69] offset:4
	v_mov_b32_e32 v30, 0
	v_mov_b32_e32 v54, 0
	;; [unrolled: 1-line block ×4, first 2 shown]
	s_waitcnt vmcnt(0) lgkmcnt(0)
	v_cmp_ne_u16_sdwa s5, v0, v29 src0_sel:BYTE_0 src1_sel:DWORD
	s_and_saveexec_b32 s23, s5
	s_cbranch_execz .LBB235_571
; %bb.564:                              ;   in Loop: Header=BB235_16 Depth=1
	v_mov_b32_e32 v1, 0x80
	v_bfrev_b32_e32 v54, 1
	v_mov_b32_e32 v55, 0
	v_cmp_ne_u16_sdwa s5, v0, v1 src0_sel:BYTE_0 src1_sel:DWORD
	s_and_saveexec_b32 s24, s5
	s_cbranch_execz .LBB235_570
; %bb.565:                              ;   in Loop: Header=BB235_16 Depth=1
	v_mov_b32_e32 v54, 0x7f800001
	v_and_b32_e32 v8, 0x7f, v0
	v_mov_b32_e32 v55, 0
	s_mov_b32 s25, exec_lo
	v_cmpx_ne_u32_e32 0x7f, v8
	s_cbranch_execz .LBB235_569
; %bb.566:                              ;   in Loop: Header=BB235_16 Depth=1
	v_and_b32_e32 v28, 7, v0
	v_lshrrev_b32_e32 v1, 3, v8
	s_mov_b32 s26, exec_lo
	v_cmpx_gt_u32_e32 8, v8
; %bb.567:                              ;   in Loop: Header=BB235_16 Depth=1
	v_ffbh_u32_e32 v1, v28
	v_min_u32_e32 v1, 32, v1
	v_subrev_nc_u32_e32 v8, 28, v1
	v_sub_nc_u32_e32 v1, 29, v1
	v_lshlrev_b64 v[8:9], v8, v[28:29]
	v_and_b32_e32 v28, 7, v8
; %bb.568:                              ;   in Loop: Header=BB235_16 Depth=1
	s_or_b32 exec_lo, exec_lo, s26
	v_lshlrev_b32_e32 v8, 24, v0
	v_lshlrev_b32_e32 v9, 20, v28
	v_lshl_add_u32 v1, v1, 23, 0x3c000000
	v_and_b32_e32 v8, 0x80000000, v8
	v_or3_b32 v28, v9, v8, v1
	v_mov_b32_e32 v55, v29
	v_mov_b32_e32 v54, v28
.LBB235_569:                            ;   in Loop: Header=BB235_16 Depth=1
	s_or_b32 exec_lo, exec_lo, s25
.LBB235_570:                            ;   in Loop: Header=BB235_16 Depth=1
	s_or_b32 exec_lo, exec_lo, s24
.LBB235_571:                            ;   in Loop: Header=BB235_16 Depth=1
	s_or_b32 exec_lo, exec_lo, s23
	v_cmp_ne_u16_sdwa s5, v0, v29 src0_sel:BYTE_1 src1_sel:DWORD
	s_and_saveexec_b32 s23, s5
	s_cbranch_execz .LBB235_579
; %bb.572:                              ;   in Loop: Header=BB235_16 Depth=1
	v_mov_b32_e32 v110, v29
	v_mov_b32_e32 v1, 0x80
	v_mov_b32_e32 v30, v110
	v_cmp_ne_u16_sdwa s5, v0, v1 src0_sel:BYTE_1 src1_sel:DWORD
	v_mov_b32_e32 v31, v111
	s_and_saveexec_b32 s24, s5
	s_cbranch_execz .LBB235_578
; %bb.573:                              ;   in Loop: Header=BB235_16 Depth=1
	v_mov_b32_e32 v1, 0xffff
	v_mov_b32_e32 v104, v29
	s_mov_b32 s25, exec_lo
	v_and_b32_sdwa v1, v1, v0 dst_sel:DWORD dst_unused:UNUSED_PAD src0_sel:DWORD src1_sel:BYTE_1
	v_mov_b32_e32 v30, v104
	v_mov_b32_e32 v31, v105
	v_and_b32_e32 v8, 0x7f, v1
	v_cmpx_ne_u32_e32 0x7f, v8
	s_cbranch_execz .LBB235_577
; %bb.574:                              ;   in Loop: Header=BB235_16 Depth=1
	v_and_b32_e32 v28, 7, v1
	v_lshrrev_b32_e32 v1, 3, v8
	s_mov_b32 s26, exec_lo
	v_cmpx_gt_u32_e32 8, v8
; %bb.575:                              ;   in Loop: Header=BB235_16 Depth=1
	v_ffbh_u32_e32 v1, v28
	v_min_u32_e32 v1, 32, v1
	v_subrev_nc_u32_e32 v8, 28, v1
	v_sub_nc_u32_e32 v1, 29, v1
	v_lshlrev_b64 v[8:9], v8, v[28:29]
	v_and_b32_e32 v28, 7, v8
; %bb.576:                              ;   in Loop: Header=BB235_16 Depth=1
	s_or_b32 exec_lo, exec_lo, s26
	v_lshlrev_b32_e32 v8, 16, v0
	v_lshlrev_b32_e32 v9, 20, v28
	v_lshl_add_u32 v1, v1, 23, 0x3c000000
	v_mov_b32_e32 v30, v29
	v_and_b32_e32 v8, 0x80000000, v8
	v_or3_b32 v31, v9, v8, v1
.LBB235_577:                            ;   in Loop: Header=BB235_16 Depth=1
	s_or_b32 exec_lo, exec_lo, s25
.LBB235_578:                            ;   in Loop: Header=BB235_16 Depth=1
	s_or_b32 exec_lo, exec_lo, s24
.LBB235_579:                            ;   in Loop: Header=BB235_16 Depth=1
	s_or_b32 exec_lo, exec_lo, s23
	v_mov_b32_e32 v1, 0xff
	v_mov_b32_e32 v48, 0
	;; [unrolled: 1-line block ×5, first 2 shown]
	v_and_b32_sdwa v1, v0, v1 dst_sel:DWORD dst_unused:UNUSED_PAD src0_sel:WORD_1 src1_sel:DWORD
	s_mov_b32 s23, exec_lo
	v_cmpx_ne_u16_e32 0, v1
	s_cbranch_execz .LBB235_587
; %bb.580:                              ;   in Loop: Header=BB235_16 Depth=1
	v_bfrev_b32_e32 v70, 1
	v_mov_b32_e32 v71, 0
	s_mov_b32 s24, exec_lo
	v_cmpx_ne_u16_e32 0x80, v1
	s_cbranch_execz .LBB235_586
; %bb.581:                              ;   in Loop: Header=BB235_16 Depth=1
	v_mov_b32_e32 v70, 0x7f800001
	v_bfe_u32 v8, v0, 16, 7
	v_mov_b32_e32 v71, 0
	s_mov_b32 s25, exec_lo
	v_cmpx_ne_u32_e32 0x7f, v8
	s_cbranch_execz .LBB235_585
; %bb.582:                              ;   in Loop: Header=BB235_16 Depth=1
	v_mov_b32_e32 v1, 7
	s_mov_b32 s26, exec_lo
	v_and_b32_sdwa v28, v0, v1 dst_sel:DWORD dst_unused:UNUSED_PAD src0_sel:WORD_1 src1_sel:DWORD
	v_lshrrev_b32_e32 v1, 3, v8
	v_cmpx_gt_u32_e32 8, v8
; %bb.583:                              ;   in Loop: Header=BB235_16 Depth=1
	v_ffbh_u32_e32 v1, v28
	v_min_u32_e32 v1, 32, v1
	v_subrev_nc_u32_e32 v8, 28, v1
	v_sub_nc_u32_e32 v1, 29, v1
	v_lshlrev_b64 v[8:9], v8, v[28:29]
	v_and_b32_e32 v28, 7, v8
; %bb.584:                              ;   in Loop: Header=BB235_16 Depth=1
	s_or_b32 exec_lo, exec_lo, s26
	v_mov_b32_e32 v2, 24
	v_lshlrev_b32_e32 v9, 20, v28
	v_lshl_add_u32 v1, v1, 23, 0x3c000000
	v_lshlrev_b32_sdwa v8, v2, v0 dst_sel:DWORD dst_unused:UNUSED_PAD src0_sel:DWORD src1_sel:WORD_1
	v_and_b32_e32 v8, 0x80000000, v8
	v_or3_b32 v28, v9, v8, v1
	v_mov_b32_e32 v71, v29
	v_mov_b32_e32 v70, v28
.LBB235_585:                            ;   in Loop: Header=BB235_16 Depth=1
	s_or_b32 exec_lo, exec_lo, s25
.LBB235_586:                            ;   in Loop: Header=BB235_16 Depth=1
	s_or_b32 exec_lo, exec_lo, s24
.LBB235_587:                            ;   in Loop: Header=BB235_16 Depth=1
	s_or_b32 exec_lo, exec_lo, s23
	s_mov_b32 s23, exec_lo
	v_cmpx_lt_u32_e32 0xffffff, v0
	s_cbranch_execz .LBB235_595
; %bb.588:                              ;   in Loop: Header=BB235_16 Depth=1
	v_mov_b32_e32 v110, v29
	v_mov_b32_e32 v1, 0x80
	;; [unrolled: 1-line block ×3, first 2 shown]
	v_cmp_ne_u32_sdwa s5, v0, v1 src0_sel:BYTE_3 src1_sel:DWORD
	v_mov_b32_e32 v49, v111
	s_and_saveexec_b32 s24, s5
	s_cbranch_execz .LBB235_594
; %bb.589:                              ;   in Loop: Header=BB235_16 Depth=1
	v_mov_b32_e32 v104, v29
	v_bfe_u32 v8, v0, 24, 7
	s_mov_b32 s25, exec_lo
	v_mov_b32_e32 v48, v104
	v_mov_b32_e32 v49, v105
	v_cmpx_ne_u32_e32 0x7f, v8
	s_cbranch_execz .LBB235_593
; %bb.590:                              ;   in Loop: Header=BB235_16 Depth=1
	v_mov_b32_e32 v1, 7
	s_mov_b32 s26, exec_lo
	v_and_b32_sdwa v28, v0, v1 dst_sel:DWORD dst_unused:UNUSED_PAD src0_sel:BYTE_3 src1_sel:DWORD
	v_lshrrev_b32_e32 v1, 3, v8
	v_cmpx_gt_u32_e32 8, v8
; %bb.591:                              ;   in Loop: Header=BB235_16 Depth=1
	v_ffbh_u32_e32 v1, v28
	v_min_u32_e32 v1, 32, v1
	v_subrev_nc_u32_e32 v8, 28, v1
	v_sub_nc_u32_e32 v1, 29, v1
	v_lshlrev_b64 v[8:9], v8, v[28:29]
	v_and_b32_e32 v28, 7, v8
; %bb.592:                              ;   in Loop: Header=BB235_16 Depth=1
	s_or_b32 exec_lo, exec_lo, s26
	v_mov_b32_e32 v2, 24
	v_lshlrev_b32_e32 v8, 20, v28
	v_lshl_add_u32 v1, v1, 23, 0x3c000000
	v_mov_b32_e32 v48, v29
	v_lshlrev_b32_sdwa v0, v2, v0 dst_sel:DWORD dst_unused:UNUSED_PAD src0_sel:DWORD src1_sel:BYTE_3
	v_and_b32_e32 v0, 0x80000000, v0
	v_or3_b32 v49, v8, v0, v1
.LBB235_593:                            ;   in Loop: Header=BB235_16 Depth=1
	s_or_b32 exec_lo, exec_lo, s25
.LBB235_594:                            ;   in Loop: Header=BB235_16 Depth=1
	s_or_b32 exec_lo, exec_lo, s24
.LBB235_595:                            ;   in Loop: Header=BB235_16 Depth=1
	s_or_b32 exec_lo, exec_lo, s23
	flat_load_dword v0, v[68:69] offset:8
	v_mov_b32_e32 v84, 0
	v_mov_b32_e32 v50, 0
	;; [unrolled: 1-line block ×4, first 2 shown]
	s_waitcnt vmcnt(0) lgkmcnt(0)
	v_cmp_ne_u16_sdwa s5, v0, v29 src0_sel:BYTE_0 src1_sel:DWORD
	s_and_saveexec_b32 s23, s5
	s_cbranch_execz .LBB235_603
; %bb.596:                              ;   in Loop: Header=BB235_16 Depth=1
	v_mov_b32_e32 v1, 0x80
	v_bfrev_b32_e32 v50, 1
	v_mov_b32_e32 v51, 0
	v_cmp_ne_u16_sdwa s5, v0, v1 src0_sel:BYTE_0 src1_sel:DWORD
	s_and_saveexec_b32 s24, s5
	s_cbranch_execz .LBB235_602
; %bb.597:                              ;   in Loop: Header=BB235_16 Depth=1
	v_mov_b32_e32 v50, 0x7f800001
	v_and_b32_e32 v8, 0x7f, v0
	v_mov_b32_e32 v51, 0
	s_mov_b32 s25, exec_lo
	v_cmpx_ne_u32_e32 0x7f, v8
	s_cbranch_execz .LBB235_601
; %bb.598:                              ;   in Loop: Header=BB235_16 Depth=1
	v_and_b32_e32 v28, 7, v0
	v_lshrrev_b32_e32 v1, 3, v8
	s_mov_b32 s26, exec_lo
	v_cmpx_gt_u32_e32 8, v8
; %bb.599:                              ;   in Loop: Header=BB235_16 Depth=1
	v_ffbh_u32_e32 v1, v28
	v_min_u32_e32 v1, 32, v1
	v_subrev_nc_u32_e32 v8, 28, v1
	v_sub_nc_u32_e32 v1, 29, v1
	v_lshlrev_b64 v[8:9], v8, v[28:29]
	v_and_b32_e32 v28, 7, v8
; %bb.600:                              ;   in Loop: Header=BB235_16 Depth=1
	s_or_b32 exec_lo, exec_lo, s26
	v_lshlrev_b32_e32 v8, 24, v0
	v_lshlrev_b32_e32 v9, 20, v28
	v_lshl_add_u32 v1, v1, 23, 0x3c000000
	v_and_b32_e32 v8, 0x80000000, v8
	v_or3_b32 v28, v9, v8, v1
	v_mov_b32_e32 v51, v29
	v_mov_b32_e32 v50, v28
.LBB235_601:                            ;   in Loop: Header=BB235_16 Depth=1
	s_or_b32 exec_lo, exec_lo, s25
.LBB235_602:                            ;   in Loop: Header=BB235_16 Depth=1
	s_or_b32 exec_lo, exec_lo, s24
.LBB235_603:                            ;   in Loop: Header=BB235_16 Depth=1
	s_or_b32 exec_lo, exec_lo, s23
	v_cmp_ne_u16_sdwa s5, v0, v29 src0_sel:BYTE_1 src1_sel:DWORD
	s_and_saveexec_b32 s23, s5
	s_cbranch_execz .LBB235_611
; %bb.604:                              ;   in Loop: Header=BB235_16 Depth=1
	v_mov_b32_e32 v110, v29
	v_mov_b32_e32 v1, 0x80
	;; [unrolled: 1-line block ×3, first 2 shown]
	v_cmp_ne_u16_sdwa s5, v0, v1 src0_sel:BYTE_1 src1_sel:DWORD
	v_mov_b32_e32 v85, v111
	s_and_saveexec_b32 s24, s5
	s_cbranch_execz .LBB235_610
; %bb.605:                              ;   in Loop: Header=BB235_16 Depth=1
	v_mov_b32_e32 v1, 0xffff
	v_mov_b32_e32 v104, v29
	s_mov_b32 s25, exec_lo
	v_and_b32_sdwa v1, v1, v0 dst_sel:DWORD dst_unused:UNUSED_PAD src0_sel:DWORD src1_sel:BYTE_1
	v_mov_b32_e32 v84, v104
	v_mov_b32_e32 v85, v105
	v_and_b32_e32 v8, 0x7f, v1
	v_cmpx_ne_u32_e32 0x7f, v8
	s_cbranch_execz .LBB235_609
; %bb.606:                              ;   in Loop: Header=BB235_16 Depth=1
	v_and_b32_e32 v28, 7, v1
	v_lshrrev_b32_e32 v1, 3, v8
	s_mov_b32 s26, exec_lo
	v_cmpx_gt_u32_e32 8, v8
; %bb.607:                              ;   in Loop: Header=BB235_16 Depth=1
	v_ffbh_u32_e32 v1, v28
	v_min_u32_e32 v1, 32, v1
	v_subrev_nc_u32_e32 v8, 28, v1
	v_sub_nc_u32_e32 v1, 29, v1
	v_lshlrev_b64 v[8:9], v8, v[28:29]
	v_and_b32_e32 v28, 7, v8
; %bb.608:                              ;   in Loop: Header=BB235_16 Depth=1
	s_or_b32 exec_lo, exec_lo, s26
	v_lshlrev_b32_e32 v8, 16, v0
	v_lshlrev_b32_e32 v9, 20, v28
	v_lshl_add_u32 v1, v1, 23, 0x3c000000
	v_mov_b32_e32 v84, v29
	v_and_b32_e32 v8, 0x80000000, v8
	v_or3_b32 v85, v9, v8, v1
.LBB235_609:                            ;   in Loop: Header=BB235_16 Depth=1
	s_or_b32 exec_lo, exec_lo, s25
.LBB235_610:                            ;   in Loop: Header=BB235_16 Depth=1
	s_or_b32 exec_lo, exec_lo, s24
.LBB235_611:                            ;   in Loop: Header=BB235_16 Depth=1
	s_or_b32 exec_lo, exec_lo, s23
	v_mov_b32_e32 v1, 0xff
	v_mov_b32_e32 v64, 0
	;; [unrolled: 1-line block ×5, first 2 shown]
	v_and_b32_sdwa v1, v0, v1 dst_sel:DWORD dst_unused:UNUSED_PAD src0_sel:WORD_1 src1_sel:DWORD
	s_mov_b32 s23, exec_lo
	v_cmpx_ne_u16_e32 0, v1
	s_cbranch_execz .LBB235_619
; %bb.612:                              ;   in Loop: Header=BB235_16 Depth=1
	v_bfrev_b32_e32 v66, 1
	v_mov_b32_e32 v67, 0
	s_mov_b32 s24, exec_lo
	v_cmpx_ne_u16_e32 0x80, v1
	s_cbranch_execz .LBB235_618
; %bb.613:                              ;   in Loop: Header=BB235_16 Depth=1
	v_mov_b32_e32 v66, 0x7f800001
	v_bfe_u32 v8, v0, 16, 7
	v_mov_b32_e32 v67, 0
	s_mov_b32 s25, exec_lo
	v_cmpx_ne_u32_e32 0x7f, v8
	s_cbranch_execz .LBB235_617
; %bb.614:                              ;   in Loop: Header=BB235_16 Depth=1
	v_mov_b32_e32 v1, 7
	s_mov_b32 s26, exec_lo
	v_and_b32_sdwa v28, v0, v1 dst_sel:DWORD dst_unused:UNUSED_PAD src0_sel:WORD_1 src1_sel:DWORD
	v_lshrrev_b32_e32 v1, 3, v8
	v_cmpx_gt_u32_e32 8, v8
; %bb.615:                              ;   in Loop: Header=BB235_16 Depth=1
	v_ffbh_u32_e32 v1, v28
	v_min_u32_e32 v1, 32, v1
	v_subrev_nc_u32_e32 v8, 28, v1
	v_sub_nc_u32_e32 v1, 29, v1
	v_lshlrev_b64 v[8:9], v8, v[28:29]
	v_and_b32_e32 v28, 7, v8
; %bb.616:                              ;   in Loop: Header=BB235_16 Depth=1
	s_or_b32 exec_lo, exec_lo, s26
	v_mov_b32_e32 v2, 24
	v_lshlrev_b32_e32 v9, 20, v28
	v_lshl_add_u32 v1, v1, 23, 0x3c000000
	v_lshlrev_b32_sdwa v8, v2, v0 dst_sel:DWORD dst_unused:UNUSED_PAD src0_sel:DWORD src1_sel:WORD_1
	v_and_b32_e32 v8, 0x80000000, v8
	v_or3_b32 v28, v9, v8, v1
	v_mov_b32_e32 v67, v29
	v_mov_b32_e32 v66, v28
.LBB235_617:                            ;   in Loop: Header=BB235_16 Depth=1
	s_or_b32 exec_lo, exec_lo, s25
.LBB235_618:                            ;   in Loop: Header=BB235_16 Depth=1
	s_or_b32 exec_lo, exec_lo, s24
.LBB235_619:                            ;   in Loop: Header=BB235_16 Depth=1
	s_or_b32 exec_lo, exec_lo, s23
	s_mov_b32 s23, exec_lo
	v_cmpx_lt_u32_e32 0xffffff, v0
	s_cbranch_execz .LBB235_627
; %bb.620:                              ;   in Loop: Header=BB235_16 Depth=1
	v_mov_b32_e32 v110, v29
	v_mov_b32_e32 v1, 0x80
	;; [unrolled: 1-line block ×3, first 2 shown]
	v_cmp_ne_u32_sdwa s5, v0, v1 src0_sel:BYTE_3 src1_sel:DWORD
	v_mov_b32_e32 v65, v111
	s_and_saveexec_b32 s24, s5
	s_cbranch_execz .LBB235_626
; %bb.621:                              ;   in Loop: Header=BB235_16 Depth=1
	v_mov_b32_e32 v104, v29
	v_bfe_u32 v8, v0, 24, 7
	s_mov_b32 s25, exec_lo
	v_mov_b32_e32 v64, v104
	v_mov_b32_e32 v65, v105
	v_cmpx_ne_u32_e32 0x7f, v8
	s_cbranch_execz .LBB235_625
; %bb.622:                              ;   in Loop: Header=BB235_16 Depth=1
	v_mov_b32_e32 v1, 7
	s_mov_b32 s26, exec_lo
	v_and_b32_sdwa v28, v0, v1 dst_sel:DWORD dst_unused:UNUSED_PAD src0_sel:BYTE_3 src1_sel:DWORD
	v_lshrrev_b32_e32 v1, 3, v8
	v_cmpx_gt_u32_e32 8, v8
; %bb.623:                              ;   in Loop: Header=BB235_16 Depth=1
	v_ffbh_u32_e32 v1, v28
	v_min_u32_e32 v1, 32, v1
	v_subrev_nc_u32_e32 v8, 28, v1
	v_sub_nc_u32_e32 v1, 29, v1
	v_lshlrev_b64 v[8:9], v8, v[28:29]
	v_and_b32_e32 v28, 7, v8
; %bb.624:                              ;   in Loop: Header=BB235_16 Depth=1
	s_or_b32 exec_lo, exec_lo, s26
	v_mov_b32_e32 v2, 24
	v_lshlrev_b32_e32 v8, 20, v28
	v_lshl_add_u32 v1, v1, 23, 0x3c000000
	v_mov_b32_e32 v64, v29
	v_lshlrev_b32_sdwa v0, v2, v0 dst_sel:DWORD dst_unused:UNUSED_PAD src0_sel:DWORD src1_sel:BYTE_3
	v_and_b32_e32 v0, 0x80000000, v0
	v_or3_b32 v65, v8, v0, v1
.LBB235_625:                            ;   in Loop: Header=BB235_16 Depth=1
	s_or_b32 exec_lo, exec_lo, s25
.LBB235_626:                            ;   in Loop: Header=BB235_16 Depth=1
	s_or_b32 exec_lo, exec_lo, s24
.LBB235_627:                            ;   in Loop: Header=BB235_16 Depth=1
	s_or_b32 exec_lo, exec_lo, s23
	flat_load_dword v0, v[68:69] offset:12
	v_mov_b32_e32 v80, 0
	v_mov_b32_e32 v86, 0
	v_mov_b32_e32 v81, 0
	v_mov_b32_e32 v87, 0
	s_waitcnt vmcnt(0) lgkmcnt(0)
	v_cmp_ne_u16_sdwa s5, v0, v29 src0_sel:BYTE_0 src1_sel:DWORD
	s_and_saveexec_b32 s23, s5
	s_cbranch_execz .LBB235_635
; %bb.628:                              ;   in Loop: Header=BB235_16 Depth=1
	v_mov_b32_e32 v1, 0x80
	v_bfrev_b32_e32 v86, 1
	v_mov_b32_e32 v87, 0
	v_cmp_ne_u16_sdwa s5, v0, v1 src0_sel:BYTE_0 src1_sel:DWORD
	s_and_saveexec_b32 s24, s5
	s_cbranch_execz .LBB235_634
; %bb.629:                              ;   in Loop: Header=BB235_16 Depth=1
	v_mov_b32_e32 v86, 0x7f800001
	v_and_b32_e32 v8, 0x7f, v0
	v_mov_b32_e32 v87, 0
	s_mov_b32 s25, exec_lo
	v_cmpx_ne_u32_e32 0x7f, v8
	s_cbranch_execz .LBB235_633
; %bb.630:                              ;   in Loop: Header=BB235_16 Depth=1
	v_and_b32_e32 v28, 7, v0
	v_lshrrev_b32_e32 v1, 3, v8
	s_mov_b32 s26, exec_lo
	v_cmpx_gt_u32_e32 8, v8
; %bb.631:                              ;   in Loop: Header=BB235_16 Depth=1
	v_ffbh_u32_e32 v1, v28
	v_min_u32_e32 v1, 32, v1
	v_subrev_nc_u32_e32 v8, 28, v1
	v_sub_nc_u32_e32 v1, 29, v1
	v_lshlrev_b64 v[8:9], v8, v[28:29]
	v_and_b32_e32 v28, 7, v8
; %bb.632:                              ;   in Loop: Header=BB235_16 Depth=1
	s_or_b32 exec_lo, exec_lo, s26
	v_lshlrev_b32_e32 v8, 24, v0
	v_lshlrev_b32_e32 v9, 20, v28
	v_lshl_add_u32 v1, v1, 23, 0x3c000000
	v_and_b32_e32 v8, 0x80000000, v8
	v_or3_b32 v28, v9, v8, v1
	v_mov_b32_e32 v87, v29
	v_mov_b32_e32 v86, v28
.LBB235_633:                            ;   in Loop: Header=BB235_16 Depth=1
	s_or_b32 exec_lo, exec_lo, s25
.LBB235_634:                            ;   in Loop: Header=BB235_16 Depth=1
	s_or_b32 exec_lo, exec_lo, s24
.LBB235_635:                            ;   in Loop: Header=BB235_16 Depth=1
	s_or_b32 exec_lo, exec_lo, s23
	v_cmp_ne_u16_sdwa s5, v0, v29 src0_sel:BYTE_1 src1_sel:DWORD
	s_and_saveexec_b32 s23, s5
	s_cbranch_execz .LBB235_643
; %bb.636:                              ;   in Loop: Header=BB235_16 Depth=1
	v_mov_b32_e32 v110, v29
	v_mov_b32_e32 v1, 0x80
	v_mov_b32_e32 v80, v110
	v_cmp_ne_u16_sdwa s5, v0, v1 src0_sel:BYTE_1 src1_sel:DWORD
	v_mov_b32_e32 v81, v111
	s_and_saveexec_b32 s24, s5
	s_cbranch_execz .LBB235_642
; %bb.637:                              ;   in Loop: Header=BB235_16 Depth=1
	v_mov_b32_e32 v1, 0xffff
	v_mov_b32_e32 v104, v29
	s_mov_b32 s25, exec_lo
	v_and_b32_sdwa v1, v1, v0 dst_sel:DWORD dst_unused:UNUSED_PAD src0_sel:DWORD src1_sel:BYTE_1
	v_mov_b32_e32 v80, v104
	v_mov_b32_e32 v81, v105
	v_and_b32_e32 v8, 0x7f, v1
	v_cmpx_ne_u32_e32 0x7f, v8
	s_cbranch_execz .LBB235_641
; %bb.638:                              ;   in Loop: Header=BB235_16 Depth=1
	v_and_b32_e32 v28, 7, v1
	v_lshrrev_b32_e32 v1, 3, v8
	s_mov_b32 s26, exec_lo
	v_cmpx_gt_u32_e32 8, v8
; %bb.639:                              ;   in Loop: Header=BB235_16 Depth=1
	v_ffbh_u32_e32 v1, v28
	v_min_u32_e32 v1, 32, v1
	v_subrev_nc_u32_e32 v8, 28, v1
	v_sub_nc_u32_e32 v1, 29, v1
	v_lshlrev_b64 v[8:9], v8, v[28:29]
	v_and_b32_e32 v28, 7, v8
; %bb.640:                              ;   in Loop: Header=BB235_16 Depth=1
	s_or_b32 exec_lo, exec_lo, s26
	v_lshlrev_b32_e32 v8, 16, v0
	v_lshlrev_b32_e32 v9, 20, v28
	v_lshl_add_u32 v1, v1, 23, 0x3c000000
	v_mov_b32_e32 v80, v29
	v_and_b32_e32 v8, 0x80000000, v8
	v_or3_b32 v81, v9, v8, v1
.LBB235_641:                            ;   in Loop: Header=BB235_16 Depth=1
	s_or_b32 exec_lo, exec_lo, s25
.LBB235_642:                            ;   in Loop: Header=BB235_16 Depth=1
	s_or_b32 exec_lo, exec_lo, s24
.LBB235_643:                            ;   in Loop: Header=BB235_16 Depth=1
	s_or_b32 exec_lo, exec_lo, s23
	v_mov_b32_e32 v1, 0xff
	v_mov_b32_e32 v100, 0
	;; [unrolled: 1-line block ×5, first 2 shown]
	v_and_b32_sdwa v1, v0, v1 dst_sel:DWORD dst_unused:UNUSED_PAD src0_sel:WORD_1 src1_sel:DWORD
	s_mov_b32 s23, exec_lo
	v_cmpx_ne_u16_e32 0, v1
	s_cbranch_execz .LBB235_651
; %bb.644:                              ;   in Loop: Header=BB235_16 Depth=1
	v_bfrev_b32_e32 v82, 1
	v_mov_b32_e32 v83, 0
	s_mov_b32 s24, exec_lo
	v_cmpx_ne_u16_e32 0x80, v1
	s_cbranch_execz .LBB235_650
; %bb.645:                              ;   in Loop: Header=BB235_16 Depth=1
	v_mov_b32_e32 v82, 0x7f800001
	v_bfe_u32 v8, v0, 16, 7
	v_mov_b32_e32 v83, 0
	s_mov_b32 s25, exec_lo
	v_cmpx_ne_u32_e32 0x7f, v8
	s_cbranch_execz .LBB235_649
; %bb.646:                              ;   in Loop: Header=BB235_16 Depth=1
	v_mov_b32_e32 v1, 7
	s_mov_b32 s26, exec_lo
	v_and_b32_sdwa v28, v0, v1 dst_sel:DWORD dst_unused:UNUSED_PAD src0_sel:WORD_1 src1_sel:DWORD
	v_lshrrev_b32_e32 v1, 3, v8
	v_cmpx_gt_u32_e32 8, v8
; %bb.647:                              ;   in Loop: Header=BB235_16 Depth=1
	v_ffbh_u32_e32 v1, v28
	v_min_u32_e32 v1, 32, v1
	v_subrev_nc_u32_e32 v8, 28, v1
	v_sub_nc_u32_e32 v1, 29, v1
	v_lshlrev_b64 v[8:9], v8, v[28:29]
	v_and_b32_e32 v28, 7, v8
; %bb.648:                              ;   in Loop: Header=BB235_16 Depth=1
	s_or_b32 exec_lo, exec_lo, s26
	v_mov_b32_e32 v2, 24
	v_lshlrev_b32_e32 v9, 20, v28
	v_lshl_add_u32 v1, v1, 23, 0x3c000000
	v_lshlrev_b32_sdwa v8, v2, v0 dst_sel:DWORD dst_unused:UNUSED_PAD src0_sel:DWORD src1_sel:WORD_1
	v_and_b32_e32 v8, 0x80000000, v8
	v_or3_b32 v28, v9, v8, v1
	v_mov_b32_e32 v83, v29
	v_mov_b32_e32 v82, v28
.LBB235_649:                            ;   in Loop: Header=BB235_16 Depth=1
	s_or_b32 exec_lo, exec_lo, s25
.LBB235_650:                            ;   in Loop: Header=BB235_16 Depth=1
	s_or_b32 exec_lo, exec_lo, s24
.LBB235_651:                            ;   in Loop: Header=BB235_16 Depth=1
	s_or_b32 exec_lo, exec_lo, s23
	s_mov_b32 s23, exec_lo
	v_cmpx_lt_u32_e32 0xffffff, v0
	s_cbranch_execz .LBB235_659
; %bb.652:                              ;   in Loop: Header=BB235_16 Depth=1
	v_mov_b32_e32 v110, v29
	v_mov_b32_e32 v1, 0x80
	;; [unrolled: 1-line block ×3, first 2 shown]
	v_cmp_ne_u32_sdwa s5, v0, v1 src0_sel:BYTE_3 src1_sel:DWORD
	v_mov_b32_e32 v101, v111
	s_and_saveexec_b32 s24, s5
	s_cbranch_execz .LBB235_658
; %bb.653:                              ;   in Loop: Header=BB235_16 Depth=1
	v_mov_b32_e32 v104, v29
	v_bfe_u32 v8, v0, 24, 7
	s_mov_b32 s25, exec_lo
	v_mov_b32_e32 v100, v104
	v_mov_b32_e32 v101, v105
	v_cmpx_ne_u32_e32 0x7f, v8
	s_cbranch_execz .LBB235_657
; %bb.654:                              ;   in Loop: Header=BB235_16 Depth=1
	v_mov_b32_e32 v1, 7
	s_mov_b32 s26, exec_lo
	v_and_b32_sdwa v28, v0, v1 dst_sel:DWORD dst_unused:UNUSED_PAD src0_sel:BYTE_3 src1_sel:DWORD
	v_lshrrev_b32_e32 v1, 3, v8
	v_cmpx_gt_u32_e32 8, v8
; %bb.655:                              ;   in Loop: Header=BB235_16 Depth=1
	v_ffbh_u32_e32 v1, v28
	v_min_u32_e32 v1, 32, v1
	v_subrev_nc_u32_e32 v8, 28, v1
	v_sub_nc_u32_e32 v1, 29, v1
	v_lshlrev_b64 v[8:9], v8, v[28:29]
	v_and_b32_e32 v28, 7, v8
; %bb.656:                              ;   in Loop: Header=BB235_16 Depth=1
	s_or_b32 exec_lo, exec_lo, s26
	v_mov_b32_e32 v2, 24
	v_lshlrev_b32_e32 v8, 20, v28
	v_lshl_add_u32 v1, v1, 23, 0x3c000000
	v_mov_b32_e32 v100, v29
	v_lshlrev_b32_sdwa v0, v2, v0 dst_sel:DWORD dst_unused:UNUSED_PAD src0_sel:DWORD src1_sel:BYTE_3
	v_and_b32_e32 v0, 0x80000000, v0
	v_or3_b32 v101, v8, v0, v1
.LBB235_657:                            ;   in Loop: Header=BB235_16 Depth=1
	s_or_b32 exec_lo, exec_lo, s25
.LBB235_658:                            ;   in Loop: Header=BB235_16 Depth=1
	s_or_b32 exec_lo, exec_lo, s24
.LBB235_659:                            ;   in Loop: Header=BB235_16 Depth=1
	s_or_b32 exec_lo, exec_lo, s23
	flat_load_dword v0, v[68:69] offset:512
	v_mov_b32_e32 v96, 0
	v_mov_b32_e32 v102, 0
	;; [unrolled: 1-line block ×4, first 2 shown]
	s_waitcnt vmcnt(0) lgkmcnt(0)
	v_cmp_ne_u16_sdwa s5, v0, v29 src0_sel:BYTE_0 src1_sel:DWORD
	s_and_saveexec_b32 s23, s5
	s_cbranch_execz .LBB235_667
; %bb.660:                              ;   in Loop: Header=BB235_16 Depth=1
	v_mov_b32_e32 v1, 0x80
	v_bfrev_b32_e32 v102, 1
	v_mov_b32_e32 v103, 0
	v_cmp_ne_u16_sdwa s5, v0, v1 src0_sel:BYTE_0 src1_sel:DWORD
	s_and_saveexec_b32 s24, s5
	s_cbranch_execz .LBB235_666
; %bb.661:                              ;   in Loop: Header=BB235_16 Depth=1
	v_mov_b32_e32 v102, 0x7f800001
	v_and_b32_e32 v8, 0x7f, v0
	v_mov_b32_e32 v103, 0
	s_mov_b32 s25, exec_lo
	v_cmpx_ne_u32_e32 0x7f, v8
	s_cbranch_execz .LBB235_665
; %bb.662:                              ;   in Loop: Header=BB235_16 Depth=1
	v_and_b32_e32 v28, 7, v0
	v_lshrrev_b32_e32 v1, 3, v8
	s_mov_b32 s26, exec_lo
	v_cmpx_gt_u32_e32 8, v8
; %bb.663:                              ;   in Loop: Header=BB235_16 Depth=1
	v_ffbh_u32_e32 v1, v28
	v_min_u32_e32 v1, 32, v1
	v_subrev_nc_u32_e32 v8, 28, v1
	v_sub_nc_u32_e32 v1, 29, v1
	v_lshlrev_b64 v[8:9], v8, v[28:29]
	v_and_b32_e32 v28, 7, v8
; %bb.664:                              ;   in Loop: Header=BB235_16 Depth=1
	s_or_b32 exec_lo, exec_lo, s26
	v_lshlrev_b32_e32 v8, 24, v0
	v_lshlrev_b32_e32 v9, 20, v28
	v_lshl_add_u32 v1, v1, 23, 0x3c000000
	v_and_b32_e32 v8, 0x80000000, v8
	v_or3_b32 v28, v9, v8, v1
	v_mov_b32_e32 v103, v29
	v_mov_b32_e32 v102, v28
.LBB235_665:                            ;   in Loop: Header=BB235_16 Depth=1
	s_or_b32 exec_lo, exec_lo, s25
.LBB235_666:                            ;   in Loop: Header=BB235_16 Depth=1
	s_or_b32 exec_lo, exec_lo, s24
.LBB235_667:                            ;   in Loop: Header=BB235_16 Depth=1
	s_or_b32 exec_lo, exec_lo, s23
	v_cmp_ne_u16_sdwa s5, v0, v29 src0_sel:BYTE_1 src1_sel:DWORD
	s_and_saveexec_b32 s23, s5
	s_cbranch_execz .LBB235_675
; %bb.668:                              ;   in Loop: Header=BB235_16 Depth=1
	v_mov_b32_e32 v110, v29
	v_mov_b32_e32 v1, 0x80
	v_mov_b32_e32 v96, v110
	v_cmp_ne_u16_sdwa s5, v0, v1 src0_sel:BYTE_1 src1_sel:DWORD
	v_mov_b32_e32 v97, v111
	s_and_saveexec_b32 s24, s5
	s_cbranch_execz .LBB235_674
; %bb.669:                              ;   in Loop: Header=BB235_16 Depth=1
	v_mov_b32_e32 v1, 0xffff
	v_mov_b32_e32 v104, v29
	s_mov_b32 s25, exec_lo
	v_and_b32_sdwa v1, v1, v0 dst_sel:DWORD dst_unused:UNUSED_PAD src0_sel:DWORD src1_sel:BYTE_1
	v_mov_b32_e32 v96, v104
	v_mov_b32_e32 v97, v105
	v_and_b32_e32 v8, 0x7f, v1
	v_cmpx_ne_u32_e32 0x7f, v8
	s_cbranch_execz .LBB235_673
; %bb.670:                              ;   in Loop: Header=BB235_16 Depth=1
	v_and_b32_e32 v28, 7, v1
	v_lshrrev_b32_e32 v1, 3, v8
	s_mov_b32 s26, exec_lo
	v_cmpx_gt_u32_e32 8, v8
; %bb.671:                              ;   in Loop: Header=BB235_16 Depth=1
	v_ffbh_u32_e32 v1, v28
	v_min_u32_e32 v1, 32, v1
	v_subrev_nc_u32_e32 v8, 28, v1
	v_sub_nc_u32_e32 v1, 29, v1
	v_lshlrev_b64 v[8:9], v8, v[28:29]
	v_and_b32_e32 v28, 7, v8
; %bb.672:                              ;   in Loop: Header=BB235_16 Depth=1
	s_or_b32 exec_lo, exec_lo, s26
	v_lshlrev_b32_e32 v8, 16, v0
	v_lshlrev_b32_e32 v9, 20, v28
	v_lshl_add_u32 v1, v1, 23, 0x3c000000
	v_mov_b32_e32 v96, v29
	v_and_b32_e32 v8, 0x80000000, v8
	v_or3_b32 v97, v9, v8, v1
.LBB235_673:                            ;   in Loop: Header=BB235_16 Depth=1
	s_or_b32 exec_lo, exec_lo, s25
.LBB235_674:                            ;   in Loop: Header=BB235_16 Depth=1
	s_or_b32 exec_lo, exec_lo, s24
.LBB235_675:                            ;   in Loop: Header=BB235_16 Depth=1
	s_or_b32 exec_lo, exec_lo, s23
	v_mov_b32_e32 v1, 0xff
	v_mov_b32_e32 v116, 0
	;; [unrolled: 1-line block ×5, first 2 shown]
	v_and_b32_sdwa v1, v0, v1 dst_sel:DWORD dst_unused:UNUSED_PAD src0_sel:WORD_1 src1_sel:DWORD
	s_mov_b32 s23, exec_lo
	v_cmpx_ne_u16_e32 0, v1
	s_cbranch_execz .LBB235_683
; %bb.676:                              ;   in Loop: Header=BB235_16 Depth=1
	v_bfrev_b32_e32 v98, 1
	v_mov_b32_e32 v99, 0
	s_mov_b32 s24, exec_lo
	v_cmpx_ne_u16_e32 0x80, v1
	s_cbranch_execz .LBB235_682
; %bb.677:                              ;   in Loop: Header=BB235_16 Depth=1
	v_mov_b32_e32 v98, 0x7f800001
	v_bfe_u32 v8, v0, 16, 7
	v_mov_b32_e32 v99, 0
	s_mov_b32 s25, exec_lo
	v_cmpx_ne_u32_e32 0x7f, v8
	s_cbranch_execz .LBB235_681
; %bb.678:                              ;   in Loop: Header=BB235_16 Depth=1
	v_mov_b32_e32 v1, 7
	s_mov_b32 s26, exec_lo
	v_and_b32_sdwa v28, v0, v1 dst_sel:DWORD dst_unused:UNUSED_PAD src0_sel:WORD_1 src1_sel:DWORD
	v_lshrrev_b32_e32 v1, 3, v8
	v_cmpx_gt_u32_e32 8, v8
; %bb.679:                              ;   in Loop: Header=BB235_16 Depth=1
	v_ffbh_u32_e32 v1, v28
	v_min_u32_e32 v1, 32, v1
	v_subrev_nc_u32_e32 v8, 28, v1
	v_sub_nc_u32_e32 v1, 29, v1
	v_lshlrev_b64 v[8:9], v8, v[28:29]
	v_and_b32_e32 v28, 7, v8
; %bb.680:                              ;   in Loop: Header=BB235_16 Depth=1
	s_or_b32 exec_lo, exec_lo, s26
	v_mov_b32_e32 v2, 24
	v_lshlrev_b32_e32 v9, 20, v28
	v_lshl_add_u32 v1, v1, 23, 0x3c000000
	v_lshlrev_b32_sdwa v8, v2, v0 dst_sel:DWORD dst_unused:UNUSED_PAD src0_sel:DWORD src1_sel:WORD_1
	v_and_b32_e32 v8, 0x80000000, v8
	v_or3_b32 v28, v9, v8, v1
	v_mov_b32_e32 v99, v29
	v_mov_b32_e32 v98, v28
.LBB235_681:                            ;   in Loop: Header=BB235_16 Depth=1
	s_or_b32 exec_lo, exec_lo, s25
.LBB235_682:                            ;   in Loop: Header=BB235_16 Depth=1
	s_or_b32 exec_lo, exec_lo, s24
.LBB235_683:                            ;   in Loop: Header=BB235_16 Depth=1
	s_or_b32 exec_lo, exec_lo, s23
	s_mov_b32 s23, exec_lo
	v_cmpx_lt_u32_e32 0xffffff, v0
	s_cbranch_execz .LBB235_691
; %bb.684:                              ;   in Loop: Header=BB235_16 Depth=1
	v_mov_b32_e32 v110, v29
	v_mov_b32_e32 v1, 0x80
	;; [unrolled: 1-line block ×4, first 2 shown]
	v_cmp_ne_u32_sdwa s5, v0, v1 src0_sel:BYTE_3 src1_sel:DWORD
	s_and_saveexec_b32 s24, s5
	s_cbranch_execz .LBB235_690
; %bb.685:                              ;   in Loop: Header=BB235_16 Depth=1
	v_mov_b32_e32 v104, v29
	v_mov_b32_e32 v117, v105
	v_bfe_u32 v8, v0, 24, 7
	s_mov_b32 s25, exec_lo
	v_mov_b32_e32 v116, v104
	v_cmpx_ne_u32_e32 0x7f, v8
	s_cbranch_execz .LBB235_689
; %bb.686:                              ;   in Loop: Header=BB235_16 Depth=1
	v_mov_b32_e32 v1, 7
	s_mov_b32 s26, exec_lo
	v_and_b32_sdwa v28, v0, v1 dst_sel:DWORD dst_unused:UNUSED_PAD src0_sel:BYTE_3 src1_sel:DWORD
	v_lshrrev_b32_e32 v1, 3, v8
	v_cmpx_gt_u32_e32 8, v8
; %bb.687:                              ;   in Loop: Header=BB235_16 Depth=1
	v_ffbh_u32_e32 v1, v28
	v_min_u32_e32 v1, 32, v1
	v_subrev_nc_u32_e32 v8, 28, v1
	v_sub_nc_u32_e32 v1, 29, v1
	v_lshlrev_b64 v[8:9], v8, v[28:29]
	v_and_b32_e32 v28, 7, v8
; %bb.688:                              ;   in Loop: Header=BB235_16 Depth=1
	s_or_b32 exec_lo, exec_lo, s26
	v_mov_b32_e32 v2, 24
	v_lshlrev_b32_e32 v8, 20, v28
	v_lshl_add_u32 v1, v1, 23, 0x3c000000
	v_mov_b32_e32 v116, v29
	v_lshlrev_b32_sdwa v0, v2, v0 dst_sel:DWORD dst_unused:UNUSED_PAD src0_sel:DWORD src1_sel:BYTE_3
	v_and_b32_e32 v0, 0x80000000, v0
	v_or3_b32 v117, v8, v0, v1
.LBB235_689:                            ;   in Loop: Header=BB235_16 Depth=1
	s_or_b32 exec_lo, exec_lo, s25
.LBB235_690:                            ;   in Loop: Header=BB235_16 Depth=1
	s_or_b32 exec_lo, exec_lo, s24
.LBB235_691:                            ;   in Loop: Header=BB235_16 Depth=1
	s_or_b32 exec_lo, exec_lo, s23
	flat_load_dword v0, v[68:69] offset:516
	v_mov_b32_e32 v112, 0
	v_mov_b32_e32 v118, 0
	;; [unrolled: 1-line block ×4, first 2 shown]
	s_waitcnt vmcnt(0) lgkmcnt(0)
	v_cmp_ne_u16_sdwa s5, v0, v29 src0_sel:BYTE_0 src1_sel:DWORD
	s_and_saveexec_b32 s23, s5
	s_cbranch_execz .LBB235_699
; %bb.692:                              ;   in Loop: Header=BB235_16 Depth=1
	v_mov_b32_e32 v1, 0x80
	v_bfrev_b32_e32 v118, 1
	v_mov_b32_e32 v119, 0
	v_cmp_ne_u16_sdwa s5, v0, v1 src0_sel:BYTE_0 src1_sel:DWORD
	s_and_saveexec_b32 s24, s5
	s_cbranch_execz .LBB235_698
; %bb.693:                              ;   in Loop: Header=BB235_16 Depth=1
	v_mov_b32_e32 v118, 0x7f800001
	v_and_b32_e32 v8, 0x7f, v0
	v_mov_b32_e32 v119, 0
	s_mov_b32 s25, exec_lo
	v_cmpx_ne_u32_e32 0x7f, v8
	s_cbranch_execz .LBB235_697
; %bb.694:                              ;   in Loop: Header=BB235_16 Depth=1
	v_and_b32_e32 v28, 7, v0
	v_lshrrev_b32_e32 v1, 3, v8
	s_mov_b32 s26, exec_lo
	v_cmpx_gt_u32_e32 8, v8
; %bb.695:                              ;   in Loop: Header=BB235_16 Depth=1
	v_ffbh_u32_e32 v1, v28
	v_min_u32_e32 v1, 32, v1
	v_subrev_nc_u32_e32 v8, 28, v1
	v_sub_nc_u32_e32 v1, 29, v1
	v_lshlrev_b64 v[8:9], v8, v[28:29]
	v_and_b32_e32 v28, 7, v8
; %bb.696:                              ;   in Loop: Header=BB235_16 Depth=1
	s_or_b32 exec_lo, exec_lo, s26
	v_lshlrev_b32_e32 v8, 24, v0
	v_lshlrev_b32_e32 v9, 20, v28
	v_lshl_add_u32 v1, v1, 23, 0x3c000000
	v_and_b32_e32 v8, 0x80000000, v8
	v_or3_b32 v28, v9, v8, v1
	v_mov_b32_e32 v119, v29
	v_mov_b32_e32 v118, v28
.LBB235_697:                            ;   in Loop: Header=BB235_16 Depth=1
	s_or_b32 exec_lo, exec_lo, s25
.LBB235_698:                            ;   in Loop: Header=BB235_16 Depth=1
	s_or_b32 exec_lo, exec_lo, s24
.LBB235_699:                            ;   in Loop: Header=BB235_16 Depth=1
	s_or_b32 exec_lo, exec_lo, s23
	v_cmp_ne_u16_sdwa s5, v0, v29 src0_sel:BYTE_1 src1_sel:DWORD
	s_and_saveexec_b32 s23, s5
	s_cbranch_execz .LBB235_707
; %bb.700:                              ;   in Loop: Header=BB235_16 Depth=1
	v_mov_b32_e32 v110, v29
	v_mov_b32_e32 v1, 0x80
	;; [unrolled: 1-line block ×4, first 2 shown]
	v_cmp_ne_u16_sdwa s5, v0, v1 src0_sel:BYTE_1 src1_sel:DWORD
	s_and_saveexec_b32 s24, s5
	s_cbranch_execz .LBB235_706
; %bb.701:                              ;   in Loop: Header=BB235_16 Depth=1
	v_mov_b32_e32 v1, 0xffff
	v_mov_b32_e32 v104, v29
	;; [unrolled: 1-line block ×3, first 2 shown]
	s_mov_b32 s25, exec_lo
	v_and_b32_sdwa v1, v1, v0 dst_sel:DWORD dst_unused:UNUSED_PAD src0_sel:DWORD src1_sel:BYTE_1
	v_mov_b32_e32 v112, v104
	v_and_b32_e32 v8, 0x7f, v1
	v_cmpx_ne_u32_e32 0x7f, v8
	s_cbranch_execz .LBB235_705
; %bb.702:                              ;   in Loop: Header=BB235_16 Depth=1
	v_and_b32_e32 v28, 7, v1
	v_lshrrev_b32_e32 v1, 3, v8
	s_mov_b32 s26, exec_lo
	v_cmpx_gt_u32_e32 8, v8
; %bb.703:                              ;   in Loop: Header=BB235_16 Depth=1
	v_ffbh_u32_e32 v1, v28
	v_min_u32_e32 v1, 32, v1
	v_subrev_nc_u32_e32 v8, 28, v1
	v_sub_nc_u32_e32 v1, 29, v1
	v_lshlrev_b64 v[8:9], v8, v[28:29]
	v_and_b32_e32 v28, 7, v8
; %bb.704:                              ;   in Loop: Header=BB235_16 Depth=1
	s_or_b32 exec_lo, exec_lo, s26
	v_lshlrev_b32_e32 v8, 16, v0
	v_lshlrev_b32_e32 v9, 20, v28
	v_lshl_add_u32 v1, v1, 23, 0x3c000000
	v_mov_b32_e32 v112, v29
	v_and_b32_e32 v8, 0x80000000, v8
	v_or3_b32 v113, v9, v8, v1
.LBB235_705:                            ;   in Loop: Header=BB235_16 Depth=1
	s_or_b32 exec_lo, exec_lo, s25
.LBB235_706:                            ;   in Loop: Header=BB235_16 Depth=1
	s_or_b32 exec_lo, exec_lo, s24
.LBB235_707:                            ;   in Loop: Header=BB235_16 Depth=1
	s_or_b32 exec_lo, exec_lo, s23
	v_mov_b32_e32 v1, 0xff
	v_mov_b32_e32 v42, 0
	;; [unrolled: 1-line block ×5, first 2 shown]
	v_and_b32_sdwa v1, v0, v1 dst_sel:DWORD dst_unused:UNUSED_PAD src0_sel:WORD_1 src1_sel:DWORD
	s_mov_b32 s23, exec_lo
	v_cmpx_ne_u16_e32 0, v1
	s_cbranch_execz .LBB235_715
; %bb.708:                              ;   in Loop: Header=BB235_16 Depth=1
	v_bfrev_b32_e32 v114, 1
	v_mov_b32_e32 v115, 0
	s_mov_b32 s24, exec_lo
	v_cmpx_ne_u16_e32 0x80, v1
	s_cbranch_execz .LBB235_714
; %bb.709:                              ;   in Loop: Header=BB235_16 Depth=1
	v_mov_b32_e32 v114, 0x7f800001
	v_bfe_u32 v8, v0, 16, 7
	v_mov_b32_e32 v115, 0
	s_mov_b32 s25, exec_lo
	v_cmpx_ne_u32_e32 0x7f, v8
	s_cbranch_execz .LBB235_713
; %bb.710:                              ;   in Loop: Header=BB235_16 Depth=1
	v_mov_b32_e32 v1, 7
	s_mov_b32 s26, exec_lo
	v_and_b32_sdwa v28, v0, v1 dst_sel:DWORD dst_unused:UNUSED_PAD src0_sel:WORD_1 src1_sel:DWORD
	v_lshrrev_b32_e32 v1, 3, v8
	v_cmpx_gt_u32_e32 8, v8
; %bb.711:                              ;   in Loop: Header=BB235_16 Depth=1
	v_ffbh_u32_e32 v1, v28
	v_min_u32_e32 v1, 32, v1
	v_subrev_nc_u32_e32 v8, 28, v1
	v_sub_nc_u32_e32 v1, 29, v1
	v_lshlrev_b64 v[8:9], v8, v[28:29]
	v_and_b32_e32 v28, 7, v8
; %bb.712:                              ;   in Loop: Header=BB235_16 Depth=1
	s_or_b32 exec_lo, exec_lo, s26
	v_mov_b32_e32 v2, 24
	v_lshlrev_b32_e32 v9, 20, v28
	v_lshl_add_u32 v1, v1, 23, 0x3c000000
	v_lshlrev_b32_sdwa v8, v2, v0 dst_sel:DWORD dst_unused:UNUSED_PAD src0_sel:DWORD src1_sel:WORD_1
	v_and_b32_e32 v8, 0x80000000, v8
	v_or3_b32 v28, v9, v8, v1
	v_mov_b32_e32 v115, v29
	v_mov_b32_e32 v114, v28
.LBB235_713:                            ;   in Loop: Header=BB235_16 Depth=1
	s_or_b32 exec_lo, exec_lo, s25
.LBB235_714:                            ;   in Loop: Header=BB235_16 Depth=1
	s_or_b32 exec_lo, exec_lo, s24
.LBB235_715:                            ;   in Loop: Header=BB235_16 Depth=1
	s_or_b32 exec_lo, exec_lo, s23
	s_mov_b32 s23, exec_lo
	v_cmpx_lt_u32_e32 0xffffff, v0
	s_cbranch_execz .LBB235_723
; %bb.716:                              ;   in Loop: Header=BB235_16 Depth=1
	v_mov_b32_e32 v110, v29
	v_mov_b32_e32 v1, 0x80
	;; [unrolled: 1-line block ×3, first 2 shown]
	v_cmp_ne_u32_sdwa s5, v0, v1 src0_sel:BYTE_3 src1_sel:DWORD
	v_mov_b32_e32 v43, v111
	s_and_saveexec_b32 s24, s5
	s_cbranch_execz .LBB235_722
; %bb.717:                              ;   in Loop: Header=BB235_16 Depth=1
	v_mov_b32_e32 v104, v29
	v_bfe_u32 v8, v0, 24, 7
	s_mov_b32 s25, exec_lo
	v_mov_b32_e32 v42, v104
	v_mov_b32_e32 v43, v105
	v_cmpx_ne_u32_e32 0x7f, v8
	s_cbranch_execz .LBB235_721
; %bb.718:                              ;   in Loop: Header=BB235_16 Depth=1
	v_mov_b32_e32 v1, 7
	s_mov_b32 s26, exec_lo
	v_and_b32_sdwa v28, v0, v1 dst_sel:DWORD dst_unused:UNUSED_PAD src0_sel:BYTE_3 src1_sel:DWORD
	v_lshrrev_b32_e32 v1, 3, v8
	v_cmpx_gt_u32_e32 8, v8
; %bb.719:                              ;   in Loop: Header=BB235_16 Depth=1
	v_ffbh_u32_e32 v1, v28
	v_min_u32_e32 v1, 32, v1
	v_subrev_nc_u32_e32 v8, 28, v1
	v_sub_nc_u32_e32 v1, 29, v1
	v_lshlrev_b64 v[8:9], v8, v[28:29]
	v_and_b32_e32 v28, 7, v8
; %bb.720:                              ;   in Loop: Header=BB235_16 Depth=1
	s_or_b32 exec_lo, exec_lo, s26
	v_mov_b32_e32 v2, 24
	v_lshlrev_b32_e32 v8, 20, v28
	v_lshl_add_u32 v1, v1, 23, 0x3c000000
	v_mov_b32_e32 v42, v29
	v_lshlrev_b32_sdwa v0, v2, v0 dst_sel:DWORD dst_unused:UNUSED_PAD src0_sel:DWORD src1_sel:BYTE_3
	v_and_b32_e32 v0, 0x80000000, v0
	v_or3_b32 v43, v8, v0, v1
.LBB235_721:                            ;   in Loop: Header=BB235_16 Depth=1
	s_or_b32 exec_lo, exec_lo, s25
.LBB235_722:                            ;   in Loop: Header=BB235_16 Depth=1
	s_or_b32 exec_lo, exec_lo, s24
.LBB235_723:                            ;   in Loop: Header=BB235_16 Depth=1
	s_or_b32 exec_lo, exec_lo, s23
	flat_load_dword v0, v[68:69] offset:520
	v_mov_b32_e32 v38, 0
	v_mov_b32_e32 v44, 0
	;; [unrolled: 1-line block ×4, first 2 shown]
	s_waitcnt vmcnt(0) lgkmcnt(0)
	v_cmp_ne_u16_sdwa s5, v0, v29 src0_sel:BYTE_0 src1_sel:DWORD
	s_and_saveexec_b32 s23, s5
	s_cbranch_execz .LBB235_731
; %bb.724:                              ;   in Loop: Header=BB235_16 Depth=1
	v_mov_b32_e32 v1, 0x80
	v_bfrev_b32_e32 v44, 1
	v_mov_b32_e32 v45, 0
	v_cmp_ne_u16_sdwa s5, v0, v1 src0_sel:BYTE_0 src1_sel:DWORD
	s_and_saveexec_b32 s24, s5
	s_cbranch_execz .LBB235_730
; %bb.725:                              ;   in Loop: Header=BB235_16 Depth=1
	v_mov_b32_e32 v44, 0x7f800001
	v_and_b32_e32 v8, 0x7f, v0
	v_mov_b32_e32 v45, 0
	s_mov_b32 s25, exec_lo
	v_cmpx_ne_u32_e32 0x7f, v8
	s_cbranch_execz .LBB235_729
; %bb.726:                              ;   in Loop: Header=BB235_16 Depth=1
	v_and_b32_e32 v28, 7, v0
	v_lshrrev_b32_e32 v1, 3, v8
	s_mov_b32 s26, exec_lo
	v_cmpx_gt_u32_e32 8, v8
; %bb.727:                              ;   in Loop: Header=BB235_16 Depth=1
	v_ffbh_u32_e32 v1, v28
	v_min_u32_e32 v1, 32, v1
	v_subrev_nc_u32_e32 v8, 28, v1
	v_sub_nc_u32_e32 v1, 29, v1
	v_lshlrev_b64 v[8:9], v8, v[28:29]
	v_and_b32_e32 v28, 7, v8
; %bb.728:                              ;   in Loop: Header=BB235_16 Depth=1
	s_or_b32 exec_lo, exec_lo, s26
	v_lshlrev_b32_e32 v8, 24, v0
	v_lshlrev_b32_e32 v9, 20, v28
	v_lshl_add_u32 v1, v1, 23, 0x3c000000
	v_and_b32_e32 v8, 0x80000000, v8
	v_or3_b32 v28, v9, v8, v1
	v_mov_b32_e32 v45, v29
	v_mov_b32_e32 v44, v28
.LBB235_729:                            ;   in Loop: Header=BB235_16 Depth=1
	s_or_b32 exec_lo, exec_lo, s25
.LBB235_730:                            ;   in Loop: Header=BB235_16 Depth=1
	s_or_b32 exec_lo, exec_lo, s24
.LBB235_731:                            ;   in Loop: Header=BB235_16 Depth=1
	s_or_b32 exec_lo, exec_lo, s23
	v_cmp_ne_u16_sdwa s5, v0, v29 src0_sel:BYTE_1 src1_sel:DWORD
	s_and_saveexec_b32 s23, s5
	s_cbranch_execz .LBB235_739
; %bb.732:                              ;   in Loop: Header=BB235_16 Depth=1
	v_mov_b32_e32 v110, v29
	v_mov_b32_e32 v1, 0x80
	;; [unrolled: 1-line block ×3, first 2 shown]
	v_cmp_ne_u16_sdwa s5, v0, v1 src0_sel:BYTE_1 src1_sel:DWORD
	v_mov_b32_e32 v39, v111
	s_and_saveexec_b32 s24, s5
	s_cbranch_execz .LBB235_738
; %bb.733:                              ;   in Loop: Header=BB235_16 Depth=1
	v_mov_b32_e32 v1, 0xffff
	v_mov_b32_e32 v104, v29
	s_mov_b32 s25, exec_lo
	v_and_b32_sdwa v1, v1, v0 dst_sel:DWORD dst_unused:UNUSED_PAD src0_sel:DWORD src1_sel:BYTE_1
	v_mov_b32_e32 v38, v104
	v_mov_b32_e32 v39, v105
	v_and_b32_e32 v8, 0x7f, v1
	v_cmpx_ne_u32_e32 0x7f, v8
	s_cbranch_execz .LBB235_737
; %bb.734:                              ;   in Loop: Header=BB235_16 Depth=1
	v_and_b32_e32 v28, 7, v1
	v_lshrrev_b32_e32 v1, 3, v8
	s_mov_b32 s26, exec_lo
	v_cmpx_gt_u32_e32 8, v8
; %bb.735:                              ;   in Loop: Header=BB235_16 Depth=1
	v_ffbh_u32_e32 v1, v28
	v_min_u32_e32 v1, 32, v1
	v_subrev_nc_u32_e32 v8, 28, v1
	v_sub_nc_u32_e32 v1, 29, v1
	v_lshlrev_b64 v[8:9], v8, v[28:29]
	v_and_b32_e32 v28, 7, v8
; %bb.736:                              ;   in Loop: Header=BB235_16 Depth=1
	s_or_b32 exec_lo, exec_lo, s26
	v_lshlrev_b32_e32 v8, 16, v0
	v_lshlrev_b32_e32 v9, 20, v28
	v_lshl_add_u32 v1, v1, 23, 0x3c000000
	v_mov_b32_e32 v38, v29
	v_and_b32_e32 v8, 0x80000000, v8
	v_or3_b32 v39, v9, v8, v1
.LBB235_737:                            ;   in Loop: Header=BB235_16 Depth=1
	s_or_b32 exec_lo, exec_lo, s25
.LBB235_738:                            ;   in Loop: Header=BB235_16 Depth=1
	s_or_b32 exec_lo, exec_lo, s24
.LBB235_739:                            ;   in Loop: Header=BB235_16 Depth=1
	s_or_b32 exec_lo, exec_lo, s23
	v_mov_b32_e32 v1, 0xff
	v_mov_b32_e32 v58, 0
	;; [unrolled: 1-line block ×5, first 2 shown]
	v_and_b32_sdwa v1, v0, v1 dst_sel:DWORD dst_unused:UNUSED_PAD src0_sel:WORD_1 src1_sel:DWORD
	s_mov_b32 s23, exec_lo
	v_cmpx_ne_u16_e32 0, v1
	s_cbranch_execz .LBB235_747
; %bb.740:                              ;   in Loop: Header=BB235_16 Depth=1
	v_bfrev_b32_e32 v40, 1
	v_mov_b32_e32 v41, 0
	s_mov_b32 s24, exec_lo
	v_cmpx_ne_u16_e32 0x80, v1
	s_cbranch_execz .LBB235_746
; %bb.741:                              ;   in Loop: Header=BB235_16 Depth=1
	v_mov_b32_e32 v40, 0x7f800001
	v_bfe_u32 v8, v0, 16, 7
	v_mov_b32_e32 v41, 0
	s_mov_b32 s25, exec_lo
	v_cmpx_ne_u32_e32 0x7f, v8
	s_cbranch_execz .LBB235_745
; %bb.742:                              ;   in Loop: Header=BB235_16 Depth=1
	v_mov_b32_e32 v1, 7
	s_mov_b32 s26, exec_lo
	v_and_b32_sdwa v28, v0, v1 dst_sel:DWORD dst_unused:UNUSED_PAD src0_sel:WORD_1 src1_sel:DWORD
	v_lshrrev_b32_e32 v1, 3, v8
	v_cmpx_gt_u32_e32 8, v8
; %bb.743:                              ;   in Loop: Header=BB235_16 Depth=1
	v_ffbh_u32_e32 v1, v28
	v_min_u32_e32 v1, 32, v1
	v_subrev_nc_u32_e32 v8, 28, v1
	v_sub_nc_u32_e32 v1, 29, v1
	v_lshlrev_b64 v[8:9], v8, v[28:29]
	v_and_b32_e32 v28, 7, v8
; %bb.744:                              ;   in Loop: Header=BB235_16 Depth=1
	s_or_b32 exec_lo, exec_lo, s26
	v_mov_b32_e32 v2, 24
	v_lshlrev_b32_e32 v9, 20, v28
	v_lshl_add_u32 v1, v1, 23, 0x3c000000
	v_lshlrev_b32_sdwa v8, v2, v0 dst_sel:DWORD dst_unused:UNUSED_PAD src0_sel:DWORD src1_sel:WORD_1
	v_and_b32_e32 v8, 0x80000000, v8
	v_or3_b32 v28, v9, v8, v1
	v_mov_b32_e32 v41, v29
	v_mov_b32_e32 v40, v28
.LBB235_745:                            ;   in Loop: Header=BB235_16 Depth=1
	s_or_b32 exec_lo, exec_lo, s25
.LBB235_746:                            ;   in Loop: Header=BB235_16 Depth=1
	s_or_b32 exec_lo, exec_lo, s24
.LBB235_747:                            ;   in Loop: Header=BB235_16 Depth=1
	s_or_b32 exec_lo, exec_lo, s23
	s_mov_b32 s23, exec_lo
	v_cmpx_lt_u32_e32 0xffffff, v0
	s_cbranch_execz .LBB235_755
; %bb.748:                              ;   in Loop: Header=BB235_16 Depth=1
	v_mov_b32_e32 v110, v29
	v_mov_b32_e32 v1, 0x80
	;; [unrolled: 1-line block ×3, first 2 shown]
	v_cmp_ne_u32_sdwa s5, v0, v1 src0_sel:BYTE_3 src1_sel:DWORD
	v_mov_b32_e32 v59, v111
	s_and_saveexec_b32 s24, s5
	s_cbranch_execz .LBB235_754
; %bb.749:                              ;   in Loop: Header=BB235_16 Depth=1
	v_mov_b32_e32 v104, v29
	v_bfe_u32 v8, v0, 24, 7
	s_mov_b32 s25, exec_lo
	v_mov_b32_e32 v58, v104
	v_mov_b32_e32 v59, v105
	v_cmpx_ne_u32_e32 0x7f, v8
	s_cbranch_execz .LBB235_753
; %bb.750:                              ;   in Loop: Header=BB235_16 Depth=1
	v_mov_b32_e32 v1, 7
	s_mov_b32 s26, exec_lo
	v_and_b32_sdwa v28, v0, v1 dst_sel:DWORD dst_unused:UNUSED_PAD src0_sel:BYTE_3 src1_sel:DWORD
	v_lshrrev_b32_e32 v1, 3, v8
	v_cmpx_gt_u32_e32 8, v8
; %bb.751:                              ;   in Loop: Header=BB235_16 Depth=1
	v_ffbh_u32_e32 v1, v28
	v_min_u32_e32 v1, 32, v1
	v_subrev_nc_u32_e32 v8, 28, v1
	v_sub_nc_u32_e32 v1, 29, v1
	v_lshlrev_b64 v[8:9], v8, v[28:29]
	v_and_b32_e32 v28, 7, v8
; %bb.752:                              ;   in Loop: Header=BB235_16 Depth=1
	s_or_b32 exec_lo, exec_lo, s26
	v_mov_b32_e32 v2, 24
	v_lshlrev_b32_e32 v8, 20, v28
	v_lshl_add_u32 v1, v1, 23, 0x3c000000
	v_mov_b32_e32 v58, v29
	v_lshlrev_b32_sdwa v0, v2, v0 dst_sel:DWORD dst_unused:UNUSED_PAD src0_sel:DWORD src1_sel:BYTE_3
	v_and_b32_e32 v0, 0x80000000, v0
	v_or3_b32 v59, v8, v0, v1
.LBB235_753:                            ;   in Loop: Header=BB235_16 Depth=1
	s_or_b32 exec_lo, exec_lo, s25
.LBB235_754:                            ;   in Loop: Header=BB235_16 Depth=1
	s_or_b32 exec_lo, exec_lo, s24
.LBB235_755:                            ;   in Loop: Header=BB235_16 Depth=1
	s_or_b32 exec_lo, exec_lo, s23
	flat_load_dword v0, v[68:69] offset:524
	v_mov_b32_e32 v46, 0
	v_mov_b32_e32 v60, 0
	;; [unrolled: 1-line block ×4, first 2 shown]
	s_waitcnt vmcnt(0) lgkmcnt(0)
	v_cmp_ne_u16_sdwa s5, v0, v29 src0_sel:BYTE_0 src1_sel:DWORD
	s_and_saveexec_b32 s23, s5
	s_cbranch_execz .LBB235_763
; %bb.756:                              ;   in Loop: Header=BB235_16 Depth=1
	v_mov_b32_e32 v1, 0x80
	v_bfrev_b32_e32 v60, 1
	v_mov_b32_e32 v61, 0
	v_cmp_ne_u16_sdwa s5, v0, v1 src0_sel:BYTE_0 src1_sel:DWORD
	s_and_saveexec_b32 s24, s5
	s_cbranch_execz .LBB235_762
; %bb.757:                              ;   in Loop: Header=BB235_16 Depth=1
	v_mov_b32_e32 v60, 0x7f800001
	v_and_b32_e32 v8, 0x7f, v0
	v_mov_b32_e32 v61, 0
	s_mov_b32 s25, exec_lo
	v_cmpx_ne_u32_e32 0x7f, v8
	s_cbranch_execz .LBB235_761
; %bb.758:                              ;   in Loop: Header=BB235_16 Depth=1
	v_and_b32_e32 v28, 7, v0
	v_lshrrev_b32_e32 v1, 3, v8
	s_mov_b32 s26, exec_lo
	v_cmpx_gt_u32_e32 8, v8
; %bb.759:                              ;   in Loop: Header=BB235_16 Depth=1
	v_ffbh_u32_e32 v1, v28
	v_min_u32_e32 v1, 32, v1
	v_subrev_nc_u32_e32 v8, 28, v1
	v_sub_nc_u32_e32 v1, 29, v1
	v_lshlrev_b64 v[8:9], v8, v[28:29]
	v_and_b32_e32 v28, 7, v8
; %bb.760:                              ;   in Loop: Header=BB235_16 Depth=1
	s_or_b32 exec_lo, exec_lo, s26
	v_lshlrev_b32_e32 v8, 24, v0
	v_lshlrev_b32_e32 v9, 20, v28
	v_lshl_add_u32 v1, v1, 23, 0x3c000000
	v_and_b32_e32 v8, 0x80000000, v8
	v_or3_b32 v28, v9, v8, v1
	v_mov_b32_e32 v61, v29
	v_mov_b32_e32 v60, v28
.LBB235_761:                            ;   in Loop: Header=BB235_16 Depth=1
	s_or_b32 exec_lo, exec_lo, s25
.LBB235_762:                            ;   in Loop: Header=BB235_16 Depth=1
	s_or_b32 exec_lo, exec_lo, s24
.LBB235_763:                            ;   in Loop: Header=BB235_16 Depth=1
	s_or_b32 exec_lo, exec_lo, s23
	v_cmp_ne_u16_sdwa s5, v0, v29 src0_sel:BYTE_1 src1_sel:DWORD
	s_and_saveexec_b32 s23, s5
	s_cbranch_execz .LBB235_771
; %bb.764:                              ;   in Loop: Header=BB235_16 Depth=1
	v_mov_b32_e32 v110, v29
	v_mov_b32_e32 v1, 0x80
	;; [unrolled: 1-line block ×3, first 2 shown]
	v_cmp_ne_u16_sdwa s5, v0, v1 src0_sel:BYTE_1 src1_sel:DWORD
	v_mov_b32_e32 v47, v111
	s_and_saveexec_b32 s24, s5
	s_cbranch_execz .LBB235_770
; %bb.765:                              ;   in Loop: Header=BB235_16 Depth=1
	v_mov_b32_e32 v1, 0xffff
	v_mov_b32_e32 v104, v29
	s_mov_b32 s25, exec_lo
	v_and_b32_sdwa v1, v1, v0 dst_sel:DWORD dst_unused:UNUSED_PAD src0_sel:DWORD src1_sel:BYTE_1
	v_mov_b32_e32 v46, v104
	v_mov_b32_e32 v47, v105
	v_and_b32_e32 v8, 0x7f, v1
	v_cmpx_ne_u32_e32 0x7f, v8
	s_cbranch_execz .LBB235_769
; %bb.766:                              ;   in Loop: Header=BB235_16 Depth=1
	v_and_b32_e32 v28, 7, v1
	v_lshrrev_b32_e32 v1, 3, v8
	s_mov_b32 s26, exec_lo
	v_cmpx_gt_u32_e32 8, v8
; %bb.767:                              ;   in Loop: Header=BB235_16 Depth=1
	v_ffbh_u32_e32 v1, v28
	v_min_u32_e32 v1, 32, v1
	v_subrev_nc_u32_e32 v8, 28, v1
	v_sub_nc_u32_e32 v1, 29, v1
	v_lshlrev_b64 v[8:9], v8, v[28:29]
	v_and_b32_e32 v28, 7, v8
; %bb.768:                              ;   in Loop: Header=BB235_16 Depth=1
	s_or_b32 exec_lo, exec_lo, s26
	v_lshlrev_b32_e32 v8, 16, v0
	v_lshlrev_b32_e32 v9, 20, v28
	v_lshl_add_u32 v1, v1, 23, 0x3c000000
	v_mov_b32_e32 v46, v29
	v_and_b32_e32 v8, 0x80000000, v8
	v_or3_b32 v47, v9, v8, v1
.LBB235_769:                            ;   in Loop: Header=BB235_16 Depth=1
	s_or_b32 exec_lo, exec_lo, s25
.LBB235_770:                            ;   in Loop: Header=BB235_16 Depth=1
	s_or_b32 exec_lo, exec_lo, s24
.LBB235_771:                            ;   in Loop: Header=BB235_16 Depth=1
	s_or_b32 exec_lo, exec_lo, s23
	v_mov_b32_e32 v1, 0xff
	v_mov_b32_e32 v74, 0
	;; [unrolled: 1-line block ×5, first 2 shown]
	v_and_b32_sdwa v1, v0, v1 dst_sel:DWORD dst_unused:UNUSED_PAD src0_sel:WORD_1 src1_sel:DWORD
	s_mov_b32 s23, exec_lo
	v_cmpx_ne_u16_e32 0, v1
	s_cbranch_execz .LBB235_779
; %bb.772:                              ;   in Loop: Header=BB235_16 Depth=1
	v_bfrev_b32_e32 v56, 1
	v_mov_b32_e32 v57, 0
	s_mov_b32 s24, exec_lo
	v_cmpx_ne_u16_e32 0x80, v1
	s_cbranch_execz .LBB235_778
; %bb.773:                              ;   in Loop: Header=BB235_16 Depth=1
	v_mov_b32_e32 v56, 0x7f800001
	v_bfe_u32 v8, v0, 16, 7
	v_mov_b32_e32 v57, 0
	s_mov_b32 s25, exec_lo
	v_cmpx_ne_u32_e32 0x7f, v8
	s_cbranch_execz .LBB235_777
; %bb.774:                              ;   in Loop: Header=BB235_16 Depth=1
	v_mov_b32_e32 v1, 7
	s_mov_b32 s26, exec_lo
	v_and_b32_sdwa v28, v0, v1 dst_sel:DWORD dst_unused:UNUSED_PAD src0_sel:WORD_1 src1_sel:DWORD
	v_lshrrev_b32_e32 v1, 3, v8
	v_cmpx_gt_u32_e32 8, v8
; %bb.775:                              ;   in Loop: Header=BB235_16 Depth=1
	v_ffbh_u32_e32 v1, v28
	v_min_u32_e32 v1, 32, v1
	v_subrev_nc_u32_e32 v8, 28, v1
	v_sub_nc_u32_e32 v1, 29, v1
	v_lshlrev_b64 v[8:9], v8, v[28:29]
	v_and_b32_e32 v28, 7, v8
; %bb.776:                              ;   in Loop: Header=BB235_16 Depth=1
	s_or_b32 exec_lo, exec_lo, s26
	v_mov_b32_e32 v2, 24
	v_lshlrev_b32_e32 v9, 20, v28
	v_lshl_add_u32 v1, v1, 23, 0x3c000000
	v_lshlrev_b32_sdwa v8, v2, v0 dst_sel:DWORD dst_unused:UNUSED_PAD src0_sel:DWORD src1_sel:WORD_1
	v_and_b32_e32 v8, 0x80000000, v8
	v_or3_b32 v28, v9, v8, v1
	v_mov_b32_e32 v57, v29
	v_mov_b32_e32 v56, v28
.LBB235_777:                            ;   in Loop: Header=BB235_16 Depth=1
	s_or_b32 exec_lo, exec_lo, s25
.LBB235_778:                            ;   in Loop: Header=BB235_16 Depth=1
	s_or_b32 exec_lo, exec_lo, s24
.LBB235_779:                            ;   in Loop: Header=BB235_16 Depth=1
	s_or_b32 exec_lo, exec_lo, s23
	s_mov_b32 s23, exec_lo
	v_cmpx_lt_u32_e32 0xffffff, v0
	s_cbranch_execz .LBB235_787
; %bb.780:                              ;   in Loop: Header=BB235_16 Depth=1
	v_mov_b32_e32 v110, v29
	v_mov_b32_e32 v1, 0x80
	;; [unrolled: 1-line block ×3, first 2 shown]
	v_cmp_ne_u32_sdwa s5, v0, v1 src0_sel:BYTE_3 src1_sel:DWORD
	v_mov_b32_e32 v75, v111
	s_and_saveexec_b32 s24, s5
	s_cbranch_execz .LBB235_786
; %bb.781:                              ;   in Loop: Header=BB235_16 Depth=1
	v_mov_b32_e32 v104, v29
	v_bfe_u32 v8, v0, 24, 7
	s_mov_b32 s25, exec_lo
	v_mov_b32_e32 v74, v104
	v_mov_b32_e32 v75, v105
	v_cmpx_ne_u32_e32 0x7f, v8
	s_cbranch_execz .LBB235_785
; %bb.782:                              ;   in Loop: Header=BB235_16 Depth=1
	v_mov_b32_e32 v1, 7
	s_mov_b32 s26, exec_lo
	v_and_b32_sdwa v28, v0, v1 dst_sel:DWORD dst_unused:UNUSED_PAD src0_sel:BYTE_3 src1_sel:DWORD
	v_lshrrev_b32_e32 v1, 3, v8
	v_cmpx_gt_u32_e32 8, v8
; %bb.783:                              ;   in Loop: Header=BB235_16 Depth=1
	v_ffbh_u32_e32 v1, v28
	v_min_u32_e32 v1, 32, v1
	v_subrev_nc_u32_e32 v8, 28, v1
	v_sub_nc_u32_e32 v1, 29, v1
	v_lshlrev_b64 v[8:9], v8, v[28:29]
	v_and_b32_e32 v28, 7, v8
; %bb.784:                              ;   in Loop: Header=BB235_16 Depth=1
	s_or_b32 exec_lo, exec_lo, s26
	v_mov_b32_e32 v2, 24
	v_lshlrev_b32_e32 v8, 20, v28
	v_lshl_add_u32 v1, v1, 23, 0x3c000000
	v_mov_b32_e32 v74, v29
	v_lshlrev_b32_sdwa v0, v2, v0 dst_sel:DWORD dst_unused:UNUSED_PAD src0_sel:DWORD src1_sel:BYTE_3
	v_and_b32_e32 v0, 0x80000000, v0
	v_or3_b32 v75, v8, v0, v1
.LBB235_785:                            ;   in Loop: Header=BB235_16 Depth=1
	s_or_b32 exec_lo, exec_lo, s25
.LBB235_786:                            ;   in Loop: Header=BB235_16 Depth=1
	s_or_b32 exec_lo, exec_lo, s24
.LBB235_787:                            ;   in Loop: Header=BB235_16 Depth=1
	s_or_b32 exec_lo, exec_lo, s23
	flat_load_dword v0, v[68:69] offset:1024
	v_mov_b32_e32 v62, 0
	v_mov_b32_e32 v76, 0
	;; [unrolled: 1-line block ×4, first 2 shown]
	s_waitcnt vmcnt(0) lgkmcnt(0)
	v_cmp_ne_u16_sdwa s5, v0, v29 src0_sel:BYTE_0 src1_sel:DWORD
	s_and_saveexec_b32 s23, s5
	s_cbranch_execz .LBB235_795
; %bb.788:                              ;   in Loop: Header=BB235_16 Depth=1
	v_mov_b32_e32 v1, 0x80
	v_bfrev_b32_e32 v76, 1
	v_mov_b32_e32 v77, 0
	v_cmp_ne_u16_sdwa s5, v0, v1 src0_sel:BYTE_0 src1_sel:DWORD
	s_and_saveexec_b32 s24, s5
	s_cbranch_execz .LBB235_794
; %bb.789:                              ;   in Loop: Header=BB235_16 Depth=1
	v_mov_b32_e32 v76, 0x7f800001
	v_and_b32_e32 v8, 0x7f, v0
	v_mov_b32_e32 v77, 0
	s_mov_b32 s25, exec_lo
	v_cmpx_ne_u32_e32 0x7f, v8
	s_cbranch_execz .LBB235_793
; %bb.790:                              ;   in Loop: Header=BB235_16 Depth=1
	v_and_b32_e32 v28, 7, v0
	v_lshrrev_b32_e32 v1, 3, v8
	s_mov_b32 s26, exec_lo
	v_cmpx_gt_u32_e32 8, v8
; %bb.791:                              ;   in Loop: Header=BB235_16 Depth=1
	v_ffbh_u32_e32 v1, v28
	v_min_u32_e32 v1, 32, v1
	v_subrev_nc_u32_e32 v8, 28, v1
	v_sub_nc_u32_e32 v1, 29, v1
	v_lshlrev_b64 v[8:9], v8, v[28:29]
	v_and_b32_e32 v28, 7, v8
; %bb.792:                              ;   in Loop: Header=BB235_16 Depth=1
	s_or_b32 exec_lo, exec_lo, s26
	v_lshlrev_b32_e32 v8, 24, v0
	v_lshlrev_b32_e32 v9, 20, v28
	v_lshl_add_u32 v1, v1, 23, 0x3c000000
	v_and_b32_e32 v8, 0x80000000, v8
	v_or3_b32 v28, v9, v8, v1
	v_mov_b32_e32 v77, v29
	v_mov_b32_e32 v76, v28
.LBB235_793:                            ;   in Loop: Header=BB235_16 Depth=1
	s_or_b32 exec_lo, exec_lo, s25
.LBB235_794:                            ;   in Loop: Header=BB235_16 Depth=1
	s_or_b32 exec_lo, exec_lo, s24
.LBB235_795:                            ;   in Loop: Header=BB235_16 Depth=1
	s_or_b32 exec_lo, exec_lo, s23
	v_cmp_ne_u16_sdwa s5, v0, v29 src0_sel:BYTE_1 src1_sel:DWORD
	s_and_saveexec_b32 s23, s5
	s_cbranch_execz .LBB235_803
; %bb.796:                              ;   in Loop: Header=BB235_16 Depth=1
	v_mov_b32_e32 v110, v29
	v_mov_b32_e32 v1, 0x80
	;; [unrolled: 1-line block ×3, first 2 shown]
	v_cmp_ne_u16_sdwa s5, v0, v1 src0_sel:BYTE_1 src1_sel:DWORD
	v_mov_b32_e32 v63, v111
	s_and_saveexec_b32 s24, s5
	s_cbranch_execz .LBB235_802
; %bb.797:                              ;   in Loop: Header=BB235_16 Depth=1
	v_mov_b32_e32 v1, 0xffff
	v_mov_b32_e32 v104, v29
	s_mov_b32 s25, exec_lo
	v_and_b32_sdwa v1, v1, v0 dst_sel:DWORD dst_unused:UNUSED_PAD src0_sel:DWORD src1_sel:BYTE_1
	v_mov_b32_e32 v62, v104
	v_mov_b32_e32 v63, v105
	v_and_b32_e32 v8, 0x7f, v1
	v_cmpx_ne_u32_e32 0x7f, v8
	s_cbranch_execz .LBB235_801
; %bb.798:                              ;   in Loop: Header=BB235_16 Depth=1
	v_and_b32_e32 v28, 7, v1
	v_lshrrev_b32_e32 v1, 3, v8
	s_mov_b32 s26, exec_lo
	v_cmpx_gt_u32_e32 8, v8
; %bb.799:                              ;   in Loop: Header=BB235_16 Depth=1
	v_ffbh_u32_e32 v1, v28
	v_min_u32_e32 v1, 32, v1
	v_subrev_nc_u32_e32 v8, 28, v1
	v_sub_nc_u32_e32 v1, 29, v1
	v_lshlrev_b64 v[8:9], v8, v[28:29]
	v_and_b32_e32 v28, 7, v8
; %bb.800:                              ;   in Loop: Header=BB235_16 Depth=1
	s_or_b32 exec_lo, exec_lo, s26
	v_lshlrev_b32_e32 v8, 16, v0
	v_lshlrev_b32_e32 v9, 20, v28
	v_lshl_add_u32 v1, v1, 23, 0x3c000000
	v_mov_b32_e32 v62, v29
	v_and_b32_e32 v8, 0x80000000, v8
	v_or3_b32 v63, v9, v8, v1
.LBB235_801:                            ;   in Loop: Header=BB235_16 Depth=1
	s_or_b32 exec_lo, exec_lo, s25
.LBB235_802:                            ;   in Loop: Header=BB235_16 Depth=1
	s_or_b32 exec_lo, exec_lo, s24
.LBB235_803:                            ;   in Loop: Header=BB235_16 Depth=1
	s_or_b32 exec_lo, exec_lo, s23
	v_mov_b32_e32 v1, 0xff
	v_mov_b32_e32 v90, 0
	;; [unrolled: 1-line block ×5, first 2 shown]
	v_and_b32_sdwa v1, v0, v1 dst_sel:DWORD dst_unused:UNUSED_PAD src0_sel:WORD_1 src1_sel:DWORD
	s_mov_b32 s23, exec_lo
	v_cmpx_ne_u16_e32 0, v1
	s_cbranch_execz .LBB235_811
; %bb.804:                              ;   in Loop: Header=BB235_16 Depth=1
	v_bfrev_b32_e32 v72, 1
	v_mov_b32_e32 v73, 0
	s_mov_b32 s24, exec_lo
	v_cmpx_ne_u16_e32 0x80, v1
	s_cbranch_execz .LBB235_810
; %bb.805:                              ;   in Loop: Header=BB235_16 Depth=1
	v_mov_b32_e32 v72, 0x7f800001
	v_bfe_u32 v8, v0, 16, 7
	v_mov_b32_e32 v73, 0
	s_mov_b32 s25, exec_lo
	v_cmpx_ne_u32_e32 0x7f, v8
	s_cbranch_execz .LBB235_809
; %bb.806:                              ;   in Loop: Header=BB235_16 Depth=1
	v_mov_b32_e32 v1, 7
	s_mov_b32 s26, exec_lo
	v_and_b32_sdwa v28, v0, v1 dst_sel:DWORD dst_unused:UNUSED_PAD src0_sel:WORD_1 src1_sel:DWORD
	v_lshrrev_b32_e32 v1, 3, v8
	v_cmpx_gt_u32_e32 8, v8
; %bb.807:                              ;   in Loop: Header=BB235_16 Depth=1
	v_ffbh_u32_e32 v1, v28
	v_min_u32_e32 v1, 32, v1
	v_subrev_nc_u32_e32 v8, 28, v1
	v_sub_nc_u32_e32 v1, 29, v1
	v_lshlrev_b64 v[8:9], v8, v[28:29]
	v_and_b32_e32 v28, 7, v8
; %bb.808:                              ;   in Loop: Header=BB235_16 Depth=1
	s_or_b32 exec_lo, exec_lo, s26
	v_mov_b32_e32 v2, 24
	v_lshlrev_b32_e32 v9, 20, v28
	v_lshl_add_u32 v1, v1, 23, 0x3c000000
	v_lshlrev_b32_sdwa v8, v2, v0 dst_sel:DWORD dst_unused:UNUSED_PAD src0_sel:DWORD src1_sel:WORD_1
	v_and_b32_e32 v8, 0x80000000, v8
	v_or3_b32 v28, v9, v8, v1
	v_mov_b32_e32 v73, v29
	v_mov_b32_e32 v72, v28
.LBB235_809:                            ;   in Loop: Header=BB235_16 Depth=1
	s_or_b32 exec_lo, exec_lo, s25
.LBB235_810:                            ;   in Loop: Header=BB235_16 Depth=1
	s_or_b32 exec_lo, exec_lo, s24
.LBB235_811:                            ;   in Loop: Header=BB235_16 Depth=1
	s_or_b32 exec_lo, exec_lo, s23
	s_mov_b32 s23, exec_lo
	v_cmpx_lt_u32_e32 0xffffff, v0
	s_cbranch_execz .LBB235_819
; %bb.812:                              ;   in Loop: Header=BB235_16 Depth=1
	v_mov_b32_e32 v110, v29
	v_mov_b32_e32 v1, 0x80
	;; [unrolled: 1-line block ×3, first 2 shown]
	v_cmp_ne_u32_sdwa s5, v0, v1 src0_sel:BYTE_3 src1_sel:DWORD
	v_mov_b32_e32 v91, v111
	s_and_saveexec_b32 s24, s5
	s_cbranch_execz .LBB235_818
; %bb.813:                              ;   in Loop: Header=BB235_16 Depth=1
	v_mov_b32_e32 v104, v29
	v_bfe_u32 v8, v0, 24, 7
	s_mov_b32 s25, exec_lo
	v_mov_b32_e32 v90, v104
	v_mov_b32_e32 v91, v105
	v_cmpx_ne_u32_e32 0x7f, v8
	s_cbranch_execz .LBB235_817
; %bb.814:                              ;   in Loop: Header=BB235_16 Depth=1
	v_mov_b32_e32 v1, 7
	s_mov_b32 s26, exec_lo
	v_and_b32_sdwa v28, v0, v1 dst_sel:DWORD dst_unused:UNUSED_PAD src0_sel:BYTE_3 src1_sel:DWORD
	v_lshrrev_b32_e32 v1, 3, v8
	v_cmpx_gt_u32_e32 8, v8
; %bb.815:                              ;   in Loop: Header=BB235_16 Depth=1
	v_ffbh_u32_e32 v1, v28
	v_min_u32_e32 v1, 32, v1
	v_subrev_nc_u32_e32 v8, 28, v1
	v_sub_nc_u32_e32 v1, 29, v1
	v_lshlrev_b64 v[8:9], v8, v[28:29]
	v_and_b32_e32 v28, 7, v8
; %bb.816:                              ;   in Loop: Header=BB235_16 Depth=1
	s_or_b32 exec_lo, exec_lo, s26
	v_mov_b32_e32 v2, 24
	v_lshlrev_b32_e32 v8, 20, v28
	v_lshl_add_u32 v1, v1, 23, 0x3c000000
	v_mov_b32_e32 v90, v29
	v_lshlrev_b32_sdwa v0, v2, v0 dst_sel:DWORD dst_unused:UNUSED_PAD src0_sel:DWORD src1_sel:BYTE_3
	v_and_b32_e32 v0, 0x80000000, v0
	v_or3_b32 v91, v8, v0, v1
.LBB235_817:                            ;   in Loop: Header=BB235_16 Depth=1
	s_or_b32 exec_lo, exec_lo, s25
.LBB235_818:                            ;   in Loop: Header=BB235_16 Depth=1
	s_or_b32 exec_lo, exec_lo, s24
.LBB235_819:                            ;   in Loop: Header=BB235_16 Depth=1
	s_or_b32 exec_lo, exec_lo, s23
	flat_load_dword v14, v[68:69] offset:1028
	v_mov_b32_e32 v0, 0
	v_mov_b32_e32 v92, 0
	;; [unrolled: 1-line block ×4, first 2 shown]
	s_waitcnt vmcnt(0) lgkmcnt(0)
	v_cmp_ne_u16_sdwa s5, v14, v29 src0_sel:BYTE_0 src1_sel:DWORD
	s_and_saveexec_b32 s23, s5
	s_cbranch_execz .LBB235_827
; %bb.820:                              ;   in Loop: Header=BB235_16 Depth=1
	v_mov_b32_e32 v2, 0x80
	v_bfrev_b32_e32 v92, 1
	v_mov_b32_e32 v93, 0
	v_cmp_ne_u16_sdwa s5, v14, v2 src0_sel:BYTE_0 src1_sel:DWORD
	s_and_saveexec_b32 s24, s5
	s_cbranch_execz .LBB235_826
; %bb.821:                              ;   in Loop: Header=BB235_16 Depth=1
	v_mov_b32_e32 v92, 0x7f800001
	v_and_b32_e32 v9, 0x7f, v14
	v_mov_b32_e32 v93, 0
	s_mov_b32 s25, exec_lo
	v_cmpx_ne_u32_e32 0x7f, v9
	s_cbranch_execz .LBB235_825
; %bb.822:                              ;   in Loop: Header=BB235_16 Depth=1
	v_and_b32_e32 v28, 7, v14
	v_lshrrev_b32_e32 v8, 3, v9
	s_mov_b32 s26, exec_lo
	v_cmpx_gt_u32_e32 8, v9
; %bb.823:                              ;   in Loop: Header=BB235_16 Depth=1
	v_ffbh_u32_e32 v8, v28
	v_min_u32_e32 v8, 32, v8
	v_subrev_nc_u32_e32 v9, 28, v8
	v_sub_nc_u32_e32 v8, 29, v8
	v_lshlrev_b64 v[26:27], v9, v[28:29]
	v_and_b32_e32 v28, 7, v26
; %bb.824:                              ;   in Loop: Header=BB235_16 Depth=1
	s_or_b32 exec_lo, exec_lo, s26
	v_lshlrev_b32_e32 v9, 24, v14
	v_lshlrev_b32_e32 v15, 20, v28
	v_lshl_add_u32 v8, v8, 23, 0x3c000000
	v_and_b32_e32 v9, 0x80000000, v9
	v_or3_b32 v28, v15, v9, v8
	v_mov_b32_e32 v93, v29
	v_mov_b32_e32 v92, v28
.LBB235_825:                            ;   in Loop: Header=BB235_16 Depth=1
	s_or_b32 exec_lo, exec_lo, s25
.LBB235_826:                            ;   in Loop: Header=BB235_16 Depth=1
	s_or_b32 exec_lo, exec_lo, s24
.LBB235_827:                            ;   in Loop: Header=BB235_16 Depth=1
	s_or_b32 exec_lo, exec_lo, s23
	v_cmp_ne_u16_sdwa s5, v14, v29 src0_sel:BYTE_1 src1_sel:DWORD
	s_and_saveexec_b32 s23, s5
	s_cbranch_execz .LBB235_835
; %bb.828:                              ;   in Loop: Header=BB235_16 Depth=1
	v_mov_b32_e32 v110, v29
	v_mov_b32_e32 v0, 0x80
	v_cmp_ne_u16_sdwa s5, v14, v0 src0_sel:BYTE_1 src1_sel:DWORD
	v_mov_b32_e32 v0, v110
	v_mov_b32_e32 v1, v111
	s_and_saveexec_b32 s24, s5
	s_cbranch_execz .LBB235_834
; %bb.829:                              ;   in Loop: Header=BB235_16 Depth=1
	v_mov_b32_e32 v0, 0xffff
	v_mov_b32_e32 v104, v29
	s_mov_b32 s25, exec_lo
	v_and_b32_sdwa v9, v0, v14 dst_sel:DWORD dst_unused:UNUSED_PAD src0_sel:DWORD src1_sel:BYTE_1
	v_mov_b32_e32 v0, v104
	v_mov_b32_e32 v1, v105
	v_and_b32_e32 v8, 0x7f, v9
	v_cmpx_ne_u32_e32 0x7f, v8
	s_cbranch_execz .LBB235_833
; %bb.830:                              ;   in Loop: Header=BB235_16 Depth=1
	v_and_b32_e32 v28, 7, v9
	v_lshrrev_b32_e32 v0, 3, v8
	s_mov_b32 s26, exec_lo
	v_cmpx_gt_u32_e32 8, v8
; %bb.831:                              ;   in Loop: Header=BB235_16 Depth=1
	v_ffbh_u32_e32 v0, v28
	v_min_u32_e32 v0, 32, v0
	v_subrev_nc_u32_e32 v1, 28, v0
	v_sub_nc_u32_e32 v0, 29, v0
	v_lshlrev_b64 v[8:9], v1, v[28:29]
	v_and_b32_e32 v28, 7, v8
; %bb.832:                              ;   in Loop: Header=BB235_16 Depth=1
	s_or_b32 exec_lo, exec_lo, s26
	v_lshlrev_b32_e32 v1, 16, v14
	v_lshlrev_b32_e32 v8, 20, v28
	v_lshl_add_u32 v0, v0, 23, 0x3c000000
	v_and_b32_e32 v1, 0x80000000, v1
	v_or3_b32 v1, v8, v1, v0
	v_mov_b32_e32 v0, v29
.LBB235_833:                            ;   in Loop: Header=BB235_16 Depth=1
	s_or_b32 exec_lo, exec_lo, s25
.LBB235_834:                            ;   in Loop: Header=BB235_16 Depth=1
	s_or_b32 exec_lo, exec_lo, s24
.LBB235_835:                            ;   in Loop: Header=BB235_16 Depth=1
	s_or_b32 exec_lo, exec_lo, s23
	v_mov_b32_e32 v2, 0xff
	v_mov_b32_e32 v78, 0
	;; [unrolled: 1-line block ×5, first 2 shown]
	v_and_b32_sdwa v8, v14, v2 dst_sel:DWORD dst_unused:UNUSED_PAD src0_sel:WORD_1 src1_sel:DWORD
	s_mov_b32 s23, exec_lo
	v_cmpx_ne_u16_e32 0, v8
	s_cbranch_execz .LBB235_843
; %bb.836:                              ;   in Loop: Header=BB235_16 Depth=1
	v_bfrev_b32_e32 v106, 1
	v_mov_b32_e32 v107, 0
	s_mov_b32 s24, exec_lo
	v_cmpx_ne_u16_e32 0x80, v8
	s_cbranch_execz .LBB235_842
; %bb.837:                              ;   in Loop: Header=BB235_16 Depth=1
	v_mov_b32_e32 v106, 0x7f800001
	v_bfe_u32 v9, v14, 16, 7
	v_mov_b32_e32 v107, 0
	s_mov_b32 s25, exec_lo
	v_cmpx_ne_u32_e32 0x7f, v9
	s_cbranch_execz .LBB235_841
; %bb.838:                              ;   in Loop: Header=BB235_16 Depth=1
	v_mov_b32_e32 v2, 7
	v_lshrrev_b32_e32 v8, 3, v9
	s_mov_b32 s26, exec_lo
	v_and_b32_sdwa v28, v14, v2 dst_sel:DWORD dst_unused:UNUSED_PAD src0_sel:WORD_1 src1_sel:DWORD
	v_cmpx_gt_u32_e32 8, v9
; %bb.839:                              ;   in Loop: Header=BB235_16 Depth=1
	v_ffbh_u32_e32 v8, v28
	v_min_u32_e32 v8, 32, v8
	v_subrev_nc_u32_e32 v9, 28, v8
	v_sub_nc_u32_e32 v8, 29, v8
	v_lshlrev_b64 v[26:27], v9, v[28:29]
	v_and_b32_e32 v28, 7, v26
; %bb.840:                              ;   in Loop: Header=BB235_16 Depth=1
	s_or_b32 exec_lo, exec_lo, s26
	v_mov_b32_e32 v2, 24
	v_lshlrev_b32_e32 v15, 20, v28
	v_lshl_add_u32 v8, v8, 23, 0x3c000000
	v_lshlrev_b32_sdwa v9, v2, v14 dst_sel:DWORD dst_unused:UNUSED_PAD src0_sel:DWORD src1_sel:WORD_1
	v_and_b32_e32 v9, 0x80000000, v9
	v_or3_b32 v28, v15, v9, v8
	v_mov_b32_e32 v107, v29
	v_mov_b32_e32 v106, v28
.LBB235_841:                            ;   in Loop: Header=BB235_16 Depth=1
	s_or_b32 exec_lo, exec_lo, s25
.LBB235_842:                            ;   in Loop: Header=BB235_16 Depth=1
	s_or_b32 exec_lo, exec_lo, s24
.LBB235_843:                            ;   in Loop: Header=BB235_16 Depth=1
	s_or_b32 exec_lo, exec_lo, s23
	s_mov_b32 s23, exec_lo
	v_cmpx_lt_u32_e32 0xffffff, v14
	s_cbranch_execz .LBB235_851
; %bb.844:                              ;   in Loop: Header=BB235_16 Depth=1
	v_mov_b32_e32 v110, v29
	v_mov_b32_e32 v2, 0x80
	;; [unrolled: 1-line block ×3, first 2 shown]
	v_cmp_ne_u32_sdwa s5, v14, v2 src0_sel:BYTE_3 src1_sel:DWORD
	v_mov_b32_e32 v79, v111
	s_and_saveexec_b32 s24, s5
	s_cbranch_execz .LBB235_850
; %bb.845:                              ;   in Loop: Header=BB235_16 Depth=1
	v_mov_b32_e32 v104, v29
	v_bfe_u32 v9, v14, 24, 7
	s_mov_b32 s25, exec_lo
	v_mov_b32_e32 v78, v104
	v_mov_b32_e32 v79, v105
	v_cmpx_ne_u32_e32 0x7f, v9
	s_cbranch_execz .LBB235_849
; %bb.846:                              ;   in Loop: Header=BB235_16 Depth=1
	v_mov_b32_e32 v2, 7
	v_lshrrev_b32_e32 v8, 3, v9
	s_mov_b32 s26, exec_lo
	v_and_b32_sdwa v28, v14, v2 dst_sel:DWORD dst_unused:UNUSED_PAD src0_sel:BYTE_3 src1_sel:DWORD
	v_cmpx_gt_u32_e32 8, v9
; %bb.847:                              ;   in Loop: Header=BB235_16 Depth=1
	v_ffbh_u32_e32 v8, v28
	v_min_u32_e32 v8, 32, v8
	v_subrev_nc_u32_e32 v9, 28, v8
	v_sub_nc_u32_e32 v8, 29, v8
	v_lshlrev_b64 v[26:27], v9, v[28:29]
	v_and_b32_e32 v28, 7, v26
; %bb.848:                              ;   in Loop: Header=BB235_16 Depth=1
	s_or_b32 exec_lo, exec_lo, s26
	v_mov_b32_e32 v2, 24
	v_lshl_add_u32 v8, v8, 23, 0x3c000000
	v_mov_b32_e32 v78, v29
	v_lshlrev_b32_sdwa v9, v2, v14 dst_sel:DWORD dst_unused:UNUSED_PAD src0_sel:DWORD src1_sel:BYTE_3
	v_lshlrev_b32_e32 v14, 20, v28
	v_and_b32_e32 v9, 0x80000000, v9
	v_or3_b32 v79, v14, v9, v8
.LBB235_849:                            ;   in Loop: Header=BB235_16 Depth=1
	s_or_b32 exec_lo, exec_lo, s25
.LBB235_850:                            ;   in Loop: Header=BB235_16 Depth=1
	s_or_b32 exec_lo, exec_lo, s24
.LBB235_851:                            ;   in Loop: Header=BB235_16 Depth=1
	s_or_b32 exec_lo, exec_lo, s23
	flat_load_dword v26, v[68:69] offset:1032
	v_mov_b32_e32 v88, 0
	v_mov_b32_e32 v108, 0
	;; [unrolled: 1-line block ×4, first 2 shown]
	s_waitcnt vmcnt(0) lgkmcnt(0)
	v_cmp_ne_u16_sdwa s5, v26, v29 src0_sel:BYTE_0 src1_sel:DWORD
	s_and_saveexec_b32 s23, s5
	s_cbranch_execz .LBB235_859
; %bb.852:                              ;   in Loop: Header=BB235_16 Depth=1
	v_mov_b32_e32 v2, 0x80
	v_bfrev_b32_e32 v108, 1
	v_mov_b32_e32 v109, 0
	v_cmp_ne_u16_sdwa s5, v26, v2 src0_sel:BYTE_0 src1_sel:DWORD
	s_and_saveexec_b32 s24, s5
	s_cbranch_execz .LBB235_858
; %bb.853:                              ;   in Loop: Header=BB235_16 Depth=1
	v_mov_b32_e32 v108, 0x7f800001
	v_and_b32_e32 v9, 0x7f, v26
	v_mov_b32_e32 v109, 0
	s_mov_b32 s25, exec_lo
	v_cmpx_ne_u32_e32 0x7f, v9
	s_cbranch_execz .LBB235_857
; %bb.854:                              ;   in Loop: Header=BB235_16 Depth=1
	v_and_b32_e32 v28, 7, v26
	v_lshrrev_b32_e32 v8, 3, v9
	s_mov_b32 s26, exec_lo
	v_cmpx_gt_u32_e32 8, v9
; %bb.855:                              ;   in Loop: Header=BB235_16 Depth=1
	v_ffbh_u32_e32 v8, v28
	v_min_u32_e32 v8, 32, v8
	v_subrev_nc_u32_e32 v9, 28, v8
	v_sub_nc_u32_e32 v8, 29, v8
	v_lshlrev_b64 v[14:15], v9, v[28:29]
	v_and_b32_e32 v28, 7, v14
; %bb.856:                              ;   in Loop: Header=BB235_16 Depth=1
	s_or_b32 exec_lo, exec_lo, s26
	v_lshlrev_b32_e32 v9, 24, v26
	v_lshlrev_b32_e32 v14, 20, v28
	v_lshl_add_u32 v8, v8, 23, 0x3c000000
	v_and_b32_e32 v9, 0x80000000, v9
	v_or3_b32 v28, v14, v9, v8
	v_mov_b32_e32 v109, v29
	v_mov_b32_e32 v108, v28
.LBB235_857:                            ;   in Loop: Header=BB235_16 Depth=1
	s_or_b32 exec_lo, exec_lo, s25
.LBB235_858:                            ;   in Loop: Header=BB235_16 Depth=1
	s_or_b32 exec_lo, exec_lo, s24
.LBB235_859:                            ;   in Loop: Header=BB235_16 Depth=1
	s_or_b32 exec_lo, exec_lo, s23
	v_cmp_ne_u16_sdwa s5, v26, v29 src0_sel:BYTE_1 src1_sel:DWORD
	s_and_saveexec_b32 s23, s5
	s_cbranch_execz .LBB235_867
; %bb.860:                              ;   in Loop: Header=BB235_16 Depth=1
	v_mov_b32_e32 v110, v29
	v_mov_b32_e32 v2, 0x80
	;; [unrolled: 1-line block ×3, first 2 shown]
	v_cmp_ne_u16_sdwa s5, v26, v2 src0_sel:BYTE_1 src1_sel:DWORD
	v_mov_b32_e32 v89, v111
	s_and_saveexec_b32 s24, s5
	s_cbranch_execz .LBB235_866
; %bb.861:                              ;   in Loop: Header=BB235_16 Depth=1
	v_mov_b32_e32 v2, 0xffff
	v_mov_b32_e32 v104, v29
	s_mov_b32 s25, exec_lo
	v_and_b32_sdwa v8, v2, v26 dst_sel:DWORD dst_unused:UNUSED_PAD src0_sel:DWORD src1_sel:BYTE_1
	v_mov_b32_e32 v88, v104
	v_mov_b32_e32 v89, v105
	v_and_b32_e32 v9, 0x7f, v8
	v_cmpx_ne_u32_e32 0x7f, v9
	s_cbranch_execz .LBB235_865
; %bb.862:                              ;   in Loop: Header=BB235_16 Depth=1
	v_and_b32_e32 v28, 7, v8
	v_lshrrev_b32_e32 v8, 3, v9
	s_mov_b32 s26, exec_lo
	v_cmpx_gt_u32_e32 8, v9
; %bb.863:                              ;   in Loop: Header=BB235_16 Depth=1
	v_ffbh_u32_e32 v8, v28
	v_min_u32_e32 v8, 32, v8
	v_subrev_nc_u32_e32 v9, 28, v8
	v_sub_nc_u32_e32 v8, 29, v8
	v_lshlrev_b64 v[14:15], v9, v[28:29]
	v_and_b32_e32 v28, 7, v14
; %bb.864:                              ;   in Loop: Header=BB235_16 Depth=1
	s_or_b32 exec_lo, exec_lo, s26
	v_lshlrev_b32_e32 v9, 16, v26
	v_lshlrev_b32_e32 v14, 20, v28
	v_lshl_add_u32 v8, v8, 23, 0x3c000000
	v_mov_b32_e32 v88, v29
	v_and_b32_e32 v9, 0x80000000, v9
	v_or3_b32 v89, v14, v9, v8
.LBB235_865:                            ;   in Loop: Header=BB235_16 Depth=1
	s_or_b32 exec_lo, exec_lo, s25
.LBB235_866:                            ;   in Loop: Header=BB235_16 Depth=1
	s_or_b32 exec_lo, exec_lo, s24
.LBB235_867:                            ;   in Loop: Header=BB235_16 Depth=1
	s_or_b32 exec_lo, exec_lo, s23
	v_mov_b32_e32 v2, 0xff
	v_mov_b32_e32 v14, 0
	;; [unrolled: 1-line block ×5, first 2 shown]
	v_and_b32_sdwa v8, v26, v2 dst_sel:DWORD dst_unused:UNUSED_PAD src0_sel:WORD_1 src1_sel:DWORD
	s_mov_b32 s23, exec_lo
	v_cmpx_ne_u16_e32 0, v8
	s_cbranch_execz .LBB235_875
; %bb.868:                              ;   in Loop: Header=BB235_16 Depth=1
	v_bfrev_b32_e32 v124, 1
	v_mov_b32_e32 v125, 0
	s_mov_b32 s24, exec_lo
	v_cmpx_ne_u16_e32 0x80, v8
	s_cbranch_execz .LBB235_874
; %bb.869:                              ;   in Loop: Header=BB235_16 Depth=1
	v_mov_b32_e32 v124, 0x7f800001
	v_bfe_u32 v9, v26, 16, 7
	v_mov_b32_e32 v125, 0
	s_mov_b32 s25, exec_lo
	v_cmpx_ne_u32_e32 0x7f, v9
	s_cbranch_execz .LBB235_873
; %bb.870:                              ;   in Loop: Header=BB235_16 Depth=1
	v_mov_b32_e32 v2, 7
	v_lshrrev_b32_e32 v8, 3, v9
	s_mov_b32 s26, exec_lo
	v_and_b32_sdwa v28, v26, v2 dst_sel:DWORD dst_unused:UNUSED_PAD src0_sel:WORD_1 src1_sel:DWORD
	v_cmpx_gt_u32_e32 8, v9
; %bb.871:                              ;   in Loop: Header=BB235_16 Depth=1
	v_ffbh_u32_e32 v8, v28
	v_min_u32_e32 v8, 32, v8
	v_subrev_nc_u32_e32 v9, 28, v8
	v_sub_nc_u32_e32 v8, 29, v8
	v_lshlrev_b64 v[27:28], v9, v[28:29]
	v_and_b32_e32 v28, 7, v27
; %bb.872:                              ;   in Loop: Header=BB235_16 Depth=1
	s_or_b32 exec_lo, exec_lo, s26
	v_mov_b32_e32 v2, 24
	v_lshlrev_b32_e32 v27, 20, v28
	v_lshl_add_u32 v8, v8, 23, 0x3c000000
	v_lshlrev_b32_sdwa v9, v2, v26 dst_sel:DWORD dst_unused:UNUSED_PAD src0_sel:DWORD src1_sel:WORD_1
	v_and_b32_e32 v9, 0x80000000, v9
	v_or3_b32 v28, v27, v9, v8
	v_mov_b32_e32 v125, v29
	v_mov_b32_e32 v124, v28
.LBB235_873:                            ;   in Loop: Header=BB235_16 Depth=1
	s_or_b32 exec_lo, exec_lo, s25
.LBB235_874:                            ;   in Loop: Header=BB235_16 Depth=1
	s_or_b32 exec_lo, exec_lo, s24
.LBB235_875:                            ;   in Loop: Header=BB235_16 Depth=1
	s_or_b32 exec_lo, exec_lo, s23
	s_mov_b32 s23, exec_lo
	v_cmpx_lt_u32_e32 0xffffff, v26
	s_cbranch_execz .LBB235_883
; %bb.876:                              ;   in Loop: Header=BB235_16 Depth=1
	v_mov_b32_e32 v110, v29
	v_mov_b32_e32 v2, 0x80
	;; [unrolled: 1-line block ×3, first 2 shown]
	v_cmp_ne_u32_sdwa s5, v26, v2 src0_sel:BYTE_3 src1_sel:DWORD
	v_mov_b32_e32 v15, v111
	s_and_saveexec_b32 s24, s5
	s_cbranch_execz .LBB235_882
; %bb.877:                              ;   in Loop: Header=BB235_16 Depth=1
	v_mov_b32_e32 v104, v29
	v_bfe_u32 v9, v26, 24, 7
	s_mov_b32 s25, exec_lo
	v_mov_b32_e32 v14, v104
	v_mov_b32_e32 v15, v105
	v_cmpx_ne_u32_e32 0x7f, v9
	s_cbranch_execz .LBB235_881
; %bb.878:                              ;   in Loop: Header=BB235_16 Depth=1
	v_mov_b32_e32 v2, 7
	v_lshrrev_b32_e32 v8, 3, v9
	s_mov_b32 s26, exec_lo
	v_and_b32_sdwa v28, v26, v2 dst_sel:DWORD dst_unused:UNUSED_PAD src0_sel:BYTE_3 src1_sel:DWORD
	v_cmpx_gt_u32_e32 8, v9
; %bb.879:                              ;   in Loop: Header=BB235_16 Depth=1
	v_ffbh_u32_e32 v8, v28
	v_min_u32_e32 v8, 32, v8
	v_subrev_nc_u32_e32 v9, 28, v8
	v_sub_nc_u32_e32 v8, 29, v8
	v_lshlrev_b64 v[14:15], v9, v[28:29]
	v_and_b32_e32 v28, 7, v14
; %bb.880:                              ;   in Loop: Header=BB235_16 Depth=1
	s_or_b32 exec_lo, exec_lo, s26
	v_mov_b32_e32 v2, 24
	v_lshlrev_b32_e32 v14, 20, v28
	v_lshl_add_u32 v8, v8, 23, 0x3c000000
	v_lshlrev_b32_sdwa v9, v2, v26 dst_sel:DWORD dst_unused:UNUSED_PAD src0_sel:DWORD src1_sel:BYTE_3
	v_and_b32_e32 v9, 0x80000000, v9
	v_or3_b32 v15, v14, v9, v8
	v_mov_b32_e32 v14, v29
.LBB235_881:                            ;   in Loop: Header=BB235_16 Depth=1
	s_or_b32 exec_lo, exec_lo, s25
.LBB235_882:                            ;   in Loop: Header=BB235_16 Depth=1
	s_or_b32 exec_lo, exec_lo, s24
.LBB235_883:                            ;   in Loop: Header=BB235_16 Depth=1
	s_or_b32 exec_lo, exec_lo, s23
	flat_load_dword v8, v[68:69] offset:1036
	v_mov_b32_e32 v94, 0
	v_mov_b32_e32 v68, 0
	;; [unrolled: 1-line block ×4, first 2 shown]
	s_waitcnt vmcnt(0) lgkmcnt(0)
	v_cmp_ne_u16_sdwa s5, v8, v29 src0_sel:BYTE_0 src1_sel:DWORD
	s_and_saveexec_b32 s23, s5
	s_cbranch_execz .LBB235_891
; %bb.884:                              ;   in Loop: Header=BB235_16 Depth=1
	v_mov_b32_e32 v2, 0x80
	v_bfrev_b32_e32 v68, 1
	v_mov_b32_e32 v69, 0
	v_cmp_ne_u16_sdwa s5, v8, v2 src0_sel:BYTE_0 src1_sel:DWORD
	s_and_saveexec_b32 s24, s5
	s_cbranch_execz .LBB235_890
; %bb.885:                              ;   in Loop: Header=BB235_16 Depth=1
	v_mov_b32_e32 v68, 0x7f800001
	v_and_b32_e32 v26, 0x7f, v8
	v_mov_b32_e32 v69, 0
	s_mov_b32 s25, exec_lo
	v_cmpx_ne_u32_e32 0x7f, v26
	s_cbranch_execz .LBB235_889
; %bb.886:                              ;   in Loop: Header=BB235_16 Depth=1
	v_and_b32_e32 v28, 7, v8
	v_lshrrev_b32_e32 v9, 3, v26
	s_mov_b32 s26, exec_lo
	v_cmpx_gt_u32_e32 8, v26
; %bb.887:                              ;   in Loop: Header=BB235_16 Depth=1
	v_ffbh_u32_e32 v9, v28
	v_min_u32_e32 v9, 32, v9
	v_subrev_nc_u32_e32 v26, 28, v9
	v_sub_nc_u32_e32 v9, 29, v9
	v_lshlrev_b64 v[26:27], v26, v[28:29]
	v_and_b32_e32 v28, 7, v26
; %bb.888:                              ;   in Loop: Header=BB235_16 Depth=1
	s_or_b32 exec_lo, exec_lo, s26
	v_lshlrev_b32_e32 v26, 24, v8
	v_lshlrev_b32_e32 v27, 20, v28
	v_lshl_add_u32 v9, v9, 23, 0x3c000000
	v_and_b32_e32 v26, 0x80000000, v26
	v_or3_b32 v28, v27, v26, v9
	v_mov_b32_e32 v69, v29
	v_mov_b32_e32 v68, v28
.LBB235_889:                            ;   in Loop: Header=BB235_16 Depth=1
	s_or_b32 exec_lo, exec_lo, s25
.LBB235_890:                            ;   in Loop: Header=BB235_16 Depth=1
	s_or_b32 exec_lo, exec_lo, s24
.LBB235_891:                            ;   in Loop: Header=BB235_16 Depth=1
	s_or_b32 exec_lo, exec_lo, s23
	v_cmp_ne_u16_sdwa s5, v8, v29 src0_sel:BYTE_1 src1_sel:DWORD
	s_and_saveexec_b32 s23, s5
	s_cbranch_execz .LBB235_899
; %bb.892:                              ;   in Loop: Header=BB235_16 Depth=1
	v_mov_b32_e32 v110, v29
	v_mov_b32_e32 v2, 0x80
	;; [unrolled: 1-line block ×3, first 2 shown]
	v_cmp_ne_u16_sdwa s5, v8, v2 src0_sel:BYTE_1 src1_sel:DWORD
	v_mov_b32_e32 v95, v111
	s_and_saveexec_b32 s24, s5
	s_cbranch_execz .LBB235_898
; %bb.893:                              ;   in Loop: Header=BB235_16 Depth=1
	v_mov_b32_e32 v2, 0xffff
	v_mov_b32_e32 v104, v29
	s_mov_b32 s25, exec_lo
	v_and_b32_sdwa v9, v2, v8 dst_sel:DWORD dst_unused:UNUSED_PAD src0_sel:DWORD src1_sel:BYTE_1
	v_mov_b32_e32 v94, v104
	v_mov_b32_e32 v95, v105
	v_and_b32_e32 v26, 0x7f, v9
	v_cmpx_ne_u32_e32 0x7f, v26
	s_cbranch_execz .LBB235_897
; %bb.894:                              ;   in Loop: Header=BB235_16 Depth=1
	v_and_b32_e32 v28, 7, v9
	v_lshrrev_b32_e32 v9, 3, v26
	s_mov_b32 s26, exec_lo
	v_cmpx_gt_u32_e32 8, v26
; %bb.895:                              ;   in Loop: Header=BB235_16 Depth=1
	v_ffbh_u32_e32 v9, v28
	v_min_u32_e32 v9, 32, v9
	v_subrev_nc_u32_e32 v26, 28, v9
	v_sub_nc_u32_e32 v9, 29, v9
	v_lshlrev_b64 v[26:27], v26, v[28:29]
	v_and_b32_e32 v28, 7, v26
; %bb.896:                              ;   in Loop: Header=BB235_16 Depth=1
	s_or_b32 exec_lo, exec_lo, s26
	v_lshlrev_b32_e32 v26, 16, v8
	v_lshlrev_b32_e32 v27, 20, v28
	v_lshl_add_u32 v9, v9, 23, 0x3c000000
	v_mov_b32_e32 v94, v29
	v_and_b32_e32 v26, 0x80000000, v26
	v_or3_b32 v95, v27, v26, v9
.LBB235_897:                            ;   in Loop: Header=BB235_16 Depth=1
	s_or_b32 exec_lo, exec_lo, s25
.LBB235_898:                            ;   in Loop: Header=BB235_16 Depth=1
	s_or_b32 exec_lo, exec_lo, s24
.LBB235_899:                            ;   in Loop: Header=BB235_16 Depth=1
	s_or_b32 exec_lo, exec_lo, s23
	v_mov_b32_e32 v2, 0xff
	v_mov_b32_e32 v26, 0
	;; [unrolled: 1-line block ×5, first 2 shown]
	v_and_b32_sdwa v9, v8, v2 dst_sel:DWORD dst_unused:UNUSED_PAD src0_sel:WORD_1 src1_sel:DWORD
	s_mov_b32 s23, exec_lo
	v_cmpx_ne_u16_e32 0, v9
	s_cbranch_execz .LBB235_907
; %bb.900:                              ;   in Loop: Header=BB235_16 Depth=1
	v_bfrev_b32_e32 v126, 1
	v_mov_b32_e32 v127, 0
	s_mov_b32 s24, exec_lo
	v_cmpx_ne_u16_e32 0x80, v9
	s_cbranch_execz .LBB235_906
; %bb.901:                              ;   in Loop: Header=BB235_16 Depth=1
	v_mov_b32_e32 v126, 0x7f800001
	v_bfe_u32 v104, v8, 16, 7
	v_mov_b32_e32 v127, 0
	s_mov_b32 s25, exec_lo
	v_cmpx_ne_u32_e32 0x7f, v104
	s_cbranch_execz .LBB235_905
; %bb.902:                              ;   in Loop: Header=BB235_16 Depth=1
	v_mov_b32_e32 v2, 7
	v_lshrrev_b32_e32 v9, 3, v104
	s_mov_b32 s26, exec_lo
	v_and_b32_sdwa v28, v8, v2 dst_sel:DWORD dst_unused:UNUSED_PAD src0_sel:WORD_1 src1_sel:DWORD
	v_cmpx_gt_u32_e32 8, v104
; %bb.903:                              ;   in Loop: Header=BB235_16 Depth=1
	v_ffbh_u32_e32 v9, v28
	v_min_u32_e32 v9, 32, v9
	v_subrev_nc_u32_e32 v104, 28, v9
	v_sub_nc_u32_e32 v9, 29, v9
	v_lshlrev_b64 v[126:127], v104, v[28:29]
	v_and_b32_e32 v28, 7, v126
; %bb.904:                              ;   in Loop: Header=BB235_16 Depth=1
	s_or_b32 exec_lo, exec_lo, s26
	v_mov_b32_e32 v2, 24
	v_lshlrev_b32_e32 v28, 20, v28
	v_lshl_add_u32 v9, v9, 23, 0x3c000000
	v_lshlrev_b32_sdwa v104, v2, v8 dst_sel:DWORD dst_unused:UNUSED_PAD src0_sel:DWORD src1_sel:WORD_1
	v_and_b32_e32 v104, 0x80000000, v104
	v_or3_b32 v28, v28, v104, v9
	v_mov_b32_e32 v127, v29
	v_mov_b32_e32 v126, v28
.LBB235_905:                            ;   in Loop: Header=BB235_16 Depth=1
	s_or_b32 exec_lo, exec_lo, s25
.LBB235_906:                            ;   in Loop: Header=BB235_16 Depth=1
	s_or_b32 exec_lo, exec_lo, s24
.LBB235_907:                            ;   in Loop: Header=BB235_16 Depth=1
	s_or_b32 exec_lo, exec_lo, s23
	s_mov_b32 s23, exec_lo
	buffer_store_dword v22, off, s[0:3], s32 offset:720 ; 4-byte Folded Spill
	buffer_store_dword v21, off, s[0:3], s32 offset:716 ; 4-byte Folded Spill
	;; [unrolled: 1-line block ×3, first 2 shown]
	v_cmpx_lt_u32_e32 0xffffff, v8
	s_cbranch_execz .LBB235_14
; %bb.908:                              ;   in Loop: Header=BB235_16 Depth=1
	v_mov_b32_e32 v110, v29
	v_mov_b32_e32 v2, 0x80
	;; [unrolled: 1-line block ×3, first 2 shown]
	v_cmp_ne_u32_sdwa s5, v8, v2 src0_sel:BYTE_3 src1_sel:DWORD
	v_mov_b32_e32 v27, v111
	s_and_saveexec_b32 s24, s5
	s_cbranch_execz .LBB235_13
; %bb.909:                              ;   in Loop: Header=BB235_16 Depth=1
	v_mov_b32_e32 v104, v29
	v_bfe_u32 v110, v8, 24, 7
	s_mov_b32 s25, exec_lo
	v_mov_b32_e32 v26, v104
	v_mov_b32_e32 v27, v105
	v_cmpx_ne_u32_e32 0x7f, v110
	s_cbranch_execz .LBB235_12
; %bb.910:                              ;   in Loop: Header=BB235_16 Depth=1
	v_mov_b32_e32 v2, 7
	v_lshrrev_b32_e32 v9, 3, v110
	s_mov_b32 s26, exec_lo
	v_and_b32_sdwa v28, v8, v2 dst_sel:DWORD dst_unused:UNUSED_PAD src0_sel:BYTE_3 src1_sel:DWORD
	v_cmpx_gt_u32_e32 8, v110
	s_cbranch_execz .LBB235_11
; %bb.911:                              ;   in Loop: Header=BB235_16 Depth=1
	v_ffbh_u32_e32 v9, v28
	v_min_u32_e32 v9, 32, v9
	v_subrev_nc_u32_e32 v26, 28, v9
	v_sub_nc_u32_e32 v9, 29, v9
	v_lshlrev_b64 v[26:27], v26, v[28:29]
	v_and_b32_e32 v28, 7, v26
	s_branch .LBB235_11
.LBB235_912:
	s_or_b32 exec_lo, exec_lo, s22
	s_clause 0xf
	buffer_load_dword v11, off, s[0:3], s32 offset:1248
	buffer_load_dword v10, off, s[0:3], s32 offset:1244
	buffer_load_dword v15, off, s[0:3], s32 offset:1252
	buffer_load_dword v14, off, s[0:3], s32 offset:1256
	buffer_load_dword v30, off, s[0:3], s32 offset:1260
	buffer_load_dword v24, off, s[0:3], s32 offset:1264
	buffer_load_dword v27, off, s[0:3], s32 offset:1268
	buffer_load_dword v32, off, s[0:3], s32 offset:1272
	buffer_load_dword v33, off, s[0:3], s32 offset:1276
	buffer_load_dword v65, off, s[0:3], s32 offset:1280
	buffer_load_dword v66, off, s[0:3], s32 offset:1284
	buffer_load_dword v13, off, s[0:3], s32 offset:1288
	buffer_load_dword v67, off, s[0:3], s32 offset:1292
	buffer_load_dword v68, off, s[0:3], s32 offset:1296
	buffer_load_dword v69, off, s[0:3], s32 offset:1300
	buffer_load_dword v12, off, s[0:3], s32 offset:1304
.LBB235_913:
	s_or_b32 exec_lo, exec_lo, s21
	v_mbcnt_lo_u32_b32 v0, -1, 0
	v_max_f32_e32 v4, v22, v22
	s_waitcnt lgkmcnt(0)
	s_lshr_b32 s8, s20, 16
	v_xor_b32_e32 v1, 16, v0
	v_xor_b32_e32 v3, 8, v0
	;; [unrolled: 1-line block ×3, first 2 shown]
	v_cmp_gt_i32_e32 vcc_lo, 32, v1
	v_cndmask_b32_e32 v1, v0, v1, vcc_lo
	v_cmp_gt_i32_e32 vcc_lo, 32, v3
	v_lshlrev_b32_e32 v2, 2, v1
	v_cndmask_b32_e32 v3, v0, v3, vcc_lo
	v_cmp_gt_i32_e32 vcc_lo, 32, v5
	ds_bpermute_b32 v1, v2, v22
	v_lshlrev_b32_e32 v3, 2, v3
	v_cndmask_b32_e32 v5, v0, v5, vcc_lo
	v_lshlrev_b32_e32 v26, 2, v5
	v_xor_b32_e32 v5, 2, v0
	v_cmp_gt_i32_e32 vcc_lo, 32, v5
	v_cndmask_b32_e32 v5, v0, v5, vcc_lo
	s_waitcnt lgkmcnt(0)
	v_max_f32_e32 v1, v1, v1
	v_lshlrev_b32_e32 v25, 2, v5
	v_xor_b32_e32 v5, 1, v0
	v_max_f32_e32 v1, v4, v1
	v_cmp_gt_i32_e32 vcc_lo, 32, v5
	ds_bpermute_b32 v4, v3, v1
	v_cndmask_b32_e32 v5, v0, v5, vcc_lo
	s_waitcnt lgkmcnt(0)
	v_max_f32_e32 v4, v4, v4
	v_max_f32_e32 v1, v1, v4
	ds_bpermute_b32 v4, v26, v1
	s_waitcnt lgkmcnt(0)
	v_max_f32_e32 v4, v4, v4
	v_max_f32_e32 v1, v1, v4
	ds_bpermute_b32 v4, v25, v1
	s_waitcnt lgkmcnt(0)
	v_max_f32_e32 v4, v4, v4
	v_max_f32_e32 v0, v1, v4
	v_lshlrev_b32_e32 v4, 2, v5
	buffer_load_dword v5, off, s[0:3], s32 offset:736 ; 4-byte Folded Reload
	ds_bpermute_b32 v1, v4, v0
	s_waitcnt vmcnt(0)
	v_cmp_eq_u32_e32 vcc_lo, 0, v5
	buffer_load_dword v5, off, s[0:3], s32 offset:1228 ; 4-byte Folded Reload
	s_waitcnt vmcnt(0)
	v_lshlrev_b32_e32 v5, 2, v5
	s_and_saveexec_b32 s5, vcc_lo
	s_cbranch_execz .LBB235_915
; %bb.914:
	s_waitcnt lgkmcnt(0)
	v_max_f32_e32 v1, v1, v1
	v_max_f32_e32 v0, v0, v0
	;; [unrolled: 1-line block ×3, first 2 shown]
	ds_write_b32 v5, v0 offset:448
.LBB235_915:
	s_or_b32 exec_lo, exec_lo, s5
	buffer_load_dword v0, off, s[0:3], s32 offset:736 ; 4-byte Folded Reload
	s_waitcnt vmcnt(0) lgkmcnt(0)
	s_waitcnt_vscnt null, 0x0
	s_barrier
	buffer_gl0_inv
	v_cmp_gt_u32_e64 s5, 4, v0
	v_mov_b32_e32 v0, 0xff7fffff
	s_and_saveexec_b32 s6, s5
; %bb.916:
	ds_read_b32 v0, v12 offset:448
; %bb.917:
	s_or_b32 exec_lo, exec_lo, s6
	buffer_load_dword v6, off, s[0:3], s32 offset:232 ; 4-byte Folded Reload
	s_waitcnt lgkmcnt(0)
	ds_bpermute_b32 v1, v25, v0
	v_max_f32_e32 v0, v0, v0
	s_waitcnt lgkmcnt(0)
	v_max_f32_e32 v1, v1, v1
	v_max_f32_e32 v0, v0, v1
	ds_bpermute_b32 v1, v4, v0
	s_waitcnt lgkmcnt(0)
	v_max_f32_e32 v1, v1, v1
	v_max_f32_e32 v0, v0, v1
	s_waitcnt vmcnt(0)
	v_subrev_nc_u32_e32 v7, s13, v6
	v_mov_b32_e32 v6, 0
	v_lshl_add_u32 v1, v7, 5, s7
	buffer_load_dword v7, off, s[0:3], s32 offset:740 ; 4-byte Folded Reload
	ds_bpermute_b32 v0, v6, v0
	v_min_i32_e32 v1, v1, v122
	v_subrev_nc_u32_e32 v1, s7, v1
	s_waitcnt vmcnt(0)
	v_cmp_lt_i32_e64 s6, v7, v1
	s_and_saveexec_b32 s9, s6
	s_cbranch_execz .LBB235_921
; %bb.918:
	buffer_load_dword v8, off, s[0:3], s32 offset:740 ; 4-byte Folded Reload
	s_getpc_b64 s[20:21]
	s_add_u32 s20, s20, llvm.amdgcn.dynlds.offset.table@rel32@lo+4
	s_addc_u32 s21, s21, llvm.amdgcn.dynlds.offset.table@rel32@hi+12
	s_ashr_i32 s17, s16, 31
	v_mov_b32_e32 v6, 0
	s_lshl_b64 s[22:23], s[16:17], 2
	s_mov_b32 s13, 0
	s_add_u32 s20, s20, s22
	s_addc_u32 s21, s21, s23
	s_load_dword s7, s[20:21], 0x0
	s_waitcnt vmcnt(0) lgkmcnt(0)
	v_lshl_add_u32 v7, v8, 2, s7
	.p2align	6
.LBB235_919:                            ; =>This Inner Loop Header: Depth=1
	ds_read_b32 v9, v7
	v_add_nc_u32_e32 v8, 0x80, v8
	v_cmp_ge_i32_e64 s7, v8, v1
	s_or_b32 s13, s7, s13
	s_waitcnt lgkmcnt(0)
	v_sub_f32_e32 v9, v9, v0
	v_mul_f32_e32 v9, 0x3fb8aa3b, v9
	v_exp_f32_e32 v9, v9
	ds_write_b32 v7, v9
	v_add_f32_e32 v6, v6, v9
	v_add_nc_u32_e32 v7, 0x200, v7
	s_andn2_b32 exec_lo, exec_lo, s13
	s_cbranch_execnz .LBB235_919
; %bb.920:
	s_or_b32 exec_lo, exec_lo, s13
.LBB235_921:
	s_or_b32 exec_lo, exec_lo, s9
	ds_bpermute_b32 v2, v2, v6
	s_waitcnt lgkmcnt(0)
	v_add_f32_e32 v2, v6, v2
	ds_bpermute_b32 v3, v3, v2
	s_waitcnt lgkmcnt(0)
	v_add_f32_e32 v2, v2, v3
	;; [unrolled: 3-line block ×5, first 2 shown]
	s_and_saveexec_b32 s7, vcc_lo
; %bb.922:
	ds_write_b32 v5, v2 offset:464
; %bb.923:
	s_or_b32 exec_lo, exec_lo, s7
	s_waitcnt lgkmcnt(0)
	s_barrier
	buffer_gl0_inv
	s_and_saveexec_b32 s7, s5
; %bb.924:
	ds_read_b32 v2, v12 offset:464
; %bb.925:
	s_or_b32 exec_lo, exec_lo, s7
	s_waitcnt lgkmcnt(0)
	ds_bpermute_b32 v3, v25, v2
	s_waitcnt lgkmcnt(0)
	v_add_f32_e32 v2, v2, v3
	ds_bpermute_b32 v3, v4, v2
	s_waitcnt lgkmcnt(0)
	v_add_f32_e32 v2, v2, v3
	v_mov_b32_e32 v3, 0
	ds_bpermute_b32 v2, v3, v2
	s_and_saveexec_b32 s5, s6
	s_cbranch_execz .LBB235_928
; %bb.926:
	s_waitcnt lgkmcnt(0)
	v_add_f32_e32 v5, 0x358637bd, v2
	s_getpc_b64 s[6:7]
	s_add_u32 s6, s6, llvm.amdgcn.dynlds.offset.table@rel32@lo+4
	s_addc_u32 s7, s7, llvm.amdgcn.dynlds.offset.table@rel32@hi+12
	s_ashr_i32 s17, s16, 31
	s_lshl_b64 s[20:21], s[16:17], 2
	v_div_scale_f32 v3, null, v5, v5, 1.0
	v_div_scale_f32 v8, vcc_lo, 1.0, v5, 1.0
	s_add_u32 s6, s6, s20
	v_rcp_f32_e32 v6, v3
	s_addc_u32 s7, s7, s21
	s_load_dword s6, s[6:7], 0x0
	v_fma_f32 v7, -v3, v6, 1.0
	v_fmac_f32_e32 v6, v7, v6
	v_mul_f32_e32 v7, v8, v6
	v_fma_f32 v9, -v3, v7, v8
	v_fmac_f32_e32 v7, v9, v6
	v_fma_f32 v3, -v3, v7, v8
	v_div_fmas_f32 v6, v3, v6, v7
	buffer_load_dword v7, off, s[0:3], s32 offset:740 ; 4-byte Folded Reload
	v_div_fixup_f32 v5, v6, v5, 1.0
	s_waitcnt vmcnt(0) lgkmcnt(0)
	v_lshl_add_u32 v3, v7, 2, s6
	v_mov_b32_e32 v6, v7
	s_mov_b32 s6, 0
.LBB235_927:                            ; =>This Inner Loop Header: Depth=1
	ds_read_b32 v7, v3
	v_add_nc_u32_e32 v6, 0x80, v6
	v_cmp_ge_i32_e32 vcc_lo, v6, v1
	s_or_b32 s6, vcc_lo, s6
	s_waitcnt lgkmcnt(0)
	v_mul_f32_e32 v7, v5, v7
	ds_write_b32 v3, v7
	v_add_nc_u32_e32 v3, 0x200, v3
	s_andn2_b32 exec_lo, exec_lo, s6
	s_cbranch_execnz .LBB235_927
.LBB235_928:
	s_or_b32 exec_lo, exec_lo, s5
	s_waitcnt lgkmcnt(0)
	buffer_load_dword v1, off, s[0:3], s32 offset:740 ; 4-byte Folded Reload
	s_and_b32 s5, 0xffff, s8
	s_mov_b32 s8, exec_lo
	s_cmp_lg_u32 s5, 0
	s_barrier
	s_cselect_b32 s5, -1, 0
	s_waitcnt vmcnt(0)
	buffer_gl0_inv
	s_cmp_lg_u32 s5, 0
	s_addc_u32 s5, s11, 0
	s_mul_i32 s6, s5, s18
	s_mul_i32 s6, s6, s15
	v_cmpx_eq_u32_e32 0, v1
	s_cbranch_execz .LBB235_930
; %bb.929:
	s_ashr_i32 s7, s6, 31
	s_mul_i32 s12, s5, s12
	s_lshl_b64 s[20:21], s[6:7], 2
	s_ashr_i32 s13, s12, 31
	v_add_co_u32 v1, vcc_lo, v33, s20
	v_add_co_ci_u32_e64 v3, null, s21, v32, vcc_lo
	s_lshl_b64 s[12:13], s[12:13], 2
	s_ashr_i32 s15, s14, 31
	v_add_co_u32 v1, vcc_lo, v1, s12
	v_add_co_ci_u32_e64 v3, null, s13, v3, vcc_lo
	v_add_co_u32 v5, vcc_lo, v27, s20
	v_add_co_ci_u32_e64 v6, null, s21, v24, vcc_lo
	s_lshl_b64 s[20:21], s[14:15], 2
	v_add_co_u32 v7, vcc_lo, v5, s12
	v_add_co_ci_u32_e64 v8, null, s13, v6, vcc_lo
	v_add_co_u32 v5, vcc_lo, v1, s20
	v_add_co_ci_u32_e64 v6, null, s21, v3, vcc_lo
	;; [unrolled: 2-line block ×3, first 2 shown]
	flat_store_dword v[5:6], v0
	flat_store_dword v[7:8], v2
.LBB235_930:
	s_or_b32 exec_lo, exec_lo, s8
	buffer_load_dword v0, off, s[0:3], s32 offset:740 ; 4-byte Folded Reload
	s_ashr_i32 s17, s16, 31
	s_getpc_b64 s[8:9]
	s_add_u32 s8, s8, llvm.amdgcn.dynlds.offset.table@rel32@lo+4
	s_addc_u32 s9, s9, llvm.amdgcn.dynlds.offset.table@rel32@hi+12
	s_lshl_b64 s[12:13], s[16:17], 2
	v_mov_b32_e32 v22, 0
	v_mov_b32_e32 v23, 0
	;; [unrolled: 1-line block ×28, first 2 shown]
	s_add_u32 s8, s8, s12
	s_addc_u32 s9, s9, s13
	s_waitcnt vmcnt(0)
	v_and_b32_e32 v55, 7, v0
	s_and_saveexec_b32 s7, s4
	s_cbranch_execz .LBB235_1888
; %bb.931:
	buffer_load_dword v0, off, s[0:3], s32 offset:740 ; 4-byte Folded Reload
	v_max_i32_e32 v80, v30, v68
	buffer_store_dword v26, off, s[0:3], s32 offset:620 ; 4-byte Folded Spill
	s_load_dword s4, s[8:9], 0x0
	v_mov_b32_e32 v12, 0
	v_add_co_u32 v3, vcc_lo, v10, v13
	v_add_co_ci_u32_e64 v5, null, v11, v69, vcc_lo
	v_sub_nc_u32_e32 v11, 0, v80
	v_lshlrev_b32_e32 v9, 4, v55
	v_mov_b32_e32 v6, 0
	v_mov_b32_e32 v82, 0x80
	v_bfrev_b32_e32 v8, 1
	v_mov_b32_e32 v10, 0x7f800001
	v_mov_b32_e32 v84, 0xff
	v_mov_b32_e32 v46, 0
	v_mov_b32_e32 v19, 0
	v_mov_b32_e32 v20, 0
	v_mov_b32_e32 v18, 0
	s_mov_b32 s11, 0
	s_waitcnt vmcnt(0)
	v_lshlrev_b32_e32 v2, 2, v0
	v_cvt_f32_u32_e32 v0, v80
	v_rcp_iflag_f32_e32 v7, v0
	v_add_nc_u32_e32 v0, -1, v67
	buffer_store_dword v0, off, s[0:3], s32 offset:588 ; 4-byte Folded Spill
	s_clause 0x1
	buffer_load_dword v0, off, s[0:3], s32 offset:200
	buffer_load_dword v1, off, s[0:3], s32 offset:204
	buffer_store_dword v12, off, s[0:3], s32 offset:364 ; 4-byte Folded Spill
	v_mov_b32_e32 v12, 0
	buffer_store_dword v55, off, s[0:3], s32 offset:612 ; 4-byte Folded Spill
	v_mul_f32_e32 v7, 0x4f7ffffe, v7
	buffer_store_dword v12, off, s[0:3], s32 offset:372 ; 4-byte Folded Spill
	v_mov_b32_e32 v12, 0
	v_cvt_u32_f32_e32 v7, v7
	buffer_store_dword v12, off, s[0:3], s32 offset:380 ; 4-byte Folded Spill
	v_mov_b32_e32 v12, 0
	v_mul_lo_u32 v11, v11, v7
	buffer_store_dword v12, off, s[0:3], s32 offset:388 ; 4-byte Folded Spill
	v_and_b32_e32 v12, 28, v2
	v_and_b32_e32 v2, 0x7c, v2
	v_mul_hi_u32 v11, v7, v11
	buffer_store_dword v12, off, s[0:3], s32 offset:596 ; 4-byte Folded Spill
	buffer_load_dword v12, off, s[0:3], s32 offset:1228 ; 4-byte Folded Reload
	s_waitcnt vmcnt(1)
	v_lshlrev_b64 v[0:1], 2, v[0:1]
	v_add_co_u32 v0, vcc_lo, v65, v0
	v_add_co_ci_u32_e64 v1, null, v66, v1, vcc_lo
	v_add_co_u32 v2, vcc_lo, v3, v2
	v_add_co_ci_u32_e64 v3, null, 0, v5, vcc_lo
	buffer_store_dword v2, off, s[0:3], s32 offset:604 ; 4-byte Folded Spill
	buffer_store_dword v3, off, s[0:3], s32 offset:608 ; 4-byte Folded Spill
	buffer_load_dword v123, off, s[0:3], s32 offset:1240 ; 4-byte Folded Reload
	v_add_co_u32 v13, vcc_lo, v14, v0
	v_add_nc_u32_e32 v0, v7, v11
	v_add_co_ci_u32_e64 v14, null, v15, v1, vcc_lo
	buffer_store_dword v0, off, s[0:3], s32 offset:556 ; 4-byte Folded Spill
	v_mov_b32_e32 v0, 0
	s_waitcnt vmcnt(1)
	v_lshl_or_b32 v9, v12, 7, v9
	buffer_store_dword v0, off, s[0:3], s32 offset:396 ; 4-byte Folded Spill
	v_mov_b32_e32 v0, 0
	s_waitcnt lgkmcnt(0)
	v_add_nc_u32_e32 v96, s4, v9
	buffer_store_dword v0, off, s[0:3], s32 offset:404 ; 4-byte Folded Spill
	v_mov_b32_e32 v0, 0
	buffer_store_dword v0, off, s[0:3], s32 offset:412 ; 4-byte Folded Spill
	v_mov_b32_e32 v0, 0
	;; [unrolled: 2-line block ×18, first 2 shown]
	buffer_store_dword v0, off, s[0:3], s32 offset:540 ; 4-byte Folded Spill
	s_branch .LBB235_934
.LBB235_932:                            ;   in Loop: Header=BB235_934 Depth=1
	s_or_b32 exec_lo, exec_lo, s4
	buffer_load_dword v22, off, s[0:3], s32 offset:364 ; 4-byte Folded Reload
	v_mul_f32_e32 v16, v1, v44
	v_mul_f32_e32 v12, v1, v12
	;; [unrolled: 1-line block ×5, first 2 shown]
	v_fmac_f32_e32 v16, v0, v43
	v_fmac_f32_e32 v12, v0, v11
	buffer_load_dword v11, off, s[0:3], s32 offset:428 ; 4-byte Folded Reload
	v_fmac_f32_e32 v17, v0, v85
	v_fmac_f32_e32 v18, v0, v40
	;; [unrolled: 1-line block ×4, first 2 shown]
	v_mul_f32_e32 v20, v1, v101
	v_fmac_f32_e32 v17, v2, v83
	v_fmac_f32_e32 v18, v2, v119
	;; [unrolled: 1-line block ×7, first 2 shown]
	v_mul_f32_e32 v21, v1, v70
	v_fmac_f32_e32 v19, v3, v102
	v_fmac_f32_e32 v20, v2, v99
	;; [unrolled: 1-line block ×8, first 2 shown]
	s_waitcnt vmcnt(1)
	v_add_f32_e32 v22, v22, v16
	buffer_load_dword v16, off, s[0:3], s32 offset:372 ; 4-byte Folded Reload
	buffer_store_dword v22, off, s[0:3], s32 offset:364 ; 4-byte Folded Spill
	s_waitcnt vmcnt(0)
	v_add_f32_e32 v16, v16, v17
	v_mul_f32_e32 v17, v1, v54
	buffer_store_dword v16, off, s[0:3], s32 offset:372 ; 4-byte Folded Spill
	buffer_load_dword v16, off, s[0:3], s32 offset:380 ; 4-byte Folded Reload
	v_fmac_f32_e32 v17, v0, v53
	v_fmac_f32_e32 v17, v2, v52
	;; [unrolled: 1-line block ×3, first 2 shown]
	s_waitcnt vmcnt(0)
	v_add_f32_e32 v16, v16, v18
	buffer_load_dword v18, off, s[0:3], s32 offset:388 ; 4-byte Folded Reload
	buffer_store_dword v16, off, s[0:3], s32 offset:380 ; 4-byte Folded Spill
	v_mul_f32_e32 v16, v1, v66
	v_fmac_f32_e32 v16, v0, v65
	v_fmac_f32_e32 v16, v2, v64
	;; [unrolled: 1-line block ×3, first 2 shown]
	s_waitcnt vmcnt(0)
	v_add_f32_e32 v18, v18, v19
	v_mul_f32_e32 v19, v1, v30
	buffer_store_dword v18, off, s[0:3], s32 offset:388 ; 4-byte Folded Spill
	buffer_load_dword v18, off, s[0:3], s32 offset:396 ; 4-byte Folded Reload
	v_fmac_f32_e32 v19, v0, v29
	v_fmac_f32_e32 v19, v2, v28
	;; [unrolled: 1-line block ×3, first 2 shown]
	s_waitcnt vmcnt(0)
	v_add_f32_e32 v18, v18, v20
	buffer_load_dword v20, off, s[0:3], s32 offset:572 ; 4-byte Folded Reload
	buffer_store_dword v18, off, s[0:3], s32 offset:396 ; 4-byte Folded Spill
	buffer_load_dword v18, off, s[0:3], s32 offset:404 ; 4-byte Folded Reload
	s_waitcnt vmcnt(0)
	v_add_f32_e32 v18, v18, v21
	buffer_load_dword v21, off, s[0:3], s32 offset:492 ; 4-byte Folded Reload
	buffer_store_dword v18, off, s[0:3], s32 offset:404 ; 4-byte Folded Spill
	buffer_load_dword v18, off, s[0:3], s32 offset:412 ; 4-byte Folded Reload
	s_waitcnt vmcnt(0)
	v_add_f32_e32 v18, v18, v16
	buffer_load_dword v16, off, s[0:3], s32 offset:420 ; 4-byte Folded Reload
	buffer_store_dword v18, off, s[0:3], s32 offset:412 ; 4-byte Folded Spill
	v_mul_f32_e32 v18, v1, v34
	v_fmac_f32_e32 v18, v0, v33
	v_fmac_f32_e32 v18, v2, v32
	;; [unrolled: 1-line block ×3, first 2 shown]
	s_waitcnt vmcnt(0)
	v_add_f32_e32 v16, v16, v17
	v_mul_f32_e32 v17, v1, v38
	buffer_store_dword v16, off, s[0:3], s32 offset:420 ; 4-byte Folded Spill
	v_mul_f32_e32 v16, v1, v50
	v_fmac_f32_e32 v17, v0, v37
	v_fmac_f32_e32 v16, v0, v49
	;; [unrolled: 1-line block ×6, first 2 shown]
	v_add_f32_e32 v11, v11, v16
	v_mul_f32_e32 v16, v1, v110
	buffer_store_dword v11, off, s[0:3], s32 offset:428 ; 4-byte Folded Spill
	buffer_load_dword v11, off, s[0:3], s32 offset:436 ; 4-byte Folded Reload
	v_fmac_f32_e32 v16, v0, v109
	v_fmac_f32_e32 v16, v2, v108
	;; [unrolled: 1-line block ×3, first 2 shown]
	v_add_f32_e32 v20, v20, v16
	v_mul_f32_e32 v16, v1, v74
	v_fmac_f32_e32 v16, v0, v73
	v_fmac_f32_e32 v16, v2, v72
	;; [unrolled: 1-line block ×3, first 2 shown]
	s_waitcnt vmcnt(0)
	v_add_f32_e32 v11, v11, v17
	v_mul_f32_e32 v17, v1, v106
	buffer_store_dword v11, off, s[0:3], s32 offset:436 ; 4-byte Folded Spill
	buffer_load_dword v11, off, s[0:3], s32 offset:444 ; 4-byte Folded Reload
	v_fmac_f32_e32 v17, v0, v105
	v_fmac_f32_e32 v17, v2, v104
	;; [unrolled: 1-line block ×3, first 2 shown]
	s_waitcnt vmcnt(0)
	v_add_f32_e32 v11, v11, v18
	v_mul_f32_e32 v18, v1, v94
	buffer_store_dword v11, off, s[0:3], s32 offset:444 ; 4-byte Folded Spill
	buffer_load_dword v11, off, s[0:3], s32 offset:452 ; 4-byte Folded Reload
	v_fmac_f32_e32 v18, v0, v93
	v_fmac_f32_e32 v18, v2, v92
	;; [unrolled: 1-line block ×3, first 2 shown]
	s_waitcnt vmcnt(0)
	v_add_f32_e32 v11, v11, v19
	buffer_load_dword v19, off, s[0:3], s32 offset:468 ; 4-byte Folded Reload
	buffer_store_dword v11, off, s[0:3], s32 offset:452 ; 4-byte Folded Spill
	buffer_load_dword v11, off, s[0:3], s32 offset:460 ; 4-byte Folded Reload
	s_waitcnt vmcnt(0)
	v_add_f32_e32 v11, v11, v12
	v_mul_f32_e32 v12, v1, v124
	buffer_store_dword v11, off, s[0:3], s32 offset:460 ; 4-byte Folded Spill
	v_mul_f32_e32 v11, v1, v27
	v_fmac_f32_e32 v12, v0, v121
	v_fmac_f32_e32 v11, v0, v127
	;; [unrolled: 1-line block ×6, first 2 shown]
	v_add_f32_e32 v19, v19, v11
	buffer_load_dword v11, off, s[0:3], s32 offset:476 ; 4-byte Folded Reload
	buffer_store_dword v19, off, s[0:3], s32 offset:468 ; 4-byte Folded Spill
	buffer_load_dword v19, off, s[0:3], s32 offset:564 ; 4-byte Folded Reload
	s_waitcnt vmcnt(1)
	v_add_f32_e32 v11, v11, v17
	v_mul_f32_e32 v17, v1, v62
	buffer_store_dword v11, off, s[0:3], s32 offset:476 ; 4-byte Folded Spill
	buffer_load_dword v11, off, s[0:3], s32 offset:484 ; 4-byte Folded Reload
	s_waitcnt vmcnt(1)
	v_add_f32_e32 v19, v19, v12
	v_mul_f32_e32 v12, v1, v78
	v_fmac_f32_e32 v17, v0, v61
	v_fmac_f32_e32 v12, v0, v77
	;; [unrolled: 1-line block ×6, first 2 shown]
	s_waitcnt vmcnt(0)
	v_add_f32_e32 v11, v11, v18
	v_mul_f32_e32 v18, v1, v58
	buffer_store_dword v11, off, s[0:3], s32 offset:484 ; 4-byte Folded Spill
	v_mul_f32_e32 v11, v1, v90
	v_fmac_f32_e32 v18, v0, v57
	v_fmac_f32_e32 v11, v0, v89
	;; [unrolled: 1-line block ×6, first 2 shown]
	v_add_f32_e32 v21, v21, v11
	buffer_load_dword v11, off, s[0:3], s32 offset:500 ; 4-byte Folded Reload
	buffer_store_dword v21, off, s[0:3], s32 offset:492 ; 4-byte Folded Spill
	s_waitcnt vmcnt(0)
	v_add_f32_e32 v11, v11, v12
	buffer_load_dword v12, off, s[0:3], s32 offset:324 ; 4-byte Folded Reload
	buffer_store_dword v11, off, s[0:3], s32 offset:500 ; 4-byte Folded Spill
	buffer_load_dword v11, off, s[0:3], s32 offset:508 ; 4-byte Folded Reload
	s_waitcnt vmcnt(0)
	v_add_f32_e32 v11, v11, v16
	buffer_load_dword v16, off, s[0:3], s32 offset:292 ; 4-byte Folded Reload
	v_mul_f32_e32 v12, v1, v12
	buffer_store_dword v11, off, s[0:3], s32 offset:508 ; 4-byte Folded Spill
	buffer_load_dword v11, off, s[0:3], s32 offset:516 ; 4-byte Folded Reload
	s_waitcnt vmcnt(0)
	v_add_f32_e32 v11, v11, v17
	buffer_load_dword v17, off, s[0:3], s32 offset:260 ; 4-byte Folded Reload
	v_mul_f32_e32 v16, v1, v16
	buffer_store_dword v11, off, s[0:3], s32 offset:516 ; 4-byte Folded Spill
	buffer_load_dword v11, off, s[0:3], s32 offset:580 ; 4-byte Folded Reload
	s_waitcnt vmcnt(1)
	v_mul_f32_e32 v17, v1, v17
	s_waitcnt vmcnt(0)
	v_add_f32_e32 v18, v11, v18
	buffer_load_dword v11, off, s[0:3], s32 offset:356 ; 4-byte Folded Reload
	s_waitcnt vmcnt(0)
	v_mul_f32_e32 v11, v1, v11
	v_mul_f32_e32 v1, v1, v15
	buffer_load_dword v15, off, s[0:3], s32 offset:348 ; 4-byte Folded Reload
	v_fmac_f32_e32 v1, v0, v9
	v_fmac_f32_e32 v1, v2, v7
	;; [unrolled: 1-line block ×3, first 2 shown]
	v_add_f32_e32 v46, v46, v1
	s_waitcnt vmcnt(0)
	v_fmac_f32_e32 v11, v0, v15
	buffer_load_dword v15, off, s[0:3], s32 offset:316 ; 4-byte Folded Reload
	s_waitcnt vmcnt(0)
	v_fmac_f32_e32 v12, v0, v15
	buffer_load_dword v15, off, s[0:3], s32 offset:284 ; 4-byte Folded Reload
	s_waitcnt vmcnt(0)
	v_fmac_f32_e32 v16, v0, v15
	buffer_load_dword v15, off, s[0:3], s32 offset:252 ; 4-byte Folded Reload
	s_waitcnt vmcnt(0)
	v_fmac_f32_e32 v17, v0, v15
	buffer_load_dword v0, off, s[0:3], s32 offset:340 ; 4-byte Folded Reload
	s_waitcnt vmcnt(0)
	v_fmac_f32_e32 v11, v2, v0
	buffer_load_dword v0, off, s[0:3], s32 offset:308 ; 4-byte Folded Reload
	s_waitcnt vmcnt(0)
	v_fmac_f32_e32 v12, v2, v0
	buffer_load_dword v0, off, s[0:3], s32 offset:276 ; 4-byte Folded Reload
	s_waitcnt vmcnt(0)
	v_fmac_f32_e32 v16, v2, v0
	buffer_load_dword v0, off, s[0:3], s32 offset:244 ; 4-byte Folded Reload
	s_waitcnt vmcnt(0)
	v_fmac_f32_e32 v17, v2, v0
	buffer_load_dword v0, off, s[0:3], s32 offset:332 ; 4-byte Folded Reload
	s_waitcnt vmcnt(0)
	v_fmac_f32_e32 v11, v3, v0
	buffer_load_dword v0, off, s[0:3], s32 offset:300 ; 4-byte Folded Reload
	s_waitcnt vmcnt(0)
	v_fmac_f32_e32 v12, v3, v0
	buffer_load_dword v0, off, s[0:3], s32 offset:268 ; 4-byte Folded Reload
	s_waitcnt vmcnt(0)
	v_fmac_f32_e32 v16, v3, v0
	buffer_load_dword v0, off, s[0:3], s32 offset:208 ; 4-byte Folded Reload
	s_waitcnt vmcnt(0)
	v_fmac_f32_e32 v17, v3, v0
	buffer_load_dword v0, off, s[0:3], s32 offset:524 ; 4-byte Folded Reload
	s_waitcnt vmcnt(0)
	v_add_f32_e32 v0, v0, v11
	buffer_store_dword v0, off, s[0:3], s32 offset:524 ; 4-byte Folded Spill
	buffer_load_dword v0, off, s[0:3], s32 offset:532 ; 4-byte Folded Reload
	s_waitcnt vmcnt(0)
	v_add_f32_e32 v0, v0, v12
	buffer_store_dword v0, off, s[0:3], s32 offset:532 ; 4-byte Folded Spill
	buffer_load_dword v0, off, s[0:3], s32 offset:548 ; 4-byte Folded Reload
	;; [unrolled: 4-line block ×3, first 2 shown]
	s_waitcnt vmcnt(0)
	v_add_f32_e32 v0, v0, v17
	buffer_store_dword v0, off, s[0:3], s32 offset:540 ; 4-byte Folded Spill
.LBB235_933:                            ;   in Loop: Header=BB235_934 Depth=1
	s_or_b32 exec_lo, exec_lo, s12
	s_clause 0x1
	buffer_load_dword v0, off, s[0:3], s32 offset:200
	buffer_load_dword v1, off, s[0:3], s32 offset:204
	v_add_co_u32 v13, s4, v13, 16
	v_add_co_ci_u32_e64 v14, null, 0, v14, s4
	v_add_nc_u32_e32 v123, 0x80, v123
	v_add_nc_u32_e32 v96, 0x200, v96
	s_waitcnt vmcnt(0)
	v_mov_b32_e32 v1, v0
	v_add_nc_u32_e32 v1, 4, v1
	v_mov_b32_e32 v0, v1
	buffer_store_dword v0, off, s[0:3], s32 offset:200 ; 4-byte Folded Spill
	buffer_store_dword v1, off, s[0:3], s32 offset:204 ; 4-byte Folded Spill
	buffer_load_dword v0, off, s[0:3], s32 offset:232 ; 4-byte Folded Reload
	s_waitcnt vmcnt(0)
	v_cmp_ge_i32_e32 vcc_lo, v1, v0
	s_or_b32 s11, vcc_lo, s11
	s_andn2_b32 exec_lo, exec_lo, s11
	s_cbranch_execz .LBB235_1887
.LBB235_934:                            ; =>This Inner Loop Header: Depth=1
	s_clause 0x1
	buffer_load_dword v1, off, s[0:3], s32 offset:236
	buffer_load_dword v5, off, s[0:3], s32 offset:216
	s_waitcnt vmcnt(2)
	v_mov_b32_e32 v7, v123
	v_sub_nc_u32_e32 v0, 0, v7
	v_max_i32_e32 v0, v7, v0
	s_waitcnt vmcnt(1)
	v_mul_hi_u32 v1, v0, v1
	s_waitcnt vmcnt(0)
	v_mul_lo_u32 v2, v1, v5
	v_sub_nc_u32_e32 v0, v0, v2
	v_add_nc_u32_e32 v2, 1, v1
	v_cmp_ge_u32_e32 vcc_lo, v0, v5
	v_sub_nc_u32_e32 v3, v0, v5
	v_cndmask_b32_e32 v1, v1, v2, vcc_lo
	v_ashrrev_i32_e32 v2, 31, v7
	buffer_load_dword v7, off, s[0:3], s32 offset:228 ; 4-byte Folded Reload
	v_cndmask_b32_e32 v0, v0, v3, vcc_lo
	v_add_nc_u32_e32 v3, 1, v1
	v_cmp_ge_u32_e32 vcc_lo, v0, v5
	v_cndmask_b32_e32 v0, v1, v3, vcc_lo
	s_waitcnt vmcnt(0)
	v_xor_b32_e32 v2, v2, v7
	v_xor_b32_e32 v0, v0, v2
	v_sub_nc_u32_e32 v0, v0, v2
	s_clause 0x2
	buffer_load_dword v1, off, s[0:3], s32 offset:220
	buffer_load_dword v2, off, s[0:3], s32 offset:224
	;; [unrolled: 1-line block ×3, first 2 shown]
	s_waitcnt vmcnt(2)
	v_add_nc_u32_e32 v1, v0, v1
	s_waitcnt vmcnt(1)
	v_sub_nc_u32_e32 v2, 0, v1
	v_max_i32_e32 v2, v1, v2
	v_ashrrev_i32_e32 v1, 31, v1
	s_waitcnt vmcnt(0)
	v_mul_hi_u32 v3, v2, v3
	v_mul_lo_u32 v3, v3, v80
	v_sub_nc_u32_e32 v2, v2, v3
	v_sub_nc_u32_e32 v3, v2, v80
	v_cmp_ge_u32_e32 vcc_lo, v2, v80
	v_cndmask_b32_e32 v2, v2, v3, vcc_lo
	v_sub_nc_u32_e32 v3, v2, v80
	v_cmp_ge_u32_e32 vcc_lo, v2, v80
	v_cndmask_b32_e32 v2, v2, v3, vcc_lo
	v_xor_b32_e32 v2, v2, v1
	v_sub_nc_u32_e32 v1, v2, v1
	v_cmp_eq_u32_e32 vcc_lo, 0, v1
	buffer_load_dword v1, off, s[0:3], s32 offset:240 ; 4-byte Folded Reload
	s_waitcnt vmcnt(0)
	v_cmp_gt_i32_e64 s4, v0, v1
	s_or_b32 s4, vcc_lo, s4
	s_and_saveexec_b32 s12, s4
	s_cbranch_execz .LBB235_933
; %bb.935:                              ;   in Loop: Header=BB235_934 Depth=1
	buffer_store_dword v18, off, s[0:3], s32 offset:580 ; 4-byte Folded Spill
	buffer_store_dword v20, off, s[0:3], s32 offset:572 ; 4-byte Folded Spill
	;; [unrolled: 1-line block ×3, first 2 shown]
	flat_load_dword v0, v[13:14]
	s_clause 0x2
	buffer_load_dword v1, off, s[0:3], s32 offset:700
	buffer_load_dword v2, off, s[0:3], s32 offset:604
	;; [unrolled: 1-line block ×3, first 2 shown]
	v_mov_b32_e32 v19, 0
	v_mov_b32_e32 v17, 0
	;; [unrolled: 1-line block ×4, first 2 shown]
	s_waitcnt vmcnt(0) lgkmcnt(0)
	v_mad_i64_i32 v[15:16], null, v0, v1, v[2:3]
	flat_load_dword v11, v[15:16]
	s_clause 0x1
	buffer_load_dword v0, off, s[0:3], s32 offset:744
	buffer_load_dword v1, off, s[0:3], s32 offset:748
	s_waitcnt vmcnt(2) lgkmcnt(0)
	v_cmp_ne_u16_sdwa s13, v11, v6 src0_sel:BYTE_0 src1_sel:DWORD
	s_waitcnt vmcnt(0)
	flat_load_dword v98, v[0:1]
	ds_read_b128 v[0:3], v96
	s_and_saveexec_b32 s4, s13
	s_cbranch_execz .LBB235_943
; %bb.936:                              ;   in Loop: Header=BB235_934 Depth=1
	v_bfrev_b32_e32 v17, 1
	v_mov_b32_e32 v18, 0
	v_cmp_ne_u16_sdwa s15, v11, v82 src0_sel:BYTE_0 src1_sel:DWORD
	s_and_saveexec_b32 s13, s15
	s_cbranch_execz .LBB235_942
; %bb.937:                              ;   in Loop: Header=BB235_934 Depth=1
	v_mov_b32_e32 v17, 0x7f800001
	v_and_b32_e32 v9, 0x7f, v11
	v_mov_b32_e32 v18, 0
	s_mov_b32 s15, exec_lo
	v_cmpx_ne_u32_e32 0x7f, v9
	s_cbranch_execz .LBB235_941
; %bb.938:                              ;   in Loop: Header=BB235_934 Depth=1
	v_and_b32_e32 v5, 7, v11
	v_lshrrev_b32_e32 v7, 3, v9
	s_mov_b32 s16, exec_lo
	v_cmpx_gt_u32_e32 8, v9
; %bb.939:                              ;   in Loop: Header=BB235_934 Depth=1
	v_ffbh_u32_e32 v7, v5
	v_min_u32_e32 v7, 32, v7
	v_subrev_nc_u32_e32 v9, 28, v7
	v_sub_nc_u32_e32 v7, 29, v7
	v_lshlrev_b64 v[17:18], v9, v[5:6]
	v_and_b32_e32 v5, 7, v17
; %bb.940:                              ;   in Loop: Header=BB235_934 Depth=1
	s_or_b32 exec_lo, exec_lo, s16
	v_lshlrev_b32_e32 v9, 24, v11
	v_lshlrev_b32_e32 v5, 20, v5
	v_lshl_add_u32 v7, v7, 23, 0x3c000000
	v_and_b32_e32 v9, 0x80000000, v9
	v_or3_b32 v5, v5, v9, v7
	v_mov_b32_e32 v18, v6
	v_mov_b32_e32 v17, v5
.LBB235_941:                            ;   in Loop: Header=BB235_934 Depth=1
	s_or_b32 exec_lo, exec_lo, s15
.LBB235_942:                            ;   in Loop: Header=BB235_934 Depth=1
	s_or_b32 exec_lo, exec_lo, s13
.LBB235_943:                            ;   in Loop: Header=BB235_934 Depth=1
	s_or_b32 exec_lo, exec_lo, s4
	v_cmp_ne_u16_sdwa s13, v11, v6 src0_sel:BYTE_1 src1_sel:DWORD
	s_and_saveexec_b32 s4, s13
	s_cbranch_execz .LBB235_951
; %bb.944:                              ;   in Loop: Header=BB235_934 Depth=1
	v_mov_b32_e32 v7, v6
	v_mov_b32_e32 v20, v8
	v_cmp_ne_u16_sdwa s15, v11, v82 src0_sel:BYTE_1 src1_sel:DWORD
	v_mov_b32_e32 v19, v7
	s_and_saveexec_b32 s13, s15
	s_cbranch_execz .LBB235_950
; %bb.945:                              ;   in Loop: Header=BB235_934 Depth=1
	v_mov_b32_e32 v5, 0xffff
	v_mov_b32_e32 v9, v6
	;; [unrolled: 1-line block ×3, first 2 shown]
	s_mov_b32 s15, exec_lo
	v_and_b32_sdwa v5, v5, v11 dst_sel:DWORD dst_unused:UNUSED_PAD src0_sel:DWORD src1_sel:BYTE_1
	v_mov_b32_e32 v19, v9
	v_and_b32_e32 v12, 0x7f, v5
	v_cmpx_ne_u32_e32 0x7f, v12
	s_cbranch_execz .LBB235_949
; %bb.946:                              ;   in Loop: Header=BB235_934 Depth=1
	v_and_b32_e32 v5, 7, v5
	v_lshrrev_b32_e32 v7, 3, v12
	s_mov_b32 s16, exec_lo
	v_cmpx_gt_u32_e32 8, v12
; %bb.947:                              ;   in Loop: Header=BB235_934 Depth=1
	v_ffbh_u32_e32 v7, v5
	v_min_u32_e32 v7, 32, v7
	v_subrev_nc_u32_e32 v9, 28, v7
	v_sub_nc_u32_e32 v7, 29, v7
	v_lshlrev_b64 v[19:20], v9, v[5:6]
	v_and_b32_e32 v5, 7, v19
; %bb.948:                              ;   in Loop: Header=BB235_934 Depth=1
	s_or_b32 exec_lo, exec_lo, s16
	v_lshlrev_b32_e32 v9, 16, v11
	v_lshlrev_b32_e32 v5, 20, v5
	v_lshl_add_u32 v7, v7, 23, 0x3c000000
	v_mov_b32_e32 v19, v6
	v_and_b32_e32 v9, 0x80000000, v9
	v_or3_b32 v20, v5, v9, v7
.LBB235_949:                            ;   in Loop: Header=BB235_934 Depth=1
	s_or_b32 exec_lo, exec_lo, s15
.LBB235_950:                            ;   in Loop: Header=BB235_934 Depth=1
	s_or_b32 exec_lo, exec_lo, s13
.LBB235_951:                            ;   in Loop: Header=BB235_934 Depth=1
	s_or_b32 exec_lo, exec_lo, s4
	v_mov_b32_e32 v23, 0
	v_mov_b32_e32 v21, 0
	v_and_b32_sdwa v5, v11, v84 dst_sel:DWORD dst_unused:UNUSED_PAD src0_sel:WORD_1 src1_sel:DWORD
	v_mov_b32_e32 v24, 0
	v_mov_b32_e32 v22, 0
	s_mov_b32 s4, exec_lo
	v_cmpx_ne_u16_e32 0, v5
	s_cbranch_execz .LBB235_959
; %bb.952:                              ;   in Loop: Header=BB235_934 Depth=1
	v_bfrev_b32_e32 v21, 1
	v_mov_b32_e32 v22, 0
	s_mov_b32 s13, exec_lo
	v_cmpx_ne_u16_e32 0x80, v5
	s_cbranch_execz .LBB235_958
; %bb.953:                              ;   in Loop: Header=BB235_934 Depth=1
	v_mov_b32_e32 v21, 0x7f800001
	v_bfe_u32 v9, v11, 16, 7
	v_mov_b32_e32 v22, 0
	s_mov_b32 s15, exec_lo
	v_cmpx_ne_u32_e32 0x7f, v9
	s_cbranch_execz .LBB235_957
; %bb.954:                              ;   in Loop: Header=BB235_934 Depth=1
	v_mov_b32_e32 v5, 7
	v_lshrrev_b32_e32 v7, 3, v9
	s_mov_b32 s16, exec_lo
	v_and_b32_sdwa v5, v11, v5 dst_sel:DWORD dst_unused:UNUSED_PAD src0_sel:WORD_1 src1_sel:DWORD
	v_cmpx_gt_u32_e32 8, v9
; %bb.955:                              ;   in Loop: Header=BB235_934 Depth=1
	v_ffbh_u32_e32 v7, v5
	v_min_u32_e32 v7, 32, v7
	v_subrev_nc_u32_e32 v9, 28, v7
	v_sub_nc_u32_e32 v7, 29, v7
	v_lshlrev_b64 v[21:22], v9, v[5:6]
	v_and_b32_e32 v5, 7, v21
; %bb.956:                              ;   in Loop: Header=BB235_934 Depth=1
	s_or_b32 exec_lo, exec_lo, s16
	v_mov_b32_e32 v9, 24
	v_lshlrev_b32_e32 v5, 20, v5
	v_lshl_add_u32 v7, v7, 23, 0x3c000000
	v_lshlrev_b32_sdwa v9, v9, v11 dst_sel:DWORD dst_unused:UNUSED_PAD src0_sel:DWORD src1_sel:WORD_1
	v_and_b32_e32 v9, 0x80000000, v9
	v_or3_b32 v5, v5, v9, v7
	v_mov_b32_e32 v22, v6
	v_mov_b32_e32 v21, v5
.LBB235_957:                            ;   in Loop: Header=BB235_934 Depth=1
	s_or_b32 exec_lo, exec_lo, s15
.LBB235_958:                            ;   in Loop: Header=BB235_934 Depth=1
	s_or_b32 exec_lo, exec_lo, s13
.LBB235_959:                            ;   in Loop: Header=BB235_934 Depth=1
	s_or_b32 exec_lo, exec_lo, s4
	s_mov_b32 s4, exec_lo
	v_cmpx_lt_u32_e32 0xffffff, v11
	s_cbranch_execz .LBB235_967
; %bb.960:                              ;   in Loop: Header=BB235_934 Depth=1
	v_mov_b32_e32 v7, v6
	v_mov_b32_e32 v24, v8
	v_cmp_ne_u32_sdwa s15, v11, v82 src0_sel:BYTE_3 src1_sel:DWORD
	v_mov_b32_e32 v23, v7
	s_and_saveexec_b32 s13, s15
	s_cbranch_execz .LBB235_966
; %bb.961:                              ;   in Loop: Header=BB235_934 Depth=1
	v_mov_b32_e32 v9, v6
	v_mov_b32_e32 v24, v10
	v_bfe_u32 v12, v11, 24, 7
	s_mov_b32 s15, exec_lo
	v_mov_b32_e32 v23, v9
	v_cmpx_ne_u32_e32 0x7f, v12
	s_cbranch_execz .LBB235_965
; %bb.962:                              ;   in Loop: Header=BB235_934 Depth=1
	v_mov_b32_e32 v5, 7
	v_lshrrev_b32_e32 v7, 3, v12
	s_mov_b32 s16, exec_lo
	v_and_b32_sdwa v5, v11, v5 dst_sel:DWORD dst_unused:UNUSED_PAD src0_sel:BYTE_3 src1_sel:DWORD
	v_cmpx_gt_u32_e32 8, v12
; %bb.963:                              ;   in Loop: Header=BB235_934 Depth=1
	v_ffbh_u32_e32 v7, v5
	v_min_u32_e32 v7, 32, v7
	v_subrev_nc_u32_e32 v9, 28, v7
	v_sub_nc_u32_e32 v7, 29, v7
	v_lshlrev_b64 v[23:24], v9, v[5:6]
	v_and_b32_e32 v5, 7, v23
; %bb.964:                              ;   in Loop: Header=BB235_934 Depth=1
	s_or_b32 exec_lo, exec_lo, s16
	v_mov_b32_e32 v9, 24
	v_lshlrev_b32_e32 v5, 20, v5
	v_lshl_add_u32 v7, v7, 23, 0x3c000000
	v_mov_b32_e32 v23, v6
	v_lshlrev_b32_sdwa v9, v9, v11 dst_sel:DWORD dst_unused:UNUSED_PAD src0_sel:DWORD src1_sel:BYTE_3
	v_and_b32_e32 v9, 0x80000000, v9
	v_or3_b32 v24, v5, v9, v7
.LBB235_965:                            ;   in Loop: Header=BB235_934 Depth=1
	s_or_b32 exec_lo, exec_lo, s15
.LBB235_966:                            ;   in Loop: Header=BB235_934 Depth=1
	s_or_b32 exec_lo, exec_lo, s13
.LBB235_967:                            ;   in Loop: Header=BB235_934 Depth=1
	s_or_b32 exec_lo, exec_lo, s4
	buffer_load_dword v5, off, s[0:3], s32 offset:596 ; 4-byte Folded Reload
	v_or_b32_e32 v7, v19, v17
	v_or_b32_e32 v9, v23, v21
	;; [unrolled: 1-line block ×3, first 2 shown]
	s_waitcnt vmcnt(0)
	v_add_nc_u32_e32 v103, v5, v123
	v_or_b32_e32 v5, v20, v18
	s_clause 0x2
	buffer_load_dword v17, off, s[0:3], s32 offset:200
	buffer_load_dword v18, off, s[0:3], s32 offset:204
	;; [unrolled: 1-line block ×3, first 2 shown]
	v_add_nc_u32_e32 v114, 1, v103
	s_waitcnt lgkmcnt(1)
	v_mul_f32_e32 v5, v98, v5
	v_add_nc_u32_e32 v113, 2, v103
	v_add_nc_u32_e32 v112, 3, v103
	buffer_store_dword v5, off, s[0:3], s32 offset:260 ; 4-byte Folded Spill
	v_mul_f32_e32 v5, v98, v7
	buffer_store_dword v5, off, s[0:3], s32 offset:252 ; 4-byte Folded Spill
	v_mul_f32_e32 v5, v98, v9
	;; [unrolled: 2-line block ×3, first 2 shown]
	buffer_store_dword v5, off, s[0:3], s32 offset:208 ; 4-byte Folded Spill
	s_waitcnt vmcnt(0)
	v_cmp_eq_u32_e32 vcc_lo, v12, v17
	s_and_saveexec_b32 s13, vcc_lo
	s_cbranch_execz .LBB235_969
; %bb.968:                              ;   in Loop: Header=BB235_934 Depth=1
	buffer_load_dword v5, off, s[0:3], s32 offset:252 ; 4-byte Folded Reload
	v_cmp_lt_i32_e64 s4, v103, v122
	s_waitcnt vmcnt(0)
	v_cndmask_b32_e64 v5, 0, v5, s4
	v_cmp_lt_i32_e64 s4, v114, v122
	buffer_store_dword v5, off, s[0:3], s32 offset:252 ; 4-byte Folded Spill
	buffer_load_dword v5, off, s[0:3], s32 offset:260 ; 4-byte Folded Reload
	s_waitcnt vmcnt(0)
	v_cndmask_b32_e64 v5, 0, v5, s4
	v_cmp_lt_i32_e64 s4, v113, v122
	buffer_store_dword v5, off, s[0:3], s32 offset:260 ; 4-byte Folded Spill
	buffer_load_dword v5, off, s[0:3], s32 offset:244 ; 4-byte Folded Reload
	;; [unrolled: 5-line block ×3, first 2 shown]
	s_waitcnt vmcnt(0)
	v_cndmask_b32_e64 v5, 0, v5, s4
	buffer_store_dword v5, off, s[0:3], s32 offset:208 ; 4-byte Folded Spill
.LBB235_969:                            ;   in Loop: Header=BB235_934 Depth=1
	s_or_b32 exec_lo, exec_lo, s13
	flat_load_dword v11, v[15:16] offset:128
	v_mov_b32_e32 v19, 0
	v_mov_b32_e32 v17, 0
	;; [unrolled: 1-line block ×4, first 2 shown]
	s_waitcnt vmcnt(0) lgkmcnt(0)
	v_cmp_ne_u16_sdwa s4, v11, v6 src0_sel:BYTE_0 src1_sel:DWORD
	s_and_saveexec_b32 s13, s4
	s_cbranch_execz .LBB235_977
; %bb.970:                              ;   in Loop: Header=BB235_934 Depth=1
	v_bfrev_b32_e32 v17, 1
	v_mov_b32_e32 v18, 0
	v_cmp_ne_u16_sdwa s4, v11, v82 src0_sel:BYTE_0 src1_sel:DWORD
	s_and_saveexec_b32 s15, s4
	s_cbranch_execz .LBB235_976
; %bb.971:                              ;   in Loop: Header=BB235_934 Depth=1
	v_mov_b32_e32 v17, 0x7f800001
	v_and_b32_e32 v9, 0x7f, v11
	v_mov_b32_e32 v18, 0
	s_mov_b32 s16, exec_lo
	v_cmpx_ne_u32_e32 0x7f, v9
	s_cbranch_execz .LBB235_975
; %bb.972:                              ;   in Loop: Header=BB235_934 Depth=1
	v_and_b32_e32 v5, 7, v11
	v_lshrrev_b32_e32 v7, 3, v9
	s_mov_b32 s17, exec_lo
	v_cmpx_gt_u32_e32 8, v9
; %bb.973:                              ;   in Loop: Header=BB235_934 Depth=1
	v_ffbh_u32_e32 v7, v5
	v_min_u32_e32 v7, 32, v7
	v_subrev_nc_u32_e32 v9, 28, v7
	v_sub_nc_u32_e32 v7, 29, v7
	v_lshlrev_b64 v[17:18], v9, v[5:6]
	v_and_b32_e32 v5, 7, v17
; %bb.974:                              ;   in Loop: Header=BB235_934 Depth=1
	s_or_b32 exec_lo, exec_lo, s17
	v_lshlrev_b32_e32 v9, 24, v11
	v_lshlrev_b32_e32 v5, 20, v5
	v_lshl_add_u32 v7, v7, 23, 0x3c000000
	v_and_b32_e32 v9, 0x80000000, v9
	v_or3_b32 v5, v5, v9, v7
	v_mov_b32_e32 v18, v6
	v_mov_b32_e32 v17, v5
.LBB235_975:                            ;   in Loop: Header=BB235_934 Depth=1
	s_or_b32 exec_lo, exec_lo, s16
.LBB235_976:                            ;   in Loop: Header=BB235_934 Depth=1
	s_or_b32 exec_lo, exec_lo, s15
.LBB235_977:                            ;   in Loop: Header=BB235_934 Depth=1
	s_or_b32 exec_lo, exec_lo, s13
	v_cmp_ne_u16_sdwa s4, v11, v6 src0_sel:BYTE_1 src1_sel:DWORD
	s_and_saveexec_b32 s13, s4
	s_cbranch_execz .LBB235_985
; %bb.978:                              ;   in Loop: Header=BB235_934 Depth=1
	v_mov_b32_e32 v7, v6
	v_mov_b32_e32 v20, v8
	v_cmp_ne_u16_sdwa s4, v11, v82 src0_sel:BYTE_1 src1_sel:DWORD
	v_mov_b32_e32 v19, v7
	s_and_saveexec_b32 s15, s4
	s_cbranch_execz .LBB235_984
; %bb.979:                              ;   in Loop: Header=BB235_934 Depth=1
	v_mov_b32_e32 v5, 0xffff
	v_mov_b32_e32 v9, v6
	;; [unrolled: 1-line block ×3, first 2 shown]
	s_mov_b32 s16, exec_lo
	v_and_b32_sdwa v5, v5, v11 dst_sel:DWORD dst_unused:UNUSED_PAD src0_sel:DWORD src1_sel:BYTE_1
	v_mov_b32_e32 v19, v9
	v_and_b32_e32 v12, 0x7f, v5
	v_cmpx_ne_u32_e32 0x7f, v12
	s_cbranch_execz .LBB235_983
; %bb.980:                              ;   in Loop: Header=BB235_934 Depth=1
	v_and_b32_e32 v5, 7, v5
	v_lshrrev_b32_e32 v7, 3, v12
	s_mov_b32 s17, exec_lo
	v_cmpx_gt_u32_e32 8, v12
; %bb.981:                              ;   in Loop: Header=BB235_934 Depth=1
	v_ffbh_u32_e32 v7, v5
	v_min_u32_e32 v7, 32, v7
	v_subrev_nc_u32_e32 v9, 28, v7
	v_sub_nc_u32_e32 v7, 29, v7
	v_lshlrev_b64 v[19:20], v9, v[5:6]
	v_and_b32_e32 v5, 7, v19
; %bb.982:                              ;   in Loop: Header=BB235_934 Depth=1
	s_or_b32 exec_lo, exec_lo, s17
	v_lshlrev_b32_e32 v9, 16, v11
	v_lshlrev_b32_e32 v5, 20, v5
	v_lshl_add_u32 v7, v7, 23, 0x3c000000
	v_mov_b32_e32 v19, v6
	v_and_b32_e32 v9, 0x80000000, v9
	v_or3_b32 v20, v5, v9, v7
.LBB235_983:                            ;   in Loop: Header=BB235_934 Depth=1
	s_or_b32 exec_lo, exec_lo, s16
.LBB235_984:                            ;   in Loop: Header=BB235_934 Depth=1
	s_or_b32 exec_lo, exec_lo, s15
.LBB235_985:                            ;   in Loop: Header=BB235_934 Depth=1
	s_or_b32 exec_lo, exec_lo, s13
	v_mov_b32_e32 v23, 0
	v_mov_b32_e32 v21, 0
	v_and_b32_sdwa v5, v11, v84 dst_sel:DWORD dst_unused:UNUSED_PAD src0_sel:WORD_1 src1_sel:DWORD
	v_mov_b32_e32 v24, 0
	v_mov_b32_e32 v22, 0
	s_mov_b32 s13, exec_lo
	v_cmpx_ne_u16_e32 0, v5
	s_cbranch_execz .LBB235_993
; %bb.986:                              ;   in Loop: Header=BB235_934 Depth=1
	v_bfrev_b32_e32 v21, 1
	v_mov_b32_e32 v22, 0
	s_mov_b32 s15, exec_lo
	v_cmpx_ne_u16_e32 0x80, v5
	s_cbranch_execz .LBB235_992
; %bb.987:                              ;   in Loop: Header=BB235_934 Depth=1
	v_mov_b32_e32 v21, 0x7f800001
	v_bfe_u32 v9, v11, 16, 7
	v_mov_b32_e32 v22, 0
	s_mov_b32 s16, exec_lo
	v_cmpx_ne_u32_e32 0x7f, v9
	s_cbranch_execz .LBB235_991
; %bb.988:                              ;   in Loop: Header=BB235_934 Depth=1
	v_mov_b32_e32 v5, 7
	v_lshrrev_b32_e32 v7, 3, v9
	s_mov_b32 s17, exec_lo
	v_and_b32_sdwa v5, v11, v5 dst_sel:DWORD dst_unused:UNUSED_PAD src0_sel:WORD_1 src1_sel:DWORD
	v_cmpx_gt_u32_e32 8, v9
; %bb.989:                              ;   in Loop: Header=BB235_934 Depth=1
	v_ffbh_u32_e32 v7, v5
	v_min_u32_e32 v7, 32, v7
	v_subrev_nc_u32_e32 v9, 28, v7
	v_sub_nc_u32_e32 v7, 29, v7
	v_lshlrev_b64 v[21:22], v9, v[5:6]
	v_and_b32_e32 v5, 7, v21
; %bb.990:                              ;   in Loop: Header=BB235_934 Depth=1
	s_or_b32 exec_lo, exec_lo, s17
	v_mov_b32_e32 v9, 24
	v_lshlrev_b32_e32 v5, 20, v5
	v_lshl_add_u32 v7, v7, 23, 0x3c000000
	v_lshlrev_b32_sdwa v9, v9, v11 dst_sel:DWORD dst_unused:UNUSED_PAD src0_sel:DWORD src1_sel:WORD_1
	v_and_b32_e32 v9, 0x80000000, v9
	v_or3_b32 v5, v5, v9, v7
	v_mov_b32_e32 v22, v6
	v_mov_b32_e32 v21, v5
.LBB235_991:                            ;   in Loop: Header=BB235_934 Depth=1
	s_or_b32 exec_lo, exec_lo, s16
.LBB235_992:                            ;   in Loop: Header=BB235_934 Depth=1
	s_or_b32 exec_lo, exec_lo, s15
.LBB235_993:                            ;   in Loop: Header=BB235_934 Depth=1
	s_or_b32 exec_lo, exec_lo, s13
	s_mov_b32 s13, exec_lo
	v_cmpx_lt_u32_e32 0xffffff, v11
	s_cbranch_execz .LBB235_1001
; %bb.994:                              ;   in Loop: Header=BB235_934 Depth=1
	v_mov_b32_e32 v7, v6
	v_mov_b32_e32 v24, v8
	v_cmp_ne_u32_sdwa s4, v11, v82 src0_sel:BYTE_3 src1_sel:DWORD
	v_mov_b32_e32 v23, v7
	s_and_saveexec_b32 s15, s4
	s_cbranch_execz .LBB235_1000
; %bb.995:                              ;   in Loop: Header=BB235_934 Depth=1
	v_mov_b32_e32 v9, v6
	v_mov_b32_e32 v24, v10
	v_bfe_u32 v12, v11, 24, 7
	s_mov_b32 s16, exec_lo
	v_mov_b32_e32 v23, v9
	v_cmpx_ne_u32_e32 0x7f, v12
	s_cbranch_execz .LBB235_999
; %bb.996:                              ;   in Loop: Header=BB235_934 Depth=1
	v_mov_b32_e32 v5, 7
	v_lshrrev_b32_e32 v7, 3, v12
	s_mov_b32 s17, exec_lo
	v_and_b32_sdwa v5, v11, v5 dst_sel:DWORD dst_unused:UNUSED_PAD src0_sel:BYTE_3 src1_sel:DWORD
	v_cmpx_gt_u32_e32 8, v12
; %bb.997:                              ;   in Loop: Header=BB235_934 Depth=1
	v_ffbh_u32_e32 v7, v5
	v_min_u32_e32 v7, 32, v7
	v_subrev_nc_u32_e32 v9, 28, v7
	v_sub_nc_u32_e32 v7, 29, v7
	v_lshlrev_b64 v[23:24], v9, v[5:6]
	v_and_b32_e32 v5, 7, v23
; %bb.998:                              ;   in Loop: Header=BB235_934 Depth=1
	s_or_b32 exec_lo, exec_lo, s17
	v_mov_b32_e32 v9, 24
	v_lshlrev_b32_e32 v5, 20, v5
	v_lshl_add_u32 v7, v7, 23, 0x3c000000
	v_mov_b32_e32 v23, v6
	v_lshlrev_b32_sdwa v9, v9, v11 dst_sel:DWORD dst_unused:UNUSED_PAD src0_sel:DWORD src1_sel:BYTE_3
	v_and_b32_e32 v9, 0x80000000, v9
	v_or3_b32 v24, v5, v9, v7
.LBB235_999:                            ;   in Loop: Header=BB235_934 Depth=1
	s_or_b32 exec_lo, exec_lo, s16
.LBB235_1000:                           ;   in Loop: Header=BB235_934 Depth=1
	s_or_b32 exec_lo, exec_lo, s15
.LBB235_1001:                           ;   in Loop: Header=BB235_934 Depth=1
	s_or_b32 exec_lo, exec_lo, s13
	v_or_b32_e32 v5, v20, v18
	v_or_b32_e32 v7, v19, v17
	;; [unrolled: 1-line block ×4, first 2 shown]
	v_mul_f32_e32 v5, v98, v5
	buffer_store_dword v5, off, s[0:3], s32 offset:292 ; 4-byte Folded Spill
	v_mul_f32_e32 v5, v98, v7
	buffer_store_dword v5, off, s[0:3], s32 offset:284 ; 4-byte Folded Spill
	;; [unrolled: 2-line block ×4, first 2 shown]
	s_and_saveexec_b32 s13, vcc_lo
	s_cbranch_execz .LBB235_1003
; %bb.1002:                             ;   in Loop: Header=BB235_934 Depth=1
	buffer_load_dword v5, off, s[0:3], s32 offset:284 ; 4-byte Folded Reload
	v_cmp_lt_i32_e64 s4, v103, v122
	s_waitcnt vmcnt(0)
	v_cndmask_b32_e64 v5, 0, v5, s4
	v_cmp_lt_i32_e64 s4, v114, v122
	buffer_store_dword v5, off, s[0:3], s32 offset:284 ; 4-byte Folded Spill
	buffer_load_dword v5, off, s[0:3], s32 offset:292 ; 4-byte Folded Reload
	s_waitcnt vmcnt(0)
	v_cndmask_b32_e64 v5, 0, v5, s4
	v_cmp_lt_i32_e64 s4, v113, v122
	buffer_store_dword v5, off, s[0:3], s32 offset:292 ; 4-byte Folded Spill
	buffer_load_dword v5, off, s[0:3], s32 offset:276 ; 4-byte Folded Reload
	;; [unrolled: 5-line block ×3, first 2 shown]
	s_waitcnt vmcnt(0)
	v_cndmask_b32_e64 v5, 0, v5, s4
	buffer_store_dword v5, off, s[0:3], s32 offset:268 ; 4-byte Folded Spill
.LBB235_1003:                           ;   in Loop: Header=BB235_934 Depth=1
	s_or_b32 exec_lo, exec_lo, s13
	flat_load_dword v11, v[15:16] offset:256
	v_mov_b32_e32 v19, 0
	v_mov_b32_e32 v17, 0
	;; [unrolled: 1-line block ×4, first 2 shown]
	s_waitcnt vmcnt(0) lgkmcnt(0)
	v_cmp_ne_u16_sdwa s4, v11, v6 src0_sel:BYTE_0 src1_sel:DWORD
	s_and_saveexec_b32 s13, s4
	s_cbranch_execz .LBB235_1011
; %bb.1004:                             ;   in Loop: Header=BB235_934 Depth=1
	v_bfrev_b32_e32 v17, 1
	v_mov_b32_e32 v18, 0
	v_cmp_ne_u16_sdwa s4, v11, v82 src0_sel:BYTE_0 src1_sel:DWORD
	s_and_saveexec_b32 s15, s4
	s_cbranch_execz .LBB235_1010
; %bb.1005:                             ;   in Loop: Header=BB235_934 Depth=1
	v_mov_b32_e32 v17, 0x7f800001
	v_and_b32_e32 v9, 0x7f, v11
	v_mov_b32_e32 v18, 0
	s_mov_b32 s16, exec_lo
	v_cmpx_ne_u32_e32 0x7f, v9
	s_cbranch_execz .LBB235_1009
; %bb.1006:                             ;   in Loop: Header=BB235_934 Depth=1
	v_and_b32_e32 v5, 7, v11
	v_lshrrev_b32_e32 v7, 3, v9
	s_mov_b32 s17, exec_lo
	v_cmpx_gt_u32_e32 8, v9
; %bb.1007:                             ;   in Loop: Header=BB235_934 Depth=1
	v_ffbh_u32_e32 v7, v5
	v_min_u32_e32 v7, 32, v7
	v_subrev_nc_u32_e32 v9, 28, v7
	v_sub_nc_u32_e32 v7, 29, v7
	v_lshlrev_b64 v[17:18], v9, v[5:6]
	v_and_b32_e32 v5, 7, v17
; %bb.1008:                             ;   in Loop: Header=BB235_934 Depth=1
	s_or_b32 exec_lo, exec_lo, s17
	v_lshlrev_b32_e32 v9, 24, v11
	v_lshlrev_b32_e32 v5, 20, v5
	v_lshl_add_u32 v7, v7, 23, 0x3c000000
	v_and_b32_e32 v9, 0x80000000, v9
	v_or3_b32 v5, v5, v9, v7
	v_mov_b32_e32 v18, v6
	v_mov_b32_e32 v17, v5
.LBB235_1009:                           ;   in Loop: Header=BB235_934 Depth=1
	s_or_b32 exec_lo, exec_lo, s16
.LBB235_1010:                           ;   in Loop: Header=BB235_934 Depth=1
	s_or_b32 exec_lo, exec_lo, s15
.LBB235_1011:                           ;   in Loop: Header=BB235_934 Depth=1
	s_or_b32 exec_lo, exec_lo, s13
	v_cmp_ne_u16_sdwa s4, v11, v6 src0_sel:BYTE_1 src1_sel:DWORD
	s_and_saveexec_b32 s13, s4
	s_cbranch_execz .LBB235_1019
; %bb.1012:                             ;   in Loop: Header=BB235_934 Depth=1
	v_mov_b32_e32 v7, v6
	v_mov_b32_e32 v20, v8
	v_cmp_ne_u16_sdwa s4, v11, v82 src0_sel:BYTE_1 src1_sel:DWORD
	v_mov_b32_e32 v19, v7
	s_and_saveexec_b32 s15, s4
	s_cbranch_execz .LBB235_1018
; %bb.1013:                             ;   in Loop: Header=BB235_934 Depth=1
	v_mov_b32_e32 v5, 0xffff
	v_mov_b32_e32 v9, v6
	;; [unrolled: 1-line block ×3, first 2 shown]
	s_mov_b32 s16, exec_lo
	v_and_b32_sdwa v5, v5, v11 dst_sel:DWORD dst_unused:UNUSED_PAD src0_sel:DWORD src1_sel:BYTE_1
	v_mov_b32_e32 v19, v9
	v_and_b32_e32 v12, 0x7f, v5
	v_cmpx_ne_u32_e32 0x7f, v12
	s_cbranch_execz .LBB235_1017
; %bb.1014:                             ;   in Loop: Header=BB235_934 Depth=1
	v_and_b32_e32 v5, 7, v5
	v_lshrrev_b32_e32 v7, 3, v12
	s_mov_b32 s17, exec_lo
	v_cmpx_gt_u32_e32 8, v12
; %bb.1015:                             ;   in Loop: Header=BB235_934 Depth=1
	v_ffbh_u32_e32 v7, v5
	v_min_u32_e32 v7, 32, v7
	v_subrev_nc_u32_e32 v9, 28, v7
	v_sub_nc_u32_e32 v7, 29, v7
	v_lshlrev_b64 v[19:20], v9, v[5:6]
	v_and_b32_e32 v5, 7, v19
; %bb.1016:                             ;   in Loop: Header=BB235_934 Depth=1
	s_or_b32 exec_lo, exec_lo, s17
	v_lshlrev_b32_e32 v9, 16, v11
	v_lshlrev_b32_e32 v5, 20, v5
	v_lshl_add_u32 v7, v7, 23, 0x3c000000
	v_mov_b32_e32 v19, v6
	v_and_b32_e32 v9, 0x80000000, v9
	v_or3_b32 v20, v5, v9, v7
.LBB235_1017:                           ;   in Loop: Header=BB235_934 Depth=1
	s_or_b32 exec_lo, exec_lo, s16
.LBB235_1018:                           ;   in Loop: Header=BB235_934 Depth=1
	s_or_b32 exec_lo, exec_lo, s15
.LBB235_1019:                           ;   in Loop: Header=BB235_934 Depth=1
	s_or_b32 exec_lo, exec_lo, s13
	v_mov_b32_e32 v23, 0
	v_mov_b32_e32 v21, 0
	v_and_b32_sdwa v5, v11, v84 dst_sel:DWORD dst_unused:UNUSED_PAD src0_sel:WORD_1 src1_sel:DWORD
	v_mov_b32_e32 v24, 0
	v_mov_b32_e32 v22, 0
	s_mov_b32 s13, exec_lo
	v_cmpx_ne_u16_e32 0, v5
	s_cbranch_execz .LBB235_1027
; %bb.1020:                             ;   in Loop: Header=BB235_934 Depth=1
	v_bfrev_b32_e32 v21, 1
	v_mov_b32_e32 v22, 0
	s_mov_b32 s15, exec_lo
	v_cmpx_ne_u16_e32 0x80, v5
	s_cbranch_execz .LBB235_1026
; %bb.1021:                             ;   in Loop: Header=BB235_934 Depth=1
	v_mov_b32_e32 v21, 0x7f800001
	v_bfe_u32 v9, v11, 16, 7
	v_mov_b32_e32 v22, 0
	s_mov_b32 s16, exec_lo
	v_cmpx_ne_u32_e32 0x7f, v9
	s_cbranch_execz .LBB235_1025
; %bb.1022:                             ;   in Loop: Header=BB235_934 Depth=1
	v_mov_b32_e32 v5, 7
	v_lshrrev_b32_e32 v7, 3, v9
	s_mov_b32 s17, exec_lo
	v_and_b32_sdwa v5, v11, v5 dst_sel:DWORD dst_unused:UNUSED_PAD src0_sel:WORD_1 src1_sel:DWORD
	v_cmpx_gt_u32_e32 8, v9
; %bb.1023:                             ;   in Loop: Header=BB235_934 Depth=1
	v_ffbh_u32_e32 v7, v5
	v_min_u32_e32 v7, 32, v7
	v_subrev_nc_u32_e32 v9, 28, v7
	v_sub_nc_u32_e32 v7, 29, v7
	v_lshlrev_b64 v[21:22], v9, v[5:6]
	v_and_b32_e32 v5, 7, v21
; %bb.1024:                             ;   in Loop: Header=BB235_934 Depth=1
	s_or_b32 exec_lo, exec_lo, s17
	v_mov_b32_e32 v9, 24
	v_lshlrev_b32_e32 v5, 20, v5
	v_lshl_add_u32 v7, v7, 23, 0x3c000000
	v_lshlrev_b32_sdwa v9, v9, v11 dst_sel:DWORD dst_unused:UNUSED_PAD src0_sel:DWORD src1_sel:WORD_1
	v_and_b32_e32 v9, 0x80000000, v9
	v_or3_b32 v5, v5, v9, v7
	v_mov_b32_e32 v22, v6
	v_mov_b32_e32 v21, v5
.LBB235_1025:                           ;   in Loop: Header=BB235_934 Depth=1
	s_or_b32 exec_lo, exec_lo, s16
.LBB235_1026:                           ;   in Loop: Header=BB235_934 Depth=1
	s_or_b32 exec_lo, exec_lo, s15
.LBB235_1027:                           ;   in Loop: Header=BB235_934 Depth=1
	s_or_b32 exec_lo, exec_lo, s13
	s_mov_b32 s13, exec_lo
	v_cmpx_lt_u32_e32 0xffffff, v11
	s_cbranch_execz .LBB235_1035
; %bb.1028:                             ;   in Loop: Header=BB235_934 Depth=1
	v_mov_b32_e32 v7, v6
	v_mov_b32_e32 v24, v8
	v_cmp_ne_u32_sdwa s4, v11, v82 src0_sel:BYTE_3 src1_sel:DWORD
	v_mov_b32_e32 v23, v7
	s_and_saveexec_b32 s15, s4
	s_cbranch_execz .LBB235_1034
; %bb.1029:                             ;   in Loop: Header=BB235_934 Depth=1
	v_mov_b32_e32 v9, v6
	v_mov_b32_e32 v24, v10
	v_bfe_u32 v12, v11, 24, 7
	s_mov_b32 s16, exec_lo
	v_mov_b32_e32 v23, v9
	v_cmpx_ne_u32_e32 0x7f, v12
	s_cbranch_execz .LBB235_1033
; %bb.1030:                             ;   in Loop: Header=BB235_934 Depth=1
	v_mov_b32_e32 v5, 7
	v_lshrrev_b32_e32 v7, 3, v12
	s_mov_b32 s17, exec_lo
	v_and_b32_sdwa v5, v11, v5 dst_sel:DWORD dst_unused:UNUSED_PAD src0_sel:BYTE_3 src1_sel:DWORD
	v_cmpx_gt_u32_e32 8, v12
; %bb.1031:                             ;   in Loop: Header=BB235_934 Depth=1
	v_ffbh_u32_e32 v7, v5
	v_min_u32_e32 v7, 32, v7
	v_subrev_nc_u32_e32 v9, 28, v7
	v_sub_nc_u32_e32 v7, 29, v7
	v_lshlrev_b64 v[23:24], v9, v[5:6]
	v_and_b32_e32 v5, 7, v23
; %bb.1032:                             ;   in Loop: Header=BB235_934 Depth=1
	s_or_b32 exec_lo, exec_lo, s17
	v_mov_b32_e32 v9, 24
	v_lshlrev_b32_e32 v5, 20, v5
	v_lshl_add_u32 v7, v7, 23, 0x3c000000
	v_mov_b32_e32 v23, v6
	v_lshlrev_b32_sdwa v9, v9, v11 dst_sel:DWORD dst_unused:UNUSED_PAD src0_sel:DWORD src1_sel:BYTE_3
	v_and_b32_e32 v9, 0x80000000, v9
	v_or3_b32 v24, v5, v9, v7
.LBB235_1033:                           ;   in Loop: Header=BB235_934 Depth=1
	s_or_b32 exec_lo, exec_lo, s16
.LBB235_1034:                           ;   in Loop: Header=BB235_934 Depth=1
	s_or_b32 exec_lo, exec_lo, s15
.LBB235_1035:                           ;   in Loop: Header=BB235_934 Depth=1
	s_or_b32 exec_lo, exec_lo, s13
	v_or_b32_e32 v5, v20, v18
	v_or_b32_e32 v7, v19, v17
	;; [unrolled: 1-line block ×4, first 2 shown]
	v_mul_f32_e32 v5, v98, v5
	buffer_store_dword v5, off, s[0:3], s32 offset:324 ; 4-byte Folded Spill
	v_mul_f32_e32 v5, v98, v7
	buffer_store_dword v5, off, s[0:3], s32 offset:316 ; 4-byte Folded Spill
	;; [unrolled: 2-line block ×4, first 2 shown]
	s_and_saveexec_b32 s13, vcc_lo
	s_cbranch_execz .LBB235_1037
; %bb.1036:                             ;   in Loop: Header=BB235_934 Depth=1
	buffer_load_dword v5, off, s[0:3], s32 offset:316 ; 4-byte Folded Reload
	v_cmp_lt_i32_e64 s4, v103, v122
	s_waitcnt vmcnt(0)
	v_cndmask_b32_e64 v5, 0, v5, s4
	v_cmp_lt_i32_e64 s4, v114, v122
	buffer_store_dword v5, off, s[0:3], s32 offset:316 ; 4-byte Folded Spill
	buffer_load_dword v5, off, s[0:3], s32 offset:324 ; 4-byte Folded Reload
	s_waitcnt vmcnt(0)
	v_cndmask_b32_e64 v5, 0, v5, s4
	v_cmp_lt_i32_e64 s4, v113, v122
	buffer_store_dword v5, off, s[0:3], s32 offset:324 ; 4-byte Folded Spill
	buffer_load_dword v5, off, s[0:3], s32 offset:308 ; 4-byte Folded Reload
	s_waitcnt vmcnt(0)
	v_cndmask_b32_e64 v5, 0, v5, s4
	v_cmp_lt_i32_e64 s4, v112, v122
	buffer_store_dword v5, off, s[0:3], s32 offset:308 ; 4-byte Folded Spill
	buffer_load_dword v5, off, s[0:3], s32 offset:300 ; 4-byte Folded Reload
	s_waitcnt vmcnt(0)
	v_cndmask_b32_e64 v5, 0, v5, s4
	buffer_store_dword v5, off, s[0:3], s32 offset:300 ; 4-byte Folded Spill
.LBB235_1037:                           ;   in Loop: Header=BB235_934 Depth=1
	s_or_b32 exec_lo, exec_lo, s13
	flat_load_dword v11, v[15:16] offset:384
	v_mov_b32_e32 v19, 0
	v_mov_b32_e32 v17, 0
	;; [unrolled: 1-line block ×4, first 2 shown]
	s_waitcnt vmcnt(0) lgkmcnt(0)
	v_cmp_ne_u16_sdwa s4, v11, v6 src0_sel:BYTE_0 src1_sel:DWORD
	s_and_saveexec_b32 s13, s4
	s_cbranch_execz .LBB235_1045
; %bb.1038:                             ;   in Loop: Header=BB235_934 Depth=1
	v_bfrev_b32_e32 v17, 1
	v_mov_b32_e32 v18, 0
	v_cmp_ne_u16_sdwa s4, v11, v82 src0_sel:BYTE_0 src1_sel:DWORD
	s_and_saveexec_b32 s15, s4
	s_cbranch_execz .LBB235_1044
; %bb.1039:                             ;   in Loop: Header=BB235_934 Depth=1
	v_mov_b32_e32 v17, 0x7f800001
	v_and_b32_e32 v9, 0x7f, v11
	v_mov_b32_e32 v18, 0
	s_mov_b32 s16, exec_lo
	v_cmpx_ne_u32_e32 0x7f, v9
	s_cbranch_execz .LBB235_1043
; %bb.1040:                             ;   in Loop: Header=BB235_934 Depth=1
	v_and_b32_e32 v5, 7, v11
	v_lshrrev_b32_e32 v7, 3, v9
	s_mov_b32 s17, exec_lo
	v_cmpx_gt_u32_e32 8, v9
; %bb.1041:                             ;   in Loop: Header=BB235_934 Depth=1
	v_ffbh_u32_e32 v7, v5
	v_min_u32_e32 v7, 32, v7
	v_subrev_nc_u32_e32 v9, 28, v7
	v_sub_nc_u32_e32 v7, 29, v7
	v_lshlrev_b64 v[17:18], v9, v[5:6]
	v_and_b32_e32 v5, 7, v17
; %bb.1042:                             ;   in Loop: Header=BB235_934 Depth=1
	s_or_b32 exec_lo, exec_lo, s17
	v_lshlrev_b32_e32 v9, 24, v11
	v_lshlrev_b32_e32 v5, 20, v5
	v_lshl_add_u32 v7, v7, 23, 0x3c000000
	v_and_b32_e32 v9, 0x80000000, v9
	v_or3_b32 v5, v5, v9, v7
	v_mov_b32_e32 v18, v6
	v_mov_b32_e32 v17, v5
.LBB235_1043:                           ;   in Loop: Header=BB235_934 Depth=1
	s_or_b32 exec_lo, exec_lo, s16
.LBB235_1044:                           ;   in Loop: Header=BB235_934 Depth=1
	s_or_b32 exec_lo, exec_lo, s15
.LBB235_1045:                           ;   in Loop: Header=BB235_934 Depth=1
	s_or_b32 exec_lo, exec_lo, s13
	v_cmp_ne_u16_sdwa s4, v11, v6 src0_sel:BYTE_1 src1_sel:DWORD
	s_and_saveexec_b32 s13, s4
	s_cbranch_execz .LBB235_1053
; %bb.1046:                             ;   in Loop: Header=BB235_934 Depth=1
	v_mov_b32_e32 v7, v6
	v_mov_b32_e32 v20, v8
	v_cmp_ne_u16_sdwa s4, v11, v82 src0_sel:BYTE_1 src1_sel:DWORD
	v_mov_b32_e32 v19, v7
	s_and_saveexec_b32 s15, s4
	s_cbranch_execz .LBB235_1052
; %bb.1047:                             ;   in Loop: Header=BB235_934 Depth=1
	v_mov_b32_e32 v5, 0xffff
	v_mov_b32_e32 v9, v6
	;; [unrolled: 1-line block ×3, first 2 shown]
	s_mov_b32 s16, exec_lo
	v_and_b32_sdwa v5, v5, v11 dst_sel:DWORD dst_unused:UNUSED_PAD src0_sel:DWORD src1_sel:BYTE_1
	v_mov_b32_e32 v19, v9
	v_and_b32_e32 v12, 0x7f, v5
	v_cmpx_ne_u32_e32 0x7f, v12
	s_cbranch_execz .LBB235_1051
; %bb.1048:                             ;   in Loop: Header=BB235_934 Depth=1
	v_and_b32_e32 v5, 7, v5
	v_lshrrev_b32_e32 v7, 3, v12
	s_mov_b32 s17, exec_lo
	v_cmpx_gt_u32_e32 8, v12
; %bb.1049:                             ;   in Loop: Header=BB235_934 Depth=1
	v_ffbh_u32_e32 v7, v5
	v_min_u32_e32 v7, 32, v7
	v_subrev_nc_u32_e32 v9, 28, v7
	v_sub_nc_u32_e32 v7, 29, v7
	v_lshlrev_b64 v[19:20], v9, v[5:6]
	v_and_b32_e32 v5, 7, v19
; %bb.1050:                             ;   in Loop: Header=BB235_934 Depth=1
	s_or_b32 exec_lo, exec_lo, s17
	v_lshlrev_b32_e32 v9, 16, v11
	v_lshlrev_b32_e32 v5, 20, v5
	v_lshl_add_u32 v7, v7, 23, 0x3c000000
	v_mov_b32_e32 v19, v6
	v_and_b32_e32 v9, 0x80000000, v9
	v_or3_b32 v20, v5, v9, v7
.LBB235_1051:                           ;   in Loop: Header=BB235_934 Depth=1
	s_or_b32 exec_lo, exec_lo, s16
.LBB235_1052:                           ;   in Loop: Header=BB235_934 Depth=1
	s_or_b32 exec_lo, exec_lo, s15
.LBB235_1053:                           ;   in Loop: Header=BB235_934 Depth=1
	s_or_b32 exec_lo, exec_lo, s13
	v_mov_b32_e32 v23, 0
	v_mov_b32_e32 v21, 0
	v_and_b32_sdwa v5, v11, v84 dst_sel:DWORD dst_unused:UNUSED_PAD src0_sel:WORD_1 src1_sel:DWORD
	v_mov_b32_e32 v24, 0
	v_mov_b32_e32 v22, 0
	s_mov_b32 s13, exec_lo
	v_cmpx_ne_u16_e32 0, v5
	s_cbranch_execz .LBB235_1061
; %bb.1054:                             ;   in Loop: Header=BB235_934 Depth=1
	v_bfrev_b32_e32 v21, 1
	v_mov_b32_e32 v22, 0
	s_mov_b32 s15, exec_lo
	v_cmpx_ne_u16_e32 0x80, v5
	s_cbranch_execz .LBB235_1060
; %bb.1055:                             ;   in Loop: Header=BB235_934 Depth=1
	v_mov_b32_e32 v21, 0x7f800001
	v_bfe_u32 v9, v11, 16, 7
	v_mov_b32_e32 v22, 0
	s_mov_b32 s16, exec_lo
	v_cmpx_ne_u32_e32 0x7f, v9
	s_cbranch_execz .LBB235_1059
; %bb.1056:                             ;   in Loop: Header=BB235_934 Depth=1
	v_mov_b32_e32 v5, 7
	v_lshrrev_b32_e32 v7, 3, v9
	s_mov_b32 s17, exec_lo
	v_and_b32_sdwa v5, v11, v5 dst_sel:DWORD dst_unused:UNUSED_PAD src0_sel:WORD_1 src1_sel:DWORD
	v_cmpx_gt_u32_e32 8, v9
; %bb.1057:                             ;   in Loop: Header=BB235_934 Depth=1
	v_ffbh_u32_e32 v7, v5
	v_min_u32_e32 v7, 32, v7
	v_subrev_nc_u32_e32 v9, 28, v7
	v_sub_nc_u32_e32 v7, 29, v7
	v_lshlrev_b64 v[21:22], v9, v[5:6]
	v_and_b32_e32 v5, 7, v21
; %bb.1058:                             ;   in Loop: Header=BB235_934 Depth=1
	s_or_b32 exec_lo, exec_lo, s17
	v_mov_b32_e32 v9, 24
	v_lshlrev_b32_e32 v5, 20, v5
	v_lshl_add_u32 v7, v7, 23, 0x3c000000
	v_lshlrev_b32_sdwa v9, v9, v11 dst_sel:DWORD dst_unused:UNUSED_PAD src0_sel:DWORD src1_sel:WORD_1
	v_and_b32_e32 v9, 0x80000000, v9
	v_or3_b32 v5, v5, v9, v7
	v_mov_b32_e32 v22, v6
	v_mov_b32_e32 v21, v5
.LBB235_1059:                           ;   in Loop: Header=BB235_934 Depth=1
	s_or_b32 exec_lo, exec_lo, s16
.LBB235_1060:                           ;   in Loop: Header=BB235_934 Depth=1
	s_or_b32 exec_lo, exec_lo, s15
.LBB235_1061:                           ;   in Loop: Header=BB235_934 Depth=1
	s_or_b32 exec_lo, exec_lo, s13
	s_mov_b32 s13, exec_lo
	v_cmpx_lt_u32_e32 0xffffff, v11
	s_cbranch_execz .LBB235_1069
; %bb.1062:                             ;   in Loop: Header=BB235_934 Depth=1
	v_mov_b32_e32 v7, v6
	v_mov_b32_e32 v24, v8
	v_cmp_ne_u32_sdwa s4, v11, v82 src0_sel:BYTE_3 src1_sel:DWORD
	v_mov_b32_e32 v23, v7
	s_and_saveexec_b32 s15, s4
	s_cbranch_execz .LBB235_1068
; %bb.1063:                             ;   in Loop: Header=BB235_934 Depth=1
	v_mov_b32_e32 v9, v6
	v_mov_b32_e32 v24, v10
	v_bfe_u32 v12, v11, 24, 7
	s_mov_b32 s16, exec_lo
	v_mov_b32_e32 v23, v9
	v_cmpx_ne_u32_e32 0x7f, v12
	s_cbranch_execz .LBB235_1067
; %bb.1064:                             ;   in Loop: Header=BB235_934 Depth=1
	v_mov_b32_e32 v5, 7
	v_lshrrev_b32_e32 v7, 3, v12
	s_mov_b32 s17, exec_lo
	v_and_b32_sdwa v5, v11, v5 dst_sel:DWORD dst_unused:UNUSED_PAD src0_sel:BYTE_3 src1_sel:DWORD
	v_cmpx_gt_u32_e32 8, v12
; %bb.1065:                             ;   in Loop: Header=BB235_934 Depth=1
	v_ffbh_u32_e32 v7, v5
	v_min_u32_e32 v7, 32, v7
	v_subrev_nc_u32_e32 v9, 28, v7
	v_sub_nc_u32_e32 v7, 29, v7
	v_lshlrev_b64 v[23:24], v9, v[5:6]
	v_and_b32_e32 v5, 7, v23
; %bb.1066:                             ;   in Loop: Header=BB235_934 Depth=1
	s_or_b32 exec_lo, exec_lo, s17
	v_mov_b32_e32 v9, 24
	v_lshlrev_b32_e32 v5, 20, v5
	v_lshl_add_u32 v7, v7, 23, 0x3c000000
	v_mov_b32_e32 v23, v6
	v_lshlrev_b32_sdwa v9, v9, v11 dst_sel:DWORD dst_unused:UNUSED_PAD src0_sel:DWORD src1_sel:BYTE_3
	v_and_b32_e32 v9, 0x80000000, v9
	v_or3_b32 v24, v5, v9, v7
.LBB235_1067:                           ;   in Loop: Header=BB235_934 Depth=1
	s_or_b32 exec_lo, exec_lo, s16
.LBB235_1068:                           ;   in Loop: Header=BB235_934 Depth=1
	s_or_b32 exec_lo, exec_lo, s15
.LBB235_1069:                           ;   in Loop: Header=BB235_934 Depth=1
	s_or_b32 exec_lo, exec_lo, s13
	v_or_b32_e32 v5, v20, v18
	v_or_b32_e32 v7, v19, v17
	;; [unrolled: 1-line block ×4, first 2 shown]
	v_mul_f32_e32 v5, v98, v5
	buffer_store_dword v5, off, s[0:3], s32 offset:356 ; 4-byte Folded Spill
	v_mul_f32_e32 v5, v98, v7
	buffer_store_dword v5, off, s[0:3], s32 offset:348 ; 4-byte Folded Spill
	;; [unrolled: 2-line block ×4, first 2 shown]
	s_and_saveexec_b32 s13, vcc_lo
	s_cbranch_execz .LBB235_1071
; %bb.1070:                             ;   in Loop: Header=BB235_934 Depth=1
	buffer_load_dword v5, off, s[0:3], s32 offset:348 ; 4-byte Folded Reload
	v_cmp_lt_i32_e64 s4, v103, v122
	s_waitcnt vmcnt(0)
	v_cndmask_b32_e64 v5, 0, v5, s4
	v_cmp_lt_i32_e64 s4, v114, v122
	buffer_store_dword v5, off, s[0:3], s32 offset:348 ; 4-byte Folded Spill
	buffer_load_dword v5, off, s[0:3], s32 offset:356 ; 4-byte Folded Reload
	s_waitcnt vmcnt(0)
	v_cndmask_b32_e64 v5, 0, v5, s4
	v_cmp_lt_i32_e64 s4, v113, v122
	buffer_store_dword v5, off, s[0:3], s32 offset:356 ; 4-byte Folded Spill
	buffer_load_dword v5, off, s[0:3], s32 offset:340 ; 4-byte Folded Reload
	;; [unrolled: 5-line block ×3, first 2 shown]
	s_waitcnt vmcnt(0)
	v_cndmask_b32_e64 v5, 0, v5, s4
	buffer_store_dword v5, off, s[0:3], s32 offset:332 ; 4-byte Folded Spill
.LBB235_1071:                           ;   in Loop: Header=BB235_934 Depth=1
	s_or_b32 exec_lo, exec_lo, s13
	flat_load_dword v11, v[15:16] offset:512
	v_mov_b32_e32 v19, 0
	v_mov_b32_e32 v17, 0
	;; [unrolled: 1-line block ×4, first 2 shown]
	s_waitcnt vmcnt(0) lgkmcnt(0)
	v_cmp_ne_u16_sdwa s4, v11, v6 src0_sel:BYTE_0 src1_sel:DWORD
	s_and_saveexec_b32 s13, s4
	s_cbranch_execz .LBB235_1079
; %bb.1072:                             ;   in Loop: Header=BB235_934 Depth=1
	v_bfrev_b32_e32 v17, 1
	v_mov_b32_e32 v18, 0
	v_cmp_ne_u16_sdwa s4, v11, v82 src0_sel:BYTE_0 src1_sel:DWORD
	s_and_saveexec_b32 s15, s4
	s_cbranch_execz .LBB235_1078
; %bb.1073:                             ;   in Loop: Header=BB235_934 Depth=1
	v_mov_b32_e32 v17, 0x7f800001
	v_and_b32_e32 v9, 0x7f, v11
	v_mov_b32_e32 v18, 0
	s_mov_b32 s16, exec_lo
	v_cmpx_ne_u32_e32 0x7f, v9
	s_cbranch_execz .LBB235_1077
; %bb.1074:                             ;   in Loop: Header=BB235_934 Depth=1
	v_and_b32_e32 v5, 7, v11
	v_lshrrev_b32_e32 v7, 3, v9
	s_mov_b32 s17, exec_lo
	v_cmpx_gt_u32_e32 8, v9
; %bb.1075:                             ;   in Loop: Header=BB235_934 Depth=1
	v_ffbh_u32_e32 v7, v5
	v_min_u32_e32 v7, 32, v7
	v_subrev_nc_u32_e32 v9, 28, v7
	v_sub_nc_u32_e32 v7, 29, v7
	v_lshlrev_b64 v[17:18], v9, v[5:6]
	v_and_b32_e32 v5, 7, v17
; %bb.1076:                             ;   in Loop: Header=BB235_934 Depth=1
	s_or_b32 exec_lo, exec_lo, s17
	v_lshlrev_b32_e32 v9, 24, v11
	v_lshlrev_b32_e32 v5, 20, v5
	v_lshl_add_u32 v7, v7, 23, 0x3c000000
	v_and_b32_e32 v9, 0x80000000, v9
	v_or3_b32 v5, v5, v9, v7
	v_mov_b32_e32 v18, v6
	v_mov_b32_e32 v17, v5
.LBB235_1077:                           ;   in Loop: Header=BB235_934 Depth=1
	s_or_b32 exec_lo, exec_lo, s16
.LBB235_1078:                           ;   in Loop: Header=BB235_934 Depth=1
	s_or_b32 exec_lo, exec_lo, s15
.LBB235_1079:                           ;   in Loop: Header=BB235_934 Depth=1
	s_or_b32 exec_lo, exec_lo, s13
	v_cmp_ne_u16_sdwa s4, v11, v6 src0_sel:BYTE_1 src1_sel:DWORD
	s_and_saveexec_b32 s13, s4
	s_cbranch_execz .LBB235_1087
; %bb.1080:                             ;   in Loop: Header=BB235_934 Depth=1
	v_mov_b32_e32 v7, v6
	v_mov_b32_e32 v20, v8
	v_cmp_ne_u16_sdwa s4, v11, v82 src0_sel:BYTE_1 src1_sel:DWORD
	v_mov_b32_e32 v19, v7
	s_and_saveexec_b32 s15, s4
	s_cbranch_execz .LBB235_1086
; %bb.1081:                             ;   in Loop: Header=BB235_934 Depth=1
	v_mov_b32_e32 v5, 0xffff
	v_mov_b32_e32 v9, v6
	;; [unrolled: 1-line block ×3, first 2 shown]
	s_mov_b32 s16, exec_lo
	v_and_b32_sdwa v5, v5, v11 dst_sel:DWORD dst_unused:UNUSED_PAD src0_sel:DWORD src1_sel:BYTE_1
	v_mov_b32_e32 v19, v9
	v_and_b32_e32 v12, 0x7f, v5
	v_cmpx_ne_u32_e32 0x7f, v12
	s_cbranch_execz .LBB235_1085
; %bb.1082:                             ;   in Loop: Header=BB235_934 Depth=1
	v_and_b32_e32 v5, 7, v5
	v_lshrrev_b32_e32 v7, 3, v12
	s_mov_b32 s17, exec_lo
	v_cmpx_gt_u32_e32 8, v12
; %bb.1083:                             ;   in Loop: Header=BB235_934 Depth=1
	v_ffbh_u32_e32 v7, v5
	v_min_u32_e32 v7, 32, v7
	v_subrev_nc_u32_e32 v9, 28, v7
	v_sub_nc_u32_e32 v7, 29, v7
	v_lshlrev_b64 v[19:20], v9, v[5:6]
	v_and_b32_e32 v5, 7, v19
; %bb.1084:                             ;   in Loop: Header=BB235_934 Depth=1
	s_or_b32 exec_lo, exec_lo, s17
	v_lshlrev_b32_e32 v9, 16, v11
	v_lshlrev_b32_e32 v5, 20, v5
	v_lshl_add_u32 v7, v7, 23, 0x3c000000
	v_mov_b32_e32 v19, v6
	v_and_b32_e32 v9, 0x80000000, v9
	v_or3_b32 v20, v5, v9, v7
.LBB235_1085:                           ;   in Loop: Header=BB235_934 Depth=1
	s_or_b32 exec_lo, exec_lo, s16
.LBB235_1086:                           ;   in Loop: Header=BB235_934 Depth=1
	s_or_b32 exec_lo, exec_lo, s15
.LBB235_1087:                           ;   in Loop: Header=BB235_934 Depth=1
	s_or_b32 exec_lo, exec_lo, s13
	v_mov_b32_e32 v23, 0
	v_mov_b32_e32 v21, 0
	v_and_b32_sdwa v5, v11, v84 dst_sel:DWORD dst_unused:UNUSED_PAD src0_sel:WORD_1 src1_sel:DWORD
	v_mov_b32_e32 v24, 0
	v_mov_b32_e32 v22, 0
	s_mov_b32 s13, exec_lo
	v_cmpx_ne_u16_e32 0, v5
	s_cbranch_execz .LBB235_1095
; %bb.1088:                             ;   in Loop: Header=BB235_934 Depth=1
	v_bfrev_b32_e32 v21, 1
	v_mov_b32_e32 v22, 0
	s_mov_b32 s15, exec_lo
	v_cmpx_ne_u16_e32 0x80, v5
	s_cbranch_execz .LBB235_1094
; %bb.1089:                             ;   in Loop: Header=BB235_934 Depth=1
	v_mov_b32_e32 v21, 0x7f800001
	v_bfe_u32 v9, v11, 16, 7
	v_mov_b32_e32 v22, 0
	s_mov_b32 s16, exec_lo
	v_cmpx_ne_u32_e32 0x7f, v9
	s_cbranch_execz .LBB235_1093
; %bb.1090:                             ;   in Loop: Header=BB235_934 Depth=1
	v_mov_b32_e32 v5, 7
	v_lshrrev_b32_e32 v7, 3, v9
	s_mov_b32 s17, exec_lo
	v_and_b32_sdwa v5, v11, v5 dst_sel:DWORD dst_unused:UNUSED_PAD src0_sel:WORD_1 src1_sel:DWORD
	v_cmpx_gt_u32_e32 8, v9
; %bb.1091:                             ;   in Loop: Header=BB235_934 Depth=1
	v_ffbh_u32_e32 v7, v5
	v_min_u32_e32 v7, 32, v7
	v_subrev_nc_u32_e32 v9, 28, v7
	v_sub_nc_u32_e32 v7, 29, v7
	v_lshlrev_b64 v[21:22], v9, v[5:6]
	v_and_b32_e32 v5, 7, v21
; %bb.1092:                             ;   in Loop: Header=BB235_934 Depth=1
	s_or_b32 exec_lo, exec_lo, s17
	v_mov_b32_e32 v9, 24
	v_lshlrev_b32_e32 v5, 20, v5
	v_lshl_add_u32 v7, v7, 23, 0x3c000000
	v_lshlrev_b32_sdwa v9, v9, v11 dst_sel:DWORD dst_unused:UNUSED_PAD src0_sel:DWORD src1_sel:WORD_1
	v_and_b32_e32 v9, 0x80000000, v9
	v_or3_b32 v5, v5, v9, v7
	v_mov_b32_e32 v22, v6
	v_mov_b32_e32 v21, v5
.LBB235_1093:                           ;   in Loop: Header=BB235_934 Depth=1
	s_or_b32 exec_lo, exec_lo, s16
.LBB235_1094:                           ;   in Loop: Header=BB235_934 Depth=1
	s_or_b32 exec_lo, exec_lo, s15
.LBB235_1095:                           ;   in Loop: Header=BB235_934 Depth=1
	s_or_b32 exec_lo, exec_lo, s13
	s_mov_b32 s13, exec_lo
	v_cmpx_lt_u32_e32 0xffffff, v11
	s_cbranch_execz .LBB235_1103
; %bb.1096:                             ;   in Loop: Header=BB235_934 Depth=1
	v_mov_b32_e32 v7, v6
	v_mov_b32_e32 v24, v8
	v_cmp_ne_u32_sdwa s4, v11, v82 src0_sel:BYTE_3 src1_sel:DWORD
	v_mov_b32_e32 v23, v7
	s_and_saveexec_b32 s15, s4
	s_cbranch_execz .LBB235_1102
; %bb.1097:                             ;   in Loop: Header=BB235_934 Depth=1
	v_mov_b32_e32 v9, v6
	v_mov_b32_e32 v24, v10
	v_bfe_u32 v12, v11, 24, 7
	s_mov_b32 s16, exec_lo
	v_mov_b32_e32 v23, v9
	v_cmpx_ne_u32_e32 0x7f, v12
	s_cbranch_execz .LBB235_1101
; %bb.1098:                             ;   in Loop: Header=BB235_934 Depth=1
	v_mov_b32_e32 v5, 7
	v_lshrrev_b32_e32 v7, 3, v12
	s_mov_b32 s17, exec_lo
	v_and_b32_sdwa v5, v11, v5 dst_sel:DWORD dst_unused:UNUSED_PAD src0_sel:BYTE_3 src1_sel:DWORD
	v_cmpx_gt_u32_e32 8, v12
; %bb.1099:                             ;   in Loop: Header=BB235_934 Depth=1
	v_ffbh_u32_e32 v7, v5
	v_min_u32_e32 v7, 32, v7
	v_subrev_nc_u32_e32 v9, 28, v7
	v_sub_nc_u32_e32 v7, 29, v7
	v_lshlrev_b64 v[23:24], v9, v[5:6]
	v_and_b32_e32 v5, 7, v23
; %bb.1100:                             ;   in Loop: Header=BB235_934 Depth=1
	s_or_b32 exec_lo, exec_lo, s17
	v_mov_b32_e32 v9, 24
	v_lshlrev_b32_e32 v5, 20, v5
	v_lshl_add_u32 v7, v7, 23, 0x3c000000
	v_mov_b32_e32 v23, v6
	v_lshlrev_b32_sdwa v9, v9, v11 dst_sel:DWORD dst_unused:UNUSED_PAD src0_sel:DWORD src1_sel:BYTE_3
	v_and_b32_e32 v9, 0x80000000, v9
	v_or3_b32 v24, v5, v9, v7
.LBB235_1101:                           ;   in Loop: Header=BB235_934 Depth=1
	s_or_b32 exec_lo, exec_lo, s16
.LBB235_1102:                           ;   in Loop: Header=BB235_934 Depth=1
	s_or_b32 exec_lo, exec_lo, s15
.LBB235_1103:                           ;   in Loop: Header=BB235_934 Depth=1
	s_or_b32 exec_lo, exec_lo, s13
	v_or_b32_e32 v5, v20, v18
	v_or_b32_e32 v7, v19, v17
	;; [unrolled: 1-line block ×4, first 2 shown]
	v_mul_f32_e32 v58, v98, v5
	v_mul_f32_e32 v57, v98, v7
	;; [unrolled: 1-line block ×4, first 2 shown]
	s_and_saveexec_b32 s13, vcc_lo
	s_cbranch_execz .LBB235_1105
; %bb.1104:                             ;   in Loop: Header=BB235_934 Depth=1
	v_cmp_lt_i32_e64 s4, v103, v122
	v_cndmask_b32_e64 v57, 0, v57, s4
	v_cmp_lt_i32_e64 s4, v114, v122
	v_cndmask_b32_e64 v58, 0, v58, s4
	;; [unrolled: 2-line block ×4, first 2 shown]
.LBB235_1105:                           ;   in Loop: Header=BB235_934 Depth=1
	s_or_b32 exec_lo, exec_lo, s13
	flat_load_dword v11, v[15:16] offset:640
	v_mov_b32_e32 v19, 0
	v_mov_b32_e32 v17, 0
	;; [unrolled: 1-line block ×4, first 2 shown]
	s_waitcnt vmcnt(0) lgkmcnt(0)
	v_cmp_ne_u16_sdwa s4, v11, v6 src0_sel:BYTE_0 src1_sel:DWORD
	s_and_saveexec_b32 s13, s4
	s_cbranch_execz .LBB235_1113
; %bb.1106:                             ;   in Loop: Header=BB235_934 Depth=1
	v_bfrev_b32_e32 v17, 1
	v_mov_b32_e32 v18, 0
	v_cmp_ne_u16_sdwa s4, v11, v82 src0_sel:BYTE_0 src1_sel:DWORD
	s_and_saveexec_b32 s15, s4
	s_cbranch_execz .LBB235_1112
; %bb.1107:                             ;   in Loop: Header=BB235_934 Depth=1
	v_mov_b32_e32 v17, 0x7f800001
	v_and_b32_e32 v9, 0x7f, v11
	v_mov_b32_e32 v18, 0
	s_mov_b32 s16, exec_lo
	v_cmpx_ne_u32_e32 0x7f, v9
	s_cbranch_execz .LBB235_1111
; %bb.1108:                             ;   in Loop: Header=BB235_934 Depth=1
	v_and_b32_e32 v5, 7, v11
	v_lshrrev_b32_e32 v7, 3, v9
	s_mov_b32 s17, exec_lo
	v_cmpx_gt_u32_e32 8, v9
; %bb.1109:                             ;   in Loop: Header=BB235_934 Depth=1
	v_ffbh_u32_e32 v7, v5
	v_min_u32_e32 v7, 32, v7
	v_subrev_nc_u32_e32 v9, 28, v7
	v_sub_nc_u32_e32 v7, 29, v7
	v_lshlrev_b64 v[17:18], v9, v[5:6]
	v_and_b32_e32 v5, 7, v17
; %bb.1110:                             ;   in Loop: Header=BB235_934 Depth=1
	s_or_b32 exec_lo, exec_lo, s17
	v_lshlrev_b32_e32 v9, 24, v11
	v_lshlrev_b32_e32 v5, 20, v5
	v_lshl_add_u32 v7, v7, 23, 0x3c000000
	v_and_b32_e32 v9, 0x80000000, v9
	v_or3_b32 v5, v5, v9, v7
	v_mov_b32_e32 v18, v6
	v_mov_b32_e32 v17, v5
.LBB235_1111:                           ;   in Loop: Header=BB235_934 Depth=1
	s_or_b32 exec_lo, exec_lo, s16
.LBB235_1112:                           ;   in Loop: Header=BB235_934 Depth=1
	s_or_b32 exec_lo, exec_lo, s15
.LBB235_1113:                           ;   in Loop: Header=BB235_934 Depth=1
	s_or_b32 exec_lo, exec_lo, s13
	v_cmp_ne_u16_sdwa s4, v11, v6 src0_sel:BYTE_1 src1_sel:DWORD
	s_and_saveexec_b32 s13, s4
	s_cbranch_execz .LBB235_1121
; %bb.1114:                             ;   in Loop: Header=BB235_934 Depth=1
	v_mov_b32_e32 v7, v6
	v_mov_b32_e32 v20, v8
	v_cmp_ne_u16_sdwa s4, v11, v82 src0_sel:BYTE_1 src1_sel:DWORD
	v_mov_b32_e32 v19, v7
	s_and_saveexec_b32 s15, s4
	s_cbranch_execz .LBB235_1120
; %bb.1115:                             ;   in Loop: Header=BB235_934 Depth=1
	v_mov_b32_e32 v5, 0xffff
	v_mov_b32_e32 v9, v6
	v_mov_b32_e32 v20, v10
	s_mov_b32 s16, exec_lo
	v_and_b32_sdwa v5, v5, v11 dst_sel:DWORD dst_unused:UNUSED_PAD src0_sel:DWORD src1_sel:BYTE_1
	v_mov_b32_e32 v19, v9
	v_and_b32_e32 v12, 0x7f, v5
	v_cmpx_ne_u32_e32 0x7f, v12
	s_cbranch_execz .LBB235_1119
; %bb.1116:                             ;   in Loop: Header=BB235_934 Depth=1
	v_and_b32_e32 v5, 7, v5
	v_lshrrev_b32_e32 v7, 3, v12
	s_mov_b32 s17, exec_lo
	v_cmpx_gt_u32_e32 8, v12
; %bb.1117:                             ;   in Loop: Header=BB235_934 Depth=1
	v_ffbh_u32_e32 v7, v5
	v_min_u32_e32 v7, 32, v7
	v_subrev_nc_u32_e32 v9, 28, v7
	v_sub_nc_u32_e32 v7, 29, v7
	v_lshlrev_b64 v[19:20], v9, v[5:6]
	v_and_b32_e32 v5, 7, v19
; %bb.1118:                             ;   in Loop: Header=BB235_934 Depth=1
	s_or_b32 exec_lo, exec_lo, s17
	v_lshlrev_b32_e32 v9, 16, v11
	v_lshlrev_b32_e32 v5, 20, v5
	v_lshl_add_u32 v7, v7, 23, 0x3c000000
	v_mov_b32_e32 v19, v6
	v_and_b32_e32 v9, 0x80000000, v9
	v_or3_b32 v20, v5, v9, v7
.LBB235_1119:                           ;   in Loop: Header=BB235_934 Depth=1
	s_or_b32 exec_lo, exec_lo, s16
.LBB235_1120:                           ;   in Loop: Header=BB235_934 Depth=1
	s_or_b32 exec_lo, exec_lo, s15
.LBB235_1121:                           ;   in Loop: Header=BB235_934 Depth=1
	s_or_b32 exec_lo, exec_lo, s13
	v_mov_b32_e32 v23, 0
	v_mov_b32_e32 v21, 0
	v_and_b32_sdwa v5, v11, v84 dst_sel:DWORD dst_unused:UNUSED_PAD src0_sel:WORD_1 src1_sel:DWORD
	v_mov_b32_e32 v24, 0
	v_mov_b32_e32 v22, 0
	s_mov_b32 s13, exec_lo
	v_cmpx_ne_u16_e32 0, v5
	s_cbranch_execz .LBB235_1129
; %bb.1122:                             ;   in Loop: Header=BB235_934 Depth=1
	v_bfrev_b32_e32 v21, 1
	v_mov_b32_e32 v22, 0
	s_mov_b32 s15, exec_lo
	v_cmpx_ne_u16_e32 0x80, v5
	s_cbranch_execz .LBB235_1128
; %bb.1123:                             ;   in Loop: Header=BB235_934 Depth=1
	v_mov_b32_e32 v21, 0x7f800001
	v_bfe_u32 v9, v11, 16, 7
	v_mov_b32_e32 v22, 0
	s_mov_b32 s16, exec_lo
	v_cmpx_ne_u32_e32 0x7f, v9
	s_cbranch_execz .LBB235_1127
; %bb.1124:                             ;   in Loop: Header=BB235_934 Depth=1
	v_mov_b32_e32 v5, 7
	v_lshrrev_b32_e32 v7, 3, v9
	s_mov_b32 s17, exec_lo
	v_and_b32_sdwa v5, v11, v5 dst_sel:DWORD dst_unused:UNUSED_PAD src0_sel:WORD_1 src1_sel:DWORD
	v_cmpx_gt_u32_e32 8, v9
; %bb.1125:                             ;   in Loop: Header=BB235_934 Depth=1
	v_ffbh_u32_e32 v7, v5
	v_min_u32_e32 v7, 32, v7
	v_subrev_nc_u32_e32 v9, 28, v7
	v_sub_nc_u32_e32 v7, 29, v7
	v_lshlrev_b64 v[21:22], v9, v[5:6]
	v_and_b32_e32 v5, 7, v21
; %bb.1126:                             ;   in Loop: Header=BB235_934 Depth=1
	s_or_b32 exec_lo, exec_lo, s17
	v_mov_b32_e32 v9, 24
	v_lshlrev_b32_e32 v5, 20, v5
	v_lshl_add_u32 v7, v7, 23, 0x3c000000
	v_lshlrev_b32_sdwa v9, v9, v11 dst_sel:DWORD dst_unused:UNUSED_PAD src0_sel:DWORD src1_sel:WORD_1
	v_and_b32_e32 v9, 0x80000000, v9
	v_or3_b32 v5, v5, v9, v7
	v_mov_b32_e32 v22, v6
	v_mov_b32_e32 v21, v5
.LBB235_1127:                           ;   in Loop: Header=BB235_934 Depth=1
	s_or_b32 exec_lo, exec_lo, s16
.LBB235_1128:                           ;   in Loop: Header=BB235_934 Depth=1
	s_or_b32 exec_lo, exec_lo, s15
.LBB235_1129:                           ;   in Loop: Header=BB235_934 Depth=1
	s_or_b32 exec_lo, exec_lo, s13
	s_mov_b32 s13, exec_lo
	v_cmpx_lt_u32_e32 0xffffff, v11
	s_cbranch_execz .LBB235_1137
; %bb.1130:                             ;   in Loop: Header=BB235_934 Depth=1
	v_mov_b32_e32 v7, v6
	v_mov_b32_e32 v24, v8
	v_cmp_ne_u32_sdwa s4, v11, v82 src0_sel:BYTE_3 src1_sel:DWORD
	v_mov_b32_e32 v23, v7
	s_and_saveexec_b32 s15, s4
	s_cbranch_execz .LBB235_1136
; %bb.1131:                             ;   in Loop: Header=BB235_934 Depth=1
	v_mov_b32_e32 v9, v6
	v_mov_b32_e32 v24, v10
	v_bfe_u32 v12, v11, 24, 7
	s_mov_b32 s16, exec_lo
	v_mov_b32_e32 v23, v9
	v_cmpx_ne_u32_e32 0x7f, v12
	s_cbranch_execz .LBB235_1135
; %bb.1132:                             ;   in Loop: Header=BB235_934 Depth=1
	v_mov_b32_e32 v5, 7
	v_lshrrev_b32_e32 v7, 3, v12
	s_mov_b32 s17, exec_lo
	v_and_b32_sdwa v5, v11, v5 dst_sel:DWORD dst_unused:UNUSED_PAD src0_sel:BYTE_3 src1_sel:DWORD
	v_cmpx_gt_u32_e32 8, v12
; %bb.1133:                             ;   in Loop: Header=BB235_934 Depth=1
	v_ffbh_u32_e32 v7, v5
	v_min_u32_e32 v7, 32, v7
	v_subrev_nc_u32_e32 v9, 28, v7
	v_sub_nc_u32_e32 v7, 29, v7
	v_lshlrev_b64 v[23:24], v9, v[5:6]
	v_and_b32_e32 v5, 7, v23
; %bb.1134:                             ;   in Loop: Header=BB235_934 Depth=1
	s_or_b32 exec_lo, exec_lo, s17
	v_mov_b32_e32 v9, 24
	v_lshlrev_b32_e32 v5, 20, v5
	v_lshl_add_u32 v7, v7, 23, 0x3c000000
	v_mov_b32_e32 v23, v6
	v_lshlrev_b32_sdwa v9, v9, v11 dst_sel:DWORD dst_unused:UNUSED_PAD src0_sel:DWORD src1_sel:BYTE_3
	v_and_b32_e32 v9, 0x80000000, v9
	v_or3_b32 v24, v5, v9, v7
.LBB235_1135:                           ;   in Loop: Header=BB235_934 Depth=1
	s_or_b32 exec_lo, exec_lo, s16
.LBB235_1136:                           ;   in Loop: Header=BB235_934 Depth=1
	s_or_b32 exec_lo, exec_lo, s15
.LBB235_1137:                           ;   in Loop: Header=BB235_934 Depth=1
	s_or_b32 exec_lo, exec_lo, s13
	v_or_b32_e32 v5, v20, v18
	v_or_b32_e32 v7, v19, v17
	v_or_b32_e32 v9, v23, v21
	v_or_b32_e32 v11, v24, v22
	v_mul_f32_e32 v62, v98, v5
	v_mul_f32_e32 v61, v98, v7
	;; [unrolled: 1-line block ×4, first 2 shown]
	s_and_saveexec_b32 s13, vcc_lo
	s_cbranch_execz .LBB235_1139
; %bb.1138:                             ;   in Loop: Header=BB235_934 Depth=1
	v_cmp_lt_i32_e64 s4, v103, v122
	v_cndmask_b32_e64 v61, 0, v61, s4
	v_cmp_lt_i32_e64 s4, v114, v122
	v_cndmask_b32_e64 v62, 0, v62, s4
	;; [unrolled: 2-line block ×4, first 2 shown]
.LBB235_1139:                           ;   in Loop: Header=BB235_934 Depth=1
	s_or_b32 exec_lo, exec_lo, s13
	flat_load_dword v11, v[15:16] offset:768
	v_mov_b32_e32 v19, 0
	v_mov_b32_e32 v17, 0
	v_mov_b32_e32 v20, 0
	v_mov_b32_e32 v18, 0
	s_waitcnt vmcnt(0) lgkmcnt(0)
	v_cmp_ne_u16_sdwa s4, v11, v6 src0_sel:BYTE_0 src1_sel:DWORD
	s_and_saveexec_b32 s13, s4
	s_cbranch_execz .LBB235_1147
; %bb.1140:                             ;   in Loop: Header=BB235_934 Depth=1
	v_bfrev_b32_e32 v17, 1
	v_mov_b32_e32 v18, 0
	v_cmp_ne_u16_sdwa s4, v11, v82 src0_sel:BYTE_0 src1_sel:DWORD
	s_and_saveexec_b32 s15, s4
	s_cbranch_execz .LBB235_1146
; %bb.1141:                             ;   in Loop: Header=BB235_934 Depth=1
	v_mov_b32_e32 v17, 0x7f800001
	v_and_b32_e32 v9, 0x7f, v11
	v_mov_b32_e32 v18, 0
	s_mov_b32 s16, exec_lo
	v_cmpx_ne_u32_e32 0x7f, v9
	s_cbranch_execz .LBB235_1145
; %bb.1142:                             ;   in Loop: Header=BB235_934 Depth=1
	v_and_b32_e32 v5, 7, v11
	v_lshrrev_b32_e32 v7, 3, v9
	s_mov_b32 s17, exec_lo
	v_cmpx_gt_u32_e32 8, v9
; %bb.1143:                             ;   in Loop: Header=BB235_934 Depth=1
	v_ffbh_u32_e32 v7, v5
	v_min_u32_e32 v7, 32, v7
	v_subrev_nc_u32_e32 v9, 28, v7
	v_sub_nc_u32_e32 v7, 29, v7
	v_lshlrev_b64 v[17:18], v9, v[5:6]
	v_and_b32_e32 v5, 7, v17
; %bb.1144:                             ;   in Loop: Header=BB235_934 Depth=1
	s_or_b32 exec_lo, exec_lo, s17
	v_lshlrev_b32_e32 v9, 24, v11
	v_lshlrev_b32_e32 v5, 20, v5
	v_lshl_add_u32 v7, v7, 23, 0x3c000000
	v_and_b32_e32 v9, 0x80000000, v9
	v_or3_b32 v5, v5, v9, v7
	v_mov_b32_e32 v18, v6
	v_mov_b32_e32 v17, v5
.LBB235_1145:                           ;   in Loop: Header=BB235_934 Depth=1
	s_or_b32 exec_lo, exec_lo, s16
.LBB235_1146:                           ;   in Loop: Header=BB235_934 Depth=1
	s_or_b32 exec_lo, exec_lo, s15
.LBB235_1147:                           ;   in Loop: Header=BB235_934 Depth=1
	s_or_b32 exec_lo, exec_lo, s13
	v_cmp_ne_u16_sdwa s4, v11, v6 src0_sel:BYTE_1 src1_sel:DWORD
	s_and_saveexec_b32 s13, s4
	s_cbranch_execz .LBB235_1155
; %bb.1148:                             ;   in Loop: Header=BB235_934 Depth=1
	v_mov_b32_e32 v7, v6
	v_mov_b32_e32 v20, v8
	v_cmp_ne_u16_sdwa s4, v11, v82 src0_sel:BYTE_1 src1_sel:DWORD
	v_mov_b32_e32 v19, v7
	s_and_saveexec_b32 s15, s4
	s_cbranch_execz .LBB235_1154
; %bb.1149:                             ;   in Loop: Header=BB235_934 Depth=1
	v_mov_b32_e32 v5, 0xffff
	v_mov_b32_e32 v9, v6
	;; [unrolled: 1-line block ×3, first 2 shown]
	s_mov_b32 s16, exec_lo
	v_and_b32_sdwa v5, v5, v11 dst_sel:DWORD dst_unused:UNUSED_PAD src0_sel:DWORD src1_sel:BYTE_1
	v_mov_b32_e32 v19, v9
	v_and_b32_e32 v12, 0x7f, v5
	v_cmpx_ne_u32_e32 0x7f, v12
	s_cbranch_execz .LBB235_1153
; %bb.1150:                             ;   in Loop: Header=BB235_934 Depth=1
	v_and_b32_e32 v5, 7, v5
	v_lshrrev_b32_e32 v7, 3, v12
	s_mov_b32 s17, exec_lo
	v_cmpx_gt_u32_e32 8, v12
; %bb.1151:                             ;   in Loop: Header=BB235_934 Depth=1
	v_ffbh_u32_e32 v7, v5
	v_min_u32_e32 v7, 32, v7
	v_subrev_nc_u32_e32 v9, 28, v7
	v_sub_nc_u32_e32 v7, 29, v7
	v_lshlrev_b64 v[19:20], v9, v[5:6]
	v_and_b32_e32 v5, 7, v19
; %bb.1152:                             ;   in Loop: Header=BB235_934 Depth=1
	s_or_b32 exec_lo, exec_lo, s17
	v_lshlrev_b32_e32 v9, 16, v11
	v_lshlrev_b32_e32 v5, 20, v5
	v_lshl_add_u32 v7, v7, 23, 0x3c000000
	v_mov_b32_e32 v19, v6
	v_and_b32_e32 v9, 0x80000000, v9
	v_or3_b32 v20, v5, v9, v7
.LBB235_1153:                           ;   in Loop: Header=BB235_934 Depth=1
	s_or_b32 exec_lo, exec_lo, s16
.LBB235_1154:                           ;   in Loop: Header=BB235_934 Depth=1
	s_or_b32 exec_lo, exec_lo, s15
.LBB235_1155:                           ;   in Loop: Header=BB235_934 Depth=1
	s_or_b32 exec_lo, exec_lo, s13
	v_mov_b32_e32 v23, 0
	v_mov_b32_e32 v21, 0
	v_and_b32_sdwa v5, v11, v84 dst_sel:DWORD dst_unused:UNUSED_PAD src0_sel:WORD_1 src1_sel:DWORD
	v_mov_b32_e32 v24, 0
	v_mov_b32_e32 v22, 0
	s_mov_b32 s13, exec_lo
	v_cmpx_ne_u16_e32 0, v5
	s_cbranch_execz .LBB235_1163
; %bb.1156:                             ;   in Loop: Header=BB235_934 Depth=1
	v_bfrev_b32_e32 v21, 1
	v_mov_b32_e32 v22, 0
	s_mov_b32 s15, exec_lo
	v_cmpx_ne_u16_e32 0x80, v5
	s_cbranch_execz .LBB235_1162
; %bb.1157:                             ;   in Loop: Header=BB235_934 Depth=1
	v_mov_b32_e32 v21, 0x7f800001
	v_bfe_u32 v9, v11, 16, 7
	v_mov_b32_e32 v22, 0
	s_mov_b32 s16, exec_lo
	v_cmpx_ne_u32_e32 0x7f, v9
	s_cbranch_execz .LBB235_1161
; %bb.1158:                             ;   in Loop: Header=BB235_934 Depth=1
	v_mov_b32_e32 v5, 7
	v_lshrrev_b32_e32 v7, 3, v9
	s_mov_b32 s17, exec_lo
	v_and_b32_sdwa v5, v11, v5 dst_sel:DWORD dst_unused:UNUSED_PAD src0_sel:WORD_1 src1_sel:DWORD
	v_cmpx_gt_u32_e32 8, v9
; %bb.1159:                             ;   in Loop: Header=BB235_934 Depth=1
	v_ffbh_u32_e32 v7, v5
	v_min_u32_e32 v7, 32, v7
	v_subrev_nc_u32_e32 v9, 28, v7
	v_sub_nc_u32_e32 v7, 29, v7
	v_lshlrev_b64 v[21:22], v9, v[5:6]
	v_and_b32_e32 v5, 7, v21
; %bb.1160:                             ;   in Loop: Header=BB235_934 Depth=1
	s_or_b32 exec_lo, exec_lo, s17
	v_mov_b32_e32 v9, 24
	v_lshlrev_b32_e32 v5, 20, v5
	v_lshl_add_u32 v7, v7, 23, 0x3c000000
	v_lshlrev_b32_sdwa v9, v9, v11 dst_sel:DWORD dst_unused:UNUSED_PAD src0_sel:DWORD src1_sel:WORD_1
	v_and_b32_e32 v9, 0x80000000, v9
	v_or3_b32 v5, v5, v9, v7
	v_mov_b32_e32 v22, v6
	v_mov_b32_e32 v21, v5
.LBB235_1161:                           ;   in Loop: Header=BB235_934 Depth=1
	s_or_b32 exec_lo, exec_lo, s16
.LBB235_1162:                           ;   in Loop: Header=BB235_934 Depth=1
	s_or_b32 exec_lo, exec_lo, s15
.LBB235_1163:                           ;   in Loop: Header=BB235_934 Depth=1
	s_or_b32 exec_lo, exec_lo, s13
	s_mov_b32 s13, exec_lo
	v_cmpx_lt_u32_e32 0xffffff, v11
	s_cbranch_execz .LBB235_1171
; %bb.1164:                             ;   in Loop: Header=BB235_934 Depth=1
	v_mov_b32_e32 v7, v6
	v_mov_b32_e32 v24, v8
	v_cmp_ne_u32_sdwa s4, v11, v82 src0_sel:BYTE_3 src1_sel:DWORD
	v_mov_b32_e32 v23, v7
	s_and_saveexec_b32 s15, s4
	s_cbranch_execz .LBB235_1170
; %bb.1165:                             ;   in Loop: Header=BB235_934 Depth=1
	v_mov_b32_e32 v9, v6
	v_mov_b32_e32 v24, v10
	v_bfe_u32 v12, v11, 24, 7
	s_mov_b32 s16, exec_lo
	v_mov_b32_e32 v23, v9
	v_cmpx_ne_u32_e32 0x7f, v12
	s_cbranch_execz .LBB235_1169
; %bb.1166:                             ;   in Loop: Header=BB235_934 Depth=1
	v_mov_b32_e32 v5, 7
	v_lshrrev_b32_e32 v7, 3, v12
	s_mov_b32 s17, exec_lo
	v_and_b32_sdwa v5, v11, v5 dst_sel:DWORD dst_unused:UNUSED_PAD src0_sel:BYTE_3 src1_sel:DWORD
	v_cmpx_gt_u32_e32 8, v12
; %bb.1167:                             ;   in Loop: Header=BB235_934 Depth=1
	v_ffbh_u32_e32 v7, v5
	v_min_u32_e32 v7, 32, v7
	v_subrev_nc_u32_e32 v9, 28, v7
	v_sub_nc_u32_e32 v7, 29, v7
	v_lshlrev_b64 v[23:24], v9, v[5:6]
	v_and_b32_e32 v5, 7, v23
; %bb.1168:                             ;   in Loop: Header=BB235_934 Depth=1
	s_or_b32 exec_lo, exec_lo, s17
	v_mov_b32_e32 v9, 24
	v_lshlrev_b32_e32 v5, 20, v5
	v_lshl_add_u32 v7, v7, 23, 0x3c000000
	v_mov_b32_e32 v23, v6
	v_lshlrev_b32_sdwa v9, v9, v11 dst_sel:DWORD dst_unused:UNUSED_PAD src0_sel:DWORD src1_sel:BYTE_3
	v_and_b32_e32 v9, 0x80000000, v9
	v_or3_b32 v24, v5, v9, v7
.LBB235_1169:                           ;   in Loop: Header=BB235_934 Depth=1
	s_or_b32 exec_lo, exec_lo, s16
.LBB235_1170:                           ;   in Loop: Header=BB235_934 Depth=1
	s_or_b32 exec_lo, exec_lo, s15
.LBB235_1171:                           ;   in Loop: Header=BB235_934 Depth=1
	s_or_b32 exec_lo, exec_lo, s13
	v_or_b32_e32 v5, v20, v18
	v_or_b32_e32 v7, v19, v17
	;; [unrolled: 1-line block ×4, first 2 shown]
	v_mul_f32_e32 v74, v98, v5
	v_mul_f32_e32 v73, v98, v7
	;; [unrolled: 1-line block ×4, first 2 shown]
	s_and_saveexec_b32 s13, vcc_lo
	s_cbranch_execz .LBB235_1173
; %bb.1172:                             ;   in Loop: Header=BB235_934 Depth=1
	v_cmp_lt_i32_e64 s4, v103, v122
	v_cndmask_b32_e64 v73, 0, v73, s4
	v_cmp_lt_i32_e64 s4, v114, v122
	v_cndmask_b32_e64 v74, 0, v74, s4
	;; [unrolled: 2-line block ×4, first 2 shown]
.LBB235_1173:                           ;   in Loop: Header=BB235_934 Depth=1
	s_or_b32 exec_lo, exec_lo, s13
	flat_load_dword v11, v[15:16] offset:896
	v_mov_b32_e32 v19, 0
	v_mov_b32_e32 v17, 0
	;; [unrolled: 1-line block ×4, first 2 shown]
	s_waitcnt vmcnt(0) lgkmcnt(0)
	v_cmp_ne_u16_sdwa s4, v11, v6 src0_sel:BYTE_0 src1_sel:DWORD
	s_and_saveexec_b32 s13, s4
	s_cbranch_execz .LBB235_1181
; %bb.1174:                             ;   in Loop: Header=BB235_934 Depth=1
	v_bfrev_b32_e32 v17, 1
	v_mov_b32_e32 v18, 0
	v_cmp_ne_u16_sdwa s4, v11, v82 src0_sel:BYTE_0 src1_sel:DWORD
	s_and_saveexec_b32 s15, s4
	s_cbranch_execz .LBB235_1180
; %bb.1175:                             ;   in Loop: Header=BB235_934 Depth=1
	v_mov_b32_e32 v17, 0x7f800001
	v_and_b32_e32 v9, 0x7f, v11
	v_mov_b32_e32 v18, 0
	s_mov_b32 s16, exec_lo
	v_cmpx_ne_u32_e32 0x7f, v9
	s_cbranch_execz .LBB235_1179
; %bb.1176:                             ;   in Loop: Header=BB235_934 Depth=1
	v_and_b32_e32 v5, 7, v11
	v_lshrrev_b32_e32 v7, 3, v9
	s_mov_b32 s17, exec_lo
	v_cmpx_gt_u32_e32 8, v9
; %bb.1177:                             ;   in Loop: Header=BB235_934 Depth=1
	v_ffbh_u32_e32 v7, v5
	v_min_u32_e32 v7, 32, v7
	v_subrev_nc_u32_e32 v9, 28, v7
	v_sub_nc_u32_e32 v7, 29, v7
	v_lshlrev_b64 v[17:18], v9, v[5:6]
	v_and_b32_e32 v5, 7, v17
; %bb.1178:                             ;   in Loop: Header=BB235_934 Depth=1
	s_or_b32 exec_lo, exec_lo, s17
	v_lshlrev_b32_e32 v9, 24, v11
	v_lshlrev_b32_e32 v5, 20, v5
	v_lshl_add_u32 v7, v7, 23, 0x3c000000
	v_and_b32_e32 v9, 0x80000000, v9
	v_or3_b32 v5, v5, v9, v7
	v_mov_b32_e32 v18, v6
	v_mov_b32_e32 v17, v5
.LBB235_1179:                           ;   in Loop: Header=BB235_934 Depth=1
	s_or_b32 exec_lo, exec_lo, s16
.LBB235_1180:                           ;   in Loop: Header=BB235_934 Depth=1
	s_or_b32 exec_lo, exec_lo, s15
.LBB235_1181:                           ;   in Loop: Header=BB235_934 Depth=1
	s_or_b32 exec_lo, exec_lo, s13
	v_cmp_ne_u16_sdwa s4, v11, v6 src0_sel:BYTE_1 src1_sel:DWORD
	s_and_saveexec_b32 s13, s4
	s_cbranch_execz .LBB235_1189
; %bb.1182:                             ;   in Loop: Header=BB235_934 Depth=1
	v_mov_b32_e32 v7, v6
	v_mov_b32_e32 v20, v8
	v_cmp_ne_u16_sdwa s4, v11, v82 src0_sel:BYTE_1 src1_sel:DWORD
	v_mov_b32_e32 v19, v7
	s_and_saveexec_b32 s15, s4
	s_cbranch_execz .LBB235_1188
; %bb.1183:                             ;   in Loop: Header=BB235_934 Depth=1
	v_mov_b32_e32 v5, 0xffff
	v_mov_b32_e32 v9, v6
	v_mov_b32_e32 v20, v10
	s_mov_b32 s16, exec_lo
	v_and_b32_sdwa v5, v5, v11 dst_sel:DWORD dst_unused:UNUSED_PAD src0_sel:DWORD src1_sel:BYTE_1
	v_mov_b32_e32 v19, v9
	v_and_b32_e32 v12, 0x7f, v5
	v_cmpx_ne_u32_e32 0x7f, v12
	s_cbranch_execz .LBB235_1187
; %bb.1184:                             ;   in Loop: Header=BB235_934 Depth=1
	v_and_b32_e32 v5, 7, v5
	v_lshrrev_b32_e32 v7, 3, v12
	s_mov_b32 s17, exec_lo
	v_cmpx_gt_u32_e32 8, v12
; %bb.1185:                             ;   in Loop: Header=BB235_934 Depth=1
	v_ffbh_u32_e32 v7, v5
	v_min_u32_e32 v7, 32, v7
	v_subrev_nc_u32_e32 v9, 28, v7
	v_sub_nc_u32_e32 v7, 29, v7
	v_lshlrev_b64 v[19:20], v9, v[5:6]
	v_and_b32_e32 v5, 7, v19
; %bb.1186:                             ;   in Loop: Header=BB235_934 Depth=1
	s_or_b32 exec_lo, exec_lo, s17
	v_lshlrev_b32_e32 v9, 16, v11
	v_lshlrev_b32_e32 v5, 20, v5
	v_lshl_add_u32 v7, v7, 23, 0x3c000000
	v_mov_b32_e32 v19, v6
	v_and_b32_e32 v9, 0x80000000, v9
	v_or3_b32 v20, v5, v9, v7
.LBB235_1187:                           ;   in Loop: Header=BB235_934 Depth=1
	s_or_b32 exec_lo, exec_lo, s16
.LBB235_1188:                           ;   in Loop: Header=BB235_934 Depth=1
	s_or_b32 exec_lo, exec_lo, s15
.LBB235_1189:                           ;   in Loop: Header=BB235_934 Depth=1
	s_or_b32 exec_lo, exec_lo, s13
	v_mov_b32_e32 v23, 0
	v_mov_b32_e32 v21, 0
	v_and_b32_sdwa v5, v11, v84 dst_sel:DWORD dst_unused:UNUSED_PAD src0_sel:WORD_1 src1_sel:DWORD
	v_mov_b32_e32 v24, 0
	v_mov_b32_e32 v22, 0
	s_mov_b32 s13, exec_lo
	v_cmpx_ne_u16_e32 0, v5
	s_cbranch_execz .LBB235_1197
; %bb.1190:                             ;   in Loop: Header=BB235_934 Depth=1
	v_bfrev_b32_e32 v21, 1
	v_mov_b32_e32 v22, 0
	s_mov_b32 s15, exec_lo
	v_cmpx_ne_u16_e32 0x80, v5
	s_cbranch_execz .LBB235_1196
; %bb.1191:                             ;   in Loop: Header=BB235_934 Depth=1
	v_mov_b32_e32 v21, 0x7f800001
	v_bfe_u32 v9, v11, 16, 7
	v_mov_b32_e32 v22, 0
	s_mov_b32 s16, exec_lo
	v_cmpx_ne_u32_e32 0x7f, v9
	s_cbranch_execz .LBB235_1195
; %bb.1192:                             ;   in Loop: Header=BB235_934 Depth=1
	v_mov_b32_e32 v5, 7
	v_lshrrev_b32_e32 v7, 3, v9
	s_mov_b32 s17, exec_lo
	v_and_b32_sdwa v5, v11, v5 dst_sel:DWORD dst_unused:UNUSED_PAD src0_sel:WORD_1 src1_sel:DWORD
	v_cmpx_gt_u32_e32 8, v9
; %bb.1193:                             ;   in Loop: Header=BB235_934 Depth=1
	v_ffbh_u32_e32 v7, v5
	v_min_u32_e32 v7, 32, v7
	v_subrev_nc_u32_e32 v9, 28, v7
	v_sub_nc_u32_e32 v7, 29, v7
	v_lshlrev_b64 v[21:22], v9, v[5:6]
	v_and_b32_e32 v5, 7, v21
; %bb.1194:                             ;   in Loop: Header=BB235_934 Depth=1
	s_or_b32 exec_lo, exec_lo, s17
	v_mov_b32_e32 v9, 24
	v_lshlrev_b32_e32 v5, 20, v5
	v_lshl_add_u32 v7, v7, 23, 0x3c000000
	v_lshlrev_b32_sdwa v9, v9, v11 dst_sel:DWORD dst_unused:UNUSED_PAD src0_sel:DWORD src1_sel:WORD_1
	v_and_b32_e32 v9, 0x80000000, v9
	v_or3_b32 v5, v5, v9, v7
	v_mov_b32_e32 v22, v6
	v_mov_b32_e32 v21, v5
.LBB235_1195:                           ;   in Loop: Header=BB235_934 Depth=1
	s_or_b32 exec_lo, exec_lo, s16
.LBB235_1196:                           ;   in Loop: Header=BB235_934 Depth=1
	s_or_b32 exec_lo, exec_lo, s15
.LBB235_1197:                           ;   in Loop: Header=BB235_934 Depth=1
	s_or_b32 exec_lo, exec_lo, s13
	s_mov_b32 s13, exec_lo
	v_cmpx_lt_u32_e32 0xffffff, v11
	s_cbranch_execz .LBB235_1205
; %bb.1198:                             ;   in Loop: Header=BB235_934 Depth=1
	v_mov_b32_e32 v7, v6
	v_mov_b32_e32 v24, v8
	v_cmp_ne_u32_sdwa s4, v11, v82 src0_sel:BYTE_3 src1_sel:DWORD
	v_mov_b32_e32 v23, v7
	s_and_saveexec_b32 s15, s4
	s_cbranch_execz .LBB235_1204
; %bb.1199:                             ;   in Loop: Header=BB235_934 Depth=1
	v_mov_b32_e32 v9, v6
	v_mov_b32_e32 v24, v10
	v_bfe_u32 v12, v11, 24, 7
	s_mov_b32 s16, exec_lo
	v_mov_b32_e32 v23, v9
	v_cmpx_ne_u32_e32 0x7f, v12
	s_cbranch_execz .LBB235_1203
; %bb.1200:                             ;   in Loop: Header=BB235_934 Depth=1
	v_mov_b32_e32 v5, 7
	v_lshrrev_b32_e32 v7, 3, v12
	s_mov_b32 s17, exec_lo
	v_and_b32_sdwa v5, v11, v5 dst_sel:DWORD dst_unused:UNUSED_PAD src0_sel:BYTE_3 src1_sel:DWORD
	v_cmpx_gt_u32_e32 8, v12
; %bb.1201:                             ;   in Loop: Header=BB235_934 Depth=1
	v_ffbh_u32_e32 v7, v5
	v_min_u32_e32 v7, 32, v7
	v_subrev_nc_u32_e32 v9, 28, v7
	v_sub_nc_u32_e32 v7, 29, v7
	v_lshlrev_b64 v[23:24], v9, v[5:6]
	v_and_b32_e32 v5, 7, v23
; %bb.1202:                             ;   in Loop: Header=BB235_934 Depth=1
	s_or_b32 exec_lo, exec_lo, s17
	v_mov_b32_e32 v9, 24
	v_lshlrev_b32_e32 v5, 20, v5
	v_lshl_add_u32 v7, v7, 23, 0x3c000000
	v_mov_b32_e32 v23, v6
	v_lshlrev_b32_sdwa v9, v9, v11 dst_sel:DWORD dst_unused:UNUSED_PAD src0_sel:DWORD src1_sel:BYTE_3
	v_and_b32_e32 v9, 0x80000000, v9
	v_or3_b32 v24, v5, v9, v7
.LBB235_1203:                           ;   in Loop: Header=BB235_934 Depth=1
	s_or_b32 exec_lo, exec_lo, s16
.LBB235_1204:                           ;   in Loop: Header=BB235_934 Depth=1
	s_or_b32 exec_lo, exec_lo, s15
.LBB235_1205:                           ;   in Loop: Header=BB235_934 Depth=1
	s_or_b32 exec_lo, exec_lo, s13
	v_or_b32_e32 v5, v20, v18
	v_or_b32_e32 v7, v19, v17
	;; [unrolled: 1-line block ×4, first 2 shown]
	v_mul_f32_e32 v78, v98, v5
	v_mul_f32_e32 v77, v98, v7
	;; [unrolled: 1-line block ×4, first 2 shown]
	s_and_saveexec_b32 s13, vcc_lo
	s_cbranch_execz .LBB235_1207
; %bb.1206:                             ;   in Loop: Header=BB235_934 Depth=1
	v_cmp_lt_i32_e64 s4, v103, v122
	v_cndmask_b32_e64 v77, 0, v77, s4
	v_cmp_lt_i32_e64 s4, v114, v122
	v_cndmask_b32_e64 v78, 0, v78, s4
	;; [unrolled: 2-line block ×4, first 2 shown]
.LBB235_1207:                           ;   in Loop: Header=BB235_934 Depth=1
	s_or_b32 exec_lo, exec_lo, s13
	flat_load_dword v11, v[15:16] offset:1024
	v_mov_b32_e32 v19, 0
	v_mov_b32_e32 v17, 0
	;; [unrolled: 1-line block ×4, first 2 shown]
	s_waitcnt vmcnt(0) lgkmcnt(0)
	v_cmp_ne_u16_sdwa s4, v11, v6 src0_sel:BYTE_0 src1_sel:DWORD
	s_and_saveexec_b32 s13, s4
	s_cbranch_execz .LBB235_1215
; %bb.1208:                             ;   in Loop: Header=BB235_934 Depth=1
	v_bfrev_b32_e32 v17, 1
	v_mov_b32_e32 v18, 0
	v_cmp_ne_u16_sdwa s4, v11, v82 src0_sel:BYTE_0 src1_sel:DWORD
	s_and_saveexec_b32 s15, s4
	s_cbranch_execz .LBB235_1214
; %bb.1209:                             ;   in Loop: Header=BB235_934 Depth=1
	v_mov_b32_e32 v17, 0x7f800001
	v_and_b32_e32 v9, 0x7f, v11
	v_mov_b32_e32 v18, 0
	s_mov_b32 s16, exec_lo
	v_cmpx_ne_u32_e32 0x7f, v9
	s_cbranch_execz .LBB235_1213
; %bb.1210:                             ;   in Loop: Header=BB235_934 Depth=1
	v_and_b32_e32 v5, 7, v11
	v_lshrrev_b32_e32 v7, 3, v9
	s_mov_b32 s17, exec_lo
	v_cmpx_gt_u32_e32 8, v9
; %bb.1211:                             ;   in Loop: Header=BB235_934 Depth=1
	v_ffbh_u32_e32 v7, v5
	v_min_u32_e32 v7, 32, v7
	v_subrev_nc_u32_e32 v9, 28, v7
	v_sub_nc_u32_e32 v7, 29, v7
	v_lshlrev_b64 v[17:18], v9, v[5:6]
	v_and_b32_e32 v5, 7, v17
; %bb.1212:                             ;   in Loop: Header=BB235_934 Depth=1
	s_or_b32 exec_lo, exec_lo, s17
	v_lshlrev_b32_e32 v9, 24, v11
	v_lshlrev_b32_e32 v5, 20, v5
	v_lshl_add_u32 v7, v7, 23, 0x3c000000
	v_and_b32_e32 v9, 0x80000000, v9
	v_or3_b32 v5, v5, v9, v7
	v_mov_b32_e32 v18, v6
	v_mov_b32_e32 v17, v5
.LBB235_1213:                           ;   in Loop: Header=BB235_934 Depth=1
	s_or_b32 exec_lo, exec_lo, s16
.LBB235_1214:                           ;   in Loop: Header=BB235_934 Depth=1
	s_or_b32 exec_lo, exec_lo, s15
.LBB235_1215:                           ;   in Loop: Header=BB235_934 Depth=1
	s_or_b32 exec_lo, exec_lo, s13
	v_cmp_ne_u16_sdwa s4, v11, v6 src0_sel:BYTE_1 src1_sel:DWORD
	s_and_saveexec_b32 s13, s4
	s_cbranch_execz .LBB235_1223
; %bb.1216:                             ;   in Loop: Header=BB235_934 Depth=1
	v_mov_b32_e32 v7, v6
	v_mov_b32_e32 v20, v8
	v_cmp_ne_u16_sdwa s4, v11, v82 src0_sel:BYTE_1 src1_sel:DWORD
	v_mov_b32_e32 v19, v7
	s_and_saveexec_b32 s15, s4
	s_cbranch_execz .LBB235_1222
; %bb.1217:                             ;   in Loop: Header=BB235_934 Depth=1
	v_mov_b32_e32 v5, 0xffff
	v_mov_b32_e32 v9, v6
	;; [unrolled: 1-line block ×3, first 2 shown]
	s_mov_b32 s16, exec_lo
	v_and_b32_sdwa v5, v5, v11 dst_sel:DWORD dst_unused:UNUSED_PAD src0_sel:DWORD src1_sel:BYTE_1
	v_mov_b32_e32 v19, v9
	v_and_b32_e32 v12, 0x7f, v5
	v_cmpx_ne_u32_e32 0x7f, v12
	s_cbranch_execz .LBB235_1221
; %bb.1218:                             ;   in Loop: Header=BB235_934 Depth=1
	v_and_b32_e32 v5, 7, v5
	v_lshrrev_b32_e32 v7, 3, v12
	s_mov_b32 s17, exec_lo
	v_cmpx_gt_u32_e32 8, v12
; %bb.1219:                             ;   in Loop: Header=BB235_934 Depth=1
	v_ffbh_u32_e32 v7, v5
	v_min_u32_e32 v7, 32, v7
	v_subrev_nc_u32_e32 v9, 28, v7
	v_sub_nc_u32_e32 v7, 29, v7
	v_lshlrev_b64 v[19:20], v9, v[5:6]
	v_and_b32_e32 v5, 7, v19
; %bb.1220:                             ;   in Loop: Header=BB235_934 Depth=1
	s_or_b32 exec_lo, exec_lo, s17
	v_lshlrev_b32_e32 v9, 16, v11
	v_lshlrev_b32_e32 v5, 20, v5
	v_lshl_add_u32 v7, v7, 23, 0x3c000000
	v_mov_b32_e32 v19, v6
	v_and_b32_e32 v9, 0x80000000, v9
	v_or3_b32 v20, v5, v9, v7
.LBB235_1221:                           ;   in Loop: Header=BB235_934 Depth=1
	s_or_b32 exec_lo, exec_lo, s16
.LBB235_1222:                           ;   in Loop: Header=BB235_934 Depth=1
	s_or_b32 exec_lo, exec_lo, s15
.LBB235_1223:                           ;   in Loop: Header=BB235_934 Depth=1
	s_or_b32 exec_lo, exec_lo, s13
	v_mov_b32_e32 v23, 0
	v_mov_b32_e32 v21, 0
	v_and_b32_sdwa v5, v11, v84 dst_sel:DWORD dst_unused:UNUSED_PAD src0_sel:WORD_1 src1_sel:DWORD
	v_mov_b32_e32 v24, 0
	v_mov_b32_e32 v22, 0
	s_mov_b32 s13, exec_lo
	v_cmpx_ne_u16_e32 0, v5
	s_cbranch_execz .LBB235_1231
; %bb.1224:                             ;   in Loop: Header=BB235_934 Depth=1
	v_bfrev_b32_e32 v21, 1
	v_mov_b32_e32 v22, 0
	s_mov_b32 s15, exec_lo
	v_cmpx_ne_u16_e32 0x80, v5
	s_cbranch_execz .LBB235_1230
; %bb.1225:                             ;   in Loop: Header=BB235_934 Depth=1
	v_mov_b32_e32 v21, 0x7f800001
	v_bfe_u32 v9, v11, 16, 7
	v_mov_b32_e32 v22, 0
	s_mov_b32 s16, exec_lo
	v_cmpx_ne_u32_e32 0x7f, v9
	s_cbranch_execz .LBB235_1229
; %bb.1226:                             ;   in Loop: Header=BB235_934 Depth=1
	v_mov_b32_e32 v5, 7
	v_lshrrev_b32_e32 v7, 3, v9
	s_mov_b32 s17, exec_lo
	v_and_b32_sdwa v5, v11, v5 dst_sel:DWORD dst_unused:UNUSED_PAD src0_sel:WORD_1 src1_sel:DWORD
	v_cmpx_gt_u32_e32 8, v9
; %bb.1227:                             ;   in Loop: Header=BB235_934 Depth=1
	v_ffbh_u32_e32 v7, v5
	v_min_u32_e32 v7, 32, v7
	v_subrev_nc_u32_e32 v9, 28, v7
	v_sub_nc_u32_e32 v7, 29, v7
	v_lshlrev_b64 v[21:22], v9, v[5:6]
	v_and_b32_e32 v5, 7, v21
; %bb.1228:                             ;   in Loop: Header=BB235_934 Depth=1
	s_or_b32 exec_lo, exec_lo, s17
	v_mov_b32_e32 v9, 24
	v_lshlrev_b32_e32 v5, 20, v5
	v_lshl_add_u32 v7, v7, 23, 0x3c000000
	v_lshlrev_b32_sdwa v9, v9, v11 dst_sel:DWORD dst_unused:UNUSED_PAD src0_sel:DWORD src1_sel:WORD_1
	v_and_b32_e32 v9, 0x80000000, v9
	v_or3_b32 v5, v5, v9, v7
	v_mov_b32_e32 v22, v6
	v_mov_b32_e32 v21, v5
.LBB235_1229:                           ;   in Loop: Header=BB235_934 Depth=1
	s_or_b32 exec_lo, exec_lo, s16
.LBB235_1230:                           ;   in Loop: Header=BB235_934 Depth=1
	s_or_b32 exec_lo, exec_lo, s15
.LBB235_1231:                           ;   in Loop: Header=BB235_934 Depth=1
	s_or_b32 exec_lo, exec_lo, s13
	s_mov_b32 s13, exec_lo
	v_cmpx_lt_u32_e32 0xffffff, v11
	s_cbranch_execz .LBB235_1239
; %bb.1232:                             ;   in Loop: Header=BB235_934 Depth=1
	v_mov_b32_e32 v7, v6
	v_mov_b32_e32 v24, v8
	v_cmp_ne_u32_sdwa s4, v11, v82 src0_sel:BYTE_3 src1_sel:DWORD
	v_mov_b32_e32 v23, v7
	s_and_saveexec_b32 s15, s4
	s_cbranch_execz .LBB235_1238
; %bb.1233:                             ;   in Loop: Header=BB235_934 Depth=1
	v_mov_b32_e32 v9, v6
	v_mov_b32_e32 v24, v10
	v_bfe_u32 v12, v11, 24, 7
	s_mov_b32 s16, exec_lo
	v_mov_b32_e32 v23, v9
	v_cmpx_ne_u32_e32 0x7f, v12
	s_cbranch_execz .LBB235_1237
; %bb.1234:                             ;   in Loop: Header=BB235_934 Depth=1
	v_mov_b32_e32 v5, 7
	v_lshrrev_b32_e32 v7, 3, v12
	s_mov_b32 s17, exec_lo
	v_and_b32_sdwa v5, v11, v5 dst_sel:DWORD dst_unused:UNUSED_PAD src0_sel:BYTE_3 src1_sel:DWORD
	v_cmpx_gt_u32_e32 8, v12
; %bb.1235:                             ;   in Loop: Header=BB235_934 Depth=1
	v_ffbh_u32_e32 v7, v5
	v_min_u32_e32 v7, 32, v7
	v_subrev_nc_u32_e32 v9, 28, v7
	v_sub_nc_u32_e32 v7, 29, v7
	v_lshlrev_b64 v[23:24], v9, v[5:6]
	v_and_b32_e32 v5, 7, v23
; %bb.1236:                             ;   in Loop: Header=BB235_934 Depth=1
	s_or_b32 exec_lo, exec_lo, s17
	v_mov_b32_e32 v9, 24
	v_lshlrev_b32_e32 v5, 20, v5
	v_lshl_add_u32 v7, v7, 23, 0x3c000000
	v_mov_b32_e32 v23, v6
	v_lshlrev_b32_sdwa v9, v9, v11 dst_sel:DWORD dst_unused:UNUSED_PAD src0_sel:DWORD src1_sel:BYTE_3
	v_and_b32_e32 v9, 0x80000000, v9
	v_or3_b32 v24, v5, v9, v7
.LBB235_1237:                           ;   in Loop: Header=BB235_934 Depth=1
	s_or_b32 exec_lo, exec_lo, s16
.LBB235_1238:                           ;   in Loop: Header=BB235_934 Depth=1
	s_or_b32 exec_lo, exec_lo, s15
.LBB235_1239:                           ;   in Loop: Header=BB235_934 Depth=1
	s_or_b32 exec_lo, exec_lo, s13
	v_or_b32_e32 v5, v20, v18
	v_or_b32_e32 v7, v19, v17
	;; [unrolled: 1-line block ×4, first 2 shown]
	v_mul_f32_e32 v90, v98, v5
	v_mul_f32_e32 v89, v98, v7
	;; [unrolled: 1-line block ×4, first 2 shown]
	s_and_saveexec_b32 s13, vcc_lo
	s_cbranch_execz .LBB235_1241
; %bb.1240:                             ;   in Loop: Header=BB235_934 Depth=1
	v_cmp_lt_i32_e64 s4, v103, v122
	v_cndmask_b32_e64 v89, 0, v89, s4
	v_cmp_lt_i32_e64 s4, v114, v122
	v_cndmask_b32_e64 v90, 0, v90, s4
	;; [unrolled: 2-line block ×4, first 2 shown]
.LBB235_1241:                           ;   in Loop: Header=BB235_934 Depth=1
	s_or_b32 exec_lo, exec_lo, s13
	flat_load_dword v11, v[15:16] offset:1152
	v_mov_b32_e32 v19, 0
	v_mov_b32_e32 v17, 0
	;; [unrolled: 1-line block ×4, first 2 shown]
	s_waitcnt vmcnt(0) lgkmcnt(0)
	v_cmp_ne_u16_sdwa s4, v11, v6 src0_sel:BYTE_0 src1_sel:DWORD
	s_and_saveexec_b32 s13, s4
	s_cbranch_execz .LBB235_1249
; %bb.1242:                             ;   in Loop: Header=BB235_934 Depth=1
	v_bfrev_b32_e32 v17, 1
	v_mov_b32_e32 v18, 0
	v_cmp_ne_u16_sdwa s4, v11, v82 src0_sel:BYTE_0 src1_sel:DWORD
	s_and_saveexec_b32 s15, s4
	s_cbranch_execz .LBB235_1248
; %bb.1243:                             ;   in Loop: Header=BB235_934 Depth=1
	v_mov_b32_e32 v17, 0x7f800001
	v_and_b32_e32 v9, 0x7f, v11
	v_mov_b32_e32 v18, 0
	s_mov_b32 s16, exec_lo
	v_cmpx_ne_u32_e32 0x7f, v9
	s_cbranch_execz .LBB235_1247
; %bb.1244:                             ;   in Loop: Header=BB235_934 Depth=1
	v_and_b32_e32 v5, 7, v11
	v_lshrrev_b32_e32 v7, 3, v9
	s_mov_b32 s17, exec_lo
	v_cmpx_gt_u32_e32 8, v9
; %bb.1245:                             ;   in Loop: Header=BB235_934 Depth=1
	v_ffbh_u32_e32 v7, v5
	v_min_u32_e32 v7, 32, v7
	v_subrev_nc_u32_e32 v9, 28, v7
	v_sub_nc_u32_e32 v7, 29, v7
	v_lshlrev_b64 v[17:18], v9, v[5:6]
	v_and_b32_e32 v5, 7, v17
; %bb.1246:                             ;   in Loop: Header=BB235_934 Depth=1
	s_or_b32 exec_lo, exec_lo, s17
	v_lshlrev_b32_e32 v9, 24, v11
	v_lshlrev_b32_e32 v5, 20, v5
	v_lshl_add_u32 v7, v7, 23, 0x3c000000
	v_and_b32_e32 v9, 0x80000000, v9
	v_or3_b32 v5, v5, v9, v7
	v_mov_b32_e32 v18, v6
	v_mov_b32_e32 v17, v5
.LBB235_1247:                           ;   in Loop: Header=BB235_934 Depth=1
	s_or_b32 exec_lo, exec_lo, s16
.LBB235_1248:                           ;   in Loop: Header=BB235_934 Depth=1
	s_or_b32 exec_lo, exec_lo, s15
.LBB235_1249:                           ;   in Loop: Header=BB235_934 Depth=1
	s_or_b32 exec_lo, exec_lo, s13
	v_cmp_ne_u16_sdwa s4, v11, v6 src0_sel:BYTE_1 src1_sel:DWORD
	s_and_saveexec_b32 s13, s4
	s_cbranch_execz .LBB235_1257
; %bb.1250:                             ;   in Loop: Header=BB235_934 Depth=1
	v_mov_b32_e32 v7, v6
	v_mov_b32_e32 v20, v8
	v_cmp_ne_u16_sdwa s4, v11, v82 src0_sel:BYTE_1 src1_sel:DWORD
	v_mov_b32_e32 v19, v7
	s_and_saveexec_b32 s15, s4
	s_cbranch_execz .LBB235_1256
; %bb.1251:                             ;   in Loop: Header=BB235_934 Depth=1
	v_mov_b32_e32 v5, 0xffff
	v_mov_b32_e32 v9, v6
	;; [unrolled: 1-line block ×3, first 2 shown]
	s_mov_b32 s16, exec_lo
	v_and_b32_sdwa v5, v5, v11 dst_sel:DWORD dst_unused:UNUSED_PAD src0_sel:DWORD src1_sel:BYTE_1
	v_mov_b32_e32 v19, v9
	v_and_b32_e32 v12, 0x7f, v5
	v_cmpx_ne_u32_e32 0x7f, v12
	s_cbranch_execz .LBB235_1255
; %bb.1252:                             ;   in Loop: Header=BB235_934 Depth=1
	v_and_b32_e32 v5, 7, v5
	v_lshrrev_b32_e32 v7, 3, v12
	s_mov_b32 s17, exec_lo
	v_cmpx_gt_u32_e32 8, v12
; %bb.1253:                             ;   in Loop: Header=BB235_934 Depth=1
	v_ffbh_u32_e32 v7, v5
	v_min_u32_e32 v7, 32, v7
	v_subrev_nc_u32_e32 v9, 28, v7
	v_sub_nc_u32_e32 v7, 29, v7
	v_lshlrev_b64 v[19:20], v9, v[5:6]
	v_and_b32_e32 v5, 7, v19
; %bb.1254:                             ;   in Loop: Header=BB235_934 Depth=1
	s_or_b32 exec_lo, exec_lo, s17
	v_lshlrev_b32_e32 v9, 16, v11
	v_lshlrev_b32_e32 v5, 20, v5
	v_lshl_add_u32 v7, v7, 23, 0x3c000000
	v_mov_b32_e32 v19, v6
	v_and_b32_e32 v9, 0x80000000, v9
	v_or3_b32 v20, v5, v9, v7
.LBB235_1255:                           ;   in Loop: Header=BB235_934 Depth=1
	s_or_b32 exec_lo, exec_lo, s16
.LBB235_1256:                           ;   in Loop: Header=BB235_934 Depth=1
	s_or_b32 exec_lo, exec_lo, s15
.LBB235_1257:                           ;   in Loop: Header=BB235_934 Depth=1
	s_or_b32 exec_lo, exec_lo, s13
	v_mov_b32_e32 v23, 0
	v_mov_b32_e32 v21, 0
	v_and_b32_sdwa v5, v11, v84 dst_sel:DWORD dst_unused:UNUSED_PAD src0_sel:WORD_1 src1_sel:DWORD
	v_mov_b32_e32 v24, 0
	v_mov_b32_e32 v22, 0
	s_mov_b32 s13, exec_lo
	v_cmpx_ne_u16_e32 0, v5
	s_cbranch_execz .LBB235_1265
; %bb.1258:                             ;   in Loop: Header=BB235_934 Depth=1
	v_bfrev_b32_e32 v21, 1
	v_mov_b32_e32 v22, 0
	s_mov_b32 s15, exec_lo
	v_cmpx_ne_u16_e32 0x80, v5
	s_cbranch_execz .LBB235_1264
; %bb.1259:                             ;   in Loop: Header=BB235_934 Depth=1
	v_mov_b32_e32 v21, 0x7f800001
	v_bfe_u32 v9, v11, 16, 7
	v_mov_b32_e32 v22, 0
	s_mov_b32 s16, exec_lo
	v_cmpx_ne_u32_e32 0x7f, v9
	s_cbranch_execz .LBB235_1263
; %bb.1260:                             ;   in Loop: Header=BB235_934 Depth=1
	v_mov_b32_e32 v5, 7
	v_lshrrev_b32_e32 v7, 3, v9
	s_mov_b32 s17, exec_lo
	v_and_b32_sdwa v5, v11, v5 dst_sel:DWORD dst_unused:UNUSED_PAD src0_sel:WORD_1 src1_sel:DWORD
	v_cmpx_gt_u32_e32 8, v9
; %bb.1261:                             ;   in Loop: Header=BB235_934 Depth=1
	v_ffbh_u32_e32 v7, v5
	v_min_u32_e32 v7, 32, v7
	v_subrev_nc_u32_e32 v9, 28, v7
	v_sub_nc_u32_e32 v7, 29, v7
	v_lshlrev_b64 v[21:22], v9, v[5:6]
	v_and_b32_e32 v5, 7, v21
; %bb.1262:                             ;   in Loop: Header=BB235_934 Depth=1
	s_or_b32 exec_lo, exec_lo, s17
	v_mov_b32_e32 v9, 24
	v_lshlrev_b32_e32 v5, 20, v5
	v_lshl_add_u32 v7, v7, 23, 0x3c000000
	v_lshlrev_b32_sdwa v9, v9, v11 dst_sel:DWORD dst_unused:UNUSED_PAD src0_sel:DWORD src1_sel:WORD_1
	v_and_b32_e32 v9, 0x80000000, v9
	v_or3_b32 v5, v5, v9, v7
	v_mov_b32_e32 v22, v6
	v_mov_b32_e32 v21, v5
.LBB235_1263:                           ;   in Loop: Header=BB235_934 Depth=1
	s_or_b32 exec_lo, exec_lo, s16
.LBB235_1264:                           ;   in Loop: Header=BB235_934 Depth=1
	s_or_b32 exec_lo, exec_lo, s15
.LBB235_1265:                           ;   in Loop: Header=BB235_934 Depth=1
	s_or_b32 exec_lo, exec_lo, s13
	s_mov_b32 s13, exec_lo
	v_cmpx_lt_u32_e32 0xffffff, v11
	s_cbranch_execz .LBB235_1273
; %bb.1266:                             ;   in Loop: Header=BB235_934 Depth=1
	v_mov_b32_e32 v7, v6
	v_mov_b32_e32 v24, v8
	v_cmp_ne_u32_sdwa s4, v11, v82 src0_sel:BYTE_3 src1_sel:DWORD
	v_mov_b32_e32 v23, v7
	s_and_saveexec_b32 s15, s4
	s_cbranch_execz .LBB235_1272
; %bb.1267:                             ;   in Loop: Header=BB235_934 Depth=1
	v_mov_b32_e32 v9, v6
	v_mov_b32_e32 v24, v10
	v_bfe_u32 v12, v11, 24, 7
	s_mov_b32 s16, exec_lo
	v_mov_b32_e32 v23, v9
	v_cmpx_ne_u32_e32 0x7f, v12
	s_cbranch_execz .LBB235_1271
; %bb.1268:                             ;   in Loop: Header=BB235_934 Depth=1
	v_mov_b32_e32 v5, 7
	v_lshrrev_b32_e32 v7, 3, v12
	s_mov_b32 s17, exec_lo
	v_and_b32_sdwa v5, v11, v5 dst_sel:DWORD dst_unused:UNUSED_PAD src0_sel:BYTE_3 src1_sel:DWORD
	v_cmpx_gt_u32_e32 8, v12
; %bb.1269:                             ;   in Loop: Header=BB235_934 Depth=1
	v_ffbh_u32_e32 v7, v5
	v_min_u32_e32 v7, 32, v7
	v_subrev_nc_u32_e32 v9, 28, v7
	v_sub_nc_u32_e32 v7, 29, v7
	v_lshlrev_b64 v[23:24], v9, v[5:6]
	v_and_b32_e32 v5, 7, v23
; %bb.1270:                             ;   in Loop: Header=BB235_934 Depth=1
	s_or_b32 exec_lo, exec_lo, s17
	v_mov_b32_e32 v9, 24
	v_lshlrev_b32_e32 v5, 20, v5
	v_lshl_add_u32 v7, v7, 23, 0x3c000000
	v_mov_b32_e32 v23, v6
	v_lshlrev_b32_sdwa v9, v9, v11 dst_sel:DWORD dst_unused:UNUSED_PAD src0_sel:DWORD src1_sel:BYTE_3
	v_and_b32_e32 v9, 0x80000000, v9
	v_or3_b32 v24, v5, v9, v7
.LBB235_1271:                           ;   in Loop: Header=BB235_934 Depth=1
	s_or_b32 exec_lo, exec_lo, s16
.LBB235_1272:                           ;   in Loop: Header=BB235_934 Depth=1
	s_or_b32 exec_lo, exec_lo, s15
.LBB235_1273:                           ;   in Loop: Header=BB235_934 Depth=1
	s_or_b32 exec_lo, exec_lo, s13
	v_or_b32_e32 v5, v20, v18
	v_or_b32_e32 v7, v19, v17
	;; [unrolled: 1-line block ×4, first 2 shown]
	v_mul_f32_e32 v94, v98, v5
	v_mul_f32_e32 v93, v98, v7
	;; [unrolled: 1-line block ×4, first 2 shown]
	s_and_saveexec_b32 s13, vcc_lo
	s_cbranch_execz .LBB235_1275
; %bb.1274:                             ;   in Loop: Header=BB235_934 Depth=1
	v_cmp_lt_i32_e64 s4, v103, v122
	v_cndmask_b32_e64 v93, 0, v93, s4
	v_cmp_lt_i32_e64 s4, v114, v122
	v_cndmask_b32_e64 v94, 0, v94, s4
	v_cmp_lt_i32_e64 s4, v113, v122
	v_cndmask_b32_e64 v92, 0, v92, s4
	v_cmp_lt_i32_e64 s4, v112, v122
	v_cndmask_b32_e64 v91, 0, v91, s4
.LBB235_1275:                           ;   in Loop: Header=BB235_934 Depth=1
	s_or_b32 exec_lo, exec_lo, s13
	flat_load_dword v11, v[15:16] offset:1280
	v_mov_b32_e32 v19, 0
	v_mov_b32_e32 v17, 0
	;; [unrolled: 1-line block ×4, first 2 shown]
	s_waitcnt vmcnt(0) lgkmcnt(0)
	v_cmp_ne_u16_sdwa s4, v11, v6 src0_sel:BYTE_0 src1_sel:DWORD
	s_and_saveexec_b32 s13, s4
	s_cbranch_execz .LBB235_1283
; %bb.1276:                             ;   in Loop: Header=BB235_934 Depth=1
	v_bfrev_b32_e32 v17, 1
	v_mov_b32_e32 v18, 0
	v_cmp_ne_u16_sdwa s4, v11, v82 src0_sel:BYTE_0 src1_sel:DWORD
	s_and_saveexec_b32 s15, s4
	s_cbranch_execz .LBB235_1282
; %bb.1277:                             ;   in Loop: Header=BB235_934 Depth=1
	v_mov_b32_e32 v17, 0x7f800001
	v_and_b32_e32 v9, 0x7f, v11
	v_mov_b32_e32 v18, 0
	s_mov_b32 s16, exec_lo
	v_cmpx_ne_u32_e32 0x7f, v9
	s_cbranch_execz .LBB235_1281
; %bb.1278:                             ;   in Loop: Header=BB235_934 Depth=1
	v_and_b32_e32 v5, 7, v11
	v_lshrrev_b32_e32 v7, 3, v9
	s_mov_b32 s17, exec_lo
	v_cmpx_gt_u32_e32 8, v9
; %bb.1279:                             ;   in Loop: Header=BB235_934 Depth=1
	v_ffbh_u32_e32 v7, v5
	v_min_u32_e32 v7, 32, v7
	v_subrev_nc_u32_e32 v9, 28, v7
	v_sub_nc_u32_e32 v7, 29, v7
	v_lshlrev_b64 v[17:18], v9, v[5:6]
	v_and_b32_e32 v5, 7, v17
; %bb.1280:                             ;   in Loop: Header=BB235_934 Depth=1
	s_or_b32 exec_lo, exec_lo, s17
	v_lshlrev_b32_e32 v9, 24, v11
	v_lshlrev_b32_e32 v5, 20, v5
	v_lshl_add_u32 v7, v7, 23, 0x3c000000
	v_and_b32_e32 v9, 0x80000000, v9
	v_or3_b32 v5, v5, v9, v7
	v_mov_b32_e32 v18, v6
	v_mov_b32_e32 v17, v5
.LBB235_1281:                           ;   in Loop: Header=BB235_934 Depth=1
	s_or_b32 exec_lo, exec_lo, s16
.LBB235_1282:                           ;   in Loop: Header=BB235_934 Depth=1
	s_or_b32 exec_lo, exec_lo, s15
.LBB235_1283:                           ;   in Loop: Header=BB235_934 Depth=1
	s_or_b32 exec_lo, exec_lo, s13
	v_cmp_ne_u16_sdwa s4, v11, v6 src0_sel:BYTE_1 src1_sel:DWORD
	s_and_saveexec_b32 s13, s4
	s_cbranch_execz .LBB235_1291
; %bb.1284:                             ;   in Loop: Header=BB235_934 Depth=1
	v_mov_b32_e32 v7, v6
	v_mov_b32_e32 v20, v8
	v_cmp_ne_u16_sdwa s4, v11, v82 src0_sel:BYTE_1 src1_sel:DWORD
	v_mov_b32_e32 v19, v7
	s_and_saveexec_b32 s15, s4
	s_cbranch_execz .LBB235_1290
; %bb.1285:                             ;   in Loop: Header=BB235_934 Depth=1
	v_mov_b32_e32 v5, 0xffff
	v_mov_b32_e32 v9, v6
	;; [unrolled: 1-line block ×3, first 2 shown]
	s_mov_b32 s16, exec_lo
	v_and_b32_sdwa v5, v5, v11 dst_sel:DWORD dst_unused:UNUSED_PAD src0_sel:DWORD src1_sel:BYTE_1
	v_mov_b32_e32 v19, v9
	v_and_b32_e32 v12, 0x7f, v5
	v_cmpx_ne_u32_e32 0x7f, v12
	s_cbranch_execz .LBB235_1289
; %bb.1286:                             ;   in Loop: Header=BB235_934 Depth=1
	v_and_b32_e32 v5, 7, v5
	v_lshrrev_b32_e32 v7, 3, v12
	s_mov_b32 s17, exec_lo
	v_cmpx_gt_u32_e32 8, v12
; %bb.1287:                             ;   in Loop: Header=BB235_934 Depth=1
	v_ffbh_u32_e32 v7, v5
	v_min_u32_e32 v7, 32, v7
	v_subrev_nc_u32_e32 v9, 28, v7
	v_sub_nc_u32_e32 v7, 29, v7
	v_lshlrev_b64 v[19:20], v9, v[5:6]
	v_and_b32_e32 v5, 7, v19
; %bb.1288:                             ;   in Loop: Header=BB235_934 Depth=1
	s_or_b32 exec_lo, exec_lo, s17
	v_lshlrev_b32_e32 v9, 16, v11
	v_lshlrev_b32_e32 v5, 20, v5
	v_lshl_add_u32 v7, v7, 23, 0x3c000000
	v_mov_b32_e32 v19, v6
	v_and_b32_e32 v9, 0x80000000, v9
	v_or3_b32 v20, v5, v9, v7
.LBB235_1289:                           ;   in Loop: Header=BB235_934 Depth=1
	s_or_b32 exec_lo, exec_lo, s16
.LBB235_1290:                           ;   in Loop: Header=BB235_934 Depth=1
	s_or_b32 exec_lo, exec_lo, s15
.LBB235_1291:                           ;   in Loop: Header=BB235_934 Depth=1
	s_or_b32 exec_lo, exec_lo, s13
	v_mov_b32_e32 v23, 0
	v_mov_b32_e32 v21, 0
	v_and_b32_sdwa v5, v11, v84 dst_sel:DWORD dst_unused:UNUSED_PAD src0_sel:WORD_1 src1_sel:DWORD
	v_mov_b32_e32 v24, 0
	v_mov_b32_e32 v22, 0
	s_mov_b32 s13, exec_lo
	v_cmpx_ne_u16_e32 0, v5
	s_cbranch_execz .LBB235_1299
; %bb.1292:                             ;   in Loop: Header=BB235_934 Depth=1
	v_bfrev_b32_e32 v21, 1
	v_mov_b32_e32 v22, 0
	s_mov_b32 s15, exec_lo
	v_cmpx_ne_u16_e32 0x80, v5
	s_cbranch_execz .LBB235_1298
; %bb.1293:                             ;   in Loop: Header=BB235_934 Depth=1
	v_mov_b32_e32 v21, 0x7f800001
	v_bfe_u32 v9, v11, 16, 7
	v_mov_b32_e32 v22, 0
	s_mov_b32 s16, exec_lo
	v_cmpx_ne_u32_e32 0x7f, v9
	s_cbranch_execz .LBB235_1297
; %bb.1294:                             ;   in Loop: Header=BB235_934 Depth=1
	v_mov_b32_e32 v5, 7
	v_lshrrev_b32_e32 v7, 3, v9
	s_mov_b32 s17, exec_lo
	v_and_b32_sdwa v5, v11, v5 dst_sel:DWORD dst_unused:UNUSED_PAD src0_sel:WORD_1 src1_sel:DWORD
	v_cmpx_gt_u32_e32 8, v9
; %bb.1295:                             ;   in Loop: Header=BB235_934 Depth=1
	v_ffbh_u32_e32 v7, v5
	v_min_u32_e32 v7, 32, v7
	v_subrev_nc_u32_e32 v9, 28, v7
	v_sub_nc_u32_e32 v7, 29, v7
	v_lshlrev_b64 v[21:22], v9, v[5:6]
	v_and_b32_e32 v5, 7, v21
; %bb.1296:                             ;   in Loop: Header=BB235_934 Depth=1
	s_or_b32 exec_lo, exec_lo, s17
	v_mov_b32_e32 v9, 24
	v_lshlrev_b32_e32 v5, 20, v5
	v_lshl_add_u32 v7, v7, 23, 0x3c000000
	v_lshlrev_b32_sdwa v9, v9, v11 dst_sel:DWORD dst_unused:UNUSED_PAD src0_sel:DWORD src1_sel:WORD_1
	v_and_b32_e32 v9, 0x80000000, v9
	v_or3_b32 v5, v5, v9, v7
	v_mov_b32_e32 v22, v6
	v_mov_b32_e32 v21, v5
.LBB235_1297:                           ;   in Loop: Header=BB235_934 Depth=1
	s_or_b32 exec_lo, exec_lo, s16
.LBB235_1298:                           ;   in Loop: Header=BB235_934 Depth=1
	s_or_b32 exec_lo, exec_lo, s15
.LBB235_1299:                           ;   in Loop: Header=BB235_934 Depth=1
	s_or_b32 exec_lo, exec_lo, s13
	s_mov_b32 s13, exec_lo
	v_cmpx_lt_u32_e32 0xffffff, v11
	s_cbranch_execz .LBB235_1307
; %bb.1300:                             ;   in Loop: Header=BB235_934 Depth=1
	v_mov_b32_e32 v7, v6
	v_mov_b32_e32 v24, v8
	v_cmp_ne_u32_sdwa s4, v11, v82 src0_sel:BYTE_3 src1_sel:DWORD
	v_mov_b32_e32 v23, v7
	s_and_saveexec_b32 s15, s4
	s_cbranch_execz .LBB235_1306
; %bb.1301:                             ;   in Loop: Header=BB235_934 Depth=1
	v_mov_b32_e32 v9, v6
	v_mov_b32_e32 v24, v10
	v_bfe_u32 v12, v11, 24, 7
	s_mov_b32 s16, exec_lo
	v_mov_b32_e32 v23, v9
	v_cmpx_ne_u32_e32 0x7f, v12
	s_cbranch_execz .LBB235_1305
; %bb.1302:                             ;   in Loop: Header=BB235_934 Depth=1
	v_mov_b32_e32 v5, 7
	v_lshrrev_b32_e32 v7, 3, v12
	s_mov_b32 s17, exec_lo
	v_and_b32_sdwa v5, v11, v5 dst_sel:DWORD dst_unused:UNUSED_PAD src0_sel:BYTE_3 src1_sel:DWORD
	v_cmpx_gt_u32_e32 8, v12
; %bb.1303:                             ;   in Loop: Header=BB235_934 Depth=1
	v_ffbh_u32_e32 v7, v5
	v_min_u32_e32 v7, 32, v7
	v_subrev_nc_u32_e32 v9, 28, v7
	v_sub_nc_u32_e32 v7, 29, v7
	v_lshlrev_b64 v[23:24], v9, v[5:6]
	v_and_b32_e32 v5, 7, v23
; %bb.1304:                             ;   in Loop: Header=BB235_934 Depth=1
	s_or_b32 exec_lo, exec_lo, s17
	v_mov_b32_e32 v9, 24
	v_lshlrev_b32_e32 v5, 20, v5
	v_lshl_add_u32 v7, v7, 23, 0x3c000000
	v_mov_b32_e32 v23, v6
	v_lshlrev_b32_sdwa v9, v9, v11 dst_sel:DWORD dst_unused:UNUSED_PAD src0_sel:DWORD src1_sel:BYTE_3
	v_and_b32_e32 v9, 0x80000000, v9
	v_or3_b32 v24, v5, v9, v7
.LBB235_1305:                           ;   in Loop: Header=BB235_934 Depth=1
	s_or_b32 exec_lo, exec_lo, s16
.LBB235_1306:                           ;   in Loop: Header=BB235_934 Depth=1
	s_or_b32 exec_lo, exec_lo, s15
.LBB235_1307:                           ;   in Loop: Header=BB235_934 Depth=1
	s_or_b32 exec_lo, exec_lo, s13
	v_or_b32_e32 v5, v20, v18
	v_or_b32_e32 v7, v19, v17
	;; [unrolled: 1-line block ×4, first 2 shown]
	v_mul_f32_e32 v106, v98, v5
	v_mul_f32_e32 v105, v98, v7
	;; [unrolled: 1-line block ×4, first 2 shown]
	s_and_saveexec_b32 s13, vcc_lo
	s_cbranch_execz .LBB235_1309
; %bb.1308:                             ;   in Loop: Header=BB235_934 Depth=1
	v_cmp_lt_i32_e64 s4, v103, v122
	v_cndmask_b32_e64 v105, 0, v105, s4
	v_cmp_lt_i32_e64 s4, v114, v122
	v_cndmask_b32_e64 v106, 0, v106, s4
	;; [unrolled: 2-line block ×4, first 2 shown]
.LBB235_1309:                           ;   in Loop: Header=BB235_934 Depth=1
	s_or_b32 exec_lo, exec_lo, s13
	flat_load_dword v11, v[15:16] offset:1408
	v_mov_b32_e32 v19, 0
	v_mov_b32_e32 v17, 0
	v_mov_b32_e32 v20, 0
	v_mov_b32_e32 v18, 0
	s_waitcnt vmcnt(0) lgkmcnt(0)
	v_cmp_ne_u16_sdwa s4, v11, v6 src0_sel:BYTE_0 src1_sel:DWORD
	s_and_saveexec_b32 s13, s4
	s_cbranch_execz .LBB235_1317
; %bb.1310:                             ;   in Loop: Header=BB235_934 Depth=1
	v_bfrev_b32_e32 v17, 1
	v_mov_b32_e32 v18, 0
	v_cmp_ne_u16_sdwa s4, v11, v82 src0_sel:BYTE_0 src1_sel:DWORD
	s_and_saveexec_b32 s15, s4
	s_cbranch_execz .LBB235_1316
; %bb.1311:                             ;   in Loop: Header=BB235_934 Depth=1
	v_mov_b32_e32 v17, 0x7f800001
	v_and_b32_e32 v9, 0x7f, v11
	v_mov_b32_e32 v18, 0
	s_mov_b32 s16, exec_lo
	v_cmpx_ne_u32_e32 0x7f, v9
	s_cbranch_execz .LBB235_1315
; %bb.1312:                             ;   in Loop: Header=BB235_934 Depth=1
	v_and_b32_e32 v5, 7, v11
	v_lshrrev_b32_e32 v7, 3, v9
	s_mov_b32 s17, exec_lo
	v_cmpx_gt_u32_e32 8, v9
; %bb.1313:                             ;   in Loop: Header=BB235_934 Depth=1
	v_ffbh_u32_e32 v7, v5
	v_min_u32_e32 v7, 32, v7
	v_subrev_nc_u32_e32 v9, 28, v7
	v_sub_nc_u32_e32 v7, 29, v7
	v_lshlrev_b64 v[17:18], v9, v[5:6]
	v_and_b32_e32 v5, 7, v17
; %bb.1314:                             ;   in Loop: Header=BB235_934 Depth=1
	s_or_b32 exec_lo, exec_lo, s17
	v_lshlrev_b32_e32 v9, 24, v11
	v_lshlrev_b32_e32 v5, 20, v5
	v_lshl_add_u32 v7, v7, 23, 0x3c000000
	v_and_b32_e32 v9, 0x80000000, v9
	v_or3_b32 v5, v5, v9, v7
	v_mov_b32_e32 v18, v6
	v_mov_b32_e32 v17, v5
.LBB235_1315:                           ;   in Loop: Header=BB235_934 Depth=1
	s_or_b32 exec_lo, exec_lo, s16
.LBB235_1316:                           ;   in Loop: Header=BB235_934 Depth=1
	s_or_b32 exec_lo, exec_lo, s15
.LBB235_1317:                           ;   in Loop: Header=BB235_934 Depth=1
	s_or_b32 exec_lo, exec_lo, s13
	v_cmp_ne_u16_sdwa s4, v11, v6 src0_sel:BYTE_1 src1_sel:DWORD
	s_and_saveexec_b32 s13, s4
	s_cbranch_execz .LBB235_1325
; %bb.1318:                             ;   in Loop: Header=BB235_934 Depth=1
	v_mov_b32_e32 v7, v6
	v_mov_b32_e32 v20, v8
	v_cmp_ne_u16_sdwa s4, v11, v82 src0_sel:BYTE_1 src1_sel:DWORD
	v_mov_b32_e32 v19, v7
	s_and_saveexec_b32 s15, s4
	s_cbranch_execz .LBB235_1324
; %bb.1319:                             ;   in Loop: Header=BB235_934 Depth=1
	v_mov_b32_e32 v5, 0xffff
	v_mov_b32_e32 v9, v6
	;; [unrolled: 1-line block ×3, first 2 shown]
	s_mov_b32 s16, exec_lo
	v_and_b32_sdwa v5, v5, v11 dst_sel:DWORD dst_unused:UNUSED_PAD src0_sel:DWORD src1_sel:BYTE_1
	v_mov_b32_e32 v19, v9
	v_and_b32_e32 v12, 0x7f, v5
	v_cmpx_ne_u32_e32 0x7f, v12
	s_cbranch_execz .LBB235_1323
; %bb.1320:                             ;   in Loop: Header=BB235_934 Depth=1
	v_and_b32_e32 v5, 7, v5
	v_lshrrev_b32_e32 v7, 3, v12
	s_mov_b32 s17, exec_lo
	v_cmpx_gt_u32_e32 8, v12
; %bb.1321:                             ;   in Loop: Header=BB235_934 Depth=1
	v_ffbh_u32_e32 v7, v5
	v_min_u32_e32 v7, 32, v7
	v_subrev_nc_u32_e32 v9, 28, v7
	v_sub_nc_u32_e32 v7, 29, v7
	v_lshlrev_b64 v[19:20], v9, v[5:6]
	v_and_b32_e32 v5, 7, v19
; %bb.1322:                             ;   in Loop: Header=BB235_934 Depth=1
	s_or_b32 exec_lo, exec_lo, s17
	v_lshlrev_b32_e32 v9, 16, v11
	v_lshlrev_b32_e32 v5, 20, v5
	v_lshl_add_u32 v7, v7, 23, 0x3c000000
	v_mov_b32_e32 v19, v6
	v_and_b32_e32 v9, 0x80000000, v9
	v_or3_b32 v20, v5, v9, v7
.LBB235_1323:                           ;   in Loop: Header=BB235_934 Depth=1
	s_or_b32 exec_lo, exec_lo, s16
.LBB235_1324:                           ;   in Loop: Header=BB235_934 Depth=1
	s_or_b32 exec_lo, exec_lo, s15
.LBB235_1325:                           ;   in Loop: Header=BB235_934 Depth=1
	s_or_b32 exec_lo, exec_lo, s13
	v_mov_b32_e32 v21, 0
	v_mov_b32_e32 v23, 0
	v_and_b32_sdwa v5, v11, v84 dst_sel:DWORD dst_unused:UNUSED_PAD src0_sel:WORD_1 src1_sel:DWORD
	v_mov_b32_e32 v22, 0
	v_mov_b32_e32 v24, 0
	s_mov_b32 s13, exec_lo
	v_cmpx_ne_u16_e32 0, v5
	s_cbranch_execz .LBB235_1333
; %bb.1326:                             ;   in Loop: Header=BB235_934 Depth=1
	v_bfrev_b32_e32 v23, 1
	v_mov_b32_e32 v24, 0
	s_mov_b32 s15, exec_lo
	v_cmpx_ne_u16_e32 0x80, v5
	s_cbranch_execz .LBB235_1332
; %bb.1327:                             ;   in Loop: Header=BB235_934 Depth=1
	v_mov_b32_e32 v23, 0x7f800001
	v_bfe_u32 v9, v11, 16, 7
	v_mov_b32_e32 v24, 0
	s_mov_b32 s16, exec_lo
	v_cmpx_ne_u32_e32 0x7f, v9
	s_cbranch_execz .LBB235_1331
; %bb.1328:                             ;   in Loop: Header=BB235_934 Depth=1
	v_mov_b32_e32 v5, 7
	v_lshrrev_b32_e32 v7, 3, v9
	s_mov_b32 s17, exec_lo
	v_and_b32_sdwa v5, v11, v5 dst_sel:DWORD dst_unused:UNUSED_PAD src0_sel:WORD_1 src1_sel:DWORD
	v_cmpx_gt_u32_e32 8, v9
; %bb.1329:                             ;   in Loop: Header=BB235_934 Depth=1
	v_ffbh_u32_e32 v7, v5
	v_min_u32_e32 v7, 32, v7
	v_subrev_nc_u32_e32 v9, 28, v7
	v_sub_nc_u32_e32 v7, 29, v7
	v_lshlrev_b64 v[23:24], v9, v[5:6]
	v_and_b32_e32 v5, 7, v23
; %bb.1330:                             ;   in Loop: Header=BB235_934 Depth=1
	s_or_b32 exec_lo, exec_lo, s17
	v_mov_b32_e32 v9, 24
	v_lshlrev_b32_e32 v5, 20, v5
	v_lshl_add_u32 v7, v7, 23, 0x3c000000
	v_lshlrev_b32_sdwa v9, v9, v11 dst_sel:DWORD dst_unused:UNUSED_PAD src0_sel:DWORD src1_sel:WORD_1
	v_and_b32_e32 v9, 0x80000000, v9
	v_or3_b32 v5, v5, v9, v7
	v_mov_b32_e32 v24, v6
	v_mov_b32_e32 v23, v5
.LBB235_1331:                           ;   in Loop: Header=BB235_934 Depth=1
	s_or_b32 exec_lo, exec_lo, s16
.LBB235_1332:                           ;   in Loop: Header=BB235_934 Depth=1
	s_or_b32 exec_lo, exec_lo, s15
.LBB235_1333:                           ;   in Loop: Header=BB235_934 Depth=1
	s_or_b32 exec_lo, exec_lo, s13
	s_mov_b32 s13, exec_lo
	v_cmpx_lt_u32_e32 0xffffff, v11
	s_cbranch_execz .LBB235_1341
; %bb.1334:                             ;   in Loop: Header=BB235_934 Depth=1
	v_mov_b32_e32 v7, v6
	v_mov_b32_e32 v22, v8
	v_cmp_ne_u32_sdwa s4, v11, v82 src0_sel:BYTE_3 src1_sel:DWORD
	v_mov_b32_e32 v21, v7
	s_and_saveexec_b32 s15, s4
	s_cbranch_execz .LBB235_1340
; %bb.1335:                             ;   in Loop: Header=BB235_934 Depth=1
	v_mov_b32_e32 v9, v6
	v_mov_b32_e32 v22, v10
	v_bfe_u32 v12, v11, 24, 7
	s_mov_b32 s16, exec_lo
	v_mov_b32_e32 v21, v9
	v_cmpx_ne_u32_e32 0x7f, v12
	s_cbranch_execz .LBB235_1339
; %bb.1336:                             ;   in Loop: Header=BB235_934 Depth=1
	v_mov_b32_e32 v5, 7
	v_lshrrev_b32_e32 v7, 3, v12
	s_mov_b32 s17, exec_lo
	v_and_b32_sdwa v5, v11, v5 dst_sel:DWORD dst_unused:UNUSED_PAD src0_sel:BYTE_3 src1_sel:DWORD
	v_cmpx_gt_u32_e32 8, v12
; %bb.1337:                             ;   in Loop: Header=BB235_934 Depth=1
	v_ffbh_u32_e32 v7, v5
	v_min_u32_e32 v7, 32, v7
	v_subrev_nc_u32_e32 v9, 28, v7
	v_sub_nc_u32_e32 v7, 29, v7
	v_lshlrev_b64 v[21:22], v9, v[5:6]
	v_and_b32_e32 v5, 7, v21
; %bb.1338:                             ;   in Loop: Header=BB235_934 Depth=1
	s_or_b32 exec_lo, exec_lo, s17
	v_mov_b32_e32 v9, 24
	v_lshlrev_b32_e32 v5, 20, v5
	v_lshl_add_u32 v7, v7, 23, 0x3c000000
	v_mov_b32_e32 v21, v6
	v_lshlrev_b32_sdwa v9, v9, v11 dst_sel:DWORD dst_unused:UNUSED_PAD src0_sel:DWORD src1_sel:BYTE_3
	v_and_b32_e32 v9, 0x80000000, v9
	v_or3_b32 v22, v5, v9, v7
.LBB235_1339:                           ;   in Loop: Header=BB235_934 Depth=1
	s_or_b32 exec_lo, exec_lo, s16
.LBB235_1340:                           ;   in Loop: Header=BB235_934 Depth=1
	s_or_b32 exec_lo, exec_lo, s15
.LBB235_1341:                           ;   in Loop: Header=BB235_934 Depth=1
	s_or_b32 exec_lo, exec_lo, s13
	v_or_b32_e32 v5, v20, v18
	v_or_b32_e32 v7, v19, v17
	v_or_b32_e32 v9, v21, v23
	v_or_b32_e32 v11, v22, v24
	v_mul_f32_e32 v110, v98, v5
	v_mul_f32_e32 v109, v98, v7
	v_mul_f32_e32 v108, v98, v9
	v_mul_f32_e32 v107, v98, v11
	s_and_saveexec_b32 s13, vcc_lo
	s_cbranch_execz .LBB235_1343
; %bb.1342:                             ;   in Loop: Header=BB235_934 Depth=1
	v_cmp_lt_i32_e64 s4, v103, v122
	v_cndmask_b32_e64 v109, 0, v109, s4
	v_cmp_lt_i32_e64 s4, v114, v122
	v_cndmask_b32_e64 v110, 0, v110, s4
	;; [unrolled: 2-line block ×4, first 2 shown]
.LBB235_1343:                           ;   in Loop: Header=BB235_934 Depth=1
	s_or_b32 exec_lo, exec_lo, s13
	flat_load_dword v11, v[15:16] offset:1536
	v_mov_b32_e32 v19, 0
	v_mov_b32_e32 v17, 0
	;; [unrolled: 1-line block ×4, first 2 shown]
	s_waitcnt vmcnt(0) lgkmcnt(0)
	v_cmp_ne_u16_sdwa s4, v11, v6 src0_sel:BYTE_0 src1_sel:DWORD
	s_and_saveexec_b32 s13, s4
	s_cbranch_execz .LBB235_1351
; %bb.1344:                             ;   in Loop: Header=BB235_934 Depth=1
	v_bfrev_b32_e32 v17, 1
	v_mov_b32_e32 v18, 0
	v_cmp_ne_u16_sdwa s4, v11, v82 src0_sel:BYTE_0 src1_sel:DWORD
	s_and_saveexec_b32 s15, s4
	s_cbranch_execz .LBB235_1350
; %bb.1345:                             ;   in Loop: Header=BB235_934 Depth=1
	v_mov_b32_e32 v17, 0x7f800001
	v_and_b32_e32 v9, 0x7f, v11
	v_mov_b32_e32 v18, 0
	s_mov_b32 s16, exec_lo
	v_cmpx_ne_u32_e32 0x7f, v9
	s_cbranch_execz .LBB235_1349
; %bb.1346:                             ;   in Loop: Header=BB235_934 Depth=1
	v_and_b32_e32 v5, 7, v11
	v_lshrrev_b32_e32 v7, 3, v9
	s_mov_b32 s17, exec_lo
	v_cmpx_gt_u32_e32 8, v9
; %bb.1347:                             ;   in Loop: Header=BB235_934 Depth=1
	v_ffbh_u32_e32 v7, v5
	v_min_u32_e32 v7, 32, v7
	v_subrev_nc_u32_e32 v9, 28, v7
	v_sub_nc_u32_e32 v7, 29, v7
	v_lshlrev_b64 v[17:18], v9, v[5:6]
	v_and_b32_e32 v5, 7, v17
; %bb.1348:                             ;   in Loop: Header=BB235_934 Depth=1
	s_or_b32 exec_lo, exec_lo, s17
	v_lshlrev_b32_e32 v9, 24, v11
	v_lshlrev_b32_e32 v5, 20, v5
	v_lshl_add_u32 v7, v7, 23, 0x3c000000
	v_and_b32_e32 v9, 0x80000000, v9
	v_or3_b32 v5, v5, v9, v7
	v_mov_b32_e32 v18, v6
	v_mov_b32_e32 v17, v5
.LBB235_1349:                           ;   in Loop: Header=BB235_934 Depth=1
	s_or_b32 exec_lo, exec_lo, s16
.LBB235_1350:                           ;   in Loop: Header=BB235_934 Depth=1
	s_or_b32 exec_lo, exec_lo, s15
.LBB235_1351:                           ;   in Loop: Header=BB235_934 Depth=1
	s_or_b32 exec_lo, exec_lo, s13
	v_cmp_ne_u16_sdwa s4, v11, v6 src0_sel:BYTE_1 src1_sel:DWORD
	s_and_saveexec_b32 s13, s4
	s_cbranch_execz .LBB235_1359
; %bb.1352:                             ;   in Loop: Header=BB235_934 Depth=1
	v_mov_b32_e32 v7, v6
	v_mov_b32_e32 v20, v8
	v_cmp_ne_u16_sdwa s4, v11, v82 src0_sel:BYTE_1 src1_sel:DWORD
	v_mov_b32_e32 v19, v7
	s_and_saveexec_b32 s15, s4
	s_cbranch_execz .LBB235_1358
; %bb.1353:                             ;   in Loop: Header=BB235_934 Depth=1
	v_mov_b32_e32 v5, 0xffff
	v_mov_b32_e32 v9, v6
	;; [unrolled: 1-line block ×3, first 2 shown]
	s_mov_b32 s16, exec_lo
	v_and_b32_sdwa v5, v5, v11 dst_sel:DWORD dst_unused:UNUSED_PAD src0_sel:DWORD src1_sel:BYTE_1
	v_mov_b32_e32 v19, v9
	v_and_b32_e32 v12, 0x7f, v5
	v_cmpx_ne_u32_e32 0x7f, v12
	s_cbranch_execz .LBB235_1357
; %bb.1354:                             ;   in Loop: Header=BB235_934 Depth=1
	v_and_b32_e32 v5, 7, v5
	v_lshrrev_b32_e32 v7, 3, v12
	s_mov_b32 s17, exec_lo
	v_cmpx_gt_u32_e32 8, v12
; %bb.1355:                             ;   in Loop: Header=BB235_934 Depth=1
	v_ffbh_u32_e32 v7, v5
	v_min_u32_e32 v7, 32, v7
	v_subrev_nc_u32_e32 v9, 28, v7
	v_sub_nc_u32_e32 v7, 29, v7
	v_lshlrev_b64 v[19:20], v9, v[5:6]
	v_and_b32_e32 v5, 7, v19
; %bb.1356:                             ;   in Loop: Header=BB235_934 Depth=1
	s_or_b32 exec_lo, exec_lo, s17
	v_lshlrev_b32_e32 v9, 16, v11
	v_lshlrev_b32_e32 v5, 20, v5
	v_lshl_add_u32 v7, v7, 23, 0x3c000000
	v_mov_b32_e32 v19, v6
	v_and_b32_e32 v9, 0x80000000, v9
	v_or3_b32 v20, v5, v9, v7
.LBB235_1357:                           ;   in Loop: Header=BB235_934 Depth=1
	s_or_b32 exec_lo, exec_lo, s16
.LBB235_1358:                           ;   in Loop: Header=BB235_934 Depth=1
	s_or_b32 exec_lo, exec_lo, s15
.LBB235_1359:                           ;   in Loop: Header=BB235_934 Depth=1
	s_or_b32 exec_lo, exec_lo, s13
	v_mov_b32_e32 v21, 0
	v_mov_b32_e32 v23, 0
	v_and_b32_sdwa v5, v11, v84 dst_sel:DWORD dst_unused:UNUSED_PAD src0_sel:WORD_1 src1_sel:DWORD
	v_mov_b32_e32 v22, 0
	v_mov_b32_e32 v24, 0
	s_mov_b32 s13, exec_lo
	v_cmpx_ne_u16_e32 0, v5
	s_cbranch_execz .LBB235_1367
; %bb.1360:                             ;   in Loop: Header=BB235_934 Depth=1
	v_bfrev_b32_e32 v23, 1
	v_mov_b32_e32 v24, 0
	s_mov_b32 s15, exec_lo
	v_cmpx_ne_u16_e32 0x80, v5
	s_cbranch_execz .LBB235_1366
; %bb.1361:                             ;   in Loop: Header=BB235_934 Depth=1
	v_mov_b32_e32 v23, 0x7f800001
	v_bfe_u32 v9, v11, 16, 7
	v_mov_b32_e32 v24, 0
	s_mov_b32 s16, exec_lo
	v_cmpx_ne_u32_e32 0x7f, v9
	s_cbranch_execz .LBB235_1365
; %bb.1362:                             ;   in Loop: Header=BB235_934 Depth=1
	v_mov_b32_e32 v5, 7
	v_lshrrev_b32_e32 v7, 3, v9
	s_mov_b32 s17, exec_lo
	v_and_b32_sdwa v5, v11, v5 dst_sel:DWORD dst_unused:UNUSED_PAD src0_sel:WORD_1 src1_sel:DWORD
	v_cmpx_gt_u32_e32 8, v9
; %bb.1363:                             ;   in Loop: Header=BB235_934 Depth=1
	v_ffbh_u32_e32 v7, v5
	v_min_u32_e32 v7, 32, v7
	v_subrev_nc_u32_e32 v9, 28, v7
	v_sub_nc_u32_e32 v7, 29, v7
	v_lshlrev_b64 v[23:24], v9, v[5:6]
	v_and_b32_e32 v5, 7, v23
; %bb.1364:                             ;   in Loop: Header=BB235_934 Depth=1
	s_or_b32 exec_lo, exec_lo, s17
	v_mov_b32_e32 v9, 24
	v_lshlrev_b32_e32 v5, 20, v5
	v_lshl_add_u32 v7, v7, 23, 0x3c000000
	v_lshlrev_b32_sdwa v9, v9, v11 dst_sel:DWORD dst_unused:UNUSED_PAD src0_sel:DWORD src1_sel:WORD_1
	v_and_b32_e32 v9, 0x80000000, v9
	v_or3_b32 v5, v5, v9, v7
	v_mov_b32_e32 v24, v6
	v_mov_b32_e32 v23, v5
.LBB235_1365:                           ;   in Loop: Header=BB235_934 Depth=1
	s_or_b32 exec_lo, exec_lo, s16
.LBB235_1366:                           ;   in Loop: Header=BB235_934 Depth=1
	s_or_b32 exec_lo, exec_lo, s15
.LBB235_1367:                           ;   in Loop: Header=BB235_934 Depth=1
	s_or_b32 exec_lo, exec_lo, s13
	s_mov_b32 s13, exec_lo
	v_cmpx_lt_u32_e32 0xffffff, v11
	s_cbranch_execz .LBB235_1375
; %bb.1368:                             ;   in Loop: Header=BB235_934 Depth=1
	v_mov_b32_e32 v7, v6
	v_mov_b32_e32 v22, v8
	v_cmp_ne_u32_sdwa s4, v11, v82 src0_sel:BYTE_3 src1_sel:DWORD
	v_mov_b32_e32 v21, v7
	s_and_saveexec_b32 s15, s4
	s_cbranch_execz .LBB235_1374
; %bb.1369:                             ;   in Loop: Header=BB235_934 Depth=1
	v_mov_b32_e32 v9, v6
	v_mov_b32_e32 v22, v10
	v_bfe_u32 v12, v11, 24, 7
	s_mov_b32 s16, exec_lo
	v_mov_b32_e32 v21, v9
	v_cmpx_ne_u32_e32 0x7f, v12
	s_cbranch_execz .LBB235_1373
; %bb.1370:                             ;   in Loop: Header=BB235_934 Depth=1
	v_mov_b32_e32 v5, 7
	v_lshrrev_b32_e32 v7, 3, v12
	s_mov_b32 s17, exec_lo
	v_and_b32_sdwa v5, v11, v5 dst_sel:DWORD dst_unused:UNUSED_PAD src0_sel:BYTE_3 src1_sel:DWORD
	v_cmpx_gt_u32_e32 8, v12
; %bb.1371:                             ;   in Loop: Header=BB235_934 Depth=1
	v_ffbh_u32_e32 v7, v5
	v_min_u32_e32 v7, 32, v7
	v_subrev_nc_u32_e32 v9, 28, v7
	v_sub_nc_u32_e32 v7, 29, v7
	v_lshlrev_b64 v[21:22], v9, v[5:6]
	v_and_b32_e32 v5, 7, v21
; %bb.1372:                             ;   in Loop: Header=BB235_934 Depth=1
	s_or_b32 exec_lo, exec_lo, s17
	v_mov_b32_e32 v9, 24
	v_lshlrev_b32_e32 v5, 20, v5
	v_lshl_add_u32 v7, v7, 23, 0x3c000000
	v_mov_b32_e32 v21, v6
	v_lshlrev_b32_sdwa v9, v9, v11 dst_sel:DWORD dst_unused:UNUSED_PAD src0_sel:DWORD src1_sel:BYTE_3
	v_and_b32_e32 v9, 0x80000000, v9
	v_or3_b32 v22, v5, v9, v7
.LBB235_1373:                           ;   in Loop: Header=BB235_934 Depth=1
	s_or_b32 exec_lo, exec_lo, s16
.LBB235_1374:                           ;   in Loop: Header=BB235_934 Depth=1
	s_or_b32 exec_lo, exec_lo, s15
.LBB235_1375:                           ;   in Loop: Header=BB235_934 Depth=1
	s_or_b32 exec_lo, exec_lo, s13
	v_or_b32_e32 v5, v20, v18
	v_or_b32_e32 v7, v19, v17
	;; [unrolled: 1-line block ×4, first 2 shown]
	v_mul_f32_e32 v124, v98, v5
	v_mul_f32_e32 v121, v98, v7
	;; [unrolled: 1-line block ×4, first 2 shown]
	s_and_saveexec_b32 s13, vcc_lo
	s_cbranch_execz .LBB235_1377
; %bb.1376:                             ;   in Loop: Header=BB235_934 Depth=1
	v_cmp_lt_i32_e64 s4, v103, v122
	v_cndmask_b32_e64 v121, 0, v121, s4
	v_cmp_lt_i32_e64 s4, v114, v122
	v_cndmask_b32_e64 v124, 0, v124, s4
	v_cmp_lt_i32_e64 s4, v113, v122
	v_cndmask_b32_e64 v120, 0, v120, s4
	v_cmp_lt_i32_e64 s4, v112, v122
	v_cndmask_b32_e64 v111, 0, v111, s4
.LBB235_1377:                           ;   in Loop: Header=BB235_934 Depth=1
	s_or_b32 exec_lo, exec_lo, s13
	flat_load_dword v11, v[15:16] offset:1664
	v_mov_b32_e32 v19, 0
	v_mov_b32_e32 v17, 0
	;; [unrolled: 1-line block ×4, first 2 shown]
	s_waitcnt vmcnt(0) lgkmcnt(0)
	v_cmp_ne_u16_sdwa s4, v11, v6 src0_sel:BYTE_0 src1_sel:DWORD
	s_and_saveexec_b32 s13, s4
	s_cbranch_execz .LBB235_1385
; %bb.1378:                             ;   in Loop: Header=BB235_934 Depth=1
	v_bfrev_b32_e32 v17, 1
	v_mov_b32_e32 v18, 0
	v_cmp_ne_u16_sdwa s4, v11, v82 src0_sel:BYTE_0 src1_sel:DWORD
	s_and_saveexec_b32 s15, s4
	s_cbranch_execz .LBB235_1384
; %bb.1379:                             ;   in Loop: Header=BB235_934 Depth=1
	v_mov_b32_e32 v17, 0x7f800001
	v_and_b32_e32 v9, 0x7f, v11
	v_mov_b32_e32 v18, 0
	s_mov_b32 s16, exec_lo
	v_cmpx_ne_u32_e32 0x7f, v9
	s_cbranch_execz .LBB235_1383
; %bb.1380:                             ;   in Loop: Header=BB235_934 Depth=1
	v_and_b32_e32 v5, 7, v11
	v_lshrrev_b32_e32 v7, 3, v9
	s_mov_b32 s17, exec_lo
	v_cmpx_gt_u32_e32 8, v9
; %bb.1381:                             ;   in Loop: Header=BB235_934 Depth=1
	v_ffbh_u32_e32 v7, v5
	v_min_u32_e32 v7, 32, v7
	v_subrev_nc_u32_e32 v9, 28, v7
	v_sub_nc_u32_e32 v7, 29, v7
	v_lshlrev_b64 v[17:18], v9, v[5:6]
	v_and_b32_e32 v5, 7, v17
; %bb.1382:                             ;   in Loop: Header=BB235_934 Depth=1
	s_or_b32 exec_lo, exec_lo, s17
	v_lshlrev_b32_e32 v9, 24, v11
	v_lshlrev_b32_e32 v5, 20, v5
	v_lshl_add_u32 v7, v7, 23, 0x3c000000
	v_and_b32_e32 v9, 0x80000000, v9
	v_or3_b32 v5, v5, v9, v7
	v_mov_b32_e32 v18, v6
	v_mov_b32_e32 v17, v5
.LBB235_1383:                           ;   in Loop: Header=BB235_934 Depth=1
	s_or_b32 exec_lo, exec_lo, s16
.LBB235_1384:                           ;   in Loop: Header=BB235_934 Depth=1
	s_or_b32 exec_lo, exec_lo, s15
.LBB235_1385:                           ;   in Loop: Header=BB235_934 Depth=1
	s_or_b32 exec_lo, exec_lo, s13
	v_cmp_ne_u16_sdwa s4, v11, v6 src0_sel:BYTE_1 src1_sel:DWORD
	s_and_saveexec_b32 s13, s4
	s_cbranch_execz .LBB235_1393
; %bb.1386:                             ;   in Loop: Header=BB235_934 Depth=1
	v_mov_b32_e32 v7, v6
	v_mov_b32_e32 v20, v8
	v_cmp_ne_u16_sdwa s4, v11, v82 src0_sel:BYTE_1 src1_sel:DWORD
	v_mov_b32_e32 v19, v7
	s_and_saveexec_b32 s15, s4
	s_cbranch_execz .LBB235_1392
; %bb.1387:                             ;   in Loop: Header=BB235_934 Depth=1
	v_mov_b32_e32 v5, 0xffff
	v_mov_b32_e32 v9, v6
	;; [unrolled: 1-line block ×3, first 2 shown]
	s_mov_b32 s16, exec_lo
	v_and_b32_sdwa v5, v5, v11 dst_sel:DWORD dst_unused:UNUSED_PAD src0_sel:DWORD src1_sel:BYTE_1
	v_mov_b32_e32 v19, v9
	v_and_b32_e32 v12, 0x7f, v5
	v_cmpx_ne_u32_e32 0x7f, v12
	s_cbranch_execz .LBB235_1391
; %bb.1388:                             ;   in Loop: Header=BB235_934 Depth=1
	v_and_b32_e32 v5, 7, v5
	v_lshrrev_b32_e32 v7, 3, v12
	s_mov_b32 s17, exec_lo
	v_cmpx_gt_u32_e32 8, v12
; %bb.1389:                             ;   in Loop: Header=BB235_934 Depth=1
	v_ffbh_u32_e32 v7, v5
	v_min_u32_e32 v7, 32, v7
	v_subrev_nc_u32_e32 v9, 28, v7
	v_sub_nc_u32_e32 v7, 29, v7
	v_lshlrev_b64 v[19:20], v9, v[5:6]
	v_and_b32_e32 v5, 7, v19
; %bb.1390:                             ;   in Loop: Header=BB235_934 Depth=1
	s_or_b32 exec_lo, exec_lo, s17
	v_lshlrev_b32_e32 v9, 16, v11
	v_lshlrev_b32_e32 v5, 20, v5
	v_lshl_add_u32 v7, v7, 23, 0x3c000000
	v_mov_b32_e32 v19, v6
	v_and_b32_e32 v9, 0x80000000, v9
	v_or3_b32 v20, v5, v9, v7
.LBB235_1391:                           ;   in Loop: Header=BB235_934 Depth=1
	s_or_b32 exec_lo, exec_lo, s16
.LBB235_1392:                           ;   in Loop: Header=BB235_934 Depth=1
	s_or_b32 exec_lo, exec_lo, s15
.LBB235_1393:                           ;   in Loop: Header=BB235_934 Depth=1
	s_or_b32 exec_lo, exec_lo, s13
	v_mov_b32_e32 v21, 0
	v_mov_b32_e32 v23, 0
	v_and_b32_sdwa v5, v11, v84 dst_sel:DWORD dst_unused:UNUSED_PAD src0_sel:WORD_1 src1_sel:DWORD
	v_mov_b32_e32 v22, 0
	v_mov_b32_e32 v24, 0
	s_mov_b32 s13, exec_lo
	v_cmpx_ne_u16_e32 0, v5
	s_cbranch_execz .LBB235_1401
; %bb.1394:                             ;   in Loop: Header=BB235_934 Depth=1
	v_bfrev_b32_e32 v23, 1
	v_mov_b32_e32 v24, 0
	s_mov_b32 s15, exec_lo
	v_cmpx_ne_u16_e32 0x80, v5
	s_cbranch_execz .LBB235_1400
; %bb.1395:                             ;   in Loop: Header=BB235_934 Depth=1
	v_mov_b32_e32 v23, 0x7f800001
	v_bfe_u32 v9, v11, 16, 7
	v_mov_b32_e32 v24, 0
	s_mov_b32 s16, exec_lo
	v_cmpx_ne_u32_e32 0x7f, v9
	s_cbranch_execz .LBB235_1399
; %bb.1396:                             ;   in Loop: Header=BB235_934 Depth=1
	v_mov_b32_e32 v5, 7
	v_lshrrev_b32_e32 v7, 3, v9
	s_mov_b32 s17, exec_lo
	v_and_b32_sdwa v5, v11, v5 dst_sel:DWORD dst_unused:UNUSED_PAD src0_sel:WORD_1 src1_sel:DWORD
	v_cmpx_gt_u32_e32 8, v9
; %bb.1397:                             ;   in Loop: Header=BB235_934 Depth=1
	v_ffbh_u32_e32 v7, v5
	v_min_u32_e32 v7, 32, v7
	v_subrev_nc_u32_e32 v9, 28, v7
	v_sub_nc_u32_e32 v7, 29, v7
	v_lshlrev_b64 v[23:24], v9, v[5:6]
	v_and_b32_e32 v5, 7, v23
; %bb.1398:                             ;   in Loop: Header=BB235_934 Depth=1
	s_or_b32 exec_lo, exec_lo, s17
	v_mov_b32_e32 v9, 24
	v_lshlrev_b32_e32 v5, 20, v5
	v_lshl_add_u32 v7, v7, 23, 0x3c000000
	v_lshlrev_b32_sdwa v9, v9, v11 dst_sel:DWORD dst_unused:UNUSED_PAD src0_sel:DWORD src1_sel:WORD_1
	v_and_b32_e32 v9, 0x80000000, v9
	v_or3_b32 v5, v5, v9, v7
	v_mov_b32_e32 v24, v6
	v_mov_b32_e32 v23, v5
.LBB235_1399:                           ;   in Loop: Header=BB235_934 Depth=1
	s_or_b32 exec_lo, exec_lo, s16
.LBB235_1400:                           ;   in Loop: Header=BB235_934 Depth=1
	s_or_b32 exec_lo, exec_lo, s15
.LBB235_1401:                           ;   in Loop: Header=BB235_934 Depth=1
	s_or_b32 exec_lo, exec_lo, s13
	s_mov_b32 s13, exec_lo
	v_cmpx_lt_u32_e32 0xffffff, v11
	s_cbranch_execz .LBB235_1409
; %bb.1402:                             ;   in Loop: Header=BB235_934 Depth=1
	v_mov_b32_e32 v7, v6
	v_mov_b32_e32 v22, v8
	v_cmp_ne_u32_sdwa s4, v11, v82 src0_sel:BYTE_3 src1_sel:DWORD
	v_mov_b32_e32 v21, v7
	s_and_saveexec_b32 s15, s4
	s_cbranch_execz .LBB235_1408
; %bb.1403:                             ;   in Loop: Header=BB235_934 Depth=1
	v_mov_b32_e32 v9, v6
	v_mov_b32_e32 v22, v10
	v_bfe_u32 v12, v11, 24, 7
	s_mov_b32 s16, exec_lo
	v_mov_b32_e32 v21, v9
	v_cmpx_ne_u32_e32 0x7f, v12
	s_cbranch_execz .LBB235_1407
; %bb.1404:                             ;   in Loop: Header=BB235_934 Depth=1
	v_mov_b32_e32 v5, 7
	v_lshrrev_b32_e32 v7, 3, v12
	s_mov_b32 s17, exec_lo
	v_and_b32_sdwa v5, v11, v5 dst_sel:DWORD dst_unused:UNUSED_PAD src0_sel:BYTE_3 src1_sel:DWORD
	v_cmpx_gt_u32_e32 8, v12
; %bb.1405:                             ;   in Loop: Header=BB235_934 Depth=1
	v_ffbh_u32_e32 v7, v5
	v_min_u32_e32 v7, 32, v7
	v_subrev_nc_u32_e32 v9, 28, v7
	v_sub_nc_u32_e32 v7, 29, v7
	v_lshlrev_b64 v[21:22], v9, v[5:6]
	v_and_b32_e32 v5, 7, v21
; %bb.1406:                             ;   in Loop: Header=BB235_934 Depth=1
	s_or_b32 exec_lo, exec_lo, s17
	v_mov_b32_e32 v9, 24
	v_lshlrev_b32_e32 v5, 20, v5
	v_lshl_add_u32 v7, v7, 23, 0x3c000000
	v_mov_b32_e32 v21, v6
	v_lshlrev_b32_sdwa v9, v9, v11 dst_sel:DWORD dst_unused:UNUSED_PAD src0_sel:DWORD src1_sel:BYTE_3
	v_and_b32_e32 v9, 0x80000000, v9
	v_or3_b32 v22, v5, v9, v7
.LBB235_1407:                           ;   in Loop: Header=BB235_934 Depth=1
	s_or_b32 exec_lo, exec_lo, s16
.LBB235_1408:                           ;   in Loop: Header=BB235_934 Depth=1
	s_or_b32 exec_lo, exec_lo, s15
.LBB235_1409:                           ;   in Loop: Header=BB235_934 Depth=1
	s_or_b32 exec_lo, exec_lo, s13
	v_or_b32_e32 v5, v20, v18
	v_or_b32_e32 v7, v19, v17
	v_or_b32_e32 v9, v21, v23
	v_or_b32_e32 v11, v22, v24
	v_mul_f32_e32 v27, v98, v5
	v_mul_f32_e32 v127, v98, v7
	;; [unrolled: 1-line block ×4, first 2 shown]
	s_and_saveexec_b32 s13, vcc_lo
	s_cbranch_execz .LBB235_1411
; %bb.1410:                             ;   in Loop: Header=BB235_934 Depth=1
	v_cmp_lt_i32_e64 s4, v103, v122
	v_cndmask_b32_e64 v127, 0, v127, s4
	v_cmp_lt_i32_e64 s4, v114, v122
	v_cndmask_b32_e64 v27, 0, v27, s4
	;; [unrolled: 2-line block ×4, first 2 shown]
.LBB235_1411:                           ;   in Loop: Header=BB235_934 Depth=1
	s_or_b32 exec_lo, exec_lo, s13
	flat_load_dword v11, v[15:16] offset:1792
	v_mov_b32_e32 v19, 0
	v_mov_b32_e32 v17, 0
	;; [unrolled: 1-line block ×4, first 2 shown]
	s_waitcnt vmcnt(0) lgkmcnt(0)
	v_cmp_ne_u16_sdwa s4, v11, v6 src0_sel:BYTE_0 src1_sel:DWORD
	s_and_saveexec_b32 s13, s4
	s_cbranch_execz .LBB235_1419
; %bb.1412:                             ;   in Loop: Header=BB235_934 Depth=1
	v_bfrev_b32_e32 v17, 1
	v_mov_b32_e32 v18, 0
	v_cmp_ne_u16_sdwa s4, v11, v82 src0_sel:BYTE_0 src1_sel:DWORD
	s_and_saveexec_b32 s15, s4
	s_cbranch_execz .LBB235_1418
; %bb.1413:                             ;   in Loop: Header=BB235_934 Depth=1
	v_mov_b32_e32 v17, 0x7f800001
	v_and_b32_e32 v9, 0x7f, v11
	v_mov_b32_e32 v18, 0
	s_mov_b32 s16, exec_lo
	v_cmpx_ne_u32_e32 0x7f, v9
	s_cbranch_execz .LBB235_1417
; %bb.1414:                             ;   in Loop: Header=BB235_934 Depth=1
	v_and_b32_e32 v5, 7, v11
	v_lshrrev_b32_e32 v7, 3, v9
	s_mov_b32 s17, exec_lo
	v_cmpx_gt_u32_e32 8, v9
; %bb.1415:                             ;   in Loop: Header=BB235_934 Depth=1
	v_ffbh_u32_e32 v7, v5
	v_min_u32_e32 v7, 32, v7
	v_subrev_nc_u32_e32 v9, 28, v7
	v_sub_nc_u32_e32 v7, 29, v7
	v_lshlrev_b64 v[17:18], v9, v[5:6]
	v_and_b32_e32 v5, 7, v17
; %bb.1416:                             ;   in Loop: Header=BB235_934 Depth=1
	s_or_b32 exec_lo, exec_lo, s17
	v_lshlrev_b32_e32 v9, 24, v11
	v_lshlrev_b32_e32 v5, 20, v5
	v_lshl_add_u32 v7, v7, 23, 0x3c000000
	v_and_b32_e32 v9, 0x80000000, v9
	v_or3_b32 v5, v5, v9, v7
	v_mov_b32_e32 v18, v6
	v_mov_b32_e32 v17, v5
.LBB235_1417:                           ;   in Loop: Header=BB235_934 Depth=1
	s_or_b32 exec_lo, exec_lo, s16
.LBB235_1418:                           ;   in Loop: Header=BB235_934 Depth=1
	s_or_b32 exec_lo, exec_lo, s15
.LBB235_1419:                           ;   in Loop: Header=BB235_934 Depth=1
	s_or_b32 exec_lo, exec_lo, s13
	v_cmp_ne_u16_sdwa s4, v11, v6 src0_sel:BYTE_1 src1_sel:DWORD
	s_and_saveexec_b32 s13, s4
	s_cbranch_execz .LBB235_1427
; %bb.1420:                             ;   in Loop: Header=BB235_934 Depth=1
	v_mov_b32_e32 v7, v6
	v_mov_b32_e32 v20, v8
	v_cmp_ne_u16_sdwa s4, v11, v82 src0_sel:BYTE_1 src1_sel:DWORD
	v_mov_b32_e32 v19, v7
	s_and_saveexec_b32 s15, s4
	s_cbranch_execz .LBB235_1426
; %bb.1421:                             ;   in Loop: Header=BB235_934 Depth=1
	v_mov_b32_e32 v5, 0xffff
	v_mov_b32_e32 v9, v6
	;; [unrolled: 1-line block ×3, first 2 shown]
	s_mov_b32 s16, exec_lo
	v_and_b32_sdwa v5, v5, v11 dst_sel:DWORD dst_unused:UNUSED_PAD src0_sel:DWORD src1_sel:BYTE_1
	v_mov_b32_e32 v19, v9
	v_and_b32_e32 v12, 0x7f, v5
	v_cmpx_ne_u32_e32 0x7f, v12
	s_cbranch_execz .LBB235_1425
; %bb.1422:                             ;   in Loop: Header=BB235_934 Depth=1
	v_and_b32_e32 v5, 7, v5
	v_lshrrev_b32_e32 v7, 3, v12
	s_mov_b32 s17, exec_lo
	v_cmpx_gt_u32_e32 8, v12
; %bb.1423:                             ;   in Loop: Header=BB235_934 Depth=1
	v_ffbh_u32_e32 v7, v5
	v_min_u32_e32 v7, 32, v7
	v_subrev_nc_u32_e32 v9, 28, v7
	v_sub_nc_u32_e32 v7, 29, v7
	v_lshlrev_b64 v[19:20], v9, v[5:6]
	v_and_b32_e32 v5, 7, v19
; %bb.1424:                             ;   in Loop: Header=BB235_934 Depth=1
	s_or_b32 exec_lo, exec_lo, s17
	v_lshlrev_b32_e32 v9, 16, v11
	v_lshlrev_b32_e32 v5, 20, v5
	v_lshl_add_u32 v7, v7, 23, 0x3c000000
	v_mov_b32_e32 v19, v6
	v_and_b32_e32 v9, 0x80000000, v9
	v_or3_b32 v20, v5, v9, v7
.LBB235_1425:                           ;   in Loop: Header=BB235_934 Depth=1
	s_or_b32 exec_lo, exec_lo, s16
.LBB235_1426:                           ;   in Loop: Header=BB235_934 Depth=1
	s_or_b32 exec_lo, exec_lo, s15
.LBB235_1427:                           ;   in Loop: Header=BB235_934 Depth=1
	s_or_b32 exec_lo, exec_lo, s13
	v_mov_b32_e32 v21, 0
	v_mov_b32_e32 v23, 0
	v_and_b32_sdwa v5, v11, v84 dst_sel:DWORD dst_unused:UNUSED_PAD src0_sel:WORD_1 src1_sel:DWORD
	v_mov_b32_e32 v22, 0
	v_mov_b32_e32 v24, 0
	s_mov_b32 s13, exec_lo
	v_cmpx_ne_u16_e32 0, v5
	s_cbranch_execz .LBB235_1435
; %bb.1428:                             ;   in Loop: Header=BB235_934 Depth=1
	v_bfrev_b32_e32 v23, 1
	v_mov_b32_e32 v24, 0
	s_mov_b32 s15, exec_lo
	v_cmpx_ne_u16_e32 0x80, v5
	s_cbranch_execz .LBB235_1434
; %bb.1429:                             ;   in Loop: Header=BB235_934 Depth=1
	v_mov_b32_e32 v23, 0x7f800001
	v_bfe_u32 v9, v11, 16, 7
	v_mov_b32_e32 v24, 0
	s_mov_b32 s16, exec_lo
	v_cmpx_ne_u32_e32 0x7f, v9
	s_cbranch_execz .LBB235_1433
; %bb.1430:                             ;   in Loop: Header=BB235_934 Depth=1
	v_mov_b32_e32 v5, 7
	v_lshrrev_b32_e32 v7, 3, v9
	s_mov_b32 s17, exec_lo
	v_and_b32_sdwa v5, v11, v5 dst_sel:DWORD dst_unused:UNUSED_PAD src0_sel:WORD_1 src1_sel:DWORD
	v_cmpx_gt_u32_e32 8, v9
; %bb.1431:                             ;   in Loop: Header=BB235_934 Depth=1
	v_ffbh_u32_e32 v7, v5
	v_min_u32_e32 v7, 32, v7
	v_subrev_nc_u32_e32 v9, 28, v7
	v_sub_nc_u32_e32 v7, 29, v7
	v_lshlrev_b64 v[23:24], v9, v[5:6]
	v_and_b32_e32 v5, 7, v23
; %bb.1432:                             ;   in Loop: Header=BB235_934 Depth=1
	s_or_b32 exec_lo, exec_lo, s17
	v_mov_b32_e32 v9, 24
	v_lshlrev_b32_e32 v5, 20, v5
	v_lshl_add_u32 v7, v7, 23, 0x3c000000
	v_lshlrev_b32_sdwa v9, v9, v11 dst_sel:DWORD dst_unused:UNUSED_PAD src0_sel:DWORD src1_sel:WORD_1
	v_and_b32_e32 v9, 0x80000000, v9
	v_or3_b32 v5, v5, v9, v7
	v_mov_b32_e32 v24, v6
	v_mov_b32_e32 v23, v5
.LBB235_1433:                           ;   in Loop: Header=BB235_934 Depth=1
	s_or_b32 exec_lo, exec_lo, s16
.LBB235_1434:                           ;   in Loop: Header=BB235_934 Depth=1
	s_or_b32 exec_lo, exec_lo, s15
.LBB235_1435:                           ;   in Loop: Header=BB235_934 Depth=1
	s_or_b32 exec_lo, exec_lo, s13
	s_mov_b32 s13, exec_lo
	v_cmpx_lt_u32_e32 0xffffff, v11
	s_cbranch_execz .LBB235_1443
; %bb.1436:                             ;   in Loop: Header=BB235_934 Depth=1
	v_mov_b32_e32 v7, v6
	v_mov_b32_e32 v22, v8
	v_cmp_ne_u32_sdwa s4, v11, v82 src0_sel:BYTE_3 src1_sel:DWORD
	v_mov_b32_e32 v21, v7
	s_and_saveexec_b32 s15, s4
	s_cbranch_execz .LBB235_1442
; %bb.1437:                             ;   in Loop: Header=BB235_934 Depth=1
	v_mov_b32_e32 v9, v6
	v_mov_b32_e32 v22, v10
	v_bfe_u32 v12, v11, 24, 7
	s_mov_b32 s16, exec_lo
	v_mov_b32_e32 v21, v9
	v_cmpx_ne_u32_e32 0x7f, v12
	s_cbranch_execz .LBB235_1441
; %bb.1438:                             ;   in Loop: Header=BB235_934 Depth=1
	v_mov_b32_e32 v5, 7
	v_lshrrev_b32_e32 v7, 3, v12
	s_mov_b32 s17, exec_lo
	v_and_b32_sdwa v5, v11, v5 dst_sel:DWORD dst_unused:UNUSED_PAD src0_sel:BYTE_3 src1_sel:DWORD
	v_cmpx_gt_u32_e32 8, v12
; %bb.1439:                             ;   in Loop: Header=BB235_934 Depth=1
	v_ffbh_u32_e32 v7, v5
	v_min_u32_e32 v7, 32, v7
	v_subrev_nc_u32_e32 v9, 28, v7
	v_sub_nc_u32_e32 v7, 29, v7
	v_lshlrev_b64 v[21:22], v9, v[5:6]
	v_and_b32_e32 v5, 7, v21
; %bb.1440:                             ;   in Loop: Header=BB235_934 Depth=1
	s_or_b32 exec_lo, exec_lo, s17
	v_mov_b32_e32 v9, 24
	v_lshlrev_b32_e32 v5, 20, v5
	v_lshl_add_u32 v7, v7, 23, 0x3c000000
	v_mov_b32_e32 v21, v6
	v_lshlrev_b32_sdwa v9, v9, v11 dst_sel:DWORD dst_unused:UNUSED_PAD src0_sel:DWORD src1_sel:BYTE_3
	v_and_b32_e32 v9, 0x80000000, v9
	v_or3_b32 v22, v5, v9, v7
.LBB235_1441:                           ;   in Loop: Header=BB235_934 Depth=1
	s_or_b32 exec_lo, exec_lo, s16
.LBB235_1442:                           ;   in Loop: Header=BB235_934 Depth=1
	s_or_b32 exec_lo, exec_lo, s15
.LBB235_1443:                           ;   in Loop: Header=BB235_934 Depth=1
	s_or_b32 exec_lo, exec_lo, s13
	v_or_b32_e32 v5, v20, v18
	v_or_b32_e32 v7, v19, v17
	;; [unrolled: 1-line block ×4, first 2 shown]
	v_mul_f32_e32 v12, v98, v5
	v_mul_f32_e32 v11, v98, v7
	;; [unrolled: 1-line block ×4, first 2 shown]
	s_and_saveexec_b32 s13, vcc_lo
	s_cbranch_execz .LBB235_1445
; %bb.1444:                             ;   in Loop: Header=BB235_934 Depth=1
	v_cmp_lt_i32_e64 s4, v103, v122
	v_cndmask_b32_e64 v11, 0, v11, s4
	v_cmp_lt_i32_e64 s4, v114, v122
	v_cndmask_b32_e64 v12, 0, v12, s4
	;; [unrolled: 2-line block ×4, first 2 shown]
.LBB235_1445:                           ;   in Loop: Header=BB235_934 Depth=1
	s_or_b32 exec_lo, exec_lo, s13
	flat_load_dword v28, v[15:16] offset:1920
	v_mov_b32_e32 v19, 0
	v_mov_b32_e32 v17, 0
	;; [unrolled: 1-line block ×4, first 2 shown]
	s_waitcnt vmcnt(0) lgkmcnt(0)
	v_cmp_ne_u16_sdwa s4, v28, v6 src0_sel:BYTE_0 src1_sel:DWORD
	s_and_saveexec_b32 s13, s4
	s_cbranch_execz .LBB235_1453
; %bb.1446:                             ;   in Loop: Header=BB235_934 Depth=1
	v_bfrev_b32_e32 v17, 1
	v_mov_b32_e32 v18, 0
	v_cmp_ne_u16_sdwa s4, v28, v82 src0_sel:BYTE_0 src1_sel:DWORD
	s_and_saveexec_b32 s15, s4
	s_cbranch_execz .LBB235_1452
; %bb.1447:                             ;   in Loop: Header=BB235_934 Depth=1
	v_mov_b32_e32 v17, 0x7f800001
	v_and_b32_e32 v9, 0x7f, v28
	v_mov_b32_e32 v18, 0
	s_mov_b32 s16, exec_lo
	v_cmpx_ne_u32_e32 0x7f, v9
	s_cbranch_execz .LBB235_1451
; %bb.1448:                             ;   in Loop: Header=BB235_934 Depth=1
	v_and_b32_e32 v5, 7, v28
	v_lshrrev_b32_e32 v7, 3, v9
	s_mov_b32 s17, exec_lo
	v_cmpx_gt_u32_e32 8, v9
; %bb.1449:                             ;   in Loop: Header=BB235_934 Depth=1
	v_ffbh_u32_e32 v7, v5
	v_min_u32_e32 v7, 32, v7
	v_subrev_nc_u32_e32 v9, 28, v7
	v_sub_nc_u32_e32 v7, 29, v7
	v_lshlrev_b64 v[17:18], v9, v[5:6]
	v_and_b32_e32 v5, 7, v17
; %bb.1450:                             ;   in Loop: Header=BB235_934 Depth=1
	s_or_b32 exec_lo, exec_lo, s17
	v_lshlrev_b32_e32 v9, 24, v28
	v_lshlrev_b32_e32 v5, 20, v5
	v_lshl_add_u32 v7, v7, 23, 0x3c000000
	v_and_b32_e32 v9, 0x80000000, v9
	v_or3_b32 v5, v5, v9, v7
	v_mov_b32_e32 v18, v6
	v_mov_b32_e32 v17, v5
.LBB235_1451:                           ;   in Loop: Header=BB235_934 Depth=1
	s_or_b32 exec_lo, exec_lo, s16
.LBB235_1452:                           ;   in Loop: Header=BB235_934 Depth=1
	s_or_b32 exec_lo, exec_lo, s15
.LBB235_1453:                           ;   in Loop: Header=BB235_934 Depth=1
	s_or_b32 exec_lo, exec_lo, s13
	v_cmp_ne_u16_sdwa s4, v28, v6 src0_sel:BYTE_1 src1_sel:DWORD
	s_and_saveexec_b32 s13, s4
	s_cbranch_execz .LBB235_1461
; %bb.1454:                             ;   in Loop: Header=BB235_934 Depth=1
	v_mov_b32_e32 v7, v6
	v_mov_b32_e32 v20, v8
	v_cmp_ne_u16_sdwa s4, v28, v82 src0_sel:BYTE_1 src1_sel:DWORD
	v_mov_b32_e32 v19, v7
	s_and_saveexec_b32 s15, s4
	s_cbranch_execz .LBB235_1460
; %bb.1455:                             ;   in Loop: Header=BB235_934 Depth=1
	v_mov_b32_e32 v5, 0xffff
	v_mov_b32_e32 v9, v6
	;; [unrolled: 1-line block ×3, first 2 shown]
	s_mov_b32 s16, exec_lo
	v_and_b32_sdwa v5, v5, v28 dst_sel:DWORD dst_unused:UNUSED_PAD src0_sel:DWORD src1_sel:BYTE_1
	v_mov_b32_e32 v19, v9
	v_and_b32_e32 v21, 0x7f, v5
	v_cmpx_ne_u32_e32 0x7f, v21
	s_cbranch_execz .LBB235_1459
; %bb.1456:                             ;   in Loop: Header=BB235_934 Depth=1
	v_and_b32_e32 v5, 7, v5
	v_lshrrev_b32_e32 v7, 3, v21
	s_mov_b32 s17, exec_lo
	v_cmpx_gt_u32_e32 8, v21
; %bb.1457:                             ;   in Loop: Header=BB235_934 Depth=1
	v_ffbh_u32_e32 v7, v5
	v_min_u32_e32 v7, 32, v7
	v_subrev_nc_u32_e32 v9, 28, v7
	v_sub_nc_u32_e32 v7, 29, v7
	v_lshlrev_b64 v[19:20], v9, v[5:6]
	v_and_b32_e32 v5, 7, v19
; %bb.1458:                             ;   in Loop: Header=BB235_934 Depth=1
	s_or_b32 exec_lo, exec_lo, s17
	v_lshlrev_b32_e32 v9, 16, v28
	v_lshlrev_b32_e32 v5, 20, v5
	v_lshl_add_u32 v7, v7, 23, 0x3c000000
	v_mov_b32_e32 v19, v6
	v_and_b32_e32 v9, 0x80000000, v9
	v_or3_b32 v20, v5, v9, v7
.LBB235_1459:                           ;   in Loop: Header=BB235_934 Depth=1
	s_or_b32 exec_lo, exec_lo, s16
.LBB235_1460:                           ;   in Loop: Header=BB235_934 Depth=1
	s_or_b32 exec_lo, exec_lo, s15
.LBB235_1461:                           ;   in Loop: Header=BB235_934 Depth=1
	s_or_b32 exec_lo, exec_lo, s13
	v_mov_b32_e32 v21, 0
	v_mov_b32_e32 v23, 0
	v_and_b32_sdwa v5, v28, v84 dst_sel:DWORD dst_unused:UNUSED_PAD src0_sel:WORD_1 src1_sel:DWORD
	v_mov_b32_e32 v22, 0
	v_mov_b32_e32 v24, 0
	s_mov_b32 s13, exec_lo
	v_cmpx_ne_u16_e32 0, v5
	s_cbranch_execz .LBB235_1469
; %bb.1462:                             ;   in Loop: Header=BB235_934 Depth=1
	v_bfrev_b32_e32 v23, 1
	v_mov_b32_e32 v24, 0
	s_mov_b32 s15, exec_lo
	v_cmpx_ne_u16_e32 0x80, v5
	s_cbranch_execz .LBB235_1468
; %bb.1463:                             ;   in Loop: Header=BB235_934 Depth=1
	v_mov_b32_e32 v23, 0x7f800001
	v_bfe_u32 v9, v28, 16, 7
	v_mov_b32_e32 v24, 0
	s_mov_b32 s16, exec_lo
	v_cmpx_ne_u32_e32 0x7f, v9
	s_cbranch_execz .LBB235_1467
; %bb.1464:                             ;   in Loop: Header=BB235_934 Depth=1
	v_mov_b32_e32 v5, 7
	v_lshrrev_b32_e32 v7, 3, v9
	s_mov_b32 s17, exec_lo
	v_and_b32_sdwa v5, v28, v5 dst_sel:DWORD dst_unused:UNUSED_PAD src0_sel:WORD_1 src1_sel:DWORD
	v_cmpx_gt_u32_e32 8, v9
; %bb.1465:                             ;   in Loop: Header=BB235_934 Depth=1
	v_ffbh_u32_e32 v7, v5
	v_min_u32_e32 v7, 32, v7
	v_subrev_nc_u32_e32 v9, 28, v7
	v_sub_nc_u32_e32 v7, 29, v7
	v_lshlrev_b64 v[23:24], v9, v[5:6]
	v_and_b32_e32 v5, 7, v23
; %bb.1466:                             ;   in Loop: Header=BB235_934 Depth=1
	s_or_b32 exec_lo, exec_lo, s17
	v_mov_b32_e32 v9, 24
	v_lshlrev_b32_e32 v5, 20, v5
	v_lshl_add_u32 v7, v7, 23, 0x3c000000
	v_lshlrev_b32_sdwa v9, v9, v28 dst_sel:DWORD dst_unused:UNUSED_PAD src0_sel:DWORD src1_sel:WORD_1
	v_and_b32_e32 v9, 0x80000000, v9
	v_or3_b32 v5, v5, v9, v7
	v_mov_b32_e32 v24, v6
	v_mov_b32_e32 v23, v5
.LBB235_1467:                           ;   in Loop: Header=BB235_934 Depth=1
	s_or_b32 exec_lo, exec_lo, s16
.LBB235_1468:                           ;   in Loop: Header=BB235_934 Depth=1
	s_or_b32 exec_lo, exec_lo, s15
.LBB235_1469:                           ;   in Loop: Header=BB235_934 Depth=1
	s_or_b32 exec_lo, exec_lo, s13
	s_mov_b32 s13, exec_lo
	v_cmpx_lt_u32_e32 0xffffff, v28
	s_cbranch_execz .LBB235_1477
; %bb.1470:                             ;   in Loop: Header=BB235_934 Depth=1
	v_mov_b32_e32 v7, v6
	v_mov_b32_e32 v22, v8
	v_cmp_ne_u32_sdwa s4, v28, v82 src0_sel:BYTE_3 src1_sel:DWORD
	v_mov_b32_e32 v21, v7
	s_and_saveexec_b32 s15, s4
	s_cbranch_execz .LBB235_1476
; %bb.1471:                             ;   in Loop: Header=BB235_934 Depth=1
	v_mov_b32_e32 v9, v6
	v_mov_b32_e32 v22, v10
	v_bfe_u32 v29, v28, 24, 7
	s_mov_b32 s16, exec_lo
	v_mov_b32_e32 v21, v9
	v_cmpx_ne_u32_e32 0x7f, v29
	s_cbranch_execz .LBB235_1475
; %bb.1472:                             ;   in Loop: Header=BB235_934 Depth=1
	v_mov_b32_e32 v5, 7
	v_lshrrev_b32_e32 v7, 3, v29
	s_mov_b32 s17, exec_lo
	v_and_b32_sdwa v5, v28, v5 dst_sel:DWORD dst_unused:UNUSED_PAD src0_sel:BYTE_3 src1_sel:DWORD
	v_cmpx_gt_u32_e32 8, v29
; %bb.1473:                             ;   in Loop: Header=BB235_934 Depth=1
	v_ffbh_u32_e32 v7, v5
	v_min_u32_e32 v7, 32, v7
	v_subrev_nc_u32_e32 v9, 28, v7
	v_sub_nc_u32_e32 v7, 29, v7
	v_lshlrev_b64 v[21:22], v9, v[5:6]
	v_and_b32_e32 v5, 7, v21
; %bb.1474:                             ;   in Loop: Header=BB235_934 Depth=1
	s_or_b32 exec_lo, exec_lo, s17
	v_mov_b32_e32 v9, 24
	v_lshlrev_b32_e32 v5, 20, v5
	v_lshl_add_u32 v7, v7, 23, 0x3c000000
	v_mov_b32_e32 v21, v6
	v_lshlrev_b32_sdwa v9, v9, v28 dst_sel:DWORD dst_unused:UNUSED_PAD src0_sel:DWORD src1_sel:BYTE_3
	v_and_b32_e32 v9, 0x80000000, v9
	v_or3_b32 v22, v5, v9, v7
.LBB235_1475:                           ;   in Loop: Header=BB235_934 Depth=1
	s_or_b32 exec_lo, exec_lo, s16
.LBB235_1476:                           ;   in Loop: Header=BB235_934 Depth=1
	s_or_b32 exec_lo, exec_lo, s15
.LBB235_1477:                           ;   in Loop: Header=BB235_934 Depth=1
	s_or_b32 exec_lo, exec_lo, s13
	v_or_b32_e32 v5, v20, v18
	v_or_b32_e32 v7, v19, v17
	;; [unrolled: 1-line block ×4, first 2 shown]
	v_mul_f32_e32 v30, v98, v5
	v_mul_f32_e32 v29, v98, v7
	v_mul_f32_e32 v28, v98, v9
	v_mul_f32_e32 v97, v98, v17
	s_and_saveexec_b32 s13, vcc_lo
	s_cbranch_execz .LBB235_1479
; %bb.1478:                             ;   in Loop: Header=BB235_934 Depth=1
	v_cmp_lt_i32_e64 s4, v103, v122
	v_cndmask_b32_e64 v29, 0, v29, s4
	v_cmp_lt_i32_e64 s4, v114, v122
	v_cndmask_b32_e64 v30, 0, v30, s4
	;; [unrolled: 2-line block ×4, first 2 shown]
.LBB235_1479:                           ;   in Loop: Header=BB235_934 Depth=1
	s_or_b32 exec_lo, exec_lo, s13
	v_add_co_u32 v15, s4, 0x800, v15
	v_add_co_ci_u32_e64 v16, null, 0, v16, s4
	v_mov_b32_e32 v19, 0
	v_mov_b32_e32 v17, 0
	;; [unrolled: 1-line block ×3, first 2 shown]
	flat_load_dword v31, v[15:16]
	v_mov_b32_e32 v18, 0
	s_waitcnt vmcnt(0) lgkmcnt(0)
	v_cmp_ne_u16_sdwa s4, v31, v6 src0_sel:BYTE_0 src1_sel:DWORD
	s_and_saveexec_b32 s13, s4
	s_cbranch_execz .LBB235_1487
; %bb.1480:                             ;   in Loop: Header=BB235_934 Depth=1
	v_bfrev_b32_e32 v17, 1
	v_mov_b32_e32 v18, 0
	v_cmp_ne_u16_sdwa s4, v31, v82 src0_sel:BYTE_0 src1_sel:DWORD
	s_and_saveexec_b32 s15, s4
	s_cbranch_execz .LBB235_1486
; %bb.1481:                             ;   in Loop: Header=BB235_934 Depth=1
	v_mov_b32_e32 v17, 0x7f800001
	v_and_b32_e32 v9, 0x7f, v31
	v_mov_b32_e32 v18, 0
	s_mov_b32 s16, exec_lo
	v_cmpx_ne_u32_e32 0x7f, v9
	s_cbranch_execz .LBB235_1485
; %bb.1482:                             ;   in Loop: Header=BB235_934 Depth=1
	v_and_b32_e32 v5, 7, v31
	v_lshrrev_b32_e32 v7, 3, v9
	s_mov_b32 s17, exec_lo
	v_cmpx_gt_u32_e32 8, v9
; %bb.1483:                             ;   in Loop: Header=BB235_934 Depth=1
	v_ffbh_u32_e32 v7, v5
	v_min_u32_e32 v7, 32, v7
	v_subrev_nc_u32_e32 v9, 28, v7
	v_sub_nc_u32_e32 v7, 29, v7
	v_lshlrev_b64 v[17:18], v9, v[5:6]
	v_and_b32_e32 v5, 7, v17
; %bb.1484:                             ;   in Loop: Header=BB235_934 Depth=1
	s_or_b32 exec_lo, exec_lo, s17
	v_lshlrev_b32_e32 v9, 24, v31
	v_lshlrev_b32_e32 v5, 20, v5
	v_lshl_add_u32 v7, v7, 23, 0x3c000000
	v_and_b32_e32 v9, 0x80000000, v9
	v_or3_b32 v5, v5, v9, v7
	v_mov_b32_e32 v18, v6
	v_mov_b32_e32 v17, v5
.LBB235_1485:                           ;   in Loop: Header=BB235_934 Depth=1
	s_or_b32 exec_lo, exec_lo, s16
.LBB235_1486:                           ;   in Loop: Header=BB235_934 Depth=1
	s_or_b32 exec_lo, exec_lo, s15
.LBB235_1487:                           ;   in Loop: Header=BB235_934 Depth=1
	s_or_b32 exec_lo, exec_lo, s13
	v_cmp_ne_u16_sdwa s4, v31, v6 src0_sel:BYTE_1 src1_sel:DWORD
	s_and_saveexec_b32 s13, s4
	s_cbranch_execz .LBB235_1495
; %bb.1488:                             ;   in Loop: Header=BB235_934 Depth=1
	v_mov_b32_e32 v7, v6
	v_mov_b32_e32 v20, v8
	v_cmp_ne_u16_sdwa s4, v31, v82 src0_sel:BYTE_1 src1_sel:DWORD
	v_mov_b32_e32 v19, v7
	s_and_saveexec_b32 s15, s4
	s_cbranch_execz .LBB235_1494
; %bb.1489:                             ;   in Loop: Header=BB235_934 Depth=1
	v_mov_b32_e32 v5, 0xffff
	v_mov_b32_e32 v9, v6
	;; [unrolled: 1-line block ×3, first 2 shown]
	s_mov_b32 s16, exec_lo
	v_and_b32_sdwa v5, v5, v31 dst_sel:DWORD dst_unused:UNUSED_PAD src0_sel:DWORD src1_sel:BYTE_1
	v_mov_b32_e32 v19, v9
	v_and_b32_e32 v21, 0x7f, v5
	v_cmpx_ne_u32_e32 0x7f, v21
	s_cbranch_execz .LBB235_1493
; %bb.1490:                             ;   in Loop: Header=BB235_934 Depth=1
	v_and_b32_e32 v5, 7, v5
	v_lshrrev_b32_e32 v7, 3, v21
	s_mov_b32 s17, exec_lo
	v_cmpx_gt_u32_e32 8, v21
; %bb.1491:                             ;   in Loop: Header=BB235_934 Depth=1
	v_ffbh_u32_e32 v7, v5
	v_min_u32_e32 v7, 32, v7
	v_subrev_nc_u32_e32 v9, 28, v7
	v_sub_nc_u32_e32 v7, 29, v7
	v_lshlrev_b64 v[19:20], v9, v[5:6]
	v_and_b32_e32 v5, 7, v19
; %bb.1492:                             ;   in Loop: Header=BB235_934 Depth=1
	s_or_b32 exec_lo, exec_lo, s17
	v_lshlrev_b32_e32 v9, 16, v31
	v_lshlrev_b32_e32 v5, 20, v5
	v_lshl_add_u32 v7, v7, 23, 0x3c000000
	v_mov_b32_e32 v19, v6
	v_and_b32_e32 v9, 0x80000000, v9
	v_or3_b32 v20, v5, v9, v7
.LBB235_1493:                           ;   in Loop: Header=BB235_934 Depth=1
	s_or_b32 exec_lo, exec_lo, s16
.LBB235_1494:                           ;   in Loop: Header=BB235_934 Depth=1
	s_or_b32 exec_lo, exec_lo, s15
.LBB235_1495:                           ;   in Loop: Header=BB235_934 Depth=1
	s_or_b32 exec_lo, exec_lo, s13
	v_mov_b32_e32 v21, 0
	v_mov_b32_e32 v23, 0
	v_and_b32_sdwa v5, v31, v84 dst_sel:DWORD dst_unused:UNUSED_PAD src0_sel:WORD_1 src1_sel:DWORD
	v_mov_b32_e32 v22, 0
	v_mov_b32_e32 v24, 0
	s_mov_b32 s13, exec_lo
	v_cmpx_ne_u16_e32 0, v5
	s_cbranch_execz .LBB235_1503
; %bb.1496:                             ;   in Loop: Header=BB235_934 Depth=1
	v_bfrev_b32_e32 v23, 1
	v_mov_b32_e32 v24, 0
	s_mov_b32 s15, exec_lo
	v_cmpx_ne_u16_e32 0x80, v5
	s_cbranch_execz .LBB235_1502
; %bb.1497:                             ;   in Loop: Header=BB235_934 Depth=1
	v_mov_b32_e32 v23, 0x7f800001
	v_bfe_u32 v9, v31, 16, 7
	v_mov_b32_e32 v24, 0
	s_mov_b32 s16, exec_lo
	v_cmpx_ne_u32_e32 0x7f, v9
	s_cbranch_execz .LBB235_1501
; %bb.1498:                             ;   in Loop: Header=BB235_934 Depth=1
	v_mov_b32_e32 v5, 7
	v_lshrrev_b32_e32 v7, 3, v9
	s_mov_b32 s17, exec_lo
	v_and_b32_sdwa v5, v31, v5 dst_sel:DWORD dst_unused:UNUSED_PAD src0_sel:WORD_1 src1_sel:DWORD
	v_cmpx_gt_u32_e32 8, v9
; %bb.1499:                             ;   in Loop: Header=BB235_934 Depth=1
	v_ffbh_u32_e32 v7, v5
	v_min_u32_e32 v7, 32, v7
	v_subrev_nc_u32_e32 v9, 28, v7
	v_sub_nc_u32_e32 v7, 29, v7
	v_lshlrev_b64 v[23:24], v9, v[5:6]
	v_and_b32_e32 v5, 7, v23
; %bb.1500:                             ;   in Loop: Header=BB235_934 Depth=1
	s_or_b32 exec_lo, exec_lo, s17
	v_mov_b32_e32 v9, 24
	v_lshlrev_b32_e32 v5, 20, v5
	v_lshl_add_u32 v7, v7, 23, 0x3c000000
	v_lshlrev_b32_sdwa v9, v9, v31 dst_sel:DWORD dst_unused:UNUSED_PAD src0_sel:DWORD src1_sel:WORD_1
	v_and_b32_e32 v9, 0x80000000, v9
	v_or3_b32 v5, v5, v9, v7
	v_mov_b32_e32 v24, v6
	v_mov_b32_e32 v23, v5
.LBB235_1501:                           ;   in Loop: Header=BB235_934 Depth=1
	s_or_b32 exec_lo, exec_lo, s16
.LBB235_1502:                           ;   in Loop: Header=BB235_934 Depth=1
	s_or_b32 exec_lo, exec_lo, s15
.LBB235_1503:                           ;   in Loop: Header=BB235_934 Depth=1
	s_or_b32 exec_lo, exec_lo, s13
	s_mov_b32 s13, exec_lo
	v_cmpx_lt_u32_e32 0xffffff, v31
	s_cbranch_execz .LBB235_1511
; %bb.1504:                             ;   in Loop: Header=BB235_934 Depth=1
	v_mov_b32_e32 v7, v6
	v_mov_b32_e32 v22, v8
	v_cmp_ne_u32_sdwa s4, v31, v82 src0_sel:BYTE_3 src1_sel:DWORD
	v_mov_b32_e32 v21, v7
	s_and_saveexec_b32 s15, s4
	s_cbranch_execz .LBB235_1510
; %bb.1505:                             ;   in Loop: Header=BB235_934 Depth=1
	v_mov_b32_e32 v9, v6
	v_mov_b32_e32 v22, v10
	v_bfe_u32 v32, v31, 24, 7
	s_mov_b32 s16, exec_lo
	v_mov_b32_e32 v21, v9
	v_cmpx_ne_u32_e32 0x7f, v32
	s_cbranch_execz .LBB235_1509
; %bb.1506:                             ;   in Loop: Header=BB235_934 Depth=1
	v_mov_b32_e32 v5, 7
	v_lshrrev_b32_e32 v7, 3, v32
	s_mov_b32 s17, exec_lo
	v_and_b32_sdwa v5, v31, v5 dst_sel:DWORD dst_unused:UNUSED_PAD src0_sel:BYTE_3 src1_sel:DWORD
	v_cmpx_gt_u32_e32 8, v32
; %bb.1507:                             ;   in Loop: Header=BB235_934 Depth=1
	v_ffbh_u32_e32 v7, v5
	v_min_u32_e32 v7, 32, v7
	v_subrev_nc_u32_e32 v9, 28, v7
	v_sub_nc_u32_e32 v7, 29, v7
	v_lshlrev_b64 v[21:22], v9, v[5:6]
	v_and_b32_e32 v5, 7, v21
; %bb.1508:                             ;   in Loop: Header=BB235_934 Depth=1
	s_or_b32 exec_lo, exec_lo, s17
	v_mov_b32_e32 v9, 24
	v_lshlrev_b32_e32 v5, 20, v5
	v_lshl_add_u32 v7, v7, 23, 0x3c000000
	v_mov_b32_e32 v21, v6
	v_lshlrev_b32_sdwa v9, v9, v31 dst_sel:DWORD dst_unused:UNUSED_PAD src0_sel:DWORD src1_sel:BYTE_3
	v_and_b32_e32 v9, 0x80000000, v9
	v_or3_b32 v22, v5, v9, v7
.LBB235_1509:                           ;   in Loop: Header=BB235_934 Depth=1
	s_or_b32 exec_lo, exec_lo, s16
.LBB235_1510:                           ;   in Loop: Header=BB235_934 Depth=1
	s_or_b32 exec_lo, exec_lo, s15
.LBB235_1511:                           ;   in Loop: Header=BB235_934 Depth=1
	s_or_b32 exec_lo, exec_lo, s13
	v_or_b32_e32 v5, v20, v18
	v_or_b32_e32 v7, v19, v17
	;; [unrolled: 1-line block ×4, first 2 shown]
	v_mul_f32_e32 v34, v98, v5
	v_mul_f32_e32 v33, v98, v7
	;; [unrolled: 1-line block ×4, first 2 shown]
	s_and_saveexec_b32 s13, vcc_lo
	s_cbranch_execz .LBB235_1513
; %bb.1512:                             ;   in Loop: Header=BB235_934 Depth=1
	v_cmp_lt_i32_e64 s4, v103, v122
	v_cndmask_b32_e64 v33, 0, v33, s4
	v_cmp_lt_i32_e64 s4, v114, v122
	v_cndmask_b32_e64 v34, 0, v34, s4
	;; [unrolled: 2-line block ×4, first 2 shown]
.LBB235_1513:                           ;   in Loop: Header=BB235_934 Depth=1
	s_or_b32 exec_lo, exec_lo, s13
	flat_load_dword v35, v[15:16] offset:128
	v_mov_b32_e32 v19, 0
	v_mov_b32_e32 v17, 0
	;; [unrolled: 1-line block ×4, first 2 shown]
	s_waitcnt vmcnt(0) lgkmcnt(0)
	v_cmp_ne_u16_sdwa s4, v35, v6 src0_sel:BYTE_0 src1_sel:DWORD
	s_and_saveexec_b32 s13, s4
	s_cbranch_execz .LBB235_1521
; %bb.1514:                             ;   in Loop: Header=BB235_934 Depth=1
	v_bfrev_b32_e32 v17, 1
	v_mov_b32_e32 v18, 0
	v_cmp_ne_u16_sdwa s4, v35, v82 src0_sel:BYTE_0 src1_sel:DWORD
	s_and_saveexec_b32 s15, s4
	s_cbranch_execz .LBB235_1520
; %bb.1515:                             ;   in Loop: Header=BB235_934 Depth=1
	v_mov_b32_e32 v17, 0x7f800001
	v_and_b32_e32 v9, 0x7f, v35
	v_mov_b32_e32 v18, 0
	s_mov_b32 s16, exec_lo
	v_cmpx_ne_u32_e32 0x7f, v9
	s_cbranch_execz .LBB235_1519
; %bb.1516:                             ;   in Loop: Header=BB235_934 Depth=1
	v_and_b32_e32 v5, 7, v35
	v_lshrrev_b32_e32 v7, 3, v9
	s_mov_b32 s17, exec_lo
	v_cmpx_gt_u32_e32 8, v9
; %bb.1517:                             ;   in Loop: Header=BB235_934 Depth=1
	v_ffbh_u32_e32 v7, v5
	v_min_u32_e32 v7, 32, v7
	v_subrev_nc_u32_e32 v9, 28, v7
	v_sub_nc_u32_e32 v7, 29, v7
	v_lshlrev_b64 v[17:18], v9, v[5:6]
	v_and_b32_e32 v5, 7, v17
; %bb.1518:                             ;   in Loop: Header=BB235_934 Depth=1
	s_or_b32 exec_lo, exec_lo, s17
	v_lshlrev_b32_e32 v9, 24, v35
	v_lshlrev_b32_e32 v5, 20, v5
	v_lshl_add_u32 v7, v7, 23, 0x3c000000
	v_and_b32_e32 v9, 0x80000000, v9
	v_or3_b32 v5, v5, v9, v7
	v_mov_b32_e32 v18, v6
	v_mov_b32_e32 v17, v5
.LBB235_1519:                           ;   in Loop: Header=BB235_934 Depth=1
	s_or_b32 exec_lo, exec_lo, s16
.LBB235_1520:                           ;   in Loop: Header=BB235_934 Depth=1
	s_or_b32 exec_lo, exec_lo, s15
.LBB235_1521:                           ;   in Loop: Header=BB235_934 Depth=1
	s_or_b32 exec_lo, exec_lo, s13
	v_cmp_ne_u16_sdwa s4, v35, v6 src0_sel:BYTE_1 src1_sel:DWORD
	s_and_saveexec_b32 s13, s4
	s_cbranch_execz .LBB235_1529
; %bb.1522:                             ;   in Loop: Header=BB235_934 Depth=1
	v_mov_b32_e32 v7, v6
	v_mov_b32_e32 v20, v8
	v_cmp_ne_u16_sdwa s4, v35, v82 src0_sel:BYTE_1 src1_sel:DWORD
	v_mov_b32_e32 v19, v7
	s_and_saveexec_b32 s15, s4
	s_cbranch_execz .LBB235_1528
; %bb.1523:                             ;   in Loop: Header=BB235_934 Depth=1
	v_mov_b32_e32 v5, 0xffff
	v_mov_b32_e32 v9, v6
	;; [unrolled: 1-line block ×3, first 2 shown]
	s_mov_b32 s16, exec_lo
	v_and_b32_sdwa v5, v5, v35 dst_sel:DWORD dst_unused:UNUSED_PAD src0_sel:DWORD src1_sel:BYTE_1
	v_mov_b32_e32 v19, v9
	v_and_b32_e32 v21, 0x7f, v5
	v_cmpx_ne_u32_e32 0x7f, v21
	s_cbranch_execz .LBB235_1527
; %bb.1524:                             ;   in Loop: Header=BB235_934 Depth=1
	v_and_b32_e32 v5, 7, v5
	v_lshrrev_b32_e32 v7, 3, v21
	s_mov_b32 s17, exec_lo
	v_cmpx_gt_u32_e32 8, v21
; %bb.1525:                             ;   in Loop: Header=BB235_934 Depth=1
	v_ffbh_u32_e32 v7, v5
	v_min_u32_e32 v7, 32, v7
	v_subrev_nc_u32_e32 v9, 28, v7
	v_sub_nc_u32_e32 v7, 29, v7
	v_lshlrev_b64 v[19:20], v9, v[5:6]
	v_and_b32_e32 v5, 7, v19
; %bb.1526:                             ;   in Loop: Header=BB235_934 Depth=1
	s_or_b32 exec_lo, exec_lo, s17
	v_lshlrev_b32_e32 v9, 16, v35
	v_lshlrev_b32_e32 v5, 20, v5
	v_lshl_add_u32 v7, v7, 23, 0x3c000000
	v_mov_b32_e32 v19, v6
	v_and_b32_e32 v9, 0x80000000, v9
	v_or3_b32 v20, v5, v9, v7
.LBB235_1527:                           ;   in Loop: Header=BB235_934 Depth=1
	s_or_b32 exec_lo, exec_lo, s16
.LBB235_1528:                           ;   in Loop: Header=BB235_934 Depth=1
	s_or_b32 exec_lo, exec_lo, s15
.LBB235_1529:                           ;   in Loop: Header=BB235_934 Depth=1
	s_or_b32 exec_lo, exec_lo, s13
	v_mov_b32_e32 v21, 0
	v_mov_b32_e32 v23, 0
	v_and_b32_sdwa v5, v35, v84 dst_sel:DWORD dst_unused:UNUSED_PAD src0_sel:WORD_1 src1_sel:DWORD
	v_mov_b32_e32 v22, 0
	v_mov_b32_e32 v24, 0
	s_mov_b32 s13, exec_lo
	v_cmpx_ne_u16_e32 0, v5
	s_cbranch_execz .LBB235_1537
; %bb.1530:                             ;   in Loop: Header=BB235_934 Depth=1
	v_bfrev_b32_e32 v23, 1
	v_mov_b32_e32 v24, 0
	s_mov_b32 s15, exec_lo
	v_cmpx_ne_u16_e32 0x80, v5
	s_cbranch_execz .LBB235_1536
; %bb.1531:                             ;   in Loop: Header=BB235_934 Depth=1
	v_mov_b32_e32 v23, 0x7f800001
	v_bfe_u32 v9, v35, 16, 7
	v_mov_b32_e32 v24, 0
	s_mov_b32 s16, exec_lo
	v_cmpx_ne_u32_e32 0x7f, v9
	s_cbranch_execz .LBB235_1535
; %bb.1532:                             ;   in Loop: Header=BB235_934 Depth=1
	v_mov_b32_e32 v5, 7
	v_lshrrev_b32_e32 v7, 3, v9
	s_mov_b32 s17, exec_lo
	v_and_b32_sdwa v5, v35, v5 dst_sel:DWORD dst_unused:UNUSED_PAD src0_sel:WORD_1 src1_sel:DWORD
	v_cmpx_gt_u32_e32 8, v9
; %bb.1533:                             ;   in Loop: Header=BB235_934 Depth=1
	v_ffbh_u32_e32 v7, v5
	v_min_u32_e32 v7, 32, v7
	v_subrev_nc_u32_e32 v9, 28, v7
	v_sub_nc_u32_e32 v7, 29, v7
	v_lshlrev_b64 v[23:24], v9, v[5:6]
	v_and_b32_e32 v5, 7, v23
; %bb.1534:                             ;   in Loop: Header=BB235_934 Depth=1
	s_or_b32 exec_lo, exec_lo, s17
	v_mov_b32_e32 v9, 24
	v_lshlrev_b32_e32 v5, 20, v5
	v_lshl_add_u32 v7, v7, 23, 0x3c000000
	v_lshlrev_b32_sdwa v9, v9, v35 dst_sel:DWORD dst_unused:UNUSED_PAD src0_sel:DWORD src1_sel:WORD_1
	v_and_b32_e32 v9, 0x80000000, v9
	v_or3_b32 v5, v5, v9, v7
	v_mov_b32_e32 v24, v6
	v_mov_b32_e32 v23, v5
.LBB235_1535:                           ;   in Loop: Header=BB235_934 Depth=1
	s_or_b32 exec_lo, exec_lo, s16
.LBB235_1536:                           ;   in Loop: Header=BB235_934 Depth=1
	s_or_b32 exec_lo, exec_lo, s15
.LBB235_1537:                           ;   in Loop: Header=BB235_934 Depth=1
	s_or_b32 exec_lo, exec_lo, s13
	s_mov_b32 s13, exec_lo
	v_cmpx_lt_u32_e32 0xffffff, v35
	s_cbranch_execz .LBB235_1545
; %bb.1538:                             ;   in Loop: Header=BB235_934 Depth=1
	v_mov_b32_e32 v7, v6
	v_mov_b32_e32 v22, v8
	v_cmp_ne_u32_sdwa s4, v35, v82 src0_sel:BYTE_3 src1_sel:DWORD
	v_mov_b32_e32 v21, v7
	s_and_saveexec_b32 s15, s4
	s_cbranch_execz .LBB235_1544
; %bb.1539:                             ;   in Loop: Header=BB235_934 Depth=1
	v_mov_b32_e32 v9, v6
	v_mov_b32_e32 v22, v10
	v_bfe_u32 v36, v35, 24, 7
	s_mov_b32 s16, exec_lo
	v_mov_b32_e32 v21, v9
	v_cmpx_ne_u32_e32 0x7f, v36
	s_cbranch_execz .LBB235_1543
; %bb.1540:                             ;   in Loop: Header=BB235_934 Depth=1
	v_mov_b32_e32 v5, 7
	v_lshrrev_b32_e32 v7, 3, v36
	s_mov_b32 s17, exec_lo
	v_and_b32_sdwa v5, v35, v5 dst_sel:DWORD dst_unused:UNUSED_PAD src0_sel:BYTE_3 src1_sel:DWORD
	v_cmpx_gt_u32_e32 8, v36
; %bb.1541:                             ;   in Loop: Header=BB235_934 Depth=1
	v_ffbh_u32_e32 v7, v5
	v_min_u32_e32 v7, 32, v7
	v_subrev_nc_u32_e32 v9, 28, v7
	v_sub_nc_u32_e32 v7, 29, v7
	v_lshlrev_b64 v[21:22], v9, v[5:6]
	v_and_b32_e32 v5, 7, v21
; %bb.1542:                             ;   in Loop: Header=BB235_934 Depth=1
	s_or_b32 exec_lo, exec_lo, s17
	v_mov_b32_e32 v9, 24
	v_lshlrev_b32_e32 v5, 20, v5
	v_lshl_add_u32 v7, v7, 23, 0x3c000000
	v_mov_b32_e32 v21, v6
	v_lshlrev_b32_sdwa v9, v9, v35 dst_sel:DWORD dst_unused:UNUSED_PAD src0_sel:DWORD src1_sel:BYTE_3
	v_and_b32_e32 v9, 0x80000000, v9
	v_or3_b32 v22, v5, v9, v7
.LBB235_1543:                           ;   in Loop: Header=BB235_934 Depth=1
	s_or_b32 exec_lo, exec_lo, s16
.LBB235_1544:                           ;   in Loop: Header=BB235_934 Depth=1
	s_or_b32 exec_lo, exec_lo, s15
.LBB235_1545:                           ;   in Loop: Header=BB235_934 Depth=1
	s_or_b32 exec_lo, exec_lo, s13
	v_or_b32_e32 v5, v20, v18
	v_or_b32_e32 v7, v19, v17
	;; [unrolled: 1-line block ×4, first 2 shown]
	v_mul_f32_e32 v38, v98, v5
	v_mul_f32_e32 v37, v98, v7
	;; [unrolled: 1-line block ×4, first 2 shown]
	s_and_saveexec_b32 s13, vcc_lo
	s_cbranch_execz .LBB235_1547
; %bb.1546:                             ;   in Loop: Header=BB235_934 Depth=1
	v_cmp_lt_i32_e64 s4, v103, v122
	v_cndmask_b32_e64 v37, 0, v37, s4
	v_cmp_lt_i32_e64 s4, v114, v122
	v_cndmask_b32_e64 v38, 0, v38, s4
	;; [unrolled: 2-line block ×4, first 2 shown]
.LBB235_1547:                           ;   in Loop: Header=BB235_934 Depth=1
	s_or_b32 exec_lo, exec_lo, s13
	flat_load_dword v39, v[15:16] offset:256
	v_mov_b32_e32 v19, 0
	v_mov_b32_e32 v17, 0
	;; [unrolled: 1-line block ×4, first 2 shown]
	s_waitcnt vmcnt(0) lgkmcnt(0)
	v_cmp_ne_u16_sdwa s4, v39, v6 src0_sel:BYTE_0 src1_sel:DWORD
	s_and_saveexec_b32 s13, s4
	s_cbranch_execz .LBB235_1555
; %bb.1548:                             ;   in Loop: Header=BB235_934 Depth=1
	v_bfrev_b32_e32 v17, 1
	v_mov_b32_e32 v18, 0
	v_cmp_ne_u16_sdwa s4, v39, v82 src0_sel:BYTE_0 src1_sel:DWORD
	s_and_saveexec_b32 s15, s4
	s_cbranch_execz .LBB235_1554
; %bb.1549:                             ;   in Loop: Header=BB235_934 Depth=1
	v_mov_b32_e32 v17, 0x7f800001
	v_and_b32_e32 v9, 0x7f, v39
	v_mov_b32_e32 v18, 0
	s_mov_b32 s16, exec_lo
	v_cmpx_ne_u32_e32 0x7f, v9
	s_cbranch_execz .LBB235_1553
; %bb.1550:                             ;   in Loop: Header=BB235_934 Depth=1
	v_and_b32_e32 v5, 7, v39
	v_lshrrev_b32_e32 v7, 3, v9
	s_mov_b32 s17, exec_lo
	v_cmpx_gt_u32_e32 8, v9
; %bb.1551:                             ;   in Loop: Header=BB235_934 Depth=1
	v_ffbh_u32_e32 v7, v5
	v_min_u32_e32 v7, 32, v7
	v_subrev_nc_u32_e32 v9, 28, v7
	v_sub_nc_u32_e32 v7, 29, v7
	v_lshlrev_b64 v[17:18], v9, v[5:6]
	v_and_b32_e32 v5, 7, v17
; %bb.1552:                             ;   in Loop: Header=BB235_934 Depth=1
	s_or_b32 exec_lo, exec_lo, s17
	v_lshlrev_b32_e32 v9, 24, v39
	v_lshlrev_b32_e32 v5, 20, v5
	v_lshl_add_u32 v7, v7, 23, 0x3c000000
	v_and_b32_e32 v9, 0x80000000, v9
	v_or3_b32 v5, v5, v9, v7
	v_mov_b32_e32 v18, v6
	v_mov_b32_e32 v17, v5
.LBB235_1553:                           ;   in Loop: Header=BB235_934 Depth=1
	s_or_b32 exec_lo, exec_lo, s16
.LBB235_1554:                           ;   in Loop: Header=BB235_934 Depth=1
	s_or_b32 exec_lo, exec_lo, s15
.LBB235_1555:                           ;   in Loop: Header=BB235_934 Depth=1
	s_or_b32 exec_lo, exec_lo, s13
	v_cmp_ne_u16_sdwa s4, v39, v6 src0_sel:BYTE_1 src1_sel:DWORD
	s_and_saveexec_b32 s13, s4
	s_cbranch_execz .LBB235_1563
; %bb.1556:                             ;   in Loop: Header=BB235_934 Depth=1
	v_mov_b32_e32 v7, v6
	v_mov_b32_e32 v20, v8
	v_cmp_ne_u16_sdwa s4, v39, v82 src0_sel:BYTE_1 src1_sel:DWORD
	v_mov_b32_e32 v19, v7
	s_and_saveexec_b32 s15, s4
	s_cbranch_execz .LBB235_1562
; %bb.1557:                             ;   in Loop: Header=BB235_934 Depth=1
	v_mov_b32_e32 v5, 0xffff
	v_mov_b32_e32 v9, v6
	;; [unrolled: 1-line block ×3, first 2 shown]
	s_mov_b32 s16, exec_lo
	v_and_b32_sdwa v5, v5, v39 dst_sel:DWORD dst_unused:UNUSED_PAD src0_sel:DWORD src1_sel:BYTE_1
	v_mov_b32_e32 v19, v9
	v_and_b32_e32 v21, 0x7f, v5
	v_cmpx_ne_u32_e32 0x7f, v21
	s_cbranch_execz .LBB235_1561
; %bb.1558:                             ;   in Loop: Header=BB235_934 Depth=1
	v_and_b32_e32 v5, 7, v5
	v_lshrrev_b32_e32 v7, 3, v21
	s_mov_b32 s17, exec_lo
	v_cmpx_gt_u32_e32 8, v21
; %bb.1559:                             ;   in Loop: Header=BB235_934 Depth=1
	v_ffbh_u32_e32 v7, v5
	v_min_u32_e32 v7, 32, v7
	v_subrev_nc_u32_e32 v9, 28, v7
	v_sub_nc_u32_e32 v7, 29, v7
	v_lshlrev_b64 v[19:20], v9, v[5:6]
	v_and_b32_e32 v5, 7, v19
; %bb.1560:                             ;   in Loop: Header=BB235_934 Depth=1
	s_or_b32 exec_lo, exec_lo, s17
	v_lshlrev_b32_e32 v9, 16, v39
	v_lshlrev_b32_e32 v5, 20, v5
	v_lshl_add_u32 v7, v7, 23, 0x3c000000
	v_mov_b32_e32 v19, v6
	v_and_b32_e32 v9, 0x80000000, v9
	v_or3_b32 v20, v5, v9, v7
.LBB235_1561:                           ;   in Loop: Header=BB235_934 Depth=1
	s_or_b32 exec_lo, exec_lo, s16
.LBB235_1562:                           ;   in Loop: Header=BB235_934 Depth=1
	s_or_b32 exec_lo, exec_lo, s15
.LBB235_1563:                           ;   in Loop: Header=BB235_934 Depth=1
	s_or_b32 exec_lo, exec_lo, s13
	v_mov_b32_e32 v21, 0
	v_mov_b32_e32 v23, 0
	v_and_b32_sdwa v5, v39, v84 dst_sel:DWORD dst_unused:UNUSED_PAD src0_sel:WORD_1 src1_sel:DWORD
	v_mov_b32_e32 v22, 0
	v_mov_b32_e32 v24, 0
	s_mov_b32 s13, exec_lo
	v_cmpx_ne_u16_e32 0, v5
	s_cbranch_execz .LBB235_1571
; %bb.1564:                             ;   in Loop: Header=BB235_934 Depth=1
	v_bfrev_b32_e32 v23, 1
	v_mov_b32_e32 v24, 0
	s_mov_b32 s15, exec_lo
	v_cmpx_ne_u16_e32 0x80, v5
	s_cbranch_execz .LBB235_1570
; %bb.1565:                             ;   in Loop: Header=BB235_934 Depth=1
	v_mov_b32_e32 v23, 0x7f800001
	v_bfe_u32 v9, v39, 16, 7
	v_mov_b32_e32 v24, 0
	s_mov_b32 s16, exec_lo
	v_cmpx_ne_u32_e32 0x7f, v9
	s_cbranch_execz .LBB235_1569
; %bb.1566:                             ;   in Loop: Header=BB235_934 Depth=1
	v_mov_b32_e32 v5, 7
	v_lshrrev_b32_e32 v7, 3, v9
	s_mov_b32 s17, exec_lo
	v_and_b32_sdwa v5, v39, v5 dst_sel:DWORD dst_unused:UNUSED_PAD src0_sel:WORD_1 src1_sel:DWORD
	v_cmpx_gt_u32_e32 8, v9
; %bb.1567:                             ;   in Loop: Header=BB235_934 Depth=1
	v_ffbh_u32_e32 v7, v5
	v_min_u32_e32 v7, 32, v7
	v_subrev_nc_u32_e32 v9, 28, v7
	v_sub_nc_u32_e32 v7, 29, v7
	v_lshlrev_b64 v[23:24], v9, v[5:6]
	v_and_b32_e32 v5, 7, v23
; %bb.1568:                             ;   in Loop: Header=BB235_934 Depth=1
	s_or_b32 exec_lo, exec_lo, s17
	v_mov_b32_e32 v9, 24
	v_lshlrev_b32_e32 v5, 20, v5
	v_lshl_add_u32 v7, v7, 23, 0x3c000000
	v_lshlrev_b32_sdwa v9, v9, v39 dst_sel:DWORD dst_unused:UNUSED_PAD src0_sel:DWORD src1_sel:WORD_1
	v_and_b32_e32 v9, 0x80000000, v9
	v_or3_b32 v5, v5, v9, v7
	v_mov_b32_e32 v24, v6
	v_mov_b32_e32 v23, v5
.LBB235_1569:                           ;   in Loop: Header=BB235_934 Depth=1
	s_or_b32 exec_lo, exec_lo, s16
.LBB235_1570:                           ;   in Loop: Header=BB235_934 Depth=1
	s_or_b32 exec_lo, exec_lo, s15
.LBB235_1571:                           ;   in Loop: Header=BB235_934 Depth=1
	s_or_b32 exec_lo, exec_lo, s13
	s_mov_b32 s13, exec_lo
	v_cmpx_lt_u32_e32 0xffffff, v39
	s_cbranch_execz .LBB235_1579
; %bb.1572:                             ;   in Loop: Header=BB235_934 Depth=1
	v_mov_b32_e32 v7, v6
	v_mov_b32_e32 v22, v8
	v_cmp_ne_u32_sdwa s4, v39, v82 src0_sel:BYTE_3 src1_sel:DWORD
	v_mov_b32_e32 v21, v7
	s_and_saveexec_b32 s15, s4
	s_cbranch_execz .LBB235_1578
; %bb.1573:                             ;   in Loop: Header=BB235_934 Depth=1
	v_mov_b32_e32 v9, v6
	v_mov_b32_e32 v22, v10
	v_bfe_u32 v48, v39, 24, 7
	s_mov_b32 s16, exec_lo
	v_mov_b32_e32 v21, v9
	v_cmpx_ne_u32_e32 0x7f, v48
	s_cbranch_execz .LBB235_1577
; %bb.1574:                             ;   in Loop: Header=BB235_934 Depth=1
	v_mov_b32_e32 v5, 7
	v_lshrrev_b32_e32 v7, 3, v48
	s_mov_b32 s17, exec_lo
	v_and_b32_sdwa v5, v39, v5 dst_sel:DWORD dst_unused:UNUSED_PAD src0_sel:BYTE_3 src1_sel:DWORD
	v_cmpx_gt_u32_e32 8, v48
; %bb.1575:                             ;   in Loop: Header=BB235_934 Depth=1
	v_ffbh_u32_e32 v7, v5
	v_min_u32_e32 v7, 32, v7
	v_subrev_nc_u32_e32 v9, 28, v7
	v_sub_nc_u32_e32 v7, 29, v7
	v_lshlrev_b64 v[21:22], v9, v[5:6]
	v_and_b32_e32 v5, 7, v21
; %bb.1576:                             ;   in Loop: Header=BB235_934 Depth=1
	s_or_b32 exec_lo, exec_lo, s17
	v_mov_b32_e32 v9, 24
	v_lshlrev_b32_e32 v5, 20, v5
	v_lshl_add_u32 v7, v7, 23, 0x3c000000
	v_mov_b32_e32 v21, v6
	v_lshlrev_b32_sdwa v9, v9, v39 dst_sel:DWORD dst_unused:UNUSED_PAD src0_sel:DWORD src1_sel:BYTE_3
	v_and_b32_e32 v9, 0x80000000, v9
	v_or3_b32 v22, v5, v9, v7
.LBB235_1577:                           ;   in Loop: Header=BB235_934 Depth=1
	s_or_b32 exec_lo, exec_lo, s16
.LBB235_1578:                           ;   in Loop: Header=BB235_934 Depth=1
	s_or_b32 exec_lo, exec_lo, s15
.LBB235_1579:                           ;   in Loop: Header=BB235_934 Depth=1
	s_or_b32 exec_lo, exec_lo, s13
	v_or_b32_e32 v5, v20, v18
	v_or_b32_e32 v7, v19, v17
	;; [unrolled: 1-line block ×4, first 2 shown]
	v_mul_f32_e32 v50, v98, v5
	v_mul_f32_e32 v49, v98, v7
	;; [unrolled: 1-line block ×4, first 2 shown]
	s_and_saveexec_b32 s13, vcc_lo
	s_cbranch_execz .LBB235_1581
; %bb.1580:                             ;   in Loop: Header=BB235_934 Depth=1
	v_cmp_lt_i32_e64 s4, v103, v122
	v_cndmask_b32_e64 v49, 0, v49, s4
	v_cmp_lt_i32_e64 s4, v114, v122
	v_cndmask_b32_e64 v50, 0, v50, s4
	;; [unrolled: 2-line block ×4, first 2 shown]
.LBB235_1581:                           ;   in Loop: Header=BB235_934 Depth=1
	s_or_b32 exec_lo, exec_lo, s13
	flat_load_dword v51, v[15:16] offset:384
	v_mov_b32_e32 v19, 0
	v_mov_b32_e32 v17, 0
	;; [unrolled: 1-line block ×4, first 2 shown]
	s_waitcnt vmcnt(0) lgkmcnt(0)
	v_cmp_ne_u16_sdwa s4, v51, v6 src0_sel:BYTE_0 src1_sel:DWORD
	s_and_saveexec_b32 s13, s4
	s_cbranch_execz .LBB235_1589
; %bb.1582:                             ;   in Loop: Header=BB235_934 Depth=1
	v_bfrev_b32_e32 v17, 1
	v_mov_b32_e32 v18, 0
	v_cmp_ne_u16_sdwa s4, v51, v82 src0_sel:BYTE_0 src1_sel:DWORD
	s_and_saveexec_b32 s15, s4
	s_cbranch_execz .LBB235_1588
; %bb.1583:                             ;   in Loop: Header=BB235_934 Depth=1
	v_mov_b32_e32 v17, 0x7f800001
	v_and_b32_e32 v9, 0x7f, v51
	v_mov_b32_e32 v18, 0
	s_mov_b32 s16, exec_lo
	v_cmpx_ne_u32_e32 0x7f, v9
	s_cbranch_execz .LBB235_1587
; %bb.1584:                             ;   in Loop: Header=BB235_934 Depth=1
	v_and_b32_e32 v5, 7, v51
	v_lshrrev_b32_e32 v7, 3, v9
	s_mov_b32 s17, exec_lo
	v_cmpx_gt_u32_e32 8, v9
; %bb.1585:                             ;   in Loop: Header=BB235_934 Depth=1
	v_ffbh_u32_e32 v7, v5
	v_min_u32_e32 v7, 32, v7
	v_subrev_nc_u32_e32 v9, 28, v7
	v_sub_nc_u32_e32 v7, 29, v7
	v_lshlrev_b64 v[17:18], v9, v[5:6]
	v_and_b32_e32 v5, 7, v17
; %bb.1586:                             ;   in Loop: Header=BB235_934 Depth=1
	s_or_b32 exec_lo, exec_lo, s17
	v_lshlrev_b32_e32 v9, 24, v51
	v_lshlrev_b32_e32 v5, 20, v5
	v_lshl_add_u32 v7, v7, 23, 0x3c000000
	v_and_b32_e32 v9, 0x80000000, v9
	v_or3_b32 v5, v5, v9, v7
	v_mov_b32_e32 v18, v6
	v_mov_b32_e32 v17, v5
.LBB235_1587:                           ;   in Loop: Header=BB235_934 Depth=1
	s_or_b32 exec_lo, exec_lo, s16
.LBB235_1588:                           ;   in Loop: Header=BB235_934 Depth=1
	s_or_b32 exec_lo, exec_lo, s15
.LBB235_1589:                           ;   in Loop: Header=BB235_934 Depth=1
	s_or_b32 exec_lo, exec_lo, s13
	v_cmp_ne_u16_sdwa s4, v51, v6 src0_sel:BYTE_1 src1_sel:DWORD
	s_and_saveexec_b32 s13, s4
	s_cbranch_execz .LBB235_1597
; %bb.1590:                             ;   in Loop: Header=BB235_934 Depth=1
	v_mov_b32_e32 v7, v6
	v_mov_b32_e32 v20, v8
	v_cmp_ne_u16_sdwa s4, v51, v82 src0_sel:BYTE_1 src1_sel:DWORD
	v_mov_b32_e32 v19, v7
	s_and_saveexec_b32 s15, s4
	s_cbranch_execz .LBB235_1596
; %bb.1591:                             ;   in Loop: Header=BB235_934 Depth=1
	v_mov_b32_e32 v5, 0xffff
	v_mov_b32_e32 v9, v6
	;; [unrolled: 1-line block ×3, first 2 shown]
	s_mov_b32 s16, exec_lo
	v_and_b32_sdwa v5, v5, v51 dst_sel:DWORD dst_unused:UNUSED_PAD src0_sel:DWORD src1_sel:BYTE_1
	v_mov_b32_e32 v19, v9
	v_and_b32_e32 v21, 0x7f, v5
	v_cmpx_ne_u32_e32 0x7f, v21
	s_cbranch_execz .LBB235_1595
; %bb.1592:                             ;   in Loop: Header=BB235_934 Depth=1
	v_and_b32_e32 v5, 7, v5
	v_lshrrev_b32_e32 v7, 3, v21
	s_mov_b32 s17, exec_lo
	v_cmpx_gt_u32_e32 8, v21
; %bb.1593:                             ;   in Loop: Header=BB235_934 Depth=1
	v_ffbh_u32_e32 v7, v5
	v_min_u32_e32 v7, 32, v7
	v_subrev_nc_u32_e32 v9, 28, v7
	v_sub_nc_u32_e32 v7, 29, v7
	v_lshlrev_b64 v[19:20], v9, v[5:6]
	v_and_b32_e32 v5, 7, v19
; %bb.1594:                             ;   in Loop: Header=BB235_934 Depth=1
	s_or_b32 exec_lo, exec_lo, s17
	v_lshlrev_b32_e32 v9, 16, v51
	v_lshlrev_b32_e32 v5, 20, v5
	v_lshl_add_u32 v7, v7, 23, 0x3c000000
	v_mov_b32_e32 v19, v6
	v_and_b32_e32 v9, 0x80000000, v9
	v_or3_b32 v20, v5, v9, v7
.LBB235_1595:                           ;   in Loop: Header=BB235_934 Depth=1
	s_or_b32 exec_lo, exec_lo, s16
.LBB235_1596:                           ;   in Loop: Header=BB235_934 Depth=1
	s_or_b32 exec_lo, exec_lo, s15
.LBB235_1597:                           ;   in Loop: Header=BB235_934 Depth=1
	s_or_b32 exec_lo, exec_lo, s13
	v_mov_b32_e32 v21, 0
	v_mov_b32_e32 v23, 0
	v_and_b32_sdwa v5, v51, v84 dst_sel:DWORD dst_unused:UNUSED_PAD src0_sel:WORD_1 src1_sel:DWORD
	v_mov_b32_e32 v22, 0
	v_mov_b32_e32 v24, 0
	s_mov_b32 s13, exec_lo
	v_cmpx_ne_u16_e32 0, v5
	s_cbranch_execz .LBB235_1605
; %bb.1598:                             ;   in Loop: Header=BB235_934 Depth=1
	v_bfrev_b32_e32 v23, 1
	v_mov_b32_e32 v24, 0
	s_mov_b32 s15, exec_lo
	v_cmpx_ne_u16_e32 0x80, v5
	s_cbranch_execz .LBB235_1604
; %bb.1599:                             ;   in Loop: Header=BB235_934 Depth=1
	v_mov_b32_e32 v23, 0x7f800001
	v_bfe_u32 v9, v51, 16, 7
	v_mov_b32_e32 v24, 0
	s_mov_b32 s16, exec_lo
	v_cmpx_ne_u32_e32 0x7f, v9
	s_cbranch_execz .LBB235_1603
; %bb.1600:                             ;   in Loop: Header=BB235_934 Depth=1
	v_mov_b32_e32 v5, 7
	v_lshrrev_b32_e32 v7, 3, v9
	s_mov_b32 s17, exec_lo
	v_and_b32_sdwa v5, v51, v5 dst_sel:DWORD dst_unused:UNUSED_PAD src0_sel:WORD_1 src1_sel:DWORD
	v_cmpx_gt_u32_e32 8, v9
; %bb.1601:                             ;   in Loop: Header=BB235_934 Depth=1
	v_ffbh_u32_e32 v7, v5
	v_min_u32_e32 v7, 32, v7
	v_subrev_nc_u32_e32 v9, 28, v7
	v_sub_nc_u32_e32 v7, 29, v7
	v_lshlrev_b64 v[23:24], v9, v[5:6]
	v_and_b32_e32 v5, 7, v23
; %bb.1602:                             ;   in Loop: Header=BB235_934 Depth=1
	s_or_b32 exec_lo, exec_lo, s17
	v_mov_b32_e32 v9, 24
	v_lshlrev_b32_e32 v5, 20, v5
	v_lshl_add_u32 v7, v7, 23, 0x3c000000
	v_lshlrev_b32_sdwa v9, v9, v51 dst_sel:DWORD dst_unused:UNUSED_PAD src0_sel:DWORD src1_sel:WORD_1
	v_and_b32_e32 v9, 0x80000000, v9
	v_or3_b32 v5, v5, v9, v7
	v_mov_b32_e32 v24, v6
	v_mov_b32_e32 v23, v5
.LBB235_1603:                           ;   in Loop: Header=BB235_934 Depth=1
	s_or_b32 exec_lo, exec_lo, s16
.LBB235_1604:                           ;   in Loop: Header=BB235_934 Depth=1
	s_or_b32 exec_lo, exec_lo, s15
.LBB235_1605:                           ;   in Loop: Header=BB235_934 Depth=1
	s_or_b32 exec_lo, exec_lo, s13
	s_mov_b32 s13, exec_lo
	v_cmpx_lt_u32_e32 0xffffff, v51
	s_cbranch_execz .LBB235_1613
; %bb.1606:                             ;   in Loop: Header=BB235_934 Depth=1
	v_mov_b32_e32 v7, v6
	v_mov_b32_e32 v22, v8
	v_cmp_ne_u32_sdwa s4, v51, v82 src0_sel:BYTE_3 src1_sel:DWORD
	v_mov_b32_e32 v21, v7
	s_and_saveexec_b32 s15, s4
	s_cbranch_execz .LBB235_1612
; %bb.1607:                             ;   in Loop: Header=BB235_934 Depth=1
	v_mov_b32_e32 v9, v6
	v_mov_b32_e32 v22, v10
	v_bfe_u32 v52, v51, 24, 7
	s_mov_b32 s16, exec_lo
	v_mov_b32_e32 v21, v9
	v_cmpx_ne_u32_e32 0x7f, v52
	s_cbranch_execz .LBB235_1611
; %bb.1608:                             ;   in Loop: Header=BB235_934 Depth=1
	v_mov_b32_e32 v5, 7
	v_lshrrev_b32_e32 v7, 3, v52
	s_mov_b32 s17, exec_lo
	v_and_b32_sdwa v5, v51, v5 dst_sel:DWORD dst_unused:UNUSED_PAD src0_sel:BYTE_3 src1_sel:DWORD
	v_cmpx_gt_u32_e32 8, v52
; %bb.1609:                             ;   in Loop: Header=BB235_934 Depth=1
	v_ffbh_u32_e32 v7, v5
	v_min_u32_e32 v7, 32, v7
	v_subrev_nc_u32_e32 v9, 28, v7
	v_sub_nc_u32_e32 v7, 29, v7
	v_lshlrev_b64 v[21:22], v9, v[5:6]
	v_and_b32_e32 v5, 7, v21
; %bb.1610:                             ;   in Loop: Header=BB235_934 Depth=1
	s_or_b32 exec_lo, exec_lo, s17
	v_mov_b32_e32 v9, 24
	v_lshlrev_b32_e32 v5, 20, v5
	v_lshl_add_u32 v7, v7, 23, 0x3c000000
	v_mov_b32_e32 v21, v6
	v_lshlrev_b32_sdwa v9, v9, v51 dst_sel:DWORD dst_unused:UNUSED_PAD src0_sel:DWORD src1_sel:BYTE_3
	v_and_b32_e32 v9, 0x80000000, v9
	v_or3_b32 v22, v5, v9, v7
.LBB235_1611:                           ;   in Loop: Header=BB235_934 Depth=1
	s_or_b32 exec_lo, exec_lo, s16
.LBB235_1612:                           ;   in Loop: Header=BB235_934 Depth=1
	s_or_b32 exec_lo, exec_lo, s15
.LBB235_1613:                           ;   in Loop: Header=BB235_934 Depth=1
	s_or_b32 exec_lo, exec_lo, s13
	v_or_b32_e32 v5, v20, v18
	v_or_b32_e32 v7, v19, v17
	;; [unrolled: 1-line block ×4, first 2 shown]
	v_mul_f32_e32 v54, v98, v5
	v_mul_f32_e32 v53, v98, v7
	;; [unrolled: 1-line block ×4, first 2 shown]
	s_and_saveexec_b32 s13, vcc_lo
	s_cbranch_execz .LBB235_1615
; %bb.1614:                             ;   in Loop: Header=BB235_934 Depth=1
	v_cmp_lt_i32_e64 s4, v103, v122
	v_cndmask_b32_e64 v53, 0, v53, s4
	v_cmp_lt_i32_e64 s4, v114, v122
	v_cndmask_b32_e64 v54, 0, v54, s4
	;; [unrolled: 2-line block ×4, first 2 shown]
.LBB235_1615:                           ;   in Loop: Header=BB235_934 Depth=1
	s_or_b32 exec_lo, exec_lo, s13
	flat_load_dword v55, v[15:16] offset:512
	v_mov_b32_e32 v19, 0
	v_mov_b32_e32 v17, 0
	;; [unrolled: 1-line block ×4, first 2 shown]
	s_waitcnt vmcnt(0) lgkmcnt(0)
	v_cmp_ne_u16_sdwa s4, v55, v6 src0_sel:BYTE_0 src1_sel:DWORD
	s_and_saveexec_b32 s13, s4
	s_cbranch_execz .LBB235_1623
; %bb.1616:                             ;   in Loop: Header=BB235_934 Depth=1
	v_bfrev_b32_e32 v17, 1
	v_mov_b32_e32 v18, 0
	v_cmp_ne_u16_sdwa s4, v55, v82 src0_sel:BYTE_0 src1_sel:DWORD
	s_and_saveexec_b32 s15, s4
	s_cbranch_execz .LBB235_1622
; %bb.1617:                             ;   in Loop: Header=BB235_934 Depth=1
	v_mov_b32_e32 v17, 0x7f800001
	v_and_b32_e32 v9, 0x7f, v55
	v_mov_b32_e32 v18, 0
	s_mov_b32 s16, exec_lo
	v_cmpx_ne_u32_e32 0x7f, v9
	s_cbranch_execz .LBB235_1621
; %bb.1618:                             ;   in Loop: Header=BB235_934 Depth=1
	v_and_b32_e32 v5, 7, v55
	v_lshrrev_b32_e32 v7, 3, v9
	s_mov_b32 s17, exec_lo
	v_cmpx_gt_u32_e32 8, v9
; %bb.1619:                             ;   in Loop: Header=BB235_934 Depth=1
	v_ffbh_u32_e32 v7, v5
	v_min_u32_e32 v7, 32, v7
	v_subrev_nc_u32_e32 v9, 28, v7
	v_sub_nc_u32_e32 v7, 29, v7
	v_lshlrev_b64 v[17:18], v9, v[5:6]
	v_and_b32_e32 v5, 7, v17
; %bb.1620:                             ;   in Loop: Header=BB235_934 Depth=1
	s_or_b32 exec_lo, exec_lo, s17
	v_lshlrev_b32_e32 v9, 24, v55
	v_lshlrev_b32_e32 v5, 20, v5
	v_lshl_add_u32 v7, v7, 23, 0x3c000000
	v_and_b32_e32 v9, 0x80000000, v9
	v_or3_b32 v5, v5, v9, v7
	v_mov_b32_e32 v18, v6
	v_mov_b32_e32 v17, v5
.LBB235_1621:                           ;   in Loop: Header=BB235_934 Depth=1
	s_or_b32 exec_lo, exec_lo, s16
.LBB235_1622:                           ;   in Loop: Header=BB235_934 Depth=1
	s_or_b32 exec_lo, exec_lo, s15
.LBB235_1623:                           ;   in Loop: Header=BB235_934 Depth=1
	s_or_b32 exec_lo, exec_lo, s13
	v_cmp_ne_u16_sdwa s4, v55, v6 src0_sel:BYTE_1 src1_sel:DWORD
	s_and_saveexec_b32 s13, s4
	s_cbranch_execz .LBB235_1631
; %bb.1624:                             ;   in Loop: Header=BB235_934 Depth=1
	v_mov_b32_e32 v7, v6
	v_mov_b32_e32 v20, v8
	v_cmp_ne_u16_sdwa s4, v55, v82 src0_sel:BYTE_1 src1_sel:DWORD
	v_mov_b32_e32 v19, v7
	s_and_saveexec_b32 s15, s4
	s_cbranch_execz .LBB235_1630
; %bb.1625:                             ;   in Loop: Header=BB235_934 Depth=1
	v_mov_b32_e32 v5, 0xffff
	v_mov_b32_e32 v9, v6
	;; [unrolled: 1-line block ×3, first 2 shown]
	s_mov_b32 s16, exec_lo
	v_and_b32_sdwa v5, v5, v55 dst_sel:DWORD dst_unused:UNUSED_PAD src0_sel:DWORD src1_sel:BYTE_1
	v_mov_b32_e32 v19, v9
	v_and_b32_e32 v21, 0x7f, v5
	v_cmpx_ne_u32_e32 0x7f, v21
	s_cbranch_execz .LBB235_1629
; %bb.1626:                             ;   in Loop: Header=BB235_934 Depth=1
	v_and_b32_e32 v5, 7, v5
	v_lshrrev_b32_e32 v7, 3, v21
	s_mov_b32 s17, exec_lo
	v_cmpx_gt_u32_e32 8, v21
; %bb.1627:                             ;   in Loop: Header=BB235_934 Depth=1
	v_ffbh_u32_e32 v7, v5
	v_min_u32_e32 v7, 32, v7
	v_subrev_nc_u32_e32 v9, 28, v7
	v_sub_nc_u32_e32 v7, 29, v7
	v_lshlrev_b64 v[19:20], v9, v[5:6]
	v_and_b32_e32 v5, 7, v19
; %bb.1628:                             ;   in Loop: Header=BB235_934 Depth=1
	s_or_b32 exec_lo, exec_lo, s17
	v_lshlrev_b32_e32 v9, 16, v55
	v_lshlrev_b32_e32 v5, 20, v5
	v_lshl_add_u32 v7, v7, 23, 0x3c000000
	v_mov_b32_e32 v19, v6
	v_and_b32_e32 v9, 0x80000000, v9
	v_or3_b32 v20, v5, v9, v7
.LBB235_1629:                           ;   in Loop: Header=BB235_934 Depth=1
	s_or_b32 exec_lo, exec_lo, s16
.LBB235_1630:                           ;   in Loop: Header=BB235_934 Depth=1
	s_or_b32 exec_lo, exec_lo, s15
.LBB235_1631:                           ;   in Loop: Header=BB235_934 Depth=1
	s_or_b32 exec_lo, exec_lo, s13
	v_mov_b32_e32 v21, 0
	v_mov_b32_e32 v23, 0
	v_and_b32_sdwa v5, v55, v84 dst_sel:DWORD dst_unused:UNUSED_PAD src0_sel:WORD_1 src1_sel:DWORD
	v_mov_b32_e32 v22, 0
	v_mov_b32_e32 v24, 0
	s_mov_b32 s13, exec_lo
	v_cmpx_ne_u16_e32 0, v5
	s_cbranch_execz .LBB235_1639
; %bb.1632:                             ;   in Loop: Header=BB235_934 Depth=1
	v_bfrev_b32_e32 v23, 1
	v_mov_b32_e32 v24, 0
	s_mov_b32 s15, exec_lo
	v_cmpx_ne_u16_e32 0x80, v5
	s_cbranch_execz .LBB235_1638
; %bb.1633:                             ;   in Loop: Header=BB235_934 Depth=1
	v_mov_b32_e32 v23, 0x7f800001
	v_bfe_u32 v9, v55, 16, 7
	v_mov_b32_e32 v24, 0
	s_mov_b32 s16, exec_lo
	v_cmpx_ne_u32_e32 0x7f, v9
	s_cbranch_execz .LBB235_1637
; %bb.1634:                             ;   in Loop: Header=BB235_934 Depth=1
	v_mov_b32_e32 v5, 7
	v_lshrrev_b32_e32 v7, 3, v9
	s_mov_b32 s17, exec_lo
	v_and_b32_sdwa v5, v55, v5 dst_sel:DWORD dst_unused:UNUSED_PAD src0_sel:WORD_1 src1_sel:DWORD
	v_cmpx_gt_u32_e32 8, v9
; %bb.1635:                             ;   in Loop: Header=BB235_934 Depth=1
	v_ffbh_u32_e32 v7, v5
	v_min_u32_e32 v7, 32, v7
	v_subrev_nc_u32_e32 v9, 28, v7
	v_sub_nc_u32_e32 v7, 29, v7
	v_lshlrev_b64 v[23:24], v9, v[5:6]
	v_and_b32_e32 v5, 7, v23
; %bb.1636:                             ;   in Loop: Header=BB235_934 Depth=1
	s_or_b32 exec_lo, exec_lo, s17
	v_mov_b32_e32 v9, 24
	v_lshlrev_b32_e32 v5, 20, v5
	v_lshl_add_u32 v7, v7, 23, 0x3c000000
	v_lshlrev_b32_sdwa v9, v9, v55 dst_sel:DWORD dst_unused:UNUSED_PAD src0_sel:DWORD src1_sel:WORD_1
	v_and_b32_e32 v9, 0x80000000, v9
	v_or3_b32 v5, v5, v9, v7
	v_mov_b32_e32 v24, v6
	v_mov_b32_e32 v23, v5
.LBB235_1637:                           ;   in Loop: Header=BB235_934 Depth=1
	s_or_b32 exec_lo, exec_lo, s16
.LBB235_1638:                           ;   in Loop: Header=BB235_934 Depth=1
	s_or_b32 exec_lo, exec_lo, s15
.LBB235_1639:                           ;   in Loop: Header=BB235_934 Depth=1
	s_or_b32 exec_lo, exec_lo, s13
	s_mov_b32 s13, exec_lo
	v_cmpx_lt_u32_e32 0xffffff, v55
	s_cbranch_execz .LBB235_1647
; %bb.1640:                             ;   in Loop: Header=BB235_934 Depth=1
	v_mov_b32_e32 v7, v6
	v_mov_b32_e32 v22, v8
	v_cmp_ne_u32_sdwa s4, v55, v82 src0_sel:BYTE_3 src1_sel:DWORD
	v_mov_b32_e32 v21, v7
	s_and_saveexec_b32 s15, s4
	s_cbranch_execz .LBB235_1646
; %bb.1641:                             ;   in Loop: Header=BB235_934 Depth=1
	v_mov_b32_e32 v9, v6
	v_mov_b32_e32 v22, v10
	v_bfe_u32 v64, v55, 24, 7
	s_mov_b32 s16, exec_lo
	v_mov_b32_e32 v21, v9
	v_cmpx_ne_u32_e32 0x7f, v64
	s_cbranch_execz .LBB235_1645
; %bb.1642:                             ;   in Loop: Header=BB235_934 Depth=1
	v_mov_b32_e32 v5, 7
	v_lshrrev_b32_e32 v7, 3, v64
	s_mov_b32 s17, exec_lo
	v_and_b32_sdwa v5, v55, v5 dst_sel:DWORD dst_unused:UNUSED_PAD src0_sel:BYTE_3 src1_sel:DWORD
	v_cmpx_gt_u32_e32 8, v64
; %bb.1643:                             ;   in Loop: Header=BB235_934 Depth=1
	v_ffbh_u32_e32 v7, v5
	v_min_u32_e32 v7, 32, v7
	v_subrev_nc_u32_e32 v9, 28, v7
	v_sub_nc_u32_e32 v7, 29, v7
	v_lshlrev_b64 v[21:22], v9, v[5:6]
	v_and_b32_e32 v5, 7, v21
; %bb.1644:                             ;   in Loop: Header=BB235_934 Depth=1
	s_or_b32 exec_lo, exec_lo, s17
	v_mov_b32_e32 v9, 24
	v_lshlrev_b32_e32 v5, 20, v5
	v_lshl_add_u32 v7, v7, 23, 0x3c000000
	v_mov_b32_e32 v21, v6
	v_lshlrev_b32_sdwa v9, v9, v55 dst_sel:DWORD dst_unused:UNUSED_PAD src0_sel:DWORD src1_sel:BYTE_3
	v_and_b32_e32 v9, 0x80000000, v9
	v_or3_b32 v22, v5, v9, v7
.LBB235_1645:                           ;   in Loop: Header=BB235_934 Depth=1
	s_or_b32 exec_lo, exec_lo, s16
.LBB235_1646:                           ;   in Loop: Header=BB235_934 Depth=1
	s_or_b32 exec_lo, exec_lo, s15
.LBB235_1647:                           ;   in Loop: Header=BB235_934 Depth=1
	s_or_b32 exec_lo, exec_lo, s13
	v_or_b32_e32 v5, v20, v18
	v_or_b32_e32 v7, v19, v17
	;; [unrolled: 1-line block ×4, first 2 shown]
	v_mul_f32_e32 v66, v98, v5
	v_mul_f32_e32 v65, v98, v7
	;; [unrolled: 1-line block ×4, first 2 shown]
	s_and_saveexec_b32 s13, vcc_lo
	s_cbranch_execz .LBB235_1649
; %bb.1648:                             ;   in Loop: Header=BB235_934 Depth=1
	v_cmp_lt_i32_e64 s4, v103, v122
	v_cndmask_b32_e64 v65, 0, v65, s4
	v_cmp_lt_i32_e64 s4, v114, v122
	v_cndmask_b32_e64 v66, 0, v66, s4
	;; [unrolled: 2-line block ×4, first 2 shown]
.LBB235_1649:                           ;   in Loop: Header=BB235_934 Depth=1
	s_or_b32 exec_lo, exec_lo, s13
	flat_load_dword v67, v[15:16] offset:640
	v_mov_b32_e32 v19, 0
	v_mov_b32_e32 v17, 0
	;; [unrolled: 1-line block ×4, first 2 shown]
	s_waitcnt vmcnt(0) lgkmcnt(0)
	v_cmp_ne_u16_sdwa s4, v67, v6 src0_sel:BYTE_0 src1_sel:DWORD
	s_and_saveexec_b32 s13, s4
	s_cbranch_execz .LBB235_1657
; %bb.1650:                             ;   in Loop: Header=BB235_934 Depth=1
	v_bfrev_b32_e32 v17, 1
	v_mov_b32_e32 v18, 0
	v_cmp_ne_u16_sdwa s4, v67, v82 src0_sel:BYTE_0 src1_sel:DWORD
	s_and_saveexec_b32 s15, s4
	s_cbranch_execz .LBB235_1656
; %bb.1651:                             ;   in Loop: Header=BB235_934 Depth=1
	v_mov_b32_e32 v17, 0x7f800001
	v_and_b32_e32 v9, 0x7f, v67
	v_mov_b32_e32 v18, 0
	s_mov_b32 s16, exec_lo
	v_cmpx_ne_u32_e32 0x7f, v9
	s_cbranch_execz .LBB235_1655
; %bb.1652:                             ;   in Loop: Header=BB235_934 Depth=1
	v_and_b32_e32 v5, 7, v67
	v_lshrrev_b32_e32 v7, 3, v9
	s_mov_b32 s17, exec_lo
	v_cmpx_gt_u32_e32 8, v9
; %bb.1653:                             ;   in Loop: Header=BB235_934 Depth=1
	v_ffbh_u32_e32 v7, v5
	v_min_u32_e32 v7, 32, v7
	v_subrev_nc_u32_e32 v9, 28, v7
	v_sub_nc_u32_e32 v7, 29, v7
	v_lshlrev_b64 v[17:18], v9, v[5:6]
	v_and_b32_e32 v5, 7, v17
; %bb.1654:                             ;   in Loop: Header=BB235_934 Depth=1
	s_or_b32 exec_lo, exec_lo, s17
	v_lshlrev_b32_e32 v9, 24, v67
	v_lshlrev_b32_e32 v5, 20, v5
	v_lshl_add_u32 v7, v7, 23, 0x3c000000
	v_and_b32_e32 v9, 0x80000000, v9
	v_or3_b32 v5, v5, v9, v7
	v_mov_b32_e32 v18, v6
	v_mov_b32_e32 v17, v5
.LBB235_1655:                           ;   in Loop: Header=BB235_934 Depth=1
	s_or_b32 exec_lo, exec_lo, s16
.LBB235_1656:                           ;   in Loop: Header=BB235_934 Depth=1
	s_or_b32 exec_lo, exec_lo, s15
.LBB235_1657:                           ;   in Loop: Header=BB235_934 Depth=1
	s_or_b32 exec_lo, exec_lo, s13
	v_cmp_ne_u16_sdwa s4, v67, v6 src0_sel:BYTE_1 src1_sel:DWORD
	s_and_saveexec_b32 s13, s4
	s_cbranch_execz .LBB235_1665
; %bb.1658:                             ;   in Loop: Header=BB235_934 Depth=1
	v_mov_b32_e32 v7, v6
	v_mov_b32_e32 v20, v8
	v_cmp_ne_u16_sdwa s4, v67, v82 src0_sel:BYTE_1 src1_sel:DWORD
	v_mov_b32_e32 v19, v7
	s_and_saveexec_b32 s15, s4
	s_cbranch_execz .LBB235_1664
; %bb.1659:                             ;   in Loop: Header=BB235_934 Depth=1
	v_mov_b32_e32 v5, 0xffff
	v_mov_b32_e32 v9, v6
	;; [unrolled: 1-line block ×3, first 2 shown]
	s_mov_b32 s16, exec_lo
	v_and_b32_sdwa v5, v5, v67 dst_sel:DWORD dst_unused:UNUSED_PAD src0_sel:DWORD src1_sel:BYTE_1
	v_mov_b32_e32 v19, v9
	v_and_b32_e32 v21, 0x7f, v5
	v_cmpx_ne_u32_e32 0x7f, v21
	s_cbranch_execz .LBB235_1663
; %bb.1660:                             ;   in Loop: Header=BB235_934 Depth=1
	v_and_b32_e32 v5, 7, v5
	v_lshrrev_b32_e32 v7, 3, v21
	s_mov_b32 s17, exec_lo
	v_cmpx_gt_u32_e32 8, v21
; %bb.1661:                             ;   in Loop: Header=BB235_934 Depth=1
	v_ffbh_u32_e32 v7, v5
	v_min_u32_e32 v7, 32, v7
	v_subrev_nc_u32_e32 v9, 28, v7
	v_sub_nc_u32_e32 v7, 29, v7
	v_lshlrev_b64 v[19:20], v9, v[5:6]
	v_and_b32_e32 v5, 7, v19
; %bb.1662:                             ;   in Loop: Header=BB235_934 Depth=1
	s_or_b32 exec_lo, exec_lo, s17
	v_lshlrev_b32_e32 v9, 16, v67
	v_lshlrev_b32_e32 v5, 20, v5
	v_lshl_add_u32 v7, v7, 23, 0x3c000000
	v_mov_b32_e32 v19, v6
	v_and_b32_e32 v9, 0x80000000, v9
	v_or3_b32 v20, v5, v9, v7
.LBB235_1663:                           ;   in Loop: Header=BB235_934 Depth=1
	s_or_b32 exec_lo, exec_lo, s16
.LBB235_1664:                           ;   in Loop: Header=BB235_934 Depth=1
	s_or_b32 exec_lo, exec_lo, s15
.LBB235_1665:                           ;   in Loop: Header=BB235_934 Depth=1
	s_or_b32 exec_lo, exec_lo, s13
	v_mov_b32_e32 v21, 0
	v_mov_b32_e32 v23, 0
	v_and_b32_sdwa v5, v67, v84 dst_sel:DWORD dst_unused:UNUSED_PAD src0_sel:WORD_1 src1_sel:DWORD
	v_mov_b32_e32 v22, 0
	v_mov_b32_e32 v24, 0
	s_mov_b32 s13, exec_lo
	v_cmpx_ne_u16_e32 0, v5
	s_cbranch_execz .LBB235_1673
; %bb.1666:                             ;   in Loop: Header=BB235_934 Depth=1
	v_bfrev_b32_e32 v23, 1
	v_mov_b32_e32 v24, 0
	s_mov_b32 s15, exec_lo
	v_cmpx_ne_u16_e32 0x80, v5
	s_cbranch_execz .LBB235_1672
; %bb.1667:                             ;   in Loop: Header=BB235_934 Depth=1
	v_mov_b32_e32 v23, 0x7f800001
	v_bfe_u32 v9, v67, 16, 7
	v_mov_b32_e32 v24, 0
	s_mov_b32 s16, exec_lo
	v_cmpx_ne_u32_e32 0x7f, v9
	s_cbranch_execz .LBB235_1671
; %bb.1668:                             ;   in Loop: Header=BB235_934 Depth=1
	v_mov_b32_e32 v5, 7
	v_lshrrev_b32_e32 v7, 3, v9
	s_mov_b32 s17, exec_lo
	v_and_b32_sdwa v5, v67, v5 dst_sel:DWORD dst_unused:UNUSED_PAD src0_sel:WORD_1 src1_sel:DWORD
	v_cmpx_gt_u32_e32 8, v9
; %bb.1669:                             ;   in Loop: Header=BB235_934 Depth=1
	v_ffbh_u32_e32 v7, v5
	v_min_u32_e32 v7, 32, v7
	v_subrev_nc_u32_e32 v9, 28, v7
	v_sub_nc_u32_e32 v7, 29, v7
	v_lshlrev_b64 v[23:24], v9, v[5:6]
	v_and_b32_e32 v5, 7, v23
; %bb.1670:                             ;   in Loop: Header=BB235_934 Depth=1
	s_or_b32 exec_lo, exec_lo, s17
	v_mov_b32_e32 v9, 24
	v_lshlrev_b32_e32 v5, 20, v5
	v_lshl_add_u32 v7, v7, 23, 0x3c000000
	v_lshlrev_b32_sdwa v9, v9, v67 dst_sel:DWORD dst_unused:UNUSED_PAD src0_sel:DWORD src1_sel:WORD_1
	v_and_b32_e32 v9, 0x80000000, v9
	v_or3_b32 v5, v5, v9, v7
	v_mov_b32_e32 v24, v6
	v_mov_b32_e32 v23, v5
.LBB235_1671:                           ;   in Loop: Header=BB235_934 Depth=1
	s_or_b32 exec_lo, exec_lo, s16
.LBB235_1672:                           ;   in Loop: Header=BB235_934 Depth=1
	s_or_b32 exec_lo, exec_lo, s15
.LBB235_1673:                           ;   in Loop: Header=BB235_934 Depth=1
	s_or_b32 exec_lo, exec_lo, s13
	s_mov_b32 s13, exec_lo
	v_cmpx_lt_u32_e32 0xffffff, v67
	s_cbranch_execz .LBB235_1681
; %bb.1674:                             ;   in Loop: Header=BB235_934 Depth=1
	v_mov_b32_e32 v7, v6
	v_mov_b32_e32 v22, v8
	v_cmp_ne_u32_sdwa s4, v67, v82 src0_sel:BYTE_3 src1_sel:DWORD
	v_mov_b32_e32 v21, v7
	s_and_saveexec_b32 s15, s4
	s_cbranch_execz .LBB235_1680
; %bb.1675:                             ;   in Loop: Header=BB235_934 Depth=1
	v_mov_b32_e32 v9, v6
	v_mov_b32_e32 v22, v10
	v_bfe_u32 v68, v67, 24, 7
	s_mov_b32 s16, exec_lo
	v_mov_b32_e32 v21, v9
	v_cmpx_ne_u32_e32 0x7f, v68
	s_cbranch_execz .LBB235_1679
; %bb.1676:                             ;   in Loop: Header=BB235_934 Depth=1
	v_mov_b32_e32 v5, 7
	v_lshrrev_b32_e32 v7, 3, v68
	s_mov_b32 s17, exec_lo
	v_and_b32_sdwa v5, v67, v5 dst_sel:DWORD dst_unused:UNUSED_PAD src0_sel:BYTE_3 src1_sel:DWORD
	v_cmpx_gt_u32_e32 8, v68
; %bb.1677:                             ;   in Loop: Header=BB235_934 Depth=1
	v_ffbh_u32_e32 v7, v5
	v_min_u32_e32 v7, 32, v7
	v_subrev_nc_u32_e32 v9, 28, v7
	v_sub_nc_u32_e32 v7, 29, v7
	v_lshlrev_b64 v[21:22], v9, v[5:6]
	v_and_b32_e32 v5, 7, v21
; %bb.1678:                             ;   in Loop: Header=BB235_934 Depth=1
	s_or_b32 exec_lo, exec_lo, s17
	v_mov_b32_e32 v9, 24
	v_lshlrev_b32_e32 v5, 20, v5
	v_lshl_add_u32 v7, v7, 23, 0x3c000000
	v_mov_b32_e32 v21, v6
	v_lshlrev_b32_sdwa v9, v9, v67 dst_sel:DWORD dst_unused:UNUSED_PAD src0_sel:DWORD src1_sel:BYTE_3
	v_and_b32_e32 v9, 0x80000000, v9
	v_or3_b32 v22, v5, v9, v7
.LBB235_1679:                           ;   in Loop: Header=BB235_934 Depth=1
	s_or_b32 exec_lo, exec_lo, s16
.LBB235_1680:                           ;   in Loop: Header=BB235_934 Depth=1
	s_or_b32 exec_lo, exec_lo, s15
.LBB235_1681:                           ;   in Loop: Header=BB235_934 Depth=1
	s_or_b32 exec_lo, exec_lo, s13
	v_or_b32_e32 v5, v20, v18
	v_or_b32_e32 v7, v19, v17
	;; [unrolled: 1-line block ×4, first 2 shown]
	v_mul_f32_e32 v70, v98, v5
	v_mul_f32_e32 v69, v98, v7
	;; [unrolled: 1-line block ×4, first 2 shown]
	s_and_saveexec_b32 s13, vcc_lo
	s_cbranch_execz .LBB235_1683
; %bb.1682:                             ;   in Loop: Header=BB235_934 Depth=1
	v_cmp_lt_i32_e64 s4, v103, v122
	v_cndmask_b32_e64 v69, 0, v69, s4
	v_cmp_lt_i32_e64 s4, v114, v122
	v_cndmask_b32_e64 v70, 0, v70, s4
	;; [unrolled: 2-line block ×4, first 2 shown]
.LBB235_1683:                           ;   in Loop: Header=BB235_934 Depth=1
	s_or_b32 exec_lo, exec_lo, s13
	flat_load_dword v71, v[15:16] offset:768
	v_mov_b32_e32 v19, 0
	v_mov_b32_e32 v17, 0
	;; [unrolled: 1-line block ×4, first 2 shown]
	s_waitcnt vmcnt(0) lgkmcnt(0)
	v_cmp_ne_u16_sdwa s4, v71, v6 src0_sel:BYTE_0 src1_sel:DWORD
	s_and_saveexec_b32 s13, s4
	s_cbranch_execz .LBB235_1691
; %bb.1684:                             ;   in Loop: Header=BB235_934 Depth=1
	v_bfrev_b32_e32 v17, 1
	v_mov_b32_e32 v18, 0
	v_cmp_ne_u16_sdwa s4, v71, v82 src0_sel:BYTE_0 src1_sel:DWORD
	s_and_saveexec_b32 s15, s4
	s_cbranch_execz .LBB235_1690
; %bb.1685:                             ;   in Loop: Header=BB235_934 Depth=1
	v_mov_b32_e32 v17, 0x7f800001
	v_and_b32_e32 v9, 0x7f, v71
	v_mov_b32_e32 v18, 0
	s_mov_b32 s16, exec_lo
	v_cmpx_ne_u32_e32 0x7f, v9
	s_cbranch_execz .LBB235_1689
; %bb.1686:                             ;   in Loop: Header=BB235_934 Depth=1
	v_and_b32_e32 v5, 7, v71
	v_lshrrev_b32_e32 v7, 3, v9
	s_mov_b32 s17, exec_lo
	v_cmpx_gt_u32_e32 8, v9
; %bb.1687:                             ;   in Loop: Header=BB235_934 Depth=1
	v_ffbh_u32_e32 v7, v5
	v_min_u32_e32 v7, 32, v7
	v_subrev_nc_u32_e32 v9, 28, v7
	v_sub_nc_u32_e32 v7, 29, v7
	v_lshlrev_b64 v[17:18], v9, v[5:6]
	v_and_b32_e32 v5, 7, v17
; %bb.1688:                             ;   in Loop: Header=BB235_934 Depth=1
	s_or_b32 exec_lo, exec_lo, s17
	v_lshlrev_b32_e32 v9, 24, v71
	v_lshlrev_b32_e32 v5, 20, v5
	v_lshl_add_u32 v7, v7, 23, 0x3c000000
	v_and_b32_e32 v9, 0x80000000, v9
	v_or3_b32 v5, v5, v9, v7
	v_mov_b32_e32 v18, v6
	v_mov_b32_e32 v17, v5
.LBB235_1689:                           ;   in Loop: Header=BB235_934 Depth=1
	s_or_b32 exec_lo, exec_lo, s16
.LBB235_1690:                           ;   in Loop: Header=BB235_934 Depth=1
	s_or_b32 exec_lo, exec_lo, s15
.LBB235_1691:                           ;   in Loop: Header=BB235_934 Depth=1
	s_or_b32 exec_lo, exec_lo, s13
	v_cmp_ne_u16_sdwa s4, v71, v6 src0_sel:BYTE_1 src1_sel:DWORD
	s_and_saveexec_b32 s13, s4
	s_cbranch_execz .LBB235_1699
; %bb.1692:                             ;   in Loop: Header=BB235_934 Depth=1
	v_mov_b32_e32 v7, v6
	v_mov_b32_e32 v20, v8
	v_cmp_ne_u16_sdwa s4, v71, v82 src0_sel:BYTE_1 src1_sel:DWORD
	v_mov_b32_e32 v19, v7
	s_and_saveexec_b32 s15, s4
	s_cbranch_execz .LBB235_1698
; %bb.1693:                             ;   in Loop: Header=BB235_934 Depth=1
	v_mov_b32_e32 v5, 0xffff
	v_mov_b32_e32 v9, v6
	;; [unrolled: 1-line block ×3, first 2 shown]
	s_mov_b32 s16, exec_lo
	v_and_b32_sdwa v5, v5, v71 dst_sel:DWORD dst_unused:UNUSED_PAD src0_sel:DWORD src1_sel:BYTE_1
	v_mov_b32_e32 v19, v9
	v_and_b32_e32 v21, 0x7f, v5
	v_cmpx_ne_u32_e32 0x7f, v21
	s_cbranch_execz .LBB235_1697
; %bb.1694:                             ;   in Loop: Header=BB235_934 Depth=1
	v_and_b32_e32 v5, 7, v5
	v_lshrrev_b32_e32 v7, 3, v21
	s_mov_b32 s17, exec_lo
	v_cmpx_gt_u32_e32 8, v21
; %bb.1695:                             ;   in Loop: Header=BB235_934 Depth=1
	v_ffbh_u32_e32 v7, v5
	v_min_u32_e32 v7, 32, v7
	v_subrev_nc_u32_e32 v9, 28, v7
	v_sub_nc_u32_e32 v7, 29, v7
	v_lshlrev_b64 v[19:20], v9, v[5:6]
	v_and_b32_e32 v5, 7, v19
; %bb.1696:                             ;   in Loop: Header=BB235_934 Depth=1
	s_or_b32 exec_lo, exec_lo, s17
	v_lshlrev_b32_e32 v9, 16, v71
	v_lshlrev_b32_e32 v5, 20, v5
	v_lshl_add_u32 v7, v7, 23, 0x3c000000
	v_mov_b32_e32 v19, v6
	v_and_b32_e32 v9, 0x80000000, v9
	v_or3_b32 v20, v5, v9, v7
.LBB235_1697:                           ;   in Loop: Header=BB235_934 Depth=1
	s_or_b32 exec_lo, exec_lo, s16
.LBB235_1698:                           ;   in Loop: Header=BB235_934 Depth=1
	s_or_b32 exec_lo, exec_lo, s15
.LBB235_1699:                           ;   in Loop: Header=BB235_934 Depth=1
	s_or_b32 exec_lo, exec_lo, s13
	v_mov_b32_e32 v21, 0
	v_mov_b32_e32 v23, 0
	v_and_b32_sdwa v5, v71, v84 dst_sel:DWORD dst_unused:UNUSED_PAD src0_sel:WORD_1 src1_sel:DWORD
	v_mov_b32_e32 v22, 0
	v_mov_b32_e32 v24, 0
	s_mov_b32 s13, exec_lo
	v_cmpx_ne_u16_e32 0, v5
	s_cbranch_execz .LBB235_1707
; %bb.1700:                             ;   in Loop: Header=BB235_934 Depth=1
	v_bfrev_b32_e32 v23, 1
	v_mov_b32_e32 v24, 0
	s_mov_b32 s15, exec_lo
	v_cmpx_ne_u16_e32 0x80, v5
	s_cbranch_execz .LBB235_1706
; %bb.1701:                             ;   in Loop: Header=BB235_934 Depth=1
	v_mov_b32_e32 v23, 0x7f800001
	v_bfe_u32 v9, v71, 16, 7
	v_mov_b32_e32 v24, 0
	s_mov_b32 s16, exec_lo
	v_cmpx_ne_u32_e32 0x7f, v9
	s_cbranch_execz .LBB235_1705
; %bb.1702:                             ;   in Loop: Header=BB235_934 Depth=1
	v_mov_b32_e32 v5, 7
	v_lshrrev_b32_e32 v7, 3, v9
	s_mov_b32 s17, exec_lo
	v_and_b32_sdwa v5, v71, v5 dst_sel:DWORD dst_unused:UNUSED_PAD src0_sel:WORD_1 src1_sel:DWORD
	v_cmpx_gt_u32_e32 8, v9
; %bb.1703:                             ;   in Loop: Header=BB235_934 Depth=1
	v_ffbh_u32_e32 v7, v5
	v_min_u32_e32 v7, 32, v7
	v_subrev_nc_u32_e32 v9, 28, v7
	v_sub_nc_u32_e32 v7, 29, v7
	v_lshlrev_b64 v[23:24], v9, v[5:6]
	v_and_b32_e32 v5, 7, v23
; %bb.1704:                             ;   in Loop: Header=BB235_934 Depth=1
	s_or_b32 exec_lo, exec_lo, s17
	v_mov_b32_e32 v9, 24
	v_lshlrev_b32_e32 v5, 20, v5
	v_lshl_add_u32 v7, v7, 23, 0x3c000000
	v_lshlrev_b32_sdwa v9, v9, v71 dst_sel:DWORD dst_unused:UNUSED_PAD src0_sel:DWORD src1_sel:WORD_1
	v_and_b32_e32 v9, 0x80000000, v9
	v_or3_b32 v5, v5, v9, v7
	v_mov_b32_e32 v24, v6
	v_mov_b32_e32 v23, v5
.LBB235_1705:                           ;   in Loop: Header=BB235_934 Depth=1
	s_or_b32 exec_lo, exec_lo, s16
.LBB235_1706:                           ;   in Loop: Header=BB235_934 Depth=1
	s_or_b32 exec_lo, exec_lo, s15
.LBB235_1707:                           ;   in Loop: Header=BB235_934 Depth=1
	s_or_b32 exec_lo, exec_lo, s13
	s_mov_b32 s13, exec_lo
	v_cmpx_lt_u32_e32 0xffffff, v71
	s_cbranch_execz .LBB235_1715
; %bb.1708:                             ;   in Loop: Header=BB235_934 Depth=1
	v_mov_b32_e32 v7, v6
	v_mov_b32_e32 v22, v8
	v_cmp_ne_u32_sdwa s4, v71, v82 src0_sel:BYTE_3 src1_sel:DWORD
	v_mov_b32_e32 v21, v7
	s_and_saveexec_b32 s15, s4
	s_cbranch_execz .LBB235_1714
; %bb.1709:                             ;   in Loop: Header=BB235_934 Depth=1
	v_mov_b32_e32 v9, v6
	v_mov_b32_e32 v22, v10
	v_bfe_u32 v83, v71, 24, 7
	s_mov_b32 s16, exec_lo
	v_mov_b32_e32 v21, v9
	v_cmpx_ne_u32_e32 0x7f, v83
	s_cbranch_execz .LBB235_1713
; %bb.1710:                             ;   in Loop: Header=BB235_934 Depth=1
	v_mov_b32_e32 v5, 7
	v_lshrrev_b32_e32 v7, 3, v83
	s_mov_b32 s17, exec_lo
	v_and_b32_sdwa v5, v71, v5 dst_sel:DWORD dst_unused:UNUSED_PAD src0_sel:BYTE_3 src1_sel:DWORD
	v_cmpx_gt_u32_e32 8, v83
; %bb.1711:                             ;   in Loop: Header=BB235_934 Depth=1
	v_ffbh_u32_e32 v7, v5
	v_min_u32_e32 v7, 32, v7
	v_subrev_nc_u32_e32 v9, 28, v7
	v_sub_nc_u32_e32 v7, 29, v7
	v_lshlrev_b64 v[21:22], v9, v[5:6]
	v_and_b32_e32 v5, 7, v21
; %bb.1712:                             ;   in Loop: Header=BB235_934 Depth=1
	s_or_b32 exec_lo, exec_lo, s17
	v_mov_b32_e32 v9, 24
	v_lshlrev_b32_e32 v5, 20, v5
	v_lshl_add_u32 v7, v7, 23, 0x3c000000
	v_mov_b32_e32 v21, v6
	v_lshlrev_b32_sdwa v9, v9, v71 dst_sel:DWORD dst_unused:UNUSED_PAD src0_sel:DWORD src1_sel:BYTE_3
	v_and_b32_e32 v9, 0x80000000, v9
	v_or3_b32 v22, v5, v9, v7
.LBB235_1713:                           ;   in Loop: Header=BB235_934 Depth=1
	s_or_b32 exec_lo, exec_lo, s16
.LBB235_1714:                           ;   in Loop: Header=BB235_934 Depth=1
	s_or_b32 exec_lo, exec_lo, s15
.LBB235_1715:                           ;   in Loop: Header=BB235_934 Depth=1
	s_or_b32 exec_lo, exec_lo, s13
	v_or_b32_e32 v5, v20, v18
	v_or_b32_e32 v7, v19, v17
	;; [unrolled: 1-line block ×4, first 2 shown]
	v_mul_f32_e32 v101, v98, v5
	v_mul_f32_e32 v100, v98, v7
	;; [unrolled: 1-line block ×4, first 2 shown]
	s_and_saveexec_b32 s13, vcc_lo
	s_cbranch_execz .LBB235_1717
; %bb.1716:                             ;   in Loop: Header=BB235_934 Depth=1
	v_cmp_lt_i32_e64 s4, v103, v122
	v_cndmask_b32_e64 v100, 0, v100, s4
	v_cmp_lt_i32_e64 s4, v114, v122
	v_cndmask_b32_e64 v101, 0, v101, s4
	;; [unrolled: 2-line block ×4, first 2 shown]
.LBB235_1717:                           ;   in Loop: Header=BB235_934 Depth=1
	s_or_b32 exec_lo, exec_lo, s13
	flat_load_dword v83, v[15:16] offset:896
	v_mov_b32_e32 v19, 0
	v_mov_b32_e32 v17, 0
	;; [unrolled: 1-line block ×4, first 2 shown]
	s_waitcnt vmcnt(0) lgkmcnt(0)
	v_cmp_ne_u16_sdwa s4, v83, v6 src0_sel:BYTE_0 src1_sel:DWORD
	s_and_saveexec_b32 s13, s4
	s_cbranch_execz .LBB235_1725
; %bb.1718:                             ;   in Loop: Header=BB235_934 Depth=1
	v_bfrev_b32_e32 v17, 1
	v_mov_b32_e32 v18, 0
	v_cmp_ne_u16_sdwa s4, v83, v82 src0_sel:BYTE_0 src1_sel:DWORD
	s_and_saveexec_b32 s15, s4
	s_cbranch_execz .LBB235_1724
; %bb.1719:                             ;   in Loop: Header=BB235_934 Depth=1
	v_mov_b32_e32 v17, 0x7f800001
	v_and_b32_e32 v9, 0x7f, v83
	v_mov_b32_e32 v18, 0
	s_mov_b32 s16, exec_lo
	v_cmpx_ne_u32_e32 0x7f, v9
	s_cbranch_execz .LBB235_1723
; %bb.1720:                             ;   in Loop: Header=BB235_934 Depth=1
	v_and_b32_e32 v5, 7, v83
	v_lshrrev_b32_e32 v7, 3, v9
	s_mov_b32 s17, exec_lo
	v_cmpx_gt_u32_e32 8, v9
; %bb.1721:                             ;   in Loop: Header=BB235_934 Depth=1
	v_ffbh_u32_e32 v7, v5
	v_min_u32_e32 v7, 32, v7
	v_subrev_nc_u32_e32 v9, 28, v7
	v_sub_nc_u32_e32 v7, 29, v7
	v_lshlrev_b64 v[17:18], v9, v[5:6]
	v_and_b32_e32 v5, 7, v17
; %bb.1722:                             ;   in Loop: Header=BB235_934 Depth=1
	s_or_b32 exec_lo, exec_lo, s17
	v_lshlrev_b32_e32 v9, 24, v83
	v_lshlrev_b32_e32 v5, 20, v5
	v_lshl_add_u32 v7, v7, 23, 0x3c000000
	v_and_b32_e32 v9, 0x80000000, v9
	v_or3_b32 v5, v5, v9, v7
	v_mov_b32_e32 v18, v6
	v_mov_b32_e32 v17, v5
.LBB235_1723:                           ;   in Loop: Header=BB235_934 Depth=1
	s_or_b32 exec_lo, exec_lo, s16
.LBB235_1724:                           ;   in Loop: Header=BB235_934 Depth=1
	s_or_b32 exec_lo, exec_lo, s15
.LBB235_1725:                           ;   in Loop: Header=BB235_934 Depth=1
	s_or_b32 exec_lo, exec_lo, s13
	v_cmp_ne_u16_sdwa s4, v83, v6 src0_sel:BYTE_1 src1_sel:DWORD
	s_and_saveexec_b32 s13, s4
	s_cbranch_execz .LBB235_1733
; %bb.1726:                             ;   in Loop: Header=BB235_934 Depth=1
	v_mov_b32_e32 v7, v6
	v_mov_b32_e32 v20, v8
	v_cmp_ne_u16_sdwa s4, v83, v82 src0_sel:BYTE_1 src1_sel:DWORD
	v_mov_b32_e32 v19, v7
	s_and_saveexec_b32 s15, s4
	s_cbranch_execz .LBB235_1732
; %bb.1727:                             ;   in Loop: Header=BB235_934 Depth=1
	v_mov_b32_e32 v5, 0xffff
	v_mov_b32_e32 v9, v6
	;; [unrolled: 1-line block ×3, first 2 shown]
	s_mov_b32 s16, exec_lo
	v_and_b32_sdwa v5, v5, v83 dst_sel:DWORD dst_unused:UNUSED_PAD src0_sel:DWORD src1_sel:BYTE_1
	v_mov_b32_e32 v19, v9
	v_and_b32_e32 v21, 0x7f, v5
	v_cmpx_ne_u32_e32 0x7f, v21
	s_cbranch_execz .LBB235_1731
; %bb.1728:                             ;   in Loop: Header=BB235_934 Depth=1
	v_and_b32_e32 v5, 7, v5
	v_lshrrev_b32_e32 v7, 3, v21
	s_mov_b32 s17, exec_lo
	v_cmpx_gt_u32_e32 8, v21
; %bb.1729:                             ;   in Loop: Header=BB235_934 Depth=1
	v_ffbh_u32_e32 v7, v5
	v_min_u32_e32 v7, 32, v7
	v_subrev_nc_u32_e32 v9, 28, v7
	v_sub_nc_u32_e32 v7, 29, v7
	v_lshlrev_b64 v[19:20], v9, v[5:6]
	v_and_b32_e32 v5, 7, v19
; %bb.1730:                             ;   in Loop: Header=BB235_934 Depth=1
	s_or_b32 exec_lo, exec_lo, s17
	v_lshlrev_b32_e32 v9, 16, v83
	v_lshlrev_b32_e32 v5, 20, v5
	v_lshl_add_u32 v7, v7, 23, 0x3c000000
	v_mov_b32_e32 v19, v6
	v_and_b32_e32 v9, 0x80000000, v9
	v_or3_b32 v20, v5, v9, v7
.LBB235_1731:                           ;   in Loop: Header=BB235_934 Depth=1
	s_or_b32 exec_lo, exec_lo, s16
.LBB235_1732:                           ;   in Loop: Header=BB235_934 Depth=1
	s_or_b32 exec_lo, exec_lo, s15
.LBB235_1733:                           ;   in Loop: Header=BB235_934 Depth=1
	s_or_b32 exec_lo, exec_lo, s13
	v_mov_b32_e32 v21, 0
	v_mov_b32_e32 v23, 0
	v_and_b32_sdwa v5, v83, v84 dst_sel:DWORD dst_unused:UNUSED_PAD src0_sel:WORD_1 src1_sel:DWORD
	v_mov_b32_e32 v22, 0
	v_mov_b32_e32 v24, 0
	s_mov_b32 s13, exec_lo
	v_cmpx_ne_u16_e32 0, v5
	s_cbranch_execz .LBB235_1741
; %bb.1734:                             ;   in Loop: Header=BB235_934 Depth=1
	v_bfrev_b32_e32 v23, 1
	v_mov_b32_e32 v24, 0
	s_mov_b32 s15, exec_lo
	v_cmpx_ne_u16_e32 0x80, v5
	s_cbranch_execz .LBB235_1740
; %bb.1735:                             ;   in Loop: Header=BB235_934 Depth=1
	v_mov_b32_e32 v23, 0x7f800001
	v_bfe_u32 v9, v83, 16, 7
	v_mov_b32_e32 v24, 0
	s_mov_b32 s16, exec_lo
	v_cmpx_ne_u32_e32 0x7f, v9
	s_cbranch_execz .LBB235_1739
; %bb.1736:                             ;   in Loop: Header=BB235_934 Depth=1
	v_mov_b32_e32 v5, 7
	v_lshrrev_b32_e32 v7, 3, v9
	s_mov_b32 s17, exec_lo
	v_and_b32_sdwa v5, v83, v5 dst_sel:DWORD dst_unused:UNUSED_PAD src0_sel:WORD_1 src1_sel:DWORD
	v_cmpx_gt_u32_e32 8, v9
; %bb.1737:                             ;   in Loop: Header=BB235_934 Depth=1
	v_ffbh_u32_e32 v7, v5
	v_min_u32_e32 v7, 32, v7
	v_subrev_nc_u32_e32 v9, 28, v7
	v_sub_nc_u32_e32 v7, 29, v7
	v_lshlrev_b64 v[23:24], v9, v[5:6]
	v_and_b32_e32 v5, 7, v23
; %bb.1738:                             ;   in Loop: Header=BB235_934 Depth=1
	s_or_b32 exec_lo, exec_lo, s17
	v_mov_b32_e32 v9, 24
	v_lshlrev_b32_e32 v5, 20, v5
	v_lshl_add_u32 v7, v7, 23, 0x3c000000
	v_lshlrev_b32_sdwa v9, v9, v83 dst_sel:DWORD dst_unused:UNUSED_PAD src0_sel:DWORD src1_sel:WORD_1
	v_and_b32_e32 v9, 0x80000000, v9
	v_or3_b32 v5, v5, v9, v7
	v_mov_b32_e32 v24, v6
	v_mov_b32_e32 v23, v5
.LBB235_1739:                           ;   in Loop: Header=BB235_934 Depth=1
	s_or_b32 exec_lo, exec_lo, s16
.LBB235_1740:                           ;   in Loop: Header=BB235_934 Depth=1
	s_or_b32 exec_lo, exec_lo, s15
.LBB235_1741:                           ;   in Loop: Header=BB235_934 Depth=1
	s_or_b32 exec_lo, exec_lo, s13
	s_mov_b32 s13, exec_lo
	v_cmpx_lt_u32_e32 0xffffff, v83
	s_cbranch_execz .LBB235_1749
; %bb.1742:                             ;   in Loop: Header=BB235_934 Depth=1
	v_mov_b32_e32 v7, v6
	v_mov_b32_e32 v22, v8
	v_cmp_ne_u32_sdwa s4, v83, v82 src0_sel:BYTE_3 src1_sel:DWORD
	v_mov_b32_e32 v21, v7
	s_and_saveexec_b32 s15, s4
	s_cbranch_execz .LBB235_1748
; %bb.1743:                             ;   in Loop: Header=BB235_934 Depth=1
	v_mov_b32_e32 v9, v6
	v_mov_b32_e32 v22, v10
	v_bfe_u32 v85, v83, 24, 7
	s_mov_b32 s16, exec_lo
	v_mov_b32_e32 v21, v9
	v_cmpx_ne_u32_e32 0x7f, v85
	s_cbranch_execz .LBB235_1747
; %bb.1744:                             ;   in Loop: Header=BB235_934 Depth=1
	v_mov_b32_e32 v5, 7
	v_lshrrev_b32_e32 v7, 3, v85
	s_mov_b32 s17, exec_lo
	v_and_b32_sdwa v5, v83, v5 dst_sel:DWORD dst_unused:UNUSED_PAD src0_sel:BYTE_3 src1_sel:DWORD
	v_cmpx_gt_u32_e32 8, v85
; %bb.1745:                             ;   in Loop: Header=BB235_934 Depth=1
	v_ffbh_u32_e32 v7, v5
	v_min_u32_e32 v7, 32, v7
	v_subrev_nc_u32_e32 v9, 28, v7
	v_sub_nc_u32_e32 v7, 29, v7
	v_lshlrev_b64 v[21:22], v9, v[5:6]
	v_and_b32_e32 v5, 7, v21
; %bb.1746:                             ;   in Loop: Header=BB235_934 Depth=1
	s_or_b32 exec_lo, exec_lo, s17
	v_mov_b32_e32 v9, 24
	v_lshlrev_b32_e32 v5, 20, v5
	v_lshl_add_u32 v7, v7, 23, 0x3c000000
	v_mov_b32_e32 v21, v6
	v_lshlrev_b32_sdwa v9, v9, v83 dst_sel:DWORD dst_unused:UNUSED_PAD src0_sel:DWORD src1_sel:BYTE_3
	v_and_b32_e32 v9, 0x80000000, v9
	v_or3_b32 v22, v5, v9, v7
.LBB235_1747:                           ;   in Loop: Header=BB235_934 Depth=1
	s_or_b32 exec_lo, exec_lo, s16
.LBB235_1748:                           ;   in Loop: Header=BB235_934 Depth=1
	s_or_b32 exec_lo, exec_lo, s15
.LBB235_1749:                           ;   in Loop: Header=BB235_934 Depth=1
	s_or_b32 exec_lo, exec_lo, s13
	v_or_b32_e32 v5, v20, v18
	v_or_b32_e32 v7, v19, v17
	;; [unrolled: 1-line block ×4, first 2 shown]
	v_mul_f32_e32 v117, v98, v5
	v_mul_f32_e32 v116, v98, v7
	;; [unrolled: 1-line block ×4, first 2 shown]
	s_and_saveexec_b32 s13, vcc_lo
	s_cbranch_execz .LBB235_1751
; %bb.1750:                             ;   in Loop: Header=BB235_934 Depth=1
	v_cmp_lt_i32_e64 s4, v103, v122
	v_cndmask_b32_e64 v116, 0, v116, s4
	v_cmp_lt_i32_e64 s4, v114, v122
	v_cndmask_b32_e64 v117, 0, v117, s4
	;; [unrolled: 2-line block ×4, first 2 shown]
.LBB235_1751:                           ;   in Loop: Header=BB235_934 Depth=1
	s_or_b32 exec_lo, exec_lo, s13
	flat_load_dword v83, v[15:16] offset:1024
	v_mov_b32_e32 v19, 0
	v_mov_b32_e32 v17, 0
	;; [unrolled: 1-line block ×4, first 2 shown]
	s_waitcnt vmcnt(0) lgkmcnt(0)
	v_cmp_ne_u16_sdwa s4, v83, v6 src0_sel:BYTE_0 src1_sel:DWORD
	s_and_saveexec_b32 s13, s4
	s_cbranch_execz .LBB235_1759
; %bb.1752:                             ;   in Loop: Header=BB235_934 Depth=1
	v_bfrev_b32_e32 v17, 1
	v_mov_b32_e32 v18, 0
	v_cmp_ne_u16_sdwa s4, v83, v82 src0_sel:BYTE_0 src1_sel:DWORD
	s_and_saveexec_b32 s15, s4
	s_cbranch_execz .LBB235_1758
; %bb.1753:                             ;   in Loop: Header=BB235_934 Depth=1
	v_mov_b32_e32 v17, 0x7f800001
	v_and_b32_e32 v9, 0x7f, v83
	v_mov_b32_e32 v18, 0
	s_mov_b32 s16, exec_lo
	v_cmpx_ne_u32_e32 0x7f, v9
	s_cbranch_execz .LBB235_1757
; %bb.1754:                             ;   in Loop: Header=BB235_934 Depth=1
	v_and_b32_e32 v5, 7, v83
	v_lshrrev_b32_e32 v7, 3, v9
	s_mov_b32 s17, exec_lo
	v_cmpx_gt_u32_e32 8, v9
; %bb.1755:                             ;   in Loop: Header=BB235_934 Depth=1
	v_ffbh_u32_e32 v7, v5
	v_min_u32_e32 v7, 32, v7
	v_subrev_nc_u32_e32 v9, 28, v7
	v_sub_nc_u32_e32 v7, 29, v7
	v_lshlrev_b64 v[17:18], v9, v[5:6]
	v_and_b32_e32 v5, 7, v17
; %bb.1756:                             ;   in Loop: Header=BB235_934 Depth=1
	s_or_b32 exec_lo, exec_lo, s17
	v_lshlrev_b32_e32 v9, 24, v83
	v_lshlrev_b32_e32 v5, 20, v5
	v_lshl_add_u32 v7, v7, 23, 0x3c000000
	v_and_b32_e32 v9, 0x80000000, v9
	v_or3_b32 v5, v5, v9, v7
	v_mov_b32_e32 v18, v6
	v_mov_b32_e32 v17, v5
.LBB235_1757:                           ;   in Loop: Header=BB235_934 Depth=1
	s_or_b32 exec_lo, exec_lo, s16
.LBB235_1758:                           ;   in Loop: Header=BB235_934 Depth=1
	s_or_b32 exec_lo, exec_lo, s15
.LBB235_1759:                           ;   in Loop: Header=BB235_934 Depth=1
	s_or_b32 exec_lo, exec_lo, s13
	v_cmp_ne_u16_sdwa s4, v83, v6 src0_sel:BYTE_1 src1_sel:DWORD
	s_and_saveexec_b32 s13, s4
	s_cbranch_execz .LBB235_1767
; %bb.1760:                             ;   in Loop: Header=BB235_934 Depth=1
	v_mov_b32_e32 v7, v6
	v_mov_b32_e32 v20, v8
	v_cmp_ne_u16_sdwa s4, v83, v82 src0_sel:BYTE_1 src1_sel:DWORD
	v_mov_b32_e32 v19, v7
	s_and_saveexec_b32 s15, s4
	s_cbranch_execz .LBB235_1766
; %bb.1761:                             ;   in Loop: Header=BB235_934 Depth=1
	v_mov_b32_e32 v5, 0xffff
	v_mov_b32_e32 v9, v6
	;; [unrolled: 1-line block ×3, first 2 shown]
	s_mov_b32 s16, exec_lo
	v_and_b32_sdwa v5, v5, v83 dst_sel:DWORD dst_unused:UNUSED_PAD src0_sel:DWORD src1_sel:BYTE_1
	v_mov_b32_e32 v19, v9
	v_and_b32_e32 v21, 0x7f, v5
	v_cmpx_ne_u32_e32 0x7f, v21
	s_cbranch_execz .LBB235_1765
; %bb.1762:                             ;   in Loop: Header=BB235_934 Depth=1
	v_and_b32_e32 v5, 7, v5
	v_lshrrev_b32_e32 v7, 3, v21
	s_mov_b32 s17, exec_lo
	v_cmpx_gt_u32_e32 8, v21
; %bb.1763:                             ;   in Loop: Header=BB235_934 Depth=1
	v_ffbh_u32_e32 v7, v5
	v_min_u32_e32 v7, 32, v7
	v_subrev_nc_u32_e32 v9, 28, v7
	v_sub_nc_u32_e32 v7, 29, v7
	v_lshlrev_b64 v[19:20], v9, v[5:6]
	v_and_b32_e32 v5, 7, v19
; %bb.1764:                             ;   in Loop: Header=BB235_934 Depth=1
	s_or_b32 exec_lo, exec_lo, s17
	v_lshlrev_b32_e32 v9, 16, v83
	v_lshlrev_b32_e32 v5, 20, v5
	v_lshl_add_u32 v7, v7, 23, 0x3c000000
	v_mov_b32_e32 v19, v6
	v_and_b32_e32 v9, 0x80000000, v9
	v_or3_b32 v20, v5, v9, v7
.LBB235_1765:                           ;   in Loop: Header=BB235_934 Depth=1
	s_or_b32 exec_lo, exec_lo, s16
.LBB235_1766:                           ;   in Loop: Header=BB235_934 Depth=1
	s_or_b32 exec_lo, exec_lo, s15
.LBB235_1767:                           ;   in Loop: Header=BB235_934 Depth=1
	s_or_b32 exec_lo, exec_lo, s13
	v_mov_b32_e32 v21, 0
	v_mov_b32_e32 v23, 0
	v_and_b32_sdwa v5, v83, v84 dst_sel:DWORD dst_unused:UNUSED_PAD src0_sel:WORD_1 src1_sel:DWORD
	v_mov_b32_e32 v22, 0
	v_mov_b32_e32 v24, 0
	s_mov_b32 s13, exec_lo
	v_cmpx_ne_u16_e32 0, v5
	s_cbranch_execz .LBB235_1775
; %bb.1768:                             ;   in Loop: Header=BB235_934 Depth=1
	v_bfrev_b32_e32 v23, 1
	v_mov_b32_e32 v24, 0
	s_mov_b32 s15, exec_lo
	v_cmpx_ne_u16_e32 0x80, v5
	s_cbranch_execz .LBB235_1774
; %bb.1769:                             ;   in Loop: Header=BB235_934 Depth=1
	v_mov_b32_e32 v23, 0x7f800001
	v_bfe_u32 v9, v83, 16, 7
	v_mov_b32_e32 v24, 0
	s_mov_b32 s16, exec_lo
	v_cmpx_ne_u32_e32 0x7f, v9
	s_cbranch_execz .LBB235_1773
; %bb.1770:                             ;   in Loop: Header=BB235_934 Depth=1
	v_mov_b32_e32 v5, 7
	v_lshrrev_b32_e32 v7, 3, v9
	s_mov_b32 s17, exec_lo
	v_and_b32_sdwa v5, v83, v5 dst_sel:DWORD dst_unused:UNUSED_PAD src0_sel:WORD_1 src1_sel:DWORD
	v_cmpx_gt_u32_e32 8, v9
; %bb.1771:                             ;   in Loop: Header=BB235_934 Depth=1
	v_ffbh_u32_e32 v7, v5
	v_min_u32_e32 v7, 32, v7
	v_subrev_nc_u32_e32 v9, 28, v7
	v_sub_nc_u32_e32 v7, 29, v7
	v_lshlrev_b64 v[23:24], v9, v[5:6]
	v_and_b32_e32 v5, 7, v23
; %bb.1772:                             ;   in Loop: Header=BB235_934 Depth=1
	s_or_b32 exec_lo, exec_lo, s17
	v_mov_b32_e32 v9, 24
	v_lshlrev_b32_e32 v5, 20, v5
	v_lshl_add_u32 v7, v7, 23, 0x3c000000
	v_lshlrev_b32_sdwa v9, v9, v83 dst_sel:DWORD dst_unused:UNUSED_PAD src0_sel:DWORD src1_sel:WORD_1
	v_and_b32_e32 v9, 0x80000000, v9
	v_or3_b32 v5, v5, v9, v7
	v_mov_b32_e32 v24, v6
	v_mov_b32_e32 v23, v5
.LBB235_1773:                           ;   in Loop: Header=BB235_934 Depth=1
	s_or_b32 exec_lo, exec_lo, s16
.LBB235_1774:                           ;   in Loop: Header=BB235_934 Depth=1
	s_or_b32 exec_lo, exec_lo, s15
.LBB235_1775:                           ;   in Loop: Header=BB235_934 Depth=1
	s_or_b32 exec_lo, exec_lo, s13
	s_mov_b32 s13, exec_lo
	v_cmpx_lt_u32_e32 0xffffff, v83
	s_cbranch_execz .LBB235_1783
; %bb.1776:                             ;   in Loop: Header=BB235_934 Depth=1
	v_mov_b32_e32 v7, v6
	v_mov_b32_e32 v22, v8
	v_cmp_ne_u32_sdwa s4, v83, v82 src0_sel:BYTE_3 src1_sel:DWORD
	v_mov_b32_e32 v21, v7
	s_and_saveexec_b32 s15, s4
	s_cbranch_execz .LBB235_1782
; %bb.1777:                             ;   in Loop: Header=BB235_934 Depth=1
	v_mov_b32_e32 v9, v6
	v_mov_b32_e32 v22, v10
	v_bfe_u32 v85, v83, 24, 7
	s_mov_b32 s16, exec_lo
	v_mov_b32_e32 v21, v9
	v_cmpx_ne_u32_e32 0x7f, v85
	s_cbranch_execz .LBB235_1781
; %bb.1778:                             ;   in Loop: Header=BB235_934 Depth=1
	v_mov_b32_e32 v5, 7
	v_lshrrev_b32_e32 v7, 3, v85
	s_mov_b32 s17, exec_lo
	v_and_b32_sdwa v5, v83, v5 dst_sel:DWORD dst_unused:UNUSED_PAD src0_sel:BYTE_3 src1_sel:DWORD
	v_cmpx_gt_u32_e32 8, v85
; %bb.1779:                             ;   in Loop: Header=BB235_934 Depth=1
	v_ffbh_u32_e32 v7, v5
	v_min_u32_e32 v7, 32, v7
	v_subrev_nc_u32_e32 v9, 28, v7
	v_sub_nc_u32_e32 v7, 29, v7
	v_lshlrev_b64 v[21:22], v9, v[5:6]
	v_and_b32_e32 v5, 7, v21
; %bb.1780:                             ;   in Loop: Header=BB235_934 Depth=1
	s_or_b32 exec_lo, exec_lo, s17
	v_mov_b32_e32 v9, 24
	v_lshlrev_b32_e32 v5, 20, v5
	v_lshl_add_u32 v7, v7, 23, 0x3c000000
	v_mov_b32_e32 v21, v6
	v_lshlrev_b32_sdwa v9, v9, v83 dst_sel:DWORD dst_unused:UNUSED_PAD src0_sel:DWORD src1_sel:BYTE_3
	v_and_b32_e32 v9, 0x80000000, v9
	v_or3_b32 v22, v5, v9, v7
.LBB235_1781:                           ;   in Loop: Header=BB235_934 Depth=1
	s_or_b32 exec_lo, exec_lo, s16
.LBB235_1782:                           ;   in Loop: Header=BB235_934 Depth=1
	s_or_b32 exec_lo, exec_lo, s15
.LBB235_1783:                           ;   in Loop: Header=BB235_934 Depth=1
	s_or_b32 exec_lo, exec_lo, s13
	v_or_b32_e32 v5, v20, v18
	v_or_b32_e32 v7, v19, v17
	;; [unrolled: 1-line block ×4, first 2 shown]
	v_mul_f32_e32 v41, v98, v5
	v_mul_f32_e32 v40, v98, v7
	;; [unrolled: 1-line block ×4, first 2 shown]
	s_and_saveexec_b32 s13, vcc_lo
	s_cbranch_execz .LBB235_1785
; %bb.1784:                             ;   in Loop: Header=BB235_934 Depth=1
	v_cmp_lt_i32_e64 s4, v103, v122
	v_cndmask_b32_e64 v40, 0, v40, s4
	v_cmp_lt_i32_e64 s4, v114, v122
	v_cndmask_b32_e64 v41, 0, v41, s4
	;; [unrolled: 2-line block ×4, first 2 shown]
.LBB235_1785:                           ;   in Loop: Header=BB235_934 Depth=1
	s_or_b32 exec_lo, exec_lo, s13
	flat_load_dword v83, v[15:16] offset:1152
	v_mov_b32_e32 v19, 0
	v_mov_b32_e32 v17, 0
	;; [unrolled: 1-line block ×4, first 2 shown]
	s_waitcnt vmcnt(0) lgkmcnt(0)
	v_cmp_ne_u16_sdwa s4, v83, v6 src0_sel:BYTE_0 src1_sel:DWORD
	s_and_saveexec_b32 s13, s4
	s_cbranch_execz .LBB235_1793
; %bb.1786:                             ;   in Loop: Header=BB235_934 Depth=1
	v_bfrev_b32_e32 v17, 1
	v_mov_b32_e32 v18, 0
	v_cmp_ne_u16_sdwa s4, v83, v82 src0_sel:BYTE_0 src1_sel:DWORD
	s_and_saveexec_b32 s15, s4
	s_cbranch_execz .LBB235_1792
; %bb.1787:                             ;   in Loop: Header=BB235_934 Depth=1
	v_mov_b32_e32 v17, 0x7f800001
	v_and_b32_e32 v9, 0x7f, v83
	v_mov_b32_e32 v18, 0
	s_mov_b32 s16, exec_lo
	v_cmpx_ne_u32_e32 0x7f, v9
	s_cbranch_execz .LBB235_1791
; %bb.1788:                             ;   in Loop: Header=BB235_934 Depth=1
	v_and_b32_e32 v5, 7, v83
	v_lshrrev_b32_e32 v7, 3, v9
	s_mov_b32 s17, exec_lo
	v_cmpx_gt_u32_e32 8, v9
; %bb.1789:                             ;   in Loop: Header=BB235_934 Depth=1
	v_ffbh_u32_e32 v7, v5
	v_min_u32_e32 v7, 32, v7
	v_subrev_nc_u32_e32 v9, 28, v7
	v_sub_nc_u32_e32 v7, 29, v7
	v_lshlrev_b64 v[17:18], v9, v[5:6]
	v_and_b32_e32 v5, 7, v17
; %bb.1790:                             ;   in Loop: Header=BB235_934 Depth=1
	s_or_b32 exec_lo, exec_lo, s17
	v_lshlrev_b32_e32 v9, 24, v83
	v_lshlrev_b32_e32 v5, 20, v5
	v_lshl_add_u32 v7, v7, 23, 0x3c000000
	v_and_b32_e32 v9, 0x80000000, v9
	v_or3_b32 v5, v5, v9, v7
	v_mov_b32_e32 v18, v6
	v_mov_b32_e32 v17, v5
.LBB235_1791:                           ;   in Loop: Header=BB235_934 Depth=1
	s_or_b32 exec_lo, exec_lo, s16
.LBB235_1792:                           ;   in Loop: Header=BB235_934 Depth=1
	s_or_b32 exec_lo, exec_lo, s15
.LBB235_1793:                           ;   in Loop: Header=BB235_934 Depth=1
	s_or_b32 exec_lo, exec_lo, s13
	v_cmp_ne_u16_sdwa s4, v83, v6 src0_sel:BYTE_1 src1_sel:DWORD
	s_and_saveexec_b32 s13, s4
	s_cbranch_execz .LBB235_1801
; %bb.1794:                             ;   in Loop: Header=BB235_934 Depth=1
	v_mov_b32_e32 v7, v6
	v_mov_b32_e32 v20, v8
	v_cmp_ne_u16_sdwa s4, v83, v82 src0_sel:BYTE_1 src1_sel:DWORD
	v_mov_b32_e32 v19, v7
	s_and_saveexec_b32 s15, s4
	s_cbranch_execz .LBB235_1800
; %bb.1795:                             ;   in Loop: Header=BB235_934 Depth=1
	v_mov_b32_e32 v5, 0xffff
	v_mov_b32_e32 v9, v6
	;; [unrolled: 1-line block ×3, first 2 shown]
	s_mov_b32 s16, exec_lo
	v_and_b32_sdwa v5, v5, v83 dst_sel:DWORD dst_unused:UNUSED_PAD src0_sel:DWORD src1_sel:BYTE_1
	v_mov_b32_e32 v19, v9
	v_and_b32_e32 v21, 0x7f, v5
	v_cmpx_ne_u32_e32 0x7f, v21
	s_cbranch_execz .LBB235_1799
; %bb.1796:                             ;   in Loop: Header=BB235_934 Depth=1
	v_and_b32_e32 v5, 7, v5
	v_lshrrev_b32_e32 v7, 3, v21
	s_mov_b32 s17, exec_lo
	v_cmpx_gt_u32_e32 8, v21
; %bb.1797:                             ;   in Loop: Header=BB235_934 Depth=1
	v_ffbh_u32_e32 v7, v5
	v_min_u32_e32 v7, 32, v7
	v_subrev_nc_u32_e32 v9, 28, v7
	v_sub_nc_u32_e32 v7, 29, v7
	v_lshlrev_b64 v[19:20], v9, v[5:6]
	v_and_b32_e32 v5, 7, v19
; %bb.1798:                             ;   in Loop: Header=BB235_934 Depth=1
	s_or_b32 exec_lo, exec_lo, s17
	v_lshlrev_b32_e32 v9, 16, v83
	v_lshlrev_b32_e32 v5, 20, v5
	v_lshl_add_u32 v7, v7, 23, 0x3c000000
	v_mov_b32_e32 v19, v6
	v_and_b32_e32 v9, 0x80000000, v9
	v_or3_b32 v20, v5, v9, v7
.LBB235_1799:                           ;   in Loop: Header=BB235_934 Depth=1
	s_or_b32 exec_lo, exec_lo, s16
.LBB235_1800:                           ;   in Loop: Header=BB235_934 Depth=1
	s_or_b32 exec_lo, exec_lo, s15
.LBB235_1801:                           ;   in Loop: Header=BB235_934 Depth=1
	s_or_b32 exec_lo, exec_lo, s13
	v_mov_b32_e32 v21, 0
	v_mov_b32_e32 v23, 0
	v_and_b32_sdwa v5, v83, v84 dst_sel:DWORD dst_unused:UNUSED_PAD src0_sel:WORD_1 src1_sel:DWORD
	v_mov_b32_e32 v22, 0
	v_mov_b32_e32 v24, 0
	s_mov_b32 s13, exec_lo
	v_cmpx_ne_u16_e32 0, v5
	s_cbranch_execz .LBB235_1809
; %bb.1802:                             ;   in Loop: Header=BB235_934 Depth=1
	v_bfrev_b32_e32 v23, 1
	v_mov_b32_e32 v24, 0
	s_mov_b32 s15, exec_lo
	v_cmpx_ne_u16_e32 0x80, v5
	s_cbranch_execz .LBB235_1808
; %bb.1803:                             ;   in Loop: Header=BB235_934 Depth=1
	v_mov_b32_e32 v23, 0x7f800001
	v_bfe_u32 v9, v83, 16, 7
	v_mov_b32_e32 v24, 0
	s_mov_b32 s16, exec_lo
	v_cmpx_ne_u32_e32 0x7f, v9
	s_cbranch_execz .LBB235_1807
; %bb.1804:                             ;   in Loop: Header=BB235_934 Depth=1
	v_mov_b32_e32 v5, 7
	v_lshrrev_b32_e32 v7, 3, v9
	s_mov_b32 s17, exec_lo
	v_and_b32_sdwa v5, v83, v5 dst_sel:DWORD dst_unused:UNUSED_PAD src0_sel:WORD_1 src1_sel:DWORD
	v_cmpx_gt_u32_e32 8, v9
; %bb.1805:                             ;   in Loop: Header=BB235_934 Depth=1
	v_ffbh_u32_e32 v7, v5
	v_min_u32_e32 v7, 32, v7
	v_subrev_nc_u32_e32 v9, 28, v7
	v_sub_nc_u32_e32 v7, 29, v7
	v_lshlrev_b64 v[23:24], v9, v[5:6]
	v_and_b32_e32 v5, 7, v23
; %bb.1806:                             ;   in Loop: Header=BB235_934 Depth=1
	s_or_b32 exec_lo, exec_lo, s17
	v_mov_b32_e32 v9, 24
	v_lshlrev_b32_e32 v5, 20, v5
	v_lshl_add_u32 v7, v7, 23, 0x3c000000
	v_lshlrev_b32_sdwa v9, v9, v83 dst_sel:DWORD dst_unused:UNUSED_PAD src0_sel:DWORD src1_sel:WORD_1
	v_and_b32_e32 v9, 0x80000000, v9
	v_or3_b32 v5, v5, v9, v7
	v_mov_b32_e32 v24, v6
	v_mov_b32_e32 v23, v5
.LBB235_1807:                           ;   in Loop: Header=BB235_934 Depth=1
	s_or_b32 exec_lo, exec_lo, s16
.LBB235_1808:                           ;   in Loop: Header=BB235_934 Depth=1
	s_or_b32 exec_lo, exec_lo, s15
.LBB235_1809:                           ;   in Loop: Header=BB235_934 Depth=1
	s_or_b32 exec_lo, exec_lo, s13
	s_mov_b32 s13, exec_lo
	v_cmpx_lt_u32_e32 0xffffff, v83
	s_cbranch_execz .LBB235_1817
; %bb.1810:                             ;   in Loop: Header=BB235_934 Depth=1
	v_mov_b32_e32 v7, v6
	v_mov_b32_e32 v22, v8
	v_cmp_ne_u32_sdwa s4, v83, v82 src0_sel:BYTE_3 src1_sel:DWORD
	v_mov_b32_e32 v21, v7
	s_and_saveexec_b32 s15, s4
	s_cbranch_execz .LBB235_1816
; %bb.1811:                             ;   in Loop: Header=BB235_934 Depth=1
	v_mov_b32_e32 v9, v6
	v_mov_b32_e32 v22, v10
	v_bfe_u32 v85, v83, 24, 7
	s_mov_b32 s16, exec_lo
	v_mov_b32_e32 v21, v9
	v_cmpx_ne_u32_e32 0x7f, v85
	s_cbranch_execz .LBB235_1815
; %bb.1812:                             ;   in Loop: Header=BB235_934 Depth=1
	v_mov_b32_e32 v5, 7
	v_lshrrev_b32_e32 v7, 3, v85
	s_mov_b32 s17, exec_lo
	v_and_b32_sdwa v5, v83, v5 dst_sel:DWORD dst_unused:UNUSED_PAD src0_sel:BYTE_3 src1_sel:DWORD
	v_cmpx_gt_u32_e32 8, v85
; %bb.1813:                             ;   in Loop: Header=BB235_934 Depth=1
	v_ffbh_u32_e32 v7, v5
	v_min_u32_e32 v7, 32, v7
	v_subrev_nc_u32_e32 v9, 28, v7
	v_sub_nc_u32_e32 v7, 29, v7
	v_lshlrev_b64 v[21:22], v9, v[5:6]
	v_and_b32_e32 v5, 7, v21
; %bb.1814:                             ;   in Loop: Header=BB235_934 Depth=1
	s_or_b32 exec_lo, exec_lo, s17
	v_mov_b32_e32 v9, 24
	v_lshlrev_b32_e32 v5, 20, v5
	v_lshl_add_u32 v7, v7, 23, 0x3c000000
	v_mov_b32_e32 v21, v6
	v_lshlrev_b32_sdwa v9, v9, v83 dst_sel:DWORD dst_unused:UNUSED_PAD src0_sel:DWORD src1_sel:BYTE_3
	v_and_b32_e32 v9, 0x80000000, v9
	v_or3_b32 v22, v5, v9, v7
.LBB235_1815:                           ;   in Loop: Header=BB235_934 Depth=1
	s_or_b32 exec_lo, exec_lo, s16
.LBB235_1816:                           ;   in Loop: Header=BB235_934 Depth=1
	s_or_b32 exec_lo, exec_lo, s15
.LBB235_1817:                           ;   in Loop: Header=BB235_934 Depth=1
	s_or_b32 exec_lo, exec_lo, s13
	v_or_b32_e32 v5, v20, v18
	v_or_b32_e32 v7, v19, v17
	v_or_b32_e32 v9, v21, v23
	v_or_b32_e32 v17, v22, v24
	v_mul_f32_e32 v86, v98, v5
	v_mul_f32_e32 v85, v98, v7
	;; [unrolled: 1-line block ×4, first 2 shown]
	s_and_saveexec_b32 s13, vcc_lo
	s_cbranch_execz .LBB235_1819
; %bb.1818:                             ;   in Loop: Header=BB235_934 Depth=1
	v_cmp_lt_i32_e64 s4, v103, v122
	v_cndmask_b32_e64 v85, 0, v85, s4
	v_cmp_lt_i32_e64 s4, v114, v122
	v_cndmask_b32_e64 v86, 0, v86, s4
	;; [unrolled: 2-line block ×4, first 2 shown]
.LBB235_1819:                           ;   in Loop: Header=BB235_934 Depth=1
	s_or_b32 exec_lo, exec_lo, s13
	flat_load_dword v43, v[15:16] offset:1280
	v_mov_b32_e32 v19, 0
	v_mov_b32_e32 v17, 0
	;; [unrolled: 1-line block ×4, first 2 shown]
	s_waitcnt vmcnt(0) lgkmcnt(0)
	v_cmp_ne_u16_sdwa s4, v43, v6 src0_sel:BYTE_0 src1_sel:DWORD
	s_and_saveexec_b32 s13, s4
	s_cbranch_execz .LBB235_1827
; %bb.1820:                             ;   in Loop: Header=BB235_934 Depth=1
	v_bfrev_b32_e32 v17, 1
	v_mov_b32_e32 v18, 0
	v_cmp_ne_u16_sdwa s4, v43, v82 src0_sel:BYTE_0 src1_sel:DWORD
	s_and_saveexec_b32 s15, s4
	s_cbranch_execz .LBB235_1826
; %bb.1821:                             ;   in Loop: Header=BB235_934 Depth=1
	v_mov_b32_e32 v17, 0x7f800001
	v_and_b32_e32 v9, 0x7f, v43
	v_mov_b32_e32 v18, 0
	s_mov_b32 s16, exec_lo
	v_cmpx_ne_u32_e32 0x7f, v9
	s_cbranch_execz .LBB235_1825
; %bb.1822:                             ;   in Loop: Header=BB235_934 Depth=1
	v_and_b32_e32 v5, 7, v43
	v_lshrrev_b32_e32 v7, 3, v9
	s_mov_b32 s17, exec_lo
	v_cmpx_gt_u32_e32 8, v9
; %bb.1823:                             ;   in Loop: Header=BB235_934 Depth=1
	v_ffbh_u32_e32 v7, v5
	v_min_u32_e32 v7, 32, v7
	v_subrev_nc_u32_e32 v9, 28, v7
	v_sub_nc_u32_e32 v7, 29, v7
	v_lshlrev_b64 v[17:18], v9, v[5:6]
	v_and_b32_e32 v5, 7, v17
; %bb.1824:                             ;   in Loop: Header=BB235_934 Depth=1
	s_or_b32 exec_lo, exec_lo, s17
	v_lshlrev_b32_e32 v9, 24, v43
	v_lshlrev_b32_e32 v5, 20, v5
	v_lshl_add_u32 v7, v7, 23, 0x3c000000
	v_and_b32_e32 v9, 0x80000000, v9
	v_or3_b32 v5, v5, v9, v7
	v_mov_b32_e32 v18, v6
	v_mov_b32_e32 v17, v5
.LBB235_1825:                           ;   in Loop: Header=BB235_934 Depth=1
	s_or_b32 exec_lo, exec_lo, s16
.LBB235_1826:                           ;   in Loop: Header=BB235_934 Depth=1
	s_or_b32 exec_lo, exec_lo, s15
.LBB235_1827:                           ;   in Loop: Header=BB235_934 Depth=1
	s_or_b32 exec_lo, exec_lo, s13
	v_cmp_ne_u16_sdwa s4, v43, v6 src0_sel:BYTE_1 src1_sel:DWORD
	s_and_saveexec_b32 s13, s4
	s_cbranch_execz .LBB235_1835
; %bb.1828:                             ;   in Loop: Header=BB235_934 Depth=1
	v_mov_b32_e32 v7, v6
	v_mov_b32_e32 v20, v8
	v_cmp_ne_u16_sdwa s4, v43, v82 src0_sel:BYTE_1 src1_sel:DWORD
	v_mov_b32_e32 v19, v7
	s_and_saveexec_b32 s15, s4
	s_cbranch_execz .LBB235_1834
; %bb.1829:                             ;   in Loop: Header=BB235_934 Depth=1
	v_mov_b32_e32 v5, 0xffff
	v_mov_b32_e32 v9, v6
	;; [unrolled: 1-line block ×3, first 2 shown]
	s_mov_b32 s16, exec_lo
	v_and_b32_sdwa v5, v5, v43 dst_sel:DWORD dst_unused:UNUSED_PAD src0_sel:DWORD src1_sel:BYTE_1
	v_mov_b32_e32 v19, v9
	v_and_b32_e32 v21, 0x7f, v5
	v_cmpx_ne_u32_e32 0x7f, v21
	s_cbranch_execz .LBB235_1833
; %bb.1830:                             ;   in Loop: Header=BB235_934 Depth=1
	v_and_b32_e32 v5, 7, v5
	v_lshrrev_b32_e32 v7, 3, v21
	s_mov_b32 s17, exec_lo
	v_cmpx_gt_u32_e32 8, v21
; %bb.1831:                             ;   in Loop: Header=BB235_934 Depth=1
	v_ffbh_u32_e32 v7, v5
	v_min_u32_e32 v7, 32, v7
	v_subrev_nc_u32_e32 v9, 28, v7
	v_sub_nc_u32_e32 v7, 29, v7
	v_lshlrev_b64 v[19:20], v9, v[5:6]
	v_and_b32_e32 v5, 7, v19
; %bb.1832:                             ;   in Loop: Header=BB235_934 Depth=1
	s_or_b32 exec_lo, exec_lo, s17
	v_lshlrev_b32_e32 v9, 16, v43
	v_lshlrev_b32_e32 v5, 20, v5
	v_lshl_add_u32 v7, v7, 23, 0x3c000000
	v_mov_b32_e32 v19, v6
	v_and_b32_e32 v9, 0x80000000, v9
	v_or3_b32 v20, v5, v9, v7
.LBB235_1833:                           ;   in Loop: Header=BB235_934 Depth=1
	s_or_b32 exec_lo, exec_lo, s16
.LBB235_1834:                           ;   in Loop: Header=BB235_934 Depth=1
	s_or_b32 exec_lo, exec_lo, s15
.LBB235_1835:                           ;   in Loop: Header=BB235_934 Depth=1
	s_or_b32 exec_lo, exec_lo, s13
	v_mov_b32_e32 v21, 0
	v_mov_b32_e32 v23, 0
	v_and_b32_sdwa v5, v43, v84 dst_sel:DWORD dst_unused:UNUSED_PAD src0_sel:WORD_1 src1_sel:DWORD
	v_mov_b32_e32 v22, 0
	v_mov_b32_e32 v24, 0
	s_mov_b32 s13, exec_lo
	v_cmpx_ne_u16_e32 0, v5
	s_cbranch_execz .LBB235_1843
; %bb.1836:                             ;   in Loop: Header=BB235_934 Depth=1
	v_bfrev_b32_e32 v23, 1
	v_mov_b32_e32 v24, 0
	s_mov_b32 s15, exec_lo
	v_cmpx_ne_u16_e32 0x80, v5
	s_cbranch_execz .LBB235_1842
; %bb.1837:                             ;   in Loop: Header=BB235_934 Depth=1
	v_mov_b32_e32 v23, 0x7f800001
	v_bfe_u32 v9, v43, 16, 7
	v_mov_b32_e32 v24, 0
	s_mov_b32 s16, exec_lo
	v_cmpx_ne_u32_e32 0x7f, v9
	s_cbranch_execz .LBB235_1841
; %bb.1838:                             ;   in Loop: Header=BB235_934 Depth=1
	v_mov_b32_e32 v5, 7
	v_lshrrev_b32_e32 v7, 3, v9
	s_mov_b32 s17, exec_lo
	v_and_b32_sdwa v5, v43, v5 dst_sel:DWORD dst_unused:UNUSED_PAD src0_sel:WORD_1 src1_sel:DWORD
	v_cmpx_gt_u32_e32 8, v9
; %bb.1839:                             ;   in Loop: Header=BB235_934 Depth=1
	v_ffbh_u32_e32 v7, v5
	v_min_u32_e32 v7, 32, v7
	v_subrev_nc_u32_e32 v9, 28, v7
	v_sub_nc_u32_e32 v7, 29, v7
	v_lshlrev_b64 v[23:24], v9, v[5:6]
	v_and_b32_e32 v5, 7, v23
; %bb.1840:                             ;   in Loop: Header=BB235_934 Depth=1
	s_or_b32 exec_lo, exec_lo, s17
	v_mov_b32_e32 v9, 24
	v_lshlrev_b32_e32 v5, 20, v5
	v_lshl_add_u32 v7, v7, 23, 0x3c000000
	v_lshlrev_b32_sdwa v9, v9, v43 dst_sel:DWORD dst_unused:UNUSED_PAD src0_sel:DWORD src1_sel:WORD_1
	v_and_b32_e32 v9, 0x80000000, v9
	v_or3_b32 v5, v5, v9, v7
	v_mov_b32_e32 v24, v6
	v_mov_b32_e32 v23, v5
.LBB235_1841:                           ;   in Loop: Header=BB235_934 Depth=1
	s_or_b32 exec_lo, exec_lo, s16
.LBB235_1842:                           ;   in Loop: Header=BB235_934 Depth=1
	s_or_b32 exec_lo, exec_lo, s15
.LBB235_1843:                           ;   in Loop: Header=BB235_934 Depth=1
	s_or_b32 exec_lo, exec_lo, s13
	s_mov_b32 s13, exec_lo
	v_cmpx_lt_u32_e32 0xffffff, v43
	s_cbranch_execz .LBB235_1851
; %bb.1844:                             ;   in Loop: Header=BB235_934 Depth=1
	v_mov_b32_e32 v7, v6
	v_mov_b32_e32 v22, v8
	v_cmp_ne_u32_sdwa s4, v43, v82 src0_sel:BYTE_3 src1_sel:DWORD
	v_mov_b32_e32 v21, v7
	s_and_saveexec_b32 s15, s4
	s_cbranch_execz .LBB235_1850
; %bb.1845:                             ;   in Loop: Header=BB235_934 Depth=1
	v_mov_b32_e32 v9, v6
	v_mov_b32_e32 v22, v10
	v_bfe_u32 v44, v43, 24, 7
	s_mov_b32 s16, exec_lo
	v_mov_b32_e32 v21, v9
	v_cmpx_ne_u32_e32 0x7f, v44
	s_cbranch_execz .LBB235_1849
; %bb.1846:                             ;   in Loop: Header=BB235_934 Depth=1
	v_mov_b32_e32 v5, 7
	v_lshrrev_b32_e32 v7, 3, v44
	s_mov_b32 s17, exec_lo
	v_and_b32_sdwa v5, v43, v5 dst_sel:DWORD dst_unused:UNUSED_PAD src0_sel:BYTE_3 src1_sel:DWORD
	v_cmpx_gt_u32_e32 8, v44
; %bb.1847:                             ;   in Loop: Header=BB235_934 Depth=1
	v_ffbh_u32_e32 v7, v5
	v_min_u32_e32 v7, 32, v7
	v_subrev_nc_u32_e32 v9, 28, v7
	v_sub_nc_u32_e32 v7, 29, v7
	v_lshlrev_b64 v[21:22], v9, v[5:6]
	v_and_b32_e32 v5, 7, v21
; %bb.1848:                             ;   in Loop: Header=BB235_934 Depth=1
	s_or_b32 exec_lo, exec_lo, s17
	v_mov_b32_e32 v9, 24
	v_lshlrev_b32_e32 v5, 20, v5
	v_lshl_add_u32 v7, v7, 23, 0x3c000000
	v_mov_b32_e32 v21, v6
	v_lshlrev_b32_sdwa v9, v9, v43 dst_sel:DWORD dst_unused:UNUSED_PAD src0_sel:DWORD src1_sel:BYTE_3
	v_and_b32_e32 v9, 0x80000000, v9
	v_or3_b32 v22, v5, v9, v7
.LBB235_1849:                           ;   in Loop: Header=BB235_934 Depth=1
	s_or_b32 exec_lo, exec_lo, s16
.LBB235_1850:                           ;   in Loop: Header=BB235_934 Depth=1
	s_or_b32 exec_lo, exec_lo, s15
.LBB235_1851:                           ;   in Loop: Header=BB235_934 Depth=1
	s_or_b32 exec_lo, exec_lo, s13
	v_or_b32_e32 v5, v20, v18
	v_or_b32_e32 v7, v19, v17
	;; [unrolled: 1-line block ×4, first 2 shown]
	v_mul_f32_e32 v44, v98, v5
	v_mul_f32_e32 v43, v98, v7
	;; [unrolled: 1-line block ×4, first 2 shown]
	s_and_saveexec_b32 s13, vcc_lo
	s_cbranch_execz .LBB235_1853
; %bb.1852:                             ;   in Loop: Header=BB235_934 Depth=1
	v_cmp_lt_i32_e64 s4, v103, v122
	v_cndmask_b32_e64 v43, 0, v43, s4
	v_cmp_lt_i32_e64 s4, v114, v122
	v_cndmask_b32_e64 v44, 0, v44, s4
	;; [unrolled: 2-line block ×4, first 2 shown]
.LBB235_1853:                           ;   in Loop: Header=BB235_934 Depth=1
	s_or_b32 exec_lo, exec_lo, s13
	flat_load_dword v45, v[15:16] offset:1408
	v_mov_b32_e32 v17, 0
	v_mov_b32_e32 v15, 0
	;; [unrolled: 1-line block ×4, first 2 shown]
	s_waitcnt vmcnt(0) lgkmcnt(0)
	v_cmp_ne_u16_sdwa s4, v45, v6 src0_sel:BYTE_0 src1_sel:DWORD
	s_and_saveexec_b32 s13, s4
	s_cbranch_execz .LBB235_1861
; %bb.1854:                             ;   in Loop: Header=BB235_934 Depth=1
	v_bfrev_b32_e32 v15, 1
	v_mov_b32_e32 v16, 0
	v_cmp_ne_u16_sdwa s4, v45, v82 src0_sel:BYTE_0 src1_sel:DWORD
	s_and_saveexec_b32 s15, s4
	s_cbranch_execz .LBB235_1860
; %bb.1855:                             ;   in Loop: Header=BB235_934 Depth=1
	v_mov_b32_e32 v15, 0x7f800001
	v_and_b32_e32 v9, 0x7f, v45
	v_mov_b32_e32 v16, 0
	s_mov_b32 s16, exec_lo
	v_cmpx_ne_u32_e32 0x7f, v9
	s_cbranch_execz .LBB235_1859
; %bb.1856:                             ;   in Loop: Header=BB235_934 Depth=1
	v_and_b32_e32 v5, 7, v45
	v_lshrrev_b32_e32 v7, 3, v9
	s_mov_b32 s17, exec_lo
	v_cmpx_gt_u32_e32 8, v9
; %bb.1857:                             ;   in Loop: Header=BB235_934 Depth=1
	v_ffbh_u32_e32 v7, v5
	v_min_u32_e32 v7, 32, v7
	v_subrev_nc_u32_e32 v9, 28, v7
	v_sub_nc_u32_e32 v7, 29, v7
	v_lshlrev_b64 v[15:16], v9, v[5:6]
	v_and_b32_e32 v5, 7, v15
; %bb.1858:                             ;   in Loop: Header=BB235_934 Depth=1
	s_or_b32 exec_lo, exec_lo, s17
	v_lshlrev_b32_e32 v9, 24, v45
	v_lshlrev_b32_e32 v5, 20, v5
	v_lshl_add_u32 v7, v7, 23, 0x3c000000
	v_and_b32_e32 v9, 0x80000000, v9
	v_or3_b32 v5, v5, v9, v7
	v_mov_b32_e32 v16, v6
	v_mov_b32_e32 v15, v5
.LBB235_1859:                           ;   in Loop: Header=BB235_934 Depth=1
	s_or_b32 exec_lo, exec_lo, s16
.LBB235_1860:                           ;   in Loop: Header=BB235_934 Depth=1
	s_or_b32 exec_lo, exec_lo, s15
.LBB235_1861:                           ;   in Loop: Header=BB235_934 Depth=1
	s_or_b32 exec_lo, exec_lo, s13
	v_cmp_ne_u16_sdwa s4, v45, v6 src0_sel:BYTE_1 src1_sel:DWORD
	s_and_saveexec_b32 s13, s4
	s_cbranch_execz .LBB235_1869
; %bb.1862:                             ;   in Loop: Header=BB235_934 Depth=1
	v_mov_b32_e32 v7, v6
	v_mov_b32_e32 v18, v8
	v_cmp_ne_u16_sdwa s4, v45, v82 src0_sel:BYTE_1 src1_sel:DWORD
	v_mov_b32_e32 v17, v7
	s_and_saveexec_b32 s15, s4
	s_cbranch_execz .LBB235_1868
; %bb.1863:                             ;   in Loop: Header=BB235_934 Depth=1
	v_mov_b32_e32 v5, 0xffff
	v_mov_b32_e32 v9, v6
	;; [unrolled: 1-line block ×3, first 2 shown]
	s_mov_b32 s16, exec_lo
	v_and_b32_sdwa v5, v5, v45 dst_sel:DWORD dst_unused:UNUSED_PAD src0_sel:DWORD src1_sel:BYTE_1
	v_mov_b32_e32 v17, v9
	v_and_b32_e32 v19, 0x7f, v5
	v_cmpx_ne_u32_e32 0x7f, v19
	s_cbranch_execz .LBB235_1867
; %bb.1864:                             ;   in Loop: Header=BB235_934 Depth=1
	v_and_b32_e32 v5, 7, v5
	v_lshrrev_b32_e32 v7, 3, v19
	s_mov_b32 s17, exec_lo
	v_cmpx_gt_u32_e32 8, v19
; %bb.1865:                             ;   in Loop: Header=BB235_934 Depth=1
	v_ffbh_u32_e32 v7, v5
	v_min_u32_e32 v7, 32, v7
	v_subrev_nc_u32_e32 v9, 28, v7
	v_sub_nc_u32_e32 v7, 29, v7
	v_lshlrev_b64 v[17:18], v9, v[5:6]
	v_and_b32_e32 v5, 7, v17
; %bb.1866:                             ;   in Loop: Header=BB235_934 Depth=1
	s_or_b32 exec_lo, exec_lo, s17
	v_lshlrev_b32_e32 v9, 16, v45
	v_lshlrev_b32_e32 v5, 20, v5
	v_lshl_add_u32 v7, v7, 23, 0x3c000000
	v_mov_b32_e32 v17, v6
	v_and_b32_e32 v9, 0x80000000, v9
	v_or3_b32 v18, v5, v9, v7
.LBB235_1867:                           ;   in Loop: Header=BB235_934 Depth=1
	s_or_b32 exec_lo, exec_lo, s16
.LBB235_1868:                           ;   in Loop: Header=BB235_934 Depth=1
	s_or_b32 exec_lo, exec_lo, s15
.LBB235_1869:                           ;   in Loop: Header=BB235_934 Depth=1
	s_or_b32 exec_lo, exec_lo, s13
	v_mov_b32_e32 v19, 0
	v_mov_b32_e32 v21, 0
	v_and_b32_sdwa v5, v45, v84 dst_sel:DWORD dst_unused:UNUSED_PAD src0_sel:WORD_1 src1_sel:DWORD
	v_mov_b32_e32 v20, 0
	v_mov_b32_e32 v22, 0
	s_mov_b32 s13, exec_lo
	v_cmpx_ne_u16_e32 0, v5
	s_cbranch_execz .LBB235_1877
; %bb.1870:                             ;   in Loop: Header=BB235_934 Depth=1
	v_bfrev_b32_e32 v21, 1
	v_mov_b32_e32 v22, 0
	s_mov_b32 s15, exec_lo
	v_cmpx_ne_u16_e32 0x80, v5
	s_cbranch_execz .LBB235_1876
; %bb.1871:                             ;   in Loop: Header=BB235_934 Depth=1
	v_mov_b32_e32 v21, 0x7f800001
	v_bfe_u32 v9, v45, 16, 7
	v_mov_b32_e32 v22, 0
	s_mov_b32 s16, exec_lo
	v_cmpx_ne_u32_e32 0x7f, v9
	s_cbranch_execz .LBB235_1875
; %bb.1872:                             ;   in Loop: Header=BB235_934 Depth=1
	v_mov_b32_e32 v5, 7
	v_lshrrev_b32_e32 v7, 3, v9
	s_mov_b32 s17, exec_lo
	v_and_b32_sdwa v5, v45, v5 dst_sel:DWORD dst_unused:UNUSED_PAD src0_sel:WORD_1 src1_sel:DWORD
	v_cmpx_gt_u32_e32 8, v9
; %bb.1873:                             ;   in Loop: Header=BB235_934 Depth=1
	v_ffbh_u32_e32 v7, v5
	v_min_u32_e32 v7, 32, v7
	v_subrev_nc_u32_e32 v9, 28, v7
	v_sub_nc_u32_e32 v7, 29, v7
	v_lshlrev_b64 v[21:22], v9, v[5:6]
	v_and_b32_e32 v5, 7, v21
; %bb.1874:                             ;   in Loop: Header=BB235_934 Depth=1
	s_or_b32 exec_lo, exec_lo, s17
	v_mov_b32_e32 v9, 24
	v_lshlrev_b32_e32 v5, 20, v5
	v_lshl_add_u32 v7, v7, 23, 0x3c000000
	v_lshlrev_b32_sdwa v9, v9, v45 dst_sel:DWORD dst_unused:UNUSED_PAD src0_sel:DWORD src1_sel:WORD_1
	v_and_b32_e32 v9, 0x80000000, v9
	v_or3_b32 v5, v5, v9, v7
	v_mov_b32_e32 v22, v6
	v_mov_b32_e32 v21, v5
.LBB235_1875:                           ;   in Loop: Header=BB235_934 Depth=1
	s_or_b32 exec_lo, exec_lo, s16
.LBB235_1876:                           ;   in Loop: Header=BB235_934 Depth=1
	s_or_b32 exec_lo, exec_lo, s15
.LBB235_1877:                           ;   in Loop: Header=BB235_934 Depth=1
	s_or_b32 exec_lo, exec_lo, s13
	s_mov_b32 s13, exec_lo
	v_cmpx_lt_u32_e32 0xffffff, v45
	s_cbranch_execz .LBB235_1885
; %bb.1878:                             ;   in Loop: Header=BB235_934 Depth=1
	v_mov_b32_e32 v7, v6
	v_mov_b32_e32 v20, v8
	v_cmp_ne_u32_sdwa s4, v45, v82 src0_sel:BYTE_3 src1_sel:DWORD
	v_mov_b32_e32 v19, v7
	s_and_saveexec_b32 s15, s4
	s_cbranch_execz .LBB235_1884
; %bb.1879:                             ;   in Loop: Header=BB235_934 Depth=1
	v_mov_b32_e32 v9, v6
	v_mov_b32_e32 v20, v10
	;; [unrolled: 1-line block ×3, first 2 shown]
	v_bfe_u32 v46, v45, 24, 7
	s_mov_b32 s16, exec_lo
	v_mov_b32_e32 v19, v9
	v_cmpx_ne_u32_e32 0x7f, v46
	s_cbranch_execz .LBB235_1883
; %bb.1880:                             ;   in Loop: Header=BB235_934 Depth=1
	v_mov_b32_e32 v5, 7
	v_lshrrev_b32_e32 v7, 3, v46
	s_mov_b32 s17, exec_lo
	v_and_b32_sdwa v5, v45, v5 dst_sel:DWORD dst_unused:UNUSED_PAD src0_sel:BYTE_3 src1_sel:DWORD
	v_cmpx_gt_u32_e32 8, v46
; %bb.1881:                             ;   in Loop: Header=BB235_934 Depth=1
	v_ffbh_u32_e32 v7, v5
	v_min_u32_e32 v7, 32, v7
	v_subrev_nc_u32_e32 v9, 28, v7
	v_sub_nc_u32_e32 v7, 29, v7
	v_lshlrev_b64 v[19:20], v9, v[5:6]
	v_and_b32_e32 v5, 7, v19
; %bb.1882:                             ;   in Loop: Header=BB235_934 Depth=1
	s_or_b32 exec_lo, exec_lo, s17
	v_mov_b32_e32 v9, 24
	v_lshlrev_b32_e32 v5, 20, v5
	v_lshl_add_u32 v7, v7, 23, 0x3c000000
	v_mov_b32_e32 v19, v6
	v_lshlrev_b32_sdwa v9, v9, v45 dst_sel:DWORD dst_unused:UNUSED_PAD src0_sel:DWORD src1_sel:BYTE_3
	v_and_b32_e32 v9, 0x80000000, v9
	v_or3_b32 v20, v5, v9, v7
.LBB235_1883:                           ;   in Loop: Header=BB235_934 Depth=1
	s_or_b32 exec_lo, exec_lo, s16
	v_mov_b32_e32 v46, v26
.LBB235_1884:                           ;   in Loop: Header=BB235_934 Depth=1
	s_or_b32 exec_lo, exec_lo, s15
.LBB235_1885:                           ;   in Loop: Header=BB235_934 Depth=1
	s_or_b32 exec_lo, exec_lo, s13
	v_or_b32_e32 v5, v18, v16
	v_or_b32_e32 v7, v17, v15
	;; [unrolled: 1-line block ×4, first 2 shown]
	v_mul_f32_e32 v15, v98, v5
	v_mul_f32_e32 v9, v98, v7
	;; [unrolled: 1-line block ×4, first 2 shown]
	s_and_saveexec_b32 s4, vcc_lo
	s_cbranch_execz .LBB235_932
; %bb.1886:                             ;   in Loop: Header=BB235_934 Depth=1
	v_cmp_lt_i32_e32 vcc_lo, v103, v122
	v_cndmask_b32_e32 v9, 0, v9, vcc_lo
	v_cmp_lt_i32_e32 vcc_lo, v114, v122
	v_cndmask_b32_e32 v15, 0, v15, vcc_lo
	v_cmp_lt_i32_e32 vcc_lo, v113, v122
	v_cndmask_b32_e32 v7, 0, v7, vcc_lo
	v_cmp_lt_i32_e32 vcc_lo, v112, v122
	v_cndmask_b32_e32 v5, 0, v5, vcc_lo
	s_branch .LBB235_932
.LBB235_1887:
	s_or_b32 exec_lo, exec_lo, s11
	s_clause 0x19
	buffer_load_dword v55, off, s[0:3], s32 offset:612
	buffer_load_dword v26, off, s[0:3], s32 offset:620
	;; [unrolled: 1-line block ×26, first 2 shown]
.LBB235_1888:
	s_or_b32 exec_lo, exec_lo, s7
	s_waitcnt vmcnt(2)
	ds_bpermute_b32 v2, v26, v21
	ds_bpermute_b32 v6, v26, v16
	;; [unrolled: 1-line block ×7, first 2 shown]
	s_waitcnt vmcnt(1)
	ds_bpermute_b32 v0, v26, v22
	s_waitcnt vmcnt(0)
	ds_bpermute_b32 v1, v26, v23
	ds_bpermute_b32 v10, v26, v27
	;; [unrolled: 1-line block ×8, first 2 shown]
	s_waitcnt lgkmcnt(0)
	s_waitcnt_vscnt null, 0x0
	s_barrier
	buffer_gl0_inv
	s_load_dword s4, s[8:9], 0x0
	v_add_f32_e32 v2, v21, v2
	v_add_f32_e32 v6, v16, v6
	;; [unrolled: 1-line block ×5, first 2 shown]
	ds_bpermute_b32 v16, v25, v2
	v_add_f32_e32 v8, v31, v8
	ds_bpermute_b32 v18, v25, v5
	v_add_f32_e32 v11, v24, v11
	v_add_f32_e32 v0, v22, v0
	;; [unrolled: 1-line block ×3, first 2 shown]
	ds_bpermute_b32 v17, v25, v3
	v_mov_b32_e32 v22, v19
	ds_bpermute_b32 v19, v25, v6
	v_mov_b32_e32 v23, v20
	ds_bpermute_b32 v20, v25, v7
	ds_bpermute_b32 v21, v25, v8
	;; [unrolled: 1-line block ×3, first 2 shown]
	v_add_f32_e32 v10, v27, v10
	v_add_f32_e32 v9, v28, v9
	;; [unrolled: 1-line block ×4, first 2 shown]
	ds_bpermute_b32 v27, v26, v64
	ds_bpermute_b32 v23, v25, v10
	;; [unrolled: 1-line block ×3, first 2 shown]
	s_waitcnt lgkmcnt(0)
	v_add_f32_e32 v2, v2, v16
	ds_bpermute_b32 v14, v25, v0
	v_add_f32_e32 v5, v5, v18
	ds_bpermute_b32 v15, v25, v1
	ds_bpermute_b32 v22, v25, v9
	;; [unrolled: 1-line block ×3, first 2 shown]
	v_add_f32_e32 v3, v3, v17
	ds_bpermute_b32 v18, v4, v5
	v_add_f32_e32 v6, v6, v19
	ds_bpermute_b32 v28, v25, v12
	v_add_f32_e32 v7, v7, v20
	v_add_f32_e32 v8, v8, v21
	;; [unrolled: 1-line block ×3, first 2 shown]
	ds_bpermute_b32 v17, v4, v3
	ds_bpermute_b32 v19, v4, v6
	;; [unrolled: 1-line block ×5, first 2 shown]
	v_add_f32_e32 v10, v10, v23
	s_mov_b32 s7, exec_lo
	s_waitcnt lgkmcnt(10)
	v_add_f32_e32 v0, v0, v14
	s_waitcnt lgkmcnt(9)
	v_add_f32_e32 v1, v1, v15
	;; [unrolled: 2-line block ×4, first 2 shown]
	ds_bpermute_b32 v16, v4, v11
	s_waitcnt lgkmcnt(7)
	v_add_f32_e32 v5, v5, v18
	v_add_f32_e32 v18, v54, v30
	ds_bpermute_b32 v30, v26, v52
	s_waitcnt lgkmcnt(7)
	v_add_f32_e32 v12, v12, v28
	ds_bpermute_b32 v14, v4, v0
	ds_bpermute_b32 v15, v4, v1
	s_waitcnt lgkmcnt(8)
	v_add_f32_e32 v3, v3, v17
	s_waitcnt lgkmcnt(7)
	v_add_f32_e32 v6, v6, v19
	;; [unrolled: 2-line block ×4, first 2 shown]
	v_add_f32_e32 v17, v64, v27
	v_add_f32_e32 v19, v36, v31
	v_add_f32_e32 v20, v35, v32
	v_add_f32_e32 v21, v34, v33
	ds_bpermute_b32 v23, v25, v18
	s_waitcnt lgkmcnt(5)
	v_add_f32_e32 v13, v13, v29
	ds_bpermute_b32 v22, v25, v17
	ds_bpermute_b32 v24, v25, v19
	;; [unrolled: 1-line block ×3, first 2 shown]
	s_waitcnt lgkmcnt(7)
	v_add_f32_e32 v11, v11, v16
	ds_bpermute_b32 v16, v26, v48
	ds_bpermute_b32 v28, v25, v21
	;; [unrolled: 1-line block ×10, first 2 shown]
	s_waitcnt lgkmcnt(15)
	v_add_f32_e32 v0, v0, v14
	s_waitcnt lgkmcnt(14)
	v_add_f32_e32 v1, v1, v15
	ds_bpermute_b32 v14, v4, v9
	ds_bpermute_b32 v15, v4, v10
	s_waitcnt lgkmcnt(15)
	v_add_f32_e32 v18, v18, v23
	v_add_f32_e32 v23, v52, v30
	s_waitcnt lgkmcnt(14)
	v_add_f32_e32 v17, v17, v22
	s_waitcnt lgkmcnt(13)
	;; [unrolled: 2-line block ×9, first 2 shown]
	v_add_f32_e32 v28, v49, v33
	ds_bpermute_b32 v30, v25, v23
	s_waitcnt lgkmcnt(6)
	v_add_f32_e32 v34, v39, v34
	s_waitcnt lgkmcnt(5)
	v_add_f32_e32 v35, v38, v35
	;; [unrolled: 2-line block ×4, first 2 shown]
	ds_bpermute_b32 v37, v25, v16
	ds_bpermute_b32 v29, v25, v22
	;; [unrolled: 1-line block ×9, first 2 shown]
	s_waitcnt lgkmcnt(11)
	v_add_f32_e32 v9, v9, v14
	s_waitcnt lgkmcnt(10)
	v_add_f32_e32 v10, v10, v15
	ds_bpermute_b32 v14, v4, v12
	ds_bpermute_b32 v15, v4, v13
	;; [unrolled: 1-line block ×4, first 2 shown]
	s_waitcnt lgkmcnt(13)
	v_add_f32_e32 v23, v23, v30
	ds_bpermute_b32 v49, v4, v17
	ds_bpermute_b32 v50, v4, v18
	ds_bpermute_b32 v53, v4, v21
	s_waitcnt lgkmcnt(15)
	v_add_f32_e32 v37, v16, v37
	ds_bpermute_b32 v30, v4, v23
	s_waitcnt lgkmcnt(14)
	v_add_f32_e32 v24, v24, v31
	v_add_f32_e32 v22, v22, v29
	s_waitcnt lgkmcnt(13)
	v_add_f32_e32 v27, v27, v32
	s_waitcnt lgkmcnt(11)
	v_add_f32_e32 v34, v34, v38
	v_add_f32_e32 v28, v28, v33
	ds_bpermute_b32 v31, v4, v24
	s_waitcnt lgkmcnt(9)
	v_add_f32_e32 v38, v26, v25
	ds_bpermute_b32 v25, v4, v37
	ds_bpermute_b32 v26, v4, v34
	v_add_f32_e32 v35, v35, v39
	v_add_f32_e32 v36, v36, v48
	ds_bpermute_b32 v29, v4, v22
	ds_bpermute_b32 v32, v4, v27
	;; [unrolled: 1-line block ×6, first 2 shown]
	s_waitcnt lgkmcnt(16)
	v_add_f32_e32 v4, v12, v14
	s_waitcnt lgkmcnt(15)
	v_add_f32_e32 v12, v13, v15
	;; [unrolled: 2-line block ×4, first 2 shown]
	v_add_f32_e32 v16, v20, v52
	buffer_load_dword v30, off, s[0:3], s32 offset:1228 ; 4-byte Folded Reload
	v_add_f32_e32 v14, v18, v50
	v_add_f32_e32 v13, v17, v49
	s_waitcnt lgkmcnt(8)
	v_add_f32_e32 v20, v24, v31
	v_add_f32_e32 v17, v21, v53
	s_waitcnt lgkmcnt(7)
	v_add_f32_e32 v23, v37, v25
	buffer_load_dword v25, off, s[0:3], s32 offset:736 ; 4-byte Folded Reload
	s_waitcnt lgkmcnt(6)
	v_add_f32_e32 v24, v34, v26
	buffer_load_dword v26, off, s[0:3], s32 offset:740 ; 4-byte Folded Reload
	s_waitcnt lgkmcnt(5)
	v_add_f32_e32 v18, v22, v29
	s_waitcnt lgkmcnt(4)
	v_add_f32_e32 v21, v27, v32
	;; [unrolled: 2-line block ×4, first 2 shown]
	s_waitcnt vmcnt(2)
	v_mul_u32_u24_e32 v30, 0x1c0, v30
	s_waitcnt vmcnt(1)
	v_lshrrev_b32_e32 v28, 3, v25
	v_add_f32_e32 v25, v35, v39
	s_waitcnt vmcnt(0)
	v_and_b32_e32 v31, 0x3c7, v26
	v_add_f32_e32 v26, v36, v48
	v_lshl_add_u32 v29, v28, 2, s4
	v_cmpx_eq_u32_e32 64, v31
	s_cbranch_execz .LBB235_1890
; %bb.1889:
	v_add_nc_u32_e32 v31, v29, v30
	v_add_nc_u32_e32 v32, 0xfffffc80, v31
	v_add_nc_u32_e32 v33, 0xfffffc90, v31
	v_add_nc_u32_e32 v35, 0xfffffcb0, v31
	v_add_nc_u32_e32 v34, 0xfffffca0, v31
	v_add_nc_u32_e32 v36, 0xfffffcc0, v31
	v_add_nc_u32_e32 v37, 0xfffffcd0, v31
	v_add_nc_u32_e32 v38, 0xfffffce0, v31
	ds_write_b32 v32, v0
	ds_write_b32 v33, v1
	;; [unrolled: 1-line block ×3, first 2 shown]
	v_add_nc_u32_e32 v32, 0xfffffcf0, v31
	ds_write_b32 v35, v3
	ds_write_b32 v36, v5
	ds_write_b32 v37, v6
	ds_write_b32 v38, v7
	ds_write_b32 v32, v8
	v_add_nc_u32_e32 v32, 0xfffffd00, v31
	v_add_nc_u32_e32 v33, 0xfffffd10, v31
	v_add_nc_u32_e32 v34, 0xfffffd20, v31
	v_add_nc_u32_e32 v35, 0xfffffd30, v31
	v_add_nc_u32_e32 v36, 0xfffffd40, v31
	ds_write_b32 v32, v9
	ds_write_b32 v33, v10
	ds_write_b32 v34, v11
	ds_write_b32 v35, v4
	ds_write_b32 v36, v12
	v_add_nc_u32_e32 v32, 0xfffffd50, v31
	v_add_nc_u32_e32 v33, 0xfffffd60, v31
	v_add_nc_u32_e32 v34, 0xfffffd70, v31
	v_add_nc_u32_e32 v35, 0xfffffd80, v31
	;; [unrolled: 10-line block ×4, first 2 shown]
	v_add_nc_u32_e32 v31, 0xfffffe30, v31
	ds_write_b32 v32, v23
	ds_write_b32 v33, v24
	;; [unrolled: 1-line block ×5, first 2 shown]
.LBB235_1890:
	s_or_b32 exec_lo, exec_lo, s7
	v_lshlrev_b32_e32 v28, 2, v28
	s_mov_b32 s7, exec_lo
	v_cmp_eq_u32_e32 vcc_lo, 0, v55
	v_add3_u32 v28, s4, v30, v28
	buffer_load_dword v30, off, s[0:3], s32 offset:740 ; 4-byte Folded Reload
	s_waitcnt vmcnt(0) lgkmcnt(0)
	s_barrier
	buffer_gl0_inv
	v_cmpx_gt_u32_e32 64, v30
	s_cbranch_execz .LBB235_1921
; %bb.1891:
	s_and_saveexec_b32 s4, vcc_lo
	s_cbranch_execnz .LBB235_1957
; %bb.1892:
	s_or_b32 exec_lo, exec_lo, s4
	s_and_saveexec_b32 s4, vcc_lo
	s_cbranch_execnz .LBB235_1958
.LBB235_1893:
	s_or_b32 exec_lo, exec_lo, s4
	s_and_saveexec_b32 s4, vcc_lo
	s_cbranch_execnz .LBB235_1959
.LBB235_1894:
	s_or_b32 exec_lo, exec_lo, s4
	s_and_saveexec_b32 s4, vcc_lo
	s_cbranch_execnz .LBB235_1960
.LBB235_1895:
	s_or_b32 exec_lo, exec_lo, s4
	s_and_saveexec_b32 s4, vcc_lo
	s_cbranch_execnz .LBB235_1961
.LBB235_1896:
	s_or_b32 exec_lo, exec_lo, s4
	s_and_saveexec_b32 s4, vcc_lo
	s_cbranch_execnz .LBB235_1962
.LBB235_1897:
	s_or_b32 exec_lo, exec_lo, s4
	s_and_saveexec_b32 s4, vcc_lo
	s_cbranch_execnz .LBB235_1963
.LBB235_1898:
	s_or_b32 exec_lo, exec_lo, s4
	s_and_saveexec_b32 s4, vcc_lo
	s_cbranch_execnz .LBB235_1964
.LBB235_1899:
	s_or_b32 exec_lo, exec_lo, s4
	s_and_saveexec_b32 s4, vcc_lo
	s_cbranch_execnz .LBB235_1965
.LBB235_1900:
	s_or_b32 exec_lo, exec_lo, s4
	s_and_saveexec_b32 s4, vcc_lo
	s_cbranch_execnz .LBB235_1966
.LBB235_1901:
	s_or_b32 exec_lo, exec_lo, s4
	s_and_saveexec_b32 s4, vcc_lo
	s_cbranch_execnz .LBB235_1967
.LBB235_1902:
	s_or_b32 exec_lo, exec_lo, s4
	s_and_saveexec_b32 s4, vcc_lo
	s_cbranch_execnz .LBB235_1968
.LBB235_1903:
	s_or_b32 exec_lo, exec_lo, s4
	s_and_saveexec_b32 s4, vcc_lo
	s_cbranch_execnz .LBB235_1969
.LBB235_1904:
	s_or_b32 exec_lo, exec_lo, s4
	s_and_saveexec_b32 s4, vcc_lo
	s_cbranch_execnz .LBB235_1970
.LBB235_1905:
	s_or_b32 exec_lo, exec_lo, s4
	s_and_saveexec_b32 s4, vcc_lo
	s_cbranch_execnz .LBB235_1971
.LBB235_1906:
	s_or_b32 exec_lo, exec_lo, s4
	s_and_saveexec_b32 s4, vcc_lo
	s_cbranch_execnz .LBB235_1972
.LBB235_1907:
	s_or_b32 exec_lo, exec_lo, s4
	s_and_saveexec_b32 s4, vcc_lo
	s_cbranch_execnz .LBB235_1973
.LBB235_1908:
	s_or_b32 exec_lo, exec_lo, s4
	s_and_saveexec_b32 s4, vcc_lo
	s_cbranch_execnz .LBB235_1974
.LBB235_1909:
	s_or_b32 exec_lo, exec_lo, s4
	s_and_saveexec_b32 s4, vcc_lo
	s_cbranch_execnz .LBB235_1975
.LBB235_1910:
	s_or_b32 exec_lo, exec_lo, s4
	s_and_saveexec_b32 s4, vcc_lo
	s_cbranch_execnz .LBB235_1976
.LBB235_1911:
	s_or_b32 exec_lo, exec_lo, s4
	s_and_saveexec_b32 s4, vcc_lo
	s_cbranch_execnz .LBB235_1977
.LBB235_1912:
	s_or_b32 exec_lo, exec_lo, s4
	s_and_saveexec_b32 s4, vcc_lo
	s_cbranch_execnz .LBB235_1978
.LBB235_1913:
	s_or_b32 exec_lo, exec_lo, s4
	s_and_saveexec_b32 s4, vcc_lo
	s_cbranch_execnz .LBB235_1979
.LBB235_1914:
	s_or_b32 exec_lo, exec_lo, s4
	s_and_saveexec_b32 s4, vcc_lo
	s_cbranch_execnz .LBB235_1980
.LBB235_1915:
	s_or_b32 exec_lo, exec_lo, s4
	s_and_saveexec_b32 s4, vcc_lo
	s_cbranch_execnz .LBB235_1981
.LBB235_1916:
	s_or_b32 exec_lo, exec_lo, s4
	s_and_saveexec_b32 s4, vcc_lo
	s_cbranch_execnz .LBB235_1982
.LBB235_1917:
	s_or_b32 exec_lo, exec_lo, s4
	s_and_saveexec_b32 s4, vcc_lo
	s_cbranch_execnz .LBB235_1983
.LBB235_1918:
	s_or_b32 exec_lo, exec_lo, s4
	s_and_saveexec_b32 s4, vcc_lo
	s_cbranch_execz .LBB235_1920
.LBB235_1919:
	ds_read_b32 v30, v28 offset:432
	s_waitcnt lgkmcnt(0)
	v_add_f32_e32 v27, v30, v27
.LBB235_1920:
	s_or_b32 exec_lo, exec_lo, s4
.LBB235_1921:
	s_or_b32 exec_lo, exec_lo, s7
	buffer_load_dword v30, off, s[0:3], s32 offset:740 ; 4-byte Folded Reload
	s_mov_b32 s7, exec_lo
	s_waitcnt vmcnt(0)
	s_barrier
	buffer_gl0_inv
	v_and_b32_e32 v30, 0x3e7, v30
	v_cmpx_eq_u32_e32 32, v30
	s_cbranch_execz .LBB235_1923
; %bb.1922:
	ds_write2_b32 v29, v0, v1 offset1:4
	ds_write2_b32 v29, v2, v3 offset0:8 offset1:12
	ds_write2_b32 v29, v5, v6 offset0:16 offset1:20
	;; [unrolled: 1-line block ×13, first 2 shown]
.LBB235_1923:
	s_or_b32 exec_lo, exec_lo, s7
	buffer_load_dword v29, off, s[0:3], s32 offset:740 ; 4-byte Folded Reload
	s_mov_b32 s7, exec_lo
	s_waitcnt vmcnt(0) lgkmcnt(0)
	s_barrier
	buffer_gl0_inv
	v_cmpx_gt_u32_e32 32, v29
	s_cbranch_execz .LBB235_1954
; %bb.1924:
	s_and_saveexec_b32 s4, vcc_lo
	s_cbranch_execnz .LBB235_1984
; %bb.1925:
	s_or_b32 exec_lo, exec_lo, s4
	s_and_saveexec_b32 s4, vcc_lo
	s_cbranch_execnz .LBB235_1985
.LBB235_1926:
	s_or_b32 exec_lo, exec_lo, s4
	s_and_saveexec_b32 s4, vcc_lo
	s_cbranch_execnz .LBB235_1986
.LBB235_1927:
	s_or_b32 exec_lo, exec_lo, s4
	s_and_saveexec_b32 s4, vcc_lo
	s_cbranch_execnz .LBB235_1987
.LBB235_1928:
	s_or_b32 exec_lo, exec_lo, s4
	s_and_saveexec_b32 s4, vcc_lo
	s_cbranch_execnz .LBB235_1988
.LBB235_1929:
	s_or_b32 exec_lo, exec_lo, s4
	s_and_saveexec_b32 s4, vcc_lo
	s_cbranch_execnz .LBB235_1989
.LBB235_1930:
	s_or_b32 exec_lo, exec_lo, s4
	s_and_saveexec_b32 s4, vcc_lo
	s_cbranch_execnz .LBB235_1990
.LBB235_1931:
	s_or_b32 exec_lo, exec_lo, s4
	s_and_saveexec_b32 s4, vcc_lo
	s_cbranch_execnz .LBB235_1991
.LBB235_1932:
	s_or_b32 exec_lo, exec_lo, s4
	s_and_saveexec_b32 s4, vcc_lo
	s_cbranch_execnz .LBB235_1992
.LBB235_1933:
	s_or_b32 exec_lo, exec_lo, s4
	s_and_saveexec_b32 s4, vcc_lo
	s_cbranch_execnz .LBB235_1993
.LBB235_1934:
	s_or_b32 exec_lo, exec_lo, s4
	s_and_saveexec_b32 s4, vcc_lo
	s_cbranch_execnz .LBB235_1994
.LBB235_1935:
	s_or_b32 exec_lo, exec_lo, s4
	s_and_saveexec_b32 s4, vcc_lo
	s_cbranch_execnz .LBB235_1995
.LBB235_1936:
	s_or_b32 exec_lo, exec_lo, s4
	s_and_saveexec_b32 s4, vcc_lo
	s_cbranch_execnz .LBB235_1996
.LBB235_1937:
	s_or_b32 exec_lo, exec_lo, s4
	s_and_saveexec_b32 s4, vcc_lo
	s_cbranch_execnz .LBB235_1997
.LBB235_1938:
	s_or_b32 exec_lo, exec_lo, s4
	s_and_saveexec_b32 s4, vcc_lo
	s_cbranch_execnz .LBB235_1998
.LBB235_1939:
	s_or_b32 exec_lo, exec_lo, s4
	s_and_saveexec_b32 s4, vcc_lo
	s_cbranch_execnz .LBB235_1999
.LBB235_1940:
	s_or_b32 exec_lo, exec_lo, s4
	s_and_saveexec_b32 s4, vcc_lo
	s_cbranch_execnz .LBB235_2000
.LBB235_1941:
	s_or_b32 exec_lo, exec_lo, s4
	s_and_saveexec_b32 s4, vcc_lo
	s_cbranch_execnz .LBB235_2001
.LBB235_1942:
	s_or_b32 exec_lo, exec_lo, s4
	s_and_saveexec_b32 s4, vcc_lo
	s_cbranch_execnz .LBB235_2002
.LBB235_1943:
	s_or_b32 exec_lo, exec_lo, s4
	s_and_saveexec_b32 s4, vcc_lo
	s_cbranch_execnz .LBB235_2003
.LBB235_1944:
	s_or_b32 exec_lo, exec_lo, s4
	s_and_saveexec_b32 s4, vcc_lo
	s_cbranch_execnz .LBB235_2004
.LBB235_1945:
	s_or_b32 exec_lo, exec_lo, s4
	s_and_saveexec_b32 s4, vcc_lo
	s_cbranch_execnz .LBB235_2005
.LBB235_1946:
	s_or_b32 exec_lo, exec_lo, s4
	s_and_saveexec_b32 s4, vcc_lo
	s_cbranch_execnz .LBB235_2006
.LBB235_1947:
	s_or_b32 exec_lo, exec_lo, s4
	s_and_saveexec_b32 s4, vcc_lo
	s_cbranch_execnz .LBB235_2007
.LBB235_1948:
	s_or_b32 exec_lo, exec_lo, s4
	s_and_saveexec_b32 s4, vcc_lo
	s_cbranch_execnz .LBB235_2008
.LBB235_1949:
	s_or_b32 exec_lo, exec_lo, s4
	s_and_saveexec_b32 s4, vcc_lo
	s_cbranch_execnz .LBB235_2009
.LBB235_1950:
	s_or_b32 exec_lo, exec_lo, s4
	s_and_saveexec_b32 s4, vcc_lo
	s_cbranch_execnz .LBB235_2010
.LBB235_1951:
	s_or_b32 exec_lo, exec_lo, s4
	s_and_saveexec_b32 s4, vcc_lo
	s_cbranch_execz .LBB235_1953
.LBB235_1952:
	ds_read_b32 v28, v28 offset:432
	s_waitcnt lgkmcnt(0)
	v_add_f32_e32 v27, v28, v27
.LBB235_1953:
	s_or_b32 exec_lo, exec_lo, s4
.LBB235_1954:
	s_or_b32 exec_lo, exec_lo, s7
	v_cmp_eq_u32_e32 vcc_lo, 0, v30
	s_barrier
	buffer_gl0_inv
	s_and_b32 exec_lo, exec_lo, vcc_lo
	s_cbranch_execz .LBB235_1956
; %bb.1955:
	s_clause 0x2
	buffer_load_dword v28, off, s[0:3], s32 offset:1236
	buffer_load_dword v29, off, s[0:3], s32 offset:1232
	;; [unrolled: 1-line block ×3, first 2 shown]
	s_mulk_i32 s6, 0x70
	s_mul_i32 s4, s10, s5
	s_ashr_i32 s7, s6, 31
	s_ashr_i32 s5, s4, 31
	s_lshl_b64 s[6:7], s[6:7], 2
	s_lshl_b64 s[4:5], s[4:5], 2
	s_waitcnt vmcnt(2)
	v_add_co_u32 v28, vcc_lo, v28, s6
	s_waitcnt vmcnt(1)
	v_add_co_ci_u32_e64 v29, null, s7, v29, vcc_lo
	s_mul_i32 s6, s14, 0x70
	v_add_co_u32 v28, vcc_lo, v28, s4
	s_ashr_i32 s7, s6, 31
	v_add_co_ci_u32_e64 v29, null, s5, v29, vcc_lo
	s_lshl_b64 s[4:5], s[6:7], 2
	s_waitcnt vmcnt(0)
	v_lshrrev_b32_e32 v30, 1, v30
	v_add_co_u32 v28, vcc_lo, v28, s4
	v_add_co_ci_u32_e64 v29, null, s5, v29, vcc_lo
	v_add_co_u32 v28, vcc_lo, v28, v30
	v_add_co_ci_u32_e64 v29, null, 0, v29, vcc_lo
	flat_store_dword v[28:29], v0
	flat_store_dword v[28:29], v1 offset:16
	flat_store_dword v[28:29], v2 offset:32
	;; [unrolled: 1-line block ×27, first 2 shown]
.LBB235_1956:
	s_or_b32 exec_lo, exec_lo, s19
	s_clause 0x2f
	buffer_load_dword v127, off, s[0:3], s32 offset:8
	buffer_load_dword v126, off, s[0:3], s32 offset:12
	;; [unrolled: 1-line block ×48, first 2 shown]
	s_waitcnt vmcnt(0) lgkmcnt(0)
	s_setpc_b64 s[30:31]
.LBB235_1957:
	ds_read_b32 v30, v28
	s_waitcnt lgkmcnt(0)
	v_add_f32_e32 v0, v30, v0
	s_or_b32 exec_lo, exec_lo, s4
	s_and_saveexec_b32 s4, vcc_lo
	s_cbranch_execz .LBB235_1893
.LBB235_1958:
	ds_read_b32 v30, v28 offset:16
	s_waitcnt lgkmcnt(0)
	v_add_f32_e32 v1, v30, v1
	s_or_b32 exec_lo, exec_lo, s4
	s_and_saveexec_b32 s4, vcc_lo
	s_cbranch_execz .LBB235_1894
.LBB235_1959:
	ds_read_b32 v30, v28 offset:32
	s_waitcnt lgkmcnt(0)
	v_add_f32_e32 v2, v30, v2
	s_or_b32 exec_lo, exec_lo, s4
	s_and_saveexec_b32 s4, vcc_lo
	s_cbranch_execz .LBB235_1895
.LBB235_1960:
	ds_read_b32 v30, v28 offset:48
	s_waitcnt lgkmcnt(0)
	v_add_f32_e32 v3, v30, v3
	s_or_b32 exec_lo, exec_lo, s4
	s_and_saveexec_b32 s4, vcc_lo
	s_cbranch_execz .LBB235_1896
.LBB235_1961:
	ds_read_b32 v30, v28 offset:64
	s_waitcnt lgkmcnt(0)
	v_add_f32_e32 v5, v30, v5
	s_or_b32 exec_lo, exec_lo, s4
	s_and_saveexec_b32 s4, vcc_lo
	s_cbranch_execz .LBB235_1897
.LBB235_1962:
	ds_read_b32 v30, v28 offset:80
	s_waitcnt lgkmcnt(0)
	v_add_f32_e32 v6, v30, v6
	s_or_b32 exec_lo, exec_lo, s4
	s_and_saveexec_b32 s4, vcc_lo
	s_cbranch_execz .LBB235_1898
.LBB235_1963:
	ds_read_b32 v30, v28 offset:96
	s_waitcnt lgkmcnt(0)
	v_add_f32_e32 v7, v30, v7
	s_or_b32 exec_lo, exec_lo, s4
	s_and_saveexec_b32 s4, vcc_lo
	s_cbranch_execz .LBB235_1899
.LBB235_1964:
	ds_read_b32 v30, v28 offset:112
	s_waitcnt lgkmcnt(0)
	v_add_f32_e32 v8, v30, v8
	s_or_b32 exec_lo, exec_lo, s4
	s_and_saveexec_b32 s4, vcc_lo
	s_cbranch_execz .LBB235_1900
.LBB235_1965:
	ds_read_b32 v30, v28 offset:128
	s_waitcnt lgkmcnt(0)
	v_add_f32_e32 v9, v30, v9
	s_or_b32 exec_lo, exec_lo, s4
	s_and_saveexec_b32 s4, vcc_lo
	s_cbranch_execz .LBB235_1901
.LBB235_1966:
	ds_read_b32 v30, v28 offset:144
	s_waitcnt lgkmcnt(0)
	v_add_f32_e32 v10, v30, v10
	s_or_b32 exec_lo, exec_lo, s4
	s_and_saveexec_b32 s4, vcc_lo
	s_cbranch_execz .LBB235_1902
.LBB235_1967:
	ds_read_b32 v30, v28 offset:160
	s_waitcnt lgkmcnt(0)
	v_add_f32_e32 v11, v30, v11
	s_or_b32 exec_lo, exec_lo, s4
	s_and_saveexec_b32 s4, vcc_lo
	s_cbranch_execz .LBB235_1903
.LBB235_1968:
	ds_read_b32 v30, v28 offset:176
	s_waitcnt lgkmcnt(0)
	v_add_f32_e32 v4, v30, v4
	s_or_b32 exec_lo, exec_lo, s4
	s_and_saveexec_b32 s4, vcc_lo
	s_cbranch_execz .LBB235_1904
.LBB235_1969:
	ds_read_b32 v30, v28 offset:192
	s_waitcnt lgkmcnt(0)
	v_add_f32_e32 v12, v30, v12
	s_or_b32 exec_lo, exec_lo, s4
	s_and_saveexec_b32 s4, vcc_lo
	s_cbranch_execz .LBB235_1905
.LBB235_1970:
	ds_read_b32 v30, v28 offset:208
	s_waitcnt lgkmcnt(0)
	v_add_f32_e32 v13, v30, v13
	s_or_b32 exec_lo, exec_lo, s4
	s_and_saveexec_b32 s4, vcc_lo
	s_cbranch_execz .LBB235_1906
.LBB235_1971:
	ds_read_b32 v30, v28 offset:224
	s_waitcnt lgkmcnt(0)
	v_add_f32_e32 v14, v30, v14
	s_or_b32 exec_lo, exec_lo, s4
	s_and_saveexec_b32 s4, vcc_lo
	s_cbranch_execz .LBB235_1907
.LBB235_1972:
	ds_read_b32 v30, v28 offset:240
	s_waitcnt lgkmcnt(0)
	v_add_f32_e32 v15, v30, v15
	s_or_b32 exec_lo, exec_lo, s4
	s_and_saveexec_b32 s4, vcc_lo
	s_cbranch_execz .LBB235_1908
.LBB235_1973:
	ds_read_b32 v30, v28 offset:256
	s_waitcnt lgkmcnt(0)
	v_add_f32_e32 v16, v30, v16
	s_or_b32 exec_lo, exec_lo, s4
	s_and_saveexec_b32 s4, vcc_lo
	s_cbranch_execz .LBB235_1909
.LBB235_1974:
	ds_read_b32 v30, v28 offset:272
	s_waitcnt lgkmcnt(0)
	v_add_f32_e32 v17, v30, v17
	s_or_b32 exec_lo, exec_lo, s4
	s_and_saveexec_b32 s4, vcc_lo
	s_cbranch_execz .LBB235_1910
.LBB235_1975:
	ds_read_b32 v30, v28 offset:288
	s_waitcnt lgkmcnt(0)
	v_add_f32_e32 v18, v30, v18
	s_or_b32 exec_lo, exec_lo, s4
	s_and_saveexec_b32 s4, vcc_lo
	s_cbranch_execz .LBB235_1911
.LBB235_1976:
	ds_read_b32 v30, v28 offset:304
	s_waitcnt lgkmcnt(0)
	v_add_f32_e32 v19, v30, v19
	s_or_b32 exec_lo, exec_lo, s4
	s_and_saveexec_b32 s4, vcc_lo
	s_cbranch_execz .LBB235_1912
.LBB235_1977:
	ds_read_b32 v30, v28 offset:320
	s_waitcnt lgkmcnt(0)
	v_add_f32_e32 v20, v30, v20
	s_or_b32 exec_lo, exec_lo, s4
	s_and_saveexec_b32 s4, vcc_lo
	s_cbranch_execz .LBB235_1913
.LBB235_1978:
	ds_read_b32 v30, v28 offset:336
	s_waitcnt lgkmcnt(0)
	v_add_f32_e32 v21, v30, v21
	s_or_b32 exec_lo, exec_lo, s4
	s_and_saveexec_b32 s4, vcc_lo
	s_cbranch_execz .LBB235_1914
.LBB235_1979:
	ds_read_b32 v30, v28 offset:352
	s_waitcnt lgkmcnt(0)
	v_add_f32_e32 v22, v30, v22
	s_or_b32 exec_lo, exec_lo, s4
	s_and_saveexec_b32 s4, vcc_lo
	s_cbranch_execz .LBB235_1915
.LBB235_1980:
	ds_read_b32 v30, v28 offset:368
	s_waitcnt lgkmcnt(0)
	v_add_f32_e32 v23, v30, v23
	s_or_b32 exec_lo, exec_lo, s4
	s_and_saveexec_b32 s4, vcc_lo
	s_cbranch_execz .LBB235_1916
.LBB235_1981:
	ds_read_b32 v30, v28 offset:384
	s_waitcnt lgkmcnt(0)
	v_add_f32_e32 v24, v30, v24
	s_or_b32 exec_lo, exec_lo, s4
	s_and_saveexec_b32 s4, vcc_lo
	s_cbranch_execz .LBB235_1917
.LBB235_1982:
	ds_read_b32 v30, v28 offset:400
	s_waitcnt lgkmcnt(0)
	v_add_f32_e32 v25, v30, v25
	s_or_b32 exec_lo, exec_lo, s4
	s_and_saveexec_b32 s4, vcc_lo
	s_cbranch_execz .LBB235_1918
.LBB235_1983:
	ds_read_b32 v30, v28 offset:416
	s_waitcnt lgkmcnt(0)
	v_add_f32_e32 v26, v30, v26
	s_or_b32 exec_lo, exec_lo, s4
	s_and_saveexec_b32 s4, vcc_lo
	s_cbranch_execnz .LBB235_1919
	s_branch .LBB235_1920
.LBB235_1984:
	ds_read_b32 v29, v28
	s_waitcnt lgkmcnt(0)
	v_add_f32_e32 v0, v29, v0
	s_or_b32 exec_lo, exec_lo, s4
	s_and_saveexec_b32 s4, vcc_lo
	s_cbranch_execz .LBB235_1926
.LBB235_1985:
	ds_read_b32 v29, v28 offset:16
	s_waitcnt lgkmcnt(0)
	v_add_f32_e32 v1, v29, v1
	s_or_b32 exec_lo, exec_lo, s4
	s_and_saveexec_b32 s4, vcc_lo
	s_cbranch_execz .LBB235_1927
.LBB235_1986:
	ds_read_b32 v29, v28 offset:32
	s_waitcnt lgkmcnt(0)
	v_add_f32_e32 v2, v29, v2
	s_or_b32 exec_lo, exec_lo, s4
	s_and_saveexec_b32 s4, vcc_lo
	s_cbranch_execz .LBB235_1928
.LBB235_1987:
	ds_read_b32 v29, v28 offset:48
	s_waitcnt lgkmcnt(0)
	v_add_f32_e32 v3, v29, v3
	s_or_b32 exec_lo, exec_lo, s4
	s_and_saveexec_b32 s4, vcc_lo
	s_cbranch_execz .LBB235_1929
.LBB235_1988:
	ds_read_b32 v29, v28 offset:64
	s_waitcnt lgkmcnt(0)
	v_add_f32_e32 v5, v29, v5
	s_or_b32 exec_lo, exec_lo, s4
	s_and_saveexec_b32 s4, vcc_lo
	s_cbranch_execz .LBB235_1930
.LBB235_1989:
	ds_read_b32 v29, v28 offset:80
	s_waitcnt lgkmcnt(0)
	v_add_f32_e32 v6, v29, v6
	s_or_b32 exec_lo, exec_lo, s4
	s_and_saveexec_b32 s4, vcc_lo
	s_cbranch_execz .LBB235_1931
.LBB235_1990:
	ds_read_b32 v29, v28 offset:96
	s_waitcnt lgkmcnt(0)
	v_add_f32_e32 v7, v29, v7
	s_or_b32 exec_lo, exec_lo, s4
	s_and_saveexec_b32 s4, vcc_lo
	s_cbranch_execz .LBB235_1932
.LBB235_1991:
	ds_read_b32 v29, v28 offset:112
	s_waitcnt lgkmcnt(0)
	v_add_f32_e32 v8, v29, v8
	s_or_b32 exec_lo, exec_lo, s4
	s_and_saveexec_b32 s4, vcc_lo
	s_cbranch_execz .LBB235_1933
.LBB235_1992:
	ds_read_b32 v29, v28 offset:128
	s_waitcnt lgkmcnt(0)
	v_add_f32_e32 v9, v29, v9
	s_or_b32 exec_lo, exec_lo, s4
	s_and_saveexec_b32 s4, vcc_lo
	s_cbranch_execz .LBB235_1934
.LBB235_1993:
	ds_read_b32 v29, v28 offset:144
	s_waitcnt lgkmcnt(0)
	v_add_f32_e32 v10, v29, v10
	s_or_b32 exec_lo, exec_lo, s4
	s_and_saveexec_b32 s4, vcc_lo
	s_cbranch_execz .LBB235_1935
.LBB235_1994:
	ds_read_b32 v29, v28 offset:160
	s_waitcnt lgkmcnt(0)
	v_add_f32_e32 v11, v29, v11
	s_or_b32 exec_lo, exec_lo, s4
	s_and_saveexec_b32 s4, vcc_lo
	s_cbranch_execz .LBB235_1936
.LBB235_1995:
	ds_read_b32 v29, v28 offset:176
	s_waitcnt lgkmcnt(0)
	v_add_f32_e32 v4, v29, v4
	s_or_b32 exec_lo, exec_lo, s4
	s_and_saveexec_b32 s4, vcc_lo
	s_cbranch_execz .LBB235_1937
.LBB235_1996:
	ds_read_b32 v29, v28 offset:192
	s_waitcnt lgkmcnt(0)
	v_add_f32_e32 v12, v29, v12
	s_or_b32 exec_lo, exec_lo, s4
	s_and_saveexec_b32 s4, vcc_lo
	s_cbranch_execz .LBB235_1938
.LBB235_1997:
	ds_read_b32 v29, v28 offset:208
	s_waitcnt lgkmcnt(0)
	v_add_f32_e32 v13, v29, v13
	s_or_b32 exec_lo, exec_lo, s4
	s_and_saveexec_b32 s4, vcc_lo
	s_cbranch_execz .LBB235_1939
.LBB235_1998:
	ds_read_b32 v29, v28 offset:224
	s_waitcnt lgkmcnt(0)
	v_add_f32_e32 v14, v29, v14
	s_or_b32 exec_lo, exec_lo, s4
	s_and_saveexec_b32 s4, vcc_lo
	s_cbranch_execz .LBB235_1940
.LBB235_1999:
	ds_read_b32 v29, v28 offset:240
	s_waitcnt lgkmcnt(0)
	v_add_f32_e32 v15, v29, v15
	s_or_b32 exec_lo, exec_lo, s4
	s_and_saveexec_b32 s4, vcc_lo
	s_cbranch_execz .LBB235_1941
.LBB235_2000:
	ds_read_b32 v29, v28 offset:256
	s_waitcnt lgkmcnt(0)
	v_add_f32_e32 v16, v29, v16
	s_or_b32 exec_lo, exec_lo, s4
	s_and_saveexec_b32 s4, vcc_lo
	s_cbranch_execz .LBB235_1942
.LBB235_2001:
	ds_read_b32 v29, v28 offset:272
	s_waitcnt lgkmcnt(0)
	v_add_f32_e32 v17, v29, v17
	s_or_b32 exec_lo, exec_lo, s4
	s_and_saveexec_b32 s4, vcc_lo
	s_cbranch_execz .LBB235_1943
.LBB235_2002:
	ds_read_b32 v29, v28 offset:288
	s_waitcnt lgkmcnt(0)
	v_add_f32_e32 v18, v29, v18
	s_or_b32 exec_lo, exec_lo, s4
	s_and_saveexec_b32 s4, vcc_lo
	s_cbranch_execz .LBB235_1944
.LBB235_2003:
	ds_read_b32 v29, v28 offset:304
	s_waitcnt lgkmcnt(0)
	v_add_f32_e32 v19, v29, v19
	s_or_b32 exec_lo, exec_lo, s4
	s_and_saveexec_b32 s4, vcc_lo
	s_cbranch_execz .LBB235_1945
.LBB235_2004:
	ds_read_b32 v29, v28 offset:320
	s_waitcnt lgkmcnt(0)
	v_add_f32_e32 v20, v29, v20
	s_or_b32 exec_lo, exec_lo, s4
	s_and_saveexec_b32 s4, vcc_lo
	s_cbranch_execz .LBB235_1946
.LBB235_2005:
	ds_read_b32 v29, v28 offset:336
	s_waitcnt lgkmcnt(0)
	v_add_f32_e32 v21, v29, v21
	s_or_b32 exec_lo, exec_lo, s4
	s_and_saveexec_b32 s4, vcc_lo
	s_cbranch_execz .LBB235_1947
.LBB235_2006:
	ds_read_b32 v29, v28 offset:352
	s_waitcnt lgkmcnt(0)
	v_add_f32_e32 v22, v29, v22
	s_or_b32 exec_lo, exec_lo, s4
	s_and_saveexec_b32 s4, vcc_lo
	s_cbranch_execz .LBB235_1948
.LBB235_2007:
	ds_read_b32 v29, v28 offset:368
	s_waitcnt lgkmcnt(0)
	v_add_f32_e32 v23, v29, v23
	s_or_b32 exec_lo, exec_lo, s4
	s_and_saveexec_b32 s4, vcc_lo
	s_cbranch_execz .LBB235_1949
.LBB235_2008:
	ds_read_b32 v29, v28 offset:384
	s_waitcnt lgkmcnt(0)
	v_add_f32_e32 v24, v29, v24
	s_or_b32 exec_lo, exec_lo, s4
	s_and_saveexec_b32 s4, vcc_lo
	s_cbranch_execz .LBB235_1950
.LBB235_2009:
	ds_read_b32 v29, v28 offset:400
	s_waitcnt lgkmcnt(0)
	v_add_f32_e32 v25, v29, v25
	s_or_b32 exec_lo, exec_lo, s4
	s_and_saveexec_b32 s4, vcc_lo
	s_cbranch_execz .LBB235_1951
.LBB235_2010:
	ds_read_b32 v29, v28 offset:416
	s_waitcnt lgkmcnt(0)
	v_add_f32_e32 v26, v29, v26
	s_or_b32 exec_lo, exec_lo, s4
	s_and_saveexec_b32 s4, vcc_lo
	s_cbranch_execnz .LBB235_1952
	s_branch .LBB235_1953
.Lfunc_end235:
	.size	_ZN4vllm22paged_attention_kernelIfhLi112ELi32ELi128ELNS_18Fp8KVCacheDataTypeE1ELb1ELi512EEEvPfS2_PT_PKS3_PKT0_S9_ifPKiSB_iPKfiiiSD_SD_iiiii, .Lfunc_end235-_ZN4vllm22paged_attention_kernelIfhLi112ELi32ELi128ELNS_18Fp8KVCacheDataTypeE1ELb1ELi512EEEvPfS2_PT_PKS3_PKT0_S9_ifPKiSB_iPKfiiiSD_SD_iiiii
                                        ; -- End function
	.set .L_ZN4vllm22paged_attention_kernelIfhLi112ELi32ELi128ELNS_18Fp8KVCacheDataTypeE1ELb1ELi512EEEvPfS2_PT_PKS3_PKT0_S9_ifPKiSB_iPKfiiiSD_SD_iiiii.num_vgpr, 128
	.set .L_ZN4vllm22paged_attention_kernelIfhLi112ELi32ELi128ELNS_18Fp8KVCacheDataTypeE1ELb1ELi512EEEvPfS2_PT_PKS3_PKT0_S9_ifPKiSB_iPKfiiiSD_SD_iiiii.num_agpr, 0
	.set .L_ZN4vllm22paged_attention_kernelIfhLi112ELi32ELi128ELNS_18Fp8KVCacheDataTypeE1ELb1ELi512EEEvPfS2_PT_PKS3_PKT0_S9_ifPKiSB_iPKfiiiSD_SD_iiiii.numbered_sgpr, 33
	.set .L_ZN4vllm22paged_attention_kernelIfhLi112ELi32ELi128ELNS_18Fp8KVCacheDataTypeE1ELb1ELi512EEEvPfS2_PT_PKS3_PKT0_S9_ifPKiSB_iPKfiiiSD_SD_iiiii.num_named_barrier, 0
	.set .L_ZN4vllm22paged_attention_kernelIfhLi112ELi32ELi128ELNS_18Fp8KVCacheDataTypeE1ELb1ELi512EEEvPfS2_PT_PKS3_PKT0_S9_ifPKiSB_iPKfiiiSD_SD_iiiii.private_seg_size, 1312
	.set .L_ZN4vllm22paged_attention_kernelIfhLi112ELi32ELi128ELNS_18Fp8KVCacheDataTypeE1ELb1ELi512EEEvPfS2_PT_PKS3_PKT0_S9_ifPKiSB_iPKfiiiSD_SD_iiiii.uses_vcc, 1
	.set .L_ZN4vllm22paged_attention_kernelIfhLi112ELi32ELi128ELNS_18Fp8KVCacheDataTypeE1ELb1ELi512EEEvPfS2_PT_PKS3_PKT0_S9_ifPKiSB_iPKfiiiSD_SD_iiiii.uses_flat_scratch, 0
	.set .L_ZN4vllm22paged_attention_kernelIfhLi112ELi32ELi128ELNS_18Fp8KVCacheDataTypeE1ELb1ELi512EEEvPfS2_PT_PKS3_PKT0_S9_ifPKiSB_iPKfiiiSD_SD_iiiii.has_dyn_sized_stack, 0
	.set .L_ZN4vllm22paged_attention_kernelIfhLi112ELi32ELi128ELNS_18Fp8KVCacheDataTypeE1ELb1ELi512EEEvPfS2_PT_PKS3_PKT0_S9_ifPKiSB_iPKfiiiSD_SD_iiiii.has_recursion, 0
	.set .L_ZN4vllm22paged_attention_kernelIfhLi112ELi32ELi128ELNS_18Fp8KVCacheDataTypeE1ELb1ELi512EEEvPfS2_PT_PKS3_PKT0_S9_ifPKiSB_iPKfiiiSD_SD_iiiii.has_indirect_call, 0
	.section	.AMDGPU.csdata,"",@progbits
; Function info:
; codeLenInByte = 70164
; TotalNumSgprs: 35
; NumVgprs: 128
; ScratchSize: 1312
; MemoryBound: 0
	.section	.text._ZN4vllm25paged_attention_v2_kernelIfhLi112ELi32ELi128ELNS_18Fp8KVCacheDataTypeE1ELb1ELi512EEEvPfS2_PT_PKS3_PKT0_S9_ifPKiSB_iPKfiiiSD_SD_iiiii,"axG",@progbits,_ZN4vllm25paged_attention_v2_kernelIfhLi112ELi32ELi128ELNS_18Fp8KVCacheDataTypeE1ELb1ELi512EEEvPfS2_PT_PKS3_PKT0_S9_ifPKiSB_iPKfiiiSD_SD_iiiii,comdat
	.protected	_ZN4vllm25paged_attention_v2_kernelIfhLi112ELi32ELi128ELNS_18Fp8KVCacheDataTypeE1ELb1ELi512EEEvPfS2_PT_PKS3_PKT0_S9_ifPKiSB_iPKfiiiSD_SD_iiiii ; -- Begin function _ZN4vllm25paged_attention_v2_kernelIfhLi112ELi32ELi128ELNS_18Fp8KVCacheDataTypeE1ELb1ELi512EEEvPfS2_PT_PKS3_PKT0_S9_ifPKiSB_iPKfiiiSD_SD_iiiii
	.globl	_ZN4vllm25paged_attention_v2_kernelIfhLi112ELi32ELi128ELNS_18Fp8KVCacheDataTypeE1ELb1ELi512EEEvPfS2_PT_PKS3_PKT0_S9_ifPKiSB_iPKfiiiSD_SD_iiiii
	.p2align	8
	.type	_ZN4vllm25paged_attention_v2_kernelIfhLi112ELi32ELi128ELNS_18Fp8KVCacheDataTypeE1ELb1ELi512EEEvPfS2_PT_PKS3_PKT0_S9_ifPKiSB_iPKfiiiSD_SD_iiiii,@function
_ZN4vllm25paged_attention_v2_kernelIfhLi112ELi32ELi128ELNS_18Fp8KVCacheDataTypeE1ELb1ELi512EEEvPfS2_PT_PKS3_PKT0_S9_ifPKiSB_iPKfiiiSD_SD_iiiii: ; @_ZN4vllm25paged_attention_v2_kernelIfhLi112ELi32ELi128ELNS_18Fp8KVCacheDataTypeE1ELb1ELi512EEEvPfS2_PT_PKS3_PKT0_S9_ifPKiSB_iPKfiiiSD_SD_iiiii
; %bb.0:
	s_mov_b32 s14, s8
	s_clause 0x7
	s_load_dwordx4 s[36:39], s[4:5], 0x78
	s_load_dword s8, s[4:5], 0x88
	s_load_dwordx8 s[40:47], s[4:5], 0x0
	s_load_dwordx8 s[24:31], s[4:5], 0x20
	s_load_dwordx2 s[10:11], s[4:5], 0x40
	s_load_dwordx2 s[34:35], s[4:5], 0x50
	s_load_dword s13, s[4:5], 0x48
	s_load_dwordx8 s[16:23], s[4:5], 0x58
	s_add_u32 s0, s0, s9
	s_mov_b32 s32, 0
	s_addc_u32 s1, s1, 0
	v_mov_b32_e32 v31, v0
	s_mov_b32 s12, s6
	s_mov_b32 s15, 17
	s_waitcnt lgkmcnt(0)
	v_mov_b32_e32 v1, s39
	v_mov_b32_e32 v2, s8
	;; [unrolled: 1-line block ×4, first 2 shown]
	buffer_store_dword v1, off, s[0:3], s32
	buffer_store_dword v2, off, s[0:3], s32 offset:4
	v_mov_b32_e32 v1, s41
	v_mov_b32_e32 v2, s42
	;; [unrolled: 1-line block ×29, first 2 shown]
	s_add_u32 s8, s4, 0x90
	s_addc_u32 s9, s5, 0
	s_getpc_b64 s[4:5]
	s_add_u32 s4, s4, _ZN4vllm22paged_attention_kernelIfhLi112ELi32ELi128ELNS_18Fp8KVCacheDataTypeE1ELb1ELi512EEEvPfS2_PT_PKS3_PKT0_S9_ifPKiSB_iPKfiiiSD_SD_iiiii@rel32@lo+4
	s_addc_u32 s5, s5, _ZN4vllm22paged_attention_kernelIfhLi112ELi32ELi128ELNS_18Fp8KVCacheDataTypeE1ELb1ELi512EEEvPfS2_PT_PKS3_PKT0_S9_ifPKiSB_iPKfiiiSD_SD_iiiii@rel32@hi+12
	s_mov_b32 s13, s7
	s_swappc_b64 s[30:31], s[4:5]
	s_endpgm
	.section	.rodata,"a",@progbits
	.p2align	6, 0x0
	.amdhsa_kernel _ZN4vllm25paged_attention_v2_kernelIfhLi112ELi32ELi128ELNS_18Fp8KVCacheDataTypeE1ELb1ELi512EEEvPfS2_PT_PKS3_PKT0_S9_ifPKiSB_iPKfiiiSD_SD_iiiii
		.amdhsa_group_segment_fixed_size 480
		.amdhsa_private_segment_fixed_size 1312
		.amdhsa_kernarg_size 400
		.amdhsa_user_sgpr_count 6
		.amdhsa_user_sgpr_private_segment_buffer 1
		.amdhsa_user_sgpr_dispatch_ptr 0
		.amdhsa_user_sgpr_queue_ptr 0
		.amdhsa_user_sgpr_kernarg_segment_ptr 1
		.amdhsa_user_sgpr_dispatch_id 0
		.amdhsa_user_sgpr_flat_scratch_init 0
		.amdhsa_user_sgpr_private_segment_size 0
		.amdhsa_wavefront_size32 1
		.amdhsa_uses_dynamic_stack 0
		.amdhsa_system_sgpr_private_segment_wavefront_offset 1
		.amdhsa_system_sgpr_workgroup_id_x 1
		.amdhsa_system_sgpr_workgroup_id_y 1
		.amdhsa_system_sgpr_workgroup_id_z 1
		.amdhsa_system_sgpr_workgroup_info 0
		.amdhsa_system_vgpr_workitem_id 0
		.amdhsa_next_free_vgpr 128
		.amdhsa_next_free_sgpr 48
		.amdhsa_reserve_vcc 1
		.amdhsa_reserve_flat_scratch 0
		.amdhsa_float_round_mode_32 0
		.amdhsa_float_round_mode_16_64 0
		.amdhsa_float_denorm_mode_32 3
		.amdhsa_float_denorm_mode_16_64 3
		.amdhsa_dx10_clamp 1
		.amdhsa_ieee_mode 1
		.amdhsa_fp16_overflow 0
		.amdhsa_workgroup_processor_mode 1
		.amdhsa_memory_ordered 1
		.amdhsa_forward_progress 1
		.amdhsa_shared_vgpr_count 0
		.amdhsa_exception_fp_ieee_invalid_op 0
		.amdhsa_exception_fp_denorm_src 0
		.amdhsa_exception_fp_ieee_div_zero 0
		.amdhsa_exception_fp_ieee_overflow 0
		.amdhsa_exception_fp_ieee_underflow 0
		.amdhsa_exception_fp_ieee_inexact 0
		.amdhsa_exception_int_div_zero 0
	.end_amdhsa_kernel
	.section	.text._ZN4vllm25paged_attention_v2_kernelIfhLi112ELi32ELi128ELNS_18Fp8KVCacheDataTypeE1ELb1ELi512EEEvPfS2_PT_PKS3_PKT0_S9_ifPKiSB_iPKfiiiSD_SD_iiiii,"axG",@progbits,_ZN4vllm25paged_attention_v2_kernelIfhLi112ELi32ELi128ELNS_18Fp8KVCacheDataTypeE1ELb1ELi512EEEvPfS2_PT_PKS3_PKT0_S9_ifPKiSB_iPKfiiiSD_SD_iiiii,comdat
.Lfunc_end236:
	.size	_ZN4vllm25paged_attention_v2_kernelIfhLi112ELi32ELi128ELNS_18Fp8KVCacheDataTypeE1ELb1ELi512EEEvPfS2_PT_PKS3_PKT0_S9_ifPKiSB_iPKfiiiSD_SD_iiiii, .Lfunc_end236-_ZN4vllm25paged_attention_v2_kernelIfhLi112ELi32ELi128ELNS_18Fp8KVCacheDataTypeE1ELb1ELi512EEEvPfS2_PT_PKS3_PKT0_S9_ifPKiSB_iPKfiiiSD_SD_iiiii
                                        ; -- End function
	.set _ZN4vllm25paged_attention_v2_kernelIfhLi112ELi32ELi128ELNS_18Fp8KVCacheDataTypeE1ELb1ELi512EEEvPfS2_PT_PKS3_PKT0_S9_ifPKiSB_iPKfiiiSD_SD_iiiii.num_vgpr, max(32, .L_ZN4vllm22paged_attention_kernelIfhLi112ELi32ELi128ELNS_18Fp8KVCacheDataTypeE1ELb1ELi512EEEvPfS2_PT_PKS3_PKT0_S9_ifPKiSB_iPKfiiiSD_SD_iiiii.num_vgpr)
	.set _ZN4vllm25paged_attention_v2_kernelIfhLi112ELi32ELi128ELNS_18Fp8KVCacheDataTypeE1ELb1ELi512EEEvPfS2_PT_PKS3_PKT0_S9_ifPKiSB_iPKfiiiSD_SD_iiiii.num_agpr, max(0, .L_ZN4vllm22paged_attention_kernelIfhLi112ELi32ELi128ELNS_18Fp8KVCacheDataTypeE1ELb1ELi512EEEvPfS2_PT_PKS3_PKT0_S9_ifPKiSB_iPKfiiiSD_SD_iiiii.num_agpr)
	.set _ZN4vllm25paged_attention_v2_kernelIfhLi112ELi32ELi128ELNS_18Fp8KVCacheDataTypeE1ELb1ELi512EEEvPfS2_PT_PKS3_PKT0_S9_ifPKiSB_iPKfiiiSD_SD_iiiii.numbered_sgpr, max(48, .L_ZN4vllm22paged_attention_kernelIfhLi112ELi32ELi128ELNS_18Fp8KVCacheDataTypeE1ELb1ELi512EEEvPfS2_PT_PKS3_PKT0_S9_ifPKiSB_iPKfiiiSD_SD_iiiii.numbered_sgpr)
	.set _ZN4vllm25paged_attention_v2_kernelIfhLi112ELi32ELi128ELNS_18Fp8KVCacheDataTypeE1ELb1ELi512EEEvPfS2_PT_PKS3_PKT0_S9_ifPKiSB_iPKfiiiSD_SD_iiiii.num_named_barrier, max(0, .L_ZN4vllm22paged_attention_kernelIfhLi112ELi32ELi128ELNS_18Fp8KVCacheDataTypeE1ELb1ELi512EEEvPfS2_PT_PKS3_PKT0_S9_ifPKiSB_iPKfiiiSD_SD_iiiii.num_named_barrier)
	.set _ZN4vllm25paged_attention_v2_kernelIfhLi112ELi32ELi128ELNS_18Fp8KVCacheDataTypeE1ELb1ELi512EEEvPfS2_PT_PKS3_PKT0_S9_ifPKiSB_iPKfiiiSD_SD_iiiii.private_seg_size, 0+max(.L_ZN4vllm22paged_attention_kernelIfhLi112ELi32ELi128ELNS_18Fp8KVCacheDataTypeE1ELb1ELi512EEEvPfS2_PT_PKS3_PKT0_S9_ifPKiSB_iPKfiiiSD_SD_iiiii.private_seg_size)
	.set _ZN4vllm25paged_attention_v2_kernelIfhLi112ELi32ELi128ELNS_18Fp8KVCacheDataTypeE1ELb1ELi512EEEvPfS2_PT_PKS3_PKT0_S9_ifPKiSB_iPKfiiiSD_SD_iiiii.uses_vcc, or(1, .L_ZN4vllm22paged_attention_kernelIfhLi112ELi32ELi128ELNS_18Fp8KVCacheDataTypeE1ELb1ELi512EEEvPfS2_PT_PKS3_PKT0_S9_ifPKiSB_iPKfiiiSD_SD_iiiii.uses_vcc)
	.set _ZN4vllm25paged_attention_v2_kernelIfhLi112ELi32ELi128ELNS_18Fp8KVCacheDataTypeE1ELb1ELi512EEEvPfS2_PT_PKS3_PKT0_S9_ifPKiSB_iPKfiiiSD_SD_iiiii.uses_flat_scratch, or(0, .L_ZN4vllm22paged_attention_kernelIfhLi112ELi32ELi128ELNS_18Fp8KVCacheDataTypeE1ELb1ELi512EEEvPfS2_PT_PKS3_PKT0_S9_ifPKiSB_iPKfiiiSD_SD_iiiii.uses_flat_scratch)
	.set _ZN4vllm25paged_attention_v2_kernelIfhLi112ELi32ELi128ELNS_18Fp8KVCacheDataTypeE1ELb1ELi512EEEvPfS2_PT_PKS3_PKT0_S9_ifPKiSB_iPKfiiiSD_SD_iiiii.has_dyn_sized_stack, or(0, .L_ZN4vllm22paged_attention_kernelIfhLi112ELi32ELi128ELNS_18Fp8KVCacheDataTypeE1ELb1ELi512EEEvPfS2_PT_PKS3_PKT0_S9_ifPKiSB_iPKfiiiSD_SD_iiiii.has_dyn_sized_stack)
	.set _ZN4vllm25paged_attention_v2_kernelIfhLi112ELi32ELi128ELNS_18Fp8KVCacheDataTypeE1ELb1ELi512EEEvPfS2_PT_PKS3_PKT0_S9_ifPKiSB_iPKfiiiSD_SD_iiiii.has_recursion, or(0, .L_ZN4vllm22paged_attention_kernelIfhLi112ELi32ELi128ELNS_18Fp8KVCacheDataTypeE1ELb1ELi512EEEvPfS2_PT_PKS3_PKT0_S9_ifPKiSB_iPKfiiiSD_SD_iiiii.has_recursion)
	.set _ZN4vllm25paged_attention_v2_kernelIfhLi112ELi32ELi128ELNS_18Fp8KVCacheDataTypeE1ELb1ELi512EEEvPfS2_PT_PKS3_PKT0_S9_ifPKiSB_iPKfiiiSD_SD_iiiii.has_indirect_call, or(0, .L_ZN4vllm22paged_attention_kernelIfhLi112ELi32ELi128ELNS_18Fp8KVCacheDataTypeE1ELb1ELi512EEEvPfS2_PT_PKS3_PKT0_S9_ifPKiSB_iPKfiiiSD_SD_iiiii.has_indirect_call)
	.section	.AMDGPU.csdata,"",@progbits
; Kernel info:
; codeLenInByte = 292
; TotalNumSgprs: 50
; NumVgprs: 128
; ScratchSize: 1312
; MemoryBound: 0
; FloatMode: 240
; IeeeMode: 1
; LDSByteSize: 480 bytes/workgroup (compile time only)
; SGPRBlocks: 0
; VGPRBlocks: 15
; NumSGPRsForWavesPerEU: 50
; NumVGPRsForWavesPerEU: 128
; Occupancy: 8
; WaveLimiterHint : 1
; COMPUTE_PGM_RSRC2:SCRATCH_EN: 1
; COMPUTE_PGM_RSRC2:USER_SGPR: 6
; COMPUTE_PGM_RSRC2:TRAP_HANDLER: 0
; COMPUTE_PGM_RSRC2:TGID_X_EN: 1
; COMPUTE_PGM_RSRC2:TGID_Y_EN: 1
; COMPUTE_PGM_RSRC2:TGID_Z_EN: 1
; COMPUTE_PGM_RSRC2:TIDIG_COMP_CNT: 0
	.text
	.p2align	2                               ; -- Begin function _ZN4vllm22paged_attention_kernelIfhLi120ELi32ELi128ELNS_18Fp8KVCacheDataTypeE1ELb1ELi512EEEvPfS2_PT_PKS3_PKT0_S9_ifPKiSB_iPKfiiiSD_SD_iiiii
	.type	_ZN4vllm22paged_attention_kernelIfhLi120ELi32ELi128ELNS_18Fp8KVCacheDataTypeE1ELb1ELi512EEEvPfS2_PT_PKS3_PKT0_S9_ifPKiSB_iPKfiiiSD_SD_iiiii,@function
_ZN4vllm22paged_attention_kernelIfhLi120ELi32ELi128ELNS_18Fp8KVCacheDataTypeE1ELb1ELi512EEEvPfS2_PT_PKS3_PKT0_S9_ifPKiSB_iPKfiiiSD_SD_iiiii: ; @_ZN4vllm22paged_attention_kernelIfhLi120ELi32ELi128ELNS_18Fp8KVCacheDataTypeE1ELb1ELi512EEEvPfS2_PT_PKS3_PKT0_S9_ifPKiSB_iPKfiiiSD_SD_iiiii
; %bb.0:
	s_waitcnt vmcnt(0) expcnt(0) lgkmcnt(0)
	buffer_store_dword v40, off, s[0:3], s32 offset:196 ; 4-byte Folded Spill
	buffer_store_dword v41, off, s[0:3], s32 offset:192 ; 4-byte Folded Spill
	;; [unrolled: 1-line block ×48, first 2 shown]
	s_mov_b32 s18, s13
	s_ashr_i32 s19, s13, 31
	buffer_store_dword v26, off, s[0:3], s32 offset:836 ; 4-byte Folded Spill
	buffer_store_dword v27, off, s[0:3], s32 offset:840 ; 4-byte Folded Spill
	;; [unrolled: 1-line block ×8, first 2 shown]
	s_lshl_b64 s[4:5], s[18:19], 2
	v_mov_b32_e32 v27, v0
	v_add_co_u32 v0, vcc_lo, v16, s4
	v_mov_b32_e32 v24, v1
	v_add_co_ci_u32_e64 v1, null, s5, v17, vcc_lo
	v_mov_b32_e32 v32, v3
	v_mov_b32_e32 v33, v2
	s_lshl_b32 s7, s14, 9
	flat_load_dword v54, v[0:1]
	s_clause 0x1
	buffer_load_dword v2, off, s[0:3], s32 offset:4
	buffer_load_dword v3, off, s[0:3], s32
	s_mov_b32 s19, exec_lo
	s_waitcnt vmcnt(2) lgkmcnt(0)
	v_cmpx_lt_i32_e64 s7, v54
	s_cbranch_execz .LBB237_2092
; %bb.1:
	v_sub_nc_u32_e32 v0, 0, v12
	s_clause 0x1
	s_load_dword s4, s[8:9], 0x10
	s_load_dword s5, s[8:9], 0x0
	s_mov_b32 s16, s15
	v_max_i32_e32 v0, v12, v0
	v_cvt_f32_u32_e32 v1, v0
	v_sub_nc_u32_e32 v4, 0, v0
	v_rcp_iflag_f32_e32 v1, v1
	s_waitcnt lgkmcnt(0)
	s_lshr_b32 s4, s4, 16
	s_cmp_lg_u32 s4, 0
	s_cselect_b32 s4, -1, 0
	v_mul_f32_e32 v1, 0x4f7ffffe, v1
	s_cmp_lg_u32 s4, 0
	s_addc_u32 s15, s5, 0
	s_mov_b32 s5, exec_lo
	v_cvt_u32_f32_e32 v1, v1
	s_abs_i32 s4, s15
	v_mul_lo_u32 v4, v4, v1
	v_mul_hi_u32 v4, v1, v4
	v_add_nc_u32_e32 v1, v1, v4
	v_mul_hi_u32 v1, s4, v1
	v_mul_lo_u32 v4, v1, v0
	v_add_nc_u32_e32 v5, 1, v1
	v_sub_nc_u32_e32 v4, s4, v4
	s_abs_i32 s4, s12
	v_sub_nc_u32_e32 v13, v4, v0
	v_cmp_ge_u32_e32 vcc_lo, v4, v0
	v_cndmask_b32_e32 v1, v1, v5, vcc_lo
	v_cndmask_b32_e32 v4, v4, v13, vcc_lo
	v_xor_b32_e32 v5, s15, v12
	v_add_nc_u32_e32 v13, 1, v1
	v_cmp_ge_u32_e32 vcc_lo, v4, v0
	v_ashrrev_i32_e32 v5, 31, v5
	v_cndmask_b32_e32 v0, v1, v13, vcc_lo
	v_xor_b32_e32 v0, v0, v5
	v_sub_nc_u32_e32 v5, v0, v5
	v_sub_nc_u32_e32 v0, 0, v5
	v_max_i32_e32 v4, v5, v0
	v_cvt_f32_u32_e32 v0, v4
	v_sub_nc_u32_e32 v1, 0, v4
	v_rcp_iflag_f32_e32 v0, v0
	v_mul_f32_e32 v0, 0x4f7ffffe, v0
	v_cvt_u32_f32_e32 v0, v0
	v_mul_lo_u32 v1, v1, v0
	v_mul_hi_u32 v1, v0, v1
	v_add_nc_u32_e32 v0, v0, v1
	v_mad_u64_u32 v[0:1], null, s4, v0, 0
	v_mov_b32_e32 v0, 0
	buffer_store_dword v0, off, s[0:3], s32 offset:856 ; 4-byte Folded Spill
	v_cmpx_ne_u64_e32 0, v[19:20]
	s_cbranch_execz .LBB237_3
; %bb.2:
	s_ashr_i32 s13, s12, 31
	s_lshl_b64 s[10:11], s[12:13], 2
	v_add_co_u32 v16, vcc_lo, v19, s10
	v_add_co_ci_u32_e64 v17, null, s11, v20, vcc_lo
	flat_load_dword v0, v[16:17]
	s_waitcnt vmcnt(0) lgkmcnt(0)
	buffer_store_dword v0, off, s[0:3], s32 offset:856 ; 4-byte Folded Spill
.LBB237_3:
	s_or_b32 exec_lo, exec_lo, s5
	v_and_b32_e32 v13, 0x3ff, v31
	v_ashrrev_i32_e32 v0, 31, v5
	s_ashr_i32 s5, s12, 31
	s_mul_i32 s10, s12, 0x78
	s_mov_b32 s6, exec_lo
	buffer_store_dword v13, off, s[0:3], s32 offset:832 ; 4-byte Folded Spill
	v_cmpx_gt_u32_e32 30, v13
	s_cbranch_execz .LBB237_5
; %bb.4:
	buffer_load_dword v5, off, s[0:3], s32 offset:832 ; 4-byte Folded Reload
	v_mul_lo_u32 v16, v21, s18
	s_ashr_i32 s11, s10, 31
	s_lshl_b64 s[20:21], s[10:11], 2
	v_ashrrev_i32_e32 v17, 31, v16
	v_lshlrev_b64 v[19:20], 2, v[16:17]
	s_waitcnt vmcnt(0)
	v_lshlrev_b32_e32 v17, 4, v5
	v_add_co_u32 v5, vcc_lo, v6, v19
	v_add_co_ci_u32_e64 v6, null, v7, v20, vcc_lo
	v_add_co_u32 v5, vcc_lo, v5, s20
	v_add_co_ci_u32_e64 v6, null, s21, v6, vcc_lo
	;; [unrolled: 2-line block ×3, first 2 shown]
	flat_load_dwordx4 v[19:22], v[5:6]
	s_waitcnt vmcnt(0) lgkmcnt(0)
	ds_write_b128 v17, v[19:22]
.LBB237_5:
	s_or_b32 exec_lo, exec_lo, s6
	s_waitcnt vmcnt(0)
	v_sub_nc_u32_e32 v5, 0, v3
	v_mul_lo_u32 v6, v1, v4
	v_max_i32_e32 v13, v3, v5
	v_sub_nc_u32_e32 v6, s4, v6
	v_cvt_f32_u32_e32 v5, v13
	buffer_store_dword v13, off, s[0:3], s32 offset:216 ; 4-byte Folded Spill
	s_mov_b32 s4, exec_lo
	v_sub_nc_u32_e32 v17, v6, v4
	v_rcp_iflag_f32_e32 v5, v5
	v_cmp_ge_u32_e32 vcc_lo, v6, v4
	v_cndmask_b32_e32 v6, v6, v17, vcc_lo
	v_mul_f32_e32 v5, 0x4f7ffffe, v5
	v_cvt_u32_f32_e32 v7, v5
	v_sub_nc_u32_e32 v5, 0, v13
	v_add_nc_u32_e32 v13, 1, v1
	v_mul_lo_u32 v16, v5, v7
	v_cndmask_b32_e32 v1, v1, v13, vcc_lo
	v_add_nc_u32_e32 v5, -1, v54
	v_cmp_ge_u32_e32 vcc_lo, v6, v4
	v_add_nc_u32_e32 v13, 1, v1
	v_sub_nc_u32_e32 v17, 0, v5
	v_mul_hi_u32 v19, v7, v16
	v_xor_b32_e32 v16, s5, v0
	v_cndmask_b32_e32 v0, v1, v13, vcc_lo
	v_max_i32_e32 v4, v5, v17
	v_xor_b32_e32 v6, v0, v16
	v_add_nc_u32_e32 v1, v7, v19
	buffer_store_dword v1, off, s[0:3], s32 offset:236 ; 4-byte Folded Spill
	v_mad_u64_u32 v[0:1], null, v4, v1, 0
	v_sub_nc_u32_e32 v0, v6, v16
                                        ; implicit-def: $vgpr6
	s_waitcnt lgkmcnt(0)
	s_waitcnt_vscnt null, 0x0
	s_barrier
	buffer_gl0_inv
	buffer_store_dword v6, off, s[0:3], s32 offset:220 ; 4-byte Folded Spill
	buffer_store_dword v7, off, s[0:3], s32 offset:224 ; 4-byte Folded Spill
	v_cmpx_gt_i32_e32 0, v2
	s_xor_b32 s4, exec_lo, s4
	s_cbranch_execz .LBB237_7
; %bb.6:
	v_mad_u64_u32 v[6:7], null, v28, v12, v[0:1]
                                        ; implicit-def: $vgpr28
	v_mul_lo_u32 v2, v6, v2
	v_sub_nc_u32_e32 v2, 1, v2
	buffer_store_dword v2, off, s[0:3], s32 offset:220 ; 4-byte Folded Spill
	buffer_store_dword v3, off, s[0:3], s32 offset:224 ; 4-byte Folded Spill
                                        ; implicit-def: $vgpr2
.LBB237_7:
	s_or_saveexec_b32 s4, s4
	v_ashrrev_i32_e32 v5, 31, v5
	v_ashrrev_i32_e32 v3, 31, v3
	buffer_store_dword v3, off, s[0:3], s32 offset:228 ; 4-byte Folded Spill
	s_xor_b32 exec_lo, exec_lo, s4
	s_cbranch_execz .LBB237_9
; %bb.8:
	v_mad_u64_u32 v[6:7], null, s15, v28, s[12:13]
	v_mad_u64_u32 v[2:3], null, v6, v2, 1
	buffer_store_dword v2, off, s[0:3], s32 offset:220 ; 4-byte Folded Spill
	buffer_store_dword v3, off, s[0:3], s32 offset:224 ; 4-byte Folded Spill
.LBB237_9:
	s_or_b32 exec_lo, exec_lo, s4
	buffer_load_dword v16, off, s[0:3], s32 offset:216 ; 4-byte Folded Reload
	s_clause 0x1
	s_load_dword s20, s[8:9], 0x14
	s_load_dword s11, s[8:9], 0x8
	s_clause 0x1
	buffer_load_dword v7, off, s[0:3], s32 offset:228
	buffer_load_dword v13, off, s[0:3], s32 offset:832
	v_add_nc_u32_e32 v3, 31, v54
	v_add_nc_u32_e32 v6, 1, v1
	s_lshl_b32 s13, s14, 4
	v_mul_lo_u32 v68, v0, v23
	s_add_i32 s4, s13, 16
	v_sub_nc_u32_e32 v70, 0, v30
	v_ashrrev_i32_e32 v71, 31, v68
	s_waitcnt vmcnt(2)
	v_mul_lo_u32 v2, v1, v16
	s_waitcnt vmcnt(1)
	v_xor_b32_e32 v5, v5, v7
	v_ashrrev_i32_e32 v7, 31, v3
	s_waitcnt vmcnt(0)
	v_lshrrev_b32_e32 v17, 5, v13
	v_sub_nc_u32_e32 v4, v4, v2
	buffer_store_dword v17, off, s[0:3], s32 offset:1356 ; 4-byte Folded Spill
	v_mul_lo_u32 v2, v18, s18
	v_sub_nc_u32_e32 v12, v4, v16
	v_cmp_ge_u32_e32 vcc_lo, v4, v16
	v_cndmask_b32_e32 v1, v1, v6, vcc_lo
	v_cndmask_b32_e32 v4, v4, v12, vcc_lo
	v_lshrrev_b32_e32 v6, 27, v7
	v_and_b32_e32 v12, 31, v13
	v_mov_b32_e32 v13, 0xff7fffff
	v_add_nc_u32_e32 v7, 1, v1
	v_cmp_ge_u32_e32 vcc_lo, v4, v16
	v_add_nc_u32_e32 v3, v3, v6
	v_add_nc_u32_e32 v4, s13, v17
	v_cndmask_b32_e32 v1, v1, v7, vcc_lo
	v_ashrrev_i32_e32 v69, 5, v3
	v_ashrrev_i32_e32 v3, 31, v2
	v_xor_b32_e32 v0, v1, v5
	v_lshl_add_u32 v1, v17, 5, s7
	v_lshlrev_b64 v[34:35], 2, v[2:3]
	v_sub_nc_u32_e32 v0, v0, v5
	v_ashrrev_i32_e32 v5, 31, v4
	buffer_store_dword v1, off, s[0:3], s32 offset:1368 ; 4-byte Folded Spill
	v_min_i32_e32 v1, s4, v69
	buffer_store_dword v4, off, s[0:3], s32 offset:200 ; 4-byte Folded Spill
	buffer_store_dword v5, off, s[0:3], s32 offset:204 ; 4-byte Folded Spill
	;; [unrolled: 1-line block ×3, first 2 shown]
	v_sub_nc_u32_e32 v0, v0, v29
	buffer_store_dword v0, off, s[0:3], s32 offset:240 ; 4-byte Folded Spill
	buffer_store_dword v12, off, s[0:3], s32 offset:828 ; 4-byte Folded Spill
	v_lshlrev_b32_e32 v12, 2, v12
	v_cmp_lt_i32_e64 s4, v4, v1
	s_and_saveexec_b32 s21, s4
	s_cbranch_execz .LBB237_977
; %bb.10:
	buffer_store_dword v69, off, s[0:3], s32 offset:1420 ; 4-byte Folded Spill
	buffer_store_dword v33, off, s[0:3], s32 offset:1404 ; 4-byte Folded Spill
	;; [unrolled: 1-line block ×9, first 2 shown]
	buffer_load_dword v7, off, s[0:3], s32 offset:828 ; 4-byte Folded Reload
	v_max_i32_e32 v10, v30, v70
	v_add_co_u32 v2, vcc_lo, v8, v68
	buffer_store_dword v68, off, s[0:3], s32 offset:1416 ; 4-byte Folded Spill
	buffer_store_dword v71, off, s[0:3], s32 offset:1428 ; 4-byte Folded Spill
	v_cvt_f32_u32_e32 v0, v10
	v_add_co_ci_u32_e64 v3, null, v9, v71, vcc_lo
	v_mov_b32_e32 v49, 0
	s_ashr_i32 s17, s16, 31
	v_rcp_iflag_f32_e32 v4, v0
	s_clause 0x3
	buffer_load_dword v0, off, s[0:3], s32 offset:856
	buffer_load_dword v8, off, s[0:3], s32 offset:200
	;; [unrolled: 1-line block ×4, first 2 shown]
	buffer_store_dword v12, off, s[0:3], s32 offset:1432 ; 4-byte Folded Spill
	buffer_store_dword v10, off, s[0:3], s32 offset:764 ; 4-byte Folded Spill
	s_getpc_b64 s[8:9]
	s_add_u32 s8, s8, llvm.amdgcn.dynlds.offset.table@rel32@lo+4
	s_addc_u32 s9, s9, llvm.amdgcn.dynlds.offset.table@rel32@hi+12
	s_lshl_b64 s[24:25], s[16:17], 2
	v_mov_b32_e32 v13, 0xff7fffff
	s_add_u32 s8, s8, s24
	v_mul_f32_e32 v4, 0x4f7ffffe, v4
	s_addc_u32 s9, s9, s25
	v_mov_b32_e32 v63, 0x7f800001
	s_mov_b32 s22, 0
	v_cvt_u32_f32_e32 v4, v4
	s_waitcnt vmcnt(4)
	v_lshlrev_b32_e32 v5, 4, v7
	v_add_co_u32 v2, s5, v2, v5
	v_add_co_ci_u32_e64 v3, null, 0, v3, s5
	buffer_store_dword v2, off, s[0:3], s32 offset:864 ; 4-byte Folded Spill
	buffer_store_dword v3, off, s[0:3], s32 offset:868 ; 4-byte Folded Spill
	ds_read_b128 v[16:19], v49
	s_waitcnt vmcnt(3)
	v_cmp_neq_f32_e32 vcc_lo, 0, v0
	s_waitcnt vmcnt(1)
	v_lshlrev_b64 v[0:1], 2, v[8:9]
	s_waitcnt vmcnt(0)
	v_lshl_add_u32 v9, v6, 5, s7
	v_lshl_or_b32 v11, v6, 7, v12
	v_sub_nc_u32_e32 v6, v7, v54
	v_sub_nc_u32_e32 v7, 0, v10
	s_waitcnt lgkmcnt(0)
	buffer_store_dword v16, off, s[0:3], s32 offset:872 ; 4-byte Folded Spill
	buffer_store_dword v17, off, s[0:3], s32 offset:876 ; 4-byte Folded Spill
	;; [unrolled: 1-line block ×4, first 2 shown]
	ds_read_b128 v[16:19], v49 offset:16
	v_add_nc_u32_e32 v3, 1, v6
	v_add_co_u32 v0, s5, v34, v0
	v_mul_lo_u32 v2, v7, v4
	s_waitcnt lgkmcnt(0)
	buffer_store_dword v16, off, s[0:3], s32 offset:888 ; 4-byte Folded Spill
	buffer_store_dword v17, off, s[0:3], s32 offset:892 ; 4-byte Folded Spill
	;; [unrolled: 1-line block ×4, first 2 shown]
	ds_read_b128 v[16:19], v49 offset:32
	v_mul_hi_u32 v2, v4, v2
	s_waitcnt lgkmcnt(0)
	buffer_store_dword v16, off, s[0:3], s32 offset:904 ; 4-byte Folded Spill
	buffer_store_dword v17, off, s[0:3], s32 offset:908 ; 4-byte Folded Spill
	buffer_store_dword v18, off, s[0:3], s32 offset:912 ; 4-byte Folded Spill
	buffer_store_dword v19, off, s[0:3], s32 offset:916 ; 4-byte Folded Spill
	ds_read_b128 v[16:19], v49 offset:48
	s_waitcnt lgkmcnt(0)
	buffer_store_dword v16, off, s[0:3], s32 offset:920 ; 4-byte Folded Spill
	buffer_store_dword v17, off, s[0:3], s32 offset:924 ; 4-byte Folded Spill
	buffer_store_dword v18, off, s[0:3], s32 offset:928 ; 4-byte Folded Spill
	buffer_store_dword v19, off, s[0:3], s32 offset:932 ; 4-byte Folded Spill
	ds_read_b128 v[16:19], v49 offset:64
	;; [unrolled: 6-line block ×3, first 2 shown]
	s_waitcnt lgkmcnt(0)
	buffer_store_dword v16, off, s[0:3], s32 offset:952 ; 4-byte Folded Spill
	buffer_store_dword v17, off, s[0:3], s32 offset:956 ; 4-byte Folded Spill
	buffer_store_dword v18, off, s[0:3], s32 offset:960 ; 4-byte Folded Spill
	buffer_store_dword v19, off, s[0:3], s32 offset:964 ; 4-byte Folded Spill
	buffer_store_dword v3, off, s[0:3], s32 offset:968 ; 4-byte Folded Spill
	buffer_store_dword v34, off, s[0:3], s32 offset:1408 ; 4-byte Folded Spill
	buffer_store_dword v35, off, s[0:3], s32 offset:1412 ; 4-byte Folded Spill
	s_load_dword s17, s[8:9], 0x0
	buffer_store_dword v14, off, s[0:3], s32 offset:1384 ; 4-byte Folded Spill
	buffer_store_dword v15, off, s[0:3], s32 offset:1380 ; 4-byte Folded Spill
	v_add_co_ci_u32_e64 v1, null, v35, v1, s5
	v_add_co_u32 v0, s5, v14, v0
	v_bfrev_b32_e32 v35, 1
	v_add_co_ci_u32_e64 v1, null, v15, v1, s5
	buffer_store_dword v0, off, s[0:3], s32 offset:208 ; 4-byte Folded Spill
	buffer_store_dword v1, off, s[0:3], s32 offset:212 ; 4-byte Folded Spill
	v_add_nc_u32_e32 v0, v4, v2
	ds_read_b128 v[3:6], v49 offset:96
	v_mov_b32_e32 v2, v8
	buffer_store_dword v0, off, s[0:3], s32 offset:768 ; 4-byte Folded Spill
	s_waitcnt lgkmcnt(0)
	buffer_store_dword v3, off, s[0:3], s32 offset:972 ; 4-byte Folded Spill
	buffer_store_dword v4, off, s[0:3], s32 offset:976 ; 4-byte Folded Spill
	buffer_store_dword v5, off, s[0:3], s32 offset:980 ; 4-byte Folded Spill
	buffer_store_dword v6, off, s[0:3], s32 offset:984 ; 4-byte Folded Spill
	ds_read_b128 v[3:6], v49 offset:112
	s_waitcnt lgkmcnt(0)
	buffer_store_dword v3, off, s[0:3], s32 offset:988 ; 4-byte Folded Spill
	buffer_store_dword v4, off, s[0:3], s32 offset:992 ; 4-byte Folded Spill
	buffer_store_dword v5, off, s[0:3], s32 offset:996 ; 4-byte Folded Spill
	buffer_store_dword v6, off, s[0:3], s32 offset:1000 ; 4-byte Folded Spill
	ds_read_b128 v[3:6], v49 offset:128
	s_waitcnt lgkmcnt(0)
	buffer_store_dword v3, off, s[0:3], s32 offset:1004 ; 4-byte Folded Spill
	buffer_store_dword v4, off, s[0:3], s32 offset:1008 ; 4-byte Folded Spill
	buffer_store_dword v5, off, s[0:3], s32 offset:1012 ; 4-byte Folded Spill
	buffer_store_dword v6, off, s[0:3], s32 offset:1016 ; 4-byte Folded Spill
	ds_read_b128 v[3:6], v49 offset:144
	s_waitcnt lgkmcnt(0)
	buffer_store_dword v3, off, s[0:3], s32 offset:1020 ; 4-byte Folded Spill
	buffer_store_dword v4, off, s[0:3], s32 offset:1024 ; 4-byte Folded Spill
	buffer_store_dword v5, off, s[0:3], s32 offset:1028 ; 4-byte Folded Spill
	buffer_store_dword v6, off, s[0:3], s32 offset:1032 ; 4-byte Folded Spill
	ds_read_b128 v[3:6], v49 offset:160
	s_waitcnt lgkmcnt(0)
	buffer_store_dword v3, off, s[0:3], s32 offset:1036 ; 4-byte Folded Spill
	buffer_store_dword v4, off, s[0:3], s32 offset:1040 ; 4-byte Folded Spill
	buffer_store_dword v5, off, s[0:3], s32 offset:1044 ; 4-byte Folded Spill
	buffer_store_dword v6, off, s[0:3], s32 offset:1048 ; 4-byte Folded Spill
	ds_read_b128 v[3:6], v49 offset:176
	s_waitcnt lgkmcnt(0)
	buffer_store_dword v3, off, s[0:3], s32 offset:1052 ; 4-byte Folded Spill
	buffer_store_dword v4, off, s[0:3], s32 offset:1056 ; 4-byte Folded Spill
	buffer_store_dword v5, off, s[0:3], s32 offset:1060 ; 4-byte Folded Spill
	buffer_store_dword v6, off, s[0:3], s32 offset:1064 ; 4-byte Folded Spill
	ds_read_b128 v[3:6], v49 offset:192
	s_waitcnt lgkmcnt(0)
	buffer_store_dword v3, off, s[0:3], s32 offset:1068 ; 4-byte Folded Spill
	buffer_store_dword v4, off, s[0:3], s32 offset:1072 ; 4-byte Folded Spill
	buffer_store_dword v5, off, s[0:3], s32 offset:1076 ; 4-byte Folded Spill
	buffer_store_dword v6, off, s[0:3], s32 offset:1080 ; 4-byte Folded Spill
	ds_read_b128 v[3:6], v49 offset:208
	s_waitcnt lgkmcnt(0)
	buffer_store_dword v3, off, s[0:3], s32 offset:1084 ; 4-byte Folded Spill
	buffer_store_dword v4, off, s[0:3], s32 offset:1088 ; 4-byte Folded Spill
	buffer_store_dword v5, off, s[0:3], s32 offset:1092 ; 4-byte Folded Spill
	buffer_store_dword v6, off, s[0:3], s32 offset:1096 ; 4-byte Folded Spill
	ds_read_b128 v[3:6], v49 offset:224
	s_waitcnt lgkmcnt(0)
	buffer_store_dword v3, off, s[0:3], s32 offset:1100 ; 4-byte Folded Spill
	buffer_store_dword v4, off, s[0:3], s32 offset:1104 ; 4-byte Folded Spill
	buffer_store_dword v5, off, s[0:3], s32 offset:1108 ; 4-byte Folded Spill
	buffer_store_dword v6, off, s[0:3], s32 offset:1112 ; 4-byte Folded Spill
	ds_read_b128 v[3:6], v49 offset:240
	s_waitcnt lgkmcnt(0)
	buffer_store_dword v3, off, s[0:3], s32 offset:1116 ; 4-byte Folded Spill
	buffer_store_dword v4, off, s[0:3], s32 offset:1120 ; 4-byte Folded Spill
	buffer_store_dword v5, off, s[0:3], s32 offset:1124 ; 4-byte Folded Spill
	buffer_store_dword v6, off, s[0:3], s32 offset:1128 ; 4-byte Folded Spill
	ds_read_b128 v[3:6], v49 offset:256
	s_waitcnt lgkmcnt(0)
	buffer_store_dword v3, off, s[0:3], s32 offset:1132 ; 4-byte Folded Spill
	buffer_store_dword v4, off, s[0:3], s32 offset:1136 ; 4-byte Folded Spill
	buffer_store_dword v5, off, s[0:3], s32 offset:1140 ; 4-byte Folded Spill
	buffer_store_dword v6, off, s[0:3], s32 offset:1144 ; 4-byte Folded Spill
	ds_read_b128 v[3:6], v49 offset:272
	s_waitcnt lgkmcnt(0)
	buffer_store_dword v3, off, s[0:3], s32 offset:1148 ; 4-byte Folded Spill
	buffer_store_dword v4, off, s[0:3], s32 offset:1152 ; 4-byte Folded Spill
	buffer_store_dword v5, off, s[0:3], s32 offset:1156 ; 4-byte Folded Spill
	buffer_store_dword v6, off, s[0:3], s32 offset:1160 ; 4-byte Folded Spill
	ds_read_b128 v[3:6], v49 offset:288
	s_waitcnt lgkmcnt(0)
	buffer_store_dword v3, off, s[0:3], s32 offset:1164 ; 4-byte Folded Spill
	buffer_store_dword v4, off, s[0:3], s32 offset:1168 ; 4-byte Folded Spill
	buffer_store_dword v5, off, s[0:3], s32 offset:1172 ; 4-byte Folded Spill
	buffer_store_dword v6, off, s[0:3], s32 offset:1176 ; 4-byte Folded Spill
	ds_read_b128 v[3:6], v49 offset:304
	s_waitcnt lgkmcnt(0)
	buffer_store_dword v3, off, s[0:3], s32 offset:1180 ; 4-byte Folded Spill
	buffer_store_dword v4, off, s[0:3], s32 offset:1184 ; 4-byte Folded Spill
	buffer_store_dword v5, off, s[0:3], s32 offset:1188 ; 4-byte Folded Spill
	buffer_store_dword v6, off, s[0:3], s32 offset:1192 ; 4-byte Folded Spill
	ds_read_b128 v[3:6], v49 offset:320
	s_waitcnt lgkmcnt(0)
	buffer_store_dword v3, off, s[0:3], s32 offset:1196 ; 4-byte Folded Spill
	buffer_store_dword v4, off, s[0:3], s32 offset:1200 ; 4-byte Folded Spill
	buffer_store_dword v5, off, s[0:3], s32 offset:1204 ; 4-byte Folded Spill
	buffer_store_dword v6, off, s[0:3], s32 offset:1208 ; 4-byte Folded Spill
	ds_read_b128 v[3:6], v49 offset:336
	s_waitcnt lgkmcnt(0)
	buffer_store_dword v3, off, s[0:3], s32 offset:1212 ; 4-byte Folded Spill
	buffer_store_dword v4, off, s[0:3], s32 offset:1216 ; 4-byte Folded Spill
	buffer_store_dword v5, off, s[0:3], s32 offset:1220 ; 4-byte Folded Spill
	buffer_store_dword v6, off, s[0:3], s32 offset:1224 ; 4-byte Folded Spill
	ds_read_b128 v[3:6], v49 offset:352
	s_waitcnt lgkmcnt(0)
	buffer_store_dword v3, off, s[0:3], s32 offset:1228 ; 4-byte Folded Spill
	buffer_store_dword v4, off, s[0:3], s32 offset:1232 ; 4-byte Folded Spill
	buffer_store_dword v5, off, s[0:3], s32 offset:1236 ; 4-byte Folded Spill
	buffer_store_dword v6, off, s[0:3], s32 offset:1240 ; 4-byte Folded Spill
	ds_read_b128 v[3:6], v49 offset:368
	s_waitcnt lgkmcnt(0)
	buffer_store_dword v3, off, s[0:3], s32 offset:1244 ; 4-byte Folded Spill
	buffer_store_dword v4, off, s[0:3], s32 offset:1248 ; 4-byte Folded Spill
	buffer_store_dword v5, off, s[0:3], s32 offset:1252 ; 4-byte Folded Spill
	buffer_store_dword v6, off, s[0:3], s32 offset:1256 ; 4-byte Folded Spill
	ds_read_b128 v[3:6], v49 offset:384
	s_waitcnt lgkmcnt(0)
	buffer_store_dword v3, off, s[0:3], s32 offset:1260 ; 4-byte Folded Spill
	buffer_store_dword v4, off, s[0:3], s32 offset:1264 ; 4-byte Folded Spill
	buffer_store_dword v5, off, s[0:3], s32 offset:1268 ; 4-byte Folded Spill
	buffer_store_dword v6, off, s[0:3], s32 offset:1272 ; 4-byte Folded Spill
	ds_read_b128 v[3:6], v49 offset:400
	s_waitcnt lgkmcnt(0)
	buffer_store_dword v3, off, s[0:3], s32 offset:1276 ; 4-byte Folded Spill
	buffer_store_dword v4, off, s[0:3], s32 offset:1280 ; 4-byte Folded Spill
	buffer_store_dword v5, off, s[0:3], s32 offset:1284 ; 4-byte Folded Spill
	buffer_store_dword v6, off, s[0:3], s32 offset:1288 ; 4-byte Folded Spill
	ds_read_b128 v[3:6], v49 offset:416
	s_waitcnt lgkmcnt(0)
	buffer_store_dword v3, off, s[0:3], s32 offset:1292 ; 4-byte Folded Spill
	buffer_store_dword v4, off, s[0:3], s32 offset:1296 ; 4-byte Folded Spill
	buffer_store_dword v5, off, s[0:3], s32 offset:1300 ; 4-byte Folded Spill
	buffer_store_dword v6, off, s[0:3], s32 offset:1304 ; 4-byte Folded Spill
	ds_read_b128 v[3:6], v49 offset:432
	s_waitcnt lgkmcnt(0)
	buffer_store_dword v3, off, s[0:3], s32 offset:1308 ; 4-byte Folded Spill
	buffer_store_dword v4, off, s[0:3], s32 offset:1312 ; 4-byte Folded Spill
	buffer_store_dword v5, off, s[0:3], s32 offset:1316 ; 4-byte Folded Spill
	buffer_store_dword v6, off, s[0:3], s32 offset:1320 ; 4-byte Folded Spill
	ds_read_b128 v[3:6], v49 offset:448
	s_waitcnt lgkmcnt(0)
	buffer_store_dword v3, off, s[0:3], s32 offset:1324 ; 4-byte Folded Spill
	buffer_store_dword v4, off, s[0:3], s32 offset:1328 ; 4-byte Folded Spill
	buffer_store_dword v5, off, s[0:3], s32 offset:1332 ; 4-byte Folded Spill
	buffer_store_dword v6, off, s[0:3], s32 offset:1336 ; 4-byte Folded Spill
	ds_read_b128 v[3:6], v49 offset:464
	s_waitcnt lgkmcnt(0)
	buffer_store_dword v3, off, s[0:3], s32 offset:1340 ; 4-byte Folded Spill
	buffer_store_dword v4, off, s[0:3], s32 offset:1344 ; 4-byte Folded Spill
	buffer_store_dword v5, off, s[0:3], s32 offset:1348 ; 4-byte Folded Spill
	buffer_store_dword v6, off, s[0:3], s32 offset:1352 ; 4-byte Folded Spill
	buffer_store_dword v54, off, s[0:3], s32 offset:860 ; 4-byte Folded Spill
	s_branch .LBB237_16
.LBB237_11:                             ;   in Loop: Header=BB237_16 Depth=1
	s_or_b32 exec_lo, exec_lo, s26
	v_mov_b32_e32 v14, 24
	v_lshl_add_u32 v17, v26, 23, 0x3c000000
	v_mov_b32_e32 v26, v49
	v_lshlrev_b32_sdwa v16, v14, v19 dst_sel:DWORD dst_unused:UNUSED_PAD src0_sel:DWORD src1_sel:BYTE_3
	v_lshlrev_b32_e32 v14, 20, v48
	v_and_b32_e32 v16, 0x80000000, v16
	v_or3_b32 v27, v14, v16, v17
.LBB237_12:                             ;   in Loop: Header=BB237_16 Depth=1
	s_or_b32 exec_lo, exec_lo, s25
.LBB237_13:                             ;   in Loop: Header=BB237_16 Depth=1
	s_or_b32 exec_lo, exec_lo, s24
.LBB237_14:                             ;   in Loop: Header=BB237_16 Depth=1
	s_or_b32 exec_lo, exec_lo, s23
	v_or_b32_e32 v0, v0, v10
	v_or_b32_e32 v5, v5, v7
	;; [unrolled: 1-line block ×5, first 2 shown]
	buffer_store_dword v0, off, s[0:3], s32 offset:792 ; 4-byte Folded Spill
	v_or_b32_e32 v0, v3, v21
	buffer_store_dword v5, off, s[0:3], s32 offset:788 ; 4-byte Folded Spill
	buffer_store_dword v4, off, s[0:3], s32 offset:796 ; 4-byte Folded Spill
	;; [unrolled: 1-line block ×3, first 2 shown]
	v_or_b32_e32 v70, v50, v70
	buffer_store_dword v0, off, s[0:3], s32 offset:804 ; 4-byte Folded Spill
	v_or_b32_e32 v0, v2, v20
	v_or_b32_e32 v50, v65, v87
	v_or_b32_e32 v65, v31, v53
	v_or_b32_e32 v71, v30, v52
	v_or_b32_e32 v44, v38, v44
	buffer_store_dword v0, off, s[0:3], s32 offset:812 ; 4-byte Folded Spill
	v_or_b32_e32 v0, v127, v29
	v_or_b32_e32 v38, v59, v41
	v_or_b32_e32 v41, v42, v98
	v_or_b32_e32 v98, v113, v115
	;; [unrolled: 6-line block ×6, first 2 shown]
	v_or_b32_e32 v40, v58, v40
	buffer_store_dword v0, off, s[0:3], s32 offset:824 ; 4-byte Folded Spill
	s_clause 0x3
	buffer_load_dword v52, off, s[0:3], s32 offset:752
	buffer_load_dword v53, off, s[0:3], s32 offset:756
	;; [unrolled: 1-line block ×4, first 2 shown]
	v_or_b32_e32 v62, v91, v73
	v_or_b32_e32 v47, v47, v61
	;; [unrolled: 1-line block ×19, first 2 shown]
	s_waitcnt vmcnt(1)
	v_or_b32_e32 v81, v0, v52
	s_waitcnt vmcnt(0)
	v_or_b32_e32 v68, v1, v53
	s_clause 0x3
	buffer_load_dword v0, off, s[0:3], s32 offset:736
	buffer_load_dword v1, off, s[0:3], s32 offset:740
	buffer_load_dword v2, off, s[0:3], s32 offset:744
	buffer_load_dword v3, off, s[0:3], s32 offset:748
	s_waitcnt vmcnt(1)
	v_or_b32_e32 v69, v0, v2
	s_waitcnt vmcnt(0)
	v_or_b32_e32 v48, v1, v3
	s_clause 0x3
	buffer_load_dword v52, off, s[0:3], s32 offset:720
	buffer_load_dword v53, off, s[0:3], s32 offset:724
	buffer_load_dword v0, off, s[0:3], s32 offset:696
	buffer_load_dword v1, off, s[0:3], s32 offset:700
	;; [unrolled: 9-line block ×29, first 2 shown]
	v_mul_f32_e32 v23, v18, v52
	s_waitcnt vmcnt(1)
	v_or_b32_e32 v25, v0, v2
	s_waitcnt vmcnt(0)
	v_or_b32_e32 v24, v1, v3
	s_clause 0x1
	buffer_load_dword v0, off, s[0:3], s32 offset:248
	buffer_load_dword v1, off, s[0:3], s32 offset:252
	s_waitcnt vmcnt(1)
	v_or_b32_e32 v0, v0, v32
	s_waitcnt vmcnt(0)
	v_or_b32_e32 v54, v1, v33
	s_clause 0x3
	buffer_load_dword v1, off, s[0:3], s32 offset:256
	buffer_load_dword v2, off, s[0:3], s32 offset:260
	;; [unrolled: 1-line block ×4, first 2 shown]
	v_mul_f32_e32 v26, v18, v0
	s_waitcnt vmcnt(1)
	v_or_b32_e32 v33, v1, v3
	s_waitcnt vmcnt(0)
	v_or_b32_e32 v10, v2, v4
	s_clause 0x7
	buffer_load_dword v4, off, s[0:3], s32 offset:888
	buffer_load_dword v5, off, s[0:3], s32 offset:892
	;; [unrolled: 1-line block ×8, first 2 shown]
	s_waitcnt vmcnt(7)
	v_mul_f32_e32 v23, v4, v23
	s_waitcnt vmcnt(3)
	v_fmac_f32_e32 v23, v0, v26
	v_mul_f32_e32 v0, v18, v12
	v_mul_f32_e32 v12, v18, v54
	;; [unrolled: 1-line block ×4, first 2 shown]
	s_waitcnt vmcnt(2)
	v_fmac_f32_e32 v26, v1, v12
	v_mul_f32_e32 v27, v6, v0
	v_mul_f32_e32 v0, v18, v24
	;; [unrolled: 1-line block ×5, first 2 shown]
	s_waitcnt vmcnt(1)
	v_fmac_f32_e32 v27, v2, v12
	v_mul_f32_e32 v0, v18, v13
	s_waitcnt vmcnt(0)
	v_fmac_f32_e32 v36, v3, v1
	s_clause 0x3
	buffer_load_dword v1, off, s[0:3], s32 offset:904
	buffer_load_dword v2, off, s[0:3], s32 offset:908
	;; [unrolled: 1-line block ×4, first 2 shown]
	s_waitcnt vmcnt(3)
	v_fmac_f32_e32 v23, v1, v0
	v_mul_f32_e32 v0, v18, v127
	s_waitcnt vmcnt(2)
	v_fmac_f32_e32 v26, v2, v0
	v_mul_f32_e32 v0, v18, v53
	s_waitcnt vmcnt(1)
	v_fmac_f32_e32 v27, v3, v0
	v_mul_f32_e32 v0, v18, v55
	s_waitcnt vmcnt(0)
	v_fmac_f32_e32 v36, v4, v0
	s_clause 0x3
	buffer_load_dword v1, off, s[0:3], s32 offset:920
	buffer_load_dword v2, off, s[0:3], s32 offset:924
	buffer_load_dword v3, off, s[0:3], s32 offset:928
	buffer_load_dword v4, off, s[0:3], s32 offset:932
	v_mul_f32_e32 v0, v18, v124
	s_waitcnt vmcnt(3)
	v_fmac_f32_e32 v23, v1, v0
	v_mul_f32_e32 v0, v18, v123
	s_waitcnt vmcnt(2)
	v_fmac_f32_e32 v26, v2, v0
	v_mul_f32_e32 v0, v18, v126
	s_waitcnt vmcnt(1)
	v_fmac_f32_e32 v27, v3, v0
	v_mul_f32_e32 v0, v18, v125
	s_waitcnt vmcnt(0)
	v_fmac_f32_e32 v36, v4, v0
	s_clause 0x3
	buffer_load_dword v1, off, s[0:3], s32 offset:936
	buffer_load_dword v2, off, s[0:3], s32 offset:940
	buffer_load_dword v3, off, s[0:3], s32 offset:944
	buffer_load_dword v4, off, s[0:3], s32 offset:948
	v_mul_f32_e32 v0, v18, v120
	;; [unrolled: 17-line block ×24, first 2 shown]
	s_waitcnt vmcnt(3)
	v_fmac_f32_e32 v23, v1, v0
	buffer_load_dword v0, off, s[0:3], s32 offset:820 ; 4-byte Folded Reload
	s_waitcnt vmcnt(0)
	v_mul_f32_e32 v0, v18, v0
	v_fmac_f32_e32 v26, v2, v0
	buffer_load_dword v0, off, s[0:3], s32 offset:824 ; 4-byte Folded Reload
	s_waitcnt vmcnt(0)
	v_mul_f32_e32 v0, v18, v0
	v_fmac_f32_e32 v27, v3, v0
	buffer_load_dword v0, off, s[0:3], s32 offset:816 ; 4-byte Folded Reload
	s_waitcnt vmcnt(0)
	v_mul_f32_e32 v0, v18, v0
	v_fmac_f32_e32 v36, v4, v0
	s_clause 0x4
	buffer_load_dword v0, off, s[0:3], s32 offset:812
	buffer_load_dword v1, off, s[0:3], s32 offset:1308
	;; [unrolled: 1-line block ×5, first 2 shown]
	s_waitcnt vmcnt(4)
	v_mul_f32_e32 v0, v18, v0
	s_waitcnt vmcnt(3)
	v_fmac_f32_e32 v23, v1, v0
	buffer_load_dword v0, off, s[0:3], s32 offset:804 ; 4-byte Folded Reload
	s_waitcnt vmcnt(0)
	v_mul_f32_e32 v0, v18, v0
	v_fmac_f32_e32 v26, v2, v0
	buffer_load_dword v0, off, s[0:3], s32 offset:808 ; 4-byte Folded Reload
	s_waitcnt vmcnt(0)
	v_mul_f32_e32 v0, v18, v0
	;; [unrolled: 4-line block ×3, first 2 shown]
	v_fmac_f32_e32 v36, v4, v0
	s_clause 0x4
	buffer_load_dword v0, off, s[0:3], s32 offset:796
	buffer_load_dword v1, off, s[0:3], s32 offset:1324
	;; [unrolled: 1-line block ×5, first 2 shown]
	s_waitcnt vmcnt(4)
	v_mul_f32_e32 v0, v18, v0
	s_waitcnt vmcnt(3)
	v_fmac_f32_e32 v23, v1, v0
	buffer_load_dword v0, off, s[0:3], s32 offset:788 ; 4-byte Folded Reload
	v_mul_f32_e32 v1, v18, v22
	s_waitcnt vmcnt(0)
	v_mul_f32_e32 v0, v18, v0
	v_fmac_f32_e32 v26, v2, v0
	s_clause 0x4
	buffer_load_dword v0, off, s[0:3], s32 offset:792
	buffer_load_dword v5, off, s[0:3], s32 offset:1340
	;; [unrolled: 1-line block ×5, first 2 shown]
	v_mul_f32_e32 v2, v18, v16
	s_waitcnt vmcnt(4)
	v_mul_f32_e32 v0, v18, v0
	v_fmac_f32_e32 v27, v3, v0
	v_mul_f32_e32 v0, v18, v30
	s_waitcnt vmcnt(1)
	v_fmac_f32_e32 v27, v7, v1
	v_fmac_f32_e32 v23, v5, v0
	v_mul_f32_e32 v0, v18, v17
	v_fmac_f32_e32 v26, v6, v0
	s_clause 0x5
	buffer_load_dword v0, off, s[0:3], s32 offset:784
	buffer_load_dword v9, off, s[0:3], s32 offset:772
	;; [unrolled: 1-line block ×6, first 2 shown]
	s_load_dword s23, s[8:9], 0x0
	s_waitcnt vmcnt(5)
	v_mul_f32_e32 v0, v18, v0
	s_waitcnt vmcnt(3)
	v_add_nc_u32_e32 v1, v1, v9
	v_fmac_f32_e32 v36, v4, v0
	v_cvt_f32_i32_e32 v1, v1
	v_add_f32_e32 v0, v23, v26
	v_fmac_f32_e32 v36, v8, v2
	buffer_load_dword v2, off, s[0:3], s32 offset:856 ; 4-byte Folded Reload
	v_add_f32_e32 v0, v27, v0
	v_add_f32_e32 v0, v36, v0
	s_waitcnt vmcnt(0)
	v_mul_f32_e32 v1, v2, v1
	buffer_load_dword v2, off, s[0:3], s32 offset:852 ; 4-byte Folded Reload
	v_cndmask_b32_e32 v1, 0, v1, vcc_lo
	s_waitcnt vmcnt(0)
	v_fmac_f32_e32 v1, v2, v0
	buffer_load_dword v0, off, s[0:3], s32 offset:828 ; 4-byte Folded Reload
	s_waitcnt vmcnt(0)
	v_add_nc_u32_e32 v0, v0, v9
	v_cmp_lt_i32_e64 s5, v0, v54
	s_waitcnt lgkmcnt(0)
	v_add_nc_u32_e32 v0, s23, v11
	v_cndmask_b32_e64 v2, 0, v1, s5
	ds_write_b32 v0, v2
	v_max_f32_e32 v0, v13, v13
	v_max_f32_e32 v0, v0, v1
	v_cndmask_b32_e64 v13, v13, v0, s5
.LBB237_15:                             ;   in Loop: Header=BB237_16 Depth=1
	s_or_b32 exec_lo, exec_lo, s6
	s_clause 0x2
	buffer_load_dword v2, off, s[0:3], s32 offset:244
	buffer_load_dword v0, off, s[0:3], s32 offset:208
	;; [unrolled: 1-line block ×3, first 2 shown]
	v_add_nc_u32_e32 v9, 0x80, v9
	v_add_nc_u32_e32 v11, 0x200, v11
	s_waitcnt vmcnt(1)
	v_add_co_u32 v0, s5, v0, 16
	s_waitcnt vmcnt(0)
	v_add_co_ci_u32_e64 v1, null, 0, v1, s5
	v_add_nc_u32_e32 v2, 4, v2
	buffer_store_dword v0, off, s[0:3], s32 offset:208 ; 4-byte Folded Spill
	buffer_store_dword v1, off, s[0:3], s32 offset:212 ; 4-byte Folded Spill
	buffer_load_dword v0, off, s[0:3], s32 offset:232 ; 4-byte Folded Reload
	s_waitcnt vmcnt(0)
	v_cmp_ge_i32_e64 s5, v2, v0
	s_or_b32 s22, s5, s22
	s_andn2_b32 exec_lo, exec_lo, s22
	s_cbranch_execz .LBB237_976
.LBB237_16:                             ; =>This Inner Loop Header: Depth=1
	s_clause 0x2
	buffer_load_dword v1, off, s[0:3], s32 offset:236
	buffer_load_dword v4, off, s[0:3], s32 offset:216
	;; [unrolled: 1-line block ×3, first 2 shown]
	v_sub_nc_u32_e32 v0, 0, v9
	buffer_store_dword v2, off, s[0:3], s32 offset:244 ; 4-byte Folded Spill
	v_max_i32_e32 v0, v9, v0
	s_waitcnt vmcnt(2)
	v_mul_hi_u32 v1, v0, v1
	s_waitcnt vmcnt(1)
	v_mul_lo_u32 v2, v1, v4
	v_sub_nc_u32_e32 v0, v0, v2
	v_add_nc_u32_e32 v2, 1, v1
	v_sub_nc_u32_e32 v3, v0, v4
	v_cmp_ge_u32_e64 s5, v0, v4
	v_cndmask_b32_e64 v1, v1, v2, s5
	v_cndmask_b32_e64 v0, v0, v3, s5
	v_ashrrev_i32_e32 v2, 31, v9
	v_add_nc_u32_e32 v3, 1, v1
	v_cmp_ge_u32_e64 s5, v0, v4
	s_waitcnt vmcnt(0)
	v_xor_b32_e32 v2, v2, v5
	v_cndmask_b32_e64 v0, v1, v3, s5
	v_xor_b32_e32 v0, v0, v2
	v_sub_nc_u32_e32 v0, v0, v2
	s_clause 0x3
	buffer_load_dword v1, off, s[0:3], s32 offset:220
	buffer_load_dword v2, off, s[0:3], s32 offset:224
	;; [unrolled: 1-line block ×4, first 2 shown]
	s_waitcnt vmcnt(3)
	v_add_nc_u32_e32 v1, v0, v1
	s_waitcnt vmcnt(2)
	v_sub_nc_u32_e32 v2, 0, v1
	v_max_i32_e32 v2, v1, v2
	v_ashrrev_i32_e32 v1, 31, v1
	s_waitcnt vmcnt(1)
	v_mul_hi_u32 v3, v2, v3
	s_waitcnt vmcnt(0)
	v_mul_lo_u32 v3, v3, v4
	v_sub_nc_u32_e32 v2, v2, v3
	v_sub_nc_u32_e32 v3, v2, v4
	v_cmp_ge_u32_e64 s5, v2, v4
	v_cndmask_b32_e64 v2, v2, v3, s5
	v_sub_nc_u32_e32 v3, v2, v4
	v_cmp_ge_u32_e64 s5, v2, v4
	v_cndmask_b32_e64 v2, v2, v3, s5
	v_xor_b32_e32 v2, v2, v1
	v_sub_nc_u32_e32 v1, v2, v1
	v_cmp_ne_u32_e64 s5, 0, v1
	buffer_load_dword v1, off, s[0:3], s32 offset:240 ; 4-byte Folded Reload
	s_waitcnt vmcnt(0)
	v_cmp_le_i32_e64 s6, v0, v1
	s_and_b32 s5, s5, s6
	s_and_saveexec_b32 s6, s5
	s_xor_b32 s5, exec_lo, s6
; %bb.17:                               ;   in Loop: Header=BB237_16 Depth=1
	v_add_nc_u32_e32 v0, s17, v11
	v_mov_b32_e32 v1, 0xff7fffff
	ds_write_b32 v0, v1
; %bb.18:                               ;   in Loop: Header=BB237_16 Depth=1
	s_andn2_saveexec_b32 s6, s5
	s_cbranch_execz .LBB237_15
; %bb.19:                               ;   in Loop: Header=BB237_16 Depth=1
	buffer_store_dword v13, off, s[0:3], s32 offset:780 ; 4-byte Folded Spill
	buffer_store_dword v11, off, s[0:3], s32 offset:776 ; 4-byte Folded Spill
	buffer_store_dword v9, off, s[0:3], s32 offset:772 ; 4-byte Folded Spill
	s_clause 0x1
	buffer_load_dword v0, off, s[0:3], s32 offset:208
	buffer_load_dword v1, off, s[0:3], s32 offset:212
	s_waitcnt vmcnt(0)
	flat_load_dword v0, v[0:1]
	s_clause 0x2
	buffer_load_dword v1, off, s[0:3], s32 offset:760
	buffer_load_dword v2, off, s[0:3], s32 offset:864
	;; [unrolled: 1-line block ×3, first 2 shown]
	s_waitcnt vmcnt(0) lgkmcnt(0)
	v_mad_i64_i32 v[16:17], null, v0, v1, v[2:3]
	flat_load_dword v0, v[16:17]
	s_clause 0x1
	buffer_load_dword v1, off, s[0:3], s32 offset:844
	buffer_load_dword v2, off, s[0:3], s32 offset:848
	s_waitcnt vmcnt(2) lgkmcnt(0)
	v_cmp_ne_u16_sdwa s5, v0, v49 src0_sel:BYTE_0 src1_sel:DWORD
	s_waitcnt vmcnt(0)
	flat_load_dword v18, v[1:2]
	v_mov_b32_e32 v1, 0
	v_mov_b32_e32 v2, 0
	buffer_store_dword v1, off, s[0:3], s32 offset:248 ; 4-byte Folded Spill
	buffer_store_dword v2, off, s[0:3], s32 offset:252 ; 4-byte Folded Spill
	v_mov_b32_e32 v1, 0
	v_mov_b32_e32 v2, 0
	buffer_store_dword v1, off, s[0:3], s32 offset:304 ; 4-byte Folded Spill
	buffer_store_dword v2, off, s[0:3], s32 offset:308 ; 4-byte Folded Spill
	s_mov_b32 s23, exec_lo
	v_mov_b32_e32 v10, 0xff
	s_and_b32 s5, s23, s5
	s_mov_b32 exec_lo, s5
	s_cbranch_execz .LBB237_27
; %bb.20:                               ;   in Loop: Header=BB237_16 Depth=1
	v_bfrev_b32_e32 v1, 1
	v_mov_b32_e32 v2, 0
	buffer_store_dword v1, off, s[0:3], s32 offset:304 ; 4-byte Folded Spill
	buffer_store_dword v2, off, s[0:3], s32 offset:308 ; 4-byte Folded Spill
	v_mov_b32_e32 v1, 0x80
	v_cmp_ne_u16_sdwa s5, v0, v1 src0_sel:BYTE_0 src1_sel:DWORD
	s_and_saveexec_b32 s24, s5
	s_cbranch_execz .LBB237_26
; %bb.21:                               ;   in Loop: Header=BB237_16 Depth=1
	v_mov_b32_e32 v3, 0x7f800001
	v_and_b32_e32 v2, 0x7f, v0
	v_mov_b32_e32 v4, 0
	s_mov_b32 s25, exec_lo
	buffer_store_dword v3, off, s[0:3], s32 offset:304 ; 4-byte Folded Spill
	buffer_store_dword v4, off, s[0:3], s32 offset:308 ; 4-byte Folded Spill
	v_cmpx_ne_u32_e32 0x7f, v2
	s_cbranch_execz .LBB237_25
; %bb.22:                               ;   in Loop: Header=BB237_16 Depth=1
	v_and_b32_e32 v48, 7, v0
	v_lshrrev_b32_e32 v1, 3, v2
	s_mov_b32 s26, exec_lo
	v_cmpx_gt_u32_e32 8, v2
; %bb.23:                               ;   in Loop: Header=BB237_16 Depth=1
	v_ffbh_u32_e32 v1, v48
	v_min_u32_e32 v1, 32, v1
	v_subrev_nc_u32_e32 v2, 28, v1
	v_sub_nc_u32_e32 v1, 29, v1
	v_lshlrev_b64 v[2:3], v2, v[48:49]
	v_and_b32_e32 v48, 7, v2
; %bb.24:                               ;   in Loop: Header=BB237_16 Depth=1
	s_or_b32 exec_lo, exec_lo, s26
	v_lshlrev_b32_e32 v2, 24, v0
	v_lshlrev_b32_e32 v3, 20, v48
	v_lshl_add_u32 v1, v1, 23, 0x3c000000
	v_and_b32_e32 v2, 0x80000000, v2
	v_or3_b32 v48, v3, v2, v1
	buffer_store_dword v48, off, s[0:3], s32 offset:304 ; 4-byte Folded Spill
	buffer_store_dword v49, off, s[0:3], s32 offset:308 ; 4-byte Folded Spill
.LBB237_25:                             ;   in Loop: Header=BB237_16 Depth=1
	s_or_b32 exec_lo, exec_lo, s25
.LBB237_26:                             ;   in Loop: Header=BB237_16 Depth=1
	s_or_b32 exec_lo, exec_lo, s24
.LBB237_27:                             ;   in Loop: Header=BB237_16 Depth=1
	s_or_b32 exec_lo, exec_lo, s23
	v_cmp_ne_u16_sdwa s5, v0, v49 src0_sel:BYTE_1 src1_sel:DWORD
	s_and_saveexec_b32 s23, s5
	s_cbranch_execz .LBB237_35
; %bb.28:                               ;   in Loop: Header=BB237_16 Depth=1
	v_mov_b32_e32 v1, 0x80
	v_mov_b32_e32 v34, v49
	buffer_store_dword v34, off, s[0:3], s32 offset:248 ; 4-byte Folded Spill
	buffer_store_dword v35, off, s[0:3], s32 offset:252 ; 4-byte Folded Spill
	v_cmp_ne_u16_sdwa s5, v0, v1 src0_sel:BYTE_1 src1_sel:DWORD
	s_and_saveexec_b32 s24, s5
	s_cbranch_execz .LBB237_34
; %bb.29:                               ;   in Loop: Header=BB237_16 Depth=1
	v_mov_b32_e32 v1, 0xffff
	v_mov_b32_e32 v62, v49
	s_mov_b32 s25, exec_lo
	buffer_store_dword v62, off, s[0:3], s32 offset:248 ; 4-byte Folded Spill
	buffer_store_dword v63, off, s[0:3], s32 offset:252 ; 4-byte Folded Spill
	v_and_b32_sdwa v1, v1, v0 dst_sel:DWORD dst_unused:UNUSED_PAD src0_sel:DWORD src1_sel:BYTE_1
	v_and_b32_e32 v2, 0x7f, v1
	v_cmpx_ne_u32_e32 0x7f, v2
	s_cbranch_execz .LBB237_33
; %bb.30:                               ;   in Loop: Header=BB237_16 Depth=1
	v_and_b32_e32 v48, 7, v1
	v_lshrrev_b32_e32 v1, 3, v2
	s_mov_b32 s26, exec_lo
	v_cmpx_gt_u32_e32 8, v2
; %bb.31:                               ;   in Loop: Header=BB237_16 Depth=1
	v_ffbh_u32_e32 v1, v48
	v_min_u32_e32 v1, 32, v1
	v_subrev_nc_u32_e32 v2, 28, v1
	v_sub_nc_u32_e32 v1, 29, v1
	v_lshlrev_b64 v[2:3], v2, v[48:49]
	v_and_b32_e32 v48, 7, v2
; %bb.32:                               ;   in Loop: Header=BB237_16 Depth=1
	s_or_b32 exec_lo, exec_lo, s26
	v_lshlrev_b32_e32 v2, 16, v0
	v_lshlrev_b32_e32 v3, 20, v48
	v_lshl_add_u32 v1, v1, 23, 0x3c000000
	v_and_b32_e32 v2, 0x80000000, v2
	v_or3_b32 v2, v3, v2, v1
	v_mov_b32_e32 v1, v49
	buffer_store_dword v1, off, s[0:3], s32 offset:248 ; 4-byte Folded Spill
	buffer_store_dword v2, off, s[0:3], s32 offset:252 ; 4-byte Folded Spill
.LBB237_33:                             ;   in Loop: Header=BB237_16 Depth=1
	s_or_b32 exec_lo, exec_lo, s25
.LBB237_34:                             ;   in Loop: Header=BB237_16 Depth=1
	s_or_b32 exec_lo, exec_lo, s24
.LBB237_35:                             ;   in Loop: Header=BB237_16 Depth=1
	s_or_b32 exec_lo, exec_lo, s23
	v_mov_b32_e32 v2, 0
	v_mov_b32_e32 v3, 0
	v_and_b32_sdwa v1, v0, v10 dst_sel:DWORD dst_unused:UNUSED_PAD src0_sel:WORD_1 src1_sel:DWORD
	s_mov_b32 s23, exec_lo
	buffer_store_dword v2, off, s[0:3], s32 offset:256 ; 4-byte Folded Spill
	buffer_store_dword v3, off, s[0:3], s32 offset:260 ; 4-byte Folded Spill
	v_mov_b32_e32 v2, 0
	v_mov_b32_e32 v3, 0
	buffer_store_dword v2, off, s[0:3], s32 offset:264 ; 4-byte Folded Spill
	buffer_store_dword v3, off, s[0:3], s32 offset:268 ; 4-byte Folded Spill
	v_cmpx_ne_u16_e32 0, v1
	s_cbranch_execz .LBB237_43
; %bb.36:                               ;   in Loop: Header=BB237_16 Depth=1
	v_cmp_ne_u16_e64 s5, 0x80, v1
	v_bfrev_b32_e32 v1, 1
	v_mov_b32_e32 v2, 0
	buffer_store_dword v1, off, s[0:3], s32 offset:264 ; 4-byte Folded Spill
	buffer_store_dword v2, off, s[0:3], s32 offset:268 ; 4-byte Folded Spill
	s_and_saveexec_b32 s24, s5
	s_cbranch_execz .LBB237_42
; %bb.37:                               ;   in Loop: Header=BB237_16 Depth=1
	v_mov_b32_e32 v3, 0x7f800001
	v_bfe_u32 v2, v0, 16, 7
	v_mov_b32_e32 v4, 0
	s_mov_b32 s25, exec_lo
	buffer_store_dword v3, off, s[0:3], s32 offset:264 ; 4-byte Folded Spill
	buffer_store_dword v4, off, s[0:3], s32 offset:268 ; 4-byte Folded Spill
	v_cmpx_ne_u32_e32 0x7f, v2
	s_cbranch_execz .LBB237_41
; %bb.38:                               ;   in Loop: Header=BB237_16 Depth=1
	v_mov_b32_e32 v1, 7
	s_mov_b32 s26, exec_lo
	v_and_b32_sdwa v48, v0, v1 dst_sel:DWORD dst_unused:UNUSED_PAD src0_sel:WORD_1 src1_sel:DWORD
	v_lshrrev_b32_e32 v1, 3, v2
	v_cmpx_gt_u32_e32 8, v2
; %bb.39:                               ;   in Loop: Header=BB237_16 Depth=1
	v_ffbh_u32_e32 v1, v48
	v_min_u32_e32 v1, 32, v1
	v_subrev_nc_u32_e32 v2, 28, v1
	v_sub_nc_u32_e32 v1, 29, v1
	v_lshlrev_b64 v[2:3], v2, v[48:49]
	v_and_b32_e32 v48, 7, v2
; %bb.40:                               ;   in Loop: Header=BB237_16 Depth=1
	s_or_b32 exec_lo, exec_lo, s26
	v_mov_b32_e32 v2, 24
	v_lshlrev_b32_e32 v3, 20, v48
	v_lshl_add_u32 v1, v1, 23, 0x3c000000
	v_lshlrev_b32_sdwa v2, v2, v0 dst_sel:DWORD dst_unused:UNUSED_PAD src0_sel:DWORD src1_sel:WORD_1
	v_and_b32_e32 v2, 0x80000000, v2
	v_or3_b32 v48, v3, v2, v1
	buffer_store_dword v48, off, s[0:3], s32 offset:264 ; 4-byte Folded Spill
	buffer_store_dword v49, off, s[0:3], s32 offset:268 ; 4-byte Folded Spill
.LBB237_41:                             ;   in Loop: Header=BB237_16 Depth=1
	s_or_b32 exec_lo, exec_lo, s25
.LBB237_42:                             ;   in Loop: Header=BB237_16 Depth=1
	s_or_b32 exec_lo, exec_lo, s24
.LBB237_43:                             ;   in Loop: Header=BB237_16 Depth=1
	s_or_b32 exec_lo, exec_lo, s23
	s_mov_b32 s23, exec_lo
	v_cmpx_lt_u32_e32 0xffffff, v0
	s_cbranch_execz .LBB237_51
; %bb.44:                               ;   in Loop: Header=BB237_16 Depth=1
	v_mov_b32_e32 v1, 0x80
	v_mov_b32_e32 v34, v49
	buffer_store_dword v34, off, s[0:3], s32 offset:256 ; 4-byte Folded Spill
	buffer_store_dword v35, off, s[0:3], s32 offset:260 ; 4-byte Folded Spill
	v_cmp_ne_u32_sdwa s5, v0, v1 src0_sel:BYTE_3 src1_sel:DWORD
	s_and_saveexec_b32 s24, s5
	s_cbranch_execz .LBB237_50
; %bb.45:                               ;   in Loop: Header=BB237_16 Depth=1
	v_bfe_u32 v2, v0, 24, 7
	v_mov_b32_e32 v62, v49
	s_mov_b32 s25, exec_lo
	buffer_store_dword v62, off, s[0:3], s32 offset:256 ; 4-byte Folded Spill
	buffer_store_dword v63, off, s[0:3], s32 offset:260 ; 4-byte Folded Spill
	v_cmpx_ne_u32_e32 0x7f, v2
	s_cbranch_execz .LBB237_49
; %bb.46:                               ;   in Loop: Header=BB237_16 Depth=1
	v_mov_b32_e32 v1, 7
	s_mov_b32 s26, exec_lo
	v_and_b32_sdwa v48, v0, v1 dst_sel:DWORD dst_unused:UNUSED_PAD src0_sel:BYTE_3 src1_sel:DWORD
	v_lshrrev_b32_e32 v1, 3, v2
	v_cmpx_gt_u32_e32 8, v2
; %bb.47:                               ;   in Loop: Header=BB237_16 Depth=1
	v_ffbh_u32_e32 v1, v48
	v_min_u32_e32 v1, 32, v1
	v_subrev_nc_u32_e32 v2, 28, v1
	v_sub_nc_u32_e32 v1, 29, v1
	v_lshlrev_b64 v[2:3], v2, v[48:49]
	v_and_b32_e32 v48, 7, v2
; %bb.48:                               ;   in Loop: Header=BB237_16 Depth=1
	s_or_b32 exec_lo, exec_lo, s26
	v_mov_b32_e32 v2, 24
	v_lshl_add_u32 v1, v1, 23, 0x3c000000
	v_lshlrev_b32_sdwa v0, v2, v0 dst_sel:DWORD dst_unused:UNUSED_PAD src0_sel:DWORD src1_sel:BYTE_3
	v_lshlrev_b32_e32 v2, 20, v48
	v_and_b32_e32 v0, 0x80000000, v0
	v_or3_b32 v1, v2, v0, v1
	v_mov_b32_e32 v0, v49
	buffer_store_dword v0, off, s[0:3], s32 offset:256 ; 4-byte Folded Spill
	buffer_store_dword v1, off, s[0:3], s32 offset:260 ; 4-byte Folded Spill
.LBB237_49:                             ;   in Loop: Header=BB237_16 Depth=1
	s_or_b32 exec_lo, exec_lo, s25
.LBB237_50:                             ;   in Loop: Header=BB237_16 Depth=1
	s_or_b32 exec_lo, exec_lo, s24
.LBB237_51:                             ;   in Loop: Header=BB237_16 Depth=1
	s_or_b32 exec_lo, exec_lo, s23
	flat_load_dword v0, v[16:17] offset:4
	v_mov_b32_e32 v1, 0
	v_mov_b32_e32 v2, 0
	buffer_store_dword v1, off, s[0:3], s32 offset:280 ; 4-byte Folded Spill
	buffer_store_dword v2, off, s[0:3], s32 offset:284 ; 4-byte Folded Spill
	v_mov_b32_e32 v1, 0
	v_mov_b32_e32 v2, 0
	buffer_store_dword v1, off, s[0:3], s32 offset:272 ; 4-byte Folded Spill
	buffer_store_dword v2, off, s[0:3], s32 offset:276 ; 4-byte Folded Spill
	s_waitcnt vmcnt(0) lgkmcnt(0)
	v_cmp_ne_u16_sdwa s5, v0, v49 src0_sel:BYTE_0 src1_sel:DWORD
	s_and_saveexec_b32 s23, s5
	s_cbranch_execz .LBB237_59
; %bb.52:                               ;   in Loop: Header=BB237_16 Depth=1
	v_bfrev_b32_e32 v1, 1
	v_mov_b32_e32 v2, 0
	buffer_store_dword v1, off, s[0:3], s32 offset:272 ; 4-byte Folded Spill
	buffer_store_dword v2, off, s[0:3], s32 offset:276 ; 4-byte Folded Spill
	v_mov_b32_e32 v1, 0x80
	v_cmp_ne_u16_sdwa s5, v0, v1 src0_sel:BYTE_0 src1_sel:DWORD
	s_and_saveexec_b32 s24, s5
	s_cbranch_execz .LBB237_58
; %bb.53:                               ;   in Loop: Header=BB237_16 Depth=1
	v_mov_b32_e32 v3, 0x7f800001
	v_and_b32_e32 v2, 0x7f, v0
	v_mov_b32_e32 v4, 0
	s_mov_b32 s25, exec_lo
	buffer_store_dword v3, off, s[0:3], s32 offset:272 ; 4-byte Folded Spill
	buffer_store_dword v4, off, s[0:3], s32 offset:276 ; 4-byte Folded Spill
	v_cmpx_ne_u32_e32 0x7f, v2
	s_cbranch_execz .LBB237_57
; %bb.54:                               ;   in Loop: Header=BB237_16 Depth=1
	v_and_b32_e32 v48, 7, v0
	v_lshrrev_b32_e32 v1, 3, v2
	s_mov_b32 s26, exec_lo
	v_cmpx_gt_u32_e32 8, v2
; %bb.55:                               ;   in Loop: Header=BB237_16 Depth=1
	v_ffbh_u32_e32 v1, v48
	v_min_u32_e32 v1, 32, v1
	v_subrev_nc_u32_e32 v2, 28, v1
	v_sub_nc_u32_e32 v1, 29, v1
	v_lshlrev_b64 v[2:3], v2, v[48:49]
	v_and_b32_e32 v48, 7, v2
; %bb.56:                               ;   in Loop: Header=BB237_16 Depth=1
	s_or_b32 exec_lo, exec_lo, s26
	v_lshlrev_b32_e32 v2, 24, v0
	v_lshlrev_b32_e32 v3, 20, v48
	v_lshl_add_u32 v1, v1, 23, 0x3c000000
	v_and_b32_e32 v2, 0x80000000, v2
	v_or3_b32 v48, v3, v2, v1
	buffer_store_dword v48, off, s[0:3], s32 offset:272 ; 4-byte Folded Spill
	buffer_store_dword v49, off, s[0:3], s32 offset:276 ; 4-byte Folded Spill
.LBB237_57:                             ;   in Loop: Header=BB237_16 Depth=1
	s_or_b32 exec_lo, exec_lo, s25
.LBB237_58:                             ;   in Loop: Header=BB237_16 Depth=1
	s_or_b32 exec_lo, exec_lo, s24
.LBB237_59:                             ;   in Loop: Header=BB237_16 Depth=1
	s_or_b32 exec_lo, exec_lo, s23
	v_cmp_ne_u16_sdwa s5, v0, v49 src0_sel:BYTE_1 src1_sel:DWORD
	s_and_saveexec_b32 s23, s5
	s_cbranch_execz .LBB237_67
; %bb.60:                               ;   in Loop: Header=BB237_16 Depth=1
	v_mov_b32_e32 v1, 0x80
	v_mov_b32_e32 v34, v49
	buffer_store_dword v34, off, s[0:3], s32 offset:280 ; 4-byte Folded Spill
	buffer_store_dword v35, off, s[0:3], s32 offset:284 ; 4-byte Folded Spill
	v_cmp_ne_u16_sdwa s5, v0, v1 src0_sel:BYTE_1 src1_sel:DWORD
	s_and_saveexec_b32 s24, s5
	s_cbranch_execz .LBB237_66
; %bb.61:                               ;   in Loop: Header=BB237_16 Depth=1
	v_mov_b32_e32 v1, 0xffff
	v_mov_b32_e32 v62, v49
	s_mov_b32 s25, exec_lo
	buffer_store_dword v62, off, s[0:3], s32 offset:280 ; 4-byte Folded Spill
	buffer_store_dword v63, off, s[0:3], s32 offset:284 ; 4-byte Folded Spill
	v_and_b32_sdwa v1, v1, v0 dst_sel:DWORD dst_unused:UNUSED_PAD src0_sel:DWORD src1_sel:BYTE_1
	v_and_b32_e32 v2, 0x7f, v1
	v_cmpx_ne_u32_e32 0x7f, v2
	s_cbranch_execz .LBB237_65
; %bb.62:                               ;   in Loop: Header=BB237_16 Depth=1
	v_and_b32_e32 v48, 7, v1
	v_lshrrev_b32_e32 v1, 3, v2
	s_mov_b32 s26, exec_lo
	v_cmpx_gt_u32_e32 8, v2
; %bb.63:                               ;   in Loop: Header=BB237_16 Depth=1
	v_ffbh_u32_e32 v1, v48
	v_min_u32_e32 v1, 32, v1
	v_subrev_nc_u32_e32 v2, 28, v1
	v_sub_nc_u32_e32 v1, 29, v1
	v_lshlrev_b64 v[2:3], v2, v[48:49]
	v_and_b32_e32 v48, 7, v2
; %bb.64:                               ;   in Loop: Header=BB237_16 Depth=1
	s_or_b32 exec_lo, exec_lo, s26
	v_lshlrev_b32_e32 v2, 16, v0
	v_lshlrev_b32_e32 v3, 20, v48
	v_lshl_add_u32 v1, v1, 23, 0x3c000000
	v_and_b32_e32 v2, 0x80000000, v2
	v_or3_b32 v2, v3, v2, v1
	v_mov_b32_e32 v1, v49
	buffer_store_dword v1, off, s[0:3], s32 offset:280 ; 4-byte Folded Spill
	buffer_store_dword v2, off, s[0:3], s32 offset:284 ; 4-byte Folded Spill
.LBB237_65:                             ;   in Loop: Header=BB237_16 Depth=1
	s_or_b32 exec_lo, exec_lo, s25
.LBB237_66:                             ;   in Loop: Header=BB237_16 Depth=1
	s_or_b32 exec_lo, exec_lo, s24
.LBB237_67:                             ;   in Loop: Header=BB237_16 Depth=1
	s_or_b32 exec_lo, exec_lo, s23
	v_mov_b32_e32 v2, 0
	v_mov_b32_e32 v3, 0
	v_and_b32_sdwa v1, v0, v10 dst_sel:DWORD dst_unused:UNUSED_PAD src0_sel:WORD_1 src1_sel:DWORD
	s_mov_b32 s23, exec_lo
	buffer_store_dword v2, off, s[0:3], s32 offset:288 ; 4-byte Folded Spill
	buffer_store_dword v3, off, s[0:3], s32 offset:292 ; 4-byte Folded Spill
	v_mov_b32_e32 v2, 0
	v_mov_b32_e32 v3, 0
	buffer_store_dword v2, off, s[0:3], s32 offset:296 ; 4-byte Folded Spill
	buffer_store_dword v3, off, s[0:3], s32 offset:300 ; 4-byte Folded Spill
	v_cmpx_ne_u16_e32 0, v1
	s_cbranch_execz .LBB237_75
; %bb.68:                               ;   in Loop: Header=BB237_16 Depth=1
	v_cmp_ne_u16_e64 s5, 0x80, v1
	v_bfrev_b32_e32 v1, 1
	v_mov_b32_e32 v2, 0
	buffer_store_dword v1, off, s[0:3], s32 offset:296 ; 4-byte Folded Spill
	buffer_store_dword v2, off, s[0:3], s32 offset:300 ; 4-byte Folded Spill
	s_and_saveexec_b32 s24, s5
	s_cbranch_execz .LBB237_74
; %bb.69:                               ;   in Loop: Header=BB237_16 Depth=1
	v_mov_b32_e32 v3, 0x7f800001
	v_bfe_u32 v2, v0, 16, 7
	v_mov_b32_e32 v4, 0
	s_mov_b32 s25, exec_lo
	buffer_store_dword v3, off, s[0:3], s32 offset:296 ; 4-byte Folded Spill
	buffer_store_dword v4, off, s[0:3], s32 offset:300 ; 4-byte Folded Spill
	v_cmpx_ne_u32_e32 0x7f, v2
	s_cbranch_execz .LBB237_73
; %bb.70:                               ;   in Loop: Header=BB237_16 Depth=1
	v_mov_b32_e32 v1, 7
	s_mov_b32 s26, exec_lo
	v_and_b32_sdwa v48, v0, v1 dst_sel:DWORD dst_unused:UNUSED_PAD src0_sel:WORD_1 src1_sel:DWORD
	v_lshrrev_b32_e32 v1, 3, v2
	v_cmpx_gt_u32_e32 8, v2
; %bb.71:                               ;   in Loop: Header=BB237_16 Depth=1
	v_ffbh_u32_e32 v1, v48
	v_min_u32_e32 v1, 32, v1
	v_subrev_nc_u32_e32 v2, 28, v1
	v_sub_nc_u32_e32 v1, 29, v1
	v_lshlrev_b64 v[2:3], v2, v[48:49]
	v_and_b32_e32 v48, 7, v2
; %bb.72:                               ;   in Loop: Header=BB237_16 Depth=1
	s_or_b32 exec_lo, exec_lo, s26
	v_mov_b32_e32 v2, 24
	v_lshlrev_b32_e32 v3, 20, v48
	v_lshl_add_u32 v1, v1, 23, 0x3c000000
	v_lshlrev_b32_sdwa v2, v2, v0 dst_sel:DWORD dst_unused:UNUSED_PAD src0_sel:DWORD src1_sel:WORD_1
	v_and_b32_e32 v2, 0x80000000, v2
	v_or3_b32 v48, v3, v2, v1
	buffer_store_dword v48, off, s[0:3], s32 offset:296 ; 4-byte Folded Spill
	buffer_store_dword v49, off, s[0:3], s32 offset:300 ; 4-byte Folded Spill
.LBB237_73:                             ;   in Loop: Header=BB237_16 Depth=1
	s_or_b32 exec_lo, exec_lo, s25
.LBB237_74:                             ;   in Loop: Header=BB237_16 Depth=1
	s_or_b32 exec_lo, exec_lo, s24
.LBB237_75:                             ;   in Loop: Header=BB237_16 Depth=1
	s_or_b32 exec_lo, exec_lo, s23
	s_mov_b32 s23, exec_lo
	v_cmpx_lt_u32_e32 0xffffff, v0
	s_cbranch_execz .LBB237_83
; %bb.76:                               ;   in Loop: Header=BB237_16 Depth=1
	v_mov_b32_e32 v1, 0x80
	v_mov_b32_e32 v34, v49
	buffer_store_dword v34, off, s[0:3], s32 offset:288 ; 4-byte Folded Spill
	buffer_store_dword v35, off, s[0:3], s32 offset:292 ; 4-byte Folded Spill
	v_cmp_ne_u32_sdwa s5, v0, v1 src0_sel:BYTE_3 src1_sel:DWORD
	s_and_saveexec_b32 s24, s5
	s_cbranch_execz .LBB237_82
; %bb.77:                               ;   in Loop: Header=BB237_16 Depth=1
	v_bfe_u32 v2, v0, 24, 7
	v_mov_b32_e32 v62, v49
	s_mov_b32 s25, exec_lo
	buffer_store_dword v62, off, s[0:3], s32 offset:288 ; 4-byte Folded Spill
	buffer_store_dword v63, off, s[0:3], s32 offset:292 ; 4-byte Folded Spill
	v_cmpx_ne_u32_e32 0x7f, v2
	s_cbranch_execz .LBB237_81
; %bb.78:                               ;   in Loop: Header=BB237_16 Depth=1
	v_mov_b32_e32 v1, 7
	s_mov_b32 s26, exec_lo
	v_and_b32_sdwa v48, v0, v1 dst_sel:DWORD dst_unused:UNUSED_PAD src0_sel:BYTE_3 src1_sel:DWORD
	v_lshrrev_b32_e32 v1, 3, v2
	v_cmpx_gt_u32_e32 8, v2
; %bb.79:                               ;   in Loop: Header=BB237_16 Depth=1
	v_ffbh_u32_e32 v1, v48
	v_min_u32_e32 v1, 32, v1
	v_subrev_nc_u32_e32 v2, 28, v1
	v_sub_nc_u32_e32 v1, 29, v1
	v_lshlrev_b64 v[2:3], v2, v[48:49]
	v_and_b32_e32 v48, 7, v2
; %bb.80:                               ;   in Loop: Header=BB237_16 Depth=1
	s_or_b32 exec_lo, exec_lo, s26
	v_mov_b32_e32 v2, 24
	v_lshl_add_u32 v1, v1, 23, 0x3c000000
	v_lshlrev_b32_sdwa v0, v2, v0 dst_sel:DWORD dst_unused:UNUSED_PAD src0_sel:DWORD src1_sel:BYTE_3
	v_lshlrev_b32_e32 v2, 20, v48
	v_and_b32_e32 v0, 0x80000000, v0
	v_or3_b32 v1, v2, v0, v1
	v_mov_b32_e32 v0, v49
	buffer_store_dword v0, off, s[0:3], s32 offset:288 ; 4-byte Folded Spill
	buffer_store_dword v1, off, s[0:3], s32 offset:292 ; 4-byte Folded Spill
.LBB237_81:                             ;   in Loop: Header=BB237_16 Depth=1
	s_or_b32 exec_lo, exec_lo, s25
.LBB237_82:                             ;   in Loop: Header=BB237_16 Depth=1
	s_or_b32 exec_lo, exec_lo, s24
.LBB237_83:                             ;   in Loop: Header=BB237_16 Depth=1
	s_or_b32 exec_lo, exec_lo, s23
	flat_load_dword v0, v[16:17] offset:8
	v_mov_b32_e32 v1, 0
	v_mov_b32_e32 v2, 0
	buffer_store_dword v1, off, s[0:3], s32 offset:312 ; 4-byte Folded Spill
	buffer_store_dword v2, off, s[0:3], s32 offset:316 ; 4-byte Folded Spill
	v_mov_b32_e32 v1, 0
	v_mov_b32_e32 v2, 0
	buffer_store_dword v1, off, s[0:3], s32 offset:336 ; 4-byte Folded Spill
	buffer_store_dword v2, off, s[0:3], s32 offset:340 ; 4-byte Folded Spill
	s_waitcnt vmcnt(0) lgkmcnt(0)
	v_cmp_ne_u16_sdwa s5, v0, v49 src0_sel:BYTE_0 src1_sel:DWORD
	s_and_saveexec_b32 s23, s5
	s_cbranch_execz .LBB237_91
; %bb.84:                               ;   in Loop: Header=BB237_16 Depth=1
	v_bfrev_b32_e32 v1, 1
	v_mov_b32_e32 v2, 0
	buffer_store_dword v1, off, s[0:3], s32 offset:336 ; 4-byte Folded Spill
	buffer_store_dword v2, off, s[0:3], s32 offset:340 ; 4-byte Folded Spill
	v_mov_b32_e32 v1, 0x80
	v_cmp_ne_u16_sdwa s5, v0, v1 src0_sel:BYTE_0 src1_sel:DWORD
	s_and_saveexec_b32 s24, s5
	s_cbranch_execz .LBB237_90
; %bb.85:                               ;   in Loop: Header=BB237_16 Depth=1
	v_mov_b32_e32 v3, 0x7f800001
	v_and_b32_e32 v2, 0x7f, v0
	v_mov_b32_e32 v4, 0
	s_mov_b32 s25, exec_lo
	buffer_store_dword v3, off, s[0:3], s32 offset:336 ; 4-byte Folded Spill
	buffer_store_dword v4, off, s[0:3], s32 offset:340 ; 4-byte Folded Spill
	v_cmpx_ne_u32_e32 0x7f, v2
	s_cbranch_execz .LBB237_89
; %bb.86:                               ;   in Loop: Header=BB237_16 Depth=1
	v_and_b32_e32 v48, 7, v0
	v_lshrrev_b32_e32 v1, 3, v2
	s_mov_b32 s26, exec_lo
	v_cmpx_gt_u32_e32 8, v2
; %bb.87:                               ;   in Loop: Header=BB237_16 Depth=1
	v_ffbh_u32_e32 v1, v48
	v_min_u32_e32 v1, 32, v1
	v_subrev_nc_u32_e32 v2, 28, v1
	v_sub_nc_u32_e32 v1, 29, v1
	v_lshlrev_b64 v[2:3], v2, v[48:49]
	v_and_b32_e32 v48, 7, v2
; %bb.88:                               ;   in Loop: Header=BB237_16 Depth=1
	s_or_b32 exec_lo, exec_lo, s26
	v_lshlrev_b32_e32 v2, 24, v0
	v_lshlrev_b32_e32 v3, 20, v48
	v_lshl_add_u32 v1, v1, 23, 0x3c000000
	v_and_b32_e32 v2, 0x80000000, v2
	v_or3_b32 v48, v3, v2, v1
	buffer_store_dword v48, off, s[0:3], s32 offset:336 ; 4-byte Folded Spill
	buffer_store_dword v49, off, s[0:3], s32 offset:340 ; 4-byte Folded Spill
.LBB237_89:                             ;   in Loop: Header=BB237_16 Depth=1
	s_or_b32 exec_lo, exec_lo, s25
.LBB237_90:                             ;   in Loop: Header=BB237_16 Depth=1
	s_or_b32 exec_lo, exec_lo, s24
.LBB237_91:                             ;   in Loop: Header=BB237_16 Depth=1
	s_or_b32 exec_lo, exec_lo, s23
	v_cmp_ne_u16_sdwa s5, v0, v49 src0_sel:BYTE_1 src1_sel:DWORD
	s_and_saveexec_b32 s23, s5
	s_cbranch_execz .LBB237_99
; %bb.92:                               ;   in Loop: Header=BB237_16 Depth=1
	v_mov_b32_e32 v1, 0x80
	v_mov_b32_e32 v34, v49
	buffer_store_dword v34, off, s[0:3], s32 offset:312 ; 4-byte Folded Spill
	buffer_store_dword v35, off, s[0:3], s32 offset:316 ; 4-byte Folded Spill
	v_cmp_ne_u16_sdwa s5, v0, v1 src0_sel:BYTE_1 src1_sel:DWORD
	s_and_saveexec_b32 s24, s5
	s_cbranch_execz .LBB237_98
; %bb.93:                               ;   in Loop: Header=BB237_16 Depth=1
	v_mov_b32_e32 v1, 0xffff
	v_mov_b32_e32 v62, v49
	s_mov_b32 s25, exec_lo
	buffer_store_dword v62, off, s[0:3], s32 offset:312 ; 4-byte Folded Spill
	buffer_store_dword v63, off, s[0:3], s32 offset:316 ; 4-byte Folded Spill
	v_and_b32_sdwa v1, v1, v0 dst_sel:DWORD dst_unused:UNUSED_PAD src0_sel:DWORD src1_sel:BYTE_1
	v_and_b32_e32 v2, 0x7f, v1
	v_cmpx_ne_u32_e32 0x7f, v2
	s_cbranch_execz .LBB237_97
; %bb.94:                               ;   in Loop: Header=BB237_16 Depth=1
	v_and_b32_e32 v48, 7, v1
	v_lshrrev_b32_e32 v1, 3, v2
	s_mov_b32 s26, exec_lo
	v_cmpx_gt_u32_e32 8, v2
; %bb.95:                               ;   in Loop: Header=BB237_16 Depth=1
	v_ffbh_u32_e32 v1, v48
	v_min_u32_e32 v1, 32, v1
	v_subrev_nc_u32_e32 v2, 28, v1
	v_sub_nc_u32_e32 v1, 29, v1
	v_lshlrev_b64 v[2:3], v2, v[48:49]
	v_and_b32_e32 v48, 7, v2
; %bb.96:                               ;   in Loop: Header=BB237_16 Depth=1
	s_or_b32 exec_lo, exec_lo, s26
	v_lshlrev_b32_e32 v2, 16, v0
	v_lshlrev_b32_e32 v3, 20, v48
	v_lshl_add_u32 v1, v1, 23, 0x3c000000
	v_and_b32_e32 v2, 0x80000000, v2
	v_or3_b32 v2, v3, v2, v1
	v_mov_b32_e32 v1, v49
	buffer_store_dword v1, off, s[0:3], s32 offset:312 ; 4-byte Folded Spill
	buffer_store_dword v2, off, s[0:3], s32 offset:316 ; 4-byte Folded Spill
.LBB237_97:                             ;   in Loop: Header=BB237_16 Depth=1
	s_or_b32 exec_lo, exec_lo, s25
.LBB237_98:                             ;   in Loop: Header=BB237_16 Depth=1
	s_or_b32 exec_lo, exec_lo, s24
.LBB237_99:                             ;   in Loop: Header=BB237_16 Depth=1
	s_or_b32 exec_lo, exec_lo, s23
	v_mov_b32_e32 v2, 0
	v_mov_b32_e32 v3, 0
	v_and_b32_sdwa v1, v0, v10 dst_sel:DWORD dst_unused:UNUSED_PAD src0_sel:WORD_1 src1_sel:DWORD
	s_mov_b32 s23, exec_lo
	buffer_store_dword v2, off, s[0:3], s32 offset:320 ; 4-byte Folded Spill
	buffer_store_dword v3, off, s[0:3], s32 offset:324 ; 4-byte Folded Spill
	v_mov_b32_e32 v2, 0
	v_mov_b32_e32 v3, 0
	buffer_store_dword v2, off, s[0:3], s32 offset:328 ; 4-byte Folded Spill
	buffer_store_dword v3, off, s[0:3], s32 offset:332 ; 4-byte Folded Spill
	v_cmpx_ne_u16_e32 0, v1
	s_cbranch_execz .LBB237_107
; %bb.100:                              ;   in Loop: Header=BB237_16 Depth=1
	v_cmp_ne_u16_e64 s5, 0x80, v1
	v_bfrev_b32_e32 v1, 1
	v_mov_b32_e32 v2, 0
	buffer_store_dword v1, off, s[0:3], s32 offset:328 ; 4-byte Folded Spill
	buffer_store_dword v2, off, s[0:3], s32 offset:332 ; 4-byte Folded Spill
	s_and_saveexec_b32 s24, s5
	s_cbranch_execz .LBB237_106
; %bb.101:                              ;   in Loop: Header=BB237_16 Depth=1
	v_mov_b32_e32 v3, 0x7f800001
	v_bfe_u32 v2, v0, 16, 7
	v_mov_b32_e32 v4, 0
	s_mov_b32 s25, exec_lo
	buffer_store_dword v3, off, s[0:3], s32 offset:328 ; 4-byte Folded Spill
	buffer_store_dword v4, off, s[0:3], s32 offset:332 ; 4-byte Folded Spill
	v_cmpx_ne_u32_e32 0x7f, v2
	s_cbranch_execz .LBB237_105
; %bb.102:                              ;   in Loop: Header=BB237_16 Depth=1
	v_mov_b32_e32 v1, 7
	s_mov_b32 s26, exec_lo
	v_and_b32_sdwa v48, v0, v1 dst_sel:DWORD dst_unused:UNUSED_PAD src0_sel:WORD_1 src1_sel:DWORD
	v_lshrrev_b32_e32 v1, 3, v2
	v_cmpx_gt_u32_e32 8, v2
; %bb.103:                              ;   in Loop: Header=BB237_16 Depth=1
	v_ffbh_u32_e32 v1, v48
	v_min_u32_e32 v1, 32, v1
	v_subrev_nc_u32_e32 v2, 28, v1
	v_sub_nc_u32_e32 v1, 29, v1
	v_lshlrev_b64 v[2:3], v2, v[48:49]
	v_and_b32_e32 v48, 7, v2
; %bb.104:                              ;   in Loop: Header=BB237_16 Depth=1
	s_or_b32 exec_lo, exec_lo, s26
	v_mov_b32_e32 v2, 24
	v_lshlrev_b32_e32 v3, 20, v48
	v_lshl_add_u32 v1, v1, 23, 0x3c000000
	v_lshlrev_b32_sdwa v2, v2, v0 dst_sel:DWORD dst_unused:UNUSED_PAD src0_sel:DWORD src1_sel:WORD_1
	v_and_b32_e32 v2, 0x80000000, v2
	v_or3_b32 v48, v3, v2, v1
	buffer_store_dword v48, off, s[0:3], s32 offset:328 ; 4-byte Folded Spill
	buffer_store_dword v49, off, s[0:3], s32 offset:332 ; 4-byte Folded Spill
.LBB237_105:                            ;   in Loop: Header=BB237_16 Depth=1
	s_or_b32 exec_lo, exec_lo, s25
.LBB237_106:                            ;   in Loop: Header=BB237_16 Depth=1
	s_or_b32 exec_lo, exec_lo, s24
.LBB237_107:                            ;   in Loop: Header=BB237_16 Depth=1
	s_or_b32 exec_lo, exec_lo, s23
	s_mov_b32 s23, exec_lo
	v_cmpx_lt_u32_e32 0xffffff, v0
	s_cbranch_execz .LBB237_115
; %bb.108:                              ;   in Loop: Header=BB237_16 Depth=1
	v_mov_b32_e32 v1, 0x80
	v_mov_b32_e32 v34, v49
	buffer_store_dword v34, off, s[0:3], s32 offset:320 ; 4-byte Folded Spill
	buffer_store_dword v35, off, s[0:3], s32 offset:324 ; 4-byte Folded Spill
	v_cmp_ne_u32_sdwa s5, v0, v1 src0_sel:BYTE_3 src1_sel:DWORD
	s_and_saveexec_b32 s24, s5
	s_cbranch_execz .LBB237_114
; %bb.109:                              ;   in Loop: Header=BB237_16 Depth=1
	v_bfe_u32 v2, v0, 24, 7
	v_mov_b32_e32 v62, v49
	s_mov_b32 s25, exec_lo
	buffer_store_dword v62, off, s[0:3], s32 offset:320 ; 4-byte Folded Spill
	buffer_store_dword v63, off, s[0:3], s32 offset:324 ; 4-byte Folded Spill
	v_cmpx_ne_u32_e32 0x7f, v2
	s_cbranch_execz .LBB237_113
; %bb.110:                              ;   in Loop: Header=BB237_16 Depth=1
	v_mov_b32_e32 v1, 7
	s_mov_b32 s26, exec_lo
	v_and_b32_sdwa v48, v0, v1 dst_sel:DWORD dst_unused:UNUSED_PAD src0_sel:BYTE_3 src1_sel:DWORD
	v_lshrrev_b32_e32 v1, 3, v2
	v_cmpx_gt_u32_e32 8, v2
; %bb.111:                              ;   in Loop: Header=BB237_16 Depth=1
	v_ffbh_u32_e32 v1, v48
	v_min_u32_e32 v1, 32, v1
	v_subrev_nc_u32_e32 v2, 28, v1
	v_sub_nc_u32_e32 v1, 29, v1
	v_lshlrev_b64 v[2:3], v2, v[48:49]
	v_and_b32_e32 v48, 7, v2
; %bb.112:                              ;   in Loop: Header=BB237_16 Depth=1
	s_or_b32 exec_lo, exec_lo, s26
	v_mov_b32_e32 v2, 24
	v_lshl_add_u32 v1, v1, 23, 0x3c000000
	v_lshlrev_b32_sdwa v0, v2, v0 dst_sel:DWORD dst_unused:UNUSED_PAD src0_sel:DWORD src1_sel:BYTE_3
	v_lshlrev_b32_e32 v2, 20, v48
	v_and_b32_e32 v0, 0x80000000, v0
	v_or3_b32 v1, v2, v0, v1
	v_mov_b32_e32 v0, v49
	buffer_store_dword v0, off, s[0:3], s32 offset:320 ; 4-byte Folded Spill
	buffer_store_dword v1, off, s[0:3], s32 offset:324 ; 4-byte Folded Spill
.LBB237_113:                            ;   in Loop: Header=BB237_16 Depth=1
	s_or_b32 exec_lo, exec_lo, s25
.LBB237_114:                            ;   in Loop: Header=BB237_16 Depth=1
	s_or_b32 exec_lo, exec_lo, s24
.LBB237_115:                            ;   in Loop: Header=BB237_16 Depth=1
	s_or_b32 exec_lo, exec_lo, s23
	flat_load_dword v0, v[16:17] offset:12
	v_mov_b32_e32 v1, 0
	v_mov_b32_e32 v2, 0
	buffer_store_dword v1, off, s[0:3], s32 offset:344 ; 4-byte Folded Spill
	buffer_store_dword v2, off, s[0:3], s32 offset:348 ; 4-byte Folded Spill
	v_mov_b32_e32 v1, 0
	v_mov_b32_e32 v2, 0
	buffer_store_dword v1, off, s[0:3], s32 offset:368 ; 4-byte Folded Spill
	buffer_store_dword v2, off, s[0:3], s32 offset:372 ; 4-byte Folded Spill
	s_waitcnt vmcnt(0) lgkmcnt(0)
	v_cmp_ne_u16_sdwa s5, v0, v49 src0_sel:BYTE_0 src1_sel:DWORD
	s_and_saveexec_b32 s23, s5
	s_cbranch_execz .LBB237_123
; %bb.116:                              ;   in Loop: Header=BB237_16 Depth=1
	v_bfrev_b32_e32 v1, 1
	v_mov_b32_e32 v2, 0
	buffer_store_dword v1, off, s[0:3], s32 offset:368 ; 4-byte Folded Spill
	buffer_store_dword v2, off, s[0:3], s32 offset:372 ; 4-byte Folded Spill
	v_mov_b32_e32 v1, 0x80
	v_cmp_ne_u16_sdwa s5, v0, v1 src0_sel:BYTE_0 src1_sel:DWORD
	s_and_saveexec_b32 s24, s5
	s_cbranch_execz .LBB237_122
; %bb.117:                              ;   in Loop: Header=BB237_16 Depth=1
	v_mov_b32_e32 v3, 0x7f800001
	v_and_b32_e32 v2, 0x7f, v0
	v_mov_b32_e32 v4, 0
	s_mov_b32 s25, exec_lo
	buffer_store_dword v3, off, s[0:3], s32 offset:368 ; 4-byte Folded Spill
	buffer_store_dword v4, off, s[0:3], s32 offset:372 ; 4-byte Folded Spill
	v_cmpx_ne_u32_e32 0x7f, v2
	s_cbranch_execz .LBB237_121
; %bb.118:                              ;   in Loop: Header=BB237_16 Depth=1
	v_and_b32_e32 v48, 7, v0
	v_lshrrev_b32_e32 v1, 3, v2
	s_mov_b32 s26, exec_lo
	v_cmpx_gt_u32_e32 8, v2
; %bb.119:                              ;   in Loop: Header=BB237_16 Depth=1
	v_ffbh_u32_e32 v1, v48
	v_min_u32_e32 v1, 32, v1
	v_subrev_nc_u32_e32 v2, 28, v1
	v_sub_nc_u32_e32 v1, 29, v1
	v_lshlrev_b64 v[2:3], v2, v[48:49]
	v_and_b32_e32 v48, 7, v2
; %bb.120:                              ;   in Loop: Header=BB237_16 Depth=1
	s_or_b32 exec_lo, exec_lo, s26
	v_lshlrev_b32_e32 v2, 24, v0
	v_lshlrev_b32_e32 v3, 20, v48
	v_lshl_add_u32 v1, v1, 23, 0x3c000000
	v_and_b32_e32 v2, 0x80000000, v2
	v_or3_b32 v48, v3, v2, v1
	buffer_store_dword v48, off, s[0:3], s32 offset:368 ; 4-byte Folded Spill
	buffer_store_dword v49, off, s[0:3], s32 offset:372 ; 4-byte Folded Spill
.LBB237_121:                            ;   in Loop: Header=BB237_16 Depth=1
	s_or_b32 exec_lo, exec_lo, s25
.LBB237_122:                            ;   in Loop: Header=BB237_16 Depth=1
	s_or_b32 exec_lo, exec_lo, s24
.LBB237_123:                            ;   in Loop: Header=BB237_16 Depth=1
	s_or_b32 exec_lo, exec_lo, s23
	v_cmp_ne_u16_sdwa s5, v0, v49 src0_sel:BYTE_1 src1_sel:DWORD
	s_and_saveexec_b32 s23, s5
	s_cbranch_execz .LBB237_131
; %bb.124:                              ;   in Loop: Header=BB237_16 Depth=1
	v_mov_b32_e32 v1, 0x80
	v_mov_b32_e32 v34, v49
	buffer_store_dword v34, off, s[0:3], s32 offset:344 ; 4-byte Folded Spill
	buffer_store_dword v35, off, s[0:3], s32 offset:348 ; 4-byte Folded Spill
	v_cmp_ne_u16_sdwa s5, v0, v1 src0_sel:BYTE_1 src1_sel:DWORD
	s_and_saveexec_b32 s24, s5
	s_cbranch_execz .LBB237_130
; %bb.125:                              ;   in Loop: Header=BB237_16 Depth=1
	v_mov_b32_e32 v1, 0xffff
	v_mov_b32_e32 v62, v49
	s_mov_b32 s25, exec_lo
	buffer_store_dword v62, off, s[0:3], s32 offset:344 ; 4-byte Folded Spill
	buffer_store_dword v63, off, s[0:3], s32 offset:348 ; 4-byte Folded Spill
	v_and_b32_sdwa v1, v1, v0 dst_sel:DWORD dst_unused:UNUSED_PAD src0_sel:DWORD src1_sel:BYTE_1
	v_and_b32_e32 v2, 0x7f, v1
	v_cmpx_ne_u32_e32 0x7f, v2
	s_cbranch_execz .LBB237_129
; %bb.126:                              ;   in Loop: Header=BB237_16 Depth=1
	v_and_b32_e32 v48, 7, v1
	v_lshrrev_b32_e32 v1, 3, v2
	s_mov_b32 s26, exec_lo
	v_cmpx_gt_u32_e32 8, v2
; %bb.127:                              ;   in Loop: Header=BB237_16 Depth=1
	v_ffbh_u32_e32 v1, v48
	v_min_u32_e32 v1, 32, v1
	v_subrev_nc_u32_e32 v2, 28, v1
	v_sub_nc_u32_e32 v1, 29, v1
	v_lshlrev_b64 v[2:3], v2, v[48:49]
	v_and_b32_e32 v48, 7, v2
; %bb.128:                              ;   in Loop: Header=BB237_16 Depth=1
	s_or_b32 exec_lo, exec_lo, s26
	v_lshlrev_b32_e32 v2, 16, v0
	v_lshlrev_b32_e32 v3, 20, v48
	v_lshl_add_u32 v1, v1, 23, 0x3c000000
	v_and_b32_e32 v2, 0x80000000, v2
	v_or3_b32 v2, v3, v2, v1
	v_mov_b32_e32 v1, v49
	buffer_store_dword v1, off, s[0:3], s32 offset:344 ; 4-byte Folded Spill
	buffer_store_dword v2, off, s[0:3], s32 offset:348 ; 4-byte Folded Spill
.LBB237_129:                            ;   in Loop: Header=BB237_16 Depth=1
	s_or_b32 exec_lo, exec_lo, s25
.LBB237_130:                            ;   in Loop: Header=BB237_16 Depth=1
	s_or_b32 exec_lo, exec_lo, s24
.LBB237_131:                            ;   in Loop: Header=BB237_16 Depth=1
	s_or_b32 exec_lo, exec_lo, s23
	v_mov_b32_e32 v2, 0
	v_mov_b32_e32 v3, 0
	v_and_b32_sdwa v1, v0, v10 dst_sel:DWORD dst_unused:UNUSED_PAD src0_sel:WORD_1 src1_sel:DWORD
	s_mov_b32 s23, exec_lo
	buffer_store_dword v2, off, s[0:3], s32 offset:352 ; 4-byte Folded Spill
	buffer_store_dword v3, off, s[0:3], s32 offset:356 ; 4-byte Folded Spill
	v_mov_b32_e32 v2, 0
	v_mov_b32_e32 v3, 0
	buffer_store_dword v2, off, s[0:3], s32 offset:360 ; 4-byte Folded Spill
	buffer_store_dword v3, off, s[0:3], s32 offset:364 ; 4-byte Folded Spill
	v_cmpx_ne_u16_e32 0, v1
	s_cbranch_execz .LBB237_139
; %bb.132:                              ;   in Loop: Header=BB237_16 Depth=1
	v_cmp_ne_u16_e64 s5, 0x80, v1
	v_bfrev_b32_e32 v1, 1
	v_mov_b32_e32 v2, 0
	buffer_store_dword v1, off, s[0:3], s32 offset:360 ; 4-byte Folded Spill
	buffer_store_dword v2, off, s[0:3], s32 offset:364 ; 4-byte Folded Spill
	s_and_saveexec_b32 s24, s5
	s_cbranch_execz .LBB237_138
; %bb.133:                              ;   in Loop: Header=BB237_16 Depth=1
	v_mov_b32_e32 v3, 0x7f800001
	v_bfe_u32 v2, v0, 16, 7
	v_mov_b32_e32 v4, 0
	s_mov_b32 s25, exec_lo
	buffer_store_dword v3, off, s[0:3], s32 offset:360 ; 4-byte Folded Spill
	buffer_store_dword v4, off, s[0:3], s32 offset:364 ; 4-byte Folded Spill
	v_cmpx_ne_u32_e32 0x7f, v2
	s_cbranch_execz .LBB237_137
; %bb.134:                              ;   in Loop: Header=BB237_16 Depth=1
	v_mov_b32_e32 v1, 7
	s_mov_b32 s26, exec_lo
	v_and_b32_sdwa v48, v0, v1 dst_sel:DWORD dst_unused:UNUSED_PAD src0_sel:WORD_1 src1_sel:DWORD
	v_lshrrev_b32_e32 v1, 3, v2
	v_cmpx_gt_u32_e32 8, v2
; %bb.135:                              ;   in Loop: Header=BB237_16 Depth=1
	v_ffbh_u32_e32 v1, v48
	v_min_u32_e32 v1, 32, v1
	v_subrev_nc_u32_e32 v2, 28, v1
	v_sub_nc_u32_e32 v1, 29, v1
	v_lshlrev_b64 v[2:3], v2, v[48:49]
	v_and_b32_e32 v48, 7, v2
; %bb.136:                              ;   in Loop: Header=BB237_16 Depth=1
	s_or_b32 exec_lo, exec_lo, s26
	v_mov_b32_e32 v2, 24
	v_lshlrev_b32_e32 v3, 20, v48
	v_lshl_add_u32 v1, v1, 23, 0x3c000000
	v_lshlrev_b32_sdwa v2, v2, v0 dst_sel:DWORD dst_unused:UNUSED_PAD src0_sel:DWORD src1_sel:WORD_1
	v_and_b32_e32 v2, 0x80000000, v2
	v_or3_b32 v48, v3, v2, v1
	buffer_store_dword v48, off, s[0:3], s32 offset:360 ; 4-byte Folded Spill
	buffer_store_dword v49, off, s[0:3], s32 offset:364 ; 4-byte Folded Spill
.LBB237_137:                            ;   in Loop: Header=BB237_16 Depth=1
	s_or_b32 exec_lo, exec_lo, s25
.LBB237_138:                            ;   in Loop: Header=BB237_16 Depth=1
	s_or_b32 exec_lo, exec_lo, s24
.LBB237_139:                            ;   in Loop: Header=BB237_16 Depth=1
	s_or_b32 exec_lo, exec_lo, s23
	s_mov_b32 s23, exec_lo
	v_cmpx_lt_u32_e32 0xffffff, v0
	s_cbranch_execz .LBB237_147
; %bb.140:                              ;   in Loop: Header=BB237_16 Depth=1
	v_mov_b32_e32 v1, 0x80
	v_mov_b32_e32 v34, v49
	buffer_store_dword v34, off, s[0:3], s32 offset:352 ; 4-byte Folded Spill
	buffer_store_dword v35, off, s[0:3], s32 offset:356 ; 4-byte Folded Spill
	v_cmp_ne_u32_sdwa s5, v0, v1 src0_sel:BYTE_3 src1_sel:DWORD
	s_and_saveexec_b32 s24, s5
	s_cbranch_execz .LBB237_146
; %bb.141:                              ;   in Loop: Header=BB237_16 Depth=1
	v_bfe_u32 v2, v0, 24, 7
	v_mov_b32_e32 v62, v49
	s_mov_b32 s25, exec_lo
	buffer_store_dword v62, off, s[0:3], s32 offset:352 ; 4-byte Folded Spill
	buffer_store_dword v63, off, s[0:3], s32 offset:356 ; 4-byte Folded Spill
	v_cmpx_ne_u32_e32 0x7f, v2
	s_cbranch_execz .LBB237_145
; %bb.142:                              ;   in Loop: Header=BB237_16 Depth=1
	v_mov_b32_e32 v1, 7
	s_mov_b32 s26, exec_lo
	v_and_b32_sdwa v48, v0, v1 dst_sel:DWORD dst_unused:UNUSED_PAD src0_sel:BYTE_3 src1_sel:DWORD
	v_lshrrev_b32_e32 v1, 3, v2
	v_cmpx_gt_u32_e32 8, v2
; %bb.143:                              ;   in Loop: Header=BB237_16 Depth=1
	v_ffbh_u32_e32 v1, v48
	v_min_u32_e32 v1, 32, v1
	v_subrev_nc_u32_e32 v2, 28, v1
	v_sub_nc_u32_e32 v1, 29, v1
	v_lshlrev_b64 v[2:3], v2, v[48:49]
	v_and_b32_e32 v48, 7, v2
; %bb.144:                              ;   in Loop: Header=BB237_16 Depth=1
	s_or_b32 exec_lo, exec_lo, s26
	v_mov_b32_e32 v2, 24
	v_lshl_add_u32 v1, v1, 23, 0x3c000000
	v_lshlrev_b32_sdwa v0, v2, v0 dst_sel:DWORD dst_unused:UNUSED_PAD src0_sel:DWORD src1_sel:BYTE_3
	v_lshlrev_b32_e32 v2, 20, v48
	v_and_b32_e32 v0, 0x80000000, v0
	v_or3_b32 v1, v2, v0, v1
	v_mov_b32_e32 v0, v49
	buffer_store_dword v0, off, s[0:3], s32 offset:352 ; 4-byte Folded Spill
	buffer_store_dword v1, off, s[0:3], s32 offset:356 ; 4-byte Folded Spill
.LBB237_145:                            ;   in Loop: Header=BB237_16 Depth=1
	s_or_b32 exec_lo, exec_lo, s25
.LBB237_146:                            ;   in Loop: Header=BB237_16 Depth=1
	s_or_b32 exec_lo, exec_lo, s24
.LBB237_147:                            ;   in Loop: Header=BB237_16 Depth=1
	s_or_b32 exec_lo, exec_lo, s23
	flat_load_dword v0, v[16:17] offset:512
	v_mov_b32_e32 v1, 0
	v_mov_b32_e32 v2, 0
	buffer_store_dword v1, off, s[0:3], s32 offset:376 ; 4-byte Folded Spill
	buffer_store_dword v2, off, s[0:3], s32 offset:380 ; 4-byte Folded Spill
	v_mov_b32_e32 v1, 0
	v_mov_b32_e32 v2, 0
	buffer_store_dword v1, off, s[0:3], s32 offset:400 ; 4-byte Folded Spill
	buffer_store_dword v2, off, s[0:3], s32 offset:404 ; 4-byte Folded Spill
	s_waitcnt vmcnt(0) lgkmcnt(0)
	v_cmp_ne_u16_sdwa s5, v0, v49 src0_sel:BYTE_0 src1_sel:DWORD
	s_and_saveexec_b32 s23, s5
	s_cbranch_execz .LBB237_155
; %bb.148:                              ;   in Loop: Header=BB237_16 Depth=1
	v_bfrev_b32_e32 v1, 1
	v_mov_b32_e32 v2, 0
	buffer_store_dword v1, off, s[0:3], s32 offset:400 ; 4-byte Folded Spill
	buffer_store_dword v2, off, s[0:3], s32 offset:404 ; 4-byte Folded Spill
	v_mov_b32_e32 v1, 0x80
	v_cmp_ne_u16_sdwa s5, v0, v1 src0_sel:BYTE_0 src1_sel:DWORD
	s_and_saveexec_b32 s24, s5
	s_cbranch_execz .LBB237_154
; %bb.149:                              ;   in Loop: Header=BB237_16 Depth=1
	v_mov_b32_e32 v3, 0x7f800001
	v_and_b32_e32 v2, 0x7f, v0
	v_mov_b32_e32 v4, 0
	s_mov_b32 s25, exec_lo
	buffer_store_dword v3, off, s[0:3], s32 offset:400 ; 4-byte Folded Spill
	buffer_store_dword v4, off, s[0:3], s32 offset:404 ; 4-byte Folded Spill
	v_cmpx_ne_u32_e32 0x7f, v2
	s_cbranch_execz .LBB237_153
; %bb.150:                              ;   in Loop: Header=BB237_16 Depth=1
	v_and_b32_e32 v48, 7, v0
	v_lshrrev_b32_e32 v1, 3, v2
	s_mov_b32 s26, exec_lo
	v_cmpx_gt_u32_e32 8, v2
; %bb.151:                              ;   in Loop: Header=BB237_16 Depth=1
	v_ffbh_u32_e32 v1, v48
	v_min_u32_e32 v1, 32, v1
	v_subrev_nc_u32_e32 v2, 28, v1
	v_sub_nc_u32_e32 v1, 29, v1
	v_lshlrev_b64 v[2:3], v2, v[48:49]
	v_and_b32_e32 v48, 7, v2
; %bb.152:                              ;   in Loop: Header=BB237_16 Depth=1
	s_or_b32 exec_lo, exec_lo, s26
	v_lshlrev_b32_e32 v2, 24, v0
	v_lshlrev_b32_e32 v3, 20, v48
	v_lshl_add_u32 v1, v1, 23, 0x3c000000
	v_and_b32_e32 v2, 0x80000000, v2
	v_or3_b32 v48, v3, v2, v1
	buffer_store_dword v48, off, s[0:3], s32 offset:400 ; 4-byte Folded Spill
	buffer_store_dword v49, off, s[0:3], s32 offset:404 ; 4-byte Folded Spill
.LBB237_153:                            ;   in Loop: Header=BB237_16 Depth=1
	s_or_b32 exec_lo, exec_lo, s25
.LBB237_154:                            ;   in Loop: Header=BB237_16 Depth=1
	s_or_b32 exec_lo, exec_lo, s24
.LBB237_155:                            ;   in Loop: Header=BB237_16 Depth=1
	s_or_b32 exec_lo, exec_lo, s23
	v_cmp_ne_u16_sdwa s5, v0, v49 src0_sel:BYTE_1 src1_sel:DWORD
	s_and_saveexec_b32 s23, s5
	s_cbranch_execz .LBB237_163
; %bb.156:                              ;   in Loop: Header=BB237_16 Depth=1
	v_mov_b32_e32 v1, 0x80
	v_mov_b32_e32 v34, v49
	buffer_store_dword v34, off, s[0:3], s32 offset:376 ; 4-byte Folded Spill
	buffer_store_dword v35, off, s[0:3], s32 offset:380 ; 4-byte Folded Spill
	v_cmp_ne_u16_sdwa s5, v0, v1 src0_sel:BYTE_1 src1_sel:DWORD
	s_and_saveexec_b32 s24, s5
	s_cbranch_execz .LBB237_162
; %bb.157:                              ;   in Loop: Header=BB237_16 Depth=1
	v_mov_b32_e32 v1, 0xffff
	v_mov_b32_e32 v62, v49
	s_mov_b32 s25, exec_lo
	buffer_store_dword v62, off, s[0:3], s32 offset:376 ; 4-byte Folded Spill
	buffer_store_dword v63, off, s[0:3], s32 offset:380 ; 4-byte Folded Spill
	v_and_b32_sdwa v1, v1, v0 dst_sel:DWORD dst_unused:UNUSED_PAD src0_sel:DWORD src1_sel:BYTE_1
	v_and_b32_e32 v2, 0x7f, v1
	v_cmpx_ne_u32_e32 0x7f, v2
	s_cbranch_execz .LBB237_161
; %bb.158:                              ;   in Loop: Header=BB237_16 Depth=1
	v_and_b32_e32 v48, 7, v1
	v_lshrrev_b32_e32 v1, 3, v2
	s_mov_b32 s26, exec_lo
	v_cmpx_gt_u32_e32 8, v2
; %bb.159:                              ;   in Loop: Header=BB237_16 Depth=1
	v_ffbh_u32_e32 v1, v48
	v_min_u32_e32 v1, 32, v1
	v_subrev_nc_u32_e32 v2, 28, v1
	v_sub_nc_u32_e32 v1, 29, v1
	v_lshlrev_b64 v[2:3], v2, v[48:49]
	v_and_b32_e32 v48, 7, v2
; %bb.160:                              ;   in Loop: Header=BB237_16 Depth=1
	s_or_b32 exec_lo, exec_lo, s26
	v_lshlrev_b32_e32 v2, 16, v0
	v_lshlrev_b32_e32 v3, 20, v48
	v_lshl_add_u32 v1, v1, 23, 0x3c000000
	v_and_b32_e32 v2, 0x80000000, v2
	v_or3_b32 v2, v3, v2, v1
	v_mov_b32_e32 v1, v49
	buffer_store_dword v1, off, s[0:3], s32 offset:376 ; 4-byte Folded Spill
	buffer_store_dword v2, off, s[0:3], s32 offset:380 ; 4-byte Folded Spill
.LBB237_161:                            ;   in Loop: Header=BB237_16 Depth=1
	s_or_b32 exec_lo, exec_lo, s25
.LBB237_162:                            ;   in Loop: Header=BB237_16 Depth=1
	s_or_b32 exec_lo, exec_lo, s24
.LBB237_163:                            ;   in Loop: Header=BB237_16 Depth=1
	s_or_b32 exec_lo, exec_lo, s23
	v_mov_b32_e32 v2, 0
	v_mov_b32_e32 v3, 0
	v_and_b32_sdwa v1, v0, v10 dst_sel:DWORD dst_unused:UNUSED_PAD src0_sel:WORD_1 src1_sel:DWORD
	s_mov_b32 s23, exec_lo
	buffer_store_dword v2, off, s[0:3], s32 offset:384 ; 4-byte Folded Spill
	buffer_store_dword v3, off, s[0:3], s32 offset:388 ; 4-byte Folded Spill
	v_mov_b32_e32 v2, 0
	v_mov_b32_e32 v3, 0
	buffer_store_dword v2, off, s[0:3], s32 offset:392 ; 4-byte Folded Spill
	buffer_store_dword v3, off, s[0:3], s32 offset:396 ; 4-byte Folded Spill
	v_cmpx_ne_u16_e32 0, v1
	s_cbranch_execz .LBB237_171
; %bb.164:                              ;   in Loop: Header=BB237_16 Depth=1
	v_cmp_ne_u16_e64 s5, 0x80, v1
	v_bfrev_b32_e32 v1, 1
	v_mov_b32_e32 v2, 0
	buffer_store_dword v1, off, s[0:3], s32 offset:392 ; 4-byte Folded Spill
	buffer_store_dword v2, off, s[0:3], s32 offset:396 ; 4-byte Folded Spill
	s_and_saveexec_b32 s24, s5
	s_cbranch_execz .LBB237_170
; %bb.165:                              ;   in Loop: Header=BB237_16 Depth=1
	v_mov_b32_e32 v3, 0x7f800001
	v_bfe_u32 v2, v0, 16, 7
	v_mov_b32_e32 v4, 0
	s_mov_b32 s25, exec_lo
	buffer_store_dword v3, off, s[0:3], s32 offset:392 ; 4-byte Folded Spill
	buffer_store_dword v4, off, s[0:3], s32 offset:396 ; 4-byte Folded Spill
	v_cmpx_ne_u32_e32 0x7f, v2
	s_cbranch_execz .LBB237_169
; %bb.166:                              ;   in Loop: Header=BB237_16 Depth=1
	v_mov_b32_e32 v1, 7
	s_mov_b32 s26, exec_lo
	v_and_b32_sdwa v48, v0, v1 dst_sel:DWORD dst_unused:UNUSED_PAD src0_sel:WORD_1 src1_sel:DWORD
	v_lshrrev_b32_e32 v1, 3, v2
	v_cmpx_gt_u32_e32 8, v2
; %bb.167:                              ;   in Loop: Header=BB237_16 Depth=1
	v_ffbh_u32_e32 v1, v48
	v_min_u32_e32 v1, 32, v1
	v_subrev_nc_u32_e32 v2, 28, v1
	v_sub_nc_u32_e32 v1, 29, v1
	v_lshlrev_b64 v[2:3], v2, v[48:49]
	v_and_b32_e32 v48, 7, v2
; %bb.168:                              ;   in Loop: Header=BB237_16 Depth=1
	s_or_b32 exec_lo, exec_lo, s26
	v_mov_b32_e32 v2, 24
	v_lshlrev_b32_e32 v3, 20, v48
	v_lshl_add_u32 v1, v1, 23, 0x3c000000
	v_lshlrev_b32_sdwa v2, v2, v0 dst_sel:DWORD dst_unused:UNUSED_PAD src0_sel:DWORD src1_sel:WORD_1
	v_and_b32_e32 v2, 0x80000000, v2
	v_or3_b32 v48, v3, v2, v1
	buffer_store_dword v48, off, s[0:3], s32 offset:392 ; 4-byte Folded Spill
	buffer_store_dword v49, off, s[0:3], s32 offset:396 ; 4-byte Folded Spill
.LBB237_169:                            ;   in Loop: Header=BB237_16 Depth=1
	s_or_b32 exec_lo, exec_lo, s25
.LBB237_170:                            ;   in Loop: Header=BB237_16 Depth=1
	s_or_b32 exec_lo, exec_lo, s24
.LBB237_171:                            ;   in Loop: Header=BB237_16 Depth=1
	s_or_b32 exec_lo, exec_lo, s23
	s_mov_b32 s23, exec_lo
	v_cmpx_lt_u32_e32 0xffffff, v0
	s_cbranch_execz .LBB237_179
; %bb.172:                              ;   in Loop: Header=BB237_16 Depth=1
	v_mov_b32_e32 v1, 0x80
	v_mov_b32_e32 v34, v49
	buffer_store_dword v34, off, s[0:3], s32 offset:384 ; 4-byte Folded Spill
	buffer_store_dword v35, off, s[0:3], s32 offset:388 ; 4-byte Folded Spill
	v_cmp_ne_u32_sdwa s5, v0, v1 src0_sel:BYTE_3 src1_sel:DWORD
	s_and_saveexec_b32 s24, s5
	s_cbranch_execz .LBB237_178
; %bb.173:                              ;   in Loop: Header=BB237_16 Depth=1
	v_bfe_u32 v2, v0, 24, 7
	v_mov_b32_e32 v62, v49
	s_mov_b32 s25, exec_lo
	buffer_store_dword v62, off, s[0:3], s32 offset:384 ; 4-byte Folded Spill
	buffer_store_dword v63, off, s[0:3], s32 offset:388 ; 4-byte Folded Spill
	v_cmpx_ne_u32_e32 0x7f, v2
	s_cbranch_execz .LBB237_177
; %bb.174:                              ;   in Loop: Header=BB237_16 Depth=1
	v_mov_b32_e32 v1, 7
	s_mov_b32 s26, exec_lo
	v_and_b32_sdwa v48, v0, v1 dst_sel:DWORD dst_unused:UNUSED_PAD src0_sel:BYTE_3 src1_sel:DWORD
	v_lshrrev_b32_e32 v1, 3, v2
	v_cmpx_gt_u32_e32 8, v2
; %bb.175:                              ;   in Loop: Header=BB237_16 Depth=1
	v_ffbh_u32_e32 v1, v48
	v_min_u32_e32 v1, 32, v1
	v_subrev_nc_u32_e32 v2, 28, v1
	v_sub_nc_u32_e32 v1, 29, v1
	v_lshlrev_b64 v[2:3], v2, v[48:49]
	v_and_b32_e32 v48, 7, v2
; %bb.176:                              ;   in Loop: Header=BB237_16 Depth=1
	s_or_b32 exec_lo, exec_lo, s26
	v_mov_b32_e32 v2, 24
	v_lshl_add_u32 v1, v1, 23, 0x3c000000
	v_lshlrev_b32_sdwa v0, v2, v0 dst_sel:DWORD dst_unused:UNUSED_PAD src0_sel:DWORD src1_sel:BYTE_3
	v_lshlrev_b32_e32 v2, 20, v48
	v_and_b32_e32 v0, 0x80000000, v0
	v_or3_b32 v1, v2, v0, v1
	v_mov_b32_e32 v0, v49
	buffer_store_dword v0, off, s[0:3], s32 offset:384 ; 4-byte Folded Spill
	buffer_store_dword v1, off, s[0:3], s32 offset:388 ; 4-byte Folded Spill
.LBB237_177:                            ;   in Loop: Header=BB237_16 Depth=1
	s_or_b32 exec_lo, exec_lo, s25
.LBB237_178:                            ;   in Loop: Header=BB237_16 Depth=1
	s_or_b32 exec_lo, exec_lo, s24
.LBB237_179:                            ;   in Loop: Header=BB237_16 Depth=1
	s_or_b32 exec_lo, exec_lo, s23
	flat_load_dword v0, v[16:17] offset:516
	v_mov_b32_e32 v1, 0
	v_mov_b32_e32 v2, 0
	buffer_store_dword v1, off, s[0:3], s32 offset:408 ; 4-byte Folded Spill
	buffer_store_dword v2, off, s[0:3], s32 offset:412 ; 4-byte Folded Spill
	v_mov_b32_e32 v1, 0
	v_mov_b32_e32 v2, 0
	buffer_store_dword v1, off, s[0:3], s32 offset:432 ; 4-byte Folded Spill
	buffer_store_dword v2, off, s[0:3], s32 offset:436 ; 4-byte Folded Spill
	s_waitcnt vmcnt(0) lgkmcnt(0)
	v_cmp_ne_u16_sdwa s5, v0, v49 src0_sel:BYTE_0 src1_sel:DWORD
	s_and_saveexec_b32 s23, s5
	s_cbranch_execz .LBB237_187
; %bb.180:                              ;   in Loop: Header=BB237_16 Depth=1
	v_bfrev_b32_e32 v1, 1
	v_mov_b32_e32 v2, 0
	buffer_store_dword v1, off, s[0:3], s32 offset:432 ; 4-byte Folded Spill
	buffer_store_dword v2, off, s[0:3], s32 offset:436 ; 4-byte Folded Spill
	v_mov_b32_e32 v1, 0x80
	v_cmp_ne_u16_sdwa s5, v0, v1 src0_sel:BYTE_0 src1_sel:DWORD
	s_and_saveexec_b32 s24, s5
	s_cbranch_execz .LBB237_186
; %bb.181:                              ;   in Loop: Header=BB237_16 Depth=1
	v_mov_b32_e32 v3, 0x7f800001
	v_and_b32_e32 v2, 0x7f, v0
	v_mov_b32_e32 v4, 0
	s_mov_b32 s25, exec_lo
	buffer_store_dword v3, off, s[0:3], s32 offset:432 ; 4-byte Folded Spill
	buffer_store_dword v4, off, s[0:3], s32 offset:436 ; 4-byte Folded Spill
	v_cmpx_ne_u32_e32 0x7f, v2
	s_cbranch_execz .LBB237_185
; %bb.182:                              ;   in Loop: Header=BB237_16 Depth=1
	v_and_b32_e32 v48, 7, v0
	v_lshrrev_b32_e32 v1, 3, v2
	s_mov_b32 s26, exec_lo
	v_cmpx_gt_u32_e32 8, v2
; %bb.183:                              ;   in Loop: Header=BB237_16 Depth=1
	v_ffbh_u32_e32 v1, v48
	v_min_u32_e32 v1, 32, v1
	v_subrev_nc_u32_e32 v2, 28, v1
	v_sub_nc_u32_e32 v1, 29, v1
	v_lshlrev_b64 v[2:3], v2, v[48:49]
	v_and_b32_e32 v48, 7, v2
; %bb.184:                              ;   in Loop: Header=BB237_16 Depth=1
	s_or_b32 exec_lo, exec_lo, s26
	v_lshlrev_b32_e32 v2, 24, v0
	v_lshlrev_b32_e32 v3, 20, v48
	v_lshl_add_u32 v1, v1, 23, 0x3c000000
	v_and_b32_e32 v2, 0x80000000, v2
	v_or3_b32 v48, v3, v2, v1
	buffer_store_dword v48, off, s[0:3], s32 offset:432 ; 4-byte Folded Spill
	buffer_store_dword v49, off, s[0:3], s32 offset:436 ; 4-byte Folded Spill
.LBB237_185:                            ;   in Loop: Header=BB237_16 Depth=1
	s_or_b32 exec_lo, exec_lo, s25
.LBB237_186:                            ;   in Loop: Header=BB237_16 Depth=1
	s_or_b32 exec_lo, exec_lo, s24
.LBB237_187:                            ;   in Loop: Header=BB237_16 Depth=1
	s_or_b32 exec_lo, exec_lo, s23
	v_cmp_ne_u16_sdwa s5, v0, v49 src0_sel:BYTE_1 src1_sel:DWORD
	s_and_saveexec_b32 s23, s5
	s_cbranch_execz .LBB237_195
; %bb.188:                              ;   in Loop: Header=BB237_16 Depth=1
	v_mov_b32_e32 v1, 0x80
	v_mov_b32_e32 v34, v49
	buffer_store_dword v34, off, s[0:3], s32 offset:408 ; 4-byte Folded Spill
	buffer_store_dword v35, off, s[0:3], s32 offset:412 ; 4-byte Folded Spill
	v_cmp_ne_u16_sdwa s5, v0, v1 src0_sel:BYTE_1 src1_sel:DWORD
	s_and_saveexec_b32 s24, s5
	s_cbranch_execz .LBB237_194
; %bb.189:                              ;   in Loop: Header=BB237_16 Depth=1
	v_mov_b32_e32 v1, 0xffff
	v_mov_b32_e32 v62, v49
	s_mov_b32 s25, exec_lo
	buffer_store_dword v62, off, s[0:3], s32 offset:408 ; 4-byte Folded Spill
	buffer_store_dword v63, off, s[0:3], s32 offset:412 ; 4-byte Folded Spill
	v_and_b32_sdwa v1, v1, v0 dst_sel:DWORD dst_unused:UNUSED_PAD src0_sel:DWORD src1_sel:BYTE_1
	v_and_b32_e32 v2, 0x7f, v1
	v_cmpx_ne_u32_e32 0x7f, v2
	s_cbranch_execz .LBB237_193
; %bb.190:                              ;   in Loop: Header=BB237_16 Depth=1
	v_and_b32_e32 v48, 7, v1
	v_lshrrev_b32_e32 v1, 3, v2
	s_mov_b32 s26, exec_lo
	v_cmpx_gt_u32_e32 8, v2
; %bb.191:                              ;   in Loop: Header=BB237_16 Depth=1
	v_ffbh_u32_e32 v1, v48
	v_min_u32_e32 v1, 32, v1
	v_subrev_nc_u32_e32 v2, 28, v1
	v_sub_nc_u32_e32 v1, 29, v1
	v_lshlrev_b64 v[2:3], v2, v[48:49]
	v_and_b32_e32 v48, 7, v2
; %bb.192:                              ;   in Loop: Header=BB237_16 Depth=1
	s_or_b32 exec_lo, exec_lo, s26
	v_lshlrev_b32_e32 v2, 16, v0
	v_lshlrev_b32_e32 v3, 20, v48
	v_lshl_add_u32 v1, v1, 23, 0x3c000000
	v_and_b32_e32 v2, 0x80000000, v2
	v_or3_b32 v2, v3, v2, v1
	v_mov_b32_e32 v1, v49
	buffer_store_dword v1, off, s[0:3], s32 offset:408 ; 4-byte Folded Spill
	buffer_store_dword v2, off, s[0:3], s32 offset:412 ; 4-byte Folded Spill
.LBB237_193:                            ;   in Loop: Header=BB237_16 Depth=1
	s_or_b32 exec_lo, exec_lo, s25
.LBB237_194:                            ;   in Loop: Header=BB237_16 Depth=1
	s_or_b32 exec_lo, exec_lo, s24
.LBB237_195:                            ;   in Loop: Header=BB237_16 Depth=1
	s_or_b32 exec_lo, exec_lo, s23
	v_mov_b32_e32 v2, 0
	v_mov_b32_e32 v3, 0
	v_and_b32_sdwa v1, v0, v10 dst_sel:DWORD dst_unused:UNUSED_PAD src0_sel:WORD_1 src1_sel:DWORD
	s_mov_b32 s23, exec_lo
	buffer_store_dword v2, off, s[0:3], s32 offset:416 ; 4-byte Folded Spill
	buffer_store_dword v3, off, s[0:3], s32 offset:420 ; 4-byte Folded Spill
	v_mov_b32_e32 v2, 0
	v_mov_b32_e32 v3, 0
	buffer_store_dword v2, off, s[0:3], s32 offset:424 ; 4-byte Folded Spill
	buffer_store_dword v3, off, s[0:3], s32 offset:428 ; 4-byte Folded Spill
	v_cmpx_ne_u16_e32 0, v1
	s_cbranch_execz .LBB237_203
; %bb.196:                              ;   in Loop: Header=BB237_16 Depth=1
	v_cmp_ne_u16_e64 s5, 0x80, v1
	v_bfrev_b32_e32 v1, 1
	v_mov_b32_e32 v2, 0
	buffer_store_dword v1, off, s[0:3], s32 offset:424 ; 4-byte Folded Spill
	buffer_store_dword v2, off, s[0:3], s32 offset:428 ; 4-byte Folded Spill
	s_and_saveexec_b32 s24, s5
	s_cbranch_execz .LBB237_202
; %bb.197:                              ;   in Loop: Header=BB237_16 Depth=1
	v_mov_b32_e32 v3, 0x7f800001
	v_bfe_u32 v2, v0, 16, 7
	v_mov_b32_e32 v4, 0
	s_mov_b32 s25, exec_lo
	buffer_store_dword v3, off, s[0:3], s32 offset:424 ; 4-byte Folded Spill
	buffer_store_dword v4, off, s[0:3], s32 offset:428 ; 4-byte Folded Spill
	v_cmpx_ne_u32_e32 0x7f, v2
	s_cbranch_execz .LBB237_201
; %bb.198:                              ;   in Loop: Header=BB237_16 Depth=1
	v_mov_b32_e32 v1, 7
	s_mov_b32 s26, exec_lo
	v_and_b32_sdwa v48, v0, v1 dst_sel:DWORD dst_unused:UNUSED_PAD src0_sel:WORD_1 src1_sel:DWORD
	v_lshrrev_b32_e32 v1, 3, v2
	v_cmpx_gt_u32_e32 8, v2
; %bb.199:                              ;   in Loop: Header=BB237_16 Depth=1
	v_ffbh_u32_e32 v1, v48
	v_min_u32_e32 v1, 32, v1
	v_subrev_nc_u32_e32 v2, 28, v1
	v_sub_nc_u32_e32 v1, 29, v1
	v_lshlrev_b64 v[2:3], v2, v[48:49]
	v_and_b32_e32 v48, 7, v2
; %bb.200:                              ;   in Loop: Header=BB237_16 Depth=1
	s_or_b32 exec_lo, exec_lo, s26
	v_mov_b32_e32 v2, 24
	v_lshlrev_b32_e32 v3, 20, v48
	v_lshl_add_u32 v1, v1, 23, 0x3c000000
	v_lshlrev_b32_sdwa v2, v2, v0 dst_sel:DWORD dst_unused:UNUSED_PAD src0_sel:DWORD src1_sel:WORD_1
	v_and_b32_e32 v2, 0x80000000, v2
	v_or3_b32 v48, v3, v2, v1
	buffer_store_dword v48, off, s[0:3], s32 offset:424 ; 4-byte Folded Spill
	buffer_store_dword v49, off, s[0:3], s32 offset:428 ; 4-byte Folded Spill
.LBB237_201:                            ;   in Loop: Header=BB237_16 Depth=1
	s_or_b32 exec_lo, exec_lo, s25
.LBB237_202:                            ;   in Loop: Header=BB237_16 Depth=1
	s_or_b32 exec_lo, exec_lo, s24
.LBB237_203:                            ;   in Loop: Header=BB237_16 Depth=1
	s_or_b32 exec_lo, exec_lo, s23
	s_mov_b32 s23, exec_lo
	v_cmpx_lt_u32_e32 0xffffff, v0
	s_cbranch_execz .LBB237_211
; %bb.204:                              ;   in Loop: Header=BB237_16 Depth=1
	v_mov_b32_e32 v1, 0x80
	v_mov_b32_e32 v34, v49
	buffer_store_dword v34, off, s[0:3], s32 offset:416 ; 4-byte Folded Spill
	buffer_store_dword v35, off, s[0:3], s32 offset:420 ; 4-byte Folded Spill
	v_cmp_ne_u32_sdwa s5, v0, v1 src0_sel:BYTE_3 src1_sel:DWORD
	s_and_saveexec_b32 s24, s5
	s_cbranch_execz .LBB237_210
; %bb.205:                              ;   in Loop: Header=BB237_16 Depth=1
	v_bfe_u32 v2, v0, 24, 7
	v_mov_b32_e32 v62, v49
	s_mov_b32 s25, exec_lo
	buffer_store_dword v62, off, s[0:3], s32 offset:416 ; 4-byte Folded Spill
	buffer_store_dword v63, off, s[0:3], s32 offset:420 ; 4-byte Folded Spill
	v_cmpx_ne_u32_e32 0x7f, v2
	s_cbranch_execz .LBB237_209
; %bb.206:                              ;   in Loop: Header=BB237_16 Depth=1
	v_mov_b32_e32 v1, 7
	s_mov_b32 s26, exec_lo
	v_and_b32_sdwa v48, v0, v1 dst_sel:DWORD dst_unused:UNUSED_PAD src0_sel:BYTE_3 src1_sel:DWORD
	v_lshrrev_b32_e32 v1, 3, v2
	v_cmpx_gt_u32_e32 8, v2
; %bb.207:                              ;   in Loop: Header=BB237_16 Depth=1
	v_ffbh_u32_e32 v1, v48
	v_min_u32_e32 v1, 32, v1
	v_subrev_nc_u32_e32 v2, 28, v1
	v_sub_nc_u32_e32 v1, 29, v1
	v_lshlrev_b64 v[2:3], v2, v[48:49]
	v_and_b32_e32 v48, 7, v2
; %bb.208:                              ;   in Loop: Header=BB237_16 Depth=1
	s_or_b32 exec_lo, exec_lo, s26
	v_mov_b32_e32 v2, 24
	v_lshl_add_u32 v1, v1, 23, 0x3c000000
	v_lshlrev_b32_sdwa v0, v2, v0 dst_sel:DWORD dst_unused:UNUSED_PAD src0_sel:DWORD src1_sel:BYTE_3
	v_lshlrev_b32_e32 v2, 20, v48
	v_and_b32_e32 v0, 0x80000000, v0
	v_or3_b32 v1, v2, v0, v1
	v_mov_b32_e32 v0, v49
	buffer_store_dword v0, off, s[0:3], s32 offset:416 ; 4-byte Folded Spill
	buffer_store_dword v1, off, s[0:3], s32 offset:420 ; 4-byte Folded Spill
.LBB237_209:                            ;   in Loop: Header=BB237_16 Depth=1
	s_or_b32 exec_lo, exec_lo, s25
.LBB237_210:                            ;   in Loop: Header=BB237_16 Depth=1
	s_or_b32 exec_lo, exec_lo, s24
.LBB237_211:                            ;   in Loop: Header=BB237_16 Depth=1
	s_or_b32 exec_lo, exec_lo, s23
	flat_load_dword v0, v[16:17] offset:520
	v_mov_b32_e32 v1, 0
	v_mov_b32_e32 v2, 0
	buffer_store_dword v1, off, s[0:3], s32 offset:440 ; 4-byte Folded Spill
	buffer_store_dword v2, off, s[0:3], s32 offset:444 ; 4-byte Folded Spill
	v_mov_b32_e32 v1, 0
	v_mov_b32_e32 v2, 0
	buffer_store_dword v1, off, s[0:3], s32 offset:464 ; 4-byte Folded Spill
	buffer_store_dword v2, off, s[0:3], s32 offset:468 ; 4-byte Folded Spill
	s_waitcnt vmcnt(0) lgkmcnt(0)
	v_cmp_ne_u16_sdwa s5, v0, v49 src0_sel:BYTE_0 src1_sel:DWORD
	s_and_saveexec_b32 s23, s5
	s_cbranch_execz .LBB237_219
; %bb.212:                              ;   in Loop: Header=BB237_16 Depth=1
	v_bfrev_b32_e32 v1, 1
	v_mov_b32_e32 v2, 0
	buffer_store_dword v1, off, s[0:3], s32 offset:464 ; 4-byte Folded Spill
	buffer_store_dword v2, off, s[0:3], s32 offset:468 ; 4-byte Folded Spill
	v_mov_b32_e32 v1, 0x80
	v_cmp_ne_u16_sdwa s5, v0, v1 src0_sel:BYTE_0 src1_sel:DWORD
	s_and_saveexec_b32 s24, s5
	s_cbranch_execz .LBB237_218
; %bb.213:                              ;   in Loop: Header=BB237_16 Depth=1
	v_mov_b32_e32 v3, 0x7f800001
	v_and_b32_e32 v2, 0x7f, v0
	v_mov_b32_e32 v4, 0
	s_mov_b32 s25, exec_lo
	buffer_store_dword v3, off, s[0:3], s32 offset:464 ; 4-byte Folded Spill
	buffer_store_dword v4, off, s[0:3], s32 offset:468 ; 4-byte Folded Spill
	v_cmpx_ne_u32_e32 0x7f, v2
	s_cbranch_execz .LBB237_217
; %bb.214:                              ;   in Loop: Header=BB237_16 Depth=1
	v_and_b32_e32 v48, 7, v0
	v_lshrrev_b32_e32 v1, 3, v2
	s_mov_b32 s26, exec_lo
	v_cmpx_gt_u32_e32 8, v2
; %bb.215:                              ;   in Loop: Header=BB237_16 Depth=1
	v_ffbh_u32_e32 v1, v48
	v_min_u32_e32 v1, 32, v1
	v_subrev_nc_u32_e32 v2, 28, v1
	v_sub_nc_u32_e32 v1, 29, v1
	v_lshlrev_b64 v[2:3], v2, v[48:49]
	v_and_b32_e32 v48, 7, v2
; %bb.216:                              ;   in Loop: Header=BB237_16 Depth=1
	s_or_b32 exec_lo, exec_lo, s26
	v_lshlrev_b32_e32 v2, 24, v0
	v_lshlrev_b32_e32 v3, 20, v48
	v_lshl_add_u32 v1, v1, 23, 0x3c000000
	v_and_b32_e32 v2, 0x80000000, v2
	v_or3_b32 v48, v3, v2, v1
	buffer_store_dword v48, off, s[0:3], s32 offset:464 ; 4-byte Folded Spill
	buffer_store_dword v49, off, s[0:3], s32 offset:468 ; 4-byte Folded Spill
.LBB237_217:                            ;   in Loop: Header=BB237_16 Depth=1
	s_or_b32 exec_lo, exec_lo, s25
.LBB237_218:                            ;   in Loop: Header=BB237_16 Depth=1
	s_or_b32 exec_lo, exec_lo, s24
.LBB237_219:                            ;   in Loop: Header=BB237_16 Depth=1
	s_or_b32 exec_lo, exec_lo, s23
	v_cmp_ne_u16_sdwa s5, v0, v49 src0_sel:BYTE_1 src1_sel:DWORD
	s_and_saveexec_b32 s23, s5
	s_cbranch_execz .LBB237_227
; %bb.220:                              ;   in Loop: Header=BB237_16 Depth=1
	v_mov_b32_e32 v1, 0x80
	v_mov_b32_e32 v34, v49
	buffer_store_dword v34, off, s[0:3], s32 offset:440 ; 4-byte Folded Spill
	buffer_store_dword v35, off, s[0:3], s32 offset:444 ; 4-byte Folded Spill
	v_cmp_ne_u16_sdwa s5, v0, v1 src0_sel:BYTE_1 src1_sel:DWORD
	s_and_saveexec_b32 s24, s5
	s_cbranch_execz .LBB237_226
; %bb.221:                              ;   in Loop: Header=BB237_16 Depth=1
	v_mov_b32_e32 v1, 0xffff
	v_mov_b32_e32 v62, v49
	s_mov_b32 s25, exec_lo
	buffer_store_dword v62, off, s[0:3], s32 offset:440 ; 4-byte Folded Spill
	buffer_store_dword v63, off, s[0:3], s32 offset:444 ; 4-byte Folded Spill
	v_and_b32_sdwa v1, v1, v0 dst_sel:DWORD dst_unused:UNUSED_PAD src0_sel:DWORD src1_sel:BYTE_1
	v_and_b32_e32 v2, 0x7f, v1
	v_cmpx_ne_u32_e32 0x7f, v2
	s_cbranch_execz .LBB237_225
; %bb.222:                              ;   in Loop: Header=BB237_16 Depth=1
	v_and_b32_e32 v48, 7, v1
	v_lshrrev_b32_e32 v1, 3, v2
	s_mov_b32 s26, exec_lo
	v_cmpx_gt_u32_e32 8, v2
; %bb.223:                              ;   in Loop: Header=BB237_16 Depth=1
	v_ffbh_u32_e32 v1, v48
	v_min_u32_e32 v1, 32, v1
	v_subrev_nc_u32_e32 v2, 28, v1
	v_sub_nc_u32_e32 v1, 29, v1
	v_lshlrev_b64 v[2:3], v2, v[48:49]
	v_and_b32_e32 v48, 7, v2
; %bb.224:                              ;   in Loop: Header=BB237_16 Depth=1
	s_or_b32 exec_lo, exec_lo, s26
	v_lshlrev_b32_e32 v2, 16, v0
	v_lshlrev_b32_e32 v3, 20, v48
	v_lshl_add_u32 v1, v1, 23, 0x3c000000
	v_and_b32_e32 v2, 0x80000000, v2
	v_or3_b32 v2, v3, v2, v1
	v_mov_b32_e32 v1, v49
	buffer_store_dword v1, off, s[0:3], s32 offset:440 ; 4-byte Folded Spill
	buffer_store_dword v2, off, s[0:3], s32 offset:444 ; 4-byte Folded Spill
.LBB237_225:                            ;   in Loop: Header=BB237_16 Depth=1
	s_or_b32 exec_lo, exec_lo, s25
.LBB237_226:                            ;   in Loop: Header=BB237_16 Depth=1
	s_or_b32 exec_lo, exec_lo, s24
.LBB237_227:                            ;   in Loop: Header=BB237_16 Depth=1
	s_or_b32 exec_lo, exec_lo, s23
	v_mov_b32_e32 v2, 0
	v_mov_b32_e32 v3, 0
	v_and_b32_sdwa v1, v0, v10 dst_sel:DWORD dst_unused:UNUSED_PAD src0_sel:WORD_1 src1_sel:DWORD
	s_mov_b32 s23, exec_lo
	buffer_store_dword v2, off, s[0:3], s32 offset:448 ; 4-byte Folded Spill
	buffer_store_dword v3, off, s[0:3], s32 offset:452 ; 4-byte Folded Spill
	v_mov_b32_e32 v2, 0
	v_mov_b32_e32 v3, 0
	buffer_store_dword v2, off, s[0:3], s32 offset:456 ; 4-byte Folded Spill
	buffer_store_dword v3, off, s[0:3], s32 offset:460 ; 4-byte Folded Spill
	v_cmpx_ne_u16_e32 0, v1
	s_cbranch_execz .LBB237_235
; %bb.228:                              ;   in Loop: Header=BB237_16 Depth=1
	v_cmp_ne_u16_e64 s5, 0x80, v1
	v_bfrev_b32_e32 v1, 1
	v_mov_b32_e32 v2, 0
	buffer_store_dword v1, off, s[0:3], s32 offset:456 ; 4-byte Folded Spill
	buffer_store_dword v2, off, s[0:3], s32 offset:460 ; 4-byte Folded Spill
	s_and_saveexec_b32 s24, s5
	s_cbranch_execz .LBB237_234
; %bb.229:                              ;   in Loop: Header=BB237_16 Depth=1
	v_mov_b32_e32 v3, 0x7f800001
	v_bfe_u32 v2, v0, 16, 7
	v_mov_b32_e32 v4, 0
	s_mov_b32 s25, exec_lo
	buffer_store_dword v3, off, s[0:3], s32 offset:456 ; 4-byte Folded Spill
	buffer_store_dword v4, off, s[0:3], s32 offset:460 ; 4-byte Folded Spill
	v_cmpx_ne_u32_e32 0x7f, v2
	s_cbranch_execz .LBB237_233
; %bb.230:                              ;   in Loop: Header=BB237_16 Depth=1
	v_mov_b32_e32 v1, 7
	s_mov_b32 s26, exec_lo
	v_and_b32_sdwa v48, v0, v1 dst_sel:DWORD dst_unused:UNUSED_PAD src0_sel:WORD_1 src1_sel:DWORD
	v_lshrrev_b32_e32 v1, 3, v2
	v_cmpx_gt_u32_e32 8, v2
; %bb.231:                              ;   in Loop: Header=BB237_16 Depth=1
	v_ffbh_u32_e32 v1, v48
	v_min_u32_e32 v1, 32, v1
	v_subrev_nc_u32_e32 v2, 28, v1
	v_sub_nc_u32_e32 v1, 29, v1
	v_lshlrev_b64 v[2:3], v2, v[48:49]
	v_and_b32_e32 v48, 7, v2
; %bb.232:                              ;   in Loop: Header=BB237_16 Depth=1
	s_or_b32 exec_lo, exec_lo, s26
	v_mov_b32_e32 v2, 24
	v_lshlrev_b32_e32 v3, 20, v48
	v_lshl_add_u32 v1, v1, 23, 0x3c000000
	v_lshlrev_b32_sdwa v2, v2, v0 dst_sel:DWORD dst_unused:UNUSED_PAD src0_sel:DWORD src1_sel:WORD_1
	v_and_b32_e32 v2, 0x80000000, v2
	v_or3_b32 v48, v3, v2, v1
	buffer_store_dword v48, off, s[0:3], s32 offset:456 ; 4-byte Folded Spill
	buffer_store_dword v49, off, s[0:3], s32 offset:460 ; 4-byte Folded Spill
.LBB237_233:                            ;   in Loop: Header=BB237_16 Depth=1
	s_or_b32 exec_lo, exec_lo, s25
.LBB237_234:                            ;   in Loop: Header=BB237_16 Depth=1
	s_or_b32 exec_lo, exec_lo, s24
.LBB237_235:                            ;   in Loop: Header=BB237_16 Depth=1
	s_or_b32 exec_lo, exec_lo, s23
	s_mov_b32 s23, exec_lo
	v_cmpx_lt_u32_e32 0xffffff, v0
	s_cbranch_execz .LBB237_243
; %bb.236:                              ;   in Loop: Header=BB237_16 Depth=1
	v_mov_b32_e32 v1, 0x80
	v_mov_b32_e32 v34, v49
	buffer_store_dword v34, off, s[0:3], s32 offset:448 ; 4-byte Folded Spill
	buffer_store_dword v35, off, s[0:3], s32 offset:452 ; 4-byte Folded Spill
	v_cmp_ne_u32_sdwa s5, v0, v1 src0_sel:BYTE_3 src1_sel:DWORD
	s_and_saveexec_b32 s24, s5
	s_cbranch_execz .LBB237_242
; %bb.237:                              ;   in Loop: Header=BB237_16 Depth=1
	v_bfe_u32 v2, v0, 24, 7
	v_mov_b32_e32 v62, v49
	s_mov_b32 s25, exec_lo
	buffer_store_dword v62, off, s[0:3], s32 offset:448 ; 4-byte Folded Spill
	buffer_store_dword v63, off, s[0:3], s32 offset:452 ; 4-byte Folded Spill
	v_cmpx_ne_u32_e32 0x7f, v2
	s_cbranch_execz .LBB237_241
; %bb.238:                              ;   in Loop: Header=BB237_16 Depth=1
	v_mov_b32_e32 v1, 7
	s_mov_b32 s26, exec_lo
	v_and_b32_sdwa v48, v0, v1 dst_sel:DWORD dst_unused:UNUSED_PAD src0_sel:BYTE_3 src1_sel:DWORD
	v_lshrrev_b32_e32 v1, 3, v2
	v_cmpx_gt_u32_e32 8, v2
; %bb.239:                              ;   in Loop: Header=BB237_16 Depth=1
	v_ffbh_u32_e32 v1, v48
	v_min_u32_e32 v1, 32, v1
	v_subrev_nc_u32_e32 v2, 28, v1
	v_sub_nc_u32_e32 v1, 29, v1
	v_lshlrev_b64 v[2:3], v2, v[48:49]
	v_and_b32_e32 v48, 7, v2
; %bb.240:                              ;   in Loop: Header=BB237_16 Depth=1
	s_or_b32 exec_lo, exec_lo, s26
	v_mov_b32_e32 v2, 24
	v_lshl_add_u32 v1, v1, 23, 0x3c000000
	v_lshlrev_b32_sdwa v0, v2, v0 dst_sel:DWORD dst_unused:UNUSED_PAD src0_sel:DWORD src1_sel:BYTE_3
	v_lshlrev_b32_e32 v2, 20, v48
	v_and_b32_e32 v0, 0x80000000, v0
	v_or3_b32 v1, v2, v0, v1
	v_mov_b32_e32 v0, v49
	buffer_store_dword v0, off, s[0:3], s32 offset:448 ; 4-byte Folded Spill
	buffer_store_dword v1, off, s[0:3], s32 offset:452 ; 4-byte Folded Spill
.LBB237_241:                            ;   in Loop: Header=BB237_16 Depth=1
	s_or_b32 exec_lo, exec_lo, s25
.LBB237_242:                            ;   in Loop: Header=BB237_16 Depth=1
	s_or_b32 exec_lo, exec_lo, s24
.LBB237_243:                            ;   in Loop: Header=BB237_16 Depth=1
	s_or_b32 exec_lo, exec_lo, s23
	flat_load_dword v0, v[16:17] offset:524
	v_mov_b32_e32 v1, 0
	v_mov_b32_e32 v2, 0
	buffer_store_dword v1, off, s[0:3], s32 offset:472 ; 4-byte Folded Spill
	buffer_store_dword v2, off, s[0:3], s32 offset:476 ; 4-byte Folded Spill
	v_mov_b32_e32 v1, 0
	v_mov_b32_e32 v2, 0
	buffer_store_dword v1, off, s[0:3], s32 offset:496 ; 4-byte Folded Spill
	buffer_store_dword v2, off, s[0:3], s32 offset:500 ; 4-byte Folded Spill
	s_waitcnt vmcnt(0) lgkmcnt(0)
	v_cmp_ne_u16_sdwa s5, v0, v49 src0_sel:BYTE_0 src1_sel:DWORD
	s_and_saveexec_b32 s23, s5
	s_cbranch_execz .LBB237_251
; %bb.244:                              ;   in Loop: Header=BB237_16 Depth=1
	v_bfrev_b32_e32 v1, 1
	v_mov_b32_e32 v2, 0
	buffer_store_dword v1, off, s[0:3], s32 offset:496 ; 4-byte Folded Spill
	buffer_store_dword v2, off, s[0:3], s32 offset:500 ; 4-byte Folded Spill
	v_mov_b32_e32 v1, 0x80
	v_cmp_ne_u16_sdwa s5, v0, v1 src0_sel:BYTE_0 src1_sel:DWORD
	s_and_saveexec_b32 s24, s5
	s_cbranch_execz .LBB237_250
; %bb.245:                              ;   in Loop: Header=BB237_16 Depth=1
	v_mov_b32_e32 v3, 0x7f800001
	v_and_b32_e32 v2, 0x7f, v0
	v_mov_b32_e32 v4, 0
	s_mov_b32 s25, exec_lo
	buffer_store_dword v3, off, s[0:3], s32 offset:496 ; 4-byte Folded Spill
	buffer_store_dword v4, off, s[0:3], s32 offset:500 ; 4-byte Folded Spill
	v_cmpx_ne_u32_e32 0x7f, v2
	s_cbranch_execz .LBB237_249
; %bb.246:                              ;   in Loop: Header=BB237_16 Depth=1
	v_and_b32_e32 v48, 7, v0
	v_lshrrev_b32_e32 v1, 3, v2
	s_mov_b32 s26, exec_lo
	v_cmpx_gt_u32_e32 8, v2
; %bb.247:                              ;   in Loop: Header=BB237_16 Depth=1
	v_ffbh_u32_e32 v1, v48
	v_min_u32_e32 v1, 32, v1
	v_subrev_nc_u32_e32 v2, 28, v1
	v_sub_nc_u32_e32 v1, 29, v1
	v_lshlrev_b64 v[2:3], v2, v[48:49]
	v_and_b32_e32 v48, 7, v2
; %bb.248:                              ;   in Loop: Header=BB237_16 Depth=1
	s_or_b32 exec_lo, exec_lo, s26
	v_lshlrev_b32_e32 v2, 24, v0
	v_lshlrev_b32_e32 v3, 20, v48
	v_lshl_add_u32 v1, v1, 23, 0x3c000000
	v_and_b32_e32 v2, 0x80000000, v2
	v_or3_b32 v48, v3, v2, v1
	buffer_store_dword v48, off, s[0:3], s32 offset:496 ; 4-byte Folded Spill
	buffer_store_dword v49, off, s[0:3], s32 offset:500 ; 4-byte Folded Spill
.LBB237_249:                            ;   in Loop: Header=BB237_16 Depth=1
	s_or_b32 exec_lo, exec_lo, s25
.LBB237_250:                            ;   in Loop: Header=BB237_16 Depth=1
	s_or_b32 exec_lo, exec_lo, s24
.LBB237_251:                            ;   in Loop: Header=BB237_16 Depth=1
	s_or_b32 exec_lo, exec_lo, s23
	v_cmp_ne_u16_sdwa s5, v0, v49 src0_sel:BYTE_1 src1_sel:DWORD
	s_and_saveexec_b32 s23, s5
	s_cbranch_execz .LBB237_259
; %bb.252:                              ;   in Loop: Header=BB237_16 Depth=1
	v_mov_b32_e32 v1, 0x80
	v_mov_b32_e32 v34, v49
	buffer_store_dword v34, off, s[0:3], s32 offset:472 ; 4-byte Folded Spill
	buffer_store_dword v35, off, s[0:3], s32 offset:476 ; 4-byte Folded Spill
	v_cmp_ne_u16_sdwa s5, v0, v1 src0_sel:BYTE_1 src1_sel:DWORD
	s_and_saveexec_b32 s24, s5
	s_cbranch_execz .LBB237_258
; %bb.253:                              ;   in Loop: Header=BB237_16 Depth=1
	v_mov_b32_e32 v1, 0xffff
	v_mov_b32_e32 v62, v49
	s_mov_b32 s25, exec_lo
	buffer_store_dword v62, off, s[0:3], s32 offset:472 ; 4-byte Folded Spill
	buffer_store_dword v63, off, s[0:3], s32 offset:476 ; 4-byte Folded Spill
	v_and_b32_sdwa v1, v1, v0 dst_sel:DWORD dst_unused:UNUSED_PAD src0_sel:DWORD src1_sel:BYTE_1
	v_and_b32_e32 v2, 0x7f, v1
	v_cmpx_ne_u32_e32 0x7f, v2
	s_cbranch_execz .LBB237_257
; %bb.254:                              ;   in Loop: Header=BB237_16 Depth=1
	v_and_b32_e32 v48, 7, v1
	v_lshrrev_b32_e32 v1, 3, v2
	s_mov_b32 s26, exec_lo
	v_cmpx_gt_u32_e32 8, v2
; %bb.255:                              ;   in Loop: Header=BB237_16 Depth=1
	v_ffbh_u32_e32 v1, v48
	v_min_u32_e32 v1, 32, v1
	v_subrev_nc_u32_e32 v2, 28, v1
	v_sub_nc_u32_e32 v1, 29, v1
	v_lshlrev_b64 v[2:3], v2, v[48:49]
	v_and_b32_e32 v48, 7, v2
; %bb.256:                              ;   in Loop: Header=BB237_16 Depth=1
	s_or_b32 exec_lo, exec_lo, s26
	v_lshlrev_b32_e32 v2, 16, v0
	v_lshlrev_b32_e32 v3, 20, v48
	v_lshl_add_u32 v1, v1, 23, 0x3c000000
	v_and_b32_e32 v2, 0x80000000, v2
	v_or3_b32 v2, v3, v2, v1
	v_mov_b32_e32 v1, v49
	buffer_store_dword v1, off, s[0:3], s32 offset:472 ; 4-byte Folded Spill
	buffer_store_dword v2, off, s[0:3], s32 offset:476 ; 4-byte Folded Spill
.LBB237_257:                            ;   in Loop: Header=BB237_16 Depth=1
	s_or_b32 exec_lo, exec_lo, s25
.LBB237_258:                            ;   in Loop: Header=BB237_16 Depth=1
	s_or_b32 exec_lo, exec_lo, s24
.LBB237_259:                            ;   in Loop: Header=BB237_16 Depth=1
	s_or_b32 exec_lo, exec_lo, s23
	v_mov_b32_e32 v2, 0
	v_mov_b32_e32 v3, 0
	v_and_b32_sdwa v1, v0, v10 dst_sel:DWORD dst_unused:UNUSED_PAD src0_sel:WORD_1 src1_sel:DWORD
	s_mov_b32 s23, exec_lo
	buffer_store_dword v2, off, s[0:3], s32 offset:480 ; 4-byte Folded Spill
	buffer_store_dword v3, off, s[0:3], s32 offset:484 ; 4-byte Folded Spill
	v_mov_b32_e32 v2, 0
	v_mov_b32_e32 v3, 0
	buffer_store_dword v2, off, s[0:3], s32 offset:488 ; 4-byte Folded Spill
	buffer_store_dword v3, off, s[0:3], s32 offset:492 ; 4-byte Folded Spill
	v_cmpx_ne_u16_e32 0, v1
	s_cbranch_execz .LBB237_267
; %bb.260:                              ;   in Loop: Header=BB237_16 Depth=1
	v_cmp_ne_u16_e64 s5, 0x80, v1
	v_bfrev_b32_e32 v1, 1
	v_mov_b32_e32 v2, 0
	buffer_store_dword v1, off, s[0:3], s32 offset:488 ; 4-byte Folded Spill
	buffer_store_dword v2, off, s[0:3], s32 offset:492 ; 4-byte Folded Spill
	s_and_saveexec_b32 s24, s5
	s_cbranch_execz .LBB237_266
; %bb.261:                              ;   in Loop: Header=BB237_16 Depth=1
	v_mov_b32_e32 v3, 0x7f800001
	v_bfe_u32 v2, v0, 16, 7
	v_mov_b32_e32 v4, 0
	s_mov_b32 s25, exec_lo
	buffer_store_dword v3, off, s[0:3], s32 offset:488 ; 4-byte Folded Spill
	buffer_store_dword v4, off, s[0:3], s32 offset:492 ; 4-byte Folded Spill
	v_cmpx_ne_u32_e32 0x7f, v2
	s_cbranch_execz .LBB237_265
; %bb.262:                              ;   in Loop: Header=BB237_16 Depth=1
	v_mov_b32_e32 v1, 7
	s_mov_b32 s26, exec_lo
	v_and_b32_sdwa v48, v0, v1 dst_sel:DWORD dst_unused:UNUSED_PAD src0_sel:WORD_1 src1_sel:DWORD
	v_lshrrev_b32_e32 v1, 3, v2
	v_cmpx_gt_u32_e32 8, v2
; %bb.263:                              ;   in Loop: Header=BB237_16 Depth=1
	v_ffbh_u32_e32 v1, v48
	v_min_u32_e32 v1, 32, v1
	v_subrev_nc_u32_e32 v2, 28, v1
	v_sub_nc_u32_e32 v1, 29, v1
	v_lshlrev_b64 v[2:3], v2, v[48:49]
	v_and_b32_e32 v48, 7, v2
; %bb.264:                              ;   in Loop: Header=BB237_16 Depth=1
	s_or_b32 exec_lo, exec_lo, s26
	v_mov_b32_e32 v2, 24
	v_lshlrev_b32_e32 v3, 20, v48
	v_lshl_add_u32 v1, v1, 23, 0x3c000000
	v_lshlrev_b32_sdwa v2, v2, v0 dst_sel:DWORD dst_unused:UNUSED_PAD src0_sel:DWORD src1_sel:WORD_1
	v_and_b32_e32 v2, 0x80000000, v2
	v_or3_b32 v48, v3, v2, v1
	buffer_store_dword v48, off, s[0:3], s32 offset:488 ; 4-byte Folded Spill
	buffer_store_dword v49, off, s[0:3], s32 offset:492 ; 4-byte Folded Spill
.LBB237_265:                            ;   in Loop: Header=BB237_16 Depth=1
	s_or_b32 exec_lo, exec_lo, s25
.LBB237_266:                            ;   in Loop: Header=BB237_16 Depth=1
	s_or_b32 exec_lo, exec_lo, s24
.LBB237_267:                            ;   in Loop: Header=BB237_16 Depth=1
	s_or_b32 exec_lo, exec_lo, s23
	s_mov_b32 s23, exec_lo
	v_cmpx_lt_u32_e32 0xffffff, v0
	s_cbranch_execz .LBB237_275
; %bb.268:                              ;   in Loop: Header=BB237_16 Depth=1
	v_mov_b32_e32 v1, 0x80
	v_mov_b32_e32 v34, v49
	buffer_store_dword v34, off, s[0:3], s32 offset:480 ; 4-byte Folded Spill
	buffer_store_dword v35, off, s[0:3], s32 offset:484 ; 4-byte Folded Spill
	v_cmp_ne_u32_sdwa s5, v0, v1 src0_sel:BYTE_3 src1_sel:DWORD
	s_and_saveexec_b32 s24, s5
	s_cbranch_execz .LBB237_274
; %bb.269:                              ;   in Loop: Header=BB237_16 Depth=1
	v_bfe_u32 v2, v0, 24, 7
	v_mov_b32_e32 v62, v49
	s_mov_b32 s25, exec_lo
	buffer_store_dword v62, off, s[0:3], s32 offset:480 ; 4-byte Folded Spill
	buffer_store_dword v63, off, s[0:3], s32 offset:484 ; 4-byte Folded Spill
	v_cmpx_ne_u32_e32 0x7f, v2
	s_cbranch_execz .LBB237_273
; %bb.270:                              ;   in Loop: Header=BB237_16 Depth=1
	v_mov_b32_e32 v1, 7
	s_mov_b32 s26, exec_lo
	v_and_b32_sdwa v48, v0, v1 dst_sel:DWORD dst_unused:UNUSED_PAD src0_sel:BYTE_3 src1_sel:DWORD
	v_lshrrev_b32_e32 v1, 3, v2
	v_cmpx_gt_u32_e32 8, v2
; %bb.271:                              ;   in Loop: Header=BB237_16 Depth=1
	v_ffbh_u32_e32 v1, v48
	v_min_u32_e32 v1, 32, v1
	v_subrev_nc_u32_e32 v2, 28, v1
	v_sub_nc_u32_e32 v1, 29, v1
	v_lshlrev_b64 v[2:3], v2, v[48:49]
	v_and_b32_e32 v48, 7, v2
; %bb.272:                              ;   in Loop: Header=BB237_16 Depth=1
	s_or_b32 exec_lo, exec_lo, s26
	v_mov_b32_e32 v2, 24
	v_lshl_add_u32 v1, v1, 23, 0x3c000000
	v_lshlrev_b32_sdwa v0, v2, v0 dst_sel:DWORD dst_unused:UNUSED_PAD src0_sel:DWORD src1_sel:BYTE_3
	v_lshlrev_b32_e32 v2, 20, v48
	v_and_b32_e32 v0, 0x80000000, v0
	v_or3_b32 v1, v2, v0, v1
	v_mov_b32_e32 v0, v49
	buffer_store_dword v0, off, s[0:3], s32 offset:480 ; 4-byte Folded Spill
	buffer_store_dword v1, off, s[0:3], s32 offset:484 ; 4-byte Folded Spill
.LBB237_273:                            ;   in Loop: Header=BB237_16 Depth=1
	s_or_b32 exec_lo, exec_lo, s25
.LBB237_274:                            ;   in Loop: Header=BB237_16 Depth=1
	s_or_b32 exec_lo, exec_lo, s24
.LBB237_275:                            ;   in Loop: Header=BB237_16 Depth=1
	s_or_b32 exec_lo, exec_lo, s23
	flat_load_dword v0, v[16:17] offset:1024
	v_mov_b32_e32 v1, 0
	v_mov_b32_e32 v2, 0
	buffer_store_dword v1, off, s[0:3], s32 offset:504 ; 4-byte Folded Spill
	buffer_store_dword v2, off, s[0:3], s32 offset:508 ; 4-byte Folded Spill
	v_mov_b32_e32 v1, 0
	v_mov_b32_e32 v2, 0
	buffer_store_dword v1, off, s[0:3], s32 offset:528 ; 4-byte Folded Spill
	buffer_store_dword v2, off, s[0:3], s32 offset:532 ; 4-byte Folded Spill
	s_waitcnt vmcnt(0) lgkmcnt(0)
	v_cmp_ne_u16_sdwa s5, v0, v49 src0_sel:BYTE_0 src1_sel:DWORD
	s_and_saveexec_b32 s23, s5
	s_cbranch_execz .LBB237_283
; %bb.276:                              ;   in Loop: Header=BB237_16 Depth=1
	v_bfrev_b32_e32 v1, 1
	v_mov_b32_e32 v2, 0
	buffer_store_dword v1, off, s[0:3], s32 offset:528 ; 4-byte Folded Spill
	buffer_store_dword v2, off, s[0:3], s32 offset:532 ; 4-byte Folded Spill
	v_mov_b32_e32 v1, 0x80
	v_cmp_ne_u16_sdwa s5, v0, v1 src0_sel:BYTE_0 src1_sel:DWORD
	s_and_saveexec_b32 s24, s5
	s_cbranch_execz .LBB237_282
; %bb.277:                              ;   in Loop: Header=BB237_16 Depth=1
	v_mov_b32_e32 v3, 0x7f800001
	v_and_b32_e32 v2, 0x7f, v0
	v_mov_b32_e32 v4, 0
	s_mov_b32 s25, exec_lo
	buffer_store_dword v3, off, s[0:3], s32 offset:528 ; 4-byte Folded Spill
	buffer_store_dword v4, off, s[0:3], s32 offset:532 ; 4-byte Folded Spill
	v_cmpx_ne_u32_e32 0x7f, v2
	s_cbranch_execz .LBB237_281
; %bb.278:                              ;   in Loop: Header=BB237_16 Depth=1
	v_and_b32_e32 v48, 7, v0
	v_lshrrev_b32_e32 v1, 3, v2
	s_mov_b32 s26, exec_lo
	v_cmpx_gt_u32_e32 8, v2
; %bb.279:                              ;   in Loop: Header=BB237_16 Depth=1
	v_ffbh_u32_e32 v1, v48
	v_min_u32_e32 v1, 32, v1
	v_subrev_nc_u32_e32 v2, 28, v1
	v_sub_nc_u32_e32 v1, 29, v1
	v_lshlrev_b64 v[2:3], v2, v[48:49]
	v_and_b32_e32 v48, 7, v2
; %bb.280:                              ;   in Loop: Header=BB237_16 Depth=1
	s_or_b32 exec_lo, exec_lo, s26
	v_lshlrev_b32_e32 v2, 24, v0
	v_lshlrev_b32_e32 v3, 20, v48
	v_lshl_add_u32 v1, v1, 23, 0x3c000000
	v_and_b32_e32 v2, 0x80000000, v2
	v_or3_b32 v48, v3, v2, v1
	buffer_store_dword v48, off, s[0:3], s32 offset:528 ; 4-byte Folded Spill
	buffer_store_dword v49, off, s[0:3], s32 offset:532 ; 4-byte Folded Spill
.LBB237_281:                            ;   in Loop: Header=BB237_16 Depth=1
	s_or_b32 exec_lo, exec_lo, s25
.LBB237_282:                            ;   in Loop: Header=BB237_16 Depth=1
	s_or_b32 exec_lo, exec_lo, s24
.LBB237_283:                            ;   in Loop: Header=BB237_16 Depth=1
	s_or_b32 exec_lo, exec_lo, s23
	v_cmp_ne_u16_sdwa s5, v0, v49 src0_sel:BYTE_1 src1_sel:DWORD
	s_and_saveexec_b32 s23, s5
	s_cbranch_execz .LBB237_291
; %bb.284:                              ;   in Loop: Header=BB237_16 Depth=1
	v_mov_b32_e32 v1, 0x80
	v_mov_b32_e32 v34, v49
	buffer_store_dword v34, off, s[0:3], s32 offset:504 ; 4-byte Folded Spill
	buffer_store_dword v35, off, s[0:3], s32 offset:508 ; 4-byte Folded Spill
	v_cmp_ne_u16_sdwa s5, v0, v1 src0_sel:BYTE_1 src1_sel:DWORD
	s_and_saveexec_b32 s24, s5
	s_cbranch_execz .LBB237_290
; %bb.285:                              ;   in Loop: Header=BB237_16 Depth=1
	v_mov_b32_e32 v1, 0xffff
	v_mov_b32_e32 v62, v49
	s_mov_b32 s25, exec_lo
	buffer_store_dword v62, off, s[0:3], s32 offset:504 ; 4-byte Folded Spill
	buffer_store_dword v63, off, s[0:3], s32 offset:508 ; 4-byte Folded Spill
	v_and_b32_sdwa v1, v1, v0 dst_sel:DWORD dst_unused:UNUSED_PAD src0_sel:DWORD src1_sel:BYTE_1
	v_and_b32_e32 v2, 0x7f, v1
	v_cmpx_ne_u32_e32 0x7f, v2
	s_cbranch_execz .LBB237_289
; %bb.286:                              ;   in Loop: Header=BB237_16 Depth=1
	v_and_b32_e32 v48, 7, v1
	v_lshrrev_b32_e32 v1, 3, v2
	s_mov_b32 s26, exec_lo
	v_cmpx_gt_u32_e32 8, v2
; %bb.287:                              ;   in Loop: Header=BB237_16 Depth=1
	v_ffbh_u32_e32 v1, v48
	v_min_u32_e32 v1, 32, v1
	v_subrev_nc_u32_e32 v2, 28, v1
	v_sub_nc_u32_e32 v1, 29, v1
	v_lshlrev_b64 v[2:3], v2, v[48:49]
	v_and_b32_e32 v48, 7, v2
; %bb.288:                              ;   in Loop: Header=BB237_16 Depth=1
	s_or_b32 exec_lo, exec_lo, s26
	v_lshlrev_b32_e32 v2, 16, v0
	v_lshlrev_b32_e32 v3, 20, v48
	v_lshl_add_u32 v1, v1, 23, 0x3c000000
	v_and_b32_e32 v2, 0x80000000, v2
	v_or3_b32 v2, v3, v2, v1
	v_mov_b32_e32 v1, v49
	buffer_store_dword v1, off, s[0:3], s32 offset:504 ; 4-byte Folded Spill
	buffer_store_dword v2, off, s[0:3], s32 offset:508 ; 4-byte Folded Spill
.LBB237_289:                            ;   in Loop: Header=BB237_16 Depth=1
	s_or_b32 exec_lo, exec_lo, s25
.LBB237_290:                            ;   in Loop: Header=BB237_16 Depth=1
	s_or_b32 exec_lo, exec_lo, s24
.LBB237_291:                            ;   in Loop: Header=BB237_16 Depth=1
	s_or_b32 exec_lo, exec_lo, s23
	v_mov_b32_e32 v2, 0
	v_mov_b32_e32 v3, 0
	v_and_b32_sdwa v1, v0, v10 dst_sel:DWORD dst_unused:UNUSED_PAD src0_sel:WORD_1 src1_sel:DWORD
	s_mov_b32 s23, exec_lo
	buffer_store_dword v2, off, s[0:3], s32 offset:512 ; 4-byte Folded Spill
	buffer_store_dword v3, off, s[0:3], s32 offset:516 ; 4-byte Folded Spill
	v_mov_b32_e32 v2, 0
	v_mov_b32_e32 v3, 0
	buffer_store_dword v2, off, s[0:3], s32 offset:520 ; 4-byte Folded Spill
	buffer_store_dword v3, off, s[0:3], s32 offset:524 ; 4-byte Folded Spill
	v_cmpx_ne_u16_e32 0, v1
	s_cbranch_execz .LBB237_299
; %bb.292:                              ;   in Loop: Header=BB237_16 Depth=1
	v_cmp_ne_u16_e64 s5, 0x80, v1
	v_bfrev_b32_e32 v1, 1
	v_mov_b32_e32 v2, 0
	buffer_store_dword v1, off, s[0:3], s32 offset:520 ; 4-byte Folded Spill
	buffer_store_dword v2, off, s[0:3], s32 offset:524 ; 4-byte Folded Spill
	s_and_saveexec_b32 s24, s5
	s_cbranch_execz .LBB237_298
; %bb.293:                              ;   in Loop: Header=BB237_16 Depth=1
	v_mov_b32_e32 v3, 0x7f800001
	v_bfe_u32 v2, v0, 16, 7
	v_mov_b32_e32 v4, 0
	s_mov_b32 s25, exec_lo
	buffer_store_dword v3, off, s[0:3], s32 offset:520 ; 4-byte Folded Spill
	buffer_store_dword v4, off, s[0:3], s32 offset:524 ; 4-byte Folded Spill
	v_cmpx_ne_u32_e32 0x7f, v2
	s_cbranch_execz .LBB237_297
; %bb.294:                              ;   in Loop: Header=BB237_16 Depth=1
	v_mov_b32_e32 v1, 7
	s_mov_b32 s26, exec_lo
	v_and_b32_sdwa v48, v0, v1 dst_sel:DWORD dst_unused:UNUSED_PAD src0_sel:WORD_1 src1_sel:DWORD
	v_lshrrev_b32_e32 v1, 3, v2
	v_cmpx_gt_u32_e32 8, v2
; %bb.295:                              ;   in Loop: Header=BB237_16 Depth=1
	v_ffbh_u32_e32 v1, v48
	v_min_u32_e32 v1, 32, v1
	v_subrev_nc_u32_e32 v2, 28, v1
	v_sub_nc_u32_e32 v1, 29, v1
	v_lshlrev_b64 v[2:3], v2, v[48:49]
	v_and_b32_e32 v48, 7, v2
; %bb.296:                              ;   in Loop: Header=BB237_16 Depth=1
	s_or_b32 exec_lo, exec_lo, s26
	v_mov_b32_e32 v2, 24
	v_lshlrev_b32_e32 v3, 20, v48
	v_lshl_add_u32 v1, v1, 23, 0x3c000000
	v_lshlrev_b32_sdwa v2, v2, v0 dst_sel:DWORD dst_unused:UNUSED_PAD src0_sel:DWORD src1_sel:WORD_1
	v_and_b32_e32 v2, 0x80000000, v2
	v_or3_b32 v48, v3, v2, v1
	buffer_store_dword v48, off, s[0:3], s32 offset:520 ; 4-byte Folded Spill
	buffer_store_dword v49, off, s[0:3], s32 offset:524 ; 4-byte Folded Spill
.LBB237_297:                            ;   in Loop: Header=BB237_16 Depth=1
	s_or_b32 exec_lo, exec_lo, s25
.LBB237_298:                            ;   in Loop: Header=BB237_16 Depth=1
	s_or_b32 exec_lo, exec_lo, s24
.LBB237_299:                            ;   in Loop: Header=BB237_16 Depth=1
	s_or_b32 exec_lo, exec_lo, s23
	s_mov_b32 s23, exec_lo
	v_cmpx_lt_u32_e32 0xffffff, v0
	s_cbranch_execz .LBB237_307
; %bb.300:                              ;   in Loop: Header=BB237_16 Depth=1
	v_mov_b32_e32 v1, 0x80
	v_mov_b32_e32 v34, v49
	buffer_store_dword v34, off, s[0:3], s32 offset:512 ; 4-byte Folded Spill
	buffer_store_dword v35, off, s[0:3], s32 offset:516 ; 4-byte Folded Spill
	v_cmp_ne_u32_sdwa s5, v0, v1 src0_sel:BYTE_3 src1_sel:DWORD
	s_and_saveexec_b32 s24, s5
	s_cbranch_execz .LBB237_306
; %bb.301:                              ;   in Loop: Header=BB237_16 Depth=1
	v_bfe_u32 v2, v0, 24, 7
	v_mov_b32_e32 v62, v49
	s_mov_b32 s25, exec_lo
	buffer_store_dword v62, off, s[0:3], s32 offset:512 ; 4-byte Folded Spill
	buffer_store_dword v63, off, s[0:3], s32 offset:516 ; 4-byte Folded Spill
	v_cmpx_ne_u32_e32 0x7f, v2
	s_cbranch_execz .LBB237_305
; %bb.302:                              ;   in Loop: Header=BB237_16 Depth=1
	v_mov_b32_e32 v1, 7
	s_mov_b32 s26, exec_lo
	v_and_b32_sdwa v48, v0, v1 dst_sel:DWORD dst_unused:UNUSED_PAD src0_sel:BYTE_3 src1_sel:DWORD
	v_lshrrev_b32_e32 v1, 3, v2
	v_cmpx_gt_u32_e32 8, v2
; %bb.303:                              ;   in Loop: Header=BB237_16 Depth=1
	v_ffbh_u32_e32 v1, v48
	v_min_u32_e32 v1, 32, v1
	v_subrev_nc_u32_e32 v2, 28, v1
	v_sub_nc_u32_e32 v1, 29, v1
	v_lshlrev_b64 v[2:3], v2, v[48:49]
	v_and_b32_e32 v48, 7, v2
; %bb.304:                              ;   in Loop: Header=BB237_16 Depth=1
	s_or_b32 exec_lo, exec_lo, s26
	v_mov_b32_e32 v2, 24
	v_lshl_add_u32 v1, v1, 23, 0x3c000000
	v_lshlrev_b32_sdwa v0, v2, v0 dst_sel:DWORD dst_unused:UNUSED_PAD src0_sel:DWORD src1_sel:BYTE_3
	v_lshlrev_b32_e32 v2, 20, v48
	v_and_b32_e32 v0, 0x80000000, v0
	v_or3_b32 v1, v2, v0, v1
	v_mov_b32_e32 v0, v49
	buffer_store_dword v0, off, s[0:3], s32 offset:512 ; 4-byte Folded Spill
	buffer_store_dword v1, off, s[0:3], s32 offset:516 ; 4-byte Folded Spill
.LBB237_305:                            ;   in Loop: Header=BB237_16 Depth=1
	s_or_b32 exec_lo, exec_lo, s25
.LBB237_306:                            ;   in Loop: Header=BB237_16 Depth=1
	s_or_b32 exec_lo, exec_lo, s24
.LBB237_307:                            ;   in Loop: Header=BB237_16 Depth=1
	s_or_b32 exec_lo, exec_lo, s23
	flat_load_dword v0, v[16:17] offset:1028
	v_mov_b32_e32 v1, 0
	v_mov_b32_e32 v2, 0
	buffer_store_dword v1, off, s[0:3], s32 offset:536 ; 4-byte Folded Spill
	buffer_store_dword v2, off, s[0:3], s32 offset:540 ; 4-byte Folded Spill
	v_mov_b32_e32 v1, 0
	v_mov_b32_e32 v2, 0
	buffer_store_dword v1, off, s[0:3], s32 offset:560 ; 4-byte Folded Spill
	buffer_store_dword v2, off, s[0:3], s32 offset:564 ; 4-byte Folded Spill
	s_waitcnt vmcnt(0) lgkmcnt(0)
	v_cmp_ne_u16_sdwa s5, v0, v49 src0_sel:BYTE_0 src1_sel:DWORD
	s_and_saveexec_b32 s23, s5
	s_cbranch_execz .LBB237_315
; %bb.308:                              ;   in Loop: Header=BB237_16 Depth=1
	v_bfrev_b32_e32 v1, 1
	v_mov_b32_e32 v2, 0
	buffer_store_dword v1, off, s[0:3], s32 offset:560 ; 4-byte Folded Spill
	buffer_store_dword v2, off, s[0:3], s32 offset:564 ; 4-byte Folded Spill
	v_mov_b32_e32 v1, 0x80
	v_cmp_ne_u16_sdwa s5, v0, v1 src0_sel:BYTE_0 src1_sel:DWORD
	s_and_saveexec_b32 s24, s5
	s_cbranch_execz .LBB237_314
; %bb.309:                              ;   in Loop: Header=BB237_16 Depth=1
	v_mov_b32_e32 v3, 0x7f800001
	v_and_b32_e32 v2, 0x7f, v0
	v_mov_b32_e32 v4, 0
	s_mov_b32 s25, exec_lo
	buffer_store_dword v3, off, s[0:3], s32 offset:560 ; 4-byte Folded Spill
	buffer_store_dword v4, off, s[0:3], s32 offset:564 ; 4-byte Folded Spill
	v_cmpx_ne_u32_e32 0x7f, v2
	s_cbranch_execz .LBB237_313
; %bb.310:                              ;   in Loop: Header=BB237_16 Depth=1
	v_and_b32_e32 v48, 7, v0
	v_lshrrev_b32_e32 v1, 3, v2
	s_mov_b32 s26, exec_lo
	v_cmpx_gt_u32_e32 8, v2
; %bb.311:                              ;   in Loop: Header=BB237_16 Depth=1
	v_ffbh_u32_e32 v1, v48
	v_min_u32_e32 v1, 32, v1
	v_subrev_nc_u32_e32 v2, 28, v1
	v_sub_nc_u32_e32 v1, 29, v1
	v_lshlrev_b64 v[2:3], v2, v[48:49]
	v_and_b32_e32 v48, 7, v2
; %bb.312:                              ;   in Loop: Header=BB237_16 Depth=1
	s_or_b32 exec_lo, exec_lo, s26
	v_lshlrev_b32_e32 v2, 24, v0
	v_lshlrev_b32_e32 v3, 20, v48
	v_lshl_add_u32 v1, v1, 23, 0x3c000000
	v_and_b32_e32 v2, 0x80000000, v2
	v_or3_b32 v48, v3, v2, v1
	buffer_store_dword v48, off, s[0:3], s32 offset:560 ; 4-byte Folded Spill
	buffer_store_dword v49, off, s[0:3], s32 offset:564 ; 4-byte Folded Spill
.LBB237_313:                            ;   in Loop: Header=BB237_16 Depth=1
	s_or_b32 exec_lo, exec_lo, s25
.LBB237_314:                            ;   in Loop: Header=BB237_16 Depth=1
	s_or_b32 exec_lo, exec_lo, s24
.LBB237_315:                            ;   in Loop: Header=BB237_16 Depth=1
	s_or_b32 exec_lo, exec_lo, s23
	v_cmp_ne_u16_sdwa s5, v0, v49 src0_sel:BYTE_1 src1_sel:DWORD
	s_and_saveexec_b32 s23, s5
	s_cbranch_execz .LBB237_323
; %bb.316:                              ;   in Loop: Header=BB237_16 Depth=1
	v_mov_b32_e32 v1, 0x80
	v_mov_b32_e32 v34, v49
	buffer_store_dword v34, off, s[0:3], s32 offset:536 ; 4-byte Folded Spill
	buffer_store_dword v35, off, s[0:3], s32 offset:540 ; 4-byte Folded Spill
	v_cmp_ne_u16_sdwa s5, v0, v1 src0_sel:BYTE_1 src1_sel:DWORD
	s_and_saveexec_b32 s24, s5
	s_cbranch_execz .LBB237_322
; %bb.317:                              ;   in Loop: Header=BB237_16 Depth=1
	v_mov_b32_e32 v1, 0xffff
	v_mov_b32_e32 v62, v49
	s_mov_b32 s25, exec_lo
	buffer_store_dword v62, off, s[0:3], s32 offset:536 ; 4-byte Folded Spill
	buffer_store_dword v63, off, s[0:3], s32 offset:540 ; 4-byte Folded Spill
	v_and_b32_sdwa v1, v1, v0 dst_sel:DWORD dst_unused:UNUSED_PAD src0_sel:DWORD src1_sel:BYTE_1
	v_and_b32_e32 v2, 0x7f, v1
	v_cmpx_ne_u32_e32 0x7f, v2
	s_cbranch_execz .LBB237_321
; %bb.318:                              ;   in Loop: Header=BB237_16 Depth=1
	v_and_b32_e32 v48, 7, v1
	v_lshrrev_b32_e32 v1, 3, v2
	s_mov_b32 s26, exec_lo
	v_cmpx_gt_u32_e32 8, v2
; %bb.319:                              ;   in Loop: Header=BB237_16 Depth=1
	v_ffbh_u32_e32 v1, v48
	v_min_u32_e32 v1, 32, v1
	v_subrev_nc_u32_e32 v2, 28, v1
	v_sub_nc_u32_e32 v1, 29, v1
	v_lshlrev_b64 v[2:3], v2, v[48:49]
	v_and_b32_e32 v48, 7, v2
; %bb.320:                              ;   in Loop: Header=BB237_16 Depth=1
	s_or_b32 exec_lo, exec_lo, s26
	v_lshlrev_b32_e32 v2, 16, v0
	v_lshlrev_b32_e32 v3, 20, v48
	v_lshl_add_u32 v1, v1, 23, 0x3c000000
	v_and_b32_e32 v2, 0x80000000, v2
	v_or3_b32 v2, v3, v2, v1
	v_mov_b32_e32 v1, v49
	buffer_store_dword v1, off, s[0:3], s32 offset:536 ; 4-byte Folded Spill
	buffer_store_dword v2, off, s[0:3], s32 offset:540 ; 4-byte Folded Spill
.LBB237_321:                            ;   in Loop: Header=BB237_16 Depth=1
	s_or_b32 exec_lo, exec_lo, s25
.LBB237_322:                            ;   in Loop: Header=BB237_16 Depth=1
	s_or_b32 exec_lo, exec_lo, s24
.LBB237_323:                            ;   in Loop: Header=BB237_16 Depth=1
	s_or_b32 exec_lo, exec_lo, s23
	v_mov_b32_e32 v2, 0
	v_mov_b32_e32 v3, 0
	v_and_b32_sdwa v1, v0, v10 dst_sel:DWORD dst_unused:UNUSED_PAD src0_sel:WORD_1 src1_sel:DWORD
	s_mov_b32 s23, exec_lo
	buffer_store_dword v2, off, s[0:3], s32 offset:544 ; 4-byte Folded Spill
	buffer_store_dword v3, off, s[0:3], s32 offset:548 ; 4-byte Folded Spill
	v_mov_b32_e32 v2, 0
	v_mov_b32_e32 v3, 0
	buffer_store_dword v2, off, s[0:3], s32 offset:552 ; 4-byte Folded Spill
	buffer_store_dword v3, off, s[0:3], s32 offset:556 ; 4-byte Folded Spill
	v_cmpx_ne_u16_e32 0, v1
	s_cbranch_execz .LBB237_331
; %bb.324:                              ;   in Loop: Header=BB237_16 Depth=1
	v_cmp_ne_u16_e64 s5, 0x80, v1
	v_bfrev_b32_e32 v1, 1
	v_mov_b32_e32 v2, 0
	buffer_store_dword v1, off, s[0:3], s32 offset:552 ; 4-byte Folded Spill
	buffer_store_dword v2, off, s[0:3], s32 offset:556 ; 4-byte Folded Spill
	s_and_saveexec_b32 s24, s5
	s_cbranch_execz .LBB237_330
; %bb.325:                              ;   in Loop: Header=BB237_16 Depth=1
	v_mov_b32_e32 v3, 0x7f800001
	v_bfe_u32 v2, v0, 16, 7
	v_mov_b32_e32 v4, 0
	s_mov_b32 s25, exec_lo
	buffer_store_dword v3, off, s[0:3], s32 offset:552 ; 4-byte Folded Spill
	buffer_store_dword v4, off, s[0:3], s32 offset:556 ; 4-byte Folded Spill
	v_cmpx_ne_u32_e32 0x7f, v2
	s_cbranch_execz .LBB237_329
; %bb.326:                              ;   in Loop: Header=BB237_16 Depth=1
	v_mov_b32_e32 v1, 7
	s_mov_b32 s26, exec_lo
	v_and_b32_sdwa v48, v0, v1 dst_sel:DWORD dst_unused:UNUSED_PAD src0_sel:WORD_1 src1_sel:DWORD
	v_lshrrev_b32_e32 v1, 3, v2
	v_cmpx_gt_u32_e32 8, v2
; %bb.327:                              ;   in Loop: Header=BB237_16 Depth=1
	v_ffbh_u32_e32 v1, v48
	v_min_u32_e32 v1, 32, v1
	v_subrev_nc_u32_e32 v2, 28, v1
	v_sub_nc_u32_e32 v1, 29, v1
	v_lshlrev_b64 v[2:3], v2, v[48:49]
	v_and_b32_e32 v48, 7, v2
; %bb.328:                              ;   in Loop: Header=BB237_16 Depth=1
	s_or_b32 exec_lo, exec_lo, s26
	v_mov_b32_e32 v2, 24
	v_lshlrev_b32_e32 v3, 20, v48
	v_lshl_add_u32 v1, v1, 23, 0x3c000000
	v_lshlrev_b32_sdwa v2, v2, v0 dst_sel:DWORD dst_unused:UNUSED_PAD src0_sel:DWORD src1_sel:WORD_1
	v_and_b32_e32 v2, 0x80000000, v2
	v_or3_b32 v48, v3, v2, v1
	buffer_store_dword v48, off, s[0:3], s32 offset:552 ; 4-byte Folded Spill
	buffer_store_dword v49, off, s[0:3], s32 offset:556 ; 4-byte Folded Spill
.LBB237_329:                            ;   in Loop: Header=BB237_16 Depth=1
	s_or_b32 exec_lo, exec_lo, s25
.LBB237_330:                            ;   in Loop: Header=BB237_16 Depth=1
	s_or_b32 exec_lo, exec_lo, s24
.LBB237_331:                            ;   in Loop: Header=BB237_16 Depth=1
	s_or_b32 exec_lo, exec_lo, s23
	s_mov_b32 s23, exec_lo
	v_cmpx_lt_u32_e32 0xffffff, v0
	s_cbranch_execz .LBB237_339
; %bb.332:                              ;   in Loop: Header=BB237_16 Depth=1
	v_mov_b32_e32 v1, 0x80
	v_mov_b32_e32 v34, v49
	buffer_store_dword v34, off, s[0:3], s32 offset:544 ; 4-byte Folded Spill
	buffer_store_dword v35, off, s[0:3], s32 offset:548 ; 4-byte Folded Spill
	v_cmp_ne_u32_sdwa s5, v0, v1 src0_sel:BYTE_3 src1_sel:DWORD
	s_and_saveexec_b32 s24, s5
	s_cbranch_execz .LBB237_338
; %bb.333:                              ;   in Loop: Header=BB237_16 Depth=1
	v_bfe_u32 v2, v0, 24, 7
	v_mov_b32_e32 v62, v49
	s_mov_b32 s25, exec_lo
	buffer_store_dword v62, off, s[0:3], s32 offset:544 ; 4-byte Folded Spill
	buffer_store_dword v63, off, s[0:3], s32 offset:548 ; 4-byte Folded Spill
	v_cmpx_ne_u32_e32 0x7f, v2
	s_cbranch_execz .LBB237_337
; %bb.334:                              ;   in Loop: Header=BB237_16 Depth=1
	v_mov_b32_e32 v1, 7
	s_mov_b32 s26, exec_lo
	v_and_b32_sdwa v48, v0, v1 dst_sel:DWORD dst_unused:UNUSED_PAD src0_sel:BYTE_3 src1_sel:DWORD
	v_lshrrev_b32_e32 v1, 3, v2
	v_cmpx_gt_u32_e32 8, v2
; %bb.335:                              ;   in Loop: Header=BB237_16 Depth=1
	v_ffbh_u32_e32 v1, v48
	v_min_u32_e32 v1, 32, v1
	v_subrev_nc_u32_e32 v2, 28, v1
	v_sub_nc_u32_e32 v1, 29, v1
	v_lshlrev_b64 v[2:3], v2, v[48:49]
	v_and_b32_e32 v48, 7, v2
; %bb.336:                              ;   in Loop: Header=BB237_16 Depth=1
	s_or_b32 exec_lo, exec_lo, s26
	v_mov_b32_e32 v2, 24
	v_lshl_add_u32 v1, v1, 23, 0x3c000000
	v_lshlrev_b32_sdwa v0, v2, v0 dst_sel:DWORD dst_unused:UNUSED_PAD src0_sel:DWORD src1_sel:BYTE_3
	v_lshlrev_b32_e32 v2, 20, v48
	v_and_b32_e32 v0, 0x80000000, v0
	v_or3_b32 v1, v2, v0, v1
	v_mov_b32_e32 v0, v49
	buffer_store_dword v0, off, s[0:3], s32 offset:544 ; 4-byte Folded Spill
	buffer_store_dword v1, off, s[0:3], s32 offset:548 ; 4-byte Folded Spill
.LBB237_337:                            ;   in Loop: Header=BB237_16 Depth=1
	s_or_b32 exec_lo, exec_lo, s25
.LBB237_338:                            ;   in Loop: Header=BB237_16 Depth=1
	s_or_b32 exec_lo, exec_lo, s24
.LBB237_339:                            ;   in Loop: Header=BB237_16 Depth=1
	s_or_b32 exec_lo, exec_lo, s23
	flat_load_dword v0, v[16:17] offset:1032
	v_mov_b32_e32 v1, 0
	v_mov_b32_e32 v2, 0
	buffer_store_dword v1, off, s[0:3], s32 offset:568 ; 4-byte Folded Spill
	buffer_store_dword v2, off, s[0:3], s32 offset:572 ; 4-byte Folded Spill
	v_mov_b32_e32 v1, 0
	v_mov_b32_e32 v2, 0
	buffer_store_dword v1, off, s[0:3], s32 offset:592 ; 4-byte Folded Spill
	buffer_store_dword v2, off, s[0:3], s32 offset:596 ; 4-byte Folded Spill
	s_waitcnt vmcnt(0) lgkmcnt(0)
	v_cmp_ne_u16_sdwa s5, v0, v49 src0_sel:BYTE_0 src1_sel:DWORD
	s_and_saveexec_b32 s23, s5
	s_cbranch_execz .LBB237_347
; %bb.340:                              ;   in Loop: Header=BB237_16 Depth=1
	v_bfrev_b32_e32 v1, 1
	v_mov_b32_e32 v2, 0
	buffer_store_dword v1, off, s[0:3], s32 offset:592 ; 4-byte Folded Spill
	buffer_store_dword v2, off, s[0:3], s32 offset:596 ; 4-byte Folded Spill
	v_mov_b32_e32 v1, 0x80
	v_cmp_ne_u16_sdwa s5, v0, v1 src0_sel:BYTE_0 src1_sel:DWORD
	s_and_saveexec_b32 s24, s5
	s_cbranch_execz .LBB237_346
; %bb.341:                              ;   in Loop: Header=BB237_16 Depth=1
	v_mov_b32_e32 v3, 0x7f800001
	v_and_b32_e32 v2, 0x7f, v0
	v_mov_b32_e32 v4, 0
	s_mov_b32 s25, exec_lo
	buffer_store_dword v3, off, s[0:3], s32 offset:592 ; 4-byte Folded Spill
	buffer_store_dword v4, off, s[0:3], s32 offset:596 ; 4-byte Folded Spill
	v_cmpx_ne_u32_e32 0x7f, v2
	s_cbranch_execz .LBB237_345
; %bb.342:                              ;   in Loop: Header=BB237_16 Depth=1
	v_and_b32_e32 v48, 7, v0
	v_lshrrev_b32_e32 v1, 3, v2
	s_mov_b32 s26, exec_lo
	v_cmpx_gt_u32_e32 8, v2
; %bb.343:                              ;   in Loop: Header=BB237_16 Depth=1
	v_ffbh_u32_e32 v1, v48
	v_min_u32_e32 v1, 32, v1
	v_subrev_nc_u32_e32 v2, 28, v1
	v_sub_nc_u32_e32 v1, 29, v1
	v_lshlrev_b64 v[2:3], v2, v[48:49]
	v_and_b32_e32 v48, 7, v2
; %bb.344:                              ;   in Loop: Header=BB237_16 Depth=1
	s_or_b32 exec_lo, exec_lo, s26
	v_lshlrev_b32_e32 v2, 24, v0
	v_lshlrev_b32_e32 v3, 20, v48
	v_lshl_add_u32 v1, v1, 23, 0x3c000000
	v_and_b32_e32 v2, 0x80000000, v2
	v_or3_b32 v48, v3, v2, v1
	buffer_store_dword v48, off, s[0:3], s32 offset:592 ; 4-byte Folded Spill
	buffer_store_dword v49, off, s[0:3], s32 offset:596 ; 4-byte Folded Spill
.LBB237_345:                            ;   in Loop: Header=BB237_16 Depth=1
	s_or_b32 exec_lo, exec_lo, s25
.LBB237_346:                            ;   in Loop: Header=BB237_16 Depth=1
	s_or_b32 exec_lo, exec_lo, s24
.LBB237_347:                            ;   in Loop: Header=BB237_16 Depth=1
	s_or_b32 exec_lo, exec_lo, s23
	v_cmp_ne_u16_sdwa s5, v0, v49 src0_sel:BYTE_1 src1_sel:DWORD
	s_and_saveexec_b32 s23, s5
	s_cbranch_execz .LBB237_355
; %bb.348:                              ;   in Loop: Header=BB237_16 Depth=1
	v_mov_b32_e32 v1, 0x80
	v_mov_b32_e32 v34, v49
	buffer_store_dword v34, off, s[0:3], s32 offset:568 ; 4-byte Folded Spill
	buffer_store_dword v35, off, s[0:3], s32 offset:572 ; 4-byte Folded Spill
	v_cmp_ne_u16_sdwa s5, v0, v1 src0_sel:BYTE_1 src1_sel:DWORD
	s_and_saveexec_b32 s24, s5
	s_cbranch_execz .LBB237_354
; %bb.349:                              ;   in Loop: Header=BB237_16 Depth=1
	v_mov_b32_e32 v1, 0xffff
	v_mov_b32_e32 v62, v49
	s_mov_b32 s25, exec_lo
	buffer_store_dword v62, off, s[0:3], s32 offset:568 ; 4-byte Folded Spill
	buffer_store_dword v63, off, s[0:3], s32 offset:572 ; 4-byte Folded Spill
	v_and_b32_sdwa v1, v1, v0 dst_sel:DWORD dst_unused:UNUSED_PAD src0_sel:DWORD src1_sel:BYTE_1
	v_and_b32_e32 v2, 0x7f, v1
	v_cmpx_ne_u32_e32 0x7f, v2
	s_cbranch_execz .LBB237_353
; %bb.350:                              ;   in Loop: Header=BB237_16 Depth=1
	v_and_b32_e32 v48, 7, v1
	v_lshrrev_b32_e32 v1, 3, v2
	s_mov_b32 s26, exec_lo
	v_cmpx_gt_u32_e32 8, v2
; %bb.351:                              ;   in Loop: Header=BB237_16 Depth=1
	v_ffbh_u32_e32 v1, v48
	v_min_u32_e32 v1, 32, v1
	v_subrev_nc_u32_e32 v2, 28, v1
	v_sub_nc_u32_e32 v1, 29, v1
	v_lshlrev_b64 v[2:3], v2, v[48:49]
	v_and_b32_e32 v48, 7, v2
; %bb.352:                              ;   in Loop: Header=BB237_16 Depth=1
	s_or_b32 exec_lo, exec_lo, s26
	v_lshlrev_b32_e32 v2, 16, v0
	v_lshlrev_b32_e32 v3, 20, v48
	v_lshl_add_u32 v1, v1, 23, 0x3c000000
	v_and_b32_e32 v2, 0x80000000, v2
	v_or3_b32 v2, v3, v2, v1
	v_mov_b32_e32 v1, v49
	buffer_store_dword v1, off, s[0:3], s32 offset:568 ; 4-byte Folded Spill
	buffer_store_dword v2, off, s[0:3], s32 offset:572 ; 4-byte Folded Spill
.LBB237_353:                            ;   in Loop: Header=BB237_16 Depth=1
	s_or_b32 exec_lo, exec_lo, s25
.LBB237_354:                            ;   in Loop: Header=BB237_16 Depth=1
	s_or_b32 exec_lo, exec_lo, s24
.LBB237_355:                            ;   in Loop: Header=BB237_16 Depth=1
	s_or_b32 exec_lo, exec_lo, s23
	v_mov_b32_e32 v2, 0
	v_mov_b32_e32 v3, 0
	v_and_b32_sdwa v1, v0, v10 dst_sel:DWORD dst_unused:UNUSED_PAD src0_sel:WORD_1 src1_sel:DWORD
	s_mov_b32 s23, exec_lo
	buffer_store_dword v2, off, s[0:3], s32 offset:576 ; 4-byte Folded Spill
	buffer_store_dword v3, off, s[0:3], s32 offset:580 ; 4-byte Folded Spill
	v_mov_b32_e32 v2, 0
	v_mov_b32_e32 v3, 0
	buffer_store_dword v2, off, s[0:3], s32 offset:584 ; 4-byte Folded Spill
	buffer_store_dword v3, off, s[0:3], s32 offset:588 ; 4-byte Folded Spill
	v_cmpx_ne_u16_e32 0, v1
	s_cbranch_execz .LBB237_363
; %bb.356:                              ;   in Loop: Header=BB237_16 Depth=1
	v_cmp_ne_u16_e64 s5, 0x80, v1
	v_bfrev_b32_e32 v1, 1
	v_mov_b32_e32 v2, 0
	buffer_store_dword v1, off, s[0:3], s32 offset:584 ; 4-byte Folded Spill
	buffer_store_dword v2, off, s[0:3], s32 offset:588 ; 4-byte Folded Spill
	s_and_saveexec_b32 s24, s5
	s_cbranch_execz .LBB237_362
; %bb.357:                              ;   in Loop: Header=BB237_16 Depth=1
	v_mov_b32_e32 v3, 0x7f800001
	v_bfe_u32 v2, v0, 16, 7
	v_mov_b32_e32 v4, 0
	s_mov_b32 s25, exec_lo
	buffer_store_dword v3, off, s[0:3], s32 offset:584 ; 4-byte Folded Spill
	buffer_store_dword v4, off, s[0:3], s32 offset:588 ; 4-byte Folded Spill
	v_cmpx_ne_u32_e32 0x7f, v2
	s_cbranch_execz .LBB237_361
; %bb.358:                              ;   in Loop: Header=BB237_16 Depth=1
	v_mov_b32_e32 v1, 7
	s_mov_b32 s26, exec_lo
	v_and_b32_sdwa v48, v0, v1 dst_sel:DWORD dst_unused:UNUSED_PAD src0_sel:WORD_1 src1_sel:DWORD
	v_lshrrev_b32_e32 v1, 3, v2
	v_cmpx_gt_u32_e32 8, v2
; %bb.359:                              ;   in Loop: Header=BB237_16 Depth=1
	v_ffbh_u32_e32 v1, v48
	v_min_u32_e32 v1, 32, v1
	v_subrev_nc_u32_e32 v2, 28, v1
	v_sub_nc_u32_e32 v1, 29, v1
	v_lshlrev_b64 v[2:3], v2, v[48:49]
	v_and_b32_e32 v48, 7, v2
; %bb.360:                              ;   in Loop: Header=BB237_16 Depth=1
	s_or_b32 exec_lo, exec_lo, s26
	v_mov_b32_e32 v2, 24
	v_lshlrev_b32_e32 v3, 20, v48
	v_lshl_add_u32 v1, v1, 23, 0x3c000000
	v_lshlrev_b32_sdwa v2, v2, v0 dst_sel:DWORD dst_unused:UNUSED_PAD src0_sel:DWORD src1_sel:WORD_1
	v_and_b32_e32 v2, 0x80000000, v2
	v_or3_b32 v48, v3, v2, v1
	buffer_store_dword v48, off, s[0:3], s32 offset:584 ; 4-byte Folded Spill
	buffer_store_dword v49, off, s[0:3], s32 offset:588 ; 4-byte Folded Spill
.LBB237_361:                            ;   in Loop: Header=BB237_16 Depth=1
	s_or_b32 exec_lo, exec_lo, s25
.LBB237_362:                            ;   in Loop: Header=BB237_16 Depth=1
	s_or_b32 exec_lo, exec_lo, s24
.LBB237_363:                            ;   in Loop: Header=BB237_16 Depth=1
	s_or_b32 exec_lo, exec_lo, s23
	s_mov_b32 s23, exec_lo
	v_cmpx_lt_u32_e32 0xffffff, v0
	s_cbranch_execz .LBB237_371
; %bb.364:                              ;   in Loop: Header=BB237_16 Depth=1
	v_mov_b32_e32 v1, 0x80
	v_mov_b32_e32 v34, v49
	buffer_store_dword v34, off, s[0:3], s32 offset:576 ; 4-byte Folded Spill
	buffer_store_dword v35, off, s[0:3], s32 offset:580 ; 4-byte Folded Spill
	v_cmp_ne_u32_sdwa s5, v0, v1 src0_sel:BYTE_3 src1_sel:DWORD
	s_and_saveexec_b32 s24, s5
	s_cbranch_execz .LBB237_370
; %bb.365:                              ;   in Loop: Header=BB237_16 Depth=1
	v_bfe_u32 v2, v0, 24, 7
	v_mov_b32_e32 v62, v49
	s_mov_b32 s25, exec_lo
	buffer_store_dword v62, off, s[0:3], s32 offset:576 ; 4-byte Folded Spill
	buffer_store_dword v63, off, s[0:3], s32 offset:580 ; 4-byte Folded Spill
	v_cmpx_ne_u32_e32 0x7f, v2
	s_cbranch_execz .LBB237_369
; %bb.366:                              ;   in Loop: Header=BB237_16 Depth=1
	v_mov_b32_e32 v1, 7
	s_mov_b32 s26, exec_lo
	v_and_b32_sdwa v48, v0, v1 dst_sel:DWORD dst_unused:UNUSED_PAD src0_sel:BYTE_3 src1_sel:DWORD
	v_lshrrev_b32_e32 v1, 3, v2
	v_cmpx_gt_u32_e32 8, v2
; %bb.367:                              ;   in Loop: Header=BB237_16 Depth=1
	v_ffbh_u32_e32 v1, v48
	v_min_u32_e32 v1, 32, v1
	v_subrev_nc_u32_e32 v2, 28, v1
	v_sub_nc_u32_e32 v1, 29, v1
	v_lshlrev_b64 v[2:3], v2, v[48:49]
	v_and_b32_e32 v48, 7, v2
; %bb.368:                              ;   in Loop: Header=BB237_16 Depth=1
	s_or_b32 exec_lo, exec_lo, s26
	v_mov_b32_e32 v2, 24
	v_lshl_add_u32 v1, v1, 23, 0x3c000000
	v_lshlrev_b32_sdwa v0, v2, v0 dst_sel:DWORD dst_unused:UNUSED_PAD src0_sel:DWORD src1_sel:BYTE_3
	v_lshlrev_b32_e32 v2, 20, v48
	v_and_b32_e32 v0, 0x80000000, v0
	v_or3_b32 v1, v2, v0, v1
	v_mov_b32_e32 v0, v49
	buffer_store_dword v0, off, s[0:3], s32 offset:576 ; 4-byte Folded Spill
	buffer_store_dword v1, off, s[0:3], s32 offset:580 ; 4-byte Folded Spill
.LBB237_369:                            ;   in Loop: Header=BB237_16 Depth=1
	s_or_b32 exec_lo, exec_lo, s25
.LBB237_370:                            ;   in Loop: Header=BB237_16 Depth=1
	s_or_b32 exec_lo, exec_lo, s24
.LBB237_371:                            ;   in Loop: Header=BB237_16 Depth=1
	s_or_b32 exec_lo, exec_lo, s23
	flat_load_dword v0, v[16:17] offset:1036
	v_mov_b32_e32 v1, 0
	v_mov_b32_e32 v2, 0
	buffer_store_dword v1, off, s[0:3], s32 offset:600 ; 4-byte Folded Spill
	buffer_store_dword v2, off, s[0:3], s32 offset:604 ; 4-byte Folded Spill
	v_mov_b32_e32 v1, 0
	v_mov_b32_e32 v2, 0
	buffer_store_dword v1, off, s[0:3], s32 offset:624 ; 4-byte Folded Spill
	buffer_store_dword v2, off, s[0:3], s32 offset:628 ; 4-byte Folded Spill
	s_waitcnt vmcnt(0) lgkmcnt(0)
	v_cmp_ne_u16_sdwa s5, v0, v49 src0_sel:BYTE_0 src1_sel:DWORD
	s_and_saveexec_b32 s23, s5
	s_cbranch_execz .LBB237_379
; %bb.372:                              ;   in Loop: Header=BB237_16 Depth=1
	v_bfrev_b32_e32 v1, 1
	v_mov_b32_e32 v2, 0
	buffer_store_dword v1, off, s[0:3], s32 offset:624 ; 4-byte Folded Spill
	buffer_store_dword v2, off, s[0:3], s32 offset:628 ; 4-byte Folded Spill
	v_mov_b32_e32 v1, 0x80
	v_cmp_ne_u16_sdwa s5, v0, v1 src0_sel:BYTE_0 src1_sel:DWORD
	s_and_saveexec_b32 s24, s5
	s_cbranch_execz .LBB237_378
; %bb.373:                              ;   in Loop: Header=BB237_16 Depth=1
	v_mov_b32_e32 v3, 0x7f800001
	v_and_b32_e32 v2, 0x7f, v0
	v_mov_b32_e32 v4, 0
	s_mov_b32 s25, exec_lo
	buffer_store_dword v3, off, s[0:3], s32 offset:624 ; 4-byte Folded Spill
	buffer_store_dword v4, off, s[0:3], s32 offset:628 ; 4-byte Folded Spill
	v_cmpx_ne_u32_e32 0x7f, v2
	s_cbranch_execz .LBB237_377
; %bb.374:                              ;   in Loop: Header=BB237_16 Depth=1
	v_and_b32_e32 v48, 7, v0
	v_lshrrev_b32_e32 v1, 3, v2
	s_mov_b32 s26, exec_lo
	v_cmpx_gt_u32_e32 8, v2
; %bb.375:                              ;   in Loop: Header=BB237_16 Depth=1
	v_ffbh_u32_e32 v1, v48
	v_min_u32_e32 v1, 32, v1
	v_subrev_nc_u32_e32 v2, 28, v1
	v_sub_nc_u32_e32 v1, 29, v1
	v_lshlrev_b64 v[2:3], v2, v[48:49]
	v_and_b32_e32 v48, 7, v2
; %bb.376:                              ;   in Loop: Header=BB237_16 Depth=1
	s_or_b32 exec_lo, exec_lo, s26
	v_lshlrev_b32_e32 v2, 24, v0
	v_lshlrev_b32_e32 v3, 20, v48
	v_lshl_add_u32 v1, v1, 23, 0x3c000000
	v_and_b32_e32 v2, 0x80000000, v2
	v_or3_b32 v48, v3, v2, v1
	buffer_store_dword v48, off, s[0:3], s32 offset:624 ; 4-byte Folded Spill
	buffer_store_dword v49, off, s[0:3], s32 offset:628 ; 4-byte Folded Spill
.LBB237_377:                            ;   in Loop: Header=BB237_16 Depth=1
	s_or_b32 exec_lo, exec_lo, s25
.LBB237_378:                            ;   in Loop: Header=BB237_16 Depth=1
	s_or_b32 exec_lo, exec_lo, s24
.LBB237_379:                            ;   in Loop: Header=BB237_16 Depth=1
	s_or_b32 exec_lo, exec_lo, s23
	v_cmp_ne_u16_sdwa s5, v0, v49 src0_sel:BYTE_1 src1_sel:DWORD
	s_and_saveexec_b32 s23, s5
	s_cbranch_execz .LBB237_387
; %bb.380:                              ;   in Loop: Header=BB237_16 Depth=1
	v_mov_b32_e32 v1, 0x80
	v_mov_b32_e32 v34, v49
	buffer_store_dword v34, off, s[0:3], s32 offset:600 ; 4-byte Folded Spill
	buffer_store_dword v35, off, s[0:3], s32 offset:604 ; 4-byte Folded Spill
	v_cmp_ne_u16_sdwa s5, v0, v1 src0_sel:BYTE_1 src1_sel:DWORD
	s_and_saveexec_b32 s24, s5
	s_cbranch_execz .LBB237_386
; %bb.381:                              ;   in Loop: Header=BB237_16 Depth=1
	v_mov_b32_e32 v1, 0xffff
	v_mov_b32_e32 v62, v49
	s_mov_b32 s25, exec_lo
	buffer_store_dword v62, off, s[0:3], s32 offset:600 ; 4-byte Folded Spill
	buffer_store_dword v63, off, s[0:3], s32 offset:604 ; 4-byte Folded Spill
	v_and_b32_sdwa v1, v1, v0 dst_sel:DWORD dst_unused:UNUSED_PAD src0_sel:DWORD src1_sel:BYTE_1
	v_and_b32_e32 v2, 0x7f, v1
	v_cmpx_ne_u32_e32 0x7f, v2
	s_cbranch_execz .LBB237_385
; %bb.382:                              ;   in Loop: Header=BB237_16 Depth=1
	v_and_b32_e32 v48, 7, v1
	v_lshrrev_b32_e32 v1, 3, v2
	s_mov_b32 s26, exec_lo
	v_cmpx_gt_u32_e32 8, v2
; %bb.383:                              ;   in Loop: Header=BB237_16 Depth=1
	v_ffbh_u32_e32 v1, v48
	v_min_u32_e32 v1, 32, v1
	v_subrev_nc_u32_e32 v2, 28, v1
	v_sub_nc_u32_e32 v1, 29, v1
	v_lshlrev_b64 v[2:3], v2, v[48:49]
	v_and_b32_e32 v48, 7, v2
; %bb.384:                              ;   in Loop: Header=BB237_16 Depth=1
	s_or_b32 exec_lo, exec_lo, s26
	v_lshlrev_b32_e32 v2, 16, v0
	v_lshlrev_b32_e32 v3, 20, v48
	v_lshl_add_u32 v1, v1, 23, 0x3c000000
	v_and_b32_e32 v2, 0x80000000, v2
	v_or3_b32 v2, v3, v2, v1
	v_mov_b32_e32 v1, v49
	buffer_store_dword v1, off, s[0:3], s32 offset:600 ; 4-byte Folded Spill
	buffer_store_dword v2, off, s[0:3], s32 offset:604 ; 4-byte Folded Spill
.LBB237_385:                            ;   in Loop: Header=BB237_16 Depth=1
	s_or_b32 exec_lo, exec_lo, s25
.LBB237_386:                            ;   in Loop: Header=BB237_16 Depth=1
	s_or_b32 exec_lo, exec_lo, s24
.LBB237_387:                            ;   in Loop: Header=BB237_16 Depth=1
	s_or_b32 exec_lo, exec_lo, s23
	v_mov_b32_e32 v2, 0
	v_mov_b32_e32 v3, 0
	v_and_b32_sdwa v1, v0, v10 dst_sel:DWORD dst_unused:UNUSED_PAD src0_sel:WORD_1 src1_sel:DWORD
	s_mov_b32 s23, exec_lo
	buffer_store_dword v2, off, s[0:3], s32 offset:608 ; 4-byte Folded Spill
	buffer_store_dword v3, off, s[0:3], s32 offset:612 ; 4-byte Folded Spill
	v_mov_b32_e32 v2, 0
	v_mov_b32_e32 v3, 0
	buffer_store_dword v2, off, s[0:3], s32 offset:616 ; 4-byte Folded Spill
	buffer_store_dword v3, off, s[0:3], s32 offset:620 ; 4-byte Folded Spill
	v_cmpx_ne_u16_e32 0, v1
	s_cbranch_execz .LBB237_395
; %bb.388:                              ;   in Loop: Header=BB237_16 Depth=1
	v_cmp_ne_u16_e64 s5, 0x80, v1
	v_bfrev_b32_e32 v1, 1
	v_mov_b32_e32 v2, 0
	buffer_store_dword v1, off, s[0:3], s32 offset:616 ; 4-byte Folded Spill
	buffer_store_dword v2, off, s[0:3], s32 offset:620 ; 4-byte Folded Spill
	s_and_saveexec_b32 s24, s5
	s_cbranch_execz .LBB237_394
; %bb.389:                              ;   in Loop: Header=BB237_16 Depth=1
	v_mov_b32_e32 v3, 0x7f800001
	v_bfe_u32 v2, v0, 16, 7
	v_mov_b32_e32 v4, 0
	s_mov_b32 s25, exec_lo
	buffer_store_dword v3, off, s[0:3], s32 offset:616 ; 4-byte Folded Spill
	buffer_store_dword v4, off, s[0:3], s32 offset:620 ; 4-byte Folded Spill
	v_cmpx_ne_u32_e32 0x7f, v2
	s_cbranch_execz .LBB237_393
; %bb.390:                              ;   in Loop: Header=BB237_16 Depth=1
	v_mov_b32_e32 v1, 7
	s_mov_b32 s26, exec_lo
	v_and_b32_sdwa v48, v0, v1 dst_sel:DWORD dst_unused:UNUSED_PAD src0_sel:WORD_1 src1_sel:DWORD
	v_lshrrev_b32_e32 v1, 3, v2
	v_cmpx_gt_u32_e32 8, v2
; %bb.391:                              ;   in Loop: Header=BB237_16 Depth=1
	v_ffbh_u32_e32 v1, v48
	v_min_u32_e32 v1, 32, v1
	v_subrev_nc_u32_e32 v2, 28, v1
	v_sub_nc_u32_e32 v1, 29, v1
	v_lshlrev_b64 v[2:3], v2, v[48:49]
	v_and_b32_e32 v48, 7, v2
; %bb.392:                              ;   in Loop: Header=BB237_16 Depth=1
	s_or_b32 exec_lo, exec_lo, s26
	v_mov_b32_e32 v2, 24
	v_lshlrev_b32_e32 v3, 20, v48
	v_lshl_add_u32 v1, v1, 23, 0x3c000000
	v_lshlrev_b32_sdwa v2, v2, v0 dst_sel:DWORD dst_unused:UNUSED_PAD src0_sel:DWORD src1_sel:WORD_1
	v_and_b32_e32 v2, 0x80000000, v2
	v_or3_b32 v48, v3, v2, v1
	buffer_store_dword v48, off, s[0:3], s32 offset:616 ; 4-byte Folded Spill
	buffer_store_dword v49, off, s[0:3], s32 offset:620 ; 4-byte Folded Spill
.LBB237_393:                            ;   in Loop: Header=BB237_16 Depth=1
	s_or_b32 exec_lo, exec_lo, s25
.LBB237_394:                            ;   in Loop: Header=BB237_16 Depth=1
	s_or_b32 exec_lo, exec_lo, s24
.LBB237_395:                            ;   in Loop: Header=BB237_16 Depth=1
	s_or_b32 exec_lo, exec_lo, s23
	s_mov_b32 s23, exec_lo
	v_cmpx_lt_u32_e32 0xffffff, v0
	s_cbranch_execz .LBB237_403
; %bb.396:                              ;   in Loop: Header=BB237_16 Depth=1
	v_mov_b32_e32 v1, 0x80
	v_mov_b32_e32 v34, v49
	buffer_store_dword v34, off, s[0:3], s32 offset:608 ; 4-byte Folded Spill
	buffer_store_dword v35, off, s[0:3], s32 offset:612 ; 4-byte Folded Spill
	v_cmp_ne_u32_sdwa s5, v0, v1 src0_sel:BYTE_3 src1_sel:DWORD
	s_and_saveexec_b32 s24, s5
	s_cbranch_execz .LBB237_402
; %bb.397:                              ;   in Loop: Header=BB237_16 Depth=1
	v_bfe_u32 v2, v0, 24, 7
	v_mov_b32_e32 v62, v49
	s_mov_b32 s25, exec_lo
	buffer_store_dword v62, off, s[0:3], s32 offset:608 ; 4-byte Folded Spill
	buffer_store_dword v63, off, s[0:3], s32 offset:612 ; 4-byte Folded Spill
	v_cmpx_ne_u32_e32 0x7f, v2
	s_cbranch_execz .LBB237_401
; %bb.398:                              ;   in Loop: Header=BB237_16 Depth=1
	v_mov_b32_e32 v1, 7
	s_mov_b32 s26, exec_lo
	v_and_b32_sdwa v48, v0, v1 dst_sel:DWORD dst_unused:UNUSED_PAD src0_sel:BYTE_3 src1_sel:DWORD
	v_lshrrev_b32_e32 v1, 3, v2
	v_cmpx_gt_u32_e32 8, v2
; %bb.399:                              ;   in Loop: Header=BB237_16 Depth=1
	v_ffbh_u32_e32 v1, v48
	v_min_u32_e32 v1, 32, v1
	v_subrev_nc_u32_e32 v2, 28, v1
	v_sub_nc_u32_e32 v1, 29, v1
	v_lshlrev_b64 v[2:3], v2, v[48:49]
	v_and_b32_e32 v48, 7, v2
; %bb.400:                              ;   in Loop: Header=BB237_16 Depth=1
	s_or_b32 exec_lo, exec_lo, s26
	v_mov_b32_e32 v2, 24
	v_lshl_add_u32 v1, v1, 23, 0x3c000000
	v_lshlrev_b32_sdwa v0, v2, v0 dst_sel:DWORD dst_unused:UNUSED_PAD src0_sel:DWORD src1_sel:BYTE_3
	v_lshlrev_b32_e32 v2, 20, v48
	v_and_b32_e32 v0, 0x80000000, v0
	v_or3_b32 v1, v2, v0, v1
	v_mov_b32_e32 v0, v49
	buffer_store_dword v0, off, s[0:3], s32 offset:608 ; 4-byte Folded Spill
	buffer_store_dword v1, off, s[0:3], s32 offset:612 ; 4-byte Folded Spill
.LBB237_401:                            ;   in Loop: Header=BB237_16 Depth=1
	s_or_b32 exec_lo, exec_lo, s25
.LBB237_402:                            ;   in Loop: Header=BB237_16 Depth=1
	s_or_b32 exec_lo, exec_lo, s24
.LBB237_403:                            ;   in Loop: Header=BB237_16 Depth=1
	s_or_b32 exec_lo, exec_lo, s23
	flat_load_dword v0, v[16:17] offset:1536
	v_mov_b32_e32 v1, 0
	v_mov_b32_e32 v2, 0
	buffer_store_dword v1, off, s[0:3], s32 offset:632 ; 4-byte Folded Spill
	buffer_store_dword v2, off, s[0:3], s32 offset:636 ; 4-byte Folded Spill
	v_mov_b32_e32 v1, 0
	v_mov_b32_e32 v2, 0
	buffer_store_dword v1, off, s[0:3], s32 offset:656 ; 4-byte Folded Spill
	buffer_store_dword v2, off, s[0:3], s32 offset:660 ; 4-byte Folded Spill
	s_waitcnt vmcnt(0) lgkmcnt(0)
	v_cmp_ne_u16_sdwa s5, v0, v49 src0_sel:BYTE_0 src1_sel:DWORD
	s_and_saveexec_b32 s23, s5
	s_cbranch_execz .LBB237_411
; %bb.404:                              ;   in Loop: Header=BB237_16 Depth=1
	v_bfrev_b32_e32 v1, 1
	v_mov_b32_e32 v2, 0
	buffer_store_dword v1, off, s[0:3], s32 offset:656 ; 4-byte Folded Spill
	buffer_store_dword v2, off, s[0:3], s32 offset:660 ; 4-byte Folded Spill
	v_mov_b32_e32 v1, 0x80
	v_cmp_ne_u16_sdwa s5, v0, v1 src0_sel:BYTE_0 src1_sel:DWORD
	s_and_saveexec_b32 s24, s5
	s_cbranch_execz .LBB237_410
; %bb.405:                              ;   in Loop: Header=BB237_16 Depth=1
	v_mov_b32_e32 v3, 0x7f800001
	v_and_b32_e32 v2, 0x7f, v0
	v_mov_b32_e32 v4, 0
	s_mov_b32 s25, exec_lo
	buffer_store_dword v3, off, s[0:3], s32 offset:656 ; 4-byte Folded Spill
	buffer_store_dword v4, off, s[0:3], s32 offset:660 ; 4-byte Folded Spill
	v_cmpx_ne_u32_e32 0x7f, v2
	s_cbranch_execz .LBB237_409
; %bb.406:                              ;   in Loop: Header=BB237_16 Depth=1
	v_and_b32_e32 v48, 7, v0
	v_lshrrev_b32_e32 v1, 3, v2
	s_mov_b32 s26, exec_lo
	v_cmpx_gt_u32_e32 8, v2
; %bb.407:                              ;   in Loop: Header=BB237_16 Depth=1
	v_ffbh_u32_e32 v1, v48
	v_min_u32_e32 v1, 32, v1
	v_subrev_nc_u32_e32 v2, 28, v1
	v_sub_nc_u32_e32 v1, 29, v1
	v_lshlrev_b64 v[2:3], v2, v[48:49]
	v_and_b32_e32 v48, 7, v2
; %bb.408:                              ;   in Loop: Header=BB237_16 Depth=1
	s_or_b32 exec_lo, exec_lo, s26
	v_lshlrev_b32_e32 v2, 24, v0
	v_lshlrev_b32_e32 v3, 20, v48
	v_lshl_add_u32 v1, v1, 23, 0x3c000000
	v_and_b32_e32 v2, 0x80000000, v2
	v_or3_b32 v48, v3, v2, v1
	buffer_store_dword v48, off, s[0:3], s32 offset:656 ; 4-byte Folded Spill
	buffer_store_dword v49, off, s[0:3], s32 offset:660 ; 4-byte Folded Spill
.LBB237_409:                            ;   in Loop: Header=BB237_16 Depth=1
	s_or_b32 exec_lo, exec_lo, s25
.LBB237_410:                            ;   in Loop: Header=BB237_16 Depth=1
	s_or_b32 exec_lo, exec_lo, s24
.LBB237_411:                            ;   in Loop: Header=BB237_16 Depth=1
	s_or_b32 exec_lo, exec_lo, s23
	v_cmp_ne_u16_sdwa s5, v0, v49 src0_sel:BYTE_1 src1_sel:DWORD
	s_and_saveexec_b32 s23, s5
	s_cbranch_execz .LBB237_419
; %bb.412:                              ;   in Loop: Header=BB237_16 Depth=1
	v_mov_b32_e32 v1, 0x80
	v_mov_b32_e32 v34, v49
	buffer_store_dword v34, off, s[0:3], s32 offset:632 ; 4-byte Folded Spill
	buffer_store_dword v35, off, s[0:3], s32 offset:636 ; 4-byte Folded Spill
	v_cmp_ne_u16_sdwa s5, v0, v1 src0_sel:BYTE_1 src1_sel:DWORD
	s_and_saveexec_b32 s24, s5
	s_cbranch_execz .LBB237_418
; %bb.413:                              ;   in Loop: Header=BB237_16 Depth=1
	v_mov_b32_e32 v1, 0xffff
	v_mov_b32_e32 v62, v49
	s_mov_b32 s25, exec_lo
	buffer_store_dword v62, off, s[0:3], s32 offset:632 ; 4-byte Folded Spill
	buffer_store_dword v63, off, s[0:3], s32 offset:636 ; 4-byte Folded Spill
	v_and_b32_sdwa v1, v1, v0 dst_sel:DWORD dst_unused:UNUSED_PAD src0_sel:DWORD src1_sel:BYTE_1
	v_and_b32_e32 v2, 0x7f, v1
	v_cmpx_ne_u32_e32 0x7f, v2
	s_cbranch_execz .LBB237_417
; %bb.414:                              ;   in Loop: Header=BB237_16 Depth=1
	v_and_b32_e32 v48, 7, v1
	v_lshrrev_b32_e32 v1, 3, v2
	s_mov_b32 s26, exec_lo
	v_cmpx_gt_u32_e32 8, v2
; %bb.415:                              ;   in Loop: Header=BB237_16 Depth=1
	v_ffbh_u32_e32 v1, v48
	v_min_u32_e32 v1, 32, v1
	v_subrev_nc_u32_e32 v2, 28, v1
	v_sub_nc_u32_e32 v1, 29, v1
	v_lshlrev_b64 v[2:3], v2, v[48:49]
	v_and_b32_e32 v48, 7, v2
; %bb.416:                              ;   in Loop: Header=BB237_16 Depth=1
	s_or_b32 exec_lo, exec_lo, s26
	v_lshlrev_b32_e32 v2, 16, v0
	v_lshlrev_b32_e32 v3, 20, v48
	v_lshl_add_u32 v1, v1, 23, 0x3c000000
	v_and_b32_e32 v2, 0x80000000, v2
	v_or3_b32 v2, v3, v2, v1
	v_mov_b32_e32 v1, v49
	buffer_store_dword v1, off, s[0:3], s32 offset:632 ; 4-byte Folded Spill
	buffer_store_dword v2, off, s[0:3], s32 offset:636 ; 4-byte Folded Spill
.LBB237_417:                            ;   in Loop: Header=BB237_16 Depth=1
	s_or_b32 exec_lo, exec_lo, s25
.LBB237_418:                            ;   in Loop: Header=BB237_16 Depth=1
	s_or_b32 exec_lo, exec_lo, s24
.LBB237_419:                            ;   in Loop: Header=BB237_16 Depth=1
	s_or_b32 exec_lo, exec_lo, s23
	v_mov_b32_e32 v2, 0
	v_mov_b32_e32 v3, 0
	v_and_b32_sdwa v1, v0, v10 dst_sel:DWORD dst_unused:UNUSED_PAD src0_sel:WORD_1 src1_sel:DWORD
	s_mov_b32 s23, exec_lo
	buffer_store_dword v2, off, s[0:3], s32 offset:640 ; 4-byte Folded Spill
	buffer_store_dword v3, off, s[0:3], s32 offset:644 ; 4-byte Folded Spill
	v_mov_b32_e32 v2, 0
	v_mov_b32_e32 v3, 0
	buffer_store_dword v2, off, s[0:3], s32 offset:648 ; 4-byte Folded Spill
	buffer_store_dword v3, off, s[0:3], s32 offset:652 ; 4-byte Folded Spill
	v_cmpx_ne_u16_e32 0, v1
	s_cbranch_execz .LBB237_427
; %bb.420:                              ;   in Loop: Header=BB237_16 Depth=1
	v_cmp_ne_u16_e64 s5, 0x80, v1
	v_bfrev_b32_e32 v1, 1
	v_mov_b32_e32 v2, 0
	buffer_store_dword v1, off, s[0:3], s32 offset:648 ; 4-byte Folded Spill
	buffer_store_dword v2, off, s[0:3], s32 offset:652 ; 4-byte Folded Spill
	s_and_saveexec_b32 s24, s5
	s_cbranch_execz .LBB237_426
; %bb.421:                              ;   in Loop: Header=BB237_16 Depth=1
	v_mov_b32_e32 v3, 0x7f800001
	v_bfe_u32 v2, v0, 16, 7
	v_mov_b32_e32 v4, 0
	s_mov_b32 s25, exec_lo
	buffer_store_dword v3, off, s[0:3], s32 offset:648 ; 4-byte Folded Spill
	buffer_store_dword v4, off, s[0:3], s32 offset:652 ; 4-byte Folded Spill
	v_cmpx_ne_u32_e32 0x7f, v2
	s_cbranch_execz .LBB237_425
; %bb.422:                              ;   in Loop: Header=BB237_16 Depth=1
	v_mov_b32_e32 v1, 7
	s_mov_b32 s26, exec_lo
	v_and_b32_sdwa v48, v0, v1 dst_sel:DWORD dst_unused:UNUSED_PAD src0_sel:WORD_1 src1_sel:DWORD
	v_lshrrev_b32_e32 v1, 3, v2
	v_cmpx_gt_u32_e32 8, v2
; %bb.423:                              ;   in Loop: Header=BB237_16 Depth=1
	v_ffbh_u32_e32 v1, v48
	v_min_u32_e32 v1, 32, v1
	v_subrev_nc_u32_e32 v2, 28, v1
	v_sub_nc_u32_e32 v1, 29, v1
	v_lshlrev_b64 v[2:3], v2, v[48:49]
	v_and_b32_e32 v48, 7, v2
; %bb.424:                              ;   in Loop: Header=BB237_16 Depth=1
	s_or_b32 exec_lo, exec_lo, s26
	v_mov_b32_e32 v2, 24
	v_lshlrev_b32_e32 v3, 20, v48
	v_lshl_add_u32 v1, v1, 23, 0x3c000000
	v_lshlrev_b32_sdwa v2, v2, v0 dst_sel:DWORD dst_unused:UNUSED_PAD src0_sel:DWORD src1_sel:WORD_1
	v_and_b32_e32 v2, 0x80000000, v2
	v_or3_b32 v48, v3, v2, v1
	buffer_store_dword v48, off, s[0:3], s32 offset:648 ; 4-byte Folded Spill
	buffer_store_dword v49, off, s[0:3], s32 offset:652 ; 4-byte Folded Spill
.LBB237_425:                            ;   in Loop: Header=BB237_16 Depth=1
	s_or_b32 exec_lo, exec_lo, s25
.LBB237_426:                            ;   in Loop: Header=BB237_16 Depth=1
	s_or_b32 exec_lo, exec_lo, s24
.LBB237_427:                            ;   in Loop: Header=BB237_16 Depth=1
	s_or_b32 exec_lo, exec_lo, s23
	s_mov_b32 s23, exec_lo
	v_cmpx_lt_u32_e32 0xffffff, v0
	s_cbranch_execz .LBB237_435
; %bb.428:                              ;   in Loop: Header=BB237_16 Depth=1
	v_mov_b32_e32 v1, 0x80
	v_mov_b32_e32 v34, v49
	buffer_store_dword v34, off, s[0:3], s32 offset:640 ; 4-byte Folded Spill
	buffer_store_dword v35, off, s[0:3], s32 offset:644 ; 4-byte Folded Spill
	v_cmp_ne_u32_sdwa s5, v0, v1 src0_sel:BYTE_3 src1_sel:DWORD
	s_and_saveexec_b32 s24, s5
	s_cbranch_execz .LBB237_434
; %bb.429:                              ;   in Loop: Header=BB237_16 Depth=1
	v_bfe_u32 v2, v0, 24, 7
	v_mov_b32_e32 v62, v49
	s_mov_b32 s25, exec_lo
	buffer_store_dword v62, off, s[0:3], s32 offset:640 ; 4-byte Folded Spill
	buffer_store_dword v63, off, s[0:3], s32 offset:644 ; 4-byte Folded Spill
	v_cmpx_ne_u32_e32 0x7f, v2
	s_cbranch_execz .LBB237_433
; %bb.430:                              ;   in Loop: Header=BB237_16 Depth=1
	v_mov_b32_e32 v1, 7
	s_mov_b32 s26, exec_lo
	v_and_b32_sdwa v48, v0, v1 dst_sel:DWORD dst_unused:UNUSED_PAD src0_sel:BYTE_3 src1_sel:DWORD
	v_lshrrev_b32_e32 v1, 3, v2
	v_cmpx_gt_u32_e32 8, v2
; %bb.431:                              ;   in Loop: Header=BB237_16 Depth=1
	v_ffbh_u32_e32 v1, v48
	v_min_u32_e32 v1, 32, v1
	v_subrev_nc_u32_e32 v2, 28, v1
	v_sub_nc_u32_e32 v1, 29, v1
	v_lshlrev_b64 v[2:3], v2, v[48:49]
	v_and_b32_e32 v48, 7, v2
; %bb.432:                              ;   in Loop: Header=BB237_16 Depth=1
	s_or_b32 exec_lo, exec_lo, s26
	v_mov_b32_e32 v2, 24
	v_lshl_add_u32 v1, v1, 23, 0x3c000000
	v_lshlrev_b32_sdwa v0, v2, v0 dst_sel:DWORD dst_unused:UNUSED_PAD src0_sel:DWORD src1_sel:BYTE_3
	v_lshlrev_b32_e32 v2, 20, v48
	v_and_b32_e32 v0, 0x80000000, v0
	v_or3_b32 v1, v2, v0, v1
	v_mov_b32_e32 v0, v49
	buffer_store_dword v0, off, s[0:3], s32 offset:640 ; 4-byte Folded Spill
	buffer_store_dword v1, off, s[0:3], s32 offset:644 ; 4-byte Folded Spill
.LBB237_433:                            ;   in Loop: Header=BB237_16 Depth=1
	s_or_b32 exec_lo, exec_lo, s25
.LBB237_434:                            ;   in Loop: Header=BB237_16 Depth=1
	s_or_b32 exec_lo, exec_lo, s24
.LBB237_435:                            ;   in Loop: Header=BB237_16 Depth=1
	s_or_b32 exec_lo, exec_lo, s23
	flat_load_dword v0, v[16:17] offset:1540
	v_mov_b32_e32 v1, 0
	v_mov_b32_e32 v2, 0
	buffer_store_dword v1, off, s[0:3], s32 offset:664 ; 4-byte Folded Spill
	buffer_store_dword v2, off, s[0:3], s32 offset:668 ; 4-byte Folded Spill
	v_mov_b32_e32 v1, 0
	v_mov_b32_e32 v2, 0
	buffer_store_dword v1, off, s[0:3], s32 offset:688 ; 4-byte Folded Spill
	buffer_store_dword v2, off, s[0:3], s32 offset:692 ; 4-byte Folded Spill
	s_waitcnt vmcnt(0) lgkmcnt(0)
	v_cmp_ne_u16_sdwa s5, v0, v49 src0_sel:BYTE_0 src1_sel:DWORD
	s_and_saveexec_b32 s23, s5
	s_cbranch_execz .LBB237_443
; %bb.436:                              ;   in Loop: Header=BB237_16 Depth=1
	v_bfrev_b32_e32 v1, 1
	v_mov_b32_e32 v2, 0
	buffer_store_dword v1, off, s[0:3], s32 offset:688 ; 4-byte Folded Spill
	buffer_store_dword v2, off, s[0:3], s32 offset:692 ; 4-byte Folded Spill
	v_mov_b32_e32 v1, 0x80
	v_cmp_ne_u16_sdwa s5, v0, v1 src0_sel:BYTE_0 src1_sel:DWORD
	s_and_saveexec_b32 s24, s5
	s_cbranch_execz .LBB237_442
; %bb.437:                              ;   in Loop: Header=BB237_16 Depth=1
	v_mov_b32_e32 v3, 0x7f800001
	v_and_b32_e32 v2, 0x7f, v0
	v_mov_b32_e32 v4, 0
	s_mov_b32 s25, exec_lo
	buffer_store_dword v3, off, s[0:3], s32 offset:688 ; 4-byte Folded Spill
	buffer_store_dword v4, off, s[0:3], s32 offset:692 ; 4-byte Folded Spill
	v_cmpx_ne_u32_e32 0x7f, v2
	s_cbranch_execz .LBB237_441
; %bb.438:                              ;   in Loop: Header=BB237_16 Depth=1
	v_and_b32_e32 v48, 7, v0
	v_lshrrev_b32_e32 v1, 3, v2
	s_mov_b32 s26, exec_lo
	v_cmpx_gt_u32_e32 8, v2
; %bb.439:                              ;   in Loop: Header=BB237_16 Depth=1
	v_ffbh_u32_e32 v1, v48
	v_min_u32_e32 v1, 32, v1
	v_subrev_nc_u32_e32 v2, 28, v1
	v_sub_nc_u32_e32 v1, 29, v1
	v_lshlrev_b64 v[2:3], v2, v[48:49]
	v_and_b32_e32 v48, 7, v2
; %bb.440:                              ;   in Loop: Header=BB237_16 Depth=1
	s_or_b32 exec_lo, exec_lo, s26
	v_lshlrev_b32_e32 v2, 24, v0
	v_lshlrev_b32_e32 v3, 20, v48
	v_lshl_add_u32 v1, v1, 23, 0x3c000000
	v_and_b32_e32 v2, 0x80000000, v2
	v_or3_b32 v48, v3, v2, v1
	buffer_store_dword v48, off, s[0:3], s32 offset:688 ; 4-byte Folded Spill
	buffer_store_dword v49, off, s[0:3], s32 offset:692 ; 4-byte Folded Spill
.LBB237_441:                            ;   in Loop: Header=BB237_16 Depth=1
	s_or_b32 exec_lo, exec_lo, s25
.LBB237_442:                            ;   in Loop: Header=BB237_16 Depth=1
	s_or_b32 exec_lo, exec_lo, s24
.LBB237_443:                            ;   in Loop: Header=BB237_16 Depth=1
	s_or_b32 exec_lo, exec_lo, s23
	v_cmp_ne_u16_sdwa s5, v0, v49 src0_sel:BYTE_1 src1_sel:DWORD
	s_and_saveexec_b32 s23, s5
	s_cbranch_execz .LBB237_451
; %bb.444:                              ;   in Loop: Header=BB237_16 Depth=1
	v_mov_b32_e32 v1, 0x80
	v_mov_b32_e32 v34, v49
	buffer_store_dword v34, off, s[0:3], s32 offset:664 ; 4-byte Folded Spill
	buffer_store_dword v35, off, s[0:3], s32 offset:668 ; 4-byte Folded Spill
	v_cmp_ne_u16_sdwa s5, v0, v1 src0_sel:BYTE_1 src1_sel:DWORD
	s_and_saveexec_b32 s24, s5
	s_cbranch_execz .LBB237_450
; %bb.445:                              ;   in Loop: Header=BB237_16 Depth=1
	v_mov_b32_e32 v1, 0xffff
	v_mov_b32_e32 v62, v49
	s_mov_b32 s25, exec_lo
	buffer_store_dword v62, off, s[0:3], s32 offset:664 ; 4-byte Folded Spill
	buffer_store_dword v63, off, s[0:3], s32 offset:668 ; 4-byte Folded Spill
	v_and_b32_sdwa v1, v1, v0 dst_sel:DWORD dst_unused:UNUSED_PAD src0_sel:DWORD src1_sel:BYTE_1
	v_and_b32_e32 v2, 0x7f, v1
	v_cmpx_ne_u32_e32 0x7f, v2
	s_cbranch_execz .LBB237_449
; %bb.446:                              ;   in Loop: Header=BB237_16 Depth=1
	v_and_b32_e32 v48, 7, v1
	v_lshrrev_b32_e32 v1, 3, v2
	s_mov_b32 s26, exec_lo
	v_cmpx_gt_u32_e32 8, v2
; %bb.447:                              ;   in Loop: Header=BB237_16 Depth=1
	v_ffbh_u32_e32 v1, v48
	v_min_u32_e32 v1, 32, v1
	v_subrev_nc_u32_e32 v2, 28, v1
	v_sub_nc_u32_e32 v1, 29, v1
	v_lshlrev_b64 v[2:3], v2, v[48:49]
	v_and_b32_e32 v48, 7, v2
; %bb.448:                              ;   in Loop: Header=BB237_16 Depth=1
	s_or_b32 exec_lo, exec_lo, s26
	v_lshlrev_b32_e32 v2, 16, v0
	v_lshlrev_b32_e32 v3, 20, v48
	v_lshl_add_u32 v1, v1, 23, 0x3c000000
	v_and_b32_e32 v2, 0x80000000, v2
	v_or3_b32 v2, v3, v2, v1
	v_mov_b32_e32 v1, v49
	buffer_store_dword v1, off, s[0:3], s32 offset:664 ; 4-byte Folded Spill
	buffer_store_dword v2, off, s[0:3], s32 offset:668 ; 4-byte Folded Spill
.LBB237_449:                            ;   in Loop: Header=BB237_16 Depth=1
	s_or_b32 exec_lo, exec_lo, s25
.LBB237_450:                            ;   in Loop: Header=BB237_16 Depth=1
	s_or_b32 exec_lo, exec_lo, s24
.LBB237_451:                            ;   in Loop: Header=BB237_16 Depth=1
	s_or_b32 exec_lo, exec_lo, s23
	v_mov_b32_e32 v2, 0
	v_mov_b32_e32 v3, 0
	v_and_b32_sdwa v1, v0, v10 dst_sel:DWORD dst_unused:UNUSED_PAD src0_sel:WORD_1 src1_sel:DWORD
	s_mov_b32 s23, exec_lo
	buffer_store_dword v2, off, s[0:3], s32 offset:672 ; 4-byte Folded Spill
	buffer_store_dword v3, off, s[0:3], s32 offset:676 ; 4-byte Folded Spill
	v_mov_b32_e32 v2, 0
	v_mov_b32_e32 v3, 0
	buffer_store_dword v2, off, s[0:3], s32 offset:680 ; 4-byte Folded Spill
	buffer_store_dword v3, off, s[0:3], s32 offset:684 ; 4-byte Folded Spill
	v_cmpx_ne_u16_e32 0, v1
	s_cbranch_execz .LBB237_459
; %bb.452:                              ;   in Loop: Header=BB237_16 Depth=1
	v_cmp_ne_u16_e64 s5, 0x80, v1
	v_bfrev_b32_e32 v1, 1
	v_mov_b32_e32 v2, 0
	buffer_store_dword v1, off, s[0:3], s32 offset:680 ; 4-byte Folded Spill
	buffer_store_dword v2, off, s[0:3], s32 offset:684 ; 4-byte Folded Spill
	s_and_saveexec_b32 s24, s5
	s_cbranch_execz .LBB237_458
; %bb.453:                              ;   in Loop: Header=BB237_16 Depth=1
	v_mov_b32_e32 v3, 0x7f800001
	v_bfe_u32 v2, v0, 16, 7
	v_mov_b32_e32 v4, 0
	s_mov_b32 s25, exec_lo
	buffer_store_dword v3, off, s[0:3], s32 offset:680 ; 4-byte Folded Spill
	buffer_store_dword v4, off, s[0:3], s32 offset:684 ; 4-byte Folded Spill
	v_cmpx_ne_u32_e32 0x7f, v2
	s_cbranch_execz .LBB237_457
; %bb.454:                              ;   in Loop: Header=BB237_16 Depth=1
	v_mov_b32_e32 v1, 7
	s_mov_b32 s26, exec_lo
	v_and_b32_sdwa v48, v0, v1 dst_sel:DWORD dst_unused:UNUSED_PAD src0_sel:WORD_1 src1_sel:DWORD
	v_lshrrev_b32_e32 v1, 3, v2
	v_cmpx_gt_u32_e32 8, v2
; %bb.455:                              ;   in Loop: Header=BB237_16 Depth=1
	v_ffbh_u32_e32 v1, v48
	v_min_u32_e32 v1, 32, v1
	v_subrev_nc_u32_e32 v2, 28, v1
	v_sub_nc_u32_e32 v1, 29, v1
	v_lshlrev_b64 v[2:3], v2, v[48:49]
	v_and_b32_e32 v48, 7, v2
; %bb.456:                              ;   in Loop: Header=BB237_16 Depth=1
	s_or_b32 exec_lo, exec_lo, s26
	v_mov_b32_e32 v2, 24
	v_lshlrev_b32_e32 v3, 20, v48
	v_lshl_add_u32 v1, v1, 23, 0x3c000000
	v_lshlrev_b32_sdwa v2, v2, v0 dst_sel:DWORD dst_unused:UNUSED_PAD src0_sel:DWORD src1_sel:WORD_1
	v_and_b32_e32 v2, 0x80000000, v2
	v_or3_b32 v48, v3, v2, v1
	buffer_store_dword v48, off, s[0:3], s32 offset:680 ; 4-byte Folded Spill
	buffer_store_dword v49, off, s[0:3], s32 offset:684 ; 4-byte Folded Spill
.LBB237_457:                            ;   in Loop: Header=BB237_16 Depth=1
	s_or_b32 exec_lo, exec_lo, s25
.LBB237_458:                            ;   in Loop: Header=BB237_16 Depth=1
	s_or_b32 exec_lo, exec_lo, s24
.LBB237_459:                            ;   in Loop: Header=BB237_16 Depth=1
	s_or_b32 exec_lo, exec_lo, s23
	s_mov_b32 s23, exec_lo
	v_cmpx_lt_u32_e32 0xffffff, v0
	s_cbranch_execz .LBB237_467
; %bb.460:                              ;   in Loop: Header=BB237_16 Depth=1
	v_mov_b32_e32 v1, 0x80
	v_mov_b32_e32 v34, v49
	buffer_store_dword v34, off, s[0:3], s32 offset:672 ; 4-byte Folded Spill
	buffer_store_dword v35, off, s[0:3], s32 offset:676 ; 4-byte Folded Spill
	v_cmp_ne_u32_sdwa s5, v0, v1 src0_sel:BYTE_3 src1_sel:DWORD
	s_and_saveexec_b32 s24, s5
	s_cbranch_execz .LBB237_466
; %bb.461:                              ;   in Loop: Header=BB237_16 Depth=1
	v_bfe_u32 v2, v0, 24, 7
	v_mov_b32_e32 v62, v49
	s_mov_b32 s25, exec_lo
	buffer_store_dword v62, off, s[0:3], s32 offset:672 ; 4-byte Folded Spill
	buffer_store_dword v63, off, s[0:3], s32 offset:676 ; 4-byte Folded Spill
	v_cmpx_ne_u32_e32 0x7f, v2
	s_cbranch_execz .LBB237_465
; %bb.462:                              ;   in Loop: Header=BB237_16 Depth=1
	v_mov_b32_e32 v1, 7
	s_mov_b32 s26, exec_lo
	v_and_b32_sdwa v48, v0, v1 dst_sel:DWORD dst_unused:UNUSED_PAD src0_sel:BYTE_3 src1_sel:DWORD
	v_lshrrev_b32_e32 v1, 3, v2
	v_cmpx_gt_u32_e32 8, v2
; %bb.463:                              ;   in Loop: Header=BB237_16 Depth=1
	v_ffbh_u32_e32 v1, v48
	v_min_u32_e32 v1, 32, v1
	v_subrev_nc_u32_e32 v2, 28, v1
	v_sub_nc_u32_e32 v1, 29, v1
	v_lshlrev_b64 v[2:3], v2, v[48:49]
	v_and_b32_e32 v48, 7, v2
; %bb.464:                              ;   in Loop: Header=BB237_16 Depth=1
	s_or_b32 exec_lo, exec_lo, s26
	v_mov_b32_e32 v2, 24
	v_lshl_add_u32 v1, v1, 23, 0x3c000000
	v_lshlrev_b32_sdwa v0, v2, v0 dst_sel:DWORD dst_unused:UNUSED_PAD src0_sel:DWORD src1_sel:BYTE_3
	v_lshlrev_b32_e32 v2, 20, v48
	v_and_b32_e32 v0, 0x80000000, v0
	v_or3_b32 v1, v2, v0, v1
	v_mov_b32_e32 v0, v49
	buffer_store_dword v0, off, s[0:3], s32 offset:672 ; 4-byte Folded Spill
	buffer_store_dword v1, off, s[0:3], s32 offset:676 ; 4-byte Folded Spill
.LBB237_465:                            ;   in Loop: Header=BB237_16 Depth=1
	s_or_b32 exec_lo, exec_lo, s25
.LBB237_466:                            ;   in Loop: Header=BB237_16 Depth=1
	s_or_b32 exec_lo, exec_lo, s24
.LBB237_467:                            ;   in Loop: Header=BB237_16 Depth=1
	s_or_b32 exec_lo, exec_lo, s23
	flat_load_dword v0, v[16:17] offset:1544
	v_mov_b32_e32 v1, 0
	v_mov_b32_e32 v2, 0
	buffer_store_dword v1, off, s[0:3], s32 offset:696 ; 4-byte Folded Spill
	buffer_store_dword v2, off, s[0:3], s32 offset:700 ; 4-byte Folded Spill
	v_mov_b32_e32 v1, 0
	v_mov_b32_e32 v2, 0
	buffer_store_dword v1, off, s[0:3], s32 offset:720 ; 4-byte Folded Spill
	buffer_store_dword v2, off, s[0:3], s32 offset:724 ; 4-byte Folded Spill
	s_waitcnt vmcnt(0) lgkmcnt(0)
	v_cmp_ne_u16_sdwa s5, v0, v49 src0_sel:BYTE_0 src1_sel:DWORD
	s_and_saveexec_b32 s23, s5
	s_cbranch_execz .LBB237_475
; %bb.468:                              ;   in Loop: Header=BB237_16 Depth=1
	v_bfrev_b32_e32 v1, 1
	v_mov_b32_e32 v2, 0
	buffer_store_dword v1, off, s[0:3], s32 offset:720 ; 4-byte Folded Spill
	buffer_store_dword v2, off, s[0:3], s32 offset:724 ; 4-byte Folded Spill
	v_mov_b32_e32 v1, 0x80
	v_cmp_ne_u16_sdwa s5, v0, v1 src0_sel:BYTE_0 src1_sel:DWORD
	s_and_saveexec_b32 s24, s5
	s_cbranch_execz .LBB237_474
; %bb.469:                              ;   in Loop: Header=BB237_16 Depth=1
	v_mov_b32_e32 v3, 0x7f800001
	v_and_b32_e32 v2, 0x7f, v0
	v_mov_b32_e32 v4, 0
	s_mov_b32 s25, exec_lo
	buffer_store_dword v3, off, s[0:3], s32 offset:720 ; 4-byte Folded Spill
	buffer_store_dword v4, off, s[0:3], s32 offset:724 ; 4-byte Folded Spill
	v_cmpx_ne_u32_e32 0x7f, v2
	s_cbranch_execz .LBB237_473
; %bb.470:                              ;   in Loop: Header=BB237_16 Depth=1
	v_and_b32_e32 v48, 7, v0
	v_lshrrev_b32_e32 v1, 3, v2
	s_mov_b32 s26, exec_lo
	v_cmpx_gt_u32_e32 8, v2
; %bb.471:                              ;   in Loop: Header=BB237_16 Depth=1
	v_ffbh_u32_e32 v1, v48
	v_min_u32_e32 v1, 32, v1
	v_subrev_nc_u32_e32 v2, 28, v1
	v_sub_nc_u32_e32 v1, 29, v1
	v_lshlrev_b64 v[2:3], v2, v[48:49]
	v_and_b32_e32 v48, 7, v2
; %bb.472:                              ;   in Loop: Header=BB237_16 Depth=1
	s_or_b32 exec_lo, exec_lo, s26
	v_lshlrev_b32_e32 v2, 24, v0
	v_lshlrev_b32_e32 v3, 20, v48
	v_lshl_add_u32 v1, v1, 23, 0x3c000000
	v_and_b32_e32 v2, 0x80000000, v2
	v_or3_b32 v48, v3, v2, v1
	buffer_store_dword v48, off, s[0:3], s32 offset:720 ; 4-byte Folded Spill
	buffer_store_dword v49, off, s[0:3], s32 offset:724 ; 4-byte Folded Spill
.LBB237_473:                            ;   in Loop: Header=BB237_16 Depth=1
	s_or_b32 exec_lo, exec_lo, s25
.LBB237_474:                            ;   in Loop: Header=BB237_16 Depth=1
	s_or_b32 exec_lo, exec_lo, s24
.LBB237_475:                            ;   in Loop: Header=BB237_16 Depth=1
	s_or_b32 exec_lo, exec_lo, s23
	v_cmp_ne_u16_sdwa s5, v0, v49 src0_sel:BYTE_1 src1_sel:DWORD
	s_and_saveexec_b32 s23, s5
	s_cbranch_execz .LBB237_483
; %bb.476:                              ;   in Loop: Header=BB237_16 Depth=1
	v_mov_b32_e32 v1, 0x80
	v_mov_b32_e32 v34, v49
	buffer_store_dword v34, off, s[0:3], s32 offset:696 ; 4-byte Folded Spill
	buffer_store_dword v35, off, s[0:3], s32 offset:700 ; 4-byte Folded Spill
	v_cmp_ne_u16_sdwa s5, v0, v1 src0_sel:BYTE_1 src1_sel:DWORD
	s_and_saveexec_b32 s24, s5
	s_cbranch_execz .LBB237_482
; %bb.477:                              ;   in Loop: Header=BB237_16 Depth=1
	v_mov_b32_e32 v1, 0xffff
	v_mov_b32_e32 v62, v49
	s_mov_b32 s25, exec_lo
	buffer_store_dword v62, off, s[0:3], s32 offset:696 ; 4-byte Folded Spill
	buffer_store_dword v63, off, s[0:3], s32 offset:700 ; 4-byte Folded Spill
	v_and_b32_sdwa v1, v1, v0 dst_sel:DWORD dst_unused:UNUSED_PAD src0_sel:DWORD src1_sel:BYTE_1
	v_and_b32_e32 v2, 0x7f, v1
	v_cmpx_ne_u32_e32 0x7f, v2
	s_cbranch_execz .LBB237_481
; %bb.478:                              ;   in Loop: Header=BB237_16 Depth=1
	v_and_b32_e32 v48, 7, v1
	v_lshrrev_b32_e32 v1, 3, v2
	s_mov_b32 s26, exec_lo
	v_cmpx_gt_u32_e32 8, v2
; %bb.479:                              ;   in Loop: Header=BB237_16 Depth=1
	v_ffbh_u32_e32 v1, v48
	v_min_u32_e32 v1, 32, v1
	v_subrev_nc_u32_e32 v2, 28, v1
	v_sub_nc_u32_e32 v1, 29, v1
	v_lshlrev_b64 v[2:3], v2, v[48:49]
	v_and_b32_e32 v48, 7, v2
; %bb.480:                              ;   in Loop: Header=BB237_16 Depth=1
	s_or_b32 exec_lo, exec_lo, s26
	v_lshlrev_b32_e32 v2, 16, v0
	v_lshlrev_b32_e32 v3, 20, v48
	v_lshl_add_u32 v1, v1, 23, 0x3c000000
	v_and_b32_e32 v2, 0x80000000, v2
	v_or3_b32 v2, v3, v2, v1
	v_mov_b32_e32 v1, v49
	buffer_store_dword v1, off, s[0:3], s32 offset:696 ; 4-byte Folded Spill
	buffer_store_dword v2, off, s[0:3], s32 offset:700 ; 4-byte Folded Spill
.LBB237_481:                            ;   in Loop: Header=BB237_16 Depth=1
	s_or_b32 exec_lo, exec_lo, s25
.LBB237_482:                            ;   in Loop: Header=BB237_16 Depth=1
	s_or_b32 exec_lo, exec_lo, s24
.LBB237_483:                            ;   in Loop: Header=BB237_16 Depth=1
	s_or_b32 exec_lo, exec_lo, s23
	v_mov_b32_e32 v2, 0
	v_mov_b32_e32 v3, 0
	v_and_b32_sdwa v1, v0, v10 dst_sel:DWORD dst_unused:UNUSED_PAD src0_sel:WORD_1 src1_sel:DWORD
	s_mov_b32 s23, exec_lo
	buffer_store_dword v2, off, s[0:3], s32 offset:704 ; 4-byte Folded Spill
	buffer_store_dword v3, off, s[0:3], s32 offset:708 ; 4-byte Folded Spill
	v_mov_b32_e32 v2, 0
	v_mov_b32_e32 v3, 0
	buffer_store_dword v2, off, s[0:3], s32 offset:712 ; 4-byte Folded Spill
	buffer_store_dword v3, off, s[0:3], s32 offset:716 ; 4-byte Folded Spill
	v_cmpx_ne_u16_e32 0, v1
	s_cbranch_execz .LBB237_491
; %bb.484:                              ;   in Loop: Header=BB237_16 Depth=1
	v_cmp_ne_u16_e64 s5, 0x80, v1
	v_bfrev_b32_e32 v1, 1
	v_mov_b32_e32 v2, 0
	buffer_store_dword v1, off, s[0:3], s32 offset:712 ; 4-byte Folded Spill
	buffer_store_dword v2, off, s[0:3], s32 offset:716 ; 4-byte Folded Spill
	s_and_saveexec_b32 s24, s5
	s_cbranch_execz .LBB237_490
; %bb.485:                              ;   in Loop: Header=BB237_16 Depth=1
	v_mov_b32_e32 v3, 0x7f800001
	v_bfe_u32 v2, v0, 16, 7
	v_mov_b32_e32 v4, 0
	s_mov_b32 s25, exec_lo
	buffer_store_dword v3, off, s[0:3], s32 offset:712 ; 4-byte Folded Spill
	buffer_store_dword v4, off, s[0:3], s32 offset:716 ; 4-byte Folded Spill
	v_cmpx_ne_u32_e32 0x7f, v2
	s_cbranch_execz .LBB237_489
; %bb.486:                              ;   in Loop: Header=BB237_16 Depth=1
	v_mov_b32_e32 v1, 7
	s_mov_b32 s26, exec_lo
	v_and_b32_sdwa v48, v0, v1 dst_sel:DWORD dst_unused:UNUSED_PAD src0_sel:WORD_1 src1_sel:DWORD
	v_lshrrev_b32_e32 v1, 3, v2
	v_cmpx_gt_u32_e32 8, v2
; %bb.487:                              ;   in Loop: Header=BB237_16 Depth=1
	v_ffbh_u32_e32 v1, v48
	v_min_u32_e32 v1, 32, v1
	v_subrev_nc_u32_e32 v2, 28, v1
	v_sub_nc_u32_e32 v1, 29, v1
	v_lshlrev_b64 v[2:3], v2, v[48:49]
	v_and_b32_e32 v48, 7, v2
; %bb.488:                              ;   in Loop: Header=BB237_16 Depth=1
	s_or_b32 exec_lo, exec_lo, s26
	v_mov_b32_e32 v2, 24
	v_lshlrev_b32_e32 v3, 20, v48
	v_lshl_add_u32 v1, v1, 23, 0x3c000000
	v_lshlrev_b32_sdwa v2, v2, v0 dst_sel:DWORD dst_unused:UNUSED_PAD src0_sel:DWORD src1_sel:WORD_1
	v_and_b32_e32 v2, 0x80000000, v2
	v_or3_b32 v48, v3, v2, v1
	buffer_store_dword v48, off, s[0:3], s32 offset:712 ; 4-byte Folded Spill
	buffer_store_dword v49, off, s[0:3], s32 offset:716 ; 4-byte Folded Spill
.LBB237_489:                            ;   in Loop: Header=BB237_16 Depth=1
	s_or_b32 exec_lo, exec_lo, s25
.LBB237_490:                            ;   in Loop: Header=BB237_16 Depth=1
	s_or_b32 exec_lo, exec_lo, s24
.LBB237_491:                            ;   in Loop: Header=BB237_16 Depth=1
	s_or_b32 exec_lo, exec_lo, s23
	s_mov_b32 s23, exec_lo
	v_cmpx_lt_u32_e32 0xffffff, v0
	s_cbranch_execz .LBB237_499
; %bb.492:                              ;   in Loop: Header=BB237_16 Depth=1
	v_mov_b32_e32 v1, 0x80
	v_mov_b32_e32 v34, v49
	buffer_store_dword v34, off, s[0:3], s32 offset:704 ; 4-byte Folded Spill
	buffer_store_dword v35, off, s[0:3], s32 offset:708 ; 4-byte Folded Spill
	v_cmp_ne_u32_sdwa s5, v0, v1 src0_sel:BYTE_3 src1_sel:DWORD
	s_and_saveexec_b32 s24, s5
	s_cbranch_execz .LBB237_498
; %bb.493:                              ;   in Loop: Header=BB237_16 Depth=1
	v_bfe_u32 v2, v0, 24, 7
	v_mov_b32_e32 v62, v49
	s_mov_b32 s25, exec_lo
	buffer_store_dword v62, off, s[0:3], s32 offset:704 ; 4-byte Folded Spill
	buffer_store_dword v63, off, s[0:3], s32 offset:708 ; 4-byte Folded Spill
	v_cmpx_ne_u32_e32 0x7f, v2
	s_cbranch_execz .LBB237_497
; %bb.494:                              ;   in Loop: Header=BB237_16 Depth=1
	v_mov_b32_e32 v1, 7
	s_mov_b32 s26, exec_lo
	v_and_b32_sdwa v48, v0, v1 dst_sel:DWORD dst_unused:UNUSED_PAD src0_sel:BYTE_3 src1_sel:DWORD
	v_lshrrev_b32_e32 v1, 3, v2
	v_cmpx_gt_u32_e32 8, v2
; %bb.495:                              ;   in Loop: Header=BB237_16 Depth=1
	v_ffbh_u32_e32 v1, v48
	v_min_u32_e32 v1, 32, v1
	v_subrev_nc_u32_e32 v2, 28, v1
	v_sub_nc_u32_e32 v1, 29, v1
	v_lshlrev_b64 v[2:3], v2, v[48:49]
	v_and_b32_e32 v48, 7, v2
; %bb.496:                              ;   in Loop: Header=BB237_16 Depth=1
	s_or_b32 exec_lo, exec_lo, s26
	v_mov_b32_e32 v2, 24
	v_lshl_add_u32 v1, v1, 23, 0x3c000000
	v_lshlrev_b32_sdwa v0, v2, v0 dst_sel:DWORD dst_unused:UNUSED_PAD src0_sel:DWORD src1_sel:BYTE_3
	v_lshlrev_b32_e32 v2, 20, v48
	v_and_b32_e32 v0, 0x80000000, v0
	v_or3_b32 v1, v2, v0, v1
	v_mov_b32_e32 v0, v49
	buffer_store_dword v0, off, s[0:3], s32 offset:704 ; 4-byte Folded Spill
	buffer_store_dword v1, off, s[0:3], s32 offset:708 ; 4-byte Folded Spill
.LBB237_497:                            ;   in Loop: Header=BB237_16 Depth=1
	s_or_b32 exec_lo, exec_lo, s25
.LBB237_498:                            ;   in Loop: Header=BB237_16 Depth=1
	s_or_b32 exec_lo, exec_lo, s24
.LBB237_499:                            ;   in Loop: Header=BB237_16 Depth=1
	s_or_b32 exec_lo, exec_lo, s23
	flat_load_dword v0, v[16:17] offset:1548
	v_mov_b32_e32 v1, 0
	v_mov_b32_e32 v2, 0
	buffer_store_dword v1, off, s[0:3], s32 offset:728 ; 4-byte Folded Spill
	buffer_store_dword v2, off, s[0:3], s32 offset:732 ; 4-byte Folded Spill
	v_mov_b32_e32 v1, 0
	v_mov_b32_e32 v2, 0
	buffer_store_dword v1, off, s[0:3], s32 offset:752 ; 4-byte Folded Spill
	buffer_store_dword v2, off, s[0:3], s32 offset:756 ; 4-byte Folded Spill
	s_waitcnt vmcnt(0) lgkmcnt(0)
	v_cmp_ne_u16_sdwa s5, v0, v49 src0_sel:BYTE_0 src1_sel:DWORD
	s_and_saveexec_b32 s23, s5
	s_cbranch_execz .LBB237_507
; %bb.500:                              ;   in Loop: Header=BB237_16 Depth=1
	v_bfrev_b32_e32 v1, 1
	v_mov_b32_e32 v2, 0
	buffer_store_dword v1, off, s[0:3], s32 offset:752 ; 4-byte Folded Spill
	buffer_store_dword v2, off, s[0:3], s32 offset:756 ; 4-byte Folded Spill
	v_mov_b32_e32 v1, 0x80
	v_cmp_ne_u16_sdwa s5, v0, v1 src0_sel:BYTE_0 src1_sel:DWORD
	s_and_saveexec_b32 s24, s5
	s_cbranch_execz .LBB237_506
; %bb.501:                              ;   in Loop: Header=BB237_16 Depth=1
	v_mov_b32_e32 v3, 0x7f800001
	v_and_b32_e32 v2, 0x7f, v0
	v_mov_b32_e32 v4, 0
	s_mov_b32 s25, exec_lo
	buffer_store_dword v3, off, s[0:3], s32 offset:752 ; 4-byte Folded Spill
	buffer_store_dword v4, off, s[0:3], s32 offset:756 ; 4-byte Folded Spill
	v_cmpx_ne_u32_e32 0x7f, v2
	s_cbranch_execz .LBB237_505
; %bb.502:                              ;   in Loop: Header=BB237_16 Depth=1
	v_and_b32_e32 v48, 7, v0
	v_lshrrev_b32_e32 v1, 3, v2
	s_mov_b32 s26, exec_lo
	v_cmpx_gt_u32_e32 8, v2
; %bb.503:                              ;   in Loop: Header=BB237_16 Depth=1
	v_ffbh_u32_e32 v1, v48
	v_min_u32_e32 v1, 32, v1
	v_subrev_nc_u32_e32 v2, 28, v1
	v_sub_nc_u32_e32 v1, 29, v1
	v_lshlrev_b64 v[2:3], v2, v[48:49]
	v_and_b32_e32 v48, 7, v2
; %bb.504:                              ;   in Loop: Header=BB237_16 Depth=1
	s_or_b32 exec_lo, exec_lo, s26
	v_lshlrev_b32_e32 v2, 24, v0
	v_lshlrev_b32_e32 v3, 20, v48
	v_lshl_add_u32 v1, v1, 23, 0x3c000000
	v_and_b32_e32 v2, 0x80000000, v2
	v_or3_b32 v48, v3, v2, v1
	buffer_store_dword v48, off, s[0:3], s32 offset:752 ; 4-byte Folded Spill
	buffer_store_dword v49, off, s[0:3], s32 offset:756 ; 4-byte Folded Spill
.LBB237_505:                            ;   in Loop: Header=BB237_16 Depth=1
	s_or_b32 exec_lo, exec_lo, s25
.LBB237_506:                            ;   in Loop: Header=BB237_16 Depth=1
	s_or_b32 exec_lo, exec_lo, s24
.LBB237_507:                            ;   in Loop: Header=BB237_16 Depth=1
	s_or_b32 exec_lo, exec_lo, s23
	v_cmp_ne_u16_sdwa s5, v0, v49 src0_sel:BYTE_1 src1_sel:DWORD
	s_and_saveexec_b32 s23, s5
	s_cbranch_execz .LBB237_515
; %bb.508:                              ;   in Loop: Header=BB237_16 Depth=1
	v_mov_b32_e32 v1, 0x80
	v_mov_b32_e32 v34, v49
	buffer_store_dword v34, off, s[0:3], s32 offset:728 ; 4-byte Folded Spill
	buffer_store_dword v35, off, s[0:3], s32 offset:732 ; 4-byte Folded Spill
	v_cmp_ne_u16_sdwa s5, v0, v1 src0_sel:BYTE_1 src1_sel:DWORD
	s_and_saveexec_b32 s24, s5
	s_cbranch_execz .LBB237_514
; %bb.509:                              ;   in Loop: Header=BB237_16 Depth=1
	v_mov_b32_e32 v1, 0xffff
	v_mov_b32_e32 v62, v49
	s_mov_b32 s25, exec_lo
	buffer_store_dword v62, off, s[0:3], s32 offset:728 ; 4-byte Folded Spill
	buffer_store_dword v63, off, s[0:3], s32 offset:732 ; 4-byte Folded Spill
	v_and_b32_sdwa v1, v1, v0 dst_sel:DWORD dst_unused:UNUSED_PAD src0_sel:DWORD src1_sel:BYTE_1
	v_and_b32_e32 v2, 0x7f, v1
	v_cmpx_ne_u32_e32 0x7f, v2
	s_cbranch_execz .LBB237_513
; %bb.510:                              ;   in Loop: Header=BB237_16 Depth=1
	v_and_b32_e32 v48, 7, v1
	v_lshrrev_b32_e32 v1, 3, v2
	s_mov_b32 s26, exec_lo
	v_cmpx_gt_u32_e32 8, v2
; %bb.511:                              ;   in Loop: Header=BB237_16 Depth=1
	v_ffbh_u32_e32 v1, v48
	v_min_u32_e32 v1, 32, v1
	v_subrev_nc_u32_e32 v2, 28, v1
	v_sub_nc_u32_e32 v1, 29, v1
	v_lshlrev_b64 v[2:3], v2, v[48:49]
	v_and_b32_e32 v48, 7, v2
; %bb.512:                              ;   in Loop: Header=BB237_16 Depth=1
	s_or_b32 exec_lo, exec_lo, s26
	v_lshlrev_b32_e32 v2, 16, v0
	v_lshlrev_b32_e32 v3, 20, v48
	v_lshl_add_u32 v1, v1, 23, 0x3c000000
	v_and_b32_e32 v2, 0x80000000, v2
	v_or3_b32 v2, v3, v2, v1
	v_mov_b32_e32 v1, v49
	buffer_store_dword v1, off, s[0:3], s32 offset:728 ; 4-byte Folded Spill
	buffer_store_dword v2, off, s[0:3], s32 offset:732 ; 4-byte Folded Spill
.LBB237_513:                            ;   in Loop: Header=BB237_16 Depth=1
	s_or_b32 exec_lo, exec_lo, s25
.LBB237_514:                            ;   in Loop: Header=BB237_16 Depth=1
	s_or_b32 exec_lo, exec_lo, s24
.LBB237_515:                            ;   in Loop: Header=BB237_16 Depth=1
	s_or_b32 exec_lo, exec_lo, s23
	v_mov_b32_e32 v2, 0
	v_mov_b32_e32 v3, 0
	v_and_b32_sdwa v1, v0, v10 dst_sel:DWORD dst_unused:UNUSED_PAD src0_sel:WORD_1 src1_sel:DWORD
	s_mov_b32 s23, exec_lo
	buffer_store_dword v2, off, s[0:3], s32 offset:736 ; 4-byte Folded Spill
	buffer_store_dword v3, off, s[0:3], s32 offset:740 ; 4-byte Folded Spill
	v_mov_b32_e32 v2, 0
	v_mov_b32_e32 v3, 0
	buffer_store_dword v2, off, s[0:3], s32 offset:744 ; 4-byte Folded Spill
	buffer_store_dword v3, off, s[0:3], s32 offset:748 ; 4-byte Folded Spill
	v_cmpx_ne_u16_e32 0, v1
	s_cbranch_execz .LBB237_523
; %bb.516:                              ;   in Loop: Header=BB237_16 Depth=1
	v_cmp_ne_u16_e64 s5, 0x80, v1
	v_bfrev_b32_e32 v1, 1
	v_mov_b32_e32 v2, 0
	buffer_store_dword v1, off, s[0:3], s32 offset:744 ; 4-byte Folded Spill
	buffer_store_dword v2, off, s[0:3], s32 offset:748 ; 4-byte Folded Spill
	s_and_saveexec_b32 s24, s5
	s_cbranch_execz .LBB237_522
; %bb.517:                              ;   in Loop: Header=BB237_16 Depth=1
	v_mov_b32_e32 v3, 0x7f800001
	v_bfe_u32 v2, v0, 16, 7
	v_mov_b32_e32 v4, 0
	s_mov_b32 s25, exec_lo
	buffer_store_dword v3, off, s[0:3], s32 offset:744 ; 4-byte Folded Spill
	buffer_store_dword v4, off, s[0:3], s32 offset:748 ; 4-byte Folded Spill
	v_cmpx_ne_u32_e32 0x7f, v2
	s_cbranch_execz .LBB237_521
; %bb.518:                              ;   in Loop: Header=BB237_16 Depth=1
	v_mov_b32_e32 v1, 7
	s_mov_b32 s26, exec_lo
	v_and_b32_sdwa v48, v0, v1 dst_sel:DWORD dst_unused:UNUSED_PAD src0_sel:WORD_1 src1_sel:DWORD
	v_lshrrev_b32_e32 v1, 3, v2
	v_cmpx_gt_u32_e32 8, v2
; %bb.519:                              ;   in Loop: Header=BB237_16 Depth=1
	v_ffbh_u32_e32 v1, v48
	v_min_u32_e32 v1, 32, v1
	v_subrev_nc_u32_e32 v2, 28, v1
	v_sub_nc_u32_e32 v1, 29, v1
	v_lshlrev_b64 v[2:3], v2, v[48:49]
	v_and_b32_e32 v48, 7, v2
; %bb.520:                              ;   in Loop: Header=BB237_16 Depth=1
	s_or_b32 exec_lo, exec_lo, s26
	v_mov_b32_e32 v2, 24
	v_lshlrev_b32_e32 v3, 20, v48
	v_lshl_add_u32 v1, v1, 23, 0x3c000000
	v_lshlrev_b32_sdwa v2, v2, v0 dst_sel:DWORD dst_unused:UNUSED_PAD src0_sel:DWORD src1_sel:WORD_1
	v_and_b32_e32 v2, 0x80000000, v2
	v_or3_b32 v48, v3, v2, v1
	buffer_store_dword v48, off, s[0:3], s32 offset:744 ; 4-byte Folded Spill
	buffer_store_dword v49, off, s[0:3], s32 offset:748 ; 4-byte Folded Spill
.LBB237_521:                            ;   in Loop: Header=BB237_16 Depth=1
	s_or_b32 exec_lo, exec_lo, s25
.LBB237_522:                            ;   in Loop: Header=BB237_16 Depth=1
	s_or_b32 exec_lo, exec_lo, s24
.LBB237_523:                            ;   in Loop: Header=BB237_16 Depth=1
	s_or_b32 exec_lo, exec_lo, s23
	s_mov_b32 s23, exec_lo
	v_cmpx_lt_u32_e32 0xffffff, v0
	s_cbranch_execz .LBB237_531
; %bb.524:                              ;   in Loop: Header=BB237_16 Depth=1
	v_mov_b32_e32 v1, 0x80
	v_mov_b32_e32 v34, v49
	buffer_store_dword v34, off, s[0:3], s32 offset:736 ; 4-byte Folded Spill
	buffer_store_dword v35, off, s[0:3], s32 offset:740 ; 4-byte Folded Spill
	v_cmp_ne_u32_sdwa s5, v0, v1 src0_sel:BYTE_3 src1_sel:DWORD
	s_and_saveexec_b32 s24, s5
	s_cbranch_execz .LBB237_530
; %bb.525:                              ;   in Loop: Header=BB237_16 Depth=1
	v_bfe_u32 v2, v0, 24, 7
	v_mov_b32_e32 v62, v49
	s_mov_b32 s25, exec_lo
	buffer_store_dword v62, off, s[0:3], s32 offset:736 ; 4-byte Folded Spill
	buffer_store_dword v63, off, s[0:3], s32 offset:740 ; 4-byte Folded Spill
	v_cmpx_ne_u32_e32 0x7f, v2
	s_cbranch_execz .LBB237_529
; %bb.526:                              ;   in Loop: Header=BB237_16 Depth=1
	v_mov_b32_e32 v1, 7
	s_mov_b32 s26, exec_lo
	v_and_b32_sdwa v48, v0, v1 dst_sel:DWORD dst_unused:UNUSED_PAD src0_sel:BYTE_3 src1_sel:DWORD
	v_lshrrev_b32_e32 v1, 3, v2
	v_cmpx_gt_u32_e32 8, v2
; %bb.527:                              ;   in Loop: Header=BB237_16 Depth=1
	v_ffbh_u32_e32 v1, v48
	v_min_u32_e32 v1, 32, v1
	v_subrev_nc_u32_e32 v2, 28, v1
	v_sub_nc_u32_e32 v1, 29, v1
	v_lshlrev_b64 v[2:3], v2, v[48:49]
	v_and_b32_e32 v48, 7, v2
; %bb.528:                              ;   in Loop: Header=BB237_16 Depth=1
	s_or_b32 exec_lo, exec_lo, s26
	v_mov_b32_e32 v2, 24
	v_lshl_add_u32 v1, v1, 23, 0x3c000000
	v_lshlrev_b32_sdwa v0, v2, v0 dst_sel:DWORD dst_unused:UNUSED_PAD src0_sel:DWORD src1_sel:BYTE_3
	v_lshlrev_b32_e32 v2, 20, v48
	v_and_b32_e32 v0, 0x80000000, v0
	v_or3_b32 v1, v2, v0, v1
	v_mov_b32_e32 v0, v49
	buffer_store_dword v0, off, s[0:3], s32 offset:736 ; 4-byte Folded Spill
	buffer_store_dword v1, off, s[0:3], s32 offset:740 ; 4-byte Folded Spill
.LBB237_529:                            ;   in Loop: Header=BB237_16 Depth=1
	s_or_b32 exec_lo, exec_lo, s25
.LBB237_530:                            ;   in Loop: Header=BB237_16 Depth=1
	s_or_b32 exec_lo, exec_lo, s24
.LBB237_531:                            ;   in Loop: Header=BB237_16 Depth=1
	s_or_b32 exec_lo, exec_lo, s23
	v_add_co_u32 v84, s5, 0x800, v16
	v_add_co_ci_u32_e64 v85, null, 0, v17, s5
	v_mov_b32_e32 v30, 0
	v_mov_b32_e32 v52, 0
	;; [unrolled: 1-line block ×3, first 2 shown]
	flat_load_dword v0, v[84:85]
	v_mov_b32_e32 v53, 0
	s_waitcnt vmcnt(0) lgkmcnt(0)
	v_cmp_ne_u16_sdwa s5, v0, v49 src0_sel:BYTE_0 src1_sel:DWORD
	s_and_saveexec_b32 s23, s5
	s_cbranch_execz .LBB237_539
; %bb.532:                              ;   in Loop: Header=BB237_16 Depth=1
	v_mov_b32_e32 v1, 0x80
	v_bfrev_b32_e32 v52, 1
	v_mov_b32_e32 v53, 0
	v_cmp_ne_u16_sdwa s5, v0, v1 src0_sel:BYTE_0 src1_sel:DWORD
	s_and_saveexec_b32 s24, s5
	s_cbranch_execz .LBB237_538
; %bb.533:                              ;   in Loop: Header=BB237_16 Depth=1
	v_mov_b32_e32 v52, 0x7f800001
	v_and_b32_e32 v2, 0x7f, v0
	v_mov_b32_e32 v53, 0
	s_mov_b32 s25, exec_lo
	v_cmpx_ne_u32_e32 0x7f, v2
	s_cbranch_execz .LBB237_537
; %bb.534:                              ;   in Loop: Header=BB237_16 Depth=1
	v_and_b32_e32 v48, 7, v0
	v_lshrrev_b32_e32 v1, 3, v2
	s_mov_b32 s26, exec_lo
	v_cmpx_gt_u32_e32 8, v2
; %bb.535:                              ;   in Loop: Header=BB237_16 Depth=1
	v_ffbh_u32_e32 v1, v48
	v_min_u32_e32 v1, 32, v1
	v_subrev_nc_u32_e32 v2, 28, v1
	v_sub_nc_u32_e32 v1, 29, v1
	v_lshlrev_b64 v[2:3], v2, v[48:49]
	v_and_b32_e32 v48, 7, v2
; %bb.536:                              ;   in Loop: Header=BB237_16 Depth=1
	s_or_b32 exec_lo, exec_lo, s26
	v_lshlrev_b32_e32 v2, 24, v0
	v_lshlrev_b32_e32 v3, 20, v48
	v_lshl_add_u32 v1, v1, 23, 0x3c000000
	v_and_b32_e32 v2, 0x80000000, v2
	v_or3_b32 v48, v3, v2, v1
	v_mov_b32_e32 v53, v49
	v_mov_b32_e32 v52, v48
.LBB237_537:                            ;   in Loop: Header=BB237_16 Depth=1
	s_or_b32 exec_lo, exec_lo, s25
.LBB237_538:                            ;   in Loop: Header=BB237_16 Depth=1
	s_or_b32 exec_lo, exec_lo, s24
.LBB237_539:                            ;   in Loop: Header=BB237_16 Depth=1
	s_or_b32 exec_lo, exec_lo, s23
	v_cmp_ne_u16_sdwa s5, v0, v49 src0_sel:BYTE_1 src1_sel:DWORD
	s_and_saveexec_b32 s23, s5
	s_cbranch_execz .LBB237_547
; %bb.540:                              ;   in Loop: Header=BB237_16 Depth=1
	v_mov_b32_e32 v34, v49
	v_mov_b32_e32 v1, 0x80
	;; [unrolled: 1-line block ×3, first 2 shown]
	v_cmp_ne_u16_sdwa s5, v0, v1 src0_sel:BYTE_1 src1_sel:DWORD
	v_mov_b32_e32 v31, v35
	s_and_saveexec_b32 s24, s5
	s_cbranch_execz .LBB237_546
; %bb.541:                              ;   in Loop: Header=BB237_16 Depth=1
	v_mov_b32_e32 v1, 0xffff
	v_mov_b32_e32 v62, v49
	s_mov_b32 s25, exec_lo
	v_and_b32_sdwa v1, v1, v0 dst_sel:DWORD dst_unused:UNUSED_PAD src0_sel:DWORD src1_sel:BYTE_1
	v_mov_b32_e32 v30, v62
	v_mov_b32_e32 v31, v63
	v_and_b32_e32 v2, 0x7f, v1
	v_cmpx_ne_u32_e32 0x7f, v2
	s_cbranch_execz .LBB237_545
; %bb.542:                              ;   in Loop: Header=BB237_16 Depth=1
	v_and_b32_e32 v48, 7, v1
	v_lshrrev_b32_e32 v1, 3, v2
	s_mov_b32 s26, exec_lo
	v_cmpx_gt_u32_e32 8, v2
; %bb.543:                              ;   in Loop: Header=BB237_16 Depth=1
	v_ffbh_u32_e32 v1, v48
	v_min_u32_e32 v1, 32, v1
	v_subrev_nc_u32_e32 v2, 28, v1
	v_sub_nc_u32_e32 v1, 29, v1
	v_lshlrev_b64 v[2:3], v2, v[48:49]
	v_and_b32_e32 v48, 7, v2
; %bb.544:                              ;   in Loop: Header=BB237_16 Depth=1
	s_or_b32 exec_lo, exec_lo, s26
	v_lshlrev_b32_e32 v2, 16, v0
	v_lshlrev_b32_e32 v3, 20, v48
	v_lshl_add_u32 v1, v1, 23, 0x3c000000
	v_mov_b32_e32 v30, v49
	v_and_b32_e32 v2, 0x80000000, v2
	v_or3_b32 v31, v3, v2, v1
.LBB237_545:                            ;   in Loop: Header=BB237_16 Depth=1
	s_or_b32 exec_lo, exec_lo, s25
.LBB237_546:                            ;   in Loop: Header=BB237_16 Depth=1
	s_or_b32 exec_lo, exec_lo, s24
.LBB237_547:                            ;   in Loop: Header=BB237_16 Depth=1
	s_or_b32 exec_lo, exec_lo, s23
	v_mov_b32_e32 v68, 0
	v_mov_b32_e32 v24, 0
	v_and_b32_sdwa v1, v0, v10 dst_sel:DWORD dst_unused:UNUSED_PAD src0_sel:WORD_1 src1_sel:DWORD
	v_mov_b32_e32 v69, 0
	v_mov_b32_e32 v25, 0
	s_mov_b32 s23, exec_lo
	v_cmpx_ne_u16_e32 0, v1
	s_cbranch_execz .LBB237_555
; %bb.548:                              ;   in Loop: Header=BB237_16 Depth=1
	v_bfrev_b32_e32 v24, 1
	v_mov_b32_e32 v25, 0
	s_mov_b32 s24, exec_lo
	v_cmpx_ne_u16_e32 0x80, v1
	s_cbranch_execz .LBB237_554
; %bb.549:                              ;   in Loop: Header=BB237_16 Depth=1
	v_mov_b32_e32 v24, 0x7f800001
	v_bfe_u32 v2, v0, 16, 7
	v_mov_b32_e32 v25, 0
	s_mov_b32 s25, exec_lo
	v_cmpx_ne_u32_e32 0x7f, v2
	s_cbranch_execz .LBB237_553
; %bb.550:                              ;   in Loop: Header=BB237_16 Depth=1
	v_mov_b32_e32 v1, 7
	s_mov_b32 s26, exec_lo
	v_and_b32_sdwa v48, v0, v1 dst_sel:DWORD dst_unused:UNUSED_PAD src0_sel:WORD_1 src1_sel:DWORD
	v_lshrrev_b32_e32 v1, 3, v2
	v_cmpx_gt_u32_e32 8, v2
; %bb.551:                              ;   in Loop: Header=BB237_16 Depth=1
	v_ffbh_u32_e32 v1, v48
	v_min_u32_e32 v1, 32, v1
	v_subrev_nc_u32_e32 v2, 28, v1
	v_sub_nc_u32_e32 v1, 29, v1
	v_lshlrev_b64 v[2:3], v2, v[48:49]
	v_and_b32_e32 v48, 7, v2
; %bb.552:                              ;   in Loop: Header=BB237_16 Depth=1
	s_or_b32 exec_lo, exec_lo, s26
	v_mov_b32_e32 v2, 24
	v_lshlrev_b32_e32 v3, 20, v48
	v_lshl_add_u32 v1, v1, 23, 0x3c000000
	v_lshlrev_b32_sdwa v2, v2, v0 dst_sel:DWORD dst_unused:UNUSED_PAD src0_sel:DWORD src1_sel:WORD_1
	v_and_b32_e32 v2, 0x80000000, v2
	v_or3_b32 v48, v3, v2, v1
	v_mov_b32_e32 v24, v48
	v_mov_b32_e32 v25, v49
.LBB237_553:                            ;   in Loop: Header=BB237_16 Depth=1
	s_or_b32 exec_lo, exec_lo, s25
.LBB237_554:                            ;   in Loop: Header=BB237_16 Depth=1
	s_or_b32 exec_lo, exec_lo, s24
.LBB237_555:                            ;   in Loop: Header=BB237_16 Depth=1
	s_or_b32 exec_lo, exec_lo, s23
	s_mov_b32 s23, exec_lo
	v_cmpx_lt_u32_e32 0xffffff, v0
	s_cbranch_execz .LBB237_563
; %bb.556:                              ;   in Loop: Header=BB237_16 Depth=1
	v_mov_b32_e32 v34, v49
	v_mov_b32_e32 v1, 0x80
	;; [unrolled: 1-line block ×4, first 2 shown]
	v_cmp_ne_u32_sdwa s5, v0, v1 src0_sel:BYTE_3 src1_sel:DWORD
	s_and_saveexec_b32 s24, s5
	s_cbranch_execz .LBB237_562
; %bb.557:                              ;   in Loop: Header=BB237_16 Depth=1
	v_mov_b32_e32 v62, v49
	v_mov_b32_e32 v69, v63
	v_bfe_u32 v2, v0, 24, 7
	s_mov_b32 s25, exec_lo
	v_mov_b32_e32 v68, v62
	v_cmpx_ne_u32_e32 0x7f, v2
	s_cbranch_execz .LBB237_561
; %bb.558:                              ;   in Loop: Header=BB237_16 Depth=1
	v_mov_b32_e32 v1, 7
	s_mov_b32 s26, exec_lo
	v_and_b32_sdwa v48, v0, v1 dst_sel:DWORD dst_unused:UNUSED_PAD src0_sel:BYTE_3 src1_sel:DWORD
	v_lshrrev_b32_e32 v1, 3, v2
	v_cmpx_gt_u32_e32 8, v2
; %bb.559:                              ;   in Loop: Header=BB237_16 Depth=1
	v_ffbh_u32_e32 v1, v48
	v_min_u32_e32 v1, 32, v1
	v_subrev_nc_u32_e32 v2, 28, v1
	v_sub_nc_u32_e32 v1, 29, v1
	v_lshlrev_b64 v[2:3], v2, v[48:49]
	v_and_b32_e32 v48, 7, v2
; %bb.560:                              ;   in Loop: Header=BB237_16 Depth=1
	s_or_b32 exec_lo, exec_lo, s26
	v_mov_b32_e32 v2, 24
	v_lshl_add_u32 v1, v1, 23, 0x3c000000
	v_mov_b32_e32 v68, v49
	v_lshlrev_b32_sdwa v0, v2, v0 dst_sel:DWORD dst_unused:UNUSED_PAD src0_sel:DWORD src1_sel:BYTE_3
	v_lshlrev_b32_e32 v2, 20, v48
	v_and_b32_e32 v0, 0x80000000, v0
	v_or3_b32 v69, v2, v0, v1
.LBB237_561:                            ;   in Loop: Header=BB237_16 Depth=1
	s_or_b32 exec_lo, exec_lo, s25
.LBB237_562:                            ;   in Loop: Header=BB237_16 Depth=1
	s_or_b32 exec_lo, exec_lo, s24
.LBB237_563:                            ;   in Loop: Header=BB237_16 Depth=1
	s_or_b32 exec_lo, exec_lo, s23
	flat_load_dword v0, v[84:85] offset:4
	v_mov_b32_e32 v50, 0
	v_mov_b32_e32 v70, 0
	;; [unrolled: 1-line block ×4, first 2 shown]
	s_waitcnt vmcnt(0) lgkmcnt(0)
	v_cmp_ne_u16_sdwa s5, v0, v49 src0_sel:BYTE_0 src1_sel:DWORD
	s_and_saveexec_b32 s23, s5
	s_cbranch_execz .LBB237_571
; %bb.564:                              ;   in Loop: Header=BB237_16 Depth=1
	v_mov_b32_e32 v1, 0x80
	v_bfrev_b32_e32 v70, 1
	v_mov_b32_e32 v71, 0
	v_cmp_ne_u16_sdwa s5, v0, v1 src0_sel:BYTE_0 src1_sel:DWORD
	s_and_saveexec_b32 s24, s5
	s_cbranch_execz .LBB237_570
; %bb.565:                              ;   in Loop: Header=BB237_16 Depth=1
	v_mov_b32_e32 v70, 0x7f800001
	v_and_b32_e32 v2, 0x7f, v0
	v_mov_b32_e32 v71, 0
	s_mov_b32 s25, exec_lo
	v_cmpx_ne_u32_e32 0x7f, v2
	s_cbranch_execz .LBB237_569
; %bb.566:                              ;   in Loop: Header=BB237_16 Depth=1
	v_and_b32_e32 v48, 7, v0
	v_lshrrev_b32_e32 v1, 3, v2
	s_mov_b32 s26, exec_lo
	v_cmpx_gt_u32_e32 8, v2
; %bb.567:                              ;   in Loop: Header=BB237_16 Depth=1
	v_ffbh_u32_e32 v1, v48
	v_min_u32_e32 v1, 32, v1
	v_subrev_nc_u32_e32 v2, 28, v1
	v_sub_nc_u32_e32 v1, 29, v1
	v_lshlrev_b64 v[2:3], v2, v[48:49]
	v_and_b32_e32 v48, 7, v2
; %bb.568:                              ;   in Loop: Header=BB237_16 Depth=1
	s_or_b32 exec_lo, exec_lo, s26
	v_lshlrev_b32_e32 v2, 24, v0
	v_lshlrev_b32_e32 v3, 20, v48
	v_lshl_add_u32 v1, v1, 23, 0x3c000000
	v_and_b32_e32 v2, 0x80000000, v2
	v_or3_b32 v48, v3, v2, v1
	v_mov_b32_e32 v71, v49
	v_mov_b32_e32 v70, v48
.LBB237_569:                            ;   in Loop: Header=BB237_16 Depth=1
	s_or_b32 exec_lo, exec_lo, s25
.LBB237_570:                            ;   in Loop: Header=BB237_16 Depth=1
	s_or_b32 exec_lo, exec_lo, s24
.LBB237_571:                            ;   in Loop: Header=BB237_16 Depth=1
	s_or_b32 exec_lo, exec_lo, s23
	v_cmp_ne_u16_sdwa s5, v0, v49 src0_sel:BYTE_1 src1_sel:DWORD
	s_and_saveexec_b32 s23, s5
	s_cbranch_execz .LBB237_579
; %bb.572:                              ;   in Loop: Header=BB237_16 Depth=1
	v_mov_b32_e32 v34, v49
	v_mov_b32_e32 v1, 0x80
	;; [unrolled: 1-line block ×4, first 2 shown]
	v_cmp_ne_u16_sdwa s5, v0, v1 src0_sel:BYTE_1 src1_sel:DWORD
	s_and_saveexec_b32 s24, s5
	s_cbranch_execz .LBB237_578
; %bb.573:                              ;   in Loop: Header=BB237_16 Depth=1
	v_mov_b32_e32 v1, 0xffff
	v_mov_b32_e32 v62, v49
	s_mov_b32 s25, exec_lo
	v_and_b32_sdwa v1, v1, v0 dst_sel:DWORD dst_unused:UNUSED_PAD src0_sel:DWORD src1_sel:BYTE_1
	v_mov_b32_e32 v50, v62
	v_mov_b32_e32 v51, v63
	v_and_b32_e32 v2, 0x7f, v1
	v_cmpx_ne_u32_e32 0x7f, v2
	s_cbranch_execz .LBB237_577
; %bb.574:                              ;   in Loop: Header=BB237_16 Depth=1
	v_and_b32_e32 v48, 7, v1
	v_lshrrev_b32_e32 v1, 3, v2
	s_mov_b32 s26, exec_lo
	v_cmpx_gt_u32_e32 8, v2
; %bb.575:                              ;   in Loop: Header=BB237_16 Depth=1
	v_ffbh_u32_e32 v1, v48
	v_min_u32_e32 v1, 32, v1
	v_subrev_nc_u32_e32 v2, 28, v1
	v_sub_nc_u32_e32 v1, 29, v1
	v_lshlrev_b64 v[2:3], v2, v[48:49]
	v_and_b32_e32 v48, 7, v2
; %bb.576:                              ;   in Loop: Header=BB237_16 Depth=1
	s_or_b32 exec_lo, exec_lo, s26
	v_lshlrev_b32_e32 v2, 16, v0
	v_lshlrev_b32_e32 v3, 20, v48
	v_lshl_add_u32 v1, v1, 23, 0x3c000000
	v_mov_b32_e32 v50, v49
	v_and_b32_e32 v2, 0x80000000, v2
	v_or3_b32 v51, v3, v2, v1
.LBB237_577:                            ;   in Loop: Header=BB237_16 Depth=1
	s_or_b32 exec_lo, exec_lo, s25
.LBB237_578:                            ;   in Loop: Header=BB237_16 Depth=1
	s_or_b32 exec_lo, exec_lo, s24
.LBB237_579:                            ;   in Loop: Header=BB237_16 Depth=1
	s_or_b32 exec_lo, exec_lo, s23
	v_mov_b32_e32 v64, 0
	v_mov_b32_e32 v86, 0
	v_and_b32_sdwa v1, v0, v10 dst_sel:DWORD dst_unused:UNUSED_PAD src0_sel:WORD_1 src1_sel:DWORD
	v_mov_b32_e32 v65, 0
	v_mov_b32_e32 v87, 0
	s_mov_b32 s23, exec_lo
	v_cmpx_ne_u16_e32 0, v1
	s_cbranch_execz .LBB237_587
; %bb.580:                              ;   in Loop: Header=BB237_16 Depth=1
	v_bfrev_b32_e32 v86, 1
	v_mov_b32_e32 v87, 0
	s_mov_b32 s24, exec_lo
	v_cmpx_ne_u16_e32 0x80, v1
	s_cbranch_execz .LBB237_586
; %bb.581:                              ;   in Loop: Header=BB237_16 Depth=1
	v_mov_b32_e32 v86, 0x7f800001
	v_bfe_u32 v2, v0, 16, 7
	v_mov_b32_e32 v87, 0
	s_mov_b32 s25, exec_lo
	v_cmpx_ne_u32_e32 0x7f, v2
	s_cbranch_execz .LBB237_585
; %bb.582:                              ;   in Loop: Header=BB237_16 Depth=1
	v_mov_b32_e32 v1, 7
	s_mov_b32 s26, exec_lo
	v_and_b32_sdwa v48, v0, v1 dst_sel:DWORD dst_unused:UNUSED_PAD src0_sel:WORD_1 src1_sel:DWORD
	v_lshrrev_b32_e32 v1, 3, v2
	v_cmpx_gt_u32_e32 8, v2
; %bb.583:                              ;   in Loop: Header=BB237_16 Depth=1
	v_ffbh_u32_e32 v1, v48
	v_min_u32_e32 v1, 32, v1
	v_subrev_nc_u32_e32 v2, 28, v1
	v_sub_nc_u32_e32 v1, 29, v1
	v_lshlrev_b64 v[2:3], v2, v[48:49]
	v_and_b32_e32 v48, 7, v2
; %bb.584:                              ;   in Loop: Header=BB237_16 Depth=1
	s_or_b32 exec_lo, exec_lo, s26
	v_mov_b32_e32 v2, 24
	v_lshlrev_b32_e32 v3, 20, v48
	v_lshl_add_u32 v1, v1, 23, 0x3c000000
	v_lshlrev_b32_sdwa v2, v2, v0 dst_sel:DWORD dst_unused:UNUSED_PAD src0_sel:DWORD src1_sel:WORD_1
	v_and_b32_e32 v2, 0x80000000, v2
	v_or3_b32 v48, v3, v2, v1
	v_mov_b32_e32 v87, v49
	v_mov_b32_e32 v86, v48
.LBB237_585:                            ;   in Loop: Header=BB237_16 Depth=1
	s_or_b32 exec_lo, exec_lo, s25
.LBB237_586:                            ;   in Loop: Header=BB237_16 Depth=1
	s_or_b32 exec_lo, exec_lo, s24
.LBB237_587:                            ;   in Loop: Header=BB237_16 Depth=1
	s_or_b32 exec_lo, exec_lo, s23
	s_mov_b32 s23, exec_lo
	v_cmpx_lt_u32_e32 0xffffff, v0
	s_cbranch_execz .LBB237_595
; %bb.588:                              ;   in Loop: Header=BB237_16 Depth=1
	v_mov_b32_e32 v34, v49
	v_mov_b32_e32 v1, 0x80
	;; [unrolled: 1-line block ×4, first 2 shown]
	v_cmp_ne_u32_sdwa s5, v0, v1 src0_sel:BYTE_3 src1_sel:DWORD
	s_and_saveexec_b32 s24, s5
	s_cbranch_execz .LBB237_594
; %bb.589:                              ;   in Loop: Header=BB237_16 Depth=1
	v_mov_b32_e32 v62, v49
	v_mov_b32_e32 v65, v63
	v_bfe_u32 v2, v0, 24, 7
	s_mov_b32 s25, exec_lo
	v_mov_b32_e32 v64, v62
	v_cmpx_ne_u32_e32 0x7f, v2
	s_cbranch_execz .LBB237_593
; %bb.590:                              ;   in Loop: Header=BB237_16 Depth=1
	v_mov_b32_e32 v1, 7
	s_mov_b32 s26, exec_lo
	v_and_b32_sdwa v48, v0, v1 dst_sel:DWORD dst_unused:UNUSED_PAD src0_sel:BYTE_3 src1_sel:DWORD
	v_lshrrev_b32_e32 v1, 3, v2
	v_cmpx_gt_u32_e32 8, v2
; %bb.591:                              ;   in Loop: Header=BB237_16 Depth=1
	v_ffbh_u32_e32 v1, v48
	v_min_u32_e32 v1, 32, v1
	v_subrev_nc_u32_e32 v2, 28, v1
	v_sub_nc_u32_e32 v1, 29, v1
	v_lshlrev_b64 v[2:3], v2, v[48:49]
	v_and_b32_e32 v48, 7, v2
; %bb.592:                              ;   in Loop: Header=BB237_16 Depth=1
	s_or_b32 exec_lo, exec_lo, s26
	v_mov_b32_e32 v2, 24
	v_lshl_add_u32 v1, v1, 23, 0x3c000000
	v_mov_b32_e32 v64, v49
	v_lshlrev_b32_sdwa v0, v2, v0 dst_sel:DWORD dst_unused:UNUSED_PAD src0_sel:DWORD src1_sel:BYTE_3
	v_lshlrev_b32_e32 v2, 20, v48
	v_and_b32_e32 v0, 0x80000000, v0
	v_or3_b32 v65, v2, v0, v1
.LBB237_593:                            ;   in Loop: Header=BB237_16 Depth=1
	s_or_b32 exec_lo, exec_lo, s25
.LBB237_594:                            ;   in Loop: Header=BB237_16 Depth=1
	s_or_b32 exec_lo, exec_lo, s24
.LBB237_595:                            ;   in Loop: Header=BB237_16 Depth=1
	s_or_b32 exec_lo, exec_lo, s23
	flat_load_dword v0, v[84:85] offset:8
	v_mov_b32_e32 v100, 0
	v_mov_b32_e32 v66, 0
	v_mov_b32_e32 v101, 0
	v_mov_b32_e32 v67, 0
	s_waitcnt vmcnt(0) lgkmcnt(0)
	v_cmp_ne_u16_sdwa s5, v0, v49 src0_sel:BYTE_0 src1_sel:DWORD
	s_and_saveexec_b32 s23, s5
	s_cbranch_execz .LBB237_603
; %bb.596:                              ;   in Loop: Header=BB237_16 Depth=1
	v_mov_b32_e32 v1, 0x80
	v_bfrev_b32_e32 v66, 1
	v_mov_b32_e32 v67, 0
	v_cmp_ne_u16_sdwa s5, v0, v1 src0_sel:BYTE_0 src1_sel:DWORD
	s_and_saveexec_b32 s24, s5
	s_cbranch_execz .LBB237_602
; %bb.597:                              ;   in Loop: Header=BB237_16 Depth=1
	v_mov_b32_e32 v66, 0x7f800001
	v_and_b32_e32 v2, 0x7f, v0
	v_mov_b32_e32 v67, 0
	s_mov_b32 s25, exec_lo
	v_cmpx_ne_u32_e32 0x7f, v2
	s_cbranch_execz .LBB237_601
; %bb.598:                              ;   in Loop: Header=BB237_16 Depth=1
	v_and_b32_e32 v48, 7, v0
	v_lshrrev_b32_e32 v1, 3, v2
	s_mov_b32 s26, exec_lo
	v_cmpx_gt_u32_e32 8, v2
; %bb.599:                              ;   in Loop: Header=BB237_16 Depth=1
	v_ffbh_u32_e32 v1, v48
	v_min_u32_e32 v1, 32, v1
	v_subrev_nc_u32_e32 v2, 28, v1
	v_sub_nc_u32_e32 v1, 29, v1
	v_lshlrev_b64 v[2:3], v2, v[48:49]
	v_and_b32_e32 v48, 7, v2
; %bb.600:                              ;   in Loop: Header=BB237_16 Depth=1
	s_or_b32 exec_lo, exec_lo, s26
	v_lshlrev_b32_e32 v2, 24, v0
	v_lshlrev_b32_e32 v3, 20, v48
	v_lshl_add_u32 v1, v1, 23, 0x3c000000
	v_and_b32_e32 v2, 0x80000000, v2
	v_or3_b32 v48, v3, v2, v1
	v_mov_b32_e32 v67, v49
	v_mov_b32_e32 v66, v48
.LBB237_601:                            ;   in Loop: Header=BB237_16 Depth=1
	s_or_b32 exec_lo, exec_lo, s25
.LBB237_602:                            ;   in Loop: Header=BB237_16 Depth=1
	s_or_b32 exec_lo, exec_lo, s24
.LBB237_603:                            ;   in Loop: Header=BB237_16 Depth=1
	s_or_b32 exec_lo, exec_lo, s23
	v_cmp_ne_u16_sdwa s5, v0, v49 src0_sel:BYTE_1 src1_sel:DWORD
	s_and_saveexec_b32 s23, s5
	s_cbranch_execz .LBB237_611
; %bb.604:                              ;   in Loop: Header=BB237_16 Depth=1
	v_mov_b32_e32 v34, v49
	v_mov_b32_e32 v1, 0x80
	;; [unrolled: 1-line block ×4, first 2 shown]
	v_cmp_ne_u16_sdwa s5, v0, v1 src0_sel:BYTE_1 src1_sel:DWORD
	s_and_saveexec_b32 s24, s5
	s_cbranch_execz .LBB237_610
; %bb.605:                              ;   in Loop: Header=BB237_16 Depth=1
	v_mov_b32_e32 v1, 0xffff
	v_mov_b32_e32 v62, v49
	;; [unrolled: 1-line block ×3, first 2 shown]
	s_mov_b32 s25, exec_lo
	v_and_b32_sdwa v1, v1, v0 dst_sel:DWORD dst_unused:UNUSED_PAD src0_sel:DWORD src1_sel:BYTE_1
	v_mov_b32_e32 v100, v62
	v_and_b32_e32 v2, 0x7f, v1
	v_cmpx_ne_u32_e32 0x7f, v2
	s_cbranch_execz .LBB237_609
; %bb.606:                              ;   in Loop: Header=BB237_16 Depth=1
	v_and_b32_e32 v48, 7, v1
	v_lshrrev_b32_e32 v1, 3, v2
	s_mov_b32 s26, exec_lo
	v_cmpx_gt_u32_e32 8, v2
; %bb.607:                              ;   in Loop: Header=BB237_16 Depth=1
	v_ffbh_u32_e32 v1, v48
	v_min_u32_e32 v1, 32, v1
	v_subrev_nc_u32_e32 v2, 28, v1
	v_sub_nc_u32_e32 v1, 29, v1
	v_lshlrev_b64 v[2:3], v2, v[48:49]
	v_and_b32_e32 v48, 7, v2
; %bb.608:                              ;   in Loop: Header=BB237_16 Depth=1
	s_or_b32 exec_lo, exec_lo, s26
	v_lshlrev_b32_e32 v2, 16, v0
	v_lshlrev_b32_e32 v3, 20, v48
	v_lshl_add_u32 v1, v1, 23, 0x3c000000
	v_mov_b32_e32 v100, v49
	v_and_b32_e32 v2, 0x80000000, v2
	v_or3_b32 v101, v3, v2, v1
.LBB237_609:                            ;   in Loop: Header=BB237_16 Depth=1
	s_or_b32 exec_lo, exec_lo, s25
.LBB237_610:                            ;   in Loop: Header=BB237_16 Depth=1
	s_or_b32 exec_lo, exec_lo, s24
.LBB237_611:                            ;   in Loop: Header=BB237_16 Depth=1
	s_or_b32 exec_lo, exec_lo, s23
	v_mov_b32_e32 v80, 0
	v_mov_b32_e32 v102, 0
	v_and_b32_sdwa v1, v0, v10 dst_sel:DWORD dst_unused:UNUSED_PAD src0_sel:WORD_1 src1_sel:DWORD
	v_mov_b32_e32 v81, 0
	v_mov_b32_e32 v103, 0
	s_mov_b32 s23, exec_lo
	v_cmpx_ne_u16_e32 0, v1
	s_cbranch_execz .LBB237_619
; %bb.612:                              ;   in Loop: Header=BB237_16 Depth=1
	v_bfrev_b32_e32 v102, 1
	v_mov_b32_e32 v103, 0
	s_mov_b32 s24, exec_lo
	v_cmpx_ne_u16_e32 0x80, v1
	s_cbranch_execz .LBB237_618
; %bb.613:                              ;   in Loop: Header=BB237_16 Depth=1
	v_mov_b32_e32 v102, 0x7f800001
	v_bfe_u32 v2, v0, 16, 7
	v_mov_b32_e32 v103, 0
	s_mov_b32 s25, exec_lo
	v_cmpx_ne_u32_e32 0x7f, v2
	s_cbranch_execz .LBB237_617
; %bb.614:                              ;   in Loop: Header=BB237_16 Depth=1
	v_mov_b32_e32 v1, 7
	s_mov_b32 s26, exec_lo
	v_and_b32_sdwa v48, v0, v1 dst_sel:DWORD dst_unused:UNUSED_PAD src0_sel:WORD_1 src1_sel:DWORD
	v_lshrrev_b32_e32 v1, 3, v2
	v_cmpx_gt_u32_e32 8, v2
; %bb.615:                              ;   in Loop: Header=BB237_16 Depth=1
	v_ffbh_u32_e32 v1, v48
	v_min_u32_e32 v1, 32, v1
	v_subrev_nc_u32_e32 v2, 28, v1
	v_sub_nc_u32_e32 v1, 29, v1
	v_lshlrev_b64 v[2:3], v2, v[48:49]
	v_and_b32_e32 v48, 7, v2
; %bb.616:                              ;   in Loop: Header=BB237_16 Depth=1
	s_or_b32 exec_lo, exec_lo, s26
	v_mov_b32_e32 v2, 24
	v_lshlrev_b32_e32 v3, 20, v48
	v_lshl_add_u32 v1, v1, 23, 0x3c000000
	v_lshlrev_b32_sdwa v2, v2, v0 dst_sel:DWORD dst_unused:UNUSED_PAD src0_sel:DWORD src1_sel:WORD_1
	v_and_b32_e32 v2, 0x80000000, v2
	v_or3_b32 v48, v3, v2, v1
	v_mov_b32_e32 v103, v49
	v_mov_b32_e32 v102, v48
.LBB237_617:                            ;   in Loop: Header=BB237_16 Depth=1
	s_or_b32 exec_lo, exec_lo, s25
.LBB237_618:                            ;   in Loop: Header=BB237_16 Depth=1
	s_or_b32 exec_lo, exec_lo, s24
.LBB237_619:                            ;   in Loop: Header=BB237_16 Depth=1
	s_or_b32 exec_lo, exec_lo, s23
	s_mov_b32 s23, exec_lo
	v_cmpx_lt_u32_e32 0xffffff, v0
	s_cbranch_execz .LBB237_627
; %bb.620:                              ;   in Loop: Header=BB237_16 Depth=1
	v_mov_b32_e32 v34, v49
	v_mov_b32_e32 v1, 0x80
	;; [unrolled: 1-line block ×4, first 2 shown]
	v_cmp_ne_u32_sdwa s5, v0, v1 src0_sel:BYTE_3 src1_sel:DWORD
	s_and_saveexec_b32 s24, s5
	s_cbranch_execz .LBB237_626
; %bb.621:                              ;   in Loop: Header=BB237_16 Depth=1
	v_mov_b32_e32 v62, v49
	v_mov_b32_e32 v81, v63
	v_bfe_u32 v2, v0, 24, 7
	s_mov_b32 s25, exec_lo
	v_mov_b32_e32 v80, v62
	v_cmpx_ne_u32_e32 0x7f, v2
	s_cbranch_execz .LBB237_625
; %bb.622:                              ;   in Loop: Header=BB237_16 Depth=1
	v_mov_b32_e32 v1, 7
	s_mov_b32 s26, exec_lo
	v_and_b32_sdwa v48, v0, v1 dst_sel:DWORD dst_unused:UNUSED_PAD src0_sel:BYTE_3 src1_sel:DWORD
	v_lshrrev_b32_e32 v1, 3, v2
	v_cmpx_gt_u32_e32 8, v2
; %bb.623:                              ;   in Loop: Header=BB237_16 Depth=1
	v_ffbh_u32_e32 v1, v48
	v_min_u32_e32 v1, 32, v1
	v_subrev_nc_u32_e32 v2, 28, v1
	v_sub_nc_u32_e32 v1, 29, v1
	v_lshlrev_b64 v[2:3], v2, v[48:49]
	v_and_b32_e32 v48, 7, v2
; %bb.624:                              ;   in Loop: Header=BB237_16 Depth=1
	s_or_b32 exec_lo, exec_lo, s26
	v_mov_b32_e32 v2, 24
	v_lshl_add_u32 v1, v1, 23, 0x3c000000
	v_mov_b32_e32 v80, v49
	v_lshlrev_b32_sdwa v0, v2, v0 dst_sel:DWORD dst_unused:UNUSED_PAD src0_sel:DWORD src1_sel:BYTE_3
	v_lshlrev_b32_e32 v2, 20, v48
	v_and_b32_e32 v0, 0x80000000, v0
	v_or3_b32 v81, v2, v0, v1
.LBB237_625:                            ;   in Loop: Header=BB237_16 Depth=1
	s_or_b32 exec_lo, exec_lo, s25
.LBB237_626:                            ;   in Loop: Header=BB237_16 Depth=1
	s_or_b32 exec_lo, exec_lo, s24
.LBB237_627:                            ;   in Loop: Header=BB237_16 Depth=1
	s_or_b32 exec_lo, exec_lo, s23
	flat_load_dword v0, v[84:85] offset:12
	v_mov_b32_e32 v116, 0
	v_mov_b32_e32 v82, 0
	v_mov_b32_e32 v117, 0
	v_mov_b32_e32 v83, 0
	s_waitcnt vmcnt(0) lgkmcnt(0)
	v_cmp_ne_u16_sdwa s5, v0, v49 src0_sel:BYTE_0 src1_sel:DWORD
	s_and_saveexec_b32 s23, s5
	s_cbranch_execz .LBB237_635
; %bb.628:                              ;   in Loop: Header=BB237_16 Depth=1
	v_mov_b32_e32 v1, 0x80
	v_bfrev_b32_e32 v82, 1
	v_mov_b32_e32 v83, 0
	v_cmp_ne_u16_sdwa s5, v0, v1 src0_sel:BYTE_0 src1_sel:DWORD
	s_and_saveexec_b32 s24, s5
	s_cbranch_execz .LBB237_634
; %bb.629:                              ;   in Loop: Header=BB237_16 Depth=1
	v_mov_b32_e32 v82, 0x7f800001
	v_and_b32_e32 v2, 0x7f, v0
	v_mov_b32_e32 v83, 0
	s_mov_b32 s25, exec_lo
	v_cmpx_ne_u32_e32 0x7f, v2
	s_cbranch_execz .LBB237_633
; %bb.630:                              ;   in Loop: Header=BB237_16 Depth=1
	v_and_b32_e32 v48, 7, v0
	v_lshrrev_b32_e32 v1, 3, v2
	s_mov_b32 s26, exec_lo
	v_cmpx_gt_u32_e32 8, v2
; %bb.631:                              ;   in Loop: Header=BB237_16 Depth=1
	v_ffbh_u32_e32 v1, v48
	v_min_u32_e32 v1, 32, v1
	v_subrev_nc_u32_e32 v2, 28, v1
	v_sub_nc_u32_e32 v1, 29, v1
	v_lshlrev_b64 v[2:3], v2, v[48:49]
	v_and_b32_e32 v48, 7, v2
; %bb.632:                              ;   in Loop: Header=BB237_16 Depth=1
	s_or_b32 exec_lo, exec_lo, s26
	v_lshlrev_b32_e32 v2, 24, v0
	v_lshlrev_b32_e32 v3, 20, v48
	v_lshl_add_u32 v1, v1, 23, 0x3c000000
	v_and_b32_e32 v2, 0x80000000, v2
	v_or3_b32 v48, v3, v2, v1
	v_mov_b32_e32 v83, v49
	v_mov_b32_e32 v82, v48
.LBB237_633:                            ;   in Loop: Header=BB237_16 Depth=1
	s_or_b32 exec_lo, exec_lo, s25
.LBB237_634:                            ;   in Loop: Header=BB237_16 Depth=1
	s_or_b32 exec_lo, exec_lo, s24
.LBB237_635:                            ;   in Loop: Header=BB237_16 Depth=1
	s_or_b32 exec_lo, exec_lo, s23
	v_cmp_ne_u16_sdwa s5, v0, v49 src0_sel:BYTE_1 src1_sel:DWORD
	s_and_saveexec_b32 s23, s5
	s_cbranch_execz .LBB237_643
; %bb.636:                              ;   in Loop: Header=BB237_16 Depth=1
	v_mov_b32_e32 v34, v49
	v_mov_b32_e32 v1, 0x80
	;; [unrolled: 1-line block ×4, first 2 shown]
	v_cmp_ne_u16_sdwa s5, v0, v1 src0_sel:BYTE_1 src1_sel:DWORD
	s_and_saveexec_b32 s24, s5
	s_cbranch_execz .LBB237_642
; %bb.637:                              ;   in Loop: Header=BB237_16 Depth=1
	v_mov_b32_e32 v1, 0xffff
	v_mov_b32_e32 v62, v49
	;; [unrolled: 1-line block ×3, first 2 shown]
	s_mov_b32 s25, exec_lo
	v_and_b32_sdwa v1, v1, v0 dst_sel:DWORD dst_unused:UNUSED_PAD src0_sel:DWORD src1_sel:BYTE_1
	v_mov_b32_e32 v116, v62
	v_and_b32_e32 v2, 0x7f, v1
	v_cmpx_ne_u32_e32 0x7f, v2
	s_cbranch_execz .LBB237_641
; %bb.638:                              ;   in Loop: Header=BB237_16 Depth=1
	v_and_b32_e32 v48, 7, v1
	v_lshrrev_b32_e32 v1, 3, v2
	s_mov_b32 s26, exec_lo
	v_cmpx_gt_u32_e32 8, v2
; %bb.639:                              ;   in Loop: Header=BB237_16 Depth=1
	v_ffbh_u32_e32 v1, v48
	v_min_u32_e32 v1, 32, v1
	v_subrev_nc_u32_e32 v2, 28, v1
	v_sub_nc_u32_e32 v1, 29, v1
	v_lshlrev_b64 v[2:3], v2, v[48:49]
	v_and_b32_e32 v48, 7, v2
; %bb.640:                              ;   in Loop: Header=BB237_16 Depth=1
	s_or_b32 exec_lo, exec_lo, s26
	v_lshlrev_b32_e32 v2, 16, v0
	v_lshlrev_b32_e32 v3, 20, v48
	v_lshl_add_u32 v1, v1, 23, 0x3c000000
	v_mov_b32_e32 v116, v49
	v_and_b32_e32 v2, 0x80000000, v2
	v_or3_b32 v117, v3, v2, v1
.LBB237_641:                            ;   in Loop: Header=BB237_16 Depth=1
	s_or_b32 exec_lo, exec_lo, s25
.LBB237_642:                            ;   in Loop: Header=BB237_16 Depth=1
	s_or_b32 exec_lo, exec_lo, s24
.LBB237_643:                            ;   in Loop: Header=BB237_16 Depth=1
	s_or_b32 exec_lo, exec_lo, s23
	v_mov_b32_e32 v96, 0
	v_mov_b32_e32 v118, 0
	v_and_b32_sdwa v1, v0, v10 dst_sel:DWORD dst_unused:UNUSED_PAD src0_sel:WORD_1 src1_sel:DWORD
	v_mov_b32_e32 v97, 0
	v_mov_b32_e32 v119, 0
	s_mov_b32 s23, exec_lo
	v_cmpx_ne_u16_e32 0, v1
	s_cbranch_execz .LBB237_651
; %bb.644:                              ;   in Loop: Header=BB237_16 Depth=1
	v_bfrev_b32_e32 v118, 1
	v_mov_b32_e32 v119, 0
	s_mov_b32 s24, exec_lo
	v_cmpx_ne_u16_e32 0x80, v1
	s_cbranch_execz .LBB237_650
; %bb.645:                              ;   in Loop: Header=BB237_16 Depth=1
	v_mov_b32_e32 v118, 0x7f800001
	v_bfe_u32 v2, v0, 16, 7
	v_mov_b32_e32 v119, 0
	s_mov_b32 s25, exec_lo
	v_cmpx_ne_u32_e32 0x7f, v2
	s_cbranch_execz .LBB237_649
; %bb.646:                              ;   in Loop: Header=BB237_16 Depth=1
	v_mov_b32_e32 v1, 7
	s_mov_b32 s26, exec_lo
	v_and_b32_sdwa v48, v0, v1 dst_sel:DWORD dst_unused:UNUSED_PAD src0_sel:WORD_1 src1_sel:DWORD
	v_lshrrev_b32_e32 v1, 3, v2
	v_cmpx_gt_u32_e32 8, v2
; %bb.647:                              ;   in Loop: Header=BB237_16 Depth=1
	v_ffbh_u32_e32 v1, v48
	v_min_u32_e32 v1, 32, v1
	v_subrev_nc_u32_e32 v2, 28, v1
	v_sub_nc_u32_e32 v1, 29, v1
	v_lshlrev_b64 v[2:3], v2, v[48:49]
	v_and_b32_e32 v48, 7, v2
; %bb.648:                              ;   in Loop: Header=BB237_16 Depth=1
	s_or_b32 exec_lo, exec_lo, s26
	v_mov_b32_e32 v2, 24
	v_lshlrev_b32_e32 v3, 20, v48
	v_lshl_add_u32 v1, v1, 23, 0x3c000000
	v_lshlrev_b32_sdwa v2, v2, v0 dst_sel:DWORD dst_unused:UNUSED_PAD src0_sel:DWORD src1_sel:WORD_1
	v_and_b32_e32 v2, 0x80000000, v2
	v_or3_b32 v48, v3, v2, v1
	v_mov_b32_e32 v119, v49
	v_mov_b32_e32 v118, v48
.LBB237_649:                            ;   in Loop: Header=BB237_16 Depth=1
	s_or_b32 exec_lo, exec_lo, s25
.LBB237_650:                            ;   in Loop: Header=BB237_16 Depth=1
	s_or_b32 exec_lo, exec_lo, s24
.LBB237_651:                            ;   in Loop: Header=BB237_16 Depth=1
	s_or_b32 exec_lo, exec_lo, s23
	s_mov_b32 s23, exec_lo
	v_cmpx_lt_u32_e32 0xffffff, v0
	s_cbranch_execz .LBB237_659
; %bb.652:                              ;   in Loop: Header=BB237_16 Depth=1
	v_mov_b32_e32 v34, v49
	v_mov_b32_e32 v1, 0x80
	;; [unrolled: 1-line block ×4, first 2 shown]
	v_cmp_ne_u32_sdwa s5, v0, v1 src0_sel:BYTE_3 src1_sel:DWORD
	s_and_saveexec_b32 s24, s5
	s_cbranch_execz .LBB237_658
; %bb.653:                              ;   in Loop: Header=BB237_16 Depth=1
	v_mov_b32_e32 v62, v49
	v_mov_b32_e32 v97, v63
	v_bfe_u32 v2, v0, 24, 7
	s_mov_b32 s25, exec_lo
	v_mov_b32_e32 v96, v62
	v_cmpx_ne_u32_e32 0x7f, v2
	s_cbranch_execz .LBB237_657
; %bb.654:                              ;   in Loop: Header=BB237_16 Depth=1
	v_mov_b32_e32 v1, 7
	s_mov_b32 s26, exec_lo
	v_and_b32_sdwa v48, v0, v1 dst_sel:DWORD dst_unused:UNUSED_PAD src0_sel:BYTE_3 src1_sel:DWORD
	v_lshrrev_b32_e32 v1, 3, v2
	v_cmpx_gt_u32_e32 8, v2
; %bb.655:                              ;   in Loop: Header=BB237_16 Depth=1
	v_ffbh_u32_e32 v1, v48
	v_min_u32_e32 v1, 32, v1
	v_subrev_nc_u32_e32 v2, 28, v1
	v_sub_nc_u32_e32 v1, 29, v1
	v_lshlrev_b64 v[2:3], v2, v[48:49]
	v_and_b32_e32 v48, 7, v2
; %bb.656:                              ;   in Loop: Header=BB237_16 Depth=1
	s_or_b32 exec_lo, exec_lo, s26
	v_mov_b32_e32 v2, 24
	v_lshl_add_u32 v1, v1, 23, 0x3c000000
	v_mov_b32_e32 v96, v49
	v_lshlrev_b32_sdwa v0, v2, v0 dst_sel:DWORD dst_unused:UNUSED_PAD src0_sel:DWORD src1_sel:BYTE_3
	v_lshlrev_b32_e32 v2, 20, v48
	v_and_b32_e32 v0, 0x80000000, v0
	v_or3_b32 v97, v2, v0, v1
.LBB237_657:                            ;   in Loop: Header=BB237_16 Depth=1
	s_or_b32 exec_lo, exec_lo, s25
.LBB237_658:                            ;   in Loop: Header=BB237_16 Depth=1
	s_or_b32 exec_lo, exec_lo, s24
.LBB237_659:                            ;   in Loop: Header=BB237_16 Depth=1
	s_or_b32 exec_lo, exec_lo, s23
	flat_load_dword v0, v[84:85] offset:512
	v_mov_b32_e32 v42, 0
	v_mov_b32_e32 v98, 0
	;; [unrolled: 1-line block ×4, first 2 shown]
	s_waitcnt vmcnt(0) lgkmcnt(0)
	v_cmp_ne_u16_sdwa s5, v0, v49 src0_sel:BYTE_0 src1_sel:DWORD
	s_and_saveexec_b32 s23, s5
	s_cbranch_execz .LBB237_667
; %bb.660:                              ;   in Loop: Header=BB237_16 Depth=1
	v_mov_b32_e32 v1, 0x80
	v_bfrev_b32_e32 v98, 1
	v_mov_b32_e32 v99, 0
	v_cmp_ne_u16_sdwa s5, v0, v1 src0_sel:BYTE_0 src1_sel:DWORD
	s_and_saveexec_b32 s24, s5
	s_cbranch_execz .LBB237_666
; %bb.661:                              ;   in Loop: Header=BB237_16 Depth=1
	v_mov_b32_e32 v98, 0x7f800001
	v_and_b32_e32 v2, 0x7f, v0
	v_mov_b32_e32 v99, 0
	s_mov_b32 s25, exec_lo
	v_cmpx_ne_u32_e32 0x7f, v2
	s_cbranch_execz .LBB237_665
; %bb.662:                              ;   in Loop: Header=BB237_16 Depth=1
	v_and_b32_e32 v48, 7, v0
	v_lshrrev_b32_e32 v1, 3, v2
	s_mov_b32 s26, exec_lo
	v_cmpx_gt_u32_e32 8, v2
; %bb.663:                              ;   in Loop: Header=BB237_16 Depth=1
	v_ffbh_u32_e32 v1, v48
	v_min_u32_e32 v1, 32, v1
	v_subrev_nc_u32_e32 v2, 28, v1
	v_sub_nc_u32_e32 v1, 29, v1
	v_lshlrev_b64 v[2:3], v2, v[48:49]
	v_and_b32_e32 v48, 7, v2
; %bb.664:                              ;   in Loop: Header=BB237_16 Depth=1
	s_or_b32 exec_lo, exec_lo, s26
	v_lshlrev_b32_e32 v2, 24, v0
	v_lshlrev_b32_e32 v3, 20, v48
	v_lshl_add_u32 v1, v1, 23, 0x3c000000
	v_and_b32_e32 v2, 0x80000000, v2
	v_or3_b32 v48, v3, v2, v1
	v_mov_b32_e32 v99, v49
	v_mov_b32_e32 v98, v48
.LBB237_665:                            ;   in Loop: Header=BB237_16 Depth=1
	s_or_b32 exec_lo, exec_lo, s25
.LBB237_666:                            ;   in Loop: Header=BB237_16 Depth=1
	s_or_b32 exec_lo, exec_lo, s24
.LBB237_667:                            ;   in Loop: Header=BB237_16 Depth=1
	s_or_b32 exec_lo, exec_lo, s23
	v_cmp_ne_u16_sdwa s5, v0, v49 src0_sel:BYTE_1 src1_sel:DWORD
	s_and_saveexec_b32 s23, s5
	s_cbranch_execz .LBB237_675
; %bb.668:                              ;   in Loop: Header=BB237_16 Depth=1
	v_mov_b32_e32 v34, v49
	v_mov_b32_e32 v1, 0x80
	;; [unrolled: 1-line block ×4, first 2 shown]
	v_cmp_ne_u16_sdwa s5, v0, v1 src0_sel:BYTE_1 src1_sel:DWORD
	s_and_saveexec_b32 s24, s5
	s_cbranch_execz .LBB237_674
; %bb.669:                              ;   in Loop: Header=BB237_16 Depth=1
	v_mov_b32_e32 v1, 0xffff
	v_mov_b32_e32 v62, v49
	s_mov_b32 s25, exec_lo
	v_and_b32_sdwa v1, v1, v0 dst_sel:DWORD dst_unused:UNUSED_PAD src0_sel:DWORD src1_sel:BYTE_1
	v_mov_b32_e32 v42, v62
	v_mov_b32_e32 v43, v63
	v_and_b32_e32 v2, 0x7f, v1
	v_cmpx_ne_u32_e32 0x7f, v2
	s_cbranch_execz .LBB237_673
; %bb.670:                              ;   in Loop: Header=BB237_16 Depth=1
	v_and_b32_e32 v48, 7, v1
	v_lshrrev_b32_e32 v1, 3, v2
	s_mov_b32 s26, exec_lo
	v_cmpx_gt_u32_e32 8, v2
; %bb.671:                              ;   in Loop: Header=BB237_16 Depth=1
	v_ffbh_u32_e32 v1, v48
	v_min_u32_e32 v1, 32, v1
	v_subrev_nc_u32_e32 v2, 28, v1
	v_sub_nc_u32_e32 v1, 29, v1
	v_lshlrev_b64 v[2:3], v2, v[48:49]
	v_and_b32_e32 v48, 7, v2
; %bb.672:                              ;   in Loop: Header=BB237_16 Depth=1
	s_or_b32 exec_lo, exec_lo, s26
	v_lshlrev_b32_e32 v2, 16, v0
	v_lshlrev_b32_e32 v3, 20, v48
	v_lshl_add_u32 v1, v1, 23, 0x3c000000
	v_mov_b32_e32 v42, v49
	v_and_b32_e32 v2, 0x80000000, v2
	v_or3_b32 v43, v3, v2, v1
.LBB237_673:                            ;   in Loop: Header=BB237_16 Depth=1
	s_or_b32 exec_lo, exec_lo, s25
.LBB237_674:                            ;   in Loop: Header=BB237_16 Depth=1
	s_or_b32 exec_lo, exec_lo, s24
.LBB237_675:                            ;   in Loop: Header=BB237_16 Depth=1
	s_or_b32 exec_lo, exec_lo, s23
	v_mov_b32_e32 v112, 0
	v_mov_b32_e32 v114, 0
	v_and_b32_sdwa v1, v0, v10 dst_sel:DWORD dst_unused:UNUSED_PAD src0_sel:WORD_1 src1_sel:DWORD
	v_mov_b32_e32 v113, 0
	v_mov_b32_e32 v115, 0
	s_mov_b32 s23, exec_lo
	v_cmpx_ne_u16_e32 0, v1
	s_cbranch_execz .LBB237_683
; %bb.676:                              ;   in Loop: Header=BB237_16 Depth=1
	v_bfrev_b32_e32 v114, 1
	v_mov_b32_e32 v115, 0
	s_mov_b32 s24, exec_lo
	v_cmpx_ne_u16_e32 0x80, v1
	s_cbranch_execz .LBB237_682
; %bb.677:                              ;   in Loop: Header=BB237_16 Depth=1
	v_mov_b32_e32 v114, 0x7f800001
	v_bfe_u32 v2, v0, 16, 7
	v_mov_b32_e32 v115, 0
	s_mov_b32 s25, exec_lo
	v_cmpx_ne_u32_e32 0x7f, v2
	s_cbranch_execz .LBB237_681
; %bb.678:                              ;   in Loop: Header=BB237_16 Depth=1
	v_mov_b32_e32 v1, 7
	s_mov_b32 s26, exec_lo
	v_and_b32_sdwa v48, v0, v1 dst_sel:DWORD dst_unused:UNUSED_PAD src0_sel:WORD_1 src1_sel:DWORD
	v_lshrrev_b32_e32 v1, 3, v2
	v_cmpx_gt_u32_e32 8, v2
; %bb.679:                              ;   in Loop: Header=BB237_16 Depth=1
	v_ffbh_u32_e32 v1, v48
	v_min_u32_e32 v1, 32, v1
	v_subrev_nc_u32_e32 v2, 28, v1
	v_sub_nc_u32_e32 v1, 29, v1
	v_lshlrev_b64 v[2:3], v2, v[48:49]
	v_and_b32_e32 v48, 7, v2
; %bb.680:                              ;   in Loop: Header=BB237_16 Depth=1
	s_or_b32 exec_lo, exec_lo, s26
	v_mov_b32_e32 v2, 24
	v_lshlrev_b32_e32 v3, 20, v48
	v_lshl_add_u32 v1, v1, 23, 0x3c000000
	v_lshlrev_b32_sdwa v2, v2, v0 dst_sel:DWORD dst_unused:UNUSED_PAD src0_sel:DWORD src1_sel:WORD_1
	v_and_b32_e32 v2, 0x80000000, v2
	v_or3_b32 v48, v3, v2, v1
	v_mov_b32_e32 v115, v49
	v_mov_b32_e32 v114, v48
.LBB237_681:                            ;   in Loop: Header=BB237_16 Depth=1
	s_or_b32 exec_lo, exec_lo, s25
.LBB237_682:                            ;   in Loop: Header=BB237_16 Depth=1
	s_or_b32 exec_lo, exec_lo, s24
.LBB237_683:                            ;   in Loop: Header=BB237_16 Depth=1
	s_or_b32 exec_lo, exec_lo, s23
	s_mov_b32 s23, exec_lo
	v_cmpx_lt_u32_e32 0xffffff, v0
	s_cbranch_execz .LBB237_691
; %bb.684:                              ;   in Loop: Header=BB237_16 Depth=1
	v_mov_b32_e32 v34, v49
	v_mov_b32_e32 v1, 0x80
	;; [unrolled: 1-line block ×4, first 2 shown]
	v_cmp_ne_u32_sdwa s5, v0, v1 src0_sel:BYTE_3 src1_sel:DWORD
	s_and_saveexec_b32 s24, s5
	s_cbranch_execz .LBB237_690
; %bb.685:                              ;   in Loop: Header=BB237_16 Depth=1
	v_mov_b32_e32 v62, v49
	v_mov_b32_e32 v113, v63
	v_bfe_u32 v2, v0, 24, 7
	s_mov_b32 s25, exec_lo
	v_mov_b32_e32 v112, v62
	v_cmpx_ne_u32_e32 0x7f, v2
	s_cbranch_execz .LBB237_689
; %bb.686:                              ;   in Loop: Header=BB237_16 Depth=1
	v_mov_b32_e32 v1, 7
	s_mov_b32 s26, exec_lo
	v_and_b32_sdwa v48, v0, v1 dst_sel:DWORD dst_unused:UNUSED_PAD src0_sel:BYTE_3 src1_sel:DWORD
	v_lshrrev_b32_e32 v1, 3, v2
	v_cmpx_gt_u32_e32 8, v2
; %bb.687:                              ;   in Loop: Header=BB237_16 Depth=1
	v_ffbh_u32_e32 v1, v48
	v_min_u32_e32 v1, 32, v1
	v_subrev_nc_u32_e32 v2, 28, v1
	v_sub_nc_u32_e32 v1, 29, v1
	v_lshlrev_b64 v[2:3], v2, v[48:49]
	v_and_b32_e32 v48, 7, v2
; %bb.688:                              ;   in Loop: Header=BB237_16 Depth=1
	s_or_b32 exec_lo, exec_lo, s26
	v_mov_b32_e32 v2, 24
	v_lshl_add_u32 v1, v1, 23, 0x3c000000
	v_mov_b32_e32 v112, v49
	v_lshlrev_b32_sdwa v0, v2, v0 dst_sel:DWORD dst_unused:UNUSED_PAD src0_sel:DWORD src1_sel:BYTE_3
	v_lshlrev_b32_e32 v2, 20, v48
	v_and_b32_e32 v0, 0x80000000, v0
	v_or3_b32 v113, v2, v0, v1
.LBB237_689:                            ;   in Loop: Header=BB237_16 Depth=1
	s_or_b32 exec_lo, exec_lo, s25
.LBB237_690:                            ;   in Loop: Header=BB237_16 Depth=1
	s_or_b32 exec_lo, exec_lo, s24
.LBB237_691:                            ;   in Loop: Header=BB237_16 Depth=1
	s_or_b32 exec_lo, exec_lo, s23
	flat_load_dword v0, v[84:85] offset:516
	v_mov_b32_e32 v38, 0
	v_mov_b32_e32 v44, 0
	;; [unrolled: 1-line block ×4, first 2 shown]
	s_waitcnt vmcnt(0) lgkmcnt(0)
	v_cmp_ne_u16_sdwa s5, v0, v49 src0_sel:BYTE_0 src1_sel:DWORD
	s_and_saveexec_b32 s23, s5
	s_cbranch_execz .LBB237_699
; %bb.692:                              ;   in Loop: Header=BB237_16 Depth=1
	v_mov_b32_e32 v1, 0x80
	v_bfrev_b32_e32 v44, 1
	v_mov_b32_e32 v45, 0
	v_cmp_ne_u16_sdwa s5, v0, v1 src0_sel:BYTE_0 src1_sel:DWORD
	s_and_saveexec_b32 s24, s5
	s_cbranch_execz .LBB237_698
; %bb.693:                              ;   in Loop: Header=BB237_16 Depth=1
	v_mov_b32_e32 v44, 0x7f800001
	v_and_b32_e32 v2, 0x7f, v0
	v_mov_b32_e32 v45, 0
	s_mov_b32 s25, exec_lo
	v_cmpx_ne_u32_e32 0x7f, v2
	s_cbranch_execz .LBB237_697
; %bb.694:                              ;   in Loop: Header=BB237_16 Depth=1
	v_and_b32_e32 v48, 7, v0
	v_lshrrev_b32_e32 v1, 3, v2
	s_mov_b32 s26, exec_lo
	v_cmpx_gt_u32_e32 8, v2
; %bb.695:                              ;   in Loop: Header=BB237_16 Depth=1
	v_ffbh_u32_e32 v1, v48
	v_min_u32_e32 v1, 32, v1
	v_subrev_nc_u32_e32 v2, 28, v1
	v_sub_nc_u32_e32 v1, 29, v1
	v_lshlrev_b64 v[2:3], v2, v[48:49]
	v_and_b32_e32 v48, 7, v2
; %bb.696:                              ;   in Loop: Header=BB237_16 Depth=1
	s_or_b32 exec_lo, exec_lo, s26
	v_lshlrev_b32_e32 v2, 24, v0
	v_lshlrev_b32_e32 v3, 20, v48
	v_lshl_add_u32 v1, v1, 23, 0x3c000000
	v_and_b32_e32 v2, 0x80000000, v2
	v_or3_b32 v48, v3, v2, v1
	v_mov_b32_e32 v44, v48
	v_mov_b32_e32 v45, v49
.LBB237_697:                            ;   in Loop: Header=BB237_16 Depth=1
	s_or_b32 exec_lo, exec_lo, s25
.LBB237_698:                            ;   in Loop: Header=BB237_16 Depth=1
	s_or_b32 exec_lo, exec_lo, s24
.LBB237_699:                            ;   in Loop: Header=BB237_16 Depth=1
	s_or_b32 exec_lo, exec_lo, s23
	v_cmp_ne_u16_sdwa s5, v0, v49 src0_sel:BYTE_1 src1_sel:DWORD
	s_and_saveexec_b32 s23, s5
	s_cbranch_execz .LBB237_707
; %bb.700:                              ;   in Loop: Header=BB237_16 Depth=1
	v_mov_b32_e32 v34, v49
	v_mov_b32_e32 v1, 0x80
	;; [unrolled: 1-line block ×4, first 2 shown]
	v_cmp_ne_u16_sdwa s5, v0, v1 src0_sel:BYTE_1 src1_sel:DWORD
	s_and_saveexec_b32 s24, s5
	s_cbranch_execz .LBB237_706
; %bb.701:                              ;   in Loop: Header=BB237_16 Depth=1
	v_mov_b32_e32 v1, 0xffff
	v_mov_b32_e32 v62, v49
	s_mov_b32 s25, exec_lo
	v_and_b32_sdwa v1, v1, v0 dst_sel:DWORD dst_unused:UNUSED_PAD src0_sel:DWORD src1_sel:BYTE_1
	v_mov_b32_e32 v38, v62
	v_mov_b32_e32 v39, v63
	v_and_b32_e32 v2, 0x7f, v1
	v_cmpx_ne_u32_e32 0x7f, v2
	s_cbranch_execz .LBB237_705
; %bb.702:                              ;   in Loop: Header=BB237_16 Depth=1
	v_and_b32_e32 v48, 7, v1
	v_lshrrev_b32_e32 v1, 3, v2
	s_mov_b32 s26, exec_lo
	v_cmpx_gt_u32_e32 8, v2
; %bb.703:                              ;   in Loop: Header=BB237_16 Depth=1
	v_ffbh_u32_e32 v1, v48
	v_min_u32_e32 v1, 32, v1
	v_subrev_nc_u32_e32 v2, 28, v1
	v_sub_nc_u32_e32 v1, 29, v1
	v_lshlrev_b64 v[2:3], v2, v[48:49]
	v_and_b32_e32 v48, 7, v2
; %bb.704:                              ;   in Loop: Header=BB237_16 Depth=1
	s_or_b32 exec_lo, exec_lo, s26
	v_lshlrev_b32_e32 v2, 16, v0
	v_lshlrev_b32_e32 v3, 20, v48
	v_lshl_add_u32 v1, v1, 23, 0x3c000000
	v_mov_b32_e32 v38, v49
	v_and_b32_e32 v2, 0x80000000, v2
	v_or3_b32 v39, v3, v2, v1
.LBB237_705:                            ;   in Loop: Header=BB237_16 Depth=1
	s_or_b32 exec_lo, exec_lo, s25
.LBB237_706:                            ;   in Loop: Header=BB237_16 Depth=1
	s_or_b32 exec_lo, exec_lo, s24
.LBB237_707:                            ;   in Loop: Header=BB237_16 Depth=1
	s_or_b32 exec_lo, exec_lo, s23
	v_mov_b32_e32 v58, 0
	v_mov_b32_e32 v40, 0
	v_and_b32_sdwa v1, v0, v10 dst_sel:DWORD dst_unused:UNUSED_PAD src0_sel:WORD_1 src1_sel:DWORD
	v_mov_b32_e32 v59, 0
	v_mov_b32_e32 v41, 0
	s_mov_b32 s23, exec_lo
	v_cmpx_ne_u16_e32 0, v1
	s_cbranch_execz .LBB237_715
; %bb.708:                              ;   in Loop: Header=BB237_16 Depth=1
	v_bfrev_b32_e32 v40, 1
	v_mov_b32_e32 v41, 0
	s_mov_b32 s24, exec_lo
	v_cmpx_ne_u16_e32 0x80, v1
	s_cbranch_execz .LBB237_714
; %bb.709:                              ;   in Loop: Header=BB237_16 Depth=1
	v_mov_b32_e32 v40, 0x7f800001
	v_bfe_u32 v2, v0, 16, 7
	v_mov_b32_e32 v41, 0
	s_mov_b32 s25, exec_lo
	v_cmpx_ne_u32_e32 0x7f, v2
	s_cbranch_execz .LBB237_713
; %bb.710:                              ;   in Loop: Header=BB237_16 Depth=1
	v_mov_b32_e32 v1, 7
	s_mov_b32 s26, exec_lo
	v_and_b32_sdwa v48, v0, v1 dst_sel:DWORD dst_unused:UNUSED_PAD src0_sel:WORD_1 src1_sel:DWORD
	v_lshrrev_b32_e32 v1, 3, v2
	v_cmpx_gt_u32_e32 8, v2
; %bb.711:                              ;   in Loop: Header=BB237_16 Depth=1
	v_ffbh_u32_e32 v1, v48
	v_min_u32_e32 v1, 32, v1
	v_subrev_nc_u32_e32 v2, 28, v1
	v_sub_nc_u32_e32 v1, 29, v1
	v_lshlrev_b64 v[2:3], v2, v[48:49]
	v_and_b32_e32 v48, 7, v2
; %bb.712:                              ;   in Loop: Header=BB237_16 Depth=1
	s_or_b32 exec_lo, exec_lo, s26
	v_mov_b32_e32 v2, 24
	v_lshlrev_b32_e32 v3, 20, v48
	v_lshl_add_u32 v1, v1, 23, 0x3c000000
	v_lshlrev_b32_sdwa v2, v2, v0 dst_sel:DWORD dst_unused:UNUSED_PAD src0_sel:DWORD src1_sel:WORD_1
	v_and_b32_e32 v2, 0x80000000, v2
	v_or3_b32 v48, v3, v2, v1
	v_mov_b32_e32 v40, v48
	v_mov_b32_e32 v41, v49
.LBB237_713:                            ;   in Loop: Header=BB237_16 Depth=1
	s_or_b32 exec_lo, exec_lo, s25
.LBB237_714:                            ;   in Loop: Header=BB237_16 Depth=1
	s_or_b32 exec_lo, exec_lo, s24
.LBB237_715:                            ;   in Loop: Header=BB237_16 Depth=1
	s_or_b32 exec_lo, exec_lo, s23
	s_mov_b32 s23, exec_lo
	v_cmpx_lt_u32_e32 0xffffff, v0
	s_cbranch_execz .LBB237_723
; %bb.716:                              ;   in Loop: Header=BB237_16 Depth=1
	v_mov_b32_e32 v34, v49
	v_mov_b32_e32 v1, 0x80
	;; [unrolled: 1-line block ×4, first 2 shown]
	v_cmp_ne_u32_sdwa s5, v0, v1 src0_sel:BYTE_3 src1_sel:DWORD
	s_and_saveexec_b32 s24, s5
	s_cbranch_execz .LBB237_722
; %bb.717:                              ;   in Loop: Header=BB237_16 Depth=1
	v_mov_b32_e32 v62, v49
	v_bfe_u32 v2, v0, 24, 7
	s_mov_b32 s25, exec_lo
	v_mov_b32_e32 v58, v62
	v_mov_b32_e32 v59, v63
	v_cmpx_ne_u32_e32 0x7f, v2
	s_cbranch_execz .LBB237_721
; %bb.718:                              ;   in Loop: Header=BB237_16 Depth=1
	v_mov_b32_e32 v1, 7
	s_mov_b32 s26, exec_lo
	v_and_b32_sdwa v48, v0, v1 dst_sel:DWORD dst_unused:UNUSED_PAD src0_sel:BYTE_3 src1_sel:DWORD
	v_lshrrev_b32_e32 v1, 3, v2
	v_cmpx_gt_u32_e32 8, v2
; %bb.719:                              ;   in Loop: Header=BB237_16 Depth=1
	v_ffbh_u32_e32 v1, v48
	v_min_u32_e32 v1, 32, v1
	v_subrev_nc_u32_e32 v2, 28, v1
	v_sub_nc_u32_e32 v1, 29, v1
	v_lshlrev_b64 v[2:3], v2, v[48:49]
	v_and_b32_e32 v48, 7, v2
; %bb.720:                              ;   in Loop: Header=BB237_16 Depth=1
	s_or_b32 exec_lo, exec_lo, s26
	v_mov_b32_e32 v2, 24
	v_lshl_add_u32 v1, v1, 23, 0x3c000000
	v_mov_b32_e32 v58, v49
	v_lshlrev_b32_sdwa v0, v2, v0 dst_sel:DWORD dst_unused:UNUSED_PAD src0_sel:DWORD src1_sel:BYTE_3
	v_lshlrev_b32_e32 v2, 20, v48
	v_and_b32_e32 v0, 0x80000000, v0
	v_or3_b32 v59, v2, v0, v1
.LBB237_721:                            ;   in Loop: Header=BB237_16 Depth=1
	s_or_b32 exec_lo, exec_lo, s25
.LBB237_722:                            ;   in Loop: Header=BB237_16 Depth=1
	s_or_b32 exec_lo, exec_lo, s24
.LBB237_723:                            ;   in Loop: Header=BB237_16 Depth=1
	s_or_b32 exec_lo, exec_lo, s23
	flat_load_dword v0, v[84:85] offset:520
	v_mov_b32_e32 v46, 0
	v_mov_b32_e32 v60, 0
	;; [unrolled: 1-line block ×4, first 2 shown]
	s_waitcnt vmcnt(0) lgkmcnt(0)
	v_cmp_ne_u16_sdwa s5, v0, v49 src0_sel:BYTE_0 src1_sel:DWORD
	s_and_saveexec_b32 s23, s5
	s_cbranch_execz .LBB237_731
; %bb.724:                              ;   in Loop: Header=BB237_16 Depth=1
	v_mov_b32_e32 v1, 0x80
	v_bfrev_b32_e32 v60, 1
	v_mov_b32_e32 v61, 0
	v_cmp_ne_u16_sdwa s5, v0, v1 src0_sel:BYTE_0 src1_sel:DWORD
	s_and_saveexec_b32 s24, s5
	s_cbranch_execz .LBB237_730
; %bb.725:                              ;   in Loop: Header=BB237_16 Depth=1
	v_mov_b32_e32 v60, 0x7f800001
	v_and_b32_e32 v2, 0x7f, v0
	v_mov_b32_e32 v61, 0
	s_mov_b32 s25, exec_lo
	v_cmpx_ne_u32_e32 0x7f, v2
	s_cbranch_execz .LBB237_729
; %bb.726:                              ;   in Loop: Header=BB237_16 Depth=1
	v_and_b32_e32 v48, 7, v0
	v_lshrrev_b32_e32 v1, 3, v2
	s_mov_b32 s26, exec_lo
	v_cmpx_gt_u32_e32 8, v2
; %bb.727:                              ;   in Loop: Header=BB237_16 Depth=1
	v_ffbh_u32_e32 v1, v48
	v_min_u32_e32 v1, 32, v1
	v_subrev_nc_u32_e32 v2, 28, v1
	v_sub_nc_u32_e32 v1, 29, v1
	v_lshlrev_b64 v[2:3], v2, v[48:49]
	v_and_b32_e32 v48, 7, v2
; %bb.728:                              ;   in Loop: Header=BB237_16 Depth=1
	s_or_b32 exec_lo, exec_lo, s26
	v_lshlrev_b32_e32 v2, 24, v0
	v_lshlrev_b32_e32 v3, 20, v48
	v_lshl_add_u32 v1, v1, 23, 0x3c000000
	v_and_b32_e32 v2, 0x80000000, v2
	v_or3_b32 v48, v3, v2, v1
	v_mov_b32_e32 v61, v49
	v_mov_b32_e32 v60, v48
.LBB237_729:                            ;   in Loop: Header=BB237_16 Depth=1
	s_or_b32 exec_lo, exec_lo, s25
.LBB237_730:                            ;   in Loop: Header=BB237_16 Depth=1
	s_or_b32 exec_lo, exec_lo, s24
.LBB237_731:                            ;   in Loop: Header=BB237_16 Depth=1
	s_or_b32 exec_lo, exec_lo, s23
	v_cmp_ne_u16_sdwa s5, v0, v49 src0_sel:BYTE_1 src1_sel:DWORD
	s_and_saveexec_b32 s23, s5
	s_cbranch_execz .LBB237_739
; %bb.732:                              ;   in Loop: Header=BB237_16 Depth=1
	v_mov_b32_e32 v34, v49
	v_mov_b32_e32 v1, 0x80
	;; [unrolled: 1-line block ×4, first 2 shown]
	v_cmp_ne_u16_sdwa s5, v0, v1 src0_sel:BYTE_1 src1_sel:DWORD
	s_and_saveexec_b32 s24, s5
	s_cbranch_execz .LBB237_738
; %bb.733:                              ;   in Loop: Header=BB237_16 Depth=1
	v_mov_b32_e32 v1, 0xffff
	v_mov_b32_e32 v62, v49
	s_mov_b32 s25, exec_lo
	v_and_b32_sdwa v1, v1, v0 dst_sel:DWORD dst_unused:UNUSED_PAD src0_sel:DWORD src1_sel:BYTE_1
	v_mov_b32_e32 v46, v62
	v_mov_b32_e32 v47, v63
	v_and_b32_e32 v2, 0x7f, v1
	v_cmpx_ne_u32_e32 0x7f, v2
	s_cbranch_execz .LBB237_737
; %bb.734:                              ;   in Loop: Header=BB237_16 Depth=1
	v_and_b32_e32 v48, 7, v1
	v_lshrrev_b32_e32 v1, 3, v2
	s_mov_b32 s26, exec_lo
	v_cmpx_gt_u32_e32 8, v2
; %bb.735:                              ;   in Loop: Header=BB237_16 Depth=1
	v_ffbh_u32_e32 v1, v48
	v_min_u32_e32 v1, 32, v1
	v_subrev_nc_u32_e32 v2, 28, v1
	v_sub_nc_u32_e32 v1, 29, v1
	v_lshlrev_b64 v[2:3], v2, v[48:49]
	v_and_b32_e32 v48, 7, v2
; %bb.736:                              ;   in Loop: Header=BB237_16 Depth=1
	s_or_b32 exec_lo, exec_lo, s26
	v_lshlrev_b32_e32 v2, 16, v0
	v_lshlrev_b32_e32 v3, 20, v48
	v_lshl_add_u32 v1, v1, 23, 0x3c000000
	v_mov_b32_e32 v46, v49
	v_and_b32_e32 v2, 0x80000000, v2
	v_or3_b32 v47, v3, v2, v1
.LBB237_737:                            ;   in Loop: Header=BB237_16 Depth=1
	s_or_b32 exec_lo, exec_lo, s25
.LBB237_738:                            ;   in Loop: Header=BB237_16 Depth=1
	s_or_b32 exec_lo, exec_lo, s24
.LBB237_739:                            ;   in Loop: Header=BB237_16 Depth=1
	s_or_b32 exec_lo, exec_lo, s23
	v_mov_b32_e32 v74, 0
	v_mov_b32_e32 v56, 0
	v_and_b32_sdwa v1, v0, v10 dst_sel:DWORD dst_unused:UNUSED_PAD src0_sel:WORD_1 src1_sel:DWORD
	v_mov_b32_e32 v75, 0
	v_mov_b32_e32 v57, 0
	s_mov_b32 s23, exec_lo
	v_cmpx_ne_u16_e32 0, v1
	s_cbranch_execz .LBB237_747
; %bb.740:                              ;   in Loop: Header=BB237_16 Depth=1
	v_bfrev_b32_e32 v56, 1
	v_mov_b32_e32 v57, 0
	s_mov_b32 s24, exec_lo
	v_cmpx_ne_u16_e32 0x80, v1
	s_cbranch_execz .LBB237_746
; %bb.741:                              ;   in Loop: Header=BB237_16 Depth=1
	v_mov_b32_e32 v56, 0x7f800001
	v_bfe_u32 v2, v0, 16, 7
	v_mov_b32_e32 v57, 0
	s_mov_b32 s25, exec_lo
	v_cmpx_ne_u32_e32 0x7f, v2
	s_cbranch_execz .LBB237_745
; %bb.742:                              ;   in Loop: Header=BB237_16 Depth=1
	v_mov_b32_e32 v1, 7
	s_mov_b32 s26, exec_lo
	v_and_b32_sdwa v48, v0, v1 dst_sel:DWORD dst_unused:UNUSED_PAD src0_sel:WORD_1 src1_sel:DWORD
	v_lshrrev_b32_e32 v1, 3, v2
	v_cmpx_gt_u32_e32 8, v2
; %bb.743:                              ;   in Loop: Header=BB237_16 Depth=1
	v_ffbh_u32_e32 v1, v48
	v_min_u32_e32 v1, 32, v1
	v_subrev_nc_u32_e32 v2, 28, v1
	v_sub_nc_u32_e32 v1, 29, v1
	v_lshlrev_b64 v[2:3], v2, v[48:49]
	v_and_b32_e32 v48, 7, v2
; %bb.744:                              ;   in Loop: Header=BB237_16 Depth=1
	s_or_b32 exec_lo, exec_lo, s26
	v_mov_b32_e32 v2, 24
	v_lshlrev_b32_e32 v3, 20, v48
	v_lshl_add_u32 v1, v1, 23, 0x3c000000
	v_lshlrev_b32_sdwa v2, v2, v0 dst_sel:DWORD dst_unused:UNUSED_PAD src0_sel:DWORD src1_sel:WORD_1
	v_and_b32_e32 v2, 0x80000000, v2
	v_or3_b32 v48, v3, v2, v1
	v_mov_b32_e32 v57, v49
	v_mov_b32_e32 v56, v48
.LBB237_745:                            ;   in Loop: Header=BB237_16 Depth=1
	s_or_b32 exec_lo, exec_lo, s25
.LBB237_746:                            ;   in Loop: Header=BB237_16 Depth=1
	s_or_b32 exec_lo, exec_lo, s24
.LBB237_747:                            ;   in Loop: Header=BB237_16 Depth=1
	s_or_b32 exec_lo, exec_lo, s23
	s_mov_b32 s23, exec_lo
	v_cmpx_lt_u32_e32 0xffffff, v0
	s_cbranch_execz .LBB237_755
; %bb.748:                              ;   in Loop: Header=BB237_16 Depth=1
	v_mov_b32_e32 v34, v49
	v_mov_b32_e32 v1, 0x80
	;; [unrolled: 1-line block ×4, first 2 shown]
	v_cmp_ne_u32_sdwa s5, v0, v1 src0_sel:BYTE_3 src1_sel:DWORD
	s_and_saveexec_b32 s24, s5
	s_cbranch_execz .LBB237_754
; %bb.749:                              ;   in Loop: Header=BB237_16 Depth=1
	v_mov_b32_e32 v62, v49
	v_mov_b32_e32 v75, v63
	v_bfe_u32 v2, v0, 24, 7
	s_mov_b32 s25, exec_lo
	v_mov_b32_e32 v74, v62
	v_cmpx_ne_u32_e32 0x7f, v2
	s_cbranch_execz .LBB237_753
; %bb.750:                              ;   in Loop: Header=BB237_16 Depth=1
	v_mov_b32_e32 v1, 7
	s_mov_b32 s26, exec_lo
	v_and_b32_sdwa v48, v0, v1 dst_sel:DWORD dst_unused:UNUSED_PAD src0_sel:BYTE_3 src1_sel:DWORD
	v_lshrrev_b32_e32 v1, 3, v2
	v_cmpx_gt_u32_e32 8, v2
; %bb.751:                              ;   in Loop: Header=BB237_16 Depth=1
	v_ffbh_u32_e32 v1, v48
	v_min_u32_e32 v1, 32, v1
	v_subrev_nc_u32_e32 v2, 28, v1
	v_sub_nc_u32_e32 v1, 29, v1
	v_lshlrev_b64 v[2:3], v2, v[48:49]
	v_and_b32_e32 v48, 7, v2
; %bb.752:                              ;   in Loop: Header=BB237_16 Depth=1
	s_or_b32 exec_lo, exec_lo, s26
	v_mov_b32_e32 v2, 24
	v_lshl_add_u32 v1, v1, 23, 0x3c000000
	v_mov_b32_e32 v74, v49
	v_lshlrev_b32_sdwa v0, v2, v0 dst_sel:DWORD dst_unused:UNUSED_PAD src0_sel:DWORD src1_sel:BYTE_3
	v_lshlrev_b32_e32 v2, 20, v48
	v_and_b32_e32 v0, 0x80000000, v0
	v_or3_b32 v75, v2, v0, v1
.LBB237_753:                            ;   in Loop: Header=BB237_16 Depth=1
	s_or_b32 exec_lo, exec_lo, s25
.LBB237_754:                            ;   in Loop: Header=BB237_16 Depth=1
	s_or_b32 exec_lo, exec_lo, s24
.LBB237_755:                            ;   in Loop: Header=BB237_16 Depth=1
	s_or_b32 exec_lo, exec_lo, s23
	flat_load_dword v0, v[84:85] offset:524
	v_mov_b32_e32 v12, 0
	v_mov_b32_e32 v76, 0
	;; [unrolled: 1-line block ×4, first 2 shown]
	s_waitcnt vmcnt(0) lgkmcnt(0)
	v_cmp_ne_u16_sdwa s5, v0, v49 src0_sel:BYTE_0 src1_sel:DWORD
	s_and_saveexec_b32 s23, s5
	s_cbranch_execz .LBB237_763
; %bb.756:                              ;   in Loop: Header=BB237_16 Depth=1
	v_mov_b32_e32 v1, 0x80
	v_bfrev_b32_e32 v76, 1
	v_mov_b32_e32 v77, 0
	v_cmp_ne_u16_sdwa s5, v0, v1 src0_sel:BYTE_0 src1_sel:DWORD
	s_and_saveexec_b32 s24, s5
	s_cbranch_execz .LBB237_762
; %bb.757:                              ;   in Loop: Header=BB237_16 Depth=1
	v_mov_b32_e32 v76, 0x7f800001
	v_and_b32_e32 v2, 0x7f, v0
	v_mov_b32_e32 v77, 0
	s_mov_b32 s25, exec_lo
	v_cmpx_ne_u32_e32 0x7f, v2
	s_cbranch_execz .LBB237_761
; %bb.758:                              ;   in Loop: Header=BB237_16 Depth=1
	v_and_b32_e32 v48, 7, v0
	v_lshrrev_b32_e32 v1, 3, v2
	s_mov_b32 s26, exec_lo
	v_cmpx_gt_u32_e32 8, v2
; %bb.759:                              ;   in Loop: Header=BB237_16 Depth=1
	v_ffbh_u32_e32 v1, v48
	v_min_u32_e32 v1, 32, v1
	v_subrev_nc_u32_e32 v2, 28, v1
	v_sub_nc_u32_e32 v1, 29, v1
	v_lshlrev_b64 v[2:3], v2, v[48:49]
	v_and_b32_e32 v48, 7, v2
; %bb.760:                              ;   in Loop: Header=BB237_16 Depth=1
	s_or_b32 exec_lo, exec_lo, s26
	v_lshlrev_b32_e32 v2, 24, v0
	v_lshlrev_b32_e32 v3, 20, v48
	v_lshl_add_u32 v1, v1, 23, 0x3c000000
	v_and_b32_e32 v2, 0x80000000, v2
	v_or3_b32 v48, v3, v2, v1
	v_mov_b32_e32 v77, v49
	v_mov_b32_e32 v76, v48
.LBB237_761:                            ;   in Loop: Header=BB237_16 Depth=1
	s_or_b32 exec_lo, exec_lo, s25
.LBB237_762:                            ;   in Loop: Header=BB237_16 Depth=1
	s_or_b32 exec_lo, exec_lo, s24
.LBB237_763:                            ;   in Loop: Header=BB237_16 Depth=1
	s_or_b32 exec_lo, exec_lo, s23
	v_cmp_ne_u16_sdwa s5, v0, v49 src0_sel:BYTE_1 src1_sel:DWORD
	s_and_saveexec_b32 s23, s5
	s_cbranch_execz .LBB237_771
; %bb.764:                              ;   in Loop: Header=BB237_16 Depth=1
	v_mov_b32_e32 v34, v49
	v_mov_b32_e32 v1, 0x80
	;; [unrolled: 1-line block ×3, first 2 shown]
	v_cmp_ne_u16_sdwa s5, v0, v1 src0_sel:BYTE_1 src1_sel:DWORD
	v_mov_b32_e32 v13, v35
	s_and_saveexec_b32 s24, s5
	s_cbranch_execz .LBB237_770
; %bb.765:                              ;   in Loop: Header=BB237_16 Depth=1
	v_mov_b32_e32 v1, 0xffff
	v_mov_b32_e32 v62, v49
	s_mov_b32 s25, exec_lo
	v_and_b32_sdwa v1, v1, v0 dst_sel:DWORD dst_unused:UNUSED_PAD src0_sel:DWORD src1_sel:BYTE_1
	v_mov_b32_e32 v12, v62
	v_mov_b32_e32 v13, v63
	v_and_b32_e32 v2, 0x7f, v1
	v_cmpx_ne_u32_e32 0x7f, v2
	s_cbranch_execz .LBB237_769
; %bb.766:                              ;   in Loop: Header=BB237_16 Depth=1
	v_and_b32_e32 v48, 7, v1
	v_lshrrev_b32_e32 v1, 3, v2
	s_mov_b32 s26, exec_lo
	v_cmpx_gt_u32_e32 8, v2
; %bb.767:                              ;   in Loop: Header=BB237_16 Depth=1
	v_ffbh_u32_e32 v1, v48
	v_min_u32_e32 v1, 32, v1
	v_subrev_nc_u32_e32 v2, 28, v1
	v_sub_nc_u32_e32 v1, 29, v1
	v_lshlrev_b64 v[2:3], v2, v[48:49]
	v_and_b32_e32 v48, 7, v2
; %bb.768:                              ;   in Loop: Header=BB237_16 Depth=1
	s_or_b32 exec_lo, exec_lo, s26
	v_lshlrev_b32_e32 v2, 16, v0
	v_lshlrev_b32_e32 v3, 20, v48
	v_lshl_add_u32 v1, v1, 23, 0x3c000000
	v_mov_b32_e32 v12, v49
	v_and_b32_e32 v2, 0x80000000, v2
	v_or3_b32 v13, v3, v2, v1
.LBB237_769:                            ;   in Loop: Header=BB237_16 Depth=1
	s_or_b32 exec_lo, exec_lo, s25
.LBB237_770:                            ;   in Loop: Header=BB237_16 Depth=1
	s_or_b32 exec_lo, exec_lo, s24
.LBB237_771:                            ;   in Loop: Header=BB237_16 Depth=1
	s_or_b32 exec_lo, exec_lo, s23
	v_mov_b32_e32 v90, 0
	v_mov_b32_e32 v72, 0
	v_and_b32_sdwa v1, v0, v10 dst_sel:DWORD dst_unused:UNUSED_PAD src0_sel:WORD_1 src1_sel:DWORD
	v_mov_b32_e32 v91, 0
	v_mov_b32_e32 v73, 0
	s_mov_b32 s23, exec_lo
	v_cmpx_ne_u16_e32 0, v1
	s_cbranch_execz .LBB237_779
; %bb.772:                              ;   in Loop: Header=BB237_16 Depth=1
	v_bfrev_b32_e32 v72, 1
	v_mov_b32_e32 v73, 0
	s_mov_b32 s24, exec_lo
	v_cmpx_ne_u16_e32 0x80, v1
	s_cbranch_execz .LBB237_778
; %bb.773:                              ;   in Loop: Header=BB237_16 Depth=1
	v_mov_b32_e32 v72, 0x7f800001
	v_bfe_u32 v2, v0, 16, 7
	v_mov_b32_e32 v73, 0
	s_mov_b32 s25, exec_lo
	v_cmpx_ne_u32_e32 0x7f, v2
	s_cbranch_execz .LBB237_777
; %bb.774:                              ;   in Loop: Header=BB237_16 Depth=1
	v_mov_b32_e32 v1, 7
	s_mov_b32 s26, exec_lo
	v_and_b32_sdwa v48, v0, v1 dst_sel:DWORD dst_unused:UNUSED_PAD src0_sel:WORD_1 src1_sel:DWORD
	v_lshrrev_b32_e32 v1, 3, v2
	v_cmpx_gt_u32_e32 8, v2
; %bb.775:                              ;   in Loop: Header=BB237_16 Depth=1
	v_ffbh_u32_e32 v1, v48
	v_min_u32_e32 v1, 32, v1
	v_subrev_nc_u32_e32 v2, 28, v1
	v_sub_nc_u32_e32 v1, 29, v1
	v_lshlrev_b64 v[2:3], v2, v[48:49]
	v_and_b32_e32 v48, 7, v2
; %bb.776:                              ;   in Loop: Header=BB237_16 Depth=1
	s_or_b32 exec_lo, exec_lo, s26
	v_mov_b32_e32 v2, 24
	v_lshlrev_b32_e32 v3, 20, v48
	v_lshl_add_u32 v1, v1, 23, 0x3c000000
	v_lshlrev_b32_sdwa v2, v2, v0 dst_sel:DWORD dst_unused:UNUSED_PAD src0_sel:DWORD src1_sel:WORD_1
	v_and_b32_e32 v2, 0x80000000, v2
	v_or3_b32 v48, v3, v2, v1
	v_mov_b32_e32 v73, v49
	v_mov_b32_e32 v72, v48
.LBB237_777:                            ;   in Loop: Header=BB237_16 Depth=1
	s_or_b32 exec_lo, exec_lo, s25
.LBB237_778:                            ;   in Loop: Header=BB237_16 Depth=1
	s_or_b32 exec_lo, exec_lo, s24
.LBB237_779:                            ;   in Loop: Header=BB237_16 Depth=1
	s_or_b32 exec_lo, exec_lo, s23
	s_mov_b32 s23, exec_lo
	v_cmpx_lt_u32_e32 0xffffff, v0
	s_cbranch_execz .LBB237_787
; %bb.780:                              ;   in Loop: Header=BB237_16 Depth=1
	v_mov_b32_e32 v34, v49
	v_mov_b32_e32 v1, 0x80
	;; [unrolled: 1-line block ×4, first 2 shown]
	v_cmp_ne_u32_sdwa s5, v0, v1 src0_sel:BYTE_3 src1_sel:DWORD
	s_and_saveexec_b32 s24, s5
	s_cbranch_execz .LBB237_786
; %bb.781:                              ;   in Loop: Header=BB237_16 Depth=1
	v_mov_b32_e32 v62, v49
	v_mov_b32_e32 v91, v63
	v_bfe_u32 v2, v0, 24, 7
	s_mov_b32 s25, exec_lo
	v_mov_b32_e32 v90, v62
	v_cmpx_ne_u32_e32 0x7f, v2
	s_cbranch_execz .LBB237_785
; %bb.782:                              ;   in Loop: Header=BB237_16 Depth=1
	v_mov_b32_e32 v1, 7
	s_mov_b32 s26, exec_lo
	v_and_b32_sdwa v48, v0, v1 dst_sel:DWORD dst_unused:UNUSED_PAD src0_sel:BYTE_3 src1_sel:DWORD
	v_lshrrev_b32_e32 v1, 3, v2
	v_cmpx_gt_u32_e32 8, v2
; %bb.783:                              ;   in Loop: Header=BB237_16 Depth=1
	v_ffbh_u32_e32 v1, v48
	v_min_u32_e32 v1, 32, v1
	v_subrev_nc_u32_e32 v2, 28, v1
	v_sub_nc_u32_e32 v1, 29, v1
	v_lshlrev_b64 v[2:3], v2, v[48:49]
	v_and_b32_e32 v48, 7, v2
; %bb.784:                              ;   in Loop: Header=BB237_16 Depth=1
	s_or_b32 exec_lo, exec_lo, s26
	v_mov_b32_e32 v2, 24
	v_lshl_add_u32 v1, v1, 23, 0x3c000000
	v_mov_b32_e32 v90, v49
	v_lshlrev_b32_sdwa v0, v2, v0 dst_sel:DWORD dst_unused:UNUSED_PAD src0_sel:DWORD src1_sel:BYTE_3
	v_lshlrev_b32_e32 v2, 20, v48
	v_and_b32_e32 v0, 0x80000000, v0
	v_or3_b32 v91, v2, v0, v1
.LBB237_785:                            ;   in Loop: Header=BB237_16 Depth=1
	s_or_b32 exec_lo, exec_lo, s25
.LBB237_786:                            ;   in Loop: Header=BB237_16 Depth=1
	s_or_b32 exec_lo, exec_lo, s24
.LBB237_787:                            ;   in Loop: Header=BB237_16 Depth=1
	s_or_b32 exec_lo, exec_lo, s23
	flat_load_dword v0, v[84:85] offset:1024
	v_mov_b32_e32 v78, 0
	v_mov_b32_e32 v92, 0
	;; [unrolled: 1-line block ×4, first 2 shown]
	s_waitcnt vmcnt(0) lgkmcnt(0)
	v_cmp_ne_u16_sdwa s5, v0, v49 src0_sel:BYTE_0 src1_sel:DWORD
	s_and_saveexec_b32 s23, s5
	s_cbranch_execz .LBB237_795
; %bb.788:                              ;   in Loop: Header=BB237_16 Depth=1
	v_mov_b32_e32 v1, 0x80
	v_bfrev_b32_e32 v92, 1
	v_mov_b32_e32 v93, 0
	v_cmp_ne_u16_sdwa s5, v0, v1 src0_sel:BYTE_0 src1_sel:DWORD
	s_and_saveexec_b32 s24, s5
	s_cbranch_execz .LBB237_794
; %bb.789:                              ;   in Loop: Header=BB237_16 Depth=1
	v_mov_b32_e32 v92, 0x7f800001
	v_and_b32_e32 v2, 0x7f, v0
	v_mov_b32_e32 v93, 0
	s_mov_b32 s25, exec_lo
	v_cmpx_ne_u32_e32 0x7f, v2
	s_cbranch_execz .LBB237_793
; %bb.790:                              ;   in Loop: Header=BB237_16 Depth=1
	v_and_b32_e32 v48, 7, v0
	v_lshrrev_b32_e32 v1, 3, v2
	s_mov_b32 s26, exec_lo
	v_cmpx_gt_u32_e32 8, v2
; %bb.791:                              ;   in Loop: Header=BB237_16 Depth=1
	v_ffbh_u32_e32 v1, v48
	v_min_u32_e32 v1, 32, v1
	v_subrev_nc_u32_e32 v2, 28, v1
	v_sub_nc_u32_e32 v1, 29, v1
	v_lshlrev_b64 v[2:3], v2, v[48:49]
	v_and_b32_e32 v48, 7, v2
; %bb.792:                              ;   in Loop: Header=BB237_16 Depth=1
	s_or_b32 exec_lo, exec_lo, s26
	v_lshlrev_b32_e32 v2, 24, v0
	v_lshlrev_b32_e32 v3, 20, v48
	v_lshl_add_u32 v1, v1, 23, 0x3c000000
	v_and_b32_e32 v2, 0x80000000, v2
	v_or3_b32 v48, v3, v2, v1
	v_mov_b32_e32 v93, v49
	v_mov_b32_e32 v92, v48
.LBB237_793:                            ;   in Loop: Header=BB237_16 Depth=1
	s_or_b32 exec_lo, exec_lo, s25
.LBB237_794:                            ;   in Loop: Header=BB237_16 Depth=1
	s_or_b32 exec_lo, exec_lo, s24
.LBB237_795:                            ;   in Loop: Header=BB237_16 Depth=1
	s_or_b32 exec_lo, exec_lo, s23
	v_cmp_ne_u16_sdwa s5, v0, v49 src0_sel:BYTE_1 src1_sel:DWORD
	s_and_saveexec_b32 s23, s5
	s_cbranch_execz .LBB237_803
; %bb.796:                              ;   in Loop: Header=BB237_16 Depth=1
	v_mov_b32_e32 v34, v49
	v_mov_b32_e32 v1, 0x80
	;; [unrolled: 1-line block ×4, first 2 shown]
	v_cmp_ne_u16_sdwa s5, v0, v1 src0_sel:BYTE_1 src1_sel:DWORD
	s_and_saveexec_b32 s24, s5
	s_cbranch_execz .LBB237_802
; %bb.797:                              ;   in Loop: Header=BB237_16 Depth=1
	v_mov_b32_e32 v1, 0xffff
	v_mov_b32_e32 v62, v49
	;; [unrolled: 1-line block ×3, first 2 shown]
	s_mov_b32 s25, exec_lo
	v_and_b32_sdwa v1, v1, v0 dst_sel:DWORD dst_unused:UNUSED_PAD src0_sel:DWORD src1_sel:BYTE_1
	v_mov_b32_e32 v78, v62
	v_and_b32_e32 v2, 0x7f, v1
	v_cmpx_ne_u32_e32 0x7f, v2
	s_cbranch_execz .LBB237_801
; %bb.798:                              ;   in Loop: Header=BB237_16 Depth=1
	v_and_b32_e32 v48, 7, v1
	v_lshrrev_b32_e32 v1, 3, v2
	s_mov_b32 s26, exec_lo
	v_cmpx_gt_u32_e32 8, v2
; %bb.799:                              ;   in Loop: Header=BB237_16 Depth=1
	v_ffbh_u32_e32 v1, v48
	v_min_u32_e32 v1, 32, v1
	v_subrev_nc_u32_e32 v2, 28, v1
	v_sub_nc_u32_e32 v1, 29, v1
	v_lshlrev_b64 v[2:3], v2, v[48:49]
	v_and_b32_e32 v48, 7, v2
; %bb.800:                              ;   in Loop: Header=BB237_16 Depth=1
	s_or_b32 exec_lo, exec_lo, s26
	v_lshlrev_b32_e32 v2, 16, v0
	v_lshlrev_b32_e32 v3, 20, v48
	v_lshl_add_u32 v1, v1, 23, 0x3c000000
	v_mov_b32_e32 v78, v49
	v_and_b32_e32 v2, 0x80000000, v2
	v_or3_b32 v79, v3, v2, v1
.LBB237_801:                            ;   in Loop: Header=BB237_16 Depth=1
	s_or_b32 exec_lo, exec_lo, s25
.LBB237_802:                            ;   in Loop: Header=BB237_16 Depth=1
	s_or_b32 exec_lo, exec_lo, s24
.LBB237_803:                            ;   in Loop: Header=BB237_16 Depth=1
	s_or_b32 exec_lo, exec_lo, s23
	v_mov_b32_e32 v106, 0
	v_mov_b32_e32 v88, 0
	v_and_b32_sdwa v1, v0, v10 dst_sel:DWORD dst_unused:UNUSED_PAD src0_sel:WORD_1 src1_sel:DWORD
	v_mov_b32_e32 v107, 0
	v_mov_b32_e32 v89, 0
	s_mov_b32 s23, exec_lo
	v_cmpx_ne_u16_e32 0, v1
	s_cbranch_execz .LBB237_811
; %bb.804:                              ;   in Loop: Header=BB237_16 Depth=1
	v_bfrev_b32_e32 v88, 1
	v_mov_b32_e32 v89, 0
	s_mov_b32 s24, exec_lo
	v_cmpx_ne_u16_e32 0x80, v1
	s_cbranch_execz .LBB237_810
; %bb.805:                              ;   in Loop: Header=BB237_16 Depth=1
	v_mov_b32_e32 v88, 0x7f800001
	v_bfe_u32 v2, v0, 16, 7
	v_mov_b32_e32 v89, 0
	s_mov_b32 s25, exec_lo
	v_cmpx_ne_u32_e32 0x7f, v2
	s_cbranch_execz .LBB237_809
; %bb.806:                              ;   in Loop: Header=BB237_16 Depth=1
	v_mov_b32_e32 v1, 7
	s_mov_b32 s26, exec_lo
	v_and_b32_sdwa v48, v0, v1 dst_sel:DWORD dst_unused:UNUSED_PAD src0_sel:WORD_1 src1_sel:DWORD
	v_lshrrev_b32_e32 v1, 3, v2
	v_cmpx_gt_u32_e32 8, v2
; %bb.807:                              ;   in Loop: Header=BB237_16 Depth=1
	v_ffbh_u32_e32 v1, v48
	v_min_u32_e32 v1, 32, v1
	v_subrev_nc_u32_e32 v2, 28, v1
	v_sub_nc_u32_e32 v1, 29, v1
	v_lshlrev_b64 v[2:3], v2, v[48:49]
	v_and_b32_e32 v48, 7, v2
; %bb.808:                              ;   in Loop: Header=BB237_16 Depth=1
	s_or_b32 exec_lo, exec_lo, s26
	v_mov_b32_e32 v2, 24
	v_lshlrev_b32_e32 v3, 20, v48
	v_lshl_add_u32 v1, v1, 23, 0x3c000000
	v_lshlrev_b32_sdwa v2, v2, v0 dst_sel:DWORD dst_unused:UNUSED_PAD src0_sel:DWORD src1_sel:WORD_1
	v_and_b32_e32 v2, 0x80000000, v2
	v_or3_b32 v48, v3, v2, v1
	v_mov_b32_e32 v89, v49
	v_mov_b32_e32 v88, v48
.LBB237_809:                            ;   in Loop: Header=BB237_16 Depth=1
	s_or_b32 exec_lo, exec_lo, s25
.LBB237_810:                            ;   in Loop: Header=BB237_16 Depth=1
	s_or_b32 exec_lo, exec_lo, s24
.LBB237_811:                            ;   in Loop: Header=BB237_16 Depth=1
	s_or_b32 exec_lo, exec_lo, s23
	s_mov_b32 s23, exec_lo
	v_cmpx_lt_u32_e32 0xffffff, v0
	s_cbranch_execz .LBB237_819
; %bb.812:                              ;   in Loop: Header=BB237_16 Depth=1
	v_mov_b32_e32 v34, v49
	v_mov_b32_e32 v1, 0x80
	;; [unrolled: 1-line block ×4, first 2 shown]
	v_cmp_ne_u32_sdwa s5, v0, v1 src0_sel:BYTE_3 src1_sel:DWORD
	s_and_saveexec_b32 s24, s5
	s_cbranch_execz .LBB237_818
; %bb.813:                              ;   in Loop: Header=BB237_16 Depth=1
	v_mov_b32_e32 v62, v49
	v_mov_b32_e32 v107, v63
	v_bfe_u32 v2, v0, 24, 7
	s_mov_b32 s25, exec_lo
	v_mov_b32_e32 v106, v62
	v_cmpx_ne_u32_e32 0x7f, v2
	s_cbranch_execz .LBB237_817
; %bb.814:                              ;   in Loop: Header=BB237_16 Depth=1
	v_mov_b32_e32 v1, 7
	s_mov_b32 s26, exec_lo
	v_and_b32_sdwa v48, v0, v1 dst_sel:DWORD dst_unused:UNUSED_PAD src0_sel:BYTE_3 src1_sel:DWORD
	v_lshrrev_b32_e32 v1, 3, v2
	v_cmpx_gt_u32_e32 8, v2
; %bb.815:                              ;   in Loop: Header=BB237_16 Depth=1
	v_ffbh_u32_e32 v1, v48
	v_min_u32_e32 v1, 32, v1
	v_subrev_nc_u32_e32 v2, 28, v1
	v_sub_nc_u32_e32 v1, 29, v1
	v_lshlrev_b64 v[2:3], v2, v[48:49]
	v_and_b32_e32 v48, 7, v2
; %bb.816:                              ;   in Loop: Header=BB237_16 Depth=1
	s_or_b32 exec_lo, exec_lo, s26
	v_mov_b32_e32 v2, 24
	v_lshl_add_u32 v1, v1, 23, 0x3c000000
	v_mov_b32_e32 v106, v49
	v_lshlrev_b32_sdwa v0, v2, v0 dst_sel:DWORD dst_unused:UNUSED_PAD src0_sel:DWORD src1_sel:BYTE_3
	v_lshlrev_b32_e32 v2, 20, v48
	v_and_b32_e32 v0, 0x80000000, v0
	v_or3_b32 v107, v2, v0, v1
.LBB237_817:                            ;   in Loop: Header=BB237_16 Depth=1
	s_or_b32 exec_lo, exec_lo, s25
.LBB237_818:                            ;   in Loop: Header=BB237_16 Depth=1
	s_or_b32 exec_lo, exec_lo, s24
.LBB237_819:                            ;   in Loop: Header=BB237_16 Depth=1
	s_or_b32 exec_lo, exec_lo, s23
	flat_load_dword v0, v[84:85] offset:1028
	v_mov_b32_e32 v94, 0
	v_mov_b32_e32 v108, 0
	;; [unrolled: 1-line block ×4, first 2 shown]
	s_waitcnt vmcnt(0) lgkmcnt(0)
	v_cmp_ne_u16_sdwa s5, v0, v49 src0_sel:BYTE_0 src1_sel:DWORD
	s_and_saveexec_b32 s23, s5
	s_cbranch_execz .LBB237_827
; %bb.820:                              ;   in Loop: Header=BB237_16 Depth=1
	v_mov_b32_e32 v1, 0x80
	v_bfrev_b32_e32 v108, 1
	v_mov_b32_e32 v109, 0
	v_cmp_ne_u16_sdwa s5, v0, v1 src0_sel:BYTE_0 src1_sel:DWORD
	s_and_saveexec_b32 s24, s5
	s_cbranch_execz .LBB237_826
; %bb.821:                              ;   in Loop: Header=BB237_16 Depth=1
	v_mov_b32_e32 v108, 0x7f800001
	v_and_b32_e32 v2, 0x7f, v0
	v_mov_b32_e32 v109, 0
	s_mov_b32 s25, exec_lo
	v_cmpx_ne_u32_e32 0x7f, v2
	s_cbranch_execz .LBB237_825
; %bb.822:                              ;   in Loop: Header=BB237_16 Depth=1
	v_and_b32_e32 v48, 7, v0
	v_lshrrev_b32_e32 v1, 3, v2
	s_mov_b32 s26, exec_lo
	v_cmpx_gt_u32_e32 8, v2
; %bb.823:                              ;   in Loop: Header=BB237_16 Depth=1
	v_ffbh_u32_e32 v1, v48
	v_min_u32_e32 v1, 32, v1
	v_subrev_nc_u32_e32 v2, 28, v1
	v_sub_nc_u32_e32 v1, 29, v1
	v_lshlrev_b64 v[2:3], v2, v[48:49]
	v_and_b32_e32 v48, 7, v2
; %bb.824:                              ;   in Loop: Header=BB237_16 Depth=1
	s_or_b32 exec_lo, exec_lo, s26
	v_lshlrev_b32_e32 v2, 24, v0
	v_lshlrev_b32_e32 v3, 20, v48
	v_lshl_add_u32 v1, v1, 23, 0x3c000000
	v_and_b32_e32 v2, 0x80000000, v2
	v_or3_b32 v48, v3, v2, v1
	v_mov_b32_e32 v109, v49
	v_mov_b32_e32 v108, v48
.LBB237_825:                            ;   in Loop: Header=BB237_16 Depth=1
	s_or_b32 exec_lo, exec_lo, s25
.LBB237_826:                            ;   in Loop: Header=BB237_16 Depth=1
	s_or_b32 exec_lo, exec_lo, s24
.LBB237_827:                            ;   in Loop: Header=BB237_16 Depth=1
	s_or_b32 exec_lo, exec_lo, s23
	v_cmp_ne_u16_sdwa s5, v0, v49 src0_sel:BYTE_1 src1_sel:DWORD
	s_and_saveexec_b32 s23, s5
	s_cbranch_execz .LBB237_835
; %bb.828:                              ;   in Loop: Header=BB237_16 Depth=1
	v_mov_b32_e32 v34, v49
	v_mov_b32_e32 v1, 0x80
	v_mov_b32_e32 v95, v35
	v_mov_b32_e32 v94, v34
	v_cmp_ne_u16_sdwa s5, v0, v1 src0_sel:BYTE_1 src1_sel:DWORD
	s_and_saveexec_b32 s24, s5
	s_cbranch_execz .LBB237_834
; %bb.829:                              ;   in Loop: Header=BB237_16 Depth=1
	v_mov_b32_e32 v1, 0xffff
	v_mov_b32_e32 v62, v49
	;; [unrolled: 1-line block ×3, first 2 shown]
	s_mov_b32 s25, exec_lo
	v_and_b32_sdwa v1, v1, v0 dst_sel:DWORD dst_unused:UNUSED_PAD src0_sel:DWORD src1_sel:BYTE_1
	v_mov_b32_e32 v94, v62
	v_and_b32_e32 v2, 0x7f, v1
	v_cmpx_ne_u32_e32 0x7f, v2
	s_cbranch_execz .LBB237_833
; %bb.830:                              ;   in Loop: Header=BB237_16 Depth=1
	v_and_b32_e32 v48, 7, v1
	v_lshrrev_b32_e32 v1, 3, v2
	s_mov_b32 s26, exec_lo
	v_cmpx_gt_u32_e32 8, v2
; %bb.831:                              ;   in Loop: Header=BB237_16 Depth=1
	v_ffbh_u32_e32 v1, v48
	v_min_u32_e32 v1, 32, v1
	v_subrev_nc_u32_e32 v2, 28, v1
	v_sub_nc_u32_e32 v1, 29, v1
	v_lshlrev_b64 v[2:3], v2, v[48:49]
	v_and_b32_e32 v48, 7, v2
; %bb.832:                              ;   in Loop: Header=BB237_16 Depth=1
	s_or_b32 exec_lo, exec_lo, s26
	v_lshlrev_b32_e32 v2, 16, v0
	v_lshlrev_b32_e32 v3, 20, v48
	v_lshl_add_u32 v1, v1, 23, 0x3c000000
	v_mov_b32_e32 v94, v49
	v_and_b32_e32 v2, 0x80000000, v2
	v_or3_b32 v95, v3, v2, v1
.LBB237_833:                            ;   in Loop: Header=BB237_16 Depth=1
	s_or_b32 exec_lo, exec_lo, s25
.LBB237_834:                            ;   in Loop: Header=BB237_16 Depth=1
	s_or_b32 exec_lo, exec_lo, s24
.LBB237_835:                            ;   in Loop: Header=BB237_16 Depth=1
	s_or_b32 exec_lo, exec_lo, s23
	v_mov_b32_e32 v122, 0
	v_mov_b32_e32 v104, 0
	v_and_b32_sdwa v1, v0, v10 dst_sel:DWORD dst_unused:UNUSED_PAD src0_sel:WORD_1 src1_sel:DWORD
	v_mov_b32_e32 v123, 0
	v_mov_b32_e32 v105, 0
	s_mov_b32 s23, exec_lo
	v_cmpx_ne_u16_e32 0, v1
	s_cbranch_execz .LBB237_843
; %bb.836:                              ;   in Loop: Header=BB237_16 Depth=1
	v_bfrev_b32_e32 v104, 1
	v_mov_b32_e32 v105, 0
	s_mov_b32 s24, exec_lo
	v_cmpx_ne_u16_e32 0x80, v1
	s_cbranch_execz .LBB237_842
; %bb.837:                              ;   in Loop: Header=BB237_16 Depth=1
	v_mov_b32_e32 v104, 0x7f800001
	v_bfe_u32 v2, v0, 16, 7
	v_mov_b32_e32 v105, 0
	s_mov_b32 s25, exec_lo
	v_cmpx_ne_u32_e32 0x7f, v2
	s_cbranch_execz .LBB237_841
; %bb.838:                              ;   in Loop: Header=BB237_16 Depth=1
	v_mov_b32_e32 v1, 7
	s_mov_b32 s26, exec_lo
	v_and_b32_sdwa v48, v0, v1 dst_sel:DWORD dst_unused:UNUSED_PAD src0_sel:WORD_1 src1_sel:DWORD
	v_lshrrev_b32_e32 v1, 3, v2
	v_cmpx_gt_u32_e32 8, v2
; %bb.839:                              ;   in Loop: Header=BB237_16 Depth=1
	v_ffbh_u32_e32 v1, v48
	v_min_u32_e32 v1, 32, v1
	v_subrev_nc_u32_e32 v2, 28, v1
	v_sub_nc_u32_e32 v1, 29, v1
	v_lshlrev_b64 v[2:3], v2, v[48:49]
	v_and_b32_e32 v48, 7, v2
; %bb.840:                              ;   in Loop: Header=BB237_16 Depth=1
	s_or_b32 exec_lo, exec_lo, s26
	v_mov_b32_e32 v2, 24
	v_lshlrev_b32_e32 v3, 20, v48
	v_lshl_add_u32 v1, v1, 23, 0x3c000000
	v_lshlrev_b32_sdwa v2, v2, v0 dst_sel:DWORD dst_unused:UNUSED_PAD src0_sel:DWORD src1_sel:WORD_1
	v_and_b32_e32 v2, 0x80000000, v2
	v_or3_b32 v48, v3, v2, v1
	v_mov_b32_e32 v105, v49
	v_mov_b32_e32 v104, v48
.LBB237_841:                            ;   in Loop: Header=BB237_16 Depth=1
	s_or_b32 exec_lo, exec_lo, s25
.LBB237_842:                            ;   in Loop: Header=BB237_16 Depth=1
	s_or_b32 exec_lo, exec_lo, s24
.LBB237_843:                            ;   in Loop: Header=BB237_16 Depth=1
	s_or_b32 exec_lo, exec_lo, s23
	s_mov_b32 s23, exec_lo
	v_cmpx_lt_u32_e32 0xffffff, v0
	s_cbranch_execz .LBB237_851
; %bb.844:                              ;   in Loop: Header=BB237_16 Depth=1
	v_mov_b32_e32 v34, v49
	v_mov_b32_e32 v1, 0x80
	v_mov_b32_e32 v123, v35
	v_mov_b32_e32 v122, v34
	v_cmp_ne_u32_sdwa s5, v0, v1 src0_sel:BYTE_3 src1_sel:DWORD
	s_and_saveexec_b32 s24, s5
	s_cbranch_execz .LBB237_850
; %bb.845:                              ;   in Loop: Header=BB237_16 Depth=1
	v_mov_b32_e32 v62, v49
	v_mov_b32_e32 v123, v63
	v_bfe_u32 v2, v0, 24, 7
	s_mov_b32 s25, exec_lo
	v_mov_b32_e32 v122, v62
	v_cmpx_ne_u32_e32 0x7f, v2
	s_cbranch_execz .LBB237_849
; %bb.846:                              ;   in Loop: Header=BB237_16 Depth=1
	v_mov_b32_e32 v1, 7
	s_mov_b32 s26, exec_lo
	v_and_b32_sdwa v48, v0, v1 dst_sel:DWORD dst_unused:UNUSED_PAD src0_sel:BYTE_3 src1_sel:DWORD
	v_lshrrev_b32_e32 v1, 3, v2
	v_cmpx_gt_u32_e32 8, v2
; %bb.847:                              ;   in Loop: Header=BB237_16 Depth=1
	v_ffbh_u32_e32 v1, v48
	v_min_u32_e32 v1, 32, v1
	v_subrev_nc_u32_e32 v2, 28, v1
	v_sub_nc_u32_e32 v1, 29, v1
	v_lshlrev_b64 v[2:3], v2, v[48:49]
	v_and_b32_e32 v48, 7, v2
; %bb.848:                              ;   in Loop: Header=BB237_16 Depth=1
	s_or_b32 exec_lo, exec_lo, s26
	v_mov_b32_e32 v2, 24
	v_lshl_add_u32 v1, v1, 23, 0x3c000000
	v_mov_b32_e32 v122, v49
	v_lshlrev_b32_sdwa v0, v2, v0 dst_sel:DWORD dst_unused:UNUSED_PAD src0_sel:DWORD src1_sel:BYTE_3
	v_lshlrev_b32_e32 v2, 20, v48
	v_and_b32_e32 v0, 0x80000000, v0
	v_or3_b32 v123, v2, v0, v1
.LBB237_849:                            ;   in Loop: Header=BB237_16 Depth=1
	s_or_b32 exec_lo, exec_lo, s25
.LBB237_850:                            ;   in Loop: Header=BB237_16 Depth=1
	s_or_b32 exec_lo, exec_lo, s24
.LBB237_851:                            ;   in Loop: Header=BB237_16 Depth=1
	s_or_b32 exec_lo, exec_lo, s23
	flat_load_dword v0, v[84:85] offset:1032
	v_mov_b32_e32 v110, 0
	v_mov_b32_e32 v124, 0
	;; [unrolled: 1-line block ×4, first 2 shown]
	s_waitcnt vmcnt(0) lgkmcnt(0)
	v_cmp_ne_u16_sdwa s5, v0, v49 src0_sel:BYTE_0 src1_sel:DWORD
	s_and_saveexec_b32 s23, s5
	s_cbranch_execz .LBB237_859
; %bb.852:                              ;   in Loop: Header=BB237_16 Depth=1
	v_mov_b32_e32 v1, 0x80
	v_bfrev_b32_e32 v124, 1
	v_mov_b32_e32 v125, 0
	v_cmp_ne_u16_sdwa s5, v0, v1 src0_sel:BYTE_0 src1_sel:DWORD
	s_and_saveexec_b32 s24, s5
	s_cbranch_execz .LBB237_858
; %bb.853:                              ;   in Loop: Header=BB237_16 Depth=1
	v_mov_b32_e32 v124, 0x7f800001
	v_and_b32_e32 v2, 0x7f, v0
	v_mov_b32_e32 v125, 0
	s_mov_b32 s25, exec_lo
	v_cmpx_ne_u32_e32 0x7f, v2
	s_cbranch_execz .LBB237_857
; %bb.854:                              ;   in Loop: Header=BB237_16 Depth=1
	v_and_b32_e32 v48, 7, v0
	v_lshrrev_b32_e32 v1, 3, v2
	s_mov_b32 s26, exec_lo
	v_cmpx_gt_u32_e32 8, v2
; %bb.855:                              ;   in Loop: Header=BB237_16 Depth=1
	v_ffbh_u32_e32 v1, v48
	v_min_u32_e32 v1, 32, v1
	v_subrev_nc_u32_e32 v2, 28, v1
	v_sub_nc_u32_e32 v1, 29, v1
	v_lshlrev_b64 v[2:3], v2, v[48:49]
	v_and_b32_e32 v48, 7, v2
; %bb.856:                              ;   in Loop: Header=BB237_16 Depth=1
	s_or_b32 exec_lo, exec_lo, s26
	v_lshlrev_b32_e32 v2, 24, v0
	v_lshlrev_b32_e32 v3, 20, v48
	v_lshl_add_u32 v1, v1, 23, 0x3c000000
	v_and_b32_e32 v2, 0x80000000, v2
	v_or3_b32 v48, v3, v2, v1
	v_mov_b32_e32 v125, v49
	v_mov_b32_e32 v124, v48
.LBB237_857:                            ;   in Loop: Header=BB237_16 Depth=1
	s_or_b32 exec_lo, exec_lo, s25
.LBB237_858:                            ;   in Loop: Header=BB237_16 Depth=1
	s_or_b32 exec_lo, exec_lo, s24
.LBB237_859:                            ;   in Loop: Header=BB237_16 Depth=1
	s_or_b32 exec_lo, exec_lo, s23
	v_cmp_ne_u16_sdwa s5, v0, v49 src0_sel:BYTE_1 src1_sel:DWORD
	s_and_saveexec_b32 s23, s5
	s_cbranch_execz .LBB237_867
; %bb.860:                              ;   in Loop: Header=BB237_16 Depth=1
	v_mov_b32_e32 v34, v49
	v_mov_b32_e32 v1, 0x80
	;; [unrolled: 1-line block ×4, first 2 shown]
	v_cmp_ne_u16_sdwa s5, v0, v1 src0_sel:BYTE_1 src1_sel:DWORD
	s_and_saveexec_b32 s24, s5
	s_cbranch_execz .LBB237_866
; %bb.861:                              ;   in Loop: Header=BB237_16 Depth=1
	v_mov_b32_e32 v1, 0xffff
	v_mov_b32_e32 v62, v49
	;; [unrolled: 1-line block ×3, first 2 shown]
	s_mov_b32 s25, exec_lo
	v_and_b32_sdwa v1, v1, v0 dst_sel:DWORD dst_unused:UNUSED_PAD src0_sel:DWORD src1_sel:BYTE_1
	v_mov_b32_e32 v110, v62
	v_and_b32_e32 v2, 0x7f, v1
	v_cmpx_ne_u32_e32 0x7f, v2
	s_cbranch_execz .LBB237_865
; %bb.862:                              ;   in Loop: Header=BB237_16 Depth=1
	v_and_b32_e32 v48, 7, v1
	v_lshrrev_b32_e32 v1, 3, v2
	s_mov_b32 s26, exec_lo
	v_cmpx_gt_u32_e32 8, v2
; %bb.863:                              ;   in Loop: Header=BB237_16 Depth=1
	v_ffbh_u32_e32 v1, v48
	v_min_u32_e32 v1, 32, v1
	v_subrev_nc_u32_e32 v2, 28, v1
	v_sub_nc_u32_e32 v1, 29, v1
	v_lshlrev_b64 v[2:3], v2, v[48:49]
	v_and_b32_e32 v48, 7, v2
; %bb.864:                              ;   in Loop: Header=BB237_16 Depth=1
	s_or_b32 exec_lo, exec_lo, s26
	v_lshlrev_b32_e32 v2, 16, v0
	v_lshlrev_b32_e32 v3, 20, v48
	v_lshl_add_u32 v1, v1, 23, 0x3c000000
	v_mov_b32_e32 v110, v49
	v_and_b32_e32 v2, 0x80000000, v2
	v_or3_b32 v111, v3, v2, v1
.LBB237_865:                            ;   in Loop: Header=BB237_16 Depth=1
	s_or_b32 exec_lo, exec_lo, s25
.LBB237_866:                            ;   in Loop: Header=BB237_16 Depth=1
	s_or_b32 exec_lo, exec_lo, s24
.LBB237_867:                            ;   in Loop: Header=BB237_16 Depth=1
	s_or_b32 exec_lo, exec_lo, s23
	v_mov_b32_e32 v8, 0
	v_mov_b32_e32 v120, 0
	v_and_b32_sdwa v1, v0, v10 dst_sel:DWORD dst_unused:UNUSED_PAD src0_sel:WORD_1 src1_sel:DWORD
	v_mov_b32_e32 v9, 0
	v_mov_b32_e32 v121, 0
	s_mov_b32 s23, exec_lo
	v_cmpx_ne_u16_e32 0, v1
	s_cbranch_execz .LBB237_875
; %bb.868:                              ;   in Loop: Header=BB237_16 Depth=1
	v_bfrev_b32_e32 v120, 1
	v_mov_b32_e32 v121, 0
	s_mov_b32 s24, exec_lo
	v_cmpx_ne_u16_e32 0x80, v1
	s_cbranch_execz .LBB237_874
; %bb.869:                              ;   in Loop: Header=BB237_16 Depth=1
	v_mov_b32_e32 v120, 0x7f800001
	v_bfe_u32 v2, v0, 16, 7
	v_mov_b32_e32 v121, 0
	s_mov_b32 s25, exec_lo
	v_cmpx_ne_u32_e32 0x7f, v2
	s_cbranch_execz .LBB237_873
; %bb.870:                              ;   in Loop: Header=BB237_16 Depth=1
	v_mov_b32_e32 v1, 7
	s_mov_b32 s26, exec_lo
	v_and_b32_sdwa v48, v0, v1 dst_sel:DWORD dst_unused:UNUSED_PAD src0_sel:WORD_1 src1_sel:DWORD
	v_lshrrev_b32_e32 v1, 3, v2
	v_cmpx_gt_u32_e32 8, v2
; %bb.871:                              ;   in Loop: Header=BB237_16 Depth=1
	v_ffbh_u32_e32 v1, v48
	v_min_u32_e32 v1, 32, v1
	v_subrev_nc_u32_e32 v2, 28, v1
	v_sub_nc_u32_e32 v1, 29, v1
	v_lshlrev_b64 v[2:3], v2, v[48:49]
	v_and_b32_e32 v48, 7, v2
; %bb.872:                              ;   in Loop: Header=BB237_16 Depth=1
	s_or_b32 exec_lo, exec_lo, s26
	v_mov_b32_e32 v2, 24
	v_lshlrev_b32_e32 v3, 20, v48
	v_lshl_add_u32 v1, v1, 23, 0x3c000000
	v_lshlrev_b32_sdwa v2, v2, v0 dst_sel:DWORD dst_unused:UNUSED_PAD src0_sel:DWORD src1_sel:WORD_1
	v_and_b32_e32 v2, 0x80000000, v2
	v_or3_b32 v48, v3, v2, v1
	v_mov_b32_e32 v121, v49
	v_mov_b32_e32 v120, v48
.LBB237_873:                            ;   in Loop: Header=BB237_16 Depth=1
	s_or_b32 exec_lo, exec_lo, s25
.LBB237_874:                            ;   in Loop: Header=BB237_16 Depth=1
	s_or_b32 exec_lo, exec_lo, s24
.LBB237_875:                            ;   in Loop: Header=BB237_16 Depth=1
	s_or_b32 exec_lo, exec_lo, s23
	s_mov_b32 s23, exec_lo
	v_cmpx_lt_u32_e32 0xffffff, v0
	s_cbranch_execz .LBB237_883
; %bb.876:                              ;   in Loop: Header=BB237_16 Depth=1
	v_mov_b32_e32 v34, v49
	v_mov_b32_e32 v1, 0x80
	;; [unrolled: 1-line block ×3, first 2 shown]
	v_cmp_ne_u32_sdwa s5, v0, v1 src0_sel:BYTE_3 src1_sel:DWORD
	v_mov_b32_e32 v9, v35
	s_and_saveexec_b32 s24, s5
	s_cbranch_execz .LBB237_882
; %bb.877:                              ;   in Loop: Header=BB237_16 Depth=1
	v_mov_b32_e32 v62, v49
	v_bfe_u32 v2, v0, 24, 7
	s_mov_b32 s25, exec_lo
	v_mov_b32_e32 v8, v62
	v_mov_b32_e32 v9, v63
	v_cmpx_ne_u32_e32 0x7f, v2
	s_cbranch_execz .LBB237_881
; %bb.878:                              ;   in Loop: Header=BB237_16 Depth=1
	v_mov_b32_e32 v1, 7
	s_mov_b32 s26, exec_lo
	v_and_b32_sdwa v48, v0, v1 dst_sel:DWORD dst_unused:UNUSED_PAD src0_sel:BYTE_3 src1_sel:DWORD
	v_lshrrev_b32_e32 v1, 3, v2
	v_cmpx_gt_u32_e32 8, v2
; %bb.879:                              ;   in Loop: Header=BB237_16 Depth=1
	v_ffbh_u32_e32 v1, v48
	v_min_u32_e32 v1, 32, v1
	v_subrev_nc_u32_e32 v2, 28, v1
	v_sub_nc_u32_e32 v1, 29, v1
	v_lshlrev_b64 v[2:3], v2, v[48:49]
	v_and_b32_e32 v48, 7, v2
; %bb.880:                              ;   in Loop: Header=BB237_16 Depth=1
	s_or_b32 exec_lo, exec_lo, s26
	v_mov_b32_e32 v2, 24
	v_lshl_add_u32 v1, v1, 23, 0x3c000000
	v_mov_b32_e32 v8, v49
	v_lshlrev_b32_sdwa v0, v2, v0 dst_sel:DWORD dst_unused:UNUSED_PAD src0_sel:DWORD src1_sel:BYTE_3
	v_lshlrev_b32_e32 v2, 20, v48
	v_and_b32_e32 v0, 0x80000000, v0
	v_or3_b32 v9, v2, v0, v1
.LBB237_881:                            ;   in Loop: Header=BB237_16 Depth=1
	s_or_b32 exec_lo, exec_lo, s25
.LBB237_882:                            ;   in Loop: Header=BB237_16 Depth=1
	s_or_b32 exec_lo, exec_lo, s24
.LBB237_883:                            ;   in Loop: Header=BB237_16 Depth=1
	s_or_b32 exec_lo, exec_lo, s23
	flat_load_dword v0, v[84:85] offset:1036
	v_mov_b32_e32 v2, 0
	v_mov_b32_e32 v20, 0
	;; [unrolled: 1-line block ×4, first 2 shown]
	s_waitcnt vmcnt(0) lgkmcnt(0)
	v_cmp_ne_u16_sdwa s5, v0, v49 src0_sel:BYTE_0 src1_sel:DWORD
	s_and_saveexec_b32 s23, s5
	s_cbranch_execz .LBB237_891
; %bb.884:                              ;   in Loop: Header=BB237_16 Depth=1
	v_mov_b32_e32 v1, 0x80
	v_bfrev_b32_e32 v20, 1
	v_mov_b32_e32 v21, 0
	v_cmp_ne_u16_sdwa s5, v0, v1 src0_sel:BYTE_0 src1_sel:DWORD
	s_and_saveexec_b32 s24, s5
	s_cbranch_execz .LBB237_890
; %bb.885:                              ;   in Loop: Header=BB237_16 Depth=1
	v_mov_b32_e32 v20, 0x7f800001
	v_and_b32_e32 v4, 0x7f, v0
	v_mov_b32_e32 v21, 0
	s_mov_b32 s25, exec_lo
	v_cmpx_ne_u32_e32 0x7f, v4
	s_cbranch_execz .LBB237_889
; %bb.886:                              ;   in Loop: Header=BB237_16 Depth=1
	v_and_b32_e32 v48, 7, v0
	v_lshrrev_b32_e32 v1, 3, v4
	s_mov_b32 s26, exec_lo
	v_cmpx_gt_u32_e32 8, v4
; %bb.887:                              ;   in Loop: Header=BB237_16 Depth=1
	v_ffbh_u32_e32 v1, v48
	v_min_u32_e32 v1, 32, v1
	v_subrev_nc_u32_e32 v4, 28, v1
	v_sub_nc_u32_e32 v1, 29, v1
	v_lshlrev_b64 v[4:5], v4, v[48:49]
	v_and_b32_e32 v48, 7, v4
; %bb.888:                              ;   in Loop: Header=BB237_16 Depth=1
	s_or_b32 exec_lo, exec_lo, s26
	v_lshlrev_b32_e32 v4, 24, v0
	v_lshlrev_b32_e32 v5, 20, v48
	v_lshl_add_u32 v1, v1, 23, 0x3c000000
	v_and_b32_e32 v4, 0x80000000, v4
	v_or3_b32 v48, v5, v4, v1
	v_mov_b32_e32 v20, v48
	v_mov_b32_e32 v21, v49
.LBB237_889:                            ;   in Loop: Header=BB237_16 Depth=1
	s_or_b32 exec_lo, exec_lo, s25
.LBB237_890:                            ;   in Loop: Header=BB237_16 Depth=1
	s_or_b32 exec_lo, exec_lo, s24
.LBB237_891:                            ;   in Loop: Header=BB237_16 Depth=1
	s_or_b32 exec_lo, exec_lo, s23
	v_cmp_ne_u16_sdwa s5, v0, v49 src0_sel:BYTE_1 src1_sel:DWORD
	s_and_saveexec_b32 s23, s5
	s_cbranch_execz .LBB237_899
; %bb.892:                              ;   in Loop: Header=BB237_16 Depth=1
	v_mov_b32_e32 v34, v49
	v_mov_b32_e32 v1, 0x80
	;; [unrolled: 1-line block ×3, first 2 shown]
	v_cmp_ne_u16_sdwa s5, v0, v1 src0_sel:BYTE_1 src1_sel:DWORD
	v_mov_b32_e32 v3, v35
	s_and_saveexec_b32 s24, s5
	s_cbranch_execz .LBB237_898
; %bb.893:                              ;   in Loop: Header=BB237_16 Depth=1
	v_mov_b32_e32 v1, 0xffff
	v_mov_b32_e32 v62, v49
	s_mov_b32 s25, exec_lo
	v_and_b32_sdwa v1, v1, v0 dst_sel:DWORD dst_unused:UNUSED_PAD src0_sel:DWORD src1_sel:BYTE_1
	v_mov_b32_e32 v2, v62
	v_mov_b32_e32 v3, v63
	v_and_b32_e32 v4, 0x7f, v1
	v_cmpx_ne_u32_e32 0x7f, v4
	s_cbranch_execz .LBB237_897
; %bb.894:                              ;   in Loop: Header=BB237_16 Depth=1
	v_and_b32_e32 v48, 7, v1
	v_lshrrev_b32_e32 v1, 3, v4
	s_mov_b32 s26, exec_lo
	v_cmpx_gt_u32_e32 8, v4
; %bb.895:                              ;   in Loop: Header=BB237_16 Depth=1
	v_ffbh_u32_e32 v1, v48
	v_min_u32_e32 v1, 32, v1
	v_subrev_nc_u32_e32 v2, 28, v1
	v_sub_nc_u32_e32 v1, 29, v1
	v_lshlrev_b64 v[2:3], v2, v[48:49]
	v_and_b32_e32 v48, 7, v2
; %bb.896:                              ;   in Loop: Header=BB237_16 Depth=1
	s_or_b32 exec_lo, exec_lo, s26
	v_lshlrev_b32_e32 v2, 16, v0
	v_lshlrev_b32_e32 v3, 20, v48
	v_lshl_add_u32 v1, v1, 23, 0x3c000000
	v_and_b32_e32 v2, 0x80000000, v2
	v_or3_b32 v3, v3, v2, v1
	v_mov_b32_e32 v2, v49
.LBB237_897:                            ;   in Loop: Header=BB237_16 Depth=1
	s_or_b32 exec_lo, exec_lo, s25
.LBB237_898:                            ;   in Loop: Header=BB237_16 Depth=1
	s_or_b32 exec_lo, exec_lo, s24
.LBB237_899:                            ;   in Loop: Header=BB237_16 Depth=1
	s_or_b32 exec_lo, exec_lo, s23
	v_mov_b32_e32 v126, 0
	v_mov_b32_e32 v28, 0
	v_and_b32_sdwa v1, v0, v10 dst_sel:DWORD dst_unused:UNUSED_PAD src0_sel:WORD_1 src1_sel:DWORD
	v_mov_b32_e32 v127, 0
	v_mov_b32_e32 v29, 0
	s_mov_b32 s23, exec_lo
	v_cmpx_ne_u16_e32 0, v1
	s_cbranch_execz .LBB237_907
; %bb.900:                              ;   in Loop: Header=BB237_16 Depth=1
	v_bfrev_b32_e32 v28, 1
	v_mov_b32_e32 v29, 0
	s_mov_b32 s24, exec_lo
	v_cmpx_ne_u16_e32 0x80, v1
	s_cbranch_execz .LBB237_906
; %bb.901:                              ;   in Loop: Header=BB237_16 Depth=1
	v_mov_b32_e32 v28, 0x7f800001
	v_bfe_u32 v4, v0, 16, 7
	v_mov_b32_e32 v29, 0
	s_mov_b32 s25, exec_lo
	v_cmpx_ne_u32_e32 0x7f, v4
	s_cbranch_execz .LBB237_905
; %bb.902:                              ;   in Loop: Header=BB237_16 Depth=1
	v_mov_b32_e32 v1, 7
	s_mov_b32 s26, exec_lo
	v_and_b32_sdwa v48, v0, v1 dst_sel:DWORD dst_unused:UNUSED_PAD src0_sel:WORD_1 src1_sel:DWORD
	v_lshrrev_b32_e32 v1, 3, v4
	v_cmpx_gt_u32_e32 8, v4
; %bb.903:                              ;   in Loop: Header=BB237_16 Depth=1
	v_ffbh_u32_e32 v1, v48
	v_min_u32_e32 v1, 32, v1
	v_subrev_nc_u32_e32 v4, 28, v1
	v_sub_nc_u32_e32 v1, 29, v1
	v_lshlrev_b64 v[4:5], v4, v[48:49]
	v_and_b32_e32 v48, 7, v4
; %bb.904:                              ;   in Loop: Header=BB237_16 Depth=1
	s_or_b32 exec_lo, exec_lo, s26
	v_mov_b32_e32 v4, 24
	v_lshlrev_b32_e32 v5, 20, v48
	v_lshl_add_u32 v1, v1, 23, 0x3c000000
	v_lshlrev_b32_sdwa v4, v4, v0 dst_sel:DWORD dst_unused:UNUSED_PAD src0_sel:DWORD src1_sel:WORD_1
	v_and_b32_e32 v4, 0x80000000, v4
	v_or3_b32 v48, v5, v4, v1
	v_mov_b32_e32 v28, v48
	v_mov_b32_e32 v29, v49
.LBB237_905:                            ;   in Loop: Header=BB237_16 Depth=1
	s_or_b32 exec_lo, exec_lo, s25
.LBB237_906:                            ;   in Loop: Header=BB237_16 Depth=1
	s_or_b32 exec_lo, exec_lo, s24
.LBB237_907:                            ;   in Loop: Header=BB237_16 Depth=1
	s_or_b32 exec_lo, exec_lo, s23
	s_mov_b32 s23, exec_lo
	v_cmpx_lt_u32_e32 0xffffff, v0
	s_cbranch_execz .LBB237_915
; %bb.908:                              ;   in Loop: Header=BB237_16 Depth=1
	v_mov_b32_e32 v34, v49
	v_mov_b32_e32 v1, 0x80
	;; [unrolled: 1-line block ×4, first 2 shown]
	v_cmp_ne_u32_sdwa s5, v0, v1 src0_sel:BYTE_3 src1_sel:DWORD
	s_and_saveexec_b32 s24, s5
	s_cbranch_execz .LBB237_914
; %bb.909:                              ;   in Loop: Header=BB237_16 Depth=1
	v_mov_b32_e32 v62, v49
	v_mov_b32_e32 v127, v63
	v_bfe_u32 v4, v0, 24, 7
	s_mov_b32 s25, exec_lo
	v_mov_b32_e32 v126, v62
	v_cmpx_ne_u32_e32 0x7f, v4
	s_cbranch_execz .LBB237_913
; %bb.910:                              ;   in Loop: Header=BB237_16 Depth=1
	v_mov_b32_e32 v1, 7
	s_mov_b32 s26, exec_lo
	v_and_b32_sdwa v48, v0, v1 dst_sel:DWORD dst_unused:UNUSED_PAD src0_sel:BYTE_3 src1_sel:DWORD
	v_lshrrev_b32_e32 v1, 3, v4
	v_cmpx_gt_u32_e32 8, v4
; %bb.911:                              ;   in Loop: Header=BB237_16 Depth=1
	v_ffbh_u32_e32 v1, v48
	v_min_u32_e32 v1, 32, v1
	v_subrev_nc_u32_e32 v4, 28, v1
	v_sub_nc_u32_e32 v1, 29, v1
	v_lshlrev_b64 v[4:5], v4, v[48:49]
	v_and_b32_e32 v48, 7, v4
; %bb.912:                              ;   in Loop: Header=BB237_16 Depth=1
	s_or_b32 exec_lo, exec_lo, s26
	v_mov_b32_e32 v4, 24
	v_lshl_add_u32 v1, v1, 23, 0x3c000000
	v_mov_b32_e32 v126, v49
	v_lshlrev_b32_sdwa v0, v4, v0 dst_sel:DWORD dst_unused:UNUSED_PAD src0_sel:DWORD src1_sel:BYTE_3
	v_lshlrev_b32_e32 v4, 20, v48
	v_and_b32_e32 v0, 0x80000000, v0
	v_or3_b32 v127, v4, v0, v1
.LBB237_913:                            ;   in Loop: Header=BB237_16 Depth=1
	s_or_b32 exec_lo, exec_lo, s25
.LBB237_914:                            ;   in Loop: Header=BB237_16 Depth=1
	s_or_b32 exec_lo, exec_lo, s24
.LBB237_915:                            ;   in Loop: Header=BB237_16 Depth=1
	s_or_b32 exec_lo, exec_lo, s23
	flat_load_dword v19, v[84:85] offset:1536
	v_mov_b32_e32 v4, 0
	v_mov_b32_e32 v6, 0
	;; [unrolled: 1-line block ×4, first 2 shown]
	s_waitcnt vmcnt(0) lgkmcnt(0)
	v_cmp_ne_u16_sdwa s5, v19, v49 src0_sel:BYTE_0 src1_sel:DWORD
	s_and_saveexec_b32 s23, s5
	s_cbranch_execz .LBB237_923
; %bb.916:                              ;   in Loop: Header=BB237_16 Depth=1
	v_mov_b32_e32 v0, 0x80
	v_bfrev_b32_e32 v6, 1
	v_mov_b32_e32 v7, 0
	v_cmp_ne_u16_sdwa s5, v19, v0 src0_sel:BYTE_0 src1_sel:DWORD
	s_and_saveexec_b32 s24, s5
	s_cbranch_execz .LBB237_922
; %bb.917:                              ;   in Loop: Header=BB237_16 Depth=1
	v_mov_b32_e32 v6, 0x7f800001
	v_and_b32_e32 v1, 0x7f, v19
	v_mov_b32_e32 v7, 0
	s_mov_b32 s25, exec_lo
	v_cmpx_ne_u32_e32 0x7f, v1
	s_cbranch_execz .LBB237_921
; %bb.918:                              ;   in Loop: Header=BB237_16 Depth=1
	v_and_b32_e32 v48, 7, v19
	v_lshrrev_b32_e32 v0, 3, v1
	s_mov_b32 s26, exec_lo
	v_cmpx_gt_u32_e32 8, v1
; %bb.919:                              ;   in Loop: Header=BB237_16 Depth=1
	v_ffbh_u32_e32 v0, v48
	v_min_u32_e32 v0, 32, v0
	v_subrev_nc_u32_e32 v1, 28, v0
	v_sub_nc_u32_e32 v0, 29, v0
	v_lshlrev_b64 v[6:7], v1, v[48:49]
	v_and_b32_e32 v48, 7, v6
; %bb.920:                              ;   in Loop: Header=BB237_16 Depth=1
	s_or_b32 exec_lo, exec_lo, s26
	v_lshlrev_b32_e32 v1, 24, v19
	v_lshlrev_b32_e32 v6, 20, v48
	v_lshl_add_u32 v0, v0, 23, 0x3c000000
	v_and_b32_e32 v1, 0x80000000, v1
	v_or3_b32 v48, v6, v1, v0
	v_mov_b32_e32 v6, v48
	v_mov_b32_e32 v7, v49
.LBB237_921:                            ;   in Loop: Header=BB237_16 Depth=1
	s_or_b32 exec_lo, exec_lo, s25
.LBB237_922:                            ;   in Loop: Header=BB237_16 Depth=1
	s_or_b32 exec_lo, exec_lo, s24
.LBB237_923:                            ;   in Loop: Header=BB237_16 Depth=1
	s_or_b32 exec_lo, exec_lo, s23
	v_cmp_ne_u16_sdwa s5, v19, v49 src0_sel:BYTE_1 src1_sel:DWORD
	s_and_saveexec_b32 s23, s5
	s_cbranch_execz .LBB237_931
; %bb.924:                              ;   in Loop: Header=BB237_16 Depth=1
	v_mov_b32_e32 v34, v49
	v_mov_b32_e32 v0, 0x80
	;; [unrolled: 1-line block ×3, first 2 shown]
	v_cmp_ne_u16_sdwa s5, v19, v0 src0_sel:BYTE_1 src1_sel:DWORD
	v_mov_b32_e32 v5, v35
	s_and_saveexec_b32 s24, s5
	s_cbranch_execz .LBB237_930
; %bb.925:                              ;   in Loop: Header=BB237_16 Depth=1
	v_mov_b32_e32 v0, 0xffff
	v_mov_b32_e32 v62, v49
	s_mov_b32 s25, exec_lo
	v_and_b32_sdwa v0, v0, v19 dst_sel:DWORD dst_unused:UNUSED_PAD src0_sel:DWORD src1_sel:BYTE_1
	v_mov_b32_e32 v4, v62
	v_mov_b32_e32 v5, v63
	v_and_b32_e32 v1, 0x7f, v0
	v_cmpx_ne_u32_e32 0x7f, v1
	s_cbranch_execz .LBB237_929
; %bb.926:                              ;   in Loop: Header=BB237_16 Depth=1
	v_and_b32_e32 v48, 7, v0
	v_lshrrev_b32_e32 v0, 3, v1
	s_mov_b32 s26, exec_lo
	v_cmpx_gt_u32_e32 8, v1
; %bb.927:                              ;   in Loop: Header=BB237_16 Depth=1
	v_ffbh_u32_e32 v0, v48
	v_min_u32_e32 v0, 32, v0
	v_subrev_nc_u32_e32 v1, 28, v0
	v_sub_nc_u32_e32 v0, 29, v0
	v_lshlrev_b64 v[4:5], v1, v[48:49]
	v_and_b32_e32 v48, 7, v4
; %bb.928:                              ;   in Loop: Header=BB237_16 Depth=1
	s_or_b32 exec_lo, exec_lo, s26
	v_lshlrev_b32_e32 v1, 16, v19
	v_lshlrev_b32_e32 v4, 20, v48
	v_lshl_add_u32 v0, v0, 23, 0x3c000000
	v_and_b32_e32 v1, 0x80000000, v1
	v_or3_b32 v5, v4, v1, v0
	v_mov_b32_e32 v4, v49
.LBB237_929:                            ;   in Loop: Header=BB237_16 Depth=1
	s_or_b32 exec_lo, exec_lo, s25
.LBB237_930:                            ;   in Loop: Header=BB237_16 Depth=1
	s_or_b32 exec_lo, exec_lo, s24
.LBB237_931:                            ;   in Loop: Header=BB237_16 Depth=1
	s_or_b32 exec_lo, exec_lo, s23
	v_and_b32_sdwa v14, v19, v10 dst_sel:DWORD dst_unused:UNUSED_PAD src0_sel:WORD_1 src1_sel:DWORD
	v_mov_b32_e32 v0, 0
	v_mov_b32_e32 v10, 0
	;; [unrolled: 1-line block ×5, first 2 shown]
	s_mov_b32 s23, exec_lo
	v_cmpx_ne_u16_e32 0, v14
	s_cbranch_execz .LBB237_939
; %bb.932:                              ;   in Loop: Header=BB237_16 Depth=1
	v_bfrev_b32_e32 v10, 1
	v_mov_b32_e32 v11, 0
	s_mov_b32 s24, exec_lo
	v_cmpx_ne_u16_e32 0x80, v14
	s_cbranch_execz .LBB237_938
; %bb.933:                              ;   in Loop: Header=BB237_16 Depth=1
	v_mov_b32_e32 v10, 0x7f800001
	v_bfe_u32 v22, v19, 16, 7
	v_mov_b32_e32 v11, 0
	s_mov_b32 s25, exec_lo
	v_cmpx_ne_u32_e32 0x7f, v22
	s_cbranch_execz .LBB237_937
; %bb.934:                              ;   in Loop: Header=BB237_16 Depth=1
	v_mov_b32_e32 v10, 7
	s_mov_b32 s26, exec_lo
	v_and_b32_sdwa v48, v19, v10 dst_sel:DWORD dst_unused:UNUSED_PAD src0_sel:WORD_1 src1_sel:DWORD
	v_lshrrev_b32_e32 v10, 3, v22
	v_cmpx_gt_u32_e32 8, v22
; %bb.935:                              ;   in Loop: Header=BB237_16 Depth=1
	v_ffbh_u32_e32 v10, v48
	v_min_u32_e32 v10, 32, v10
	v_subrev_nc_u32_e32 v11, 28, v10
	v_sub_nc_u32_e32 v10, 29, v10
	v_lshlrev_b64 v[22:23], v11, v[48:49]
	v_and_b32_e32 v48, 7, v22
; %bb.936:                              ;   in Loop: Header=BB237_16 Depth=1
	s_or_b32 exec_lo, exec_lo, s26
	v_mov_b32_e32 v11, 24
	v_lshlrev_b32_e32 v14, 20, v48
	v_lshl_add_u32 v10, v10, 23, 0x3c000000
	v_lshlrev_b32_sdwa v11, v11, v19 dst_sel:DWORD dst_unused:UNUSED_PAD src0_sel:DWORD src1_sel:WORD_1
	v_and_b32_e32 v11, 0x80000000, v11
	v_or3_b32 v48, v14, v11, v10
	v_mov_b32_e32 v10, v48
	v_mov_b32_e32 v11, v49
.LBB237_937:                            ;   in Loop: Header=BB237_16 Depth=1
	s_or_b32 exec_lo, exec_lo, s25
.LBB237_938:                            ;   in Loop: Header=BB237_16 Depth=1
	s_or_b32 exec_lo, exec_lo, s24
.LBB237_939:                            ;   in Loop: Header=BB237_16 Depth=1
	s_or_b32 exec_lo, exec_lo, s23
	s_mov_b32 s23, exec_lo
	v_cmpx_lt_u32_e32 0xffffff, v19
	s_cbranch_execz .LBB237_947
; %bb.940:                              ;   in Loop: Header=BB237_16 Depth=1
	v_mov_b32_e32 v34, v49
	v_mov_b32_e32 v0, 0x80
	v_cmp_ne_u32_sdwa s5, v19, v0 src0_sel:BYTE_3 src1_sel:DWORD
	v_mov_b32_e32 v0, v34
	v_mov_b32_e32 v1, v35
	s_and_saveexec_b32 s24, s5
	s_cbranch_execz .LBB237_946
; %bb.941:                              ;   in Loop: Header=BB237_16 Depth=1
	v_mov_b32_e32 v62, v49
	v_bfe_u32 v22, v19, 24, 7
	s_mov_b32 s25, exec_lo
	v_mov_b32_e32 v0, v62
	v_mov_b32_e32 v1, v63
	v_cmpx_ne_u32_e32 0x7f, v22
	s_cbranch_execz .LBB237_945
; %bb.942:                              ;   in Loop: Header=BB237_16 Depth=1
	v_mov_b32_e32 v0, 7
	s_mov_b32 s26, exec_lo
	v_and_b32_sdwa v48, v19, v0 dst_sel:DWORD dst_unused:UNUSED_PAD src0_sel:BYTE_3 src1_sel:DWORD
	v_lshrrev_b32_e32 v0, 3, v22
	v_cmpx_gt_u32_e32 8, v22
; %bb.943:                              ;   in Loop: Header=BB237_16 Depth=1
	v_ffbh_u32_e32 v0, v48
	v_min_u32_e32 v0, 32, v0
	v_subrev_nc_u32_e32 v1, 28, v0
	v_sub_nc_u32_e32 v0, 29, v0
	v_lshlrev_b64 v[22:23], v1, v[48:49]
	v_and_b32_e32 v48, 7, v22
; %bb.944:                              ;   in Loop: Header=BB237_16 Depth=1
	s_or_b32 exec_lo, exec_lo, s26
	v_mov_b32_e32 v1, 24
	v_lshlrev_b32_e32 v14, 20, v48
	v_lshl_add_u32 v0, v0, 23, 0x3c000000
	v_lshlrev_b32_sdwa v1, v1, v19 dst_sel:DWORD dst_unused:UNUSED_PAD src0_sel:DWORD src1_sel:BYTE_3
	v_and_b32_e32 v1, 0x80000000, v1
	v_or3_b32 v1, v14, v1, v0
	v_mov_b32_e32 v0, v49
.LBB237_945:                            ;   in Loop: Header=BB237_16 Depth=1
	s_or_b32 exec_lo, exec_lo, s25
.LBB237_946:                            ;   in Loop: Header=BB237_16 Depth=1
	s_or_b32 exec_lo, exec_lo, s24
.LBB237_947:                            ;   in Loop: Header=BB237_16 Depth=1
	s_or_b32 exec_lo, exec_lo, s23
	flat_load_dword v19, v[84:85] offset:1540
	v_mov_b32_e32 v22, 0
	v_mov_b32_e32 v84, 0
	;; [unrolled: 1-line block ×4, first 2 shown]
	s_waitcnt vmcnt(0) lgkmcnt(0)
	v_cmp_ne_u16_sdwa s5, v19, v49 src0_sel:BYTE_0 src1_sel:DWORD
	s_and_saveexec_b32 s23, s5
	s_cbranch_execz .LBB237_955
; %bb.948:                              ;   in Loop: Header=BB237_16 Depth=1
	v_mov_b32_e32 v14, 0x80
	v_bfrev_b32_e32 v84, 1
	v_mov_b32_e32 v85, 0
	v_cmp_ne_u16_sdwa s5, v19, v14 src0_sel:BYTE_0 src1_sel:DWORD
	s_and_saveexec_b32 s24, s5
	s_cbranch_execz .LBB237_954
; %bb.949:                              ;   in Loop: Header=BB237_16 Depth=1
	v_mov_b32_e32 v84, 0x7f800001
	v_and_b32_e32 v27, 0x7f, v19
	v_mov_b32_e32 v85, 0
	s_mov_b32 s25, exec_lo
	v_cmpx_ne_u32_e32 0x7f, v27
	s_cbranch_execz .LBB237_953
; %bb.950:                              ;   in Loop: Header=BB237_16 Depth=1
	v_and_b32_e32 v48, 7, v19
	v_lshrrev_b32_e32 v26, 3, v27
	s_mov_b32 s26, exec_lo
	v_cmpx_gt_u32_e32 8, v27
; %bb.951:                              ;   in Loop: Header=BB237_16 Depth=1
	v_ffbh_u32_e32 v16, v48
	v_min_u32_e32 v16, 32, v16
	v_subrev_nc_u32_e32 v17, 28, v16
	v_sub_nc_u32_e32 v26, 29, v16
	v_lshlrev_b64 v[36:37], v17, v[48:49]
	v_and_b32_e32 v48, 7, v36
; %bb.952:                              ;   in Loop: Header=BB237_16 Depth=1
	s_or_b32 exec_lo, exec_lo, s26
	v_lshlrev_b32_e32 v16, 24, v19
	v_lshlrev_b32_e32 v14, 20, v48
	v_lshl_add_u32 v17, v26, 23, 0x3c000000
	v_and_b32_e32 v16, 0x80000000, v16
	v_or3_b32 v48, v14, v16, v17
	v_mov_b32_e32 v85, v49
	v_mov_b32_e32 v84, v48
.LBB237_953:                            ;   in Loop: Header=BB237_16 Depth=1
	s_or_b32 exec_lo, exec_lo, s25
.LBB237_954:                            ;   in Loop: Header=BB237_16 Depth=1
	s_or_b32 exec_lo, exec_lo, s24
.LBB237_955:                            ;   in Loop: Header=BB237_16 Depth=1
	s_or_b32 exec_lo, exec_lo, s23
	v_cmp_ne_u16_sdwa s5, v19, v49 src0_sel:BYTE_1 src1_sel:DWORD
	s_and_saveexec_b32 s23, s5
	s_cbranch_execz .LBB237_963
; %bb.956:                              ;   in Loop: Header=BB237_16 Depth=1
	v_mov_b32_e32 v34, v49
	v_mov_b32_e32 v14, 0x80
	v_mov_b32_e32 v22, v34
	v_cmp_ne_u16_sdwa s5, v19, v14 src0_sel:BYTE_1 src1_sel:DWORD
	v_mov_b32_e32 v23, v35
	s_and_saveexec_b32 s24, s5
	s_cbranch_execz .LBB237_962
; %bb.957:                              ;   in Loop: Header=BB237_16 Depth=1
	v_mov_b32_e32 v14, 0xffff
	v_mov_b32_e32 v62, v49
	s_mov_b32 s25, exec_lo
	v_and_b32_sdwa v14, v14, v19 dst_sel:DWORD dst_unused:UNUSED_PAD src0_sel:DWORD src1_sel:BYTE_1
	v_mov_b32_e32 v22, v62
	v_mov_b32_e32 v23, v63
	v_and_b32_e32 v26, 0x7f, v14
	v_cmpx_ne_u32_e32 0x7f, v26
	s_cbranch_execz .LBB237_961
; %bb.958:                              ;   in Loop: Header=BB237_16 Depth=1
	v_and_b32_e32 v48, 7, v14
	v_lshrrev_b32_e32 v22, 3, v26
	s_mov_b32 s26, exec_lo
	v_cmpx_gt_u32_e32 8, v26
; %bb.959:                              ;   in Loop: Header=BB237_16 Depth=1
	v_ffbh_u32_e32 v16, v48
	v_min_u32_e32 v16, 32, v16
	v_subrev_nc_u32_e32 v17, 28, v16
	v_sub_nc_u32_e32 v22, 29, v16
	v_lshlrev_b64 v[26:27], v17, v[48:49]
	v_and_b32_e32 v48, 7, v26
; %bb.960:                              ;   in Loop: Header=BB237_16 Depth=1
	s_or_b32 exec_lo, exec_lo, s26
	v_lshlrev_b32_e32 v16, 16, v19
	v_lshlrev_b32_e32 v14, 20, v48
	v_lshl_add_u32 v17, v22, 23, 0x3c000000
	v_mov_b32_e32 v22, v49
	v_and_b32_e32 v16, 0x80000000, v16
	v_or3_b32 v23, v14, v16, v17
.LBB237_961:                            ;   in Loop: Header=BB237_16 Depth=1
	s_or_b32 exec_lo, exec_lo, s25
.LBB237_962:                            ;   in Loop: Header=BB237_16 Depth=1
	s_or_b32 exec_lo, exec_lo, s24
.LBB237_963:                            ;   in Loop: Header=BB237_16 Depth=1
	s_or_b32 exec_lo, exec_lo, s23
	v_mov_b32_e32 v26, 0
	v_mov_b32_e32 v36, 0
	v_and_b32_sdwa v14, v19, v15 dst_sel:DWORD dst_unused:UNUSED_PAD src0_sel:WORD_1 src1_sel:DWORD
	v_mov_b32_e32 v27, 0
	v_mov_b32_e32 v37, 0
	s_mov_b32 s23, exec_lo
	v_cmpx_ne_u16_e32 0, v14
	s_cbranch_execz .LBB237_971
; %bb.964:                              ;   in Loop: Header=BB237_16 Depth=1
	v_bfrev_b32_e32 v36, 1
	v_mov_b32_e32 v37, 0
	s_mov_b32 s24, exec_lo
	v_cmpx_ne_u16_e32 0x80, v14
	s_cbranch_execz .LBB237_970
; %bb.965:                              ;   in Loop: Header=BB237_16 Depth=1
	v_mov_b32_e32 v36, 0x7f800001
	v_bfe_u32 v34, v19, 16, 7
	v_mov_b32_e32 v37, 0
	s_mov_b32 s25, exec_lo
	v_cmpx_ne_u32_e32 0x7f, v34
	s_cbranch_execz .LBB237_969
; %bb.966:                              ;   in Loop: Header=BB237_16 Depth=1
	v_mov_b32_e32 v14, 7
	v_lshrrev_b32_e32 v32, 3, v34
	s_mov_b32 s26, exec_lo
	v_and_b32_sdwa v48, v19, v14 dst_sel:DWORD dst_unused:UNUSED_PAD src0_sel:WORD_1 src1_sel:DWORD
	v_cmpx_gt_u32_e32 8, v34
; %bb.967:                              ;   in Loop: Header=BB237_16 Depth=1
	v_ffbh_u32_e32 v16, v48
	v_min_u32_e32 v16, 32, v16
	v_subrev_nc_u32_e32 v17, 28, v16
	v_sub_nc_u32_e32 v32, 29, v16
	v_lshlrev_b64 v[36:37], v17, v[48:49]
	v_and_b32_e32 v48, 7, v36
; %bb.968:                              ;   in Loop: Header=BB237_16 Depth=1
	s_or_b32 exec_lo, exec_lo, s26
	v_mov_b32_e32 v14, 24
	v_lshl_add_u32 v17, v32, 23, 0x3c000000
	v_lshlrev_b32_sdwa v16, v14, v19 dst_sel:DWORD dst_unused:UNUSED_PAD src0_sel:DWORD src1_sel:WORD_1
	v_lshlrev_b32_e32 v14, 20, v48
	v_and_b32_e32 v16, 0x80000000, v16
	v_or3_b32 v48, v14, v16, v17
	v_mov_b32_e32 v36, v48
	v_mov_b32_e32 v37, v49
.LBB237_969:                            ;   in Loop: Header=BB237_16 Depth=1
	s_or_b32 exec_lo, exec_lo, s25
.LBB237_970:                            ;   in Loop: Header=BB237_16 Depth=1
	s_or_b32 exec_lo, exec_lo, s24
.LBB237_971:                            ;   in Loop: Header=BB237_16 Depth=1
	s_or_b32 exec_lo, exec_lo, s23
	s_clause 0x1
	buffer_load_dword v32, off, s[0:3], s32 offset:304
	buffer_load_dword v33, off, s[0:3], s32 offset:308
	s_mov_b32 s23, exec_lo
	v_cmpx_lt_u32_e32 0xffffff, v19
	s_cbranch_execz .LBB237_14
; %bb.972:                              ;   in Loop: Header=BB237_16 Depth=1
	v_mov_b32_e32 v34, v49
	v_mov_b32_e32 v14, 0x80
	v_mov_b32_e32 v26, v34
	v_cmp_ne_u32_sdwa s5, v19, v14 src0_sel:BYTE_3 src1_sel:DWORD
	v_mov_b32_e32 v27, v35
	s_and_saveexec_b32 s24, s5
	s_cbranch_execz .LBB237_13
; %bb.973:                              ;   in Loop: Header=BB237_16 Depth=1
	v_mov_b32_e32 v62, v49
	v_bfe_u32 v34, v19, 24, 7
	s_mov_b32 s25, exec_lo
	v_mov_b32_e32 v26, v62
	v_mov_b32_e32 v27, v63
	v_cmpx_ne_u32_e32 0x7f, v34
	s_cbranch_execz .LBB237_12
; %bb.974:                              ;   in Loop: Header=BB237_16 Depth=1
	v_mov_b32_e32 v14, 7
	v_lshrrev_b32_e32 v26, 3, v34
	s_mov_b32 s26, exec_lo
	v_and_b32_sdwa v48, v19, v14 dst_sel:DWORD dst_unused:UNUSED_PAD src0_sel:BYTE_3 src1_sel:DWORD
	v_cmpx_gt_u32_e32 8, v34
	s_cbranch_execz .LBB237_11
; %bb.975:                              ;   in Loop: Header=BB237_16 Depth=1
	v_ffbh_u32_e32 v16, v48
	v_min_u32_e32 v26, 32, v16
	v_subrev_nc_u32_e32 v16, 28, v26
	v_sub_nc_u32_e32 v26, 29, v26
	v_lshlrev_b64 v[16:17], v16, v[48:49]
	v_and_b32_e32 v48, 7, v16
	s_branch .LBB237_11
.LBB237_976:
	s_or_b32 exec_lo, exec_lo, s22
	s_clause 0xf
	buffer_load_dword v11, off, s[0:3], s32 offset:1376
	buffer_load_dword v10, off, s[0:3], s32 offset:1372
	;; [unrolled: 1-line block ×16, first 2 shown]
.LBB237_977:
	s_or_b32 exec_lo, exec_lo, s21
	v_mbcnt_lo_u32_b32 v0, -1, 0
	v_max_f32_e32 v4, v13, v13
	s_waitcnt lgkmcnt(0)
	s_lshr_b32 s8, s20, 16
	v_xor_b32_e32 v1, 16, v0
	v_xor_b32_e32 v3, 8, v0
	;; [unrolled: 1-line block ×3, first 2 shown]
	v_cmp_gt_i32_e32 vcc_lo, 32, v1
	v_cndmask_b32_e32 v1, v0, v1, vcc_lo
	v_cmp_gt_i32_e32 vcc_lo, 32, v3
	v_lshlrev_b32_e32 v2, 2, v1
	v_cndmask_b32_e32 v3, v0, v3, vcc_lo
	v_cmp_gt_i32_e32 vcc_lo, 32, v5
	ds_bpermute_b32 v1, v2, v13
	v_lshlrev_b32_e32 v3, 2, v3
	v_cndmask_b32_e32 v5, v0, v5, vcc_lo
	v_lshlrev_b32_e32 v26, 2, v5
	v_xor_b32_e32 v5, 2, v0
	v_cmp_gt_i32_e32 vcc_lo, 32, v5
	v_cndmask_b32_e32 v5, v0, v5, vcc_lo
	s_waitcnt lgkmcnt(0)
	v_max_f32_e32 v1, v1, v1
	v_lshlrev_b32_e32 v25, 2, v5
	v_xor_b32_e32 v5, 1, v0
	v_max_f32_e32 v1, v4, v1
	v_cmp_gt_i32_e32 vcc_lo, 32, v5
	ds_bpermute_b32 v4, v3, v1
	v_cndmask_b32_e32 v5, v0, v5, vcc_lo
	s_waitcnt lgkmcnt(0)
	v_max_f32_e32 v4, v4, v4
	v_max_f32_e32 v1, v1, v4
	ds_bpermute_b32 v4, v26, v1
	s_waitcnt lgkmcnt(0)
	v_max_f32_e32 v4, v4, v4
	v_max_f32_e32 v1, v1, v4
	ds_bpermute_b32 v4, v25, v1
	s_waitcnt lgkmcnt(0)
	v_max_f32_e32 v4, v4, v4
	v_max_f32_e32 v0, v1, v4
	v_lshlrev_b32_e32 v4, 2, v5
	buffer_load_dword v5, off, s[0:3], s32 offset:828 ; 4-byte Folded Reload
	ds_bpermute_b32 v1, v4, v0
	s_waitcnt vmcnt(0)
	v_cmp_eq_u32_e32 vcc_lo, 0, v5
	buffer_load_dword v5, off, s[0:3], s32 offset:1356 ; 4-byte Folded Reload
	s_waitcnt vmcnt(0)
	v_lshlrev_b32_e32 v5, 2, v5
	s_and_saveexec_b32 s5, vcc_lo
	s_cbranch_execz .LBB237_979
; %bb.978:
	s_waitcnt lgkmcnt(0)
	v_max_f32_e32 v1, v1, v1
	v_max_f32_e32 v0, v0, v0
	;; [unrolled: 1-line block ×3, first 2 shown]
	ds_write_b32 v5, v0 offset:480
.LBB237_979:
	s_or_b32 exec_lo, exec_lo, s5
	buffer_load_dword v0, off, s[0:3], s32 offset:828 ; 4-byte Folded Reload
	s_waitcnt vmcnt(0) lgkmcnt(0)
	s_waitcnt_vscnt null, 0x0
	s_barrier
	buffer_gl0_inv
	v_cmp_gt_u32_e64 s5, 4, v0
	v_mov_b32_e32 v0, 0xff7fffff
	s_and_saveexec_b32 s6, s5
; %bb.980:
	ds_read_b32 v0, v12 offset:480
; %bb.981:
	s_or_b32 exec_lo, exec_lo, s6
	buffer_load_dword v6, off, s[0:3], s32 offset:232 ; 4-byte Folded Reload
	s_waitcnt lgkmcnt(0)
	ds_bpermute_b32 v1, v25, v0
	v_max_f32_e32 v0, v0, v0
	s_waitcnt lgkmcnt(0)
	v_max_f32_e32 v1, v1, v1
	v_max_f32_e32 v0, v0, v1
	ds_bpermute_b32 v1, v4, v0
	s_waitcnt lgkmcnt(0)
	v_max_f32_e32 v1, v1, v1
	v_max_f32_e32 v0, v0, v1
	s_waitcnt vmcnt(0)
	v_subrev_nc_u32_e32 v7, s13, v6
	v_mov_b32_e32 v6, 0
	v_lshl_add_u32 v1, v7, 5, s7
	buffer_load_dword v7, off, s[0:3], s32 offset:832 ; 4-byte Folded Reload
	ds_bpermute_b32 v0, v6, v0
	v_min_i32_e32 v1, v1, v54
	v_subrev_nc_u32_e32 v1, s7, v1
	s_waitcnt vmcnt(0)
	v_cmp_lt_i32_e64 s6, v7, v1
	s_and_saveexec_b32 s9, s6
	s_cbranch_execz .LBB237_985
; %bb.982:
	buffer_load_dword v8, off, s[0:3], s32 offset:832 ; 4-byte Folded Reload
	s_getpc_b64 s[20:21]
	s_add_u32 s20, s20, llvm.amdgcn.dynlds.offset.table@rel32@lo+4
	s_addc_u32 s21, s21, llvm.amdgcn.dynlds.offset.table@rel32@hi+12
	s_ashr_i32 s17, s16, 31
	v_mov_b32_e32 v6, 0
	s_lshl_b64 s[22:23], s[16:17], 2
	s_mov_b32 s13, 0
	s_add_u32 s20, s20, s22
	s_addc_u32 s21, s21, s23
	s_load_dword s7, s[20:21], 0x0
	s_waitcnt vmcnt(0) lgkmcnt(0)
	v_lshl_add_u32 v7, v8, 2, s7
	.p2align	6
.LBB237_983:                            ; =>This Inner Loop Header: Depth=1
	ds_read_b32 v9, v7
	v_add_nc_u32_e32 v8, 0x80, v8
	v_cmp_ge_i32_e64 s7, v8, v1
	s_or_b32 s13, s7, s13
	s_waitcnt lgkmcnt(0)
	v_sub_f32_e32 v9, v9, v0
	v_mul_f32_e32 v9, 0x3fb8aa3b, v9
	v_exp_f32_e32 v9, v9
	ds_write_b32 v7, v9
	v_add_f32_e32 v6, v6, v9
	v_add_nc_u32_e32 v7, 0x200, v7
	s_andn2_b32 exec_lo, exec_lo, s13
	s_cbranch_execnz .LBB237_983
; %bb.984:
	s_or_b32 exec_lo, exec_lo, s13
.LBB237_985:
	s_or_b32 exec_lo, exec_lo, s9
	ds_bpermute_b32 v2, v2, v6
	s_waitcnt lgkmcnt(0)
	v_add_f32_e32 v2, v6, v2
	ds_bpermute_b32 v3, v3, v2
	s_waitcnt lgkmcnt(0)
	v_add_f32_e32 v2, v2, v3
	;; [unrolled: 3-line block ×5, first 2 shown]
	s_and_saveexec_b32 s7, vcc_lo
; %bb.986:
	ds_write_b32 v5, v2 offset:496
; %bb.987:
	s_or_b32 exec_lo, exec_lo, s7
	s_waitcnt lgkmcnt(0)
	s_barrier
	buffer_gl0_inv
	s_and_saveexec_b32 s7, s5
; %bb.988:
	ds_read_b32 v2, v12 offset:496
; %bb.989:
	s_or_b32 exec_lo, exec_lo, s7
	s_waitcnt lgkmcnt(0)
	ds_bpermute_b32 v3, v25, v2
	s_waitcnt lgkmcnt(0)
	v_add_f32_e32 v2, v2, v3
	ds_bpermute_b32 v3, v4, v2
	s_waitcnt lgkmcnt(0)
	v_add_f32_e32 v2, v2, v3
	v_mov_b32_e32 v3, 0
	ds_bpermute_b32 v2, v3, v2
	s_and_saveexec_b32 s5, s6
	s_cbranch_execz .LBB237_992
; %bb.990:
	s_waitcnt lgkmcnt(0)
	v_add_f32_e32 v5, 0x358637bd, v2
	s_getpc_b64 s[6:7]
	s_add_u32 s6, s6, llvm.amdgcn.dynlds.offset.table@rel32@lo+4
	s_addc_u32 s7, s7, llvm.amdgcn.dynlds.offset.table@rel32@hi+12
	s_ashr_i32 s17, s16, 31
	s_lshl_b64 s[20:21], s[16:17], 2
	v_div_scale_f32 v3, null, v5, v5, 1.0
	v_div_scale_f32 v8, vcc_lo, 1.0, v5, 1.0
	s_add_u32 s6, s6, s20
	v_rcp_f32_e32 v6, v3
	s_addc_u32 s7, s7, s21
	s_load_dword s6, s[6:7], 0x0
	v_fma_f32 v7, -v3, v6, 1.0
	v_fmac_f32_e32 v6, v7, v6
	v_mul_f32_e32 v7, v8, v6
	v_fma_f32 v9, -v3, v7, v8
	v_fmac_f32_e32 v7, v9, v6
	v_fma_f32 v3, -v3, v7, v8
	v_div_fmas_f32 v6, v3, v6, v7
	buffer_load_dword v7, off, s[0:3], s32 offset:832 ; 4-byte Folded Reload
	v_div_fixup_f32 v5, v6, v5, 1.0
	s_waitcnt vmcnt(0) lgkmcnt(0)
	v_lshl_add_u32 v3, v7, 2, s6
	v_mov_b32_e32 v6, v7
	s_mov_b32 s6, 0
.LBB237_991:                            ; =>This Inner Loop Header: Depth=1
	ds_read_b32 v7, v3
	v_add_nc_u32_e32 v6, 0x80, v6
	v_cmp_ge_i32_e32 vcc_lo, v6, v1
	s_or_b32 s6, vcc_lo, s6
	s_waitcnt lgkmcnt(0)
	v_mul_f32_e32 v7, v5, v7
	ds_write_b32 v3, v7
	v_add_nc_u32_e32 v3, 0x200, v3
	s_andn2_b32 exec_lo, exec_lo, s6
	s_cbranch_execnz .LBB237_991
.LBB237_992:
	s_or_b32 exec_lo, exec_lo, s5
	s_waitcnt lgkmcnt(0)
	buffer_load_dword v1, off, s[0:3], s32 offset:832 ; 4-byte Folded Reload
	s_and_b32 s5, 0xffff, s8
	s_mov_b32 s8, exec_lo
	s_cmp_lg_u32 s5, 0
	s_barrier
	s_cselect_b32 s5, -1, 0
	s_waitcnt vmcnt(0)
	buffer_gl0_inv
	s_cmp_lg_u32 s5, 0
	s_addc_u32 s5, s11, 0
	s_mul_i32 s6, s5, s18
	s_mul_i32 s6, s6, s15
	v_cmpx_eq_u32_e32 0, v1
	s_cbranch_execz .LBB237_994
; %bb.993:
	s_ashr_i32 s7, s6, 31
	s_mul_i32 s12, s5, s12
	s_lshl_b64 s[20:21], s[6:7], 2
	s_ashr_i32 s13, s12, 31
	v_add_co_u32 v1, vcc_lo, v33, s20
	v_add_co_ci_u32_e64 v3, null, s21, v32, vcc_lo
	s_lshl_b64 s[12:13], s[12:13], 2
	s_ashr_i32 s15, s14, 31
	v_add_co_u32 v1, vcc_lo, v1, s12
	v_add_co_ci_u32_e64 v3, null, s13, v3, vcc_lo
	v_add_co_u32 v5, vcc_lo, v27, s20
	v_add_co_ci_u32_e64 v6, null, s21, v24, vcc_lo
	s_lshl_b64 s[20:21], s[14:15], 2
	v_add_co_u32 v7, vcc_lo, v5, s12
	v_add_co_ci_u32_e64 v8, null, s13, v6, vcc_lo
	v_add_co_u32 v5, vcc_lo, v1, s20
	v_add_co_ci_u32_e64 v6, null, s21, v3, vcc_lo
	;; [unrolled: 2-line block ×3, first 2 shown]
	flat_store_dword v[5:6], v0
	flat_store_dword v[7:8], v2
.LBB237_994:
	s_or_b32 exec_lo, exec_lo, s8
	buffer_load_dword v0, off, s[0:3], s32 offset:832 ; 4-byte Folded Reload
	s_ashr_i32 s17, s16, 31
	s_getpc_b64 s[8:9]
	s_add_u32 s8, s8, llvm.amdgcn.dynlds.offset.table@rel32@lo+4
	s_addc_u32 s9, s9, llvm.amdgcn.dynlds.offset.table@rel32@hi+12
	s_lshl_b64 s[12:13], s[16:17], 2
	v_mov_b32_e32 v28, 0
	v_mov_b32_e32 v29, 0
	;; [unrolled: 1-line block ×30, first 2 shown]
	s_add_u32 s8, s8, s12
	s_addc_u32 s9, s9, s13
	s_waitcnt vmcnt(0)
	v_and_b32_e32 v67, 7, v0
	s_and_saveexec_b32 s7, s4
	s_cbranch_execz .LBB237_2020
; %bb.995:
	buffer_load_dword v0, off, s[0:3], s32 offset:832 ; 4-byte Folded Reload
	v_max_i32_e32 v84, v30, v70
	buffer_store_dword v26, off, s[0:3], s32 offset:696 ; 4-byte Folded Spill
	s_load_dword s4, s[8:9], 0x0
	v_mov_b32_e32 v12, 0
	v_add_co_u32 v3, vcc_lo, v10, v68
	v_add_co_ci_u32_e64 v5, null, v11, v71, vcc_lo
	v_sub_nc_u32_e32 v11, 0, v84
	v_lshlrev_b32_e32 v9, 4, v67
	v_mov_b32_e32 v6, 0
	v_mov_b32_e32 v86, 0x80
	v_bfrev_b32_e32 v8, 1
	v_mov_b32_e32 v10, 0x7f800001
	v_mov_b32_e32 v96, 0xff
	;; [unrolled: 1-line block ×7, first 2 shown]
	s_mov_b32 s11, 0
	s_waitcnt vmcnt(0)
	v_lshlrev_b32_e32 v2, 2, v0
	v_cvt_f32_u32_e32 v0, v84
	v_rcp_iflag_f32_e32 v7, v0
	v_add_nc_u32_e32 v0, -1, v69
	buffer_store_dword v0, off, s[0:3], s32 offset:664 ; 4-byte Folded Spill
	s_clause 0x1
	buffer_load_dword v0, off, s[0:3], s32 offset:200
	buffer_load_dword v1, off, s[0:3], s32 offset:204
	buffer_store_dword v12, off, s[0:3], s32 offset:424 ; 4-byte Folded Spill
	v_mov_b32_e32 v12, 0
	buffer_store_dword v67, off, s[0:3], s32 offset:688 ; 4-byte Folded Spill
	v_mul_f32_e32 v7, 0x4f7ffffe, v7
	buffer_store_dword v12, off, s[0:3], s32 offset:432 ; 4-byte Folded Spill
	v_mov_b32_e32 v12, 0
	v_cvt_u32_f32_e32 v7, v7
	buffer_store_dword v12, off, s[0:3], s32 offset:440 ; 4-byte Folded Spill
	v_mov_b32_e32 v12, 0
	v_mul_lo_u32 v11, v11, v7
	buffer_store_dword v12, off, s[0:3], s32 offset:448 ; 4-byte Folded Spill
	v_and_b32_e32 v12, 28, v2
	v_and_b32_e32 v2, 0x7c, v2
	v_mul_hi_u32 v11, v7, v11
	buffer_store_dword v12, off, s[0:3], s32 offset:672 ; 4-byte Folded Spill
	buffer_load_dword v12, off, s[0:3], s32 offset:1356 ; 4-byte Folded Reload
	s_waitcnt vmcnt(1)
	v_lshlrev_b64 v[0:1], 2, v[0:1]
	v_add_co_u32 v0, vcc_lo, v34, v0
	v_add_co_ci_u32_e64 v1, null, v35, v1, vcc_lo
	v_add_co_u32 v2, vcc_lo, v3, v2
	v_add_co_ci_u32_e64 v3, null, 0, v5, vcc_lo
	buffer_store_dword v2, off, s[0:3], s32 offset:680 ; 4-byte Folded Spill
	buffer_store_dword v3, off, s[0:3], s32 offset:684 ; 4-byte Folded Spill
	buffer_load_dword v73, off, s[0:3], s32 offset:1368 ; 4-byte Folded Reload
	v_add_co_u32 v74, vcc_lo, v14, v0
	v_add_nc_u32_e32 v0, v7, v11
	v_add_co_ci_u32_e64 v75, null, v15, v1, vcc_lo
	buffer_store_dword v0, off, s[0:3], s32 offset:624 ; 4-byte Folded Spill
	v_mov_b32_e32 v0, 0
	s_waitcnt vmcnt(1)
	v_lshl_or_b32 v9, v12, 7, v9
	buffer_store_dword v0, off, s[0:3], s32 offset:456 ; 4-byte Folded Spill
	v_mov_b32_e32 v0, 0
	s_waitcnt lgkmcnt(0)
	v_add_nc_u32_e32 v100, s4, v9
	buffer_store_dword v0, off, s[0:3], s32 offset:464 ; 4-byte Folded Spill
	v_mov_b32_e32 v0, 0
	buffer_store_dword v0, off, s[0:3], s32 offset:472 ; 4-byte Folded Spill
	v_mov_b32_e32 v0, 0
	;; [unrolled: 2-line block ×19, first 2 shown]
	buffer_store_dword v0, off, s[0:3], s32 offset:616 ; 4-byte Folded Spill
	s_branch .LBB237_998
.LBB237_996:                            ;   in Loop: Header=BB237_998 Depth=1
	s_or_b32 exec_lo, exec_lo, s4
	buffer_load_dword v21, off, s[0:3], s32 offset:424 ; 4-byte Folded Reload
	v_mul_f32_e32 v14, v1, v62
	v_mul_f32_e32 v17, v1, v97
	;; [unrolled: 1-line block ×5, first 2 shown]
	v_fmac_f32_e32 v14, v0, v98
	v_fmac_f32_e32 v17, v0, v87
	;; [unrolled: 1-line block ×15, first 2 shown]
	s_waitcnt vmcnt(0)
	v_add_f32_e32 v21, v21, v14
	buffer_load_dword v14, off, s[0:3], s32 offset:432 ; 4-byte Folded Reload
	buffer_store_dword v21, off, s[0:3], s32 offset:424 ; 4-byte Folded Spill
	buffer_load_dword v21, off, s[0:3], s32 offset:464 ; 4-byte Folded Reload
	s_waitcnt vmcnt(1)
	v_add_f32_e32 v14, v14, v17
	v_mul_f32_e32 v17, v1, v112
	buffer_store_dword v14, off, s[0:3], s32 offset:432 ; 4-byte Folded Spill
	buffer_load_dword v14, off, s[0:3], s32 offset:440 ; 4-byte Folded Reload
	v_fmac_f32_e32 v17, v0, v102
	v_fmac_f32_e32 v17, v2, v83
	v_fmac_f32_e32 v17, v3, v82
	s_waitcnt vmcnt(0)
	v_add_f32_e32 v14, v14, v18
	v_mul_f32_e32 v18, v1, v81
	buffer_store_dword v14, off, s[0:3], s32 offset:440 ; 4-byte Folded Spill
	buffer_load_dword v14, off, s[0:3], s32 offset:448 ; 4-byte Folded Reload
	v_fmac_f32_e32 v18, v0, v80
	v_fmac_f32_e32 v18, v2, v71
	v_fmac_f32_e32 v18, v3, v70
	;; [unrolled: 8-line block ×3, first 2 shown]
	s_waitcnt vmcnt(0)
	v_add_f32_e32 v14, v14, v20
	v_mul_f32_e32 v20, v1, v65
	buffer_store_dword v14, off, s[0:3], s32 offset:456 ; 4-byte Folded Spill
	v_mul_f32_e32 v14, v1, v119
	v_fmac_f32_e32 v20, v0, v64
	v_fmac_f32_e32 v14, v0, v55
	v_fmac_f32_e32 v20, v2, v53
	v_fmac_f32_e32 v14, v2, v114
	v_fmac_f32_e32 v20, v3, v52
	v_fmac_f32_e32 v14, v3, v113
	v_add_f32_e32 v21, v21, v14
	buffer_load_dword v14, off, s[0:3], s32 offset:472 ; 4-byte Folded Reload
	buffer_store_dword v21, off, s[0:3], s32 offset:464 ; 4-byte Folded Spill
	buffer_load_dword v21, off, s[0:3], s32 offset:408 ; 4-byte Folded Reload
	s_waitcnt vmcnt(1)
	v_add_f32_e32 v14, v14, v17
	v_mul_f32_e32 v17, v1, v39
	buffer_store_dword v14, off, s[0:3], s32 offset:472 ; 4-byte Folded Spill
	buffer_load_dword v14, off, s[0:3], s32 offset:480 ; 4-byte Folded Reload
	v_fmac_f32_e32 v17, v0, v38
	v_fmac_f32_e32 v17, v2, v37
	v_fmac_f32_e32 v17, v3, v36
	s_waitcnt vmcnt(0)
	v_add_f32_e32 v14, v14, v18
	v_mul_f32_e32 v18, v1, v35
	buffer_store_dword v14, off, s[0:3], s32 offset:480 ; 4-byte Folded Spill
	buffer_load_dword v14, off, s[0:3], s32 offset:488 ; 4-byte Folded Reload
	v_fmac_f32_e32 v18, v0, v34
	v_fmac_f32_e32 v18, v2, v33
	v_fmac_f32_e32 v18, v3, v32
	;; [unrolled: 8-line block ×3, first 2 shown]
	buffer_load_dword v28, off, s[0:3], s32 offset:656 ; 4-byte Folded Reload
	s_waitcnt vmcnt(1)
	v_add_f32_e32 v14, v14, v20
	v_mul_f32_e32 v20, v1, v101
	buffer_store_dword v14, off, s[0:3], s32 offset:496 ; 4-byte Folded Spill
	v_fmac_f32_e32 v20, v0, v12
	v_mul_f32_e32 v14, v1, v51
	v_mul_f32_e32 v12, v1, v125
	v_fmac_f32_e32 v20, v2, v11
	buffer_load_dword v11, off, s[0:3], s32 offset:504 ; 4-byte Folded Reload
	v_fmac_f32_e32 v14, v0, v50
	v_fmac_f32_e32 v12, v0, v124
	;; [unrolled: 1-line block ×7, first 2 shown]
	s_waitcnt vmcnt(0)
	v_add_f32_e32 v11, v11, v14
	v_mul_f32_e32 v14, v1, v121
	buffer_store_dword v11, off, s[0:3], s32 offset:504 ; 4-byte Folded Spill
	buffer_load_dword v11, off, s[0:3], s32 offset:512 ; 4-byte Folded Reload
	v_fmac_f32_e32 v14, v0, v120
	v_fmac_f32_e32 v14, v2, v111
	v_fmac_f32_e32 v14, v3, v110
	s_waitcnt vmcnt(0)
	v_add_f32_e32 v11, v11, v17
	v_mul_f32_e32 v17, v1, v109
	buffer_store_dword v11, off, s[0:3], s32 offset:512 ; 4-byte Folded Spill
	buffer_load_dword v11, off, s[0:3], s32 offset:520 ; 4-byte Folded Reload
	v_fmac_f32_e32 v17, v0, v108
	v_fmac_f32_e32 v17, v2, v107
	v_fmac_f32_e32 v17, v3, v106
	;; [unrolled: 8-line block ×3, first 2 shown]
	s_waitcnt vmcnt(0)
	v_add_f32_e32 v11, v11, v19
	buffer_load_dword v19, off, s[0:3], s32 offset:632 ; 4-byte Folded Reload
	buffer_store_dword v11, off, s[0:3], s32 offset:528 ; 4-byte Folded Spill
	v_mul_f32_e32 v11, v1, v85
	v_fmac_f32_e32 v11, v0, v27
	v_fmac_f32_e32 v11, v2, v127
	;; [unrolled: 1-line block ×3, first 2 shown]
	s_waitcnt vmcnt(0)
	v_add_f32_e32 v19, v19, v20
	buffer_load_dword v20, off, s[0:3], s32 offset:640 ; 4-byte Folded Reload
	s_waitcnt vmcnt(0)
	v_add_f32_e32 v20, v20, v11
	buffer_load_dword v11, off, s[0:3], s32 offset:536 ; 4-byte Folded Reload
	s_waitcnt vmcnt(0)
	v_add_f32_e32 v11, v11, v12
	v_mul_f32_e32 v12, v1, v89
	buffer_store_dword v11, off, s[0:3], s32 offset:536 ; 4-byte Folded Spill
	buffer_load_dword v11, off, s[0:3], s32 offset:544 ; 4-byte Folded Reload
	v_fmac_f32_e32 v12, v0, v88
	v_fmac_f32_e32 v12, v2, v79
	;; [unrolled: 1-line block ×3, first 2 shown]
	s_waitcnt vmcnt(0)
	v_add_f32_e32 v11, v11, v14
	v_mul_f32_e32 v14, v1, v77
	buffer_store_dword v11, off, s[0:3], s32 offset:544 ; 4-byte Folded Spill
	buffer_load_dword v11, off, s[0:3], s32 offset:552 ; 4-byte Folded Reload
	v_fmac_f32_e32 v14, v0, v76
	v_fmac_f32_e32 v14, v2, v16
	buffer_load_dword v16, off, s[0:3], s32 offset:400 ; 4-byte Folded Reload
	v_fmac_f32_e32 v14, v3, v15
	buffer_load_dword v15, off, s[0:3], s32 offset:392 ; 4-byte Folded Reload
	s_waitcnt vmcnt(2)
	v_add_f32_e32 v11, v11, v17
	buffer_load_dword v17, off, s[0:3], s32 offset:416 ; 4-byte Folded Reload
	buffer_store_dword v11, off, s[0:3], s32 offset:552 ; 4-byte Folded Spill
	buffer_load_dword v11, off, s[0:3], s32 offset:560 ; 4-byte Folded Reload
	s_waitcnt vmcnt(1)
	v_mul_f32_e32 v17, v1, v17
	s_waitcnt vmcnt(0)
	v_add_f32_e32 v11, v11, v18
	buffer_load_dword v18, off, s[0:3], s32 offset:384 ; 4-byte Folded Reload
	v_fmac_f32_e32 v17, v0, v21
	buffer_load_dword v21, off, s[0:3], s32 offset:376 ; 4-byte Folded Reload
	buffer_store_dword v11, off, s[0:3], s32 offset:560 ; 4-byte Folded Spill
	v_mul_f32_e32 v11, v1, v93
	v_fmac_f32_e32 v17, v2, v16
	buffer_load_dword v16, off, s[0:3], s32 offset:368 ; 4-byte Folded Reload
	v_fmac_f32_e32 v11, v0, v92
	v_fmac_f32_e32 v17, v3, v15
	buffer_load_dword v15, off, s[0:3], s32 offset:360 ; 4-byte Folded Reload
	v_fmac_f32_e32 v11, v2, v91
	v_fmac_f32_e32 v11, v3, v90
	s_waitcnt vmcnt(3)
	v_mul_f32_e32 v18, v1, v18
	s_waitcnt vmcnt(2)
	v_fmac_f32_e32 v18, v0, v21
	buffer_load_dword v21, off, s[0:3], s32 offset:568 ; 4-byte Folded Reload
	s_waitcnt vmcnt(2)
	v_fmac_f32_e32 v18, v2, v16
	s_waitcnt vmcnt(1)
	v_fmac_f32_e32 v18, v3, v15
	buffer_load_dword v15, off, s[0:3], s32 offset:256 ; 4-byte Folded Reload
	s_waitcnt vmcnt(1)
	v_add_f32_e32 v21, v21, v11
	buffer_load_dword v11, off, s[0:3], s32 offset:576 ; 4-byte Folded Reload
	buffer_store_dword v21, off, s[0:3], s32 offset:568 ; 4-byte Folded Spill
	s_waitcnt vmcnt(0)
	v_add_f32_e32 v11, v11, v12
	buffer_load_dword v12, off, s[0:3], s32 offset:320 ; 4-byte Folded Reload
	buffer_store_dword v11, off, s[0:3], s32 offset:576 ; 4-byte Folded Spill
	buffer_load_dword v11, off, s[0:3], s32 offset:584 ; 4-byte Folded Reload
	s_waitcnt vmcnt(0)
	v_add_f32_e32 v11, v11, v14
	buffer_load_dword v14, off, s[0:3], s32 offset:288 ; 4-byte Folded Reload
	v_mul_f32_e32 v12, v1, v12
	buffer_store_dword v11, off, s[0:3], s32 offset:584 ; 4-byte Folded Spill
	buffer_load_dword v11, off, s[0:3], s32 offset:592 ; 4-byte Folded Reload
	s_waitcnt vmcnt(1)
	v_mul_f32_e32 v14, v1, v14
	s_waitcnt vmcnt(0)
	v_add_f32_e32 v11, v11, v17
	v_mul_f32_e32 v17, v1, v15
	buffer_store_dword v11, off, s[0:3], s32 offset:592 ; 4-byte Folded Spill
	buffer_load_dword v11, off, s[0:3], s32 offset:600 ; 4-byte Folded Reload
	s_waitcnt vmcnt(0)
	v_add_f32_e32 v11, v11, v18
	buffer_store_dword v11, off, s[0:3], s32 offset:600 ; 4-byte Folded Spill
	buffer_load_dword v11, off, s[0:3], s32 offset:352 ; 4-byte Folded Reload
	s_waitcnt vmcnt(0)
	v_mul_f32_e32 v11, v1, v11
	v_mul_f32_e32 v1, v1, v13
	buffer_load_dword v13, off, s[0:3], s32 offset:344 ; 4-byte Folded Reload
	v_fmac_f32_e32 v1, v0, v9
	v_fmac_f32_e32 v1, v2, v7
	;; [unrolled: 1-line block ×3, first 2 shown]
	v_add_f32_e32 v72, v72, v1
	s_waitcnt vmcnt(0)
	v_fmac_f32_e32 v11, v0, v13
	buffer_load_dword v13, off, s[0:3], s32 offset:312 ; 4-byte Folded Reload
	s_waitcnt vmcnt(0)
	v_fmac_f32_e32 v12, v0, v13
	buffer_load_dword v13, off, s[0:3], s32 offset:280 ; 4-byte Folded Reload
	;; [unrolled: 3-line block ×3, first 2 shown]
	s_waitcnt vmcnt(0)
	v_fmac_f32_e32 v17, v0, v13
	s_clause 0x1
	buffer_load_dword v0, off, s[0:3], s32 offset:336
	buffer_load_dword v13, off, s[0:3], s32 offset:648
	s_waitcnt vmcnt(1)
	v_fmac_f32_e32 v11, v2, v0
	buffer_load_dword v0, off, s[0:3], s32 offset:304 ; 4-byte Folded Reload
	s_waitcnt vmcnt(0)
	v_fmac_f32_e32 v12, v2, v0
	buffer_load_dword v0, off, s[0:3], s32 offset:272 ; 4-byte Folded Reload
	;; [unrolled: 3-line block ×5, first 2 shown]
	v_add_f32_e32 v13, v13, v11
	s_waitcnt vmcnt(0)
	v_fmac_f32_e32 v12, v3, v0
	buffer_load_dword v0, off, s[0:3], s32 offset:264 ; 4-byte Folded Reload
	s_waitcnt vmcnt(0)
	v_fmac_f32_e32 v14, v3, v0
	buffer_load_dword v0, off, s[0:3], s32 offset:208 ; 4-byte Folded Reload
	;; [unrolled: 3-line block ×3, first 2 shown]
	v_add_f32_e32 v28, v28, v17
	s_waitcnt vmcnt(0)
	v_add_f32_e32 v0, v0, v12
	buffer_store_dword v0, off, s[0:3], s32 offset:608 ; 4-byte Folded Spill
	buffer_load_dword v0, off, s[0:3], s32 offset:616 ; 4-byte Folded Reload
	s_waitcnt vmcnt(0)
	v_add_f32_e32 v0, v0, v14
	buffer_store_dword v0, off, s[0:3], s32 offset:616 ; 4-byte Folded Spill
.LBB237_997:                            ;   in Loop: Header=BB237_998 Depth=1
	s_or_b32 exec_lo, exec_lo, s12
	s_clause 0x1
	buffer_load_dword v0, off, s[0:3], s32 offset:200
	buffer_load_dword v1, off, s[0:3], s32 offset:204
	v_add_co_u32 v74, s4, v74, 16
	v_add_co_ci_u32_e64 v75, null, 0, v75, s4
	v_add_nc_u32_e32 v73, 0x80, v73
	v_add_nc_u32_e32 v100, 0x200, v100
	s_waitcnt vmcnt(0)
	v_mov_b32_e32 v1, v0
	v_add_nc_u32_e32 v1, 4, v1
	v_mov_b32_e32 v0, v1
	buffer_store_dword v0, off, s[0:3], s32 offset:200 ; 4-byte Folded Spill
	buffer_store_dword v1, off, s[0:3], s32 offset:204 ; 4-byte Folded Spill
	buffer_load_dword v0, off, s[0:3], s32 offset:232 ; 4-byte Folded Reload
	s_waitcnt vmcnt(0)
	v_cmp_ge_i32_e32 vcc_lo, v1, v0
	s_or_b32 s11, vcc_lo, s11
	s_andn2_b32 exec_lo, exec_lo, s11
	s_cbranch_execz .LBB237_2019
.LBB237_998:                            ; =>This Inner Loop Header: Depth=1
	s_clause 0x1
	buffer_load_dword v1, off, s[0:3], s32 offset:236
	buffer_load_dword v5, off, s[0:3], s32 offset:216
	s_waitcnt vmcnt(2)
	v_mov_b32_e32 v7, v73
	v_sub_nc_u32_e32 v0, 0, v7
	v_max_i32_e32 v0, v7, v0
	s_waitcnt vmcnt(1)
	v_mul_hi_u32 v1, v0, v1
	s_waitcnt vmcnt(0)
	v_mul_lo_u32 v2, v1, v5
	v_sub_nc_u32_e32 v0, v0, v2
	v_add_nc_u32_e32 v2, 1, v1
	v_cmp_ge_u32_e32 vcc_lo, v0, v5
	v_sub_nc_u32_e32 v3, v0, v5
	v_cndmask_b32_e32 v1, v1, v2, vcc_lo
	v_ashrrev_i32_e32 v2, 31, v7
	buffer_load_dword v7, off, s[0:3], s32 offset:228 ; 4-byte Folded Reload
	v_cndmask_b32_e32 v0, v0, v3, vcc_lo
	v_add_nc_u32_e32 v3, 1, v1
	v_cmp_ge_u32_e32 vcc_lo, v0, v5
	v_cndmask_b32_e32 v0, v1, v3, vcc_lo
	s_waitcnt vmcnt(0)
	v_xor_b32_e32 v2, v2, v7
	v_xor_b32_e32 v0, v0, v2
	v_sub_nc_u32_e32 v0, v0, v2
	s_clause 0x2
	buffer_load_dword v1, off, s[0:3], s32 offset:220
	buffer_load_dword v2, off, s[0:3], s32 offset:224
	;; [unrolled: 1-line block ×3, first 2 shown]
	s_waitcnt vmcnt(2)
	v_add_nc_u32_e32 v1, v0, v1
	s_waitcnt vmcnt(1)
	v_sub_nc_u32_e32 v2, 0, v1
	v_max_i32_e32 v2, v1, v2
	v_ashrrev_i32_e32 v1, 31, v1
	s_waitcnt vmcnt(0)
	v_mul_hi_u32 v3, v2, v3
	v_mul_lo_u32 v3, v3, v84
	v_sub_nc_u32_e32 v2, v2, v3
	v_sub_nc_u32_e32 v3, v2, v84
	v_cmp_ge_u32_e32 vcc_lo, v2, v84
	v_cndmask_b32_e32 v2, v2, v3, vcc_lo
	v_sub_nc_u32_e32 v3, v2, v84
	v_cmp_ge_u32_e32 vcc_lo, v2, v84
	v_cndmask_b32_e32 v2, v2, v3, vcc_lo
	v_xor_b32_e32 v2, v2, v1
	v_sub_nc_u32_e32 v1, v2, v1
	v_cmp_eq_u32_e32 vcc_lo, 0, v1
	buffer_load_dword v1, off, s[0:3], s32 offset:240 ; 4-byte Folded Reload
	s_waitcnt vmcnt(0)
	v_cmp_gt_i32_e64 s4, v0, v1
	s_or_b32 s4, vcc_lo, s4
	s_and_saveexec_b32 s12, s4
	s_cbranch_execz .LBB237_997
; %bb.999:                              ;   in Loop: Header=BB237_998 Depth=1
	buffer_store_dword v28, off, s[0:3], s32 offset:656 ; 4-byte Folded Spill
	buffer_store_dword v13, off, s[0:3], s32 offset:648 ; 4-byte Folded Spill
	;; [unrolled: 1-line block ×4, first 2 shown]
	flat_load_dword v0, v[74:75]
	s_clause 0x2
	buffer_load_dword v1, off, s[0:3], s32 offset:760
	buffer_load_dword v2, off, s[0:3], s32 offset:680
	;; [unrolled: 1-line block ×3, first 2 shown]
	v_mov_b32_e32 v19, 0
	v_mov_b32_e32 v17, 0
	;; [unrolled: 1-line block ×4, first 2 shown]
	s_waitcnt vmcnt(0) lgkmcnt(0)
	v_mad_i64_i32 v[13:14], null, v0, v1, v[2:3]
	flat_load_dword v11, v[13:14]
	s_clause 0x1
	buffer_load_dword v0, off, s[0:3], s32 offset:836
	buffer_load_dword v1, off, s[0:3], s32 offset:840
	s_waitcnt vmcnt(2) lgkmcnt(0)
	v_cmp_ne_u16_sdwa s13, v11, v6 src0_sel:BYTE_0 src1_sel:DWORD
	s_waitcnt vmcnt(0)
	flat_load_dword v103, v[0:1]
	ds_read_b128 v[0:3], v100
	s_and_saveexec_b32 s4, s13
	s_cbranch_execz .LBB237_1007
; %bb.1000:                             ;   in Loop: Header=BB237_998 Depth=1
	v_bfrev_b32_e32 v17, 1
	v_mov_b32_e32 v18, 0
	v_cmp_ne_u16_sdwa s15, v11, v86 src0_sel:BYTE_0 src1_sel:DWORD
	s_and_saveexec_b32 s13, s15
	s_cbranch_execz .LBB237_1006
; %bb.1001:                             ;   in Loop: Header=BB237_998 Depth=1
	v_mov_b32_e32 v17, 0x7f800001
	v_and_b32_e32 v9, 0x7f, v11
	v_mov_b32_e32 v18, 0
	s_mov_b32 s15, exec_lo
	v_cmpx_ne_u32_e32 0x7f, v9
	s_cbranch_execz .LBB237_1005
; %bb.1002:                             ;   in Loop: Header=BB237_998 Depth=1
	v_and_b32_e32 v5, 7, v11
	v_lshrrev_b32_e32 v7, 3, v9
	s_mov_b32 s16, exec_lo
	v_cmpx_gt_u32_e32 8, v9
; %bb.1003:                             ;   in Loop: Header=BB237_998 Depth=1
	v_ffbh_u32_e32 v7, v5
	v_min_u32_e32 v7, 32, v7
	v_subrev_nc_u32_e32 v9, 28, v7
	v_sub_nc_u32_e32 v7, 29, v7
	v_lshlrev_b64 v[17:18], v9, v[5:6]
	v_and_b32_e32 v5, 7, v17
; %bb.1004:                             ;   in Loop: Header=BB237_998 Depth=1
	s_or_b32 exec_lo, exec_lo, s16
	v_lshlrev_b32_e32 v9, 24, v11
	v_lshlrev_b32_e32 v5, 20, v5
	v_lshl_add_u32 v7, v7, 23, 0x3c000000
	v_and_b32_e32 v9, 0x80000000, v9
	v_or3_b32 v5, v5, v9, v7
	v_mov_b32_e32 v18, v6
	v_mov_b32_e32 v17, v5
.LBB237_1005:                           ;   in Loop: Header=BB237_998 Depth=1
	s_or_b32 exec_lo, exec_lo, s15
.LBB237_1006:                           ;   in Loop: Header=BB237_998 Depth=1
	s_or_b32 exec_lo, exec_lo, s13
.LBB237_1007:                           ;   in Loop: Header=BB237_998 Depth=1
	s_or_b32 exec_lo, exec_lo, s4
	v_cmp_ne_u16_sdwa s13, v11, v6 src0_sel:BYTE_1 src1_sel:DWORD
	s_and_saveexec_b32 s4, s13
	s_cbranch_execz .LBB237_1015
; %bb.1008:                             ;   in Loop: Header=BB237_998 Depth=1
	v_mov_b32_e32 v7, v6
	v_mov_b32_e32 v20, v8
	v_cmp_ne_u16_sdwa s15, v11, v86 src0_sel:BYTE_1 src1_sel:DWORD
	v_mov_b32_e32 v19, v7
	s_and_saveexec_b32 s13, s15
	s_cbranch_execz .LBB237_1014
; %bb.1009:                             ;   in Loop: Header=BB237_998 Depth=1
	v_mov_b32_e32 v5, 0xffff
	v_mov_b32_e32 v9, v6
	;; [unrolled: 1-line block ×3, first 2 shown]
	s_mov_b32 s15, exec_lo
	v_and_b32_sdwa v5, v5, v11 dst_sel:DWORD dst_unused:UNUSED_PAD src0_sel:DWORD src1_sel:BYTE_1
	v_mov_b32_e32 v19, v9
	v_and_b32_e32 v12, 0x7f, v5
	v_cmpx_ne_u32_e32 0x7f, v12
	s_cbranch_execz .LBB237_1013
; %bb.1010:                             ;   in Loop: Header=BB237_998 Depth=1
	v_and_b32_e32 v5, 7, v5
	v_lshrrev_b32_e32 v7, 3, v12
	s_mov_b32 s16, exec_lo
	v_cmpx_gt_u32_e32 8, v12
; %bb.1011:                             ;   in Loop: Header=BB237_998 Depth=1
	v_ffbh_u32_e32 v7, v5
	v_min_u32_e32 v7, 32, v7
	v_subrev_nc_u32_e32 v9, 28, v7
	v_sub_nc_u32_e32 v7, 29, v7
	v_lshlrev_b64 v[19:20], v9, v[5:6]
	v_and_b32_e32 v5, 7, v19
; %bb.1012:                             ;   in Loop: Header=BB237_998 Depth=1
	s_or_b32 exec_lo, exec_lo, s16
	v_lshlrev_b32_e32 v9, 16, v11
	v_lshlrev_b32_e32 v5, 20, v5
	v_lshl_add_u32 v7, v7, 23, 0x3c000000
	v_mov_b32_e32 v19, v6
	v_and_b32_e32 v9, 0x80000000, v9
	v_or3_b32 v20, v5, v9, v7
.LBB237_1013:                           ;   in Loop: Header=BB237_998 Depth=1
	s_or_b32 exec_lo, exec_lo, s15
.LBB237_1014:                           ;   in Loop: Header=BB237_998 Depth=1
	s_or_b32 exec_lo, exec_lo, s13
.LBB237_1015:                           ;   in Loop: Header=BB237_998 Depth=1
	s_or_b32 exec_lo, exec_lo, s4
	v_mov_b32_e32 v23, 0
	v_mov_b32_e32 v21, 0
	v_and_b32_sdwa v5, v11, v96 dst_sel:DWORD dst_unused:UNUSED_PAD src0_sel:WORD_1 src1_sel:DWORD
	v_mov_b32_e32 v24, 0
	v_mov_b32_e32 v22, 0
	s_mov_b32 s4, exec_lo
	v_cmpx_ne_u16_e32 0, v5
	s_cbranch_execz .LBB237_1023
; %bb.1016:                             ;   in Loop: Header=BB237_998 Depth=1
	v_bfrev_b32_e32 v21, 1
	v_mov_b32_e32 v22, 0
	s_mov_b32 s13, exec_lo
	v_cmpx_ne_u16_e32 0x80, v5
	s_cbranch_execz .LBB237_1022
; %bb.1017:                             ;   in Loop: Header=BB237_998 Depth=1
	v_mov_b32_e32 v21, 0x7f800001
	v_bfe_u32 v9, v11, 16, 7
	v_mov_b32_e32 v22, 0
	s_mov_b32 s15, exec_lo
	v_cmpx_ne_u32_e32 0x7f, v9
	s_cbranch_execz .LBB237_1021
; %bb.1018:                             ;   in Loop: Header=BB237_998 Depth=1
	v_mov_b32_e32 v5, 7
	v_lshrrev_b32_e32 v7, 3, v9
	s_mov_b32 s16, exec_lo
	v_and_b32_sdwa v5, v11, v5 dst_sel:DWORD dst_unused:UNUSED_PAD src0_sel:WORD_1 src1_sel:DWORD
	v_cmpx_gt_u32_e32 8, v9
; %bb.1019:                             ;   in Loop: Header=BB237_998 Depth=1
	v_ffbh_u32_e32 v7, v5
	v_min_u32_e32 v7, 32, v7
	v_subrev_nc_u32_e32 v9, 28, v7
	v_sub_nc_u32_e32 v7, 29, v7
	v_lshlrev_b64 v[21:22], v9, v[5:6]
	v_and_b32_e32 v5, 7, v21
; %bb.1020:                             ;   in Loop: Header=BB237_998 Depth=1
	s_or_b32 exec_lo, exec_lo, s16
	v_mov_b32_e32 v9, 24
	v_lshlrev_b32_e32 v5, 20, v5
	v_lshl_add_u32 v7, v7, 23, 0x3c000000
	v_lshlrev_b32_sdwa v9, v9, v11 dst_sel:DWORD dst_unused:UNUSED_PAD src0_sel:DWORD src1_sel:WORD_1
	v_and_b32_e32 v9, 0x80000000, v9
	v_or3_b32 v5, v5, v9, v7
	v_mov_b32_e32 v22, v6
	v_mov_b32_e32 v21, v5
.LBB237_1021:                           ;   in Loop: Header=BB237_998 Depth=1
	s_or_b32 exec_lo, exec_lo, s15
.LBB237_1022:                           ;   in Loop: Header=BB237_998 Depth=1
	s_or_b32 exec_lo, exec_lo, s13
.LBB237_1023:                           ;   in Loop: Header=BB237_998 Depth=1
	s_or_b32 exec_lo, exec_lo, s4
	s_mov_b32 s4, exec_lo
	v_cmpx_lt_u32_e32 0xffffff, v11
	s_cbranch_execz .LBB237_1031
; %bb.1024:                             ;   in Loop: Header=BB237_998 Depth=1
	v_mov_b32_e32 v7, v6
	v_mov_b32_e32 v24, v8
	v_cmp_ne_u32_sdwa s15, v11, v86 src0_sel:BYTE_3 src1_sel:DWORD
	v_mov_b32_e32 v23, v7
	s_and_saveexec_b32 s13, s15
	s_cbranch_execz .LBB237_1030
; %bb.1025:                             ;   in Loop: Header=BB237_998 Depth=1
	v_mov_b32_e32 v9, v6
	v_mov_b32_e32 v24, v10
	v_bfe_u32 v12, v11, 24, 7
	s_mov_b32 s15, exec_lo
	v_mov_b32_e32 v23, v9
	v_cmpx_ne_u32_e32 0x7f, v12
	s_cbranch_execz .LBB237_1029
; %bb.1026:                             ;   in Loop: Header=BB237_998 Depth=1
	v_mov_b32_e32 v5, 7
	v_lshrrev_b32_e32 v7, 3, v12
	s_mov_b32 s16, exec_lo
	v_and_b32_sdwa v5, v11, v5 dst_sel:DWORD dst_unused:UNUSED_PAD src0_sel:BYTE_3 src1_sel:DWORD
	v_cmpx_gt_u32_e32 8, v12
; %bb.1027:                             ;   in Loop: Header=BB237_998 Depth=1
	v_ffbh_u32_e32 v7, v5
	v_min_u32_e32 v7, 32, v7
	v_subrev_nc_u32_e32 v9, 28, v7
	v_sub_nc_u32_e32 v7, 29, v7
	v_lshlrev_b64 v[23:24], v9, v[5:6]
	v_and_b32_e32 v5, 7, v23
; %bb.1028:                             ;   in Loop: Header=BB237_998 Depth=1
	s_or_b32 exec_lo, exec_lo, s16
	v_mov_b32_e32 v9, 24
	v_lshlrev_b32_e32 v5, 20, v5
	v_lshl_add_u32 v7, v7, 23, 0x3c000000
	v_mov_b32_e32 v23, v6
	v_lshlrev_b32_sdwa v9, v9, v11 dst_sel:DWORD dst_unused:UNUSED_PAD src0_sel:DWORD src1_sel:BYTE_3
	v_and_b32_e32 v9, 0x80000000, v9
	v_or3_b32 v24, v5, v9, v7
.LBB237_1029:                           ;   in Loop: Header=BB237_998 Depth=1
	s_or_b32 exec_lo, exec_lo, s15
.LBB237_1030:                           ;   in Loop: Header=BB237_998 Depth=1
	s_or_b32 exec_lo, exec_lo, s13
.LBB237_1031:                           ;   in Loop: Header=BB237_998 Depth=1
	s_or_b32 exec_lo, exec_lo, s4
	buffer_load_dword v5, off, s[0:3], s32 offset:672 ; 4-byte Folded Reload
	v_or_b32_e32 v7, v19, v17
	v_or_b32_e32 v9, v23, v21
	;; [unrolled: 1-line block ×3, first 2 shown]
	s_waitcnt vmcnt(0)
	v_add_nc_u32_e32 v115, v5, v73
	v_or_b32_e32 v5, v20, v18
	s_clause 0x2
	buffer_load_dword v17, off, s[0:3], s32 offset:200
	buffer_load_dword v18, off, s[0:3], s32 offset:204
	;; [unrolled: 1-line block ×3, first 2 shown]
	v_add_nc_u32_e32 v118, 1, v115
	s_waitcnt lgkmcnt(1)
	v_mul_f32_e32 v5, v103, v5
	v_add_nc_u32_e32 v117, 2, v115
	v_add_nc_u32_e32 v116, 3, v115
	buffer_store_dword v5, off, s[0:3], s32 offset:256 ; 4-byte Folded Spill
	v_mul_f32_e32 v5, v103, v7
	buffer_store_dword v5, off, s[0:3], s32 offset:248 ; 4-byte Folded Spill
	v_mul_f32_e32 v5, v103, v9
	;; [unrolled: 2-line block ×3, first 2 shown]
	buffer_store_dword v5, off, s[0:3], s32 offset:208 ; 4-byte Folded Spill
	s_waitcnt vmcnt(0)
	v_cmp_eq_u32_e32 vcc_lo, v12, v17
	s_and_saveexec_b32 s13, vcc_lo
	s_cbranch_execz .LBB237_1033
; %bb.1032:                             ;   in Loop: Header=BB237_998 Depth=1
	buffer_load_dword v5, off, s[0:3], s32 offset:248 ; 4-byte Folded Reload
	v_cmp_lt_i32_e64 s4, v115, v54
	s_waitcnt vmcnt(0)
	v_cndmask_b32_e64 v5, 0, v5, s4
	v_cmp_lt_i32_e64 s4, v118, v54
	buffer_store_dword v5, off, s[0:3], s32 offset:248 ; 4-byte Folded Spill
	buffer_load_dword v5, off, s[0:3], s32 offset:256 ; 4-byte Folded Reload
	s_waitcnt vmcnt(0)
	v_cndmask_b32_e64 v5, 0, v5, s4
	v_cmp_lt_i32_e64 s4, v117, v54
	buffer_store_dword v5, off, s[0:3], s32 offset:256 ; 4-byte Folded Spill
	buffer_load_dword v5, off, s[0:3], s32 offset:244 ; 4-byte Folded Reload
	;; [unrolled: 5-line block ×3, first 2 shown]
	s_waitcnt vmcnt(0)
	v_cndmask_b32_e64 v5, 0, v5, s4
	buffer_store_dword v5, off, s[0:3], s32 offset:208 ; 4-byte Folded Spill
.LBB237_1033:                           ;   in Loop: Header=BB237_998 Depth=1
	s_or_b32 exec_lo, exec_lo, s13
	flat_load_dword v11, v[13:14] offset:128
	v_mov_b32_e32 v19, 0
	v_mov_b32_e32 v17, 0
	;; [unrolled: 1-line block ×4, first 2 shown]
	s_waitcnt vmcnt(0) lgkmcnt(0)
	v_cmp_ne_u16_sdwa s4, v11, v6 src0_sel:BYTE_0 src1_sel:DWORD
	s_and_saveexec_b32 s13, s4
	s_cbranch_execz .LBB237_1041
; %bb.1034:                             ;   in Loop: Header=BB237_998 Depth=1
	v_bfrev_b32_e32 v17, 1
	v_mov_b32_e32 v18, 0
	v_cmp_ne_u16_sdwa s4, v11, v86 src0_sel:BYTE_0 src1_sel:DWORD
	s_and_saveexec_b32 s15, s4
	s_cbranch_execz .LBB237_1040
; %bb.1035:                             ;   in Loop: Header=BB237_998 Depth=1
	v_mov_b32_e32 v17, 0x7f800001
	v_and_b32_e32 v9, 0x7f, v11
	v_mov_b32_e32 v18, 0
	s_mov_b32 s16, exec_lo
	v_cmpx_ne_u32_e32 0x7f, v9
	s_cbranch_execz .LBB237_1039
; %bb.1036:                             ;   in Loop: Header=BB237_998 Depth=1
	v_and_b32_e32 v5, 7, v11
	v_lshrrev_b32_e32 v7, 3, v9
	s_mov_b32 s17, exec_lo
	v_cmpx_gt_u32_e32 8, v9
; %bb.1037:                             ;   in Loop: Header=BB237_998 Depth=1
	v_ffbh_u32_e32 v7, v5
	v_min_u32_e32 v7, 32, v7
	v_subrev_nc_u32_e32 v9, 28, v7
	v_sub_nc_u32_e32 v7, 29, v7
	v_lshlrev_b64 v[17:18], v9, v[5:6]
	v_and_b32_e32 v5, 7, v17
; %bb.1038:                             ;   in Loop: Header=BB237_998 Depth=1
	s_or_b32 exec_lo, exec_lo, s17
	v_lshlrev_b32_e32 v9, 24, v11
	v_lshlrev_b32_e32 v5, 20, v5
	v_lshl_add_u32 v7, v7, 23, 0x3c000000
	v_and_b32_e32 v9, 0x80000000, v9
	v_or3_b32 v5, v5, v9, v7
	v_mov_b32_e32 v18, v6
	v_mov_b32_e32 v17, v5
.LBB237_1039:                           ;   in Loop: Header=BB237_998 Depth=1
	s_or_b32 exec_lo, exec_lo, s16
.LBB237_1040:                           ;   in Loop: Header=BB237_998 Depth=1
	s_or_b32 exec_lo, exec_lo, s15
.LBB237_1041:                           ;   in Loop: Header=BB237_998 Depth=1
	s_or_b32 exec_lo, exec_lo, s13
	v_cmp_ne_u16_sdwa s4, v11, v6 src0_sel:BYTE_1 src1_sel:DWORD
	s_and_saveexec_b32 s13, s4
	s_cbranch_execz .LBB237_1049
; %bb.1042:                             ;   in Loop: Header=BB237_998 Depth=1
	v_mov_b32_e32 v7, v6
	v_mov_b32_e32 v20, v8
	v_cmp_ne_u16_sdwa s4, v11, v86 src0_sel:BYTE_1 src1_sel:DWORD
	v_mov_b32_e32 v19, v7
	s_and_saveexec_b32 s15, s4
	s_cbranch_execz .LBB237_1048
; %bb.1043:                             ;   in Loop: Header=BB237_998 Depth=1
	v_mov_b32_e32 v5, 0xffff
	v_mov_b32_e32 v9, v6
	v_mov_b32_e32 v20, v10
	s_mov_b32 s16, exec_lo
	v_and_b32_sdwa v5, v5, v11 dst_sel:DWORD dst_unused:UNUSED_PAD src0_sel:DWORD src1_sel:BYTE_1
	v_mov_b32_e32 v19, v9
	v_and_b32_e32 v12, 0x7f, v5
	v_cmpx_ne_u32_e32 0x7f, v12
	s_cbranch_execz .LBB237_1047
; %bb.1044:                             ;   in Loop: Header=BB237_998 Depth=1
	v_and_b32_e32 v5, 7, v5
	v_lshrrev_b32_e32 v7, 3, v12
	s_mov_b32 s17, exec_lo
	v_cmpx_gt_u32_e32 8, v12
; %bb.1045:                             ;   in Loop: Header=BB237_998 Depth=1
	v_ffbh_u32_e32 v7, v5
	v_min_u32_e32 v7, 32, v7
	v_subrev_nc_u32_e32 v9, 28, v7
	v_sub_nc_u32_e32 v7, 29, v7
	v_lshlrev_b64 v[19:20], v9, v[5:6]
	v_and_b32_e32 v5, 7, v19
; %bb.1046:                             ;   in Loop: Header=BB237_998 Depth=1
	s_or_b32 exec_lo, exec_lo, s17
	v_lshlrev_b32_e32 v9, 16, v11
	v_lshlrev_b32_e32 v5, 20, v5
	v_lshl_add_u32 v7, v7, 23, 0x3c000000
	v_mov_b32_e32 v19, v6
	v_and_b32_e32 v9, 0x80000000, v9
	v_or3_b32 v20, v5, v9, v7
.LBB237_1047:                           ;   in Loop: Header=BB237_998 Depth=1
	s_or_b32 exec_lo, exec_lo, s16
.LBB237_1048:                           ;   in Loop: Header=BB237_998 Depth=1
	s_or_b32 exec_lo, exec_lo, s15
.LBB237_1049:                           ;   in Loop: Header=BB237_998 Depth=1
	s_or_b32 exec_lo, exec_lo, s13
	v_mov_b32_e32 v23, 0
	v_mov_b32_e32 v21, 0
	v_and_b32_sdwa v5, v11, v96 dst_sel:DWORD dst_unused:UNUSED_PAD src0_sel:WORD_1 src1_sel:DWORD
	v_mov_b32_e32 v24, 0
	v_mov_b32_e32 v22, 0
	s_mov_b32 s13, exec_lo
	v_cmpx_ne_u16_e32 0, v5
	s_cbranch_execz .LBB237_1057
; %bb.1050:                             ;   in Loop: Header=BB237_998 Depth=1
	v_bfrev_b32_e32 v21, 1
	v_mov_b32_e32 v22, 0
	s_mov_b32 s15, exec_lo
	v_cmpx_ne_u16_e32 0x80, v5
	s_cbranch_execz .LBB237_1056
; %bb.1051:                             ;   in Loop: Header=BB237_998 Depth=1
	v_mov_b32_e32 v21, 0x7f800001
	v_bfe_u32 v9, v11, 16, 7
	v_mov_b32_e32 v22, 0
	s_mov_b32 s16, exec_lo
	v_cmpx_ne_u32_e32 0x7f, v9
	s_cbranch_execz .LBB237_1055
; %bb.1052:                             ;   in Loop: Header=BB237_998 Depth=1
	v_mov_b32_e32 v5, 7
	v_lshrrev_b32_e32 v7, 3, v9
	s_mov_b32 s17, exec_lo
	v_and_b32_sdwa v5, v11, v5 dst_sel:DWORD dst_unused:UNUSED_PAD src0_sel:WORD_1 src1_sel:DWORD
	v_cmpx_gt_u32_e32 8, v9
; %bb.1053:                             ;   in Loop: Header=BB237_998 Depth=1
	v_ffbh_u32_e32 v7, v5
	v_min_u32_e32 v7, 32, v7
	v_subrev_nc_u32_e32 v9, 28, v7
	v_sub_nc_u32_e32 v7, 29, v7
	v_lshlrev_b64 v[21:22], v9, v[5:6]
	v_and_b32_e32 v5, 7, v21
; %bb.1054:                             ;   in Loop: Header=BB237_998 Depth=1
	s_or_b32 exec_lo, exec_lo, s17
	v_mov_b32_e32 v9, 24
	v_lshlrev_b32_e32 v5, 20, v5
	v_lshl_add_u32 v7, v7, 23, 0x3c000000
	v_lshlrev_b32_sdwa v9, v9, v11 dst_sel:DWORD dst_unused:UNUSED_PAD src0_sel:DWORD src1_sel:WORD_1
	v_and_b32_e32 v9, 0x80000000, v9
	v_or3_b32 v5, v5, v9, v7
	v_mov_b32_e32 v22, v6
	v_mov_b32_e32 v21, v5
.LBB237_1055:                           ;   in Loop: Header=BB237_998 Depth=1
	s_or_b32 exec_lo, exec_lo, s16
.LBB237_1056:                           ;   in Loop: Header=BB237_998 Depth=1
	s_or_b32 exec_lo, exec_lo, s15
.LBB237_1057:                           ;   in Loop: Header=BB237_998 Depth=1
	s_or_b32 exec_lo, exec_lo, s13
	s_mov_b32 s13, exec_lo
	v_cmpx_lt_u32_e32 0xffffff, v11
	s_cbranch_execz .LBB237_1065
; %bb.1058:                             ;   in Loop: Header=BB237_998 Depth=1
	v_mov_b32_e32 v7, v6
	v_mov_b32_e32 v24, v8
	v_cmp_ne_u32_sdwa s4, v11, v86 src0_sel:BYTE_3 src1_sel:DWORD
	v_mov_b32_e32 v23, v7
	s_and_saveexec_b32 s15, s4
	s_cbranch_execz .LBB237_1064
; %bb.1059:                             ;   in Loop: Header=BB237_998 Depth=1
	v_mov_b32_e32 v9, v6
	v_mov_b32_e32 v24, v10
	v_bfe_u32 v12, v11, 24, 7
	s_mov_b32 s16, exec_lo
	v_mov_b32_e32 v23, v9
	v_cmpx_ne_u32_e32 0x7f, v12
	s_cbranch_execz .LBB237_1063
; %bb.1060:                             ;   in Loop: Header=BB237_998 Depth=1
	v_mov_b32_e32 v5, 7
	v_lshrrev_b32_e32 v7, 3, v12
	s_mov_b32 s17, exec_lo
	v_and_b32_sdwa v5, v11, v5 dst_sel:DWORD dst_unused:UNUSED_PAD src0_sel:BYTE_3 src1_sel:DWORD
	v_cmpx_gt_u32_e32 8, v12
; %bb.1061:                             ;   in Loop: Header=BB237_998 Depth=1
	v_ffbh_u32_e32 v7, v5
	v_min_u32_e32 v7, 32, v7
	v_subrev_nc_u32_e32 v9, 28, v7
	v_sub_nc_u32_e32 v7, 29, v7
	v_lshlrev_b64 v[23:24], v9, v[5:6]
	v_and_b32_e32 v5, 7, v23
; %bb.1062:                             ;   in Loop: Header=BB237_998 Depth=1
	s_or_b32 exec_lo, exec_lo, s17
	v_mov_b32_e32 v9, 24
	v_lshlrev_b32_e32 v5, 20, v5
	v_lshl_add_u32 v7, v7, 23, 0x3c000000
	v_mov_b32_e32 v23, v6
	v_lshlrev_b32_sdwa v9, v9, v11 dst_sel:DWORD dst_unused:UNUSED_PAD src0_sel:DWORD src1_sel:BYTE_3
	v_and_b32_e32 v9, 0x80000000, v9
	v_or3_b32 v24, v5, v9, v7
.LBB237_1063:                           ;   in Loop: Header=BB237_998 Depth=1
	s_or_b32 exec_lo, exec_lo, s16
.LBB237_1064:                           ;   in Loop: Header=BB237_998 Depth=1
	s_or_b32 exec_lo, exec_lo, s15
.LBB237_1065:                           ;   in Loop: Header=BB237_998 Depth=1
	s_or_b32 exec_lo, exec_lo, s13
	v_or_b32_e32 v5, v20, v18
	v_or_b32_e32 v7, v19, v17
	;; [unrolled: 1-line block ×4, first 2 shown]
	v_mul_f32_e32 v5, v103, v5
	buffer_store_dword v5, off, s[0:3], s32 offset:288 ; 4-byte Folded Spill
	v_mul_f32_e32 v5, v103, v7
	buffer_store_dword v5, off, s[0:3], s32 offset:280 ; 4-byte Folded Spill
	v_mul_f32_e32 v5, v103, v9
	buffer_store_dword v5, off, s[0:3], s32 offset:272 ; 4-byte Folded Spill
	v_mul_f32_e32 v5, v103, v11
	buffer_store_dword v5, off, s[0:3], s32 offset:264 ; 4-byte Folded Spill
	s_and_saveexec_b32 s13, vcc_lo
	s_cbranch_execz .LBB237_1067
; %bb.1066:                             ;   in Loop: Header=BB237_998 Depth=1
	buffer_load_dword v5, off, s[0:3], s32 offset:280 ; 4-byte Folded Reload
	v_cmp_lt_i32_e64 s4, v115, v54
	s_waitcnt vmcnt(0)
	v_cndmask_b32_e64 v5, 0, v5, s4
	v_cmp_lt_i32_e64 s4, v118, v54
	buffer_store_dword v5, off, s[0:3], s32 offset:280 ; 4-byte Folded Spill
	buffer_load_dword v5, off, s[0:3], s32 offset:288 ; 4-byte Folded Reload
	s_waitcnt vmcnt(0)
	v_cndmask_b32_e64 v5, 0, v5, s4
	v_cmp_lt_i32_e64 s4, v117, v54
	buffer_store_dword v5, off, s[0:3], s32 offset:288 ; 4-byte Folded Spill
	buffer_load_dword v5, off, s[0:3], s32 offset:272 ; 4-byte Folded Reload
	;; [unrolled: 5-line block ×3, first 2 shown]
	s_waitcnt vmcnt(0)
	v_cndmask_b32_e64 v5, 0, v5, s4
	buffer_store_dword v5, off, s[0:3], s32 offset:264 ; 4-byte Folded Spill
.LBB237_1067:                           ;   in Loop: Header=BB237_998 Depth=1
	s_or_b32 exec_lo, exec_lo, s13
	flat_load_dword v11, v[13:14] offset:256
	v_mov_b32_e32 v19, 0
	v_mov_b32_e32 v17, 0
	;; [unrolled: 1-line block ×4, first 2 shown]
	s_waitcnt vmcnt(0) lgkmcnt(0)
	v_cmp_ne_u16_sdwa s4, v11, v6 src0_sel:BYTE_0 src1_sel:DWORD
	s_and_saveexec_b32 s13, s4
	s_cbranch_execz .LBB237_1075
; %bb.1068:                             ;   in Loop: Header=BB237_998 Depth=1
	v_bfrev_b32_e32 v17, 1
	v_mov_b32_e32 v18, 0
	v_cmp_ne_u16_sdwa s4, v11, v86 src0_sel:BYTE_0 src1_sel:DWORD
	s_and_saveexec_b32 s15, s4
	s_cbranch_execz .LBB237_1074
; %bb.1069:                             ;   in Loop: Header=BB237_998 Depth=1
	v_mov_b32_e32 v17, 0x7f800001
	v_and_b32_e32 v9, 0x7f, v11
	v_mov_b32_e32 v18, 0
	s_mov_b32 s16, exec_lo
	v_cmpx_ne_u32_e32 0x7f, v9
	s_cbranch_execz .LBB237_1073
; %bb.1070:                             ;   in Loop: Header=BB237_998 Depth=1
	v_and_b32_e32 v5, 7, v11
	v_lshrrev_b32_e32 v7, 3, v9
	s_mov_b32 s17, exec_lo
	v_cmpx_gt_u32_e32 8, v9
; %bb.1071:                             ;   in Loop: Header=BB237_998 Depth=1
	v_ffbh_u32_e32 v7, v5
	v_min_u32_e32 v7, 32, v7
	v_subrev_nc_u32_e32 v9, 28, v7
	v_sub_nc_u32_e32 v7, 29, v7
	v_lshlrev_b64 v[17:18], v9, v[5:6]
	v_and_b32_e32 v5, 7, v17
; %bb.1072:                             ;   in Loop: Header=BB237_998 Depth=1
	s_or_b32 exec_lo, exec_lo, s17
	v_lshlrev_b32_e32 v9, 24, v11
	v_lshlrev_b32_e32 v5, 20, v5
	v_lshl_add_u32 v7, v7, 23, 0x3c000000
	v_and_b32_e32 v9, 0x80000000, v9
	v_or3_b32 v5, v5, v9, v7
	v_mov_b32_e32 v18, v6
	v_mov_b32_e32 v17, v5
.LBB237_1073:                           ;   in Loop: Header=BB237_998 Depth=1
	s_or_b32 exec_lo, exec_lo, s16
.LBB237_1074:                           ;   in Loop: Header=BB237_998 Depth=1
	s_or_b32 exec_lo, exec_lo, s15
.LBB237_1075:                           ;   in Loop: Header=BB237_998 Depth=1
	s_or_b32 exec_lo, exec_lo, s13
	v_cmp_ne_u16_sdwa s4, v11, v6 src0_sel:BYTE_1 src1_sel:DWORD
	s_and_saveexec_b32 s13, s4
	s_cbranch_execz .LBB237_1083
; %bb.1076:                             ;   in Loop: Header=BB237_998 Depth=1
	v_mov_b32_e32 v7, v6
	v_mov_b32_e32 v20, v8
	v_cmp_ne_u16_sdwa s4, v11, v86 src0_sel:BYTE_1 src1_sel:DWORD
	v_mov_b32_e32 v19, v7
	s_and_saveexec_b32 s15, s4
	s_cbranch_execz .LBB237_1082
; %bb.1077:                             ;   in Loop: Header=BB237_998 Depth=1
	v_mov_b32_e32 v5, 0xffff
	v_mov_b32_e32 v9, v6
	;; [unrolled: 1-line block ×3, first 2 shown]
	s_mov_b32 s16, exec_lo
	v_and_b32_sdwa v5, v5, v11 dst_sel:DWORD dst_unused:UNUSED_PAD src0_sel:DWORD src1_sel:BYTE_1
	v_mov_b32_e32 v19, v9
	v_and_b32_e32 v12, 0x7f, v5
	v_cmpx_ne_u32_e32 0x7f, v12
	s_cbranch_execz .LBB237_1081
; %bb.1078:                             ;   in Loop: Header=BB237_998 Depth=1
	v_and_b32_e32 v5, 7, v5
	v_lshrrev_b32_e32 v7, 3, v12
	s_mov_b32 s17, exec_lo
	v_cmpx_gt_u32_e32 8, v12
; %bb.1079:                             ;   in Loop: Header=BB237_998 Depth=1
	v_ffbh_u32_e32 v7, v5
	v_min_u32_e32 v7, 32, v7
	v_subrev_nc_u32_e32 v9, 28, v7
	v_sub_nc_u32_e32 v7, 29, v7
	v_lshlrev_b64 v[19:20], v9, v[5:6]
	v_and_b32_e32 v5, 7, v19
; %bb.1080:                             ;   in Loop: Header=BB237_998 Depth=1
	s_or_b32 exec_lo, exec_lo, s17
	v_lshlrev_b32_e32 v9, 16, v11
	v_lshlrev_b32_e32 v5, 20, v5
	v_lshl_add_u32 v7, v7, 23, 0x3c000000
	v_mov_b32_e32 v19, v6
	v_and_b32_e32 v9, 0x80000000, v9
	v_or3_b32 v20, v5, v9, v7
.LBB237_1081:                           ;   in Loop: Header=BB237_998 Depth=1
	s_or_b32 exec_lo, exec_lo, s16
.LBB237_1082:                           ;   in Loop: Header=BB237_998 Depth=1
	s_or_b32 exec_lo, exec_lo, s15
.LBB237_1083:                           ;   in Loop: Header=BB237_998 Depth=1
	s_or_b32 exec_lo, exec_lo, s13
	v_mov_b32_e32 v23, 0
	v_mov_b32_e32 v21, 0
	v_and_b32_sdwa v5, v11, v96 dst_sel:DWORD dst_unused:UNUSED_PAD src0_sel:WORD_1 src1_sel:DWORD
	v_mov_b32_e32 v24, 0
	v_mov_b32_e32 v22, 0
	s_mov_b32 s13, exec_lo
	v_cmpx_ne_u16_e32 0, v5
	s_cbranch_execz .LBB237_1091
; %bb.1084:                             ;   in Loop: Header=BB237_998 Depth=1
	v_bfrev_b32_e32 v21, 1
	v_mov_b32_e32 v22, 0
	s_mov_b32 s15, exec_lo
	v_cmpx_ne_u16_e32 0x80, v5
	s_cbranch_execz .LBB237_1090
; %bb.1085:                             ;   in Loop: Header=BB237_998 Depth=1
	v_mov_b32_e32 v21, 0x7f800001
	v_bfe_u32 v9, v11, 16, 7
	v_mov_b32_e32 v22, 0
	s_mov_b32 s16, exec_lo
	v_cmpx_ne_u32_e32 0x7f, v9
	s_cbranch_execz .LBB237_1089
; %bb.1086:                             ;   in Loop: Header=BB237_998 Depth=1
	v_mov_b32_e32 v5, 7
	v_lshrrev_b32_e32 v7, 3, v9
	s_mov_b32 s17, exec_lo
	v_and_b32_sdwa v5, v11, v5 dst_sel:DWORD dst_unused:UNUSED_PAD src0_sel:WORD_1 src1_sel:DWORD
	v_cmpx_gt_u32_e32 8, v9
; %bb.1087:                             ;   in Loop: Header=BB237_998 Depth=1
	v_ffbh_u32_e32 v7, v5
	v_min_u32_e32 v7, 32, v7
	v_subrev_nc_u32_e32 v9, 28, v7
	v_sub_nc_u32_e32 v7, 29, v7
	v_lshlrev_b64 v[21:22], v9, v[5:6]
	v_and_b32_e32 v5, 7, v21
; %bb.1088:                             ;   in Loop: Header=BB237_998 Depth=1
	s_or_b32 exec_lo, exec_lo, s17
	v_mov_b32_e32 v9, 24
	v_lshlrev_b32_e32 v5, 20, v5
	v_lshl_add_u32 v7, v7, 23, 0x3c000000
	v_lshlrev_b32_sdwa v9, v9, v11 dst_sel:DWORD dst_unused:UNUSED_PAD src0_sel:DWORD src1_sel:WORD_1
	v_and_b32_e32 v9, 0x80000000, v9
	v_or3_b32 v5, v5, v9, v7
	v_mov_b32_e32 v22, v6
	v_mov_b32_e32 v21, v5
.LBB237_1089:                           ;   in Loop: Header=BB237_998 Depth=1
	s_or_b32 exec_lo, exec_lo, s16
.LBB237_1090:                           ;   in Loop: Header=BB237_998 Depth=1
	s_or_b32 exec_lo, exec_lo, s15
.LBB237_1091:                           ;   in Loop: Header=BB237_998 Depth=1
	s_or_b32 exec_lo, exec_lo, s13
	s_mov_b32 s13, exec_lo
	v_cmpx_lt_u32_e32 0xffffff, v11
	s_cbranch_execz .LBB237_1099
; %bb.1092:                             ;   in Loop: Header=BB237_998 Depth=1
	v_mov_b32_e32 v7, v6
	v_mov_b32_e32 v24, v8
	v_cmp_ne_u32_sdwa s4, v11, v86 src0_sel:BYTE_3 src1_sel:DWORD
	v_mov_b32_e32 v23, v7
	s_and_saveexec_b32 s15, s4
	s_cbranch_execz .LBB237_1098
; %bb.1093:                             ;   in Loop: Header=BB237_998 Depth=1
	v_mov_b32_e32 v9, v6
	v_mov_b32_e32 v24, v10
	v_bfe_u32 v12, v11, 24, 7
	s_mov_b32 s16, exec_lo
	v_mov_b32_e32 v23, v9
	v_cmpx_ne_u32_e32 0x7f, v12
	s_cbranch_execz .LBB237_1097
; %bb.1094:                             ;   in Loop: Header=BB237_998 Depth=1
	v_mov_b32_e32 v5, 7
	v_lshrrev_b32_e32 v7, 3, v12
	s_mov_b32 s17, exec_lo
	v_and_b32_sdwa v5, v11, v5 dst_sel:DWORD dst_unused:UNUSED_PAD src0_sel:BYTE_3 src1_sel:DWORD
	v_cmpx_gt_u32_e32 8, v12
; %bb.1095:                             ;   in Loop: Header=BB237_998 Depth=1
	v_ffbh_u32_e32 v7, v5
	v_min_u32_e32 v7, 32, v7
	v_subrev_nc_u32_e32 v9, 28, v7
	v_sub_nc_u32_e32 v7, 29, v7
	v_lshlrev_b64 v[23:24], v9, v[5:6]
	v_and_b32_e32 v5, 7, v23
; %bb.1096:                             ;   in Loop: Header=BB237_998 Depth=1
	s_or_b32 exec_lo, exec_lo, s17
	v_mov_b32_e32 v9, 24
	v_lshlrev_b32_e32 v5, 20, v5
	v_lshl_add_u32 v7, v7, 23, 0x3c000000
	v_mov_b32_e32 v23, v6
	v_lshlrev_b32_sdwa v9, v9, v11 dst_sel:DWORD dst_unused:UNUSED_PAD src0_sel:DWORD src1_sel:BYTE_3
	v_and_b32_e32 v9, 0x80000000, v9
	v_or3_b32 v24, v5, v9, v7
.LBB237_1097:                           ;   in Loop: Header=BB237_998 Depth=1
	s_or_b32 exec_lo, exec_lo, s16
.LBB237_1098:                           ;   in Loop: Header=BB237_998 Depth=1
	s_or_b32 exec_lo, exec_lo, s15
.LBB237_1099:                           ;   in Loop: Header=BB237_998 Depth=1
	s_or_b32 exec_lo, exec_lo, s13
	v_or_b32_e32 v5, v20, v18
	v_or_b32_e32 v7, v19, v17
	;; [unrolled: 1-line block ×4, first 2 shown]
	v_mul_f32_e32 v5, v103, v5
	buffer_store_dword v5, off, s[0:3], s32 offset:320 ; 4-byte Folded Spill
	v_mul_f32_e32 v5, v103, v7
	buffer_store_dword v5, off, s[0:3], s32 offset:312 ; 4-byte Folded Spill
	v_mul_f32_e32 v5, v103, v9
	buffer_store_dword v5, off, s[0:3], s32 offset:304 ; 4-byte Folded Spill
	v_mul_f32_e32 v5, v103, v11
	buffer_store_dword v5, off, s[0:3], s32 offset:296 ; 4-byte Folded Spill
	s_and_saveexec_b32 s13, vcc_lo
	s_cbranch_execz .LBB237_1101
; %bb.1100:                             ;   in Loop: Header=BB237_998 Depth=1
	buffer_load_dword v5, off, s[0:3], s32 offset:312 ; 4-byte Folded Reload
	v_cmp_lt_i32_e64 s4, v115, v54
	s_waitcnt vmcnt(0)
	v_cndmask_b32_e64 v5, 0, v5, s4
	v_cmp_lt_i32_e64 s4, v118, v54
	buffer_store_dword v5, off, s[0:3], s32 offset:312 ; 4-byte Folded Spill
	buffer_load_dword v5, off, s[0:3], s32 offset:320 ; 4-byte Folded Reload
	s_waitcnt vmcnt(0)
	v_cndmask_b32_e64 v5, 0, v5, s4
	v_cmp_lt_i32_e64 s4, v117, v54
	buffer_store_dword v5, off, s[0:3], s32 offset:320 ; 4-byte Folded Spill
	buffer_load_dword v5, off, s[0:3], s32 offset:304 ; 4-byte Folded Reload
	;; [unrolled: 5-line block ×3, first 2 shown]
	s_waitcnt vmcnt(0)
	v_cndmask_b32_e64 v5, 0, v5, s4
	buffer_store_dword v5, off, s[0:3], s32 offset:296 ; 4-byte Folded Spill
.LBB237_1101:                           ;   in Loop: Header=BB237_998 Depth=1
	s_or_b32 exec_lo, exec_lo, s13
	flat_load_dword v11, v[13:14] offset:384
	v_mov_b32_e32 v19, 0
	v_mov_b32_e32 v17, 0
	;; [unrolled: 1-line block ×4, first 2 shown]
	s_waitcnt vmcnt(0) lgkmcnt(0)
	v_cmp_ne_u16_sdwa s4, v11, v6 src0_sel:BYTE_0 src1_sel:DWORD
	s_and_saveexec_b32 s13, s4
	s_cbranch_execz .LBB237_1109
; %bb.1102:                             ;   in Loop: Header=BB237_998 Depth=1
	v_bfrev_b32_e32 v17, 1
	v_mov_b32_e32 v18, 0
	v_cmp_ne_u16_sdwa s4, v11, v86 src0_sel:BYTE_0 src1_sel:DWORD
	s_and_saveexec_b32 s15, s4
	s_cbranch_execz .LBB237_1108
; %bb.1103:                             ;   in Loop: Header=BB237_998 Depth=1
	v_mov_b32_e32 v17, 0x7f800001
	v_and_b32_e32 v9, 0x7f, v11
	v_mov_b32_e32 v18, 0
	s_mov_b32 s16, exec_lo
	v_cmpx_ne_u32_e32 0x7f, v9
	s_cbranch_execz .LBB237_1107
; %bb.1104:                             ;   in Loop: Header=BB237_998 Depth=1
	v_and_b32_e32 v5, 7, v11
	v_lshrrev_b32_e32 v7, 3, v9
	s_mov_b32 s17, exec_lo
	v_cmpx_gt_u32_e32 8, v9
; %bb.1105:                             ;   in Loop: Header=BB237_998 Depth=1
	v_ffbh_u32_e32 v7, v5
	v_min_u32_e32 v7, 32, v7
	v_subrev_nc_u32_e32 v9, 28, v7
	v_sub_nc_u32_e32 v7, 29, v7
	v_lshlrev_b64 v[17:18], v9, v[5:6]
	v_and_b32_e32 v5, 7, v17
; %bb.1106:                             ;   in Loop: Header=BB237_998 Depth=1
	s_or_b32 exec_lo, exec_lo, s17
	v_lshlrev_b32_e32 v9, 24, v11
	v_lshlrev_b32_e32 v5, 20, v5
	v_lshl_add_u32 v7, v7, 23, 0x3c000000
	v_and_b32_e32 v9, 0x80000000, v9
	v_or3_b32 v5, v5, v9, v7
	v_mov_b32_e32 v18, v6
	v_mov_b32_e32 v17, v5
.LBB237_1107:                           ;   in Loop: Header=BB237_998 Depth=1
	s_or_b32 exec_lo, exec_lo, s16
.LBB237_1108:                           ;   in Loop: Header=BB237_998 Depth=1
	s_or_b32 exec_lo, exec_lo, s15
.LBB237_1109:                           ;   in Loop: Header=BB237_998 Depth=1
	s_or_b32 exec_lo, exec_lo, s13
	v_cmp_ne_u16_sdwa s4, v11, v6 src0_sel:BYTE_1 src1_sel:DWORD
	s_and_saveexec_b32 s13, s4
	s_cbranch_execz .LBB237_1117
; %bb.1110:                             ;   in Loop: Header=BB237_998 Depth=1
	v_mov_b32_e32 v7, v6
	v_mov_b32_e32 v20, v8
	v_cmp_ne_u16_sdwa s4, v11, v86 src0_sel:BYTE_1 src1_sel:DWORD
	v_mov_b32_e32 v19, v7
	s_and_saveexec_b32 s15, s4
	s_cbranch_execz .LBB237_1116
; %bb.1111:                             ;   in Loop: Header=BB237_998 Depth=1
	v_mov_b32_e32 v5, 0xffff
	v_mov_b32_e32 v9, v6
	;; [unrolled: 1-line block ×3, first 2 shown]
	s_mov_b32 s16, exec_lo
	v_and_b32_sdwa v5, v5, v11 dst_sel:DWORD dst_unused:UNUSED_PAD src0_sel:DWORD src1_sel:BYTE_1
	v_mov_b32_e32 v19, v9
	v_and_b32_e32 v12, 0x7f, v5
	v_cmpx_ne_u32_e32 0x7f, v12
	s_cbranch_execz .LBB237_1115
; %bb.1112:                             ;   in Loop: Header=BB237_998 Depth=1
	v_and_b32_e32 v5, 7, v5
	v_lshrrev_b32_e32 v7, 3, v12
	s_mov_b32 s17, exec_lo
	v_cmpx_gt_u32_e32 8, v12
; %bb.1113:                             ;   in Loop: Header=BB237_998 Depth=1
	v_ffbh_u32_e32 v7, v5
	v_min_u32_e32 v7, 32, v7
	v_subrev_nc_u32_e32 v9, 28, v7
	v_sub_nc_u32_e32 v7, 29, v7
	v_lshlrev_b64 v[19:20], v9, v[5:6]
	v_and_b32_e32 v5, 7, v19
; %bb.1114:                             ;   in Loop: Header=BB237_998 Depth=1
	s_or_b32 exec_lo, exec_lo, s17
	v_lshlrev_b32_e32 v9, 16, v11
	v_lshlrev_b32_e32 v5, 20, v5
	v_lshl_add_u32 v7, v7, 23, 0x3c000000
	v_mov_b32_e32 v19, v6
	v_and_b32_e32 v9, 0x80000000, v9
	v_or3_b32 v20, v5, v9, v7
.LBB237_1115:                           ;   in Loop: Header=BB237_998 Depth=1
	s_or_b32 exec_lo, exec_lo, s16
.LBB237_1116:                           ;   in Loop: Header=BB237_998 Depth=1
	s_or_b32 exec_lo, exec_lo, s15
.LBB237_1117:                           ;   in Loop: Header=BB237_998 Depth=1
	s_or_b32 exec_lo, exec_lo, s13
	v_mov_b32_e32 v23, 0
	v_mov_b32_e32 v21, 0
	v_and_b32_sdwa v5, v11, v96 dst_sel:DWORD dst_unused:UNUSED_PAD src0_sel:WORD_1 src1_sel:DWORD
	v_mov_b32_e32 v24, 0
	v_mov_b32_e32 v22, 0
	s_mov_b32 s13, exec_lo
	v_cmpx_ne_u16_e32 0, v5
	s_cbranch_execz .LBB237_1125
; %bb.1118:                             ;   in Loop: Header=BB237_998 Depth=1
	v_bfrev_b32_e32 v21, 1
	v_mov_b32_e32 v22, 0
	s_mov_b32 s15, exec_lo
	v_cmpx_ne_u16_e32 0x80, v5
	s_cbranch_execz .LBB237_1124
; %bb.1119:                             ;   in Loop: Header=BB237_998 Depth=1
	v_mov_b32_e32 v21, 0x7f800001
	v_bfe_u32 v9, v11, 16, 7
	v_mov_b32_e32 v22, 0
	s_mov_b32 s16, exec_lo
	v_cmpx_ne_u32_e32 0x7f, v9
	s_cbranch_execz .LBB237_1123
; %bb.1120:                             ;   in Loop: Header=BB237_998 Depth=1
	v_mov_b32_e32 v5, 7
	v_lshrrev_b32_e32 v7, 3, v9
	s_mov_b32 s17, exec_lo
	v_and_b32_sdwa v5, v11, v5 dst_sel:DWORD dst_unused:UNUSED_PAD src0_sel:WORD_1 src1_sel:DWORD
	v_cmpx_gt_u32_e32 8, v9
; %bb.1121:                             ;   in Loop: Header=BB237_998 Depth=1
	v_ffbh_u32_e32 v7, v5
	v_min_u32_e32 v7, 32, v7
	v_subrev_nc_u32_e32 v9, 28, v7
	v_sub_nc_u32_e32 v7, 29, v7
	v_lshlrev_b64 v[21:22], v9, v[5:6]
	v_and_b32_e32 v5, 7, v21
; %bb.1122:                             ;   in Loop: Header=BB237_998 Depth=1
	s_or_b32 exec_lo, exec_lo, s17
	v_mov_b32_e32 v9, 24
	v_lshlrev_b32_e32 v5, 20, v5
	v_lshl_add_u32 v7, v7, 23, 0x3c000000
	v_lshlrev_b32_sdwa v9, v9, v11 dst_sel:DWORD dst_unused:UNUSED_PAD src0_sel:DWORD src1_sel:WORD_1
	v_and_b32_e32 v9, 0x80000000, v9
	v_or3_b32 v5, v5, v9, v7
	v_mov_b32_e32 v22, v6
	v_mov_b32_e32 v21, v5
.LBB237_1123:                           ;   in Loop: Header=BB237_998 Depth=1
	s_or_b32 exec_lo, exec_lo, s16
.LBB237_1124:                           ;   in Loop: Header=BB237_998 Depth=1
	s_or_b32 exec_lo, exec_lo, s15
.LBB237_1125:                           ;   in Loop: Header=BB237_998 Depth=1
	s_or_b32 exec_lo, exec_lo, s13
	s_mov_b32 s13, exec_lo
	v_cmpx_lt_u32_e32 0xffffff, v11
	s_cbranch_execz .LBB237_1133
; %bb.1126:                             ;   in Loop: Header=BB237_998 Depth=1
	v_mov_b32_e32 v7, v6
	v_mov_b32_e32 v24, v8
	v_cmp_ne_u32_sdwa s4, v11, v86 src0_sel:BYTE_3 src1_sel:DWORD
	v_mov_b32_e32 v23, v7
	s_and_saveexec_b32 s15, s4
	s_cbranch_execz .LBB237_1132
; %bb.1127:                             ;   in Loop: Header=BB237_998 Depth=1
	v_mov_b32_e32 v9, v6
	v_mov_b32_e32 v24, v10
	v_bfe_u32 v12, v11, 24, 7
	s_mov_b32 s16, exec_lo
	v_mov_b32_e32 v23, v9
	v_cmpx_ne_u32_e32 0x7f, v12
	s_cbranch_execz .LBB237_1131
; %bb.1128:                             ;   in Loop: Header=BB237_998 Depth=1
	v_mov_b32_e32 v5, 7
	v_lshrrev_b32_e32 v7, 3, v12
	s_mov_b32 s17, exec_lo
	v_and_b32_sdwa v5, v11, v5 dst_sel:DWORD dst_unused:UNUSED_PAD src0_sel:BYTE_3 src1_sel:DWORD
	v_cmpx_gt_u32_e32 8, v12
; %bb.1129:                             ;   in Loop: Header=BB237_998 Depth=1
	v_ffbh_u32_e32 v7, v5
	v_min_u32_e32 v7, 32, v7
	v_subrev_nc_u32_e32 v9, 28, v7
	v_sub_nc_u32_e32 v7, 29, v7
	v_lshlrev_b64 v[23:24], v9, v[5:6]
	v_and_b32_e32 v5, 7, v23
; %bb.1130:                             ;   in Loop: Header=BB237_998 Depth=1
	s_or_b32 exec_lo, exec_lo, s17
	v_mov_b32_e32 v9, 24
	v_lshlrev_b32_e32 v5, 20, v5
	v_lshl_add_u32 v7, v7, 23, 0x3c000000
	v_mov_b32_e32 v23, v6
	v_lshlrev_b32_sdwa v9, v9, v11 dst_sel:DWORD dst_unused:UNUSED_PAD src0_sel:DWORD src1_sel:BYTE_3
	v_and_b32_e32 v9, 0x80000000, v9
	v_or3_b32 v24, v5, v9, v7
.LBB237_1131:                           ;   in Loop: Header=BB237_998 Depth=1
	s_or_b32 exec_lo, exec_lo, s16
.LBB237_1132:                           ;   in Loop: Header=BB237_998 Depth=1
	s_or_b32 exec_lo, exec_lo, s15
.LBB237_1133:                           ;   in Loop: Header=BB237_998 Depth=1
	s_or_b32 exec_lo, exec_lo, s13
	v_or_b32_e32 v5, v20, v18
	v_or_b32_e32 v7, v19, v17
	;; [unrolled: 1-line block ×4, first 2 shown]
	v_mul_f32_e32 v5, v103, v5
	buffer_store_dword v5, off, s[0:3], s32 offset:352 ; 4-byte Folded Spill
	v_mul_f32_e32 v5, v103, v7
	buffer_store_dword v5, off, s[0:3], s32 offset:344 ; 4-byte Folded Spill
	;; [unrolled: 2-line block ×4, first 2 shown]
	s_and_saveexec_b32 s13, vcc_lo
	s_cbranch_execz .LBB237_1135
; %bb.1134:                             ;   in Loop: Header=BB237_998 Depth=1
	buffer_load_dword v5, off, s[0:3], s32 offset:344 ; 4-byte Folded Reload
	v_cmp_lt_i32_e64 s4, v115, v54
	s_waitcnt vmcnt(0)
	v_cndmask_b32_e64 v5, 0, v5, s4
	v_cmp_lt_i32_e64 s4, v118, v54
	buffer_store_dword v5, off, s[0:3], s32 offset:344 ; 4-byte Folded Spill
	buffer_load_dword v5, off, s[0:3], s32 offset:352 ; 4-byte Folded Reload
	s_waitcnt vmcnt(0)
	v_cndmask_b32_e64 v5, 0, v5, s4
	v_cmp_lt_i32_e64 s4, v117, v54
	buffer_store_dword v5, off, s[0:3], s32 offset:352 ; 4-byte Folded Spill
	buffer_load_dword v5, off, s[0:3], s32 offset:336 ; 4-byte Folded Reload
	;; [unrolled: 5-line block ×3, first 2 shown]
	s_waitcnt vmcnt(0)
	v_cndmask_b32_e64 v5, 0, v5, s4
	buffer_store_dword v5, off, s[0:3], s32 offset:328 ; 4-byte Folded Spill
.LBB237_1135:                           ;   in Loop: Header=BB237_998 Depth=1
	s_or_b32 exec_lo, exec_lo, s13
	flat_load_dword v11, v[13:14] offset:512
	v_mov_b32_e32 v19, 0
	v_mov_b32_e32 v17, 0
	v_mov_b32_e32 v20, 0
	v_mov_b32_e32 v18, 0
	s_waitcnt vmcnt(0) lgkmcnt(0)
	v_cmp_ne_u16_sdwa s4, v11, v6 src0_sel:BYTE_0 src1_sel:DWORD
	s_and_saveexec_b32 s13, s4
	s_cbranch_execz .LBB237_1143
; %bb.1136:                             ;   in Loop: Header=BB237_998 Depth=1
	v_bfrev_b32_e32 v17, 1
	v_mov_b32_e32 v18, 0
	v_cmp_ne_u16_sdwa s4, v11, v86 src0_sel:BYTE_0 src1_sel:DWORD
	s_and_saveexec_b32 s15, s4
	s_cbranch_execz .LBB237_1142
; %bb.1137:                             ;   in Loop: Header=BB237_998 Depth=1
	v_mov_b32_e32 v17, 0x7f800001
	v_and_b32_e32 v9, 0x7f, v11
	v_mov_b32_e32 v18, 0
	s_mov_b32 s16, exec_lo
	v_cmpx_ne_u32_e32 0x7f, v9
	s_cbranch_execz .LBB237_1141
; %bb.1138:                             ;   in Loop: Header=BB237_998 Depth=1
	v_and_b32_e32 v5, 7, v11
	v_lshrrev_b32_e32 v7, 3, v9
	s_mov_b32 s17, exec_lo
	v_cmpx_gt_u32_e32 8, v9
; %bb.1139:                             ;   in Loop: Header=BB237_998 Depth=1
	v_ffbh_u32_e32 v7, v5
	v_min_u32_e32 v7, 32, v7
	v_subrev_nc_u32_e32 v9, 28, v7
	v_sub_nc_u32_e32 v7, 29, v7
	v_lshlrev_b64 v[17:18], v9, v[5:6]
	v_and_b32_e32 v5, 7, v17
; %bb.1140:                             ;   in Loop: Header=BB237_998 Depth=1
	s_or_b32 exec_lo, exec_lo, s17
	v_lshlrev_b32_e32 v9, 24, v11
	v_lshlrev_b32_e32 v5, 20, v5
	v_lshl_add_u32 v7, v7, 23, 0x3c000000
	v_and_b32_e32 v9, 0x80000000, v9
	v_or3_b32 v5, v5, v9, v7
	v_mov_b32_e32 v18, v6
	v_mov_b32_e32 v17, v5
.LBB237_1141:                           ;   in Loop: Header=BB237_998 Depth=1
	s_or_b32 exec_lo, exec_lo, s16
.LBB237_1142:                           ;   in Loop: Header=BB237_998 Depth=1
	s_or_b32 exec_lo, exec_lo, s15
.LBB237_1143:                           ;   in Loop: Header=BB237_998 Depth=1
	s_or_b32 exec_lo, exec_lo, s13
	v_cmp_ne_u16_sdwa s4, v11, v6 src0_sel:BYTE_1 src1_sel:DWORD
	s_and_saveexec_b32 s13, s4
	s_cbranch_execz .LBB237_1151
; %bb.1144:                             ;   in Loop: Header=BB237_998 Depth=1
	v_mov_b32_e32 v7, v6
	v_mov_b32_e32 v20, v8
	v_cmp_ne_u16_sdwa s4, v11, v86 src0_sel:BYTE_1 src1_sel:DWORD
	v_mov_b32_e32 v19, v7
	s_and_saveexec_b32 s15, s4
	s_cbranch_execz .LBB237_1150
; %bb.1145:                             ;   in Loop: Header=BB237_998 Depth=1
	v_mov_b32_e32 v5, 0xffff
	v_mov_b32_e32 v9, v6
	;; [unrolled: 1-line block ×3, first 2 shown]
	s_mov_b32 s16, exec_lo
	v_and_b32_sdwa v5, v5, v11 dst_sel:DWORD dst_unused:UNUSED_PAD src0_sel:DWORD src1_sel:BYTE_1
	v_mov_b32_e32 v19, v9
	v_and_b32_e32 v12, 0x7f, v5
	v_cmpx_ne_u32_e32 0x7f, v12
	s_cbranch_execz .LBB237_1149
; %bb.1146:                             ;   in Loop: Header=BB237_998 Depth=1
	v_and_b32_e32 v5, 7, v5
	v_lshrrev_b32_e32 v7, 3, v12
	s_mov_b32 s17, exec_lo
	v_cmpx_gt_u32_e32 8, v12
; %bb.1147:                             ;   in Loop: Header=BB237_998 Depth=1
	v_ffbh_u32_e32 v7, v5
	v_min_u32_e32 v7, 32, v7
	v_subrev_nc_u32_e32 v9, 28, v7
	v_sub_nc_u32_e32 v7, 29, v7
	v_lshlrev_b64 v[19:20], v9, v[5:6]
	v_and_b32_e32 v5, 7, v19
; %bb.1148:                             ;   in Loop: Header=BB237_998 Depth=1
	s_or_b32 exec_lo, exec_lo, s17
	v_lshlrev_b32_e32 v9, 16, v11
	v_lshlrev_b32_e32 v5, 20, v5
	v_lshl_add_u32 v7, v7, 23, 0x3c000000
	v_mov_b32_e32 v19, v6
	v_and_b32_e32 v9, 0x80000000, v9
	v_or3_b32 v20, v5, v9, v7
.LBB237_1149:                           ;   in Loop: Header=BB237_998 Depth=1
	s_or_b32 exec_lo, exec_lo, s16
.LBB237_1150:                           ;   in Loop: Header=BB237_998 Depth=1
	s_or_b32 exec_lo, exec_lo, s15
.LBB237_1151:                           ;   in Loop: Header=BB237_998 Depth=1
	s_or_b32 exec_lo, exec_lo, s13
	v_mov_b32_e32 v23, 0
	v_mov_b32_e32 v21, 0
	v_and_b32_sdwa v5, v11, v96 dst_sel:DWORD dst_unused:UNUSED_PAD src0_sel:WORD_1 src1_sel:DWORD
	v_mov_b32_e32 v24, 0
	v_mov_b32_e32 v22, 0
	s_mov_b32 s13, exec_lo
	v_cmpx_ne_u16_e32 0, v5
	s_cbranch_execz .LBB237_1159
; %bb.1152:                             ;   in Loop: Header=BB237_998 Depth=1
	v_bfrev_b32_e32 v21, 1
	v_mov_b32_e32 v22, 0
	s_mov_b32 s15, exec_lo
	v_cmpx_ne_u16_e32 0x80, v5
	s_cbranch_execz .LBB237_1158
; %bb.1153:                             ;   in Loop: Header=BB237_998 Depth=1
	v_mov_b32_e32 v21, 0x7f800001
	v_bfe_u32 v9, v11, 16, 7
	v_mov_b32_e32 v22, 0
	s_mov_b32 s16, exec_lo
	v_cmpx_ne_u32_e32 0x7f, v9
	s_cbranch_execz .LBB237_1157
; %bb.1154:                             ;   in Loop: Header=BB237_998 Depth=1
	v_mov_b32_e32 v5, 7
	v_lshrrev_b32_e32 v7, 3, v9
	s_mov_b32 s17, exec_lo
	v_and_b32_sdwa v5, v11, v5 dst_sel:DWORD dst_unused:UNUSED_PAD src0_sel:WORD_1 src1_sel:DWORD
	v_cmpx_gt_u32_e32 8, v9
; %bb.1155:                             ;   in Loop: Header=BB237_998 Depth=1
	v_ffbh_u32_e32 v7, v5
	v_min_u32_e32 v7, 32, v7
	v_subrev_nc_u32_e32 v9, 28, v7
	v_sub_nc_u32_e32 v7, 29, v7
	v_lshlrev_b64 v[21:22], v9, v[5:6]
	v_and_b32_e32 v5, 7, v21
; %bb.1156:                             ;   in Loop: Header=BB237_998 Depth=1
	s_or_b32 exec_lo, exec_lo, s17
	v_mov_b32_e32 v9, 24
	v_lshlrev_b32_e32 v5, 20, v5
	v_lshl_add_u32 v7, v7, 23, 0x3c000000
	v_lshlrev_b32_sdwa v9, v9, v11 dst_sel:DWORD dst_unused:UNUSED_PAD src0_sel:DWORD src1_sel:WORD_1
	v_and_b32_e32 v9, 0x80000000, v9
	v_or3_b32 v5, v5, v9, v7
	v_mov_b32_e32 v22, v6
	v_mov_b32_e32 v21, v5
.LBB237_1157:                           ;   in Loop: Header=BB237_998 Depth=1
	s_or_b32 exec_lo, exec_lo, s16
.LBB237_1158:                           ;   in Loop: Header=BB237_998 Depth=1
	s_or_b32 exec_lo, exec_lo, s15
.LBB237_1159:                           ;   in Loop: Header=BB237_998 Depth=1
	s_or_b32 exec_lo, exec_lo, s13
	s_mov_b32 s13, exec_lo
	v_cmpx_lt_u32_e32 0xffffff, v11
	s_cbranch_execz .LBB237_1167
; %bb.1160:                             ;   in Loop: Header=BB237_998 Depth=1
	v_mov_b32_e32 v7, v6
	v_mov_b32_e32 v24, v8
	v_cmp_ne_u32_sdwa s4, v11, v86 src0_sel:BYTE_3 src1_sel:DWORD
	v_mov_b32_e32 v23, v7
	s_and_saveexec_b32 s15, s4
	s_cbranch_execz .LBB237_1166
; %bb.1161:                             ;   in Loop: Header=BB237_998 Depth=1
	v_mov_b32_e32 v9, v6
	v_mov_b32_e32 v24, v10
	v_bfe_u32 v12, v11, 24, 7
	s_mov_b32 s16, exec_lo
	v_mov_b32_e32 v23, v9
	v_cmpx_ne_u32_e32 0x7f, v12
	s_cbranch_execz .LBB237_1165
; %bb.1162:                             ;   in Loop: Header=BB237_998 Depth=1
	v_mov_b32_e32 v5, 7
	v_lshrrev_b32_e32 v7, 3, v12
	s_mov_b32 s17, exec_lo
	v_and_b32_sdwa v5, v11, v5 dst_sel:DWORD dst_unused:UNUSED_PAD src0_sel:BYTE_3 src1_sel:DWORD
	v_cmpx_gt_u32_e32 8, v12
; %bb.1163:                             ;   in Loop: Header=BB237_998 Depth=1
	v_ffbh_u32_e32 v7, v5
	v_min_u32_e32 v7, 32, v7
	v_subrev_nc_u32_e32 v9, 28, v7
	v_sub_nc_u32_e32 v7, 29, v7
	v_lshlrev_b64 v[23:24], v9, v[5:6]
	v_and_b32_e32 v5, 7, v23
; %bb.1164:                             ;   in Loop: Header=BB237_998 Depth=1
	s_or_b32 exec_lo, exec_lo, s17
	v_mov_b32_e32 v9, 24
	v_lshlrev_b32_e32 v5, 20, v5
	v_lshl_add_u32 v7, v7, 23, 0x3c000000
	v_mov_b32_e32 v23, v6
	v_lshlrev_b32_sdwa v9, v9, v11 dst_sel:DWORD dst_unused:UNUSED_PAD src0_sel:DWORD src1_sel:BYTE_3
	v_and_b32_e32 v9, 0x80000000, v9
	v_or3_b32 v24, v5, v9, v7
.LBB237_1165:                           ;   in Loop: Header=BB237_998 Depth=1
	s_or_b32 exec_lo, exec_lo, s16
.LBB237_1166:                           ;   in Loop: Header=BB237_998 Depth=1
	s_or_b32 exec_lo, exec_lo, s15
.LBB237_1167:                           ;   in Loop: Header=BB237_998 Depth=1
	s_or_b32 exec_lo, exec_lo, s13
	v_or_b32_e32 v5, v20, v18
	v_or_b32_e32 v7, v19, v17
	;; [unrolled: 1-line block ×4, first 2 shown]
	v_mul_f32_e32 v5, v103, v5
	buffer_store_dword v5, off, s[0:3], s32 offset:384 ; 4-byte Folded Spill
	v_mul_f32_e32 v5, v103, v7
	buffer_store_dword v5, off, s[0:3], s32 offset:376 ; 4-byte Folded Spill
	;; [unrolled: 2-line block ×4, first 2 shown]
	s_and_saveexec_b32 s13, vcc_lo
	s_cbranch_execz .LBB237_1169
; %bb.1168:                             ;   in Loop: Header=BB237_998 Depth=1
	buffer_load_dword v5, off, s[0:3], s32 offset:376 ; 4-byte Folded Reload
	v_cmp_lt_i32_e64 s4, v115, v54
	s_waitcnt vmcnt(0)
	v_cndmask_b32_e64 v5, 0, v5, s4
	v_cmp_lt_i32_e64 s4, v118, v54
	buffer_store_dword v5, off, s[0:3], s32 offset:376 ; 4-byte Folded Spill
	buffer_load_dword v5, off, s[0:3], s32 offset:384 ; 4-byte Folded Reload
	s_waitcnt vmcnt(0)
	v_cndmask_b32_e64 v5, 0, v5, s4
	v_cmp_lt_i32_e64 s4, v117, v54
	buffer_store_dword v5, off, s[0:3], s32 offset:384 ; 4-byte Folded Spill
	buffer_load_dword v5, off, s[0:3], s32 offset:368 ; 4-byte Folded Reload
	;; [unrolled: 5-line block ×3, first 2 shown]
	s_waitcnt vmcnt(0)
	v_cndmask_b32_e64 v5, 0, v5, s4
	buffer_store_dword v5, off, s[0:3], s32 offset:360 ; 4-byte Folded Spill
.LBB237_1169:                           ;   in Loop: Header=BB237_998 Depth=1
	s_or_b32 exec_lo, exec_lo, s13
	flat_load_dword v11, v[13:14] offset:640
	v_mov_b32_e32 v19, 0
	v_mov_b32_e32 v17, 0
	;; [unrolled: 1-line block ×4, first 2 shown]
	s_waitcnt vmcnt(0) lgkmcnt(0)
	v_cmp_ne_u16_sdwa s4, v11, v6 src0_sel:BYTE_0 src1_sel:DWORD
	s_and_saveexec_b32 s13, s4
	s_cbranch_execz .LBB237_1177
; %bb.1170:                             ;   in Loop: Header=BB237_998 Depth=1
	v_bfrev_b32_e32 v17, 1
	v_mov_b32_e32 v18, 0
	v_cmp_ne_u16_sdwa s4, v11, v86 src0_sel:BYTE_0 src1_sel:DWORD
	s_and_saveexec_b32 s15, s4
	s_cbranch_execz .LBB237_1176
; %bb.1171:                             ;   in Loop: Header=BB237_998 Depth=1
	v_mov_b32_e32 v17, 0x7f800001
	v_and_b32_e32 v9, 0x7f, v11
	v_mov_b32_e32 v18, 0
	s_mov_b32 s16, exec_lo
	v_cmpx_ne_u32_e32 0x7f, v9
	s_cbranch_execz .LBB237_1175
; %bb.1172:                             ;   in Loop: Header=BB237_998 Depth=1
	v_and_b32_e32 v5, 7, v11
	v_lshrrev_b32_e32 v7, 3, v9
	s_mov_b32 s17, exec_lo
	v_cmpx_gt_u32_e32 8, v9
; %bb.1173:                             ;   in Loop: Header=BB237_998 Depth=1
	v_ffbh_u32_e32 v7, v5
	v_min_u32_e32 v7, 32, v7
	v_subrev_nc_u32_e32 v9, 28, v7
	v_sub_nc_u32_e32 v7, 29, v7
	v_lshlrev_b64 v[17:18], v9, v[5:6]
	v_and_b32_e32 v5, 7, v17
; %bb.1174:                             ;   in Loop: Header=BB237_998 Depth=1
	s_or_b32 exec_lo, exec_lo, s17
	v_lshlrev_b32_e32 v9, 24, v11
	v_lshlrev_b32_e32 v5, 20, v5
	v_lshl_add_u32 v7, v7, 23, 0x3c000000
	v_and_b32_e32 v9, 0x80000000, v9
	v_or3_b32 v5, v5, v9, v7
	v_mov_b32_e32 v18, v6
	v_mov_b32_e32 v17, v5
.LBB237_1175:                           ;   in Loop: Header=BB237_998 Depth=1
	s_or_b32 exec_lo, exec_lo, s16
.LBB237_1176:                           ;   in Loop: Header=BB237_998 Depth=1
	s_or_b32 exec_lo, exec_lo, s15
.LBB237_1177:                           ;   in Loop: Header=BB237_998 Depth=1
	s_or_b32 exec_lo, exec_lo, s13
	v_cmp_ne_u16_sdwa s4, v11, v6 src0_sel:BYTE_1 src1_sel:DWORD
	s_and_saveexec_b32 s13, s4
	s_cbranch_execz .LBB237_1185
; %bb.1178:                             ;   in Loop: Header=BB237_998 Depth=1
	v_mov_b32_e32 v7, v6
	v_mov_b32_e32 v20, v8
	v_cmp_ne_u16_sdwa s4, v11, v86 src0_sel:BYTE_1 src1_sel:DWORD
	v_mov_b32_e32 v19, v7
	s_and_saveexec_b32 s15, s4
	s_cbranch_execz .LBB237_1184
; %bb.1179:                             ;   in Loop: Header=BB237_998 Depth=1
	v_mov_b32_e32 v5, 0xffff
	v_mov_b32_e32 v9, v6
	;; [unrolled: 1-line block ×3, first 2 shown]
	s_mov_b32 s16, exec_lo
	v_and_b32_sdwa v5, v5, v11 dst_sel:DWORD dst_unused:UNUSED_PAD src0_sel:DWORD src1_sel:BYTE_1
	v_mov_b32_e32 v19, v9
	v_and_b32_e32 v12, 0x7f, v5
	v_cmpx_ne_u32_e32 0x7f, v12
	s_cbranch_execz .LBB237_1183
; %bb.1180:                             ;   in Loop: Header=BB237_998 Depth=1
	v_and_b32_e32 v5, 7, v5
	v_lshrrev_b32_e32 v7, 3, v12
	s_mov_b32 s17, exec_lo
	v_cmpx_gt_u32_e32 8, v12
; %bb.1181:                             ;   in Loop: Header=BB237_998 Depth=1
	v_ffbh_u32_e32 v7, v5
	v_min_u32_e32 v7, 32, v7
	v_subrev_nc_u32_e32 v9, 28, v7
	v_sub_nc_u32_e32 v7, 29, v7
	v_lshlrev_b64 v[19:20], v9, v[5:6]
	v_and_b32_e32 v5, 7, v19
; %bb.1182:                             ;   in Loop: Header=BB237_998 Depth=1
	s_or_b32 exec_lo, exec_lo, s17
	v_lshlrev_b32_e32 v9, 16, v11
	v_lshlrev_b32_e32 v5, 20, v5
	v_lshl_add_u32 v7, v7, 23, 0x3c000000
	v_mov_b32_e32 v19, v6
	v_and_b32_e32 v9, 0x80000000, v9
	v_or3_b32 v20, v5, v9, v7
.LBB237_1183:                           ;   in Loop: Header=BB237_998 Depth=1
	s_or_b32 exec_lo, exec_lo, s16
.LBB237_1184:                           ;   in Loop: Header=BB237_998 Depth=1
	s_or_b32 exec_lo, exec_lo, s15
.LBB237_1185:                           ;   in Loop: Header=BB237_998 Depth=1
	s_or_b32 exec_lo, exec_lo, s13
	v_mov_b32_e32 v23, 0
	v_mov_b32_e32 v21, 0
	v_and_b32_sdwa v5, v11, v96 dst_sel:DWORD dst_unused:UNUSED_PAD src0_sel:WORD_1 src1_sel:DWORD
	v_mov_b32_e32 v24, 0
	v_mov_b32_e32 v22, 0
	s_mov_b32 s13, exec_lo
	v_cmpx_ne_u16_e32 0, v5
	s_cbranch_execz .LBB237_1193
; %bb.1186:                             ;   in Loop: Header=BB237_998 Depth=1
	v_bfrev_b32_e32 v21, 1
	v_mov_b32_e32 v22, 0
	s_mov_b32 s15, exec_lo
	v_cmpx_ne_u16_e32 0x80, v5
	s_cbranch_execz .LBB237_1192
; %bb.1187:                             ;   in Loop: Header=BB237_998 Depth=1
	v_mov_b32_e32 v21, 0x7f800001
	v_bfe_u32 v9, v11, 16, 7
	v_mov_b32_e32 v22, 0
	s_mov_b32 s16, exec_lo
	v_cmpx_ne_u32_e32 0x7f, v9
	s_cbranch_execz .LBB237_1191
; %bb.1188:                             ;   in Loop: Header=BB237_998 Depth=1
	v_mov_b32_e32 v5, 7
	v_lshrrev_b32_e32 v7, 3, v9
	s_mov_b32 s17, exec_lo
	v_and_b32_sdwa v5, v11, v5 dst_sel:DWORD dst_unused:UNUSED_PAD src0_sel:WORD_1 src1_sel:DWORD
	v_cmpx_gt_u32_e32 8, v9
; %bb.1189:                             ;   in Loop: Header=BB237_998 Depth=1
	v_ffbh_u32_e32 v7, v5
	v_min_u32_e32 v7, 32, v7
	v_subrev_nc_u32_e32 v9, 28, v7
	v_sub_nc_u32_e32 v7, 29, v7
	v_lshlrev_b64 v[21:22], v9, v[5:6]
	v_and_b32_e32 v5, 7, v21
; %bb.1190:                             ;   in Loop: Header=BB237_998 Depth=1
	s_or_b32 exec_lo, exec_lo, s17
	v_mov_b32_e32 v9, 24
	v_lshlrev_b32_e32 v5, 20, v5
	v_lshl_add_u32 v7, v7, 23, 0x3c000000
	v_lshlrev_b32_sdwa v9, v9, v11 dst_sel:DWORD dst_unused:UNUSED_PAD src0_sel:DWORD src1_sel:WORD_1
	v_and_b32_e32 v9, 0x80000000, v9
	v_or3_b32 v5, v5, v9, v7
	v_mov_b32_e32 v22, v6
	v_mov_b32_e32 v21, v5
.LBB237_1191:                           ;   in Loop: Header=BB237_998 Depth=1
	s_or_b32 exec_lo, exec_lo, s16
.LBB237_1192:                           ;   in Loop: Header=BB237_998 Depth=1
	s_or_b32 exec_lo, exec_lo, s15
.LBB237_1193:                           ;   in Loop: Header=BB237_998 Depth=1
	s_or_b32 exec_lo, exec_lo, s13
	s_mov_b32 s13, exec_lo
	v_cmpx_lt_u32_e32 0xffffff, v11
	s_cbranch_execz .LBB237_1201
; %bb.1194:                             ;   in Loop: Header=BB237_998 Depth=1
	v_mov_b32_e32 v7, v6
	v_mov_b32_e32 v24, v8
	v_cmp_ne_u32_sdwa s4, v11, v86 src0_sel:BYTE_3 src1_sel:DWORD
	v_mov_b32_e32 v23, v7
	s_and_saveexec_b32 s15, s4
	s_cbranch_execz .LBB237_1200
; %bb.1195:                             ;   in Loop: Header=BB237_998 Depth=1
	v_mov_b32_e32 v9, v6
	v_mov_b32_e32 v24, v10
	v_bfe_u32 v12, v11, 24, 7
	s_mov_b32 s16, exec_lo
	v_mov_b32_e32 v23, v9
	v_cmpx_ne_u32_e32 0x7f, v12
	s_cbranch_execz .LBB237_1199
; %bb.1196:                             ;   in Loop: Header=BB237_998 Depth=1
	v_mov_b32_e32 v5, 7
	v_lshrrev_b32_e32 v7, 3, v12
	s_mov_b32 s17, exec_lo
	v_and_b32_sdwa v5, v11, v5 dst_sel:DWORD dst_unused:UNUSED_PAD src0_sel:BYTE_3 src1_sel:DWORD
	v_cmpx_gt_u32_e32 8, v12
; %bb.1197:                             ;   in Loop: Header=BB237_998 Depth=1
	v_ffbh_u32_e32 v7, v5
	v_min_u32_e32 v7, 32, v7
	v_subrev_nc_u32_e32 v9, 28, v7
	v_sub_nc_u32_e32 v7, 29, v7
	v_lshlrev_b64 v[23:24], v9, v[5:6]
	v_and_b32_e32 v5, 7, v23
; %bb.1198:                             ;   in Loop: Header=BB237_998 Depth=1
	s_or_b32 exec_lo, exec_lo, s17
	v_mov_b32_e32 v9, 24
	v_lshlrev_b32_e32 v5, 20, v5
	v_lshl_add_u32 v7, v7, 23, 0x3c000000
	v_mov_b32_e32 v23, v6
	v_lshlrev_b32_sdwa v9, v9, v11 dst_sel:DWORD dst_unused:UNUSED_PAD src0_sel:DWORD src1_sel:BYTE_3
	v_and_b32_e32 v9, 0x80000000, v9
	v_or3_b32 v24, v5, v9, v7
.LBB237_1199:                           ;   in Loop: Header=BB237_998 Depth=1
	s_or_b32 exec_lo, exec_lo, s16
.LBB237_1200:                           ;   in Loop: Header=BB237_998 Depth=1
	s_or_b32 exec_lo, exec_lo, s15
.LBB237_1201:                           ;   in Loop: Header=BB237_998 Depth=1
	s_or_b32 exec_lo, exec_lo, s13
	v_or_b32_e32 v5, v20, v18
	v_or_b32_e32 v7, v19, v17
	;; [unrolled: 1-line block ×4, first 2 shown]
	v_mul_f32_e32 v5, v103, v5
	buffer_store_dword v5, off, s[0:3], s32 offset:416 ; 4-byte Folded Spill
	v_mul_f32_e32 v5, v103, v7
	buffer_store_dword v5, off, s[0:3], s32 offset:408 ; 4-byte Folded Spill
	v_mul_f32_e32 v5, v103, v9
	buffer_store_dword v5, off, s[0:3], s32 offset:400 ; 4-byte Folded Spill
	v_mul_f32_e32 v5, v103, v11
	buffer_store_dword v5, off, s[0:3], s32 offset:392 ; 4-byte Folded Spill
	s_and_saveexec_b32 s13, vcc_lo
	s_cbranch_execz .LBB237_1203
; %bb.1202:                             ;   in Loop: Header=BB237_998 Depth=1
	buffer_load_dword v5, off, s[0:3], s32 offset:408 ; 4-byte Folded Reload
	v_cmp_lt_i32_e64 s4, v115, v54
	s_waitcnt vmcnt(0)
	v_cndmask_b32_e64 v5, 0, v5, s4
	v_cmp_lt_i32_e64 s4, v118, v54
	buffer_store_dword v5, off, s[0:3], s32 offset:408 ; 4-byte Folded Spill
	buffer_load_dword v5, off, s[0:3], s32 offset:416 ; 4-byte Folded Reload
	s_waitcnt vmcnt(0)
	v_cndmask_b32_e64 v5, 0, v5, s4
	v_cmp_lt_i32_e64 s4, v117, v54
	buffer_store_dword v5, off, s[0:3], s32 offset:416 ; 4-byte Folded Spill
	buffer_load_dword v5, off, s[0:3], s32 offset:400 ; 4-byte Folded Reload
	s_waitcnt vmcnt(0)
	v_cndmask_b32_e64 v5, 0, v5, s4
	v_cmp_lt_i32_e64 s4, v116, v54
	buffer_store_dword v5, off, s[0:3], s32 offset:400 ; 4-byte Folded Spill
	buffer_load_dword v5, off, s[0:3], s32 offset:392 ; 4-byte Folded Reload
	s_waitcnt vmcnt(0)
	v_cndmask_b32_e64 v5, 0, v5, s4
	buffer_store_dword v5, off, s[0:3], s32 offset:392 ; 4-byte Folded Spill
.LBB237_1203:                           ;   in Loop: Header=BB237_998 Depth=1
	s_or_b32 exec_lo, exec_lo, s13
	flat_load_dword v11, v[13:14] offset:768
	v_mov_b32_e32 v19, 0
	v_mov_b32_e32 v17, 0
	;; [unrolled: 1-line block ×4, first 2 shown]
	s_waitcnt vmcnt(0) lgkmcnt(0)
	v_cmp_ne_u16_sdwa s4, v11, v6 src0_sel:BYTE_0 src1_sel:DWORD
	s_and_saveexec_b32 s13, s4
	s_cbranch_execz .LBB237_1211
; %bb.1204:                             ;   in Loop: Header=BB237_998 Depth=1
	v_bfrev_b32_e32 v17, 1
	v_mov_b32_e32 v18, 0
	v_cmp_ne_u16_sdwa s4, v11, v86 src0_sel:BYTE_0 src1_sel:DWORD
	s_and_saveexec_b32 s15, s4
	s_cbranch_execz .LBB237_1210
; %bb.1205:                             ;   in Loop: Header=BB237_998 Depth=1
	v_mov_b32_e32 v17, 0x7f800001
	v_and_b32_e32 v9, 0x7f, v11
	v_mov_b32_e32 v18, 0
	s_mov_b32 s16, exec_lo
	v_cmpx_ne_u32_e32 0x7f, v9
	s_cbranch_execz .LBB237_1209
; %bb.1206:                             ;   in Loop: Header=BB237_998 Depth=1
	v_and_b32_e32 v5, 7, v11
	v_lshrrev_b32_e32 v7, 3, v9
	s_mov_b32 s17, exec_lo
	v_cmpx_gt_u32_e32 8, v9
; %bb.1207:                             ;   in Loop: Header=BB237_998 Depth=1
	v_ffbh_u32_e32 v7, v5
	v_min_u32_e32 v7, 32, v7
	v_subrev_nc_u32_e32 v9, 28, v7
	v_sub_nc_u32_e32 v7, 29, v7
	v_lshlrev_b64 v[17:18], v9, v[5:6]
	v_and_b32_e32 v5, 7, v17
; %bb.1208:                             ;   in Loop: Header=BB237_998 Depth=1
	s_or_b32 exec_lo, exec_lo, s17
	v_lshlrev_b32_e32 v9, 24, v11
	v_lshlrev_b32_e32 v5, 20, v5
	v_lshl_add_u32 v7, v7, 23, 0x3c000000
	v_and_b32_e32 v9, 0x80000000, v9
	v_or3_b32 v5, v5, v9, v7
	v_mov_b32_e32 v18, v6
	v_mov_b32_e32 v17, v5
.LBB237_1209:                           ;   in Loop: Header=BB237_998 Depth=1
	s_or_b32 exec_lo, exec_lo, s16
.LBB237_1210:                           ;   in Loop: Header=BB237_998 Depth=1
	s_or_b32 exec_lo, exec_lo, s15
.LBB237_1211:                           ;   in Loop: Header=BB237_998 Depth=1
	s_or_b32 exec_lo, exec_lo, s13
	v_cmp_ne_u16_sdwa s4, v11, v6 src0_sel:BYTE_1 src1_sel:DWORD
	s_and_saveexec_b32 s13, s4
	s_cbranch_execz .LBB237_1219
; %bb.1212:                             ;   in Loop: Header=BB237_998 Depth=1
	v_mov_b32_e32 v7, v6
	v_mov_b32_e32 v20, v8
	v_cmp_ne_u16_sdwa s4, v11, v86 src0_sel:BYTE_1 src1_sel:DWORD
	v_mov_b32_e32 v19, v7
	s_and_saveexec_b32 s15, s4
	s_cbranch_execz .LBB237_1218
; %bb.1213:                             ;   in Loop: Header=BB237_998 Depth=1
	v_mov_b32_e32 v5, 0xffff
	v_mov_b32_e32 v9, v6
	;; [unrolled: 1-line block ×3, first 2 shown]
	s_mov_b32 s16, exec_lo
	v_and_b32_sdwa v5, v5, v11 dst_sel:DWORD dst_unused:UNUSED_PAD src0_sel:DWORD src1_sel:BYTE_1
	v_mov_b32_e32 v19, v9
	v_and_b32_e32 v12, 0x7f, v5
	v_cmpx_ne_u32_e32 0x7f, v12
	s_cbranch_execz .LBB237_1217
; %bb.1214:                             ;   in Loop: Header=BB237_998 Depth=1
	v_and_b32_e32 v5, 7, v5
	v_lshrrev_b32_e32 v7, 3, v12
	s_mov_b32 s17, exec_lo
	v_cmpx_gt_u32_e32 8, v12
; %bb.1215:                             ;   in Loop: Header=BB237_998 Depth=1
	v_ffbh_u32_e32 v7, v5
	v_min_u32_e32 v7, 32, v7
	v_subrev_nc_u32_e32 v9, 28, v7
	v_sub_nc_u32_e32 v7, 29, v7
	v_lshlrev_b64 v[19:20], v9, v[5:6]
	v_and_b32_e32 v5, 7, v19
; %bb.1216:                             ;   in Loop: Header=BB237_998 Depth=1
	s_or_b32 exec_lo, exec_lo, s17
	v_lshlrev_b32_e32 v9, 16, v11
	v_lshlrev_b32_e32 v5, 20, v5
	v_lshl_add_u32 v7, v7, 23, 0x3c000000
	v_mov_b32_e32 v19, v6
	v_and_b32_e32 v9, 0x80000000, v9
	v_or3_b32 v20, v5, v9, v7
.LBB237_1217:                           ;   in Loop: Header=BB237_998 Depth=1
	s_or_b32 exec_lo, exec_lo, s16
.LBB237_1218:                           ;   in Loop: Header=BB237_998 Depth=1
	s_or_b32 exec_lo, exec_lo, s15
.LBB237_1219:                           ;   in Loop: Header=BB237_998 Depth=1
	s_or_b32 exec_lo, exec_lo, s13
	v_mov_b32_e32 v23, 0
	v_mov_b32_e32 v21, 0
	v_and_b32_sdwa v5, v11, v96 dst_sel:DWORD dst_unused:UNUSED_PAD src0_sel:WORD_1 src1_sel:DWORD
	v_mov_b32_e32 v24, 0
	v_mov_b32_e32 v22, 0
	s_mov_b32 s13, exec_lo
	v_cmpx_ne_u16_e32 0, v5
	s_cbranch_execz .LBB237_1227
; %bb.1220:                             ;   in Loop: Header=BB237_998 Depth=1
	v_bfrev_b32_e32 v21, 1
	v_mov_b32_e32 v22, 0
	s_mov_b32 s15, exec_lo
	v_cmpx_ne_u16_e32 0x80, v5
	s_cbranch_execz .LBB237_1226
; %bb.1221:                             ;   in Loop: Header=BB237_998 Depth=1
	v_mov_b32_e32 v21, 0x7f800001
	v_bfe_u32 v9, v11, 16, 7
	v_mov_b32_e32 v22, 0
	s_mov_b32 s16, exec_lo
	v_cmpx_ne_u32_e32 0x7f, v9
	s_cbranch_execz .LBB237_1225
; %bb.1222:                             ;   in Loop: Header=BB237_998 Depth=1
	v_mov_b32_e32 v5, 7
	v_lshrrev_b32_e32 v7, 3, v9
	s_mov_b32 s17, exec_lo
	v_and_b32_sdwa v5, v11, v5 dst_sel:DWORD dst_unused:UNUSED_PAD src0_sel:WORD_1 src1_sel:DWORD
	v_cmpx_gt_u32_e32 8, v9
; %bb.1223:                             ;   in Loop: Header=BB237_998 Depth=1
	v_ffbh_u32_e32 v7, v5
	v_min_u32_e32 v7, 32, v7
	v_subrev_nc_u32_e32 v9, 28, v7
	v_sub_nc_u32_e32 v7, 29, v7
	v_lshlrev_b64 v[21:22], v9, v[5:6]
	v_and_b32_e32 v5, 7, v21
; %bb.1224:                             ;   in Loop: Header=BB237_998 Depth=1
	s_or_b32 exec_lo, exec_lo, s17
	v_mov_b32_e32 v9, 24
	v_lshlrev_b32_e32 v5, 20, v5
	v_lshl_add_u32 v7, v7, 23, 0x3c000000
	v_lshlrev_b32_sdwa v9, v9, v11 dst_sel:DWORD dst_unused:UNUSED_PAD src0_sel:DWORD src1_sel:WORD_1
	v_and_b32_e32 v9, 0x80000000, v9
	v_or3_b32 v5, v5, v9, v7
	v_mov_b32_e32 v22, v6
	v_mov_b32_e32 v21, v5
.LBB237_1225:                           ;   in Loop: Header=BB237_998 Depth=1
	s_or_b32 exec_lo, exec_lo, s16
.LBB237_1226:                           ;   in Loop: Header=BB237_998 Depth=1
	s_or_b32 exec_lo, exec_lo, s15
.LBB237_1227:                           ;   in Loop: Header=BB237_998 Depth=1
	s_or_b32 exec_lo, exec_lo, s13
	s_mov_b32 s13, exec_lo
	v_cmpx_lt_u32_e32 0xffffff, v11
	s_cbranch_execz .LBB237_1235
; %bb.1228:                             ;   in Loop: Header=BB237_998 Depth=1
	v_mov_b32_e32 v7, v6
	v_mov_b32_e32 v24, v8
	v_cmp_ne_u32_sdwa s4, v11, v86 src0_sel:BYTE_3 src1_sel:DWORD
	v_mov_b32_e32 v23, v7
	s_and_saveexec_b32 s15, s4
	s_cbranch_execz .LBB237_1234
; %bb.1229:                             ;   in Loop: Header=BB237_998 Depth=1
	v_mov_b32_e32 v9, v6
	v_mov_b32_e32 v24, v10
	v_bfe_u32 v12, v11, 24, 7
	s_mov_b32 s16, exec_lo
	v_mov_b32_e32 v23, v9
	v_cmpx_ne_u32_e32 0x7f, v12
	s_cbranch_execz .LBB237_1233
; %bb.1230:                             ;   in Loop: Header=BB237_998 Depth=1
	v_mov_b32_e32 v5, 7
	v_lshrrev_b32_e32 v7, 3, v12
	s_mov_b32 s17, exec_lo
	v_and_b32_sdwa v5, v11, v5 dst_sel:DWORD dst_unused:UNUSED_PAD src0_sel:BYTE_3 src1_sel:DWORD
	v_cmpx_gt_u32_e32 8, v12
; %bb.1231:                             ;   in Loop: Header=BB237_998 Depth=1
	v_ffbh_u32_e32 v7, v5
	v_min_u32_e32 v7, 32, v7
	v_subrev_nc_u32_e32 v9, 28, v7
	v_sub_nc_u32_e32 v7, 29, v7
	v_lshlrev_b64 v[23:24], v9, v[5:6]
	v_and_b32_e32 v5, 7, v23
; %bb.1232:                             ;   in Loop: Header=BB237_998 Depth=1
	s_or_b32 exec_lo, exec_lo, s17
	v_mov_b32_e32 v9, 24
	v_lshlrev_b32_e32 v5, 20, v5
	v_lshl_add_u32 v7, v7, 23, 0x3c000000
	v_mov_b32_e32 v23, v6
	v_lshlrev_b32_sdwa v9, v9, v11 dst_sel:DWORD dst_unused:UNUSED_PAD src0_sel:DWORD src1_sel:BYTE_3
	v_and_b32_e32 v9, 0x80000000, v9
	v_or3_b32 v24, v5, v9, v7
.LBB237_1233:                           ;   in Loop: Header=BB237_998 Depth=1
	s_or_b32 exec_lo, exec_lo, s16
.LBB237_1234:                           ;   in Loop: Header=BB237_998 Depth=1
	s_or_b32 exec_lo, exec_lo, s15
.LBB237_1235:                           ;   in Loop: Header=BB237_998 Depth=1
	s_or_b32 exec_lo, exec_lo, s13
	v_or_b32_e32 v5, v20, v18
	v_or_b32_e32 v7, v19, v17
	;; [unrolled: 1-line block ×4, first 2 shown]
	v_mul_f32_e32 v77, v103, v5
	v_mul_f32_e32 v76, v103, v7
	v_mul_f32_e32 v16, v103, v9
	v_mul_f32_e32 v15, v103, v11
	s_and_saveexec_b32 s13, vcc_lo
	s_cbranch_execz .LBB237_1237
; %bb.1236:                             ;   in Loop: Header=BB237_998 Depth=1
	v_cmp_lt_i32_e64 s4, v115, v54
	v_cndmask_b32_e64 v76, 0, v76, s4
	v_cmp_lt_i32_e64 s4, v118, v54
	v_cndmask_b32_e64 v77, 0, v77, s4
	v_cmp_lt_i32_e64 s4, v117, v54
	v_cndmask_b32_e64 v16, 0, v16, s4
	v_cmp_lt_i32_e64 s4, v116, v54
	v_cndmask_b32_e64 v15, 0, v15, s4
.LBB237_1237:                           ;   in Loop: Header=BB237_998 Depth=1
	s_or_b32 exec_lo, exec_lo, s13
	flat_load_dword v11, v[13:14] offset:896
	v_mov_b32_e32 v19, 0
	v_mov_b32_e32 v17, 0
	;; [unrolled: 1-line block ×4, first 2 shown]
	s_waitcnt vmcnt(0) lgkmcnt(0)
	v_cmp_ne_u16_sdwa s4, v11, v6 src0_sel:BYTE_0 src1_sel:DWORD
	s_and_saveexec_b32 s13, s4
	s_cbranch_execz .LBB237_1245
; %bb.1238:                             ;   in Loop: Header=BB237_998 Depth=1
	v_bfrev_b32_e32 v17, 1
	v_mov_b32_e32 v18, 0
	v_cmp_ne_u16_sdwa s4, v11, v86 src0_sel:BYTE_0 src1_sel:DWORD
	s_and_saveexec_b32 s15, s4
	s_cbranch_execz .LBB237_1244
; %bb.1239:                             ;   in Loop: Header=BB237_998 Depth=1
	v_mov_b32_e32 v17, 0x7f800001
	v_and_b32_e32 v9, 0x7f, v11
	v_mov_b32_e32 v18, 0
	s_mov_b32 s16, exec_lo
	v_cmpx_ne_u32_e32 0x7f, v9
	s_cbranch_execz .LBB237_1243
; %bb.1240:                             ;   in Loop: Header=BB237_998 Depth=1
	v_and_b32_e32 v5, 7, v11
	v_lshrrev_b32_e32 v7, 3, v9
	s_mov_b32 s17, exec_lo
	v_cmpx_gt_u32_e32 8, v9
; %bb.1241:                             ;   in Loop: Header=BB237_998 Depth=1
	v_ffbh_u32_e32 v7, v5
	v_min_u32_e32 v7, 32, v7
	v_subrev_nc_u32_e32 v9, 28, v7
	v_sub_nc_u32_e32 v7, 29, v7
	v_lshlrev_b64 v[17:18], v9, v[5:6]
	v_and_b32_e32 v5, 7, v17
; %bb.1242:                             ;   in Loop: Header=BB237_998 Depth=1
	s_or_b32 exec_lo, exec_lo, s17
	v_lshlrev_b32_e32 v9, 24, v11
	v_lshlrev_b32_e32 v5, 20, v5
	v_lshl_add_u32 v7, v7, 23, 0x3c000000
	v_and_b32_e32 v9, 0x80000000, v9
	v_or3_b32 v5, v5, v9, v7
	v_mov_b32_e32 v18, v6
	v_mov_b32_e32 v17, v5
.LBB237_1243:                           ;   in Loop: Header=BB237_998 Depth=1
	s_or_b32 exec_lo, exec_lo, s16
.LBB237_1244:                           ;   in Loop: Header=BB237_998 Depth=1
	s_or_b32 exec_lo, exec_lo, s15
.LBB237_1245:                           ;   in Loop: Header=BB237_998 Depth=1
	s_or_b32 exec_lo, exec_lo, s13
	v_cmp_ne_u16_sdwa s4, v11, v6 src0_sel:BYTE_1 src1_sel:DWORD
	s_and_saveexec_b32 s13, s4
	s_cbranch_execz .LBB237_1253
; %bb.1246:                             ;   in Loop: Header=BB237_998 Depth=1
	v_mov_b32_e32 v7, v6
	v_mov_b32_e32 v20, v8
	v_cmp_ne_u16_sdwa s4, v11, v86 src0_sel:BYTE_1 src1_sel:DWORD
	v_mov_b32_e32 v19, v7
	s_and_saveexec_b32 s15, s4
	s_cbranch_execz .LBB237_1252
; %bb.1247:                             ;   in Loop: Header=BB237_998 Depth=1
	v_mov_b32_e32 v5, 0xffff
	v_mov_b32_e32 v9, v6
	;; [unrolled: 1-line block ×3, first 2 shown]
	s_mov_b32 s16, exec_lo
	v_and_b32_sdwa v5, v5, v11 dst_sel:DWORD dst_unused:UNUSED_PAD src0_sel:DWORD src1_sel:BYTE_1
	v_mov_b32_e32 v19, v9
	v_and_b32_e32 v12, 0x7f, v5
	v_cmpx_ne_u32_e32 0x7f, v12
	s_cbranch_execz .LBB237_1251
; %bb.1248:                             ;   in Loop: Header=BB237_998 Depth=1
	v_and_b32_e32 v5, 7, v5
	v_lshrrev_b32_e32 v7, 3, v12
	s_mov_b32 s17, exec_lo
	v_cmpx_gt_u32_e32 8, v12
; %bb.1249:                             ;   in Loop: Header=BB237_998 Depth=1
	v_ffbh_u32_e32 v7, v5
	v_min_u32_e32 v7, 32, v7
	v_subrev_nc_u32_e32 v9, 28, v7
	v_sub_nc_u32_e32 v7, 29, v7
	v_lshlrev_b64 v[19:20], v9, v[5:6]
	v_and_b32_e32 v5, 7, v19
; %bb.1250:                             ;   in Loop: Header=BB237_998 Depth=1
	s_or_b32 exec_lo, exec_lo, s17
	v_lshlrev_b32_e32 v9, 16, v11
	v_lshlrev_b32_e32 v5, 20, v5
	v_lshl_add_u32 v7, v7, 23, 0x3c000000
	v_mov_b32_e32 v19, v6
	v_and_b32_e32 v9, 0x80000000, v9
	v_or3_b32 v20, v5, v9, v7
.LBB237_1251:                           ;   in Loop: Header=BB237_998 Depth=1
	s_or_b32 exec_lo, exec_lo, s16
.LBB237_1252:                           ;   in Loop: Header=BB237_998 Depth=1
	s_or_b32 exec_lo, exec_lo, s15
.LBB237_1253:                           ;   in Loop: Header=BB237_998 Depth=1
	s_or_b32 exec_lo, exec_lo, s13
	v_mov_b32_e32 v23, 0
	v_mov_b32_e32 v21, 0
	v_and_b32_sdwa v5, v11, v96 dst_sel:DWORD dst_unused:UNUSED_PAD src0_sel:WORD_1 src1_sel:DWORD
	v_mov_b32_e32 v24, 0
	v_mov_b32_e32 v22, 0
	s_mov_b32 s13, exec_lo
	v_cmpx_ne_u16_e32 0, v5
	s_cbranch_execz .LBB237_1261
; %bb.1254:                             ;   in Loop: Header=BB237_998 Depth=1
	v_bfrev_b32_e32 v21, 1
	v_mov_b32_e32 v22, 0
	s_mov_b32 s15, exec_lo
	v_cmpx_ne_u16_e32 0x80, v5
	s_cbranch_execz .LBB237_1260
; %bb.1255:                             ;   in Loop: Header=BB237_998 Depth=1
	v_mov_b32_e32 v21, 0x7f800001
	v_bfe_u32 v9, v11, 16, 7
	v_mov_b32_e32 v22, 0
	s_mov_b32 s16, exec_lo
	v_cmpx_ne_u32_e32 0x7f, v9
	s_cbranch_execz .LBB237_1259
; %bb.1256:                             ;   in Loop: Header=BB237_998 Depth=1
	v_mov_b32_e32 v5, 7
	v_lshrrev_b32_e32 v7, 3, v9
	s_mov_b32 s17, exec_lo
	v_and_b32_sdwa v5, v11, v5 dst_sel:DWORD dst_unused:UNUSED_PAD src0_sel:WORD_1 src1_sel:DWORD
	v_cmpx_gt_u32_e32 8, v9
; %bb.1257:                             ;   in Loop: Header=BB237_998 Depth=1
	v_ffbh_u32_e32 v7, v5
	v_min_u32_e32 v7, 32, v7
	v_subrev_nc_u32_e32 v9, 28, v7
	v_sub_nc_u32_e32 v7, 29, v7
	v_lshlrev_b64 v[21:22], v9, v[5:6]
	v_and_b32_e32 v5, 7, v21
; %bb.1258:                             ;   in Loop: Header=BB237_998 Depth=1
	s_or_b32 exec_lo, exec_lo, s17
	v_mov_b32_e32 v9, 24
	v_lshlrev_b32_e32 v5, 20, v5
	v_lshl_add_u32 v7, v7, 23, 0x3c000000
	v_lshlrev_b32_sdwa v9, v9, v11 dst_sel:DWORD dst_unused:UNUSED_PAD src0_sel:DWORD src1_sel:WORD_1
	v_and_b32_e32 v9, 0x80000000, v9
	v_or3_b32 v5, v5, v9, v7
	v_mov_b32_e32 v22, v6
	v_mov_b32_e32 v21, v5
.LBB237_1259:                           ;   in Loop: Header=BB237_998 Depth=1
	s_or_b32 exec_lo, exec_lo, s16
.LBB237_1260:                           ;   in Loop: Header=BB237_998 Depth=1
	s_or_b32 exec_lo, exec_lo, s15
.LBB237_1261:                           ;   in Loop: Header=BB237_998 Depth=1
	s_or_b32 exec_lo, exec_lo, s13
	s_mov_b32 s13, exec_lo
	v_cmpx_lt_u32_e32 0xffffff, v11
	s_cbranch_execz .LBB237_1269
; %bb.1262:                             ;   in Loop: Header=BB237_998 Depth=1
	v_mov_b32_e32 v7, v6
	v_mov_b32_e32 v24, v8
	v_cmp_ne_u32_sdwa s4, v11, v86 src0_sel:BYTE_3 src1_sel:DWORD
	v_mov_b32_e32 v23, v7
	s_and_saveexec_b32 s15, s4
	s_cbranch_execz .LBB237_1268
; %bb.1263:                             ;   in Loop: Header=BB237_998 Depth=1
	v_mov_b32_e32 v9, v6
	v_mov_b32_e32 v24, v10
	v_bfe_u32 v12, v11, 24, 7
	s_mov_b32 s16, exec_lo
	v_mov_b32_e32 v23, v9
	v_cmpx_ne_u32_e32 0x7f, v12
	s_cbranch_execz .LBB237_1267
; %bb.1264:                             ;   in Loop: Header=BB237_998 Depth=1
	v_mov_b32_e32 v5, 7
	v_lshrrev_b32_e32 v7, 3, v12
	s_mov_b32 s17, exec_lo
	v_and_b32_sdwa v5, v11, v5 dst_sel:DWORD dst_unused:UNUSED_PAD src0_sel:BYTE_3 src1_sel:DWORD
	v_cmpx_gt_u32_e32 8, v12
; %bb.1265:                             ;   in Loop: Header=BB237_998 Depth=1
	v_ffbh_u32_e32 v7, v5
	v_min_u32_e32 v7, 32, v7
	v_subrev_nc_u32_e32 v9, 28, v7
	v_sub_nc_u32_e32 v7, 29, v7
	v_lshlrev_b64 v[23:24], v9, v[5:6]
	v_and_b32_e32 v5, 7, v23
; %bb.1266:                             ;   in Loop: Header=BB237_998 Depth=1
	s_or_b32 exec_lo, exec_lo, s17
	v_mov_b32_e32 v9, 24
	v_lshlrev_b32_e32 v5, 20, v5
	v_lshl_add_u32 v7, v7, 23, 0x3c000000
	v_mov_b32_e32 v23, v6
	v_lshlrev_b32_sdwa v9, v9, v11 dst_sel:DWORD dst_unused:UNUSED_PAD src0_sel:DWORD src1_sel:BYTE_3
	v_and_b32_e32 v9, 0x80000000, v9
	v_or3_b32 v24, v5, v9, v7
.LBB237_1267:                           ;   in Loop: Header=BB237_998 Depth=1
	s_or_b32 exec_lo, exec_lo, s16
.LBB237_1268:                           ;   in Loop: Header=BB237_998 Depth=1
	s_or_b32 exec_lo, exec_lo, s15
.LBB237_1269:                           ;   in Loop: Header=BB237_998 Depth=1
	s_or_b32 exec_lo, exec_lo, s13
	v_or_b32_e32 v5, v20, v18
	v_or_b32_e32 v7, v19, v17
	;; [unrolled: 1-line block ×4, first 2 shown]
	v_mul_f32_e32 v89, v103, v5
	v_mul_f32_e32 v88, v103, v7
	;; [unrolled: 1-line block ×4, first 2 shown]
	s_and_saveexec_b32 s13, vcc_lo
	s_cbranch_execz .LBB237_1271
; %bb.1270:                             ;   in Loop: Header=BB237_998 Depth=1
	v_cmp_lt_i32_e64 s4, v115, v54
	v_cndmask_b32_e64 v88, 0, v88, s4
	v_cmp_lt_i32_e64 s4, v118, v54
	v_cndmask_b32_e64 v89, 0, v89, s4
	;; [unrolled: 2-line block ×4, first 2 shown]
.LBB237_1271:                           ;   in Loop: Header=BB237_998 Depth=1
	s_or_b32 exec_lo, exec_lo, s13
	flat_load_dword v11, v[13:14] offset:1024
	v_mov_b32_e32 v19, 0
	v_mov_b32_e32 v17, 0
	;; [unrolled: 1-line block ×4, first 2 shown]
	s_waitcnt vmcnt(0) lgkmcnt(0)
	v_cmp_ne_u16_sdwa s4, v11, v6 src0_sel:BYTE_0 src1_sel:DWORD
	s_and_saveexec_b32 s13, s4
	s_cbranch_execz .LBB237_1279
; %bb.1272:                             ;   in Loop: Header=BB237_998 Depth=1
	v_bfrev_b32_e32 v17, 1
	v_mov_b32_e32 v18, 0
	v_cmp_ne_u16_sdwa s4, v11, v86 src0_sel:BYTE_0 src1_sel:DWORD
	s_and_saveexec_b32 s15, s4
	s_cbranch_execz .LBB237_1278
; %bb.1273:                             ;   in Loop: Header=BB237_998 Depth=1
	v_mov_b32_e32 v17, 0x7f800001
	v_and_b32_e32 v9, 0x7f, v11
	v_mov_b32_e32 v18, 0
	s_mov_b32 s16, exec_lo
	v_cmpx_ne_u32_e32 0x7f, v9
	s_cbranch_execz .LBB237_1277
; %bb.1274:                             ;   in Loop: Header=BB237_998 Depth=1
	v_and_b32_e32 v5, 7, v11
	v_lshrrev_b32_e32 v7, 3, v9
	s_mov_b32 s17, exec_lo
	v_cmpx_gt_u32_e32 8, v9
; %bb.1275:                             ;   in Loop: Header=BB237_998 Depth=1
	v_ffbh_u32_e32 v7, v5
	v_min_u32_e32 v7, 32, v7
	v_subrev_nc_u32_e32 v9, 28, v7
	v_sub_nc_u32_e32 v7, 29, v7
	v_lshlrev_b64 v[17:18], v9, v[5:6]
	v_and_b32_e32 v5, 7, v17
; %bb.1276:                             ;   in Loop: Header=BB237_998 Depth=1
	s_or_b32 exec_lo, exec_lo, s17
	v_lshlrev_b32_e32 v9, 24, v11
	v_lshlrev_b32_e32 v5, 20, v5
	v_lshl_add_u32 v7, v7, 23, 0x3c000000
	v_and_b32_e32 v9, 0x80000000, v9
	v_or3_b32 v5, v5, v9, v7
	v_mov_b32_e32 v18, v6
	v_mov_b32_e32 v17, v5
.LBB237_1277:                           ;   in Loop: Header=BB237_998 Depth=1
	s_or_b32 exec_lo, exec_lo, s16
.LBB237_1278:                           ;   in Loop: Header=BB237_998 Depth=1
	s_or_b32 exec_lo, exec_lo, s15
.LBB237_1279:                           ;   in Loop: Header=BB237_998 Depth=1
	s_or_b32 exec_lo, exec_lo, s13
	v_cmp_ne_u16_sdwa s4, v11, v6 src0_sel:BYTE_1 src1_sel:DWORD
	s_and_saveexec_b32 s13, s4
	s_cbranch_execz .LBB237_1287
; %bb.1280:                             ;   in Loop: Header=BB237_998 Depth=1
	v_mov_b32_e32 v7, v6
	v_mov_b32_e32 v20, v8
	v_cmp_ne_u16_sdwa s4, v11, v86 src0_sel:BYTE_1 src1_sel:DWORD
	v_mov_b32_e32 v19, v7
	s_and_saveexec_b32 s15, s4
	s_cbranch_execz .LBB237_1286
; %bb.1281:                             ;   in Loop: Header=BB237_998 Depth=1
	v_mov_b32_e32 v5, 0xffff
	v_mov_b32_e32 v9, v6
	;; [unrolled: 1-line block ×3, first 2 shown]
	s_mov_b32 s16, exec_lo
	v_and_b32_sdwa v5, v5, v11 dst_sel:DWORD dst_unused:UNUSED_PAD src0_sel:DWORD src1_sel:BYTE_1
	v_mov_b32_e32 v19, v9
	v_and_b32_e32 v12, 0x7f, v5
	v_cmpx_ne_u32_e32 0x7f, v12
	s_cbranch_execz .LBB237_1285
; %bb.1282:                             ;   in Loop: Header=BB237_998 Depth=1
	v_and_b32_e32 v5, 7, v5
	v_lshrrev_b32_e32 v7, 3, v12
	s_mov_b32 s17, exec_lo
	v_cmpx_gt_u32_e32 8, v12
; %bb.1283:                             ;   in Loop: Header=BB237_998 Depth=1
	v_ffbh_u32_e32 v7, v5
	v_min_u32_e32 v7, 32, v7
	v_subrev_nc_u32_e32 v9, 28, v7
	v_sub_nc_u32_e32 v7, 29, v7
	v_lshlrev_b64 v[19:20], v9, v[5:6]
	v_and_b32_e32 v5, 7, v19
; %bb.1284:                             ;   in Loop: Header=BB237_998 Depth=1
	s_or_b32 exec_lo, exec_lo, s17
	v_lshlrev_b32_e32 v9, 16, v11
	v_lshlrev_b32_e32 v5, 20, v5
	v_lshl_add_u32 v7, v7, 23, 0x3c000000
	v_mov_b32_e32 v19, v6
	v_and_b32_e32 v9, 0x80000000, v9
	v_or3_b32 v20, v5, v9, v7
.LBB237_1285:                           ;   in Loop: Header=BB237_998 Depth=1
	s_or_b32 exec_lo, exec_lo, s16
.LBB237_1286:                           ;   in Loop: Header=BB237_998 Depth=1
	s_or_b32 exec_lo, exec_lo, s15
.LBB237_1287:                           ;   in Loop: Header=BB237_998 Depth=1
	s_or_b32 exec_lo, exec_lo, s13
	v_mov_b32_e32 v23, 0
	v_mov_b32_e32 v21, 0
	v_and_b32_sdwa v5, v11, v96 dst_sel:DWORD dst_unused:UNUSED_PAD src0_sel:WORD_1 src1_sel:DWORD
	v_mov_b32_e32 v24, 0
	v_mov_b32_e32 v22, 0
	s_mov_b32 s13, exec_lo
	v_cmpx_ne_u16_e32 0, v5
	s_cbranch_execz .LBB237_1295
; %bb.1288:                             ;   in Loop: Header=BB237_998 Depth=1
	v_bfrev_b32_e32 v21, 1
	v_mov_b32_e32 v22, 0
	s_mov_b32 s15, exec_lo
	v_cmpx_ne_u16_e32 0x80, v5
	s_cbranch_execz .LBB237_1294
; %bb.1289:                             ;   in Loop: Header=BB237_998 Depth=1
	v_mov_b32_e32 v21, 0x7f800001
	v_bfe_u32 v9, v11, 16, 7
	v_mov_b32_e32 v22, 0
	s_mov_b32 s16, exec_lo
	v_cmpx_ne_u32_e32 0x7f, v9
	s_cbranch_execz .LBB237_1293
; %bb.1290:                             ;   in Loop: Header=BB237_998 Depth=1
	v_mov_b32_e32 v5, 7
	v_lshrrev_b32_e32 v7, 3, v9
	s_mov_b32 s17, exec_lo
	v_and_b32_sdwa v5, v11, v5 dst_sel:DWORD dst_unused:UNUSED_PAD src0_sel:WORD_1 src1_sel:DWORD
	v_cmpx_gt_u32_e32 8, v9
; %bb.1291:                             ;   in Loop: Header=BB237_998 Depth=1
	v_ffbh_u32_e32 v7, v5
	v_min_u32_e32 v7, 32, v7
	v_subrev_nc_u32_e32 v9, 28, v7
	v_sub_nc_u32_e32 v7, 29, v7
	v_lshlrev_b64 v[21:22], v9, v[5:6]
	v_and_b32_e32 v5, 7, v21
; %bb.1292:                             ;   in Loop: Header=BB237_998 Depth=1
	s_or_b32 exec_lo, exec_lo, s17
	v_mov_b32_e32 v9, 24
	v_lshlrev_b32_e32 v5, 20, v5
	v_lshl_add_u32 v7, v7, 23, 0x3c000000
	v_lshlrev_b32_sdwa v9, v9, v11 dst_sel:DWORD dst_unused:UNUSED_PAD src0_sel:DWORD src1_sel:WORD_1
	v_and_b32_e32 v9, 0x80000000, v9
	v_or3_b32 v5, v5, v9, v7
	v_mov_b32_e32 v22, v6
	v_mov_b32_e32 v21, v5
.LBB237_1293:                           ;   in Loop: Header=BB237_998 Depth=1
	s_or_b32 exec_lo, exec_lo, s16
.LBB237_1294:                           ;   in Loop: Header=BB237_998 Depth=1
	s_or_b32 exec_lo, exec_lo, s15
.LBB237_1295:                           ;   in Loop: Header=BB237_998 Depth=1
	s_or_b32 exec_lo, exec_lo, s13
	s_mov_b32 s13, exec_lo
	v_cmpx_lt_u32_e32 0xffffff, v11
	s_cbranch_execz .LBB237_1303
; %bb.1296:                             ;   in Loop: Header=BB237_998 Depth=1
	v_mov_b32_e32 v7, v6
	v_mov_b32_e32 v24, v8
	v_cmp_ne_u32_sdwa s4, v11, v86 src0_sel:BYTE_3 src1_sel:DWORD
	v_mov_b32_e32 v23, v7
	s_and_saveexec_b32 s15, s4
	s_cbranch_execz .LBB237_1302
; %bb.1297:                             ;   in Loop: Header=BB237_998 Depth=1
	v_mov_b32_e32 v9, v6
	v_mov_b32_e32 v24, v10
	v_bfe_u32 v12, v11, 24, 7
	s_mov_b32 s16, exec_lo
	v_mov_b32_e32 v23, v9
	v_cmpx_ne_u32_e32 0x7f, v12
	s_cbranch_execz .LBB237_1301
; %bb.1298:                             ;   in Loop: Header=BB237_998 Depth=1
	v_mov_b32_e32 v5, 7
	v_lshrrev_b32_e32 v7, 3, v12
	s_mov_b32 s17, exec_lo
	v_and_b32_sdwa v5, v11, v5 dst_sel:DWORD dst_unused:UNUSED_PAD src0_sel:BYTE_3 src1_sel:DWORD
	v_cmpx_gt_u32_e32 8, v12
; %bb.1299:                             ;   in Loop: Header=BB237_998 Depth=1
	v_ffbh_u32_e32 v7, v5
	v_min_u32_e32 v7, 32, v7
	v_subrev_nc_u32_e32 v9, 28, v7
	v_sub_nc_u32_e32 v7, 29, v7
	v_lshlrev_b64 v[23:24], v9, v[5:6]
	v_and_b32_e32 v5, 7, v23
; %bb.1300:                             ;   in Loop: Header=BB237_998 Depth=1
	s_or_b32 exec_lo, exec_lo, s17
	v_mov_b32_e32 v9, 24
	v_lshlrev_b32_e32 v5, 20, v5
	v_lshl_add_u32 v7, v7, 23, 0x3c000000
	v_mov_b32_e32 v23, v6
	v_lshlrev_b32_sdwa v9, v9, v11 dst_sel:DWORD dst_unused:UNUSED_PAD src0_sel:DWORD src1_sel:BYTE_3
	v_and_b32_e32 v9, 0x80000000, v9
	v_or3_b32 v24, v5, v9, v7
.LBB237_1301:                           ;   in Loop: Header=BB237_998 Depth=1
	s_or_b32 exec_lo, exec_lo, s16
.LBB237_1302:                           ;   in Loop: Header=BB237_998 Depth=1
	s_or_b32 exec_lo, exec_lo, s15
.LBB237_1303:                           ;   in Loop: Header=BB237_998 Depth=1
	s_or_b32 exec_lo, exec_lo, s13
	v_or_b32_e32 v5, v20, v18
	v_or_b32_e32 v7, v19, v17
	;; [unrolled: 1-line block ×4, first 2 shown]
	v_mul_f32_e32 v93, v103, v5
	v_mul_f32_e32 v92, v103, v7
	;; [unrolled: 1-line block ×4, first 2 shown]
	s_and_saveexec_b32 s13, vcc_lo
	s_cbranch_execz .LBB237_1305
; %bb.1304:                             ;   in Loop: Header=BB237_998 Depth=1
	v_cmp_lt_i32_e64 s4, v115, v54
	v_cndmask_b32_e64 v92, 0, v92, s4
	v_cmp_lt_i32_e64 s4, v118, v54
	v_cndmask_b32_e64 v93, 0, v93, s4
	;; [unrolled: 2-line block ×4, first 2 shown]
.LBB237_1305:                           ;   in Loop: Header=BB237_998 Depth=1
	s_or_b32 exec_lo, exec_lo, s13
	flat_load_dword v11, v[13:14] offset:1152
	v_mov_b32_e32 v19, 0
	v_mov_b32_e32 v17, 0
	;; [unrolled: 1-line block ×4, first 2 shown]
	s_waitcnt vmcnt(0) lgkmcnt(0)
	v_cmp_ne_u16_sdwa s4, v11, v6 src0_sel:BYTE_0 src1_sel:DWORD
	s_and_saveexec_b32 s13, s4
	s_cbranch_execz .LBB237_1313
; %bb.1306:                             ;   in Loop: Header=BB237_998 Depth=1
	v_bfrev_b32_e32 v17, 1
	v_mov_b32_e32 v18, 0
	v_cmp_ne_u16_sdwa s4, v11, v86 src0_sel:BYTE_0 src1_sel:DWORD
	s_and_saveexec_b32 s15, s4
	s_cbranch_execz .LBB237_1312
; %bb.1307:                             ;   in Loop: Header=BB237_998 Depth=1
	v_mov_b32_e32 v17, 0x7f800001
	v_and_b32_e32 v9, 0x7f, v11
	v_mov_b32_e32 v18, 0
	s_mov_b32 s16, exec_lo
	v_cmpx_ne_u32_e32 0x7f, v9
	s_cbranch_execz .LBB237_1311
; %bb.1308:                             ;   in Loop: Header=BB237_998 Depth=1
	v_and_b32_e32 v5, 7, v11
	v_lshrrev_b32_e32 v7, 3, v9
	s_mov_b32 s17, exec_lo
	v_cmpx_gt_u32_e32 8, v9
; %bb.1309:                             ;   in Loop: Header=BB237_998 Depth=1
	v_ffbh_u32_e32 v7, v5
	v_min_u32_e32 v7, 32, v7
	v_subrev_nc_u32_e32 v9, 28, v7
	v_sub_nc_u32_e32 v7, 29, v7
	v_lshlrev_b64 v[17:18], v9, v[5:6]
	v_and_b32_e32 v5, 7, v17
; %bb.1310:                             ;   in Loop: Header=BB237_998 Depth=1
	s_or_b32 exec_lo, exec_lo, s17
	v_lshlrev_b32_e32 v9, 24, v11
	v_lshlrev_b32_e32 v5, 20, v5
	v_lshl_add_u32 v7, v7, 23, 0x3c000000
	v_and_b32_e32 v9, 0x80000000, v9
	v_or3_b32 v5, v5, v9, v7
	v_mov_b32_e32 v18, v6
	v_mov_b32_e32 v17, v5
.LBB237_1311:                           ;   in Loop: Header=BB237_998 Depth=1
	s_or_b32 exec_lo, exec_lo, s16
.LBB237_1312:                           ;   in Loop: Header=BB237_998 Depth=1
	s_or_b32 exec_lo, exec_lo, s15
.LBB237_1313:                           ;   in Loop: Header=BB237_998 Depth=1
	s_or_b32 exec_lo, exec_lo, s13
	v_cmp_ne_u16_sdwa s4, v11, v6 src0_sel:BYTE_1 src1_sel:DWORD
	s_and_saveexec_b32 s13, s4
	s_cbranch_execz .LBB237_1321
; %bb.1314:                             ;   in Loop: Header=BB237_998 Depth=1
	v_mov_b32_e32 v7, v6
	v_mov_b32_e32 v20, v8
	v_cmp_ne_u16_sdwa s4, v11, v86 src0_sel:BYTE_1 src1_sel:DWORD
	v_mov_b32_e32 v19, v7
	s_and_saveexec_b32 s15, s4
	s_cbranch_execz .LBB237_1320
; %bb.1315:                             ;   in Loop: Header=BB237_998 Depth=1
	v_mov_b32_e32 v5, 0xffff
	v_mov_b32_e32 v9, v6
	;; [unrolled: 1-line block ×3, first 2 shown]
	s_mov_b32 s16, exec_lo
	v_and_b32_sdwa v5, v5, v11 dst_sel:DWORD dst_unused:UNUSED_PAD src0_sel:DWORD src1_sel:BYTE_1
	v_mov_b32_e32 v19, v9
	v_and_b32_e32 v12, 0x7f, v5
	v_cmpx_ne_u32_e32 0x7f, v12
	s_cbranch_execz .LBB237_1319
; %bb.1316:                             ;   in Loop: Header=BB237_998 Depth=1
	v_and_b32_e32 v5, 7, v5
	v_lshrrev_b32_e32 v7, 3, v12
	s_mov_b32 s17, exec_lo
	v_cmpx_gt_u32_e32 8, v12
; %bb.1317:                             ;   in Loop: Header=BB237_998 Depth=1
	v_ffbh_u32_e32 v7, v5
	v_min_u32_e32 v7, 32, v7
	v_subrev_nc_u32_e32 v9, 28, v7
	v_sub_nc_u32_e32 v7, 29, v7
	v_lshlrev_b64 v[19:20], v9, v[5:6]
	v_and_b32_e32 v5, 7, v19
; %bb.1318:                             ;   in Loop: Header=BB237_998 Depth=1
	s_or_b32 exec_lo, exec_lo, s17
	v_lshlrev_b32_e32 v9, 16, v11
	v_lshlrev_b32_e32 v5, 20, v5
	v_lshl_add_u32 v7, v7, 23, 0x3c000000
	v_mov_b32_e32 v19, v6
	v_and_b32_e32 v9, 0x80000000, v9
	v_or3_b32 v20, v5, v9, v7
.LBB237_1319:                           ;   in Loop: Header=BB237_998 Depth=1
	s_or_b32 exec_lo, exec_lo, s16
.LBB237_1320:                           ;   in Loop: Header=BB237_998 Depth=1
	s_or_b32 exec_lo, exec_lo, s15
.LBB237_1321:                           ;   in Loop: Header=BB237_998 Depth=1
	s_or_b32 exec_lo, exec_lo, s13
	v_mov_b32_e32 v23, 0
	v_mov_b32_e32 v21, 0
	v_and_b32_sdwa v5, v11, v96 dst_sel:DWORD dst_unused:UNUSED_PAD src0_sel:WORD_1 src1_sel:DWORD
	v_mov_b32_e32 v24, 0
	v_mov_b32_e32 v22, 0
	s_mov_b32 s13, exec_lo
	v_cmpx_ne_u16_e32 0, v5
	s_cbranch_execz .LBB237_1329
; %bb.1322:                             ;   in Loop: Header=BB237_998 Depth=1
	v_bfrev_b32_e32 v21, 1
	v_mov_b32_e32 v22, 0
	s_mov_b32 s15, exec_lo
	v_cmpx_ne_u16_e32 0x80, v5
	s_cbranch_execz .LBB237_1328
; %bb.1323:                             ;   in Loop: Header=BB237_998 Depth=1
	v_mov_b32_e32 v21, 0x7f800001
	v_bfe_u32 v9, v11, 16, 7
	v_mov_b32_e32 v22, 0
	s_mov_b32 s16, exec_lo
	v_cmpx_ne_u32_e32 0x7f, v9
	s_cbranch_execz .LBB237_1327
; %bb.1324:                             ;   in Loop: Header=BB237_998 Depth=1
	v_mov_b32_e32 v5, 7
	v_lshrrev_b32_e32 v7, 3, v9
	s_mov_b32 s17, exec_lo
	v_and_b32_sdwa v5, v11, v5 dst_sel:DWORD dst_unused:UNUSED_PAD src0_sel:WORD_1 src1_sel:DWORD
	v_cmpx_gt_u32_e32 8, v9
; %bb.1325:                             ;   in Loop: Header=BB237_998 Depth=1
	v_ffbh_u32_e32 v7, v5
	v_min_u32_e32 v7, 32, v7
	v_subrev_nc_u32_e32 v9, 28, v7
	v_sub_nc_u32_e32 v7, 29, v7
	v_lshlrev_b64 v[21:22], v9, v[5:6]
	v_and_b32_e32 v5, 7, v21
; %bb.1326:                             ;   in Loop: Header=BB237_998 Depth=1
	s_or_b32 exec_lo, exec_lo, s17
	v_mov_b32_e32 v9, 24
	v_lshlrev_b32_e32 v5, 20, v5
	v_lshl_add_u32 v7, v7, 23, 0x3c000000
	v_lshlrev_b32_sdwa v9, v9, v11 dst_sel:DWORD dst_unused:UNUSED_PAD src0_sel:DWORD src1_sel:WORD_1
	v_and_b32_e32 v9, 0x80000000, v9
	v_or3_b32 v5, v5, v9, v7
	v_mov_b32_e32 v22, v6
	v_mov_b32_e32 v21, v5
.LBB237_1327:                           ;   in Loop: Header=BB237_998 Depth=1
	s_or_b32 exec_lo, exec_lo, s16
.LBB237_1328:                           ;   in Loop: Header=BB237_998 Depth=1
	s_or_b32 exec_lo, exec_lo, s15
.LBB237_1329:                           ;   in Loop: Header=BB237_998 Depth=1
	s_or_b32 exec_lo, exec_lo, s13
	s_mov_b32 s13, exec_lo
	v_cmpx_lt_u32_e32 0xffffff, v11
	s_cbranch_execz .LBB237_1337
; %bb.1330:                             ;   in Loop: Header=BB237_998 Depth=1
	v_mov_b32_e32 v7, v6
	v_mov_b32_e32 v24, v8
	v_cmp_ne_u32_sdwa s4, v11, v86 src0_sel:BYTE_3 src1_sel:DWORD
	v_mov_b32_e32 v23, v7
	s_and_saveexec_b32 s15, s4
	s_cbranch_execz .LBB237_1336
; %bb.1331:                             ;   in Loop: Header=BB237_998 Depth=1
	v_mov_b32_e32 v9, v6
	v_mov_b32_e32 v24, v10
	v_bfe_u32 v12, v11, 24, 7
	s_mov_b32 s16, exec_lo
	v_mov_b32_e32 v23, v9
	v_cmpx_ne_u32_e32 0x7f, v12
	s_cbranch_execz .LBB237_1335
; %bb.1332:                             ;   in Loop: Header=BB237_998 Depth=1
	v_mov_b32_e32 v5, 7
	v_lshrrev_b32_e32 v7, 3, v12
	s_mov_b32 s17, exec_lo
	v_and_b32_sdwa v5, v11, v5 dst_sel:DWORD dst_unused:UNUSED_PAD src0_sel:BYTE_3 src1_sel:DWORD
	v_cmpx_gt_u32_e32 8, v12
; %bb.1333:                             ;   in Loop: Header=BB237_998 Depth=1
	v_ffbh_u32_e32 v7, v5
	v_min_u32_e32 v7, 32, v7
	v_subrev_nc_u32_e32 v9, 28, v7
	v_sub_nc_u32_e32 v7, 29, v7
	v_lshlrev_b64 v[23:24], v9, v[5:6]
	v_and_b32_e32 v5, 7, v23
; %bb.1334:                             ;   in Loop: Header=BB237_998 Depth=1
	s_or_b32 exec_lo, exec_lo, s17
	v_mov_b32_e32 v9, 24
	v_lshlrev_b32_e32 v5, 20, v5
	v_lshl_add_u32 v7, v7, 23, 0x3c000000
	v_mov_b32_e32 v23, v6
	v_lshlrev_b32_sdwa v9, v9, v11 dst_sel:DWORD dst_unused:UNUSED_PAD src0_sel:DWORD src1_sel:BYTE_3
	v_and_b32_e32 v9, 0x80000000, v9
	v_or3_b32 v24, v5, v9, v7
.LBB237_1335:                           ;   in Loop: Header=BB237_998 Depth=1
	s_or_b32 exec_lo, exec_lo, s16
.LBB237_1336:                           ;   in Loop: Header=BB237_998 Depth=1
	s_or_b32 exec_lo, exec_lo, s15
.LBB237_1337:                           ;   in Loop: Header=BB237_998 Depth=1
	s_or_b32 exec_lo, exec_lo, s13
	v_or_b32_e32 v5, v20, v18
	v_or_b32_e32 v7, v19, v17
	;; [unrolled: 1-line block ×4, first 2 shown]
	v_mul_f32_e32 v105, v103, v5
	v_mul_f32_e32 v104, v103, v7
	;; [unrolled: 1-line block ×4, first 2 shown]
	s_and_saveexec_b32 s13, vcc_lo
	s_cbranch_execz .LBB237_1339
; %bb.1338:                             ;   in Loop: Header=BB237_998 Depth=1
	v_cmp_lt_i32_e64 s4, v115, v54
	v_cndmask_b32_e64 v104, 0, v104, s4
	v_cmp_lt_i32_e64 s4, v118, v54
	v_cndmask_b32_e64 v105, 0, v105, s4
	;; [unrolled: 2-line block ×4, first 2 shown]
.LBB237_1339:                           ;   in Loop: Header=BB237_998 Depth=1
	s_or_b32 exec_lo, exec_lo, s13
	flat_load_dword v11, v[13:14] offset:1280
	v_mov_b32_e32 v19, 0
	v_mov_b32_e32 v17, 0
	v_mov_b32_e32 v20, 0
	v_mov_b32_e32 v18, 0
	s_waitcnt vmcnt(0) lgkmcnt(0)
	v_cmp_ne_u16_sdwa s4, v11, v6 src0_sel:BYTE_0 src1_sel:DWORD
	s_and_saveexec_b32 s13, s4
	s_cbranch_execz .LBB237_1347
; %bb.1340:                             ;   in Loop: Header=BB237_998 Depth=1
	v_bfrev_b32_e32 v17, 1
	v_mov_b32_e32 v18, 0
	v_cmp_ne_u16_sdwa s4, v11, v86 src0_sel:BYTE_0 src1_sel:DWORD
	s_and_saveexec_b32 s15, s4
	s_cbranch_execz .LBB237_1346
; %bb.1341:                             ;   in Loop: Header=BB237_998 Depth=1
	v_mov_b32_e32 v17, 0x7f800001
	v_and_b32_e32 v9, 0x7f, v11
	v_mov_b32_e32 v18, 0
	s_mov_b32 s16, exec_lo
	v_cmpx_ne_u32_e32 0x7f, v9
	s_cbranch_execz .LBB237_1345
; %bb.1342:                             ;   in Loop: Header=BB237_998 Depth=1
	v_and_b32_e32 v5, 7, v11
	v_lshrrev_b32_e32 v7, 3, v9
	s_mov_b32 s17, exec_lo
	v_cmpx_gt_u32_e32 8, v9
; %bb.1343:                             ;   in Loop: Header=BB237_998 Depth=1
	v_ffbh_u32_e32 v7, v5
	v_min_u32_e32 v7, 32, v7
	v_subrev_nc_u32_e32 v9, 28, v7
	v_sub_nc_u32_e32 v7, 29, v7
	v_lshlrev_b64 v[17:18], v9, v[5:6]
	v_and_b32_e32 v5, 7, v17
; %bb.1344:                             ;   in Loop: Header=BB237_998 Depth=1
	s_or_b32 exec_lo, exec_lo, s17
	v_lshlrev_b32_e32 v9, 24, v11
	v_lshlrev_b32_e32 v5, 20, v5
	v_lshl_add_u32 v7, v7, 23, 0x3c000000
	v_and_b32_e32 v9, 0x80000000, v9
	v_or3_b32 v5, v5, v9, v7
	v_mov_b32_e32 v18, v6
	v_mov_b32_e32 v17, v5
.LBB237_1345:                           ;   in Loop: Header=BB237_998 Depth=1
	s_or_b32 exec_lo, exec_lo, s16
.LBB237_1346:                           ;   in Loop: Header=BB237_998 Depth=1
	s_or_b32 exec_lo, exec_lo, s15
.LBB237_1347:                           ;   in Loop: Header=BB237_998 Depth=1
	s_or_b32 exec_lo, exec_lo, s13
	v_cmp_ne_u16_sdwa s4, v11, v6 src0_sel:BYTE_1 src1_sel:DWORD
	s_and_saveexec_b32 s13, s4
	s_cbranch_execz .LBB237_1355
; %bb.1348:                             ;   in Loop: Header=BB237_998 Depth=1
	v_mov_b32_e32 v7, v6
	v_mov_b32_e32 v20, v8
	v_cmp_ne_u16_sdwa s4, v11, v86 src0_sel:BYTE_1 src1_sel:DWORD
	v_mov_b32_e32 v19, v7
	s_and_saveexec_b32 s15, s4
	s_cbranch_execz .LBB237_1354
; %bb.1349:                             ;   in Loop: Header=BB237_998 Depth=1
	v_mov_b32_e32 v5, 0xffff
	v_mov_b32_e32 v9, v6
	v_mov_b32_e32 v20, v10
	s_mov_b32 s16, exec_lo
	v_and_b32_sdwa v5, v5, v11 dst_sel:DWORD dst_unused:UNUSED_PAD src0_sel:DWORD src1_sel:BYTE_1
	v_mov_b32_e32 v19, v9
	v_and_b32_e32 v12, 0x7f, v5
	v_cmpx_ne_u32_e32 0x7f, v12
	s_cbranch_execz .LBB237_1353
; %bb.1350:                             ;   in Loop: Header=BB237_998 Depth=1
	v_and_b32_e32 v5, 7, v5
	v_lshrrev_b32_e32 v7, 3, v12
	s_mov_b32 s17, exec_lo
	v_cmpx_gt_u32_e32 8, v12
; %bb.1351:                             ;   in Loop: Header=BB237_998 Depth=1
	v_ffbh_u32_e32 v7, v5
	v_min_u32_e32 v7, 32, v7
	v_subrev_nc_u32_e32 v9, 28, v7
	v_sub_nc_u32_e32 v7, 29, v7
	v_lshlrev_b64 v[19:20], v9, v[5:6]
	v_and_b32_e32 v5, 7, v19
; %bb.1352:                             ;   in Loop: Header=BB237_998 Depth=1
	s_or_b32 exec_lo, exec_lo, s17
	v_lshlrev_b32_e32 v9, 16, v11
	v_lshlrev_b32_e32 v5, 20, v5
	v_lshl_add_u32 v7, v7, 23, 0x3c000000
	v_mov_b32_e32 v19, v6
	v_and_b32_e32 v9, 0x80000000, v9
	v_or3_b32 v20, v5, v9, v7
.LBB237_1353:                           ;   in Loop: Header=BB237_998 Depth=1
	s_or_b32 exec_lo, exec_lo, s16
.LBB237_1354:                           ;   in Loop: Header=BB237_998 Depth=1
	s_or_b32 exec_lo, exec_lo, s15
.LBB237_1355:                           ;   in Loop: Header=BB237_998 Depth=1
	s_or_b32 exec_lo, exec_lo, s13
	v_mov_b32_e32 v21, 0
	v_mov_b32_e32 v23, 0
	v_and_b32_sdwa v5, v11, v96 dst_sel:DWORD dst_unused:UNUSED_PAD src0_sel:WORD_1 src1_sel:DWORD
	v_mov_b32_e32 v22, 0
	v_mov_b32_e32 v24, 0
	s_mov_b32 s13, exec_lo
	v_cmpx_ne_u16_e32 0, v5
	s_cbranch_execz .LBB237_1363
; %bb.1356:                             ;   in Loop: Header=BB237_998 Depth=1
	v_bfrev_b32_e32 v23, 1
	v_mov_b32_e32 v24, 0
	s_mov_b32 s15, exec_lo
	v_cmpx_ne_u16_e32 0x80, v5
	s_cbranch_execz .LBB237_1362
; %bb.1357:                             ;   in Loop: Header=BB237_998 Depth=1
	v_mov_b32_e32 v23, 0x7f800001
	v_bfe_u32 v9, v11, 16, 7
	v_mov_b32_e32 v24, 0
	s_mov_b32 s16, exec_lo
	v_cmpx_ne_u32_e32 0x7f, v9
	s_cbranch_execz .LBB237_1361
; %bb.1358:                             ;   in Loop: Header=BB237_998 Depth=1
	v_mov_b32_e32 v5, 7
	v_lshrrev_b32_e32 v7, 3, v9
	s_mov_b32 s17, exec_lo
	v_and_b32_sdwa v5, v11, v5 dst_sel:DWORD dst_unused:UNUSED_PAD src0_sel:WORD_1 src1_sel:DWORD
	v_cmpx_gt_u32_e32 8, v9
; %bb.1359:                             ;   in Loop: Header=BB237_998 Depth=1
	v_ffbh_u32_e32 v7, v5
	v_min_u32_e32 v7, 32, v7
	v_subrev_nc_u32_e32 v9, 28, v7
	v_sub_nc_u32_e32 v7, 29, v7
	v_lshlrev_b64 v[23:24], v9, v[5:6]
	v_and_b32_e32 v5, 7, v23
; %bb.1360:                             ;   in Loop: Header=BB237_998 Depth=1
	s_or_b32 exec_lo, exec_lo, s17
	v_mov_b32_e32 v9, 24
	v_lshlrev_b32_e32 v5, 20, v5
	v_lshl_add_u32 v7, v7, 23, 0x3c000000
	v_lshlrev_b32_sdwa v9, v9, v11 dst_sel:DWORD dst_unused:UNUSED_PAD src0_sel:DWORD src1_sel:WORD_1
	v_and_b32_e32 v9, 0x80000000, v9
	v_or3_b32 v5, v5, v9, v7
	v_mov_b32_e32 v24, v6
	v_mov_b32_e32 v23, v5
.LBB237_1361:                           ;   in Loop: Header=BB237_998 Depth=1
	s_or_b32 exec_lo, exec_lo, s16
.LBB237_1362:                           ;   in Loop: Header=BB237_998 Depth=1
	s_or_b32 exec_lo, exec_lo, s15
.LBB237_1363:                           ;   in Loop: Header=BB237_998 Depth=1
	s_or_b32 exec_lo, exec_lo, s13
	s_mov_b32 s13, exec_lo
	v_cmpx_lt_u32_e32 0xffffff, v11
	s_cbranch_execz .LBB237_1371
; %bb.1364:                             ;   in Loop: Header=BB237_998 Depth=1
	v_mov_b32_e32 v7, v6
	v_mov_b32_e32 v22, v8
	v_cmp_ne_u32_sdwa s4, v11, v86 src0_sel:BYTE_3 src1_sel:DWORD
	v_mov_b32_e32 v21, v7
	s_and_saveexec_b32 s15, s4
	s_cbranch_execz .LBB237_1370
; %bb.1365:                             ;   in Loop: Header=BB237_998 Depth=1
	v_mov_b32_e32 v9, v6
	v_mov_b32_e32 v22, v10
	v_bfe_u32 v12, v11, 24, 7
	s_mov_b32 s16, exec_lo
	v_mov_b32_e32 v21, v9
	v_cmpx_ne_u32_e32 0x7f, v12
	s_cbranch_execz .LBB237_1369
; %bb.1366:                             ;   in Loop: Header=BB237_998 Depth=1
	v_mov_b32_e32 v5, 7
	v_lshrrev_b32_e32 v7, 3, v12
	s_mov_b32 s17, exec_lo
	v_and_b32_sdwa v5, v11, v5 dst_sel:DWORD dst_unused:UNUSED_PAD src0_sel:BYTE_3 src1_sel:DWORD
	v_cmpx_gt_u32_e32 8, v12
; %bb.1367:                             ;   in Loop: Header=BB237_998 Depth=1
	v_ffbh_u32_e32 v7, v5
	v_min_u32_e32 v7, 32, v7
	v_subrev_nc_u32_e32 v9, 28, v7
	v_sub_nc_u32_e32 v7, 29, v7
	v_lshlrev_b64 v[21:22], v9, v[5:6]
	v_and_b32_e32 v5, 7, v21
; %bb.1368:                             ;   in Loop: Header=BB237_998 Depth=1
	s_or_b32 exec_lo, exec_lo, s17
	v_mov_b32_e32 v9, 24
	v_lshlrev_b32_e32 v5, 20, v5
	v_lshl_add_u32 v7, v7, 23, 0x3c000000
	v_mov_b32_e32 v21, v6
	v_lshlrev_b32_sdwa v9, v9, v11 dst_sel:DWORD dst_unused:UNUSED_PAD src0_sel:DWORD src1_sel:BYTE_3
	v_and_b32_e32 v9, 0x80000000, v9
	v_or3_b32 v22, v5, v9, v7
.LBB237_1369:                           ;   in Loop: Header=BB237_998 Depth=1
	s_or_b32 exec_lo, exec_lo, s16
.LBB237_1370:                           ;   in Loop: Header=BB237_998 Depth=1
	s_or_b32 exec_lo, exec_lo, s15
.LBB237_1371:                           ;   in Loop: Header=BB237_998 Depth=1
	s_or_b32 exec_lo, exec_lo, s13
	v_or_b32_e32 v5, v20, v18
	v_or_b32_e32 v7, v19, v17
	;; [unrolled: 1-line block ×4, first 2 shown]
	v_mul_f32_e32 v109, v103, v5
	v_mul_f32_e32 v108, v103, v7
	;; [unrolled: 1-line block ×4, first 2 shown]
	s_and_saveexec_b32 s13, vcc_lo
	s_cbranch_execz .LBB237_1373
; %bb.1372:                             ;   in Loop: Header=BB237_998 Depth=1
	v_cmp_lt_i32_e64 s4, v115, v54
	v_cndmask_b32_e64 v108, 0, v108, s4
	v_cmp_lt_i32_e64 s4, v118, v54
	v_cndmask_b32_e64 v109, 0, v109, s4
	;; [unrolled: 2-line block ×4, first 2 shown]
.LBB237_1373:                           ;   in Loop: Header=BB237_998 Depth=1
	s_or_b32 exec_lo, exec_lo, s13
	flat_load_dword v11, v[13:14] offset:1408
	v_mov_b32_e32 v19, 0
	v_mov_b32_e32 v17, 0
	;; [unrolled: 1-line block ×4, first 2 shown]
	s_waitcnt vmcnt(0) lgkmcnt(0)
	v_cmp_ne_u16_sdwa s4, v11, v6 src0_sel:BYTE_0 src1_sel:DWORD
	s_and_saveexec_b32 s13, s4
	s_cbranch_execz .LBB237_1381
; %bb.1374:                             ;   in Loop: Header=BB237_998 Depth=1
	v_bfrev_b32_e32 v17, 1
	v_mov_b32_e32 v18, 0
	v_cmp_ne_u16_sdwa s4, v11, v86 src0_sel:BYTE_0 src1_sel:DWORD
	s_and_saveexec_b32 s15, s4
	s_cbranch_execz .LBB237_1380
; %bb.1375:                             ;   in Loop: Header=BB237_998 Depth=1
	v_mov_b32_e32 v17, 0x7f800001
	v_and_b32_e32 v9, 0x7f, v11
	v_mov_b32_e32 v18, 0
	s_mov_b32 s16, exec_lo
	v_cmpx_ne_u32_e32 0x7f, v9
	s_cbranch_execz .LBB237_1379
; %bb.1376:                             ;   in Loop: Header=BB237_998 Depth=1
	v_and_b32_e32 v5, 7, v11
	v_lshrrev_b32_e32 v7, 3, v9
	s_mov_b32 s17, exec_lo
	v_cmpx_gt_u32_e32 8, v9
; %bb.1377:                             ;   in Loop: Header=BB237_998 Depth=1
	v_ffbh_u32_e32 v7, v5
	v_min_u32_e32 v7, 32, v7
	v_subrev_nc_u32_e32 v9, 28, v7
	v_sub_nc_u32_e32 v7, 29, v7
	v_lshlrev_b64 v[17:18], v9, v[5:6]
	v_and_b32_e32 v5, 7, v17
; %bb.1378:                             ;   in Loop: Header=BB237_998 Depth=1
	s_or_b32 exec_lo, exec_lo, s17
	v_lshlrev_b32_e32 v9, 24, v11
	v_lshlrev_b32_e32 v5, 20, v5
	v_lshl_add_u32 v7, v7, 23, 0x3c000000
	v_and_b32_e32 v9, 0x80000000, v9
	v_or3_b32 v5, v5, v9, v7
	v_mov_b32_e32 v18, v6
	v_mov_b32_e32 v17, v5
.LBB237_1379:                           ;   in Loop: Header=BB237_998 Depth=1
	s_or_b32 exec_lo, exec_lo, s16
.LBB237_1380:                           ;   in Loop: Header=BB237_998 Depth=1
	s_or_b32 exec_lo, exec_lo, s15
.LBB237_1381:                           ;   in Loop: Header=BB237_998 Depth=1
	s_or_b32 exec_lo, exec_lo, s13
	v_cmp_ne_u16_sdwa s4, v11, v6 src0_sel:BYTE_1 src1_sel:DWORD
	s_and_saveexec_b32 s13, s4
	s_cbranch_execz .LBB237_1389
; %bb.1382:                             ;   in Loop: Header=BB237_998 Depth=1
	v_mov_b32_e32 v7, v6
	v_mov_b32_e32 v20, v8
	v_cmp_ne_u16_sdwa s4, v11, v86 src0_sel:BYTE_1 src1_sel:DWORD
	v_mov_b32_e32 v19, v7
	s_and_saveexec_b32 s15, s4
	s_cbranch_execz .LBB237_1388
; %bb.1383:                             ;   in Loop: Header=BB237_998 Depth=1
	v_mov_b32_e32 v5, 0xffff
	v_mov_b32_e32 v9, v6
	;; [unrolled: 1-line block ×3, first 2 shown]
	s_mov_b32 s16, exec_lo
	v_and_b32_sdwa v5, v5, v11 dst_sel:DWORD dst_unused:UNUSED_PAD src0_sel:DWORD src1_sel:BYTE_1
	v_mov_b32_e32 v19, v9
	v_and_b32_e32 v12, 0x7f, v5
	v_cmpx_ne_u32_e32 0x7f, v12
	s_cbranch_execz .LBB237_1387
; %bb.1384:                             ;   in Loop: Header=BB237_998 Depth=1
	v_and_b32_e32 v5, 7, v5
	v_lshrrev_b32_e32 v7, 3, v12
	s_mov_b32 s17, exec_lo
	v_cmpx_gt_u32_e32 8, v12
; %bb.1385:                             ;   in Loop: Header=BB237_998 Depth=1
	v_ffbh_u32_e32 v7, v5
	v_min_u32_e32 v7, 32, v7
	v_subrev_nc_u32_e32 v9, 28, v7
	v_sub_nc_u32_e32 v7, 29, v7
	v_lshlrev_b64 v[19:20], v9, v[5:6]
	v_and_b32_e32 v5, 7, v19
; %bb.1386:                             ;   in Loop: Header=BB237_998 Depth=1
	s_or_b32 exec_lo, exec_lo, s17
	v_lshlrev_b32_e32 v9, 16, v11
	v_lshlrev_b32_e32 v5, 20, v5
	v_lshl_add_u32 v7, v7, 23, 0x3c000000
	v_mov_b32_e32 v19, v6
	v_and_b32_e32 v9, 0x80000000, v9
	v_or3_b32 v20, v5, v9, v7
.LBB237_1387:                           ;   in Loop: Header=BB237_998 Depth=1
	s_or_b32 exec_lo, exec_lo, s16
.LBB237_1388:                           ;   in Loop: Header=BB237_998 Depth=1
	s_or_b32 exec_lo, exec_lo, s15
.LBB237_1389:                           ;   in Loop: Header=BB237_998 Depth=1
	s_or_b32 exec_lo, exec_lo, s13
	v_mov_b32_e32 v21, 0
	v_mov_b32_e32 v23, 0
	v_and_b32_sdwa v5, v11, v96 dst_sel:DWORD dst_unused:UNUSED_PAD src0_sel:WORD_1 src1_sel:DWORD
	v_mov_b32_e32 v22, 0
	v_mov_b32_e32 v24, 0
	s_mov_b32 s13, exec_lo
	v_cmpx_ne_u16_e32 0, v5
	s_cbranch_execz .LBB237_1397
; %bb.1390:                             ;   in Loop: Header=BB237_998 Depth=1
	v_bfrev_b32_e32 v23, 1
	v_mov_b32_e32 v24, 0
	s_mov_b32 s15, exec_lo
	v_cmpx_ne_u16_e32 0x80, v5
	s_cbranch_execz .LBB237_1396
; %bb.1391:                             ;   in Loop: Header=BB237_998 Depth=1
	v_mov_b32_e32 v23, 0x7f800001
	v_bfe_u32 v9, v11, 16, 7
	v_mov_b32_e32 v24, 0
	s_mov_b32 s16, exec_lo
	v_cmpx_ne_u32_e32 0x7f, v9
	s_cbranch_execz .LBB237_1395
; %bb.1392:                             ;   in Loop: Header=BB237_998 Depth=1
	v_mov_b32_e32 v5, 7
	v_lshrrev_b32_e32 v7, 3, v9
	s_mov_b32 s17, exec_lo
	v_and_b32_sdwa v5, v11, v5 dst_sel:DWORD dst_unused:UNUSED_PAD src0_sel:WORD_1 src1_sel:DWORD
	v_cmpx_gt_u32_e32 8, v9
; %bb.1393:                             ;   in Loop: Header=BB237_998 Depth=1
	v_ffbh_u32_e32 v7, v5
	v_min_u32_e32 v7, 32, v7
	v_subrev_nc_u32_e32 v9, 28, v7
	v_sub_nc_u32_e32 v7, 29, v7
	v_lshlrev_b64 v[23:24], v9, v[5:6]
	v_and_b32_e32 v5, 7, v23
; %bb.1394:                             ;   in Loop: Header=BB237_998 Depth=1
	s_or_b32 exec_lo, exec_lo, s17
	v_mov_b32_e32 v9, 24
	v_lshlrev_b32_e32 v5, 20, v5
	v_lshl_add_u32 v7, v7, 23, 0x3c000000
	v_lshlrev_b32_sdwa v9, v9, v11 dst_sel:DWORD dst_unused:UNUSED_PAD src0_sel:DWORD src1_sel:WORD_1
	v_and_b32_e32 v9, 0x80000000, v9
	v_or3_b32 v5, v5, v9, v7
	v_mov_b32_e32 v24, v6
	v_mov_b32_e32 v23, v5
.LBB237_1395:                           ;   in Loop: Header=BB237_998 Depth=1
	s_or_b32 exec_lo, exec_lo, s16
.LBB237_1396:                           ;   in Loop: Header=BB237_998 Depth=1
	s_or_b32 exec_lo, exec_lo, s15
.LBB237_1397:                           ;   in Loop: Header=BB237_998 Depth=1
	s_or_b32 exec_lo, exec_lo, s13
	s_mov_b32 s13, exec_lo
	v_cmpx_lt_u32_e32 0xffffff, v11
	s_cbranch_execz .LBB237_1405
; %bb.1398:                             ;   in Loop: Header=BB237_998 Depth=1
	v_mov_b32_e32 v7, v6
	v_mov_b32_e32 v22, v8
	v_cmp_ne_u32_sdwa s4, v11, v86 src0_sel:BYTE_3 src1_sel:DWORD
	v_mov_b32_e32 v21, v7
	s_and_saveexec_b32 s15, s4
	s_cbranch_execz .LBB237_1404
; %bb.1399:                             ;   in Loop: Header=BB237_998 Depth=1
	v_mov_b32_e32 v9, v6
	v_mov_b32_e32 v22, v10
	v_bfe_u32 v12, v11, 24, 7
	s_mov_b32 s16, exec_lo
	v_mov_b32_e32 v21, v9
	v_cmpx_ne_u32_e32 0x7f, v12
	s_cbranch_execz .LBB237_1403
; %bb.1400:                             ;   in Loop: Header=BB237_998 Depth=1
	v_mov_b32_e32 v5, 7
	v_lshrrev_b32_e32 v7, 3, v12
	s_mov_b32 s17, exec_lo
	v_and_b32_sdwa v5, v11, v5 dst_sel:DWORD dst_unused:UNUSED_PAD src0_sel:BYTE_3 src1_sel:DWORD
	v_cmpx_gt_u32_e32 8, v12
; %bb.1401:                             ;   in Loop: Header=BB237_998 Depth=1
	v_ffbh_u32_e32 v7, v5
	v_min_u32_e32 v7, 32, v7
	v_subrev_nc_u32_e32 v9, 28, v7
	v_sub_nc_u32_e32 v7, 29, v7
	v_lshlrev_b64 v[21:22], v9, v[5:6]
	v_and_b32_e32 v5, 7, v21
; %bb.1402:                             ;   in Loop: Header=BB237_998 Depth=1
	s_or_b32 exec_lo, exec_lo, s17
	v_mov_b32_e32 v9, 24
	v_lshlrev_b32_e32 v5, 20, v5
	v_lshl_add_u32 v7, v7, 23, 0x3c000000
	v_mov_b32_e32 v21, v6
	v_lshlrev_b32_sdwa v9, v9, v11 dst_sel:DWORD dst_unused:UNUSED_PAD src0_sel:DWORD src1_sel:BYTE_3
	v_and_b32_e32 v9, 0x80000000, v9
	v_or3_b32 v22, v5, v9, v7
.LBB237_1403:                           ;   in Loop: Header=BB237_998 Depth=1
	s_or_b32 exec_lo, exec_lo, s16
.LBB237_1404:                           ;   in Loop: Header=BB237_998 Depth=1
	s_or_b32 exec_lo, exec_lo, s15
.LBB237_1405:                           ;   in Loop: Header=BB237_998 Depth=1
	s_or_b32 exec_lo, exec_lo, s13
	v_or_b32_e32 v5, v20, v18
	v_or_b32_e32 v7, v19, v17
	;; [unrolled: 1-line block ×4, first 2 shown]
	v_mul_f32_e32 v121, v103, v5
	v_mul_f32_e32 v120, v103, v7
	;; [unrolled: 1-line block ×4, first 2 shown]
	s_and_saveexec_b32 s13, vcc_lo
	s_cbranch_execz .LBB237_1407
; %bb.1406:                             ;   in Loop: Header=BB237_998 Depth=1
	v_cmp_lt_i32_e64 s4, v115, v54
	v_cndmask_b32_e64 v120, 0, v120, s4
	v_cmp_lt_i32_e64 s4, v118, v54
	v_cndmask_b32_e64 v121, 0, v121, s4
	;; [unrolled: 2-line block ×4, first 2 shown]
.LBB237_1407:                           ;   in Loop: Header=BB237_998 Depth=1
	s_or_b32 exec_lo, exec_lo, s13
	flat_load_dword v11, v[13:14] offset:1536
	v_mov_b32_e32 v19, 0
	v_mov_b32_e32 v17, 0
	;; [unrolled: 1-line block ×4, first 2 shown]
	s_waitcnt vmcnt(0) lgkmcnt(0)
	v_cmp_ne_u16_sdwa s4, v11, v6 src0_sel:BYTE_0 src1_sel:DWORD
	s_and_saveexec_b32 s13, s4
	s_cbranch_execz .LBB237_1415
; %bb.1408:                             ;   in Loop: Header=BB237_998 Depth=1
	v_bfrev_b32_e32 v17, 1
	v_mov_b32_e32 v18, 0
	v_cmp_ne_u16_sdwa s4, v11, v86 src0_sel:BYTE_0 src1_sel:DWORD
	s_and_saveexec_b32 s15, s4
	s_cbranch_execz .LBB237_1414
; %bb.1409:                             ;   in Loop: Header=BB237_998 Depth=1
	v_mov_b32_e32 v17, 0x7f800001
	v_and_b32_e32 v9, 0x7f, v11
	v_mov_b32_e32 v18, 0
	s_mov_b32 s16, exec_lo
	v_cmpx_ne_u32_e32 0x7f, v9
	s_cbranch_execz .LBB237_1413
; %bb.1410:                             ;   in Loop: Header=BB237_998 Depth=1
	v_and_b32_e32 v5, 7, v11
	v_lshrrev_b32_e32 v7, 3, v9
	s_mov_b32 s17, exec_lo
	v_cmpx_gt_u32_e32 8, v9
; %bb.1411:                             ;   in Loop: Header=BB237_998 Depth=1
	v_ffbh_u32_e32 v7, v5
	v_min_u32_e32 v7, 32, v7
	v_subrev_nc_u32_e32 v9, 28, v7
	v_sub_nc_u32_e32 v7, 29, v7
	v_lshlrev_b64 v[17:18], v9, v[5:6]
	v_and_b32_e32 v5, 7, v17
; %bb.1412:                             ;   in Loop: Header=BB237_998 Depth=1
	s_or_b32 exec_lo, exec_lo, s17
	v_lshlrev_b32_e32 v9, 24, v11
	v_lshlrev_b32_e32 v5, 20, v5
	v_lshl_add_u32 v7, v7, 23, 0x3c000000
	v_and_b32_e32 v9, 0x80000000, v9
	v_or3_b32 v5, v5, v9, v7
	v_mov_b32_e32 v18, v6
	v_mov_b32_e32 v17, v5
.LBB237_1413:                           ;   in Loop: Header=BB237_998 Depth=1
	s_or_b32 exec_lo, exec_lo, s16
.LBB237_1414:                           ;   in Loop: Header=BB237_998 Depth=1
	s_or_b32 exec_lo, exec_lo, s15
.LBB237_1415:                           ;   in Loop: Header=BB237_998 Depth=1
	s_or_b32 exec_lo, exec_lo, s13
	v_cmp_ne_u16_sdwa s4, v11, v6 src0_sel:BYTE_1 src1_sel:DWORD
	s_and_saveexec_b32 s13, s4
	s_cbranch_execz .LBB237_1423
; %bb.1416:                             ;   in Loop: Header=BB237_998 Depth=1
	v_mov_b32_e32 v7, v6
	v_mov_b32_e32 v20, v8
	v_cmp_ne_u16_sdwa s4, v11, v86 src0_sel:BYTE_1 src1_sel:DWORD
	v_mov_b32_e32 v19, v7
	s_and_saveexec_b32 s15, s4
	s_cbranch_execz .LBB237_1422
; %bb.1417:                             ;   in Loop: Header=BB237_998 Depth=1
	v_mov_b32_e32 v5, 0xffff
	v_mov_b32_e32 v9, v6
	;; [unrolled: 1-line block ×3, first 2 shown]
	s_mov_b32 s16, exec_lo
	v_and_b32_sdwa v5, v5, v11 dst_sel:DWORD dst_unused:UNUSED_PAD src0_sel:DWORD src1_sel:BYTE_1
	v_mov_b32_e32 v19, v9
	v_and_b32_e32 v12, 0x7f, v5
	v_cmpx_ne_u32_e32 0x7f, v12
	s_cbranch_execz .LBB237_1421
; %bb.1418:                             ;   in Loop: Header=BB237_998 Depth=1
	v_and_b32_e32 v5, 7, v5
	v_lshrrev_b32_e32 v7, 3, v12
	s_mov_b32 s17, exec_lo
	v_cmpx_gt_u32_e32 8, v12
; %bb.1419:                             ;   in Loop: Header=BB237_998 Depth=1
	v_ffbh_u32_e32 v7, v5
	v_min_u32_e32 v7, 32, v7
	v_subrev_nc_u32_e32 v9, 28, v7
	v_sub_nc_u32_e32 v7, 29, v7
	v_lshlrev_b64 v[19:20], v9, v[5:6]
	v_and_b32_e32 v5, 7, v19
; %bb.1420:                             ;   in Loop: Header=BB237_998 Depth=1
	s_or_b32 exec_lo, exec_lo, s17
	v_lshlrev_b32_e32 v9, 16, v11
	v_lshlrev_b32_e32 v5, 20, v5
	v_lshl_add_u32 v7, v7, 23, 0x3c000000
	v_mov_b32_e32 v19, v6
	v_and_b32_e32 v9, 0x80000000, v9
	v_or3_b32 v20, v5, v9, v7
.LBB237_1421:                           ;   in Loop: Header=BB237_998 Depth=1
	s_or_b32 exec_lo, exec_lo, s16
.LBB237_1422:                           ;   in Loop: Header=BB237_998 Depth=1
	s_or_b32 exec_lo, exec_lo, s15
.LBB237_1423:                           ;   in Loop: Header=BB237_998 Depth=1
	s_or_b32 exec_lo, exec_lo, s13
	v_mov_b32_e32 v21, 0
	v_mov_b32_e32 v23, 0
	v_and_b32_sdwa v5, v11, v96 dst_sel:DWORD dst_unused:UNUSED_PAD src0_sel:WORD_1 src1_sel:DWORD
	v_mov_b32_e32 v22, 0
	v_mov_b32_e32 v24, 0
	s_mov_b32 s13, exec_lo
	v_cmpx_ne_u16_e32 0, v5
	s_cbranch_execz .LBB237_1431
; %bb.1424:                             ;   in Loop: Header=BB237_998 Depth=1
	v_bfrev_b32_e32 v23, 1
	v_mov_b32_e32 v24, 0
	s_mov_b32 s15, exec_lo
	v_cmpx_ne_u16_e32 0x80, v5
	s_cbranch_execz .LBB237_1430
; %bb.1425:                             ;   in Loop: Header=BB237_998 Depth=1
	v_mov_b32_e32 v23, 0x7f800001
	v_bfe_u32 v9, v11, 16, 7
	v_mov_b32_e32 v24, 0
	s_mov_b32 s16, exec_lo
	v_cmpx_ne_u32_e32 0x7f, v9
	s_cbranch_execz .LBB237_1429
; %bb.1426:                             ;   in Loop: Header=BB237_998 Depth=1
	v_mov_b32_e32 v5, 7
	v_lshrrev_b32_e32 v7, 3, v9
	s_mov_b32 s17, exec_lo
	v_and_b32_sdwa v5, v11, v5 dst_sel:DWORD dst_unused:UNUSED_PAD src0_sel:WORD_1 src1_sel:DWORD
	v_cmpx_gt_u32_e32 8, v9
; %bb.1427:                             ;   in Loop: Header=BB237_998 Depth=1
	v_ffbh_u32_e32 v7, v5
	v_min_u32_e32 v7, 32, v7
	v_subrev_nc_u32_e32 v9, 28, v7
	v_sub_nc_u32_e32 v7, 29, v7
	v_lshlrev_b64 v[23:24], v9, v[5:6]
	v_and_b32_e32 v5, 7, v23
; %bb.1428:                             ;   in Loop: Header=BB237_998 Depth=1
	s_or_b32 exec_lo, exec_lo, s17
	v_mov_b32_e32 v9, 24
	v_lshlrev_b32_e32 v5, 20, v5
	v_lshl_add_u32 v7, v7, 23, 0x3c000000
	v_lshlrev_b32_sdwa v9, v9, v11 dst_sel:DWORD dst_unused:UNUSED_PAD src0_sel:DWORD src1_sel:WORD_1
	v_and_b32_e32 v9, 0x80000000, v9
	v_or3_b32 v5, v5, v9, v7
	v_mov_b32_e32 v24, v6
	v_mov_b32_e32 v23, v5
.LBB237_1429:                           ;   in Loop: Header=BB237_998 Depth=1
	s_or_b32 exec_lo, exec_lo, s16
.LBB237_1430:                           ;   in Loop: Header=BB237_998 Depth=1
	s_or_b32 exec_lo, exec_lo, s15
.LBB237_1431:                           ;   in Loop: Header=BB237_998 Depth=1
	s_or_b32 exec_lo, exec_lo, s13
	s_mov_b32 s13, exec_lo
	v_cmpx_lt_u32_e32 0xffffff, v11
	s_cbranch_execz .LBB237_1439
; %bb.1432:                             ;   in Loop: Header=BB237_998 Depth=1
	v_mov_b32_e32 v7, v6
	v_mov_b32_e32 v22, v8
	v_cmp_ne_u32_sdwa s4, v11, v86 src0_sel:BYTE_3 src1_sel:DWORD
	v_mov_b32_e32 v21, v7
	s_and_saveexec_b32 s15, s4
	s_cbranch_execz .LBB237_1438
; %bb.1433:                             ;   in Loop: Header=BB237_998 Depth=1
	v_mov_b32_e32 v9, v6
	v_mov_b32_e32 v22, v10
	v_bfe_u32 v12, v11, 24, 7
	s_mov_b32 s16, exec_lo
	v_mov_b32_e32 v21, v9
	v_cmpx_ne_u32_e32 0x7f, v12
	s_cbranch_execz .LBB237_1437
; %bb.1434:                             ;   in Loop: Header=BB237_998 Depth=1
	v_mov_b32_e32 v5, 7
	v_lshrrev_b32_e32 v7, 3, v12
	s_mov_b32 s17, exec_lo
	v_and_b32_sdwa v5, v11, v5 dst_sel:DWORD dst_unused:UNUSED_PAD src0_sel:BYTE_3 src1_sel:DWORD
	v_cmpx_gt_u32_e32 8, v12
; %bb.1435:                             ;   in Loop: Header=BB237_998 Depth=1
	v_ffbh_u32_e32 v7, v5
	v_min_u32_e32 v7, 32, v7
	v_subrev_nc_u32_e32 v9, 28, v7
	v_sub_nc_u32_e32 v7, 29, v7
	v_lshlrev_b64 v[21:22], v9, v[5:6]
	v_and_b32_e32 v5, 7, v21
; %bb.1436:                             ;   in Loop: Header=BB237_998 Depth=1
	s_or_b32 exec_lo, exec_lo, s17
	v_mov_b32_e32 v9, 24
	v_lshlrev_b32_e32 v5, 20, v5
	v_lshl_add_u32 v7, v7, 23, 0x3c000000
	v_mov_b32_e32 v21, v6
	v_lshlrev_b32_sdwa v9, v9, v11 dst_sel:DWORD dst_unused:UNUSED_PAD src0_sel:DWORD src1_sel:BYTE_3
	v_and_b32_e32 v9, 0x80000000, v9
	v_or3_b32 v22, v5, v9, v7
.LBB237_1437:                           ;   in Loop: Header=BB237_998 Depth=1
	s_or_b32 exec_lo, exec_lo, s16
.LBB237_1438:                           ;   in Loop: Header=BB237_998 Depth=1
	s_or_b32 exec_lo, exec_lo, s15
.LBB237_1439:                           ;   in Loop: Header=BB237_998 Depth=1
	s_or_b32 exec_lo, exec_lo, s13
	v_or_b32_e32 v5, v20, v18
	v_or_b32_e32 v7, v19, v17
	;; [unrolled: 1-line block ×4, first 2 shown]
	v_mul_f32_e32 v125, v103, v5
	v_mul_f32_e32 v124, v103, v7
	;; [unrolled: 1-line block ×4, first 2 shown]
	s_and_saveexec_b32 s13, vcc_lo
	s_cbranch_execz .LBB237_1441
; %bb.1440:                             ;   in Loop: Header=BB237_998 Depth=1
	v_cmp_lt_i32_e64 s4, v115, v54
	v_cndmask_b32_e64 v124, 0, v124, s4
	v_cmp_lt_i32_e64 s4, v118, v54
	v_cndmask_b32_e64 v125, 0, v125, s4
	;; [unrolled: 2-line block ×4, first 2 shown]
.LBB237_1441:                           ;   in Loop: Header=BB237_998 Depth=1
	s_or_b32 exec_lo, exec_lo, s13
	flat_load_dword v11, v[13:14] offset:1664
	v_mov_b32_e32 v19, 0
	v_mov_b32_e32 v17, 0
	;; [unrolled: 1-line block ×4, first 2 shown]
	s_waitcnt vmcnt(0) lgkmcnt(0)
	v_cmp_ne_u16_sdwa s4, v11, v6 src0_sel:BYTE_0 src1_sel:DWORD
	s_and_saveexec_b32 s13, s4
	s_cbranch_execz .LBB237_1449
; %bb.1442:                             ;   in Loop: Header=BB237_998 Depth=1
	v_bfrev_b32_e32 v17, 1
	v_mov_b32_e32 v18, 0
	v_cmp_ne_u16_sdwa s4, v11, v86 src0_sel:BYTE_0 src1_sel:DWORD
	s_and_saveexec_b32 s15, s4
	s_cbranch_execz .LBB237_1448
; %bb.1443:                             ;   in Loop: Header=BB237_998 Depth=1
	v_mov_b32_e32 v17, 0x7f800001
	v_and_b32_e32 v9, 0x7f, v11
	v_mov_b32_e32 v18, 0
	s_mov_b32 s16, exec_lo
	v_cmpx_ne_u32_e32 0x7f, v9
	s_cbranch_execz .LBB237_1447
; %bb.1444:                             ;   in Loop: Header=BB237_998 Depth=1
	v_and_b32_e32 v5, 7, v11
	v_lshrrev_b32_e32 v7, 3, v9
	s_mov_b32 s17, exec_lo
	v_cmpx_gt_u32_e32 8, v9
; %bb.1445:                             ;   in Loop: Header=BB237_998 Depth=1
	v_ffbh_u32_e32 v7, v5
	v_min_u32_e32 v7, 32, v7
	v_subrev_nc_u32_e32 v9, 28, v7
	v_sub_nc_u32_e32 v7, 29, v7
	v_lshlrev_b64 v[17:18], v9, v[5:6]
	v_and_b32_e32 v5, 7, v17
; %bb.1446:                             ;   in Loop: Header=BB237_998 Depth=1
	s_or_b32 exec_lo, exec_lo, s17
	v_lshlrev_b32_e32 v9, 24, v11
	v_lshlrev_b32_e32 v5, 20, v5
	v_lshl_add_u32 v7, v7, 23, 0x3c000000
	v_and_b32_e32 v9, 0x80000000, v9
	v_or3_b32 v5, v5, v9, v7
	v_mov_b32_e32 v18, v6
	v_mov_b32_e32 v17, v5
.LBB237_1447:                           ;   in Loop: Header=BB237_998 Depth=1
	s_or_b32 exec_lo, exec_lo, s16
.LBB237_1448:                           ;   in Loop: Header=BB237_998 Depth=1
	s_or_b32 exec_lo, exec_lo, s15
.LBB237_1449:                           ;   in Loop: Header=BB237_998 Depth=1
	s_or_b32 exec_lo, exec_lo, s13
	v_cmp_ne_u16_sdwa s4, v11, v6 src0_sel:BYTE_1 src1_sel:DWORD
	s_and_saveexec_b32 s13, s4
	s_cbranch_execz .LBB237_1457
; %bb.1450:                             ;   in Loop: Header=BB237_998 Depth=1
	v_mov_b32_e32 v7, v6
	v_mov_b32_e32 v20, v8
	v_cmp_ne_u16_sdwa s4, v11, v86 src0_sel:BYTE_1 src1_sel:DWORD
	v_mov_b32_e32 v19, v7
	s_and_saveexec_b32 s15, s4
	s_cbranch_execz .LBB237_1456
; %bb.1451:                             ;   in Loop: Header=BB237_998 Depth=1
	v_mov_b32_e32 v5, 0xffff
	v_mov_b32_e32 v9, v6
	;; [unrolled: 1-line block ×3, first 2 shown]
	s_mov_b32 s16, exec_lo
	v_and_b32_sdwa v5, v5, v11 dst_sel:DWORD dst_unused:UNUSED_PAD src0_sel:DWORD src1_sel:BYTE_1
	v_mov_b32_e32 v19, v9
	v_and_b32_e32 v12, 0x7f, v5
	v_cmpx_ne_u32_e32 0x7f, v12
	s_cbranch_execz .LBB237_1455
; %bb.1452:                             ;   in Loop: Header=BB237_998 Depth=1
	v_and_b32_e32 v5, 7, v5
	v_lshrrev_b32_e32 v7, 3, v12
	s_mov_b32 s17, exec_lo
	v_cmpx_gt_u32_e32 8, v12
; %bb.1453:                             ;   in Loop: Header=BB237_998 Depth=1
	v_ffbh_u32_e32 v7, v5
	v_min_u32_e32 v7, 32, v7
	v_subrev_nc_u32_e32 v9, 28, v7
	v_sub_nc_u32_e32 v7, 29, v7
	v_lshlrev_b64 v[19:20], v9, v[5:6]
	v_and_b32_e32 v5, 7, v19
; %bb.1454:                             ;   in Loop: Header=BB237_998 Depth=1
	s_or_b32 exec_lo, exec_lo, s17
	v_lshlrev_b32_e32 v9, 16, v11
	v_lshlrev_b32_e32 v5, 20, v5
	v_lshl_add_u32 v7, v7, 23, 0x3c000000
	v_mov_b32_e32 v19, v6
	v_and_b32_e32 v9, 0x80000000, v9
	v_or3_b32 v20, v5, v9, v7
.LBB237_1455:                           ;   in Loop: Header=BB237_998 Depth=1
	s_or_b32 exec_lo, exec_lo, s16
.LBB237_1456:                           ;   in Loop: Header=BB237_998 Depth=1
	s_or_b32 exec_lo, exec_lo, s15
.LBB237_1457:                           ;   in Loop: Header=BB237_998 Depth=1
	s_or_b32 exec_lo, exec_lo, s13
	v_mov_b32_e32 v21, 0
	v_mov_b32_e32 v23, 0
	v_and_b32_sdwa v5, v11, v96 dst_sel:DWORD dst_unused:UNUSED_PAD src0_sel:WORD_1 src1_sel:DWORD
	v_mov_b32_e32 v22, 0
	v_mov_b32_e32 v24, 0
	s_mov_b32 s13, exec_lo
	v_cmpx_ne_u16_e32 0, v5
	s_cbranch_execz .LBB237_1465
; %bb.1458:                             ;   in Loop: Header=BB237_998 Depth=1
	v_bfrev_b32_e32 v23, 1
	v_mov_b32_e32 v24, 0
	s_mov_b32 s15, exec_lo
	v_cmpx_ne_u16_e32 0x80, v5
	s_cbranch_execz .LBB237_1464
; %bb.1459:                             ;   in Loop: Header=BB237_998 Depth=1
	v_mov_b32_e32 v23, 0x7f800001
	v_bfe_u32 v9, v11, 16, 7
	v_mov_b32_e32 v24, 0
	s_mov_b32 s16, exec_lo
	v_cmpx_ne_u32_e32 0x7f, v9
	s_cbranch_execz .LBB237_1463
; %bb.1460:                             ;   in Loop: Header=BB237_998 Depth=1
	v_mov_b32_e32 v5, 7
	v_lshrrev_b32_e32 v7, 3, v9
	s_mov_b32 s17, exec_lo
	v_and_b32_sdwa v5, v11, v5 dst_sel:DWORD dst_unused:UNUSED_PAD src0_sel:WORD_1 src1_sel:DWORD
	v_cmpx_gt_u32_e32 8, v9
; %bb.1461:                             ;   in Loop: Header=BB237_998 Depth=1
	v_ffbh_u32_e32 v7, v5
	v_min_u32_e32 v7, 32, v7
	v_subrev_nc_u32_e32 v9, 28, v7
	v_sub_nc_u32_e32 v7, 29, v7
	v_lshlrev_b64 v[23:24], v9, v[5:6]
	v_and_b32_e32 v5, 7, v23
; %bb.1462:                             ;   in Loop: Header=BB237_998 Depth=1
	s_or_b32 exec_lo, exec_lo, s17
	v_mov_b32_e32 v9, 24
	v_lshlrev_b32_e32 v5, 20, v5
	v_lshl_add_u32 v7, v7, 23, 0x3c000000
	v_lshlrev_b32_sdwa v9, v9, v11 dst_sel:DWORD dst_unused:UNUSED_PAD src0_sel:DWORD src1_sel:WORD_1
	v_and_b32_e32 v9, 0x80000000, v9
	v_or3_b32 v5, v5, v9, v7
	v_mov_b32_e32 v24, v6
	v_mov_b32_e32 v23, v5
.LBB237_1463:                           ;   in Loop: Header=BB237_998 Depth=1
	s_or_b32 exec_lo, exec_lo, s16
.LBB237_1464:                           ;   in Loop: Header=BB237_998 Depth=1
	s_or_b32 exec_lo, exec_lo, s15
.LBB237_1465:                           ;   in Loop: Header=BB237_998 Depth=1
	s_or_b32 exec_lo, exec_lo, s13
	s_mov_b32 s13, exec_lo
	v_cmpx_lt_u32_e32 0xffffff, v11
	s_cbranch_execz .LBB237_1473
; %bb.1466:                             ;   in Loop: Header=BB237_998 Depth=1
	v_mov_b32_e32 v7, v6
	v_mov_b32_e32 v22, v8
	v_cmp_ne_u32_sdwa s4, v11, v86 src0_sel:BYTE_3 src1_sel:DWORD
	v_mov_b32_e32 v21, v7
	s_and_saveexec_b32 s15, s4
	s_cbranch_execz .LBB237_1472
; %bb.1467:                             ;   in Loop: Header=BB237_998 Depth=1
	v_mov_b32_e32 v9, v6
	v_mov_b32_e32 v22, v10
	v_bfe_u32 v12, v11, 24, 7
	s_mov_b32 s16, exec_lo
	v_mov_b32_e32 v21, v9
	v_cmpx_ne_u32_e32 0x7f, v12
	s_cbranch_execz .LBB237_1471
; %bb.1468:                             ;   in Loop: Header=BB237_998 Depth=1
	v_mov_b32_e32 v5, 7
	v_lshrrev_b32_e32 v7, 3, v12
	s_mov_b32 s17, exec_lo
	v_and_b32_sdwa v5, v11, v5 dst_sel:DWORD dst_unused:UNUSED_PAD src0_sel:BYTE_3 src1_sel:DWORD
	v_cmpx_gt_u32_e32 8, v12
; %bb.1469:                             ;   in Loop: Header=BB237_998 Depth=1
	v_ffbh_u32_e32 v7, v5
	v_min_u32_e32 v7, 32, v7
	v_subrev_nc_u32_e32 v9, 28, v7
	v_sub_nc_u32_e32 v7, 29, v7
	v_lshlrev_b64 v[21:22], v9, v[5:6]
	v_and_b32_e32 v5, 7, v21
; %bb.1470:                             ;   in Loop: Header=BB237_998 Depth=1
	s_or_b32 exec_lo, exec_lo, s17
	v_mov_b32_e32 v9, 24
	v_lshlrev_b32_e32 v5, 20, v5
	v_lshl_add_u32 v7, v7, 23, 0x3c000000
	v_mov_b32_e32 v21, v6
	v_lshlrev_b32_sdwa v9, v9, v11 dst_sel:DWORD dst_unused:UNUSED_PAD src0_sel:DWORD src1_sel:BYTE_3
	v_and_b32_e32 v9, 0x80000000, v9
	v_or3_b32 v22, v5, v9, v7
.LBB237_1471:                           ;   in Loop: Header=BB237_998 Depth=1
	s_or_b32 exec_lo, exec_lo, s16
.LBB237_1472:                           ;   in Loop: Header=BB237_998 Depth=1
	s_or_b32 exec_lo, exec_lo, s15
.LBB237_1473:                           ;   in Loop: Header=BB237_998 Depth=1
	s_or_b32 exec_lo, exec_lo, s13
	v_or_b32_e32 v5, v20, v18
	v_or_b32_e32 v7, v19, v17
	;; [unrolled: 1-line block ×4, first 2 shown]
	v_mul_f32_e32 v85, v103, v5
	v_mul_f32_e32 v27, v103, v7
	;; [unrolled: 1-line block ×4, first 2 shown]
	s_and_saveexec_b32 s13, vcc_lo
	s_cbranch_execz .LBB237_1475
; %bb.1474:                             ;   in Loop: Header=BB237_998 Depth=1
	v_cmp_lt_i32_e64 s4, v115, v54
	v_cndmask_b32_e64 v27, 0, v27, s4
	v_cmp_lt_i32_e64 s4, v118, v54
	v_cndmask_b32_e64 v85, 0, v85, s4
	;; [unrolled: 2-line block ×4, first 2 shown]
.LBB237_1475:                           ;   in Loop: Header=BB237_998 Depth=1
	s_or_b32 exec_lo, exec_lo, s13
	flat_load_dword v11, v[13:14] offset:1792
	v_mov_b32_e32 v19, 0
	v_mov_b32_e32 v17, 0
	;; [unrolled: 1-line block ×4, first 2 shown]
	s_waitcnt vmcnt(0) lgkmcnt(0)
	v_cmp_ne_u16_sdwa s4, v11, v6 src0_sel:BYTE_0 src1_sel:DWORD
	s_and_saveexec_b32 s13, s4
	s_cbranch_execz .LBB237_1483
; %bb.1476:                             ;   in Loop: Header=BB237_998 Depth=1
	v_bfrev_b32_e32 v17, 1
	v_mov_b32_e32 v18, 0
	v_cmp_ne_u16_sdwa s4, v11, v86 src0_sel:BYTE_0 src1_sel:DWORD
	s_and_saveexec_b32 s15, s4
	s_cbranch_execz .LBB237_1482
; %bb.1477:                             ;   in Loop: Header=BB237_998 Depth=1
	v_mov_b32_e32 v17, 0x7f800001
	v_and_b32_e32 v9, 0x7f, v11
	v_mov_b32_e32 v18, 0
	s_mov_b32 s16, exec_lo
	v_cmpx_ne_u32_e32 0x7f, v9
	s_cbranch_execz .LBB237_1481
; %bb.1478:                             ;   in Loop: Header=BB237_998 Depth=1
	v_and_b32_e32 v5, 7, v11
	v_lshrrev_b32_e32 v7, 3, v9
	s_mov_b32 s17, exec_lo
	v_cmpx_gt_u32_e32 8, v9
; %bb.1479:                             ;   in Loop: Header=BB237_998 Depth=1
	v_ffbh_u32_e32 v7, v5
	v_min_u32_e32 v7, 32, v7
	v_subrev_nc_u32_e32 v9, 28, v7
	v_sub_nc_u32_e32 v7, 29, v7
	v_lshlrev_b64 v[17:18], v9, v[5:6]
	v_and_b32_e32 v5, 7, v17
; %bb.1480:                             ;   in Loop: Header=BB237_998 Depth=1
	s_or_b32 exec_lo, exec_lo, s17
	v_lshlrev_b32_e32 v9, 24, v11
	v_lshlrev_b32_e32 v5, 20, v5
	v_lshl_add_u32 v7, v7, 23, 0x3c000000
	v_and_b32_e32 v9, 0x80000000, v9
	v_or3_b32 v5, v5, v9, v7
	v_mov_b32_e32 v18, v6
	v_mov_b32_e32 v17, v5
.LBB237_1481:                           ;   in Loop: Header=BB237_998 Depth=1
	s_or_b32 exec_lo, exec_lo, s16
.LBB237_1482:                           ;   in Loop: Header=BB237_998 Depth=1
	s_or_b32 exec_lo, exec_lo, s15
.LBB237_1483:                           ;   in Loop: Header=BB237_998 Depth=1
	s_or_b32 exec_lo, exec_lo, s13
	v_cmp_ne_u16_sdwa s4, v11, v6 src0_sel:BYTE_1 src1_sel:DWORD
	s_and_saveexec_b32 s13, s4
	s_cbranch_execz .LBB237_1491
; %bb.1484:                             ;   in Loop: Header=BB237_998 Depth=1
	v_mov_b32_e32 v7, v6
	v_mov_b32_e32 v20, v8
	v_cmp_ne_u16_sdwa s4, v11, v86 src0_sel:BYTE_1 src1_sel:DWORD
	v_mov_b32_e32 v19, v7
	s_and_saveexec_b32 s15, s4
	s_cbranch_execz .LBB237_1490
; %bb.1485:                             ;   in Loop: Header=BB237_998 Depth=1
	v_mov_b32_e32 v5, 0xffff
	v_mov_b32_e32 v9, v6
	;; [unrolled: 1-line block ×3, first 2 shown]
	s_mov_b32 s16, exec_lo
	v_and_b32_sdwa v5, v5, v11 dst_sel:DWORD dst_unused:UNUSED_PAD src0_sel:DWORD src1_sel:BYTE_1
	v_mov_b32_e32 v19, v9
	v_and_b32_e32 v12, 0x7f, v5
	v_cmpx_ne_u32_e32 0x7f, v12
	s_cbranch_execz .LBB237_1489
; %bb.1486:                             ;   in Loop: Header=BB237_998 Depth=1
	v_and_b32_e32 v5, 7, v5
	v_lshrrev_b32_e32 v7, 3, v12
	s_mov_b32 s17, exec_lo
	v_cmpx_gt_u32_e32 8, v12
; %bb.1487:                             ;   in Loop: Header=BB237_998 Depth=1
	v_ffbh_u32_e32 v7, v5
	v_min_u32_e32 v7, 32, v7
	v_subrev_nc_u32_e32 v9, 28, v7
	v_sub_nc_u32_e32 v7, 29, v7
	v_lshlrev_b64 v[19:20], v9, v[5:6]
	v_and_b32_e32 v5, 7, v19
; %bb.1488:                             ;   in Loop: Header=BB237_998 Depth=1
	s_or_b32 exec_lo, exec_lo, s17
	v_lshlrev_b32_e32 v9, 16, v11
	v_lshlrev_b32_e32 v5, 20, v5
	v_lshl_add_u32 v7, v7, 23, 0x3c000000
	v_mov_b32_e32 v19, v6
	v_and_b32_e32 v9, 0x80000000, v9
	v_or3_b32 v20, v5, v9, v7
.LBB237_1489:                           ;   in Loop: Header=BB237_998 Depth=1
	s_or_b32 exec_lo, exec_lo, s16
.LBB237_1490:                           ;   in Loop: Header=BB237_998 Depth=1
	s_or_b32 exec_lo, exec_lo, s15
.LBB237_1491:                           ;   in Loop: Header=BB237_998 Depth=1
	s_or_b32 exec_lo, exec_lo, s13
	v_mov_b32_e32 v21, 0
	v_mov_b32_e32 v23, 0
	v_and_b32_sdwa v5, v11, v96 dst_sel:DWORD dst_unused:UNUSED_PAD src0_sel:WORD_1 src1_sel:DWORD
	v_mov_b32_e32 v22, 0
	v_mov_b32_e32 v24, 0
	s_mov_b32 s13, exec_lo
	v_cmpx_ne_u16_e32 0, v5
	s_cbranch_execz .LBB237_1499
; %bb.1492:                             ;   in Loop: Header=BB237_998 Depth=1
	v_bfrev_b32_e32 v23, 1
	v_mov_b32_e32 v24, 0
	s_mov_b32 s15, exec_lo
	v_cmpx_ne_u16_e32 0x80, v5
	s_cbranch_execz .LBB237_1498
; %bb.1493:                             ;   in Loop: Header=BB237_998 Depth=1
	v_mov_b32_e32 v23, 0x7f800001
	v_bfe_u32 v9, v11, 16, 7
	v_mov_b32_e32 v24, 0
	s_mov_b32 s16, exec_lo
	v_cmpx_ne_u32_e32 0x7f, v9
	s_cbranch_execz .LBB237_1497
; %bb.1494:                             ;   in Loop: Header=BB237_998 Depth=1
	v_mov_b32_e32 v5, 7
	v_lshrrev_b32_e32 v7, 3, v9
	s_mov_b32 s17, exec_lo
	v_and_b32_sdwa v5, v11, v5 dst_sel:DWORD dst_unused:UNUSED_PAD src0_sel:WORD_1 src1_sel:DWORD
	v_cmpx_gt_u32_e32 8, v9
; %bb.1495:                             ;   in Loop: Header=BB237_998 Depth=1
	v_ffbh_u32_e32 v7, v5
	v_min_u32_e32 v7, 32, v7
	v_subrev_nc_u32_e32 v9, 28, v7
	v_sub_nc_u32_e32 v7, 29, v7
	v_lshlrev_b64 v[23:24], v9, v[5:6]
	v_and_b32_e32 v5, 7, v23
; %bb.1496:                             ;   in Loop: Header=BB237_998 Depth=1
	s_or_b32 exec_lo, exec_lo, s17
	v_mov_b32_e32 v9, 24
	v_lshlrev_b32_e32 v5, 20, v5
	v_lshl_add_u32 v7, v7, 23, 0x3c000000
	v_lshlrev_b32_sdwa v9, v9, v11 dst_sel:DWORD dst_unused:UNUSED_PAD src0_sel:DWORD src1_sel:WORD_1
	v_and_b32_e32 v9, 0x80000000, v9
	v_or3_b32 v5, v5, v9, v7
	v_mov_b32_e32 v24, v6
	v_mov_b32_e32 v23, v5
.LBB237_1497:                           ;   in Loop: Header=BB237_998 Depth=1
	s_or_b32 exec_lo, exec_lo, s16
.LBB237_1498:                           ;   in Loop: Header=BB237_998 Depth=1
	s_or_b32 exec_lo, exec_lo, s15
.LBB237_1499:                           ;   in Loop: Header=BB237_998 Depth=1
	s_or_b32 exec_lo, exec_lo, s13
	s_mov_b32 s13, exec_lo
	v_cmpx_lt_u32_e32 0xffffff, v11
	s_cbranch_execz .LBB237_1507
; %bb.1500:                             ;   in Loop: Header=BB237_998 Depth=1
	v_mov_b32_e32 v7, v6
	v_mov_b32_e32 v22, v8
	v_cmp_ne_u32_sdwa s4, v11, v86 src0_sel:BYTE_3 src1_sel:DWORD
	v_mov_b32_e32 v21, v7
	s_and_saveexec_b32 s15, s4
	s_cbranch_execz .LBB237_1506
; %bb.1501:                             ;   in Loop: Header=BB237_998 Depth=1
	v_mov_b32_e32 v9, v6
	v_mov_b32_e32 v22, v10
	v_bfe_u32 v12, v11, 24, 7
	s_mov_b32 s16, exec_lo
	v_mov_b32_e32 v21, v9
	v_cmpx_ne_u32_e32 0x7f, v12
	s_cbranch_execz .LBB237_1505
; %bb.1502:                             ;   in Loop: Header=BB237_998 Depth=1
	v_mov_b32_e32 v5, 7
	v_lshrrev_b32_e32 v7, 3, v12
	s_mov_b32 s17, exec_lo
	v_and_b32_sdwa v5, v11, v5 dst_sel:DWORD dst_unused:UNUSED_PAD src0_sel:BYTE_3 src1_sel:DWORD
	v_cmpx_gt_u32_e32 8, v12
; %bb.1503:                             ;   in Loop: Header=BB237_998 Depth=1
	v_ffbh_u32_e32 v7, v5
	v_min_u32_e32 v7, 32, v7
	v_subrev_nc_u32_e32 v9, 28, v7
	v_sub_nc_u32_e32 v7, 29, v7
	v_lshlrev_b64 v[21:22], v9, v[5:6]
	v_and_b32_e32 v5, 7, v21
; %bb.1504:                             ;   in Loop: Header=BB237_998 Depth=1
	s_or_b32 exec_lo, exec_lo, s17
	v_mov_b32_e32 v9, 24
	v_lshlrev_b32_e32 v5, 20, v5
	v_lshl_add_u32 v7, v7, 23, 0x3c000000
	v_mov_b32_e32 v21, v6
	v_lshlrev_b32_sdwa v9, v9, v11 dst_sel:DWORD dst_unused:UNUSED_PAD src0_sel:DWORD src1_sel:BYTE_3
	v_and_b32_e32 v9, 0x80000000, v9
	v_or3_b32 v22, v5, v9, v7
.LBB237_1505:                           ;   in Loop: Header=BB237_998 Depth=1
	s_or_b32 exec_lo, exec_lo, s16
.LBB237_1506:                           ;   in Loop: Header=BB237_998 Depth=1
	s_or_b32 exec_lo, exec_lo, s15
.LBB237_1507:                           ;   in Loop: Header=BB237_998 Depth=1
	s_or_b32 exec_lo, exec_lo, s13
	v_or_b32_e32 v5, v20, v18
	v_or_b32_e32 v7, v19, v17
	v_or_b32_e32 v9, v21, v23
	v_or_b32_e32 v17, v22, v24
	v_mul_f32_e32 v101, v103, v5
	v_mul_f32_e32 v12, v103, v7
	;; [unrolled: 1-line block ×4, first 2 shown]
	s_and_saveexec_b32 s13, vcc_lo
	s_cbranch_execz .LBB237_1509
; %bb.1508:                             ;   in Loop: Header=BB237_998 Depth=1
	v_cmp_lt_i32_e64 s4, v115, v54
	v_cndmask_b32_e64 v12, 0, v12, s4
	v_cmp_lt_i32_e64 s4, v118, v54
	v_cndmask_b32_e64 v101, 0, v101, s4
	v_cmp_lt_i32_e64 s4, v117, v54
	v_cndmask_b32_e64 v11, 0, v11, s4
	v_cmp_lt_i32_e64 s4, v116, v54
	v_cndmask_b32_e64 v99, 0, v99, s4
.LBB237_1509:                           ;   in Loop: Header=BB237_998 Depth=1
	s_or_b32 exec_lo, exec_lo, s13
	flat_load_dword v28, v[13:14] offset:1920
	v_mov_b32_e32 v19, 0
	v_mov_b32_e32 v17, 0
	;; [unrolled: 1-line block ×4, first 2 shown]
	s_waitcnt vmcnt(0) lgkmcnt(0)
	v_cmp_ne_u16_sdwa s4, v28, v6 src0_sel:BYTE_0 src1_sel:DWORD
	s_and_saveexec_b32 s13, s4
	s_cbranch_execz .LBB237_1517
; %bb.1510:                             ;   in Loop: Header=BB237_998 Depth=1
	v_bfrev_b32_e32 v17, 1
	v_mov_b32_e32 v18, 0
	v_cmp_ne_u16_sdwa s4, v28, v86 src0_sel:BYTE_0 src1_sel:DWORD
	s_and_saveexec_b32 s15, s4
	s_cbranch_execz .LBB237_1516
; %bb.1511:                             ;   in Loop: Header=BB237_998 Depth=1
	v_mov_b32_e32 v17, 0x7f800001
	v_and_b32_e32 v9, 0x7f, v28
	v_mov_b32_e32 v18, 0
	s_mov_b32 s16, exec_lo
	v_cmpx_ne_u32_e32 0x7f, v9
	s_cbranch_execz .LBB237_1515
; %bb.1512:                             ;   in Loop: Header=BB237_998 Depth=1
	v_and_b32_e32 v5, 7, v28
	v_lshrrev_b32_e32 v7, 3, v9
	s_mov_b32 s17, exec_lo
	v_cmpx_gt_u32_e32 8, v9
; %bb.1513:                             ;   in Loop: Header=BB237_998 Depth=1
	v_ffbh_u32_e32 v7, v5
	v_min_u32_e32 v7, 32, v7
	v_subrev_nc_u32_e32 v9, 28, v7
	v_sub_nc_u32_e32 v7, 29, v7
	v_lshlrev_b64 v[17:18], v9, v[5:6]
	v_and_b32_e32 v5, 7, v17
; %bb.1514:                             ;   in Loop: Header=BB237_998 Depth=1
	s_or_b32 exec_lo, exec_lo, s17
	v_lshlrev_b32_e32 v9, 24, v28
	v_lshlrev_b32_e32 v5, 20, v5
	v_lshl_add_u32 v7, v7, 23, 0x3c000000
	v_and_b32_e32 v9, 0x80000000, v9
	v_or3_b32 v5, v5, v9, v7
	v_mov_b32_e32 v18, v6
	v_mov_b32_e32 v17, v5
.LBB237_1515:                           ;   in Loop: Header=BB237_998 Depth=1
	s_or_b32 exec_lo, exec_lo, s16
.LBB237_1516:                           ;   in Loop: Header=BB237_998 Depth=1
	s_or_b32 exec_lo, exec_lo, s15
.LBB237_1517:                           ;   in Loop: Header=BB237_998 Depth=1
	s_or_b32 exec_lo, exec_lo, s13
	v_cmp_ne_u16_sdwa s4, v28, v6 src0_sel:BYTE_1 src1_sel:DWORD
	s_and_saveexec_b32 s13, s4
	s_cbranch_execz .LBB237_1525
; %bb.1518:                             ;   in Loop: Header=BB237_998 Depth=1
	v_mov_b32_e32 v7, v6
	v_mov_b32_e32 v20, v8
	v_cmp_ne_u16_sdwa s4, v28, v86 src0_sel:BYTE_1 src1_sel:DWORD
	v_mov_b32_e32 v19, v7
	s_and_saveexec_b32 s15, s4
	s_cbranch_execz .LBB237_1524
; %bb.1519:                             ;   in Loop: Header=BB237_998 Depth=1
	v_mov_b32_e32 v5, 0xffff
	v_mov_b32_e32 v9, v6
	;; [unrolled: 1-line block ×3, first 2 shown]
	s_mov_b32 s16, exec_lo
	v_and_b32_sdwa v5, v5, v28 dst_sel:DWORD dst_unused:UNUSED_PAD src0_sel:DWORD src1_sel:BYTE_1
	v_mov_b32_e32 v19, v9
	v_and_b32_e32 v21, 0x7f, v5
	v_cmpx_ne_u32_e32 0x7f, v21
	s_cbranch_execz .LBB237_1523
; %bb.1520:                             ;   in Loop: Header=BB237_998 Depth=1
	v_and_b32_e32 v5, 7, v5
	v_lshrrev_b32_e32 v7, 3, v21
	s_mov_b32 s17, exec_lo
	v_cmpx_gt_u32_e32 8, v21
; %bb.1521:                             ;   in Loop: Header=BB237_998 Depth=1
	v_ffbh_u32_e32 v7, v5
	v_min_u32_e32 v7, 32, v7
	v_subrev_nc_u32_e32 v9, 28, v7
	v_sub_nc_u32_e32 v7, 29, v7
	v_lshlrev_b64 v[19:20], v9, v[5:6]
	v_and_b32_e32 v5, 7, v19
; %bb.1522:                             ;   in Loop: Header=BB237_998 Depth=1
	s_or_b32 exec_lo, exec_lo, s17
	v_lshlrev_b32_e32 v9, 16, v28
	v_lshlrev_b32_e32 v5, 20, v5
	v_lshl_add_u32 v7, v7, 23, 0x3c000000
	v_mov_b32_e32 v19, v6
	v_and_b32_e32 v9, 0x80000000, v9
	v_or3_b32 v20, v5, v9, v7
.LBB237_1523:                           ;   in Loop: Header=BB237_998 Depth=1
	s_or_b32 exec_lo, exec_lo, s16
.LBB237_1524:                           ;   in Loop: Header=BB237_998 Depth=1
	s_or_b32 exec_lo, exec_lo, s15
.LBB237_1525:                           ;   in Loop: Header=BB237_998 Depth=1
	s_or_b32 exec_lo, exec_lo, s13
	v_mov_b32_e32 v21, 0
	v_mov_b32_e32 v23, 0
	v_and_b32_sdwa v5, v28, v96 dst_sel:DWORD dst_unused:UNUSED_PAD src0_sel:WORD_1 src1_sel:DWORD
	v_mov_b32_e32 v22, 0
	v_mov_b32_e32 v24, 0
	s_mov_b32 s13, exec_lo
	v_cmpx_ne_u16_e32 0, v5
	s_cbranch_execz .LBB237_1533
; %bb.1526:                             ;   in Loop: Header=BB237_998 Depth=1
	v_bfrev_b32_e32 v23, 1
	v_mov_b32_e32 v24, 0
	s_mov_b32 s15, exec_lo
	v_cmpx_ne_u16_e32 0x80, v5
	s_cbranch_execz .LBB237_1532
; %bb.1527:                             ;   in Loop: Header=BB237_998 Depth=1
	v_mov_b32_e32 v23, 0x7f800001
	v_bfe_u32 v9, v28, 16, 7
	v_mov_b32_e32 v24, 0
	s_mov_b32 s16, exec_lo
	v_cmpx_ne_u32_e32 0x7f, v9
	s_cbranch_execz .LBB237_1531
; %bb.1528:                             ;   in Loop: Header=BB237_998 Depth=1
	v_mov_b32_e32 v5, 7
	v_lshrrev_b32_e32 v7, 3, v9
	s_mov_b32 s17, exec_lo
	v_and_b32_sdwa v5, v28, v5 dst_sel:DWORD dst_unused:UNUSED_PAD src0_sel:WORD_1 src1_sel:DWORD
	v_cmpx_gt_u32_e32 8, v9
; %bb.1529:                             ;   in Loop: Header=BB237_998 Depth=1
	v_ffbh_u32_e32 v7, v5
	v_min_u32_e32 v7, 32, v7
	v_subrev_nc_u32_e32 v9, 28, v7
	v_sub_nc_u32_e32 v7, 29, v7
	v_lshlrev_b64 v[23:24], v9, v[5:6]
	v_and_b32_e32 v5, 7, v23
; %bb.1530:                             ;   in Loop: Header=BB237_998 Depth=1
	s_or_b32 exec_lo, exec_lo, s17
	v_mov_b32_e32 v9, 24
	v_lshlrev_b32_e32 v5, 20, v5
	v_lshl_add_u32 v7, v7, 23, 0x3c000000
	v_lshlrev_b32_sdwa v9, v9, v28 dst_sel:DWORD dst_unused:UNUSED_PAD src0_sel:DWORD src1_sel:WORD_1
	v_and_b32_e32 v9, 0x80000000, v9
	v_or3_b32 v5, v5, v9, v7
	v_mov_b32_e32 v24, v6
	v_mov_b32_e32 v23, v5
.LBB237_1531:                           ;   in Loop: Header=BB237_998 Depth=1
	s_or_b32 exec_lo, exec_lo, s16
.LBB237_1532:                           ;   in Loop: Header=BB237_998 Depth=1
	s_or_b32 exec_lo, exec_lo, s15
.LBB237_1533:                           ;   in Loop: Header=BB237_998 Depth=1
	s_or_b32 exec_lo, exec_lo, s13
	s_mov_b32 s13, exec_lo
	v_cmpx_lt_u32_e32 0xffffff, v28
	s_cbranch_execz .LBB237_1541
; %bb.1534:                             ;   in Loop: Header=BB237_998 Depth=1
	v_mov_b32_e32 v7, v6
	v_mov_b32_e32 v22, v8
	v_cmp_ne_u32_sdwa s4, v28, v86 src0_sel:BYTE_3 src1_sel:DWORD
	v_mov_b32_e32 v21, v7
	s_and_saveexec_b32 s15, s4
	s_cbranch_execz .LBB237_1540
; %bb.1535:                             ;   in Loop: Header=BB237_998 Depth=1
	v_mov_b32_e32 v9, v6
	v_mov_b32_e32 v22, v10
	v_bfe_u32 v29, v28, 24, 7
	s_mov_b32 s16, exec_lo
	v_mov_b32_e32 v21, v9
	v_cmpx_ne_u32_e32 0x7f, v29
	s_cbranch_execz .LBB237_1539
; %bb.1536:                             ;   in Loop: Header=BB237_998 Depth=1
	v_mov_b32_e32 v5, 7
	v_lshrrev_b32_e32 v7, 3, v29
	s_mov_b32 s17, exec_lo
	v_and_b32_sdwa v5, v28, v5 dst_sel:DWORD dst_unused:UNUSED_PAD src0_sel:BYTE_3 src1_sel:DWORD
	v_cmpx_gt_u32_e32 8, v29
; %bb.1537:                             ;   in Loop: Header=BB237_998 Depth=1
	v_ffbh_u32_e32 v7, v5
	v_min_u32_e32 v7, 32, v7
	v_subrev_nc_u32_e32 v9, 28, v7
	v_sub_nc_u32_e32 v7, 29, v7
	v_lshlrev_b64 v[21:22], v9, v[5:6]
	v_and_b32_e32 v5, 7, v21
; %bb.1538:                             ;   in Loop: Header=BB237_998 Depth=1
	s_or_b32 exec_lo, exec_lo, s17
	v_mov_b32_e32 v9, 24
	v_lshlrev_b32_e32 v5, 20, v5
	v_lshl_add_u32 v7, v7, 23, 0x3c000000
	v_mov_b32_e32 v21, v6
	v_lshlrev_b32_sdwa v9, v9, v28 dst_sel:DWORD dst_unused:UNUSED_PAD src0_sel:DWORD src1_sel:BYTE_3
	v_and_b32_e32 v9, 0x80000000, v9
	v_or3_b32 v22, v5, v9, v7
.LBB237_1539:                           ;   in Loop: Header=BB237_998 Depth=1
	s_or_b32 exec_lo, exec_lo, s16
.LBB237_1540:                           ;   in Loop: Header=BB237_998 Depth=1
	s_or_b32 exec_lo, exec_lo, s15
.LBB237_1541:                           ;   in Loop: Header=BB237_998 Depth=1
	s_or_b32 exec_lo, exec_lo, s13
	v_or_b32_e32 v5, v20, v18
	v_or_b32_e32 v7, v19, v17
	v_or_b32_e32 v9, v21, v23
	v_or_b32_e32 v17, v22, v24
	v_mul_f32_e32 v31, v103, v5
	v_mul_f32_e32 v30, v103, v7
	;; [unrolled: 1-line block ×4, first 2 shown]
	s_and_saveexec_b32 s13, vcc_lo
	s_cbranch_execz .LBB237_1543
; %bb.1542:                             ;   in Loop: Header=BB237_998 Depth=1
	v_cmp_lt_i32_e64 s4, v115, v54
	v_cndmask_b32_e64 v30, 0, v30, s4
	v_cmp_lt_i32_e64 s4, v118, v54
	v_cndmask_b32_e64 v31, 0, v31, s4
	;; [unrolled: 2-line block ×4, first 2 shown]
.LBB237_1543:                           ;   in Loop: Header=BB237_998 Depth=1
	s_or_b32 exec_lo, exec_lo, s13
	v_add_co_u32 v13, s4, 0x800, v13
	v_add_co_ci_u32_e64 v14, null, 0, v14, s4
	v_mov_b32_e32 v19, 0
	v_mov_b32_e32 v17, 0
	;; [unrolled: 1-line block ×3, first 2 shown]
	flat_load_dword v32, v[13:14]
	v_mov_b32_e32 v18, 0
	s_waitcnt vmcnt(0) lgkmcnt(0)
	v_cmp_ne_u16_sdwa s4, v32, v6 src0_sel:BYTE_0 src1_sel:DWORD
	s_and_saveexec_b32 s13, s4
	s_cbranch_execz .LBB237_1551
; %bb.1544:                             ;   in Loop: Header=BB237_998 Depth=1
	v_bfrev_b32_e32 v17, 1
	v_mov_b32_e32 v18, 0
	v_cmp_ne_u16_sdwa s4, v32, v86 src0_sel:BYTE_0 src1_sel:DWORD
	s_and_saveexec_b32 s15, s4
	s_cbranch_execz .LBB237_1550
; %bb.1545:                             ;   in Loop: Header=BB237_998 Depth=1
	v_mov_b32_e32 v17, 0x7f800001
	v_and_b32_e32 v9, 0x7f, v32
	v_mov_b32_e32 v18, 0
	s_mov_b32 s16, exec_lo
	v_cmpx_ne_u32_e32 0x7f, v9
	s_cbranch_execz .LBB237_1549
; %bb.1546:                             ;   in Loop: Header=BB237_998 Depth=1
	v_and_b32_e32 v5, 7, v32
	v_lshrrev_b32_e32 v7, 3, v9
	s_mov_b32 s17, exec_lo
	v_cmpx_gt_u32_e32 8, v9
; %bb.1547:                             ;   in Loop: Header=BB237_998 Depth=1
	v_ffbh_u32_e32 v7, v5
	v_min_u32_e32 v7, 32, v7
	v_subrev_nc_u32_e32 v9, 28, v7
	v_sub_nc_u32_e32 v7, 29, v7
	v_lshlrev_b64 v[17:18], v9, v[5:6]
	v_and_b32_e32 v5, 7, v17
; %bb.1548:                             ;   in Loop: Header=BB237_998 Depth=1
	s_or_b32 exec_lo, exec_lo, s17
	v_lshlrev_b32_e32 v9, 24, v32
	v_lshlrev_b32_e32 v5, 20, v5
	v_lshl_add_u32 v7, v7, 23, 0x3c000000
	v_and_b32_e32 v9, 0x80000000, v9
	v_or3_b32 v5, v5, v9, v7
	v_mov_b32_e32 v18, v6
	v_mov_b32_e32 v17, v5
.LBB237_1549:                           ;   in Loop: Header=BB237_998 Depth=1
	s_or_b32 exec_lo, exec_lo, s16
.LBB237_1550:                           ;   in Loop: Header=BB237_998 Depth=1
	s_or_b32 exec_lo, exec_lo, s15
.LBB237_1551:                           ;   in Loop: Header=BB237_998 Depth=1
	s_or_b32 exec_lo, exec_lo, s13
	v_cmp_ne_u16_sdwa s4, v32, v6 src0_sel:BYTE_1 src1_sel:DWORD
	s_and_saveexec_b32 s13, s4
	s_cbranch_execz .LBB237_1559
; %bb.1552:                             ;   in Loop: Header=BB237_998 Depth=1
	v_mov_b32_e32 v7, v6
	v_mov_b32_e32 v20, v8
	v_cmp_ne_u16_sdwa s4, v32, v86 src0_sel:BYTE_1 src1_sel:DWORD
	v_mov_b32_e32 v19, v7
	s_and_saveexec_b32 s15, s4
	s_cbranch_execz .LBB237_1558
; %bb.1553:                             ;   in Loop: Header=BB237_998 Depth=1
	v_mov_b32_e32 v5, 0xffff
	v_mov_b32_e32 v9, v6
	;; [unrolled: 1-line block ×3, first 2 shown]
	s_mov_b32 s16, exec_lo
	v_and_b32_sdwa v5, v5, v32 dst_sel:DWORD dst_unused:UNUSED_PAD src0_sel:DWORD src1_sel:BYTE_1
	v_mov_b32_e32 v19, v9
	v_and_b32_e32 v21, 0x7f, v5
	v_cmpx_ne_u32_e32 0x7f, v21
	s_cbranch_execz .LBB237_1557
; %bb.1554:                             ;   in Loop: Header=BB237_998 Depth=1
	v_and_b32_e32 v5, 7, v5
	v_lshrrev_b32_e32 v7, 3, v21
	s_mov_b32 s17, exec_lo
	v_cmpx_gt_u32_e32 8, v21
; %bb.1555:                             ;   in Loop: Header=BB237_998 Depth=1
	v_ffbh_u32_e32 v7, v5
	v_min_u32_e32 v7, 32, v7
	v_subrev_nc_u32_e32 v9, 28, v7
	v_sub_nc_u32_e32 v7, 29, v7
	v_lshlrev_b64 v[19:20], v9, v[5:6]
	v_and_b32_e32 v5, 7, v19
; %bb.1556:                             ;   in Loop: Header=BB237_998 Depth=1
	s_or_b32 exec_lo, exec_lo, s17
	v_lshlrev_b32_e32 v9, 16, v32
	v_lshlrev_b32_e32 v5, 20, v5
	v_lshl_add_u32 v7, v7, 23, 0x3c000000
	v_mov_b32_e32 v19, v6
	v_and_b32_e32 v9, 0x80000000, v9
	v_or3_b32 v20, v5, v9, v7
.LBB237_1557:                           ;   in Loop: Header=BB237_998 Depth=1
	s_or_b32 exec_lo, exec_lo, s16
.LBB237_1558:                           ;   in Loop: Header=BB237_998 Depth=1
	s_or_b32 exec_lo, exec_lo, s15
.LBB237_1559:                           ;   in Loop: Header=BB237_998 Depth=1
	s_or_b32 exec_lo, exec_lo, s13
	v_mov_b32_e32 v21, 0
	v_mov_b32_e32 v23, 0
	v_and_b32_sdwa v5, v32, v96 dst_sel:DWORD dst_unused:UNUSED_PAD src0_sel:WORD_1 src1_sel:DWORD
	v_mov_b32_e32 v22, 0
	v_mov_b32_e32 v24, 0
	s_mov_b32 s13, exec_lo
	v_cmpx_ne_u16_e32 0, v5
	s_cbranch_execz .LBB237_1567
; %bb.1560:                             ;   in Loop: Header=BB237_998 Depth=1
	v_bfrev_b32_e32 v23, 1
	v_mov_b32_e32 v24, 0
	s_mov_b32 s15, exec_lo
	v_cmpx_ne_u16_e32 0x80, v5
	s_cbranch_execz .LBB237_1566
; %bb.1561:                             ;   in Loop: Header=BB237_998 Depth=1
	v_mov_b32_e32 v23, 0x7f800001
	v_bfe_u32 v9, v32, 16, 7
	v_mov_b32_e32 v24, 0
	s_mov_b32 s16, exec_lo
	v_cmpx_ne_u32_e32 0x7f, v9
	s_cbranch_execz .LBB237_1565
; %bb.1562:                             ;   in Loop: Header=BB237_998 Depth=1
	v_mov_b32_e32 v5, 7
	v_lshrrev_b32_e32 v7, 3, v9
	s_mov_b32 s17, exec_lo
	v_and_b32_sdwa v5, v32, v5 dst_sel:DWORD dst_unused:UNUSED_PAD src0_sel:WORD_1 src1_sel:DWORD
	v_cmpx_gt_u32_e32 8, v9
; %bb.1563:                             ;   in Loop: Header=BB237_998 Depth=1
	v_ffbh_u32_e32 v7, v5
	v_min_u32_e32 v7, 32, v7
	v_subrev_nc_u32_e32 v9, 28, v7
	v_sub_nc_u32_e32 v7, 29, v7
	v_lshlrev_b64 v[23:24], v9, v[5:6]
	v_and_b32_e32 v5, 7, v23
; %bb.1564:                             ;   in Loop: Header=BB237_998 Depth=1
	s_or_b32 exec_lo, exec_lo, s17
	v_mov_b32_e32 v9, 24
	v_lshlrev_b32_e32 v5, 20, v5
	v_lshl_add_u32 v7, v7, 23, 0x3c000000
	v_lshlrev_b32_sdwa v9, v9, v32 dst_sel:DWORD dst_unused:UNUSED_PAD src0_sel:DWORD src1_sel:WORD_1
	v_and_b32_e32 v9, 0x80000000, v9
	v_or3_b32 v5, v5, v9, v7
	v_mov_b32_e32 v24, v6
	v_mov_b32_e32 v23, v5
.LBB237_1565:                           ;   in Loop: Header=BB237_998 Depth=1
	s_or_b32 exec_lo, exec_lo, s16
.LBB237_1566:                           ;   in Loop: Header=BB237_998 Depth=1
	s_or_b32 exec_lo, exec_lo, s15
.LBB237_1567:                           ;   in Loop: Header=BB237_998 Depth=1
	s_or_b32 exec_lo, exec_lo, s13
	s_mov_b32 s13, exec_lo
	v_cmpx_lt_u32_e32 0xffffff, v32
	s_cbranch_execz .LBB237_1575
; %bb.1568:                             ;   in Loop: Header=BB237_998 Depth=1
	v_mov_b32_e32 v7, v6
	v_mov_b32_e32 v22, v8
	v_cmp_ne_u32_sdwa s4, v32, v86 src0_sel:BYTE_3 src1_sel:DWORD
	v_mov_b32_e32 v21, v7
	s_and_saveexec_b32 s15, s4
	s_cbranch_execz .LBB237_1574
; %bb.1569:                             ;   in Loop: Header=BB237_998 Depth=1
	v_mov_b32_e32 v9, v6
	v_mov_b32_e32 v22, v10
	v_bfe_u32 v33, v32, 24, 7
	s_mov_b32 s16, exec_lo
	v_mov_b32_e32 v21, v9
	v_cmpx_ne_u32_e32 0x7f, v33
	s_cbranch_execz .LBB237_1573
; %bb.1570:                             ;   in Loop: Header=BB237_998 Depth=1
	v_mov_b32_e32 v5, 7
	v_lshrrev_b32_e32 v7, 3, v33
	s_mov_b32 s17, exec_lo
	v_and_b32_sdwa v5, v32, v5 dst_sel:DWORD dst_unused:UNUSED_PAD src0_sel:BYTE_3 src1_sel:DWORD
	v_cmpx_gt_u32_e32 8, v33
; %bb.1571:                             ;   in Loop: Header=BB237_998 Depth=1
	v_ffbh_u32_e32 v7, v5
	v_min_u32_e32 v7, 32, v7
	v_subrev_nc_u32_e32 v9, 28, v7
	v_sub_nc_u32_e32 v7, 29, v7
	v_lshlrev_b64 v[21:22], v9, v[5:6]
	v_and_b32_e32 v5, 7, v21
; %bb.1572:                             ;   in Loop: Header=BB237_998 Depth=1
	s_or_b32 exec_lo, exec_lo, s17
	v_mov_b32_e32 v9, 24
	v_lshlrev_b32_e32 v5, 20, v5
	v_lshl_add_u32 v7, v7, 23, 0x3c000000
	v_mov_b32_e32 v21, v6
	v_lshlrev_b32_sdwa v9, v9, v32 dst_sel:DWORD dst_unused:UNUSED_PAD src0_sel:DWORD src1_sel:BYTE_3
	v_and_b32_e32 v9, 0x80000000, v9
	v_or3_b32 v22, v5, v9, v7
.LBB237_1573:                           ;   in Loop: Header=BB237_998 Depth=1
	s_or_b32 exec_lo, exec_lo, s16
.LBB237_1574:                           ;   in Loop: Header=BB237_998 Depth=1
	s_or_b32 exec_lo, exec_lo, s15
.LBB237_1575:                           ;   in Loop: Header=BB237_998 Depth=1
	s_or_b32 exec_lo, exec_lo, s13
	v_or_b32_e32 v5, v20, v18
	v_or_b32_e32 v7, v19, v17
	;; [unrolled: 1-line block ×4, first 2 shown]
	v_mul_f32_e32 v35, v103, v5
	v_mul_f32_e32 v34, v103, v7
	;; [unrolled: 1-line block ×4, first 2 shown]
	s_and_saveexec_b32 s13, vcc_lo
	s_cbranch_execz .LBB237_1577
; %bb.1576:                             ;   in Loop: Header=BB237_998 Depth=1
	v_cmp_lt_i32_e64 s4, v115, v54
	v_cndmask_b32_e64 v34, 0, v34, s4
	v_cmp_lt_i32_e64 s4, v118, v54
	v_cndmask_b32_e64 v35, 0, v35, s4
	;; [unrolled: 2-line block ×4, first 2 shown]
.LBB237_1577:                           ;   in Loop: Header=BB237_998 Depth=1
	s_or_b32 exec_lo, exec_lo, s13
	flat_load_dword v36, v[13:14] offset:128
	v_mov_b32_e32 v19, 0
	v_mov_b32_e32 v17, 0
	;; [unrolled: 1-line block ×4, first 2 shown]
	s_waitcnt vmcnt(0) lgkmcnt(0)
	v_cmp_ne_u16_sdwa s4, v36, v6 src0_sel:BYTE_0 src1_sel:DWORD
	s_and_saveexec_b32 s13, s4
	s_cbranch_execz .LBB237_1585
; %bb.1578:                             ;   in Loop: Header=BB237_998 Depth=1
	v_bfrev_b32_e32 v17, 1
	v_mov_b32_e32 v18, 0
	v_cmp_ne_u16_sdwa s4, v36, v86 src0_sel:BYTE_0 src1_sel:DWORD
	s_and_saveexec_b32 s15, s4
	s_cbranch_execz .LBB237_1584
; %bb.1579:                             ;   in Loop: Header=BB237_998 Depth=1
	v_mov_b32_e32 v17, 0x7f800001
	v_and_b32_e32 v9, 0x7f, v36
	v_mov_b32_e32 v18, 0
	s_mov_b32 s16, exec_lo
	v_cmpx_ne_u32_e32 0x7f, v9
	s_cbranch_execz .LBB237_1583
; %bb.1580:                             ;   in Loop: Header=BB237_998 Depth=1
	v_and_b32_e32 v5, 7, v36
	v_lshrrev_b32_e32 v7, 3, v9
	s_mov_b32 s17, exec_lo
	v_cmpx_gt_u32_e32 8, v9
; %bb.1581:                             ;   in Loop: Header=BB237_998 Depth=1
	v_ffbh_u32_e32 v7, v5
	v_min_u32_e32 v7, 32, v7
	v_subrev_nc_u32_e32 v9, 28, v7
	v_sub_nc_u32_e32 v7, 29, v7
	v_lshlrev_b64 v[17:18], v9, v[5:6]
	v_and_b32_e32 v5, 7, v17
; %bb.1582:                             ;   in Loop: Header=BB237_998 Depth=1
	s_or_b32 exec_lo, exec_lo, s17
	v_lshlrev_b32_e32 v9, 24, v36
	v_lshlrev_b32_e32 v5, 20, v5
	v_lshl_add_u32 v7, v7, 23, 0x3c000000
	v_and_b32_e32 v9, 0x80000000, v9
	v_or3_b32 v5, v5, v9, v7
	v_mov_b32_e32 v18, v6
	v_mov_b32_e32 v17, v5
.LBB237_1583:                           ;   in Loop: Header=BB237_998 Depth=1
	s_or_b32 exec_lo, exec_lo, s16
.LBB237_1584:                           ;   in Loop: Header=BB237_998 Depth=1
	s_or_b32 exec_lo, exec_lo, s15
.LBB237_1585:                           ;   in Loop: Header=BB237_998 Depth=1
	s_or_b32 exec_lo, exec_lo, s13
	v_cmp_ne_u16_sdwa s4, v36, v6 src0_sel:BYTE_1 src1_sel:DWORD
	s_and_saveexec_b32 s13, s4
	s_cbranch_execz .LBB237_1593
; %bb.1586:                             ;   in Loop: Header=BB237_998 Depth=1
	v_mov_b32_e32 v7, v6
	v_mov_b32_e32 v20, v8
	v_cmp_ne_u16_sdwa s4, v36, v86 src0_sel:BYTE_1 src1_sel:DWORD
	v_mov_b32_e32 v19, v7
	s_and_saveexec_b32 s15, s4
	s_cbranch_execz .LBB237_1592
; %bb.1587:                             ;   in Loop: Header=BB237_998 Depth=1
	v_mov_b32_e32 v5, 0xffff
	v_mov_b32_e32 v9, v6
	;; [unrolled: 1-line block ×3, first 2 shown]
	s_mov_b32 s16, exec_lo
	v_and_b32_sdwa v5, v5, v36 dst_sel:DWORD dst_unused:UNUSED_PAD src0_sel:DWORD src1_sel:BYTE_1
	v_mov_b32_e32 v19, v9
	v_and_b32_e32 v21, 0x7f, v5
	v_cmpx_ne_u32_e32 0x7f, v21
	s_cbranch_execz .LBB237_1591
; %bb.1588:                             ;   in Loop: Header=BB237_998 Depth=1
	v_and_b32_e32 v5, 7, v5
	v_lshrrev_b32_e32 v7, 3, v21
	s_mov_b32 s17, exec_lo
	v_cmpx_gt_u32_e32 8, v21
; %bb.1589:                             ;   in Loop: Header=BB237_998 Depth=1
	v_ffbh_u32_e32 v7, v5
	v_min_u32_e32 v7, 32, v7
	v_subrev_nc_u32_e32 v9, 28, v7
	v_sub_nc_u32_e32 v7, 29, v7
	v_lshlrev_b64 v[19:20], v9, v[5:6]
	v_and_b32_e32 v5, 7, v19
; %bb.1590:                             ;   in Loop: Header=BB237_998 Depth=1
	s_or_b32 exec_lo, exec_lo, s17
	v_lshlrev_b32_e32 v9, 16, v36
	v_lshlrev_b32_e32 v5, 20, v5
	v_lshl_add_u32 v7, v7, 23, 0x3c000000
	v_mov_b32_e32 v19, v6
	v_and_b32_e32 v9, 0x80000000, v9
	v_or3_b32 v20, v5, v9, v7
.LBB237_1591:                           ;   in Loop: Header=BB237_998 Depth=1
	s_or_b32 exec_lo, exec_lo, s16
.LBB237_1592:                           ;   in Loop: Header=BB237_998 Depth=1
	s_or_b32 exec_lo, exec_lo, s15
.LBB237_1593:                           ;   in Loop: Header=BB237_998 Depth=1
	s_or_b32 exec_lo, exec_lo, s13
	v_mov_b32_e32 v21, 0
	v_mov_b32_e32 v23, 0
	v_and_b32_sdwa v5, v36, v96 dst_sel:DWORD dst_unused:UNUSED_PAD src0_sel:WORD_1 src1_sel:DWORD
	v_mov_b32_e32 v22, 0
	v_mov_b32_e32 v24, 0
	s_mov_b32 s13, exec_lo
	v_cmpx_ne_u16_e32 0, v5
	s_cbranch_execz .LBB237_1601
; %bb.1594:                             ;   in Loop: Header=BB237_998 Depth=1
	v_bfrev_b32_e32 v23, 1
	v_mov_b32_e32 v24, 0
	s_mov_b32 s15, exec_lo
	v_cmpx_ne_u16_e32 0x80, v5
	s_cbranch_execz .LBB237_1600
; %bb.1595:                             ;   in Loop: Header=BB237_998 Depth=1
	v_mov_b32_e32 v23, 0x7f800001
	v_bfe_u32 v9, v36, 16, 7
	v_mov_b32_e32 v24, 0
	s_mov_b32 s16, exec_lo
	v_cmpx_ne_u32_e32 0x7f, v9
	s_cbranch_execz .LBB237_1599
; %bb.1596:                             ;   in Loop: Header=BB237_998 Depth=1
	v_mov_b32_e32 v5, 7
	v_lshrrev_b32_e32 v7, 3, v9
	s_mov_b32 s17, exec_lo
	v_and_b32_sdwa v5, v36, v5 dst_sel:DWORD dst_unused:UNUSED_PAD src0_sel:WORD_1 src1_sel:DWORD
	v_cmpx_gt_u32_e32 8, v9
; %bb.1597:                             ;   in Loop: Header=BB237_998 Depth=1
	v_ffbh_u32_e32 v7, v5
	v_min_u32_e32 v7, 32, v7
	v_subrev_nc_u32_e32 v9, 28, v7
	v_sub_nc_u32_e32 v7, 29, v7
	v_lshlrev_b64 v[23:24], v9, v[5:6]
	v_and_b32_e32 v5, 7, v23
; %bb.1598:                             ;   in Loop: Header=BB237_998 Depth=1
	s_or_b32 exec_lo, exec_lo, s17
	v_mov_b32_e32 v9, 24
	v_lshlrev_b32_e32 v5, 20, v5
	v_lshl_add_u32 v7, v7, 23, 0x3c000000
	v_lshlrev_b32_sdwa v9, v9, v36 dst_sel:DWORD dst_unused:UNUSED_PAD src0_sel:DWORD src1_sel:WORD_1
	v_and_b32_e32 v9, 0x80000000, v9
	v_or3_b32 v5, v5, v9, v7
	v_mov_b32_e32 v24, v6
	v_mov_b32_e32 v23, v5
.LBB237_1599:                           ;   in Loop: Header=BB237_998 Depth=1
	s_or_b32 exec_lo, exec_lo, s16
.LBB237_1600:                           ;   in Loop: Header=BB237_998 Depth=1
	s_or_b32 exec_lo, exec_lo, s15
.LBB237_1601:                           ;   in Loop: Header=BB237_998 Depth=1
	s_or_b32 exec_lo, exec_lo, s13
	s_mov_b32 s13, exec_lo
	v_cmpx_lt_u32_e32 0xffffff, v36
	s_cbranch_execz .LBB237_1609
; %bb.1602:                             ;   in Loop: Header=BB237_998 Depth=1
	v_mov_b32_e32 v7, v6
	v_mov_b32_e32 v22, v8
	v_cmp_ne_u32_sdwa s4, v36, v86 src0_sel:BYTE_3 src1_sel:DWORD
	v_mov_b32_e32 v21, v7
	s_and_saveexec_b32 s15, s4
	s_cbranch_execz .LBB237_1608
; %bb.1603:                             ;   in Loop: Header=BB237_998 Depth=1
	v_mov_b32_e32 v9, v6
	v_mov_b32_e32 v22, v10
	v_bfe_u32 v37, v36, 24, 7
	s_mov_b32 s16, exec_lo
	v_mov_b32_e32 v21, v9
	v_cmpx_ne_u32_e32 0x7f, v37
	s_cbranch_execz .LBB237_1607
; %bb.1604:                             ;   in Loop: Header=BB237_998 Depth=1
	v_mov_b32_e32 v5, 7
	v_lshrrev_b32_e32 v7, 3, v37
	s_mov_b32 s17, exec_lo
	v_and_b32_sdwa v5, v36, v5 dst_sel:DWORD dst_unused:UNUSED_PAD src0_sel:BYTE_3 src1_sel:DWORD
	v_cmpx_gt_u32_e32 8, v37
; %bb.1605:                             ;   in Loop: Header=BB237_998 Depth=1
	v_ffbh_u32_e32 v7, v5
	v_min_u32_e32 v7, 32, v7
	v_subrev_nc_u32_e32 v9, 28, v7
	v_sub_nc_u32_e32 v7, 29, v7
	v_lshlrev_b64 v[21:22], v9, v[5:6]
	v_and_b32_e32 v5, 7, v21
; %bb.1606:                             ;   in Loop: Header=BB237_998 Depth=1
	s_or_b32 exec_lo, exec_lo, s17
	v_mov_b32_e32 v9, 24
	v_lshlrev_b32_e32 v5, 20, v5
	v_lshl_add_u32 v7, v7, 23, 0x3c000000
	v_mov_b32_e32 v21, v6
	v_lshlrev_b32_sdwa v9, v9, v36 dst_sel:DWORD dst_unused:UNUSED_PAD src0_sel:DWORD src1_sel:BYTE_3
	v_and_b32_e32 v9, 0x80000000, v9
	v_or3_b32 v22, v5, v9, v7
.LBB237_1607:                           ;   in Loop: Header=BB237_998 Depth=1
	s_or_b32 exec_lo, exec_lo, s16
.LBB237_1608:                           ;   in Loop: Header=BB237_998 Depth=1
	s_or_b32 exec_lo, exec_lo, s15
.LBB237_1609:                           ;   in Loop: Header=BB237_998 Depth=1
	s_or_b32 exec_lo, exec_lo, s13
	v_or_b32_e32 v5, v20, v18
	v_or_b32_e32 v7, v19, v17
	;; [unrolled: 1-line block ×4, first 2 shown]
	v_mul_f32_e32 v39, v103, v5
	v_mul_f32_e32 v38, v103, v7
	;; [unrolled: 1-line block ×4, first 2 shown]
	s_and_saveexec_b32 s13, vcc_lo
	s_cbranch_execz .LBB237_1611
; %bb.1610:                             ;   in Loop: Header=BB237_998 Depth=1
	v_cmp_lt_i32_e64 s4, v115, v54
	v_cndmask_b32_e64 v38, 0, v38, s4
	v_cmp_lt_i32_e64 s4, v118, v54
	v_cndmask_b32_e64 v39, 0, v39, s4
	;; [unrolled: 2-line block ×4, first 2 shown]
.LBB237_1611:                           ;   in Loop: Header=BB237_998 Depth=1
	s_or_b32 exec_lo, exec_lo, s13
	flat_load_dword v48, v[13:14] offset:256
	v_mov_b32_e32 v19, 0
	v_mov_b32_e32 v17, 0
	;; [unrolled: 1-line block ×4, first 2 shown]
	s_waitcnt vmcnt(0) lgkmcnt(0)
	v_cmp_ne_u16_sdwa s4, v48, v6 src0_sel:BYTE_0 src1_sel:DWORD
	s_and_saveexec_b32 s13, s4
	s_cbranch_execz .LBB237_1619
; %bb.1612:                             ;   in Loop: Header=BB237_998 Depth=1
	v_bfrev_b32_e32 v17, 1
	v_mov_b32_e32 v18, 0
	v_cmp_ne_u16_sdwa s4, v48, v86 src0_sel:BYTE_0 src1_sel:DWORD
	s_and_saveexec_b32 s15, s4
	s_cbranch_execz .LBB237_1618
; %bb.1613:                             ;   in Loop: Header=BB237_998 Depth=1
	v_mov_b32_e32 v17, 0x7f800001
	v_and_b32_e32 v9, 0x7f, v48
	v_mov_b32_e32 v18, 0
	s_mov_b32 s16, exec_lo
	v_cmpx_ne_u32_e32 0x7f, v9
	s_cbranch_execz .LBB237_1617
; %bb.1614:                             ;   in Loop: Header=BB237_998 Depth=1
	v_and_b32_e32 v5, 7, v48
	v_lshrrev_b32_e32 v7, 3, v9
	s_mov_b32 s17, exec_lo
	v_cmpx_gt_u32_e32 8, v9
; %bb.1615:                             ;   in Loop: Header=BB237_998 Depth=1
	v_ffbh_u32_e32 v7, v5
	v_min_u32_e32 v7, 32, v7
	v_subrev_nc_u32_e32 v9, 28, v7
	v_sub_nc_u32_e32 v7, 29, v7
	v_lshlrev_b64 v[17:18], v9, v[5:6]
	v_and_b32_e32 v5, 7, v17
; %bb.1616:                             ;   in Loop: Header=BB237_998 Depth=1
	s_or_b32 exec_lo, exec_lo, s17
	v_lshlrev_b32_e32 v9, 24, v48
	v_lshlrev_b32_e32 v5, 20, v5
	v_lshl_add_u32 v7, v7, 23, 0x3c000000
	v_and_b32_e32 v9, 0x80000000, v9
	v_or3_b32 v5, v5, v9, v7
	v_mov_b32_e32 v18, v6
	v_mov_b32_e32 v17, v5
.LBB237_1617:                           ;   in Loop: Header=BB237_998 Depth=1
	s_or_b32 exec_lo, exec_lo, s16
.LBB237_1618:                           ;   in Loop: Header=BB237_998 Depth=1
	s_or_b32 exec_lo, exec_lo, s15
.LBB237_1619:                           ;   in Loop: Header=BB237_998 Depth=1
	s_or_b32 exec_lo, exec_lo, s13
	v_cmp_ne_u16_sdwa s4, v48, v6 src0_sel:BYTE_1 src1_sel:DWORD
	s_and_saveexec_b32 s13, s4
	s_cbranch_execz .LBB237_1627
; %bb.1620:                             ;   in Loop: Header=BB237_998 Depth=1
	v_mov_b32_e32 v7, v6
	v_mov_b32_e32 v20, v8
	v_cmp_ne_u16_sdwa s4, v48, v86 src0_sel:BYTE_1 src1_sel:DWORD
	v_mov_b32_e32 v19, v7
	s_and_saveexec_b32 s15, s4
	s_cbranch_execz .LBB237_1626
; %bb.1621:                             ;   in Loop: Header=BB237_998 Depth=1
	v_mov_b32_e32 v5, 0xffff
	v_mov_b32_e32 v9, v6
	;; [unrolled: 1-line block ×3, first 2 shown]
	s_mov_b32 s16, exec_lo
	v_and_b32_sdwa v5, v5, v48 dst_sel:DWORD dst_unused:UNUSED_PAD src0_sel:DWORD src1_sel:BYTE_1
	v_mov_b32_e32 v19, v9
	v_and_b32_e32 v21, 0x7f, v5
	v_cmpx_ne_u32_e32 0x7f, v21
	s_cbranch_execz .LBB237_1625
; %bb.1622:                             ;   in Loop: Header=BB237_998 Depth=1
	v_and_b32_e32 v5, 7, v5
	v_lshrrev_b32_e32 v7, 3, v21
	s_mov_b32 s17, exec_lo
	v_cmpx_gt_u32_e32 8, v21
; %bb.1623:                             ;   in Loop: Header=BB237_998 Depth=1
	v_ffbh_u32_e32 v7, v5
	v_min_u32_e32 v7, 32, v7
	v_subrev_nc_u32_e32 v9, 28, v7
	v_sub_nc_u32_e32 v7, 29, v7
	v_lshlrev_b64 v[19:20], v9, v[5:6]
	v_and_b32_e32 v5, 7, v19
; %bb.1624:                             ;   in Loop: Header=BB237_998 Depth=1
	s_or_b32 exec_lo, exec_lo, s17
	v_lshlrev_b32_e32 v9, 16, v48
	v_lshlrev_b32_e32 v5, 20, v5
	v_lshl_add_u32 v7, v7, 23, 0x3c000000
	v_mov_b32_e32 v19, v6
	v_and_b32_e32 v9, 0x80000000, v9
	v_or3_b32 v20, v5, v9, v7
.LBB237_1625:                           ;   in Loop: Header=BB237_998 Depth=1
	s_or_b32 exec_lo, exec_lo, s16
.LBB237_1626:                           ;   in Loop: Header=BB237_998 Depth=1
	s_or_b32 exec_lo, exec_lo, s15
.LBB237_1627:                           ;   in Loop: Header=BB237_998 Depth=1
	s_or_b32 exec_lo, exec_lo, s13
	v_mov_b32_e32 v21, 0
	v_mov_b32_e32 v23, 0
	v_and_b32_sdwa v5, v48, v96 dst_sel:DWORD dst_unused:UNUSED_PAD src0_sel:WORD_1 src1_sel:DWORD
	v_mov_b32_e32 v22, 0
	v_mov_b32_e32 v24, 0
	s_mov_b32 s13, exec_lo
	v_cmpx_ne_u16_e32 0, v5
	s_cbranch_execz .LBB237_1635
; %bb.1628:                             ;   in Loop: Header=BB237_998 Depth=1
	v_bfrev_b32_e32 v23, 1
	v_mov_b32_e32 v24, 0
	s_mov_b32 s15, exec_lo
	v_cmpx_ne_u16_e32 0x80, v5
	s_cbranch_execz .LBB237_1634
; %bb.1629:                             ;   in Loop: Header=BB237_998 Depth=1
	v_mov_b32_e32 v23, 0x7f800001
	v_bfe_u32 v9, v48, 16, 7
	v_mov_b32_e32 v24, 0
	s_mov_b32 s16, exec_lo
	v_cmpx_ne_u32_e32 0x7f, v9
	s_cbranch_execz .LBB237_1633
; %bb.1630:                             ;   in Loop: Header=BB237_998 Depth=1
	v_mov_b32_e32 v5, 7
	v_lshrrev_b32_e32 v7, 3, v9
	s_mov_b32 s17, exec_lo
	v_and_b32_sdwa v5, v48, v5 dst_sel:DWORD dst_unused:UNUSED_PAD src0_sel:WORD_1 src1_sel:DWORD
	v_cmpx_gt_u32_e32 8, v9
; %bb.1631:                             ;   in Loop: Header=BB237_998 Depth=1
	v_ffbh_u32_e32 v7, v5
	v_min_u32_e32 v7, 32, v7
	v_subrev_nc_u32_e32 v9, 28, v7
	v_sub_nc_u32_e32 v7, 29, v7
	v_lshlrev_b64 v[23:24], v9, v[5:6]
	v_and_b32_e32 v5, 7, v23
; %bb.1632:                             ;   in Loop: Header=BB237_998 Depth=1
	s_or_b32 exec_lo, exec_lo, s17
	v_mov_b32_e32 v9, 24
	v_lshlrev_b32_e32 v5, 20, v5
	v_lshl_add_u32 v7, v7, 23, 0x3c000000
	v_lshlrev_b32_sdwa v9, v9, v48 dst_sel:DWORD dst_unused:UNUSED_PAD src0_sel:DWORD src1_sel:WORD_1
	v_and_b32_e32 v9, 0x80000000, v9
	v_or3_b32 v5, v5, v9, v7
	v_mov_b32_e32 v24, v6
	v_mov_b32_e32 v23, v5
.LBB237_1633:                           ;   in Loop: Header=BB237_998 Depth=1
	s_or_b32 exec_lo, exec_lo, s16
.LBB237_1634:                           ;   in Loop: Header=BB237_998 Depth=1
	s_or_b32 exec_lo, exec_lo, s15
.LBB237_1635:                           ;   in Loop: Header=BB237_998 Depth=1
	s_or_b32 exec_lo, exec_lo, s13
	s_mov_b32 s13, exec_lo
	v_cmpx_lt_u32_e32 0xffffff, v48
	s_cbranch_execz .LBB237_1643
; %bb.1636:                             ;   in Loop: Header=BB237_998 Depth=1
	v_mov_b32_e32 v7, v6
	v_mov_b32_e32 v22, v8
	v_cmp_ne_u32_sdwa s4, v48, v86 src0_sel:BYTE_3 src1_sel:DWORD
	v_mov_b32_e32 v21, v7
	s_and_saveexec_b32 s15, s4
	s_cbranch_execz .LBB237_1642
; %bb.1637:                             ;   in Loop: Header=BB237_998 Depth=1
	v_mov_b32_e32 v9, v6
	v_mov_b32_e32 v22, v10
	v_bfe_u32 v49, v48, 24, 7
	s_mov_b32 s16, exec_lo
	v_mov_b32_e32 v21, v9
	v_cmpx_ne_u32_e32 0x7f, v49
	s_cbranch_execz .LBB237_1641
; %bb.1638:                             ;   in Loop: Header=BB237_998 Depth=1
	v_mov_b32_e32 v5, 7
	v_lshrrev_b32_e32 v7, 3, v49
	s_mov_b32 s17, exec_lo
	v_and_b32_sdwa v5, v48, v5 dst_sel:DWORD dst_unused:UNUSED_PAD src0_sel:BYTE_3 src1_sel:DWORD
	v_cmpx_gt_u32_e32 8, v49
; %bb.1639:                             ;   in Loop: Header=BB237_998 Depth=1
	v_ffbh_u32_e32 v7, v5
	v_min_u32_e32 v7, 32, v7
	v_subrev_nc_u32_e32 v9, 28, v7
	v_sub_nc_u32_e32 v7, 29, v7
	v_lshlrev_b64 v[21:22], v9, v[5:6]
	v_and_b32_e32 v5, 7, v21
; %bb.1640:                             ;   in Loop: Header=BB237_998 Depth=1
	s_or_b32 exec_lo, exec_lo, s17
	v_mov_b32_e32 v9, 24
	v_lshlrev_b32_e32 v5, 20, v5
	v_lshl_add_u32 v7, v7, 23, 0x3c000000
	v_mov_b32_e32 v21, v6
	v_lshlrev_b32_sdwa v9, v9, v48 dst_sel:DWORD dst_unused:UNUSED_PAD src0_sel:DWORD src1_sel:BYTE_3
	v_and_b32_e32 v9, 0x80000000, v9
	v_or3_b32 v22, v5, v9, v7
.LBB237_1641:                           ;   in Loop: Header=BB237_998 Depth=1
	s_or_b32 exec_lo, exec_lo, s16
.LBB237_1642:                           ;   in Loop: Header=BB237_998 Depth=1
	s_or_b32 exec_lo, exec_lo, s15
.LBB237_1643:                           ;   in Loop: Header=BB237_998 Depth=1
	s_or_b32 exec_lo, exec_lo, s13
	v_or_b32_e32 v5, v20, v18
	v_or_b32_e32 v7, v19, v17
	;; [unrolled: 1-line block ×4, first 2 shown]
	v_mul_f32_e32 v51, v103, v5
	v_mul_f32_e32 v50, v103, v7
	;; [unrolled: 1-line block ×4, first 2 shown]
	s_and_saveexec_b32 s13, vcc_lo
	s_cbranch_execz .LBB237_1645
; %bb.1644:                             ;   in Loop: Header=BB237_998 Depth=1
	v_cmp_lt_i32_e64 s4, v115, v54
	v_cndmask_b32_e64 v50, 0, v50, s4
	v_cmp_lt_i32_e64 s4, v118, v54
	v_cndmask_b32_e64 v51, 0, v51, s4
	;; [unrolled: 2-line block ×4, first 2 shown]
.LBB237_1645:                           ;   in Loop: Header=BB237_998 Depth=1
	s_or_b32 exec_lo, exec_lo, s13
	flat_load_dword v52, v[13:14] offset:384
	v_mov_b32_e32 v19, 0
	v_mov_b32_e32 v17, 0
	;; [unrolled: 1-line block ×4, first 2 shown]
	s_waitcnt vmcnt(0) lgkmcnt(0)
	v_cmp_ne_u16_sdwa s4, v52, v6 src0_sel:BYTE_0 src1_sel:DWORD
	s_and_saveexec_b32 s13, s4
	s_cbranch_execz .LBB237_1653
; %bb.1646:                             ;   in Loop: Header=BB237_998 Depth=1
	v_bfrev_b32_e32 v17, 1
	v_mov_b32_e32 v18, 0
	v_cmp_ne_u16_sdwa s4, v52, v86 src0_sel:BYTE_0 src1_sel:DWORD
	s_and_saveexec_b32 s15, s4
	s_cbranch_execz .LBB237_1652
; %bb.1647:                             ;   in Loop: Header=BB237_998 Depth=1
	v_mov_b32_e32 v17, 0x7f800001
	v_and_b32_e32 v9, 0x7f, v52
	v_mov_b32_e32 v18, 0
	s_mov_b32 s16, exec_lo
	v_cmpx_ne_u32_e32 0x7f, v9
	s_cbranch_execz .LBB237_1651
; %bb.1648:                             ;   in Loop: Header=BB237_998 Depth=1
	v_and_b32_e32 v5, 7, v52
	v_lshrrev_b32_e32 v7, 3, v9
	s_mov_b32 s17, exec_lo
	v_cmpx_gt_u32_e32 8, v9
; %bb.1649:                             ;   in Loop: Header=BB237_998 Depth=1
	v_ffbh_u32_e32 v7, v5
	v_min_u32_e32 v7, 32, v7
	v_subrev_nc_u32_e32 v9, 28, v7
	v_sub_nc_u32_e32 v7, 29, v7
	v_lshlrev_b64 v[17:18], v9, v[5:6]
	v_and_b32_e32 v5, 7, v17
; %bb.1650:                             ;   in Loop: Header=BB237_998 Depth=1
	s_or_b32 exec_lo, exec_lo, s17
	v_lshlrev_b32_e32 v9, 24, v52
	v_lshlrev_b32_e32 v5, 20, v5
	v_lshl_add_u32 v7, v7, 23, 0x3c000000
	v_and_b32_e32 v9, 0x80000000, v9
	v_or3_b32 v5, v5, v9, v7
	v_mov_b32_e32 v18, v6
	v_mov_b32_e32 v17, v5
.LBB237_1651:                           ;   in Loop: Header=BB237_998 Depth=1
	s_or_b32 exec_lo, exec_lo, s16
.LBB237_1652:                           ;   in Loop: Header=BB237_998 Depth=1
	s_or_b32 exec_lo, exec_lo, s15
.LBB237_1653:                           ;   in Loop: Header=BB237_998 Depth=1
	s_or_b32 exec_lo, exec_lo, s13
	v_cmp_ne_u16_sdwa s4, v52, v6 src0_sel:BYTE_1 src1_sel:DWORD
	s_and_saveexec_b32 s13, s4
	s_cbranch_execz .LBB237_1661
; %bb.1654:                             ;   in Loop: Header=BB237_998 Depth=1
	v_mov_b32_e32 v7, v6
	v_mov_b32_e32 v20, v8
	v_cmp_ne_u16_sdwa s4, v52, v86 src0_sel:BYTE_1 src1_sel:DWORD
	v_mov_b32_e32 v19, v7
	s_and_saveexec_b32 s15, s4
	s_cbranch_execz .LBB237_1660
; %bb.1655:                             ;   in Loop: Header=BB237_998 Depth=1
	v_mov_b32_e32 v5, 0xffff
	v_mov_b32_e32 v9, v6
	;; [unrolled: 1-line block ×3, first 2 shown]
	s_mov_b32 s16, exec_lo
	v_and_b32_sdwa v5, v5, v52 dst_sel:DWORD dst_unused:UNUSED_PAD src0_sel:DWORD src1_sel:BYTE_1
	v_mov_b32_e32 v19, v9
	v_and_b32_e32 v21, 0x7f, v5
	v_cmpx_ne_u32_e32 0x7f, v21
	s_cbranch_execz .LBB237_1659
; %bb.1656:                             ;   in Loop: Header=BB237_998 Depth=1
	v_and_b32_e32 v5, 7, v5
	v_lshrrev_b32_e32 v7, 3, v21
	s_mov_b32 s17, exec_lo
	v_cmpx_gt_u32_e32 8, v21
; %bb.1657:                             ;   in Loop: Header=BB237_998 Depth=1
	v_ffbh_u32_e32 v7, v5
	v_min_u32_e32 v7, 32, v7
	v_subrev_nc_u32_e32 v9, 28, v7
	v_sub_nc_u32_e32 v7, 29, v7
	v_lshlrev_b64 v[19:20], v9, v[5:6]
	v_and_b32_e32 v5, 7, v19
; %bb.1658:                             ;   in Loop: Header=BB237_998 Depth=1
	s_or_b32 exec_lo, exec_lo, s17
	v_lshlrev_b32_e32 v9, 16, v52
	v_lshlrev_b32_e32 v5, 20, v5
	v_lshl_add_u32 v7, v7, 23, 0x3c000000
	v_mov_b32_e32 v19, v6
	v_and_b32_e32 v9, 0x80000000, v9
	v_or3_b32 v20, v5, v9, v7
.LBB237_1659:                           ;   in Loop: Header=BB237_998 Depth=1
	s_or_b32 exec_lo, exec_lo, s16
.LBB237_1660:                           ;   in Loop: Header=BB237_998 Depth=1
	s_or_b32 exec_lo, exec_lo, s15
.LBB237_1661:                           ;   in Loop: Header=BB237_998 Depth=1
	s_or_b32 exec_lo, exec_lo, s13
	v_mov_b32_e32 v21, 0
	v_mov_b32_e32 v23, 0
	v_and_b32_sdwa v5, v52, v96 dst_sel:DWORD dst_unused:UNUSED_PAD src0_sel:WORD_1 src1_sel:DWORD
	v_mov_b32_e32 v22, 0
	v_mov_b32_e32 v24, 0
	s_mov_b32 s13, exec_lo
	v_cmpx_ne_u16_e32 0, v5
	s_cbranch_execz .LBB237_1669
; %bb.1662:                             ;   in Loop: Header=BB237_998 Depth=1
	v_bfrev_b32_e32 v23, 1
	v_mov_b32_e32 v24, 0
	s_mov_b32 s15, exec_lo
	v_cmpx_ne_u16_e32 0x80, v5
	s_cbranch_execz .LBB237_1668
; %bb.1663:                             ;   in Loop: Header=BB237_998 Depth=1
	v_mov_b32_e32 v23, 0x7f800001
	v_bfe_u32 v9, v52, 16, 7
	v_mov_b32_e32 v24, 0
	s_mov_b32 s16, exec_lo
	v_cmpx_ne_u32_e32 0x7f, v9
	s_cbranch_execz .LBB237_1667
; %bb.1664:                             ;   in Loop: Header=BB237_998 Depth=1
	v_mov_b32_e32 v5, 7
	v_lshrrev_b32_e32 v7, 3, v9
	s_mov_b32 s17, exec_lo
	v_and_b32_sdwa v5, v52, v5 dst_sel:DWORD dst_unused:UNUSED_PAD src0_sel:WORD_1 src1_sel:DWORD
	v_cmpx_gt_u32_e32 8, v9
; %bb.1665:                             ;   in Loop: Header=BB237_998 Depth=1
	v_ffbh_u32_e32 v7, v5
	v_min_u32_e32 v7, 32, v7
	v_subrev_nc_u32_e32 v9, 28, v7
	v_sub_nc_u32_e32 v7, 29, v7
	v_lshlrev_b64 v[23:24], v9, v[5:6]
	v_and_b32_e32 v5, 7, v23
; %bb.1666:                             ;   in Loop: Header=BB237_998 Depth=1
	s_or_b32 exec_lo, exec_lo, s17
	v_mov_b32_e32 v9, 24
	v_lshlrev_b32_e32 v5, 20, v5
	v_lshl_add_u32 v7, v7, 23, 0x3c000000
	v_lshlrev_b32_sdwa v9, v9, v52 dst_sel:DWORD dst_unused:UNUSED_PAD src0_sel:DWORD src1_sel:WORD_1
	v_and_b32_e32 v9, 0x80000000, v9
	v_or3_b32 v5, v5, v9, v7
	v_mov_b32_e32 v24, v6
	v_mov_b32_e32 v23, v5
.LBB237_1667:                           ;   in Loop: Header=BB237_998 Depth=1
	s_or_b32 exec_lo, exec_lo, s16
.LBB237_1668:                           ;   in Loop: Header=BB237_998 Depth=1
	s_or_b32 exec_lo, exec_lo, s15
.LBB237_1669:                           ;   in Loop: Header=BB237_998 Depth=1
	s_or_b32 exec_lo, exec_lo, s13
	s_mov_b32 s13, exec_lo
	v_cmpx_lt_u32_e32 0xffffff, v52
	s_cbranch_execz .LBB237_1677
; %bb.1670:                             ;   in Loop: Header=BB237_998 Depth=1
	v_mov_b32_e32 v7, v6
	v_mov_b32_e32 v22, v8
	v_cmp_ne_u32_sdwa s4, v52, v86 src0_sel:BYTE_3 src1_sel:DWORD
	v_mov_b32_e32 v21, v7
	s_and_saveexec_b32 s15, s4
	s_cbranch_execz .LBB237_1676
; %bb.1671:                             ;   in Loop: Header=BB237_998 Depth=1
	v_mov_b32_e32 v9, v6
	v_mov_b32_e32 v22, v10
	v_bfe_u32 v53, v52, 24, 7
	s_mov_b32 s16, exec_lo
	v_mov_b32_e32 v21, v9
	v_cmpx_ne_u32_e32 0x7f, v53
	s_cbranch_execz .LBB237_1675
; %bb.1672:                             ;   in Loop: Header=BB237_998 Depth=1
	v_mov_b32_e32 v5, 7
	v_lshrrev_b32_e32 v7, 3, v53
	s_mov_b32 s17, exec_lo
	v_and_b32_sdwa v5, v52, v5 dst_sel:DWORD dst_unused:UNUSED_PAD src0_sel:BYTE_3 src1_sel:DWORD
	v_cmpx_gt_u32_e32 8, v53
; %bb.1673:                             ;   in Loop: Header=BB237_998 Depth=1
	v_ffbh_u32_e32 v7, v5
	v_min_u32_e32 v7, 32, v7
	v_subrev_nc_u32_e32 v9, 28, v7
	v_sub_nc_u32_e32 v7, 29, v7
	v_lshlrev_b64 v[21:22], v9, v[5:6]
	v_and_b32_e32 v5, 7, v21
; %bb.1674:                             ;   in Loop: Header=BB237_998 Depth=1
	s_or_b32 exec_lo, exec_lo, s17
	v_mov_b32_e32 v9, 24
	v_lshlrev_b32_e32 v5, 20, v5
	v_lshl_add_u32 v7, v7, 23, 0x3c000000
	v_mov_b32_e32 v21, v6
	v_lshlrev_b32_sdwa v9, v9, v52 dst_sel:DWORD dst_unused:UNUSED_PAD src0_sel:DWORD src1_sel:BYTE_3
	v_and_b32_e32 v9, 0x80000000, v9
	v_or3_b32 v22, v5, v9, v7
.LBB237_1675:                           ;   in Loop: Header=BB237_998 Depth=1
	s_or_b32 exec_lo, exec_lo, s16
.LBB237_1676:                           ;   in Loop: Header=BB237_998 Depth=1
	s_or_b32 exec_lo, exec_lo, s15
.LBB237_1677:                           ;   in Loop: Header=BB237_998 Depth=1
	s_or_b32 exec_lo, exec_lo, s13
	v_or_b32_e32 v5, v20, v18
	v_or_b32_e32 v7, v19, v17
	;; [unrolled: 1-line block ×4, first 2 shown]
	v_mul_f32_e32 v65, v103, v5
	v_mul_f32_e32 v64, v103, v7
	;; [unrolled: 1-line block ×4, first 2 shown]
	s_and_saveexec_b32 s13, vcc_lo
	s_cbranch_execz .LBB237_1679
; %bb.1678:                             ;   in Loop: Header=BB237_998 Depth=1
	v_cmp_lt_i32_e64 s4, v115, v54
	v_cndmask_b32_e64 v64, 0, v64, s4
	v_cmp_lt_i32_e64 s4, v118, v54
	v_cndmask_b32_e64 v65, 0, v65, s4
	;; [unrolled: 2-line block ×4, first 2 shown]
.LBB237_1679:                           ;   in Loop: Header=BB237_998 Depth=1
	s_or_b32 exec_lo, exec_lo, s13
	flat_load_dword v55, v[13:14] offset:512
	v_mov_b32_e32 v19, 0
	v_mov_b32_e32 v17, 0
	;; [unrolled: 1-line block ×4, first 2 shown]
	s_waitcnt vmcnt(0) lgkmcnt(0)
	v_cmp_ne_u16_sdwa s4, v55, v6 src0_sel:BYTE_0 src1_sel:DWORD
	s_and_saveexec_b32 s13, s4
	s_cbranch_execz .LBB237_1687
; %bb.1680:                             ;   in Loop: Header=BB237_998 Depth=1
	v_bfrev_b32_e32 v17, 1
	v_mov_b32_e32 v18, 0
	v_cmp_ne_u16_sdwa s4, v55, v86 src0_sel:BYTE_0 src1_sel:DWORD
	s_and_saveexec_b32 s15, s4
	s_cbranch_execz .LBB237_1686
; %bb.1681:                             ;   in Loop: Header=BB237_998 Depth=1
	v_mov_b32_e32 v17, 0x7f800001
	v_and_b32_e32 v9, 0x7f, v55
	v_mov_b32_e32 v18, 0
	s_mov_b32 s16, exec_lo
	v_cmpx_ne_u32_e32 0x7f, v9
	s_cbranch_execz .LBB237_1685
; %bb.1682:                             ;   in Loop: Header=BB237_998 Depth=1
	v_and_b32_e32 v5, 7, v55
	v_lshrrev_b32_e32 v7, 3, v9
	s_mov_b32 s17, exec_lo
	v_cmpx_gt_u32_e32 8, v9
; %bb.1683:                             ;   in Loop: Header=BB237_998 Depth=1
	v_ffbh_u32_e32 v7, v5
	v_min_u32_e32 v7, 32, v7
	v_subrev_nc_u32_e32 v9, 28, v7
	v_sub_nc_u32_e32 v7, 29, v7
	v_lshlrev_b64 v[17:18], v9, v[5:6]
	v_and_b32_e32 v5, 7, v17
; %bb.1684:                             ;   in Loop: Header=BB237_998 Depth=1
	s_or_b32 exec_lo, exec_lo, s17
	v_lshlrev_b32_e32 v9, 24, v55
	v_lshlrev_b32_e32 v5, 20, v5
	v_lshl_add_u32 v7, v7, 23, 0x3c000000
	v_and_b32_e32 v9, 0x80000000, v9
	v_or3_b32 v5, v5, v9, v7
	v_mov_b32_e32 v18, v6
	v_mov_b32_e32 v17, v5
.LBB237_1685:                           ;   in Loop: Header=BB237_998 Depth=1
	s_or_b32 exec_lo, exec_lo, s16
.LBB237_1686:                           ;   in Loop: Header=BB237_998 Depth=1
	s_or_b32 exec_lo, exec_lo, s15
.LBB237_1687:                           ;   in Loop: Header=BB237_998 Depth=1
	s_or_b32 exec_lo, exec_lo, s13
	v_cmp_ne_u16_sdwa s4, v55, v6 src0_sel:BYTE_1 src1_sel:DWORD
	s_and_saveexec_b32 s13, s4
	s_cbranch_execz .LBB237_1695
; %bb.1688:                             ;   in Loop: Header=BB237_998 Depth=1
	v_mov_b32_e32 v7, v6
	v_mov_b32_e32 v20, v8
	v_cmp_ne_u16_sdwa s4, v55, v86 src0_sel:BYTE_1 src1_sel:DWORD
	v_mov_b32_e32 v19, v7
	s_and_saveexec_b32 s15, s4
	s_cbranch_execz .LBB237_1694
; %bb.1689:                             ;   in Loop: Header=BB237_998 Depth=1
	v_mov_b32_e32 v5, 0xffff
	v_mov_b32_e32 v9, v6
	;; [unrolled: 1-line block ×3, first 2 shown]
	s_mov_b32 s16, exec_lo
	v_and_b32_sdwa v5, v5, v55 dst_sel:DWORD dst_unused:UNUSED_PAD src0_sel:DWORD src1_sel:BYTE_1
	v_mov_b32_e32 v19, v9
	v_and_b32_e32 v21, 0x7f, v5
	v_cmpx_ne_u32_e32 0x7f, v21
	s_cbranch_execz .LBB237_1693
; %bb.1690:                             ;   in Loop: Header=BB237_998 Depth=1
	v_and_b32_e32 v5, 7, v5
	v_lshrrev_b32_e32 v7, 3, v21
	s_mov_b32 s17, exec_lo
	v_cmpx_gt_u32_e32 8, v21
; %bb.1691:                             ;   in Loop: Header=BB237_998 Depth=1
	v_ffbh_u32_e32 v7, v5
	v_min_u32_e32 v7, 32, v7
	v_subrev_nc_u32_e32 v9, 28, v7
	v_sub_nc_u32_e32 v7, 29, v7
	v_lshlrev_b64 v[19:20], v9, v[5:6]
	v_and_b32_e32 v5, 7, v19
; %bb.1692:                             ;   in Loop: Header=BB237_998 Depth=1
	s_or_b32 exec_lo, exec_lo, s17
	v_lshlrev_b32_e32 v9, 16, v55
	v_lshlrev_b32_e32 v5, 20, v5
	v_lshl_add_u32 v7, v7, 23, 0x3c000000
	v_mov_b32_e32 v19, v6
	v_and_b32_e32 v9, 0x80000000, v9
	v_or3_b32 v20, v5, v9, v7
.LBB237_1693:                           ;   in Loop: Header=BB237_998 Depth=1
	s_or_b32 exec_lo, exec_lo, s16
.LBB237_1694:                           ;   in Loop: Header=BB237_998 Depth=1
	s_or_b32 exec_lo, exec_lo, s15
.LBB237_1695:                           ;   in Loop: Header=BB237_998 Depth=1
	s_or_b32 exec_lo, exec_lo, s13
	v_mov_b32_e32 v21, 0
	v_mov_b32_e32 v23, 0
	v_and_b32_sdwa v5, v55, v96 dst_sel:DWORD dst_unused:UNUSED_PAD src0_sel:WORD_1 src1_sel:DWORD
	v_mov_b32_e32 v22, 0
	v_mov_b32_e32 v24, 0
	s_mov_b32 s13, exec_lo
	v_cmpx_ne_u16_e32 0, v5
	s_cbranch_execz .LBB237_1703
; %bb.1696:                             ;   in Loop: Header=BB237_998 Depth=1
	v_bfrev_b32_e32 v23, 1
	v_mov_b32_e32 v24, 0
	s_mov_b32 s15, exec_lo
	v_cmpx_ne_u16_e32 0x80, v5
	s_cbranch_execz .LBB237_1702
; %bb.1697:                             ;   in Loop: Header=BB237_998 Depth=1
	v_mov_b32_e32 v23, 0x7f800001
	v_bfe_u32 v9, v55, 16, 7
	v_mov_b32_e32 v24, 0
	s_mov_b32 s16, exec_lo
	v_cmpx_ne_u32_e32 0x7f, v9
	s_cbranch_execz .LBB237_1701
; %bb.1698:                             ;   in Loop: Header=BB237_998 Depth=1
	v_mov_b32_e32 v5, 7
	v_lshrrev_b32_e32 v7, 3, v9
	s_mov_b32 s17, exec_lo
	v_and_b32_sdwa v5, v55, v5 dst_sel:DWORD dst_unused:UNUSED_PAD src0_sel:WORD_1 src1_sel:DWORD
	v_cmpx_gt_u32_e32 8, v9
; %bb.1699:                             ;   in Loop: Header=BB237_998 Depth=1
	v_ffbh_u32_e32 v7, v5
	v_min_u32_e32 v7, 32, v7
	v_subrev_nc_u32_e32 v9, 28, v7
	v_sub_nc_u32_e32 v7, 29, v7
	v_lshlrev_b64 v[23:24], v9, v[5:6]
	v_and_b32_e32 v5, 7, v23
; %bb.1700:                             ;   in Loop: Header=BB237_998 Depth=1
	s_or_b32 exec_lo, exec_lo, s17
	v_mov_b32_e32 v9, 24
	v_lshlrev_b32_e32 v5, 20, v5
	v_lshl_add_u32 v7, v7, 23, 0x3c000000
	v_lshlrev_b32_sdwa v9, v9, v55 dst_sel:DWORD dst_unused:UNUSED_PAD src0_sel:DWORD src1_sel:WORD_1
	v_and_b32_e32 v9, 0x80000000, v9
	v_or3_b32 v5, v5, v9, v7
	v_mov_b32_e32 v24, v6
	v_mov_b32_e32 v23, v5
.LBB237_1701:                           ;   in Loop: Header=BB237_998 Depth=1
	s_or_b32 exec_lo, exec_lo, s16
.LBB237_1702:                           ;   in Loop: Header=BB237_998 Depth=1
	s_or_b32 exec_lo, exec_lo, s15
.LBB237_1703:                           ;   in Loop: Header=BB237_998 Depth=1
	s_or_b32 exec_lo, exec_lo, s13
	s_mov_b32 s13, exec_lo
	v_cmpx_lt_u32_e32 0xffffff, v55
	s_cbranch_execz .LBB237_1711
; %bb.1704:                             ;   in Loop: Header=BB237_998 Depth=1
	v_mov_b32_e32 v7, v6
	v_mov_b32_e32 v22, v8
	v_cmp_ne_u32_sdwa s4, v55, v86 src0_sel:BYTE_3 src1_sel:DWORD
	v_mov_b32_e32 v21, v7
	s_and_saveexec_b32 s15, s4
	s_cbranch_execz .LBB237_1710
; %bb.1705:                             ;   in Loop: Header=BB237_998 Depth=1
	v_mov_b32_e32 v9, v6
	v_mov_b32_e32 v22, v10
	v_bfe_u32 v66, v55, 24, 7
	s_mov_b32 s16, exec_lo
	v_mov_b32_e32 v21, v9
	v_cmpx_ne_u32_e32 0x7f, v66
	s_cbranch_execz .LBB237_1709
; %bb.1706:                             ;   in Loop: Header=BB237_998 Depth=1
	v_mov_b32_e32 v5, 7
	v_lshrrev_b32_e32 v7, 3, v66
	s_mov_b32 s17, exec_lo
	v_and_b32_sdwa v5, v55, v5 dst_sel:DWORD dst_unused:UNUSED_PAD src0_sel:BYTE_3 src1_sel:DWORD
	v_cmpx_gt_u32_e32 8, v66
; %bb.1707:                             ;   in Loop: Header=BB237_998 Depth=1
	v_ffbh_u32_e32 v7, v5
	v_min_u32_e32 v7, 32, v7
	v_subrev_nc_u32_e32 v9, 28, v7
	v_sub_nc_u32_e32 v7, 29, v7
	v_lshlrev_b64 v[21:22], v9, v[5:6]
	v_and_b32_e32 v5, 7, v21
; %bb.1708:                             ;   in Loop: Header=BB237_998 Depth=1
	s_or_b32 exec_lo, exec_lo, s17
	v_mov_b32_e32 v9, 24
	v_lshlrev_b32_e32 v5, 20, v5
	v_lshl_add_u32 v7, v7, 23, 0x3c000000
	v_mov_b32_e32 v21, v6
	v_lshlrev_b32_sdwa v9, v9, v55 dst_sel:DWORD dst_unused:UNUSED_PAD src0_sel:DWORD src1_sel:BYTE_3
	v_and_b32_e32 v9, 0x80000000, v9
	v_or3_b32 v22, v5, v9, v7
.LBB237_1709:                           ;   in Loop: Header=BB237_998 Depth=1
	s_or_b32 exec_lo, exec_lo, s16
.LBB237_1710:                           ;   in Loop: Header=BB237_998 Depth=1
	s_or_b32 exec_lo, exec_lo, s15
.LBB237_1711:                           ;   in Loop: Header=BB237_998 Depth=1
	s_or_b32 exec_lo, exec_lo, s13
	v_or_b32_e32 v5, v20, v18
	v_or_b32_e32 v7, v19, v17
	;; [unrolled: 1-line block ×4, first 2 shown]
	v_mul_f32_e32 v69, v103, v5
	v_mul_f32_e32 v68, v103, v7
	v_mul_f32_e32 v67, v103, v9
	v_mul_f32_e32 v66, v103, v17
	s_and_saveexec_b32 s13, vcc_lo
	s_cbranch_execz .LBB237_1713
; %bb.1712:                             ;   in Loop: Header=BB237_998 Depth=1
	v_cmp_lt_i32_e64 s4, v115, v54
	v_cndmask_b32_e64 v68, 0, v68, s4
	v_cmp_lt_i32_e64 s4, v118, v54
	v_cndmask_b32_e64 v69, 0, v69, s4
	;; [unrolled: 2-line block ×4, first 2 shown]
.LBB237_1713:                           ;   in Loop: Header=BB237_998 Depth=1
	s_or_b32 exec_lo, exec_lo, s13
	flat_load_dword v55, v[13:14] offset:640
	v_mov_b32_e32 v19, 0
	v_mov_b32_e32 v17, 0
	;; [unrolled: 1-line block ×4, first 2 shown]
	s_waitcnt vmcnt(0) lgkmcnt(0)
	v_cmp_ne_u16_sdwa s4, v55, v6 src0_sel:BYTE_0 src1_sel:DWORD
	s_and_saveexec_b32 s13, s4
	s_cbranch_execz .LBB237_1721
; %bb.1714:                             ;   in Loop: Header=BB237_998 Depth=1
	v_bfrev_b32_e32 v17, 1
	v_mov_b32_e32 v18, 0
	v_cmp_ne_u16_sdwa s4, v55, v86 src0_sel:BYTE_0 src1_sel:DWORD
	s_and_saveexec_b32 s15, s4
	s_cbranch_execz .LBB237_1720
; %bb.1715:                             ;   in Loop: Header=BB237_998 Depth=1
	v_mov_b32_e32 v17, 0x7f800001
	v_and_b32_e32 v9, 0x7f, v55
	v_mov_b32_e32 v18, 0
	s_mov_b32 s16, exec_lo
	v_cmpx_ne_u32_e32 0x7f, v9
	s_cbranch_execz .LBB237_1719
; %bb.1716:                             ;   in Loop: Header=BB237_998 Depth=1
	v_and_b32_e32 v5, 7, v55
	v_lshrrev_b32_e32 v7, 3, v9
	s_mov_b32 s17, exec_lo
	v_cmpx_gt_u32_e32 8, v9
; %bb.1717:                             ;   in Loop: Header=BB237_998 Depth=1
	v_ffbh_u32_e32 v7, v5
	v_min_u32_e32 v7, 32, v7
	v_subrev_nc_u32_e32 v9, 28, v7
	v_sub_nc_u32_e32 v7, 29, v7
	v_lshlrev_b64 v[17:18], v9, v[5:6]
	v_and_b32_e32 v5, 7, v17
; %bb.1718:                             ;   in Loop: Header=BB237_998 Depth=1
	s_or_b32 exec_lo, exec_lo, s17
	v_lshlrev_b32_e32 v9, 24, v55
	v_lshlrev_b32_e32 v5, 20, v5
	v_lshl_add_u32 v7, v7, 23, 0x3c000000
	v_and_b32_e32 v9, 0x80000000, v9
	v_or3_b32 v5, v5, v9, v7
	v_mov_b32_e32 v18, v6
	v_mov_b32_e32 v17, v5
.LBB237_1719:                           ;   in Loop: Header=BB237_998 Depth=1
	s_or_b32 exec_lo, exec_lo, s16
.LBB237_1720:                           ;   in Loop: Header=BB237_998 Depth=1
	s_or_b32 exec_lo, exec_lo, s15
.LBB237_1721:                           ;   in Loop: Header=BB237_998 Depth=1
	s_or_b32 exec_lo, exec_lo, s13
	v_cmp_ne_u16_sdwa s4, v55, v6 src0_sel:BYTE_1 src1_sel:DWORD
	s_and_saveexec_b32 s13, s4
	s_cbranch_execz .LBB237_1729
; %bb.1722:                             ;   in Loop: Header=BB237_998 Depth=1
	v_mov_b32_e32 v7, v6
	v_mov_b32_e32 v20, v8
	v_cmp_ne_u16_sdwa s4, v55, v86 src0_sel:BYTE_1 src1_sel:DWORD
	v_mov_b32_e32 v19, v7
	s_and_saveexec_b32 s15, s4
	s_cbranch_execz .LBB237_1728
; %bb.1723:                             ;   in Loop: Header=BB237_998 Depth=1
	v_mov_b32_e32 v5, 0xffff
	v_mov_b32_e32 v9, v6
	;; [unrolled: 1-line block ×3, first 2 shown]
	s_mov_b32 s16, exec_lo
	v_and_b32_sdwa v5, v5, v55 dst_sel:DWORD dst_unused:UNUSED_PAD src0_sel:DWORD src1_sel:BYTE_1
	v_mov_b32_e32 v19, v9
	v_and_b32_e32 v21, 0x7f, v5
	v_cmpx_ne_u32_e32 0x7f, v21
	s_cbranch_execz .LBB237_1727
; %bb.1724:                             ;   in Loop: Header=BB237_998 Depth=1
	v_and_b32_e32 v5, 7, v5
	v_lshrrev_b32_e32 v7, 3, v21
	s_mov_b32 s17, exec_lo
	v_cmpx_gt_u32_e32 8, v21
; %bb.1725:                             ;   in Loop: Header=BB237_998 Depth=1
	v_ffbh_u32_e32 v7, v5
	v_min_u32_e32 v7, 32, v7
	v_subrev_nc_u32_e32 v9, 28, v7
	v_sub_nc_u32_e32 v7, 29, v7
	v_lshlrev_b64 v[19:20], v9, v[5:6]
	v_and_b32_e32 v5, 7, v19
; %bb.1726:                             ;   in Loop: Header=BB237_998 Depth=1
	s_or_b32 exec_lo, exec_lo, s17
	v_lshlrev_b32_e32 v9, 16, v55
	v_lshlrev_b32_e32 v5, 20, v5
	v_lshl_add_u32 v7, v7, 23, 0x3c000000
	v_mov_b32_e32 v19, v6
	v_and_b32_e32 v9, 0x80000000, v9
	v_or3_b32 v20, v5, v9, v7
.LBB237_1727:                           ;   in Loop: Header=BB237_998 Depth=1
	s_or_b32 exec_lo, exec_lo, s16
.LBB237_1728:                           ;   in Loop: Header=BB237_998 Depth=1
	s_or_b32 exec_lo, exec_lo, s15
.LBB237_1729:                           ;   in Loop: Header=BB237_998 Depth=1
	s_or_b32 exec_lo, exec_lo, s13
	v_mov_b32_e32 v21, 0
	v_mov_b32_e32 v23, 0
	v_and_b32_sdwa v5, v55, v96 dst_sel:DWORD dst_unused:UNUSED_PAD src0_sel:WORD_1 src1_sel:DWORD
	v_mov_b32_e32 v22, 0
	v_mov_b32_e32 v24, 0
	s_mov_b32 s13, exec_lo
	v_cmpx_ne_u16_e32 0, v5
	s_cbranch_execz .LBB237_1737
; %bb.1730:                             ;   in Loop: Header=BB237_998 Depth=1
	v_bfrev_b32_e32 v23, 1
	v_mov_b32_e32 v24, 0
	s_mov_b32 s15, exec_lo
	v_cmpx_ne_u16_e32 0x80, v5
	s_cbranch_execz .LBB237_1736
; %bb.1731:                             ;   in Loop: Header=BB237_998 Depth=1
	v_mov_b32_e32 v23, 0x7f800001
	v_bfe_u32 v9, v55, 16, 7
	v_mov_b32_e32 v24, 0
	s_mov_b32 s16, exec_lo
	v_cmpx_ne_u32_e32 0x7f, v9
	s_cbranch_execz .LBB237_1735
; %bb.1732:                             ;   in Loop: Header=BB237_998 Depth=1
	v_mov_b32_e32 v5, 7
	v_lshrrev_b32_e32 v7, 3, v9
	s_mov_b32 s17, exec_lo
	v_and_b32_sdwa v5, v55, v5 dst_sel:DWORD dst_unused:UNUSED_PAD src0_sel:WORD_1 src1_sel:DWORD
	v_cmpx_gt_u32_e32 8, v9
; %bb.1733:                             ;   in Loop: Header=BB237_998 Depth=1
	v_ffbh_u32_e32 v7, v5
	v_min_u32_e32 v7, 32, v7
	v_subrev_nc_u32_e32 v9, 28, v7
	v_sub_nc_u32_e32 v7, 29, v7
	v_lshlrev_b64 v[23:24], v9, v[5:6]
	v_and_b32_e32 v5, 7, v23
; %bb.1734:                             ;   in Loop: Header=BB237_998 Depth=1
	s_or_b32 exec_lo, exec_lo, s17
	v_mov_b32_e32 v9, 24
	v_lshlrev_b32_e32 v5, 20, v5
	v_lshl_add_u32 v7, v7, 23, 0x3c000000
	v_lshlrev_b32_sdwa v9, v9, v55 dst_sel:DWORD dst_unused:UNUSED_PAD src0_sel:DWORD src1_sel:WORD_1
	v_and_b32_e32 v9, 0x80000000, v9
	v_or3_b32 v5, v5, v9, v7
	v_mov_b32_e32 v24, v6
	v_mov_b32_e32 v23, v5
.LBB237_1735:                           ;   in Loop: Header=BB237_998 Depth=1
	s_or_b32 exec_lo, exec_lo, s16
.LBB237_1736:                           ;   in Loop: Header=BB237_998 Depth=1
	s_or_b32 exec_lo, exec_lo, s15
.LBB237_1737:                           ;   in Loop: Header=BB237_998 Depth=1
	s_or_b32 exec_lo, exec_lo, s13
	s_mov_b32 s13, exec_lo
	v_cmpx_lt_u32_e32 0xffffff, v55
	s_cbranch_execz .LBB237_1745
; %bb.1738:                             ;   in Loop: Header=BB237_998 Depth=1
	v_mov_b32_e32 v7, v6
	v_mov_b32_e32 v22, v8
	v_cmp_ne_u32_sdwa s4, v55, v86 src0_sel:BYTE_3 src1_sel:DWORD
	v_mov_b32_e32 v21, v7
	s_and_saveexec_b32 s15, s4
	s_cbranch_execz .LBB237_1744
; %bb.1739:                             ;   in Loop: Header=BB237_998 Depth=1
	v_mov_b32_e32 v9, v6
	v_mov_b32_e32 v22, v10
	v_bfe_u32 v70, v55, 24, 7
	s_mov_b32 s16, exec_lo
	v_mov_b32_e32 v21, v9
	v_cmpx_ne_u32_e32 0x7f, v70
	s_cbranch_execz .LBB237_1743
; %bb.1740:                             ;   in Loop: Header=BB237_998 Depth=1
	v_mov_b32_e32 v5, 7
	v_lshrrev_b32_e32 v7, 3, v70
	s_mov_b32 s17, exec_lo
	v_and_b32_sdwa v5, v55, v5 dst_sel:DWORD dst_unused:UNUSED_PAD src0_sel:BYTE_3 src1_sel:DWORD
	v_cmpx_gt_u32_e32 8, v70
; %bb.1741:                             ;   in Loop: Header=BB237_998 Depth=1
	v_ffbh_u32_e32 v7, v5
	v_min_u32_e32 v7, 32, v7
	v_subrev_nc_u32_e32 v9, 28, v7
	v_sub_nc_u32_e32 v7, 29, v7
	v_lshlrev_b64 v[21:22], v9, v[5:6]
	v_and_b32_e32 v5, 7, v21
; %bb.1742:                             ;   in Loop: Header=BB237_998 Depth=1
	s_or_b32 exec_lo, exec_lo, s17
	v_mov_b32_e32 v9, 24
	v_lshlrev_b32_e32 v5, 20, v5
	v_lshl_add_u32 v7, v7, 23, 0x3c000000
	v_mov_b32_e32 v21, v6
	v_lshlrev_b32_sdwa v9, v9, v55 dst_sel:DWORD dst_unused:UNUSED_PAD src0_sel:DWORD src1_sel:BYTE_3
	v_and_b32_e32 v9, 0x80000000, v9
	v_or3_b32 v22, v5, v9, v7
.LBB237_1743:                           ;   in Loop: Header=BB237_998 Depth=1
	s_or_b32 exec_lo, exec_lo, s16
.LBB237_1744:                           ;   in Loop: Header=BB237_998 Depth=1
	s_or_b32 exec_lo, exec_lo, s15
.LBB237_1745:                           ;   in Loop: Header=BB237_998 Depth=1
	s_or_b32 exec_lo, exec_lo, s13
	v_or_b32_e32 v5, v20, v18
	v_or_b32_e32 v7, v19, v17
	;; [unrolled: 1-line block ×4, first 2 shown]
	v_mul_f32_e32 v81, v103, v5
	v_mul_f32_e32 v80, v103, v7
	;; [unrolled: 1-line block ×4, first 2 shown]
	s_and_saveexec_b32 s13, vcc_lo
	s_cbranch_execz .LBB237_1747
; %bb.1746:                             ;   in Loop: Header=BB237_998 Depth=1
	v_cmp_lt_i32_e64 s4, v115, v54
	v_cndmask_b32_e64 v80, 0, v80, s4
	v_cmp_lt_i32_e64 s4, v118, v54
	v_cndmask_b32_e64 v81, 0, v81, s4
	;; [unrolled: 2-line block ×4, first 2 shown]
.LBB237_1747:                           ;   in Loop: Header=BB237_998 Depth=1
	s_or_b32 exec_lo, exec_lo, s13
	flat_load_dword v55, v[13:14] offset:768
	v_mov_b32_e32 v19, 0
	v_mov_b32_e32 v17, 0
	;; [unrolled: 1-line block ×4, first 2 shown]
	s_waitcnt vmcnt(0) lgkmcnt(0)
	v_cmp_ne_u16_sdwa s4, v55, v6 src0_sel:BYTE_0 src1_sel:DWORD
	s_and_saveexec_b32 s13, s4
	s_cbranch_execz .LBB237_1755
; %bb.1748:                             ;   in Loop: Header=BB237_998 Depth=1
	v_bfrev_b32_e32 v17, 1
	v_mov_b32_e32 v18, 0
	v_cmp_ne_u16_sdwa s4, v55, v86 src0_sel:BYTE_0 src1_sel:DWORD
	s_and_saveexec_b32 s15, s4
	s_cbranch_execz .LBB237_1754
; %bb.1749:                             ;   in Loop: Header=BB237_998 Depth=1
	v_mov_b32_e32 v17, 0x7f800001
	v_and_b32_e32 v9, 0x7f, v55
	v_mov_b32_e32 v18, 0
	s_mov_b32 s16, exec_lo
	v_cmpx_ne_u32_e32 0x7f, v9
	s_cbranch_execz .LBB237_1753
; %bb.1750:                             ;   in Loop: Header=BB237_998 Depth=1
	v_and_b32_e32 v5, 7, v55
	v_lshrrev_b32_e32 v7, 3, v9
	s_mov_b32 s17, exec_lo
	v_cmpx_gt_u32_e32 8, v9
; %bb.1751:                             ;   in Loop: Header=BB237_998 Depth=1
	v_ffbh_u32_e32 v7, v5
	v_min_u32_e32 v7, 32, v7
	v_subrev_nc_u32_e32 v9, 28, v7
	v_sub_nc_u32_e32 v7, 29, v7
	v_lshlrev_b64 v[17:18], v9, v[5:6]
	v_and_b32_e32 v5, 7, v17
; %bb.1752:                             ;   in Loop: Header=BB237_998 Depth=1
	s_or_b32 exec_lo, exec_lo, s17
	v_lshlrev_b32_e32 v9, 24, v55
	v_lshlrev_b32_e32 v5, 20, v5
	v_lshl_add_u32 v7, v7, 23, 0x3c000000
	v_and_b32_e32 v9, 0x80000000, v9
	v_or3_b32 v5, v5, v9, v7
	v_mov_b32_e32 v18, v6
	v_mov_b32_e32 v17, v5
.LBB237_1753:                           ;   in Loop: Header=BB237_998 Depth=1
	s_or_b32 exec_lo, exec_lo, s16
.LBB237_1754:                           ;   in Loop: Header=BB237_998 Depth=1
	s_or_b32 exec_lo, exec_lo, s15
.LBB237_1755:                           ;   in Loop: Header=BB237_998 Depth=1
	s_or_b32 exec_lo, exec_lo, s13
	v_cmp_ne_u16_sdwa s4, v55, v6 src0_sel:BYTE_1 src1_sel:DWORD
	s_and_saveexec_b32 s13, s4
	s_cbranch_execz .LBB237_1763
; %bb.1756:                             ;   in Loop: Header=BB237_998 Depth=1
	v_mov_b32_e32 v7, v6
	v_mov_b32_e32 v20, v8
	v_cmp_ne_u16_sdwa s4, v55, v86 src0_sel:BYTE_1 src1_sel:DWORD
	v_mov_b32_e32 v19, v7
	s_and_saveexec_b32 s15, s4
	s_cbranch_execz .LBB237_1762
; %bb.1757:                             ;   in Loop: Header=BB237_998 Depth=1
	v_mov_b32_e32 v5, 0xffff
	v_mov_b32_e32 v9, v6
	;; [unrolled: 1-line block ×3, first 2 shown]
	s_mov_b32 s16, exec_lo
	v_and_b32_sdwa v5, v5, v55 dst_sel:DWORD dst_unused:UNUSED_PAD src0_sel:DWORD src1_sel:BYTE_1
	v_mov_b32_e32 v19, v9
	v_and_b32_e32 v21, 0x7f, v5
	v_cmpx_ne_u32_e32 0x7f, v21
	s_cbranch_execz .LBB237_1761
; %bb.1758:                             ;   in Loop: Header=BB237_998 Depth=1
	v_and_b32_e32 v5, 7, v5
	v_lshrrev_b32_e32 v7, 3, v21
	s_mov_b32 s17, exec_lo
	v_cmpx_gt_u32_e32 8, v21
; %bb.1759:                             ;   in Loop: Header=BB237_998 Depth=1
	v_ffbh_u32_e32 v7, v5
	v_min_u32_e32 v7, 32, v7
	v_subrev_nc_u32_e32 v9, 28, v7
	v_sub_nc_u32_e32 v7, 29, v7
	v_lshlrev_b64 v[19:20], v9, v[5:6]
	v_and_b32_e32 v5, 7, v19
; %bb.1760:                             ;   in Loop: Header=BB237_998 Depth=1
	s_or_b32 exec_lo, exec_lo, s17
	v_lshlrev_b32_e32 v9, 16, v55
	v_lshlrev_b32_e32 v5, 20, v5
	v_lshl_add_u32 v7, v7, 23, 0x3c000000
	v_mov_b32_e32 v19, v6
	v_and_b32_e32 v9, 0x80000000, v9
	v_or3_b32 v20, v5, v9, v7
.LBB237_1761:                           ;   in Loop: Header=BB237_998 Depth=1
	s_or_b32 exec_lo, exec_lo, s16
.LBB237_1762:                           ;   in Loop: Header=BB237_998 Depth=1
	s_or_b32 exec_lo, exec_lo, s15
.LBB237_1763:                           ;   in Loop: Header=BB237_998 Depth=1
	s_or_b32 exec_lo, exec_lo, s13
	v_mov_b32_e32 v21, 0
	v_mov_b32_e32 v23, 0
	v_and_b32_sdwa v5, v55, v96 dst_sel:DWORD dst_unused:UNUSED_PAD src0_sel:WORD_1 src1_sel:DWORD
	v_mov_b32_e32 v22, 0
	v_mov_b32_e32 v24, 0
	s_mov_b32 s13, exec_lo
	v_cmpx_ne_u16_e32 0, v5
	s_cbranch_execz .LBB237_1771
; %bb.1764:                             ;   in Loop: Header=BB237_998 Depth=1
	v_bfrev_b32_e32 v23, 1
	v_mov_b32_e32 v24, 0
	s_mov_b32 s15, exec_lo
	v_cmpx_ne_u16_e32 0x80, v5
	s_cbranch_execz .LBB237_1770
; %bb.1765:                             ;   in Loop: Header=BB237_998 Depth=1
	v_mov_b32_e32 v23, 0x7f800001
	v_bfe_u32 v9, v55, 16, 7
	v_mov_b32_e32 v24, 0
	s_mov_b32 s16, exec_lo
	v_cmpx_ne_u32_e32 0x7f, v9
	s_cbranch_execz .LBB237_1769
; %bb.1766:                             ;   in Loop: Header=BB237_998 Depth=1
	v_mov_b32_e32 v5, 7
	v_lshrrev_b32_e32 v7, 3, v9
	s_mov_b32 s17, exec_lo
	v_and_b32_sdwa v5, v55, v5 dst_sel:DWORD dst_unused:UNUSED_PAD src0_sel:WORD_1 src1_sel:DWORD
	v_cmpx_gt_u32_e32 8, v9
; %bb.1767:                             ;   in Loop: Header=BB237_998 Depth=1
	v_ffbh_u32_e32 v7, v5
	v_min_u32_e32 v7, 32, v7
	v_subrev_nc_u32_e32 v9, 28, v7
	v_sub_nc_u32_e32 v7, 29, v7
	v_lshlrev_b64 v[23:24], v9, v[5:6]
	v_and_b32_e32 v5, 7, v23
; %bb.1768:                             ;   in Loop: Header=BB237_998 Depth=1
	s_or_b32 exec_lo, exec_lo, s17
	v_mov_b32_e32 v9, 24
	v_lshlrev_b32_e32 v5, 20, v5
	v_lshl_add_u32 v7, v7, 23, 0x3c000000
	v_lshlrev_b32_sdwa v9, v9, v55 dst_sel:DWORD dst_unused:UNUSED_PAD src0_sel:DWORD src1_sel:WORD_1
	v_and_b32_e32 v9, 0x80000000, v9
	v_or3_b32 v5, v5, v9, v7
	v_mov_b32_e32 v24, v6
	v_mov_b32_e32 v23, v5
.LBB237_1769:                           ;   in Loop: Header=BB237_998 Depth=1
	s_or_b32 exec_lo, exec_lo, s16
.LBB237_1770:                           ;   in Loop: Header=BB237_998 Depth=1
	s_or_b32 exec_lo, exec_lo, s15
.LBB237_1771:                           ;   in Loop: Header=BB237_998 Depth=1
	s_or_b32 exec_lo, exec_lo, s13
	s_mov_b32 s13, exec_lo
	v_cmpx_lt_u32_e32 0xffffff, v55
	s_cbranch_execz .LBB237_1779
; %bb.1772:                             ;   in Loop: Header=BB237_998 Depth=1
	v_mov_b32_e32 v7, v6
	v_mov_b32_e32 v22, v8
	v_cmp_ne_u32_sdwa s4, v55, v86 src0_sel:BYTE_3 src1_sel:DWORD
	v_mov_b32_e32 v21, v7
	s_and_saveexec_b32 s15, s4
	s_cbranch_execz .LBB237_1778
; %bb.1773:                             ;   in Loop: Header=BB237_998 Depth=1
	v_mov_b32_e32 v9, v6
	v_mov_b32_e32 v22, v10
	v_bfe_u32 v82, v55, 24, 7
	s_mov_b32 s16, exec_lo
	v_mov_b32_e32 v21, v9
	v_cmpx_ne_u32_e32 0x7f, v82
	s_cbranch_execz .LBB237_1777
; %bb.1774:                             ;   in Loop: Header=BB237_998 Depth=1
	v_mov_b32_e32 v5, 7
	v_lshrrev_b32_e32 v7, 3, v82
	s_mov_b32 s17, exec_lo
	v_and_b32_sdwa v5, v55, v5 dst_sel:DWORD dst_unused:UNUSED_PAD src0_sel:BYTE_3 src1_sel:DWORD
	v_cmpx_gt_u32_e32 8, v82
; %bb.1775:                             ;   in Loop: Header=BB237_998 Depth=1
	v_ffbh_u32_e32 v7, v5
	v_min_u32_e32 v7, 32, v7
	v_subrev_nc_u32_e32 v9, 28, v7
	v_sub_nc_u32_e32 v7, 29, v7
	v_lshlrev_b64 v[21:22], v9, v[5:6]
	v_and_b32_e32 v5, 7, v21
; %bb.1776:                             ;   in Loop: Header=BB237_998 Depth=1
	s_or_b32 exec_lo, exec_lo, s17
	v_mov_b32_e32 v9, 24
	v_lshlrev_b32_e32 v5, 20, v5
	v_lshl_add_u32 v7, v7, 23, 0x3c000000
	v_mov_b32_e32 v21, v6
	v_lshlrev_b32_sdwa v9, v9, v55 dst_sel:DWORD dst_unused:UNUSED_PAD src0_sel:DWORD src1_sel:BYTE_3
	v_and_b32_e32 v9, 0x80000000, v9
	v_or3_b32 v22, v5, v9, v7
.LBB237_1777:                           ;   in Loop: Header=BB237_998 Depth=1
	s_or_b32 exec_lo, exec_lo, s16
.LBB237_1778:                           ;   in Loop: Header=BB237_998 Depth=1
	s_or_b32 exec_lo, exec_lo, s15
.LBB237_1779:                           ;   in Loop: Header=BB237_998 Depth=1
	s_or_b32 exec_lo, exec_lo, s13
	v_or_b32_e32 v5, v20, v18
	v_or_b32_e32 v7, v19, v17
	;; [unrolled: 1-line block ×4, first 2 shown]
	v_mul_f32_e32 v112, v103, v5
	v_mul_f32_e32 v102, v103, v7
	;; [unrolled: 1-line block ×4, first 2 shown]
	s_and_saveexec_b32 s13, vcc_lo
	s_cbranch_execz .LBB237_1781
; %bb.1780:                             ;   in Loop: Header=BB237_998 Depth=1
	v_cmp_lt_i32_e64 s4, v115, v54
	v_cndmask_b32_e64 v102, 0, v102, s4
	v_cmp_lt_i32_e64 s4, v118, v54
	v_cndmask_b32_e64 v112, 0, v112, s4
	;; [unrolled: 2-line block ×4, first 2 shown]
.LBB237_1781:                           ;   in Loop: Header=BB237_998 Depth=1
	s_or_b32 exec_lo, exec_lo, s13
	flat_load_dword v55, v[13:14] offset:896
	v_mov_b32_e32 v19, 0
	v_mov_b32_e32 v17, 0
	;; [unrolled: 1-line block ×4, first 2 shown]
	s_waitcnt vmcnt(0) lgkmcnt(0)
	v_cmp_ne_u16_sdwa s4, v55, v6 src0_sel:BYTE_0 src1_sel:DWORD
	s_and_saveexec_b32 s13, s4
	s_cbranch_execz .LBB237_1789
; %bb.1782:                             ;   in Loop: Header=BB237_998 Depth=1
	v_bfrev_b32_e32 v17, 1
	v_mov_b32_e32 v18, 0
	v_cmp_ne_u16_sdwa s4, v55, v86 src0_sel:BYTE_0 src1_sel:DWORD
	s_and_saveexec_b32 s15, s4
	s_cbranch_execz .LBB237_1788
; %bb.1783:                             ;   in Loop: Header=BB237_998 Depth=1
	v_mov_b32_e32 v17, 0x7f800001
	v_and_b32_e32 v9, 0x7f, v55
	v_mov_b32_e32 v18, 0
	s_mov_b32 s16, exec_lo
	v_cmpx_ne_u32_e32 0x7f, v9
	s_cbranch_execz .LBB237_1787
; %bb.1784:                             ;   in Loop: Header=BB237_998 Depth=1
	v_and_b32_e32 v5, 7, v55
	v_lshrrev_b32_e32 v7, 3, v9
	s_mov_b32 s17, exec_lo
	v_cmpx_gt_u32_e32 8, v9
; %bb.1785:                             ;   in Loop: Header=BB237_998 Depth=1
	v_ffbh_u32_e32 v7, v5
	v_min_u32_e32 v7, 32, v7
	v_subrev_nc_u32_e32 v9, 28, v7
	v_sub_nc_u32_e32 v7, 29, v7
	v_lshlrev_b64 v[17:18], v9, v[5:6]
	v_and_b32_e32 v5, 7, v17
; %bb.1786:                             ;   in Loop: Header=BB237_998 Depth=1
	s_or_b32 exec_lo, exec_lo, s17
	v_lshlrev_b32_e32 v9, 24, v55
	v_lshlrev_b32_e32 v5, 20, v5
	v_lshl_add_u32 v7, v7, 23, 0x3c000000
	v_and_b32_e32 v9, 0x80000000, v9
	v_or3_b32 v5, v5, v9, v7
	v_mov_b32_e32 v18, v6
	v_mov_b32_e32 v17, v5
.LBB237_1787:                           ;   in Loop: Header=BB237_998 Depth=1
	s_or_b32 exec_lo, exec_lo, s16
.LBB237_1788:                           ;   in Loop: Header=BB237_998 Depth=1
	s_or_b32 exec_lo, exec_lo, s15
.LBB237_1789:                           ;   in Loop: Header=BB237_998 Depth=1
	s_or_b32 exec_lo, exec_lo, s13
	v_cmp_ne_u16_sdwa s4, v55, v6 src0_sel:BYTE_1 src1_sel:DWORD
	s_and_saveexec_b32 s13, s4
	s_cbranch_execz .LBB237_1797
; %bb.1790:                             ;   in Loop: Header=BB237_998 Depth=1
	v_mov_b32_e32 v7, v6
	v_mov_b32_e32 v20, v8
	v_cmp_ne_u16_sdwa s4, v55, v86 src0_sel:BYTE_1 src1_sel:DWORD
	v_mov_b32_e32 v19, v7
	s_and_saveexec_b32 s15, s4
	s_cbranch_execz .LBB237_1796
; %bb.1791:                             ;   in Loop: Header=BB237_998 Depth=1
	v_mov_b32_e32 v5, 0xffff
	v_mov_b32_e32 v9, v6
	;; [unrolled: 1-line block ×3, first 2 shown]
	s_mov_b32 s16, exec_lo
	v_and_b32_sdwa v5, v5, v55 dst_sel:DWORD dst_unused:UNUSED_PAD src0_sel:DWORD src1_sel:BYTE_1
	v_mov_b32_e32 v19, v9
	v_and_b32_e32 v21, 0x7f, v5
	v_cmpx_ne_u32_e32 0x7f, v21
	s_cbranch_execz .LBB237_1795
; %bb.1792:                             ;   in Loop: Header=BB237_998 Depth=1
	v_and_b32_e32 v5, 7, v5
	v_lshrrev_b32_e32 v7, 3, v21
	s_mov_b32 s17, exec_lo
	v_cmpx_gt_u32_e32 8, v21
; %bb.1793:                             ;   in Loop: Header=BB237_998 Depth=1
	v_ffbh_u32_e32 v7, v5
	v_min_u32_e32 v7, 32, v7
	v_subrev_nc_u32_e32 v9, 28, v7
	v_sub_nc_u32_e32 v7, 29, v7
	v_lshlrev_b64 v[19:20], v9, v[5:6]
	v_and_b32_e32 v5, 7, v19
; %bb.1794:                             ;   in Loop: Header=BB237_998 Depth=1
	s_or_b32 exec_lo, exec_lo, s17
	v_lshlrev_b32_e32 v9, 16, v55
	v_lshlrev_b32_e32 v5, 20, v5
	v_lshl_add_u32 v7, v7, 23, 0x3c000000
	v_mov_b32_e32 v19, v6
	v_and_b32_e32 v9, 0x80000000, v9
	v_or3_b32 v20, v5, v9, v7
.LBB237_1795:                           ;   in Loop: Header=BB237_998 Depth=1
	s_or_b32 exec_lo, exec_lo, s16
.LBB237_1796:                           ;   in Loop: Header=BB237_998 Depth=1
	s_or_b32 exec_lo, exec_lo, s15
.LBB237_1797:                           ;   in Loop: Header=BB237_998 Depth=1
	s_or_b32 exec_lo, exec_lo, s13
	v_mov_b32_e32 v21, 0
	v_mov_b32_e32 v23, 0
	v_and_b32_sdwa v5, v55, v96 dst_sel:DWORD dst_unused:UNUSED_PAD src0_sel:WORD_1 src1_sel:DWORD
	v_mov_b32_e32 v22, 0
	v_mov_b32_e32 v24, 0
	s_mov_b32 s13, exec_lo
	v_cmpx_ne_u16_e32 0, v5
	s_cbranch_execz .LBB237_1805
; %bb.1798:                             ;   in Loop: Header=BB237_998 Depth=1
	v_bfrev_b32_e32 v23, 1
	v_mov_b32_e32 v24, 0
	s_mov_b32 s15, exec_lo
	v_cmpx_ne_u16_e32 0x80, v5
	s_cbranch_execz .LBB237_1804
; %bb.1799:                             ;   in Loop: Header=BB237_998 Depth=1
	v_mov_b32_e32 v23, 0x7f800001
	v_bfe_u32 v9, v55, 16, 7
	v_mov_b32_e32 v24, 0
	s_mov_b32 s16, exec_lo
	v_cmpx_ne_u32_e32 0x7f, v9
	s_cbranch_execz .LBB237_1803
; %bb.1800:                             ;   in Loop: Header=BB237_998 Depth=1
	v_mov_b32_e32 v5, 7
	v_lshrrev_b32_e32 v7, 3, v9
	s_mov_b32 s17, exec_lo
	v_and_b32_sdwa v5, v55, v5 dst_sel:DWORD dst_unused:UNUSED_PAD src0_sel:WORD_1 src1_sel:DWORD
	v_cmpx_gt_u32_e32 8, v9
; %bb.1801:                             ;   in Loop: Header=BB237_998 Depth=1
	v_ffbh_u32_e32 v7, v5
	v_min_u32_e32 v7, 32, v7
	v_subrev_nc_u32_e32 v9, 28, v7
	v_sub_nc_u32_e32 v7, 29, v7
	v_lshlrev_b64 v[23:24], v9, v[5:6]
	v_and_b32_e32 v5, 7, v23
; %bb.1802:                             ;   in Loop: Header=BB237_998 Depth=1
	s_or_b32 exec_lo, exec_lo, s17
	v_mov_b32_e32 v9, 24
	v_lshlrev_b32_e32 v5, 20, v5
	v_lshl_add_u32 v7, v7, 23, 0x3c000000
	v_lshlrev_b32_sdwa v9, v9, v55 dst_sel:DWORD dst_unused:UNUSED_PAD src0_sel:DWORD src1_sel:WORD_1
	v_and_b32_e32 v9, 0x80000000, v9
	v_or3_b32 v5, v5, v9, v7
	v_mov_b32_e32 v24, v6
	v_mov_b32_e32 v23, v5
.LBB237_1803:                           ;   in Loop: Header=BB237_998 Depth=1
	s_or_b32 exec_lo, exec_lo, s16
.LBB237_1804:                           ;   in Loop: Header=BB237_998 Depth=1
	s_or_b32 exec_lo, exec_lo, s15
.LBB237_1805:                           ;   in Loop: Header=BB237_998 Depth=1
	s_or_b32 exec_lo, exec_lo, s13
	s_mov_b32 s13, exec_lo
	v_cmpx_lt_u32_e32 0xffffff, v55
	s_cbranch_execz .LBB237_1813
; %bb.1806:                             ;   in Loop: Header=BB237_998 Depth=1
	v_mov_b32_e32 v7, v6
	v_mov_b32_e32 v22, v8
	v_cmp_ne_u32_sdwa s4, v55, v86 src0_sel:BYTE_3 src1_sel:DWORD
	v_mov_b32_e32 v21, v7
	s_and_saveexec_b32 s15, s4
	s_cbranch_execz .LBB237_1812
; %bb.1807:                             ;   in Loop: Header=BB237_998 Depth=1
	v_mov_b32_e32 v9, v6
	v_mov_b32_e32 v22, v10
	v_bfe_u32 v87, v55, 24, 7
	s_mov_b32 s16, exec_lo
	v_mov_b32_e32 v21, v9
	v_cmpx_ne_u32_e32 0x7f, v87
	s_cbranch_execz .LBB237_1811
; %bb.1808:                             ;   in Loop: Header=BB237_998 Depth=1
	v_mov_b32_e32 v5, 7
	v_lshrrev_b32_e32 v7, 3, v87
	s_mov_b32 s17, exec_lo
	v_and_b32_sdwa v5, v55, v5 dst_sel:DWORD dst_unused:UNUSED_PAD src0_sel:BYTE_3 src1_sel:DWORD
	v_cmpx_gt_u32_e32 8, v87
; %bb.1809:                             ;   in Loop: Header=BB237_998 Depth=1
	v_ffbh_u32_e32 v7, v5
	v_min_u32_e32 v7, 32, v7
	v_subrev_nc_u32_e32 v9, 28, v7
	v_sub_nc_u32_e32 v7, 29, v7
	v_lshlrev_b64 v[21:22], v9, v[5:6]
	v_and_b32_e32 v5, 7, v21
; %bb.1810:                             ;   in Loop: Header=BB237_998 Depth=1
	s_or_b32 exec_lo, exec_lo, s17
	v_mov_b32_e32 v9, 24
	v_lshlrev_b32_e32 v5, 20, v5
	v_lshl_add_u32 v7, v7, 23, 0x3c000000
	v_mov_b32_e32 v21, v6
	v_lshlrev_b32_sdwa v9, v9, v55 dst_sel:DWORD dst_unused:UNUSED_PAD src0_sel:DWORD src1_sel:BYTE_3
	v_and_b32_e32 v9, 0x80000000, v9
	v_or3_b32 v22, v5, v9, v7
.LBB237_1811:                           ;   in Loop: Header=BB237_998 Depth=1
	s_or_b32 exec_lo, exec_lo, s16
.LBB237_1812:                           ;   in Loop: Header=BB237_998 Depth=1
	s_or_b32 exec_lo, exec_lo, s15
.LBB237_1813:                           ;   in Loop: Header=BB237_998 Depth=1
	s_or_b32 exec_lo, exec_lo, s13
	v_or_b32_e32 v5, v20, v18
	v_or_b32_e32 v7, v19, v17
	;; [unrolled: 1-line block ×4, first 2 shown]
	v_mul_f32_e32 v119, v103, v5
	v_mul_f32_e32 v55, v103, v7
	;; [unrolled: 1-line block ×4, first 2 shown]
	s_and_saveexec_b32 s13, vcc_lo
	s_cbranch_execz .LBB237_1815
; %bb.1814:                             ;   in Loop: Header=BB237_998 Depth=1
	v_cmp_lt_i32_e64 s4, v115, v54
	v_cndmask_b32_e64 v55, 0, v55, s4
	v_cmp_lt_i32_e64 s4, v118, v54
	v_cndmask_b32_e64 v119, 0, v119, s4
	;; [unrolled: 2-line block ×4, first 2 shown]
.LBB237_1815:                           ;   in Loop: Header=BB237_998 Depth=1
	s_or_b32 exec_lo, exec_lo, s13
	flat_load_dword v87, v[13:14] offset:1024
	v_mov_b32_e32 v19, 0
	v_mov_b32_e32 v17, 0
	;; [unrolled: 1-line block ×4, first 2 shown]
	s_waitcnt vmcnt(0) lgkmcnt(0)
	v_cmp_ne_u16_sdwa s4, v87, v6 src0_sel:BYTE_0 src1_sel:DWORD
	s_and_saveexec_b32 s13, s4
	s_cbranch_execz .LBB237_1823
; %bb.1816:                             ;   in Loop: Header=BB237_998 Depth=1
	v_bfrev_b32_e32 v17, 1
	v_mov_b32_e32 v18, 0
	v_cmp_ne_u16_sdwa s4, v87, v86 src0_sel:BYTE_0 src1_sel:DWORD
	s_and_saveexec_b32 s15, s4
	s_cbranch_execz .LBB237_1822
; %bb.1817:                             ;   in Loop: Header=BB237_998 Depth=1
	v_mov_b32_e32 v17, 0x7f800001
	v_and_b32_e32 v9, 0x7f, v87
	v_mov_b32_e32 v18, 0
	s_mov_b32 s16, exec_lo
	v_cmpx_ne_u32_e32 0x7f, v9
	s_cbranch_execz .LBB237_1821
; %bb.1818:                             ;   in Loop: Header=BB237_998 Depth=1
	v_and_b32_e32 v5, 7, v87
	v_lshrrev_b32_e32 v7, 3, v9
	s_mov_b32 s17, exec_lo
	v_cmpx_gt_u32_e32 8, v9
; %bb.1819:                             ;   in Loop: Header=BB237_998 Depth=1
	v_ffbh_u32_e32 v7, v5
	v_min_u32_e32 v7, 32, v7
	v_subrev_nc_u32_e32 v9, 28, v7
	v_sub_nc_u32_e32 v7, 29, v7
	v_lshlrev_b64 v[17:18], v9, v[5:6]
	v_and_b32_e32 v5, 7, v17
; %bb.1820:                             ;   in Loop: Header=BB237_998 Depth=1
	s_or_b32 exec_lo, exec_lo, s17
	v_lshlrev_b32_e32 v9, 24, v87
	v_lshlrev_b32_e32 v5, 20, v5
	v_lshl_add_u32 v7, v7, 23, 0x3c000000
	v_and_b32_e32 v9, 0x80000000, v9
	v_or3_b32 v5, v5, v9, v7
	v_mov_b32_e32 v18, v6
	v_mov_b32_e32 v17, v5
.LBB237_1821:                           ;   in Loop: Header=BB237_998 Depth=1
	s_or_b32 exec_lo, exec_lo, s16
.LBB237_1822:                           ;   in Loop: Header=BB237_998 Depth=1
	s_or_b32 exec_lo, exec_lo, s15
.LBB237_1823:                           ;   in Loop: Header=BB237_998 Depth=1
	s_or_b32 exec_lo, exec_lo, s13
	v_cmp_ne_u16_sdwa s4, v87, v6 src0_sel:BYTE_1 src1_sel:DWORD
	s_and_saveexec_b32 s13, s4
	s_cbranch_execz .LBB237_1831
; %bb.1824:                             ;   in Loop: Header=BB237_998 Depth=1
	v_mov_b32_e32 v7, v6
	v_mov_b32_e32 v20, v8
	v_cmp_ne_u16_sdwa s4, v87, v86 src0_sel:BYTE_1 src1_sel:DWORD
	v_mov_b32_e32 v19, v7
	s_and_saveexec_b32 s15, s4
	s_cbranch_execz .LBB237_1830
; %bb.1825:                             ;   in Loop: Header=BB237_998 Depth=1
	v_mov_b32_e32 v5, 0xffff
	v_mov_b32_e32 v9, v6
	;; [unrolled: 1-line block ×3, first 2 shown]
	s_mov_b32 s16, exec_lo
	v_and_b32_sdwa v5, v5, v87 dst_sel:DWORD dst_unused:UNUSED_PAD src0_sel:DWORD src1_sel:BYTE_1
	v_mov_b32_e32 v19, v9
	v_and_b32_e32 v21, 0x7f, v5
	v_cmpx_ne_u32_e32 0x7f, v21
	s_cbranch_execz .LBB237_1829
; %bb.1826:                             ;   in Loop: Header=BB237_998 Depth=1
	v_and_b32_e32 v5, 7, v5
	v_lshrrev_b32_e32 v7, 3, v21
	s_mov_b32 s17, exec_lo
	v_cmpx_gt_u32_e32 8, v21
; %bb.1827:                             ;   in Loop: Header=BB237_998 Depth=1
	v_ffbh_u32_e32 v7, v5
	v_min_u32_e32 v7, 32, v7
	v_subrev_nc_u32_e32 v9, 28, v7
	v_sub_nc_u32_e32 v7, 29, v7
	v_lshlrev_b64 v[19:20], v9, v[5:6]
	v_and_b32_e32 v5, 7, v19
; %bb.1828:                             ;   in Loop: Header=BB237_998 Depth=1
	s_or_b32 exec_lo, exec_lo, s17
	v_lshlrev_b32_e32 v9, 16, v87
	v_lshlrev_b32_e32 v5, 20, v5
	v_lshl_add_u32 v7, v7, 23, 0x3c000000
	v_mov_b32_e32 v19, v6
	v_and_b32_e32 v9, 0x80000000, v9
	v_or3_b32 v20, v5, v9, v7
.LBB237_1829:                           ;   in Loop: Header=BB237_998 Depth=1
	s_or_b32 exec_lo, exec_lo, s16
.LBB237_1830:                           ;   in Loop: Header=BB237_998 Depth=1
	s_or_b32 exec_lo, exec_lo, s15
.LBB237_1831:                           ;   in Loop: Header=BB237_998 Depth=1
	s_or_b32 exec_lo, exec_lo, s13
	v_mov_b32_e32 v21, 0
	v_mov_b32_e32 v23, 0
	v_and_b32_sdwa v5, v87, v96 dst_sel:DWORD dst_unused:UNUSED_PAD src0_sel:WORD_1 src1_sel:DWORD
	v_mov_b32_e32 v22, 0
	v_mov_b32_e32 v24, 0
	s_mov_b32 s13, exec_lo
	v_cmpx_ne_u16_e32 0, v5
	s_cbranch_execz .LBB237_1839
; %bb.1832:                             ;   in Loop: Header=BB237_998 Depth=1
	v_bfrev_b32_e32 v23, 1
	v_mov_b32_e32 v24, 0
	s_mov_b32 s15, exec_lo
	v_cmpx_ne_u16_e32 0x80, v5
	s_cbranch_execz .LBB237_1838
; %bb.1833:                             ;   in Loop: Header=BB237_998 Depth=1
	v_mov_b32_e32 v23, 0x7f800001
	v_bfe_u32 v9, v87, 16, 7
	v_mov_b32_e32 v24, 0
	s_mov_b32 s16, exec_lo
	v_cmpx_ne_u32_e32 0x7f, v9
	s_cbranch_execz .LBB237_1837
; %bb.1834:                             ;   in Loop: Header=BB237_998 Depth=1
	v_mov_b32_e32 v5, 7
	v_lshrrev_b32_e32 v7, 3, v9
	s_mov_b32 s17, exec_lo
	v_and_b32_sdwa v5, v87, v5 dst_sel:DWORD dst_unused:UNUSED_PAD src0_sel:WORD_1 src1_sel:DWORD
	v_cmpx_gt_u32_e32 8, v9
; %bb.1835:                             ;   in Loop: Header=BB237_998 Depth=1
	v_ffbh_u32_e32 v7, v5
	v_min_u32_e32 v7, 32, v7
	v_subrev_nc_u32_e32 v9, 28, v7
	v_sub_nc_u32_e32 v7, 29, v7
	v_lshlrev_b64 v[23:24], v9, v[5:6]
	v_and_b32_e32 v5, 7, v23
; %bb.1836:                             ;   in Loop: Header=BB237_998 Depth=1
	s_or_b32 exec_lo, exec_lo, s17
	v_mov_b32_e32 v9, 24
	v_lshlrev_b32_e32 v5, 20, v5
	v_lshl_add_u32 v7, v7, 23, 0x3c000000
	v_lshlrev_b32_sdwa v9, v9, v87 dst_sel:DWORD dst_unused:UNUSED_PAD src0_sel:DWORD src1_sel:WORD_1
	v_and_b32_e32 v9, 0x80000000, v9
	v_or3_b32 v5, v5, v9, v7
	v_mov_b32_e32 v24, v6
	v_mov_b32_e32 v23, v5
.LBB237_1837:                           ;   in Loop: Header=BB237_998 Depth=1
	s_or_b32 exec_lo, exec_lo, s16
.LBB237_1838:                           ;   in Loop: Header=BB237_998 Depth=1
	s_or_b32 exec_lo, exec_lo, s15
.LBB237_1839:                           ;   in Loop: Header=BB237_998 Depth=1
	s_or_b32 exec_lo, exec_lo, s13
	s_mov_b32 s13, exec_lo
	v_cmpx_lt_u32_e32 0xffffff, v87
	s_cbranch_execz .LBB237_1847
; %bb.1840:                             ;   in Loop: Header=BB237_998 Depth=1
	v_mov_b32_e32 v7, v6
	v_mov_b32_e32 v22, v8
	v_cmp_ne_u32_sdwa s4, v87, v86 src0_sel:BYTE_3 src1_sel:DWORD
	v_mov_b32_e32 v21, v7
	s_and_saveexec_b32 s15, s4
	s_cbranch_execz .LBB237_1846
; %bb.1841:                             ;   in Loop: Header=BB237_998 Depth=1
	v_mov_b32_e32 v9, v6
	v_mov_b32_e32 v22, v10
	v_bfe_u32 v97, v87, 24, 7
	s_mov_b32 s16, exec_lo
	v_mov_b32_e32 v21, v9
	v_cmpx_ne_u32_e32 0x7f, v97
	s_cbranch_execz .LBB237_1845
; %bb.1842:                             ;   in Loop: Header=BB237_998 Depth=1
	v_mov_b32_e32 v5, 7
	v_lshrrev_b32_e32 v7, 3, v97
	s_mov_b32 s17, exec_lo
	v_and_b32_sdwa v5, v87, v5 dst_sel:DWORD dst_unused:UNUSED_PAD src0_sel:BYTE_3 src1_sel:DWORD
	v_cmpx_gt_u32_e32 8, v97
; %bb.1843:                             ;   in Loop: Header=BB237_998 Depth=1
	v_ffbh_u32_e32 v7, v5
	v_min_u32_e32 v7, 32, v7
	v_subrev_nc_u32_e32 v9, 28, v7
	v_sub_nc_u32_e32 v7, 29, v7
	v_lshlrev_b64 v[21:22], v9, v[5:6]
	v_and_b32_e32 v5, 7, v21
; %bb.1844:                             ;   in Loop: Header=BB237_998 Depth=1
	s_or_b32 exec_lo, exec_lo, s17
	v_mov_b32_e32 v9, 24
	v_lshlrev_b32_e32 v5, 20, v5
	v_lshl_add_u32 v7, v7, 23, 0x3c000000
	v_mov_b32_e32 v21, v6
	v_lshlrev_b32_sdwa v9, v9, v87 dst_sel:DWORD dst_unused:UNUSED_PAD src0_sel:DWORD src1_sel:BYTE_3
	v_and_b32_e32 v9, 0x80000000, v9
	v_or3_b32 v22, v5, v9, v7
.LBB237_1845:                           ;   in Loop: Header=BB237_998 Depth=1
	s_or_b32 exec_lo, exec_lo, s16
.LBB237_1846:                           ;   in Loop: Header=BB237_998 Depth=1
	s_or_b32 exec_lo, exec_lo, s15
.LBB237_1847:                           ;   in Loop: Header=BB237_998 Depth=1
	s_or_b32 exec_lo, exec_lo, s13
	v_or_b32_e32 v5, v20, v18
	v_or_b32_e32 v7, v19, v17
	;; [unrolled: 1-line block ×4, first 2 shown]
	v_mul_f32_e32 v43, v103, v5
	v_mul_f32_e32 v42, v103, v7
	;; [unrolled: 1-line block ×4, first 2 shown]
	s_and_saveexec_b32 s13, vcc_lo
	s_cbranch_execz .LBB237_1849
; %bb.1848:                             ;   in Loop: Header=BB237_998 Depth=1
	v_cmp_lt_i32_e64 s4, v115, v54
	v_cndmask_b32_e64 v42, 0, v42, s4
	v_cmp_lt_i32_e64 s4, v118, v54
	v_cndmask_b32_e64 v43, 0, v43, s4
	;; [unrolled: 2-line block ×4, first 2 shown]
.LBB237_1849:                           ;   in Loop: Header=BB237_998 Depth=1
	s_or_b32 exec_lo, exec_lo, s13
	flat_load_dword v87, v[13:14] offset:1152
	v_mov_b32_e32 v19, 0
	v_mov_b32_e32 v17, 0
	;; [unrolled: 1-line block ×4, first 2 shown]
	s_waitcnt vmcnt(0) lgkmcnt(0)
	v_cmp_ne_u16_sdwa s4, v87, v6 src0_sel:BYTE_0 src1_sel:DWORD
	s_and_saveexec_b32 s13, s4
	s_cbranch_execz .LBB237_1857
; %bb.1850:                             ;   in Loop: Header=BB237_998 Depth=1
	v_bfrev_b32_e32 v17, 1
	v_mov_b32_e32 v18, 0
	v_cmp_ne_u16_sdwa s4, v87, v86 src0_sel:BYTE_0 src1_sel:DWORD
	s_and_saveexec_b32 s15, s4
	s_cbranch_execz .LBB237_1856
; %bb.1851:                             ;   in Loop: Header=BB237_998 Depth=1
	v_mov_b32_e32 v17, 0x7f800001
	v_and_b32_e32 v9, 0x7f, v87
	v_mov_b32_e32 v18, 0
	s_mov_b32 s16, exec_lo
	v_cmpx_ne_u32_e32 0x7f, v9
	s_cbranch_execz .LBB237_1855
; %bb.1852:                             ;   in Loop: Header=BB237_998 Depth=1
	v_and_b32_e32 v5, 7, v87
	v_lshrrev_b32_e32 v7, 3, v9
	s_mov_b32 s17, exec_lo
	v_cmpx_gt_u32_e32 8, v9
; %bb.1853:                             ;   in Loop: Header=BB237_998 Depth=1
	v_ffbh_u32_e32 v7, v5
	v_min_u32_e32 v7, 32, v7
	v_subrev_nc_u32_e32 v9, 28, v7
	v_sub_nc_u32_e32 v7, 29, v7
	v_lshlrev_b64 v[17:18], v9, v[5:6]
	v_and_b32_e32 v5, 7, v17
; %bb.1854:                             ;   in Loop: Header=BB237_998 Depth=1
	s_or_b32 exec_lo, exec_lo, s17
	v_lshlrev_b32_e32 v9, 24, v87
	v_lshlrev_b32_e32 v5, 20, v5
	v_lshl_add_u32 v7, v7, 23, 0x3c000000
	v_and_b32_e32 v9, 0x80000000, v9
	v_or3_b32 v5, v5, v9, v7
	v_mov_b32_e32 v18, v6
	v_mov_b32_e32 v17, v5
.LBB237_1855:                           ;   in Loop: Header=BB237_998 Depth=1
	s_or_b32 exec_lo, exec_lo, s16
.LBB237_1856:                           ;   in Loop: Header=BB237_998 Depth=1
	s_or_b32 exec_lo, exec_lo, s15
.LBB237_1857:                           ;   in Loop: Header=BB237_998 Depth=1
	s_or_b32 exec_lo, exec_lo, s13
	v_cmp_ne_u16_sdwa s4, v87, v6 src0_sel:BYTE_1 src1_sel:DWORD
	s_and_saveexec_b32 s13, s4
	s_cbranch_execz .LBB237_1865
; %bb.1858:                             ;   in Loop: Header=BB237_998 Depth=1
	v_mov_b32_e32 v7, v6
	v_mov_b32_e32 v20, v8
	v_cmp_ne_u16_sdwa s4, v87, v86 src0_sel:BYTE_1 src1_sel:DWORD
	v_mov_b32_e32 v19, v7
	s_and_saveexec_b32 s15, s4
	s_cbranch_execz .LBB237_1864
; %bb.1859:                             ;   in Loop: Header=BB237_998 Depth=1
	v_mov_b32_e32 v5, 0xffff
	v_mov_b32_e32 v9, v6
	;; [unrolled: 1-line block ×3, first 2 shown]
	s_mov_b32 s16, exec_lo
	v_and_b32_sdwa v5, v5, v87 dst_sel:DWORD dst_unused:UNUSED_PAD src0_sel:DWORD src1_sel:BYTE_1
	v_mov_b32_e32 v19, v9
	v_and_b32_e32 v21, 0x7f, v5
	v_cmpx_ne_u32_e32 0x7f, v21
	s_cbranch_execz .LBB237_1863
; %bb.1860:                             ;   in Loop: Header=BB237_998 Depth=1
	v_and_b32_e32 v5, 7, v5
	v_lshrrev_b32_e32 v7, 3, v21
	s_mov_b32 s17, exec_lo
	v_cmpx_gt_u32_e32 8, v21
; %bb.1861:                             ;   in Loop: Header=BB237_998 Depth=1
	v_ffbh_u32_e32 v7, v5
	v_min_u32_e32 v7, 32, v7
	v_subrev_nc_u32_e32 v9, 28, v7
	v_sub_nc_u32_e32 v7, 29, v7
	v_lshlrev_b64 v[19:20], v9, v[5:6]
	v_and_b32_e32 v5, 7, v19
; %bb.1862:                             ;   in Loop: Header=BB237_998 Depth=1
	s_or_b32 exec_lo, exec_lo, s17
	v_lshlrev_b32_e32 v9, 16, v87
	v_lshlrev_b32_e32 v5, 20, v5
	v_lshl_add_u32 v7, v7, 23, 0x3c000000
	v_mov_b32_e32 v19, v6
	v_and_b32_e32 v9, 0x80000000, v9
	v_or3_b32 v20, v5, v9, v7
.LBB237_1863:                           ;   in Loop: Header=BB237_998 Depth=1
	s_or_b32 exec_lo, exec_lo, s16
.LBB237_1864:                           ;   in Loop: Header=BB237_998 Depth=1
	s_or_b32 exec_lo, exec_lo, s15
.LBB237_1865:                           ;   in Loop: Header=BB237_998 Depth=1
	s_or_b32 exec_lo, exec_lo, s13
	v_mov_b32_e32 v21, 0
	v_mov_b32_e32 v23, 0
	v_and_b32_sdwa v5, v87, v96 dst_sel:DWORD dst_unused:UNUSED_PAD src0_sel:WORD_1 src1_sel:DWORD
	v_mov_b32_e32 v22, 0
	v_mov_b32_e32 v24, 0
	s_mov_b32 s13, exec_lo
	v_cmpx_ne_u16_e32 0, v5
	s_cbranch_execz .LBB237_1873
; %bb.1866:                             ;   in Loop: Header=BB237_998 Depth=1
	v_bfrev_b32_e32 v23, 1
	v_mov_b32_e32 v24, 0
	s_mov_b32 s15, exec_lo
	v_cmpx_ne_u16_e32 0x80, v5
	s_cbranch_execz .LBB237_1872
; %bb.1867:                             ;   in Loop: Header=BB237_998 Depth=1
	v_mov_b32_e32 v23, 0x7f800001
	v_bfe_u32 v9, v87, 16, 7
	v_mov_b32_e32 v24, 0
	s_mov_b32 s16, exec_lo
	v_cmpx_ne_u32_e32 0x7f, v9
	s_cbranch_execz .LBB237_1871
; %bb.1868:                             ;   in Loop: Header=BB237_998 Depth=1
	v_mov_b32_e32 v5, 7
	v_lshrrev_b32_e32 v7, 3, v9
	s_mov_b32 s17, exec_lo
	v_and_b32_sdwa v5, v87, v5 dst_sel:DWORD dst_unused:UNUSED_PAD src0_sel:WORD_1 src1_sel:DWORD
	v_cmpx_gt_u32_e32 8, v9
; %bb.1869:                             ;   in Loop: Header=BB237_998 Depth=1
	v_ffbh_u32_e32 v7, v5
	v_min_u32_e32 v7, 32, v7
	v_subrev_nc_u32_e32 v9, 28, v7
	v_sub_nc_u32_e32 v7, 29, v7
	v_lshlrev_b64 v[23:24], v9, v[5:6]
	v_and_b32_e32 v5, 7, v23
; %bb.1870:                             ;   in Loop: Header=BB237_998 Depth=1
	s_or_b32 exec_lo, exec_lo, s17
	v_mov_b32_e32 v9, 24
	v_lshlrev_b32_e32 v5, 20, v5
	v_lshl_add_u32 v7, v7, 23, 0x3c000000
	v_lshlrev_b32_sdwa v9, v9, v87 dst_sel:DWORD dst_unused:UNUSED_PAD src0_sel:DWORD src1_sel:WORD_1
	v_and_b32_e32 v9, 0x80000000, v9
	v_or3_b32 v5, v5, v9, v7
	v_mov_b32_e32 v24, v6
	v_mov_b32_e32 v23, v5
.LBB237_1871:                           ;   in Loop: Header=BB237_998 Depth=1
	s_or_b32 exec_lo, exec_lo, s16
.LBB237_1872:                           ;   in Loop: Header=BB237_998 Depth=1
	s_or_b32 exec_lo, exec_lo, s15
.LBB237_1873:                           ;   in Loop: Header=BB237_998 Depth=1
	s_or_b32 exec_lo, exec_lo, s13
	s_mov_b32 s13, exec_lo
	v_cmpx_lt_u32_e32 0xffffff, v87
	s_cbranch_execz .LBB237_1881
; %bb.1874:                             ;   in Loop: Header=BB237_998 Depth=1
	v_mov_b32_e32 v7, v6
	v_mov_b32_e32 v22, v8
	v_cmp_ne_u32_sdwa s4, v87, v86 src0_sel:BYTE_3 src1_sel:DWORD
	v_mov_b32_e32 v21, v7
	s_and_saveexec_b32 s15, s4
	s_cbranch_execz .LBB237_1880
; %bb.1875:                             ;   in Loop: Header=BB237_998 Depth=1
	v_mov_b32_e32 v9, v6
	v_mov_b32_e32 v22, v10
	v_bfe_u32 v97, v87, 24, 7
	s_mov_b32 s16, exec_lo
	v_mov_b32_e32 v21, v9
	v_cmpx_ne_u32_e32 0x7f, v97
	s_cbranch_execz .LBB237_1879
; %bb.1876:                             ;   in Loop: Header=BB237_998 Depth=1
	v_mov_b32_e32 v5, 7
	v_lshrrev_b32_e32 v7, 3, v97
	s_mov_b32 s17, exec_lo
	v_and_b32_sdwa v5, v87, v5 dst_sel:DWORD dst_unused:UNUSED_PAD src0_sel:BYTE_3 src1_sel:DWORD
	v_cmpx_gt_u32_e32 8, v97
; %bb.1877:                             ;   in Loop: Header=BB237_998 Depth=1
	v_ffbh_u32_e32 v7, v5
	v_min_u32_e32 v7, 32, v7
	v_subrev_nc_u32_e32 v9, 28, v7
	v_sub_nc_u32_e32 v7, 29, v7
	v_lshlrev_b64 v[21:22], v9, v[5:6]
	v_and_b32_e32 v5, 7, v21
; %bb.1878:                             ;   in Loop: Header=BB237_998 Depth=1
	s_or_b32 exec_lo, exec_lo, s17
	v_mov_b32_e32 v9, 24
	v_lshlrev_b32_e32 v5, 20, v5
	v_lshl_add_u32 v7, v7, 23, 0x3c000000
	v_mov_b32_e32 v21, v6
	v_lshlrev_b32_sdwa v9, v9, v87 dst_sel:DWORD dst_unused:UNUSED_PAD src0_sel:DWORD src1_sel:BYTE_3
	v_and_b32_e32 v9, 0x80000000, v9
	v_or3_b32 v22, v5, v9, v7
.LBB237_1879:                           ;   in Loop: Header=BB237_998 Depth=1
	s_or_b32 exec_lo, exec_lo, s16
.LBB237_1880:                           ;   in Loop: Header=BB237_998 Depth=1
	s_or_b32 exec_lo, exec_lo, s15
.LBB237_1881:                           ;   in Loop: Header=BB237_998 Depth=1
	s_or_b32 exec_lo, exec_lo, s13
	v_or_b32_e32 v5, v20, v18
	v_or_b32_e32 v7, v19, v17
	;; [unrolled: 1-line block ×4, first 2 shown]
	v_mul_f32_e32 v47, v103, v5
	v_mul_f32_e32 v46, v103, v7
	v_mul_f32_e32 v45, v103, v9
	v_mul_f32_e32 v44, v103, v17
	s_and_saveexec_b32 s13, vcc_lo
	s_cbranch_execz .LBB237_1883
; %bb.1882:                             ;   in Loop: Header=BB237_998 Depth=1
	v_cmp_lt_i32_e64 s4, v115, v54
	v_cndmask_b32_e64 v46, 0, v46, s4
	v_cmp_lt_i32_e64 s4, v118, v54
	v_cndmask_b32_e64 v47, 0, v47, s4
	;; [unrolled: 2-line block ×4, first 2 shown]
.LBB237_1883:                           ;   in Loop: Header=BB237_998 Depth=1
	s_or_b32 exec_lo, exec_lo, s13
	flat_load_dword v87, v[13:14] offset:1280
	v_mov_b32_e32 v19, 0
	v_mov_b32_e32 v17, 0
	;; [unrolled: 1-line block ×4, first 2 shown]
	s_waitcnt vmcnt(0) lgkmcnt(0)
	v_cmp_ne_u16_sdwa s4, v87, v6 src0_sel:BYTE_0 src1_sel:DWORD
	s_and_saveexec_b32 s13, s4
	s_cbranch_execz .LBB237_1891
; %bb.1884:                             ;   in Loop: Header=BB237_998 Depth=1
	v_bfrev_b32_e32 v17, 1
	v_mov_b32_e32 v18, 0
	v_cmp_ne_u16_sdwa s4, v87, v86 src0_sel:BYTE_0 src1_sel:DWORD
	s_and_saveexec_b32 s15, s4
	s_cbranch_execz .LBB237_1890
; %bb.1885:                             ;   in Loop: Header=BB237_998 Depth=1
	v_mov_b32_e32 v17, 0x7f800001
	v_and_b32_e32 v9, 0x7f, v87
	v_mov_b32_e32 v18, 0
	s_mov_b32 s16, exec_lo
	v_cmpx_ne_u32_e32 0x7f, v9
	s_cbranch_execz .LBB237_1889
; %bb.1886:                             ;   in Loop: Header=BB237_998 Depth=1
	v_and_b32_e32 v5, 7, v87
	v_lshrrev_b32_e32 v7, 3, v9
	s_mov_b32 s17, exec_lo
	v_cmpx_gt_u32_e32 8, v9
; %bb.1887:                             ;   in Loop: Header=BB237_998 Depth=1
	v_ffbh_u32_e32 v7, v5
	v_min_u32_e32 v7, 32, v7
	v_subrev_nc_u32_e32 v9, 28, v7
	v_sub_nc_u32_e32 v7, 29, v7
	v_lshlrev_b64 v[17:18], v9, v[5:6]
	v_and_b32_e32 v5, 7, v17
; %bb.1888:                             ;   in Loop: Header=BB237_998 Depth=1
	s_or_b32 exec_lo, exec_lo, s17
	v_lshlrev_b32_e32 v9, 24, v87
	v_lshlrev_b32_e32 v5, 20, v5
	v_lshl_add_u32 v7, v7, 23, 0x3c000000
	v_and_b32_e32 v9, 0x80000000, v9
	v_or3_b32 v5, v5, v9, v7
	v_mov_b32_e32 v18, v6
	v_mov_b32_e32 v17, v5
.LBB237_1889:                           ;   in Loop: Header=BB237_998 Depth=1
	s_or_b32 exec_lo, exec_lo, s16
.LBB237_1890:                           ;   in Loop: Header=BB237_998 Depth=1
	s_or_b32 exec_lo, exec_lo, s15
.LBB237_1891:                           ;   in Loop: Header=BB237_998 Depth=1
	s_or_b32 exec_lo, exec_lo, s13
	v_cmp_ne_u16_sdwa s4, v87, v6 src0_sel:BYTE_1 src1_sel:DWORD
	s_and_saveexec_b32 s13, s4
	s_cbranch_execz .LBB237_1899
; %bb.1892:                             ;   in Loop: Header=BB237_998 Depth=1
	v_mov_b32_e32 v7, v6
	v_mov_b32_e32 v20, v8
	v_cmp_ne_u16_sdwa s4, v87, v86 src0_sel:BYTE_1 src1_sel:DWORD
	v_mov_b32_e32 v19, v7
	s_and_saveexec_b32 s15, s4
	s_cbranch_execz .LBB237_1898
; %bb.1893:                             ;   in Loop: Header=BB237_998 Depth=1
	v_mov_b32_e32 v5, 0xffff
	v_mov_b32_e32 v9, v6
	v_mov_b32_e32 v20, v10
	s_mov_b32 s16, exec_lo
	v_and_b32_sdwa v5, v5, v87 dst_sel:DWORD dst_unused:UNUSED_PAD src0_sel:DWORD src1_sel:BYTE_1
	v_mov_b32_e32 v19, v9
	v_and_b32_e32 v21, 0x7f, v5
	v_cmpx_ne_u32_e32 0x7f, v21
	s_cbranch_execz .LBB237_1897
; %bb.1894:                             ;   in Loop: Header=BB237_998 Depth=1
	v_and_b32_e32 v5, 7, v5
	v_lshrrev_b32_e32 v7, 3, v21
	s_mov_b32 s17, exec_lo
	v_cmpx_gt_u32_e32 8, v21
; %bb.1895:                             ;   in Loop: Header=BB237_998 Depth=1
	v_ffbh_u32_e32 v7, v5
	v_min_u32_e32 v7, 32, v7
	v_subrev_nc_u32_e32 v9, 28, v7
	v_sub_nc_u32_e32 v7, 29, v7
	v_lshlrev_b64 v[19:20], v9, v[5:6]
	v_and_b32_e32 v5, 7, v19
; %bb.1896:                             ;   in Loop: Header=BB237_998 Depth=1
	s_or_b32 exec_lo, exec_lo, s17
	v_lshlrev_b32_e32 v9, 16, v87
	v_lshlrev_b32_e32 v5, 20, v5
	v_lshl_add_u32 v7, v7, 23, 0x3c000000
	v_mov_b32_e32 v19, v6
	v_and_b32_e32 v9, 0x80000000, v9
	v_or3_b32 v20, v5, v9, v7
.LBB237_1897:                           ;   in Loop: Header=BB237_998 Depth=1
	s_or_b32 exec_lo, exec_lo, s16
.LBB237_1898:                           ;   in Loop: Header=BB237_998 Depth=1
	s_or_b32 exec_lo, exec_lo, s15
.LBB237_1899:                           ;   in Loop: Header=BB237_998 Depth=1
	s_or_b32 exec_lo, exec_lo, s13
	v_mov_b32_e32 v21, 0
	v_mov_b32_e32 v23, 0
	v_and_b32_sdwa v5, v87, v96 dst_sel:DWORD dst_unused:UNUSED_PAD src0_sel:WORD_1 src1_sel:DWORD
	v_mov_b32_e32 v22, 0
	v_mov_b32_e32 v24, 0
	s_mov_b32 s13, exec_lo
	v_cmpx_ne_u16_e32 0, v5
	s_cbranch_execz .LBB237_1907
; %bb.1900:                             ;   in Loop: Header=BB237_998 Depth=1
	v_bfrev_b32_e32 v23, 1
	v_mov_b32_e32 v24, 0
	s_mov_b32 s15, exec_lo
	v_cmpx_ne_u16_e32 0x80, v5
	s_cbranch_execz .LBB237_1906
; %bb.1901:                             ;   in Loop: Header=BB237_998 Depth=1
	v_mov_b32_e32 v23, 0x7f800001
	v_bfe_u32 v9, v87, 16, 7
	v_mov_b32_e32 v24, 0
	s_mov_b32 s16, exec_lo
	v_cmpx_ne_u32_e32 0x7f, v9
	s_cbranch_execz .LBB237_1905
; %bb.1902:                             ;   in Loop: Header=BB237_998 Depth=1
	v_mov_b32_e32 v5, 7
	v_lshrrev_b32_e32 v7, 3, v9
	s_mov_b32 s17, exec_lo
	v_and_b32_sdwa v5, v87, v5 dst_sel:DWORD dst_unused:UNUSED_PAD src0_sel:WORD_1 src1_sel:DWORD
	v_cmpx_gt_u32_e32 8, v9
; %bb.1903:                             ;   in Loop: Header=BB237_998 Depth=1
	v_ffbh_u32_e32 v7, v5
	v_min_u32_e32 v7, 32, v7
	v_subrev_nc_u32_e32 v9, 28, v7
	v_sub_nc_u32_e32 v7, 29, v7
	v_lshlrev_b64 v[23:24], v9, v[5:6]
	v_and_b32_e32 v5, 7, v23
; %bb.1904:                             ;   in Loop: Header=BB237_998 Depth=1
	s_or_b32 exec_lo, exec_lo, s17
	v_mov_b32_e32 v9, 24
	v_lshlrev_b32_e32 v5, 20, v5
	v_lshl_add_u32 v7, v7, 23, 0x3c000000
	v_lshlrev_b32_sdwa v9, v9, v87 dst_sel:DWORD dst_unused:UNUSED_PAD src0_sel:DWORD src1_sel:WORD_1
	v_and_b32_e32 v9, 0x80000000, v9
	v_or3_b32 v5, v5, v9, v7
	v_mov_b32_e32 v24, v6
	v_mov_b32_e32 v23, v5
.LBB237_1905:                           ;   in Loop: Header=BB237_998 Depth=1
	s_or_b32 exec_lo, exec_lo, s16
.LBB237_1906:                           ;   in Loop: Header=BB237_998 Depth=1
	s_or_b32 exec_lo, exec_lo, s15
.LBB237_1907:                           ;   in Loop: Header=BB237_998 Depth=1
	s_or_b32 exec_lo, exec_lo, s13
	s_mov_b32 s13, exec_lo
	v_cmpx_lt_u32_e32 0xffffff, v87
	s_cbranch_execz .LBB237_1915
; %bb.1908:                             ;   in Loop: Header=BB237_998 Depth=1
	v_mov_b32_e32 v7, v6
	v_mov_b32_e32 v22, v8
	v_cmp_ne_u32_sdwa s4, v87, v86 src0_sel:BYTE_3 src1_sel:DWORD
	v_mov_b32_e32 v21, v7
	s_and_saveexec_b32 s15, s4
	s_cbranch_execz .LBB237_1914
; %bb.1909:                             ;   in Loop: Header=BB237_998 Depth=1
	v_mov_b32_e32 v9, v6
	v_mov_b32_e32 v22, v10
	v_bfe_u32 v97, v87, 24, 7
	s_mov_b32 s16, exec_lo
	v_mov_b32_e32 v21, v9
	v_cmpx_ne_u32_e32 0x7f, v97
	s_cbranch_execz .LBB237_1913
; %bb.1910:                             ;   in Loop: Header=BB237_998 Depth=1
	v_mov_b32_e32 v5, 7
	v_lshrrev_b32_e32 v7, 3, v97
	s_mov_b32 s17, exec_lo
	v_and_b32_sdwa v5, v87, v5 dst_sel:DWORD dst_unused:UNUSED_PAD src0_sel:BYTE_3 src1_sel:DWORD
	v_cmpx_gt_u32_e32 8, v97
; %bb.1911:                             ;   in Loop: Header=BB237_998 Depth=1
	v_ffbh_u32_e32 v7, v5
	v_min_u32_e32 v7, 32, v7
	v_subrev_nc_u32_e32 v9, 28, v7
	v_sub_nc_u32_e32 v7, 29, v7
	v_lshlrev_b64 v[21:22], v9, v[5:6]
	v_and_b32_e32 v5, 7, v21
; %bb.1912:                             ;   in Loop: Header=BB237_998 Depth=1
	s_or_b32 exec_lo, exec_lo, s17
	v_mov_b32_e32 v9, 24
	v_lshlrev_b32_e32 v5, 20, v5
	v_lshl_add_u32 v7, v7, 23, 0x3c000000
	v_mov_b32_e32 v21, v6
	v_lshlrev_b32_sdwa v9, v9, v87 dst_sel:DWORD dst_unused:UNUSED_PAD src0_sel:DWORD src1_sel:BYTE_3
	v_and_b32_e32 v9, 0x80000000, v9
	v_or3_b32 v22, v5, v9, v7
.LBB237_1913:                           ;   in Loop: Header=BB237_998 Depth=1
	s_or_b32 exec_lo, exec_lo, s16
.LBB237_1914:                           ;   in Loop: Header=BB237_998 Depth=1
	s_or_b32 exec_lo, exec_lo, s15
.LBB237_1915:                           ;   in Loop: Header=BB237_998 Depth=1
	s_or_b32 exec_lo, exec_lo, s13
	v_or_b32_e32 v5, v20, v18
	v_or_b32_e32 v7, v19, v17
	;; [unrolled: 1-line block ×4, first 2 shown]
	v_mul_f32_e32 v59, v103, v5
	v_mul_f32_e32 v58, v103, v7
	;; [unrolled: 1-line block ×4, first 2 shown]
	s_and_saveexec_b32 s13, vcc_lo
	s_cbranch_execz .LBB237_1917
; %bb.1916:                             ;   in Loop: Header=BB237_998 Depth=1
	v_cmp_lt_i32_e64 s4, v115, v54
	v_cndmask_b32_e64 v58, 0, v58, s4
	v_cmp_lt_i32_e64 s4, v118, v54
	v_cndmask_b32_e64 v59, 0, v59, s4
	;; [unrolled: 2-line block ×4, first 2 shown]
.LBB237_1917:                           ;   in Loop: Header=BB237_998 Depth=1
	s_or_b32 exec_lo, exec_lo, s13
	flat_load_dword v87, v[13:14] offset:1408
	v_mov_b32_e32 v19, 0
	v_mov_b32_e32 v17, 0
	;; [unrolled: 1-line block ×4, first 2 shown]
	s_waitcnt vmcnt(0) lgkmcnt(0)
	v_cmp_ne_u16_sdwa s4, v87, v6 src0_sel:BYTE_0 src1_sel:DWORD
	s_and_saveexec_b32 s13, s4
	s_cbranch_execz .LBB237_1925
; %bb.1918:                             ;   in Loop: Header=BB237_998 Depth=1
	v_bfrev_b32_e32 v17, 1
	v_mov_b32_e32 v18, 0
	v_cmp_ne_u16_sdwa s4, v87, v86 src0_sel:BYTE_0 src1_sel:DWORD
	s_and_saveexec_b32 s15, s4
	s_cbranch_execz .LBB237_1924
; %bb.1919:                             ;   in Loop: Header=BB237_998 Depth=1
	v_mov_b32_e32 v17, 0x7f800001
	v_and_b32_e32 v9, 0x7f, v87
	v_mov_b32_e32 v18, 0
	s_mov_b32 s16, exec_lo
	v_cmpx_ne_u32_e32 0x7f, v9
	s_cbranch_execz .LBB237_1923
; %bb.1920:                             ;   in Loop: Header=BB237_998 Depth=1
	v_and_b32_e32 v5, 7, v87
	v_lshrrev_b32_e32 v7, 3, v9
	s_mov_b32 s17, exec_lo
	v_cmpx_gt_u32_e32 8, v9
; %bb.1921:                             ;   in Loop: Header=BB237_998 Depth=1
	v_ffbh_u32_e32 v7, v5
	v_min_u32_e32 v7, 32, v7
	v_subrev_nc_u32_e32 v9, 28, v7
	v_sub_nc_u32_e32 v7, 29, v7
	v_lshlrev_b64 v[17:18], v9, v[5:6]
	v_and_b32_e32 v5, 7, v17
; %bb.1922:                             ;   in Loop: Header=BB237_998 Depth=1
	s_or_b32 exec_lo, exec_lo, s17
	v_lshlrev_b32_e32 v9, 24, v87
	v_lshlrev_b32_e32 v5, 20, v5
	v_lshl_add_u32 v7, v7, 23, 0x3c000000
	v_and_b32_e32 v9, 0x80000000, v9
	v_or3_b32 v5, v5, v9, v7
	v_mov_b32_e32 v18, v6
	v_mov_b32_e32 v17, v5
.LBB237_1923:                           ;   in Loop: Header=BB237_998 Depth=1
	s_or_b32 exec_lo, exec_lo, s16
.LBB237_1924:                           ;   in Loop: Header=BB237_998 Depth=1
	s_or_b32 exec_lo, exec_lo, s15
.LBB237_1925:                           ;   in Loop: Header=BB237_998 Depth=1
	s_or_b32 exec_lo, exec_lo, s13
	v_cmp_ne_u16_sdwa s4, v87, v6 src0_sel:BYTE_1 src1_sel:DWORD
	s_and_saveexec_b32 s13, s4
	s_cbranch_execz .LBB237_1933
; %bb.1926:                             ;   in Loop: Header=BB237_998 Depth=1
	v_mov_b32_e32 v7, v6
	v_mov_b32_e32 v20, v8
	v_cmp_ne_u16_sdwa s4, v87, v86 src0_sel:BYTE_1 src1_sel:DWORD
	v_mov_b32_e32 v19, v7
	s_and_saveexec_b32 s15, s4
	s_cbranch_execz .LBB237_1932
; %bb.1927:                             ;   in Loop: Header=BB237_998 Depth=1
	v_mov_b32_e32 v5, 0xffff
	v_mov_b32_e32 v9, v6
	v_mov_b32_e32 v20, v10
	s_mov_b32 s16, exec_lo
	v_and_b32_sdwa v5, v5, v87 dst_sel:DWORD dst_unused:UNUSED_PAD src0_sel:DWORD src1_sel:BYTE_1
	v_mov_b32_e32 v19, v9
	v_and_b32_e32 v21, 0x7f, v5
	v_cmpx_ne_u32_e32 0x7f, v21
	s_cbranch_execz .LBB237_1931
; %bb.1928:                             ;   in Loop: Header=BB237_998 Depth=1
	v_and_b32_e32 v5, 7, v5
	v_lshrrev_b32_e32 v7, 3, v21
	s_mov_b32 s17, exec_lo
	v_cmpx_gt_u32_e32 8, v21
; %bb.1929:                             ;   in Loop: Header=BB237_998 Depth=1
	v_ffbh_u32_e32 v7, v5
	v_min_u32_e32 v7, 32, v7
	v_subrev_nc_u32_e32 v9, 28, v7
	v_sub_nc_u32_e32 v7, 29, v7
	v_lshlrev_b64 v[19:20], v9, v[5:6]
	v_and_b32_e32 v5, 7, v19
; %bb.1930:                             ;   in Loop: Header=BB237_998 Depth=1
	s_or_b32 exec_lo, exec_lo, s17
	v_lshlrev_b32_e32 v9, 16, v87
	v_lshlrev_b32_e32 v5, 20, v5
	v_lshl_add_u32 v7, v7, 23, 0x3c000000
	v_mov_b32_e32 v19, v6
	v_and_b32_e32 v9, 0x80000000, v9
	v_or3_b32 v20, v5, v9, v7
.LBB237_1931:                           ;   in Loop: Header=BB237_998 Depth=1
	s_or_b32 exec_lo, exec_lo, s16
.LBB237_1932:                           ;   in Loop: Header=BB237_998 Depth=1
	s_or_b32 exec_lo, exec_lo, s15
.LBB237_1933:                           ;   in Loop: Header=BB237_998 Depth=1
	s_or_b32 exec_lo, exec_lo, s13
	v_mov_b32_e32 v21, 0
	v_mov_b32_e32 v23, 0
	v_and_b32_sdwa v5, v87, v96 dst_sel:DWORD dst_unused:UNUSED_PAD src0_sel:WORD_1 src1_sel:DWORD
	v_mov_b32_e32 v22, 0
	v_mov_b32_e32 v24, 0
	s_mov_b32 s13, exec_lo
	v_cmpx_ne_u16_e32 0, v5
	s_cbranch_execz .LBB237_1941
; %bb.1934:                             ;   in Loop: Header=BB237_998 Depth=1
	v_bfrev_b32_e32 v23, 1
	v_mov_b32_e32 v24, 0
	s_mov_b32 s15, exec_lo
	v_cmpx_ne_u16_e32 0x80, v5
	s_cbranch_execz .LBB237_1940
; %bb.1935:                             ;   in Loop: Header=BB237_998 Depth=1
	v_mov_b32_e32 v23, 0x7f800001
	v_bfe_u32 v9, v87, 16, 7
	v_mov_b32_e32 v24, 0
	s_mov_b32 s16, exec_lo
	v_cmpx_ne_u32_e32 0x7f, v9
	s_cbranch_execz .LBB237_1939
; %bb.1936:                             ;   in Loop: Header=BB237_998 Depth=1
	v_mov_b32_e32 v5, 7
	v_lshrrev_b32_e32 v7, 3, v9
	s_mov_b32 s17, exec_lo
	v_and_b32_sdwa v5, v87, v5 dst_sel:DWORD dst_unused:UNUSED_PAD src0_sel:WORD_1 src1_sel:DWORD
	v_cmpx_gt_u32_e32 8, v9
; %bb.1937:                             ;   in Loop: Header=BB237_998 Depth=1
	v_ffbh_u32_e32 v7, v5
	v_min_u32_e32 v7, 32, v7
	v_subrev_nc_u32_e32 v9, 28, v7
	v_sub_nc_u32_e32 v7, 29, v7
	v_lshlrev_b64 v[23:24], v9, v[5:6]
	v_and_b32_e32 v5, 7, v23
; %bb.1938:                             ;   in Loop: Header=BB237_998 Depth=1
	s_or_b32 exec_lo, exec_lo, s17
	v_mov_b32_e32 v9, 24
	v_lshlrev_b32_e32 v5, 20, v5
	v_lshl_add_u32 v7, v7, 23, 0x3c000000
	v_lshlrev_b32_sdwa v9, v9, v87 dst_sel:DWORD dst_unused:UNUSED_PAD src0_sel:DWORD src1_sel:WORD_1
	v_and_b32_e32 v9, 0x80000000, v9
	v_or3_b32 v5, v5, v9, v7
	v_mov_b32_e32 v24, v6
	v_mov_b32_e32 v23, v5
.LBB237_1939:                           ;   in Loop: Header=BB237_998 Depth=1
	s_or_b32 exec_lo, exec_lo, s16
.LBB237_1940:                           ;   in Loop: Header=BB237_998 Depth=1
	s_or_b32 exec_lo, exec_lo, s15
.LBB237_1941:                           ;   in Loop: Header=BB237_998 Depth=1
	s_or_b32 exec_lo, exec_lo, s13
	s_mov_b32 s13, exec_lo
	v_cmpx_lt_u32_e32 0xffffff, v87
	s_cbranch_execz .LBB237_1949
; %bb.1942:                             ;   in Loop: Header=BB237_998 Depth=1
	v_mov_b32_e32 v7, v6
	v_mov_b32_e32 v22, v8
	v_cmp_ne_u32_sdwa s4, v87, v86 src0_sel:BYTE_3 src1_sel:DWORD
	v_mov_b32_e32 v21, v7
	s_and_saveexec_b32 s15, s4
	s_cbranch_execz .LBB237_1948
; %bb.1943:                             ;   in Loop: Header=BB237_998 Depth=1
	v_mov_b32_e32 v9, v6
	v_mov_b32_e32 v22, v10
	v_bfe_u32 v97, v87, 24, 7
	s_mov_b32 s16, exec_lo
	v_mov_b32_e32 v21, v9
	v_cmpx_ne_u32_e32 0x7f, v97
	s_cbranch_execz .LBB237_1947
; %bb.1944:                             ;   in Loop: Header=BB237_998 Depth=1
	v_mov_b32_e32 v5, 7
	v_lshrrev_b32_e32 v7, 3, v97
	s_mov_b32 s17, exec_lo
	v_and_b32_sdwa v5, v87, v5 dst_sel:DWORD dst_unused:UNUSED_PAD src0_sel:BYTE_3 src1_sel:DWORD
	v_cmpx_gt_u32_e32 8, v97
; %bb.1945:                             ;   in Loop: Header=BB237_998 Depth=1
	v_ffbh_u32_e32 v7, v5
	v_min_u32_e32 v7, 32, v7
	v_subrev_nc_u32_e32 v9, 28, v7
	v_sub_nc_u32_e32 v7, 29, v7
	v_lshlrev_b64 v[21:22], v9, v[5:6]
	v_and_b32_e32 v5, 7, v21
; %bb.1946:                             ;   in Loop: Header=BB237_998 Depth=1
	s_or_b32 exec_lo, exec_lo, s17
	v_mov_b32_e32 v9, 24
	v_lshlrev_b32_e32 v5, 20, v5
	v_lshl_add_u32 v7, v7, 23, 0x3c000000
	v_mov_b32_e32 v21, v6
	v_lshlrev_b32_sdwa v9, v9, v87 dst_sel:DWORD dst_unused:UNUSED_PAD src0_sel:DWORD src1_sel:BYTE_3
	v_and_b32_e32 v9, 0x80000000, v9
	v_or3_b32 v22, v5, v9, v7
.LBB237_1947:                           ;   in Loop: Header=BB237_998 Depth=1
	s_or_b32 exec_lo, exec_lo, s16
.LBB237_1948:                           ;   in Loop: Header=BB237_998 Depth=1
	s_or_b32 exec_lo, exec_lo, s15
.LBB237_1949:                           ;   in Loop: Header=BB237_998 Depth=1
	s_or_b32 exec_lo, exec_lo, s13
	v_or_b32_e32 v5, v20, v18
	v_or_b32_e32 v7, v19, v17
	;; [unrolled: 1-line block ×4, first 2 shown]
	v_mul_f32_e32 v97, v103, v5
	v_mul_f32_e32 v87, v103, v7
	;; [unrolled: 1-line block ×4, first 2 shown]
	s_and_saveexec_b32 s13, vcc_lo
	s_cbranch_execz .LBB237_1951
; %bb.1950:                             ;   in Loop: Header=BB237_998 Depth=1
	v_cmp_lt_i32_e64 s4, v115, v54
	v_cndmask_b32_e64 v87, 0, v87, s4
	v_cmp_lt_i32_e64 s4, v118, v54
	v_cndmask_b32_e64 v97, 0, v97, s4
	v_cmp_lt_i32_e64 s4, v117, v54
	v_cndmask_b32_e64 v61, 0, v61, s4
	v_cmp_lt_i32_e64 s4, v116, v54
	v_cndmask_b32_e64 v60, 0, v60, s4
.LBB237_1951:                           ;   in Loop: Header=BB237_998 Depth=1
	s_or_b32 exec_lo, exec_lo, s13
	flat_load_dword v98, v[13:14] offset:1536
	v_mov_b32_e32 v19, 0
	v_mov_b32_e32 v17, 0
	;; [unrolled: 1-line block ×4, first 2 shown]
	s_waitcnt vmcnt(0) lgkmcnt(0)
	v_cmp_ne_u16_sdwa s4, v98, v6 src0_sel:BYTE_0 src1_sel:DWORD
	s_and_saveexec_b32 s13, s4
	s_cbranch_execz .LBB237_1959
; %bb.1952:                             ;   in Loop: Header=BB237_998 Depth=1
	v_bfrev_b32_e32 v17, 1
	v_mov_b32_e32 v18, 0
	v_cmp_ne_u16_sdwa s4, v98, v86 src0_sel:BYTE_0 src1_sel:DWORD
	s_and_saveexec_b32 s15, s4
	s_cbranch_execz .LBB237_1958
; %bb.1953:                             ;   in Loop: Header=BB237_998 Depth=1
	v_mov_b32_e32 v17, 0x7f800001
	v_and_b32_e32 v9, 0x7f, v98
	v_mov_b32_e32 v18, 0
	s_mov_b32 s16, exec_lo
	v_cmpx_ne_u32_e32 0x7f, v9
	s_cbranch_execz .LBB237_1957
; %bb.1954:                             ;   in Loop: Header=BB237_998 Depth=1
	v_and_b32_e32 v5, 7, v98
	v_lshrrev_b32_e32 v7, 3, v9
	s_mov_b32 s17, exec_lo
	v_cmpx_gt_u32_e32 8, v9
; %bb.1955:                             ;   in Loop: Header=BB237_998 Depth=1
	v_ffbh_u32_e32 v7, v5
	v_min_u32_e32 v7, 32, v7
	v_subrev_nc_u32_e32 v9, 28, v7
	v_sub_nc_u32_e32 v7, 29, v7
	v_lshlrev_b64 v[17:18], v9, v[5:6]
	v_and_b32_e32 v5, 7, v17
; %bb.1956:                             ;   in Loop: Header=BB237_998 Depth=1
	s_or_b32 exec_lo, exec_lo, s17
	v_lshlrev_b32_e32 v9, 24, v98
	v_lshlrev_b32_e32 v5, 20, v5
	v_lshl_add_u32 v7, v7, 23, 0x3c000000
	v_and_b32_e32 v9, 0x80000000, v9
	v_or3_b32 v5, v5, v9, v7
	v_mov_b32_e32 v18, v6
	v_mov_b32_e32 v17, v5
.LBB237_1957:                           ;   in Loop: Header=BB237_998 Depth=1
	s_or_b32 exec_lo, exec_lo, s16
.LBB237_1958:                           ;   in Loop: Header=BB237_998 Depth=1
	s_or_b32 exec_lo, exec_lo, s15
.LBB237_1959:                           ;   in Loop: Header=BB237_998 Depth=1
	s_or_b32 exec_lo, exec_lo, s13
	v_cmp_ne_u16_sdwa s4, v98, v6 src0_sel:BYTE_1 src1_sel:DWORD
	s_and_saveexec_b32 s13, s4
	s_cbranch_execz .LBB237_1967
; %bb.1960:                             ;   in Loop: Header=BB237_998 Depth=1
	v_mov_b32_e32 v7, v6
	v_mov_b32_e32 v20, v8
	v_cmp_ne_u16_sdwa s4, v98, v86 src0_sel:BYTE_1 src1_sel:DWORD
	v_mov_b32_e32 v19, v7
	s_and_saveexec_b32 s15, s4
	s_cbranch_execz .LBB237_1966
; %bb.1961:                             ;   in Loop: Header=BB237_998 Depth=1
	v_mov_b32_e32 v5, 0xffff
	v_mov_b32_e32 v9, v6
	;; [unrolled: 1-line block ×3, first 2 shown]
	s_mov_b32 s16, exec_lo
	v_and_b32_sdwa v5, v5, v98 dst_sel:DWORD dst_unused:UNUSED_PAD src0_sel:DWORD src1_sel:BYTE_1
	v_mov_b32_e32 v19, v9
	v_and_b32_e32 v21, 0x7f, v5
	v_cmpx_ne_u32_e32 0x7f, v21
	s_cbranch_execz .LBB237_1965
; %bb.1962:                             ;   in Loop: Header=BB237_998 Depth=1
	v_and_b32_e32 v5, 7, v5
	v_lshrrev_b32_e32 v7, 3, v21
	s_mov_b32 s17, exec_lo
	v_cmpx_gt_u32_e32 8, v21
; %bb.1963:                             ;   in Loop: Header=BB237_998 Depth=1
	v_ffbh_u32_e32 v7, v5
	v_min_u32_e32 v7, 32, v7
	v_subrev_nc_u32_e32 v9, 28, v7
	v_sub_nc_u32_e32 v7, 29, v7
	v_lshlrev_b64 v[19:20], v9, v[5:6]
	v_and_b32_e32 v5, 7, v19
; %bb.1964:                             ;   in Loop: Header=BB237_998 Depth=1
	s_or_b32 exec_lo, exec_lo, s17
	v_lshlrev_b32_e32 v9, 16, v98
	v_lshlrev_b32_e32 v5, 20, v5
	v_lshl_add_u32 v7, v7, 23, 0x3c000000
	v_mov_b32_e32 v19, v6
	v_and_b32_e32 v9, 0x80000000, v9
	v_or3_b32 v20, v5, v9, v7
.LBB237_1965:                           ;   in Loop: Header=BB237_998 Depth=1
	s_or_b32 exec_lo, exec_lo, s16
.LBB237_1966:                           ;   in Loop: Header=BB237_998 Depth=1
	s_or_b32 exec_lo, exec_lo, s15
.LBB237_1967:                           ;   in Loop: Header=BB237_998 Depth=1
	s_or_b32 exec_lo, exec_lo, s13
	v_mov_b32_e32 v21, 0
	v_mov_b32_e32 v23, 0
	v_and_b32_sdwa v5, v98, v96 dst_sel:DWORD dst_unused:UNUSED_PAD src0_sel:WORD_1 src1_sel:DWORD
	v_mov_b32_e32 v22, 0
	v_mov_b32_e32 v24, 0
	s_mov_b32 s13, exec_lo
	v_cmpx_ne_u16_e32 0, v5
	s_cbranch_execz .LBB237_1975
; %bb.1968:                             ;   in Loop: Header=BB237_998 Depth=1
	v_bfrev_b32_e32 v23, 1
	v_mov_b32_e32 v24, 0
	s_mov_b32 s15, exec_lo
	v_cmpx_ne_u16_e32 0x80, v5
	s_cbranch_execz .LBB237_1974
; %bb.1969:                             ;   in Loop: Header=BB237_998 Depth=1
	v_mov_b32_e32 v23, 0x7f800001
	v_bfe_u32 v9, v98, 16, 7
	v_mov_b32_e32 v24, 0
	s_mov_b32 s16, exec_lo
	v_cmpx_ne_u32_e32 0x7f, v9
	s_cbranch_execz .LBB237_1973
; %bb.1970:                             ;   in Loop: Header=BB237_998 Depth=1
	v_mov_b32_e32 v5, 7
	v_lshrrev_b32_e32 v7, 3, v9
	s_mov_b32 s17, exec_lo
	v_and_b32_sdwa v5, v98, v5 dst_sel:DWORD dst_unused:UNUSED_PAD src0_sel:WORD_1 src1_sel:DWORD
	v_cmpx_gt_u32_e32 8, v9
; %bb.1971:                             ;   in Loop: Header=BB237_998 Depth=1
	v_ffbh_u32_e32 v7, v5
	v_min_u32_e32 v7, 32, v7
	v_subrev_nc_u32_e32 v9, 28, v7
	v_sub_nc_u32_e32 v7, 29, v7
	v_lshlrev_b64 v[23:24], v9, v[5:6]
	v_and_b32_e32 v5, 7, v23
; %bb.1972:                             ;   in Loop: Header=BB237_998 Depth=1
	s_or_b32 exec_lo, exec_lo, s17
	v_mov_b32_e32 v9, 24
	v_lshlrev_b32_e32 v5, 20, v5
	v_lshl_add_u32 v7, v7, 23, 0x3c000000
	v_lshlrev_b32_sdwa v9, v9, v98 dst_sel:DWORD dst_unused:UNUSED_PAD src0_sel:DWORD src1_sel:WORD_1
	v_and_b32_e32 v9, 0x80000000, v9
	v_or3_b32 v5, v5, v9, v7
	v_mov_b32_e32 v24, v6
	v_mov_b32_e32 v23, v5
.LBB237_1973:                           ;   in Loop: Header=BB237_998 Depth=1
	s_or_b32 exec_lo, exec_lo, s16
.LBB237_1974:                           ;   in Loop: Header=BB237_998 Depth=1
	s_or_b32 exec_lo, exec_lo, s15
.LBB237_1975:                           ;   in Loop: Header=BB237_998 Depth=1
	s_or_b32 exec_lo, exec_lo, s13
	s_mov_b32 s13, exec_lo
	v_cmpx_lt_u32_e32 0xffffff, v98
	s_cbranch_execz .LBB237_1983
; %bb.1976:                             ;   in Loop: Header=BB237_998 Depth=1
	v_mov_b32_e32 v7, v6
	v_mov_b32_e32 v22, v8
	v_cmp_ne_u32_sdwa s4, v98, v86 src0_sel:BYTE_3 src1_sel:DWORD
	v_mov_b32_e32 v21, v7
	s_and_saveexec_b32 s15, s4
	s_cbranch_execz .LBB237_1982
; %bb.1977:                             ;   in Loop: Header=BB237_998 Depth=1
	v_mov_b32_e32 v9, v6
	v_mov_b32_e32 v22, v10
	v_bfe_u32 v62, v98, 24, 7
	s_mov_b32 s16, exec_lo
	v_mov_b32_e32 v21, v9
	v_cmpx_ne_u32_e32 0x7f, v62
	s_cbranch_execz .LBB237_1981
; %bb.1978:                             ;   in Loop: Header=BB237_998 Depth=1
	v_mov_b32_e32 v5, 7
	v_lshrrev_b32_e32 v7, 3, v62
	s_mov_b32 s17, exec_lo
	v_and_b32_sdwa v5, v98, v5 dst_sel:DWORD dst_unused:UNUSED_PAD src0_sel:BYTE_3 src1_sel:DWORD
	v_cmpx_gt_u32_e32 8, v62
; %bb.1979:                             ;   in Loop: Header=BB237_998 Depth=1
	v_ffbh_u32_e32 v7, v5
	v_min_u32_e32 v7, 32, v7
	v_subrev_nc_u32_e32 v9, 28, v7
	v_sub_nc_u32_e32 v7, 29, v7
	v_lshlrev_b64 v[21:22], v9, v[5:6]
	v_and_b32_e32 v5, 7, v21
; %bb.1980:                             ;   in Loop: Header=BB237_998 Depth=1
	s_or_b32 exec_lo, exec_lo, s17
	v_mov_b32_e32 v9, 24
	v_lshlrev_b32_e32 v5, 20, v5
	v_lshl_add_u32 v7, v7, 23, 0x3c000000
	v_mov_b32_e32 v21, v6
	v_lshlrev_b32_sdwa v9, v9, v98 dst_sel:DWORD dst_unused:UNUSED_PAD src0_sel:DWORD src1_sel:BYTE_3
	v_and_b32_e32 v9, 0x80000000, v9
	v_or3_b32 v22, v5, v9, v7
.LBB237_1981:                           ;   in Loop: Header=BB237_998 Depth=1
	s_or_b32 exec_lo, exec_lo, s16
.LBB237_1982:                           ;   in Loop: Header=BB237_998 Depth=1
	s_or_b32 exec_lo, exec_lo, s15
.LBB237_1983:                           ;   in Loop: Header=BB237_998 Depth=1
	s_or_b32 exec_lo, exec_lo, s13
	v_or_b32_e32 v5, v20, v18
	v_or_b32_e32 v7, v19, v17
	;; [unrolled: 1-line block ×4, first 2 shown]
	v_mul_f32_e32 v62, v103, v5
	v_mul_f32_e32 v98, v103, v7
	;; [unrolled: 1-line block ×4, first 2 shown]
	s_and_saveexec_b32 s13, vcc_lo
	s_cbranch_execz .LBB237_1985
; %bb.1984:                             ;   in Loop: Header=BB237_998 Depth=1
	v_cmp_lt_i32_e64 s4, v115, v54
	v_cndmask_b32_e64 v98, 0, v98, s4
	v_cmp_lt_i32_e64 s4, v118, v54
	v_cndmask_b32_e64 v62, 0, v62, s4
	;; [unrolled: 2-line block ×4, first 2 shown]
.LBB237_1985:                           ;   in Loop: Header=BB237_998 Depth=1
	s_or_b32 exec_lo, exec_lo, s13
	flat_load_dword v63, v[13:14] offset:1664
	v_mov_b32_e32 v17, 0
	v_mov_b32_e32 v13, 0
	;; [unrolled: 1-line block ×4, first 2 shown]
	s_waitcnt vmcnt(0) lgkmcnt(0)
	v_cmp_ne_u16_sdwa s4, v63, v6 src0_sel:BYTE_0 src1_sel:DWORD
	s_and_saveexec_b32 s13, s4
	s_cbranch_execz .LBB237_1993
; %bb.1986:                             ;   in Loop: Header=BB237_998 Depth=1
	v_bfrev_b32_e32 v13, 1
	v_mov_b32_e32 v14, 0
	v_cmp_ne_u16_sdwa s4, v63, v86 src0_sel:BYTE_0 src1_sel:DWORD
	s_and_saveexec_b32 s15, s4
	s_cbranch_execz .LBB237_1992
; %bb.1987:                             ;   in Loop: Header=BB237_998 Depth=1
	v_mov_b32_e32 v13, 0x7f800001
	v_and_b32_e32 v9, 0x7f, v63
	v_mov_b32_e32 v14, 0
	s_mov_b32 s16, exec_lo
	v_cmpx_ne_u32_e32 0x7f, v9
	s_cbranch_execz .LBB237_1991
; %bb.1988:                             ;   in Loop: Header=BB237_998 Depth=1
	v_and_b32_e32 v5, 7, v63
	v_lshrrev_b32_e32 v7, 3, v9
	s_mov_b32 s17, exec_lo
	v_cmpx_gt_u32_e32 8, v9
; %bb.1989:                             ;   in Loop: Header=BB237_998 Depth=1
	v_ffbh_u32_e32 v7, v5
	v_min_u32_e32 v7, 32, v7
	v_subrev_nc_u32_e32 v9, 28, v7
	v_sub_nc_u32_e32 v7, 29, v7
	v_lshlrev_b64 v[13:14], v9, v[5:6]
	v_and_b32_e32 v5, 7, v13
; %bb.1990:                             ;   in Loop: Header=BB237_998 Depth=1
	s_or_b32 exec_lo, exec_lo, s17
	v_lshlrev_b32_e32 v9, 24, v63
	v_lshlrev_b32_e32 v5, 20, v5
	v_lshl_add_u32 v7, v7, 23, 0x3c000000
	v_and_b32_e32 v9, 0x80000000, v9
	v_or3_b32 v5, v5, v9, v7
	v_mov_b32_e32 v14, v6
	v_mov_b32_e32 v13, v5
.LBB237_1991:                           ;   in Loop: Header=BB237_998 Depth=1
	s_or_b32 exec_lo, exec_lo, s16
.LBB237_1992:                           ;   in Loop: Header=BB237_998 Depth=1
	s_or_b32 exec_lo, exec_lo, s15
.LBB237_1993:                           ;   in Loop: Header=BB237_998 Depth=1
	s_or_b32 exec_lo, exec_lo, s13
	v_cmp_ne_u16_sdwa s4, v63, v6 src0_sel:BYTE_1 src1_sel:DWORD
	s_and_saveexec_b32 s13, s4
	s_cbranch_execz .LBB237_2001
; %bb.1994:                             ;   in Loop: Header=BB237_998 Depth=1
	v_mov_b32_e32 v7, v6
	v_mov_b32_e32 v18, v8
	v_cmp_ne_u16_sdwa s4, v63, v86 src0_sel:BYTE_1 src1_sel:DWORD
	v_mov_b32_e32 v17, v7
	s_and_saveexec_b32 s15, s4
	s_cbranch_execz .LBB237_2000
; %bb.1995:                             ;   in Loop: Header=BB237_998 Depth=1
	v_mov_b32_e32 v5, 0xffff
	v_mov_b32_e32 v9, v6
	;; [unrolled: 1-line block ×3, first 2 shown]
	s_mov_b32 s16, exec_lo
	v_and_b32_sdwa v5, v5, v63 dst_sel:DWORD dst_unused:UNUSED_PAD src0_sel:DWORD src1_sel:BYTE_1
	v_mov_b32_e32 v17, v9
	v_and_b32_e32 v19, 0x7f, v5
	v_cmpx_ne_u32_e32 0x7f, v19
	s_cbranch_execz .LBB237_1999
; %bb.1996:                             ;   in Loop: Header=BB237_998 Depth=1
	v_and_b32_e32 v5, 7, v5
	v_lshrrev_b32_e32 v7, 3, v19
	s_mov_b32 s17, exec_lo
	v_cmpx_gt_u32_e32 8, v19
; %bb.1997:                             ;   in Loop: Header=BB237_998 Depth=1
	v_ffbh_u32_e32 v7, v5
	v_min_u32_e32 v7, 32, v7
	v_subrev_nc_u32_e32 v9, 28, v7
	v_sub_nc_u32_e32 v7, 29, v7
	v_lshlrev_b64 v[17:18], v9, v[5:6]
	v_and_b32_e32 v5, 7, v17
; %bb.1998:                             ;   in Loop: Header=BB237_998 Depth=1
	s_or_b32 exec_lo, exec_lo, s17
	v_lshlrev_b32_e32 v9, 16, v63
	v_lshlrev_b32_e32 v5, 20, v5
	v_lshl_add_u32 v7, v7, 23, 0x3c000000
	v_mov_b32_e32 v17, v6
	v_and_b32_e32 v9, 0x80000000, v9
	v_or3_b32 v18, v5, v9, v7
.LBB237_1999:                           ;   in Loop: Header=BB237_998 Depth=1
	s_or_b32 exec_lo, exec_lo, s16
.LBB237_2000:                           ;   in Loop: Header=BB237_998 Depth=1
	s_or_b32 exec_lo, exec_lo, s15
.LBB237_2001:                           ;   in Loop: Header=BB237_998 Depth=1
	s_or_b32 exec_lo, exec_lo, s13
	v_mov_b32_e32 v19, 0
	v_mov_b32_e32 v21, 0
	v_and_b32_sdwa v5, v63, v96 dst_sel:DWORD dst_unused:UNUSED_PAD src0_sel:WORD_1 src1_sel:DWORD
	v_mov_b32_e32 v20, 0
	v_mov_b32_e32 v22, 0
	s_mov_b32 s13, exec_lo
	v_cmpx_ne_u16_e32 0, v5
	s_cbranch_execz .LBB237_2009
; %bb.2002:                             ;   in Loop: Header=BB237_998 Depth=1
	v_bfrev_b32_e32 v21, 1
	v_mov_b32_e32 v22, 0
	s_mov_b32 s15, exec_lo
	v_cmpx_ne_u16_e32 0x80, v5
	s_cbranch_execz .LBB237_2008
; %bb.2003:                             ;   in Loop: Header=BB237_998 Depth=1
	v_mov_b32_e32 v21, 0x7f800001
	v_bfe_u32 v9, v63, 16, 7
	v_mov_b32_e32 v22, 0
	s_mov_b32 s16, exec_lo
	v_cmpx_ne_u32_e32 0x7f, v9
	s_cbranch_execz .LBB237_2007
; %bb.2004:                             ;   in Loop: Header=BB237_998 Depth=1
	v_mov_b32_e32 v5, 7
	v_lshrrev_b32_e32 v7, 3, v9
	s_mov_b32 s17, exec_lo
	v_and_b32_sdwa v5, v63, v5 dst_sel:DWORD dst_unused:UNUSED_PAD src0_sel:WORD_1 src1_sel:DWORD
	v_cmpx_gt_u32_e32 8, v9
; %bb.2005:                             ;   in Loop: Header=BB237_998 Depth=1
	v_ffbh_u32_e32 v7, v5
	v_min_u32_e32 v7, 32, v7
	v_subrev_nc_u32_e32 v9, 28, v7
	v_sub_nc_u32_e32 v7, 29, v7
	v_lshlrev_b64 v[21:22], v9, v[5:6]
	v_and_b32_e32 v5, 7, v21
; %bb.2006:                             ;   in Loop: Header=BB237_998 Depth=1
	s_or_b32 exec_lo, exec_lo, s17
	v_mov_b32_e32 v9, 24
	v_lshlrev_b32_e32 v5, 20, v5
	v_lshl_add_u32 v7, v7, 23, 0x3c000000
	v_lshlrev_b32_sdwa v9, v9, v63 dst_sel:DWORD dst_unused:UNUSED_PAD src0_sel:DWORD src1_sel:WORD_1
	v_and_b32_e32 v9, 0x80000000, v9
	v_or3_b32 v5, v5, v9, v7
	v_mov_b32_e32 v22, v6
	v_mov_b32_e32 v21, v5
.LBB237_2007:                           ;   in Loop: Header=BB237_998 Depth=1
	s_or_b32 exec_lo, exec_lo, s16
.LBB237_2008:                           ;   in Loop: Header=BB237_998 Depth=1
	s_or_b32 exec_lo, exec_lo, s15
.LBB237_2009:                           ;   in Loop: Header=BB237_998 Depth=1
	s_or_b32 exec_lo, exec_lo, s13
	s_mov_b32 s13, exec_lo
	v_cmpx_lt_u32_e32 0xffffff, v63
	s_cbranch_execz .LBB237_2017
; %bb.2010:                             ;   in Loop: Header=BB237_998 Depth=1
	v_mov_b32_e32 v7, v6
	v_mov_b32_e32 v20, v8
	v_cmp_ne_u32_sdwa s4, v63, v86 src0_sel:BYTE_3 src1_sel:DWORD
	v_mov_b32_e32 v19, v7
	s_and_saveexec_b32 s15, s4
	s_cbranch_execz .LBB237_2016
; %bb.2011:                             ;   in Loop: Header=BB237_998 Depth=1
	v_mov_b32_e32 v9, v6
	v_mov_b32_e32 v20, v10
	;; [unrolled: 1-line block ×3, first 2 shown]
	v_bfe_u32 v72, v63, 24, 7
	s_mov_b32 s16, exec_lo
	v_mov_b32_e32 v19, v9
	v_cmpx_ne_u32_e32 0x7f, v72
	s_cbranch_execz .LBB237_2015
; %bb.2012:                             ;   in Loop: Header=BB237_998 Depth=1
	v_mov_b32_e32 v5, 7
	v_lshrrev_b32_e32 v7, 3, v72
	s_mov_b32 s17, exec_lo
	v_and_b32_sdwa v5, v63, v5 dst_sel:DWORD dst_unused:UNUSED_PAD src0_sel:BYTE_3 src1_sel:DWORD
	v_cmpx_gt_u32_e32 8, v72
; %bb.2013:                             ;   in Loop: Header=BB237_998 Depth=1
	v_ffbh_u32_e32 v7, v5
	v_min_u32_e32 v7, 32, v7
	v_subrev_nc_u32_e32 v9, 28, v7
	v_sub_nc_u32_e32 v7, 29, v7
	v_lshlrev_b64 v[19:20], v9, v[5:6]
	v_and_b32_e32 v5, 7, v19
; %bb.2014:                             ;   in Loop: Header=BB237_998 Depth=1
	s_or_b32 exec_lo, exec_lo, s17
	v_mov_b32_e32 v9, 24
	v_lshlrev_b32_e32 v5, 20, v5
	v_lshl_add_u32 v7, v7, 23, 0x3c000000
	v_mov_b32_e32 v19, v6
	v_lshlrev_b32_sdwa v9, v9, v63 dst_sel:DWORD dst_unused:UNUSED_PAD src0_sel:DWORD src1_sel:BYTE_3
	v_and_b32_e32 v9, 0x80000000, v9
	v_or3_b32 v20, v5, v9, v7
.LBB237_2015:                           ;   in Loop: Header=BB237_998 Depth=1
	s_or_b32 exec_lo, exec_lo, s16
	v_mov_b32_e32 v72, v26
.LBB237_2016:                           ;   in Loop: Header=BB237_998 Depth=1
	s_or_b32 exec_lo, exec_lo, s15
.LBB237_2017:                           ;   in Loop: Header=BB237_998 Depth=1
	s_or_b32 exec_lo, exec_lo, s13
	v_or_b32_e32 v5, v18, v14
	v_or_b32_e32 v7, v17, v13
	;; [unrolled: 1-line block ×4, first 2 shown]
	v_mul_f32_e32 v13, v103, v5
	v_mul_f32_e32 v9, v103, v7
	;; [unrolled: 1-line block ×4, first 2 shown]
	s_and_saveexec_b32 s4, vcc_lo
	s_cbranch_execz .LBB237_996
; %bb.2018:                             ;   in Loop: Header=BB237_998 Depth=1
	v_cmp_lt_i32_e32 vcc_lo, v115, v54
	v_cndmask_b32_e32 v9, 0, v9, vcc_lo
	v_cmp_lt_i32_e32 vcc_lo, v118, v54
	v_cndmask_b32_e32 v13, 0, v13, vcc_lo
	;; [unrolled: 2-line block ×4, first 2 shown]
	s_branch .LBB237_996
.LBB237_2019:
	s_or_b32 exec_lo, exec_lo, s11
	s_clause 0x1a
	buffer_load_dword v67, off, s[0:3], s32 offset:688
	buffer_load_dword v26, off, s[0:3], s32 offset:696
	buffer_load_dword v39, off, s[0:3], s32 offset:424
	buffer_load_dword v48, off, s[0:3], s32 offset:432
	buffer_load_dword v49, off, s[0:3], s32 offset:440
	buffer_load_dword v50, off, s[0:3], s32 offset:448
	buffer_load_dword v51, off, s[0:3], s32 offset:456
	buffer_load_dword v52, off, s[0:3], s32 offset:464
	buffer_load_dword v53, off, s[0:3], s32 offset:472
	buffer_load_dword v55, off, s[0:3], s32 offset:480
	buffer_load_dword v64, off, s[0:3], s32 offset:488
	buffer_load_dword v36, off, s[0:3], s32 offset:496
	buffer_load_dword v37, off, s[0:3], s32 offset:504
	buffer_load_dword v38, off, s[0:3], s32 offset:512
	buffer_load_dword v65, off, s[0:3], s32 offset:520
	buffer_load_dword v66, off, s[0:3], s32 offset:528
	buffer_load_dword v33, off, s[0:3], s32 offset:536
	buffer_load_dword v31, off, s[0:3], s32 offset:544
	buffer_load_dword v32, off, s[0:3], s32 offset:552
	buffer_load_dword v16, off, s[0:3], s32 offset:560
	buffer_load_dword v17, off, s[0:3], s32 offset:568
	buffer_load_dword v18, off, s[0:3], s32 offset:576
	buffer_load_dword v21, off, s[0:3], s32 offset:584
	buffer_load_dword v22, off, s[0:3], s32 offset:592
	buffer_load_dword v23, off, s[0:3], s32 offset:600
	buffer_load_dword v27, off, s[0:3], s32 offset:608
	buffer_load_dword v29, off, s[0:3], s32 offset:616
.LBB237_2020:
	s_or_b32 exec_lo, exec_lo, s7
	s_waitcnt vmcnt(0)
	ds_bpermute_b32 v1, v26, v29
	ds_bpermute_b32 v0, v26, v28
	;; [unrolled: 1-line block ×10, first 2 shown]
	v_mov_b32_e32 v24, v13
	ds_bpermute_b32 v13, v26, v33
	ds_bpermute_b32 v14, v26, v20
	;; [unrolled: 1-line block ×5, first 2 shown]
	s_waitcnt lgkmcnt(0)
	s_waitcnt_vscnt null, 0x0
	s_barrier
	buffer_gl0_inv
	s_load_dword s4, s[8:9], 0x0
	v_add_f32_e32 v1, v29, v1
	v_add_f32_e32 v0, v28, v0
	;; [unrolled: 1-line block ×5, first 2 shown]
	ds_bpermute_b32 v17, v25, v1
	ds_bpermute_b32 v16, v25, v0
	v_add_f32_e32 v7, v21, v7
	v_add_f32_e32 v8, v18, v8
	;; [unrolled: 1-line block ×3, first 2 shown]
	v_mov_b32_e32 v29, v20
	ds_bpermute_b32 v20, v25, v5
	ds_bpermute_b32 v22, v25, v7
	;; [unrolled: 1-line block ×3, first 2 shown]
	v_add_f32_e32 v2, v27, v2
	ds_bpermute_b32 v21, v25, v6
	ds_bpermute_b32 v27, v25, v10
	v_add_f32_e32 v3, v24, v3
	ds_bpermute_b32 v24, v25, v9
	v_mov_b32_e32 v28, v19
	v_add_f32_e32 v13, v33, v13
	v_add_f32_e32 v11, v32, v11
	;; [unrolled: 1-line block ×3, first 2 shown]
	ds_bpermute_b32 v32, v26, v65
	v_add_f32_e32 v15, v28, v15
	s_waitcnt lgkmcnt(0)
	v_add_f32_e32 v1, v1, v17
	v_add_f32_e32 v0, v0, v16
	ds_bpermute_b32 v28, v25, v13
	ds_bpermute_b32 v33, v26, v38
	;; [unrolled: 1-line block ×5, first 2 shown]
	v_add_f32_e32 v5, v5, v20
	v_add_f32_e32 v7, v7, v22
	;; [unrolled: 1-line block ×5, first 2 shown]
	ds_bpermute_b32 v20, v4, v5
	ds_bpermute_b32 v22, v4, v7
	;; [unrolled: 1-line block ×4, first 2 shown]
	v_add_f32_e32 v14, v29, v14
	v_add_f32_e32 v9, v9, v24
	ds_bpermute_b32 v21, v4, v6
	ds_bpermute_b32 v27, v25, v12
	;; [unrolled: 1-line block ×7, first 2 shown]
	s_waitcnt lgkmcnt(12)
	v_add_f32_e32 v1, v1, v17
	ds_bpermute_b32 v17, v26, v36
	s_waitcnt lgkmcnt(12)
	v_add_f32_e32 v0, v0, v16
	ds_bpermute_b32 v16, v26, v37
	ds_bpermute_b32 v35, v25, v15
	v_add_f32_e32 v13, v13, v28
	v_add_f32_e32 v2, v2, v18
	s_waitcnt lgkmcnt(13)
	v_add_f32_e32 v5, v5, v20
	s_waitcnt lgkmcnt(12)
	v_add_f32_e32 v7, v7, v22
	s_waitcnt lgkmcnt(11)
	v_add_f32_e32 v8, v8, v23
	ds_bpermute_b32 v20, v4, v13
	v_add_f32_e32 v22, v65, v32
	v_add_f32_e32 v23, v38, v33
	s_waitcnt lgkmcnt(11)
	v_add_f32_e32 v3, v3, v19
	s_waitcnt lgkmcnt(10)
	;; [unrolled: 2-line block ×5, first 2 shown]
	v_add_f32_e32 v21, v66, v31
	ds_bpermute_b32 v27, v25, v22
	ds_bpermute_b32 v28, v25, v23
	;; [unrolled: 1-line block ×3, first 2 shown]
	s_waitcnt lgkmcnt(6)
	v_add_f32_e32 v17, v36, v17
	ds_bpermute_b32 v33, v26, v53
	s_waitcnt lgkmcnt(6)
	v_add_f32_e32 v16, v37, v16
	ds_bpermute_b32 v18, v4, v2
	ds_bpermute_b32 v19, v4, v3
	;; [unrolled: 1-line block ×3, first 2 shown]
	v_add_f32_e32 v11, v11, v24
	v_add_f32_e32 v9, v9, v29
	;; [unrolled: 1-line block ×3, first 2 shown]
	s_waitcnt lgkmcnt(8)
	v_add_f32_e32 v15, v15, v35
	ds_bpermute_b32 v24, v25, v21
	ds_bpermute_b32 v29, v25, v16
	ds_bpermute_b32 v34, v26, v52
	ds_bpermute_b32 v35, v26, v51
	ds_bpermute_b32 v31, v26, v64
	s_waitcnt lgkmcnt(12)
	v_add_f32_e32 v13, v13, v20
	ds_bpermute_b32 v20, v26, v50
	ds_bpermute_b32 v36, v26, v49
	;; [unrolled: 1-line block ×5, first 2 shown]
	s_waitcnt lgkmcnt(16)
	v_add_f32_e32 v22, v22, v27
	s_waitcnt lgkmcnt(15)
	v_add_f32_e32 v23, v23, v28
	;; [unrolled: 2-line block ×5, first 2 shown]
	v_add_f32_e32 v17, v55, v32
	v_add_f32_e32 v3, v3, v19
	ds_bpermute_b32 v18, v4, v11
	ds_bpermute_b32 v19, v4, v12
	s_waitcnt lgkmcnt(11)
	v_add_f32_e32 v21, v21, v24
	s_waitcnt lgkmcnt(10)
	v_add_f32_e32 v24, v16, v29
	;; [unrolled: 2-line block ×4, first 2 shown]
	ds_bpermute_b32 v32, v25, v17
	ds_bpermute_b32 v33, v25, v28
	s_waitcnt lgkmcnt(9)
	v_add_f32_e32 v16, v64, v31
	ds_bpermute_b32 v34, v25, v29
	ds_bpermute_b32 v35, v25, v30
	s_waitcnt lgkmcnt(10)
	v_add_f32_e32 v20, v50, v20
	s_waitcnt lgkmcnt(9)
	v_add_f32_e32 v36, v49, v36
	;; [unrolled: 2-line block ×5, first 2 shown]
	ds_bpermute_b32 v31, v25, v16
	ds_bpermute_b32 v39, v25, v20
	;; [unrolled: 1-line block ×6, first 2 shown]
	s_waitcnt lgkmcnt(11)
	v_add_f32_e32 v11, v11, v18
	s_waitcnt lgkmcnt(10)
	v_add_f32_e32 v12, v12, v19
	ds_bpermute_b32 v18, v4, v14
	ds_bpermute_b32 v19, v4, v15
	ds_bpermute_b32 v55, v4, v27
	s_waitcnt lgkmcnt(12)
	v_add_f32_e32 v32, v17, v32
	s_waitcnt lgkmcnt(11)
	v_add_f32_e32 v28, v28, v33
	ds_bpermute_b32 v51, v4, v21
	ds_bpermute_b32 v52, v4, v22
	s_waitcnt lgkmcnt(12)
	v_add_f32_e32 v29, v29, v34
	s_waitcnt lgkmcnt(11)
	v_add_f32_e32 v30, v30, v35
	ds_bpermute_b32 v34, v4, v32
	ds_bpermute_b32 v35, v4, v28
	;; [unrolled: 1-line block ×3, first 2 shown]
	s_waitcnt lgkmcnt(13)
	v_add_f32_e32 v31, v16, v31
	s_waitcnt lgkmcnt(12)
	v_add_f32_e32 v39, v20, v39
	;; [unrolled: 2-line block ×6, first 2 shown]
	ds_bpermute_b32 v54, v4, v24
	ds_bpermute_b32 v33, v4, v31
	;; [unrolled: 1-line block ×9, first 2 shown]
	s_waitcnt lgkmcnt(16)
	v_add_f32_e32 v4, v14, v18
	s_waitcnt lgkmcnt(15)
	v_add_f32_e32 v14, v15, v19
	;; [unrolled: 2-line block ×3, first 2 shown]
	buffer_load_dword v27, off, s[0:3], s32 offset:828 ; 4-byte Folded Reload
	s_waitcnt lgkmcnt(13)
	v_add_f32_e32 v15, v21, v51
	s_waitcnt lgkmcnt(12)
	v_add_f32_e32 v16, v22, v52
	s_waitcnt lgkmcnt(11)
	v_add_f32_e32 v21, v32, v34
	s_waitcnt lgkmcnt(10)
	v_add_f32_e32 v22, v28, v35
	s_clause 0x1
	buffer_load_dword v28, off, s[0:3], s32 offset:832
	buffer_load_dword v32, off, s[0:3], s32 offset:1356
	s_waitcnt lgkmcnt(9)
	v_add_f32_e32 v17, v23, v53
	s_waitcnt lgkmcnt(8)
	v_add_f32_e32 v18, v24, v54
	;; [unrolled: 2-line block ×7, first 2 shown]
	s_mov_b32 s7, exec_lo
	s_waitcnt lgkmcnt(0)
	v_add_f32_e32 v29, v48, v66
	s_waitcnt vmcnt(2)
	v_lshrrev_b32_e32 v30, 3, v27
	v_add_f32_e32 v27, v37, v49
	s_waitcnt vmcnt(1)
	v_and_b32_e32 v33, 0x3c7, v28
	v_add_f32_e32 v28, v38, v50
	v_lshl_add_u32 v31, v30, 2, s4
	s_waitcnt vmcnt(0)
	v_mul_u32_u24_e32 v32, 0x1e0, v32
	v_cmpx_eq_u32_e32 64, v33
	s_cbranch_execz .LBB237_2022
; %bb.2021:
	v_add_nc_u32_e32 v33, v31, v32
	v_add_nc_u32_e32 v34, 0xfffffc40, v33
	;; [unrolled: 1-line block ×6, first 2 shown]
	ds_write_b32 v34, v0
	ds_write_b32 v35, v1
	ds_write_b32 v36, v2
	ds_write_b32 v37, v3
	ds_write_b32 v38, v5
	v_add_nc_u32_e32 v34, 0xfffffc90, v33
	v_add_nc_u32_e32 v35, 0xfffffca0, v33
	v_add_nc_u32_e32 v36, 0xfffffcb0, v33
	v_add_nc_u32_e32 v37, 0xfffffcc0, v33
	v_add_nc_u32_e32 v38, 0xfffffcd0, v33
	ds_write_b32 v34, v6
	ds_write_b32 v35, v7
	ds_write_b32 v36, v8
	ds_write_b32 v37, v9
	ds_write_b32 v38, v10
	v_add_nc_u32_e32 v34, 0xfffffce0, v33
	v_add_nc_u32_e32 v35, 0xfffffcf0, v33
	v_add_nc_u32_e32 v36, 0xfffffd00, v33
	v_add_nc_u32_e32 v37, 0xfffffd10, v33
	v_add_nc_u32_e32 v38, 0xfffffd20, v33
	;; [unrolled: 10-line block ×5, first 2 shown]
	ds_write_b32 v34, v25
	ds_write_b32 v35, v26
	;; [unrolled: 1-line block ×5, first 2 shown]
.LBB237_2022:
	s_or_b32 exec_lo, exec_lo, s7
	v_lshlrev_b32_e32 v30, 2, v30
	s_mov_b32 s7, exec_lo
	v_cmp_eq_u32_e32 vcc_lo, 0, v67
	v_add3_u32 v30, s4, v32, v30
	buffer_load_dword v32, off, s[0:3], s32 offset:832 ; 4-byte Folded Reload
	s_waitcnt vmcnt(0) lgkmcnt(0)
	s_barrier
	buffer_gl0_inv
	v_cmpx_gt_u32_e32 64, v32
	s_cbranch_execz .LBB237_2055
; %bb.2023:
	s_and_saveexec_b32 s4, vcc_lo
	s_cbranch_execnz .LBB237_2093
; %bb.2024:
	s_or_b32 exec_lo, exec_lo, s4
	s_and_saveexec_b32 s4, vcc_lo
	s_cbranch_execnz .LBB237_2094
.LBB237_2025:
	s_or_b32 exec_lo, exec_lo, s4
	s_and_saveexec_b32 s4, vcc_lo
	s_cbranch_execnz .LBB237_2095
.LBB237_2026:
	s_or_b32 exec_lo, exec_lo, s4
	s_and_saveexec_b32 s4, vcc_lo
	s_cbranch_execnz .LBB237_2096
.LBB237_2027:
	s_or_b32 exec_lo, exec_lo, s4
	s_and_saveexec_b32 s4, vcc_lo
	s_cbranch_execnz .LBB237_2097
.LBB237_2028:
	s_or_b32 exec_lo, exec_lo, s4
	s_and_saveexec_b32 s4, vcc_lo
	s_cbranch_execnz .LBB237_2098
.LBB237_2029:
	s_or_b32 exec_lo, exec_lo, s4
	s_and_saveexec_b32 s4, vcc_lo
	s_cbranch_execnz .LBB237_2099
.LBB237_2030:
	s_or_b32 exec_lo, exec_lo, s4
	s_and_saveexec_b32 s4, vcc_lo
	s_cbranch_execnz .LBB237_2100
.LBB237_2031:
	s_or_b32 exec_lo, exec_lo, s4
	s_and_saveexec_b32 s4, vcc_lo
	s_cbranch_execnz .LBB237_2101
.LBB237_2032:
	s_or_b32 exec_lo, exec_lo, s4
	s_and_saveexec_b32 s4, vcc_lo
	s_cbranch_execnz .LBB237_2102
.LBB237_2033:
	s_or_b32 exec_lo, exec_lo, s4
	s_and_saveexec_b32 s4, vcc_lo
	s_cbranch_execnz .LBB237_2103
.LBB237_2034:
	s_or_b32 exec_lo, exec_lo, s4
	s_and_saveexec_b32 s4, vcc_lo
	s_cbranch_execnz .LBB237_2104
.LBB237_2035:
	s_or_b32 exec_lo, exec_lo, s4
	s_and_saveexec_b32 s4, vcc_lo
	s_cbranch_execnz .LBB237_2105
.LBB237_2036:
	s_or_b32 exec_lo, exec_lo, s4
	s_and_saveexec_b32 s4, vcc_lo
	s_cbranch_execnz .LBB237_2106
.LBB237_2037:
	s_or_b32 exec_lo, exec_lo, s4
	s_and_saveexec_b32 s4, vcc_lo
	s_cbranch_execnz .LBB237_2107
.LBB237_2038:
	s_or_b32 exec_lo, exec_lo, s4
	s_and_saveexec_b32 s4, vcc_lo
	s_cbranch_execnz .LBB237_2108
.LBB237_2039:
	s_or_b32 exec_lo, exec_lo, s4
	s_and_saveexec_b32 s4, vcc_lo
	s_cbranch_execnz .LBB237_2109
.LBB237_2040:
	s_or_b32 exec_lo, exec_lo, s4
	s_and_saveexec_b32 s4, vcc_lo
	s_cbranch_execnz .LBB237_2110
.LBB237_2041:
	s_or_b32 exec_lo, exec_lo, s4
	s_and_saveexec_b32 s4, vcc_lo
	s_cbranch_execnz .LBB237_2111
.LBB237_2042:
	s_or_b32 exec_lo, exec_lo, s4
	s_and_saveexec_b32 s4, vcc_lo
	s_cbranch_execnz .LBB237_2112
.LBB237_2043:
	s_or_b32 exec_lo, exec_lo, s4
	s_and_saveexec_b32 s4, vcc_lo
	s_cbranch_execnz .LBB237_2113
.LBB237_2044:
	s_or_b32 exec_lo, exec_lo, s4
	s_and_saveexec_b32 s4, vcc_lo
	s_cbranch_execnz .LBB237_2114
.LBB237_2045:
	s_or_b32 exec_lo, exec_lo, s4
	s_and_saveexec_b32 s4, vcc_lo
	s_cbranch_execnz .LBB237_2115
.LBB237_2046:
	s_or_b32 exec_lo, exec_lo, s4
	s_and_saveexec_b32 s4, vcc_lo
	s_cbranch_execnz .LBB237_2116
.LBB237_2047:
	s_or_b32 exec_lo, exec_lo, s4
	s_and_saveexec_b32 s4, vcc_lo
	s_cbranch_execnz .LBB237_2117
.LBB237_2048:
	s_or_b32 exec_lo, exec_lo, s4
	s_and_saveexec_b32 s4, vcc_lo
	s_cbranch_execnz .LBB237_2118
.LBB237_2049:
	s_or_b32 exec_lo, exec_lo, s4
	s_and_saveexec_b32 s4, vcc_lo
	s_cbranch_execnz .LBB237_2119
.LBB237_2050:
	s_or_b32 exec_lo, exec_lo, s4
	s_and_saveexec_b32 s4, vcc_lo
	s_cbranch_execnz .LBB237_2120
.LBB237_2051:
	s_or_b32 exec_lo, exec_lo, s4
	s_and_saveexec_b32 s4, vcc_lo
	s_cbranch_execnz .LBB237_2121
.LBB237_2052:
	s_or_b32 exec_lo, exec_lo, s4
	s_and_saveexec_b32 s4, vcc_lo
	s_cbranch_execz .LBB237_2054
.LBB237_2053:
	ds_read_b32 v32, v30 offset:464
	s_waitcnt lgkmcnt(0)
	v_add_f32_e32 v29, v32, v29
.LBB237_2054:
	s_or_b32 exec_lo, exec_lo, s4
.LBB237_2055:
	s_or_b32 exec_lo, exec_lo, s7
	buffer_load_dword v32, off, s[0:3], s32 offset:832 ; 4-byte Folded Reload
	s_mov_b32 s7, exec_lo
	s_waitcnt vmcnt(0)
	s_barrier
	buffer_gl0_inv
	v_and_b32_e32 v32, 0x3e7, v32
	v_cmpx_eq_u32_e32 32, v32
	s_cbranch_execz .LBB237_2057
; %bb.2056:
	ds_write2_b32 v31, v0, v1 offset1:4
	ds_write2_b32 v31, v2, v3 offset0:8 offset1:12
	ds_write2_b32 v31, v5, v6 offset0:16 offset1:20
	;; [unrolled: 1-line block ×14, first 2 shown]
.LBB237_2057:
	s_or_b32 exec_lo, exec_lo, s7
	buffer_load_dword v31, off, s[0:3], s32 offset:832 ; 4-byte Folded Reload
	s_mov_b32 s7, exec_lo
	s_waitcnt vmcnt(0) lgkmcnt(0)
	s_barrier
	buffer_gl0_inv
	v_cmpx_gt_u32_e32 32, v31
	s_cbranch_execz .LBB237_2090
; %bb.2058:
	s_and_saveexec_b32 s4, vcc_lo
	s_cbranch_execnz .LBB237_2122
; %bb.2059:
	s_or_b32 exec_lo, exec_lo, s4
	s_and_saveexec_b32 s4, vcc_lo
	s_cbranch_execnz .LBB237_2123
.LBB237_2060:
	s_or_b32 exec_lo, exec_lo, s4
	s_and_saveexec_b32 s4, vcc_lo
	s_cbranch_execnz .LBB237_2124
.LBB237_2061:
	s_or_b32 exec_lo, exec_lo, s4
	s_and_saveexec_b32 s4, vcc_lo
	s_cbranch_execnz .LBB237_2125
.LBB237_2062:
	s_or_b32 exec_lo, exec_lo, s4
	s_and_saveexec_b32 s4, vcc_lo
	s_cbranch_execnz .LBB237_2126
.LBB237_2063:
	s_or_b32 exec_lo, exec_lo, s4
	s_and_saveexec_b32 s4, vcc_lo
	s_cbranch_execnz .LBB237_2127
.LBB237_2064:
	s_or_b32 exec_lo, exec_lo, s4
	s_and_saveexec_b32 s4, vcc_lo
	s_cbranch_execnz .LBB237_2128
.LBB237_2065:
	s_or_b32 exec_lo, exec_lo, s4
	s_and_saveexec_b32 s4, vcc_lo
	s_cbranch_execnz .LBB237_2129
.LBB237_2066:
	s_or_b32 exec_lo, exec_lo, s4
	s_and_saveexec_b32 s4, vcc_lo
	s_cbranch_execnz .LBB237_2130
.LBB237_2067:
	s_or_b32 exec_lo, exec_lo, s4
	s_and_saveexec_b32 s4, vcc_lo
	s_cbranch_execnz .LBB237_2131
.LBB237_2068:
	s_or_b32 exec_lo, exec_lo, s4
	s_and_saveexec_b32 s4, vcc_lo
	s_cbranch_execnz .LBB237_2132
.LBB237_2069:
	s_or_b32 exec_lo, exec_lo, s4
	s_and_saveexec_b32 s4, vcc_lo
	s_cbranch_execnz .LBB237_2133
.LBB237_2070:
	s_or_b32 exec_lo, exec_lo, s4
	s_and_saveexec_b32 s4, vcc_lo
	s_cbranch_execnz .LBB237_2134
.LBB237_2071:
	s_or_b32 exec_lo, exec_lo, s4
	s_and_saveexec_b32 s4, vcc_lo
	s_cbranch_execnz .LBB237_2135
.LBB237_2072:
	s_or_b32 exec_lo, exec_lo, s4
	s_and_saveexec_b32 s4, vcc_lo
	s_cbranch_execnz .LBB237_2136
.LBB237_2073:
	s_or_b32 exec_lo, exec_lo, s4
	s_and_saveexec_b32 s4, vcc_lo
	s_cbranch_execnz .LBB237_2137
.LBB237_2074:
	s_or_b32 exec_lo, exec_lo, s4
	s_and_saveexec_b32 s4, vcc_lo
	s_cbranch_execnz .LBB237_2138
.LBB237_2075:
	s_or_b32 exec_lo, exec_lo, s4
	s_and_saveexec_b32 s4, vcc_lo
	s_cbranch_execnz .LBB237_2139
.LBB237_2076:
	s_or_b32 exec_lo, exec_lo, s4
	s_and_saveexec_b32 s4, vcc_lo
	s_cbranch_execnz .LBB237_2140
.LBB237_2077:
	s_or_b32 exec_lo, exec_lo, s4
	s_and_saveexec_b32 s4, vcc_lo
	s_cbranch_execnz .LBB237_2141
.LBB237_2078:
	s_or_b32 exec_lo, exec_lo, s4
	s_and_saveexec_b32 s4, vcc_lo
	s_cbranch_execnz .LBB237_2142
.LBB237_2079:
	s_or_b32 exec_lo, exec_lo, s4
	s_and_saveexec_b32 s4, vcc_lo
	s_cbranch_execnz .LBB237_2143
.LBB237_2080:
	s_or_b32 exec_lo, exec_lo, s4
	s_and_saveexec_b32 s4, vcc_lo
	s_cbranch_execnz .LBB237_2144
.LBB237_2081:
	s_or_b32 exec_lo, exec_lo, s4
	s_and_saveexec_b32 s4, vcc_lo
	s_cbranch_execnz .LBB237_2145
.LBB237_2082:
	s_or_b32 exec_lo, exec_lo, s4
	s_and_saveexec_b32 s4, vcc_lo
	s_cbranch_execnz .LBB237_2146
.LBB237_2083:
	s_or_b32 exec_lo, exec_lo, s4
	s_and_saveexec_b32 s4, vcc_lo
	s_cbranch_execnz .LBB237_2147
.LBB237_2084:
	s_or_b32 exec_lo, exec_lo, s4
	s_and_saveexec_b32 s4, vcc_lo
	s_cbranch_execnz .LBB237_2148
.LBB237_2085:
	s_or_b32 exec_lo, exec_lo, s4
	s_and_saveexec_b32 s4, vcc_lo
	s_cbranch_execnz .LBB237_2149
.LBB237_2086:
	s_or_b32 exec_lo, exec_lo, s4
	s_and_saveexec_b32 s4, vcc_lo
	s_cbranch_execnz .LBB237_2150
.LBB237_2087:
	s_or_b32 exec_lo, exec_lo, s4
	s_and_saveexec_b32 s4, vcc_lo
	s_cbranch_execz .LBB237_2089
.LBB237_2088:
	ds_read_b32 v30, v30 offset:464
	s_waitcnt lgkmcnt(0)
	v_add_f32_e32 v29, v30, v29
.LBB237_2089:
	s_or_b32 exec_lo, exec_lo, s4
.LBB237_2090:
	s_or_b32 exec_lo, exec_lo, s7
	v_cmp_eq_u32_e32 vcc_lo, 0, v32
	s_barrier
	buffer_gl0_inv
	s_and_b32 exec_lo, exec_lo, vcc_lo
	s_cbranch_execz .LBB237_2092
; %bb.2091:
	s_clause 0x2
	buffer_load_dword v30, off, s[0:3], s32 offset:1364
	buffer_load_dword v31, off, s[0:3], s32 offset:1360
	;; [unrolled: 1-line block ×3, first 2 shown]
	s_mulk_i32 s6, 0x78
	s_mul_i32 s4, s10, s5
	s_ashr_i32 s7, s6, 31
	s_ashr_i32 s5, s4, 31
	s_lshl_b64 s[6:7], s[6:7], 2
	s_lshl_b64 s[4:5], s[4:5], 2
	s_waitcnt vmcnt(2)
	v_add_co_u32 v30, vcc_lo, v30, s6
	s_waitcnt vmcnt(1)
	v_add_co_ci_u32_e64 v31, null, s7, v31, vcc_lo
	s_mul_i32 s6, s14, 0x78
	v_add_co_u32 v30, vcc_lo, v30, s4
	s_ashr_i32 s7, s6, 31
	v_add_co_ci_u32_e64 v31, null, s5, v31, vcc_lo
	s_lshl_b64 s[4:5], s[6:7], 2
	s_waitcnt vmcnt(0)
	v_lshrrev_b32_e32 v32, 1, v32
	v_add_co_u32 v30, vcc_lo, v30, s4
	v_add_co_ci_u32_e64 v31, null, s5, v31, vcc_lo
	v_add_co_u32 v30, vcc_lo, v30, v32
	v_add_co_ci_u32_e64 v31, null, 0, v31, vcc_lo
	flat_store_dword v[30:31], v0
	flat_store_dword v[30:31], v1 offset:16
	flat_store_dword v[30:31], v2 offset:32
	;; [unrolled: 1-line block ×29, first 2 shown]
.LBB237_2092:
	s_or_b32 exec_lo, exec_lo, s19
	s_clause 0x2f
	buffer_load_dword v127, off, s[0:3], s32 offset:8
	buffer_load_dword v126, off, s[0:3], s32 offset:12
	;; [unrolled: 1-line block ×48, first 2 shown]
	s_waitcnt vmcnt(0) lgkmcnt(0)
	s_setpc_b64 s[30:31]
.LBB237_2093:
	ds_read_b32 v32, v30
	s_waitcnt lgkmcnt(0)
	v_add_f32_e32 v0, v32, v0
	s_or_b32 exec_lo, exec_lo, s4
	s_and_saveexec_b32 s4, vcc_lo
	s_cbranch_execz .LBB237_2025
.LBB237_2094:
	ds_read_b32 v32, v30 offset:16
	s_waitcnt lgkmcnt(0)
	v_add_f32_e32 v1, v32, v1
	s_or_b32 exec_lo, exec_lo, s4
	s_and_saveexec_b32 s4, vcc_lo
	s_cbranch_execz .LBB237_2026
.LBB237_2095:
	ds_read_b32 v32, v30 offset:32
	s_waitcnt lgkmcnt(0)
	v_add_f32_e32 v2, v32, v2
	s_or_b32 exec_lo, exec_lo, s4
	s_and_saveexec_b32 s4, vcc_lo
	s_cbranch_execz .LBB237_2027
.LBB237_2096:
	ds_read_b32 v32, v30 offset:48
	s_waitcnt lgkmcnt(0)
	v_add_f32_e32 v3, v32, v3
	s_or_b32 exec_lo, exec_lo, s4
	s_and_saveexec_b32 s4, vcc_lo
	s_cbranch_execz .LBB237_2028
.LBB237_2097:
	ds_read_b32 v32, v30 offset:64
	s_waitcnt lgkmcnt(0)
	v_add_f32_e32 v5, v32, v5
	s_or_b32 exec_lo, exec_lo, s4
	s_and_saveexec_b32 s4, vcc_lo
	s_cbranch_execz .LBB237_2029
.LBB237_2098:
	ds_read_b32 v32, v30 offset:80
	s_waitcnt lgkmcnt(0)
	v_add_f32_e32 v6, v32, v6
	s_or_b32 exec_lo, exec_lo, s4
	s_and_saveexec_b32 s4, vcc_lo
	s_cbranch_execz .LBB237_2030
.LBB237_2099:
	ds_read_b32 v32, v30 offset:96
	s_waitcnt lgkmcnt(0)
	v_add_f32_e32 v7, v32, v7
	s_or_b32 exec_lo, exec_lo, s4
	s_and_saveexec_b32 s4, vcc_lo
	s_cbranch_execz .LBB237_2031
.LBB237_2100:
	ds_read_b32 v32, v30 offset:112
	s_waitcnt lgkmcnt(0)
	v_add_f32_e32 v8, v32, v8
	s_or_b32 exec_lo, exec_lo, s4
	s_and_saveexec_b32 s4, vcc_lo
	s_cbranch_execz .LBB237_2032
.LBB237_2101:
	ds_read_b32 v32, v30 offset:128
	s_waitcnt lgkmcnt(0)
	v_add_f32_e32 v9, v32, v9
	s_or_b32 exec_lo, exec_lo, s4
	s_and_saveexec_b32 s4, vcc_lo
	s_cbranch_execz .LBB237_2033
.LBB237_2102:
	ds_read_b32 v32, v30 offset:144
	s_waitcnt lgkmcnt(0)
	v_add_f32_e32 v10, v32, v10
	s_or_b32 exec_lo, exec_lo, s4
	s_and_saveexec_b32 s4, vcc_lo
	s_cbranch_execz .LBB237_2034
.LBB237_2103:
	ds_read_b32 v32, v30 offset:160
	s_waitcnt lgkmcnt(0)
	v_add_f32_e32 v11, v32, v11
	s_or_b32 exec_lo, exec_lo, s4
	s_and_saveexec_b32 s4, vcc_lo
	s_cbranch_execz .LBB237_2035
.LBB237_2104:
	ds_read_b32 v32, v30 offset:176
	s_waitcnt lgkmcnt(0)
	v_add_f32_e32 v12, v32, v12
	s_or_b32 exec_lo, exec_lo, s4
	s_and_saveexec_b32 s4, vcc_lo
	s_cbranch_execz .LBB237_2036
.LBB237_2105:
	ds_read_b32 v32, v30 offset:192
	s_waitcnt lgkmcnt(0)
	v_add_f32_e32 v13, v32, v13
	s_or_b32 exec_lo, exec_lo, s4
	s_and_saveexec_b32 s4, vcc_lo
	s_cbranch_execz .LBB237_2037
.LBB237_2106:
	ds_read_b32 v32, v30 offset:208
	s_waitcnt lgkmcnt(0)
	v_add_f32_e32 v4, v32, v4
	s_or_b32 exec_lo, exec_lo, s4
	s_and_saveexec_b32 s4, vcc_lo
	s_cbranch_execz .LBB237_2038
.LBB237_2107:
	ds_read_b32 v32, v30 offset:224
	s_waitcnt lgkmcnt(0)
	v_add_f32_e32 v14, v32, v14
	s_or_b32 exec_lo, exec_lo, s4
	s_and_saveexec_b32 s4, vcc_lo
	s_cbranch_execz .LBB237_2039
.LBB237_2108:
	ds_read_b32 v32, v30 offset:240
	s_waitcnt lgkmcnt(0)
	v_add_f32_e32 v15, v32, v15
	s_or_b32 exec_lo, exec_lo, s4
	s_and_saveexec_b32 s4, vcc_lo
	s_cbranch_execz .LBB237_2040
.LBB237_2109:
	ds_read_b32 v32, v30 offset:256
	s_waitcnt lgkmcnt(0)
	v_add_f32_e32 v16, v32, v16
	s_or_b32 exec_lo, exec_lo, s4
	s_and_saveexec_b32 s4, vcc_lo
	s_cbranch_execz .LBB237_2041
.LBB237_2110:
	ds_read_b32 v32, v30 offset:272
	s_waitcnt lgkmcnt(0)
	v_add_f32_e32 v17, v32, v17
	s_or_b32 exec_lo, exec_lo, s4
	s_and_saveexec_b32 s4, vcc_lo
	s_cbranch_execz .LBB237_2042
.LBB237_2111:
	ds_read_b32 v32, v30 offset:288
	s_waitcnt lgkmcnt(0)
	v_add_f32_e32 v18, v32, v18
	s_or_b32 exec_lo, exec_lo, s4
	s_and_saveexec_b32 s4, vcc_lo
	s_cbranch_execz .LBB237_2043
.LBB237_2112:
	ds_read_b32 v32, v30 offset:304
	s_waitcnt lgkmcnt(0)
	v_add_f32_e32 v19, v32, v19
	s_or_b32 exec_lo, exec_lo, s4
	s_and_saveexec_b32 s4, vcc_lo
	s_cbranch_execz .LBB237_2044
.LBB237_2113:
	ds_read_b32 v32, v30 offset:320
	s_waitcnt lgkmcnt(0)
	v_add_f32_e32 v20, v32, v20
	s_or_b32 exec_lo, exec_lo, s4
	s_and_saveexec_b32 s4, vcc_lo
	s_cbranch_execz .LBB237_2045
.LBB237_2114:
	ds_read_b32 v32, v30 offset:336
	s_waitcnt lgkmcnt(0)
	v_add_f32_e32 v21, v32, v21
	s_or_b32 exec_lo, exec_lo, s4
	s_and_saveexec_b32 s4, vcc_lo
	s_cbranch_execz .LBB237_2046
.LBB237_2115:
	ds_read_b32 v32, v30 offset:352
	s_waitcnt lgkmcnt(0)
	v_add_f32_e32 v22, v32, v22
	s_or_b32 exec_lo, exec_lo, s4
	s_and_saveexec_b32 s4, vcc_lo
	s_cbranch_execz .LBB237_2047
.LBB237_2116:
	ds_read_b32 v32, v30 offset:368
	s_waitcnt lgkmcnt(0)
	v_add_f32_e32 v23, v32, v23
	s_or_b32 exec_lo, exec_lo, s4
	s_and_saveexec_b32 s4, vcc_lo
	s_cbranch_execz .LBB237_2048
.LBB237_2117:
	ds_read_b32 v32, v30 offset:384
	s_waitcnt lgkmcnt(0)
	v_add_f32_e32 v24, v32, v24
	s_or_b32 exec_lo, exec_lo, s4
	s_and_saveexec_b32 s4, vcc_lo
	s_cbranch_execz .LBB237_2049
.LBB237_2118:
	ds_read_b32 v32, v30 offset:400
	s_waitcnt lgkmcnt(0)
	v_add_f32_e32 v25, v32, v25
	s_or_b32 exec_lo, exec_lo, s4
	s_and_saveexec_b32 s4, vcc_lo
	s_cbranch_execz .LBB237_2050
.LBB237_2119:
	ds_read_b32 v32, v30 offset:416
	s_waitcnt lgkmcnt(0)
	v_add_f32_e32 v26, v32, v26
	s_or_b32 exec_lo, exec_lo, s4
	s_and_saveexec_b32 s4, vcc_lo
	s_cbranch_execz .LBB237_2051
.LBB237_2120:
	ds_read_b32 v32, v30 offset:432
	s_waitcnt lgkmcnt(0)
	v_add_f32_e32 v27, v32, v27
	s_or_b32 exec_lo, exec_lo, s4
	s_and_saveexec_b32 s4, vcc_lo
	s_cbranch_execz .LBB237_2052
.LBB237_2121:
	ds_read_b32 v32, v30 offset:448
	s_waitcnt lgkmcnt(0)
	v_add_f32_e32 v28, v32, v28
	s_or_b32 exec_lo, exec_lo, s4
	s_and_saveexec_b32 s4, vcc_lo
	s_cbranch_execnz .LBB237_2053
	s_branch .LBB237_2054
.LBB237_2122:
	ds_read_b32 v31, v30
	s_waitcnt lgkmcnt(0)
	v_add_f32_e32 v0, v31, v0
	s_or_b32 exec_lo, exec_lo, s4
	s_and_saveexec_b32 s4, vcc_lo
	s_cbranch_execz .LBB237_2060
.LBB237_2123:
	ds_read_b32 v31, v30 offset:16
	s_waitcnt lgkmcnt(0)
	v_add_f32_e32 v1, v31, v1
	s_or_b32 exec_lo, exec_lo, s4
	s_and_saveexec_b32 s4, vcc_lo
	s_cbranch_execz .LBB237_2061
.LBB237_2124:
	ds_read_b32 v31, v30 offset:32
	s_waitcnt lgkmcnt(0)
	v_add_f32_e32 v2, v31, v2
	s_or_b32 exec_lo, exec_lo, s4
	s_and_saveexec_b32 s4, vcc_lo
	s_cbranch_execz .LBB237_2062
.LBB237_2125:
	ds_read_b32 v31, v30 offset:48
	s_waitcnt lgkmcnt(0)
	v_add_f32_e32 v3, v31, v3
	s_or_b32 exec_lo, exec_lo, s4
	s_and_saveexec_b32 s4, vcc_lo
	s_cbranch_execz .LBB237_2063
.LBB237_2126:
	ds_read_b32 v31, v30 offset:64
	s_waitcnt lgkmcnt(0)
	v_add_f32_e32 v5, v31, v5
	s_or_b32 exec_lo, exec_lo, s4
	s_and_saveexec_b32 s4, vcc_lo
	s_cbranch_execz .LBB237_2064
.LBB237_2127:
	ds_read_b32 v31, v30 offset:80
	s_waitcnt lgkmcnt(0)
	v_add_f32_e32 v6, v31, v6
	s_or_b32 exec_lo, exec_lo, s4
	s_and_saveexec_b32 s4, vcc_lo
	s_cbranch_execz .LBB237_2065
.LBB237_2128:
	ds_read_b32 v31, v30 offset:96
	s_waitcnt lgkmcnt(0)
	v_add_f32_e32 v7, v31, v7
	s_or_b32 exec_lo, exec_lo, s4
	s_and_saveexec_b32 s4, vcc_lo
	s_cbranch_execz .LBB237_2066
.LBB237_2129:
	ds_read_b32 v31, v30 offset:112
	s_waitcnt lgkmcnt(0)
	v_add_f32_e32 v8, v31, v8
	s_or_b32 exec_lo, exec_lo, s4
	s_and_saveexec_b32 s4, vcc_lo
	s_cbranch_execz .LBB237_2067
.LBB237_2130:
	ds_read_b32 v31, v30 offset:128
	s_waitcnt lgkmcnt(0)
	v_add_f32_e32 v9, v31, v9
	s_or_b32 exec_lo, exec_lo, s4
	s_and_saveexec_b32 s4, vcc_lo
	s_cbranch_execz .LBB237_2068
.LBB237_2131:
	ds_read_b32 v31, v30 offset:144
	s_waitcnt lgkmcnt(0)
	v_add_f32_e32 v10, v31, v10
	s_or_b32 exec_lo, exec_lo, s4
	s_and_saveexec_b32 s4, vcc_lo
	s_cbranch_execz .LBB237_2069
.LBB237_2132:
	ds_read_b32 v31, v30 offset:160
	s_waitcnt lgkmcnt(0)
	v_add_f32_e32 v11, v31, v11
	s_or_b32 exec_lo, exec_lo, s4
	s_and_saveexec_b32 s4, vcc_lo
	s_cbranch_execz .LBB237_2070
.LBB237_2133:
	ds_read_b32 v31, v30 offset:176
	s_waitcnt lgkmcnt(0)
	v_add_f32_e32 v12, v31, v12
	s_or_b32 exec_lo, exec_lo, s4
	s_and_saveexec_b32 s4, vcc_lo
	s_cbranch_execz .LBB237_2071
.LBB237_2134:
	ds_read_b32 v31, v30 offset:192
	s_waitcnt lgkmcnt(0)
	v_add_f32_e32 v13, v31, v13
	s_or_b32 exec_lo, exec_lo, s4
	s_and_saveexec_b32 s4, vcc_lo
	s_cbranch_execz .LBB237_2072
.LBB237_2135:
	ds_read_b32 v31, v30 offset:208
	s_waitcnt lgkmcnt(0)
	v_add_f32_e32 v4, v31, v4
	s_or_b32 exec_lo, exec_lo, s4
	s_and_saveexec_b32 s4, vcc_lo
	s_cbranch_execz .LBB237_2073
.LBB237_2136:
	ds_read_b32 v31, v30 offset:224
	s_waitcnt lgkmcnt(0)
	v_add_f32_e32 v14, v31, v14
	s_or_b32 exec_lo, exec_lo, s4
	s_and_saveexec_b32 s4, vcc_lo
	s_cbranch_execz .LBB237_2074
.LBB237_2137:
	ds_read_b32 v31, v30 offset:240
	s_waitcnt lgkmcnt(0)
	v_add_f32_e32 v15, v31, v15
	s_or_b32 exec_lo, exec_lo, s4
	s_and_saveexec_b32 s4, vcc_lo
	s_cbranch_execz .LBB237_2075
.LBB237_2138:
	ds_read_b32 v31, v30 offset:256
	s_waitcnt lgkmcnt(0)
	v_add_f32_e32 v16, v31, v16
	s_or_b32 exec_lo, exec_lo, s4
	s_and_saveexec_b32 s4, vcc_lo
	s_cbranch_execz .LBB237_2076
.LBB237_2139:
	ds_read_b32 v31, v30 offset:272
	s_waitcnt lgkmcnt(0)
	v_add_f32_e32 v17, v31, v17
	s_or_b32 exec_lo, exec_lo, s4
	s_and_saveexec_b32 s4, vcc_lo
	s_cbranch_execz .LBB237_2077
.LBB237_2140:
	ds_read_b32 v31, v30 offset:288
	s_waitcnt lgkmcnt(0)
	v_add_f32_e32 v18, v31, v18
	s_or_b32 exec_lo, exec_lo, s4
	s_and_saveexec_b32 s4, vcc_lo
	s_cbranch_execz .LBB237_2078
.LBB237_2141:
	ds_read_b32 v31, v30 offset:304
	s_waitcnt lgkmcnt(0)
	v_add_f32_e32 v19, v31, v19
	s_or_b32 exec_lo, exec_lo, s4
	s_and_saveexec_b32 s4, vcc_lo
	s_cbranch_execz .LBB237_2079
.LBB237_2142:
	ds_read_b32 v31, v30 offset:320
	s_waitcnt lgkmcnt(0)
	v_add_f32_e32 v20, v31, v20
	s_or_b32 exec_lo, exec_lo, s4
	s_and_saveexec_b32 s4, vcc_lo
	s_cbranch_execz .LBB237_2080
.LBB237_2143:
	ds_read_b32 v31, v30 offset:336
	s_waitcnt lgkmcnt(0)
	v_add_f32_e32 v21, v31, v21
	s_or_b32 exec_lo, exec_lo, s4
	s_and_saveexec_b32 s4, vcc_lo
	s_cbranch_execz .LBB237_2081
.LBB237_2144:
	ds_read_b32 v31, v30 offset:352
	s_waitcnt lgkmcnt(0)
	v_add_f32_e32 v22, v31, v22
	s_or_b32 exec_lo, exec_lo, s4
	s_and_saveexec_b32 s4, vcc_lo
	s_cbranch_execz .LBB237_2082
.LBB237_2145:
	ds_read_b32 v31, v30 offset:368
	s_waitcnt lgkmcnt(0)
	v_add_f32_e32 v23, v31, v23
	s_or_b32 exec_lo, exec_lo, s4
	s_and_saveexec_b32 s4, vcc_lo
	s_cbranch_execz .LBB237_2083
.LBB237_2146:
	ds_read_b32 v31, v30 offset:384
	s_waitcnt lgkmcnt(0)
	v_add_f32_e32 v24, v31, v24
	s_or_b32 exec_lo, exec_lo, s4
	s_and_saveexec_b32 s4, vcc_lo
	s_cbranch_execz .LBB237_2084
.LBB237_2147:
	ds_read_b32 v31, v30 offset:400
	s_waitcnt lgkmcnt(0)
	v_add_f32_e32 v25, v31, v25
	s_or_b32 exec_lo, exec_lo, s4
	s_and_saveexec_b32 s4, vcc_lo
	s_cbranch_execz .LBB237_2085
.LBB237_2148:
	ds_read_b32 v31, v30 offset:416
	s_waitcnt lgkmcnt(0)
	v_add_f32_e32 v26, v31, v26
	s_or_b32 exec_lo, exec_lo, s4
	s_and_saveexec_b32 s4, vcc_lo
	s_cbranch_execz .LBB237_2086
.LBB237_2149:
	ds_read_b32 v31, v30 offset:432
	s_waitcnt lgkmcnt(0)
	v_add_f32_e32 v27, v31, v27
	s_or_b32 exec_lo, exec_lo, s4
	s_and_saveexec_b32 s4, vcc_lo
	s_cbranch_execz .LBB237_2087
.LBB237_2150:
	ds_read_b32 v31, v30 offset:448
	s_waitcnt lgkmcnt(0)
	v_add_f32_e32 v28, v31, v28
	s_or_b32 exec_lo, exec_lo, s4
	s_and_saveexec_b32 s4, vcc_lo
	s_cbranch_execnz .LBB237_2088
	s_branch .LBB237_2089
.Lfunc_end237:
	.size	_ZN4vllm22paged_attention_kernelIfhLi120ELi32ELi128ELNS_18Fp8KVCacheDataTypeE1ELb1ELi512EEEvPfS2_PT_PKS3_PKT0_S9_ifPKiSB_iPKfiiiSD_SD_iiiii, .Lfunc_end237-_ZN4vllm22paged_attention_kernelIfhLi120ELi32ELi128ELNS_18Fp8KVCacheDataTypeE1ELb1ELi512EEEvPfS2_PT_PKS3_PKT0_S9_ifPKiSB_iPKfiiiSD_SD_iiiii
                                        ; -- End function
	.set .L_ZN4vllm22paged_attention_kernelIfhLi120ELi32ELi128ELNS_18Fp8KVCacheDataTypeE1ELb1ELi512EEEvPfS2_PT_PKS3_PKT0_S9_ifPKiSB_iPKfiiiSD_SD_iiiii.num_vgpr, 128
	.set .L_ZN4vllm22paged_attention_kernelIfhLi120ELi32ELi128ELNS_18Fp8KVCacheDataTypeE1ELb1ELi512EEEvPfS2_PT_PKS3_PKT0_S9_ifPKiSB_iPKfiiiSD_SD_iiiii.num_agpr, 0
	.set .L_ZN4vllm22paged_attention_kernelIfhLi120ELi32ELi128ELNS_18Fp8KVCacheDataTypeE1ELb1ELi512EEEvPfS2_PT_PKS3_PKT0_S9_ifPKiSB_iPKfiiiSD_SD_iiiii.numbered_sgpr, 33
	.set .L_ZN4vllm22paged_attention_kernelIfhLi120ELi32ELi128ELNS_18Fp8KVCacheDataTypeE1ELb1ELi512EEEvPfS2_PT_PKS3_PKT0_S9_ifPKiSB_iPKfiiiSD_SD_iiiii.num_named_barrier, 0
	.set .L_ZN4vllm22paged_attention_kernelIfhLi120ELi32ELi128ELNS_18Fp8KVCacheDataTypeE1ELb1ELi512EEEvPfS2_PT_PKS3_PKT0_S9_ifPKiSB_iPKfiiiSD_SD_iiiii.private_seg_size, 1440
	.set .L_ZN4vllm22paged_attention_kernelIfhLi120ELi32ELi128ELNS_18Fp8KVCacheDataTypeE1ELb1ELi512EEEvPfS2_PT_PKS3_PKT0_S9_ifPKiSB_iPKfiiiSD_SD_iiiii.uses_vcc, 1
	.set .L_ZN4vllm22paged_attention_kernelIfhLi120ELi32ELi128ELNS_18Fp8KVCacheDataTypeE1ELb1ELi512EEEvPfS2_PT_PKS3_PKT0_S9_ifPKiSB_iPKfiiiSD_SD_iiiii.uses_flat_scratch, 0
	.set .L_ZN4vllm22paged_attention_kernelIfhLi120ELi32ELi128ELNS_18Fp8KVCacheDataTypeE1ELb1ELi512EEEvPfS2_PT_PKS3_PKT0_S9_ifPKiSB_iPKfiiiSD_SD_iiiii.has_dyn_sized_stack, 0
	.set .L_ZN4vllm22paged_attention_kernelIfhLi120ELi32ELi128ELNS_18Fp8KVCacheDataTypeE1ELb1ELi512EEEvPfS2_PT_PKS3_PKT0_S9_ifPKiSB_iPKfiiiSD_SD_iiiii.has_recursion, 0
	.set .L_ZN4vllm22paged_attention_kernelIfhLi120ELi32ELi128ELNS_18Fp8KVCacheDataTypeE1ELb1ELi512EEEvPfS2_PT_PKS3_PKT0_S9_ifPKiSB_iPKfiiiSD_SD_iiiii.has_indirect_call, 0
	.section	.AMDGPU.csdata,"",@progbits
; Function info:
; codeLenInByte = 75580
; TotalNumSgprs: 35
; NumVgprs: 128
; ScratchSize: 1440
; MemoryBound: 0
	.section	.text._ZN4vllm25paged_attention_v2_kernelIfhLi120ELi32ELi128ELNS_18Fp8KVCacheDataTypeE1ELb1ELi512EEEvPfS2_PT_PKS3_PKT0_S9_ifPKiSB_iPKfiiiSD_SD_iiiii,"axG",@progbits,_ZN4vllm25paged_attention_v2_kernelIfhLi120ELi32ELi128ELNS_18Fp8KVCacheDataTypeE1ELb1ELi512EEEvPfS2_PT_PKS3_PKT0_S9_ifPKiSB_iPKfiiiSD_SD_iiiii,comdat
	.protected	_ZN4vllm25paged_attention_v2_kernelIfhLi120ELi32ELi128ELNS_18Fp8KVCacheDataTypeE1ELb1ELi512EEEvPfS2_PT_PKS3_PKT0_S9_ifPKiSB_iPKfiiiSD_SD_iiiii ; -- Begin function _ZN4vllm25paged_attention_v2_kernelIfhLi120ELi32ELi128ELNS_18Fp8KVCacheDataTypeE1ELb1ELi512EEEvPfS2_PT_PKS3_PKT0_S9_ifPKiSB_iPKfiiiSD_SD_iiiii
	.globl	_ZN4vllm25paged_attention_v2_kernelIfhLi120ELi32ELi128ELNS_18Fp8KVCacheDataTypeE1ELb1ELi512EEEvPfS2_PT_PKS3_PKT0_S9_ifPKiSB_iPKfiiiSD_SD_iiiii
	.p2align	8
	.type	_ZN4vllm25paged_attention_v2_kernelIfhLi120ELi32ELi128ELNS_18Fp8KVCacheDataTypeE1ELb1ELi512EEEvPfS2_PT_PKS3_PKT0_S9_ifPKiSB_iPKfiiiSD_SD_iiiii,@function
_ZN4vllm25paged_attention_v2_kernelIfhLi120ELi32ELi128ELNS_18Fp8KVCacheDataTypeE1ELb1ELi512EEEvPfS2_PT_PKS3_PKT0_S9_ifPKiSB_iPKfiiiSD_SD_iiiii: ; @_ZN4vllm25paged_attention_v2_kernelIfhLi120ELi32ELi128ELNS_18Fp8KVCacheDataTypeE1ELb1ELi512EEEvPfS2_PT_PKS3_PKT0_S9_ifPKiSB_iPKfiiiSD_SD_iiiii
; %bb.0:
	s_mov_b32 s14, s8
	s_clause 0x7
	s_load_dwordx4 s[36:39], s[4:5], 0x78
	s_load_dword s8, s[4:5], 0x88
	s_load_dwordx8 s[40:47], s[4:5], 0x0
	s_load_dwordx8 s[24:31], s[4:5], 0x20
	s_load_dwordx2 s[10:11], s[4:5], 0x40
	s_load_dwordx2 s[34:35], s[4:5], 0x50
	s_load_dword s13, s[4:5], 0x48
	s_load_dwordx8 s[16:23], s[4:5], 0x58
	s_add_u32 s0, s0, s9
	s_mov_b32 s32, 0
	s_addc_u32 s1, s1, 0
	v_mov_b32_e32 v31, v0
	s_mov_b32 s12, s6
	s_mov_b32 s15, 19
	s_waitcnt lgkmcnt(0)
	v_mov_b32_e32 v1, s39
	v_mov_b32_e32 v2, s8
	;; [unrolled: 1-line block ×4, first 2 shown]
	buffer_store_dword v1, off, s[0:3], s32
	buffer_store_dword v2, off, s[0:3], s32 offset:4
	v_mov_b32_e32 v1, s41
	v_mov_b32_e32 v2, s42
	v_mov_b32_e32 v4, s44
	v_mov_b32_e32 v5, s45
	v_mov_b32_e32 v6, s46
	v_mov_b32_e32 v7, s47
	v_mov_b32_e32 v8, s24
	v_mov_b32_e32 v9, s25
	v_mov_b32_e32 v10, s26
	v_mov_b32_e32 v11, s27
	v_mov_b32_e32 v12, s28
	v_mov_b32_e32 v13, s29
	v_mov_b32_e32 v14, s30
	v_mov_b32_e32 v15, s31
	v_mov_b32_e32 v16, s10
	v_mov_b32_e32 v17, s11
	v_mov_b32_e32 v18, s13
	v_mov_b32_e32 v19, s34
	v_mov_b32_e32 v20, s35
	v_mov_b32_e32 v21, s16
	v_mov_b32_e32 v22, s17
	v_mov_b32_e32 v23, s18
	v_mov_b32_e32 v24, s20
	v_mov_b32_e32 v25, s21
	v_mov_b32_e32 v26, s22
	v_mov_b32_e32 v27, s23
	v_mov_b32_e32 v28, s36
	v_mov_b32_e32 v29, s37
	v_mov_b32_e32 v30, s38
	s_add_u32 s8, s4, 0x90
	s_addc_u32 s9, s5, 0
	s_getpc_b64 s[4:5]
	s_add_u32 s4, s4, _ZN4vllm22paged_attention_kernelIfhLi120ELi32ELi128ELNS_18Fp8KVCacheDataTypeE1ELb1ELi512EEEvPfS2_PT_PKS3_PKT0_S9_ifPKiSB_iPKfiiiSD_SD_iiiii@rel32@lo+4
	s_addc_u32 s5, s5, _ZN4vllm22paged_attention_kernelIfhLi120ELi32ELi128ELNS_18Fp8KVCacheDataTypeE1ELb1ELi512EEEvPfS2_PT_PKS3_PKT0_S9_ifPKiSB_iPKfiiiSD_SD_iiiii@rel32@hi+12
	s_mov_b32 s13, s7
	s_swappc_b64 s[30:31], s[4:5]
	s_endpgm
	.section	.rodata,"a",@progbits
	.p2align	6, 0x0
	.amdhsa_kernel _ZN4vllm25paged_attention_v2_kernelIfhLi120ELi32ELi128ELNS_18Fp8KVCacheDataTypeE1ELb1ELi512EEEvPfS2_PT_PKS3_PKT0_S9_ifPKiSB_iPKfiiiSD_SD_iiiii
		.amdhsa_group_segment_fixed_size 512
		.amdhsa_private_segment_fixed_size 1440
		.amdhsa_kernarg_size 400
		.amdhsa_user_sgpr_count 6
		.amdhsa_user_sgpr_private_segment_buffer 1
		.amdhsa_user_sgpr_dispatch_ptr 0
		.amdhsa_user_sgpr_queue_ptr 0
		.amdhsa_user_sgpr_kernarg_segment_ptr 1
		.amdhsa_user_sgpr_dispatch_id 0
		.amdhsa_user_sgpr_flat_scratch_init 0
		.amdhsa_user_sgpr_private_segment_size 0
		.amdhsa_wavefront_size32 1
		.amdhsa_uses_dynamic_stack 0
		.amdhsa_system_sgpr_private_segment_wavefront_offset 1
		.amdhsa_system_sgpr_workgroup_id_x 1
		.amdhsa_system_sgpr_workgroup_id_y 1
		.amdhsa_system_sgpr_workgroup_id_z 1
		.amdhsa_system_sgpr_workgroup_info 0
		.amdhsa_system_vgpr_workitem_id 0
		.amdhsa_next_free_vgpr 128
		.amdhsa_next_free_sgpr 48
		.amdhsa_reserve_vcc 1
		.amdhsa_reserve_flat_scratch 0
		.amdhsa_float_round_mode_32 0
		.amdhsa_float_round_mode_16_64 0
		.amdhsa_float_denorm_mode_32 3
		.amdhsa_float_denorm_mode_16_64 3
		.amdhsa_dx10_clamp 1
		.amdhsa_ieee_mode 1
		.amdhsa_fp16_overflow 0
		.amdhsa_workgroup_processor_mode 1
		.amdhsa_memory_ordered 1
		.amdhsa_forward_progress 1
		.amdhsa_shared_vgpr_count 0
		.amdhsa_exception_fp_ieee_invalid_op 0
		.amdhsa_exception_fp_denorm_src 0
		.amdhsa_exception_fp_ieee_div_zero 0
		.amdhsa_exception_fp_ieee_overflow 0
		.amdhsa_exception_fp_ieee_underflow 0
		.amdhsa_exception_fp_ieee_inexact 0
		.amdhsa_exception_int_div_zero 0
	.end_amdhsa_kernel
	.section	.text._ZN4vllm25paged_attention_v2_kernelIfhLi120ELi32ELi128ELNS_18Fp8KVCacheDataTypeE1ELb1ELi512EEEvPfS2_PT_PKS3_PKT0_S9_ifPKiSB_iPKfiiiSD_SD_iiiii,"axG",@progbits,_ZN4vllm25paged_attention_v2_kernelIfhLi120ELi32ELi128ELNS_18Fp8KVCacheDataTypeE1ELb1ELi512EEEvPfS2_PT_PKS3_PKT0_S9_ifPKiSB_iPKfiiiSD_SD_iiiii,comdat
.Lfunc_end238:
	.size	_ZN4vllm25paged_attention_v2_kernelIfhLi120ELi32ELi128ELNS_18Fp8KVCacheDataTypeE1ELb1ELi512EEEvPfS2_PT_PKS3_PKT0_S9_ifPKiSB_iPKfiiiSD_SD_iiiii, .Lfunc_end238-_ZN4vllm25paged_attention_v2_kernelIfhLi120ELi32ELi128ELNS_18Fp8KVCacheDataTypeE1ELb1ELi512EEEvPfS2_PT_PKS3_PKT0_S9_ifPKiSB_iPKfiiiSD_SD_iiiii
                                        ; -- End function
	.set _ZN4vllm25paged_attention_v2_kernelIfhLi120ELi32ELi128ELNS_18Fp8KVCacheDataTypeE1ELb1ELi512EEEvPfS2_PT_PKS3_PKT0_S9_ifPKiSB_iPKfiiiSD_SD_iiiii.num_vgpr, max(32, .L_ZN4vllm22paged_attention_kernelIfhLi120ELi32ELi128ELNS_18Fp8KVCacheDataTypeE1ELb1ELi512EEEvPfS2_PT_PKS3_PKT0_S9_ifPKiSB_iPKfiiiSD_SD_iiiii.num_vgpr)
	.set _ZN4vllm25paged_attention_v2_kernelIfhLi120ELi32ELi128ELNS_18Fp8KVCacheDataTypeE1ELb1ELi512EEEvPfS2_PT_PKS3_PKT0_S9_ifPKiSB_iPKfiiiSD_SD_iiiii.num_agpr, max(0, .L_ZN4vllm22paged_attention_kernelIfhLi120ELi32ELi128ELNS_18Fp8KVCacheDataTypeE1ELb1ELi512EEEvPfS2_PT_PKS3_PKT0_S9_ifPKiSB_iPKfiiiSD_SD_iiiii.num_agpr)
	.set _ZN4vllm25paged_attention_v2_kernelIfhLi120ELi32ELi128ELNS_18Fp8KVCacheDataTypeE1ELb1ELi512EEEvPfS2_PT_PKS3_PKT0_S9_ifPKiSB_iPKfiiiSD_SD_iiiii.numbered_sgpr, max(48, .L_ZN4vllm22paged_attention_kernelIfhLi120ELi32ELi128ELNS_18Fp8KVCacheDataTypeE1ELb1ELi512EEEvPfS2_PT_PKS3_PKT0_S9_ifPKiSB_iPKfiiiSD_SD_iiiii.numbered_sgpr)
	.set _ZN4vllm25paged_attention_v2_kernelIfhLi120ELi32ELi128ELNS_18Fp8KVCacheDataTypeE1ELb1ELi512EEEvPfS2_PT_PKS3_PKT0_S9_ifPKiSB_iPKfiiiSD_SD_iiiii.num_named_barrier, max(0, .L_ZN4vllm22paged_attention_kernelIfhLi120ELi32ELi128ELNS_18Fp8KVCacheDataTypeE1ELb1ELi512EEEvPfS2_PT_PKS3_PKT0_S9_ifPKiSB_iPKfiiiSD_SD_iiiii.num_named_barrier)
	.set _ZN4vllm25paged_attention_v2_kernelIfhLi120ELi32ELi128ELNS_18Fp8KVCacheDataTypeE1ELb1ELi512EEEvPfS2_PT_PKS3_PKT0_S9_ifPKiSB_iPKfiiiSD_SD_iiiii.private_seg_size, 0+max(.L_ZN4vllm22paged_attention_kernelIfhLi120ELi32ELi128ELNS_18Fp8KVCacheDataTypeE1ELb1ELi512EEEvPfS2_PT_PKS3_PKT0_S9_ifPKiSB_iPKfiiiSD_SD_iiiii.private_seg_size)
	.set _ZN4vllm25paged_attention_v2_kernelIfhLi120ELi32ELi128ELNS_18Fp8KVCacheDataTypeE1ELb1ELi512EEEvPfS2_PT_PKS3_PKT0_S9_ifPKiSB_iPKfiiiSD_SD_iiiii.uses_vcc, or(1, .L_ZN4vllm22paged_attention_kernelIfhLi120ELi32ELi128ELNS_18Fp8KVCacheDataTypeE1ELb1ELi512EEEvPfS2_PT_PKS3_PKT0_S9_ifPKiSB_iPKfiiiSD_SD_iiiii.uses_vcc)
	.set _ZN4vllm25paged_attention_v2_kernelIfhLi120ELi32ELi128ELNS_18Fp8KVCacheDataTypeE1ELb1ELi512EEEvPfS2_PT_PKS3_PKT0_S9_ifPKiSB_iPKfiiiSD_SD_iiiii.uses_flat_scratch, or(0, .L_ZN4vllm22paged_attention_kernelIfhLi120ELi32ELi128ELNS_18Fp8KVCacheDataTypeE1ELb1ELi512EEEvPfS2_PT_PKS3_PKT0_S9_ifPKiSB_iPKfiiiSD_SD_iiiii.uses_flat_scratch)
	.set _ZN4vllm25paged_attention_v2_kernelIfhLi120ELi32ELi128ELNS_18Fp8KVCacheDataTypeE1ELb1ELi512EEEvPfS2_PT_PKS3_PKT0_S9_ifPKiSB_iPKfiiiSD_SD_iiiii.has_dyn_sized_stack, or(0, .L_ZN4vllm22paged_attention_kernelIfhLi120ELi32ELi128ELNS_18Fp8KVCacheDataTypeE1ELb1ELi512EEEvPfS2_PT_PKS3_PKT0_S9_ifPKiSB_iPKfiiiSD_SD_iiiii.has_dyn_sized_stack)
	.set _ZN4vllm25paged_attention_v2_kernelIfhLi120ELi32ELi128ELNS_18Fp8KVCacheDataTypeE1ELb1ELi512EEEvPfS2_PT_PKS3_PKT0_S9_ifPKiSB_iPKfiiiSD_SD_iiiii.has_recursion, or(0, .L_ZN4vllm22paged_attention_kernelIfhLi120ELi32ELi128ELNS_18Fp8KVCacheDataTypeE1ELb1ELi512EEEvPfS2_PT_PKS3_PKT0_S9_ifPKiSB_iPKfiiiSD_SD_iiiii.has_recursion)
	.set _ZN4vllm25paged_attention_v2_kernelIfhLi120ELi32ELi128ELNS_18Fp8KVCacheDataTypeE1ELb1ELi512EEEvPfS2_PT_PKS3_PKT0_S9_ifPKiSB_iPKfiiiSD_SD_iiiii.has_indirect_call, or(0, .L_ZN4vllm22paged_attention_kernelIfhLi120ELi32ELi128ELNS_18Fp8KVCacheDataTypeE1ELb1ELi512EEEvPfS2_PT_PKS3_PKT0_S9_ifPKiSB_iPKfiiiSD_SD_iiiii.has_indirect_call)
	.section	.AMDGPU.csdata,"",@progbits
; Kernel info:
; codeLenInByte = 292
; TotalNumSgprs: 50
; NumVgprs: 128
; ScratchSize: 1440
; MemoryBound: 0
; FloatMode: 240
; IeeeMode: 1
; LDSByteSize: 512 bytes/workgroup (compile time only)
; SGPRBlocks: 0
; VGPRBlocks: 15
; NumSGPRsForWavesPerEU: 50
; NumVGPRsForWavesPerEU: 128
; Occupancy: 8
; WaveLimiterHint : 1
; COMPUTE_PGM_RSRC2:SCRATCH_EN: 1
; COMPUTE_PGM_RSRC2:USER_SGPR: 6
; COMPUTE_PGM_RSRC2:TRAP_HANDLER: 0
; COMPUTE_PGM_RSRC2:TGID_X_EN: 1
; COMPUTE_PGM_RSRC2:TGID_Y_EN: 1
; COMPUTE_PGM_RSRC2:TGID_Z_EN: 1
; COMPUTE_PGM_RSRC2:TIDIG_COMP_CNT: 0
	.text
	.p2align	2                               ; -- Begin function _ZN4vllm22paged_attention_kernelIfhLi128ELi32ELi128ELNS_18Fp8KVCacheDataTypeE1ELb1ELi512EEEvPfS2_PT_PKS3_PKT0_S9_ifPKiSB_iPKfiiiSD_SD_iiiii
	.type	_ZN4vllm22paged_attention_kernelIfhLi128ELi32ELi128ELNS_18Fp8KVCacheDataTypeE1ELb1ELi512EEEvPfS2_PT_PKS3_PKT0_S9_ifPKiSB_iPKfiiiSD_SD_iiiii,@function
_ZN4vllm22paged_attention_kernelIfhLi128ELi32ELi128ELNS_18Fp8KVCacheDataTypeE1ELb1ELi512EEEvPfS2_PT_PKS3_PKT0_S9_ifPKiSB_iPKfiiiSD_SD_iiiii: ; @_ZN4vllm22paged_attention_kernelIfhLi128ELi32ELi128ELNS_18Fp8KVCacheDataTypeE1ELb1ELi512EEEvPfS2_PT_PKS3_PKT0_S9_ifPKiSB_iPKfiiiSD_SD_iiiii
; %bb.0:
	s_waitcnt vmcnt(0) expcnt(0) lgkmcnt(0)
	buffer_store_dword v40, off, s[0:3], s32 offset:196 ; 4-byte Folded Spill
	buffer_store_dword v41, off, s[0:3], s32 offset:192 ; 4-byte Folded Spill
	;; [unrolled: 1-line block ×48, first 2 shown]
	s_mov_b32 s18, s13
	s_ashr_i32 s19, s13, 31
	buffer_store_dword v26, off, s[0:3], s32 offset:932 ; 4-byte Folded Spill
	buffer_store_dword v27, off, s[0:3], s32 offset:936 ; 4-byte Folded Spill
	;; [unrolled: 1-line block ×8, first 2 shown]
	s_lshl_b64 s[4:5], s[18:19], 2
	v_mov_b32_e32 v25, v0
	v_add_co_u32 v0, vcc_lo, v16, s4
	v_mov_b32_e32 v24, v1
	v_add_co_ci_u32_e64 v1, null, s5, v17, vcc_lo
	v_mov_b32_e32 v26, v3
	v_mov_b32_e32 v32, v2
	s_lshl_b32 s7, s14, 9
	flat_load_dword v0, v[0:1]
	s_clause 0x1
	buffer_load_dword v2, off, s[0:3], s32 offset:4
	buffer_load_dword v3, off, s[0:3], s32
	s_mov_b32 s19, exec_lo
	s_waitcnt vmcnt(2) lgkmcnt(0)
	buffer_store_dword v0, off, s[0:3], s32 offset:208 ; 4-byte Folded Spill
	v_cmpx_lt_i32_e64 s7, v0
	s_cbranch_execz .LBB239_2228
; %bb.1:
	v_sub_nc_u32_e32 v0, 0, v12
	s_clause 0x1
	s_load_dword s4, s[8:9], 0x10
	s_load_dword s5, s[8:9], 0x0
	s_mov_b32 s16, s15
	v_max_i32_e32 v0, v12, v0
	v_cvt_f32_u32_e32 v1, v0
	v_sub_nc_u32_e32 v4, 0, v0
	v_rcp_iflag_f32_e32 v1, v1
	s_waitcnt lgkmcnt(0)
	s_lshr_b32 s4, s4, 16
	s_cmp_lg_u32 s4, 0
	s_cselect_b32 s4, -1, 0
	v_mul_f32_e32 v1, 0x4f7ffffe, v1
	s_cmp_lg_u32 s4, 0
	s_addc_u32 s15, s5, 0
	s_mov_b32 s5, exec_lo
	v_cvt_u32_f32_e32 v1, v1
	s_abs_i32 s4, s15
	v_mul_lo_u32 v4, v4, v1
	v_mul_hi_u32 v4, v1, v4
	v_add_nc_u32_e32 v1, v1, v4
	v_mul_hi_u32 v1, s4, v1
	v_mul_lo_u32 v4, v1, v0
	v_add_nc_u32_e32 v5, 1, v1
	v_sub_nc_u32_e32 v4, s4, v4
	s_abs_i32 s4, s12
	v_sub_nc_u32_e32 v13, v4, v0
	v_cmp_ge_u32_e32 vcc_lo, v4, v0
	v_cndmask_b32_e32 v1, v1, v5, vcc_lo
	v_cndmask_b32_e32 v4, v4, v13, vcc_lo
	v_xor_b32_e32 v5, s15, v12
	v_add_nc_u32_e32 v13, 1, v1
	v_cmp_ge_u32_e32 vcc_lo, v4, v0
	v_ashrrev_i32_e32 v5, 31, v5
	v_cndmask_b32_e32 v0, v1, v13, vcc_lo
	v_xor_b32_e32 v0, v0, v5
	v_sub_nc_u32_e32 v5, v0, v5
	v_sub_nc_u32_e32 v0, 0, v5
	v_max_i32_e32 v4, v5, v0
	v_cvt_f32_u32_e32 v0, v4
	v_sub_nc_u32_e32 v1, 0, v4
	v_rcp_iflag_f32_e32 v0, v0
	v_mul_f32_e32 v0, 0x4f7ffffe, v0
	v_cvt_u32_f32_e32 v0, v0
	v_mul_lo_u32 v1, v1, v0
	v_mul_hi_u32 v1, v0, v1
	v_add_nc_u32_e32 v0, v0, v1
	v_mad_u64_u32 v[0:1], null, s4, v0, 0
	v_mov_b32_e32 v0, 0
	buffer_store_dword v0, off, s[0:3], s32 offset:952 ; 4-byte Folded Spill
	v_cmpx_ne_u64_e32 0, v[19:20]
	s_cbranch_execz .LBB239_3
; %bb.2:
	s_ashr_i32 s13, s12, 31
	s_lshl_b64 s[10:11], s[12:13], 2
	v_add_co_u32 v16, vcc_lo, v19, s10
	v_add_co_ci_u32_e64 v17, null, s11, v20, vcc_lo
	flat_load_dword v0, v[16:17]
	s_waitcnt vmcnt(0) lgkmcnt(0)
	buffer_store_dword v0, off, s[0:3], s32 offset:952 ; 4-byte Folded Spill
.LBB239_3:
	s_or_b32 exec_lo, exec_lo, s5
	v_and_b32_e32 v13, 0x3ff, v31
	v_ashrrev_i32_e32 v0, 31, v5
	s_ashr_i32 s5, s12, 31
	s_lshl_b32 s10, s12, 7
	s_mov_b32 s6, exec_lo
	buffer_store_dword v13, off, s[0:3], s32 offset:928 ; 4-byte Folded Spill
	v_cmpx_gt_u32_e32 32, v13
	s_cbranch_execz .LBB239_5
; %bb.4:
	buffer_load_dword v5, off, s[0:3], s32 offset:928 ; 4-byte Folded Reload
	v_mul_lo_u32 v16, v21, s18
	s_ashr_i32 s11, s10, 31
	s_lshl_b64 s[20:21], s[10:11], 2
	v_ashrrev_i32_e32 v17, 31, v16
	v_lshlrev_b64 v[19:20], 2, v[16:17]
	s_waitcnt vmcnt(0)
	v_lshlrev_b32_e32 v17, 4, v5
	v_add_co_u32 v5, vcc_lo, v6, v19
	v_add_co_ci_u32_e64 v6, null, v7, v20, vcc_lo
	v_add_co_u32 v5, vcc_lo, v5, s20
	v_add_co_ci_u32_e64 v6, null, s21, v6, vcc_lo
	;; [unrolled: 2-line block ×3, first 2 shown]
	flat_load_dwordx4 v[19:22], v[5:6]
	s_waitcnt vmcnt(0) lgkmcnt(0)
	ds_write_b128 v17, v[19:22]
.LBB239_5:
	s_or_b32 exec_lo, exec_lo, s6
	s_waitcnt vmcnt(0)
	v_sub_nc_u32_e32 v5, 0, v3
	v_mul_lo_u32 v6, v1, v4
	v_max_i32_e32 v13, v3, v5
	v_sub_nc_u32_e32 v6, s4, v6
	v_cvt_f32_u32_e32 v5, v13
	buffer_store_dword v13, off, s[0:3], s32 offset:228 ; 4-byte Folded Spill
	s_mov_b32 s4, exec_lo
	v_sub_nc_u32_e32 v17, v6, v4
	v_rcp_iflag_f32_e32 v5, v5
	v_cmp_ge_u32_e32 vcc_lo, v6, v4
	v_cndmask_b32_e32 v6, v6, v17, vcc_lo
	v_mul_f32_e32 v5, 0x4f7ffffe, v5
	v_cvt_u32_f32_e32 v7, v5
	v_sub_nc_u32_e32 v5, 0, v13
	v_add_nc_u32_e32 v13, 1, v1
	v_mul_lo_u32 v16, v5, v7
	buffer_load_dword v5, off, s[0:3], s32 offset:208 ; 4-byte Folded Reload
	v_cndmask_b32_e32 v1, v1, v13, vcc_lo
	v_cmp_ge_u32_e32 vcc_lo, v6, v4
	v_add_nc_u32_e32 v13, 1, v1
	v_mul_hi_u32 v19, v7, v16
	v_xor_b32_e32 v16, s5, v0
	v_cndmask_b32_e32 v0, v1, v13, vcc_lo
	v_add_nc_u32_e32 v1, v7, v19
	v_xor_b32_e32 v6, v0, v16
	buffer_store_dword v1, off, s[0:3], s32 offset:248 ; 4-byte Folded Spill
	s_waitcnt vmcnt(0) lgkmcnt(0)
	s_waitcnt_vscnt null, 0x0
	s_barrier
	buffer_gl0_inv
	v_add_nc_u32_e32 v5, -1, v5
	v_sub_nc_u32_e32 v17, 0, v5
	v_max_i32_e32 v4, v5, v17
	v_mad_u64_u32 v[0:1], null, v4, v1, 0
	v_sub_nc_u32_e32 v0, v6, v16
                                        ; implicit-def: $vgpr6
	buffer_store_dword v6, off, s[0:3], s32 offset:232 ; 4-byte Folded Spill
	buffer_store_dword v7, off, s[0:3], s32 offset:236 ; 4-byte Folded Spill
	v_cmpx_gt_i32_e32 0, v2
	s_xor_b32 s4, exec_lo, s4
	s_cbranch_execz .LBB239_7
; %bb.6:
	v_mad_u64_u32 v[6:7], null, v28, v12, v[0:1]
                                        ; implicit-def: $vgpr28
	v_mul_lo_u32 v2, v6, v2
	v_sub_nc_u32_e32 v2, 1, v2
	buffer_store_dword v2, off, s[0:3], s32 offset:232 ; 4-byte Folded Spill
	buffer_store_dword v3, off, s[0:3], s32 offset:236 ; 4-byte Folded Spill
                                        ; implicit-def: $vgpr2
.LBB239_7:
	s_or_saveexec_b32 s4, s4
	v_ashrrev_i32_e32 v5, 31, v5
	v_ashrrev_i32_e32 v3, 31, v3
	buffer_store_dword v3, off, s[0:3], s32 offset:240 ; 4-byte Folded Spill
	s_xor_b32 exec_lo, exec_lo, s4
	s_cbranch_execz .LBB239_9
; %bb.8:
	v_mad_u64_u32 v[6:7], null, s15, v28, s[12:13]
	v_mad_u64_u32 v[2:3], null, v6, v2, 1
	buffer_store_dword v2, off, s[0:3], s32 offset:232 ; 4-byte Folded Spill
	buffer_store_dword v3, off, s[0:3], s32 offset:236 ; 4-byte Folded Spill
.LBB239_9:
	s_or_b32 exec_lo, exec_lo, s4
	buffer_load_dword v16, off, s[0:3], s32 offset:228 ; 4-byte Folded Reload
	s_clause 0x1
	s_load_dword s20, s[8:9], 0x14
	s_load_dword s11, s[8:9], 0x8
	s_clause 0x2
	buffer_load_dword v3, off, s[0:3], s32 offset:208
	buffer_load_dword v7, off, s[0:3], s32 offset:240
	;; [unrolled: 1-line block ×3, first 2 shown]
	v_add_nc_u32_e32 v6, 1, v1
	s_lshl_b32 s13, s14, 4
	v_mov_b32_e32 v71, 0xff7fffff
	s_add_i32 s4, s13, 16
	v_sub_nc_u32_e32 v31, 0, v30
	s_waitcnt vmcnt(3)
	v_mul_lo_u32 v2, v1, v16
	s_waitcnt vmcnt(2)
	v_add_nc_u32_e32 v3, 31, v3
	s_waitcnt vmcnt(1)
	v_xor_b32_e32 v5, v5, v7
	s_waitcnt vmcnt(0)
	v_lshrrev_b32_e32 v17, 5, v13
	v_ashrrev_i32_e32 v7, 31, v3
	v_sub_nc_u32_e32 v4, v4, v2
	v_mul_lo_u32 v2, v18, s18
	buffer_store_dword v17, off, s[0:3], s32 offset:1480 ; 4-byte Folded Spill
	v_sub_nc_u32_e32 v12, v4, v16
	v_cmp_ge_u32_e32 vcc_lo, v4, v16
	v_cndmask_b32_e32 v1, v1, v6, vcc_lo
	v_cndmask_b32_e32 v4, v4, v12, vcc_lo
	v_lshrrev_b32_e32 v6, 27, v7
	v_and_b32_e32 v12, 31, v13
	v_mul_lo_u32 v13, v0, v23
	v_add_nc_u32_e32 v7, 1, v1
	v_cmp_ge_u32_e32 vcc_lo, v4, v16
	v_add_nc_u32_e32 v3, v3, v6
	v_add_nc_u32_e32 v4, s13, v17
	v_cndmask_b32_e32 v1, v1, v7, vcc_lo
	v_ashrrev_i32_e32 v16, 5, v3
	v_ashrrev_i32_e32 v3, 31, v2
	v_ashrrev_i32_e32 v34, 31, v13
	v_xor_b32_e32 v0, v1, v5
	v_lshl_add_u32 v1, v17, 5, s7
	v_lshlrev_b64 v[2:3], 2, v[2:3]
	v_sub_nc_u32_e32 v0, v0, v5
	v_ashrrev_i32_e32 v5, 31, v4
	buffer_store_dword v1, off, s[0:3], s32 offset:1500 ; 4-byte Folded Spill
	v_min_i32_e32 v1, s4, v16
	buffer_store_dword v2, off, s[0:3], s32 offset:1492 ; 4-byte Folded Spill
	buffer_store_dword v3, off, s[0:3], s32 offset:1496 ; 4-byte Folded Spill
	;; [unrolled: 1-line block ×5, first 2 shown]
	v_sub_nc_u32_e32 v0, v0, v29
	buffer_store_dword v0, off, s[0:3], s32 offset:252 ; 4-byte Folded Spill
	buffer_store_dword v12, off, s[0:3], s32 offset:924 ; 4-byte Folded Spill
	v_lshlrev_b32_e32 v12, 2, v12
	v_cmp_lt_i32_e64 s4, v4, v1
	s_mov_b32 s21, exec_lo
	s_and_b32 s5, s21, s4
	buffer_store_dword v15, off, s[0:3], s32 offset:1504 ; 4-byte Folded Spill
	s_mov_b32 exec_lo, s5
	s_cbranch_execz .LBB239_1041
; %bb.10:
	buffer_store_dword v16, off, s[0:3], s32 offset:1544 ; 4-byte Folded Spill
	buffer_store_dword v32, off, s[0:3], s32 offset:1536 ; 4-byte Folded Spill
	;; [unrolled: 1-line block ×9, first 2 shown]
	v_max_i32_e32 v10, v30, v31
	v_add_co_u32 v2, vcc_lo, v8, v13
	buffer_store_dword v13, off, s[0:3], s32 offset:1540 ; 4-byte Folded Spill
	buffer_store_dword v34, off, s[0:3], s32 offset:1552 ; 4-byte Folded Spill
	v_cvt_f32_u32_e32 v0, v10
	v_add_co_ci_u32_e64 v3, null, v9, v34, vcc_lo
	buffer_load_dword v7, off, s[0:3], s32 offset:924 ; 4-byte Folded Reload
	v_mov_b32_e32 v119, 0
	v_rcp_iflag_f32_e32 v4, v0
	s_clause 0x3
	buffer_load_dword v0, off, s[0:3], s32 offset:952
	buffer_load_dword v8, off, s[0:3], s32 offset:212
	;; [unrolled: 1-line block ×4, first 2 shown]
	buffer_store_dword v12, off, s[0:3], s32 offset:1556 ; 4-byte Folded Spill
	buffer_store_dword v10, off, s[0:3], s32 offset:840 ; 4-byte Folded Spill
	s_ashr_i32 s17, s16, 31
	s_getpc_b64 s[8:9]
	s_add_u32 s8, s8, llvm.amdgcn.dynlds.offset.table@rel32@lo+4
	s_addc_u32 s9, s9, llvm.amdgcn.dynlds.offset.table@rel32@hi+12
	s_lshl_b64 s[24:25], s[16:17], 2
	v_bfrev_b32_e32 v51, 1
	v_mul_f32_e32 v4, 0x4f7ffffe, v4
	s_add_u32 s8, s8, s24
	s_addc_u32 s9, s9, s25
	v_mov_b32_e32 v71, 0xff7fffff
	s_mov_b32 s22, 0
	v_cvt_u32_f32_e32 v4, v4
	s_waitcnt vmcnt(4)
	v_lshlrev_b32_e32 v5, 4, v7
	s_waitcnt vmcnt(3)
	v_cmp_neq_f32_e32 vcc_lo, 0, v0
	s_waitcnt vmcnt(1)
	v_lshlrev_b64 v[0:1], 2, v[8:9]
	s_waitcnt vmcnt(0)
	v_lshl_add_u32 v13, v6, 5, s7
	v_lshl_or_b32 v12, v6, 7, v12
	buffer_load_dword v6, off, s[0:3], s32 offset:208 ; 4-byte Folded Reload
	v_add_co_u32 v2, s5, v2, v5
	v_add_co_ci_u32_e64 v3, null, 0, v3, s5
	buffer_store_dword v2, off, s[0:3], s32 offset:956 ; 4-byte Folded Spill
	buffer_store_dword v3, off, s[0:3], s32 offset:960 ; 4-byte Folded Spill
	ds_read_b128 v[16:19], v119
	s_waitcnt lgkmcnt(0)
	buffer_store_dword v16, off, s[0:3], s32 offset:964 ; 4-byte Folded Spill
	buffer_store_dword v17, off, s[0:3], s32 offset:968 ; 4-byte Folded Spill
	buffer_store_dword v18, off, s[0:3], s32 offset:972 ; 4-byte Folded Spill
	buffer_store_dword v19, off, s[0:3], s32 offset:976 ; 4-byte Folded Spill
	ds_read_b128 v[16:19], v119 offset:16
	s_waitcnt lgkmcnt(0)
	buffer_store_dword v16, off, s[0:3], s32 offset:980 ; 4-byte Folded Spill
	buffer_store_dword v17, off, s[0:3], s32 offset:984 ; 4-byte Folded Spill
	buffer_store_dword v18, off, s[0:3], s32 offset:988 ; 4-byte Folded Spill
	buffer_store_dword v19, off, s[0:3], s32 offset:992 ; 4-byte Folded Spill
	ds_read_b128 v[16:19], v119 offset:32
	;; [unrolled: 6-line block ×5, first 2 shown]
	s_waitcnt lgkmcnt(0)
	buffer_store_dword v16, off, s[0:3], s32 offset:1044 ; 4-byte Folded Spill
	buffer_store_dword v17, off, s[0:3], s32 offset:1048 ; 4-byte Folded Spill
	;; [unrolled: 1-line block ×4, first 2 shown]
	s_waitcnt vmcnt(0)
	v_sub_nc_u32_e32 v6, v7, v6
	v_sub_nc_u32_e32 v7, 0, v10
	v_add_nc_u32_e32 v3, 1, v6
	v_mul_lo_u32 v2, v7, v4
	buffer_store_dword v3, off, s[0:3], s32 offset:1060 ; 4-byte Folded Spill
	s_clause 0x1
	buffer_load_dword v5, off, s[0:3], s32 offset:1492
	buffer_load_dword v6, off, s[0:3], s32 offset:1496
	s_load_dword s17, s[8:9], 0x0
	buffer_store_dword v14, off, s[0:3], s32 offset:1516 ; 4-byte Folded Spill
	v_mul_hi_u32 v2, v4, v2
	s_waitcnt vmcnt(1)
	v_add_co_u32 v0, s5, v5, v0
	s_waitcnt vmcnt(0)
	v_add_co_ci_u32_e64 v1, null, v6, v1, s5
	v_add_co_u32 v0, s5, v14, v0
	v_add_co_ci_u32_e64 v1, null, v15, v1, s5
	buffer_store_dword v0, off, s[0:3], s32 offset:220 ; 4-byte Folded Spill
	buffer_store_dword v1, off, s[0:3], s32 offset:224 ; 4-byte Folded Spill
	v_add_nc_u32_e32 v0, v4, v2
	v_mov_b32_e32 v1, 0x7f800001
	v_mov_b32_e32 v2, v8
	buffer_store_dword v0, off, s[0:3], s32 offset:844 ; 4-byte Folded Spill
	buffer_store_dword v0, off, s[0:3], s32 offset:200 ; 4-byte Folded Spill
	buffer_store_dword v1, off, s[0:3], s32 offset:204 ; 4-byte Folded Spill
	ds_read_b128 v[3:6], v119 offset:96
	s_waitcnt lgkmcnt(0)
	buffer_store_dword v3, off, s[0:3], s32 offset:1064 ; 4-byte Folded Spill
	buffer_store_dword v4, off, s[0:3], s32 offset:1068 ; 4-byte Folded Spill
	buffer_store_dword v5, off, s[0:3], s32 offset:1072 ; 4-byte Folded Spill
	buffer_store_dword v6, off, s[0:3], s32 offset:1076 ; 4-byte Folded Spill
	ds_read_b128 v[3:6], v119 offset:112
	s_waitcnt lgkmcnt(0)
	buffer_store_dword v3, off, s[0:3], s32 offset:1080 ; 4-byte Folded Spill
	;; [unrolled: 6-line block ×26, first 2 shown]
	buffer_store_dword v4, off, s[0:3], s32 offset:1468 ; 4-byte Folded Spill
	buffer_store_dword v5, off, s[0:3], s32 offset:1472 ; 4-byte Folded Spill
	;; [unrolled: 1-line block ×3, first 2 shown]
	s_branch .LBB239_16
.LBB239_11:                             ;   in Loop: Header=BB239_16 Depth=1
	s_or_b32 exec_lo, exec_lo, s26
	v_mov_b32_e32 v12, 24
	v_lshlrev_b32_e32 v14, 20, v118
	v_lshl_add_u32 v50, v50, 23, 0x3c000000
	v_lshlrev_b32_sdwa v68, v12, v83 dst_sel:DWORD dst_unused:UNUSED_PAD src0_sel:DWORD src1_sel:BYTE_3
	v_and_b32_e32 v68, 0x80000000, v68
	v_or3_b32 v69, v14, v68, v50
	v_mov_b32_e32 v68, v119
.LBB239_12:                             ;   in Loop: Header=BB239_16 Depth=1
	s_or_b32 exec_lo, exec_lo, s25
.LBB239_13:                             ;   in Loop: Header=BB239_16 Depth=1
	s_or_b32 exec_lo, exec_lo, s24
.LBB239_14:                             ;   in Loop: Header=BB239_16 Depth=1
	s_or_b32 exec_lo, exec_lo, s23
	v_or_b32_e32 v0, v10, v0
	v_or_b32_e32 v12, v53, v37
	;; [unrolled: 1-line block ×5, first 2 shown]
	buffer_store_dword v0, off, s[0:3], s32 offset:888 ; 4-byte Folded Spill
	v_or_b32_e32 v0, v19, v49
	buffer_store_dword v12, off, s[0:3], s32 offset:864 ; 4-byte Folded Spill
	v_or_b32_e32 v12, v52, v36
	;; [unrolled: 2-line block ×5, first 2 shown]
	v_or_b32_e32 v99, v42, v98
	v_or_b32_e32 v70, v113, v45
	buffer_store_dword v0, off, s[0:3], s32 offset:884 ; 4-byte Folded Spill
	v_or_b32_e32 v0, v23, v5
	buffer_store_dword v12, off, s[0:3], s32 offset:860 ; 4-byte Folded Spill
	v_or_b32_e32 v12, v30, v64
	v_or_b32_e32 v98, v112, v44
	;; [unrolled: 1-line block ×3, first 2 shown]
	buffer_store_dword v0, off, s[0:3], s32 offset:896 ; 4-byte Folded Spill
	v_or_b32_e32 v0, v35, v67
	buffer_store_dword v12, off, s[0:3], s32 offset:868 ; 4-byte Folded Spill
	v_or_b32_e32 v65, v58, v114
	v_or_b32_e32 v50, v75, v41
	v_or_b32_e32 v53, v74, v40
	buffer_store_dword v0, off, s[0:3], s32 offset:892 ; 4-byte Folded Spill
	v_or_b32_e32 v0, v34, v66
	v_or_b32_e32 v34, v91, v57
	v_or_b32_e32 v49, v47, v77
	v_or_b32_e32 v48, v90, v56
	v_or_b32_e32 v52, v46, v76
	buffer_store_dword v0, off, s[0:3], s32 offset:900 ; 4-byte Folded Spill
	v_or_b32_e32 v0, v127, v27
	v_or_b32_e32 v39, v39, v61
	;; [unrolled: 6-line block ×6, first 2 shown]
	v_or_b32_e32 v12, v9, v85
	v_or_b32_e32 v97, v97, v103
	;; [unrolled: 1-line block ×3, first 2 shown]
	buffer_store_dword v0, off, s[0:3], s32 offset:920 ; 4-byte Folded Spill
	s_clause 0x1
	buffer_load_dword v0, off, s[0:3], s32 offset:828
	buffer_load_dword v1, off, s[0:3], s32 offset:832
	v_or_b32_e32 v80, v54, v100
	v_or_b32_e32 v54, v69, v87
	;; [unrolled: 1-line block ×4, first 2 shown]
	s_waitcnt vmcnt(1)
	v_or_b32_e32 v113, v116, v0
	s_waitcnt vmcnt(0)
	v_or_b32_e32 v112, v117, v1
	s_clause 0x3
	buffer_load_dword v0, off, s[0:3], s32 offset:796
	buffer_load_dword v1, off, s[0:3], s32 offset:800
	buffer_load_dword v2, off, s[0:3], s32 offset:804
	buffer_load_dword v3, off, s[0:3], s32 offset:808
	s_waitcnt vmcnt(1)
	v_or_b32_e32 v117, v2, v0
	s_waitcnt vmcnt(0)
	v_or_b32_e32 v115, v3, v1
	s_clause 0x3
	buffer_load_dword v0, off, s[0:3], s32 offset:812
	buffer_load_dword v1, off, s[0:3], s32 offset:816
	buffer_load_dword v2, off, s[0:3], s32 offset:820
	buffer_load_dword v3, off, s[0:3], s32 offset:824
	;; [unrolled: 9-line block ×34, first 2 shown]
	v_mul_f32_e32 v9, v82, v9
	s_waitcnt vmcnt(1)
	v_or_b32_e32 v23, v0, v2
	s_waitcnt vmcnt(0)
	v_or_b32_e32 v29, v1, v3
	s_clause 0x1
	buffer_load_dword v0, off, s[0:3], s32 offset:260
	buffer_load_dword v1, off, s[0:3], s32 offset:264
	s_waitcnt vmcnt(1)
	v_or_b32_e32 v13, v0, v6
	s_waitcnt vmcnt(0)
	v_or_b32_e32 v17, v1, v7
	s_clause 0x7
	buffer_load_dword v0, off, s[0:3], s32 offset:268
	buffer_load_dword v1, off, s[0:3], s32 offset:272
	;; [unrolled: 1-line block ×8, first 2 shown]
	v_mul_f32_e32 v13, v82, v13
	s_waitcnt vmcnt(3)
	v_mul_f32_e32 v69, v4, v9
	v_or_b32_e32 v21, v0, v2
	v_or_b32_e32 v8, v1, v3
	s_clause 0x3
	buffer_load_dword v0, off, s[0:3], s32 offset:964
	buffer_load_dword v1, off, s[0:3], s32 offset:968
	;; [unrolled: 1-line block ×4, first 2 shown]
	v_mul_f32_e32 v9, v82, v81
	s_waitcnt vmcnt(6)
	v_mul_f32_e32 v81, v5, v9
	v_mul_f32_e32 v9, v82, v23
	s_waitcnt vmcnt(5)
	v_mul_f32_e32 v86, v6, v9
	;; [unrolled: 3-line block ×3, first 2 shown]
	v_mul_f32_e32 v7, v82, v84
	s_waitcnt vmcnt(3)
	v_fmac_f32_e32 v69, v0, v13
	v_mul_f32_e32 v13, v82, v17
	v_mul_f32_e32 v0, v82, v8
	s_waitcnt vmcnt(2)
	v_fmac_f32_e32 v81, v1, v13
	v_mul_f32_e32 v13, v82, v21
	s_waitcnt vmcnt(0)
	v_fmac_f32_e32 v87, v3, v0
	v_fmac_f32_e32 v86, v2, v13
	s_clause 0x3
	buffer_load_dword v0, off, s[0:3], s32 offset:996
	buffer_load_dword v1, off, s[0:3], s32 offset:1000
	;; [unrolled: 1-line block ×4, first 2 shown]
	s_waitcnt vmcnt(3)
	v_fmac_f32_e32 v69, v0, v7
	v_mul_f32_e32 v7, v82, v25
	v_mul_f32_e32 v0, v82, v27
	s_waitcnt vmcnt(2)
	v_fmac_f32_e32 v81, v1, v7
	v_mul_f32_e32 v7, v82, v71
	s_waitcnt vmcnt(0)
	v_fmac_f32_e32 v87, v3, v0
	v_mul_f32_e32 v0, v82, v85
	v_fmac_f32_e32 v86, v2, v7
	s_clause 0x3
	buffer_load_dword v1, off, s[0:3], s32 offset:1012
	buffer_load_dword v2, off, s[0:3], s32 offset:1016
	;; [unrolled: 1-line block ×4, first 2 shown]
	s_waitcnt vmcnt(3)
	v_fmac_f32_e32 v69, v1, v0
	v_mul_f32_e32 v0, v82, v66
	s_waitcnt vmcnt(2)
	v_fmac_f32_e32 v81, v2, v0
	v_mul_f32_e32 v0, v82, v24
	s_waitcnt vmcnt(1)
	v_fmac_f32_e32 v86, v3, v0
	v_mul_f32_e32 v0, v82, v103
	s_waitcnt vmcnt(0)
	v_fmac_f32_e32 v87, v4, v0
	s_clause 0x3
	buffer_load_dword v1, off, s[0:3], s32 offset:1028
	buffer_load_dword v2, off, s[0:3], s32 offset:1032
	buffer_load_dword v3, off, s[0:3], s32 offset:1036
	buffer_load_dword v4, off, s[0:3], s32 offset:1040
	v_mul_f32_e32 v0, v82, v127
	s_waitcnt vmcnt(3)
	v_fmac_f32_e32 v69, v1, v0
	v_mul_f32_e32 v0, v82, v126
	s_waitcnt vmcnt(2)
	v_fmac_f32_e32 v81, v2, v0
	v_mul_f32_e32 v0, v82, v67
	s_waitcnt vmcnt(1)
	v_fmac_f32_e32 v86, v3, v0
	v_mul_f32_e32 v0, v82, v102
	s_waitcnt vmcnt(0)
	v_fmac_f32_e32 v87, v4, v0
	s_clause 0x3
	buffer_load_dword v1, off, s[0:3], s32 offset:1044
	buffer_load_dword v2, off, s[0:3], s32 offset:1048
	buffer_load_dword v3, off, s[0:3], s32 offset:1052
	buffer_load_dword v4, off, s[0:3], s32 offset:1056
	v_mul_f32_e32 v0, v82, v123
	;; [unrolled: 17-line block ×21, first 2 shown]
	s_waitcnt vmcnt(3)
	v_fmac_f32_e32 v69, v1, v0
	v_mul_f32_e32 v0, v82, v20
	s_waitcnt vmcnt(2)
	v_fmac_f32_e32 v81, v2, v0
	v_mul_f32_e32 v0, v82, v26
	s_waitcnt vmcnt(1)
	v_fmac_f32_e32 v86, v3, v0
	buffer_load_dword v0, off, s[0:3], s32 offset:920 ; 4-byte Folded Reload
	s_waitcnt vmcnt(0)
	v_mul_f32_e32 v0, v82, v0
	v_fmac_f32_e32 v87, v4, v0
	s_clause 0x3
	buffer_load_dword v1, off, s[0:3], s32 offset:1368
	buffer_load_dword v2, off, s[0:3], s32 offset:1372
	;; [unrolled: 1-line block ×4, first 2 shown]
	v_mul_f32_e32 v0, v82, v18
	s_waitcnt vmcnt(3)
	v_fmac_f32_e32 v69, v1, v0
	buffer_load_dword v0, off, s[0:3], s32 offset:916 ; 4-byte Folded Reload
	s_waitcnt vmcnt(0)
	v_mul_f32_e32 v0, v82, v0
	v_fmac_f32_e32 v81, v2, v0
	v_mul_f32_e32 v0, v82, v10
	v_fmac_f32_e32 v86, v3, v0
	buffer_load_dword v0, off, s[0:3], s32 offset:912 ; 4-byte Folded Reload
	s_waitcnt vmcnt(0)
	v_mul_f32_e32 v0, v82, v0
	v_fmac_f32_e32 v87, v4, v0
	s_clause 0x4
	buffer_load_dword v0, off, s[0:3], s32 offset:908
	buffer_load_dword v1, off, s[0:3], s32 offset:1384
	;; [unrolled: 1-line block ×5, first 2 shown]
	s_waitcnt vmcnt(4)
	v_mul_f32_e32 v0, v82, v0
	s_waitcnt vmcnt(3)
	v_fmac_f32_e32 v69, v1, v0
	buffer_load_dword v0, off, s[0:3], s32 offset:904 ; 4-byte Folded Reload
	s_waitcnt vmcnt(0)
	v_mul_f32_e32 v0, v82, v0
	v_fmac_f32_e32 v81, v2, v0
	v_mul_f32_e32 v0, v82, v11
	v_fmac_f32_e32 v86, v3, v0
	;; [unrolled: 2-line block ×3, first 2 shown]
	s_clause 0x3
	buffer_load_dword v1, off, s[0:3], s32 offset:1400
	buffer_load_dword v2, off, s[0:3], s32 offset:1404
	;; [unrolled: 1-line block ×4, first 2 shown]
	v_mul_f32_e32 v0, v82, v14
	s_waitcnt vmcnt(3)
	v_fmac_f32_e32 v69, v1, v0
	v_mul_f32_e32 v0, v82, v30
	s_waitcnt vmcnt(2)
	v_fmac_f32_e32 v81, v2, v0
	;; [unrolled: 3-line block ×4, first 2 shown]
	s_clause 0x3
	buffer_load_dword v1, off, s[0:3], s32 offset:1416
	buffer_load_dword v2, off, s[0:3], s32 offset:1420
	;; [unrolled: 1-line block ×4, first 2 shown]
	v_mul_f32_e32 v0, v82, v37
	s_waitcnt vmcnt(3)
	v_fmac_f32_e32 v69, v1, v0
	buffer_load_dword v0, off, s[0:3], s32 offset:896 ; 4-byte Folded Reload
	s_waitcnt vmcnt(0)
	v_mul_f32_e32 v0, v82, v0
	v_fmac_f32_e32 v81, v2, v0
	buffer_load_dword v0, off, s[0:3], s32 offset:900 ; 4-byte Folded Reload
	s_waitcnt vmcnt(0)
	v_mul_f32_e32 v0, v82, v0
	;; [unrolled: 4-line block ×3, first 2 shown]
	v_fmac_f32_e32 v87, v4, v0
	s_clause 0x4
	buffer_load_dword v0, off, s[0:3], s32 offset:888
	buffer_load_dword v1, off, s[0:3], s32 offset:1432
	buffer_load_dword v2, off, s[0:3], s32 offset:1436
	buffer_load_dword v3, off, s[0:3], s32 offset:1440
	buffer_load_dword v4, off, s[0:3], s32 offset:1444
	s_waitcnt vmcnt(4)
	v_mul_f32_e32 v0, v82, v0
	s_waitcnt vmcnt(3)
	v_fmac_f32_e32 v69, v1, v0
	buffer_load_dword v0, off, s[0:3], s32 offset:880 ; 4-byte Folded Reload
	s_waitcnt vmcnt(0)
	v_mul_f32_e32 v0, v82, v0
	v_fmac_f32_e32 v81, v2, v0
	buffer_load_dword v0, off, s[0:3], s32 offset:884 ; 4-byte Folded Reload
	s_waitcnt vmcnt(0)
	v_mul_f32_e32 v0, v82, v0
	;; [unrolled: 4-line block ×3, first 2 shown]
	v_fmac_f32_e32 v87, v4, v0
	s_clause 0x4
	buffer_load_dword v0, off, s[0:3], s32 offset:872
	buffer_load_dword v1, off, s[0:3], s32 offset:1448
	;; [unrolled: 1-line block ×5, first 2 shown]
	s_waitcnt vmcnt(4)
	v_mul_f32_e32 v0, v82, v0
	s_waitcnt vmcnt(3)
	v_fmac_f32_e32 v69, v1, v0
	buffer_load_dword v0, off, s[0:3], s32 offset:864 ; 4-byte Folded Reload
	v_mul_f32_e32 v1, v82, v68
	s_waitcnt vmcnt(0)
	v_mul_f32_e32 v0, v82, v0
	v_fmac_f32_e32 v81, v2, v0
	s_clause 0x4
	buffer_load_dword v0, off, s[0:3], s32 offset:868
	buffer_load_dword v5, off, s[0:3], s32 offset:1464
	;; [unrolled: 1-line block ×5, first 2 shown]
	v_mul_f32_e32 v2, v82, v54
	s_waitcnt vmcnt(4)
	v_mul_f32_e32 v0, v82, v0
	v_fmac_f32_e32 v86, v3, v0
	v_mul_f32_e32 v0, v82, v80
	s_waitcnt vmcnt(1)
	v_fmac_f32_e32 v86, v7, v1
	v_fmac_f32_e32 v69, v5, v0
	v_mul_f32_e32 v0, v82, v55
	v_fmac_f32_e32 v81, v6, v0
	s_clause 0x2
	buffer_load_dword v0, off, s[0:3], s32 offset:860
	buffer_load_dword v13, off, s[0:3], s32 offset:848
	;; [unrolled: 1-line block ×3, first 2 shown]
	s_load_dword s23, s[8:9], 0x0
	s_clause 0x1
	buffer_load_dword v12, off, s[0:3], s32 offset:852
	buffer_load_dword v71, off, s[0:3], s32 offset:856
	s_waitcnt vmcnt(4)
	v_mul_f32_e32 v0, v82, v0
	s_waitcnt vmcnt(2)
	v_add_nc_u32_e32 v1, v1, v13
	v_fmac_f32_e32 v87, v4, v0
	v_cvt_f32_i32_e32 v1, v1
	v_add_f32_e32 v0, v69, v81
	v_fmac_f32_e32 v87, v8, v2
	buffer_load_dword v2, off, s[0:3], s32 offset:952 ; 4-byte Folded Reload
	v_add_f32_e32 v0, v86, v0
	v_add_f32_e32 v0, v87, v0
	s_waitcnt vmcnt(0)
	v_mul_f32_e32 v1, v2, v1
	buffer_load_dword v2, off, s[0:3], s32 offset:948 ; 4-byte Folded Reload
	v_cndmask_b32_e32 v1, 0, v1, vcc_lo
	s_waitcnt vmcnt(0)
	v_fmac_f32_e32 v1, v2, v0
	s_clause 0x1
	buffer_load_dword v0, off, s[0:3], s32 offset:924
	buffer_load_dword v2, off, s[0:3], s32 offset:208
	s_waitcnt vmcnt(1)
	v_add_nc_u32_e32 v0, v0, v13
	s_waitcnt vmcnt(0)
	v_cmp_lt_i32_e64 s5, v0, v2
	s_waitcnt lgkmcnt(0)
	v_add_nc_u32_e32 v0, s23, v12
	v_cndmask_b32_e64 v2, 0, v1, s5
	ds_write_b32 v0, v2
	v_max_f32_e32 v0, v71, v71
	v_max_f32_e32 v0, v0, v1
	v_cndmask_b32_e64 v71, v71, v0, s5
.LBB239_15:                             ;   in Loop: Header=BB239_16 Depth=1
	s_or_b32 exec_lo, exec_lo, s6
	s_clause 0x2
	buffer_load_dword v2, off, s[0:3], s32 offset:256
	buffer_load_dword v0, off, s[0:3], s32 offset:220
	;; [unrolled: 1-line block ×3, first 2 shown]
	v_add_nc_u32_e32 v13, 0x80, v13
	v_add_nc_u32_e32 v12, 0x200, v12
	s_waitcnt vmcnt(1)
	v_add_co_u32 v0, s5, v0, 16
	s_waitcnt vmcnt(0)
	v_add_co_ci_u32_e64 v1, null, 0, v1, s5
	v_add_nc_u32_e32 v2, 4, v2
	buffer_store_dword v0, off, s[0:3], s32 offset:220 ; 4-byte Folded Spill
	buffer_store_dword v1, off, s[0:3], s32 offset:224 ; 4-byte Folded Spill
	buffer_load_dword v0, off, s[0:3], s32 offset:244 ; 4-byte Folded Reload
	s_waitcnt vmcnt(0)
	v_cmp_ge_i32_e64 s5, v2, v0
	s_or_b32 s22, s5, s22
	s_andn2_b32 exec_lo, exec_lo, s22
	s_cbranch_execz .LBB239_1040
.LBB239_16:                             ; =>This Inner Loop Header: Depth=1
	s_clause 0x2
	buffer_load_dword v1, off, s[0:3], s32 offset:248
	buffer_load_dword v4, off, s[0:3], s32 offset:228
	;; [unrolled: 1-line block ×3, first 2 shown]
	v_sub_nc_u32_e32 v0, 0, v13
	buffer_store_dword v2, off, s[0:3], s32 offset:256 ; 4-byte Folded Spill
	v_max_i32_e32 v0, v13, v0
	s_waitcnt vmcnt(2)
	v_mul_hi_u32 v1, v0, v1
	s_waitcnt vmcnt(1)
	v_mul_lo_u32 v2, v1, v4
	v_sub_nc_u32_e32 v0, v0, v2
	v_add_nc_u32_e32 v2, 1, v1
	v_sub_nc_u32_e32 v3, v0, v4
	v_cmp_ge_u32_e64 s5, v0, v4
	v_cndmask_b32_e64 v1, v1, v2, s5
	v_cndmask_b32_e64 v0, v0, v3, s5
	v_ashrrev_i32_e32 v2, 31, v13
	v_add_nc_u32_e32 v3, 1, v1
	v_cmp_ge_u32_e64 s5, v0, v4
	s_waitcnt vmcnt(0)
	v_xor_b32_e32 v2, v2, v5
	v_cndmask_b32_e64 v0, v1, v3, s5
	v_xor_b32_e32 v0, v0, v2
	v_sub_nc_u32_e32 v0, v0, v2
	s_clause 0x3
	buffer_load_dword v1, off, s[0:3], s32 offset:232
	buffer_load_dword v2, off, s[0:3], s32 offset:236
	;; [unrolled: 1-line block ×4, first 2 shown]
	s_waitcnt vmcnt(3)
	v_add_nc_u32_e32 v1, v0, v1
	s_waitcnt vmcnt(2)
	v_sub_nc_u32_e32 v2, 0, v1
	v_max_i32_e32 v2, v1, v2
	v_ashrrev_i32_e32 v1, 31, v1
	s_waitcnt vmcnt(1)
	v_mul_hi_u32 v3, v2, v3
	s_waitcnt vmcnt(0)
	v_mul_lo_u32 v3, v3, v4
	v_sub_nc_u32_e32 v2, v2, v3
	v_sub_nc_u32_e32 v3, v2, v4
	v_cmp_ge_u32_e64 s5, v2, v4
	v_cndmask_b32_e64 v2, v2, v3, s5
	v_sub_nc_u32_e32 v3, v2, v4
	v_cmp_ge_u32_e64 s5, v2, v4
	v_cndmask_b32_e64 v2, v2, v3, s5
	v_xor_b32_e32 v2, v2, v1
	v_sub_nc_u32_e32 v1, v2, v1
	v_cmp_ne_u32_e64 s5, 0, v1
	buffer_load_dword v1, off, s[0:3], s32 offset:252 ; 4-byte Folded Reload
	s_waitcnt vmcnt(0)
	v_cmp_le_i32_e64 s6, v0, v1
	s_and_b32 s5, s5, s6
	s_and_saveexec_b32 s6, s5
	s_xor_b32 s5, exec_lo, s6
; %bb.17:                               ;   in Loop: Header=BB239_16 Depth=1
	v_add_nc_u32_e32 v0, s17, v12
	v_mov_b32_e32 v1, 0xff7fffff
	ds_write_b32 v0, v1
; %bb.18:                               ;   in Loop: Header=BB239_16 Depth=1
	s_andn2_saveexec_b32 s6, s5
	s_cbranch_execz .LBB239_15
; %bb.19:                               ;   in Loop: Header=BB239_16 Depth=1
	s_clause 0x1
	buffer_load_dword v0, off, s[0:3], s32 offset:220
	buffer_load_dword v1, off, s[0:3], s32 offset:224
	v_mov_b32_e32 v80, 0
	v_mov_b32_e32 v81, 0
	s_waitcnt vmcnt(0)
	flat_load_dword v0, v[0:1]
	s_clause 0x2
	buffer_load_dword v1, off, s[0:3], s32 offset:836
	buffer_load_dword v2, off, s[0:3], s32 offset:956
	;; [unrolled: 1-line block ×3, first 2 shown]
	s_waitcnt vmcnt(0) lgkmcnt(0)
	v_mad_i64_i32 v[0:1], null, v0, v1, v[2:3]
	flat_load_dword v2, v[0:1]
	s_clause 0x1
	buffer_load_dword v3, off, s[0:3], s32 offset:940
	buffer_load_dword v4, off, s[0:3], s32 offset:944
	s_waitcnt vmcnt(2) lgkmcnt(0)
	v_cmp_ne_u16_sdwa s5, v2, v119 src0_sel:BYTE_0 src1_sel:DWORD
	s_waitcnt vmcnt(0)
	flat_load_dword v82, v[3:4]
	v_mov_b32_e32 v3, 0
	v_mov_b32_e32 v4, 0
	buffer_store_dword v3, off, s[0:3], s32 offset:260 ; 4-byte Folded Spill
	buffer_store_dword v4, off, s[0:3], s32 offset:264 ; 4-byte Folded Spill
	s_and_saveexec_b32 s23, s5
	s_cbranch_execz .LBB239_27
; %bb.20:                               ;   in Loop: Header=BB239_16 Depth=1
	v_mov_b32_e32 v3, 0x80
	v_bfrev_b32_e32 v80, 1
	v_mov_b32_e32 v81, 0
	v_cmp_ne_u16_sdwa s5, v2, v3 src0_sel:BYTE_0 src1_sel:DWORD
	s_and_saveexec_b32 s24, s5
	s_cbranch_execz .LBB239_26
; %bb.21:                               ;   in Loop: Header=BB239_16 Depth=1
	v_mov_b32_e32 v80, 0x7f800001
	v_and_b32_e32 v4, 0x7f, v2
	v_mov_b32_e32 v81, 0
	s_mov_b32 s25, exec_lo
	v_cmpx_ne_u32_e32 0x7f, v4
	s_cbranch_execz .LBB239_25
; %bb.22:                               ;   in Loop: Header=BB239_16 Depth=1
	v_and_b32_e32 v118, 7, v2
	v_lshrrev_b32_e32 v3, 3, v4
	s_mov_b32 s26, exec_lo
	v_cmpx_gt_u32_e32 8, v4
; %bb.23:                               ;   in Loop: Header=BB239_16 Depth=1
	v_ffbh_u32_e32 v3, v118
	v_min_u32_e32 v3, 32, v3
	v_subrev_nc_u32_e32 v4, 28, v3
	v_sub_nc_u32_e32 v3, 29, v3
	v_lshlrev_b64 v[4:5], v4, v[118:119]
	v_and_b32_e32 v118, 7, v4
; %bb.24:                               ;   in Loop: Header=BB239_16 Depth=1
	s_or_b32 exec_lo, exec_lo, s26
	v_lshlrev_b32_e32 v4, 24, v2
	v_lshlrev_b32_e32 v5, 20, v118
	v_lshl_add_u32 v3, v3, 23, 0x3c000000
	v_and_b32_e32 v4, 0x80000000, v4
	v_or3_b32 v118, v5, v4, v3
	v_mov_b32_e32 v80, v118
	v_mov_b32_e32 v81, v119
.LBB239_25:                             ;   in Loop: Header=BB239_16 Depth=1
	s_or_b32 exec_lo, exec_lo, s25
.LBB239_26:                             ;   in Loop: Header=BB239_16 Depth=1
	s_or_b32 exec_lo, exec_lo, s24
.LBB239_27:                             ;   in Loop: Header=BB239_16 Depth=1
	s_or_b32 exec_lo, exec_lo, s23
	v_cmp_ne_u16_sdwa s5, v2, v119 src0_sel:BYTE_1 src1_sel:DWORD
	s_and_saveexec_b32 s23, s5
	s_cbranch_execz .LBB239_35
; %bb.28:                               ;   in Loop: Header=BB239_16 Depth=1
	v_mov_b32_e32 v3, 0x80
	v_mov_b32_e32 v50, v119
	buffer_store_dword v50, off, s[0:3], s32 offset:260 ; 4-byte Folded Spill
	buffer_store_dword v51, off, s[0:3], s32 offset:264 ; 4-byte Folded Spill
	v_cmp_ne_u16_sdwa s5, v2, v3 src0_sel:BYTE_1 src1_sel:DWORD
	s_and_saveexec_b32 s24, s5
	s_cbranch_execz .LBB239_34
; %bb.29:                               ;   in Loop: Header=BB239_16 Depth=1
	s_clause 0x1
	buffer_load_dword v5, off, s[0:3], s32 offset:200
	buffer_load_dword v6, off, s[0:3], s32 offset:204
	v_mov_b32_e32 v3, 0xffff
	s_mov_b32 s25, exec_lo
	v_and_b32_sdwa v3, v3, v2 dst_sel:DWORD dst_unused:UNUSED_PAD src0_sel:DWORD src1_sel:BYTE_1
	v_and_b32_e32 v4, 0x7f, v3
	s_waitcnt vmcnt(0)
	v_mov_b32_e32 v7, v6
	v_mov_b32_e32 v6, v119
	;; [unrolled: 1-line block ×3, first 2 shown]
	buffer_store_dword v4, off, s[0:3], s32 offset:200 ; 4-byte Folded Spill
	buffer_store_dword v5, off, s[0:3], s32 offset:204 ; 4-byte Folded Spill
	;; [unrolled: 1-line block ×4, first 2 shown]
	v_cmpx_ne_u32_e32 0x7f, v4
	s_cbranch_execz .LBB239_33
; %bb.30:                               ;   in Loop: Header=BB239_16 Depth=1
	v_and_b32_e32 v118, 7, v3
	v_lshrrev_b32_e32 v3, 3, v4
	s_mov_b32 s26, exec_lo
	v_cmpx_gt_u32_e32 8, v4
; %bb.31:                               ;   in Loop: Header=BB239_16 Depth=1
	v_ffbh_u32_e32 v3, v118
	v_min_u32_e32 v3, 32, v3
	v_subrev_nc_u32_e32 v4, 28, v3
	v_sub_nc_u32_e32 v3, 29, v3
	v_lshlrev_b64 v[4:5], v4, v[118:119]
	v_and_b32_e32 v118, 7, v4
; %bb.32:                               ;   in Loop: Header=BB239_16 Depth=1
	s_or_b32 exec_lo, exec_lo, s26
	v_lshlrev_b32_e32 v4, 16, v2
	v_lshlrev_b32_e32 v5, 20, v118
	v_lshl_add_u32 v3, v3, 23, 0x3c000000
	v_and_b32_e32 v4, 0x80000000, v4
	v_or3_b32 v4, v5, v4, v3
	v_mov_b32_e32 v3, v119
	buffer_store_dword v3, off, s[0:3], s32 offset:260 ; 4-byte Folded Spill
	buffer_store_dword v4, off, s[0:3], s32 offset:264 ; 4-byte Folded Spill
.LBB239_33:                             ;   in Loop: Header=BB239_16 Depth=1
	s_or_b32 exec_lo, exec_lo, s25
.LBB239_34:                             ;   in Loop: Header=BB239_16 Depth=1
	s_or_b32 exec_lo, exec_lo, s24
.LBB239_35:                             ;   in Loop: Header=BB239_16 Depth=1
	s_or_b32 exec_lo, exec_lo, s23
	v_mov_b32_e32 v4, 0
	v_mov_b32_e32 v5, 0
	;; [unrolled: 1-line block ×3, first 2 shown]
	s_mov_b32 s23, exec_lo
	buffer_store_dword v4, off, s[0:3], s32 offset:268 ; 4-byte Folded Spill
	buffer_store_dword v5, off, s[0:3], s32 offset:272 ; 4-byte Folded Spill
	v_mov_b32_e32 v4, 0
	v_and_b32_sdwa v3, v2, v3 dst_sel:DWORD dst_unused:UNUSED_PAD src0_sel:WORD_1 src1_sel:DWORD
	v_mov_b32_e32 v5, 0
	buffer_store_dword v4, off, s[0:3], s32 offset:276 ; 4-byte Folded Spill
	buffer_store_dword v5, off, s[0:3], s32 offset:280 ; 4-byte Folded Spill
	v_cmpx_ne_u16_e32 0, v3
	s_cbranch_execz .LBB239_43
; %bb.36:                               ;   in Loop: Header=BB239_16 Depth=1
	v_cmp_ne_u16_e64 s5, 0x80, v3
	v_bfrev_b32_e32 v3, 1
	v_mov_b32_e32 v4, 0
	buffer_store_dword v3, off, s[0:3], s32 offset:276 ; 4-byte Folded Spill
	buffer_store_dword v4, off, s[0:3], s32 offset:280 ; 4-byte Folded Spill
	s_and_saveexec_b32 s24, s5
	s_cbranch_execz .LBB239_42
; %bb.37:                               ;   in Loop: Header=BB239_16 Depth=1
	v_mov_b32_e32 v5, 0x7f800001
	v_bfe_u32 v4, v2, 16, 7
	v_mov_b32_e32 v6, 0
	s_mov_b32 s25, exec_lo
	buffer_store_dword v5, off, s[0:3], s32 offset:276 ; 4-byte Folded Spill
	buffer_store_dword v6, off, s[0:3], s32 offset:280 ; 4-byte Folded Spill
	v_cmpx_ne_u32_e32 0x7f, v4
	s_cbranch_execz .LBB239_41
; %bb.38:                               ;   in Loop: Header=BB239_16 Depth=1
	v_mov_b32_e32 v3, 7
	s_mov_b32 s26, exec_lo
	v_and_b32_sdwa v118, v2, v3 dst_sel:DWORD dst_unused:UNUSED_PAD src0_sel:WORD_1 src1_sel:DWORD
	v_lshrrev_b32_e32 v3, 3, v4
	v_cmpx_gt_u32_e32 8, v4
; %bb.39:                               ;   in Loop: Header=BB239_16 Depth=1
	v_ffbh_u32_e32 v3, v118
	v_min_u32_e32 v3, 32, v3
	v_subrev_nc_u32_e32 v4, 28, v3
	v_sub_nc_u32_e32 v3, 29, v3
	v_lshlrev_b64 v[4:5], v4, v[118:119]
	v_and_b32_e32 v118, 7, v4
; %bb.40:                               ;   in Loop: Header=BB239_16 Depth=1
	s_or_b32 exec_lo, exec_lo, s26
	v_mov_b32_e32 v4, 24
	v_lshlrev_b32_e32 v5, 20, v118
	v_lshl_add_u32 v3, v3, 23, 0x3c000000
	v_lshlrev_b32_sdwa v4, v4, v2 dst_sel:DWORD dst_unused:UNUSED_PAD src0_sel:DWORD src1_sel:WORD_1
	v_and_b32_e32 v4, 0x80000000, v4
	v_or3_b32 v118, v5, v4, v3
	buffer_store_dword v118, off, s[0:3], s32 offset:276 ; 4-byte Folded Spill
	buffer_store_dword v119, off, s[0:3], s32 offset:280 ; 4-byte Folded Spill
.LBB239_41:                             ;   in Loop: Header=BB239_16 Depth=1
	s_or_b32 exec_lo, exec_lo, s25
.LBB239_42:                             ;   in Loop: Header=BB239_16 Depth=1
	s_or_b32 exec_lo, exec_lo, s24
.LBB239_43:                             ;   in Loop: Header=BB239_16 Depth=1
	s_or_b32 exec_lo, exec_lo, s23
	s_mov_b32 s23, exec_lo
	v_cmpx_lt_u32_e32 0xffffff, v2
	s_cbranch_execz .LBB239_51
; %bb.44:                               ;   in Loop: Header=BB239_16 Depth=1
	v_mov_b32_e32 v3, 0x80
	v_mov_b32_e32 v50, v119
	buffer_store_dword v50, off, s[0:3], s32 offset:268 ; 4-byte Folded Spill
	buffer_store_dword v51, off, s[0:3], s32 offset:272 ; 4-byte Folded Spill
	v_cmp_ne_u32_sdwa s5, v2, v3 src0_sel:BYTE_3 src1_sel:DWORD
	s_and_saveexec_b32 s24, s5
	s_cbranch_execz .LBB239_50
; %bb.45:                               ;   in Loop: Header=BB239_16 Depth=1
	s_clause 0x1
	buffer_load_dword v5, off, s[0:3], s32 offset:200
	buffer_load_dword v6, off, s[0:3], s32 offset:204
	v_bfe_u32 v4, v2, 24, 7
	s_waitcnt vmcnt(1)
	v_mov_b32_e32 v5, v119
	s_mov_b32 s25, exec_lo
	s_waitcnt vmcnt(0)
	v_mov_b32_e32 v3, v6
	buffer_store_dword v2, off, s[0:3], s32 offset:200 ; 4-byte Folded Spill
	buffer_store_dword v3, off, s[0:3], s32 offset:204 ; 4-byte Folded Spill
	;; [unrolled: 1-line block ×4, first 2 shown]
	v_cmpx_ne_u32_e32 0x7f, v4
	s_cbranch_execz .LBB239_49
; %bb.46:                               ;   in Loop: Header=BB239_16 Depth=1
	v_mov_b32_e32 v3, 7
	s_mov_b32 s26, exec_lo
	v_and_b32_sdwa v118, v2, v3 dst_sel:DWORD dst_unused:UNUSED_PAD src0_sel:BYTE_3 src1_sel:DWORD
	v_lshrrev_b32_e32 v3, 3, v4
	v_cmpx_gt_u32_e32 8, v4
; %bb.47:                               ;   in Loop: Header=BB239_16 Depth=1
	v_ffbh_u32_e32 v3, v118
	v_min_u32_e32 v3, 32, v3
	v_subrev_nc_u32_e32 v4, 28, v3
	v_sub_nc_u32_e32 v3, 29, v3
	v_lshlrev_b64 v[4:5], v4, v[118:119]
	v_and_b32_e32 v118, 7, v4
; %bb.48:                               ;   in Loop: Header=BB239_16 Depth=1
	s_or_b32 exec_lo, exec_lo, s26
	v_mov_b32_e32 v4, 24
	v_lshl_add_u32 v3, v3, 23, 0x3c000000
	v_lshlrev_b32_sdwa v2, v4, v2 dst_sel:DWORD dst_unused:UNUSED_PAD src0_sel:DWORD src1_sel:BYTE_3
	v_lshlrev_b32_e32 v4, 20, v118
	v_and_b32_e32 v2, 0x80000000, v2
	v_or3_b32 v3, v4, v2, v3
	v_mov_b32_e32 v2, v119
	buffer_store_dword v2, off, s[0:3], s32 offset:268 ; 4-byte Folded Spill
	buffer_store_dword v3, off, s[0:3], s32 offset:272 ; 4-byte Folded Spill
.LBB239_49:                             ;   in Loop: Header=BB239_16 Depth=1
	s_or_b32 exec_lo, exec_lo, s25
.LBB239_50:                             ;   in Loop: Header=BB239_16 Depth=1
	s_or_b32 exec_lo, exec_lo, s24
.LBB239_51:                             ;   in Loop: Header=BB239_16 Depth=1
	s_or_b32 exec_lo, exec_lo, s23
	flat_load_dword v2, v[0:1] offset:4
	v_mov_b32_e32 v3, 0
	v_mov_b32_e32 v4, 0
	buffer_store_dword v3, off, s[0:3], s32 offset:292 ; 4-byte Folded Spill
	buffer_store_dword v4, off, s[0:3], s32 offset:296 ; 4-byte Folded Spill
	v_mov_b32_e32 v3, 0
	v_mov_b32_e32 v4, 0
	buffer_store_dword v3, off, s[0:3], s32 offset:284 ; 4-byte Folded Spill
	buffer_store_dword v4, off, s[0:3], s32 offset:288 ; 4-byte Folded Spill
	s_waitcnt vmcnt(0) lgkmcnt(0)
	v_cmp_ne_u16_sdwa s5, v2, v119 src0_sel:BYTE_0 src1_sel:DWORD
	s_and_saveexec_b32 s23, s5
	s_cbranch_execz .LBB239_59
; %bb.52:                               ;   in Loop: Header=BB239_16 Depth=1
	v_bfrev_b32_e32 v3, 1
	v_mov_b32_e32 v4, 0
	buffer_store_dword v3, off, s[0:3], s32 offset:284 ; 4-byte Folded Spill
	buffer_store_dword v4, off, s[0:3], s32 offset:288 ; 4-byte Folded Spill
	v_mov_b32_e32 v3, 0x80
	v_cmp_ne_u16_sdwa s5, v2, v3 src0_sel:BYTE_0 src1_sel:DWORD
	s_and_saveexec_b32 s24, s5
	s_cbranch_execz .LBB239_58
; %bb.53:                               ;   in Loop: Header=BB239_16 Depth=1
	v_mov_b32_e32 v5, 0x7f800001
	v_and_b32_e32 v4, 0x7f, v2
	v_mov_b32_e32 v6, 0
	s_mov_b32 s25, exec_lo
	buffer_store_dword v5, off, s[0:3], s32 offset:284 ; 4-byte Folded Spill
	buffer_store_dword v6, off, s[0:3], s32 offset:288 ; 4-byte Folded Spill
	v_cmpx_ne_u32_e32 0x7f, v4
	s_cbranch_execz .LBB239_57
; %bb.54:                               ;   in Loop: Header=BB239_16 Depth=1
	v_and_b32_e32 v118, 7, v2
	v_lshrrev_b32_e32 v3, 3, v4
	s_mov_b32 s26, exec_lo
	v_cmpx_gt_u32_e32 8, v4
; %bb.55:                               ;   in Loop: Header=BB239_16 Depth=1
	v_ffbh_u32_e32 v3, v118
	v_min_u32_e32 v3, 32, v3
	v_subrev_nc_u32_e32 v4, 28, v3
	v_sub_nc_u32_e32 v3, 29, v3
	v_lshlrev_b64 v[4:5], v4, v[118:119]
	v_and_b32_e32 v118, 7, v4
; %bb.56:                               ;   in Loop: Header=BB239_16 Depth=1
	s_or_b32 exec_lo, exec_lo, s26
	v_lshlrev_b32_e32 v4, 24, v2
	v_lshlrev_b32_e32 v5, 20, v118
	v_lshl_add_u32 v3, v3, 23, 0x3c000000
	v_and_b32_e32 v4, 0x80000000, v4
	v_or3_b32 v118, v5, v4, v3
	buffer_store_dword v118, off, s[0:3], s32 offset:284 ; 4-byte Folded Spill
	buffer_store_dword v119, off, s[0:3], s32 offset:288 ; 4-byte Folded Spill
.LBB239_57:                             ;   in Loop: Header=BB239_16 Depth=1
	s_or_b32 exec_lo, exec_lo, s25
.LBB239_58:                             ;   in Loop: Header=BB239_16 Depth=1
	s_or_b32 exec_lo, exec_lo, s24
.LBB239_59:                             ;   in Loop: Header=BB239_16 Depth=1
	s_or_b32 exec_lo, exec_lo, s23
	v_cmp_ne_u16_sdwa s5, v2, v119 src0_sel:BYTE_1 src1_sel:DWORD
	s_and_saveexec_b32 s23, s5
	s_cbranch_execz .LBB239_67
; %bb.60:                               ;   in Loop: Header=BB239_16 Depth=1
	v_mov_b32_e32 v3, 0x80
	v_mov_b32_e32 v50, v119
	buffer_store_dword v50, off, s[0:3], s32 offset:292 ; 4-byte Folded Spill
	buffer_store_dword v51, off, s[0:3], s32 offset:296 ; 4-byte Folded Spill
	v_cmp_ne_u16_sdwa s5, v2, v3 src0_sel:BYTE_1 src1_sel:DWORD
	s_and_saveexec_b32 s24, s5
	s_cbranch_execz .LBB239_66
; %bb.61:                               ;   in Loop: Header=BB239_16 Depth=1
	s_clause 0x1
	buffer_load_dword v5, off, s[0:3], s32 offset:200
	buffer_load_dword v6, off, s[0:3], s32 offset:204
	v_mov_b32_e32 v3, 0xffff
	s_mov_b32 s25, exec_lo
	v_and_b32_sdwa v3, v3, v2 dst_sel:DWORD dst_unused:UNUSED_PAD src0_sel:DWORD src1_sel:BYTE_1
	v_and_b32_e32 v4, 0x7f, v3
	s_waitcnt vmcnt(0)
	v_mov_b32_e32 v7, v6
	v_mov_b32_e32 v6, v119
	;; [unrolled: 1-line block ×3, first 2 shown]
	buffer_store_dword v4, off, s[0:3], s32 offset:200 ; 4-byte Folded Spill
	buffer_store_dword v5, off, s[0:3], s32 offset:204 ; 4-byte Folded Spill
	;; [unrolled: 1-line block ×4, first 2 shown]
	v_cmpx_ne_u32_e32 0x7f, v4
	s_cbranch_execz .LBB239_65
; %bb.62:                               ;   in Loop: Header=BB239_16 Depth=1
	v_and_b32_e32 v118, 7, v3
	v_lshrrev_b32_e32 v3, 3, v4
	s_mov_b32 s26, exec_lo
	v_cmpx_gt_u32_e32 8, v4
; %bb.63:                               ;   in Loop: Header=BB239_16 Depth=1
	v_ffbh_u32_e32 v3, v118
	v_min_u32_e32 v3, 32, v3
	v_subrev_nc_u32_e32 v4, 28, v3
	v_sub_nc_u32_e32 v3, 29, v3
	v_lshlrev_b64 v[4:5], v4, v[118:119]
	v_and_b32_e32 v118, 7, v4
; %bb.64:                               ;   in Loop: Header=BB239_16 Depth=1
	s_or_b32 exec_lo, exec_lo, s26
	v_lshlrev_b32_e32 v4, 16, v2
	v_lshlrev_b32_e32 v5, 20, v118
	v_lshl_add_u32 v3, v3, 23, 0x3c000000
	v_and_b32_e32 v4, 0x80000000, v4
	v_or3_b32 v4, v5, v4, v3
	v_mov_b32_e32 v3, v119
	buffer_store_dword v3, off, s[0:3], s32 offset:292 ; 4-byte Folded Spill
	buffer_store_dword v4, off, s[0:3], s32 offset:296 ; 4-byte Folded Spill
.LBB239_65:                             ;   in Loop: Header=BB239_16 Depth=1
	s_or_b32 exec_lo, exec_lo, s25
.LBB239_66:                             ;   in Loop: Header=BB239_16 Depth=1
	s_or_b32 exec_lo, exec_lo, s24
.LBB239_67:                             ;   in Loop: Header=BB239_16 Depth=1
	s_or_b32 exec_lo, exec_lo, s23
	v_mov_b32_e32 v4, 0
	v_mov_b32_e32 v5, 0
	;; [unrolled: 1-line block ×3, first 2 shown]
	s_mov_b32 s23, exec_lo
	buffer_store_dword v4, off, s[0:3], s32 offset:300 ; 4-byte Folded Spill
	buffer_store_dword v5, off, s[0:3], s32 offset:304 ; 4-byte Folded Spill
	v_mov_b32_e32 v4, 0
	v_and_b32_sdwa v3, v2, v3 dst_sel:DWORD dst_unused:UNUSED_PAD src0_sel:WORD_1 src1_sel:DWORD
	v_mov_b32_e32 v5, 0
	buffer_store_dword v4, off, s[0:3], s32 offset:308 ; 4-byte Folded Spill
	buffer_store_dword v5, off, s[0:3], s32 offset:312 ; 4-byte Folded Spill
	v_cmpx_ne_u16_e32 0, v3
	s_cbranch_execz .LBB239_75
; %bb.68:                               ;   in Loop: Header=BB239_16 Depth=1
	v_cmp_ne_u16_e64 s5, 0x80, v3
	v_bfrev_b32_e32 v3, 1
	v_mov_b32_e32 v4, 0
	buffer_store_dword v3, off, s[0:3], s32 offset:308 ; 4-byte Folded Spill
	buffer_store_dword v4, off, s[0:3], s32 offset:312 ; 4-byte Folded Spill
	s_and_saveexec_b32 s24, s5
	s_cbranch_execz .LBB239_74
; %bb.69:                               ;   in Loop: Header=BB239_16 Depth=1
	v_mov_b32_e32 v5, 0x7f800001
	v_bfe_u32 v4, v2, 16, 7
	v_mov_b32_e32 v6, 0
	s_mov_b32 s25, exec_lo
	buffer_store_dword v5, off, s[0:3], s32 offset:308 ; 4-byte Folded Spill
	buffer_store_dword v6, off, s[0:3], s32 offset:312 ; 4-byte Folded Spill
	v_cmpx_ne_u32_e32 0x7f, v4
	s_cbranch_execz .LBB239_73
; %bb.70:                               ;   in Loop: Header=BB239_16 Depth=1
	v_mov_b32_e32 v3, 7
	s_mov_b32 s26, exec_lo
	v_and_b32_sdwa v118, v2, v3 dst_sel:DWORD dst_unused:UNUSED_PAD src0_sel:WORD_1 src1_sel:DWORD
	v_lshrrev_b32_e32 v3, 3, v4
	v_cmpx_gt_u32_e32 8, v4
; %bb.71:                               ;   in Loop: Header=BB239_16 Depth=1
	v_ffbh_u32_e32 v3, v118
	v_min_u32_e32 v3, 32, v3
	v_subrev_nc_u32_e32 v4, 28, v3
	v_sub_nc_u32_e32 v3, 29, v3
	v_lshlrev_b64 v[4:5], v4, v[118:119]
	v_and_b32_e32 v118, 7, v4
; %bb.72:                               ;   in Loop: Header=BB239_16 Depth=1
	s_or_b32 exec_lo, exec_lo, s26
	v_mov_b32_e32 v4, 24
	v_lshlrev_b32_e32 v5, 20, v118
	v_lshl_add_u32 v3, v3, 23, 0x3c000000
	v_lshlrev_b32_sdwa v4, v4, v2 dst_sel:DWORD dst_unused:UNUSED_PAD src0_sel:DWORD src1_sel:WORD_1
	v_and_b32_e32 v4, 0x80000000, v4
	v_or3_b32 v118, v5, v4, v3
	buffer_store_dword v118, off, s[0:3], s32 offset:308 ; 4-byte Folded Spill
	buffer_store_dword v119, off, s[0:3], s32 offset:312 ; 4-byte Folded Spill
.LBB239_73:                             ;   in Loop: Header=BB239_16 Depth=1
	s_or_b32 exec_lo, exec_lo, s25
.LBB239_74:                             ;   in Loop: Header=BB239_16 Depth=1
	s_or_b32 exec_lo, exec_lo, s24
.LBB239_75:                             ;   in Loop: Header=BB239_16 Depth=1
	s_or_b32 exec_lo, exec_lo, s23
	s_mov_b32 s23, exec_lo
	v_cmpx_lt_u32_e32 0xffffff, v2
	s_cbranch_execz .LBB239_83
; %bb.76:                               ;   in Loop: Header=BB239_16 Depth=1
	v_mov_b32_e32 v3, 0x80
	v_mov_b32_e32 v50, v119
	buffer_store_dword v50, off, s[0:3], s32 offset:300 ; 4-byte Folded Spill
	buffer_store_dword v51, off, s[0:3], s32 offset:304 ; 4-byte Folded Spill
	v_cmp_ne_u32_sdwa s5, v2, v3 src0_sel:BYTE_3 src1_sel:DWORD
	s_and_saveexec_b32 s24, s5
	s_cbranch_execz .LBB239_82
; %bb.77:                               ;   in Loop: Header=BB239_16 Depth=1
	s_clause 0x1
	buffer_load_dword v5, off, s[0:3], s32 offset:200
	buffer_load_dword v6, off, s[0:3], s32 offset:204
	v_bfe_u32 v4, v2, 24, 7
	s_waitcnt vmcnt(1)
	v_mov_b32_e32 v5, v119
	s_mov_b32 s25, exec_lo
	s_waitcnt vmcnt(0)
	v_mov_b32_e32 v3, v6
	buffer_store_dword v2, off, s[0:3], s32 offset:200 ; 4-byte Folded Spill
	buffer_store_dword v3, off, s[0:3], s32 offset:204 ; 4-byte Folded Spill
	;; [unrolled: 1-line block ×4, first 2 shown]
	v_cmpx_ne_u32_e32 0x7f, v4
	s_cbranch_execz .LBB239_81
; %bb.78:                               ;   in Loop: Header=BB239_16 Depth=1
	v_mov_b32_e32 v3, 7
	s_mov_b32 s26, exec_lo
	v_and_b32_sdwa v118, v2, v3 dst_sel:DWORD dst_unused:UNUSED_PAD src0_sel:BYTE_3 src1_sel:DWORD
	v_lshrrev_b32_e32 v3, 3, v4
	v_cmpx_gt_u32_e32 8, v4
; %bb.79:                               ;   in Loop: Header=BB239_16 Depth=1
	v_ffbh_u32_e32 v3, v118
	v_min_u32_e32 v3, 32, v3
	v_subrev_nc_u32_e32 v4, 28, v3
	v_sub_nc_u32_e32 v3, 29, v3
	v_lshlrev_b64 v[4:5], v4, v[118:119]
	v_and_b32_e32 v118, 7, v4
; %bb.80:                               ;   in Loop: Header=BB239_16 Depth=1
	s_or_b32 exec_lo, exec_lo, s26
	v_mov_b32_e32 v4, 24
	v_lshl_add_u32 v3, v3, 23, 0x3c000000
	v_lshlrev_b32_sdwa v2, v4, v2 dst_sel:DWORD dst_unused:UNUSED_PAD src0_sel:DWORD src1_sel:BYTE_3
	v_lshlrev_b32_e32 v4, 20, v118
	v_and_b32_e32 v2, 0x80000000, v2
	v_or3_b32 v3, v4, v2, v3
	v_mov_b32_e32 v2, v119
	buffer_store_dword v2, off, s[0:3], s32 offset:300 ; 4-byte Folded Spill
	buffer_store_dword v3, off, s[0:3], s32 offset:304 ; 4-byte Folded Spill
.LBB239_81:                             ;   in Loop: Header=BB239_16 Depth=1
	s_or_b32 exec_lo, exec_lo, s25
.LBB239_82:                             ;   in Loop: Header=BB239_16 Depth=1
	s_or_b32 exec_lo, exec_lo, s24
.LBB239_83:                             ;   in Loop: Header=BB239_16 Depth=1
	s_or_b32 exec_lo, exec_lo, s23
	flat_load_dword v2, v[0:1] offset:8
	v_mov_b32_e32 v3, 0
	v_mov_b32_e32 v4, 0
	buffer_store_dword v3, off, s[0:3], s32 offset:324 ; 4-byte Folded Spill
	buffer_store_dword v4, off, s[0:3], s32 offset:328 ; 4-byte Folded Spill
	v_mov_b32_e32 v3, 0
	v_mov_b32_e32 v4, 0
	buffer_store_dword v3, off, s[0:3], s32 offset:316 ; 4-byte Folded Spill
	buffer_store_dword v4, off, s[0:3], s32 offset:320 ; 4-byte Folded Spill
	s_waitcnt vmcnt(0) lgkmcnt(0)
	v_cmp_ne_u16_sdwa s5, v2, v119 src0_sel:BYTE_0 src1_sel:DWORD
	s_and_saveexec_b32 s23, s5
	s_cbranch_execz .LBB239_91
; %bb.84:                               ;   in Loop: Header=BB239_16 Depth=1
	v_bfrev_b32_e32 v3, 1
	v_mov_b32_e32 v4, 0
	buffer_store_dword v3, off, s[0:3], s32 offset:316 ; 4-byte Folded Spill
	buffer_store_dword v4, off, s[0:3], s32 offset:320 ; 4-byte Folded Spill
	v_mov_b32_e32 v3, 0x80
	v_cmp_ne_u16_sdwa s5, v2, v3 src0_sel:BYTE_0 src1_sel:DWORD
	s_and_saveexec_b32 s24, s5
	s_cbranch_execz .LBB239_90
; %bb.85:                               ;   in Loop: Header=BB239_16 Depth=1
	v_mov_b32_e32 v5, 0x7f800001
	v_and_b32_e32 v4, 0x7f, v2
	v_mov_b32_e32 v6, 0
	s_mov_b32 s25, exec_lo
	buffer_store_dword v5, off, s[0:3], s32 offset:316 ; 4-byte Folded Spill
	buffer_store_dword v6, off, s[0:3], s32 offset:320 ; 4-byte Folded Spill
	v_cmpx_ne_u32_e32 0x7f, v4
	s_cbranch_execz .LBB239_89
; %bb.86:                               ;   in Loop: Header=BB239_16 Depth=1
	v_and_b32_e32 v118, 7, v2
	v_lshrrev_b32_e32 v3, 3, v4
	s_mov_b32 s26, exec_lo
	v_cmpx_gt_u32_e32 8, v4
; %bb.87:                               ;   in Loop: Header=BB239_16 Depth=1
	v_ffbh_u32_e32 v3, v118
	v_min_u32_e32 v3, 32, v3
	v_subrev_nc_u32_e32 v4, 28, v3
	v_sub_nc_u32_e32 v3, 29, v3
	v_lshlrev_b64 v[4:5], v4, v[118:119]
	v_and_b32_e32 v118, 7, v4
; %bb.88:                               ;   in Loop: Header=BB239_16 Depth=1
	s_or_b32 exec_lo, exec_lo, s26
	v_lshlrev_b32_e32 v4, 24, v2
	v_lshlrev_b32_e32 v5, 20, v118
	v_lshl_add_u32 v3, v3, 23, 0x3c000000
	v_and_b32_e32 v4, 0x80000000, v4
	v_or3_b32 v118, v5, v4, v3
	buffer_store_dword v118, off, s[0:3], s32 offset:316 ; 4-byte Folded Spill
	buffer_store_dword v119, off, s[0:3], s32 offset:320 ; 4-byte Folded Spill
.LBB239_89:                             ;   in Loop: Header=BB239_16 Depth=1
	s_or_b32 exec_lo, exec_lo, s25
.LBB239_90:                             ;   in Loop: Header=BB239_16 Depth=1
	s_or_b32 exec_lo, exec_lo, s24
.LBB239_91:                             ;   in Loop: Header=BB239_16 Depth=1
	s_or_b32 exec_lo, exec_lo, s23
	v_cmp_ne_u16_sdwa s5, v2, v119 src0_sel:BYTE_1 src1_sel:DWORD
	s_and_saveexec_b32 s23, s5
	s_cbranch_execz .LBB239_99
; %bb.92:                               ;   in Loop: Header=BB239_16 Depth=1
	v_mov_b32_e32 v3, 0x80
	v_mov_b32_e32 v50, v119
	buffer_store_dword v50, off, s[0:3], s32 offset:324 ; 4-byte Folded Spill
	buffer_store_dword v51, off, s[0:3], s32 offset:328 ; 4-byte Folded Spill
	v_cmp_ne_u16_sdwa s5, v2, v3 src0_sel:BYTE_1 src1_sel:DWORD
	s_and_saveexec_b32 s24, s5
	s_cbranch_execz .LBB239_98
; %bb.93:                               ;   in Loop: Header=BB239_16 Depth=1
	s_clause 0x1
	buffer_load_dword v5, off, s[0:3], s32 offset:200
	buffer_load_dword v6, off, s[0:3], s32 offset:204
	v_mov_b32_e32 v3, 0xffff
	s_mov_b32 s25, exec_lo
	v_and_b32_sdwa v3, v3, v2 dst_sel:DWORD dst_unused:UNUSED_PAD src0_sel:DWORD src1_sel:BYTE_1
	v_and_b32_e32 v4, 0x7f, v3
	s_waitcnt vmcnt(0)
	v_mov_b32_e32 v7, v6
	v_mov_b32_e32 v6, v119
	;; [unrolled: 1-line block ×3, first 2 shown]
	buffer_store_dword v4, off, s[0:3], s32 offset:200 ; 4-byte Folded Spill
	buffer_store_dword v5, off, s[0:3], s32 offset:204 ; 4-byte Folded Spill
	;; [unrolled: 1-line block ×4, first 2 shown]
	v_cmpx_ne_u32_e32 0x7f, v4
	s_cbranch_execz .LBB239_97
; %bb.94:                               ;   in Loop: Header=BB239_16 Depth=1
	v_and_b32_e32 v118, 7, v3
	v_lshrrev_b32_e32 v3, 3, v4
	s_mov_b32 s26, exec_lo
	v_cmpx_gt_u32_e32 8, v4
; %bb.95:                               ;   in Loop: Header=BB239_16 Depth=1
	v_ffbh_u32_e32 v3, v118
	v_min_u32_e32 v3, 32, v3
	v_subrev_nc_u32_e32 v4, 28, v3
	v_sub_nc_u32_e32 v3, 29, v3
	v_lshlrev_b64 v[4:5], v4, v[118:119]
	v_and_b32_e32 v118, 7, v4
; %bb.96:                               ;   in Loop: Header=BB239_16 Depth=1
	s_or_b32 exec_lo, exec_lo, s26
	v_lshlrev_b32_e32 v4, 16, v2
	v_lshlrev_b32_e32 v5, 20, v118
	v_lshl_add_u32 v3, v3, 23, 0x3c000000
	v_and_b32_e32 v4, 0x80000000, v4
	v_or3_b32 v4, v5, v4, v3
	v_mov_b32_e32 v3, v119
	buffer_store_dword v3, off, s[0:3], s32 offset:324 ; 4-byte Folded Spill
	buffer_store_dword v4, off, s[0:3], s32 offset:328 ; 4-byte Folded Spill
.LBB239_97:                             ;   in Loop: Header=BB239_16 Depth=1
	s_or_b32 exec_lo, exec_lo, s25
.LBB239_98:                             ;   in Loop: Header=BB239_16 Depth=1
	s_or_b32 exec_lo, exec_lo, s24
.LBB239_99:                             ;   in Loop: Header=BB239_16 Depth=1
	s_or_b32 exec_lo, exec_lo, s23
	v_mov_b32_e32 v4, 0
	v_mov_b32_e32 v5, 0
	;; [unrolled: 1-line block ×3, first 2 shown]
	s_mov_b32 s23, exec_lo
	buffer_store_dword v4, off, s[0:3], s32 offset:332 ; 4-byte Folded Spill
	buffer_store_dword v5, off, s[0:3], s32 offset:336 ; 4-byte Folded Spill
	v_mov_b32_e32 v4, 0
	v_and_b32_sdwa v3, v2, v3 dst_sel:DWORD dst_unused:UNUSED_PAD src0_sel:WORD_1 src1_sel:DWORD
	v_mov_b32_e32 v5, 0
	buffer_store_dword v4, off, s[0:3], s32 offset:340 ; 4-byte Folded Spill
	buffer_store_dword v5, off, s[0:3], s32 offset:344 ; 4-byte Folded Spill
	v_cmpx_ne_u16_e32 0, v3
	s_cbranch_execz .LBB239_107
; %bb.100:                              ;   in Loop: Header=BB239_16 Depth=1
	v_cmp_ne_u16_e64 s5, 0x80, v3
	v_bfrev_b32_e32 v3, 1
	v_mov_b32_e32 v4, 0
	buffer_store_dword v3, off, s[0:3], s32 offset:340 ; 4-byte Folded Spill
	buffer_store_dword v4, off, s[0:3], s32 offset:344 ; 4-byte Folded Spill
	s_and_saveexec_b32 s24, s5
	s_cbranch_execz .LBB239_106
; %bb.101:                              ;   in Loop: Header=BB239_16 Depth=1
	v_mov_b32_e32 v5, 0x7f800001
	v_bfe_u32 v4, v2, 16, 7
	v_mov_b32_e32 v6, 0
	s_mov_b32 s25, exec_lo
	buffer_store_dword v5, off, s[0:3], s32 offset:340 ; 4-byte Folded Spill
	buffer_store_dword v6, off, s[0:3], s32 offset:344 ; 4-byte Folded Spill
	v_cmpx_ne_u32_e32 0x7f, v4
	s_cbranch_execz .LBB239_105
; %bb.102:                              ;   in Loop: Header=BB239_16 Depth=1
	v_mov_b32_e32 v3, 7
	s_mov_b32 s26, exec_lo
	v_and_b32_sdwa v118, v2, v3 dst_sel:DWORD dst_unused:UNUSED_PAD src0_sel:WORD_1 src1_sel:DWORD
	v_lshrrev_b32_e32 v3, 3, v4
	v_cmpx_gt_u32_e32 8, v4
; %bb.103:                              ;   in Loop: Header=BB239_16 Depth=1
	v_ffbh_u32_e32 v3, v118
	v_min_u32_e32 v3, 32, v3
	v_subrev_nc_u32_e32 v4, 28, v3
	v_sub_nc_u32_e32 v3, 29, v3
	v_lshlrev_b64 v[4:5], v4, v[118:119]
	v_and_b32_e32 v118, 7, v4
; %bb.104:                              ;   in Loop: Header=BB239_16 Depth=1
	s_or_b32 exec_lo, exec_lo, s26
	v_mov_b32_e32 v4, 24
	v_lshlrev_b32_e32 v5, 20, v118
	v_lshl_add_u32 v3, v3, 23, 0x3c000000
	v_lshlrev_b32_sdwa v4, v4, v2 dst_sel:DWORD dst_unused:UNUSED_PAD src0_sel:DWORD src1_sel:WORD_1
	v_and_b32_e32 v4, 0x80000000, v4
	v_or3_b32 v118, v5, v4, v3
	buffer_store_dword v118, off, s[0:3], s32 offset:340 ; 4-byte Folded Spill
	buffer_store_dword v119, off, s[0:3], s32 offset:344 ; 4-byte Folded Spill
.LBB239_105:                            ;   in Loop: Header=BB239_16 Depth=1
	s_or_b32 exec_lo, exec_lo, s25
.LBB239_106:                            ;   in Loop: Header=BB239_16 Depth=1
	s_or_b32 exec_lo, exec_lo, s24
.LBB239_107:                            ;   in Loop: Header=BB239_16 Depth=1
	s_or_b32 exec_lo, exec_lo, s23
	s_mov_b32 s23, exec_lo
	v_cmpx_lt_u32_e32 0xffffff, v2
	s_cbranch_execz .LBB239_115
; %bb.108:                              ;   in Loop: Header=BB239_16 Depth=1
	v_mov_b32_e32 v3, 0x80
	v_mov_b32_e32 v50, v119
	buffer_store_dword v50, off, s[0:3], s32 offset:332 ; 4-byte Folded Spill
	buffer_store_dword v51, off, s[0:3], s32 offset:336 ; 4-byte Folded Spill
	v_cmp_ne_u32_sdwa s5, v2, v3 src0_sel:BYTE_3 src1_sel:DWORD
	s_and_saveexec_b32 s24, s5
	s_cbranch_execz .LBB239_114
; %bb.109:                              ;   in Loop: Header=BB239_16 Depth=1
	s_clause 0x1
	buffer_load_dword v5, off, s[0:3], s32 offset:200
	buffer_load_dword v6, off, s[0:3], s32 offset:204
	v_bfe_u32 v4, v2, 24, 7
	s_waitcnt vmcnt(1)
	v_mov_b32_e32 v5, v119
	s_mov_b32 s25, exec_lo
	s_waitcnt vmcnt(0)
	v_mov_b32_e32 v3, v6
	buffer_store_dword v2, off, s[0:3], s32 offset:200 ; 4-byte Folded Spill
	buffer_store_dword v3, off, s[0:3], s32 offset:204 ; 4-byte Folded Spill
	;; [unrolled: 1-line block ×4, first 2 shown]
	v_cmpx_ne_u32_e32 0x7f, v4
	s_cbranch_execz .LBB239_113
; %bb.110:                              ;   in Loop: Header=BB239_16 Depth=1
	v_mov_b32_e32 v3, 7
	s_mov_b32 s26, exec_lo
	v_and_b32_sdwa v118, v2, v3 dst_sel:DWORD dst_unused:UNUSED_PAD src0_sel:BYTE_3 src1_sel:DWORD
	v_lshrrev_b32_e32 v3, 3, v4
	v_cmpx_gt_u32_e32 8, v4
; %bb.111:                              ;   in Loop: Header=BB239_16 Depth=1
	v_ffbh_u32_e32 v3, v118
	v_min_u32_e32 v3, 32, v3
	v_subrev_nc_u32_e32 v4, 28, v3
	v_sub_nc_u32_e32 v3, 29, v3
	v_lshlrev_b64 v[4:5], v4, v[118:119]
	v_and_b32_e32 v118, 7, v4
; %bb.112:                              ;   in Loop: Header=BB239_16 Depth=1
	s_or_b32 exec_lo, exec_lo, s26
	v_mov_b32_e32 v4, 24
	v_lshl_add_u32 v3, v3, 23, 0x3c000000
	v_lshlrev_b32_sdwa v2, v4, v2 dst_sel:DWORD dst_unused:UNUSED_PAD src0_sel:DWORD src1_sel:BYTE_3
	v_lshlrev_b32_e32 v4, 20, v118
	v_and_b32_e32 v2, 0x80000000, v2
	v_or3_b32 v3, v4, v2, v3
	v_mov_b32_e32 v2, v119
	buffer_store_dword v2, off, s[0:3], s32 offset:332 ; 4-byte Folded Spill
	buffer_store_dword v3, off, s[0:3], s32 offset:336 ; 4-byte Folded Spill
.LBB239_113:                            ;   in Loop: Header=BB239_16 Depth=1
	s_or_b32 exec_lo, exec_lo, s25
.LBB239_114:                            ;   in Loop: Header=BB239_16 Depth=1
	s_or_b32 exec_lo, exec_lo, s24
.LBB239_115:                            ;   in Loop: Header=BB239_16 Depth=1
	s_or_b32 exec_lo, exec_lo, s23
	flat_load_dword v2, v[0:1] offset:12
	v_mov_b32_e32 v3, 0
	v_mov_b32_e32 v4, 0
	buffer_store_dword v3, off, s[0:3], s32 offset:356 ; 4-byte Folded Spill
	buffer_store_dword v4, off, s[0:3], s32 offset:360 ; 4-byte Folded Spill
	v_mov_b32_e32 v3, 0
	v_mov_b32_e32 v4, 0
	buffer_store_dword v3, off, s[0:3], s32 offset:348 ; 4-byte Folded Spill
	buffer_store_dword v4, off, s[0:3], s32 offset:352 ; 4-byte Folded Spill
	s_waitcnt vmcnt(0) lgkmcnt(0)
	v_cmp_ne_u16_sdwa s5, v2, v119 src0_sel:BYTE_0 src1_sel:DWORD
	s_and_saveexec_b32 s23, s5
	s_cbranch_execz .LBB239_123
; %bb.116:                              ;   in Loop: Header=BB239_16 Depth=1
	v_bfrev_b32_e32 v3, 1
	v_mov_b32_e32 v4, 0
	buffer_store_dword v3, off, s[0:3], s32 offset:348 ; 4-byte Folded Spill
	buffer_store_dword v4, off, s[0:3], s32 offset:352 ; 4-byte Folded Spill
	v_mov_b32_e32 v3, 0x80
	v_cmp_ne_u16_sdwa s5, v2, v3 src0_sel:BYTE_0 src1_sel:DWORD
	s_and_saveexec_b32 s24, s5
	s_cbranch_execz .LBB239_122
; %bb.117:                              ;   in Loop: Header=BB239_16 Depth=1
	v_mov_b32_e32 v5, 0x7f800001
	v_and_b32_e32 v4, 0x7f, v2
	v_mov_b32_e32 v6, 0
	s_mov_b32 s25, exec_lo
	buffer_store_dword v5, off, s[0:3], s32 offset:348 ; 4-byte Folded Spill
	buffer_store_dword v6, off, s[0:3], s32 offset:352 ; 4-byte Folded Spill
	v_cmpx_ne_u32_e32 0x7f, v4
	s_cbranch_execz .LBB239_121
; %bb.118:                              ;   in Loop: Header=BB239_16 Depth=1
	v_and_b32_e32 v118, 7, v2
	v_lshrrev_b32_e32 v3, 3, v4
	s_mov_b32 s26, exec_lo
	v_cmpx_gt_u32_e32 8, v4
; %bb.119:                              ;   in Loop: Header=BB239_16 Depth=1
	v_ffbh_u32_e32 v3, v118
	v_min_u32_e32 v3, 32, v3
	v_subrev_nc_u32_e32 v4, 28, v3
	v_sub_nc_u32_e32 v3, 29, v3
	v_lshlrev_b64 v[4:5], v4, v[118:119]
	v_and_b32_e32 v118, 7, v4
; %bb.120:                              ;   in Loop: Header=BB239_16 Depth=1
	s_or_b32 exec_lo, exec_lo, s26
	v_lshlrev_b32_e32 v4, 24, v2
	v_lshlrev_b32_e32 v5, 20, v118
	v_lshl_add_u32 v3, v3, 23, 0x3c000000
	v_and_b32_e32 v4, 0x80000000, v4
	v_or3_b32 v118, v5, v4, v3
	buffer_store_dword v118, off, s[0:3], s32 offset:348 ; 4-byte Folded Spill
	buffer_store_dword v119, off, s[0:3], s32 offset:352 ; 4-byte Folded Spill
.LBB239_121:                            ;   in Loop: Header=BB239_16 Depth=1
	s_or_b32 exec_lo, exec_lo, s25
.LBB239_122:                            ;   in Loop: Header=BB239_16 Depth=1
	s_or_b32 exec_lo, exec_lo, s24
.LBB239_123:                            ;   in Loop: Header=BB239_16 Depth=1
	s_or_b32 exec_lo, exec_lo, s23
	v_cmp_ne_u16_sdwa s5, v2, v119 src0_sel:BYTE_1 src1_sel:DWORD
	s_and_saveexec_b32 s23, s5
	s_cbranch_execz .LBB239_131
; %bb.124:                              ;   in Loop: Header=BB239_16 Depth=1
	v_mov_b32_e32 v3, 0x80
	v_mov_b32_e32 v50, v119
	buffer_store_dword v50, off, s[0:3], s32 offset:356 ; 4-byte Folded Spill
	buffer_store_dword v51, off, s[0:3], s32 offset:360 ; 4-byte Folded Spill
	v_cmp_ne_u16_sdwa s5, v2, v3 src0_sel:BYTE_1 src1_sel:DWORD
	s_and_saveexec_b32 s24, s5
	s_cbranch_execz .LBB239_130
; %bb.125:                              ;   in Loop: Header=BB239_16 Depth=1
	s_clause 0x1
	buffer_load_dword v5, off, s[0:3], s32 offset:200
	buffer_load_dword v6, off, s[0:3], s32 offset:204
	v_mov_b32_e32 v3, 0xffff
	s_mov_b32 s25, exec_lo
	v_and_b32_sdwa v3, v3, v2 dst_sel:DWORD dst_unused:UNUSED_PAD src0_sel:DWORD src1_sel:BYTE_1
	v_and_b32_e32 v4, 0x7f, v3
	s_waitcnt vmcnt(0)
	v_mov_b32_e32 v7, v6
	v_mov_b32_e32 v6, v119
	;; [unrolled: 1-line block ×3, first 2 shown]
	buffer_store_dword v4, off, s[0:3], s32 offset:200 ; 4-byte Folded Spill
	buffer_store_dword v5, off, s[0:3], s32 offset:204 ; 4-byte Folded Spill
	;; [unrolled: 1-line block ×4, first 2 shown]
	v_cmpx_ne_u32_e32 0x7f, v4
	s_cbranch_execz .LBB239_129
; %bb.126:                              ;   in Loop: Header=BB239_16 Depth=1
	v_and_b32_e32 v118, 7, v3
	v_lshrrev_b32_e32 v3, 3, v4
	s_mov_b32 s26, exec_lo
	v_cmpx_gt_u32_e32 8, v4
; %bb.127:                              ;   in Loop: Header=BB239_16 Depth=1
	v_ffbh_u32_e32 v3, v118
	v_min_u32_e32 v3, 32, v3
	v_subrev_nc_u32_e32 v4, 28, v3
	v_sub_nc_u32_e32 v3, 29, v3
	v_lshlrev_b64 v[4:5], v4, v[118:119]
	v_and_b32_e32 v118, 7, v4
; %bb.128:                              ;   in Loop: Header=BB239_16 Depth=1
	s_or_b32 exec_lo, exec_lo, s26
	v_lshlrev_b32_e32 v4, 16, v2
	v_lshlrev_b32_e32 v5, 20, v118
	v_lshl_add_u32 v3, v3, 23, 0x3c000000
	v_and_b32_e32 v4, 0x80000000, v4
	v_or3_b32 v4, v5, v4, v3
	v_mov_b32_e32 v3, v119
	buffer_store_dword v3, off, s[0:3], s32 offset:356 ; 4-byte Folded Spill
	buffer_store_dword v4, off, s[0:3], s32 offset:360 ; 4-byte Folded Spill
.LBB239_129:                            ;   in Loop: Header=BB239_16 Depth=1
	s_or_b32 exec_lo, exec_lo, s25
.LBB239_130:                            ;   in Loop: Header=BB239_16 Depth=1
	s_or_b32 exec_lo, exec_lo, s24
.LBB239_131:                            ;   in Loop: Header=BB239_16 Depth=1
	s_or_b32 exec_lo, exec_lo, s23
	v_mov_b32_e32 v4, 0
	v_mov_b32_e32 v5, 0
	;; [unrolled: 1-line block ×3, first 2 shown]
	s_mov_b32 s23, exec_lo
	buffer_store_dword v4, off, s[0:3], s32 offset:364 ; 4-byte Folded Spill
	buffer_store_dword v5, off, s[0:3], s32 offset:368 ; 4-byte Folded Spill
	v_mov_b32_e32 v4, 0
	v_and_b32_sdwa v3, v2, v3 dst_sel:DWORD dst_unused:UNUSED_PAD src0_sel:WORD_1 src1_sel:DWORD
	v_mov_b32_e32 v5, 0
	buffer_store_dword v4, off, s[0:3], s32 offset:372 ; 4-byte Folded Spill
	buffer_store_dword v5, off, s[0:3], s32 offset:376 ; 4-byte Folded Spill
	v_cmpx_ne_u16_e32 0, v3
	s_cbranch_execz .LBB239_139
; %bb.132:                              ;   in Loop: Header=BB239_16 Depth=1
	v_cmp_ne_u16_e64 s5, 0x80, v3
	v_bfrev_b32_e32 v3, 1
	v_mov_b32_e32 v4, 0
	buffer_store_dword v3, off, s[0:3], s32 offset:372 ; 4-byte Folded Spill
	buffer_store_dword v4, off, s[0:3], s32 offset:376 ; 4-byte Folded Spill
	s_and_saveexec_b32 s24, s5
	s_cbranch_execz .LBB239_138
; %bb.133:                              ;   in Loop: Header=BB239_16 Depth=1
	v_mov_b32_e32 v5, 0x7f800001
	v_bfe_u32 v4, v2, 16, 7
	v_mov_b32_e32 v6, 0
	s_mov_b32 s25, exec_lo
	buffer_store_dword v5, off, s[0:3], s32 offset:372 ; 4-byte Folded Spill
	buffer_store_dword v6, off, s[0:3], s32 offset:376 ; 4-byte Folded Spill
	v_cmpx_ne_u32_e32 0x7f, v4
	s_cbranch_execz .LBB239_137
; %bb.134:                              ;   in Loop: Header=BB239_16 Depth=1
	v_mov_b32_e32 v3, 7
	s_mov_b32 s26, exec_lo
	v_and_b32_sdwa v118, v2, v3 dst_sel:DWORD dst_unused:UNUSED_PAD src0_sel:WORD_1 src1_sel:DWORD
	v_lshrrev_b32_e32 v3, 3, v4
	v_cmpx_gt_u32_e32 8, v4
; %bb.135:                              ;   in Loop: Header=BB239_16 Depth=1
	v_ffbh_u32_e32 v3, v118
	v_min_u32_e32 v3, 32, v3
	v_subrev_nc_u32_e32 v4, 28, v3
	v_sub_nc_u32_e32 v3, 29, v3
	v_lshlrev_b64 v[4:5], v4, v[118:119]
	v_and_b32_e32 v118, 7, v4
; %bb.136:                              ;   in Loop: Header=BB239_16 Depth=1
	s_or_b32 exec_lo, exec_lo, s26
	v_mov_b32_e32 v4, 24
	v_lshlrev_b32_e32 v5, 20, v118
	v_lshl_add_u32 v3, v3, 23, 0x3c000000
	v_lshlrev_b32_sdwa v4, v4, v2 dst_sel:DWORD dst_unused:UNUSED_PAD src0_sel:DWORD src1_sel:WORD_1
	v_and_b32_e32 v4, 0x80000000, v4
	v_or3_b32 v118, v5, v4, v3
	buffer_store_dword v118, off, s[0:3], s32 offset:372 ; 4-byte Folded Spill
	buffer_store_dword v119, off, s[0:3], s32 offset:376 ; 4-byte Folded Spill
.LBB239_137:                            ;   in Loop: Header=BB239_16 Depth=1
	s_or_b32 exec_lo, exec_lo, s25
.LBB239_138:                            ;   in Loop: Header=BB239_16 Depth=1
	s_or_b32 exec_lo, exec_lo, s24
.LBB239_139:                            ;   in Loop: Header=BB239_16 Depth=1
	s_or_b32 exec_lo, exec_lo, s23
	s_mov_b32 s23, exec_lo
	v_cmpx_lt_u32_e32 0xffffff, v2
	s_cbranch_execz .LBB239_147
; %bb.140:                              ;   in Loop: Header=BB239_16 Depth=1
	v_mov_b32_e32 v3, 0x80
	v_mov_b32_e32 v50, v119
	buffer_store_dword v50, off, s[0:3], s32 offset:364 ; 4-byte Folded Spill
	buffer_store_dword v51, off, s[0:3], s32 offset:368 ; 4-byte Folded Spill
	v_cmp_ne_u32_sdwa s5, v2, v3 src0_sel:BYTE_3 src1_sel:DWORD
	s_and_saveexec_b32 s24, s5
	s_cbranch_execz .LBB239_146
; %bb.141:                              ;   in Loop: Header=BB239_16 Depth=1
	s_clause 0x1
	buffer_load_dword v5, off, s[0:3], s32 offset:200
	buffer_load_dword v6, off, s[0:3], s32 offset:204
	v_bfe_u32 v4, v2, 24, 7
	s_waitcnt vmcnt(1)
	v_mov_b32_e32 v5, v119
	s_mov_b32 s25, exec_lo
	s_waitcnt vmcnt(0)
	v_mov_b32_e32 v3, v6
	buffer_store_dword v2, off, s[0:3], s32 offset:200 ; 4-byte Folded Spill
	buffer_store_dword v3, off, s[0:3], s32 offset:204 ; 4-byte Folded Spill
	;; [unrolled: 1-line block ×4, first 2 shown]
	v_cmpx_ne_u32_e32 0x7f, v4
	s_cbranch_execz .LBB239_145
; %bb.142:                              ;   in Loop: Header=BB239_16 Depth=1
	v_mov_b32_e32 v3, 7
	s_mov_b32 s26, exec_lo
	v_and_b32_sdwa v118, v2, v3 dst_sel:DWORD dst_unused:UNUSED_PAD src0_sel:BYTE_3 src1_sel:DWORD
	v_lshrrev_b32_e32 v3, 3, v4
	v_cmpx_gt_u32_e32 8, v4
; %bb.143:                              ;   in Loop: Header=BB239_16 Depth=1
	v_ffbh_u32_e32 v3, v118
	v_min_u32_e32 v3, 32, v3
	v_subrev_nc_u32_e32 v4, 28, v3
	v_sub_nc_u32_e32 v3, 29, v3
	v_lshlrev_b64 v[4:5], v4, v[118:119]
	v_and_b32_e32 v118, 7, v4
; %bb.144:                              ;   in Loop: Header=BB239_16 Depth=1
	s_or_b32 exec_lo, exec_lo, s26
	v_mov_b32_e32 v4, 24
	v_lshl_add_u32 v3, v3, 23, 0x3c000000
	v_lshlrev_b32_sdwa v2, v4, v2 dst_sel:DWORD dst_unused:UNUSED_PAD src0_sel:DWORD src1_sel:BYTE_3
	v_lshlrev_b32_e32 v4, 20, v118
	v_and_b32_e32 v2, 0x80000000, v2
	v_or3_b32 v3, v4, v2, v3
	v_mov_b32_e32 v2, v119
	buffer_store_dword v2, off, s[0:3], s32 offset:364 ; 4-byte Folded Spill
	buffer_store_dword v3, off, s[0:3], s32 offset:368 ; 4-byte Folded Spill
.LBB239_145:                            ;   in Loop: Header=BB239_16 Depth=1
	s_or_b32 exec_lo, exec_lo, s25
.LBB239_146:                            ;   in Loop: Header=BB239_16 Depth=1
	s_or_b32 exec_lo, exec_lo, s24
.LBB239_147:                            ;   in Loop: Header=BB239_16 Depth=1
	s_or_b32 exec_lo, exec_lo, s23
	flat_load_dword v2, v[0:1] offset:512
	v_mov_b32_e32 v3, 0
	v_mov_b32_e32 v4, 0
	buffer_store_dword v3, off, s[0:3], s32 offset:388 ; 4-byte Folded Spill
	buffer_store_dword v4, off, s[0:3], s32 offset:392 ; 4-byte Folded Spill
	v_mov_b32_e32 v3, 0
	v_mov_b32_e32 v4, 0
	buffer_store_dword v3, off, s[0:3], s32 offset:380 ; 4-byte Folded Spill
	buffer_store_dword v4, off, s[0:3], s32 offset:384 ; 4-byte Folded Spill
	s_waitcnt vmcnt(0) lgkmcnt(0)
	v_cmp_ne_u16_sdwa s5, v2, v119 src0_sel:BYTE_0 src1_sel:DWORD
	s_and_saveexec_b32 s23, s5
	s_cbranch_execz .LBB239_155
; %bb.148:                              ;   in Loop: Header=BB239_16 Depth=1
	v_bfrev_b32_e32 v3, 1
	v_mov_b32_e32 v4, 0
	buffer_store_dword v3, off, s[0:3], s32 offset:380 ; 4-byte Folded Spill
	buffer_store_dword v4, off, s[0:3], s32 offset:384 ; 4-byte Folded Spill
	v_mov_b32_e32 v3, 0x80
	v_cmp_ne_u16_sdwa s5, v2, v3 src0_sel:BYTE_0 src1_sel:DWORD
	s_and_saveexec_b32 s24, s5
	s_cbranch_execz .LBB239_154
; %bb.149:                              ;   in Loop: Header=BB239_16 Depth=1
	v_mov_b32_e32 v5, 0x7f800001
	v_and_b32_e32 v4, 0x7f, v2
	v_mov_b32_e32 v6, 0
	s_mov_b32 s25, exec_lo
	buffer_store_dword v5, off, s[0:3], s32 offset:380 ; 4-byte Folded Spill
	buffer_store_dword v6, off, s[0:3], s32 offset:384 ; 4-byte Folded Spill
	v_cmpx_ne_u32_e32 0x7f, v4
	s_cbranch_execz .LBB239_153
; %bb.150:                              ;   in Loop: Header=BB239_16 Depth=1
	v_and_b32_e32 v118, 7, v2
	v_lshrrev_b32_e32 v3, 3, v4
	s_mov_b32 s26, exec_lo
	v_cmpx_gt_u32_e32 8, v4
; %bb.151:                              ;   in Loop: Header=BB239_16 Depth=1
	v_ffbh_u32_e32 v3, v118
	v_min_u32_e32 v3, 32, v3
	v_subrev_nc_u32_e32 v4, 28, v3
	v_sub_nc_u32_e32 v3, 29, v3
	v_lshlrev_b64 v[4:5], v4, v[118:119]
	v_and_b32_e32 v118, 7, v4
; %bb.152:                              ;   in Loop: Header=BB239_16 Depth=1
	s_or_b32 exec_lo, exec_lo, s26
	v_lshlrev_b32_e32 v4, 24, v2
	v_lshlrev_b32_e32 v5, 20, v118
	v_lshl_add_u32 v3, v3, 23, 0x3c000000
	v_and_b32_e32 v4, 0x80000000, v4
	v_or3_b32 v118, v5, v4, v3
	buffer_store_dword v118, off, s[0:3], s32 offset:380 ; 4-byte Folded Spill
	buffer_store_dword v119, off, s[0:3], s32 offset:384 ; 4-byte Folded Spill
.LBB239_153:                            ;   in Loop: Header=BB239_16 Depth=1
	s_or_b32 exec_lo, exec_lo, s25
.LBB239_154:                            ;   in Loop: Header=BB239_16 Depth=1
	s_or_b32 exec_lo, exec_lo, s24
.LBB239_155:                            ;   in Loop: Header=BB239_16 Depth=1
	s_or_b32 exec_lo, exec_lo, s23
	v_cmp_ne_u16_sdwa s5, v2, v119 src0_sel:BYTE_1 src1_sel:DWORD
	s_and_saveexec_b32 s23, s5
	s_cbranch_execz .LBB239_163
; %bb.156:                              ;   in Loop: Header=BB239_16 Depth=1
	v_mov_b32_e32 v3, 0x80
	v_mov_b32_e32 v50, v119
	buffer_store_dword v50, off, s[0:3], s32 offset:388 ; 4-byte Folded Spill
	buffer_store_dword v51, off, s[0:3], s32 offset:392 ; 4-byte Folded Spill
	v_cmp_ne_u16_sdwa s5, v2, v3 src0_sel:BYTE_1 src1_sel:DWORD
	s_and_saveexec_b32 s24, s5
	s_cbranch_execz .LBB239_162
; %bb.157:                              ;   in Loop: Header=BB239_16 Depth=1
	s_clause 0x1
	buffer_load_dword v5, off, s[0:3], s32 offset:200
	buffer_load_dword v6, off, s[0:3], s32 offset:204
	v_mov_b32_e32 v3, 0xffff
	s_mov_b32 s25, exec_lo
	v_and_b32_sdwa v3, v3, v2 dst_sel:DWORD dst_unused:UNUSED_PAD src0_sel:DWORD src1_sel:BYTE_1
	v_and_b32_e32 v4, 0x7f, v3
	s_waitcnt vmcnt(0)
	v_mov_b32_e32 v7, v6
	v_mov_b32_e32 v6, v119
	;; [unrolled: 1-line block ×3, first 2 shown]
	buffer_store_dword v4, off, s[0:3], s32 offset:200 ; 4-byte Folded Spill
	buffer_store_dword v5, off, s[0:3], s32 offset:204 ; 4-byte Folded Spill
	;; [unrolled: 1-line block ×4, first 2 shown]
	v_cmpx_ne_u32_e32 0x7f, v4
	s_cbranch_execz .LBB239_161
; %bb.158:                              ;   in Loop: Header=BB239_16 Depth=1
	v_and_b32_e32 v118, 7, v3
	v_lshrrev_b32_e32 v3, 3, v4
	s_mov_b32 s26, exec_lo
	v_cmpx_gt_u32_e32 8, v4
; %bb.159:                              ;   in Loop: Header=BB239_16 Depth=1
	v_ffbh_u32_e32 v3, v118
	v_min_u32_e32 v3, 32, v3
	v_subrev_nc_u32_e32 v4, 28, v3
	v_sub_nc_u32_e32 v3, 29, v3
	v_lshlrev_b64 v[4:5], v4, v[118:119]
	v_and_b32_e32 v118, 7, v4
; %bb.160:                              ;   in Loop: Header=BB239_16 Depth=1
	s_or_b32 exec_lo, exec_lo, s26
	v_lshlrev_b32_e32 v4, 16, v2
	v_lshlrev_b32_e32 v5, 20, v118
	v_lshl_add_u32 v3, v3, 23, 0x3c000000
	v_and_b32_e32 v4, 0x80000000, v4
	v_or3_b32 v4, v5, v4, v3
	v_mov_b32_e32 v3, v119
	buffer_store_dword v3, off, s[0:3], s32 offset:388 ; 4-byte Folded Spill
	buffer_store_dword v4, off, s[0:3], s32 offset:392 ; 4-byte Folded Spill
.LBB239_161:                            ;   in Loop: Header=BB239_16 Depth=1
	s_or_b32 exec_lo, exec_lo, s25
.LBB239_162:                            ;   in Loop: Header=BB239_16 Depth=1
	s_or_b32 exec_lo, exec_lo, s24
.LBB239_163:                            ;   in Loop: Header=BB239_16 Depth=1
	s_or_b32 exec_lo, exec_lo, s23
	v_mov_b32_e32 v4, 0
	v_mov_b32_e32 v5, 0
	;; [unrolled: 1-line block ×3, first 2 shown]
	s_mov_b32 s23, exec_lo
	buffer_store_dword v4, off, s[0:3], s32 offset:396 ; 4-byte Folded Spill
	buffer_store_dword v5, off, s[0:3], s32 offset:400 ; 4-byte Folded Spill
	v_mov_b32_e32 v4, 0
	v_and_b32_sdwa v3, v2, v3 dst_sel:DWORD dst_unused:UNUSED_PAD src0_sel:WORD_1 src1_sel:DWORD
	v_mov_b32_e32 v5, 0
	buffer_store_dword v4, off, s[0:3], s32 offset:404 ; 4-byte Folded Spill
	buffer_store_dword v5, off, s[0:3], s32 offset:408 ; 4-byte Folded Spill
	v_cmpx_ne_u16_e32 0, v3
	s_cbranch_execz .LBB239_171
; %bb.164:                              ;   in Loop: Header=BB239_16 Depth=1
	v_cmp_ne_u16_e64 s5, 0x80, v3
	v_bfrev_b32_e32 v3, 1
	v_mov_b32_e32 v4, 0
	buffer_store_dword v3, off, s[0:3], s32 offset:404 ; 4-byte Folded Spill
	buffer_store_dword v4, off, s[0:3], s32 offset:408 ; 4-byte Folded Spill
	s_and_saveexec_b32 s24, s5
	s_cbranch_execz .LBB239_170
; %bb.165:                              ;   in Loop: Header=BB239_16 Depth=1
	v_mov_b32_e32 v5, 0x7f800001
	v_bfe_u32 v4, v2, 16, 7
	v_mov_b32_e32 v6, 0
	s_mov_b32 s25, exec_lo
	buffer_store_dword v5, off, s[0:3], s32 offset:404 ; 4-byte Folded Spill
	buffer_store_dword v6, off, s[0:3], s32 offset:408 ; 4-byte Folded Spill
	v_cmpx_ne_u32_e32 0x7f, v4
	s_cbranch_execz .LBB239_169
; %bb.166:                              ;   in Loop: Header=BB239_16 Depth=1
	v_mov_b32_e32 v3, 7
	s_mov_b32 s26, exec_lo
	v_and_b32_sdwa v118, v2, v3 dst_sel:DWORD dst_unused:UNUSED_PAD src0_sel:WORD_1 src1_sel:DWORD
	v_lshrrev_b32_e32 v3, 3, v4
	v_cmpx_gt_u32_e32 8, v4
; %bb.167:                              ;   in Loop: Header=BB239_16 Depth=1
	v_ffbh_u32_e32 v3, v118
	v_min_u32_e32 v3, 32, v3
	v_subrev_nc_u32_e32 v4, 28, v3
	v_sub_nc_u32_e32 v3, 29, v3
	v_lshlrev_b64 v[4:5], v4, v[118:119]
	v_and_b32_e32 v118, 7, v4
; %bb.168:                              ;   in Loop: Header=BB239_16 Depth=1
	s_or_b32 exec_lo, exec_lo, s26
	v_mov_b32_e32 v4, 24
	v_lshlrev_b32_e32 v5, 20, v118
	v_lshl_add_u32 v3, v3, 23, 0x3c000000
	v_lshlrev_b32_sdwa v4, v4, v2 dst_sel:DWORD dst_unused:UNUSED_PAD src0_sel:DWORD src1_sel:WORD_1
	v_and_b32_e32 v4, 0x80000000, v4
	v_or3_b32 v118, v5, v4, v3
	buffer_store_dword v118, off, s[0:3], s32 offset:404 ; 4-byte Folded Spill
	buffer_store_dword v119, off, s[0:3], s32 offset:408 ; 4-byte Folded Spill
.LBB239_169:                            ;   in Loop: Header=BB239_16 Depth=1
	s_or_b32 exec_lo, exec_lo, s25
.LBB239_170:                            ;   in Loop: Header=BB239_16 Depth=1
	s_or_b32 exec_lo, exec_lo, s24
.LBB239_171:                            ;   in Loop: Header=BB239_16 Depth=1
	s_or_b32 exec_lo, exec_lo, s23
	s_mov_b32 s23, exec_lo
	v_cmpx_lt_u32_e32 0xffffff, v2
	s_cbranch_execz .LBB239_179
; %bb.172:                              ;   in Loop: Header=BB239_16 Depth=1
	v_mov_b32_e32 v3, 0x80
	v_mov_b32_e32 v50, v119
	buffer_store_dword v50, off, s[0:3], s32 offset:396 ; 4-byte Folded Spill
	buffer_store_dword v51, off, s[0:3], s32 offset:400 ; 4-byte Folded Spill
	v_cmp_ne_u32_sdwa s5, v2, v3 src0_sel:BYTE_3 src1_sel:DWORD
	s_and_saveexec_b32 s24, s5
	s_cbranch_execz .LBB239_178
; %bb.173:                              ;   in Loop: Header=BB239_16 Depth=1
	s_clause 0x1
	buffer_load_dword v5, off, s[0:3], s32 offset:200
	buffer_load_dword v6, off, s[0:3], s32 offset:204
	v_bfe_u32 v4, v2, 24, 7
	s_waitcnt vmcnt(1)
	v_mov_b32_e32 v5, v119
	s_mov_b32 s25, exec_lo
	s_waitcnt vmcnt(0)
	v_mov_b32_e32 v3, v6
	buffer_store_dword v2, off, s[0:3], s32 offset:200 ; 4-byte Folded Spill
	buffer_store_dword v3, off, s[0:3], s32 offset:204 ; 4-byte Folded Spill
	buffer_store_dword v5, off, s[0:3], s32 offset:396 ; 4-byte Folded Spill
	buffer_store_dword v6, off, s[0:3], s32 offset:400 ; 4-byte Folded Spill
	v_cmpx_ne_u32_e32 0x7f, v4
	s_cbranch_execz .LBB239_177
; %bb.174:                              ;   in Loop: Header=BB239_16 Depth=1
	v_mov_b32_e32 v3, 7
	s_mov_b32 s26, exec_lo
	v_and_b32_sdwa v118, v2, v3 dst_sel:DWORD dst_unused:UNUSED_PAD src0_sel:BYTE_3 src1_sel:DWORD
	v_lshrrev_b32_e32 v3, 3, v4
	v_cmpx_gt_u32_e32 8, v4
; %bb.175:                              ;   in Loop: Header=BB239_16 Depth=1
	v_ffbh_u32_e32 v3, v118
	v_min_u32_e32 v3, 32, v3
	v_subrev_nc_u32_e32 v4, 28, v3
	v_sub_nc_u32_e32 v3, 29, v3
	v_lshlrev_b64 v[4:5], v4, v[118:119]
	v_and_b32_e32 v118, 7, v4
; %bb.176:                              ;   in Loop: Header=BB239_16 Depth=1
	s_or_b32 exec_lo, exec_lo, s26
	v_mov_b32_e32 v4, 24
	v_lshl_add_u32 v3, v3, 23, 0x3c000000
	v_lshlrev_b32_sdwa v2, v4, v2 dst_sel:DWORD dst_unused:UNUSED_PAD src0_sel:DWORD src1_sel:BYTE_3
	v_lshlrev_b32_e32 v4, 20, v118
	v_and_b32_e32 v2, 0x80000000, v2
	v_or3_b32 v3, v4, v2, v3
	v_mov_b32_e32 v2, v119
	buffer_store_dword v2, off, s[0:3], s32 offset:396 ; 4-byte Folded Spill
	buffer_store_dword v3, off, s[0:3], s32 offset:400 ; 4-byte Folded Spill
.LBB239_177:                            ;   in Loop: Header=BB239_16 Depth=1
	s_or_b32 exec_lo, exec_lo, s25
.LBB239_178:                            ;   in Loop: Header=BB239_16 Depth=1
	s_or_b32 exec_lo, exec_lo, s24
.LBB239_179:                            ;   in Loop: Header=BB239_16 Depth=1
	s_or_b32 exec_lo, exec_lo, s23
	flat_load_dword v2, v[0:1] offset:516
	v_mov_b32_e32 v3, 0
	v_mov_b32_e32 v4, 0
	buffer_store_dword v3, off, s[0:3], s32 offset:420 ; 4-byte Folded Spill
	buffer_store_dword v4, off, s[0:3], s32 offset:424 ; 4-byte Folded Spill
	v_mov_b32_e32 v3, 0
	v_mov_b32_e32 v4, 0
	buffer_store_dword v3, off, s[0:3], s32 offset:412 ; 4-byte Folded Spill
	buffer_store_dword v4, off, s[0:3], s32 offset:416 ; 4-byte Folded Spill
	s_waitcnt vmcnt(0) lgkmcnt(0)
	v_cmp_ne_u16_sdwa s5, v2, v119 src0_sel:BYTE_0 src1_sel:DWORD
	s_and_saveexec_b32 s23, s5
	s_cbranch_execz .LBB239_187
; %bb.180:                              ;   in Loop: Header=BB239_16 Depth=1
	v_bfrev_b32_e32 v3, 1
	v_mov_b32_e32 v4, 0
	buffer_store_dword v3, off, s[0:3], s32 offset:412 ; 4-byte Folded Spill
	buffer_store_dword v4, off, s[0:3], s32 offset:416 ; 4-byte Folded Spill
	v_mov_b32_e32 v3, 0x80
	v_cmp_ne_u16_sdwa s5, v2, v3 src0_sel:BYTE_0 src1_sel:DWORD
	s_and_saveexec_b32 s24, s5
	s_cbranch_execz .LBB239_186
; %bb.181:                              ;   in Loop: Header=BB239_16 Depth=1
	v_mov_b32_e32 v5, 0x7f800001
	v_and_b32_e32 v4, 0x7f, v2
	v_mov_b32_e32 v6, 0
	s_mov_b32 s25, exec_lo
	buffer_store_dword v5, off, s[0:3], s32 offset:412 ; 4-byte Folded Spill
	buffer_store_dword v6, off, s[0:3], s32 offset:416 ; 4-byte Folded Spill
	v_cmpx_ne_u32_e32 0x7f, v4
	s_cbranch_execz .LBB239_185
; %bb.182:                              ;   in Loop: Header=BB239_16 Depth=1
	v_and_b32_e32 v118, 7, v2
	v_lshrrev_b32_e32 v3, 3, v4
	s_mov_b32 s26, exec_lo
	v_cmpx_gt_u32_e32 8, v4
; %bb.183:                              ;   in Loop: Header=BB239_16 Depth=1
	v_ffbh_u32_e32 v3, v118
	v_min_u32_e32 v3, 32, v3
	v_subrev_nc_u32_e32 v4, 28, v3
	v_sub_nc_u32_e32 v3, 29, v3
	v_lshlrev_b64 v[4:5], v4, v[118:119]
	v_and_b32_e32 v118, 7, v4
; %bb.184:                              ;   in Loop: Header=BB239_16 Depth=1
	s_or_b32 exec_lo, exec_lo, s26
	v_lshlrev_b32_e32 v4, 24, v2
	v_lshlrev_b32_e32 v5, 20, v118
	v_lshl_add_u32 v3, v3, 23, 0x3c000000
	v_and_b32_e32 v4, 0x80000000, v4
	v_or3_b32 v118, v5, v4, v3
	buffer_store_dword v118, off, s[0:3], s32 offset:412 ; 4-byte Folded Spill
	buffer_store_dword v119, off, s[0:3], s32 offset:416 ; 4-byte Folded Spill
.LBB239_185:                            ;   in Loop: Header=BB239_16 Depth=1
	s_or_b32 exec_lo, exec_lo, s25
.LBB239_186:                            ;   in Loop: Header=BB239_16 Depth=1
	s_or_b32 exec_lo, exec_lo, s24
.LBB239_187:                            ;   in Loop: Header=BB239_16 Depth=1
	s_or_b32 exec_lo, exec_lo, s23
	v_cmp_ne_u16_sdwa s5, v2, v119 src0_sel:BYTE_1 src1_sel:DWORD
	s_and_saveexec_b32 s23, s5
	s_cbranch_execz .LBB239_195
; %bb.188:                              ;   in Loop: Header=BB239_16 Depth=1
	v_mov_b32_e32 v3, 0x80
	v_mov_b32_e32 v50, v119
	buffer_store_dword v50, off, s[0:3], s32 offset:420 ; 4-byte Folded Spill
	buffer_store_dword v51, off, s[0:3], s32 offset:424 ; 4-byte Folded Spill
	v_cmp_ne_u16_sdwa s5, v2, v3 src0_sel:BYTE_1 src1_sel:DWORD
	s_and_saveexec_b32 s24, s5
	s_cbranch_execz .LBB239_194
; %bb.189:                              ;   in Loop: Header=BB239_16 Depth=1
	s_clause 0x1
	buffer_load_dword v5, off, s[0:3], s32 offset:200
	buffer_load_dword v6, off, s[0:3], s32 offset:204
	v_mov_b32_e32 v3, 0xffff
	s_mov_b32 s25, exec_lo
	v_and_b32_sdwa v3, v3, v2 dst_sel:DWORD dst_unused:UNUSED_PAD src0_sel:DWORD src1_sel:BYTE_1
	v_and_b32_e32 v4, 0x7f, v3
	s_waitcnt vmcnt(0)
	v_mov_b32_e32 v7, v6
	v_mov_b32_e32 v6, v119
	;; [unrolled: 1-line block ×3, first 2 shown]
	buffer_store_dword v4, off, s[0:3], s32 offset:200 ; 4-byte Folded Spill
	buffer_store_dword v5, off, s[0:3], s32 offset:204 ; 4-byte Folded Spill
	buffer_store_dword v6, off, s[0:3], s32 offset:420 ; 4-byte Folded Spill
	buffer_store_dword v7, off, s[0:3], s32 offset:424 ; 4-byte Folded Spill
	v_cmpx_ne_u32_e32 0x7f, v4
	s_cbranch_execz .LBB239_193
; %bb.190:                              ;   in Loop: Header=BB239_16 Depth=1
	v_and_b32_e32 v118, 7, v3
	v_lshrrev_b32_e32 v3, 3, v4
	s_mov_b32 s26, exec_lo
	v_cmpx_gt_u32_e32 8, v4
; %bb.191:                              ;   in Loop: Header=BB239_16 Depth=1
	v_ffbh_u32_e32 v3, v118
	v_min_u32_e32 v3, 32, v3
	v_subrev_nc_u32_e32 v4, 28, v3
	v_sub_nc_u32_e32 v3, 29, v3
	v_lshlrev_b64 v[4:5], v4, v[118:119]
	v_and_b32_e32 v118, 7, v4
; %bb.192:                              ;   in Loop: Header=BB239_16 Depth=1
	s_or_b32 exec_lo, exec_lo, s26
	v_lshlrev_b32_e32 v4, 16, v2
	v_lshlrev_b32_e32 v5, 20, v118
	v_lshl_add_u32 v3, v3, 23, 0x3c000000
	v_and_b32_e32 v4, 0x80000000, v4
	v_or3_b32 v4, v5, v4, v3
	v_mov_b32_e32 v3, v119
	buffer_store_dword v3, off, s[0:3], s32 offset:420 ; 4-byte Folded Spill
	buffer_store_dword v4, off, s[0:3], s32 offset:424 ; 4-byte Folded Spill
.LBB239_193:                            ;   in Loop: Header=BB239_16 Depth=1
	s_or_b32 exec_lo, exec_lo, s25
.LBB239_194:                            ;   in Loop: Header=BB239_16 Depth=1
	s_or_b32 exec_lo, exec_lo, s24
.LBB239_195:                            ;   in Loop: Header=BB239_16 Depth=1
	s_or_b32 exec_lo, exec_lo, s23
	v_mov_b32_e32 v4, 0
	v_mov_b32_e32 v5, 0
	;; [unrolled: 1-line block ×3, first 2 shown]
	s_mov_b32 s23, exec_lo
	buffer_store_dword v4, off, s[0:3], s32 offset:428 ; 4-byte Folded Spill
	buffer_store_dword v5, off, s[0:3], s32 offset:432 ; 4-byte Folded Spill
	v_mov_b32_e32 v4, 0
	v_and_b32_sdwa v3, v2, v3 dst_sel:DWORD dst_unused:UNUSED_PAD src0_sel:WORD_1 src1_sel:DWORD
	v_mov_b32_e32 v5, 0
	buffer_store_dword v4, off, s[0:3], s32 offset:436 ; 4-byte Folded Spill
	buffer_store_dword v5, off, s[0:3], s32 offset:440 ; 4-byte Folded Spill
	v_cmpx_ne_u16_e32 0, v3
	s_cbranch_execz .LBB239_203
; %bb.196:                              ;   in Loop: Header=BB239_16 Depth=1
	v_cmp_ne_u16_e64 s5, 0x80, v3
	v_bfrev_b32_e32 v3, 1
	v_mov_b32_e32 v4, 0
	buffer_store_dword v3, off, s[0:3], s32 offset:436 ; 4-byte Folded Spill
	buffer_store_dword v4, off, s[0:3], s32 offset:440 ; 4-byte Folded Spill
	s_and_saveexec_b32 s24, s5
	s_cbranch_execz .LBB239_202
; %bb.197:                              ;   in Loop: Header=BB239_16 Depth=1
	v_mov_b32_e32 v5, 0x7f800001
	v_bfe_u32 v4, v2, 16, 7
	v_mov_b32_e32 v6, 0
	s_mov_b32 s25, exec_lo
	buffer_store_dword v5, off, s[0:3], s32 offset:436 ; 4-byte Folded Spill
	buffer_store_dword v6, off, s[0:3], s32 offset:440 ; 4-byte Folded Spill
	v_cmpx_ne_u32_e32 0x7f, v4
	s_cbranch_execz .LBB239_201
; %bb.198:                              ;   in Loop: Header=BB239_16 Depth=1
	v_mov_b32_e32 v3, 7
	s_mov_b32 s26, exec_lo
	v_and_b32_sdwa v118, v2, v3 dst_sel:DWORD dst_unused:UNUSED_PAD src0_sel:WORD_1 src1_sel:DWORD
	v_lshrrev_b32_e32 v3, 3, v4
	v_cmpx_gt_u32_e32 8, v4
; %bb.199:                              ;   in Loop: Header=BB239_16 Depth=1
	v_ffbh_u32_e32 v3, v118
	v_min_u32_e32 v3, 32, v3
	v_subrev_nc_u32_e32 v4, 28, v3
	v_sub_nc_u32_e32 v3, 29, v3
	v_lshlrev_b64 v[4:5], v4, v[118:119]
	v_and_b32_e32 v118, 7, v4
; %bb.200:                              ;   in Loop: Header=BB239_16 Depth=1
	s_or_b32 exec_lo, exec_lo, s26
	v_mov_b32_e32 v4, 24
	v_lshlrev_b32_e32 v5, 20, v118
	v_lshl_add_u32 v3, v3, 23, 0x3c000000
	v_lshlrev_b32_sdwa v4, v4, v2 dst_sel:DWORD dst_unused:UNUSED_PAD src0_sel:DWORD src1_sel:WORD_1
	v_and_b32_e32 v4, 0x80000000, v4
	v_or3_b32 v118, v5, v4, v3
	buffer_store_dword v118, off, s[0:3], s32 offset:436 ; 4-byte Folded Spill
	buffer_store_dword v119, off, s[0:3], s32 offset:440 ; 4-byte Folded Spill
.LBB239_201:                            ;   in Loop: Header=BB239_16 Depth=1
	s_or_b32 exec_lo, exec_lo, s25
.LBB239_202:                            ;   in Loop: Header=BB239_16 Depth=1
	s_or_b32 exec_lo, exec_lo, s24
.LBB239_203:                            ;   in Loop: Header=BB239_16 Depth=1
	s_or_b32 exec_lo, exec_lo, s23
	s_mov_b32 s23, exec_lo
	v_cmpx_lt_u32_e32 0xffffff, v2
	s_cbranch_execz .LBB239_211
; %bb.204:                              ;   in Loop: Header=BB239_16 Depth=1
	v_mov_b32_e32 v3, 0x80
	v_mov_b32_e32 v50, v119
	buffer_store_dword v50, off, s[0:3], s32 offset:428 ; 4-byte Folded Spill
	buffer_store_dword v51, off, s[0:3], s32 offset:432 ; 4-byte Folded Spill
	v_cmp_ne_u32_sdwa s5, v2, v3 src0_sel:BYTE_3 src1_sel:DWORD
	s_and_saveexec_b32 s24, s5
	s_cbranch_execz .LBB239_210
; %bb.205:                              ;   in Loop: Header=BB239_16 Depth=1
	s_clause 0x1
	buffer_load_dword v5, off, s[0:3], s32 offset:200
	buffer_load_dword v6, off, s[0:3], s32 offset:204
	v_bfe_u32 v4, v2, 24, 7
	s_waitcnt vmcnt(1)
	v_mov_b32_e32 v5, v119
	s_mov_b32 s25, exec_lo
	s_waitcnt vmcnt(0)
	v_mov_b32_e32 v3, v6
	buffer_store_dword v2, off, s[0:3], s32 offset:200 ; 4-byte Folded Spill
	buffer_store_dword v3, off, s[0:3], s32 offset:204 ; 4-byte Folded Spill
	;; [unrolled: 1-line block ×4, first 2 shown]
	v_cmpx_ne_u32_e32 0x7f, v4
	s_cbranch_execz .LBB239_209
; %bb.206:                              ;   in Loop: Header=BB239_16 Depth=1
	v_mov_b32_e32 v3, 7
	s_mov_b32 s26, exec_lo
	v_and_b32_sdwa v118, v2, v3 dst_sel:DWORD dst_unused:UNUSED_PAD src0_sel:BYTE_3 src1_sel:DWORD
	v_lshrrev_b32_e32 v3, 3, v4
	v_cmpx_gt_u32_e32 8, v4
; %bb.207:                              ;   in Loop: Header=BB239_16 Depth=1
	v_ffbh_u32_e32 v3, v118
	v_min_u32_e32 v3, 32, v3
	v_subrev_nc_u32_e32 v4, 28, v3
	v_sub_nc_u32_e32 v3, 29, v3
	v_lshlrev_b64 v[4:5], v4, v[118:119]
	v_and_b32_e32 v118, 7, v4
; %bb.208:                              ;   in Loop: Header=BB239_16 Depth=1
	s_or_b32 exec_lo, exec_lo, s26
	v_mov_b32_e32 v4, 24
	v_lshl_add_u32 v3, v3, 23, 0x3c000000
	v_lshlrev_b32_sdwa v2, v4, v2 dst_sel:DWORD dst_unused:UNUSED_PAD src0_sel:DWORD src1_sel:BYTE_3
	v_lshlrev_b32_e32 v4, 20, v118
	v_and_b32_e32 v2, 0x80000000, v2
	v_or3_b32 v3, v4, v2, v3
	v_mov_b32_e32 v2, v119
	buffer_store_dword v2, off, s[0:3], s32 offset:428 ; 4-byte Folded Spill
	buffer_store_dword v3, off, s[0:3], s32 offset:432 ; 4-byte Folded Spill
.LBB239_209:                            ;   in Loop: Header=BB239_16 Depth=1
	s_or_b32 exec_lo, exec_lo, s25
.LBB239_210:                            ;   in Loop: Header=BB239_16 Depth=1
	s_or_b32 exec_lo, exec_lo, s24
.LBB239_211:                            ;   in Loop: Header=BB239_16 Depth=1
	s_or_b32 exec_lo, exec_lo, s23
	flat_load_dword v2, v[0:1] offset:520
	v_mov_b32_e32 v3, 0
	v_mov_b32_e32 v4, 0
	buffer_store_dword v3, off, s[0:3], s32 offset:452 ; 4-byte Folded Spill
	buffer_store_dword v4, off, s[0:3], s32 offset:456 ; 4-byte Folded Spill
	v_mov_b32_e32 v3, 0
	v_mov_b32_e32 v4, 0
	buffer_store_dword v3, off, s[0:3], s32 offset:444 ; 4-byte Folded Spill
	buffer_store_dword v4, off, s[0:3], s32 offset:448 ; 4-byte Folded Spill
	s_waitcnt vmcnt(0) lgkmcnt(0)
	v_cmp_ne_u16_sdwa s5, v2, v119 src0_sel:BYTE_0 src1_sel:DWORD
	s_and_saveexec_b32 s23, s5
	s_cbranch_execz .LBB239_219
; %bb.212:                              ;   in Loop: Header=BB239_16 Depth=1
	v_bfrev_b32_e32 v3, 1
	v_mov_b32_e32 v4, 0
	buffer_store_dword v3, off, s[0:3], s32 offset:444 ; 4-byte Folded Spill
	buffer_store_dword v4, off, s[0:3], s32 offset:448 ; 4-byte Folded Spill
	v_mov_b32_e32 v3, 0x80
	v_cmp_ne_u16_sdwa s5, v2, v3 src0_sel:BYTE_0 src1_sel:DWORD
	s_and_saveexec_b32 s24, s5
	s_cbranch_execz .LBB239_218
; %bb.213:                              ;   in Loop: Header=BB239_16 Depth=1
	v_mov_b32_e32 v5, 0x7f800001
	v_and_b32_e32 v4, 0x7f, v2
	v_mov_b32_e32 v6, 0
	s_mov_b32 s25, exec_lo
	buffer_store_dword v5, off, s[0:3], s32 offset:444 ; 4-byte Folded Spill
	buffer_store_dword v6, off, s[0:3], s32 offset:448 ; 4-byte Folded Spill
	v_cmpx_ne_u32_e32 0x7f, v4
	s_cbranch_execz .LBB239_217
; %bb.214:                              ;   in Loop: Header=BB239_16 Depth=1
	v_and_b32_e32 v118, 7, v2
	v_lshrrev_b32_e32 v3, 3, v4
	s_mov_b32 s26, exec_lo
	v_cmpx_gt_u32_e32 8, v4
; %bb.215:                              ;   in Loop: Header=BB239_16 Depth=1
	v_ffbh_u32_e32 v3, v118
	v_min_u32_e32 v3, 32, v3
	v_subrev_nc_u32_e32 v4, 28, v3
	v_sub_nc_u32_e32 v3, 29, v3
	v_lshlrev_b64 v[4:5], v4, v[118:119]
	v_and_b32_e32 v118, 7, v4
; %bb.216:                              ;   in Loop: Header=BB239_16 Depth=1
	s_or_b32 exec_lo, exec_lo, s26
	v_lshlrev_b32_e32 v4, 24, v2
	v_lshlrev_b32_e32 v5, 20, v118
	v_lshl_add_u32 v3, v3, 23, 0x3c000000
	v_and_b32_e32 v4, 0x80000000, v4
	v_or3_b32 v118, v5, v4, v3
	buffer_store_dword v118, off, s[0:3], s32 offset:444 ; 4-byte Folded Spill
	buffer_store_dword v119, off, s[0:3], s32 offset:448 ; 4-byte Folded Spill
.LBB239_217:                            ;   in Loop: Header=BB239_16 Depth=1
	s_or_b32 exec_lo, exec_lo, s25
.LBB239_218:                            ;   in Loop: Header=BB239_16 Depth=1
	s_or_b32 exec_lo, exec_lo, s24
.LBB239_219:                            ;   in Loop: Header=BB239_16 Depth=1
	s_or_b32 exec_lo, exec_lo, s23
	v_cmp_ne_u16_sdwa s5, v2, v119 src0_sel:BYTE_1 src1_sel:DWORD
	s_and_saveexec_b32 s23, s5
	s_cbranch_execz .LBB239_227
; %bb.220:                              ;   in Loop: Header=BB239_16 Depth=1
	v_mov_b32_e32 v3, 0x80
	v_mov_b32_e32 v50, v119
	buffer_store_dword v50, off, s[0:3], s32 offset:452 ; 4-byte Folded Spill
	buffer_store_dword v51, off, s[0:3], s32 offset:456 ; 4-byte Folded Spill
	v_cmp_ne_u16_sdwa s5, v2, v3 src0_sel:BYTE_1 src1_sel:DWORD
	s_and_saveexec_b32 s24, s5
	s_cbranch_execz .LBB239_226
; %bb.221:                              ;   in Loop: Header=BB239_16 Depth=1
	s_clause 0x1
	buffer_load_dword v5, off, s[0:3], s32 offset:200
	buffer_load_dword v6, off, s[0:3], s32 offset:204
	v_mov_b32_e32 v3, 0xffff
	s_mov_b32 s25, exec_lo
	v_and_b32_sdwa v3, v3, v2 dst_sel:DWORD dst_unused:UNUSED_PAD src0_sel:DWORD src1_sel:BYTE_1
	v_and_b32_e32 v4, 0x7f, v3
	s_waitcnt vmcnt(0)
	v_mov_b32_e32 v7, v6
	v_mov_b32_e32 v6, v119
	;; [unrolled: 1-line block ×3, first 2 shown]
	buffer_store_dword v4, off, s[0:3], s32 offset:200 ; 4-byte Folded Spill
	buffer_store_dword v5, off, s[0:3], s32 offset:204 ; 4-byte Folded Spill
	;; [unrolled: 1-line block ×4, first 2 shown]
	v_cmpx_ne_u32_e32 0x7f, v4
	s_cbranch_execz .LBB239_225
; %bb.222:                              ;   in Loop: Header=BB239_16 Depth=1
	v_and_b32_e32 v118, 7, v3
	v_lshrrev_b32_e32 v3, 3, v4
	s_mov_b32 s26, exec_lo
	v_cmpx_gt_u32_e32 8, v4
; %bb.223:                              ;   in Loop: Header=BB239_16 Depth=1
	v_ffbh_u32_e32 v3, v118
	v_min_u32_e32 v3, 32, v3
	v_subrev_nc_u32_e32 v4, 28, v3
	v_sub_nc_u32_e32 v3, 29, v3
	v_lshlrev_b64 v[4:5], v4, v[118:119]
	v_and_b32_e32 v118, 7, v4
; %bb.224:                              ;   in Loop: Header=BB239_16 Depth=1
	s_or_b32 exec_lo, exec_lo, s26
	v_lshlrev_b32_e32 v4, 16, v2
	v_lshlrev_b32_e32 v5, 20, v118
	v_lshl_add_u32 v3, v3, 23, 0x3c000000
	v_and_b32_e32 v4, 0x80000000, v4
	v_or3_b32 v4, v5, v4, v3
	v_mov_b32_e32 v3, v119
	buffer_store_dword v3, off, s[0:3], s32 offset:452 ; 4-byte Folded Spill
	buffer_store_dword v4, off, s[0:3], s32 offset:456 ; 4-byte Folded Spill
.LBB239_225:                            ;   in Loop: Header=BB239_16 Depth=1
	s_or_b32 exec_lo, exec_lo, s25
.LBB239_226:                            ;   in Loop: Header=BB239_16 Depth=1
	s_or_b32 exec_lo, exec_lo, s24
.LBB239_227:                            ;   in Loop: Header=BB239_16 Depth=1
	s_or_b32 exec_lo, exec_lo, s23
	v_mov_b32_e32 v4, 0
	v_mov_b32_e32 v5, 0
	;; [unrolled: 1-line block ×3, first 2 shown]
	s_mov_b32 s23, exec_lo
	buffer_store_dword v4, off, s[0:3], s32 offset:460 ; 4-byte Folded Spill
	buffer_store_dword v5, off, s[0:3], s32 offset:464 ; 4-byte Folded Spill
	v_mov_b32_e32 v4, 0
	v_and_b32_sdwa v3, v2, v3 dst_sel:DWORD dst_unused:UNUSED_PAD src0_sel:WORD_1 src1_sel:DWORD
	v_mov_b32_e32 v5, 0
	buffer_store_dword v4, off, s[0:3], s32 offset:468 ; 4-byte Folded Spill
	buffer_store_dword v5, off, s[0:3], s32 offset:472 ; 4-byte Folded Spill
	v_cmpx_ne_u16_e32 0, v3
	s_cbranch_execz .LBB239_235
; %bb.228:                              ;   in Loop: Header=BB239_16 Depth=1
	v_cmp_ne_u16_e64 s5, 0x80, v3
	v_bfrev_b32_e32 v3, 1
	v_mov_b32_e32 v4, 0
	buffer_store_dword v3, off, s[0:3], s32 offset:468 ; 4-byte Folded Spill
	buffer_store_dword v4, off, s[0:3], s32 offset:472 ; 4-byte Folded Spill
	s_and_saveexec_b32 s24, s5
	s_cbranch_execz .LBB239_234
; %bb.229:                              ;   in Loop: Header=BB239_16 Depth=1
	v_mov_b32_e32 v5, 0x7f800001
	v_bfe_u32 v4, v2, 16, 7
	v_mov_b32_e32 v6, 0
	s_mov_b32 s25, exec_lo
	buffer_store_dword v5, off, s[0:3], s32 offset:468 ; 4-byte Folded Spill
	buffer_store_dword v6, off, s[0:3], s32 offset:472 ; 4-byte Folded Spill
	v_cmpx_ne_u32_e32 0x7f, v4
	s_cbranch_execz .LBB239_233
; %bb.230:                              ;   in Loop: Header=BB239_16 Depth=1
	v_mov_b32_e32 v3, 7
	s_mov_b32 s26, exec_lo
	v_and_b32_sdwa v118, v2, v3 dst_sel:DWORD dst_unused:UNUSED_PAD src0_sel:WORD_1 src1_sel:DWORD
	v_lshrrev_b32_e32 v3, 3, v4
	v_cmpx_gt_u32_e32 8, v4
; %bb.231:                              ;   in Loop: Header=BB239_16 Depth=1
	v_ffbh_u32_e32 v3, v118
	v_min_u32_e32 v3, 32, v3
	v_subrev_nc_u32_e32 v4, 28, v3
	v_sub_nc_u32_e32 v3, 29, v3
	v_lshlrev_b64 v[4:5], v4, v[118:119]
	v_and_b32_e32 v118, 7, v4
; %bb.232:                              ;   in Loop: Header=BB239_16 Depth=1
	s_or_b32 exec_lo, exec_lo, s26
	v_mov_b32_e32 v4, 24
	v_lshlrev_b32_e32 v5, 20, v118
	v_lshl_add_u32 v3, v3, 23, 0x3c000000
	v_lshlrev_b32_sdwa v4, v4, v2 dst_sel:DWORD dst_unused:UNUSED_PAD src0_sel:DWORD src1_sel:WORD_1
	v_and_b32_e32 v4, 0x80000000, v4
	v_or3_b32 v118, v5, v4, v3
	buffer_store_dword v118, off, s[0:3], s32 offset:468 ; 4-byte Folded Spill
	buffer_store_dword v119, off, s[0:3], s32 offset:472 ; 4-byte Folded Spill
.LBB239_233:                            ;   in Loop: Header=BB239_16 Depth=1
	s_or_b32 exec_lo, exec_lo, s25
.LBB239_234:                            ;   in Loop: Header=BB239_16 Depth=1
	s_or_b32 exec_lo, exec_lo, s24
.LBB239_235:                            ;   in Loop: Header=BB239_16 Depth=1
	s_or_b32 exec_lo, exec_lo, s23
	s_mov_b32 s23, exec_lo
	v_cmpx_lt_u32_e32 0xffffff, v2
	s_cbranch_execz .LBB239_243
; %bb.236:                              ;   in Loop: Header=BB239_16 Depth=1
	v_mov_b32_e32 v3, 0x80
	v_mov_b32_e32 v50, v119
	buffer_store_dword v50, off, s[0:3], s32 offset:460 ; 4-byte Folded Spill
	buffer_store_dword v51, off, s[0:3], s32 offset:464 ; 4-byte Folded Spill
	v_cmp_ne_u32_sdwa s5, v2, v3 src0_sel:BYTE_3 src1_sel:DWORD
	s_and_saveexec_b32 s24, s5
	s_cbranch_execz .LBB239_242
; %bb.237:                              ;   in Loop: Header=BB239_16 Depth=1
	s_clause 0x1
	buffer_load_dword v5, off, s[0:3], s32 offset:200
	buffer_load_dword v6, off, s[0:3], s32 offset:204
	v_bfe_u32 v4, v2, 24, 7
	s_waitcnt vmcnt(1)
	v_mov_b32_e32 v5, v119
	s_mov_b32 s25, exec_lo
	s_waitcnt vmcnt(0)
	v_mov_b32_e32 v3, v6
	buffer_store_dword v2, off, s[0:3], s32 offset:200 ; 4-byte Folded Spill
	buffer_store_dword v3, off, s[0:3], s32 offset:204 ; 4-byte Folded Spill
	;; [unrolled: 1-line block ×4, first 2 shown]
	v_cmpx_ne_u32_e32 0x7f, v4
	s_cbranch_execz .LBB239_241
; %bb.238:                              ;   in Loop: Header=BB239_16 Depth=1
	v_mov_b32_e32 v3, 7
	s_mov_b32 s26, exec_lo
	v_and_b32_sdwa v118, v2, v3 dst_sel:DWORD dst_unused:UNUSED_PAD src0_sel:BYTE_3 src1_sel:DWORD
	v_lshrrev_b32_e32 v3, 3, v4
	v_cmpx_gt_u32_e32 8, v4
; %bb.239:                              ;   in Loop: Header=BB239_16 Depth=1
	v_ffbh_u32_e32 v3, v118
	v_min_u32_e32 v3, 32, v3
	v_subrev_nc_u32_e32 v4, 28, v3
	v_sub_nc_u32_e32 v3, 29, v3
	v_lshlrev_b64 v[4:5], v4, v[118:119]
	v_and_b32_e32 v118, 7, v4
; %bb.240:                              ;   in Loop: Header=BB239_16 Depth=1
	s_or_b32 exec_lo, exec_lo, s26
	v_mov_b32_e32 v4, 24
	v_lshl_add_u32 v3, v3, 23, 0x3c000000
	v_lshlrev_b32_sdwa v2, v4, v2 dst_sel:DWORD dst_unused:UNUSED_PAD src0_sel:DWORD src1_sel:BYTE_3
	v_lshlrev_b32_e32 v4, 20, v118
	v_and_b32_e32 v2, 0x80000000, v2
	v_or3_b32 v3, v4, v2, v3
	v_mov_b32_e32 v2, v119
	buffer_store_dword v2, off, s[0:3], s32 offset:460 ; 4-byte Folded Spill
	buffer_store_dword v3, off, s[0:3], s32 offset:464 ; 4-byte Folded Spill
.LBB239_241:                            ;   in Loop: Header=BB239_16 Depth=1
	s_or_b32 exec_lo, exec_lo, s25
.LBB239_242:                            ;   in Loop: Header=BB239_16 Depth=1
	s_or_b32 exec_lo, exec_lo, s24
.LBB239_243:                            ;   in Loop: Header=BB239_16 Depth=1
	s_or_b32 exec_lo, exec_lo, s23
	flat_load_dword v2, v[0:1] offset:524
	v_mov_b32_e32 v3, 0
	v_mov_b32_e32 v4, 0
	buffer_store_dword v3, off, s[0:3], s32 offset:484 ; 4-byte Folded Spill
	buffer_store_dword v4, off, s[0:3], s32 offset:488 ; 4-byte Folded Spill
	v_mov_b32_e32 v3, 0
	v_mov_b32_e32 v4, 0
	buffer_store_dword v3, off, s[0:3], s32 offset:476 ; 4-byte Folded Spill
	buffer_store_dword v4, off, s[0:3], s32 offset:480 ; 4-byte Folded Spill
	s_waitcnt vmcnt(0) lgkmcnt(0)
	v_cmp_ne_u16_sdwa s5, v2, v119 src0_sel:BYTE_0 src1_sel:DWORD
	s_and_saveexec_b32 s23, s5
	s_cbranch_execz .LBB239_251
; %bb.244:                              ;   in Loop: Header=BB239_16 Depth=1
	v_bfrev_b32_e32 v3, 1
	v_mov_b32_e32 v4, 0
	buffer_store_dword v3, off, s[0:3], s32 offset:476 ; 4-byte Folded Spill
	buffer_store_dword v4, off, s[0:3], s32 offset:480 ; 4-byte Folded Spill
	v_mov_b32_e32 v3, 0x80
	v_cmp_ne_u16_sdwa s5, v2, v3 src0_sel:BYTE_0 src1_sel:DWORD
	s_and_saveexec_b32 s24, s5
	s_cbranch_execz .LBB239_250
; %bb.245:                              ;   in Loop: Header=BB239_16 Depth=1
	v_mov_b32_e32 v5, 0x7f800001
	v_and_b32_e32 v4, 0x7f, v2
	v_mov_b32_e32 v6, 0
	s_mov_b32 s25, exec_lo
	buffer_store_dword v5, off, s[0:3], s32 offset:476 ; 4-byte Folded Spill
	buffer_store_dword v6, off, s[0:3], s32 offset:480 ; 4-byte Folded Spill
	v_cmpx_ne_u32_e32 0x7f, v4
	s_cbranch_execz .LBB239_249
; %bb.246:                              ;   in Loop: Header=BB239_16 Depth=1
	v_and_b32_e32 v118, 7, v2
	v_lshrrev_b32_e32 v3, 3, v4
	s_mov_b32 s26, exec_lo
	v_cmpx_gt_u32_e32 8, v4
; %bb.247:                              ;   in Loop: Header=BB239_16 Depth=1
	v_ffbh_u32_e32 v3, v118
	v_min_u32_e32 v3, 32, v3
	v_subrev_nc_u32_e32 v4, 28, v3
	v_sub_nc_u32_e32 v3, 29, v3
	v_lshlrev_b64 v[4:5], v4, v[118:119]
	v_and_b32_e32 v118, 7, v4
; %bb.248:                              ;   in Loop: Header=BB239_16 Depth=1
	s_or_b32 exec_lo, exec_lo, s26
	v_lshlrev_b32_e32 v4, 24, v2
	v_lshlrev_b32_e32 v5, 20, v118
	v_lshl_add_u32 v3, v3, 23, 0x3c000000
	v_and_b32_e32 v4, 0x80000000, v4
	v_or3_b32 v118, v5, v4, v3
	buffer_store_dword v118, off, s[0:3], s32 offset:476 ; 4-byte Folded Spill
	buffer_store_dword v119, off, s[0:3], s32 offset:480 ; 4-byte Folded Spill
.LBB239_249:                            ;   in Loop: Header=BB239_16 Depth=1
	s_or_b32 exec_lo, exec_lo, s25
.LBB239_250:                            ;   in Loop: Header=BB239_16 Depth=1
	s_or_b32 exec_lo, exec_lo, s24
.LBB239_251:                            ;   in Loop: Header=BB239_16 Depth=1
	s_or_b32 exec_lo, exec_lo, s23
	v_cmp_ne_u16_sdwa s5, v2, v119 src0_sel:BYTE_1 src1_sel:DWORD
	s_and_saveexec_b32 s23, s5
	s_cbranch_execz .LBB239_259
; %bb.252:                              ;   in Loop: Header=BB239_16 Depth=1
	v_mov_b32_e32 v3, 0x80
	v_mov_b32_e32 v50, v119
	buffer_store_dword v50, off, s[0:3], s32 offset:484 ; 4-byte Folded Spill
	buffer_store_dword v51, off, s[0:3], s32 offset:488 ; 4-byte Folded Spill
	v_cmp_ne_u16_sdwa s5, v2, v3 src0_sel:BYTE_1 src1_sel:DWORD
	s_and_saveexec_b32 s24, s5
	s_cbranch_execz .LBB239_258
; %bb.253:                              ;   in Loop: Header=BB239_16 Depth=1
	s_clause 0x1
	buffer_load_dword v5, off, s[0:3], s32 offset:200
	buffer_load_dword v6, off, s[0:3], s32 offset:204
	v_mov_b32_e32 v3, 0xffff
	s_mov_b32 s25, exec_lo
	v_and_b32_sdwa v3, v3, v2 dst_sel:DWORD dst_unused:UNUSED_PAD src0_sel:DWORD src1_sel:BYTE_1
	v_and_b32_e32 v4, 0x7f, v3
	s_waitcnt vmcnt(0)
	v_mov_b32_e32 v7, v6
	v_mov_b32_e32 v6, v119
	;; [unrolled: 1-line block ×3, first 2 shown]
	buffer_store_dword v4, off, s[0:3], s32 offset:200 ; 4-byte Folded Spill
	buffer_store_dword v5, off, s[0:3], s32 offset:204 ; 4-byte Folded Spill
	;; [unrolled: 1-line block ×4, first 2 shown]
	v_cmpx_ne_u32_e32 0x7f, v4
	s_cbranch_execz .LBB239_257
; %bb.254:                              ;   in Loop: Header=BB239_16 Depth=1
	v_and_b32_e32 v118, 7, v3
	v_lshrrev_b32_e32 v3, 3, v4
	s_mov_b32 s26, exec_lo
	v_cmpx_gt_u32_e32 8, v4
; %bb.255:                              ;   in Loop: Header=BB239_16 Depth=1
	v_ffbh_u32_e32 v3, v118
	v_min_u32_e32 v3, 32, v3
	v_subrev_nc_u32_e32 v4, 28, v3
	v_sub_nc_u32_e32 v3, 29, v3
	v_lshlrev_b64 v[4:5], v4, v[118:119]
	v_and_b32_e32 v118, 7, v4
; %bb.256:                              ;   in Loop: Header=BB239_16 Depth=1
	s_or_b32 exec_lo, exec_lo, s26
	v_lshlrev_b32_e32 v4, 16, v2
	v_lshlrev_b32_e32 v5, 20, v118
	v_lshl_add_u32 v3, v3, 23, 0x3c000000
	v_and_b32_e32 v4, 0x80000000, v4
	v_or3_b32 v4, v5, v4, v3
	v_mov_b32_e32 v3, v119
	buffer_store_dword v3, off, s[0:3], s32 offset:484 ; 4-byte Folded Spill
	buffer_store_dword v4, off, s[0:3], s32 offset:488 ; 4-byte Folded Spill
.LBB239_257:                            ;   in Loop: Header=BB239_16 Depth=1
	s_or_b32 exec_lo, exec_lo, s25
.LBB239_258:                            ;   in Loop: Header=BB239_16 Depth=1
	s_or_b32 exec_lo, exec_lo, s24
.LBB239_259:                            ;   in Loop: Header=BB239_16 Depth=1
	s_or_b32 exec_lo, exec_lo, s23
	v_mov_b32_e32 v4, 0
	v_mov_b32_e32 v5, 0
	;; [unrolled: 1-line block ×3, first 2 shown]
	s_mov_b32 s23, exec_lo
	buffer_store_dword v4, off, s[0:3], s32 offset:492 ; 4-byte Folded Spill
	buffer_store_dword v5, off, s[0:3], s32 offset:496 ; 4-byte Folded Spill
	v_mov_b32_e32 v4, 0
	v_and_b32_sdwa v3, v2, v3 dst_sel:DWORD dst_unused:UNUSED_PAD src0_sel:WORD_1 src1_sel:DWORD
	v_mov_b32_e32 v5, 0
	buffer_store_dword v4, off, s[0:3], s32 offset:500 ; 4-byte Folded Spill
	buffer_store_dword v5, off, s[0:3], s32 offset:504 ; 4-byte Folded Spill
	v_cmpx_ne_u16_e32 0, v3
	s_cbranch_execz .LBB239_267
; %bb.260:                              ;   in Loop: Header=BB239_16 Depth=1
	v_cmp_ne_u16_e64 s5, 0x80, v3
	v_bfrev_b32_e32 v3, 1
	v_mov_b32_e32 v4, 0
	buffer_store_dword v3, off, s[0:3], s32 offset:500 ; 4-byte Folded Spill
	buffer_store_dword v4, off, s[0:3], s32 offset:504 ; 4-byte Folded Spill
	s_and_saveexec_b32 s24, s5
	s_cbranch_execz .LBB239_266
; %bb.261:                              ;   in Loop: Header=BB239_16 Depth=1
	v_mov_b32_e32 v5, 0x7f800001
	v_bfe_u32 v4, v2, 16, 7
	v_mov_b32_e32 v6, 0
	s_mov_b32 s25, exec_lo
	buffer_store_dword v5, off, s[0:3], s32 offset:500 ; 4-byte Folded Spill
	buffer_store_dword v6, off, s[0:3], s32 offset:504 ; 4-byte Folded Spill
	v_cmpx_ne_u32_e32 0x7f, v4
	s_cbranch_execz .LBB239_265
; %bb.262:                              ;   in Loop: Header=BB239_16 Depth=1
	v_mov_b32_e32 v3, 7
	s_mov_b32 s26, exec_lo
	v_and_b32_sdwa v118, v2, v3 dst_sel:DWORD dst_unused:UNUSED_PAD src0_sel:WORD_1 src1_sel:DWORD
	v_lshrrev_b32_e32 v3, 3, v4
	v_cmpx_gt_u32_e32 8, v4
; %bb.263:                              ;   in Loop: Header=BB239_16 Depth=1
	v_ffbh_u32_e32 v3, v118
	v_min_u32_e32 v3, 32, v3
	v_subrev_nc_u32_e32 v4, 28, v3
	v_sub_nc_u32_e32 v3, 29, v3
	v_lshlrev_b64 v[4:5], v4, v[118:119]
	v_and_b32_e32 v118, 7, v4
; %bb.264:                              ;   in Loop: Header=BB239_16 Depth=1
	s_or_b32 exec_lo, exec_lo, s26
	v_mov_b32_e32 v4, 24
	v_lshlrev_b32_e32 v5, 20, v118
	v_lshl_add_u32 v3, v3, 23, 0x3c000000
	v_lshlrev_b32_sdwa v4, v4, v2 dst_sel:DWORD dst_unused:UNUSED_PAD src0_sel:DWORD src1_sel:WORD_1
	v_and_b32_e32 v4, 0x80000000, v4
	v_or3_b32 v118, v5, v4, v3
	buffer_store_dword v118, off, s[0:3], s32 offset:500 ; 4-byte Folded Spill
	buffer_store_dword v119, off, s[0:3], s32 offset:504 ; 4-byte Folded Spill
.LBB239_265:                            ;   in Loop: Header=BB239_16 Depth=1
	s_or_b32 exec_lo, exec_lo, s25
.LBB239_266:                            ;   in Loop: Header=BB239_16 Depth=1
	s_or_b32 exec_lo, exec_lo, s24
.LBB239_267:                            ;   in Loop: Header=BB239_16 Depth=1
	s_or_b32 exec_lo, exec_lo, s23
	s_mov_b32 s23, exec_lo
	v_cmpx_lt_u32_e32 0xffffff, v2
	s_cbranch_execz .LBB239_275
; %bb.268:                              ;   in Loop: Header=BB239_16 Depth=1
	v_mov_b32_e32 v3, 0x80
	v_mov_b32_e32 v50, v119
	buffer_store_dword v50, off, s[0:3], s32 offset:492 ; 4-byte Folded Spill
	buffer_store_dword v51, off, s[0:3], s32 offset:496 ; 4-byte Folded Spill
	v_cmp_ne_u32_sdwa s5, v2, v3 src0_sel:BYTE_3 src1_sel:DWORD
	s_and_saveexec_b32 s24, s5
	s_cbranch_execz .LBB239_274
; %bb.269:                              ;   in Loop: Header=BB239_16 Depth=1
	s_clause 0x1
	buffer_load_dword v5, off, s[0:3], s32 offset:200
	buffer_load_dword v6, off, s[0:3], s32 offset:204
	v_bfe_u32 v4, v2, 24, 7
	s_waitcnt vmcnt(1)
	v_mov_b32_e32 v5, v119
	s_mov_b32 s25, exec_lo
	s_waitcnt vmcnt(0)
	v_mov_b32_e32 v3, v6
	buffer_store_dword v2, off, s[0:3], s32 offset:200 ; 4-byte Folded Spill
	buffer_store_dword v3, off, s[0:3], s32 offset:204 ; 4-byte Folded Spill
	;; [unrolled: 1-line block ×4, first 2 shown]
	v_cmpx_ne_u32_e32 0x7f, v4
	s_cbranch_execz .LBB239_273
; %bb.270:                              ;   in Loop: Header=BB239_16 Depth=1
	v_mov_b32_e32 v3, 7
	s_mov_b32 s26, exec_lo
	v_and_b32_sdwa v118, v2, v3 dst_sel:DWORD dst_unused:UNUSED_PAD src0_sel:BYTE_3 src1_sel:DWORD
	v_lshrrev_b32_e32 v3, 3, v4
	v_cmpx_gt_u32_e32 8, v4
; %bb.271:                              ;   in Loop: Header=BB239_16 Depth=1
	v_ffbh_u32_e32 v3, v118
	v_min_u32_e32 v3, 32, v3
	v_subrev_nc_u32_e32 v4, 28, v3
	v_sub_nc_u32_e32 v3, 29, v3
	v_lshlrev_b64 v[4:5], v4, v[118:119]
	v_and_b32_e32 v118, 7, v4
; %bb.272:                              ;   in Loop: Header=BB239_16 Depth=1
	s_or_b32 exec_lo, exec_lo, s26
	v_mov_b32_e32 v4, 24
	v_lshl_add_u32 v3, v3, 23, 0x3c000000
	v_lshlrev_b32_sdwa v2, v4, v2 dst_sel:DWORD dst_unused:UNUSED_PAD src0_sel:DWORD src1_sel:BYTE_3
	v_lshlrev_b32_e32 v4, 20, v118
	v_and_b32_e32 v2, 0x80000000, v2
	v_or3_b32 v3, v4, v2, v3
	v_mov_b32_e32 v2, v119
	buffer_store_dword v2, off, s[0:3], s32 offset:492 ; 4-byte Folded Spill
	buffer_store_dword v3, off, s[0:3], s32 offset:496 ; 4-byte Folded Spill
.LBB239_273:                            ;   in Loop: Header=BB239_16 Depth=1
	s_or_b32 exec_lo, exec_lo, s25
.LBB239_274:                            ;   in Loop: Header=BB239_16 Depth=1
	s_or_b32 exec_lo, exec_lo, s24
.LBB239_275:                            ;   in Loop: Header=BB239_16 Depth=1
	s_or_b32 exec_lo, exec_lo, s23
	flat_load_dword v2, v[0:1] offset:1024
	v_mov_b32_e32 v3, 0
	v_mov_b32_e32 v4, 0
	buffer_store_dword v3, off, s[0:3], s32 offset:516 ; 4-byte Folded Spill
	buffer_store_dword v4, off, s[0:3], s32 offset:520 ; 4-byte Folded Spill
	v_mov_b32_e32 v3, 0
	v_mov_b32_e32 v4, 0
	buffer_store_dword v3, off, s[0:3], s32 offset:508 ; 4-byte Folded Spill
	buffer_store_dword v4, off, s[0:3], s32 offset:512 ; 4-byte Folded Spill
	s_waitcnt vmcnt(0) lgkmcnt(0)
	v_cmp_ne_u16_sdwa s5, v2, v119 src0_sel:BYTE_0 src1_sel:DWORD
	s_and_saveexec_b32 s23, s5
	s_cbranch_execz .LBB239_283
; %bb.276:                              ;   in Loop: Header=BB239_16 Depth=1
	v_bfrev_b32_e32 v3, 1
	v_mov_b32_e32 v4, 0
	buffer_store_dword v3, off, s[0:3], s32 offset:508 ; 4-byte Folded Spill
	buffer_store_dword v4, off, s[0:3], s32 offset:512 ; 4-byte Folded Spill
	v_mov_b32_e32 v3, 0x80
	v_cmp_ne_u16_sdwa s5, v2, v3 src0_sel:BYTE_0 src1_sel:DWORD
	s_and_saveexec_b32 s24, s5
	s_cbranch_execz .LBB239_282
; %bb.277:                              ;   in Loop: Header=BB239_16 Depth=1
	v_mov_b32_e32 v5, 0x7f800001
	v_and_b32_e32 v4, 0x7f, v2
	v_mov_b32_e32 v6, 0
	s_mov_b32 s25, exec_lo
	buffer_store_dword v5, off, s[0:3], s32 offset:508 ; 4-byte Folded Spill
	buffer_store_dword v6, off, s[0:3], s32 offset:512 ; 4-byte Folded Spill
	v_cmpx_ne_u32_e32 0x7f, v4
	s_cbranch_execz .LBB239_281
; %bb.278:                              ;   in Loop: Header=BB239_16 Depth=1
	v_and_b32_e32 v118, 7, v2
	v_lshrrev_b32_e32 v3, 3, v4
	s_mov_b32 s26, exec_lo
	v_cmpx_gt_u32_e32 8, v4
; %bb.279:                              ;   in Loop: Header=BB239_16 Depth=1
	v_ffbh_u32_e32 v3, v118
	v_min_u32_e32 v3, 32, v3
	v_subrev_nc_u32_e32 v4, 28, v3
	v_sub_nc_u32_e32 v3, 29, v3
	v_lshlrev_b64 v[4:5], v4, v[118:119]
	v_and_b32_e32 v118, 7, v4
; %bb.280:                              ;   in Loop: Header=BB239_16 Depth=1
	s_or_b32 exec_lo, exec_lo, s26
	v_lshlrev_b32_e32 v4, 24, v2
	v_lshlrev_b32_e32 v5, 20, v118
	v_lshl_add_u32 v3, v3, 23, 0x3c000000
	v_and_b32_e32 v4, 0x80000000, v4
	v_or3_b32 v118, v5, v4, v3
	buffer_store_dword v118, off, s[0:3], s32 offset:508 ; 4-byte Folded Spill
	buffer_store_dword v119, off, s[0:3], s32 offset:512 ; 4-byte Folded Spill
.LBB239_281:                            ;   in Loop: Header=BB239_16 Depth=1
	s_or_b32 exec_lo, exec_lo, s25
.LBB239_282:                            ;   in Loop: Header=BB239_16 Depth=1
	s_or_b32 exec_lo, exec_lo, s24
.LBB239_283:                            ;   in Loop: Header=BB239_16 Depth=1
	s_or_b32 exec_lo, exec_lo, s23
	v_cmp_ne_u16_sdwa s5, v2, v119 src0_sel:BYTE_1 src1_sel:DWORD
	s_and_saveexec_b32 s23, s5
	s_cbranch_execz .LBB239_291
; %bb.284:                              ;   in Loop: Header=BB239_16 Depth=1
	v_mov_b32_e32 v3, 0x80
	v_mov_b32_e32 v50, v119
	buffer_store_dword v50, off, s[0:3], s32 offset:516 ; 4-byte Folded Spill
	buffer_store_dword v51, off, s[0:3], s32 offset:520 ; 4-byte Folded Spill
	v_cmp_ne_u16_sdwa s5, v2, v3 src0_sel:BYTE_1 src1_sel:DWORD
	s_and_saveexec_b32 s24, s5
	s_cbranch_execz .LBB239_290
; %bb.285:                              ;   in Loop: Header=BB239_16 Depth=1
	s_clause 0x1
	buffer_load_dword v5, off, s[0:3], s32 offset:200
	buffer_load_dword v6, off, s[0:3], s32 offset:204
	v_mov_b32_e32 v3, 0xffff
	s_mov_b32 s25, exec_lo
	v_and_b32_sdwa v3, v3, v2 dst_sel:DWORD dst_unused:UNUSED_PAD src0_sel:DWORD src1_sel:BYTE_1
	v_and_b32_e32 v4, 0x7f, v3
	s_waitcnt vmcnt(0)
	v_mov_b32_e32 v7, v6
	v_mov_b32_e32 v6, v119
	;; [unrolled: 1-line block ×3, first 2 shown]
	buffer_store_dword v4, off, s[0:3], s32 offset:200 ; 4-byte Folded Spill
	buffer_store_dword v5, off, s[0:3], s32 offset:204 ; 4-byte Folded Spill
	;; [unrolled: 1-line block ×4, first 2 shown]
	v_cmpx_ne_u32_e32 0x7f, v4
	s_cbranch_execz .LBB239_289
; %bb.286:                              ;   in Loop: Header=BB239_16 Depth=1
	v_and_b32_e32 v118, 7, v3
	v_lshrrev_b32_e32 v3, 3, v4
	s_mov_b32 s26, exec_lo
	v_cmpx_gt_u32_e32 8, v4
; %bb.287:                              ;   in Loop: Header=BB239_16 Depth=1
	v_ffbh_u32_e32 v3, v118
	v_min_u32_e32 v3, 32, v3
	v_subrev_nc_u32_e32 v4, 28, v3
	v_sub_nc_u32_e32 v3, 29, v3
	v_lshlrev_b64 v[4:5], v4, v[118:119]
	v_and_b32_e32 v118, 7, v4
; %bb.288:                              ;   in Loop: Header=BB239_16 Depth=1
	s_or_b32 exec_lo, exec_lo, s26
	v_lshlrev_b32_e32 v4, 16, v2
	v_lshlrev_b32_e32 v5, 20, v118
	v_lshl_add_u32 v3, v3, 23, 0x3c000000
	v_and_b32_e32 v4, 0x80000000, v4
	v_or3_b32 v4, v5, v4, v3
	v_mov_b32_e32 v3, v119
	buffer_store_dword v3, off, s[0:3], s32 offset:516 ; 4-byte Folded Spill
	buffer_store_dword v4, off, s[0:3], s32 offset:520 ; 4-byte Folded Spill
.LBB239_289:                            ;   in Loop: Header=BB239_16 Depth=1
	s_or_b32 exec_lo, exec_lo, s25
.LBB239_290:                            ;   in Loop: Header=BB239_16 Depth=1
	s_or_b32 exec_lo, exec_lo, s24
.LBB239_291:                            ;   in Loop: Header=BB239_16 Depth=1
	s_or_b32 exec_lo, exec_lo, s23
	v_mov_b32_e32 v4, 0
	v_mov_b32_e32 v5, 0
	;; [unrolled: 1-line block ×3, first 2 shown]
	s_mov_b32 s23, exec_lo
	buffer_store_dword v4, off, s[0:3], s32 offset:524 ; 4-byte Folded Spill
	buffer_store_dword v5, off, s[0:3], s32 offset:528 ; 4-byte Folded Spill
	v_mov_b32_e32 v4, 0
	v_and_b32_sdwa v3, v2, v3 dst_sel:DWORD dst_unused:UNUSED_PAD src0_sel:WORD_1 src1_sel:DWORD
	v_mov_b32_e32 v5, 0
	buffer_store_dword v4, off, s[0:3], s32 offset:532 ; 4-byte Folded Spill
	buffer_store_dword v5, off, s[0:3], s32 offset:536 ; 4-byte Folded Spill
	v_cmpx_ne_u16_e32 0, v3
	s_cbranch_execz .LBB239_299
; %bb.292:                              ;   in Loop: Header=BB239_16 Depth=1
	v_cmp_ne_u16_e64 s5, 0x80, v3
	v_bfrev_b32_e32 v3, 1
	v_mov_b32_e32 v4, 0
	buffer_store_dword v3, off, s[0:3], s32 offset:532 ; 4-byte Folded Spill
	buffer_store_dword v4, off, s[0:3], s32 offset:536 ; 4-byte Folded Spill
	s_and_saveexec_b32 s24, s5
	s_cbranch_execz .LBB239_298
; %bb.293:                              ;   in Loop: Header=BB239_16 Depth=1
	v_mov_b32_e32 v5, 0x7f800001
	v_bfe_u32 v4, v2, 16, 7
	v_mov_b32_e32 v6, 0
	s_mov_b32 s25, exec_lo
	buffer_store_dword v5, off, s[0:3], s32 offset:532 ; 4-byte Folded Spill
	buffer_store_dword v6, off, s[0:3], s32 offset:536 ; 4-byte Folded Spill
	v_cmpx_ne_u32_e32 0x7f, v4
	s_cbranch_execz .LBB239_297
; %bb.294:                              ;   in Loop: Header=BB239_16 Depth=1
	v_mov_b32_e32 v3, 7
	s_mov_b32 s26, exec_lo
	v_and_b32_sdwa v118, v2, v3 dst_sel:DWORD dst_unused:UNUSED_PAD src0_sel:WORD_1 src1_sel:DWORD
	v_lshrrev_b32_e32 v3, 3, v4
	v_cmpx_gt_u32_e32 8, v4
; %bb.295:                              ;   in Loop: Header=BB239_16 Depth=1
	v_ffbh_u32_e32 v3, v118
	v_min_u32_e32 v3, 32, v3
	v_subrev_nc_u32_e32 v4, 28, v3
	v_sub_nc_u32_e32 v3, 29, v3
	v_lshlrev_b64 v[4:5], v4, v[118:119]
	v_and_b32_e32 v118, 7, v4
; %bb.296:                              ;   in Loop: Header=BB239_16 Depth=1
	s_or_b32 exec_lo, exec_lo, s26
	v_mov_b32_e32 v4, 24
	v_lshlrev_b32_e32 v5, 20, v118
	v_lshl_add_u32 v3, v3, 23, 0x3c000000
	v_lshlrev_b32_sdwa v4, v4, v2 dst_sel:DWORD dst_unused:UNUSED_PAD src0_sel:DWORD src1_sel:WORD_1
	v_and_b32_e32 v4, 0x80000000, v4
	v_or3_b32 v118, v5, v4, v3
	buffer_store_dword v118, off, s[0:3], s32 offset:532 ; 4-byte Folded Spill
	buffer_store_dword v119, off, s[0:3], s32 offset:536 ; 4-byte Folded Spill
.LBB239_297:                            ;   in Loop: Header=BB239_16 Depth=1
	s_or_b32 exec_lo, exec_lo, s25
.LBB239_298:                            ;   in Loop: Header=BB239_16 Depth=1
	s_or_b32 exec_lo, exec_lo, s24
.LBB239_299:                            ;   in Loop: Header=BB239_16 Depth=1
	s_or_b32 exec_lo, exec_lo, s23
	s_mov_b32 s23, exec_lo
	v_cmpx_lt_u32_e32 0xffffff, v2
	s_cbranch_execz .LBB239_307
; %bb.300:                              ;   in Loop: Header=BB239_16 Depth=1
	v_mov_b32_e32 v3, 0x80
	v_mov_b32_e32 v50, v119
	buffer_store_dword v50, off, s[0:3], s32 offset:524 ; 4-byte Folded Spill
	buffer_store_dword v51, off, s[0:3], s32 offset:528 ; 4-byte Folded Spill
	v_cmp_ne_u32_sdwa s5, v2, v3 src0_sel:BYTE_3 src1_sel:DWORD
	s_and_saveexec_b32 s24, s5
	s_cbranch_execz .LBB239_306
; %bb.301:                              ;   in Loop: Header=BB239_16 Depth=1
	s_clause 0x1
	buffer_load_dword v5, off, s[0:3], s32 offset:200
	buffer_load_dword v6, off, s[0:3], s32 offset:204
	v_bfe_u32 v4, v2, 24, 7
	s_waitcnt vmcnt(1)
	v_mov_b32_e32 v5, v119
	s_mov_b32 s25, exec_lo
	s_waitcnt vmcnt(0)
	v_mov_b32_e32 v3, v6
	buffer_store_dword v2, off, s[0:3], s32 offset:200 ; 4-byte Folded Spill
	buffer_store_dword v3, off, s[0:3], s32 offset:204 ; 4-byte Folded Spill
	;; [unrolled: 1-line block ×4, first 2 shown]
	v_cmpx_ne_u32_e32 0x7f, v4
	s_cbranch_execz .LBB239_305
; %bb.302:                              ;   in Loop: Header=BB239_16 Depth=1
	v_mov_b32_e32 v3, 7
	s_mov_b32 s26, exec_lo
	v_and_b32_sdwa v118, v2, v3 dst_sel:DWORD dst_unused:UNUSED_PAD src0_sel:BYTE_3 src1_sel:DWORD
	v_lshrrev_b32_e32 v3, 3, v4
	v_cmpx_gt_u32_e32 8, v4
; %bb.303:                              ;   in Loop: Header=BB239_16 Depth=1
	v_ffbh_u32_e32 v3, v118
	v_min_u32_e32 v3, 32, v3
	v_subrev_nc_u32_e32 v4, 28, v3
	v_sub_nc_u32_e32 v3, 29, v3
	v_lshlrev_b64 v[4:5], v4, v[118:119]
	v_and_b32_e32 v118, 7, v4
; %bb.304:                              ;   in Loop: Header=BB239_16 Depth=1
	s_or_b32 exec_lo, exec_lo, s26
	v_mov_b32_e32 v4, 24
	v_lshl_add_u32 v3, v3, 23, 0x3c000000
	v_lshlrev_b32_sdwa v2, v4, v2 dst_sel:DWORD dst_unused:UNUSED_PAD src0_sel:DWORD src1_sel:BYTE_3
	v_lshlrev_b32_e32 v4, 20, v118
	v_and_b32_e32 v2, 0x80000000, v2
	v_or3_b32 v3, v4, v2, v3
	v_mov_b32_e32 v2, v119
	buffer_store_dword v2, off, s[0:3], s32 offset:524 ; 4-byte Folded Spill
	buffer_store_dword v3, off, s[0:3], s32 offset:528 ; 4-byte Folded Spill
.LBB239_305:                            ;   in Loop: Header=BB239_16 Depth=1
	s_or_b32 exec_lo, exec_lo, s25
.LBB239_306:                            ;   in Loop: Header=BB239_16 Depth=1
	s_or_b32 exec_lo, exec_lo, s24
.LBB239_307:                            ;   in Loop: Header=BB239_16 Depth=1
	s_or_b32 exec_lo, exec_lo, s23
	flat_load_dword v2, v[0:1] offset:1028
	v_mov_b32_e32 v3, 0
	v_mov_b32_e32 v4, 0
	buffer_store_dword v3, off, s[0:3], s32 offset:548 ; 4-byte Folded Spill
	buffer_store_dword v4, off, s[0:3], s32 offset:552 ; 4-byte Folded Spill
	v_mov_b32_e32 v3, 0
	v_mov_b32_e32 v4, 0
	buffer_store_dword v3, off, s[0:3], s32 offset:540 ; 4-byte Folded Spill
	buffer_store_dword v4, off, s[0:3], s32 offset:544 ; 4-byte Folded Spill
	s_waitcnt vmcnt(0) lgkmcnt(0)
	v_cmp_ne_u16_sdwa s5, v2, v119 src0_sel:BYTE_0 src1_sel:DWORD
	s_and_saveexec_b32 s23, s5
	s_cbranch_execz .LBB239_315
; %bb.308:                              ;   in Loop: Header=BB239_16 Depth=1
	v_bfrev_b32_e32 v3, 1
	v_mov_b32_e32 v4, 0
	buffer_store_dword v3, off, s[0:3], s32 offset:540 ; 4-byte Folded Spill
	buffer_store_dword v4, off, s[0:3], s32 offset:544 ; 4-byte Folded Spill
	v_mov_b32_e32 v3, 0x80
	v_cmp_ne_u16_sdwa s5, v2, v3 src0_sel:BYTE_0 src1_sel:DWORD
	s_and_saveexec_b32 s24, s5
	s_cbranch_execz .LBB239_314
; %bb.309:                              ;   in Loop: Header=BB239_16 Depth=1
	v_mov_b32_e32 v5, 0x7f800001
	v_and_b32_e32 v4, 0x7f, v2
	v_mov_b32_e32 v6, 0
	s_mov_b32 s25, exec_lo
	buffer_store_dword v5, off, s[0:3], s32 offset:540 ; 4-byte Folded Spill
	buffer_store_dword v6, off, s[0:3], s32 offset:544 ; 4-byte Folded Spill
	v_cmpx_ne_u32_e32 0x7f, v4
	s_cbranch_execz .LBB239_313
; %bb.310:                              ;   in Loop: Header=BB239_16 Depth=1
	v_and_b32_e32 v118, 7, v2
	v_lshrrev_b32_e32 v3, 3, v4
	s_mov_b32 s26, exec_lo
	v_cmpx_gt_u32_e32 8, v4
; %bb.311:                              ;   in Loop: Header=BB239_16 Depth=1
	v_ffbh_u32_e32 v3, v118
	v_min_u32_e32 v3, 32, v3
	v_subrev_nc_u32_e32 v4, 28, v3
	v_sub_nc_u32_e32 v3, 29, v3
	v_lshlrev_b64 v[4:5], v4, v[118:119]
	v_and_b32_e32 v118, 7, v4
; %bb.312:                              ;   in Loop: Header=BB239_16 Depth=1
	s_or_b32 exec_lo, exec_lo, s26
	v_lshlrev_b32_e32 v4, 24, v2
	v_lshlrev_b32_e32 v5, 20, v118
	v_lshl_add_u32 v3, v3, 23, 0x3c000000
	v_and_b32_e32 v4, 0x80000000, v4
	v_or3_b32 v118, v5, v4, v3
	buffer_store_dword v118, off, s[0:3], s32 offset:540 ; 4-byte Folded Spill
	buffer_store_dword v119, off, s[0:3], s32 offset:544 ; 4-byte Folded Spill
.LBB239_313:                            ;   in Loop: Header=BB239_16 Depth=1
	s_or_b32 exec_lo, exec_lo, s25
.LBB239_314:                            ;   in Loop: Header=BB239_16 Depth=1
	s_or_b32 exec_lo, exec_lo, s24
.LBB239_315:                            ;   in Loop: Header=BB239_16 Depth=1
	s_or_b32 exec_lo, exec_lo, s23
	v_cmp_ne_u16_sdwa s5, v2, v119 src0_sel:BYTE_1 src1_sel:DWORD
	s_and_saveexec_b32 s23, s5
	s_cbranch_execz .LBB239_323
; %bb.316:                              ;   in Loop: Header=BB239_16 Depth=1
	v_mov_b32_e32 v3, 0x80
	v_mov_b32_e32 v50, v119
	buffer_store_dword v50, off, s[0:3], s32 offset:548 ; 4-byte Folded Spill
	buffer_store_dword v51, off, s[0:3], s32 offset:552 ; 4-byte Folded Spill
	v_cmp_ne_u16_sdwa s5, v2, v3 src0_sel:BYTE_1 src1_sel:DWORD
	s_and_saveexec_b32 s24, s5
	s_cbranch_execz .LBB239_322
; %bb.317:                              ;   in Loop: Header=BB239_16 Depth=1
	s_clause 0x1
	buffer_load_dword v5, off, s[0:3], s32 offset:200
	buffer_load_dword v6, off, s[0:3], s32 offset:204
	v_mov_b32_e32 v3, 0xffff
	s_mov_b32 s25, exec_lo
	v_and_b32_sdwa v3, v3, v2 dst_sel:DWORD dst_unused:UNUSED_PAD src0_sel:DWORD src1_sel:BYTE_1
	v_and_b32_e32 v4, 0x7f, v3
	s_waitcnt vmcnt(0)
	v_mov_b32_e32 v7, v6
	v_mov_b32_e32 v6, v119
	;; [unrolled: 1-line block ×3, first 2 shown]
	buffer_store_dword v4, off, s[0:3], s32 offset:200 ; 4-byte Folded Spill
	buffer_store_dword v5, off, s[0:3], s32 offset:204 ; 4-byte Folded Spill
	;; [unrolled: 1-line block ×4, first 2 shown]
	v_cmpx_ne_u32_e32 0x7f, v4
	s_cbranch_execz .LBB239_321
; %bb.318:                              ;   in Loop: Header=BB239_16 Depth=1
	v_and_b32_e32 v118, 7, v3
	v_lshrrev_b32_e32 v3, 3, v4
	s_mov_b32 s26, exec_lo
	v_cmpx_gt_u32_e32 8, v4
; %bb.319:                              ;   in Loop: Header=BB239_16 Depth=1
	v_ffbh_u32_e32 v3, v118
	v_min_u32_e32 v3, 32, v3
	v_subrev_nc_u32_e32 v4, 28, v3
	v_sub_nc_u32_e32 v3, 29, v3
	v_lshlrev_b64 v[4:5], v4, v[118:119]
	v_and_b32_e32 v118, 7, v4
; %bb.320:                              ;   in Loop: Header=BB239_16 Depth=1
	s_or_b32 exec_lo, exec_lo, s26
	v_lshlrev_b32_e32 v4, 16, v2
	v_lshlrev_b32_e32 v5, 20, v118
	v_lshl_add_u32 v3, v3, 23, 0x3c000000
	v_and_b32_e32 v4, 0x80000000, v4
	v_or3_b32 v4, v5, v4, v3
	v_mov_b32_e32 v3, v119
	buffer_store_dword v3, off, s[0:3], s32 offset:548 ; 4-byte Folded Spill
	buffer_store_dword v4, off, s[0:3], s32 offset:552 ; 4-byte Folded Spill
.LBB239_321:                            ;   in Loop: Header=BB239_16 Depth=1
	s_or_b32 exec_lo, exec_lo, s25
.LBB239_322:                            ;   in Loop: Header=BB239_16 Depth=1
	s_or_b32 exec_lo, exec_lo, s24
.LBB239_323:                            ;   in Loop: Header=BB239_16 Depth=1
	s_or_b32 exec_lo, exec_lo, s23
	v_mov_b32_e32 v4, 0
	v_mov_b32_e32 v5, 0
	;; [unrolled: 1-line block ×3, first 2 shown]
	s_mov_b32 s23, exec_lo
	buffer_store_dword v4, off, s[0:3], s32 offset:556 ; 4-byte Folded Spill
	buffer_store_dword v5, off, s[0:3], s32 offset:560 ; 4-byte Folded Spill
	v_mov_b32_e32 v4, 0
	v_and_b32_sdwa v3, v2, v3 dst_sel:DWORD dst_unused:UNUSED_PAD src0_sel:WORD_1 src1_sel:DWORD
	v_mov_b32_e32 v5, 0
	buffer_store_dword v4, off, s[0:3], s32 offset:564 ; 4-byte Folded Spill
	buffer_store_dword v5, off, s[0:3], s32 offset:568 ; 4-byte Folded Spill
	v_cmpx_ne_u16_e32 0, v3
	s_cbranch_execz .LBB239_331
; %bb.324:                              ;   in Loop: Header=BB239_16 Depth=1
	v_cmp_ne_u16_e64 s5, 0x80, v3
	v_bfrev_b32_e32 v3, 1
	v_mov_b32_e32 v4, 0
	buffer_store_dword v3, off, s[0:3], s32 offset:564 ; 4-byte Folded Spill
	buffer_store_dword v4, off, s[0:3], s32 offset:568 ; 4-byte Folded Spill
	s_and_saveexec_b32 s24, s5
	s_cbranch_execz .LBB239_330
; %bb.325:                              ;   in Loop: Header=BB239_16 Depth=1
	v_mov_b32_e32 v5, 0x7f800001
	v_bfe_u32 v4, v2, 16, 7
	v_mov_b32_e32 v6, 0
	s_mov_b32 s25, exec_lo
	buffer_store_dword v5, off, s[0:3], s32 offset:564 ; 4-byte Folded Spill
	buffer_store_dword v6, off, s[0:3], s32 offset:568 ; 4-byte Folded Spill
	v_cmpx_ne_u32_e32 0x7f, v4
	s_cbranch_execz .LBB239_329
; %bb.326:                              ;   in Loop: Header=BB239_16 Depth=1
	v_mov_b32_e32 v3, 7
	s_mov_b32 s26, exec_lo
	v_and_b32_sdwa v118, v2, v3 dst_sel:DWORD dst_unused:UNUSED_PAD src0_sel:WORD_1 src1_sel:DWORD
	v_lshrrev_b32_e32 v3, 3, v4
	v_cmpx_gt_u32_e32 8, v4
; %bb.327:                              ;   in Loop: Header=BB239_16 Depth=1
	v_ffbh_u32_e32 v3, v118
	v_min_u32_e32 v3, 32, v3
	v_subrev_nc_u32_e32 v4, 28, v3
	v_sub_nc_u32_e32 v3, 29, v3
	v_lshlrev_b64 v[4:5], v4, v[118:119]
	v_and_b32_e32 v118, 7, v4
; %bb.328:                              ;   in Loop: Header=BB239_16 Depth=1
	s_or_b32 exec_lo, exec_lo, s26
	v_mov_b32_e32 v4, 24
	v_lshlrev_b32_e32 v5, 20, v118
	v_lshl_add_u32 v3, v3, 23, 0x3c000000
	v_lshlrev_b32_sdwa v4, v4, v2 dst_sel:DWORD dst_unused:UNUSED_PAD src0_sel:DWORD src1_sel:WORD_1
	v_and_b32_e32 v4, 0x80000000, v4
	v_or3_b32 v118, v5, v4, v3
	buffer_store_dword v118, off, s[0:3], s32 offset:564 ; 4-byte Folded Spill
	buffer_store_dword v119, off, s[0:3], s32 offset:568 ; 4-byte Folded Spill
.LBB239_329:                            ;   in Loop: Header=BB239_16 Depth=1
	s_or_b32 exec_lo, exec_lo, s25
.LBB239_330:                            ;   in Loop: Header=BB239_16 Depth=1
	s_or_b32 exec_lo, exec_lo, s24
.LBB239_331:                            ;   in Loop: Header=BB239_16 Depth=1
	s_or_b32 exec_lo, exec_lo, s23
	s_mov_b32 s23, exec_lo
	v_cmpx_lt_u32_e32 0xffffff, v2
	s_cbranch_execz .LBB239_339
; %bb.332:                              ;   in Loop: Header=BB239_16 Depth=1
	v_mov_b32_e32 v3, 0x80
	v_mov_b32_e32 v50, v119
	buffer_store_dword v50, off, s[0:3], s32 offset:556 ; 4-byte Folded Spill
	buffer_store_dword v51, off, s[0:3], s32 offset:560 ; 4-byte Folded Spill
	v_cmp_ne_u32_sdwa s5, v2, v3 src0_sel:BYTE_3 src1_sel:DWORD
	s_and_saveexec_b32 s24, s5
	s_cbranch_execz .LBB239_338
; %bb.333:                              ;   in Loop: Header=BB239_16 Depth=1
	s_clause 0x1
	buffer_load_dword v5, off, s[0:3], s32 offset:200
	buffer_load_dword v6, off, s[0:3], s32 offset:204
	v_bfe_u32 v4, v2, 24, 7
	s_waitcnt vmcnt(1)
	v_mov_b32_e32 v5, v119
	s_mov_b32 s25, exec_lo
	s_waitcnt vmcnt(0)
	v_mov_b32_e32 v3, v6
	buffer_store_dword v2, off, s[0:3], s32 offset:200 ; 4-byte Folded Spill
	buffer_store_dword v3, off, s[0:3], s32 offset:204 ; 4-byte Folded Spill
	;; [unrolled: 1-line block ×4, first 2 shown]
	v_cmpx_ne_u32_e32 0x7f, v4
	s_cbranch_execz .LBB239_337
; %bb.334:                              ;   in Loop: Header=BB239_16 Depth=1
	v_mov_b32_e32 v3, 7
	s_mov_b32 s26, exec_lo
	v_and_b32_sdwa v118, v2, v3 dst_sel:DWORD dst_unused:UNUSED_PAD src0_sel:BYTE_3 src1_sel:DWORD
	v_lshrrev_b32_e32 v3, 3, v4
	v_cmpx_gt_u32_e32 8, v4
; %bb.335:                              ;   in Loop: Header=BB239_16 Depth=1
	v_ffbh_u32_e32 v3, v118
	v_min_u32_e32 v3, 32, v3
	v_subrev_nc_u32_e32 v4, 28, v3
	v_sub_nc_u32_e32 v3, 29, v3
	v_lshlrev_b64 v[4:5], v4, v[118:119]
	v_and_b32_e32 v118, 7, v4
; %bb.336:                              ;   in Loop: Header=BB239_16 Depth=1
	s_or_b32 exec_lo, exec_lo, s26
	v_mov_b32_e32 v4, 24
	v_lshl_add_u32 v3, v3, 23, 0x3c000000
	v_lshlrev_b32_sdwa v2, v4, v2 dst_sel:DWORD dst_unused:UNUSED_PAD src0_sel:DWORD src1_sel:BYTE_3
	v_lshlrev_b32_e32 v4, 20, v118
	v_and_b32_e32 v2, 0x80000000, v2
	v_or3_b32 v3, v4, v2, v3
	v_mov_b32_e32 v2, v119
	buffer_store_dword v2, off, s[0:3], s32 offset:556 ; 4-byte Folded Spill
	buffer_store_dword v3, off, s[0:3], s32 offset:560 ; 4-byte Folded Spill
.LBB239_337:                            ;   in Loop: Header=BB239_16 Depth=1
	s_or_b32 exec_lo, exec_lo, s25
.LBB239_338:                            ;   in Loop: Header=BB239_16 Depth=1
	s_or_b32 exec_lo, exec_lo, s24
.LBB239_339:                            ;   in Loop: Header=BB239_16 Depth=1
	s_or_b32 exec_lo, exec_lo, s23
	flat_load_dword v2, v[0:1] offset:1032
	v_mov_b32_e32 v3, 0
	v_mov_b32_e32 v4, 0
	buffer_store_dword v3, off, s[0:3], s32 offset:580 ; 4-byte Folded Spill
	buffer_store_dword v4, off, s[0:3], s32 offset:584 ; 4-byte Folded Spill
	v_mov_b32_e32 v3, 0
	v_mov_b32_e32 v4, 0
	buffer_store_dword v3, off, s[0:3], s32 offset:572 ; 4-byte Folded Spill
	buffer_store_dword v4, off, s[0:3], s32 offset:576 ; 4-byte Folded Spill
	s_waitcnt vmcnt(0) lgkmcnt(0)
	v_cmp_ne_u16_sdwa s5, v2, v119 src0_sel:BYTE_0 src1_sel:DWORD
	s_and_saveexec_b32 s23, s5
	s_cbranch_execz .LBB239_347
; %bb.340:                              ;   in Loop: Header=BB239_16 Depth=1
	v_bfrev_b32_e32 v3, 1
	v_mov_b32_e32 v4, 0
	buffer_store_dword v3, off, s[0:3], s32 offset:572 ; 4-byte Folded Spill
	buffer_store_dword v4, off, s[0:3], s32 offset:576 ; 4-byte Folded Spill
	v_mov_b32_e32 v3, 0x80
	v_cmp_ne_u16_sdwa s5, v2, v3 src0_sel:BYTE_0 src1_sel:DWORD
	s_and_saveexec_b32 s24, s5
	s_cbranch_execz .LBB239_346
; %bb.341:                              ;   in Loop: Header=BB239_16 Depth=1
	v_mov_b32_e32 v5, 0x7f800001
	v_and_b32_e32 v4, 0x7f, v2
	v_mov_b32_e32 v6, 0
	s_mov_b32 s25, exec_lo
	buffer_store_dword v5, off, s[0:3], s32 offset:572 ; 4-byte Folded Spill
	buffer_store_dword v6, off, s[0:3], s32 offset:576 ; 4-byte Folded Spill
	v_cmpx_ne_u32_e32 0x7f, v4
	s_cbranch_execz .LBB239_345
; %bb.342:                              ;   in Loop: Header=BB239_16 Depth=1
	v_and_b32_e32 v118, 7, v2
	v_lshrrev_b32_e32 v3, 3, v4
	s_mov_b32 s26, exec_lo
	v_cmpx_gt_u32_e32 8, v4
; %bb.343:                              ;   in Loop: Header=BB239_16 Depth=1
	v_ffbh_u32_e32 v3, v118
	v_min_u32_e32 v3, 32, v3
	v_subrev_nc_u32_e32 v4, 28, v3
	v_sub_nc_u32_e32 v3, 29, v3
	v_lshlrev_b64 v[4:5], v4, v[118:119]
	v_and_b32_e32 v118, 7, v4
; %bb.344:                              ;   in Loop: Header=BB239_16 Depth=1
	s_or_b32 exec_lo, exec_lo, s26
	v_lshlrev_b32_e32 v4, 24, v2
	v_lshlrev_b32_e32 v5, 20, v118
	v_lshl_add_u32 v3, v3, 23, 0x3c000000
	v_and_b32_e32 v4, 0x80000000, v4
	v_or3_b32 v118, v5, v4, v3
	buffer_store_dword v118, off, s[0:3], s32 offset:572 ; 4-byte Folded Spill
	buffer_store_dword v119, off, s[0:3], s32 offset:576 ; 4-byte Folded Spill
.LBB239_345:                            ;   in Loop: Header=BB239_16 Depth=1
	s_or_b32 exec_lo, exec_lo, s25
.LBB239_346:                            ;   in Loop: Header=BB239_16 Depth=1
	s_or_b32 exec_lo, exec_lo, s24
.LBB239_347:                            ;   in Loop: Header=BB239_16 Depth=1
	s_or_b32 exec_lo, exec_lo, s23
	v_cmp_ne_u16_sdwa s5, v2, v119 src0_sel:BYTE_1 src1_sel:DWORD
	s_and_saveexec_b32 s23, s5
	s_cbranch_execz .LBB239_355
; %bb.348:                              ;   in Loop: Header=BB239_16 Depth=1
	v_mov_b32_e32 v3, 0x80
	v_mov_b32_e32 v50, v119
	buffer_store_dword v50, off, s[0:3], s32 offset:580 ; 4-byte Folded Spill
	buffer_store_dword v51, off, s[0:3], s32 offset:584 ; 4-byte Folded Spill
	v_cmp_ne_u16_sdwa s5, v2, v3 src0_sel:BYTE_1 src1_sel:DWORD
	s_and_saveexec_b32 s24, s5
	s_cbranch_execz .LBB239_354
; %bb.349:                              ;   in Loop: Header=BB239_16 Depth=1
	s_clause 0x1
	buffer_load_dword v5, off, s[0:3], s32 offset:200
	buffer_load_dword v6, off, s[0:3], s32 offset:204
	v_mov_b32_e32 v3, 0xffff
	s_mov_b32 s25, exec_lo
	v_and_b32_sdwa v3, v3, v2 dst_sel:DWORD dst_unused:UNUSED_PAD src0_sel:DWORD src1_sel:BYTE_1
	v_and_b32_e32 v4, 0x7f, v3
	s_waitcnt vmcnt(0)
	v_mov_b32_e32 v7, v6
	v_mov_b32_e32 v6, v119
	;; [unrolled: 1-line block ×3, first 2 shown]
	buffer_store_dword v4, off, s[0:3], s32 offset:200 ; 4-byte Folded Spill
	buffer_store_dword v5, off, s[0:3], s32 offset:204 ; 4-byte Folded Spill
	;; [unrolled: 1-line block ×4, first 2 shown]
	v_cmpx_ne_u32_e32 0x7f, v4
	s_cbranch_execz .LBB239_353
; %bb.350:                              ;   in Loop: Header=BB239_16 Depth=1
	v_and_b32_e32 v118, 7, v3
	v_lshrrev_b32_e32 v3, 3, v4
	s_mov_b32 s26, exec_lo
	v_cmpx_gt_u32_e32 8, v4
; %bb.351:                              ;   in Loop: Header=BB239_16 Depth=1
	v_ffbh_u32_e32 v3, v118
	v_min_u32_e32 v3, 32, v3
	v_subrev_nc_u32_e32 v4, 28, v3
	v_sub_nc_u32_e32 v3, 29, v3
	v_lshlrev_b64 v[4:5], v4, v[118:119]
	v_and_b32_e32 v118, 7, v4
; %bb.352:                              ;   in Loop: Header=BB239_16 Depth=1
	s_or_b32 exec_lo, exec_lo, s26
	v_lshlrev_b32_e32 v4, 16, v2
	v_lshlrev_b32_e32 v5, 20, v118
	v_lshl_add_u32 v3, v3, 23, 0x3c000000
	v_and_b32_e32 v4, 0x80000000, v4
	v_or3_b32 v4, v5, v4, v3
	v_mov_b32_e32 v3, v119
	buffer_store_dword v3, off, s[0:3], s32 offset:580 ; 4-byte Folded Spill
	buffer_store_dword v4, off, s[0:3], s32 offset:584 ; 4-byte Folded Spill
.LBB239_353:                            ;   in Loop: Header=BB239_16 Depth=1
	s_or_b32 exec_lo, exec_lo, s25
.LBB239_354:                            ;   in Loop: Header=BB239_16 Depth=1
	s_or_b32 exec_lo, exec_lo, s24
.LBB239_355:                            ;   in Loop: Header=BB239_16 Depth=1
	s_or_b32 exec_lo, exec_lo, s23
	v_mov_b32_e32 v4, 0
	v_mov_b32_e32 v5, 0
	;; [unrolled: 1-line block ×3, first 2 shown]
	s_mov_b32 s23, exec_lo
	buffer_store_dword v4, off, s[0:3], s32 offset:588 ; 4-byte Folded Spill
	buffer_store_dword v5, off, s[0:3], s32 offset:592 ; 4-byte Folded Spill
	v_mov_b32_e32 v4, 0
	v_and_b32_sdwa v3, v2, v3 dst_sel:DWORD dst_unused:UNUSED_PAD src0_sel:WORD_1 src1_sel:DWORD
	v_mov_b32_e32 v5, 0
	buffer_store_dword v4, off, s[0:3], s32 offset:596 ; 4-byte Folded Spill
	buffer_store_dword v5, off, s[0:3], s32 offset:600 ; 4-byte Folded Spill
	v_cmpx_ne_u16_e32 0, v3
	s_cbranch_execz .LBB239_363
; %bb.356:                              ;   in Loop: Header=BB239_16 Depth=1
	v_cmp_ne_u16_e64 s5, 0x80, v3
	v_bfrev_b32_e32 v3, 1
	v_mov_b32_e32 v4, 0
	buffer_store_dword v3, off, s[0:3], s32 offset:596 ; 4-byte Folded Spill
	buffer_store_dword v4, off, s[0:3], s32 offset:600 ; 4-byte Folded Spill
	s_and_saveexec_b32 s24, s5
	s_cbranch_execz .LBB239_362
; %bb.357:                              ;   in Loop: Header=BB239_16 Depth=1
	v_mov_b32_e32 v5, 0x7f800001
	v_bfe_u32 v4, v2, 16, 7
	v_mov_b32_e32 v6, 0
	s_mov_b32 s25, exec_lo
	buffer_store_dword v5, off, s[0:3], s32 offset:596 ; 4-byte Folded Spill
	buffer_store_dword v6, off, s[0:3], s32 offset:600 ; 4-byte Folded Spill
	v_cmpx_ne_u32_e32 0x7f, v4
	s_cbranch_execz .LBB239_361
; %bb.358:                              ;   in Loop: Header=BB239_16 Depth=1
	v_mov_b32_e32 v3, 7
	s_mov_b32 s26, exec_lo
	v_and_b32_sdwa v118, v2, v3 dst_sel:DWORD dst_unused:UNUSED_PAD src0_sel:WORD_1 src1_sel:DWORD
	v_lshrrev_b32_e32 v3, 3, v4
	v_cmpx_gt_u32_e32 8, v4
; %bb.359:                              ;   in Loop: Header=BB239_16 Depth=1
	v_ffbh_u32_e32 v3, v118
	v_min_u32_e32 v3, 32, v3
	v_subrev_nc_u32_e32 v4, 28, v3
	v_sub_nc_u32_e32 v3, 29, v3
	v_lshlrev_b64 v[4:5], v4, v[118:119]
	v_and_b32_e32 v118, 7, v4
; %bb.360:                              ;   in Loop: Header=BB239_16 Depth=1
	s_or_b32 exec_lo, exec_lo, s26
	v_mov_b32_e32 v4, 24
	v_lshlrev_b32_e32 v5, 20, v118
	v_lshl_add_u32 v3, v3, 23, 0x3c000000
	v_lshlrev_b32_sdwa v4, v4, v2 dst_sel:DWORD dst_unused:UNUSED_PAD src0_sel:DWORD src1_sel:WORD_1
	v_and_b32_e32 v4, 0x80000000, v4
	v_or3_b32 v118, v5, v4, v3
	buffer_store_dword v118, off, s[0:3], s32 offset:596 ; 4-byte Folded Spill
	buffer_store_dword v119, off, s[0:3], s32 offset:600 ; 4-byte Folded Spill
.LBB239_361:                            ;   in Loop: Header=BB239_16 Depth=1
	s_or_b32 exec_lo, exec_lo, s25
.LBB239_362:                            ;   in Loop: Header=BB239_16 Depth=1
	s_or_b32 exec_lo, exec_lo, s24
.LBB239_363:                            ;   in Loop: Header=BB239_16 Depth=1
	s_or_b32 exec_lo, exec_lo, s23
	s_mov_b32 s23, exec_lo
	v_cmpx_lt_u32_e32 0xffffff, v2
	s_cbranch_execz .LBB239_371
; %bb.364:                              ;   in Loop: Header=BB239_16 Depth=1
	v_mov_b32_e32 v3, 0x80
	v_mov_b32_e32 v50, v119
	buffer_store_dword v50, off, s[0:3], s32 offset:588 ; 4-byte Folded Spill
	buffer_store_dword v51, off, s[0:3], s32 offset:592 ; 4-byte Folded Spill
	v_cmp_ne_u32_sdwa s5, v2, v3 src0_sel:BYTE_3 src1_sel:DWORD
	s_and_saveexec_b32 s24, s5
	s_cbranch_execz .LBB239_370
; %bb.365:                              ;   in Loop: Header=BB239_16 Depth=1
	s_clause 0x1
	buffer_load_dword v5, off, s[0:3], s32 offset:200
	buffer_load_dword v6, off, s[0:3], s32 offset:204
	v_bfe_u32 v4, v2, 24, 7
	s_waitcnt vmcnt(1)
	v_mov_b32_e32 v5, v119
	s_mov_b32 s25, exec_lo
	s_waitcnt vmcnt(0)
	v_mov_b32_e32 v3, v6
	buffer_store_dword v2, off, s[0:3], s32 offset:200 ; 4-byte Folded Spill
	buffer_store_dword v3, off, s[0:3], s32 offset:204 ; 4-byte Folded Spill
	;; [unrolled: 1-line block ×4, first 2 shown]
	v_cmpx_ne_u32_e32 0x7f, v4
	s_cbranch_execz .LBB239_369
; %bb.366:                              ;   in Loop: Header=BB239_16 Depth=1
	v_mov_b32_e32 v3, 7
	s_mov_b32 s26, exec_lo
	v_and_b32_sdwa v118, v2, v3 dst_sel:DWORD dst_unused:UNUSED_PAD src0_sel:BYTE_3 src1_sel:DWORD
	v_lshrrev_b32_e32 v3, 3, v4
	v_cmpx_gt_u32_e32 8, v4
; %bb.367:                              ;   in Loop: Header=BB239_16 Depth=1
	v_ffbh_u32_e32 v3, v118
	v_min_u32_e32 v3, 32, v3
	v_subrev_nc_u32_e32 v4, 28, v3
	v_sub_nc_u32_e32 v3, 29, v3
	v_lshlrev_b64 v[4:5], v4, v[118:119]
	v_and_b32_e32 v118, 7, v4
; %bb.368:                              ;   in Loop: Header=BB239_16 Depth=1
	s_or_b32 exec_lo, exec_lo, s26
	v_mov_b32_e32 v4, 24
	v_lshl_add_u32 v3, v3, 23, 0x3c000000
	v_lshlrev_b32_sdwa v2, v4, v2 dst_sel:DWORD dst_unused:UNUSED_PAD src0_sel:DWORD src1_sel:BYTE_3
	v_lshlrev_b32_e32 v4, 20, v118
	v_and_b32_e32 v2, 0x80000000, v2
	v_or3_b32 v3, v4, v2, v3
	v_mov_b32_e32 v2, v119
	buffer_store_dword v2, off, s[0:3], s32 offset:588 ; 4-byte Folded Spill
	buffer_store_dword v3, off, s[0:3], s32 offset:592 ; 4-byte Folded Spill
.LBB239_369:                            ;   in Loop: Header=BB239_16 Depth=1
	s_or_b32 exec_lo, exec_lo, s25
.LBB239_370:                            ;   in Loop: Header=BB239_16 Depth=1
	s_or_b32 exec_lo, exec_lo, s24
.LBB239_371:                            ;   in Loop: Header=BB239_16 Depth=1
	s_or_b32 exec_lo, exec_lo, s23
	flat_load_dword v2, v[0:1] offset:1036
	v_mov_b32_e32 v3, 0
	v_mov_b32_e32 v4, 0
	buffer_store_dword v3, off, s[0:3], s32 offset:612 ; 4-byte Folded Spill
	buffer_store_dword v4, off, s[0:3], s32 offset:616 ; 4-byte Folded Spill
	v_mov_b32_e32 v3, 0
	v_mov_b32_e32 v4, 0
	buffer_store_dword v3, off, s[0:3], s32 offset:604 ; 4-byte Folded Spill
	buffer_store_dword v4, off, s[0:3], s32 offset:608 ; 4-byte Folded Spill
	s_waitcnt vmcnt(0) lgkmcnt(0)
	v_cmp_ne_u16_sdwa s5, v2, v119 src0_sel:BYTE_0 src1_sel:DWORD
	s_and_saveexec_b32 s23, s5
	s_cbranch_execz .LBB239_379
; %bb.372:                              ;   in Loop: Header=BB239_16 Depth=1
	v_bfrev_b32_e32 v3, 1
	v_mov_b32_e32 v4, 0
	buffer_store_dword v3, off, s[0:3], s32 offset:604 ; 4-byte Folded Spill
	buffer_store_dword v4, off, s[0:3], s32 offset:608 ; 4-byte Folded Spill
	v_mov_b32_e32 v3, 0x80
	v_cmp_ne_u16_sdwa s5, v2, v3 src0_sel:BYTE_0 src1_sel:DWORD
	s_and_saveexec_b32 s24, s5
	s_cbranch_execz .LBB239_378
; %bb.373:                              ;   in Loop: Header=BB239_16 Depth=1
	v_mov_b32_e32 v5, 0x7f800001
	v_and_b32_e32 v4, 0x7f, v2
	v_mov_b32_e32 v6, 0
	s_mov_b32 s25, exec_lo
	buffer_store_dword v5, off, s[0:3], s32 offset:604 ; 4-byte Folded Spill
	buffer_store_dword v6, off, s[0:3], s32 offset:608 ; 4-byte Folded Spill
	v_cmpx_ne_u32_e32 0x7f, v4
	s_cbranch_execz .LBB239_377
; %bb.374:                              ;   in Loop: Header=BB239_16 Depth=1
	v_and_b32_e32 v118, 7, v2
	v_lshrrev_b32_e32 v3, 3, v4
	s_mov_b32 s26, exec_lo
	v_cmpx_gt_u32_e32 8, v4
; %bb.375:                              ;   in Loop: Header=BB239_16 Depth=1
	v_ffbh_u32_e32 v3, v118
	v_min_u32_e32 v3, 32, v3
	v_subrev_nc_u32_e32 v4, 28, v3
	v_sub_nc_u32_e32 v3, 29, v3
	v_lshlrev_b64 v[4:5], v4, v[118:119]
	v_and_b32_e32 v118, 7, v4
; %bb.376:                              ;   in Loop: Header=BB239_16 Depth=1
	s_or_b32 exec_lo, exec_lo, s26
	v_lshlrev_b32_e32 v4, 24, v2
	v_lshlrev_b32_e32 v5, 20, v118
	v_lshl_add_u32 v3, v3, 23, 0x3c000000
	v_and_b32_e32 v4, 0x80000000, v4
	v_or3_b32 v118, v5, v4, v3
	buffer_store_dword v118, off, s[0:3], s32 offset:604 ; 4-byte Folded Spill
	buffer_store_dword v119, off, s[0:3], s32 offset:608 ; 4-byte Folded Spill
.LBB239_377:                            ;   in Loop: Header=BB239_16 Depth=1
	s_or_b32 exec_lo, exec_lo, s25
.LBB239_378:                            ;   in Loop: Header=BB239_16 Depth=1
	s_or_b32 exec_lo, exec_lo, s24
.LBB239_379:                            ;   in Loop: Header=BB239_16 Depth=1
	s_or_b32 exec_lo, exec_lo, s23
	v_cmp_ne_u16_sdwa s5, v2, v119 src0_sel:BYTE_1 src1_sel:DWORD
	s_and_saveexec_b32 s23, s5
	s_cbranch_execz .LBB239_387
; %bb.380:                              ;   in Loop: Header=BB239_16 Depth=1
	v_mov_b32_e32 v3, 0x80
	v_mov_b32_e32 v50, v119
	buffer_store_dword v50, off, s[0:3], s32 offset:612 ; 4-byte Folded Spill
	buffer_store_dword v51, off, s[0:3], s32 offset:616 ; 4-byte Folded Spill
	v_cmp_ne_u16_sdwa s5, v2, v3 src0_sel:BYTE_1 src1_sel:DWORD
	s_and_saveexec_b32 s24, s5
	s_cbranch_execz .LBB239_386
; %bb.381:                              ;   in Loop: Header=BB239_16 Depth=1
	s_clause 0x1
	buffer_load_dword v5, off, s[0:3], s32 offset:200
	buffer_load_dword v6, off, s[0:3], s32 offset:204
	v_mov_b32_e32 v3, 0xffff
	s_mov_b32 s25, exec_lo
	v_and_b32_sdwa v3, v3, v2 dst_sel:DWORD dst_unused:UNUSED_PAD src0_sel:DWORD src1_sel:BYTE_1
	v_and_b32_e32 v4, 0x7f, v3
	s_waitcnt vmcnt(0)
	v_mov_b32_e32 v7, v6
	v_mov_b32_e32 v6, v119
	;; [unrolled: 1-line block ×3, first 2 shown]
	buffer_store_dword v4, off, s[0:3], s32 offset:200 ; 4-byte Folded Spill
	buffer_store_dword v5, off, s[0:3], s32 offset:204 ; 4-byte Folded Spill
	;; [unrolled: 1-line block ×4, first 2 shown]
	v_cmpx_ne_u32_e32 0x7f, v4
	s_cbranch_execz .LBB239_385
; %bb.382:                              ;   in Loop: Header=BB239_16 Depth=1
	v_and_b32_e32 v118, 7, v3
	v_lshrrev_b32_e32 v3, 3, v4
	s_mov_b32 s26, exec_lo
	v_cmpx_gt_u32_e32 8, v4
; %bb.383:                              ;   in Loop: Header=BB239_16 Depth=1
	v_ffbh_u32_e32 v3, v118
	v_min_u32_e32 v3, 32, v3
	v_subrev_nc_u32_e32 v4, 28, v3
	v_sub_nc_u32_e32 v3, 29, v3
	v_lshlrev_b64 v[4:5], v4, v[118:119]
	v_and_b32_e32 v118, 7, v4
; %bb.384:                              ;   in Loop: Header=BB239_16 Depth=1
	s_or_b32 exec_lo, exec_lo, s26
	v_lshlrev_b32_e32 v4, 16, v2
	v_lshlrev_b32_e32 v5, 20, v118
	v_lshl_add_u32 v3, v3, 23, 0x3c000000
	v_and_b32_e32 v4, 0x80000000, v4
	v_or3_b32 v4, v5, v4, v3
	v_mov_b32_e32 v3, v119
	buffer_store_dword v3, off, s[0:3], s32 offset:612 ; 4-byte Folded Spill
	buffer_store_dword v4, off, s[0:3], s32 offset:616 ; 4-byte Folded Spill
.LBB239_385:                            ;   in Loop: Header=BB239_16 Depth=1
	s_or_b32 exec_lo, exec_lo, s25
.LBB239_386:                            ;   in Loop: Header=BB239_16 Depth=1
	s_or_b32 exec_lo, exec_lo, s24
.LBB239_387:                            ;   in Loop: Header=BB239_16 Depth=1
	s_or_b32 exec_lo, exec_lo, s23
	v_mov_b32_e32 v4, 0
	v_mov_b32_e32 v5, 0
	;; [unrolled: 1-line block ×3, first 2 shown]
	s_mov_b32 s23, exec_lo
	buffer_store_dword v4, off, s[0:3], s32 offset:620 ; 4-byte Folded Spill
	buffer_store_dword v5, off, s[0:3], s32 offset:624 ; 4-byte Folded Spill
	v_mov_b32_e32 v4, 0
	v_and_b32_sdwa v3, v2, v3 dst_sel:DWORD dst_unused:UNUSED_PAD src0_sel:WORD_1 src1_sel:DWORD
	v_mov_b32_e32 v5, 0
	buffer_store_dword v4, off, s[0:3], s32 offset:628 ; 4-byte Folded Spill
	buffer_store_dword v5, off, s[0:3], s32 offset:632 ; 4-byte Folded Spill
	v_cmpx_ne_u16_e32 0, v3
	s_cbranch_execz .LBB239_395
; %bb.388:                              ;   in Loop: Header=BB239_16 Depth=1
	v_cmp_ne_u16_e64 s5, 0x80, v3
	v_bfrev_b32_e32 v3, 1
	v_mov_b32_e32 v4, 0
	buffer_store_dword v3, off, s[0:3], s32 offset:628 ; 4-byte Folded Spill
	buffer_store_dword v4, off, s[0:3], s32 offset:632 ; 4-byte Folded Spill
	s_and_saveexec_b32 s24, s5
	s_cbranch_execz .LBB239_394
; %bb.389:                              ;   in Loop: Header=BB239_16 Depth=1
	v_mov_b32_e32 v5, 0x7f800001
	v_bfe_u32 v4, v2, 16, 7
	v_mov_b32_e32 v6, 0
	s_mov_b32 s25, exec_lo
	buffer_store_dword v5, off, s[0:3], s32 offset:628 ; 4-byte Folded Spill
	buffer_store_dword v6, off, s[0:3], s32 offset:632 ; 4-byte Folded Spill
	v_cmpx_ne_u32_e32 0x7f, v4
	s_cbranch_execz .LBB239_393
; %bb.390:                              ;   in Loop: Header=BB239_16 Depth=1
	v_mov_b32_e32 v3, 7
	s_mov_b32 s26, exec_lo
	v_and_b32_sdwa v118, v2, v3 dst_sel:DWORD dst_unused:UNUSED_PAD src0_sel:WORD_1 src1_sel:DWORD
	v_lshrrev_b32_e32 v3, 3, v4
	v_cmpx_gt_u32_e32 8, v4
; %bb.391:                              ;   in Loop: Header=BB239_16 Depth=1
	v_ffbh_u32_e32 v3, v118
	v_min_u32_e32 v3, 32, v3
	v_subrev_nc_u32_e32 v4, 28, v3
	v_sub_nc_u32_e32 v3, 29, v3
	v_lshlrev_b64 v[4:5], v4, v[118:119]
	v_and_b32_e32 v118, 7, v4
; %bb.392:                              ;   in Loop: Header=BB239_16 Depth=1
	s_or_b32 exec_lo, exec_lo, s26
	v_mov_b32_e32 v4, 24
	v_lshlrev_b32_e32 v5, 20, v118
	v_lshl_add_u32 v3, v3, 23, 0x3c000000
	v_lshlrev_b32_sdwa v4, v4, v2 dst_sel:DWORD dst_unused:UNUSED_PAD src0_sel:DWORD src1_sel:WORD_1
	v_and_b32_e32 v4, 0x80000000, v4
	v_or3_b32 v118, v5, v4, v3
	buffer_store_dword v118, off, s[0:3], s32 offset:628 ; 4-byte Folded Spill
	buffer_store_dword v119, off, s[0:3], s32 offset:632 ; 4-byte Folded Spill
.LBB239_393:                            ;   in Loop: Header=BB239_16 Depth=1
	s_or_b32 exec_lo, exec_lo, s25
.LBB239_394:                            ;   in Loop: Header=BB239_16 Depth=1
	s_or_b32 exec_lo, exec_lo, s24
.LBB239_395:                            ;   in Loop: Header=BB239_16 Depth=1
	s_or_b32 exec_lo, exec_lo, s23
	s_mov_b32 s23, exec_lo
	v_cmpx_lt_u32_e32 0xffffff, v2
	s_cbranch_execz .LBB239_403
; %bb.396:                              ;   in Loop: Header=BB239_16 Depth=1
	v_mov_b32_e32 v3, 0x80
	v_mov_b32_e32 v50, v119
	buffer_store_dword v50, off, s[0:3], s32 offset:620 ; 4-byte Folded Spill
	buffer_store_dword v51, off, s[0:3], s32 offset:624 ; 4-byte Folded Spill
	v_cmp_ne_u32_sdwa s5, v2, v3 src0_sel:BYTE_3 src1_sel:DWORD
	s_and_saveexec_b32 s24, s5
	s_cbranch_execz .LBB239_402
; %bb.397:                              ;   in Loop: Header=BB239_16 Depth=1
	s_clause 0x1
	buffer_load_dword v5, off, s[0:3], s32 offset:200
	buffer_load_dword v6, off, s[0:3], s32 offset:204
	v_bfe_u32 v4, v2, 24, 7
	s_waitcnt vmcnt(1)
	v_mov_b32_e32 v5, v119
	s_mov_b32 s25, exec_lo
	s_waitcnt vmcnt(0)
	v_mov_b32_e32 v3, v6
	buffer_store_dword v2, off, s[0:3], s32 offset:200 ; 4-byte Folded Spill
	buffer_store_dword v3, off, s[0:3], s32 offset:204 ; 4-byte Folded Spill
	;; [unrolled: 1-line block ×4, first 2 shown]
	v_cmpx_ne_u32_e32 0x7f, v4
	s_cbranch_execz .LBB239_401
; %bb.398:                              ;   in Loop: Header=BB239_16 Depth=1
	v_mov_b32_e32 v3, 7
	s_mov_b32 s26, exec_lo
	v_and_b32_sdwa v118, v2, v3 dst_sel:DWORD dst_unused:UNUSED_PAD src0_sel:BYTE_3 src1_sel:DWORD
	v_lshrrev_b32_e32 v3, 3, v4
	v_cmpx_gt_u32_e32 8, v4
; %bb.399:                              ;   in Loop: Header=BB239_16 Depth=1
	v_ffbh_u32_e32 v3, v118
	v_min_u32_e32 v3, 32, v3
	v_subrev_nc_u32_e32 v4, 28, v3
	v_sub_nc_u32_e32 v3, 29, v3
	v_lshlrev_b64 v[4:5], v4, v[118:119]
	v_and_b32_e32 v118, 7, v4
; %bb.400:                              ;   in Loop: Header=BB239_16 Depth=1
	s_or_b32 exec_lo, exec_lo, s26
	v_mov_b32_e32 v4, 24
	v_lshl_add_u32 v3, v3, 23, 0x3c000000
	v_lshlrev_b32_sdwa v2, v4, v2 dst_sel:DWORD dst_unused:UNUSED_PAD src0_sel:DWORD src1_sel:BYTE_3
	v_lshlrev_b32_e32 v4, 20, v118
	v_and_b32_e32 v2, 0x80000000, v2
	v_or3_b32 v3, v4, v2, v3
	v_mov_b32_e32 v2, v119
	buffer_store_dword v2, off, s[0:3], s32 offset:620 ; 4-byte Folded Spill
	buffer_store_dword v3, off, s[0:3], s32 offset:624 ; 4-byte Folded Spill
.LBB239_401:                            ;   in Loop: Header=BB239_16 Depth=1
	s_or_b32 exec_lo, exec_lo, s25
.LBB239_402:                            ;   in Loop: Header=BB239_16 Depth=1
	s_or_b32 exec_lo, exec_lo, s24
.LBB239_403:                            ;   in Loop: Header=BB239_16 Depth=1
	s_or_b32 exec_lo, exec_lo, s23
	flat_load_dword v2, v[0:1] offset:1536
	v_mov_b32_e32 v3, 0
	v_mov_b32_e32 v4, 0
	buffer_store_dword v3, off, s[0:3], s32 offset:644 ; 4-byte Folded Spill
	buffer_store_dword v4, off, s[0:3], s32 offset:648 ; 4-byte Folded Spill
	v_mov_b32_e32 v3, 0
	v_mov_b32_e32 v4, 0
	buffer_store_dword v3, off, s[0:3], s32 offset:636 ; 4-byte Folded Spill
	buffer_store_dword v4, off, s[0:3], s32 offset:640 ; 4-byte Folded Spill
	s_waitcnt vmcnt(0) lgkmcnt(0)
	v_cmp_ne_u16_sdwa s5, v2, v119 src0_sel:BYTE_0 src1_sel:DWORD
	s_and_saveexec_b32 s23, s5
	s_cbranch_execz .LBB239_411
; %bb.404:                              ;   in Loop: Header=BB239_16 Depth=1
	v_bfrev_b32_e32 v3, 1
	v_mov_b32_e32 v4, 0
	buffer_store_dword v3, off, s[0:3], s32 offset:636 ; 4-byte Folded Spill
	buffer_store_dword v4, off, s[0:3], s32 offset:640 ; 4-byte Folded Spill
	v_mov_b32_e32 v3, 0x80
	v_cmp_ne_u16_sdwa s5, v2, v3 src0_sel:BYTE_0 src1_sel:DWORD
	s_and_saveexec_b32 s24, s5
	s_cbranch_execz .LBB239_410
; %bb.405:                              ;   in Loop: Header=BB239_16 Depth=1
	v_mov_b32_e32 v5, 0x7f800001
	v_and_b32_e32 v4, 0x7f, v2
	v_mov_b32_e32 v6, 0
	s_mov_b32 s25, exec_lo
	buffer_store_dword v5, off, s[0:3], s32 offset:636 ; 4-byte Folded Spill
	buffer_store_dword v6, off, s[0:3], s32 offset:640 ; 4-byte Folded Spill
	v_cmpx_ne_u32_e32 0x7f, v4
	s_cbranch_execz .LBB239_409
; %bb.406:                              ;   in Loop: Header=BB239_16 Depth=1
	v_and_b32_e32 v118, 7, v2
	v_lshrrev_b32_e32 v3, 3, v4
	s_mov_b32 s26, exec_lo
	v_cmpx_gt_u32_e32 8, v4
; %bb.407:                              ;   in Loop: Header=BB239_16 Depth=1
	v_ffbh_u32_e32 v3, v118
	v_min_u32_e32 v3, 32, v3
	v_subrev_nc_u32_e32 v4, 28, v3
	v_sub_nc_u32_e32 v3, 29, v3
	v_lshlrev_b64 v[4:5], v4, v[118:119]
	v_and_b32_e32 v118, 7, v4
; %bb.408:                              ;   in Loop: Header=BB239_16 Depth=1
	s_or_b32 exec_lo, exec_lo, s26
	v_lshlrev_b32_e32 v4, 24, v2
	v_lshlrev_b32_e32 v5, 20, v118
	v_lshl_add_u32 v3, v3, 23, 0x3c000000
	v_and_b32_e32 v4, 0x80000000, v4
	v_or3_b32 v118, v5, v4, v3
	buffer_store_dword v118, off, s[0:3], s32 offset:636 ; 4-byte Folded Spill
	buffer_store_dword v119, off, s[0:3], s32 offset:640 ; 4-byte Folded Spill
.LBB239_409:                            ;   in Loop: Header=BB239_16 Depth=1
	s_or_b32 exec_lo, exec_lo, s25
.LBB239_410:                            ;   in Loop: Header=BB239_16 Depth=1
	s_or_b32 exec_lo, exec_lo, s24
.LBB239_411:                            ;   in Loop: Header=BB239_16 Depth=1
	s_or_b32 exec_lo, exec_lo, s23
	v_cmp_ne_u16_sdwa s5, v2, v119 src0_sel:BYTE_1 src1_sel:DWORD
	s_and_saveexec_b32 s23, s5
	s_cbranch_execz .LBB239_419
; %bb.412:                              ;   in Loop: Header=BB239_16 Depth=1
	v_mov_b32_e32 v3, 0x80
	v_mov_b32_e32 v50, v119
	buffer_store_dword v50, off, s[0:3], s32 offset:644 ; 4-byte Folded Spill
	buffer_store_dword v51, off, s[0:3], s32 offset:648 ; 4-byte Folded Spill
	v_cmp_ne_u16_sdwa s5, v2, v3 src0_sel:BYTE_1 src1_sel:DWORD
	s_and_saveexec_b32 s24, s5
	s_cbranch_execz .LBB239_418
; %bb.413:                              ;   in Loop: Header=BB239_16 Depth=1
	s_clause 0x1
	buffer_load_dword v5, off, s[0:3], s32 offset:200
	buffer_load_dword v6, off, s[0:3], s32 offset:204
	v_mov_b32_e32 v3, 0xffff
	s_mov_b32 s25, exec_lo
	v_and_b32_sdwa v3, v3, v2 dst_sel:DWORD dst_unused:UNUSED_PAD src0_sel:DWORD src1_sel:BYTE_1
	v_and_b32_e32 v4, 0x7f, v3
	s_waitcnt vmcnt(0)
	v_mov_b32_e32 v7, v6
	v_mov_b32_e32 v6, v119
	;; [unrolled: 1-line block ×3, first 2 shown]
	buffer_store_dword v4, off, s[0:3], s32 offset:200 ; 4-byte Folded Spill
	buffer_store_dword v5, off, s[0:3], s32 offset:204 ; 4-byte Folded Spill
	;; [unrolled: 1-line block ×4, first 2 shown]
	v_cmpx_ne_u32_e32 0x7f, v4
	s_cbranch_execz .LBB239_417
; %bb.414:                              ;   in Loop: Header=BB239_16 Depth=1
	v_and_b32_e32 v118, 7, v3
	v_lshrrev_b32_e32 v3, 3, v4
	s_mov_b32 s26, exec_lo
	v_cmpx_gt_u32_e32 8, v4
; %bb.415:                              ;   in Loop: Header=BB239_16 Depth=1
	v_ffbh_u32_e32 v3, v118
	v_min_u32_e32 v3, 32, v3
	v_subrev_nc_u32_e32 v4, 28, v3
	v_sub_nc_u32_e32 v3, 29, v3
	v_lshlrev_b64 v[4:5], v4, v[118:119]
	v_and_b32_e32 v118, 7, v4
; %bb.416:                              ;   in Loop: Header=BB239_16 Depth=1
	s_or_b32 exec_lo, exec_lo, s26
	v_lshlrev_b32_e32 v4, 16, v2
	v_lshlrev_b32_e32 v5, 20, v118
	v_lshl_add_u32 v3, v3, 23, 0x3c000000
	v_and_b32_e32 v4, 0x80000000, v4
	v_or3_b32 v4, v5, v4, v3
	v_mov_b32_e32 v3, v119
	buffer_store_dword v3, off, s[0:3], s32 offset:644 ; 4-byte Folded Spill
	buffer_store_dword v4, off, s[0:3], s32 offset:648 ; 4-byte Folded Spill
.LBB239_417:                            ;   in Loop: Header=BB239_16 Depth=1
	s_or_b32 exec_lo, exec_lo, s25
.LBB239_418:                            ;   in Loop: Header=BB239_16 Depth=1
	s_or_b32 exec_lo, exec_lo, s24
.LBB239_419:                            ;   in Loop: Header=BB239_16 Depth=1
	s_or_b32 exec_lo, exec_lo, s23
	v_mov_b32_e32 v4, 0
	v_mov_b32_e32 v5, 0
	;; [unrolled: 1-line block ×3, first 2 shown]
	s_mov_b32 s23, exec_lo
	buffer_store_dword v4, off, s[0:3], s32 offset:652 ; 4-byte Folded Spill
	buffer_store_dword v5, off, s[0:3], s32 offset:656 ; 4-byte Folded Spill
	v_mov_b32_e32 v4, 0
	v_and_b32_sdwa v3, v2, v3 dst_sel:DWORD dst_unused:UNUSED_PAD src0_sel:WORD_1 src1_sel:DWORD
	v_mov_b32_e32 v5, 0
	buffer_store_dword v4, off, s[0:3], s32 offset:660 ; 4-byte Folded Spill
	buffer_store_dword v5, off, s[0:3], s32 offset:664 ; 4-byte Folded Spill
	v_cmpx_ne_u16_e32 0, v3
	s_cbranch_execz .LBB239_427
; %bb.420:                              ;   in Loop: Header=BB239_16 Depth=1
	v_cmp_ne_u16_e64 s5, 0x80, v3
	v_bfrev_b32_e32 v3, 1
	v_mov_b32_e32 v4, 0
	buffer_store_dword v3, off, s[0:3], s32 offset:660 ; 4-byte Folded Spill
	buffer_store_dword v4, off, s[0:3], s32 offset:664 ; 4-byte Folded Spill
	s_and_saveexec_b32 s24, s5
	s_cbranch_execz .LBB239_426
; %bb.421:                              ;   in Loop: Header=BB239_16 Depth=1
	v_mov_b32_e32 v5, 0x7f800001
	v_bfe_u32 v4, v2, 16, 7
	v_mov_b32_e32 v6, 0
	s_mov_b32 s25, exec_lo
	buffer_store_dword v5, off, s[0:3], s32 offset:660 ; 4-byte Folded Spill
	buffer_store_dword v6, off, s[0:3], s32 offset:664 ; 4-byte Folded Spill
	v_cmpx_ne_u32_e32 0x7f, v4
	s_cbranch_execz .LBB239_425
; %bb.422:                              ;   in Loop: Header=BB239_16 Depth=1
	v_mov_b32_e32 v3, 7
	s_mov_b32 s26, exec_lo
	v_and_b32_sdwa v118, v2, v3 dst_sel:DWORD dst_unused:UNUSED_PAD src0_sel:WORD_1 src1_sel:DWORD
	v_lshrrev_b32_e32 v3, 3, v4
	v_cmpx_gt_u32_e32 8, v4
; %bb.423:                              ;   in Loop: Header=BB239_16 Depth=1
	v_ffbh_u32_e32 v3, v118
	v_min_u32_e32 v3, 32, v3
	v_subrev_nc_u32_e32 v4, 28, v3
	v_sub_nc_u32_e32 v3, 29, v3
	v_lshlrev_b64 v[4:5], v4, v[118:119]
	v_and_b32_e32 v118, 7, v4
; %bb.424:                              ;   in Loop: Header=BB239_16 Depth=1
	s_or_b32 exec_lo, exec_lo, s26
	v_mov_b32_e32 v4, 24
	v_lshlrev_b32_e32 v5, 20, v118
	v_lshl_add_u32 v3, v3, 23, 0x3c000000
	v_lshlrev_b32_sdwa v4, v4, v2 dst_sel:DWORD dst_unused:UNUSED_PAD src0_sel:DWORD src1_sel:WORD_1
	v_and_b32_e32 v4, 0x80000000, v4
	v_or3_b32 v118, v5, v4, v3
	buffer_store_dword v118, off, s[0:3], s32 offset:660 ; 4-byte Folded Spill
	buffer_store_dword v119, off, s[0:3], s32 offset:664 ; 4-byte Folded Spill
.LBB239_425:                            ;   in Loop: Header=BB239_16 Depth=1
	s_or_b32 exec_lo, exec_lo, s25
.LBB239_426:                            ;   in Loop: Header=BB239_16 Depth=1
	s_or_b32 exec_lo, exec_lo, s24
.LBB239_427:                            ;   in Loop: Header=BB239_16 Depth=1
	s_or_b32 exec_lo, exec_lo, s23
	s_mov_b32 s23, exec_lo
	v_cmpx_lt_u32_e32 0xffffff, v2
	s_cbranch_execz .LBB239_435
; %bb.428:                              ;   in Loop: Header=BB239_16 Depth=1
	v_mov_b32_e32 v3, 0x80
	v_mov_b32_e32 v50, v119
	buffer_store_dword v50, off, s[0:3], s32 offset:652 ; 4-byte Folded Spill
	buffer_store_dword v51, off, s[0:3], s32 offset:656 ; 4-byte Folded Spill
	v_cmp_ne_u32_sdwa s5, v2, v3 src0_sel:BYTE_3 src1_sel:DWORD
	s_and_saveexec_b32 s24, s5
	s_cbranch_execz .LBB239_434
; %bb.429:                              ;   in Loop: Header=BB239_16 Depth=1
	s_clause 0x1
	buffer_load_dword v5, off, s[0:3], s32 offset:200
	buffer_load_dword v6, off, s[0:3], s32 offset:204
	v_bfe_u32 v4, v2, 24, 7
	s_waitcnt vmcnt(1)
	v_mov_b32_e32 v5, v119
	s_mov_b32 s25, exec_lo
	s_waitcnt vmcnt(0)
	v_mov_b32_e32 v3, v6
	buffer_store_dword v2, off, s[0:3], s32 offset:200 ; 4-byte Folded Spill
	buffer_store_dword v3, off, s[0:3], s32 offset:204 ; 4-byte Folded Spill
	;; [unrolled: 1-line block ×4, first 2 shown]
	v_cmpx_ne_u32_e32 0x7f, v4
	s_cbranch_execz .LBB239_433
; %bb.430:                              ;   in Loop: Header=BB239_16 Depth=1
	v_mov_b32_e32 v3, 7
	s_mov_b32 s26, exec_lo
	v_and_b32_sdwa v118, v2, v3 dst_sel:DWORD dst_unused:UNUSED_PAD src0_sel:BYTE_3 src1_sel:DWORD
	v_lshrrev_b32_e32 v3, 3, v4
	v_cmpx_gt_u32_e32 8, v4
; %bb.431:                              ;   in Loop: Header=BB239_16 Depth=1
	v_ffbh_u32_e32 v3, v118
	v_min_u32_e32 v3, 32, v3
	v_subrev_nc_u32_e32 v4, 28, v3
	v_sub_nc_u32_e32 v3, 29, v3
	v_lshlrev_b64 v[4:5], v4, v[118:119]
	v_and_b32_e32 v118, 7, v4
; %bb.432:                              ;   in Loop: Header=BB239_16 Depth=1
	s_or_b32 exec_lo, exec_lo, s26
	v_mov_b32_e32 v4, 24
	v_lshl_add_u32 v3, v3, 23, 0x3c000000
	v_lshlrev_b32_sdwa v2, v4, v2 dst_sel:DWORD dst_unused:UNUSED_PAD src0_sel:DWORD src1_sel:BYTE_3
	v_lshlrev_b32_e32 v4, 20, v118
	v_and_b32_e32 v2, 0x80000000, v2
	v_or3_b32 v3, v4, v2, v3
	v_mov_b32_e32 v2, v119
	buffer_store_dword v2, off, s[0:3], s32 offset:652 ; 4-byte Folded Spill
	buffer_store_dword v3, off, s[0:3], s32 offset:656 ; 4-byte Folded Spill
.LBB239_433:                            ;   in Loop: Header=BB239_16 Depth=1
	s_or_b32 exec_lo, exec_lo, s25
.LBB239_434:                            ;   in Loop: Header=BB239_16 Depth=1
	s_or_b32 exec_lo, exec_lo, s24
.LBB239_435:                            ;   in Loop: Header=BB239_16 Depth=1
	s_or_b32 exec_lo, exec_lo, s23
	flat_load_dword v2, v[0:1] offset:1540
	v_mov_b32_e32 v3, 0
	v_mov_b32_e32 v4, 0
	buffer_store_dword v3, off, s[0:3], s32 offset:676 ; 4-byte Folded Spill
	buffer_store_dword v4, off, s[0:3], s32 offset:680 ; 4-byte Folded Spill
	v_mov_b32_e32 v3, 0
	v_mov_b32_e32 v4, 0
	buffer_store_dword v3, off, s[0:3], s32 offset:668 ; 4-byte Folded Spill
	buffer_store_dword v4, off, s[0:3], s32 offset:672 ; 4-byte Folded Spill
	s_waitcnt vmcnt(0) lgkmcnt(0)
	v_cmp_ne_u16_sdwa s5, v2, v119 src0_sel:BYTE_0 src1_sel:DWORD
	s_and_saveexec_b32 s23, s5
	s_cbranch_execz .LBB239_443
; %bb.436:                              ;   in Loop: Header=BB239_16 Depth=1
	v_bfrev_b32_e32 v3, 1
	v_mov_b32_e32 v4, 0
	buffer_store_dword v3, off, s[0:3], s32 offset:668 ; 4-byte Folded Spill
	buffer_store_dword v4, off, s[0:3], s32 offset:672 ; 4-byte Folded Spill
	v_mov_b32_e32 v3, 0x80
	v_cmp_ne_u16_sdwa s5, v2, v3 src0_sel:BYTE_0 src1_sel:DWORD
	s_and_saveexec_b32 s24, s5
	s_cbranch_execz .LBB239_442
; %bb.437:                              ;   in Loop: Header=BB239_16 Depth=1
	v_mov_b32_e32 v5, 0x7f800001
	v_and_b32_e32 v4, 0x7f, v2
	v_mov_b32_e32 v6, 0
	s_mov_b32 s25, exec_lo
	buffer_store_dword v5, off, s[0:3], s32 offset:668 ; 4-byte Folded Spill
	buffer_store_dword v6, off, s[0:3], s32 offset:672 ; 4-byte Folded Spill
	v_cmpx_ne_u32_e32 0x7f, v4
	s_cbranch_execz .LBB239_441
; %bb.438:                              ;   in Loop: Header=BB239_16 Depth=1
	v_and_b32_e32 v118, 7, v2
	v_lshrrev_b32_e32 v3, 3, v4
	s_mov_b32 s26, exec_lo
	v_cmpx_gt_u32_e32 8, v4
; %bb.439:                              ;   in Loop: Header=BB239_16 Depth=1
	v_ffbh_u32_e32 v3, v118
	v_min_u32_e32 v3, 32, v3
	v_subrev_nc_u32_e32 v4, 28, v3
	v_sub_nc_u32_e32 v3, 29, v3
	v_lshlrev_b64 v[4:5], v4, v[118:119]
	v_and_b32_e32 v118, 7, v4
; %bb.440:                              ;   in Loop: Header=BB239_16 Depth=1
	s_or_b32 exec_lo, exec_lo, s26
	v_lshlrev_b32_e32 v4, 24, v2
	v_lshlrev_b32_e32 v5, 20, v118
	v_lshl_add_u32 v3, v3, 23, 0x3c000000
	v_and_b32_e32 v4, 0x80000000, v4
	v_or3_b32 v118, v5, v4, v3
	buffer_store_dword v118, off, s[0:3], s32 offset:668 ; 4-byte Folded Spill
	buffer_store_dword v119, off, s[0:3], s32 offset:672 ; 4-byte Folded Spill
.LBB239_441:                            ;   in Loop: Header=BB239_16 Depth=1
	s_or_b32 exec_lo, exec_lo, s25
.LBB239_442:                            ;   in Loop: Header=BB239_16 Depth=1
	s_or_b32 exec_lo, exec_lo, s24
.LBB239_443:                            ;   in Loop: Header=BB239_16 Depth=1
	s_or_b32 exec_lo, exec_lo, s23
	v_cmp_ne_u16_sdwa s5, v2, v119 src0_sel:BYTE_1 src1_sel:DWORD
	s_and_saveexec_b32 s23, s5
	s_cbranch_execz .LBB239_451
; %bb.444:                              ;   in Loop: Header=BB239_16 Depth=1
	v_mov_b32_e32 v3, 0x80
	v_mov_b32_e32 v50, v119
	buffer_store_dword v50, off, s[0:3], s32 offset:676 ; 4-byte Folded Spill
	buffer_store_dword v51, off, s[0:3], s32 offset:680 ; 4-byte Folded Spill
	v_cmp_ne_u16_sdwa s5, v2, v3 src0_sel:BYTE_1 src1_sel:DWORD
	s_and_saveexec_b32 s24, s5
	s_cbranch_execz .LBB239_450
; %bb.445:                              ;   in Loop: Header=BB239_16 Depth=1
	s_clause 0x1
	buffer_load_dword v5, off, s[0:3], s32 offset:200
	buffer_load_dword v6, off, s[0:3], s32 offset:204
	v_mov_b32_e32 v3, 0xffff
	s_mov_b32 s25, exec_lo
	v_and_b32_sdwa v3, v3, v2 dst_sel:DWORD dst_unused:UNUSED_PAD src0_sel:DWORD src1_sel:BYTE_1
	v_and_b32_e32 v4, 0x7f, v3
	s_waitcnt vmcnt(0)
	v_mov_b32_e32 v7, v6
	v_mov_b32_e32 v6, v119
	v_mov_b32_e32 v5, v7
	buffer_store_dword v4, off, s[0:3], s32 offset:200 ; 4-byte Folded Spill
	buffer_store_dword v5, off, s[0:3], s32 offset:204 ; 4-byte Folded Spill
	;; [unrolled: 1-line block ×4, first 2 shown]
	v_cmpx_ne_u32_e32 0x7f, v4
	s_cbranch_execz .LBB239_449
; %bb.446:                              ;   in Loop: Header=BB239_16 Depth=1
	v_and_b32_e32 v118, 7, v3
	v_lshrrev_b32_e32 v3, 3, v4
	s_mov_b32 s26, exec_lo
	v_cmpx_gt_u32_e32 8, v4
; %bb.447:                              ;   in Loop: Header=BB239_16 Depth=1
	v_ffbh_u32_e32 v3, v118
	v_min_u32_e32 v3, 32, v3
	v_subrev_nc_u32_e32 v4, 28, v3
	v_sub_nc_u32_e32 v3, 29, v3
	v_lshlrev_b64 v[4:5], v4, v[118:119]
	v_and_b32_e32 v118, 7, v4
; %bb.448:                              ;   in Loop: Header=BB239_16 Depth=1
	s_or_b32 exec_lo, exec_lo, s26
	v_lshlrev_b32_e32 v4, 16, v2
	v_lshlrev_b32_e32 v5, 20, v118
	v_lshl_add_u32 v3, v3, 23, 0x3c000000
	v_and_b32_e32 v4, 0x80000000, v4
	v_or3_b32 v4, v5, v4, v3
	v_mov_b32_e32 v3, v119
	buffer_store_dword v3, off, s[0:3], s32 offset:676 ; 4-byte Folded Spill
	buffer_store_dword v4, off, s[0:3], s32 offset:680 ; 4-byte Folded Spill
.LBB239_449:                            ;   in Loop: Header=BB239_16 Depth=1
	s_or_b32 exec_lo, exec_lo, s25
.LBB239_450:                            ;   in Loop: Header=BB239_16 Depth=1
	s_or_b32 exec_lo, exec_lo, s24
.LBB239_451:                            ;   in Loop: Header=BB239_16 Depth=1
	s_or_b32 exec_lo, exec_lo, s23
	v_mov_b32_e32 v4, 0
	v_mov_b32_e32 v5, 0
	;; [unrolled: 1-line block ×3, first 2 shown]
	s_mov_b32 s23, exec_lo
	buffer_store_dword v4, off, s[0:3], s32 offset:684 ; 4-byte Folded Spill
	buffer_store_dword v5, off, s[0:3], s32 offset:688 ; 4-byte Folded Spill
	v_mov_b32_e32 v4, 0
	v_and_b32_sdwa v3, v2, v3 dst_sel:DWORD dst_unused:UNUSED_PAD src0_sel:WORD_1 src1_sel:DWORD
	v_mov_b32_e32 v5, 0
	buffer_store_dword v4, off, s[0:3], s32 offset:692 ; 4-byte Folded Spill
	buffer_store_dword v5, off, s[0:3], s32 offset:696 ; 4-byte Folded Spill
	v_cmpx_ne_u16_e32 0, v3
	s_cbranch_execz .LBB239_459
; %bb.452:                              ;   in Loop: Header=BB239_16 Depth=1
	v_cmp_ne_u16_e64 s5, 0x80, v3
	v_bfrev_b32_e32 v3, 1
	v_mov_b32_e32 v4, 0
	buffer_store_dword v3, off, s[0:3], s32 offset:692 ; 4-byte Folded Spill
	buffer_store_dword v4, off, s[0:3], s32 offset:696 ; 4-byte Folded Spill
	s_and_saveexec_b32 s24, s5
	s_cbranch_execz .LBB239_458
; %bb.453:                              ;   in Loop: Header=BB239_16 Depth=1
	v_mov_b32_e32 v5, 0x7f800001
	v_bfe_u32 v4, v2, 16, 7
	v_mov_b32_e32 v6, 0
	s_mov_b32 s25, exec_lo
	buffer_store_dword v5, off, s[0:3], s32 offset:692 ; 4-byte Folded Spill
	buffer_store_dword v6, off, s[0:3], s32 offset:696 ; 4-byte Folded Spill
	v_cmpx_ne_u32_e32 0x7f, v4
	s_cbranch_execz .LBB239_457
; %bb.454:                              ;   in Loop: Header=BB239_16 Depth=1
	v_mov_b32_e32 v3, 7
	s_mov_b32 s26, exec_lo
	v_and_b32_sdwa v118, v2, v3 dst_sel:DWORD dst_unused:UNUSED_PAD src0_sel:WORD_1 src1_sel:DWORD
	v_lshrrev_b32_e32 v3, 3, v4
	v_cmpx_gt_u32_e32 8, v4
; %bb.455:                              ;   in Loop: Header=BB239_16 Depth=1
	v_ffbh_u32_e32 v3, v118
	v_min_u32_e32 v3, 32, v3
	v_subrev_nc_u32_e32 v4, 28, v3
	v_sub_nc_u32_e32 v3, 29, v3
	v_lshlrev_b64 v[4:5], v4, v[118:119]
	v_and_b32_e32 v118, 7, v4
; %bb.456:                              ;   in Loop: Header=BB239_16 Depth=1
	s_or_b32 exec_lo, exec_lo, s26
	v_mov_b32_e32 v4, 24
	v_lshlrev_b32_e32 v5, 20, v118
	v_lshl_add_u32 v3, v3, 23, 0x3c000000
	v_lshlrev_b32_sdwa v4, v4, v2 dst_sel:DWORD dst_unused:UNUSED_PAD src0_sel:DWORD src1_sel:WORD_1
	v_and_b32_e32 v4, 0x80000000, v4
	v_or3_b32 v118, v5, v4, v3
	buffer_store_dword v118, off, s[0:3], s32 offset:692 ; 4-byte Folded Spill
	buffer_store_dword v119, off, s[0:3], s32 offset:696 ; 4-byte Folded Spill
.LBB239_457:                            ;   in Loop: Header=BB239_16 Depth=1
	s_or_b32 exec_lo, exec_lo, s25
.LBB239_458:                            ;   in Loop: Header=BB239_16 Depth=1
	s_or_b32 exec_lo, exec_lo, s24
.LBB239_459:                            ;   in Loop: Header=BB239_16 Depth=1
	s_or_b32 exec_lo, exec_lo, s23
	s_mov_b32 s23, exec_lo
	v_cmpx_lt_u32_e32 0xffffff, v2
	s_cbranch_execz .LBB239_467
; %bb.460:                              ;   in Loop: Header=BB239_16 Depth=1
	v_mov_b32_e32 v3, 0x80
	v_mov_b32_e32 v50, v119
	buffer_store_dword v50, off, s[0:3], s32 offset:684 ; 4-byte Folded Spill
	buffer_store_dword v51, off, s[0:3], s32 offset:688 ; 4-byte Folded Spill
	v_cmp_ne_u32_sdwa s5, v2, v3 src0_sel:BYTE_3 src1_sel:DWORD
	s_and_saveexec_b32 s24, s5
	s_cbranch_execz .LBB239_466
; %bb.461:                              ;   in Loop: Header=BB239_16 Depth=1
	s_clause 0x1
	buffer_load_dword v5, off, s[0:3], s32 offset:200
	buffer_load_dword v6, off, s[0:3], s32 offset:204
	v_bfe_u32 v4, v2, 24, 7
	s_waitcnt vmcnt(1)
	v_mov_b32_e32 v5, v119
	s_mov_b32 s25, exec_lo
	s_waitcnt vmcnt(0)
	v_mov_b32_e32 v3, v6
	buffer_store_dword v2, off, s[0:3], s32 offset:200 ; 4-byte Folded Spill
	buffer_store_dword v3, off, s[0:3], s32 offset:204 ; 4-byte Folded Spill
	;; [unrolled: 1-line block ×4, first 2 shown]
	v_cmpx_ne_u32_e32 0x7f, v4
	s_cbranch_execz .LBB239_465
; %bb.462:                              ;   in Loop: Header=BB239_16 Depth=1
	v_mov_b32_e32 v3, 7
	s_mov_b32 s26, exec_lo
	v_and_b32_sdwa v118, v2, v3 dst_sel:DWORD dst_unused:UNUSED_PAD src0_sel:BYTE_3 src1_sel:DWORD
	v_lshrrev_b32_e32 v3, 3, v4
	v_cmpx_gt_u32_e32 8, v4
; %bb.463:                              ;   in Loop: Header=BB239_16 Depth=1
	v_ffbh_u32_e32 v3, v118
	v_min_u32_e32 v3, 32, v3
	v_subrev_nc_u32_e32 v4, 28, v3
	v_sub_nc_u32_e32 v3, 29, v3
	v_lshlrev_b64 v[4:5], v4, v[118:119]
	v_and_b32_e32 v118, 7, v4
; %bb.464:                              ;   in Loop: Header=BB239_16 Depth=1
	s_or_b32 exec_lo, exec_lo, s26
	v_mov_b32_e32 v4, 24
	v_lshl_add_u32 v3, v3, 23, 0x3c000000
	v_lshlrev_b32_sdwa v2, v4, v2 dst_sel:DWORD dst_unused:UNUSED_PAD src0_sel:DWORD src1_sel:BYTE_3
	v_lshlrev_b32_e32 v4, 20, v118
	v_and_b32_e32 v2, 0x80000000, v2
	v_or3_b32 v3, v4, v2, v3
	v_mov_b32_e32 v2, v119
	buffer_store_dword v2, off, s[0:3], s32 offset:684 ; 4-byte Folded Spill
	buffer_store_dword v3, off, s[0:3], s32 offset:688 ; 4-byte Folded Spill
.LBB239_465:                            ;   in Loop: Header=BB239_16 Depth=1
	s_or_b32 exec_lo, exec_lo, s25
.LBB239_466:                            ;   in Loop: Header=BB239_16 Depth=1
	s_or_b32 exec_lo, exec_lo, s24
.LBB239_467:                            ;   in Loop: Header=BB239_16 Depth=1
	s_or_b32 exec_lo, exec_lo, s23
	flat_load_dword v2, v[0:1] offset:1544
	v_mov_b32_e32 v3, 0
	v_mov_b32_e32 v4, 0
	buffer_store_dword v3, off, s[0:3], s32 offset:708 ; 4-byte Folded Spill
	buffer_store_dword v4, off, s[0:3], s32 offset:712 ; 4-byte Folded Spill
	v_mov_b32_e32 v3, 0
	v_mov_b32_e32 v4, 0
	buffer_store_dword v3, off, s[0:3], s32 offset:700 ; 4-byte Folded Spill
	buffer_store_dword v4, off, s[0:3], s32 offset:704 ; 4-byte Folded Spill
	s_waitcnt vmcnt(0) lgkmcnt(0)
	v_cmp_ne_u16_sdwa s5, v2, v119 src0_sel:BYTE_0 src1_sel:DWORD
	s_and_saveexec_b32 s23, s5
	s_cbranch_execz .LBB239_475
; %bb.468:                              ;   in Loop: Header=BB239_16 Depth=1
	v_bfrev_b32_e32 v3, 1
	v_mov_b32_e32 v4, 0
	buffer_store_dword v3, off, s[0:3], s32 offset:700 ; 4-byte Folded Spill
	buffer_store_dword v4, off, s[0:3], s32 offset:704 ; 4-byte Folded Spill
	v_mov_b32_e32 v3, 0x80
	v_cmp_ne_u16_sdwa s5, v2, v3 src0_sel:BYTE_0 src1_sel:DWORD
	s_and_saveexec_b32 s24, s5
	s_cbranch_execz .LBB239_474
; %bb.469:                              ;   in Loop: Header=BB239_16 Depth=1
	v_mov_b32_e32 v5, 0x7f800001
	v_and_b32_e32 v4, 0x7f, v2
	v_mov_b32_e32 v6, 0
	s_mov_b32 s25, exec_lo
	buffer_store_dword v5, off, s[0:3], s32 offset:700 ; 4-byte Folded Spill
	buffer_store_dword v6, off, s[0:3], s32 offset:704 ; 4-byte Folded Spill
	v_cmpx_ne_u32_e32 0x7f, v4
	s_cbranch_execz .LBB239_473
; %bb.470:                              ;   in Loop: Header=BB239_16 Depth=1
	v_and_b32_e32 v118, 7, v2
	v_lshrrev_b32_e32 v3, 3, v4
	s_mov_b32 s26, exec_lo
	v_cmpx_gt_u32_e32 8, v4
; %bb.471:                              ;   in Loop: Header=BB239_16 Depth=1
	v_ffbh_u32_e32 v3, v118
	v_min_u32_e32 v3, 32, v3
	v_subrev_nc_u32_e32 v4, 28, v3
	v_sub_nc_u32_e32 v3, 29, v3
	v_lshlrev_b64 v[4:5], v4, v[118:119]
	v_and_b32_e32 v118, 7, v4
; %bb.472:                              ;   in Loop: Header=BB239_16 Depth=1
	s_or_b32 exec_lo, exec_lo, s26
	v_lshlrev_b32_e32 v4, 24, v2
	v_lshlrev_b32_e32 v5, 20, v118
	v_lshl_add_u32 v3, v3, 23, 0x3c000000
	v_and_b32_e32 v4, 0x80000000, v4
	v_or3_b32 v118, v5, v4, v3
	buffer_store_dword v118, off, s[0:3], s32 offset:700 ; 4-byte Folded Spill
	buffer_store_dword v119, off, s[0:3], s32 offset:704 ; 4-byte Folded Spill
.LBB239_473:                            ;   in Loop: Header=BB239_16 Depth=1
	s_or_b32 exec_lo, exec_lo, s25
.LBB239_474:                            ;   in Loop: Header=BB239_16 Depth=1
	s_or_b32 exec_lo, exec_lo, s24
.LBB239_475:                            ;   in Loop: Header=BB239_16 Depth=1
	s_or_b32 exec_lo, exec_lo, s23
	v_cmp_ne_u16_sdwa s5, v2, v119 src0_sel:BYTE_1 src1_sel:DWORD
	s_and_saveexec_b32 s23, s5
	s_cbranch_execz .LBB239_483
; %bb.476:                              ;   in Loop: Header=BB239_16 Depth=1
	v_mov_b32_e32 v3, 0x80
	v_mov_b32_e32 v50, v119
	buffer_store_dword v50, off, s[0:3], s32 offset:708 ; 4-byte Folded Spill
	buffer_store_dword v51, off, s[0:3], s32 offset:712 ; 4-byte Folded Spill
	v_cmp_ne_u16_sdwa s5, v2, v3 src0_sel:BYTE_1 src1_sel:DWORD
	s_and_saveexec_b32 s24, s5
	s_cbranch_execz .LBB239_482
; %bb.477:                              ;   in Loop: Header=BB239_16 Depth=1
	s_clause 0x1
	buffer_load_dword v5, off, s[0:3], s32 offset:200
	buffer_load_dword v6, off, s[0:3], s32 offset:204
	v_mov_b32_e32 v3, 0xffff
	s_mov_b32 s25, exec_lo
	v_and_b32_sdwa v3, v3, v2 dst_sel:DWORD dst_unused:UNUSED_PAD src0_sel:DWORD src1_sel:BYTE_1
	v_and_b32_e32 v4, 0x7f, v3
	s_waitcnt vmcnt(0)
	v_mov_b32_e32 v7, v6
	v_mov_b32_e32 v6, v119
	v_mov_b32_e32 v5, v7
	buffer_store_dword v4, off, s[0:3], s32 offset:200 ; 4-byte Folded Spill
	buffer_store_dword v5, off, s[0:3], s32 offset:204 ; 4-byte Folded Spill
	;; [unrolled: 1-line block ×4, first 2 shown]
	v_cmpx_ne_u32_e32 0x7f, v4
	s_cbranch_execz .LBB239_481
; %bb.478:                              ;   in Loop: Header=BB239_16 Depth=1
	v_and_b32_e32 v118, 7, v3
	v_lshrrev_b32_e32 v3, 3, v4
	s_mov_b32 s26, exec_lo
	v_cmpx_gt_u32_e32 8, v4
; %bb.479:                              ;   in Loop: Header=BB239_16 Depth=1
	v_ffbh_u32_e32 v3, v118
	v_min_u32_e32 v3, 32, v3
	v_subrev_nc_u32_e32 v4, 28, v3
	v_sub_nc_u32_e32 v3, 29, v3
	v_lshlrev_b64 v[4:5], v4, v[118:119]
	v_and_b32_e32 v118, 7, v4
; %bb.480:                              ;   in Loop: Header=BB239_16 Depth=1
	s_or_b32 exec_lo, exec_lo, s26
	v_lshlrev_b32_e32 v4, 16, v2
	v_lshlrev_b32_e32 v5, 20, v118
	v_lshl_add_u32 v3, v3, 23, 0x3c000000
	v_and_b32_e32 v4, 0x80000000, v4
	v_or3_b32 v4, v5, v4, v3
	v_mov_b32_e32 v3, v119
	buffer_store_dword v3, off, s[0:3], s32 offset:708 ; 4-byte Folded Spill
	buffer_store_dword v4, off, s[0:3], s32 offset:712 ; 4-byte Folded Spill
.LBB239_481:                            ;   in Loop: Header=BB239_16 Depth=1
	s_or_b32 exec_lo, exec_lo, s25
.LBB239_482:                            ;   in Loop: Header=BB239_16 Depth=1
	s_or_b32 exec_lo, exec_lo, s24
.LBB239_483:                            ;   in Loop: Header=BB239_16 Depth=1
	s_or_b32 exec_lo, exec_lo, s23
	v_mov_b32_e32 v4, 0
	v_mov_b32_e32 v5, 0
	;; [unrolled: 1-line block ×3, first 2 shown]
	s_mov_b32 s23, exec_lo
	buffer_store_dword v4, off, s[0:3], s32 offset:716 ; 4-byte Folded Spill
	buffer_store_dword v5, off, s[0:3], s32 offset:720 ; 4-byte Folded Spill
	v_mov_b32_e32 v4, 0
	v_and_b32_sdwa v3, v2, v3 dst_sel:DWORD dst_unused:UNUSED_PAD src0_sel:WORD_1 src1_sel:DWORD
	v_mov_b32_e32 v5, 0
	buffer_store_dword v4, off, s[0:3], s32 offset:724 ; 4-byte Folded Spill
	buffer_store_dword v5, off, s[0:3], s32 offset:728 ; 4-byte Folded Spill
	v_cmpx_ne_u16_e32 0, v3
	s_cbranch_execz .LBB239_491
; %bb.484:                              ;   in Loop: Header=BB239_16 Depth=1
	v_cmp_ne_u16_e64 s5, 0x80, v3
	v_bfrev_b32_e32 v3, 1
	v_mov_b32_e32 v4, 0
	buffer_store_dword v3, off, s[0:3], s32 offset:724 ; 4-byte Folded Spill
	buffer_store_dword v4, off, s[0:3], s32 offset:728 ; 4-byte Folded Spill
	s_and_saveexec_b32 s24, s5
	s_cbranch_execz .LBB239_490
; %bb.485:                              ;   in Loop: Header=BB239_16 Depth=1
	v_mov_b32_e32 v5, 0x7f800001
	v_bfe_u32 v4, v2, 16, 7
	v_mov_b32_e32 v6, 0
	s_mov_b32 s25, exec_lo
	buffer_store_dword v5, off, s[0:3], s32 offset:724 ; 4-byte Folded Spill
	buffer_store_dword v6, off, s[0:3], s32 offset:728 ; 4-byte Folded Spill
	v_cmpx_ne_u32_e32 0x7f, v4
	s_cbranch_execz .LBB239_489
; %bb.486:                              ;   in Loop: Header=BB239_16 Depth=1
	v_mov_b32_e32 v3, 7
	s_mov_b32 s26, exec_lo
	v_and_b32_sdwa v118, v2, v3 dst_sel:DWORD dst_unused:UNUSED_PAD src0_sel:WORD_1 src1_sel:DWORD
	v_lshrrev_b32_e32 v3, 3, v4
	v_cmpx_gt_u32_e32 8, v4
; %bb.487:                              ;   in Loop: Header=BB239_16 Depth=1
	v_ffbh_u32_e32 v3, v118
	v_min_u32_e32 v3, 32, v3
	v_subrev_nc_u32_e32 v4, 28, v3
	v_sub_nc_u32_e32 v3, 29, v3
	v_lshlrev_b64 v[4:5], v4, v[118:119]
	v_and_b32_e32 v118, 7, v4
; %bb.488:                              ;   in Loop: Header=BB239_16 Depth=1
	s_or_b32 exec_lo, exec_lo, s26
	v_mov_b32_e32 v4, 24
	v_lshlrev_b32_e32 v5, 20, v118
	v_lshl_add_u32 v3, v3, 23, 0x3c000000
	v_lshlrev_b32_sdwa v4, v4, v2 dst_sel:DWORD dst_unused:UNUSED_PAD src0_sel:DWORD src1_sel:WORD_1
	v_and_b32_e32 v4, 0x80000000, v4
	v_or3_b32 v118, v5, v4, v3
	buffer_store_dword v118, off, s[0:3], s32 offset:724 ; 4-byte Folded Spill
	buffer_store_dword v119, off, s[0:3], s32 offset:728 ; 4-byte Folded Spill
.LBB239_489:                            ;   in Loop: Header=BB239_16 Depth=1
	s_or_b32 exec_lo, exec_lo, s25
.LBB239_490:                            ;   in Loop: Header=BB239_16 Depth=1
	s_or_b32 exec_lo, exec_lo, s24
.LBB239_491:                            ;   in Loop: Header=BB239_16 Depth=1
	s_or_b32 exec_lo, exec_lo, s23
	s_mov_b32 s23, exec_lo
	v_cmpx_lt_u32_e32 0xffffff, v2
	s_cbranch_execz .LBB239_499
; %bb.492:                              ;   in Loop: Header=BB239_16 Depth=1
	v_mov_b32_e32 v3, 0x80
	v_mov_b32_e32 v50, v119
	buffer_store_dword v50, off, s[0:3], s32 offset:716 ; 4-byte Folded Spill
	buffer_store_dword v51, off, s[0:3], s32 offset:720 ; 4-byte Folded Spill
	v_cmp_ne_u32_sdwa s5, v2, v3 src0_sel:BYTE_3 src1_sel:DWORD
	s_and_saveexec_b32 s24, s5
	s_cbranch_execz .LBB239_498
; %bb.493:                              ;   in Loop: Header=BB239_16 Depth=1
	s_clause 0x1
	buffer_load_dword v5, off, s[0:3], s32 offset:200
	buffer_load_dword v6, off, s[0:3], s32 offset:204
	v_bfe_u32 v4, v2, 24, 7
	s_waitcnt vmcnt(1)
	v_mov_b32_e32 v5, v119
	s_mov_b32 s25, exec_lo
	s_waitcnt vmcnt(0)
	v_mov_b32_e32 v3, v6
	buffer_store_dword v2, off, s[0:3], s32 offset:200 ; 4-byte Folded Spill
	buffer_store_dword v3, off, s[0:3], s32 offset:204 ; 4-byte Folded Spill
	;; [unrolled: 1-line block ×4, first 2 shown]
	v_cmpx_ne_u32_e32 0x7f, v4
	s_cbranch_execz .LBB239_497
; %bb.494:                              ;   in Loop: Header=BB239_16 Depth=1
	v_mov_b32_e32 v3, 7
	s_mov_b32 s26, exec_lo
	v_and_b32_sdwa v118, v2, v3 dst_sel:DWORD dst_unused:UNUSED_PAD src0_sel:BYTE_3 src1_sel:DWORD
	v_lshrrev_b32_e32 v3, 3, v4
	v_cmpx_gt_u32_e32 8, v4
; %bb.495:                              ;   in Loop: Header=BB239_16 Depth=1
	v_ffbh_u32_e32 v3, v118
	v_min_u32_e32 v3, 32, v3
	v_subrev_nc_u32_e32 v4, 28, v3
	v_sub_nc_u32_e32 v3, 29, v3
	v_lshlrev_b64 v[4:5], v4, v[118:119]
	v_and_b32_e32 v118, 7, v4
; %bb.496:                              ;   in Loop: Header=BB239_16 Depth=1
	s_or_b32 exec_lo, exec_lo, s26
	v_mov_b32_e32 v4, 24
	v_lshl_add_u32 v3, v3, 23, 0x3c000000
	v_lshlrev_b32_sdwa v2, v4, v2 dst_sel:DWORD dst_unused:UNUSED_PAD src0_sel:DWORD src1_sel:BYTE_3
	v_lshlrev_b32_e32 v4, 20, v118
	v_and_b32_e32 v2, 0x80000000, v2
	v_or3_b32 v3, v4, v2, v3
	v_mov_b32_e32 v2, v119
	buffer_store_dword v2, off, s[0:3], s32 offset:716 ; 4-byte Folded Spill
	buffer_store_dword v3, off, s[0:3], s32 offset:720 ; 4-byte Folded Spill
.LBB239_497:                            ;   in Loop: Header=BB239_16 Depth=1
	s_or_b32 exec_lo, exec_lo, s25
.LBB239_498:                            ;   in Loop: Header=BB239_16 Depth=1
	s_or_b32 exec_lo, exec_lo, s24
.LBB239_499:                            ;   in Loop: Header=BB239_16 Depth=1
	s_or_b32 exec_lo, exec_lo, s23
	flat_load_dword v2, v[0:1] offset:1548
	v_mov_b32_e32 v3, 0
	v_mov_b32_e32 v4, 0
	buffer_store_dword v3, off, s[0:3], s32 offset:740 ; 4-byte Folded Spill
	buffer_store_dword v4, off, s[0:3], s32 offset:744 ; 4-byte Folded Spill
	v_mov_b32_e32 v3, 0
	v_mov_b32_e32 v4, 0
	buffer_store_dword v3, off, s[0:3], s32 offset:732 ; 4-byte Folded Spill
	buffer_store_dword v4, off, s[0:3], s32 offset:736 ; 4-byte Folded Spill
	s_waitcnt vmcnt(0) lgkmcnt(0)
	v_cmp_ne_u16_sdwa s5, v2, v119 src0_sel:BYTE_0 src1_sel:DWORD
	s_and_saveexec_b32 s23, s5
	s_cbranch_execz .LBB239_507
; %bb.500:                              ;   in Loop: Header=BB239_16 Depth=1
	v_bfrev_b32_e32 v3, 1
	v_mov_b32_e32 v4, 0
	buffer_store_dword v3, off, s[0:3], s32 offset:732 ; 4-byte Folded Spill
	buffer_store_dword v4, off, s[0:3], s32 offset:736 ; 4-byte Folded Spill
	v_mov_b32_e32 v3, 0x80
	v_cmp_ne_u16_sdwa s5, v2, v3 src0_sel:BYTE_0 src1_sel:DWORD
	s_and_saveexec_b32 s24, s5
	s_cbranch_execz .LBB239_506
; %bb.501:                              ;   in Loop: Header=BB239_16 Depth=1
	v_mov_b32_e32 v5, 0x7f800001
	v_and_b32_e32 v4, 0x7f, v2
	v_mov_b32_e32 v6, 0
	s_mov_b32 s25, exec_lo
	buffer_store_dword v5, off, s[0:3], s32 offset:732 ; 4-byte Folded Spill
	buffer_store_dword v6, off, s[0:3], s32 offset:736 ; 4-byte Folded Spill
	v_cmpx_ne_u32_e32 0x7f, v4
	s_cbranch_execz .LBB239_505
; %bb.502:                              ;   in Loop: Header=BB239_16 Depth=1
	v_and_b32_e32 v118, 7, v2
	v_lshrrev_b32_e32 v3, 3, v4
	s_mov_b32 s26, exec_lo
	v_cmpx_gt_u32_e32 8, v4
; %bb.503:                              ;   in Loop: Header=BB239_16 Depth=1
	v_ffbh_u32_e32 v3, v118
	v_min_u32_e32 v3, 32, v3
	v_subrev_nc_u32_e32 v4, 28, v3
	v_sub_nc_u32_e32 v3, 29, v3
	v_lshlrev_b64 v[4:5], v4, v[118:119]
	v_and_b32_e32 v118, 7, v4
; %bb.504:                              ;   in Loop: Header=BB239_16 Depth=1
	s_or_b32 exec_lo, exec_lo, s26
	v_lshlrev_b32_e32 v4, 24, v2
	v_lshlrev_b32_e32 v5, 20, v118
	v_lshl_add_u32 v3, v3, 23, 0x3c000000
	v_and_b32_e32 v4, 0x80000000, v4
	v_or3_b32 v118, v5, v4, v3
	buffer_store_dword v118, off, s[0:3], s32 offset:732 ; 4-byte Folded Spill
	buffer_store_dword v119, off, s[0:3], s32 offset:736 ; 4-byte Folded Spill
.LBB239_505:                            ;   in Loop: Header=BB239_16 Depth=1
	s_or_b32 exec_lo, exec_lo, s25
.LBB239_506:                            ;   in Loop: Header=BB239_16 Depth=1
	s_or_b32 exec_lo, exec_lo, s24
.LBB239_507:                            ;   in Loop: Header=BB239_16 Depth=1
	s_or_b32 exec_lo, exec_lo, s23
	v_cmp_ne_u16_sdwa s5, v2, v119 src0_sel:BYTE_1 src1_sel:DWORD
	s_and_saveexec_b32 s23, s5
	s_cbranch_execz .LBB239_515
; %bb.508:                              ;   in Loop: Header=BB239_16 Depth=1
	v_mov_b32_e32 v3, 0x80
	v_mov_b32_e32 v50, v119
	buffer_store_dword v50, off, s[0:3], s32 offset:740 ; 4-byte Folded Spill
	buffer_store_dword v51, off, s[0:3], s32 offset:744 ; 4-byte Folded Spill
	v_cmp_ne_u16_sdwa s5, v2, v3 src0_sel:BYTE_1 src1_sel:DWORD
	s_and_saveexec_b32 s24, s5
	s_cbranch_execz .LBB239_514
; %bb.509:                              ;   in Loop: Header=BB239_16 Depth=1
	s_clause 0x1
	buffer_load_dword v5, off, s[0:3], s32 offset:200
	buffer_load_dword v6, off, s[0:3], s32 offset:204
	v_mov_b32_e32 v3, 0xffff
	s_mov_b32 s25, exec_lo
	v_and_b32_sdwa v3, v3, v2 dst_sel:DWORD dst_unused:UNUSED_PAD src0_sel:DWORD src1_sel:BYTE_1
	v_and_b32_e32 v4, 0x7f, v3
	s_waitcnt vmcnt(0)
	v_mov_b32_e32 v7, v6
	v_mov_b32_e32 v6, v119
	;; [unrolled: 1-line block ×3, first 2 shown]
	buffer_store_dword v4, off, s[0:3], s32 offset:200 ; 4-byte Folded Spill
	buffer_store_dword v5, off, s[0:3], s32 offset:204 ; 4-byte Folded Spill
	;; [unrolled: 1-line block ×4, first 2 shown]
	v_cmpx_ne_u32_e32 0x7f, v4
	s_cbranch_execz .LBB239_513
; %bb.510:                              ;   in Loop: Header=BB239_16 Depth=1
	v_and_b32_e32 v118, 7, v3
	v_lshrrev_b32_e32 v3, 3, v4
	s_mov_b32 s26, exec_lo
	v_cmpx_gt_u32_e32 8, v4
; %bb.511:                              ;   in Loop: Header=BB239_16 Depth=1
	v_ffbh_u32_e32 v3, v118
	v_min_u32_e32 v3, 32, v3
	v_subrev_nc_u32_e32 v4, 28, v3
	v_sub_nc_u32_e32 v3, 29, v3
	v_lshlrev_b64 v[4:5], v4, v[118:119]
	v_and_b32_e32 v118, 7, v4
; %bb.512:                              ;   in Loop: Header=BB239_16 Depth=1
	s_or_b32 exec_lo, exec_lo, s26
	v_lshlrev_b32_e32 v4, 16, v2
	v_lshlrev_b32_e32 v5, 20, v118
	v_lshl_add_u32 v3, v3, 23, 0x3c000000
	v_and_b32_e32 v4, 0x80000000, v4
	v_or3_b32 v4, v5, v4, v3
	v_mov_b32_e32 v3, v119
	buffer_store_dword v3, off, s[0:3], s32 offset:740 ; 4-byte Folded Spill
	buffer_store_dword v4, off, s[0:3], s32 offset:744 ; 4-byte Folded Spill
.LBB239_513:                            ;   in Loop: Header=BB239_16 Depth=1
	s_or_b32 exec_lo, exec_lo, s25
.LBB239_514:                            ;   in Loop: Header=BB239_16 Depth=1
	s_or_b32 exec_lo, exec_lo, s24
.LBB239_515:                            ;   in Loop: Header=BB239_16 Depth=1
	s_or_b32 exec_lo, exec_lo, s23
	v_mov_b32_e32 v4, 0
	v_mov_b32_e32 v5, 0
	;; [unrolled: 1-line block ×3, first 2 shown]
	s_mov_b32 s23, exec_lo
	buffer_store_dword v4, off, s[0:3], s32 offset:748 ; 4-byte Folded Spill
	buffer_store_dword v5, off, s[0:3], s32 offset:752 ; 4-byte Folded Spill
	v_mov_b32_e32 v4, 0
	v_and_b32_sdwa v3, v2, v3 dst_sel:DWORD dst_unused:UNUSED_PAD src0_sel:WORD_1 src1_sel:DWORD
	v_mov_b32_e32 v5, 0
	buffer_store_dword v4, off, s[0:3], s32 offset:756 ; 4-byte Folded Spill
	buffer_store_dword v5, off, s[0:3], s32 offset:760 ; 4-byte Folded Spill
	v_cmpx_ne_u16_e32 0, v3
	s_cbranch_execz .LBB239_523
; %bb.516:                              ;   in Loop: Header=BB239_16 Depth=1
	v_cmp_ne_u16_e64 s5, 0x80, v3
	v_bfrev_b32_e32 v3, 1
	v_mov_b32_e32 v4, 0
	buffer_store_dword v3, off, s[0:3], s32 offset:756 ; 4-byte Folded Spill
	buffer_store_dword v4, off, s[0:3], s32 offset:760 ; 4-byte Folded Spill
	s_and_saveexec_b32 s24, s5
	s_cbranch_execz .LBB239_522
; %bb.517:                              ;   in Loop: Header=BB239_16 Depth=1
	v_mov_b32_e32 v5, 0x7f800001
	v_bfe_u32 v4, v2, 16, 7
	v_mov_b32_e32 v6, 0
	s_mov_b32 s25, exec_lo
	buffer_store_dword v5, off, s[0:3], s32 offset:756 ; 4-byte Folded Spill
	buffer_store_dword v6, off, s[0:3], s32 offset:760 ; 4-byte Folded Spill
	v_cmpx_ne_u32_e32 0x7f, v4
	s_cbranch_execz .LBB239_521
; %bb.518:                              ;   in Loop: Header=BB239_16 Depth=1
	v_mov_b32_e32 v3, 7
	s_mov_b32 s26, exec_lo
	v_and_b32_sdwa v118, v2, v3 dst_sel:DWORD dst_unused:UNUSED_PAD src0_sel:WORD_1 src1_sel:DWORD
	v_lshrrev_b32_e32 v3, 3, v4
	v_cmpx_gt_u32_e32 8, v4
; %bb.519:                              ;   in Loop: Header=BB239_16 Depth=1
	v_ffbh_u32_e32 v3, v118
	v_min_u32_e32 v3, 32, v3
	v_subrev_nc_u32_e32 v4, 28, v3
	v_sub_nc_u32_e32 v3, 29, v3
	v_lshlrev_b64 v[4:5], v4, v[118:119]
	v_and_b32_e32 v118, 7, v4
; %bb.520:                              ;   in Loop: Header=BB239_16 Depth=1
	s_or_b32 exec_lo, exec_lo, s26
	v_mov_b32_e32 v4, 24
	v_lshlrev_b32_e32 v5, 20, v118
	v_lshl_add_u32 v3, v3, 23, 0x3c000000
	v_lshlrev_b32_sdwa v4, v4, v2 dst_sel:DWORD dst_unused:UNUSED_PAD src0_sel:DWORD src1_sel:WORD_1
	v_and_b32_e32 v4, 0x80000000, v4
	v_or3_b32 v118, v5, v4, v3
	buffer_store_dword v118, off, s[0:3], s32 offset:756 ; 4-byte Folded Spill
	buffer_store_dword v119, off, s[0:3], s32 offset:760 ; 4-byte Folded Spill
.LBB239_521:                            ;   in Loop: Header=BB239_16 Depth=1
	s_or_b32 exec_lo, exec_lo, s25
.LBB239_522:                            ;   in Loop: Header=BB239_16 Depth=1
	s_or_b32 exec_lo, exec_lo, s24
.LBB239_523:                            ;   in Loop: Header=BB239_16 Depth=1
	s_or_b32 exec_lo, exec_lo, s23
	s_mov_b32 s23, exec_lo
	v_cmpx_lt_u32_e32 0xffffff, v2
	s_cbranch_execz .LBB239_531
; %bb.524:                              ;   in Loop: Header=BB239_16 Depth=1
	v_mov_b32_e32 v3, 0x80
	v_mov_b32_e32 v50, v119
	buffer_store_dword v50, off, s[0:3], s32 offset:748 ; 4-byte Folded Spill
	buffer_store_dword v51, off, s[0:3], s32 offset:752 ; 4-byte Folded Spill
	v_cmp_ne_u32_sdwa s5, v2, v3 src0_sel:BYTE_3 src1_sel:DWORD
	s_and_saveexec_b32 s24, s5
	s_cbranch_execz .LBB239_530
; %bb.525:                              ;   in Loop: Header=BB239_16 Depth=1
	s_clause 0x1
	buffer_load_dword v5, off, s[0:3], s32 offset:200
	buffer_load_dword v6, off, s[0:3], s32 offset:204
	v_bfe_u32 v4, v2, 24, 7
	s_waitcnt vmcnt(1)
	v_mov_b32_e32 v5, v119
	s_mov_b32 s25, exec_lo
	s_waitcnt vmcnt(0)
	v_mov_b32_e32 v3, v6
	buffer_store_dword v2, off, s[0:3], s32 offset:200 ; 4-byte Folded Spill
	buffer_store_dword v3, off, s[0:3], s32 offset:204 ; 4-byte Folded Spill
	;; [unrolled: 1-line block ×4, first 2 shown]
	v_cmpx_ne_u32_e32 0x7f, v4
	s_cbranch_execz .LBB239_529
; %bb.526:                              ;   in Loop: Header=BB239_16 Depth=1
	v_mov_b32_e32 v3, 7
	s_mov_b32 s26, exec_lo
	v_and_b32_sdwa v118, v2, v3 dst_sel:DWORD dst_unused:UNUSED_PAD src0_sel:BYTE_3 src1_sel:DWORD
	v_lshrrev_b32_e32 v3, 3, v4
	v_cmpx_gt_u32_e32 8, v4
; %bb.527:                              ;   in Loop: Header=BB239_16 Depth=1
	v_ffbh_u32_e32 v3, v118
	v_min_u32_e32 v3, 32, v3
	v_subrev_nc_u32_e32 v4, 28, v3
	v_sub_nc_u32_e32 v3, 29, v3
	v_lshlrev_b64 v[4:5], v4, v[118:119]
	v_and_b32_e32 v118, 7, v4
; %bb.528:                              ;   in Loop: Header=BB239_16 Depth=1
	s_or_b32 exec_lo, exec_lo, s26
	v_mov_b32_e32 v4, 24
	v_lshl_add_u32 v3, v3, 23, 0x3c000000
	v_lshlrev_b32_sdwa v2, v4, v2 dst_sel:DWORD dst_unused:UNUSED_PAD src0_sel:DWORD src1_sel:BYTE_3
	v_lshlrev_b32_e32 v4, 20, v118
	v_and_b32_e32 v2, 0x80000000, v2
	v_or3_b32 v3, v4, v2, v3
	v_mov_b32_e32 v2, v119
	buffer_store_dword v2, off, s[0:3], s32 offset:748 ; 4-byte Folded Spill
	buffer_store_dword v3, off, s[0:3], s32 offset:752 ; 4-byte Folded Spill
.LBB239_529:                            ;   in Loop: Header=BB239_16 Depth=1
	s_or_b32 exec_lo, exec_lo, s25
.LBB239_530:                            ;   in Loop: Header=BB239_16 Depth=1
	s_or_b32 exec_lo, exec_lo, s24
.LBB239_531:                            ;   in Loop: Header=BB239_16 Depth=1
	s_or_b32 exec_lo, exec_lo, s23
	v_add_co_u32 v100, s5, 0x800, v0
	v_add_co_ci_u32_e64 v101, null, 0, v1, s5
	v_mov_b32_e32 v1, 0
	v_mov_b32_e32 v2, 0
	flat_load_dword v0, v[100:101]
	buffer_store_dword v1, off, s[0:3], s32 offset:772 ; 4-byte Folded Spill
	buffer_store_dword v2, off, s[0:3], s32 offset:776 ; 4-byte Folded Spill
	v_mov_b32_e32 v1, 0
	v_mov_b32_e32 v2, 0
	buffer_store_dword v1, off, s[0:3], s32 offset:764 ; 4-byte Folded Spill
	buffer_store_dword v2, off, s[0:3], s32 offset:768 ; 4-byte Folded Spill
	s_waitcnt vmcnt(0) lgkmcnt(0)
	v_cmp_ne_u16_sdwa s5, v0, v119 src0_sel:BYTE_0 src1_sel:DWORD
	s_and_saveexec_b32 s23, s5
	s_cbranch_execz .LBB239_539
; %bb.532:                              ;   in Loop: Header=BB239_16 Depth=1
	v_bfrev_b32_e32 v1, 1
	v_mov_b32_e32 v2, 0
	buffer_store_dword v1, off, s[0:3], s32 offset:764 ; 4-byte Folded Spill
	buffer_store_dword v2, off, s[0:3], s32 offset:768 ; 4-byte Folded Spill
	v_mov_b32_e32 v1, 0x80
	v_cmp_ne_u16_sdwa s5, v0, v1 src0_sel:BYTE_0 src1_sel:DWORD
	s_and_saveexec_b32 s24, s5
	s_cbranch_execz .LBB239_538
; %bb.533:                              ;   in Loop: Header=BB239_16 Depth=1
	v_mov_b32_e32 v3, 0x7f800001
	v_and_b32_e32 v2, 0x7f, v0
	v_mov_b32_e32 v4, 0
	s_mov_b32 s25, exec_lo
	buffer_store_dword v3, off, s[0:3], s32 offset:764 ; 4-byte Folded Spill
	buffer_store_dword v4, off, s[0:3], s32 offset:768 ; 4-byte Folded Spill
	v_cmpx_ne_u32_e32 0x7f, v2
	s_cbranch_execz .LBB239_537
; %bb.534:                              ;   in Loop: Header=BB239_16 Depth=1
	v_and_b32_e32 v118, 7, v0
	v_lshrrev_b32_e32 v1, 3, v2
	s_mov_b32 s26, exec_lo
	v_cmpx_gt_u32_e32 8, v2
; %bb.535:                              ;   in Loop: Header=BB239_16 Depth=1
	v_ffbh_u32_e32 v1, v118
	v_min_u32_e32 v1, 32, v1
	v_subrev_nc_u32_e32 v2, 28, v1
	v_sub_nc_u32_e32 v1, 29, v1
	v_lshlrev_b64 v[2:3], v2, v[118:119]
	v_and_b32_e32 v118, 7, v2
; %bb.536:                              ;   in Loop: Header=BB239_16 Depth=1
	s_or_b32 exec_lo, exec_lo, s26
	v_lshlrev_b32_e32 v2, 24, v0
	v_lshlrev_b32_e32 v3, 20, v118
	v_lshl_add_u32 v1, v1, 23, 0x3c000000
	v_and_b32_e32 v2, 0x80000000, v2
	v_or3_b32 v118, v3, v2, v1
	buffer_store_dword v118, off, s[0:3], s32 offset:764 ; 4-byte Folded Spill
	buffer_store_dword v119, off, s[0:3], s32 offset:768 ; 4-byte Folded Spill
.LBB239_537:                            ;   in Loop: Header=BB239_16 Depth=1
	s_or_b32 exec_lo, exec_lo, s25
.LBB239_538:                            ;   in Loop: Header=BB239_16 Depth=1
	s_or_b32 exec_lo, exec_lo, s24
.LBB239_539:                            ;   in Loop: Header=BB239_16 Depth=1
	s_or_b32 exec_lo, exec_lo, s23
	v_cmp_ne_u16_sdwa s5, v0, v119 src0_sel:BYTE_1 src1_sel:DWORD
	s_and_saveexec_b32 s23, s5
	s_cbranch_execz .LBB239_547
; %bb.540:                              ;   in Loop: Header=BB239_16 Depth=1
	v_mov_b32_e32 v1, 0x80
	v_mov_b32_e32 v50, v119
	buffer_store_dword v50, off, s[0:3], s32 offset:772 ; 4-byte Folded Spill
	buffer_store_dword v51, off, s[0:3], s32 offset:776 ; 4-byte Folded Spill
	v_cmp_ne_u16_sdwa s5, v0, v1 src0_sel:BYTE_1 src1_sel:DWORD
	s_and_saveexec_b32 s24, s5
	s_cbranch_execz .LBB239_546
; %bb.541:                              ;   in Loop: Header=BB239_16 Depth=1
	s_clause 0x1
	buffer_load_dword v3, off, s[0:3], s32 offset:200
	buffer_load_dword v4, off, s[0:3], s32 offset:204
	v_mov_b32_e32 v1, 0xffff
	s_mov_b32 s25, exec_lo
	v_and_b32_sdwa v1, v1, v0 dst_sel:DWORD dst_unused:UNUSED_PAD src0_sel:DWORD src1_sel:BYTE_1
	v_and_b32_e32 v2, 0x7f, v1
	s_waitcnt vmcnt(0)
	v_mov_b32_e32 v5, v4
	v_mov_b32_e32 v4, v119
	;; [unrolled: 1-line block ×3, first 2 shown]
	buffer_store_dword v2, off, s[0:3], s32 offset:200 ; 4-byte Folded Spill
	buffer_store_dword v3, off, s[0:3], s32 offset:204 ; 4-byte Folded Spill
	;; [unrolled: 1-line block ×4, first 2 shown]
	v_cmpx_ne_u32_e32 0x7f, v2
	s_cbranch_execz .LBB239_545
; %bb.542:                              ;   in Loop: Header=BB239_16 Depth=1
	v_and_b32_e32 v118, 7, v1
	v_lshrrev_b32_e32 v1, 3, v2
	s_mov_b32 s26, exec_lo
	v_cmpx_gt_u32_e32 8, v2
; %bb.543:                              ;   in Loop: Header=BB239_16 Depth=1
	v_ffbh_u32_e32 v1, v118
	v_min_u32_e32 v1, 32, v1
	v_subrev_nc_u32_e32 v2, 28, v1
	v_sub_nc_u32_e32 v1, 29, v1
	v_lshlrev_b64 v[2:3], v2, v[118:119]
	v_and_b32_e32 v118, 7, v2
; %bb.544:                              ;   in Loop: Header=BB239_16 Depth=1
	s_or_b32 exec_lo, exec_lo, s26
	v_lshlrev_b32_e32 v2, 16, v0
	v_lshlrev_b32_e32 v3, 20, v118
	v_lshl_add_u32 v1, v1, 23, 0x3c000000
	v_and_b32_e32 v2, 0x80000000, v2
	v_or3_b32 v2, v3, v2, v1
	v_mov_b32_e32 v1, v119
	buffer_store_dword v1, off, s[0:3], s32 offset:772 ; 4-byte Folded Spill
	buffer_store_dword v2, off, s[0:3], s32 offset:776 ; 4-byte Folded Spill
.LBB239_545:                            ;   in Loop: Header=BB239_16 Depth=1
	s_or_b32 exec_lo, exec_lo, s25
.LBB239_546:                            ;   in Loop: Header=BB239_16 Depth=1
	s_or_b32 exec_lo, exec_lo, s24
.LBB239_547:                            ;   in Loop: Header=BB239_16 Depth=1
	s_or_b32 exec_lo, exec_lo, s23
	v_mov_b32_e32 v2, 0
	v_mov_b32_e32 v3, 0
	;; [unrolled: 1-line block ×3, first 2 shown]
	s_mov_b32 s23, exec_lo
	buffer_store_dword v2, off, s[0:3], s32 offset:780 ; 4-byte Folded Spill
	buffer_store_dword v3, off, s[0:3], s32 offset:784 ; 4-byte Folded Spill
	v_mov_b32_e32 v2, 0
	v_and_b32_sdwa v1, v0, v1 dst_sel:DWORD dst_unused:UNUSED_PAD src0_sel:WORD_1 src1_sel:DWORD
	v_mov_b32_e32 v3, 0
	buffer_store_dword v2, off, s[0:3], s32 offset:788 ; 4-byte Folded Spill
	buffer_store_dword v3, off, s[0:3], s32 offset:792 ; 4-byte Folded Spill
	v_cmpx_ne_u16_e32 0, v1
	s_cbranch_execz .LBB239_555
; %bb.548:                              ;   in Loop: Header=BB239_16 Depth=1
	v_cmp_ne_u16_e64 s5, 0x80, v1
	v_bfrev_b32_e32 v1, 1
	v_mov_b32_e32 v2, 0
	buffer_store_dword v1, off, s[0:3], s32 offset:788 ; 4-byte Folded Spill
	buffer_store_dword v2, off, s[0:3], s32 offset:792 ; 4-byte Folded Spill
	s_and_saveexec_b32 s24, s5
	s_cbranch_execz .LBB239_554
; %bb.549:                              ;   in Loop: Header=BB239_16 Depth=1
	v_mov_b32_e32 v3, 0x7f800001
	v_bfe_u32 v2, v0, 16, 7
	v_mov_b32_e32 v4, 0
	s_mov_b32 s25, exec_lo
	buffer_store_dword v3, off, s[0:3], s32 offset:788 ; 4-byte Folded Spill
	buffer_store_dword v4, off, s[0:3], s32 offset:792 ; 4-byte Folded Spill
	v_cmpx_ne_u32_e32 0x7f, v2
	s_cbranch_execz .LBB239_553
; %bb.550:                              ;   in Loop: Header=BB239_16 Depth=1
	v_mov_b32_e32 v1, 7
	s_mov_b32 s26, exec_lo
	v_and_b32_sdwa v118, v0, v1 dst_sel:DWORD dst_unused:UNUSED_PAD src0_sel:WORD_1 src1_sel:DWORD
	v_lshrrev_b32_e32 v1, 3, v2
	v_cmpx_gt_u32_e32 8, v2
; %bb.551:                              ;   in Loop: Header=BB239_16 Depth=1
	v_ffbh_u32_e32 v1, v118
	v_min_u32_e32 v1, 32, v1
	v_subrev_nc_u32_e32 v2, 28, v1
	v_sub_nc_u32_e32 v1, 29, v1
	v_lshlrev_b64 v[2:3], v2, v[118:119]
	v_and_b32_e32 v118, 7, v2
; %bb.552:                              ;   in Loop: Header=BB239_16 Depth=1
	s_or_b32 exec_lo, exec_lo, s26
	v_mov_b32_e32 v2, 24
	v_lshlrev_b32_e32 v3, 20, v118
	v_lshl_add_u32 v1, v1, 23, 0x3c000000
	v_lshlrev_b32_sdwa v2, v2, v0 dst_sel:DWORD dst_unused:UNUSED_PAD src0_sel:DWORD src1_sel:WORD_1
	v_and_b32_e32 v2, 0x80000000, v2
	v_or3_b32 v118, v3, v2, v1
	buffer_store_dword v118, off, s[0:3], s32 offset:788 ; 4-byte Folded Spill
	buffer_store_dword v119, off, s[0:3], s32 offset:792 ; 4-byte Folded Spill
.LBB239_553:                            ;   in Loop: Header=BB239_16 Depth=1
	s_or_b32 exec_lo, exec_lo, s25
.LBB239_554:                            ;   in Loop: Header=BB239_16 Depth=1
	s_or_b32 exec_lo, exec_lo, s24
.LBB239_555:                            ;   in Loop: Header=BB239_16 Depth=1
	s_or_b32 exec_lo, exec_lo, s23
	s_mov_b32 s23, exec_lo
	v_cmpx_lt_u32_e32 0xffffff, v0
	s_cbranch_execz .LBB239_563
; %bb.556:                              ;   in Loop: Header=BB239_16 Depth=1
	v_mov_b32_e32 v1, 0x80
	v_mov_b32_e32 v50, v119
	buffer_store_dword v50, off, s[0:3], s32 offset:780 ; 4-byte Folded Spill
	buffer_store_dword v51, off, s[0:3], s32 offset:784 ; 4-byte Folded Spill
	v_cmp_ne_u32_sdwa s5, v0, v1 src0_sel:BYTE_3 src1_sel:DWORD
	s_and_saveexec_b32 s24, s5
	s_cbranch_execz .LBB239_562
; %bb.557:                              ;   in Loop: Header=BB239_16 Depth=1
	s_clause 0x1
	buffer_load_dword v3, off, s[0:3], s32 offset:200
	buffer_load_dword v4, off, s[0:3], s32 offset:204
	v_bfe_u32 v2, v0, 24, 7
	s_waitcnt vmcnt(1)
	v_mov_b32_e32 v3, v119
	s_mov_b32 s25, exec_lo
	s_waitcnt vmcnt(0)
	v_mov_b32_e32 v1, v4
	buffer_store_dword v0, off, s[0:3], s32 offset:200 ; 4-byte Folded Spill
	buffer_store_dword v1, off, s[0:3], s32 offset:204 ; 4-byte Folded Spill
	;; [unrolled: 1-line block ×4, first 2 shown]
	v_cmpx_ne_u32_e32 0x7f, v2
	s_cbranch_execz .LBB239_561
; %bb.558:                              ;   in Loop: Header=BB239_16 Depth=1
	v_mov_b32_e32 v1, 7
	s_mov_b32 s26, exec_lo
	v_and_b32_sdwa v118, v0, v1 dst_sel:DWORD dst_unused:UNUSED_PAD src0_sel:BYTE_3 src1_sel:DWORD
	v_lshrrev_b32_e32 v1, 3, v2
	v_cmpx_gt_u32_e32 8, v2
; %bb.559:                              ;   in Loop: Header=BB239_16 Depth=1
	v_ffbh_u32_e32 v1, v118
	v_min_u32_e32 v1, 32, v1
	v_subrev_nc_u32_e32 v2, 28, v1
	v_sub_nc_u32_e32 v1, 29, v1
	v_lshlrev_b64 v[2:3], v2, v[118:119]
	v_and_b32_e32 v118, 7, v2
; %bb.560:                              ;   in Loop: Header=BB239_16 Depth=1
	s_or_b32 exec_lo, exec_lo, s26
	v_mov_b32_e32 v2, 24
	v_lshl_add_u32 v1, v1, 23, 0x3c000000
	v_lshlrev_b32_sdwa v0, v2, v0 dst_sel:DWORD dst_unused:UNUSED_PAD src0_sel:DWORD src1_sel:BYTE_3
	v_lshlrev_b32_e32 v2, 20, v118
	v_and_b32_e32 v0, 0x80000000, v0
	v_or3_b32 v1, v2, v0, v1
	v_mov_b32_e32 v0, v119
	buffer_store_dword v0, off, s[0:3], s32 offset:780 ; 4-byte Folded Spill
	buffer_store_dword v1, off, s[0:3], s32 offset:784 ; 4-byte Folded Spill
.LBB239_561:                            ;   in Loop: Header=BB239_16 Depth=1
	s_or_b32 exec_lo, exec_lo, s25
.LBB239_562:                            ;   in Loop: Header=BB239_16 Depth=1
	s_or_b32 exec_lo, exec_lo, s24
.LBB239_563:                            ;   in Loop: Header=BB239_16 Depth=1
	s_or_b32 exec_lo, exec_lo, s23
	flat_load_dword v0, v[100:101] offset:4
	v_mov_b32_e32 v1, 0
	v_mov_b32_e32 v2, 0
	buffer_store_dword v1, off, s[0:3], s32 offset:804 ; 4-byte Folded Spill
	buffer_store_dword v2, off, s[0:3], s32 offset:808 ; 4-byte Folded Spill
	v_mov_b32_e32 v1, 0
	v_mov_b32_e32 v2, 0
	buffer_store_dword v1, off, s[0:3], s32 offset:796 ; 4-byte Folded Spill
	buffer_store_dword v2, off, s[0:3], s32 offset:800 ; 4-byte Folded Spill
	s_waitcnt vmcnt(0) lgkmcnt(0)
	v_cmp_ne_u16_sdwa s5, v0, v119 src0_sel:BYTE_0 src1_sel:DWORD
	s_and_saveexec_b32 s23, s5
	s_cbranch_execz .LBB239_571
; %bb.564:                              ;   in Loop: Header=BB239_16 Depth=1
	v_bfrev_b32_e32 v1, 1
	v_mov_b32_e32 v2, 0
	buffer_store_dword v1, off, s[0:3], s32 offset:796 ; 4-byte Folded Spill
	buffer_store_dword v2, off, s[0:3], s32 offset:800 ; 4-byte Folded Spill
	v_mov_b32_e32 v1, 0x80
	v_cmp_ne_u16_sdwa s5, v0, v1 src0_sel:BYTE_0 src1_sel:DWORD
	s_and_saveexec_b32 s24, s5
	s_cbranch_execz .LBB239_570
; %bb.565:                              ;   in Loop: Header=BB239_16 Depth=1
	v_mov_b32_e32 v3, 0x7f800001
	v_and_b32_e32 v2, 0x7f, v0
	v_mov_b32_e32 v4, 0
	s_mov_b32 s25, exec_lo
	buffer_store_dword v3, off, s[0:3], s32 offset:796 ; 4-byte Folded Spill
	buffer_store_dword v4, off, s[0:3], s32 offset:800 ; 4-byte Folded Spill
	v_cmpx_ne_u32_e32 0x7f, v2
	s_cbranch_execz .LBB239_569
; %bb.566:                              ;   in Loop: Header=BB239_16 Depth=1
	v_and_b32_e32 v118, 7, v0
	v_lshrrev_b32_e32 v1, 3, v2
	s_mov_b32 s26, exec_lo
	v_cmpx_gt_u32_e32 8, v2
; %bb.567:                              ;   in Loop: Header=BB239_16 Depth=1
	v_ffbh_u32_e32 v1, v118
	v_min_u32_e32 v1, 32, v1
	v_subrev_nc_u32_e32 v2, 28, v1
	v_sub_nc_u32_e32 v1, 29, v1
	v_lshlrev_b64 v[2:3], v2, v[118:119]
	v_and_b32_e32 v118, 7, v2
; %bb.568:                              ;   in Loop: Header=BB239_16 Depth=1
	s_or_b32 exec_lo, exec_lo, s26
	v_lshlrev_b32_e32 v2, 24, v0
	v_lshlrev_b32_e32 v3, 20, v118
	v_lshl_add_u32 v1, v1, 23, 0x3c000000
	v_and_b32_e32 v2, 0x80000000, v2
	v_or3_b32 v118, v3, v2, v1
	buffer_store_dword v118, off, s[0:3], s32 offset:796 ; 4-byte Folded Spill
	buffer_store_dword v119, off, s[0:3], s32 offset:800 ; 4-byte Folded Spill
.LBB239_569:                            ;   in Loop: Header=BB239_16 Depth=1
	s_or_b32 exec_lo, exec_lo, s25
.LBB239_570:                            ;   in Loop: Header=BB239_16 Depth=1
	s_or_b32 exec_lo, exec_lo, s24
.LBB239_571:                            ;   in Loop: Header=BB239_16 Depth=1
	s_or_b32 exec_lo, exec_lo, s23
	v_cmp_ne_u16_sdwa s5, v0, v119 src0_sel:BYTE_1 src1_sel:DWORD
	s_and_saveexec_b32 s23, s5
	s_cbranch_execz .LBB239_579
; %bb.572:                              ;   in Loop: Header=BB239_16 Depth=1
	v_mov_b32_e32 v1, 0x80
	v_mov_b32_e32 v50, v119
	buffer_store_dword v50, off, s[0:3], s32 offset:804 ; 4-byte Folded Spill
	buffer_store_dword v51, off, s[0:3], s32 offset:808 ; 4-byte Folded Spill
	v_cmp_ne_u16_sdwa s5, v0, v1 src0_sel:BYTE_1 src1_sel:DWORD
	s_and_saveexec_b32 s24, s5
	s_cbranch_execz .LBB239_578
; %bb.573:                              ;   in Loop: Header=BB239_16 Depth=1
	s_clause 0x1
	buffer_load_dword v3, off, s[0:3], s32 offset:200
	buffer_load_dword v4, off, s[0:3], s32 offset:204
	v_mov_b32_e32 v1, 0xffff
	s_mov_b32 s25, exec_lo
	v_and_b32_sdwa v1, v1, v0 dst_sel:DWORD dst_unused:UNUSED_PAD src0_sel:DWORD src1_sel:BYTE_1
	v_and_b32_e32 v2, 0x7f, v1
	s_waitcnt vmcnt(0)
	v_mov_b32_e32 v5, v4
	v_mov_b32_e32 v4, v119
	;; [unrolled: 1-line block ×3, first 2 shown]
	buffer_store_dword v2, off, s[0:3], s32 offset:200 ; 4-byte Folded Spill
	buffer_store_dword v3, off, s[0:3], s32 offset:204 ; 4-byte Folded Spill
	;; [unrolled: 1-line block ×4, first 2 shown]
	v_cmpx_ne_u32_e32 0x7f, v2
	s_cbranch_execz .LBB239_577
; %bb.574:                              ;   in Loop: Header=BB239_16 Depth=1
	v_and_b32_e32 v118, 7, v1
	v_lshrrev_b32_e32 v1, 3, v2
	s_mov_b32 s26, exec_lo
	v_cmpx_gt_u32_e32 8, v2
; %bb.575:                              ;   in Loop: Header=BB239_16 Depth=1
	v_ffbh_u32_e32 v1, v118
	v_min_u32_e32 v1, 32, v1
	v_subrev_nc_u32_e32 v2, 28, v1
	v_sub_nc_u32_e32 v1, 29, v1
	v_lshlrev_b64 v[2:3], v2, v[118:119]
	v_and_b32_e32 v118, 7, v2
; %bb.576:                              ;   in Loop: Header=BB239_16 Depth=1
	s_or_b32 exec_lo, exec_lo, s26
	v_lshlrev_b32_e32 v2, 16, v0
	v_lshlrev_b32_e32 v3, 20, v118
	v_lshl_add_u32 v1, v1, 23, 0x3c000000
	v_and_b32_e32 v2, 0x80000000, v2
	v_or3_b32 v2, v3, v2, v1
	v_mov_b32_e32 v1, v119
	buffer_store_dword v1, off, s[0:3], s32 offset:804 ; 4-byte Folded Spill
	buffer_store_dword v2, off, s[0:3], s32 offset:808 ; 4-byte Folded Spill
.LBB239_577:                            ;   in Loop: Header=BB239_16 Depth=1
	s_or_b32 exec_lo, exec_lo, s25
.LBB239_578:                            ;   in Loop: Header=BB239_16 Depth=1
	s_or_b32 exec_lo, exec_lo, s24
.LBB239_579:                            ;   in Loop: Header=BB239_16 Depth=1
	s_or_b32 exec_lo, exec_lo, s23
	v_mov_b32_e32 v2, 0
	v_mov_b32_e32 v3, 0
	;; [unrolled: 1-line block ×3, first 2 shown]
	s_mov_b32 s23, exec_lo
	buffer_store_dword v2, off, s[0:3], s32 offset:812 ; 4-byte Folded Spill
	buffer_store_dword v3, off, s[0:3], s32 offset:816 ; 4-byte Folded Spill
	v_mov_b32_e32 v2, 0
	v_and_b32_sdwa v1, v0, v1 dst_sel:DWORD dst_unused:UNUSED_PAD src0_sel:WORD_1 src1_sel:DWORD
	v_mov_b32_e32 v3, 0
	buffer_store_dword v2, off, s[0:3], s32 offset:820 ; 4-byte Folded Spill
	buffer_store_dword v3, off, s[0:3], s32 offset:824 ; 4-byte Folded Spill
	v_cmpx_ne_u16_e32 0, v1
	s_cbranch_execz .LBB239_587
; %bb.580:                              ;   in Loop: Header=BB239_16 Depth=1
	v_cmp_ne_u16_e64 s5, 0x80, v1
	v_bfrev_b32_e32 v1, 1
	v_mov_b32_e32 v2, 0
	buffer_store_dword v1, off, s[0:3], s32 offset:820 ; 4-byte Folded Spill
	buffer_store_dword v2, off, s[0:3], s32 offset:824 ; 4-byte Folded Spill
	s_and_saveexec_b32 s24, s5
	s_cbranch_execz .LBB239_586
; %bb.581:                              ;   in Loop: Header=BB239_16 Depth=1
	v_mov_b32_e32 v3, 0x7f800001
	v_bfe_u32 v2, v0, 16, 7
	v_mov_b32_e32 v4, 0
	s_mov_b32 s25, exec_lo
	buffer_store_dword v3, off, s[0:3], s32 offset:820 ; 4-byte Folded Spill
	buffer_store_dword v4, off, s[0:3], s32 offset:824 ; 4-byte Folded Spill
	v_cmpx_ne_u32_e32 0x7f, v2
	s_cbranch_execz .LBB239_585
; %bb.582:                              ;   in Loop: Header=BB239_16 Depth=1
	v_mov_b32_e32 v1, 7
	s_mov_b32 s26, exec_lo
	v_and_b32_sdwa v118, v0, v1 dst_sel:DWORD dst_unused:UNUSED_PAD src0_sel:WORD_1 src1_sel:DWORD
	v_lshrrev_b32_e32 v1, 3, v2
	v_cmpx_gt_u32_e32 8, v2
; %bb.583:                              ;   in Loop: Header=BB239_16 Depth=1
	v_ffbh_u32_e32 v1, v118
	v_min_u32_e32 v1, 32, v1
	v_subrev_nc_u32_e32 v2, 28, v1
	v_sub_nc_u32_e32 v1, 29, v1
	v_lshlrev_b64 v[2:3], v2, v[118:119]
	v_and_b32_e32 v118, 7, v2
; %bb.584:                              ;   in Loop: Header=BB239_16 Depth=1
	s_or_b32 exec_lo, exec_lo, s26
	v_mov_b32_e32 v2, 24
	v_lshlrev_b32_e32 v3, 20, v118
	v_lshl_add_u32 v1, v1, 23, 0x3c000000
	v_lshlrev_b32_sdwa v2, v2, v0 dst_sel:DWORD dst_unused:UNUSED_PAD src0_sel:DWORD src1_sel:WORD_1
	v_and_b32_e32 v2, 0x80000000, v2
	v_or3_b32 v118, v3, v2, v1
	buffer_store_dword v118, off, s[0:3], s32 offset:820 ; 4-byte Folded Spill
	buffer_store_dword v119, off, s[0:3], s32 offset:824 ; 4-byte Folded Spill
.LBB239_585:                            ;   in Loop: Header=BB239_16 Depth=1
	s_or_b32 exec_lo, exec_lo, s25
.LBB239_586:                            ;   in Loop: Header=BB239_16 Depth=1
	s_or_b32 exec_lo, exec_lo, s24
.LBB239_587:                            ;   in Loop: Header=BB239_16 Depth=1
	s_or_b32 exec_lo, exec_lo, s23
	s_mov_b32 s23, exec_lo
	v_cmpx_lt_u32_e32 0xffffff, v0
	s_cbranch_execz .LBB239_595
; %bb.588:                              ;   in Loop: Header=BB239_16 Depth=1
	v_mov_b32_e32 v1, 0x80
	v_mov_b32_e32 v50, v119
	buffer_store_dword v50, off, s[0:3], s32 offset:812 ; 4-byte Folded Spill
	buffer_store_dword v51, off, s[0:3], s32 offset:816 ; 4-byte Folded Spill
	v_cmp_ne_u32_sdwa s5, v0, v1 src0_sel:BYTE_3 src1_sel:DWORD
	s_and_saveexec_b32 s24, s5
	s_cbranch_execz .LBB239_594
; %bb.589:                              ;   in Loop: Header=BB239_16 Depth=1
	s_clause 0x1
	buffer_load_dword v3, off, s[0:3], s32 offset:200
	buffer_load_dword v4, off, s[0:3], s32 offset:204
	v_bfe_u32 v2, v0, 24, 7
	s_waitcnt vmcnt(1)
	v_mov_b32_e32 v3, v119
	s_mov_b32 s25, exec_lo
	s_waitcnt vmcnt(0)
	v_mov_b32_e32 v1, v4
	buffer_store_dword v0, off, s[0:3], s32 offset:200 ; 4-byte Folded Spill
	buffer_store_dword v1, off, s[0:3], s32 offset:204 ; 4-byte Folded Spill
	buffer_store_dword v3, off, s[0:3], s32 offset:812 ; 4-byte Folded Spill
	buffer_store_dword v4, off, s[0:3], s32 offset:816 ; 4-byte Folded Spill
	v_cmpx_ne_u32_e32 0x7f, v2
	s_cbranch_execz .LBB239_593
; %bb.590:                              ;   in Loop: Header=BB239_16 Depth=1
	v_mov_b32_e32 v1, 7
	s_mov_b32 s26, exec_lo
	v_and_b32_sdwa v118, v0, v1 dst_sel:DWORD dst_unused:UNUSED_PAD src0_sel:BYTE_3 src1_sel:DWORD
	v_lshrrev_b32_e32 v1, 3, v2
	v_cmpx_gt_u32_e32 8, v2
; %bb.591:                              ;   in Loop: Header=BB239_16 Depth=1
	v_ffbh_u32_e32 v1, v118
	v_min_u32_e32 v1, 32, v1
	v_subrev_nc_u32_e32 v2, 28, v1
	v_sub_nc_u32_e32 v1, 29, v1
	v_lshlrev_b64 v[2:3], v2, v[118:119]
	v_and_b32_e32 v118, 7, v2
; %bb.592:                              ;   in Loop: Header=BB239_16 Depth=1
	s_or_b32 exec_lo, exec_lo, s26
	v_mov_b32_e32 v2, 24
	v_lshl_add_u32 v1, v1, 23, 0x3c000000
	v_lshlrev_b32_sdwa v0, v2, v0 dst_sel:DWORD dst_unused:UNUSED_PAD src0_sel:DWORD src1_sel:BYTE_3
	v_lshlrev_b32_e32 v2, 20, v118
	v_and_b32_e32 v0, 0x80000000, v0
	v_or3_b32 v1, v2, v0, v1
	v_mov_b32_e32 v0, v119
	buffer_store_dword v0, off, s[0:3], s32 offset:812 ; 4-byte Folded Spill
	buffer_store_dword v1, off, s[0:3], s32 offset:816 ; 4-byte Folded Spill
.LBB239_593:                            ;   in Loop: Header=BB239_16 Depth=1
	s_or_b32 exec_lo, exec_lo, s25
.LBB239_594:                            ;   in Loop: Header=BB239_16 Depth=1
	s_or_b32 exec_lo, exec_lo, s24
.LBB239_595:                            ;   in Loop: Header=BB239_16 Depth=1
	s_or_b32 exec_lo, exec_lo, s23
	flat_load_dword v0, v[100:101] offset:8
	v_mov_b32_e32 v116, 0
	v_mov_b32_e32 v1, 0
	v_mov_b32_e32 v117, 0
	v_mov_b32_e32 v2, 0
	buffer_store_dword v1, off, s[0:3], s32 offset:828 ; 4-byte Folded Spill
	buffer_store_dword v2, off, s[0:3], s32 offset:832 ; 4-byte Folded Spill
	s_waitcnt vmcnt(0) lgkmcnt(0)
	v_cmp_ne_u16_sdwa s5, v0, v119 src0_sel:BYTE_0 src1_sel:DWORD
	s_and_saveexec_b32 s23, s5
	s_cbranch_execz .LBB239_603
; %bb.596:                              ;   in Loop: Header=BB239_16 Depth=1
	v_bfrev_b32_e32 v1, 1
	v_mov_b32_e32 v2, 0
	buffer_store_dword v1, off, s[0:3], s32 offset:828 ; 4-byte Folded Spill
	buffer_store_dword v2, off, s[0:3], s32 offset:832 ; 4-byte Folded Spill
	v_mov_b32_e32 v1, 0x80
	v_cmp_ne_u16_sdwa s5, v0, v1 src0_sel:BYTE_0 src1_sel:DWORD
	s_and_saveexec_b32 s24, s5
	s_cbranch_execz .LBB239_602
; %bb.597:                              ;   in Loop: Header=BB239_16 Depth=1
	v_mov_b32_e32 v3, 0x7f800001
	v_and_b32_e32 v2, 0x7f, v0
	v_mov_b32_e32 v4, 0
	s_mov_b32 s25, exec_lo
	buffer_store_dword v3, off, s[0:3], s32 offset:828 ; 4-byte Folded Spill
	buffer_store_dword v4, off, s[0:3], s32 offset:832 ; 4-byte Folded Spill
	v_cmpx_ne_u32_e32 0x7f, v2
	s_cbranch_execz .LBB239_601
; %bb.598:                              ;   in Loop: Header=BB239_16 Depth=1
	v_and_b32_e32 v118, 7, v0
	v_lshrrev_b32_e32 v1, 3, v2
	s_mov_b32 s26, exec_lo
	v_cmpx_gt_u32_e32 8, v2
; %bb.599:                              ;   in Loop: Header=BB239_16 Depth=1
	v_ffbh_u32_e32 v1, v118
	v_min_u32_e32 v1, 32, v1
	v_subrev_nc_u32_e32 v2, 28, v1
	v_sub_nc_u32_e32 v1, 29, v1
	v_lshlrev_b64 v[2:3], v2, v[118:119]
	v_and_b32_e32 v118, 7, v2
; %bb.600:                              ;   in Loop: Header=BB239_16 Depth=1
	s_or_b32 exec_lo, exec_lo, s26
	v_lshlrev_b32_e32 v2, 24, v0
	v_lshlrev_b32_e32 v3, 20, v118
	v_lshl_add_u32 v1, v1, 23, 0x3c000000
	v_and_b32_e32 v2, 0x80000000, v2
	v_or3_b32 v118, v3, v2, v1
	buffer_store_dword v118, off, s[0:3], s32 offset:828 ; 4-byte Folded Spill
	buffer_store_dword v119, off, s[0:3], s32 offset:832 ; 4-byte Folded Spill
.LBB239_601:                            ;   in Loop: Header=BB239_16 Depth=1
	s_or_b32 exec_lo, exec_lo, s25
.LBB239_602:                            ;   in Loop: Header=BB239_16 Depth=1
	s_or_b32 exec_lo, exec_lo, s24
.LBB239_603:                            ;   in Loop: Header=BB239_16 Depth=1
	s_or_b32 exec_lo, exec_lo, s23
	v_cmp_ne_u16_sdwa s5, v0, v119 src0_sel:BYTE_1 src1_sel:DWORD
	s_and_saveexec_b32 s23, s5
	s_cbranch_execz .LBB239_611
; %bb.604:                              ;   in Loop: Header=BB239_16 Depth=1
	v_mov_b32_e32 v50, v119
	v_mov_b32_e32 v1, 0x80
	;; [unrolled: 1-line block ×4, first 2 shown]
	v_cmp_ne_u16_sdwa s5, v0, v1 src0_sel:BYTE_1 src1_sel:DWORD
	s_and_saveexec_b32 s24, s5
	s_cbranch_execz .LBB239_610
; %bb.605:                              ;   in Loop: Header=BB239_16 Depth=1
	s_clause 0x1
	buffer_load_dword v116, off, s[0:3], s32 offset:200
	buffer_load_dword v117, off, s[0:3], s32 offset:204
	v_mov_b32_e32 v1, 0xffff
	s_waitcnt vmcnt(1)
	v_mov_b32_e32 v116, v119
	s_mov_b32 s25, exec_lo
	v_and_b32_sdwa v1, v1, v0 dst_sel:DWORD dst_unused:UNUSED_PAD src0_sel:DWORD src1_sel:BYTE_1
	v_and_b32_e32 v2, 0x7f, v1
	s_waitcnt vmcnt(0)
	v_mov_b32_e32 v3, v117
	buffer_store_dword v2, off, s[0:3], s32 offset:200 ; 4-byte Folded Spill
	buffer_store_dword v3, off, s[0:3], s32 offset:204 ; 4-byte Folded Spill
	v_cmpx_ne_u32_e32 0x7f, v2
	s_cbranch_execz .LBB239_609
; %bb.606:                              ;   in Loop: Header=BB239_16 Depth=1
	v_and_b32_e32 v118, 7, v1
	v_lshrrev_b32_e32 v1, 3, v2
	s_mov_b32 s26, exec_lo
	v_cmpx_gt_u32_e32 8, v2
; %bb.607:                              ;   in Loop: Header=BB239_16 Depth=1
	v_ffbh_u32_e32 v1, v118
	v_min_u32_e32 v1, 32, v1
	v_subrev_nc_u32_e32 v2, 28, v1
	v_sub_nc_u32_e32 v1, 29, v1
	v_lshlrev_b64 v[2:3], v2, v[118:119]
	v_and_b32_e32 v118, 7, v2
; %bb.608:                              ;   in Loop: Header=BB239_16 Depth=1
	s_or_b32 exec_lo, exec_lo, s26
	v_lshlrev_b32_e32 v2, 16, v0
	v_lshlrev_b32_e32 v3, 20, v118
	v_lshl_add_u32 v1, v1, 23, 0x3c000000
	v_mov_b32_e32 v116, v119
	v_and_b32_e32 v2, 0x80000000, v2
	v_or3_b32 v117, v3, v2, v1
.LBB239_609:                            ;   in Loop: Header=BB239_16 Depth=1
	s_or_b32 exec_lo, exec_lo, s25
.LBB239_610:                            ;   in Loop: Header=BB239_16 Depth=1
	s_or_b32 exec_lo, exec_lo, s24
.LBB239_611:                            ;   in Loop: Header=BB239_16 Depth=1
	s_or_b32 exec_lo, exec_lo, s23
	v_mov_b32_e32 v1, 0xff
	v_mov_b32_e32 v96, 0
	;; [unrolled: 1-line block ×5, first 2 shown]
	v_and_b32_sdwa v1, v0, v1 dst_sel:DWORD dst_unused:UNUSED_PAD src0_sel:WORD_1 src1_sel:DWORD
	s_mov_b32 s23, exec_lo
	v_cmpx_ne_u16_e32 0, v1
	s_cbranch_execz .LBB239_619
; %bb.612:                              ;   in Loop: Header=BB239_16 Depth=1
	v_bfrev_b32_e32 v102, 1
	v_mov_b32_e32 v103, 0
	s_mov_b32 s24, exec_lo
	v_cmpx_ne_u16_e32 0x80, v1
	s_cbranch_execz .LBB239_618
; %bb.613:                              ;   in Loop: Header=BB239_16 Depth=1
	v_mov_b32_e32 v102, 0x7f800001
	v_bfe_u32 v2, v0, 16, 7
	v_mov_b32_e32 v103, 0
	s_mov_b32 s25, exec_lo
	v_cmpx_ne_u32_e32 0x7f, v2
	s_cbranch_execz .LBB239_617
; %bb.614:                              ;   in Loop: Header=BB239_16 Depth=1
	v_mov_b32_e32 v1, 7
	s_mov_b32 s26, exec_lo
	v_and_b32_sdwa v118, v0, v1 dst_sel:DWORD dst_unused:UNUSED_PAD src0_sel:WORD_1 src1_sel:DWORD
	v_lshrrev_b32_e32 v1, 3, v2
	v_cmpx_gt_u32_e32 8, v2
; %bb.615:                              ;   in Loop: Header=BB239_16 Depth=1
	v_ffbh_u32_e32 v1, v118
	v_min_u32_e32 v1, 32, v1
	v_subrev_nc_u32_e32 v2, 28, v1
	v_sub_nc_u32_e32 v1, 29, v1
	v_lshlrev_b64 v[2:3], v2, v[118:119]
	v_and_b32_e32 v118, 7, v2
; %bb.616:                              ;   in Loop: Header=BB239_16 Depth=1
	s_or_b32 exec_lo, exec_lo, s26
	v_mov_b32_e32 v2, 24
	v_lshlrev_b32_e32 v3, 20, v118
	v_lshl_add_u32 v1, v1, 23, 0x3c000000
	v_lshlrev_b32_sdwa v2, v2, v0 dst_sel:DWORD dst_unused:UNUSED_PAD src0_sel:DWORD src1_sel:WORD_1
	v_and_b32_e32 v2, 0x80000000, v2
	v_or3_b32 v118, v3, v2, v1
	v_mov_b32_e32 v102, v118
	v_mov_b32_e32 v103, v119
.LBB239_617:                            ;   in Loop: Header=BB239_16 Depth=1
	s_or_b32 exec_lo, exec_lo, s25
.LBB239_618:                            ;   in Loop: Header=BB239_16 Depth=1
	s_or_b32 exec_lo, exec_lo, s24
.LBB239_619:                            ;   in Loop: Header=BB239_16 Depth=1
	s_or_b32 exec_lo, exec_lo, s23
	s_mov_b32 s23, exec_lo
	v_cmpx_lt_u32_e32 0xffffff, v0
	s_cbranch_execz .LBB239_627
; %bb.620:                              ;   in Loop: Header=BB239_16 Depth=1
	v_mov_b32_e32 v50, v119
	v_mov_b32_e32 v1, 0x80
	;; [unrolled: 1-line block ×4, first 2 shown]
	v_cmp_ne_u32_sdwa s5, v0, v1 src0_sel:BYTE_3 src1_sel:DWORD
	s_and_saveexec_b32 s24, s5
	s_cbranch_execz .LBB239_626
; %bb.621:                              ;   in Loop: Header=BB239_16 Depth=1
	s_clause 0x1
	buffer_load_dword v96, off, s[0:3], s32 offset:200
	buffer_load_dword v97, off, s[0:3], s32 offset:204
	v_bfe_u32 v2, v0, 24, 7
	s_waitcnt vmcnt(1)
	v_mov_b32_e32 v96, v119
	s_mov_b32 s25, exec_lo
	s_waitcnt vmcnt(0)
	v_mov_b32_e32 v1, v97
	buffer_store_dword v0, off, s[0:3], s32 offset:200 ; 4-byte Folded Spill
	buffer_store_dword v1, off, s[0:3], s32 offset:204 ; 4-byte Folded Spill
	v_cmpx_ne_u32_e32 0x7f, v2
	s_cbranch_execz .LBB239_625
; %bb.622:                              ;   in Loop: Header=BB239_16 Depth=1
	v_mov_b32_e32 v1, 7
	s_mov_b32 s26, exec_lo
	v_and_b32_sdwa v118, v0, v1 dst_sel:DWORD dst_unused:UNUSED_PAD src0_sel:BYTE_3 src1_sel:DWORD
	v_lshrrev_b32_e32 v1, 3, v2
	v_cmpx_gt_u32_e32 8, v2
; %bb.623:                              ;   in Loop: Header=BB239_16 Depth=1
	v_ffbh_u32_e32 v1, v118
	v_min_u32_e32 v1, 32, v1
	v_subrev_nc_u32_e32 v2, 28, v1
	v_sub_nc_u32_e32 v1, 29, v1
	v_lshlrev_b64 v[2:3], v2, v[118:119]
	v_and_b32_e32 v118, 7, v2
; %bb.624:                              ;   in Loop: Header=BB239_16 Depth=1
	s_or_b32 exec_lo, exec_lo, s26
	v_mov_b32_e32 v2, 24
	v_lshl_add_u32 v1, v1, 23, 0x3c000000
	v_mov_b32_e32 v96, v119
	v_lshlrev_b32_sdwa v0, v2, v0 dst_sel:DWORD dst_unused:UNUSED_PAD src0_sel:DWORD src1_sel:BYTE_3
	v_lshlrev_b32_e32 v2, 20, v118
	v_and_b32_e32 v0, 0x80000000, v0
	v_or3_b32 v97, v2, v0, v1
.LBB239_625:                            ;   in Loop: Header=BB239_16 Depth=1
	s_or_b32 exec_lo, exec_lo, s25
.LBB239_626:                            ;   in Loop: Header=BB239_16 Depth=1
	s_or_b32 exec_lo, exec_lo, s24
.LBB239_627:                            ;   in Loop: Header=BB239_16 Depth=1
	s_or_b32 exec_lo, exec_lo, s23
	flat_load_dword v0, v[100:101] offset:12
	v_mov_b32_e32 v42, 0
	v_mov_b32_e32 v98, 0
	;; [unrolled: 1-line block ×4, first 2 shown]
	s_waitcnt vmcnt(0) lgkmcnt(0)
	v_cmp_ne_u16_sdwa s5, v0, v119 src0_sel:BYTE_0 src1_sel:DWORD
	s_and_saveexec_b32 s23, s5
	s_cbranch_execz .LBB239_635
; %bb.628:                              ;   in Loop: Header=BB239_16 Depth=1
	v_mov_b32_e32 v1, 0x80
	v_bfrev_b32_e32 v98, 1
	v_mov_b32_e32 v99, 0
	v_cmp_ne_u16_sdwa s5, v0, v1 src0_sel:BYTE_0 src1_sel:DWORD
	s_and_saveexec_b32 s24, s5
	s_cbranch_execz .LBB239_634
; %bb.629:                              ;   in Loop: Header=BB239_16 Depth=1
	v_mov_b32_e32 v98, 0x7f800001
	v_and_b32_e32 v2, 0x7f, v0
	v_mov_b32_e32 v99, 0
	s_mov_b32 s25, exec_lo
	v_cmpx_ne_u32_e32 0x7f, v2
	s_cbranch_execz .LBB239_633
; %bb.630:                              ;   in Loop: Header=BB239_16 Depth=1
	v_and_b32_e32 v118, 7, v0
	v_lshrrev_b32_e32 v1, 3, v2
	s_mov_b32 s26, exec_lo
	v_cmpx_gt_u32_e32 8, v2
; %bb.631:                              ;   in Loop: Header=BB239_16 Depth=1
	v_ffbh_u32_e32 v1, v118
	v_min_u32_e32 v1, 32, v1
	v_subrev_nc_u32_e32 v2, 28, v1
	v_sub_nc_u32_e32 v1, 29, v1
	v_lshlrev_b64 v[2:3], v2, v[118:119]
	v_and_b32_e32 v118, 7, v2
; %bb.632:                              ;   in Loop: Header=BB239_16 Depth=1
	s_or_b32 exec_lo, exec_lo, s26
	v_lshlrev_b32_e32 v2, 24, v0
	v_lshlrev_b32_e32 v3, 20, v118
	v_lshl_add_u32 v1, v1, 23, 0x3c000000
	v_and_b32_e32 v2, 0x80000000, v2
	v_or3_b32 v118, v3, v2, v1
	v_mov_b32_e32 v98, v118
	v_mov_b32_e32 v99, v119
.LBB239_633:                            ;   in Loop: Header=BB239_16 Depth=1
	s_or_b32 exec_lo, exec_lo, s25
.LBB239_634:                            ;   in Loop: Header=BB239_16 Depth=1
	s_or_b32 exec_lo, exec_lo, s24
.LBB239_635:                            ;   in Loop: Header=BB239_16 Depth=1
	s_or_b32 exec_lo, exec_lo, s23
	v_cmp_ne_u16_sdwa s5, v0, v119 src0_sel:BYTE_1 src1_sel:DWORD
	s_and_saveexec_b32 s23, s5
	s_cbranch_execz .LBB239_643
; %bb.636:                              ;   in Loop: Header=BB239_16 Depth=1
	v_mov_b32_e32 v50, v119
	v_mov_b32_e32 v1, 0x80
	;; [unrolled: 1-line block ×3, first 2 shown]
	v_cmp_ne_u16_sdwa s5, v0, v1 src0_sel:BYTE_1 src1_sel:DWORD
	v_mov_b32_e32 v43, v51
	s_and_saveexec_b32 s24, s5
	s_cbranch_execz .LBB239_642
; %bb.637:                              ;   in Loop: Header=BB239_16 Depth=1
	s_clause 0x1
	buffer_load_dword v42, off, s[0:3], s32 offset:200
	buffer_load_dword v43, off, s[0:3], s32 offset:204
	v_mov_b32_e32 v1, 0xffff
	s_waitcnt vmcnt(1)
	v_mov_b32_e32 v42, v119
	s_mov_b32 s25, exec_lo
	v_and_b32_sdwa v1, v1, v0 dst_sel:DWORD dst_unused:UNUSED_PAD src0_sel:DWORD src1_sel:BYTE_1
	v_and_b32_e32 v2, 0x7f, v1
	s_waitcnt vmcnt(0)
	v_mov_b32_e32 v3, v43
	buffer_store_dword v2, off, s[0:3], s32 offset:200 ; 4-byte Folded Spill
	buffer_store_dword v3, off, s[0:3], s32 offset:204 ; 4-byte Folded Spill
	v_cmpx_ne_u32_e32 0x7f, v2
	s_cbranch_execz .LBB239_641
; %bb.638:                              ;   in Loop: Header=BB239_16 Depth=1
	v_and_b32_e32 v118, 7, v1
	v_lshrrev_b32_e32 v1, 3, v2
	s_mov_b32 s26, exec_lo
	v_cmpx_gt_u32_e32 8, v2
; %bb.639:                              ;   in Loop: Header=BB239_16 Depth=1
	v_ffbh_u32_e32 v1, v118
	v_min_u32_e32 v1, 32, v1
	v_subrev_nc_u32_e32 v2, 28, v1
	v_sub_nc_u32_e32 v1, 29, v1
	v_lshlrev_b64 v[2:3], v2, v[118:119]
	v_and_b32_e32 v118, 7, v2
; %bb.640:                              ;   in Loop: Header=BB239_16 Depth=1
	s_or_b32 exec_lo, exec_lo, s26
	v_lshlrev_b32_e32 v2, 16, v0
	v_lshlrev_b32_e32 v3, 20, v118
	v_lshl_add_u32 v1, v1, 23, 0x3c000000
	v_mov_b32_e32 v42, v119
	v_and_b32_e32 v2, 0x80000000, v2
	v_or3_b32 v43, v3, v2, v1
.LBB239_641:                            ;   in Loop: Header=BB239_16 Depth=1
	s_or_b32 exec_lo, exec_lo, s25
.LBB239_642:                            ;   in Loop: Header=BB239_16 Depth=1
	s_or_b32 exec_lo, exec_lo, s24
.LBB239_643:                            ;   in Loop: Header=BB239_16 Depth=1
	s_or_b32 exec_lo, exec_lo, s23
	v_mov_b32_e32 v1, 0xff
	v_mov_b32_e32 v112, 0
	;; [unrolled: 1-line block ×5, first 2 shown]
	v_and_b32_sdwa v1, v0, v1 dst_sel:DWORD dst_unused:UNUSED_PAD src0_sel:WORD_1 src1_sel:DWORD
	s_mov_b32 s23, exec_lo
	v_cmpx_ne_u16_e32 0, v1
	s_cbranch_execz .LBB239_651
; %bb.644:                              ;   in Loop: Header=BB239_16 Depth=1
	v_bfrev_b32_e32 v44, 1
	v_mov_b32_e32 v45, 0
	s_mov_b32 s24, exec_lo
	v_cmpx_ne_u16_e32 0x80, v1
	s_cbranch_execz .LBB239_650
; %bb.645:                              ;   in Loop: Header=BB239_16 Depth=1
	v_mov_b32_e32 v44, 0x7f800001
	v_bfe_u32 v2, v0, 16, 7
	v_mov_b32_e32 v45, 0
	s_mov_b32 s25, exec_lo
	v_cmpx_ne_u32_e32 0x7f, v2
	s_cbranch_execz .LBB239_649
; %bb.646:                              ;   in Loop: Header=BB239_16 Depth=1
	v_mov_b32_e32 v1, 7
	s_mov_b32 s26, exec_lo
	v_and_b32_sdwa v118, v0, v1 dst_sel:DWORD dst_unused:UNUSED_PAD src0_sel:WORD_1 src1_sel:DWORD
	v_lshrrev_b32_e32 v1, 3, v2
	v_cmpx_gt_u32_e32 8, v2
; %bb.647:                              ;   in Loop: Header=BB239_16 Depth=1
	v_ffbh_u32_e32 v1, v118
	v_min_u32_e32 v1, 32, v1
	v_subrev_nc_u32_e32 v2, 28, v1
	v_sub_nc_u32_e32 v1, 29, v1
	v_lshlrev_b64 v[2:3], v2, v[118:119]
	v_and_b32_e32 v118, 7, v2
; %bb.648:                              ;   in Loop: Header=BB239_16 Depth=1
	s_or_b32 exec_lo, exec_lo, s26
	v_mov_b32_e32 v2, 24
	v_lshlrev_b32_e32 v3, 20, v118
	v_lshl_add_u32 v1, v1, 23, 0x3c000000
	v_lshlrev_b32_sdwa v2, v2, v0 dst_sel:DWORD dst_unused:UNUSED_PAD src0_sel:DWORD src1_sel:WORD_1
	v_and_b32_e32 v2, 0x80000000, v2
	v_or3_b32 v118, v3, v2, v1
	v_mov_b32_e32 v44, v118
	v_mov_b32_e32 v45, v119
.LBB239_649:                            ;   in Loop: Header=BB239_16 Depth=1
	s_or_b32 exec_lo, exec_lo, s25
.LBB239_650:                            ;   in Loop: Header=BB239_16 Depth=1
	s_or_b32 exec_lo, exec_lo, s24
.LBB239_651:                            ;   in Loop: Header=BB239_16 Depth=1
	s_or_b32 exec_lo, exec_lo, s23
	s_mov_b32 s23, exec_lo
	v_cmpx_lt_u32_e32 0xffffff, v0
	s_cbranch_execz .LBB239_659
; %bb.652:                              ;   in Loop: Header=BB239_16 Depth=1
	v_mov_b32_e32 v50, v119
	v_mov_b32_e32 v1, 0x80
	;; [unrolled: 1-line block ×4, first 2 shown]
	v_cmp_ne_u32_sdwa s5, v0, v1 src0_sel:BYTE_3 src1_sel:DWORD
	s_and_saveexec_b32 s24, s5
	s_cbranch_execz .LBB239_658
; %bb.653:                              ;   in Loop: Header=BB239_16 Depth=1
	s_clause 0x1
	buffer_load_dword v112, off, s[0:3], s32 offset:200
	buffer_load_dword v113, off, s[0:3], s32 offset:204
	v_bfe_u32 v2, v0, 24, 7
	s_waitcnt vmcnt(1)
	v_mov_b32_e32 v112, v119
	s_mov_b32 s25, exec_lo
	s_waitcnt vmcnt(0)
	v_mov_b32_e32 v1, v113
	buffer_store_dword v0, off, s[0:3], s32 offset:200 ; 4-byte Folded Spill
	buffer_store_dword v1, off, s[0:3], s32 offset:204 ; 4-byte Folded Spill
	v_cmpx_ne_u32_e32 0x7f, v2
	s_cbranch_execz .LBB239_657
; %bb.654:                              ;   in Loop: Header=BB239_16 Depth=1
	v_mov_b32_e32 v1, 7
	s_mov_b32 s26, exec_lo
	v_and_b32_sdwa v118, v0, v1 dst_sel:DWORD dst_unused:UNUSED_PAD src0_sel:BYTE_3 src1_sel:DWORD
	v_lshrrev_b32_e32 v1, 3, v2
	v_cmpx_gt_u32_e32 8, v2
; %bb.655:                              ;   in Loop: Header=BB239_16 Depth=1
	v_ffbh_u32_e32 v1, v118
	v_min_u32_e32 v1, 32, v1
	v_subrev_nc_u32_e32 v2, 28, v1
	v_sub_nc_u32_e32 v1, 29, v1
	v_lshlrev_b64 v[2:3], v2, v[118:119]
	v_and_b32_e32 v118, 7, v2
; %bb.656:                              ;   in Loop: Header=BB239_16 Depth=1
	s_or_b32 exec_lo, exec_lo, s26
	v_mov_b32_e32 v2, 24
	v_lshl_add_u32 v1, v1, 23, 0x3c000000
	v_mov_b32_e32 v112, v119
	v_lshlrev_b32_sdwa v0, v2, v0 dst_sel:DWORD dst_unused:UNUSED_PAD src0_sel:DWORD src1_sel:BYTE_3
	v_lshlrev_b32_e32 v2, 20, v118
	v_and_b32_e32 v0, 0x80000000, v0
	v_or3_b32 v113, v2, v0, v1
.LBB239_657:                            ;   in Loop: Header=BB239_16 Depth=1
	s_or_b32 exec_lo, exec_lo, s25
.LBB239_658:                            ;   in Loop: Header=BB239_16 Depth=1
	s_or_b32 exec_lo, exec_lo, s24
.LBB239_659:                            ;   in Loop: Header=BB239_16 Depth=1
	s_or_b32 exec_lo, exec_lo, s23
	flat_load_dword v0, v[100:101] offset:512
	v_mov_b32_e32 v58, 0
	v_mov_b32_e32 v114, 0
	;; [unrolled: 1-line block ×4, first 2 shown]
	s_waitcnt vmcnt(0) lgkmcnt(0)
	v_cmp_ne_u16_sdwa s5, v0, v119 src0_sel:BYTE_0 src1_sel:DWORD
	s_and_saveexec_b32 s23, s5
	s_cbranch_execz .LBB239_667
; %bb.660:                              ;   in Loop: Header=BB239_16 Depth=1
	v_mov_b32_e32 v1, 0x80
	v_bfrev_b32_e32 v114, 1
	v_mov_b32_e32 v115, 0
	v_cmp_ne_u16_sdwa s5, v0, v1 src0_sel:BYTE_0 src1_sel:DWORD
	s_and_saveexec_b32 s24, s5
	s_cbranch_execz .LBB239_666
; %bb.661:                              ;   in Loop: Header=BB239_16 Depth=1
	v_mov_b32_e32 v114, 0x7f800001
	v_and_b32_e32 v2, 0x7f, v0
	v_mov_b32_e32 v115, 0
	s_mov_b32 s25, exec_lo
	v_cmpx_ne_u32_e32 0x7f, v2
	s_cbranch_execz .LBB239_665
; %bb.662:                              ;   in Loop: Header=BB239_16 Depth=1
	v_and_b32_e32 v118, 7, v0
	v_lshrrev_b32_e32 v1, 3, v2
	s_mov_b32 s26, exec_lo
	v_cmpx_gt_u32_e32 8, v2
; %bb.663:                              ;   in Loop: Header=BB239_16 Depth=1
	v_ffbh_u32_e32 v1, v118
	v_min_u32_e32 v1, 32, v1
	v_subrev_nc_u32_e32 v2, 28, v1
	v_sub_nc_u32_e32 v1, 29, v1
	v_lshlrev_b64 v[2:3], v2, v[118:119]
	v_and_b32_e32 v118, 7, v2
; %bb.664:                              ;   in Loop: Header=BB239_16 Depth=1
	s_or_b32 exec_lo, exec_lo, s26
	v_lshlrev_b32_e32 v2, 24, v0
	v_lshlrev_b32_e32 v3, 20, v118
	v_lshl_add_u32 v1, v1, 23, 0x3c000000
	v_and_b32_e32 v2, 0x80000000, v2
	v_or3_b32 v118, v3, v2, v1
	v_mov_b32_e32 v114, v118
	v_mov_b32_e32 v115, v119
.LBB239_665:                            ;   in Loop: Header=BB239_16 Depth=1
	s_or_b32 exec_lo, exec_lo, s25
.LBB239_666:                            ;   in Loop: Header=BB239_16 Depth=1
	s_or_b32 exec_lo, exec_lo, s24
.LBB239_667:                            ;   in Loop: Header=BB239_16 Depth=1
	s_or_b32 exec_lo, exec_lo, s23
	v_cmp_ne_u16_sdwa s5, v0, v119 src0_sel:BYTE_1 src1_sel:DWORD
	s_and_saveexec_b32 s23, s5
	s_cbranch_execz .LBB239_675
; %bb.668:                              ;   in Loop: Header=BB239_16 Depth=1
	v_mov_b32_e32 v50, v119
	v_mov_b32_e32 v1, 0x80
	v_mov_b32_e32 v59, v51
	v_mov_b32_e32 v58, v50
	v_cmp_ne_u16_sdwa s5, v0, v1 src0_sel:BYTE_1 src1_sel:DWORD
	s_and_saveexec_b32 s24, s5
	s_cbranch_execz .LBB239_674
; %bb.669:                              ;   in Loop: Header=BB239_16 Depth=1
	s_clause 0x1
	buffer_load_dword v58, off, s[0:3], s32 offset:200
	buffer_load_dword v59, off, s[0:3], s32 offset:204
	v_mov_b32_e32 v1, 0xffff
	s_waitcnt vmcnt(1)
	v_mov_b32_e32 v58, v119
	s_mov_b32 s25, exec_lo
	v_and_b32_sdwa v1, v1, v0 dst_sel:DWORD dst_unused:UNUSED_PAD src0_sel:DWORD src1_sel:BYTE_1
	v_and_b32_e32 v2, 0x7f, v1
	s_waitcnt vmcnt(0)
	v_mov_b32_e32 v3, v59
	buffer_store_dword v2, off, s[0:3], s32 offset:200 ; 4-byte Folded Spill
	buffer_store_dword v3, off, s[0:3], s32 offset:204 ; 4-byte Folded Spill
	v_cmpx_ne_u32_e32 0x7f, v2
	s_cbranch_execz .LBB239_673
; %bb.670:                              ;   in Loop: Header=BB239_16 Depth=1
	v_and_b32_e32 v118, 7, v1
	v_lshrrev_b32_e32 v1, 3, v2
	s_mov_b32 s26, exec_lo
	v_cmpx_gt_u32_e32 8, v2
; %bb.671:                              ;   in Loop: Header=BB239_16 Depth=1
	v_ffbh_u32_e32 v1, v118
	v_min_u32_e32 v1, 32, v1
	v_subrev_nc_u32_e32 v2, 28, v1
	v_sub_nc_u32_e32 v1, 29, v1
	v_lshlrev_b64 v[2:3], v2, v[118:119]
	v_and_b32_e32 v118, 7, v2
; %bb.672:                              ;   in Loop: Header=BB239_16 Depth=1
	s_or_b32 exec_lo, exec_lo, s26
	v_lshlrev_b32_e32 v2, 16, v0
	v_lshlrev_b32_e32 v3, 20, v118
	v_lshl_add_u32 v1, v1, 23, 0x3c000000
	v_mov_b32_e32 v58, v119
	v_and_b32_e32 v2, 0x80000000, v2
	v_or3_b32 v59, v3, v2, v1
.LBB239_673:                            ;   in Loop: Header=BB239_16 Depth=1
	s_or_b32 exec_lo, exec_lo, s25
.LBB239_674:                            ;   in Loop: Header=BB239_16 Depth=1
	s_or_b32 exec_lo, exec_lo, s24
.LBB239_675:                            ;   in Loop: Header=BB239_16 Depth=1
	s_or_b32 exec_lo, exec_lo, s23
	v_mov_b32_e32 v1, 0xff
	v_mov_b32_e32 v38, 0
	;; [unrolled: 1-line block ×5, first 2 shown]
	v_and_b32_sdwa v1, v0, v1 dst_sel:DWORD dst_unused:UNUSED_PAD src0_sel:WORD_1 src1_sel:DWORD
	s_mov_b32 s23, exec_lo
	v_cmpx_ne_u16_e32 0, v1
	s_cbranch_execz .LBB239_683
; %bb.676:                              ;   in Loop: Header=BB239_16 Depth=1
	v_bfrev_b32_e32 v60, 1
	v_mov_b32_e32 v61, 0
	s_mov_b32 s24, exec_lo
	v_cmpx_ne_u16_e32 0x80, v1
	s_cbranch_execz .LBB239_682
; %bb.677:                              ;   in Loop: Header=BB239_16 Depth=1
	v_mov_b32_e32 v60, 0x7f800001
	v_bfe_u32 v2, v0, 16, 7
	v_mov_b32_e32 v61, 0
	s_mov_b32 s25, exec_lo
	v_cmpx_ne_u32_e32 0x7f, v2
	s_cbranch_execz .LBB239_681
; %bb.678:                              ;   in Loop: Header=BB239_16 Depth=1
	v_mov_b32_e32 v1, 7
	s_mov_b32 s26, exec_lo
	v_and_b32_sdwa v118, v0, v1 dst_sel:DWORD dst_unused:UNUSED_PAD src0_sel:WORD_1 src1_sel:DWORD
	v_lshrrev_b32_e32 v1, 3, v2
	v_cmpx_gt_u32_e32 8, v2
; %bb.679:                              ;   in Loop: Header=BB239_16 Depth=1
	v_ffbh_u32_e32 v1, v118
	v_min_u32_e32 v1, 32, v1
	v_subrev_nc_u32_e32 v2, 28, v1
	v_sub_nc_u32_e32 v1, 29, v1
	v_lshlrev_b64 v[2:3], v2, v[118:119]
	v_and_b32_e32 v118, 7, v2
; %bb.680:                              ;   in Loop: Header=BB239_16 Depth=1
	s_or_b32 exec_lo, exec_lo, s26
	v_mov_b32_e32 v2, 24
	v_lshlrev_b32_e32 v3, 20, v118
	v_lshl_add_u32 v1, v1, 23, 0x3c000000
	v_lshlrev_b32_sdwa v2, v2, v0 dst_sel:DWORD dst_unused:UNUSED_PAD src0_sel:DWORD src1_sel:WORD_1
	v_and_b32_e32 v2, 0x80000000, v2
	v_or3_b32 v118, v3, v2, v1
	v_mov_b32_e32 v60, v118
	v_mov_b32_e32 v61, v119
.LBB239_681:                            ;   in Loop: Header=BB239_16 Depth=1
	s_or_b32 exec_lo, exec_lo, s25
.LBB239_682:                            ;   in Loop: Header=BB239_16 Depth=1
	s_or_b32 exec_lo, exec_lo, s24
.LBB239_683:                            ;   in Loop: Header=BB239_16 Depth=1
	s_or_b32 exec_lo, exec_lo, s23
	s_mov_b32 s23, exec_lo
	v_cmpx_lt_u32_e32 0xffffff, v0
	s_cbranch_execz .LBB239_691
; %bb.684:                              ;   in Loop: Header=BB239_16 Depth=1
	v_mov_b32_e32 v50, v119
	v_mov_b32_e32 v1, 0x80
	;; [unrolled: 1-line block ×3, first 2 shown]
	v_cmp_ne_u32_sdwa s5, v0, v1 src0_sel:BYTE_3 src1_sel:DWORD
	v_mov_b32_e32 v39, v51
	s_and_saveexec_b32 s24, s5
	s_cbranch_execz .LBB239_690
; %bb.685:                              ;   in Loop: Header=BB239_16 Depth=1
	s_clause 0x1
	buffer_load_dword v38, off, s[0:3], s32 offset:200
	buffer_load_dword v39, off, s[0:3], s32 offset:204
	v_bfe_u32 v2, v0, 24, 7
	s_waitcnt vmcnt(1)
	v_mov_b32_e32 v38, v119
	s_mov_b32 s25, exec_lo
	s_waitcnt vmcnt(0)
	v_mov_b32_e32 v1, v39
	buffer_store_dword v0, off, s[0:3], s32 offset:200 ; 4-byte Folded Spill
	buffer_store_dword v1, off, s[0:3], s32 offset:204 ; 4-byte Folded Spill
	v_cmpx_ne_u32_e32 0x7f, v2
	s_cbranch_execz .LBB239_689
; %bb.686:                              ;   in Loop: Header=BB239_16 Depth=1
	v_mov_b32_e32 v1, 7
	s_mov_b32 s26, exec_lo
	v_and_b32_sdwa v118, v0, v1 dst_sel:DWORD dst_unused:UNUSED_PAD src0_sel:BYTE_3 src1_sel:DWORD
	v_lshrrev_b32_e32 v1, 3, v2
	v_cmpx_gt_u32_e32 8, v2
; %bb.687:                              ;   in Loop: Header=BB239_16 Depth=1
	v_ffbh_u32_e32 v1, v118
	v_min_u32_e32 v1, 32, v1
	v_subrev_nc_u32_e32 v2, 28, v1
	v_sub_nc_u32_e32 v1, 29, v1
	v_lshlrev_b64 v[2:3], v2, v[118:119]
	v_and_b32_e32 v118, 7, v2
; %bb.688:                              ;   in Loop: Header=BB239_16 Depth=1
	s_or_b32 exec_lo, exec_lo, s26
	v_mov_b32_e32 v2, 24
	v_lshl_add_u32 v1, v1, 23, 0x3c000000
	v_mov_b32_e32 v38, v119
	v_lshlrev_b32_sdwa v0, v2, v0 dst_sel:DWORD dst_unused:UNUSED_PAD src0_sel:DWORD src1_sel:BYTE_3
	v_lshlrev_b32_e32 v2, 20, v118
	v_and_b32_e32 v0, 0x80000000, v0
	v_or3_b32 v39, v2, v0, v1
.LBB239_689:                            ;   in Loop: Header=BB239_16 Depth=1
	s_or_b32 exec_lo, exec_lo, s25
.LBB239_690:                            ;   in Loop: Header=BB239_16 Depth=1
	s_or_b32 exec_lo, exec_lo, s24
.LBB239_691:                            ;   in Loop: Header=BB239_16 Depth=1
	s_or_b32 exec_lo, exec_lo, s23
	flat_load_dword v0, v[100:101] offset:516
	v_mov_b32_e32 v74, 0
	v_mov_b32_e32 v40, 0
	;; [unrolled: 1-line block ×4, first 2 shown]
	s_waitcnt vmcnt(0) lgkmcnt(0)
	v_cmp_ne_u16_sdwa s5, v0, v119 src0_sel:BYTE_0 src1_sel:DWORD
	s_and_saveexec_b32 s23, s5
	s_cbranch_execz .LBB239_699
; %bb.692:                              ;   in Loop: Header=BB239_16 Depth=1
	v_mov_b32_e32 v1, 0x80
	v_bfrev_b32_e32 v40, 1
	v_mov_b32_e32 v41, 0
	v_cmp_ne_u16_sdwa s5, v0, v1 src0_sel:BYTE_0 src1_sel:DWORD
	s_and_saveexec_b32 s24, s5
	s_cbranch_execz .LBB239_698
; %bb.693:                              ;   in Loop: Header=BB239_16 Depth=1
	v_mov_b32_e32 v40, 0x7f800001
	v_and_b32_e32 v2, 0x7f, v0
	v_mov_b32_e32 v41, 0
	s_mov_b32 s25, exec_lo
	v_cmpx_ne_u32_e32 0x7f, v2
	s_cbranch_execz .LBB239_697
; %bb.694:                              ;   in Loop: Header=BB239_16 Depth=1
	v_and_b32_e32 v118, 7, v0
	v_lshrrev_b32_e32 v1, 3, v2
	s_mov_b32 s26, exec_lo
	v_cmpx_gt_u32_e32 8, v2
; %bb.695:                              ;   in Loop: Header=BB239_16 Depth=1
	v_ffbh_u32_e32 v1, v118
	v_min_u32_e32 v1, 32, v1
	v_subrev_nc_u32_e32 v2, 28, v1
	v_sub_nc_u32_e32 v1, 29, v1
	v_lshlrev_b64 v[2:3], v2, v[118:119]
	v_and_b32_e32 v118, 7, v2
; %bb.696:                              ;   in Loop: Header=BB239_16 Depth=1
	s_or_b32 exec_lo, exec_lo, s26
	v_lshlrev_b32_e32 v2, 24, v0
	v_lshlrev_b32_e32 v3, 20, v118
	v_lshl_add_u32 v1, v1, 23, 0x3c000000
	v_and_b32_e32 v2, 0x80000000, v2
	v_or3_b32 v118, v3, v2, v1
	v_mov_b32_e32 v40, v118
	v_mov_b32_e32 v41, v119
.LBB239_697:                            ;   in Loop: Header=BB239_16 Depth=1
	s_or_b32 exec_lo, exec_lo, s25
.LBB239_698:                            ;   in Loop: Header=BB239_16 Depth=1
	s_or_b32 exec_lo, exec_lo, s24
.LBB239_699:                            ;   in Loop: Header=BB239_16 Depth=1
	s_or_b32 exec_lo, exec_lo, s23
	v_cmp_ne_u16_sdwa s5, v0, v119 src0_sel:BYTE_1 src1_sel:DWORD
	s_and_saveexec_b32 s23, s5
	s_cbranch_execz .LBB239_707
; %bb.700:                              ;   in Loop: Header=BB239_16 Depth=1
	v_mov_b32_e32 v50, v119
	v_mov_b32_e32 v1, 0x80
	;; [unrolled: 1-line block ×4, first 2 shown]
	v_cmp_ne_u16_sdwa s5, v0, v1 src0_sel:BYTE_1 src1_sel:DWORD
	s_and_saveexec_b32 s24, s5
	s_cbranch_execz .LBB239_706
; %bb.701:                              ;   in Loop: Header=BB239_16 Depth=1
	s_clause 0x1
	buffer_load_dword v74, off, s[0:3], s32 offset:200
	buffer_load_dword v75, off, s[0:3], s32 offset:204
	v_mov_b32_e32 v1, 0xffff
	s_waitcnt vmcnt(1)
	v_mov_b32_e32 v74, v119
	s_mov_b32 s25, exec_lo
	v_and_b32_sdwa v1, v1, v0 dst_sel:DWORD dst_unused:UNUSED_PAD src0_sel:DWORD src1_sel:BYTE_1
	v_and_b32_e32 v2, 0x7f, v1
	s_waitcnt vmcnt(0)
	v_mov_b32_e32 v3, v75
	buffer_store_dword v2, off, s[0:3], s32 offset:200 ; 4-byte Folded Spill
	buffer_store_dword v3, off, s[0:3], s32 offset:204 ; 4-byte Folded Spill
	v_cmpx_ne_u32_e32 0x7f, v2
	s_cbranch_execz .LBB239_705
; %bb.702:                              ;   in Loop: Header=BB239_16 Depth=1
	v_and_b32_e32 v118, 7, v1
	v_lshrrev_b32_e32 v1, 3, v2
	s_mov_b32 s26, exec_lo
	v_cmpx_gt_u32_e32 8, v2
; %bb.703:                              ;   in Loop: Header=BB239_16 Depth=1
	v_ffbh_u32_e32 v1, v118
	v_min_u32_e32 v1, 32, v1
	v_subrev_nc_u32_e32 v2, 28, v1
	v_sub_nc_u32_e32 v1, 29, v1
	v_lshlrev_b64 v[2:3], v2, v[118:119]
	v_and_b32_e32 v118, 7, v2
; %bb.704:                              ;   in Loop: Header=BB239_16 Depth=1
	s_or_b32 exec_lo, exec_lo, s26
	v_lshlrev_b32_e32 v2, 16, v0
	v_lshlrev_b32_e32 v3, 20, v118
	v_lshl_add_u32 v1, v1, 23, 0x3c000000
	v_mov_b32_e32 v74, v119
	v_and_b32_e32 v2, 0x80000000, v2
	v_or3_b32 v75, v3, v2, v1
.LBB239_705:                            ;   in Loop: Header=BB239_16 Depth=1
	s_or_b32 exec_lo, exec_lo, s25
.LBB239_706:                            ;   in Loop: Header=BB239_16 Depth=1
	s_or_b32 exec_lo, exec_lo, s24
.LBB239_707:                            ;   in Loop: Header=BB239_16 Depth=1
	s_or_b32 exec_lo, exec_lo, s23
	v_mov_b32_e32 v1, 0xff
	v_mov_b32_e32 v46, 0
	;; [unrolled: 1-line block ×5, first 2 shown]
	v_and_b32_sdwa v1, v0, v1 dst_sel:DWORD dst_unused:UNUSED_PAD src0_sel:WORD_1 src1_sel:DWORD
	s_mov_b32 s23, exec_lo
	v_cmpx_ne_u16_e32 0, v1
	s_cbranch_execz .LBB239_715
; %bb.708:                              ;   in Loop: Header=BB239_16 Depth=1
	v_bfrev_b32_e32 v76, 1
	v_mov_b32_e32 v77, 0
	s_mov_b32 s24, exec_lo
	v_cmpx_ne_u16_e32 0x80, v1
	s_cbranch_execz .LBB239_714
; %bb.709:                              ;   in Loop: Header=BB239_16 Depth=1
	v_mov_b32_e32 v76, 0x7f800001
	v_bfe_u32 v2, v0, 16, 7
	v_mov_b32_e32 v77, 0
	s_mov_b32 s25, exec_lo
	v_cmpx_ne_u32_e32 0x7f, v2
	s_cbranch_execz .LBB239_713
; %bb.710:                              ;   in Loop: Header=BB239_16 Depth=1
	v_mov_b32_e32 v1, 7
	s_mov_b32 s26, exec_lo
	v_and_b32_sdwa v118, v0, v1 dst_sel:DWORD dst_unused:UNUSED_PAD src0_sel:WORD_1 src1_sel:DWORD
	v_lshrrev_b32_e32 v1, 3, v2
	v_cmpx_gt_u32_e32 8, v2
; %bb.711:                              ;   in Loop: Header=BB239_16 Depth=1
	v_ffbh_u32_e32 v1, v118
	v_min_u32_e32 v1, 32, v1
	v_subrev_nc_u32_e32 v2, 28, v1
	v_sub_nc_u32_e32 v1, 29, v1
	v_lshlrev_b64 v[2:3], v2, v[118:119]
	v_and_b32_e32 v118, 7, v2
; %bb.712:                              ;   in Loop: Header=BB239_16 Depth=1
	s_or_b32 exec_lo, exec_lo, s26
	v_mov_b32_e32 v2, 24
	v_lshlrev_b32_e32 v3, 20, v118
	v_lshl_add_u32 v1, v1, 23, 0x3c000000
	v_lshlrev_b32_sdwa v2, v2, v0 dst_sel:DWORD dst_unused:UNUSED_PAD src0_sel:DWORD src1_sel:WORD_1
	v_and_b32_e32 v2, 0x80000000, v2
	v_or3_b32 v118, v3, v2, v1
	v_mov_b32_e32 v76, v118
	v_mov_b32_e32 v77, v119
.LBB239_713:                            ;   in Loop: Header=BB239_16 Depth=1
	s_or_b32 exec_lo, exec_lo, s25
.LBB239_714:                            ;   in Loop: Header=BB239_16 Depth=1
	s_or_b32 exec_lo, exec_lo, s24
.LBB239_715:                            ;   in Loop: Header=BB239_16 Depth=1
	s_or_b32 exec_lo, exec_lo, s23
	s_mov_b32 s23, exec_lo
	v_cmpx_lt_u32_e32 0xffffff, v0
	s_cbranch_execz .LBB239_723
; %bb.716:                              ;   in Loop: Header=BB239_16 Depth=1
	v_mov_b32_e32 v50, v119
	v_mov_b32_e32 v1, 0x80
	;; [unrolled: 1-line block ×3, first 2 shown]
	v_cmp_ne_u32_sdwa s5, v0, v1 src0_sel:BYTE_3 src1_sel:DWORD
	v_mov_b32_e32 v47, v51
	s_and_saveexec_b32 s24, s5
	s_cbranch_execz .LBB239_722
; %bb.717:                              ;   in Loop: Header=BB239_16 Depth=1
	s_clause 0x1
	buffer_load_dword v46, off, s[0:3], s32 offset:200
	buffer_load_dword v47, off, s[0:3], s32 offset:204
	v_bfe_u32 v2, v0, 24, 7
	s_waitcnt vmcnt(1)
	v_mov_b32_e32 v46, v119
	s_mov_b32 s25, exec_lo
	s_waitcnt vmcnt(0)
	v_mov_b32_e32 v1, v47
	buffer_store_dword v0, off, s[0:3], s32 offset:200 ; 4-byte Folded Spill
	buffer_store_dword v1, off, s[0:3], s32 offset:204 ; 4-byte Folded Spill
	v_cmpx_ne_u32_e32 0x7f, v2
	s_cbranch_execz .LBB239_721
; %bb.718:                              ;   in Loop: Header=BB239_16 Depth=1
	v_mov_b32_e32 v1, 7
	s_mov_b32 s26, exec_lo
	v_and_b32_sdwa v118, v0, v1 dst_sel:DWORD dst_unused:UNUSED_PAD src0_sel:BYTE_3 src1_sel:DWORD
	v_lshrrev_b32_e32 v1, 3, v2
	v_cmpx_gt_u32_e32 8, v2
; %bb.719:                              ;   in Loop: Header=BB239_16 Depth=1
	v_ffbh_u32_e32 v1, v118
	v_min_u32_e32 v1, 32, v1
	v_subrev_nc_u32_e32 v2, 28, v1
	v_sub_nc_u32_e32 v1, 29, v1
	v_lshlrev_b64 v[2:3], v2, v[118:119]
	v_and_b32_e32 v118, 7, v2
; %bb.720:                              ;   in Loop: Header=BB239_16 Depth=1
	s_or_b32 exec_lo, exec_lo, s26
	v_mov_b32_e32 v2, 24
	v_lshl_add_u32 v1, v1, 23, 0x3c000000
	v_mov_b32_e32 v46, v119
	v_lshlrev_b32_sdwa v0, v2, v0 dst_sel:DWORD dst_unused:UNUSED_PAD src0_sel:DWORD src1_sel:BYTE_3
	v_lshlrev_b32_e32 v2, 20, v118
	v_and_b32_e32 v0, 0x80000000, v0
	v_or3_b32 v47, v2, v0, v1
.LBB239_721:                            ;   in Loop: Header=BB239_16 Depth=1
	s_or_b32 exec_lo, exec_lo, s25
.LBB239_722:                            ;   in Loop: Header=BB239_16 Depth=1
	s_or_b32 exec_lo, exec_lo, s24
.LBB239_723:                            ;   in Loop: Header=BB239_16 Depth=1
	s_or_b32 exec_lo, exec_lo, s23
	flat_load_dword v0, v[100:101] offset:520
	v_mov_b32_e32 v90, 0
	v_mov_b32_e32 v56, 0
	;; [unrolled: 1-line block ×4, first 2 shown]
	s_waitcnt vmcnt(0) lgkmcnt(0)
	v_cmp_ne_u16_sdwa s5, v0, v119 src0_sel:BYTE_0 src1_sel:DWORD
	s_and_saveexec_b32 s23, s5
	s_cbranch_execz .LBB239_731
; %bb.724:                              ;   in Loop: Header=BB239_16 Depth=1
	v_mov_b32_e32 v1, 0x80
	v_bfrev_b32_e32 v56, 1
	v_mov_b32_e32 v57, 0
	v_cmp_ne_u16_sdwa s5, v0, v1 src0_sel:BYTE_0 src1_sel:DWORD
	s_and_saveexec_b32 s24, s5
	s_cbranch_execz .LBB239_730
; %bb.725:                              ;   in Loop: Header=BB239_16 Depth=1
	v_mov_b32_e32 v56, 0x7f800001
	v_and_b32_e32 v2, 0x7f, v0
	v_mov_b32_e32 v57, 0
	s_mov_b32 s25, exec_lo
	v_cmpx_ne_u32_e32 0x7f, v2
	s_cbranch_execz .LBB239_729
; %bb.726:                              ;   in Loop: Header=BB239_16 Depth=1
	v_and_b32_e32 v118, 7, v0
	v_lshrrev_b32_e32 v1, 3, v2
	s_mov_b32 s26, exec_lo
	v_cmpx_gt_u32_e32 8, v2
; %bb.727:                              ;   in Loop: Header=BB239_16 Depth=1
	v_ffbh_u32_e32 v1, v118
	v_min_u32_e32 v1, 32, v1
	v_subrev_nc_u32_e32 v2, 28, v1
	v_sub_nc_u32_e32 v1, 29, v1
	v_lshlrev_b64 v[2:3], v2, v[118:119]
	v_and_b32_e32 v118, 7, v2
; %bb.728:                              ;   in Loop: Header=BB239_16 Depth=1
	s_or_b32 exec_lo, exec_lo, s26
	v_lshlrev_b32_e32 v2, 24, v0
	v_lshlrev_b32_e32 v3, 20, v118
	v_lshl_add_u32 v1, v1, 23, 0x3c000000
	v_and_b32_e32 v2, 0x80000000, v2
	v_or3_b32 v118, v3, v2, v1
	v_mov_b32_e32 v56, v118
	v_mov_b32_e32 v57, v119
.LBB239_729:                            ;   in Loop: Header=BB239_16 Depth=1
	s_or_b32 exec_lo, exec_lo, s25
.LBB239_730:                            ;   in Loop: Header=BB239_16 Depth=1
	s_or_b32 exec_lo, exec_lo, s24
.LBB239_731:                            ;   in Loop: Header=BB239_16 Depth=1
	s_or_b32 exec_lo, exec_lo, s23
	v_cmp_ne_u16_sdwa s5, v0, v119 src0_sel:BYTE_1 src1_sel:DWORD
	s_and_saveexec_b32 s23, s5
	s_cbranch_execz .LBB239_739
; %bb.732:                              ;   in Loop: Header=BB239_16 Depth=1
	v_mov_b32_e32 v50, v119
	v_mov_b32_e32 v1, 0x80
	;; [unrolled: 1-line block ×4, first 2 shown]
	v_cmp_ne_u16_sdwa s5, v0, v1 src0_sel:BYTE_1 src1_sel:DWORD
	s_and_saveexec_b32 s24, s5
	s_cbranch_execz .LBB239_738
; %bb.733:                              ;   in Loop: Header=BB239_16 Depth=1
	s_clause 0x1
	buffer_load_dword v90, off, s[0:3], s32 offset:200
	buffer_load_dword v91, off, s[0:3], s32 offset:204
	v_mov_b32_e32 v1, 0xffff
	s_waitcnt vmcnt(1)
	v_mov_b32_e32 v90, v119
	s_mov_b32 s25, exec_lo
	v_and_b32_sdwa v1, v1, v0 dst_sel:DWORD dst_unused:UNUSED_PAD src0_sel:DWORD src1_sel:BYTE_1
	v_and_b32_e32 v2, 0x7f, v1
	s_waitcnt vmcnt(0)
	v_mov_b32_e32 v3, v91
	buffer_store_dword v2, off, s[0:3], s32 offset:200 ; 4-byte Folded Spill
	buffer_store_dword v3, off, s[0:3], s32 offset:204 ; 4-byte Folded Spill
	v_cmpx_ne_u32_e32 0x7f, v2
	s_cbranch_execz .LBB239_737
; %bb.734:                              ;   in Loop: Header=BB239_16 Depth=1
	v_and_b32_e32 v118, 7, v1
	v_lshrrev_b32_e32 v1, 3, v2
	s_mov_b32 s26, exec_lo
	v_cmpx_gt_u32_e32 8, v2
; %bb.735:                              ;   in Loop: Header=BB239_16 Depth=1
	v_ffbh_u32_e32 v1, v118
	v_min_u32_e32 v1, 32, v1
	v_subrev_nc_u32_e32 v2, 28, v1
	v_sub_nc_u32_e32 v1, 29, v1
	v_lshlrev_b64 v[2:3], v2, v[118:119]
	v_and_b32_e32 v118, 7, v2
; %bb.736:                              ;   in Loop: Header=BB239_16 Depth=1
	s_or_b32 exec_lo, exec_lo, s26
	v_lshlrev_b32_e32 v2, 16, v0
	v_lshlrev_b32_e32 v3, 20, v118
	v_lshl_add_u32 v1, v1, 23, 0x3c000000
	v_mov_b32_e32 v90, v119
	v_and_b32_e32 v2, 0x80000000, v2
	v_or3_b32 v91, v3, v2, v1
.LBB239_737:                            ;   in Loop: Header=BB239_16 Depth=1
	s_or_b32 exec_lo, exec_lo, s25
.LBB239_738:                            ;   in Loop: Header=BB239_16 Depth=1
	s_or_b32 exec_lo, exec_lo, s24
.LBB239_739:                            ;   in Loop: Header=BB239_16 Depth=1
	s_or_b32 exec_lo, exec_lo, s23
	v_mov_b32_e32 v1, 0xff
	v_mov_b32_e32 v62, 0
	;; [unrolled: 1-line block ×5, first 2 shown]
	v_and_b32_sdwa v1, v0, v1 dst_sel:DWORD dst_unused:UNUSED_PAD src0_sel:WORD_1 src1_sel:DWORD
	s_mov_b32 s23, exec_lo
	v_cmpx_ne_u16_e32 0, v1
	s_cbranch_execz .LBB239_747
; %bb.740:                              ;   in Loop: Header=BB239_16 Depth=1
	v_bfrev_b32_e32 v72, 1
	v_mov_b32_e32 v73, 0
	s_mov_b32 s24, exec_lo
	v_cmpx_ne_u16_e32 0x80, v1
	s_cbranch_execz .LBB239_746
; %bb.741:                              ;   in Loop: Header=BB239_16 Depth=1
	v_mov_b32_e32 v72, 0x7f800001
	v_bfe_u32 v2, v0, 16, 7
	v_mov_b32_e32 v73, 0
	s_mov_b32 s25, exec_lo
	v_cmpx_ne_u32_e32 0x7f, v2
	s_cbranch_execz .LBB239_745
; %bb.742:                              ;   in Loop: Header=BB239_16 Depth=1
	v_mov_b32_e32 v1, 7
	s_mov_b32 s26, exec_lo
	v_and_b32_sdwa v118, v0, v1 dst_sel:DWORD dst_unused:UNUSED_PAD src0_sel:WORD_1 src1_sel:DWORD
	v_lshrrev_b32_e32 v1, 3, v2
	v_cmpx_gt_u32_e32 8, v2
; %bb.743:                              ;   in Loop: Header=BB239_16 Depth=1
	v_ffbh_u32_e32 v1, v118
	v_min_u32_e32 v1, 32, v1
	v_subrev_nc_u32_e32 v2, 28, v1
	v_sub_nc_u32_e32 v1, 29, v1
	v_lshlrev_b64 v[2:3], v2, v[118:119]
	v_and_b32_e32 v118, 7, v2
; %bb.744:                              ;   in Loop: Header=BB239_16 Depth=1
	s_or_b32 exec_lo, exec_lo, s26
	v_mov_b32_e32 v2, 24
	v_lshlrev_b32_e32 v3, 20, v118
	v_lshl_add_u32 v1, v1, 23, 0x3c000000
	v_lshlrev_b32_sdwa v2, v2, v0 dst_sel:DWORD dst_unused:UNUSED_PAD src0_sel:DWORD src1_sel:WORD_1
	v_and_b32_e32 v2, 0x80000000, v2
	v_or3_b32 v118, v3, v2, v1
	v_mov_b32_e32 v72, v118
	v_mov_b32_e32 v73, v119
.LBB239_745:                            ;   in Loop: Header=BB239_16 Depth=1
	s_or_b32 exec_lo, exec_lo, s25
.LBB239_746:                            ;   in Loop: Header=BB239_16 Depth=1
	s_or_b32 exec_lo, exec_lo, s24
.LBB239_747:                            ;   in Loop: Header=BB239_16 Depth=1
	s_or_b32 exec_lo, exec_lo, s23
	s_mov_b32 s23, exec_lo
	v_cmpx_lt_u32_e32 0xffffff, v0
	s_cbranch_execz .LBB239_755
; %bb.748:                              ;   in Loop: Header=BB239_16 Depth=1
	v_mov_b32_e32 v50, v119
	v_mov_b32_e32 v1, 0x80
	;; [unrolled: 1-line block ×4, first 2 shown]
	v_cmp_ne_u32_sdwa s5, v0, v1 src0_sel:BYTE_3 src1_sel:DWORD
	s_and_saveexec_b32 s24, s5
	s_cbranch_execz .LBB239_754
; %bb.749:                              ;   in Loop: Header=BB239_16 Depth=1
	s_clause 0x1
	buffer_load_dword v62, off, s[0:3], s32 offset:200
	buffer_load_dword v63, off, s[0:3], s32 offset:204
	v_bfe_u32 v2, v0, 24, 7
	s_waitcnt vmcnt(1)
	v_mov_b32_e32 v62, v119
	s_mov_b32 s25, exec_lo
	s_waitcnt vmcnt(0)
	v_mov_b32_e32 v1, v63
	buffer_store_dword v0, off, s[0:3], s32 offset:200 ; 4-byte Folded Spill
	buffer_store_dword v1, off, s[0:3], s32 offset:204 ; 4-byte Folded Spill
	v_cmpx_ne_u32_e32 0x7f, v2
	s_cbranch_execz .LBB239_753
; %bb.750:                              ;   in Loop: Header=BB239_16 Depth=1
	v_mov_b32_e32 v1, 7
	s_mov_b32 s26, exec_lo
	v_and_b32_sdwa v118, v0, v1 dst_sel:DWORD dst_unused:UNUSED_PAD src0_sel:BYTE_3 src1_sel:DWORD
	v_lshrrev_b32_e32 v1, 3, v2
	v_cmpx_gt_u32_e32 8, v2
; %bb.751:                              ;   in Loop: Header=BB239_16 Depth=1
	v_ffbh_u32_e32 v1, v118
	v_min_u32_e32 v1, 32, v1
	v_subrev_nc_u32_e32 v2, 28, v1
	v_sub_nc_u32_e32 v1, 29, v1
	v_lshlrev_b64 v[2:3], v2, v[118:119]
	v_and_b32_e32 v118, 7, v2
; %bb.752:                              ;   in Loop: Header=BB239_16 Depth=1
	s_or_b32 exec_lo, exec_lo, s26
	v_mov_b32_e32 v2, 24
	v_lshl_add_u32 v1, v1, 23, 0x3c000000
	v_mov_b32_e32 v62, v119
	v_lshlrev_b32_sdwa v0, v2, v0 dst_sel:DWORD dst_unused:UNUSED_PAD src0_sel:DWORD src1_sel:BYTE_3
	v_lshlrev_b32_e32 v2, 20, v118
	v_and_b32_e32 v0, 0x80000000, v0
	v_or3_b32 v63, v2, v0, v1
.LBB239_753:                            ;   in Loop: Header=BB239_16 Depth=1
	s_or_b32 exec_lo, exec_lo, s25
.LBB239_754:                            ;   in Loop: Header=BB239_16 Depth=1
	s_or_b32 exec_lo, exec_lo, s24
.LBB239_755:                            ;   in Loop: Header=BB239_16 Depth=1
	s_or_b32 exec_lo, exec_lo, s23
	flat_load_dword v0, v[100:101] offset:524
	v_mov_b32_e32 v78, 0
	v_mov_b32_e32 v92, 0
	;; [unrolled: 1-line block ×4, first 2 shown]
	s_waitcnt vmcnt(0) lgkmcnt(0)
	v_cmp_ne_u16_sdwa s5, v0, v119 src0_sel:BYTE_0 src1_sel:DWORD
	s_and_saveexec_b32 s23, s5
	s_cbranch_execz .LBB239_763
; %bb.756:                              ;   in Loop: Header=BB239_16 Depth=1
	v_mov_b32_e32 v1, 0x80
	v_bfrev_b32_e32 v92, 1
	v_mov_b32_e32 v93, 0
	v_cmp_ne_u16_sdwa s5, v0, v1 src0_sel:BYTE_0 src1_sel:DWORD
	s_and_saveexec_b32 s24, s5
	s_cbranch_execz .LBB239_762
; %bb.757:                              ;   in Loop: Header=BB239_16 Depth=1
	v_mov_b32_e32 v92, 0x7f800001
	v_and_b32_e32 v2, 0x7f, v0
	v_mov_b32_e32 v93, 0
	s_mov_b32 s25, exec_lo
	v_cmpx_ne_u32_e32 0x7f, v2
	s_cbranch_execz .LBB239_761
; %bb.758:                              ;   in Loop: Header=BB239_16 Depth=1
	v_and_b32_e32 v118, 7, v0
	v_lshrrev_b32_e32 v1, 3, v2
	s_mov_b32 s26, exec_lo
	v_cmpx_gt_u32_e32 8, v2
; %bb.759:                              ;   in Loop: Header=BB239_16 Depth=1
	v_ffbh_u32_e32 v1, v118
	v_min_u32_e32 v1, 32, v1
	v_subrev_nc_u32_e32 v2, 28, v1
	v_sub_nc_u32_e32 v1, 29, v1
	v_lshlrev_b64 v[2:3], v2, v[118:119]
	v_and_b32_e32 v118, 7, v2
; %bb.760:                              ;   in Loop: Header=BB239_16 Depth=1
	s_or_b32 exec_lo, exec_lo, s26
	v_lshlrev_b32_e32 v2, 24, v0
	v_lshlrev_b32_e32 v3, 20, v118
	v_lshl_add_u32 v1, v1, 23, 0x3c000000
	v_and_b32_e32 v2, 0x80000000, v2
	v_or3_b32 v118, v3, v2, v1
	v_mov_b32_e32 v92, v118
	v_mov_b32_e32 v93, v119
.LBB239_761:                            ;   in Loop: Header=BB239_16 Depth=1
	s_or_b32 exec_lo, exec_lo, s25
.LBB239_762:                            ;   in Loop: Header=BB239_16 Depth=1
	s_or_b32 exec_lo, exec_lo, s24
.LBB239_763:                            ;   in Loop: Header=BB239_16 Depth=1
	s_or_b32 exec_lo, exec_lo, s23
	v_cmp_ne_u16_sdwa s5, v0, v119 src0_sel:BYTE_1 src1_sel:DWORD
	s_and_saveexec_b32 s23, s5
	s_cbranch_execz .LBB239_771
; %bb.764:                              ;   in Loop: Header=BB239_16 Depth=1
	v_mov_b32_e32 v50, v119
	v_mov_b32_e32 v1, 0x80
	;; [unrolled: 1-line block ×4, first 2 shown]
	v_cmp_ne_u16_sdwa s5, v0, v1 src0_sel:BYTE_1 src1_sel:DWORD
	s_and_saveexec_b32 s24, s5
	s_cbranch_execz .LBB239_770
; %bb.765:                              ;   in Loop: Header=BB239_16 Depth=1
	s_clause 0x1
	buffer_load_dword v78, off, s[0:3], s32 offset:200
	buffer_load_dword v79, off, s[0:3], s32 offset:204
	v_mov_b32_e32 v1, 0xffff
	s_waitcnt vmcnt(1)
	v_mov_b32_e32 v78, v119
	s_mov_b32 s25, exec_lo
	v_and_b32_sdwa v1, v1, v0 dst_sel:DWORD dst_unused:UNUSED_PAD src0_sel:DWORD src1_sel:BYTE_1
	v_and_b32_e32 v2, 0x7f, v1
	s_waitcnt vmcnt(0)
	v_mov_b32_e32 v3, v79
	buffer_store_dword v2, off, s[0:3], s32 offset:200 ; 4-byte Folded Spill
	buffer_store_dword v3, off, s[0:3], s32 offset:204 ; 4-byte Folded Spill
	v_cmpx_ne_u32_e32 0x7f, v2
	s_cbranch_execz .LBB239_769
; %bb.766:                              ;   in Loop: Header=BB239_16 Depth=1
	v_and_b32_e32 v118, 7, v1
	v_lshrrev_b32_e32 v1, 3, v2
	s_mov_b32 s26, exec_lo
	v_cmpx_gt_u32_e32 8, v2
; %bb.767:                              ;   in Loop: Header=BB239_16 Depth=1
	v_ffbh_u32_e32 v1, v118
	v_min_u32_e32 v1, 32, v1
	v_subrev_nc_u32_e32 v2, 28, v1
	v_sub_nc_u32_e32 v1, 29, v1
	v_lshlrev_b64 v[2:3], v2, v[118:119]
	v_and_b32_e32 v118, 7, v2
; %bb.768:                              ;   in Loop: Header=BB239_16 Depth=1
	s_or_b32 exec_lo, exec_lo, s26
	v_lshlrev_b32_e32 v2, 16, v0
	v_lshlrev_b32_e32 v3, 20, v118
	v_lshl_add_u32 v1, v1, 23, 0x3c000000
	v_mov_b32_e32 v78, v119
	v_and_b32_e32 v2, 0x80000000, v2
	v_or3_b32 v79, v3, v2, v1
.LBB239_769:                            ;   in Loop: Header=BB239_16 Depth=1
	s_or_b32 exec_lo, exec_lo, s25
.LBB239_770:                            ;   in Loop: Header=BB239_16 Depth=1
	s_or_b32 exec_lo, exec_lo, s24
.LBB239_771:                            ;   in Loop: Header=BB239_16 Depth=1
	s_or_b32 exec_lo, exec_lo, s23
	v_mov_b32_e32 v1, 0xff
	v_mov_b32_e32 v106, 0
	;; [unrolled: 1-line block ×5, first 2 shown]
	v_and_b32_sdwa v1, v0, v1 dst_sel:DWORD dst_unused:UNUSED_PAD src0_sel:WORD_1 src1_sel:DWORD
	s_mov_b32 s23, exec_lo
	v_cmpx_ne_u16_e32 0, v1
	s_cbranch_execz .LBB239_779
; %bb.772:                              ;   in Loop: Header=BB239_16 Depth=1
	v_bfrev_b32_e32 v88, 1
	v_mov_b32_e32 v89, 0
	s_mov_b32 s24, exec_lo
	v_cmpx_ne_u16_e32 0x80, v1
	s_cbranch_execz .LBB239_778
; %bb.773:                              ;   in Loop: Header=BB239_16 Depth=1
	v_mov_b32_e32 v88, 0x7f800001
	v_bfe_u32 v2, v0, 16, 7
	v_mov_b32_e32 v89, 0
	s_mov_b32 s25, exec_lo
	v_cmpx_ne_u32_e32 0x7f, v2
	s_cbranch_execz .LBB239_777
; %bb.774:                              ;   in Loop: Header=BB239_16 Depth=1
	v_mov_b32_e32 v1, 7
	s_mov_b32 s26, exec_lo
	v_and_b32_sdwa v118, v0, v1 dst_sel:DWORD dst_unused:UNUSED_PAD src0_sel:WORD_1 src1_sel:DWORD
	v_lshrrev_b32_e32 v1, 3, v2
	v_cmpx_gt_u32_e32 8, v2
; %bb.775:                              ;   in Loop: Header=BB239_16 Depth=1
	v_ffbh_u32_e32 v1, v118
	v_min_u32_e32 v1, 32, v1
	v_subrev_nc_u32_e32 v2, 28, v1
	v_sub_nc_u32_e32 v1, 29, v1
	v_lshlrev_b64 v[2:3], v2, v[118:119]
	v_and_b32_e32 v118, 7, v2
; %bb.776:                              ;   in Loop: Header=BB239_16 Depth=1
	s_or_b32 exec_lo, exec_lo, s26
	v_mov_b32_e32 v2, 24
	v_lshlrev_b32_e32 v3, 20, v118
	v_lshl_add_u32 v1, v1, 23, 0x3c000000
	v_lshlrev_b32_sdwa v2, v2, v0 dst_sel:DWORD dst_unused:UNUSED_PAD src0_sel:DWORD src1_sel:WORD_1
	v_and_b32_e32 v2, 0x80000000, v2
	v_or3_b32 v118, v3, v2, v1
	v_mov_b32_e32 v88, v118
	v_mov_b32_e32 v89, v119
.LBB239_777:                            ;   in Loop: Header=BB239_16 Depth=1
	s_or_b32 exec_lo, exec_lo, s25
.LBB239_778:                            ;   in Loop: Header=BB239_16 Depth=1
	s_or_b32 exec_lo, exec_lo, s24
.LBB239_779:                            ;   in Loop: Header=BB239_16 Depth=1
	s_or_b32 exec_lo, exec_lo, s23
	s_mov_b32 s23, exec_lo
	v_cmpx_lt_u32_e32 0xffffff, v0
	s_cbranch_execz .LBB239_787
; %bb.780:                              ;   in Loop: Header=BB239_16 Depth=1
	v_mov_b32_e32 v50, v119
	v_mov_b32_e32 v1, 0x80
	v_mov_b32_e32 v107, v51
	v_mov_b32_e32 v106, v50
	v_cmp_ne_u32_sdwa s5, v0, v1 src0_sel:BYTE_3 src1_sel:DWORD
	s_and_saveexec_b32 s24, s5
	s_cbranch_execz .LBB239_786
; %bb.781:                              ;   in Loop: Header=BB239_16 Depth=1
	s_clause 0x1
	buffer_load_dword v106, off, s[0:3], s32 offset:200
	buffer_load_dword v107, off, s[0:3], s32 offset:204
	v_bfe_u32 v2, v0, 24, 7
	s_waitcnt vmcnt(1)
	v_mov_b32_e32 v106, v119
	s_mov_b32 s25, exec_lo
	s_waitcnt vmcnt(0)
	v_mov_b32_e32 v1, v107
	buffer_store_dword v0, off, s[0:3], s32 offset:200 ; 4-byte Folded Spill
	buffer_store_dword v1, off, s[0:3], s32 offset:204 ; 4-byte Folded Spill
	v_cmpx_ne_u32_e32 0x7f, v2
	s_cbranch_execz .LBB239_785
; %bb.782:                              ;   in Loop: Header=BB239_16 Depth=1
	v_mov_b32_e32 v1, 7
	s_mov_b32 s26, exec_lo
	v_and_b32_sdwa v118, v0, v1 dst_sel:DWORD dst_unused:UNUSED_PAD src0_sel:BYTE_3 src1_sel:DWORD
	v_lshrrev_b32_e32 v1, 3, v2
	v_cmpx_gt_u32_e32 8, v2
; %bb.783:                              ;   in Loop: Header=BB239_16 Depth=1
	v_ffbh_u32_e32 v1, v118
	v_min_u32_e32 v1, 32, v1
	v_subrev_nc_u32_e32 v2, 28, v1
	v_sub_nc_u32_e32 v1, 29, v1
	v_lshlrev_b64 v[2:3], v2, v[118:119]
	v_and_b32_e32 v118, 7, v2
; %bb.784:                              ;   in Loop: Header=BB239_16 Depth=1
	s_or_b32 exec_lo, exec_lo, s26
	v_mov_b32_e32 v2, 24
	v_lshl_add_u32 v1, v1, 23, 0x3c000000
	v_mov_b32_e32 v106, v119
	v_lshlrev_b32_sdwa v0, v2, v0 dst_sel:DWORD dst_unused:UNUSED_PAD src0_sel:DWORD src1_sel:BYTE_3
	v_lshlrev_b32_e32 v2, 20, v118
	v_and_b32_e32 v0, 0x80000000, v0
	v_or3_b32 v107, v2, v0, v1
.LBB239_785:                            ;   in Loop: Header=BB239_16 Depth=1
	s_or_b32 exec_lo, exec_lo, s25
.LBB239_786:                            ;   in Loop: Header=BB239_16 Depth=1
	s_or_b32 exec_lo, exec_lo, s24
.LBB239_787:                            ;   in Loop: Header=BB239_16 Depth=1
	s_or_b32 exec_lo, exec_lo, s23
	flat_load_dword v0, v[100:101] offset:1024
	v_mov_b32_e32 v94, 0
	v_mov_b32_e32 v108, 0
	v_mov_b32_e32 v95, 0
	v_mov_b32_e32 v109, 0
	s_waitcnt vmcnt(0) lgkmcnt(0)
	v_cmp_ne_u16_sdwa s5, v0, v119 src0_sel:BYTE_0 src1_sel:DWORD
	s_and_saveexec_b32 s23, s5
	s_cbranch_execz .LBB239_795
; %bb.788:                              ;   in Loop: Header=BB239_16 Depth=1
	v_mov_b32_e32 v1, 0x80
	v_bfrev_b32_e32 v108, 1
	v_mov_b32_e32 v109, 0
	v_cmp_ne_u16_sdwa s5, v0, v1 src0_sel:BYTE_0 src1_sel:DWORD
	s_and_saveexec_b32 s24, s5
	s_cbranch_execz .LBB239_794
; %bb.789:                              ;   in Loop: Header=BB239_16 Depth=1
	v_mov_b32_e32 v108, 0x7f800001
	v_and_b32_e32 v2, 0x7f, v0
	v_mov_b32_e32 v109, 0
	s_mov_b32 s25, exec_lo
	v_cmpx_ne_u32_e32 0x7f, v2
	s_cbranch_execz .LBB239_793
; %bb.790:                              ;   in Loop: Header=BB239_16 Depth=1
	v_and_b32_e32 v118, 7, v0
	v_lshrrev_b32_e32 v1, 3, v2
	s_mov_b32 s26, exec_lo
	v_cmpx_gt_u32_e32 8, v2
; %bb.791:                              ;   in Loop: Header=BB239_16 Depth=1
	v_ffbh_u32_e32 v1, v118
	v_min_u32_e32 v1, 32, v1
	v_subrev_nc_u32_e32 v2, 28, v1
	v_sub_nc_u32_e32 v1, 29, v1
	v_lshlrev_b64 v[2:3], v2, v[118:119]
	v_and_b32_e32 v118, 7, v2
; %bb.792:                              ;   in Loop: Header=BB239_16 Depth=1
	s_or_b32 exec_lo, exec_lo, s26
	v_lshlrev_b32_e32 v2, 24, v0
	v_lshlrev_b32_e32 v3, 20, v118
	v_lshl_add_u32 v1, v1, 23, 0x3c000000
	v_and_b32_e32 v2, 0x80000000, v2
	v_or3_b32 v118, v3, v2, v1
	v_mov_b32_e32 v108, v118
	v_mov_b32_e32 v109, v119
.LBB239_793:                            ;   in Loop: Header=BB239_16 Depth=1
	s_or_b32 exec_lo, exec_lo, s25
.LBB239_794:                            ;   in Loop: Header=BB239_16 Depth=1
	s_or_b32 exec_lo, exec_lo, s24
.LBB239_795:                            ;   in Loop: Header=BB239_16 Depth=1
	s_or_b32 exec_lo, exec_lo, s23
	v_cmp_ne_u16_sdwa s5, v0, v119 src0_sel:BYTE_1 src1_sel:DWORD
	s_and_saveexec_b32 s23, s5
	s_cbranch_execz .LBB239_803
; %bb.796:                              ;   in Loop: Header=BB239_16 Depth=1
	v_mov_b32_e32 v50, v119
	v_mov_b32_e32 v1, 0x80
	;; [unrolled: 1-line block ×4, first 2 shown]
	v_cmp_ne_u16_sdwa s5, v0, v1 src0_sel:BYTE_1 src1_sel:DWORD
	s_and_saveexec_b32 s24, s5
	s_cbranch_execz .LBB239_802
; %bb.797:                              ;   in Loop: Header=BB239_16 Depth=1
	s_clause 0x1
	buffer_load_dword v94, off, s[0:3], s32 offset:200
	buffer_load_dword v95, off, s[0:3], s32 offset:204
	v_mov_b32_e32 v1, 0xffff
	s_waitcnt vmcnt(1)
	v_mov_b32_e32 v94, v119
	s_mov_b32 s25, exec_lo
	v_and_b32_sdwa v1, v1, v0 dst_sel:DWORD dst_unused:UNUSED_PAD src0_sel:DWORD src1_sel:BYTE_1
	v_and_b32_e32 v2, 0x7f, v1
	s_waitcnt vmcnt(0)
	v_mov_b32_e32 v3, v95
	buffer_store_dword v2, off, s[0:3], s32 offset:200 ; 4-byte Folded Spill
	buffer_store_dword v3, off, s[0:3], s32 offset:204 ; 4-byte Folded Spill
	v_cmpx_ne_u32_e32 0x7f, v2
	s_cbranch_execz .LBB239_801
; %bb.798:                              ;   in Loop: Header=BB239_16 Depth=1
	v_and_b32_e32 v118, 7, v1
	v_lshrrev_b32_e32 v1, 3, v2
	s_mov_b32 s26, exec_lo
	v_cmpx_gt_u32_e32 8, v2
; %bb.799:                              ;   in Loop: Header=BB239_16 Depth=1
	v_ffbh_u32_e32 v1, v118
	v_min_u32_e32 v1, 32, v1
	v_subrev_nc_u32_e32 v2, 28, v1
	v_sub_nc_u32_e32 v1, 29, v1
	v_lshlrev_b64 v[2:3], v2, v[118:119]
	v_and_b32_e32 v118, 7, v2
; %bb.800:                              ;   in Loop: Header=BB239_16 Depth=1
	s_or_b32 exec_lo, exec_lo, s26
	v_lshlrev_b32_e32 v2, 16, v0
	v_lshlrev_b32_e32 v3, 20, v118
	v_lshl_add_u32 v1, v1, 23, 0x3c000000
	v_mov_b32_e32 v94, v119
	v_and_b32_e32 v2, 0x80000000, v2
	v_or3_b32 v95, v3, v2, v1
.LBB239_801:                            ;   in Loop: Header=BB239_16 Depth=1
	s_or_b32 exec_lo, exec_lo, s25
.LBB239_802:                            ;   in Loop: Header=BB239_16 Depth=1
	s_or_b32 exec_lo, exec_lo, s24
.LBB239_803:                            ;   in Loop: Header=BB239_16 Depth=1
	s_or_b32 exec_lo, exec_lo, s23
	v_mov_b32_e32 v1, 0xff
	v_mov_b32_e32 v122, 0
	;; [unrolled: 1-line block ×5, first 2 shown]
	v_and_b32_sdwa v1, v0, v1 dst_sel:DWORD dst_unused:UNUSED_PAD src0_sel:WORD_1 src1_sel:DWORD
	s_mov_b32 s23, exec_lo
	v_cmpx_ne_u16_e32 0, v1
	s_cbranch_execz .LBB239_811
; %bb.804:                              ;   in Loop: Header=BB239_16 Depth=1
	v_bfrev_b32_e32 v104, 1
	v_mov_b32_e32 v105, 0
	s_mov_b32 s24, exec_lo
	v_cmpx_ne_u16_e32 0x80, v1
	s_cbranch_execz .LBB239_810
; %bb.805:                              ;   in Loop: Header=BB239_16 Depth=1
	v_mov_b32_e32 v104, 0x7f800001
	v_bfe_u32 v2, v0, 16, 7
	v_mov_b32_e32 v105, 0
	s_mov_b32 s25, exec_lo
	v_cmpx_ne_u32_e32 0x7f, v2
	s_cbranch_execz .LBB239_809
; %bb.806:                              ;   in Loop: Header=BB239_16 Depth=1
	v_mov_b32_e32 v1, 7
	s_mov_b32 s26, exec_lo
	v_and_b32_sdwa v118, v0, v1 dst_sel:DWORD dst_unused:UNUSED_PAD src0_sel:WORD_1 src1_sel:DWORD
	v_lshrrev_b32_e32 v1, 3, v2
	v_cmpx_gt_u32_e32 8, v2
; %bb.807:                              ;   in Loop: Header=BB239_16 Depth=1
	v_ffbh_u32_e32 v1, v118
	v_min_u32_e32 v1, 32, v1
	v_subrev_nc_u32_e32 v2, 28, v1
	v_sub_nc_u32_e32 v1, 29, v1
	v_lshlrev_b64 v[2:3], v2, v[118:119]
	v_and_b32_e32 v118, 7, v2
; %bb.808:                              ;   in Loop: Header=BB239_16 Depth=1
	s_or_b32 exec_lo, exec_lo, s26
	v_mov_b32_e32 v2, 24
	v_lshlrev_b32_e32 v3, 20, v118
	v_lshl_add_u32 v1, v1, 23, 0x3c000000
	v_lshlrev_b32_sdwa v2, v2, v0 dst_sel:DWORD dst_unused:UNUSED_PAD src0_sel:DWORD src1_sel:WORD_1
	v_and_b32_e32 v2, 0x80000000, v2
	v_or3_b32 v118, v3, v2, v1
	v_mov_b32_e32 v104, v118
	v_mov_b32_e32 v105, v119
.LBB239_809:                            ;   in Loop: Header=BB239_16 Depth=1
	s_or_b32 exec_lo, exec_lo, s25
.LBB239_810:                            ;   in Loop: Header=BB239_16 Depth=1
	s_or_b32 exec_lo, exec_lo, s24
.LBB239_811:                            ;   in Loop: Header=BB239_16 Depth=1
	s_or_b32 exec_lo, exec_lo, s23
	s_mov_b32 s23, exec_lo
	v_cmpx_lt_u32_e32 0xffffff, v0
	s_cbranch_execz .LBB239_819
; %bb.812:                              ;   in Loop: Header=BB239_16 Depth=1
	v_mov_b32_e32 v50, v119
	v_mov_b32_e32 v1, 0x80
	;; [unrolled: 1-line block ×4, first 2 shown]
	v_cmp_ne_u32_sdwa s5, v0, v1 src0_sel:BYTE_3 src1_sel:DWORD
	s_and_saveexec_b32 s24, s5
	s_cbranch_execz .LBB239_818
; %bb.813:                              ;   in Loop: Header=BB239_16 Depth=1
	s_clause 0x1
	buffer_load_dword v122, off, s[0:3], s32 offset:200
	buffer_load_dword v123, off, s[0:3], s32 offset:204
	v_bfe_u32 v2, v0, 24, 7
	s_waitcnt vmcnt(1)
	v_mov_b32_e32 v122, v119
	s_mov_b32 s25, exec_lo
	s_waitcnt vmcnt(0)
	v_mov_b32_e32 v1, v123
	buffer_store_dword v0, off, s[0:3], s32 offset:200 ; 4-byte Folded Spill
	buffer_store_dword v1, off, s[0:3], s32 offset:204 ; 4-byte Folded Spill
	v_cmpx_ne_u32_e32 0x7f, v2
	s_cbranch_execz .LBB239_817
; %bb.814:                              ;   in Loop: Header=BB239_16 Depth=1
	v_mov_b32_e32 v1, 7
	s_mov_b32 s26, exec_lo
	v_and_b32_sdwa v118, v0, v1 dst_sel:DWORD dst_unused:UNUSED_PAD src0_sel:BYTE_3 src1_sel:DWORD
	v_lshrrev_b32_e32 v1, 3, v2
	v_cmpx_gt_u32_e32 8, v2
; %bb.815:                              ;   in Loop: Header=BB239_16 Depth=1
	v_ffbh_u32_e32 v1, v118
	v_min_u32_e32 v1, 32, v1
	v_subrev_nc_u32_e32 v2, 28, v1
	v_sub_nc_u32_e32 v1, 29, v1
	v_lshlrev_b64 v[2:3], v2, v[118:119]
	v_and_b32_e32 v118, 7, v2
; %bb.816:                              ;   in Loop: Header=BB239_16 Depth=1
	s_or_b32 exec_lo, exec_lo, s26
	v_mov_b32_e32 v2, 24
	v_lshl_add_u32 v1, v1, 23, 0x3c000000
	v_mov_b32_e32 v122, v119
	v_lshlrev_b32_sdwa v0, v2, v0 dst_sel:DWORD dst_unused:UNUSED_PAD src0_sel:DWORD src1_sel:BYTE_3
	v_lshlrev_b32_e32 v2, 20, v118
	v_and_b32_e32 v0, 0x80000000, v0
	v_or3_b32 v123, v2, v0, v1
.LBB239_817:                            ;   in Loop: Header=BB239_16 Depth=1
	s_or_b32 exec_lo, exec_lo, s25
.LBB239_818:                            ;   in Loop: Header=BB239_16 Depth=1
	s_or_b32 exec_lo, exec_lo, s24
.LBB239_819:                            ;   in Loop: Header=BB239_16 Depth=1
	s_or_b32 exec_lo, exec_lo, s23
	flat_load_dword v0, v[100:101] offset:1028
	v_mov_b32_e32 v110, 0
	v_mov_b32_e32 v124, 0
	v_mov_b32_e32 v111, 0
	v_mov_b32_e32 v125, 0
	s_waitcnt vmcnt(0) lgkmcnt(0)
	v_cmp_ne_u16_sdwa s5, v0, v119 src0_sel:BYTE_0 src1_sel:DWORD
	s_and_saveexec_b32 s23, s5
	s_cbranch_execz .LBB239_827
; %bb.820:                              ;   in Loop: Header=BB239_16 Depth=1
	v_mov_b32_e32 v1, 0x80
	v_bfrev_b32_e32 v124, 1
	v_mov_b32_e32 v125, 0
	v_cmp_ne_u16_sdwa s5, v0, v1 src0_sel:BYTE_0 src1_sel:DWORD
	s_and_saveexec_b32 s24, s5
	s_cbranch_execz .LBB239_826
; %bb.821:                              ;   in Loop: Header=BB239_16 Depth=1
	v_mov_b32_e32 v124, 0x7f800001
	v_and_b32_e32 v2, 0x7f, v0
	v_mov_b32_e32 v125, 0
	s_mov_b32 s25, exec_lo
	v_cmpx_ne_u32_e32 0x7f, v2
	s_cbranch_execz .LBB239_825
; %bb.822:                              ;   in Loop: Header=BB239_16 Depth=1
	v_and_b32_e32 v118, 7, v0
	v_lshrrev_b32_e32 v1, 3, v2
	s_mov_b32 s26, exec_lo
	v_cmpx_gt_u32_e32 8, v2
; %bb.823:                              ;   in Loop: Header=BB239_16 Depth=1
	v_ffbh_u32_e32 v1, v118
	v_min_u32_e32 v1, 32, v1
	v_subrev_nc_u32_e32 v2, 28, v1
	v_sub_nc_u32_e32 v1, 29, v1
	v_lshlrev_b64 v[2:3], v2, v[118:119]
	v_and_b32_e32 v118, 7, v2
; %bb.824:                              ;   in Loop: Header=BB239_16 Depth=1
	s_or_b32 exec_lo, exec_lo, s26
	v_lshlrev_b32_e32 v2, 24, v0
	v_lshlrev_b32_e32 v3, 20, v118
	v_lshl_add_u32 v1, v1, 23, 0x3c000000
	v_and_b32_e32 v2, 0x80000000, v2
	v_or3_b32 v118, v3, v2, v1
	v_mov_b32_e32 v125, v119
	v_mov_b32_e32 v124, v118
.LBB239_825:                            ;   in Loop: Header=BB239_16 Depth=1
	s_or_b32 exec_lo, exec_lo, s25
.LBB239_826:                            ;   in Loop: Header=BB239_16 Depth=1
	s_or_b32 exec_lo, exec_lo, s24
.LBB239_827:                            ;   in Loop: Header=BB239_16 Depth=1
	s_or_b32 exec_lo, exec_lo, s23
	v_cmp_ne_u16_sdwa s5, v0, v119 src0_sel:BYTE_1 src1_sel:DWORD
	s_and_saveexec_b32 s23, s5
	s_cbranch_execz .LBB239_835
; %bb.828:                              ;   in Loop: Header=BB239_16 Depth=1
	v_mov_b32_e32 v50, v119
	v_mov_b32_e32 v1, 0x80
	;; [unrolled: 1-line block ×4, first 2 shown]
	v_cmp_ne_u16_sdwa s5, v0, v1 src0_sel:BYTE_1 src1_sel:DWORD
	s_and_saveexec_b32 s24, s5
	s_cbranch_execz .LBB239_834
; %bb.829:                              ;   in Loop: Header=BB239_16 Depth=1
	s_clause 0x1
	buffer_load_dword v110, off, s[0:3], s32 offset:200
	buffer_load_dword v111, off, s[0:3], s32 offset:204
	v_mov_b32_e32 v1, 0xffff
	s_waitcnt vmcnt(1)
	v_mov_b32_e32 v110, v119
	s_mov_b32 s25, exec_lo
	v_and_b32_sdwa v1, v1, v0 dst_sel:DWORD dst_unused:UNUSED_PAD src0_sel:DWORD src1_sel:BYTE_1
	v_and_b32_e32 v2, 0x7f, v1
	s_waitcnt vmcnt(0)
	v_mov_b32_e32 v3, v111
	buffer_store_dword v2, off, s[0:3], s32 offset:200 ; 4-byte Folded Spill
	buffer_store_dword v3, off, s[0:3], s32 offset:204 ; 4-byte Folded Spill
	v_cmpx_ne_u32_e32 0x7f, v2
	s_cbranch_execz .LBB239_833
; %bb.830:                              ;   in Loop: Header=BB239_16 Depth=1
	v_and_b32_e32 v118, 7, v1
	v_lshrrev_b32_e32 v1, 3, v2
	s_mov_b32 s26, exec_lo
	v_cmpx_gt_u32_e32 8, v2
; %bb.831:                              ;   in Loop: Header=BB239_16 Depth=1
	v_ffbh_u32_e32 v1, v118
	v_min_u32_e32 v1, 32, v1
	v_subrev_nc_u32_e32 v2, 28, v1
	v_sub_nc_u32_e32 v1, 29, v1
	v_lshlrev_b64 v[2:3], v2, v[118:119]
	v_and_b32_e32 v118, 7, v2
; %bb.832:                              ;   in Loop: Header=BB239_16 Depth=1
	s_or_b32 exec_lo, exec_lo, s26
	v_lshlrev_b32_e32 v2, 16, v0
	v_lshlrev_b32_e32 v3, 20, v118
	v_lshl_add_u32 v1, v1, 23, 0x3c000000
	v_mov_b32_e32 v110, v119
	v_and_b32_e32 v2, 0x80000000, v2
	v_or3_b32 v111, v3, v2, v1
.LBB239_833:                            ;   in Loop: Header=BB239_16 Depth=1
	s_or_b32 exec_lo, exec_lo, s25
.LBB239_834:                            ;   in Loop: Header=BB239_16 Depth=1
	s_or_b32 exec_lo, exec_lo, s24
.LBB239_835:                            ;   in Loop: Header=BB239_16 Depth=1
	s_or_b32 exec_lo, exec_lo, s23
	v_mov_b32_e32 v1, 0xff
	v_mov_b32_e32 v24, 0
	;; [unrolled: 1-line block ×5, first 2 shown]
	v_and_b32_sdwa v1, v0, v1 dst_sel:DWORD dst_unused:UNUSED_PAD src0_sel:WORD_1 src1_sel:DWORD
	s_mov_b32 s23, exec_lo
	v_cmpx_ne_u16_e32 0, v1
	s_cbranch_execz .LBB239_843
; %bb.836:                              ;   in Loop: Header=BB239_16 Depth=1
	v_bfrev_b32_e32 v120, 1
	v_mov_b32_e32 v121, 0
	s_mov_b32 s24, exec_lo
	v_cmpx_ne_u16_e32 0x80, v1
	s_cbranch_execz .LBB239_842
; %bb.837:                              ;   in Loop: Header=BB239_16 Depth=1
	v_mov_b32_e32 v120, 0x7f800001
	v_bfe_u32 v2, v0, 16, 7
	v_mov_b32_e32 v121, 0
	s_mov_b32 s25, exec_lo
	v_cmpx_ne_u32_e32 0x7f, v2
	s_cbranch_execz .LBB239_841
; %bb.838:                              ;   in Loop: Header=BB239_16 Depth=1
	v_mov_b32_e32 v1, 7
	s_mov_b32 s26, exec_lo
	v_and_b32_sdwa v118, v0, v1 dst_sel:DWORD dst_unused:UNUSED_PAD src0_sel:WORD_1 src1_sel:DWORD
	v_lshrrev_b32_e32 v1, 3, v2
	v_cmpx_gt_u32_e32 8, v2
; %bb.839:                              ;   in Loop: Header=BB239_16 Depth=1
	v_ffbh_u32_e32 v1, v118
	v_min_u32_e32 v1, 32, v1
	v_subrev_nc_u32_e32 v2, 28, v1
	v_sub_nc_u32_e32 v1, 29, v1
	v_lshlrev_b64 v[2:3], v2, v[118:119]
	v_and_b32_e32 v118, 7, v2
; %bb.840:                              ;   in Loop: Header=BB239_16 Depth=1
	s_or_b32 exec_lo, exec_lo, s26
	v_mov_b32_e32 v2, 24
	v_lshlrev_b32_e32 v3, 20, v118
	v_lshl_add_u32 v1, v1, 23, 0x3c000000
	v_lshlrev_b32_sdwa v2, v2, v0 dst_sel:DWORD dst_unused:UNUSED_PAD src0_sel:DWORD src1_sel:WORD_1
	v_and_b32_e32 v2, 0x80000000, v2
	v_or3_b32 v118, v3, v2, v1
	v_mov_b32_e32 v121, v119
	v_mov_b32_e32 v120, v118
.LBB239_841:                            ;   in Loop: Header=BB239_16 Depth=1
	s_or_b32 exec_lo, exec_lo, s25
.LBB239_842:                            ;   in Loop: Header=BB239_16 Depth=1
	s_or_b32 exec_lo, exec_lo, s24
.LBB239_843:                            ;   in Loop: Header=BB239_16 Depth=1
	s_or_b32 exec_lo, exec_lo, s23
	s_mov_b32 s23, exec_lo
	v_cmpx_lt_u32_e32 0xffffff, v0
	s_cbranch_execz .LBB239_851
; %bb.844:                              ;   in Loop: Header=BB239_16 Depth=1
	v_mov_b32_e32 v50, v119
	v_mov_b32_e32 v1, 0x80
	v_mov_b32_e32 v24, v50
	v_cmp_ne_u32_sdwa s5, v0, v1 src0_sel:BYTE_3 src1_sel:DWORD
	v_mov_b32_e32 v25, v51
	s_and_saveexec_b32 s24, s5
	s_cbranch_execz .LBB239_850
; %bb.845:                              ;   in Loop: Header=BB239_16 Depth=1
	s_clause 0x1
	buffer_load_dword v24, off, s[0:3], s32 offset:200
	buffer_load_dword v25, off, s[0:3], s32 offset:204
	v_bfe_u32 v2, v0, 24, 7
	s_waitcnt vmcnt(1)
	v_mov_b32_e32 v24, v119
	s_mov_b32 s25, exec_lo
	s_waitcnt vmcnt(0)
	v_mov_b32_e32 v1, v25
	buffer_store_dword v0, off, s[0:3], s32 offset:200 ; 4-byte Folded Spill
	buffer_store_dword v1, off, s[0:3], s32 offset:204 ; 4-byte Folded Spill
	v_cmpx_ne_u32_e32 0x7f, v2
	s_cbranch_execz .LBB239_849
; %bb.846:                              ;   in Loop: Header=BB239_16 Depth=1
	v_mov_b32_e32 v1, 7
	s_mov_b32 s26, exec_lo
	v_and_b32_sdwa v118, v0, v1 dst_sel:DWORD dst_unused:UNUSED_PAD src0_sel:BYTE_3 src1_sel:DWORD
	v_lshrrev_b32_e32 v1, 3, v2
	v_cmpx_gt_u32_e32 8, v2
; %bb.847:                              ;   in Loop: Header=BB239_16 Depth=1
	v_ffbh_u32_e32 v1, v118
	v_min_u32_e32 v1, 32, v1
	v_subrev_nc_u32_e32 v2, 28, v1
	v_sub_nc_u32_e32 v1, 29, v1
	v_lshlrev_b64 v[2:3], v2, v[118:119]
	v_and_b32_e32 v118, 7, v2
; %bb.848:                              ;   in Loop: Header=BB239_16 Depth=1
	s_or_b32 exec_lo, exec_lo, s26
	v_mov_b32_e32 v2, 24
	v_lshl_add_u32 v1, v1, 23, 0x3c000000
	v_mov_b32_e32 v24, v119
	v_lshlrev_b32_sdwa v0, v2, v0 dst_sel:DWORD dst_unused:UNUSED_PAD src0_sel:DWORD src1_sel:BYTE_3
	v_lshlrev_b32_e32 v2, 20, v118
	v_and_b32_e32 v0, 0x80000000, v0
	v_or3_b32 v25, v2, v0, v1
.LBB239_849:                            ;   in Loop: Header=BB239_16 Depth=1
	s_or_b32 exec_lo, exec_lo, s25
.LBB239_850:                            ;   in Loop: Header=BB239_16 Depth=1
	s_or_b32 exec_lo, exec_lo, s24
.LBB239_851:                            ;   in Loop: Header=BB239_16 Depth=1
	s_or_b32 exec_lo, exec_lo, s23
	flat_load_dword v0, v[100:101] offset:1032
	v_mov_b32_e32 v126, 0
	v_mov_b32_e32 v26, 0
	;; [unrolled: 1-line block ×4, first 2 shown]
	s_waitcnt vmcnt(0) lgkmcnt(0)
	v_cmp_ne_u16_sdwa s5, v0, v119 src0_sel:BYTE_0 src1_sel:DWORD
	s_and_saveexec_b32 s23, s5
	s_cbranch_execz .LBB239_859
; %bb.852:                              ;   in Loop: Header=BB239_16 Depth=1
	v_mov_b32_e32 v1, 0x80
	v_bfrev_b32_e32 v26, 1
	v_mov_b32_e32 v27, 0
	v_cmp_ne_u16_sdwa s5, v0, v1 src0_sel:BYTE_0 src1_sel:DWORD
	s_and_saveexec_b32 s24, s5
	s_cbranch_execz .LBB239_858
; %bb.853:                              ;   in Loop: Header=BB239_16 Depth=1
	v_mov_b32_e32 v26, 0x7f800001
	v_and_b32_e32 v2, 0x7f, v0
	v_mov_b32_e32 v27, 0
	s_mov_b32 s25, exec_lo
	v_cmpx_ne_u32_e32 0x7f, v2
	s_cbranch_execz .LBB239_857
; %bb.854:                              ;   in Loop: Header=BB239_16 Depth=1
	v_and_b32_e32 v118, 7, v0
	v_lshrrev_b32_e32 v1, 3, v2
	s_mov_b32 s26, exec_lo
	v_cmpx_gt_u32_e32 8, v2
; %bb.855:                              ;   in Loop: Header=BB239_16 Depth=1
	v_ffbh_u32_e32 v1, v118
	v_min_u32_e32 v1, 32, v1
	v_subrev_nc_u32_e32 v2, 28, v1
	v_sub_nc_u32_e32 v1, 29, v1
	v_lshlrev_b64 v[2:3], v2, v[118:119]
	v_and_b32_e32 v118, 7, v2
; %bb.856:                              ;   in Loop: Header=BB239_16 Depth=1
	s_or_b32 exec_lo, exec_lo, s26
	v_lshlrev_b32_e32 v2, 24, v0
	v_lshlrev_b32_e32 v3, 20, v118
	v_lshl_add_u32 v1, v1, 23, 0x3c000000
	v_and_b32_e32 v2, 0x80000000, v2
	v_or3_b32 v118, v3, v2, v1
	v_mov_b32_e32 v26, v118
	v_mov_b32_e32 v27, v119
.LBB239_857:                            ;   in Loop: Header=BB239_16 Depth=1
	s_or_b32 exec_lo, exec_lo, s25
.LBB239_858:                            ;   in Loop: Header=BB239_16 Depth=1
	s_or_b32 exec_lo, exec_lo, s24
.LBB239_859:                            ;   in Loop: Header=BB239_16 Depth=1
	s_or_b32 exec_lo, exec_lo, s23
	v_cmp_ne_u16_sdwa s5, v0, v119 src0_sel:BYTE_1 src1_sel:DWORD
	s_and_saveexec_b32 s23, s5
	s_cbranch_execz .LBB239_867
; %bb.860:                              ;   in Loop: Header=BB239_16 Depth=1
	v_mov_b32_e32 v50, v119
	v_mov_b32_e32 v1, 0x80
	;; [unrolled: 1-line block ×4, first 2 shown]
	v_cmp_ne_u16_sdwa s5, v0, v1 src0_sel:BYTE_1 src1_sel:DWORD
	s_and_saveexec_b32 s24, s5
	s_cbranch_execz .LBB239_866
; %bb.861:                              ;   in Loop: Header=BB239_16 Depth=1
	s_clause 0x1
	buffer_load_dword v126, off, s[0:3], s32 offset:200
	buffer_load_dword v127, off, s[0:3], s32 offset:204
	v_mov_b32_e32 v1, 0xffff
	s_waitcnt vmcnt(1)
	v_mov_b32_e32 v126, v119
	s_mov_b32 s25, exec_lo
	v_and_b32_sdwa v1, v1, v0 dst_sel:DWORD dst_unused:UNUSED_PAD src0_sel:DWORD src1_sel:BYTE_1
	v_and_b32_e32 v2, 0x7f, v1
	s_waitcnt vmcnt(0)
	v_mov_b32_e32 v3, v127
	buffer_store_dword v2, off, s[0:3], s32 offset:200 ; 4-byte Folded Spill
	buffer_store_dword v3, off, s[0:3], s32 offset:204 ; 4-byte Folded Spill
	v_cmpx_ne_u32_e32 0x7f, v2
	s_cbranch_execz .LBB239_865
; %bb.862:                              ;   in Loop: Header=BB239_16 Depth=1
	v_and_b32_e32 v118, 7, v1
	v_lshrrev_b32_e32 v1, 3, v2
	s_mov_b32 s26, exec_lo
	v_cmpx_gt_u32_e32 8, v2
; %bb.863:                              ;   in Loop: Header=BB239_16 Depth=1
	v_ffbh_u32_e32 v1, v118
	v_min_u32_e32 v1, 32, v1
	v_subrev_nc_u32_e32 v2, 28, v1
	v_sub_nc_u32_e32 v1, 29, v1
	v_lshlrev_b64 v[2:3], v2, v[118:119]
	v_and_b32_e32 v118, 7, v2
; %bb.864:                              ;   in Loop: Header=BB239_16 Depth=1
	s_or_b32 exec_lo, exec_lo, s26
	v_lshlrev_b32_e32 v2, 16, v0
	v_lshlrev_b32_e32 v3, 20, v118
	v_lshl_add_u32 v1, v1, 23, 0x3c000000
	v_mov_b32_e32 v126, v119
	v_and_b32_e32 v2, 0x80000000, v2
	v_or3_b32 v127, v3, v2, v1
.LBB239_865:                            ;   in Loop: Header=BB239_16 Depth=1
	s_or_b32 exec_lo, exec_lo, s25
.LBB239_866:                            ;   in Loop: Header=BB239_16 Depth=1
	s_or_b32 exec_lo, exec_lo, s24
.LBB239_867:                            ;   in Loop: Header=BB239_16 Depth=1
	s_or_b32 exec_lo, exec_lo, s23
	v_mov_b32_e32 v1, 0xff
	v_mov_b32_e32 v8, 0
	;; [unrolled: 1-line block ×5, first 2 shown]
	v_and_b32_sdwa v1, v0, v1 dst_sel:DWORD dst_unused:UNUSED_PAD src0_sel:WORD_1 src1_sel:DWORD
	s_mov_b32 s23, exec_lo
	v_cmpx_ne_u16_e32 0, v1
	s_cbranch_execz .LBB239_875
; %bb.868:                              ;   in Loop: Header=BB239_16 Depth=1
	v_bfrev_b32_e32 v84, 1
	v_mov_b32_e32 v85, 0
	s_mov_b32 s24, exec_lo
	v_cmpx_ne_u16_e32 0x80, v1
	s_cbranch_execz .LBB239_874
; %bb.869:                              ;   in Loop: Header=BB239_16 Depth=1
	v_mov_b32_e32 v84, 0x7f800001
	v_bfe_u32 v2, v0, 16, 7
	v_mov_b32_e32 v85, 0
	s_mov_b32 s25, exec_lo
	v_cmpx_ne_u32_e32 0x7f, v2
	s_cbranch_execz .LBB239_873
; %bb.870:                              ;   in Loop: Header=BB239_16 Depth=1
	v_mov_b32_e32 v1, 7
	s_mov_b32 s26, exec_lo
	v_and_b32_sdwa v118, v0, v1 dst_sel:DWORD dst_unused:UNUSED_PAD src0_sel:WORD_1 src1_sel:DWORD
	v_lshrrev_b32_e32 v1, 3, v2
	v_cmpx_gt_u32_e32 8, v2
; %bb.871:                              ;   in Loop: Header=BB239_16 Depth=1
	v_ffbh_u32_e32 v1, v118
	v_min_u32_e32 v1, 32, v1
	v_subrev_nc_u32_e32 v2, 28, v1
	v_sub_nc_u32_e32 v1, 29, v1
	v_lshlrev_b64 v[2:3], v2, v[118:119]
	v_and_b32_e32 v118, 7, v2
; %bb.872:                              ;   in Loop: Header=BB239_16 Depth=1
	s_or_b32 exec_lo, exec_lo, s26
	v_mov_b32_e32 v2, 24
	v_lshlrev_b32_e32 v3, 20, v118
	v_lshl_add_u32 v1, v1, 23, 0x3c000000
	v_lshlrev_b32_sdwa v2, v2, v0 dst_sel:DWORD dst_unused:UNUSED_PAD src0_sel:DWORD src1_sel:WORD_1
	v_and_b32_e32 v2, 0x80000000, v2
	v_or3_b32 v118, v3, v2, v1
	v_mov_b32_e32 v84, v118
	v_mov_b32_e32 v85, v119
.LBB239_873:                            ;   in Loop: Header=BB239_16 Depth=1
	s_or_b32 exec_lo, exec_lo, s25
.LBB239_874:                            ;   in Loop: Header=BB239_16 Depth=1
	s_or_b32 exec_lo, exec_lo, s24
.LBB239_875:                            ;   in Loop: Header=BB239_16 Depth=1
	s_or_b32 exec_lo, exec_lo, s23
	s_mov_b32 s23, exec_lo
	v_cmpx_lt_u32_e32 0xffffff, v0
	s_cbranch_execz .LBB239_883
; %bb.876:                              ;   in Loop: Header=BB239_16 Depth=1
	v_mov_b32_e32 v50, v119
	v_mov_b32_e32 v1, 0x80
	;; [unrolled: 1-line block ×3, first 2 shown]
	v_cmp_ne_u32_sdwa s5, v0, v1 src0_sel:BYTE_3 src1_sel:DWORD
	v_mov_b32_e32 v9, v51
	s_and_saveexec_b32 s24, s5
	s_cbranch_execz .LBB239_882
; %bb.877:                              ;   in Loop: Header=BB239_16 Depth=1
	s_clause 0x1
	buffer_load_dword v8, off, s[0:3], s32 offset:200
	buffer_load_dword v9, off, s[0:3], s32 offset:204
	v_bfe_u32 v2, v0, 24, 7
	s_waitcnt vmcnt(1)
	v_mov_b32_e32 v8, v119
	s_mov_b32 s25, exec_lo
	s_waitcnt vmcnt(0)
	v_mov_b32_e32 v1, v9
	buffer_store_dword v0, off, s[0:3], s32 offset:200 ; 4-byte Folded Spill
	buffer_store_dword v1, off, s[0:3], s32 offset:204 ; 4-byte Folded Spill
	v_cmpx_ne_u32_e32 0x7f, v2
	s_cbranch_execz .LBB239_881
; %bb.878:                              ;   in Loop: Header=BB239_16 Depth=1
	v_mov_b32_e32 v1, 7
	s_mov_b32 s26, exec_lo
	v_and_b32_sdwa v118, v0, v1 dst_sel:DWORD dst_unused:UNUSED_PAD src0_sel:BYTE_3 src1_sel:DWORD
	v_lshrrev_b32_e32 v1, 3, v2
	v_cmpx_gt_u32_e32 8, v2
; %bb.879:                              ;   in Loop: Header=BB239_16 Depth=1
	v_ffbh_u32_e32 v1, v118
	v_min_u32_e32 v1, 32, v1
	v_subrev_nc_u32_e32 v2, 28, v1
	v_sub_nc_u32_e32 v1, 29, v1
	v_lshlrev_b64 v[2:3], v2, v[118:119]
	v_and_b32_e32 v118, 7, v2
; %bb.880:                              ;   in Loop: Header=BB239_16 Depth=1
	s_or_b32 exec_lo, exec_lo, s26
	v_mov_b32_e32 v2, 24
	v_lshl_add_u32 v1, v1, 23, 0x3c000000
	v_mov_b32_e32 v8, v119
	v_lshlrev_b32_sdwa v0, v2, v0 dst_sel:DWORD dst_unused:UNUSED_PAD src0_sel:DWORD src1_sel:BYTE_3
	v_lshlrev_b32_e32 v2, 20, v118
	v_and_b32_e32 v0, 0x80000000, v0
	v_or3_b32 v9, v2, v0, v1
.LBB239_881:                            ;   in Loop: Header=BB239_16 Depth=1
	s_or_b32 exec_lo, exec_lo, s25
.LBB239_882:                            ;   in Loop: Header=BB239_16 Depth=1
	s_or_b32 exec_lo, exec_lo, s24
.LBB239_883:                            ;   in Loop: Header=BB239_16 Depth=1
	s_or_b32 exec_lo, exec_lo, s23
	flat_load_dword v0, v[100:101] offset:1036
	v_mov_b32_e32 v28, 0
	v_mov_b32_e32 v32, 0
	;; [unrolled: 1-line block ×4, first 2 shown]
	s_waitcnt vmcnt(0) lgkmcnt(0)
	v_cmp_ne_u16_sdwa s5, v0, v119 src0_sel:BYTE_0 src1_sel:DWORD
	s_and_saveexec_b32 s23, s5
	s_cbranch_execz .LBB239_891
; %bb.884:                              ;   in Loop: Header=BB239_16 Depth=1
	v_mov_b32_e32 v1, 0x80
	v_bfrev_b32_e32 v32, 1
	v_mov_b32_e32 v33, 0
	v_cmp_ne_u16_sdwa s5, v0, v1 src0_sel:BYTE_0 src1_sel:DWORD
	s_and_saveexec_b32 s24, s5
	s_cbranch_execz .LBB239_890
; %bb.885:                              ;   in Loop: Header=BB239_16 Depth=1
	v_mov_b32_e32 v32, 0x7f800001
	v_and_b32_e32 v2, 0x7f, v0
	v_mov_b32_e32 v33, 0
	s_mov_b32 s25, exec_lo
	v_cmpx_ne_u32_e32 0x7f, v2
	s_cbranch_execz .LBB239_889
; %bb.886:                              ;   in Loop: Header=BB239_16 Depth=1
	v_and_b32_e32 v118, 7, v0
	v_lshrrev_b32_e32 v1, 3, v2
	s_mov_b32 s26, exec_lo
	v_cmpx_gt_u32_e32 8, v2
; %bb.887:                              ;   in Loop: Header=BB239_16 Depth=1
	v_ffbh_u32_e32 v1, v118
	v_min_u32_e32 v1, 32, v1
	v_subrev_nc_u32_e32 v2, 28, v1
	v_sub_nc_u32_e32 v1, 29, v1
	v_lshlrev_b64 v[2:3], v2, v[118:119]
	v_and_b32_e32 v118, 7, v2
; %bb.888:                              ;   in Loop: Header=BB239_16 Depth=1
	s_or_b32 exec_lo, exec_lo, s26
	v_lshlrev_b32_e32 v2, 24, v0
	v_lshlrev_b32_e32 v3, 20, v118
	v_lshl_add_u32 v1, v1, 23, 0x3c000000
	v_and_b32_e32 v2, 0x80000000, v2
	v_or3_b32 v118, v3, v2, v1
	v_mov_b32_e32 v32, v118
	v_mov_b32_e32 v33, v119
.LBB239_889:                            ;   in Loop: Header=BB239_16 Depth=1
	s_or_b32 exec_lo, exec_lo, s25
.LBB239_890:                            ;   in Loop: Header=BB239_16 Depth=1
	s_or_b32 exec_lo, exec_lo, s24
.LBB239_891:                            ;   in Loop: Header=BB239_16 Depth=1
	s_or_b32 exec_lo, exec_lo, s23
	v_cmp_ne_u16_sdwa s5, v0, v119 src0_sel:BYTE_1 src1_sel:DWORD
	s_and_saveexec_b32 s23, s5
	s_cbranch_execz .LBB239_899
; %bb.892:                              ;   in Loop: Header=BB239_16 Depth=1
	v_mov_b32_e32 v50, v119
	v_mov_b32_e32 v1, 0x80
	;; [unrolled: 1-line block ×3, first 2 shown]
	v_cmp_ne_u16_sdwa s5, v0, v1 src0_sel:BYTE_1 src1_sel:DWORD
	v_mov_b32_e32 v29, v51
	s_and_saveexec_b32 s24, s5
	s_cbranch_execz .LBB239_898
; %bb.893:                              ;   in Loop: Header=BB239_16 Depth=1
	s_clause 0x1
	buffer_load_dword v28, off, s[0:3], s32 offset:200
	buffer_load_dword v29, off, s[0:3], s32 offset:204
	v_mov_b32_e32 v1, 0xffff
	s_waitcnt vmcnt(1)
	v_mov_b32_e32 v28, v119
	s_mov_b32 s25, exec_lo
	v_and_b32_sdwa v1, v1, v0 dst_sel:DWORD dst_unused:UNUSED_PAD src0_sel:DWORD src1_sel:BYTE_1
	v_and_b32_e32 v2, 0x7f, v1
	s_waitcnt vmcnt(0)
	v_mov_b32_e32 v3, v29
	buffer_store_dword v2, off, s[0:3], s32 offset:200 ; 4-byte Folded Spill
	buffer_store_dword v3, off, s[0:3], s32 offset:204 ; 4-byte Folded Spill
	v_cmpx_ne_u32_e32 0x7f, v2
	s_cbranch_execz .LBB239_897
; %bb.894:                              ;   in Loop: Header=BB239_16 Depth=1
	v_and_b32_e32 v118, 7, v1
	v_lshrrev_b32_e32 v1, 3, v2
	s_mov_b32 s26, exec_lo
	v_cmpx_gt_u32_e32 8, v2
; %bb.895:                              ;   in Loop: Header=BB239_16 Depth=1
	v_ffbh_u32_e32 v1, v118
	v_min_u32_e32 v1, 32, v1
	v_subrev_nc_u32_e32 v2, 28, v1
	v_sub_nc_u32_e32 v1, 29, v1
	v_lshlrev_b64 v[2:3], v2, v[118:119]
	v_and_b32_e32 v118, 7, v2
; %bb.896:                              ;   in Loop: Header=BB239_16 Depth=1
	s_or_b32 exec_lo, exec_lo, s26
	v_lshlrev_b32_e32 v2, 16, v0
	v_lshlrev_b32_e32 v3, 20, v118
	v_lshl_add_u32 v1, v1, 23, 0x3c000000
	v_mov_b32_e32 v28, v119
	v_and_b32_e32 v2, 0x80000000, v2
	v_or3_b32 v29, v3, v2, v1
.LBB239_897:                            ;   in Loop: Header=BB239_16 Depth=1
	s_or_b32 exec_lo, exec_lo, s25
.LBB239_898:                            ;   in Loop: Header=BB239_16 Depth=1
	s_or_b32 exec_lo, exec_lo, s24
.LBB239_899:                            ;   in Loop: Header=BB239_16 Depth=1
	s_or_b32 exec_lo, exec_lo, s23
	v_mov_b32_e32 v1, 0xff
	v_mov_b32_e32 v2, 0
	;; [unrolled: 1-line block ×5, first 2 shown]
	v_and_b32_sdwa v1, v0, v1 dst_sel:DWORD dst_unused:UNUSED_PAD src0_sel:WORD_1 src1_sel:DWORD
	s_mov_b32 s23, exec_lo
	v_cmpx_ne_u16_e32 0, v1
	s_cbranch_execz .LBB239_907
; %bb.900:                              ;   in Loop: Header=BB239_16 Depth=1
	v_bfrev_b32_e32 v20, 1
	v_mov_b32_e32 v21, 0
	s_mov_b32 s24, exec_lo
	v_cmpx_ne_u16_e32 0x80, v1
	s_cbranch_execz .LBB239_906
; %bb.901:                              ;   in Loop: Header=BB239_16 Depth=1
	v_mov_b32_e32 v20, 0x7f800001
	v_bfe_u32 v4, v0, 16, 7
	v_mov_b32_e32 v21, 0
	s_mov_b32 s25, exec_lo
	v_cmpx_ne_u32_e32 0x7f, v4
	s_cbranch_execz .LBB239_905
; %bb.902:                              ;   in Loop: Header=BB239_16 Depth=1
	v_mov_b32_e32 v1, 7
	s_mov_b32 s26, exec_lo
	v_and_b32_sdwa v118, v0, v1 dst_sel:DWORD dst_unused:UNUSED_PAD src0_sel:WORD_1 src1_sel:DWORD
	v_lshrrev_b32_e32 v1, 3, v4
	v_cmpx_gt_u32_e32 8, v4
; %bb.903:                              ;   in Loop: Header=BB239_16 Depth=1
	v_ffbh_u32_e32 v1, v118
	v_min_u32_e32 v1, 32, v1
	v_subrev_nc_u32_e32 v4, 28, v1
	v_sub_nc_u32_e32 v1, 29, v1
	v_lshlrev_b64 v[4:5], v4, v[118:119]
	v_and_b32_e32 v118, 7, v4
; %bb.904:                              ;   in Loop: Header=BB239_16 Depth=1
	s_or_b32 exec_lo, exec_lo, s26
	v_mov_b32_e32 v4, 24
	v_lshlrev_b32_e32 v5, 20, v118
	v_lshl_add_u32 v1, v1, 23, 0x3c000000
	v_lshlrev_b32_sdwa v4, v4, v0 dst_sel:DWORD dst_unused:UNUSED_PAD src0_sel:DWORD src1_sel:WORD_1
	v_and_b32_e32 v4, 0x80000000, v4
	v_or3_b32 v118, v5, v4, v1
	v_mov_b32_e32 v20, v118
	v_mov_b32_e32 v21, v119
.LBB239_905:                            ;   in Loop: Header=BB239_16 Depth=1
	s_or_b32 exec_lo, exec_lo, s25
.LBB239_906:                            ;   in Loop: Header=BB239_16 Depth=1
	s_or_b32 exec_lo, exec_lo, s24
.LBB239_907:                            ;   in Loop: Header=BB239_16 Depth=1
	s_or_b32 exec_lo, exec_lo, s23
	s_mov_b32 s23, exec_lo
	v_cmpx_lt_u32_e32 0xffffff, v0
	s_cbranch_execz .LBB239_915
; %bb.908:                              ;   in Loop: Header=BB239_16 Depth=1
	v_mov_b32_e32 v50, v119
	v_mov_b32_e32 v1, 0x80
	;; [unrolled: 1-line block ×3, first 2 shown]
	v_cmp_ne_u32_sdwa s5, v0, v1 src0_sel:BYTE_3 src1_sel:DWORD
	v_mov_b32_e32 v3, v51
	s_and_saveexec_b32 s24, s5
	s_cbranch_execz .LBB239_914
; %bb.909:                              ;   in Loop: Header=BB239_16 Depth=1
	s_clause 0x1
	buffer_load_dword v1, off, s[0:3], s32 offset:200
	buffer_load_dword v2, off, s[0:3], s32 offset:204
	v_bfe_u32 v4, v0, 24, 7
	s_mov_b32 s25, exec_lo
	s_waitcnt vmcnt(0)
	v_mov_b32_e32 v3, v2
	v_mov_b32_e32 v2, v119
	;; [unrolled: 1-line block ×3, first 2 shown]
	buffer_store_dword v0, off, s[0:3], s32 offset:200 ; 4-byte Folded Spill
	buffer_store_dword v1, off, s[0:3], s32 offset:204 ; 4-byte Folded Spill
	v_cmpx_ne_u32_e32 0x7f, v4
	s_cbranch_execz .LBB239_913
; %bb.910:                              ;   in Loop: Header=BB239_16 Depth=1
	v_mov_b32_e32 v1, 7
	s_mov_b32 s26, exec_lo
	v_and_b32_sdwa v118, v0, v1 dst_sel:DWORD dst_unused:UNUSED_PAD src0_sel:BYTE_3 src1_sel:DWORD
	v_lshrrev_b32_e32 v1, 3, v4
	v_cmpx_gt_u32_e32 8, v4
; %bb.911:                              ;   in Loop: Header=BB239_16 Depth=1
	v_ffbh_u32_e32 v1, v118
	v_min_u32_e32 v1, 32, v1
	v_subrev_nc_u32_e32 v2, 28, v1
	v_sub_nc_u32_e32 v1, 29, v1
	v_lshlrev_b64 v[2:3], v2, v[118:119]
	v_and_b32_e32 v118, 7, v2
; %bb.912:                              ;   in Loop: Header=BB239_16 Depth=1
	s_or_b32 exec_lo, exec_lo, s26
	v_mov_b32_e32 v2, 24
	v_lshl_add_u32 v1, v1, 23, 0x3c000000
	v_lshlrev_b32_sdwa v0, v2, v0 dst_sel:DWORD dst_unused:UNUSED_PAD src0_sel:DWORD src1_sel:BYTE_3
	v_lshlrev_b32_e32 v2, 20, v118
	v_and_b32_e32 v0, 0x80000000, v0
	v_or3_b32 v3, v2, v0, v1
	v_mov_b32_e32 v2, v119
.LBB239_913:                            ;   in Loop: Header=BB239_16 Depth=1
	s_or_b32 exec_lo, exec_lo, s25
.LBB239_914:                            ;   in Loop: Header=BB239_16 Depth=1
	s_or_b32 exec_lo, exec_lo, s24
.LBB239_915:                            ;   in Loop: Header=BB239_16 Depth=1
	s_or_b32 exec_lo, exec_lo, s23
	flat_load_dword v0, v[100:101] offset:1536
	v_mov_b32_e32 v22, 0
	v_mov_b32_e32 v4, 0
	;; [unrolled: 1-line block ×4, first 2 shown]
	s_waitcnt vmcnt(0) lgkmcnt(0)
	v_cmp_ne_u16_sdwa s5, v0, v119 src0_sel:BYTE_0 src1_sel:DWORD
	s_and_saveexec_b32 s23, s5
	s_cbranch_execz .LBB239_923
; %bb.916:                              ;   in Loop: Header=BB239_16 Depth=1
	v_mov_b32_e32 v1, 0x80
	v_bfrev_b32_e32 v4, 1
	v_mov_b32_e32 v5, 0
	v_cmp_ne_u16_sdwa s5, v0, v1 src0_sel:BYTE_0 src1_sel:DWORD
	s_and_saveexec_b32 s24, s5
	s_cbranch_execz .LBB239_922
; %bb.917:                              ;   in Loop: Header=BB239_16 Depth=1
	v_mov_b32_e32 v4, 0x7f800001
	v_and_b32_e32 v10, 0x7f, v0
	v_mov_b32_e32 v5, 0
	s_mov_b32 s25, exec_lo
	v_cmpx_ne_u32_e32 0x7f, v10
	s_cbranch_execz .LBB239_921
; %bb.918:                              ;   in Loop: Header=BB239_16 Depth=1
	v_and_b32_e32 v118, 7, v0
	v_lshrrev_b32_e32 v1, 3, v10
	s_mov_b32 s26, exec_lo
	v_cmpx_gt_u32_e32 8, v10
; %bb.919:                              ;   in Loop: Header=BB239_16 Depth=1
	v_ffbh_u32_e32 v1, v118
	v_min_u32_e32 v1, 32, v1
	v_subrev_nc_u32_e32 v4, 28, v1
	v_sub_nc_u32_e32 v1, 29, v1
	v_lshlrev_b64 v[4:5], v4, v[118:119]
	v_and_b32_e32 v118, 7, v4
; %bb.920:                              ;   in Loop: Header=BB239_16 Depth=1
	s_or_b32 exec_lo, exec_lo, s26
	v_lshlrev_b32_e32 v4, 24, v0
	v_lshlrev_b32_e32 v5, 20, v118
	v_lshl_add_u32 v1, v1, 23, 0x3c000000
	v_and_b32_e32 v4, 0x80000000, v4
	v_or3_b32 v118, v5, v4, v1
	v_mov_b32_e32 v4, v118
	v_mov_b32_e32 v5, v119
.LBB239_921:                            ;   in Loop: Header=BB239_16 Depth=1
	s_or_b32 exec_lo, exec_lo, s25
.LBB239_922:                            ;   in Loop: Header=BB239_16 Depth=1
	s_or_b32 exec_lo, exec_lo, s24
.LBB239_923:                            ;   in Loop: Header=BB239_16 Depth=1
	s_or_b32 exec_lo, exec_lo, s23
	v_cmp_ne_u16_sdwa s5, v0, v119 src0_sel:BYTE_1 src1_sel:DWORD
	s_and_saveexec_b32 s23, s5
	s_cbranch_execz .LBB239_931
; %bb.924:                              ;   in Loop: Header=BB239_16 Depth=1
	v_mov_b32_e32 v50, v119
	v_mov_b32_e32 v1, 0x80
	;; [unrolled: 1-line block ×3, first 2 shown]
	v_cmp_ne_u16_sdwa s5, v0, v1 src0_sel:BYTE_1 src1_sel:DWORD
	v_mov_b32_e32 v23, v51
	s_and_saveexec_b32 s24, s5
	s_cbranch_execz .LBB239_930
; %bb.925:                              ;   in Loop: Header=BB239_16 Depth=1
	s_clause 0x1
	buffer_load_dword v22, off, s[0:3], s32 offset:200
	buffer_load_dword v23, off, s[0:3], s32 offset:204
	v_mov_b32_e32 v1, 0xffff
	s_waitcnt vmcnt(1)
	v_mov_b32_e32 v22, v119
	s_mov_b32 s25, exec_lo
	v_and_b32_sdwa v1, v1, v0 dst_sel:DWORD dst_unused:UNUSED_PAD src0_sel:DWORD src1_sel:BYTE_1
	v_and_b32_e32 v10, 0x7f, v1
	s_waitcnt vmcnt(0)
	v_mov_b32_e32 v11, v23
	buffer_store_dword v10, off, s[0:3], s32 offset:200 ; 4-byte Folded Spill
	buffer_store_dword v11, off, s[0:3], s32 offset:204 ; 4-byte Folded Spill
	v_cmpx_ne_u32_e32 0x7f, v10
	s_cbranch_execz .LBB239_929
; %bb.926:                              ;   in Loop: Header=BB239_16 Depth=1
	v_and_b32_e32 v118, 7, v1
	v_lshrrev_b32_e32 v1, 3, v10
	s_mov_b32 s26, exec_lo
	v_cmpx_gt_u32_e32 8, v10
; %bb.927:                              ;   in Loop: Header=BB239_16 Depth=1
	v_ffbh_u32_e32 v1, v118
	v_min_u32_e32 v1, 32, v1
	v_subrev_nc_u32_e32 v10, 28, v1
	v_sub_nc_u32_e32 v1, 29, v1
	v_lshlrev_b64 v[10:11], v10, v[118:119]
	v_and_b32_e32 v118, 7, v10
; %bb.928:                              ;   in Loop: Header=BB239_16 Depth=1
	s_or_b32 exec_lo, exec_lo, s26
	v_lshlrev_b32_e32 v10, 16, v0
	v_lshlrev_b32_e32 v11, 20, v118
	v_lshl_add_u32 v1, v1, 23, 0x3c000000
	v_mov_b32_e32 v22, v119
	v_and_b32_e32 v10, 0x80000000, v10
	v_or3_b32 v23, v11, v10, v1
.LBB239_929:                            ;   in Loop: Header=BB239_16 Depth=1
	s_or_b32 exec_lo, exec_lo, s25
.LBB239_930:                            ;   in Loop: Header=BB239_16 Depth=1
	s_or_b32 exec_lo, exec_lo, s24
.LBB239_931:                            ;   in Loop: Header=BB239_16 Depth=1
	s_or_b32 exec_lo, exec_lo, s23
	v_mov_b32_e32 v1, 0xff
	v_mov_b32_e32 v34, 0
	;; [unrolled: 1-line block ×5, first 2 shown]
	v_and_b32_sdwa v1, v0, v1 dst_sel:DWORD dst_unused:UNUSED_PAD src0_sel:WORD_1 src1_sel:DWORD
	s_mov_b32 s23, exec_lo
	v_cmpx_ne_u16_e32 0, v1
	s_cbranch_execz .LBB239_939
; %bb.932:                              ;   in Loop: Header=BB239_16 Depth=1
	v_bfrev_b32_e32 v66, 1
	v_mov_b32_e32 v67, 0
	s_mov_b32 s24, exec_lo
	v_cmpx_ne_u16_e32 0x80, v1
	s_cbranch_execz .LBB239_938
; %bb.933:                              ;   in Loop: Header=BB239_16 Depth=1
	v_mov_b32_e32 v66, 0x7f800001
	v_bfe_u32 v10, v0, 16, 7
	v_mov_b32_e32 v67, 0
	s_mov_b32 s25, exec_lo
	v_cmpx_ne_u32_e32 0x7f, v10
	s_cbranch_execz .LBB239_937
; %bb.934:                              ;   in Loop: Header=BB239_16 Depth=1
	v_mov_b32_e32 v1, 7
	s_mov_b32 s26, exec_lo
	v_and_b32_sdwa v118, v0, v1 dst_sel:DWORD dst_unused:UNUSED_PAD src0_sel:WORD_1 src1_sel:DWORD
	v_lshrrev_b32_e32 v1, 3, v10
	v_cmpx_gt_u32_e32 8, v10
; %bb.935:                              ;   in Loop: Header=BB239_16 Depth=1
	v_ffbh_u32_e32 v1, v118
	v_min_u32_e32 v1, 32, v1
	v_subrev_nc_u32_e32 v10, 28, v1
	v_sub_nc_u32_e32 v1, 29, v1
	v_lshlrev_b64 v[10:11], v10, v[118:119]
	v_and_b32_e32 v118, 7, v10
; %bb.936:                              ;   in Loop: Header=BB239_16 Depth=1
	s_or_b32 exec_lo, exec_lo, s26
	v_mov_b32_e32 v10, 24
	v_lshlrev_b32_e32 v11, 20, v118
	v_lshl_add_u32 v1, v1, 23, 0x3c000000
	v_lshlrev_b32_sdwa v10, v10, v0 dst_sel:DWORD dst_unused:UNUSED_PAD src0_sel:DWORD src1_sel:WORD_1
	v_and_b32_e32 v10, 0x80000000, v10
	v_or3_b32 v118, v11, v10, v1
	v_mov_b32_e32 v66, v118
	v_mov_b32_e32 v67, v119
.LBB239_937:                            ;   in Loop: Header=BB239_16 Depth=1
	s_or_b32 exec_lo, exec_lo, s25
.LBB239_938:                            ;   in Loop: Header=BB239_16 Depth=1
	s_or_b32 exec_lo, exec_lo, s24
.LBB239_939:                            ;   in Loop: Header=BB239_16 Depth=1
	s_or_b32 exec_lo, exec_lo, s23
	s_mov_b32 s23, exec_lo
	v_cmpx_lt_u32_e32 0xffffff, v0
	s_cbranch_execz .LBB239_947
; %bb.940:                              ;   in Loop: Header=BB239_16 Depth=1
	v_mov_b32_e32 v50, v119
	v_mov_b32_e32 v1, 0x80
	v_mov_b32_e32 v34, v50
	v_cmp_ne_u32_sdwa s5, v0, v1 src0_sel:BYTE_3 src1_sel:DWORD
	v_mov_b32_e32 v35, v51
	s_and_saveexec_b32 s24, s5
	s_cbranch_execz .LBB239_946
; %bb.941:                              ;   in Loop: Header=BB239_16 Depth=1
	s_clause 0x1
	buffer_load_dword v34, off, s[0:3], s32 offset:200
	buffer_load_dword v35, off, s[0:3], s32 offset:204
	v_bfe_u32 v10, v0, 24, 7
	s_waitcnt vmcnt(1)
	v_mov_b32_e32 v34, v119
	s_mov_b32 s25, exec_lo
	s_waitcnt vmcnt(0)
	v_mov_b32_e32 v1, v35
	buffer_store_dword v0, off, s[0:3], s32 offset:200 ; 4-byte Folded Spill
	buffer_store_dword v1, off, s[0:3], s32 offset:204 ; 4-byte Folded Spill
	v_cmpx_ne_u32_e32 0x7f, v10
	s_cbranch_execz .LBB239_945
; %bb.942:                              ;   in Loop: Header=BB239_16 Depth=1
	v_mov_b32_e32 v1, 7
	s_mov_b32 s26, exec_lo
	v_and_b32_sdwa v118, v0, v1 dst_sel:DWORD dst_unused:UNUSED_PAD src0_sel:BYTE_3 src1_sel:DWORD
	v_lshrrev_b32_e32 v1, 3, v10
	v_cmpx_gt_u32_e32 8, v10
; %bb.943:                              ;   in Loop: Header=BB239_16 Depth=1
	v_ffbh_u32_e32 v1, v118
	v_min_u32_e32 v1, 32, v1
	v_subrev_nc_u32_e32 v10, 28, v1
	v_sub_nc_u32_e32 v1, 29, v1
	v_lshlrev_b64 v[10:11], v10, v[118:119]
	v_and_b32_e32 v118, 7, v10
; %bb.944:                              ;   in Loop: Header=BB239_16 Depth=1
	s_or_b32 exec_lo, exec_lo, s26
	v_mov_b32_e32 v10, 24
	v_lshl_add_u32 v1, v1, 23, 0x3c000000
	v_mov_b32_e32 v34, v119
	v_lshlrev_b32_sdwa v0, v10, v0 dst_sel:DWORD dst_unused:UNUSED_PAD src0_sel:DWORD src1_sel:BYTE_3
	v_lshlrev_b32_e32 v10, 20, v118
	v_and_b32_e32 v0, 0x80000000, v0
	v_or3_b32 v35, v10, v0, v1
.LBB239_945:                            ;   in Loop: Header=BB239_16 Depth=1
	s_or_b32 exec_lo, exec_lo, s25
.LBB239_946:                            ;   in Loop: Header=BB239_16 Depth=1
	s_or_b32 exec_lo, exec_lo, s24
.LBB239_947:                            ;   in Loop: Header=BB239_16 Depth=1
	s_or_b32 exec_lo, exec_lo, s23
	flat_load_dword v30, v[100:101] offset:1540
	v_mov_b32_e32 v10, 0
	v_mov_b32_e32 v0, 0
	;; [unrolled: 1-line block ×4, first 2 shown]
	s_waitcnt vmcnt(0) lgkmcnt(0)
	v_cmp_ne_u16_sdwa s5, v30, v119 src0_sel:BYTE_0 src1_sel:DWORD
	s_and_saveexec_b32 s23, s5
	s_cbranch_execz .LBB239_955
; %bb.948:                              ;   in Loop: Header=BB239_16 Depth=1
	v_mov_b32_e32 v14, 0x80
	v_bfrev_b32_e32 v0, 1
	v_mov_b32_e32 v1, 0
	v_cmp_ne_u16_sdwa s5, v30, v14 src0_sel:BYTE_0 src1_sel:DWORD
	s_and_saveexec_b32 s24, s5
	s_cbranch_execz .LBB239_954
; %bb.949:                              ;   in Loop: Header=BB239_16 Depth=1
	v_mov_b32_e32 v0, 0x7f800001
	v_and_b32_e32 v18, 0x7f, v30
	v_mov_b32_e32 v1, 0
	s_mov_b32 s25, exec_lo
	v_cmpx_ne_u32_e32 0x7f, v18
	s_cbranch_execz .LBB239_953
; %bb.950:                              ;   in Loop: Header=BB239_16 Depth=1
	v_and_b32_e32 v118, 7, v30
	v_lshrrev_b32_e32 v0, 3, v18
	s_mov_b32 s26, exec_lo
	v_cmpx_gt_u32_e32 8, v18
; %bb.951:                              ;   in Loop: Header=BB239_16 Depth=1
	v_ffbh_u32_e32 v0, v118
	v_min_u32_e32 v0, 32, v0
	v_subrev_nc_u32_e32 v1, 28, v0
	v_sub_nc_u32_e32 v0, 29, v0
	v_lshlrev_b64 v[18:19], v1, v[118:119]
	v_and_b32_e32 v118, 7, v18
; %bb.952:                              ;   in Loop: Header=BB239_16 Depth=1
	s_or_b32 exec_lo, exec_lo, s26
	v_lshlrev_b32_e32 v1, 24, v30
	v_lshlrev_b32_e32 v14, 20, v118
	v_lshl_add_u32 v0, v0, 23, 0x3c000000
	v_and_b32_e32 v1, 0x80000000, v1
	v_or3_b32 v118, v14, v1, v0
	v_mov_b32_e32 v0, v118
	v_mov_b32_e32 v1, v119
.LBB239_953:                            ;   in Loop: Header=BB239_16 Depth=1
	s_or_b32 exec_lo, exec_lo, s25
.LBB239_954:                            ;   in Loop: Header=BB239_16 Depth=1
	s_or_b32 exec_lo, exec_lo, s24
.LBB239_955:                            ;   in Loop: Header=BB239_16 Depth=1
	s_or_b32 exec_lo, exec_lo, s23
	v_cmp_ne_u16_sdwa s5, v30, v119 src0_sel:BYTE_1 src1_sel:DWORD
	s_and_saveexec_b32 s23, s5
	s_cbranch_execz .LBB239_963
; %bb.956:                              ;   in Loop: Header=BB239_16 Depth=1
	v_mov_b32_e32 v50, v119
	v_mov_b32_e32 v10, 0x80
	v_cmp_ne_u16_sdwa s5, v30, v10 src0_sel:BYTE_1 src1_sel:DWORD
	v_mov_b32_e32 v10, v50
	v_mov_b32_e32 v11, v51
	s_and_saveexec_b32 s24, s5
	s_cbranch_execz .LBB239_962
; %bb.957:                              ;   in Loop: Header=BB239_16 Depth=1
	v_mov_b32_e32 v10, 0xffff
	v_mov_b32_e32 v15, v119
	s_mov_b32 s25, exec_lo
	v_and_b32_sdwa v14, v10, v30 dst_sel:DWORD dst_unused:UNUSED_PAD src0_sel:DWORD src1_sel:BYTE_1
	s_clause 0x1
	buffer_load_dword v10, off, s[0:3], s32 offset:200
	buffer_load_dword v11, off, s[0:3], s32 offset:204
	v_and_b32_e32 v18, 0x7f, v14
	s_waitcnt vmcnt(0)
	v_mov_b32_e32 v10, v11
	v_mov_b32_e32 v16, v11
	buffer_store_dword v9, off, s[0:3], s32 offset:200 ; 4-byte Folded Spill
	buffer_store_dword v10, off, s[0:3], s32 offset:204 ; 4-byte Folded Spill
	v_mov_b32_e32 v10, v15
	v_mov_b32_e32 v11, v16
	v_cmpx_ne_u32_e32 0x7f, v18
	s_cbranch_execz .LBB239_961
; %bb.958:                              ;   in Loop: Header=BB239_16 Depth=1
	v_and_b32_e32 v118, 7, v14
	v_lshrrev_b32_e32 v10, 3, v18
	s_mov_b32 s26, exec_lo
	v_cmpx_gt_u32_e32 8, v18
; %bb.959:                              ;   in Loop: Header=BB239_16 Depth=1
	v_ffbh_u32_e32 v10, v118
	v_min_u32_e32 v10, 32, v10
	v_subrev_nc_u32_e32 v11, 28, v10
	v_sub_nc_u32_e32 v10, 29, v10
	v_lshlrev_b64 v[18:19], v11, v[118:119]
	v_and_b32_e32 v118, 7, v18
; %bb.960:                              ;   in Loop: Header=BB239_16 Depth=1
	s_or_b32 exec_lo, exec_lo, s26
	v_lshlrev_b32_e32 v11, 16, v30
	v_lshlrev_b32_e32 v14, 20, v118
	v_lshl_add_u32 v10, v10, 23, 0x3c000000
	v_and_b32_e32 v11, 0x80000000, v11
	v_or3_b32 v11, v14, v11, v10
	v_mov_b32_e32 v10, v119
.LBB239_961:                            ;   in Loop: Header=BB239_16 Depth=1
	s_or_b32 exec_lo, exec_lo, s25
.LBB239_962:                            ;   in Loop: Header=BB239_16 Depth=1
	s_or_b32 exec_lo, exec_lo, s24
.LBB239_963:                            ;   in Loop: Header=BB239_16 Depth=1
	s_or_b32 exec_lo, exec_lo, s23
	v_mov_b32_e32 v14, 0xff
	v_mov_b32_e32 v18, 0
	;; [unrolled: 1-line block ×5, first 2 shown]
	v_and_b32_sdwa v14, v30, v14 dst_sel:DWORD dst_unused:UNUSED_PAD src0_sel:WORD_1 src1_sel:DWORD
	s_mov_b32 s23, exec_lo
	v_cmpx_ne_u16_e32 0, v14
	s_cbranch_execz .LBB239_971
; %bb.964:                              ;   in Loop: Header=BB239_16 Depth=1
	v_bfrev_b32_e32 v48, 1
	v_mov_b32_e32 v49, 0
	s_mov_b32 s24, exec_lo
	v_cmpx_ne_u16_e32 0x80, v14
	s_cbranch_execz .LBB239_970
; %bb.965:                              ;   in Loop: Header=BB239_16 Depth=1
	v_mov_b32_e32 v48, 0x7f800001
	v_bfe_u32 v36, v30, 16, 7
	v_mov_b32_e32 v49, 0
	s_mov_b32 s25, exec_lo
	v_cmpx_ne_u32_e32 0x7f, v36
	s_cbranch_execz .LBB239_969
; %bb.966:                              ;   in Loop: Header=BB239_16 Depth=1
	v_mov_b32_e32 v14, 7
	v_lshrrev_b32_e32 v31, 3, v36
	s_mov_b32 s26, exec_lo
	v_and_b32_sdwa v118, v30, v14 dst_sel:DWORD dst_unused:UNUSED_PAD src0_sel:WORD_1 src1_sel:DWORD
	v_cmpx_gt_u32_e32 8, v36
; %bb.967:                              ;   in Loop: Header=BB239_16 Depth=1
	v_ffbh_u32_e32 v31, v118
	v_min_u32_e32 v31, 32, v31
	v_subrev_nc_u32_e32 v36, 28, v31
	v_sub_nc_u32_e32 v31, 29, v31
	v_lshlrev_b64 v[36:37], v36, v[118:119]
	v_and_b32_e32 v118, 7, v36
; %bb.968:                              ;   in Loop: Header=BB239_16 Depth=1
	s_or_b32 exec_lo, exec_lo, s26
	v_mov_b32_e32 v14, 24
	v_lshl_add_u32 v31, v31, 23, 0x3c000000
	v_lshlrev_b32_sdwa v36, v14, v30 dst_sel:DWORD dst_unused:UNUSED_PAD src0_sel:DWORD src1_sel:WORD_1
	v_lshlrev_b32_e32 v14, 20, v118
	v_and_b32_e32 v36, 0x80000000, v36
	v_or3_b32 v118, v14, v36, v31
	v_mov_b32_e32 v48, v118
	v_mov_b32_e32 v49, v119
.LBB239_969:                            ;   in Loop: Header=BB239_16 Depth=1
	s_or_b32 exec_lo, exec_lo, s25
.LBB239_970:                            ;   in Loop: Header=BB239_16 Depth=1
	s_or_b32 exec_lo, exec_lo, s24
.LBB239_971:                            ;   in Loop: Header=BB239_16 Depth=1
	s_or_b32 exec_lo, exec_lo, s23
	s_mov_b32 s23, exec_lo
	v_cmpx_lt_u32_e32 0xffffff, v30
	s_cbranch_execz .LBB239_979
; %bb.972:                              ;   in Loop: Header=BB239_16 Depth=1
	v_mov_b32_e32 v50, v119
	v_mov_b32_e32 v14, 0x80
	;; [unrolled: 1-line block ×3, first 2 shown]
	v_cmp_ne_u32_sdwa s5, v30, v14 src0_sel:BYTE_3 src1_sel:DWORD
	v_mov_b32_e32 v19, v51
	s_and_saveexec_b32 s24, s5
	s_cbranch_execz .LBB239_978
; %bb.973:                              ;   in Loop: Header=BB239_16 Depth=1
	s_clause 0x1
	buffer_load_dword v18, off, s[0:3], s32 offset:200
	buffer_load_dword v19, off, s[0:3], s32 offset:204
	v_bfe_u32 v31, v30, 24, 7
	s_waitcnt vmcnt(1)
	v_mov_b32_e32 v18, v119
	s_mov_b32 s25, exec_lo
	s_waitcnt vmcnt(0)
	v_mov_b32_e32 v14, v19
	buffer_store_dword v13, off, s[0:3], s32 offset:200 ; 4-byte Folded Spill
	buffer_store_dword v14, off, s[0:3], s32 offset:204 ; 4-byte Folded Spill
	v_cmpx_ne_u32_e32 0x7f, v31
	s_cbranch_execz .LBB239_977
; %bb.974:                              ;   in Loop: Header=BB239_16 Depth=1
	v_mov_b32_e32 v14, 7
	v_lshrrev_b32_e32 v18, 3, v31
	s_mov_b32 s26, exec_lo
	v_and_b32_sdwa v118, v30, v14 dst_sel:DWORD dst_unused:UNUSED_PAD src0_sel:BYTE_3 src1_sel:DWORD
	v_cmpx_gt_u32_e32 8, v31
; %bb.975:                              ;   in Loop: Header=BB239_16 Depth=1
	v_ffbh_u32_e32 v18, v118
	v_min_u32_e32 v18, 32, v18
	v_subrev_nc_u32_e32 v19, 28, v18
	v_sub_nc_u32_e32 v18, 29, v18
	v_lshlrev_b64 v[36:37], v19, v[118:119]
	v_and_b32_e32 v118, 7, v36
; %bb.976:                              ;   in Loop: Header=BB239_16 Depth=1
	s_or_b32 exec_lo, exec_lo, s26
	v_mov_b32_e32 v14, 24
	v_lshl_add_u32 v18, v18, 23, 0x3c000000
	v_lshlrev_b32_sdwa v19, v14, v30 dst_sel:DWORD dst_unused:UNUSED_PAD src0_sel:DWORD src1_sel:BYTE_3
	v_lshlrev_b32_e32 v14, 20, v118
	v_and_b32_e32 v19, 0x80000000, v19
	v_or3_b32 v19, v14, v19, v18
	v_mov_b32_e32 v18, v119
.LBB239_977:                            ;   in Loop: Header=BB239_16 Depth=1
	s_or_b32 exec_lo, exec_lo, s25
.LBB239_978:                            ;   in Loop: Header=BB239_16 Depth=1
	s_or_b32 exec_lo, exec_lo, s24
.LBB239_979:                            ;   in Loop: Header=BB239_16 Depth=1
	s_or_b32 exec_lo, exec_lo, s23
	flat_load_dword v54, v[100:101] offset:1544
	v_mov_b32_e32 v52, 0
	v_mov_b32_e32 v36, 0
	;; [unrolled: 1-line block ×4, first 2 shown]
	s_waitcnt vmcnt(0) lgkmcnt(0)
	v_cmp_ne_u16_sdwa s5, v54, v119 src0_sel:BYTE_0 src1_sel:DWORD
	s_and_saveexec_b32 s23, s5
	s_cbranch_execz .LBB239_987
; %bb.980:                              ;   in Loop: Header=BB239_16 Depth=1
	v_mov_b32_e32 v14, 0x80
	v_bfrev_b32_e32 v36, 1
	v_mov_b32_e32 v37, 0
	v_cmp_ne_u16_sdwa s5, v54, v14 src0_sel:BYTE_0 src1_sel:DWORD
	s_and_saveexec_b32 s24, s5
	s_cbranch_execz .LBB239_986
; %bb.981:                              ;   in Loop: Header=BB239_16 Depth=1
	v_mov_b32_e32 v36, 0x7f800001
	v_and_b32_e32 v31, 0x7f, v54
	v_mov_b32_e32 v37, 0
	s_mov_b32 s25, exec_lo
	v_cmpx_ne_u32_e32 0x7f, v31
	s_cbranch_execz .LBB239_985
; %bb.982:                              ;   in Loop: Header=BB239_16 Depth=1
	v_and_b32_e32 v118, 7, v54
	v_lshrrev_b32_e32 v30, 3, v31
	s_mov_b32 s26, exec_lo
	v_cmpx_gt_u32_e32 8, v31
; %bb.983:                              ;   in Loop: Header=BB239_16 Depth=1
	v_ffbh_u32_e32 v30, v118
	v_min_u32_e32 v30, 32, v30
	v_subrev_nc_u32_e32 v31, 28, v30
	v_sub_nc_u32_e32 v30, 29, v30
	v_lshlrev_b64 v[36:37], v31, v[118:119]
	v_and_b32_e32 v118, 7, v36
; %bb.984:                              ;   in Loop: Header=BB239_16 Depth=1
	s_or_b32 exec_lo, exec_lo, s26
	v_lshlrev_b32_e32 v31, 24, v54
	v_lshlrev_b32_e32 v14, 20, v118
	v_lshl_add_u32 v30, v30, 23, 0x3c000000
	v_and_b32_e32 v31, 0x80000000, v31
	v_or3_b32 v118, v14, v31, v30
	v_mov_b32_e32 v36, v118
	v_mov_b32_e32 v37, v119
.LBB239_985:                            ;   in Loop: Header=BB239_16 Depth=1
	s_or_b32 exec_lo, exec_lo, s25
.LBB239_986:                            ;   in Loop: Header=BB239_16 Depth=1
	s_or_b32 exec_lo, exec_lo, s24
.LBB239_987:                            ;   in Loop: Header=BB239_16 Depth=1
	s_or_b32 exec_lo, exec_lo, s23
	v_cmp_ne_u16_sdwa s5, v54, v119 src0_sel:BYTE_1 src1_sel:DWORD
	s_and_saveexec_b32 s23, s5
	s_cbranch_execz .LBB239_995
; %bb.988:                              ;   in Loop: Header=BB239_16 Depth=1
	v_mov_b32_e32 v50, v119
	v_mov_b32_e32 v14, 0x80
	;; [unrolled: 1-line block ×4, first 2 shown]
	v_cmp_ne_u16_sdwa s5, v54, v14 src0_sel:BYTE_1 src1_sel:DWORD
	s_and_saveexec_b32 s24, s5
	s_cbranch_execz .LBB239_994
; %bb.989:                              ;   in Loop: Header=BB239_16 Depth=1
	s_clause 0x1
	buffer_load_dword v52, off, s[0:3], s32 offset:200
	buffer_load_dword v53, off, s[0:3], s32 offset:204
	v_mov_b32_e32 v14, 0xffff
	s_waitcnt vmcnt(1)
	v_mov_b32_e32 v52, v119
	s_mov_b32 s25, exec_lo
	v_and_b32_sdwa v14, v14, v54 dst_sel:DWORD dst_unused:UNUSED_PAD src0_sel:DWORD src1_sel:BYTE_1
	v_and_b32_e32 v31, 0x7f, v14
	s_waitcnt vmcnt(0)
	v_mov_b32_e32 v15, v53
	buffer_store_dword v14, off, s[0:3], s32 offset:200 ; 4-byte Folded Spill
	buffer_store_dword v15, off, s[0:3], s32 offset:204 ; 4-byte Folded Spill
	v_cmpx_ne_u32_e32 0x7f, v31
	s_cbranch_execz .LBB239_993
; %bb.990:                              ;   in Loop: Header=BB239_16 Depth=1
	v_and_b32_e32 v118, 7, v14
	v_lshrrev_b32_e32 v30, 3, v31
	s_mov_b32 s26, exec_lo
	v_cmpx_gt_u32_e32 8, v31
; %bb.991:                              ;   in Loop: Header=BB239_16 Depth=1
	v_ffbh_u32_e32 v30, v118
	v_min_u32_e32 v30, 32, v30
	v_subrev_nc_u32_e32 v31, 28, v30
	v_sub_nc_u32_e32 v30, 29, v30
	v_lshlrev_b64 v[52:53], v31, v[118:119]
	v_and_b32_e32 v118, 7, v52
; %bb.992:                              ;   in Loop: Header=BB239_16 Depth=1
	s_or_b32 exec_lo, exec_lo, s26
	v_lshlrev_b32_e32 v31, 16, v54
	v_lshlrev_b32_e32 v14, 20, v118
	v_lshl_add_u32 v30, v30, 23, 0x3c000000
	v_mov_b32_e32 v52, v119
	v_and_b32_e32 v31, 0x80000000, v31
	v_or3_b32 v53, v14, v31, v30
.LBB239_993:                            ;   in Loop: Header=BB239_16 Depth=1
	s_or_b32 exec_lo, exec_lo, s25
.LBB239_994:                            ;   in Loop: Header=BB239_16 Depth=1
	s_or_b32 exec_lo, exec_lo, s24
.LBB239_995:                            ;   in Loop: Header=BB239_16 Depth=1
	s_or_b32 exec_lo, exec_lo, s23
	v_mov_b32_e32 v14, 0xff
	v_mov_b32_e32 v30, 0
	;; [unrolled: 1-line block ×5, first 2 shown]
	v_and_b32_sdwa v14, v54, v14 dst_sel:DWORD dst_unused:UNUSED_PAD src0_sel:WORD_1 src1_sel:DWORD
	s_mov_b32 s23, exec_lo
	v_cmpx_ne_u16_e32 0, v14
	s_cbranch_execz .LBB239_1003
; %bb.996:                              ;   in Loop: Header=BB239_16 Depth=1
	v_bfrev_b32_e32 v64, 1
	v_mov_b32_e32 v65, 0
	s_mov_b32 s24, exec_lo
	v_cmpx_ne_u16_e32 0x80, v14
	s_cbranch_execz .LBB239_1002
; %bb.997:                              ;   in Loop: Header=BB239_16 Depth=1
	v_mov_b32_e32 v64, 0x7f800001
	v_bfe_u32 v55, v54, 16, 7
	v_mov_b32_e32 v65, 0
	s_mov_b32 s25, exec_lo
	v_cmpx_ne_u32_e32 0x7f, v55
	s_cbranch_execz .LBB239_1001
; %bb.998:                              ;   in Loop: Header=BB239_16 Depth=1
	v_mov_b32_e32 v14, 7
	v_lshrrev_b32_e32 v50, 3, v55
	s_mov_b32 s26, exec_lo
	v_and_b32_sdwa v118, v54, v14 dst_sel:DWORD dst_unused:UNUSED_PAD src0_sel:WORD_1 src1_sel:DWORD
	v_cmpx_gt_u32_e32 8, v55
; %bb.999:                              ;   in Loop: Header=BB239_16 Depth=1
	v_ffbh_u32_e32 v50, v118
	v_min_u32_e32 v50, 32, v50
	v_subrev_nc_u32_e32 v55, 28, v50
	v_sub_nc_u32_e32 v50, 29, v50
	v_lshlrev_b64 v[64:65], v55, v[118:119]
	v_and_b32_e32 v118, 7, v64
; %bb.1000:                             ;   in Loop: Header=BB239_16 Depth=1
	s_or_b32 exec_lo, exec_lo, s26
	v_mov_b32_e32 v14, 24
	v_lshl_add_u32 v50, v50, 23, 0x3c000000
	v_lshlrev_b32_sdwa v55, v14, v54 dst_sel:DWORD dst_unused:UNUSED_PAD src0_sel:DWORD src1_sel:WORD_1
	v_lshlrev_b32_e32 v14, 20, v118
	v_and_b32_e32 v55, 0x80000000, v55
	v_or3_b32 v118, v14, v55, v50
	v_mov_b32_e32 v64, v118
	v_mov_b32_e32 v65, v119
.LBB239_1001:                           ;   in Loop: Header=BB239_16 Depth=1
	s_or_b32 exec_lo, exec_lo, s25
.LBB239_1002:                           ;   in Loop: Header=BB239_16 Depth=1
	s_or_b32 exec_lo, exec_lo, s24
.LBB239_1003:                           ;   in Loop: Header=BB239_16 Depth=1
	s_or_b32 exec_lo, exec_lo, s23
	s_mov_b32 s23, exec_lo
	v_cmpx_lt_u32_e32 0xffffff, v54
	s_cbranch_execz .LBB239_1011
; %bb.1004:                             ;   in Loop: Header=BB239_16 Depth=1
	v_mov_b32_e32 v50, v119
	v_mov_b32_e32 v14, 0x80
	v_mov_b32_e32 v30, v50
	v_cmp_ne_u32_sdwa s5, v54, v14 src0_sel:BYTE_3 src1_sel:DWORD
	v_mov_b32_e32 v31, v51
	s_and_saveexec_b32 s24, s5
	s_cbranch_execz .LBB239_1010
; %bb.1005:                             ;   in Loop: Header=BB239_16 Depth=1
	s_clause 0x1
	buffer_load_dword v30, off, s[0:3], s32 offset:200
	buffer_load_dword v31, off, s[0:3], s32 offset:204
	v_bfe_u32 v50, v54, 24, 7
	s_waitcnt vmcnt(1)
	v_mov_b32_e32 v30, v119
	s_mov_b32 s25, exec_lo
	s_waitcnt vmcnt(0)
	v_mov_b32_e32 v14, v31
	buffer_store_dword v13, off, s[0:3], s32 offset:200 ; 4-byte Folded Spill
	buffer_store_dword v14, off, s[0:3], s32 offset:204 ; 4-byte Folded Spill
	v_cmpx_ne_u32_e32 0x7f, v50
	s_cbranch_execz .LBB239_1009
; %bb.1006:                             ;   in Loop: Header=BB239_16 Depth=1
	v_mov_b32_e32 v14, 7
	v_lshrrev_b32_e32 v30, 3, v50
	s_mov_b32 s26, exec_lo
	v_and_b32_sdwa v118, v54, v14 dst_sel:DWORD dst_unused:UNUSED_PAD src0_sel:BYTE_3 src1_sel:DWORD
	v_cmpx_gt_u32_e32 8, v50
; %bb.1007:                             ;   in Loop: Header=BB239_16 Depth=1
	v_ffbh_u32_e32 v30, v118
	v_min_u32_e32 v30, 32, v30
	v_subrev_nc_u32_e32 v31, 28, v30
	v_sub_nc_u32_e32 v30, 29, v30
	v_lshlrev_b64 v[68:69], v31, v[118:119]
	v_and_b32_e32 v118, 7, v68
; %bb.1008:                             ;   in Loop: Header=BB239_16 Depth=1
	s_or_b32 exec_lo, exec_lo, s26
	v_mov_b32_e32 v14, 24
	v_lshl_add_u32 v30, v30, 23, 0x3c000000
	v_lshlrev_b32_sdwa v31, v14, v54 dst_sel:DWORD dst_unused:UNUSED_PAD src0_sel:DWORD src1_sel:BYTE_3
	v_lshlrev_b32_e32 v14, 20, v118
	v_and_b32_e32 v31, 0x80000000, v31
	v_or3_b32 v31, v14, v31, v30
	v_mov_b32_e32 v30, v119
.LBB239_1009:                           ;   in Loop: Header=BB239_16 Depth=1
	s_or_b32 exec_lo, exec_lo, s25
.LBB239_1010:                           ;   in Loop: Header=BB239_16 Depth=1
	s_or_b32 exec_lo, exec_lo, s24
.LBB239_1011:                           ;   in Loop: Header=BB239_16 Depth=1
	s_or_b32 exec_lo, exec_lo, s23
	flat_load_dword v83, v[100:101] offset:1548
	v_mov_b32_e32 v54, 0
	v_mov_b32_e32 v100, 0
	;; [unrolled: 1-line block ×4, first 2 shown]
	s_waitcnt vmcnt(0) lgkmcnt(0)
	v_cmp_ne_u16_sdwa s5, v83, v119 src0_sel:BYTE_0 src1_sel:DWORD
	s_and_saveexec_b32 s23, s5
	s_cbranch_execz .LBB239_1019
; %bb.1012:                             ;   in Loop: Header=BB239_16 Depth=1
	v_mov_b32_e32 v14, 0x80
	v_bfrev_b32_e32 v100, 1
	v_mov_b32_e32 v101, 0
	v_cmp_ne_u16_sdwa s5, v83, v14 src0_sel:BYTE_0 src1_sel:DWORD
	s_and_saveexec_b32 s24, s5
	s_cbranch_execz .LBB239_1018
; %bb.1013:                             ;   in Loop: Header=BB239_16 Depth=1
	v_mov_b32_e32 v100, 0x7f800001
	v_and_b32_e32 v68, 0x7f, v83
	v_mov_b32_e32 v101, 0
	s_mov_b32 s25, exec_lo
	v_cmpx_ne_u32_e32 0x7f, v68
	s_cbranch_execz .LBB239_1017
; %bb.1014:                             ;   in Loop: Header=BB239_16 Depth=1
	v_and_b32_e32 v118, 7, v83
	v_lshrrev_b32_e32 v50, 3, v68
	s_mov_b32 s26, exec_lo
	v_cmpx_gt_u32_e32 8, v68
; %bb.1015:                             ;   in Loop: Header=BB239_16 Depth=1
	v_ffbh_u32_e32 v50, v118
	v_min_u32_e32 v50, 32, v50
	v_subrev_nc_u32_e32 v68, 28, v50
	v_sub_nc_u32_e32 v50, 29, v50
	v_lshlrev_b64 v[68:69], v68, v[118:119]
	v_and_b32_e32 v118, 7, v68
; %bb.1016:                             ;   in Loop: Header=BB239_16 Depth=1
	s_or_b32 exec_lo, exec_lo, s26
	v_lshlrev_b32_e32 v68, 24, v83
	v_lshlrev_b32_e32 v14, 20, v118
	v_lshl_add_u32 v50, v50, 23, 0x3c000000
	v_and_b32_e32 v68, 0x80000000, v68
	v_or3_b32 v118, v14, v68, v50
	v_mov_b32_e32 v100, v118
	v_mov_b32_e32 v101, v119
.LBB239_1017:                           ;   in Loop: Header=BB239_16 Depth=1
	s_or_b32 exec_lo, exec_lo, s25
.LBB239_1018:                           ;   in Loop: Header=BB239_16 Depth=1
	s_or_b32 exec_lo, exec_lo, s24
.LBB239_1019:                           ;   in Loop: Header=BB239_16 Depth=1
	s_or_b32 exec_lo, exec_lo, s23
	v_cmp_ne_u16_sdwa s5, v83, v119 src0_sel:BYTE_1 src1_sel:DWORD
	s_and_saveexec_b32 s23, s5
	s_cbranch_execz .LBB239_1027
; %bb.1020:                             ;   in Loop: Header=BB239_16 Depth=1
	v_mov_b32_e32 v50, v119
	v_mov_b32_e32 v14, 0x80
	v_mov_b32_e32 v55, v51
	v_mov_b32_e32 v54, v50
	v_cmp_ne_u16_sdwa s5, v83, v14 src0_sel:BYTE_1 src1_sel:DWORD
	s_and_saveexec_b32 s24, s5
	s_cbranch_execz .LBB239_1026
; %bb.1021:                             ;   in Loop: Header=BB239_16 Depth=1
	s_clause 0x1
	buffer_load_dword v54, off, s[0:3], s32 offset:200
	buffer_load_dword v55, off, s[0:3], s32 offset:204
	v_mov_b32_e32 v14, 0xffff
	s_waitcnt vmcnt(1)
	v_mov_b32_e32 v54, v119
	s_mov_b32 s25, exec_lo
	v_and_b32_sdwa v14, v14, v83 dst_sel:DWORD dst_unused:UNUSED_PAD src0_sel:DWORD src1_sel:BYTE_1
	v_and_b32_e32 v68, 0x7f, v14
	s_waitcnt vmcnt(0)
	v_mov_b32_e32 v15, v55
	buffer_store_dword v14, off, s[0:3], s32 offset:200 ; 4-byte Folded Spill
	buffer_store_dword v15, off, s[0:3], s32 offset:204 ; 4-byte Folded Spill
	v_cmpx_ne_u32_e32 0x7f, v68
	s_cbranch_execz .LBB239_1025
; %bb.1022:                             ;   in Loop: Header=BB239_16 Depth=1
	v_and_b32_e32 v118, 7, v14
	v_lshrrev_b32_e32 v50, 3, v68
	s_mov_b32 s26, exec_lo
	v_cmpx_gt_u32_e32 8, v68
; %bb.1023:                             ;   in Loop: Header=BB239_16 Depth=1
	v_ffbh_u32_e32 v50, v118
	v_min_u32_e32 v50, 32, v50
	v_subrev_nc_u32_e32 v54, 28, v50
	v_sub_nc_u32_e32 v50, 29, v50
	v_lshlrev_b64 v[54:55], v54, v[118:119]
	v_and_b32_e32 v118, 7, v54
; %bb.1024:                             ;   in Loop: Header=BB239_16 Depth=1
	s_or_b32 exec_lo, exec_lo, s26
	v_lshlrev_b32_e32 v54, 16, v83
	v_lshlrev_b32_e32 v14, 20, v118
	v_lshl_add_u32 v50, v50, 23, 0x3c000000
	v_and_b32_e32 v54, 0x80000000, v54
	v_or3_b32 v55, v14, v54, v50
	v_mov_b32_e32 v54, v119
.LBB239_1025:                           ;   in Loop: Header=BB239_16 Depth=1
	s_or_b32 exec_lo, exec_lo, s25
.LBB239_1026:                           ;   in Loop: Header=BB239_16 Depth=1
	s_or_b32 exec_lo, exec_lo, s24
.LBB239_1027:                           ;   in Loop: Header=BB239_16 Depth=1
	s_or_b32 exec_lo, exec_lo, s23
	v_mov_b32_e32 v14, 0xff
	v_mov_b32_e32 v68, 0
	;; [unrolled: 1-line block ×5, first 2 shown]
	v_and_b32_sdwa v14, v83, v14 dst_sel:DWORD dst_unused:UNUSED_PAD src0_sel:WORD_1 src1_sel:DWORD
	s_mov_b32 s23, exec_lo
	v_cmpx_ne_u16_e32 0, v14
	s_cbranch_execz .LBB239_1035
; %bb.1028:                             ;   in Loop: Header=BB239_16 Depth=1
	v_bfrev_b32_e32 v86, 1
	v_mov_b32_e32 v87, 0
	s_mov_b32 s24, exec_lo
	v_cmpx_ne_u16_e32 0x80, v14
	s_cbranch_execz .LBB239_1034
; %bb.1029:                             ;   in Loop: Header=BB239_16 Depth=1
	v_mov_b32_e32 v86, 0x7f800001
	v_bfe_u32 v70, v83, 16, 7
	v_mov_b32_e32 v87, 0
	s_mov_b32 s25, exec_lo
	v_cmpx_ne_u32_e32 0x7f, v70
	s_cbranch_execz .LBB239_1033
; %bb.1030:                             ;   in Loop: Header=BB239_16 Depth=1
	v_mov_b32_e32 v14, 7
	v_lshrrev_b32_e32 v50, 3, v70
	s_mov_b32 s26, exec_lo
	v_and_b32_sdwa v118, v83, v14 dst_sel:DWORD dst_unused:UNUSED_PAD src0_sel:WORD_1 src1_sel:DWORD
	v_cmpx_gt_u32_e32 8, v70
	s_cbranch_execz .LBB239_1032
; %bb.1031:                             ;   in Loop: Header=BB239_16 Depth=1
	v_ffbh_u32_e32 v50, v118
	v_mov_b32_e32 v6, v80
	v_mov_b32_e32 v7, v81
	v_min_u32_e32 v50, 32, v50
	v_subrev_nc_u32_e32 v70, 28, v50
	v_sub_nc_u32_e32 v50, 29, v50
	v_lshlrev_b64 v[80:81], v70, v[118:119]
	v_and_b32_e32 v118, 7, v80
	v_mov_b32_e32 v81, v7
	v_mov_b32_e32 v80, v6
.LBB239_1032:                           ;   in Loop: Header=BB239_16 Depth=1
	s_or_b32 exec_lo, exec_lo, s26
	v_mov_b32_e32 v14, 24
	v_lshl_add_u32 v50, v50, 23, 0x3c000000
	v_lshlrev_b32_sdwa v70, v14, v83 dst_sel:DWORD dst_unused:UNUSED_PAD src0_sel:DWORD src1_sel:WORD_1
	v_lshlrev_b32_e32 v14, 20, v118
	v_and_b32_e32 v70, 0x80000000, v70
	v_or3_b32 v118, v14, v70, v50
	v_mov_b32_e32 v86, v118
	v_mov_b32_e32 v87, v119
.LBB239_1033:                           ;   in Loop: Header=BB239_16 Depth=1
	s_or_b32 exec_lo, exec_lo, s25
.LBB239_1034:                           ;   in Loop: Header=BB239_16 Depth=1
	s_or_b32 exec_lo, exec_lo, s24
.LBB239_1035:                           ;   in Loop: Header=BB239_16 Depth=1
	s_or_b32 exec_lo, exec_lo, s23
	v_mov_b32_e32 v6, v80
	v_mov_b32_e32 v7, v81
	s_mov_b32 s23, exec_lo
	buffer_store_dword v71, off, s[0:3], s32 offset:856 ; 4-byte Folded Spill
	buffer_store_dword v12, off, s[0:3], s32 offset:852 ; 4-byte Folded Spill
	;; [unrolled: 1-line block ×3, first 2 shown]
	v_cmpx_lt_u32_e32 0xffffff, v83
	s_cbranch_execz .LBB239_14
; %bb.1036:                             ;   in Loop: Header=BB239_16 Depth=1
	v_mov_b32_e32 v50, v119
	v_mov_b32_e32 v12, 0x80
	v_mov_b32_e32 v69, v51
	v_mov_b32_e32 v68, v50
	v_cmp_ne_u32_sdwa s5, v83, v12 src0_sel:BYTE_3 src1_sel:DWORD
	s_and_saveexec_b32 s24, s5
	s_cbranch_execz .LBB239_13
; %bb.1037:                             ;   in Loop: Header=BB239_16 Depth=1
	s_clause 0x1
	buffer_load_dword v68, off, s[0:3], s32 offset:200
	buffer_load_dword v69, off, s[0:3], s32 offset:204
	v_bfe_u32 v80, v83, 24, 7
	s_waitcnt vmcnt(1)
	v_mov_b32_e32 v68, v119
	s_mov_b32 s25, exec_lo
	s_waitcnt vmcnt(0)
	v_mov_b32_e32 v12, v69
	buffer_store_dword v11, off, s[0:3], s32 offset:200 ; 4-byte Folded Spill
	buffer_store_dword v12, off, s[0:3], s32 offset:204 ; 4-byte Folded Spill
	v_cmpx_ne_u32_e32 0x7f, v80
	s_cbranch_execz .LBB239_12
; %bb.1038:                             ;   in Loop: Header=BB239_16 Depth=1
	v_mov_b32_e32 v12, 7
	v_lshrrev_b32_e32 v50, 3, v80
	s_mov_b32 s26, exec_lo
	v_and_b32_sdwa v118, v83, v12 dst_sel:DWORD dst_unused:UNUSED_PAD src0_sel:BYTE_3 src1_sel:DWORD
	v_cmpx_gt_u32_e32 8, v80
	s_cbranch_execz .LBB239_11
; %bb.1039:                             ;   in Loop: Header=BB239_16 Depth=1
	v_ffbh_u32_e32 v50, v118
	v_min_u32_e32 v50, 32, v50
	v_subrev_nc_u32_e32 v68, 28, v50
	v_sub_nc_u32_e32 v50, 29, v50
	v_lshlrev_b64 v[68:69], v68, v[118:119]
	v_and_b32_e32 v118, 7, v68
	s_branch .LBB239_11
.LBB239_1040:
	s_or_b32 exec_lo, exec_lo, s22
	s_clause 0xc
	buffer_load_dword v11, off, s[0:3], s32 offset:1512
	buffer_load_dword v10, off, s[0:3], s32 offset:1508
	;; [unrolled: 1-line block ×13, first 2 shown]
.LBB239_1041:
	s_or_b32 exec_lo, exec_lo, s21
	v_mbcnt_lo_u32_b32 v0, -1, 0
	v_max_f32_e32 v4, v71, v71
	s_waitcnt lgkmcnt(0)
	s_lshr_b32 s8, s20, 16
	v_xor_b32_e32 v1, 16, v0
	v_xor_b32_e32 v3, 8, v0
	;; [unrolled: 1-line block ×3, first 2 shown]
	v_cmp_gt_i32_e32 vcc_lo, 32, v1
	v_cndmask_b32_e32 v1, v0, v1, vcc_lo
	v_cmp_gt_i32_e32 vcc_lo, 32, v3
	v_lshlrev_b32_e32 v2, 2, v1
	v_cndmask_b32_e32 v3, v0, v3, vcc_lo
	v_cmp_gt_i32_e32 vcc_lo, 32, v5
	ds_bpermute_b32 v1, v2, v71
	v_lshlrev_b32_e32 v3, 2, v3
	v_cndmask_b32_e32 v5, v0, v5, vcc_lo
	v_lshlrev_b32_e32 v28, 2, v5
	v_xor_b32_e32 v5, 2, v0
	v_cmp_gt_i32_e32 vcc_lo, 32, v5
	v_cndmask_b32_e32 v5, v0, v5, vcc_lo
	s_waitcnt lgkmcnt(0)
	v_max_f32_e32 v1, v1, v1
	v_lshlrev_b32_e32 v27, 2, v5
	v_xor_b32_e32 v5, 1, v0
	v_max_f32_e32 v1, v4, v1
	v_cmp_gt_i32_e32 vcc_lo, 32, v5
	ds_bpermute_b32 v4, v3, v1
	v_cndmask_b32_e32 v5, v0, v5, vcc_lo
	v_lshlrev_b32_e32 v104, 2, v5
	s_waitcnt lgkmcnt(0)
	v_max_f32_e32 v4, v4, v4
	v_max_f32_e32 v1, v1, v4
	ds_bpermute_b32 v4, v28, v1
	s_waitcnt lgkmcnt(0)
	v_max_f32_e32 v4, v4, v4
	v_max_f32_e32 v1, v1, v4
	ds_bpermute_b32 v4, v27, v1
	s_waitcnt lgkmcnt(0)
	v_max_f32_e32 v4, v4, v4
	v_max_f32_e32 v0, v1, v4
	buffer_load_dword v4, off, s[0:3], s32 offset:924 ; 4-byte Folded Reload
	ds_bpermute_b32 v1, v104, v0
	s_waitcnt vmcnt(0)
	v_cmp_eq_u32_e32 vcc_lo, 0, v4
	buffer_load_dword v4, off, s[0:3], s32 offset:1480 ; 4-byte Folded Reload
	s_waitcnt vmcnt(0)
	v_lshlrev_b32_e32 v4, 2, v4
	s_and_saveexec_b32 s5, vcc_lo
	s_cbranch_execz .LBB239_1043
; %bb.1042:
	s_waitcnt lgkmcnt(0)
	v_max_f32_e32 v1, v1, v1
	v_max_f32_e32 v0, v0, v0
	;; [unrolled: 1-line block ×3, first 2 shown]
	ds_write_b32 v4, v0 offset:512
.LBB239_1043:
	s_or_b32 exec_lo, exec_lo, s5
	buffer_load_dword v0, off, s[0:3], s32 offset:924 ; 4-byte Folded Reload
	s_waitcnt vmcnt(0) lgkmcnt(0)
	s_waitcnt_vscnt null, 0x0
	s_barrier
	buffer_gl0_inv
	v_cmp_gt_u32_e64 s5, 4, v0
	v_mov_b32_e32 v0, 0xff7fffff
	s_and_saveexec_b32 s6, s5
; %bb.1044:
	ds_read_b32 v0, v12 offset:512
; %bb.1045:
	s_or_b32 exec_lo, exec_lo, s6
	buffer_load_dword v5, off, s[0:3], s32 offset:244 ; 4-byte Folded Reload
	s_waitcnt lgkmcnt(0)
	ds_bpermute_b32 v1, v27, v0
	v_max_f32_e32 v0, v0, v0
	s_waitcnt lgkmcnt(0)
	v_max_f32_e32 v1, v1, v1
	v_max_f32_e32 v0, v0, v1
	ds_bpermute_b32 v1, v104, v0
	s_waitcnt lgkmcnt(0)
	v_max_f32_e32 v1, v1, v1
	v_max_f32_e32 v0, v0, v1
	s_waitcnt vmcnt(0)
	v_subrev_nc_u32_e32 v6, s13, v5
	v_mov_b32_e32 v5, 0
	v_lshl_add_u32 v1, v6, 5, s7
	buffer_load_dword v6, off, s[0:3], s32 offset:208 ; 4-byte Folded Reload
	ds_bpermute_b32 v0, v5, v0
	s_waitcnt vmcnt(0)
	v_min_i32_e32 v1, v1, v6
	buffer_load_dword v6, off, s[0:3], s32 offset:928 ; 4-byte Folded Reload
	v_subrev_nc_u32_e32 v1, s7, v1
	s_waitcnt vmcnt(0)
	v_cmp_lt_i32_e64 s6, v6, v1
	s_and_saveexec_b32 s9, s6
	s_cbranch_execz .LBB239_1049
; %bb.1046:
	buffer_load_dword v7, off, s[0:3], s32 offset:928 ; 4-byte Folded Reload
	s_getpc_b64 s[20:21]
	s_add_u32 s20, s20, llvm.amdgcn.dynlds.offset.table@rel32@lo+4
	s_addc_u32 s21, s21, llvm.amdgcn.dynlds.offset.table@rel32@hi+12
	s_ashr_i32 s17, s16, 31
	v_mov_b32_e32 v5, 0
	s_lshl_b64 s[22:23], s[16:17], 2
	s_mov_b32 s13, 0
	s_add_u32 s20, s20, s22
	s_addc_u32 s21, s21, s23
	s_load_dword s7, s[20:21], 0x0
	s_waitcnt vmcnt(0) lgkmcnt(0)
	v_lshl_add_u32 v6, v7, 2, s7
	.p2align	6
.LBB239_1047:                           ; =>This Inner Loop Header: Depth=1
	ds_read_b32 v8, v6
	v_add_nc_u32_e32 v7, 0x80, v7
	v_cmp_ge_i32_e64 s7, v7, v1
	s_or_b32 s13, s7, s13
	s_waitcnt lgkmcnt(0)
	v_sub_f32_e32 v8, v8, v0
	v_mul_f32_e32 v8, 0x3fb8aa3b, v8
	v_exp_f32_e32 v8, v8
	ds_write_b32 v6, v8
	v_add_f32_e32 v5, v5, v8
	v_add_nc_u32_e32 v6, 0x200, v6
	s_andn2_b32 exec_lo, exec_lo, s13
	s_cbranch_execnz .LBB239_1047
; %bb.1048:
	s_or_b32 exec_lo, exec_lo, s13
.LBB239_1049:
	s_or_b32 exec_lo, exec_lo, s9
	ds_bpermute_b32 v2, v2, v5
	s_waitcnt lgkmcnt(0)
	v_add_f32_e32 v2, v5, v2
	ds_bpermute_b32 v3, v3, v2
	s_waitcnt lgkmcnt(0)
	v_add_f32_e32 v2, v2, v3
	;; [unrolled: 3-line block ×5, first 2 shown]
	s_and_saveexec_b32 s7, vcc_lo
; %bb.1050:
	ds_write_b32 v4, v2 offset:528
; %bb.1051:
	s_or_b32 exec_lo, exec_lo, s7
	s_waitcnt lgkmcnt(0)
	s_barrier
	buffer_gl0_inv
	s_and_saveexec_b32 s7, s5
; %bb.1052:
	ds_read_b32 v2, v12 offset:528
; %bb.1053:
	s_or_b32 exec_lo, exec_lo, s7
	s_waitcnt lgkmcnt(0)
	ds_bpermute_b32 v3, v27, v2
	s_waitcnt lgkmcnt(0)
	v_add_f32_e32 v2, v2, v3
	ds_bpermute_b32 v3, v104, v2
	s_waitcnt lgkmcnt(0)
	v_add_f32_e32 v2, v2, v3
	v_mov_b32_e32 v3, 0
	ds_bpermute_b32 v2, v3, v2
	s_and_saveexec_b32 s5, s6
	s_cbranch_execz .LBB239_1056
; %bb.1054:
	s_waitcnt lgkmcnt(0)
	v_add_f32_e32 v4, 0x358637bd, v2
	s_getpc_b64 s[6:7]
	s_add_u32 s6, s6, llvm.amdgcn.dynlds.offset.table@rel32@lo+4
	s_addc_u32 s7, s7, llvm.amdgcn.dynlds.offset.table@rel32@hi+12
	s_ashr_i32 s17, s16, 31
	s_lshl_b64 s[20:21], s[16:17], 2
	v_div_scale_f32 v3, null, v4, v4, 1.0
	v_div_scale_f32 v7, vcc_lo, 1.0, v4, 1.0
	s_add_u32 s6, s6, s20
	v_rcp_f32_e32 v5, v3
	s_addc_u32 s7, s7, s21
	s_load_dword s6, s[6:7], 0x0
	v_fma_f32 v6, -v3, v5, 1.0
	v_fmac_f32_e32 v5, v6, v5
	v_mul_f32_e32 v6, v7, v5
	v_fma_f32 v8, -v3, v6, v7
	v_fmac_f32_e32 v6, v8, v5
	v_fma_f32 v3, -v3, v6, v7
	v_div_fmas_f32 v5, v3, v5, v6
	buffer_load_dword v6, off, s[0:3], s32 offset:928 ; 4-byte Folded Reload
	v_div_fixup_f32 v4, v5, v4, 1.0
	s_waitcnt vmcnt(0) lgkmcnt(0)
	v_lshl_add_u32 v3, v6, 2, s6
	v_mov_b32_e32 v5, v6
	s_mov_b32 s6, 0
.LBB239_1055:                           ; =>This Inner Loop Header: Depth=1
	ds_read_b32 v6, v3
	v_add_nc_u32_e32 v5, 0x80, v5
	v_cmp_ge_i32_e32 vcc_lo, v5, v1
	s_or_b32 s6, vcc_lo, s6
	s_waitcnt lgkmcnt(0)
	v_mul_f32_e32 v6, v4, v6
	ds_write_b32 v3, v6
	v_add_nc_u32_e32 v3, 0x200, v3
	s_andn2_b32 exec_lo, exec_lo, s6
	s_cbranch_execnz .LBB239_1055
.LBB239_1056:
	s_or_b32 exec_lo, exec_lo, s5
	s_waitcnt lgkmcnt(0)
	buffer_load_dword v1, off, s[0:3], s32 offset:928 ; 4-byte Folded Reload
	s_and_b32 s5, 0xffff, s8
	s_mov_b32 s8, exec_lo
	s_cmp_lg_u32 s5, 0
	s_barrier
	s_cselect_b32 s5, -1, 0
	s_waitcnt vmcnt(0)
	buffer_gl0_inv
	s_cmp_lg_u32 s5, 0
	s_addc_u32 s5, s11, 0
	s_mul_i32 s6, s5, s18
	s_mul_i32 s6, s6, s15
	v_cmpx_eq_u32_e32 0, v1
	s_cbranch_execz .LBB239_1058
; %bb.1057:
	s_ashr_i32 s7, s6, 31
	s_mul_i32 s12, s5, s12
	s_lshl_b64 s[20:21], s[6:7], 2
	s_ashr_i32 s13, s12, 31
	v_add_co_u32 v1, vcc_lo, v32, s20
	v_add_co_ci_u32_e64 v3, null, s21, v26, vcc_lo
	s_lshl_b64 s[12:13], s[12:13], 2
	s_ashr_i32 s15, s14, 31
	v_add_co_u32 v1, vcc_lo, v1, s12
	v_add_co_ci_u32_e64 v4, null, s13, v3, vcc_lo
	v_add_co_u32 v3, vcc_lo, v25, s20
	v_add_co_ci_u32_e64 v5, null, s21, v24, vcc_lo
	s_lshl_b64 s[20:21], s[14:15], 2
	v_add_co_u32 v6, vcc_lo, v3, s12
	v_add_co_ci_u32_e64 v7, null, s13, v5, vcc_lo
	v_add_co_u32 v3, vcc_lo, v1, s20
	v_add_co_ci_u32_e64 v4, null, s21, v4, vcc_lo
	;; [unrolled: 2-line block ×3, first 2 shown]
	flat_store_dword v[3:4], v0
	flat_store_dword v[5:6], v2
.LBB239_1058:
	s_or_b32 exec_lo, exec_lo, s8
	buffer_load_dword v0, off, s[0:3], s32 offset:928 ; 4-byte Folded Reload
	s_ashr_i32 s17, s16, 31
	s_getpc_b64 s[8:9]
	s_add_u32 s8, s8, llvm.amdgcn.dynlds.offset.table@rel32@lo+4
	s_addc_u32 s9, s9, llvm.amdgcn.dynlds.offset.table@rel32@hi+12
	s_lshl_b64 s[12:13], s[16:17], 2
	v_mov_b32_e32 v17, 0
	v_mov_b32_e32 v36, 0
	;; [unrolled: 1-line block ×32, first 2 shown]
	s_add_u32 s8, s8, s12
	s_addc_u32 s9, s9, s13
	s_waitcnt vmcnt(0)
	v_and_b32_e32 v67, 7, v0
	s_and_saveexec_b32 s7, s4
	s_cbranch_execz .LBB239_2152
; %bb.1059:
	buffer_load_dword v1, off, s[0:3], s32 offset:928 ; 4-byte Folded Reload
	v_max_i32_e32 v96, v30, v31
	s_load_dword s4, s[8:9], 0x0
	v_mov_b32_e32 v6, 0
	v_lshlrev_b32_e32 v4, 4, v67
	v_mov_b32_e32 v9, 0
	v_cvt_f32_u32_e32 v0, v96
	v_sub_nc_u32_e32 v5, 0, v96
	v_mov_b32_e32 v98, 0x80
	v_mov_b32_e32 v100, 0xff
	;; [unrolled: 1-line block ×3, first 2 shown]
	v_rcp_iflag_f32_e32 v3, v0
	v_add_co_u32 v0, vcc_lo, v10, v13
	v_mov_b32_e32 v13, 0x7f800001
	v_mov_b32_e32 v21, 0
	;; [unrolled: 1-line block ×6, first 2 shown]
	s_mov_b32 s11, 0
	v_mul_f32_e32 v3, 0x4f7ffffe, v3
	v_cvt_u32_f32_e32 v3, v3
	v_mul_lo_u32 v5, v5, v3
	s_waitcnt vmcnt(0)
	v_lshlrev_b32_e32 v2, 2, v1
	v_add_co_ci_u32_e64 v1, null, v11, v34, vcc_lo
	v_bfrev_b32_e32 v11, 1
	buffer_store_dword v0, off, s[0:3], s32 offset:748 ; 4-byte Folded Spill
	buffer_store_dword v1, off, s[0:3], s32 offset:752 ; 4-byte Folded Spill
	v_add_nc_u32_e32 v0, -1, v16
	buffer_store_dword v0, off, s[0:3], s32 offset:756 ; 4-byte Folded Spill
	s_clause 0x1
	buffer_load_dword v0, off, s[0:3], s32 offset:212
	buffer_load_dword v1, off, s[0:3], s32 offset:216
	buffer_store_dword v6, off, s[0:3], s32 offset:492 ; 4-byte Folded Spill
	v_mov_b32_e32 v6, 0
	buffer_store_dword v67, off, s[0:3], s32 offset:788 ; 4-byte Folded Spill
	buffer_store_dword v6, off, s[0:3], s32 offset:500 ; 4-byte Folded Spill
	v_mov_b32_e32 v6, 0
	buffer_store_dword v6, off, s[0:3], s32 offset:508 ; 4-byte Folded Spill
	v_mov_b32_e32 v6, 0
	;; [unrolled: 2-line block ×5, first 2 shown]
	buffer_store_dword v6, off, s[0:3], s32 offset:540 ; 4-byte Folded Spill
	v_and_b32_e32 v6, 28, v2
	buffer_store_dword v6, off, s[0:3], s32 offset:764 ; 4-byte Folded Spill
	v_and_b32_e32 v6, 0x7c, v2
	v_or_b32_e32 v2, 0xf80, v2
	buffer_store_dword v6, off, s[0:3], s32 offset:772 ; 4-byte Folded Spill
	buffer_store_dword v2, off, s[0:3], s32 offset:780 ; 4-byte Folded Spill
	v_mul_hi_u32 v2, v3, v5
	s_clause 0x1
	buffer_load_dword v5, off, s[0:3], s32 offset:1492
	buffer_load_dword v6, off, s[0:3], s32 offset:1496
	s_waitcnt vmcnt(2)
	v_lshlrev_b64 v[0:1], 2, v[0:1]
	s_waitcnt vmcnt(1)
	v_add_co_u32 v0, vcc_lo, v5, v0
	buffer_load_dword v5, off, s[0:3], s32 offset:1480 ; 4-byte Folded Reload
	s_waitcnt vmcnt(1)
	v_add_co_ci_u32_e64 v1, null, v6, v1, vcc_lo
	v_add_co_u32 v15, vcc_lo, v14, v0
	buffer_load_dword v0, off, s[0:3], s32 offset:1504 ; 4-byte Folded Reload
	v_mov_b32_e32 v6, 0
	s_waitcnt vmcnt(1)
	v_lshl_or_b32 v4, v5, 7, v4
	buffer_load_dword v5, off, s[0:3], s32 offset:1500 ; 4-byte Folded Reload
	s_waitcnt vmcnt(1)
	v_add_co_ci_u32_e64 v16, null, v0, v1, vcc_lo
	v_add_nc_u32_e32 v0, v3, v2
	s_waitcnt lgkmcnt(0)
	v_add_nc_u32_e32 v114, s4, v4
	buffer_store_dword v0, off, s[0:3], s32 offset:692 ; 4-byte Folded Spill
	v_mov_b32_e32 v0, 0
	buffer_store_dword v0, off, s[0:3], s32 offset:548 ; 4-byte Folded Spill
	v_mov_b32_e32 v0, 0
	;; [unrolled: 2-line block ×18, first 2 shown]
	buffer_store_dword v0, off, s[0:3], s32 offset:684 ; 4-byte Folded Spill
	s_branch .LBB239_1062
.LBB239_1060:                           ;   in Loop: Header=BB239_1062 Depth=1
	s_or_b32 exec_lo, exec_lo, s4
	v_mul_f32_e32 v12, v1, v92
	v_mul_f32_e32 v17, v1, v101
	;; [unrolled: 1-line block ×5, first 2 shown]
	v_fmac_f32_e32 v12, v0, v102
	v_fmac_f32_e32 v17, v0, v99
	;; [unrolled: 1-line block ×11, first 2 shown]
	buffer_load_dword v23, off, s[0:3], s32 offset:492 ; 4-byte Folded Reload
	v_fmac_f32_e32 v17, v3, v25
	v_fmac_f32_e32 v18, v3, v88
	;; [unrolled: 1-line block ×4, first 2 shown]
	v_mul_f32_e32 v21, v1, v63
	v_mul_f32_e32 v22, v1, v59
	v_fmac_f32_e32 v21, v0, v62
	v_fmac_f32_e32 v22, v0, v58
	;; [unrolled: 1-line block ×6, first 2 shown]
	s_waitcnt vmcnt(0)
	v_add_f32_e32 v23, v23, v12
	buffer_load_dword v12, off, s[0:3], s32 offset:500 ; 4-byte Folded Reload
	buffer_store_dword v23, off, s[0:3], s32 offset:492 ; 4-byte Folded Spill
	buffer_load_dword v23, off, s[0:3], s32 offset:476 ; 4-byte Folded Reload
	s_waitcnt vmcnt(1)
	v_add_f32_e32 v12, v12, v17
	v_mul_f32_e32 v17, v1, v119
	buffer_store_dword v12, off, s[0:3], s32 offset:500 ; 4-byte Folded Spill
	buffer_load_dword v12, off, s[0:3], s32 offset:508 ; 4-byte Folded Reload
	v_fmac_f32_e32 v17, v0, v118
	v_fmac_f32_e32 v17, v2, v117
	v_fmac_f32_e32 v17, v3, v116
	s_waitcnt vmcnt(0)
	v_add_f32_e32 v12, v12, v18
	v_mul_f32_e32 v18, v1, v87
	buffer_store_dword v12, off, s[0:3], s32 offset:508 ; 4-byte Folded Spill
	buffer_load_dword v12, off, s[0:3], s32 offset:516 ; 4-byte Folded Reload
	v_fmac_f32_e32 v18, v0, v86
	v_fmac_f32_e32 v18, v2, v83
	v_fmac_f32_e32 v18, v3, v82
	;; [unrolled: 8-line block ×4, first 2 shown]
	s_waitcnt vmcnt(0)
	v_add_f32_e32 v12, v12, v21
	buffer_load_dword v21, off, s[0:3], s32 offset:548 ; 4-byte Folded Reload
	buffer_store_dword v12, off, s[0:3], s32 offset:532 ; 4-byte Folded Spill
	buffer_load_dword v12, off, s[0:3], s32 offset:540 ; 4-byte Folded Reload
	s_waitcnt vmcnt(0)
	v_add_f32_e32 v12, v12, v22
	buffer_load_dword v22, off, s[0:3], s32 offset:708 ; 4-byte Folded Reload
	buffer_store_dword v12, off, s[0:3], s32 offset:540 ; 4-byte Folded Spill
	v_mul_f32_e32 v12, v1, v47
	v_fmac_f32_e32 v12, v0, v46
	v_fmac_f32_e32 v12, v2, v45
	;; [unrolled: 1-line block ×3, first 2 shown]
	v_add_f32_e32 v21, v21, v12
	buffer_load_dword v12, off, s[0:3], s32 offset:556 ; 4-byte Folded Reload
	buffer_store_dword v21, off, s[0:3], s32 offset:548 ; 4-byte Folded Spill
	buffer_load_dword v21, off, s[0:3], s32 offset:588 ; 4-byte Folded Reload
	s_waitcnt vmcnt(1)
	v_add_f32_e32 v12, v12, v17
	v_mul_f32_e32 v17, v1, v53
	buffer_store_dword v12, off, s[0:3], s32 offset:556 ; 4-byte Folded Spill
	buffer_load_dword v12, off, s[0:3], s32 offset:564 ; 4-byte Folded Reload
	v_fmac_f32_e32 v17, v0, v52
	v_fmac_f32_e32 v17, v2, v51
	v_fmac_f32_e32 v17, v3, v50
	s_waitcnt vmcnt(0)
	v_add_f32_e32 v12, v12, v18
	v_mul_f32_e32 v18, v1, v49
	buffer_store_dword v12, off, s[0:3], s32 offset:564 ; 4-byte Folded Spill
	buffer_load_dword v12, off, s[0:3], s32 offset:572 ; 4-byte Folded Reload
	v_fmac_f32_e32 v18, v0, v48
	v_fmac_f32_e32 v18, v2, v39
	v_fmac_f32_e32 v18, v3, v38
	;; [unrolled: 8-line block ×3, first 2 shown]
	s_waitcnt vmcnt(0)
	v_add_f32_e32 v12, v12, v20
	v_mul_f32_e32 v20, v1, v33
	buffer_store_dword v12, off, s[0:3], s32 offset:580 ; 4-byte Folded Spill
	v_mul_f32_e32 v12, v1, v65
	v_fmac_f32_e32 v20, v0, v32
	v_fmac_f32_e32 v12, v0, v64
	;; [unrolled: 1-line block ×6, first 2 shown]
	v_add_f32_e32 v21, v21, v12
	buffer_load_dword v12, off, s[0:3], s32 offset:596 ; 4-byte Folded Reload
	buffer_store_dword v21, off, s[0:3], s32 offset:588 ; 4-byte Folded Spill
	buffer_load_dword v21, off, s[0:3], s32 offset:700 ; 4-byte Folded Reload
	s_waitcnt vmcnt(1)
	v_add_f32_e32 v12, v12, v17
	v_mul_f32_e32 v17, v1, v112
	buffer_store_dword v12, off, s[0:3], s32 offset:596 ; 4-byte Folded Spill
	buffer_load_dword v12, off, s[0:3], s32 offset:604 ; 4-byte Folded Reload
	v_fmac_f32_e32 v17, v0, v103
	s_waitcnt vmcnt(1)
	v_add_f32_e32 v21, v21, v18
	v_mul_f32_e32 v18, v1, v127
	v_fmac_f32_e32 v17, v2, v97
	v_fmac_f32_e32 v18, v0, v126
	;; [unrolled: 1-line block ×5, first 2 shown]
	s_waitcnt vmcnt(0)
	v_add_f32_e32 v12, v12, v20
	v_mul_f32_e32 v20, v1, v111
	buffer_store_dword v12, off, s[0:3], s32 offset:604 ; 4-byte Folded Spill
	v_mul_f32_e32 v12, v1, v115
	v_fmac_f32_e32 v20, v0, v110
	v_fmac_f32_e32 v12, v0, v7
	buffer_load_dword v7, off, s[0:3], s32 offset:484 ; 4-byte Folded Reload
	v_fmac_f32_e32 v20, v2, v109
	v_fmac_f32_e32 v12, v2, v6
	buffer_load_dword v6, off, s[0:3], s32 offset:612 ; 4-byte Folded Reload
	v_fmac_f32_e32 v20, v3, v108
	v_fmac_f32_e32 v12, v3, v113
	s_waitcnt vmcnt(1)
	v_mul_f32_e32 v7, v1, v7
	s_waitcnt vmcnt(0)
	v_add_f32_e32 v6, v6, v12
	buffer_load_dword v12, off, s[0:3], s32 offset:452 ; 4-byte Folded Reload
	v_fmac_f32_e32 v7, v0, v23
	buffer_load_dword v23, off, s[0:3], s32 offset:444 ; 4-byte Folded Reload
	buffer_store_dword v6, off, s[0:3], s32 offset:612 ; 4-byte Folded Spill
	buffer_load_dword v6, off, s[0:3], s32 offset:620 ; 4-byte Folded Reload
	s_waitcnt vmcnt(2)
	v_mul_f32_e32 v12, v1, v12
	s_waitcnt vmcnt(0)
	v_add_f32_e32 v6, v6, v17
	buffer_load_dword v17, off, s[0:3], s32 offset:420 ; 4-byte Folded Reload
	v_fmac_f32_e32 v12, v0, v23
	buffer_load_dword v23, off, s[0:3], s32 offset:412 ; 4-byte Folded Reload
	buffer_store_dword v6, off, s[0:3], s32 offset:620 ; 4-byte Folded Spill
	buffer_load_dword v6, off, s[0:3], s32 offset:628 ; 4-byte Folded Reload
	s_waitcnt vmcnt(2)
	v_mul_f32_e32 v17, v1, v17
	s_waitcnt vmcnt(0)
	v_add_f32_e32 v6, v6, v18
	buffer_load_dword v18, off, s[0:3], s32 offset:388 ; 4-byte Folded Reload
	v_fmac_f32_e32 v17, v0, v23
	buffer_load_dword v23, off, s[0:3], s32 offset:380 ; 4-byte Folded Reload
	buffer_store_dword v6, off, s[0:3], s32 offset:628 ; 4-byte Folded Spill
	buffer_load_dword v6, off, s[0:3], s32 offset:716 ; 4-byte Folded Reload
	s_waitcnt vmcnt(2)
	v_mul_f32_e32 v18, v1, v18
	s_waitcnt vmcnt(1)
	v_fmac_f32_e32 v18, v0, v23
	buffer_load_dword v23, off, s[0:3], s32 offset:468 ; 4-byte Folded Reload
	v_add_f32_e32 v22, v22, v19
	v_mul_f32_e32 v19, v1, v123
	v_fmac_f32_e32 v19, v0, v122
	v_fmac_f32_e32 v19, v2, v121
	;; [unrolled: 1-line block ×3, first 2 shown]
	s_waitcnt vmcnt(1)
	v_add_f32_e32 v19, v6, v19
	buffer_load_dword v6, off, s[0:3], s32 offset:724 ; 4-byte Folded Reload
	s_waitcnt vmcnt(1)
	v_fmac_f32_e32 v7, v2, v23
	buffer_load_dword v23, off, s[0:3], s32 offset:436 ; 4-byte Folded Reload
	s_waitcnt vmcnt(1)
	v_add_f32_e32 v20, v6, v20
	v_mul_f32_e32 v6, v1, v107
	v_fmac_f32_e32 v6, v0, v106
	v_fmac_f32_e32 v6, v2, v105
	;; [unrolled: 1-line block ×3, first 2 shown]
	buffer_load_dword v14, off, s[0:3], s32 offset:460 ; 4-byte Folded Reload
	s_waitcnt vmcnt(1)
	v_fmac_f32_e32 v12, v2, v23
	buffer_load_dword v23, off, s[0:3], s32 offset:404 ; 4-byte Folded Reload
	s_waitcnt vmcnt(1)
	v_fmac_f32_e32 v7, v3, v14
	;; [unrolled: 3-line block ×5, first 2 shown]
	buffer_load_dword v14, off, s[0:3], s32 offset:364 ; 4-byte Folded Reload
	v_fmac_f32_e32 v18, v2, v23
	buffer_load_dword v23, off, s[0:3], s32 offset:636 ; 4-byte Folded Reload
	s_waitcnt vmcnt(1)
	v_fmac_f32_e32 v18, v3, v14
	buffer_load_dword v14, off, s[0:3], s32 offset:260 ; 4-byte Folded Reload
	s_waitcnt vmcnt(1)
	v_add_f32_e32 v23, v23, v6
	buffer_load_dword v6, off, s[0:3], s32 offset:644 ; 4-byte Folded Reload
	buffer_store_dword v23, off, s[0:3], s32 offset:636 ; 4-byte Folded Spill
	s_waitcnt vmcnt(0)
	v_add_f32_e32 v6, v6, v7
	buffer_load_dword v7, off, s[0:3], s32 offset:324 ; 4-byte Folded Reload
	buffer_store_dword v6, off, s[0:3], s32 offset:644 ; 4-byte Folded Spill
	buffer_load_dword v6, off, s[0:3], s32 offset:652 ; 4-byte Folded Reload
	s_waitcnt vmcnt(0)
	v_add_f32_e32 v6, v6, v12
	buffer_load_dword v12, off, s[0:3], s32 offset:292 ; 4-byte Folded Reload
	v_mul_f32_e32 v7, v1, v7
	buffer_store_dword v6, off, s[0:3], s32 offset:652 ; 4-byte Folded Spill
	buffer_load_dword v6, off, s[0:3], s32 offset:660 ; 4-byte Folded Reload
	s_waitcnt vmcnt(1)
	v_mul_f32_e32 v12, v1, v12
	s_waitcnt vmcnt(0)
	v_add_f32_e32 v6, v6, v17
	v_mul_f32_e32 v17, v1, v14
	buffer_store_dword v6, off, s[0:3], s32 offset:660 ; 4-byte Folded Spill
	buffer_load_dword v6, off, s[0:3], s32 offset:668 ; 4-byte Folded Reload
	s_waitcnt vmcnt(0)
	v_add_f32_e32 v6, v6, v18
	buffer_store_dword v6, off, s[0:3], s32 offset:668 ; 4-byte Folded Spill
	buffer_load_dword v6, off, s[0:3], s32 offset:356 ; 4-byte Folded Reload
	s_waitcnt vmcnt(0)
	v_mul_f32_e32 v6, v1, v6
	v_mul_f32_e32 v1, v1, v10
	buffer_load_dword v10, off, s[0:3], s32 offset:348 ; 4-byte Folded Reload
	v_fmac_f32_e32 v1, v0, v8
	v_fmac_f32_e32 v1, v2, v5
	;; [unrolled: 1-line block ×3, first 2 shown]
	v_add_f32_e32 v95, v95, v1
	s_waitcnt vmcnt(0)
	v_fmac_f32_e32 v6, v0, v10
	buffer_load_dword v10, off, s[0:3], s32 offset:316 ; 4-byte Folded Reload
	s_waitcnt vmcnt(0)
	v_fmac_f32_e32 v7, v0, v10
	buffer_load_dword v10, off, s[0:3], s32 offset:284 ; 4-byte Folded Reload
	;; [unrolled: 3-line block ×12, first 2 shown]
	s_waitcnt vmcnt(0)
	v_add_f32_e32 v6, v0, v6
	buffer_load_dword v0, off, s[0:3], s32 offset:676 ; 4-byte Folded Reload
	s_waitcnt vmcnt(0)
	v_add_f32_e32 v0, v0, v7
	buffer_store_dword v0, off, s[0:3], s32 offset:676 ; 4-byte Folded Spill
	buffer_load_dword v0, off, s[0:3], s32 offset:684 ; 4-byte Folded Reload
	s_waitcnt vmcnt(0)
	v_add_f32_e32 v0, v0, v12
	buffer_store_dword v0, off, s[0:3], s32 offset:684 ; 4-byte Folded Spill
	buffer_load_dword v0, off, s[0:3], s32 offset:740 ; 4-byte Folded Reload
	s_waitcnt vmcnt(0)
	v_add_f32_e32 v17, v0, v17
.LBB239_1061:                           ;   in Loop: Header=BB239_1062 Depth=1
	s_or_b32 exec_lo, exec_lo, s12
	s_clause 0x1
	buffer_load_dword v0, off, s[0:3], s32 offset:212
	buffer_load_dword v1, off, s[0:3], s32 offset:216
	v_mov_b32_e32 v5, v84
	v_add_co_u32 v15, s4, v15, 16
	v_add_co_ci_u32_e64 v16, null, 0, v16, s4
	v_add_nc_u32_e32 v5, 0x80, v5
	v_add_nc_u32_e32 v114, 0x200, v114
	s_waitcnt vmcnt(0)
	v_mov_b32_e32 v1, v0
	v_add_nc_u32_e32 v1, 4, v1
	v_mov_b32_e32 v0, v1
	buffer_store_dword v0, off, s[0:3], s32 offset:212 ; 4-byte Folded Spill
	buffer_store_dword v1, off, s[0:3], s32 offset:216 ; 4-byte Folded Spill
	buffer_load_dword v0, off, s[0:3], s32 offset:244 ; 4-byte Folded Reload
	s_waitcnt vmcnt(0)
	v_cmp_ge_i32_e32 vcc_lo, v1, v0
	s_or_b32 s11, vcc_lo, s11
	s_andn2_b32 exec_lo, exec_lo, s11
	s_cbranch_execz .LBB239_2151
.LBB239_1062:                           ; =>This Inner Loop Header: Depth=1
	s_clause 0x1
	buffer_load_dword v1, off, s[0:3], s32 offset:248
	buffer_load_dword v4, off, s[0:3], s32 offset:228
	s_waitcnt vmcnt(2)
	v_sub_nc_u32_e32 v0, 0, v5
	v_mov_b32_e32 v84, v5
	v_max_i32_e32 v0, v5, v0
	s_waitcnt vmcnt(1)
	v_mul_hi_u32 v1, v0, v1
	s_waitcnt vmcnt(0)
	v_mul_lo_u32 v2, v1, v4
	v_sub_nc_u32_e32 v0, v0, v2
	v_add_nc_u32_e32 v2, 1, v1
	v_cmp_ge_u32_e32 vcc_lo, v0, v4
	v_sub_nc_u32_e32 v3, v0, v4
	v_cndmask_b32_e32 v1, v1, v2, vcc_lo
	v_ashrrev_i32_e32 v2, 31, v5
	buffer_load_dword v5, off, s[0:3], s32 offset:240 ; 4-byte Folded Reload
	v_cndmask_b32_e32 v0, v0, v3, vcc_lo
	v_add_nc_u32_e32 v3, 1, v1
	v_cmp_ge_u32_e32 vcc_lo, v0, v4
	v_cndmask_b32_e32 v0, v1, v3, vcc_lo
	s_waitcnt vmcnt(0)
	v_xor_b32_e32 v2, v2, v5
	v_xor_b32_e32 v0, v0, v2
	v_sub_nc_u32_e32 v0, v0, v2
	s_clause 0x2
	buffer_load_dword v1, off, s[0:3], s32 offset:232
	buffer_load_dword v2, off, s[0:3], s32 offset:236
	;; [unrolled: 1-line block ×3, first 2 shown]
	s_waitcnt vmcnt(2)
	v_add_nc_u32_e32 v1, v0, v1
	s_waitcnt vmcnt(1)
	v_sub_nc_u32_e32 v2, 0, v1
	v_max_i32_e32 v2, v1, v2
	v_ashrrev_i32_e32 v1, 31, v1
	s_waitcnt vmcnt(0)
	v_mul_hi_u32 v3, v2, v3
	v_mul_lo_u32 v3, v3, v96
	v_sub_nc_u32_e32 v2, v2, v3
	v_sub_nc_u32_e32 v3, v2, v96
	v_cmp_ge_u32_e32 vcc_lo, v2, v96
	v_cndmask_b32_e32 v2, v2, v3, vcc_lo
	v_sub_nc_u32_e32 v3, v2, v96
	v_cmp_ge_u32_e32 vcc_lo, v2, v96
	v_cndmask_b32_e32 v2, v2, v3, vcc_lo
	v_xor_b32_e32 v2, v2, v1
	v_sub_nc_u32_e32 v1, v2, v1
	v_cmp_eq_u32_e32 vcc_lo, 0, v1
	buffer_load_dword v1, off, s[0:3], s32 offset:252 ; 4-byte Folded Reload
	s_waitcnt vmcnt(0)
	v_cmp_gt_i32_e64 s4, v0, v1
	s_or_b32 s4, vcc_lo, s4
	s_and_saveexec_b32 s12, s4
	s_cbranch_execz .LBB239_1061
; %bb.1063:                             ;   in Loop: Header=BB239_1062 Depth=1
	buffer_store_dword v17, off, s[0:3], s32 offset:740 ; 4-byte Folded Spill
	buffer_store_dword v6, off, s[0:3], s32 offset:732 ; 4-byte Folded Spill
	;; [unrolled: 1-line block ×6, first 2 shown]
	flat_load_dword v0, v[15:16]
	s_clause 0x2
	buffer_load_dword v1, off, s[0:3], s32 offset:836
	buffer_load_dword v2, off, s[0:3], s32 offset:748
	;; [unrolled: 1-line block ×3, first 2 shown]
	v_mov_b32_e32 v21, 0
	v_mov_b32_e32 v4, 0
	;; [unrolled: 1-line block ×4, first 2 shown]
	s_waitcnt vmcnt(0) lgkmcnt(0)
	v_mad_i64_i32 v[17:18], null, v0, v1, v[2:3]
	buffer_load_dword v0, off, s[0:3], s32 offset:772 ; 4-byte Folded Reload
	s_waitcnt vmcnt(0)
	v_add_co_u32 v19, vcc_lo, v17, v0
	v_add_co_ci_u32_e64 v20, null, 0, v18, vcc_lo
	flat_load_dword v6, v[19:20]
	s_clause 0x1
	buffer_load_dword v0, off, s[0:3], s32 offset:932
	buffer_load_dword v1, off, s[0:3], s32 offset:936
	s_waitcnt vmcnt(2) lgkmcnt(0)
	v_cmp_ne_u16_sdwa s13, v6, v9 src0_sel:BYTE_0 src1_sel:DWORD
	s_waitcnt vmcnt(0)
	flat_load_dword v40, v[0:1]
	ds_read_b128 v[0:3], v114
	s_and_saveexec_b32 s4, s13
	s_cbranch_execz .LBB239_1071
; %bb.1064:                             ;   in Loop: Header=BB239_1062 Depth=1
	v_bfrev_b32_e32 v4, 1
	v_mov_b32_e32 v5, 0
	v_cmp_ne_u16_sdwa s15, v6, v98 src0_sel:BYTE_0 src1_sel:DWORD
	s_and_saveexec_b32 s13, s15
	s_cbranch_execz .LBB239_1070
; %bb.1065:                             ;   in Loop: Header=BB239_1062 Depth=1
	v_mov_b32_e32 v4, 0x7f800001
	v_and_b32_e32 v7, 0x7f, v6
	v_mov_b32_e32 v5, 0
	s_mov_b32 s15, exec_lo
	v_cmpx_ne_u32_e32 0x7f, v7
	s_cbranch_execz .LBB239_1069
; %bb.1066:                             ;   in Loop: Header=BB239_1062 Depth=1
	v_and_b32_e32 v8, 7, v6
	v_lshrrev_b32_e32 v4, 3, v7
	s_mov_b32 s16, exec_lo
	v_cmpx_gt_u32_e32 8, v7
; %bb.1067:                             ;   in Loop: Header=BB239_1062 Depth=1
	v_ffbh_u32_e32 v4, v8
	v_min_u32_e32 v4, 32, v4
	v_subrev_nc_u32_e32 v5, 28, v4
	v_sub_nc_u32_e32 v4, 29, v4
	v_lshlrev_b64 v[7:8], v5, v[8:9]
	v_and_b32_e32 v8, 7, v7
; %bb.1068:                             ;   in Loop: Header=BB239_1062 Depth=1
	s_or_b32 exec_lo, exec_lo, s16
	v_lshlrev_b32_e32 v5, 24, v6
	v_lshlrev_b32_e32 v7, 20, v8
	v_lshl_add_u32 v4, v4, 23, 0x3c000000
	v_and_b32_e32 v5, 0x80000000, v5
	v_or3_b32 v8, v7, v5, v4
	v_mov_b32_e32 v4, v8
	v_mov_b32_e32 v5, v9
.LBB239_1069:                           ;   in Loop: Header=BB239_1062 Depth=1
	s_or_b32 exec_lo, exec_lo, s15
.LBB239_1070:                           ;   in Loop: Header=BB239_1062 Depth=1
	s_or_b32 exec_lo, exec_lo, s13
.LBB239_1071:                           ;   in Loop: Header=BB239_1062 Depth=1
	s_or_b32 exec_lo, exec_lo, s4
	v_cmp_ne_u16_sdwa s13, v6, v9 src0_sel:BYTE_1 src1_sel:DWORD
	s_and_saveexec_b32 s4, s13
	s_cbranch_execz .LBB239_1079
; %bb.1072:                             ;   in Loop: Header=BB239_1062 Depth=1
	v_mov_b32_e32 v10, v9
	v_mov_b32_e32 v22, v11
	v_cmp_ne_u16_sdwa s15, v6, v98 src0_sel:BYTE_1 src1_sel:DWORD
	v_mov_b32_e32 v21, v10
	s_and_saveexec_b32 s13, s15
	s_cbranch_execz .LBB239_1078
; %bb.1073:                             ;   in Loop: Header=BB239_1062 Depth=1
	v_mov_b32_e32 v7, 0xffff
	v_mov_b32_e32 v12, v9
	v_mov_b32_e32 v22, v13
	s_mov_b32 s15, exec_lo
	v_and_b32_sdwa v7, v7, v6 dst_sel:DWORD dst_unused:UNUSED_PAD src0_sel:DWORD src1_sel:BYTE_1
	v_mov_b32_e32 v21, v12
	v_and_b32_e32 v10, 0x7f, v7
	v_cmpx_ne_u32_e32 0x7f, v10
	s_cbranch_execz .LBB239_1077
; %bb.1074:                             ;   in Loop: Header=BB239_1062 Depth=1
	v_and_b32_e32 v8, 7, v7
	v_lshrrev_b32_e32 v7, 3, v10
	s_mov_b32 s16, exec_lo
	v_cmpx_gt_u32_e32 8, v10
; %bb.1075:                             ;   in Loop: Header=BB239_1062 Depth=1
	v_ffbh_u32_e32 v7, v8
	v_min_u32_e32 v7, 32, v7
	v_subrev_nc_u32_e32 v10, 28, v7
	v_sub_nc_u32_e32 v7, 29, v7
	v_lshlrev_b64 v[21:22], v10, v[8:9]
	v_and_b32_e32 v8, 7, v21
; %bb.1076:                             ;   in Loop: Header=BB239_1062 Depth=1
	s_or_b32 exec_lo, exec_lo, s16
	v_lshlrev_b32_e32 v10, 16, v6
	v_lshlrev_b32_e32 v8, 20, v8
	v_lshl_add_u32 v7, v7, 23, 0x3c000000
	v_mov_b32_e32 v21, v9
	v_and_b32_e32 v10, 0x80000000, v10
	v_or3_b32 v22, v8, v10, v7
.LBB239_1077:                           ;   in Loop: Header=BB239_1062 Depth=1
	s_or_b32 exec_lo, exec_lo, s15
.LBB239_1078:                           ;   in Loop: Header=BB239_1062 Depth=1
	s_or_b32 exec_lo, exec_lo, s13
.LBB239_1079:                           ;   in Loop: Header=BB239_1062 Depth=1
	s_or_b32 exec_lo, exec_lo, s4
	v_mov_b32_e32 v25, 0
	v_mov_b32_e32 v23, 0
	v_and_b32_sdwa v7, v6, v100 dst_sel:DWORD dst_unused:UNUSED_PAD src0_sel:WORD_1 src1_sel:DWORD
	v_mov_b32_e32 v26, 0
	v_mov_b32_e32 v24, 0
	s_mov_b32 s4, exec_lo
	v_cmpx_ne_u16_e32 0, v7
	s_cbranch_execz .LBB239_1087
; %bb.1080:                             ;   in Loop: Header=BB239_1062 Depth=1
	v_bfrev_b32_e32 v23, 1
	v_mov_b32_e32 v24, 0
	s_mov_b32 s13, exec_lo
	v_cmpx_ne_u16_e32 0x80, v7
	s_cbranch_execz .LBB239_1086
; %bb.1081:                             ;   in Loop: Header=BB239_1062 Depth=1
	v_mov_b32_e32 v23, 0x7f800001
	v_bfe_u32 v10, v6, 16, 7
	v_mov_b32_e32 v24, 0
	s_mov_b32 s15, exec_lo
	v_cmpx_ne_u32_e32 0x7f, v10
	s_cbranch_execz .LBB239_1085
; %bb.1082:                             ;   in Loop: Header=BB239_1062 Depth=1
	v_mov_b32_e32 v7, 7
	s_mov_b32 s16, exec_lo
	v_and_b32_sdwa v8, v6, v7 dst_sel:DWORD dst_unused:UNUSED_PAD src0_sel:WORD_1 src1_sel:DWORD
	v_lshrrev_b32_e32 v7, 3, v10
	v_cmpx_gt_u32_e32 8, v10
; %bb.1083:                             ;   in Loop: Header=BB239_1062 Depth=1
	v_ffbh_u32_e32 v7, v8
	v_min_u32_e32 v7, 32, v7
	v_subrev_nc_u32_e32 v10, 28, v7
	v_sub_nc_u32_e32 v7, 29, v7
	v_lshlrev_b64 v[23:24], v10, v[8:9]
	v_and_b32_e32 v8, 7, v23
; %bb.1084:                             ;   in Loop: Header=BB239_1062 Depth=1
	s_or_b32 exec_lo, exec_lo, s16
	v_mov_b32_e32 v10, 24
	v_lshlrev_b32_e32 v8, 20, v8
	v_lshl_add_u32 v7, v7, 23, 0x3c000000
	v_lshlrev_b32_sdwa v10, v10, v6 dst_sel:DWORD dst_unused:UNUSED_PAD src0_sel:DWORD src1_sel:WORD_1
	v_and_b32_e32 v10, 0x80000000, v10
	v_or3_b32 v8, v8, v10, v7
	v_mov_b32_e32 v24, v9
	v_mov_b32_e32 v23, v8
.LBB239_1085:                           ;   in Loop: Header=BB239_1062 Depth=1
	s_or_b32 exec_lo, exec_lo, s15
.LBB239_1086:                           ;   in Loop: Header=BB239_1062 Depth=1
	s_or_b32 exec_lo, exec_lo, s13
.LBB239_1087:                           ;   in Loop: Header=BB239_1062 Depth=1
	s_or_b32 exec_lo, exec_lo, s4
	s_mov_b32 s4, exec_lo
	v_cmpx_lt_u32_e32 0xffffff, v6
	s_cbranch_execz .LBB239_1095
; %bb.1088:                             ;   in Loop: Header=BB239_1062 Depth=1
	v_mov_b32_e32 v10, v9
	v_mov_b32_e32 v26, v11
	v_cmp_ne_u32_sdwa s15, v6, v98 src0_sel:BYTE_3 src1_sel:DWORD
	v_mov_b32_e32 v25, v10
	s_and_saveexec_b32 s13, s15
	s_cbranch_execz .LBB239_1094
; %bb.1089:                             ;   in Loop: Header=BB239_1062 Depth=1
	v_mov_b32_e32 v12, v9
	v_mov_b32_e32 v26, v13
	v_bfe_u32 v10, v6, 24, 7
	s_mov_b32 s15, exec_lo
	v_mov_b32_e32 v25, v12
	v_cmpx_ne_u32_e32 0x7f, v10
	s_cbranch_execz .LBB239_1093
; %bb.1090:                             ;   in Loop: Header=BB239_1062 Depth=1
	v_mov_b32_e32 v7, 7
	s_mov_b32 s16, exec_lo
	v_and_b32_sdwa v8, v6, v7 dst_sel:DWORD dst_unused:UNUSED_PAD src0_sel:BYTE_3 src1_sel:DWORD
	v_lshrrev_b32_e32 v7, 3, v10
	v_cmpx_gt_u32_e32 8, v10
; %bb.1091:                             ;   in Loop: Header=BB239_1062 Depth=1
	v_ffbh_u32_e32 v7, v8
	v_min_u32_e32 v7, 32, v7
	v_subrev_nc_u32_e32 v10, 28, v7
	v_sub_nc_u32_e32 v7, 29, v7
	v_lshlrev_b64 v[25:26], v10, v[8:9]
	v_and_b32_e32 v8, 7, v25
; %bb.1092:                             ;   in Loop: Header=BB239_1062 Depth=1
	s_or_b32 exec_lo, exec_lo, s16
	v_mov_b32_e32 v10, 24
	v_lshlrev_b32_e32 v8, 20, v8
	v_lshl_add_u32 v7, v7, 23, 0x3c000000
	v_mov_b32_e32 v25, v9
	v_lshlrev_b32_sdwa v6, v10, v6 dst_sel:DWORD dst_unused:UNUSED_PAD src0_sel:DWORD src1_sel:BYTE_3
	v_and_b32_e32 v6, 0x80000000, v6
	v_or3_b32 v26, v8, v6, v7
.LBB239_1093:                           ;   in Loop: Header=BB239_1062 Depth=1
	s_or_b32 exec_lo, exec_lo, s15
.LBB239_1094:                           ;   in Loop: Header=BB239_1062 Depth=1
	s_or_b32 exec_lo, exec_lo, s13
.LBB239_1095:                           ;   in Loop: Header=BB239_1062 Depth=1
	s_or_b32 exec_lo, exec_lo, s4
	buffer_load_dword v6, off, s[0:3], s32 offset:764 ; 4-byte Folded Reload
	v_or_b32_e32 v5, v22, v5
	v_or_b32_e32 v4, v21, v4
	s_clause 0x2
	buffer_load_dword v21, off, s[0:3], s32 offset:212
	buffer_load_dword v22, off, s[0:3], s32 offset:216
	;; [unrolled: 1-line block ×3, first 2 shown]
	v_or_b32_e32 v7, v26, v24
	s_waitcnt vmcnt(4) lgkmcnt(1)
	v_mul_f32_e32 v5, v40, v5
	v_mul_f32_e32 v4, v40, v4
	buffer_store_dword v5, off, s[0:3], s32 offset:260 ; 4-byte Folded Spill
	buffer_store_dword v4, off, s[0:3], s32 offset:256 ; 4-byte Folded Spill
	s_waitcnt vmcnt(3)
	v_add_nc_u32_e32 v85, v6, v84
	v_or_b32_e32 v6, v25, v23
	s_waitcnt vmcnt(0)
	v_cmp_eq_u32_e32 vcc_lo, v8, v21
	v_add_nc_u32_e32 v43, 1, v85
	v_mul_f32_e32 v4, v40, v6
	v_add_nc_u32_e32 v42, 2, v85
	v_add_nc_u32_e32 v41, 3, v85
	buffer_store_dword v4, off, s[0:3], s32 offset:220 ; 4-byte Folded Spill
	v_mul_f32_e32 v4, v40, v7
	buffer_store_dword v4, off, s[0:3], s32 offset:200 ; 4-byte Folded Spill
	s_and_saveexec_b32 s13, vcc_lo
	s_cbranch_execz .LBB239_1097
; %bb.1096:                             ;   in Loop: Header=BB239_1062 Depth=1
	s_clause 0x1
	buffer_load_dword v4, off, s[0:3], s32 offset:208
	buffer_load_dword v5, off, s[0:3], s32 offset:256
	s_waitcnt vmcnt(1)
	v_cmp_lt_i32_e64 s4, v85, v4
	s_waitcnt vmcnt(0)
	v_cndmask_b32_e64 v5, 0, v5, s4
	v_cmp_lt_i32_e64 s4, v43, v4
	buffer_store_dword v5, off, s[0:3], s32 offset:256 ; 4-byte Folded Spill
	buffer_load_dword v5, off, s[0:3], s32 offset:260 ; 4-byte Folded Reload
	s_waitcnt vmcnt(0)
	v_cndmask_b32_e64 v5, 0, v5, s4
	v_cmp_lt_i32_e64 s4, v42, v4
	buffer_store_dword v5, off, s[0:3], s32 offset:260 ; 4-byte Folded Spill
	buffer_load_dword v5, off, s[0:3], s32 offset:220 ; 4-byte Folded Reload
	s_waitcnt vmcnt(0)
	v_cndmask_b32_e64 v5, 0, v5, s4
	v_cmp_lt_i32_e64 s4, v41, v4
	buffer_load_dword v4, off, s[0:3], s32 offset:200 ; 4-byte Folded Reload
	buffer_store_dword v5, off, s[0:3], s32 offset:220 ; 4-byte Folded Spill
	s_waitcnt vmcnt(0)
	v_cndmask_b32_e64 v4, 0, v4, s4
	buffer_store_dword v4, off, s[0:3], s32 offset:200 ; 4-byte Folded Spill
.LBB239_1097:                           ;   in Loop: Header=BB239_1062 Depth=1
	s_or_b32 exec_lo, exec_lo, s13
	flat_load_dword v6, v[19:20] offset:128
	v_mov_b32_e32 v21, 0
	v_mov_b32_e32 v4, 0
	;; [unrolled: 1-line block ×4, first 2 shown]
	s_waitcnt vmcnt(0) lgkmcnt(0)
	v_cmp_ne_u16_sdwa s4, v6, v9 src0_sel:BYTE_0 src1_sel:DWORD
	s_and_saveexec_b32 s13, s4
	s_cbranch_execz .LBB239_1105
; %bb.1098:                             ;   in Loop: Header=BB239_1062 Depth=1
	v_bfrev_b32_e32 v4, 1
	v_mov_b32_e32 v5, 0
	v_cmp_ne_u16_sdwa s4, v6, v98 src0_sel:BYTE_0 src1_sel:DWORD
	s_and_saveexec_b32 s15, s4
	s_cbranch_execz .LBB239_1104
; %bb.1099:                             ;   in Loop: Header=BB239_1062 Depth=1
	v_mov_b32_e32 v4, 0x7f800001
	v_and_b32_e32 v7, 0x7f, v6
	v_mov_b32_e32 v5, 0
	s_mov_b32 s16, exec_lo
	v_cmpx_ne_u32_e32 0x7f, v7
	s_cbranch_execz .LBB239_1103
; %bb.1100:                             ;   in Loop: Header=BB239_1062 Depth=1
	v_and_b32_e32 v8, 7, v6
	v_lshrrev_b32_e32 v4, 3, v7
	s_mov_b32 s17, exec_lo
	v_cmpx_gt_u32_e32 8, v7
; %bb.1101:                             ;   in Loop: Header=BB239_1062 Depth=1
	v_ffbh_u32_e32 v4, v8
	v_min_u32_e32 v4, 32, v4
	v_subrev_nc_u32_e32 v5, 28, v4
	v_sub_nc_u32_e32 v4, 29, v4
	v_lshlrev_b64 v[7:8], v5, v[8:9]
	v_and_b32_e32 v8, 7, v7
; %bb.1102:                             ;   in Loop: Header=BB239_1062 Depth=1
	s_or_b32 exec_lo, exec_lo, s17
	v_lshlrev_b32_e32 v5, 24, v6
	v_lshlrev_b32_e32 v7, 20, v8
	v_lshl_add_u32 v4, v4, 23, 0x3c000000
	v_and_b32_e32 v5, 0x80000000, v5
	v_or3_b32 v8, v7, v5, v4
	v_mov_b32_e32 v4, v8
	v_mov_b32_e32 v5, v9
.LBB239_1103:                           ;   in Loop: Header=BB239_1062 Depth=1
	s_or_b32 exec_lo, exec_lo, s16
.LBB239_1104:                           ;   in Loop: Header=BB239_1062 Depth=1
	s_or_b32 exec_lo, exec_lo, s15
.LBB239_1105:                           ;   in Loop: Header=BB239_1062 Depth=1
	s_or_b32 exec_lo, exec_lo, s13
	v_cmp_ne_u16_sdwa s4, v6, v9 src0_sel:BYTE_1 src1_sel:DWORD
	s_and_saveexec_b32 s13, s4
	s_cbranch_execz .LBB239_1113
; %bb.1106:                             ;   in Loop: Header=BB239_1062 Depth=1
	v_mov_b32_e32 v10, v9
	v_mov_b32_e32 v22, v11
	v_cmp_ne_u16_sdwa s4, v6, v98 src0_sel:BYTE_1 src1_sel:DWORD
	v_mov_b32_e32 v21, v10
	s_and_saveexec_b32 s15, s4
	s_cbranch_execz .LBB239_1112
; %bb.1107:                             ;   in Loop: Header=BB239_1062 Depth=1
	v_mov_b32_e32 v7, 0xffff
	v_mov_b32_e32 v12, v9
	;; [unrolled: 1-line block ×3, first 2 shown]
	s_mov_b32 s16, exec_lo
	v_and_b32_sdwa v7, v7, v6 dst_sel:DWORD dst_unused:UNUSED_PAD src0_sel:DWORD src1_sel:BYTE_1
	v_mov_b32_e32 v21, v12
	v_and_b32_e32 v10, 0x7f, v7
	v_cmpx_ne_u32_e32 0x7f, v10
	s_cbranch_execz .LBB239_1111
; %bb.1108:                             ;   in Loop: Header=BB239_1062 Depth=1
	v_and_b32_e32 v8, 7, v7
	v_lshrrev_b32_e32 v7, 3, v10
	s_mov_b32 s17, exec_lo
	v_cmpx_gt_u32_e32 8, v10
; %bb.1109:                             ;   in Loop: Header=BB239_1062 Depth=1
	v_ffbh_u32_e32 v7, v8
	v_min_u32_e32 v7, 32, v7
	v_subrev_nc_u32_e32 v10, 28, v7
	v_sub_nc_u32_e32 v7, 29, v7
	v_lshlrev_b64 v[21:22], v10, v[8:9]
	v_and_b32_e32 v8, 7, v21
; %bb.1110:                             ;   in Loop: Header=BB239_1062 Depth=1
	s_or_b32 exec_lo, exec_lo, s17
	v_lshlrev_b32_e32 v10, 16, v6
	v_lshlrev_b32_e32 v8, 20, v8
	v_lshl_add_u32 v7, v7, 23, 0x3c000000
	v_mov_b32_e32 v21, v9
	v_and_b32_e32 v10, 0x80000000, v10
	v_or3_b32 v22, v8, v10, v7
.LBB239_1111:                           ;   in Loop: Header=BB239_1062 Depth=1
	s_or_b32 exec_lo, exec_lo, s16
.LBB239_1112:                           ;   in Loop: Header=BB239_1062 Depth=1
	s_or_b32 exec_lo, exec_lo, s15
.LBB239_1113:                           ;   in Loop: Header=BB239_1062 Depth=1
	s_or_b32 exec_lo, exec_lo, s13
	v_mov_b32_e32 v25, 0
	v_mov_b32_e32 v23, 0
	v_and_b32_sdwa v7, v6, v100 dst_sel:DWORD dst_unused:UNUSED_PAD src0_sel:WORD_1 src1_sel:DWORD
	v_mov_b32_e32 v26, 0
	v_mov_b32_e32 v24, 0
	s_mov_b32 s13, exec_lo
	v_cmpx_ne_u16_e32 0, v7
	s_cbranch_execz .LBB239_1121
; %bb.1114:                             ;   in Loop: Header=BB239_1062 Depth=1
	v_bfrev_b32_e32 v23, 1
	v_mov_b32_e32 v24, 0
	s_mov_b32 s15, exec_lo
	v_cmpx_ne_u16_e32 0x80, v7
	s_cbranch_execz .LBB239_1120
; %bb.1115:                             ;   in Loop: Header=BB239_1062 Depth=1
	v_mov_b32_e32 v23, 0x7f800001
	v_bfe_u32 v10, v6, 16, 7
	v_mov_b32_e32 v24, 0
	s_mov_b32 s16, exec_lo
	v_cmpx_ne_u32_e32 0x7f, v10
	s_cbranch_execz .LBB239_1119
; %bb.1116:                             ;   in Loop: Header=BB239_1062 Depth=1
	v_mov_b32_e32 v7, 7
	s_mov_b32 s17, exec_lo
	v_and_b32_sdwa v8, v6, v7 dst_sel:DWORD dst_unused:UNUSED_PAD src0_sel:WORD_1 src1_sel:DWORD
	v_lshrrev_b32_e32 v7, 3, v10
	v_cmpx_gt_u32_e32 8, v10
; %bb.1117:                             ;   in Loop: Header=BB239_1062 Depth=1
	v_ffbh_u32_e32 v7, v8
	v_min_u32_e32 v7, 32, v7
	v_subrev_nc_u32_e32 v10, 28, v7
	v_sub_nc_u32_e32 v7, 29, v7
	v_lshlrev_b64 v[23:24], v10, v[8:9]
	v_and_b32_e32 v8, 7, v23
; %bb.1118:                             ;   in Loop: Header=BB239_1062 Depth=1
	s_or_b32 exec_lo, exec_lo, s17
	v_mov_b32_e32 v10, 24
	v_lshlrev_b32_e32 v8, 20, v8
	v_lshl_add_u32 v7, v7, 23, 0x3c000000
	v_lshlrev_b32_sdwa v10, v10, v6 dst_sel:DWORD dst_unused:UNUSED_PAD src0_sel:DWORD src1_sel:WORD_1
	v_and_b32_e32 v10, 0x80000000, v10
	v_or3_b32 v8, v8, v10, v7
	v_mov_b32_e32 v24, v9
	v_mov_b32_e32 v23, v8
.LBB239_1119:                           ;   in Loop: Header=BB239_1062 Depth=1
	s_or_b32 exec_lo, exec_lo, s16
.LBB239_1120:                           ;   in Loop: Header=BB239_1062 Depth=1
	s_or_b32 exec_lo, exec_lo, s15
.LBB239_1121:                           ;   in Loop: Header=BB239_1062 Depth=1
	s_or_b32 exec_lo, exec_lo, s13
	s_mov_b32 s13, exec_lo
	v_cmpx_lt_u32_e32 0xffffff, v6
	s_cbranch_execz .LBB239_1129
; %bb.1122:                             ;   in Loop: Header=BB239_1062 Depth=1
	v_mov_b32_e32 v10, v9
	v_mov_b32_e32 v26, v11
	v_cmp_ne_u32_sdwa s4, v6, v98 src0_sel:BYTE_3 src1_sel:DWORD
	v_mov_b32_e32 v25, v10
	s_and_saveexec_b32 s15, s4
	s_cbranch_execz .LBB239_1128
; %bb.1123:                             ;   in Loop: Header=BB239_1062 Depth=1
	v_mov_b32_e32 v12, v9
	v_mov_b32_e32 v26, v13
	v_bfe_u32 v10, v6, 24, 7
	s_mov_b32 s16, exec_lo
	v_mov_b32_e32 v25, v12
	v_cmpx_ne_u32_e32 0x7f, v10
	s_cbranch_execz .LBB239_1127
; %bb.1124:                             ;   in Loop: Header=BB239_1062 Depth=1
	v_mov_b32_e32 v7, 7
	s_mov_b32 s17, exec_lo
	v_and_b32_sdwa v8, v6, v7 dst_sel:DWORD dst_unused:UNUSED_PAD src0_sel:BYTE_3 src1_sel:DWORD
	v_lshrrev_b32_e32 v7, 3, v10
	v_cmpx_gt_u32_e32 8, v10
; %bb.1125:                             ;   in Loop: Header=BB239_1062 Depth=1
	v_ffbh_u32_e32 v7, v8
	v_min_u32_e32 v7, 32, v7
	v_subrev_nc_u32_e32 v10, 28, v7
	v_sub_nc_u32_e32 v7, 29, v7
	v_lshlrev_b64 v[25:26], v10, v[8:9]
	v_and_b32_e32 v8, 7, v25
; %bb.1126:                             ;   in Loop: Header=BB239_1062 Depth=1
	s_or_b32 exec_lo, exec_lo, s17
	v_mov_b32_e32 v10, 24
	v_lshlrev_b32_e32 v8, 20, v8
	v_lshl_add_u32 v7, v7, 23, 0x3c000000
	v_mov_b32_e32 v25, v9
	v_lshlrev_b32_sdwa v6, v10, v6 dst_sel:DWORD dst_unused:UNUSED_PAD src0_sel:DWORD src1_sel:BYTE_3
	v_and_b32_e32 v6, 0x80000000, v6
	v_or3_b32 v26, v8, v6, v7
.LBB239_1127:                           ;   in Loop: Header=BB239_1062 Depth=1
	s_or_b32 exec_lo, exec_lo, s16
.LBB239_1128:                           ;   in Loop: Header=BB239_1062 Depth=1
	s_or_b32 exec_lo, exec_lo, s15
.LBB239_1129:                           ;   in Loop: Header=BB239_1062 Depth=1
	s_or_b32 exec_lo, exec_lo, s13
	v_or_b32_e32 v4, v21, v4
	v_or_b32_e32 v6, v25, v23
	;; [unrolled: 1-line block ×4, first 2 shown]
	v_mul_f32_e32 v4, v40, v4
	v_mul_f32_e32 v5, v40, v5
	buffer_store_dword v4, off, s[0:3], s32 offset:284 ; 4-byte Folded Spill
	v_mul_f32_e32 v4, v40, v6
	buffer_store_dword v5, off, s[0:3], s32 offset:292 ; 4-byte Folded Spill
	buffer_store_dword v4, off, s[0:3], s32 offset:276 ; 4-byte Folded Spill
	v_mul_f32_e32 v4, v40, v7
	buffer_store_dword v4, off, s[0:3], s32 offset:268 ; 4-byte Folded Spill
	s_and_saveexec_b32 s13, vcc_lo
	s_cbranch_execz .LBB239_1131
; %bb.1130:                             ;   in Loop: Header=BB239_1062 Depth=1
	s_clause 0x1
	buffer_load_dword v4, off, s[0:3], s32 offset:208
	buffer_load_dword v5, off, s[0:3], s32 offset:284
	s_waitcnt vmcnt(1)
	v_cmp_lt_i32_e64 s4, v85, v4
	s_waitcnt vmcnt(0)
	v_cndmask_b32_e64 v5, 0, v5, s4
	v_cmp_lt_i32_e64 s4, v43, v4
	buffer_store_dword v5, off, s[0:3], s32 offset:284 ; 4-byte Folded Spill
	buffer_load_dword v5, off, s[0:3], s32 offset:292 ; 4-byte Folded Reload
	s_waitcnt vmcnt(0)
	v_cndmask_b32_e64 v5, 0, v5, s4
	v_cmp_lt_i32_e64 s4, v42, v4
	buffer_store_dword v5, off, s[0:3], s32 offset:292 ; 4-byte Folded Spill
	buffer_load_dword v5, off, s[0:3], s32 offset:276 ; 4-byte Folded Reload
	s_waitcnt vmcnt(0)
	v_cndmask_b32_e64 v5, 0, v5, s4
	v_cmp_lt_i32_e64 s4, v41, v4
	buffer_load_dword v4, off, s[0:3], s32 offset:268 ; 4-byte Folded Reload
	buffer_store_dword v5, off, s[0:3], s32 offset:276 ; 4-byte Folded Spill
	s_waitcnt vmcnt(0)
	v_cndmask_b32_e64 v4, 0, v4, s4
	buffer_store_dword v4, off, s[0:3], s32 offset:268 ; 4-byte Folded Spill
.LBB239_1131:                           ;   in Loop: Header=BB239_1062 Depth=1
	s_or_b32 exec_lo, exec_lo, s13
	flat_load_dword v6, v[19:20] offset:256
	v_mov_b32_e32 v21, 0
	v_mov_b32_e32 v4, 0
	;; [unrolled: 1-line block ×4, first 2 shown]
	s_waitcnt vmcnt(0) lgkmcnt(0)
	v_cmp_ne_u16_sdwa s4, v6, v9 src0_sel:BYTE_0 src1_sel:DWORD
	s_and_saveexec_b32 s13, s4
	s_cbranch_execz .LBB239_1139
; %bb.1132:                             ;   in Loop: Header=BB239_1062 Depth=1
	v_bfrev_b32_e32 v4, 1
	v_mov_b32_e32 v5, 0
	v_cmp_ne_u16_sdwa s4, v6, v98 src0_sel:BYTE_0 src1_sel:DWORD
	s_and_saveexec_b32 s15, s4
	s_cbranch_execz .LBB239_1138
; %bb.1133:                             ;   in Loop: Header=BB239_1062 Depth=1
	v_mov_b32_e32 v4, 0x7f800001
	v_and_b32_e32 v7, 0x7f, v6
	v_mov_b32_e32 v5, 0
	s_mov_b32 s16, exec_lo
	v_cmpx_ne_u32_e32 0x7f, v7
	s_cbranch_execz .LBB239_1137
; %bb.1134:                             ;   in Loop: Header=BB239_1062 Depth=1
	v_and_b32_e32 v8, 7, v6
	v_lshrrev_b32_e32 v4, 3, v7
	s_mov_b32 s17, exec_lo
	v_cmpx_gt_u32_e32 8, v7
; %bb.1135:                             ;   in Loop: Header=BB239_1062 Depth=1
	v_ffbh_u32_e32 v4, v8
	v_min_u32_e32 v4, 32, v4
	v_subrev_nc_u32_e32 v5, 28, v4
	v_sub_nc_u32_e32 v4, 29, v4
	v_lshlrev_b64 v[7:8], v5, v[8:9]
	v_and_b32_e32 v8, 7, v7
; %bb.1136:                             ;   in Loop: Header=BB239_1062 Depth=1
	s_or_b32 exec_lo, exec_lo, s17
	v_lshlrev_b32_e32 v5, 24, v6
	v_lshlrev_b32_e32 v7, 20, v8
	v_lshl_add_u32 v4, v4, 23, 0x3c000000
	v_and_b32_e32 v5, 0x80000000, v5
	v_or3_b32 v8, v7, v5, v4
	v_mov_b32_e32 v4, v8
	v_mov_b32_e32 v5, v9
.LBB239_1137:                           ;   in Loop: Header=BB239_1062 Depth=1
	s_or_b32 exec_lo, exec_lo, s16
.LBB239_1138:                           ;   in Loop: Header=BB239_1062 Depth=1
	s_or_b32 exec_lo, exec_lo, s15
.LBB239_1139:                           ;   in Loop: Header=BB239_1062 Depth=1
	s_or_b32 exec_lo, exec_lo, s13
	v_cmp_ne_u16_sdwa s4, v6, v9 src0_sel:BYTE_1 src1_sel:DWORD
	s_and_saveexec_b32 s13, s4
	s_cbranch_execz .LBB239_1147
; %bb.1140:                             ;   in Loop: Header=BB239_1062 Depth=1
	v_mov_b32_e32 v10, v9
	v_mov_b32_e32 v22, v11
	v_cmp_ne_u16_sdwa s4, v6, v98 src0_sel:BYTE_1 src1_sel:DWORD
	v_mov_b32_e32 v21, v10
	s_and_saveexec_b32 s15, s4
	s_cbranch_execz .LBB239_1146
; %bb.1141:                             ;   in Loop: Header=BB239_1062 Depth=1
	v_mov_b32_e32 v7, 0xffff
	v_mov_b32_e32 v12, v9
	;; [unrolled: 1-line block ×3, first 2 shown]
	s_mov_b32 s16, exec_lo
	v_and_b32_sdwa v7, v7, v6 dst_sel:DWORD dst_unused:UNUSED_PAD src0_sel:DWORD src1_sel:BYTE_1
	v_mov_b32_e32 v21, v12
	v_and_b32_e32 v10, 0x7f, v7
	v_cmpx_ne_u32_e32 0x7f, v10
	s_cbranch_execz .LBB239_1145
; %bb.1142:                             ;   in Loop: Header=BB239_1062 Depth=1
	v_and_b32_e32 v8, 7, v7
	v_lshrrev_b32_e32 v7, 3, v10
	s_mov_b32 s17, exec_lo
	v_cmpx_gt_u32_e32 8, v10
; %bb.1143:                             ;   in Loop: Header=BB239_1062 Depth=1
	v_ffbh_u32_e32 v7, v8
	v_min_u32_e32 v7, 32, v7
	v_subrev_nc_u32_e32 v10, 28, v7
	v_sub_nc_u32_e32 v7, 29, v7
	v_lshlrev_b64 v[21:22], v10, v[8:9]
	v_and_b32_e32 v8, 7, v21
; %bb.1144:                             ;   in Loop: Header=BB239_1062 Depth=1
	s_or_b32 exec_lo, exec_lo, s17
	v_lshlrev_b32_e32 v10, 16, v6
	v_lshlrev_b32_e32 v8, 20, v8
	v_lshl_add_u32 v7, v7, 23, 0x3c000000
	v_mov_b32_e32 v21, v9
	v_and_b32_e32 v10, 0x80000000, v10
	v_or3_b32 v22, v8, v10, v7
.LBB239_1145:                           ;   in Loop: Header=BB239_1062 Depth=1
	s_or_b32 exec_lo, exec_lo, s16
.LBB239_1146:                           ;   in Loop: Header=BB239_1062 Depth=1
	s_or_b32 exec_lo, exec_lo, s15
.LBB239_1147:                           ;   in Loop: Header=BB239_1062 Depth=1
	s_or_b32 exec_lo, exec_lo, s13
	v_mov_b32_e32 v25, 0
	v_mov_b32_e32 v23, 0
	v_and_b32_sdwa v7, v6, v100 dst_sel:DWORD dst_unused:UNUSED_PAD src0_sel:WORD_1 src1_sel:DWORD
	v_mov_b32_e32 v26, 0
	v_mov_b32_e32 v24, 0
	s_mov_b32 s13, exec_lo
	v_cmpx_ne_u16_e32 0, v7
	s_cbranch_execz .LBB239_1155
; %bb.1148:                             ;   in Loop: Header=BB239_1062 Depth=1
	v_bfrev_b32_e32 v23, 1
	v_mov_b32_e32 v24, 0
	s_mov_b32 s15, exec_lo
	v_cmpx_ne_u16_e32 0x80, v7
	s_cbranch_execz .LBB239_1154
; %bb.1149:                             ;   in Loop: Header=BB239_1062 Depth=1
	v_mov_b32_e32 v23, 0x7f800001
	v_bfe_u32 v10, v6, 16, 7
	v_mov_b32_e32 v24, 0
	s_mov_b32 s16, exec_lo
	v_cmpx_ne_u32_e32 0x7f, v10
	s_cbranch_execz .LBB239_1153
; %bb.1150:                             ;   in Loop: Header=BB239_1062 Depth=1
	v_mov_b32_e32 v7, 7
	s_mov_b32 s17, exec_lo
	v_and_b32_sdwa v8, v6, v7 dst_sel:DWORD dst_unused:UNUSED_PAD src0_sel:WORD_1 src1_sel:DWORD
	v_lshrrev_b32_e32 v7, 3, v10
	v_cmpx_gt_u32_e32 8, v10
; %bb.1151:                             ;   in Loop: Header=BB239_1062 Depth=1
	v_ffbh_u32_e32 v7, v8
	v_min_u32_e32 v7, 32, v7
	v_subrev_nc_u32_e32 v10, 28, v7
	v_sub_nc_u32_e32 v7, 29, v7
	v_lshlrev_b64 v[23:24], v10, v[8:9]
	v_and_b32_e32 v8, 7, v23
; %bb.1152:                             ;   in Loop: Header=BB239_1062 Depth=1
	s_or_b32 exec_lo, exec_lo, s17
	v_mov_b32_e32 v10, 24
	v_lshlrev_b32_e32 v8, 20, v8
	v_lshl_add_u32 v7, v7, 23, 0x3c000000
	v_lshlrev_b32_sdwa v10, v10, v6 dst_sel:DWORD dst_unused:UNUSED_PAD src0_sel:DWORD src1_sel:WORD_1
	v_and_b32_e32 v10, 0x80000000, v10
	v_or3_b32 v8, v8, v10, v7
	v_mov_b32_e32 v24, v9
	v_mov_b32_e32 v23, v8
.LBB239_1153:                           ;   in Loop: Header=BB239_1062 Depth=1
	s_or_b32 exec_lo, exec_lo, s16
.LBB239_1154:                           ;   in Loop: Header=BB239_1062 Depth=1
	s_or_b32 exec_lo, exec_lo, s15
.LBB239_1155:                           ;   in Loop: Header=BB239_1062 Depth=1
	s_or_b32 exec_lo, exec_lo, s13
	s_mov_b32 s13, exec_lo
	v_cmpx_lt_u32_e32 0xffffff, v6
	s_cbranch_execz .LBB239_1163
; %bb.1156:                             ;   in Loop: Header=BB239_1062 Depth=1
	v_mov_b32_e32 v10, v9
	v_mov_b32_e32 v26, v11
	v_cmp_ne_u32_sdwa s4, v6, v98 src0_sel:BYTE_3 src1_sel:DWORD
	v_mov_b32_e32 v25, v10
	s_and_saveexec_b32 s15, s4
	s_cbranch_execz .LBB239_1162
; %bb.1157:                             ;   in Loop: Header=BB239_1062 Depth=1
	v_mov_b32_e32 v12, v9
	v_mov_b32_e32 v26, v13
	v_bfe_u32 v10, v6, 24, 7
	s_mov_b32 s16, exec_lo
	v_mov_b32_e32 v25, v12
	v_cmpx_ne_u32_e32 0x7f, v10
	s_cbranch_execz .LBB239_1161
; %bb.1158:                             ;   in Loop: Header=BB239_1062 Depth=1
	v_mov_b32_e32 v7, 7
	s_mov_b32 s17, exec_lo
	v_and_b32_sdwa v8, v6, v7 dst_sel:DWORD dst_unused:UNUSED_PAD src0_sel:BYTE_3 src1_sel:DWORD
	v_lshrrev_b32_e32 v7, 3, v10
	v_cmpx_gt_u32_e32 8, v10
; %bb.1159:                             ;   in Loop: Header=BB239_1062 Depth=1
	v_ffbh_u32_e32 v7, v8
	v_min_u32_e32 v7, 32, v7
	v_subrev_nc_u32_e32 v10, 28, v7
	v_sub_nc_u32_e32 v7, 29, v7
	v_lshlrev_b64 v[25:26], v10, v[8:9]
	v_and_b32_e32 v8, 7, v25
; %bb.1160:                             ;   in Loop: Header=BB239_1062 Depth=1
	s_or_b32 exec_lo, exec_lo, s17
	v_mov_b32_e32 v10, 24
	v_lshlrev_b32_e32 v8, 20, v8
	v_lshl_add_u32 v7, v7, 23, 0x3c000000
	v_mov_b32_e32 v25, v9
	v_lshlrev_b32_sdwa v6, v10, v6 dst_sel:DWORD dst_unused:UNUSED_PAD src0_sel:DWORD src1_sel:BYTE_3
	v_and_b32_e32 v6, 0x80000000, v6
	v_or3_b32 v26, v8, v6, v7
.LBB239_1161:                           ;   in Loop: Header=BB239_1062 Depth=1
	s_or_b32 exec_lo, exec_lo, s16
.LBB239_1162:                           ;   in Loop: Header=BB239_1062 Depth=1
	s_or_b32 exec_lo, exec_lo, s15
.LBB239_1163:                           ;   in Loop: Header=BB239_1062 Depth=1
	s_or_b32 exec_lo, exec_lo, s13
	v_or_b32_e32 v4, v21, v4
	v_or_b32_e32 v6, v25, v23
	;; [unrolled: 1-line block ×4, first 2 shown]
	v_mul_f32_e32 v4, v40, v4
	v_mul_f32_e32 v5, v40, v5
	buffer_store_dword v4, off, s[0:3], s32 offset:316 ; 4-byte Folded Spill
	v_mul_f32_e32 v4, v40, v6
	buffer_store_dword v5, off, s[0:3], s32 offset:324 ; 4-byte Folded Spill
	buffer_store_dword v4, off, s[0:3], s32 offset:308 ; 4-byte Folded Spill
	v_mul_f32_e32 v4, v40, v7
	buffer_store_dword v4, off, s[0:3], s32 offset:300 ; 4-byte Folded Spill
	s_and_saveexec_b32 s13, vcc_lo
	s_cbranch_execz .LBB239_1165
; %bb.1164:                             ;   in Loop: Header=BB239_1062 Depth=1
	s_clause 0x1
	buffer_load_dword v4, off, s[0:3], s32 offset:208
	buffer_load_dword v5, off, s[0:3], s32 offset:316
	s_waitcnt vmcnt(1)
	v_cmp_lt_i32_e64 s4, v85, v4
	s_waitcnt vmcnt(0)
	v_cndmask_b32_e64 v5, 0, v5, s4
	v_cmp_lt_i32_e64 s4, v43, v4
	buffer_store_dword v5, off, s[0:3], s32 offset:316 ; 4-byte Folded Spill
	buffer_load_dword v5, off, s[0:3], s32 offset:324 ; 4-byte Folded Reload
	s_waitcnt vmcnt(0)
	v_cndmask_b32_e64 v5, 0, v5, s4
	v_cmp_lt_i32_e64 s4, v42, v4
	buffer_store_dword v5, off, s[0:3], s32 offset:324 ; 4-byte Folded Spill
	buffer_load_dword v5, off, s[0:3], s32 offset:308 ; 4-byte Folded Reload
	s_waitcnt vmcnt(0)
	v_cndmask_b32_e64 v5, 0, v5, s4
	v_cmp_lt_i32_e64 s4, v41, v4
	buffer_load_dword v4, off, s[0:3], s32 offset:300 ; 4-byte Folded Reload
	buffer_store_dword v5, off, s[0:3], s32 offset:308 ; 4-byte Folded Spill
	s_waitcnt vmcnt(0)
	v_cndmask_b32_e64 v4, 0, v4, s4
	buffer_store_dword v4, off, s[0:3], s32 offset:300 ; 4-byte Folded Spill
.LBB239_1165:                           ;   in Loop: Header=BB239_1062 Depth=1
	s_or_b32 exec_lo, exec_lo, s13
	flat_load_dword v6, v[19:20] offset:384
	v_mov_b32_e32 v21, 0
	v_mov_b32_e32 v4, 0
	;; [unrolled: 1-line block ×4, first 2 shown]
	s_waitcnt vmcnt(0) lgkmcnt(0)
	v_cmp_ne_u16_sdwa s4, v6, v9 src0_sel:BYTE_0 src1_sel:DWORD
	s_and_saveexec_b32 s13, s4
	s_cbranch_execz .LBB239_1173
; %bb.1166:                             ;   in Loop: Header=BB239_1062 Depth=1
	v_bfrev_b32_e32 v4, 1
	v_mov_b32_e32 v5, 0
	v_cmp_ne_u16_sdwa s4, v6, v98 src0_sel:BYTE_0 src1_sel:DWORD
	s_and_saveexec_b32 s15, s4
	s_cbranch_execz .LBB239_1172
; %bb.1167:                             ;   in Loop: Header=BB239_1062 Depth=1
	v_mov_b32_e32 v4, 0x7f800001
	v_and_b32_e32 v7, 0x7f, v6
	v_mov_b32_e32 v5, 0
	s_mov_b32 s16, exec_lo
	v_cmpx_ne_u32_e32 0x7f, v7
	s_cbranch_execz .LBB239_1171
; %bb.1168:                             ;   in Loop: Header=BB239_1062 Depth=1
	v_and_b32_e32 v8, 7, v6
	v_lshrrev_b32_e32 v4, 3, v7
	s_mov_b32 s17, exec_lo
	v_cmpx_gt_u32_e32 8, v7
; %bb.1169:                             ;   in Loop: Header=BB239_1062 Depth=1
	v_ffbh_u32_e32 v4, v8
	v_min_u32_e32 v4, 32, v4
	v_subrev_nc_u32_e32 v5, 28, v4
	v_sub_nc_u32_e32 v4, 29, v4
	v_lshlrev_b64 v[7:8], v5, v[8:9]
	v_and_b32_e32 v8, 7, v7
; %bb.1170:                             ;   in Loop: Header=BB239_1062 Depth=1
	s_or_b32 exec_lo, exec_lo, s17
	v_lshlrev_b32_e32 v5, 24, v6
	v_lshlrev_b32_e32 v7, 20, v8
	v_lshl_add_u32 v4, v4, 23, 0x3c000000
	v_and_b32_e32 v5, 0x80000000, v5
	v_or3_b32 v8, v7, v5, v4
	v_mov_b32_e32 v4, v8
	v_mov_b32_e32 v5, v9
.LBB239_1171:                           ;   in Loop: Header=BB239_1062 Depth=1
	s_or_b32 exec_lo, exec_lo, s16
.LBB239_1172:                           ;   in Loop: Header=BB239_1062 Depth=1
	s_or_b32 exec_lo, exec_lo, s15
.LBB239_1173:                           ;   in Loop: Header=BB239_1062 Depth=1
	s_or_b32 exec_lo, exec_lo, s13
	v_cmp_ne_u16_sdwa s4, v6, v9 src0_sel:BYTE_1 src1_sel:DWORD
	s_and_saveexec_b32 s13, s4
	s_cbranch_execz .LBB239_1181
; %bb.1174:                             ;   in Loop: Header=BB239_1062 Depth=1
	v_mov_b32_e32 v10, v9
	v_mov_b32_e32 v22, v11
	v_cmp_ne_u16_sdwa s4, v6, v98 src0_sel:BYTE_1 src1_sel:DWORD
	v_mov_b32_e32 v21, v10
	s_and_saveexec_b32 s15, s4
	s_cbranch_execz .LBB239_1180
; %bb.1175:                             ;   in Loop: Header=BB239_1062 Depth=1
	v_mov_b32_e32 v7, 0xffff
	v_mov_b32_e32 v12, v9
	v_mov_b32_e32 v22, v13
	s_mov_b32 s16, exec_lo
	v_and_b32_sdwa v7, v7, v6 dst_sel:DWORD dst_unused:UNUSED_PAD src0_sel:DWORD src1_sel:BYTE_1
	v_mov_b32_e32 v21, v12
	v_and_b32_e32 v10, 0x7f, v7
	v_cmpx_ne_u32_e32 0x7f, v10
	s_cbranch_execz .LBB239_1179
; %bb.1176:                             ;   in Loop: Header=BB239_1062 Depth=1
	v_and_b32_e32 v8, 7, v7
	v_lshrrev_b32_e32 v7, 3, v10
	s_mov_b32 s17, exec_lo
	v_cmpx_gt_u32_e32 8, v10
; %bb.1177:                             ;   in Loop: Header=BB239_1062 Depth=1
	v_ffbh_u32_e32 v7, v8
	v_min_u32_e32 v7, 32, v7
	v_subrev_nc_u32_e32 v10, 28, v7
	v_sub_nc_u32_e32 v7, 29, v7
	v_lshlrev_b64 v[21:22], v10, v[8:9]
	v_and_b32_e32 v8, 7, v21
; %bb.1178:                             ;   in Loop: Header=BB239_1062 Depth=1
	s_or_b32 exec_lo, exec_lo, s17
	v_lshlrev_b32_e32 v10, 16, v6
	v_lshlrev_b32_e32 v8, 20, v8
	v_lshl_add_u32 v7, v7, 23, 0x3c000000
	v_mov_b32_e32 v21, v9
	v_and_b32_e32 v10, 0x80000000, v10
	v_or3_b32 v22, v8, v10, v7
.LBB239_1179:                           ;   in Loop: Header=BB239_1062 Depth=1
	s_or_b32 exec_lo, exec_lo, s16
.LBB239_1180:                           ;   in Loop: Header=BB239_1062 Depth=1
	s_or_b32 exec_lo, exec_lo, s15
.LBB239_1181:                           ;   in Loop: Header=BB239_1062 Depth=1
	s_or_b32 exec_lo, exec_lo, s13
	v_mov_b32_e32 v25, 0
	v_mov_b32_e32 v23, 0
	v_and_b32_sdwa v7, v6, v100 dst_sel:DWORD dst_unused:UNUSED_PAD src0_sel:WORD_1 src1_sel:DWORD
	v_mov_b32_e32 v26, 0
	v_mov_b32_e32 v24, 0
	s_mov_b32 s13, exec_lo
	v_cmpx_ne_u16_e32 0, v7
	s_cbranch_execz .LBB239_1189
; %bb.1182:                             ;   in Loop: Header=BB239_1062 Depth=1
	v_bfrev_b32_e32 v23, 1
	v_mov_b32_e32 v24, 0
	s_mov_b32 s15, exec_lo
	v_cmpx_ne_u16_e32 0x80, v7
	s_cbranch_execz .LBB239_1188
; %bb.1183:                             ;   in Loop: Header=BB239_1062 Depth=1
	v_mov_b32_e32 v23, 0x7f800001
	v_bfe_u32 v10, v6, 16, 7
	v_mov_b32_e32 v24, 0
	s_mov_b32 s16, exec_lo
	v_cmpx_ne_u32_e32 0x7f, v10
	s_cbranch_execz .LBB239_1187
; %bb.1184:                             ;   in Loop: Header=BB239_1062 Depth=1
	v_mov_b32_e32 v7, 7
	s_mov_b32 s17, exec_lo
	v_and_b32_sdwa v8, v6, v7 dst_sel:DWORD dst_unused:UNUSED_PAD src0_sel:WORD_1 src1_sel:DWORD
	v_lshrrev_b32_e32 v7, 3, v10
	v_cmpx_gt_u32_e32 8, v10
; %bb.1185:                             ;   in Loop: Header=BB239_1062 Depth=1
	v_ffbh_u32_e32 v7, v8
	v_min_u32_e32 v7, 32, v7
	v_subrev_nc_u32_e32 v10, 28, v7
	v_sub_nc_u32_e32 v7, 29, v7
	v_lshlrev_b64 v[23:24], v10, v[8:9]
	v_and_b32_e32 v8, 7, v23
; %bb.1186:                             ;   in Loop: Header=BB239_1062 Depth=1
	s_or_b32 exec_lo, exec_lo, s17
	v_mov_b32_e32 v10, 24
	v_lshlrev_b32_e32 v8, 20, v8
	v_lshl_add_u32 v7, v7, 23, 0x3c000000
	v_lshlrev_b32_sdwa v10, v10, v6 dst_sel:DWORD dst_unused:UNUSED_PAD src0_sel:DWORD src1_sel:WORD_1
	v_and_b32_e32 v10, 0x80000000, v10
	v_or3_b32 v8, v8, v10, v7
	v_mov_b32_e32 v24, v9
	v_mov_b32_e32 v23, v8
.LBB239_1187:                           ;   in Loop: Header=BB239_1062 Depth=1
	s_or_b32 exec_lo, exec_lo, s16
.LBB239_1188:                           ;   in Loop: Header=BB239_1062 Depth=1
	s_or_b32 exec_lo, exec_lo, s15
.LBB239_1189:                           ;   in Loop: Header=BB239_1062 Depth=1
	s_or_b32 exec_lo, exec_lo, s13
	s_mov_b32 s13, exec_lo
	v_cmpx_lt_u32_e32 0xffffff, v6
	s_cbranch_execz .LBB239_1197
; %bb.1190:                             ;   in Loop: Header=BB239_1062 Depth=1
	v_mov_b32_e32 v10, v9
	v_mov_b32_e32 v26, v11
	v_cmp_ne_u32_sdwa s4, v6, v98 src0_sel:BYTE_3 src1_sel:DWORD
	v_mov_b32_e32 v25, v10
	s_and_saveexec_b32 s15, s4
	s_cbranch_execz .LBB239_1196
; %bb.1191:                             ;   in Loop: Header=BB239_1062 Depth=1
	v_mov_b32_e32 v12, v9
	v_mov_b32_e32 v26, v13
	v_bfe_u32 v10, v6, 24, 7
	s_mov_b32 s16, exec_lo
	v_mov_b32_e32 v25, v12
	v_cmpx_ne_u32_e32 0x7f, v10
	s_cbranch_execz .LBB239_1195
; %bb.1192:                             ;   in Loop: Header=BB239_1062 Depth=1
	v_mov_b32_e32 v7, 7
	s_mov_b32 s17, exec_lo
	v_and_b32_sdwa v8, v6, v7 dst_sel:DWORD dst_unused:UNUSED_PAD src0_sel:BYTE_3 src1_sel:DWORD
	v_lshrrev_b32_e32 v7, 3, v10
	v_cmpx_gt_u32_e32 8, v10
; %bb.1193:                             ;   in Loop: Header=BB239_1062 Depth=1
	v_ffbh_u32_e32 v7, v8
	v_min_u32_e32 v7, 32, v7
	v_subrev_nc_u32_e32 v10, 28, v7
	v_sub_nc_u32_e32 v7, 29, v7
	v_lshlrev_b64 v[25:26], v10, v[8:9]
	v_and_b32_e32 v8, 7, v25
; %bb.1194:                             ;   in Loop: Header=BB239_1062 Depth=1
	s_or_b32 exec_lo, exec_lo, s17
	v_mov_b32_e32 v10, 24
	v_lshlrev_b32_e32 v8, 20, v8
	v_lshl_add_u32 v7, v7, 23, 0x3c000000
	v_mov_b32_e32 v25, v9
	v_lshlrev_b32_sdwa v6, v10, v6 dst_sel:DWORD dst_unused:UNUSED_PAD src0_sel:DWORD src1_sel:BYTE_3
	v_and_b32_e32 v6, 0x80000000, v6
	v_or3_b32 v26, v8, v6, v7
.LBB239_1195:                           ;   in Loop: Header=BB239_1062 Depth=1
	s_or_b32 exec_lo, exec_lo, s16
.LBB239_1196:                           ;   in Loop: Header=BB239_1062 Depth=1
	s_or_b32 exec_lo, exec_lo, s15
.LBB239_1197:                           ;   in Loop: Header=BB239_1062 Depth=1
	s_or_b32 exec_lo, exec_lo, s13
	v_or_b32_e32 v4, v21, v4
	v_or_b32_e32 v6, v25, v23
	;; [unrolled: 1-line block ×4, first 2 shown]
	v_mul_f32_e32 v4, v40, v4
	v_mul_f32_e32 v5, v40, v5
	buffer_store_dword v4, off, s[0:3], s32 offset:348 ; 4-byte Folded Spill
	v_mul_f32_e32 v4, v40, v6
	buffer_store_dword v5, off, s[0:3], s32 offset:356 ; 4-byte Folded Spill
	buffer_store_dword v4, off, s[0:3], s32 offset:340 ; 4-byte Folded Spill
	v_mul_f32_e32 v4, v40, v7
	buffer_store_dword v4, off, s[0:3], s32 offset:332 ; 4-byte Folded Spill
	s_and_saveexec_b32 s13, vcc_lo
	s_cbranch_execz .LBB239_1199
; %bb.1198:                             ;   in Loop: Header=BB239_1062 Depth=1
	s_clause 0x1
	buffer_load_dword v4, off, s[0:3], s32 offset:208
	buffer_load_dword v5, off, s[0:3], s32 offset:348
	s_waitcnt vmcnt(1)
	v_cmp_lt_i32_e64 s4, v85, v4
	s_waitcnt vmcnt(0)
	v_cndmask_b32_e64 v5, 0, v5, s4
	v_cmp_lt_i32_e64 s4, v43, v4
	buffer_store_dword v5, off, s[0:3], s32 offset:348 ; 4-byte Folded Spill
	buffer_load_dword v5, off, s[0:3], s32 offset:356 ; 4-byte Folded Reload
	s_waitcnt vmcnt(0)
	v_cndmask_b32_e64 v5, 0, v5, s4
	v_cmp_lt_i32_e64 s4, v42, v4
	buffer_store_dword v5, off, s[0:3], s32 offset:356 ; 4-byte Folded Spill
	buffer_load_dword v5, off, s[0:3], s32 offset:340 ; 4-byte Folded Reload
	s_waitcnt vmcnt(0)
	v_cndmask_b32_e64 v5, 0, v5, s4
	v_cmp_lt_i32_e64 s4, v41, v4
	buffer_load_dword v4, off, s[0:3], s32 offset:332 ; 4-byte Folded Reload
	buffer_store_dword v5, off, s[0:3], s32 offset:340 ; 4-byte Folded Spill
	s_waitcnt vmcnt(0)
	v_cndmask_b32_e64 v4, 0, v4, s4
	buffer_store_dword v4, off, s[0:3], s32 offset:332 ; 4-byte Folded Spill
.LBB239_1199:                           ;   in Loop: Header=BB239_1062 Depth=1
	s_or_b32 exec_lo, exec_lo, s13
	flat_load_dword v6, v[19:20] offset:512
	v_mov_b32_e32 v21, 0
	v_mov_b32_e32 v4, 0
	;; [unrolled: 1-line block ×4, first 2 shown]
	s_waitcnt vmcnt(0) lgkmcnt(0)
	v_cmp_ne_u16_sdwa s4, v6, v9 src0_sel:BYTE_0 src1_sel:DWORD
	s_and_saveexec_b32 s13, s4
	s_cbranch_execz .LBB239_1207
; %bb.1200:                             ;   in Loop: Header=BB239_1062 Depth=1
	v_bfrev_b32_e32 v4, 1
	v_mov_b32_e32 v5, 0
	v_cmp_ne_u16_sdwa s4, v6, v98 src0_sel:BYTE_0 src1_sel:DWORD
	s_and_saveexec_b32 s15, s4
	s_cbranch_execz .LBB239_1206
; %bb.1201:                             ;   in Loop: Header=BB239_1062 Depth=1
	v_mov_b32_e32 v4, 0x7f800001
	v_and_b32_e32 v7, 0x7f, v6
	v_mov_b32_e32 v5, 0
	s_mov_b32 s16, exec_lo
	v_cmpx_ne_u32_e32 0x7f, v7
	s_cbranch_execz .LBB239_1205
; %bb.1202:                             ;   in Loop: Header=BB239_1062 Depth=1
	v_and_b32_e32 v8, 7, v6
	v_lshrrev_b32_e32 v4, 3, v7
	s_mov_b32 s17, exec_lo
	v_cmpx_gt_u32_e32 8, v7
; %bb.1203:                             ;   in Loop: Header=BB239_1062 Depth=1
	v_ffbh_u32_e32 v4, v8
	v_min_u32_e32 v4, 32, v4
	v_subrev_nc_u32_e32 v5, 28, v4
	v_sub_nc_u32_e32 v4, 29, v4
	v_lshlrev_b64 v[7:8], v5, v[8:9]
	v_and_b32_e32 v8, 7, v7
; %bb.1204:                             ;   in Loop: Header=BB239_1062 Depth=1
	s_or_b32 exec_lo, exec_lo, s17
	v_lshlrev_b32_e32 v5, 24, v6
	v_lshlrev_b32_e32 v7, 20, v8
	v_lshl_add_u32 v4, v4, 23, 0x3c000000
	v_and_b32_e32 v5, 0x80000000, v5
	v_or3_b32 v8, v7, v5, v4
	v_mov_b32_e32 v4, v8
	v_mov_b32_e32 v5, v9
.LBB239_1205:                           ;   in Loop: Header=BB239_1062 Depth=1
	s_or_b32 exec_lo, exec_lo, s16
.LBB239_1206:                           ;   in Loop: Header=BB239_1062 Depth=1
	s_or_b32 exec_lo, exec_lo, s15
.LBB239_1207:                           ;   in Loop: Header=BB239_1062 Depth=1
	s_or_b32 exec_lo, exec_lo, s13
	v_cmp_ne_u16_sdwa s4, v6, v9 src0_sel:BYTE_1 src1_sel:DWORD
	s_and_saveexec_b32 s13, s4
	s_cbranch_execz .LBB239_1215
; %bb.1208:                             ;   in Loop: Header=BB239_1062 Depth=1
	v_mov_b32_e32 v10, v9
	v_mov_b32_e32 v22, v11
	v_cmp_ne_u16_sdwa s4, v6, v98 src0_sel:BYTE_1 src1_sel:DWORD
	v_mov_b32_e32 v21, v10
	s_and_saveexec_b32 s15, s4
	s_cbranch_execz .LBB239_1214
; %bb.1209:                             ;   in Loop: Header=BB239_1062 Depth=1
	v_mov_b32_e32 v7, 0xffff
	v_mov_b32_e32 v12, v9
	;; [unrolled: 1-line block ×3, first 2 shown]
	s_mov_b32 s16, exec_lo
	v_and_b32_sdwa v7, v7, v6 dst_sel:DWORD dst_unused:UNUSED_PAD src0_sel:DWORD src1_sel:BYTE_1
	v_mov_b32_e32 v21, v12
	v_and_b32_e32 v10, 0x7f, v7
	v_cmpx_ne_u32_e32 0x7f, v10
	s_cbranch_execz .LBB239_1213
; %bb.1210:                             ;   in Loop: Header=BB239_1062 Depth=1
	v_and_b32_e32 v8, 7, v7
	v_lshrrev_b32_e32 v7, 3, v10
	s_mov_b32 s17, exec_lo
	v_cmpx_gt_u32_e32 8, v10
; %bb.1211:                             ;   in Loop: Header=BB239_1062 Depth=1
	v_ffbh_u32_e32 v7, v8
	v_min_u32_e32 v7, 32, v7
	v_subrev_nc_u32_e32 v10, 28, v7
	v_sub_nc_u32_e32 v7, 29, v7
	v_lshlrev_b64 v[21:22], v10, v[8:9]
	v_and_b32_e32 v8, 7, v21
; %bb.1212:                             ;   in Loop: Header=BB239_1062 Depth=1
	s_or_b32 exec_lo, exec_lo, s17
	v_lshlrev_b32_e32 v10, 16, v6
	v_lshlrev_b32_e32 v8, 20, v8
	v_lshl_add_u32 v7, v7, 23, 0x3c000000
	v_mov_b32_e32 v21, v9
	v_and_b32_e32 v10, 0x80000000, v10
	v_or3_b32 v22, v8, v10, v7
.LBB239_1213:                           ;   in Loop: Header=BB239_1062 Depth=1
	s_or_b32 exec_lo, exec_lo, s16
.LBB239_1214:                           ;   in Loop: Header=BB239_1062 Depth=1
	s_or_b32 exec_lo, exec_lo, s15
.LBB239_1215:                           ;   in Loop: Header=BB239_1062 Depth=1
	s_or_b32 exec_lo, exec_lo, s13
	v_mov_b32_e32 v25, 0
	v_mov_b32_e32 v23, 0
	v_and_b32_sdwa v7, v6, v100 dst_sel:DWORD dst_unused:UNUSED_PAD src0_sel:WORD_1 src1_sel:DWORD
	v_mov_b32_e32 v26, 0
	v_mov_b32_e32 v24, 0
	s_mov_b32 s13, exec_lo
	v_cmpx_ne_u16_e32 0, v7
	s_cbranch_execz .LBB239_1223
; %bb.1216:                             ;   in Loop: Header=BB239_1062 Depth=1
	v_bfrev_b32_e32 v23, 1
	v_mov_b32_e32 v24, 0
	s_mov_b32 s15, exec_lo
	v_cmpx_ne_u16_e32 0x80, v7
	s_cbranch_execz .LBB239_1222
; %bb.1217:                             ;   in Loop: Header=BB239_1062 Depth=1
	v_mov_b32_e32 v23, 0x7f800001
	v_bfe_u32 v10, v6, 16, 7
	v_mov_b32_e32 v24, 0
	s_mov_b32 s16, exec_lo
	v_cmpx_ne_u32_e32 0x7f, v10
	s_cbranch_execz .LBB239_1221
; %bb.1218:                             ;   in Loop: Header=BB239_1062 Depth=1
	v_mov_b32_e32 v7, 7
	s_mov_b32 s17, exec_lo
	v_and_b32_sdwa v8, v6, v7 dst_sel:DWORD dst_unused:UNUSED_PAD src0_sel:WORD_1 src1_sel:DWORD
	v_lshrrev_b32_e32 v7, 3, v10
	v_cmpx_gt_u32_e32 8, v10
; %bb.1219:                             ;   in Loop: Header=BB239_1062 Depth=1
	v_ffbh_u32_e32 v7, v8
	v_min_u32_e32 v7, 32, v7
	v_subrev_nc_u32_e32 v10, 28, v7
	v_sub_nc_u32_e32 v7, 29, v7
	v_lshlrev_b64 v[23:24], v10, v[8:9]
	v_and_b32_e32 v8, 7, v23
; %bb.1220:                             ;   in Loop: Header=BB239_1062 Depth=1
	s_or_b32 exec_lo, exec_lo, s17
	v_mov_b32_e32 v10, 24
	v_lshlrev_b32_e32 v8, 20, v8
	v_lshl_add_u32 v7, v7, 23, 0x3c000000
	v_lshlrev_b32_sdwa v10, v10, v6 dst_sel:DWORD dst_unused:UNUSED_PAD src0_sel:DWORD src1_sel:WORD_1
	v_and_b32_e32 v10, 0x80000000, v10
	v_or3_b32 v8, v8, v10, v7
	v_mov_b32_e32 v24, v9
	v_mov_b32_e32 v23, v8
.LBB239_1221:                           ;   in Loop: Header=BB239_1062 Depth=1
	s_or_b32 exec_lo, exec_lo, s16
.LBB239_1222:                           ;   in Loop: Header=BB239_1062 Depth=1
	s_or_b32 exec_lo, exec_lo, s15
.LBB239_1223:                           ;   in Loop: Header=BB239_1062 Depth=1
	s_or_b32 exec_lo, exec_lo, s13
	s_mov_b32 s13, exec_lo
	v_cmpx_lt_u32_e32 0xffffff, v6
	s_cbranch_execz .LBB239_1231
; %bb.1224:                             ;   in Loop: Header=BB239_1062 Depth=1
	v_mov_b32_e32 v10, v9
	v_mov_b32_e32 v26, v11
	v_cmp_ne_u32_sdwa s4, v6, v98 src0_sel:BYTE_3 src1_sel:DWORD
	v_mov_b32_e32 v25, v10
	s_and_saveexec_b32 s15, s4
	s_cbranch_execz .LBB239_1230
; %bb.1225:                             ;   in Loop: Header=BB239_1062 Depth=1
	v_mov_b32_e32 v12, v9
	v_mov_b32_e32 v26, v13
	v_bfe_u32 v10, v6, 24, 7
	s_mov_b32 s16, exec_lo
	v_mov_b32_e32 v25, v12
	v_cmpx_ne_u32_e32 0x7f, v10
	s_cbranch_execz .LBB239_1229
; %bb.1226:                             ;   in Loop: Header=BB239_1062 Depth=1
	v_mov_b32_e32 v7, 7
	s_mov_b32 s17, exec_lo
	v_and_b32_sdwa v8, v6, v7 dst_sel:DWORD dst_unused:UNUSED_PAD src0_sel:BYTE_3 src1_sel:DWORD
	v_lshrrev_b32_e32 v7, 3, v10
	v_cmpx_gt_u32_e32 8, v10
; %bb.1227:                             ;   in Loop: Header=BB239_1062 Depth=1
	v_ffbh_u32_e32 v7, v8
	v_min_u32_e32 v7, 32, v7
	v_subrev_nc_u32_e32 v10, 28, v7
	v_sub_nc_u32_e32 v7, 29, v7
	v_lshlrev_b64 v[25:26], v10, v[8:9]
	v_and_b32_e32 v8, 7, v25
; %bb.1228:                             ;   in Loop: Header=BB239_1062 Depth=1
	s_or_b32 exec_lo, exec_lo, s17
	v_mov_b32_e32 v10, 24
	v_lshlrev_b32_e32 v8, 20, v8
	v_lshl_add_u32 v7, v7, 23, 0x3c000000
	v_mov_b32_e32 v25, v9
	v_lshlrev_b32_sdwa v6, v10, v6 dst_sel:DWORD dst_unused:UNUSED_PAD src0_sel:DWORD src1_sel:BYTE_3
	v_and_b32_e32 v6, 0x80000000, v6
	v_or3_b32 v26, v8, v6, v7
.LBB239_1229:                           ;   in Loop: Header=BB239_1062 Depth=1
	s_or_b32 exec_lo, exec_lo, s16
.LBB239_1230:                           ;   in Loop: Header=BB239_1062 Depth=1
	s_or_b32 exec_lo, exec_lo, s15
.LBB239_1231:                           ;   in Loop: Header=BB239_1062 Depth=1
	s_or_b32 exec_lo, exec_lo, s13
	v_or_b32_e32 v4, v21, v4
	v_or_b32_e32 v6, v25, v23
	;; [unrolled: 1-line block ×4, first 2 shown]
	v_mul_f32_e32 v4, v40, v4
	v_mul_f32_e32 v5, v40, v5
	buffer_store_dword v4, off, s[0:3], s32 offset:380 ; 4-byte Folded Spill
	v_mul_f32_e32 v4, v40, v6
	buffer_store_dword v5, off, s[0:3], s32 offset:388 ; 4-byte Folded Spill
	buffer_store_dword v4, off, s[0:3], s32 offset:372 ; 4-byte Folded Spill
	v_mul_f32_e32 v4, v40, v7
	buffer_store_dword v4, off, s[0:3], s32 offset:364 ; 4-byte Folded Spill
	s_and_saveexec_b32 s13, vcc_lo
	s_cbranch_execz .LBB239_1233
; %bb.1232:                             ;   in Loop: Header=BB239_1062 Depth=1
	s_clause 0x1
	buffer_load_dword v4, off, s[0:3], s32 offset:208
	buffer_load_dword v5, off, s[0:3], s32 offset:380
	s_waitcnt vmcnt(1)
	v_cmp_lt_i32_e64 s4, v85, v4
	s_waitcnt vmcnt(0)
	v_cndmask_b32_e64 v5, 0, v5, s4
	v_cmp_lt_i32_e64 s4, v43, v4
	buffer_store_dword v5, off, s[0:3], s32 offset:380 ; 4-byte Folded Spill
	buffer_load_dword v5, off, s[0:3], s32 offset:388 ; 4-byte Folded Reload
	s_waitcnt vmcnt(0)
	v_cndmask_b32_e64 v5, 0, v5, s4
	v_cmp_lt_i32_e64 s4, v42, v4
	buffer_store_dword v5, off, s[0:3], s32 offset:388 ; 4-byte Folded Spill
	buffer_load_dword v5, off, s[0:3], s32 offset:372 ; 4-byte Folded Reload
	s_waitcnt vmcnt(0)
	v_cndmask_b32_e64 v5, 0, v5, s4
	v_cmp_lt_i32_e64 s4, v41, v4
	buffer_load_dword v4, off, s[0:3], s32 offset:364 ; 4-byte Folded Reload
	buffer_store_dword v5, off, s[0:3], s32 offset:372 ; 4-byte Folded Spill
	s_waitcnt vmcnt(0)
	v_cndmask_b32_e64 v4, 0, v4, s4
	buffer_store_dword v4, off, s[0:3], s32 offset:364 ; 4-byte Folded Spill
.LBB239_1233:                           ;   in Loop: Header=BB239_1062 Depth=1
	s_or_b32 exec_lo, exec_lo, s13
	flat_load_dword v6, v[19:20] offset:640
	v_mov_b32_e32 v21, 0
	v_mov_b32_e32 v4, 0
	;; [unrolled: 1-line block ×4, first 2 shown]
	s_waitcnt vmcnt(0) lgkmcnt(0)
	v_cmp_ne_u16_sdwa s4, v6, v9 src0_sel:BYTE_0 src1_sel:DWORD
	s_and_saveexec_b32 s13, s4
	s_cbranch_execz .LBB239_1241
; %bb.1234:                             ;   in Loop: Header=BB239_1062 Depth=1
	v_bfrev_b32_e32 v4, 1
	v_mov_b32_e32 v5, 0
	v_cmp_ne_u16_sdwa s4, v6, v98 src0_sel:BYTE_0 src1_sel:DWORD
	s_and_saveexec_b32 s15, s4
	s_cbranch_execz .LBB239_1240
; %bb.1235:                             ;   in Loop: Header=BB239_1062 Depth=1
	v_mov_b32_e32 v4, 0x7f800001
	v_and_b32_e32 v7, 0x7f, v6
	v_mov_b32_e32 v5, 0
	s_mov_b32 s16, exec_lo
	v_cmpx_ne_u32_e32 0x7f, v7
	s_cbranch_execz .LBB239_1239
; %bb.1236:                             ;   in Loop: Header=BB239_1062 Depth=1
	v_and_b32_e32 v8, 7, v6
	v_lshrrev_b32_e32 v4, 3, v7
	s_mov_b32 s17, exec_lo
	v_cmpx_gt_u32_e32 8, v7
; %bb.1237:                             ;   in Loop: Header=BB239_1062 Depth=1
	v_ffbh_u32_e32 v4, v8
	v_min_u32_e32 v4, 32, v4
	v_subrev_nc_u32_e32 v5, 28, v4
	v_sub_nc_u32_e32 v4, 29, v4
	v_lshlrev_b64 v[7:8], v5, v[8:9]
	v_and_b32_e32 v8, 7, v7
; %bb.1238:                             ;   in Loop: Header=BB239_1062 Depth=1
	s_or_b32 exec_lo, exec_lo, s17
	v_lshlrev_b32_e32 v5, 24, v6
	v_lshlrev_b32_e32 v7, 20, v8
	v_lshl_add_u32 v4, v4, 23, 0x3c000000
	v_and_b32_e32 v5, 0x80000000, v5
	v_or3_b32 v8, v7, v5, v4
	v_mov_b32_e32 v4, v8
	v_mov_b32_e32 v5, v9
.LBB239_1239:                           ;   in Loop: Header=BB239_1062 Depth=1
	s_or_b32 exec_lo, exec_lo, s16
.LBB239_1240:                           ;   in Loop: Header=BB239_1062 Depth=1
	s_or_b32 exec_lo, exec_lo, s15
.LBB239_1241:                           ;   in Loop: Header=BB239_1062 Depth=1
	s_or_b32 exec_lo, exec_lo, s13
	v_cmp_ne_u16_sdwa s4, v6, v9 src0_sel:BYTE_1 src1_sel:DWORD
	s_and_saveexec_b32 s13, s4
	s_cbranch_execz .LBB239_1249
; %bb.1242:                             ;   in Loop: Header=BB239_1062 Depth=1
	v_mov_b32_e32 v10, v9
	v_mov_b32_e32 v22, v11
	v_cmp_ne_u16_sdwa s4, v6, v98 src0_sel:BYTE_1 src1_sel:DWORD
	v_mov_b32_e32 v21, v10
	s_and_saveexec_b32 s15, s4
	s_cbranch_execz .LBB239_1248
; %bb.1243:                             ;   in Loop: Header=BB239_1062 Depth=1
	v_mov_b32_e32 v7, 0xffff
	v_mov_b32_e32 v12, v9
	;; [unrolled: 1-line block ×3, first 2 shown]
	s_mov_b32 s16, exec_lo
	v_and_b32_sdwa v7, v7, v6 dst_sel:DWORD dst_unused:UNUSED_PAD src0_sel:DWORD src1_sel:BYTE_1
	v_mov_b32_e32 v21, v12
	v_and_b32_e32 v10, 0x7f, v7
	v_cmpx_ne_u32_e32 0x7f, v10
	s_cbranch_execz .LBB239_1247
; %bb.1244:                             ;   in Loop: Header=BB239_1062 Depth=1
	v_and_b32_e32 v8, 7, v7
	v_lshrrev_b32_e32 v7, 3, v10
	s_mov_b32 s17, exec_lo
	v_cmpx_gt_u32_e32 8, v10
; %bb.1245:                             ;   in Loop: Header=BB239_1062 Depth=1
	v_ffbh_u32_e32 v7, v8
	v_min_u32_e32 v7, 32, v7
	v_subrev_nc_u32_e32 v10, 28, v7
	v_sub_nc_u32_e32 v7, 29, v7
	v_lshlrev_b64 v[21:22], v10, v[8:9]
	v_and_b32_e32 v8, 7, v21
; %bb.1246:                             ;   in Loop: Header=BB239_1062 Depth=1
	s_or_b32 exec_lo, exec_lo, s17
	v_lshlrev_b32_e32 v10, 16, v6
	v_lshlrev_b32_e32 v8, 20, v8
	v_lshl_add_u32 v7, v7, 23, 0x3c000000
	v_mov_b32_e32 v21, v9
	v_and_b32_e32 v10, 0x80000000, v10
	v_or3_b32 v22, v8, v10, v7
.LBB239_1247:                           ;   in Loop: Header=BB239_1062 Depth=1
	s_or_b32 exec_lo, exec_lo, s16
.LBB239_1248:                           ;   in Loop: Header=BB239_1062 Depth=1
	s_or_b32 exec_lo, exec_lo, s15
.LBB239_1249:                           ;   in Loop: Header=BB239_1062 Depth=1
	s_or_b32 exec_lo, exec_lo, s13
	v_mov_b32_e32 v25, 0
	v_mov_b32_e32 v23, 0
	v_and_b32_sdwa v7, v6, v100 dst_sel:DWORD dst_unused:UNUSED_PAD src0_sel:WORD_1 src1_sel:DWORD
	v_mov_b32_e32 v26, 0
	v_mov_b32_e32 v24, 0
	s_mov_b32 s13, exec_lo
	v_cmpx_ne_u16_e32 0, v7
	s_cbranch_execz .LBB239_1257
; %bb.1250:                             ;   in Loop: Header=BB239_1062 Depth=1
	v_bfrev_b32_e32 v23, 1
	v_mov_b32_e32 v24, 0
	s_mov_b32 s15, exec_lo
	v_cmpx_ne_u16_e32 0x80, v7
	s_cbranch_execz .LBB239_1256
; %bb.1251:                             ;   in Loop: Header=BB239_1062 Depth=1
	v_mov_b32_e32 v23, 0x7f800001
	v_bfe_u32 v10, v6, 16, 7
	v_mov_b32_e32 v24, 0
	s_mov_b32 s16, exec_lo
	v_cmpx_ne_u32_e32 0x7f, v10
	s_cbranch_execz .LBB239_1255
; %bb.1252:                             ;   in Loop: Header=BB239_1062 Depth=1
	v_mov_b32_e32 v7, 7
	s_mov_b32 s17, exec_lo
	v_and_b32_sdwa v8, v6, v7 dst_sel:DWORD dst_unused:UNUSED_PAD src0_sel:WORD_1 src1_sel:DWORD
	v_lshrrev_b32_e32 v7, 3, v10
	v_cmpx_gt_u32_e32 8, v10
; %bb.1253:                             ;   in Loop: Header=BB239_1062 Depth=1
	v_ffbh_u32_e32 v7, v8
	v_min_u32_e32 v7, 32, v7
	v_subrev_nc_u32_e32 v10, 28, v7
	v_sub_nc_u32_e32 v7, 29, v7
	v_lshlrev_b64 v[23:24], v10, v[8:9]
	v_and_b32_e32 v8, 7, v23
; %bb.1254:                             ;   in Loop: Header=BB239_1062 Depth=1
	s_or_b32 exec_lo, exec_lo, s17
	v_mov_b32_e32 v10, 24
	v_lshlrev_b32_e32 v8, 20, v8
	v_lshl_add_u32 v7, v7, 23, 0x3c000000
	v_lshlrev_b32_sdwa v10, v10, v6 dst_sel:DWORD dst_unused:UNUSED_PAD src0_sel:DWORD src1_sel:WORD_1
	v_and_b32_e32 v10, 0x80000000, v10
	v_or3_b32 v8, v8, v10, v7
	v_mov_b32_e32 v24, v9
	v_mov_b32_e32 v23, v8
.LBB239_1255:                           ;   in Loop: Header=BB239_1062 Depth=1
	s_or_b32 exec_lo, exec_lo, s16
.LBB239_1256:                           ;   in Loop: Header=BB239_1062 Depth=1
	s_or_b32 exec_lo, exec_lo, s15
.LBB239_1257:                           ;   in Loop: Header=BB239_1062 Depth=1
	s_or_b32 exec_lo, exec_lo, s13
	s_mov_b32 s13, exec_lo
	v_cmpx_lt_u32_e32 0xffffff, v6
	s_cbranch_execz .LBB239_1265
; %bb.1258:                             ;   in Loop: Header=BB239_1062 Depth=1
	v_mov_b32_e32 v10, v9
	v_mov_b32_e32 v26, v11
	v_cmp_ne_u32_sdwa s4, v6, v98 src0_sel:BYTE_3 src1_sel:DWORD
	v_mov_b32_e32 v25, v10
	s_and_saveexec_b32 s15, s4
	s_cbranch_execz .LBB239_1264
; %bb.1259:                             ;   in Loop: Header=BB239_1062 Depth=1
	v_mov_b32_e32 v12, v9
	v_mov_b32_e32 v26, v13
	v_bfe_u32 v10, v6, 24, 7
	s_mov_b32 s16, exec_lo
	v_mov_b32_e32 v25, v12
	v_cmpx_ne_u32_e32 0x7f, v10
	s_cbranch_execz .LBB239_1263
; %bb.1260:                             ;   in Loop: Header=BB239_1062 Depth=1
	v_mov_b32_e32 v7, 7
	s_mov_b32 s17, exec_lo
	v_and_b32_sdwa v8, v6, v7 dst_sel:DWORD dst_unused:UNUSED_PAD src0_sel:BYTE_3 src1_sel:DWORD
	v_lshrrev_b32_e32 v7, 3, v10
	v_cmpx_gt_u32_e32 8, v10
; %bb.1261:                             ;   in Loop: Header=BB239_1062 Depth=1
	v_ffbh_u32_e32 v7, v8
	v_min_u32_e32 v7, 32, v7
	v_subrev_nc_u32_e32 v10, 28, v7
	v_sub_nc_u32_e32 v7, 29, v7
	v_lshlrev_b64 v[25:26], v10, v[8:9]
	v_and_b32_e32 v8, 7, v25
; %bb.1262:                             ;   in Loop: Header=BB239_1062 Depth=1
	s_or_b32 exec_lo, exec_lo, s17
	v_mov_b32_e32 v10, 24
	v_lshlrev_b32_e32 v8, 20, v8
	v_lshl_add_u32 v7, v7, 23, 0x3c000000
	v_mov_b32_e32 v25, v9
	v_lshlrev_b32_sdwa v6, v10, v6 dst_sel:DWORD dst_unused:UNUSED_PAD src0_sel:DWORD src1_sel:BYTE_3
	v_and_b32_e32 v6, 0x80000000, v6
	v_or3_b32 v26, v8, v6, v7
.LBB239_1263:                           ;   in Loop: Header=BB239_1062 Depth=1
	s_or_b32 exec_lo, exec_lo, s16
.LBB239_1264:                           ;   in Loop: Header=BB239_1062 Depth=1
	s_or_b32 exec_lo, exec_lo, s15
.LBB239_1265:                           ;   in Loop: Header=BB239_1062 Depth=1
	s_or_b32 exec_lo, exec_lo, s13
	v_or_b32_e32 v4, v21, v4
	v_or_b32_e32 v6, v25, v23
	;; [unrolled: 1-line block ×4, first 2 shown]
	v_mul_f32_e32 v4, v40, v4
	v_mul_f32_e32 v5, v40, v5
	buffer_store_dword v4, off, s[0:3], s32 offset:412 ; 4-byte Folded Spill
	v_mul_f32_e32 v4, v40, v6
	buffer_store_dword v5, off, s[0:3], s32 offset:420 ; 4-byte Folded Spill
	buffer_store_dword v4, off, s[0:3], s32 offset:404 ; 4-byte Folded Spill
	v_mul_f32_e32 v4, v40, v7
	buffer_store_dword v4, off, s[0:3], s32 offset:396 ; 4-byte Folded Spill
	s_and_saveexec_b32 s13, vcc_lo
	s_cbranch_execz .LBB239_1267
; %bb.1266:                             ;   in Loop: Header=BB239_1062 Depth=1
	s_clause 0x1
	buffer_load_dword v4, off, s[0:3], s32 offset:208
	buffer_load_dword v5, off, s[0:3], s32 offset:412
	s_waitcnt vmcnt(1)
	v_cmp_lt_i32_e64 s4, v85, v4
	s_waitcnt vmcnt(0)
	v_cndmask_b32_e64 v5, 0, v5, s4
	v_cmp_lt_i32_e64 s4, v43, v4
	buffer_store_dword v5, off, s[0:3], s32 offset:412 ; 4-byte Folded Spill
	buffer_load_dword v5, off, s[0:3], s32 offset:420 ; 4-byte Folded Reload
	s_waitcnt vmcnt(0)
	v_cndmask_b32_e64 v5, 0, v5, s4
	v_cmp_lt_i32_e64 s4, v42, v4
	buffer_store_dword v5, off, s[0:3], s32 offset:420 ; 4-byte Folded Spill
	buffer_load_dword v5, off, s[0:3], s32 offset:404 ; 4-byte Folded Reload
	s_waitcnt vmcnt(0)
	v_cndmask_b32_e64 v5, 0, v5, s4
	v_cmp_lt_i32_e64 s4, v41, v4
	buffer_load_dword v4, off, s[0:3], s32 offset:396 ; 4-byte Folded Reload
	buffer_store_dword v5, off, s[0:3], s32 offset:404 ; 4-byte Folded Spill
	s_waitcnt vmcnt(0)
	v_cndmask_b32_e64 v4, 0, v4, s4
	buffer_store_dword v4, off, s[0:3], s32 offset:396 ; 4-byte Folded Spill
.LBB239_1267:                           ;   in Loop: Header=BB239_1062 Depth=1
	s_or_b32 exec_lo, exec_lo, s13
	flat_load_dword v6, v[19:20] offset:768
	v_mov_b32_e32 v21, 0
	v_mov_b32_e32 v4, 0
	;; [unrolled: 1-line block ×4, first 2 shown]
	s_waitcnt vmcnt(0) lgkmcnt(0)
	v_cmp_ne_u16_sdwa s4, v6, v9 src0_sel:BYTE_0 src1_sel:DWORD
	s_and_saveexec_b32 s13, s4
	s_cbranch_execz .LBB239_1275
; %bb.1268:                             ;   in Loop: Header=BB239_1062 Depth=1
	v_bfrev_b32_e32 v4, 1
	v_mov_b32_e32 v5, 0
	v_cmp_ne_u16_sdwa s4, v6, v98 src0_sel:BYTE_0 src1_sel:DWORD
	s_and_saveexec_b32 s15, s4
	s_cbranch_execz .LBB239_1274
; %bb.1269:                             ;   in Loop: Header=BB239_1062 Depth=1
	v_mov_b32_e32 v4, 0x7f800001
	v_and_b32_e32 v7, 0x7f, v6
	v_mov_b32_e32 v5, 0
	s_mov_b32 s16, exec_lo
	v_cmpx_ne_u32_e32 0x7f, v7
	s_cbranch_execz .LBB239_1273
; %bb.1270:                             ;   in Loop: Header=BB239_1062 Depth=1
	v_and_b32_e32 v8, 7, v6
	v_lshrrev_b32_e32 v4, 3, v7
	s_mov_b32 s17, exec_lo
	v_cmpx_gt_u32_e32 8, v7
; %bb.1271:                             ;   in Loop: Header=BB239_1062 Depth=1
	v_ffbh_u32_e32 v4, v8
	v_min_u32_e32 v4, 32, v4
	v_subrev_nc_u32_e32 v5, 28, v4
	v_sub_nc_u32_e32 v4, 29, v4
	v_lshlrev_b64 v[7:8], v5, v[8:9]
	v_and_b32_e32 v8, 7, v7
; %bb.1272:                             ;   in Loop: Header=BB239_1062 Depth=1
	s_or_b32 exec_lo, exec_lo, s17
	v_lshlrev_b32_e32 v5, 24, v6
	v_lshlrev_b32_e32 v7, 20, v8
	v_lshl_add_u32 v4, v4, 23, 0x3c000000
	v_and_b32_e32 v5, 0x80000000, v5
	v_or3_b32 v8, v7, v5, v4
	v_mov_b32_e32 v4, v8
	v_mov_b32_e32 v5, v9
.LBB239_1273:                           ;   in Loop: Header=BB239_1062 Depth=1
	s_or_b32 exec_lo, exec_lo, s16
.LBB239_1274:                           ;   in Loop: Header=BB239_1062 Depth=1
	s_or_b32 exec_lo, exec_lo, s15
.LBB239_1275:                           ;   in Loop: Header=BB239_1062 Depth=1
	s_or_b32 exec_lo, exec_lo, s13
	v_cmp_ne_u16_sdwa s4, v6, v9 src0_sel:BYTE_1 src1_sel:DWORD
	s_and_saveexec_b32 s13, s4
	s_cbranch_execz .LBB239_1283
; %bb.1276:                             ;   in Loop: Header=BB239_1062 Depth=1
	v_mov_b32_e32 v10, v9
	v_mov_b32_e32 v22, v11
	v_cmp_ne_u16_sdwa s4, v6, v98 src0_sel:BYTE_1 src1_sel:DWORD
	v_mov_b32_e32 v21, v10
	s_and_saveexec_b32 s15, s4
	s_cbranch_execz .LBB239_1282
; %bb.1277:                             ;   in Loop: Header=BB239_1062 Depth=1
	v_mov_b32_e32 v7, 0xffff
	v_mov_b32_e32 v12, v9
	;; [unrolled: 1-line block ×3, first 2 shown]
	s_mov_b32 s16, exec_lo
	v_and_b32_sdwa v7, v7, v6 dst_sel:DWORD dst_unused:UNUSED_PAD src0_sel:DWORD src1_sel:BYTE_1
	v_mov_b32_e32 v21, v12
	v_and_b32_e32 v10, 0x7f, v7
	v_cmpx_ne_u32_e32 0x7f, v10
	s_cbranch_execz .LBB239_1281
; %bb.1278:                             ;   in Loop: Header=BB239_1062 Depth=1
	v_and_b32_e32 v8, 7, v7
	v_lshrrev_b32_e32 v7, 3, v10
	s_mov_b32 s17, exec_lo
	v_cmpx_gt_u32_e32 8, v10
; %bb.1279:                             ;   in Loop: Header=BB239_1062 Depth=1
	v_ffbh_u32_e32 v7, v8
	v_min_u32_e32 v7, 32, v7
	v_subrev_nc_u32_e32 v10, 28, v7
	v_sub_nc_u32_e32 v7, 29, v7
	v_lshlrev_b64 v[21:22], v10, v[8:9]
	v_and_b32_e32 v8, 7, v21
; %bb.1280:                             ;   in Loop: Header=BB239_1062 Depth=1
	s_or_b32 exec_lo, exec_lo, s17
	v_lshlrev_b32_e32 v10, 16, v6
	v_lshlrev_b32_e32 v8, 20, v8
	v_lshl_add_u32 v7, v7, 23, 0x3c000000
	v_mov_b32_e32 v21, v9
	v_and_b32_e32 v10, 0x80000000, v10
	v_or3_b32 v22, v8, v10, v7
.LBB239_1281:                           ;   in Loop: Header=BB239_1062 Depth=1
	s_or_b32 exec_lo, exec_lo, s16
.LBB239_1282:                           ;   in Loop: Header=BB239_1062 Depth=1
	s_or_b32 exec_lo, exec_lo, s15
.LBB239_1283:                           ;   in Loop: Header=BB239_1062 Depth=1
	s_or_b32 exec_lo, exec_lo, s13
	v_mov_b32_e32 v25, 0
	v_mov_b32_e32 v23, 0
	v_and_b32_sdwa v7, v6, v100 dst_sel:DWORD dst_unused:UNUSED_PAD src0_sel:WORD_1 src1_sel:DWORD
	v_mov_b32_e32 v26, 0
	v_mov_b32_e32 v24, 0
	s_mov_b32 s13, exec_lo
	v_cmpx_ne_u16_e32 0, v7
	s_cbranch_execz .LBB239_1291
; %bb.1284:                             ;   in Loop: Header=BB239_1062 Depth=1
	v_bfrev_b32_e32 v23, 1
	v_mov_b32_e32 v24, 0
	s_mov_b32 s15, exec_lo
	v_cmpx_ne_u16_e32 0x80, v7
	s_cbranch_execz .LBB239_1290
; %bb.1285:                             ;   in Loop: Header=BB239_1062 Depth=1
	v_mov_b32_e32 v23, 0x7f800001
	v_bfe_u32 v10, v6, 16, 7
	v_mov_b32_e32 v24, 0
	s_mov_b32 s16, exec_lo
	v_cmpx_ne_u32_e32 0x7f, v10
	s_cbranch_execz .LBB239_1289
; %bb.1286:                             ;   in Loop: Header=BB239_1062 Depth=1
	v_mov_b32_e32 v7, 7
	s_mov_b32 s17, exec_lo
	v_and_b32_sdwa v8, v6, v7 dst_sel:DWORD dst_unused:UNUSED_PAD src0_sel:WORD_1 src1_sel:DWORD
	v_lshrrev_b32_e32 v7, 3, v10
	v_cmpx_gt_u32_e32 8, v10
; %bb.1287:                             ;   in Loop: Header=BB239_1062 Depth=1
	v_ffbh_u32_e32 v7, v8
	v_min_u32_e32 v7, 32, v7
	v_subrev_nc_u32_e32 v10, 28, v7
	v_sub_nc_u32_e32 v7, 29, v7
	v_lshlrev_b64 v[23:24], v10, v[8:9]
	v_and_b32_e32 v8, 7, v23
; %bb.1288:                             ;   in Loop: Header=BB239_1062 Depth=1
	s_or_b32 exec_lo, exec_lo, s17
	v_mov_b32_e32 v10, 24
	v_lshlrev_b32_e32 v8, 20, v8
	v_lshl_add_u32 v7, v7, 23, 0x3c000000
	v_lshlrev_b32_sdwa v10, v10, v6 dst_sel:DWORD dst_unused:UNUSED_PAD src0_sel:DWORD src1_sel:WORD_1
	v_and_b32_e32 v10, 0x80000000, v10
	v_or3_b32 v8, v8, v10, v7
	v_mov_b32_e32 v24, v9
	v_mov_b32_e32 v23, v8
.LBB239_1289:                           ;   in Loop: Header=BB239_1062 Depth=1
	s_or_b32 exec_lo, exec_lo, s16
.LBB239_1290:                           ;   in Loop: Header=BB239_1062 Depth=1
	s_or_b32 exec_lo, exec_lo, s15
.LBB239_1291:                           ;   in Loop: Header=BB239_1062 Depth=1
	s_or_b32 exec_lo, exec_lo, s13
	s_mov_b32 s13, exec_lo
	v_cmpx_lt_u32_e32 0xffffff, v6
	s_cbranch_execz .LBB239_1299
; %bb.1292:                             ;   in Loop: Header=BB239_1062 Depth=1
	v_mov_b32_e32 v10, v9
	v_mov_b32_e32 v26, v11
	v_cmp_ne_u32_sdwa s4, v6, v98 src0_sel:BYTE_3 src1_sel:DWORD
	v_mov_b32_e32 v25, v10
	s_and_saveexec_b32 s15, s4
	s_cbranch_execz .LBB239_1298
; %bb.1293:                             ;   in Loop: Header=BB239_1062 Depth=1
	v_mov_b32_e32 v12, v9
	v_mov_b32_e32 v26, v13
	v_bfe_u32 v10, v6, 24, 7
	s_mov_b32 s16, exec_lo
	v_mov_b32_e32 v25, v12
	v_cmpx_ne_u32_e32 0x7f, v10
	s_cbranch_execz .LBB239_1297
; %bb.1294:                             ;   in Loop: Header=BB239_1062 Depth=1
	v_mov_b32_e32 v7, 7
	s_mov_b32 s17, exec_lo
	v_and_b32_sdwa v8, v6, v7 dst_sel:DWORD dst_unused:UNUSED_PAD src0_sel:BYTE_3 src1_sel:DWORD
	v_lshrrev_b32_e32 v7, 3, v10
	v_cmpx_gt_u32_e32 8, v10
; %bb.1295:                             ;   in Loop: Header=BB239_1062 Depth=1
	v_ffbh_u32_e32 v7, v8
	v_min_u32_e32 v7, 32, v7
	v_subrev_nc_u32_e32 v10, 28, v7
	v_sub_nc_u32_e32 v7, 29, v7
	v_lshlrev_b64 v[25:26], v10, v[8:9]
	v_and_b32_e32 v8, 7, v25
; %bb.1296:                             ;   in Loop: Header=BB239_1062 Depth=1
	s_or_b32 exec_lo, exec_lo, s17
	v_mov_b32_e32 v10, 24
	v_lshlrev_b32_e32 v8, 20, v8
	v_lshl_add_u32 v7, v7, 23, 0x3c000000
	v_mov_b32_e32 v25, v9
	v_lshlrev_b32_sdwa v6, v10, v6 dst_sel:DWORD dst_unused:UNUSED_PAD src0_sel:DWORD src1_sel:BYTE_3
	v_and_b32_e32 v6, 0x80000000, v6
	v_or3_b32 v26, v8, v6, v7
.LBB239_1297:                           ;   in Loop: Header=BB239_1062 Depth=1
	s_or_b32 exec_lo, exec_lo, s16
.LBB239_1298:                           ;   in Loop: Header=BB239_1062 Depth=1
	s_or_b32 exec_lo, exec_lo, s15
.LBB239_1299:                           ;   in Loop: Header=BB239_1062 Depth=1
	s_or_b32 exec_lo, exec_lo, s13
	v_or_b32_e32 v4, v21, v4
	v_or_b32_e32 v6, v25, v23
	;; [unrolled: 1-line block ×4, first 2 shown]
	v_mul_f32_e32 v4, v40, v4
	v_mul_f32_e32 v5, v40, v5
	buffer_store_dword v4, off, s[0:3], s32 offset:444 ; 4-byte Folded Spill
	v_mul_f32_e32 v4, v40, v6
	buffer_store_dword v5, off, s[0:3], s32 offset:452 ; 4-byte Folded Spill
	buffer_store_dword v4, off, s[0:3], s32 offset:436 ; 4-byte Folded Spill
	v_mul_f32_e32 v4, v40, v7
	buffer_store_dword v4, off, s[0:3], s32 offset:428 ; 4-byte Folded Spill
	s_and_saveexec_b32 s13, vcc_lo
	s_cbranch_execz .LBB239_1301
; %bb.1300:                             ;   in Loop: Header=BB239_1062 Depth=1
	s_clause 0x1
	buffer_load_dword v4, off, s[0:3], s32 offset:208
	buffer_load_dword v5, off, s[0:3], s32 offset:444
	s_waitcnt vmcnt(1)
	v_cmp_lt_i32_e64 s4, v85, v4
	s_waitcnt vmcnt(0)
	v_cndmask_b32_e64 v5, 0, v5, s4
	v_cmp_lt_i32_e64 s4, v43, v4
	buffer_store_dword v5, off, s[0:3], s32 offset:444 ; 4-byte Folded Spill
	buffer_load_dword v5, off, s[0:3], s32 offset:452 ; 4-byte Folded Reload
	s_waitcnt vmcnt(0)
	v_cndmask_b32_e64 v5, 0, v5, s4
	v_cmp_lt_i32_e64 s4, v42, v4
	buffer_store_dword v5, off, s[0:3], s32 offset:452 ; 4-byte Folded Spill
	buffer_load_dword v5, off, s[0:3], s32 offset:436 ; 4-byte Folded Reload
	s_waitcnt vmcnt(0)
	v_cndmask_b32_e64 v5, 0, v5, s4
	v_cmp_lt_i32_e64 s4, v41, v4
	buffer_load_dword v4, off, s[0:3], s32 offset:428 ; 4-byte Folded Reload
	buffer_store_dword v5, off, s[0:3], s32 offset:436 ; 4-byte Folded Spill
	s_waitcnt vmcnt(0)
	v_cndmask_b32_e64 v4, 0, v4, s4
	buffer_store_dword v4, off, s[0:3], s32 offset:428 ; 4-byte Folded Spill
.LBB239_1301:                           ;   in Loop: Header=BB239_1062 Depth=1
	s_or_b32 exec_lo, exec_lo, s13
	flat_load_dword v6, v[19:20] offset:896
	v_mov_b32_e32 v21, 0
	v_mov_b32_e32 v4, 0
	;; [unrolled: 1-line block ×4, first 2 shown]
	s_waitcnt vmcnt(0) lgkmcnt(0)
	v_cmp_ne_u16_sdwa s4, v6, v9 src0_sel:BYTE_0 src1_sel:DWORD
	s_and_saveexec_b32 s13, s4
	s_cbranch_execz .LBB239_1309
; %bb.1302:                             ;   in Loop: Header=BB239_1062 Depth=1
	v_bfrev_b32_e32 v4, 1
	v_mov_b32_e32 v5, 0
	v_cmp_ne_u16_sdwa s4, v6, v98 src0_sel:BYTE_0 src1_sel:DWORD
	s_and_saveexec_b32 s15, s4
	s_cbranch_execz .LBB239_1308
; %bb.1303:                             ;   in Loop: Header=BB239_1062 Depth=1
	v_mov_b32_e32 v4, 0x7f800001
	v_and_b32_e32 v7, 0x7f, v6
	v_mov_b32_e32 v5, 0
	s_mov_b32 s16, exec_lo
	v_cmpx_ne_u32_e32 0x7f, v7
	s_cbranch_execz .LBB239_1307
; %bb.1304:                             ;   in Loop: Header=BB239_1062 Depth=1
	v_and_b32_e32 v8, 7, v6
	v_lshrrev_b32_e32 v4, 3, v7
	s_mov_b32 s17, exec_lo
	v_cmpx_gt_u32_e32 8, v7
; %bb.1305:                             ;   in Loop: Header=BB239_1062 Depth=1
	v_ffbh_u32_e32 v4, v8
	v_min_u32_e32 v4, 32, v4
	v_subrev_nc_u32_e32 v5, 28, v4
	v_sub_nc_u32_e32 v4, 29, v4
	v_lshlrev_b64 v[7:8], v5, v[8:9]
	v_and_b32_e32 v8, 7, v7
; %bb.1306:                             ;   in Loop: Header=BB239_1062 Depth=1
	s_or_b32 exec_lo, exec_lo, s17
	v_lshlrev_b32_e32 v5, 24, v6
	v_lshlrev_b32_e32 v7, 20, v8
	v_lshl_add_u32 v4, v4, 23, 0x3c000000
	v_and_b32_e32 v5, 0x80000000, v5
	v_or3_b32 v8, v7, v5, v4
	v_mov_b32_e32 v4, v8
	v_mov_b32_e32 v5, v9
.LBB239_1307:                           ;   in Loop: Header=BB239_1062 Depth=1
	s_or_b32 exec_lo, exec_lo, s16
.LBB239_1308:                           ;   in Loop: Header=BB239_1062 Depth=1
	s_or_b32 exec_lo, exec_lo, s15
.LBB239_1309:                           ;   in Loop: Header=BB239_1062 Depth=1
	s_or_b32 exec_lo, exec_lo, s13
	v_cmp_ne_u16_sdwa s4, v6, v9 src0_sel:BYTE_1 src1_sel:DWORD
	s_and_saveexec_b32 s13, s4
	s_cbranch_execz .LBB239_1317
; %bb.1310:                             ;   in Loop: Header=BB239_1062 Depth=1
	v_mov_b32_e32 v10, v9
	v_mov_b32_e32 v22, v11
	v_cmp_ne_u16_sdwa s4, v6, v98 src0_sel:BYTE_1 src1_sel:DWORD
	v_mov_b32_e32 v21, v10
	s_and_saveexec_b32 s15, s4
	s_cbranch_execz .LBB239_1316
; %bb.1311:                             ;   in Loop: Header=BB239_1062 Depth=1
	v_mov_b32_e32 v7, 0xffff
	v_mov_b32_e32 v12, v9
	;; [unrolled: 1-line block ×3, first 2 shown]
	s_mov_b32 s16, exec_lo
	v_and_b32_sdwa v7, v7, v6 dst_sel:DWORD dst_unused:UNUSED_PAD src0_sel:DWORD src1_sel:BYTE_1
	v_mov_b32_e32 v21, v12
	v_and_b32_e32 v10, 0x7f, v7
	v_cmpx_ne_u32_e32 0x7f, v10
	s_cbranch_execz .LBB239_1315
; %bb.1312:                             ;   in Loop: Header=BB239_1062 Depth=1
	v_and_b32_e32 v8, 7, v7
	v_lshrrev_b32_e32 v7, 3, v10
	s_mov_b32 s17, exec_lo
	v_cmpx_gt_u32_e32 8, v10
; %bb.1313:                             ;   in Loop: Header=BB239_1062 Depth=1
	v_ffbh_u32_e32 v7, v8
	v_min_u32_e32 v7, 32, v7
	v_subrev_nc_u32_e32 v10, 28, v7
	v_sub_nc_u32_e32 v7, 29, v7
	v_lshlrev_b64 v[21:22], v10, v[8:9]
	v_and_b32_e32 v8, 7, v21
; %bb.1314:                             ;   in Loop: Header=BB239_1062 Depth=1
	s_or_b32 exec_lo, exec_lo, s17
	v_lshlrev_b32_e32 v10, 16, v6
	v_lshlrev_b32_e32 v8, 20, v8
	v_lshl_add_u32 v7, v7, 23, 0x3c000000
	v_mov_b32_e32 v21, v9
	v_and_b32_e32 v10, 0x80000000, v10
	v_or3_b32 v22, v8, v10, v7
.LBB239_1315:                           ;   in Loop: Header=BB239_1062 Depth=1
	s_or_b32 exec_lo, exec_lo, s16
.LBB239_1316:                           ;   in Loop: Header=BB239_1062 Depth=1
	s_or_b32 exec_lo, exec_lo, s15
.LBB239_1317:                           ;   in Loop: Header=BB239_1062 Depth=1
	s_or_b32 exec_lo, exec_lo, s13
	v_mov_b32_e32 v25, 0
	v_mov_b32_e32 v23, 0
	v_and_b32_sdwa v7, v6, v100 dst_sel:DWORD dst_unused:UNUSED_PAD src0_sel:WORD_1 src1_sel:DWORD
	v_mov_b32_e32 v26, 0
	v_mov_b32_e32 v24, 0
	s_mov_b32 s13, exec_lo
	v_cmpx_ne_u16_e32 0, v7
	s_cbranch_execz .LBB239_1325
; %bb.1318:                             ;   in Loop: Header=BB239_1062 Depth=1
	v_bfrev_b32_e32 v23, 1
	v_mov_b32_e32 v24, 0
	s_mov_b32 s15, exec_lo
	v_cmpx_ne_u16_e32 0x80, v7
	s_cbranch_execz .LBB239_1324
; %bb.1319:                             ;   in Loop: Header=BB239_1062 Depth=1
	v_mov_b32_e32 v23, 0x7f800001
	v_bfe_u32 v10, v6, 16, 7
	v_mov_b32_e32 v24, 0
	s_mov_b32 s16, exec_lo
	v_cmpx_ne_u32_e32 0x7f, v10
	s_cbranch_execz .LBB239_1323
; %bb.1320:                             ;   in Loop: Header=BB239_1062 Depth=1
	v_mov_b32_e32 v7, 7
	s_mov_b32 s17, exec_lo
	v_and_b32_sdwa v8, v6, v7 dst_sel:DWORD dst_unused:UNUSED_PAD src0_sel:WORD_1 src1_sel:DWORD
	v_lshrrev_b32_e32 v7, 3, v10
	v_cmpx_gt_u32_e32 8, v10
; %bb.1321:                             ;   in Loop: Header=BB239_1062 Depth=1
	v_ffbh_u32_e32 v7, v8
	v_min_u32_e32 v7, 32, v7
	v_subrev_nc_u32_e32 v10, 28, v7
	v_sub_nc_u32_e32 v7, 29, v7
	v_lshlrev_b64 v[23:24], v10, v[8:9]
	v_and_b32_e32 v8, 7, v23
; %bb.1322:                             ;   in Loop: Header=BB239_1062 Depth=1
	s_or_b32 exec_lo, exec_lo, s17
	v_mov_b32_e32 v10, 24
	v_lshlrev_b32_e32 v8, 20, v8
	v_lshl_add_u32 v7, v7, 23, 0x3c000000
	v_lshlrev_b32_sdwa v10, v10, v6 dst_sel:DWORD dst_unused:UNUSED_PAD src0_sel:DWORD src1_sel:WORD_1
	v_and_b32_e32 v10, 0x80000000, v10
	v_or3_b32 v8, v8, v10, v7
	v_mov_b32_e32 v24, v9
	v_mov_b32_e32 v23, v8
.LBB239_1323:                           ;   in Loop: Header=BB239_1062 Depth=1
	s_or_b32 exec_lo, exec_lo, s16
.LBB239_1324:                           ;   in Loop: Header=BB239_1062 Depth=1
	s_or_b32 exec_lo, exec_lo, s15
.LBB239_1325:                           ;   in Loop: Header=BB239_1062 Depth=1
	s_or_b32 exec_lo, exec_lo, s13
	s_mov_b32 s13, exec_lo
	v_cmpx_lt_u32_e32 0xffffff, v6
	s_cbranch_execz .LBB239_1333
; %bb.1326:                             ;   in Loop: Header=BB239_1062 Depth=1
	v_mov_b32_e32 v10, v9
	v_mov_b32_e32 v26, v11
	v_cmp_ne_u32_sdwa s4, v6, v98 src0_sel:BYTE_3 src1_sel:DWORD
	v_mov_b32_e32 v25, v10
	s_and_saveexec_b32 s15, s4
	s_cbranch_execz .LBB239_1332
; %bb.1327:                             ;   in Loop: Header=BB239_1062 Depth=1
	v_mov_b32_e32 v12, v9
	v_mov_b32_e32 v26, v13
	v_bfe_u32 v10, v6, 24, 7
	s_mov_b32 s16, exec_lo
	v_mov_b32_e32 v25, v12
	v_cmpx_ne_u32_e32 0x7f, v10
	s_cbranch_execz .LBB239_1331
; %bb.1328:                             ;   in Loop: Header=BB239_1062 Depth=1
	v_mov_b32_e32 v7, 7
	s_mov_b32 s17, exec_lo
	v_and_b32_sdwa v8, v6, v7 dst_sel:DWORD dst_unused:UNUSED_PAD src0_sel:BYTE_3 src1_sel:DWORD
	v_lshrrev_b32_e32 v7, 3, v10
	v_cmpx_gt_u32_e32 8, v10
; %bb.1329:                             ;   in Loop: Header=BB239_1062 Depth=1
	v_ffbh_u32_e32 v7, v8
	v_min_u32_e32 v7, 32, v7
	v_subrev_nc_u32_e32 v10, 28, v7
	v_sub_nc_u32_e32 v7, 29, v7
	v_lshlrev_b64 v[25:26], v10, v[8:9]
	v_and_b32_e32 v8, 7, v25
; %bb.1330:                             ;   in Loop: Header=BB239_1062 Depth=1
	s_or_b32 exec_lo, exec_lo, s17
	v_mov_b32_e32 v10, 24
	v_lshlrev_b32_e32 v8, 20, v8
	v_lshl_add_u32 v7, v7, 23, 0x3c000000
	v_mov_b32_e32 v25, v9
	v_lshlrev_b32_sdwa v6, v10, v6 dst_sel:DWORD dst_unused:UNUSED_PAD src0_sel:DWORD src1_sel:BYTE_3
	v_and_b32_e32 v6, 0x80000000, v6
	v_or3_b32 v26, v8, v6, v7
.LBB239_1331:                           ;   in Loop: Header=BB239_1062 Depth=1
	s_or_b32 exec_lo, exec_lo, s16
.LBB239_1332:                           ;   in Loop: Header=BB239_1062 Depth=1
	s_or_b32 exec_lo, exec_lo, s15
.LBB239_1333:                           ;   in Loop: Header=BB239_1062 Depth=1
	s_or_b32 exec_lo, exec_lo, s13
	v_or_b32_e32 v4, v21, v4
	v_or_b32_e32 v6, v25, v23
	v_or_b32_e32 v5, v22, v5
	v_or_b32_e32 v7, v26, v24
	v_mul_f32_e32 v4, v40, v4
	v_mul_f32_e32 v5, v40, v5
	buffer_store_dword v4, off, s[0:3], s32 offset:476 ; 4-byte Folded Spill
	v_mul_f32_e32 v4, v40, v6
	buffer_store_dword v5, off, s[0:3], s32 offset:484 ; 4-byte Folded Spill
	buffer_store_dword v4, off, s[0:3], s32 offset:468 ; 4-byte Folded Spill
	v_mul_f32_e32 v4, v40, v7
	buffer_store_dword v4, off, s[0:3], s32 offset:460 ; 4-byte Folded Spill
	s_and_saveexec_b32 s13, vcc_lo
	s_cbranch_execz .LBB239_1335
; %bb.1334:                             ;   in Loop: Header=BB239_1062 Depth=1
	s_clause 0x1
	buffer_load_dword v4, off, s[0:3], s32 offset:208
	buffer_load_dword v5, off, s[0:3], s32 offset:476
	s_waitcnt vmcnt(1)
	v_cmp_lt_i32_e64 s4, v85, v4
	s_waitcnt vmcnt(0)
	v_cndmask_b32_e64 v5, 0, v5, s4
	v_cmp_lt_i32_e64 s4, v43, v4
	buffer_store_dword v5, off, s[0:3], s32 offset:476 ; 4-byte Folded Spill
	buffer_load_dword v5, off, s[0:3], s32 offset:484 ; 4-byte Folded Reload
	s_waitcnt vmcnt(0)
	v_cndmask_b32_e64 v5, 0, v5, s4
	v_cmp_lt_i32_e64 s4, v42, v4
	buffer_store_dword v5, off, s[0:3], s32 offset:484 ; 4-byte Folded Spill
	buffer_load_dword v5, off, s[0:3], s32 offset:468 ; 4-byte Folded Reload
	s_waitcnt vmcnt(0)
	v_cndmask_b32_e64 v5, 0, v5, s4
	v_cmp_lt_i32_e64 s4, v41, v4
	buffer_load_dword v4, off, s[0:3], s32 offset:460 ; 4-byte Folded Reload
	buffer_store_dword v5, off, s[0:3], s32 offset:468 ; 4-byte Folded Spill
	s_waitcnt vmcnt(0)
	v_cndmask_b32_e64 v4, 0, v4, s4
	buffer_store_dword v4, off, s[0:3], s32 offset:460 ; 4-byte Folded Spill
.LBB239_1335:                           ;   in Loop: Header=BB239_1062 Depth=1
	s_or_b32 exec_lo, exec_lo, s13
	flat_load_dword v6, v[19:20] offset:1024
	v_mov_b32_e32 v21, 0
	v_mov_b32_e32 v4, 0
	;; [unrolled: 1-line block ×4, first 2 shown]
	s_waitcnt vmcnt(0) lgkmcnt(0)
	v_cmp_ne_u16_sdwa s4, v6, v9 src0_sel:BYTE_0 src1_sel:DWORD
	s_and_saveexec_b32 s13, s4
	s_cbranch_execz .LBB239_1343
; %bb.1336:                             ;   in Loop: Header=BB239_1062 Depth=1
	v_bfrev_b32_e32 v4, 1
	v_mov_b32_e32 v5, 0
	v_cmp_ne_u16_sdwa s4, v6, v98 src0_sel:BYTE_0 src1_sel:DWORD
	s_and_saveexec_b32 s15, s4
	s_cbranch_execz .LBB239_1342
; %bb.1337:                             ;   in Loop: Header=BB239_1062 Depth=1
	v_mov_b32_e32 v4, 0x7f800001
	v_and_b32_e32 v7, 0x7f, v6
	v_mov_b32_e32 v5, 0
	s_mov_b32 s16, exec_lo
	v_cmpx_ne_u32_e32 0x7f, v7
	s_cbranch_execz .LBB239_1341
; %bb.1338:                             ;   in Loop: Header=BB239_1062 Depth=1
	v_and_b32_e32 v8, 7, v6
	v_lshrrev_b32_e32 v4, 3, v7
	s_mov_b32 s17, exec_lo
	v_cmpx_gt_u32_e32 8, v7
; %bb.1339:                             ;   in Loop: Header=BB239_1062 Depth=1
	v_ffbh_u32_e32 v4, v8
	v_min_u32_e32 v4, 32, v4
	v_subrev_nc_u32_e32 v5, 28, v4
	v_sub_nc_u32_e32 v4, 29, v4
	v_lshlrev_b64 v[7:8], v5, v[8:9]
	v_and_b32_e32 v8, 7, v7
; %bb.1340:                             ;   in Loop: Header=BB239_1062 Depth=1
	s_or_b32 exec_lo, exec_lo, s17
	v_lshlrev_b32_e32 v5, 24, v6
	v_lshlrev_b32_e32 v7, 20, v8
	v_lshl_add_u32 v4, v4, 23, 0x3c000000
	v_and_b32_e32 v5, 0x80000000, v5
	v_or3_b32 v8, v7, v5, v4
	v_mov_b32_e32 v4, v8
	v_mov_b32_e32 v5, v9
.LBB239_1341:                           ;   in Loop: Header=BB239_1062 Depth=1
	s_or_b32 exec_lo, exec_lo, s16
.LBB239_1342:                           ;   in Loop: Header=BB239_1062 Depth=1
	s_or_b32 exec_lo, exec_lo, s15
.LBB239_1343:                           ;   in Loop: Header=BB239_1062 Depth=1
	s_or_b32 exec_lo, exec_lo, s13
	v_cmp_ne_u16_sdwa s4, v6, v9 src0_sel:BYTE_1 src1_sel:DWORD
	s_and_saveexec_b32 s13, s4
	s_cbranch_execz .LBB239_1351
; %bb.1344:                             ;   in Loop: Header=BB239_1062 Depth=1
	v_mov_b32_e32 v10, v9
	v_mov_b32_e32 v22, v11
	v_cmp_ne_u16_sdwa s4, v6, v98 src0_sel:BYTE_1 src1_sel:DWORD
	v_mov_b32_e32 v21, v10
	s_and_saveexec_b32 s15, s4
	s_cbranch_execz .LBB239_1350
; %bb.1345:                             ;   in Loop: Header=BB239_1062 Depth=1
	v_mov_b32_e32 v7, 0xffff
	v_mov_b32_e32 v12, v9
	;; [unrolled: 1-line block ×3, first 2 shown]
	s_mov_b32 s16, exec_lo
	v_and_b32_sdwa v7, v7, v6 dst_sel:DWORD dst_unused:UNUSED_PAD src0_sel:DWORD src1_sel:BYTE_1
	v_mov_b32_e32 v21, v12
	v_and_b32_e32 v10, 0x7f, v7
	v_cmpx_ne_u32_e32 0x7f, v10
	s_cbranch_execz .LBB239_1349
; %bb.1346:                             ;   in Loop: Header=BB239_1062 Depth=1
	v_and_b32_e32 v8, 7, v7
	v_lshrrev_b32_e32 v7, 3, v10
	s_mov_b32 s17, exec_lo
	v_cmpx_gt_u32_e32 8, v10
; %bb.1347:                             ;   in Loop: Header=BB239_1062 Depth=1
	v_ffbh_u32_e32 v7, v8
	v_min_u32_e32 v7, 32, v7
	v_subrev_nc_u32_e32 v10, 28, v7
	v_sub_nc_u32_e32 v7, 29, v7
	v_lshlrev_b64 v[21:22], v10, v[8:9]
	v_and_b32_e32 v8, 7, v21
; %bb.1348:                             ;   in Loop: Header=BB239_1062 Depth=1
	s_or_b32 exec_lo, exec_lo, s17
	v_lshlrev_b32_e32 v10, 16, v6
	v_lshlrev_b32_e32 v8, 20, v8
	v_lshl_add_u32 v7, v7, 23, 0x3c000000
	v_mov_b32_e32 v21, v9
	v_and_b32_e32 v10, 0x80000000, v10
	v_or3_b32 v22, v8, v10, v7
.LBB239_1349:                           ;   in Loop: Header=BB239_1062 Depth=1
	s_or_b32 exec_lo, exec_lo, s16
.LBB239_1350:                           ;   in Loop: Header=BB239_1062 Depth=1
	s_or_b32 exec_lo, exec_lo, s15
.LBB239_1351:                           ;   in Loop: Header=BB239_1062 Depth=1
	s_or_b32 exec_lo, exec_lo, s13
	v_mov_b32_e32 v25, 0
	v_mov_b32_e32 v23, 0
	v_and_b32_sdwa v7, v6, v100 dst_sel:DWORD dst_unused:UNUSED_PAD src0_sel:WORD_1 src1_sel:DWORD
	v_mov_b32_e32 v26, 0
	v_mov_b32_e32 v24, 0
	s_mov_b32 s13, exec_lo
	v_cmpx_ne_u16_e32 0, v7
	s_cbranch_execz .LBB239_1359
; %bb.1352:                             ;   in Loop: Header=BB239_1062 Depth=1
	v_bfrev_b32_e32 v23, 1
	v_mov_b32_e32 v24, 0
	s_mov_b32 s15, exec_lo
	v_cmpx_ne_u16_e32 0x80, v7
	s_cbranch_execz .LBB239_1358
; %bb.1353:                             ;   in Loop: Header=BB239_1062 Depth=1
	v_mov_b32_e32 v23, 0x7f800001
	v_bfe_u32 v10, v6, 16, 7
	v_mov_b32_e32 v24, 0
	s_mov_b32 s16, exec_lo
	v_cmpx_ne_u32_e32 0x7f, v10
	s_cbranch_execz .LBB239_1357
; %bb.1354:                             ;   in Loop: Header=BB239_1062 Depth=1
	v_mov_b32_e32 v7, 7
	s_mov_b32 s17, exec_lo
	v_and_b32_sdwa v8, v6, v7 dst_sel:DWORD dst_unused:UNUSED_PAD src0_sel:WORD_1 src1_sel:DWORD
	v_lshrrev_b32_e32 v7, 3, v10
	v_cmpx_gt_u32_e32 8, v10
; %bb.1355:                             ;   in Loop: Header=BB239_1062 Depth=1
	v_ffbh_u32_e32 v7, v8
	v_min_u32_e32 v7, 32, v7
	v_subrev_nc_u32_e32 v10, 28, v7
	v_sub_nc_u32_e32 v7, 29, v7
	v_lshlrev_b64 v[23:24], v10, v[8:9]
	v_and_b32_e32 v8, 7, v23
; %bb.1356:                             ;   in Loop: Header=BB239_1062 Depth=1
	s_or_b32 exec_lo, exec_lo, s17
	v_mov_b32_e32 v10, 24
	v_lshlrev_b32_e32 v8, 20, v8
	v_lshl_add_u32 v7, v7, 23, 0x3c000000
	v_lshlrev_b32_sdwa v10, v10, v6 dst_sel:DWORD dst_unused:UNUSED_PAD src0_sel:DWORD src1_sel:WORD_1
	v_and_b32_e32 v10, 0x80000000, v10
	v_or3_b32 v8, v8, v10, v7
	v_mov_b32_e32 v24, v9
	v_mov_b32_e32 v23, v8
.LBB239_1357:                           ;   in Loop: Header=BB239_1062 Depth=1
	s_or_b32 exec_lo, exec_lo, s16
.LBB239_1358:                           ;   in Loop: Header=BB239_1062 Depth=1
	s_or_b32 exec_lo, exec_lo, s15
.LBB239_1359:                           ;   in Loop: Header=BB239_1062 Depth=1
	s_or_b32 exec_lo, exec_lo, s13
	s_mov_b32 s13, exec_lo
	v_cmpx_lt_u32_e32 0xffffff, v6
	s_cbranch_execz .LBB239_1367
; %bb.1360:                             ;   in Loop: Header=BB239_1062 Depth=1
	v_mov_b32_e32 v10, v9
	v_mov_b32_e32 v26, v11
	v_cmp_ne_u32_sdwa s4, v6, v98 src0_sel:BYTE_3 src1_sel:DWORD
	v_mov_b32_e32 v25, v10
	s_and_saveexec_b32 s15, s4
	s_cbranch_execz .LBB239_1366
; %bb.1361:                             ;   in Loop: Header=BB239_1062 Depth=1
	v_mov_b32_e32 v12, v9
	v_mov_b32_e32 v26, v13
	v_bfe_u32 v10, v6, 24, 7
	s_mov_b32 s16, exec_lo
	v_mov_b32_e32 v25, v12
	v_cmpx_ne_u32_e32 0x7f, v10
	s_cbranch_execz .LBB239_1365
; %bb.1362:                             ;   in Loop: Header=BB239_1062 Depth=1
	v_mov_b32_e32 v7, 7
	s_mov_b32 s17, exec_lo
	v_and_b32_sdwa v8, v6, v7 dst_sel:DWORD dst_unused:UNUSED_PAD src0_sel:BYTE_3 src1_sel:DWORD
	v_lshrrev_b32_e32 v7, 3, v10
	v_cmpx_gt_u32_e32 8, v10
; %bb.1363:                             ;   in Loop: Header=BB239_1062 Depth=1
	v_ffbh_u32_e32 v7, v8
	v_min_u32_e32 v7, 32, v7
	v_subrev_nc_u32_e32 v10, 28, v7
	v_sub_nc_u32_e32 v7, 29, v7
	v_lshlrev_b64 v[25:26], v10, v[8:9]
	v_and_b32_e32 v8, 7, v25
; %bb.1364:                             ;   in Loop: Header=BB239_1062 Depth=1
	s_or_b32 exec_lo, exec_lo, s17
	v_mov_b32_e32 v10, 24
	v_lshlrev_b32_e32 v8, 20, v8
	v_lshl_add_u32 v7, v7, 23, 0x3c000000
	v_mov_b32_e32 v25, v9
	v_lshlrev_b32_sdwa v6, v10, v6 dst_sel:DWORD dst_unused:UNUSED_PAD src0_sel:DWORD src1_sel:BYTE_3
	v_and_b32_e32 v6, 0x80000000, v6
	v_or3_b32 v26, v8, v6, v7
.LBB239_1365:                           ;   in Loop: Header=BB239_1062 Depth=1
	s_or_b32 exec_lo, exec_lo, s16
.LBB239_1366:                           ;   in Loop: Header=BB239_1062 Depth=1
	s_or_b32 exec_lo, exec_lo, s15
.LBB239_1367:                           ;   in Loop: Header=BB239_1062 Depth=1
	s_or_b32 exec_lo, exec_lo, s13
	v_or_b32_e32 v5, v22, v5
	v_or_b32_e32 v4, v21, v4
	v_or_b32_e32 v6, v25, v23
	v_or_b32_e32 v7, v26, v24
	v_mul_f32_e32 v107, v40, v5
	v_mul_f32_e32 v106, v40, v4
	v_mul_f32_e32 v105, v40, v6
	v_mul_f32_e32 v14, v40, v7
	s_and_saveexec_b32 s13, vcc_lo
	s_cbranch_execz .LBB239_1369
; %bb.1368:                             ;   in Loop: Header=BB239_1062 Depth=1
	buffer_load_dword v4, off, s[0:3], s32 offset:208 ; 4-byte Folded Reload
	s_waitcnt vmcnt(0)
	v_cmp_lt_i32_e64 s4, v85, v4
	v_cndmask_b32_e64 v106, 0, v106, s4
	v_cmp_lt_i32_e64 s4, v43, v4
	v_cndmask_b32_e64 v107, 0, v107, s4
	v_cmp_lt_i32_e64 s4, v42, v4
	v_cndmask_b32_e64 v105, 0, v105, s4
	v_cmp_lt_i32_e64 s4, v41, v4
	v_cndmask_b32_e64 v14, 0, v14, s4
.LBB239_1369:                           ;   in Loop: Header=BB239_1062 Depth=1
	s_or_b32 exec_lo, exec_lo, s13
	flat_load_dword v6, v[19:20] offset:1152
	v_mov_b32_e32 v21, 0
	v_mov_b32_e32 v4, 0
	;; [unrolled: 1-line block ×4, first 2 shown]
	s_waitcnt vmcnt(0) lgkmcnt(0)
	v_cmp_ne_u16_sdwa s4, v6, v9 src0_sel:BYTE_0 src1_sel:DWORD
	s_and_saveexec_b32 s13, s4
	s_cbranch_execz .LBB239_1377
; %bb.1370:                             ;   in Loop: Header=BB239_1062 Depth=1
	v_bfrev_b32_e32 v4, 1
	v_mov_b32_e32 v5, 0
	v_cmp_ne_u16_sdwa s4, v6, v98 src0_sel:BYTE_0 src1_sel:DWORD
	s_and_saveexec_b32 s15, s4
	s_cbranch_execz .LBB239_1376
; %bb.1371:                             ;   in Loop: Header=BB239_1062 Depth=1
	v_mov_b32_e32 v4, 0x7f800001
	v_and_b32_e32 v7, 0x7f, v6
	v_mov_b32_e32 v5, 0
	s_mov_b32 s16, exec_lo
	v_cmpx_ne_u32_e32 0x7f, v7
	s_cbranch_execz .LBB239_1375
; %bb.1372:                             ;   in Loop: Header=BB239_1062 Depth=1
	v_and_b32_e32 v8, 7, v6
	v_lshrrev_b32_e32 v4, 3, v7
	s_mov_b32 s17, exec_lo
	v_cmpx_gt_u32_e32 8, v7
; %bb.1373:                             ;   in Loop: Header=BB239_1062 Depth=1
	v_ffbh_u32_e32 v4, v8
	v_min_u32_e32 v4, 32, v4
	v_subrev_nc_u32_e32 v5, 28, v4
	v_sub_nc_u32_e32 v4, 29, v4
	v_lshlrev_b64 v[7:8], v5, v[8:9]
	v_and_b32_e32 v8, 7, v7
; %bb.1374:                             ;   in Loop: Header=BB239_1062 Depth=1
	s_or_b32 exec_lo, exec_lo, s17
	v_lshlrev_b32_e32 v5, 24, v6
	v_lshlrev_b32_e32 v7, 20, v8
	v_lshl_add_u32 v4, v4, 23, 0x3c000000
	v_and_b32_e32 v5, 0x80000000, v5
	v_or3_b32 v8, v7, v5, v4
	v_mov_b32_e32 v4, v8
	v_mov_b32_e32 v5, v9
.LBB239_1375:                           ;   in Loop: Header=BB239_1062 Depth=1
	s_or_b32 exec_lo, exec_lo, s16
.LBB239_1376:                           ;   in Loop: Header=BB239_1062 Depth=1
	s_or_b32 exec_lo, exec_lo, s15
.LBB239_1377:                           ;   in Loop: Header=BB239_1062 Depth=1
	s_or_b32 exec_lo, exec_lo, s13
	v_cmp_ne_u16_sdwa s4, v6, v9 src0_sel:BYTE_1 src1_sel:DWORD
	s_and_saveexec_b32 s13, s4
	s_cbranch_execz .LBB239_1385
; %bb.1378:                             ;   in Loop: Header=BB239_1062 Depth=1
	v_mov_b32_e32 v10, v9
	v_mov_b32_e32 v22, v11
	v_cmp_ne_u16_sdwa s4, v6, v98 src0_sel:BYTE_1 src1_sel:DWORD
	v_mov_b32_e32 v21, v10
	s_and_saveexec_b32 s15, s4
	s_cbranch_execz .LBB239_1384
; %bb.1379:                             ;   in Loop: Header=BB239_1062 Depth=1
	v_mov_b32_e32 v7, 0xffff
	v_mov_b32_e32 v12, v9
	;; [unrolled: 1-line block ×3, first 2 shown]
	s_mov_b32 s16, exec_lo
	v_and_b32_sdwa v7, v7, v6 dst_sel:DWORD dst_unused:UNUSED_PAD src0_sel:DWORD src1_sel:BYTE_1
	v_mov_b32_e32 v21, v12
	v_and_b32_e32 v10, 0x7f, v7
	v_cmpx_ne_u32_e32 0x7f, v10
	s_cbranch_execz .LBB239_1383
; %bb.1380:                             ;   in Loop: Header=BB239_1062 Depth=1
	v_and_b32_e32 v8, 7, v7
	v_lshrrev_b32_e32 v7, 3, v10
	s_mov_b32 s17, exec_lo
	v_cmpx_gt_u32_e32 8, v10
; %bb.1381:                             ;   in Loop: Header=BB239_1062 Depth=1
	v_ffbh_u32_e32 v7, v8
	v_min_u32_e32 v7, 32, v7
	v_subrev_nc_u32_e32 v10, 28, v7
	v_sub_nc_u32_e32 v7, 29, v7
	v_lshlrev_b64 v[21:22], v10, v[8:9]
	v_and_b32_e32 v8, 7, v21
; %bb.1382:                             ;   in Loop: Header=BB239_1062 Depth=1
	s_or_b32 exec_lo, exec_lo, s17
	v_lshlrev_b32_e32 v10, 16, v6
	v_lshlrev_b32_e32 v8, 20, v8
	v_lshl_add_u32 v7, v7, 23, 0x3c000000
	v_mov_b32_e32 v21, v9
	v_and_b32_e32 v10, 0x80000000, v10
	v_or3_b32 v22, v8, v10, v7
.LBB239_1383:                           ;   in Loop: Header=BB239_1062 Depth=1
	s_or_b32 exec_lo, exec_lo, s16
.LBB239_1384:                           ;   in Loop: Header=BB239_1062 Depth=1
	s_or_b32 exec_lo, exec_lo, s15
.LBB239_1385:                           ;   in Loop: Header=BB239_1062 Depth=1
	s_or_b32 exec_lo, exec_lo, s13
	v_mov_b32_e32 v23, 0
	v_mov_b32_e32 v25, 0
	v_and_b32_sdwa v7, v6, v100 dst_sel:DWORD dst_unused:UNUSED_PAD src0_sel:WORD_1 src1_sel:DWORD
	v_mov_b32_e32 v24, 0
	v_mov_b32_e32 v26, 0
	s_mov_b32 s13, exec_lo
	v_cmpx_ne_u16_e32 0, v7
	s_cbranch_execz .LBB239_1393
; %bb.1386:                             ;   in Loop: Header=BB239_1062 Depth=1
	v_bfrev_b32_e32 v25, 1
	v_mov_b32_e32 v26, 0
	s_mov_b32 s15, exec_lo
	v_cmpx_ne_u16_e32 0x80, v7
	s_cbranch_execz .LBB239_1392
; %bb.1387:                             ;   in Loop: Header=BB239_1062 Depth=1
	v_mov_b32_e32 v25, 0x7f800001
	v_bfe_u32 v10, v6, 16, 7
	v_mov_b32_e32 v26, 0
	s_mov_b32 s16, exec_lo
	v_cmpx_ne_u32_e32 0x7f, v10
	s_cbranch_execz .LBB239_1391
; %bb.1388:                             ;   in Loop: Header=BB239_1062 Depth=1
	v_mov_b32_e32 v7, 7
	s_mov_b32 s17, exec_lo
	v_and_b32_sdwa v8, v6, v7 dst_sel:DWORD dst_unused:UNUSED_PAD src0_sel:WORD_1 src1_sel:DWORD
	v_lshrrev_b32_e32 v7, 3, v10
	v_cmpx_gt_u32_e32 8, v10
; %bb.1389:                             ;   in Loop: Header=BB239_1062 Depth=1
	v_ffbh_u32_e32 v7, v8
	v_min_u32_e32 v7, 32, v7
	v_subrev_nc_u32_e32 v10, 28, v7
	v_sub_nc_u32_e32 v7, 29, v7
	v_lshlrev_b64 v[25:26], v10, v[8:9]
	v_and_b32_e32 v8, 7, v25
; %bb.1390:                             ;   in Loop: Header=BB239_1062 Depth=1
	s_or_b32 exec_lo, exec_lo, s17
	v_mov_b32_e32 v10, 24
	v_lshlrev_b32_e32 v8, 20, v8
	v_lshl_add_u32 v7, v7, 23, 0x3c000000
	v_lshlrev_b32_sdwa v10, v10, v6 dst_sel:DWORD dst_unused:UNUSED_PAD src0_sel:DWORD src1_sel:WORD_1
	v_and_b32_e32 v10, 0x80000000, v10
	v_or3_b32 v8, v8, v10, v7
	v_mov_b32_e32 v26, v9
	v_mov_b32_e32 v25, v8
.LBB239_1391:                           ;   in Loop: Header=BB239_1062 Depth=1
	s_or_b32 exec_lo, exec_lo, s16
.LBB239_1392:                           ;   in Loop: Header=BB239_1062 Depth=1
	s_or_b32 exec_lo, exec_lo, s15
.LBB239_1393:                           ;   in Loop: Header=BB239_1062 Depth=1
	s_or_b32 exec_lo, exec_lo, s13
	s_mov_b32 s13, exec_lo
	v_cmpx_lt_u32_e32 0xffffff, v6
	s_cbranch_execz .LBB239_1401
; %bb.1394:                             ;   in Loop: Header=BB239_1062 Depth=1
	v_mov_b32_e32 v10, v9
	v_mov_b32_e32 v24, v11
	v_cmp_ne_u32_sdwa s4, v6, v98 src0_sel:BYTE_3 src1_sel:DWORD
	v_mov_b32_e32 v23, v10
	s_and_saveexec_b32 s15, s4
	s_cbranch_execz .LBB239_1400
; %bb.1395:                             ;   in Loop: Header=BB239_1062 Depth=1
	v_mov_b32_e32 v12, v9
	v_mov_b32_e32 v24, v13
	v_bfe_u32 v10, v6, 24, 7
	s_mov_b32 s16, exec_lo
	v_mov_b32_e32 v23, v12
	v_cmpx_ne_u32_e32 0x7f, v10
	s_cbranch_execz .LBB239_1399
; %bb.1396:                             ;   in Loop: Header=BB239_1062 Depth=1
	v_mov_b32_e32 v7, 7
	s_mov_b32 s17, exec_lo
	v_and_b32_sdwa v8, v6, v7 dst_sel:DWORD dst_unused:UNUSED_PAD src0_sel:BYTE_3 src1_sel:DWORD
	v_lshrrev_b32_e32 v7, 3, v10
	v_cmpx_gt_u32_e32 8, v10
; %bb.1397:                             ;   in Loop: Header=BB239_1062 Depth=1
	v_ffbh_u32_e32 v7, v8
	v_min_u32_e32 v7, 32, v7
	v_subrev_nc_u32_e32 v10, 28, v7
	v_sub_nc_u32_e32 v7, 29, v7
	v_lshlrev_b64 v[23:24], v10, v[8:9]
	v_and_b32_e32 v8, 7, v23
; %bb.1398:                             ;   in Loop: Header=BB239_1062 Depth=1
	s_or_b32 exec_lo, exec_lo, s17
	v_mov_b32_e32 v10, 24
	v_lshlrev_b32_e32 v8, 20, v8
	v_lshl_add_u32 v7, v7, 23, 0x3c000000
	v_mov_b32_e32 v23, v9
	v_lshlrev_b32_sdwa v6, v10, v6 dst_sel:DWORD dst_unused:UNUSED_PAD src0_sel:DWORD src1_sel:BYTE_3
	v_and_b32_e32 v6, 0x80000000, v6
	v_or3_b32 v24, v8, v6, v7
.LBB239_1399:                           ;   in Loop: Header=BB239_1062 Depth=1
	s_or_b32 exec_lo, exec_lo, s16
.LBB239_1400:                           ;   in Loop: Header=BB239_1062 Depth=1
	s_or_b32 exec_lo, exec_lo, s15
.LBB239_1401:                           ;   in Loop: Header=BB239_1062 Depth=1
	s_or_b32 exec_lo, exec_lo, s13
	v_or_b32_e32 v5, v22, v5
	v_or_b32_e32 v4, v21, v4
	;; [unrolled: 1-line block ×4, first 2 shown]
	v_mul_f32_e32 v111, v40, v5
	v_mul_f32_e32 v110, v40, v4
	;; [unrolled: 1-line block ×4, first 2 shown]
	s_and_saveexec_b32 s13, vcc_lo
	s_cbranch_execz .LBB239_1403
; %bb.1402:                             ;   in Loop: Header=BB239_1062 Depth=1
	buffer_load_dword v4, off, s[0:3], s32 offset:208 ; 4-byte Folded Reload
	s_waitcnt vmcnt(0)
	v_cmp_lt_i32_e64 s4, v85, v4
	v_cndmask_b32_e64 v110, 0, v110, s4
	v_cmp_lt_i32_e64 s4, v43, v4
	v_cndmask_b32_e64 v111, 0, v111, s4
	;; [unrolled: 2-line block ×4, first 2 shown]
.LBB239_1403:                           ;   in Loop: Header=BB239_1062 Depth=1
	s_or_b32 exec_lo, exec_lo, s13
	flat_load_dword v6, v[19:20] offset:1280
	v_mov_b32_e32 v21, 0
	v_mov_b32_e32 v4, 0
	;; [unrolled: 1-line block ×4, first 2 shown]
	s_waitcnt vmcnt(0) lgkmcnt(0)
	v_cmp_ne_u16_sdwa s4, v6, v9 src0_sel:BYTE_0 src1_sel:DWORD
	s_and_saveexec_b32 s13, s4
	s_cbranch_execz .LBB239_1411
; %bb.1404:                             ;   in Loop: Header=BB239_1062 Depth=1
	v_bfrev_b32_e32 v4, 1
	v_mov_b32_e32 v5, 0
	v_cmp_ne_u16_sdwa s4, v6, v98 src0_sel:BYTE_0 src1_sel:DWORD
	s_and_saveexec_b32 s15, s4
	s_cbranch_execz .LBB239_1410
; %bb.1405:                             ;   in Loop: Header=BB239_1062 Depth=1
	v_mov_b32_e32 v4, 0x7f800001
	v_and_b32_e32 v7, 0x7f, v6
	v_mov_b32_e32 v5, 0
	s_mov_b32 s16, exec_lo
	v_cmpx_ne_u32_e32 0x7f, v7
	s_cbranch_execz .LBB239_1409
; %bb.1406:                             ;   in Loop: Header=BB239_1062 Depth=1
	v_and_b32_e32 v8, 7, v6
	v_lshrrev_b32_e32 v4, 3, v7
	s_mov_b32 s17, exec_lo
	v_cmpx_gt_u32_e32 8, v7
; %bb.1407:                             ;   in Loop: Header=BB239_1062 Depth=1
	v_ffbh_u32_e32 v4, v8
	v_min_u32_e32 v4, 32, v4
	v_subrev_nc_u32_e32 v5, 28, v4
	v_sub_nc_u32_e32 v4, 29, v4
	v_lshlrev_b64 v[7:8], v5, v[8:9]
	v_and_b32_e32 v8, 7, v7
; %bb.1408:                             ;   in Loop: Header=BB239_1062 Depth=1
	s_or_b32 exec_lo, exec_lo, s17
	v_lshlrev_b32_e32 v5, 24, v6
	v_lshlrev_b32_e32 v7, 20, v8
	v_lshl_add_u32 v4, v4, 23, 0x3c000000
	v_and_b32_e32 v5, 0x80000000, v5
	v_or3_b32 v8, v7, v5, v4
	v_mov_b32_e32 v4, v8
	v_mov_b32_e32 v5, v9
.LBB239_1409:                           ;   in Loop: Header=BB239_1062 Depth=1
	s_or_b32 exec_lo, exec_lo, s16
.LBB239_1410:                           ;   in Loop: Header=BB239_1062 Depth=1
	s_or_b32 exec_lo, exec_lo, s15
.LBB239_1411:                           ;   in Loop: Header=BB239_1062 Depth=1
	s_or_b32 exec_lo, exec_lo, s13
	v_cmp_ne_u16_sdwa s4, v6, v9 src0_sel:BYTE_1 src1_sel:DWORD
	s_and_saveexec_b32 s13, s4
	s_cbranch_execz .LBB239_1419
; %bb.1412:                             ;   in Loop: Header=BB239_1062 Depth=1
	v_mov_b32_e32 v10, v9
	v_mov_b32_e32 v22, v11
	v_cmp_ne_u16_sdwa s4, v6, v98 src0_sel:BYTE_1 src1_sel:DWORD
	v_mov_b32_e32 v21, v10
	s_and_saveexec_b32 s15, s4
	s_cbranch_execz .LBB239_1418
; %bb.1413:                             ;   in Loop: Header=BB239_1062 Depth=1
	v_mov_b32_e32 v7, 0xffff
	v_mov_b32_e32 v12, v9
	;; [unrolled: 1-line block ×3, first 2 shown]
	s_mov_b32 s16, exec_lo
	v_and_b32_sdwa v7, v7, v6 dst_sel:DWORD dst_unused:UNUSED_PAD src0_sel:DWORD src1_sel:BYTE_1
	v_mov_b32_e32 v21, v12
	v_and_b32_e32 v10, 0x7f, v7
	v_cmpx_ne_u32_e32 0x7f, v10
	s_cbranch_execz .LBB239_1417
; %bb.1414:                             ;   in Loop: Header=BB239_1062 Depth=1
	v_and_b32_e32 v8, 7, v7
	v_lshrrev_b32_e32 v7, 3, v10
	s_mov_b32 s17, exec_lo
	v_cmpx_gt_u32_e32 8, v10
; %bb.1415:                             ;   in Loop: Header=BB239_1062 Depth=1
	v_ffbh_u32_e32 v7, v8
	v_min_u32_e32 v7, 32, v7
	v_subrev_nc_u32_e32 v10, 28, v7
	v_sub_nc_u32_e32 v7, 29, v7
	v_lshlrev_b64 v[21:22], v10, v[8:9]
	v_and_b32_e32 v8, 7, v21
; %bb.1416:                             ;   in Loop: Header=BB239_1062 Depth=1
	s_or_b32 exec_lo, exec_lo, s17
	v_lshlrev_b32_e32 v10, 16, v6
	v_lshlrev_b32_e32 v8, 20, v8
	v_lshl_add_u32 v7, v7, 23, 0x3c000000
	v_mov_b32_e32 v21, v9
	v_and_b32_e32 v10, 0x80000000, v10
	v_or3_b32 v22, v8, v10, v7
.LBB239_1417:                           ;   in Loop: Header=BB239_1062 Depth=1
	s_or_b32 exec_lo, exec_lo, s16
.LBB239_1418:                           ;   in Loop: Header=BB239_1062 Depth=1
	s_or_b32 exec_lo, exec_lo, s15
.LBB239_1419:                           ;   in Loop: Header=BB239_1062 Depth=1
	s_or_b32 exec_lo, exec_lo, s13
	v_mov_b32_e32 v23, 0
	v_mov_b32_e32 v25, 0
	v_and_b32_sdwa v7, v6, v100 dst_sel:DWORD dst_unused:UNUSED_PAD src0_sel:WORD_1 src1_sel:DWORD
	v_mov_b32_e32 v24, 0
	v_mov_b32_e32 v26, 0
	s_mov_b32 s13, exec_lo
	v_cmpx_ne_u16_e32 0, v7
	s_cbranch_execz .LBB239_1427
; %bb.1420:                             ;   in Loop: Header=BB239_1062 Depth=1
	v_bfrev_b32_e32 v25, 1
	v_mov_b32_e32 v26, 0
	s_mov_b32 s15, exec_lo
	v_cmpx_ne_u16_e32 0x80, v7
	s_cbranch_execz .LBB239_1426
; %bb.1421:                             ;   in Loop: Header=BB239_1062 Depth=1
	v_mov_b32_e32 v25, 0x7f800001
	v_bfe_u32 v10, v6, 16, 7
	v_mov_b32_e32 v26, 0
	s_mov_b32 s16, exec_lo
	v_cmpx_ne_u32_e32 0x7f, v10
	s_cbranch_execz .LBB239_1425
; %bb.1422:                             ;   in Loop: Header=BB239_1062 Depth=1
	v_mov_b32_e32 v7, 7
	s_mov_b32 s17, exec_lo
	v_and_b32_sdwa v8, v6, v7 dst_sel:DWORD dst_unused:UNUSED_PAD src0_sel:WORD_1 src1_sel:DWORD
	v_lshrrev_b32_e32 v7, 3, v10
	v_cmpx_gt_u32_e32 8, v10
; %bb.1423:                             ;   in Loop: Header=BB239_1062 Depth=1
	v_ffbh_u32_e32 v7, v8
	v_min_u32_e32 v7, 32, v7
	v_subrev_nc_u32_e32 v10, 28, v7
	v_sub_nc_u32_e32 v7, 29, v7
	v_lshlrev_b64 v[25:26], v10, v[8:9]
	v_and_b32_e32 v8, 7, v25
; %bb.1424:                             ;   in Loop: Header=BB239_1062 Depth=1
	s_or_b32 exec_lo, exec_lo, s17
	v_mov_b32_e32 v10, 24
	v_lshlrev_b32_e32 v8, 20, v8
	v_lshl_add_u32 v7, v7, 23, 0x3c000000
	v_lshlrev_b32_sdwa v10, v10, v6 dst_sel:DWORD dst_unused:UNUSED_PAD src0_sel:DWORD src1_sel:WORD_1
	v_and_b32_e32 v10, 0x80000000, v10
	v_or3_b32 v8, v8, v10, v7
	v_mov_b32_e32 v26, v9
	v_mov_b32_e32 v25, v8
.LBB239_1425:                           ;   in Loop: Header=BB239_1062 Depth=1
	s_or_b32 exec_lo, exec_lo, s16
.LBB239_1426:                           ;   in Loop: Header=BB239_1062 Depth=1
	s_or_b32 exec_lo, exec_lo, s15
.LBB239_1427:                           ;   in Loop: Header=BB239_1062 Depth=1
	s_or_b32 exec_lo, exec_lo, s13
	s_mov_b32 s13, exec_lo
	v_cmpx_lt_u32_e32 0xffffff, v6
	s_cbranch_execz .LBB239_1435
; %bb.1428:                             ;   in Loop: Header=BB239_1062 Depth=1
	v_mov_b32_e32 v10, v9
	v_mov_b32_e32 v24, v11
	v_cmp_ne_u32_sdwa s4, v6, v98 src0_sel:BYTE_3 src1_sel:DWORD
	v_mov_b32_e32 v23, v10
	s_and_saveexec_b32 s15, s4
	s_cbranch_execz .LBB239_1434
; %bb.1429:                             ;   in Loop: Header=BB239_1062 Depth=1
	v_mov_b32_e32 v12, v9
	v_mov_b32_e32 v24, v13
	v_bfe_u32 v10, v6, 24, 7
	s_mov_b32 s16, exec_lo
	v_mov_b32_e32 v23, v12
	v_cmpx_ne_u32_e32 0x7f, v10
	s_cbranch_execz .LBB239_1433
; %bb.1430:                             ;   in Loop: Header=BB239_1062 Depth=1
	v_mov_b32_e32 v7, 7
	s_mov_b32 s17, exec_lo
	v_and_b32_sdwa v8, v6, v7 dst_sel:DWORD dst_unused:UNUSED_PAD src0_sel:BYTE_3 src1_sel:DWORD
	v_lshrrev_b32_e32 v7, 3, v10
	v_cmpx_gt_u32_e32 8, v10
; %bb.1431:                             ;   in Loop: Header=BB239_1062 Depth=1
	v_ffbh_u32_e32 v7, v8
	v_min_u32_e32 v7, 32, v7
	v_subrev_nc_u32_e32 v10, 28, v7
	v_sub_nc_u32_e32 v7, 29, v7
	v_lshlrev_b64 v[23:24], v10, v[8:9]
	v_and_b32_e32 v8, 7, v23
; %bb.1432:                             ;   in Loop: Header=BB239_1062 Depth=1
	s_or_b32 exec_lo, exec_lo, s17
	v_mov_b32_e32 v10, 24
	v_lshlrev_b32_e32 v8, 20, v8
	v_lshl_add_u32 v7, v7, 23, 0x3c000000
	v_mov_b32_e32 v23, v9
	v_lshlrev_b32_sdwa v6, v10, v6 dst_sel:DWORD dst_unused:UNUSED_PAD src0_sel:DWORD src1_sel:BYTE_3
	v_and_b32_e32 v6, 0x80000000, v6
	v_or3_b32 v24, v8, v6, v7
.LBB239_1433:                           ;   in Loop: Header=BB239_1062 Depth=1
	s_or_b32 exec_lo, exec_lo, s16
.LBB239_1434:                           ;   in Loop: Header=BB239_1062 Depth=1
	s_or_b32 exec_lo, exec_lo, s15
.LBB239_1435:                           ;   in Loop: Header=BB239_1062 Depth=1
	s_or_b32 exec_lo, exec_lo, s13
	v_or_b32_e32 v5, v22, v5
	v_or_b32_e32 v4, v21, v4
	;; [unrolled: 1-line block ×4, first 2 shown]
	v_mul_f32_e32 v123, v40, v5
	v_mul_f32_e32 v122, v40, v4
	;; [unrolled: 1-line block ×4, first 2 shown]
	s_and_saveexec_b32 s13, vcc_lo
	s_cbranch_execz .LBB239_1437
; %bb.1436:                             ;   in Loop: Header=BB239_1062 Depth=1
	buffer_load_dword v4, off, s[0:3], s32 offset:208 ; 4-byte Folded Reload
	s_waitcnt vmcnt(0)
	v_cmp_lt_i32_e64 s4, v85, v4
	v_cndmask_b32_e64 v122, 0, v122, s4
	v_cmp_lt_i32_e64 s4, v43, v4
	v_cndmask_b32_e64 v123, 0, v123, s4
	;; [unrolled: 2-line block ×4, first 2 shown]
.LBB239_1437:                           ;   in Loop: Header=BB239_1062 Depth=1
	s_or_b32 exec_lo, exec_lo, s13
	flat_load_dword v6, v[19:20] offset:1408
	v_mov_b32_e32 v21, 0
	v_mov_b32_e32 v4, 0
	;; [unrolled: 1-line block ×4, first 2 shown]
	s_waitcnt vmcnt(0) lgkmcnt(0)
	v_cmp_ne_u16_sdwa s4, v6, v9 src0_sel:BYTE_0 src1_sel:DWORD
	s_and_saveexec_b32 s13, s4
	s_cbranch_execz .LBB239_1445
; %bb.1438:                             ;   in Loop: Header=BB239_1062 Depth=1
	v_bfrev_b32_e32 v4, 1
	v_mov_b32_e32 v5, 0
	v_cmp_ne_u16_sdwa s4, v6, v98 src0_sel:BYTE_0 src1_sel:DWORD
	s_and_saveexec_b32 s15, s4
	s_cbranch_execz .LBB239_1444
; %bb.1439:                             ;   in Loop: Header=BB239_1062 Depth=1
	v_mov_b32_e32 v4, 0x7f800001
	v_and_b32_e32 v7, 0x7f, v6
	v_mov_b32_e32 v5, 0
	s_mov_b32 s16, exec_lo
	v_cmpx_ne_u32_e32 0x7f, v7
	s_cbranch_execz .LBB239_1443
; %bb.1440:                             ;   in Loop: Header=BB239_1062 Depth=1
	v_and_b32_e32 v8, 7, v6
	v_lshrrev_b32_e32 v4, 3, v7
	s_mov_b32 s17, exec_lo
	v_cmpx_gt_u32_e32 8, v7
; %bb.1441:                             ;   in Loop: Header=BB239_1062 Depth=1
	v_ffbh_u32_e32 v4, v8
	v_min_u32_e32 v4, 32, v4
	v_subrev_nc_u32_e32 v5, 28, v4
	v_sub_nc_u32_e32 v4, 29, v4
	v_lshlrev_b64 v[7:8], v5, v[8:9]
	v_and_b32_e32 v8, 7, v7
; %bb.1442:                             ;   in Loop: Header=BB239_1062 Depth=1
	s_or_b32 exec_lo, exec_lo, s17
	v_lshlrev_b32_e32 v5, 24, v6
	v_lshlrev_b32_e32 v7, 20, v8
	v_lshl_add_u32 v4, v4, 23, 0x3c000000
	v_and_b32_e32 v5, 0x80000000, v5
	v_or3_b32 v8, v7, v5, v4
	v_mov_b32_e32 v4, v8
	v_mov_b32_e32 v5, v9
.LBB239_1443:                           ;   in Loop: Header=BB239_1062 Depth=1
	s_or_b32 exec_lo, exec_lo, s16
.LBB239_1444:                           ;   in Loop: Header=BB239_1062 Depth=1
	s_or_b32 exec_lo, exec_lo, s15
.LBB239_1445:                           ;   in Loop: Header=BB239_1062 Depth=1
	s_or_b32 exec_lo, exec_lo, s13
	v_cmp_ne_u16_sdwa s4, v6, v9 src0_sel:BYTE_1 src1_sel:DWORD
	s_and_saveexec_b32 s13, s4
	s_cbranch_execz .LBB239_1453
; %bb.1446:                             ;   in Loop: Header=BB239_1062 Depth=1
	v_mov_b32_e32 v10, v9
	v_mov_b32_e32 v22, v11
	v_cmp_ne_u16_sdwa s4, v6, v98 src0_sel:BYTE_1 src1_sel:DWORD
	v_mov_b32_e32 v21, v10
	s_and_saveexec_b32 s15, s4
	s_cbranch_execz .LBB239_1452
; %bb.1447:                             ;   in Loop: Header=BB239_1062 Depth=1
	v_mov_b32_e32 v7, 0xffff
	v_mov_b32_e32 v12, v9
	;; [unrolled: 1-line block ×3, first 2 shown]
	s_mov_b32 s16, exec_lo
	v_and_b32_sdwa v7, v7, v6 dst_sel:DWORD dst_unused:UNUSED_PAD src0_sel:DWORD src1_sel:BYTE_1
	v_mov_b32_e32 v21, v12
	v_and_b32_e32 v10, 0x7f, v7
	v_cmpx_ne_u32_e32 0x7f, v10
	s_cbranch_execz .LBB239_1451
; %bb.1448:                             ;   in Loop: Header=BB239_1062 Depth=1
	v_and_b32_e32 v8, 7, v7
	v_lshrrev_b32_e32 v7, 3, v10
	s_mov_b32 s17, exec_lo
	v_cmpx_gt_u32_e32 8, v10
; %bb.1449:                             ;   in Loop: Header=BB239_1062 Depth=1
	v_ffbh_u32_e32 v7, v8
	v_min_u32_e32 v7, 32, v7
	v_subrev_nc_u32_e32 v10, 28, v7
	v_sub_nc_u32_e32 v7, 29, v7
	v_lshlrev_b64 v[21:22], v10, v[8:9]
	v_and_b32_e32 v8, 7, v21
; %bb.1450:                             ;   in Loop: Header=BB239_1062 Depth=1
	s_or_b32 exec_lo, exec_lo, s17
	v_lshlrev_b32_e32 v10, 16, v6
	v_lshlrev_b32_e32 v8, 20, v8
	v_lshl_add_u32 v7, v7, 23, 0x3c000000
	v_mov_b32_e32 v21, v9
	v_and_b32_e32 v10, 0x80000000, v10
	v_or3_b32 v22, v8, v10, v7
.LBB239_1451:                           ;   in Loop: Header=BB239_1062 Depth=1
	s_or_b32 exec_lo, exec_lo, s16
.LBB239_1452:                           ;   in Loop: Header=BB239_1062 Depth=1
	s_or_b32 exec_lo, exec_lo, s15
.LBB239_1453:                           ;   in Loop: Header=BB239_1062 Depth=1
	s_or_b32 exec_lo, exec_lo, s13
	v_mov_b32_e32 v23, 0
	v_mov_b32_e32 v25, 0
	v_and_b32_sdwa v7, v6, v100 dst_sel:DWORD dst_unused:UNUSED_PAD src0_sel:WORD_1 src1_sel:DWORD
	v_mov_b32_e32 v24, 0
	v_mov_b32_e32 v26, 0
	s_mov_b32 s13, exec_lo
	v_cmpx_ne_u16_e32 0, v7
	s_cbranch_execz .LBB239_1461
; %bb.1454:                             ;   in Loop: Header=BB239_1062 Depth=1
	v_bfrev_b32_e32 v25, 1
	v_mov_b32_e32 v26, 0
	s_mov_b32 s15, exec_lo
	v_cmpx_ne_u16_e32 0x80, v7
	s_cbranch_execz .LBB239_1460
; %bb.1455:                             ;   in Loop: Header=BB239_1062 Depth=1
	v_mov_b32_e32 v25, 0x7f800001
	v_bfe_u32 v10, v6, 16, 7
	v_mov_b32_e32 v26, 0
	s_mov_b32 s16, exec_lo
	v_cmpx_ne_u32_e32 0x7f, v10
	s_cbranch_execz .LBB239_1459
; %bb.1456:                             ;   in Loop: Header=BB239_1062 Depth=1
	v_mov_b32_e32 v7, 7
	s_mov_b32 s17, exec_lo
	v_and_b32_sdwa v8, v6, v7 dst_sel:DWORD dst_unused:UNUSED_PAD src0_sel:WORD_1 src1_sel:DWORD
	v_lshrrev_b32_e32 v7, 3, v10
	v_cmpx_gt_u32_e32 8, v10
; %bb.1457:                             ;   in Loop: Header=BB239_1062 Depth=1
	v_ffbh_u32_e32 v7, v8
	v_min_u32_e32 v7, 32, v7
	v_subrev_nc_u32_e32 v10, 28, v7
	v_sub_nc_u32_e32 v7, 29, v7
	v_lshlrev_b64 v[25:26], v10, v[8:9]
	v_and_b32_e32 v8, 7, v25
; %bb.1458:                             ;   in Loop: Header=BB239_1062 Depth=1
	s_or_b32 exec_lo, exec_lo, s17
	v_mov_b32_e32 v10, 24
	v_lshlrev_b32_e32 v8, 20, v8
	v_lshl_add_u32 v7, v7, 23, 0x3c000000
	v_lshlrev_b32_sdwa v10, v10, v6 dst_sel:DWORD dst_unused:UNUSED_PAD src0_sel:DWORD src1_sel:WORD_1
	v_and_b32_e32 v10, 0x80000000, v10
	v_or3_b32 v8, v8, v10, v7
	v_mov_b32_e32 v26, v9
	v_mov_b32_e32 v25, v8
.LBB239_1459:                           ;   in Loop: Header=BB239_1062 Depth=1
	s_or_b32 exec_lo, exec_lo, s16
.LBB239_1460:                           ;   in Loop: Header=BB239_1062 Depth=1
	s_or_b32 exec_lo, exec_lo, s15
.LBB239_1461:                           ;   in Loop: Header=BB239_1062 Depth=1
	s_or_b32 exec_lo, exec_lo, s13
	s_mov_b32 s13, exec_lo
	v_cmpx_lt_u32_e32 0xffffff, v6
	s_cbranch_execz .LBB239_1469
; %bb.1462:                             ;   in Loop: Header=BB239_1062 Depth=1
	v_mov_b32_e32 v10, v9
	v_mov_b32_e32 v24, v11
	v_cmp_ne_u32_sdwa s4, v6, v98 src0_sel:BYTE_3 src1_sel:DWORD
	v_mov_b32_e32 v23, v10
	s_and_saveexec_b32 s15, s4
	s_cbranch_execz .LBB239_1468
; %bb.1463:                             ;   in Loop: Header=BB239_1062 Depth=1
	v_mov_b32_e32 v12, v9
	v_mov_b32_e32 v24, v13
	v_bfe_u32 v10, v6, 24, 7
	s_mov_b32 s16, exec_lo
	v_mov_b32_e32 v23, v12
	v_cmpx_ne_u32_e32 0x7f, v10
	s_cbranch_execz .LBB239_1467
; %bb.1464:                             ;   in Loop: Header=BB239_1062 Depth=1
	v_mov_b32_e32 v7, 7
	s_mov_b32 s17, exec_lo
	v_and_b32_sdwa v8, v6, v7 dst_sel:DWORD dst_unused:UNUSED_PAD src0_sel:BYTE_3 src1_sel:DWORD
	v_lshrrev_b32_e32 v7, 3, v10
	v_cmpx_gt_u32_e32 8, v10
; %bb.1465:                             ;   in Loop: Header=BB239_1062 Depth=1
	v_ffbh_u32_e32 v7, v8
	v_min_u32_e32 v7, 32, v7
	v_subrev_nc_u32_e32 v10, 28, v7
	v_sub_nc_u32_e32 v7, 29, v7
	v_lshlrev_b64 v[23:24], v10, v[8:9]
	v_and_b32_e32 v8, 7, v23
; %bb.1466:                             ;   in Loop: Header=BB239_1062 Depth=1
	s_or_b32 exec_lo, exec_lo, s17
	v_mov_b32_e32 v10, 24
	v_lshlrev_b32_e32 v8, 20, v8
	v_lshl_add_u32 v7, v7, 23, 0x3c000000
	v_mov_b32_e32 v23, v9
	v_lshlrev_b32_sdwa v6, v10, v6 dst_sel:DWORD dst_unused:UNUSED_PAD src0_sel:DWORD src1_sel:BYTE_3
	v_and_b32_e32 v6, 0x80000000, v6
	v_or3_b32 v24, v8, v6, v7
.LBB239_1467:                           ;   in Loop: Header=BB239_1062 Depth=1
	s_or_b32 exec_lo, exec_lo, s16
.LBB239_1468:                           ;   in Loop: Header=BB239_1062 Depth=1
	s_or_b32 exec_lo, exec_lo, s15
.LBB239_1469:                           ;   in Loop: Header=BB239_1062 Depth=1
	s_or_b32 exec_lo, exec_lo, s13
	v_or_b32_e32 v5, v22, v5
	v_or_b32_e32 v4, v21, v4
	;; [unrolled: 1-line block ×4, first 2 shown]
	v_mul_f32_e32 v127, v40, v5
	v_mul_f32_e32 v126, v40, v4
	;; [unrolled: 1-line block ×4, first 2 shown]
	s_and_saveexec_b32 s13, vcc_lo
	s_cbranch_execz .LBB239_1471
; %bb.1470:                             ;   in Loop: Header=BB239_1062 Depth=1
	buffer_load_dword v4, off, s[0:3], s32 offset:208 ; 4-byte Folded Reload
	s_waitcnt vmcnt(0)
	v_cmp_lt_i32_e64 s4, v85, v4
	v_cndmask_b32_e64 v126, 0, v126, s4
	v_cmp_lt_i32_e64 s4, v43, v4
	v_cndmask_b32_e64 v127, 0, v127, s4
	;; [unrolled: 2-line block ×4, first 2 shown]
.LBB239_1471:                           ;   in Loop: Header=BB239_1062 Depth=1
	s_or_b32 exec_lo, exec_lo, s13
	flat_load_dword v6, v[19:20] offset:1536
	v_mov_b32_e32 v21, 0
	v_mov_b32_e32 v4, 0
	v_mov_b32_e32 v22, 0
	v_mov_b32_e32 v5, 0
	s_waitcnt vmcnt(0) lgkmcnt(0)
	v_cmp_ne_u16_sdwa s4, v6, v9 src0_sel:BYTE_0 src1_sel:DWORD
	s_and_saveexec_b32 s13, s4
	s_cbranch_execz .LBB239_1479
; %bb.1472:                             ;   in Loop: Header=BB239_1062 Depth=1
	v_bfrev_b32_e32 v4, 1
	v_mov_b32_e32 v5, 0
	v_cmp_ne_u16_sdwa s4, v6, v98 src0_sel:BYTE_0 src1_sel:DWORD
	s_and_saveexec_b32 s15, s4
	s_cbranch_execz .LBB239_1478
; %bb.1473:                             ;   in Loop: Header=BB239_1062 Depth=1
	v_mov_b32_e32 v4, 0x7f800001
	v_and_b32_e32 v7, 0x7f, v6
	v_mov_b32_e32 v5, 0
	s_mov_b32 s16, exec_lo
	v_cmpx_ne_u32_e32 0x7f, v7
	s_cbranch_execz .LBB239_1477
; %bb.1474:                             ;   in Loop: Header=BB239_1062 Depth=1
	v_and_b32_e32 v8, 7, v6
	v_lshrrev_b32_e32 v4, 3, v7
	s_mov_b32 s17, exec_lo
	v_cmpx_gt_u32_e32 8, v7
; %bb.1475:                             ;   in Loop: Header=BB239_1062 Depth=1
	v_ffbh_u32_e32 v4, v8
	v_min_u32_e32 v4, 32, v4
	v_subrev_nc_u32_e32 v5, 28, v4
	v_sub_nc_u32_e32 v4, 29, v4
	v_lshlrev_b64 v[7:8], v5, v[8:9]
	v_and_b32_e32 v8, 7, v7
; %bb.1476:                             ;   in Loop: Header=BB239_1062 Depth=1
	s_or_b32 exec_lo, exec_lo, s17
	v_lshlrev_b32_e32 v5, 24, v6
	v_lshlrev_b32_e32 v7, 20, v8
	v_lshl_add_u32 v4, v4, 23, 0x3c000000
	v_and_b32_e32 v5, 0x80000000, v5
	v_or3_b32 v8, v7, v5, v4
	v_mov_b32_e32 v4, v8
	v_mov_b32_e32 v5, v9
.LBB239_1477:                           ;   in Loop: Header=BB239_1062 Depth=1
	s_or_b32 exec_lo, exec_lo, s16
.LBB239_1478:                           ;   in Loop: Header=BB239_1062 Depth=1
	s_or_b32 exec_lo, exec_lo, s15
.LBB239_1479:                           ;   in Loop: Header=BB239_1062 Depth=1
	s_or_b32 exec_lo, exec_lo, s13
	v_cmp_ne_u16_sdwa s4, v6, v9 src0_sel:BYTE_1 src1_sel:DWORD
	s_and_saveexec_b32 s13, s4
	s_cbranch_execz .LBB239_1487
; %bb.1480:                             ;   in Loop: Header=BB239_1062 Depth=1
	v_mov_b32_e32 v10, v9
	v_mov_b32_e32 v22, v11
	v_cmp_ne_u16_sdwa s4, v6, v98 src0_sel:BYTE_1 src1_sel:DWORD
	v_mov_b32_e32 v21, v10
	s_and_saveexec_b32 s15, s4
	s_cbranch_execz .LBB239_1486
; %bb.1481:                             ;   in Loop: Header=BB239_1062 Depth=1
	v_mov_b32_e32 v7, 0xffff
	v_mov_b32_e32 v12, v9
	;; [unrolled: 1-line block ×3, first 2 shown]
	s_mov_b32 s16, exec_lo
	v_and_b32_sdwa v7, v7, v6 dst_sel:DWORD dst_unused:UNUSED_PAD src0_sel:DWORD src1_sel:BYTE_1
	v_mov_b32_e32 v21, v12
	v_and_b32_e32 v10, 0x7f, v7
	v_cmpx_ne_u32_e32 0x7f, v10
	s_cbranch_execz .LBB239_1485
; %bb.1482:                             ;   in Loop: Header=BB239_1062 Depth=1
	v_and_b32_e32 v8, 7, v7
	v_lshrrev_b32_e32 v7, 3, v10
	s_mov_b32 s17, exec_lo
	v_cmpx_gt_u32_e32 8, v10
; %bb.1483:                             ;   in Loop: Header=BB239_1062 Depth=1
	v_ffbh_u32_e32 v7, v8
	v_min_u32_e32 v7, 32, v7
	v_subrev_nc_u32_e32 v10, 28, v7
	v_sub_nc_u32_e32 v7, 29, v7
	v_lshlrev_b64 v[21:22], v10, v[8:9]
	v_and_b32_e32 v8, 7, v21
; %bb.1484:                             ;   in Loop: Header=BB239_1062 Depth=1
	s_or_b32 exec_lo, exec_lo, s17
	v_lshlrev_b32_e32 v10, 16, v6
	v_lshlrev_b32_e32 v8, 20, v8
	v_lshl_add_u32 v7, v7, 23, 0x3c000000
	v_mov_b32_e32 v21, v9
	v_and_b32_e32 v10, 0x80000000, v10
	v_or3_b32 v22, v8, v10, v7
.LBB239_1485:                           ;   in Loop: Header=BB239_1062 Depth=1
	s_or_b32 exec_lo, exec_lo, s16
.LBB239_1486:                           ;   in Loop: Header=BB239_1062 Depth=1
	s_or_b32 exec_lo, exec_lo, s15
.LBB239_1487:                           ;   in Loop: Header=BB239_1062 Depth=1
	s_or_b32 exec_lo, exec_lo, s13
	v_mov_b32_e32 v23, 0
	v_mov_b32_e32 v25, 0
	v_and_b32_sdwa v7, v6, v100 dst_sel:DWORD dst_unused:UNUSED_PAD src0_sel:WORD_1 src1_sel:DWORD
	v_mov_b32_e32 v24, 0
	v_mov_b32_e32 v26, 0
	s_mov_b32 s13, exec_lo
	v_cmpx_ne_u16_e32 0, v7
	s_cbranch_execz .LBB239_1495
; %bb.1488:                             ;   in Loop: Header=BB239_1062 Depth=1
	v_bfrev_b32_e32 v25, 1
	v_mov_b32_e32 v26, 0
	s_mov_b32 s15, exec_lo
	v_cmpx_ne_u16_e32 0x80, v7
	s_cbranch_execz .LBB239_1494
; %bb.1489:                             ;   in Loop: Header=BB239_1062 Depth=1
	v_mov_b32_e32 v25, 0x7f800001
	v_bfe_u32 v10, v6, 16, 7
	v_mov_b32_e32 v26, 0
	s_mov_b32 s16, exec_lo
	v_cmpx_ne_u32_e32 0x7f, v10
	s_cbranch_execz .LBB239_1493
; %bb.1490:                             ;   in Loop: Header=BB239_1062 Depth=1
	v_mov_b32_e32 v7, 7
	s_mov_b32 s17, exec_lo
	v_and_b32_sdwa v8, v6, v7 dst_sel:DWORD dst_unused:UNUSED_PAD src0_sel:WORD_1 src1_sel:DWORD
	v_lshrrev_b32_e32 v7, 3, v10
	v_cmpx_gt_u32_e32 8, v10
; %bb.1491:                             ;   in Loop: Header=BB239_1062 Depth=1
	v_ffbh_u32_e32 v7, v8
	v_min_u32_e32 v7, 32, v7
	v_subrev_nc_u32_e32 v10, 28, v7
	v_sub_nc_u32_e32 v7, 29, v7
	v_lshlrev_b64 v[25:26], v10, v[8:9]
	v_and_b32_e32 v8, 7, v25
; %bb.1492:                             ;   in Loop: Header=BB239_1062 Depth=1
	s_or_b32 exec_lo, exec_lo, s17
	v_mov_b32_e32 v10, 24
	v_lshlrev_b32_e32 v8, 20, v8
	v_lshl_add_u32 v7, v7, 23, 0x3c000000
	v_lshlrev_b32_sdwa v10, v10, v6 dst_sel:DWORD dst_unused:UNUSED_PAD src0_sel:DWORD src1_sel:WORD_1
	v_and_b32_e32 v10, 0x80000000, v10
	v_or3_b32 v8, v8, v10, v7
	v_mov_b32_e32 v26, v9
	v_mov_b32_e32 v25, v8
.LBB239_1493:                           ;   in Loop: Header=BB239_1062 Depth=1
	s_or_b32 exec_lo, exec_lo, s16
.LBB239_1494:                           ;   in Loop: Header=BB239_1062 Depth=1
	s_or_b32 exec_lo, exec_lo, s15
.LBB239_1495:                           ;   in Loop: Header=BB239_1062 Depth=1
	s_or_b32 exec_lo, exec_lo, s13
	s_mov_b32 s13, exec_lo
	v_cmpx_lt_u32_e32 0xffffff, v6
	s_cbranch_execz .LBB239_1503
; %bb.1496:                             ;   in Loop: Header=BB239_1062 Depth=1
	v_mov_b32_e32 v10, v9
	v_mov_b32_e32 v24, v11
	v_cmp_ne_u32_sdwa s4, v6, v98 src0_sel:BYTE_3 src1_sel:DWORD
	v_mov_b32_e32 v23, v10
	s_and_saveexec_b32 s15, s4
	s_cbranch_execz .LBB239_1502
; %bb.1497:                             ;   in Loop: Header=BB239_1062 Depth=1
	v_mov_b32_e32 v12, v9
	v_mov_b32_e32 v24, v13
	v_bfe_u32 v10, v6, 24, 7
	s_mov_b32 s16, exec_lo
	v_mov_b32_e32 v23, v12
	v_cmpx_ne_u32_e32 0x7f, v10
	s_cbranch_execz .LBB239_1501
; %bb.1498:                             ;   in Loop: Header=BB239_1062 Depth=1
	v_mov_b32_e32 v7, 7
	s_mov_b32 s17, exec_lo
	v_and_b32_sdwa v8, v6, v7 dst_sel:DWORD dst_unused:UNUSED_PAD src0_sel:BYTE_3 src1_sel:DWORD
	v_lshrrev_b32_e32 v7, 3, v10
	v_cmpx_gt_u32_e32 8, v10
; %bb.1499:                             ;   in Loop: Header=BB239_1062 Depth=1
	v_ffbh_u32_e32 v7, v8
	v_min_u32_e32 v7, 32, v7
	v_subrev_nc_u32_e32 v10, 28, v7
	v_sub_nc_u32_e32 v7, 29, v7
	v_lshlrev_b64 v[23:24], v10, v[8:9]
	v_and_b32_e32 v8, 7, v23
; %bb.1500:                             ;   in Loop: Header=BB239_1062 Depth=1
	s_or_b32 exec_lo, exec_lo, s17
	v_mov_b32_e32 v10, 24
	v_lshlrev_b32_e32 v8, 20, v8
	v_lshl_add_u32 v7, v7, 23, 0x3c000000
	v_mov_b32_e32 v23, v9
	v_lshlrev_b32_sdwa v6, v10, v6 dst_sel:DWORD dst_unused:UNUSED_PAD src0_sel:DWORD src1_sel:BYTE_3
	v_and_b32_e32 v6, 0x80000000, v6
	v_or3_b32 v24, v8, v6, v7
.LBB239_1501:                           ;   in Loop: Header=BB239_1062 Depth=1
	s_or_b32 exec_lo, exec_lo, s16
.LBB239_1502:                           ;   in Loop: Header=BB239_1062 Depth=1
	s_or_b32 exec_lo, exec_lo, s15
.LBB239_1503:                           ;   in Loop: Header=BB239_1062 Depth=1
	s_or_b32 exec_lo, exec_lo, s13
	v_or_b32_e32 v5, v22, v5
	v_or_b32_e32 v4, v21, v4
	;; [unrolled: 1-line block ×4, first 2 shown]
	v_mul_f32_e32 v112, v40, v5
	v_mul_f32_e32 v103, v40, v4
	;; [unrolled: 1-line block ×4, first 2 shown]
	s_and_saveexec_b32 s13, vcc_lo
	s_cbranch_execz .LBB239_1505
; %bb.1504:                             ;   in Loop: Header=BB239_1062 Depth=1
	buffer_load_dword v4, off, s[0:3], s32 offset:208 ; 4-byte Folded Reload
	s_waitcnt vmcnt(0)
	v_cmp_lt_i32_e64 s4, v85, v4
	v_cndmask_b32_e64 v103, 0, v103, s4
	v_cmp_lt_i32_e64 s4, v43, v4
	v_cndmask_b32_e64 v112, 0, v112, s4
	;; [unrolled: 2-line block ×4, first 2 shown]
.LBB239_1505:                           ;   in Loop: Header=BB239_1062 Depth=1
	s_or_b32 exec_lo, exec_lo, s13
	flat_load_dword v6, v[19:20] offset:1664
	v_mov_b32_e32 v21, 0
	v_mov_b32_e32 v4, 0
	;; [unrolled: 1-line block ×4, first 2 shown]
	s_waitcnt vmcnt(0) lgkmcnt(0)
	v_cmp_ne_u16_sdwa s4, v6, v9 src0_sel:BYTE_0 src1_sel:DWORD
	s_and_saveexec_b32 s13, s4
	s_cbranch_execz .LBB239_1513
; %bb.1506:                             ;   in Loop: Header=BB239_1062 Depth=1
	v_bfrev_b32_e32 v4, 1
	v_mov_b32_e32 v5, 0
	v_cmp_ne_u16_sdwa s4, v6, v98 src0_sel:BYTE_0 src1_sel:DWORD
	s_and_saveexec_b32 s15, s4
	s_cbranch_execz .LBB239_1512
; %bb.1507:                             ;   in Loop: Header=BB239_1062 Depth=1
	v_mov_b32_e32 v4, 0x7f800001
	v_and_b32_e32 v7, 0x7f, v6
	v_mov_b32_e32 v5, 0
	s_mov_b32 s16, exec_lo
	v_cmpx_ne_u32_e32 0x7f, v7
	s_cbranch_execz .LBB239_1511
; %bb.1508:                             ;   in Loop: Header=BB239_1062 Depth=1
	v_and_b32_e32 v8, 7, v6
	v_lshrrev_b32_e32 v4, 3, v7
	s_mov_b32 s17, exec_lo
	v_cmpx_gt_u32_e32 8, v7
; %bb.1509:                             ;   in Loop: Header=BB239_1062 Depth=1
	v_ffbh_u32_e32 v4, v8
	v_min_u32_e32 v4, 32, v4
	v_subrev_nc_u32_e32 v5, 28, v4
	v_sub_nc_u32_e32 v4, 29, v4
	v_lshlrev_b64 v[7:8], v5, v[8:9]
	v_and_b32_e32 v8, 7, v7
; %bb.1510:                             ;   in Loop: Header=BB239_1062 Depth=1
	s_or_b32 exec_lo, exec_lo, s17
	v_lshlrev_b32_e32 v5, 24, v6
	v_lshlrev_b32_e32 v7, 20, v8
	v_lshl_add_u32 v4, v4, 23, 0x3c000000
	v_and_b32_e32 v5, 0x80000000, v5
	v_or3_b32 v8, v7, v5, v4
	v_mov_b32_e32 v4, v8
	v_mov_b32_e32 v5, v9
.LBB239_1511:                           ;   in Loop: Header=BB239_1062 Depth=1
	s_or_b32 exec_lo, exec_lo, s16
.LBB239_1512:                           ;   in Loop: Header=BB239_1062 Depth=1
	s_or_b32 exec_lo, exec_lo, s15
.LBB239_1513:                           ;   in Loop: Header=BB239_1062 Depth=1
	s_or_b32 exec_lo, exec_lo, s13
	v_cmp_ne_u16_sdwa s4, v6, v9 src0_sel:BYTE_1 src1_sel:DWORD
	s_and_saveexec_b32 s13, s4
	s_cbranch_execz .LBB239_1521
; %bb.1514:                             ;   in Loop: Header=BB239_1062 Depth=1
	v_mov_b32_e32 v10, v9
	v_mov_b32_e32 v22, v11
	v_cmp_ne_u16_sdwa s4, v6, v98 src0_sel:BYTE_1 src1_sel:DWORD
	v_mov_b32_e32 v21, v10
	s_and_saveexec_b32 s15, s4
	s_cbranch_execz .LBB239_1520
; %bb.1515:                             ;   in Loop: Header=BB239_1062 Depth=1
	v_mov_b32_e32 v7, 0xffff
	v_mov_b32_e32 v12, v9
	;; [unrolled: 1-line block ×3, first 2 shown]
	s_mov_b32 s16, exec_lo
	v_and_b32_sdwa v7, v7, v6 dst_sel:DWORD dst_unused:UNUSED_PAD src0_sel:DWORD src1_sel:BYTE_1
	v_mov_b32_e32 v21, v12
	v_and_b32_e32 v10, 0x7f, v7
	v_cmpx_ne_u32_e32 0x7f, v10
	s_cbranch_execz .LBB239_1519
; %bb.1516:                             ;   in Loop: Header=BB239_1062 Depth=1
	v_and_b32_e32 v8, 7, v7
	v_lshrrev_b32_e32 v7, 3, v10
	s_mov_b32 s17, exec_lo
	v_cmpx_gt_u32_e32 8, v10
; %bb.1517:                             ;   in Loop: Header=BB239_1062 Depth=1
	v_ffbh_u32_e32 v7, v8
	v_min_u32_e32 v7, 32, v7
	v_subrev_nc_u32_e32 v10, 28, v7
	v_sub_nc_u32_e32 v7, 29, v7
	v_lshlrev_b64 v[21:22], v10, v[8:9]
	v_and_b32_e32 v8, 7, v21
; %bb.1518:                             ;   in Loop: Header=BB239_1062 Depth=1
	s_or_b32 exec_lo, exec_lo, s17
	v_lshlrev_b32_e32 v10, 16, v6
	v_lshlrev_b32_e32 v8, 20, v8
	v_lshl_add_u32 v7, v7, 23, 0x3c000000
	v_mov_b32_e32 v21, v9
	v_and_b32_e32 v10, 0x80000000, v10
	v_or3_b32 v22, v8, v10, v7
.LBB239_1519:                           ;   in Loop: Header=BB239_1062 Depth=1
	s_or_b32 exec_lo, exec_lo, s16
.LBB239_1520:                           ;   in Loop: Header=BB239_1062 Depth=1
	s_or_b32 exec_lo, exec_lo, s15
.LBB239_1521:                           ;   in Loop: Header=BB239_1062 Depth=1
	s_or_b32 exec_lo, exec_lo, s13
	v_mov_b32_e32 v23, 0
	v_mov_b32_e32 v25, 0
	v_and_b32_sdwa v7, v6, v100 dst_sel:DWORD dst_unused:UNUSED_PAD src0_sel:WORD_1 src1_sel:DWORD
	v_mov_b32_e32 v24, 0
	v_mov_b32_e32 v26, 0
	s_mov_b32 s13, exec_lo
	v_cmpx_ne_u16_e32 0, v7
	s_cbranch_execz .LBB239_1529
; %bb.1522:                             ;   in Loop: Header=BB239_1062 Depth=1
	v_bfrev_b32_e32 v25, 1
	v_mov_b32_e32 v26, 0
	s_mov_b32 s15, exec_lo
	v_cmpx_ne_u16_e32 0x80, v7
	s_cbranch_execz .LBB239_1528
; %bb.1523:                             ;   in Loop: Header=BB239_1062 Depth=1
	v_mov_b32_e32 v25, 0x7f800001
	v_bfe_u32 v10, v6, 16, 7
	v_mov_b32_e32 v26, 0
	s_mov_b32 s16, exec_lo
	v_cmpx_ne_u32_e32 0x7f, v10
	s_cbranch_execz .LBB239_1527
; %bb.1524:                             ;   in Loop: Header=BB239_1062 Depth=1
	v_mov_b32_e32 v7, 7
	s_mov_b32 s17, exec_lo
	v_and_b32_sdwa v8, v6, v7 dst_sel:DWORD dst_unused:UNUSED_PAD src0_sel:WORD_1 src1_sel:DWORD
	v_lshrrev_b32_e32 v7, 3, v10
	v_cmpx_gt_u32_e32 8, v10
; %bb.1525:                             ;   in Loop: Header=BB239_1062 Depth=1
	v_ffbh_u32_e32 v7, v8
	v_min_u32_e32 v7, 32, v7
	v_subrev_nc_u32_e32 v10, 28, v7
	v_sub_nc_u32_e32 v7, 29, v7
	v_lshlrev_b64 v[25:26], v10, v[8:9]
	v_and_b32_e32 v8, 7, v25
; %bb.1526:                             ;   in Loop: Header=BB239_1062 Depth=1
	s_or_b32 exec_lo, exec_lo, s17
	v_mov_b32_e32 v10, 24
	v_lshlrev_b32_e32 v8, 20, v8
	v_lshl_add_u32 v7, v7, 23, 0x3c000000
	v_lshlrev_b32_sdwa v10, v10, v6 dst_sel:DWORD dst_unused:UNUSED_PAD src0_sel:DWORD src1_sel:WORD_1
	v_and_b32_e32 v10, 0x80000000, v10
	v_or3_b32 v8, v8, v10, v7
	v_mov_b32_e32 v26, v9
	v_mov_b32_e32 v25, v8
.LBB239_1527:                           ;   in Loop: Header=BB239_1062 Depth=1
	s_or_b32 exec_lo, exec_lo, s16
.LBB239_1528:                           ;   in Loop: Header=BB239_1062 Depth=1
	s_or_b32 exec_lo, exec_lo, s15
.LBB239_1529:                           ;   in Loop: Header=BB239_1062 Depth=1
	s_or_b32 exec_lo, exec_lo, s13
	s_mov_b32 s13, exec_lo
	v_cmpx_lt_u32_e32 0xffffff, v6
	s_cbranch_execz .LBB239_1537
; %bb.1530:                             ;   in Loop: Header=BB239_1062 Depth=1
	v_mov_b32_e32 v10, v9
	v_mov_b32_e32 v24, v11
	v_cmp_ne_u32_sdwa s4, v6, v98 src0_sel:BYTE_3 src1_sel:DWORD
	v_mov_b32_e32 v23, v10
	s_and_saveexec_b32 s15, s4
	s_cbranch_execz .LBB239_1536
; %bb.1531:                             ;   in Loop: Header=BB239_1062 Depth=1
	v_mov_b32_e32 v12, v9
	v_mov_b32_e32 v24, v13
	v_bfe_u32 v10, v6, 24, 7
	s_mov_b32 s16, exec_lo
	v_mov_b32_e32 v23, v12
	v_cmpx_ne_u32_e32 0x7f, v10
	s_cbranch_execz .LBB239_1535
; %bb.1532:                             ;   in Loop: Header=BB239_1062 Depth=1
	v_mov_b32_e32 v7, 7
	s_mov_b32 s17, exec_lo
	v_and_b32_sdwa v8, v6, v7 dst_sel:DWORD dst_unused:UNUSED_PAD src0_sel:BYTE_3 src1_sel:DWORD
	v_lshrrev_b32_e32 v7, 3, v10
	v_cmpx_gt_u32_e32 8, v10
; %bb.1533:                             ;   in Loop: Header=BB239_1062 Depth=1
	v_ffbh_u32_e32 v7, v8
	v_min_u32_e32 v7, 32, v7
	v_subrev_nc_u32_e32 v10, 28, v7
	v_sub_nc_u32_e32 v7, 29, v7
	v_lshlrev_b64 v[23:24], v10, v[8:9]
	v_and_b32_e32 v8, 7, v23
; %bb.1534:                             ;   in Loop: Header=BB239_1062 Depth=1
	s_or_b32 exec_lo, exec_lo, s17
	v_mov_b32_e32 v10, 24
	v_lshlrev_b32_e32 v8, 20, v8
	v_lshl_add_u32 v7, v7, 23, 0x3c000000
	v_mov_b32_e32 v23, v9
	v_lshlrev_b32_sdwa v6, v10, v6 dst_sel:DWORD dst_unused:UNUSED_PAD src0_sel:DWORD src1_sel:BYTE_3
	v_and_b32_e32 v6, 0x80000000, v6
	v_or3_b32 v24, v8, v6, v7
.LBB239_1535:                           ;   in Loop: Header=BB239_1062 Depth=1
	s_or_b32 exec_lo, exec_lo, s16
.LBB239_1536:                           ;   in Loop: Header=BB239_1062 Depth=1
	s_or_b32 exec_lo, exec_lo, s15
.LBB239_1537:                           ;   in Loop: Header=BB239_1062 Depth=1
	s_or_b32 exec_lo, exec_lo, s13
	v_or_b32_e32 v5, v22, v5
	v_or_b32_e32 v4, v21, v4
	;; [unrolled: 1-line block ×4, first 2 shown]
	v_mul_f32_e32 v115, v40, v5
	v_mul_f32_e32 v7, v40, v4
	v_mul_f32_e32 v6, v40, v6
	v_mul_f32_e32 v113, v40, v8
	s_and_saveexec_b32 s13, vcc_lo
	s_cbranch_execz .LBB239_1539
; %bb.1538:                             ;   in Loop: Header=BB239_1062 Depth=1
	buffer_load_dword v4, off, s[0:3], s32 offset:208 ; 4-byte Folded Reload
	s_waitcnt vmcnt(0)
	v_cmp_lt_i32_e64 s4, v85, v4
	v_cndmask_b32_e64 v7, 0, v7, s4
	v_cmp_lt_i32_e64 s4, v43, v4
	v_cndmask_b32_e64 v115, 0, v115, s4
	;; [unrolled: 2-line block ×4, first 2 shown]
.LBB239_1539:                           ;   in Loop: Header=BB239_1062 Depth=1
	s_or_b32 exec_lo, exec_lo, s13
	flat_load_dword v30, v[19:20] offset:1792
	v_mov_b32_e32 v21, 0
	v_mov_b32_e32 v4, 0
	;; [unrolled: 1-line block ×4, first 2 shown]
	s_waitcnt vmcnt(0) lgkmcnt(0)
	v_cmp_ne_u16_sdwa s4, v30, v9 src0_sel:BYTE_0 src1_sel:DWORD
	s_and_saveexec_b32 s13, s4
	s_cbranch_execz .LBB239_1547
; %bb.1540:                             ;   in Loop: Header=BB239_1062 Depth=1
	v_bfrev_b32_e32 v4, 1
	v_mov_b32_e32 v5, 0
	v_cmp_ne_u16_sdwa s4, v30, v98 src0_sel:BYTE_0 src1_sel:DWORD
	s_and_saveexec_b32 s15, s4
	s_cbranch_execz .LBB239_1546
; %bb.1541:                             ;   in Loop: Header=BB239_1062 Depth=1
	v_mov_b32_e32 v4, 0x7f800001
	v_and_b32_e32 v10, 0x7f, v30
	v_mov_b32_e32 v5, 0
	s_mov_b32 s16, exec_lo
	v_cmpx_ne_u32_e32 0x7f, v10
	s_cbranch_execz .LBB239_1545
; %bb.1542:                             ;   in Loop: Header=BB239_1062 Depth=1
	v_and_b32_e32 v8, 7, v30
	v_lshrrev_b32_e32 v4, 3, v10
	s_mov_b32 s17, exec_lo
	v_cmpx_gt_u32_e32 8, v10
; %bb.1543:                             ;   in Loop: Header=BB239_1062 Depth=1
	v_ffbh_u32_e32 v4, v8
	v_min_u32_e32 v4, 32, v4
	v_subrev_nc_u32_e32 v5, 28, v4
	v_sub_nc_u32_e32 v4, 29, v4
	v_lshlrev_b64 v[23:24], v5, v[8:9]
	v_and_b32_e32 v8, 7, v23
; %bb.1544:                             ;   in Loop: Header=BB239_1062 Depth=1
	s_or_b32 exec_lo, exec_lo, s17
	v_lshlrev_b32_e32 v5, 24, v30
	v_lshlrev_b32_e32 v8, 20, v8
	v_lshl_add_u32 v4, v4, 23, 0x3c000000
	v_and_b32_e32 v5, 0x80000000, v5
	v_or3_b32 v8, v8, v5, v4
	v_mov_b32_e32 v4, v8
	v_mov_b32_e32 v5, v9
.LBB239_1545:                           ;   in Loop: Header=BB239_1062 Depth=1
	s_or_b32 exec_lo, exec_lo, s16
.LBB239_1546:                           ;   in Loop: Header=BB239_1062 Depth=1
	s_or_b32 exec_lo, exec_lo, s15
.LBB239_1547:                           ;   in Loop: Header=BB239_1062 Depth=1
	s_or_b32 exec_lo, exec_lo, s13
	v_cmp_ne_u16_sdwa s4, v30, v9 src0_sel:BYTE_1 src1_sel:DWORD
	s_and_saveexec_b32 s13, s4
	s_cbranch_execz .LBB239_1555
; %bb.1548:                             ;   in Loop: Header=BB239_1062 Depth=1
	v_mov_b32_e32 v10, v9
	v_mov_b32_e32 v22, v11
	v_cmp_ne_u16_sdwa s4, v30, v98 src0_sel:BYTE_1 src1_sel:DWORD
	v_mov_b32_e32 v21, v10
	s_and_saveexec_b32 s15, s4
	s_cbranch_execz .LBB239_1554
; %bb.1549:                             ;   in Loop: Header=BB239_1062 Depth=1
	v_mov_b32_e32 v8, 0xffff
	v_mov_b32_e32 v12, v9
	;; [unrolled: 1-line block ×3, first 2 shown]
	s_mov_b32 s16, exec_lo
	v_and_b32_sdwa v8, v8, v30 dst_sel:DWORD dst_unused:UNUSED_PAD src0_sel:DWORD src1_sel:BYTE_1
	v_mov_b32_e32 v21, v12
	v_and_b32_e32 v23, 0x7f, v8
	v_cmpx_ne_u32_e32 0x7f, v23
	s_cbranch_execz .LBB239_1553
; %bb.1550:                             ;   in Loop: Header=BB239_1062 Depth=1
	v_and_b32_e32 v8, 7, v8
	v_lshrrev_b32_e32 v10, 3, v23
	s_mov_b32 s17, exec_lo
	v_cmpx_gt_u32_e32 8, v23
; %bb.1551:                             ;   in Loop: Header=BB239_1062 Depth=1
	v_ffbh_u32_e32 v10, v8
	v_min_u32_e32 v10, 32, v10
	v_subrev_nc_u32_e32 v12, 28, v10
	v_sub_nc_u32_e32 v10, 29, v10
	v_lshlrev_b64 v[21:22], v12, v[8:9]
	v_and_b32_e32 v8, 7, v21
; %bb.1552:                             ;   in Loop: Header=BB239_1062 Depth=1
	s_or_b32 exec_lo, exec_lo, s17
	v_lshlrev_b32_e32 v12, 16, v30
	v_lshlrev_b32_e32 v8, 20, v8
	v_lshl_add_u32 v10, v10, 23, 0x3c000000
	v_mov_b32_e32 v21, v9
	v_and_b32_e32 v12, 0x80000000, v12
	v_or3_b32 v22, v8, v12, v10
.LBB239_1553:                           ;   in Loop: Header=BB239_1062 Depth=1
	s_or_b32 exec_lo, exec_lo, s16
.LBB239_1554:                           ;   in Loop: Header=BB239_1062 Depth=1
	s_or_b32 exec_lo, exec_lo, s15
.LBB239_1555:                           ;   in Loop: Header=BB239_1062 Depth=1
	s_or_b32 exec_lo, exec_lo, s13
	v_mov_b32_e32 v23, 0
	v_mov_b32_e32 v25, 0
	v_and_b32_sdwa v8, v30, v100 dst_sel:DWORD dst_unused:UNUSED_PAD src0_sel:WORD_1 src1_sel:DWORD
	v_mov_b32_e32 v24, 0
	v_mov_b32_e32 v26, 0
	s_mov_b32 s13, exec_lo
	v_cmpx_ne_u16_e32 0, v8
	s_cbranch_execz .LBB239_1563
; %bb.1556:                             ;   in Loop: Header=BB239_1062 Depth=1
	v_bfrev_b32_e32 v25, 1
	v_mov_b32_e32 v26, 0
	s_mov_b32 s15, exec_lo
	v_cmpx_ne_u16_e32 0x80, v8
	s_cbranch_execz .LBB239_1562
; %bb.1557:                             ;   in Loop: Header=BB239_1062 Depth=1
	v_mov_b32_e32 v25, 0x7f800001
	v_bfe_u32 v12, v30, 16, 7
	v_mov_b32_e32 v26, 0
	s_mov_b32 s16, exec_lo
	v_cmpx_ne_u32_e32 0x7f, v12
	s_cbranch_execz .LBB239_1561
; %bb.1558:                             ;   in Loop: Header=BB239_1062 Depth=1
	v_mov_b32_e32 v8, 7
	v_lshrrev_b32_e32 v10, 3, v12
	s_mov_b32 s17, exec_lo
	v_and_b32_sdwa v8, v30, v8 dst_sel:DWORD dst_unused:UNUSED_PAD src0_sel:WORD_1 src1_sel:DWORD
	v_cmpx_gt_u32_e32 8, v12
; %bb.1559:                             ;   in Loop: Header=BB239_1062 Depth=1
	v_ffbh_u32_e32 v10, v8
	v_min_u32_e32 v10, 32, v10
	v_subrev_nc_u32_e32 v12, 28, v10
	v_sub_nc_u32_e32 v10, 29, v10
	v_lshlrev_b64 v[25:26], v12, v[8:9]
	v_and_b32_e32 v8, 7, v25
; %bb.1560:                             ;   in Loop: Header=BB239_1062 Depth=1
	s_or_b32 exec_lo, exec_lo, s17
	v_mov_b32_e32 v12, 24
	v_lshlrev_b32_e32 v8, 20, v8
	v_lshl_add_u32 v10, v10, 23, 0x3c000000
	v_lshlrev_b32_sdwa v12, v12, v30 dst_sel:DWORD dst_unused:UNUSED_PAD src0_sel:DWORD src1_sel:WORD_1
	v_and_b32_e32 v12, 0x80000000, v12
	v_or3_b32 v8, v8, v12, v10
	v_mov_b32_e32 v26, v9
	v_mov_b32_e32 v25, v8
.LBB239_1561:                           ;   in Loop: Header=BB239_1062 Depth=1
	s_or_b32 exec_lo, exec_lo, s16
.LBB239_1562:                           ;   in Loop: Header=BB239_1062 Depth=1
	s_or_b32 exec_lo, exec_lo, s15
.LBB239_1563:                           ;   in Loop: Header=BB239_1062 Depth=1
	s_or_b32 exec_lo, exec_lo, s13
	s_mov_b32 s13, exec_lo
	v_cmpx_lt_u32_e32 0xffffff, v30
	s_cbranch_execz .LBB239_1571
; %bb.1564:                             ;   in Loop: Header=BB239_1062 Depth=1
	v_mov_b32_e32 v10, v9
	v_mov_b32_e32 v24, v11
	v_cmp_ne_u32_sdwa s4, v30, v98 src0_sel:BYTE_3 src1_sel:DWORD
	v_mov_b32_e32 v23, v10
	s_and_saveexec_b32 s15, s4
	s_cbranch_execz .LBB239_1570
; %bb.1565:                             ;   in Loop: Header=BB239_1062 Depth=1
	v_mov_b32_e32 v12, v9
	v_mov_b32_e32 v24, v13
	v_bfe_u32 v31, v30, 24, 7
	s_mov_b32 s16, exec_lo
	v_mov_b32_e32 v23, v12
	v_cmpx_ne_u32_e32 0x7f, v31
	s_cbranch_execz .LBB239_1569
; %bb.1566:                             ;   in Loop: Header=BB239_1062 Depth=1
	v_mov_b32_e32 v8, 7
	v_lshrrev_b32_e32 v10, 3, v31
	s_mov_b32 s17, exec_lo
	v_and_b32_sdwa v8, v30, v8 dst_sel:DWORD dst_unused:UNUSED_PAD src0_sel:BYTE_3 src1_sel:DWORD
	v_cmpx_gt_u32_e32 8, v31
; %bb.1567:                             ;   in Loop: Header=BB239_1062 Depth=1
	v_ffbh_u32_e32 v10, v8
	v_min_u32_e32 v10, 32, v10
	v_subrev_nc_u32_e32 v12, 28, v10
	v_sub_nc_u32_e32 v10, 29, v10
	v_lshlrev_b64 v[23:24], v12, v[8:9]
	v_and_b32_e32 v8, 7, v23
; %bb.1568:                             ;   in Loop: Header=BB239_1062 Depth=1
	s_or_b32 exec_lo, exec_lo, s17
	v_mov_b32_e32 v12, 24
	v_lshlrev_b32_e32 v8, 20, v8
	v_lshl_add_u32 v10, v10, 23, 0x3c000000
	v_mov_b32_e32 v23, v9
	v_lshlrev_b32_sdwa v12, v12, v30 dst_sel:DWORD dst_unused:UNUSED_PAD src0_sel:DWORD src1_sel:BYTE_3
	v_and_b32_e32 v12, 0x80000000, v12
	v_or3_b32 v24, v8, v12, v10
.LBB239_1569:                           ;   in Loop: Header=BB239_1062 Depth=1
	s_or_b32 exec_lo, exec_lo, s16
.LBB239_1570:                           ;   in Loop: Header=BB239_1062 Depth=1
	s_or_b32 exec_lo, exec_lo, s15
.LBB239_1571:                           ;   in Loop: Header=BB239_1062 Depth=1
	s_or_b32 exec_lo, exec_lo, s13
	v_or_b32_e32 v5, v22, v5
	v_or_b32_e32 v4, v21, v4
	;; [unrolled: 1-line block ×4, first 2 shown]
	v_mul_f32_e32 v33, v40, v5
	v_mul_f32_e32 v32, v40, v4
	;; [unrolled: 1-line block ×4, first 2 shown]
	s_and_saveexec_b32 s13, vcc_lo
	s_cbranch_execz .LBB239_1573
; %bb.1572:                             ;   in Loop: Header=BB239_1062 Depth=1
	buffer_load_dword v4, off, s[0:3], s32 offset:208 ; 4-byte Folded Reload
	s_waitcnt vmcnt(0)
	v_cmp_lt_i32_e64 s4, v85, v4
	v_cndmask_b32_e64 v32, 0, v32, s4
	v_cmp_lt_i32_e64 s4, v43, v4
	v_cndmask_b32_e64 v33, 0, v33, s4
	v_cmp_lt_i32_e64 s4, v42, v4
	v_cndmask_b32_e64 v31, 0, v31, s4
	v_cmp_lt_i32_e64 s4, v41, v4
	v_cndmask_b32_e64 v30, 0, v30, s4
.LBB239_1573:                           ;   in Loop: Header=BB239_1062 Depth=1
	s_or_b32 exec_lo, exec_lo, s13
	flat_load_dword v34, v[19:20] offset:1920
	v_mov_b32_e32 v21, 0
	v_mov_b32_e32 v4, 0
	;; [unrolled: 1-line block ×4, first 2 shown]
	s_waitcnt vmcnt(0) lgkmcnt(0)
	v_cmp_ne_u16_sdwa s4, v34, v9 src0_sel:BYTE_0 src1_sel:DWORD
	s_and_saveexec_b32 s13, s4
	s_cbranch_execz .LBB239_1581
; %bb.1574:                             ;   in Loop: Header=BB239_1062 Depth=1
	v_bfrev_b32_e32 v4, 1
	v_mov_b32_e32 v5, 0
	v_cmp_ne_u16_sdwa s4, v34, v98 src0_sel:BYTE_0 src1_sel:DWORD
	s_and_saveexec_b32 s15, s4
	s_cbranch_execz .LBB239_1580
; %bb.1575:                             ;   in Loop: Header=BB239_1062 Depth=1
	v_mov_b32_e32 v4, 0x7f800001
	v_and_b32_e32 v10, 0x7f, v34
	v_mov_b32_e32 v5, 0
	s_mov_b32 s16, exec_lo
	v_cmpx_ne_u32_e32 0x7f, v10
	s_cbranch_execz .LBB239_1579
; %bb.1576:                             ;   in Loop: Header=BB239_1062 Depth=1
	v_and_b32_e32 v8, 7, v34
	v_lshrrev_b32_e32 v4, 3, v10
	s_mov_b32 s17, exec_lo
	v_cmpx_gt_u32_e32 8, v10
; %bb.1577:                             ;   in Loop: Header=BB239_1062 Depth=1
	v_ffbh_u32_e32 v4, v8
	v_min_u32_e32 v4, 32, v4
	v_subrev_nc_u32_e32 v5, 28, v4
	v_sub_nc_u32_e32 v4, 29, v4
	v_lshlrev_b64 v[23:24], v5, v[8:9]
	v_and_b32_e32 v8, 7, v23
; %bb.1578:                             ;   in Loop: Header=BB239_1062 Depth=1
	s_or_b32 exec_lo, exec_lo, s17
	v_lshlrev_b32_e32 v5, 24, v34
	v_lshlrev_b32_e32 v8, 20, v8
	v_lshl_add_u32 v4, v4, 23, 0x3c000000
	v_and_b32_e32 v5, 0x80000000, v5
	v_or3_b32 v8, v8, v5, v4
	v_mov_b32_e32 v4, v8
	v_mov_b32_e32 v5, v9
.LBB239_1579:                           ;   in Loop: Header=BB239_1062 Depth=1
	s_or_b32 exec_lo, exec_lo, s16
.LBB239_1580:                           ;   in Loop: Header=BB239_1062 Depth=1
	s_or_b32 exec_lo, exec_lo, s15
.LBB239_1581:                           ;   in Loop: Header=BB239_1062 Depth=1
	s_or_b32 exec_lo, exec_lo, s13
	v_cmp_ne_u16_sdwa s4, v34, v9 src0_sel:BYTE_1 src1_sel:DWORD
	s_and_saveexec_b32 s13, s4
	s_cbranch_execz .LBB239_1589
; %bb.1582:                             ;   in Loop: Header=BB239_1062 Depth=1
	v_mov_b32_e32 v10, v9
	v_mov_b32_e32 v22, v11
	v_cmp_ne_u16_sdwa s4, v34, v98 src0_sel:BYTE_1 src1_sel:DWORD
	v_mov_b32_e32 v21, v10
	s_and_saveexec_b32 s15, s4
	s_cbranch_execz .LBB239_1588
; %bb.1583:                             ;   in Loop: Header=BB239_1062 Depth=1
	v_mov_b32_e32 v8, 0xffff
	v_mov_b32_e32 v12, v9
	;; [unrolled: 1-line block ×3, first 2 shown]
	s_mov_b32 s16, exec_lo
	v_and_b32_sdwa v8, v8, v34 dst_sel:DWORD dst_unused:UNUSED_PAD src0_sel:DWORD src1_sel:BYTE_1
	v_mov_b32_e32 v21, v12
	v_and_b32_e32 v23, 0x7f, v8
	v_cmpx_ne_u32_e32 0x7f, v23
	s_cbranch_execz .LBB239_1587
; %bb.1584:                             ;   in Loop: Header=BB239_1062 Depth=1
	v_and_b32_e32 v8, 7, v8
	v_lshrrev_b32_e32 v10, 3, v23
	s_mov_b32 s17, exec_lo
	v_cmpx_gt_u32_e32 8, v23
; %bb.1585:                             ;   in Loop: Header=BB239_1062 Depth=1
	v_ffbh_u32_e32 v10, v8
	v_min_u32_e32 v10, 32, v10
	v_subrev_nc_u32_e32 v12, 28, v10
	v_sub_nc_u32_e32 v10, 29, v10
	v_lshlrev_b64 v[21:22], v12, v[8:9]
	v_and_b32_e32 v8, 7, v21
; %bb.1586:                             ;   in Loop: Header=BB239_1062 Depth=1
	s_or_b32 exec_lo, exec_lo, s17
	v_lshlrev_b32_e32 v12, 16, v34
	v_lshlrev_b32_e32 v8, 20, v8
	v_lshl_add_u32 v10, v10, 23, 0x3c000000
	v_mov_b32_e32 v21, v9
	v_and_b32_e32 v12, 0x80000000, v12
	v_or3_b32 v22, v8, v12, v10
.LBB239_1587:                           ;   in Loop: Header=BB239_1062 Depth=1
	s_or_b32 exec_lo, exec_lo, s16
.LBB239_1588:                           ;   in Loop: Header=BB239_1062 Depth=1
	s_or_b32 exec_lo, exec_lo, s15
.LBB239_1589:                           ;   in Loop: Header=BB239_1062 Depth=1
	s_or_b32 exec_lo, exec_lo, s13
	v_mov_b32_e32 v23, 0
	v_mov_b32_e32 v25, 0
	v_and_b32_sdwa v8, v34, v100 dst_sel:DWORD dst_unused:UNUSED_PAD src0_sel:WORD_1 src1_sel:DWORD
	v_mov_b32_e32 v24, 0
	v_mov_b32_e32 v26, 0
	s_mov_b32 s13, exec_lo
	v_cmpx_ne_u16_e32 0, v8
	s_cbranch_execz .LBB239_1597
; %bb.1590:                             ;   in Loop: Header=BB239_1062 Depth=1
	v_bfrev_b32_e32 v25, 1
	v_mov_b32_e32 v26, 0
	s_mov_b32 s15, exec_lo
	v_cmpx_ne_u16_e32 0x80, v8
	s_cbranch_execz .LBB239_1596
; %bb.1591:                             ;   in Loop: Header=BB239_1062 Depth=1
	v_mov_b32_e32 v25, 0x7f800001
	v_bfe_u32 v12, v34, 16, 7
	v_mov_b32_e32 v26, 0
	s_mov_b32 s16, exec_lo
	v_cmpx_ne_u32_e32 0x7f, v12
	s_cbranch_execz .LBB239_1595
; %bb.1592:                             ;   in Loop: Header=BB239_1062 Depth=1
	v_mov_b32_e32 v8, 7
	v_lshrrev_b32_e32 v10, 3, v12
	s_mov_b32 s17, exec_lo
	v_and_b32_sdwa v8, v34, v8 dst_sel:DWORD dst_unused:UNUSED_PAD src0_sel:WORD_1 src1_sel:DWORD
	v_cmpx_gt_u32_e32 8, v12
; %bb.1593:                             ;   in Loop: Header=BB239_1062 Depth=1
	v_ffbh_u32_e32 v10, v8
	v_min_u32_e32 v10, 32, v10
	v_subrev_nc_u32_e32 v12, 28, v10
	v_sub_nc_u32_e32 v10, 29, v10
	v_lshlrev_b64 v[25:26], v12, v[8:9]
	v_and_b32_e32 v8, 7, v25
; %bb.1594:                             ;   in Loop: Header=BB239_1062 Depth=1
	s_or_b32 exec_lo, exec_lo, s17
	v_mov_b32_e32 v12, 24
	v_lshlrev_b32_e32 v8, 20, v8
	v_lshl_add_u32 v10, v10, 23, 0x3c000000
	v_lshlrev_b32_sdwa v12, v12, v34 dst_sel:DWORD dst_unused:UNUSED_PAD src0_sel:DWORD src1_sel:WORD_1
	v_and_b32_e32 v12, 0x80000000, v12
	v_or3_b32 v8, v8, v12, v10
	v_mov_b32_e32 v26, v9
	v_mov_b32_e32 v25, v8
.LBB239_1595:                           ;   in Loop: Header=BB239_1062 Depth=1
	s_or_b32 exec_lo, exec_lo, s16
.LBB239_1596:                           ;   in Loop: Header=BB239_1062 Depth=1
	s_or_b32 exec_lo, exec_lo, s15
.LBB239_1597:                           ;   in Loop: Header=BB239_1062 Depth=1
	s_or_b32 exec_lo, exec_lo, s13
	s_mov_b32 s13, exec_lo
	v_cmpx_lt_u32_e32 0xffffff, v34
	s_cbranch_execz .LBB239_1605
; %bb.1598:                             ;   in Loop: Header=BB239_1062 Depth=1
	v_mov_b32_e32 v10, v9
	v_mov_b32_e32 v24, v11
	v_cmp_ne_u32_sdwa s4, v34, v98 src0_sel:BYTE_3 src1_sel:DWORD
	v_mov_b32_e32 v23, v10
	s_and_saveexec_b32 s15, s4
	s_cbranch_execz .LBB239_1604
; %bb.1599:                             ;   in Loop: Header=BB239_1062 Depth=1
	v_mov_b32_e32 v12, v9
	v_mov_b32_e32 v24, v13
	v_bfe_u32 v35, v34, 24, 7
	s_mov_b32 s16, exec_lo
	v_mov_b32_e32 v23, v12
	v_cmpx_ne_u32_e32 0x7f, v35
	s_cbranch_execz .LBB239_1603
; %bb.1600:                             ;   in Loop: Header=BB239_1062 Depth=1
	v_mov_b32_e32 v8, 7
	v_lshrrev_b32_e32 v10, 3, v35
	s_mov_b32 s17, exec_lo
	v_and_b32_sdwa v8, v34, v8 dst_sel:DWORD dst_unused:UNUSED_PAD src0_sel:BYTE_3 src1_sel:DWORD
	v_cmpx_gt_u32_e32 8, v35
; %bb.1601:                             ;   in Loop: Header=BB239_1062 Depth=1
	v_ffbh_u32_e32 v10, v8
	v_min_u32_e32 v10, 32, v10
	v_subrev_nc_u32_e32 v12, 28, v10
	v_sub_nc_u32_e32 v10, 29, v10
	v_lshlrev_b64 v[23:24], v12, v[8:9]
	v_and_b32_e32 v8, 7, v23
; %bb.1602:                             ;   in Loop: Header=BB239_1062 Depth=1
	s_or_b32 exec_lo, exec_lo, s17
	v_mov_b32_e32 v12, 24
	v_lshlrev_b32_e32 v8, 20, v8
	v_lshl_add_u32 v10, v10, 23, 0x3c000000
	v_mov_b32_e32 v23, v9
	v_lshlrev_b32_sdwa v12, v12, v34 dst_sel:DWORD dst_unused:UNUSED_PAD src0_sel:DWORD src1_sel:BYTE_3
	v_and_b32_e32 v12, 0x80000000, v12
	v_or3_b32 v24, v8, v12, v10
.LBB239_1603:                           ;   in Loop: Header=BB239_1062 Depth=1
	s_or_b32 exec_lo, exec_lo, s16
.LBB239_1604:                           ;   in Loop: Header=BB239_1062 Depth=1
	s_or_b32 exec_lo, exec_lo, s15
.LBB239_1605:                           ;   in Loop: Header=BB239_1062 Depth=1
	s_or_b32 exec_lo, exec_lo, s13
	v_or_b32_e32 v5, v22, v5
	v_or_b32_e32 v4, v21, v4
	;; [unrolled: 1-line block ×4, first 2 shown]
	v_mul_f32_e32 v37, v40, v5
	v_mul_f32_e32 v36, v40, v4
	v_mul_f32_e32 v35, v40, v8
	v_mul_f32_e32 v34, v40, v10
	s_and_saveexec_b32 s13, vcc_lo
	s_cbranch_execz .LBB239_1607
; %bb.1606:                             ;   in Loop: Header=BB239_1062 Depth=1
	buffer_load_dword v4, off, s[0:3], s32 offset:208 ; 4-byte Folded Reload
	s_waitcnt vmcnt(0)
	v_cmp_lt_i32_e64 s4, v85, v4
	v_cndmask_b32_e64 v36, 0, v36, s4
	v_cmp_lt_i32_e64 s4, v43, v4
	v_cndmask_b32_e64 v37, 0, v37, s4
	;; [unrolled: 2-line block ×4, first 2 shown]
.LBB239_1607:                           ;   in Loop: Header=BB239_1062 Depth=1
	s_or_b32 exec_lo, exec_lo, s13
	v_add_co_u32 v19, s4, 0x800, v19
	v_add_co_ci_u32_e64 v20, null, 0, v20, s4
	v_mov_b32_e32 v21, 0
	v_mov_b32_e32 v4, 0
	;; [unrolled: 1-line block ×3, first 2 shown]
	flat_load_dword v38, v[19:20]
	v_mov_b32_e32 v5, 0
	s_waitcnt vmcnt(0) lgkmcnt(0)
	v_cmp_ne_u16_sdwa s4, v38, v9 src0_sel:BYTE_0 src1_sel:DWORD
	s_and_saveexec_b32 s13, s4
	s_cbranch_execz .LBB239_1615
; %bb.1608:                             ;   in Loop: Header=BB239_1062 Depth=1
	v_bfrev_b32_e32 v4, 1
	v_mov_b32_e32 v5, 0
	v_cmp_ne_u16_sdwa s4, v38, v98 src0_sel:BYTE_0 src1_sel:DWORD
	s_and_saveexec_b32 s15, s4
	s_cbranch_execz .LBB239_1614
; %bb.1609:                             ;   in Loop: Header=BB239_1062 Depth=1
	v_mov_b32_e32 v4, 0x7f800001
	v_and_b32_e32 v10, 0x7f, v38
	v_mov_b32_e32 v5, 0
	s_mov_b32 s16, exec_lo
	v_cmpx_ne_u32_e32 0x7f, v10
	s_cbranch_execz .LBB239_1613
; %bb.1610:                             ;   in Loop: Header=BB239_1062 Depth=1
	v_and_b32_e32 v8, 7, v38
	v_lshrrev_b32_e32 v4, 3, v10
	s_mov_b32 s17, exec_lo
	v_cmpx_gt_u32_e32 8, v10
; %bb.1611:                             ;   in Loop: Header=BB239_1062 Depth=1
	v_ffbh_u32_e32 v4, v8
	v_min_u32_e32 v4, 32, v4
	v_subrev_nc_u32_e32 v5, 28, v4
	v_sub_nc_u32_e32 v4, 29, v4
	v_lshlrev_b64 v[23:24], v5, v[8:9]
	v_and_b32_e32 v8, 7, v23
; %bb.1612:                             ;   in Loop: Header=BB239_1062 Depth=1
	s_or_b32 exec_lo, exec_lo, s17
	v_lshlrev_b32_e32 v5, 24, v38
	v_lshlrev_b32_e32 v8, 20, v8
	v_lshl_add_u32 v4, v4, 23, 0x3c000000
	v_and_b32_e32 v5, 0x80000000, v5
	v_or3_b32 v8, v8, v5, v4
	v_mov_b32_e32 v4, v8
	v_mov_b32_e32 v5, v9
.LBB239_1613:                           ;   in Loop: Header=BB239_1062 Depth=1
	s_or_b32 exec_lo, exec_lo, s16
.LBB239_1614:                           ;   in Loop: Header=BB239_1062 Depth=1
	s_or_b32 exec_lo, exec_lo, s15
.LBB239_1615:                           ;   in Loop: Header=BB239_1062 Depth=1
	s_or_b32 exec_lo, exec_lo, s13
	v_cmp_ne_u16_sdwa s4, v38, v9 src0_sel:BYTE_1 src1_sel:DWORD
	s_and_saveexec_b32 s13, s4
	s_cbranch_execz .LBB239_1623
; %bb.1616:                             ;   in Loop: Header=BB239_1062 Depth=1
	v_mov_b32_e32 v10, v9
	v_mov_b32_e32 v22, v11
	v_cmp_ne_u16_sdwa s4, v38, v98 src0_sel:BYTE_1 src1_sel:DWORD
	v_mov_b32_e32 v21, v10
	s_and_saveexec_b32 s15, s4
	s_cbranch_execz .LBB239_1622
; %bb.1617:                             ;   in Loop: Header=BB239_1062 Depth=1
	v_mov_b32_e32 v8, 0xffff
	v_mov_b32_e32 v12, v9
	;; [unrolled: 1-line block ×3, first 2 shown]
	s_mov_b32 s16, exec_lo
	v_and_b32_sdwa v8, v8, v38 dst_sel:DWORD dst_unused:UNUSED_PAD src0_sel:DWORD src1_sel:BYTE_1
	v_mov_b32_e32 v21, v12
	v_and_b32_e32 v23, 0x7f, v8
	v_cmpx_ne_u32_e32 0x7f, v23
	s_cbranch_execz .LBB239_1621
; %bb.1618:                             ;   in Loop: Header=BB239_1062 Depth=1
	v_and_b32_e32 v8, 7, v8
	v_lshrrev_b32_e32 v10, 3, v23
	s_mov_b32 s17, exec_lo
	v_cmpx_gt_u32_e32 8, v23
; %bb.1619:                             ;   in Loop: Header=BB239_1062 Depth=1
	v_ffbh_u32_e32 v10, v8
	v_min_u32_e32 v10, 32, v10
	v_subrev_nc_u32_e32 v12, 28, v10
	v_sub_nc_u32_e32 v10, 29, v10
	v_lshlrev_b64 v[21:22], v12, v[8:9]
	v_and_b32_e32 v8, 7, v21
; %bb.1620:                             ;   in Loop: Header=BB239_1062 Depth=1
	s_or_b32 exec_lo, exec_lo, s17
	v_lshlrev_b32_e32 v12, 16, v38
	v_lshlrev_b32_e32 v8, 20, v8
	v_lshl_add_u32 v10, v10, 23, 0x3c000000
	v_mov_b32_e32 v21, v9
	v_and_b32_e32 v12, 0x80000000, v12
	v_or3_b32 v22, v8, v12, v10
.LBB239_1621:                           ;   in Loop: Header=BB239_1062 Depth=1
	s_or_b32 exec_lo, exec_lo, s16
.LBB239_1622:                           ;   in Loop: Header=BB239_1062 Depth=1
	s_or_b32 exec_lo, exec_lo, s15
.LBB239_1623:                           ;   in Loop: Header=BB239_1062 Depth=1
	s_or_b32 exec_lo, exec_lo, s13
	v_mov_b32_e32 v23, 0
	v_mov_b32_e32 v25, 0
	v_and_b32_sdwa v8, v38, v100 dst_sel:DWORD dst_unused:UNUSED_PAD src0_sel:WORD_1 src1_sel:DWORD
	v_mov_b32_e32 v24, 0
	v_mov_b32_e32 v26, 0
	s_mov_b32 s13, exec_lo
	v_cmpx_ne_u16_e32 0, v8
	s_cbranch_execz .LBB239_1631
; %bb.1624:                             ;   in Loop: Header=BB239_1062 Depth=1
	v_bfrev_b32_e32 v25, 1
	v_mov_b32_e32 v26, 0
	s_mov_b32 s15, exec_lo
	v_cmpx_ne_u16_e32 0x80, v8
	s_cbranch_execz .LBB239_1630
; %bb.1625:                             ;   in Loop: Header=BB239_1062 Depth=1
	v_mov_b32_e32 v25, 0x7f800001
	v_bfe_u32 v12, v38, 16, 7
	v_mov_b32_e32 v26, 0
	s_mov_b32 s16, exec_lo
	v_cmpx_ne_u32_e32 0x7f, v12
	s_cbranch_execz .LBB239_1629
; %bb.1626:                             ;   in Loop: Header=BB239_1062 Depth=1
	v_mov_b32_e32 v8, 7
	v_lshrrev_b32_e32 v10, 3, v12
	s_mov_b32 s17, exec_lo
	v_and_b32_sdwa v8, v38, v8 dst_sel:DWORD dst_unused:UNUSED_PAD src0_sel:WORD_1 src1_sel:DWORD
	v_cmpx_gt_u32_e32 8, v12
; %bb.1627:                             ;   in Loop: Header=BB239_1062 Depth=1
	v_ffbh_u32_e32 v10, v8
	v_min_u32_e32 v10, 32, v10
	v_subrev_nc_u32_e32 v12, 28, v10
	v_sub_nc_u32_e32 v10, 29, v10
	v_lshlrev_b64 v[25:26], v12, v[8:9]
	v_and_b32_e32 v8, 7, v25
; %bb.1628:                             ;   in Loop: Header=BB239_1062 Depth=1
	s_or_b32 exec_lo, exec_lo, s17
	v_mov_b32_e32 v12, 24
	v_lshlrev_b32_e32 v8, 20, v8
	v_lshl_add_u32 v10, v10, 23, 0x3c000000
	v_lshlrev_b32_sdwa v12, v12, v38 dst_sel:DWORD dst_unused:UNUSED_PAD src0_sel:DWORD src1_sel:WORD_1
	v_and_b32_e32 v12, 0x80000000, v12
	v_or3_b32 v8, v8, v12, v10
	v_mov_b32_e32 v26, v9
	v_mov_b32_e32 v25, v8
.LBB239_1629:                           ;   in Loop: Header=BB239_1062 Depth=1
	s_or_b32 exec_lo, exec_lo, s16
.LBB239_1630:                           ;   in Loop: Header=BB239_1062 Depth=1
	s_or_b32 exec_lo, exec_lo, s15
.LBB239_1631:                           ;   in Loop: Header=BB239_1062 Depth=1
	s_or_b32 exec_lo, exec_lo, s13
	s_mov_b32 s13, exec_lo
	v_cmpx_lt_u32_e32 0xffffff, v38
	s_cbranch_execz .LBB239_1639
; %bb.1632:                             ;   in Loop: Header=BB239_1062 Depth=1
	v_mov_b32_e32 v10, v9
	v_mov_b32_e32 v24, v11
	v_cmp_ne_u32_sdwa s4, v38, v98 src0_sel:BYTE_3 src1_sel:DWORD
	v_mov_b32_e32 v23, v10
	s_and_saveexec_b32 s15, s4
	s_cbranch_execz .LBB239_1638
; %bb.1633:                             ;   in Loop: Header=BB239_1062 Depth=1
	v_mov_b32_e32 v12, v9
	v_mov_b32_e32 v24, v13
	v_bfe_u32 v39, v38, 24, 7
	s_mov_b32 s16, exec_lo
	v_mov_b32_e32 v23, v12
	v_cmpx_ne_u32_e32 0x7f, v39
	s_cbranch_execz .LBB239_1637
; %bb.1634:                             ;   in Loop: Header=BB239_1062 Depth=1
	v_mov_b32_e32 v8, 7
	v_lshrrev_b32_e32 v10, 3, v39
	s_mov_b32 s17, exec_lo
	v_and_b32_sdwa v8, v38, v8 dst_sel:DWORD dst_unused:UNUSED_PAD src0_sel:BYTE_3 src1_sel:DWORD
	v_cmpx_gt_u32_e32 8, v39
; %bb.1635:                             ;   in Loop: Header=BB239_1062 Depth=1
	v_ffbh_u32_e32 v10, v8
	v_min_u32_e32 v10, 32, v10
	v_subrev_nc_u32_e32 v12, 28, v10
	v_sub_nc_u32_e32 v10, 29, v10
	v_lshlrev_b64 v[23:24], v12, v[8:9]
	v_and_b32_e32 v8, 7, v23
; %bb.1636:                             ;   in Loop: Header=BB239_1062 Depth=1
	s_or_b32 exec_lo, exec_lo, s17
	v_mov_b32_e32 v12, 24
	v_lshlrev_b32_e32 v8, 20, v8
	v_lshl_add_u32 v10, v10, 23, 0x3c000000
	v_mov_b32_e32 v23, v9
	v_lshlrev_b32_sdwa v12, v12, v38 dst_sel:DWORD dst_unused:UNUSED_PAD src0_sel:DWORD src1_sel:BYTE_3
	v_and_b32_e32 v12, 0x80000000, v12
	v_or3_b32 v24, v8, v12, v10
.LBB239_1637:                           ;   in Loop: Header=BB239_1062 Depth=1
	s_or_b32 exec_lo, exec_lo, s16
.LBB239_1638:                           ;   in Loop: Header=BB239_1062 Depth=1
	s_or_b32 exec_lo, exec_lo, s15
.LBB239_1639:                           ;   in Loop: Header=BB239_1062 Depth=1
	s_or_b32 exec_lo, exec_lo, s13
	v_or_b32_e32 v5, v22, v5
	v_or_b32_e32 v4, v21, v4
	;; [unrolled: 1-line block ×4, first 2 shown]
	v_mul_f32_e32 v49, v40, v5
	v_mul_f32_e32 v48, v40, v4
	;; [unrolled: 1-line block ×4, first 2 shown]
	s_and_saveexec_b32 s13, vcc_lo
	s_cbranch_execz .LBB239_1641
; %bb.1640:                             ;   in Loop: Header=BB239_1062 Depth=1
	buffer_load_dword v4, off, s[0:3], s32 offset:208 ; 4-byte Folded Reload
	s_waitcnt vmcnt(0)
	v_cmp_lt_i32_e64 s4, v85, v4
	v_cndmask_b32_e64 v48, 0, v48, s4
	v_cmp_lt_i32_e64 s4, v43, v4
	v_cndmask_b32_e64 v49, 0, v49, s4
	v_cmp_lt_i32_e64 s4, v42, v4
	v_cndmask_b32_e64 v39, 0, v39, s4
	v_cmp_lt_i32_e64 s4, v41, v4
	v_cndmask_b32_e64 v38, 0, v38, s4
.LBB239_1641:                           ;   in Loop: Header=BB239_1062 Depth=1
	s_or_b32 exec_lo, exec_lo, s13
	flat_load_dword v50, v[19:20] offset:128
	v_mov_b32_e32 v21, 0
	v_mov_b32_e32 v4, 0
	;; [unrolled: 1-line block ×4, first 2 shown]
	s_waitcnt vmcnt(0) lgkmcnt(0)
	v_cmp_ne_u16_sdwa s4, v50, v9 src0_sel:BYTE_0 src1_sel:DWORD
	s_and_saveexec_b32 s13, s4
	s_cbranch_execz .LBB239_1649
; %bb.1642:                             ;   in Loop: Header=BB239_1062 Depth=1
	v_bfrev_b32_e32 v4, 1
	v_mov_b32_e32 v5, 0
	v_cmp_ne_u16_sdwa s4, v50, v98 src0_sel:BYTE_0 src1_sel:DWORD
	s_and_saveexec_b32 s15, s4
	s_cbranch_execz .LBB239_1648
; %bb.1643:                             ;   in Loop: Header=BB239_1062 Depth=1
	v_mov_b32_e32 v4, 0x7f800001
	v_and_b32_e32 v10, 0x7f, v50
	v_mov_b32_e32 v5, 0
	s_mov_b32 s16, exec_lo
	v_cmpx_ne_u32_e32 0x7f, v10
	s_cbranch_execz .LBB239_1647
; %bb.1644:                             ;   in Loop: Header=BB239_1062 Depth=1
	v_and_b32_e32 v8, 7, v50
	v_lshrrev_b32_e32 v4, 3, v10
	s_mov_b32 s17, exec_lo
	v_cmpx_gt_u32_e32 8, v10
; %bb.1645:                             ;   in Loop: Header=BB239_1062 Depth=1
	v_ffbh_u32_e32 v4, v8
	v_min_u32_e32 v4, 32, v4
	v_subrev_nc_u32_e32 v5, 28, v4
	v_sub_nc_u32_e32 v4, 29, v4
	v_lshlrev_b64 v[23:24], v5, v[8:9]
	v_and_b32_e32 v8, 7, v23
; %bb.1646:                             ;   in Loop: Header=BB239_1062 Depth=1
	s_or_b32 exec_lo, exec_lo, s17
	v_lshlrev_b32_e32 v5, 24, v50
	v_lshlrev_b32_e32 v8, 20, v8
	v_lshl_add_u32 v4, v4, 23, 0x3c000000
	v_and_b32_e32 v5, 0x80000000, v5
	v_or3_b32 v8, v8, v5, v4
	v_mov_b32_e32 v4, v8
	v_mov_b32_e32 v5, v9
.LBB239_1647:                           ;   in Loop: Header=BB239_1062 Depth=1
	s_or_b32 exec_lo, exec_lo, s16
.LBB239_1648:                           ;   in Loop: Header=BB239_1062 Depth=1
	s_or_b32 exec_lo, exec_lo, s15
.LBB239_1649:                           ;   in Loop: Header=BB239_1062 Depth=1
	s_or_b32 exec_lo, exec_lo, s13
	v_cmp_ne_u16_sdwa s4, v50, v9 src0_sel:BYTE_1 src1_sel:DWORD
	s_and_saveexec_b32 s13, s4
	s_cbranch_execz .LBB239_1657
; %bb.1650:                             ;   in Loop: Header=BB239_1062 Depth=1
	v_mov_b32_e32 v10, v9
	v_mov_b32_e32 v22, v11
	v_cmp_ne_u16_sdwa s4, v50, v98 src0_sel:BYTE_1 src1_sel:DWORD
	v_mov_b32_e32 v21, v10
	s_and_saveexec_b32 s15, s4
	s_cbranch_execz .LBB239_1656
; %bb.1651:                             ;   in Loop: Header=BB239_1062 Depth=1
	v_mov_b32_e32 v8, 0xffff
	v_mov_b32_e32 v12, v9
	;; [unrolled: 1-line block ×3, first 2 shown]
	s_mov_b32 s16, exec_lo
	v_and_b32_sdwa v8, v8, v50 dst_sel:DWORD dst_unused:UNUSED_PAD src0_sel:DWORD src1_sel:BYTE_1
	v_mov_b32_e32 v21, v12
	v_and_b32_e32 v23, 0x7f, v8
	v_cmpx_ne_u32_e32 0x7f, v23
	s_cbranch_execz .LBB239_1655
; %bb.1652:                             ;   in Loop: Header=BB239_1062 Depth=1
	v_and_b32_e32 v8, 7, v8
	v_lshrrev_b32_e32 v10, 3, v23
	s_mov_b32 s17, exec_lo
	v_cmpx_gt_u32_e32 8, v23
; %bb.1653:                             ;   in Loop: Header=BB239_1062 Depth=1
	v_ffbh_u32_e32 v10, v8
	v_min_u32_e32 v10, 32, v10
	v_subrev_nc_u32_e32 v12, 28, v10
	v_sub_nc_u32_e32 v10, 29, v10
	v_lshlrev_b64 v[21:22], v12, v[8:9]
	v_and_b32_e32 v8, 7, v21
; %bb.1654:                             ;   in Loop: Header=BB239_1062 Depth=1
	s_or_b32 exec_lo, exec_lo, s17
	v_lshlrev_b32_e32 v12, 16, v50
	v_lshlrev_b32_e32 v8, 20, v8
	v_lshl_add_u32 v10, v10, 23, 0x3c000000
	v_mov_b32_e32 v21, v9
	v_and_b32_e32 v12, 0x80000000, v12
	v_or3_b32 v22, v8, v12, v10
.LBB239_1655:                           ;   in Loop: Header=BB239_1062 Depth=1
	s_or_b32 exec_lo, exec_lo, s16
.LBB239_1656:                           ;   in Loop: Header=BB239_1062 Depth=1
	s_or_b32 exec_lo, exec_lo, s15
.LBB239_1657:                           ;   in Loop: Header=BB239_1062 Depth=1
	s_or_b32 exec_lo, exec_lo, s13
	v_mov_b32_e32 v23, 0
	v_mov_b32_e32 v25, 0
	v_and_b32_sdwa v8, v50, v100 dst_sel:DWORD dst_unused:UNUSED_PAD src0_sel:WORD_1 src1_sel:DWORD
	v_mov_b32_e32 v24, 0
	v_mov_b32_e32 v26, 0
	s_mov_b32 s13, exec_lo
	v_cmpx_ne_u16_e32 0, v8
	s_cbranch_execz .LBB239_1665
; %bb.1658:                             ;   in Loop: Header=BB239_1062 Depth=1
	v_bfrev_b32_e32 v25, 1
	v_mov_b32_e32 v26, 0
	s_mov_b32 s15, exec_lo
	v_cmpx_ne_u16_e32 0x80, v8
	s_cbranch_execz .LBB239_1664
; %bb.1659:                             ;   in Loop: Header=BB239_1062 Depth=1
	v_mov_b32_e32 v25, 0x7f800001
	v_bfe_u32 v12, v50, 16, 7
	v_mov_b32_e32 v26, 0
	s_mov_b32 s16, exec_lo
	v_cmpx_ne_u32_e32 0x7f, v12
	s_cbranch_execz .LBB239_1663
; %bb.1660:                             ;   in Loop: Header=BB239_1062 Depth=1
	v_mov_b32_e32 v8, 7
	v_lshrrev_b32_e32 v10, 3, v12
	s_mov_b32 s17, exec_lo
	v_and_b32_sdwa v8, v50, v8 dst_sel:DWORD dst_unused:UNUSED_PAD src0_sel:WORD_1 src1_sel:DWORD
	v_cmpx_gt_u32_e32 8, v12
; %bb.1661:                             ;   in Loop: Header=BB239_1062 Depth=1
	v_ffbh_u32_e32 v10, v8
	v_min_u32_e32 v10, 32, v10
	v_subrev_nc_u32_e32 v12, 28, v10
	v_sub_nc_u32_e32 v10, 29, v10
	v_lshlrev_b64 v[25:26], v12, v[8:9]
	v_and_b32_e32 v8, 7, v25
; %bb.1662:                             ;   in Loop: Header=BB239_1062 Depth=1
	s_or_b32 exec_lo, exec_lo, s17
	v_mov_b32_e32 v12, 24
	v_lshlrev_b32_e32 v8, 20, v8
	v_lshl_add_u32 v10, v10, 23, 0x3c000000
	v_lshlrev_b32_sdwa v12, v12, v50 dst_sel:DWORD dst_unused:UNUSED_PAD src0_sel:DWORD src1_sel:WORD_1
	v_and_b32_e32 v12, 0x80000000, v12
	v_or3_b32 v8, v8, v12, v10
	v_mov_b32_e32 v26, v9
	v_mov_b32_e32 v25, v8
.LBB239_1663:                           ;   in Loop: Header=BB239_1062 Depth=1
	s_or_b32 exec_lo, exec_lo, s16
.LBB239_1664:                           ;   in Loop: Header=BB239_1062 Depth=1
	s_or_b32 exec_lo, exec_lo, s15
.LBB239_1665:                           ;   in Loop: Header=BB239_1062 Depth=1
	s_or_b32 exec_lo, exec_lo, s13
	s_mov_b32 s13, exec_lo
	v_cmpx_lt_u32_e32 0xffffff, v50
	s_cbranch_execz .LBB239_1673
; %bb.1666:                             ;   in Loop: Header=BB239_1062 Depth=1
	v_mov_b32_e32 v10, v9
	v_mov_b32_e32 v24, v11
	v_cmp_ne_u32_sdwa s4, v50, v98 src0_sel:BYTE_3 src1_sel:DWORD
	v_mov_b32_e32 v23, v10
	s_and_saveexec_b32 s15, s4
	s_cbranch_execz .LBB239_1672
; %bb.1667:                             ;   in Loop: Header=BB239_1062 Depth=1
	v_mov_b32_e32 v12, v9
	v_mov_b32_e32 v24, v13
	v_bfe_u32 v51, v50, 24, 7
	s_mov_b32 s16, exec_lo
	v_mov_b32_e32 v23, v12
	v_cmpx_ne_u32_e32 0x7f, v51
	s_cbranch_execz .LBB239_1671
; %bb.1668:                             ;   in Loop: Header=BB239_1062 Depth=1
	v_mov_b32_e32 v8, 7
	v_lshrrev_b32_e32 v10, 3, v51
	s_mov_b32 s17, exec_lo
	v_and_b32_sdwa v8, v50, v8 dst_sel:DWORD dst_unused:UNUSED_PAD src0_sel:BYTE_3 src1_sel:DWORD
	v_cmpx_gt_u32_e32 8, v51
; %bb.1669:                             ;   in Loop: Header=BB239_1062 Depth=1
	v_ffbh_u32_e32 v10, v8
	v_min_u32_e32 v10, 32, v10
	v_subrev_nc_u32_e32 v12, 28, v10
	v_sub_nc_u32_e32 v10, 29, v10
	v_lshlrev_b64 v[23:24], v12, v[8:9]
	v_and_b32_e32 v8, 7, v23
; %bb.1670:                             ;   in Loop: Header=BB239_1062 Depth=1
	s_or_b32 exec_lo, exec_lo, s17
	v_mov_b32_e32 v12, 24
	v_lshlrev_b32_e32 v8, 20, v8
	v_lshl_add_u32 v10, v10, 23, 0x3c000000
	v_mov_b32_e32 v23, v9
	v_lshlrev_b32_sdwa v12, v12, v50 dst_sel:DWORD dst_unused:UNUSED_PAD src0_sel:DWORD src1_sel:BYTE_3
	v_and_b32_e32 v12, 0x80000000, v12
	v_or3_b32 v24, v8, v12, v10
.LBB239_1671:                           ;   in Loop: Header=BB239_1062 Depth=1
	s_or_b32 exec_lo, exec_lo, s16
.LBB239_1672:                           ;   in Loop: Header=BB239_1062 Depth=1
	s_or_b32 exec_lo, exec_lo, s15
.LBB239_1673:                           ;   in Loop: Header=BB239_1062 Depth=1
	s_or_b32 exec_lo, exec_lo, s13
	v_or_b32_e32 v5, v22, v5
	v_or_b32_e32 v4, v21, v4
	;; [unrolled: 1-line block ×4, first 2 shown]
	v_mul_f32_e32 v53, v40, v5
	v_mul_f32_e32 v52, v40, v4
	;; [unrolled: 1-line block ×4, first 2 shown]
	s_and_saveexec_b32 s13, vcc_lo
	s_cbranch_execz .LBB239_1675
; %bb.1674:                             ;   in Loop: Header=BB239_1062 Depth=1
	buffer_load_dword v4, off, s[0:3], s32 offset:208 ; 4-byte Folded Reload
	s_waitcnt vmcnt(0)
	v_cmp_lt_i32_e64 s4, v85, v4
	v_cndmask_b32_e64 v52, 0, v52, s4
	v_cmp_lt_i32_e64 s4, v43, v4
	v_cndmask_b32_e64 v53, 0, v53, s4
	;; [unrolled: 2-line block ×4, first 2 shown]
.LBB239_1675:                           ;   in Loop: Header=BB239_1062 Depth=1
	s_or_b32 exec_lo, exec_lo, s13
	flat_load_dword v54, v[19:20] offset:256
	v_mov_b32_e32 v21, 0
	v_mov_b32_e32 v4, 0
	;; [unrolled: 1-line block ×4, first 2 shown]
	s_waitcnt vmcnt(0) lgkmcnt(0)
	v_cmp_ne_u16_sdwa s4, v54, v9 src0_sel:BYTE_0 src1_sel:DWORD
	s_and_saveexec_b32 s13, s4
	s_cbranch_execz .LBB239_1683
; %bb.1676:                             ;   in Loop: Header=BB239_1062 Depth=1
	v_bfrev_b32_e32 v4, 1
	v_mov_b32_e32 v5, 0
	v_cmp_ne_u16_sdwa s4, v54, v98 src0_sel:BYTE_0 src1_sel:DWORD
	s_and_saveexec_b32 s15, s4
	s_cbranch_execz .LBB239_1682
; %bb.1677:                             ;   in Loop: Header=BB239_1062 Depth=1
	v_mov_b32_e32 v4, 0x7f800001
	v_and_b32_e32 v10, 0x7f, v54
	v_mov_b32_e32 v5, 0
	s_mov_b32 s16, exec_lo
	v_cmpx_ne_u32_e32 0x7f, v10
	s_cbranch_execz .LBB239_1681
; %bb.1678:                             ;   in Loop: Header=BB239_1062 Depth=1
	v_and_b32_e32 v8, 7, v54
	v_lshrrev_b32_e32 v4, 3, v10
	s_mov_b32 s17, exec_lo
	v_cmpx_gt_u32_e32 8, v10
; %bb.1679:                             ;   in Loop: Header=BB239_1062 Depth=1
	v_ffbh_u32_e32 v4, v8
	v_min_u32_e32 v4, 32, v4
	v_subrev_nc_u32_e32 v5, 28, v4
	v_sub_nc_u32_e32 v4, 29, v4
	v_lshlrev_b64 v[23:24], v5, v[8:9]
	v_and_b32_e32 v8, 7, v23
; %bb.1680:                             ;   in Loop: Header=BB239_1062 Depth=1
	s_or_b32 exec_lo, exec_lo, s17
	v_lshlrev_b32_e32 v5, 24, v54
	v_lshlrev_b32_e32 v8, 20, v8
	v_lshl_add_u32 v4, v4, 23, 0x3c000000
	v_and_b32_e32 v5, 0x80000000, v5
	v_or3_b32 v8, v8, v5, v4
	v_mov_b32_e32 v4, v8
	v_mov_b32_e32 v5, v9
.LBB239_1681:                           ;   in Loop: Header=BB239_1062 Depth=1
	s_or_b32 exec_lo, exec_lo, s16
.LBB239_1682:                           ;   in Loop: Header=BB239_1062 Depth=1
	s_or_b32 exec_lo, exec_lo, s15
.LBB239_1683:                           ;   in Loop: Header=BB239_1062 Depth=1
	s_or_b32 exec_lo, exec_lo, s13
	v_cmp_ne_u16_sdwa s4, v54, v9 src0_sel:BYTE_1 src1_sel:DWORD
	s_and_saveexec_b32 s13, s4
	s_cbranch_execz .LBB239_1691
; %bb.1684:                             ;   in Loop: Header=BB239_1062 Depth=1
	v_mov_b32_e32 v10, v9
	v_mov_b32_e32 v22, v11
	v_cmp_ne_u16_sdwa s4, v54, v98 src0_sel:BYTE_1 src1_sel:DWORD
	v_mov_b32_e32 v21, v10
	s_and_saveexec_b32 s15, s4
	s_cbranch_execz .LBB239_1690
; %bb.1685:                             ;   in Loop: Header=BB239_1062 Depth=1
	v_mov_b32_e32 v8, 0xffff
	v_mov_b32_e32 v12, v9
	;; [unrolled: 1-line block ×3, first 2 shown]
	s_mov_b32 s16, exec_lo
	v_and_b32_sdwa v8, v8, v54 dst_sel:DWORD dst_unused:UNUSED_PAD src0_sel:DWORD src1_sel:BYTE_1
	v_mov_b32_e32 v21, v12
	v_and_b32_e32 v23, 0x7f, v8
	v_cmpx_ne_u32_e32 0x7f, v23
	s_cbranch_execz .LBB239_1689
; %bb.1686:                             ;   in Loop: Header=BB239_1062 Depth=1
	v_and_b32_e32 v8, 7, v8
	v_lshrrev_b32_e32 v10, 3, v23
	s_mov_b32 s17, exec_lo
	v_cmpx_gt_u32_e32 8, v23
; %bb.1687:                             ;   in Loop: Header=BB239_1062 Depth=1
	v_ffbh_u32_e32 v10, v8
	v_min_u32_e32 v10, 32, v10
	v_subrev_nc_u32_e32 v12, 28, v10
	v_sub_nc_u32_e32 v10, 29, v10
	v_lshlrev_b64 v[21:22], v12, v[8:9]
	v_and_b32_e32 v8, 7, v21
; %bb.1688:                             ;   in Loop: Header=BB239_1062 Depth=1
	s_or_b32 exec_lo, exec_lo, s17
	v_lshlrev_b32_e32 v12, 16, v54
	v_lshlrev_b32_e32 v8, 20, v8
	v_lshl_add_u32 v10, v10, 23, 0x3c000000
	v_mov_b32_e32 v21, v9
	v_and_b32_e32 v12, 0x80000000, v12
	v_or3_b32 v22, v8, v12, v10
.LBB239_1689:                           ;   in Loop: Header=BB239_1062 Depth=1
	s_or_b32 exec_lo, exec_lo, s16
.LBB239_1690:                           ;   in Loop: Header=BB239_1062 Depth=1
	s_or_b32 exec_lo, exec_lo, s15
.LBB239_1691:                           ;   in Loop: Header=BB239_1062 Depth=1
	s_or_b32 exec_lo, exec_lo, s13
	v_mov_b32_e32 v23, 0
	v_mov_b32_e32 v25, 0
	v_and_b32_sdwa v8, v54, v100 dst_sel:DWORD dst_unused:UNUSED_PAD src0_sel:WORD_1 src1_sel:DWORD
	v_mov_b32_e32 v24, 0
	v_mov_b32_e32 v26, 0
	s_mov_b32 s13, exec_lo
	v_cmpx_ne_u16_e32 0, v8
	s_cbranch_execz .LBB239_1699
; %bb.1692:                             ;   in Loop: Header=BB239_1062 Depth=1
	v_bfrev_b32_e32 v25, 1
	v_mov_b32_e32 v26, 0
	s_mov_b32 s15, exec_lo
	v_cmpx_ne_u16_e32 0x80, v8
	s_cbranch_execz .LBB239_1698
; %bb.1693:                             ;   in Loop: Header=BB239_1062 Depth=1
	v_mov_b32_e32 v25, 0x7f800001
	v_bfe_u32 v12, v54, 16, 7
	v_mov_b32_e32 v26, 0
	s_mov_b32 s16, exec_lo
	v_cmpx_ne_u32_e32 0x7f, v12
	s_cbranch_execz .LBB239_1697
; %bb.1694:                             ;   in Loop: Header=BB239_1062 Depth=1
	v_mov_b32_e32 v8, 7
	v_lshrrev_b32_e32 v10, 3, v12
	s_mov_b32 s17, exec_lo
	v_and_b32_sdwa v8, v54, v8 dst_sel:DWORD dst_unused:UNUSED_PAD src0_sel:WORD_1 src1_sel:DWORD
	v_cmpx_gt_u32_e32 8, v12
; %bb.1695:                             ;   in Loop: Header=BB239_1062 Depth=1
	v_ffbh_u32_e32 v10, v8
	v_min_u32_e32 v10, 32, v10
	v_subrev_nc_u32_e32 v12, 28, v10
	v_sub_nc_u32_e32 v10, 29, v10
	v_lshlrev_b64 v[25:26], v12, v[8:9]
	v_and_b32_e32 v8, 7, v25
; %bb.1696:                             ;   in Loop: Header=BB239_1062 Depth=1
	s_or_b32 exec_lo, exec_lo, s17
	v_mov_b32_e32 v12, 24
	v_lshlrev_b32_e32 v8, 20, v8
	v_lshl_add_u32 v10, v10, 23, 0x3c000000
	v_lshlrev_b32_sdwa v12, v12, v54 dst_sel:DWORD dst_unused:UNUSED_PAD src0_sel:DWORD src1_sel:WORD_1
	v_and_b32_e32 v12, 0x80000000, v12
	v_or3_b32 v8, v8, v12, v10
	v_mov_b32_e32 v26, v9
	v_mov_b32_e32 v25, v8
.LBB239_1697:                           ;   in Loop: Header=BB239_1062 Depth=1
	s_or_b32 exec_lo, exec_lo, s16
.LBB239_1698:                           ;   in Loop: Header=BB239_1062 Depth=1
	s_or_b32 exec_lo, exec_lo, s15
.LBB239_1699:                           ;   in Loop: Header=BB239_1062 Depth=1
	s_or_b32 exec_lo, exec_lo, s13
	s_mov_b32 s13, exec_lo
	v_cmpx_lt_u32_e32 0xffffff, v54
	s_cbranch_execz .LBB239_1707
; %bb.1700:                             ;   in Loop: Header=BB239_1062 Depth=1
	v_mov_b32_e32 v10, v9
	v_mov_b32_e32 v24, v11
	v_cmp_ne_u32_sdwa s4, v54, v98 src0_sel:BYTE_3 src1_sel:DWORD
	v_mov_b32_e32 v23, v10
	s_and_saveexec_b32 s15, s4
	s_cbranch_execz .LBB239_1706
; %bb.1701:                             ;   in Loop: Header=BB239_1062 Depth=1
	v_mov_b32_e32 v12, v9
	v_mov_b32_e32 v24, v13
	v_bfe_u32 v55, v54, 24, 7
	s_mov_b32 s16, exec_lo
	v_mov_b32_e32 v23, v12
	v_cmpx_ne_u32_e32 0x7f, v55
	s_cbranch_execz .LBB239_1705
; %bb.1702:                             ;   in Loop: Header=BB239_1062 Depth=1
	v_mov_b32_e32 v8, 7
	v_lshrrev_b32_e32 v10, 3, v55
	s_mov_b32 s17, exec_lo
	v_and_b32_sdwa v8, v54, v8 dst_sel:DWORD dst_unused:UNUSED_PAD src0_sel:BYTE_3 src1_sel:DWORD
	v_cmpx_gt_u32_e32 8, v55
; %bb.1703:                             ;   in Loop: Header=BB239_1062 Depth=1
	v_ffbh_u32_e32 v10, v8
	v_min_u32_e32 v10, 32, v10
	v_subrev_nc_u32_e32 v12, 28, v10
	v_sub_nc_u32_e32 v10, 29, v10
	v_lshlrev_b64 v[23:24], v12, v[8:9]
	v_and_b32_e32 v8, 7, v23
; %bb.1704:                             ;   in Loop: Header=BB239_1062 Depth=1
	s_or_b32 exec_lo, exec_lo, s17
	v_mov_b32_e32 v12, 24
	v_lshlrev_b32_e32 v8, 20, v8
	v_lshl_add_u32 v10, v10, 23, 0x3c000000
	v_mov_b32_e32 v23, v9
	v_lshlrev_b32_sdwa v12, v12, v54 dst_sel:DWORD dst_unused:UNUSED_PAD src0_sel:DWORD src1_sel:BYTE_3
	v_and_b32_e32 v12, 0x80000000, v12
	v_or3_b32 v24, v8, v12, v10
.LBB239_1705:                           ;   in Loop: Header=BB239_1062 Depth=1
	s_or_b32 exec_lo, exec_lo, s16
.LBB239_1706:                           ;   in Loop: Header=BB239_1062 Depth=1
	s_or_b32 exec_lo, exec_lo, s15
.LBB239_1707:                           ;   in Loop: Header=BB239_1062 Depth=1
	s_or_b32 exec_lo, exec_lo, s13
	v_or_b32_e32 v5, v22, v5
	v_or_b32_e32 v4, v21, v4
	;; [unrolled: 1-line block ×4, first 2 shown]
	v_mul_f32_e32 v65, v40, v5
	v_mul_f32_e32 v64, v40, v4
	v_mul_f32_e32 v55, v40, v8
	v_mul_f32_e32 v54, v40, v10
	s_and_saveexec_b32 s13, vcc_lo
	s_cbranch_execz .LBB239_1709
; %bb.1708:                             ;   in Loop: Header=BB239_1062 Depth=1
	buffer_load_dword v4, off, s[0:3], s32 offset:208 ; 4-byte Folded Reload
	s_waitcnt vmcnt(0)
	v_cmp_lt_i32_e64 s4, v85, v4
	v_cndmask_b32_e64 v64, 0, v64, s4
	v_cmp_lt_i32_e64 s4, v43, v4
	v_cndmask_b32_e64 v65, 0, v65, s4
	;; [unrolled: 2-line block ×4, first 2 shown]
.LBB239_1709:                           ;   in Loop: Header=BB239_1062 Depth=1
	s_or_b32 exec_lo, exec_lo, s13
	flat_load_dword v66, v[19:20] offset:384
	v_mov_b32_e32 v21, 0
	v_mov_b32_e32 v4, 0
	;; [unrolled: 1-line block ×4, first 2 shown]
	s_waitcnt vmcnt(0) lgkmcnt(0)
	v_cmp_ne_u16_sdwa s4, v66, v9 src0_sel:BYTE_0 src1_sel:DWORD
	s_and_saveexec_b32 s13, s4
	s_cbranch_execz .LBB239_1717
; %bb.1710:                             ;   in Loop: Header=BB239_1062 Depth=1
	v_bfrev_b32_e32 v4, 1
	v_mov_b32_e32 v5, 0
	v_cmp_ne_u16_sdwa s4, v66, v98 src0_sel:BYTE_0 src1_sel:DWORD
	s_and_saveexec_b32 s15, s4
	s_cbranch_execz .LBB239_1716
; %bb.1711:                             ;   in Loop: Header=BB239_1062 Depth=1
	v_mov_b32_e32 v4, 0x7f800001
	v_and_b32_e32 v10, 0x7f, v66
	v_mov_b32_e32 v5, 0
	s_mov_b32 s16, exec_lo
	v_cmpx_ne_u32_e32 0x7f, v10
	s_cbranch_execz .LBB239_1715
; %bb.1712:                             ;   in Loop: Header=BB239_1062 Depth=1
	v_and_b32_e32 v8, 7, v66
	v_lshrrev_b32_e32 v4, 3, v10
	s_mov_b32 s17, exec_lo
	v_cmpx_gt_u32_e32 8, v10
; %bb.1713:                             ;   in Loop: Header=BB239_1062 Depth=1
	v_ffbh_u32_e32 v4, v8
	v_min_u32_e32 v4, 32, v4
	v_subrev_nc_u32_e32 v5, 28, v4
	v_sub_nc_u32_e32 v4, 29, v4
	v_lshlrev_b64 v[23:24], v5, v[8:9]
	v_and_b32_e32 v8, 7, v23
; %bb.1714:                             ;   in Loop: Header=BB239_1062 Depth=1
	s_or_b32 exec_lo, exec_lo, s17
	v_lshlrev_b32_e32 v5, 24, v66
	v_lshlrev_b32_e32 v8, 20, v8
	v_lshl_add_u32 v4, v4, 23, 0x3c000000
	v_and_b32_e32 v5, 0x80000000, v5
	v_or3_b32 v8, v8, v5, v4
	v_mov_b32_e32 v4, v8
	v_mov_b32_e32 v5, v9
.LBB239_1715:                           ;   in Loop: Header=BB239_1062 Depth=1
	s_or_b32 exec_lo, exec_lo, s16
.LBB239_1716:                           ;   in Loop: Header=BB239_1062 Depth=1
	s_or_b32 exec_lo, exec_lo, s15
.LBB239_1717:                           ;   in Loop: Header=BB239_1062 Depth=1
	s_or_b32 exec_lo, exec_lo, s13
	v_cmp_ne_u16_sdwa s4, v66, v9 src0_sel:BYTE_1 src1_sel:DWORD
	s_and_saveexec_b32 s13, s4
	s_cbranch_execz .LBB239_1725
; %bb.1718:                             ;   in Loop: Header=BB239_1062 Depth=1
	v_mov_b32_e32 v10, v9
	v_mov_b32_e32 v22, v11
	v_cmp_ne_u16_sdwa s4, v66, v98 src0_sel:BYTE_1 src1_sel:DWORD
	v_mov_b32_e32 v21, v10
	s_and_saveexec_b32 s15, s4
	s_cbranch_execz .LBB239_1724
; %bb.1719:                             ;   in Loop: Header=BB239_1062 Depth=1
	v_mov_b32_e32 v8, 0xffff
	v_mov_b32_e32 v12, v9
	v_mov_b32_e32 v22, v13
	s_mov_b32 s16, exec_lo
	v_and_b32_sdwa v8, v8, v66 dst_sel:DWORD dst_unused:UNUSED_PAD src0_sel:DWORD src1_sel:BYTE_1
	v_mov_b32_e32 v21, v12
	v_and_b32_e32 v23, 0x7f, v8
	v_cmpx_ne_u32_e32 0x7f, v23
	s_cbranch_execz .LBB239_1723
; %bb.1720:                             ;   in Loop: Header=BB239_1062 Depth=1
	v_and_b32_e32 v8, 7, v8
	v_lshrrev_b32_e32 v10, 3, v23
	s_mov_b32 s17, exec_lo
	v_cmpx_gt_u32_e32 8, v23
; %bb.1721:                             ;   in Loop: Header=BB239_1062 Depth=1
	v_ffbh_u32_e32 v10, v8
	v_min_u32_e32 v10, 32, v10
	v_subrev_nc_u32_e32 v12, 28, v10
	v_sub_nc_u32_e32 v10, 29, v10
	v_lshlrev_b64 v[21:22], v12, v[8:9]
	v_and_b32_e32 v8, 7, v21
; %bb.1722:                             ;   in Loop: Header=BB239_1062 Depth=1
	s_or_b32 exec_lo, exec_lo, s17
	v_lshlrev_b32_e32 v12, 16, v66
	v_lshlrev_b32_e32 v8, 20, v8
	v_lshl_add_u32 v10, v10, 23, 0x3c000000
	v_mov_b32_e32 v21, v9
	v_and_b32_e32 v12, 0x80000000, v12
	v_or3_b32 v22, v8, v12, v10
.LBB239_1723:                           ;   in Loop: Header=BB239_1062 Depth=1
	s_or_b32 exec_lo, exec_lo, s16
.LBB239_1724:                           ;   in Loop: Header=BB239_1062 Depth=1
	s_or_b32 exec_lo, exec_lo, s15
.LBB239_1725:                           ;   in Loop: Header=BB239_1062 Depth=1
	s_or_b32 exec_lo, exec_lo, s13
	v_mov_b32_e32 v23, 0
	v_mov_b32_e32 v25, 0
	v_and_b32_sdwa v8, v66, v100 dst_sel:DWORD dst_unused:UNUSED_PAD src0_sel:WORD_1 src1_sel:DWORD
	v_mov_b32_e32 v24, 0
	v_mov_b32_e32 v26, 0
	s_mov_b32 s13, exec_lo
	v_cmpx_ne_u16_e32 0, v8
	s_cbranch_execz .LBB239_1733
; %bb.1726:                             ;   in Loop: Header=BB239_1062 Depth=1
	v_bfrev_b32_e32 v25, 1
	v_mov_b32_e32 v26, 0
	s_mov_b32 s15, exec_lo
	v_cmpx_ne_u16_e32 0x80, v8
	s_cbranch_execz .LBB239_1732
; %bb.1727:                             ;   in Loop: Header=BB239_1062 Depth=1
	v_mov_b32_e32 v25, 0x7f800001
	v_bfe_u32 v12, v66, 16, 7
	v_mov_b32_e32 v26, 0
	s_mov_b32 s16, exec_lo
	v_cmpx_ne_u32_e32 0x7f, v12
	s_cbranch_execz .LBB239_1731
; %bb.1728:                             ;   in Loop: Header=BB239_1062 Depth=1
	v_mov_b32_e32 v8, 7
	v_lshrrev_b32_e32 v10, 3, v12
	s_mov_b32 s17, exec_lo
	v_and_b32_sdwa v8, v66, v8 dst_sel:DWORD dst_unused:UNUSED_PAD src0_sel:WORD_1 src1_sel:DWORD
	v_cmpx_gt_u32_e32 8, v12
; %bb.1729:                             ;   in Loop: Header=BB239_1062 Depth=1
	v_ffbh_u32_e32 v10, v8
	v_min_u32_e32 v10, 32, v10
	v_subrev_nc_u32_e32 v12, 28, v10
	v_sub_nc_u32_e32 v10, 29, v10
	v_lshlrev_b64 v[25:26], v12, v[8:9]
	v_and_b32_e32 v8, 7, v25
; %bb.1730:                             ;   in Loop: Header=BB239_1062 Depth=1
	s_or_b32 exec_lo, exec_lo, s17
	v_mov_b32_e32 v12, 24
	v_lshlrev_b32_e32 v8, 20, v8
	v_lshl_add_u32 v10, v10, 23, 0x3c000000
	v_lshlrev_b32_sdwa v12, v12, v66 dst_sel:DWORD dst_unused:UNUSED_PAD src0_sel:DWORD src1_sel:WORD_1
	v_and_b32_e32 v12, 0x80000000, v12
	v_or3_b32 v8, v8, v12, v10
	v_mov_b32_e32 v26, v9
	v_mov_b32_e32 v25, v8
.LBB239_1731:                           ;   in Loop: Header=BB239_1062 Depth=1
	s_or_b32 exec_lo, exec_lo, s16
.LBB239_1732:                           ;   in Loop: Header=BB239_1062 Depth=1
	s_or_b32 exec_lo, exec_lo, s15
.LBB239_1733:                           ;   in Loop: Header=BB239_1062 Depth=1
	s_or_b32 exec_lo, exec_lo, s13
	s_mov_b32 s13, exec_lo
	v_cmpx_lt_u32_e32 0xffffff, v66
	s_cbranch_execz .LBB239_1741
; %bb.1734:                             ;   in Loop: Header=BB239_1062 Depth=1
	v_mov_b32_e32 v10, v9
	v_mov_b32_e32 v24, v11
	v_cmp_ne_u32_sdwa s4, v66, v98 src0_sel:BYTE_3 src1_sel:DWORD
	v_mov_b32_e32 v23, v10
	s_and_saveexec_b32 s15, s4
	s_cbranch_execz .LBB239_1740
; %bb.1735:                             ;   in Loop: Header=BB239_1062 Depth=1
	v_mov_b32_e32 v12, v9
	v_mov_b32_e32 v24, v13
	v_bfe_u32 v67, v66, 24, 7
	s_mov_b32 s16, exec_lo
	v_mov_b32_e32 v23, v12
	v_cmpx_ne_u32_e32 0x7f, v67
	s_cbranch_execz .LBB239_1739
; %bb.1736:                             ;   in Loop: Header=BB239_1062 Depth=1
	v_mov_b32_e32 v8, 7
	v_lshrrev_b32_e32 v10, 3, v67
	s_mov_b32 s17, exec_lo
	v_and_b32_sdwa v8, v66, v8 dst_sel:DWORD dst_unused:UNUSED_PAD src0_sel:BYTE_3 src1_sel:DWORD
	v_cmpx_gt_u32_e32 8, v67
; %bb.1737:                             ;   in Loop: Header=BB239_1062 Depth=1
	v_ffbh_u32_e32 v10, v8
	v_min_u32_e32 v10, 32, v10
	v_subrev_nc_u32_e32 v12, 28, v10
	v_sub_nc_u32_e32 v10, 29, v10
	v_lshlrev_b64 v[23:24], v12, v[8:9]
	v_and_b32_e32 v8, 7, v23
; %bb.1738:                             ;   in Loop: Header=BB239_1062 Depth=1
	s_or_b32 exec_lo, exec_lo, s17
	v_mov_b32_e32 v12, 24
	v_lshlrev_b32_e32 v8, 20, v8
	v_lshl_add_u32 v10, v10, 23, 0x3c000000
	v_mov_b32_e32 v23, v9
	v_lshlrev_b32_sdwa v12, v12, v66 dst_sel:DWORD dst_unused:UNUSED_PAD src0_sel:DWORD src1_sel:BYTE_3
	v_and_b32_e32 v12, 0x80000000, v12
	v_or3_b32 v24, v8, v12, v10
.LBB239_1739:                           ;   in Loop: Header=BB239_1062 Depth=1
	s_or_b32 exec_lo, exec_lo, s16
.LBB239_1740:                           ;   in Loop: Header=BB239_1062 Depth=1
	s_or_b32 exec_lo, exec_lo, s15
.LBB239_1741:                           ;   in Loop: Header=BB239_1062 Depth=1
	s_or_b32 exec_lo, exec_lo, s13
	v_or_b32_e32 v5, v22, v5
	v_or_b32_e32 v4, v21, v4
	;; [unrolled: 1-line block ×4, first 2 shown]
	v_mul_f32_e32 v69, v40, v5
	v_mul_f32_e32 v68, v40, v4
	;; [unrolled: 1-line block ×4, first 2 shown]
	s_and_saveexec_b32 s13, vcc_lo
	s_cbranch_execz .LBB239_1743
; %bb.1742:                             ;   in Loop: Header=BB239_1062 Depth=1
	buffer_load_dword v4, off, s[0:3], s32 offset:208 ; 4-byte Folded Reload
	s_waitcnt vmcnt(0)
	v_cmp_lt_i32_e64 s4, v85, v4
	v_cndmask_b32_e64 v68, 0, v68, s4
	v_cmp_lt_i32_e64 s4, v43, v4
	v_cndmask_b32_e64 v69, 0, v69, s4
	;; [unrolled: 2-line block ×4, first 2 shown]
.LBB239_1743:                           ;   in Loop: Header=BB239_1062 Depth=1
	s_or_b32 exec_lo, exec_lo, s13
	flat_load_dword v70, v[19:20] offset:512
	v_mov_b32_e32 v21, 0
	v_mov_b32_e32 v4, 0
	;; [unrolled: 1-line block ×4, first 2 shown]
	s_waitcnt vmcnt(0) lgkmcnt(0)
	v_cmp_ne_u16_sdwa s4, v70, v9 src0_sel:BYTE_0 src1_sel:DWORD
	s_and_saveexec_b32 s13, s4
	s_cbranch_execz .LBB239_1751
; %bb.1744:                             ;   in Loop: Header=BB239_1062 Depth=1
	v_bfrev_b32_e32 v4, 1
	v_mov_b32_e32 v5, 0
	v_cmp_ne_u16_sdwa s4, v70, v98 src0_sel:BYTE_0 src1_sel:DWORD
	s_and_saveexec_b32 s15, s4
	s_cbranch_execz .LBB239_1750
; %bb.1745:                             ;   in Loop: Header=BB239_1062 Depth=1
	v_mov_b32_e32 v4, 0x7f800001
	v_and_b32_e32 v10, 0x7f, v70
	v_mov_b32_e32 v5, 0
	s_mov_b32 s16, exec_lo
	v_cmpx_ne_u32_e32 0x7f, v10
	s_cbranch_execz .LBB239_1749
; %bb.1746:                             ;   in Loop: Header=BB239_1062 Depth=1
	v_and_b32_e32 v8, 7, v70
	v_lshrrev_b32_e32 v4, 3, v10
	s_mov_b32 s17, exec_lo
	v_cmpx_gt_u32_e32 8, v10
; %bb.1747:                             ;   in Loop: Header=BB239_1062 Depth=1
	v_ffbh_u32_e32 v4, v8
	v_min_u32_e32 v4, 32, v4
	v_subrev_nc_u32_e32 v5, 28, v4
	v_sub_nc_u32_e32 v4, 29, v4
	v_lshlrev_b64 v[23:24], v5, v[8:9]
	v_and_b32_e32 v8, 7, v23
; %bb.1748:                             ;   in Loop: Header=BB239_1062 Depth=1
	s_or_b32 exec_lo, exec_lo, s17
	v_lshlrev_b32_e32 v5, 24, v70
	v_lshlrev_b32_e32 v8, 20, v8
	v_lshl_add_u32 v4, v4, 23, 0x3c000000
	v_and_b32_e32 v5, 0x80000000, v5
	v_or3_b32 v8, v8, v5, v4
	v_mov_b32_e32 v4, v8
	v_mov_b32_e32 v5, v9
.LBB239_1749:                           ;   in Loop: Header=BB239_1062 Depth=1
	s_or_b32 exec_lo, exec_lo, s16
.LBB239_1750:                           ;   in Loop: Header=BB239_1062 Depth=1
	s_or_b32 exec_lo, exec_lo, s15
.LBB239_1751:                           ;   in Loop: Header=BB239_1062 Depth=1
	s_or_b32 exec_lo, exec_lo, s13
	v_cmp_ne_u16_sdwa s4, v70, v9 src0_sel:BYTE_1 src1_sel:DWORD
	s_and_saveexec_b32 s13, s4
	s_cbranch_execz .LBB239_1759
; %bb.1752:                             ;   in Loop: Header=BB239_1062 Depth=1
	v_mov_b32_e32 v10, v9
	v_mov_b32_e32 v22, v11
	v_cmp_ne_u16_sdwa s4, v70, v98 src0_sel:BYTE_1 src1_sel:DWORD
	v_mov_b32_e32 v21, v10
	s_and_saveexec_b32 s15, s4
	s_cbranch_execz .LBB239_1758
; %bb.1753:                             ;   in Loop: Header=BB239_1062 Depth=1
	v_mov_b32_e32 v8, 0xffff
	v_mov_b32_e32 v12, v9
	v_mov_b32_e32 v22, v13
	s_mov_b32 s16, exec_lo
	v_and_b32_sdwa v8, v8, v70 dst_sel:DWORD dst_unused:UNUSED_PAD src0_sel:DWORD src1_sel:BYTE_1
	v_mov_b32_e32 v21, v12
	v_and_b32_e32 v23, 0x7f, v8
	v_cmpx_ne_u32_e32 0x7f, v23
	s_cbranch_execz .LBB239_1757
; %bb.1754:                             ;   in Loop: Header=BB239_1062 Depth=1
	v_and_b32_e32 v8, 7, v8
	v_lshrrev_b32_e32 v10, 3, v23
	s_mov_b32 s17, exec_lo
	v_cmpx_gt_u32_e32 8, v23
; %bb.1755:                             ;   in Loop: Header=BB239_1062 Depth=1
	v_ffbh_u32_e32 v10, v8
	v_min_u32_e32 v10, 32, v10
	v_subrev_nc_u32_e32 v12, 28, v10
	v_sub_nc_u32_e32 v10, 29, v10
	v_lshlrev_b64 v[21:22], v12, v[8:9]
	v_and_b32_e32 v8, 7, v21
; %bb.1756:                             ;   in Loop: Header=BB239_1062 Depth=1
	s_or_b32 exec_lo, exec_lo, s17
	v_lshlrev_b32_e32 v12, 16, v70
	v_lshlrev_b32_e32 v8, 20, v8
	v_lshl_add_u32 v10, v10, 23, 0x3c000000
	v_mov_b32_e32 v21, v9
	v_and_b32_e32 v12, 0x80000000, v12
	v_or3_b32 v22, v8, v12, v10
.LBB239_1757:                           ;   in Loop: Header=BB239_1062 Depth=1
	s_or_b32 exec_lo, exec_lo, s16
.LBB239_1758:                           ;   in Loop: Header=BB239_1062 Depth=1
	s_or_b32 exec_lo, exec_lo, s15
.LBB239_1759:                           ;   in Loop: Header=BB239_1062 Depth=1
	s_or_b32 exec_lo, exec_lo, s13
	v_mov_b32_e32 v23, 0
	v_mov_b32_e32 v25, 0
	v_and_b32_sdwa v8, v70, v100 dst_sel:DWORD dst_unused:UNUSED_PAD src0_sel:WORD_1 src1_sel:DWORD
	v_mov_b32_e32 v24, 0
	v_mov_b32_e32 v26, 0
	s_mov_b32 s13, exec_lo
	v_cmpx_ne_u16_e32 0, v8
	s_cbranch_execz .LBB239_1767
; %bb.1760:                             ;   in Loop: Header=BB239_1062 Depth=1
	v_bfrev_b32_e32 v25, 1
	v_mov_b32_e32 v26, 0
	s_mov_b32 s15, exec_lo
	v_cmpx_ne_u16_e32 0x80, v8
	s_cbranch_execz .LBB239_1766
; %bb.1761:                             ;   in Loop: Header=BB239_1062 Depth=1
	v_mov_b32_e32 v25, 0x7f800001
	v_bfe_u32 v12, v70, 16, 7
	v_mov_b32_e32 v26, 0
	s_mov_b32 s16, exec_lo
	v_cmpx_ne_u32_e32 0x7f, v12
	s_cbranch_execz .LBB239_1765
; %bb.1762:                             ;   in Loop: Header=BB239_1062 Depth=1
	v_mov_b32_e32 v8, 7
	v_lshrrev_b32_e32 v10, 3, v12
	s_mov_b32 s17, exec_lo
	v_and_b32_sdwa v8, v70, v8 dst_sel:DWORD dst_unused:UNUSED_PAD src0_sel:WORD_1 src1_sel:DWORD
	v_cmpx_gt_u32_e32 8, v12
; %bb.1763:                             ;   in Loop: Header=BB239_1062 Depth=1
	v_ffbh_u32_e32 v10, v8
	v_min_u32_e32 v10, 32, v10
	v_subrev_nc_u32_e32 v12, 28, v10
	v_sub_nc_u32_e32 v10, 29, v10
	v_lshlrev_b64 v[25:26], v12, v[8:9]
	v_and_b32_e32 v8, 7, v25
; %bb.1764:                             ;   in Loop: Header=BB239_1062 Depth=1
	s_or_b32 exec_lo, exec_lo, s17
	v_mov_b32_e32 v12, 24
	v_lshlrev_b32_e32 v8, 20, v8
	v_lshl_add_u32 v10, v10, 23, 0x3c000000
	v_lshlrev_b32_sdwa v12, v12, v70 dst_sel:DWORD dst_unused:UNUSED_PAD src0_sel:DWORD src1_sel:WORD_1
	v_and_b32_e32 v12, 0x80000000, v12
	v_or3_b32 v8, v8, v12, v10
	v_mov_b32_e32 v26, v9
	v_mov_b32_e32 v25, v8
.LBB239_1765:                           ;   in Loop: Header=BB239_1062 Depth=1
	s_or_b32 exec_lo, exec_lo, s16
.LBB239_1766:                           ;   in Loop: Header=BB239_1062 Depth=1
	s_or_b32 exec_lo, exec_lo, s15
.LBB239_1767:                           ;   in Loop: Header=BB239_1062 Depth=1
	s_or_b32 exec_lo, exec_lo, s13
	s_mov_b32 s13, exec_lo
	v_cmpx_lt_u32_e32 0xffffff, v70
	s_cbranch_execz .LBB239_1775
; %bb.1768:                             ;   in Loop: Header=BB239_1062 Depth=1
	v_mov_b32_e32 v10, v9
	v_mov_b32_e32 v24, v11
	v_cmp_ne_u32_sdwa s4, v70, v98 src0_sel:BYTE_3 src1_sel:DWORD
	v_mov_b32_e32 v23, v10
	s_and_saveexec_b32 s15, s4
	s_cbranch_execz .LBB239_1774
; %bb.1769:                             ;   in Loop: Header=BB239_1062 Depth=1
	v_mov_b32_e32 v12, v9
	v_mov_b32_e32 v24, v13
	v_bfe_u32 v71, v70, 24, 7
	s_mov_b32 s16, exec_lo
	v_mov_b32_e32 v23, v12
	v_cmpx_ne_u32_e32 0x7f, v71
	s_cbranch_execz .LBB239_1773
; %bb.1770:                             ;   in Loop: Header=BB239_1062 Depth=1
	v_mov_b32_e32 v8, 7
	v_lshrrev_b32_e32 v10, 3, v71
	s_mov_b32 s17, exec_lo
	v_and_b32_sdwa v8, v70, v8 dst_sel:DWORD dst_unused:UNUSED_PAD src0_sel:BYTE_3 src1_sel:DWORD
	v_cmpx_gt_u32_e32 8, v71
; %bb.1771:                             ;   in Loop: Header=BB239_1062 Depth=1
	v_ffbh_u32_e32 v10, v8
	v_min_u32_e32 v10, 32, v10
	v_subrev_nc_u32_e32 v12, 28, v10
	v_sub_nc_u32_e32 v10, 29, v10
	v_lshlrev_b64 v[23:24], v12, v[8:9]
	v_and_b32_e32 v8, 7, v23
; %bb.1772:                             ;   in Loop: Header=BB239_1062 Depth=1
	s_or_b32 exec_lo, exec_lo, s17
	v_mov_b32_e32 v12, 24
	v_lshlrev_b32_e32 v8, 20, v8
	v_lshl_add_u32 v10, v10, 23, 0x3c000000
	v_mov_b32_e32 v23, v9
	v_lshlrev_b32_sdwa v12, v12, v70 dst_sel:DWORD dst_unused:UNUSED_PAD src0_sel:DWORD src1_sel:BYTE_3
	v_and_b32_e32 v12, 0x80000000, v12
	v_or3_b32 v24, v8, v12, v10
.LBB239_1773:                           ;   in Loop: Header=BB239_1062 Depth=1
	s_or_b32 exec_lo, exec_lo, s16
.LBB239_1774:                           ;   in Loop: Header=BB239_1062 Depth=1
	s_or_b32 exec_lo, exec_lo, s15
.LBB239_1775:                           ;   in Loop: Header=BB239_1062 Depth=1
	s_or_b32 exec_lo, exec_lo, s13
	v_or_b32_e32 v5, v22, v5
	v_or_b32_e32 v4, v21, v4
	;; [unrolled: 1-line block ×4, first 2 shown]
	v_mul_f32_e32 v81, v40, v5
	v_mul_f32_e32 v80, v40, v4
	;; [unrolled: 1-line block ×4, first 2 shown]
	s_and_saveexec_b32 s13, vcc_lo
	s_cbranch_execz .LBB239_1777
; %bb.1776:                             ;   in Loop: Header=BB239_1062 Depth=1
	buffer_load_dword v4, off, s[0:3], s32 offset:208 ; 4-byte Folded Reload
	s_waitcnt vmcnt(0)
	v_cmp_lt_i32_e64 s4, v85, v4
	v_cndmask_b32_e64 v80, 0, v80, s4
	v_cmp_lt_i32_e64 s4, v43, v4
	v_cndmask_b32_e64 v81, 0, v81, s4
	;; [unrolled: 2-line block ×4, first 2 shown]
.LBB239_1777:                           ;   in Loop: Header=BB239_1062 Depth=1
	s_or_b32 exec_lo, exec_lo, s13
	flat_load_dword v82, v[19:20] offset:640
	v_mov_b32_e32 v21, 0
	v_mov_b32_e32 v4, 0
	;; [unrolled: 1-line block ×4, first 2 shown]
	s_waitcnt vmcnt(0) lgkmcnt(0)
	v_cmp_ne_u16_sdwa s4, v82, v9 src0_sel:BYTE_0 src1_sel:DWORD
	s_and_saveexec_b32 s13, s4
	s_cbranch_execz .LBB239_1785
; %bb.1778:                             ;   in Loop: Header=BB239_1062 Depth=1
	v_bfrev_b32_e32 v4, 1
	v_mov_b32_e32 v5, 0
	v_cmp_ne_u16_sdwa s4, v82, v98 src0_sel:BYTE_0 src1_sel:DWORD
	s_and_saveexec_b32 s15, s4
	s_cbranch_execz .LBB239_1784
; %bb.1779:                             ;   in Loop: Header=BB239_1062 Depth=1
	v_mov_b32_e32 v4, 0x7f800001
	v_and_b32_e32 v10, 0x7f, v82
	v_mov_b32_e32 v5, 0
	s_mov_b32 s16, exec_lo
	v_cmpx_ne_u32_e32 0x7f, v10
	s_cbranch_execz .LBB239_1783
; %bb.1780:                             ;   in Loop: Header=BB239_1062 Depth=1
	v_and_b32_e32 v8, 7, v82
	v_lshrrev_b32_e32 v4, 3, v10
	s_mov_b32 s17, exec_lo
	v_cmpx_gt_u32_e32 8, v10
; %bb.1781:                             ;   in Loop: Header=BB239_1062 Depth=1
	v_ffbh_u32_e32 v4, v8
	v_min_u32_e32 v4, 32, v4
	v_subrev_nc_u32_e32 v5, 28, v4
	v_sub_nc_u32_e32 v4, 29, v4
	v_lshlrev_b64 v[23:24], v5, v[8:9]
	v_and_b32_e32 v8, 7, v23
; %bb.1782:                             ;   in Loop: Header=BB239_1062 Depth=1
	s_or_b32 exec_lo, exec_lo, s17
	v_lshlrev_b32_e32 v5, 24, v82
	v_lshlrev_b32_e32 v8, 20, v8
	v_lshl_add_u32 v4, v4, 23, 0x3c000000
	v_and_b32_e32 v5, 0x80000000, v5
	v_or3_b32 v8, v8, v5, v4
	v_mov_b32_e32 v4, v8
	v_mov_b32_e32 v5, v9
.LBB239_1783:                           ;   in Loop: Header=BB239_1062 Depth=1
	s_or_b32 exec_lo, exec_lo, s16
.LBB239_1784:                           ;   in Loop: Header=BB239_1062 Depth=1
	s_or_b32 exec_lo, exec_lo, s15
.LBB239_1785:                           ;   in Loop: Header=BB239_1062 Depth=1
	s_or_b32 exec_lo, exec_lo, s13
	v_cmp_ne_u16_sdwa s4, v82, v9 src0_sel:BYTE_1 src1_sel:DWORD
	s_and_saveexec_b32 s13, s4
	s_cbranch_execz .LBB239_1793
; %bb.1786:                             ;   in Loop: Header=BB239_1062 Depth=1
	v_mov_b32_e32 v10, v9
	v_mov_b32_e32 v22, v11
	v_cmp_ne_u16_sdwa s4, v82, v98 src0_sel:BYTE_1 src1_sel:DWORD
	v_mov_b32_e32 v21, v10
	s_and_saveexec_b32 s15, s4
	s_cbranch_execz .LBB239_1792
; %bb.1787:                             ;   in Loop: Header=BB239_1062 Depth=1
	v_mov_b32_e32 v8, 0xffff
	v_mov_b32_e32 v12, v9
	;; [unrolled: 1-line block ×3, first 2 shown]
	s_mov_b32 s16, exec_lo
	v_and_b32_sdwa v8, v8, v82 dst_sel:DWORD dst_unused:UNUSED_PAD src0_sel:DWORD src1_sel:BYTE_1
	v_mov_b32_e32 v21, v12
	v_and_b32_e32 v23, 0x7f, v8
	v_cmpx_ne_u32_e32 0x7f, v23
	s_cbranch_execz .LBB239_1791
; %bb.1788:                             ;   in Loop: Header=BB239_1062 Depth=1
	v_and_b32_e32 v8, 7, v8
	v_lshrrev_b32_e32 v10, 3, v23
	s_mov_b32 s17, exec_lo
	v_cmpx_gt_u32_e32 8, v23
; %bb.1789:                             ;   in Loop: Header=BB239_1062 Depth=1
	v_ffbh_u32_e32 v10, v8
	v_min_u32_e32 v10, 32, v10
	v_subrev_nc_u32_e32 v12, 28, v10
	v_sub_nc_u32_e32 v10, 29, v10
	v_lshlrev_b64 v[21:22], v12, v[8:9]
	v_and_b32_e32 v8, 7, v21
; %bb.1790:                             ;   in Loop: Header=BB239_1062 Depth=1
	s_or_b32 exec_lo, exec_lo, s17
	v_lshlrev_b32_e32 v12, 16, v82
	v_lshlrev_b32_e32 v8, 20, v8
	v_lshl_add_u32 v10, v10, 23, 0x3c000000
	v_mov_b32_e32 v21, v9
	v_and_b32_e32 v12, 0x80000000, v12
	v_or3_b32 v22, v8, v12, v10
.LBB239_1791:                           ;   in Loop: Header=BB239_1062 Depth=1
	s_or_b32 exec_lo, exec_lo, s16
.LBB239_1792:                           ;   in Loop: Header=BB239_1062 Depth=1
	s_or_b32 exec_lo, exec_lo, s15
.LBB239_1793:                           ;   in Loop: Header=BB239_1062 Depth=1
	s_or_b32 exec_lo, exec_lo, s13
	v_mov_b32_e32 v23, 0
	v_mov_b32_e32 v25, 0
	v_and_b32_sdwa v8, v82, v100 dst_sel:DWORD dst_unused:UNUSED_PAD src0_sel:WORD_1 src1_sel:DWORD
	v_mov_b32_e32 v24, 0
	v_mov_b32_e32 v26, 0
	s_mov_b32 s13, exec_lo
	v_cmpx_ne_u16_e32 0, v8
	s_cbranch_execz .LBB239_1801
; %bb.1794:                             ;   in Loop: Header=BB239_1062 Depth=1
	v_bfrev_b32_e32 v25, 1
	v_mov_b32_e32 v26, 0
	s_mov_b32 s15, exec_lo
	v_cmpx_ne_u16_e32 0x80, v8
	s_cbranch_execz .LBB239_1800
; %bb.1795:                             ;   in Loop: Header=BB239_1062 Depth=1
	v_mov_b32_e32 v25, 0x7f800001
	v_bfe_u32 v12, v82, 16, 7
	v_mov_b32_e32 v26, 0
	s_mov_b32 s16, exec_lo
	v_cmpx_ne_u32_e32 0x7f, v12
	s_cbranch_execz .LBB239_1799
; %bb.1796:                             ;   in Loop: Header=BB239_1062 Depth=1
	v_mov_b32_e32 v8, 7
	v_lshrrev_b32_e32 v10, 3, v12
	s_mov_b32 s17, exec_lo
	v_and_b32_sdwa v8, v82, v8 dst_sel:DWORD dst_unused:UNUSED_PAD src0_sel:WORD_1 src1_sel:DWORD
	v_cmpx_gt_u32_e32 8, v12
; %bb.1797:                             ;   in Loop: Header=BB239_1062 Depth=1
	v_ffbh_u32_e32 v10, v8
	v_min_u32_e32 v10, 32, v10
	v_subrev_nc_u32_e32 v12, 28, v10
	v_sub_nc_u32_e32 v10, 29, v10
	v_lshlrev_b64 v[25:26], v12, v[8:9]
	v_and_b32_e32 v8, 7, v25
; %bb.1798:                             ;   in Loop: Header=BB239_1062 Depth=1
	s_or_b32 exec_lo, exec_lo, s17
	v_mov_b32_e32 v12, 24
	v_lshlrev_b32_e32 v8, 20, v8
	v_lshl_add_u32 v10, v10, 23, 0x3c000000
	v_lshlrev_b32_sdwa v12, v12, v82 dst_sel:DWORD dst_unused:UNUSED_PAD src0_sel:DWORD src1_sel:WORD_1
	v_and_b32_e32 v12, 0x80000000, v12
	v_or3_b32 v8, v8, v12, v10
	v_mov_b32_e32 v26, v9
	v_mov_b32_e32 v25, v8
.LBB239_1799:                           ;   in Loop: Header=BB239_1062 Depth=1
	s_or_b32 exec_lo, exec_lo, s16
.LBB239_1800:                           ;   in Loop: Header=BB239_1062 Depth=1
	s_or_b32 exec_lo, exec_lo, s15
.LBB239_1801:                           ;   in Loop: Header=BB239_1062 Depth=1
	s_or_b32 exec_lo, exec_lo, s13
	s_mov_b32 s13, exec_lo
	v_cmpx_lt_u32_e32 0xffffff, v82
	s_cbranch_execz .LBB239_1809
; %bb.1802:                             ;   in Loop: Header=BB239_1062 Depth=1
	v_mov_b32_e32 v10, v9
	v_mov_b32_e32 v24, v11
	v_cmp_ne_u32_sdwa s4, v82, v98 src0_sel:BYTE_3 src1_sel:DWORD
	v_mov_b32_e32 v23, v10
	s_and_saveexec_b32 s15, s4
	s_cbranch_execz .LBB239_1808
; %bb.1803:                             ;   in Loop: Header=BB239_1062 Depth=1
	v_mov_b32_e32 v12, v9
	v_mov_b32_e32 v24, v13
	v_bfe_u32 v83, v82, 24, 7
	s_mov_b32 s16, exec_lo
	v_mov_b32_e32 v23, v12
	v_cmpx_ne_u32_e32 0x7f, v83
	s_cbranch_execz .LBB239_1807
; %bb.1804:                             ;   in Loop: Header=BB239_1062 Depth=1
	v_mov_b32_e32 v8, 7
	v_lshrrev_b32_e32 v10, 3, v83
	s_mov_b32 s17, exec_lo
	v_and_b32_sdwa v8, v82, v8 dst_sel:DWORD dst_unused:UNUSED_PAD src0_sel:BYTE_3 src1_sel:DWORD
	v_cmpx_gt_u32_e32 8, v83
; %bb.1805:                             ;   in Loop: Header=BB239_1062 Depth=1
	v_ffbh_u32_e32 v10, v8
	v_min_u32_e32 v10, 32, v10
	v_subrev_nc_u32_e32 v12, 28, v10
	v_sub_nc_u32_e32 v10, 29, v10
	v_lshlrev_b64 v[23:24], v12, v[8:9]
	v_and_b32_e32 v8, 7, v23
; %bb.1806:                             ;   in Loop: Header=BB239_1062 Depth=1
	s_or_b32 exec_lo, exec_lo, s17
	v_mov_b32_e32 v12, 24
	v_lshlrev_b32_e32 v8, 20, v8
	v_lshl_add_u32 v10, v10, 23, 0x3c000000
	v_mov_b32_e32 v23, v9
	v_lshlrev_b32_sdwa v12, v12, v82 dst_sel:DWORD dst_unused:UNUSED_PAD src0_sel:DWORD src1_sel:BYTE_3
	v_and_b32_e32 v12, 0x80000000, v12
	v_or3_b32 v24, v8, v12, v10
.LBB239_1807:                           ;   in Loop: Header=BB239_1062 Depth=1
	s_or_b32 exec_lo, exec_lo, s16
.LBB239_1808:                           ;   in Loop: Header=BB239_1062 Depth=1
	s_or_b32 exec_lo, exec_lo, s15
.LBB239_1809:                           ;   in Loop: Header=BB239_1062 Depth=1
	s_or_b32 exec_lo, exec_lo, s13
	v_or_b32_e32 v5, v22, v5
	v_or_b32_e32 v4, v21, v4
	;; [unrolled: 1-line block ×4, first 2 shown]
	v_mul_f32_e32 v87, v40, v5
	v_mul_f32_e32 v86, v40, v4
	;; [unrolled: 1-line block ×4, first 2 shown]
	s_and_saveexec_b32 s13, vcc_lo
	s_cbranch_execz .LBB239_1811
; %bb.1810:                             ;   in Loop: Header=BB239_1062 Depth=1
	buffer_load_dword v4, off, s[0:3], s32 offset:208 ; 4-byte Folded Reload
	s_waitcnt vmcnt(0)
	v_cmp_lt_i32_e64 s4, v85, v4
	v_cndmask_b32_e64 v86, 0, v86, s4
	v_cmp_lt_i32_e64 s4, v43, v4
	v_cndmask_b32_e64 v87, 0, v87, s4
	;; [unrolled: 2-line block ×4, first 2 shown]
.LBB239_1811:                           ;   in Loop: Header=BB239_1062 Depth=1
	s_or_b32 exec_lo, exec_lo, s13
	flat_load_dword v99, v[19:20] offset:768
	v_mov_b32_e32 v21, 0
	v_mov_b32_e32 v4, 0
	;; [unrolled: 1-line block ×4, first 2 shown]
	s_waitcnt vmcnt(0) lgkmcnt(0)
	v_cmp_ne_u16_sdwa s4, v99, v9 src0_sel:BYTE_0 src1_sel:DWORD
	s_and_saveexec_b32 s13, s4
	s_cbranch_execz .LBB239_1819
; %bb.1812:                             ;   in Loop: Header=BB239_1062 Depth=1
	v_bfrev_b32_e32 v4, 1
	v_mov_b32_e32 v5, 0
	v_cmp_ne_u16_sdwa s4, v99, v98 src0_sel:BYTE_0 src1_sel:DWORD
	s_and_saveexec_b32 s15, s4
	s_cbranch_execz .LBB239_1818
; %bb.1813:                             ;   in Loop: Header=BB239_1062 Depth=1
	v_mov_b32_e32 v4, 0x7f800001
	v_and_b32_e32 v10, 0x7f, v99
	v_mov_b32_e32 v5, 0
	s_mov_b32 s16, exec_lo
	v_cmpx_ne_u32_e32 0x7f, v10
	s_cbranch_execz .LBB239_1817
; %bb.1814:                             ;   in Loop: Header=BB239_1062 Depth=1
	v_and_b32_e32 v8, 7, v99
	v_lshrrev_b32_e32 v4, 3, v10
	s_mov_b32 s17, exec_lo
	v_cmpx_gt_u32_e32 8, v10
; %bb.1815:                             ;   in Loop: Header=BB239_1062 Depth=1
	v_ffbh_u32_e32 v4, v8
	v_min_u32_e32 v4, 32, v4
	v_subrev_nc_u32_e32 v5, 28, v4
	v_sub_nc_u32_e32 v4, 29, v4
	v_lshlrev_b64 v[23:24], v5, v[8:9]
	v_and_b32_e32 v8, 7, v23
; %bb.1816:                             ;   in Loop: Header=BB239_1062 Depth=1
	s_or_b32 exec_lo, exec_lo, s17
	v_lshlrev_b32_e32 v5, 24, v99
	v_lshlrev_b32_e32 v8, 20, v8
	v_lshl_add_u32 v4, v4, 23, 0x3c000000
	v_and_b32_e32 v5, 0x80000000, v5
	v_or3_b32 v8, v8, v5, v4
	v_mov_b32_e32 v4, v8
	v_mov_b32_e32 v5, v9
.LBB239_1817:                           ;   in Loop: Header=BB239_1062 Depth=1
	s_or_b32 exec_lo, exec_lo, s16
.LBB239_1818:                           ;   in Loop: Header=BB239_1062 Depth=1
	s_or_b32 exec_lo, exec_lo, s15
.LBB239_1819:                           ;   in Loop: Header=BB239_1062 Depth=1
	s_or_b32 exec_lo, exec_lo, s13
	v_cmp_ne_u16_sdwa s4, v99, v9 src0_sel:BYTE_1 src1_sel:DWORD
	s_and_saveexec_b32 s13, s4
	s_cbranch_execz .LBB239_1827
; %bb.1820:                             ;   in Loop: Header=BB239_1062 Depth=1
	v_mov_b32_e32 v10, v9
	v_mov_b32_e32 v22, v11
	v_cmp_ne_u16_sdwa s4, v99, v98 src0_sel:BYTE_1 src1_sel:DWORD
	v_mov_b32_e32 v21, v10
	s_and_saveexec_b32 s15, s4
	s_cbranch_execz .LBB239_1826
; %bb.1821:                             ;   in Loop: Header=BB239_1062 Depth=1
	v_mov_b32_e32 v8, 0xffff
	v_mov_b32_e32 v12, v9
	v_mov_b32_e32 v22, v13
	s_mov_b32 s16, exec_lo
	v_and_b32_sdwa v8, v8, v99 dst_sel:DWORD dst_unused:UNUSED_PAD src0_sel:DWORD src1_sel:BYTE_1
	v_mov_b32_e32 v21, v12
	v_and_b32_e32 v23, 0x7f, v8
	v_cmpx_ne_u32_e32 0x7f, v23
	s_cbranch_execz .LBB239_1825
; %bb.1822:                             ;   in Loop: Header=BB239_1062 Depth=1
	v_and_b32_e32 v8, 7, v8
	v_lshrrev_b32_e32 v10, 3, v23
	s_mov_b32 s17, exec_lo
	v_cmpx_gt_u32_e32 8, v23
; %bb.1823:                             ;   in Loop: Header=BB239_1062 Depth=1
	v_ffbh_u32_e32 v10, v8
	v_min_u32_e32 v10, 32, v10
	v_subrev_nc_u32_e32 v12, 28, v10
	v_sub_nc_u32_e32 v10, 29, v10
	v_lshlrev_b64 v[21:22], v12, v[8:9]
	v_and_b32_e32 v8, 7, v21
; %bb.1824:                             ;   in Loop: Header=BB239_1062 Depth=1
	s_or_b32 exec_lo, exec_lo, s17
	v_lshlrev_b32_e32 v12, 16, v99
	v_lshlrev_b32_e32 v8, 20, v8
	v_lshl_add_u32 v10, v10, 23, 0x3c000000
	v_mov_b32_e32 v21, v9
	v_and_b32_e32 v12, 0x80000000, v12
	v_or3_b32 v22, v8, v12, v10
.LBB239_1825:                           ;   in Loop: Header=BB239_1062 Depth=1
	s_or_b32 exec_lo, exec_lo, s16
.LBB239_1826:                           ;   in Loop: Header=BB239_1062 Depth=1
	s_or_b32 exec_lo, exec_lo, s15
.LBB239_1827:                           ;   in Loop: Header=BB239_1062 Depth=1
	s_or_b32 exec_lo, exec_lo, s13
	v_mov_b32_e32 v23, 0
	v_mov_b32_e32 v25, 0
	v_and_b32_sdwa v8, v99, v100 dst_sel:DWORD dst_unused:UNUSED_PAD src0_sel:WORD_1 src1_sel:DWORD
	v_mov_b32_e32 v24, 0
	v_mov_b32_e32 v26, 0
	s_mov_b32 s13, exec_lo
	v_cmpx_ne_u16_e32 0, v8
	s_cbranch_execz .LBB239_1835
; %bb.1828:                             ;   in Loop: Header=BB239_1062 Depth=1
	v_bfrev_b32_e32 v25, 1
	v_mov_b32_e32 v26, 0
	s_mov_b32 s15, exec_lo
	v_cmpx_ne_u16_e32 0x80, v8
	s_cbranch_execz .LBB239_1834
; %bb.1829:                             ;   in Loop: Header=BB239_1062 Depth=1
	v_mov_b32_e32 v25, 0x7f800001
	v_bfe_u32 v12, v99, 16, 7
	v_mov_b32_e32 v26, 0
	s_mov_b32 s16, exec_lo
	v_cmpx_ne_u32_e32 0x7f, v12
	s_cbranch_execz .LBB239_1833
; %bb.1830:                             ;   in Loop: Header=BB239_1062 Depth=1
	v_mov_b32_e32 v8, 7
	v_lshrrev_b32_e32 v10, 3, v12
	s_mov_b32 s17, exec_lo
	v_and_b32_sdwa v8, v99, v8 dst_sel:DWORD dst_unused:UNUSED_PAD src0_sel:WORD_1 src1_sel:DWORD
	v_cmpx_gt_u32_e32 8, v12
; %bb.1831:                             ;   in Loop: Header=BB239_1062 Depth=1
	v_ffbh_u32_e32 v10, v8
	v_min_u32_e32 v10, 32, v10
	v_subrev_nc_u32_e32 v12, 28, v10
	v_sub_nc_u32_e32 v10, 29, v10
	v_lshlrev_b64 v[25:26], v12, v[8:9]
	v_and_b32_e32 v8, 7, v25
; %bb.1832:                             ;   in Loop: Header=BB239_1062 Depth=1
	s_or_b32 exec_lo, exec_lo, s17
	v_mov_b32_e32 v12, 24
	v_lshlrev_b32_e32 v8, 20, v8
	v_lshl_add_u32 v10, v10, 23, 0x3c000000
	v_lshlrev_b32_sdwa v12, v12, v99 dst_sel:DWORD dst_unused:UNUSED_PAD src0_sel:DWORD src1_sel:WORD_1
	v_and_b32_e32 v12, 0x80000000, v12
	v_or3_b32 v8, v8, v12, v10
	v_mov_b32_e32 v26, v9
	v_mov_b32_e32 v25, v8
.LBB239_1833:                           ;   in Loop: Header=BB239_1062 Depth=1
	s_or_b32 exec_lo, exec_lo, s16
.LBB239_1834:                           ;   in Loop: Header=BB239_1062 Depth=1
	s_or_b32 exec_lo, exec_lo, s15
.LBB239_1835:                           ;   in Loop: Header=BB239_1062 Depth=1
	s_or_b32 exec_lo, exec_lo, s13
	s_mov_b32 s13, exec_lo
	v_cmpx_lt_u32_e32 0xffffff, v99
	s_cbranch_execz .LBB239_1843
; %bb.1836:                             ;   in Loop: Header=BB239_1062 Depth=1
	v_mov_b32_e32 v10, v9
	v_mov_b32_e32 v24, v11
	v_cmp_ne_u32_sdwa s4, v99, v98 src0_sel:BYTE_3 src1_sel:DWORD
	v_mov_b32_e32 v23, v10
	s_and_saveexec_b32 s15, s4
	s_cbranch_execz .LBB239_1842
; %bb.1837:                             ;   in Loop: Header=BB239_1062 Depth=1
	v_mov_b32_e32 v12, v9
	v_mov_b32_e32 v24, v13
	v_bfe_u32 v101, v99, 24, 7
	s_mov_b32 s16, exec_lo
	v_mov_b32_e32 v23, v12
	v_cmpx_ne_u32_e32 0x7f, v101
	s_cbranch_execz .LBB239_1841
; %bb.1838:                             ;   in Loop: Header=BB239_1062 Depth=1
	v_mov_b32_e32 v8, 7
	v_lshrrev_b32_e32 v10, 3, v101
	s_mov_b32 s17, exec_lo
	v_and_b32_sdwa v8, v99, v8 dst_sel:DWORD dst_unused:UNUSED_PAD src0_sel:BYTE_3 src1_sel:DWORD
	v_cmpx_gt_u32_e32 8, v101
; %bb.1839:                             ;   in Loop: Header=BB239_1062 Depth=1
	v_ffbh_u32_e32 v10, v8
	v_min_u32_e32 v10, 32, v10
	v_subrev_nc_u32_e32 v12, 28, v10
	v_sub_nc_u32_e32 v10, 29, v10
	v_lshlrev_b64 v[23:24], v12, v[8:9]
	v_and_b32_e32 v8, 7, v23
; %bb.1840:                             ;   in Loop: Header=BB239_1062 Depth=1
	s_or_b32 exec_lo, exec_lo, s17
	v_mov_b32_e32 v12, 24
	v_lshlrev_b32_e32 v8, 20, v8
	v_lshl_add_u32 v10, v10, 23, 0x3c000000
	v_mov_b32_e32 v23, v9
	v_lshlrev_b32_sdwa v12, v12, v99 dst_sel:DWORD dst_unused:UNUSED_PAD src0_sel:DWORD src1_sel:BYTE_3
	v_and_b32_e32 v12, 0x80000000, v12
	v_or3_b32 v24, v8, v12, v10
.LBB239_1841:                           ;   in Loop: Header=BB239_1062 Depth=1
	s_or_b32 exec_lo, exec_lo, s16
.LBB239_1842:                           ;   in Loop: Header=BB239_1062 Depth=1
	s_or_b32 exec_lo, exec_lo, s15
.LBB239_1843:                           ;   in Loop: Header=BB239_1062 Depth=1
	s_or_b32 exec_lo, exec_lo, s13
	v_or_b32_e32 v5, v22, v5
	v_or_b32_e32 v4, v21, v4
	v_or_b32_e32 v8, v23, v25
	v_or_b32_e32 v10, v24, v26
	v_mul_f32_e32 v119, v40, v5
	v_mul_f32_e32 v118, v40, v4
	;; [unrolled: 1-line block ×4, first 2 shown]
	s_and_saveexec_b32 s13, vcc_lo
	s_cbranch_execz .LBB239_1845
; %bb.1844:                             ;   in Loop: Header=BB239_1062 Depth=1
	buffer_load_dword v4, off, s[0:3], s32 offset:208 ; 4-byte Folded Reload
	s_waitcnt vmcnt(0)
	v_cmp_lt_i32_e64 s4, v85, v4
	v_cndmask_b32_e64 v118, 0, v118, s4
	v_cmp_lt_i32_e64 s4, v43, v4
	v_cndmask_b32_e64 v119, 0, v119, s4
	;; [unrolled: 2-line block ×4, first 2 shown]
.LBB239_1845:                           ;   in Loop: Header=BB239_1062 Depth=1
	s_or_b32 exec_lo, exec_lo, s13
	flat_load_dword v99, v[19:20] offset:896
	v_mov_b32_e32 v21, 0
	v_mov_b32_e32 v4, 0
	;; [unrolled: 1-line block ×4, first 2 shown]
	s_waitcnt vmcnt(0) lgkmcnt(0)
	v_cmp_ne_u16_sdwa s4, v99, v9 src0_sel:BYTE_0 src1_sel:DWORD
	s_and_saveexec_b32 s13, s4
	s_cbranch_execz .LBB239_1853
; %bb.1846:                             ;   in Loop: Header=BB239_1062 Depth=1
	v_bfrev_b32_e32 v4, 1
	v_mov_b32_e32 v5, 0
	v_cmp_ne_u16_sdwa s4, v99, v98 src0_sel:BYTE_0 src1_sel:DWORD
	s_and_saveexec_b32 s15, s4
	s_cbranch_execz .LBB239_1852
; %bb.1847:                             ;   in Loop: Header=BB239_1062 Depth=1
	v_mov_b32_e32 v4, 0x7f800001
	v_and_b32_e32 v10, 0x7f, v99
	v_mov_b32_e32 v5, 0
	s_mov_b32 s16, exec_lo
	v_cmpx_ne_u32_e32 0x7f, v10
	s_cbranch_execz .LBB239_1851
; %bb.1848:                             ;   in Loop: Header=BB239_1062 Depth=1
	v_and_b32_e32 v8, 7, v99
	v_lshrrev_b32_e32 v4, 3, v10
	s_mov_b32 s17, exec_lo
	v_cmpx_gt_u32_e32 8, v10
; %bb.1849:                             ;   in Loop: Header=BB239_1062 Depth=1
	v_ffbh_u32_e32 v4, v8
	v_min_u32_e32 v4, 32, v4
	v_subrev_nc_u32_e32 v5, 28, v4
	v_sub_nc_u32_e32 v4, 29, v4
	v_lshlrev_b64 v[23:24], v5, v[8:9]
	v_and_b32_e32 v8, 7, v23
; %bb.1850:                             ;   in Loop: Header=BB239_1062 Depth=1
	s_or_b32 exec_lo, exec_lo, s17
	v_lshlrev_b32_e32 v5, 24, v99
	v_lshlrev_b32_e32 v8, 20, v8
	v_lshl_add_u32 v4, v4, 23, 0x3c000000
	v_and_b32_e32 v5, 0x80000000, v5
	v_or3_b32 v8, v8, v5, v4
	v_mov_b32_e32 v4, v8
	v_mov_b32_e32 v5, v9
.LBB239_1851:                           ;   in Loop: Header=BB239_1062 Depth=1
	s_or_b32 exec_lo, exec_lo, s16
.LBB239_1852:                           ;   in Loop: Header=BB239_1062 Depth=1
	s_or_b32 exec_lo, exec_lo, s15
.LBB239_1853:                           ;   in Loop: Header=BB239_1062 Depth=1
	s_or_b32 exec_lo, exec_lo, s13
	v_cmp_ne_u16_sdwa s4, v99, v9 src0_sel:BYTE_1 src1_sel:DWORD
	s_and_saveexec_b32 s13, s4
	s_cbranch_execz .LBB239_1861
; %bb.1854:                             ;   in Loop: Header=BB239_1062 Depth=1
	v_mov_b32_e32 v10, v9
	v_mov_b32_e32 v22, v11
	v_cmp_ne_u16_sdwa s4, v99, v98 src0_sel:BYTE_1 src1_sel:DWORD
	v_mov_b32_e32 v21, v10
	s_and_saveexec_b32 s15, s4
	s_cbranch_execz .LBB239_1860
; %bb.1855:                             ;   in Loop: Header=BB239_1062 Depth=1
	v_mov_b32_e32 v8, 0xffff
	v_mov_b32_e32 v12, v9
	;; [unrolled: 1-line block ×3, first 2 shown]
	s_mov_b32 s16, exec_lo
	v_and_b32_sdwa v8, v8, v99 dst_sel:DWORD dst_unused:UNUSED_PAD src0_sel:DWORD src1_sel:BYTE_1
	v_mov_b32_e32 v21, v12
	v_and_b32_e32 v23, 0x7f, v8
	v_cmpx_ne_u32_e32 0x7f, v23
	s_cbranch_execz .LBB239_1859
; %bb.1856:                             ;   in Loop: Header=BB239_1062 Depth=1
	v_and_b32_e32 v8, 7, v8
	v_lshrrev_b32_e32 v10, 3, v23
	s_mov_b32 s17, exec_lo
	v_cmpx_gt_u32_e32 8, v23
; %bb.1857:                             ;   in Loop: Header=BB239_1062 Depth=1
	v_ffbh_u32_e32 v10, v8
	v_min_u32_e32 v10, 32, v10
	v_subrev_nc_u32_e32 v12, 28, v10
	v_sub_nc_u32_e32 v10, 29, v10
	v_lshlrev_b64 v[21:22], v12, v[8:9]
	v_and_b32_e32 v8, 7, v21
; %bb.1858:                             ;   in Loop: Header=BB239_1062 Depth=1
	s_or_b32 exec_lo, exec_lo, s17
	v_lshlrev_b32_e32 v12, 16, v99
	v_lshlrev_b32_e32 v8, 20, v8
	v_lshl_add_u32 v10, v10, 23, 0x3c000000
	v_mov_b32_e32 v21, v9
	v_and_b32_e32 v12, 0x80000000, v12
	v_or3_b32 v22, v8, v12, v10
.LBB239_1859:                           ;   in Loop: Header=BB239_1062 Depth=1
	s_or_b32 exec_lo, exec_lo, s16
.LBB239_1860:                           ;   in Loop: Header=BB239_1062 Depth=1
	s_or_b32 exec_lo, exec_lo, s15
.LBB239_1861:                           ;   in Loop: Header=BB239_1062 Depth=1
	s_or_b32 exec_lo, exec_lo, s13
	v_mov_b32_e32 v23, 0
	v_mov_b32_e32 v25, 0
	v_and_b32_sdwa v8, v99, v100 dst_sel:DWORD dst_unused:UNUSED_PAD src0_sel:WORD_1 src1_sel:DWORD
	v_mov_b32_e32 v24, 0
	v_mov_b32_e32 v26, 0
	s_mov_b32 s13, exec_lo
	v_cmpx_ne_u16_e32 0, v8
	s_cbranch_execz .LBB239_1869
; %bb.1862:                             ;   in Loop: Header=BB239_1062 Depth=1
	v_bfrev_b32_e32 v25, 1
	v_mov_b32_e32 v26, 0
	s_mov_b32 s15, exec_lo
	v_cmpx_ne_u16_e32 0x80, v8
	s_cbranch_execz .LBB239_1868
; %bb.1863:                             ;   in Loop: Header=BB239_1062 Depth=1
	v_mov_b32_e32 v25, 0x7f800001
	v_bfe_u32 v12, v99, 16, 7
	v_mov_b32_e32 v26, 0
	s_mov_b32 s16, exec_lo
	v_cmpx_ne_u32_e32 0x7f, v12
	s_cbranch_execz .LBB239_1867
; %bb.1864:                             ;   in Loop: Header=BB239_1062 Depth=1
	v_mov_b32_e32 v8, 7
	v_lshrrev_b32_e32 v10, 3, v12
	s_mov_b32 s17, exec_lo
	v_and_b32_sdwa v8, v99, v8 dst_sel:DWORD dst_unused:UNUSED_PAD src0_sel:WORD_1 src1_sel:DWORD
	v_cmpx_gt_u32_e32 8, v12
; %bb.1865:                             ;   in Loop: Header=BB239_1062 Depth=1
	v_ffbh_u32_e32 v10, v8
	v_min_u32_e32 v10, 32, v10
	v_subrev_nc_u32_e32 v12, 28, v10
	v_sub_nc_u32_e32 v10, 29, v10
	v_lshlrev_b64 v[25:26], v12, v[8:9]
	v_and_b32_e32 v8, 7, v25
; %bb.1866:                             ;   in Loop: Header=BB239_1062 Depth=1
	s_or_b32 exec_lo, exec_lo, s17
	v_mov_b32_e32 v12, 24
	v_lshlrev_b32_e32 v8, 20, v8
	v_lshl_add_u32 v10, v10, 23, 0x3c000000
	v_lshlrev_b32_sdwa v12, v12, v99 dst_sel:DWORD dst_unused:UNUSED_PAD src0_sel:DWORD src1_sel:WORD_1
	v_and_b32_e32 v12, 0x80000000, v12
	v_or3_b32 v8, v8, v12, v10
	v_mov_b32_e32 v26, v9
	v_mov_b32_e32 v25, v8
.LBB239_1867:                           ;   in Loop: Header=BB239_1062 Depth=1
	s_or_b32 exec_lo, exec_lo, s16
.LBB239_1868:                           ;   in Loop: Header=BB239_1062 Depth=1
	s_or_b32 exec_lo, exec_lo, s15
.LBB239_1869:                           ;   in Loop: Header=BB239_1062 Depth=1
	s_or_b32 exec_lo, exec_lo, s13
	s_mov_b32 s13, exec_lo
	v_cmpx_lt_u32_e32 0xffffff, v99
	s_cbranch_execz .LBB239_1877
; %bb.1870:                             ;   in Loop: Header=BB239_1062 Depth=1
	v_mov_b32_e32 v10, v9
	v_mov_b32_e32 v24, v11
	v_cmp_ne_u32_sdwa s4, v99, v98 src0_sel:BYTE_3 src1_sel:DWORD
	v_mov_b32_e32 v23, v10
	s_and_saveexec_b32 s15, s4
	s_cbranch_execz .LBB239_1876
; %bb.1871:                             ;   in Loop: Header=BB239_1062 Depth=1
	v_mov_b32_e32 v12, v9
	v_mov_b32_e32 v24, v13
	v_bfe_u32 v101, v99, 24, 7
	s_mov_b32 s16, exec_lo
	v_mov_b32_e32 v23, v12
	v_cmpx_ne_u32_e32 0x7f, v101
	s_cbranch_execz .LBB239_1875
; %bb.1872:                             ;   in Loop: Header=BB239_1062 Depth=1
	v_mov_b32_e32 v8, 7
	v_lshrrev_b32_e32 v10, 3, v101
	s_mov_b32 s17, exec_lo
	v_and_b32_sdwa v8, v99, v8 dst_sel:DWORD dst_unused:UNUSED_PAD src0_sel:BYTE_3 src1_sel:DWORD
	v_cmpx_gt_u32_e32 8, v101
; %bb.1873:                             ;   in Loop: Header=BB239_1062 Depth=1
	v_ffbh_u32_e32 v10, v8
	v_min_u32_e32 v10, 32, v10
	v_subrev_nc_u32_e32 v12, 28, v10
	v_sub_nc_u32_e32 v10, 29, v10
	v_lshlrev_b64 v[23:24], v12, v[8:9]
	v_and_b32_e32 v8, 7, v23
; %bb.1874:                             ;   in Loop: Header=BB239_1062 Depth=1
	s_or_b32 exec_lo, exec_lo, s17
	v_mov_b32_e32 v12, 24
	v_lshlrev_b32_e32 v8, 20, v8
	v_lshl_add_u32 v10, v10, 23, 0x3c000000
	v_mov_b32_e32 v23, v9
	v_lshlrev_b32_sdwa v12, v12, v99 dst_sel:DWORD dst_unused:UNUSED_PAD src0_sel:DWORD src1_sel:BYTE_3
	v_and_b32_e32 v12, 0x80000000, v12
	v_or3_b32 v24, v8, v12, v10
.LBB239_1875:                           ;   in Loop: Header=BB239_1062 Depth=1
	s_or_b32 exec_lo, exec_lo, s16
.LBB239_1876:                           ;   in Loop: Header=BB239_1062 Depth=1
	s_or_b32 exec_lo, exec_lo, s15
.LBB239_1877:                           ;   in Loop: Header=BB239_1062 Depth=1
	s_or_b32 exec_lo, exec_lo, s13
	v_or_b32_e32 v5, v22, v5
	v_or_b32_e32 v4, v21, v4
	;; [unrolled: 1-line block ×4, first 2 shown]
	v_mul_f32_e32 v47, v40, v5
	v_mul_f32_e32 v46, v40, v4
	;; [unrolled: 1-line block ×4, first 2 shown]
	s_and_saveexec_b32 s13, vcc_lo
	s_cbranch_execz .LBB239_1879
; %bb.1878:                             ;   in Loop: Header=BB239_1062 Depth=1
	buffer_load_dword v4, off, s[0:3], s32 offset:208 ; 4-byte Folded Reload
	s_waitcnt vmcnt(0)
	v_cmp_lt_i32_e64 s4, v85, v4
	v_cndmask_b32_e64 v46, 0, v46, s4
	v_cmp_lt_i32_e64 s4, v43, v4
	v_cndmask_b32_e64 v47, 0, v47, s4
	;; [unrolled: 2-line block ×4, first 2 shown]
.LBB239_1879:                           ;   in Loop: Header=BB239_1062 Depth=1
	s_or_b32 exec_lo, exec_lo, s13
	flat_load_dword v99, v[19:20] offset:1024
	v_mov_b32_e32 v21, 0
	v_mov_b32_e32 v4, 0
	;; [unrolled: 1-line block ×4, first 2 shown]
	s_waitcnt vmcnt(0) lgkmcnt(0)
	v_cmp_ne_u16_sdwa s4, v99, v9 src0_sel:BYTE_0 src1_sel:DWORD
	s_and_saveexec_b32 s13, s4
	s_cbranch_execz .LBB239_1887
; %bb.1880:                             ;   in Loop: Header=BB239_1062 Depth=1
	v_bfrev_b32_e32 v4, 1
	v_mov_b32_e32 v5, 0
	v_cmp_ne_u16_sdwa s4, v99, v98 src0_sel:BYTE_0 src1_sel:DWORD
	s_and_saveexec_b32 s15, s4
	s_cbranch_execz .LBB239_1886
; %bb.1881:                             ;   in Loop: Header=BB239_1062 Depth=1
	v_mov_b32_e32 v4, 0x7f800001
	v_and_b32_e32 v10, 0x7f, v99
	v_mov_b32_e32 v5, 0
	s_mov_b32 s16, exec_lo
	v_cmpx_ne_u32_e32 0x7f, v10
	s_cbranch_execz .LBB239_1885
; %bb.1882:                             ;   in Loop: Header=BB239_1062 Depth=1
	v_and_b32_e32 v8, 7, v99
	v_lshrrev_b32_e32 v4, 3, v10
	s_mov_b32 s17, exec_lo
	v_cmpx_gt_u32_e32 8, v10
; %bb.1883:                             ;   in Loop: Header=BB239_1062 Depth=1
	v_ffbh_u32_e32 v4, v8
	v_min_u32_e32 v4, 32, v4
	v_subrev_nc_u32_e32 v5, 28, v4
	v_sub_nc_u32_e32 v4, 29, v4
	v_lshlrev_b64 v[23:24], v5, v[8:9]
	v_and_b32_e32 v8, 7, v23
; %bb.1884:                             ;   in Loop: Header=BB239_1062 Depth=1
	s_or_b32 exec_lo, exec_lo, s17
	v_lshlrev_b32_e32 v5, 24, v99
	v_lshlrev_b32_e32 v8, 20, v8
	v_lshl_add_u32 v4, v4, 23, 0x3c000000
	v_and_b32_e32 v5, 0x80000000, v5
	v_or3_b32 v8, v8, v5, v4
	v_mov_b32_e32 v4, v8
	v_mov_b32_e32 v5, v9
.LBB239_1885:                           ;   in Loop: Header=BB239_1062 Depth=1
	s_or_b32 exec_lo, exec_lo, s16
.LBB239_1886:                           ;   in Loop: Header=BB239_1062 Depth=1
	s_or_b32 exec_lo, exec_lo, s15
.LBB239_1887:                           ;   in Loop: Header=BB239_1062 Depth=1
	s_or_b32 exec_lo, exec_lo, s13
	v_cmp_ne_u16_sdwa s4, v99, v9 src0_sel:BYTE_1 src1_sel:DWORD
	s_and_saveexec_b32 s13, s4
	s_cbranch_execz .LBB239_1895
; %bb.1888:                             ;   in Loop: Header=BB239_1062 Depth=1
	v_mov_b32_e32 v10, v9
	v_mov_b32_e32 v22, v11
	v_cmp_ne_u16_sdwa s4, v99, v98 src0_sel:BYTE_1 src1_sel:DWORD
	v_mov_b32_e32 v21, v10
	s_and_saveexec_b32 s15, s4
	s_cbranch_execz .LBB239_1894
; %bb.1889:                             ;   in Loop: Header=BB239_1062 Depth=1
	v_mov_b32_e32 v8, 0xffff
	v_mov_b32_e32 v12, v9
	;; [unrolled: 1-line block ×3, first 2 shown]
	s_mov_b32 s16, exec_lo
	v_and_b32_sdwa v8, v8, v99 dst_sel:DWORD dst_unused:UNUSED_PAD src0_sel:DWORD src1_sel:BYTE_1
	v_mov_b32_e32 v21, v12
	v_and_b32_e32 v23, 0x7f, v8
	v_cmpx_ne_u32_e32 0x7f, v23
	s_cbranch_execz .LBB239_1893
; %bb.1890:                             ;   in Loop: Header=BB239_1062 Depth=1
	v_and_b32_e32 v8, 7, v8
	v_lshrrev_b32_e32 v10, 3, v23
	s_mov_b32 s17, exec_lo
	v_cmpx_gt_u32_e32 8, v23
; %bb.1891:                             ;   in Loop: Header=BB239_1062 Depth=1
	v_ffbh_u32_e32 v10, v8
	v_min_u32_e32 v10, 32, v10
	v_subrev_nc_u32_e32 v12, 28, v10
	v_sub_nc_u32_e32 v10, 29, v10
	v_lshlrev_b64 v[21:22], v12, v[8:9]
	v_and_b32_e32 v8, 7, v21
; %bb.1892:                             ;   in Loop: Header=BB239_1062 Depth=1
	s_or_b32 exec_lo, exec_lo, s17
	v_lshlrev_b32_e32 v12, 16, v99
	v_lshlrev_b32_e32 v8, 20, v8
	v_lshl_add_u32 v10, v10, 23, 0x3c000000
	v_mov_b32_e32 v21, v9
	v_and_b32_e32 v12, 0x80000000, v12
	v_or3_b32 v22, v8, v12, v10
.LBB239_1893:                           ;   in Loop: Header=BB239_1062 Depth=1
	s_or_b32 exec_lo, exec_lo, s16
.LBB239_1894:                           ;   in Loop: Header=BB239_1062 Depth=1
	s_or_b32 exec_lo, exec_lo, s15
.LBB239_1895:                           ;   in Loop: Header=BB239_1062 Depth=1
	s_or_b32 exec_lo, exec_lo, s13
	v_mov_b32_e32 v23, 0
	v_mov_b32_e32 v25, 0
	v_and_b32_sdwa v8, v99, v100 dst_sel:DWORD dst_unused:UNUSED_PAD src0_sel:WORD_1 src1_sel:DWORD
	v_mov_b32_e32 v24, 0
	v_mov_b32_e32 v26, 0
	s_mov_b32 s13, exec_lo
	v_cmpx_ne_u16_e32 0, v8
	s_cbranch_execz .LBB239_1903
; %bb.1896:                             ;   in Loop: Header=BB239_1062 Depth=1
	v_bfrev_b32_e32 v25, 1
	v_mov_b32_e32 v26, 0
	s_mov_b32 s15, exec_lo
	v_cmpx_ne_u16_e32 0x80, v8
	s_cbranch_execz .LBB239_1902
; %bb.1897:                             ;   in Loop: Header=BB239_1062 Depth=1
	v_mov_b32_e32 v25, 0x7f800001
	v_bfe_u32 v12, v99, 16, 7
	v_mov_b32_e32 v26, 0
	s_mov_b32 s16, exec_lo
	v_cmpx_ne_u32_e32 0x7f, v12
	s_cbranch_execz .LBB239_1901
; %bb.1898:                             ;   in Loop: Header=BB239_1062 Depth=1
	v_mov_b32_e32 v8, 7
	v_lshrrev_b32_e32 v10, 3, v12
	s_mov_b32 s17, exec_lo
	v_and_b32_sdwa v8, v99, v8 dst_sel:DWORD dst_unused:UNUSED_PAD src0_sel:WORD_1 src1_sel:DWORD
	v_cmpx_gt_u32_e32 8, v12
; %bb.1899:                             ;   in Loop: Header=BB239_1062 Depth=1
	v_ffbh_u32_e32 v10, v8
	v_min_u32_e32 v10, 32, v10
	v_subrev_nc_u32_e32 v12, 28, v10
	v_sub_nc_u32_e32 v10, 29, v10
	v_lshlrev_b64 v[25:26], v12, v[8:9]
	v_and_b32_e32 v8, 7, v25
; %bb.1900:                             ;   in Loop: Header=BB239_1062 Depth=1
	s_or_b32 exec_lo, exec_lo, s17
	v_mov_b32_e32 v12, 24
	v_lshlrev_b32_e32 v8, 20, v8
	v_lshl_add_u32 v10, v10, 23, 0x3c000000
	v_lshlrev_b32_sdwa v12, v12, v99 dst_sel:DWORD dst_unused:UNUSED_PAD src0_sel:DWORD src1_sel:WORD_1
	v_and_b32_e32 v12, 0x80000000, v12
	v_or3_b32 v8, v8, v12, v10
	v_mov_b32_e32 v26, v9
	v_mov_b32_e32 v25, v8
.LBB239_1901:                           ;   in Loop: Header=BB239_1062 Depth=1
	s_or_b32 exec_lo, exec_lo, s16
.LBB239_1902:                           ;   in Loop: Header=BB239_1062 Depth=1
	s_or_b32 exec_lo, exec_lo, s15
.LBB239_1903:                           ;   in Loop: Header=BB239_1062 Depth=1
	s_or_b32 exec_lo, exec_lo, s13
	s_mov_b32 s13, exec_lo
	v_cmpx_lt_u32_e32 0xffffff, v99
	s_cbranch_execz .LBB239_1911
; %bb.1904:                             ;   in Loop: Header=BB239_1062 Depth=1
	v_mov_b32_e32 v10, v9
	v_mov_b32_e32 v24, v11
	v_cmp_ne_u32_sdwa s4, v99, v98 src0_sel:BYTE_3 src1_sel:DWORD
	v_mov_b32_e32 v23, v10
	s_and_saveexec_b32 s15, s4
	s_cbranch_execz .LBB239_1910
; %bb.1905:                             ;   in Loop: Header=BB239_1062 Depth=1
	v_mov_b32_e32 v12, v9
	v_mov_b32_e32 v24, v13
	v_bfe_u32 v101, v99, 24, 7
	s_mov_b32 s16, exec_lo
	v_mov_b32_e32 v23, v12
	v_cmpx_ne_u32_e32 0x7f, v101
	s_cbranch_execz .LBB239_1909
; %bb.1906:                             ;   in Loop: Header=BB239_1062 Depth=1
	v_mov_b32_e32 v8, 7
	v_lshrrev_b32_e32 v10, 3, v101
	s_mov_b32 s17, exec_lo
	v_and_b32_sdwa v8, v99, v8 dst_sel:DWORD dst_unused:UNUSED_PAD src0_sel:BYTE_3 src1_sel:DWORD
	v_cmpx_gt_u32_e32 8, v101
; %bb.1907:                             ;   in Loop: Header=BB239_1062 Depth=1
	v_ffbh_u32_e32 v10, v8
	v_min_u32_e32 v10, 32, v10
	v_subrev_nc_u32_e32 v12, 28, v10
	v_sub_nc_u32_e32 v10, 29, v10
	v_lshlrev_b64 v[23:24], v12, v[8:9]
	v_and_b32_e32 v8, 7, v23
; %bb.1908:                             ;   in Loop: Header=BB239_1062 Depth=1
	s_or_b32 exec_lo, exec_lo, s17
	v_mov_b32_e32 v12, 24
	v_lshlrev_b32_e32 v8, 20, v8
	v_lshl_add_u32 v10, v10, 23, 0x3c000000
	v_mov_b32_e32 v23, v9
	v_lshlrev_b32_sdwa v12, v12, v99 dst_sel:DWORD dst_unused:UNUSED_PAD src0_sel:DWORD src1_sel:BYTE_3
	v_and_b32_e32 v12, 0x80000000, v12
	v_or3_b32 v24, v8, v12, v10
.LBB239_1909:                           ;   in Loop: Header=BB239_1062 Depth=1
	s_or_b32 exec_lo, exec_lo, s16
.LBB239_1910:                           ;   in Loop: Header=BB239_1062 Depth=1
	s_or_b32 exec_lo, exec_lo, s15
.LBB239_1911:                           ;   in Loop: Header=BB239_1062 Depth=1
	s_or_b32 exec_lo, exec_lo, s13
	v_or_b32_e32 v5, v22, v5
	v_or_b32_e32 v4, v21, v4
	;; [unrolled: 1-line block ×4, first 2 shown]
	v_mul_f32_e32 v59, v40, v5
	v_mul_f32_e32 v58, v40, v4
	;; [unrolled: 1-line block ×4, first 2 shown]
	s_and_saveexec_b32 s13, vcc_lo
	s_cbranch_execz .LBB239_1913
; %bb.1912:                             ;   in Loop: Header=BB239_1062 Depth=1
	buffer_load_dword v4, off, s[0:3], s32 offset:208 ; 4-byte Folded Reload
	s_waitcnt vmcnt(0)
	v_cmp_lt_i32_e64 s4, v85, v4
	v_cndmask_b32_e64 v58, 0, v58, s4
	v_cmp_lt_i32_e64 s4, v43, v4
	v_cndmask_b32_e64 v59, 0, v59, s4
	;; [unrolled: 2-line block ×4, first 2 shown]
.LBB239_1913:                           ;   in Loop: Header=BB239_1062 Depth=1
	s_or_b32 exec_lo, exec_lo, s13
	flat_load_dword v99, v[19:20] offset:1152
	v_mov_b32_e32 v21, 0
	v_mov_b32_e32 v4, 0
	;; [unrolled: 1-line block ×4, first 2 shown]
	s_waitcnt vmcnt(0) lgkmcnt(0)
	v_cmp_ne_u16_sdwa s4, v99, v9 src0_sel:BYTE_0 src1_sel:DWORD
	s_and_saveexec_b32 s13, s4
	s_cbranch_execz .LBB239_1921
; %bb.1914:                             ;   in Loop: Header=BB239_1062 Depth=1
	v_bfrev_b32_e32 v4, 1
	v_mov_b32_e32 v5, 0
	v_cmp_ne_u16_sdwa s4, v99, v98 src0_sel:BYTE_0 src1_sel:DWORD
	s_and_saveexec_b32 s15, s4
	s_cbranch_execz .LBB239_1920
; %bb.1915:                             ;   in Loop: Header=BB239_1062 Depth=1
	v_mov_b32_e32 v4, 0x7f800001
	v_and_b32_e32 v10, 0x7f, v99
	v_mov_b32_e32 v5, 0
	s_mov_b32 s16, exec_lo
	v_cmpx_ne_u32_e32 0x7f, v10
	s_cbranch_execz .LBB239_1919
; %bb.1916:                             ;   in Loop: Header=BB239_1062 Depth=1
	v_and_b32_e32 v8, 7, v99
	v_lshrrev_b32_e32 v4, 3, v10
	s_mov_b32 s17, exec_lo
	v_cmpx_gt_u32_e32 8, v10
; %bb.1917:                             ;   in Loop: Header=BB239_1062 Depth=1
	v_ffbh_u32_e32 v4, v8
	v_min_u32_e32 v4, 32, v4
	v_subrev_nc_u32_e32 v5, 28, v4
	v_sub_nc_u32_e32 v4, 29, v4
	v_lshlrev_b64 v[23:24], v5, v[8:9]
	v_and_b32_e32 v8, 7, v23
; %bb.1918:                             ;   in Loop: Header=BB239_1062 Depth=1
	s_or_b32 exec_lo, exec_lo, s17
	v_lshlrev_b32_e32 v5, 24, v99
	v_lshlrev_b32_e32 v8, 20, v8
	v_lshl_add_u32 v4, v4, 23, 0x3c000000
	v_and_b32_e32 v5, 0x80000000, v5
	v_or3_b32 v8, v8, v5, v4
	v_mov_b32_e32 v4, v8
	v_mov_b32_e32 v5, v9
.LBB239_1919:                           ;   in Loop: Header=BB239_1062 Depth=1
	s_or_b32 exec_lo, exec_lo, s16
.LBB239_1920:                           ;   in Loop: Header=BB239_1062 Depth=1
	s_or_b32 exec_lo, exec_lo, s15
.LBB239_1921:                           ;   in Loop: Header=BB239_1062 Depth=1
	s_or_b32 exec_lo, exec_lo, s13
	v_cmp_ne_u16_sdwa s4, v99, v9 src0_sel:BYTE_1 src1_sel:DWORD
	s_and_saveexec_b32 s13, s4
	s_cbranch_execz .LBB239_1929
; %bb.1922:                             ;   in Loop: Header=BB239_1062 Depth=1
	v_mov_b32_e32 v10, v9
	v_mov_b32_e32 v22, v11
	v_cmp_ne_u16_sdwa s4, v99, v98 src0_sel:BYTE_1 src1_sel:DWORD
	v_mov_b32_e32 v21, v10
	s_and_saveexec_b32 s15, s4
	s_cbranch_execz .LBB239_1928
; %bb.1923:                             ;   in Loop: Header=BB239_1062 Depth=1
	v_mov_b32_e32 v8, 0xffff
	v_mov_b32_e32 v12, v9
	v_mov_b32_e32 v22, v13
	s_mov_b32 s16, exec_lo
	v_and_b32_sdwa v8, v8, v99 dst_sel:DWORD dst_unused:UNUSED_PAD src0_sel:DWORD src1_sel:BYTE_1
	v_mov_b32_e32 v21, v12
	v_and_b32_e32 v23, 0x7f, v8
	v_cmpx_ne_u32_e32 0x7f, v23
	s_cbranch_execz .LBB239_1927
; %bb.1924:                             ;   in Loop: Header=BB239_1062 Depth=1
	v_and_b32_e32 v8, 7, v8
	v_lshrrev_b32_e32 v10, 3, v23
	s_mov_b32 s17, exec_lo
	v_cmpx_gt_u32_e32 8, v23
; %bb.1925:                             ;   in Loop: Header=BB239_1062 Depth=1
	v_ffbh_u32_e32 v10, v8
	v_min_u32_e32 v10, 32, v10
	v_subrev_nc_u32_e32 v12, 28, v10
	v_sub_nc_u32_e32 v10, 29, v10
	v_lshlrev_b64 v[21:22], v12, v[8:9]
	v_and_b32_e32 v8, 7, v21
; %bb.1926:                             ;   in Loop: Header=BB239_1062 Depth=1
	s_or_b32 exec_lo, exec_lo, s17
	v_lshlrev_b32_e32 v12, 16, v99
	v_lshlrev_b32_e32 v8, 20, v8
	v_lshl_add_u32 v10, v10, 23, 0x3c000000
	v_mov_b32_e32 v21, v9
	v_and_b32_e32 v12, 0x80000000, v12
	v_or3_b32 v22, v8, v12, v10
.LBB239_1927:                           ;   in Loop: Header=BB239_1062 Depth=1
	s_or_b32 exec_lo, exec_lo, s16
.LBB239_1928:                           ;   in Loop: Header=BB239_1062 Depth=1
	s_or_b32 exec_lo, exec_lo, s15
.LBB239_1929:                           ;   in Loop: Header=BB239_1062 Depth=1
	s_or_b32 exec_lo, exec_lo, s13
	v_mov_b32_e32 v23, 0
	v_mov_b32_e32 v25, 0
	v_and_b32_sdwa v8, v99, v100 dst_sel:DWORD dst_unused:UNUSED_PAD src0_sel:WORD_1 src1_sel:DWORD
	v_mov_b32_e32 v24, 0
	v_mov_b32_e32 v26, 0
	s_mov_b32 s13, exec_lo
	v_cmpx_ne_u16_e32 0, v8
	s_cbranch_execz .LBB239_1937
; %bb.1930:                             ;   in Loop: Header=BB239_1062 Depth=1
	v_bfrev_b32_e32 v25, 1
	v_mov_b32_e32 v26, 0
	s_mov_b32 s15, exec_lo
	v_cmpx_ne_u16_e32 0x80, v8
	s_cbranch_execz .LBB239_1936
; %bb.1931:                             ;   in Loop: Header=BB239_1062 Depth=1
	v_mov_b32_e32 v25, 0x7f800001
	v_bfe_u32 v12, v99, 16, 7
	v_mov_b32_e32 v26, 0
	s_mov_b32 s16, exec_lo
	v_cmpx_ne_u32_e32 0x7f, v12
	s_cbranch_execz .LBB239_1935
; %bb.1932:                             ;   in Loop: Header=BB239_1062 Depth=1
	v_mov_b32_e32 v8, 7
	v_lshrrev_b32_e32 v10, 3, v12
	s_mov_b32 s17, exec_lo
	v_and_b32_sdwa v8, v99, v8 dst_sel:DWORD dst_unused:UNUSED_PAD src0_sel:WORD_1 src1_sel:DWORD
	v_cmpx_gt_u32_e32 8, v12
; %bb.1933:                             ;   in Loop: Header=BB239_1062 Depth=1
	v_ffbh_u32_e32 v10, v8
	v_min_u32_e32 v10, 32, v10
	v_subrev_nc_u32_e32 v12, 28, v10
	v_sub_nc_u32_e32 v10, 29, v10
	v_lshlrev_b64 v[25:26], v12, v[8:9]
	v_and_b32_e32 v8, 7, v25
; %bb.1934:                             ;   in Loop: Header=BB239_1062 Depth=1
	s_or_b32 exec_lo, exec_lo, s17
	v_mov_b32_e32 v12, 24
	v_lshlrev_b32_e32 v8, 20, v8
	v_lshl_add_u32 v10, v10, 23, 0x3c000000
	v_lshlrev_b32_sdwa v12, v12, v99 dst_sel:DWORD dst_unused:UNUSED_PAD src0_sel:DWORD src1_sel:WORD_1
	v_and_b32_e32 v12, 0x80000000, v12
	v_or3_b32 v8, v8, v12, v10
	v_mov_b32_e32 v26, v9
	v_mov_b32_e32 v25, v8
.LBB239_1935:                           ;   in Loop: Header=BB239_1062 Depth=1
	s_or_b32 exec_lo, exec_lo, s16
.LBB239_1936:                           ;   in Loop: Header=BB239_1062 Depth=1
	s_or_b32 exec_lo, exec_lo, s15
.LBB239_1937:                           ;   in Loop: Header=BB239_1062 Depth=1
	s_or_b32 exec_lo, exec_lo, s13
	s_mov_b32 s13, exec_lo
	v_cmpx_lt_u32_e32 0xffffff, v99
	s_cbranch_execz .LBB239_1945
; %bb.1938:                             ;   in Loop: Header=BB239_1062 Depth=1
	v_mov_b32_e32 v10, v9
	v_mov_b32_e32 v24, v11
	v_cmp_ne_u32_sdwa s4, v99, v98 src0_sel:BYTE_3 src1_sel:DWORD
	v_mov_b32_e32 v23, v10
	s_and_saveexec_b32 s15, s4
	s_cbranch_execz .LBB239_1944
; %bb.1939:                             ;   in Loop: Header=BB239_1062 Depth=1
	v_mov_b32_e32 v12, v9
	v_mov_b32_e32 v24, v13
	v_bfe_u32 v101, v99, 24, 7
	s_mov_b32 s16, exec_lo
	v_mov_b32_e32 v23, v12
	v_cmpx_ne_u32_e32 0x7f, v101
	s_cbranch_execz .LBB239_1943
; %bb.1940:                             ;   in Loop: Header=BB239_1062 Depth=1
	v_mov_b32_e32 v8, 7
	v_lshrrev_b32_e32 v10, 3, v101
	s_mov_b32 s17, exec_lo
	v_and_b32_sdwa v8, v99, v8 dst_sel:DWORD dst_unused:UNUSED_PAD src0_sel:BYTE_3 src1_sel:DWORD
	v_cmpx_gt_u32_e32 8, v101
; %bb.1941:                             ;   in Loop: Header=BB239_1062 Depth=1
	v_ffbh_u32_e32 v10, v8
	v_min_u32_e32 v10, 32, v10
	v_subrev_nc_u32_e32 v12, 28, v10
	v_sub_nc_u32_e32 v10, 29, v10
	v_lshlrev_b64 v[23:24], v12, v[8:9]
	v_and_b32_e32 v8, 7, v23
; %bb.1942:                             ;   in Loop: Header=BB239_1062 Depth=1
	s_or_b32 exec_lo, exec_lo, s17
	v_mov_b32_e32 v12, 24
	v_lshlrev_b32_e32 v8, 20, v8
	v_lshl_add_u32 v10, v10, 23, 0x3c000000
	v_mov_b32_e32 v23, v9
	v_lshlrev_b32_sdwa v12, v12, v99 dst_sel:DWORD dst_unused:UNUSED_PAD src0_sel:DWORD src1_sel:BYTE_3
	v_and_b32_e32 v12, 0x80000000, v12
	v_or3_b32 v24, v8, v12, v10
.LBB239_1943:                           ;   in Loop: Header=BB239_1062 Depth=1
	s_or_b32 exec_lo, exec_lo, s16
.LBB239_1944:                           ;   in Loop: Header=BB239_1062 Depth=1
	s_or_b32 exec_lo, exec_lo, s15
.LBB239_1945:                           ;   in Loop: Header=BB239_1062 Depth=1
	s_or_b32 exec_lo, exec_lo, s13
	v_or_b32_e32 v5, v22, v5
	v_or_b32_e32 v4, v21, v4
	;; [unrolled: 1-line block ×4, first 2 shown]
	v_mul_f32_e32 v63, v40, v5
	v_mul_f32_e32 v62, v40, v4
	;; [unrolled: 1-line block ×4, first 2 shown]
	s_and_saveexec_b32 s13, vcc_lo
	s_cbranch_execz .LBB239_1947
; %bb.1946:                             ;   in Loop: Header=BB239_1062 Depth=1
	buffer_load_dword v4, off, s[0:3], s32 offset:208 ; 4-byte Folded Reload
	s_waitcnt vmcnt(0)
	v_cmp_lt_i32_e64 s4, v85, v4
	v_cndmask_b32_e64 v62, 0, v62, s4
	v_cmp_lt_i32_e64 s4, v43, v4
	v_cndmask_b32_e64 v63, 0, v63, s4
	;; [unrolled: 2-line block ×4, first 2 shown]
.LBB239_1947:                           ;   in Loop: Header=BB239_1062 Depth=1
	s_or_b32 exec_lo, exec_lo, s13
	flat_load_dword v99, v[19:20] offset:1280
	v_mov_b32_e32 v21, 0
	v_mov_b32_e32 v4, 0
	;; [unrolled: 1-line block ×4, first 2 shown]
	s_waitcnt vmcnt(0) lgkmcnt(0)
	v_cmp_ne_u16_sdwa s4, v99, v9 src0_sel:BYTE_0 src1_sel:DWORD
	s_and_saveexec_b32 s13, s4
	s_cbranch_execz .LBB239_1955
; %bb.1948:                             ;   in Loop: Header=BB239_1062 Depth=1
	v_bfrev_b32_e32 v4, 1
	v_mov_b32_e32 v5, 0
	v_cmp_ne_u16_sdwa s4, v99, v98 src0_sel:BYTE_0 src1_sel:DWORD
	s_and_saveexec_b32 s15, s4
	s_cbranch_execz .LBB239_1954
; %bb.1949:                             ;   in Loop: Header=BB239_1062 Depth=1
	v_mov_b32_e32 v4, 0x7f800001
	v_and_b32_e32 v10, 0x7f, v99
	v_mov_b32_e32 v5, 0
	s_mov_b32 s16, exec_lo
	v_cmpx_ne_u32_e32 0x7f, v10
	s_cbranch_execz .LBB239_1953
; %bb.1950:                             ;   in Loop: Header=BB239_1062 Depth=1
	v_and_b32_e32 v8, 7, v99
	v_lshrrev_b32_e32 v4, 3, v10
	s_mov_b32 s17, exec_lo
	v_cmpx_gt_u32_e32 8, v10
; %bb.1951:                             ;   in Loop: Header=BB239_1062 Depth=1
	v_ffbh_u32_e32 v4, v8
	v_min_u32_e32 v4, 32, v4
	v_subrev_nc_u32_e32 v5, 28, v4
	v_sub_nc_u32_e32 v4, 29, v4
	v_lshlrev_b64 v[23:24], v5, v[8:9]
	v_and_b32_e32 v8, 7, v23
; %bb.1952:                             ;   in Loop: Header=BB239_1062 Depth=1
	s_or_b32 exec_lo, exec_lo, s17
	v_lshlrev_b32_e32 v5, 24, v99
	v_lshlrev_b32_e32 v8, 20, v8
	v_lshl_add_u32 v4, v4, 23, 0x3c000000
	v_and_b32_e32 v5, 0x80000000, v5
	v_or3_b32 v8, v8, v5, v4
	v_mov_b32_e32 v4, v8
	v_mov_b32_e32 v5, v9
.LBB239_1953:                           ;   in Loop: Header=BB239_1062 Depth=1
	s_or_b32 exec_lo, exec_lo, s16
.LBB239_1954:                           ;   in Loop: Header=BB239_1062 Depth=1
	s_or_b32 exec_lo, exec_lo, s15
.LBB239_1955:                           ;   in Loop: Header=BB239_1062 Depth=1
	s_or_b32 exec_lo, exec_lo, s13
	v_cmp_ne_u16_sdwa s4, v99, v9 src0_sel:BYTE_1 src1_sel:DWORD
	s_and_saveexec_b32 s13, s4
	s_cbranch_execz .LBB239_1963
; %bb.1956:                             ;   in Loop: Header=BB239_1062 Depth=1
	v_mov_b32_e32 v10, v9
	v_mov_b32_e32 v22, v11
	v_cmp_ne_u16_sdwa s4, v99, v98 src0_sel:BYTE_1 src1_sel:DWORD
	v_mov_b32_e32 v21, v10
	s_and_saveexec_b32 s15, s4
	s_cbranch_execz .LBB239_1962
; %bb.1957:                             ;   in Loop: Header=BB239_1062 Depth=1
	v_mov_b32_e32 v8, 0xffff
	v_mov_b32_e32 v12, v9
	;; [unrolled: 1-line block ×3, first 2 shown]
	s_mov_b32 s16, exec_lo
	v_and_b32_sdwa v8, v8, v99 dst_sel:DWORD dst_unused:UNUSED_PAD src0_sel:DWORD src1_sel:BYTE_1
	v_mov_b32_e32 v21, v12
	v_and_b32_e32 v23, 0x7f, v8
	v_cmpx_ne_u32_e32 0x7f, v23
	s_cbranch_execz .LBB239_1961
; %bb.1958:                             ;   in Loop: Header=BB239_1062 Depth=1
	v_and_b32_e32 v8, 7, v8
	v_lshrrev_b32_e32 v10, 3, v23
	s_mov_b32 s17, exec_lo
	v_cmpx_gt_u32_e32 8, v23
; %bb.1959:                             ;   in Loop: Header=BB239_1062 Depth=1
	v_ffbh_u32_e32 v10, v8
	v_min_u32_e32 v10, 32, v10
	v_subrev_nc_u32_e32 v12, 28, v10
	v_sub_nc_u32_e32 v10, 29, v10
	v_lshlrev_b64 v[21:22], v12, v[8:9]
	v_and_b32_e32 v8, 7, v21
; %bb.1960:                             ;   in Loop: Header=BB239_1062 Depth=1
	s_or_b32 exec_lo, exec_lo, s17
	v_lshlrev_b32_e32 v12, 16, v99
	v_lshlrev_b32_e32 v8, 20, v8
	v_lshl_add_u32 v10, v10, 23, 0x3c000000
	v_mov_b32_e32 v21, v9
	v_and_b32_e32 v12, 0x80000000, v12
	v_or3_b32 v22, v8, v12, v10
.LBB239_1961:                           ;   in Loop: Header=BB239_1062 Depth=1
	s_or_b32 exec_lo, exec_lo, s16
.LBB239_1962:                           ;   in Loop: Header=BB239_1062 Depth=1
	s_or_b32 exec_lo, exec_lo, s15
.LBB239_1963:                           ;   in Loop: Header=BB239_1062 Depth=1
	s_or_b32 exec_lo, exec_lo, s13
	v_mov_b32_e32 v23, 0
	v_mov_b32_e32 v25, 0
	v_and_b32_sdwa v8, v99, v100 dst_sel:DWORD dst_unused:UNUSED_PAD src0_sel:WORD_1 src1_sel:DWORD
	v_mov_b32_e32 v24, 0
	v_mov_b32_e32 v26, 0
	s_mov_b32 s13, exec_lo
	v_cmpx_ne_u16_e32 0, v8
	s_cbranch_execz .LBB239_1971
; %bb.1964:                             ;   in Loop: Header=BB239_1062 Depth=1
	v_bfrev_b32_e32 v25, 1
	v_mov_b32_e32 v26, 0
	s_mov_b32 s15, exec_lo
	v_cmpx_ne_u16_e32 0x80, v8
	s_cbranch_execz .LBB239_1970
; %bb.1965:                             ;   in Loop: Header=BB239_1062 Depth=1
	v_mov_b32_e32 v25, 0x7f800001
	v_bfe_u32 v12, v99, 16, 7
	v_mov_b32_e32 v26, 0
	s_mov_b32 s16, exec_lo
	v_cmpx_ne_u32_e32 0x7f, v12
	s_cbranch_execz .LBB239_1969
; %bb.1966:                             ;   in Loop: Header=BB239_1062 Depth=1
	v_mov_b32_e32 v8, 7
	v_lshrrev_b32_e32 v10, 3, v12
	s_mov_b32 s17, exec_lo
	v_and_b32_sdwa v8, v99, v8 dst_sel:DWORD dst_unused:UNUSED_PAD src0_sel:WORD_1 src1_sel:DWORD
	v_cmpx_gt_u32_e32 8, v12
; %bb.1967:                             ;   in Loop: Header=BB239_1062 Depth=1
	v_ffbh_u32_e32 v10, v8
	v_min_u32_e32 v10, 32, v10
	v_subrev_nc_u32_e32 v12, 28, v10
	v_sub_nc_u32_e32 v10, 29, v10
	v_lshlrev_b64 v[25:26], v12, v[8:9]
	v_and_b32_e32 v8, 7, v25
; %bb.1968:                             ;   in Loop: Header=BB239_1062 Depth=1
	s_or_b32 exec_lo, exec_lo, s17
	v_mov_b32_e32 v12, 24
	v_lshlrev_b32_e32 v8, 20, v8
	v_lshl_add_u32 v10, v10, 23, 0x3c000000
	v_lshlrev_b32_sdwa v12, v12, v99 dst_sel:DWORD dst_unused:UNUSED_PAD src0_sel:DWORD src1_sel:WORD_1
	v_and_b32_e32 v12, 0x80000000, v12
	v_or3_b32 v8, v8, v12, v10
	v_mov_b32_e32 v26, v9
	v_mov_b32_e32 v25, v8
.LBB239_1969:                           ;   in Loop: Header=BB239_1062 Depth=1
	s_or_b32 exec_lo, exec_lo, s16
.LBB239_1970:                           ;   in Loop: Header=BB239_1062 Depth=1
	s_or_b32 exec_lo, exec_lo, s15
.LBB239_1971:                           ;   in Loop: Header=BB239_1062 Depth=1
	s_or_b32 exec_lo, exec_lo, s13
	s_mov_b32 s13, exec_lo
	v_cmpx_lt_u32_e32 0xffffff, v99
	s_cbranch_execz .LBB239_1979
; %bb.1972:                             ;   in Loop: Header=BB239_1062 Depth=1
	v_mov_b32_e32 v10, v9
	v_mov_b32_e32 v24, v11
	v_cmp_ne_u32_sdwa s4, v99, v98 src0_sel:BYTE_3 src1_sel:DWORD
	v_mov_b32_e32 v23, v10
	s_and_saveexec_b32 s15, s4
	s_cbranch_execz .LBB239_1978
; %bb.1973:                             ;   in Loop: Header=BB239_1062 Depth=1
	v_mov_b32_e32 v12, v9
	v_mov_b32_e32 v24, v13
	v_bfe_u32 v101, v99, 24, 7
	s_mov_b32 s16, exec_lo
	v_mov_b32_e32 v23, v12
	v_cmpx_ne_u32_e32 0x7f, v101
	s_cbranch_execz .LBB239_1977
; %bb.1974:                             ;   in Loop: Header=BB239_1062 Depth=1
	v_mov_b32_e32 v8, 7
	v_lshrrev_b32_e32 v10, 3, v101
	s_mov_b32 s17, exec_lo
	v_and_b32_sdwa v8, v99, v8 dst_sel:DWORD dst_unused:UNUSED_PAD src0_sel:BYTE_3 src1_sel:DWORD
	v_cmpx_gt_u32_e32 8, v101
; %bb.1975:                             ;   in Loop: Header=BB239_1062 Depth=1
	v_ffbh_u32_e32 v10, v8
	v_min_u32_e32 v10, 32, v10
	v_subrev_nc_u32_e32 v12, 28, v10
	v_sub_nc_u32_e32 v10, 29, v10
	v_lshlrev_b64 v[23:24], v12, v[8:9]
	v_and_b32_e32 v8, 7, v23
; %bb.1976:                             ;   in Loop: Header=BB239_1062 Depth=1
	s_or_b32 exec_lo, exec_lo, s17
	v_mov_b32_e32 v12, 24
	v_lshlrev_b32_e32 v8, 20, v8
	v_lshl_add_u32 v10, v10, 23, 0x3c000000
	v_mov_b32_e32 v23, v9
	v_lshlrev_b32_sdwa v12, v12, v99 dst_sel:DWORD dst_unused:UNUSED_PAD src0_sel:DWORD src1_sel:BYTE_3
	v_and_b32_e32 v12, 0x80000000, v12
	v_or3_b32 v24, v8, v12, v10
.LBB239_1977:                           ;   in Loop: Header=BB239_1062 Depth=1
	s_or_b32 exec_lo, exec_lo, s16
.LBB239_1978:                           ;   in Loop: Header=BB239_1062 Depth=1
	s_or_b32 exec_lo, exec_lo, s15
.LBB239_1979:                           ;   in Loop: Header=BB239_1062 Depth=1
	s_or_b32 exec_lo, exec_lo, s13
	v_or_b32_e32 v5, v22, v5
	v_or_b32_e32 v4, v21, v4
	;; [unrolled: 1-line block ×4, first 2 shown]
	v_mul_f32_e32 v75, v40, v5
	v_mul_f32_e32 v74, v40, v4
	;; [unrolled: 1-line block ×4, first 2 shown]
	s_and_saveexec_b32 s13, vcc_lo
	s_cbranch_execz .LBB239_1981
; %bb.1980:                             ;   in Loop: Header=BB239_1062 Depth=1
	buffer_load_dword v4, off, s[0:3], s32 offset:208 ; 4-byte Folded Reload
	s_waitcnt vmcnt(0)
	v_cmp_lt_i32_e64 s4, v85, v4
	v_cndmask_b32_e64 v74, 0, v74, s4
	v_cmp_lt_i32_e64 s4, v43, v4
	v_cndmask_b32_e64 v75, 0, v75, s4
	;; [unrolled: 2-line block ×4, first 2 shown]
.LBB239_1981:                           ;   in Loop: Header=BB239_1062 Depth=1
	s_or_b32 exec_lo, exec_lo, s13
	flat_load_dword v99, v[19:20] offset:1408
	v_mov_b32_e32 v21, 0
	v_mov_b32_e32 v4, 0
	;; [unrolled: 1-line block ×4, first 2 shown]
	s_waitcnt vmcnt(0) lgkmcnt(0)
	v_cmp_ne_u16_sdwa s4, v99, v9 src0_sel:BYTE_0 src1_sel:DWORD
	s_and_saveexec_b32 s13, s4
	s_cbranch_execz .LBB239_1989
; %bb.1982:                             ;   in Loop: Header=BB239_1062 Depth=1
	v_bfrev_b32_e32 v4, 1
	v_mov_b32_e32 v5, 0
	v_cmp_ne_u16_sdwa s4, v99, v98 src0_sel:BYTE_0 src1_sel:DWORD
	s_and_saveexec_b32 s15, s4
	s_cbranch_execz .LBB239_1988
; %bb.1983:                             ;   in Loop: Header=BB239_1062 Depth=1
	v_mov_b32_e32 v4, 0x7f800001
	v_and_b32_e32 v10, 0x7f, v99
	v_mov_b32_e32 v5, 0
	s_mov_b32 s16, exec_lo
	v_cmpx_ne_u32_e32 0x7f, v10
	s_cbranch_execz .LBB239_1987
; %bb.1984:                             ;   in Loop: Header=BB239_1062 Depth=1
	v_and_b32_e32 v8, 7, v99
	v_lshrrev_b32_e32 v4, 3, v10
	s_mov_b32 s17, exec_lo
	v_cmpx_gt_u32_e32 8, v10
; %bb.1985:                             ;   in Loop: Header=BB239_1062 Depth=1
	v_ffbh_u32_e32 v4, v8
	v_min_u32_e32 v4, 32, v4
	v_subrev_nc_u32_e32 v5, 28, v4
	v_sub_nc_u32_e32 v4, 29, v4
	v_lshlrev_b64 v[23:24], v5, v[8:9]
	v_and_b32_e32 v8, 7, v23
; %bb.1986:                             ;   in Loop: Header=BB239_1062 Depth=1
	s_or_b32 exec_lo, exec_lo, s17
	v_lshlrev_b32_e32 v5, 24, v99
	v_lshlrev_b32_e32 v8, 20, v8
	v_lshl_add_u32 v4, v4, 23, 0x3c000000
	v_and_b32_e32 v5, 0x80000000, v5
	v_or3_b32 v8, v8, v5, v4
	v_mov_b32_e32 v4, v8
	v_mov_b32_e32 v5, v9
.LBB239_1987:                           ;   in Loop: Header=BB239_1062 Depth=1
	s_or_b32 exec_lo, exec_lo, s16
.LBB239_1988:                           ;   in Loop: Header=BB239_1062 Depth=1
	s_or_b32 exec_lo, exec_lo, s15
.LBB239_1989:                           ;   in Loop: Header=BB239_1062 Depth=1
	s_or_b32 exec_lo, exec_lo, s13
	v_cmp_ne_u16_sdwa s4, v99, v9 src0_sel:BYTE_1 src1_sel:DWORD
	s_and_saveexec_b32 s13, s4
	s_cbranch_execz .LBB239_1997
; %bb.1990:                             ;   in Loop: Header=BB239_1062 Depth=1
	v_mov_b32_e32 v10, v9
	v_mov_b32_e32 v22, v11
	v_cmp_ne_u16_sdwa s4, v99, v98 src0_sel:BYTE_1 src1_sel:DWORD
	v_mov_b32_e32 v21, v10
	s_and_saveexec_b32 s15, s4
	s_cbranch_execz .LBB239_1996
; %bb.1991:                             ;   in Loop: Header=BB239_1062 Depth=1
	v_mov_b32_e32 v8, 0xffff
	v_mov_b32_e32 v12, v9
	;; [unrolled: 1-line block ×3, first 2 shown]
	s_mov_b32 s16, exec_lo
	v_and_b32_sdwa v8, v8, v99 dst_sel:DWORD dst_unused:UNUSED_PAD src0_sel:DWORD src1_sel:BYTE_1
	v_mov_b32_e32 v21, v12
	v_and_b32_e32 v23, 0x7f, v8
	v_cmpx_ne_u32_e32 0x7f, v23
	s_cbranch_execz .LBB239_1995
; %bb.1992:                             ;   in Loop: Header=BB239_1062 Depth=1
	v_and_b32_e32 v8, 7, v8
	v_lshrrev_b32_e32 v10, 3, v23
	s_mov_b32 s17, exec_lo
	v_cmpx_gt_u32_e32 8, v23
; %bb.1993:                             ;   in Loop: Header=BB239_1062 Depth=1
	v_ffbh_u32_e32 v10, v8
	v_min_u32_e32 v10, 32, v10
	v_subrev_nc_u32_e32 v12, 28, v10
	v_sub_nc_u32_e32 v10, 29, v10
	v_lshlrev_b64 v[21:22], v12, v[8:9]
	v_and_b32_e32 v8, 7, v21
; %bb.1994:                             ;   in Loop: Header=BB239_1062 Depth=1
	s_or_b32 exec_lo, exec_lo, s17
	v_lshlrev_b32_e32 v12, 16, v99
	v_lshlrev_b32_e32 v8, 20, v8
	v_lshl_add_u32 v10, v10, 23, 0x3c000000
	v_mov_b32_e32 v21, v9
	v_and_b32_e32 v12, 0x80000000, v12
	v_or3_b32 v22, v8, v12, v10
.LBB239_1995:                           ;   in Loop: Header=BB239_1062 Depth=1
	s_or_b32 exec_lo, exec_lo, s16
.LBB239_1996:                           ;   in Loop: Header=BB239_1062 Depth=1
	s_or_b32 exec_lo, exec_lo, s15
.LBB239_1997:                           ;   in Loop: Header=BB239_1062 Depth=1
	s_or_b32 exec_lo, exec_lo, s13
	v_mov_b32_e32 v23, 0
	v_mov_b32_e32 v25, 0
	v_and_b32_sdwa v8, v99, v100 dst_sel:DWORD dst_unused:UNUSED_PAD src0_sel:WORD_1 src1_sel:DWORD
	v_mov_b32_e32 v24, 0
	v_mov_b32_e32 v26, 0
	s_mov_b32 s13, exec_lo
	v_cmpx_ne_u16_e32 0, v8
	s_cbranch_execz .LBB239_2005
; %bb.1998:                             ;   in Loop: Header=BB239_1062 Depth=1
	v_bfrev_b32_e32 v25, 1
	v_mov_b32_e32 v26, 0
	s_mov_b32 s15, exec_lo
	v_cmpx_ne_u16_e32 0x80, v8
	s_cbranch_execz .LBB239_2004
; %bb.1999:                             ;   in Loop: Header=BB239_1062 Depth=1
	v_mov_b32_e32 v25, 0x7f800001
	v_bfe_u32 v12, v99, 16, 7
	v_mov_b32_e32 v26, 0
	s_mov_b32 s16, exec_lo
	v_cmpx_ne_u32_e32 0x7f, v12
	s_cbranch_execz .LBB239_2003
; %bb.2000:                             ;   in Loop: Header=BB239_1062 Depth=1
	v_mov_b32_e32 v8, 7
	v_lshrrev_b32_e32 v10, 3, v12
	s_mov_b32 s17, exec_lo
	v_and_b32_sdwa v8, v99, v8 dst_sel:DWORD dst_unused:UNUSED_PAD src0_sel:WORD_1 src1_sel:DWORD
	v_cmpx_gt_u32_e32 8, v12
; %bb.2001:                             ;   in Loop: Header=BB239_1062 Depth=1
	v_ffbh_u32_e32 v10, v8
	v_min_u32_e32 v10, 32, v10
	v_subrev_nc_u32_e32 v12, 28, v10
	v_sub_nc_u32_e32 v10, 29, v10
	v_lshlrev_b64 v[25:26], v12, v[8:9]
	v_and_b32_e32 v8, 7, v25
; %bb.2002:                             ;   in Loop: Header=BB239_1062 Depth=1
	s_or_b32 exec_lo, exec_lo, s17
	v_mov_b32_e32 v12, 24
	v_lshlrev_b32_e32 v8, 20, v8
	v_lshl_add_u32 v10, v10, 23, 0x3c000000
	v_lshlrev_b32_sdwa v12, v12, v99 dst_sel:DWORD dst_unused:UNUSED_PAD src0_sel:DWORD src1_sel:WORD_1
	v_and_b32_e32 v12, 0x80000000, v12
	v_or3_b32 v8, v8, v12, v10
	v_mov_b32_e32 v26, v9
	v_mov_b32_e32 v25, v8
.LBB239_2003:                           ;   in Loop: Header=BB239_1062 Depth=1
	s_or_b32 exec_lo, exec_lo, s16
.LBB239_2004:                           ;   in Loop: Header=BB239_1062 Depth=1
	s_or_b32 exec_lo, exec_lo, s15
.LBB239_2005:                           ;   in Loop: Header=BB239_1062 Depth=1
	s_or_b32 exec_lo, exec_lo, s13
	s_mov_b32 s13, exec_lo
	v_cmpx_lt_u32_e32 0xffffff, v99
	s_cbranch_execz .LBB239_2013
; %bb.2006:                             ;   in Loop: Header=BB239_1062 Depth=1
	v_mov_b32_e32 v10, v9
	v_mov_b32_e32 v24, v11
	v_cmp_ne_u32_sdwa s4, v99, v98 src0_sel:BYTE_3 src1_sel:DWORD
	v_mov_b32_e32 v23, v10
	s_and_saveexec_b32 s15, s4
	s_cbranch_execz .LBB239_2012
; %bb.2007:                             ;   in Loop: Header=BB239_1062 Depth=1
	v_mov_b32_e32 v12, v9
	v_mov_b32_e32 v24, v13
	v_bfe_u32 v101, v99, 24, 7
	s_mov_b32 s16, exec_lo
	v_mov_b32_e32 v23, v12
	v_cmpx_ne_u32_e32 0x7f, v101
	s_cbranch_execz .LBB239_2011
; %bb.2008:                             ;   in Loop: Header=BB239_1062 Depth=1
	v_mov_b32_e32 v8, 7
	v_lshrrev_b32_e32 v10, 3, v101
	s_mov_b32 s17, exec_lo
	v_and_b32_sdwa v8, v99, v8 dst_sel:DWORD dst_unused:UNUSED_PAD src0_sel:BYTE_3 src1_sel:DWORD
	v_cmpx_gt_u32_e32 8, v101
; %bb.2009:                             ;   in Loop: Header=BB239_1062 Depth=1
	v_ffbh_u32_e32 v10, v8
	v_min_u32_e32 v10, 32, v10
	v_subrev_nc_u32_e32 v12, 28, v10
	v_sub_nc_u32_e32 v10, 29, v10
	v_lshlrev_b64 v[23:24], v12, v[8:9]
	v_and_b32_e32 v8, 7, v23
; %bb.2010:                             ;   in Loop: Header=BB239_1062 Depth=1
	s_or_b32 exec_lo, exec_lo, s17
	v_mov_b32_e32 v12, 24
	v_lshlrev_b32_e32 v8, 20, v8
	v_lshl_add_u32 v10, v10, 23, 0x3c000000
	v_mov_b32_e32 v23, v9
	v_lshlrev_b32_sdwa v12, v12, v99 dst_sel:DWORD dst_unused:UNUSED_PAD src0_sel:DWORD src1_sel:BYTE_3
	v_and_b32_e32 v12, 0x80000000, v12
	v_or3_b32 v24, v8, v12, v10
.LBB239_2011:                           ;   in Loop: Header=BB239_1062 Depth=1
	s_or_b32 exec_lo, exec_lo, s16
.LBB239_2012:                           ;   in Loop: Header=BB239_1062 Depth=1
	s_or_b32 exec_lo, exec_lo, s15
.LBB239_2013:                           ;   in Loop: Header=BB239_1062 Depth=1
	s_or_b32 exec_lo, exec_lo, s13
	v_or_b32_e32 v5, v22, v5
	v_or_b32_e32 v4, v21, v4
	;; [unrolled: 1-line block ×4, first 2 shown]
	v_mul_f32_e32 v79, v40, v5
	v_mul_f32_e32 v78, v40, v4
	;; [unrolled: 1-line block ×4, first 2 shown]
	s_and_saveexec_b32 s13, vcc_lo
	s_cbranch_execz .LBB239_2015
; %bb.2014:                             ;   in Loop: Header=BB239_1062 Depth=1
	buffer_load_dword v4, off, s[0:3], s32 offset:208 ; 4-byte Folded Reload
	s_waitcnt vmcnt(0)
	v_cmp_lt_i32_e64 s4, v85, v4
	v_cndmask_b32_e64 v78, 0, v78, s4
	v_cmp_lt_i32_e64 s4, v43, v4
	v_cndmask_b32_e64 v79, 0, v79, s4
	;; [unrolled: 2-line block ×4, first 2 shown]
.LBB239_2015:                           ;   in Loop: Header=BB239_1062 Depth=1
	s_or_b32 exec_lo, exec_lo, s13
	flat_load_dword v99, v[19:20] offset:1536
	v_mov_b32_e32 v21, 0
	v_mov_b32_e32 v4, 0
	;; [unrolled: 1-line block ×4, first 2 shown]
	s_waitcnt vmcnt(0) lgkmcnt(0)
	v_cmp_ne_u16_sdwa s4, v99, v9 src0_sel:BYTE_0 src1_sel:DWORD
	s_and_saveexec_b32 s13, s4
	s_cbranch_execz .LBB239_2023
; %bb.2016:                             ;   in Loop: Header=BB239_1062 Depth=1
	v_bfrev_b32_e32 v4, 1
	v_mov_b32_e32 v5, 0
	v_cmp_ne_u16_sdwa s4, v99, v98 src0_sel:BYTE_0 src1_sel:DWORD
	s_and_saveexec_b32 s15, s4
	s_cbranch_execz .LBB239_2022
; %bb.2017:                             ;   in Loop: Header=BB239_1062 Depth=1
	v_mov_b32_e32 v4, 0x7f800001
	v_and_b32_e32 v10, 0x7f, v99
	v_mov_b32_e32 v5, 0
	s_mov_b32 s16, exec_lo
	v_cmpx_ne_u32_e32 0x7f, v10
	s_cbranch_execz .LBB239_2021
; %bb.2018:                             ;   in Loop: Header=BB239_1062 Depth=1
	v_and_b32_e32 v8, 7, v99
	v_lshrrev_b32_e32 v4, 3, v10
	s_mov_b32 s17, exec_lo
	v_cmpx_gt_u32_e32 8, v10
; %bb.2019:                             ;   in Loop: Header=BB239_1062 Depth=1
	v_ffbh_u32_e32 v4, v8
	v_min_u32_e32 v4, 32, v4
	v_subrev_nc_u32_e32 v5, 28, v4
	v_sub_nc_u32_e32 v4, 29, v4
	v_lshlrev_b64 v[23:24], v5, v[8:9]
	v_and_b32_e32 v8, 7, v23
; %bb.2020:                             ;   in Loop: Header=BB239_1062 Depth=1
	s_or_b32 exec_lo, exec_lo, s17
	v_lshlrev_b32_e32 v5, 24, v99
	v_lshlrev_b32_e32 v8, 20, v8
	v_lshl_add_u32 v4, v4, 23, 0x3c000000
	v_and_b32_e32 v5, 0x80000000, v5
	v_or3_b32 v8, v8, v5, v4
	v_mov_b32_e32 v4, v8
	v_mov_b32_e32 v5, v9
.LBB239_2021:                           ;   in Loop: Header=BB239_1062 Depth=1
	s_or_b32 exec_lo, exec_lo, s16
.LBB239_2022:                           ;   in Loop: Header=BB239_1062 Depth=1
	s_or_b32 exec_lo, exec_lo, s15
.LBB239_2023:                           ;   in Loop: Header=BB239_1062 Depth=1
	s_or_b32 exec_lo, exec_lo, s13
	v_cmp_ne_u16_sdwa s4, v99, v9 src0_sel:BYTE_1 src1_sel:DWORD
	s_and_saveexec_b32 s13, s4
	s_cbranch_execz .LBB239_2031
; %bb.2024:                             ;   in Loop: Header=BB239_1062 Depth=1
	v_mov_b32_e32 v10, v9
	v_mov_b32_e32 v22, v11
	v_cmp_ne_u16_sdwa s4, v99, v98 src0_sel:BYTE_1 src1_sel:DWORD
	v_mov_b32_e32 v21, v10
	s_and_saveexec_b32 s15, s4
	s_cbranch_execz .LBB239_2030
; %bb.2025:                             ;   in Loop: Header=BB239_1062 Depth=1
	v_mov_b32_e32 v8, 0xffff
	v_mov_b32_e32 v12, v9
	;; [unrolled: 1-line block ×3, first 2 shown]
	s_mov_b32 s16, exec_lo
	v_and_b32_sdwa v8, v8, v99 dst_sel:DWORD dst_unused:UNUSED_PAD src0_sel:DWORD src1_sel:BYTE_1
	v_mov_b32_e32 v21, v12
	v_and_b32_e32 v23, 0x7f, v8
	v_cmpx_ne_u32_e32 0x7f, v23
	s_cbranch_execz .LBB239_2029
; %bb.2026:                             ;   in Loop: Header=BB239_1062 Depth=1
	v_and_b32_e32 v8, 7, v8
	v_lshrrev_b32_e32 v10, 3, v23
	s_mov_b32 s17, exec_lo
	v_cmpx_gt_u32_e32 8, v23
; %bb.2027:                             ;   in Loop: Header=BB239_1062 Depth=1
	v_ffbh_u32_e32 v10, v8
	v_min_u32_e32 v10, 32, v10
	v_subrev_nc_u32_e32 v12, 28, v10
	v_sub_nc_u32_e32 v10, 29, v10
	v_lshlrev_b64 v[21:22], v12, v[8:9]
	v_and_b32_e32 v8, 7, v21
; %bb.2028:                             ;   in Loop: Header=BB239_1062 Depth=1
	s_or_b32 exec_lo, exec_lo, s17
	v_lshlrev_b32_e32 v12, 16, v99
	v_lshlrev_b32_e32 v8, 20, v8
	v_lshl_add_u32 v10, v10, 23, 0x3c000000
	v_mov_b32_e32 v21, v9
	v_and_b32_e32 v12, 0x80000000, v12
	v_or3_b32 v22, v8, v12, v10
.LBB239_2029:                           ;   in Loop: Header=BB239_1062 Depth=1
	s_or_b32 exec_lo, exec_lo, s16
.LBB239_2030:                           ;   in Loop: Header=BB239_1062 Depth=1
	s_or_b32 exec_lo, exec_lo, s15
.LBB239_2031:                           ;   in Loop: Header=BB239_1062 Depth=1
	s_or_b32 exec_lo, exec_lo, s13
	v_mov_b32_e32 v23, 0
	v_mov_b32_e32 v25, 0
	v_and_b32_sdwa v8, v99, v100 dst_sel:DWORD dst_unused:UNUSED_PAD src0_sel:WORD_1 src1_sel:DWORD
	v_mov_b32_e32 v24, 0
	v_mov_b32_e32 v26, 0
	s_mov_b32 s13, exec_lo
	v_cmpx_ne_u16_e32 0, v8
	s_cbranch_execz .LBB239_2039
; %bb.2032:                             ;   in Loop: Header=BB239_1062 Depth=1
	v_bfrev_b32_e32 v25, 1
	v_mov_b32_e32 v26, 0
	s_mov_b32 s15, exec_lo
	v_cmpx_ne_u16_e32 0x80, v8
	s_cbranch_execz .LBB239_2038
; %bb.2033:                             ;   in Loop: Header=BB239_1062 Depth=1
	v_mov_b32_e32 v25, 0x7f800001
	v_bfe_u32 v12, v99, 16, 7
	v_mov_b32_e32 v26, 0
	s_mov_b32 s16, exec_lo
	v_cmpx_ne_u32_e32 0x7f, v12
	s_cbranch_execz .LBB239_2037
; %bb.2034:                             ;   in Loop: Header=BB239_1062 Depth=1
	v_mov_b32_e32 v8, 7
	v_lshrrev_b32_e32 v10, 3, v12
	s_mov_b32 s17, exec_lo
	v_and_b32_sdwa v8, v99, v8 dst_sel:DWORD dst_unused:UNUSED_PAD src0_sel:WORD_1 src1_sel:DWORD
	v_cmpx_gt_u32_e32 8, v12
; %bb.2035:                             ;   in Loop: Header=BB239_1062 Depth=1
	v_ffbh_u32_e32 v10, v8
	v_min_u32_e32 v10, 32, v10
	v_subrev_nc_u32_e32 v12, 28, v10
	v_sub_nc_u32_e32 v10, 29, v10
	v_lshlrev_b64 v[25:26], v12, v[8:9]
	v_and_b32_e32 v8, 7, v25
; %bb.2036:                             ;   in Loop: Header=BB239_1062 Depth=1
	s_or_b32 exec_lo, exec_lo, s17
	v_mov_b32_e32 v12, 24
	v_lshlrev_b32_e32 v8, 20, v8
	v_lshl_add_u32 v10, v10, 23, 0x3c000000
	v_lshlrev_b32_sdwa v12, v12, v99 dst_sel:DWORD dst_unused:UNUSED_PAD src0_sel:DWORD src1_sel:WORD_1
	v_and_b32_e32 v12, 0x80000000, v12
	v_or3_b32 v8, v8, v12, v10
	v_mov_b32_e32 v26, v9
	v_mov_b32_e32 v25, v8
.LBB239_2037:                           ;   in Loop: Header=BB239_1062 Depth=1
	s_or_b32 exec_lo, exec_lo, s16
.LBB239_2038:                           ;   in Loop: Header=BB239_1062 Depth=1
	s_or_b32 exec_lo, exec_lo, s15
.LBB239_2039:                           ;   in Loop: Header=BB239_1062 Depth=1
	s_or_b32 exec_lo, exec_lo, s13
	s_mov_b32 s13, exec_lo
	v_cmpx_lt_u32_e32 0xffffff, v99
	s_cbranch_execz .LBB239_2047
; %bb.2040:                             ;   in Loop: Header=BB239_1062 Depth=1
	v_mov_b32_e32 v10, v9
	v_mov_b32_e32 v24, v11
	v_cmp_ne_u32_sdwa s4, v99, v98 src0_sel:BYTE_3 src1_sel:DWORD
	v_mov_b32_e32 v23, v10
	s_and_saveexec_b32 s15, s4
	s_cbranch_execz .LBB239_2046
; %bb.2041:                             ;   in Loop: Header=BB239_1062 Depth=1
	v_mov_b32_e32 v12, v9
	v_mov_b32_e32 v24, v13
	v_bfe_u32 v101, v99, 24, 7
	s_mov_b32 s16, exec_lo
	v_mov_b32_e32 v23, v12
	v_cmpx_ne_u32_e32 0x7f, v101
	s_cbranch_execz .LBB239_2045
; %bb.2042:                             ;   in Loop: Header=BB239_1062 Depth=1
	v_mov_b32_e32 v8, 7
	v_lshrrev_b32_e32 v10, 3, v101
	s_mov_b32 s17, exec_lo
	v_and_b32_sdwa v8, v99, v8 dst_sel:DWORD dst_unused:UNUSED_PAD src0_sel:BYTE_3 src1_sel:DWORD
	v_cmpx_gt_u32_e32 8, v101
; %bb.2043:                             ;   in Loop: Header=BB239_1062 Depth=1
	v_ffbh_u32_e32 v10, v8
	v_min_u32_e32 v10, 32, v10
	v_subrev_nc_u32_e32 v12, 28, v10
	v_sub_nc_u32_e32 v10, 29, v10
	v_lshlrev_b64 v[23:24], v12, v[8:9]
	v_and_b32_e32 v8, 7, v23
; %bb.2044:                             ;   in Loop: Header=BB239_1062 Depth=1
	s_or_b32 exec_lo, exec_lo, s17
	v_mov_b32_e32 v12, 24
	v_lshlrev_b32_e32 v8, 20, v8
	v_lshl_add_u32 v10, v10, 23, 0x3c000000
	v_mov_b32_e32 v23, v9
	v_lshlrev_b32_sdwa v12, v12, v99 dst_sel:DWORD dst_unused:UNUSED_PAD src0_sel:DWORD src1_sel:BYTE_3
	v_and_b32_e32 v12, 0x80000000, v12
	v_or3_b32 v24, v8, v12, v10
.LBB239_2045:                           ;   in Loop: Header=BB239_1062 Depth=1
	s_or_b32 exec_lo, exec_lo, s16
.LBB239_2046:                           ;   in Loop: Header=BB239_1062 Depth=1
	s_or_b32 exec_lo, exec_lo, s15
.LBB239_2047:                           ;   in Loop: Header=BB239_1062 Depth=1
	s_or_b32 exec_lo, exec_lo, s13
	v_or_b32_e32 v5, v22, v5
	v_or_b32_e32 v4, v21, v4
	;; [unrolled: 1-line block ×4, first 2 shown]
	v_mul_f32_e32 v91, v40, v5
	v_mul_f32_e32 v90, v40, v4
	;; [unrolled: 1-line block ×4, first 2 shown]
	s_and_saveexec_b32 s13, vcc_lo
	s_cbranch_execz .LBB239_2049
; %bb.2048:                             ;   in Loop: Header=BB239_1062 Depth=1
	buffer_load_dword v4, off, s[0:3], s32 offset:208 ; 4-byte Folded Reload
	s_waitcnt vmcnt(0)
	v_cmp_lt_i32_e64 s4, v85, v4
	v_cndmask_b32_e64 v90, 0, v90, s4
	v_cmp_lt_i32_e64 s4, v43, v4
	v_cndmask_b32_e64 v91, 0, v91, s4
	;; [unrolled: 2-line block ×4, first 2 shown]
.LBB239_2049:                           ;   in Loop: Header=BB239_1062 Depth=1
	s_or_b32 exec_lo, exec_lo, s13
	flat_load_dword v99, v[19:20] offset:1664
	v_mov_b32_e32 v21, 0
	v_mov_b32_e32 v4, 0
	;; [unrolled: 1-line block ×4, first 2 shown]
	s_waitcnt vmcnt(0) lgkmcnt(0)
	v_cmp_ne_u16_sdwa s4, v99, v9 src0_sel:BYTE_0 src1_sel:DWORD
	s_and_saveexec_b32 s13, s4
	s_cbranch_execz .LBB239_2057
; %bb.2050:                             ;   in Loop: Header=BB239_1062 Depth=1
	v_bfrev_b32_e32 v4, 1
	v_mov_b32_e32 v5, 0
	v_cmp_ne_u16_sdwa s4, v99, v98 src0_sel:BYTE_0 src1_sel:DWORD
	s_and_saveexec_b32 s15, s4
	s_cbranch_execz .LBB239_2056
; %bb.2051:                             ;   in Loop: Header=BB239_1062 Depth=1
	v_mov_b32_e32 v4, 0x7f800001
	v_and_b32_e32 v10, 0x7f, v99
	v_mov_b32_e32 v5, 0
	s_mov_b32 s16, exec_lo
	v_cmpx_ne_u32_e32 0x7f, v10
	s_cbranch_execz .LBB239_2055
; %bb.2052:                             ;   in Loop: Header=BB239_1062 Depth=1
	v_and_b32_e32 v8, 7, v99
	v_lshrrev_b32_e32 v4, 3, v10
	s_mov_b32 s17, exec_lo
	v_cmpx_gt_u32_e32 8, v10
; %bb.2053:                             ;   in Loop: Header=BB239_1062 Depth=1
	v_ffbh_u32_e32 v4, v8
	v_min_u32_e32 v4, 32, v4
	v_subrev_nc_u32_e32 v5, 28, v4
	v_sub_nc_u32_e32 v4, 29, v4
	v_lshlrev_b64 v[23:24], v5, v[8:9]
	v_and_b32_e32 v8, 7, v23
; %bb.2054:                             ;   in Loop: Header=BB239_1062 Depth=1
	s_or_b32 exec_lo, exec_lo, s17
	v_lshlrev_b32_e32 v5, 24, v99
	v_lshlrev_b32_e32 v8, 20, v8
	v_lshl_add_u32 v4, v4, 23, 0x3c000000
	v_and_b32_e32 v5, 0x80000000, v5
	v_or3_b32 v8, v8, v5, v4
	v_mov_b32_e32 v4, v8
	v_mov_b32_e32 v5, v9
.LBB239_2055:                           ;   in Loop: Header=BB239_1062 Depth=1
	s_or_b32 exec_lo, exec_lo, s16
.LBB239_2056:                           ;   in Loop: Header=BB239_1062 Depth=1
	s_or_b32 exec_lo, exec_lo, s15
.LBB239_2057:                           ;   in Loop: Header=BB239_1062 Depth=1
	s_or_b32 exec_lo, exec_lo, s13
	v_cmp_ne_u16_sdwa s4, v99, v9 src0_sel:BYTE_1 src1_sel:DWORD
	s_and_saveexec_b32 s13, s4
	s_cbranch_execz .LBB239_2065
; %bb.2058:                             ;   in Loop: Header=BB239_1062 Depth=1
	v_mov_b32_e32 v10, v9
	v_mov_b32_e32 v22, v11
	v_cmp_ne_u16_sdwa s4, v99, v98 src0_sel:BYTE_1 src1_sel:DWORD
	v_mov_b32_e32 v21, v10
	s_and_saveexec_b32 s15, s4
	s_cbranch_execz .LBB239_2064
; %bb.2059:                             ;   in Loop: Header=BB239_1062 Depth=1
	v_mov_b32_e32 v8, 0xffff
	v_mov_b32_e32 v12, v9
	;; [unrolled: 1-line block ×3, first 2 shown]
	s_mov_b32 s16, exec_lo
	v_and_b32_sdwa v8, v8, v99 dst_sel:DWORD dst_unused:UNUSED_PAD src0_sel:DWORD src1_sel:BYTE_1
	v_mov_b32_e32 v21, v12
	v_and_b32_e32 v23, 0x7f, v8
	v_cmpx_ne_u32_e32 0x7f, v23
	s_cbranch_execz .LBB239_2063
; %bb.2060:                             ;   in Loop: Header=BB239_1062 Depth=1
	v_and_b32_e32 v8, 7, v8
	v_lshrrev_b32_e32 v10, 3, v23
	s_mov_b32 s17, exec_lo
	v_cmpx_gt_u32_e32 8, v23
; %bb.2061:                             ;   in Loop: Header=BB239_1062 Depth=1
	v_ffbh_u32_e32 v10, v8
	v_min_u32_e32 v10, 32, v10
	v_subrev_nc_u32_e32 v12, 28, v10
	v_sub_nc_u32_e32 v10, 29, v10
	v_lshlrev_b64 v[21:22], v12, v[8:9]
	v_and_b32_e32 v8, 7, v21
; %bb.2062:                             ;   in Loop: Header=BB239_1062 Depth=1
	s_or_b32 exec_lo, exec_lo, s17
	v_lshlrev_b32_e32 v12, 16, v99
	v_lshlrev_b32_e32 v8, 20, v8
	v_lshl_add_u32 v10, v10, 23, 0x3c000000
	v_mov_b32_e32 v21, v9
	v_and_b32_e32 v12, 0x80000000, v12
	v_or3_b32 v22, v8, v12, v10
.LBB239_2063:                           ;   in Loop: Header=BB239_1062 Depth=1
	s_or_b32 exec_lo, exec_lo, s16
.LBB239_2064:                           ;   in Loop: Header=BB239_1062 Depth=1
	s_or_b32 exec_lo, exec_lo, s15
.LBB239_2065:                           ;   in Loop: Header=BB239_1062 Depth=1
	s_or_b32 exec_lo, exec_lo, s13
	v_mov_b32_e32 v23, 0
	v_mov_b32_e32 v25, 0
	v_and_b32_sdwa v8, v99, v100 dst_sel:DWORD dst_unused:UNUSED_PAD src0_sel:WORD_1 src1_sel:DWORD
	v_mov_b32_e32 v24, 0
	v_mov_b32_e32 v26, 0
	s_mov_b32 s13, exec_lo
	v_cmpx_ne_u16_e32 0, v8
	s_cbranch_execz .LBB239_2073
; %bb.2066:                             ;   in Loop: Header=BB239_1062 Depth=1
	v_bfrev_b32_e32 v25, 1
	v_mov_b32_e32 v26, 0
	s_mov_b32 s15, exec_lo
	v_cmpx_ne_u16_e32 0x80, v8
	s_cbranch_execz .LBB239_2072
; %bb.2067:                             ;   in Loop: Header=BB239_1062 Depth=1
	v_mov_b32_e32 v25, 0x7f800001
	v_bfe_u32 v12, v99, 16, 7
	v_mov_b32_e32 v26, 0
	s_mov_b32 s16, exec_lo
	v_cmpx_ne_u32_e32 0x7f, v12
	s_cbranch_execz .LBB239_2071
; %bb.2068:                             ;   in Loop: Header=BB239_1062 Depth=1
	v_mov_b32_e32 v8, 7
	v_lshrrev_b32_e32 v10, 3, v12
	s_mov_b32 s17, exec_lo
	v_and_b32_sdwa v8, v99, v8 dst_sel:DWORD dst_unused:UNUSED_PAD src0_sel:WORD_1 src1_sel:DWORD
	v_cmpx_gt_u32_e32 8, v12
; %bb.2069:                             ;   in Loop: Header=BB239_1062 Depth=1
	v_ffbh_u32_e32 v10, v8
	v_min_u32_e32 v10, 32, v10
	v_subrev_nc_u32_e32 v12, 28, v10
	v_sub_nc_u32_e32 v10, 29, v10
	v_lshlrev_b64 v[25:26], v12, v[8:9]
	v_and_b32_e32 v8, 7, v25
; %bb.2070:                             ;   in Loop: Header=BB239_1062 Depth=1
	s_or_b32 exec_lo, exec_lo, s17
	v_mov_b32_e32 v12, 24
	v_lshlrev_b32_e32 v8, 20, v8
	v_lshl_add_u32 v10, v10, 23, 0x3c000000
	v_lshlrev_b32_sdwa v12, v12, v99 dst_sel:DWORD dst_unused:UNUSED_PAD src0_sel:DWORD src1_sel:WORD_1
	v_and_b32_e32 v12, 0x80000000, v12
	v_or3_b32 v8, v8, v12, v10
	v_mov_b32_e32 v26, v9
	v_mov_b32_e32 v25, v8
.LBB239_2071:                           ;   in Loop: Header=BB239_1062 Depth=1
	s_or_b32 exec_lo, exec_lo, s16
.LBB239_2072:                           ;   in Loop: Header=BB239_1062 Depth=1
	s_or_b32 exec_lo, exec_lo, s15
.LBB239_2073:                           ;   in Loop: Header=BB239_1062 Depth=1
	s_or_b32 exec_lo, exec_lo, s13
	s_mov_b32 s13, exec_lo
	v_cmpx_lt_u32_e32 0xffffff, v99
	s_cbranch_execz .LBB239_2081
; %bb.2074:                             ;   in Loop: Header=BB239_1062 Depth=1
	v_mov_b32_e32 v10, v9
	v_mov_b32_e32 v24, v11
	v_cmp_ne_u32_sdwa s4, v99, v98 src0_sel:BYTE_3 src1_sel:DWORD
	v_mov_b32_e32 v23, v10
	s_and_saveexec_b32 s15, s4
	s_cbranch_execz .LBB239_2080
; %bb.2075:                             ;   in Loop: Header=BB239_1062 Depth=1
	v_mov_b32_e32 v12, v9
	v_mov_b32_e32 v24, v13
	v_bfe_u32 v101, v99, 24, 7
	s_mov_b32 s16, exec_lo
	v_mov_b32_e32 v23, v12
	v_cmpx_ne_u32_e32 0x7f, v101
	s_cbranch_execz .LBB239_2079
; %bb.2076:                             ;   in Loop: Header=BB239_1062 Depth=1
	v_mov_b32_e32 v8, 7
	v_lshrrev_b32_e32 v10, 3, v101
	s_mov_b32 s17, exec_lo
	v_and_b32_sdwa v8, v99, v8 dst_sel:DWORD dst_unused:UNUSED_PAD src0_sel:BYTE_3 src1_sel:DWORD
	v_cmpx_gt_u32_e32 8, v101
; %bb.2077:                             ;   in Loop: Header=BB239_1062 Depth=1
	v_ffbh_u32_e32 v10, v8
	v_min_u32_e32 v10, 32, v10
	v_subrev_nc_u32_e32 v12, 28, v10
	v_sub_nc_u32_e32 v10, 29, v10
	v_lshlrev_b64 v[23:24], v12, v[8:9]
	v_and_b32_e32 v8, 7, v23
; %bb.2078:                             ;   in Loop: Header=BB239_1062 Depth=1
	s_or_b32 exec_lo, exec_lo, s17
	v_mov_b32_e32 v12, 24
	v_lshlrev_b32_e32 v8, 20, v8
	v_lshl_add_u32 v10, v10, 23, 0x3c000000
	v_mov_b32_e32 v23, v9
	v_lshlrev_b32_sdwa v12, v12, v99 dst_sel:DWORD dst_unused:UNUSED_PAD src0_sel:DWORD src1_sel:BYTE_3
	v_and_b32_e32 v12, 0x80000000, v12
	v_or3_b32 v24, v8, v12, v10
.LBB239_2079:                           ;   in Loop: Header=BB239_1062 Depth=1
	s_or_b32 exec_lo, exec_lo, s16
.LBB239_2080:                           ;   in Loop: Header=BB239_1062 Depth=1
	s_or_b32 exec_lo, exec_lo, s15
.LBB239_2081:                           ;   in Loop: Header=BB239_1062 Depth=1
	s_or_b32 exec_lo, exec_lo, s13
	v_or_b32_e32 v5, v22, v5
	v_or_b32_e32 v4, v21, v4
	;; [unrolled: 1-line block ×4, first 2 shown]
	v_mul_f32_e32 v101, v40, v5
	v_mul_f32_e32 v99, v40, v4
	v_mul_f32_e32 v26, v40, v8
	v_mul_f32_e32 v25, v40, v10
	s_and_saveexec_b32 s13, vcc_lo
	s_cbranch_execz .LBB239_2083
; %bb.2082:                             ;   in Loop: Header=BB239_1062 Depth=1
	buffer_load_dword v4, off, s[0:3], s32 offset:208 ; 4-byte Folded Reload
	s_waitcnt vmcnt(0)
	v_cmp_lt_i32_e64 s4, v85, v4
	v_cndmask_b32_e64 v99, 0, v99, s4
	v_cmp_lt_i32_e64 s4, v43, v4
	v_cndmask_b32_e64 v101, 0, v101, s4
	;; [unrolled: 2-line block ×4, first 2 shown]
.LBB239_2083:                           ;   in Loop: Header=BB239_1062 Depth=1
	s_or_b32 exec_lo, exec_lo, s13
	flat_load_dword v102, v[19:20] offset:1792
	v_mov_b32_e32 v19, 0
	v_mov_b32_e32 v4, 0
	;; [unrolled: 1-line block ×4, first 2 shown]
	s_waitcnt vmcnt(0) lgkmcnt(0)
	v_cmp_ne_u16_sdwa s4, v102, v9 src0_sel:BYTE_0 src1_sel:DWORD
	s_and_saveexec_b32 s13, s4
	s_cbranch_execz .LBB239_2091
; %bb.2084:                             ;   in Loop: Header=BB239_1062 Depth=1
	v_bfrev_b32_e32 v4, 1
	v_mov_b32_e32 v5, 0
	v_cmp_ne_u16_sdwa s4, v102, v98 src0_sel:BYTE_0 src1_sel:DWORD
	s_and_saveexec_b32 s15, s4
	s_cbranch_execz .LBB239_2090
; %bb.2085:                             ;   in Loop: Header=BB239_1062 Depth=1
	v_mov_b32_e32 v4, 0x7f800001
	v_and_b32_e32 v10, 0x7f, v102
	v_mov_b32_e32 v5, 0
	s_mov_b32 s16, exec_lo
	v_cmpx_ne_u32_e32 0x7f, v10
	s_cbranch_execz .LBB239_2089
; %bb.2086:                             ;   in Loop: Header=BB239_1062 Depth=1
	v_and_b32_e32 v8, 7, v102
	v_lshrrev_b32_e32 v4, 3, v10
	s_mov_b32 s17, exec_lo
	v_cmpx_gt_u32_e32 8, v10
; %bb.2087:                             ;   in Loop: Header=BB239_1062 Depth=1
	v_ffbh_u32_e32 v4, v8
	v_min_u32_e32 v4, 32, v4
	v_subrev_nc_u32_e32 v5, 28, v4
	v_sub_nc_u32_e32 v4, 29, v4
	v_lshlrev_b64 v[21:22], v5, v[8:9]
	v_and_b32_e32 v8, 7, v21
; %bb.2088:                             ;   in Loop: Header=BB239_1062 Depth=1
	s_or_b32 exec_lo, exec_lo, s17
	v_lshlrev_b32_e32 v5, 24, v102
	v_lshlrev_b32_e32 v8, 20, v8
	v_lshl_add_u32 v4, v4, 23, 0x3c000000
	v_and_b32_e32 v5, 0x80000000, v5
	v_or3_b32 v8, v8, v5, v4
	v_mov_b32_e32 v4, v8
	v_mov_b32_e32 v5, v9
.LBB239_2089:                           ;   in Loop: Header=BB239_1062 Depth=1
	s_or_b32 exec_lo, exec_lo, s16
.LBB239_2090:                           ;   in Loop: Header=BB239_1062 Depth=1
	s_or_b32 exec_lo, exec_lo, s15
.LBB239_2091:                           ;   in Loop: Header=BB239_1062 Depth=1
	s_or_b32 exec_lo, exec_lo, s13
	v_cmp_ne_u16_sdwa s4, v102, v9 src0_sel:BYTE_1 src1_sel:DWORD
	s_and_saveexec_b32 s13, s4
	s_cbranch_execz .LBB239_2099
; %bb.2092:                             ;   in Loop: Header=BB239_1062 Depth=1
	v_mov_b32_e32 v10, v9
	v_mov_b32_e32 v20, v11
	v_cmp_ne_u16_sdwa s4, v102, v98 src0_sel:BYTE_1 src1_sel:DWORD
	v_mov_b32_e32 v19, v10
	s_and_saveexec_b32 s15, s4
	s_cbranch_execz .LBB239_2098
; %bb.2093:                             ;   in Loop: Header=BB239_1062 Depth=1
	v_mov_b32_e32 v8, 0xffff
	v_mov_b32_e32 v12, v9
	;; [unrolled: 1-line block ×3, first 2 shown]
	s_mov_b32 s16, exec_lo
	v_and_b32_sdwa v8, v8, v102 dst_sel:DWORD dst_unused:UNUSED_PAD src0_sel:DWORD src1_sel:BYTE_1
	v_mov_b32_e32 v19, v12
	v_and_b32_e32 v21, 0x7f, v8
	v_cmpx_ne_u32_e32 0x7f, v21
	s_cbranch_execz .LBB239_2097
; %bb.2094:                             ;   in Loop: Header=BB239_1062 Depth=1
	v_and_b32_e32 v8, 7, v8
	v_lshrrev_b32_e32 v10, 3, v21
	s_mov_b32 s17, exec_lo
	v_cmpx_gt_u32_e32 8, v21
; %bb.2095:                             ;   in Loop: Header=BB239_1062 Depth=1
	v_ffbh_u32_e32 v10, v8
	v_min_u32_e32 v10, 32, v10
	v_subrev_nc_u32_e32 v12, 28, v10
	v_sub_nc_u32_e32 v10, 29, v10
	v_lshlrev_b64 v[19:20], v12, v[8:9]
	v_and_b32_e32 v8, 7, v19
; %bb.2096:                             ;   in Loop: Header=BB239_1062 Depth=1
	s_or_b32 exec_lo, exec_lo, s17
	v_lshlrev_b32_e32 v12, 16, v102
	v_lshlrev_b32_e32 v8, 20, v8
	v_lshl_add_u32 v10, v10, 23, 0x3c000000
	v_mov_b32_e32 v19, v9
	v_and_b32_e32 v12, 0x80000000, v12
	v_or3_b32 v20, v8, v12, v10
.LBB239_2097:                           ;   in Loop: Header=BB239_1062 Depth=1
	s_or_b32 exec_lo, exec_lo, s16
.LBB239_2098:                           ;   in Loop: Header=BB239_1062 Depth=1
	s_or_b32 exec_lo, exec_lo, s15
.LBB239_2099:                           ;   in Loop: Header=BB239_1062 Depth=1
	s_or_b32 exec_lo, exec_lo, s13
	v_mov_b32_e32 v21, 0
	v_mov_b32_e32 v23, 0
	v_and_b32_sdwa v8, v102, v100 dst_sel:DWORD dst_unused:UNUSED_PAD src0_sel:WORD_1 src1_sel:DWORD
	v_mov_b32_e32 v22, 0
	v_mov_b32_e32 v24, 0
	s_mov_b32 s13, exec_lo
	v_cmpx_ne_u16_e32 0, v8
	s_cbranch_execz .LBB239_2107
; %bb.2100:                             ;   in Loop: Header=BB239_1062 Depth=1
	v_bfrev_b32_e32 v23, 1
	v_mov_b32_e32 v24, 0
	s_mov_b32 s15, exec_lo
	v_cmpx_ne_u16_e32 0x80, v8
	s_cbranch_execz .LBB239_2106
; %bb.2101:                             ;   in Loop: Header=BB239_1062 Depth=1
	v_mov_b32_e32 v23, 0x7f800001
	v_bfe_u32 v12, v102, 16, 7
	v_mov_b32_e32 v24, 0
	s_mov_b32 s16, exec_lo
	v_cmpx_ne_u32_e32 0x7f, v12
	s_cbranch_execz .LBB239_2105
; %bb.2102:                             ;   in Loop: Header=BB239_1062 Depth=1
	v_mov_b32_e32 v8, 7
	v_lshrrev_b32_e32 v10, 3, v12
	s_mov_b32 s17, exec_lo
	v_and_b32_sdwa v8, v102, v8 dst_sel:DWORD dst_unused:UNUSED_PAD src0_sel:WORD_1 src1_sel:DWORD
	v_cmpx_gt_u32_e32 8, v12
; %bb.2103:                             ;   in Loop: Header=BB239_1062 Depth=1
	v_ffbh_u32_e32 v10, v8
	v_min_u32_e32 v10, 32, v10
	v_subrev_nc_u32_e32 v12, 28, v10
	v_sub_nc_u32_e32 v10, 29, v10
	v_lshlrev_b64 v[23:24], v12, v[8:9]
	v_and_b32_e32 v8, 7, v23
; %bb.2104:                             ;   in Loop: Header=BB239_1062 Depth=1
	s_or_b32 exec_lo, exec_lo, s17
	v_mov_b32_e32 v12, 24
	v_lshlrev_b32_e32 v8, 20, v8
	v_lshl_add_u32 v10, v10, 23, 0x3c000000
	v_lshlrev_b32_sdwa v12, v12, v102 dst_sel:DWORD dst_unused:UNUSED_PAD src0_sel:DWORD src1_sel:WORD_1
	v_and_b32_e32 v12, 0x80000000, v12
	v_or3_b32 v8, v8, v12, v10
	v_mov_b32_e32 v24, v9
	v_mov_b32_e32 v23, v8
.LBB239_2105:                           ;   in Loop: Header=BB239_1062 Depth=1
	s_or_b32 exec_lo, exec_lo, s16
.LBB239_2106:                           ;   in Loop: Header=BB239_1062 Depth=1
	s_or_b32 exec_lo, exec_lo, s15
.LBB239_2107:                           ;   in Loop: Header=BB239_1062 Depth=1
	s_or_b32 exec_lo, exec_lo, s13
	s_mov_b32 s13, exec_lo
	v_cmpx_lt_u32_e32 0xffffff, v102
	s_cbranch_execz .LBB239_2115
; %bb.2108:                             ;   in Loop: Header=BB239_1062 Depth=1
	v_mov_b32_e32 v10, v9
	v_mov_b32_e32 v22, v11
	v_cmp_ne_u32_sdwa s4, v102, v98 src0_sel:BYTE_3 src1_sel:DWORD
	v_mov_b32_e32 v21, v10
	s_and_saveexec_b32 s15, s4
	s_cbranch_execz .LBB239_2114
; %bb.2109:                             ;   in Loop: Header=BB239_1062 Depth=1
	v_mov_b32_e32 v12, v9
	v_mov_b32_e32 v22, v13
	v_bfe_u32 v92, v102, 24, 7
	s_mov_b32 s16, exec_lo
	v_mov_b32_e32 v21, v12
	v_cmpx_ne_u32_e32 0x7f, v92
	s_cbranch_execz .LBB239_2113
; %bb.2110:                             ;   in Loop: Header=BB239_1062 Depth=1
	v_mov_b32_e32 v8, 7
	v_lshrrev_b32_e32 v10, 3, v92
	s_mov_b32 s17, exec_lo
	v_and_b32_sdwa v8, v102, v8 dst_sel:DWORD dst_unused:UNUSED_PAD src0_sel:BYTE_3 src1_sel:DWORD
	v_cmpx_gt_u32_e32 8, v92
; %bb.2111:                             ;   in Loop: Header=BB239_1062 Depth=1
	v_ffbh_u32_e32 v10, v8
	v_min_u32_e32 v10, 32, v10
	v_subrev_nc_u32_e32 v12, 28, v10
	v_sub_nc_u32_e32 v10, 29, v10
	v_lshlrev_b64 v[21:22], v12, v[8:9]
	v_and_b32_e32 v8, 7, v21
; %bb.2112:                             ;   in Loop: Header=BB239_1062 Depth=1
	s_or_b32 exec_lo, exec_lo, s17
	v_mov_b32_e32 v12, 24
	v_lshlrev_b32_e32 v8, 20, v8
	v_lshl_add_u32 v10, v10, 23, 0x3c000000
	v_mov_b32_e32 v21, v9
	v_lshlrev_b32_sdwa v12, v12, v102 dst_sel:DWORD dst_unused:UNUSED_PAD src0_sel:DWORD src1_sel:BYTE_3
	v_and_b32_e32 v12, 0x80000000, v12
	v_or3_b32 v22, v8, v12, v10
.LBB239_2113:                           ;   in Loop: Header=BB239_1062 Depth=1
	s_or_b32 exec_lo, exec_lo, s16
.LBB239_2114:                           ;   in Loop: Header=BB239_1062 Depth=1
	s_or_b32 exec_lo, exec_lo, s15
.LBB239_2115:                           ;   in Loop: Header=BB239_1062 Depth=1
	s_or_b32 exec_lo, exec_lo, s13
	v_or_b32_e32 v5, v20, v5
	v_or_b32_e32 v4, v19, v4
	;; [unrolled: 1-line block ×4, first 2 shown]
	v_mul_f32_e32 v92, v40, v5
	v_mul_f32_e32 v102, v40, v4
	;; [unrolled: 1-line block ×4, first 2 shown]
	s_and_saveexec_b32 s13, vcc_lo
	s_cbranch_execz .LBB239_2117
; %bb.2116:                             ;   in Loop: Header=BB239_1062 Depth=1
	buffer_load_dword v4, off, s[0:3], s32 offset:208 ; 4-byte Folded Reload
	s_waitcnt vmcnt(0)
	v_cmp_lt_i32_e64 s4, v85, v4
	v_cndmask_b32_e64 v102, 0, v102, s4
	v_cmp_lt_i32_e64 s4, v43, v4
	v_cndmask_b32_e64 v92, 0, v92, s4
	;; [unrolled: 2-line block ×4, first 2 shown]
.LBB239_2117:                           ;   in Loop: Header=BB239_1062 Depth=1
	s_or_b32 exec_lo, exec_lo, s13
	buffer_load_dword v4, off, s[0:3], s32 offset:780 ; 4-byte Folded Reload
	s_waitcnt vmcnt(0)
	v_add_co_u32 v4, s4, v17, v4
	v_add_co_ci_u32_e64 v5, null, 0, v18, s4
	v_mov_b32_e32 v17, 0
	v_mov_b32_e32 v18, 0
	flat_load_dword v93, v[4:5]
	v_mov_b32_e32 v4, 0
	v_mov_b32_e32 v5, 0
	s_waitcnt vmcnt(0) lgkmcnt(0)
	v_cmp_ne_u16_sdwa s4, v93, v9 src0_sel:BYTE_0 src1_sel:DWORD
	s_and_saveexec_b32 s13, s4
	s_cbranch_execz .LBB239_2125
; %bb.2118:                             ;   in Loop: Header=BB239_1062 Depth=1
	v_bfrev_b32_e32 v4, 1
	v_mov_b32_e32 v5, 0
	v_cmp_ne_u16_sdwa s4, v93, v98 src0_sel:BYTE_0 src1_sel:DWORD
	s_and_saveexec_b32 s15, s4
	s_cbranch_execz .LBB239_2124
; %bb.2119:                             ;   in Loop: Header=BB239_1062 Depth=1
	v_mov_b32_e32 v4, 0x7f800001
	v_and_b32_e32 v10, 0x7f, v93
	v_mov_b32_e32 v5, 0
	s_mov_b32 s16, exec_lo
	v_cmpx_ne_u32_e32 0x7f, v10
	s_cbranch_execz .LBB239_2123
; %bb.2120:                             ;   in Loop: Header=BB239_1062 Depth=1
	v_and_b32_e32 v8, 7, v93
	v_lshrrev_b32_e32 v4, 3, v10
	s_mov_b32 s17, exec_lo
	v_cmpx_gt_u32_e32 8, v10
; %bb.2121:                             ;   in Loop: Header=BB239_1062 Depth=1
	v_ffbh_u32_e32 v4, v8
	v_min_u32_e32 v4, 32, v4
	v_subrev_nc_u32_e32 v5, 28, v4
	v_sub_nc_u32_e32 v4, 29, v4
	v_lshlrev_b64 v[19:20], v5, v[8:9]
	v_and_b32_e32 v8, 7, v19
; %bb.2122:                             ;   in Loop: Header=BB239_1062 Depth=1
	s_or_b32 exec_lo, exec_lo, s17
	v_lshlrev_b32_e32 v5, 24, v93
	v_lshlrev_b32_e32 v8, 20, v8
	v_lshl_add_u32 v4, v4, 23, 0x3c000000
	v_and_b32_e32 v5, 0x80000000, v5
	v_or3_b32 v8, v8, v5, v4
	v_mov_b32_e32 v4, v8
	v_mov_b32_e32 v5, v9
.LBB239_2123:                           ;   in Loop: Header=BB239_1062 Depth=1
	s_or_b32 exec_lo, exec_lo, s16
.LBB239_2124:                           ;   in Loop: Header=BB239_1062 Depth=1
	s_or_b32 exec_lo, exec_lo, s15
.LBB239_2125:                           ;   in Loop: Header=BB239_1062 Depth=1
	s_or_b32 exec_lo, exec_lo, s13
	v_cmp_ne_u16_sdwa s4, v93, v9 src0_sel:BYTE_1 src1_sel:DWORD
	s_and_saveexec_b32 s13, s4
	s_cbranch_execz .LBB239_2133
; %bb.2126:                             ;   in Loop: Header=BB239_1062 Depth=1
	v_mov_b32_e32 v10, v9
	v_mov_b32_e32 v18, v11
	v_cmp_ne_u16_sdwa s4, v93, v98 src0_sel:BYTE_1 src1_sel:DWORD
	v_mov_b32_e32 v17, v10
	s_and_saveexec_b32 s15, s4
	s_cbranch_execz .LBB239_2132
; %bb.2127:                             ;   in Loop: Header=BB239_1062 Depth=1
	v_mov_b32_e32 v8, 0xffff
	v_mov_b32_e32 v12, v9
	;; [unrolled: 1-line block ×3, first 2 shown]
	s_mov_b32 s16, exec_lo
	v_and_b32_sdwa v8, v8, v93 dst_sel:DWORD dst_unused:UNUSED_PAD src0_sel:DWORD src1_sel:BYTE_1
	v_mov_b32_e32 v17, v12
	v_and_b32_e32 v19, 0x7f, v8
	v_cmpx_ne_u32_e32 0x7f, v19
	s_cbranch_execz .LBB239_2131
; %bb.2128:                             ;   in Loop: Header=BB239_1062 Depth=1
	v_and_b32_e32 v8, 7, v8
	v_lshrrev_b32_e32 v10, 3, v19
	s_mov_b32 s17, exec_lo
	v_cmpx_gt_u32_e32 8, v19
; %bb.2129:                             ;   in Loop: Header=BB239_1062 Depth=1
	v_ffbh_u32_e32 v10, v8
	v_min_u32_e32 v10, 32, v10
	v_subrev_nc_u32_e32 v12, 28, v10
	v_sub_nc_u32_e32 v10, 29, v10
	v_lshlrev_b64 v[17:18], v12, v[8:9]
	v_and_b32_e32 v8, 7, v17
; %bb.2130:                             ;   in Loop: Header=BB239_1062 Depth=1
	s_or_b32 exec_lo, exec_lo, s17
	v_lshlrev_b32_e32 v12, 16, v93
	v_lshlrev_b32_e32 v8, 20, v8
	v_lshl_add_u32 v10, v10, 23, 0x3c000000
	v_mov_b32_e32 v17, v9
	v_and_b32_e32 v12, 0x80000000, v12
	v_or3_b32 v18, v8, v12, v10
.LBB239_2131:                           ;   in Loop: Header=BB239_1062 Depth=1
	s_or_b32 exec_lo, exec_lo, s16
.LBB239_2132:                           ;   in Loop: Header=BB239_1062 Depth=1
	s_or_b32 exec_lo, exec_lo, s15
.LBB239_2133:                           ;   in Loop: Header=BB239_1062 Depth=1
	s_or_b32 exec_lo, exec_lo, s13
	v_mov_b32_e32 v19, 0
	v_mov_b32_e32 v21, 0
	v_and_b32_sdwa v8, v93, v100 dst_sel:DWORD dst_unused:UNUSED_PAD src0_sel:WORD_1 src1_sel:DWORD
	v_mov_b32_e32 v20, 0
	v_mov_b32_e32 v22, 0
	s_mov_b32 s13, exec_lo
	v_cmpx_ne_u16_e32 0, v8
	s_cbranch_execz .LBB239_2141
; %bb.2134:                             ;   in Loop: Header=BB239_1062 Depth=1
	v_bfrev_b32_e32 v21, 1
	v_mov_b32_e32 v22, 0
	s_mov_b32 s15, exec_lo
	v_cmpx_ne_u16_e32 0x80, v8
	s_cbranch_execz .LBB239_2140
; %bb.2135:                             ;   in Loop: Header=BB239_1062 Depth=1
	v_mov_b32_e32 v21, 0x7f800001
	v_bfe_u32 v12, v93, 16, 7
	v_mov_b32_e32 v22, 0
	s_mov_b32 s16, exec_lo
	v_cmpx_ne_u32_e32 0x7f, v12
	s_cbranch_execz .LBB239_2139
; %bb.2136:                             ;   in Loop: Header=BB239_1062 Depth=1
	v_mov_b32_e32 v8, 7
	v_lshrrev_b32_e32 v10, 3, v12
	s_mov_b32 s17, exec_lo
	v_and_b32_sdwa v8, v93, v8 dst_sel:DWORD dst_unused:UNUSED_PAD src0_sel:WORD_1 src1_sel:DWORD
	v_cmpx_gt_u32_e32 8, v12
; %bb.2137:                             ;   in Loop: Header=BB239_1062 Depth=1
	v_ffbh_u32_e32 v10, v8
	v_min_u32_e32 v10, 32, v10
	v_subrev_nc_u32_e32 v12, 28, v10
	v_sub_nc_u32_e32 v10, 29, v10
	v_lshlrev_b64 v[21:22], v12, v[8:9]
	v_and_b32_e32 v8, 7, v21
; %bb.2138:                             ;   in Loop: Header=BB239_1062 Depth=1
	s_or_b32 exec_lo, exec_lo, s17
	v_mov_b32_e32 v12, 24
	v_lshlrev_b32_e32 v8, 20, v8
	v_lshl_add_u32 v10, v10, 23, 0x3c000000
	v_lshlrev_b32_sdwa v12, v12, v93 dst_sel:DWORD dst_unused:UNUSED_PAD src0_sel:DWORD src1_sel:WORD_1
	v_and_b32_e32 v12, 0x80000000, v12
	v_or3_b32 v8, v8, v12, v10
	v_mov_b32_e32 v22, v9
	v_mov_b32_e32 v21, v8
.LBB239_2139:                           ;   in Loop: Header=BB239_1062 Depth=1
	s_or_b32 exec_lo, exec_lo, s16
.LBB239_2140:                           ;   in Loop: Header=BB239_1062 Depth=1
	s_or_b32 exec_lo, exec_lo, s15
.LBB239_2141:                           ;   in Loop: Header=BB239_1062 Depth=1
	s_or_b32 exec_lo, exec_lo, s13
	s_mov_b32 s13, exec_lo
	v_cmpx_lt_u32_e32 0xffffff, v93
	s_cbranch_execz .LBB239_2149
; %bb.2142:                             ;   in Loop: Header=BB239_1062 Depth=1
	v_mov_b32_e32 v10, v9
	v_mov_b32_e32 v20, v11
	v_cmp_ne_u32_sdwa s4, v93, v98 src0_sel:BYTE_3 src1_sel:DWORD
	v_mov_b32_e32 v19, v10
	s_and_saveexec_b32 s15, s4
	s_cbranch_execz .LBB239_2148
; %bb.2143:                             ;   in Loop: Header=BB239_1062 Depth=1
	v_mov_b32_e32 v12, v9
	v_mov_b32_e32 v20, v13
	v_bfe_u32 v94, v93, 24, 7
	s_mov_b32 s16, exec_lo
	v_mov_b32_e32 v19, v12
	v_cmpx_ne_u32_e32 0x7f, v94
	s_cbranch_execz .LBB239_2147
; %bb.2144:                             ;   in Loop: Header=BB239_1062 Depth=1
	v_mov_b32_e32 v8, 7
	v_lshrrev_b32_e32 v10, 3, v94
	s_mov_b32 s17, exec_lo
	v_and_b32_sdwa v8, v93, v8 dst_sel:DWORD dst_unused:UNUSED_PAD src0_sel:BYTE_3 src1_sel:DWORD
	v_cmpx_gt_u32_e32 8, v94
; %bb.2145:                             ;   in Loop: Header=BB239_1062 Depth=1
	v_ffbh_u32_e32 v10, v8
	v_min_u32_e32 v10, 32, v10
	v_subrev_nc_u32_e32 v12, 28, v10
	v_sub_nc_u32_e32 v10, 29, v10
	v_lshlrev_b64 v[19:20], v12, v[8:9]
	v_and_b32_e32 v8, 7, v19
; %bb.2146:                             ;   in Loop: Header=BB239_1062 Depth=1
	s_or_b32 exec_lo, exec_lo, s17
	v_mov_b32_e32 v12, 24
	v_lshlrev_b32_e32 v8, 20, v8
	v_lshl_add_u32 v10, v10, 23, 0x3c000000
	v_mov_b32_e32 v19, v9
	v_lshlrev_b32_sdwa v12, v12, v93 dst_sel:DWORD dst_unused:UNUSED_PAD src0_sel:DWORD src1_sel:BYTE_3
	v_and_b32_e32 v12, 0x80000000, v12
	v_or3_b32 v20, v8, v12, v10
.LBB239_2147:                           ;   in Loop: Header=BB239_1062 Depth=1
	s_or_b32 exec_lo, exec_lo, s16
.LBB239_2148:                           ;   in Loop: Header=BB239_1062 Depth=1
	s_or_b32 exec_lo, exec_lo, s15
.LBB239_2149:                           ;   in Loop: Header=BB239_1062 Depth=1
	s_or_b32 exec_lo, exec_lo, s13
	v_or_b32_e32 v5, v18, v5
	v_or_b32_e32 v4, v17, v4
	v_or_b32_e32 v12, v19, v21
	v_or_b32_e32 v17, v20, v22
	v_mul_f32_e32 v10, v40, v5
	v_mul_f32_e32 v8, v40, v4
	;; [unrolled: 1-line block ×4, first 2 shown]
	s_and_saveexec_b32 s4, vcc_lo
	s_cbranch_execz .LBB239_1060
; %bb.2150:                             ;   in Loop: Header=BB239_1062 Depth=1
	buffer_load_dword v12, off, s[0:3], s32 offset:208 ; 4-byte Folded Reload
	s_waitcnt vmcnt(0)
	v_cmp_lt_i32_e32 vcc_lo, v85, v12
	v_cndmask_b32_e32 v8, 0, v8, vcc_lo
	v_cmp_lt_i32_e32 vcc_lo, v43, v12
	v_cndmask_b32_e32 v10, 0, v10, vcc_lo
	;; [unrolled: 2-line block ×4, first 2 shown]
	s_branch .LBB239_1060
.LBB239_2151:
	s_or_b32 exec_lo, exec_lo, s11
	s_clause 0x19
	buffer_load_dword v67, off, s[0:3], s32 offset:788
	buffer_load_dword v49, off, s[0:3], s32 offset:492
	;; [unrolled: 1-line block ×26, first 2 shown]
.LBB239_2152:
	s_or_b32 exec_lo, exec_lo, s7
	ds_bpermute_b32 v3, v28, v6
	s_waitcnt vmcnt(1)
	ds_bpermute_b32 v2, v28, v33
	ds_bpermute_b32 v4, v28, v68
	;; [unrolled: 1-line block ×3, first 2 shown]
	s_waitcnt vmcnt(0)
	ds_bpermute_b32 v1, v28, v36
	ds_bpermute_b32 v5, v28, v25
	;; [unrolled: 1-line block ×3, first 2 shown]
	v_mov_b32_e32 v31, v6
	ds_bpermute_b32 v9, v28, v20
	ds_bpermute_b32 v8, v28, v24
	v_mov_b32_e32 v34, v17
	ds_bpermute_b32 v17, v28, v21
	ds_bpermute_b32 v12, v28, v26
	;; [unrolled: 1-line block ×6, first 2 shown]
	v_mov_b32_e32 v30, v19
	ds_bpermute_b32 v15, v28, v32
	ds_bpermute_b32 v13, v28, v35
	s_waitcnt lgkmcnt(16)
	v_add_f32_e32 v3, v31, v3
	s_waitcnt lgkmcnt(15)
	v_add_f32_e32 v2, v33, v2
	;; [unrolled: 2-line block ×3, first 2 shown]
	v_mov_b32_e32 v33, v21
	s_waitcnt lgkmcnt(13)
	v_add_f32_e32 v0, v34, v0
	ds_bpermute_b32 v21, v27, v3
	s_waitcnt lgkmcnt(13)
	v_add_f32_e32 v1, v36, v1
	s_waitcnt lgkmcnt(12)
	v_add_f32_e32 v5, v25, v5
	;; [unrolled: 2-line block ×3, first 2 shown]
	v_mov_b32_e32 v23, v20
	ds_bpermute_b32 v20, v27, v2
	v_mov_b32_e32 v34, v22
	ds_bpermute_b32 v22, v27, v4
	ds_bpermute_b32 v19, v27, v1
	s_waitcnt lgkmcnt(13)
	v_add_f32_e32 v9, v23, v9
	ds_bpermute_b32 v23, v27, v5
	s_waitcnt lgkmcnt(13)
	v_add_f32_e32 v8, v24, v8
	s_waitcnt lgkmcnt(11)
	v_add_f32_e32 v12, v26, v12
	;; [unrolled: 2-line block ×3, first 2 shown]
	ds_bpermute_b32 v18, v27, v0
	s_waitcnt lgkmcnt(9)
	v_add_f32_e32 v10, v30, v10
	ds_bpermute_b32 v26, v27, v8
	s_waitcnt lgkmcnt(9)
	v_add_f32_e32 v11, v29, v11
	ds_bpermute_b32 v29, v27, v9
	ds_bpermute_b32 v24, v27, v6
	s_waitcnt lgkmcnt(8)
	v_add_f32_e32 v3, v3, v21
	ds_bpermute_b32 v30, v27, v10
	v_add_f32_e32 v17, v33, v17
	v_add_f32_e32 v16, v34, v16
	ds_bpermute_b32 v33, v28, v48
	s_waitcnt lgkmcnt(9)
	v_add_f32_e32 v2, v2, v20
	v_add_f32_e32 v15, v32, v15
	s_waitcnt lgkmcnt(8)
	v_add_f32_e32 v4, v4, v22
	ds_bpermute_b32 v22, v104, v3
	s_waitcnt lgkmcnt(8)
	v_add_f32_e32 v1, v1, v19
	s_waitcnt lgkmcnt(7)
	v_add_f32_e32 v5, v5, v23
	ds_bpermute_b32 v21, v104, v2
	ds_bpermute_b32 v23, v104, v4
	;; [unrolled: 1-line block ×4, first 2 shown]
	s_waitcnt lgkmcnt(10)
	v_add_f32_e32 v0, v0, v18
	s_waitcnt lgkmcnt(9)
	v_add_f32_e32 v8, v8, v26
	v_add_f32_e32 v13, v35, v13
	s_waitcnt lgkmcnt(8)
	v_add_f32_e32 v9, v9, v29
	s_waitcnt lgkmcnt(7)
	v_add_f32_e32 v6, v6, v24
	ds_bpermute_b32 v19, v104, v0
	ds_bpermute_b32 v29, v104, v8
	s_waitcnt lgkmcnt(8)
	v_add_f32_e32 v10, v10, v30
	ds_bpermute_b32 v24, v104, v5
	ds_bpermute_b32 v30, v104, v9
	;; [unrolled: 1-line block ×5, first 2 shown]
	s_waitcnt lgkmcnt(11)
	v_add_f32_e32 v3, v3, v22
	ds_bpermute_b32 v22, v27, v17
	s_waitcnt lgkmcnt(0)
	s_waitcnt_vscnt null, 0x0
	v_add_f32_e32 v2, v2, v21
	v_add_f32_e32 v4, v4, v23
	ds_bpermute_b32 v21, v27, v16
	ds_bpermute_b32 v23, v28, v66
	v_add_f32_e32 v1, v1, v20
	ds_bpermute_b32 v20, v27, v15
	s_barrier
	s_waitcnt lgkmcnt(0)
	buffer_gl0_inv
	ds_bpermute_b32 v25, v27, v7
	v_add_f32_e32 v0, v0, v19
	v_add_f32_e32 v8, v8, v29
	ds_bpermute_b32 v19, v27, v13
	v_add_f32_e32 v5, v5, v24
	v_add_f32_e32 v9, v9, v30
	v_add_f32_e32 v24, v38, v35
	ds_bpermute_b32 v35, v28, v55
	v_add_f32_e32 v11, v11, v31
	ds_bpermute_b32 v31, v104, v10
	v_add_f32_e32 v17, v17, v22
	v_add_f32_e32 v22, v48, v33
	;; [unrolled: 1-line block ×3, first 2 shown]
	ds_bpermute_b32 v48, v28, v49
	v_add_f32_e32 v16, v16, v21
	v_add_f32_e32 v21, v66, v23
	;; [unrolled: 1-line block ×3, first 2 shown]
	ds_bpermute_b32 v29, v27, v22
	ds_bpermute_b32 v34, v28, v64
	v_add_f32_e32 v15, v15, v20
	ds_bpermute_b32 v18, v104, v12
	ds_bpermute_b32 v30, v27, v23
	s_waitcnt lgkmcnt(8)
	v_add_f32_e32 v7, v7, v25
	s_waitcnt lgkmcnt(7)
	v_add_f32_e32 v13, v13, v19
	ds_bpermute_b32 v20, v104, v15
	ds_bpermute_b32 v25, v104, v6
	;; [unrolled: 1-line block ×5, first 2 shown]
	s_waitcnt lgkmcnt(10)
	v_add_f32_e32 v10, v10, v31
	ds_bpermute_b32 v31, v27, v24
	ds_bpermute_b32 v32, v104, v11
	;; [unrolled: 1-line block ×3, first 2 shown]
	s_waitcnt lgkmcnt(12)
	v_add_f32_e32 v48, v49, v48
	ds_bpermute_b32 v38, v28, v51
	ds_bpermute_b32 v39, v28, v50
	s_load_dword s4, s[8:9], 0x0
	s_waitcnt lgkmcnt(0)
	v_add_f32_e32 v22, v22, v29
	v_add_f32_e32 v29, v64, v34
	s_mov_b32 s7, exec_lo
	v_add_f32_e32 v12, v12, v18
	v_add_f32_e32 v23, v23, v30
	;; [unrolled: 1-line block ×3, first 2 shown]
	ds_bpermute_b32 v34, v27, v29
	v_add_f32_e32 v15, v15, v20
	ds_bpermute_b32 v20, v28, v52
	ds_bpermute_b32 v18, v104, v16
	;; [unrolled: 1-line block ×3, first 2 shown]
	v_add_f32_e32 v13, v13, v19
	ds_bpermute_b32 v19, v104, v17
	v_add_f32_e32 v24, v24, v31
	ds_bpermute_b32 v55, v104, v23
	v_add_f32_e32 v6, v6, v25
	v_add_f32_e32 v25, v37, v36
	;; [unrolled: 1-line block ×3, first 2 shown]
	ds_bpermute_b32 v64, v104, v24
	v_add_f32_e32 v11, v11, v32
	ds_bpermute_b32 v26, v27, v21
	ds_bpermute_b32 v32, v27, v25
	;; [unrolled: 1-line block ×5, first 2 shown]
	v_add_f32_e32 v38, v51, v38
	s_waitcnt lgkmcnt(11)
	v_add_f32_e32 v29, v29, v34
	v_add_f32_e32 v39, v50, v39
	s_waitcnt lgkmcnt(10)
	v_add_f32_e32 v20, v52, v20
	s_waitcnt lgkmcnt(9)
	;; [unrolled: 2-line block ×3, first 2 shown]
	v_add_f32_e32 v30, v30, v35
	ds_bpermute_b32 v34, v104, v29
	s_waitcnt lgkmcnt(8)
	v_add_f32_e32 v16, v17, v19
	ds_bpermute_b32 v49, v27, v20
	s_waitcnt lgkmcnt(8)
	v_add_f32_e32 v19, v23, v55
	ds_bpermute_b32 v35, v104, v30
	ds_bpermute_b32 v50, v27, v38
	;; [unrolled: 1-line block ×4, first 2 shown]
	s_waitcnt lgkmcnt(10)
	v_add_f32_e32 v21, v21, v26
	s_waitcnt lgkmcnt(9)
	v_add_f32_e32 v25, v25, v32
	v_add_f32_e32 v26, v65, v33
	s_waitcnt lgkmcnt(8)
	v_add_f32_e32 v32, v53, v37
	s_waitcnt lgkmcnt(7)
	;; [unrolled: 2-line block ×3, first 2 shown]
	v_add_f32_e32 v28, v95, v28
	ds_bpermute_b32 v54, v104, v22
	ds_bpermute_b32 v33, v27, v26
	;; [unrolled: 1-line block ×5, first 2 shown]
	s_waitcnt lgkmcnt(10)
	v_add_f32_e32 v23, v29, v34
	s_clause 0x1
	buffer_load_dword v29, off, s[0:3], s32 offset:924
	buffer_load_dword v34, off, s[0:3], s32 offset:1480
	s_waitcnt lgkmcnt(9)
	v_add_f32_e32 v49, v20, v49
	v_add_f32_e32 v20, v24, v64
	s_waitcnt lgkmcnt(8)
	v_add_f32_e32 v24, v30, v35
	buffer_load_dword v30, off, s[0:3], s32 offset:928 ; 4-byte Folded Reload
	s_waitcnt lgkmcnt(7)
	v_add_f32_e32 v38, v38, v50
	s_waitcnt lgkmcnt(6)
	v_add_f32_e32 v39, v39, v51
	;; [unrolled: 2-line block ×3, first 2 shown]
	ds_bpermute_b32 v53, v104, v21
	ds_bpermute_b32 v65, v104, v25
	;; [unrolled: 1-line block ×4, first 2 shown]
	s_waitcnt lgkmcnt(8)
	v_add_f32_e32 v18, v22, v54
	s_waitcnt lgkmcnt(7)
	v_add_f32_e32 v26, v26, v33
	;; [unrolled: 2-line block ×5, first 2 shown]
	ds_bpermute_b32 v27, v104, v49
	ds_bpermute_b32 v33, v104, v26
	;; [unrolled: 1-line block ×6, first 2 shown]
	s_waitcnt lgkmcnt(9)
	v_add_f32_e32 v17, v21, v53
	s_waitcnt lgkmcnt(8)
	v_add_f32_e32 v21, v25, v65
	;; [unrolled: 2-line block ×8, first 2 shown]
	s_waitcnt vmcnt(2)
	v_lshrrev_b32_e32 v32, 3, v29
	v_add_f32_e32 v29, v39, v51
	s_waitcnt vmcnt(1)
	v_lshlrev_b32_e32 v34, 9, v34
	s_waitcnt vmcnt(0)
	v_and_b32_e32 v35, 0x3c7, v30
	v_add_f32_e32 v30, v48, v52
	v_lshl_add_u32 v33, v32, 2, s4
	v_cmpx_eq_u32_e32 64, v35
	s_cbranch_execz .LBB239_2154
; %bb.2153:
	v_add_nc_u32_e32 v35, v33, v34
	v_add_nc_u32_e32 v36, 0xfffffc00, v35
	;; [unrolled: 1-line block ×8, first 2 shown]
	ds_write_b32 v36, v0
	ds_write_b32 v37, v1
	;; [unrolled: 1-line block ×7, first 2 shown]
	v_add_nc_u32_e32 v36, 0xfffffc70, v35
	v_add_nc_u32_e32 v37, 0xfffffc80, v35
	v_add_nc_u32_e32 v38, 0xfffffc90, v35
	v_add_nc_u32_e32 v39, 0xfffffca0, v35
	v_add_nc_u32_e32 v48, 0xfffffcb0, v35
	ds_write_b32 v36, v7
	ds_write_b32 v37, v8
	ds_write_b32 v38, v9
	ds_write_b32 v39, v10
	ds_write_b32 v48, v11
	v_add_nc_u32_e32 v36, 0xfffffcc0, v35
	v_add_nc_u32_e32 v37, 0xfffffcd0, v35
	v_add_nc_u32_e32 v38, 0xfffffce0, v35
	v_add_nc_u32_e32 v39, 0xfffffcf0, v35
	v_add_nc_u32_e32 v48, 0xfffffd00, v35
	ds_write_b32 v36, v12
	ds_write_b32 v37, v13
	ds_write_b32 v38, v15
	ds_write_b32 v39, v14
	ds_write_b32 v48, v16
	;; [unrolled: 10-line block ×5, first 2 shown]
.LBB239_2154:
	s_or_b32 exec_lo, exec_lo, s7
	v_lshlrev_b32_e32 v32, 2, v32
	s_mov_b32 s7, exec_lo
	v_cmp_eq_u32_e32 vcc_lo, 0, v67
	v_add3_u32 v32, s4, v34, v32
	buffer_load_dword v34, off, s[0:3], s32 offset:928 ; 4-byte Folded Reload
	s_waitcnt vmcnt(0) lgkmcnt(0)
	s_barrier
	buffer_gl0_inv
	v_cmpx_gt_u32_e32 64, v34
	s_cbranch_execz .LBB239_2189
; %bb.2155:
	s_and_saveexec_b32 s4, vcc_lo
	s_cbranch_execnz .LBB239_2229
; %bb.2156:
	s_or_b32 exec_lo, exec_lo, s4
	s_and_saveexec_b32 s4, vcc_lo
	s_cbranch_execnz .LBB239_2230
.LBB239_2157:
	s_or_b32 exec_lo, exec_lo, s4
	s_and_saveexec_b32 s4, vcc_lo
	s_cbranch_execnz .LBB239_2231
.LBB239_2158:
	s_or_b32 exec_lo, exec_lo, s4
	s_and_saveexec_b32 s4, vcc_lo
	s_cbranch_execnz .LBB239_2232
.LBB239_2159:
	s_or_b32 exec_lo, exec_lo, s4
	s_and_saveexec_b32 s4, vcc_lo
	s_cbranch_execnz .LBB239_2233
.LBB239_2160:
	s_or_b32 exec_lo, exec_lo, s4
	s_and_saveexec_b32 s4, vcc_lo
	s_cbranch_execnz .LBB239_2234
.LBB239_2161:
	s_or_b32 exec_lo, exec_lo, s4
	s_and_saveexec_b32 s4, vcc_lo
	s_cbranch_execnz .LBB239_2235
.LBB239_2162:
	s_or_b32 exec_lo, exec_lo, s4
	s_and_saveexec_b32 s4, vcc_lo
	s_cbranch_execnz .LBB239_2236
.LBB239_2163:
	s_or_b32 exec_lo, exec_lo, s4
	s_and_saveexec_b32 s4, vcc_lo
	s_cbranch_execnz .LBB239_2237
.LBB239_2164:
	s_or_b32 exec_lo, exec_lo, s4
	s_and_saveexec_b32 s4, vcc_lo
	s_cbranch_execnz .LBB239_2238
.LBB239_2165:
	s_or_b32 exec_lo, exec_lo, s4
	s_and_saveexec_b32 s4, vcc_lo
	s_cbranch_execnz .LBB239_2239
.LBB239_2166:
	s_or_b32 exec_lo, exec_lo, s4
	s_and_saveexec_b32 s4, vcc_lo
	s_cbranch_execnz .LBB239_2240
.LBB239_2167:
	s_or_b32 exec_lo, exec_lo, s4
	s_and_saveexec_b32 s4, vcc_lo
	s_cbranch_execnz .LBB239_2241
.LBB239_2168:
	s_or_b32 exec_lo, exec_lo, s4
	s_and_saveexec_b32 s4, vcc_lo
	s_cbranch_execnz .LBB239_2242
.LBB239_2169:
	s_or_b32 exec_lo, exec_lo, s4
	s_and_saveexec_b32 s4, vcc_lo
	s_cbranch_execnz .LBB239_2243
.LBB239_2170:
	s_or_b32 exec_lo, exec_lo, s4
	s_and_saveexec_b32 s4, vcc_lo
	s_cbranch_execnz .LBB239_2244
.LBB239_2171:
	s_or_b32 exec_lo, exec_lo, s4
	s_and_saveexec_b32 s4, vcc_lo
	s_cbranch_execnz .LBB239_2245
.LBB239_2172:
	s_or_b32 exec_lo, exec_lo, s4
	s_and_saveexec_b32 s4, vcc_lo
	s_cbranch_execnz .LBB239_2246
.LBB239_2173:
	s_or_b32 exec_lo, exec_lo, s4
	s_and_saveexec_b32 s4, vcc_lo
	s_cbranch_execnz .LBB239_2247
.LBB239_2174:
	s_or_b32 exec_lo, exec_lo, s4
	s_and_saveexec_b32 s4, vcc_lo
	s_cbranch_execnz .LBB239_2248
.LBB239_2175:
	s_or_b32 exec_lo, exec_lo, s4
	s_and_saveexec_b32 s4, vcc_lo
	s_cbranch_execnz .LBB239_2249
.LBB239_2176:
	s_or_b32 exec_lo, exec_lo, s4
	s_and_saveexec_b32 s4, vcc_lo
	s_cbranch_execnz .LBB239_2250
.LBB239_2177:
	s_or_b32 exec_lo, exec_lo, s4
	s_and_saveexec_b32 s4, vcc_lo
	s_cbranch_execnz .LBB239_2251
.LBB239_2178:
	s_or_b32 exec_lo, exec_lo, s4
	s_and_saveexec_b32 s4, vcc_lo
	s_cbranch_execnz .LBB239_2252
.LBB239_2179:
	s_or_b32 exec_lo, exec_lo, s4
	s_and_saveexec_b32 s4, vcc_lo
	s_cbranch_execnz .LBB239_2253
.LBB239_2180:
	s_or_b32 exec_lo, exec_lo, s4
	s_and_saveexec_b32 s4, vcc_lo
	s_cbranch_execnz .LBB239_2254
.LBB239_2181:
	s_or_b32 exec_lo, exec_lo, s4
	s_and_saveexec_b32 s4, vcc_lo
	s_cbranch_execnz .LBB239_2255
.LBB239_2182:
	s_or_b32 exec_lo, exec_lo, s4
	s_and_saveexec_b32 s4, vcc_lo
	s_cbranch_execnz .LBB239_2256
.LBB239_2183:
	s_or_b32 exec_lo, exec_lo, s4
	s_and_saveexec_b32 s4, vcc_lo
	s_cbranch_execnz .LBB239_2257
.LBB239_2184:
	s_or_b32 exec_lo, exec_lo, s4
	s_and_saveexec_b32 s4, vcc_lo
	s_cbranch_execnz .LBB239_2258
.LBB239_2185:
	s_or_b32 exec_lo, exec_lo, s4
	s_and_saveexec_b32 s4, vcc_lo
	s_cbranch_execnz .LBB239_2259
.LBB239_2186:
	s_or_b32 exec_lo, exec_lo, s4
	s_and_saveexec_b32 s4, vcc_lo
	s_cbranch_execz .LBB239_2188
.LBB239_2187:
	ds_read_b32 v34, v32 offset:496
	s_waitcnt lgkmcnt(0)
	v_add_f32_e32 v31, v34, v31
.LBB239_2188:
	s_or_b32 exec_lo, exec_lo, s4
.LBB239_2189:
	s_or_b32 exec_lo, exec_lo, s7
	buffer_load_dword v34, off, s[0:3], s32 offset:928 ; 4-byte Folded Reload
	s_mov_b32 s7, exec_lo
	s_waitcnt vmcnt(0)
	s_barrier
	buffer_gl0_inv
	v_and_b32_e32 v34, 0x3e7, v34
	v_cmpx_eq_u32_e32 32, v34
	s_cbranch_execz .LBB239_2191
; %bb.2190:
	ds_write2_b32 v33, v0, v1 offset1:4
	ds_write2_b32 v33, v2, v3 offset0:8 offset1:12
	ds_write2_b32 v33, v4, v5 offset0:16 offset1:20
	;; [unrolled: 1-line block ×15, first 2 shown]
.LBB239_2191:
	s_or_b32 exec_lo, exec_lo, s7
	buffer_load_dword v33, off, s[0:3], s32 offset:928 ; 4-byte Folded Reload
	s_mov_b32 s7, exec_lo
	s_waitcnt vmcnt(0) lgkmcnt(0)
	s_barrier
	buffer_gl0_inv
	v_cmpx_gt_u32_e32 32, v33
	s_cbranch_execz .LBB239_2226
; %bb.2192:
	s_and_saveexec_b32 s4, vcc_lo
	s_cbranch_execnz .LBB239_2260
; %bb.2193:
	s_or_b32 exec_lo, exec_lo, s4
	s_and_saveexec_b32 s4, vcc_lo
	s_cbranch_execnz .LBB239_2261
.LBB239_2194:
	s_or_b32 exec_lo, exec_lo, s4
	s_and_saveexec_b32 s4, vcc_lo
	s_cbranch_execnz .LBB239_2262
.LBB239_2195:
	s_or_b32 exec_lo, exec_lo, s4
	s_and_saveexec_b32 s4, vcc_lo
	s_cbranch_execnz .LBB239_2263
.LBB239_2196:
	s_or_b32 exec_lo, exec_lo, s4
	s_and_saveexec_b32 s4, vcc_lo
	s_cbranch_execnz .LBB239_2264
.LBB239_2197:
	s_or_b32 exec_lo, exec_lo, s4
	s_and_saveexec_b32 s4, vcc_lo
	s_cbranch_execnz .LBB239_2265
.LBB239_2198:
	s_or_b32 exec_lo, exec_lo, s4
	s_and_saveexec_b32 s4, vcc_lo
	s_cbranch_execnz .LBB239_2266
.LBB239_2199:
	s_or_b32 exec_lo, exec_lo, s4
	s_and_saveexec_b32 s4, vcc_lo
	s_cbranch_execnz .LBB239_2267
.LBB239_2200:
	s_or_b32 exec_lo, exec_lo, s4
	s_and_saveexec_b32 s4, vcc_lo
	s_cbranch_execnz .LBB239_2268
.LBB239_2201:
	s_or_b32 exec_lo, exec_lo, s4
	s_and_saveexec_b32 s4, vcc_lo
	s_cbranch_execnz .LBB239_2269
.LBB239_2202:
	s_or_b32 exec_lo, exec_lo, s4
	s_and_saveexec_b32 s4, vcc_lo
	s_cbranch_execnz .LBB239_2270
.LBB239_2203:
	s_or_b32 exec_lo, exec_lo, s4
	s_and_saveexec_b32 s4, vcc_lo
	s_cbranch_execnz .LBB239_2271
.LBB239_2204:
	s_or_b32 exec_lo, exec_lo, s4
	s_and_saveexec_b32 s4, vcc_lo
	s_cbranch_execnz .LBB239_2272
.LBB239_2205:
	s_or_b32 exec_lo, exec_lo, s4
	s_and_saveexec_b32 s4, vcc_lo
	s_cbranch_execnz .LBB239_2273
.LBB239_2206:
	s_or_b32 exec_lo, exec_lo, s4
	s_and_saveexec_b32 s4, vcc_lo
	s_cbranch_execnz .LBB239_2274
.LBB239_2207:
	s_or_b32 exec_lo, exec_lo, s4
	s_and_saveexec_b32 s4, vcc_lo
	s_cbranch_execnz .LBB239_2275
.LBB239_2208:
	s_or_b32 exec_lo, exec_lo, s4
	s_and_saveexec_b32 s4, vcc_lo
	s_cbranch_execnz .LBB239_2276
.LBB239_2209:
	s_or_b32 exec_lo, exec_lo, s4
	s_and_saveexec_b32 s4, vcc_lo
	s_cbranch_execnz .LBB239_2277
.LBB239_2210:
	s_or_b32 exec_lo, exec_lo, s4
	s_and_saveexec_b32 s4, vcc_lo
	s_cbranch_execnz .LBB239_2278
.LBB239_2211:
	s_or_b32 exec_lo, exec_lo, s4
	s_and_saveexec_b32 s4, vcc_lo
	s_cbranch_execnz .LBB239_2279
.LBB239_2212:
	s_or_b32 exec_lo, exec_lo, s4
	s_and_saveexec_b32 s4, vcc_lo
	s_cbranch_execnz .LBB239_2280
.LBB239_2213:
	s_or_b32 exec_lo, exec_lo, s4
	s_and_saveexec_b32 s4, vcc_lo
	s_cbranch_execnz .LBB239_2281
.LBB239_2214:
	s_or_b32 exec_lo, exec_lo, s4
	s_and_saveexec_b32 s4, vcc_lo
	s_cbranch_execnz .LBB239_2282
.LBB239_2215:
	s_or_b32 exec_lo, exec_lo, s4
	s_and_saveexec_b32 s4, vcc_lo
	s_cbranch_execnz .LBB239_2283
.LBB239_2216:
	s_or_b32 exec_lo, exec_lo, s4
	s_and_saveexec_b32 s4, vcc_lo
	s_cbranch_execnz .LBB239_2284
.LBB239_2217:
	s_or_b32 exec_lo, exec_lo, s4
	s_and_saveexec_b32 s4, vcc_lo
	s_cbranch_execnz .LBB239_2285
.LBB239_2218:
	s_or_b32 exec_lo, exec_lo, s4
	s_and_saveexec_b32 s4, vcc_lo
	s_cbranch_execnz .LBB239_2286
.LBB239_2219:
	s_or_b32 exec_lo, exec_lo, s4
	s_and_saveexec_b32 s4, vcc_lo
	s_cbranch_execnz .LBB239_2287
.LBB239_2220:
	s_or_b32 exec_lo, exec_lo, s4
	s_and_saveexec_b32 s4, vcc_lo
	s_cbranch_execnz .LBB239_2288
.LBB239_2221:
	s_or_b32 exec_lo, exec_lo, s4
	s_and_saveexec_b32 s4, vcc_lo
	s_cbranch_execnz .LBB239_2289
.LBB239_2222:
	s_or_b32 exec_lo, exec_lo, s4
	s_and_saveexec_b32 s4, vcc_lo
	s_cbranch_execnz .LBB239_2290
.LBB239_2223:
	s_or_b32 exec_lo, exec_lo, s4
	s_and_saveexec_b32 s4, vcc_lo
	s_cbranch_execz .LBB239_2225
.LBB239_2224:
	ds_read_b32 v32, v32 offset:496
	s_waitcnt lgkmcnt(0)
	v_add_f32_e32 v31, v32, v31
.LBB239_2225:
	s_or_b32 exec_lo, exec_lo, s4
.LBB239_2226:
	s_or_b32 exec_lo, exec_lo, s7
	v_cmp_eq_u32_e32 vcc_lo, 0, v34
	s_barrier
	buffer_gl0_inv
	s_and_b32 exec_lo, exec_lo, vcc_lo
	s_cbranch_execz .LBB239_2228
; %bb.2227:
	s_clause 0x2
	buffer_load_dword v32, off, s[0:3], s32 offset:1488
	buffer_load_dword v33, off, s[0:3], s32 offset:1484
	;; [unrolled: 1-line block ×3, first 2 shown]
	s_lshl_b32 s6, s6, 7
	s_mul_i32 s4, s10, s5
	s_ashr_i32 s7, s6, 31
	s_ashr_i32 s5, s4, 31
	s_lshl_b64 s[6:7], s[6:7], 2
	s_lshl_b64 s[4:5], s[4:5], 2
	s_waitcnt vmcnt(2)
	v_add_co_u32 v32, vcc_lo, v32, s6
	s_waitcnt vmcnt(1)
	v_add_co_ci_u32_e64 v33, null, s7, v33, vcc_lo
	s_lshl_b32 s6, s14, 7
	v_add_co_u32 v32, vcc_lo, v32, s4
	s_ashr_i32 s7, s6, 31
	v_add_co_ci_u32_e64 v33, null, s5, v33, vcc_lo
	s_lshl_b64 s[4:5], s[6:7], 2
	s_waitcnt vmcnt(0)
	v_lshrrev_b32_e32 v34, 1, v34
	v_add_co_u32 v32, vcc_lo, v32, s4
	v_add_co_ci_u32_e64 v33, null, s5, v33, vcc_lo
	v_add_co_u32 v32, vcc_lo, v32, v34
	v_add_co_ci_u32_e64 v33, null, 0, v33, vcc_lo
	flat_store_dword v[32:33], v0
	flat_store_dword v[32:33], v1 offset:16
	flat_store_dword v[32:33], v2 offset:32
	;; [unrolled: 1-line block ×31, first 2 shown]
.LBB239_2228:
	s_or_b32 exec_lo, exec_lo, s19
	s_clause 0x2f
	buffer_load_dword v127, off, s[0:3], s32 offset:8
	buffer_load_dword v126, off, s[0:3], s32 offset:12
	;; [unrolled: 1-line block ×48, first 2 shown]
	s_waitcnt vmcnt(0) lgkmcnt(0)
	s_setpc_b64 s[30:31]
.LBB239_2229:
	ds_read_b32 v34, v32
	s_waitcnt lgkmcnt(0)
	v_add_f32_e32 v0, v34, v0
	s_or_b32 exec_lo, exec_lo, s4
	s_and_saveexec_b32 s4, vcc_lo
	s_cbranch_execz .LBB239_2157
.LBB239_2230:
	ds_read_b32 v34, v32 offset:16
	s_waitcnt lgkmcnt(0)
	v_add_f32_e32 v1, v34, v1
	s_or_b32 exec_lo, exec_lo, s4
	s_and_saveexec_b32 s4, vcc_lo
	s_cbranch_execz .LBB239_2158
.LBB239_2231:
	ds_read_b32 v34, v32 offset:32
	s_waitcnt lgkmcnt(0)
	v_add_f32_e32 v2, v34, v2
	s_or_b32 exec_lo, exec_lo, s4
	s_and_saveexec_b32 s4, vcc_lo
	s_cbranch_execz .LBB239_2159
.LBB239_2232:
	ds_read_b32 v34, v32 offset:48
	s_waitcnt lgkmcnt(0)
	v_add_f32_e32 v3, v34, v3
	s_or_b32 exec_lo, exec_lo, s4
	s_and_saveexec_b32 s4, vcc_lo
	s_cbranch_execz .LBB239_2160
.LBB239_2233:
	ds_read_b32 v34, v32 offset:64
	s_waitcnt lgkmcnt(0)
	v_add_f32_e32 v4, v34, v4
	s_or_b32 exec_lo, exec_lo, s4
	s_and_saveexec_b32 s4, vcc_lo
	s_cbranch_execz .LBB239_2161
.LBB239_2234:
	ds_read_b32 v34, v32 offset:80
	s_waitcnt lgkmcnt(0)
	v_add_f32_e32 v5, v34, v5
	s_or_b32 exec_lo, exec_lo, s4
	s_and_saveexec_b32 s4, vcc_lo
	s_cbranch_execz .LBB239_2162
.LBB239_2235:
	ds_read_b32 v34, v32 offset:96
	s_waitcnt lgkmcnt(0)
	v_add_f32_e32 v6, v34, v6
	s_or_b32 exec_lo, exec_lo, s4
	s_and_saveexec_b32 s4, vcc_lo
	s_cbranch_execz .LBB239_2163
.LBB239_2236:
	ds_read_b32 v34, v32 offset:112
	s_waitcnt lgkmcnt(0)
	v_add_f32_e32 v7, v34, v7
	s_or_b32 exec_lo, exec_lo, s4
	s_and_saveexec_b32 s4, vcc_lo
	s_cbranch_execz .LBB239_2164
.LBB239_2237:
	ds_read_b32 v34, v32 offset:128
	s_waitcnt lgkmcnt(0)
	v_add_f32_e32 v8, v34, v8
	s_or_b32 exec_lo, exec_lo, s4
	s_and_saveexec_b32 s4, vcc_lo
	s_cbranch_execz .LBB239_2165
.LBB239_2238:
	ds_read_b32 v34, v32 offset:144
	s_waitcnt lgkmcnt(0)
	v_add_f32_e32 v9, v34, v9
	s_or_b32 exec_lo, exec_lo, s4
	s_and_saveexec_b32 s4, vcc_lo
	s_cbranch_execz .LBB239_2166
.LBB239_2239:
	ds_read_b32 v34, v32 offset:160
	s_waitcnt lgkmcnt(0)
	v_add_f32_e32 v10, v34, v10
	s_or_b32 exec_lo, exec_lo, s4
	s_and_saveexec_b32 s4, vcc_lo
	s_cbranch_execz .LBB239_2167
.LBB239_2240:
	ds_read_b32 v34, v32 offset:176
	s_waitcnt lgkmcnt(0)
	v_add_f32_e32 v11, v34, v11
	s_or_b32 exec_lo, exec_lo, s4
	s_and_saveexec_b32 s4, vcc_lo
	s_cbranch_execz .LBB239_2168
.LBB239_2241:
	ds_read_b32 v34, v32 offset:192
	s_waitcnt lgkmcnt(0)
	v_add_f32_e32 v12, v34, v12
	s_or_b32 exec_lo, exec_lo, s4
	s_and_saveexec_b32 s4, vcc_lo
	s_cbranch_execz .LBB239_2169
.LBB239_2242:
	ds_read_b32 v34, v32 offset:208
	s_waitcnt lgkmcnt(0)
	v_add_f32_e32 v13, v34, v13
	s_or_b32 exec_lo, exec_lo, s4
	s_and_saveexec_b32 s4, vcc_lo
	s_cbranch_execz .LBB239_2170
.LBB239_2243:
	ds_read_b32 v34, v32 offset:224
	s_waitcnt lgkmcnt(0)
	v_add_f32_e32 v15, v34, v15
	s_or_b32 exec_lo, exec_lo, s4
	s_and_saveexec_b32 s4, vcc_lo
	s_cbranch_execz .LBB239_2171
.LBB239_2244:
	ds_read_b32 v34, v32 offset:240
	s_waitcnt lgkmcnt(0)
	v_add_f32_e32 v14, v34, v14
	s_or_b32 exec_lo, exec_lo, s4
	s_and_saveexec_b32 s4, vcc_lo
	s_cbranch_execz .LBB239_2172
.LBB239_2245:
	ds_read_b32 v34, v32 offset:256
	s_waitcnt lgkmcnt(0)
	v_add_f32_e32 v16, v34, v16
	s_or_b32 exec_lo, exec_lo, s4
	s_and_saveexec_b32 s4, vcc_lo
	s_cbranch_execz .LBB239_2173
.LBB239_2246:
	ds_read_b32 v34, v32 offset:272
	s_waitcnt lgkmcnt(0)
	v_add_f32_e32 v17, v34, v17
	s_or_b32 exec_lo, exec_lo, s4
	s_and_saveexec_b32 s4, vcc_lo
	s_cbranch_execz .LBB239_2174
.LBB239_2247:
	ds_read_b32 v34, v32 offset:288
	s_waitcnt lgkmcnt(0)
	v_add_f32_e32 v18, v34, v18
	s_or_b32 exec_lo, exec_lo, s4
	s_and_saveexec_b32 s4, vcc_lo
	s_cbranch_execz .LBB239_2175
.LBB239_2248:
	ds_read_b32 v34, v32 offset:304
	s_waitcnt lgkmcnt(0)
	v_add_f32_e32 v19, v34, v19
	s_or_b32 exec_lo, exec_lo, s4
	s_and_saveexec_b32 s4, vcc_lo
	s_cbranch_execz .LBB239_2176
.LBB239_2249:
	ds_read_b32 v34, v32 offset:320
	s_waitcnt lgkmcnt(0)
	v_add_f32_e32 v20, v34, v20
	s_or_b32 exec_lo, exec_lo, s4
	s_and_saveexec_b32 s4, vcc_lo
	s_cbranch_execz .LBB239_2177
.LBB239_2250:
	ds_read_b32 v34, v32 offset:336
	s_waitcnt lgkmcnt(0)
	v_add_f32_e32 v21, v34, v21
	s_or_b32 exec_lo, exec_lo, s4
	s_and_saveexec_b32 s4, vcc_lo
	s_cbranch_execz .LBB239_2178
.LBB239_2251:
	ds_read_b32 v34, v32 offset:352
	s_waitcnt lgkmcnt(0)
	v_add_f32_e32 v22, v34, v22
	s_or_b32 exec_lo, exec_lo, s4
	s_and_saveexec_b32 s4, vcc_lo
	s_cbranch_execz .LBB239_2179
.LBB239_2252:
	ds_read_b32 v34, v32 offset:368
	s_waitcnt lgkmcnt(0)
	v_add_f32_e32 v23, v34, v23
	s_or_b32 exec_lo, exec_lo, s4
	s_and_saveexec_b32 s4, vcc_lo
	s_cbranch_execz .LBB239_2180
.LBB239_2253:
	ds_read_b32 v34, v32 offset:384
	s_waitcnt lgkmcnt(0)
	v_add_f32_e32 v24, v34, v24
	s_or_b32 exec_lo, exec_lo, s4
	s_and_saveexec_b32 s4, vcc_lo
	s_cbranch_execz .LBB239_2181
.LBB239_2254:
	ds_read_b32 v34, v32 offset:400
	s_waitcnt lgkmcnt(0)
	v_add_f32_e32 v25, v34, v25
	s_or_b32 exec_lo, exec_lo, s4
	s_and_saveexec_b32 s4, vcc_lo
	s_cbranch_execz .LBB239_2182
.LBB239_2255:
	ds_read_b32 v34, v32 offset:416
	s_waitcnt lgkmcnt(0)
	v_add_f32_e32 v26, v34, v26
	s_or_b32 exec_lo, exec_lo, s4
	s_and_saveexec_b32 s4, vcc_lo
	s_cbranch_execz .LBB239_2183
.LBB239_2256:
	ds_read_b32 v34, v32 offset:432
	s_waitcnt lgkmcnt(0)
	v_add_f32_e32 v27, v34, v27
	s_or_b32 exec_lo, exec_lo, s4
	s_and_saveexec_b32 s4, vcc_lo
	s_cbranch_execz .LBB239_2184
.LBB239_2257:
	ds_read_b32 v34, v32 offset:448
	s_waitcnt lgkmcnt(0)
	v_add_f32_e32 v28, v34, v28
	s_or_b32 exec_lo, exec_lo, s4
	s_and_saveexec_b32 s4, vcc_lo
	s_cbranch_execz .LBB239_2185
.LBB239_2258:
	ds_read_b32 v34, v32 offset:464
	s_waitcnt lgkmcnt(0)
	v_add_f32_e32 v29, v34, v29
	s_or_b32 exec_lo, exec_lo, s4
	s_and_saveexec_b32 s4, vcc_lo
	s_cbranch_execz .LBB239_2186
.LBB239_2259:
	ds_read_b32 v34, v32 offset:480
	s_waitcnt lgkmcnt(0)
	v_add_f32_e32 v30, v34, v30
	s_or_b32 exec_lo, exec_lo, s4
	s_and_saveexec_b32 s4, vcc_lo
	s_cbranch_execnz .LBB239_2187
	s_branch .LBB239_2188
.LBB239_2260:
	ds_read_b32 v33, v32
	s_waitcnt lgkmcnt(0)
	v_add_f32_e32 v0, v33, v0
	s_or_b32 exec_lo, exec_lo, s4
	s_and_saveexec_b32 s4, vcc_lo
	s_cbranch_execz .LBB239_2194
.LBB239_2261:
	ds_read_b32 v33, v32 offset:16
	s_waitcnt lgkmcnt(0)
	v_add_f32_e32 v1, v33, v1
	s_or_b32 exec_lo, exec_lo, s4
	s_and_saveexec_b32 s4, vcc_lo
	s_cbranch_execz .LBB239_2195
.LBB239_2262:
	ds_read_b32 v33, v32 offset:32
	s_waitcnt lgkmcnt(0)
	v_add_f32_e32 v2, v33, v2
	s_or_b32 exec_lo, exec_lo, s4
	s_and_saveexec_b32 s4, vcc_lo
	s_cbranch_execz .LBB239_2196
.LBB239_2263:
	ds_read_b32 v33, v32 offset:48
	s_waitcnt lgkmcnt(0)
	v_add_f32_e32 v3, v33, v3
	s_or_b32 exec_lo, exec_lo, s4
	s_and_saveexec_b32 s4, vcc_lo
	s_cbranch_execz .LBB239_2197
.LBB239_2264:
	ds_read_b32 v33, v32 offset:64
	s_waitcnt lgkmcnt(0)
	v_add_f32_e32 v4, v33, v4
	s_or_b32 exec_lo, exec_lo, s4
	s_and_saveexec_b32 s4, vcc_lo
	s_cbranch_execz .LBB239_2198
.LBB239_2265:
	ds_read_b32 v33, v32 offset:80
	s_waitcnt lgkmcnt(0)
	v_add_f32_e32 v5, v33, v5
	s_or_b32 exec_lo, exec_lo, s4
	s_and_saveexec_b32 s4, vcc_lo
	s_cbranch_execz .LBB239_2199
.LBB239_2266:
	ds_read_b32 v33, v32 offset:96
	s_waitcnt lgkmcnt(0)
	v_add_f32_e32 v6, v33, v6
	s_or_b32 exec_lo, exec_lo, s4
	s_and_saveexec_b32 s4, vcc_lo
	s_cbranch_execz .LBB239_2200
.LBB239_2267:
	ds_read_b32 v33, v32 offset:112
	s_waitcnt lgkmcnt(0)
	v_add_f32_e32 v7, v33, v7
	s_or_b32 exec_lo, exec_lo, s4
	s_and_saveexec_b32 s4, vcc_lo
	s_cbranch_execz .LBB239_2201
.LBB239_2268:
	ds_read_b32 v33, v32 offset:128
	s_waitcnt lgkmcnt(0)
	v_add_f32_e32 v8, v33, v8
	s_or_b32 exec_lo, exec_lo, s4
	s_and_saveexec_b32 s4, vcc_lo
	s_cbranch_execz .LBB239_2202
.LBB239_2269:
	ds_read_b32 v33, v32 offset:144
	s_waitcnt lgkmcnt(0)
	v_add_f32_e32 v9, v33, v9
	s_or_b32 exec_lo, exec_lo, s4
	s_and_saveexec_b32 s4, vcc_lo
	s_cbranch_execz .LBB239_2203
.LBB239_2270:
	ds_read_b32 v33, v32 offset:160
	s_waitcnt lgkmcnt(0)
	v_add_f32_e32 v10, v33, v10
	s_or_b32 exec_lo, exec_lo, s4
	s_and_saveexec_b32 s4, vcc_lo
	s_cbranch_execz .LBB239_2204
.LBB239_2271:
	ds_read_b32 v33, v32 offset:176
	s_waitcnt lgkmcnt(0)
	v_add_f32_e32 v11, v33, v11
	s_or_b32 exec_lo, exec_lo, s4
	s_and_saveexec_b32 s4, vcc_lo
	s_cbranch_execz .LBB239_2205
.LBB239_2272:
	ds_read_b32 v33, v32 offset:192
	s_waitcnt lgkmcnt(0)
	v_add_f32_e32 v12, v33, v12
	s_or_b32 exec_lo, exec_lo, s4
	s_and_saveexec_b32 s4, vcc_lo
	s_cbranch_execz .LBB239_2206
.LBB239_2273:
	ds_read_b32 v33, v32 offset:208
	s_waitcnt lgkmcnt(0)
	v_add_f32_e32 v13, v33, v13
	s_or_b32 exec_lo, exec_lo, s4
	s_and_saveexec_b32 s4, vcc_lo
	s_cbranch_execz .LBB239_2207
.LBB239_2274:
	ds_read_b32 v33, v32 offset:224
	s_waitcnt lgkmcnt(0)
	v_add_f32_e32 v15, v33, v15
	s_or_b32 exec_lo, exec_lo, s4
	s_and_saveexec_b32 s4, vcc_lo
	s_cbranch_execz .LBB239_2208
.LBB239_2275:
	ds_read_b32 v33, v32 offset:240
	s_waitcnt lgkmcnt(0)
	v_add_f32_e32 v14, v33, v14
	s_or_b32 exec_lo, exec_lo, s4
	s_and_saveexec_b32 s4, vcc_lo
	s_cbranch_execz .LBB239_2209
.LBB239_2276:
	ds_read_b32 v33, v32 offset:256
	s_waitcnt lgkmcnt(0)
	v_add_f32_e32 v16, v33, v16
	s_or_b32 exec_lo, exec_lo, s4
	s_and_saveexec_b32 s4, vcc_lo
	s_cbranch_execz .LBB239_2210
.LBB239_2277:
	ds_read_b32 v33, v32 offset:272
	s_waitcnt lgkmcnt(0)
	v_add_f32_e32 v17, v33, v17
	s_or_b32 exec_lo, exec_lo, s4
	s_and_saveexec_b32 s4, vcc_lo
	s_cbranch_execz .LBB239_2211
.LBB239_2278:
	ds_read_b32 v33, v32 offset:288
	s_waitcnt lgkmcnt(0)
	v_add_f32_e32 v18, v33, v18
	s_or_b32 exec_lo, exec_lo, s4
	s_and_saveexec_b32 s4, vcc_lo
	s_cbranch_execz .LBB239_2212
.LBB239_2279:
	ds_read_b32 v33, v32 offset:304
	s_waitcnt lgkmcnt(0)
	v_add_f32_e32 v19, v33, v19
	s_or_b32 exec_lo, exec_lo, s4
	s_and_saveexec_b32 s4, vcc_lo
	s_cbranch_execz .LBB239_2213
.LBB239_2280:
	ds_read_b32 v33, v32 offset:320
	s_waitcnt lgkmcnt(0)
	v_add_f32_e32 v20, v33, v20
	s_or_b32 exec_lo, exec_lo, s4
	s_and_saveexec_b32 s4, vcc_lo
	s_cbranch_execz .LBB239_2214
.LBB239_2281:
	ds_read_b32 v33, v32 offset:336
	s_waitcnt lgkmcnt(0)
	v_add_f32_e32 v21, v33, v21
	s_or_b32 exec_lo, exec_lo, s4
	s_and_saveexec_b32 s4, vcc_lo
	s_cbranch_execz .LBB239_2215
.LBB239_2282:
	ds_read_b32 v33, v32 offset:352
	s_waitcnt lgkmcnt(0)
	v_add_f32_e32 v22, v33, v22
	s_or_b32 exec_lo, exec_lo, s4
	s_and_saveexec_b32 s4, vcc_lo
	s_cbranch_execz .LBB239_2216
.LBB239_2283:
	ds_read_b32 v33, v32 offset:368
	s_waitcnt lgkmcnt(0)
	v_add_f32_e32 v23, v33, v23
	s_or_b32 exec_lo, exec_lo, s4
	s_and_saveexec_b32 s4, vcc_lo
	s_cbranch_execz .LBB239_2217
.LBB239_2284:
	ds_read_b32 v33, v32 offset:384
	s_waitcnt lgkmcnt(0)
	v_add_f32_e32 v24, v33, v24
	s_or_b32 exec_lo, exec_lo, s4
	s_and_saveexec_b32 s4, vcc_lo
	s_cbranch_execz .LBB239_2218
.LBB239_2285:
	ds_read_b32 v33, v32 offset:400
	s_waitcnt lgkmcnt(0)
	v_add_f32_e32 v25, v33, v25
	s_or_b32 exec_lo, exec_lo, s4
	s_and_saveexec_b32 s4, vcc_lo
	s_cbranch_execz .LBB239_2219
.LBB239_2286:
	ds_read_b32 v33, v32 offset:416
	s_waitcnt lgkmcnt(0)
	v_add_f32_e32 v26, v33, v26
	s_or_b32 exec_lo, exec_lo, s4
	s_and_saveexec_b32 s4, vcc_lo
	s_cbranch_execz .LBB239_2220
.LBB239_2287:
	ds_read_b32 v33, v32 offset:432
	s_waitcnt lgkmcnt(0)
	v_add_f32_e32 v27, v33, v27
	s_or_b32 exec_lo, exec_lo, s4
	s_and_saveexec_b32 s4, vcc_lo
	s_cbranch_execz .LBB239_2221
.LBB239_2288:
	ds_read_b32 v33, v32 offset:448
	s_waitcnt lgkmcnt(0)
	v_add_f32_e32 v28, v33, v28
	s_or_b32 exec_lo, exec_lo, s4
	s_and_saveexec_b32 s4, vcc_lo
	s_cbranch_execz .LBB239_2222
.LBB239_2289:
	ds_read_b32 v33, v32 offset:464
	s_waitcnt lgkmcnt(0)
	v_add_f32_e32 v29, v33, v29
	s_or_b32 exec_lo, exec_lo, s4
	s_and_saveexec_b32 s4, vcc_lo
	s_cbranch_execz .LBB239_2223
.LBB239_2290:
	ds_read_b32 v33, v32 offset:480
	s_waitcnt lgkmcnt(0)
	v_add_f32_e32 v30, v33, v30
	s_or_b32 exec_lo, exec_lo, s4
	s_and_saveexec_b32 s4, vcc_lo
	s_cbranch_execnz .LBB239_2224
	s_branch .LBB239_2225
.Lfunc_end239:
	.size	_ZN4vllm22paged_attention_kernelIfhLi128ELi32ELi128ELNS_18Fp8KVCacheDataTypeE1ELb1ELi512EEEvPfS2_PT_PKS3_PKT0_S9_ifPKiSB_iPKfiiiSD_SD_iiiii, .Lfunc_end239-_ZN4vllm22paged_attention_kernelIfhLi128ELi32ELi128ELNS_18Fp8KVCacheDataTypeE1ELb1ELi512EEEvPfS2_PT_PKS3_PKT0_S9_ifPKiSB_iPKfiiiSD_SD_iiiii
                                        ; -- End function
	.set .L_ZN4vllm22paged_attention_kernelIfhLi128ELi32ELi128ELNS_18Fp8KVCacheDataTypeE1ELb1ELi512EEEvPfS2_PT_PKS3_PKT0_S9_ifPKiSB_iPKfiiiSD_SD_iiiii.num_vgpr, 128
	.set .L_ZN4vllm22paged_attention_kernelIfhLi128ELi32ELi128ELNS_18Fp8KVCacheDataTypeE1ELb1ELi512EEEvPfS2_PT_PKS3_PKT0_S9_ifPKiSB_iPKfiiiSD_SD_iiiii.num_agpr, 0
	.set .L_ZN4vllm22paged_attention_kernelIfhLi128ELi32ELi128ELNS_18Fp8KVCacheDataTypeE1ELb1ELi512EEEvPfS2_PT_PKS3_PKT0_S9_ifPKiSB_iPKfiiiSD_SD_iiiii.numbered_sgpr, 33
	.set .L_ZN4vllm22paged_attention_kernelIfhLi128ELi32ELi128ELNS_18Fp8KVCacheDataTypeE1ELb1ELi512EEEvPfS2_PT_PKS3_PKT0_S9_ifPKiSB_iPKfiiiSD_SD_iiiii.num_named_barrier, 0
	.set .L_ZN4vllm22paged_attention_kernelIfhLi128ELi32ELi128ELNS_18Fp8KVCacheDataTypeE1ELb1ELi512EEEvPfS2_PT_PKS3_PKT0_S9_ifPKiSB_iPKfiiiSD_SD_iiiii.private_seg_size, 1564
	.set .L_ZN4vllm22paged_attention_kernelIfhLi128ELi32ELi128ELNS_18Fp8KVCacheDataTypeE1ELb1ELi512EEEvPfS2_PT_PKS3_PKT0_S9_ifPKiSB_iPKfiiiSD_SD_iiiii.uses_vcc, 1
	.set .L_ZN4vllm22paged_attention_kernelIfhLi128ELi32ELi128ELNS_18Fp8KVCacheDataTypeE1ELb1ELi512EEEvPfS2_PT_PKS3_PKT0_S9_ifPKiSB_iPKfiiiSD_SD_iiiii.uses_flat_scratch, 0
	.set .L_ZN4vllm22paged_attention_kernelIfhLi128ELi32ELi128ELNS_18Fp8KVCacheDataTypeE1ELb1ELi512EEEvPfS2_PT_PKS3_PKT0_S9_ifPKiSB_iPKfiiiSD_SD_iiiii.has_dyn_sized_stack, 0
	.set .L_ZN4vllm22paged_attention_kernelIfhLi128ELi32ELi128ELNS_18Fp8KVCacheDataTypeE1ELb1ELi512EEEvPfS2_PT_PKS3_PKT0_S9_ifPKiSB_iPKfiiiSD_SD_iiiii.has_recursion, 0
	.set .L_ZN4vllm22paged_attention_kernelIfhLi128ELi32ELi128ELNS_18Fp8KVCacheDataTypeE1ELb1ELi512EEEvPfS2_PT_PKS3_PKT0_S9_ifPKiSB_iPKfiiiSD_SD_iiiii.has_indirect_call, 0
	.section	.AMDGPU.csdata,"",@progbits
; Function info:
; codeLenInByte = 84468
; TotalNumSgprs: 35
; NumVgprs: 128
; ScratchSize: 1564
; MemoryBound: 0
	.section	.text._ZN4vllm25paged_attention_v2_kernelIfhLi128ELi32ELi128ELNS_18Fp8KVCacheDataTypeE1ELb1ELi512EEEvPfS2_PT_PKS3_PKT0_S9_ifPKiSB_iPKfiiiSD_SD_iiiii,"axG",@progbits,_ZN4vllm25paged_attention_v2_kernelIfhLi128ELi32ELi128ELNS_18Fp8KVCacheDataTypeE1ELb1ELi512EEEvPfS2_PT_PKS3_PKT0_S9_ifPKiSB_iPKfiiiSD_SD_iiiii,comdat
	.protected	_ZN4vllm25paged_attention_v2_kernelIfhLi128ELi32ELi128ELNS_18Fp8KVCacheDataTypeE1ELb1ELi512EEEvPfS2_PT_PKS3_PKT0_S9_ifPKiSB_iPKfiiiSD_SD_iiiii ; -- Begin function _ZN4vllm25paged_attention_v2_kernelIfhLi128ELi32ELi128ELNS_18Fp8KVCacheDataTypeE1ELb1ELi512EEEvPfS2_PT_PKS3_PKT0_S9_ifPKiSB_iPKfiiiSD_SD_iiiii
	.globl	_ZN4vllm25paged_attention_v2_kernelIfhLi128ELi32ELi128ELNS_18Fp8KVCacheDataTypeE1ELb1ELi512EEEvPfS2_PT_PKS3_PKT0_S9_ifPKiSB_iPKfiiiSD_SD_iiiii
	.p2align	8
	.type	_ZN4vllm25paged_attention_v2_kernelIfhLi128ELi32ELi128ELNS_18Fp8KVCacheDataTypeE1ELb1ELi512EEEvPfS2_PT_PKS3_PKT0_S9_ifPKiSB_iPKfiiiSD_SD_iiiii,@function
_ZN4vllm25paged_attention_v2_kernelIfhLi128ELi32ELi128ELNS_18Fp8KVCacheDataTypeE1ELb1ELi512EEEvPfS2_PT_PKS3_PKT0_S9_ifPKiSB_iPKfiiiSD_SD_iiiii: ; @_ZN4vllm25paged_attention_v2_kernelIfhLi128ELi32ELi128ELNS_18Fp8KVCacheDataTypeE1ELb1ELi512EEEvPfS2_PT_PKS3_PKT0_S9_ifPKiSB_iPKfiiiSD_SD_iiiii
; %bb.0:
	s_mov_b32 s14, s8
	s_clause 0x7
	s_load_dwordx4 s[36:39], s[4:5], 0x78
	s_load_dword s8, s[4:5], 0x88
	s_load_dwordx8 s[40:47], s[4:5], 0x0
	s_load_dwordx8 s[24:31], s[4:5], 0x20
	s_load_dwordx2 s[10:11], s[4:5], 0x40
	s_load_dwordx2 s[34:35], s[4:5], 0x50
	s_load_dword s13, s[4:5], 0x48
	s_load_dwordx8 s[16:23], s[4:5], 0x58
	s_add_u32 s0, s0, s9
	s_mov_b32 s32, 0
	s_addc_u32 s1, s1, 0
	v_mov_b32_e32 v31, v0
	s_mov_b32 s12, s6
	s_mov_b32 s15, 21
	s_waitcnt lgkmcnt(0)
	v_mov_b32_e32 v1, s39
	v_mov_b32_e32 v2, s8
	;; [unrolled: 1-line block ×4, first 2 shown]
	buffer_store_dword v1, off, s[0:3], s32
	buffer_store_dword v2, off, s[0:3], s32 offset:4
	v_mov_b32_e32 v1, s41
	v_mov_b32_e32 v2, s42
	;; [unrolled: 1-line block ×29, first 2 shown]
	s_add_u32 s8, s4, 0x90
	s_addc_u32 s9, s5, 0
	s_getpc_b64 s[4:5]
	s_add_u32 s4, s4, _ZN4vllm22paged_attention_kernelIfhLi128ELi32ELi128ELNS_18Fp8KVCacheDataTypeE1ELb1ELi512EEEvPfS2_PT_PKS3_PKT0_S9_ifPKiSB_iPKfiiiSD_SD_iiiii@rel32@lo+4
	s_addc_u32 s5, s5, _ZN4vllm22paged_attention_kernelIfhLi128ELi32ELi128ELNS_18Fp8KVCacheDataTypeE1ELb1ELi512EEEvPfS2_PT_PKS3_PKT0_S9_ifPKiSB_iPKfiiiSD_SD_iiiii@rel32@hi+12
	s_mov_b32 s13, s7
	s_swappc_b64 s[30:31], s[4:5]
	s_endpgm
	.section	.rodata,"a",@progbits
	.p2align	6, 0x0
	.amdhsa_kernel _ZN4vllm25paged_attention_v2_kernelIfhLi128ELi32ELi128ELNS_18Fp8KVCacheDataTypeE1ELb1ELi512EEEvPfS2_PT_PKS3_PKT0_S9_ifPKiSB_iPKfiiiSD_SD_iiiii
		.amdhsa_group_segment_fixed_size 544
		.amdhsa_private_segment_fixed_size 1564
		.amdhsa_kernarg_size 400
		.amdhsa_user_sgpr_count 6
		.amdhsa_user_sgpr_private_segment_buffer 1
		.amdhsa_user_sgpr_dispatch_ptr 0
		.amdhsa_user_sgpr_queue_ptr 0
		.amdhsa_user_sgpr_kernarg_segment_ptr 1
		.amdhsa_user_sgpr_dispatch_id 0
		.amdhsa_user_sgpr_flat_scratch_init 0
		.amdhsa_user_sgpr_private_segment_size 0
		.amdhsa_wavefront_size32 1
		.amdhsa_uses_dynamic_stack 0
		.amdhsa_system_sgpr_private_segment_wavefront_offset 1
		.amdhsa_system_sgpr_workgroup_id_x 1
		.amdhsa_system_sgpr_workgroup_id_y 1
		.amdhsa_system_sgpr_workgroup_id_z 1
		.amdhsa_system_sgpr_workgroup_info 0
		.amdhsa_system_vgpr_workitem_id 0
		.amdhsa_next_free_vgpr 128
		.amdhsa_next_free_sgpr 48
		.amdhsa_reserve_vcc 1
		.amdhsa_reserve_flat_scratch 0
		.amdhsa_float_round_mode_32 0
		.amdhsa_float_round_mode_16_64 0
		.amdhsa_float_denorm_mode_32 3
		.amdhsa_float_denorm_mode_16_64 3
		.amdhsa_dx10_clamp 1
		.amdhsa_ieee_mode 1
		.amdhsa_fp16_overflow 0
		.amdhsa_workgroup_processor_mode 1
		.amdhsa_memory_ordered 1
		.amdhsa_forward_progress 1
		.amdhsa_shared_vgpr_count 0
		.amdhsa_exception_fp_ieee_invalid_op 0
		.amdhsa_exception_fp_denorm_src 0
		.amdhsa_exception_fp_ieee_div_zero 0
		.amdhsa_exception_fp_ieee_overflow 0
		.amdhsa_exception_fp_ieee_underflow 0
		.amdhsa_exception_fp_ieee_inexact 0
		.amdhsa_exception_int_div_zero 0
	.end_amdhsa_kernel
	.section	.text._ZN4vllm25paged_attention_v2_kernelIfhLi128ELi32ELi128ELNS_18Fp8KVCacheDataTypeE1ELb1ELi512EEEvPfS2_PT_PKS3_PKT0_S9_ifPKiSB_iPKfiiiSD_SD_iiiii,"axG",@progbits,_ZN4vllm25paged_attention_v2_kernelIfhLi128ELi32ELi128ELNS_18Fp8KVCacheDataTypeE1ELb1ELi512EEEvPfS2_PT_PKS3_PKT0_S9_ifPKiSB_iPKfiiiSD_SD_iiiii,comdat
.Lfunc_end240:
	.size	_ZN4vllm25paged_attention_v2_kernelIfhLi128ELi32ELi128ELNS_18Fp8KVCacheDataTypeE1ELb1ELi512EEEvPfS2_PT_PKS3_PKT0_S9_ifPKiSB_iPKfiiiSD_SD_iiiii, .Lfunc_end240-_ZN4vllm25paged_attention_v2_kernelIfhLi128ELi32ELi128ELNS_18Fp8KVCacheDataTypeE1ELb1ELi512EEEvPfS2_PT_PKS3_PKT0_S9_ifPKiSB_iPKfiiiSD_SD_iiiii
                                        ; -- End function
	.set _ZN4vllm25paged_attention_v2_kernelIfhLi128ELi32ELi128ELNS_18Fp8KVCacheDataTypeE1ELb1ELi512EEEvPfS2_PT_PKS3_PKT0_S9_ifPKiSB_iPKfiiiSD_SD_iiiii.num_vgpr, max(32, .L_ZN4vllm22paged_attention_kernelIfhLi128ELi32ELi128ELNS_18Fp8KVCacheDataTypeE1ELb1ELi512EEEvPfS2_PT_PKS3_PKT0_S9_ifPKiSB_iPKfiiiSD_SD_iiiii.num_vgpr)
	.set _ZN4vllm25paged_attention_v2_kernelIfhLi128ELi32ELi128ELNS_18Fp8KVCacheDataTypeE1ELb1ELi512EEEvPfS2_PT_PKS3_PKT0_S9_ifPKiSB_iPKfiiiSD_SD_iiiii.num_agpr, max(0, .L_ZN4vllm22paged_attention_kernelIfhLi128ELi32ELi128ELNS_18Fp8KVCacheDataTypeE1ELb1ELi512EEEvPfS2_PT_PKS3_PKT0_S9_ifPKiSB_iPKfiiiSD_SD_iiiii.num_agpr)
	.set _ZN4vllm25paged_attention_v2_kernelIfhLi128ELi32ELi128ELNS_18Fp8KVCacheDataTypeE1ELb1ELi512EEEvPfS2_PT_PKS3_PKT0_S9_ifPKiSB_iPKfiiiSD_SD_iiiii.numbered_sgpr, max(48, .L_ZN4vllm22paged_attention_kernelIfhLi128ELi32ELi128ELNS_18Fp8KVCacheDataTypeE1ELb1ELi512EEEvPfS2_PT_PKS3_PKT0_S9_ifPKiSB_iPKfiiiSD_SD_iiiii.numbered_sgpr)
	.set _ZN4vllm25paged_attention_v2_kernelIfhLi128ELi32ELi128ELNS_18Fp8KVCacheDataTypeE1ELb1ELi512EEEvPfS2_PT_PKS3_PKT0_S9_ifPKiSB_iPKfiiiSD_SD_iiiii.num_named_barrier, max(0, .L_ZN4vllm22paged_attention_kernelIfhLi128ELi32ELi128ELNS_18Fp8KVCacheDataTypeE1ELb1ELi512EEEvPfS2_PT_PKS3_PKT0_S9_ifPKiSB_iPKfiiiSD_SD_iiiii.num_named_barrier)
	.set _ZN4vllm25paged_attention_v2_kernelIfhLi128ELi32ELi128ELNS_18Fp8KVCacheDataTypeE1ELb1ELi512EEEvPfS2_PT_PKS3_PKT0_S9_ifPKiSB_iPKfiiiSD_SD_iiiii.private_seg_size, 0+max(.L_ZN4vllm22paged_attention_kernelIfhLi128ELi32ELi128ELNS_18Fp8KVCacheDataTypeE1ELb1ELi512EEEvPfS2_PT_PKS3_PKT0_S9_ifPKiSB_iPKfiiiSD_SD_iiiii.private_seg_size)
	.set _ZN4vllm25paged_attention_v2_kernelIfhLi128ELi32ELi128ELNS_18Fp8KVCacheDataTypeE1ELb1ELi512EEEvPfS2_PT_PKS3_PKT0_S9_ifPKiSB_iPKfiiiSD_SD_iiiii.uses_vcc, or(1, .L_ZN4vllm22paged_attention_kernelIfhLi128ELi32ELi128ELNS_18Fp8KVCacheDataTypeE1ELb1ELi512EEEvPfS2_PT_PKS3_PKT0_S9_ifPKiSB_iPKfiiiSD_SD_iiiii.uses_vcc)
	.set _ZN4vllm25paged_attention_v2_kernelIfhLi128ELi32ELi128ELNS_18Fp8KVCacheDataTypeE1ELb1ELi512EEEvPfS2_PT_PKS3_PKT0_S9_ifPKiSB_iPKfiiiSD_SD_iiiii.uses_flat_scratch, or(0, .L_ZN4vllm22paged_attention_kernelIfhLi128ELi32ELi128ELNS_18Fp8KVCacheDataTypeE1ELb1ELi512EEEvPfS2_PT_PKS3_PKT0_S9_ifPKiSB_iPKfiiiSD_SD_iiiii.uses_flat_scratch)
	.set _ZN4vllm25paged_attention_v2_kernelIfhLi128ELi32ELi128ELNS_18Fp8KVCacheDataTypeE1ELb1ELi512EEEvPfS2_PT_PKS3_PKT0_S9_ifPKiSB_iPKfiiiSD_SD_iiiii.has_dyn_sized_stack, or(0, .L_ZN4vllm22paged_attention_kernelIfhLi128ELi32ELi128ELNS_18Fp8KVCacheDataTypeE1ELb1ELi512EEEvPfS2_PT_PKS3_PKT0_S9_ifPKiSB_iPKfiiiSD_SD_iiiii.has_dyn_sized_stack)
	.set _ZN4vllm25paged_attention_v2_kernelIfhLi128ELi32ELi128ELNS_18Fp8KVCacheDataTypeE1ELb1ELi512EEEvPfS2_PT_PKS3_PKT0_S9_ifPKiSB_iPKfiiiSD_SD_iiiii.has_recursion, or(0, .L_ZN4vllm22paged_attention_kernelIfhLi128ELi32ELi128ELNS_18Fp8KVCacheDataTypeE1ELb1ELi512EEEvPfS2_PT_PKS3_PKT0_S9_ifPKiSB_iPKfiiiSD_SD_iiiii.has_recursion)
	.set _ZN4vllm25paged_attention_v2_kernelIfhLi128ELi32ELi128ELNS_18Fp8KVCacheDataTypeE1ELb1ELi512EEEvPfS2_PT_PKS3_PKT0_S9_ifPKiSB_iPKfiiiSD_SD_iiiii.has_indirect_call, or(0, .L_ZN4vllm22paged_attention_kernelIfhLi128ELi32ELi128ELNS_18Fp8KVCacheDataTypeE1ELb1ELi512EEEvPfS2_PT_PKS3_PKT0_S9_ifPKiSB_iPKfiiiSD_SD_iiiii.has_indirect_call)
	.section	.AMDGPU.csdata,"",@progbits
; Kernel info:
; codeLenInByte = 292
; TotalNumSgprs: 50
; NumVgprs: 128
; ScratchSize: 1564
; MemoryBound: 0
; FloatMode: 240
; IeeeMode: 1
; LDSByteSize: 544 bytes/workgroup (compile time only)
; SGPRBlocks: 0
; VGPRBlocks: 15
; NumSGPRsForWavesPerEU: 50
; NumVGPRsForWavesPerEU: 128
; Occupancy: 8
; WaveLimiterHint : 1
; COMPUTE_PGM_RSRC2:SCRATCH_EN: 1
; COMPUTE_PGM_RSRC2:USER_SGPR: 6
; COMPUTE_PGM_RSRC2:TRAP_HANDLER: 0
; COMPUTE_PGM_RSRC2:TGID_X_EN: 1
; COMPUTE_PGM_RSRC2:TGID_Y_EN: 1
; COMPUTE_PGM_RSRC2:TGID_Z_EN: 1
; COMPUTE_PGM_RSRC2:TIDIG_COMP_CNT: 0
	.text
	.p2align	2                               ; -- Begin function _ZN4vllm22paged_attention_kernelIfhLi192ELi32ELi128ELNS_18Fp8KVCacheDataTypeE1ELb1ELi512EEEvPfS2_PT_PKS3_PKT0_S9_ifPKiSB_iPKfiiiSD_SD_iiiii
	.type	_ZN4vllm22paged_attention_kernelIfhLi192ELi32ELi128ELNS_18Fp8KVCacheDataTypeE1ELb1ELi512EEEvPfS2_PT_PKS3_PKT0_S9_ifPKiSB_iPKfiiiSD_SD_iiiii,@function
_ZN4vllm22paged_attention_kernelIfhLi192ELi32ELi128ELNS_18Fp8KVCacheDataTypeE1ELb1ELi512EEEvPfS2_PT_PKS3_PKT0_S9_ifPKiSB_iPKfiiiSD_SD_iiiii: ; @_ZN4vllm22paged_attention_kernelIfhLi192ELi32ELi128ELNS_18Fp8KVCacheDataTypeE1ELb1ELi512EEEvPfS2_PT_PKS3_PKT0_S9_ifPKiSB_iPKfiiiSD_SD_iiiii
; %bb.0:
	s_waitcnt vmcnt(0) expcnt(0) lgkmcnt(0)
	buffer_store_dword v40, off, s[0:3], s32 offset:196 ; 4-byte Folded Spill
	buffer_store_dword v41, off, s[0:3], s32 offset:192 ; 4-byte Folded Spill
	;; [unrolled: 1-line block ×48, first 2 shown]
	s_mov_b32 s10, s13
	s_ashr_i32 s11, s13, 31
	buffer_store_dword v26, off, s[0:3], s32 offset:1584 ; 4-byte Folded Spill
	buffer_store_dword v27, off, s[0:3], s32 offset:1588 ; 4-byte Folded Spill
	;; [unrolled: 1-line block ×8, first 2 shown]
	s_lshl_b64 s[4:5], s[10:11], 2
	v_mov_b32_e32 v25, v0
	v_add_co_u32 v0, vcc_lo, v16, s4
	v_mov_b32_e32 v24, v1
	v_add_co_ci_u32_e64 v1, null, s5, v17, vcc_lo
	v_mov_b32_e32 v26, v3
	v_mov_b32_e32 v32, v2
	s_lshl_b32 s21, s14, 9
	flat_load_dword v0, v[0:1]
	s_clause 0x1
	buffer_load_dword v2, off, s[0:3], s32 offset:4
	buffer_load_dword v3, off, s[0:3], s32
	s_mov_b32 s11, exec_lo
	s_waitcnt vmcnt(2) lgkmcnt(0)
	buffer_store_dword v0, off, s[0:3], s32 offset:208 ; 4-byte Folded Spill
	v_cmpx_lt_i32_e64 s21, v0
	s_cbranch_execz .LBB241_3318
; %bb.1:
	v_sub_nc_u32_e32 v0, 0, v12
	s_clause 0x1
	s_load_dword s4, s[8:9], 0x10
	s_load_dword s5, s[8:9], 0x0
	s_mov_b32 s18, s15
	v_max_i32_e32 v0, v12, v0
	v_cvt_f32_u32_e32 v1, v0
	v_sub_nc_u32_e32 v4, 0, v0
	v_rcp_iflag_f32_e32 v1, v1
	s_waitcnt lgkmcnt(0)
	s_lshr_b32 s4, s4, 16
	s_cmp_lg_u32 s4, 0
	s_cselect_b32 s4, -1, 0
	v_mul_f32_e32 v1, 0x4f7ffffe, v1
	s_cmp_lg_u32 s4, 0
	s_addc_u32 s20, s5, 0
	s_mov_b32 s5, exec_lo
	v_cvt_u32_f32_e32 v1, v1
	s_abs_i32 s4, s20
	v_mul_lo_u32 v4, v4, v1
	v_mul_hi_u32 v4, v1, v4
	v_add_nc_u32_e32 v1, v1, v4
	v_mul_hi_u32 v1, s4, v1
	v_mul_lo_u32 v4, v1, v0
	v_add_nc_u32_e32 v5, 1, v1
	v_sub_nc_u32_e32 v4, s4, v4
	s_abs_i32 s4, s12
	v_sub_nc_u32_e32 v13, v4, v0
	v_cmp_ge_u32_e32 vcc_lo, v4, v0
	v_cndmask_b32_e32 v1, v1, v5, vcc_lo
	v_cndmask_b32_e32 v4, v4, v13, vcc_lo
	v_xor_b32_e32 v5, s20, v12
	v_add_nc_u32_e32 v13, 1, v1
	v_cmp_ge_u32_e32 vcc_lo, v4, v0
	v_ashrrev_i32_e32 v5, 31, v5
	v_cndmask_b32_e32 v0, v1, v13, vcc_lo
	v_xor_b32_e32 v0, v0, v5
	v_sub_nc_u32_e32 v5, v0, v5
	v_sub_nc_u32_e32 v0, 0, v5
	v_max_i32_e32 v4, v5, v0
	v_cvt_f32_u32_e32 v0, v4
	v_sub_nc_u32_e32 v1, 0, v4
	v_rcp_iflag_f32_e32 v0, v0
	v_mul_f32_e32 v0, 0x4f7ffffe, v0
	v_cvt_u32_f32_e32 v0, v0
	v_mul_lo_u32 v1, v1, v0
	v_mul_hi_u32 v1, v0, v1
	v_add_nc_u32_e32 v0, v0, v1
	v_mad_u64_u32 v[0:1], null, s4, v0, 0
	v_mov_b32_e32 v0, 0
	buffer_store_dword v0, off, s[0:3], s32 offset:1604 ; 4-byte Folded Spill
	v_cmpx_ne_u64_e32 0, v[19:20]
	s_cbranch_execz .LBB241_3
; %bb.2:
	s_ashr_i32 s13, s12, 31
	s_lshl_b64 s[6:7], s[12:13], 2
	v_add_co_u32 v16, vcc_lo, v19, s6
	v_add_co_ci_u32_e64 v17, null, s7, v20, vcc_lo
	flat_load_dword v0, v[16:17]
	s_waitcnt vmcnt(0) lgkmcnt(0)
	buffer_store_dword v0, off, s[0:3], s32 offset:1604 ; 4-byte Folded Spill
.LBB241_3:
	s_or_b32 exec_lo, exec_lo, s5
	v_and_b32_e32 v13, 0x3ff, v31
	v_ashrrev_i32_e32 v0, 31, v5
	s_ashr_i32 s5, s12, 31
	s_mul_i32 s16, s12, 0xc0
	s_mov_b32 s6, exec_lo
	buffer_store_dword v13, off, s[0:3], s32 offset:1580 ; 4-byte Folded Spill
	v_cmpx_gt_u32_e32 48, v13
	s_cbranch_execz .LBB241_5
; %bb.4:
	buffer_load_dword v5, off, s[0:3], s32 offset:1580 ; 4-byte Folded Reload
	v_mul_lo_u32 v16, v21, s10
	s_ashr_i32 s17, s16, 31
	s_lshl_b64 s[22:23], s[16:17], 2
	v_ashrrev_i32_e32 v17, 31, v16
	v_lshlrev_b64 v[19:20], 2, v[16:17]
	s_waitcnt vmcnt(0)
	v_lshlrev_b32_e32 v17, 4, v5
	v_add_co_u32 v5, vcc_lo, v6, v19
	v_add_co_ci_u32_e64 v6, null, v7, v20, vcc_lo
	v_add_co_u32 v5, vcc_lo, v5, s22
	v_add_co_ci_u32_e64 v6, null, s23, v6, vcc_lo
	;; [unrolled: 2-line block ×3, first 2 shown]
	flat_load_dwordx4 v[19:22], v[5:6]
	s_waitcnt vmcnt(0) lgkmcnt(0)
	ds_write_b128 v17, v[19:22]
.LBB241_5:
	s_or_b32 exec_lo, exec_lo, s6
	s_waitcnt vmcnt(0)
	v_sub_nc_u32_e32 v5, 0, v3
	v_mul_lo_u32 v6, v1, v4
	v_max_i32_e32 v13, v3, v5
	v_sub_nc_u32_e32 v6, s4, v6
	v_cvt_f32_u32_e32 v5, v13
	buffer_store_dword v13, off, s[0:3], s32 offset:220 ; 4-byte Folded Spill
	s_mov_b32 s4, exec_lo
	v_sub_nc_u32_e32 v17, v6, v4
	v_rcp_iflag_f32_e32 v5, v5
	v_cmp_ge_u32_e32 vcc_lo, v6, v4
	v_cndmask_b32_e32 v6, v6, v17, vcc_lo
	v_mul_f32_e32 v5, 0x4f7ffffe, v5
	v_cvt_u32_f32_e32 v7, v5
	v_sub_nc_u32_e32 v5, 0, v13
	v_add_nc_u32_e32 v13, 1, v1
	v_mul_lo_u32 v16, v5, v7
	buffer_load_dword v5, off, s[0:3], s32 offset:208 ; 4-byte Folded Reload
	v_cndmask_b32_e32 v1, v1, v13, vcc_lo
	v_cmp_ge_u32_e32 vcc_lo, v6, v4
	v_add_nc_u32_e32 v13, 1, v1
	v_mul_hi_u32 v19, v7, v16
	v_xor_b32_e32 v16, s5, v0
	v_cndmask_b32_e32 v0, v1, v13, vcc_lo
	v_add_nc_u32_e32 v1, v7, v19
	v_xor_b32_e32 v6, v0, v16
	buffer_store_dword v1, off, s[0:3], s32 offset:240 ; 4-byte Folded Spill
	s_waitcnt vmcnt(0) lgkmcnt(0)
	s_waitcnt_vscnt null, 0x0
	s_barrier
	buffer_gl0_inv
	v_add_nc_u32_e32 v5, -1, v5
	v_sub_nc_u32_e32 v17, 0, v5
	v_max_i32_e32 v4, v5, v17
	v_mad_u64_u32 v[0:1], null, v4, v1, 0
	v_sub_nc_u32_e32 v0, v6, v16
                                        ; implicit-def: $vgpr6
	buffer_store_dword v6, off, s[0:3], s32 offset:224 ; 4-byte Folded Spill
	buffer_store_dword v7, off, s[0:3], s32 offset:228 ; 4-byte Folded Spill
	v_cmpx_gt_i32_e32 0, v2
	s_xor_b32 s4, exec_lo, s4
	s_cbranch_execz .LBB241_7
; %bb.6:
	v_mad_u64_u32 v[6:7], null, v28, v12, v[0:1]
                                        ; implicit-def: $vgpr28
	v_mul_lo_u32 v2, v6, v2
	v_sub_nc_u32_e32 v2, 1, v2
	buffer_store_dword v2, off, s[0:3], s32 offset:224 ; 4-byte Folded Spill
	buffer_store_dword v3, off, s[0:3], s32 offset:228 ; 4-byte Folded Spill
                                        ; implicit-def: $vgpr2
.LBB241_7:
	s_or_saveexec_b32 s4, s4
	v_ashrrev_i32_e32 v5, 31, v5
	v_ashrrev_i32_e32 v3, 31, v3
	buffer_store_dword v3, off, s[0:3], s32 offset:232 ; 4-byte Folded Spill
	s_xor_b32 exec_lo, exec_lo, s4
	s_cbranch_execz .LBB241_9
; %bb.8:
	v_mad_u64_u32 v[6:7], null, s20, v28, s[12:13]
	v_mad_u64_u32 v[2:3], null, v6, v2, 1
	buffer_store_dword v2, off, s[0:3], s32 offset:224 ; 4-byte Folded Spill
	buffer_store_dword v3, off, s[0:3], s32 offset:228 ; 4-byte Folded Spill
.LBB241_9:
	s_or_b32 exec_lo, exec_lo, s4
	s_clause 0x1
	buffer_load_dword v16, off, s[0:3], s32 offset:220
	buffer_load_dword v3, off, s[0:3], s32 offset:208
	s_clause 0x1
	s_load_dword s15, s[8:9], 0x14
	s_load_dword s13, s[8:9], 0x8
	buffer_load_dword v12, off, s[0:3], s32 offset:232 ; 4-byte Folded Reload
	v_mul_lo_u32 v33, v0, v23
	s_lshl_b32 s7, s14, 4
	v_mov_b32_e32 v108, 0xff7fffff
	s_add_i32 s4, s7, 16
	v_sub_nc_u32_e32 v103, 0, v30
	s_waitcnt vmcnt(2)
	v_mul_lo_u32 v2, v1, v16
	s_waitcnt vmcnt(1)
	v_add_nc_u32_e32 v3, 31, v3
	s_waitcnt vmcnt(0)
	v_xor_b32_e32 v5, v5, v12
	buffer_load_dword v12, off, s[0:3], s32 offset:1580 ; 4-byte Folded Reload
	v_ashrrev_i32_e32 v6, 31, v3
	v_sub_nc_u32_e32 v2, v4, v2
	v_add_nc_u32_e32 v4, 1, v1
	v_lshrrev_b32_e32 v6, 27, v6
	v_sub_nc_u32_e32 v7, v2, v16
	v_cmp_ge_u32_e32 vcc_lo, v2, v16
	v_add_nc_u32_e32 v3, v3, v6
	v_cndmask_b32_e32 v4, v1, v4, vcc_lo
	v_cndmask_b32_e32 v2, v2, v7, vcc_lo
	v_mul_lo_u32 v1, v18, s10
	v_add_nc_u32_e32 v7, 1, v4
	v_cmp_ge_u32_e32 vcc_lo, v2, v16
	v_cndmask_b32_e32 v2, v4, v7, vcc_lo
	v_xor_b32_e32 v0, v2, v5
	v_ashrrev_i32_e32 v2, 31, v1
	v_sub_nc_u32_e32 v0, v0, v5
	v_lshlrev_b64 v[100:101], 2, v[1:2]
	v_sub_nc_u32_e32 v0, v0, v29
	s_waitcnt vmcnt(0)
	v_lshrrev_b32_e32 v13, 5, v12
	v_and_b32_e32 v4, 31, v12
	v_ashrrev_i32_e32 v12, 5, v3
	v_add_nc_u32_e32 v3, s7, v13
	buffer_store_dword v13, off, s[0:3], s32 offset:2388 ; 4-byte Folded Spill
	v_min_i32_e32 v6, s4, v12
	v_ashrrev_i32_e32 v13, 31, v33
	v_lshlrev_b32_e32 v16, 2, v4
	v_mov_b32_e32 v1, v3
	buffer_store_dword v1, off, s[0:3], s32 offset:2392 ; 4-byte Folded Spill
	buffer_store_dword v2, off, s[0:3], s32 offset:2396 ; 4-byte Folded Spill
	;; [unrolled: 1-line block ×3, first 2 shown]
	v_cmp_lt_i32_e64 s4, v3, v6
	buffer_store_dword v0, off, s[0:3], s32 offset:244 ; 4-byte Folded Spill
	buffer_store_dword v4, off, s[0:3], s32 offset:1576 ; 4-byte Folded Spill
	s_and_saveexec_b32 s17, s4
	s_cbranch_execz .LBB241_1553
; %bb.10:
	buffer_store_dword v12, off, s[0:3], s32 offset:2444 ; 4-byte Folded Spill
	buffer_store_dword v32, off, s[0:3], s32 offset:2440 ; 4-byte Folded Spill
	;; [unrolled: 1-line block ×9, first 2 shown]
	s_clause 0x1
	buffer_load_dword v5, off, s[0:3], s32 offset:1576
	buffer_load_dword v4, off, s[0:3], s32 offset:1604
	v_add_co_u32 v1, vcc_lo, v8, v33
	buffer_store_dword v33, off, s[0:3], s32 offset:2448 ; 4-byte Folded Spill
	buffer_store_dword v13, off, s[0:3], s32 offset:2452 ; 4-byte Folded Spill
	v_add_co_ci_u32_e64 v2, null, v9, v13, vcc_lo
	s_clause 0x1
	buffer_load_dword v6, off, s[0:3], s32 offset:2392
	buffer_load_dword v7, off, s[0:3], s32 offset:2396
	v_max_i32_e32 v10, v30, v103
	v_mov_b32_e32 v77, 0
	buffer_store_dword v16, off, s[0:3], s32 offset:2468 ; 4-byte Folded Spill
	s_ashr_i32 s19, s18, 31
	s_getpc_b64 s[8:9]
	s_add_u32 s8, s8, llvm.amdgcn.dynlds.offset.table@rel32@lo+4
	s_addc_u32 s9, s9, llvm.amdgcn.dynlds.offset.table@rel32@hi+12
	v_cvt_f32_u32_e32 v0, v10
	buffer_store_dword v10, off, s[0:3], s32 offset:1344 ; 4-byte Folded Spill
	s_lshl_b64 s[24:25], s[18:19], 2
	v_bfrev_b32_e32 v71, 1
	s_add_u32 s8, s8, s24
	v_rcp_iflag_f32_e32 v0, v0
	s_addc_u32 s9, s9, s25
	v_mov_b32_e32 v108, 0xff7fffff
	s_mov_b32 s22, 0
	v_mul_f32_e32 v0, 0x4f7ffffe, v0
	s_waitcnt vmcnt(3)
	v_lshlrev_b32_e32 v3, 4, v5
	s_waitcnt vmcnt(2)
	v_cmp_neq_f32_e32 vcc_lo, 0, v4
	buffer_load_dword v4, off, s[0:3], s32 offset:2388 ; 4-byte Folded Reload
	s_waitcnt vmcnt(1)
	v_mov_b32_e32 v7, v6
	v_cvt_u32_f32_e32 v6, v0
	v_add_co_u32 v0, s5, v1, v3
	v_add_co_ci_u32_e64 v1, null, 0, v2, s5
	v_ashrrev_i32_e32 v8, 31, v7
	s_waitcnt vmcnt(0)
	v_lshl_add_u32 v9, v4, 5, s21
	v_lshl_or_b32 v19, v4, 7, v16
	buffer_load_dword v4, off, s[0:3], s32 offset:208 ; 4-byte Folded Reload
	buffer_store_dword v0, off, s[0:3], s32 offset:1608 ; 4-byte Folded Spill
	buffer_store_dword v1, off, s[0:3], s32 offset:1612 ; 4-byte Folded Spill
	ds_read_b128 v[0:3], v77
	s_waitcnt lgkmcnt(0)
	buffer_store_dword v0, off, s[0:3], s32 offset:1616 ; 4-byte Folded Spill
	buffer_store_dword v1, off, s[0:3], s32 offset:1620 ; 4-byte Folded Spill
	;; [unrolled: 1-line block ×4, first 2 shown]
	ds_read_b128 v[0:3], v77 offset:16
	s_waitcnt lgkmcnt(0)
	buffer_store_dword v0, off, s[0:3], s32 offset:1632 ; 4-byte Folded Spill
	buffer_store_dword v1, off, s[0:3], s32 offset:1636 ; 4-byte Folded Spill
	;; [unrolled: 1-line block ×4, first 2 shown]
	v_lshlrev_b64 v[0:1], 2, v[7:8]
	v_add_co_u32 v0, s5, v100, v0
	s_waitcnt vmcnt(0)
	v_sub_nc_u32_e32 v4, v5, v4
	v_sub_nc_u32_e32 v5, 0, v10
	ds_read_b128 v[10:13], v77 offset:32
	s_waitcnt lgkmcnt(0)
	buffer_store_dword v10, off, s[0:3], s32 offset:1648 ; 4-byte Folded Spill
	buffer_store_dword v11, off, s[0:3], s32 offset:1652 ; 4-byte Folded Spill
	;; [unrolled: 1-line block ×4, first 2 shown]
	ds_read_b128 v[10:13], v77 offset:48
	v_add_nc_u32_e32 v3, 1, v4
	v_mul_lo_u32 v2, v5, v6
	s_waitcnt lgkmcnt(0)
	buffer_store_dword v10, off, s[0:3], s32 offset:1664 ; 4-byte Folded Spill
	buffer_store_dword v11, off, s[0:3], s32 offset:1668 ; 4-byte Folded Spill
	;; [unrolled: 1-line block ×4, first 2 shown]
	ds_read_b128 v[10:13], v77 offset:64
	v_mul_hi_u32 v2, v6, v2
	s_waitcnt lgkmcnt(0)
	buffer_store_dword v10, off, s[0:3], s32 offset:1680 ; 4-byte Folded Spill
	buffer_store_dword v11, off, s[0:3], s32 offset:1684 ; 4-byte Folded Spill
	;; [unrolled: 1-line block ×4, first 2 shown]
	ds_read_b128 v[10:13], v77 offset:80
	s_waitcnt lgkmcnt(0)
	buffer_store_dword v10, off, s[0:3], s32 offset:1696 ; 4-byte Folded Spill
	buffer_store_dword v11, off, s[0:3], s32 offset:1700 ; 4-byte Folded Spill
	;; [unrolled: 1-line block ×7, first 2 shown]
	s_load_dword s19, s[8:9], 0x0
	buffer_store_dword v14, off, s[0:3], s32 offset:2424 ; 4-byte Folded Spill
	buffer_store_dword v15, off, s[0:3], s32 offset:2420 ; 4-byte Folded Spill
	v_add_co_ci_u32_e64 v1, null, v101, v1, s5
	v_add_co_u32 v0, s5, v14, v0
	v_add_co_ci_u32_e64 v1, null, v15, v1, s5
	buffer_store_dword v0, off, s[0:3], s32 offset:212 ; 4-byte Folded Spill
	buffer_store_dword v1, off, s[0:3], s32 offset:216 ; 4-byte Folded Spill
	v_add_nc_u32_e32 v0, v6, v2
	v_mov_b32_e32 v2, v7
	buffer_store_dword v0, off, s[0:3], s32 offset:1348 ; 4-byte Folded Spill
	v_mov_b32_e32 v0, v7
	buffer_store_dword v0, off, s[0:3], s32 offset:2392 ; 4-byte Folded Spill
	buffer_store_dword v1, off, s[0:3], s32 offset:2396 ; 4-byte Folded Spill
	v_mov_b32_e32 v1, 0x7f800001
	buffer_store_dword v0, off, s[0:3], s32 offset:200 ; 4-byte Folded Spill
	buffer_store_dword v1, off, s[0:3], s32 offset:204 ; 4-byte Folded Spill
	ds_read_b128 v[3:6], v77 offset:96
	s_waitcnt lgkmcnt(0)
	buffer_store_dword v3, off, s[0:3], s32 offset:1716 ; 4-byte Folded Spill
	buffer_store_dword v4, off, s[0:3], s32 offset:1720 ; 4-byte Folded Spill
	buffer_store_dword v5, off, s[0:3], s32 offset:1724 ; 4-byte Folded Spill
	buffer_store_dword v6, off, s[0:3], s32 offset:1728 ; 4-byte Folded Spill
	ds_read_b128 v[3:6], v77 offset:112
	s_waitcnt lgkmcnt(0)
	buffer_store_dword v3, off, s[0:3], s32 offset:1732 ; 4-byte Folded Spill
	buffer_store_dword v4, off, s[0:3], s32 offset:1736 ; 4-byte Folded Spill
	;; [unrolled: 6-line block ×42, first 2 shown]
	buffer_store_dword v5, off, s[0:3], s32 offset:2380 ; 4-byte Folded Spill
	buffer_store_dword v6, off, s[0:3], s32 offset:2384 ; 4-byte Folded Spill
	s_branch .LBB241_16
.LBB241_11:                             ;   in Loop: Header=BB241_16 Depth=1
	s_or_b32 exec_lo, exec_lo, s26
	v_mov_b32_e32 v14, 24
	v_lshlrev_b32_e32 v26, 20, v26
	v_lshl_add_u32 v18, v18, 23, 0x3c000000
	v_lshlrev_b32_sdwa v14, v14, v66 dst_sel:DWORD dst_unused:UNUSED_PAD src0_sel:DWORD src1_sel:BYTE_3
	v_and_b32_e32 v14, 0x80000000, v14
	v_or3_b32 v27, v26, v14, v18
	v_mov_b32_e32 v26, v77
.LBB241_12:                             ;   in Loop: Header=BB241_16 Depth=1
	s_or_b32 exec_lo, exec_lo, s25
.LBB241_13:                             ;   in Loop: Header=BB241_16 Depth=1
	s_or_b32 exec_lo, exec_lo, s24
.LBB241_14:                             ;   in Loop: Header=BB241_16 Depth=1
	s_or_b32 exec_lo, exec_lo, s23
	v_or_b32_e32 v2, v2, v10
	v_or_b32_e32 v8, v92, v8
	;; [unrolled: 1-line block ×5, first 2 shown]
	buffer_store_dword v2, off, s[0:3], s32 offset:1396 ; 4-byte Folded Spill
	v_or_b32_e32 v2, v49, v13
	buffer_store_dword v8, off, s[0:3], s32 offset:1380 ; 4-byte Folded Spill
	v_or_b32_e32 v8, v73, v127
	buffer_store_dword v9, off, s[0:3], s32 offset:1372 ; 4-byte Folded Spill
	buffer_store_dword v3, off, s[0:3], s32 offset:1388 ; 4-byte Folded Spill
	;; [unrolled: 1-line block ×3, first 2 shown]
	v_or_b32_e32 v2, v48, v12
	buffer_store_dword v8, off, s[0:3], s32 offset:1368 ; 4-byte Folded Spill
	v_or_b32_e32 v8, v72, v126
	v_or_b32_e32 v62, v62, v0
	;; [unrolled: 1-line block ×3, first 2 shown]
	buffer_store_dword v2, off, s[0:3], s32 offset:1392 ; 4-byte Folded Spill
	v_or_b32_e32 v2, v121, v43
	buffer_store_dword v8, off, s[0:3], s32 offset:1376 ; 4-byte Folded Spill
	v_or_b32_e32 v21, v27, v21
	;; [unrolled: 2-line block ×43, first 2 shown]
	buffer_store_dword v2, off, s[0:3], s32 offset:1568 ; 4-byte Folded Spill
	s_clause 0x1
	buffer_load_dword v2, off, s[0:3], s32 offset:1332
	buffer_load_dword v3, off, s[0:3], s32 offset:1336
	s_waitcnt vmcnt(1)
	v_or_b32_e32 v2, v90, v2
	s_waitcnt vmcnt(0)
	v_or_b32_e32 v3, v91, v3
	buffer_store_dword v2, off, s[0:3], s32 offset:1332 ; 4-byte Folded Spill
	buffer_store_dword v3, off, s[0:3], s32 offset:1560 ; 4-byte Folded Spill
	s_clause 0x3
	buffer_load_dword v122, off, s[0:3], s32 offset:1324
	buffer_load_dword v123, off, s[0:3], s32 offset:1328
	buffer_load_dword v2, off, s[0:3], s32 offset:1300
	buffer_load_dword v3, off, s[0:3], s32 offset:1304
	s_waitcnt vmcnt(1)
	v_or_b32_e32 v2, v2, v122
	s_waitcnt vmcnt(0)
	v_or_b32_e32 v3, v3, v123
	buffer_store_dword v2, off, s[0:3], s32 offset:1324 ; 4-byte Folded Spill
	buffer_store_dword v3, off, s[0:3], s32 offset:1572 ; 4-byte Folded Spill
	s_clause 0x3
	buffer_load_dword v2, off, s[0:3], s32 offset:1308
	buffer_load_dword v3, off, s[0:3], s32 offset:1312
	;; [unrolled: 11-line block ×11, first 2 shown]
	buffer_load_dword v2, off, s[0:3], s32 offset:1140
	buffer_load_dword v3, off, s[0:3], s32 offset:1144
	s_waitcnt vmcnt(1)
	v_or_b32_e32 v73, v2, v122
	s_waitcnt vmcnt(0)
	v_or_b32_e32 v92, v3, v123
	s_clause 0x3
	buffer_load_dword v2, off, s[0:3], s32 offset:1148
	buffer_load_dword v3, off, s[0:3], s32 offset:1152
	;; [unrolled: 1-line block ×4, first 2 shown]
	s_waitcnt vmcnt(1)
	v_or_b32_e32 v78, v2, v4
	s_waitcnt vmcnt(0)
	v_or_b32_e32 v3, v3, v5
	buffer_store_dword v3, off, s[0:3], s32 offset:1140 ; 4-byte Folded Spill
	s_clause 0x3
	buffer_load_dword v122, off, s[0:3], s32 offset:1132
	buffer_load_dword v123, off, s[0:3], s32 offset:1136
	buffer_load_dword v2, off, s[0:3], s32 offset:1108
	buffer_load_dword v3, off, s[0:3], s32 offset:1112
	s_waitcnt vmcnt(1)
	v_or_b32_e32 v100, v2, v122
	s_waitcnt vmcnt(0)
	v_or_b32_e32 v58, v3, v123
	s_clause 0x3
	buffer_load_dword v2, off, s[0:3], s32 offset:1116
	buffer_load_dword v3, off, s[0:3], s32 offset:1120
	buffer_load_dword v4, off, s[0:3], s32 offset:1124
	buffer_load_dword v5, off, s[0:3], s32 offset:1128
	s_waitcnt vmcnt(1)
	v_or_b32_e32 v47, v2, v4
	s_waitcnt vmcnt(0)
	v_or_b32_e32 v72, v3, v5
	;; [unrolled: 9-line block ×3, first 2 shown]
	buffer_store_dword v2, off, s[0:3], s32 offset:1100 ; 4-byte Folded Spill
	s_clause 0x3
	buffer_load_dword v2, off, s[0:3], s32 offset:1084
	buffer_load_dword v3, off, s[0:3], s32 offset:1088
	;; [unrolled: 1-line block ×4, first 2 shown]
	s_waitcnt vmcnt(1)
	v_or_b32_e32 v96, v2, v4
	s_waitcnt vmcnt(0)
	v_or_b32_e32 v3, v3, v5
	buffer_store_dword v3, off, s[0:3], s32 offset:1076 ; 4-byte Folded Spill
	s_clause 0x3
	buffer_load_dword v122, off, s[0:3], s32 offset:1068
	buffer_load_dword v123, off, s[0:3], s32 offset:1072
	;; [unrolled: 1-line block ×4, first 2 shown]
	s_waitcnt vmcnt(1)
	v_or_b32_e32 v2, v2, v122
	s_waitcnt vmcnt(0)
	v_or_b32_e32 v3, v3, v123
	buffer_store_dword v2, off, s[0:3], s32 offset:1044 ; 4-byte Folded Spill
	buffer_store_dword v3, off, s[0:3], s32 offset:1084 ; 4-byte Folded Spill
	s_clause 0x3
	buffer_load_dword v2, off, s[0:3], s32 offset:1052
	buffer_load_dword v3, off, s[0:3], s32 offset:1056
	buffer_load_dword v4, off, s[0:3], s32 offset:1060
	buffer_load_dword v5, off, s[0:3], s32 offset:1064
	s_waitcnt vmcnt(1)
	v_or_b32_e32 v85, v2, v4
	s_waitcnt vmcnt(0)
	v_or_b32_e32 v87, v3, v5
	s_clause 0x3
	buffer_load_dword v122, off, s[0:3], s32 offset:1036
	buffer_load_dword v123, off, s[0:3], s32 offset:1040
	buffer_load_dword v2, off, s[0:3], s32 offset:1012
	buffer_load_dword v3, off, s[0:3], s32 offset:1016
	s_waitcnt vmcnt(1)
	v_or_b32_e32 v90, v2, v122
	s_waitcnt vmcnt(0)
	v_or_b32_e32 v80, v3, v123
	;; [unrolled: 9-line block ×48, first 2 shown]
	s_clause 0x3
	buffer_load_dword v2, off, s[0:3], s32 offset:292
	buffer_load_dword v3, off, s[0:3], s32 offset:296
	;; [unrolled: 1-line block ×4, first 2 shown]
	v_mul_f32_e32 v26, v60, v117
	s_waitcnt vmcnt(1)
	v_or_b32_e32 v48, v2, v4
	s_waitcnt vmcnt(0)
	v_or_b32_e32 v46, v3, v5
	s_clause 0x1
	buffer_load_dword v2, off, s[0:3], s32 offset:252
	buffer_load_dword v3, off, s[0:3], s32 offset:256
	v_mul_f32_e32 v48, v60, v48
	s_waitcnt vmcnt(1)
	v_or_b32_e32 v75, v2, v22
	s_waitcnt vmcnt(0)
	v_or_b32_e32 v74, v3, v23
	s_clause 0x3
	buffer_load_dword v2, off, s[0:3], s32 offset:260
	buffer_load_dword v3, off, s[0:3], s32 offset:264
	buffer_load_dword v4, off, s[0:3], s32 offset:268
	buffer_load_dword v5, off, s[0:3], s32 offset:272
	v_mul_f32_e32 v27, v60, v75
	s_waitcnt vmcnt(1)
	v_or_b32_e32 v23, v2, v4
	s_waitcnt vmcnt(0)
	v_or_b32_e32 v22, v3, v5
	s_clause 0x7
	buffer_load_dword v4, off, s[0:3], s32 offset:1632
	buffer_load_dword v5, off, s[0:3], s32 offset:1636
	;; [unrolled: 1-line block ×8, first 2 shown]
	v_mul_f32_e32 v23, v60, v23
	v_mul_f32_e32 v22, v60, v22
	s_waitcnt vmcnt(7)
	v_mul_f32_e32 v26, v4, v26
	v_mul_f32_e32 v4, v60, v120
	s_waitcnt vmcnt(3)
	v_fmac_f32_e32 v26, v0, v27
	v_mul_f32_e32 v27, v60, v114
	v_mul_f32_e32 v114, v60, v74
	v_mul_f32_e32 v27, v5, v27
	s_waitcnt vmcnt(2)
	v_fmac_f32_e32 v27, v1, v114
	v_mul_f32_e32 v114, v6, v48
	s_waitcnt vmcnt(1)
	v_fmac_f32_e32 v114, v2, v23
	v_mul_f32_e32 v23, v60, v46
	v_mul_f32_e32 v117, v7, v23
	s_waitcnt vmcnt(0)
	v_fmac_f32_e32 v117, v3, v22
	s_clause 0x3
	buffer_load_dword v0, off, s[0:3], s32 offset:1648
	buffer_load_dword v1, off, s[0:3], s32 offset:1652
	;; [unrolled: 1-line block ×4, first 2 shown]
	v_mul_f32_e32 v22, v60, v109
	s_waitcnt vmcnt(3)
	v_fmac_f32_e32 v26, v0, v22
	v_mul_f32_e32 v22, v60, v122
	s_waitcnt vmcnt(2)
	v_fmac_f32_e32 v27, v1, v22
	;; [unrolled: 3-line block ×4, first 2 shown]
	s_clause 0x3
	buffer_load_dword v0, off, s[0:3], s32 offset:1664
	buffer_load_dword v1, off, s[0:3], s32 offset:1668
	;; [unrolled: 1-line block ×4, first 2 shown]
	v_mul_f32_e32 v22, v60, v107
	s_waitcnt vmcnt(3)
	v_fmac_f32_e32 v26, v0, v22
	v_mul_f32_e32 v22, v60, v106
	v_mul_f32_e32 v0, v60, v15
	s_waitcnt vmcnt(2)
	v_fmac_f32_e32 v27, v1, v22
	v_mul_f32_e32 v22, v60, v121
	s_waitcnt vmcnt(1)
	v_fmac_f32_e32 v114, v2, v22
	v_mul_f32_e32 v22, v60, v108
	s_clause 0x3
	buffer_load_dword v106, off, s[0:3], s32 offset:1680
	buffer_load_dword v107, off, s[0:3], s32 offset:1684
	;; [unrolled: 1-line block ×4, first 2 shown]
	v_mul_f32_e32 v2, v60, v104
	s_waitcnt vmcnt(4)
	v_fmac_f32_e32 v117, v3, v22
	v_mul_f32_e32 v3, v60, v105
	s_waitcnt vmcnt(3)
	v_fmac_f32_e32 v26, v106, v4
	;; [unrolled: 3-line block ×3, first 2 shown]
	s_waitcnt vmcnt(0)
	v_fmac_f32_e32 v117, v109, v2
	v_mul_f32_e32 v2, v60, v10
	v_fmac_f32_e32 v27, v107, v4
	s_clause 0x3
	buffer_load_dword v3, off, s[0:3], s32 offset:1696
	buffer_load_dword v4, off, s[0:3], s32 offset:1700
	buffer_load_dword v5, off, s[0:3], s32 offset:1704
	buffer_load_dword v6, off, s[0:3], s32 offset:1708
	s_waitcnt vmcnt(3)
	v_fmac_f32_e32 v26, v3, v2
	v_mul_f32_e32 v2, v60, v12
	s_waitcnt vmcnt(2)
	v_fmac_f32_e32 v27, v4, v2
	v_mul_f32_e32 v2, v60, v115
	s_waitcnt vmcnt(1)
	v_fmac_f32_e32 v114, v5, v2
	v_mul_f32_e32 v2, v60, v11
	s_waitcnt vmcnt(0)
	v_fmac_f32_e32 v117, v6, v2
	s_clause 0x3
	buffer_load_dword v3, off, s[0:3], s32 offset:1716
	buffer_load_dword v4, off, s[0:3], s32 offset:1720
	buffer_load_dword v5, off, s[0:3], s32 offset:1724
	buffer_load_dword v6, off, s[0:3], s32 offset:1728
	v_mul_f32_e32 v2, v60, v30
	s_waitcnt vmcnt(3)
	v_fmac_f32_e32 v26, v3, v2
	v_mul_f32_e32 v2, v60, v95
	s_waitcnt vmcnt(2)
	v_fmac_f32_e32 v27, v4, v2
	v_mul_f32_e32 v2, v60, v118
	s_waitcnt vmcnt(1)
	v_fmac_f32_e32 v114, v5, v2
	v_mul_f32_e32 v2, v60, v31
	s_waitcnt vmcnt(0)
	v_fmac_f32_e32 v117, v6, v2
	s_clause 0x3
	buffer_load_dword v3, off, s[0:3], s32 offset:1732
	buffer_load_dword v4, off, s[0:3], s32 offset:1736
	buffer_load_dword v5, off, s[0:3], s32 offset:1740
	buffer_load_dword v6, off, s[0:3], s32 offset:1744
	v_mul_f32_e32 v2, v60, v57
	;; [unrolled: 17-line block ×9, first 2 shown]
	s_waitcnt vmcnt(3)
	v_fmac_f32_e32 v26, v3, v2
	v_mul_f32_e32 v2, v60, v36
	s_waitcnt vmcnt(1)
	v_fmac_f32_e32 v114, v5, v0
	v_mul_f32_e32 v0, v60, v37
	v_fmac_f32_e32 v27, v4, v2
	s_clause 0x3
	buffer_load_dword v1, off, s[0:3], s32 offset:1860
	buffer_load_dword v2, off, s[0:3], s32 offset:1864
	;; [unrolled: 1-line block ×4, first 2 shown]
	s_waitcnt vmcnt(4)
	v_fmac_f32_e32 v117, v6, v0
	v_mul_f32_e32 v0, v60, v50
	s_waitcnt vmcnt(3)
	v_fmac_f32_e32 v26, v1, v0
	v_mul_f32_e32 v0, v60, v51
	;; [unrolled: 3-line block ×4, first 2 shown]
	s_waitcnt vmcnt(0)
	v_fmac_f32_e32 v117, v4, v0
	s_clause 0x3
	buffer_load_dword v1, off, s[0:3], s32 offset:1876
	buffer_load_dword v2, off, s[0:3], s32 offset:1880
	buffer_load_dword v3, off, s[0:3], s32 offset:1884
	buffer_load_dword v4, off, s[0:3], s32 offset:1888
	v_mul_f32_e32 v0, v60, v84
	s_waitcnt vmcnt(3)
	v_fmac_f32_e32 v26, v1, v0
	v_mul_f32_e32 v0, v60, v54
	s_waitcnt vmcnt(2)
	v_fmac_f32_e32 v27, v2, v0
	v_mul_f32_e32 v0, v60, v55
	s_waitcnt vmcnt(1)
	v_fmac_f32_e32 v114, v3, v0
	v_mul_f32_e32 v0, v60, v38
	s_waitcnt vmcnt(0)
	v_fmac_f32_e32 v117, v4, v0
	s_clause 0x3
	buffer_load_dword v1, off, s[0:3], s32 offset:1892
	buffer_load_dword v2, off, s[0:3], s32 offset:1896
	buffer_load_dword v3, off, s[0:3], s32 offset:1900
	buffer_load_dword v4, off, s[0:3], s32 offset:1904
	v_mul_f32_e32 v0, v60, v103
	s_waitcnt vmcnt(3)
	v_fmac_f32_e32 v26, v1, v0
	v_mul_f32_e32 v0, v60, v39
	s_waitcnt vmcnt(2)
	v_fmac_f32_e32 v27, v2, v0
	v_mul_f32_e32 v0, v60, v70
	s_waitcnt vmcnt(1)
	v_fmac_f32_e32 v114, v3, v0
	v_mul_f32_e32 v0, v60, v102
	;; [unrolled: 17-line block ×9, first 2 shown]
	s_waitcnt vmcnt(0)
	v_fmac_f32_e32 v117, v4, v0
	s_clause 0x4
	buffer_load_dword v0, off, s[0:3], s32 offset:1044
	buffer_load_dword v1, off, s[0:3], s32 offset:2020
	;; [unrolled: 1-line block ×5, first 2 shown]
	s_waitcnt vmcnt(4)
	v_mul_f32_e32 v0, v60, v0
	s_waitcnt vmcnt(3)
	v_fmac_f32_e32 v26, v1, v0
	buffer_load_dword v0, off, s[0:3], s32 offset:1084 ; 4-byte Folded Reload
	s_waitcnt vmcnt(0)
	v_mul_f32_e32 v0, v60, v0
	v_fmac_f32_e32 v27, v2, v0
	v_mul_f32_e32 v0, v60, v85
	v_fmac_f32_e32 v114, v3, v0
	;; [unrolled: 2-line block ×3, first 2 shown]
	s_clause 0x4
	buffer_load_dword v0, off, s[0:3], s32 offset:1100
	buffer_load_dword v1, off, s[0:3], s32 offset:2036
	;; [unrolled: 1-line block ×5, first 2 shown]
	s_waitcnt vmcnt(4)
	v_mul_f32_e32 v0, v60, v0
	s_waitcnt vmcnt(3)
	v_fmac_f32_e32 v26, v1, v0
	v_mul_f32_e32 v0, v60, v98
	s_waitcnt vmcnt(2)
	v_fmac_f32_e32 v27, v2, v0
	;; [unrolled: 3-line block ×3, first 2 shown]
	buffer_load_dword v0, off, s[0:3], s32 offset:1076 ; 4-byte Folded Reload
	s_waitcnt vmcnt(0)
	v_mul_f32_e32 v0, v60, v0
	v_fmac_f32_e32 v117, v4, v0
	s_clause 0x3
	buffer_load_dword v1, off, s[0:3], s32 offset:2052
	buffer_load_dword v2, off, s[0:3], s32 offset:2056
	;; [unrolled: 1-line block ×4, first 2 shown]
	v_mul_f32_e32 v0, v60, v100
	s_waitcnt vmcnt(3)
	v_fmac_f32_e32 v26, v1, v0
	v_mul_f32_e32 v0, v60, v58
	s_waitcnt vmcnt(2)
	v_fmac_f32_e32 v27, v2, v0
	;; [unrolled: 3-line block ×4, first 2 shown]
	s_clause 0x3
	buffer_load_dword v1, off, s[0:3], s32 offset:2068
	buffer_load_dword v2, off, s[0:3], s32 offset:2072
	;; [unrolled: 1-line block ×4, first 2 shown]
	v_mul_f32_e32 v0, v60, v73
	s_waitcnt vmcnt(3)
	v_fmac_f32_e32 v26, v1, v0
	v_mul_f32_e32 v0, v60, v92
	s_waitcnt vmcnt(2)
	v_fmac_f32_e32 v27, v2, v0
	;; [unrolled: 3-line block ×3, first 2 shown]
	buffer_load_dword v0, off, s[0:3], s32 offset:1140 ; 4-byte Folded Reload
	s_waitcnt vmcnt(0)
	v_mul_f32_e32 v0, v60, v0
	v_fmac_f32_e32 v117, v4, v0
	s_clause 0x4
	buffer_load_dword v0, off, s[0:3], s32 offset:1196
	buffer_load_dword v1, off, s[0:3], s32 offset:2084
	buffer_load_dword v2, off, s[0:3], s32 offset:2088
	buffer_load_dword v3, off, s[0:3], s32 offset:2092
	buffer_load_dword v4, off, s[0:3], s32 offset:2096
	s_waitcnt vmcnt(4)
	v_mul_f32_e32 v0, v60, v0
	s_waitcnt vmcnt(3)
	v_fmac_f32_e32 v26, v1, v0
	buffer_load_dword v0, off, s[0:3], s32 offset:1220 ; 4-byte Folded Reload
	s_waitcnt vmcnt(0)
	v_mul_f32_e32 v0, v60, v0
	v_fmac_f32_e32 v27, v2, v0
	buffer_load_dword v0, off, s[0:3], s32 offset:1180 ; 4-byte Folded Reload
	s_waitcnt vmcnt(0)
	v_mul_f32_e32 v0, v60, v0
	v_fmac_f32_e32 v114, v3, v0
	buffer_load_dword v0, off, s[0:3], s32 offset:1172 ; 4-byte Folded Reload
	s_waitcnt vmcnt(0)
	v_mul_f32_e32 v0, v60, v0
	v_fmac_f32_e32 v117, v4, v0
	s_clause 0x4
	buffer_load_dword v0, off, s[0:3], s32 offset:1228
	buffer_load_dword v1, off, s[0:3], s32 offset:2100
	buffer_load_dword v2, off, s[0:3], s32 offset:2104
	buffer_load_dword v3, off, s[0:3], s32 offset:2108
	buffer_load_dword v4, off, s[0:3], s32 offset:2112
	s_waitcnt vmcnt(4)
	v_mul_f32_e32 v0, v60, v0
	s_waitcnt vmcnt(3)
	v_fmac_f32_e32 v26, v1, v0
	buffer_load_dword v0, off, s[0:3], s32 offset:1252 ; 4-byte Folded Reload
	s_waitcnt vmcnt(0)
	v_mul_f32_e32 v0, v60, v0
	v_fmac_f32_e32 v27, v2, v0
	buffer_load_dword v0, off, s[0:3], s32 offset:1212 ; 4-byte Folded Reload
	s_waitcnt vmcnt(0)
	v_mul_f32_e32 v0, v60, v0
	v_fmac_f32_e32 v114, v3, v0
	;; [unrolled: 22-line block ×17, first 2 shown]
	buffer_load_dword v0, off, s[0:3], s32 offset:1384 ; 4-byte Folded Reload
	s_waitcnt vmcnt(0)
	v_mul_f32_e32 v0, v60, v0
	v_fmac_f32_e32 v117, v4, v0
	s_clause 0x4
	buffer_load_dword v0, off, s[0:3], s32 offset:1380
	buffer_load_dword v1, off, s[0:3], s32 offset:2356
	;; [unrolled: 1-line block ×5, first 2 shown]
	s_waitcnt vmcnt(4)
	v_mul_f32_e32 v0, v60, v0
	s_waitcnt vmcnt(3)
	v_fmac_f32_e32 v26, v1, v0
	buffer_load_dword v0, off, s[0:3], s32 offset:1372 ; 4-byte Folded Reload
	v_mul_f32_e32 v1, v60, v20
	s_waitcnt vmcnt(0)
	v_mul_f32_e32 v0, v60, v0
	v_fmac_f32_e32 v27, v2, v0
	s_clause 0x4
	buffer_load_dword v0, off, s[0:3], s32 offset:1376
	buffer_load_dword v5, off, s[0:3], s32 offset:2372
	;; [unrolled: 1-line block ×5, first 2 shown]
	v_mul_f32_e32 v2, v60, v21
	s_waitcnt vmcnt(4)
	v_mul_f32_e32 v0, v60, v0
	v_fmac_f32_e32 v114, v3, v0
	v_mul_f32_e32 v0, v60, v62
	s_waitcnt vmcnt(1)
	v_fmac_f32_e32 v114, v7, v1
	v_fmac_f32_e32 v26, v5, v0
	v_mul_f32_e32 v0, v60, v63
	v_fmac_f32_e32 v27, v6, v0
	s_clause 0x2
	buffer_load_dword v0, off, s[0:3], s32 offset:1368
	buffer_load_dword v9, off, s[0:3], s32 offset:1352
	;; [unrolled: 1-line block ×3, first 2 shown]
	s_load_dword s23, s[8:9], 0x0
	s_clause 0x1
	buffer_load_dword v19, off, s[0:3], s32 offset:1356
	buffer_load_dword v108, off, s[0:3], s32 offset:1360
	s_waitcnt vmcnt(4)
	v_mul_f32_e32 v0, v60, v0
	s_waitcnt vmcnt(2)
	v_add_nc_u32_e32 v1, v1, v9
	v_fmac_f32_e32 v117, v4, v0
	v_cvt_f32_i32_e32 v1, v1
	v_add_f32_e32 v0, v26, v27
	v_fmac_f32_e32 v117, v8, v2
	buffer_load_dword v2, off, s[0:3], s32 offset:1604 ; 4-byte Folded Reload
	v_add_f32_e32 v0, v114, v0
	v_add_f32_e32 v0, v117, v0
	s_waitcnt vmcnt(0)
	v_mul_f32_e32 v1, v2, v1
	buffer_load_dword v2, off, s[0:3], s32 offset:1600 ; 4-byte Folded Reload
	v_cndmask_b32_e32 v1, 0, v1, vcc_lo
	s_waitcnt vmcnt(0)
	v_fmac_f32_e32 v1, v2, v0
	s_clause 0x1
	buffer_load_dword v0, off, s[0:3], s32 offset:1576
	buffer_load_dword v2, off, s[0:3], s32 offset:208
	s_waitcnt vmcnt(1)
	v_add_nc_u32_e32 v0, v0, v9
	s_waitcnt vmcnt(0)
	v_cmp_lt_i32_e64 s5, v0, v2
	s_waitcnt lgkmcnt(0)
	v_add_nc_u32_e32 v0, s23, v19
	v_cndmask_b32_e64 v2, 0, v1, s5
	ds_write_b32 v0, v2
	v_max_f32_e32 v0, v108, v108
	v_max_f32_e32 v0, v0, v1
	v_cndmask_b32_e64 v108, v108, v0, s5
.LBB241_15:                             ;   in Loop: Header=BB241_16 Depth=1
	s_or_b32 exec_lo, exec_lo, s6
	s_clause 0x2
	buffer_load_dword v2, off, s[0:3], s32 offset:248
	buffer_load_dword v0, off, s[0:3], s32 offset:212
	;; [unrolled: 1-line block ×3, first 2 shown]
	v_add_nc_u32_e32 v9, 0x80, v9
	v_add_nc_u32_e32 v19, 0x200, v19
	s_waitcnt vmcnt(1)
	v_add_co_u32 v0, s5, v0, 16
	s_waitcnt vmcnt(0)
	v_add_co_ci_u32_e64 v1, null, 0, v1, s5
	v_add_nc_u32_e32 v2, 4, v2
	buffer_store_dword v0, off, s[0:3], s32 offset:212 ; 4-byte Folded Spill
	buffer_store_dword v1, off, s[0:3], s32 offset:216 ; 4-byte Folded Spill
	buffer_load_dword v0, off, s[0:3], s32 offset:236 ; 4-byte Folded Reload
	s_waitcnt vmcnt(0)
	v_cmp_ge_i32_e64 s5, v2, v0
	s_or_b32 s22, s5, s22
	s_andn2_b32 exec_lo, exec_lo, s22
	s_cbranch_execz .LBB241_1552
.LBB241_16:                             ; =>This Inner Loop Header: Depth=1
	s_clause 0x2
	buffer_load_dword v1, off, s[0:3], s32 offset:240
	buffer_load_dword v4, off, s[0:3], s32 offset:220
	buffer_load_dword v5, off, s[0:3], s32 offset:232
	v_sub_nc_u32_e32 v0, 0, v9
	buffer_store_dword v2, off, s[0:3], s32 offset:248 ; 4-byte Folded Spill
	v_max_i32_e32 v0, v9, v0
	s_waitcnt vmcnt(2)
	v_mul_hi_u32 v1, v0, v1
	s_waitcnt vmcnt(1)
	v_mul_lo_u32 v2, v1, v4
	v_sub_nc_u32_e32 v0, v0, v2
	v_add_nc_u32_e32 v2, 1, v1
	v_sub_nc_u32_e32 v3, v0, v4
	v_cmp_ge_u32_e64 s5, v0, v4
	v_cndmask_b32_e64 v1, v1, v2, s5
	v_cndmask_b32_e64 v0, v0, v3, s5
	v_ashrrev_i32_e32 v2, 31, v9
	v_add_nc_u32_e32 v3, 1, v1
	v_cmp_ge_u32_e64 s5, v0, v4
	s_waitcnt vmcnt(0)
	v_xor_b32_e32 v2, v2, v5
	v_cndmask_b32_e64 v0, v1, v3, s5
	v_xor_b32_e32 v0, v0, v2
	v_sub_nc_u32_e32 v0, v0, v2
	s_clause 0x3
	buffer_load_dword v1, off, s[0:3], s32 offset:224
	buffer_load_dword v2, off, s[0:3], s32 offset:228
	;; [unrolled: 1-line block ×4, first 2 shown]
	s_waitcnt vmcnt(3)
	v_add_nc_u32_e32 v1, v0, v1
	s_waitcnt vmcnt(2)
	v_sub_nc_u32_e32 v2, 0, v1
	v_max_i32_e32 v2, v1, v2
	v_ashrrev_i32_e32 v1, 31, v1
	s_waitcnt vmcnt(1)
	v_mul_hi_u32 v3, v2, v3
	s_waitcnt vmcnt(0)
	v_mul_lo_u32 v3, v3, v4
	v_sub_nc_u32_e32 v2, v2, v3
	v_sub_nc_u32_e32 v3, v2, v4
	v_cmp_ge_u32_e64 s5, v2, v4
	v_cndmask_b32_e64 v2, v2, v3, s5
	v_sub_nc_u32_e32 v3, v2, v4
	v_cmp_ge_u32_e64 s5, v2, v4
	v_cndmask_b32_e64 v2, v2, v3, s5
	v_xor_b32_e32 v2, v2, v1
	v_sub_nc_u32_e32 v1, v2, v1
	v_cmp_ne_u32_e64 s5, 0, v1
	buffer_load_dword v1, off, s[0:3], s32 offset:244 ; 4-byte Folded Reload
	s_waitcnt vmcnt(0)
	v_cmp_le_i32_e64 s6, v0, v1
	s_and_b32 s5, s5, s6
	s_and_saveexec_b32 s6, s5
	s_xor_b32 s5, exec_lo, s6
; %bb.17:                               ;   in Loop: Header=BB241_16 Depth=1
	v_add_nc_u32_e32 v0, s19, v19
	v_mov_b32_e32 v1, 0xff7fffff
	ds_write_b32 v0, v1
; %bb.18:                               ;   in Loop: Header=BB241_16 Depth=1
	s_andn2_saveexec_b32 s6, s5
	s_cbranch_execz .LBB241_15
; %bb.19:                               ;   in Loop: Header=BB241_16 Depth=1
	buffer_store_dword v9, off, s[0:3], s32 offset:1352 ; 4-byte Folded Spill
	s_clause 0x1
	buffer_load_dword v0, off, s[0:3], s32 offset:212
	buffer_load_dword v1, off, s[0:3], s32 offset:216
	v_mov_b32_e32 v22, 0
	v_mov_b32_e32 v23, 0
	s_waitcnt vmcnt(0)
	flat_load_dword v0, v[0:1]
	s_clause 0x2
	buffer_load_dword v1, off, s[0:3], s32 offset:1340
	buffer_load_dword v2, off, s[0:3], s32 offset:1608
	;; [unrolled: 1-line block ×3, first 2 shown]
	s_waitcnt vmcnt(0) lgkmcnt(0)
	v_mad_i64_i32 v[8:9], null, v0, v1, v[2:3]
	flat_load_dword v0, v[8:9]
	s_clause 0x1
	buffer_load_dword v1, off, s[0:3], s32 offset:1592
	buffer_load_dword v2, off, s[0:3], s32 offset:1596
	s_waitcnt vmcnt(2) lgkmcnt(0)
	v_cmp_ne_u16_sdwa s5, v0, v77 src0_sel:BYTE_0 src1_sel:DWORD
	s_waitcnt vmcnt(0)
	flat_load_dword v60, v[1:2]
	v_mov_b32_e32 v1, 0
	v_mov_b32_e32 v2, 0
	buffer_store_dword v1, off, s[0:3], s32 offset:252 ; 4-byte Folded Spill
	buffer_store_dword v2, off, s[0:3], s32 offset:256 ; 4-byte Folded Spill
	s_and_saveexec_b32 s23, s5
	s_cbranch_execz .LBB241_27
; %bb.20:                               ;   in Loop: Header=BB241_16 Depth=1
	v_mov_b32_e32 v1, 0x80
	v_bfrev_b32_e32 v22, 1
	v_mov_b32_e32 v23, 0
	v_cmp_ne_u16_sdwa s5, v0, v1 src0_sel:BYTE_0 src1_sel:DWORD
	s_and_saveexec_b32 s24, s5
	s_cbranch_execz .LBB241_26
; %bb.21:                               ;   in Loop: Header=BB241_16 Depth=1
	v_mov_b32_e32 v22, 0x7f800001
	v_and_b32_e32 v2, 0x7f, v0
	v_mov_b32_e32 v23, 0
	s_mov_b32 s25, exec_lo
	v_cmpx_ne_u32_e32 0x7f, v2
	s_cbranch_execz .LBB241_25
; %bb.22:                               ;   in Loop: Header=BB241_16 Depth=1
	v_and_b32_e32 v76, 7, v0
	v_lshrrev_b32_e32 v1, 3, v2
	s_mov_b32 s26, exec_lo
	v_cmpx_gt_u32_e32 8, v2
; %bb.23:                               ;   in Loop: Header=BB241_16 Depth=1
	v_ffbh_u32_e32 v1, v76
	v_min_u32_e32 v1, 32, v1
	v_subrev_nc_u32_e32 v2, 28, v1
	v_sub_nc_u32_e32 v1, 29, v1
	v_lshlrev_b64 v[2:3], v2, v[76:77]
	v_and_b32_e32 v76, 7, v2
; %bb.24:                               ;   in Loop: Header=BB241_16 Depth=1
	s_or_b32 exec_lo, exec_lo, s26
	v_lshlrev_b32_e32 v2, 24, v0
	v_lshlrev_b32_e32 v3, 20, v76
	v_lshl_add_u32 v1, v1, 23, 0x3c000000
	v_and_b32_e32 v2, 0x80000000, v2
	v_or3_b32 v76, v3, v2, v1
	v_mov_b32_e32 v22, v76
	v_mov_b32_e32 v23, v77
.LBB241_25:                             ;   in Loop: Header=BB241_16 Depth=1
	s_or_b32 exec_lo, exec_lo, s25
.LBB241_26:                             ;   in Loop: Header=BB241_16 Depth=1
	s_or_b32 exec_lo, exec_lo, s24
.LBB241_27:                             ;   in Loop: Header=BB241_16 Depth=1
	s_or_b32 exec_lo, exec_lo, s23
	v_cmp_ne_u16_sdwa s5, v0, v77 src0_sel:BYTE_1 src1_sel:DWORD
	s_and_saveexec_b32 s23, s5
	s_cbranch_execz .LBB241_35
; %bb.28:                               ;   in Loop: Header=BB241_16 Depth=1
	v_mov_b32_e32 v1, 0x80
	v_mov_b32_e32 v70, v77
	buffer_store_dword v70, off, s[0:3], s32 offset:252 ; 4-byte Folded Spill
	buffer_store_dword v71, off, s[0:3], s32 offset:256 ; 4-byte Folded Spill
	v_cmp_ne_u16_sdwa s5, v0, v1 src0_sel:BYTE_1 src1_sel:DWORD
	s_and_saveexec_b32 s24, s5
	s_cbranch_execz .LBB241_34
; %bb.29:                               ;   in Loop: Header=BB241_16 Depth=1
	s_clause 0x1
	buffer_load_dword v3, off, s[0:3], s32 offset:200
	buffer_load_dword v4, off, s[0:3], s32 offset:204
	v_mov_b32_e32 v1, 0xffff
	s_mov_b32 s25, exec_lo
	v_and_b32_sdwa v1, v1, v0 dst_sel:DWORD dst_unused:UNUSED_PAD src0_sel:DWORD src1_sel:BYTE_1
	v_and_b32_e32 v2, 0x7f, v1
	s_waitcnt vmcnt(0)
	v_mov_b32_e32 v5, v4
	v_mov_b32_e32 v4, v77
	;; [unrolled: 1-line block ×3, first 2 shown]
	buffer_store_dword v2, off, s[0:3], s32 offset:200 ; 4-byte Folded Spill
	buffer_store_dword v3, off, s[0:3], s32 offset:204 ; 4-byte Folded Spill
	;; [unrolled: 1-line block ×4, first 2 shown]
	v_cmpx_ne_u32_e32 0x7f, v2
	s_cbranch_execz .LBB241_33
; %bb.30:                               ;   in Loop: Header=BB241_16 Depth=1
	v_and_b32_e32 v76, 7, v1
	v_lshrrev_b32_e32 v1, 3, v2
	s_mov_b32 s26, exec_lo
	v_cmpx_gt_u32_e32 8, v2
; %bb.31:                               ;   in Loop: Header=BB241_16 Depth=1
	v_ffbh_u32_e32 v1, v76
	v_min_u32_e32 v1, 32, v1
	v_subrev_nc_u32_e32 v2, 28, v1
	v_sub_nc_u32_e32 v1, 29, v1
	v_lshlrev_b64 v[2:3], v2, v[76:77]
	v_and_b32_e32 v76, 7, v2
; %bb.32:                               ;   in Loop: Header=BB241_16 Depth=1
	s_or_b32 exec_lo, exec_lo, s26
	v_lshlrev_b32_e32 v2, 16, v0
	v_lshlrev_b32_e32 v3, 20, v76
	v_lshl_add_u32 v1, v1, 23, 0x3c000000
	v_and_b32_e32 v2, 0x80000000, v2
	v_or3_b32 v2, v3, v2, v1
	v_mov_b32_e32 v1, v77
	buffer_store_dword v1, off, s[0:3], s32 offset:252 ; 4-byte Folded Spill
	buffer_store_dword v2, off, s[0:3], s32 offset:256 ; 4-byte Folded Spill
.LBB241_33:                             ;   in Loop: Header=BB241_16 Depth=1
	s_or_b32 exec_lo, exec_lo, s25
.LBB241_34:                             ;   in Loop: Header=BB241_16 Depth=1
	s_or_b32 exec_lo, exec_lo, s24
.LBB241_35:                             ;   in Loop: Header=BB241_16 Depth=1
	s_or_b32 exec_lo, exec_lo, s23
	v_mov_b32_e32 v2, 0
	v_mov_b32_e32 v3, 0
	;; [unrolled: 1-line block ×3, first 2 shown]
	s_mov_b32 s23, exec_lo
	buffer_store_dword v2, off, s[0:3], s32 offset:260 ; 4-byte Folded Spill
	buffer_store_dword v3, off, s[0:3], s32 offset:264 ; 4-byte Folded Spill
	v_mov_b32_e32 v2, 0
	v_and_b32_sdwa v1, v0, v1 dst_sel:DWORD dst_unused:UNUSED_PAD src0_sel:WORD_1 src1_sel:DWORD
	v_mov_b32_e32 v3, 0
	buffer_store_dword v2, off, s[0:3], s32 offset:268 ; 4-byte Folded Spill
	buffer_store_dword v3, off, s[0:3], s32 offset:272 ; 4-byte Folded Spill
	v_cmpx_ne_u16_e32 0, v1
	s_cbranch_execz .LBB241_43
; %bb.36:                               ;   in Loop: Header=BB241_16 Depth=1
	v_cmp_ne_u16_e64 s5, 0x80, v1
	v_bfrev_b32_e32 v1, 1
	v_mov_b32_e32 v2, 0
	buffer_store_dword v1, off, s[0:3], s32 offset:268 ; 4-byte Folded Spill
	buffer_store_dword v2, off, s[0:3], s32 offset:272 ; 4-byte Folded Spill
	s_and_saveexec_b32 s24, s5
	s_cbranch_execz .LBB241_42
; %bb.37:                               ;   in Loop: Header=BB241_16 Depth=1
	v_mov_b32_e32 v3, 0x7f800001
	v_bfe_u32 v2, v0, 16, 7
	v_mov_b32_e32 v4, 0
	s_mov_b32 s25, exec_lo
	buffer_store_dword v3, off, s[0:3], s32 offset:268 ; 4-byte Folded Spill
	buffer_store_dword v4, off, s[0:3], s32 offset:272 ; 4-byte Folded Spill
	v_cmpx_ne_u32_e32 0x7f, v2
	s_cbranch_execz .LBB241_41
; %bb.38:                               ;   in Loop: Header=BB241_16 Depth=1
	v_mov_b32_e32 v1, 7
	s_mov_b32 s26, exec_lo
	v_and_b32_sdwa v76, v0, v1 dst_sel:DWORD dst_unused:UNUSED_PAD src0_sel:WORD_1 src1_sel:DWORD
	v_lshrrev_b32_e32 v1, 3, v2
	v_cmpx_gt_u32_e32 8, v2
; %bb.39:                               ;   in Loop: Header=BB241_16 Depth=1
	v_ffbh_u32_e32 v1, v76
	v_min_u32_e32 v1, 32, v1
	v_subrev_nc_u32_e32 v2, 28, v1
	v_sub_nc_u32_e32 v1, 29, v1
	v_lshlrev_b64 v[2:3], v2, v[76:77]
	v_and_b32_e32 v76, 7, v2
; %bb.40:                               ;   in Loop: Header=BB241_16 Depth=1
	s_or_b32 exec_lo, exec_lo, s26
	v_mov_b32_e32 v2, 24
	v_lshlrev_b32_e32 v3, 20, v76
	v_lshl_add_u32 v1, v1, 23, 0x3c000000
	v_lshlrev_b32_sdwa v2, v2, v0 dst_sel:DWORD dst_unused:UNUSED_PAD src0_sel:DWORD src1_sel:WORD_1
	v_and_b32_e32 v2, 0x80000000, v2
	v_or3_b32 v76, v3, v2, v1
	buffer_store_dword v76, off, s[0:3], s32 offset:268 ; 4-byte Folded Spill
	buffer_store_dword v77, off, s[0:3], s32 offset:272 ; 4-byte Folded Spill
.LBB241_41:                             ;   in Loop: Header=BB241_16 Depth=1
	s_or_b32 exec_lo, exec_lo, s25
.LBB241_42:                             ;   in Loop: Header=BB241_16 Depth=1
	s_or_b32 exec_lo, exec_lo, s24
.LBB241_43:                             ;   in Loop: Header=BB241_16 Depth=1
	s_or_b32 exec_lo, exec_lo, s23
	s_mov_b32 s23, exec_lo
	v_cmpx_lt_u32_e32 0xffffff, v0
	s_cbranch_execz .LBB241_51
; %bb.44:                               ;   in Loop: Header=BB241_16 Depth=1
	v_mov_b32_e32 v1, 0x80
	v_mov_b32_e32 v70, v77
	buffer_store_dword v70, off, s[0:3], s32 offset:260 ; 4-byte Folded Spill
	buffer_store_dword v71, off, s[0:3], s32 offset:264 ; 4-byte Folded Spill
	v_cmp_ne_u32_sdwa s5, v0, v1 src0_sel:BYTE_3 src1_sel:DWORD
	s_and_saveexec_b32 s24, s5
	s_cbranch_execz .LBB241_50
; %bb.45:                               ;   in Loop: Header=BB241_16 Depth=1
	s_clause 0x1
	buffer_load_dword v3, off, s[0:3], s32 offset:200
	buffer_load_dword v4, off, s[0:3], s32 offset:204
	v_bfe_u32 v2, v0, 24, 7
	s_waitcnt vmcnt(1)
	v_mov_b32_e32 v3, v77
	s_mov_b32 s25, exec_lo
	s_waitcnt vmcnt(0)
	v_mov_b32_e32 v1, v4
	buffer_store_dword v0, off, s[0:3], s32 offset:200 ; 4-byte Folded Spill
	buffer_store_dword v1, off, s[0:3], s32 offset:204 ; 4-byte Folded Spill
	;; [unrolled: 1-line block ×4, first 2 shown]
	v_cmpx_ne_u32_e32 0x7f, v2
	s_cbranch_execz .LBB241_49
; %bb.46:                               ;   in Loop: Header=BB241_16 Depth=1
	v_mov_b32_e32 v1, 7
	s_mov_b32 s26, exec_lo
	v_and_b32_sdwa v76, v0, v1 dst_sel:DWORD dst_unused:UNUSED_PAD src0_sel:BYTE_3 src1_sel:DWORD
	v_lshrrev_b32_e32 v1, 3, v2
	v_cmpx_gt_u32_e32 8, v2
; %bb.47:                               ;   in Loop: Header=BB241_16 Depth=1
	v_ffbh_u32_e32 v1, v76
	v_min_u32_e32 v1, 32, v1
	v_subrev_nc_u32_e32 v2, 28, v1
	v_sub_nc_u32_e32 v1, 29, v1
	v_lshlrev_b64 v[2:3], v2, v[76:77]
	v_and_b32_e32 v76, 7, v2
; %bb.48:                               ;   in Loop: Header=BB241_16 Depth=1
	s_or_b32 exec_lo, exec_lo, s26
	v_mov_b32_e32 v2, 24
	v_lshl_add_u32 v1, v1, 23, 0x3c000000
	v_lshlrev_b32_sdwa v0, v2, v0 dst_sel:DWORD dst_unused:UNUSED_PAD src0_sel:DWORD src1_sel:BYTE_3
	v_lshlrev_b32_e32 v2, 20, v76
	v_and_b32_e32 v0, 0x80000000, v0
	v_or3_b32 v1, v2, v0, v1
	v_mov_b32_e32 v0, v77
	buffer_store_dword v0, off, s[0:3], s32 offset:260 ; 4-byte Folded Spill
	buffer_store_dword v1, off, s[0:3], s32 offset:264 ; 4-byte Folded Spill
.LBB241_49:                             ;   in Loop: Header=BB241_16 Depth=1
	s_or_b32 exec_lo, exec_lo, s25
.LBB241_50:                             ;   in Loop: Header=BB241_16 Depth=1
	s_or_b32 exec_lo, exec_lo, s24
.LBB241_51:                             ;   in Loop: Header=BB241_16 Depth=1
	s_or_b32 exec_lo, exec_lo, s23
	flat_load_dword v0, v[8:9] offset:4
	v_mov_b32_e32 v1, 0
	v_mov_b32_e32 v2, 0
	buffer_store_dword v1, off, s[0:3], s32 offset:284 ; 4-byte Folded Spill
	buffer_store_dword v2, off, s[0:3], s32 offset:288 ; 4-byte Folded Spill
	v_mov_b32_e32 v1, 0
	v_mov_b32_e32 v2, 0
	buffer_store_dword v1, off, s[0:3], s32 offset:276 ; 4-byte Folded Spill
	buffer_store_dword v2, off, s[0:3], s32 offset:280 ; 4-byte Folded Spill
	s_waitcnt vmcnt(0) lgkmcnt(0)
	v_cmp_ne_u16_sdwa s5, v0, v77 src0_sel:BYTE_0 src1_sel:DWORD
	s_and_saveexec_b32 s23, s5
	s_cbranch_execz .LBB241_59
; %bb.52:                               ;   in Loop: Header=BB241_16 Depth=1
	v_bfrev_b32_e32 v1, 1
	v_mov_b32_e32 v2, 0
	buffer_store_dword v1, off, s[0:3], s32 offset:276 ; 4-byte Folded Spill
	buffer_store_dword v2, off, s[0:3], s32 offset:280 ; 4-byte Folded Spill
	v_mov_b32_e32 v1, 0x80
	v_cmp_ne_u16_sdwa s5, v0, v1 src0_sel:BYTE_0 src1_sel:DWORD
	s_and_saveexec_b32 s24, s5
	s_cbranch_execz .LBB241_58
; %bb.53:                               ;   in Loop: Header=BB241_16 Depth=1
	v_mov_b32_e32 v3, 0x7f800001
	v_and_b32_e32 v2, 0x7f, v0
	v_mov_b32_e32 v4, 0
	s_mov_b32 s25, exec_lo
	buffer_store_dword v3, off, s[0:3], s32 offset:276 ; 4-byte Folded Spill
	buffer_store_dword v4, off, s[0:3], s32 offset:280 ; 4-byte Folded Spill
	v_cmpx_ne_u32_e32 0x7f, v2
	s_cbranch_execz .LBB241_57
; %bb.54:                               ;   in Loop: Header=BB241_16 Depth=1
	v_and_b32_e32 v76, 7, v0
	v_lshrrev_b32_e32 v1, 3, v2
	s_mov_b32 s26, exec_lo
	v_cmpx_gt_u32_e32 8, v2
; %bb.55:                               ;   in Loop: Header=BB241_16 Depth=1
	v_ffbh_u32_e32 v1, v76
	v_min_u32_e32 v1, 32, v1
	v_subrev_nc_u32_e32 v2, 28, v1
	v_sub_nc_u32_e32 v1, 29, v1
	v_lshlrev_b64 v[2:3], v2, v[76:77]
	v_and_b32_e32 v76, 7, v2
; %bb.56:                               ;   in Loop: Header=BB241_16 Depth=1
	s_or_b32 exec_lo, exec_lo, s26
	v_lshlrev_b32_e32 v2, 24, v0
	v_lshlrev_b32_e32 v3, 20, v76
	v_lshl_add_u32 v1, v1, 23, 0x3c000000
	v_and_b32_e32 v2, 0x80000000, v2
	v_or3_b32 v76, v3, v2, v1
	buffer_store_dword v76, off, s[0:3], s32 offset:276 ; 4-byte Folded Spill
	buffer_store_dword v77, off, s[0:3], s32 offset:280 ; 4-byte Folded Spill
.LBB241_57:                             ;   in Loop: Header=BB241_16 Depth=1
	s_or_b32 exec_lo, exec_lo, s25
.LBB241_58:                             ;   in Loop: Header=BB241_16 Depth=1
	s_or_b32 exec_lo, exec_lo, s24
.LBB241_59:                             ;   in Loop: Header=BB241_16 Depth=1
	s_or_b32 exec_lo, exec_lo, s23
	v_cmp_ne_u16_sdwa s5, v0, v77 src0_sel:BYTE_1 src1_sel:DWORD
	s_and_saveexec_b32 s23, s5
	s_cbranch_execz .LBB241_67
; %bb.60:                               ;   in Loop: Header=BB241_16 Depth=1
	v_mov_b32_e32 v1, 0x80
	v_mov_b32_e32 v70, v77
	buffer_store_dword v70, off, s[0:3], s32 offset:284 ; 4-byte Folded Spill
	buffer_store_dword v71, off, s[0:3], s32 offset:288 ; 4-byte Folded Spill
	v_cmp_ne_u16_sdwa s5, v0, v1 src0_sel:BYTE_1 src1_sel:DWORD
	s_and_saveexec_b32 s24, s5
	s_cbranch_execz .LBB241_66
; %bb.61:                               ;   in Loop: Header=BB241_16 Depth=1
	s_clause 0x1
	buffer_load_dword v3, off, s[0:3], s32 offset:200
	buffer_load_dword v4, off, s[0:3], s32 offset:204
	v_mov_b32_e32 v1, 0xffff
	s_mov_b32 s25, exec_lo
	v_and_b32_sdwa v1, v1, v0 dst_sel:DWORD dst_unused:UNUSED_PAD src0_sel:DWORD src1_sel:BYTE_1
	v_and_b32_e32 v2, 0x7f, v1
	s_waitcnt vmcnt(0)
	v_mov_b32_e32 v5, v4
	v_mov_b32_e32 v4, v77
	v_mov_b32_e32 v3, v5
	buffer_store_dword v2, off, s[0:3], s32 offset:200 ; 4-byte Folded Spill
	buffer_store_dword v3, off, s[0:3], s32 offset:204 ; 4-byte Folded Spill
	;; [unrolled: 1-line block ×4, first 2 shown]
	v_cmpx_ne_u32_e32 0x7f, v2
	s_cbranch_execz .LBB241_65
; %bb.62:                               ;   in Loop: Header=BB241_16 Depth=1
	v_and_b32_e32 v76, 7, v1
	v_lshrrev_b32_e32 v1, 3, v2
	s_mov_b32 s26, exec_lo
	v_cmpx_gt_u32_e32 8, v2
; %bb.63:                               ;   in Loop: Header=BB241_16 Depth=1
	v_ffbh_u32_e32 v1, v76
	v_min_u32_e32 v1, 32, v1
	v_subrev_nc_u32_e32 v2, 28, v1
	v_sub_nc_u32_e32 v1, 29, v1
	v_lshlrev_b64 v[2:3], v2, v[76:77]
	v_and_b32_e32 v76, 7, v2
; %bb.64:                               ;   in Loop: Header=BB241_16 Depth=1
	s_or_b32 exec_lo, exec_lo, s26
	v_lshlrev_b32_e32 v2, 16, v0
	v_lshlrev_b32_e32 v3, 20, v76
	v_lshl_add_u32 v1, v1, 23, 0x3c000000
	v_and_b32_e32 v2, 0x80000000, v2
	v_or3_b32 v2, v3, v2, v1
	v_mov_b32_e32 v1, v77
	buffer_store_dword v1, off, s[0:3], s32 offset:284 ; 4-byte Folded Spill
	buffer_store_dword v2, off, s[0:3], s32 offset:288 ; 4-byte Folded Spill
.LBB241_65:                             ;   in Loop: Header=BB241_16 Depth=1
	s_or_b32 exec_lo, exec_lo, s25
.LBB241_66:                             ;   in Loop: Header=BB241_16 Depth=1
	s_or_b32 exec_lo, exec_lo, s24
.LBB241_67:                             ;   in Loop: Header=BB241_16 Depth=1
	s_or_b32 exec_lo, exec_lo, s23
	v_mov_b32_e32 v2, 0
	v_mov_b32_e32 v3, 0
	;; [unrolled: 1-line block ×3, first 2 shown]
	s_mov_b32 s23, exec_lo
	buffer_store_dword v2, off, s[0:3], s32 offset:292 ; 4-byte Folded Spill
	buffer_store_dword v3, off, s[0:3], s32 offset:296 ; 4-byte Folded Spill
	v_mov_b32_e32 v2, 0
	v_and_b32_sdwa v1, v0, v1 dst_sel:DWORD dst_unused:UNUSED_PAD src0_sel:WORD_1 src1_sel:DWORD
	v_mov_b32_e32 v3, 0
	buffer_store_dword v2, off, s[0:3], s32 offset:300 ; 4-byte Folded Spill
	buffer_store_dword v3, off, s[0:3], s32 offset:304 ; 4-byte Folded Spill
	v_cmpx_ne_u16_e32 0, v1
	s_cbranch_execz .LBB241_75
; %bb.68:                               ;   in Loop: Header=BB241_16 Depth=1
	v_cmp_ne_u16_e64 s5, 0x80, v1
	v_bfrev_b32_e32 v1, 1
	v_mov_b32_e32 v2, 0
	buffer_store_dword v1, off, s[0:3], s32 offset:300 ; 4-byte Folded Spill
	buffer_store_dword v2, off, s[0:3], s32 offset:304 ; 4-byte Folded Spill
	s_and_saveexec_b32 s24, s5
	s_cbranch_execz .LBB241_74
; %bb.69:                               ;   in Loop: Header=BB241_16 Depth=1
	v_mov_b32_e32 v3, 0x7f800001
	v_bfe_u32 v2, v0, 16, 7
	v_mov_b32_e32 v4, 0
	s_mov_b32 s25, exec_lo
	buffer_store_dword v3, off, s[0:3], s32 offset:300 ; 4-byte Folded Spill
	buffer_store_dword v4, off, s[0:3], s32 offset:304 ; 4-byte Folded Spill
	v_cmpx_ne_u32_e32 0x7f, v2
	s_cbranch_execz .LBB241_73
; %bb.70:                               ;   in Loop: Header=BB241_16 Depth=1
	v_mov_b32_e32 v1, 7
	s_mov_b32 s26, exec_lo
	v_and_b32_sdwa v76, v0, v1 dst_sel:DWORD dst_unused:UNUSED_PAD src0_sel:WORD_1 src1_sel:DWORD
	v_lshrrev_b32_e32 v1, 3, v2
	v_cmpx_gt_u32_e32 8, v2
; %bb.71:                               ;   in Loop: Header=BB241_16 Depth=1
	v_ffbh_u32_e32 v1, v76
	v_min_u32_e32 v1, 32, v1
	v_subrev_nc_u32_e32 v2, 28, v1
	v_sub_nc_u32_e32 v1, 29, v1
	v_lshlrev_b64 v[2:3], v2, v[76:77]
	v_and_b32_e32 v76, 7, v2
; %bb.72:                               ;   in Loop: Header=BB241_16 Depth=1
	s_or_b32 exec_lo, exec_lo, s26
	v_mov_b32_e32 v2, 24
	v_lshlrev_b32_e32 v3, 20, v76
	v_lshl_add_u32 v1, v1, 23, 0x3c000000
	v_lshlrev_b32_sdwa v2, v2, v0 dst_sel:DWORD dst_unused:UNUSED_PAD src0_sel:DWORD src1_sel:WORD_1
	v_and_b32_e32 v2, 0x80000000, v2
	v_or3_b32 v76, v3, v2, v1
	buffer_store_dword v76, off, s[0:3], s32 offset:300 ; 4-byte Folded Spill
	buffer_store_dword v77, off, s[0:3], s32 offset:304 ; 4-byte Folded Spill
.LBB241_73:                             ;   in Loop: Header=BB241_16 Depth=1
	s_or_b32 exec_lo, exec_lo, s25
.LBB241_74:                             ;   in Loop: Header=BB241_16 Depth=1
	s_or_b32 exec_lo, exec_lo, s24
.LBB241_75:                             ;   in Loop: Header=BB241_16 Depth=1
	s_or_b32 exec_lo, exec_lo, s23
	s_mov_b32 s23, exec_lo
	v_cmpx_lt_u32_e32 0xffffff, v0
	s_cbranch_execz .LBB241_83
; %bb.76:                               ;   in Loop: Header=BB241_16 Depth=1
	v_mov_b32_e32 v1, 0x80
	v_mov_b32_e32 v70, v77
	buffer_store_dword v70, off, s[0:3], s32 offset:292 ; 4-byte Folded Spill
	buffer_store_dword v71, off, s[0:3], s32 offset:296 ; 4-byte Folded Spill
	v_cmp_ne_u32_sdwa s5, v0, v1 src0_sel:BYTE_3 src1_sel:DWORD
	s_and_saveexec_b32 s24, s5
	s_cbranch_execz .LBB241_82
; %bb.77:                               ;   in Loop: Header=BB241_16 Depth=1
	s_clause 0x1
	buffer_load_dword v3, off, s[0:3], s32 offset:200
	buffer_load_dword v4, off, s[0:3], s32 offset:204
	v_bfe_u32 v2, v0, 24, 7
	s_waitcnt vmcnt(1)
	v_mov_b32_e32 v3, v77
	s_mov_b32 s25, exec_lo
	s_waitcnt vmcnt(0)
	v_mov_b32_e32 v1, v4
	buffer_store_dword v0, off, s[0:3], s32 offset:200 ; 4-byte Folded Spill
	buffer_store_dword v1, off, s[0:3], s32 offset:204 ; 4-byte Folded Spill
	;; [unrolled: 1-line block ×4, first 2 shown]
	v_cmpx_ne_u32_e32 0x7f, v2
	s_cbranch_execz .LBB241_81
; %bb.78:                               ;   in Loop: Header=BB241_16 Depth=1
	v_mov_b32_e32 v1, 7
	s_mov_b32 s26, exec_lo
	v_and_b32_sdwa v76, v0, v1 dst_sel:DWORD dst_unused:UNUSED_PAD src0_sel:BYTE_3 src1_sel:DWORD
	v_lshrrev_b32_e32 v1, 3, v2
	v_cmpx_gt_u32_e32 8, v2
; %bb.79:                               ;   in Loop: Header=BB241_16 Depth=1
	v_ffbh_u32_e32 v1, v76
	v_min_u32_e32 v1, 32, v1
	v_subrev_nc_u32_e32 v2, 28, v1
	v_sub_nc_u32_e32 v1, 29, v1
	v_lshlrev_b64 v[2:3], v2, v[76:77]
	v_and_b32_e32 v76, 7, v2
; %bb.80:                               ;   in Loop: Header=BB241_16 Depth=1
	s_or_b32 exec_lo, exec_lo, s26
	v_mov_b32_e32 v2, 24
	v_lshl_add_u32 v1, v1, 23, 0x3c000000
	v_lshlrev_b32_sdwa v0, v2, v0 dst_sel:DWORD dst_unused:UNUSED_PAD src0_sel:DWORD src1_sel:BYTE_3
	v_lshlrev_b32_e32 v2, 20, v76
	v_and_b32_e32 v0, 0x80000000, v0
	v_or3_b32 v1, v2, v0, v1
	v_mov_b32_e32 v0, v77
	buffer_store_dword v0, off, s[0:3], s32 offset:292 ; 4-byte Folded Spill
	buffer_store_dword v1, off, s[0:3], s32 offset:296 ; 4-byte Folded Spill
.LBB241_81:                             ;   in Loop: Header=BB241_16 Depth=1
	s_or_b32 exec_lo, exec_lo, s25
.LBB241_82:                             ;   in Loop: Header=BB241_16 Depth=1
	s_or_b32 exec_lo, exec_lo, s24
.LBB241_83:                             ;   in Loop: Header=BB241_16 Depth=1
	s_or_b32 exec_lo, exec_lo, s23
	flat_load_dword v0, v[8:9] offset:8
	v_mov_b32_e32 v1, 0
	v_mov_b32_e32 v2, 0
	buffer_store_dword v1, off, s[0:3], s32 offset:316 ; 4-byte Folded Spill
	buffer_store_dword v2, off, s[0:3], s32 offset:320 ; 4-byte Folded Spill
	v_mov_b32_e32 v1, 0
	v_mov_b32_e32 v2, 0
	buffer_store_dword v1, off, s[0:3], s32 offset:308 ; 4-byte Folded Spill
	buffer_store_dword v2, off, s[0:3], s32 offset:312 ; 4-byte Folded Spill
	s_waitcnt vmcnt(0) lgkmcnt(0)
	v_cmp_ne_u16_sdwa s5, v0, v77 src0_sel:BYTE_0 src1_sel:DWORD
	s_and_saveexec_b32 s23, s5
	s_cbranch_execz .LBB241_91
; %bb.84:                               ;   in Loop: Header=BB241_16 Depth=1
	v_bfrev_b32_e32 v1, 1
	v_mov_b32_e32 v2, 0
	buffer_store_dword v1, off, s[0:3], s32 offset:308 ; 4-byte Folded Spill
	buffer_store_dword v2, off, s[0:3], s32 offset:312 ; 4-byte Folded Spill
	v_mov_b32_e32 v1, 0x80
	v_cmp_ne_u16_sdwa s5, v0, v1 src0_sel:BYTE_0 src1_sel:DWORD
	s_and_saveexec_b32 s24, s5
	s_cbranch_execz .LBB241_90
; %bb.85:                               ;   in Loop: Header=BB241_16 Depth=1
	v_mov_b32_e32 v3, 0x7f800001
	v_and_b32_e32 v2, 0x7f, v0
	v_mov_b32_e32 v4, 0
	s_mov_b32 s25, exec_lo
	buffer_store_dword v3, off, s[0:3], s32 offset:308 ; 4-byte Folded Spill
	buffer_store_dword v4, off, s[0:3], s32 offset:312 ; 4-byte Folded Spill
	v_cmpx_ne_u32_e32 0x7f, v2
	s_cbranch_execz .LBB241_89
; %bb.86:                               ;   in Loop: Header=BB241_16 Depth=1
	v_and_b32_e32 v76, 7, v0
	v_lshrrev_b32_e32 v1, 3, v2
	s_mov_b32 s26, exec_lo
	v_cmpx_gt_u32_e32 8, v2
; %bb.87:                               ;   in Loop: Header=BB241_16 Depth=1
	v_ffbh_u32_e32 v1, v76
	v_min_u32_e32 v1, 32, v1
	v_subrev_nc_u32_e32 v2, 28, v1
	v_sub_nc_u32_e32 v1, 29, v1
	v_lshlrev_b64 v[2:3], v2, v[76:77]
	v_and_b32_e32 v76, 7, v2
; %bb.88:                               ;   in Loop: Header=BB241_16 Depth=1
	s_or_b32 exec_lo, exec_lo, s26
	v_lshlrev_b32_e32 v2, 24, v0
	v_lshlrev_b32_e32 v3, 20, v76
	v_lshl_add_u32 v1, v1, 23, 0x3c000000
	v_and_b32_e32 v2, 0x80000000, v2
	v_or3_b32 v76, v3, v2, v1
	buffer_store_dword v76, off, s[0:3], s32 offset:308 ; 4-byte Folded Spill
	buffer_store_dword v77, off, s[0:3], s32 offset:312 ; 4-byte Folded Spill
.LBB241_89:                             ;   in Loop: Header=BB241_16 Depth=1
	s_or_b32 exec_lo, exec_lo, s25
.LBB241_90:                             ;   in Loop: Header=BB241_16 Depth=1
	s_or_b32 exec_lo, exec_lo, s24
.LBB241_91:                             ;   in Loop: Header=BB241_16 Depth=1
	s_or_b32 exec_lo, exec_lo, s23
	v_cmp_ne_u16_sdwa s5, v0, v77 src0_sel:BYTE_1 src1_sel:DWORD
	s_and_saveexec_b32 s23, s5
	s_cbranch_execz .LBB241_99
; %bb.92:                               ;   in Loop: Header=BB241_16 Depth=1
	v_mov_b32_e32 v1, 0x80
	v_mov_b32_e32 v70, v77
	buffer_store_dword v70, off, s[0:3], s32 offset:316 ; 4-byte Folded Spill
	buffer_store_dword v71, off, s[0:3], s32 offset:320 ; 4-byte Folded Spill
	v_cmp_ne_u16_sdwa s5, v0, v1 src0_sel:BYTE_1 src1_sel:DWORD
	s_and_saveexec_b32 s24, s5
	s_cbranch_execz .LBB241_98
; %bb.93:                               ;   in Loop: Header=BB241_16 Depth=1
	s_clause 0x1
	buffer_load_dword v3, off, s[0:3], s32 offset:200
	buffer_load_dword v4, off, s[0:3], s32 offset:204
	v_mov_b32_e32 v1, 0xffff
	s_mov_b32 s25, exec_lo
	v_and_b32_sdwa v1, v1, v0 dst_sel:DWORD dst_unused:UNUSED_PAD src0_sel:DWORD src1_sel:BYTE_1
	v_and_b32_e32 v2, 0x7f, v1
	s_waitcnt vmcnt(0)
	v_mov_b32_e32 v5, v4
	v_mov_b32_e32 v4, v77
	;; [unrolled: 1-line block ×3, first 2 shown]
	buffer_store_dword v2, off, s[0:3], s32 offset:200 ; 4-byte Folded Spill
	buffer_store_dword v3, off, s[0:3], s32 offset:204 ; 4-byte Folded Spill
	;; [unrolled: 1-line block ×4, first 2 shown]
	v_cmpx_ne_u32_e32 0x7f, v2
	s_cbranch_execz .LBB241_97
; %bb.94:                               ;   in Loop: Header=BB241_16 Depth=1
	v_and_b32_e32 v76, 7, v1
	v_lshrrev_b32_e32 v1, 3, v2
	s_mov_b32 s26, exec_lo
	v_cmpx_gt_u32_e32 8, v2
; %bb.95:                               ;   in Loop: Header=BB241_16 Depth=1
	v_ffbh_u32_e32 v1, v76
	v_min_u32_e32 v1, 32, v1
	v_subrev_nc_u32_e32 v2, 28, v1
	v_sub_nc_u32_e32 v1, 29, v1
	v_lshlrev_b64 v[2:3], v2, v[76:77]
	v_and_b32_e32 v76, 7, v2
; %bb.96:                               ;   in Loop: Header=BB241_16 Depth=1
	s_or_b32 exec_lo, exec_lo, s26
	v_lshlrev_b32_e32 v2, 16, v0
	v_lshlrev_b32_e32 v3, 20, v76
	v_lshl_add_u32 v1, v1, 23, 0x3c000000
	v_and_b32_e32 v2, 0x80000000, v2
	v_or3_b32 v2, v3, v2, v1
	v_mov_b32_e32 v1, v77
	buffer_store_dword v1, off, s[0:3], s32 offset:316 ; 4-byte Folded Spill
	buffer_store_dword v2, off, s[0:3], s32 offset:320 ; 4-byte Folded Spill
.LBB241_97:                             ;   in Loop: Header=BB241_16 Depth=1
	s_or_b32 exec_lo, exec_lo, s25
.LBB241_98:                             ;   in Loop: Header=BB241_16 Depth=1
	s_or_b32 exec_lo, exec_lo, s24
.LBB241_99:                             ;   in Loop: Header=BB241_16 Depth=1
	s_or_b32 exec_lo, exec_lo, s23
	v_mov_b32_e32 v2, 0
	v_mov_b32_e32 v3, 0
	;; [unrolled: 1-line block ×3, first 2 shown]
	s_mov_b32 s23, exec_lo
	buffer_store_dword v2, off, s[0:3], s32 offset:324 ; 4-byte Folded Spill
	buffer_store_dword v3, off, s[0:3], s32 offset:328 ; 4-byte Folded Spill
	v_mov_b32_e32 v2, 0
	v_and_b32_sdwa v1, v0, v1 dst_sel:DWORD dst_unused:UNUSED_PAD src0_sel:WORD_1 src1_sel:DWORD
	v_mov_b32_e32 v3, 0
	buffer_store_dword v2, off, s[0:3], s32 offset:332 ; 4-byte Folded Spill
	buffer_store_dword v3, off, s[0:3], s32 offset:336 ; 4-byte Folded Spill
	v_cmpx_ne_u16_e32 0, v1
	s_cbranch_execz .LBB241_107
; %bb.100:                              ;   in Loop: Header=BB241_16 Depth=1
	v_cmp_ne_u16_e64 s5, 0x80, v1
	v_bfrev_b32_e32 v1, 1
	v_mov_b32_e32 v2, 0
	buffer_store_dword v1, off, s[0:3], s32 offset:332 ; 4-byte Folded Spill
	buffer_store_dword v2, off, s[0:3], s32 offset:336 ; 4-byte Folded Spill
	s_and_saveexec_b32 s24, s5
	s_cbranch_execz .LBB241_106
; %bb.101:                              ;   in Loop: Header=BB241_16 Depth=1
	v_mov_b32_e32 v3, 0x7f800001
	v_bfe_u32 v2, v0, 16, 7
	v_mov_b32_e32 v4, 0
	s_mov_b32 s25, exec_lo
	buffer_store_dword v3, off, s[0:3], s32 offset:332 ; 4-byte Folded Spill
	buffer_store_dword v4, off, s[0:3], s32 offset:336 ; 4-byte Folded Spill
	v_cmpx_ne_u32_e32 0x7f, v2
	s_cbranch_execz .LBB241_105
; %bb.102:                              ;   in Loop: Header=BB241_16 Depth=1
	v_mov_b32_e32 v1, 7
	s_mov_b32 s26, exec_lo
	v_and_b32_sdwa v76, v0, v1 dst_sel:DWORD dst_unused:UNUSED_PAD src0_sel:WORD_1 src1_sel:DWORD
	v_lshrrev_b32_e32 v1, 3, v2
	v_cmpx_gt_u32_e32 8, v2
; %bb.103:                              ;   in Loop: Header=BB241_16 Depth=1
	v_ffbh_u32_e32 v1, v76
	v_min_u32_e32 v1, 32, v1
	v_subrev_nc_u32_e32 v2, 28, v1
	v_sub_nc_u32_e32 v1, 29, v1
	v_lshlrev_b64 v[2:3], v2, v[76:77]
	v_and_b32_e32 v76, 7, v2
; %bb.104:                              ;   in Loop: Header=BB241_16 Depth=1
	s_or_b32 exec_lo, exec_lo, s26
	v_mov_b32_e32 v2, 24
	v_lshlrev_b32_e32 v3, 20, v76
	v_lshl_add_u32 v1, v1, 23, 0x3c000000
	v_lshlrev_b32_sdwa v2, v2, v0 dst_sel:DWORD dst_unused:UNUSED_PAD src0_sel:DWORD src1_sel:WORD_1
	v_and_b32_e32 v2, 0x80000000, v2
	v_or3_b32 v76, v3, v2, v1
	buffer_store_dword v76, off, s[0:3], s32 offset:332 ; 4-byte Folded Spill
	buffer_store_dword v77, off, s[0:3], s32 offset:336 ; 4-byte Folded Spill
.LBB241_105:                            ;   in Loop: Header=BB241_16 Depth=1
	s_or_b32 exec_lo, exec_lo, s25
.LBB241_106:                            ;   in Loop: Header=BB241_16 Depth=1
	s_or_b32 exec_lo, exec_lo, s24
.LBB241_107:                            ;   in Loop: Header=BB241_16 Depth=1
	s_or_b32 exec_lo, exec_lo, s23
	s_mov_b32 s23, exec_lo
	v_cmpx_lt_u32_e32 0xffffff, v0
	s_cbranch_execz .LBB241_115
; %bb.108:                              ;   in Loop: Header=BB241_16 Depth=1
	v_mov_b32_e32 v1, 0x80
	v_mov_b32_e32 v70, v77
	buffer_store_dword v70, off, s[0:3], s32 offset:324 ; 4-byte Folded Spill
	buffer_store_dword v71, off, s[0:3], s32 offset:328 ; 4-byte Folded Spill
	v_cmp_ne_u32_sdwa s5, v0, v1 src0_sel:BYTE_3 src1_sel:DWORD
	s_and_saveexec_b32 s24, s5
	s_cbranch_execz .LBB241_114
; %bb.109:                              ;   in Loop: Header=BB241_16 Depth=1
	s_clause 0x1
	buffer_load_dword v3, off, s[0:3], s32 offset:200
	buffer_load_dword v4, off, s[0:3], s32 offset:204
	v_bfe_u32 v2, v0, 24, 7
	s_waitcnt vmcnt(1)
	v_mov_b32_e32 v3, v77
	s_mov_b32 s25, exec_lo
	s_waitcnt vmcnt(0)
	v_mov_b32_e32 v1, v4
	buffer_store_dword v0, off, s[0:3], s32 offset:200 ; 4-byte Folded Spill
	buffer_store_dword v1, off, s[0:3], s32 offset:204 ; 4-byte Folded Spill
	;; [unrolled: 1-line block ×4, first 2 shown]
	v_cmpx_ne_u32_e32 0x7f, v2
	s_cbranch_execz .LBB241_113
; %bb.110:                              ;   in Loop: Header=BB241_16 Depth=1
	v_mov_b32_e32 v1, 7
	s_mov_b32 s26, exec_lo
	v_and_b32_sdwa v76, v0, v1 dst_sel:DWORD dst_unused:UNUSED_PAD src0_sel:BYTE_3 src1_sel:DWORD
	v_lshrrev_b32_e32 v1, 3, v2
	v_cmpx_gt_u32_e32 8, v2
; %bb.111:                              ;   in Loop: Header=BB241_16 Depth=1
	v_ffbh_u32_e32 v1, v76
	v_min_u32_e32 v1, 32, v1
	v_subrev_nc_u32_e32 v2, 28, v1
	v_sub_nc_u32_e32 v1, 29, v1
	v_lshlrev_b64 v[2:3], v2, v[76:77]
	v_and_b32_e32 v76, 7, v2
; %bb.112:                              ;   in Loop: Header=BB241_16 Depth=1
	s_or_b32 exec_lo, exec_lo, s26
	v_mov_b32_e32 v2, 24
	v_lshl_add_u32 v1, v1, 23, 0x3c000000
	v_lshlrev_b32_sdwa v0, v2, v0 dst_sel:DWORD dst_unused:UNUSED_PAD src0_sel:DWORD src1_sel:BYTE_3
	v_lshlrev_b32_e32 v2, 20, v76
	v_and_b32_e32 v0, 0x80000000, v0
	v_or3_b32 v1, v2, v0, v1
	v_mov_b32_e32 v0, v77
	buffer_store_dword v0, off, s[0:3], s32 offset:324 ; 4-byte Folded Spill
	buffer_store_dword v1, off, s[0:3], s32 offset:328 ; 4-byte Folded Spill
.LBB241_113:                            ;   in Loop: Header=BB241_16 Depth=1
	s_or_b32 exec_lo, exec_lo, s25
.LBB241_114:                            ;   in Loop: Header=BB241_16 Depth=1
	s_or_b32 exec_lo, exec_lo, s24
.LBB241_115:                            ;   in Loop: Header=BB241_16 Depth=1
	s_or_b32 exec_lo, exec_lo, s23
	flat_load_dword v0, v[8:9] offset:12
	v_mov_b32_e32 v1, 0
	v_mov_b32_e32 v2, 0
	buffer_store_dword v1, off, s[0:3], s32 offset:348 ; 4-byte Folded Spill
	buffer_store_dword v2, off, s[0:3], s32 offset:352 ; 4-byte Folded Spill
	v_mov_b32_e32 v1, 0
	v_mov_b32_e32 v2, 0
	buffer_store_dword v1, off, s[0:3], s32 offset:340 ; 4-byte Folded Spill
	buffer_store_dword v2, off, s[0:3], s32 offset:344 ; 4-byte Folded Spill
	s_waitcnt vmcnt(0) lgkmcnt(0)
	v_cmp_ne_u16_sdwa s5, v0, v77 src0_sel:BYTE_0 src1_sel:DWORD
	s_and_saveexec_b32 s23, s5
	s_cbranch_execz .LBB241_123
; %bb.116:                              ;   in Loop: Header=BB241_16 Depth=1
	v_bfrev_b32_e32 v1, 1
	v_mov_b32_e32 v2, 0
	buffer_store_dword v1, off, s[0:3], s32 offset:340 ; 4-byte Folded Spill
	buffer_store_dword v2, off, s[0:3], s32 offset:344 ; 4-byte Folded Spill
	v_mov_b32_e32 v1, 0x80
	v_cmp_ne_u16_sdwa s5, v0, v1 src0_sel:BYTE_0 src1_sel:DWORD
	s_and_saveexec_b32 s24, s5
	s_cbranch_execz .LBB241_122
; %bb.117:                              ;   in Loop: Header=BB241_16 Depth=1
	v_mov_b32_e32 v3, 0x7f800001
	v_and_b32_e32 v2, 0x7f, v0
	v_mov_b32_e32 v4, 0
	s_mov_b32 s25, exec_lo
	buffer_store_dword v3, off, s[0:3], s32 offset:340 ; 4-byte Folded Spill
	buffer_store_dword v4, off, s[0:3], s32 offset:344 ; 4-byte Folded Spill
	v_cmpx_ne_u32_e32 0x7f, v2
	s_cbranch_execz .LBB241_121
; %bb.118:                              ;   in Loop: Header=BB241_16 Depth=1
	v_and_b32_e32 v76, 7, v0
	v_lshrrev_b32_e32 v1, 3, v2
	s_mov_b32 s26, exec_lo
	v_cmpx_gt_u32_e32 8, v2
; %bb.119:                              ;   in Loop: Header=BB241_16 Depth=1
	v_ffbh_u32_e32 v1, v76
	v_min_u32_e32 v1, 32, v1
	v_subrev_nc_u32_e32 v2, 28, v1
	v_sub_nc_u32_e32 v1, 29, v1
	v_lshlrev_b64 v[2:3], v2, v[76:77]
	v_and_b32_e32 v76, 7, v2
; %bb.120:                              ;   in Loop: Header=BB241_16 Depth=1
	s_or_b32 exec_lo, exec_lo, s26
	v_lshlrev_b32_e32 v2, 24, v0
	v_lshlrev_b32_e32 v3, 20, v76
	v_lshl_add_u32 v1, v1, 23, 0x3c000000
	v_and_b32_e32 v2, 0x80000000, v2
	v_or3_b32 v76, v3, v2, v1
	buffer_store_dword v76, off, s[0:3], s32 offset:340 ; 4-byte Folded Spill
	buffer_store_dword v77, off, s[0:3], s32 offset:344 ; 4-byte Folded Spill
.LBB241_121:                            ;   in Loop: Header=BB241_16 Depth=1
	s_or_b32 exec_lo, exec_lo, s25
.LBB241_122:                            ;   in Loop: Header=BB241_16 Depth=1
	s_or_b32 exec_lo, exec_lo, s24
.LBB241_123:                            ;   in Loop: Header=BB241_16 Depth=1
	s_or_b32 exec_lo, exec_lo, s23
	v_cmp_ne_u16_sdwa s5, v0, v77 src0_sel:BYTE_1 src1_sel:DWORD
	s_and_saveexec_b32 s23, s5
	s_cbranch_execz .LBB241_131
; %bb.124:                              ;   in Loop: Header=BB241_16 Depth=1
	v_mov_b32_e32 v1, 0x80
	v_mov_b32_e32 v70, v77
	buffer_store_dword v70, off, s[0:3], s32 offset:348 ; 4-byte Folded Spill
	buffer_store_dword v71, off, s[0:3], s32 offset:352 ; 4-byte Folded Spill
	v_cmp_ne_u16_sdwa s5, v0, v1 src0_sel:BYTE_1 src1_sel:DWORD
	s_and_saveexec_b32 s24, s5
	s_cbranch_execz .LBB241_130
; %bb.125:                              ;   in Loop: Header=BB241_16 Depth=1
	s_clause 0x1
	buffer_load_dword v3, off, s[0:3], s32 offset:200
	buffer_load_dword v4, off, s[0:3], s32 offset:204
	v_mov_b32_e32 v1, 0xffff
	s_mov_b32 s25, exec_lo
	v_and_b32_sdwa v1, v1, v0 dst_sel:DWORD dst_unused:UNUSED_PAD src0_sel:DWORD src1_sel:BYTE_1
	v_and_b32_e32 v2, 0x7f, v1
	s_waitcnt vmcnt(0)
	v_mov_b32_e32 v5, v4
	v_mov_b32_e32 v4, v77
	;; [unrolled: 1-line block ×3, first 2 shown]
	buffer_store_dword v2, off, s[0:3], s32 offset:200 ; 4-byte Folded Spill
	buffer_store_dword v3, off, s[0:3], s32 offset:204 ; 4-byte Folded Spill
	;; [unrolled: 1-line block ×4, first 2 shown]
	v_cmpx_ne_u32_e32 0x7f, v2
	s_cbranch_execz .LBB241_129
; %bb.126:                              ;   in Loop: Header=BB241_16 Depth=1
	v_and_b32_e32 v76, 7, v1
	v_lshrrev_b32_e32 v1, 3, v2
	s_mov_b32 s26, exec_lo
	v_cmpx_gt_u32_e32 8, v2
; %bb.127:                              ;   in Loop: Header=BB241_16 Depth=1
	v_ffbh_u32_e32 v1, v76
	v_min_u32_e32 v1, 32, v1
	v_subrev_nc_u32_e32 v2, 28, v1
	v_sub_nc_u32_e32 v1, 29, v1
	v_lshlrev_b64 v[2:3], v2, v[76:77]
	v_and_b32_e32 v76, 7, v2
; %bb.128:                              ;   in Loop: Header=BB241_16 Depth=1
	s_or_b32 exec_lo, exec_lo, s26
	v_lshlrev_b32_e32 v2, 16, v0
	v_lshlrev_b32_e32 v3, 20, v76
	v_lshl_add_u32 v1, v1, 23, 0x3c000000
	v_and_b32_e32 v2, 0x80000000, v2
	v_or3_b32 v2, v3, v2, v1
	v_mov_b32_e32 v1, v77
	buffer_store_dword v1, off, s[0:3], s32 offset:348 ; 4-byte Folded Spill
	buffer_store_dword v2, off, s[0:3], s32 offset:352 ; 4-byte Folded Spill
.LBB241_129:                            ;   in Loop: Header=BB241_16 Depth=1
	s_or_b32 exec_lo, exec_lo, s25
.LBB241_130:                            ;   in Loop: Header=BB241_16 Depth=1
	s_or_b32 exec_lo, exec_lo, s24
.LBB241_131:                            ;   in Loop: Header=BB241_16 Depth=1
	s_or_b32 exec_lo, exec_lo, s23
	v_mov_b32_e32 v2, 0
	v_mov_b32_e32 v3, 0
	;; [unrolled: 1-line block ×3, first 2 shown]
	s_mov_b32 s23, exec_lo
	buffer_store_dword v2, off, s[0:3], s32 offset:356 ; 4-byte Folded Spill
	buffer_store_dword v3, off, s[0:3], s32 offset:360 ; 4-byte Folded Spill
	v_mov_b32_e32 v2, 0
	v_and_b32_sdwa v1, v0, v1 dst_sel:DWORD dst_unused:UNUSED_PAD src0_sel:WORD_1 src1_sel:DWORD
	v_mov_b32_e32 v3, 0
	buffer_store_dword v2, off, s[0:3], s32 offset:364 ; 4-byte Folded Spill
	buffer_store_dword v3, off, s[0:3], s32 offset:368 ; 4-byte Folded Spill
	v_cmpx_ne_u16_e32 0, v1
	s_cbranch_execz .LBB241_139
; %bb.132:                              ;   in Loop: Header=BB241_16 Depth=1
	v_cmp_ne_u16_e64 s5, 0x80, v1
	v_bfrev_b32_e32 v1, 1
	v_mov_b32_e32 v2, 0
	buffer_store_dword v1, off, s[0:3], s32 offset:364 ; 4-byte Folded Spill
	buffer_store_dword v2, off, s[0:3], s32 offset:368 ; 4-byte Folded Spill
	s_and_saveexec_b32 s24, s5
	s_cbranch_execz .LBB241_138
; %bb.133:                              ;   in Loop: Header=BB241_16 Depth=1
	v_mov_b32_e32 v3, 0x7f800001
	v_bfe_u32 v2, v0, 16, 7
	v_mov_b32_e32 v4, 0
	s_mov_b32 s25, exec_lo
	buffer_store_dword v3, off, s[0:3], s32 offset:364 ; 4-byte Folded Spill
	buffer_store_dword v4, off, s[0:3], s32 offset:368 ; 4-byte Folded Spill
	v_cmpx_ne_u32_e32 0x7f, v2
	s_cbranch_execz .LBB241_137
; %bb.134:                              ;   in Loop: Header=BB241_16 Depth=1
	v_mov_b32_e32 v1, 7
	s_mov_b32 s26, exec_lo
	v_and_b32_sdwa v76, v0, v1 dst_sel:DWORD dst_unused:UNUSED_PAD src0_sel:WORD_1 src1_sel:DWORD
	v_lshrrev_b32_e32 v1, 3, v2
	v_cmpx_gt_u32_e32 8, v2
; %bb.135:                              ;   in Loop: Header=BB241_16 Depth=1
	v_ffbh_u32_e32 v1, v76
	v_min_u32_e32 v1, 32, v1
	v_subrev_nc_u32_e32 v2, 28, v1
	v_sub_nc_u32_e32 v1, 29, v1
	v_lshlrev_b64 v[2:3], v2, v[76:77]
	v_and_b32_e32 v76, 7, v2
; %bb.136:                              ;   in Loop: Header=BB241_16 Depth=1
	s_or_b32 exec_lo, exec_lo, s26
	v_mov_b32_e32 v2, 24
	v_lshlrev_b32_e32 v3, 20, v76
	v_lshl_add_u32 v1, v1, 23, 0x3c000000
	v_lshlrev_b32_sdwa v2, v2, v0 dst_sel:DWORD dst_unused:UNUSED_PAD src0_sel:DWORD src1_sel:WORD_1
	v_and_b32_e32 v2, 0x80000000, v2
	v_or3_b32 v76, v3, v2, v1
	buffer_store_dword v76, off, s[0:3], s32 offset:364 ; 4-byte Folded Spill
	buffer_store_dword v77, off, s[0:3], s32 offset:368 ; 4-byte Folded Spill
.LBB241_137:                            ;   in Loop: Header=BB241_16 Depth=1
	s_or_b32 exec_lo, exec_lo, s25
.LBB241_138:                            ;   in Loop: Header=BB241_16 Depth=1
	s_or_b32 exec_lo, exec_lo, s24
.LBB241_139:                            ;   in Loop: Header=BB241_16 Depth=1
	s_or_b32 exec_lo, exec_lo, s23
	s_mov_b32 s23, exec_lo
	v_cmpx_lt_u32_e32 0xffffff, v0
	s_cbranch_execz .LBB241_147
; %bb.140:                              ;   in Loop: Header=BB241_16 Depth=1
	v_mov_b32_e32 v1, 0x80
	v_mov_b32_e32 v70, v77
	buffer_store_dword v70, off, s[0:3], s32 offset:356 ; 4-byte Folded Spill
	buffer_store_dword v71, off, s[0:3], s32 offset:360 ; 4-byte Folded Spill
	v_cmp_ne_u32_sdwa s5, v0, v1 src0_sel:BYTE_3 src1_sel:DWORD
	s_and_saveexec_b32 s24, s5
	s_cbranch_execz .LBB241_146
; %bb.141:                              ;   in Loop: Header=BB241_16 Depth=1
	s_clause 0x1
	buffer_load_dword v3, off, s[0:3], s32 offset:200
	buffer_load_dword v4, off, s[0:3], s32 offset:204
	v_bfe_u32 v2, v0, 24, 7
	s_waitcnt vmcnt(1)
	v_mov_b32_e32 v3, v77
	s_mov_b32 s25, exec_lo
	s_waitcnt vmcnt(0)
	v_mov_b32_e32 v1, v4
	buffer_store_dword v0, off, s[0:3], s32 offset:200 ; 4-byte Folded Spill
	buffer_store_dword v1, off, s[0:3], s32 offset:204 ; 4-byte Folded Spill
	buffer_store_dword v3, off, s[0:3], s32 offset:356 ; 4-byte Folded Spill
	buffer_store_dword v4, off, s[0:3], s32 offset:360 ; 4-byte Folded Spill
	v_cmpx_ne_u32_e32 0x7f, v2
	s_cbranch_execz .LBB241_145
; %bb.142:                              ;   in Loop: Header=BB241_16 Depth=1
	v_mov_b32_e32 v1, 7
	s_mov_b32 s26, exec_lo
	v_and_b32_sdwa v76, v0, v1 dst_sel:DWORD dst_unused:UNUSED_PAD src0_sel:BYTE_3 src1_sel:DWORD
	v_lshrrev_b32_e32 v1, 3, v2
	v_cmpx_gt_u32_e32 8, v2
; %bb.143:                              ;   in Loop: Header=BB241_16 Depth=1
	v_ffbh_u32_e32 v1, v76
	v_min_u32_e32 v1, 32, v1
	v_subrev_nc_u32_e32 v2, 28, v1
	v_sub_nc_u32_e32 v1, 29, v1
	v_lshlrev_b64 v[2:3], v2, v[76:77]
	v_and_b32_e32 v76, 7, v2
; %bb.144:                              ;   in Loop: Header=BB241_16 Depth=1
	s_or_b32 exec_lo, exec_lo, s26
	v_mov_b32_e32 v2, 24
	v_lshl_add_u32 v1, v1, 23, 0x3c000000
	v_lshlrev_b32_sdwa v0, v2, v0 dst_sel:DWORD dst_unused:UNUSED_PAD src0_sel:DWORD src1_sel:BYTE_3
	v_lshlrev_b32_e32 v2, 20, v76
	v_and_b32_e32 v0, 0x80000000, v0
	v_or3_b32 v1, v2, v0, v1
	v_mov_b32_e32 v0, v77
	buffer_store_dword v0, off, s[0:3], s32 offset:356 ; 4-byte Folded Spill
	buffer_store_dword v1, off, s[0:3], s32 offset:360 ; 4-byte Folded Spill
.LBB241_145:                            ;   in Loop: Header=BB241_16 Depth=1
	s_or_b32 exec_lo, exec_lo, s25
.LBB241_146:                            ;   in Loop: Header=BB241_16 Depth=1
	s_or_b32 exec_lo, exec_lo, s24
.LBB241_147:                            ;   in Loop: Header=BB241_16 Depth=1
	s_or_b32 exec_lo, exec_lo, s23
	flat_load_dword v0, v[8:9] offset:512
	v_mov_b32_e32 v1, 0
	v_mov_b32_e32 v2, 0
	buffer_store_dword v1, off, s[0:3], s32 offset:380 ; 4-byte Folded Spill
	buffer_store_dword v2, off, s[0:3], s32 offset:384 ; 4-byte Folded Spill
	v_mov_b32_e32 v1, 0
	v_mov_b32_e32 v2, 0
	buffer_store_dword v1, off, s[0:3], s32 offset:372 ; 4-byte Folded Spill
	buffer_store_dword v2, off, s[0:3], s32 offset:376 ; 4-byte Folded Spill
	s_waitcnt vmcnt(0) lgkmcnt(0)
	v_cmp_ne_u16_sdwa s5, v0, v77 src0_sel:BYTE_0 src1_sel:DWORD
	s_and_saveexec_b32 s23, s5
	s_cbranch_execz .LBB241_155
; %bb.148:                              ;   in Loop: Header=BB241_16 Depth=1
	v_bfrev_b32_e32 v1, 1
	v_mov_b32_e32 v2, 0
	buffer_store_dword v1, off, s[0:3], s32 offset:372 ; 4-byte Folded Spill
	buffer_store_dword v2, off, s[0:3], s32 offset:376 ; 4-byte Folded Spill
	v_mov_b32_e32 v1, 0x80
	v_cmp_ne_u16_sdwa s5, v0, v1 src0_sel:BYTE_0 src1_sel:DWORD
	s_and_saveexec_b32 s24, s5
	s_cbranch_execz .LBB241_154
; %bb.149:                              ;   in Loop: Header=BB241_16 Depth=1
	v_mov_b32_e32 v3, 0x7f800001
	v_and_b32_e32 v2, 0x7f, v0
	v_mov_b32_e32 v4, 0
	s_mov_b32 s25, exec_lo
	buffer_store_dword v3, off, s[0:3], s32 offset:372 ; 4-byte Folded Spill
	buffer_store_dword v4, off, s[0:3], s32 offset:376 ; 4-byte Folded Spill
	v_cmpx_ne_u32_e32 0x7f, v2
	s_cbranch_execz .LBB241_153
; %bb.150:                              ;   in Loop: Header=BB241_16 Depth=1
	v_and_b32_e32 v76, 7, v0
	v_lshrrev_b32_e32 v1, 3, v2
	s_mov_b32 s26, exec_lo
	v_cmpx_gt_u32_e32 8, v2
; %bb.151:                              ;   in Loop: Header=BB241_16 Depth=1
	v_ffbh_u32_e32 v1, v76
	v_min_u32_e32 v1, 32, v1
	v_subrev_nc_u32_e32 v2, 28, v1
	v_sub_nc_u32_e32 v1, 29, v1
	v_lshlrev_b64 v[2:3], v2, v[76:77]
	v_and_b32_e32 v76, 7, v2
; %bb.152:                              ;   in Loop: Header=BB241_16 Depth=1
	s_or_b32 exec_lo, exec_lo, s26
	v_lshlrev_b32_e32 v2, 24, v0
	v_lshlrev_b32_e32 v3, 20, v76
	v_lshl_add_u32 v1, v1, 23, 0x3c000000
	v_and_b32_e32 v2, 0x80000000, v2
	v_or3_b32 v76, v3, v2, v1
	buffer_store_dword v76, off, s[0:3], s32 offset:372 ; 4-byte Folded Spill
	buffer_store_dword v77, off, s[0:3], s32 offset:376 ; 4-byte Folded Spill
.LBB241_153:                            ;   in Loop: Header=BB241_16 Depth=1
	s_or_b32 exec_lo, exec_lo, s25
.LBB241_154:                            ;   in Loop: Header=BB241_16 Depth=1
	s_or_b32 exec_lo, exec_lo, s24
.LBB241_155:                            ;   in Loop: Header=BB241_16 Depth=1
	s_or_b32 exec_lo, exec_lo, s23
	v_cmp_ne_u16_sdwa s5, v0, v77 src0_sel:BYTE_1 src1_sel:DWORD
	s_and_saveexec_b32 s23, s5
	s_cbranch_execz .LBB241_163
; %bb.156:                              ;   in Loop: Header=BB241_16 Depth=1
	v_mov_b32_e32 v1, 0x80
	v_mov_b32_e32 v70, v77
	buffer_store_dword v70, off, s[0:3], s32 offset:380 ; 4-byte Folded Spill
	buffer_store_dword v71, off, s[0:3], s32 offset:384 ; 4-byte Folded Spill
	v_cmp_ne_u16_sdwa s5, v0, v1 src0_sel:BYTE_1 src1_sel:DWORD
	s_and_saveexec_b32 s24, s5
	s_cbranch_execz .LBB241_162
; %bb.157:                              ;   in Loop: Header=BB241_16 Depth=1
	s_clause 0x1
	buffer_load_dword v3, off, s[0:3], s32 offset:200
	buffer_load_dword v4, off, s[0:3], s32 offset:204
	v_mov_b32_e32 v1, 0xffff
	s_mov_b32 s25, exec_lo
	v_and_b32_sdwa v1, v1, v0 dst_sel:DWORD dst_unused:UNUSED_PAD src0_sel:DWORD src1_sel:BYTE_1
	v_and_b32_e32 v2, 0x7f, v1
	s_waitcnt vmcnt(0)
	v_mov_b32_e32 v5, v4
	v_mov_b32_e32 v4, v77
	;; [unrolled: 1-line block ×3, first 2 shown]
	buffer_store_dword v2, off, s[0:3], s32 offset:200 ; 4-byte Folded Spill
	buffer_store_dword v3, off, s[0:3], s32 offset:204 ; 4-byte Folded Spill
	buffer_store_dword v4, off, s[0:3], s32 offset:380 ; 4-byte Folded Spill
	buffer_store_dword v5, off, s[0:3], s32 offset:384 ; 4-byte Folded Spill
	v_cmpx_ne_u32_e32 0x7f, v2
	s_cbranch_execz .LBB241_161
; %bb.158:                              ;   in Loop: Header=BB241_16 Depth=1
	v_and_b32_e32 v76, 7, v1
	v_lshrrev_b32_e32 v1, 3, v2
	s_mov_b32 s26, exec_lo
	v_cmpx_gt_u32_e32 8, v2
; %bb.159:                              ;   in Loop: Header=BB241_16 Depth=1
	v_ffbh_u32_e32 v1, v76
	v_min_u32_e32 v1, 32, v1
	v_subrev_nc_u32_e32 v2, 28, v1
	v_sub_nc_u32_e32 v1, 29, v1
	v_lshlrev_b64 v[2:3], v2, v[76:77]
	v_and_b32_e32 v76, 7, v2
; %bb.160:                              ;   in Loop: Header=BB241_16 Depth=1
	s_or_b32 exec_lo, exec_lo, s26
	v_lshlrev_b32_e32 v2, 16, v0
	v_lshlrev_b32_e32 v3, 20, v76
	v_lshl_add_u32 v1, v1, 23, 0x3c000000
	v_and_b32_e32 v2, 0x80000000, v2
	v_or3_b32 v2, v3, v2, v1
	v_mov_b32_e32 v1, v77
	buffer_store_dword v1, off, s[0:3], s32 offset:380 ; 4-byte Folded Spill
	buffer_store_dword v2, off, s[0:3], s32 offset:384 ; 4-byte Folded Spill
.LBB241_161:                            ;   in Loop: Header=BB241_16 Depth=1
	s_or_b32 exec_lo, exec_lo, s25
.LBB241_162:                            ;   in Loop: Header=BB241_16 Depth=1
	s_or_b32 exec_lo, exec_lo, s24
.LBB241_163:                            ;   in Loop: Header=BB241_16 Depth=1
	s_or_b32 exec_lo, exec_lo, s23
	v_mov_b32_e32 v2, 0
	v_mov_b32_e32 v3, 0
	;; [unrolled: 1-line block ×3, first 2 shown]
	s_mov_b32 s23, exec_lo
	buffer_store_dword v2, off, s[0:3], s32 offset:388 ; 4-byte Folded Spill
	buffer_store_dword v3, off, s[0:3], s32 offset:392 ; 4-byte Folded Spill
	v_mov_b32_e32 v2, 0
	v_and_b32_sdwa v1, v0, v1 dst_sel:DWORD dst_unused:UNUSED_PAD src0_sel:WORD_1 src1_sel:DWORD
	v_mov_b32_e32 v3, 0
	buffer_store_dword v2, off, s[0:3], s32 offset:396 ; 4-byte Folded Spill
	buffer_store_dword v3, off, s[0:3], s32 offset:400 ; 4-byte Folded Spill
	v_cmpx_ne_u16_e32 0, v1
	s_cbranch_execz .LBB241_171
; %bb.164:                              ;   in Loop: Header=BB241_16 Depth=1
	v_cmp_ne_u16_e64 s5, 0x80, v1
	v_bfrev_b32_e32 v1, 1
	v_mov_b32_e32 v2, 0
	buffer_store_dword v1, off, s[0:3], s32 offset:396 ; 4-byte Folded Spill
	buffer_store_dword v2, off, s[0:3], s32 offset:400 ; 4-byte Folded Spill
	s_and_saveexec_b32 s24, s5
	s_cbranch_execz .LBB241_170
; %bb.165:                              ;   in Loop: Header=BB241_16 Depth=1
	v_mov_b32_e32 v3, 0x7f800001
	v_bfe_u32 v2, v0, 16, 7
	v_mov_b32_e32 v4, 0
	s_mov_b32 s25, exec_lo
	buffer_store_dword v3, off, s[0:3], s32 offset:396 ; 4-byte Folded Spill
	buffer_store_dword v4, off, s[0:3], s32 offset:400 ; 4-byte Folded Spill
	v_cmpx_ne_u32_e32 0x7f, v2
	s_cbranch_execz .LBB241_169
; %bb.166:                              ;   in Loop: Header=BB241_16 Depth=1
	v_mov_b32_e32 v1, 7
	s_mov_b32 s26, exec_lo
	v_and_b32_sdwa v76, v0, v1 dst_sel:DWORD dst_unused:UNUSED_PAD src0_sel:WORD_1 src1_sel:DWORD
	v_lshrrev_b32_e32 v1, 3, v2
	v_cmpx_gt_u32_e32 8, v2
; %bb.167:                              ;   in Loop: Header=BB241_16 Depth=1
	v_ffbh_u32_e32 v1, v76
	v_min_u32_e32 v1, 32, v1
	v_subrev_nc_u32_e32 v2, 28, v1
	v_sub_nc_u32_e32 v1, 29, v1
	v_lshlrev_b64 v[2:3], v2, v[76:77]
	v_and_b32_e32 v76, 7, v2
; %bb.168:                              ;   in Loop: Header=BB241_16 Depth=1
	s_or_b32 exec_lo, exec_lo, s26
	v_mov_b32_e32 v2, 24
	v_lshlrev_b32_e32 v3, 20, v76
	v_lshl_add_u32 v1, v1, 23, 0x3c000000
	v_lshlrev_b32_sdwa v2, v2, v0 dst_sel:DWORD dst_unused:UNUSED_PAD src0_sel:DWORD src1_sel:WORD_1
	v_and_b32_e32 v2, 0x80000000, v2
	v_or3_b32 v76, v3, v2, v1
	buffer_store_dword v76, off, s[0:3], s32 offset:396 ; 4-byte Folded Spill
	buffer_store_dword v77, off, s[0:3], s32 offset:400 ; 4-byte Folded Spill
.LBB241_169:                            ;   in Loop: Header=BB241_16 Depth=1
	s_or_b32 exec_lo, exec_lo, s25
.LBB241_170:                            ;   in Loop: Header=BB241_16 Depth=1
	s_or_b32 exec_lo, exec_lo, s24
.LBB241_171:                            ;   in Loop: Header=BB241_16 Depth=1
	s_or_b32 exec_lo, exec_lo, s23
	s_mov_b32 s23, exec_lo
	v_cmpx_lt_u32_e32 0xffffff, v0
	s_cbranch_execz .LBB241_179
; %bb.172:                              ;   in Loop: Header=BB241_16 Depth=1
	v_mov_b32_e32 v1, 0x80
	v_mov_b32_e32 v70, v77
	buffer_store_dword v70, off, s[0:3], s32 offset:388 ; 4-byte Folded Spill
	buffer_store_dword v71, off, s[0:3], s32 offset:392 ; 4-byte Folded Spill
	v_cmp_ne_u32_sdwa s5, v0, v1 src0_sel:BYTE_3 src1_sel:DWORD
	s_and_saveexec_b32 s24, s5
	s_cbranch_execz .LBB241_178
; %bb.173:                              ;   in Loop: Header=BB241_16 Depth=1
	s_clause 0x1
	buffer_load_dword v3, off, s[0:3], s32 offset:200
	buffer_load_dword v4, off, s[0:3], s32 offset:204
	v_bfe_u32 v2, v0, 24, 7
	s_waitcnt vmcnt(1)
	v_mov_b32_e32 v3, v77
	s_mov_b32 s25, exec_lo
	s_waitcnt vmcnt(0)
	v_mov_b32_e32 v1, v4
	buffer_store_dword v0, off, s[0:3], s32 offset:200 ; 4-byte Folded Spill
	buffer_store_dword v1, off, s[0:3], s32 offset:204 ; 4-byte Folded Spill
	;; [unrolled: 1-line block ×4, first 2 shown]
	v_cmpx_ne_u32_e32 0x7f, v2
	s_cbranch_execz .LBB241_177
; %bb.174:                              ;   in Loop: Header=BB241_16 Depth=1
	v_mov_b32_e32 v1, 7
	s_mov_b32 s26, exec_lo
	v_and_b32_sdwa v76, v0, v1 dst_sel:DWORD dst_unused:UNUSED_PAD src0_sel:BYTE_3 src1_sel:DWORD
	v_lshrrev_b32_e32 v1, 3, v2
	v_cmpx_gt_u32_e32 8, v2
; %bb.175:                              ;   in Loop: Header=BB241_16 Depth=1
	v_ffbh_u32_e32 v1, v76
	v_min_u32_e32 v1, 32, v1
	v_subrev_nc_u32_e32 v2, 28, v1
	v_sub_nc_u32_e32 v1, 29, v1
	v_lshlrev_b64 v[2:3], v2, v[76:77]
	v_and_b32_e32 v76, 7, v2
; %bb.176:                              ;   in Loop: Header=BB241_16 Depth=1
	s_or_b32 exec_lo, exec_lo, s26
	v_mov_b32_e32 v2, 24
	v_lshl_add_u32 v1, v1, 23, 0x3c000000
	v_lshlrev_b32_sdwa v0, v2, v0 dst_sel:DWORD dst_unused:UNUSED_PAD src0_sel:DWORD src1_sel:BYTE_3
	v_lshlrev_b32_e32 v2, 20, v76
	v_and_b32_e32 v0, 0x80000000, v0
	v_or3_b32 v1, v2, v0, v1
	v_mov_b32_e32 v0, v77
	buffer_store_dword v0, off, s[0:3], s32 offset:388 ; 4-byte Folded Spill
	buffer_store_dword v1, off, s[0:3], s32 offset:392 ; 4-byte Folded Spill
.LBB241_177:                            ;   in Loop: Header=BB241_16 Depth=1
	s_or_b32 exec_lo, exec_lo, s25
.LBB241_178:                            ;   in Loop: Header=BB241_16 Depth=1
	s_or_b32 exec_lo, exec_lo, s24
.LBB241_179:                            ;   in Loop: Header=BB241_16 Depth=1
	s_or_b32 exec_lo, exec_lo, s23
	flat_load_dword v0, v[8:9] offset:516
	v_mov_b32_e32 v1, 0
	v_mov_b32_e32 v2, 0
	buffer_store_dword v1, off, s[0:3], s32 offset:412 ; 4-byte Folded Spill
	buffer_store_dword v2, off, s[0:3], s32 offset:416 ; 4-byte Folded Spill
	v_mov_b32_e32 v1, 0
	v_mov_b32_e32 v2, 0
	buffer_store_dword v1, off, s[0:3], s32 offset:404 ; 4-byte Folded Spill
	buffer_store_dword v2, off, s[0:3], s32 offset:408 ; 4-byte Folded Spill
	s_waitcnt vmcnt(0) lgkmcnt(0)
	v_cmp_ne_u16_sdwa s5, v0, v77 src0_sel:BYTE_0 src1_sel:DWORD
	s_and_saveexec_b32 s23, s5
	s_cbranch_execz .LBB241_187
; %bb.180:                              ;   in Loop: Header=BB241_16 Depth=1
	v_bfrev_b32_e32 v1, 1
	v_mov_b32_e32 v2, 0
	buffer_store_dword v1, off, s[0:3], s32 offset:404 ; 4-byte Folded Spill
	buffer_store_dword v2, off, s[0:3], s32 offset:408 ; 4-byte Folded Spill
	v_mov_b32_e32 v1, 0x80
	v_cmp_ne_u16_sdwa s5, v0, v1 src0_sel:BYTE_0 src1_sel:DWORD
	s_and_saveexec_b32 s24, s5
	s_cbranch_execz .LBB241_186
; %bb.181:                              ;   in Loop: Header=BB241_16 Depth=1
	v_mov_b32_e32 v3, 0x7f800001
	v_and_b32_e32 v2, 0x7f, v0
	v_mov_b32_e32 v4, 0
	s_mov_b32 s25, exec_lo
	buffer_store_dword v3, off, s[0:3], s32 offset:404 ; 4-byte Folded Spill
	buffer_store_dword v4, off, s[0:3], s32 offset:408 ; 4-byte Folded Spill
	v_cmpx_ne_u32_e32 0x7f, v2
	s_cbranch_execz .LBB241_185
; %bb.182:                              ;   in Loop: Header=BB241_16 Depth=1
	v_and_b32_e32 v76, 7, v0
	v_lshrrev_b32_e32 v1, 3, v2
	s_mov_b32 s26, exec_lo
	v_cmpx_gt_u32_e32 8, v2
; %bb.183:                              ;   in Loop: Header=BB241_16 Depth=1
	v_ffbh_u32_e32 v1, v76
	v_min_u32_e32 v1, 32, v1
	v_subrev_nc_u32_e32 v2, 28, v1
	v_sub_nc_u32_e32 v1, 29, v1
	v_lshlrev_b64 v[2:3], v2, v[76:77]
	v_and_b32_e32 v76, 7, v2
; %bb.184:                              ;   in Loop: Header=BB241_16 Depth=1
	s_or_b32 exec_lo, exec_lo, s26
	v_lshlrev_b32_e32 v2, 24, v0
	v_lshlrev_b32_e32 v3, 20, v76
	v_lshl_add_u32 v1, v1, 23, 0x3c000000
	v_and_b32_e32 v2, 0x80000000, v2
	v_or3_b32 v76, v3, v2, v1
	buffer_store_dword v76, off, s[0:3], s32 offset:404 ; 4-byte Folded Spill
	buffer_store_dword v77, off, s[0:3], s32 offset:408 ; 4-byte Folded Spill
.LBB241_185:                            ;   in Loop: Header=BB241_16 Depth=1
	s_or_b32 exec_lo, exec_lo, s25
.LBB241_186:                            ;   in Loop: Header=BB241_16 Depth=1
	s_or_b32 exec_lo, exec_lo, s24
.LBB241_187:                            ;   in Loop: Header=BB241_16 Depth=1
	s_or_b32 exec_lo, exec_lo, s23
	v_cmp_ne_u16_sdwa s5, v0, v77 src0_sel:BYTE_1 src1_sel:DWORD
	s_and_saveexec_b32 s23, s5
	s_cbranch_execz .LBB241_195
; %bb.188:                              ;   in Loop: Header=BB241_16 Depth=1
	v_mov_b32_e32 v1, 0x80
	v_mov_b32_e32 v70, v77
	buffer_store_dword v70, off, s[0:3], s32 offset:412 ; 4-byte Folded Spill
	buffer_store_dword v71, off, s[0:3], s32 offset:416 ; 4-byte Folded Spill
	v_cmp_ne_u16_sdwa s5, v0, v1 src0_sel:BYTE_1 src1_sel:DWORD
	s_and_saveexec_b32 s24, s5
	s_cbranch_execz .LBB241_194
; %bb.189:                              ;   in Loop: Header=BB241_16 Depth=1
	s_clause 0x1
	buffer_load_dword v3, off, s[0:3], s32 offset:200
	buffer_load_dword v4, off, s[0:3], s32 offset:204
	v_mov_b32_e32 v1, 0xffff
	s_mov_b32 s25, exec_lo
	v_and_b32_sdwa v1, v1, v0 dst_sel:DWORD dst_unused:UNUSED_PAD src0_sel:DWORD src1_sel:BYTE_1
	v_and_b32_e32 v2, 0x7f, v1
	s_waitcnt vmcnt(0)
	v_mov_b32_e32 v5, v4
	v_mov_b32_e32 v4, v77
	;; [unrolled: 1-line block ×3, first 2 shown]
	buffer_store_dword v2, off, s[0:3], s32 offset:200 ; 4-byte Folded Spill
	buffer_store_dword v3, off, s[0:3], s32 offset:204 ; 4-byte Folded Spill
	;; [unrolled: 1-line block ×4, first 2 shown]
	v_cmpx_ne_u32_e32 0x7f, v2
	s_cbranch_execz .LBB241_193
; %bb.190:                              ;   in Loop: Header=BB241_16 Depth=1
	v_and_b32_e32 v76, 7, v1
	v_lshrrev_b32_e32 v1, 3, v2
	s_mov_b32 s26, exec_lo
	v_cmpx_gt_u32_e32 8, v2
; %bb.191:                              ;   in Loop: Header=BB241_16 Depth=1
	v_ffbh_u32_e32 v1, v76
	v_min_u32_e32 v1, 32, v1
	v_subrev_nc_u32_e32 v2, 28, v1
	v_sub_nc_u32_e32 v1, 29, v1
	v_lshlrev_b64 v[2:3], v2, v[76:77]
	v_and_b32_e32 v76, 7, v2
; %bb.192:                              ;   in Loop: Header=BB241_16 Depth=1
	s_or_b32 exec_lo, exec_lo, s26
	v_lshlrev_b32_e32 v2, 16, v0
	v_lshlrev_b32_e32 v3, 20, v76
	v_lshl_add_u32 v1, v1, 23, 0x3c000000
	v_and_b32_e32 v2, 0x80000000, v2
	v_or3_b32 v2, v3, v2, v1
	v_mov_b32_e32 v1, v77
	buffer_store_dword v1, off, s[0:3], s32 offset:412 ; 4-byte Folded Spill
	buffer_store_dword v2, off, s[0:3], s32 offset:416 ; 4-byte Folded Spill
.LBB241_193:                            ;   in Loop: Header=BB241_16 Depth=1
	s_or_b32 exec_lo, exec_lo, s25
.LBB241_194:                            ;   in Loop: Header=BB241_16 Depth=1
	s_or_b32 exec_lo, exec_lo, s24
.LBB241_195:                            ;   in Loop: Header=BB241_16 Depth=1
	s_or_b32 exec_lo, exec_lo, s23
	v_mov_b32_e32 v2, 0
	v_mov_b32_e32 v3, 0
	;; [unrolled: 1-line block ×3, first 2 shown]
	s_mov_b32 s23, exec_lo
	buffer_store_dword v2, off, s[0:3], s32 offset:420 ; 4-byte Folded Spill
	buffer_store_dword v3, off, s[0:3], s32 offset:424 ; 4-byte Folded Spill
	v_mov_b32_e32 v2, 0
	v_and_b32_sdwa v1, v0, v1 dst_sel:DWORD dst_unused:UNUSED_PAD src0_sel:WORD_1 src1_sel:DWORD
	v_mov_b32_e32 v3, 0
	buffer_store_dword v2, off, s[0:3], s32 offset:428 ; 4-byte Folded Spill
	buffer_store_dword v3, off, s[0:3], s32 offset:432 ; 4-byte Folded Spill
	v_cmpx_ne_u16_e32 0, v1
	s_cbranch_execz .LBB241_203
; %bb.196:                              ;   in Loop: Header=BB241_16 Depth=1
	v_cmp_ne_u16_e64 s5, 0x80, v1
	v_bfrev_b32_e32 v1, 1
	v_mov_b32_e32 v2, 0
	buffer_store_dword v1, off, s[0:3], s32 offset:428 ; 4-byte Folded Spill
	buffer_store_dword v2, off, s[0:3], s32 offset:432 ; 4-byte Folded Spill
	s_and_saveexec_b32 s24, s5
	s_cbranch_execz .LBB241_202
; %bb.197:                              ;   in Loop: Header=BB241_16 Depth=1
	v_mov_b32_e32 v3, 0x7f800001
	v_bfe_u32 v2, v0, 16, 7
	v_mov_b32_e32 v4, 0
	s_mov_b32 s25, exec_lo
	buffer_store_dword v3, off, s[0:3], s32 offset:428 ; 4-byte Folded Spill
	buffer_store_dword v4, off, s[0:3], s32 offset:432 ; 4-byte Folded Spill
	v_cmpx_ne_u32_e32 0x7f, v2
	s_cbranch_execz .LBB241_201
; %bb.198:                              ;   in Loop: Header=BB241_16 Depth=1
	v_mov_b32_e32 v1, 7
	s_mov_b32 s26, exec_lo
	v_and_b32_sdwa v76, v0, v1 dst_sel:DWORD dst_unused:UNUSED_PAD src0_sel:WORD_1 src1_sel:DWORD
	v_lshrrev_b32_e32 v1, 3, v2
	v_cmpx_gt_u32_e32 8, v2
; %bb.199:                              ;   in Loop: Header=BB241_16 Depth=1
	v_ffbh_u32_e32 v1, v76
	v_min_u32_e32 v1, 32, v1
	v_subrev_nc_u32_e32 v2, 28, v1
	v_sub_nc_u32_e32 v1, 29, v1
	v_lshlrev_b64 v[2:3], v2, v[76:77]
	v_and_b32_e32 v76, 7, v2
; %bb.200:                              ;   in Loop: Header=BB241_16 Depth=1
	s_or_b32 exec_lo, exec_lo, s26
	v_mov_b32_e32 v2, 24
	v_lshlrev_b32_e32 v3, 20, v76
	v_lshl_add_u32 v1, v1, 23, 0x3c000000
	v_lshlrev_b32_sdwa v2, v2, v0 dst_sel:DWORD dst_unused:UNUSED_PAD src0_sel:DWORD src1_sel:WORD_1
	v_and_b32_e32 v2, 0x80000000, v2
	v_or3_b32 v76, v3, v2, v1
	buffer_store_dword v76, off, s[0:3], s32 offset:428 ; 4-byte Folded Spill
	buffer_store_dword v77, off, s[0:3], s32 offset:432 ; 4-byte Folded Spill
.LBB241_201:                            ;   in Loop: Header=BB241_16 Depth=1
	s_or_b32 exec_lo, exec_lo, s25
.LBB241_202:                            ;   in Loop: Header=BB241_16 Depth=1
	s_or_b32 exec_lo, exec_lo, s24
.LBB241_203:                            ;   in Loop: Header=BB241_16 Depth=1
	s_or_b32 exec_lo, exec_lo, s23
	s_mov_b32 s23, exec_lo
	v_cmpx_lt_u32_e32 0xffffff, v0
	s_cbranch_execz .LBB241_211
; %bb.204:                              ;   in Loop: Header=BB241_16 Depth=1
	v_mov_b32_e32 v1, 0x80
	v_mov_b32_e32 v70, v77
	buffer_store_dword v70, off, s[0:3], s32 offset:420 ; 4-byte Folded Spill
	buffer_store_dword v71, off, s[0:3], s32 offset:424 ; 4-byte Folded Spill
	v_cmp_ne_u32_sdwa s5, v0, v1 src0_sel:BYTE_3 src1_sel:DWORD
	s_and_saveexec_b32 s24, s5
	s_cbranch_execz .LBB241_210
; %bb.205:                              ;   in Loop: Header=BB241_16 Depth=1
	s_clause 0x1
	buffer_load_dword v3, off, s[0:3], s32 offset:200
	buffer_load_dword v4, off, s[0:3], s32 offset:204
	v_bfe_u32 v2, v0, 24, 7
	s_waitcnt vmcnt(1)
	v_mov_b32_e32 v3, v77
	s_mov_b32 s25, exec_lo
	s_waitcnt vmcnt(0)
	v_mov_b32_e32 v1, v4
	buffer_store_dword v0, off, s[0:3], s32 offset:200 ; 4-byte Folded Spill
	buffer_store_dword v1, off, s[0:3], s32 offset:204 ; 4-byte Folded Spill
	;; [unrolled: 1-line block ×4, first 2 shown]
	v_cmpx_ne_u32_e32 0x7f, v2
	s_cbranch_execz .LBB241_209
; %bb.206:                              ;   in Loop: Header=BB241_16 Depth=1
	v_mov_b32_e32 v1, 7
	s_mov_b32 s26, exec_lo
	v_and_b32_sdwa v76, v0, v1 dst_sel:DWORD dst_unused:UNUSED_PAD src0_sel:BYTE_3 src1_sel:DWORD
	v_lshrrev_b32_e32 v1, 3, v2
	v_cmpx_gt_u32_e32 8, v2
; %bb.207:                              ;   in Loop: Header=BB241_16 Depth=1
	v_ffbh_u32_e32 v1, v76
	v_min_u32_e32 v1, 32, v1
	v_subrev_nc_u32_e32 v2, 28, v1
	v_sub_nc_u32_e32 v1, 29, v1
	v_lshlrev_b64 v[2:3], v2, v[76:77]
	v_and_b32_e32 v76, 7, v2
; %bb.208:                              ;   in Loop: Header=BB241_16 Depth=1
	s_or_b32 exec_lo, exec_lo, s26
	v_mov_b32_e32 v2, 24
	v_lshl_add_u32 v1, v1, 23, 0x3c000000
	v_lshlrev_b32_sdwa v0, v2, v0 dst_sel:DWORD dst_unused:UNUSED_PAD src0_sel:DWORD src1_sel:BYTE_3
	v_lshlrev_b32_e32 v2, 20, v76
	v_and_b32_e32 v0, 0x80000000, v0
	v_or3_b32 v1, v2, v0, v1
	v_mov_b32_e32 v0, v77
	buffer_store_dword v0, off, s[0:3], s32 offset:420 ; 4-byte Folded Spill
	buffer_store_dword v1, off, s[0:3], s32 offset:424 ; 4-byte Folded Spill
.LBB241_209:                            ;   in Loop: Header=BB241_16 Depth=1
	s_or_b32 exec_lo, exec_lo, s25
.LBB241_210:                            ;   in Loop: Header=BB241_16 Depth=1
	s_or_b32 exec_lo, exec_lo, s24
.LBB241_211:                            ;   in Loop: Header=BB241_16 Depth=1
	s_or_b32 exec_lo, exec_lo, s23
	flat_load_dword v0, v[8:9] offset:520
	v_mov_b32_e32 v1, 0
	v_mov_b32_e32 v2, 0
	buffer_store_dword v1, off, s[0:3], s32 offset:444 ; 4-byte Folded Spill
	buffer_store_dword v2, off, s[0:3], s32 offset:448 ; 4-byte Folded Spill
	v_mov_b32_e32 v1, 0
	v_mov_b32_e32 v2, 0
	buffer_store_dword v1, off, s[0:3], s32 offset:436 ; 4-byte Folded Spill
	buffer_store_dword v2, off, s[0:3], s32 offset:440 ; 4-byte Folded Spill
	s_waitcnt vmcnt(0) lgkmcnt(0)
	v_cmp_ne_u16_sdwa s5, v0, v77 src0_sel:BYTE_0 src1_sel:DWORD
	s_and_saveexec_b32 s23, s5
	s_cbranch_execz .LBB241_219
; %bb.212:                              ;   in Loop: Header=BB241_16 Depth=1
	v_bfrev_b32_e32 v1, 1
	v_mov_b32_e32 v2, 0
	buffer_store_dword v1, off, s[0:3], s32 offset:436 ; 4-byte Folded Spill
	buffer_store_dword v2, off, s[0:3], s32 offset:440 ; 4-byte Folded Spill
	v_mov_b32_e32 v1, 0x80
	v_cmp_ne_u16_sdwa s5, v0, v1 src0_sel:BYTE_0 src1_sel:DWORD
	s_and_saveexec_b32 s24, s5
	s_cbranch_execz .LBB241_218
; %bb.213:                              ;   in Loop: Header=BB241_16 Depth=1
	v_mov_b32_e32 v3, 0x7f800001
	v_and_b32_e32 v2, 0x7f, v0
	v_mov_b32_e32 v4, 0
	s_mov_b32 s25, exec_lo
	buffer_store_dword v3, off, s[0:3], s32 offset:436 ; 4-byte Folded Spill
	buffer_store_dword v4, off, s[0:3], s32 offset:440 ; 4-byte Folded Spill
	v_cmpx_ne_u32_e32 0x7f, v2
	s_cbranch_execz .LBB241_217
; %bb.214:                              ;   in Loop: Header=BB241_16 Depth=1
	v_and_b32_e32 v76, 7, v0
	v_lshrrev_b32_e32 v1, 3, v2
	s_mov_b32 s26, exec_lo
	v_cmpx_gt_u32_e32 8, v2
; %bb.215:                              ;   in Loop: Header=BB241_16 Depth=1
	v_ffbh_u32_e32 v1, v76
	v_min_u32_e32 v1, 32, v1
	v_subrev_nc_u32_e32 v2, 28, v1
	v_sub_nc_u32_e32 v1, 29, v1
	v_lshlrev_b64 v[2:3], v2, v[76:77]
	v_and_b32_e32 v76, 7, v2
; %bb.216:                              ;   in Loop: Header=BB241_16 Depth=1
	s_or_b32 exec_lo, exec_lo, s26
	v_lshlrev_b32_e32 v2, 24, v0
	v_lshlrev_b32_e32 v3, 20, v76
	v_lshl_add_u32 v1, v1, 23, 0x3c000000
	v_and_b32_e32 v2, 0x80000000, v2
	v_or3_b32 v76, v3, v2, v1
	buffer_store_dword v76, off, s[0:3], s32 offset:436 ; 4-byte Folded Spill
	buffer_store_dword v77, off, s[0:3], s32 offset:440 ; 4-byte Folded Spill
.LBB241_217:                            ;   in Loop: Header=BB241_16 Depth=1
	s_or_b32 exec_lo, exec_lo, s25
.LBB241_218:                            ;   in Loop: Header=BB241_16 Depth=1
	s_or_b32 exec_lo, exec_lo, s24
.LBB241_219:                            ;   in Loop: Header=BB241_16 Depth=1
	s_or_b32 exec_lo, exec_lo, s23
	v_cmp_ne_u16_sdwa s5, v0, v77 src0_sel:BYTE_1 src1_sel:DWORD
	s_and_saveexec_b32 s23, s5
	s_cbranch_execz .LBB241_227
; %bb.220:                              ;   in Loop: Header=BB241_16 Depth=1
	v_mov_b32_e32 v1, 0x80
	v_mov_b32_e32 v70, v77
	buffer_store_dword v70, off, s[0:3], s32 offset:444 ; 4-byte Folded Spill
	buffer_store_dword v71, off, s[0:3], s32 offset:448 ; 4-byte Folded Spill
	v_cmp_ne_u16_sdwa s5, v0, v1 src0_sel:BYTE_1 src1_sel:DWORD
	s_and_saveexec_b32 s24, s5
	s_cbranch_execz .LBB241_226
; %bb.221:                              ;   in Loop: Header=BB241_16 Depth=1
	s_clause 0x1
	buffer_load_dword v3, off, s[0:3], s32 offset:200
	buffer_load_dword v4, off, s[0:3], s32 offset:204
	v_mov_b32_e32 v1, 0xffff
	s_mov_b32 s25, exec_lo
	v_and_b32_sdwa v1, v1, v0 dst_sel:DWORD dst_unused:UNUSED_PAD src0_sel:DWORD src1_sel:BYTE_1
	v_and_b32_e32 v2, 0x7f, v1
	s_waitcnt vmcnt(0)
	v_mov_b32_e32 v5, v4
	v_mov_b32_e32 v4, v77
	;; [unrolled: 1-line block ×3, first 2 shown]
	buffer_store_dword v2, off, s[0:3], s32 offset:200 ; 4-byte Folded Spill
	buffer_store_dword v3, off, s[0:3], s32 offset:204 ; 4-byte Folded Spill
	;; [unrolled: 1-line block ×4, first 2 shown]
	v_cmpx_ne_u32_e32 0x7f, v2
	s_cbranch_execz .LBB241_225
; %bb.222:                              ;   in Loop: Header=BB241_16 Depth=1
	v_and_b32_e32 v76, 7, v1
	v_lshrrev_b32_e32 v1, 3, v2
	s_mov_b32 s26, exec_lo
	v_cmpx_gt_u32_e32 8, v2
; %bb.223:                              ;   in Loop: Header=BB241_16 Depth=1
	v_ffbh_u32_e32 v1, v76
	v_min_u32_e32 v1, 32, v1
	v_subrev_nc_u32_e32 v2, 28, v1
	v_sub_nc_u32_e32 v1, 29, v1
	v_lshlrev_b64 v[2:3], v2, v[76:77]
	v_and_b32_e32 v76, 7, v2
; %bb.224:                              ;   in Loop: Header=BB241_16 Depth=1
	s_or_b32 exec_lo, exec_lo, s26
	v_lshlrev_b32_e32 v2, 16, v0
	v_lshlrev_b32_e32 v3, 20, v76
	v_lshl_add_u32 v1, v1, 23, 0x3c000000
	v_and_b32_e32 v2, 0x80000000, v2
	v_or3_b32 v2, v3, v2, v1
	v_mov_b32_e32 v1, v77
	buffer_store_dword v1, off, s[0:3], s32 offset:444 ; 4-byte Folded Spill
	buffer_store_dword v2, off, s[0:3], s32 offset:448 ; 4-byte Folded Spill
.LBB241_225:                            ;   in Loop: Header=BB241_16 Depth=1
	s_or_b32 exec_lo, exec_lo, s25
.LBB241_226:                            ;   in Loop: Header=BB241_16 Depth=1
	s_or_b32 exec_lo, exec_lo, s24
.LBB241_227:                            ;   in Loop: Header=BB241_16 Depth=1
	s_or_b32 exec_lo, exec_lo, s23
	v_mov_b32_e32 v2, 0
	v_mov_b32_e32 v3, 0
	;; [unrolled: 1-line block ×3, first 2 shown]
	s_mov_b32 s23, exec_lo
	buffer_store_dword v2, off, s[0:3], s32 offset:452 ; 4-byte Folded Spill
	buffer_store_dword v3, off, s[0:3], s32 offset:456 ; 4-byte Folded Spill
	v_mov_b32_e32 v2, 0
	v_and_b32_sdwa v1, v0, v1 dst_sel:DWORD dst_unused:UNUSED_PAD src0_sel:WORD_1 src1_sel:DWORD
	v_mov_b32_e32 v3, 0
	buffer_store_dword v2, off, s[0:3], s32 offset:460 ; 4-byte Folded Spill
	buffer_store_dword v3, off, s[0:3], s32 offset:464 ; 4-byte Folded Spill
	v_cmpx_ne_u16_e32 0, v1
	s_cbranch_execz .LBB241_235
; %bb.228:                              ;   in Loop: Header=BB241_16 Depth=1
	v_cmp_ne_u16_e64 s5, 0x80, v1
	v_bfrev_b32_e32 v1, 1
	v_mov_b32_e32 v2, 0
	buffer_store_dword v1, off, s[0:3], s32 offset:460 ; 4-byte Folded Spill
	buffer_store_dword v2, off, s[0:3], s32 offset:464 ; 4-byte Folded Spill
	s_and_saveexec_b32 s24, s5
	s_cbranch_execz .LBB241_234
; %bb.229:                              ;   in Loop: Header=BB241_16 Depth=1
	v_mov_b32_e32 v3, 0x7f800001
	v_bfe_u32 v2, v0, 16, 7
	v_mov_b32_e32 v4, 0
	s_mov_b32 s25, exec_lo
	buffer_store_dword v3, off, s[0:3], s32 offset:460 ; 4-byte Folded Spill
	buffer_store_dword v4, off, s[0:3], s32 offset:464 ; 4-byte Folded Spill
	v_cmpx_ne_u32_e32 0x7f, v2
	s_cbranch_execz .LBB241_233
; %bb.230:                              ;   in Loop: Header=BB241_16 Depth=1
	v_mov_b32_e32 v1, 7
	s_mov_b32 s26, exec_lo
	v_and_b32_sdwa v76, v0, v1 dst_sel:DWORD dst_unused:UNUSED_PAD src0_sel:WORD_1 src1_sel:DWORD
	v_lshrrev_b32_e32 v1, 3, v2
	v_cmpx_gt_u32_e32 8, v2
; %bb.231:                              ;   in Loop: Header=BB241_16 Depth=1
	v_ffbh_u32_e32 v1, v76
	v_min_u32_e32 v1, 32, v1
	v_subrev_nc_u32_e32 v2, 28, v1
	v_sub_nc_u32_e32 v1, 29, v1
	v_lshlrev_b64 v[2:3], v2, v[76:77]
	v_and_b32_e32 v76, 7, v2
; %bb.232:                              ;   in Loop: Header=BB241_16 Depth=1
	s_or_b32 exec_lo, exec_lo, s26
	v_mov_b32_e32 v2, 24
	v_lshlrev_b32_e32 v3, 20, v76
	v_lshl_add_u32 v1, v1, 23, 0x3c000000
	v_lshlrev_b32_sdwa v2, v2, v0 dst_sel:DWORD dst_unused:UNUSED_PAD src0_sel:DWORD src1_sel:WORD_1
	v_and_b32_e32 v2, 0x80000000, v2
	v_or3_b32 v76, v3, v2, v1
	buffer_store_dword v76, off, s[0:3], s32 offset:460 ; 4-byte Folded Spill
	buffer_store_dword v77, off, s[0:3], s32 offset:464 ; 4-byte Folded Spill
.LBB241_233:                            ;   in Loop: Header=BB241_16 Depth=1
	s_or_b32 exec_lo, exec_lo, s25
.LBB241_234:                            ;   in Loop: Header=BB241_16 Depth=1
	s_or_b32 exec_lo, exec_lo, s24
.LBB241_235:                            ;   in Loop: Header=BB241_16 Depth=1
	s_or_b32 exec_lo, exec_lo, s23
	s_mov_b32 s23, exec_lo
	v_cmpx_lt_u32_e32 0xffffff, v0
	s_cbranch_execz .LBB241_243
; %bb.236:                              ;   in Loop: Header=BB241_16 Depth=1
	v_mov_b32_e32 v1, 0x80
	v_mov_b32_e32 v70, v77
	buffer_store_dword v70, off, s[0:3], s32 offset:452 ; 4-byte Folded Spill
	buffer_store_dword v71, off, s[0:3], s32 offset:456 ; 4-byte Folded Spill
	v_cmp_ne_u32_sdwa s5, v0, v1 src0_sel:BYTE_3 src1_sel:DWORD
	s_and_saveexec_b32 s24, s5
	s_cbranch_execz .LBB241_242
; %bb.237:                              ;   in Loop: Header=BB241_16 Depth=1
	s_clause 0x1
	buffer_load_dword v3, off, s[0:3], s32 offset:200
	buffer_load_dword v4, off, s[0:3], s32 offset:204
	v_bfe_u32 v2, v0, 24, 7
	s_waitcnt vmcnt(1)
	v_mov_b32_e32 v3, v77
	s_mov_b32 s25, exec_lo
	s_waitcnt vmcnt(0)
	v_mov_b32_e32 v1, v4
	buffer_store_dword v0, off, s[0:3], s32 offset:200 ; 4-byte Folded Spill
	buffer_store_dword v1, off, s[0:3], s32 offset:204 ; 4-byte Folded Spill
	;; [unrolled: 1-line block ×4, first 2 shown]
	v_cmpx_ne_u32_e32 0x7f, v2
	s_cbranch_execz .LBB241_241
; %bb.238:                              ;   in Loop: Header=BB241_16 Depth=1
	v_mov_b32_e32 v1, 7
	s_mov_b32 s26, exec_lo
	v_and_b32_sdwa v76, v0, v1 dst_sel:DWORD dst_unused:UNUSED_PAD src0_sel:BYTE_3 src1_sel:DWORD
	v_lshrrev_b32_e32 v1, 3, v2
	v_cmpx_gt_u32_e32 8, v2
; %bb.239:                              ;   in Loop: Header=BB241_16 Depth=1
	v_ffbh_u32_e32 v1, v76
	v_min_u32_e32 v1, 32, v1
	v_subrev_nc_u32_e32 v2, 28, v1
	v_sub_nc_u32_e32 v1, 29, v1
	v_lshlrev_b64 v[2:3], v2, v[76:77]
	v_and_b32_e32 v76, 7, v2
; %bb.240:                              ;   in Loop: Header=BB241_16 Depth=1
	s_or_b32 exec_lo, exec_lo, s26
	v_mov_b32_e32 v2, 24
	v_lshl_add_u32 v1, v1, 23, 0x3c000000
	v_lshlrev_b32_sdwa v0, v2, v0 dst_sel:DWORD dst_unused:UNUSED_PAD src0_sel:DWORD src1_sel:BYTE_3
	v_lshlrev_b32_e32 v2, 20, v76
	v_and_b32_e32 v0, 0x80000000, v0
	v_or3_b32 v1, v2, v0, v1
	v_mov_b32_e32 v0, v77
	buffer_store_dword v0, off, s[0:3], s32 offset:452 ; 4-byte Folded Spill
	buffer_store_dword v1, off, s[0:3], s32 offset:456 ; 4-byte Folded Spill
.LBB241_241:                            ;   in Loop: Header=BB241_16 Depth=1
	s_or_b32 exec_lo, exec_lo, s25
.LBB241_242:                            ;   in Loop: Header=BB241_16 Depth=1
	s_or_b32 exec_lo, exec_lo, s24
.LBB241_243:                            ;   in Loop: Header=BB241_16 Depth=1
	s_or_b32 exec_lo, exec_lo, s23
	flat_load_dword v0, v[8:9] offset:524
	v_mov_b32_e32 v1, 0
	v_mov_b32_e32 v2, 0
	buffer_store_dword v1, off, s[0:3], s32 offset:476 ; 4-byte Folded Spill
	buffer_store_dword v2, off, s[0:3], s32 offset:480 ; 4-byte Folded Spill
	v_mov_b32_e32 v1, 0
	v_mov_b32_e32 v2, 0
	buffer_store_dword v1, off, s[0:3], s32 offset:468 ; 4-byte Folded Spill
	buffer_store_dword v2, off, s[0:3], s32 offset:472 ; 4-byte Folded Spill
	s_waitcnt vmcnt(0) lgkmcnt(0)
	v_cmp_ne_u16_sdwa s5, v0, v77 src0_sel:BYTE_0 src1_sel:DWORD
	s_and_saveexec_b32 s23, s5
	s_cbranch_execz .LBB241_251
; %bb.244:                              ;   in Loop: Header=BB241_16 Depth=1
	v_bfrev_b32_e32 v1, 1
	v_mov_b32_e32 v2, 0
	buffer_store_dword v1, off, s[0:3], s32 offset:468 ; 4-byte Folded Spill
	buffer_store_dword v2, off, s[0:3], s32 offset:472 ; 4-byte Folded Spill
	v_mov_b32_e32 v1, 0x80
	v_cmp_ne_u16_sdwa s5, v0, v1 src0_sel:BYTE_0 src1_sel:DWORD
	s_and_saveexec_b32 s24, s5
	s_cbranch_execz .LBB241_250
; %bb.245:                              ;   in Loop: Header=BB241_16 Depth=1
	v_mov_b32_e32 v3, 0x7f800001
	v_and_b32_e32 v2, 0x7f, v0
	v_mov_b32_e32 v4, 0
	s_mov_b32 s25, exec_lo
	buffer_store_dword v3, off, s[0:3], s32 offset:468 ; 4-byte Folded Spill
	buffer_store_dword v4, off, s[0:3], s32 offset:472 ; 4-byte Folded Spill
	v_cmpx_ne_u32_e32 0x7f, v2
	s_cbranch_execz .LBB241_249
; %bb.246:                              ;   in Loop: Header=BB241_16 Depth=1
	v_and_b32_e32 v76, 7, v0
	v_lshrrev_b32_e32 v1, 3, v2
	s_mov_b32 s26, exec_lo
	v_cmpx_gt_u32_e32 8, v2
; %bb.247:                              ;   in Loop: Header=BB241_16 Depth=1
	v_ffbh_u32_e32 v1, v76
	v_min_u32_e32 v1, 32, v1
	v_subrev_nc_u32_e32 v2, 28, v1
	v_sub_nc_u32_e32 v1, 29, v1
	v_lshlrev_b64 v[2:3], v2, v[76:77]
	v_and_b32_e32 v76, 7, v2
; %bb.248:                              ;   in Loop: Header=BB241_16 Depth=1
	s_or_b32 exec_lo, exec_lo, s26
	v_lshlrev_b32_e32 v2, 24, v0
	v_lshlrev_b32_e32 v3, 20, v76
	v_lshl_add_u32 v1, v1, 23, 0x3c000000
	v_and_b32_e32 v2, 0x80000000, v2
	v_or3_b32 v76, v3, v2, v1
	buffer_store_dword v76, off, s[0:3], s32 offset:468 ; 4-byte Folded Spill
	buffer_store_dword v77, off, s[0:3], s32 offset:472 ; 4-byte Folded Spill
.LBB241_249:                            ;   in Loop: Header=BB241_16 Depth=1
	s_or_b32 exec_lo, exec_lo, s25
.LBB241_250:                            ;   in Loop: Header=BB241_16 Depth=1
	s_or_b32 exec_lo, exec_lo, s24
.LBB241_251:                            ;   in Loop: Header=BB241_16 Depth=1
	s_or_b32 exec_lo, exec_lo, s23
	v_cmp_ne_u16_sdwa s5, v0, v77 src0_sel:BYTE_1 src1_sel:DWORD
	s_and_saveexec_b32 s23, s5
	s_cbranch_execz .LBB241_259
; %bb.252:                              ;   in Loop: Header=BB241_16 Depth=1
	v_mov_b32_e32 v1, 0x80
	v_mov_b32_e32 v70, v77
	buffer_store_dword v70, off, s[0:3], s32 offset:476 ; 4-byte Folded Spill
	buffer_store_dword v71, off, s[0:3], s32 offset:480 ; 4-byte Folded Spill
	v_cmp_ne_u16_sdwa s5, v0, v1 src0_sel:BYTE_1 src1_sel:DWORD
	s_and_saveexec_b32 s24, s5
	s_cbranch_execz .LBB241_258
; %bb.253:                              ;   in Loop: Header=BB241_16 Depth=1
	s_clause 0x1
	buffer_load_dword v3, off, s[0:3], s32 offset:200
	buffer_load_dword v4, off, s[0:3], s32 offset:204
	v_mov_b32_e32 v1, 0xffff
	s_mov_b32 s25, exec_lo
	v_and_b32_sdwa v1, v1, v0 dst_sel:DWORD dst_unused:UNUSED_PAD src0_sel:DWORD src1_sel:BYTE_1
	v_and_b32_e32 v2, 0x7f, v1
	s_waitcnt vmcnt(0)
	v_mov_b32_e32 v5, v4
	v_mov_b32_e32 v4, v77
	;; [unrolled: 1-line block ×3, first 2 shown]
	buffer_store_dword v2, off, s[0:3], s32 offset:200 ; 4-byte Folded Spill
	buffer_store_dword v3, off, s[0:3], s32 offset:204 ; 4-byte Folded Spill
	;; [unrolled: 1-line block ×4, first 2 shown]
	v_cmpx_ne_u32_e32 0x7f, v2
	s_cbranch_execz .LBB241_257
; %bb.254:                              ;   in Loop: Header=BB241_16 Depth=1
	v_and_b32_e32 v76, 7, v1
	v_lshrrev_b32_e32 v1, 3, v2
	s_mov_b32 s26, exec_lo
	v_cmpx_gt_u32_e32 8, v2
; %bb.255:                              ;   in Loop: Header=BB241_16 Depth=1
	v_ffbh_u32_e32 v1, v76
	v_min_u32_e32 v1, 32, v1
	v_subrev_nc_u32_e32 v2, 28, v1
	v_sub_nc_u32_e32 v1, 29, v1
	v_lshlrev_b64 v[2:3], v2, v[76:77]
	v_and_b32_e32 v76, 7, v2
; %bb.256:                              ;   in Loop: Header=BB241_16 Depth=1
	s_or_b32 exec_lo, exec_lo, s26
	v_lshlrev_b32_e32 v2, 16, v0
	v_lshlrev_b32_e32 v3, 20, v76
	v_lshl_add_u32 v1, v1, 23, 0x3c000000
	v_and_b32_e32 v2, 0x80000000, v2
	v_or3_b32 v2, v3, v2, v1
	v_mov_b32_e32 v1, v77
	buffer_store_dword v1, off, s[0:3], s32 offset:476 ; 4-byte Folded Spill
	buffer_store_dword v2, off, s[0:3], s32 offset:480 ; 4-byte Folded Spill
.LBB241_257:                            ;   in Loop: Header=BB241_16 Depth=1
	s_or_b32 exec_lo, exec_lo, s25
.LBB241_258:                            ;   in Loop: Header=BB241_16 Depth=1
	s_or_b32 exec_lo, exec_lo, s24
.LBB241_259:                            ;   in Loop: Header=BB241_16 Depth=1
	s_or_b32 exec_lo, exec_lo, s23
	v_mov_b32_e32 v2, 0
	v_mov_b32_e32 v3, 0
	;; [unrolled: 1-line block ×3, first 2 shown]
	s_mov_b32 s23, exec_lo
	buffer_store_dword v2, off, s[0:3], s32 offset:484 ; 4-byte Folded Spill
	buffer_store_dword v3, off, s[0:3], s32 offset:488 ; 4-byte Folded Spill
	v_mov_b32_e32 v2, 0
	v_and_b32_sdwa v1, v0, v1 dst_sel:DWORD dst_unused:UNUSED_PAD src0_sel:WORD_1 src1_sel:DWORD
	v_mov_b32_e32 v3, 0
	buffer_store_dword v2, off, s[0:3], s32 offset:492 ; 4-byte Folded Spill
	buffer_store_dword v3, off, s[0:3], s32 offset:496 ; 4-byte Folded Spill
	v_cmpx_ne_u16_e32 0, v1
	s_cbranch_execz .LBB241_267
; %bb.260:                              ;   in Loop: Header=BB241_16 Depth=1
	v_cmp_ne_u16_e64 s5, 0x80, v1
	v_bfrev_b32_e32 v1, 1
	v_mov_b32_e32 v2, 0
	buffer_store_dword v1, off, s[0:3], s32 offset:492 ; 4-byte Folded Spill
	buffer_store_dword v2, off, s[0:3], s32 offset:496 ; 4-byte Folded Spill
	s_and_saveexec_b32 s24, s5
	s_cbranch_execz .LBB241_266
; %bb.261:                              ;   in Loop: Header=BB241_16 Depth=1
	v_mov_b32_e32 v3, 0x7f800001
	v_bfe_u32 v2, v0, 16, 7
	v_mov_b32_e32 v4, 0
	s_mov_b32 s25, exec_lo
	buffer_store_dword v3, off, s[0:3], s32 offset:492 ; 4-byte Folded Spill
	buffer_store_dword v4, off, s[0:3], s32 offset:496 ; 4-byte Folded Spill
	v_cmpx_ne_u32_e32 0x7f, v2
	s_cbranch_execz .LBB241_265
; %bb.262:                              ;   in Loop: Header=BB241_16 Depth=1
	v_mov_b32_e32 v1, 7
	s_mov_b32 s26, exec_lo
	v_and_b32_sdwa v76, v0, v1 dst_sel:DWORD dst_unused:UNUSED_PAD src0_sel:WORD_1 src1_sel:DWORD
	v_lshrrev_b32_e32 v1, 3, v2
	v_cmpx_gt_u32_e32 8, v2
; %bb.263:                              ;   in Loop: Header=BB241_16 Depth=1
	v_ffbh_u32_e32 v1, v76
	v_min_u32_e32 v1, 32, v1
	v_subrev_nc_u32_e32 v2, 28, v1
	v_sub_nc_u32_e32 v1, 29, v1
	v_lshlrev_b64 v[2:3], v2, v[76:77]
	v_and_b32_e32 v76, 7, v2
; %bb.264:                              ;   in Loop: Header=BB241_16 Depth=1
	s_or_b32 exec_lo, exec_lo, s26
	v_mov_b32_e32 v2, 24
	v_lshlrev_b32_e32 v3, 20, v76
	v_lshl_add_u32 v1, v1, 23, 0x3c000000
	v_lshlrev_b32_sdwa v2, v2, v0 dst_sel:DWORD dst_unused:UNUSED_PAD src0_sel:DWORD src1_sel:WORD_1
	v_and_b32_e32 v2, 0x80000000, v2
	v_or3_b32 v76, v3, v2, v1
	buffer_store_dword v76, off, s[0:3], s32 offset:492 ; 4-byte Folded Spill
	buffer_store_dword v77, off, s[0:3], s32 offset:496 ; 4-byte Folded Spill
.LBB241_265:                            ;   in Loop: Header=BB241_16 Depth=1
	s_or_b32 exec_lo, exec_lo, s25
.LBB241_266:                            ;   in Loop: Header=BB241_16 Depth=1
	s_or_b32 exec_lo, exec_lo, s24
.LBB241_267:                            ;   in Loop: Header=BB241_16 Depth=1
	s_or_b32 exec_lo, exec_lo, s23
	s_mov_b32 s23, exec_lo
	v_cmpx_lt_u32_e32 0xffffff, v0
	s_cbranch_execz .LBB241_275
; %bb.268:                              ;   in Loop: Header=BB241_16 Depth=1
	v_mov_b32_e32 v1, 0x80
	v_mov_b32_e32 v70, v77
	buffer_store_dword v70, off, s[0:3], s32 offset:484 ; 4-byte Folded Spill
	buffer_store_dword v71, off, s[0:3], s32 offset:488 ; 4-byte Folded Spill
	v_cmp_ne_u32_sdwa s5, v0, v1 src0_sel:BYTE_3 src1_sel:DWORD
	s_and_saveexec_b32 s24, s5
	s_cbranch_execz .LBB241_274
; %bb.269:                              ;   in Loop: Header=BB241_16 Depth=1
	s_clause 0x1
	buffer_load_dword v3, off, s[0:3], s32 offset:200
	buffer_load_dword v4, off, s[0:3], s32 offset:204
	v_bfe_u32 v2, v0, 24, 7
	s_waitcnt vmcnt(1)
	v_mov_b32_e32 v3, v77
	s_mov_b32 s25, exec_lo
	s_waitcnt vmcnt(0)
	v_mov_b32_e32 v1, v4
	buffer_store_dword v0, off, s[0:3], s32 offset:200 ; 4-byte Folded Spill
	buffer_store_dword v1, off, s[0:3], s32 offset:204 ; 4-byte Folded Spill
	buffer_store_dword v3, off, s[0:3], s32 offset:484 ; 4-byte Folded Spill
	buffer_store_dword v4, off, s[0:3], s32 offset:488 ; 4-byte Folded Spill
	v_cmpx_ne_u32_e32 0x7f, v2
	s_cbranch_execz .LBB241_273
; %bb.270:                              ;   in Loop: Header=BB241_16 Depth=1
	v_mov_b32_e32 v1, 7
	s_mov_b32 s26, exec_lo
	v_and_b32_sdwa v76, v0, v1 dst_sel:DWORD dst_unused:UNUSED_PAD src0_sel:BYTE_3 src1_sel:DWORD
	v_lshrrev_b32_e32 v1, 3, v2
	v_cmpx_gt_u32_e32 8, v2
; %bb.271:                              ;   in Loop: Header=BB241_16 Depth=1
	v_ffbh_u32_e32 v1, v76
	v_min_u32_e32 v1, 32, v1
	v_subrev_nc_u32_e32 v2, 28, v1
	v_sub_nc_u32_e32 v1, 29, v1
	v_lshlrev_b64 v[2:3], v2, v[76:77]
	v_and_b32_e32 v76, 7, v2
; %bb.272:                              ;   in Loop: Header=BB241_16 Depth=1
	s_or_b32 exec_lo, exec_lo, s26
	v_mov_b32_e32 v2, 24
	v_lshl_add_u32 v1, v1, 23, 0x3c000000
	v_lshlrev_b32_sdwa v0, v2, v0 dst_sel:DWORD dst_unused:UNUSED_PAD src0_sel:DWORD src1_sel:BYTE_3
	v_lshlrev_b32_e32 v2, 20, v76
	v_and_b32_e32 v0, 0x80000000, v0
	v_or3_b32 v1, v2, v0, v1
	v_mov_b32_e32 v0, v77
	buffer_store_dword v0, off, s[0:3], s32 offset:484 ; 4-byte Folded Spill
	buffer_store_dword v1, off, s[0:3], s32 offset:488 ; 4-byte Folded Spill
.LBB241_273:                            ;   in Loop: Header=BB241_16 Depth=1
	s_or_b32 exec_lo, exec_lo, s25
.LBB241_274:                            ;   in Loop: Header=BB241_16 Depth=1
	s_or_b32 exec_lo, exec_lo, s24
.LBB241_275:                            ;   in Loop: Header=BB241_16 Depth=1
	s_or_b32 exec_lo, exec_lo, s23
	flat_load_dword v0, v[8:9] offset:1024
	v_mov_b32_e32 v1, 0
	v_mov_b32_e32 v2, 0
	buffer_store_dword v1, off, s[0:3], s32 offset:508 ; 4-byte Folded Spill
	buffer_store_dword v2, off, s[0:3], s32 offset:512 ; 4-byte Folded Spill
	v_mov_b32_e32 v1, 0
	v_mov_b32_e32 v2, 0
	buffer_store_dword v1, off, s[0:3], s32 offset:500 ; 4-byte Folded Spill
	buffer_store_dword v2, off, s[0:3], s32 offset:504 ; 4-byte Folded Spill
	s_waitcnt vmcnt(0) lgkmcnt(0)
	v_cmp_ne_u16_sdwa s5, v0, v77 src0_sel:BYTE_0 src1_sel:DWORD
	s_and_saveexec_b32 s23, s5
	s_cbranch_execz .LBB241_283
; %bb.276:                              ;   in Loop: Header=BB241_16 Depth=1
	v_bfrev_b32_e32 v1, 1
	v_mov_b32_e32 v2, 0
	buffer_store_dword v1, off, s[0:3], s32 offset:500 ; 4-byte Folded Spill
	buffer_store_dword v2, off, s[0:3], s32 offset:504 ; 4-byte Folded Spill
	v_mov_b32_e32 v1, 0x80
	v_cmp_ne_u16_sdwa s5, v0, v1 src0_sel:BYTE_0 src1_sel:DWORD
	s_and_saveexec_b32 s24, s5
	s_cbranch_execz .LBB241_282
; %bb.277:                              ;   in Loop: Header=BB241_16 Depth=1
	v_mov_b32_e32 v3, 0x7f800001
	v_and_b32_e32 v2, 0x7f, v0
	v_mov_b32_e32 v4, 0
	s_mov_b32 s25, exec_lo
	buffer_store_dword v3, off, s[0:3], s32 offset:500 ; 4-byte Folded Spill
	buffer_store_dword v4, off, s[0:3], s32 offset:504 ; 4-byte Folded Spill
	v_cmpx_ne_u32_e32 0x7f, v2
	s_cbranch_execz .LBB241_281
; %bb.278:                              ;   in Loop: Header=BB241_16 Depth=1
	v_and_b32_e32 v76, 7, v0
	v_lshrrev_b32_e32 v1, 3, v2
	s_mov_b32 s26, exec_lo
	v_cmpx_gt_u32_e32 8, v2
; %bb.279:                              ;   in Loop: Header=BB241_16 Depth=1
	v_ffbh_u32_e32 v1, v76
	v_min_u32_e32 v1, 32, v1
	v_subrev_nc_u32_e32 v2, 28, v1
	v_sub_nc_u32_e32 v1, 29, v1
	v_lshlrev_b64 v[2:3], v2, v[76:77]
	v_and_b32_e32 v76, 7, v2
; %bb.280:                              ;   in Loop: Header=BB241_16 Depth=1
	s_or_b32 exec_lo, exec_lo, s26
	v_lshlrev_b32_e32 v2, 24, v0
	v_lshlrev_b32_e32 v3, 20, v76
	v_lshl_add_u32 v1, v1, 23, 0x3c000000
	v_and_b32_e32 v2, 0x80000000, v2
	v_or3_b32 v76, v3, v2, v1
	buffer_store_dword v76, off, s[0:3], s32 offset:500 ; 4-byte Folded Spill
	buffer_store_dword v77, off, s[0:3], s32 offset:504 ; 4-byte Folded Spill
.LBB241_281:                            ;   in Loop: Header=BB241_16 Depth=1
	s_or_b32 exec_lo, exec_lo, s25
.LBB241_282:                            ;   in Loop: Header=BB241_16 Depth=1
	s_or_b32 exec_lo, exec_lo, s24
.LBB241_283:                            ;   in Loop: Header=BB241_16 Depth=1
	s_or_b32 exec_lo, exec_lo, s23
	v_cmp_ne_u16_sdwa s5, v0, v77 src0_sel:BYTE_1 src1_sel:DWORD
	s_and_saveexec_b32 s23, s5
	s_cbranch_execz .LBB241_291
; %bb.284:                              ;   in Loop: Header=BB241_16 Depth=1
	v_mov_b32_e32 v1, 0x80
	v_mov_b32_e32 v70, v77
	buffer_store_dword v70, off, s[0:3], s32 offset:508 ; 4-byte Folded Spill
	buffer_store_dword v71, off, s[0:3], s32 offset:512 ; 4-byte Folded Spill
	v_cmp_ne_u16_sdwa s5, v0, v1 src0_sel:BYTE_1 src1_sel:DWORD
	s_and_saveexec_b32 s24, s5
	s_cbranch_execz .LBB241_290
; %bb.285:                              ;   in Loop: Header=BB241_16 Depth=1
	s_clause 0x1
	buffer_load_dword v3, off, s[0:3], s32 offset:200
	buffer_load_dword v4, off, s[0:3], s32 offset:204
	v_mov_b32_e32 v1, 0xffff
	s_mov_b32 s25, exec_lo
	v_and_b32_sdwa v1, v1, v0 dst_sel:DWORD dst_unused:UNUSED_PAD src0_sel:DWORD src1_sel:BYTE_1
	v_and_b32_e32 v2, 0x7f, v1
	s_waitcnt vmcnt(0)
	v_mov_b32_e32 v5, v4
	v_mov_b32_e32 v4, v77
	;; [unrolled: 1-line block ×3, first 2 shown]
	buffer_store_dword v2, off, s[0:3], s32 offset:200 ; 4-byte Folded Spill
	buffer_store_dword v3, off, s[0:3], s32 offset:204 ; 4-byte Folded Spill
	;; [unrolled: 1-line block ×4, first 2 shown]
	v_cmpx_ne_u32_e32 0x7f, v2
	s_cbranch_execz .LBB241_289
; %bb.286:                              ;   in Loop: Header=BB241_16 Depth=1
	v_and_b32_e32 v76, 7, v1
	v_lshrrev_b32_e32 v1, 3, v2
	s_mov_b32 s26, exec_lo
	v_cmpx_gt_u32_e32 8, v2
; %bb.287:                              ;   in Loop: Header=BB241_16 Depth=1
	v_ffbh_u32_e32 v1, v76
	v_min_u32_e32 v1, 32, v1
	v_subrev_nc_u32_e32 v2, 28, v1
	v_sub_nc_u32_e32 v1, 29, v1
	v_lshlrev_b64 v[2:3], v2, v[76:77]
	v_and_b32_e32 v76, 7, v2
; %bb.288:                              ;   in Loop: Header=BB241_16 Depth=1
	s_or_b32 exec_lo, exec_lo, s26
	v_lshlrev_b32_e32 v2, 16, v0
	v_lshlrev_b32_e32 v3, 20, v76
	v_lshl_add_u32 v1, v1, 23, 0x3c000000
	v_and_b32_e32 v2, 0x80000000, v2
	v_or3_b32 v2, v3, v2, v1
	v_mov_b32_e32 v1, v77
	buffer_store_dword v1, off, s[0:3], s32 offset:508 ; 4-byte Folded Spill
	buffer_store_dword v2, off, s[0:3], s32 offset:512 ; 4-byte Folded Spill
.LBB241_289:                            ;   in Loop: Header=BB241_16 Depth=1
	s_or_b32 exec_lo, exec_lo, s25
.LBB241_290:                            ;   in Loop: Header=BB241_16 Depth=1
	s_or_b32 exec_lo, exec_lo, s24
.LBB241_291:                            ;   in Loop: Header=BB241_16 Depth=1
	s_or_b32 exec_lo, exec_lo, s23
	v_mov_b32_e32 v2, 0
	v_mov_b32_e32 v3, 0
	;; [unrolled: 1-line block ×3, first 2 shown]
	s_mov_b32 s23, exec_lo
	buffer_store_dword v2, off, s[0:3], s32 offset:516 ; 4-byte Folded Spill
	buffer_store_dword v3, off, s[0:3], s32 offset:520 ; 4-byte Folded Spill
	v_mov_b32_e32 v2, 0
	v_and_b32_sdwa v1, v0, v1 dst_sel:DWORD dst_unused:UNUSED_PAD src0_sel:WORD_1 src1_sel:DWORD
	v_mov_b32_e32 v3, 0
	buffer_store_dword v2, off, s[0:3], s32 offset:524 ; 4-byte Folded Spill
	buffer_store_dword v3, off, s[0:3], s32 offset:528 ; 4-byte Folded Spill
	v_cmpx_ne_u16_e32 0, v1
	s_cbranch_execz .LBB241_299
; %bb.292:                              ;   in Loop: Header=BB241_16 Depth=1
	v_cmp_ne_u16_e64 s5, 0x80, v1
	v_bfrev_b32_e32 v1, 1
	v_mov_b32_e32 v2, 0
	buffer_store_dword v1, off, s[0:3], s32 offset:524 ; 4-byte Folded Spill
	buffer_store_dword v2, off, s[0:3], s32 offset:528 ; 4-byte Folded Spill
	s_and_saveexec_b32 s24, s5
	s_cbranch_execz .LBB241_298
; %bb.293:                              ;   in Loop: Header=BB241_16 Depth=1
	v_mov_b32_e32 v3, 0x7f800001
	v_bfe_u32 v2, v0, 16, 7
	v_mov_b32_e32 v4, 0
	s_mov_b32 s25, exec_lo
	buffer_store_dword v3, off, s[0:3], s32 offset:524 ; 4-byte Folded Spill
	buffer_store_dword v4, off, s[0:3], s32 offset:528 ; 4-byte Folded Spill
	v_cmpx_ne_u32_e32 0x7f, v2
	s_cbranch_execz .LBB241_297
; %bb.294:                              ;   in Loop: Header=BB241_16 Depth=1
	v_mov_b32_e32 v1, 7
	s_mov_b32 s26, exec_lo
	v_and_b32_sdwa v76, v0, v1 dst_sel:DWORD dst_unused:UNUSED_PAD src0_sel:WORD_1 src1_sel:DWORD
	v_lshrrev_b32_e32 v1, 3, v2
	v_cmpx_gt_u32_e32 8, v2
; %bb.295:                              ;   in Loop: Header=BB241_16 Depth=1
	v_ffbh_u32_e32 v1, v76
	v_min_u32_e32 v1, 32, v1
	v_subrev_nc_u32_e32 v2, 28, v1
	v_sub_nc_u32_e32 v1, 29, v1
	v_lshlrev_b64 v[2:3], v2, v[76:77]
	v_and_b32_e32 v76, 7, v2
; %bb.296:                              ;   in Loop: Header=BB241_16 Depth=1
	s_or_b32 exec_lo, exec_lo, s26
	v_mov_b32_e32 v2, 24
	v_lshlrev_b32_e32 v3, 20, v76
	v_lshl_add_u32 v1, v1, 23, 0x3c000000
	v_lshlrev_b32_sdwa v2, v2, v0 dst_sel:DWORD dst_unused:UNUSED_PAD src0_sel:DWORD src1_sel:WORD_1
	v_and_b32_e32 v2, 0x80000000, v2
	v_or3_b32 v76, v3, v2, v1
	buffer_store_dword v76, off, s[0:3], s32 offset:524 ; 4-byte Folded Spill
	buffer_store_dword v77, off, s[0:3], s32 offset:528 ; 4-byte Folded Spill
.LBB241_297:                            ;   in Loop: Header=BB241_16 Depth=1
	s_or_b32 exec_lo, exec_lo, s25
.LBB241_298:                            ;   in Loop: Header=BB241_16 Depth=1
	s_or_b32 exec_lo, exec_lo, s24
.LBB241_299:                            ;   in Loop: Header=BB241_16 Depth=1
	s_or_b32 exec_lo, exec_lo, s23
	s_mov_b32 s23, exec_lo
	v_cmpx_lt_u32_e32 0xffffff, v0
	s_cbranch_execz .LBB241_307
; %bb.300:                              ;   in Loop: Header=BB241_16 Depth=1
	v_mov_b32_e32 v1, 0x80
	v_mov_b32_e32 v70, v77
	buffer_store_dword v70, off, s[0:3], s32 offset:516 ; 4-byte Folded Spill
	buffer_store_dword v71, off, s[0:3], s32 offset:520 ; 4-byte Folded Spill
	v_cmp_ne_u32_sdwa s5, v0, v1 src0_sel:BYTE_3 src1_sel:DWORD
	s_and_saveexec_b32 s24, s5
	s_cbranch_execz .LBB241_306
; %bb.301:                              ;   in Loop: Header=BB241_16 Depth=1
	s_clause 0x1
	buffer_load_dword v3, off, s[0:3], s32 offset:200
	buffer_load_dword v4, off, s[0:3], s32 offset:204
	v_bfe_u32 v2, v0, 24, 7
	s_waitcnt vmcnt(1)
	v_mov_b32_e32 v3, v77
	s_mov_b32 s25, exec_lo
	s_waitcnt vmcnt(0)
	v_mov_b32_e32 v1, v4
	buffer_store_dword v0, off, s[0:3], s32 offset:200 ; 4-byte Folded Spill
	buffer_store_dword v1, off, s[0:3], s32 offset:204 ; 4-byte Folded Spill
	;; [unrolled: 1-line block ×4, first 2 shown]
	v_cmpx_ne_u32_e32 0x7f, v2
	s_cbranch_execz .LBB241_305
; %bb.302:                              ;   in Loop: Header=BB241_16 Depth=1
	v_mov_b32_e32 v1, 7
	s_mov_b32 s26, exec_lo
	v_and_b32_sdwa v76, v0, v1 dst_sel:DWORD dst_unused:UNUSED_PAD src0_sel:BYTE_3 src1_sel:DWORD
	v_lshrrev_b32_e32 v1, 3, v2
	v_cmpx_gt_u32_e32 8, v2
; %bb.303:                              ;   in Loop: Header=BB241_16 Depth=1
	v_ffbh_u32_e32 v1, v76
	v_min_u32_e32 v1, 32, v1
	v_subrev_nc_u32_e32 v2, 28, v1
	v_sub_nc_u32_e32 v1, 29, v1
	v_lshlrev_b64 v[2:3], v2, v[76:77]
	v_and_b32_e32 v76, 7, v2
; %bb.304:                              ;   in Loop: Header=BB241_16 Depth=1
	s_or_b32 exec_lo, exec_lo, s26
	v_mov_b32_e32 v2, 24
	v_lshl_add_u32 v1, v1, 23, 0x3c000000
	v_lshlrev_b32_sdwa v0, v2, v0 dst_sel:DWORD dst_unused:UNUSED_PAD src0_sel:DWORD src1_sel:BYTE_3
	v_lshlrev_b32_e32 v2, 20, v76
	v_and_b32_e32 v0, 0x80000000, v0
	v_or3_b32 v1, v2, v0, v1
	v_mov_b32_e32 v0, v77
	buffer_store_dword v0, off, s[0:3], s32 offset:516 ; 4-byte Folded Spill
	buffer_store_dword v1, off, s[0:3], s32 offset:520 ; 4-byte Folded Spill
.LBB241_305:                            ;   in Loop: Header=BB241_16 Depth=1
	s_or_b32 exec_lo, exec_lo, s25
.LBB241_306:                            ;   in Loop: Header=BB241_16 Depth=1
	s_or_b32 exec_lo, exec_lo, s24
.LBB241_307:                            ;   in Loop: Header=BB241_16 Depth=1
	s_or_b32 exec_lo, exec_lo, s23
	flat_load_dword v0, v[8:9] offset:1028
	v_mov_b32_e32 v1, 0
	v_mov_b32_e32 v2, 0
	buffer_store_dword v1, off, s[0:3], s32 offset:540 ; 4-byte Folded Spill
	buffer_store_dword v2, off, s[0:3], s32 offset:544 ; 4-byte Folded Spill
	v_mov_b32_e32 v1, 0
	v_mov_b32_e32 v2, 0
	buffer_store_dword v1, off, s[0:3], s32 offset:532 ; 4-byte Folded Spill
	buffer_store_dword v2, off, s[0:3], s32 offset:536 ; 4-byte Folded Spill
	s_waitcnt vmcnt(0) lgkmcnt(0)
	v_cmp_ne_u16_sdwa s5, v0, v77 src0_sel:BYTE_0 src1_sel:DWORD
	s_and_saveexec_b32 s23, s5
	s_cbranch_execz .LBB241_315
; %bb.308:                              ;   in Loop: Header=BB241_16 Depth=1
	v_bfrev_b32_e32 v1, 1
	v_mov_b32_e32 v2, 0
	buffer_store_dword v1, off, s[0:3], s32 offset:532 ; 4-byte Folded Spill
	buffer_store_dword v2, off, s[0:3], s32 offset:536 ; 4-byte Folded Spill
	v_mov_b32_e32 v1, 0x80
	v_cmp_ne_u16_sdwa s5, v0, v1 src0_sel:BYTE_0 src1_sel:DWORD
	s_and_saveexec_b32 s24, s5
	s_cbranch_execz .LBB241_314
; %bb.309:                              ;   in Loop: Header=BB241_16 Depth=1
	v_mov_b32_e32 v3, 0x7f800001
	v_and_b32_e32 v2, 0x7f, v0
	v_mov_b32_e32 v4, 0
	s_mov_b32 s25, exec_lo
	buffer_store_dword v3, off, s[0:3], s32 offset:532 ; 4-byte Folded Spill
	buffer_store_dword v4, off, s[0:3], s32 offset:536 ; 4-byte Folded Spill
	v_cmpx_ne_u32_e32 0x7f, v2
	s_cbranch_execz .LBB241_313
; %bb.310:                              ;   in Loop: Header=BB241_16 Depth=1
	v_and_b32_e32 v76, 7, v0
	v_lshrrev_b32_e32 v1, 3, v2
	s_mov_b32 s26, exec_lo
	v_cmpx_gt_u32_e32 8, v2
; %bb.311:                              ;   in Loop: Header=BB241_16 Depth=1
	v_ffbh_u32_e32 v1, v76
	v_min_u32_e32 v1, 32, v1
	v_subrev_nc_u32_e32 v2, 28, v1
	v_sub_nc_u32_e32 v1, 29, v1
	v_lshlrev_b64 v[2:3], v2, v[76:77]
	v_and_b32_e32 v76, 7, v2
; %bb.312:                              ;   in Loop: Header=BB241_16 Depth=1
	s_or_b32 exec_lo, exec_lo, s26
	v_lshlrev_b32_e32 v2, 24, v0
	v_lshlrev_b32_e32 v3, 20, v76
	v_lshl_add_u32 v1, v1, 23, 0x3c000000
	v_and_b32_e32 v2, 0x80000000, v2
	v_or3_b32 v76, v3, v2, v1
	buffer_store_dword v76, off, s[0:3], s32 offset:532 ; 4-byte Folded Spill
	buffer_store_dword v77, off, s[0:3], s32 offset:536 ; 4-byte Folded Spill
.LBB241_313:                            ;   in Loop: Header=BB241_16 Depth=1
	s_or_b32 exec_lo, exec_lo, s25
.LBB241_314:                            ;   in Loop: Header=BB241_16 Depth=1
	s_or_b32 exec_lo, exec_lo, s24
.LBB241_315:                            ;   in Loop: Header=BB241_16 Depth=1
	s_or_b32 exec_lo, exec_lo, s23
	v_cmp_ne_u16_sdwa s5, v0, v77 src0_sel:BYTE_1 src1_sel:DWORD
	s_and_saveexec_b32 s23, s5
	s_cbranch_execz .LBB241_323
; %bb.316:                              ;   in Loop: Header=BB241_16 Depth=1
	v_mov_b32_e32 v1, 0x80
	v_mov_b32_e32 v70, v77
	buffer_store_dword v70, off, s[0:3], s32 offset:540 ; 4-byte Folded Spill
	buffer_store_dword v71, off, s[0:3], s32 offset:544 ; 4-byte Folded Spill
	v_cmp_ne_u16_sdwa s5, v0, v1 src0_sel:BYTE_1 src1_sel:DWORD
	s_and_saveexec_b32 s24, s5
	s_cbranch_execz .LBB241_322
; %bb.317:                              ;   in Loop: Header=BB241_16 Depth=1
	s_clause 0x1
	buffer_load_dword v3, off, s[0:3], s32 offset:200
	buffer_load_dword v4, off, s[0:3], s32 offset:204
	v_mov_b32_e32 v1, 0xffff
	s_mov_b32 s25, exec_lo
	v_and_b32_sdwa v1, v1, v0 dst_sel:DWORD dst_unused:UNUSED_PAD src0_sel:DWORD src1_sel:BYTE_1
	v_and_b32_e32 v2, 0x7f, v1
	s_waitcnt vmcnt(0)
	v_mov_b32_e32 v5, v4
	v_mov_b32_e32 v4, v77
	;; [unrolled: 1-line block ×3, first 2 shown]
	buffer_store_dword v2, off, s[0:3], s32 offset:200 ; 4-byte Folded Spill
	buffer_store_dword v3, off, s[0:3], s32 offset:204 ; 4-byte Folded Spill
	;; [unrolled: 1-line block ×4, first 2 shown]
	v_cmpx_ne_u32_e32 0x7f, v2
	s_cbranch_execz .LBB241_321
; %bb.318:                              ;   in Loop: Header=BB241_16 Depth=1
	v_and_b32_e32 v76, 7, v1
	v_lshrrev_b32_e32 v1, 3, v2
	s_mov_b32 s26, exec_lo
	v_cmpx_gt_u32_e32 8, v2
; %bb.319:                              ;   in Loop: Header=BB241_16 Depth=1
	v_ffbh_u32_e32 v1, v76
	v_min_u32_e32 v1, 32, v1
	v_subrev_nc_u32_e32 v2, 28, v1
	v_sub_nc_u32_e32 v1, 29, v1
	v_lshlrev_b64 v[2:3], v2, v[76:77]
	v_and_b32_e32 v76, 7, v2
; %bb.320:                              ;   in Loop: Header=BB241_16 Depth=1
	s_or_b32 exec_lo, exec_lo, s26
	v_lshlrev_b32_e32 v2, 16, v0
	v_lshlrev_b32_e32 v3, 20, v76
	v_lshl_add_u32 v1, v1, 23, 0x3c000000
	v_and_b32_e32 v2, 0x80000000, v2
	v_or3_b32 v2, v3, v2, v1
	v_mov_b32_e32 v1, v77
	buffer_store_dword v1, off, s[0:3], s32 offset:540 ; 4-byte Folded Spill
	buffer_store_dword v2, off, s[0:3], s32 offset:544 ; 4-byte Folded Spill
.LBB241_321:                            ;   in Loop: Header=BB241_16 Depth=1
	s_or_b32 exec_lo, exec_lo, s25
.LBB241_322:                            ;   in Loop: Header=BB241_16 Depth=1
	s_or_b32 exec_lo, exec_lo, s24
.LBB241_323:                            ;   in Loop: Header=BB241_16 Depth=1
	s_or_b32 exec_lo, exec_lo, s23
	v_mov_b32_e32 v2, 0
	v_mov_b32_e32 v3, 0
	;; [unrolled: 1-line block ×3, first 2 shown]
	s_mov_b32 s23, exec_lo
	buffer_store_dword v2, off, s[0:3], s32 offset:548 ; 4-byte Folded Spill
	buffer_store_dword v3, off, s[0:3], s32 offset:552 ; 4-byte Folded Spill
	v_mov_b32_e32 v2, 0
	v_and_b32_sdwa v1, v0, v1 dst_sel:DWORD dst_unused:UNUSED_PAD src0_sel:WORD_1 src1_sel:DWORD
	v_mov_b32_e32 v3, 0
	buffer_store_dword v2, off, s[0:3], s32 offset:556 ; 4-byte Folded Spill
	buffer_store_dword v3, off, s[0:3], s32 offset:560 ; 4-byte Folded Spill
	v_cmpx_ne_u16_e32 0, v1
	s_cbranch_execz .LBB241_331
; %bb.324:                              ;   in Loop: Header=BB241_16 Depth=1
	v_cmp_ne_u16_e64 s5, 0x80, v1
	v_bfrev_b32_e32 v1, 1
	v_mov_b32_e32 v2, 0
	buffer_store_dword v1, off, s[0:3], s32 offset:556 ; 4-byte Folded Spill
	buffer_store_dword v2, off, s[0:3], s32 offset:560 ; 4-byte Folded Spill
	s_and_saveexec_b32 s24, s5
	s_cbranch_execz .LBB241_330
; %bb.325:                              ;   in Loop: Header=BB241_16 Depth=1
	v_mov_b32_e32 v3, 0x7f800001
	v_bfe_u32 v2, v0, 16, 7
	v_mov_b32_e32 v4, 0
	s_mov_b32 s25, exec_lo
	buffer_store_dword v3, off, s[0:3], s32 offset:556 ; 4-byte Folded Spill
	buffer_store_dword v4, off, s[0:3], s32 offset:560 ; 4-byte Folded Spill
	v_cmpx_ne_u32_e32 0x7f, v2
	s_cbranch_execz .LBB241_329
; %bb.326:                              ;   in Loop: Header=BB241_16 Depth=1
	v_mov_b32_e32 v1, 7
	s_mov_b32 s26, exec_lo
	v_and_b32_sdwa v76, v0, v1 dst_sel:DWORD dst_unused:UNUSED_PAD src0_sel:WORD_1 src1_sel:DWORD
	v_lshrrev_b32_e32 v1, 3, v2
	v_cmpx_gt_u32_e32 8, v2
; %bb.327:                              ;   in Loop: Header=BB241_16 Depth=1
	v_ffbh_u32_e32 v1, v76
	v_min_u32_e32 v1, 32, v1
	v_subrev_nc_u32_e32 v2, 28, v1
	v_sub_nc_u32_e32 v1, 29, v1
	v_lshlrev_b64 v[2:3], v2, v[76:77]
	v_and_b32_e32 v76, 7, v2
; %bb.328:                              ;   in Loop: Header=BB241_16 Depth=1
	s_or_b32 exec_lo, exec_lo, s26
	v_mov_b32_e32 v2, 24
	v_lshlrev_b32_e32 v3, 20, v76
	v_lshl_add_u32 v1, v1, 23, 0x3c000000
	v_lshlrev_b32_sdwa v2, v2, v0 dst_sel:DWORD dst_unused:UNUSED_PAD src0_sel:DWORD src1_sel:WORD_1
	v_and_b32_e32 v2, 0x80000000, v2
	v_or3_b32 v76, v3, v2, v1
	buffer_store_dword v76, off, s[0:3], s32 offset:556 ; 4-byte Folded Spill
	buffer_store_dword v77, off, s[0:3], s32 offset:560 ; 4-byte Folded Spill
.LBB241_329:                            ;   in Loop: Header=BB241_16 Depth=1
	s_or_b32 exec_lo, exec_lo, s25
.LBB241_330:                            ;   in Loop: Header=BB241_16 Depth=1
	s_or_b32 exec_lo, exec_lo, s24
.LBB241_331:                            ;   in Loop: Header=BB241_16 Depth=1
	s_or_b32 exec_lo, exec_lo, s23
	s_mov_b32 s23, exec_lo
	v_cmpx_lt_u32_e32 0xffffff, v0
	s_cbranch_execz .LBB241_339
; %bb.332:                              ;   in Loop: Header=BB241_16 Depth=1
	v_mov_b32_e32 v1, 0x80
	v_mov_b32_e32 v70, v77
	buffer_store_dword v70, off, s[0:3], s32 offset:548 ; 4-byte Folded Spill
	buffer_store_dword v71, off, s[0:3], s32 offset:552 ; 4-byte Folded Spill
	v_cmp_ne_u32_sdwa s5, v0, v1 src0_sel:BYTE_3 src1_sel:DWORD
	s_and_saveexec_b32 s24, s5
	s_cbranch_execz .LBB241_338
; %bb.333:                              ;   in Loop: Header=BB241_16 Depth=1
	s_clause 0x1
	buffer_load_dword v3, off, s[0:3], s32 offset:200
	buffer_load_dword v4, off, s[0:3], s32 offset:204
	v_bfe_u32 v2, v0, 24, 7
	s_waitcnt vmcnt(1)
	v_mov_b32_e32 v3, v77
	s_mov_b32 s25, exec_lo
	s_waitcnt vmcnt(0)
	v_mov_b32_e32 v1, v4
	buffer_store_dword v0, off, s[0:3], s32 offset:200 ; 4-byte Folded Spill
	buffer_store_dword v1, off, s[0:3], s32 offset:204 ; 4-byte Folded Spill
	;; [unrolled: 1-line block ×4, first 2 shown]
	v_cmpx_ne_u32_e32 0x7f, v2
	s_cbranch_execz .LBB241_337
; %bb.334:                              ;   in Loop: Header=BB241_16 Depth=1
	v_mov_b32_e32 v1, 7
	s_mov_b32 s26, exec_lo
	v_and_b32_sdwa v76, v0, v1 dst_sel:DWORD dst_unused:UNUSED_PAD src0_sel:BYTE_3 src1_sel:DWORD
	v_lshrrev_b32_e32 v1, 3, v2
	v_cmpx_gt_u32_e32 8, v2
; %bb.335:                              ;   in Loop: Header=BB241_16 Depth=1
	v_ffbh_u32_e32 v1, v76
	v_min_u32_e32 v1, 32, v1
	v_subrev_nc_u32_e32 v2, 28, v1
	v_sub_nc_u32_e32 v1, 29, v1
	v_lshlrev_b64 v[2:3], v2, v[76:77]
	v_and_b32_e32 v76, 7, v2
; %bb.336:                              ;   in Loop: Header=BB241_16 Depth=1
	s_or_b32 exec_lo, exec_lo, s26
	v_mov_b32_e32 v2, 24
	v_lshl_add_u32 v1, v1, 23, 0x3c000000
	v_lshlrev_b32_sdwa v0, v2, v0 dst_sel:DWORD dst_unused:UNUSED_PAD src0_sel:DWORD src1_sel:BYTE_3
	v_lshlrev_b32_e32 v2, 20, v76
	v_and_b32_e32 v0, 0x80000000, v0
	v_or3_b32 v1, v2, v0, v1
	v_mov_b32_e32 v0, v77
	buffer_store_dword v0, off, s[0:3], s32 offset:548 ; 4-byte Folded Spill
	buffer_store_dword v1, off, s[0:3], s32 offset:552 ; 4-byte Folded Spill
.LBB241_337:                            ;   in Loop: Header=BB241_16 Depth=1
	s_or_b32 exec_lo, exec_lo, s25
.LBB241_338:                            ;   in Loop: Header=BB241_16 Depth=1
	s_or_b32 exec_lo, exec_lo, s24
.LBB241_339:                            ;   in Loop: Header=BB241_16 Depth=1
	s_or_b32 exec_lo, exec_lo, s23
	flat_load_dword v0, v[8:9] offset:1032
	v_mov_b32_e32 v1, 0
	v_mov_b32_e32 v2, 0
	buffer_store_dword v1, off, s[0:3], s32 offset:572 ; 4-byte Folded Spill
	buffer_store_dword v2, off, s[0:3], s32 offset:576 ; 4-byte Folded Spill
	v_mov_b32_e32 v1, 0
	v_mov_b32_e32 v2, 0
	buffer_store_dword v1, off, s[0:3], s32 offset:564 ; 4-byte Folded Spill
	buffer_store_dword v2, off, s[0:3], s32 offset:568 ; 4-byte Folded Spill
	s_waitcnt vmcnt(0) lgkmcnt(0)
	v_cmp_ne_u16_sdwa s5, v0, v77 src0_sel:BYTE_0 src1_sel:DWORD
	s_and_saveexec_b32 s23, s5
	s_cbranch_execz .LBB241_347
; %bb.340:                              ;   in Loop: Header=BB241_16 Depth=1
	v_bfrev_b32_e32 v1, 1
	v_mov_b32_e32 v2, 0
	buffer_store_dword v1, off, s[0:3], s32 offset:564 ; 4-byte Folded Spill
	buffer_store_dword v2, off, s[0:3], s32 offset:568 ; 4-byte Folded Spill
	v_mov_b32_e32 v1, 0x80
	v_cmp_ne_u16_sdwa s5, v0, v1 src0_sel:BYTE_0 src1_sel:DWORD
	s_and_saveexec_b32 s24, s5
	s_cbranch_execz .LBB241_346
; %bb.341:                              ;   in Loop: Header=BB241_16 Depth=1
	v_mov_b32_e32 v3, 0x7f800001
	v_and_b32_e32 v2, 0x7f, v0
	v_mov_b32_e32 v4, 0
	s_mov_b32 s25, exec_lo
	buffer_store_dword v3, off, s[0:3], s32 offset:564 ; 4-byte Folded Spill
	buffer_store_dword v4, off, s[0:3], s32 offset:568 ; 4-byte Folded Spill
	v_cmpx_ne_u32_e32 0x7f, v2
	s_cbranch_execz .LBB241_345
; %bb.342:                              ;   in Loop: Header=BB241_16 Depth=1
	v_and_b32_e32 v76, 7, v0
	v_lshrrev_b32_e32 v1, 3, v2
	s_mov_b32 s26, exec_lo
	v_cmpx_gt_u32_e32 8, v2
; %bb.343:                              ;   in Loop: Header=BB241_16 Depth=1
	v_ffbh_u32_e32 v1, v76
	v_min_u32_e32 v1, 32, v1
	v_subrev_nc_u32_e32 v2, 28, v1
	v_sub_nc_u32_e32 v1, 29, v1
	v_lshlrev_b64 v[2:3], v2, v[76:77]
	v_and_b32_e32 v76, 7, v2
; %bb.344:                              ;   in Loop: Header=BB241_16 Depth=1
	s_or_b32 exec_lo, exec_lo, s26
	v_lshlrev_b32_e32 v2, 24, v0
	v_lshlrev_b32_e32 v3, 20, v76
	v_lshl_add_u32 v1, v1, 23, 0x3c000000
	v_and_b32_e32 v2, 0x80000000, v2
	v_or3_b32 v76, v3, v2, v1
	buffer_store_dword v76, off, s[0:3], s32 offset:564 ; 4-byte Folded Spill
	buffer_store_dword v77, off, s[0:3], s32 offset:568 ; 4-byte Folded Spill
.LBB241_345:                            ;   in Loop: Header=BB241_16 Depth=1
	s_or_b32 exec_lo, exec_lo, s25
.LBB241_346:                            ;   in Loop: Header=BB241_16 Depth=1
	s_or_b32 exec_lo, exec_lo, s24
.LBB241_347:                            ;   in Loop: Header=BB241_16 Depth=1
	s_or_b32 exec_lo, exec_lo, s23
	v_cmp_ne_u16_sdwa s5, v0, v77 src0_sel:BYTE_1 src1_sel:DWORD
	s_and_saveexec_b32 s23, s5
	s_cbranch_execz .LBB241_355
; %bb.348:                              ;   in Loop: Header=BB241_16 Depth=1
	v_mov_b32_e32 v1, 0x80
	v_mov_b32_e32 v70, v77
	buffer_store_dword v70, off, s[0:3], s32 offset:572 ; 4-byte Folded Spill
	buffer_store_dword v71, off, s[0:3], s32 offset:576 ; 4-byte Folded Spill
	v_cmp_ne_u16_sdwa s5, v0, v1 src0_sel:BYTE_1 src1_sel:DWORD
	s_and_saveexec_b32 s24, s5
	s_cbranch_execz .LBB241_354
; %bb.349:                              ;   in Loop: Header=BB241_16 Depth=1
	s_clause 0x1
	buffer_load_dword v3, off, s[0:3], s32 offset:200
	buffer_load_dword v4, off, s[0:3], s32 offset:204
	v_mov_b32_e32 v1, 0xffff
	s_mov_b32 s25, exec_lo
	v_and_b32_sdwa v1, v1, v0 dst_sel:DWORD dst_unused:UNUSED_PAD src0_sel:DWORD src1_sel:BYTE_1
	v_and_b32_e32 v2, 0x7f, v1
	s_waitcnt vmcnt(0)
	v_mov_b32_e32 v5, v4
	v_mov_b32_e32 v4, v77
	;; [unrolled: 1-line block ×3, first 2 shown]
	buffer_store_dword v2, off, s[0:3], s32 offset:200 ; 4-byte Folded Spill
	buffer_store_dword v3, off, s[0:3], s32 offset:204 ; 4-byte Folded Spill
	;; [unrolled: 1-line block ×4, first 2 shown]
	v_cmpx_ne_u32_e32 0x7f, v2
	s_cbranch_execz .LBB241_353
; %bb.350:                              ;   in Loop: Header=BB241_16 Depth=1
	v_and_b32_e32 v76, 7, v1
	v_lshrrev_b32_e32 v1, 3, v2
	s_mov_b32 s26, exec_lo
	v_cmpx_gt_u32_e32 8, v2
; %bb.351:                              ;   in Loop: Header=BB241_16 Depth=1
	v_ffbh_u32_e32 v1, v76
	v_min_u32_e32 v1, 32, v1
	v_subrev_nc_u32_e32 v2, 28, v1
	v_sub_nc_u32_e32 v1, 29, v1
	v_lshlrev_b64 v[2:3], v2, v[76:77]
	v_and_b32_e32 v76, 7, v2
; %bb.352:                              ;   in Loop: Header=BB241_16 Depth=1
	s_or_b32 exec_lo, exec_lo, s26
	v_lshlrev_b32_e32 v2, 16, v0
	v_lshlrev_b32_e32 v3, 20, v76
	v_lshl_add_u32 v1, v1, 23, 0x3c000000
	v_and_b32_e32 v2, 0x80000000, v2
	v_or3_b32 v2, v3, v2, v1
	v_mov_b32_e32 v1, v77
	buffer_store_dword v1, off, s[0:3], s32 offset:572 ; 4-byte Folded Spill
	buffer_store_dword v2, off, s[0:3], s32 offset:576 ; 4-byte Folded Spill
.LBB241_353:                            ;   in Loop: Header=BB241_16 Depth=1
	s_or_b32 exec_lo, exec_lo, s25
.LBB241_354:                            ;   in Loop: Header=BB241_16 Depth=1
	s_or_b32 exec_lo, exec_lo, s24
.LBB241_355:                            ;   in Loop: Header=BB241_16 Depth=1
	s_or_b32 exec_lo, exec_lo, s23
	v_mov_b32_e32 v2, 0
	v_mov_b32_e32 v3, 0
	;; [unrolled: 1-line block ×3, first 2 shown]
	s_mov_b32 s23, exec_lo
	buffer_store_dword v2, off, s[0:3], s32 offset:580 ; 4-byte Folded Spill
	buffer_store_dword v3, off, s[0:3], s32 offset:584 ; 4-byte Folded Spill
	v_mov_b32_e32 v2, 0
	v_and_b32_sdwa v1, v0, v1 dst_sel:DWORD dst_unused:UNUSED_PAD src0_sel:WORD_1 src1_sel:DWORD
	v_mov_b32_e32 v3, 0
	buffer_store_dword v2, off, s[0:3], s32 offset:588 ; 4-byte Folded Spill
	buffer_store_dword v3, off, s[0:3], s32 offset:592 ; 4-byte Folded Spill
	v_cmpx_ne_u16_e32 0, v1
	s_cbranch_execz .LBB241_363
; %bb.356:                              ;   in Loop: Header=BB241_16 Depth=1
	v_cmp_ne_u16_e64 s5, 0x80, v1
	v_bfrev_b32_e32 v1, 1
	v_mov_b32_e32 v2, 0
	buffer_store_dword v1, off, s[0:3], s32 offset:588 ; 4-byte Folded Spill
	buffer_store_dword v2, off, s[0:3], s32 offset:592 ; 4-byte Folded Spill
	s_and_saveexec_b32 s24, s5
	s_cbranch_execz .LBB241_362
; %bb.357:                              ;   in Loop: Header=BB241_16 Depth=1
	v_mov_b32_e32 v3, 0x7f800001
	v_bfe_u32 v2, v0, 16, 7
	v_mov_b32_e32 v4, 0
	s_mov_b32 s25, exec_lo
	buffer_store_dword v3, off, s[0:3], s32 offset:588 ; 4-byte Folded Spill
	buffer_store_dword v4, off, s[0:3], s32 offset:592 ; 4-byte Folded Spill
	v_cmpx_ne_u32_e32 0x7f, v2
	s_cbranch_execz .LBB241_361
; %bb.358:                              ;   in Loop: Header=BB241_16 Depth=1
	v_mov_b32_e32 v1, 7
	s_mov_b32 s26, exec_lo
	v_and_b32_sdwa v76, v0, v1 dst_sel:DWORD dst_unused:UNUSED_PAD src0_sel:WORD_1 src1_sel:DWORD
	v_lshrrev_b32_e32 v1, 3, v2
	v_cmpx_gt_u32_e32 8, v2
; %bb.359:                              ;   in Loop: Header=BB241_16 Depth=1
	v_ffbh_u32_e32 v1, v76
	v_min_u32_e32 v1, 32, v1
	v_subrev_nc_u32_e32 v2, 28, v1
	v_sub_nc_u32_e32 v1, 29, v1
	v_lshlrev_b64 v[2:3], v2, v[76:77]
	v_and_b32_e32 v76, 7, v2
; %bb.360:                              ;   in Loop: Header=BB241_16 Depth=1
	s_or_b32 exec_lo, exec_lo, s26
	v_mov_b32_e32 v2, 24
	v_lshlrev_b32_e32 v3, 20, v76
	v_lshl_add_u32 v1, v1, 23, 0x3c000000
	v_lshlrev_b32_sdwa v2, v2, v0 dst_sel:DWORD dst_unused:UNUSED_PAD src0_sel:DWORD src1_sel:WORD_1
	v_and_b32_e32 v2, 0x80000000, v2
	v_or3_b32 v76, v3, v2, v1
	buffer_store_dword v76, off, s[0:3], s32 offset:588 ; 4-byte Folded Spill
	buffer_store_dword v77, off, s[0:3], s32 offset:592 ; 4-byte Folded Spill
.LBB241_361:                            ;   in Loop: Header=BB241_16 Depth=1
	s_or_b32 exec_lo, exec_lo, s25
.LBB241_362:                            ;   in Loop: Header=BB241_16 Depth=1
	s_or_b32 exec_lo, exec_lo, s24
.LBB241_363:                            ;   in Loop: Header=BB241_16 Depth=1
	s_or_b32 exec_lo, exec_lo, s23
	s_mov_b32 s23, exec_lo
	v_cmpx_lt_u32_e32 0xffffff, v0
	s_cbranch_execz .LBB241_371
; %bb.364:                              ;   in Loop: Header=BB241_16 Depth=1
	v_mov_b32_e32 v1, 0x80
	v_mov_b32_e32 v70, v77
	buffer_store_dword v70, off, s[0:3], s32 offset:580 ; 4-byte Folded Spill
	buffer_store_dword v71, off, s[0:3], s32 offset:584 ; 4-byte Folded Spill
	v_cmp_ne_u32_sdwa s5, v0, v1 src0_sel:BYTE_3 src1_sel:DWORD
	s_and_saveexec_b32 s24, s5
	s_cbranch_execz .LBB241_370
; %bb.365:                              ;   in Loop: Header=BB241_16 Depth=1
	s_clause 0x1
	buffer_load_dword v3, off, s[0:3], s32 offset:200
	buffer_load_dword v4, off, s[0:3], s32 offset:204
	v_bfe_u32 v2, v0, 24, 7
	s_waitcnt vmcnt(1)
	v_mov_b32_e32 v3, v77
	s_mov_b32 s25, exec_lo
	s_waitcnt vmcnt(0)
	v_mov_b32_e32 v1, v4
	buffer_store_dword v0, off, s[0:3], s32 offset:200 ; 4-byte Folded Spill
	buffer_store_dword v1, off, s[0:3], s32 offset:204 ; 4-byte Folded Spill
	;; [unrolled: 1-line block ×4, first 2 shown]
	v_cmpx_ne_u32_e32 0x7f, v2
	s_cbranch_execz .LBB241_369
; %bb.366:                              ;   in Loop: Header=BB241_16 Depth=1
	v_mov_b32_e32 v1, 7
	s_mov_b32 s26, exec_lo
	v_and_b32_sdwa v76, v0, v1 dst_sel:DWORD dst_unused:UNUSED_PAD src0_sel:BYTE_3 src1_sel:DWORD
	v_lshrrev_b32_e32 v1, 3, v2
	v_cmpx_gt_u32_e32 8, v2
; %bb.367:                              ;   in Loop: Header=BB241_16 Depth=1
	v_ffbh_u32_e32 v1, v76
	v_min_u32_e32 v1, 32, v1
	v_subrev_nc_u32_e32 v2, 28, v1
	v_sub_nc_u32_e32 v1, 29, v1
	v_lshlrev_b64 v[2:3], v2, v[76:77]
	v_and_b32_e32 v76, 7, v2
; %bb.368:                              ;   in Loop: Header=BB241_16 Depth=1
	s_or_b32 exec_lo, exec_lo, s26
	v_mov_b32_e32 v2, 24
	v_lshl_add_u32 v1, v1, 23, 0x3c000000
	v_lshlrev_b32_sdwa v0, v2, v0 dst_sel:DWORD dst_unused:UNUSED_PAD src0_sel:DWORD src1_sel:BYTE_3
	v_lshlrev_b32_e32 v2, 20, v76
	v_and_b32_e32 v0, 0x80000000, v0
	v_or3_b32 v1, v2, v0, v1
	v_mov_b32_e32 v0, v77
	buffer_store_dword v0, off, s[0:3], s32 offset:580 ; 4-byte Folded Spill
	buffer_store_dword v1, off, s[0:3], s32 offset:584 ; 4-byte Folded Spill
.LBB241_369:                            ;   in Loop: Header=BB241_16 Depth=1
	s_or_b32 exec_lo, exec_lo, s25
.LBB241_370:                            ;   in Loop: Header=BB241_16 Depth=1
	s_or_b32 exec_lo, exec_lo, s24
.LBB241_371:                            ;   in Loop: Header=BB241_16 Depth=1
	s_or_b32 exec_lo, exec_lo, s23
	flat_load_dword v0, v[8:9] offset:1036
	v_mov_b32_e32 v1, 0
	v_mov_b32_e32 v2, 0
	buffer_store_dword v1, off, s[0:3], s32 offset:604 ; 4-byte Folded Spill
	buffer_store_dword v2, off, s[0:3], s32 offset:608 ; 4-byte Folded Spill
	v_mov_b32_e32 v1, 0
	v_mov_b32_e32 v2, 0
	buffer_store_dword v1, off, s[0:3], s32 offset:596 ; 4-byte Folded Spill
	buffer_store_dword v2, off, s[0:3], s32 offset:600 ; 4-byte Folded Spill
	s_waitcnt vmcnt(0) lgkmcnt(0)
	v_cmp_ne_u16_sdwa s5, v0, v77 src0_sel:BYTE_0 src1_sel:DWORD
	s_and_saveexec_b32 s23, s5
	s_cbranch_execz .LBB241_379
; %bb.372:                              ;   in Loop: Header=BB241_16 Depth=1
	v_bfrev_b32_e32 v1, 1
	v_mov_b32_e32 v2, 0
	buffer_store_dword v1, off, s[0:3], s32 offset:596 ; 4-byte Folded Spill
	buffer_store_dword v2, off, s[0:3], s32 offset:600 ; 4-byte Folded Spill
	v_mov_b32_e32 v1, 0x80
	v_cmp_ne_u16_sdwa s5, v0, v1 src0_sel:BYTE_0 src1_sel:DWORD
	s_and_saveexec_b32 s24, s5
	s_cbranch_execz .LBB241_378
; %bb.373:                              ;   in Loop: Header=BB241_16 Depth=1
	v_mov_b32_e32 v3, 0x7f800001
	v_and_b32_e32 v2, 0x7f, v0
	v_mov_b32_e32 v4, 0
	s_mov_b32 s25, exec_lo
	buffer_store_dword v3, off, s[0:3], s32 offset:596 ; 4-byte Folded Spill
	buffer_store_dword v4, off, s[0:3], s32 offset:600 ; 4-byte Folded Spill
	v_cmpx_ne_u32_e32 0x7f, v2
	s_cbranch_execz .LBB241_377
; %bb.374:                              ;   in Loop: Header=BB241_16 Depth=1
	v_and_b32_e32 v76, 7, v0
	v_lshrrev_b32_e32 v1, 3, v2
	s_mov_b32 s26, exec_lo
	v_cmpx_gt_u32_e32 8, v2
; %bb.375:                              ;   in Loop: Header=BB241_16 Depth=1
	v_ffbh_u32_e32 v1, v76
	v_min_u32_e32 v1, 32, v1
	v_subrev_nc_u32_e32 v2, 28, v1
	v_sub_nc_u32_e32 v1, 29, v1
	v_lshlrev_b64 v[2:3], v2, v[76:77]
	v_and_b32_e32 v76, 7, v2
; %bb.376:                              ;   in Loop: Header=BB241_16 Depth=1
	s_or_b32 exec_lo, exec_lo, s26
	v_lshlrev_b32_e32 v2, 24, v0
	v_lshlrev_b32_e32 v3, 20, v76
	v_lshl_add_u32 v1, v1, 23, 0x3c000000
	v_and_b32_e32 v2, 0x80000000, v2
	v_or3_b32 v76, v3, v2, v1
	buffer_store_dword v76, off, s[0:3], s32 offset:596 ; 4-byte Folded Spill
	buffer_store_dword v77, off, s[0:3], s32 offset:600 ; 4-byte Folded Spill
.LBB241_377:                            ;   in Loop: Header=BB241_16 Depth=1
	s_or_b32 exec_lo, exec_lo, s25
.LBB241_378:                            ;   in Loop: Header=BB241_16 Depth=1
	s_or_b32 exec_lo, exec_lo, s24
.LBB241_379:                            ;   in Loop: Header=BB241_16 Depth=1
	s_or_b32 exec_lo, exec_lo, s23
	v_cmp_ne_u16_sdwa s5, v0, v77 src0_sel:BYTE_1 src1_sel:DWORD
	s_and_saveexec_b32 s23, s5
	s_cbranch_execz .LBB241_387
; %bb.380:                              ;   in Loop: Header=BB241_16 Depth=1
	v_mov_b32_e32 v1, 0x80
	v_mov_b32_e32 v70, v77
	buffer_store_dword v70, off, s[0:3], s32 offset:604 ; 4-byte Folded Spill
	buffer_store_dword v71, off, s[0:3], s32 offset:608 ; 4-byte Folded Spill
	v_cmp_ne_u16_sdwa s5, v0, v1 src0_sel:BYTE_1 src1_sel:DWORD
	s_and_saveexec_b32 s24, s5
	s_cbranch_execz .LBB241_386
; %bb.381:                              ;   in Loop: Header=BB241_16 Depth=1
	s_clause 0x1
	buffer_load_dword v3, off, s[0:3], s32 offset:200
	buffer_load_dword v4, off, s[0:3], s32 offset:204
	v_mov_b32_e32 v1, 0xffff
	s_mov_b32 s25, exec_lo
	v_and_b32_sdwa v1, v1, v0 dst_sel:DWORD dst_unused:UNUSED_PAD src0_sel:DWORD src1_sel:BYTE_1
	v_and_b32_e32 v2, 0x7f, v1
	s_waitcnt vmcnt(0)
	v_mov_b32_e32 v5, v4
	v_mov_b32_e32 v4, v77
	;; [unrolled: 1-line block ×3, first 2 shown]
	buffer_store_dword v2, off, s[0:3], s32 offset:200 ; 4-byte Folded Spill
	buffer_store_dword v3, off, s[0:3], s32 offset:204 ; 4-byte Folded Spill
	;; [unrolled: 1-line block ×4, first 2 shown]
	v_cmpx_ne_u32_e32 0x7f, v2
	s_cbranch_execz .LBB241_385
; %bb.382:                              ;   in Loop: Header=BB241_16 Depth=1
	v_and_b32_e32 v76, 7, v1
	v_lshrrev_b32_e32 v1, 3, v2
	s_mov_b32 s26, exec_lo
	v_cmpx_gt_u32_e32 8, v2
; %bb.383:                              ;   in Loop: Header=BB241_16 Depth=1
	v_ffbh_u32_e32 v1, v76
	v_min_u32_e32 v1, 32, v1
	v_subrev_nc_u32_e32 v2, 28, v1
	v_sub_nc_u32_e32 v1, 29, v1
	v_lshlrev_b64 v[2:3], v2, v[76:77]
	v_and_b32_e32 v76, 7, v2
; %bb.384:                              ;   in Loop: Header=BB241_16 Depth=1
	s_or_b32 exec_lo, exec_lo, s26
	v_lshlrev_b32_e32 v2, 16, v0
	v_lshlrev_b32_e32 v3, 20, v76
	v_lshl_add_u32 v1, v1, 23, 0x3c000000
	v_and_b32_e32 v2, 0x80000000, v2
	v_or3_b32 v2, v3, v2, v1
	v_mov_b32_e32 v1, v77
	buffer_store_dword v1, off, s[0:3], s32 offset:604 ; 4-byte Folded Spill
	buffer_store_dword v2, off, s[0:3], s32 offset:608 ; 4-byte Folded Spill
.LBB241_385:                            ;   in Loop: Header=BB241_16 Depth=1
	s_or_b32 exec_lo, exec_lo, s25
.LBB241_386:                            ;   in Loop: Header=BB241_16 Depth=1
	s_or_b32 exec_lo, exec_lo, s24
.LBB241_387:                            ;   in Loop: Header=BB241_16 Depth=1
	s_or_b32 exec_lo, exec_lo, s23
	v_mov_b32_e32 v2, 0
	v_mov_b32_e32 v3, 0
	v_mov_b32_e32 v1, 0xff
	s_mov_b32 s23, exec_lo
	buffer_store_dword v2, off, s[0:3], s32 offset:612 ; 4-byte Folded Spill
	buffer_store_dword v3, off, s[0:3], s32 offset:616 ; 4-byte Folded Spill
	v_mov_b32_e32 v2, 0
	v_and_b32_sdwa v1, v0, v1 dst_sel:DWORD dst_unused:UNUSED_PAD src0_sel:WORD_1 src1_sel:DWORD
	v_mov_b32_e32 v3, 0
	buffer_store_dword v2, off, s[0:3], s32 offset:620 ; 4-byte Folded Spill
	buffer_store_dword v3, off, s[0:3], s32 offset:624 ; 4-byte Folded Spill
	v_cmpx_ne_u16_e32 0, v1
	s_cbranch_execz .LBB241_395
; %bb.388:                              ;   in Loop: Header=BB241_16 Depth=1
	v_cmp_ne_u16_e64 s5, 0x80, v1
	v_bfrev_b32_e32 v1, 1
	v_mov_b32_e32 v2, 0
	buffer_store_dword v1, off, s[0:3], s32 offset:620 ; 4-byte Folded Spill
	buffer_store_dword v2, off, s[0:3], s32 offset:624 ; 4-byte Folded Spill
	s_and_saveexec_b32 s24, s5
	s_cbranch_execz .LBB241_394
; %bb.389:                              ;   in Loop: Header=BB241_16 Depth=1
	v_mov_b32_e32 v3, 0x7f800001
	v_bfe_u32 v2, v0, 16, 7
	v_mov_b32_e32 v4, 0
	s_mov_b32 s25, exec_lo
	buffer_store_dword v3, off, s[0:3], s32 offset:620 ; 4-byte Folded Spill
	buffer_store_dword v4, off, s[0:3], s32 offset:624 ; 4-byte Folded Spill
	v_cmpx_ne_u32_e32 0x7f, v2
	s_cbranch_execz .LBB241_393
; %bb.390:                              ;   in Loop: Header=BB241_16 Depth=1
	v_mov_b32_e32 v1, 7
	s_mov_b32 s26, exec_lo
	v_and_b32_sdwa v76, v0, v1 dst_sel:DWORD dst_unused:UNUSED_PAD src0_sel:WORD_1 src1_sel:DWORD
	v_lshrrev_b32_e32 v1, 3, v2
	v_cmpx_gt_u32_e32 8, v2
; %bb.391:                              ;   in Loop: Header=BB241_16 Depth=1
	v_ffbh_u32_e32 v1, v76
	v_min_u32_e32 v1, 32, v1
	v_subrev_nc_u32_e32 v2, 28, v1
	v_sub_nc_u32_e32 v1, 29, v1
	v_lshlrev_b64 v[2:3], v2, v[76:77]
	v_and_b32_e32 v76, 7, v2
; %bb.392:                              ;   in Loop: Header=BB241_16 Depth=1
	s_or_b32 exec_lo, exec_lo, s26
	v_mov_b32_e32 v2, 24
	v_lshlrev_b32_e32 v3, 20, v76
	v_lshl_add_u32 v1, v1, 23, 0x3c000000
	v_lshlrev_b32_sdwa v2, v2, v0 dst_sel:DWORD dst_unused:UNUSED_PAD src0_sel:DWORD src1_sel:WORD_1
	v_and_b32_e32 v2, 0x80000000, v2
	v_or3_b32 v76, v3, v2, v1
	buffer_store_dword v76, off, s[0:3], s32 offset:620 ; 4-byte Folded Spill
	buffer_store_dword v77, off, s[0:3], s32 offset:624 ; 4-byte Folded Spill
.LBB241_393:                            ;   in Loop: Header=BB241_16 Depth=1
	s_or_b32 exec_lo, exec_lo, s25
.LBB241_394:                            ;   in Loop: Header=BB241_16 Depth=1
	s_or_b32 exec_lo, exec_lo, s24
.LBB241_395:                            ;   in Loop: Header=BB241_16 Depth=1
	s_or_b32 exec_lo, exec_lo, s23
	s_mov_b32 s23, exec_lo
	v_cmpx_lt_u32_e32 0xffffff, v0
	s_cbranch_execz .LBB241_403
; %bb.396:                              ;   in Loop: Header=BB241_16 Depth=1
	v_mov_b32_e32 v1, 0x80
	v_mov_b32_e32 v70, v77
	buffer_store_dword v70, off, s[0:3], s32 offset:612 ; 4-byte Folded Spill
	buffer_store_dword v71, off, s[0:3], s32 offset:616 ; 4-byte Folded Spill
	v_cmp_ne_u32_sdwa s5, v0, v1 src0_sel:BYTE_3 src1_sel:DWORD
	s_and_saveexec_b32 s24, s5
	s_cbranch_execz .LBB241_402
; %bb.397:                              ;   in Loop: Header=BB241_16 Depth=1
	s_clause 0x1
	buffer_load_dword v3, off, s[0:3], s32 offset:200
	buffer_load_dword v4, off, s[0:3], s32 offset:204
	v_bfe_u32 v2, v0, 24, 7
	s_waitcnt vmcnt(1)
	v_mov_b32_e32 v3, v77
	s_mov_b32 s25, exec_lo
	s_waitcnt vmcnt(0)
	v_mov_b32_e32 v1, v4
	buffer_store_dword v0, off, s[0:3], s32 offset:200 ; 4-byte Folded Spill
	buffer_store_dword v1, off, s[0:3], s32 offset:204 ; 4-byte Folded Spill
	;; [unrolled: 1-line block ×4, first 2 shown]
	v_cmpx_ne_u32_e32 0x7f, v2
	s_cbranch_execz .LBB241_401
; %bb.398:                              ;   in Loop: Header=BB241_16 Depth=1
	v_mov_b32_e32 v1, 7
	s_mov_b32 s26, exec_lo
	v_and_b32_sdwa v76, v0, v1 dst_sel:DWORD dst_unused:UNUSED_PAD src0_sel:BYTE_3 src1_sel:DWORD
	v_lshrrev_b32_e32 v1, 3, v2
	v_cmpx_gt_u32_e32 8, v2
; %bb.399:                              ;   in Loop: Header=BB241_16 Depth=1
	v_ffbh_u32_e32 v1, v76
	v_min_u32_e32 v1, 32, v1
	v_subrev_nc_u32_e32 v2, 28, v1
	v_sub_nc_u32_e32 v1, 29, v1
	v_lshlrev_b64 v[2:3], v2, v[76:77]
	v_and_b32_e32 v76, 7, v2
; %bb.400:                              ;   in Loop: Header=BB241_16 Depth=1
	s_or_b32 exec_lo, exec_lo, s26
	v_mov_b32_e32 v2, 24
	v_lshl_add_u32 v1, v1, 23, 0x3c000000
	v_lshlrev_b32_sdwa v0, v2, v0 dst_sel:DWORD dst_unused:UNUSED_PAD src0_sel:DWORD src1_sel:BYTE_3
	v_lshlrev_b32_e32 v2, 20, v76
	v_and_b32_e32 v0, 0x80000000, v0
	v_or3_b32 v1, v2, v0, v1
	v_mov_b32_e32 v0, v77
	buffer_store_dword v0, off, s[0:3], s32 offset:612 ; 4-byte Folded Spill
	buffer_store_dword v1, off, s[0:3], s32 offset:616 ; 4-byte Folded Spill
.LBB241_401:                            ;   in Loop: Header=BB241_16 Depth=1
	s_or_b32 exec_lo, exec_lo, s25
.LBB241_402:                            ;   in Loop: Header=BB241_16 Depth=1
	s_or_b32 exec_lo, exec_lo, s24
.LBB241_403:                            ;   in Loop: Header=BB241_16 Depth=1
	s_or_b32 exec_lo, exec_lo, s23
	flat_load_dword v0, v[8:9] offset:1536
	v_mov_b32_e32 v1, 0
	v_mov_b32_e32 v2, 0
	buffer_store_dword v1, off, s[0:3], s32 offset:636 ; 4-byte Folded Spill
	buffer_store_dword v2, off, s[0:3], s32 offset:640 ; 4-byte Folded Spill
	v_mov_b32_e32 v1, 0
	v_mov_b32_e32 v2, 0
	buffer_store_dword v1, off, s[0:3], s32 offset:628 ; 4-byte Folded Spill
	buffer_store_dword v2, off, s[0:3], s32 offset:632 ; 4-byte Folded Spill
	s_waitcnt vmcnt(0) lgkmcnt(0)
	v_cmp_ne_u16_sdwa s5, v0, v77 src0_sel:BYTE_0 src1_sel:DWORD
	s_and_saveexec_b32 s23, s5
	s_cbranch_execz .LBB241_411
; %bb.404:                              ;   in Loop: Header=BB241_16 Depth=1
	v_bfrev_b32_e32 v1, 1
	v_mov_b32_e32 v2, 0
	buffer_store_dword v1, off, s[0:3], s32 offset:628 ; 4-byte Folded Spill
	buffer_store_dword v2, off, s[0:3], s32 offset:632 ; 4-byte Folded Spill
	v_mov_b32_e32 v1, 0x80
	v_cmp_ne_u16_sdwa s5, v0, v1 src0_sel:BYTE_0 src1_sel:DWORD
	s_and_saveexec_b32 s24, s5
	s_cbranch_execz .LBB241_410
; %bb.405:                              ;   in Loop: Header=BB241_16 Depth=1
	v_mov_b32_e32 v3, 0x7f800001
	v_and_b32_e32 v2, 0x7f, v0
	v_mov_b32_e32 v4, 0
	s_mov_b32 s25, exec_lo
	buffer_store_dword v3, off, s[0:3], s32 offset:628 ; 4-byte Folded Spill
	buffer_store_dword v4, off, s[0:3], s32 offset:632 ; 4-byte Folded Spill
	v_cmpx_ne_u32_e32 0x7f, v2
	s_cbranch_execz .LBB241_409
; %bb.406:                              ;   in Loop: Header=BB241_16 Depth=1
	v_and_b32_e32 v76, 7, v0
	v_lshrrev_b32_e32 v1, 3, v2
	s_mov_b32 s26, exec_lo
	v_cmpx_gt_u32_e32 8, v2
; %bb.407:                              ;   in Loop: Header=BB241_16 Depth=1
	v_ffbh_u32_e32 v1, v76
	v_min_u32_e32 v1, 32, v1
	v_subrev_nc_u32_e32 v2, 28, v1
	v_sub_nc_u32_e32 v1, 29, v1
	v_lshlrev_b64 v[2:3], v2, v[76:77]
	v_and_b32_e32 v76, 7, v2
; %bb.408:                              ;   in Loop: Header=BB241_16 Depth=1
	s_or_b32 exec_lo, exec_lo, s26
	v_lshlrev_b32_e32 v2, 24, v0
	v_lshlrev_b32_e32 v3, 20, v76
	v_lshl_add_u32 v1, v1, 23, 0x3c000000
	v_and_b32_e32 v2, 0x80000000, v2
	v_or3_b32 v76, v3, v2, v1
	buffer_store_dword v76, off, s[0:3], s32 offset:628 ; 4-byte Folded Spill
	buffer_store_dword v77, off, s[0:3], s32 offset:632 ; 4-byte Folded Spill
.LBB241_409:                            ;   in Loop: Header=BB241_16 Depth=1
	s_or_b32 exec_lo, exec_lo, s25
.LBB241_410:                            ;   in Loop: Header=BB241_16 Depth=1
	s_or_b32 exec_lo, exec_lo, s24
.LBB241_411:                            ;   in Loop: Header=BB241_16 Depth=1
	s_or_b32 exec_lo, exec_lo, s23
	v_cmp_ne_u16_sdwa s5, v0, v77 src0_sel:BYTE_1 src1_sel:DWORD
	s_and_saveexec_b32 s23, s5
	s_cbranch_execz .LBB241_419
; %bb.412:                              ;   in Loop: Header=BB241_16 Depth=1
	v_mov_b32_e32 v1, 0x80
	v_mov_b32_e32 v70, v77
	buffer_store_dword v70, off, s[0:3], s32 offset:636 ; 4-byte Folded Spill
	buffer_store_dword v71, off, s[0:3], s32 offset:640 ; 4-byte Folded Spill
	v_cmp_ne_u16_sdwa s5, v0, v1 src0_sel:BYTE_1 src1_sel:DWORD
	s_and_saveexec_b32 s24, s5
	s_cbranch_execz .LBB241_418
; %bb.413:                              ;   in Loop: Header=BB241_16 Depth=1
	s_clause 0x1
	buffer_load_dword v3, off, s[0:3], s32 offset:200
	buffer_load_dword v4, off, s[0:3], s32 offset:204
	v_mov_b32_e32 v1, 0xffff
	s_mov_b32 s25, exec_lo
	v_and_b32_sdwa v1, v1, v0 dst_sel:DWORD dst_unused:UNUSED_PAD src0_sel:DWORD src1_sel:BYTE_1
	v_and_b32_e32 v2, 0x7f, v1
	s_waitcnt vmcnt(0)
	v_mov_b32_e32 v5, v4
	v_mov_b32_e32 v4, v77
	;; [unrolled: 1-line block ×3, first 2 shown]
	buffer_store_dword v2, off, s[0:3], s32 offset:200 ; 4-byte Folded Spill
	buffer_store_dword v3, off, s[0:3], s32 offset:204 ; 4-byte Folded Spill
	;; [unrolled: 1-line block ×4, first 2 shown]
	v_cmpx_ne_u32_e32 0x7f, v2
	s_cbranch_execz .LBB241_417
; %bb.414:                              ;   in Loop: Header=BB241_16 Depth=1
	v_and_b32_e32 v76, 7, v1
	v_lshrrev_b32_e32 v1, 3, v2
	s_mov_b32 s26, exec_lo
	v_cmpx_gt_u32_e32 8, v2
; %bb.415:                              ;   in Loop: Header=BB241_16 Depth=1
	v_ffbh_u32_e32 v1, v76
	v_min_u32_e32 v1, 32, v1
	v_subrev_nc_u32_e32 v2, 28, v1
	v_sub_nc_u32_e32 v1, 29, v1
	v_lshlrev_b64 v[2:3], v2, v[76:77]
	v_and_b32_e32 v76, 7, v2
; %bb.416:                              ;   in Loop: Header=BB241_16 Depth=1
	s_or_b32 exec_lo, exec_lo, s26
	v_lshlrev_b32_e32 v2, 16, v0
	v_lshlrev_b32_e32 v3, 20, v76
	v_lshl_add_u32 v1, v1, 23, 0x3c000000
	v_and_b32_e32 v2, 0x80000000, v2
	v_or3_b32 v2, v3, v2, v1
	v_mov_b32_e32 v1, v77
	buffer_store_dword v1, off, s[0:3], s32 offset:636 ; 4-byte Folded Spill
	buffer_store_dword v2, off, s[0:3], s32 offset:640 ; 4-byte Folded Spill
.LBB241_417:                            ;   in Loop: Header=BB241_16 Depth=1
	s_or_b32 exec_lo, exec_lo, s25
.LBB241_418:                            ;   in Loop: Header=BB241_16 Depth=1
	s_or_b32 exec_lo, exec_lo, s24
.LBB241_419:                            ;   in Loop: Header=BB241_16 Depth=1
	s_or_b32 exec_lo, exec_lo, s23
	v_mov_b32_e32 v2, 0
	v_mov_b32_e32 v3, 0
	;; [unrolled: 1-line block ×3, first 2 shown]
	s_mov_b32 s23, exec_lo
	buffer_store_dword v2, off, s[0:3], s32 offset:644 ; 4-byte Folded Spill
	buffer_store_dword v3, off, s[0:3], s32 offset:648 ; 4-byte Folded Spill
	v_mov_b32_e32 v2, 0
	v_and_b32_sdwa v1, v0, v1 dst_sel:DWORD dst_unused:UNUSED_PAD src0_sel:WORD_1 src1_sel:DWORD
	v_mov_b32_e32 v3, 0
	buffer_store_dword v2, off, s[0:3], s32 offset:652 ; 4-byte Folded Spill
	buffer_store_dword v3, off, s[0:3], s32 offset:656 ; 4-byte Folded Spill
	v_cmpx_ne_u16_e32 0, v1
	s_cbranch_execz .LBB241_427
; %bb.420:                              ;   in Loop: Header=BB241_16 Depth=1
	v_cmp_ne_u16_e64 s5, 0x80, v1
	v_bfrev_b32_e32 v1, 1
	v_mov_b32_e32 v2, 0
	buffer_store_dword v1, off, s[0:3], s32 offset:652 ; 4-byte Folded Spill
	buffer_store_dword v2, off, s[0:3], s32 offset:656 ; 4-byte Folded Spill
	s_and_saveexec_b32 s24, s5
	s_cbranch_execz .LBB241_426
; %bb.421:                              ;   in Loop: Header=BB241_16 Depth=1
	v_mov_b32_e32 v3, 0x7f800001
	v_bfe_u32 v2, v0, 16, 7
	v_mov_b32_e32 v4, 0
	s_mov_b32 s25, exec_lo
	buffer_store_dword v3, off, s[0:3], s32 offset:652 ; 4-byte Folded Spill
	buffer_store_dword v4, off, s[0:3], s32 offset:656 ; 4-byte Folded Spill
	v_cmpx_ne_u32_e32 0x7f, v2
	s_cbranch_execz .LBB241_425
; %bb.422:                              ;   in Loop: Header=BB241_16 Depth=1
	v_mov_b32_e32 v1, 7
	s_mov_b32 s26, exec_lo
	v_and_b32_sdwa v76, v0, v1 dst_sel:DWORD dst_unused:UNUSED_PAD src0_sel:WORD_1 src1_sel:DWORD
	v_lshrrev_b32_e32 v1, 3, v2
	v_cmpx_gt_u32_e32 8, v2
; %bb.423:                              ;   in Loop: Header=BB241_16 Depth=1
	v_ffbh_u32_e32 v1, v76
	v_min_u32_e32 v1, 32, v1
	v_subrev_nc_u32_e32 v2, 28, v1
	v_sub_nc_u32_e32 v1, 29, v1
	v_lshlrev_b64 v[2:3], v2, v[76:77]
	v_and_b32_e32 v76, 7, v2
; %bb.424:                              ;   in Loop: Header=BB241_16 Depth=1
	s_or_b32 exec_lo, exec_lo, s26
	v_mov_b32_e32 v2, 24
	v_lshlrev_b32_e32 v3, 20, v76
	v_lshl_add_u32 v1, v1, 23, 0x3c000000
	v_lshlrev_b32_sdwa v2, v2, v0 dst_sel:DWORD dst_unused:UNUSED_PAD src0_sel:DWORD src1_sel:WORD_1
	v_and_b32_e32 v2, 0x80000000, v2
	v_or3_b32 v76, v3, v2, v1
	buffer_store_dword v76, off, s[0:3], s32 offset:652 ; 4-byte Folded Spill
	buffer_store_dword v77, off, s[0:3], s32 offset:656 ; 4-byte Folded Spill
.LBB241_425:                            ;   in Loop: Header=BB241_16 Depth=1
	s_or_b32 exec_lo, exec_lo, s25
.LBB241_426:                            ;   in Loop: Header=BB241_16 Depth=1
	s_or_b32 exec_lo, exec_lo, s24
.LBB241_427:                            ;   in Loop: Header=BB241_16 Depth=1
	s_or_b32 exec_lo, exec_lo, s23
	s_mov_b32 s23, exec_lo
	v_cmpx_lt_u32_e32 0xffffff, v0
	s_cbranch_execz .LBB241_435
; %bb.428:                              ;   in Loop: Header=BB241_16 Depth=1
	v_mov_b32_e32 v1, 0x80
	v_mov_b32_e32 v70, v77
	buffer_store_dword v70, off, s[0:3], s32 offset:644 ; 4-byte Folded Spill
	buffer_store_dword v71, off, s[0:3], s32 offset:648 ; 4-byte Folded Spill
	v_cmp_ne_u32_sdwa s5, v0, v1 src0_sel:BYTE_3 src1_sel:DWORD
	s_and_saveexec_b32 s24, s5
	s_cbranch_execz .LBB241_434
; %bb.429:                              ;   in Loop: Header=BB241_16 Depth=1
	s_clause 0x1
	buffer_load_dword v3, off, s[0:3], s32 offset:200
	buffer_load_dword v4, off, s[0:3], s32 offset:204
	v_bfe_u32 v2, v0, 24, 7
	s_waitcnt vmcnt(1)
	v_mov_b32_e32 v3, v77
	s_mov_b32 s25, exec_lo
	s_waitcnt vmcnt(0)
	v_mov_b32_e32 v1, v4
	buffer_store_dword v0, off, s[0:3], s32 offset:200 ; 4-byte Folded Spill
	buffer_store_dword v1, off, s[0:3], s32 offset:204 ; 4-byte Folded Spill
	;; [unrolled: 1-line block ×4, first 2 shown]
	v_cmpx_ne_u32_e32 0x7f, v2
	s_cbranch_execz .LBB241_433
; %bb.430:                              ;   in Loop: Header=BB241_16 Depth=1
	v_mov_b32_e32 v1, 7
	s_mov_b32 s26, exec_lo
	v_and_b32_sdwa v76, v0, v1 dst_sel:DWORD dst_unused:UNUSED_PAD src0_sel:BYTE_3 src1_sel:DWORD
	v_lshrrev_b32_e32 v1, 3, v2
	v_cmpx_gt_u32_e32 8, v2
; %bb.431:                              ;   in Loop: Header=BB241_16 Depth=1
	v_ffbh_u32_e32 v1, v76
	v_min_u32_e32 v1, 32, v1
	v_subrev_nc_u32_e32 v2, 28, v1
	v_sub_nc_u32_e32 v1, 29, v1
	v_lshlrev_b64 v[2:3], v2, v[76:77]
	v_and_b32_e32 v76, 7, v2
; %bb.432:                              ;   in Loop: Header=BB241_16 Depth=1
	s_or_b32 exec_lo, exec_lo, s26
	v_mov_b32_e32 v2, 24
	v_lshl_add_u32 v1, v1, 23, 0x3c000000
	v_lshlrev_b32_sdwa v0, v2, v0 dst_sel:DWORD dst_unused:UNUSED_PAD src0_sel:DWORD src1_sel:BYTE_3
	v_lshlrev_b32_e32 v2, 20, v76
	v_and_b32_e32 v0, 0x80000000, v0
	v_or3_b32 v1, v2, v0, v1
	v_mov_b32_e32 v0, v77
	buffer_store_dword v0, off, s[0:3], s32 offset:644 ; 4-byte Folded Spill
	buffer_store_dword v1, off, s[0:3], s32 offset:648 ; 4-byte Folded Spill
.LBB241_433:                            ;   in Loop: Header=BB241_16 Depth=1
	s_or_b32 exec_lo, exec_lo, s25
.LBB241_434:                            ;   in Loop: Header=BB241_16 Depth=1
	s_or_b32 exec_lo, exec_lo, s24
.LBB241_435:                            ;   in Loop: Header=BB241_16 Depth=1
	s_or_b32 exec_lo, exec_lo, s23
	flat_load_dword v0, v[8:9] offset:1540
	v_mov_b32_e32 v1, 0
	v_mov_b32_e32 v2, 0
	buffer_store_dword v1, off, s[0:3], s32 offset:668 ; 4-byte Folded Spill
	buffer_store_dword v2, off, s[0:3], s32 offset:672 ; 4-byte Folded Spill
	v_mov_b32_e32 v1, 0
	v_mov_b32_e32 v2, 0
	buffer_store_dword v1, off, s[0:3], s32 offset:660 ; 4-byte Folded Spill
	buffer_store_dword v2, off, s[0:3], s32 offset:664 ; 4-byte Folded Spill
	s_waitcnt vmcnt(0) lgkmcnt(0)
	v_cmp_ne_u16_sdwa s5, v0, v77 src0_sel:BYTE_0 src1_sel:DWORD
	s_and_saveexec_b32 s23, s5
	s_cbranch_execz .LBB241_443
; %bb.436:                              ;   in Loop: Header=BB241_16 Depth=1
	v_bfrev_b32_e32 v1, 1
	v_mov_b32_e32 v2, 0
	buffer_store_dword v1, off, s[0:3], s32 offset:660 ; 4-byte Folded Spill
	buffer_store_dword v2, off, s[0:3], s32 offset:664 ; 4-byte Folded Spill
	v_mov_b32_e32 v1, 0x80
	v_cmp_ne_u16_sdwa s5, v0, v1 src0_sel:BYTE_0 src1_sel:DWORD
	s_and_saveexec_b32 s24, s5
	s_cbranch_execz .LBB241_442
; %bb.437:                              ;   in Loop: Header=BB241_16 Depth=1
	v_mov_b32_e32 v3, 0x7f800001
	v_and_b32_e32 v2, 0x7f, v0
	v_mov_b32_e32 v4, 0
	s_mov_b32 s25, exec_lo
	buffer_store_dword v3, off, s[0:3], s32 offset:660 ; 4-byte Folded Spill
	buffer_store_dword v4, off, s[0:3], s32 offset:664 ; 4-byte Folded Spill
	v_cmpx_ne_u32_e32 0x7f, v2
	s_cbranch_execz .LBB241_441
; %bb.438:                              ;   in Loop: Header=BB241_16 Depth=1
	v_and_b32_e32 v76, 7, v0
	v_lshrrev_b32_e32 v1, 3, v2
	s_mov_b32 s26, exec_lo
	v_cmpx_gt_u32_e32 8, v2
; %bb.439:                              ;   in Loop: Header=BB241_16 Depth=1
	v_ffbh_u32_e32 v1, v76
	v_min_u32_e32 v1, 32, v1
	v_subrev_nc_u32_e32 v2, 28, v1
	v_sub_nc_u32_e32 v1, 29, v1
	v_lshlrev_b64 v[2:3], v2, v[76:77]
	v_and_b32_e32 v76, 7, v2
; %bb.440:                              ;   in Loop: Header=BB241_16 Depth=1
	s_or_b32 exec_lo, exec_lo, s26
	v_lshlrev_b32_e32 v2, 24, v0
	v_lshlrev_b32_e32 v3, 20, v76
	v_lshl_add_u32 v1, v1, 23, 0x3c000000
	v_and_b32_e32 v2, 0x80000000, v2
	v_or3_b32 v76, v3, v2, v1
	buffer_store_dword v76, off, s[0:3], s32 offset:660 ; 4-byte Folded Spill
	buffer_store_dword v77, off, s[0:3], s32 offset:664 ; 4-byte Folded Spill
.LBB241_441:                            ;   in Loop: Header=BB241_16 Depth=1
	s_or_b32 exec_lo, exec_lo, s25
.LBB241_442:                            ;   in Loop: Header=BB241_16 Depth=1
	s_or_b32 exec_lo, exec_lo, s24
.LBB241_443:                            ;   in Loop: Header=BB241_16 Depth=1
	s_or_b32 exec_lo, exec_lo, s23
	v_cmp_ne_u16_sdwa s5, v0, v77 src0_sel:BYTE_1 src1_sel:DWORD
	s_and_saveexec_b32 s23, s5
	s_cbranch_execz .LBB241_451
; %bb.444:                              ;   in Loop: Header=BB241_16 Depth=1
	v_mov_b32_e32 v1, 0x80
	v_mov_b32_e32 v70, v77
	buffer_store_dword v70, off, s[0:3], s32 offset:668 ; 4-byte Folded Spill
	buffer_store_dword v71, off, s[0:3], s32 offset:672 ; 4-byte Folded Spill
	v_cmp_ne_u16_sdwa s5, v0, v1 src0_sel:BYTE_1 src1_sel:DWORD
	s_and_saveexec_b32 s24, s5
	s_cbranch_execz .LBB241_450
; %bb.445:                              ;   in Loop: Header=BB241_16 Depth=1
	s_clause 0x1
	buffer_load_dword v3, off, s[0:3], s32 offset:200
	buffer_load_dword v4, off, s[0:3], s32 offset:204
	v_mov_b32_e32 v1, 0xffff
	s_mov_b32 s25, exec_lo
	v_and_b32_sdwa v1, v1, v0 dst_sel:DWORD dst_unused:UNUSED_PAD src0_sel:DWORD src1_sel:BYTE_1
	v_and_b32_e32 v2, 0x7f, v1
	s_waitcnt vmcnt(0)
	v_mov_b32_e32 v5, v4
	v_mov_b32_e32 v4, v77
	v_mov_b32_e32 v3, v5
	buffer_store_dword v2, off, s[0:3], s32 offset:200 ; 4-byte Folded Spill
	buffer_store_dword v3, off, s[0:3], s32 offset:204 ; 4-byte Folded Spill
	;; [unrolled: 1-line block ×4, first 2 shown]
	v_cmpx_ne_u32_e32 0x7f, v2
	s_cbranch_execz .LBB241_449
; %bb.446:                              ;   in Loop: Header=BB241_16 Depth=1
	v_and_b32_e32 v76, 7, v1
	v_lshrrev_b32_e32 v1, 3, v2
	s_mov_b32 s26, exec_lo
	v_cmpx_gt_u32_e32 8, v2
; %bb.447:                              ;   in Loop: Header=BB241_16 Depth=1
	v_ffbh_u32_e32 v1, v76
	v_min_u32_e32 v1, 32, v1
	v_subrev_nc_u32_e32 v2, 28, v1
	v_sub_nc_u32_e32 v1, 29, v1
	v_lshlrev_b64 v[2:3], v2, v[76:77]
	v_and_b32_e32 v76, 7, v2
; %bb.448:                              ;   in Loop: Header=BB241_16 Depth=1
	s_or_b32 exec_lo, exec_lo, s26
	v_lshlrev_b32_e32 v2, 16, v0
	v_lshlrev_b32_e32 v3, 20, v76
	v_lshl_add_u32 v1, v1, 23, 0x3c000000
	v_and_b32_e32 v2, 0x80000000, v2
	v_or3_b32 v2, v3, v2, v1
	v_mov_b32_e32 v1, v77
	buffer_store_dword v1, off, s[0:3], s32 offset:668 ; 4-byte Folded Spill
	buffer_store_dword v2, off, s[0:3], s32 offset:672 ; 4-byte Folded Spill
.LBB241_449:                            ;   in Loop: Header=BB241_16 Depth=1
	s_or_b32 exec_lo, exec_lo, s25
.LBB241_450:                            ;   in Loop: Header=BB241_16 Depth=1
	s_or_b32 exec_lo, exec_lo, s24
.LBB241_451:                            ;   in Loop: Header=BB241_16 Depth=1
	s_or_b32 exec_lo, exec_lo, s23
	v_mov_b32_e32 v2, 0
	v_mov_b32_e32 v3, 0
	;; [unrolled: 1-line block ×3, first 2 shown]
	s_mov_b32 s23, exec_lo
	buffer_store_dword v2, off, s[0:3], s32 offset:676 ; 4-byte Folded Spill
	buffer_store_dword v3, off, s[0:3], s32 offset:680 ; 4-byte Folded Spill
	v_mov_b32_e32 v2, 0
	v_and_b32_sdwa v1, v0, v1 dst_sel:DWORD dst_unused:UNUSED_PAD src0_sel:WORD_1 src1_sel:DWORD
	v_mov_b32_e32 v3, 0
	buffer_store_dword v2, off, s[0:3], s32 offset:684 ; 4-byte Folded Spill
	buffer_store_dword v3, off, s[0:3], s32 offset:688 ; 4-byte Folded Spill
	v_cmpx_ne_u16_e32 0, v1
	s_cbranch_execz .LBB241_459
; %bb.452:                              ;   in Loop: Header=BB241_16 Depth=1
	v_cmp_ne_u16_e64 s5, 0x80, v1
	v_bfrev_b32_e32 v1, 1
	v_mov_b32_e32 v2, 0
	buffer_store_dword v1, off, s[0:3], s32 offset:684 ; 4-byte Folded Spill
	buffer_store_dword v2, off, s[0:3], s32 offset:688 ; 4-byte Folded Spill
	s_and_saveexec_b32 s24, s5
	s_cbranch_execz .LBB241_458
; %bb.453:                              ;   in Loop: Header=BB241_16 Depth=1
	v_mov_b32_e32 v3, 0x7f800001
	v_bfe_u32 v2, v0, 16, 7
	v_mov_b32_e32 v4, 0
	s_mov_b32 s25, exec_lo
	buffer_store_dword v3, off, s[0:3], s32 offset:684 ; 4-byte Folded Spill
	buffer_store_dword v4, off, s[0:3], s32 offset:688 ; 4-byte Folded Spill
	v_cmpx_ne_u32_e32 0x7f, v2
	s_cbranch_execz .LBB241_457
; %bb.454:                              ;   in Loop: Header=BB241_16 Depth=1
	v_mov_b32_e32 v1, 7
	s_mov_b32 s26, exec_lo
	v_and_b32_sdwa v76, v0, v1 dst_sel:DWORD dst_unused:UNUSED_PAD src0_sel:WORD_1 src1_sel:DWORD
	v_lshrrev_b32_e32 v1, 3, v2
	v_cmpx_gt_u32_e32 8, v2
; %bb.455:                              ;   in Loop: Header=BB241_16 Depth=1
	v_ffbh_u32_e32 v1, v76
	v_min_u32_e32 v1, 32, v1
	v_subrev_nc_u32_e32 v2, 28, v1
	v_sub_nc_u32_e32 v1, 29, v1
	v_lshlrev_b64 v[2:3], v2, v[76:77]
	v_and_b32_e32 v76, 7, v2
; %bb.456:                              ;   in Loop: Header=BB241_16 Depth=1
	s_or_b32 exec_lo, exec_lo, s26
	v_mov_b32_e32 v2, 24
	v_lshlrev_b32_e32 v3, 20, v76
	v_lshl_add_u32 v1, v1, 23, 0x3c000000
	v_lshlrev_b32_sdwa v2, v2, v0 dst_sel:DWORD dst_unused:UNUSED_PAD src0_sel:DWORD src1_sel:WORD_1
	v_and_b32_e32 v2, 0x80000000, v2
	v_or3_b32 v76, v3, v2, v1
	buffer_store_dword v76, off, s[0:3], s32 offset:684 ; 4-byte Folded Spill
	buffer_store_dword v77, off, s[0:3], s32 offset:688 ; 4-byte Folded Spill
.LBB241_457:                            ;   in Loop: Header=BB241_16 Depth=1
	s_or_b32 exec_lo, exec_lo, s25
.LBB241_458:                            ;   in Loop: Header=BB241_16 Depth=1
	s_or_b32 exec_lo, exec_lo, s24
.LBB241_459:                            ;   in Loop: Header=BB241_16 Depth=1
	s_or_b32 exec_lo, exec_lo, s23
	s_mov_b32 s23, exec_lo
	v_cmpx_lt_u32_e32 0xffffff, v0
	s_cbranch_execz .LBB241_467
; %bb.460:                              ;   in Loop: Header=BB241_16 Depth=1
	v_mov_b32_e32 v1, 0x80
	v_mov_b32_e32 v70, v77
	buffer_store_dword v70, off, s[0:3], s32 offset:676 ; 4-byte Folded Spill
	buffer_store_dword v71, off, s[0:3], s32 offset:680 ; 4-byte Folded Spill
	v_cmp_ne_u32_sdwa s5, v0, v1 src0_sel:BYTE_3 src1_sel:DWORD
	s_and_saveexec_b32 s24, s5
	s_cbranch_execz .LBB241_466
; %bb.461:                              ;   in Loop: Header=BB241_16 Depth=1
	s_clause 0x1
	buffer_load_dword v3, off, s[0:3], s32 offset:200
	buffer_load_dword v4, off, s[0:3], s32 offset:204
	v_bfe_u32 v2, v0, 24, 7
	s_waitcnt vmcnt(1)
	v_mov_b32_e32 v3, v77
	s_mov_b32 s25, exec_lo
	s_waitcnt vmcnt(0)
	v_mov_b32_e32 v1, v4
	buffer_store_dword v0, off, s[0:3], s32 offset:200 ; 4-byte Folded Spill
	buffer_store_dword v1, off, s[0:3], s32 offset:204 ; 4-byte Folded Spill
	;; [unrolled: 1-line block ×4, first 2 shown]
	v_cmpx_ne_u32_e32 0x7f, v2
	s_cbranch_execz .LBB241_465
; %bb.462:                              ;   in Loop: Header=BB241_16 Depth=1
	v_mov_b32_e32 v1, 7
	s_mov_b32 s26, exec_lo
	v_and_b32_sdwa v76, v0, v1 dst_sel:DWORD dst_unused:UNUSED_PAD src0_sel:BYTE_3 src1_sel:DWORD
	v_lshrrev_b32_e32 v1, 3, v2
	v_cmpx_gt_u32_e32 8, v2
; %bb.463:                              ;   in Loop: Header=BB241_16 Depth=1
	v_ffbh_u32_e32 v1, v76
	v_min_u32_e32 v1, 32, v1
	v_subrev_nc_u32_e32 v2, 28, v1
	v_sub_nc_u32_e32 v1, 29, v1
	v_lshlrev_b64 v[2:3], v2, v[76:77]
	v_and_b32_e32 v76, 7, v2
; %bb.464:                              ;   in Loop: Header=BB241_16 Depth=1
	s_or_b32 exec_lo, exec_lo, s26
	v_mov_b32_e32 v2, 24
	v_lshl_add_u32 v1, v1, 23, 0x3c000000
	v_lshlrev_b32_sdwa v0, v2, v0 dst_sel:DWORD dst_unused:UNUSED_PAD src0_sel:DWORD src1_sel:BYTE_3
	v_lshlrev_b32_e32 v2, 20, v76
	v_and_b32_e32 v0, 0x80000000, v0
	v_or3_b32 v1, v2, v0, v1
	v_mov_b32_e32 v0, v77
	buffer_store_dword v0, off, s[0:3], s32 offset:676 ; 4-byte Folded Spill
	buffer_store_dword v1, off, s[0:3], s32 offset:680 ; 4-byte Folded Spill
.LBB241_465:                            ;   in Loop: Header=BB241_16 Depth=1
	s_or_b32 exec_lo, exec_lo, s25
.LBB241_466:                            ;   in Loop: Header=BB241_16 Depth=1
	s_or_b32 exec_lo, exec_lo, s24
.LBB241_467:                            ;   in Loop: Header=BB241_16 Depth=1
	s_or_b32 exec_lo, exec_lo, s23
	flat_load_dword v0, v[8:9] offset:1544
	v_mov_b32_e32 v1, 0
	v_mov_b32_e32 v2, 0
	buffer_store_dword v1, off, s[0:3], s32 offset:700 ; 4-byte Folded Spill
	buffer_store_dword v2, off, s[0:3], s32 offset:704 ; 4-byte Folded Spill
	v_mov_b32_e32 v1, 0
	v_mov_b32_e32 v2, 0
	buffer_store_dword v1, off, s[0:3], s32 offset:692 ; 4-byte Folded Spill
	buffer_store_dword v2, off, s[0:3], s32 offset:696 ; 4-byte Folded Spill
	s_waitcnt vmcnt(0) lgkmcnt(0)
	v_cmp_ne_u16_sdwa s5, v0, v77 src0_sel:BYTE_0 src1_sel:DWORD
	s_and_saveexec_b32 s23, s5
	s_cbranch_execz .LBB241_475
; %bb.468:                              ;   in Loop: Header=BB241_16 Depth=1
	v_bfrev_b32_e32 v1, 1
	v_mov_b32_e32 v2, 0
	buffer_store_dword v1, off, s[0:3], s32 offset:692 ; 4-byte Folded Spill
	buffer_store_dword v2, off, s[0:3], s32 offset:696 ; 4-byte Folded Spill
	v_mov_b32_e32 v1, 0x80
	v_cmp_ne_u16_sdwa s5, v0, v1 src0_sel:BYTE_0 src1_sel:DWORD
	s_and_saveexec_b32 s24, s5
	s_cbranch_execz .LBB241_474
; %bb.469:                              ;   in Loop: Header=BB241_16 Depth=1
	v_mov_b32_e32 v3, 0x7f800001
	v_and_b32_e32 v2, 0x7f, v0
	v_mov_b32_e32 v4, 0
	s_mov_b32 s25, exec_lo
	buffer_store_dword v3, off, s[0:3], s32 offset:692 ; 4-byte Folded Spill
	buffer_store_dword v4, off, s[0:3], s32 offset:696 ; 4-byte Folded Spill
	v_cmpx_ne_u32_e32 0x7f, v2
	s_cbranch_execz .LBB241_473
; %bb.470:                              ;   in Loop: Header=BB241_16 Depth=1
	v_and_b32_e32 v76, 7, v0
	v_lshrrev_b32_e32 v1, 3, v2
	s_mov_b32 s26, exec_lo
	v_cmpx_gt_u32_e32 8, v2
; %bb.471:                              ;   in Loop: Header=BB241_16 Depth=1
	v_ffbh_u32_e32 v1, v76
	v_min_u32_e32 v1, 32, v1
	v_subrev_nc_u32_e32 v2, 28, v1
	v_sub_nc_u32_e32 v1, 29, v1
	v_lshlrev_b64 v[2:3], v2, v[76:77]
	v_and_b32_e32 v76, 7, v2
; %bb.472:                              ;   in Loop: Header=BB241_16 Depth=1
	s_or_b32 exec_lo, exec_lo, s26
	v_lshlrev_b32_e32 v2, 24, v0
	v_lshlrev_b32_e32 v3, 20, v76
	v_lshl_add_u32 v1, v1, 23, 0x3c000000
	v_and_b32_e32 v2, 0x80000000, v2
	v_or3_b32 v76, v3, v2, v1
	buffer_store_dword v76, off, s[0:3], s32 offset:692 ; 4-byte Folded Spill
	buffer_store_dword v77, off, s[0:3], s32 offset:696 ; 4-byte Folded Spill
.LBB241_473:                            ;   in Loop: Header=BB241_16 Depth=1
	s_or_b32 exec_lo, exec_lo, s25
.LBB241_474:                            ;   in Loop: Header=BB241_16 Depth=1
	s_or_b32 exec_lo, exec_lo, s24
.LBB241_475:                            ;   in Loop: Header=BB241_16 Depth=1
	s_or_b32 exec_lo, exec_lo, s23
	v_cmp_ne_u16_sdwa s5, v0, v77 src0_sel:BYTE_1 src1_sel:DWORD
	s_and_saveexec_b32 s23, s5
	s_cbranch_execz .LBB241_483
; %bb.476:                              ;   in Loop: Header=BB241_16 Depth=1
	v_mov_b32_e32 v1, 0x80
	v_mov_b32_e32 v70, v77
	buffer_store_dword v70, off, s[0:3], s32 offset:700 ; 4-byte Folded Spill
	buffer_store_dword v71, off, s[0:3], s32 offset:704 ; 4-byte Folded Spill
	v_cmp_ne_u16_sdwa s5, v0, v1 src0_sel:BYTE_1 src1_sel:DWORD
	s_and_saveexec_b32 s24, s5
	s_cbranch_execz .LBB241_482
; %bb.477:                              ;   in Loop: Header=BB241_16 Depth=1
	s_clause 0x1
	buffer_load_dword v3, off, s[0:3], s32 offset:200
	buffer_load_dword v4, off, s[0:3], s32 offset:204
	v_mov_b32_e32 v1, 0xffff
	s_mov_b32 s25, exec_lo
	v_and_b32_sdwa v1, v1, v0 dst_sel:DWORD dst_unused:UNUSED_PAD src0_sel:DWORD src1_sel:BYTE_1
	v_and_b32_e32 v2, 0x7f, v1
	s_waitcnt vmcnt(0)
	v_mov_b32_e32 v5, v4
	v_mov_b32_e32 v4, v77
	;; [unrolled: 1-line block ×3, first 2 shown]
	buffer_store_dword v2, off, s[0:3], s32 offset:200 ; 4-byte Folded Spill
	buffer_store_dword v3, off, s[0:3], s32 offset:204 ; 4-byte Folded Spill
	;; [unrolled: 1-line block ×4, first 2 shown]
	v_cmpx_ne_u32_e32 0x7f, v2
	s_cbranch_execz .LBB241_481
; %bb.478:                              ;   in Loop: Header=BB241_16 Depth=1
	v_and_b32_e32 v76, 7, v1
	v_lshrrev_b32_e32 v1, 3, v2
	s_mov_b32 s26, exec_lo
	v_cmpx_gt_u32_e32 8, v2
; %bb.479:                              ;   in Loop: Header=BB241_16 Depth=1
	v_ffbh_u32_e32 v1, v76
	v_min_u32_e32 v1, 32, v1
	v_subrev_nc_u32_e32 v2, 28, v1
	v_sub_nc_u32_e32 v1, 29, v1
	v_lshlrev_b64 v[2:3], v2, v[76:77]
	v_and_b32_e32 v76, 7, v2
; %bb.480:                              ;   in Loop: Header=BB241_16 Depth=1
	s_or_b32 exec_lo, exec_lo, s26
	v_lshlrev_b32_e32 v2, 16, v0
	v_lshlrev_b32_e32 v3, 20, v76
	v_lshl_add_u32 v1, v1, 23, 0x3c000000
	v_and_b32_e32 v2, 0x80000000, v2
	v_or3_b32 v2, v3, v2, v1
	v_mov_b32_e32 v1, v77
	buffer_store_dword v1, off, s[0:3], s32 offset:700 ; 4-byte Folded Spill
	buffer_store_dword v2, off, s[0:3], s32 offset:704 ; 4-byte Folded Spill
.LBB241_481:                            ;   in Loop: Header=BB241_16 Depth=1
	s_or_b32 exec_lo, exec_lo, s25
.LBB241_482:                            ;   in Loop: Header=BB241_16 Depth=1
	s_or_b32 exec_lo, exec_lo, s24
.LBB241_483:                            ;   in Loop: Header=BB241_16 Depth=1
	s_or_b32 exec_lo, exec_lo, s23
	v_mov_b32_e32 v2, 0
	v_mov_b32_e32 v3, 0
	;; [unrolled: 1-line block ×3, first 2 shown]
	s_mov_b32 s23, exec_lo
	buffer_store_dword v2, off, s[0:3], s32 offset:708 ; 4-byte Folded Spill
	buffer_store_dword v3, off, s[0:3], s32 offset:712 ; 4-byte Folded Spill
	v_mov_b32_e32 v2, 0
	v_and_b32_sdwa v1, v0, v1 dst_sel:DWORD dst_unused:UNUSED_PAD src0_sel:WORD_1 src1_sel:DWORD
	v_mov_b32_e32 v3, 0
	buffer_store_dword v2, off, s[0:3], s32 offset:716 ; 4-byte Folded Spill
	buffer_store_dword v3, off, s[0:3], s32 offset:720 ; 4-byte Folded Spill
	v_cmpx_ne_u16_e32 0, v1
	s_cbranch_execz .LBB241_491
; %bb.484:                              ;   in Loop: Header=BB241_16 Depth=1
	v_cmp_ne_u16_e64 s5, 0x80, v1
	v_bfrev_b32_e32 v1, 1
	v_mov_b32_e32 v2, 0
	buffer_store_dword v1, off, s[0:3], s32 offset:716 ; 4-byte Folded Spill
	buffer_store_dword v2, off, s[0:3], s32 offset:720 ; 4-byte Folded Spill
	s_and_saveexec_b32 s24, s5
	s_cbranch_execz .LBB241_490
; %bb.485:                              ;   in Loop: Header=BB241_16 Depth=1
	v_mov_b32_e32 v3, 0x7f800001
	v_bfe_u32 v2, v0, 16, 7
	v_mov_b32_e32 v4, 0
	s_mov_b32 s25, exec_lo
	buffer_store_dword v3, off, s[0:3], s32 offset:716 ; 4-byte Folded Spill
	buffer_store_dword v4, off, s[0:3], s32 offset:720 ; 4-byte Folded Spill
	v_cmpx_ne_u32_e32 0x7f, v2
	s_cbranch_execz .LBB241_489
; %bb.486:                              ;   in Loop: Header=BB241_16 Depth=1
	v_mov_b32_e32 v1, 7
	s_mov_b32 s26, exec_lo
	v_and_b32_sdwa v76, v0, v1 dst_sel:DWORD dst_unused:UNUSED_PAD src0_sel:WORD_1 src1_sel:DWORD
	v_lshrrev_b32_e32 v1, 3, v2
	v_cmpx_gt_u32_e32 8, v2
; %bb.487:                              ;   in Loop: Header=BB241_16 Depth=1
	v_ffbh_u32_e32 v1, v76
	v_min_u32_e32 v1, 32, v1
	v_subrev_nc_u32_e32 v2, 28, v1
	v_sub_nc_u32_e32 v1, 29, v1
	v_lshlrev_b64 v[2:3], v2, v[76:77]
	v_and_b32_e32 v76, 7, v2
; %bb.488:                              ;   in Loop: Header=BB241_16 Depth=1
	s_or_b32 exec_lo, exec_lo, s26
	v_mov_b32_e32 v2, 24
	v_lshlrev_b32_e32 v3, 20, v76
	v_lshl_add_u32 v1, v1, 23, 0x3c000000
	v_lshlrev_b32_sdwa v2, v2, v0 dst_sel:DWORD dst_unused:UNUSED_PAD src0_sel:DWORD src1_sel:WORD_1
	v_and_b32_e32 v2, 0x80000000, v2
	v_or3_b32 v76, v3, v2, v1
	buffer_store_dword v76, off, s[0:3], s32 offset:716 ; 4-byte Folded Spill
	buffer_store_dword v77, off, s[0:3], s32 offset:720 ; 4-byte Folded Spill
.LBB241_489:                            ;   in Loop: Header=BB241_16 Depth=1
	s_or_b32 exec_lo, exec_lo, s25
.LBB241_490:                            ;   in Loop: Header=BB241_16 Depth=1
	s_or_b32 exec_lo, exec_lo, s24
.LBB241_491:                            ;   in Loop: Header=BB241_16 Depth=1
	s_or_b32 exec_lo, exec_lo, s23
	s_mov_b32 s23, exec_lo
	v_cmpx_lt_u32_e32 0xffffff, v0
	s_cbranch_execz .LBB241_499
; %bb.492:                              ;   in Loop: Header=BB241_16 Depth=1
	v_mov_b32_e32 v1, 0x80
	v_mov_b32_e32 v70, v77
	buffer_store_dword v70, off, s[0:3], s32 offset:708 ; 4-byte Folded Spill
	buffer_store_dword v71, off, s[0:3], s32 offset:712 ; 4-byte Folded Spill
	v_cmp_ne_u32_sdwa s5, v0, v1 src0_sel:BYTE_3 src1_sel:DWORD
	s_and_saveexec_b32 s24, s5
	s_cbranch_execz .LBB241_498
; %bb.493:                              ;   in Loop: Header=BB241_16 Depth=1
	s_clause 0x1
	buffer_load_dword v3, off, s[0:3], s32 offset:200
	buffer_load_dword v4, off, s[0:3], s32 offset:204
	v_bfe_u32 v2, v0, 24, 7
	s_waitcnt vmcnt(1)
	v_mov_b32_e32 v3, v77
	s_mov_b32 s25, exec_lo
	s_waitcnt vmcnt(0)
	v_mov_b32_e32 v1, v4
	buffer_store_dword v0, off, s[0:3], s32 offset:200 ; 4-byte Folded Spill
	buffer_store_dword v1, off, s[0:3], s32 offset:204 ; 4-byte Folded Spill
	;; [unrolled: 1-line block ×4, first 2 shown]
	v_cmpx_ne_u32_e32 0x7f, v2
	s_cbranch_execz .LBB241_497
; %bb.494:                              ;   in Loop: Header=BB241_16 Depth=1
	v_mov_b32_e32 v1, 7
	s_mov_b32 s26, exec_lo
	v_and_b32_sdwa v76, v0, v1 dst_sel:DWORD dst_unused:UNUSED_PAD src0_sel:BYTE_3 src1_sel:DWORD
	v_lshrrev_b32_e32 v1, 3, v2
	v_cmpx_gt_u32_e32 8, v2
; %bb.495:                              ;   in Loop: Header=BB241_16 Depth=1
	v_ffbh_u32_e32 v1, v76
	v_min_u32_e32 v1, 32, v1
	v_subrev_nc_u32_e32 v2, 28, v1
	v_sub_nc_u32_e32 v1, 29, v1
	v_lshlrev_b64 v[2:3], v2, v[76:77]
	v_and_b32_e32 v76, 7, v2
; %bb.496:                              ;   in Loop: Header=BB241_16 Depth=1
	s_or_b32 exec_lo, exec_lo, s26
	v_mov_b32_e32 v2, 24
	v_lshl_add_u32 v1, v1, 23, 0x3c000000
	v_lshlrev_b32_sdwa v0, v2, v0 dst_sel:DWORD dst_unused:UNUSED_PAD src0_sel:DWORD src1_sel:BYTE_3
	v_lshlrev_b32_e32 v2, 20, v76
	v_and_b32_e32 v0, 0x80000000, v0
	v_or3_b32 v1, v2, v0, v1
	v_mov_b32_e32 v0, v77
	buffer_store_dword v0, off, s[0:3], s32 offset:708 ; 4-byte Folded Spill
	buffer_store_dword v1, off, s[0:3], s32 offset:712 ; 4-byte Folded Spill
.LBB241_497:                            ;   in Loop: Header=BB241_16 Depth=1
	s_or_b32 exec_lo, exec_lo, s25
.LBB241_498:                            ;   in Loop: Header=BB241_16 Depth=1
	s_or_b32 exec_lo, exec_lo, s24
.LBB241_499:                            ;   in Loop: Header=BB241_16 Depth=1
	s_or_b32 exec_lo, exec_lo, s23
	flat_load_dword v0, v[8:9] offset:1548
	v_mov_b32_e32 v1, 0
	v_mov_b32_e32 v2, 0
	buffer_store_dword v1, off, s[0:3], s32 offset:732 ; 4-byte Folded Spill
	buffer_store_dword v2, off, s[0:3], s32 offset:736 ; 4-byte Folded Spill
	v_mov_b32_e32 v1, 0
	v_mov_b32_e32 v2, 0
	buffer_store_dword v1, off, s[0:3], s32 offset:724 ; 4-byte Folded Spill
	buffer_store_dword v2, off, s[0:3], s32 offset:728 ; 4-byte Folded Spill
	s_waitcnt vmcnt(0) lgkmcnt(0)
	v_cmp_ne_u16_sdwa s5, v0, v77 src0_sel:BYTE_0 src1_sel:DWORD
	s_and_saveexec_b32 s23, s5
	s_cbranch_execz .LBB241_507
; %bb.500:                              ;   in Loop: Header=BB241_16 Depth=1
	v_bfrev_b32_e32 v1, 1
	v_mov_b32_e32 v2, 0
	buffer_store_dword v1, off, s[0:3], s32 offset:724 ; 4-byte Folded Spill
	buffer_store_dword v2, off, s[0:3], s32 offset:728 ; 4-byte Folded Spill
	v_mov_b32_e32 v1, 0x80
	v_cmp_ne_u16_sdwa s5, v0, v1 src0_sel:BYTE_0 src1_sel:DWORD
	s_and_saveexec_b32 s24, s5
	s_cbranch_execz .LBB241_506
; %bb.501:                              ;   in Loop: Header=BB241_16 Depth=1
	v_mov_b32_e32 v3, 0x7f800001
	v_and_b32_e32 v2, 0x7f, v0
	v_mov_b32_e32 v4, 0
	s_mov_b32 s25, exec_lo
	buffer_store_dword v3, off, s[0:3], s32 offset:724 ; 4-byte Folded Spill
	buffer_store_dword v4, off, s[0:3], s32 offset:728 ; 4-byte Folded Spill
	v_cmpx_ne_u32_e32 0x7f, v2
	s_cbranch_execz .LBB241_505
; %bb.502:                              ;   in Loop: Header=BB241_16 Depth=1
	v_and_b32_e32 v76, 7, v0
	v_lshrrev_b32_e32 v1, 3, v2
	s_mov_b32 s26, exec_lo
	v_cmpx_gt_u32_e32 8, v2
; %bb.503:                              ;   in Loop: Header=BB241_16 Depth=1
	v_ffbh_u32_e32 v1, v76
	v_min_u32_e32 v1, 32, v1
	v_subrev_nc_u32_e32 v2, 28, v1
	v_sub_nc_u32_e32 v1, 29, v1
	v_lshlrev_b64 v[2:3], v2, v[76:77]
	v_and_b32_e32 v76, 7, v2
; %bb.504:                              ;   in Loop: Header=BB241_16 Depth=1
	s_or_b32 exec_lo, exec_lo, s26
	v_lshlrev_b32_e32 v2, 24, v0
	v_lshlrev_b32_e32 v3, 20, v76
	v_lshl_add_u32 v1, v1, 23, 0x3c000000
	v_and_b32_e32 v2, 0x80000000, v2
	v_or3_b32 v76, v3, v2, v1
	buffer_store_dword v76, off, s[0:3], s32 offset:724 ; 4-byte Folded Spill
	buffer_store_dword v77, off, s[0:3], s32 offset:728 ; 4-byte Folded Spill
.LBB241_505:                            ;   in Loop: Header=BB241_16 Depth=1
	s_or_b32 exec_lo, exec_lo, s25
.LBB241_506:                            ;   in Loop: Header=BB241_16 Depth=1
	s_or_b32 exec_lo, exec_lo, s24
.LBB241_507:                            ;   in Loop: Header=BB241_16 Depth=1
	s_or_b32 exec_lo, exec_lo, s23
	v_cmp_ne_u16_sdwa s5, v0, v77 src0_sel:BYTE_1 src1_sel:DWORD
	s_and_saveexec_b32 s23, s5
	s_cbranch_execz .LBB241_515
; %bb.508:                              ;   in Loop: Header=BB241_16 Depth=1
	v_mov_b32_e32 v1, 0x80
	v_mov_b32_e32 v70, v77
	buffer_store_dword v70, off, s[0:3], s32 offset:732 ; 4-byte Folded Spill
	buffer_store_dword v71, off, s[0:3], s32 offset:736 ; 4-byte Folded Spill
	v_cmp_ne_u16_sdwa s5, v0, v1 src0_sel:BYTE_1 src1_sel:DWORD
	s_and_saveexec_b32 s24, s5
	s_cbranch_execz .LBB241_514
; %bb.509:                              ;   in Loop: Header=BB241_16 Depth=1
	s_clause 0x1
	buffer_load_dword v3, off, s[0:3], s32 offset:200
	buffer_load_dword v4, off, s[0:3], s32 offset:204
	v_mov_b32_e32 v1, 0xffff
	s_mov_b32 s25, exec_lo
	v_and_b32_sdwa v1, v1, v0 dst_sel:DWORD dst_unused:UNUSED_PAD src0_sel:DWORD src1_sel:BYTE_1
	v_and_b32_e32 v2, 0x7f, v1
	s_waitcnt vmcnt(0)
	v_mov_b32_e32 v5, v4
	v_mov_b32_e32 v4, v77
	v_mov_b32_e32 v3, v5
	buffer_store_dword v2, off, s[0:3], s32 offset:200 ; 4-byte Folded Spill
	buffer_store_dword v3, off, s[0:3], s32 offset:204 ; 4-byte Folded Spill
	;; [unrolled: 1-line block ×4, first 2 shown]
	v_cmpx_ne_u32_e32 0x7f, v2
	s_cbranch_execz .LBB241_513
; %bb.510:                              ;   in Loop: Header=BB241_16 Depth=1
	v_and_b32_e32 v76, 7, v1
	v_lshrrev_b32_e32 v1, 3, v2
	s_mov_b32 s26, exec_lo
	v_cmpx_gt_u32_e32 8, v2
; %bb.511:                              ;   in Loop: Header=BB241_16 Depth=1
	v_ffbh_u32_e32 v1, v76
	v_min_u32_e32 v1, 32, v1
	v_subrev_nc_u32_e32 v2, 28, v1
	v_sub_nc_u32_e32 v1, 29, v1
	v_lshlrev_b64 v[2:3], v2, v[76:77]
	v_and_b32_e32 v76, 7, v2
; %bb.512:                              ;   in Loop: Header=BB241_16 Depth=1
	s_or_b32 exec_lo, exec_lo, s26
	v_lshlrev_b32_e32 v2, 16, v0
	v_lshlrev_b32_e32 v3, 20, v76
	v_lshl_add_u32 v1, v1, 23, 0x3c000000
	v_and_b32_e32 v2, 0x80000000, v2
	v_or3_b32 v2, v3, v2, v1
	v_mov_b32_e32 v1, v77
	buffer_store_dword v1, off, s[0:3], s32 offset:732 ; 4-byte Folded Spill
	buffer_store_dword v2, off, s[0:3], s32 offset:736 ; 4-byte Folded Spill
.LBB241_513:                            ;   in Loop: Header=BB241_16 Depth=1
	s_or_b32 exec_lo, exec_lo, s25
.LBB241_514:                            ;   in Loop: Header=BB241_16 Depth=1
	s_or_b32 exec_lo, exec_lo, s24
.LBB241_515:                            ;   in Loop: Header=BB241_16 Depth=1
	s_or_b32 exec_lo, exec_lo, s23
	v_mov_b32_e32 v2, 0
	v_mov_b32_e32 v3, 0
	;; [unrolled: 1-line block ×3, first 2 shown]
	s_mov_b32 s23, exec_lo
	buffer_store_dword v2, off, s[0:3], s32 offset:740 ; 4-byte Folded Spill
	buffer_store_dword v3, off, s[0:3], s32 offset:744 ; 4-byte Folded Spill
	v_mov_b32_e32 v2, 0
	v_and_b32_sdwa v1, v0, v1 dst_sel:DWORD dst_unused:UNUSED_PAD src0_sel:WORD_1 src1_sel:DWORD
	v_mov_b32_e32 v3, 0
	buffer_store_dword v2, off, s[0:3], s32 offset:748 ; 4-byte Folded Spill
	buffer_store_dword v3, off, s[0:3], s32 offset:752 ; 4-byte Folded Spill
	v_cmpx_ne_u16_e32 0, v1
	s_cbranch_execz .LBB241_523
; %bb.516:                              ;   in Loop: Header=BB241_16 Depth=1
	v_cmp_ne_u16_e64 s5, 0x80, v1
	v_bfrev_b32_e32 v1, 1
	v_mov_b32_e32 v2, 0
	buffer_store_dword v1, off, s[0:3], s32 offset:748 ; 4-byte Folded Spill
	buffer_store_dword v2, off, s[0:3], s32 offset:752 ; 4-byte Folded Spill
	s_and_saveexec_b32 s24, s5
	s_cbranch_execz .LBB241_522
; %bb.517:                              ;   in Loop: Header=BB241_16 Depth=1
	v_mov_b32_e32 v3, 0x7f800001
	v_bfe_u32 v2, v0, 16, 7
	v_mov_b32_e32 v4, 0
	s_mov_b32 s25, exec_lo
	buffer_store_dword v3, off, s[0:3], s32 offset:748 ; 4-byte Folded Spill
	buffer_store_dword v4, off, s[0:3], s32 offset:752 ; 4-byte Folded Spill
	v_cmpx_ne_u32_e32 0x7f, v2
	s_cbranch_execz .LBB241_521
; %bb.518:                              ;   in Loop: Header=BB241_16 Depth=1
	v_mov_b32_e32 v1, 7
	s_mov_b32 s26, exec_lo
	v_and_b32_sdwa v76, v0, v1 dst_sel:DWORD dst_unused:UNUSED_PAD src0_sel:WORD_1 src1_sel:DWORD
	v_lshrrev_b32_e32 v1, 3, v2
	v_cmpx_gt_u32_e32 8, v2
; %bb.519:                              ;   in Loop: Header=BB241_16 Depth=1
	v_ffbh_u32_e32 v1, v76
	v_min_u32_e32 v1, 32, v1
	v_subrev_nc_u32_e32 v2, 28, v1
	v_sub_nc_u32_e32 v1, 29, v1
	v_lshlrev_b64 v[2:3], v2, v[76:77]
	v_and_b32_e32 v76, 7, v2
; %bb.520:                              ;   in Loop: Header=BB241_16 Depth=1
	s_or_b32 exec_lo, exec_lo, s26
	v_mov_b32_e32 v2, 24
	v_lshlrev_b32_e32 v3, 20, v76
	v_lshl_add_u32 v1, v1, 23, 0x3c000000
	v_lshlrev_b32_sdwa v2, v2, v0 dst_sel:DWORD dst_unused:UNUSED_PAD src0_sel:DWORD src1_sel:WORD_1
	v_and_b32_e32 v2, 0x80000000, v2
	v_or3_b32 v76, v3, v2, v1
	buffer_store_dword v76, off, s[0:3], s32 offset:748 ; 4-byte Folded Spill
	buffer_store_dword v77, off, s[0:3], s32 offset:752 ; 4-byte Folded Spill
.LBB241_521:                            ;   in Loop: Header=BB241_16 Depth=1
	s_or_b32 exec_lo, exec_lo, s25
.LBB241_522:                            ;   in Loop: Header=BB241_16 Depth=1
	s_or_b32 exec_lo, exec_lo, s24
.LBB241_523:                            ;   in Loop: Header=BB241_16 Depth=1
	s_or_b32 exec_lo, exec_lo, s23
	s_mov_b32 s23, exec_lo
	v_cmpx_lt_u32_e32 0xffffff, v0
	s_cbranch_execz .LBB241_531
; %bb.524:                              ;   in Loop: Header=BB241_16 Depth=1
	v_mov_b32_e32 v1, 0x80
	v_mov_b32_e32 v70, v77
	buffer_store_dword v70, off, s[0:3], s32 offset:740 ; 4-byte Folded Spill
	buffer_store_dword v71, off, s[0:3], s32 offset:744 ; 4-byte Folded Spill
	v_cmp_ne_u32_sdwa s5, v0, v1 src0_sel:BYTE_3 src1_sel:DWORD
	s_and_saveexec_b32 s24, s5
	s_cbranch_execz .LBB241_530
; %bb.525:                              ;   in Loop: Header=BB241_16 Depth=1
	s_clause 0x1
	buffer_load_dword v3, off, s[0:3], s32 offset:200
	buffer_load_dword v4, off, s[0:3], s32 offset:204
	v_bfe_u32 v2, v0, 24, 7
	s_waitcnt vmcnt(1)
	v_mov_b32_e32 v3, v77
	s_mov_b32 s25, exec_lo
	s_waitcnt vmcnt(0)
	v_mov_b32_e32 v1, v4
	buffer_store_dword v0, off, s[0:3], s32 offset:200 ; 4-byte Folded Spill
	buffer_store_dword v1, off, s[0:3], s32 offset:204 ; 4-byte Folded Spill
	buffer_store_dword v3, off, s[0:3], s32 offset:740 ; 4-byte Folded Spill
	buffer_store_dword v4, off, s[0:3], s32 offset:744 ; 4-byte Folded Spill
	v_cmpx_ne_u32_e32 0x7f, v2
	s_cbranch_execz .LBB241_529
; %bb.526:                              ;   in Loop: Header=BB241_16 Depth=1
	v_mov_b32_e32 v1, 7
	s_mov_b32 s26, exec_lo
	v_and_b32_sdwa v76, v0, v1 dst_sel:DWORD dst_unused:UNUSED_PAD src0_sel:BYTE_3 src1_sel:DWORD
	v_lshrrev_b32_e32 v1, 3, v2
	v_cmpx_gt_u32_e32 8, v2
; %bb.527:                              ;   in Loop: Header=BB241_16 Depth=1
	v_ffbh_u32_e32 v1, v76
	v_min_u32_e32 v1, 32, v1
	v_subrev_nc_u32_e32 v2, 28, v1
	v_sub_nc_u32_e32 v1, 29, v1
	v_lshlrev_b64 v[2:3], v2, v[76:77]
	v_and_b32_e32 v76, 7, v2
; %bb.528:                              ;   in Loop: Header=BB241_16 Depth=1
	s_or_b32 exec_lo, exec_lo, s26
	v_mov_b32_e32 v2, 24
	v_lshl_add_u32 v1, v1, 23, 0x3c000000
	v_lshlrev_b32_sdwa v0, v2, v0 dst_sel:DWORD dst_unused:UNUSED_PAD src0_sel:DWORD src1_sel:BYTE_3
	v_lshlrev_b32_e32 v2, 20, v76
	v_and_b32_e32 v0, 0x80000000, v0
	v_or3_b32 v1, v2, v0, v1
	v_mov_b32_e32 v0, v77
	buffer_store_dword v0, off, s[0:3], s32 offset:740 ; 4-byte Folded Spill
	buffer_store_dword v1, off, s[0:3], s32 offset:744 ; 4-byte Folded Spill
.LBB241_529:                            ;   in Loop: Header=BB241_16 Depth=1
	s_or_b32 exec_lo, exec_lo, s25
.LBB241_530:                            ;   in Loop: Header=BB241_16 Depth=1
	s_or_b32 exec_lo, exec_lo, s24
.LBB241_531:                            ;   in Loop: Header=BB241_16 Depth=1
	s_or_b32 exec_lo, exec_lo, s23
	v_add_co_u32 v0, s5, 0x800, v8
	v_add_co_ci_u32_e64 v1, null, 0, v9, s5
	v_mov_b32_e32 v3, 0
	v_mov_b32_e32 v4, 0
	flat_load_dword v2, v[0:1]
	buffer_store_dword v3, off, s[0:3], s32 offset:764 ; 4-byte Folded Spill
	buffer_store_dword v4, off, s[0:3], s32 offset:768 ; 4-byte Folded Spill
	v_mov_b32_e32 v3, 0
	v_mov_b32_e32 v4, 0
	buffer_store_dword v3, off, s[0:3], s32 offset:756 ; 4-byte Folded Spill
	buffer_store_dword v4, off, s[0:3], s32 offset:760 ; 4-byte Folded Spill
	s_waitcnt vmcnt(0) lgkmcnt(0)
	v_cmp_ne_u16_sdwa s5, v2, v77 src0_sel:BYTE_0 src1_sel:DWORD
	s_and_saveexec_b32 s23, s5
	s_cbranch_execz .LBB241_539
; %bb.532:                              ;   in Loop: Header=BB241_16 Depth=1
	v_bfrev_b32_e32 v3, 1
	v_mov_b32_e32 v4, 0
	buffer_store_dword v3, off, s[0:3], s32 offset:756 ; 4-byte Folded Spill
	buffer_store_dword v4, off, s[0:3], s32 offset:760 ; 4-byte Folded Spill
	v_mov_b32_e32 v3, 0x80
	v_cmp_ne_u16_sdwa s5, v2, v3 src0_sel:BYTE_0 src1_sel:DWORD
	s_and_saveexec_b32 s24, s5
	s_cbranch_execz .LBB241_538
; %bb.533:                              ;   in Loop: Header=BB241_16 Depth=1
	v_mov_b32_e32 v5, 0x7f800001
	v_and_b32_e32 v4, 0x7f, v2
	v_mov_b32_e32 v6, 0
	s_mov_b32 s25, exec_lo
	buffer_store_dword v5, off, s[0:3], s32 offset:756 ; 4-byte Folded Spill
	buffer_store_dword v6, off, s[0:3], s32 offset:760 ; 4-byte Folded Spill
	v_cmpx_ne_u32_e32 0x7f, v4
	s_cbranch_execz .LBB241_537
; %bb.534:                              ;   in Loop: Header=BB241_16 Depth=1
	v_and_b32_e32 v76, 7, v2
	v_lshrrev_b32_e32 v3, 3, v4
	s_mov_b32 s26, exec_lo
	v_cmpx_gt_u32_e32 8, v4
; %bb.535:                              ;   in Loop: Header=BB241_16 Depth=1
	v_ffbh_u32_e32 v3, v76
	v_min_u32_e32 v3, 32, v3
	v_subrev_nc_u32_e32 v4, 28, v3
	v_sub_nc_u32_e32 v3, 29, v3
	v_lshlrev_b64 v[4:5], v4, v[76:77]
	v_and_b32_e32 v76, 7, v4
; %bb.536:                              ;   in Loop: Header=BB241_16 Depth=1
	s_or_b32 exec_lo, exec_lo, s26
	v_lshlrev_b32_e32 v4, 24, v2
	v_lshlrev_b32_e32 v5, 20, v76
	v_lshl_add_u32 v3, v3, 23, 0x3c000000
	v_and_b32_e32 v4, 0x80000000, v4
	v_or3_b32 v76, v5, v4, v3
	buffer_store_dword v76, off, s[0:3], s32 offset:756 ; 4-byte Folded Spill
	buffer_store_dword v77, off, s[0:3], s32 offset:760 ; 4-byte Folded Spill
.LBB241_537:                            ;   in Loop: Header=BB241_16 Depth=1
	s_or_b32 exec_lo, exec_lo, s25
.LBB241_538:                            ;   in Loop: Header=BB241_16 Depth=1
	s_or_b32 exec_lo, exec_lo, s24
.LBB241_539:                            ;   in Loop: Header=BB241_16 Depth=1
	s_or_b32 exec_lo, exec_lo, s23
	v_cmp_ne_u16_sdwa s5, v2, v77 src0_sel:BYTE_1 src1_sel:DWORD
	s_and_saveexec_b32 s23, s5
	s_cbranch_execz .LBB241_547
; %bb.540:                              ;   in Loop: Header=BB241_16 Depth=1
	v_mov_b32_e32 v3, 0x80
	v_mov_b32_e32 v70, v77
	buffer_store_dword v70, off, s[0:3], s32 offset:764 ; 4-byte Folded Spill
	buffer_store_dword v71, off, s[0:3], s32 offset:768 ; 4-byte Folded Spill
	v_cmp_ne_u16_sdwa s5, v2, v3 src0_sel:BYTE_1 src1_sel:DWORD
	s_and_saveexec_b32 s24, s5
	s_cbranch_execz .LBB241_546
; %bb.541:                              ;   in Loop: Header=BB241_16 Depth=1
	s_clause 0x1
	buffer_load_dword v5, off, s[0:3], s32 offset:200
	buffer_load_dword v6, off, s[0:3], s32 offset:204
	v_mov_b32_e32 v3, 0xffff
	s_mov_b32 s25, exec_lo
	v_and_b32_sdwa v3, v3, v2 dst_sel:DWORD dst_unused:UNUSED_PAD src0_sel:DWORD src1_sel:BYTE_1
	v_and_b32_e32 v4, 0x7f, v3
	s_waitcnt vmcnt(0)
	v_mov_b32_e32 v7, v6
	v_mov_b32_e32 v6, v77
	;; [unrolled: 1-line block ×3, first 2 shown]
	buffer_store_dword v4, off, s[0:3], s32 offset:200 ; 4-byte Folded Spill
	buffer_store_dword v5, off, s[0:3], s32 offset:204 ; 4-byte Folded Spill
	;; [unrolled: 1-line block ×4, first 2 shown]
	v_cmpx_ne_u32_e32 0x7f, v4
	s_cbranch_execz .LBB241_545
; %bb.542:                              ;   in Loop: Header=BB241_16 Depth=1
	v_and_b32_e32 v76, 7, v3
	v_lshrrev_b32_e32 v3, 3, v4
	s_mov_b32 s26, exec_lo
	v_cmpx_gt_u32_e32 8, v4
; %bb.543:                              ;   in Loop: Header=BB241_16 Depth=1
	v_ffbh_u32_e32 v3, v76
	v_min_u32_e32 v3, 32, v3
	v_subrev_nc_u32_e32 v4, 28, v3
	v_sub_nc_u32_e32 v3, 29, v3
	v_lshlrev_b64 v[4:5], v4, v[76:77]
	v_and_b32_e32 v76, 7, v4
; %bb.544:                              ;   in Loop: Header=BB241_16 Depth=1
	s_or_b32 exec_lo, exec_lo, s26
	v_lshlrev_b32_e32 v4, 16, v2
	v_lshlrev_b32_e32 v5, 20, v76
	v_lshl_add_u32 v3, v3, 23, 0x3c000000
	v_and_b32_e32 v4, 0x80000000, v4
	v_or3_b32 v4, v5, v4, v3
	v_mov_b32_e32 v3, v77
	buffer_store_dword v3, off, s[0:3], s32 offset:764 ; 4-byte Folded Spill
	buffer_store_dword v4, off, s[0:3], s32 offset:768 ; 4-byte Folded Spill
.LBB241_545:                            ;   in Loop: Header=BB241_16 Depth=1
	s_or_b32 exec_lo, exec_lo, s25
.LBB241_546:                            ;   in Loop: Header=BB241_16 Depth=1
	s_or_b32 exec_lo, exec_lo, s24
.LBB241_547:                            ;   in Loop: Header=BB241_16 Depth=1
	s_or_b32 exec_lo, exec_lo, s23
	v_mov_b32_e32 v4, 0
	v_mov_b32_e32 v5, 0
	;; [unrolled: 1-line block ×3, first 2 shown]
	s_mov_b32 s23, exec_lo
	buffer_store_dword v4, off, s[0:3], s32 offset:772 ; 4-byte Folded Spill
	buffer_store_dword v5, off, s[0:3], s32 offset:776 ; 4-byte Folded Spill
	v_mov_b32_e32 v4, 0
	v_and_b32_sdwa v3, v2, v3 dst_sel:DWORD dst_unused:UNUSED_PAD src0_sel:WORD_1 src1_sel:DWORD
	v_mov_b32_e32 v5, 0
	buffer_store_dword v4, off, s[0:3], s32 offset:780 ; 4-byte Folded Spill
	buffer_store_dword v5, off, s[0:3], s32 offset:784 ; 4-byte Folded Spill
	v_cmpx_ne_u16_e32 0, v3
	s_cbranch_execz .LBB241_555
; %bb.548:                              ;   in Loop: Header=BB241_16 Depth=1
	v_cmp_ne_u16_e64 s5, 0x80, v3
	v_bfrev_b32_e32 v3, 1
	v_mov_b32_e32 v4, 0
	buffer_store_dword v3, off, s[0:3], s32 offset:780 ; 4-byte Folded Spill
	buffer_store_dword v4, off, s[0:3], s32 offset:784 ; 4-byte Folded Spill
	s_and_saveexec_b32 s24, s5
	s_cbranch_execz .LBB241_554
; %bb.549:                              ;   in Loop: Header=BB241_16 Depth=1
	v_mov_b32_e32 v5, 0x7f800001
	v_bfe_u32 v4, v2, 16, 7
	v_mov_b32_e32 v6, 0
	s_mov_b32 s25, exec_lo
	buffer_store_dword v5, off, s[0:3], s32 offset:780 ; 4-byte Folded Spill
	buffer_store_dword v6, off, s[0:3], s32 offset:784 ; 4-byte Folded Spill
	v_cmpx_ne_u32_e32 0x7f, v4
	s_cbranch_execz .LBB241_553
; %bb.550:                              ;   in Loop: Header=BB241_16 Depth=1
	v_mov_b32_e32 v3, 7
	s_mov_b32 s26, exec_lo
	v_and_b32_sdwa v76, v2, v3 dst_sel:DWORD dst_unused:UNUSED_PAD src0_sel:WORD_1 src1_sel:DWORD
	v_lshrrev_b32_e32 v3, 3, v4
	v_cmpx_gt_u32_e32 8, v4
; %bb.551:                              ;   in Loop: Header=BB241_16 Depth=1
	v_ffbh_u32_e32 v3, v76
	v_min_u32_e32 v3, 32, v3
	v_subrev_nc_u32_e32 v4, 28, v3
	v_sub_nc_u32_e32 v3, 29, v3
	v_lshlrev_b64 v[4:5], v4, v[76:77]
	v_and_b32_e32 v76, 7, v4
; %bb.552:                              ;   in Loop: Header=BB241_16 Depth=1
	s_or_b32 exec_lo, exec_lo, s26
	v_mov_b32_e32 v4, 24
	v_lshlrev_b32_e32 v5, 20, v76
	v_lshl_add_u32 v3, v3, 23, 0x3c000000
	v_lshlrev_b32_sdwa v4, v4, v2 dst_sel:DWORD dst_unused:UNUSED_PAD src0_sel:DWORD src1_sel:WORD_1
	v_and_b32_e32 v4, 0x80000000, v4
	v_or3_b32 v76, v5, v4, v3
	buffer_store_dword v76, off, s[0:3], s32 offset:780 ; 4-byte Folded Spill
	buffer_store_dword v77, off, s[0:3], s32 offset:784 ; 4-byte Folded Spill
.LBB241_553:                            ;   in Loop: Header=BB241_16 Depth=1
	s_or_b32 exec_lo, exec_lo, s25
.LBB241_554:                            ;   in Loop: Header=BB241_16 Depth=1
	s_or_b32 exec_lo, exec_lo, s24
.LBB241_555:                            ;   in Loop: Header=BB241_16 Depth=1
	s_or_b32 exec_lo, exec_lo, s23
	s_mov_b32 s23, exec_lo
	v_cmpx_lt_u32_e32 0xffffff, v2
	s_cbranch_execz .LBB241_563
; %bb.556:                              ;   in Loop: Header=BB241_16 Depth=1
	v_mov_b32_e32 v3, 0x80
	v_mov_b32_e32 v70, v77
	buffer_store_dword v70, off, s[0:3], s32 offset:772 ; 4-byte Folded Spill
	buffer_store_dword v71, off, s[0:3], s32 offset:776 ; 4-byte Folded Spill
	v_cmp_ne_u32_sdwa s5, v2, v3 src0_sel:BYTE_3 src1_sel:DWORD
	s_and_saveexec_b32 s24, s5
	s_cbranch_execz .LBB241_562
; %bb.557:                              ;   in Loop: Header=BB241_16 Depth=1
	s_clause 0x1
	buffer_load_dword v5, off, s[0:3], s32 offset:200
	buffer_load_dword v6, off, s[0:3], s32 offset:204
	v_bfe_u32 v4, v2, 24, 7
	s_waitcnt vmcnt(1)
	v_mov_b32_e32 v5, v77
	s_mov_b32 s25, exec_lo
	s_waitcnt vmcnt(0)
	v_mov_b32_e32 v3, v6
	buffer_store_dword v2, off, s[0:3], s32 offset:200 ; 4-byte Folded Spill
	buffer_store_dword v3, off, s[0:3], s32 offset:204 ; 4-byte Folded Spill
	;; [unrolled: 1-line block ×4, first 2 shown]
	v_cmpx_ne_u32_e32 0x7f, v4
	s_cbranch_execz .LBB241_561
; %bb.558:                              ;   in Loop: Header=BB241_16 Depth=1
	v_mov_b32_e32 v3, 7
	s_mov_b32 s26, exec_lo
	v_and_b32_sdwa v76, v2, v3 dst_sel:DWORD dst_unused:UNUSED_PAD src0_sel:BYTE_3 src1_sel:DWORD
	v_lshrrev_b32_e32 v3, 3, v4
	v_cmpx_gt_u32_e32 8, v4
; %bb.559:                              ;   in Loop: Header=BB241_16 Depth=1
	v_ffbh_u32_e32 v3, v76
	v_min_u32_e32 v3, 32, v3
	v_subrev_nc_u32_e32 v4, 28, v3
	v_sub_nc_u32_e32 v3, 29, v3
	v_lshlrev_b64 v[4:5], v4, v[76:77]
	v_and_b32_e32 v76, 7, v4
; %bb.560:                              ;   in Loop: Header=BB241_16 Depth=1
	s_or_b32 exec_lo, exec_lo, s26
	v_mov_b32_e32 v4, 24
	v_lshl_add_u32 v3, v3, 23, 0x3c000000
	v_lshlrev_b32_sdwa v2, v4, v2 dst_sel:DWORD dst_unused:UNUSED_PAD src0_sel:DWORD src1_sel:BYTE_3
	v_lshlrev_b32_e32 v4, 20, v76
	v_and_b32_e32 v2, 0x80000000, v2
	v_or3_b32 v3, v4, v2, v3
	v_mov_b32_e32 v2, v77
	buffer_store_dword v2, off, s[0:3], s32 offset:772 ; 4-byte Folded Spill
	buffer_store_dword v3, off, s[0:3], s32 offset:776 ; 4-byte Folded Spill
.LBB241_561:                            ;   in Loop: Header=BB241_16 Depth=1
	s_or_b32 exec_lo, exec_lo, s25
.LBB241_562:                            ;   in Loop: Header=BB241_16 Depth=1
	s_or_b32 exec_lo, exec_lo, s24
.LBB241_563:                            ;   in Loop: Header=BB241_16 Depth=1
	s_or_b32 exec_lo, exec_lo, s23
	flat_load_dword v2, v[0:1] offset:4
	v_mov_b32_e32 v3, 0
	v_mov_b32_e32 v4, 0
	buffer_store_dword v3, off, s[0:3], s32 offset:796 ; 4-byte Folded Spill
	buffer_store_dword v4, off, s[0:3], s32 offset:800 ; 4-byte Folded Spill
	v_mov_b32_e32 v3, 0
	v_mov_b32_e32 v4, 0
	buffer_store_dword v3, off, s[0:3], s32 offset:788 ; 4-byte Folded Spill
	buffer_store_dword v4, off, s[0:3], s32 offset:792 ; 4-byte Folded Spill
	s_waitcnt vmcnt(0) lgkmcnt(0)
	v_cmp_ne_u16_sdwa s5, v2, v77 src0_sel:BYTE_0 src1_sel:DWORD
	s_and_saveexec_b32 s23, s5
	s_cbranch_execz .LBB241_571
; %bb.564:                              ;   in Loop: Header=BB241_16 Depth=1
	v_bfrev_b32_e32 v3, 1
	v_mov_b32_e32 v4, 0
	buffer_store_dword v3, off, s[0:3], s32 offset:788 ; 4-byte Folded Spill
	buffer_store_dword v4, off, s[0:3], s32 offset:792 ; 4-byte Folded Spill
	v_mov_b32_e32 v3, 0x80
	v_cmp_ne_u16_sdwa s5, v2, v3 src0_sel:BYTE_0 src1_sel:DWORD
	s_and_saveexec_b32 s24, s5
	s_cbranch_execz .LBB241_570
; %bb.565:                              ;   in Loop: Header=BB241_16 Depth=1
	v_mov_b32_e32 v5, 0x7f800001
	v_and_b32_e32 v4, 0x7f, v2
	v_mov_b32_e32 v6, 0
	s_mov_b32 s25, exec_lo
	buffer_store_dword v5, off, s[0:3], s32 offset:788 ; 4-byte Folded Spill
	buffer_store_dword v6, off, s[0:3], s32 offset:792 ; 4-byte Folded Spill
	v_cmpx_ne_u32_e32 0x7f, v4
	s_cbranch_execz .LBB241_569
; %bb.566:                              ;   in Loop: Header=BB241_16 Depth=1
	v_and_b32_e32 v76, 7, v2
	v_lshrrev_b32_e32 v3, 3, v4
	s_mov_b32 s26, exec_lo
	v_cmpx_gt_u32_e32 8, v4
; %bb.567:                              ;   in Loop: Header=BB241_16 Depth=1
	v_ffbh_u32_e32 v3, v76
	v_min_u32_e32 v3, 32, v3
	v_subrev_nc_u32_e32 v4, 28, v3
	v_sub_nc_u32_e32 v3, 29, v3
	v_lshlrev_b64 v[4:5], v4, v[76:77]
	v_and_b32_e32 v76, 7, v4
; %bb.568:                              ;   in Loop: Header=BB241_16 Depth=1
	s_or_b32 exec_lo, exec_lo, s26
	v_lshlrev_b32_e32 v4, 24, v2
	v_lshlrev_b32_e32 v5, 20, v76
	v_lshl_add_u32 v3, v3, 23, 0x3c000000
	v_and_b32_e32 v4, 0x80000000, v4
	v_or3_b32 v76, v5, v4, v3
	buffer_store_dword v76, off, s[0:3], s32 offset:788 ; 4-byte Folded Spill
	buffer_store_dword v77, off, s[0:3], s32 offset:792 ; 4-byte Folded Spill
.LBB241_569:                            ;   in Loop: Header=BB241_16 Depth=1
	s_or_b32 exec_lo, exec_lo, s25
.LBB241_570:                            ;   in Loop: Header=BB241_16 Depth=1
	s_or_b32 exec_lo, exec_lo, s24
.LBB241_571:                            ;   in Loop: Header=BB241_16 Depth=1
	s_or_b32 exec_lo, exec_lo, s23
	v_cmp_ne_u16_sdwa s5, v2, v77 src0_sel:BYTE_1 src1_sel:DWORD
	s_and_saveexec_b32 s23, s5
	s_cbranch_execz .LBB241_579
; %bb.572:                              ;   in Loop: Header=BB241_16 Depth=1
	v_mov_b32_e32 v3, 0x80
	v_mov_b32_e32 v70, v77
	buffer_store_dword v70, off, s[0:3], s32 offset:796 ; 4-byte Folded Spill
	buffer_store_dword v71, off, s[0:3], s32 offset:800 ; 4-byte Folded Spill
	v_cmp_ne_u16_sdwa s5, v2, v3 src0_sel:BYTE_1 src1_sel:DWORD
	s_and_saveexec_b32 s24, s5
	s_cbranch_execz .LBB241_578
; %bb.573:                              ;   in Loop: Header=BB241_16 Depth=1
	s_clause 0x1
	buffer_load_dword v5, off, s[0:3], s32 offset:200
	buffer_load_dword v6, off, s[0:3], s32 offset:204
	v_mov_b32_e32 v3, 0xffff
	s_mov_b32 s25, exec_lo
	v_and_b32_sdwa v3, v3, v2 dst_sel:DWORD dst_unused:UNUSED_PAD src0_sel:DWORD src1_sel:BYTE_1
	v_and_b32_e32 v4, 0x7f, v3
	s_waitcnt vmcnt(0)
	v_mov_b32_e32 v7, v6
	v_mov_b32_e32 v6, v77
	;; [unrolled: 1-line block ×3, first 2 shown]
	buffer_store_dword v4, off, s[0:3], s32 offset:200 ; 4-byte Folded Spill
	buffer_store_dword v5, off, s[0:3], s32 offset:204 ; 4-byte Folded Spill
	;; [unrolled: 1-line block ×4, first 2 shown]
	v_cmpx_ne_u32_e32 0x7f, v4
	s_cbranch_execz .LBB241_577
; %bb.574:                              ;   in Loop: Header=BB241_16 Depth=1
	v_and_b32_e32 v76, 7, v3
	v_lshrrev_b32_e32 v3, 3, v4
	s_mov_b32 s26, exec_lo
	v_cmpx_gt_u32_e32 8, v4
; %bb.575:                              ;   in Loop: Header=BB241_16 Depth=1
	v_ffbh_u32_e32 v3, v76
	v_min_u32_e32 v3, 32, v3
	v_subrev_nc_u32_e32 v4, 28, v3
	v_sub_nc_u32_e32 v3, 29, v3
	v_lshlrev_b64 v[4:5], v4, v[76:77]
	v_and_b32_e32 v76, 7, v4
; %bb.576:                              ;   in Loop: Header=BB241_16 Depth=1
	s_or_b32 exec_lo, exec_lo, s26
	v_lshlrev_b32_e32 v4, 16, v2
	v_lshlrev_b32_e32 v5, 20, v76
	v_lshl_add_u32 v3, v3, 23, 0x3c000000
	v_and_b32_e32 v4, 0x80000000, v4
	v_or3_b32 v4, v5, v4, v3
	v_mov_b32_e32 v3, v77
	buffer_store_dword v3, off, s[0:3], s32 offset:796 ; 4-byte Folded Spill
	buffer_store_dword v4, off, s[0:3], s32 offset:800 ; 4-byte Folded Spill
.LBB241_577:                            ;   in Loop: Header=BB241_16 Depth=1
	s_or_b32 exec_lo, exec_lo, s25
.LBB241_578:                            ;   in Loop: Header=BB241_16 Depth=1
	s_or_b32 exec_lo, exec_lo, s24
.LBB241_579:                            ;   in Loop: Header=BB241_16 Depth=1
	s_or_b32 exec_lo, exec_lo, s23
	v_mov_b32_e32 v4, 0
	v_mov_b32_e32 v5, 0
	;; [unrolled: 1-line block ×3, first 2 shown]
	s_mov_b32 s23, exec_lo
	buffer_store_dword v4, off, s[0:3], s32 offset:804 ; 4-byte Folded Spill
	buffer_store_dword v5, off, s[0:3], s32 offset:808 ; 4-byte Folded Spill
	v_mov_b32_e32 v4, 0
	v_and_b32_sdwa v3, v2, v3 dst_sel:DWORD dst_unused:UNUSED_PAD src0_sel:WORD_1 src1_sel:DWORD
	v_mov_b32_e32 v5, 0
	buffer_store_dword v4, off, s[0:3], s32 offset:812 ; 4-byte Folded Spill
	buffer_store_dword v5, off, s[0:3], s32 offset:816 ; 4-byte Folded Spill
	v_cmpx_ne_u16_e32 0, v3
	s_cbranch_execz .LBB241_587
; %bb.580:                              ;   in Loop: Header=BB241_16 Depth=1
	v_cmp_ne_u16_e64 s5, 0x80, v3
	v_bfrev_b32_e32 v3, 1
	v_mov_b32_e32 v4, 0
	buffer_store_dword v3, off, s[0:3], s32 offset:812 ; 4-byte Folded Spill
	buffer_store_dword v4, off, s[0:3], s32 offset:816 ; 4-byte Folded Spill
	s_and_saveexec_b32 s24, s5
	s_cbranch_execz .LBB241_586
; %bb.581:                              ;   in Loop: Header=BB241_16 Depth=1
	v_mov_b32_e32 v5, 0x7f800001
	v_bfe_u32 v4, v2, 16, 7
	v_mov_b32_e32 v6, 0
	s_mov_b32 s25, exec_lo
	buffer_store_dword v5, off, s[0:3], s32 offset:812 ; 4-byte Folded Spill
	buffer_store_dword v6, off, s[0:3], s32 offset:816 ; 4-byte Folded Spill
	v_cmpx_ne_u32_e32 0x7f, v4
	s_cbranch_execz .LBB241_585
; %bb.582:                              ;   in Loop: Header=BB241_16 Depth=1
	v_mov_b32_e32 v3, 7
	s_mov_b32 s26, exec_lo
	v_and_b32_sdwa v76, v2, v3 dst_sel:DWORD dst_unused:UNUSED_PAD src0_sel:WORD_1 src1_sel:DWORD
	v_lshrrev_b32_e32 v3, 3, v4
	v_cmpx_gt_u32_e32 8, v4
; %bb.583:                              ;   in Loop: Header=BB241_16 Depth=1
	v_ffbh_u32_e32 v3, v76
	v_min_u32_e32 v3, 32, v3
	v_subrev_nc_u32_e32 v4, 28, v3
	v_sub_nc_u32_e32 v3, 29, v3
	v_lshlrev_b64 v[4:5], v4, v[76:77]
	v_and_b32_e32 v76, 7, v4
; %bb.584:                              ;   in Loop: Header=BB241_16 Depth=1
	s_or_b32 exec_lo, exec_lo, s26
	v_mov_b32_e32 v4, 24
	v_lshlrev_b32_e32 v5, 20, v76
	v_lshl_add_u32 v3, v3, 23, 0x3c000000
	v_lshlrev_b32_sdwa v4, v4, v2 dst_sel:DWORD dst_unused:UNUSED_PAD src0_sel:DWORD src1_sel:WORD_1
	v_and_b32_e32 v4, 0x80000000, v4
	v_or3_b32 v76, v5, v4, v3
	buffer_store_dword v76, off, s[0:3], s32 offset:812 ; 4-byte Folded Spill
	buffer_store_dword v77, off, s[0:3], s32 offset:816 ; 4-byte Folded Spill
.LBB241_585:                            ;   in Loop: Header=BB241_16 Depth=1
	s_or_b32 exec_lo, exec_lo, s25
.LBB241_586:                            ;   in Loop: Header=BB241_16 Depth=1
	s_or_b32 exec_lo, exec_lo, s24
.LBB241_587:                            ;   in Loop: Header=BB241_16 Depth=1
	s_or_b32 exec_lo, exec_lo, s23
	s_mov_b32 s23, exec_lo
	v_cmpx_lt_u32_e32 0xffffff, v2
	s_cbranch_execz .LBB241_595
; %bb.588:                              ;   in Loop: Header=BB241_16 Depth=1
	v_mov_b32_e32 v3, 0x80
	v_mov_b32_e32 v70, v77
	buffer_store_dword v70, off, s[0:3], s32 offset:804 ; 4-byte Folded Spill
	buffer_store_dword v71, off, s[0:3], s32 offset:808 ; 4-byte Folded Spill
	v_cmp_ne_u32_sdwa s5, v2, v3 src0_sel:BYTE_3 src1_sel:DWORD
	s_and_saveexec_b32 s24, s5
	s_cbranch_execz .LBB241_594
; %bb.589:                              ;   in Loop: Header=BB241_16 Depth=1
	s_clause 0x1
	buffer_load_dword v5, off, s[0:3], s32 offset:200
	buffer_load_dword v6, off, s[0:3], s32 offset:204
	v_bfe_u32 v4, v2, 24, 7
	s_waitcnt vmcnt(1)
	v_mov_b32_e32 v5, v77
	s_mov_b32 s25, exec_lo
	s_waitcnt vmcnt(0)
	v_mov_b32_e32 v3, v6
	buffer_store_dword v2, off, s[0:3], s32 offset:200 ; 4-byte Folded Spill
	buffer_store_dword v3, off, s[0:3], s32 offset:204 ; 4-byte Folded Spill
	;; [unrolled: 1-line block ×4, first 2 shown]
	v_cmpx_ne_u32_e32 0x7f, v4
	s_cbranch_execz .LBB241_593
; %bb.590:                              ;   in Loop: Header=BB241_16 Depth=1
	v_mov_b32_e32 v3, 7
	s_mov_b32 s26, exec_lo
	v_and_b32_sdwa v76, v2, v3 dst_sel:DWORD dst_unused:UNUSED_PAD src0_sel:BYTE_3 src1_sel:DWORD
	v_lshrrev_b32_e32 v3, 3, v4
	v_cmpx_gt_u32_e32 8, v4
; %bb.591:                              ;   in Loop: Header=BB241_16 Depth=1
	v_ffbh_u32_e32 v3, v76
	v_min_u32_e32 v3, 32, v3
	v_subrev_nc_u32_e32 v4, 28, v3
	v_sub_nc_u32_e32 v3, 29, v3
	v_lshlrev_b64 v[4:5], v4, v[76:77]
	v_and_b32_e32 v76, 7, v4
; %bb.592:                              ;   in Loop: Header=BB241_16 Depth=1
	s_or_b32 exec_lo, exec_lo, s26
	v_mov_b32_e32 v4, 24
	v_lshl_add_u32 v3, v3, 23, 0x3c000000
	v_lshlrev_b32_sdwa v2, v4, v2 dst_sel:DWORD dst_unused:UNUSED_PAD src0_sel:DWORD src1_sel:BYTE_3
	v_lshlrev_b32_e32 v4, 20, v76
	v_and_b32_e32 v2, 0x80000000, v2
	v_or3_b32 v3, v4, v2, v3
	v_mov_b32_e32 v2, v77
	buffer_store_dword v2, off, s[0:3], s32 offset:804 ; 4-byte Folded Spill
	buffer_store_dword v3, off, s[0:3], s32 offset:808 ; 4-byte Folded Spill
.LBB241_593:                            ;   in Loop: Header=BB241_16 Depth=1
	s_or_b32 exec_lo, exec_lo, s25
.LBB241_594:                            ;   in Loop: Header=BB241_16 Depth=1
	s_or_b32 exec_lo, exec_lo, s24
.LBB241_595:                            ;   in Loop: Header=BB241_16 Depth=1
	s_or_b32 exec_lo, exec_lo, s23
	flat_load_dword v2, v[0:1] offset:8
	v_mov_b32_e32 v3, 0
	v_mov_b32_e32 v4, 0
	buffer_store_dword v3, off, s[0:3], s32 offset:828 ; 4-byte Folded Spill
	buffer_store_dword v4, off, s[0:3], s32 offset:832 ; 4-byte Folded Spill
	v_mov_b32_e32 v3, 0
	v_mov_b32_e32 v4, 0
	buffer_store_dword v3, off, s[0:3], s32 offset:820 ; 4-byte Folded Spill
	buffer_store_dword v4, off, s[0:3], s32 offset:824 ; 4-byte Folded Spill
	s_waitcnt vmcnt(0) lgkmcnt(0)
	v_cmp_ne_u16_sdwa s5, v2, v77 src0_sel:BYTE_0 src1_sel:DWORD
	s_and_saveexec_b32 s23, s5
	s_cbranch_execz .LBB241_603
; %bb.596:                              ;   in Loop: Header=BB241_16 Depth=1
	v_bfrev_b32_e32 v3, 1
	v_mov_b32_e32 v4, 0
	buffer_store_dword v3, off, s[0:3], s32 offset:820 ; 4-byte Folded Spill
	buffer_store_dword v4, off, s[0:3], s32 offset:824 ; 4-byte Folded Spill
	v_mov_b32_e32 v3, 0x80
	v_cmp_ne_u16_sdwa s5, v2, v3 src0_sel:BYTE_0 src1_sel:DWORD
	s_and_saveexec_b32 s24, s5
	s_cbranch_execz .LBB241_602
; %bb.597:                              ;   in Loop: Header=BB241_16 Depth=1
	v_mov_b32_e32 v5, 0x7f800001
	v_and_b32_e32 v4, 0x7f, v2
	v_mov_b32_e32 v6, 0
	s_mov_b32 s25, exec_lo
	buffer_store_dword v5, off, s[0:3], s32 offset:820 ; 4-byte Folded Spill
	buffer_store_dword v6, off, s[0:3], s32 offset:824 ; 4-byte Folded Spill
	v_cmpx_ne_u32_e32 0x7f, v4
	s_cbranch_execz .LBB241_601
; %bb.598:                              ;   in Loop: Header=BB241_16 Depth=1
	v_and_b32_e32 v76, 7, v2
	v_lshrrev_b32_e32 v3, 3, v4
	s_mov_b32 s26, exec_lo
	v_cmpx_gt_u32_e32 8, v4
; %bb.599:                              ;   in Loop: Header=BB241_16 Depth=1
	v_ffbh_u32_e32 v3, v76
	v_min_u32_e32 v3, 32, v3
	v_subrev_nc_u32_e32 v4, 28, v3
	v_sub_nc_u32_e32 v3, 29, v3
	v_lshlrev_b64 v[4:5], v4, v[76:77]
	v_and_b32_e32 v76, 7, v4
; %bb.600:                              ;   in Loop: Header=BB241_16 Depth=1
	s_or_b32 exec_lo, exec_lo, s26
	v_lshlrev_b32_e32 v4, 24, v2
	v_lshlrev_b32_e32 v5, 20, v76
	v_lshl_add_u32 v3, v3, 23, 0x3c000000
	v_and_b32_e32 v4, 0x80000000, v4
	v_or3_b32 v76, v5, v4, v3
	buffer_store_dword v76, off, s[0:3], s32 offset:820 ; 4-byte Folded Spill
	buffer_store_dword v77, off, s[0:3], s32 offset:824 ; 4-byte Folded Spill
.LBB241_601:                            ;   in Loop: Header=BB241_16 Depth=1
	s_or_b32 exec_lo, exec_lo, s25
.LBB241_602:                            ;   in Loop: Header=BB241_16 Depth=1
	s_or_b32 exec_lo, exec_lo, s24
.LBB241_603:                            ;   in Loop: Header=BB241_16 Depth=1
	s_or_b32 exec_lo, exec_lo, s23
	v_cmp_ne_u16_sdwa s5, v2, v77 src0_sel:BYTE_1 src1_sel:DWORD
	s_and_saveexec_b32 s23, s5
	s_cbranch_execz .LBB241_611
; %bb.604:                              ;   in Loop: Header=BB241_16 Depth=1
	v_mov_b32_e32 v3, 0x80
	v_mov_b32_e32 v70, v77
	buffer_store_dword v70, off, s[0:3], s32 offset:828 ; 4-byte Folded Spill
	buffer_store_dword v71, off, s[0:3], s32 offset:832 ; 4-byte Folded Spill
	v_cmp_ne_u16_sdwa s5, v2, v3 src0_sel:BYTE_1 src1_sel:DWORD
	s_and_saveexec_b32 s24, s5
	s_cbranch_execz .LBB241_610
; %bb.605:                              ;   in Loop: Header=BB241_16 Depth=1
	s_clause 0x1
	buffer_load_dword v5, off, s[0:3], s32 offset:200
	buffer_load_dword v6, off, s[0:3], s32 offset:204
	v_mov_b32_e32 v3, 0xffff
	s_mov_b32 s25, exec_lo
	v_and_b32_sdwa v3, v3, v2 dst_sel:DWORD dst_unused:UNUSED_PAD src0_sel:DWORD src1_sel:BYTE_1
	v_and_b32_e32 v4, 0x7f, v3
	s_waitcnt vmcnt(0)
	v_mov_b32_e32 v7, v6
	v_mov_b32_e32 v6, v77
	;; [unrolled: 1-line block ×3, first 2 shown]
	buffer_store_dword v4, off, s[0:3], s32 offset:200 ; 4-byte Folded Spill
	buffer_store_dword v5, off, s[0:3], s32 offset:204 ; 4-byte Folded Spill
	;; [unrolled: 1-line block ×4, first 2 shown]
	v_cmpx_ne_u32_e32 0x7f, v4
	s_cbranch_execz .LBB241_609
; %bb.606:                              ;   in Loop: Header=BB241_16 Depth=1
	v_and_b32_e32 v76, 7, v3
	v_lshrrev_b32_e32 v3, 3, v4
	s_mov_b32 s26, exec_lo
	v_cmpx_gt_u32_e32 8, v4
; %bb.607:                              ;   in Loop: Header=BB241_16 Depth=1
	v_ffbh_u32_e32 v3, v76
	v_min_u32_e32 v3, 32, v3
	v_subrev_nc_u32_e32 v4, 28, v3
	v_sub_nc_u32_e32 v3, 29, v3
	v_lshlrev_b64 v[4:5], v4, v[76:77]
	v_and_b32_e32 v76, 7, v4
; %bb.608:                              ;   in Loop: Header=BB241_16 Depth=1
	s_or_b32 exec_lo, exec_lo, s26
	v_lshlrev_b32_e32 v4, 16, v2
	v_lshlrev_b32_e32 v5, 20, v76
	v_lshl_add_u32 v3, v3, 23, 0x3c000000
	v_and_b32_e32 v4, 0x80000000, v4
	v_or3_b32 v4, v5, v4, v3
	v_mov_b32_e32 v3, v77
	buffer_store_dword v3, off, s[0:3], s32 offset:828 ; 4-byte Folded Spill
	buffer_store_dword v4, off, s[0:3], s32 offset:832 ; 4-byte Folded Spill
.LBB241_609:                            ;   in Loop: Header=BB241_16 Depth=1
	s_or_b32 exec_lo, exec_lo, s25
.LBB241_610:                            ;   in Loop: Header=BB241_16 Depth=1
	s_or_b32 exec_lo, exec_lo, s24
.LBB241_611:                            ;   in Loop: Header=BB241_16 Depth=1
	s_or_b32 exec_lo, exec_lo, s23
	v_mov_b32_e32 v4, 0
	v_mov_b32_e32 v5, 0
	;; [unrolled: 1-line block ×3, first 2 shown]
	s_mov_b32 s23, exec_lo
	buffer_store_dword v4, off, s[0:3], s32 offset:836 ; 4-byte Folded Spill
	buffer_store_dword v5, off, s[0:3], s32 offset:840 ; 4-byte Folded Spill
	v_mov_b32_e32 v4, 0
	v_and_b32_sdwa v3, v2, v3 dst_sel:DWORD dst_unused:UNUSED_PAD src0_sel:WORD_1 src1_sel:DWORD
	v_mov_b32_e32 v5, 0
	buffer_store_dword v4, off, s[0:3], s32 offset:844 ; 4-byte Folded Spill
	buffer_store_dword v5, off, s[0:3], s32 offset:848 ; 4-byte Folded Spill
	v_cmpx_ne_u16_e32 0, v3
	s_cbranch_execz .LBB241_619
; %bb.612:                              ;   in Loop: Header=BB241_16 Depth=1
	v_cmp_ne_u16_e64 s5, 0x80, v3
	v_bfrev_b32_e32 v3, 1
	v_mov_b32_e32 v4, 0
	buffer_store_dword v3, off, s[0:3], s32 offset:844 ; 4-byte Folded Spill
	buffer_store_dword v4, off, s[0:3], s32 offset:848 ; 4-byte Folded Spill
	s_and_saveexec_b32 s24, s5
	s_cbranch_execz .LBB241_618
; %bb.613:                              ;   in Loop: Header=BB241_16 Depth=1
	v_mov_b32_e32 v5, 0x7f800001
	v_bfe_u32 v4, v2, 16, 7
	v_mov_b32_e32 v6, 0
	s_mov_b32 s25, exec_lo
	buffer_store_dword v5, off, s[0:3], s32 offset:844 ; 4-byte Folded Spill
	buffer_store_dword v6, off, s[0:3], s32 offset:848 ; 4-byte Folded Spill
	v_cmpx_ne_u32_e32 0x7f, v4
	s_cbranch_execz .LBB241_617
; %bb.614:                              ;   in Loop: Header=BB241_16 Depth=1
	v_mov_b32_e32 v3, 7
	s_mov_b32 s26, exec_lo
	v_and_b32_sdwa v76, v2, v3 dst_sel:DWORD dst_unused:UNUSED_PAD src0_sel:WORD_1 src1_sel:DWORD
	v_lshrrev_b32_e32 v3, 3, v4
	v_cmpx_gt_u32_e32 8, v4
; %bb.615:                              ;   in Loop: Header=BB241_16 Depth=1
	v_ffbh_u32_e32 v3, v76
	v_min_u32_e32 v3, 32, v3
	v_subrev_nc_u32_e32 v4, 28, v3
	v_sub_nc_u32_e32 v3, 29, v3
	v_lshlrev_b64 v[4:5], v4, v[76:77]
	v_and_b32_e32 v76, 7, v4
; %bb.616:                              ;   in Loop: Header=BB241_16 Depth=1
	s_or_b32 exec_lo, exec_lo, s26
	v_mov_b32_e32 v4, 24
	v_lshlrev_b32_e32 v5, 20, v76
	v_lshl_add_u32 v3, v3, 23, 0x3c000000
	v_lshlrev_b32_sdwa v4, v4, v2 dst_sel:DWORD dst_unused:UNUSED_PAD src0_sel:DWORD src1_sel:WORD_1
	v_and_b32_e32 v4, 0x80000000, v4
	v_or3_b32 v76, v5, v4, v3
	buffer_store_dword v76, off, s[0:3], s32 offset:844 ; 4-byte Folded Spill
	buffer_store_dword v77, off, s[0:3], s32 offset:848 ; 4-byte Folded Spill
.LBB241_617:                            ;   in Loop: Header=BB241_16 Depth=1
	s_or_b32 exec_lo, exec_lo, s25
.LBB241_618:                            ;   in Loop: Header=BB241_16 Depth=1
	s_or_b32 exec_lo, exec_lo, s24
.LBB241_619:                            ;   in Loop: Header=BB241_16 Depth=1
	s_or_b32 exec_lo, exec_lo, s23
	s_mov_b32 s23, exec_lo
	v_cmpx_lt_u32_e32 0xffffff, v2
	s_cbranch_execz .LBB241_627
; %bb.620:                              ;   in Loop: Header=BB241_16 Depth=1
	v_mov_b32_e32 v3, 0x80
	v_mov_b32_e32 v70, v77
	buffer_store_dword v70, off, s[0:3], s32 offset:836 ; 4-byte Folded Spill
	buffer_store_dword v71, off, s[0:3], s32 offset:840 ; 4-byte Folded Spill
	v_cmp_ne_u32_sdwa s5, v2, v3 src0_sel:BYTE_3 src1_sel:DWORD
	s_and_saveexec_b32 s24, s5
	s_cbranch_execz .LBB241_626
; %bb.621:                              ;   in Loop: Header=BB241_16 Depth=1
	s_clause 0x1
	buffer_load_dword v5, off, s[0:3], s32 offset:200
	buffer_load_dword v6, off, s[0:3], s32 offset:204
	v_bfe_u32 v4, v2, 24, 7
	s_waitcnt vmcnt(1)
	v_mov_b32_e32 v5, v77
	s_mov_b32 s25, exec_lo
	s_waitcnt vmcnt(0)
	v_mov_b32_e32 v3, v6
	buffer_store_dword v2, off, s[0:3], s32 offset:200 ; 4-byte Folded Spill
	buffer_store_dword v3, off, s[0:3], s32 offset:204 ; 4-byte Folded Spill
	buffer_store_dword v5, off, s[0:3], s32 offset:836 ; 4-byte Folded Spill
	buffer_store_dword v6, off, s[0:3], s32 offset:840 ; 4-byte Folded Spill
	v_cmpx_ne_u32_e32 0x7f, v4
	s_cbranch_execz .LBB241_625
; %bb.622:                              ;   in Loop: Header=BB241_16 Depth=1
	v_mov_b32_e32 v3, 7
	s_mov_b32 s26, exec_lo
	v_and_b32_sdwa v76, v2, v3 dst_sel:DWORD dst_unused:UNUSED_PAD src0_sel:BYTE_3 src1_sel:DWORD
	v_lshrrev_b32_e32 v3, 3, v4
	v_cmpx_gt_u32_e32 8, v4
; %bb.623:                              ;   in Loop: Header=BB241_16 Depth=1
	v_ffbh_u32_e32 v3, v76
	v_min_u32_e32 v3, 32, v3
	v_subrev_nc_u32_e32 v4, 28, v3
	v_sub_nc_u32_e32 v3, 29, v3
	v_lshlrev_b64 v[4:5], v4, v[76:77]
	v_and_b32_e32 v76, 7, v4
; %bb.624:                              ;   in Loop: Header=BB241_16 Depth=1
	s_or_b32 exec_lo, exec_lo, s26
	v_mov_b32_e32 v4, 24
	v_lshl_add_u32 v3, v3, 23, 0x3c000000
	v_lshlrev_b32_sdwa v2, v4, v2 dst_sel:DWORD dst_unused:UNUSED_PAD src0_sel:DWORD src1_sel:BYTE_3
	v_lshlrev_b32_e32 v4, 20, v76
	v_and_b32_e32 v2, 0x80000000, v2
	v_or3_b32 v3, v4, v2, v3
	v_mov_b32_e32 v2, v77
	buffer_store_dword v2, off, s[0:3], s32 offset:836 ; 4-byte Folded Spill
	buffer_store_dword v3, off, s[0:3], s32 offset:840 ; 4-byte Folded Spill
.LBB241_625:                            ;   in Loop: Header=BB241_16 Depth=1
	s_or_b32 exec_lo, exec_lo, s25
.LBB241_626:                            ;   in Loop: Header=BB241_16 Depth=1
	s_or_b32 exec_lo, exec_lo, s24
.LBB241_627:                            ;   in Loop: Header=BB241_16 Depth=1
	s_or_b32 exec_lo, exec_lo, s23
	flat_load_dword v2, v[0:1] offset:12
	v_mov_b32_e32 v3, 0
	v_mov_b32_e32 v4, 0
	buffer_store_dword v3, off, s[0:3], s32 offset:860 ; 4-byte Folded Spill
	buffer_store_dword v4, off, s[0:3], s32 offset:864 ; 4-byte Folded Spill
	v_mov_b32_e32 v3, 0
	v_mov_b32_e32 v4, 0
	buffer_store_dword v3, off, s[0:3], s32 offset:852 ; 4-byte Folded Spill
	buffer_store_dword v4, off, s[0:3], s32 offset:856 ; 4-byte Folded Spill
	s_waitcnt vmcnt(0) lgkmcnt(0)
	v_cmp_ne_u16_sdwa s5, v2, v77 src0_sel:BYTE_0 src1_sel:DWORD
	s_and_saveexec_b32 s23, s5
	s_cbranch_execz .LBB241_635
; %bb.628:                              ;   in Loop: Header=BB241_16 Depth=1
	v_bfrev_b32_e32 v3, 1
	v_mov_b32_e32 v4, 0
	buffer_store_dword v3, off, s[0:3], s32 offset:852 ; 4-byte Folded Spill
	buffer_store_dword v4, off, s[0:3], s32 offset:856 ; 4-byte Folded Spill
	v_mov_b32_e32 v3, 0x80
	v_cmp_ne_u16_sdwa s5, v2, v3 src0_sel:BYTE_0 src1_sel:DWORD
	s_and_saveexec_b32 s24, s5
	s_cbranch_execz .LBB241_634
; %bb.629:                              ;   in Loop: Header=BB241_16 Depth=1
	v_mov_b32_e32 v5, 0x7f800001
	v_and_b32_e32 v4, 0x7f, v2
	v_mov_b32_e32 v6, 0
	s_mov_b32 s25, exec_lo
	buffer_store_dword v5, off, s[0:3], s32 offset:852 ; 4-byte Folded Spill
	buffer_store_dword v6, off, s[0:3], s32 offset:856 ; 4-byte Folded Spill
	v_cmpx_ne_u32_e32 0x7f, v4
	s_cbranch_execz .LBB241_633
; %bb.630:                              ;   in Loop: Header=BB241_16 Depth=1
	v_and_b32_e32 v76, 7, v2
	v_lshrrev_b32_e32 v3, 3, v4
	s_mov_b32 s26, exec_lo
	v_cmpx_gt_u32_e32 8, v4
; %bb.631:                              ;   in Loop: Header=BB241_16 Depth=1
	v_ffbh_u32_e32 v3, v76
	v_min_u32_e32 v3, 32, v3
	v_subrev_nc_u32_e32 v4, 28, v3
	v_sub_nc_u32_e32 v3, 29, v3
	v_lshlrev_b64 v[4:5], v4, v[76:77]
	v_and_b32_e32 v76, 7, v4
; %bb.632:                              ;   in Loop: Header=BB241_16 Depth=1
	s_or_b32 exec_lo, exec_lo, s26
	v_lshlrev_b32_e32 v4, 24, v2
	v_lshlrev_b32_e32 v5, 20, v76
	v_lshl_add_u32 v3, v3, 23, 0x3c000000
	v_and_b32_e32 v4, 0x80000000, v4
	v_or3_b32 v76, v5, v4, v3
	buffer_store_dword v76, off, s[0:3], s32 offset:852 ; 4-byte Folded Spill
	buffer_store_dword v77, off, s[0:3], s32 offset:856 ; 4-byte Folded Spill
.LBB241_633:                            ;   in Loop: Header=BB241_16 Depth=1
	s_or_b32 exec_lo, exec_lo, s25
.LBB241_634:                            ;   in Loop: Header=BB241_16 Depth=1
	s_or_b32 exec_lo, exec_lo, s24
.LBB241_635:                            ;   in Loop: Header=BB241_16 Depth=1
	s_or_b32 exec_lo, exec_lo, s23
	v_cmp_ne_u16_sdwa s5, v2, v77 src0_sel:BYTE_1 src1_sel:DWORD
	s_and_saveexec_b32 s23, s5
	s_cbranch_execz .LBB241_643
; %bb.636:                              ;   in Loop: Header=BB241_16 Depth=1
	v_mov_b32_e32 v3, 0x80
	v_mov_b32_e32 v70, v77
	buffer_store_dword v70, off, s[0:3], s32 offset:860 ; 4-byte Folded Spill
	buffer_store_dword v71, off, s[0:3], s32 offset:864 ; 4-byte Folded Spill
	v_cmp_ne_u16_sdwa s5, v2, v3 src0_sel:BYTE_1 src1_sel:DWORD
	s_and_saveexec_b32 s24, s5
	s_cbranch_execz .LBB241_642
; %bb.637:                              ;   in Loop: Header=BB241_16 Depth=1
	s_clause 0x1
	buffer_load_dword v5, off, s[0:3], s32 offset:200
	buffer_load_dword v6, off, s[0:3], s32 offset:204
	v_mov_b32_e32 v3, 0xffff
	s_mov_b32 s25, exec_lo
	v_and_b32_sdwa v3, v3, v2 dst_sel:DWORD dst_unused:UNUSED_PAD src0_sel:DWORD src1_sel:BYTE_1
	v_and_b32_e32 v4, 0x7f, v3
	s_waitcnt vmcnt(0)
	v_mov_b32_e32 v7, v6
	v_mov_b32_e32 v6, v77
	;; [unrolled: 1-line block ×3, first 2 shown]
	buffer_store_dword v4, off, s[0:3], s32 offset:200 ; 4-byte Folded Spill
	buffer_store_dword v5, off, s[0:3], s32 offset:204 ; 4-byte Folded Spill
	;; [unrolled: 1-line block ×4, first 2 shown]
	v_cmpx_ne_u32_e32 0x7f, v4
	s_cbranch_execz .LBB241_641
; %bb.638:                              ;   in Loop: Header=BB241_16 Depth=1
	v_and_b32_e32 v76, 7, v3
	v_lshrrev_b32_e32 v3, 3, v4
	s_mov_b32 s26, exec_lo
	v_cmpx_gt_u32_e32 8, v4
; %bb.639:                              ;   in Loop: Header=BB241_16 Depth=1
	v_ffbh_u32_e32 v3, v76
	v_min_u32_e32 v3, 32, v3
	v_subrev_nc_u32_e32 v4, 28, v3
	v_sub_nc_u32_e32 v3, 29, v3
	v_lshlrev_b64 v[4:5], v4, v[76:77]
	v_and_b32_e32 v76, 7, v4
; %bb.640:                              ;   in Loop: Header=BB241_16 Depth=1
	s_or_b32 exec_lo, exec_lo, s26
	v_lshlrev_b32_e32 v4, 16, v2
	v_lshlrev_b32_e32 v5, 20, v76
	v_lshl_add_u32 v3, v3, 23, 0x3c000000
	v_and_b32_e32 v4, 0x80000000, v4
	v_or3_b32 v4, v5, v4, v3
	v_mov_b32_e32 v3, v77
	buffer_store_dword v3, off, s[0:3], s32 offset:860 ; 4-byte Folded Spill
	buffer_store_dword v4, off, s[0:3], s32 offset:864 ; 4-byte Folded Spill
.LBB241_641:                            ;   in Loop: Header=BB241_16 Depth=1
	s_or_b32 exec_lo, exec_lo, s25
.LBB241_642:                            ;   in Loop: Header=BB241_16 Depth=1
	s_or_b32 exec_lo, exec_lo, s24
.LBB241_643:                            ;   in Loop: Header=BB241_16 Depth=1
	s_or_b32 exec_lo, exec_lo, s23
	v_mov_b32_e32 v4, 0
	v_mov_b32_e32 v5, 0
	;; [unrolled: 1-line block ×3, first 2 shown]
	s_mov_b32 s23, exec_lo
	buffer_store_dword v4, off, s[0:3], s32 offset:868 ; 4-byte Folded Spill
	buffer_store_dword v5, off, s[0:3], s32 offset:872 ; 4-byte Folded Spill
	v_mov_b32_e32 v4, 0
	v_and_b32_sdwa v3, v2, v3 dst_sel:DWORD dst_unused:UNUSED_PAD src0_sel:WORD_1 src1_sel:DWORD
	v_mov_b32_e32 v5, 0
	buffer_store_dword v4, off, s[0:3], s32 offset:876 ; 4-byte Folded Spill
	buffer_store_dword v5, off, s[0:3], s32 offset:880 ; 4-byte Folded Spill
	v_cmpx_ne_u16_e32 0, v3
	s_cbranch_execz .LBB241_651
; %bb.644:                              ;   in Loop: Header=BB241_16 Depth=1
	v_cmp_ne_u16_e64 s5, 0x80, v3
	v_bfrev_b32_e32 v3, 1
	v_mov_b32_e32 v4, 0
	buffer_store_dword v3, off, s[0:3], s32 offset:876 ; 4-byte Folded Spill
	buffer_store_dword v4, off, s[0:3], s32 offset:880 ; 4-byte Folded Spill
	s_and_saveexec_b32 s24, s5
	s_cbranch_execz .LBB241_650
; %bb.645:                              ;   in Loop: Header=BB241_16 Depth=1
	v_mov_b32_e32 v5, 0x7f800001
	v_bfe_u32 v4, v2, 16, 7
	v_mov_b32_e32 v6, 0
	s_mov_b32 s25, exec_lo
	buffer_store_dword v5, off, s[0:3], s32 offset:876 ; 4-byte Folded Spill
	buffer_store_dword v6, off, s[0:3], s32 offset:880 ; 4-byte Folded Spill
	v_cmpx_ne_u32_e32 0x7f, v4
	s_cbranch_execz .LBB241_649
; %bb.646:                              ;   in Loop: Header=BB241_16 Depth=1
	v_mov_b32_e32 v3, 7
	s_mov_b32 s26, exec_lo
	v_and_b32_sdwa v76, v2, v3 dst_sel:DWORD dst_unused:UNUSED_PAD src0_sel:WORD_1 src1_sel:DWORD
	v_lshrrev_b32_e32 v3, 3, v4
	v_cmpx_gt_u32_e32 8, v4
; %bb.647:                              ;   in Loop: Header=BB241_16 Depth=1
	v_ffbh_u32_e32 v3, v76
	v_min_u32_e32 v3, 32, v3
	v_subrev_nc_u32_e32 v4, 28, v3
	v_sub_nc_u32_e32 v3, 29, v3
	v_lshlrev_b64 v[4:5], v4, v[76:77]
	v_and_b32_e32 v76, 7, v4
; %bb.648:                              ;   in Loop: Header=BB241_16 Depth=1
	s_or_b32 exec_lo, exec_lo, s26
	v_mov_b32_e32 v4, 24
	v_lshlrev_b32_e32 v5, 20, v76
	v_lshl_add_u32 v3, v3, 23, 0x3c000000
	v_lshlrev_b32_sdwa v4, v4, v2 dst_sel:DWORD dst_unused:UNUSED_PAD src0_sel:DWORD src1_sel:WORD_1
	v_and_b32_e32 v4, 0x80000000, v4
	v_or3_b32 v76, v5, v4, v3
	buffer_store_dword v76, off, s[0:3], s32 offset:876 ; 4-byte Folded Spill
	buffer_store_dword v77, off, s[0:3], s32 offset:880 ; 4-byte Folded Spill
.LBB241_649:                            ;   in Loop: Header=BB241_16 Depth=1
	s_or_b32 exec_lo, exec_lo, s25
.LBB241_650:                            ;   in Loop: Header=BB241_16 Depth=1
	s_or_b32 exec_lo, exec_lo, s24
.LBB241_651:                            ;   in Loop: Header=BB241_16 Depth=1
	s_or_b32 exec_lo, exec_lo, s23
	s_mov_b32 s23, exec_lo
	v_cmpx_lt_u32_e32 0xffffff, v2
	s_cbranch_execz .LBB241_659
; %bb.652:                              ;   in Loop: Header=BB241_16 Depth=1
	v_mov_b32_e32 v3, 0x80
	v_mov_b32_e32 v70, v77
	buffer_store_dword v70, off, s[0:3], s32 offset:868 ; 4-byte Folded Spill
	buffer_store_dword v71, off, s[0:3], s32 offset:872 ; 4-byte Folded Spill
	v_cmp_ne_u32_sdwa s5, v2, v3 src0_sel:BYTE_3 src1_sel:DWORD
	s_and_saveexec_b32 s24, s5
	s_cbranch_execz .LBB241_658
; %bb.653:                              ;   in Loop: Header=BB241_16 Depth=1
	s_clause 0x1
	buffer_load_dword v5, off, s[0:3], s32 offset:200
	buffer_load_dword v6, off, s[0:3], s32 offset:204
	v_bfe_u32 v4, v2, 24, 7
	s_waitcnt vmcnt(1)
	v_mov_b32_e32 v5, v77
	s_mov_b32 s25, exec_lo
	s_waitcnt vmcnt(0)
	v_mov_b32_e32 v3, v6
	buffer_store_dword v2, off, s[0:3], s32 offset:200 ; 4-byte Folded Spill
	buffer_store_dword v3, off, s[0:3], s32 offset:204 ; 4-byte Folded Spill
	;; [unrolled: 1-line block ×4, first 2 shown]
	v_cmpx_ne_u32_e32 0x7f, v4
	s_cbranch_execz .LBB241_657
; %bb.654:                              ;   in Loop: Header=BB241_16 Depth=1
	v_mov_b32_e32 v3, 7
	s_mov_b32 s26, exec_lo
	v_and_b32_sdwa v76, v2, v3 dst_sel:DWORD dst_unused:UNUSED_PAD src0_sel:BYTE_3 src1_sel:DWORD
	v_lshrrev_b32_e32 v3, 3, v4
	v_cmpx_gt_u32_e32 8, v4
; %bb.655:                              ;   in Loop: Header=BB241_16 Depth=1
	v_ffbh_u32_e32 v3, v76
	v_min_u32_e32 v3, 32, v3
	v_subrev_nc_u32_e32 v4, 28, v3
	v_sub_nc_u32_e32 v3, 29, v3
	v_lshlrev_b64 v[4:5], v4, v[76:77]
	v_and_b32_e32 v76, 7, v4
; %bb.656:                              ;   in Loop: Header=BB241_16 Depth=1
	s_or_b32 exec_lo, exec_lo, s26
	v_mov_b32_e32 v4, 24
	v_lshl_add_u32 v3, v3, 23, 0x3c000000
	v_lshlrev_b32_sdwa v2, v4, v2 dst_sel:DWORD dst_unused:UNUSED_PAD src0_sel:DWORD src1_sel:BYTE_3
	v_lshlrev_b32_e32 v4, 20, v76
	v_and_b32_e32 v2, 0x80000000, v2
	v_or3_b32 v3, v4, v2, v3
	v_mov_b32_e32 v2, v77
	buffer_store_dword v2, off, s[0:3], s32 offset:868 ; 4-byte Folded Spill
	buffer_store_dword v3, off, s[0:3], s32 offset:872 ; 4-byte Folded Spill
.LBB241_657:                            ;   in Loop: Header=BB241_16 Depth=1
	s_or_b32 exec_lo, exec_lo, s25
.LBB241_658:                            ;   in Loop: Header=BB241_16 Depth=1
	s_or_b32 exec_lo, exec_lo, s24
.LBB241_659:                            ;   in Loop: Header=BB241_16 Depth=1
	s_or_b32 exec_lo, exec_lo, s23
	flat_load_dword v2, v[0:1] offset:512
	v_mov_b32_e32 v3, 0
	v_mov_b32_e32 v4, 0
	buffer_store_dword v3, off, s[0:3], s32 offset:892 ; 4-byte Folded Spill
	buffer_store_dword v4, off, s[0:3], s32 offset:896 ; 4-byte Folded Spill
	v_mov_b32_e32 v3, 0
	v_mov_b32_e32 v4, 0
	buffer_store_dword v3, off, s[0:3], s32 offset:884 ; 4-byte Folded Spill
	buffer_store_dword v4, off, s[0:3], s32 offset:888 ; 4-byte Folded Spill
	s_waitcnt vmcnt(0) lgkmcnt(0)
	v_cmp_ne_u16_sdwa s5, v2, v77 src0_sel:BYTE_0 src1_sel:DWORD
	s_and_saveexec_b32 s23, s5
	s_cbranch_execz .LBB241_667
; %bb.660:                              ;   in Loop: Header=BB241_16 Depth=1
	v_bfrev_b32_e32 v3, 1
	v_mov_b32_e32 v4, 0
	buffer_store_dword v3, off, s[0:3], s32 offset:884 ; 4-byte Folded Spill
	buffer_store_dword v4, off, s[0:3], s32 offset:888 ; 4-byte Folded Spill
	v_mov_b32_e32 v3, 0x80
	v_cmp_ne_u16_sdwa s5, v2, v3 src0_sel:BYTE_0 src1_sel:DWORD
	s_and_saveexec_b32 s24, s5
	s_cbranch_execz .LBB241_666
; %bb.661:                              ;   in Loop: Header=BB241_16 Depth=1
	v_mov_b32_e32 v5, 0x7f800001
	v_and_b32_e32 v4, 0x7f, v2
	v_mov_b32_e32 v6, 0
	s_mov_b32 s25, exec_lo
	buffer_store_dword v5, off, s[0:3], s32 offset:884 ; 4-byte Folded Spill
	buffer_store_dword v6, off, s[0:3], s32 offset:888 ; 4-byte Folded Spill
	v_cmpx_ne_u32_e32 0x7f, v4
	s_cbranch_execz .LBB241_665
; %bb.662:                              ;   in Loop: Header=BB241_16 Depth=1
	v_and_b32_e32 v76, 7, v2
	v_lshrrev_b32_e32 v3, 3, v4
	s_mov_b32 s26, exec_lo
	v_cmpx_gt_u32_e32 8, v4
; %bb.663:                              ;   in Loop: Header=BB241_16 Depth=1
	v_ffbh_u32_e32 v3, v76
	v_min_u32_e32 v3, 32, v3
	v_subrev_nc_u32_e32 v4, 28, v3
	v_sub_nc_u32_e32 v3, 29, v3
	v_lshlrev_b64 v[4:5], v4, v[76:77]
	v_and_b32_e32 v76, 7, v4
; %bb.664:                              ;   in Loop: Header=BB241_16 Depth=1
	s_or_b32 exec_lo, exec_lo, s26
	v_lshlrev_b32_e32 v4, 24, v2
	v_lshlrev_b32_e32 v5, 20, v76
	v_lshl_add_u32 v3, v3, 23, 0x3c000000
	v_and_b32_e32 v4, 0x80000000, v4
	v_or3_b32 v76, v5, v4, v3
	buffer_store_dword v76, off, s[0:3], s32 offset:884 ; 4-byte Folded Spill
	buffer_store_dword v77, off, s[0:3], s32 offset:888 ; 4-byte Folded Spill
.LBB241_665:                            ;   in Loop: Header=BB241_16 Depth=1
	s_or_b32 exec_lo, exec_lo, s25
.LBB241_666:                            ;   in Loop: Header=BB241_16 Depth=1
	s_or_b32 exec_lo, exec_lo, s24
.LBB241_667:                            ;   in Loop: Header=BB241_16 Depth=1
	s_or_b32 exec_lo, exec_lo, s23
	v_cmp_ne_u16_sdwa s5, v2, v77 src0_sel:BYTE_1 src1_sel:DWORD
	s_and_saveexec_b32 s23, s5
	s_cbranch_execz .LBB241_675
; %bb.668:                              ;   in Loop: Header=BB241_16 Depth=1
	v_mov_b32_e32 v3, 0x80
	v_mov_b32_e32 v70, v77
	buffer_store_dword v70, off, s[0:3], s32 offset:892 ; 4-byte Folded Spill
	buffer_store_dword v71, off, s[0:3], s32 offset:896 ; 4-byte Folded Spill
	v_cmp_ne_u16_sdwa s5, v2, v3 src0_sel:BYTE_1 src1_sel:DWORD
	s_and_saveexec_b32 s24, s5
	s_cbranch_execz .LBB241_674
; %bb.669:                              ;   in Loop: Header=BB241_16 Depth=1
	s_clause 0x1
	buffer_load_dword v5, off, s[0:3], s32 offset:200
	buffer_load_dword v6, off, s[0:3], s32 offset:204
	v_mov_b32_e32 v3, 0xffff
	s_mov_b32 s25, exec_lo
	v_and_b32_sdwa v3, v3, v2 dst_sel:DWORD dst_unused:UNUSED_PAD src0_sel:DWORD src1_sel:BYTE_1
	v_and_b32_e32 v4, 0x7f, v3
	s_waitcnt vmcnt(0)
	v_mov_b32_e32 v7, v6
	v_mov_b32_e32 v6, v77
	;; [unrolled: 1-line block ×3, first 2 shown]
	buffer_store_dword v4, off, s[0:3], s32 offset:200 ; 4-byte Folded Spill
	buffer_store_dword v5, off, s[0:3], s32 offset:204 ; 4-byte Folded Spill
	;; [unrolled: 1-line block ×4, first 2 shown]
	v_cmpx_ne_u32_e32 0x7f, v4
	s_cbranch_execz .LBB241_673
; %bb.670:                              ;   in Loop: Header=BB241_16 Depth=1
	v_and_b32_e32 v76, 7, v3
	v_lshrrev_b32_e32 v3, 3, v4
	s_mov_b32 s26, exec_lo
	v_cmpx_gt_u32_e32 8, v4
; %bb.671:                              ;   in Loop: Header=BB241_16 Depth=1
	v_ffbh_u32_e32 v3, v76
	v_min_u32_e32 v3, 32, v3
	v_subrev_nc_u32_e32 v4, 28, v3
	v_sub_nc_u32_e32 v3, 29, v3
	v_lshlrev_b64 v[4:5], v4, v[76:77]
	v_and_b32_e32 v76, 7, v4
; %bb.672:                              ;   in Loop: Header=BB241_16 Depth=1
	s_or_b32 exec_lo, exec_lo, s26
	v_lshlrev_b32_e32 v4, 16, v2
	v_lshlrev_b32_e32 v5, 20, v76
	v_lshl_add_u32 v3, v3, 23, 0x3c000000
	v_and_b32_e32 v4, 0x80000000, v4
	v_or3_b32 v4, v5, v4, v3
	v_mov_b32_e32 v3, v77
	buffer_store_dword v3, off, s[0:3], s32 offset:892 ; 4-byte Folded Spill
	buffer_store_dword v4, off, s[0:3], s32 offset:896 ; 4-byte Folded Spill
.LBB241_673:                            ;   in Loop: Header=BB241_16 Depth=1
	s_or_b32 exec_lo, exec_lo, s25
.LBB241_674:                            ;   in Loop: Header=BB241_16 Depth=1
	s_or_b32 exec_lo, exec_lo, s24
.LBB241_675:                            ;   in Loop: Header=BB241_16 Depth=1
	s_or_b32 exec_lo, exec_lo, s23
	v_mov_b32_e32 v4, 0
	v_mov_b32_e32 v5, 0
	;; [unrolled: 1-line block ×3, first 2 shown]
	s_mov_b32 s23, exec_lo
	buffer_store_dword v4, off, s[0:3], s32 offset:900 ; 4-byte Folded Spill
	buffer_store_dword v5, off, s[0:3], s32 offset:904 ; 4-byte Folded Spill
	v_mov_b32_e32 v4, 0
	v_and_b32_sdwa v3, v2, v3 dst_sel:DWORD dst_unused:UNUSED_PAD src0_sel:WORD_1 src1_sel:DWORD
	v_mov_b32_e32 v5, 0
	buffer_store_dword v4, off, s[0:3], s32 offset:908 ; 4-byte Folded Spill
	buffer_store_dword v5, off, s[0:3], s32 offset:912 ; 4-byte Folded Spill
	v_cmpx_ne_u16_e32 0, v3
	s_cbranch_execz .LBB241_683
; %bb.676:                              ;   in Loop: Header=BB241_16 Depth=1
	v_cmp_ne_u16_e64 s5, 0x80, v3
	v_bfrev_b32_e32 v3, 1
	v_mov_b32_e32 v4, 0
	buffer_store_dword v3, off, s[0:3], s32 offset:908 ; 4-byte Folded Spill
	buffer_store_dword v4, off, s[0:3], s32 offset:912 ; 4-byte Folded Spill
	s_and_saveexec_b32 s24, s5
	s_cbranch_execz .LBB241_682
; %bb.677:                              ;   in Loop: Header=BB241_16 Depth=1
	v_mov_b32_e32 v5, 0x7f800001
	v_bfe_u32 v4, v2, 16, 7
	v_mov_b32_e32 v6, 0
	s_mov_b32 s25, exec_lo
	buffer_store_dword v5, off, s[0:3], s32 offset:908 ; 4-byte Folded Spill
	buffer_store_dword v6, off, s[0:3], s32 offset:912 ; 4-byte Folded Spill
	v_cmpx_ne_u32_e32 0x7f, v4
	s_cbranch_execz .LBB241_681
; %bb.678:                              ;   in Loop: Header=BB241_16 Depth=1
	v_mov_b32_e32 v3, 7
	s_mov_b32 s26, exec_lo
	v_and_b32_sdwa v76, v2, v3 dst_sel:DWORD dst_unused:UNUSED_PAD src0_sel:WORD_1 src1_sel:DWORD
	v_lshrrev_b32_e32 v3, 3, v4
	v_cmpx_gt_u32_e32 8, v4
; %bb.679:                              ;   in Loop: Header=BB241_16 Depth=1
	v_ffbh_u32_e32 v3, v76
	v_min_u32_e32 v3, 32, v3
	v_subrev_nc_u32_e32 v4, 28, v3
	v_sub_nc_u32_e32 v3, 29, v3
	v_lshlrev_b64 v[4:5], v4, v[76:77]
	v_and_b32_e32 v76, 7, v4
; %bb.680:                              ;   in Loop: Header=BB241_16 Depth=1
	s_or_b32 exec_lo, exec_lo, s26
	v_mov_b32_e32 v4, 24
	v_lshlrev_b32_e32 v5, 20, v76
	v_lshl_add_u32 v3, v3, 23, 0x3c000000
	v_lshlrev_b32_sdwa v4, v4, v2 dst_sel:DWORD dst_unused:UNUSED_PAD src0_sel:DWORD src1_sel:WORD_1
	v_and_b32_e32 v4, 0x80000000, v4
	v_or3_b32 v76, v5, v4, v3
	buffer_store_dword v76, off, s[0:3], s32 offset:908 ; 4-byte Folded Spill
	buffer_store_dword v77, off, s[0:3], s32 offset:912 ; 4-byte Folded Spill
.LBB241_681:                            ;   in Loop: Header=BB241_16 Depth=1
	s_or_b32 exec_lo, exec_lo, s25
.LBB241_682:                            ;   in Loop: Header=BB241_16 Depth=1
	s_or_b32 exec_lo, exec_lo, s24
.LBB241_683:                            ;   in Loop: Header=BB241_16 Depth=1
	s_or_b32 exec_lo, exec_lo, s23
	s_mov_b32 s23, exec_lo
	v_cmpx_lt_u32_e32 0xffffff, v2
	s_cbranch_execz .LBB241_691
; %bb.684:                              ;   in Loop: Header=BB241_16 Depth=1
	v_mov_b32_e32 v3, 0x80
	v_mov_b32_e32 v70, v77
	buffer_store_dword v70, off, s[0:3], s32 offset:900 ; 4-byte Folded Spill
	buffer_store_dword v71, off, s[0:3], s32 offset:904 ; 4-byte Folded Spill
	v_cmp_ne_u32_sdwa s5, v2, v3 src0_sel:BYTE_3 src1_sel:DWORD
	s_and_saveexec_b32 s24, s5
	s_cbranch_execz .LBB241_690
; %bb.685:                              ;   in Loop: Header=BB241_16 Depth=1
	s_clause 0x1
	buffer_load_dword v5, off, s[0:3], s32 offset:200
	buffer_load_dword v6, off, s[0:3], s32 offset:204
	v_bfe_u32 v4, v2, 24, 7
	s_waitcnt vmcnt(1)
	v_mov_b32_e32 v5, v77
	s_mov_b32 s25, exec_lo
	s_waitcnt vmcnt(0)
	v_mov_b32_e32 v3, v6
	buffer_store_dword v2, off, s[0:3], s32 offset:200 ; 4-byte Folded Spill
	buffer_store_dword v3, off, s[0:3], s32 offset:204 ; 4-byte Folded Spill
	;; [unrolled: 1-line block ×4, first 2 shown]
	v_cmpx_ne_u32_e32 0x7f, v4
	s_cbranch_execz .LBB241_689
; %bb.686:                              ;   in Loop: Header=BB241_16 Depth=1
	v_mov_b32_e32 v3, 7
	s_mov_b32 s26, exec_lo
	v_and_b32_sdwa v76, v2, v3 dst_sel:DWORD dst_unused:UNUSED_PAD src0_sel:BYTE_3 src1_sel:DWORD
	v_lshrrev_b32_e32 v3, 3, v4
	v_cmpx_gt_u32_e32 8, v4
; %bb.687:                              ;   in Loop: Header=BB241_16 Depth=1
	v_ffbh_u32_e32 v3, v76
	v_min_u32_e32 v3, 32, v3
	v_subrev_nc_u32_e32 v4, 28, v3
	v_sub_nc_u32_e32 v3, 29, v3
	v_lshlrev_b64 v[4:5], v4, v[76:77]
	v_and_b32_e32 v76, 7, v4
; %bb.688:                              ;   in Loop: Header=BB241_16 Depth=1
	s_or_b32 exec_lo, exec_lo, s26
	v_mov_b32_e32 v4, 24
	v_lshl_add_u32 v3, v3, 23, 0x3c000000
	v_lshlrev_b32_sdwa v2, v4, v2 dst_sel:DWORD dst_unused:UNUSED_PAD src0_sel:DWORD src1_sel:BYTE_3
	v_lshlrev_b32_e32 v4, 20, v76
	v_and_b32_e32 v2, 0x80000000, v2
	v_or3_b32 v3, v4, v2, v3
	v_mov_b32_e32 v2, v77
	buffer_store_dword v2, off, s[0:3], s32 offset:900 ; 4-byte Folded Spill
	buffer_store_dword v3, off, s[0:3], s32 offset:904 ; 4-byte Folded Spill
.LBB241_689:                            ;   in Loop: Header=BB241_16 Depth=1
	s_or_b32 exec_lo, exec_lo, s25
.LBB241_690:                            ;   in Loop: Header=BB241_16 Depth=1
	s_or_b32 exec_lo, exec_lo, s24
.LBB241_691:                            ;   in Loop: Header=BB241_16 Depth=1
	s_or_b32 exec_lo, exec_lo, s23
	flat_load_dword v2, v[0:1] offset:516
	v_mov_b32_e32 v3, 0
	v_mov_b32_e32 v4, 0
	buffer_store_dword v3, off, s[0:3], s32 offset:916 ; 4-byte Folded Spill
	buffer_store_dword v4, off, s[0:3], s32 offset:920 ; 4-byte Folded Spill
	v_mov_b32_e32 v3, 0
	v_mov_b32_e32 v4, 0
	buffer_store_dword v3, off, s[0:3], s32 offset:940 ; 4-byte Folded Spill
	buffer_store_dword v4, off, s[0:3], s32 offset:944 ; 4-byte Folded Spill
	s_waitcnt vmcnt(0) lgkmcnt(0)
	v_cmp_ne_u16_sdwa s5, v2, v77 src0_sel:BYTE_0 src1_sel:DWORD
	s_and_saveexec_b32 s23, s5
	s_cbranch_execz .LBB241_699
; %bb.692:                              ;   in Loop: Header=BB241_16 Depth=1
	v_bfrev_b32_e32 v3, 1
	v_mov_b32_e32 v4, 0
	buffer_store_dword v3, off, s[0:3], s32 offset:940 ; 4-byte Folded Spill
	buffer_store_dword v4, off, s[0:3], s32 offset:944 ; 4-byte Folded Spill
	v_mov_b32_e32 v3, 0x80
	v_cmp_ne_u16_sdwa s5, v2, v3 src0_sel:BYTE_0 src1_sel:DWORD
	s_and_saveexec_b32 s24, s5
	s_cbranch_execz .LBB241_698
; %bb.693:                              ;   in Loop: Header=BB241_16 Depth=1
	v_mov_b32_e32 v5, 0x7f800001
	v_and_b32_e32 v4, 0x7f, v2
	v_mov_b32_e32 v6, 0
	s_mov_b32 s25, exec_lo
	buffer_store_dword v5, off, s[0:3], s32 offset:940 ; 4-byte Folded Spill
	buffer_store_dword v6, off, s[0:3], s32 offset:944 ; 4-byte Folded Spill
	v_cmpx_ne_u32_e32 0x7f, v4
	s_cbranch_execz .LBB241_697
; %bb.694:                              ;   in Loop: Header=BB241_16 Depth=1
	v_and_b32_e32 v76, 7, v2
	v_lshrrev_b32_e32 v3, 3, v4
	s_mov_b32 s26, exec_lo
	v_cmpx_gt_u32_e32 8, v4
; %bb.695:                              ;   in Loop: Header=BB241_16 Depth=1
	v_ffbh_u32_e32 v3, v76
	v_min_u32_e32 v3, 32, v3
	v_subrev_nc_u32_e32 v4, 28, v3
	v_sub_nc_u32_e32 v3, 29, v3
	v_lshlrev_b64 v[4:5], v4, v[76:77]
	v_and_b32_e32 v76, 7, v4
; %bb.696:                              ;   in Loop: Header=BB241_16 Depth=1
	s_or_b32 exec_lo, exec_lo, s26
	v_lshlrev_b32_e32 v4, 24, v2
	v_lshlrev_b32_e32 v5, 20, v76
	v_lshl_add_u32 v3, v3, 23, 0x3c000000
	v_and_b32_e32 v4, 0x80000000, v4
	v_or3_b32 v76, v5, v4, v3
	buffer_store_dword v76, off, s[0:3], s32 offset:940 ; 4-byte Folded Spill
	buffer_store_dword v77, off, s[0:3], s32 offset:944 ; 4-byte Folded Spill
.LBB241_697:                            ;   in Loop: Header=BB241_16 Depth=1
	s_or_b32 exec_lo, exec_lo, s25
.LBB241_698:                            ;   in Loop: Header=BB241_16 Depth=1
	s_or_b32 exec_lo, exec_lo, s24
.LBB241_699:                            ;   in Loop: Header=BB241_16 Depth=1
	s_or_b32 exec_lo, exec_lo, s23
	v_cmp_ne_u16_sdwa s5, v2, v77 src0_sel:BYTE_1 src1_sel:DWORD
	s_and_saveexec_b32 s23, s5
	s_cbranch_execz .LBB241_707
; %bb.700:                              ;   in Loop: Header=BB241_16 Depth=1
	v_mov_b32_e32 v3, 0x80
	v_mov_b32_e32 v70, v77
	buffer_store_dword v70, off, s[0:3], s32 offset:916 ; 4-byte Folded Spill
	buffer_store_dword v71, off, s[0:3], s32 offset:920 ; 4-byte Folded Spill
	v_cmp_ne_u16_sdwa s5, v2, v3 src0_sel:BYTE_1 src1_sel:DWORD
	s_and_saveexec_b32 s24, s5
	s_cbranch_execz .LBB241_706
; %bb.701:                              ;   in Loop: Header=BB241_16 Depth=1
	s_clause 0x1
	buffer_load_dword v5, off, s[0:3], s32 offset:200
	buffer_load_dword v6, off, s[0:3], s32 offset:204
	v_mov_b32_e32 v3, 0xffff
	s_mov_b32 s25, exec_lo
	v_and_b32_sdwa v3, v3, v2 dst_sel:DWORD dst_unused:UNUSED_PAD src0_sel:DWORD src1_sel:BYTE_1
	v_and_b32_e32 v4, 0x7f, v3
	s_waitcnt vmcnt(0)
	v_mov_b32_e32 v7, v6
	v_mov_b32_e32 v6, v77
	;; [unrolled: 1-line block ×3, first 2 shown]
	buffer_store_dword v4, off, s[0:3], s32 offset:200 ; 4-byte Folded Spill
	buffer_store_dword v5, off, s[0:3], s32 offset:204 ; 4-byte Folded Spill
	;; [unrolled: 1-line block ×4, first 2 shown]
	v_cmpx_ne_u32_e32 0x7f, v4
	s_cbranch_execz .LBB241_705
; %bb.702:                              ;   in Loop: Header=BB241_16 Depth=1
	v_and_b32_e32 v76, 7, v3
	v_lshrrev_b32_e32 v3, 3, v4
	s_mov_b32 s26, exec_lo
	v_cmpx_gt_u32_e32 8, v4
; %bb.703:                              ;   in Loop: Header=BB241_16 Depth=1
	v_ffbh_u32_e32 v3, v76
	v_min_u32_e32 v3, 32, v3
	v_subrev_nc_u32_e32 v4, 28, v3
	v_sub_nc_u32_e32 v3, 29, v3
	v_lshlrev_b64 v[4:5], v4, v[76:77]
	v_and_b32_e32 v76, 7, v4
; %bb.704:                              ;   in Loop: Header=BB241_16 Depth=1
	s_or_b32 exec_lo, exec_lo, s26
	v_lshlrev_b32_e32 v4, 16, v2
	v_lshlrev_b32_e32 v5, 20, v76
	v_lshl_add_u32 v3, v3, 23, 0x3c000000
	v_and_b32_e32 v4, 0x80000000, v4
	v_or3_b32 v4, v5, v4, v3
	v_mov_b32_e32 v3, v77
	buffer_store_dword v3, off, s[0:3], s32 offset:916 ; 4-byte Folded Spill
	buffer_store_dword v4, off, s[0:3], s32 offset:920 ; 4-byte Folded Spill
.LBB241_705:                            ;   in Loop: Header=BB241_16 Depth=1
	s_or_b32 exec_lo, exec_lo, s25
.LBB241_706:                            ;   in Loop: Header=BB241_16 Depth=1
	s_or_b32 exec_lo, exec_lo, s24
.LBB241_707:                            ;   in Loop: Header=BB241_16 Depth=1
	s_or_b32 exec_lo, exec_lo, s23
	v_mov_b32_e32 v4, 0
	v_mov_b32_e32 v5, 0
	;; [unrolled: 1-line block ×3, first 2 shown]
	s_mov_b32 s23, exec_lo
	buffer_store_dword v4, off, s[0:3], s32 offset:924 ; 4-byte Folded Spill
	buffer_store_dword v5, off, s[0:3], s32 offset:928 ; 4-byte Folded Spill
	v_mov_b32_e32 v4, 0
	v_and_b32_sdwa v3, v2, v3 dst_sel:DWORD dst_unused:UNUSED_PAD src0_sel:WORD_1 src1_sel:DWORD
	v_mov_b32_e32 v5, 0
	buffer_store_dword v4, off, s[0:3], s32 offset:932 ; 4-byte Folded Spill
	buffer_store_dword v5, off, s[0:3], s32 offset:936 ; 4-byte Folded Spill
	v_cmpx_ne_u16_e32 0, v3
	s_cbranch_execz .LBB241_715
; %bb.708:                              ;   in Loop: Header=BB241_16 Depth=1
	v_cmp_ne_u16_e64 s5, 0x80, v3
	v_bfrev_b32_e32 v3, 1
	v_mov_b32_e32 v4, 0
	buffer_store_dword v3, off, s[0:3], s32 offset:932 ; 4-byte Folded Spill
	buffer_store_dword v4, off, s[0:3], s32 offset:936 ; 4-byte Folded Spill
	s_and_saveexec_b32 s24, s5
	s_cbranch_execz .LBB241_714
; %bb.709:                              ;   in Loop: Header=BB241_16 Depth=1
	v_mov_b32_e32 v5, 0x7f800001
	v_bfe_u32 v4, v2, 16, 7
	v_mov_b32_e32 v6, 0
	s_mov_b32 s25, exec_lo
	buffer_store_dword v5, off, s[0:3], s32 offset:932 ; 4-byte Folded Spill
	buffer_store_dword v6, off, s[0:3], s32 offset:936 ; 4-byte Folded Spill
	v_cmpx_ne_u32_e32 0x7f, v4
	s_cbranch_execz .LBB241_713
; %bb.710:                              ;   in Loop: Header=BB241_16 Depth=1
	v_mov_b32_e32 v3, 7
	s_mov_b32 s26, exec_lo
	v_and_b32_sdwa v76, v2, v3 dst_sel:DWORD dst_unused:UNUSED_PAD src0_sel:WORD_1 src1_sel:DWORD
	v_lshrrev_b32_e32 v3, 3, v4
	v_cmpx_gt_u32_e32 8, v4
; %bb.711:                              ;   in Loop: Header=BB241_16 Depth=1
	v_ffbh_u32_e32 v3, v76
	v_min_u32_e32 v3, 32, v3
	v_subrev_nc_u32_e32 v4, 28, v3
	v_sub_nc_u32_e32 v3, 29, v3
	v_lshlrev_b64 v[4:5], v4, v[76:77]
	v_and_b32_e32 v76, 7, v4
; %bb.712:                              ;   in Loop: Header=BB241_16 Depth=1
	s_or_b32 exec_lo, exec_lo, s26
	v_mov_b32_e32 v4, 24
	v_lshlrev_b32_e32 v5, 20, v76
	v_lshl_add_u32 v3, v3, 23, 0x3c000000
	v_lshlrev_b32_sdwa v4, v4, v2 dst_sel:DWORD dst_unused:UNUSED_PAD src0_sel:DWORD src1_sel:WORD_1
	v_and_b32_e32 v4, 0x80000000, v4
	v_or3_b32 v76, v5, v4, v3
	buffer_store_dword v76, off, s[0:3], s32 offset:932 ; 4-byte Folded Spill
	buffer_store_dword v77, off, s[0:3], s32 offset:936 ; 4-byte Folded Spill
.LBB241_713:                            ;   in Loop: Header=BB241_16 Depth=1
	s_or_b32 exec_lo, exec_lo, s25
.LBB241_714:                            ;   in Loop: Header=BB241_16 Depth=1
	s_or_b32 exec_lo, exec_lo, s24
.LBB241_715:                            ;   in Loop: Header=BB241_16 Depth=1
	s_or_b32 exec_lo, exec_lo, s23
	s_mov_b32 s23, exec_lo
	v_cmpx_lt_u32_e32 0xffffff, v2
	s_cbranch_execz .LBB241_723
; %bb.716:                              ;   in Loop: Header=BB241_16 Depth=1
	v_mov_b32_e32 v3, 0x80
	v_mov_b32_e32 v70, v77
	buffer_store_dword v70, off, s[0:3], s32 offset:924 ; 4-byte Folded Spill
	buffer_store_dword v71, off, s[0:3], s32 offset:928 ; 4-byte Folded Spill
	v_cmp_ne_u32_sdwa s5, v2, v3 src0_sel:BYTE_3 src1_sel:DWORD
	s_and_saveexec_b32 s24, s5
	s_cbranch_execz .LBB241_722
; %bb.717:                              ;   in Loop: Header=BB241_16 Depth=1
	s_clause 0x1
	buffer_load_dword v5, off, s[0:3], s32 offset:200
	buffer_load_dword v6, off, s[0:3], s32 offset:204
	v_bfe_u32 v4, v2, 24, 7
	s_waitcnt vmcnt(1)
	v_mov_b32_e32 v5, v77
	s_mov_b32 s25, exec_lo
	s_waitcnt vmcnt(0)
	v_mov_b32_e32 v3, v6
	buffer_store_dword v2, off, s[0:3], s32 offset:200 ; 4-byte Folded Spill
	buffer_store_dword v3, off, s[0:3], s32 offset:204 ; 4-byte Folded Spill
	;; [unrolled: 1-line block ×4, first 2 shown]
	v_cmpx_ne_u32_e32 0x7f, v4
	s_cbranch_execz .LBB241_721
; %bb.718:                              ;   in Loop: Header=BB241_16 Depth=1
	v_mov_b32_e32 v3, 7
	s_mov_b32 s26, exec_lo
	v_and_b32_sdwa v76, v2, v3 dst_sel:DWORD dst_unused:UNUSED_PAD src0_sel:BYTE_3 src1_sel:DWORD
	v_lshrrev_b32_e32 v3, 3, v4
	v_cmpx_gt_u32_e32 8, v4
; %bb.719:                              ;   in Loop: Header=BB241_16 Depth=1
	v_ffbh_u32_e32 v3, v76
	v_min_u32_e32 v3, 32, v3
	v_subrev_nc_u32_e32 v4, 28, v3
	v_sub_nc_u32_e32 v3, 29, v3
	v_lshlrev_b64 v[4:5], v4, v[76:77]
	v_and_b32_e32 v76, 7, v4
; %bb.720:                              ;   in Loop: Header=BB241_16 Depth=1
	s_or_b32 exec_lo, exec_lo, s26
	v_mov_b32_e32 v4, 24
	v_lshl_add_u32 v3, v3, 23, 0x3c000000
	v_lshlrev_b32_sdwa v2, v4, v2 dst_sel:DWORD dst_unused:UNUSED_PAD src0_sel:DWORD src1_sel:BYTE_3
	v_lshlrev_b32_e32 v4, 20, v76
	v_and_b32_e32 v2, 0x80000000, v2
	v_or3_b32 v3, v4, v2, v3
	v_mov_b32_e32 v2, v77
	buffer_store_dword v2, off, s[0:3], s32 offset:924 ; 4-byte Folded Spill
	buffer_store_dword v3, off, s[0:3], s32 offset:928 ; 4-byte Folded Spill
.LBB241_721:                            ;   in Loop: Header=BB241_16 Depth=1
	s_or_b32 exec_lo, exec_lo, s25
.LBB241_722:                            ;   in Loop: Header=BB241_16 Depth=1
	s_or_b32 exec_lo, exec_lo, s24
.LBB241_723:                            ;   in Loop: Header=BB241_16 Depth=1
	s_or_b32 exec_lo, exec_lo, s23
	flat_load_dword v2, v[0:1] offset:520
	v_mov_b32_e32 v3, 0
	v_mov_b32_e32 v4, 0
	buffer_store_dword v3, off, s[0:3], s32 offset:948 ; 4-byte Folded Spill
	buffer_store_dword v4, off, s[0:3], s32 offset:952 ; 4-byte Folded Spill
	v_mov_b32_e32 v3, 0
	v_mov_b32_e32 v4, 0
	buffer_store_dword v3, off, s[0:3], s32 offset:972 ; 4-byte Folded Spill
	buffer_store_dword v4, off, s[0:3], s32 offset:976 ; 4-byte Folded Spill
	s_waitcnt vmcnt(0) lgkmcnt(0)
	v_cmp_ne_u16_sdwa s5, v2, v77 src0_sel:BYTE_0 src1_sel:DWORD
	s_and_saveexec_b32 s23, s5
	s_cbranch_execz .LBB241_731
; %bb.724:                              ;   in Loop: Header=BB241_16 Depth=1
	v_bfrev_b32_e32 v3, 1
	v_mov_b32_e32 v4, 0
	buffer_store_dword v3, off, s[0:3], s32 offset:972 ; 4-byte Folded Spill
	buffer_store_dword v4, off, s[0:3], s32 offset:976 ; 4-byte Folded Spill
	v_mov_b32_e32 v3, 0x80
	v_cmp_ne_u16_sdwa s5, v2, v3 src0_sel:BYTE_0 src1_sel:DWORD
	s_and_saveexec_b32 s24, s5
	s_cbranch_execz .LBB241_730
; %bb.725:                              ;   in Loop: Header=BB241_16 Depth=1
	v_mov_b32_e32 v5, 0x7f800001
	v_and_b32_e32 v4, 0x7f, v2
	v_mov_b32_e32 v6, 0
	s_mov_b32 s25, exec_lo
	buffer_store_dword v5, off, s[0:3], s32 offset:972 ; 4-byte Folded Spill
	buffer_store_dword v6, off, s[0:3], s32 offset:976 ; 4-byte Folded Spill
	v_cmpx_ne_u32_e32 0x7f, v4
	s_cbranch_execz .LBB241_729
; %bb.726:                              ;   in Loop: Header=BB241_16 Depth=1
	v_and_b32_e32 v76, 7, v2
	v_lshrrev_b32_e32 v3, 3, v4
	s_mov_b32 s26, exec_lo
	v_cmpx_gt_u32_e32 8, v4
; %bb.727:                              ;   in Loop: Header=BB241_16 Depth=1
	v_ffbh_u32_e32 v3, v76
	v_min_u32_e32 v3, 32, v3
	v_subrev_nc_u32_e32 v4, 28, v3
	v_sub_nc_u32_e32 v3, 29, v3
	v_lshlrev_b64 v[4:5], v4, v[76:77]
	v_and_b32_e32 v76, 7, v4
; %bb.728:                              ;   in Loop: Header=BB241_16 Depth=1
	s_or_b32 exec_lo, exec_lo, s26
	v_lshlrev_b32_e32 v4, 24, v2
	v_lshlrev_b32_e32 v5, 20, v76
	v_lshl_add_u32 v3, v3, 23, 0x3c000000
	v_and_b32_e32 v4, 0x80000000, v4
	v_or3_b32 v76, v5, v4, v3
	buffer_store_dword v76, off, s[0:3], s32 offset:972 ; 4-byte Folded Spill
	buffer_store_dword v77, off, s[0:3], s32 offset:976 ; 4-byte Folded Spill
.LBB241_729:                            ;   in Loop: Header=BB241_16 Depth=1
	s_or_b32 exec_lo, exec_lo, s25
.LBB241_730:                            ;   in Loop: Header=BB241_16 Depth=1
	s_or_b32 exec_lo, exec_lo, s24
.LBB241_731:                            ;   in Loop: Header=BB241_16 Depth=1
	s_or_b32 exec_lo, exec_lo, s23
	v_cmp_ne_u16_sdwa s5, v2, v77 src0_sel:BYTE_1 src1_sel:DWORD
	s_and_saveexec_b32 s23, s5
	s_cbranch_execz .LBB241_739
; %bb.732:                              ;   in Loop: Header=BB241_16 Depth=1
	v_mov_b32_e32 v3, 0x80
	v_mov_b32_e32 v70, v77
	buffer_store_dword v70, off, s[0:3], s32 offset:948 ; 4-byte Folded Spill
	buffer_store_dword v71, off, s[0:3], s32 offset:952 ; 4-byte Folded Spill
	v_cmp_ne_u16_sdwa s5, v2, v3 src0_sel:BYTE_1 src1_sel:DWORD
	s_and_saveexec_b32 s24, s5
	s_cbranch_execz .LBB241_738
; %bb.733:                              ;   in Loop: Header=BB241_16 Depth=1
	s_clause 0x1
	buffer_load_dword v5, off, s[0:3], s32 offset:200
	buffer_load_dword v6, off, s[0:3], s32 offset:204
	v_mov_b32_e32 v3, 0xffff
	s_mov_b32 s25, exec_lo
	v_and_b32_sdwa v3, v3, v2 dst_sel:DWORD dst_unused:UNUSED_PAD src0_sel:DWORD src1_sel:BYTE_1
	v_and_b32_e32 v4, 0x7f, v3
	s_waitcnt vmcnt(0)
	v_mov_b32_e32 v7, v6
	v_mov_b32_e32 v6, v77
	;; [unrolled: 1-line block ×3, first 2 shown]
	buffer_store_dword v4, off, s[0:3], s32 offset:200 ; 4-byte Folded Spill
	buffer_store_dword v5, off, s[0:3], s32 offset:204 ; 4-byte Folded Spill
	;; [unrolled: 1-line block ×4, first 2 shown]
	v_cmpx_ne_u32_e32 0x7f, v4
	s_cbranch_execz .LBB241_737
; %bb.734:                              ;   in Loop: Header=BB241_16 Depth=1
	v_and_b32_e32 v76, 7, v3
	v_lshrrev_b32_e32 v3, 3, v4
	s_mov_b32 s26, exec_lo
	v_cmpx_gt_u32_e32 8, v4
; %bb.735:                              ;   in Loop: Header=BB241_16 Depth=1
	v_ffbh_u32_e32 v3, v76
	v_min_u32_e32 v3, 32, v3
	v_subrev_nc_u32_e32 v4, 28, v3
	v_sub_nc_u32_e32 v3, 29, v3
	v_lshlrev_b64 v[4:5], v4, v[76:77]
	v_and_b32_e32 v76, 7, v4
; %bb.736:                              ;   in Loop: Header=BB241_16 Depth=1
	s_or_b32 exec_lo, exec_lo, s26
	v_lshlrev_b32_e32 v4, 16, v2
	v_lshlrev_b32_e32 v5, 20, v76
	v_lshl_add_u32 v3, v3, 23, 0x3c000000
	v_and_b32_e32 v4, 0x80000000, v4
	v_or3_b32 v4, v5, v4, v3
	v_mov_b32_e32 v3, v77
	buffer_store_dword v3, off, s[0:3], s32 offset:948 ; 4-byte Folded Spill
	buffer_store_dword v4, off, s[0:3], s32 offset:952 ; 4-byte Folded Spill
.LBB241_737:                            ;   in Loop: Header=BB241_16 Depth=1
	s_or_b32 exec_lo, exec_lo, s25
.LBB241_738:                            ;   in Loop: Header=BB241_16 Depth=1
	s_or_b32 exec_lo, exec_lo, s24
.LBB241_739:                            ;   in Loop: Header=BB241_16 Depth=1
	s_or_b32 exec_lo, exec_lo, s23
	v_mov_b32_e32 v4, 0
	v_mov_b32_e32 v5, 0
	;; [unrolled: 1-line block ×3, first 2 shown]
	s_mov_b32 s23, exec_lo
	buffer_store_dword v4, off, s[0:3], s32 offset:956 ; 4-byte Folded Spill
	buffer_store_dword v5, off, s[0:3], s32 offset:960 ; 4-byte Folded Spill
	v_mov_b32_e32 v4, 0
	v_and_b32_sdwa v3, v2, v3 dst_sel:DWORD dst_unused:UNUSED_PAD src0_sel:WORD_1 src1_sel:DWORD
	v_mov_b32_e32 v5, 0
	buffer_store_dword v4, off, s[0:3], s32 offset:964 ; 4-byte Folded Spill
	buffer_store_dword v5, off, s[0:3], s32 offset:968 ; 4-byte Folded Spill
	v_cmpx_ne_u16_e32 0, v3
	s_cbranch_execz .LBB241_747
; %bb.740:                              ;   in Loop: Header=BB241_16 Depth=1
	v_cmp_ne_u16_e64 s5, 0x80, v3
	v_bfrev_b32_e32 v3, 1
	v_mov_b32_e32 v4, 0
	buffer_store_dword v3, off, s[0:3], s32 offset:964 ; 4-byte Folded Spill
	buffer_store_dword v4, off, s[0:3], s32 offset:968 ; 4-byte Folded Spill
	s_and_saveexec_b32 s24, s5
	s_cbranch_execz .LBB241_746
; %bb.741:                              ;   in Loop: Header=BB241_16 Depth=1
	v_mov_b32_e32 v5, 0x7f800001
	v_bfe_u32 v4, v2, 16, 7
	v_mov_b32_e32 v6, 0
	s_mov_b32 s25, exec_lo
	buffer_store_dword v5, off, s[0:3], s32 offset:964 ; 4-byte Folded Spill
	buffer_store_dword v6, off, s[0:3], s32 offset:968 ; 4-byte Folded Spill
	v_cmpx_ne_u32_e32 0x7f, v4
	s_cbranch_execz .LBB241_745
; %bb.742:                              ;   in Loop: Header=BB241_16 Depth=1
	v_mov_b32_e32 v3, 7
	s_mov_b32 s26, exec_lo
	v_and_b32_sdwa v76, v2, v3 dst_sel:DWORD dst_unused:UNUSED_PAD src0_sel:WORD_1 src1_sel:DWORD
	v_lshrrev_b32_e32 v3, 3, v4
	v_cmpx_gt_u32_e32 8, v4
; %bb.743:                              ;   in Loop: Header=BB241_16 Depth=1
	v_ffbh_u32_e32 v3, v76
	v_min_u32_e32 v3, 32, v3
	v_subrev_nc_u32_e32 v4, 28, v3
	v_sub_nc_u32_e32 v3, 29, v3
	v_lshlrev_b64 v[4:5], v4, v[76:77]
	v_and_b32_e32 v76, 7, v4
; %bb.744:                              ;   in Loop: Header=BB241_16 Depth=1
	s_or_b32 exec_lo, exec_lo, s26
	v_mov_b32_e32 v4, 24
	v_lshlrev_b32_e32 v5, 20, v76
	v_lshl_add_u32 v3, v3, 23, 0x3c000000
	v_lshlrev_b32_sdwa v4, v4, v2 dst_sel:DWORD dst_unused:UNUSED_PAD src0_sel:DWORD src1_sel:WORD_1
	v_and_b32_e32 v4, 0x80000000, v4
	v_or3_b32 v76, v5, v4, v3
	buffer_store_dword v76, off, s[0:3], s32 offset:964 ; 4-byte Folded Spill
	buffer_store_dword v77, off, s[0:3], s32 offset:968 ; 4-byte Folded Spill
.LBB241_745:                            ;   in Loop: Header=BB241_16 Depth=1
	s_or_b32 exec_lo, exec_lo, s25
.LBB241_746:                            ;   in Loop: Header=BB241_16 Depth=1
	s_or_b32 exec_lo, exec_lo, s24
.LBB241_747:                            ;   in Loop: Header=BB241_16 Depth=1
	s_or_b32 exec_lo, exec_lo, s23
	s_mov_b32 s23, exec_lo
	v_cmpx_lt_u32_e32 0xffffff, v2
	s_cbranch_execz .LBB241_755
; %bb.748:                              ;   in Loop: Header=BB241_16 Depth=1
	v_mov_b32_e32 v3, 0x80
	v_mov_b32_e32 v70, v77
	buffer_store_dword v70, off, s[0:3], s32 offset:956 ; 4-byte Folded Spill
	buffer_store_dword v71, off, s[0:3], s32 offset:960 ; 4-byte Folded Spill
	v_cmp_ne_u32_sdwa s5, v2, v3 src0_sel:BYTE_3 src1_sel:DWORD
	s_and_saveexec_b32 s24, s5
	s_cbranch_execz .LBB241_754
; %bb.749:                              ;   in Loop: Header=BB241_16 Depth=1
	s_clause 0x1
	buffer_load_dword v5, off, s[0:3], s32 offset:200
	buffer_load_dword v6, off, s[0:3], s32 offset:204
	v_bfe_u32 v4, v2, 24, 7
	s_waitcnt vmcnt(1)
	v_mov_b32_e32 v5, v77
	s_mov_b32 s25, exec_lo
	s_waitcnt vmcnt(0)
	v_mov_b32_e32 v3, v6
	buffer_store_dword v2, off, s[0:3], s32 offset:200 ; 4-byte Folded Spill
	buffer_store_dword v3, off, s[0:3], s32 offset:204 ; 4-byte Folded Spill
	buffer_store_dword v5, off, s[0:3], s32 offset:956 ; 4-byte Folded Spill
	buffer_store_dword v6, off, s[0:3], s32 offset:960 ; 4-byte Folded Spill
	v_cmpx_ne_u32_e32 0x7f, v4
	s_cbranch_execz .LBB241_753
; %bb.750:                              ;   in Loop: Header=BB241_16 Depth=1
	v_mov_b32_e32 v3, 7
	s_mov_b32 s26, exec_lo
	v_and_b32_sdwa v76, v2, v3 dst_sel:DWORD dst_unused:UNUSED_PAD src0_sel:BYTE_3 src1_sel:DWORD
	v_lshrrev_b32_e32 v3, 3, v4
	v_cmpx_gt_u32_e32 8, v4
; %bb.751:                              ;   in Loop: Header=BB241_16 Depth=1
	v_ffbh_u32_e32 v3, v76
	v_min_u32_e32 v3, 32, v3
	v_subrev_nc_u32_e32 v4, 28, v3
	v_sub_nc_u32_e32 v3, 29, v3
	v_lshlrev_b64 v[4:5], v4, v[76:77]
	v_and_b32_e32 v76, 7, v4
; %bb.752:                              ;   in Loop: Header=BB241_16 Depth=1
	s_or_b32 exec_lo, exec_lo, s26
	v_mov_b32_e32 v4, 24
	v_lshl_add_u32 v3, v3, 23, 0x3c000000
	v_lshlrev_b32_sdwa v2, v4, v2 dst_sel:DWORD dst_unused:UNUSED_PAD src0_sel:DWORD src1_sel:BYTE_3
	v_lshlrev_b32_e32 v4, 20, v76
	v_and_b32_e32 v2, 0x80000000, v2
	v_or3_b32 v3, v4, v2, v3
	v_mov_b32_e32 v2, v77
	buffer_store_dword v2, off, s[0:3], s32 offset:956 ; 4-byte Folded Spill
	buffer_store_dword v3, off, s[0:3], s32 offset:960 ; 4-byte Folded Spill
.LBB241_753:                            ;   in Loop: Header=BB241_16 Depth=1
	s_or_b32 exec_lo, exec_lo, s25
.LBB241_754:                            ;   in Loop: Header=BB241_16 Depth=1
	s_or_b32 exec_lo, exec_lo, s24
.LBB241_755:                            ;   in Loop: Header=BB241_16 Depth=1
	s_or_b32 exec_lo, exec_lo, s23
	flat_load_dword v2, v[0:1] offset:524
	v_mov_b32_e32 v3, 0
	v_mov_b32_e32 v4, 0
	buffer_store_dword v3, off, s[0:3], s32 offset:980 ; 4-byte Folded Spill
	buffer_store_dword v4, off, s[0:3], s32 offset:984 ; 4-byte Folded Spill
	v_mov_b32_e32 v3, 0
	v_mov_b32_e32 v4, 0
	buffer_store_dword v3, off, s[0:3], s32 offset:1004 ; 4-byte Folded Spill
	buffer_store_dword v4, off, s[0:3], s32 offset:1008 ; 4-byte Folded Spill
	s_waitcnt vmcnt(0) lgkmcnt(0)
	v_cmp_ne_u16_sdwa s5, v2, v77 src0_sel:BYTE_0 src1_sel:DWORD
	s_and_saveexec_b32 s23, s5
	s_cbranch_execz .LBB241_763
; %bb.756:                              ;   in Loop: Header=BB241_16 Depth=1
	v_bfrev_b32_e32 v3, 1
	v_mov_b32_e32 v4, 0
	buffer_store_dword v3, off, s[0:3], s32 offset:1004 ; 4-byte Folded Spill
	buffer_store_dword v4, off, s[0:3], s32 offset:1008 ; 4-byte Folded Spill
	v_mov_b32_e32 v3, 0x80
	v_cmp_ne_u16_sdwa s5, v2, v3 src0_sel:BYTE_0 src1_sel:DWORD
	s_and_saveexec_b32 s24, s5
	s_cbranch_execz .LBB241_762
; %bb.757:                              ;   in Loop: Header=BB241_16 Depth=1
	v_mov_b32_e32 v5, 0x7f800001
	v_and_b32_e32 v4, 0x7f, v2
	v_mov_b32_e32 v6, 0
	s_mov_b32 s25, exec_lo
	buffer_store_dword v5, off, s[0:3], s32 offset:1004 ; 4-byte Folded Spill
	buffer_store_dword v6, off, s[0:3], s32 offset:1008 ; 4-byte Folded Spill
	v_cmpx_ne_u32_e32 0x7f, v4
	s_cbranch_execz .LBB241_761
; %bb.758:                              ;   in Loop: Header=BB241_16 Depth=1
	v_and_b32_e32 v76, 7, v2
	v_lshrrev_b32_e32 v3, 3, v4
	s_mov_b32 s26, exec_lo
	v_cmpx_gt_u32_e32 8, v4
; %bb.759:                              ;   in Loop: Header=BB241_16 Depth=1
	v_ffbh_u32_e32 v3, v76
	v_min_u32_e32 v3, 32, v3
	v_subrev_nc_u32_e32 v4, 28, v3
	v_sub_nc_u32_e32 v3, 29, v3
	v_lshlrev_b64 v[4:5], v4, v[76:77]
	v_and_b32_e32 v76, 7, v4
; %bb.760:                              ;   in Loop: Header=BB241_16 Depth=1
	s_or_b32 exec_lo, exec_lo, s26
	v_lshlrev_b32_e32 v4, 24, v2
	v_lshlrev_b32_e32 v5, 20, v76
	v_lshl_add_u32 v3, v3, 23, 0x3c000000
	v_and_b32_e32 v4, 0x80000000, v4
	v_or3_b32 v76, v5, v4, v3
	buffer_store_dword v76, off, s[0:3], s32 offset:1004 ; 4-byte Folded Spill
	buffer_store_dword v77, off, s[0:3], s32 offset:1008 ; 4-byte Folded Spill
.LBB241_761:                            ;   in Loop: Header=BB241_16 Depth=1
	s_or_b32 exec_lo, exec_lo, s25
.LBB241_762:                            ;   in Loop: Header=BB241_16 Depth=1
	s_or_b32 exec_lo, exec_lo, s24
.LBB241_763:                            ;   in Loop: Header=BB241_16 Depth=1
	s_or_b32 exec_lo, exec_lo, s23
	v_cmp_ne_u16_sdwa s5, v2, v77 src0_sel:BYTE_1 src1_sel:DWORD
	s_and_saveexec_b32 s23, s5
	s_cbranch_execz .LBB241_771
; %bb.764:                              ;   in Loop: Header=BB241_16 Depth=1
	v_mov_b32_e32 v3, 0x80
	v_mov_b32_e32 v70, v77
	buffer_store_dword v70, off, s[0:3], s32 offset:980 ; 4-byte Folded Spill
	buffer_store_dword v71, off, s[0:3], s32 offset:984 ; 4-byte Folded Spill
	v_cmp_ne_u16_sdwa s5, v2, v3 src0_sel:BYTE_1 src1_sel:DWORD
	s_and_saveexec_b32 s24, s5
	s_cbranch_execz .LBB241_770
; %bb.765:                              ;   in Loop: Header=BB241_16 Depth=1
	s_clause 0x1
	buffer_load_dword v5, off, s[0:3], s32 offset:200
	buffer_load_dword v6, off, s[0:3], s32 offset:204
	v_mov_b32_e32 v3, 0xffff
	s_mov_b32 s25, exec_lo
	v_and_b32_sdwa v3, v3, v2 dst_sel:DWORD dst_unused:UNUSED_PAD src0_sel:DWORD src1_sel:BYTE_1
	v_and_b32_e32 v4, 0x7f, v3
	s_waitcnt vmcnt(0)
	v_mov_b32_e32 v7, v6
	v_mov_b32_e32 v6, v77
	;; [unrolled: 1-line block ×3, first 2 shown]
	buffer_store_dword v4, off, s[0:3], s32 offset:200 ; 4-byte Folded Spill
	buffer_store_dword v5, off, s[0:3], s32 offset:204 ; 4-byte Folded Spill
	;; [unrolled: 1-line block ×4, first 2 shown]
	v_cmpx_ne_u32_e32 0x7f, v4
	s_cbranch_execz .LBB241_769
; %bb.766:                              ;   in Loop: Header=BB241_16 Depth=1
	v_and_b32_e32 v76, 7, v3
	v_lshrrev_b32_e32 v3, 3, v4
	s_mov_b32 s26, exec_lo
	v_cmpx_gt_u32_e32 8, v4
; %bb.767:                              ;   in Loop: Header=BB241_16 Depth=1
	v_ffbh_u32_e32 v3, v76
	v_min_u32_e32 v3, 32, v3
	v_subrev_nc_u32_e32 v4, 28, v3
	v_sub_nc_u32_e32 v3, 29, v3
	v_lshlrev_b64 v[4:5], v4, v[76:77]
	v_and_b32_e32 v76, 7, v4
; %bb.768:                              ;   in Loop: Header=BB241_16 Depth=1
	s_or_b32 exec_lo, exec_lo, s26
	v_lshlrev_b32_e32 v4, 16, v2
	v_lshlrev_b32_e32 v5, 20, v76
	v_lshl_add_u32 v3, v3, 23, 0x3c000000
	v_and_b32_e32 v4, 0x80000000, v4
	v_or3_b32 v4, v5, v4, v3
	v_mov_b32_e32 v3, v77
	buffer_store_dword v3, off, s[0:3], s32 offset:980 ; 4-byte Folded Spill
	buffer_store_dword v4, off, s[0:3], s32 offset:984 ; 4-byte Folded Spill
.LBB241_769:                            ;   in Loop: Header=BB241_16 Depth=1
	s_or_b32 exec_lo, exec_lo, s25
.LBB241_770:                            ;   in Loop: Header=BB241_16 Depth=1
	s_or_b32 exec_lo, exec_lo, s24
.LBB241_771:                            ;   in Loop: Header=BB241_16 Depth=1
	s_or_b32 exec_lo, exec_lo, s23
	v_mov_b32_e32 v4, 0
	v_mov_b32_e32 v5, 0
	;; [unrolled: 1-line block ×3, first 2 shown]
	s_mov_b32 s23, exec_lo
	buffer_store_dword v4, off, s[0:3], s32 offset:988 ; 4-byte Folded Spill
	buffer_store_dword v5, off, s[0:3], s32 offset:992 ; 4-byte Folded Spill
	v_mov_b32_e32 v4, 0
	v_and_b32_sdwa v3, v2, v3 dst_sel:DWORD dst_unused:UNUSED_PAD src0_sel:WORD_1 src1_sel:DWORD
	v_mov_b32_e32 v5, 0
	buffer_store_dword v4, off, s[0:3], s32 offset:996 ; 4-byte Folded Spill
	buffer_store_dword v5, off, s[0:3], s32 offset:1000 ; 4-byte Folded Spill
	v_cmpx_ne_u16_e32 0, v3
	s_cbranch_execz .LBB241_779
; %bb.772:                              ;   in Loop: Header=BB241_16 Depth=1
	v_cmp_ne_u16_e64 s5, 0x80, v3
	v_bfrev_b32_e32 v3, 1
	v_mov_b32_e32 v4, 0
	buffer_store_dword v3, off, s[0:3], s32 offset:996 ; 4-byte Folded Spill
	buffer_store_dword v4, off, s[0:3], s32 offset:1000 ; 4-byte Folded Spill
	s_and_saveexec_b32 s24, s5
	s_cbranch_execz .LBB241_778
; %bb.773:                              ;   in Loop: Header=BB241_16 Depth=1
	v_mov_b32_e32 v5, 0x7f800001
	v_bfe_u32 v4, v2, 16, 7
	v_mov_b32_e32 v6, 0
	s_mov_b32 s25, exec_lo
	buffer_store_dword v5, off, s[0:3], s32 offset:996 ; 4-byte Folded Spill
	buffer_store_dword v6, off, s[0:3], s32 offset:1000 ; 4-byte Folded Spill
	v_cmpx_ne_u32_e32 0x7f, v4
	s_cbranch_execz .LBB241_777
; %bb.774:                              ;   in Loop: Header=BB241_16 Depth=1
	v_mov_b32_e32 v3, 7
	s_mov_b32 s26, exec_lo
	v_and_b32_sdwa v76, v2, v3 dst_sel:DWORD dst_unused:UNUSED_PAD src0_sel:WORD_1 src1_sel:DWORD
	v_lshrrev_b32_e32 v3, 3, v4
	v_cmpx_gt_u32_e32 8, v4
; %bb.775:                              ;   in Loop: Header=BB241_16 Depth=1
	v_ffbh_u32_e32 v3, v76
	v_min_u32_e32 v3, 32, v3
	v_subrev_nc_u32_e32 v4, 28, v3
	v_sub_nc_u32_e32 v3, 29, v3
	v_lshlrev_b64 v[4:5], v4, v[76:77]
	v_and_b32_e32 v76, 7, v4
; %bb.776:                              ;   in Loop: Header=BB241_16 Depth=1
	s_or_b32 exec_lo, exec_lo, s26
	v_mov_b32_e32 v4, 24
	v_lshlrev_b32_e32 v5, 20, v76
	v_lshl_add_u32 v3, v3, 23, 0x3c000000
	v_lshlrev_b32_sdwa v4, v4, v2 dst_sel:DWORD dst_unused:UNUSED_PAD src0_sel:DWORD src1_sel:WORD_1
	v_and_b32_e32 v4, 0x80000000, v4
	v_or3_b32 v76, v5, v4, v3
	buffer_store_dword v76, off, s[0:3], s32 offset:996 ; 4-byte Folded Spill
	buffer_store_dword v77, off, s[0:3], s32 offset:1000 ; 4-byte Folded Spill
.LBB241_777:                            ;   in Loop: Header=BB241_16 Depth=1
	s_or_b32 exec_lo, exec_lo, s25
.LBB241_778:                            ;   in Loop: Header=BB241_16 Depth=1
	s_or_b32 exec_lo, exec_lo, s24
.LBB241_779:                            ;   in Loop: Header=BB241_16 Depth=1
	s_or_b32 exec_lo, exec_lo, s23
	s_mov_b32 s23, exec_lo
	v_cmpx_lt_u32_e32 0xffffff, v2
	s_cbranch_execz .LBB241_787
; %bb.780:                              ;   in Loop: Header=BB241_16 Depth=1
	v_mov_b32_e32 v3, 0x80
	v_mov_b32_e32 v70, v77
	buffer_store_dword v70, off, s[0:3], s32 offset:988 ; 4-byte Folded Spill
	buffer_store_dword v71, off, s[0:3], s32 offset:992 ; 4-byte Folded Spill
	v_cmp_ne_u32_sdwa s5, v2, v3 src0_sel:BYTE_3 src1_sel:DWORD
	s_and_saveexec_b32 s24, s5
	s_cbranch_execz .LBB241_786
; %bb.781:                              ;   in Loop: Header=BB241_16 Depth=1
	s_clause 0x1
	buffer_load_dword v5, off, s[0:3], s32 offset:200
	buffer_load_dword v6, off, s[0:3], s32 offset:204
	v_bfe_u32 v4, v2, 24, 7
	s_waitcnt vmcnt(1)
	v_mov_b32_e32 v5, v77
	s_mov_b32 s25, exec_lo
	s_waitcnt vmcnt(0)
	v_mov_b32_e32 v3, v6
	buffer_store_dword v2, off, s[0:3], s32 offset:200 ; 4-byte Folded Spill
	buffer_store_dword v3, off, s[0:3], s32 offset:204 ; 4-byte Folded Spill
	buffer_store_dword v5, off, s[0:3], s32 offset:988 ; 4-byte Folded Spill
	buffer_store_dword v6, off, s[0:3], s32 offset:992 ; 4-byte Folded Spill
	v_cmpx_ne_u32_e32 0x7f, v4
	s_cbranch_execz .LBB241_785
; %bb.782:                              ;   in Loop: Header=BB241_16 Depth=1
	v_mov_b32_e32 v3, 7
	s_mov_b32 s26, exec_lo
	v_and_b32_sdwa v76, v2, v3 dst_sel:DWORD dst_unused:UNUSED_PAD src0_sel:BYTE_3 src1_sel:DWORD
	v_lshrrev_b32_e32 v3, 3, v4
	v_cmpx_gt_u32_e32 8, v4
; %bb.783:                              ;   in Loop: Header=BB241_16 Depth=1
	v_ffbh_u32_e32 v3, v76
	v_min_u32_e32 v3, 32, v3
	v_subrev_nc_u32_e32 v4, 28, v3
	v_sub_nc_u32_e32 v3, 29, v3
	v_lshlrev_b64 v[4:5], v4, v[76:77]
	v_and_b32_e32 v76, 7, v4
; %bb.784:                              ;   in Loop: Header=BB241_16 Depth=1
	s_or_b32 exec_lo, exec_lo, s26
	v_mov_b32_e32 v4, 24
	v_lshl_add_u32 v3, v3, 23, 0x3c000000
	v_lshlrev_b32_sdwa v2, v4, v2 dst_sel:DWORD dst_unused:UNUSED_PAD src0_sel:DWORD src1_sel:BYTE_3
	v_lshlrev_b32_e32 v4, 20, v76
	v_and_b32_e32 v2, 0x80000000, v2
	v_or3_b32 v3, v4, v2, v3
	v_mov_b32_e32 v2, v77
	buffer_store_dword v2, off, s[0:3], s32 offset:988 ; 4-byte Folded Spill
	buffer_store_dword v3, off, s[0:3], s32 offset:992 ; 4-byte Folded Spill
.LBB241_785:                            ;   in Loop: Header=BB241_16 Depth=1
	s_or_b32 exec_lo, exec_lo, s25
.LBB241_786:                            ;   in Loop: Header=BB241_16 Depth=1
	s_or_b32 exec_lo, exec_lo, s24
.LBB241_787:                            ;   in Loop: Header=BB241_16 Depth=1
	s_or_b32 exec_lo, exec_lo, s23
	flat_load_dword v2, v[0:1] offset:1024
	v_mov_b32_e32 v3, 0
	v_mov_b32_e32 v4, 0
	buffer_store_dword v3, off, s[0:3], s32 offset:1012 ; 4-byte Folded Spill
	buffer_store_dword v4, off, s[0:3], s32 offset:1016 ; 4-byte Folded Spill
	v_mov_b32_e32 v3, 0
	v_mov_b32_e32 v4, 0
	buffer_store_dword v3, off, s[0:3], s32 offset:1036 ; 4-byte Folded Spill
	buffer_store_dword v4, off, s[0:3], s32 offset:1040 ; 4-byte Folded Spill
	s_waitcnt vmcnt(0) lgkmcnt(0)
	v_cmp_ne_u16_sdwa s5, v2, v77 src0_sel:BYTE_0 src1_sel:DWORD
	s_and_saveexec_b32 s23, s5
	s_cbranch_execz .LBB241_795
; %bb.788:                              ;   in Loop: Header=BB241_16 Depth=1
	v_bfrev_b32_e32 v3, 1
	v_mov_b32_e32 v4, 0
	buffer_store_dword v3, off, s[0:3], s32 offset:1036 ; 4-byte Folded Spill
	buffer_store_dword v4, off, s[0:3], s32 offset:1040 ; 4-byte Folded Spill
	v_mov_b32_e32 v3, 0x80
	v_cmp_ne_u16_sdwa s5, v2, v3 src0_sel:BYTE_0 src1_sel:DWORD
	s_and_saveexec_b32 s24, s5
	s_cbranch_execz .LBB241_794
; %bb.789:                              ;   in Loop: Header=BB241_16 Depth=1
	v_mov_b32_e32 v5, 0x7f800001
	v_and_b32_e32 v4, 0x7f, v2
	v_mov_b32_e32 v6, 0
	s_mov_b32 s25, exec_lo
	buffer_store_dword v5, off, s[0:3], s32 offset:1036 ; 4-byte Folded Spill
	buffer_store_dword v6, off, s[0:3], s32 offset:1040 ; 4-byte Folded Spill
	v_cmpx_ne_u32_e32 0x7f, v4
	s_cbranch_execz .LBB241_793
; %bb.790:                              ;   in Loop: Header=BB241_16 Depth=1
	v_and_b32_e32 v76, 7, v2
	v_lshrrev_b32_e32 v3, 3, v4
	s_mov_b32 s26, exec_lo
	v_cmpx_gt_u32_e32 8, v4
; %bb.791:                              ;   in Loop: Header=BB241_16 Depth=1
	v_ffbh_u32_e32 v3, v76
	v_min_u32_e32 v3, 32, v3
	v_subrev_nc_u32_e32 v4, 28, v3
	v_sub_nc_u32_e32 v3, 29, v3
	v_lshlrev_b64 v[4:5], v4, v[76:77]
	v_and_b32_e32 v76, 7, v4
; %bb.792:                              ;   in Loop: Header=BB241_16 Depth=1
	s_or_b32 exec_lo, exec_lo, s26
	v_lshlrev_b32_e32 v4, 24, v2
	v_lshlrev_b32_e32 v5, 20, v76
	v_lshl_add_u32 v3, v3, 23, 0x3c000000
	v_and_b32_e32 v4, 0x80000000, v4
	v_or3_b32 v76, v5, v4, v3
	buffer_store_dword v76, off, s[0:3], s32 offset:1036 ; 4-byte Folded Spill
	buffer_store_dword v77, off, s[0:3], s32 offset:1040 ; 4-byte Folded Spill
.LBB241_793:                            ;   in Loop: Header=BB241_16 Depth=1
	s_or_b32 exec_lo, exec_lo, s25
.LBB241_794:                            ;   in Loop: Header=BB241_16 Depth=1
	s_or_b32 exec_lo, exec_lo, s24
.LBB241_795:                            ;   in Loop: Header=BB241_16 Depth=1
	s_or_b32 exec_lo, exec_lo, s23
	v_cmp_ne_u16_sdwa s5, v2, v77 src0_sel:BYTE_1 src1_sel:DWORD
	s_and_saveexec_b32 s23, s5
	s_cbranch_execz .LBB241_803
; %bb.796:                              ;   in Loop: Header=BB241_16 Depth=1
	v_mov_b32_e32 v3, 0x80
	v_mov_b32_e32 v70, v77
	buffer_store_dword v70, off, s[0:3], s32 offset:1012 ; 4-byte Folded Spill
	buffer_store_dword v71, off, s[0:3], s32 offset:1016 ; 4-byte Folded Spill
	v_cmp_ne_u16_sdwa s5, v2, v3 src0_sel:BYTE_1 src1_sel:DWORD
	s_and_saveexec_b32 s24, s5
	s_cbranch_execz .LBB241_802
; %bb.797:                              ;   in Loop: Header=BB241_16 Depth=1
	s_clause 0x1
	buffer_load_dword v5, off, s[0:3], s32 offset:200
	buffer_load_dword v6, off, s[0:3], s32 offset:204
	v_mov_b32_e32 v3, 0xffff
	s_mov_b32 s25, exec_lo
	v_and_b32_sdwa v3, v3, v2 dst_sel:DWORD dst_unused:UNUSED_PAD src0_sel:DWORD src1_sel:BYTE_1
	v_and_b32_e32 v4, 0x7f, v3
	s_waitcnt vmcnt(0)
	v_mov_b32_e32 v7, v6
	v_mov_b32_e32 v6, v77
	v_mov_b32_e32 v5, v7
	buffer_store_dword v4, off, s[0:3], s32 offset:200 ; 4-byte Folded Spill
	buffer_store_dword v5, off, s[0:3], s32 offset:204 ; 4-byte Folded Spill
	;; [unrolled: 1-line block ×4, first 2 shown]
	v_cmpx_ne_u32_e32 0x7f, v4
	s_cbranch_execz .LBB241_801
; %bb.798:                              ;   in Loop: Header=BB241_16 Depth=1
	v_and_b32_e32 v76, 7, v3
	v_lshrrev_b32_e32 v3, 3, v4
	s_mov_b32 s26, exec_lo
	v_cmpx_gt_u32_e32 8, v4
; %bb.799:                              ;   in Loop: Header=BB241_16 Depth=1
	v_ffbh_u32_e32 v3, v76
	v_min_u32_e32 v3, 32, v3
	v_subrev_nc_u32_e32 v4, 28, v3
	v_sub_nc_u32_e32 v3, 29, v3
	v_lshlrev_b64 v[4:5], v4, v[76:77]
	v_and_b32_e32 v76, 7, v4
; %bb.800:                              ;   in Loop: Header=BB241_16 Depth=1
	s_or_b32 exec_lo, exec_lo, s26
	v_lshlrev_b32_e32 v4, 16, v2
	v_lshlrev_b32_e32 v5, 20, v76
	v_lshl_add_u32 v3, v3, 23, 0x3c000000
	v_and_b32_e32 v4, 0x80000000, v4
	v_or3_b32 v4, v5, v4, v3
	v_mov_b32_e32 v3, v77
	buffer_store_dword v3, off, s[0:3], s32 offset:1012 ; 4-byte Folded Spill
	buffer_store_dword v4, off, s[0:3], s32 offset:1016 ; 4-byte Folded Spill
.LBB241_801:                            ;   in Loop: Header=BB241_16 Depth=1
	s_or_b32 exec_lo, exec_lo, s25
.LBB241_802:                            ;   in Loop: Header=BB241_16 Depth=1
	s_or_b32 exec_lo, exec_lo, s24
.LBB241_803:                            ;   in Loop: Header=BB241_16 Depth=1
	s_or_b32 exec_lo, exec_lo, s23
	v_mov_b32_e32 v4, 0
	v_mov_b32_e32 v5, 0
	;; [unrolled: 1-line block ×3, first 2 shown]
	s_mov_b32 s23, exec_lo
	buffer_store_dword v4, off, s[0:3], s32 offset:1020 ; 4-byte Folded Spill
	buffer_store_dword v5, off, s[0:3], s32 offset:1024 ; 4-byte Folded Spill
	v_mov_b32_e32 v4, 0
	v_and_b32_sdwa v3, v2, v3 dst_sel:DWORD dst_unused:UNUSED_PAD src0_sel:WORD_1 src1_sel:DWORD
	v_mov_b32_e32 v5, 0
	buffer_store_dword v4, off, s[0:3], s32 offset:1028 ; 4-byte Folded Spill
	buffer_store_dword v5, off, s[0:3], s32 offset:1032 ; 4-byte Folded Spill
	v_cmpx_ne_u16_e32 0, v3
	s_cbranch_execz .LBB241_811
; %bb.804:                              ;   in Loop: Header=BB241_16 Depth=1
	v_cmp_ne_u16_e64 s5, 0x80, v3
	v_bfrev_b32_e32 v3, 1
	v_mov_b32_e32 v4, 0
	buffer_store_dword v3, off, s[0:3], s32 offset:1028 ; 4-byte Folded Spill
	buffer_store_dword v4, off, s[0:3], s32 offset:1032 ; 4-byte Folded Spill
	s_and_saveexec_b32 s24, s5
	s_cbranch_execz .LBB241_810
; %bb.805:                              ;   in Loop: Header=BB241_16 Depth=1
	v_mov_b32_e32 v5, 0x7f800001
	v_bfe_u32 v4, v2, 16, 7
	v_mov_b32_e32 v6, 0
	s_mov_b32 s25, exec_lo
	buffer_store_dword v5, off, s[0:3], s32 offset:1028 ; 4-byte Folded Spill
	buffer_store_dword v6, off, s[0:3], s32 offset:1032 ; 4-byte Folded Spill
	v_cmpx_ne_u32_e32 0x7f, v4
	s_cbranch_execz .LBB241_809
; %bb.806:                              ;   in Loop: Header=BB241_16 Depth=1
	v_mov_b32_e32 v3, 7
	s_mov_b32 s26, exec_lo
	v_and_b32_sdwa v76, v2, v3 dst_sel:DWORD dst_unused:UNUSED_PAD src0_sel:WORD_1 src1_sel:DWORD
	v_lshrrev_b32_e32 v3, 3, v4
	v_cmpx_gt_u32_e32 8, v4
; %bb.807:                              ;   in Loop: Header=BB241_16 Depth=1
	v_ffbh_u32_e32 v3, v76
	v_min_u32_e32 v3, 32, v3
	v_subrev_nc_u32_e32 v4, 28, v3
	v_sub_nc_u32_e32 v3, 29, v3
	v_lshlrev_b64 v[4:5], v4, v[76:77]
	v_and_b32_e32 v76, 7, v4
; %bb.808:                              ;   in Loop: Header=BB241_16 Depth=1
	s_or_b32 exec_lo, exec_lo, s26
	v_mov_b32_e32 v4, 24
	v_lshlrev_b32_e32 v5, 20, v76
	v_lshl_add_u32 v3, v3, 23, 0x3c000000
	v_lshlrev_b32_sdwa v4, v4, v2 dst_sel:DWORD dst_unused:UNUSED_PAD src0_sel:DWORD src1_sel:WORD_1
	v_and_b32_e32 v4, 0x80000000, v4
	v_or3_b32 v76, v5, v4, v3
	buffer_store_dword v76, off, s[0:3], s32 offset:1028 ; 4-byte Folded Spill
	buffer_store_dword v77, off, s[0:3], s32 offset:1032 ; 4-byte Folded Spill
.LBB241_809:                            ;   in Loop: Header=BB241_16 Depth=1
	s_or_b32 exec_lo, exec_lo, s25
.LBB241_810:                            ;   in Loop: Header=BB241_16 Depth=1
	s_or_b32 exec_lo, exec_lo, s24
.LBB241_811:                            ;   in Loop: Header=BB241_16 Depth=1
	s_or_b32 exec_lo, exec_lo, s23
	s_mov_b32 s23, exec_lo
	v_cmpx_lt_u32_e32 0xffffff, v2
	s_cbranch_execz .LBB241_819
; %bb.812:                              ;   in Loop: Header=BB241_16 Depth=1
	v_mov_b32_e32 v3, 0x80
	v_mov_b32_e32 v70, v77
	buffer_store_dword v70, off, s[0:3], s32 offset:1020 ; 4-byte Folded Spill
	buffer_store_dword v71, off, s[0:3], s32 offset:1024 ; 4-byte Folded Spill
	v_cmp_ne_u32_sdwa s5, v2, v3 src0_sel:BYTE_3 src1_sel:DWORD
	s_and_saveexec_b32 s24, s5
	s_cbranch_execz .LBB241_818
; %bb.813:                              ;   in Loop: Header=BB241_16 Depth=1
	s_clause 0x1
	buffer_load_dword v5, off, s[0:3], s32 offset:200
	buffer_load_dword v6, off, s[0:3], s32 offset:204
	v_bfe_u32 v4, v2, 24, 7
	s_waitcnt vmcnt(1)
	v_mov_b32_e32 v5, v77
	s_mov_b32 s25, exec_lo
	s_waitcnt vmcnt(0)
	v_mov_b32_e32 v3, v6
	buffer_store_dword v2, off, s[0:3], s32 offset:200 ; 4-byte Folded Spill
	buffer_store_dword v3, off, s[0:3], s32 offset:204 ; 4-byte Folded Spill
	;; [unrolled: 1-line block ×4, first 2 shown]
	v_cmpx_ne_u32_e32 0x7f, v4
	s_cbranch_execz .LBB241_817
; %bb.814:                              ;   in Loop: Header=BB241_16 Depth=1
	v_mov_b32_e32 v3, 7
	s_mov_b32 s26, exec_lo
	v_and_b32_sdwa v76, v2, v3 dst_sel:DWORD dst_unused:UNUSED_PAD src0_sel:BYTE_3 src1_sel:DWORD
	v_lshrrev_b32_e32 v3, 3, v4
	v_cmpx_gt_u32_e32 8, v4
; %bb.815:                              ;   in Loop: Header=BB241_16 Depth=1
	v_ffbh_u32_e32 v3, v76
	v_min_u32_e32 v3, 32, v3
	v_subrev_nc_u32_e32 v4, 28, v3
	v_sub_nc_u32_e32 v3, 29, v3
	v_lshlrev_b64 v[4:5], v4, v[76:77]
	v_and_b32_e32 v76, 7, v4
; %bb.816:                              ;   in Loop: Header=BB241_16 Depth=1
	s_or_b32 exec_lo, exec_lo, s26
	v_mov_b32_e32 v4, 24
	v_lshl_add_u32 v3, v3, 23, 0x3c000000
	v_lshlrev_b32_sdwa v2, v4, v2 dst_sel:DWORD dst_unused:UNUSED_PAD src0_sel:DWORD src1_sel:BYTE_3
	v_lshlrev_b32_e32 v4, 20, v76
	v_and_b32_e32 v2, 0x80000000, v2
	v_or3_b32 v3, v4, v2, v3
	v_mov_b32_e32 v2, v77
	buffer_store_dword v2, off, s[0:3], s32 offset:1020 ; 4-byte Folded Spill
	buffer_store_dword v3, off, s[0:3], s32 offset:1024 ; 4-byte Folded Spill
.LBB241_817:                            ;   in Loop: Header=BB241_16 Depth=1
	s_or_b32 exec_lo, exec_lo, s25
.LBB241_818:                            ;   in Loop: Header=BB241_16 Depth=1
	s_or_b32 exec_lo, exec_lo, s24
.LBB241_819:                            ;   in Loop: Header=BB241_16 Depth=1
	s_or_b32 exec_lo, exec_lo, s23
	flat_load_dword v2, v[0:1] offset:1028
	v_mov_b32_e32 v3, 0
	v_mov_b32_e32 v4, 0
	buffer_store_dword v3, off, s[0:3], s32 offset:1044 ; 4-byte Folded Spill
	buffer_store_dword v4, off, s[0:3], s32 offset:1048 ; 4-byte Folded Spill
	v_mov_b32_e32 v3, 0
	v_mov_b32_e32 v4, 0
	buffer_store_dword v3, off, s[0:3], s32 offset:1068 ; 4-byte Folded Spill
	buffer_store_dword v4, off, s[0:3], s32 offset:1072 ; 4-byte Folded Spill
	s_waitcnt vmcnt(0) lgkmcnt(0)
	v_cmp_ne_u16_sdwa s5, v2, v77 src0_sel:BYTE_0 src1_sel:DWORD
	s_and_saveexec_b32 s23, s5
	s_cbranch_execz .LBB241_827
; %bb.820:                              ;   in Loop: Header=BB241_16 Depth=1
	v_bfrev_b32_e32 v3, 1
	v_mov_b32_e32 v4, 0
	buffer_store_dword v3, off, s[0:3], s32 offset:1068 ; 4-byte Folded Spill
	buffer_store_dword v4, off, s[0:3], s32 offset:1072 ; 4-byte Folded Spill
	v_mov_b32_e32 v3, 0x80
	v_cmp_ne_u16_sdwa s5, v2, v3 src0_sel:BYTE_0 src1_sel:DWORD
	s_and_saveexec_b32 s24, s5
	s_cbranch_execz .LBB241_826
; %bb.821:                              ;   in Loop: Header=BB241_16 Depth=1
	v_mov_b32_e32 v5, 0x7f800001
	v_and_b32_e32 v4, 0x7f, v2
	v_mov_b32_e32 v6, 0
	s_mov_b32 s25, exec_lo
	buffer_store_dword v5, off, s[0:3], s32 offset:1068 ; 4-byte Folded Spill
	buffer_store_dword v6, off, s[0:3], s32 offset:1072 ; 4-byte Folded Spill
	v_cmpx_ne_u32_e32 0x7f, v4
	s_cbranch_execz .LBB241_825
; %bb.822:                              ;   in Loop: Header=BB241_16 Depth=1
	v_and_b32_e32 v76, 7, v2
	v_lshrrev_b32_e32 v3, 3, v4
	s_mov_b32 s26, exec_lo
	v_cmpx_gt_u32_e32 8, v4
; %bb.823:                              ;   in Loop: Header=BB241_16 Depth=1
	v_ffbh_u32_e32 v3, v76
	v_min_u32_e32 v3, 32, v3
	v_subrev_nc_u32_e32 v4, 28, v3
	v_sub_nc_u32_e32 v3, 29, v3
	v_lshlrev_b64 v[4:5], v4, v[76:77]
	v_and_b32_e32 v76, 7, v4
; %bb.824:                              ;   in Loop: Header=BB241_16 Depth=1
	s_or_b32 exec_lo, exec_lo, s26
	v_lshlrev_b32_e32 v4, 24, v2
	v_lshlrev_b32_e32 v5, 20, v76
	v_lshl_add_u32 v3, v3, 23, 0x3c000000
	v_and_b32_e32 v4, 0x80000000, v4
	v_or3_b32 v76, v5, v4, v3
	buffer_store_dword v76, off, s[0:3], s32 offset:1068 ; 4-byte Folded Spill
	buffer_store_dword v77, off, s[0:3], s32 offset:1072 ; 4-byte Folded Spill
.LBB241_825:                            ;   in Loop: Header=BB241_16 Depth=1
	s_or_b32 exec_lo, exec_lo, s25
.LBB241_826:                            ;   in Loop: Header=BB241_16 Depth=1
	s_or_b32 exec_lo, exec_lo, s24
.LBB241_827:                            ;   in Loop: Header=BB241_16 Depth=1
	s_or_b32 exec_lo, exec_lo, s23
	v_cmp_ne_u16_sdwa s5, v2, v77 src0_sel:BYTE_1 src1_sel:DWORD
	s_and_saveexec_b32 s23, s5
	s_cbranch_execz .LBB241_835
; %bb.828:                              ;   in Loop: Header=BB241_16 Depth=1
	v_mov_b32_e32 v3, 0x80
	v_mov_b32_e32 v70, v77
	buffer_store_dword v70, off, s[0:3], s32 offset:1044 ; 4-byte Folded Spill
	buffer_store_dword v71, off, s[0:3], s32 offset:1048 ; 4-byte Folded Spill
	v_cmp_ne_u16_sdwa s5, v2, v3 src0_sel:BYTE_1 src1_sel:DWORD
	s_and_saveexec_b32 s24, s5
	s_cbranch_execz .LBB241_834
; %bb.829:                              ;   in Loop: Header=BB241_16 Depth=1
	s_clause 0x1
	buffer_load_dword v5, off, s[0:3], s32 offset:200
	buffer_load_dword v6, off, s[0:3], s32 offset:204
	v_mov_b32_e32 v3, 0xffff
	s_mov_b32 s25, exec_lo
	v_and_b32_sdwa v3, v3, v2 dst_sel:DWORD dst_unused:UNUSED_PAD src0_sel:DWORD src1_sel:BYTE_1
	v_and_b32_e32 v4, 0x7f, v3
	s_waitcnt vmcnt(0)
	v_mov_b32_e32 v7, v6
	v_mov_b32_e32 v6, v77
	;; [unrolled: 1-line block ×3, first 2 shown]
	buffer_store_dword v4, off, s[0:3], s32 offset:200 ; 4-byte Folded Spill
	buffer_store_dword v5, off, s[0:3], s32 offset:204 ; 4-byte Folded Spill
	;; [unrolled: 1-line block ×4, first 2 shown]
	v_cmpx_ne_u32_e32 0x7f, v4
	s_cbranch_execz .LBB241_833
; %bb.830:                              ;   in Loop: Header=BB241_16 Depth=1
	v_and_b32_e32 v76, 7, v3
	v_lshrrev_b32_e32 v3, 3, v4
	s_mov_b32 s26, exec_lo
	v_cmpx_gt_u32_e32 8, v4
; %bb.831:                              ;   in Loop: Header=BB241_16 Depth=1
	v_ffbh_u32_e32 v3, v76
	v_min_u32_e32 v3, 32, v3
	v_subrev_nc_u32_e32 v4, 28, v3
	v_sub_nc_u32_e32 v3, 29, v3
	v_lshlrev_b64 v[4:5], v4, v[76:77]
	v_and_b32_e32 v76, 7, v4
; %bb.832:                              ;   in Loop: Header=BB241_16 Depth=1
	s_or_b32 exec_lo, exec_lo, s26
	v_lshlrev_b32_e32 v4, 16, v2
	v_lshlrev_b32_e32 v5, 20, v76
	v_lshl_add_u32 v3, v3, 23, 0x3c000000
	v_and_b32_e32 v4, 0x80000000, v4
	v_or3_b32 v4, v5, v4, v3
	v_mov_b32_e32 v3, v77
	buffer_store_dword v3, off, s[0:3], s32 offset:1044 ; 4-byte Folded Spill
	buffer_store_dword v4, off, s[0:3], s32 offset:1048 ; 4-byte Folded Spill
.LBB241_833:                            ;   in Loop: Header=BB241_16 Depth=1
	s_or_b32 exec_lo, exec_lo, s25
.LBB241_834:                            ;   in Loop: Header=BB241_16 Depth=1
	s_or_b32 exec_lo, exec_lo, s24
.LBB241_835:                            ;   in Loop: Header=BB241_16 Depth=1
	s_or_b32 exec_lo, exec_lo, s23
	v_mov_b32_e32 v4, 0
	v_mov_b32_e32 v5, 0
	;; [unrolled: 1-line block ×3, first 2 shown]
	s_mov_b32 s23, exec_lo
	buffer_store_dword v4, off, s[0:3], s32 offset:1052 ; 4-byte Folded Spill
	buffer_store_dword v5, off, s[0:3], s32 offset:1056 ; 4-byte Folded Spill
	v_mov_b32_e32 v4, 0
	v_and_b32_sdwa v3, v2, v3 dst_sel:DWORD dst_unused:UNUSED_PAD src0_sel:WORD_1 src1_sel:DWORD
	v_mov_b32_e32 v5, 0
	buffer_store_dword v4, off, s[0:3], s32 offset:1060 ; 4-byte Folded Spill
	buffer_store_dword v5, off, s[0:3], s32 offset:1064 ; 4-byte Folded Spill
	v_cmpx_ne_u16_e32 0, v3
	s_cbranch_execz .LBB241_843
; %bb.836:                              ;   in Loop: Header=BB241_16 Depth=1
	v_cmp_ne_u16_e64 s5, 0x80, v3
	v_bfrev_b32_e32 v3, 1
	v_mov_b32_e32 v4, 0
	buffer_store_dword v3, off, s[0:3], s32 offset:1060 ; 4-byte Folded Spill
	buffer_store_dword v4, off, s[0:3], s32 offset:1064 ; 4-byte Folded Spill
	s_and_saveexec_b32 s24, s5
	s_cbranch_execz .LBB241_842
; %bb.837:                              ;   in Loop: Header=BB241_16 Depth=1
	v_mov_b32_e32 v5, 0x7f800001
	v_bfe_u32 v4, v2, 16, 7
	v_mov_b32_e32 v6, 0
	s_mov_b32 s25, exec_lo
	buffer_store_dword v5, off, s[0:3], s32 offset:1060 ; 4-byte Folded Spill
	buffer_store_dword v6, off, s[0:3], s32 offset:1064 ; 4-byte Folded Spill
	v_cmpx_ne_u32_e32 0x7f, v4
	s_cbranch_execz .LBB241_841
; %bb.838:                              ;   in Loop: Header=BB241_16 Depth=1
	v_mov_b32_e32 v3, 7
	s_mov_b32 s26, exec_lo
	v_and_b32_sdwa v76, v2, v3 dst_sel:DWORD dst_unused:UNUSED_PAD src0_sel:WORD_1 src1_sel:DWORD
	v_lshrrev_b32_e32 v3, 3, v4
	v_cmpx_gt_u32_e32 8, v4
; %bb.839:                              ;   in Loop: Header=BB241_16 Depth=1
	v_ffbh_u32_e32 v3, v76
	v_min_u32_e32 v3, 32, v3
	v_subrev_nc_u32_e32 v4, 28, v3
	v_sub_nc_u32_e32 v3, 29, v3
	v_lshlrev_b64 v[4:5], v4, v[76:77]
	v_and_b32_e32 v76, 7, v4
; %bb.840:                              ;   in Loop: Header=BB241_16 Depth=1
	s_or_b32 exec_lo, exec_lo, s26
	v_mov_b32_e32 v4, 24
	v_lshlrev_b32_e32 v5, 20, v76
	v_lshl_add_u32 v3, v3, 23, 0x3c000000
	v_lshlrev_b32_sdwa v4, v4, v2 dst_sel:DWORD dst_unused:UNUSED_PAD src0_sel:DWORD src1_sel:WORD_1
	v_and_b32_e32 v4, 0x80000000, v4
	v_or3_b32 v76, v5, v4, v3
	buffer_store_dword v76, off, s[0:3], s32 offset:1060 ; 4-byte Folded Spill
	buffer_store_dword v77, off, s[0:3], s32 offset:1064 ; 4-byte Folded Spill
.LBB241_841:                            ;   in Loop: Header=BB241_16 Depth=1
	s_or_b32 exec_lo, exec_lo, s25
.LBB241_842:                            ;   in Loop: Header=BB241_16 Depth=1
	s_or_b32 exec_lo, exec_lo, s24
.LBB241_843:                            ;   in Loop: Header=BB241_16 Depth=1
	s_or_b32 exec_lo, exec_lo, s23
	s_mov_b32 s23, exec_lo
	v_cmpx_lt_u32_e32 0xffffff, v2
	s_cbranch_execz .LBB241_851
; %bb.844:                              ;   in Loop: Header=BB241_16 Depth=1
	v_mov_b32_e32 v3, 0x80
	v_mov_b32_e32 v70, v77
	buffer_store_dword v70, off, s[0:3], s32 offset:1052 ; 4-byte Folded Spill
	buffer_store_dword v71, off, s[0:3], s32 offset:1056 ; 4-byte Folded Spill
	v_cmp_ne_u32_sdwa s5, v2, v3 src0_sel:BYTE_3 src1_sel:DWORD
	s_and_saveexec_b32 s24, s5
	s_cbranch_execz .LBB241_850
; %bb.845:                              ;   in Loop: Header=BB241_16 Depth=1
	s_clause 0x1
	buffer_load_dword v5, off, s[0:3], s32 offset:200
	buffer_load_dword v6, off, s[0:3], s32 offset:204
	v_bfe_u32 v4, v2, 24, 7
	s_waitcnt vmcnt(1)
	v_mov_b32_e32 v5, v77
	s_mov_b32 s25, exec_lo
	s_waitcnt vmcnt(0)
	v_mov_b32_e32 v3, v6
	buffer_store_dword v2, off, s[0:3], s32 offset:200 ; 4-byte Folded Spill
	buffer_store_dword v3, off, s[0:3], s32 offset:204 ; 4-byte Folded Spill
	;; [unrolled: 1-line block ×4, first 2 shown]
	v_cmpx_ne_u32_e32 0x7f, v4
	s_cbranch_execz .LBB241_849
; %bb.846:                              ;   in Loop: Header=BB241_16 Depth=1
	v_mov_b32_e32 v3, 7
	s_mov_b32 s26, exec_lo
	v_and_b32_sdwa v76, v2, v3 dst_sel:DWORD dst_unused:UNUSED_PAD src0_sel:BYTE_3 src1_sel:DWORD
	v_lshrrev_b32_e32 v3, 3, v4
	v_cmpx_gt_u32_e32 8, v4
; %bb.847:                              ;   in Loop: Header=BB241_16 Depth=1
	v_ffbh_u32_e32 v3, v76
	v_min_u32_e32 v3, 32, v3
	v_subrev_nc_u32_e32 v4, 28, v3
	v_sub_nc_u32_e32 v3, 29, v3
	v_lshlrev_b64 v[4:5], v4, v[76:77]
	v_and_b32_e32 v76, 7, v4
; %bb.848:                              ;   in Loop: Header=BB241_16 Depth=1
	s_or_b32 exec_lo, exec_lo, s26
	v_mov_b32_e32 v4, 24
	v_lshl_add_u32 v3, v3, 23, 0x3c000000
	v_lshlrev_b32_sdwa v2, v4, v2 dst_sel:DWORD dst_unused:UNUSED_PAD src0_sel:DWORD src1_sel:BYTE_3
	v_lshlrev_b32_e32 v4, 20, v76
	v_and_b32_e32 v2, 0x80000000, v2
	v_or3_b32 v3, v4, v2, v3
	v_mov_b32_e32 v2, v77
	buffer_store_dword v2, off, s[0:3], s32 offset:1052 ; 4-byte Folded Spill
	buffer_store_dword v3, off, s[0:3], s32 offset:1056 ; 4-byte Folded Spill
.LBB241_849:                            ;   in Loop: Header=BB241_16 Depth=1
	s_or_b32 exec_lo, exec_lo, s25
.LBB241_850:                            ;   in Loop: Header=BB241_16 Depth=1
	s_or_b32 exec_lo, exec_lo, s24
.LBB241_851:                            ;   in Loop: Header=BB241_16 Depth=1
	s_or_b32 exec_lo, exec_lo, s23
	flat_load_dword v2, v[0:1] offset:1032
	v_mov_b32_e32 v3, 0
	v_mov_b32_e32 v4, 0
	buffer_store_dword v3, off, s[0:3], s32 offset:1076 ; 4-byte Folded Spill
	buffer_store_dword v4, off, s[0:3], s32 offset:1080 ; 4-byte Folded Spill
	v_mov_b32_e32 v3, 0
	v_mov_b32_e32 v4, 0
	buffer_store_dword v3, off, s[0:3], s32 offset:1100 ; 4-byte Folded Spill
	buffer_store_dword v4, off, s[0:3], s32 offset:1104 ; 4-byte Folded Spill
	s_waitcnt vmcnt(0) lgkmcnt(0)
	v_cmp_ne_u16_sdwa s5, v2, v77 src0_sel:BYTE_0 src1_sel:DWORD
	s_and_saveexec_b32 s23, s5
	s_cbranch_execz .LBB241_859
; %bb.852:                              ;   in Loop: Header=BB241_16 Depth=1
	v_bfrev_b32_e32 v3, 1
	v_mov_b32_e32 v4, 0
	buffer_store_dword v3, off, s[0:3], s32 offset:1100 ; 4-byte Folded Spill
	buffer_store_dword v4, off, s[0:3], s32 offset:1104 ; 4-byte Folded Spill
	v_mov_b32_e32 v3, 0x80
	v_cmp_ne_u16_sdwa s5, v2, v3 src0_sel:BYTE_0 src1_sel:DWORD
	s_and_saveexec_b32 s24, s5
	s_cbranch_execz .LBB241_858
; %bb.853:                              ;   in Loop: Header=BB241_16 Depth=1
	v_mov_b32_e32 v5, 0x7f800001
	v_and_b32_e32 v4, 0x7f, v2
	v_mov_b32_e32 v6, 0
	s_mov_b32 s25, exec_lo
	buffer_store_dword v5, off, s[0:3], s32 offset:1100 ; 4-byte Folded Spill
	buffer_store_dword v6, off, s[0:3], s32 offset:1104 ; 4-byte Folded Spill
	v_cmpx_ne_u32_e32 0x7f, v4
	s_cbranch_execz .LBB241_857
; %bb.854:                              ;   in Loop: Header=BB241_16 Depth=1
	v_and_b32_e32 v76, 7, v2
	v_lshrrev_b32_e32 v3, 3, v4
	s_mov_b32 s26, exec_lo
	v_cmpx_gt_u32_e32 8, v4
; %bb.855:                              ;   in Loop: Header=BB241_16 Depth=1
	v_ffbh_u32_e32 v3, v76
	v_min_u32_e32 v3, 32, v3
	v_subrev_nc_u32_e32 v4, 28, v3
	v_sub_nc_u32_e32 v3, 29, v3
	v_lshlrev_b64 v[4:5], v4, v[76:77]
	v_and_b32_e32 v76, 7, v4
; %bb.856:                              ;   in Loop: Header=BB241_16 Depth=1
	s_or_b32 exec_lo, exec_lo, s26
	v_lshlrev_b32_e32 v4, 24, v2
	v_lshlrev_b32_e32 v5, 20, v76
	v_lshl_add_u32 v3, v3, 23, 0x3c000000
	v_and_b32_e32 v4, 0x80000000, v4
	v_or3_b32 v76, v5, v4, v3
	buffer_store_dword v76, off, s[0:3], s32 offset:1100 ; 4-byte Folded Spill
	buffer_store_dword v77, off, s[0:3], s32 offset:1104 ; 4-byte Folded Spill
.LBB241_857:                            ;   in Loop: Header=BB241_16 Depth=1
	s_or_b32 exec_lo, exec_lo, s25
.LBB241_858:                            ;   in Loop: Header=BB241_16 Depth=1
	s_or_b32 exec_lo, exec_lo, s24
.LBB241_859:                            ;   in Loop: Header=BB241_16 Depth=1
	s_or_b32 exec_lo, exec_lo, s23
	v_cmp_ne_u16_sdwa s5, v2, v77 src0_sel:BYTE_1 src1_sel:DWORD
	s_and_saveexec_b32 s23, s5
	s_cbranch_execz .LBB241_867
; %bb.860:                              ;   in Loop: Header=BB241_16 Depth=1
	v_mov_b32_e32 v3, 0x80
	v_mov_b32_e32 v70, v77
	buffer_store_dword v70, off, s[0:3], s32 offset:1076 ; 4-byte Folded Spill
	buffer_store_dword v71, off, s[0:3], s32 offset:1080 ; 4-byte Folded Spill
	v_cmp_ne_u16_sdwa s5, v2, v3 src0_sel:BYTE_1 src1_sel:DWORD
	s_and_saveexec_b32 s24, s5
	s_cbranch_execz .LBB241_866
; %bb.861:                              ;   in Loop: Header=BB241_16 Depth=1
	s_clause 0x1
	buffer_load_dword v5, off, s[0:3], s32 offset:200
	buffer_load_dword v6, off, s[0:3], s32 offset:204
	v_mov_b32_e32 v3, 0xffff
	s_mov_b32 s25, exec_lo
	v_and_b32_sdwa v3, v3, v2 dst_sel:DWORD dst_unused:UNUSED_PAD src0_sel:DWORD src1_sel:BYTE_1
	v_and_b32_e32 v4, 0x7f, v3
	s_waitcnt vmcnt(0)
	v_mov_b32_e32 v7, v6
	v_mov_b32_e32 v6, v77
	;; [unrolled: 1-line block ×3, first 2 shown]
	buffer_store_dword v4, off, s[0:3], s32 offset:200 ; 4-byte Folded Spill
	buffer_store_dword v5, off, s[0:3], s32 offset:204 ; 4-byte Folded Spill
	;; [unrolled: 1-line block ×4, first 2 shown]
	v_cmpx_ne_u32_e32 0x7f, v4
	s_cbranch_execz .LBB241_865
; %bb.862:                              ;   in Loop: Header=BB241_16 Depth=1
	v_and_b32_e32 v76, 7, v3
	v_lshrrev_b32_e32 v3, 3, v4
	s_mov_b32 s26, exec_lo
	v_cmpx_gt_u32_e32 8, v4
; %bb.863:                              ;   in Loop: Header=BB241_16 Depth=1
	v_ffbh_u32_e32 v3, v76
	v_min_u32_e32 v3, 32, v3
	v_subrev_nc_u32_e32 v4, 28, v3
	v_sub_nc_u32_e32 v3, 29, v3
	v_lshlrev_b64 v[4:5], v4, v[76:77]
	v_and_b32_e32 v76, 7, v4
; %bb.864:                              ;   in Loop: Header=BB241_16 Depth=1
	s_or_b32 exec_lo, exec_lo, s26
	v_lshlrev_b32_e32 v4, 16, v2
	v_lshlrev_b32_e32 v5, 20, v76
	v_lshl_add_u32 v3, v3, 23, 0x3c000000
	v_and_b32_e32 v4, 0x80000000, v4
	v_or3_b32 v4, v5, v4, v3
	v_mov_b32_e32 v3, v77
	buffer_store_dword v3, off, s[0:3], s32 offset:1076 ; 4-byte Folded Spill
	buffer_store_dword v4, off, s[0:3], s32 offset:1080 ; 4-byte Folded Spill
.LBB241_865:                            ;   in Loop: Header=BB241_16 Depth=1
	s_or_b32 exec_lo, exec_lo, s25
.LBB241_866:                            ;   in Loop: Header=BB241_16 Depth=1
	s_or_b32 exec_lo, exec_lo, s24
.LBB241_867:                            ;   in Loop: Header=BB241_16 Depth=1
	s_or_b32 exec_lo, exec_lo, s23
	v_mov_b32_e32 v4, 0
	v_mov_b32_e32 v5, 0
	;; [unrolled: 1-line block ×3, first 2 shown]
	s_mov_b32 s23, exec_lo
	buffer_store_dword v4, off, s[0:3], s32 offset:1084 ; 4-byte Folded Spill
	buffer_store_dword v5, off, s[0:3], s32 offset:1088 ; 4-byte Folded Spill
	v_mov_b32_e32 v4, 0
	v_and_b32_sdwa v3, v2, v3 dst_sel:DWORD dst_unused:UNUSED_PAD src0_sel:WORD_1 src1_sel:DWORD
	v_mov_b32_e32 v5, 0
	buffer_store_dword v4, off, s[0:3], s32 offset:1092 ; 4-byte Folded Spill
	buffer_store_dword v5, off, s[0:3], s32 offset:1096 ; 4-byte Folded Spill
	v_cmpx_ne_u16_e32 0, v3
	s_cbranch_execz .LBB241_875
; %bb.868:                              ;   in Loop: Header=BB241_16 Depth=1
	v_cmp_ne_u16_e64 s5, 0x80, v3
	v_bfrev_b32_e32 v3, 1
	v_mov_b32_e32 v4, 0
	buffer_store_dword v3, off, s[0:3], s32 offset:1092 ; 4-byte Folded Spill
	buffer_store_dword v4, off, s[0:3], s32 offset:1096 ; 4-byte Folded Spill
	s_and_saveexec_b32 s24, s5
	s_cbranch_execz .LBB241_874
; %bb.869:                              ;   in Loop: Header=BB241_16 Depth=1
	v_mov_b32_e32 v5, 0x7f800001
	v_bfe_u32 v4, v2, 16, 7
	v_mov_b32_e32 v6, 0
	s_mov_b32 s25, exec_lo
	buffer_store_dword v5, off, s[0:3], s32 offset:1092 ; 4-byte Folded Spill
	buffer_store_dword v6, off, s[0:3], s32 offset:1096 ; 4-byte Folded Spill
	v_cmpx_ne_u32_e32 0x7f, v4
	s_cbranch_execz .LBB241_873
; %bb.870:                              ;   in Loop: Header=BB241_16 Depth=1
	v_mov_b32_e32 v3, 7
	s_mov_b32 s26, exec_lo
	v_and_b32_sdwa v76, v2, v3 dst_sel:DWORD dst_unused:UNUSED_PAD src0_sel:WORD_1 src1_sel:DWORD
	v_lshrrev_b32_e32 v3, 3, v4
	v_cmpx_gt_u32_e32 8, v4
; %bb.871:                              ;   in Loop: Header=BB241_16 Depth=1
	v_ffbh_u32_e32 v3, v76
	v_min_u32_e32 v3, 32, v3
	v_subrev_nc_u32_e32 v4, 28, v3
	v_sub_nc_u32_e32 v3, 29, v3
	v_lshlrev_b64 v[4:5], v4, v[76:77]
	v_and_b32_e32 v76, 7, v4
; %bb.872:                              ;   in Loop: Header=BB241_16 Depth=1
	s_or_b32 exec_lo, exec_lo, s26
	v_mov_b32_e32 v4, 24
	v_lshlrev_b32_e32 v5, 20, v76
	v_lshl_add_u32 v3, v3, 23, 0x3c000000
	v_lshlrev_b32_sdwa v4, v4, v2 dst_sel:DWORD dst_unused:UNUSED_PAD src0_sel:DWORD src1_sel:WORD_1
	v_and_b32_e32 v4, 0x80000000, v4
	v_or3_b32 v76, v5, v4, v3
	buffer_store_dword v76, off, s[0:3], s32 offset:1092 ; 4-byte Folded Spill
	buffer_store_dword v77, off, s[0:3], s32 offset:1096 ; 4-byte Folded Spill
.LBB241_873:                            ;   in Loop: Header=BB241_16 Depth=1
	s_or_b32 exec_lo, exec_lo, s25
.LBB241_874:                            ;   in Loop: Header=BB241_16 Depth=1
	s_or_b32 exec_lo, exec_lo, s24
.LBB241_875:                            ;   in Loop: Header=BB241_16 Depth=1
	s_or_b32 exec_lo, exec_lo, s23
	s_mov_b32 s23, exec_lo
	v_cmpx_lt_u32_e32 0xffffff, v2
	s_cbranch_execz .LBB241_883
; %bb.876:                              ;   in Loop: Header=BB241_16 Depth=1
	v_mov_b32_e32 v3, 0x80
	v_mov_b32_e32 v70, v77
	buffer_store_dword v70, off, s[0:3], s32 offset:1084 ; 4-byte Folded Spill
	buffer_store_dword v71, off, s[0:3], s32 offset:1088 ; 4-byte Folded Spill
	v_cmp_ne_u32_sdwa s5, v2, v3 src0_sel:BYTE_3 src1_sel:DWORD
	s_and_saveexec_b32 s24, s5
	s_cbranch_execz .LBB241_882
; %bb.877:                              ;   in Loop: Header=BB241_16 Depth=1
	s_clause 0x1
	buffer_load_dword v5, off, s[0:3], s32 offset:200
	buffer_load_dword v6, off, s[0:3], s32 offset:204
	v_bfe_u32 v4, v2, 24, 7
	s_waitcnt vmcnt(1)
	v_mov_b32_e32 v5, v77
	s_mov_b32 s25, exec_lo
	s_waitcnt vmcnt(0)
	v_mov_b32_e32 v3, v6
	buffer_store_dword v2, off, s[0:3], s32 offset:200 ; 4-byte Folded Spill
	buffer_store_dword v3, off, s[0:3], s32 offset:204 ; 4-byte Folded Spill
	;; [unrolled: 1-line block ×4, first 2 shown]
	v_cmpx_ne_u32_e32 0x7f, v4
	s_cbranch_execz .LBB241_881
; %bb.878:                              ;   in Loop: Header=BB241_16 Depth=1
	v_mov_b32_e32 v3, 7
	s_mov_b32 s26, exec_lo
	v_and_b32_sdwa v76, v2, v3 dst_sel:DWORD dst_unused:UNUSED_PAD src0_sel:BYTE_3 src1_sel:DWORD
	v_lshrrev_b32_e32 v3, 3, v4
	v_cmpx_gt_u32_e32 8, v4
; %bb.879:                              ;   in Loop: Header=BB241_16 Depth=1
	v_ffbh_u32_e32 v3, v76
	v_min_u32_e32 v3, 32, v3
	v_subrev_nc_u32_e32 v4, 28, v3
	v_sub_nc_u32_e32 v3, 29, v3
	v_lshlrev_b64 v[4:5], v4, v[76:77]
	v_and_b32_e32 v76, 7, v4
; %bb.880:                              ;   in Loop: Header=BB241_16 Depth=1
	s_or_b32 exec_lo, exec_lo, s26
	v_mov_b32_e32 v4, 24
	v_lshl_add_u32 v3, v3, 23, 0x3c000000
	v_lshlrev_b32_sdwa v2, v4, v2 dst_sel:DWORD dst_unused:UNUSED_PAD src0_sel:DWORD src1_sel:BYTE_3
	v_lshlrev_b32_e32 v4, 20, v76
	v_and_b32_e32 v2, 0x80000000, v2
	v_or3_b32 v3, v4, v2, v3
	v_mov_b32_e32 v2, v77
	buffer_store_dword v2, off, s[0:3], s32 offset:1084 ; 4-byte Folded Spill
	buffer_store_dword v3, off, s[0:3], s32 offset:1088 ; 4-byte Folded Spill
.LBB241_881:                            ;   in Loop: Header=BB241_16 Depth=1
	s_or_b32 exec_lo, exec_lo, s25
.LBB241_882:                            ;   in Loop: Header=BB241_16 Depth=1
	s_or_b32 exec_lo, exec_lo, s24
.LBB241_883:                            ;   in Loop: Header=BB241_16 Depth=1
	s_or_b32 exec_lo, exec_lo, s23
	flat_load_dword v2, v[0:1] offset:1036
	v_mov_b32_e32 v3, 0
	v_mov_b32_e32 v4, 0
	buffer_store_dword v3, off, s[0:3], s32 offset:1108 ; 4-byte Folded Spill
	buffer_store_dword v4, off, s[0:3], s32 offset:1112 ; 4-byte Folded Spill
	v_mov_b32_e32 v3, 0
	v_mov_b32_e32 v4, 0
	buffer_store_dword v3, off, s[0:3], s32 offset:1132 ; 4-byte Folded Spill
	buffer_store_dword v4, off, s[0:3], s32 offset:1136 ; 4-byte Folded Spill
	s_waitcnt vmcnt(0) lgkmcnt(0)
	v_cmp_ne_u16_sdwa s5, v2, v77 src0_sel:BYTE_0 src1_sel:DWORD
	s_and_saveexec_b32 s23, s5
	s_cbranch_execz .LBB241_891
; %bb.884:                              ;   in Loop: Header=BB241_16 Depth=1
	v_bfrev_b32_e32 v3, 1
	v_mov_b32_e32 v4, 0
	buffer_store_dword v3, off, s[0:3], s32 offset:1132 ; 4-byte Folded Spill
	buffer_store_dword v4, off, s[0:3], s32 offset:1136 ; 4-byte Folded Spill
	v_mov_b32_e32 v3, 0x80
	v_cmp_ne_u16_sdwa s5, v2, v3 src0_sel:BYTE_0 src1_sel:DWORD
	s_and_saveexec_b32 s24, s5
	s_cbranch_execz .LBB241_890
; %bb.885:                              ;   in Loop: Header=BB241_16 Depth=1
	v_mov_b32_e32 v5, 0x7f800001
	v_and_b32_e32 v4, 0x7f, v2
	v_mov_b32_e32 v6, 0
	s_mov_b32 s25, exec_lo
	buffer_store_dword v5, off, s[0:3], s32 offset:1132 ; 4-byte Folded Spill
	buffer_store_dword v6, off, s[0:3], s32 offset:1136 ; 4-byte Folded Spill
	v_cmpx_ne_u32_e32 0x7f, v4
	s_cbranch_execz .LBB241_889
; %bb.886:                              ;   in Loop: Header=BB241_16 Depth=1
	v_and_b32_e32 v76, 7, v2
	v_lshrrev_b32_e32 v3, 3, v4
	s_mov_b32 s26, exec_lo
	v_cmpx_gt_u32_e32 8, v4
; %bb.887:                              ;   in Loop: Header=BB241_16 Depth=1
	v_ffbh_u32_e32 v3, v76
	v_min_u32_e32 v3, 32, v3
	v_subrev_nc_u32_e32 v4, 28, v3
	v_sub_nc_u32_e32 v3, 29, v3
	v_lshlrev_b64 v[4:5], v4, v[76:77]
	v_and_b32_e32 v76, 7, v4
; %bb.888:                              ;   in Loop: Header=BB241_16 Depth=1
	s_or_b32 exec_lo, exec_lo, s26
	v_lshlrev_b32_e32 v4, 24, v2
	v_lshlrev_b32_e32 v5, 20, v76
	v_lshl_add_u32 v3, v3, 23, 0x3c000000
	v_and_b32_e32 v4, 0x80000000, v4
	v_or3_b32 v76, v5, v4, v3
	buffer_store_dword v76, off, s[0:3], s32 offset:1132 ; 4-byte Folded Spill
	buffer_store_dword v77, off, s[0:3], s32 offset:1136 ; 4-byte Folded Spill
.LBB241_889:                            ;   in Loop: Header=BB241_16 Depth=1
	s_or_b32 exec_lo, exec_lo, s25
.LBB241_890:                            ;   in Loop: Header=BB241_16 Depth=1
	s_or_b32 exec_lo, exec_lo, s24
.LBB241_891:                            ;   in Loop: Header=BB241_16 Depth=1
	s_or_b32 exec_lo, exec_lo, s23
	v_cmp_ne_u16_sdwa s5, v2, v77 src0_sel:BYTE_1 src1_sel:DWORD
	s_and_saveexec_b32 s23, s5
	s_cbranch_execz .LBB241_899
; %bb.892:                              ;   in Loop: Header=BB241_16 Depth=1
	v_mov_b32_e32 v3, 0x80
	v_mov_b32_e32 v70, v77
	buffer_store_dword v70, off, s[0:3], s32 offset:1108 ; 4-byte Folded Spill
	buffer_store_dword v71, off, s[0:3], s32 offset:1112 ; 4-byte Folded Spill
	v_cmp_ne_u16_sdwa s5, v2, v3 src0_sel:BYTE_1 src1_sel:DWORD
	s_and_saveexec_b32 s24, s5
	s_cbranch_execz .LBB241_898
; %bb.893:                              ;   in Loop: Header=BB241_16 Depth=1
	s_clause 0x1
	buffer_load_dword v5, off, s[0:3], s32 offset:200
	buffer_load_dword v6, off, s[0:3], s32 offset:204
	v_mov_b32_e32 v3, 0xffff
	s_mov_b32 s25, exec_lo
	v_and_b32_sdwa v3, v3, v2 dst_sel:DWORD dst_unused:UNUSED_PAD src0_sel:DWORD src1_sel:BYTE_1
	v_and_b32_e32 v4, 0x7f, v3
	s_waitcnt vmcnt(0)
	v_mov_b32_e32 v7, v6
	v_mov_b32_e32 v6, v77
	;; [unrolled: 1-line block ×3, first 2 shown]
	buffer_store_dword v4, off, s[0:3], s32 offset:200 ; 4-byte Folded Spill
	buffer_store_dword v5, off, s[0:3], s32 offset:204 ; 4-byte Folded Spill
	;; [unrolled: 1-line block ×4, first 2 shown]
	v_cmpx_ne_u32_e32 0x7f, v4
	s_cbranch_execz .LBB241_897
; %bb.894:                              ;   in Loop: Header=BB241_16 Depth=1
	v_and_b32_e32 v76, 7, v3
	v_lshrrev_b32_e32 v3, 3, v4
	s_mov_b32 s26, exec_lo
	v_cmpx_gt_u32_e32 8, v4
; %bb.895:                              ;   in Loop: Header=BB241_16 Depth=1
	v_ffbh_u32_e32 v3, v76
	v_min_u32_e32 v3, 32, v3
	v_subrev_nc_u32_e32 v4, 28, v3
	v_sub_nc_u32_e32 v3, 29, v3
	v_lshlrev_b64 v[4:5], v4, v[76:77]
	v_and_b32_e32 v76, 7, v4
; %bb.896:                              ;   in Loop: Header=BB241_16 Depth=1
	s_or_b32 exec_lo, exec_lo, s26
	v_lshlrev_b32_e32 v4, 16, v2
	v_lshlrev_b32_e32 v5, 20, v76
	v_lshl_add_u32 v3, v3, 23, 0x3c000000
	v_and_b32_e32 v4, 0x80000000, v4
	v_or3_b32 v4, v5, v4, v3
	v_mov_b32_e32 v3, v77
	buffer_store_dword v3, off, s[0:3], s32 offset:1108 ; 4-byte Folded Spill
	buffer_store_dword v4, off, s[0:3], s32 offset:1112 ; 4-byte Folded Spill
.LBB241_897:                            ;   in Loop: Header=BB241_16 Depth=1
	s_or_b32 exec_lo, exec_lo, s25
.LBB241_898:                            ;   in Loop: Header=BB241_16 Depth=1
	s_or_b32 exec_lo, exec_lo, s24
.LBB241_899:                            ;   in Loop: Header=BB241_16 Depth=1
	s_or_b32 exec_lo, exec_lo, s23
	v_mov_b32_e32 v4, 0
	v_mov_b32_e32 v5, 0
	;; [unrolled: 1-line block ×3, first 2 shown]
	s_mov_b32 s23, exec_lo
	buffer_store_dword v4, off, s[0:3], s32 offset:1116 ; 4-byte Folded Spill
	buffer_store_dword v5, off, s[0:3], s32 offset:1120 ; 4-byte Folded Spill
	v_mov_b32_e32 v4, 0
	v_and_b32_sdwa v3, v2, v3 dst_sel:DWORD dst_unused:UNUSED_PAD src0_sel:WORD_1 src1_sel:DWORD
	v_mov_b32_e32 v5, 0
	buffer_store_dword v4, off, s[0:3], s32 offset:1124 ; 4-byte Folded Spill
	buffer_store_dword v5, off, s[0:3], s32 offset:1128 ; 4-byte Folded Spill
	v_cmpx_ne_u16_e32 0, v3
	s_cbranch_execz .LBB241_907
; %bb.900:                              ;   in Loop: Header=BB241_16 Depth=1
	v_cmp_ne_u16_e64 s5, 0x80, v3
	v_bfrev_b32_e32 v3, 1
	v_mov_b32_e32 v4, 0
	buffer_store_dword v3, off, s[0:3], s32 offset:1124 ; 4-byte Folded Spill
	buffer_store_dword v4, off, s[0:3], s32 offset:1128 ; 4-byte Folded Spill
	s_and_saveexec_b32 s24, s5
	s_cbranch_execz .LBB241_906
; %bb.901:                              ;   in Loop: Header=BB241_16 Depth=1
	v_mov_b32_e32 v5, 0x7f800001
	v_bfe_u32 v4, v2, 16, 7
	v_mov_b32_e32 v6, 0
	s_mov_b32 s25, exec_lo
	buffer_store_dword v5, off, s[0:3], s32 offset:1124 ; 4-byte Folded Spill
	buffer_store_dword v6, off, s[0:3], s32 offset:1128 ; 4-byte Folded Spill
	v_cmpx_ne_u32_e32 0x7f, v4
	s_cbranch_execz .LBB241_905
; %bb.902:                              ;   in Loop: Header=BB241_16 Depth=1
	v_mov_b32_e32 v3, 7
	s_mov_b32 s26, exec_lo
	v_and_b32_sdwa v76, v2, v3 dst_sel:DWORD dst_unused:UNUSED_PAD src0_sel:WORD_1 src1_sel:DWORD
	v_lshrrev_b32_e32 v3, 3, v4
	v_cmpx_gt_u32_e32 8, v4
; %bb.903:                              ;   in Loop: Header=BB241_16 Depth=1
	v_ffbh_u32_e32 v3, v76
	v_min_u32_e32 v3, 32, v3
	v_subrev_nc_u32_e32 v4, 28, v3
	v_sub_nc_u32_e32 v3, 29, v3
	v_lshlrev_b64 v[4:5], v4, v[76:77]
	v_and_b32_e32 v76, 7, v4
; %bb.904:                              ;   in Loop: Header=BB241_16 Depth=1
	s_or_b32 exec_lo, exec_lo, s26
	v_mov_b32_e32 v4, 24
	v_lshlrev_b32_e32 v5, 20, v76
	v_lshl_add_u32 v3, v3, 23, 0x3c000000
	v_lshlrev_b32_sdwa v4, v4, v2 dst_sel:DWORD dst_unused:UNUSED_PAD src0_sel:DWORD src1_sel:WORD_1
	v_and_b32_e32 v4, 0x80000000, v4
	v_or3_b32 v76, v5, v4, v3
	buffer_store_dword v76, off, s[0:3], s32 offset:1124 ; 4-byte Folded Spill
	buffer_store_dword v77, off, s[0:3], s32 offset:1128 ; 4-byte Folded Spill
.LBB241_905:                            ;   in Loop: Header=BB241_16 Depth=1
	s_or_b32 exec_lo, exec_lo, s25
.LBB241_906:                            ;   in Loop: Header=BB241_16 Depth=1
	s_or_b32 exec_lo, exec_lo, s24
.LBB241_907:                            ;   in Loop: Header=BB241_16 Depth=1
	s_or_b32 exec_lo, exec_lo, s23
	s_mov_b32 s23, exec_lo
	v_cmpx_lt_u32_e32 0xffffff, v2
	s_cbranch_execz .LBB241_915
; %bb.908:                              ;   in Loop: Header=BB241_16 Depth=1
	v_mov_b32_e32 v3, 0x80
	v_mov_b32_e32 v70, v77
	buffer_store_dword v70, off, s[0:3], s32 offset:1116 ; 4-byte Folded Spill
	buffer_store_dword v71, off, s[0:3], s32 offset:1120 ; 4-byte Folded Spill
	v_cmp_ne_u32_sdwa s5, v2, v3 src0_sel:BYTE_3 src1_sel:DWORD
	s_and_saveexec_b32 s24, s5
	s_cbranch_execz .LBB241_914
; %bb.909:                              ;   in Loop: Header=BB241_16 Depth=1
	s_clause 0x1
	buffer_load_dword v5, off, s[0:3], s32 offset:200
	buffer_load_dword v6, off, s[0:3], s32 offset:204
	v_bfe_u32 v4, v2, 24, 7
	s_waitcnt vmcnt(1)
	v_mov_b32_e32 v5, v77
	s_mov_b32 s25, exec_lo
	s_waitcnt vmcnt(0)
	v_mov_b32_e32 v3, v6
	buffer_store_dword v2, off, s[0:3], s32 offset:200 ; 4-byte Folded Spill
	buffer_store_dword v3, off, s[0:3], s32 offset:204 ; 4-byte Folded Spill
	;; [unrolled: 1-line block ×4, first 2 shown]
	v_cmpx_ne_u32_e32 0x7f, v4
	s_cbranch_execz .LBB241_913
; %bb.910:                              ;   in Loop: Header=BB241_16 Depth=1
	v_mov_b32_e32 v3, 7
	s_mov_b32 s26, exec_lo
	v_and_b32_sdwa v76, v2, v3 dst_sel:DWORD dst_unused:UNUSED_PAD src0_sel:BYTE_3 src1_sel:DWORD
	v_lshrrev_b32_e32 v3, 3, v4
	v_cmpx_gt_u32_e32 8, v4
; %bb.911:                              ;   in Loop: Header=BB241_16 Depth=1
	v_ffbh_u32_e32 v3, v76
	v_min_u32_e32 v3, 32, v3
	v_subrev_nc_u32_e32 v4, 28, v3
	v_sub_nc_u32_e32 v3, 29, v3
	v_lshlrev_b64 v[4:5], v4, v[76:77]
	v_and_b32_e32 v76, 7, v4
; %bb.912:                              ;   in Loop: Header=BB241_16 Depth=1
	s_or_b32 exec_lo, exec_lo, s26
	v_mov_b32_e32 v4, 24
	v_lshl_add_u32 v3, v3, 23, 0x3c000000
	v_lshlrev_b32_sdwa v2, v4, v2 dst_sel:DWORD dst_unused:UNUSED_PAD src0_sel:DWORD src1_sel:BYTE_3
	v_lshlrev_b32_e32 v4, 20, v76
	v_and_b32_e32 v2, 0x80000000, v2
	v_or3_b32 v3, v4, v2, v3
	v_mov_b32_e32 v2, v77
	buffer_store_dword v2, off, s[0:3], s32 offset:1116 ; 4-byte Folded Spill
	buffer_store_dword v3, off, s[0:3], s32 offset:1120 ; 4-byte Folded Spill
.LBB241_913:                            ;   in Loop: Header=BB241_16 Depth=1
	s_or_b32 exec_lo, exec_lo, s25
.LBB241_914:                            ;   in Loop: Header=BB241_16 Depth=1
	s_or_b32 exec_lo, exec_lo, s24
.LBB241_915:                            ;   in Loop: Header=BB241_16 Depth=1
	s_or_b32 exec_lo, exec_lo, s23
	flat_load_dword v2, v[0:1] offset:1536
	v_mov_b32_e32 v3, 0
	v_mov_b32_e32 v4, 0
	buffer_store_dword v3, off, s[0:3], s32 offset:1140 ; 4-byte Folded Spill
	buffer_store_dword v4, off, s[0:3], s32 offset:1144 ; 4-byte Folded Spill
	v_mov_b32_e32 v3, 0
	v_mov_b32_e32 v4, 0
	buffer_store_dword v3, off, s[0:3], s32 offset:1164 ; 4-byte Folded Spill
	buffer_store_dword v4, off, s[0:3], s32 offset:1168 ; 4-byte Folded Spill
	s_waitcnt vmcnt(0) lgkmcnt(0)
	v_cmp_ne_u16_sdwa s5, v2, v77 src0_sel:BYTE_0 src1_sel:DWORD
	s_and_saveexec_b32 s23, s5
	s_cbranch_execz .LBB241_923
; %bb.916:                              ;   in Loop: Header=BB241_16 Depth=1
	v_bfrev_b32_e32 v3, 1
	v_mov_b32_e32 v4, 0
	buffer_store_dword v3, off, s[0:3], s32 offset:1164 ; 4-byte Folded Spill
	buffer_store_dword v4, off, s[0:3], s32 offset:1168 ; 4-byte Folded Spill
	v_mov_b32_e32 v3, 0x80
	v_cmp_ne_u16_sdwa s5, v2, v3 src0_sel:BYTE_0 src1_sel:DWORD
	s_and_saveexec_b32 s24, s5
	s_cbranch_execz .LBB241_922
; %bb.917:                              ;   in Loop: Header=BB241_16 Depth=1
	v_mov_b32_e32 v5, 0x7f800001
	v_and_b32_e32 v4, 0x7f, v2
	v_mov_b32_e32 v6, 0
	s_mov_b32 s25, exec_lo
	buffer_store_dword v5, off, s[0:3], s32 offset:1164 ; 4-byte Folded Spill
	buffer_store_dword v6, off, s[0:3], s32 offset:1168 ; 4-byte Folded Spill
	v_cmpx_ne_u32_e32 0x7f, v4
	s_cbranch_execz .LBB241_921
; %bb.918:                              ;   in Loop: Header=BB241_16 Depth=1
	v_and_b32_e32 v76, 7, v2
	v_lshrrev_b32_e32 v3, 3, v4
	s_mov_b32 s26, exec_lo
	v_cmpx_gt_u32_e32 8, v4
; %bb.919:                              ;   in Loop: Header=BB241_16 Depth=1
	v_ffbh_u32_e32 v3, v76
	v_min_u32_e32 v3, 32, v3
	v_subrev_nc_u32_e32 v4, 28, v3
	v_sub_nc_u32_e32 v3, 29, v3
	v_lshlrev_b64 v[4:5], v4, v[76:77]
	v_and_b32_e32 v76, 7, v4
; %bb.920:                              ;   in Loop: Header=BB241_16 Depth=1
	s_or_b32 exec_lo, exec_lo, s26
	v_lshlrev_b32_e32 v4, 24, v2
	v_lshlrev_b32_e32 v5, 20, v76
	v_lshl_add_u32 v3, v3, 23, 0x3c000000
	v_and_b32_e32 v4, 0x80000000, v4
	v_or3_b32 v76, v5, v4, v3
	buffer_store_dword v76, off, s[0:3], s32 offset:1164 ; 4-byte Folded Spill
	buffer_store_dword v77, off, s[0:3], s32 offset:1168 ; 4-byte Folded Spill
.LBB241_921:                            ;   in Loop: Header=BB241_16 Depth=1
	s_or_b32 exec_lo, exec_lo, s25
.LBB241_922:                            ;   in Loop: Header=BB241_16 Depth=1
	s_or_b32 exec_lo, exec_lo, s24
.LBB241_923:                            ;   in Loop: Header=BB241_16 Depth=1
	s_or_b32 exec_lo, exec_lo, s23
	v_cmp_ne_u16_sdwa s5, v2, v77 src0_sel:BYTE_1 src1_sel:DWORD
	s_and_saveexec_b32 s23, s5
	s_cbranch_execz .LBB241_931
; %bb.924:                              ;   in Loop: Header=BB241_16 Depth=1
	v_mov_b32_e32 v3, 0x80
	v_mov_b32_e32 v70, v77
	buffer_store_dword v70, off, s[0:3], s32 offset:1140 ; 4-byte Folded Spill
	buffer_store_dword v71, off, s[0:3], s32 offset:1144 ; 4-byte Folded Spill
	v_cmp_ne_u16_sdwa s5, v2, v3 src0_sel:BYTE_1 src1_sel:DWORD
	s_and_saveexec_b32 s24, s5
	s_cbranch_execz .LBB241_930
; %bb.925:                              ;   in Loop: Header=BB241_16 Depth=1
	s_clause 0x1
	buffer_load_dword v5, off, s[0:3], s32 offset:200
	buffer_load_dword v6, off, s[0:3], s32 offset:204
	v_mov_b32_e32 v3, 0xffff
	s_mov_b32 s25, exec_lo
	v_and_b32_sdwa v3, v3, v2 dst_sel:DWORD dst_unused:UNUSED_PAD src0_sel:DWORD src1_sel:BYTE_1
	v_and_b32_e32 v4, 0x7f, v3
	s_waitcnt vmcnt(0)
	v_mov_b32_e32 v7, v6
	v_mov_b32_e32 v6, v77
	v_mov_b32_e32 v5, v7
	buffer_store_dword v4, off, s[0:3], s32 offset:200 ; 4-byte Folded Spill
	buffer_store_dword v5, off, s[0:3], s32 offset:204 ; 4-byte Folded Spill
	;; [unrolled: 1-line block ×4, first 2 shown]
	v_cmpx_ne_u32_e32 0x7f, v4
	s_cbranch_execz .LBB241_929
; %bb.926:                              ;   in Loop: Header=BB241_16 Depth=1
	v_and_b32_e32 v76, 7, v3
	v_lshrrev_b32_e32 v3, 3, v4
	s_mov_b32 s26, exec_lo
	v_cmpx_gt_u32_e32 8, v4
; %bb.927:                              ;   in Loop: Header=BB241_16 Depth=1
	v_ffbh_u32_e32 v3, v76
	v_min_u32_e32 v3, 32, v3
	v_subrev_nc_u32_e32 v4, 28, v3
	v_sub_nc_u32_e32 v3, 29, v3
	v_lshlrev_b64 v[4:5], v4, v[76:77]
	v_and_b32_e32 v76, 7, v4
; %bb.928:                              ;   in Loop: Header=BB241_16 Depth=1
	s_or_b32 exec_lo, exec_lo, s26
	v_lshlrev_b32_e32 v4, 16, v2
	v_lshlrev_b32_e32 v5, 20, v76
	v_lshl_add_u32 v3, v3, 23, 0x3c000000
	v_and_b32_e32 v4, 0x80000000, v4
	v_or3_b32 v4, v5, v4, v3
	v_mov_b32_e32 v3, v77
	buffer_store_dword v3, off, s[0:3], s32 offset:1140 ; 4-byte Folded Spill
	buffer_store_dword v4, off, s[0:3], s32 offset:1144 ; 4-byte Folded Spill
.LBB241_929:                            ;   in Loop: Header=BB241_16 Depth=1
	s_or_b32 exec_lo, exec_lo, s25
.LBB241_930:                            ;   in Loop: Header=BB241_16 Depth=1
	s_or_b32 exec_lo, exec_lo, s24
.LBB241_931:                            ;   in Loop: Header=BB241_16 Depth=1
	s_or_b32 exec_lo, exec_lo, s23
	v_mov_b32_e32 v4, 0
	v_mov_b32_e32 v5, 0
	;; [unrolled: 1-line block ×3, first 2 shown]
	s_mov_b32 s23, exec_lo
	buffer_store_dword v4, off, s[0:3], s32 offset:1148 ; 4-byte Folded Spill
	buffer_store_dword v5, off, s[0:3], s32 offset:1152 ; 4-byte Folded Spill
	v_mov_b32_e32 v4, 0
	v_and_b32_sdwa v3, v2, v3 dst_sel:DWORD dst_unused:UNUSED_PAD src0_sel:WORD_1 src1_sel:DWORD
	v_mov_b32_e32 v5, 0
	buffer_store_dword v4, off, s[0:3], s32 offset:1156 ; 4-byte Folded Spill
	buffer_store_dword v5, off, s[0:3], s32 offset:1160 ; 4-byte Folded Spill
	v_cmpx_ne_u16_e32 0, v3
	s_cbranch_execz .LBB241_939
; %bb.932:                              ;   in Loop: Header=BB241_16 Depth=1
	v_cmp_ne_u16_e64 s5, 0x80, v3
	v_bfrev_b32_e32 v3, 1
	v_mov_b32_e32 v4, 0
	buffer_store_dword v3, off, s[0:3], s32 offset:1156 ; 4-byte Folded Spill
	buffer_store_dword v4, off, s[0:3], s32 offset:1160 ; 4-byte Folded Spill
	s_and_saveexec_b32 s24, s5
	s_cbranch_execz .LBB241_938
; %bb.933:                              ;   in Loop: Header=BB241_16 Depth=1
	v_mov_b32_e32 v5, 0x7f800001
	v_bfe_u32 v4, v2, 16, 7
	v_mov_b32_e32 v6, 0
	s_mov_b32 s25, exec_lo
	buffer_store_dword v5, off, s[0:3], s32 offset:1156 ; 4-byte Folded Spill
	buffer_store_dword v6, off, s[0:3], s32 offset:1160 ; 4-byte Folded Spill
	v_cmpx_ne_u32_e32 0x7f, v4
	s_cbranch_execz .LBB241_937
; %bb.934:                              ;   in Loop: Header=BB241_16 Depth=1
	v_mov_b32_e32 v3, 7
	s_mov_b32 s26, exec_lo
	v_and_b32_sdwa v76, v2, v3 dst_sel:DWORD dst_unused:UNUSED_PAD src0_sel:WORD_1 src1_sel:DWORD
	v_lshrrev_b32_e32 v3, 3, v4
	v_cmpx_gt_u32_e32 8, v4
; %bb.935:                              ;   in Loop: Header=BB241_16 Depth=1
	v_ffbh_u32_e32 v3, v76
	v_min_u32_e32 v3, 32, v3
	v_subrev_nc_u32_e32 v4, 28, v3
	v_sub_nc_u32_e32 v3, 29, v3
	v_lshlrev_b64 v[4:5], v4, v[76:77]
	v_and_b32_e32 v76, 7, v4
; %bb.936:                              ;   in Loop: Header=BB241_16 Depth=1
	s_or_b32 exec_lo, exec_lo, s26
	v_mov_b32_e32 v4, 24
	v_lshlrev_b32_e32 v5, 20, v76
	v_lshl_add_u32 v3, v3, 23, 0x3c000000
	v_lshlrev_b32_sdwa v4, v4, v2 dst_sel:DWORD dst_unused:UNUSED_PAD src0_sel:DWORD src1_sel:WORD_1
	v_and_b32_e32 v4, 0x80000000, v4
	v_or3_b32 v76, v5, v4, v3
	buffer_store_dword v76, off, s[0:3], s32 offset:1156 ; 4-byte Folded Spill
	buffer_store_dword v77, off, s[0:3], s32 offset:1160 ; 4-byte Folded Spill
.LBB241_937:                            ;   in Loop: Header=BB241_16 Depth=1
	s_or_b32 exec_lo, exec_lo, s25
.LBB241_938:                            ;   in Loop: Header=BB241_16 Depth=1
	s_or_b32 exec_lo, exec_lo, s24
.LBB241_939:                            ;   in Loop: Header=BB241_16 Depth=1
	s_or_b32 exec_lo, exec_lo, s23
	s_mov_b32 s23, exec_lo
	v_cmpx_lt_u32_e32 0xffffff, v2
	s_cbranch_execz .LBB241_947
; %bb.940:                              ;   in Loop: Header=BB241_16 Depth=1
	v_mov_b32_e32 v3, 0x80
	v_mov_b32_e32 v70, v77
	buffer_store_dword v70, off, s[0:3], s32 offset:1148 ; 4-byte Folded Spill
	buffer_store_dword v71, off, s[0:3], s32 offset:1152 ; 4-byte Folded Spill
	v_cmp_ne_u32_sdwa s5, v2, v3 src0_sel:BYTE_3 src1_sel:DWORD
	s_and_saveexec_b32 s24, s5
	s_cbranch_execz .LBB241_946
; %bb.941:                              ;   in Loop: Header=BB241_16 Depth=1
	s_clause 0x1
	buffer_load_dword v5, off, s[0:3], s32 offset:200
	buffer_load_dword v6, off, s[0:3], s32 offset:204
	v_bfe_u32 v4, v2, 24, 7
	s_waitcnt vmcnt(1)
	v_mov_b32_e32 v5, v77
	s_mov_b32 s25, exec_lo
	s_waitcnt vmcnt(0)
	v_mov_b32_e32 v3, v6
	buffer_store_dword v2, off, s[0:3], s32 offset:200 ; 4-byte Folded Spill
	buffer_store_dword v3, off, s[0:3], s32 offset:204 ; 4-byte Folded Spill
	;; [unrolled: 1-line block ×4, first 2 shown]
	v_cmpx_ne_u32_e32 0x7f, v4
	s_cbranch_execz .LBB241_945
; %bb.942:                              ;   in Loop: Header=BB241_16 Depth=1
	v_mov_b32_e32 v3, 7
	s_mov_b32 s26, exec_lo
	v_and_b32_sdwa v76, v2, v3 dst_sel:DWORD dst_unused:UNUSED_PAD src0_sel:BYTE_3 src1_sel:DWORD
	v_lshrrev_b32_e32 v3, 3, v4
	v_cmpx_gt_u32_e32 8, v4
; %bb.943:                              ;   in Loop: Header=BB241_16 Depth=1
	v_ffbh_u32_e32 v3, v76
	v_min_u32_e32 v3, 32, v3
	v_subrev_nc_u32_e32 v4, 28, v3
	v_sub_nc_u32_e32 v3, 29, v3
	v_lshlrev_b64 v[4:5], v4, v[76:77]
	v_and_b32_e32 v76, 7, v4
; %bb.944:                              ;   in Loop: Header=BB241_16 Depth=1
	s_or_b32 exec_lo, exec_lo, s26
	v_mov_b32_e32 v4, 24
	v_lshl_add_u32 v3, v3, 23, 0x3c000000
	v_lshlrev_b32_sdwa v2, v4, v2 dst_sel:DWORD dst_unused:UNUSED_PAD src0_sel:DWORD src1_sel:BYTE_3
	v_lshlrev_b32_e32 v4, 20, v76
	v_and_b32_e32 v2, 0x80000000, v2
	v_or3_b32 v3, v4, v2, v3
	v_mov_b32_e32 v2, v77
	buffer_store_dword v2, off, s[0:3], s32 offset:1148 ; 4-byte Folded Spill
	buffer_store_dword v3, off, s[0:3], s32 offset:1152 ; 4-byte Folded Spill
.LBB241_945:                            ;   in Loop: Header=BB241_16 Depth=1
	s_or_b32 exec_lo, exec_lo, s25
.LBB241_946:                            ;   in Loop: Header=BB241_16 Depth=1
	s_or_b32 exec_lo, exec_lo, s24
.LBB241_947:                            ;   in Loop: Header=BB241_16 Depth=1
	s_or_b32 exec_lo, exec_lo, s23
	flat_load_dword v2, v[0:1] offset:1540
	v_mov_b32_e32 v3, 0
	v_mov_b32_e32 v4, 0
	buffer_store_dword v3, off, s[0:3], s32 offset:1172 ; 4-byte Folded Spill
	buffer_store_dword v4, off, s[0:3], s32 offset:1176 ; 4-byte Folded Spill
	v_mov_b32_e32 v3, 0
	v_mov_b32_e32 v4, 0
	buffer_store_dword v3, off, s[0:3], s32 offset:1196 ; 4-byte Folded Spill
	buffer_store_dword v4, off, s[0:3], s32 offset:1200 ; 4-byte Folded Spill
	s_waitcnt vmcnt(0) lgkmcnt(0)
	v_cmp_ne_u16_sdwa s5, v2, v77 src0_sel:BYTE_0 src1_sel:DWORD
	s_and_saveexec_b32 s23, s5
	s_cbranch_execz .LBB241_955
; %bb.948:                              ;   in Loop: Header=BB241_16 Depth=1
	v_bfrev_b32_e32 v3, 1
	v_mov_b32_e32 v4, 0
	buffer_store_dword v3, off, s[0:3], s32 offset:1196 ; 4-byte Folded Spill
	buffer_store_dword v4, off, s[0:3], s32 offset:1200 ; 4-byte Folded Spill
	v_mov_b32_e32 v3, 0x80
	v_cmp_ne_u16_sdwa s5, v2, v3 src0_sel:BYTE_0 src1_sel:DWORD
	s_and_saveexec_b32 s24, s5
	s_cbranch_execz .LBB241_954
; %bb.949:                              ;   in Loop: Header=BB241_16 Depth=1
	v_mov_b32_e32 v5, 0x7f800001
	v_and_b32_e32 v4, 0x7f, v2
	v_mov_b32_e32 v6, 0
	s_mov_b32 s25, exec_lo
	buffer_store_dword v5, off, s[0:3], s32 offset:1196 ; 4-byte Folded Spill
	buffer_store_dword v6, off, s[0:3], s32 offset:1200 ; 4-byte Folded Spill
	v_cmpx_ne_u32_e32 0x7f, v4
	s_cbranch_execz .LBB241_953
; %bb.950:                              ;   in Loop: Header=BB241_16 Depth=1
	v_and_b32_e32 v76, 7, v2
	v_lshrrev_b32_e32 v3, 3, v4
	s_mov_b32 s26, exec_lo
	v_cmpx_gt_u32_e32 8, v4
; %bb.951:                              ;   in Loop: Header=BB241_16 Depth=1
	v_ffbh_u32_e32 v3, v76
	v_min_u32_e32 v3, 32, v3
	v_subrev_nc_u32_e32 v4, 28, v3
	v_sub_nc_u32_e32 v3, 29, v3
	v_lshlrev_b64 v[4:5], v4, v[76:77]
	v_and_b32_e32 v76, 7, v4
; %bb.952:                              ;   in Loop: Header=BB241_16 Depth=1
	s_or_b32 exec_lo, exec_lo, s26
	v_lshlrev_b32_e32 v4, 24, v2
	v_lshlrev_b32_e32 v5, 20, v76
	v_lshl_add_u32 v3, v3, 23, 0x3c000000
	v_and_b32_e32 v4, 0x80000000, v4
	v_or3_b32 v76, v5, v4, v3
	buffer_store_dword v76, off, s[0:3], s32 offset:1196 ; 4-byte Folded Spill
	buffer_store_dword v77, off, s[0:3], s32 offset:1200 ; 4-byte Folded Spill
.LBB241_953:                            ;   in Loop: Header=BB241_16 Depth=1
	s_or_b32 exec_lo, exec_lo, s25
.LBB241_954:                            ;   in Loop: Header=BB241_16 Depth=1
	s_or_b32 exec_lo, exec_lo, s24
.LBB241_955:                            ;   in Loop: Header=BB241_16 Depth=1
	s_or_b32 exec_lo, exec_lo, s23
	v_cmp_ne_u16_sdwa s5, v2, v77 src0_sel:BYTE_1 src1_sel:DWORD
	s_and_saveexec_b32 s23, s5
	s_cbranch_execz .LBB241_963
; %bb.956:                              ;   in Loop: Header=BB241_16 Depth=1
	v_mov_b32_e32 v3, 0x80
	v_mov_b32_e32 v70, v77
	buffer_store_dword v70, off, s[0:3], s32 offset:1172 ; 4-byte Folded Spill
	buffer_store_dword v71, off, s[0:3], s32 offset:1176 ; 4-byte Folded Spill
	v_cmp_ne_u16_sdwa s5, v2, v3 src0_sel:BYTE_1 src1_sel:DWORD
	s_and_saveexec_b32 s24, s5
	s_cbranch_execz .LBB241_962
; %bb.957:                              ;   in Loop: Header=BB241_16 Depth=1
	s_clause 0x1
	buffer_load_dword v5, off, s[0:3], s32 offset:200
	buffer_load_dword v6, off, s[0:3], s32 offset:204
	v_mov_b32_e32 v3, 0xffff
	s_mov_b32 s25, exec_lo
	v_and_b32_sdwa v3, v3, v2 dst_sel:DWORD dst_unused:UNUSED_PAD src0_sel:DWORD src1_sel:BYTE_1
	v_and_b32_e32 v4, 0x7f, v3
	s_waitcnt vmcnt(0)
	v_mov_b32_e32 v7, v6
	v_mov_b32_e32 v6, v77
	;; [unrolled: 1-line block ×3, first 2 shown]
	buffer_store_dword v4, off, s[0:3], s32 offset:200 ; 4-byte Folded Spill
	buffer_store_dword v5, off, s[0:3], s32 offset:204 ; 4-byte Folded Spill
	;; [unrolled: 1-line block ×4, first 2 shown]
	v_cmpx_ne_u32_e32 0x7f, v4
	s_cbranch_execz .LBB241_961
; %bb.958:                              ;   in Loop: Header=BB241_16 Depth=1
	v_and_b32_e32 v76, 7, v3
	v_lshrrev_b32_e32 v3, 3, v4
	s_mov_b32 s26, exec_lo
	v_cmpx_gt_u32_e32 8, v4
; %bb.959:                              ;   in Loop: Header=BB241_16 Depth=1
	v_ffbh_u32_e32 v3, v76
	v_min_u32_e32 v3, 32, v3
	v_subrev_nc_u32_e32 v4, 28, v3
	v_sub_nc_u32_e32 v3, 29, v3
	v_lshlrev_b64 v[4:5], v4, v[76:77]
	v_and_b32_e32 v76, 7, v4
; %bb.960:                              ;   in Loop: Header=BB241_16 Depth=1
	s_or_b32 exec_lo, exec_lo, s26
	v_lshlrev_b32_e32 v4, 16, v2
	v_lshlrev_b32_e32 v5, 20, v76
	v_lshl_add_u32 v3, v3, 23, 0x3c000000
	v_and_b32_e32 v4, 0x80000000, v4
	v_or3_b32 v4, v5, v4, v3
	v_mov_b32_e32 v3, v77
	buffer_store_dword v3, off, s[0:3], s32 offset:1172 ; 4-byte Folded Spill
	buffer_store_dword v4, off, s[0:3], s32 offset:1176 ; 4-byte Folded Spill
.LBB241_961:                            ;   in Loop: Header=BB241_16 Depth=1
	s_or_b32 exec_lo, exec_lo, s25
.LBB241_962:                            ;   in Loop: Header=BB241_16 Depth=1
	s_or_b32 exec_lo, exec_lo, s24
.LBB241_963:                            ;   in Loop: Header=BB241_16 Depth=1
	s_or_b32 exec_lo, exec_lo, s23
	v_mov_b32_e32 v4, 0
	v_mov_b32_e32 v5, 0
	;; [unrolled: 1-line block ×3, first 2 shown]
	s_mov_b32 s23, exec_lo
	buffer_store_dword v4, off, s[0:3], s32 offset:1180 ; 4-byte Folded Spill
	buffer_store_dword v5, off, s[0:3], s32 offset:1184 ; 4-byte Folded Spill
	v_mov_b32_e32 v4, 0
	v_and_b32_sdwa v3, v2, v3 dst_sel:DWORD dst_unused:UNUSED_PAD src0_sel:WORD_1 src1_sel:DWORD
	v_mov_b32_e32 v5, 0
	buffer_store_dword v4, off, s[0:3], s32 offset:1188 ; 4-byte Folded Spill
	buffer_store_dword v5, off, s[0:3], s32 offset:1192 ; 4-byte Folded Spill
	v_cmpx_ne_u16_e32 0, v3
	s_cbranch_execz .LBB241_971
; %bb.964:                              ;   in Loop: Header=BB241_16 Depth=1
	v_cmp_ne_u16_e64 s5, 0x80, v3
	v_bfrev_b32_e32 v3, 1
	v_mov_b32_e32 v4, 0
	buffer_store_dword v3, off, s[0:3], s32 offset:1188 ; 4-byte Folded Spill
	buffer_store_dword v4, off, s[0:3], s32 offset:1192 ; 4-byte Folded Spill
	s_and_saveexec_b32 s24, s5
	s_cbranch_execz .LBB241_970
; %bb.965:                              ;   in Loop: Header=BB241_16 Depth=1
	v_mov_b32_e32 v5, 0x7f800001
	v_bfe_u32 v4, v2, 16, 7
	v_mov_b32_e32 v6, 0
	s_mov_b32 s25, exec_lo
	buffer_store_dword v5, off, s[0:3], s32 offset:1188 ; 4-byte Folded Spill
	buffer_store_dword v6, off, s[0:3], s32 offset:1192 ; 4-byte Folded Spill
	v_cmpx_ne_u32_e32 0x7f, v4
	s_cbranch_execz .LBB241_969
; %bb.966:                              ;   in Loop: Header=BB241_16 Depth=1
	v_mov_b32_e32 v3, 7
	s_mov_b32 s26, exec_lo
	v_and_b32_sdwa v76, v2, v3 dst_sel:DWORD dst_unused:UNUSED_PAD src0_sel:WORD_1 src1_sel:DWORD
	v_lshrrev_b32_e32 v3, 3, v4
	v_cmpx_gt_u32_e32 8, v4
; %bb.967:                              ;   in Loop: Header=BB241_16 Depth=1
	v_ffbh_u32_e32 v3, v76
	v_min_u32_e32 v3, 32, v3
	v_subrev_nc_u32_e32 v4, 28, v3
	v_sub_nc_u32_e32 v3, 29, v3
	v_lshlrev_b64 v[4:5], v4, v[76:77]
	v_and_b32_e32 v76, 7, v4
; %bb.968:                              ;   in Loop: Header=BB241_16 Depth=1
	s_or_b32 exec_lo, exec_lo, s26
	v_mov_b32_e32 v4, 24
	v_lshlrev_b32_e32 v5, 20, v76
	v_lshl_add_u32 v3, v3, 23, 0x3c000000
	v_lshlrev_b32_sdwa v4, v4, v2 dst_sel:DWORD dst_unused:UNUSED_PAD src0_sel:DWORD src1_sel:WORD_1
	v_and_b32_e32 v4, 0x80000000, v4
	v_or3_b32 v76, v5, v4, v3
	buffer_store_dword v76, off, s[0:3], s32 offset:1188 ; 4-byte Folded Spill
	buffer_store_dword v77, off, s[0:3], s32 offset:1192 ; 4-byte Folded Spill
.LBB241_969:                            ;   in Loop: Header=BB241_16 Depth=1
	s_or_b32 exec_lo, exec_lo, s25
.LBB241_970:                            ;   in Loop: Header=BB241_16 Depth=1
	s_or_b32 exec_lo, exec_lo, s24
.LBB241_971:                            ;   in Loop: Header=BB241_16 Depth=1
	s_or_b32 exec_lo, exec_lo, s23
	s_mov_b32 s23, exec_lo
	v_cmpx_lt_u32_e32 0xffffff, v2
	s_cbranch_execz .LBB241_979
; %bb.972:                              ;   in Loop: Header=BB241_16 Depth=1
	v_mov_b32_e32 v3, 0x80
	v_mov_b32_e32 v70, v77
	buffer_store_dword v70, off, s[0:3], s32 offset:1180 ; 4-byte Folded Spill
	buffer_store_dword v71, off, s[0:3], s32 offset:1184 ; 4-byte Folded Spill
	v_cmp_ne_u32_sdwa s5, v2, v3 src0_sel:BYTE_3 src1_sel:DWORD
	s_and_saveexec_b32 s24, s5
	s_cbranch_execz .LBB241_978
; %bb.973:                              ;   in Loop: Header=BB241_16 Depth=1
	s_clause 0x1
	buffer_load_dword v5, off, s[0:3], s32 offset:200
	buffer_load_dword v6, off, s[0:3], s32 offset:204
	v_bfe_u32 v4, v2, 24, 7
	s_waitcnt vmcnt(1)
	v_mov_b32_e32 v5, v77
	s_mov_b32 s25, exec_lo
	s_waitcnt vmcnt(0)
	v_mov_b32_e32 v3, v6
	buffer_store_dword v2, off, s[0:3], s32 offset:200 ; 4-byte Folded Spill
	buffer_store_dword v3, off, s[0:3], s32 offset:204 ; 4-byte Folded Spill
	;; [unrolled: 1-line block ×4, first 2 shown]
	v_cmpx_ne_u32_e32 0x7f, v4
	s_cbranch_execz .LBB241_977
; %bb.974:                              ;   in Loop: Header=BB241_16 Depth=1
	v_mov_b32_e32 v3, 7
	s_mov_b32 s26, exec_lo
	v_and_b32_sdwa v76, v2, v3 dst_sel:DWORD dst_unused:UNUSED_PAD src0_sel:BYTE_3 src1_sel:DWORD
	v_lshrrev_b32_e32 v3, 3, v4
	v_cmpx_gt_u32_e32 8, v4
; %bb.975:                              ;   in Loop: Header=BB241_16 Depth=1
	v_ffbh_u32_e32 v3, v76
	v_min_u32_e32 v3, 32, v3
	v_subrev_nc_u32_e32 v4, 28, v3
	v_sub_nc_u32_e32 v3, 29, v3
	v_lshlrev_b64 v[4:5], v4, v[76:77]
	v_and_b32_e32 v76, 7, v4
; %bb.976:                              ;   in Loop: Header=BB241_16 Depth=1
	s_or_b32 exec_lo, exec_lo, s26
	v_mov_b32_e32 v4, 24
	v_lshl_add_u32 v3, v3, 23, 0x3c000000
	v_lshlrev_b32_sdwa v2, v4, v2 dst_sel:DWORD dst_unused:UNUSED_PAD src0_sel:DWORD src1_sel:BYTE_3
	v_lshlrev_b32_e32 v4, 20, v76
	v_and_b32_e32 v2, 0x80000000, v2
	v_or3_b32 v3, v4, v2, v3
	v_mov_b32_e32 v2, v77
	buffer_store_dword v2, off, s[0:3], s32 offset:1180 ; 4-byte Folded Spill
	buffer_store_dword v3, off, s[0:3], s32 offset:1184 ; 4-byte Folded Spill
.LBB241_977:                            ;   in Loop: Header=BB241_16 Depth=1
	s_or_b32 exec_lo, exec_lo, s25
.LBB241_978:                            ;   in Loop: Header=BB241_16 Depth=1
	s_or_b32 exec_lo, exec_lo, s24
.LBB241_979:                            ;   in Loop: Header=BB241_16 Depth=1
	s_or_b32 exec_lo, exec_lo, s23
	flat_load_dword v2, v[0:1] offset:1544
	v_mov_b32_e32 v3, 0
	v_mov_b32_e32 v4, 0
	buffer_store_dword v3, off, s[0:3], s32 offset:1204 ; 4-byte Folded Spill
	buffer_store_dword v4, off, s[0:3], s32 offset:1208 ; 4-byte Folded Spill
	v_mov_b32_e32 v3, 0
	v_mov_b32_e32 v4, 0
	buffer_store_dword v3, off, s[0:3], s32 offset:1228 ; 4-byte Folded Spill
	buffer_store_dword v4, off, s[0:3], s32 offset:1232 ; 4-byte Folded Spill
	s_waitcnt vmcnt(0) lgkmcnt(0)
	v_cmp_ne_u16_sdwa s5, v2, v77 src0_sel:BYTE_0 src1_sel:DWORD
	s_and_saveexec_b32 s23, s5
	s_cbranch_execz .LBB241_987
; %bb.980:                              ;   in Loop: Header=BB241_16 Depth=1
	v_bfrev_b32_e32 v3, 1
	v_mov_b32_e32 v4, 0
	buffer_store_dword v3, off, s[0:3], s32 offset:1228 ; 4-byte Folded Spill
	buffer_store_dword v4, off, s[0:3], s32 offset:1232 ; 4-byte Folded Spill
	v_mov_b32_e32 v3, 0x80
	v_cmp_ne_u16_sdwa s5, v2, v3 src0_sel:BYTE_0 src1_sel:DWORD
	s_and_saveexec_b32 s24, s5
	s_cbranch_execz .LBB241_986
; %bb.981:                              ;   in Loop: Header=BB241_16 Depth=1
	v_mov_b32_e32 v5, 0x7f800001
	v_and_b32_e32 v4, 0x7f, v2
	v_mov_b32_e32 v6, 0
	s_mov_b32 s25, exec_lo
	buffer_store_dword v5, off, s[0:3], s32 offset:1228 ; 4-byte Folded Spill
	buffer_store_dword v6, off, s[0:3], s32 offset:1232 ; 4-byte Folded Spill
	v_cmpx_ne_u32_e32 0x7f, v4
	s_cbranch_execz .LBB241_985
; %bb.982:                              ;   in Loop: Header=BB241_16 Depth=1
	v_and_b32_e32 v76, 7, v2
	v_lshrrev_b32_e32 v3, 3, v4
	s_mov_b32 s26, exec_lo
	v_cmpx_gt_u32_e32 8, v4
; %bb.983:                              ;   in Loop: Header=BB241_16 Depth=1
	v_ffbh_u32_e32 v3, v76
	v_min_u32_e32 v3, 32, v3
	v_subrev_nc_u32_e32 v4, 28, v3
	v_sub_nc_u32_e32 v3, 29, v3
	v_lshlrev_b64 v[4:5], v4, v[76:77]
	v_and_b32_e32 v76, 7, v4
; %bb.984:                              ;   in Loop: Header=BB241_16 Depth=1
	s_or_b32 exec_lo, exec_lo, s26
	v_lshlrev_b32_e32 v4, 24, v2
	v_lshlrev_b32_e32 v5, 20, v76
	v_lshl_add_u32 v3, v3, 23, 0x3c000000
	v_and_b32_e32 v4, 0x80000000, v4
	v_or3_b32 v76, v5, v4, v3
	buffer_store_dword v76, off, s[0:3], s32 offset:1228 ; 4-byte Folded Spill
	buffer_store_dword v77, off, s[0:3], s32 offset:1232 ; 4-byte Folded Spill
.LBB241_985:                            ;   in Loop: Header=BB241_16 Depth=1
	s_or_b32 exec_lo, exec_lo, s25
.LBB241_986:                            ;   in Loop: Header=BB241_16 Depth=1
	s_or_b32 exec_lo, exec_lo, s24
.LBB241_987:                            ;   in Loop: Header=BB241_16 Depth=1
	s_or_b32 exec_lo, exec_lo, s23
	v_cmp_ne_u16_sdwa s5, v2, v77 src0_sel:BYTE_1 src1_sel:DWORD
	s_and_saveexec_b32 s23, s5
	s_cbranch_execz .LBB241_995
; %bb.988:                              ;   in Loop: Header=BB241_16 Depth=1
	v_mov_b32_e32 v3, 0x80
	v_mov_b32_e32 v70, v77
	buffer_store_dword v70, off, s[0:3], s32 offset:1204 ; 4-byte Folded Spill
	buffer_store_dword v71, off, s[0:3], s32 offset:1208 ; 4-byte Folded Spill
	v_cmp_ne_u16_sdwa s5, v2, v3 src0_sel:BYTE_1 src1_sel:DWORD
	s_and_saveexec_b32 s24, s5
	s_cbranch_execz .LBB241_994
; %bb.989:                              ;   in Loop: Header=BB241_16 Depth=1
	s_clause 0x1
	buffer_load_dword v5, off, s[0:3], s32 offset:200
	buffer_load_dword v6, off, s[0:3], s32 offset:204
	v_mov_b32_e32 v3, 0xffff
	s_mov_b32 s25, exec_lo
	v_and_b32_sdwa v3, v3, v2 dst_sel:DWORD dst_unused:UNUSED_PAD src0_sel:DWORD src1_sel:BYTE_1
	v_and_b32_e32 v4, 0x7f, v3
	s_waitcnt vmcnt(0)
	v_mov_b32_e32 v7, v6
	v_mov_b32_e32 v6, v77
	;; [unrolled: 1-line block ×3, first 2 shown]
	buffer_store_dword v4, off, s[0:3], s32 offset:200 ; 4-byte Folded Spill
	buffer_store_dword v5, off, s[0:3], s32 offset:204 ; 4-byte Folded Spill
	;; [unrolled: 1-line block ×4, first 2 shown]
	v_cmpx_ne_u32_e32 0x7f, v4
	s_cbranch_execz .LBB241_993
; %bb.990:                              ;   in Loop: Header=BB241_16 Depth=1
	v_and_b32_e32 v76, 7, v3
	v_lshrrev_b32_e32 v3, 3, v4
	s_mov_b32 s26, exec_lo
	v_cmpx_gt_u32_e32 8, v4
; %bb.991:                              ;   in Loop: Header=BB241_16 Depth=1
	v_ffbh_u32_e32 v3, v76
	v_min_u32_e32 v3, 32, v3
	v_subrev_nc_u32_e32 v4, 28, v3
	v_sub_nc_u32_e32 v3, 29, v3
	v_lshlrev_b64 v[4:5], v4, v[76:77]
	v_and_b32_e32 v76, 7, v4
; %bb.992:                              ;   in Loop: Header=BB241_16 Depth=1
	s_or_b32 exec_lo, exec_lo, s26
	v_lshlrev_b32_e32 v4, 16, v2
	v_lshlrev_b32_e32 v5, 20, v76
	v_lshl_add_u32 v3, v3, 23, 0x3c000000
	v_and_b32_e32 v4, 0x80000000, v4
	v_or3_b32 v4, v5, v4, v3
	v_mov_b32_e32 v3, v77
	buffer_store_dword v3, off, s[0:3], s32 offset:1204 ; 4-byte Folded Spill
	buffer_store_dword v4, off, s[0:3], s32 offset:1208 ; 4-byte Folded Spill
.LBB241_993:                            ;   in Loop: Header=BB241_16 Depth=1
	s_or_b32 exec_lo, exec_lo, s25
.LBB241_994:                            ;   in Loop: Header=BB241_16 Depth=1
	s_or_b32 exec_lo, exec_lo, s24
.LBB241_995:                            ;   in Loop: Header=BB241_16 Depth=1
	s_or_b32 exec_lo, exec_lo, s23
	v_mov_b32_e32 v4, 0
	v_mov_b32_e32 v5, 0
	;; [unrolled: 1-line block ×3, first 2 shown]
	s_mov_b32 s23, exec_lo
	buffer_store_dword v4, off, s[0:3], s32 offset:1212 ; 4-byte Folded Spill
	buffer_store_dword v5, off, s[0:3], s32 offset:1216 ; 4-byte Folded Spill
	v_mov_b32_e32 v4, 0
	v_and_b32_sdwa v3, v2, v3 dst_sel:DWORD dst_unused:UNUSED_PAD src0_sel:WORD_1 src1_sel:DWORD
	v_mov_b32_e32 v5, 0
	buffer_store_dword v4, off, s[0:3], s32 offset:1220 ; 4-byte Folded Spill
	buffer_store_dword v5, off, s[0:3], s32 offset:1224 ; 4-byte Folded Spill
	v_cmpx_ne_u16_e32 0, v3
	s_cbranch_execz .LBB241_1003
; %bb.996:                              ;   in Loop: Header=BB241_16 Depth=1
	v_cmp_ne_u16_e64 s5, 0x80, v3
	v_bfrev_b32_e32 v3, 1
	v_mov_b32_e32 v4, 0
	buffer_store_dword v3, off, s[0:3], s32 offset:1220 ; 4-byte Folded Spill
	buffer_store_dword v4, off, s[0:3], s32 offset:1224 ; 4-byte Folded Spill
	s_and_saveexec_b32 s24, s5
	s_cbranch_execz .LBB241_1002
; %bb.997:                              ;   in Loop: Header=BB241_16 Depth=1
	v_mov_b32_e32 v5, 0x7f800001
	v_bfe_u32 v4, v2, 16, 7
	v_mov_b32_e32 v6, 0
	s_mov_b32 s25, exec_lo
	buffer_store_dword v5, off, s[0:3], s32 offset:1220 ; 4-byte Folded Spill
	buffer_store_dword v6, off, s[0:3], s32 offset:1224 ; 4-byte Folded Spill
	v_cmpx_ne_u32_e32 0x7f, v4
	s_cbranch_execz .LBB241_1001
; %bb.998:                              ;   in Loop: Header=BB241_16 Depth=1
	v_mov_b32_e32 v3, 7
	s_mov_b32 s26, exec_lo
	v_and_b32_sdwa v76, v2, v3 dst_sel:DWORD dst_unused:UNUSED_PAD src0_sel:WORD_1 src1_sel:DWORD
	v_lshrrev_b32_e32 v3, 3, v4
	v_cmpx_gt_u32_e32 8, v4
; %bb.999:                              ;   in Loop: Header=BB241_16 Depth=1
	v_ffbh_u32_e32 v3, v76
	v_min_u32_e32 v3, 32, v3
	v_subrev_nc_u32_e32 v4, 28, v3
	v_sub_nc_u32_e32 v3, 29, v3
	v_lshlrev_b64 v[4:5], v4, v[76:77]
	v_and_b32_e32 v76, 7, v4
; %bb.1000:                             ;   in Loop: Header=BB241_16 Depth=1
	s_or_b32 exec_lo, exec_lo, s26
	v_mov_b32_e32 v4, 24
	v_lshlrev_b32_e32 v5, 20, v76
	v_lshl_add_u32 v3, v3, 23, 0x3c000000
	v_lshlrev_b32_sdwa v4, v4, v2 dst_sel:DWORD dst_unused:UNUSED_PAD src0_sel:DWORD src1_sel:WORD_1
	v_and_b32_e32 v4, 0x80000000, v4
	v_or3_b32 v76, v5, v4, v3
	buffer_store_dword v76, off, s[0:3], s32 offset:1220 ; 4-byte Folded Spill
	buffer_store_dword v77, off, s[0:3], s32 offset:1224 ; 4-byte Folded Spill
.LBB241_1001:                           ;   in Loop: Header=BB241_16 Depth=1
	s_or_b32 exec_lo, exec_lo, s25
.LBB241_1002:                           ;   in Loop: Header=BB241_16 Depth=1
	s_or_b32 exec_lo, exec_lo, s24
.LBB241_1003:                           ;   in Loop: Header=BB241_16 Depth=1
	s_or_b32 exec_lo, exec_lo, s23
	s_mov_b32 s23, exec_lo
	v_cmpx_lt_u32_e32 0xffffff, v2
	s_cbranch_execz .LBB241_1011
; %bb.1004:                             ;   in Loop: Header=BB241_16 Depth=1
	v_mov_b32_e32 v3, 0x80
	v_mov_b32_e32 v70, v77
	buffer_store_dword v70, off, s[0:3], s32 offset:1212 ; 4-byte Folded Spill
	buffer_store_dword v71, off, s[0:3], s32 offset:1216 ; 4-byte Folded Spill
	v_cmp_ne_u32_sdwa s5, v2, v3 src0_sel:BYTE_3 src1_sel:DWORD
	s_and_saveexec_b32 s24, s5
	s_cbranch_execz .LBB241_1010
; %bb.1005:                             ;   in Loop: Header=BB241_16 Depth=1
	s_clause 0x1
	buffer_load_dword v5, off, s[0:3], s32 offset:200
	buffer_load_dword v6, off, s[0:3], s32 offset:204
	v_bfe_u32 v4, v2, 24, 7
	s_waitcnt vmcnt(1)
	v_mov_b32_e32 v5, v77
	s_mov_b32 s25, exec_lo
	s_waitcnt vmcnt(0)
	v_mov_b32_e32 v3, v6
	buffer_store_dword v2, off, s[0:3], s32 offset:200 ; 4-byte Folded Spill
	buffer_store_dword v3, off, s[0:3], s32 offset:204 ; 4-byte Folded Spill
	;; [unrolled: 1-line block ×4, first 2 shown]
	v_cmpx_ne_u32_e32 0x7f, v4
	s_cbranch_execz .LBB241_1009
; %bb.1006:                             ;   in Loop: Header=BB241_16 Depth=1
	v_mov_b32_e32 v3, 7
	s_mov_b32 s26, exec_lo
	v_and_b32_sdwa v76, v2, v3 dst_sel:DWORD dst_unused:UNUSED_PAD src0_sel:BYTE_3 src1_sel:DWORD
	v_lshrrev_b32_e32 v3, 3, v4
	v_cmpx_gt_u32_e32 8, v4
; %bb.1007:                             ;   in Loop: Header=BB241_16 Depth=1
	v_ffbh_u32_e32 v3, v76
	v_min_u32_e32 v3, 32, v3
	v_subrev_nc_u32_e32 v4, 28, v3
	v_sub_nc_u32_e32 v3, 29, v3
	v_lshlrev_b64 v[4:5], v4, v[76:77]
	v_and_b32_e32 v76, 7, v4
; %bb.1008:                             ;   in Loop: Header=BB241_16 Depth=1
	s_or_b32 exec_lo, exec_lo, s26
	v_mov_b32_e32 v4, 24
	v_lshl_add_u32 v3, v3, 23, 0x3c000000
	v_lshlrev_b32_sdwa v2, v4, v2 dst_sel:DWORD dst_unused:UNUSED_PAD src0_sel:DWORD src1_sel:BYTE_3
	v_lshlrev_b32_e32 v4, 20, v76
	v_and_b32_e32 v2, 0x80000000, v2
	v_or3_b32 v3, v4, v2, v3
	v_mov_b32_e32 v2, v77
	buffer_store_dword v2, off, s[0:3], s32 offset:1212 ; 4-byte Folded Spill
	buffer_store_dword v3, off, s[0:3], s32 offset:1216 ; 4-byte Folded Spill
.LBB241_1009:                           ;   in Loop: Header=BB241_16 Depth=1
	s_or_b32 exec_lo, exec_lo, s25
.LBB241_1010:                           ;   in Loop: Header=BB241_16 Depth=1
	s_or_b32 exec_lo, exec_lo, s24
.LBB241_1011:                           ;   in Loop: Header=BB241_16 Depth=1
	s_or_b32 exec_lo, exec_lo, s23
	flat_load_dword v0, v[0:1] offset:1548
	v_mov_b32_e32 v1, 0
	v_mov_b32_e32 v2, 0
	buffer_store_dword v1, off, s[0:3], s32 offset:1236 ; 4-byte Folded Spill
	buffer_store_dword v2, off, s[0:3], s32 offset:1240 ; 4-byte Folded Spill
	v_mov_b32_e32 v1, 0
	v_mov_b32_e32 v2, 0
	buffer_store_dword v1, off, s[0:3], s32 offset:1260 ; 4-byte Folded Spill
	buffer_store_dword v2, off, s[0:3], s32 offset:1264 ; 4-byte Folded Spill
	s_waitcnt vmcnt(0) lgkmcnt(0)
	v_cmp_ne_u16_sdwa s5, v0, v77 src0_sel:BYTE_0 src1_sel:DWORD
	s_and_saveexec_b32 s23, s5
	s_cbranch_execz .LBB241_1019
; %bb.1012:                             ;   in Loop: Header=BB241_16 Depth=1
	v_bfrev_b32_e32 v1, 1
	v_mov_b32_e32 v2, 0
	buffer_store_dword v1, off, s[0:3], s32 offset:1260 ; 4-byte Folded Spill
	buffer_store_dword v2, off, s[0:3], s32 offset:1264 ; 4-byte Folded Spill
	v_mov_b32_e32 v1, 0x80
	v_cmp_ne_u16_sdwa s5, v0, v1 src0_sel:BYTE_0 src1_sel:DWORD
	s_and_saveexec_b32 s24, s5
	s_cbranch_execz .LBB241_1018
; %bb.1013:                             ;   in Loop: Header=BB241_16 Depth=1
	v_mov_b32_e32 v3, 0x7f800001
	v_and_b32_e32 v2, 0x7f, v0
	v_mov_b32_e32 v4, 0
	s_mov_b32 s25, exec_lo
	buffer_store_dword v3, off, s[0:3], s32 offset:1260 ; 4-byte Folded Spill
	buffer_store_dword v4, off, s[0:3], s32 offset:1264 ; 4-byte Folded Spill
	v_cmpx_ne_u32_e32 0x7f, v2
	s_cbranch_execz .LBB241_1017
; %bb.1014:                             ;   in Loop: Header=BB241_16 Depth=1
	v_and_b32_e32 v76, 7, v0
	v_lshrrev_b32_e32 v1, 3, v2
	s_mov_b32 s26, exec_lo
	v_cmpx_gt_u32_e32 8, v2
; %bb.1015:                             ;   in Loop: Header=BB241_16 Depth=1
	v_ffbh_u32_e32 v1, v76
	v_min_u32_e32 v1, 32, v1
	v_subrev_nc_u32_e32 v2, 28, v1
	v_sub_nc_u32_e32 v1, 29, v1
	v_lshlrev_b64 v[2:3], v2, v[76:77]
	v_and_b32_e32 v76, 7, v2
; %bb.1016:                             ;   in Loop: Header=BB241_16 Depth=1
	s_or_b32 exec_lo, exec_lo, s26
	v_lshlrev_b32_e32 v2, 24, v0
	v_lshlrev_b32_e32 v3, 20, v76
	v_lshl_add_u32 v1, v1, 23, 0x3c000000
	v_and_b32_e32 v2, 0x80000000, v2
	v_or3_b32 v76, v3, v2, v1
	buffer_store_dword v76, off, s[0:3], s32 offset:1260 ; 4-byte Folded Spill
	buffer_store_dword v77, off, s[0:3], s32 offset:1264 ; 4-byte Folded Spill
.LBB241_1017:                           ;   in Loop: Header=BB241_16 Depth=1
	s_or_b32 exec_lo, exec_lo, s25
.LBB241_1018:                           ;   in Loop: Header=BB241_16 Depth=1
	s_or_b32 exec_lo, exec_lo, s24
.LBB241_1019:                           ;   in Loop: Header=BB241_16 Depth=1
	s_or_b32 exec_lo, exec_lo, s23
	v_cmp_ne_u16_sdwa s5, v0, v77 src0_sel:BYTE_1 src1_sel:DWORD
	s_and_saveexec_b32 s23, s5
	s_cbranch_execz .LBB241_1027
; %bb.1020:                             ;   in Loop: Header=BB241_16 Depth=1
	v_mov_b32_e32 v1, 0x80
	v_mov_b32_e32 v70, v77
	buffer_store_dword v70, off, s[0:3], s32 offset:1236 ; 4-byte Folded Spill
	buffer_store_dword v71, off, s[0:3], s32 offset:1240 ; 4-byte Folded Spill
	v_cmp_ne_u16_sdwa s5, v0, v1 src0_sel:BYTE_1 src1_sel:DWORD
	s_and_saveexec_b32 s24, s5
	s_cbranch_execz .LBB241_1026
; %bb.1021:                             ;   in Loop: Header=BB241_16 Depth=1
	s_clause 0x1
	buffer_load_dword v3, off, s[0:3], s32 offset:200
	buffer_load_dword v4, off, s[0:3], s32 offset:204
	v_mov_b32_e32 v1, 0xffff
	s_mov_b32 s25, exec_lo
	v_and_b32_sdwa v1, v1, v0 dst_sel:DWORD dst_unused:UNUSED_PAD src0_sel:DWORD src1_sel:BYTE_1
	v_and_b32_e32 v2, 0x7f, v1
	s_waitcnt vmcnt(0)
	v_mov_b32_e32 v5, v4
	v_mov_b32_e32 v4, v77
	;; [unrolled: 1-line block ×3, first 2 shown]
	buffer_store_dword v2, off, s[0:3], s32 offset:200 ; 4-byte Folded Spill
	buffer_store_dword v3, off, s[0:3], s32 offset:204 ; 4-byte Folded Spill
	;; [unrolled: 1-line block ×4, first 2 shown]
	v_cmpx_ne_u32_e32 0x7f, v2
	s_cbranch_execz .LBB241_1025
; %bb.1022:                             ;   in Loop: Header=BB241_16 Depth=1
	v_and_b32_e32 v76, 7, v1
	v_lshrrev_b32_e32 v1, 3, v2
	s_mov_b32 s26, exec_lo
	v_cmpx_gt_u32_e32 8, v2
; %bb.1023:                             ;   in Loop: Header=BB241_16 Depth=1
	v_ffbh_u32_e32 v1, v76
	v_min_u32_e32 v1, 32, v1
	v_subrev_nc_u32_e32 v2, 28, v1
	v_sub_nc_u32_e32 v1, 29, v1
	v_lshlrev_b64 v[2:3], v2, v[76:77]
	v_and_b32_e32 v76, 7, v2
; %bb.1024:                             ;   in Loop: Header=BB241_16 Depth=1
	s_or_b32 exec_lo, exec_lo, s26
	v_lshlrev_b32_e32 v2, 16, v0
	v_lshlrev_b32_e32 v3, 20, v76
	v_lshl_add_u32 v1, v1, 23, 0x3c000000
	v_and_b32_e32 v2, 0x80000000, v2
	v_or3_b32 v2, v3, v2, v1
	v_mov_b32_e32 v1, v77
	buffer_store_dword v1, off, s[0:3], s32 offset:1236 ; 4-byte Folded Spill
	buffer_store_dword v2, off, s[0:3], s32 offset:1240 ; 4-byte Folded Spill
.LBB241_1025:                           ;   in Loop: Header=BB241_16 Depth=1
	s_or_b32 exec_lo, exec_lo, s25
.LBB241_1026:                           ;   in Loop: Header=BB241_16 Depth=1
	s_or_b32 exec_lo, exec_lo, s24
.LBB241_1027:                           ;   in Loop: Header=BB241_16 Depth=1
	s_or_b32 exec_lo, exec_lo, s23
	v_mov_b32_e32 v2, 0
	v_mov_b32_e32 v3, 0
	;; [unrolled: 1-line block ×3, first 2 shown]
	s_mov_b32 s23, exec_lo
	buffer_store_dword v2, off, s[0:3], s32 offset:1244 ; 4-byte Folded Spill
	buffer_store_dword v3, off, s[0:3], s32 offset:1248 ; 4-byte Folded Spill
	v_mov_b32_e32 v2, 0
	v_and_b32_sdwa v1, v0, v1 dst_sel:DWORD dst_unused:UNUSED_PAD src0_sel:WORD_1 src1_sel:DWORD
	v_mov_b32_e32 v3, 0
	buffer_store_dword v2, off, s[0:3], s32 offset:1252 ; 4-byte Folded Spill
	buffer_store_dword v3, off, s[0:3], s32 offset:1256 ; 4-byte Folded Spill
	v_cmpx_ne_u16_e32 0, v1
	s_cbranch_execz .LBB241_1035
; %bb.1028:                             ;   in Loop: Header=BB241_16 Depth=1
	v_cmp_ne_u16_e64 s5, 0x80, v1
	v_bfrev_b32_e32 v1, 1
	v_mov_b32_e32 v2, 0
	buffer_store_dword v1, off, s[0:3], s32 offset:1252 ; 4-byte Folded Spill
	buffer_store_dword v2, off, s[0:3], s32 offset:1256 ; 4-byte Folded Spill
	s_and_saveexec_b32 s24, s5
	s_cbranch_execz .LBB241_1034
; %bb.1029:                             ;   in Loop: Header=BB241_16 Depth=1
	v_mov_b32_e32 v3, 0x7f800001
	v_bfe_u32 v2, v0, 16, 7
	v_mov_b32_e32 v4, 0
	s_mov_b32 s25, exec_lo
	buffer_store_dword v3, off, s[0:3], s32 offset:1252 ; 4-byte Folded Spill
	buffer_store_dword v4, off, s[0:3], s32 offset:1256 ; 4-byte Folded Spill
	v_cmpx_ne_u32_e32 0x7f, v2
	s_cbranch_execz .LBB241_1033
; %bb.1030:                             ;   in Loop: Header=BB241_16 Depth=1
	v_mov_b32_e32 v1, 7
	s_mov_b32 s26, exec_lo
	v_and_b32_sdwa v76, v0, v1 dst_sel:DWORD dst_unused:UNUSED_PAD src0_sel:WORD_1 src1_sel:DWORD
	v_lshrrev_b32_e32 v1, 3, v2
	v_cmpx_gt_u32_e32 8, v2
; %bb.1031:                             ;   in Loop: Header=BB241_16 Depth=1
	v_ffbh_u32_e32 v1, v76
	v_min_u32_e32 v1, 32, v1
	v_subrev_nc_u32_e32 v2, 28, v1
	v_sub_nc_u32_e32 v1, 29, v1
	v_lshlrev_b64 v[2:3], v2, v[76:77]
	v_and_b32_e32 v76, 7, v2
; %bb.1032:                             ;   in Loop: Header=BB241_16 Depth=1
	s_or_b32 exec_lo, exec_lo, s26
	v_mov_b32_e32 v2, 24
	v_lshlrev_b32_e32 v3, 20, v76
	v_lshl_add_u32 v1, v1, 23, 0x3c000000
	v_lshlrev_b32_sdwa v2, v2, v0 dst_sel:DWORD dst_unused:UNUSED_PAD src0_sel:DWORD src1_sel:WORD_1
	v_and_b32_e32 v2, 0x80000000, v2
	v_or3_b32 v76, v3, v2, v1
	buffer_store_dword v76, off, s[0:3], s32 offset:1252 ; 4-byte Folded Spill
	buffer_store_dword v77, off, s[0:3], s32 offset:1256 ; 4-byte Folded Spill
.LBB241_1033:                           ;   in Loop: Header=BB241_16 Depth=1
	s_or_b32 exec_lo, exec_lo, s25
.LBB241_1034:                           ;   in Loop: Header=BB241_16 Depth=1
	s_or_b32 exec_lo, exec_lo, s24
.LBB241_1035:                           ;   in Loop: Header=BB241_16 Depth=1
	s_or_b32 exec_lo, exec_lo, s23
	s_mov_b32 s23, exec_lo
	v_cmpx_lt_u32_e32 0xffffff, v0
	s_cbranch_execz .LBB241_1043
; %bb.1036:                             ;   in Loop: Header=BB241_16 Depth=1
	v_mov_b32_e32 v1, 0x80
	v_mov_b32_e32 v70, v77
	buffer_store_dword v70, off, s[0:3], s32 offset:1244 ; 4-byte Folded Spill
	buffer_store_dword v71, off, s[0:3], s32 offset:1248 ; 4-byte Folded Spill
	v_cmp_ne_u32_sdwa s5, v0, v1 src0_sel:BYTE_3 src1_sel:DWORD
	s_and_saveexec_b32 s24, s5
	s_cbranch_execz .LBB241_1042
; %bb.1037:                             ;   in Loop: Header=BB241_16 Depth=1
	s_clause 0x1
	buffer_load_dword v3, off, s[0:3], s32 offset:200
	buffer_load_dword v4, off, s[0:3], s32 offset:204
	v_bfe_u32 v2, v0, 24, 7
	s_waitcnt vmcnt(1)
	v_mov_b32_e32 v3, v77
	s_mov_b32 s25, exec_lo
	s_waitcnt vmcnt(0)
	v_mov_b32_e32 v1, v4
	buffer_store_dword v0, off, s[0:3], s32 offset:200 ; 4-byte Folded Spill
	buffer_store_dword v1, off, s[0:3], s32 offset:204 ; 4-byte Folded Spill
	;; [unrolled: 1-line block ×4, first 2 shown]
	v_cmpx_ne_u32_e32 0x7f, v2
	s_cbranch_execz .LBB241_1041
; %bb.1038:                             ;   in Loop: Header=BB241_16 Depth=1
	v_mov_b32_e32 v1, 7
	s_mov_b32 s26, exec_lo
	v_and_b32_sdwa v76, v0, v1 dst_sel:DWORD dst_unused:UNUSED_PAD src0_sel:BYTE_3 src1_sel:DWORD
	v_lshrrev_b32_e32 v1, 3, v2
	v_cmpx_gt_u32_e32 8, v2
; %bb.1039:                             ;   in Loop: Header=BB241_16 Depth=1
	v_ffbh_u32_e32 v1, v76
	v_min_u32_e32 v1, 32, v1
	v_subrev_nc_u32_e32 v2, 28, v1
	v_sub_nc_u32_e32 v1, 29, v1
	v_lshlrev_b64 v[2:3], v2, v[76:77]
	v_and_b32_e32 v76, 7, v2
; %bb.1040:                             ;   in Loop: Header=BB241_16 Depth=1
	s_or_b32 exec_lo, exec_lo, s26
	v_mov_b32_e32 v2, 24
	v_lshl_add_u32 v1, v1, 23, 0x3c000000
	v_lshlrev_b32_sdwa v0, v2, v0 dst_sel:DWORD dst_unused:UNUSED_PAD src0_sel:DWORD src1_sel:BYTE_3
	v_lshlrev_b32_e32 v2, 20, v76
	v_and_b32_e32 v0, 0x80000000, v0
	v_or3_b32 v1, v2, v0, v1
	v_mov_b32_e32 v0, v77
	buffer_store_dword v0, off, s[0:3], s32 offset:1244 ; 4-byte Folded Spill
	buffer_store_dword v1, off, s[0:3], s32 offset:1248 ; 4-byte Folded Spill
.LBB241_1041:                           ;   in Loop: Header=BB241_16 Depth=1
	s_or_b32 exec_lo, exec_lo, s25
.LBB241_1042:                           ;   in Loop: Header=BB241_16 Depth=1
	s_or_b32 exec_lo, exec_lo, s24
.LBB241_1043:                           ;   in Loop: Header=BB241_16 Depth=1
	s_or_b32 exec_lo, exec_lo, s23
	v_add_co_u32 v30, s5, 0x1000, v8
	v_add_co_ci_u32_e64 v31, null, 0, v9, s5
	v_mov_b32_e32 v1, 0
	v_mov_b32_e32 v2, 0
	flat_load_dword v0, v[30:31]
	buffer_store_dword v1, off, s[0:3], s32 offset:1268 ; 4-byte Folded Spill
	buffer_store_dword v2, off, s[0:3], s32 offset:1272 ; 4-byte Folded Spill
	v_mov_b32_e32 v1, 0
	v_mov_b32_e32 v2, 0
	buffer_store_dword v1, off, s[0:3], s32 offset:1292 ; 4-byte Folded Spill
	buffer_store_dword v2, off, s[0:3], s32 offset:1296 ; 4-byte Folded Spill
	s_waitcnt vmcnt(0) lgkmcnt(0)
	v_cmp_ne_u16_sdwa s5, v0, v77 src0_sel:BYTE_0 src1_sel:DWORD
	s_and_saveexec_b32 s23, s5
	s_cbranch_execz .LBB241_1051
; %bb.1044:                             ;   in Loop: Header=BB241_16 Depth=1
	v_bfrev_b32_e32 v1, 1
	v_mov_b32_e32 v2, 0
	buffer_store_dword v1, off, s[0:3], s32 offset:1292 ; 4-byte Folded Spill
	buffer_store_dword v2, off, s[0:3], s32 offset:1296 ; 4-byte Folded Spill
	v_mov_b32_e32 v1, 0x80
	v_cmp_ne_u16_sdwa s5, v0, v1 src0_sel:BYTE_0 src1_sel:DWORD
	s_and_saveexec_b32 s24, s5
	s_cbranch_execz .LBB241_1050
; %bb.1045:                             ;   in Loop: Header=BB241_16 Depth=1
	v_mov_b32_e32 v3, 0x7f800001
	v_and_b32_e32 v2, 0x7f, v0
	v_mov_b32_e32 v4, 0
	s_mov_b32 s25, exec_lo
	buffer_store_dword v3, off, s[0:3], s32 offset:1292 ; 4-byte Folded Spill
	buffer_store_dword v4, off, s[0:3], s32 offset:1296 ; 4-byte Folded Spill
	v_cmpx_ne_u32_e32 0x7f, v2
	s_cbranch_execz .LBB241_1049
; %bb.1046:                             ;   in Loop: Header=BB241_16 Depth=1
	v_and_b32_e32 v76, 7, v0
	v_lshrrev_b32_e32 v1, 3, v2
	s_mov_b32 s26, exec_lo
	v_cmpx_gt_u32_e32 8, v2
; %bb.1047:                             ;   in Loop: Header=BB241_16 Depth=1
	v_ffbh_u32_e32 v1, v76
	v_min_u32_e32 v1, 32, v1
	v_subrev_nc_u32_e32 v2, 28, v1
	v_sub_nc_u32_e32 v1, 29, v1
	v_lshlrev_b64 v[2:3], v2, v[76:77]
	v_and_b32_e32 v76, 7, v2
; %bb.1048:                             ;   in Loop: Header=BB241_16 Depth=1
	s_or_b32 exec_lo, exec_lo, s26
	v_lshlrev_b32_e32 v2, 24, v0
	v_lshlrev_b32_e32 v3, 20, v76
	v_lshl_add_u32 v1, v1, 23, 0x3c000000
	v_and_b32_e32 v2, 0x80000000, v2
	v_or3_b32 v76, v3, v2, v1
	buffer_store_dword v76, off, s[0:3], s32 offset:1292 ; 4-byte Folded Spill
	buffer_store_dword v77, off, s[0:3], s32 offset:1296 ; 4-byte Folded Spill
.LBB241_1049:                           ;   in Loop: Header=BB241_16 Depth=1
	s_or_b32 exec_lo, exec_lo, s25
.LBB241_1050:                           ;   in Loop: Header=BB241_16 Depth=1
	s_or_b32 exec_lo, exec_lo, s24
.LBB241_1051:                           ;   in Loop: Header=BB241_16 Depth=1
	s_or_b32 exec_lo, exec_lo, s23
	v_cmp_ne_u16_sdwa s5, v0, v77 src0_sel:BYTE_1 src1_sel:DWORD
	s_and_saveexec_b32 s23, s5
	s_cbranch_execz .LBB241_1059
; %bb.1052:                             ;   in Loop: Header=BB241_16 Depth=1
	v_mov_b32_e32 v1, 0x80
	v_mov_b32_e32 v70, v77
	buffer_store_dword v70, off, s[0:3], s32 offset:1268 ; 4-byte Folded Spill
	buffer_store_dword v71, off, s[0:3], s32 offset:1272 ; 4-byte Folded Spill
	v_cmp_ne_u16_sdwa s5, v0, v1 src0_sel:BYTE_1 src1_sel:DWORD
	s_and_saveexec_b32 s24, s5
	s_cbranch_execz .LBB241_1058
; %bb.1053:                             ;   in Loop: Header=BB241_16 Depth=1
	s_clause 0x1
	buffer_load_dword v3, off, s[0:3], s32 offset:200
	buffer_load_dword v4, off, s[0:3], s32 offset:204
	v_mov_b32_e32 v1, 0xffff
	s_mov_b32 s25, exec_lo
	v_and_b32_sdwa v1, v1, v0 dst_sel:DWORD dst_unused:UNUSED_PAD src0_sel:DWORD src1_sel:BYTE_1
	v_and_b32_e32 v2, 0x7f, v1
	s_waitcnt vmcnt(0)
	v_mov_b32_e32 v5, v4
	v_mov_b32_e32 v4, v77
	;; [unrolled: 1-line block ×3, first 2 shown]
	buffer_store_dword v2, off, s[0:3], s32 offset:200 ; 4-byte Folded Spill
	buffer_store_dword v3, off, s[0:3], s32 offset:204 ; 4-byte Folded Spill
	;; [unrolled: 1-line block ×4, first 2 shown]
	v_cmpx_ne_u32_e32 0x7f, v2
	s_cbranch_execz .LBB241_1057
; %bb.1054:                             ;   in Loop: Header=BB241_16 Depth=1
	v_and_b32_e32 v76, 7, v1
	v_lshrrev_b32_e32 v1, 3, v2
	s_mov_b32 s26, exec_lo
	v_cmpx_gt_u32_e32 8, v2
; %bb.1055:                             ;   in Loop: Header=BB241_16 Depth=1
	v_ffbh_u32_e32 v1, v76
	v_min_u32_e32 v1, 32, v1
	v_subrev_nc_u32_e32 v2, 28, v1
	v_sub_nc_u32_e32 v1, 29, v1
	v_lshlrev_b64 v[2:3], v2, v[76:77]
	v_and_b32_e32 v76, 7, v2
; %bb.1056:                             ;   in Loop: Header=BB241_16 Depth=1
	s_or_b32 exec_lo, exec_lo, s26
	v_lshlrev_b32_e32 v2, 16, v0
	v_lshlrev_b32_e32 v3, 20, v76
	v_lshl_add_u32 v1, v1, 23, 0x3c000000
	v_and_b32_e32 v2, 0x80000000, v2
	v_or3_b32 v2, v3, v2, v1
	v_mov_b32_e32 v1, v77
	buffer_store_dword v1, off, s[0:3], s32 offset:1268 ; 4-byte Folded Spill
	buffer_store_dword v2, off, s[0:3], s32 offset:1272 ; 4-byte Folded Spill
.LBB241_1057:                           ;   in Loop: Header=BB241_16 Depth=1
	s_or_b32 exec_lo, exec_lo, s25
.LBB241_1058:                           ;   in Loop: Header=BB241_16 Depth=1
	s_or_b32 exec_lo, exec_lo, s24
.LBB241_1059:                           ;   in Loop: Header=BB241_16 Depth=1
	s_or_b32 exec_lo, exec_lo, s23
	v_mov_b32_e32 v2, 0
	v_mov_b32_e32 v3, 0
	;; [unrolled: 1-line block ×3, first 2 shown]
	s_mov_b32 s23, exec_lo
	buffer_store_dword v2, off, s[0:3], s32 offset:1276 ; 4-byte Folded Spill
	buffer_store_dword v3, off, s[0:3], s32 offset:1280 ; 4-byte Folded Spill
	v_mov_b32_e32 v2, 0
	v_and_b32_sdwa v1, v0, v1 dst_sel:DWORD dst_unused:UNUSED_PAD src0_sel:WORD_1 src1_sel:DWORD
	v_mov_b32_e32 v3, 0
	buffer_store_dword v2, off, s[0:3], s32 offset:1284 ; 4-byte Folded Spill
	buffer_store_dword v3, off, s[0:3], s32 offset:1288 ; 4-byte Folded Spill
	v_cmpx_ne_u16_e32 0, v1
	s_cbranch_execz .LBB241_1067
; %bb.1060:                             ;   in Loop: Header=BB241_16 Depth=1
	v_cmp_ne_u16_e64 s5, 0x80, v1
	v_bfrev_b32_e32 v1, 1
	v_mov_b32_e32 v2, 0
	buffer_store_dword v1, off, s[0:3], s32 offset:1284 ; 4-byte Folded Spill
	buffer_store_dword v2, off, s[0:3], s32 offset:1288 ; 4-byte Folded Spill
	s_and_saveexec_b32 s24, s5
	s_cbranch_execz .LBB241_1066
; %bb.1061:                             ;   in Loop: Header=BB241_16 Depth=1
	v_mov_b32_e32 v3, 0x7f800001
	v_bfe_u32 v2, v0, 16, 7
	v_mov_b32_e32 v4, 0
	s_mov_b32 s25, exec_lo
	buffer_store_dword v3, off, s[0:3], s32 offset:1284 ; 4-byte Folded Spill
	buffer_store_dword v4, off, s[0:3], s32 offset:1288 ; 4-byte Folded Spill
	v_cmpx_ne_u32_e32 0x7f, v2
	s_cbranch_execz .LBB241_1065
; %bb.1062:                             ;   in Loop: Header=BB241_16 Depth=1
	v_mov_b32_e32 v1, 7
	s_mov_b32 s26, exec_lo
	v_and_b32_sdwa v76, v0, v1 dst_sel:DWORD dst_unused:UNUSED_PAD src0_sel:WORD_1 src1_sel:DWORD
	v_lshrrev_b32_e32 v1, 3, v2
	v_cmpx_gt_u32_e32 8, v2
; %bb.1063:                             ;   in Loop: Header=BB241_16 Depth=1
	v_ffbh_u32_e32 v1, v76
	v_min_u32_e32 v1, 32, v1
	v_subrev_nc_u32_e32 v2, 28, v1
	v_sub_nc_u32_e32 v1, 29, v1
	v_lshlrev_b64 v[2:3], v2, v[76:77]
	v_and_b32_e32 v76, 7, v2
; %bb.1064:                             ;   in Loop: Header=BB241_16 Depth=1
	s_or_b32 exec_lo, exec_lo, s26
	v_mov_b32_e32 v2, 24
	v_lshlrev_b32_e32 v3, 20, v76
	v_lshl_add_u32 v1, v1, 23, 0x3c000000
	v_lshlrev_b32_sdwa v2, v2, v0 dst_sel:DWORD dst_unused:UNUSED_PAD src0_sel:DWORD src1_sel:WORD_1
	v_and_b32_e32 v2, 0x80000000, v2
	v_or3_b32 v76, v3, v2, v1
	buffer_store_dword v76, off, s[0:3], s32 offset:1284 ; 4-byte Folded Spill
	buffer_store_dword v77, off, s[0:3], s32 offset:1288 ; 4-byte Folded Spill
.LBB241_1065:                           ;   in Loop: Header=BB241_16 Depth=1
	s_or_b32 exec_lo, exec_lo, s25
.LBB241_1066:                           ;   in Loop: Header=BB241_16 Depth=1
	s_or_b32 exec_lo, exec_lo, s24
.LBB241_1067:                           ;   in Loop: Header=BB241_16 Depth=1
	s_or_b32 exec_lo, exec_lo, s23
	s_mov_b32 s23, exec_lo
	v_cmpx_lt_u32_e32 0xffffff, v0
	s_cbranch_execz .LBB241_1075
; %bb.1068:                             ;   in Loop: Header=BB241_16 Depth=1
	v_mov_b32_e32 v1, 0x80
	v_mov_b32_e32 v70, v77
	buffer_store_dword v70, off, s[0:3], s32 offset:1276 ; 4-byte Folded Spill
	buffer_store_dword v71, off, s[0:3], s32 offset:1280 ; 4-byte Folded Spill
	v_cmp_ne_u32_sdwa s5, v0, v1 src0_sel:BYTE_3 src1_sel:DWORD
	s_and_saveexec_b32 s24, s5
	s_cbranch_execz .LBB241_1074
; %bb.1069:                             ;   in Loop: Header=BB241_16 Depth=1
	s_clause 0x1
	buffer_load_dword v3, off, s[0:3], s32 offset:200
	buffer_load_dword v4, off, s[0:3], s32 offset:204
	v_bfe_u32 v2, v0, 24, 7
	s_waitcnt vmcnt(1)
	v_mov_b32_e32 v3, v77
	s_mov_b32 s25, exec_lo
	s_waitcnt vmcnt(0)
	v_mov_b32_e32 v1, v4
	buffer_store_dword v0, off, s[0:3], s32 offset:200 ; 4-byte Folded Spill
	buffer_store_dword v1, off, s[0:3], s32 offset:204 ; 4-byte Folded Spill
	buffer_store_dword v3, off, s[0:3], s32 offset:1276 ; 4-byte Folded Spill
	buffer_store_dword v4, off, s[0:3], s32 offset:1280 ; 4-byte Folded Spill
	v_cmpx_ne_u32_e32 0x7f, v2
	s_cbranch_execz .LBB241_1073
; %bb.1070:                             ;   in Loop: Header=BB241_16 Depth=1
	v_mov_b32_e32 v1, 7
	s_mov_b32 s26, exec_lo
	v_and_b32_sdwa v76, v0, v1 dst_sel:DWORD dst_unused:UNUSED_PAD src0_sel:BYTE_3 src1_sel:DWORD
	v_lshrrev_b32_e32 v1, 3, v2
	v_cmpx_gt_u32_e32 8, v2
; %bb.1071:                             ;   in Loop: Header=BB241_16 Depth=1
	v_ffbh_u32_e32 v1, v76
	v_min_u32_e32 v1, 32, v1
	v_subrev_nc_u32_e32 v2, 28, v1
	v_sub_nc_u32_e32 v1, 29, v1
	v_lshlrev_b64 v[2:3], v2, v[76:77]
	v_and_b32_e32 v76, 7, v2
; %bb.1072:                             ;   in Loop: Header=BB241_16 Depth=1
	s_or_b32 exec_lo, exec_lo, s26
	v_mov_b32_e32 v2, 24
	v_lshl_add_u32 v1, v1, 23, 0x3c000000
	v_lshlrev_b32_sdwa v0, v2, v0 dst_sel:DWORD dst_unused:UNUSED_PAD src0_sel:DWORD src1_sel:BYTE_3
	v_lshlrev_b32_e32 v2, 20, v76
	v_and_b32_e32 v0, 0x80000000, v0
	v_or3_b32 v1, v2, v0, v1
	v_mov_b32_e32 v0, v77
	buffer_store_dword v0, off, s[0:3], s32 offset:1276 ; 4-byte Folded Spill
	buffer_store_dword v1, off, s[0:3], s32 offset:1280 ; 4-byte Folded Spill
.LBB241_1073:                           ;   in Loop: Header=BB241_16 Depth=1
	s_or_b32 exec_lo, exec_lo, s25
.LBB241_1074:                           ;   in Loop: Header=BB241_16 Depth=1
	s_or_b32 exec_lo, exec_lo, s24
.LBB241_1075:                           ;   in Loop: Header=BB241_16 Depth=1
	s_or_b32 exec_lo, exec_lo, s23
	flat_load_dword v0, v[30:31] offset:4
	v_mov_b32_e32 v1, 0
	v_mov_b32_e32 v2, 0
	buffer_store_dword v1, off, s[0:3], s32 offset:1300 ; 4-byte Folded Spill
	buffer_store_dword v2, off, s[0:3], s32 offset:1304 ; 4-byte Folded Spill
	v_mov_b32_e32 v1, 0
	v_mov_b32_e32 v2, 0
	buffer_store_dword v1, off, s[0:3], s32 offset:1324 ; 4-byte Folded Spill
	buffer_store_dword v2, off, s[0:3], s32 offset:1328 ; 4-byte Folded Spill
	s_waitcnt vmcnt(0) lgkmcnt(0)
	v_cmp_ne_u16_sdwa s5, v0, v77 src0_sel:BYTE_0 src1_sel:DWORD
	s_and_saveexec_b32 s23, s5
	s_cbranch_execz .LBB241_1083
; %bb.1076:                             ;   in Loop: Header=BB241_16 Depth=1
	v_bfrev_b32_e32 v1, 1
	v_mov_b32_e32 v2, 0
	buffer_store_dword v1, off, s[0:3], s32 offset:1324 ; 4-byte Folded Spill
	buffer_store_dword v2, off, s[0:3], s32 offset:1328 ; 4-byte Folded Spill
	v_mov_b32_e32 v1, 0x80
	v_cmp_ne_u16_sdwa s5, v0, v1 src0_sel:BYTE_0 src1_sel:DWORD
	s_and_saveexec_b32 s24, s5
	s_cbranch_execz .LBB241_1082
; %bb.1077:                             ;   in Loop: Header=BB241_16 Depth=1
	v_mov_b32_e32 v3, 0x7f800001
	v_and_b32_e32 v2, 0x7f, v0
	v_mov_b32_e32 v4, 0
	s_mov_b32 s25, exec_lo
	buffer_store_dword v3, off, s[0:3], s32 offset:1324 ; 4-byte Folded Spill
	buffer_store_dword v4, off, s[0:3], s32 offset:1328 ; 4-byte Folded Spill
	v_cmpx_ne_u32_e32 0x7f, v2
	s_cbranch_execz .LBB241_1081
; %bb.1078:                             ;   in Loop: Header=BB241_16 Depth=1
	v_and_b32_e32 v76, 7, v0
	v_lshrrev_b32_e32 v1, 3, v2
	s_mov_b32 s26, exec_lo
	v_cmpx_gt_u32_e32 8, v2
; %bb.1079:                             ;   in Loop: Header=BB241_16 Depth=1
	v_ffbh_u32_e32 v1, v76
	v_min_u32_e32 v1, 32, v1
	v_subrev_nc_u32_e32 v2, 28, v1
	v_sub_nc_u32_e32 v1, 29, v1
	v_lshlrev_b64 v[2:3], v2, v[76:77]
	v_and_b32_e32 v76, 7, v2
; %bb.1080:                             ;   in Loop: Header=BB241_16 Depth=1
	s_or_b32 exec_lo, exec_lo, s26
	v_lshlrev_b32_e32 v2, 24, v0
	v_lshlrev_b32_e32 v3, 20, v76
	v_lshl_add_u32 v1, v1, 23, 0x3c000000
	v_and_b32_e32 v2, 0x80000000, v2
	v_or3_b32 v76, v3, v2, v1
	buffer_store_dword v76, off, s[0:3], s32 offset:1324 ; 4-byte Folded Spill
	buffer_store_dword v77, off, s[0:3], s32 offset:1328 ; 4-byte Folded Spill
.LBB241_1081:                           ;   in Loop: Header=BB241_16 Depth=1
	s_or_b32 exec_lo, exec_lo, s25
.LBB241_1082:                           ;   in Loop: Header=BB241_16 Depth=1
	s_or_b32 exec_lo, exec_lo, s24
.LBB241_1083:                           ;   in Loop: Header=BB241_16 Depth=1
	s_or_b32 exec_lo, exec_lo, s23
	v_cmp_ne_u16_sdwa s5, v0, v77 src0_sel:BYTE_1 src1_sel:DWORD
	s_and_saveexec_b32 s23, s5
	s_cbranch_execz .LBB241_1091
; %bb.1084:                             ;   in Loop: Header=BB241_16 Depth=1
	v_mov_b32_e32 v1, 0x80
	v_mov_b32_e32 v70, v77
	buffer_store_dword v70, off, s[0:3], s32 offset:1300 ; 4-byte Folded Spill
	buffer_store_dword v71, off, s[0:3], s32 offset:1304 ; 4-byte Folded Spill
	v_cmp_ne_u16_sdwa s5, v0, v1 src0_sel:BYTE_1 src1_sel:DWORD
	s_and_saveexec_b32 s24, s5
	s_cbranch_execz .LBB241_1090
; %bb.1085:                             ;   in Loop: Header=BB241_16 Depth=1
	s_clause 0x1
	buffer_load_dword v3, off, s[0:3], s32 offset:200
	buffer_load_dword v4, off, s[0:3], s32 offset:204
	v_mov_b32_e32 v1, 0xffff
	s_mov_b32 s25, exec_lo
	v_and_b32_sdwa v1, v1, v0 dst_sel:DWORD dst_unused:UNUSED_PAD src0_sel:DWORD src1_sel:BYTE_1
	v_and_b32_e32 v2, 0x7f, v1
	s_waitcnt vmcnt(0)
	v_mov_b32_e32 v5, v4
	v_mov_b32_e32 v4, v77
	;; [unrolled: 1-line block ×3, first 2 shown]
	buffer_store_dword v2, off, s[0:3], s32 offset:200 ; 4-byte Folded Spill
	buffer_store_dword v3, off, s[0:3], s32 offset:204 ; 4-byte Folded Spill
	buffer_store_dword v4, off, s[0:3], s32 offset:1300 ; 4-byte Folded Spill
	buffer_store_dword v5, off, s[0:3], s32 offset:1304 ; 4-byte Folded Spill
	v_cmpx_ne_u32_e32 0x7f, v2
	s_cbranch_execz .LBB241_1089
; %bb.1086:                             ;   in Loop: Header=BB241_16 Depth=1
	v_and_b32_e32 v76, 7, v1
	v_lshrrev_b32_e32 v1, 3, v2
	s_mov_b32 s26, exec_lo
	v_cmpx_gt_u32_e32 8, v2
; %bb.1087:                             ;   in Loop: Header=BB241_16 Depth=1
	v_ffbh_u32_e32 v1, v76
	v_min_u32_e32 v1, 32, v1
	v_subrev_nc_u32_e32 v2, 28, v1
	v_sub_nc_u32_e32 v1, 29, v1
	v_lshlrev_b64 v[2:3], v2, v[76:77]
	v_and_b32_e32 v76, 7, v2
; %bb.1088:                             ;   in Loop: Header=BB241_16 Depth=1
	s_or_b32 exec_lo, exec_lo, s26
	v_lshlrev_b32_e32 v2, 16, v0
	v_lshlrev_b32_e32 v3, 20, v76
	v_lshl_add_u32 v1, v1, 23, 0x3c000000
	v_and_b32_e32 v2, 0x80000000, v2
	v_or3_b32 v2, v3, v2, v1
	v_mov_b32_e32 v1, v77
	buffer_store_dword v1, off, s[0:3], s32 offset:1300 ; 4-byte Folded Spill
	buffer_store_dword v2, off, s[0:3], s32 offset:1304 ; 4-byte Folded Spill
.LBB241_1089:                           ;   in Loop: Header=BB241_16 Depth=1
	s_or_b32 exec_lo, exec_lo, s25
.LBB241_1090:                           ;   in Loop: Header=BB241_16 Depth=1
	s_or_b32 exec_lo, exec_lo, s24
.LBB241_1091:                           ;   in Loop: Header=BB241_16 Depth=1
	s_or_b32 exec_lo, exec_lo, s23
	v_mov_b32_e32 v2, 0
	v_mov_b32_e32 v3, 0
	;; [unrolled: 1-line block ×3, first 2 shown]
	s_mov_b32 s23, exec_lo
	buffer_store_dword v2, off, s[0:3], s32 offset:1308 ; 4-byte Folded Spill
	buffer_store_dword v3, off, s[0:3], s32 offset:1312 ; 4-byte Folded Spill
	v_mov_b32_e32 v2, 0
	v_and_b32_sdwa v1, v0, v1 dst_sel:DWORD dst_unused:UNUSED_PAD src0_sel:WORD_1 src1_sel:DWORD
	v_mov_b32_e32 v3, 0
	buffer_store_dword v2, off, s[0:3], s32 offset:1316 ; 4-byte Folded Spill
	buffer_store_dword v3, off, s[0:3], s32 offset:1320 ; 4-byte Folded Spill
	v_cmpx_ne_u16_e32 0, v1
	s_cbranch_execz .LBB241_1099
; %bb.1092:                             ;   in Loop: Header=BB241_16 Depth=1
	v_cmp_ne_u16_e64 s5, 0x80, v1
	v_bfrev_b32_e32 v1, 1
	v_mov_b32_e32 v2, 0
	buffer_store_dword v1, off, s[0:3], s32 offset:1316 ; 4-byte Folded Spill
	buffer_store_dword v2, off, s[0:3], s32 offset:1320 ; 4-byte Folded Spill
	s_and_saveexec_b32 s24, s5
	s_cbranch_execz .LBB241_1098
; %bb.1093:                             ;   in Loop: Header=BB241_16 Depth=1
	v_mov_b32_e32 v3, 0x7f800001
	v_bfe_u32 v2, v0, 16, 7
	v_mov_b32_e32 v4, 0
	s_mov_b32 s25, exec_lo
	buffer_store_dword v3, off, s[0:3], s32 offset:1316 ; 4-byte Folded Spill
	buffer_store_dword v4, off, s[0:3], s32 offset:1320 ; 4-byte Folded Spill
	v_cmpx_ne_u32_e32 0x7f, v2
	s_cbranch_execz .LBB241_1097
; %bb.1094:                             ;   in Loop: Header=BB241_16 Depth=1
	v_mov_b32_e32 v1, 7
	s_mov_b32 s26, exec_lo
	v_and_b32_sdwa v76, v0, v1 dst_sel:DWORD dst_unused:UNUSED_PAD src0_sel:WORD_1 src1_sel:DWORD
	v_lshrrev_b32_e32 v1, 3, v2
	v_cmpx_gt_u32_e32 8, v2
; %bb.1095:                             ;   in Loop: Header=BB241_16 Depth=1
	v_ffbh_u32_e32 v1, v76
	v_min_u32_e32 v1, 32, v1
	v_subrev_nc_u32_e32 v2, 28, v1
	v_sub_nc_u32_e32 v1, 29, v1
	v_lshlrev_b64 v[2:3], v2, v[76:77]
	v_and_b32_e32 v76, 7, v2
; %bb.1096:                             ;   in Loop: Header=BB241_16 Depth=1
	s_or_b32 exec_lo, exec_lo, s26
	v_mov_b32_e32 v2, 24
	v_lshlrev_b32_e32 v3, 20, v76
	v_lshl_add_u32 v1, v1, 23, 0x3c000000
	v_lshlrev_b32_sdwa v2, v2, v0 dst_sel:DWORD dst_unused:UNUSED_PAD src0_sel:DWORD src1_sel:WORD_1
	v_and_b32_e32 v2, 0x80000000, v2
	v_or3_b32 v76, v3, v2, v1
	buffer_store_dword v76, off, s[0:3], s32 offset:1316 ; 4-byte Folded Spill
	buffer_store_dword v77, off, s[0:3], s32 offset:1320 ; 4-byte Folded Spill
.LBB241_1097:                           ;   in Loop: Header=BB241_16 Depth=1
	s_or_b32 exec_lo, exec_lo, s25
.LBB241_1098:                           ;   in Loop: Header=BB241_16 Depth=1
	s_or_b32 exec_lo, exec_lo, s24
.LBB241_1099:                           ;   in Loop: Header=BB241_16 Depth=1
	s_or_b32 exec_lo, exec_lo, s23
	s_mov_b32 s23, exec_lo
	v_cmpx_lt_u32_e32 0xffffff, v0
	s_cbranch_execz .LBB241_1107
; %bb.1100:                             ;   in Loop: Header=BB241_16 Depth=1
	v_mov_b32_e32 v1, 0x80
	v_mov_b32_e32 v70, v77
	buffer_store_dword v70, off, s[0:3], s32 offset:1308 ; 4-byte Folded Spill
	buffer_store_dword v71, off, s[0:3], s32 offset:1312 ; 4-byte Folded Spill
	v_cmp_ne_u32_sdwa s5, v0, v1 src0_sel:BYTE_3 src1_sel:DWORD
	s_and_saveexec_b32 s24, s5
	s_cbranch_execz .LBB241_1106
; %bb.1101:                             ;   in Loop: Header=BB241_16 Depth=1
	s_clause 0x1
	buffer_load_dword v3, off, s[0:3], s32 offset:200
	buffer_load_dword v4, off, s[0:3], s32 offset:204
	v_bfe_u32 v2, v0, 24, 7
	s_waitcnt vmcnt(1)
	v_mov_b32_e32 v3, v77
	s_mov_b32 s25, exec_lo
	s_waitcnt vmcnt(0)
	v_mov_b32_e32 v1, v4
	buffer_store_dword v0, off, s[0:3], s32 offset:200 ; 4-byte Folded Spill
	buffer_store_dword v1, off, s[0:3], s32 offset:204 ; 4-byte Folded Spill
	;; [unrolled: 1-line block ×4, first 2 shown]
	v_cmpx_ne_u32_e32 0x7f, v2
	s_cbranch_execz .LBB241_1105
; %bb.1102:                             ;   in Loop: Header=BB241_16 Depth=1
	v_mov_b32_e32 v1, 7
	s_mov_b32 s26, exec_lo
	v_and_b32_sdwa v76, v0, v1 dst_sel:DWORD dst_unused:UNUSED_PAD src0_sel:BYTE_3 src1_sel:DWORD
	v_lshrrev_b32_e32 v1, 3, v2
	v_cmpx_gt_u32_e32 8, v2
; %bb.1103:                             ;   in Loop: Header=BB241_16 Depth=1
	v_ffbh_u32_e32 v1, v76
	v_min_u32_e32 v1, 32, v1
	v_subrev_nc_u32_e32 v2, 28, v1
	v_sub_nc_u32_e32 v1, 29, v1
	v_lshlrev_b64 v[2:3], v2, v[76:77]
	v_and_b32_e32 v76, 7, v2
; %bb.1104:                             ;   in Loop: Header=BB241_16 Depth=1
	s_or_b32 exec_lo, exec_lo, s26
	v_mov_b32_e32 v2, 24
	v_lshl_add_u32 v1, v1, 23, 0x3c000000
	v_lshlrev_b32_sdwa v0, v2, v0 dst_sel:DWORD dst_unused:UNUSED_PAD src0_sel:DWORD src1_sel:BYTE_3
	v_lshlrev_b32_e32 v2, 20, v76
	v_and_b32_e32 v0, 0x80000000, v0
	v_or3_b32 v1, v2, v0, v1
	v_mov_b32_e32 v0, v77
	buffer_store_dword v0, off, s[0:3], s32 offset:1308 ; 4-byte Folded Spill
	buffer_store_dword v1, off, s[0:3], s32 offset:1312 ; 4-byte Folded Spill
.LBB241_1105:                           ;   in Loop: Header=BB241_16 Depth=1
	s_or_b32 exec_lo, exec_lo, s25
.LBB241_1106:                           ;   in Loop: Header=BB241_16 Depth=1
	s_or_b32 exec_lo, exec_lo, s24
.LBB241_1107:                           ;   in Loop: Header=BB241_16 Depth=1
	s_or_b32 exec_lo, exec_lo, s23
	flat_load_dword v4, v[30:31] offset:8
	v_mov_b32_e32 v28, 0
	v_mov_b32_e32 v122, 0
	;; [unrolled: 1-line block ×4, first 2 shown]
	s_waitcnt vmcnt(0) lgkmcnt(0)
	v_cmp_ne_u16_sdwa s5, v4, v77 src0_sel:BYTE_0 src1_sel:DWORD
	s_and_saveexec_b32 s23, s5
	s_cbranch_execz .LBB241_1115
; %bb.1108:                             ;   in Loop: Header=BB241_16 Depth=1
	v_mov_b32_e32 v0, 0x80
	v_bfrev_b32_e32 v122, 1
	v_mov_b32_e32 v123, 0
	v_cmp_ne_u16_sdwa s5, v4, v0 src0_sel:BYTE_0 src1_sel:DWORD
	s_and_saveexec_b32 s24, s5
	s_cbranch_execz .LBB241_1114
; %bb.1109:                             ;   in Loop: Header=BB241_16 Depth=1
	v_mov_b32_e32 v122, 0x7f800001
	v_and_b32_e32 v2, 0x7f, v4
	v_mov_b32_e32 v123, 0
	s_mov_b32 s25, exec_lo
	v_cmpx_ne_u32_e32 0x7f, v2
	s_cbranch_execz .LBB241_1113
; %bb.1110:                             ;   in Loop: Header=BB241_16 Depth=1
	v_and_b32_e32 v76, 7, v4
	v_lshrrev_b32_e32 v0, 3, v2
	s_mov_b32 s26, exec_lo
	v_cmpx_gt_u32_e32 8, v2
; %bb.1111:                             ;   in Loop: Header=BB241_16 Depth=1
	v_ffbh_u32_e32 v0, v76
	v_min_u32_e32 v0, 32, v0
	v_subrev_nc_u32_e32 v1, 28, v0
	v_sub_nc_u32_e32 v0, 29, v0
	v_lshlrev_b64 v[1:2], v1, v[76:77]
	v_and_b32_e32 v76, 7, v1
; %bb.1112:                             ;   in Loop: Header=BB241_16 Depth=1
	s_or_b32 exec_lo, exec_lo, s26
	v_lshlrev_b32_e32 v1, 24, v4
	v_lshlrev_b32_e32 v2, 20, v76
	v_lshl_add_u32 v0, v0, 23, 0x3c000000
	v_and_b32_e32 v1, 0x80000000, v1
	v_or3_b32 v76, v2, v1, v0
	v_mov_b32_e32 v123, v77
	v_mov_b32_e32 v122, v76
.LBB241_1113:                           ;   in Loop: Header=BB241_16 Depth=1
	s_or_b32 exec_lo, exec_lo, s25
.LBB241_1114:                           ;   in Loop: Header=BB241_16 Depth=1
	s_or_b32 exec_lo, exec_lo, s24
.LBB241_1115:                           ;   in Loop: Header=BB241_16 Depth=1
	s_or_b32 exec_lo, exec_lo, s23
	v_cmp_ne_u16_sdwa s5, v4, v77 src0_sel:BYTE_1 src1_sel:DWORD
	s_and_saveexec_b32 s23, s5
	s_cbranch_execz .LBB241_1123
; %bb.1116:                             ;   in Loop: Header=BB241_16 Depth=1
	v_mov_b32_e32 v70, v77
	v_mov_b32_e32 v0, 0x80
	;; [unrolled: 1-line block ×3, first 2 shown]
	v_cmp_ne_u16_sdwa s5, v4, v0 src0_sel:BYTE_1 src1_sel:DWORD
	v_mov_b32_e32 v29, v71
	s_and_saveexec_b32 s24, s5
	s_cbranch_execz .LBB241_1122
; %bb.1117:                             ;   in Loop: Header=BB241_16 Depth=1
	s_clause 0x1
	buffer_load_dword v28, off, s[0:3], s32 offset:200
	buffer_load_dword v29, off, s[0:3], s32 offset:204
	v_mov_b32_e32 v0, 0xffff
	s_waitcnt vmcnt(1)
	v_mov_b32_e32 v28, v77
	s_mov_b32 s25, exec_lo
	v_and_b32_sdwa v2, v0, v4 dst_sel:DWORD dst_unused:UNUSED_PAD src0_sel:DWORD src1_sel:BYTE_1
	v_and_b32_e32 v3, 0x7f, v2
	s_waitcnt vmcnt(0)
	v_mov_b32_e32 v1, v29
	buffer_store_dword v0, off, s[0:3], s32 offset:200 ; 4-byte Folded Spill
	buffer_store_dword v1, off, s[0:3], s32 offset:204 ; 4-byte Folded Spill
	v_cmpx_ne_u32_e32 0x7f, v3
	s_cbranch_execz .LBB241_1121
; %bb.1118:                             ;   in Loop: Header=BB241_16 Depth=1
	v_and_b32_e32 v76, 7, v2
	v_lshrrev_b32_e32 v2, 3, v3
	s_mov_b32 s26, exec_lo
	v_cmpx_gt_u32_e32 8, v3
; %bb.1119:                             ;   in Loop: Header=BB241_16 Depth=1
	v_ffbh_u32_e32 v2, v76
	v_min_u32_e32 v2, 32, v2
	v_subrev_nc_u32_e32 v3, 28, v2
	v_sub_nc_u32_e32 v2, 29, v2
	v_lshlrev_b64 v[5:6], v3, v[76:77]
	v_and_b32_e32 v76, 7, v5
; %bb.1120:                             ;   in Loop: Header=BB241_16 Depth=1
	s_or_b32 exec_lo, exec_lo, s26
	v_lshlrev_b32_e32 v3, 16, v4
	v_lshlrev_b32_e32 v5, 20, v76
	v_lshl_add_u32 v2, v2, 23, 0x3c000000
	v_mov_b32_e32 v28, v77
	v_and_b32_e32 v3, 0x80000000, v3
	v_or3_b32 v29, v5, v3, v2
.LBB241_1121:                           ;   in Loop: Header=BB241_16 Depth=1
	s_or_b32 exec_lo, exec_lo, s25
.LBB241_1122:                           ;   in Loop: Header=BB241_16 Depth=1
	s_or_b32 exec_lo, exec_lo, s24
.LBB241_1123:                           ;   in Loop: Header=BB241_16 Depth=1
	s_or_b32 exec_lo, exec_lo, s23
	v_mov_b32_e32 v0, 0xff
	v_mov_b32_e32 v90, 0
	;; [unrolled: 1-line block ×3, first 2 shown]
	s_mov_b32 s23, exec_lo
	v_and_b32_sdwa v5, v4, v0 dst_sel:DWORD dst_unused:UNUSED_PAD src0_sel:WORD_1 src1_sel:DWORD
	v_mov_b32_e32 v0, 0
	v_mov_b32_e32 v1, 0
	buffer_store_dword v0, off, s[0:3], s32 offset:1332 ; 4-byte Folded Spill
	buffer_store_dword v1, off, s[0:3], s32 offset:1336 ; 4-byte Folded Spill
	v_cmpx_ne_u16_e32 0, v5
	s_cbranch_execz .LBB241_1131
; %bb.1124:                             ;   in Loop: Header=BB241_16 Depth=1
	v_bfrev_b32_e32 v0, 1
	v_mov_b32_e32 v1, 0
	s_mov_b32 s24, exec_lo
	buffer_store_dword v0, off, s[0:3], s32 offset:1332 ; 4-byte Folded Spill
	buffer_store_dword v1, off, s[0:3], s32 offset:1336 ; 4-byte Folded Spill
	v_cmpx_ne_u16_e32 0x80, v5
	s_cbranch_execz .LBB241_1130
; %bb.1125:                             ;   in Loop: Header=BB241_16 Depth=1
	v_mov_b32_e32 v0, 0x7f800001
	v_bfe_u32 v6, v4, 16, 7
	v_mov_b32_e32 v1, 0
	s_mov_b32 s25, exec_lo
	buffer_store_dword v0, off, s[0:3], s32 offset:1332 ; 4-byte Folded Spill
	buffer_store_dword v1, off, s[0:3], s32 offset:1336 ; 4-byte Folded Spill
	v_cmpx_ne_u32_e32 0x7f, v6
	s_cbranch_execz .LBB241_1129
; %bb.1126:                             ;   in Loop: Header=BB241_16 Depth=1
	v_mov_b32_e32 v0, 7
	v_lshrrev_b32_e32 v5, 3, v6
	s_mov_b32 s26, exec_lo
	v_and_b32_sdwa v76, v4, v0 dst_sel:DWORD dst_unused:UNUSED_PAD src0_sel:WORD_1 src1_sel:DWORD
	v_cmpx_gt_u32_e32 8, v6
; %bb.1127:                             ;   in Loop: Header=BB241_16 Depth=1
	v_ffbh_u32_e32 v5, v76
	v_min_u32_e32 v5, 32, v5
	v_subrev_nc_u32_e32 v6, 28, v5
	v_sub_nc_u32_e32 v5, 29, v5
	v_lshlrev_b64 v[6:7], v6, v[76:77]
	v_and_b32_e32 v76, 7, v6
; %bb.1128:                             ;   in Loop: Header=BB241_16 Depth=1
	s_or_b32 exec_lo, exec_lo, s26
	v_mov_b32_e32 v0, 24
	v_lshlrev_b32_e32 v7, 20, v76
	v_lshl_add_u32 v5, v5, 23, 0x3c000000
	v_lshlrev_b32_sdwa v6, v0, v4 dst_sel:DWORD dst_unused:UNUSED_PAD src0_sel:DWORD src1_sel:WORD_1
	v_and_b32_e32 v6, 0x80000000, v6
	v_or3_b32 v76, v7, v6, v5
	buffer_store_dword v76, off, s[0:3], s32 offset:1332 ; 4-byte Folded Spill
	buffer_store_dword v77, off, s[0:3], s32 offset:1336 ; 4-byte Folded Spill
.LBB241_1129:                           ;   in Loop: Header=BB241_16 Depth=1
	s_or_b32 exec_lo, exec_lo, s25
.LBB241_1130:                           ;   in Loop: Header=BB241_16 Depth=1
	s_or_b32 exec_lo, exec_lo, s24
.LBB241_1131:                           ;   in Loop: Header=BB241_16 Depth=1
	s_or_b32 exec_lo, exec_lo, s23
	s_mov_b32 s23, exec_lo
	v_cmpx_lt_u32_e32 0xffffff, v4
	s_cbranch_execz .LBB241_1139
; %bb.1132:                             ;   in Loop: Header=BB241_16 Depth=1
	v_mov_b32_e32 v70, v77
	v_mov_b32_e32 v0, 0x80
	;; [unrolled: 1-line block ×4, first 2 shown]
	v_cmp_ne_u32_sdwa s5, v4, v0 src0_sel:BYTE_3 src1_sel:DWORD
	s_and_saveexec_b32 s24, s5
	s_cbranch_execz .LBB241_1138
; %bb.1133:                             ;   in Loop: Header=BB241_16 Depth=1
	s_clause 0x1
	buffer_load_dword v90, off, s[0:3], s32 offset:200
	buffer_load_dword v91, off, s[0:3], s32 offset:204
	v_bfe_u32 v5, v4, 24, 7
	s_waitcnt vmcnt(1)
	v_mov_b32_e32 v90, v77
	s_mov_b32 s25, exec_lo
	s_waitcnt vmcnt(0)
	v_mov_b32_e32 v1, v91
	buffer_store_dword v0, off, s[0:3], s32 offset:200 ; 4-byte Folded Spill
	buffer_store_dword v1, off, s[0:3], s32 offset:204 ; 4-byte Folded Spill
	v_cmpx_ne_u32_e32 0x7f, v5
	s_cbranch_execz .LBB241_1137
; %bb.1134:                             ;   in Loop: Header=BB241_16 Depth=1
	v_mov_b32_e32 v0, 7
	v_lshrrev_b32_e32 v2, 3, v5
	s_mov_b32 s26, exec_lo
	v_and_b32_sdwa v76, v4, v0 dst_sel:DWORD dst_unused:UNUSED_PAD src0_sel:BYTE_3 src1_sel:DWORD
	v_cmpx_gt_u32_e32 8, v5
; %bb.1135:                             ;   in Loop: Header=BB241_16 Depth=1
	v_ffbh_u32_e32 v2, v76
	v_min_u32_e32 v2, 32, v2
	v_subrev_nc_u32_e32 v3, 28, v2
	v_sub_nc_u32_e32 v2, 29, v2
	v_lshlrev_b64 v[5:6], v3, v[76:77]
	v_and_b32_e32 v76, 7, v5
; %bb.1136:                             ;   in Loop: Header=BB241_16 Depth=1
	s_or_b32 exec_lo, exec_lo, s26
	v_mov_b32_e32 v0, 24
	v_lshl_add_u32 v2, v2, 23, 0x3c000000
	v_mov_b32_e32 v90, v77
	v_lshlrev_b32_sdwa v3, v0, v4 dst_sel:DWORD dst_unused:UNUSED_PAD src0_sel:DWORD src1_sel:BYTE_3
	v_lshlrev_b32_e32 v4, 20, v76
	v_and_b32_e32 v3, 0x80000000, v3
	v_or3_b32 v91, v4, v3, v2
.LBB241_1137:                           ;   in Loop: Header=BB241_16 Depth=1
	s_or_b32 exec_lo, exec_lo, s25
.LBB241_1138:                           ;   in Loop: Header=BB241_16 Depth=1
	s_or_b32 exec_lo, exec_lo, s24
.LBB241_1139:                           ;   in Loop: Header=BB241_16 Depth=1
	s_or_b32 exec_lo, exec_lo, s23
	flat_load_dword v4, v[30:31] offset:12
	v_mov_b32_e32 v94, 0
	v_mov_b32_e32 v114, 0
	;; [unrolled: 1-line block ×4, first 2 shown]
	s_waitcnt vmcnt(0) lgkmcnt(0)
	v_cmp_ne_u16_sdwa s5, v4, v77 src0_sel:BYTE_0 src1_sel:DWORD
	s_and_saveexec_b32 s23, s5
	s_cbranch_execz .LBB241_1147
; %bb.1140:                             ;   in Loop: Header=BB241_16 Depth=1
	v_mov_b32_e32 v0, 0x80
	v_bfrev_b32_e32 v114, 1
	v_mov_b32_e32 v115, 0
	v_cmp_ne_u16_sdwa s5, v4, v0 src0_sel:BYTE_0 src1_sel:DWORD
	s_and_saveexec_b32 s24, s5
	s_cbranch_execz .LBB241_1146
; %bb.1141:                             ;   in Loop: Header=BB241_16 Depth=1
	v_mov_b32_e32 v114, 0x7f800001
	v_and_b32_e32 v8, 0x7f, v4
	v_mov_b32_e32 v115, 0
	s_mov_b32 s25, exec_lo
	v_cmpx_ne_u32_e32 0x7f, v8
	s_cbranch_execz .LBB241_1145
; %bb.1142:                             ;   in Loop: Header=BB241_16 Depth=1
	v_and_b32_e32 v76, 7, v4
	v_lshrrev_b32_e32 v5, 3, v8
	s_mov_b32 s26, exec_lo
	v_cmpx_gt_u32_e32 8, v8
; %bb.1143:                             ;   in Loop: Header=BB241_16 Depth=1
	v_ffbh_u32_e32 v5, v76
	v_min_u32_e32 v5, 32, v5
	v_subrev_nc_u32_e32 v6, 28, v5
	v_sub_nc_u32_e32 v5, 29, v5
	v_lshlrev_b64 v[6:7], v6, v[76:77]
	v_and_b32_e32 v76, 7, v6
; %bb.1144:                             ;   in Loop: Header=BB241_16 Depth=1
	s_or_b32 exec_lo, exec_lo, s26
	v_lshlrev_b32_e32 v6, 24, v4
	v_lshlrev_b32_e32 v7, 20, v76
	v_lshl_add_u32 v5, v5, 23, 0x3c000000
	v_and_b32_e32 v6, 0x80000000, v6
	v_or3_b32 v76, v7, v6, v5
	v_mov_b32_e32 v115, v77
	v_mov_b32_e32 v114, v76
.LBB241_1145:                           ;   in Loop: Header=BB241_16 Depth=1
	s_or_b32 exec_lo, exec_lo, s25
.LBB241_1146:                           ;   in Loop: Header=BB241_16 Depth=1
	s_or_b32 exec_lo, exec_lo, s24
.LBB241_1147:                           ;   in Loop: Header=BB241_16 Depth=1
	s_or_b32 exec_lo, exec_lo, s23
	v_cmp_ne_u16_sdwa s5, v4, v77 src0_sel:BYTE_1 src1_sel:DWORD
	s_and_saveexec_b32 s23, s5
	s_cbranch_execz .LBB241_1155
; %bb.1148:                             ;   in Loop: Header=BB241_16 Depth=1
	v_mov_b32_e32 v70, v77
	v_mov_b32_e32 v0, 0x80
	;; [unrolled: 1-line block ×4, first 2 shown]
	v_cmp_ne_u16_sdwa s5, v4, v0 src0_sel:BYTE_1 src1_sel:DWORD
	s_and_saveexec_b32 s24, s5
	s_cbranch_execz .LBB241_1154
; %bb.1149:                             ;   in Loop: Header=BB241_16 Depth=1
	s_clause 0x1
	buffer_load_dword v94, off, s[0:3], s32 offset:200
	buffer_load_dword v95, off, s[0:3], s32 offset:204
	v_mov_b32_e32 v0, 0xffff
	s_waitcnt vmcnt(1)
	v_mov_b32_e32 v94, v77
	s_mov_b32 s25, exec_lo
	v_and_b32_sdwa v5, v0, v4 dst_sel:DWORD dst_unused:UNUSED_PAD src0_sel:DWORD src1_sel:BYTE_1
	v_and_b32_e32 v8, 0x7f, v5
	s_waitcnt vmcnt(0)
	v_mov_b32_e32 v1, v95
	buffer_store_dword v0, off, s[0:3], s32 offset:200 ; 4-byte Folded Spill
	buffer_store_dword v1, off, s[0:3], s32 offset:204 ; 4-byte Folded Spill
	v_cmpx_ne_u32_e32 0x7f, v8
	s_cbranch_execz .LBB241_1153
; %bb.1150:                             ;   in Loop: Header=BB241_16 Depth=1
	v_and_b32_e32 v76, 7, v5
	v_lshrrev_b32_e32 v5, 3, v8
	s_mov_b32 s26, exec_lo
	v_cmpx_gt_u32_e32 8, v8
; %bb.1151:                             ;   in Loop: Header=BB241_16 Depth=1
	v_ffbh_u32_e32 v5, v76
	v_min_u32_e32 v5, 32, v5
	v_subrev_nc_u32_e32 v8, 28, v5
	v_sub_nc_u32_e32 v5, 29, v5
	v_lshlrev_b64 v[8:9], v8, v[76:77]
	v_and_b32_e32 v76, 7, v8
; %bb.1152:                             ;   in Loop: Header=BB241_16 Depth=1
	s_or_b32 exec_lo, exec_lo, s26
	v_lshlrev_b32_e32 v8, 16, v4
	v_lshlrev_b32_e32 v9, 20, v76
	v_lshl_add_u32 v5, v5, 23, 0x3c000000
	v_mov_b32_e32 v94, v77
	v_and_b32_e32 v8, 0x80000000, v8
	v_or3_b32 v95, v9, v8, v5
.LBB241_1153:                           ;   in Loop: Header=BB241_16 Depth=1
	s_or_b32 exec_lo, exec_lo, s25
.LBB241_1154:                           ;   in Loop: Header=BB241_16 Depth=1
	s_or_b32 exec_lo, exec_lo, s24
.LBB241_1155:                           ;   in Loop: Header=BB241_16 Depth=1
	s_or_b32 exec_lo, exec_lo, s23
	v_mov_b32_e32 v0, 0xff
	v_mov_b32_e32 v64, 0
	;; [unrolled: 1-line block ×5, first 2 shown]
	v_and_b32_sdwa v5, v4, v0 dst_sel:DWORD dst_unused:UNUSED_PAD src0_sel:WORD_1 src1_sel:DWORD
	s_mov_b32 s23, exec_lo
	v_cmpx_ne_u16_e32 0, v5
	s_cbranch_execz .LBB241_1163
; %bb.1156:                             ;   in Loop: Header=BB241_16 Depth=1
	v_bfrev_b32_e32 v24, 1
	v_mov_b32_e32 v25, 0
	s_mov_b32 s24, exec_lo
	v_cmpx_ne_u16_e32 0x80, v5
	s_cbranch_execz .LBB241_1162
; %bb.1157:                             ;   in Loop: Header=BB241_16 Depth=1
	v_mov_b32_e32 v24, 0x7f800001
	v_bfe_u32 v8, v4, 16, 7
	v_mov_b32_e32 v25, 0
	s_mov_b32 s25, exec_lo
	v_cmpx_ne_u32_e32 0x7f, v8
	s_cbranch_execz .LBB241_1161
; %bb.1158:                             ;   in Loop: Header=BB241_16 Depth=1
	v_mov_b32_e32 v0, 7
	v_lshrrev_b32_e32 v5, 3, v8
	s_mov_b32 s26, exec_lo
	v_and_b32_sdwa v76, v4, v0 dst_sel:DWORD dst_unused:UNUSED_PAD src0_sel:WORD_1 src1_sel:DWORD
	v_cmpx_gt_u32_e32 8, v8
; %bb.1159:                             ;   in Loop: Header=BB241_16 Depth=1
	v_ffbh_u32_e32 v5, v76
	v_min_u32_e32 v5, 32, v5
	v_subrev_nc_u32_e32 v8, 28, v5
	v_sub_nc_u32_e32 v5, 29, v5
	v_lshlrev_b64 v[8:9], v8, v[76:77]
	v_and_b32_e32 v76, 7, v8
; %bb.1160:                             ;   in Loop: Header=BB241_16 Depth=1
	s_or_b32 exec_lo, exec_lo, s26
	v_mov_b32_e32 v0, 24
	v_lshlrev_b32_e32 v9, 20, v76
	v_lshl_add_u32 v5, v5, 23, 0x3c000000
	v_lshlrev_b32_sdwa v8, v0, v4 dst_sel:DWORD dst_unused:UNUSED_PAD src0_sel:DWORD src1_sel:WORD_1
	v_and_b32_e32 v8, 0x80000000, v8
	v_or3_b32 v76, v9, v8, v5
	v_mov_b32_e32 v24, v76
	v_mov_b32_e32 v25, v77
.LBB241_1161:                           ;   in Loop: Header=BB241_16 Depth=1
	s_or_b32 exec_lo, exec_lo, s25
.LBB241_1162:                           ;   in Loop: Header=BB241_16 Depth=1
	s_or_b32 exec_lo, exec_lo, s24
.LBB241_1163:                           ;   in Loop: Header=BB241_16 Depth=1
	s_or_b32 exec_lo, exec_lo, s23
	s_mov_b32 s23, exec_lo
	v_cmpx_lt_u32_e32 0xffffff, v4
	s_cbranch_execz .LBB241_1171
; %bb.1164:                             ;   in Loop: Header=BB241_16 Depth=1
	v_mov_b32_e32 v70, v77
	v_mov_b32_e32 v0, 0x80
	;; [unrolled: 1-line block ×3, first 2 shown]
	v_cmp_ne_u32_sdwa s5, v4, v0 src0_sel:BYTE_3 src1_sel:DWORD
	v_mov_b32_e32 v65, v71
	s_and_saveexec_b32 s24, s5
	s_cbranch_execz .LBB241_1170
; %bb.1165:                             ;   in Loop: Header=BB241_16 Depth=1
	s_clause 0x1
	buffer_load_dword v64, off, s[0:3], s32 offset:200
	buffer_load_dword v65, off, s[0:3], s32 offset:204
	v_bfe_u32 v8, v4, 24, 7
	s_waitcnt vmcnt(1)
	v_mov_b32_e32 v64, v77
	s_mov_b32 s25, exec_lo
	s_waitcnt vmcnt(0)
	v_mov_b32_e32 v1, v65
	buffer_store_dword v0, off, s[0:3], s32 offset:200 ; 4-byte Folded Spill
	buffer_store_dword v1, off, s[0:3], s32 offset:204 ; 4-byte Folded Spill
	v_cmpx_ne_u32_e32 0x7f, v8
	s_cbranch_execz .LBB241_1169
; %bb.1166:                             ;   in Loop: Header=BB241_16 Depth=1
	v_mov_b32_e32 v0, 7
	v_lshrrev_b32_e32 v5, 3, v8
	s_mov_b32 s26, exec_lo
	v_and_b32_sdwa v76, v4, v0 dst_sel:DWORD dst_unused:UNUSED_PAD src0_sel:BYTE_3 src1_sel:DWORD
	v_cmpx_gt_u32_e32 8, v8
; %bb.1167:                             ;   in Loop: Header=BB241_16 Depth=1
	v_ffbh_u32_e32 v5, v76
	v_min_u32_e32 v5, 32, v5
	v_subrev_nc_u32_e32 v8, 28, v5
	v_sub_nc_u32_e32 v5, 29, v5
	v_lshlrev_b64 v[8:9], v8, v[76:77]
	v_and_b32_e32 v76, 7, v8
; %bb.1168:                             ;   in Loop: Header=BB241_16 Depth=1
	s_or_b32 exec_lo, exec_lo, s26
	v_mov_b32_e32 v0, 24
	v_lshlrev_b32_e32 v8, 20, v76
	v_lshl_add_u32 v5, v5, 23, 0x3c000000
	v_mov_b32_e32 v64, v77
	v_lshlrev_b32_sdwa v4, v0, v4 dst_sel:DWORD dst_unused:UNUSED_PAD src0_sel:DWORD src1_sel:BYTE_3
	v_and_b32_e32 v4, 0x80000000, v4
	v_or3_b32 v65, v8, v4, v5
.LBB241_1169:                           ;   in Loop: Header=BB241_16 Depth=1
	s_or_b32 exec_lo, exec_lo, s25
.LBB241_1170:                           ;   in Loop: Header=BB241_16 Depth=1
	s_or_b32 exec_lo, exec_lo, s24
.LBB241_1171:                           ;   in Loop: Header=BB241_16 Depth=1
	s_or_b32 exec_lo, exec_lo, s23
	flat_load_dword v4, v[30:31] offset:512
	v_mov_b32_e32 v32, 0
	v_mov_b32_e32 v104, 0
	;; [unrolled: 1-line block ×4, first 2 shown]
	s_waitcnt vmcnt(0) lgkmcnt(0)
	v_cmp_ne_u16_sdwa s5, v4, v77 src0_sel:BYTE_0 src1_sel:DWORD
	s_and_saveexec_b32 s23, s5
	s_cbranch_execz .LBB241_1179
; %bb.1172:                             ;   in Loop: Header=BB241_16 Depth=1
	v_mov_b32_e32 v0, 0x80
	v_bfrev_b32_e32 v104, 1
	v_mov_b32_e32 v105, 0
	v_cmp_ne_u16_sdwa s5, v4, v0 src0_sel:BYTE_0 src1_sel:DWORD
	s_and_saveexec_b32 s24, s5
	s_cbranch_execz .LBB241_1178
; %bb.1173:                             ;   in Loop: Header=BB241_16 Depth=1
	v_mov_b32_e32 v104, 0x7f800001
	v_and_b32_e32 v8, 0x7f, v4
	v_mov_b32_e32 v105, 0
	s_mov_b32 s25, exec_lo
	v_cmpx_ne_u32_e32 0x7f, v8
	s_cbranch_execz .LBB241_1177
; %bb.1174:                             ;   in Loop: Header=BB241_16 Depth=1
	v_and_b32_e32 v76, 7, v4
	v_lshrrev_b32_e32 v5, 3, v8
	s_mov_b32 s26, exec_lo
	v_cmpx_gt_u32_e32 8, v8
; %bb.1175:                             ;   in Loop: Header=BB241_16 Depth=1
	v_ffbh_u32_e32 v5, v76
	v_min_u32_e32 v5, 32, v5
	v_subrev_nc_u32_e32 v8, 28, v5
	v_sub_nc_u32_e32 v5, 29, v5
	v_lshlrev_b64 v[8:9], v8, v[76:77]
	v_and_b32_e32 v76, 7, v8
; %bb.1176:                             ;   in Loop: Header=BB241_16 Depth=1
	s_or_b32 exec_lo, exec_lo, s26
	v_lshlrev_b32_e32 v8, 24, v4
	v_lshlrev_b32_e32 v9, 20, v76
	v_lshl_add_u32 v5, v5, 23, 0x3c000000
	v_and_b32_e32 v8, 0x80000000, v8
	v_or3_b32 v76, v9, v8, v5
	v_mov_b32_e32 v105, v77
	v_mov_b32_e32 v104, v76
.LBB241_1177:                           ;   in Loop: Header=BB241_16 Depth=1
	s_or_b32 exec_lo, exec_lo, s25
.LBB241_1178:                           ;   in Loop: Header=BB241_16 Depth=1
	s_or_b32 exec_lo, exec_lo, s24
.LBB241_1179:                           ;   in Loop: Header=BB241_16 Depth=1
	s_or_b32 exec_lo, exec_lo, s23
	v_cmp_ne_u16_sdwa s5, v4, v77 src0_sel:BYTE_1 src1_sel:DWORD
	s_and_saveexec_b32 s23, s5
	s_cbranch_execz .LBB241_1187
; %bb.1180:                             ;   in Loop: Header=BB241_16 Depth=1
	v_mov_b32_e32 v70, v77
	v_mov_b32_e32 v0, 0x80
	;; [unrolled: 1-line block ×3, first 2 shown]
	v_cmp_ne_u16_sdwa s5, v4, v0 src0_sel:BYTE_1 src1_sel:DWORD
	v_mov_b32_e32 v33, v71
	s_and_saveexec_b32 s24, s5
	s_cbranch_execz .LBB241_1186
; %bb.1181:                             ;   in Loop: Header=BB241_16 Depth=1
	s_clause 0x1
	buffer_load_dword v32, off, s[0:3], s32 offset:200
	buffer_load_dword v33, off, s[0:3], s32 offset:204
	v_mov_b32_e32 v0, 0xffff
	s_waitcnt vmcnt(1)
	v_mov_b32_e32 v32, v77
	s_mov_b32 s25, exec_lo
	v_and_b32_sdwa v5, v0, v4 dst_sel:DWORD dst_unused:UNUSED_PAD src0_sel:DWORD src1_sel:BYTE_1
	v_and_b32_e32 v8, 0x7f, v5
	s_waitcnt vmcnt(0)
	v_mov_b32_e32 v1, v33
	buffer_store_dword v0, off, s[0:3], s32 offset:200 ; 4-byte Folded Spill
	buffer_store_dword v1, off, s[0:3], s32 offset:204 ; 4-byte Folded Spill
	v_cmpx_ne_u32_e32 0x7f, v8
	s_cbranch_execz .LBB241_1185
; %bb.1182:                             ;   in Loop: Header=BB241_16 Depth=1
	v_and_b32_e32 v76, 7, v5
	v_lshrrev_b32_e32 v5, 3, v8
	s_mov_b32 s26, exec_lo
	v_cmpx_gt_u32_e32 8, v8
; %bb.1183:                             ;   in Loop: Header=BB241_16 Depth=1
	v_ffbh_u32_e32 v5, v76
	v_min_u32_e32 v5, 32, v5
	v_subrev_nc_u32_e32 v8, 28, v5
	v_sub_nc_u32_e32 v5, 29, v5
	v_lshlrev_b64 v[8:9], v8, v[76:77]
	v_and_b32_e32 v76, 7, v8
; %bb.1184:                             ;   in Loop: Header=BB241_16 Depth=1
	s_or_b32 exec_lo, exec_lo, s26
	v_lshlrev_b32_e32 v8, 16, v4
	v_lshlrev_b32_e32 v9, 20, v76
	v_lshl_add_u32 v5, v5, 23, 0x3c000000
	v_mov_b32_e32 v32, v77
	v_and_b32_e32 v8, 0x80000000, v8
	v_or3_b32 v33, v9, v8, v5
.LBB241_1185:                           ;   in Loop: Header=BB241_16 Depth=1
	s_or_b32 exec_lo, exec_lo, s25
.LBB241_1186:                           ;   in Loop: Header=BB241_16 Depth=1
	s_or_b32 exec_lo, exec_lo, s24
.LBB241_1187:                           ;   in Loop: Header=BB241_16 Depth=1
	s_or_b32 exec_lo, exec_lo, s23
	v_mov_b32_e32 v0, 0xff
	v_mov_b32_e32 v80, 0
	;; [unrolled: 1-line block ×5, first 2 shown]
	v_and_b32_sdwa v5, v4, v0 dst_sel:DWORD dst_unused:UNUSED_PAD src0_sel:WORD_1 src1_sel:DWORD
	s_mov_b32 s23, exec_lo
	v_cmpx_ne_u16_e32 0, v5
	s_cbranch_execz .LBB241_1195
; %bb.1188:                             ;   in Loop: Header=BB241_16 Depth=1
	v_bfrev_b32_e32 v36, 1
	v_mov_b32_e32 v37, 0
	s_mov_b32 s24, exec_lo
	v_cmpx_ne_u16_e32 0x80, v5
	s_cbranch_execz .LBB241_1194
; %bb.1189:                             ;   in Loop: Header=BB241_16 Depth=1
	v_mov_b32_e32 v36, 0x7f800001
	v_bfe_u32 v8, v4, 16, 7
	v_mov_b32_e32 v37, 0
	s_mov_b32 s25, exec_lo
	v_cmpx_ne_u32_e32 0x7f, v8
	s_cbranch_execz .LBB241_1193
; %bb.1190:                             ;   in Loop: Header=BB241_16 Depth=1
	v_mov_b32_e32 v0, 7
	v_lshrrev_b32_e32 v5, 3, v8
	s_mov_b32 s26, exec_lo
	v_and_b32_sdwa v76, v4, v0 dst_sel:DWORD dst_unused:UNUSED_PAD src0_sel:WORD_1 src1_sel:DWORD
	v_cmpx_gt_u32_e32 8, v8
; %bb.1191:                             ;   in Loop: Header=BB241_16 Depth=1
	v_ffbh_u32_e32 v5, v76
	v_min_u32_e32 v5, 32, v5
	v_subrev_nc_u32_e32 v8, 28, v5
	v_sub_nc_u32_e32 v5, 29, v5
	v_lshlrev_b64 v[8:9], v8, v[76:77]
	v_and_b32_e32 v76, 7, v8
; %bb.1192:                             ;   in Loop: Header=BB241_16 Depth=1
	s_or_b32 exec_lo, exec_lo, s26
	v_mov_b32_e32 v0, 24
	v_lshlrev_b32_e32 v9, 20, v76
	v_lshl_add_u32 v5, v5, 23, 0x3c000000
	v_lshlrev_b32_sdwa v8, v0, v4 dst_sel:DWORD dst_unused:UNUSED_PAD src0_sel:DWORD src1_sel:WORD_1
	v_and_b32_e32 v8, 0x80000000, v8
	v_or3_b32 v76, v9, v8, v5
	v_mov_b32_e32 v36, v76
	v_mov_b32_e32 v37, v77
.LBB241_1193:                           ;   in Loop: Header=BB241_16 Depth=1
	s_or_b32 exec_lo, exec_lo, s25
.LBB241_1194:                           ;   in Loop: Header=BB241_16 Depth=1
	s_or_b32 exec_lo, exec_lo, s24
.LBB241_1195:                           ;   in Loop: Header=BB241_16 Depth=1
	s_or_b32 exec_lo, exec_lo, s23
	s_mov_b32 s23, exec_lo
	v_cmpx_lt_u32_e32 0xffffff, v4
	s_cbranch_execz .LBB241_1203
; %bb.1196:                             ;   in Loop: Header=BB241_16 Depth=1
	v_mov_b32_e32 v70, v77
	v_mov_b32_e32 v0, 0x80
	;; [unrolled: 1-line block ×4, first 2 shown]
	v_cmp_ne_u32_sdwa s5, v4, v0 src0_sel:BYTE_3 src1_sel:DWORD
	s_and_saveexec_b32 s24, s5
	s_cbranch_execz .LBB241_1202
; %bb.1197:                             ;   in Loop: Header=BB241_16 Depth=1
	s_clause 0x1
	buffer_load_dword v80, off, s[0:3], s32 offset:200
	buffer_load_dword v81, off, s[0:3], s32 offset:204
	v_bfe_u32 v8, v4, 24, 7
	s_waitcnt vmcnt(1)
	v_mov_b32_e32 v80, v77
	s_mov_b32 s25, exec_lo
	s_waitcnt vmcnt(0)
	v_mov_b32_e32 v1, v81
	buffer_store_dword v0, off, s[0:3], s32 offset:200 ; 4-byte Folded Spill
	buffer_store_dword v1, off, s[0:3], s32 offset:204 ; 4-byte Folded Spill
	v_cmpx_ne_u32_e32 0x7f, v8
	s_cbranch_execz .LBB241_1201
; %bb.1198:                             ;   in Loop: Header=BB241_16 Depth=1
	v_mov_b32_e32 v0, 7
	v_lshrrev_b32_e32 v5, 3, v8
	s_mov_b32 s26, exec_lo
	v_and_b32_sdwa v76, v4, v0 dst_sel:DWORD dst_unused:UNUSED_PAD src0_sel:BYTE_3 src1_sel:DWORD
	v_cmpx_gt_u32_e32 8, v8
; %bb.1199:                             ;   in Loop: Header=BB241_16 Depth=1
	v_ffbh_u32_e32 v5, v76
	v_min_u32_e32 v5, 32, v5
	v_subrev_nc_u32_e32 v8, 28, v5
	v_sub_nc_u32_e32 v5, 29, v5
	v_lshlrev_b64 v[8:9], v8, v[76:77]
	v_and_b32_e32 v76, 7, v8
; %bb.1200:                             ;   in Loop: Header=BB241_16 Depth=1
	s_or_b32 exec_lo, exec_lo, s26
	v_mov_b32_e32 v0, 24
	v_lshlrev_b32_e32 v8, 20, v76
	v_lshl_add_u32 v5, v5, 23, 0x3c000000
	v_mov_b32_e32 v80, v77
	v_lshlrev_b32_sdwa v4, v0, v4 dst_sel:DWORD dst_unused:UNUSED_PAD src0_sel:DWORD src1_sel:BYTE_3
	v_and_b32_e32 v4, 0x80000000, v4
	v_or3_b32 v81, v8, v4, v5
.LBB241_1201:                           ;   in Loop: Header=BB241_16 Depth=1
	s_or_b32 exec_lo, exec_lo, s25
.LBB241_1202:                           ;   in Loop: Header=BB241_16 Depth=1
	s_or_b32 exec_lo, exec_lo, s24
.LBB241_1203:                           ;   in Loop: Header=BB241_16 Depth=1
	s_or_b32 exec_lo, exec_lo, s23
	flat_load_dword v4, v[30:31] offset:516
	v_mov_b32_e32 v44, 0
	v_mov_b32_e32 v50, 0
	;; [unrolled: 1-line block ×4, first 2 shown]
	s_waitcnt vmcnt(0) lgkmcnt(0)
	v_cmp_ne_u16_sdwa s5, v4, v77 src0_sel:BYTE_0 src1_sel:DWORD
	s_and_saveexec_b32 s23, s5
	s_cbranch_execz .LBB241_1211
; %bb.1204:                             ;   in Loop: Header=BB241_16 Depth=1
	v_mov_b32_e32 v0, 0x80
	v_bfrev_b32_e32 v50, 1
	v_mov_b32_e32 v51, 0
	v_cmp_ne_u16_sdwa s5, v4, v0 src0_sel:BYTE_0 src1_sel:DWORD
	s_and_saveexec_b32 s24, s5
	s_cbranch_execz .LBB241_1210
; %bb.1205:                             ;   in Loop: Header=BB241_16 Depth=1
	v_mov_b32_e32 v50, 0x7f800001
	v_and_b32_e32 v8, 0x7f, v4
	v_mov_b32_e32 v51, 0
	s_mov_b32 s25, exec_lo
	v_cmpx_ne_u32_e32 0x7f, v8
	s_cbranch_execz .LBB241_1209
; %bb.1206:                             ;   in Loop: Header=BB241_16 Depth=1
	v_and_b32_e32 v76, 7, v4
	v_lshrrev_b32_e32 v5, 3, v8
	s_mov_b32 s26, exec_lo
	v_cmpx_gt_u32_e32 8, v8
; %bb.1207:                             ;   in Loop: Header=BB241_16 Depth=1
	v_ffbh_u32_e32 v5, v76
	v_min_u32_e32 v5, 32, v5
	v_subrev_nc_u32_e32 v8, 28, v5
	v_sub_nc_u32_e32 v5, 29, v5
	v_lshlrev_b64 v[8:9], v8, v[76:77]
	v_and_b32_e32 v76, 7, v8
; %bb.1208:                             ;   in Loop: Header=BB241_16 Depth=1
	s_or_b32 exec_lo, exec_lo, s26
	v_lshlrev_b32_e32 v8, 24, v4
	v_lshlrev_b32_e32 v9, 20, v76
	v_lshl_add_u32 v5, v5, 23, 0x3c000000
	v_and_b32_e32 v8, 0x80000000, v8
	v_or3_b32 v76, v9, v8, v5
	v_mov_b32_e32 v50, v76
	v_mov_b32_e32 v51, v77
.LBB241_1209:                           ;   in Loop: Header=BB241_16 Depth=1
	s_or_b32 exec_lo, exec_lo, s25
.LBB241_1210:                           ;   in Loop: Header=BB241_16 Depth=1
	s_or_b32 exec_lo, exec_lo, s24
.LBB241_1211:                           ;   in Loop: Header=BB241_16 Depth=1
	s_or_b32 exec_lo, exec_lo, s23
	v_cmp_ne_u16_sdwa s5, v4, v77 src0_sel:BYTE_1 src1_sel:DWORD
	s_and_saveexec_b32 s23, s5
	s_cbranch_execz .LBB241_1219
; %bb.1212:                             ;   in Loop: Header=BB241_16 Depth=1
	v_mov_b32_e32 v70, v77
	v_mov_b32_e32 v0, 0x80
	;; [unrolled: 1-line block ×3, first 2 shown]
	v_cmp_ne_u16_sdwa s5, v4, v0 src0_sel:BYTE_1 src1_sel:DWORD
	v_mov_b32_e32 v45, v71
	s_and_saveexec_b32 s24, s5
	s_cbranch_execz .LBB241_1218
; %bb.1213:                             ;   in Loop: Header=BB241_16 Depth=1
	s_clause 0x1
	buffer_load_dword v44, off, s[0:3], s32 offset:200
	buffer_load_dword v45, off, s[0:3], s32 offset:204
	v_mov_b32_e32 v0, 0xffff
	s_waitcnt vmcnt(1)
	v_mov_b32_e32 v44, v77
	s_mov_b32 s25, exec_lo
	v_and_b32_sdwa v5, v0, v4 dst_sel:DWORD dst_unused:UNUSED_PAD src0_sel:DWORD src1_sel:BYTE_1
	v_and_b32_e32 v8, 0x7f, v5
	s_waitcnt vmcnt(0)
	v_mov_b32_e32 v1, v45
	buffer_store_dword v0, off, s[0:3], s32 offset:200 ; 4-byte Folded Spill
	buffer_store_dword v1, off, s[0:3], s32 offset:204 ; 4-byte Folded Spill
	v_cmpx_ne_u32_e32 0x7f, v8
	s_cbranch_execz .LBB241_1217
; %bb.1214:                             ;   in Loop: Header=BB241_16 Depth=1
	v_and_b32_e32 v76, 7, v5
	v_lshrrev_b32_e32 v5, 3, v8
	s_mov_b32 s26, exec_lo
	v_cmpx_gt_u32_e32 8, v8
; %bb.1215:                             ;   in Loop: Header=BB241_16 Depth=1
	v_ffbh_u32_e32 v5, v76
	v_min_u32_e32 v5, 32, v5
	v_subrev_nc_u32_e32 v8, 28, v5
	v_sub_nc_u32_e32 v5, 29, v5
	v_lshlrev_b64 v[8:9], v8, v[76:77]
	v_and_b32_e32 v76, 7, v8
; %bb.1216:                             ;   in Loop: Header=BB241_16 Depth=1
	s_or_b32 exec_lo, exec_lo, s26
	v_lshlrev_b32_e32 v8, 16, v4
	v_lshlrev_b32_e32 v9, 20, v76
	v_lshl_add_u32 v5, v5, 23, 0x3c000000
	v_mov_b32_e32 v44, v77
	v_and_b32_e32 v8, 0x80000000, v8
	v_or3_b32 v45, v9, v8, v5
.LBB241_1217:                           ;   in Loop: Header=BB241_16 Depth=1
	s_or_b32 exec_lo, exec_lo, s25
.LBB241_1218:                           ;   in Loop: Header=BB241_16 Depth=1
	s_or_b32 exec_lo, exec_lo, s24
.LBB241_1219:                           ;   in Loop: Header=BB241_16 Depth=1
	s_or_b32 exec_lo, exec_lo, s23
	v_mov_b32_e32 v0, 0xff
	v_mov_b32_e32 v124, 0
	;; [unrolled: 1-line block ×5, first 2 shown]
	v_and_b32_sdwa v5, v4, v0 dst_sel:DWORD dst_unused:UNUSED_PAD src0_sel:WORD_1 src1_sel:DWORD
	s_mov_b32 s23, exec_lo
	v_cmpx_ne_u16_e32 0, v5
	s_cbranch_execz .LBB241_1227
; %bb.1220:                             ;   in Loop: Header=BB241_16 Depth=1
	v_bfrev_b32_e32 v106, 1
	v_mov_b32_e32 v107, 0
	s_mov_b32 s24, exec_lo
	v_cmpx_ne_u16_e32 0x80, v5
	s_cbranch_execz .LBB241_1226
; %bb.1221:                             ;   in Loop: Header=BB241_16 Depth=1
	v_mov_b32_e32 v106, 0x7f800001
	v_bfe_u32 v8, v4, 16, 7
	v_mov_b32_e32 v107, 0
	s_mov_b32 s25, exec_lo
	v_cmpx_ne_u32_e32 0x7f, v8
	s_cbranch_execz .LBB241_1225
; %bb.1222:                             ;   in Loop: Header=BB241_16 Depth=1
	v_mov_b32_e32 v0, 7
	v_lshrrev_b32_e32 v5, 3, v8
	s_mov_b32 s26, exec_lo
	v_and_b32_sdwa v76, v4, v0 dst_sel:DWORD dst_unused:UNUSED_PAD src0_sel:WORD_1 src1_sel:DWORD
	v_cmpx_gt_u32_e32 8, v8
; %bb.1223:                             ;   in Loop: Header=BB241_16 Depth=1
	v_ffbh_u32_e32 v5, v76
	v_min_u32_e32 v5, 32, v5
	v_subrev_nc_u32_e32 v8, 28, v5
	v_sub_nc_u32_e32 v5, 29, v5
	v_lshlrev_b64 v[8:9], v8, v[76:77]
	v_and_b32_e32 v76, 7, v8
; %bb.1224:                             ;   in Loop: Header=BB241_16 Depth=1
	s_or_b32 exec_lo, exec_lo, s26
	v_mov_b32_e32 v0, 24
	v_lshlrev_b32_e32 v9, 20, v76
	v_lshl_add_u32 v5, v5, 23, 0x3c000000
	v_lshlrev_b32_sdwa v8, v0, v4 dst_sel:DWORD dst_unused:UNUSED_PAD src0_sel:DWORD src1_sel:WORD_1
	v_and_b32_e32 v8, 0x80000000, v8
	v_or3_b32 v76, v9, v8, v5
	v_mov_b32_e32 v107, v77
	v_mov_b32_e32 v106, v76
.LBB241_1225:                           ;   in Loop: Header=BB241_16 Depth=1
	s_or_b32 exec_lo, exec_lo, s25
.LBB241_1226:                           ;   in Loop: Header=BB241_16 Depth=1
	s_or_b32 exec_lo, exec_lo, s24
.LBB241_1227:                           ;   in Loop: Header=BB241_16 Depth=1
	s_or_b32 exec_lo, exec_lo, s23
	s_mov_b32 s23, exec_lo
	v_cmpx_lt_u32_e32 0xffffff, v4
	s_cbranch_execz .LBB241_1235
; %bb.1228:                             ;   in Loop: Header=BB241_16 Depth=1
	v_mov_b32_e32 v70, v77
	v_mov_b32_e32 v0, 0x80
	;; [unrolled: 1-line block ×4, first 2 shown]
	v_cmp_ne_u32_sdwa s5, v4, v0 src0_sel:BYTE_3 src1_sel:DWORD
	s_and_saveexec_b32 s24, s5
	s_cbranch_execz .LBB241_1234
; %bb.1229:                             ;   in Loop: Header=BB241_16 Depth=1
	s_clause 0x1
	buffer_load_dword v124, off, s[0:3], s32 offset:200
	buffer_load_dword v125, off, s[0:3], s32 offset:204
	v_bfe_u32 v8, v4, 24, 7
	s_waitcnt vmcnt(1)
	v_mov_b32_e32 v124, v77
	s_mov_b32 s25, exec_lo
	s_waitcnt vmcnt(0)
	v_mov_b32_e32 v1, v125
	buffer_store_dword v0, off, s[0:3], s32 offset:200 ; 4-byte Folded Spill
	buffer_store_dword v1, off, s[0:3], s32 offset:204 ; 4-byte Folded Spill
	v_cmpx_ne_u32_e32 0x7f, v8
	s_cbranch_execz .LBB241_1233
; %bb.1230:                             ;   in Loop: Header=BB241_16 Depth=1
	v_mov_b32_e32 v0, 7
	v_lshrrev_b32_e32 v5, 3, v8
	s_mov_b32 s26, exec_lo
	v_and_b32_sdwa v76, v4, v0 dst_sel:DWORD dst_unused:UNUSED_PAD src0_sel:BYTE_3 src1_sel:DWORD
	v_cmpx_gt_u32_e32 8, v8
; %bb.1231:                             ;   in Loop: Header=BB241_16 Depth=1
	v_ffbh_u32_e32 v5, v76
	v_min_u32_e32 v5, 32, v5
	v_subrev_nc_u32_e32 v8, 28, v5
	v_sub_nc_u32_e32 v5, 29, v5
	v_lshlrev_b64 v[8:9], v8, v[76:77]
	v_and_b32_e32 v76, 7, v8
; %bb.1232:                             ;   in Loop: Header=BB241_16 Depth=1
	s_or_b32 exec_lo, exec_lo, s26
	v_mov_b32_e32 v0, 24
	v_lshlrev_b32_e32 v8, 20, v76
	v_lshl_add_u32 v5, v5, 23, 0x3c000000
	v_mov_b32_e32 v124, v77
	v_lshlrev_b32_sdwa v4, v0, v4 dst_sel:DWORD dst_unused:UNUSED_PAD src0_sel:DWORD src1_sel:BYTE_3
	v_and_b32_e32 v4, 0x80000000, v4
	v_or3_b32 v125, v8, v4, v5
.LBB241_1233:                           ;   in Loop: Header=BB241_16 Depth=1
	s_or_b32 exec_lo, exec_lo, s25
.LBB241_1234:                           ;   in Loop: Header=BB241_16 Depth=1
	s_or_b32 exec_lo, exec_lo, s24
.LBB241_1235:                           ;   in Loop: Header=BB241_16 Depth=1
	s_or_b32 exec_lo, exec_lo, s23
	flat_load_dword v4, v[30:31] offset:520
	v_mov_b32_e32 v52, 0
	v_mov_b32_e32 v112, 0
	;; [unrolled: 1-line block ×4, first 2 shown]
	s_waitcnt vmcnt(0) lgkmcnt(0)
	v_cmp_ne_u16_sdwa s5, v4, v77 src0_sel:BYTE_0 src1_sel:DWORD
	s_and_saveexec_b32 s23, s5
	s_cbranch_execz .LBB241_1243
; %bb.1236:                             ;   in Loop: Header=BB241_16 Depth=1
	v_mov_b32_e32 v0, 0x80
	v_bfrev_b32_e32 v112, 1
	v_mov_b32_e32 v113, 0
	v_cmp_ne_u16_sdwa s5, v4, v0 src0_sel:BYTE_0 src1_sel:DWORD
	s_and_saveexec_b32 s24, s5
	s_cbranch_execz .LBB241_1242
; %bb.1237:                             ;   in Loop: Header=BB241_16 Depth=1
	v_mov_b32_e32 v112, 0x7f800001
	v_and_b32_e32 v8, 0x7f, v4
	v_mov_b32_e32 v113, 0
	s_mov_b32 s25, exec_lo
	v_cmpx_ne_u32_e32 0x7f, v8
	s_cbranch_execz .LBB241_1241
; %bb.1238:                             ;   in Loop: Header=BB241_16 Depth=1
	v_and_b32_e32 v76, 7, v4
	v_lshrrev_b32_e32 v5, 3, v8
	s_mov_b32 s26, exec_lo
	v_cmpx_gt_u32_e32 8, v8
; %bb.1239:                             ;   in Loop: Header=BB241_16 Depth=1
	v_ffbh_u32_e32 v5, v76
	v_min_u32_e32 v5, 32, v5
	v_subrev_nc_u32_e32 v8, 28, v5
	v_sub_nc_u32_e32 v5, 29, v5
	v_lshlrev_b64 v[8:9], v8, v[76:77]
	v_and_b32_e32 v76, 7, v8
; %bb.1240:                             ;   in Loop: Header=BB241_16 Depth=1
	s_or_b32 exec_lo, exec_lo, s26
	v_lshlrev_b32_e32 v8, 24, v4
	v_lshlrev_b32_e32 v9, 20, v76
	v_lshl_add_u32 v5, v5, 23, 0x3c000000
	v_and_b32_e32 v8, 0x80000000, v8
	v_or3_b32 v76, v9, v8, v5
	v_mov_b32_e32 v113, v77
	v_mov_b32_e32 v112, v76
.LBB241_1241:                           ;   in Loop: Header=BB241_16 Depth=1
	s_or_b32 exec_lo, exec_lo, s25
.LBB241_1242:                           ;   in Loop: Header=BB241_16 Depth=1
	s_or_b32 exec_lo, exec_lo, s24
.LBB241_1243:                           ;   in Loop: Header=BB241_16 Depth=1
	s_or_b32 exec_lo, exec_lo, s23
	v_cmp_ne_u16_sdwa s5, v4, v77 src0_sel:BYTE_1 src1_sel:DWORD
	s_and_saveexec_b32 s23, s5
	s_cbranch_execz .LBB241_1251
; %bb.1244:                             ;   in Loop: Header=BB241_16 Depth=1
	v_mov_b32_e32 v70, v77
	v_mov_b32_e32 v0, 0x80
	;; [unrolled: 1-line block ×3, first 2 shown]
	v_cmp_ne_u16_sdwa s5, v4, v0 src0_sel:BYTE_1 src1_sel:DWORD
	v_mov_b32_e32 v53, v71
	s_and_saveexec_b32 s24, s5
	s_cbranch_execz .LBB241_1250
; %bb.1245:                             ;   in Loop: Header=BB241_16 Depth=1
	s_clause 0x1
	buffer_load_dword v52, off, s[0:3], s32 offset:200
	buffer_load_dword v53, off, s[0:3], s32 offset:204
	v_mov_b32_e32 v0, 0xffff
	s_waitcnt vmcnt(1)
	v_mov_b32_e32 v52, v77
	s_mov_b32 s25, exec_lo
	v_and_b32_sdwa v5, v0, v4 dst_sel:DWORD dst_unused:UNUSED_PAD src0_sel:DWORD src1_sel:BYTE_1
	v_and_b32_e32 v8, 0x7f, v5
	s_waitcnt vmcnt(0)
	v_mov_b32_e32 v1, v53
	buffer_store_dword v0, off, s[0:3], s32 offset:200 ; 4-byte Folded Spill
	buffer_store_dword v1, off, s[0:3], s32 offset:204 ; 4-byte Folded Spill
	v_cmpx_ne_u32_e32 0x7f, v8
	s_cbranch_execz .LBB241_1249
; %bb.1246:                             ;   in Loop: Header=BB241_16 Depth=1
	v_and_b32_e32 v76, 7, v5
	v_lshrrev_b32_e32 v5, 3, v8
	s_mov_b32 s26, exec_lo
	v_cmpx_gt_u32_e32 8, v8
; %bb.1247:                             ;   in Loop: Header=BB241_16 Depth=1
	v_ffbh_u32_e32 v5, v76
	v_min_u32_e32 v5, 32, v5
	v_subrev_nc_u32_e32 v8, 28, v5
	v_sub_nc_u32_e32 v5, 29, v5
	v_lshlrev_b64 v[8:9], v8, v[76:77]
	v_and_b32_e32 v76, 7, v8
; %bb.1248:                             ;   in Loop: Header=BB241_16 Depth=1
	s_or_b32 exec_lo, exec_lo, s26
	v_lshlrev_b32_e32 v8, 16, v4
	v_lshlrev_b32_e32 v9, 20, v76
	v_lshl_add_u32 v5, v5, 23, 0x3c000000
	v_mov_b32_e32 v52, v77
	v_and_b32_e32 v8, 0x80000000, v8
	v_or3_b32 v53, v9, v8, v5
.LBB241_1249:                           ;   in Loop: Header=BB241_16 Depth=1
	s_or_b32 exec_lo, exec_lo, s25
.LBB241_1250:                           ;   in Loop: Header=BB241_16 Depth=1
	s_or_b32 exec_lo, exec_lo, s24
.LBB241_1251:                           ;   in Loop: Header=BB241_16 Depth=1
	s_or_b32 exec_lo, exec_lo, s23
	v_mov_b32_e32 v0, 0xff
	v_mov_b32_e32 v34, 0
	;; [unrolled: 1-line block ×5, first 2 shown]
	v_and_b32_sdwa v5, v4, v0 dst_sel:DWORD dst_unused:UNUSED_PAD src0_sel:WORD_1 src1_sel:DWORD
	s_mov_b32 s23, exec_lo
	v_cmpx_ne_u16_e32 0, v5
	s_cbranch_execz .LBB241_1259
; %bb.1252:                             ;   in Loop: Header=BB241_16 Depth=1
	v_bfrev_b32_e32 v16, 1
	v_mov_b32_e32 v17, 0
	s_mov_b32 s24, exec_lo
	v_cmpx_ne_u16_e32 0x80, v5
	s_cbranch_execz .LBB241_1258
; %bb.1253:                             ;   in Loop: Header=BB241_16 Depth=1
	v_mov_b32_e32 v16, 0x7f800001
	v_bfe_u32 v8, v4, 16, 7
	v_mov_b32_e32 v17, 0
	s_mov_b32 s25, exec_lo
	v_cmpx_ne_u32_e32 0x7f, v8
	s_cbranch_execz .LBB241_1257
; %bb.1254:                             ;   in Loop: Header=BB241_16 Depth=1
	v_mov_b32_e32 v0, 7
	v_lshrrev_b32_e32 v5, 3, v8
	s_mov_b32 s26, exec_lo
	v_and_b32_sdwa v76, v4, v0 dst_sel:DWORD dst_unused:UNUSED_PAD src0_sel:WORD_1 src1_sel:DWORD
	v_cmpx_gt_u32_e32 8, v8
; %bb.1255:                             ;   in Loop: Header=BB241_16 Depth=1
	v_ffbh_u32_e32 v5, v76
	v_min_u32_e32 v5, 32, v5
	v_subrev_nc_u32_e32 v8, 28, v5
	v_sub_nc_u32_e32 v5, 29, v5
	v_lshlrev_b64 v[8:9], v8, v[76:77]
	v_and_b32_e32 v76, 7, v8
; %bb.1256:                             ;   in Loop: Header=BB241_16 Depth=1
	s_or_b32 exec_lo, exec_lo, s26
	v_mov_b32_e32 v0, 24
	v_lshlrev_b32_e32 v9, 20, v76
	v_lshl_add_u32 v5, v5, 23, 0x3c000000
	v_lshlrev_b32_sdwa v8, v0, v4 dst_sel:DWORD dst_unused:UNUSED_PAD src0_sel:DWORD src1_sel:WORD_1
	v_and_b32_e32 v8, 0x80000000, v8
	v_or3_b32 v76, v9, v8, v5
	v_mov_b32_e32 v16, v76
	v_mov_b32_e32 v17, v77
.LBB241_1257:                           ;   in Loop: Header=BB241_16 Depth=1
	s_or_b32 exec_lo, exec_lo, s25
.LBB241_1258:                           ;   in Loop: Header=BB241_16 Depth=1
	s_or_b32 exec_lo, exec_lo, s24
.LBB241_1259:                           ;   in Loop: Header=BB241_16 Depth=1
	s_or_b32 exec_lo, exec_lo, s23
	s_mov_b32 s23, exec_lo
	v_cmpx_lt_u32_e32 0xffffff, v4
	s_cbranch_execz .LBB241_1267
; %bb.1260:                             ;   in Loop: Header=BB241_16 Depth=1
	v_mov_b32_e32 v70, v77
	v_mov_b32_e32 v0, 0x80
	;; [unrolled: 1-line block ×3, first 2 shown]
	v_cmp_ne_u32_sdwa s5, v4, v0 src0_sel:BYTE_3 src1_sel:DWORD
	v_mov_b32_e32 v35, v71
	s_and_saveexec_b32 s24, s5
	s_cbranch_execz .LBB241_1266
; %bb.1261:                             ;   in Loop: Header=BB241_16 Depth=1
	s_clause 0x1
	buffer_load_dword v34, off, s[0:3], s32 offset:200
	buffer_load_dword v35, off, s[0:3], s32 offset:204
	v_bfe_u32 v8, v4, 24, 7
	s_waitcnt vmcnt(1)
	v_mov_b32_e32 v34, v77
	s_mov_b32 s25, exec_lo
	s_waitcnt vmcnt(0)
	v_mov_b32_e32 v1, v35
	buffer_store_dword v0, off, s[0:3], s32 offset:200 ; 4-byte Folded Spill
	buffer_store_dword v1, off, s[0:3], s32 offset:204 ; 4-byte Folded Spill
	v_cmpx_ne_u32_e32 0x7f, v8
	s_cbranch_execz .LBB241_1265
; %bb.1262:                             ;   in Loop: Header=BB241_16 Depth=1
	v_mov_b32_e32 v0, 7
	v_lshrrev_b32_e32 v5, 3, v8
	s_mov_b32 s26, exec_lo
	v_and_b32_sdwa v76, v4, v0 dst_sel:DWORD dst_unused:UNUSED_PAD src0_sel:BYTE_3 src1_sel:DWORD
	v_cmpx_gt_u32_e32 8, v8
; %bb.1263:                             ;   in Loop: Header=BB241_16 Depth=1
	v_ffbh_u32_e32 v5, v76
	v_min_u32_e32 v5, 32, v5
	v_subrev_nc_u32_e32 v8, 28, v5
	v_sub_nc_u32_e32 v5, 29, v5
	v_lshlrev_b64 v[8:9], v8, v[76:77]
	v_and_b32_e32 v76, 7, v8
; %bb.1264:                             ;   in Loop: Header=BB241_16 Depth=1
	s_or_b32 exec_lo, exec_lo, s26
	v_mov_b32_e32 v0, 24
	v_lshlrev_b32_e32 v8, 20, v76
	v_lshl_add_u32 v5, v5, 23, 0x3c000000
	v_mov_b32_e32 v34, v77
	v_lshlrev_b32_sdwa v4, v0, v4 dst_sel:DWORD dst_unused:UNUSED_PAD src0_sel:DWORD src1_sel:BYTE_3
	v_and_b32_e32 v4, 0x80000000, v4
	v_or3_b32 v35, v8, v4, v5
.LBB241_1265:                           ;   in Loop: Header=BB241_16 Depth=1
	s_or_b32 exec_lo, exec_lo, s25
.LBB241_1266:                           ;   in Loop: Header=BB241_16 Depth=1
	s_or_b32 exec_lo, exec_lo, s24
.LBB241_1267:                           ;   in Loop: Header=BB241_16 Depth=1
	s_or_b32 exec_lo, exec_lo, s23
	flat_load_dword v4, v[30:31] offset:524
	v_mov_b32_e32 v109, 0
	v_mov_b32_e32 v86, 0
	;; [unrolled: 1-line block ×4, first 2 shown]
	s_waitcnt vmcnt(0) lgkmcnt(0)
	v_cmp_ne_u16_sdwa s5, v4, v77 src0_sel:BYTE_0 src1_sel:DWORD
	s_and_saveexec_b32 s23, s5
	s_cbranch_execz .LBB241_1275
; %bb.1268:                             ;   in Loop: Header=BB241_16 Depth=1
	v_mov_b32_e32 v0, 0x80
	v_bfrev_b32_e32 v86, 1
	v_mov_b32_e32 v87, 0
	v_cmp_ne_u16_sdwa s5, v4, v0 src0_sel:BYTE_0 src1_sel:DWORD
	s_and_saveexec_b32 s24, s5
	s_cbranch_execz .LBB241_1274
; %bb.1269:                             ;   in Loop: Header=BB241_16 Depth=1
	v_mov_b32_e32 v86, 0x7f800001
	v_and_b32_e32 v8, 0x7f, v4
	v_mov_b32_e32 v87, 0
	s_mov_b32 s25, exec_lo
	v_cmpx_ne_u32_e32 0x7f, v8
	s_cbranch_execz .LBB241_1273
; %bb.1270:                             ;   in Loop: Header=BB241_16 Depth=1
	v_and_b32_e32 v76, 7, v4
	v_lshrrev_b32_e32 v5, 3, v8
	s_mov_b32 s26, exec_lo
	v_cmpx_gt_u32_e32 8, v8
; %bb.1271:                             ;   in Loop: Header=BB241_16 Depth=1
	v_ffbh_u32_e32 v5, v76
	v_min_u32_e32 v5, 32, v5
	v_subrev_nc_u32_e32 v8, 28, v5
	v_sub_nc_u32_e32 v5, 29, v5
	v_lshlrev_b64 v[8:9], v8, v[76:77]
	v_and_b32_e32 v76, 7, v8
; %bb.1272:                             ;   in Loop: Header=BB241_16 Depth=1
	s_or_b32 exec_lo, exec_lo, s26
	v_lshlrev_b32_e32 v8, 24, v4
	v_lshlrev_b32_e32 v9, 20, v76
	v_lshl_add_u32 v5, v5, 23, 0x3c000000
	v_and_b32_e32 v8, 0x80000000, v8
	v_or3_b32 v76, v9, v8, v5
	v_mov_b32_e32 v87, v77
	v_mov_b32_e32 v86, v76
.LBB241_1273:                           ;   in Loop: Header=BB241_16 Depth=1
	s_or_b32 exec_lo, exec_lo, s25
.LBB241_1274:                           ;   in Loop: Header=BB241_16 Depth=1
	s_or_b32 exec_lo, exec_lo, s24
.LBB241_1275:                           ;   in Loop: Header=BB241_16 Depth=1
	s_or_b32 exec_lo, exec_lo, s23
	v_cmp_ne_u16_sdwa s5, v4, v77 src0_sel:BYTE_1 src1_sel:DWORD
	s_and_saveexec_b32 s23, s5
	s_cbranch_execz .LBB241_1283
; %bb.1276:                             ;   in Loop: Header=BB241_16 Depth=1
	v_mov_b32_e32 v70, v77
	v_mov_b32_e32 v0, 0x80
	;; [unrolled: 1-line block ×4, first 2 shown]
	v_cmp_ne_u16_sdwa s5, v4, v0 src0_sel:BYTE_1 src1_sel:DWORD
	s_and_saveexec_b32 s24, s5
	s_cbranch_execz .LBB241_1282
; %bb.1277:                             ;   in Loop: Header=BB241_16 Depth=1
	s_clause 0x1
	buffer_load_dword v109, off, s[0:3], s32 offset:200
	buffer_load_dword v110, off, s[0:3], s32 offset:204
	v_mov_b32_e32 v0, 0xffff
	s_waitcnt vmcnt(1)
	v_mov_b32_e32 v109, v77
	s_mov_b32 s25, exec_lo
	v_and_b32_sdwa v5, v0, v4 dst_sel:DWORD dst_unused:UNUSED_PAD src0_sel:DWORD src1_sel:BYTE_1
	v_and_b32_e32 v8, 0x7f, v5
	s_waitcnt vmcnt(0)
	v_mov_b32_e32 v1, v110
	buffer_store_dword v0, off, s[0:3], s32 offset:200 ; 4-byte Folded Spill
	buffer_store_dword v1, off, s[0:3], s32 offset:204 ; 4-byte Folded Spill
	v_cmpx_ne_u32_e32 0x7f, v8
	s_cbranch_execz .LBB241_1281
; %bb.1278:                             ;   in Loop: Header=BB241_16 Depth=1
	v_and_b32_e32 v76, 7, v5
	v_lshrrev_b32_e32 v5, 3, v8
	s_mov_b32 s26, exec_lo
	v_cmpx_gt_u32_e32 8, v8
; %bb.1279:                             ;   in Loop: Header=BB241_16 Depth=1
	v_ffbh_u32_e32 v5, v76
	v_min_u32_e32 v5, 32, v5
	v_subrev_nc_u32_e32 v8, 28, v5
	v_sub_nc_u32_e32 v5, 29, v5
	v_lshlrev_b64 v[8:9], v8, v[76:77]
	v_and_b32_e32 v76, 7, v8
; %bb.1280:                             ;   in Loop: Header=BB241_16 Depth=1
	s_or_b32 exec_lo, exec_lo, s26
	v_lshlrev_b32_e32 v8, 16, v4
	v_lshlrev_b32_e32 v9, 20, v76
	v_lshl_add_u32 v5, v5, 23, 0x3c000000
	v_mov_b32_e32 v109, v77
	v_and_b32_e32 v8, 0x80000000, v8
	v_or3_b32 v110, v9, v8, v5
.LBB241_1281:                           ;   in Loop: Header=BB241_16 Depth=1
	s_or_b32 exec_lo, exec_lo, s25
.LBB241_1282:                           ;   in Loop: Header=BB241_16 Depth=1
	s_or_b32 exec_lo, exec_lo, s24
.LBB241_1283:                           ;   in Loop: Header=BB241_16 Depth=1
	s_or_b32 exec_lo, exec_lo, s23
	v_mov_b32_e32 v0, 0xff
	v_mov_b32_e32 v54, 0
	;; [unrolled: 1-line block ×5, first 2 shown]
	v_and_b32_sdwa v5, v4, v0 dst_sel:DWORD dst_unused:UNUSED_PAD src0_sel:WORD_1 src1_sel:DWORD
	s_mov_b32 s23, exec_lo
	v_cmpx_ne_u16_e32 0, v5
	s_cbranch_execz .LBB241_1291
; %bb.1284:                             ;   in Loop: Header=BB241_16 Depth=1
	v_bfrev_b32_e32 v82, 1
	v_mov_b32_e32 v83, 0
	s_mov_b32 s24, exec_lo
	v_cmpx_ne_u16_e32 0x80, v5
	s_cbranch_execz .LBB241_1290
; %bb.1285:                             ;   in Loop: Header=BB241_16 Depth=1
	v_mov_b32_e32 v82, 0x7f800001
	v_bfe_u32 v8, v4, 16, 7
	v_mov_b32_e32 v83, 0
	s_mov_b32 s25, exec_lo
	v_cmpx_ne_u32_e32 0x7f, v8
	s_cbranch_execz .LBB241_1289
; %bb.1286:                             ;   in Loop: Header=BB241_16 Depth=1
	v_mov_b32_e32 v0, 7
	v_lshrrev_b32_e32 v5, 3, v8
	s_mov_b32 s26, exec_lo
	v_and_b32_sdwa v76, v4, v0 dst_sel:DWORD dst_unused:UNUSED_PAD src0_sel:WORD_1 src1_sel:DWORD
	v_cmpx_gt_u32_e32 8, v8
; %bb.1287:                             ;   in Loop: Header=BB241_16 Depth=1
	v_ffbh_u32_e32 v5, v76
	v_min_u32_e32 v5, 32, v5
	v_subrev_nc_u32_e32 v8, 28, v5
	v_sub_nc_u32_e32 v5, 29, v5
	v_lshlrev_b64 v[8:9], v8, v[76:77]
	v_and_b32_e32 v76, 7, v8
; %bb.1288:                             ;   in Loop: Header=BB241_16 Depth=1
	s_or_b32 exec_lo, exec_lo, s26
	v_mov_b32_e32 v0, 24
	v_lshlrev_b32_e32 v9, 20, v76
	v_lshl_add_u32 v5, v5, 23, 0x3c000000
	v_lshlrev_b32_sdwa v8, v0, v4 dst_sel:DWORD dst_unused:UNUSED_PAD src0_sel:DWORD src1_sel:WORD_1
	v_and_b32_e32 v8, 0x80000000, v8
	v_or3_b32 v76, v9, v8, v5
	v_mov_b32_e32 v83, v77
	v_mov_b32_e32 v82, v76
.LBB241_1289:                           ;   in Loop: Header=BB241_16 Depth=1
	s_or_b32 exec_lo, exec_lo, s25
.LBB241_1290:                           ;   in Loop: Header=BB241_16 Depth=1
	s_or_b32 exec_lo, exec_lo, s24
.LBB241_1291:                           ;   in Loop: Header=BB241_16 Depth=1
	s_or_b32 exec_lo, exec_lo, s23
	s_mov_b32 s23, exec_lo
	v_cmpx_lt_u32_e32 0xffffff, v4
	s_cbranch_execz .LBB241_1299
; %bb.1292:                             ;   in Loop: Header=BB241_16 Depth=1
	v_mov_b32_e32 v70, v77
	v_mov_b32_e32 v0, 0x80
	;; [unrolled: 1-line block ×3, first 2 shown]
	v_cmp_ne_u32_sdwa s5, v4, v0 src0_sel:BYTE_3 src1_sel:DWORD
	v_mov_b32_e32 v55, v71
	s_and_saveexec_b32 s24, s5
	s_cbranch_execz .LBB241_1298
; %bb.1293:                             ;   in Loop: Header=BB241_16 Depth=1
	s_clause 0x1
	buffer_load_dword v54, off, s[0:3], s32 offset:200
	buffer_load_dword v55, off, s[0:3], s32 offset:204
	v_bfe_u32 v8, v4, 24, 7
	s_waitcnt vmcnt(1)
	v_mov_b32_e32 v54, v77
	s_mov_b32 s25, exec_lo
	s_waitcnt vmcnt(0)
	v_mov_b32_e32 v1, v55
	buffer_store_dword v0, off, s[0:3], s32 offset:200 ; 4-byte Folded Spill
	buffer_store_dword v1, off, s[0:3], s32 offset:204 ; 4-byte Folded Spill
	v_cmpx_ne_u32_e32 0x7f, v8
	s_cbranch_execz .LBB241_1297
; %bb.1294:                             ;   in Loop: Header=BB241_16 Depth=1
	v_mov_b32_e32 v0, 7
	v_lshrrev_b32_e32 v5, 3, v8
	s_mov_b32 s26, exec_lo
	v_and_b32_sdwa v76, v4, v0 dst_sel:DWORD dst_unused:UNUSED_PAD src0_sel:BYTE_3 src1_sel:DWORD
	v_cmpx_gt_u32_e32 8, v8
; %bb.1295:                             ;   in Loop: Header=BB241_16 Depth=1
	v_ffbh_u32_e32 v5, v76
	v_min_u32_e32 v5, 32, v5
	v_subrev_nc_u32_e32 v8, 28, v5
	v_sub_nc_u32_e32 v5, 29, v5
	v_lshlrev_b64 v[8:9], v8, v[76:77]
	v_and_b32_e32 v76, 7, v8
; %bb.1296:                             ;   in Loop: Header=BB241_16 Depth=1
	s_or_b32 exec_lo, exec_lo, s26
	v_mov_b32_e32 v0, 24
	v_lshlrev_b32_e32 v8, 20, v76
	v_lshl_add_u32 v5, v5, 23, 0x3c000000
	v_mov_b32_e32 v54, v77
	v_lshlrev_b32_sdwa v4, v0, v4 dst_sel:DWORD dst_unused:UNUSED_PAD src0_sel:DWORD src1_sel:BYTE_3
	v_and_b32_e32 v4, 0x80000000, v4
	v_or3_b32 v55, v8, v4, v5
.LBB241_1297:                           ;   in Loop: Header=BB241_16 Depth=1
	s_or_b32 exec_lo, exec_lo, s25
.LBB241_1298:                           ;   in Loop: Header=BB241_16 Depth=1
	s_or_b32 exec_lo, exec_lo, s24
.LBB241_1299:                           ;   in Loop: Header=BB241_16 Depth=1
	s_or_b32 exec_lo, exec_lo, s23
	flat_load_dword v4, v[30:31] offset:1024
	v_mov_b32_e32 v38, 0
	v_mov_b32_e32 v88, 0
	;; [unrolled: 1-line block ×4, first 2 shown]
	s_waitcnt vmcnt(0) lgkmcnt(0)
	v_cmp_ne_u16_sdwa s5, v4, v77 src0_sel:BYTE_0 src1_sel:DWORD
	s_and_saveexec_b32 s23, s5
	s_cbranch_execz .LBB241_1307
; %bb.1300:                             ;   in Loop: Header=BB241_16 Depth=1
	v_mov_b32_e32 v0, 0x80
	v_bfrev_b32_e32 v88, 1
	v_mov_b32_e32 v89, 0
	v_cmp_ne_u16_sdwa s5, v4, v0 src0_sel:BYTE_0 src1_sel:DWORD
	s_and_saveexec_b32 s24, s5
	s_cbranch_execz .LBB241_1306
; %bb.1301:                             ;   in Loop: Header=BB241_16 Depth=1
	v_mov_b32_e32 v88, 0x7f800001
	v_and_b32_e32 v8, 0x7f, v4
	v_mov_b32_e32 v89, 0
	s_mov_b32 s25, exec_lo
	v_cmpx_ne_u32_e32 0x7f, v8
	s_cbranch_execz .LBB241_1305
; %bb.1302:                             ;   in Loop: Header=BB241_16 Depth=1
	v_and_b32_e32 v76, 7, v4
	v_lshrrev_b32_e32 v5, 3, v8
	s_mov_b32 s26, exec_lo
	v_cmpx_gt_u32_e32 8, v8
; %bb.1303:                             ;   in Loop: Header=BB241_16 Depth=1
	v_ffbh_u32_e32 v5, v76
	v_min_u32_e32 v5, 32, v5
	v_subrev_nc_u32_e32 v8, 28, v5
	v_sub_nc_u32_e32 v5, 29, v5
	v_lshlrev_b64 v[8:9], v8, v[76:77]
	v_and_b32_e32 v76, 7, v8
; %bb.1304:                             ;   in Loop: Header=BB241_16 Depth=1
	s_or_b32 exec_lo, exec_lo, s26
	v_lshlrev_b32_e32 v8, 24, v4
	v_lshlrev_b32_e32 v9, 20, v76
	v_lshl_add_u32 v5, v5, 23, 0x3c000000
	v_and_b32_e32 v8, 0x80000000, v8
	v_or3_b32 v76, v9, v8, v5
	v_mov_b32_e32 v89, v77
	v_mov_b32_e32 v88, v76
.LBB241_1305:                           ;   in Loop: Header=BB241_16 Depth=1
	s_or_b32 exec_lo, exec_lo, s25
.LBB241_1306:                           ;   in Loop: Header=BB241_16 Depth=1
	s_or_b32 exec_lo, exec_lo, s24
.LBB241_1307:                           ;   in Loop: Header=BB241_16 Depth=1
	s_or_b32 exec_lo, exec_lo, s23
	v_cmp_ne_u16_sdwa s5, v4, v77 src0_sel:BYTE_1 src1_sel:DWORD
	s_and_saveexec_b32 s23, s5
	s_cbranch_execz .LBB241_1315
; %bb.1308:                             ;   in Loop: Header=BB241_16 Depth=1
	v_mov_b32_e32 v70, v77
	v_mov_b32_e32 v0, 0x80
	v_mov_b32_e32 v38, v70
	v_cmp_ne_u16_sdwa s5, v4, v0 src0_sel:BYTE_1 src1_sel:DWORD
	v_mov_b32_e32 v39, v71
	s_and_saveexec_b32 s24, s5
	s_cbranch_execz .LBB241_1314
; %bb.1309:                             ;   in Loop: Header=BB241_16 Depth=1
	s_clause 0x1
	buffer_load_dword v38, off, s[0:3], s32 offset:200
	buffer_load_dword v39, off, s[0:3], s32 offset:204
	v_mov_b32_e32 v0, 0xffff
	s_waitcnt vmcnt(1)
	v_mov_b32_e32 v38, v77
	s_mov_b32 s25, exec_lo
	v_and_b32_sdwa v5, v0, v4 dst_sel:DWORD dst_unused:UNUSED_PAD src0_sel:DWORD src1_sel:BYTE_1
	v_and_b32_e32 v8, 0x7f, v5
	s_waitcnt vmcnt(0)
	v_mov_b32_e32 v1, v39
	buffer_store_dword v0, off, s[0:3], s32 offset:200 ; 4-byte Folded Spill
	buffer_store_dword v1, off, s[0:3], s32 offset:204 ; 4-byte Folded Spill
	v_cmpx_ne_u32_e32 0x7f, v8
	s_cbranch_execz .LBB241_1313
; %bb.1310:                             ;   in Loop: Header=BB241_16 Depth=1
	v_and_b32_e32 v76, 7, v5
	v_lshrrev_b32_e32 v5, 3, v8
	s_mov_b32 s26, exec_lo
	v_cmpx_gt_u32_e32 8, v8
; %bb.1311:                             ;   in Loop: Header=BB241_16 Depth=1
	v_ffbh_u32_e32 v5, v76
	v_min_u32_e32 v5, 32, v5
	v_subrev_nc_u32_e32 v8, 28, v5
	v_sub_nc_u32_e32 v5, 29, v5
	v_lshlrev_b64 v[8:9], v8, v[76:77]
	v_and_b32_e32 v76, 7, v8
; %bb.1312:                             ;   in Loop: Header=BB241_16 Depth=1
	s_or_b32 exec_lo, exec_lo, s26
	v_lshlrev_b32_e32 v8, 16, v4
	v_lshlrev_b32_e32 v9, 20, v76
	v_lshl_add_u32 v5, v5, 23, 0x3c000000
	v_mov_b32_e32 v38, v77
	v_and_b32_e32 v8, 0x80000000, v8
	v_or3_b32 v39, v9, v8, v5
.LBB241_1313:                           ;   in Loop: Header=BB241_16 Depth=1
	s_or_b32 exec_lo, exec_lo, s25
.LBB241_1314:                           ;   in Loop: Header=BB241_16 Depth=1
	s_or_b32 exec_lo, exec_lo, s24
.LBB241_1315:                           ;   in Loop: Header=BB241_16 Depth=1
	s_or_b32 exec_lo, exec_lo, s23
	v_mov_b32_e32 v0, 0xff
	v_mov_b32_e32 v68, 0
	;; [unrolled: 1-line block ×5, first 2 shown]
	v_and_b32_sdwa v5, v4, v0 dst_sel:DWORD dst_unused:UNUSED_PAD src0_sel:WORD_1 src1_sel:DWORD
	s_mov_b32 s23, exec_lo
	v_cmpx_ne_u16_e32 0, v5
	s_cbranch_execz .LBB241_1323
; %bb.1316:                             ;   in Loop: Header=BB241_16 Depth=1
	v_bfrev_b32_e32 v96, 1
	v_mov_b32_e32 v97, 0
	s_mov_b32 s24, exec_lo
	v_cmpx_ne_u16_e32 0x80, v5
	s_cbranch_execz .LBB241_1322
; %bb.1317:                             ;   in Loop: Header=BB241_16 Depth=1
	v_mov_b32_e32 v96, 0x7f800001
	v_bfe_u32 v8, v4, 16, 7
	v_mov_b32_e32 v97, 0
	s_mov_b32 s25, exec_lo
	v_cmpx_ne_u32_e32 0x7f, v8
	s_cbranch_execz .LBB241_1321
; %bb.1318:                             ;   in Loop: Header=BB241_16 Depth=1
	v_mov_b32_e32 v0, 7
	v_lshrrev_b32_e32 v5, 3, v8
	s_mov_b32 s26, exec_lo
	v_and_b32_sdwa v76, v4, v0 dst_sel:DWORD dst_unused:UNUSED_PAD src0_sel:WORD_1 src1_sel:DWORD
	v_cmpx_gt_u32_e32 8, v8
; %bb.1319:                             ;   in Loop: Header=BB241_16 Depth=1
	v_ffbh_u32_e32 v5, v76
	v_min_u32_e32 v5, 32, v5
	v_subrev_nc_u32_e32 v8, 28, v5
	v_sub_nc_u32_e32 v5, 29, v5
	v_lshlrev_b64 v[8:9], v8, v[76:77]
	v_and_b32_e32 v76, 7, v8
; %bb.1320:                             ;   in Loop: Header=BB241_16 Depth=1
	s_or_b32 exec_lo, exec_lo, s26
	v_mov_b32_e32 v0, 24
	v_lshlrev_b32_e32 v9, 20, v76
	v_lshl_add_u32 v5, v5, 23, 0x3c000000
	v_lshlrev_b32_sdwa v8, v0, v4 dst_sel:DWORD dst_unused:UNUSED_PAD src0_sel:DWORD src1_sel:WORD_1
	v_and_b32_e32 v8, 0x80000000, v8
	v_or3_b32 v76, v9, v8, v5
	v_mov_b32_e32 v97, v77
	v_mov_b32_e32 v96, v76
.LBB241_1321:                           ;   in Loop: Header=BB241_16 Depth=1
	s_or_b32 exec_lo, exec_lo, s25
.LBB241_1322:                           ;   in Loop: Header=BB241_16 Depth=1
	s_or_b32 exec_lo, exec_lo, s24
.LBB241_1323:                           ;   in Loop: Header=BB241_16 Depth=1
	s_or_b32 exec_lo, exec_lo, s23
	s_mov_b32 s23, exec_lo
	v_cmpx_lt_u32_e32 0xffffff, v4
	s_cbranch_execz .LBB241_1331
; %bb.1324:                             ;   in Loop: Header=BB241_16 Depth=1
	v_mov_b32_e32 v70, v77
	v_mov_b32_e32 v0, 0x80
	;; [unrolled: 1-line block ×3, first 2 shown]
	v_cmp_ne_u32_sdwa s5, v4, v0 src0_sel:BYTE_3 src1_sel:DWORD
	v_mov_b32_e32 v69, v71
	s_and_saveexec_b32 s24, s5
	s_cbranch_execz .LBB241_1330
; %bb.1325:                             ;   in Loop: Header=BB241_16 Depth=1
	s_clause 0x1
	buffer_load_dword v68, off, s[0:3], s32 offset:200
	buffer_load_dword v69, off, s[0:3], s32 offset:204
	v_bfe_u32 v8, v4, 24, 7
	s_waitcnt vmcnt(1)
	v_mov_b32_e32 v68, v77
	s_mov_b32 s25, exec_lo
	s_waitcnt vmcnt(0)
	v_mov_b32_e32 v1, v69
	buffer_store_dword v0, off, s[0:3], s32 offset:200 ; 4-byte Folded Spill
	buffer_store_dword v1, off, s[0:3], s32 offset:204 ; 4-byte Folded Spill
	v_cmpx_ne_u32_e32 0x7f, v8
	s_cbranch_execz .LBB241_1329
; %bb.1326:                             ;   in Loop: Header=BB241_16 Depth=1
	v_mov_b32_e32 v0, 7
	v_lshrrev_b32_e32 v5, 3, v8
	s_mov_b32 s26, exec_lo
	v_and_b32_sdwa v76, v4, v0 dst_sel:DWORD dst_unused:UNUSED_PAD src0_sel:BYTE_3 src1_sel:DWORD
	v_cmpx_gt_u32_e32 8, v8
; %bb.1327:                             ;   in Loop: Header=BB241_16 Depth=1
	v_ffbh_u32_e32 v5, v76
	v_min_u32_e32 v5, 32, v5
	v_subrev_nc_u32_e32 v8, 28, v5
	v_sub_nc_u32_e32 v5, 29, v5
	v_lshlrev_b64 v[8:9], v8, v[76:77]
	v_and_b32_e32 v76, 7, v8
; %bb.1328:                             ;   in Loop: Header=BB241_16 Depth=1
	s_or_b32 exec_lo, exec_lo, s26
	v_mov_b32_e32 v0, 24
	v_lshlrev_b32_e32 v8, 20, v76
	v_lshl_add_u32 v5, v5, 23, 0x3c000000
	v_mov_b32_e32 v68, v77
	v_lshlrev_b32_sdwa v4, v0, v4 dst_sel:DWORD dst_unused:UNUSED_PAD src0_sel:DWORD src1_sel:BYTE_3
	v_and_b32_e32 v4, 0x80000000, v4
	v_or3_b32 v69, v8, v4, v5
.LBB241_1329:                           ;   in Loop: Header=BB241_16 Depth=1
	s_or_b32 exec_lo, exec_lo, s25
.LBB241_1330:                           ;   in Loop: Header=BB241_16 Depth=1
	s_or_b32 exec_lo, exec_lo, s24
.LBB241_1331:                           ;   in Loop: Header=BB241_16 Depth=1
	s_or_b32 exec_lo, exec_lo, s23
	flat_load_dword v8, v[30:31] offset:1028
	v_mov_b32_e32 v84, 0
	v_mov_b32_e32 v118, 0
	;; [unrolled: 1-line block ×4, first 2 shown]
	s_waitcnt vmcnt(0) lgkmcnt(0)
	v_cmp_ne_u16_sdwa s5, v8, v77 src0_sel:BYTE_0 src1_sel:DWORD
	s_and_saveexec_b32 s23, s5
	s_cbranch_execz .LBB241_1339
; %bb.1332:                             ;   in Loop: Header=BB241_16 Depth=1
	v_mov_b32_e32 v0, 0x80
	v_bfrev_b32_e32 v118, 1
	v_mov_b32_e32 v119, 0
	v_cmp_ne_u16_sdwa s5, v8, v0 src0_sel:BYTE_0 src1_sel:DWORD
	s_and_saveexec_b32 s24, s5
	s_cbranch_execz .LBB241_1338
; %bb.1333:                             ;   in Loop: Header=BB241_16 Depth=1
	v_mov_b32_e32 v118, 0x7f800001
	v_and_b32_e32 v5, 0x7f, v8
	v_mov_b32_e32 v119, 0
	s_mov_b32 s25, exec_lo
	v_cmpx_ne_u32_e32 0x7f, v5
	s_cbranch_execz .LBB241_1337
; %bb.1334:                             ;   in Loop: Header=BB241_16 Depth=1
	v_and_b32_e32 v76, 7, v8
	v_lshrrev_b32_e32 v4, 3, v5
	s_mov_b32 s26, exec_lo
	v_cmpx_gt_u32_e32 8, v5
; %bb.1335:                             ;   in Loop: Header=BB241_16 Depth=1
	v_ffbh_u32_e32 v4, v76
	v_min_u32_e32 v4, 32, v4
	v_subrev_nc_u32_e32 v5, 28, v4
	v_sub_nc_u32_e32 v4, 29, v4
	v_lshlrev_b64 v[9:10], v5, v[76:77]
	v_and_b32_e32 v76, 7, v9
; %bb.1336:                             ;   in Loop: Header=BB241_16 Depth=1
	s_or_b32 exec_lo, exec_lo, s26
	v_lshlrev_b32_e32 v5, 24, v8
	v_lshlrev_b32_e32 v9, 20, v76
	v_lshl_add_u32 v4, v4, 23, 0x3c000000
	v_and_b32_e32 v5, 0x80000000, v5
	v_or3_b32 v76, v9, v5, v4
	v_mov_b32_e32 v119, v77
	v_mov_b32_e32 v118, v76
.LBB241_1337:                           ;   in Loop: Header=BB241_16 Depth=1
	s_or_b32 exec_lo, exec_lo, s25
.LBB241_1338:                           ;   in Loop: Header=BB241_16 Depth=1
	s_or_b32 exec_lo, exec_lo, s24
.LBB241_1339:                           ;   in Loop: Header=BB241_16 Depth=1
	s_or_b32 exec_lo, exec_lo, s23
	v_cmp_ne_u16_sdwa s5, v8, v77 src0_sel:BYTE_1 src1_sel:DWORD
	s_and_saveexec_b32 s23, s5
	s_cbranch_execz .LBB241_1347
; %bb.1340:                             ;   in Loop: Header=BB241_16 Depth=1
	v_mov_b32_e32 v70, v77
	v_mov_b32_e32 v0, 0x80
	;; [unrolled: 1-line block ×4, first 2 shown]
	v_cmp_ne_u16_sdwa s5, v8, v0 src0_sel:BYTE_1 src1_sel:DWORD
	s_and_saveexec_b32 s24, s5
	s_cbranch_execz .LBB241_1346
; %bb.1341:                             ;   in Loop: Header=BB241_16 Depth=1
	s_clause 0x1
	buffer_load_dword v84, off, s[0:3], s32 offset:200
	buffer_load_dword v85, off, s[0:3], s32 offset:204
	v_mov_b32_e32 v0, 0xffff
	s_waitcnt vmcnt(1)
	v_mov_b32_e32 v84, v77
	s_mov_b32 s25, exec_lo
	v_and_b32_sdwa v4, v0, v8 dst_sel:DWORD dst_unused:UNUSED_PAD src0_sel:DWORD src1_sel:BYTE_1
	v_and_b32_e32 v5, 0x7f, v4
	s_waitcnt vmcnt(0)
	v_mov_b32_e32 v1, v85
	buffer_store_dword v0, off, s[0:3], s32 offset:200 ; 4-byte Folded Spill
	buffer_store_dword v1, off, s[0:3], s32 offset:204 ; 4-byte Folded Spill
	v_cmpx_ne_u32_e32 0x7f, v5
	s_cbranch_execz .LBB241_1345
; %bb.1342:                             ;   in Loop: Header=BB241_16 Depth=1
	v_and_b32_e32 v76, 7, v4
	v_lshrrev_b32_e32 v4, 3, v5
	s_mov_b32 s26, exec_lo
	v_cmpx_gt_u32_e32 8, v5
; %bb.1343:                             ;   in Loop: Header=BB241_16 Depth=1
	v_ffbh_u32_e32 v4, v76
	v_min_u32_e32 v4, 32, v4
	v_subrev_nc_u32_e32 v5, 28, v4
	v_sub_nc_u32_e32 v4, 29, v4
	v_lshlrev_b64 v[12:13], v5, v[76:77]
	v_and_b32_e32 v76, 7, v12
; %bb.1344:                             ;   in Loop: Header=BB241_16 Depth=1
	s_or_b32 exec_lo, exec_lo, s26
	v_lshlrev_b32_e32 v5, 16, v8
	v_lshlrev_b32_e32 v9, 20, v76
	v_lshl_add_u32 v4, v4, 23, 0x3c000000
	v_mov_b32_e32 v84, v77
	v_and_b32_e32 v5, 0x80000000, v5
	v_or3_b32 v85, v9, v5, v4
.LBB241_1345:                           ;   in Loop: Header=BB241_16 Depth=1
	s_or_b32 exec_lo, exec_lo, s25
.LBB241_1346:                           ;   in Loop: Header=BB241_16 Depth=1
	s_or_b32 exec_lo, exec_lo, s24
.LBB241_1347:                           ;   in Loop: Header=BB241_16 Depth=1
	s_or_b32 exec_lo, exec_lo, s23
	v_mov_b32_e32 v0, 0xff
	v_mov_b32_e32 v6, 0
	;; [unrolled: 1-line block ×5, first 2 shown]
	v_and_b32_sdwa v9, v8, v0 dst_sel:DWORD dst_unused:UNUSED_PAD src0_sel:WORD_1 src1_sel:DWORD
	s_mov_b32 s23, exec_lo
	v_cmpx_ne_u16_e32 0, v9
	s_cbranch_execz .LBB241_1355
; %bb.1348:                             ;   in Loop: Header=BB241_16 Depth=1
	v_bfrev_b32_e32 v98, 1
	v_mov_b32_e32 v99, 0
	s_mov_b32 s24, exec_lo
	v_cmpx_ne_u16_e32 0x80, v9
	s_cbranch_execz .LBB241_1354
; %bb.1349:                             ;   in Loop: Header=BB241_16 Depth=1
	v_mov_b32_e32 v98, 0x7f800001
	v_bfe_u32 v12, v8, 16, 7
	v_mov_b32_e32 v99, 0
	s_mov_b32 s25, exec_lo
	v_cmpx_ne_u32_e32 0x7f, v12
	s_cbranch_execz .LBB241_1353
; %bb.1350:                             ;   in Loop: Header=BB241_16 Depth=1
	v_mov_b32_e32 v0, 7
	v_lshrrev_b32_e32 v9, 3, v12
	s_mov_b32 s26, exec_lo
	v_and_b32_sdwa v76, v8, v0 dst_sel:DWORD dst_unused:UNUSED_PAD src0_sel:WORD_1 src1_sel:DWORD
	v_cmpx_gt_u32_e32 8, v12
; %bb.1351:                             ;   in Loop: Header=BB241_16 Depth=1
	v_ffbh_u32_e32 v9, v76
	v_min_u32_e32 v9, 32, v9
	v_subrev_nc_u32_e32 v12, 28, v9
	v_sub_nc_u32_e32 v9, 29, v9
	v_lshlrev_b64 v[12:13], v12, v[76:77]
	v_and_b32_e32 v76, 7, v12
; %bb.1352:                             ;   in Loop: Header=BB241_16 Depth=1
	s_or_b32 exec_lo, exec_lo, s26
	v_mov_b32_e32 v0, 24
	v_lshlrev_b32_e32 v13, 20, v76
	v_lshl_add_u32 v9, v9, 23, 0x3c000000
	v_lshlrev_b32_sdwa v12, v0, v8 dst_sel:DWORD dst_unused:UNUSED_PAD src0_sel:DWORD src1_sel:WORD_1
	v_and_b32_e32 v12, 0x80000000, v12
	v_or3_b32 v76, v13, v12, v9
	v_mov_b32_e32 v99, v77
	v_mov_b32_e32 v98, v76
.LBB241_1353:                           ;   in Loop: Header=BB241_16 Depth=1
	s_or_b32 exec_lo, exec_lo, s25
.LBB241_1354:                           ;   in Loop: Header=BB241_16 Depth=1
	s_or_b32 exec_lo, exec_lo, s24
.LBB241_1355:                           ;   in Loop: Header=BB241_16 Depth=1
	s_or_b32 exec_lo, exec_lo, s23
	s_mov_b32 s23, exec_lo
	v_cmpx_lt_u32_e32 0xffffff, v8
	s_cbranch_execz .LBB241_1363
; %bb.1356:                             ;   in Loop: Header=BB241_16 Depth=1
	v_mov_b32_e32 v70, v77
	v_mov_b32_e32 v0, 0x80
	;; [unrolled: 1-line block ×3, first 2 shown]
	v_cmp_ne_u32_sdwa s5, v8, v0 src0_sel:BYTE_3 src1_sel:DWORD
	v_mov_b32_e32 v7, v71
	s_and_saveexec_b32 s24, s5
	s_cbranch_execz .LBB241_1362
; %bb.1357:                             ;   in Loop: Header=BB241_16 Depth=1
	s_clause 0x1
	buffer_load_dword v6, off, s[0:3], s32 offset:200
	buffer_load_dword v7, off, s[0:3], s32 offset:204
	v_bfe_u32 v12, v8, 24, 7
	s_waitcnt vmcnt(1)
	v_mov_b32_e32 v6, v77
	s_mov_b32 s25, exec_lo
	s_waitcnt vmcnt(0)
	v_mov_b32_e32 v1, v7
	buffer_store_dword v0, off, s[0:3], s32 offset:200 ; 4-byte Folded Spill
	buffer_store_dword v1, off, s[0:3], s32 offset:204 ; 4-byte Folded Spill
	v_cmpx_ne_u32_e32 0x7f, v12
	s_cbranch_execz .LBB241_1361
; %bb.1358:                             ;   in Loop: Header=BB241_16 Depth=1
	v_mov_b32_e32 v0, 7
	v_lshrrev_b32_e32 v9, 3, v12
	s_mov_b32 s26, exec_lo
	v_and_b32_sdwa v76, v8, v0 dst_sel:DWORD dst_unused:UNUSED_PAD src0_sel:BYTE_3 src1_sel:DWORD
	v_mov_b32_e32 v4, v76
	v_mov_b32_e32 v5, v77
	v_cmpx_gt_u32_e32 8, v12
; %bb.1359:                             ;   in Loop: Header=BB241_16 Depth=1
	v_ffbh_u32_e32 v4, v76
	v_min_u32_e32 v9, 32, v4
	v_subrev_nc_u32_e32 v4, 28, v9
	v_sub_nc_u32_e32 v9, 29, v9
	v_lshlrev_b64 v[4:5], v4, v[76:77]
	v_and_b32_e32 v4, 7, v4
; %bb.1360:                             ;   in Loop: Header=BB241_16 Depth=1
	s_or_b32 exec_lo, exec_lo, s26
	v_mov_b32_e32 v0, 24
	v_lshlrev_b32_e32 v4, 20, v4
	v_mov_b32_e32 v6, v77
	v_lshlrev_b32_sdwa v5, v0, v8 dst_sel:DWORD dst_unused:UNUSED_PAD src0_sel:DWORD src1_sel:BYTE_3
	v_lshl_add_u32 v8, v9, 23, 0x3c000000
	v_and_b32_e32 v5, 0x80000000, v5
	v_or3_b32 v7, v4, v5, v8
.LBB241_1361:                           ;   in Loop: Header=BB241_16 Depth=1
	s_or_b32 exec_lo, exec_lo, s25
.LBB241_1362:                           ;   in Loop: Header=BB241_16 Depth=1
	s_or_b32 exec_lo, exec_lo, s24
.LBB241_1363:                           ;   in Loop: Header=BB241_16 Depth=1
	s_or_b32 exec_lo, exec_lo, s23
	flat_load_dword v12, v[30:31] offset:1032
	v_mov_b32_e32 v100, 0
	v_mov_b32_e32 v102, 0
	;; [unrolled: 1-line block ×4, first 2 shown]
	s_waitcnt vmcnt(0) lgkmcnt(0)
	v_cmp_ne_u16_sdwa s5, v12, v77 src0_sel:BYTE_0 src1_sel:DWORD
	s_and_saveexec_b32 s23, s5
	s_cbranch_execz .LBB241_1371
; %bb.1364:                             ;   in Loop: Header=BB241_16 Depth=1
	v_mov_b32_e32 v0, 0x80
	v_bfrev_b32_e32 v102, 1
	v_mov_b32_e32 v103, 0
	v_cmp_ne_u16_sdwa s5, v12, v0 src0_sel:BYTE_0 src1_sel:DWORD
	s_and_saveexec_b32 s24, s5
	s_cbranch_execz .LBB241_1370
; %bb.1365:                             ;   in Loop: Header=BB241_16 Depth=1
	v_mov_b32_e32 v102, 0x7f800001
	v_and_b32_e32 v8, 0x7f, v12
	v_mov_b32_e32 v103, 0
	s_mov_b32 s25, exec_lo
	v_cmpx_ne_u32_e32 0x7f, v8
	s_cbranch_execz .LBB241_1369
; %bb.1366:                             ;   in Loop: Header=BB241_16 Depth=1
	v_and_b32_e32 v76, 7, v12
	v_lshrrev_b32_e32 v13, 3, v8
	v_cmp_gt_u32_e64 s5, 8, v8
	v_mov_b32_e32 v8, v76
	v_mov_b32_e32 v9, v77
	s_and_saveexec_b32 s26, s5
; %bb.1367:                             ;   in Loop: Header=BB241_16 Depth=1
	v_ffbh_u32_e32 v8, v76
	v_min_u32_e32 v13, 32, v8
	v_subrev_nc_u32_e32 v8, 28, v13
	v_sub_nc_u32_e32 v13, 29, v13
	v_lshlrev_b64 v[8:9], v8, v[76:77]
	v_and_b32_e32 v8, 7, v8
; %bb.1368:                             ;   in Loop: Header=BB241_16 Depth=1
	s_or_b32 exec_lo, exec_lo, s26
	v_lshlrev_b32_e32 v9, 24, v12
	v_lshlrev_b32_e32 v8, 20, v8
	v_lshl_add_u32 v13, v13, 23, 0x3c000000
	v_and_b32_e32 v9, 0x80000000, v9
	v_or3_b32 v76, v8, v9, v13
	v_mov_b32_e32 v103, v77
	v_mov_b32_e32 v102, v76
.LBB241_1369:                           ;   in Loop: Header=BB241_16 Depth=1
	s_or_b32 exec_lo, exec_lo, s25
.LBB241_1370:                           ;   in Loop: Header=BB241_16 Depth=1
	s_or_b32 exec_lo, exec_lo, s24
.LBB241_1371:                           ;   in Loop: Header=BB241_16 Depth=1
	s_or_b32 exec_lo, exec_lo, s23
	v_cmp_ne_u16_sdwa s5, v12, v77 src0_sel:BYTE_1 src1_sel:DWORD
	s_and_saveexec_b32 s23, s5
	s_cbranch_execz .LBB241_1379
; %bb.1372:                             ;   in Loop: Header=BB241_16 Depth=1
	v_mov_b32_e32 v70, v77
	v_mov_b32_e32 v0, 0x80
	;; [unrolled: 1-line block ×4, first 2 shown]
	v_cmp_ne_u16_sdwa s5, v12, v0 src0_sel:BYTE_1 src1_sel:DWORD
	s_and_saveexec_b32 s24, s5
	s_cbranch_execz .LBB241_1378
; %bb.1373:                             ;   in Loop: Header=BB241_16 Depth=1
	s_clause 0x1
	buffer_load_dword v100, off, s[0:3], s32 offset:200
	buffer_load_dword v101, off, s[0:3], s32 offset:204
	v_mov_b32_e32 v0, 0xffff
	s_waitcnt vmcnt(1)
	v_mov_b32_e32 v100, v77
	s_mov_b32 s25, exec_lo
	v_and_b32_sdwa v9, v0, v12 dst_sel:DWORD dst_unused:UNUSED_PAD src0_sel:DWORD src1_sel:BYTE_1
	v_and_b32_e32 v8, 0x7f, v9
	s_waitcnt vmcnt(0)
	v_mov_b32_e32 v1, v101
	buffer_store_dword v0, off, s[0:3], s32 offset:200 ; 4-byte Folded Spill
	buffer_store_dword v1, off, s[0:3], s32 offset:204 ; 4-byte Folded Spill
	v_cmpx_ne_u32_e32 0x7f, v8
	s_cbranch_execz .LBB241_1377
; %bb.1374:                             ;   in Loop: Header=BB241_16 Depth=1
	v_and_b32_e32 v76, 7, v9
	v_lshrrev_b32_e32 v13, 3, v8
	v_cmp_gt_u32_e64 s5, 8, v8
	v_mov_b32_e32 v8, v76
	v_mov_b32_e32 v9, v77
	s_and_saveexec_b32 s26, s5
; %bb.1375:                             ;   in Loop: Header=BB241_16 Depth=1
	v_ffbh_u32_e32 v8, v76
	v_min_u32_e32 v13, 32, v8
	v_subrev_nc_u32_e32 v8, 28, v13
	v_sub_nc_u32_e32 v13, 29, v13
	v_lshlrev_b64 v[8:9], v8, v[76:77]
	v_and_b32_e32 v8, 7, v8
; %bb.1376:                             ;   in Loop: Header=BB241_16 Depth=1
	s_or_b32 exec_lo, exec_lo, s26
	v_lshlrev_b32_e32 v9, 16, v12
	v_lshlrev_b32_e32 v8, 20, v8
	v_lshl_add_u32 v13, v13, 23, 0x3c000000
	v_mov_b32_e32 v100, v77
	v_and_b32_e32 v9, 0x80000000, v9
	v_or3_b32 v101, v8, v9, v13
.LBB241_1377:                           ;   in Loop: Header=BB241_16 Depth=1
	s_or_b32 exec_lo, exec_lo, s25
.LBB241_1378:                           ;   in Loop: Header=BB241_16 Depth=1
	s_or_b32 exec_lo, exec_lo, s24
.LBB241_1379:                           ;   in Loop: Header=BB241_16 Depth=1
	s_or_b32 exec_lo, exec_lo, s23
	v_mov_b32_e32 v0, 0xff
	v_mov_b32_e32 v74, 0
	v_mov_b32_e32 v58, 0
	v_mov_b32_e32 v75, 0
	v_mov_b32_e32 v59, 0
	v_and_b32_sdwa v8, v12, v0 dst_sel:DWORD dst_unused:UNUSED_PAD src0_sel:WORD_1 src1_sel:DWORD
	s_mov_b32 s23, exec_lo
	v_cmpx_ne_u16_e32 0, v8
	s_cbranch_execz .LBB241_1387
; %bb.1380:                             ;   in Loop: Header=BB241_16 Depth=1
	v_bfrev_b32_e32 v58, 1
	v_mov_b32_e32 v59, 0
	s_mov_b32 s24, exec_lo
	v_cmpx_ne_u16_e32 0x80, v8
	s_cbranch_execz .LBB241_1386
; %bb.1381:                             ;   in Loop: Header=BB241_16 Depth=1
	v_mov_b32_e32 v58, 0x7f800001
	v_bfe_u32 v8, v12, 16, 7
	v_mov_b32_e32 v59, 0
	s_mov_b32 s25, exec_lo
	v_cmpx_ne_u32_e32 0x7f, v8
	s_cbranch_execz .LBB241_1385
; %bb.1382:                             ;   in Loop: Header=BB241_16 Depth=1
	v_mov_b32_e32 v0, 7
	v_lshrrev_b32_e32 v13, 3, v8
	v_cmp_gt_u32_e64 s5, 8, v8
	v_and_b32_sdwa v76, v12, v0 dst_sel:DWORD dst_unused:UNUSED_PAD src0_sel:WORD_1 src1_sel:DWORD
	v_mov_b32_e32 v8, v76
	v_mov_b32_e32 v9, v77
	s_and_saveexec_b32 s26, s5
; %bb.1383:                             ;   in Loop: Header=BB241_16 Depth=1
	v_ffbh_u32_e32 v8, v76
	v_min_u32_e32 v13, 32, v8
	v_subrev_nc_u32_e32 v8, 28, v13
	v_sub_nc_u32_e32 v13, 29, v13
	v_lshlrev_b64 v[8:9], v8, v[76:77]
	v_and_b32_e32 v8, 7, v8
; %bb.1384:                             ;   in Loop: Header=BB241_16 Depth=1
	s_or_b32 exec_lo, exec_lo, s26
	v_mov_b32_e32 v0, 24
	v_lshlrev_b32_e32 v8, 20, v8
	v_lshl_add_u32 v13, v13, 23, 0x3c000000
	v_lshlrev_b32_sdwa v9, v0, v12 dst_sel:DWORD dst_unused:UNUSED_PAD src0_sel:DWORD src1_sel:WORD_1
	v_and_b32_e32 v9, 0x80000000, v9
	v_or3_b32 v76, v8, v9, v13
	v_mov_b32_e32 v58, v76
	v_mov_b32_e32 v59, v77
.LBB241_1385:                           ;   in Loop: Header=BB241_16 Depth=1
	s_or_b32 exec_lo, exec_lo, s25
.LBB241_1386:                           ;   in Loop: Header=BB241_16 Depth=1
	s_or_b32 exec_lo, exec_lo, s24
.LBB241_1387:                           ;   in Loop: Header=BB241_16 Depth=1
	s_or_b32 exec_lo, exec_lo, s23
	s_mov_b32 s23, exec_lo
	v_cmpx_lt_u32_e32 0xffffff, v12
	s_cbranch_execz .LBB241_1395
; %bb.1388:                             ;   in Loop: Header=BB241_16 Depth=1
	v_mov_b32_e32 v70, v77
	v_mov_b32_e32 v0, 0x80
	;; [unrolled: 1-line block ×4, first 2 shown]
	v_cmp_ne_u32_sdwa s5, v12, v0 src0_sel:BYTE_3 src1_sel:DWORD
	s_and_saveexec_b32 s24, s5
	s_cbranch_execz .LBB241_1394
; %bb.1389:                             ;   in Loop: Header=BB241_16 Depth=1
	s_clause 0x1
	buffer_load_dword v74, off, s[0:3], s32 offset:200
	buffer_load_dword v75, off, s[0:3], s32 offset:204
	v_bfe_u32 v8, v12, 24, 7
	s_waitcnt vmcnt(1)
	v_mov_b32_e32 v74, v77
	s_mov_b32 s25, exec_lo
	s_waitcnt vmcnt(0)
	v_mov_b32_e32 v1, v75
	buffer_store_dword v0, off, s[0:3], s32 offset:200 ; 4-byte Folded Spill
	buffer_store_dword v1, off, s[0:3], s32 offset:204 ; 4-byte Folded Spill
	v_cmpx_ne_u32_e32 0x7f, v8
	s_cbranch_execz .LBB241_1393
; %bb.1390:                             ;   in Loop: Header=BB241_16 Depth=1
	v_mov_b32_e32 v0, 7
	v_lshrrev_b32_e32 v13, 3, v8
	v_cmp_gt_u32_e64 s5, 8, v8
	v_and_b32_sdwa v76, v12, v0 dst_sel:DWORD dst_unused:UNUSED_PAD src0_sel:BYTE_3 src1_sel:DWORD
	v_mov_b32_e32 v8, v76
	v_mov_b32_e32 v9, v77
	s_and_saveexec_b32 s26, s5
; %bb.1391:                             ;   in Loop: Header=BB241_16 Depth=1
	v_ffbh_u32_e32 v8, v76
	v_min_u32_e32 v13, 32, v8
	v_subrev_nc_u32_e32 v8, 28, v13
	v_sub_nc_u32_e32 v13, 29, v13
	v_lshlrev_b64 v[8:9], v8, v[76:77]
	v_and_b32_e32 v8, 7, v8
; %bb.1392:                             ;   in Loop: Header=BB241_16 Depth=1
	s_or_b32 exec_lo, exec_lo, s26
	v_mov_b32_e32 v0, 24
	v_lshlrev_b32_e32 v8, 20, v8
	v_mov_b32_e32 v74, v77
	v_lshlrev_b32_sdwa v9, v0, v12 dst_sel:DWORD dst_unused:UNUSED_PAD src0_sel:DWORD src1_sel:BYTE_3
	v_lshl_add_u32 v12, v13, 23, 0x3c000000
	v_and_b32_e32 v9, 0x80000000, v9
	v_or3_b32 v75, v8, v9, v12
.LBB241_1393:                           ;   in Loop: Header=BB241_16 Depth=1
	s_or_b32 exec_lo, exec_lo, s25
.LBB241_1394:                           ;   in Loop: Header=BB241_16 Depth=1
	s_or_b32 exec_lo, exec_lo, s24
.LBB241_1395:                           ;   in Loop: Header=BB241_16 Depth=1
	s_or_b32 exec_lo, exec_lo, s23
	flat_load_dword v20, v[30:31] offset:1036
	v_mov_b32_e32 v4, 0
	v_mov_b32_e32 v116, 0
	;; [unrolled: 1-line block ×4, first 2 shown]
	s_waitcnt vmcnt(0) lgkmcnt(0)
	v_cmp_ne_u16_sdwa s5, v20, v77 src0_sel:BYTE_0 src1_sel:DWORD
	s_and_saveexec_b32 s23, s5
	s_cbranch_execz .LBB241_1403
; %bb.1396:                             ;   in Loop: Header=BB241_16 Depth=1
	v_mov_b32_e32 v0, 0x80
	v_bfrev_b32_e32 v116, 1
	v_mov_b32_e32 v117, 0
	v_cmp_ne_u16_sdwa s5, v20, v0 src0_sel:BYTE_0 src1_sel:DWORD
	s_and_saveexec_b32 s24, s5
	s_cbranch_execz .LBB241_1402
; %bb.1397:                             ;   in Loop: Header=BB241_16 Depth=1
	v_mov_b32_e32 v116, 0x7f800001
	v_and_b32_e32 v8, 0x7f, v20
	v_mov_b32_e32 v117, 0
	s_mov_b32 s25, exec_lo
	v_cmpx_ne_u32_e32 0x7f, v8
	s_cbranch_execz .LBB241_1401
; %bb.1398:                             ;   in Loop: Header=BB241_16 Depth=1
	v_and_b32_e32 v76, 7, v20
	v_lshrrev_b32_e32 v12, 3, v8
	v_cmp_gt_u32_e64 s5, 8, v8
	v_mov_b32_e32 v8, v76
	v_mov_b32_e32 v9, v77
	s_and_saveexec_b32 s26, s5
; %bb.1399:                             ;   in Loop: Header=BB241_16 Depth=1
	v_ffbh_u32_e32 v8, v76
	v_min_u32_e32 v12, 32, v8
	v_subrev_nc_u32_e32 v8, 28, v12
	v_sub_nc_u32_e32 v12, 29, v12
	v_lshlrev_b64 v[8:9], v8, v[76:77]
	v_and_b32_e32 v8, 7, v8
; %bb.1400:                             ;   in Loop: Header=BB241_16 Depth=1
	s_or_b32 exec_lo, exec_lo, s26
	v_lshlrev_b32_e32 v9, 24, v20
	v_lshlrev_b32_e32 v8, 20, v8
	v_lshl_add_u32 v12, v12, 23, 0x3c000000
	v_and_b32_e32 v9, 0x80000000, v9
	v_or3_b32 v76, v8, v9, v12
	v_mov_b32_e32 v117, v77
	v_mov_b32_e32 v116, v76
.LBB241_1401:                           ;   in Loop: Header=BB241_16 Depth=1
	s_or_b32 exec_lo, exec_lo, s25
.LBB241_1402:                           ;   in Loop: Header=BB241_16 Depth=1
	s_or_b32 exec_lo, exec_lo, s24
.LBB241_1403:                           ;   in Loop: Header=BB241_16 Depth=1
	s_or_b32 exec_lo, exec_lo, s23
	v_cmp_ne_u16_sdwa s5, v20, v77 src0_sel:BYTE_1 src1_sel:DWORD
	s_and_saveexec_b32 s23, s5
	s_cbranch_execz .LBB241_1411
; %bb.1404:                             ;   in Loop: Header=BB241_16 Depth=1
	v_mov_b32_e32 v70, v77
	v_mov_b32_e32 v0, 0x80
	;; [unrolled: 1-line block ×3, first 2 shown]
	v_cmp_ne_u16_sdwa s5, v20, v0 src0_sel:BYTE_1 src1_sel:DWORD
	v_mov_b32_e32 v5, v71
	s_and_saveexec_b32 s24, s5
	s_cbranch_execz .LBB241_1410
; %bb.1405:                             ;   in Loop: Header=BB241_16 Depth=1
	s_clause 0x1
	buffer_load_dword v4, off, s[0:3], s32 offset:200
	buffer_load_dword v5, off, s[0:3], s32 offset:204
	v_mov_b32_e32 v0, 0xffff
	s_waitcnt vmcnt(1)
	v_mov_b32_e32 v4, v77
	s_mov_b32 s25, exec_lo
	v_and_b32_sdwa v9, v0, v20 dst_sel:DWORD dst_unused:UNUSED_PAD src0_sel:DWORD src1_sel:BYTE_1
	v_and_b32_e32 v8, 0x7f, v9
	s_waitcnt vmcnt(0)
	v_mov_b32_e32 v1, v5
	buffer_store_dword v0, off, s[0:3], s32 offset:200 ; 4-byte Folded Spill
	buffer_store_dword v1, off, s[0:3], s32 offset:204 ; 4-byte Folded Spill
	v_cmpx_ne_u32_e32 0x7f, v8
	s_cbranch_execz .LBB241_1409
; %bb.1406:                             ;   in Loop: Header=BB241_16 Depth=1
	v_and_b32_e32 v76, 7, v9
	v_lshrrev_b32_e32 v18, 3, v8
	v_cmp_gt_u32_e64 s5, 8, v8
	v_mov_b32_e32 v8, v76
	v_mov_b32_e32 v9, v77
	s_and_saveexec_b32 s26, s5
; %bb.1407:                             ;   in Loop: Header=BB241_16 Depth=1
	v_ffbh_u32_e32 v8, v76
	v_min_u32_e32 v18, 32, v8
	v_subrev_nc_u32_e32 v8, 28, v18
	v_sub_nc_u32_e32 v18, 29, v18
	v_lshlrev_b64 v[8:9], v8, v[76:77]
	v_and_b32_e32 v8, 7, v8
; %bb.1408:                             ;   in Loop: Header=BB241_16 Depth=1
	s_or_b32 exec_lo, exec_lo, s26
	v_lshlrev_b32_e32 v9, 16, v20
	v_lshlrev_b32_e32 v8, 20, v8
	v_lshl_add_u32 v14, v18, 23, 0x3c000000
	v_mov_b32_e32 v4, v77
	v_and_b32_e32 v9, 0x80000000, v9
	v_or3_b32 v5, v8, v9, v14
.LBB241_1409:                           ;   in Loop: Header=BB241_16 Depth=1
	s_or_b32 exec_lo, exec_lo, s25
.LBB241_1410:                           ;   in Loop: Header=BB241_16 Depth=1
	s_or_b32 exec_lo, exec_lo, s24
.LBB241_1411:                           ;   in Loop: Header=BB241_16 Depth=1
	s_or_b32 exec_lo, exec_lo, s23
	v_mov_b32_e32 v0, 0xff
	v_mov_b32_e32 v46, 0
	;; [unrolled: 1-line block ×5, first 2 shown]
	v_and_b32_sdwa v8, v20, v0 dst_sel:DWORD dst_unused:UNUSED_PAD src0_sel:WORD_1 src1_sel:DWORD
	s_mov_b32 s23, exec_lo
	v_cmpx_ne_u16_e32 0, v8
	s_cbranch_execz .LBB241_1419
; %bb.1412:                             ;   in Loop: Header=BB241_16 Depth=1
	v_bfrev_b32_e32 v40, 1
	v_mov_b32_e32 v41, 0
	s_mov_b32 s24, exec_lo
	v_cmpx_ne_u16_e32 0x80, v8
	s_cbranch_execz .LBB241_1418
; %bb.1413:                             ;   in Loop: Header=BB241_16 Depth=1
	v_mov_b32_e32 v40, 0x7f800001
	v_bfe_u32 v8, v20, 16, 7
	v_mov_b32_e32 v41, 0
	s_mov_b32 s25, exec_lo
	v_cmpx_ne_u32_e32 0x7f, v8
	s_cbranch_execz .LBB241_1417
; %bb.1414:                             ;   in Loop: Header=BB241_16 Depth=1
	v_mov_b32_e32 v0, 7
	v_lshrrev_b32_e32 v18, 3, v8
	v_cmp_gt_u32_e64 s5, 8, v8
	v_and_b32_sdwa v76, v20, v0 dst_sel:DWORD dst_unused:UNUSED_PAD src0_sel:WORD_1 src1_sel:DWORD
	v_mov_b32_e32 v8, v76
	v_mov_b32_e32 v9, v77
	s_and_saveexec_b32 s26, s5
; %bb.1415:                             ;   in Loop: Header=BB241_16 Depth=1
	v_ffbh_u32_e32 v8, v76
	v_min_u32_e32 v18, 32, v8
	v_subrev_nc_u32_e32 v8, 28, v18
	v_sub_nc_u32_e32 v18, 29, v18
	v_lshlrev_b64 v[8:9], v8, v[76:77]
	v_and_b32_e32 v8, 7, v8
; %bb.1416:                             ;   in Loop: Header=BB241_16 Depth=1
	s_or_b32 exec_lo, exec_lo, s26
	v_mov_b32_e32 v0, 24
	v_lshlrev_b32_e32 v8, 20, v8
	v_lshl_add_u32 v14, v18, 23, 0x3c000000
	v_lshlrev_b32_sdwa v9, v0, v20 dst_sel:DWORD dst_unused:UNUSED_PAD src0_sel:DWORD src1_sel:WORD_1
	v_and_b32_e32 v9, 0x80000000, v9
	v_or3_b32 v76, v8, v9, v14
	v_mov_b32_e32 v40, v76
	v_mov_b32_e32 v41, v77
.LBB241_1417:                           ;   in Loop: Header=BB241_16 Depth=1
	s_or_b32 exec_lo, exec_lo, s25
.LBB241_1418:                           ;   in Loop: Header=BB241_16 Depth=1
	s_or_b32 exec_lo, exec_lo, s24
.LBB241_1419:                           ;   in Loop: Header=BB241_16 Depth=1
	s_or_b32 exec_lo, exec_lo, s23
	s_mov_b32 s23, exec_lo
	v_cmpx_lt_u32_e32 0xffffff, v20
	s_cbranch_execz .LBB241_1427
; %bb.1420:                             ;   in Loop: Header=BB241_16 Depth=1
	v_mov_b32_e32 v70, v77
	v_mov_b32_e32 v0, 0x80
	;; [unrolled: 1-line block ×3, first 2 shown]
	v_cmp_ne_u32_sdwa s5, v20, v0 src0_sel:BYTE_3 src1_sel:DWORD
	v_mov_b32_e32 v47, v71
	s_and_saveexec_b32 s24, s5
	s_cbranch_execz .LBB241_1426
; %bb.1421:                             ;   in Loop: Header=BB241_16 Depth=1
	s_clause 0x1
	buffer_load_dword v46, off, s[0:3], s32 offset:200
	buffer_load_dword v47, off, s[0:3], s32 offset:204
	v_bfe_u32 v8, v20, 24, 7
	s_waitcnt vmcnt(1)
	v_mov_b32_e32 v46, v77
	s_mov_b32 s25, exec_lo
	s_waitcnt vmcnt(0)
	v_mov_b32_e32 v1, v47
	buffer_store_dword v0, off, s[0:3], s32 offset:200 ; 4-byte Folded Spill
	buffer_store_dword v1, off, s[0:3], s32 offset:204 ; 4-byte Folded Spill
	v_cmpx_ne_u32_e32 0x7f, v8
	s_cbranch_execz .LBB241_1425
; %bb.1422:                             ;   in Loop: Header=BB241_16 Depth=1
	v_mov_b32_e32 v0, 7
	v_lshrrev_b32_e32 v18, 3, v8
	v_cmp_gt_u32_e64 s5, 8, v8
	v_and_b32_sdwa v76, v20, v0 dst_sel:DWORD dst_unused:UNUSED_PAD src0_sel:BYTE_3 src1_sel:DWORD
	v_mov_b32_e32 v8, v76
	v_mov_b32_e32 v9, v77
	s_and_saveexec_b32 s26, s5
; %bb.1423:                             ;   in Loop: Header=BB241_16 Depth=1
	v_ffbh_u32_e32 v8, v76
	v_min_u32_e32 v18, 32, v8
	v_subrev_nc_u32_e32 v8, 28, v18
	v_sub_nc_u32_e32 v18, 29, v18
	v_lshlrev_b64 v[8:9], v8, v[76:77]
	v_and_b32_e32 v8, 7, v8
; %bb.1424:                             ;   in Loop: Header=BB241_16 Depth=1
	s_or_b32 exec_lo, exec_lo, s26
	v_mov_b32_e32 v0, 24
	v_lshlrev_b32_e32 v8, 20, v8
	v_lshl_add_u32 v14, v18, 23, 0x3c000000
	v_mov_b32_e32 v46, v77
	v_lshlrev_b32_sdwa v9, v0, v20 dst_sel:DWORD dst_unused:UNUSED_PAD src0_sel:DWORD src1_sel:BYTE_3
	v_and_b32_e32 v9, 0x80000000, v9
	v_or3_b32 v47, v8, v9, v14
.LBB241_1425:                           ;   in Loop: Header=BB241_16 Depth=1
	s_or_b32 exec_lo, exec_lo, s25
.LBB241_1426:                           ;   in Loop: Header=BB241_16 Depth=1
	s_or_b32 exec_lo, exec_lo, s24
.LBB241_1427:                           ;   in Loop: Header=BB241_16 Depth=1
	s_or_b32 exec_lo, exec_lo, s23
	flat_load_dword v20, v[30:31] offset:1536
	v_mov_b32_e32 v120, 0
	v_mov_b32_e32 v42, 0
	;; [unrolled: 1-line block ×4, first 2 shown]
	s_waitcnt vmcnt(0) lgkmcnt(0)
	v_cmp_ne_u16_sdwa s5, v20, v77 src0_sel:BYTE_0 src1_sel:DWORD
	s_and_saveexec_b32 s23, s5
	s_cbranch_execz .LBB241_1435
; %bb.1428:                             ;   in Loop: Header=BB241_16 Depth=1
	v_mov_b32_e32 v0, 0x80
	v_bfrev_b32_e32 v42, 1
	v_mov_b32_e32 v43, 0
	v_cmp_ne_u16_sdwa s5, v20, v0 src0_sel:BYTE_0 src1_sel:DWORD
	s_and_saveexec_b32 s24, s5
	s_cbranch_execz .LBB241_1434
; %bb.1429:                             ;   in Loop: Header=BB241_16 Depth=1
	v_mov_b32_e32 v42, 0x7f800001
	v_and_b32_e32 v8, 0x7f, v20
	v_mov_b32_e32 v43, 0
	s_mov_b32 s25, exec_lo
	v_cmpx_ne_u32_e32 0x7f, v8
	s_cbranch_execz .LBB241_1433
; %bb.1430:                             ;   in Loop: Header=BB241_16 Depth=1
	v_and_b32_e32 v76, 7, v20
	v_lshrrev_b32_e32 v18, 3, v8
	v_cmp_gt_u32_e64 s5, 8, v8
	v_mov_b32_e32 v8, v76
	v_mov_b32_e32 v9, v77
	s_and_saveexec_b32 s26, s5
; %bb.1431:                             ;   in Loop: Header=BB241_16 Depth=1
	v_ffbh_u32_e32 v8, v76
	v_min_u32_e32 v18, 32, v8
	v_subrev_nc_u32_e32 v8, 28, v18
	v_sub_nc_u32_e32 v18, 29, v18
	v_lshlrev_b64 v[8:9], v8, v[76:77]
	v_and_b32_e32 v8, 7, v8
; %bb.1432:                             ;   in Loop: Header=BB241_16 Depth=1
	s_or_b32 exec_lo, exec_lo, s26
	v_lshlrev_b32_e32 v9, 24, v20
	v_lshlrev_b32_e32 v8, 20, v8
	v_lshl_add_u32 v14, v18, 23, 0x3c000000
	v_and_b32_e32 v9, 0x80000000, v9
	v_or3_b32 v76, v8, v9, v14
	v_mov_b32_e32 v42, v76
	v_mov_b32_e32 v43, v77
.LBB241_1433:                           ;   in Loop: Header=BB241_16 Depth=1
	s_or_b32 exec_lo, exec_lo, s25
.LBB241_1434:                           ;   in Loop: Header=BB241_16 Depth=1
	s_or_b32 exec_lo, exec_lo, s24
.LBB241_1435:                           ;   in Loop: Header=BB241_16 Depth=1
	s_or_b32 exec_lo, exec_lo, s23
	v_cmp_ne_u16_sdwa s5, v20, v77 src0_sel:BYTE_1 src1_sel:DWORD
	s_and_saveexec_b32 s23, s5
	s_cbranch_execz .LBB241_1443
; %bb.1436:                             ;   in Loop: Header=BB241_16 Depth=1
	v_mov_b32_e32 v70, v77
	v_mov_b32_e32 v0, 0x80
	;; [unrolled: 1-line block ×4, first 2 shown]
	v_cmp_ne_u16_sdwa s5, v20, v0 src0_sel:BYTE_1 src1_sel:DWORD
	s_and_saveexec_b32 s24, s5
	s_cbranch_execz .LBB241_1442
; %bb.1437:                             ;   in Loop: Header=BB241_16 Depth=1
	s_clause 0x1
	buffer_load_dword v120, off, s[0:3], s32 offset:200
	buffer_load_dword v121, off, s[0:3], s32 offset:204
	v_mov_b32_e32 v0, 0xffff
	s_waitcnt vmcnt(1)
	v_mov_b32_e32 v120, v77
	s_mov_b32 s25, exec_lo
	v_and_b32_sdwa v9, v0, v20 dst_sel:DWORD dst_unused:UNUSED_PAD src0_sel:DWORD src1_sel:BYTE_1
	v_and_b32_e32 v8, 0x7f, v9
	s_waitcnt vmcnt(0)
	v_mov_b32_e32 v1, v121
	buffer_store_dword v0, off, s[0:3], s32 offset:200 ; 4-byte Folded Spill
	buffer_store_dword v1, off, s[0:3], s32 offset:204 ; 4-byte Folded Spill
	v_cmpx_ne_u32_e32 0x7f, v8
	s_cbranch_execz .LBB241_1441
; %bb.1438:                             ;   in Loop: Header=BB241_16 Depth=1
	v_and_b32_e32 v76, 7, v9
	v_lshrrev_b32_e32 v18, 3, v8
	v_cmp_gt_u32_e64 s5, 8, v8
	v_mov_b32_e32 v8, v76
	v_mov_b32_e32 v9, v77
	s_and_saveexec_b32 s26, s5
; %bb.1439:                             ;   in Loop: Header=BB241_16 Depth=1
	v_ffbh_u32_e32 v8, v76
	v_min_u32_e32 v18, 32, v8
	v_subrev_nc_u32_e32 v8, 28, v18
	v_sub_nc_u32_e32 v18, 29, v18
	v_lshlrev_b64 v[8:9], v8, v[76:77]
	v_and_b32_e32 v8, 7, v8
; %bb.1440:                             ;   in Loop: Header=BB241_16 Depth=1
	s_or_b32 exec_lo, exec_lo, s26
	v_lshlrev_b32_e32 v9, 16, v20
	v_lshlrev_b32_e32 v8, 20, v8
	v_lshl_add_u32 v14, v18, 23, 0x3c000000
	v_mov_b32_e32 v120, v77
	v_and_b32_e32 v9, 0x80000000, v9
	v_or3_b32 v121, v8, v9, v14
.LBB241_1441:                           ;   in Loop: Header=BB241_16 Depth=1
	s_or_b32 exec_lo, exec_lo, s25
.LBB241_1442:                           ;   in Loop: Header=BB241_16 Depth=1
	s_or_b32 exec_lo, exec_lo, s24
.LBB241_1443:                           ;   in Loop: Header=BB241_16 Depth=1
	s_or_b32 exec_lo, exec_lo, s23
	v_mov_b32_e32 v0, 0xff
	v_mov_b32_e32 v78, 0
	;; [unrolled: 1-line block ×5, first 2 shown]
	v_and_b32_sdwa v8, v20, v0 dst_sel:DWORD dst_unused:UNUSED_PAD src0_sel:WORD_1 src1_sel:DWORD
	s_mov_b32 s23, exec_lo
	v_cmpx_ne_u16_e32 0, v8
	s_cbranch_execz .LBB241_1451
; %bb.1444:                             ;   in Loop: Header=BB241_16 Depth=1
	v_bfrev_b32_e32 v56, 1
	v_mov_b32_e32 v57, 0
	s_mov_b32 s24, exec_lo
	v_cmpx_ne_u16_e32 0x80, v8
	s_cbranch_execz .LBB241_1450
; %bb.1445:                             ;   in Loop: Header=BB241_16 Depth=1
	v_mov_b32_e32 v56, 0x7f800001
	v_bfe_u32 v8, v20, 16, 7
	v_mov_b32_e32 v57, 0
	s_mov_b32 s25, exec_lo
	v_cmpx_ne_u32_e32 0x7f, v8
	s_cbranch_execz .LBB241_1449
; %bb.1446:                             ;   in Loop: Header=BB241_16 Depth=1
	v_mov_b32_e32 v0, 7
	v_lshrrev_b32_e32 v18, 3, v8
	v_cmp_gt_u32_e64 s5, 8, v8
	v_and_b32_sdwa v76, v20, v0 dst_sel:DWORD dst_unused:UNUSED_PAD src0_sel:WORD_1 src1_sel:DWORD
	v_mov_b32_e32 v8, v76
	v_mov_b32_e32 v9, v77
	s_and_saveexec_b32 s26, s5
; %bb.1447:                             ;   in Loop: Header=BB241_16 Depth=1
	v_ffbh_u32_e32 v8, v76
	v_min_u32_e32 v18, 32, v8
	v_subrev_nc_u32_e32 v8, 28, v18
	v_sub_nc_u32_e32 v18, 29, v18
	v_lshlrev_b64 v[8:9], v8, v[76:77]
	v_and_b32_e32 v8, 7, v8
; %bb.1448:                             ;   in Loop: Header=BB241_16 Depth=1
	s_or_b32 exec_lo, exec_lo, s26
	v_mov_b32_e32 v0, 24
	v_lshlrev_b32_e32 v8, 20, v8
	v_lshl_add_u32 v14, v18, 23, 0x3c000000
	v_lshlrev_b32_sdwa v9, v0, v20 dst_sel:DWORD dst_unused:UNUSED_PAD src0_sel:DWORD src1_sel:WORD_1
	v_and_b32_e32 v9, 0x80000000, v9
	v_or3_b32 v76, v8, v9, v14
	v_mov_b32_e32 v56, v76
	v_mov_b32_e32 v57, v77
.LBB241_1449:                           ;   in Loop: Header=BB241_16 Depth=1
	s_or_b32 exec_lo, exec_lo, s25
.LBB241_1450:                           ;   in Loop: Header=BB241_16 Depth=1
	s_or_b32 exec_lo, exec_lo, s24
.LBB241_1451:                           ;   in Loop: Header=BB241_16 Depth=1
	s_or_b32 exec_lo, exec_lo, s23
	s_mov_b32 s23, exec_lo
	v_cmpx_lt_u32_e32 0xffffff, v20
	s_cbranch_execz .LBB241_1459
; %bb.1452:                             ;   in Loop: Header=BB241_16 Depth=1
	v_mov_b32_e32 v70, v77
	v_mov_b32_e32 v0, 0x80
	;; [unrolled: 1-line block ×4, first 2 shown]
	v_cmp_ne_u32_sdwa s5, v20, v0 src0_sel:BYTE_3 src1_sel:DWORD
	s_and_saveexec_b32 s24, s5
	s_cbranch_execz .LBB241_1458
; %bb.1453:                             ;   in Loop: Header=BB241_16 Depth=1
	s_clause 0x1
	buffer_load_dword v78, off, s[0:3], s32 offset:200
	buffer_load_dword v79, off, s[0:3], s32 offset:204
	v_bfe_u32 v8, v20, 24, 7
	s_waitcnt vmcnt(1)
	v_mov_b32_e32 v78, v77
	s_mov_b32 s25, exec_lo
	s_waitcnt vmcnt(0)
	v_mov_b32_e32 v1, v79
	buffer_store_dword v0, off, s[0:3], s32 offset:200 ; 4-byte Folded Spill
	buffer_store_dword v1, off, s[0:3], s32 offset:204 ; 4-byte Folded Spill
	v_cmpx_ne_u32_e32 0x7f, v8
	s_cbranch_execz .LBB241_1457
; %bb.1454:                             ;   in Loop: Header=BB241_16 Depth=1
	v_mov_b32_e32 v0, 7
	v_lshrrev_b32_e32 v18, 3, v8
	v_cmp_gt_u32_e64 s5, 8, v8
	v_and_b32_sdwa v76, v20, v0 dst_sel:DWORD dst_unused:UNUSED_PAD src0_sel:BYTE_3 src1_sel:DWORD
	v_mov_b32_e32 v8, v76
	v_mov_b32_e32 v9, v77
	s_and_saveexec_b32 s26, s5
; %bb.1455:                             ;   in Loop: Header=BB241_16 Depth=1
	v_ffbh_u32_e32 v8, v76
	v_min_u32_e32 v18, 32, v8
	v_subrev_nc_u32_e32 v8, 28, v18
	v_sub_nc_u32_e32 v18, 29, v18
	v_lshlrev_b64 v[8:9], v8, v[76:77]
	v_and_b32_e32 v8, 7, v8
; %bb.1456:                             ;   in Loop: Header=BB241_16 Depth=1
	s_or_b32 exec_lo, exec_lo, s26
	v_mov_b32_e32 v0, 24
	v_lshlrev_b32_e32 v8, 20, v8
	v_lshl_add_u32 v14, v18, 23, 0x3c000000
	v_mov_b32_e32 v78, v77
	v_lshlrev_b32_sdwa v9, v0, v20 dst_sel:DWORD dst_unused:UNUSED_PAD src0_sel:DWORD src1_sel:BYTE_3
	v_and_b32_e32 v9, 0x80000000, v9
	v_or3_b32 v79, v8, v9, v14
.LBB241_1457:                           ;   in Loop: Header=BB241_16 Depth=1
	s_or_b32 exec_lo, exec_lo, s25
.LBB241_1458:                           ;   in Loop: Header=BB241_16 Depth=1
	s_or_b32 exec_lo, exec_lo, s24
.LBB241_1459:                           ;   in Loop: Header=BB241_16 Depth=1
	s_or_b32 exec_lo, exec_lo, s23
	flat_load_dword v20, v[30:31] offset:1540
	v_mov_b32_e32 v2, 0
	v_mov_b32_e32 v10, 0
	v_mov_b32_e32 v3, 0
	v_mov_b32_e32 v11, 0
	s_waitcnt vmcnt(0) lgkmcnt(0)
	v_cmp_ne_u16_sdwa s5, v20, v77 src0_sel:BYTE_0 src1_sel:DWORD
	s_and_saveexec_b32 s23, s5
	s_cbranch_execz .LBB241_1467
; %bb.1460:                             ;   in Loop: Header=BB241_16 Depth=1
	v_mov_b32_e32 v0, 0x80
	v_bfrev_b32_e32 v10, 1
	v_mov_b32_e32 v11, 0
	v_cmp_ne_u16_sdwa s5, v20, v0 src0_sel:BYTE_0 src1_sel:DWORD
	s_and_saveexec_b32 s24, s5
	s_cbranch_execz .LBB241_1466
; %bb.1461:                             ;   in Loop: Header=BB241_16 Depth=1
	v_mov_b32_e32 v10, 0x7f800001
	v_and_b32_e32 v8, 0x7f, v20
	v_mov_b32_e32 v11, 0
	s_mov_b32 s25, exec_lo
	v_cmpx_ne_u32_e32 0x7f, v8
	s_cbranch_execz .LBB241_1465
; %bb.1462:                             ;   in Loop: Header=BB241_16 Depth=1
	v_and_b32_e32 v76, 7, v20
	v_lshrrev_b32_e32 v18, 3, v8
	v_cmp_gt_u32_e64 s5, 8, v8
	v_mov_b32_e32 v8, v76
	v_mov_b32_e32 v9, v77
	s_and_saveexec_b32 s26, s5
; %bb.1463:                             ;   in Loop: Header=BB241_16 Depth=1
	v_ffbh_u32_e32 v8, v76
	v_min_u32_e32 v18, 32, v8
	v_subrev_nc_u32_e32 v8, 28, v18
	v_sub_nc_u32_e32 v18, 29, v18
	v_lshlrev_b64 v[8:9], v8, v[76:77]
	v_and_b32_e32 v8, 7, v8
; %bb.1464:                             ;   in Loop: Header=BB241_16 Depth=1
	s_or_b32 exec_lo, exec_lo, s26
	v_lshlrev_b32_e32 v9, 24, v20
	v_lshlrev_b32_e32 v8, 20, v8
	v_lshl_add_u32 v14, v18, 23, 0x3c000000
	v_and_b32_e32 v9, 0x80000000, v9
	v_or3_b32 v76, v8, v9, v14
	v_mov_b32_e32 v10, v76
	v_mov_b32_e32 v11, v77
.LBB241_1465:                           ;   in Loop: Header=BB241_16 Depth=1
	s_or_b32 exec_lo, exec_lo, s25
.LBB241_1466:                           ;   in Loop: Header=BB241_16 Depth=1
	s_or_b32 exec_lo, exec_lo, s24
.LBB241_1467:                           ;   in Loop: Header=BB241_16 Depth=1
	s_or_b32 exec_lo, exec_lo, s23
	v_cmp_ne_u16_sdwa s5, v20, v77 src0_sel:BYTE_1 src1_sel:DWORD
	s_and_saveexec_b32 s23, s5
	s_cbranch_execz .LBB241_1475
; %bb.1468:                             ;   in Loop: Header=BB241_16 Depth=1
	v_mov_b32_e32 v70, v77
	v_mov_b32_e32 v0, 0x80
	;; [unrolled: 1-line block ×3, first 2 shown]
	v_cmp_ne_u16_sdwa s5, v20, v0 src0_sel:BYTE_1 src1_sel:DWORD
	v_mov_b32_e32 v3, v71
	s_and_saveexec_b32 s24, s5
	s_cbranch_execz .LBB241_1474
; %bb.1469:                             ;   in Loop: Header=BB241_16 Depth=1
	s_clause 0x1
	buffer_load_dword v2, off, s[0:3], s32 offset:200
	buffer_load_dword v3, off, s[0:3], s32 offset:204
	v_mov_b32_e32 v0, 0xffff
	s_waitcnt vmcnt(1)
	v_mov_b32_e32 v2, v77
	s_mov_b32 s25, exec_lo
	v_and_b32_sdwa v9, v0, v20 dst_sel:DWORD dst_unused:UNUSED_PAD src0_sel:DWORD src1_sel:BYTE_1
	v_and_b32_e32 v8, 0x7f, v9
	s_waitcnt vmcnt(0)
	v_mov_b32_e32 v1, v3
	buffer_store_dword v0, off, s[0:3], s32 offset:200 ; 4-byte Folded Spill
	buffer_store_dword v1, off, s[0:3], s32 offset:204 ; 4-byte Folded Spill
	v_cmpx_ne_u32_e32 0x7f, v8
	s_cbranch_execz .LBB241_1473
; %bb.1470:                             ;   in Loop: Header=BB241_16 Depth=1
	v_and_b32_e32 v76, 7, v9
	v_lshrrev_b32_e32 v18, 3, v8
	v_cmp_gt_u32_e64 s5, 8, v8
	v_mov_b32_e32 v8, v76
	v_mov_b32_e32 v9, v77
	s_and_saveexec_b32 s26, s5
; %bb.1471:                             ;   in Loop: Header=BB241_16 Depth=1
	v_ffbh_u32_e32 v8, v76
	v_min_u32_e32 v18, 32, v8
	v_subrev_nc_u32_e32 v8, 28, v18
	v_sub_nc_u32_e32 v18, 29, v18
	v_lshlrev_b64 v[8:9], v8, v[76:77]
	v_and_b32_e32 v8, 7, v8
; %bb.1472:                             ;   in Loop: Header=BB241_16 Depth=1
	s_or_b32 exec_lo, exec_lo, s26
	v_lshlrev_b32_e32 v9, 16, v20
	v_lshlrev_b32_e32 v8, 20, v8
	v_lshl_add_u32 v14, v18, 23, 0x3c000000
	v_mov_b32_e32 v2, v77
	v_and_b32_e32 v9, 0x80000000, v9
	v_or3_b32 v3, v8, v9, v14
.LBB241_1473:                           ;   in Loop: Header=BB241_16 Depth=1
	s_or_b32 exec_lo, exec_lo, s25
.LBB241_1474:                           ;   in Loop: Header=BB241_16 Depth=1
	s_or_b32 exec_lo, exec_lo, s24
.LBB241_1475:                           ;   in Loop: Header=BB241_16 Depth=1
	s_or_b32 exec_lo, exec_lo, s23
	v_mov_b32_e32 v0, 0xff
	v_mov_b32_e32 v48, 0
	;; [unrolled: 1-line block ×5, first 2 shown]
	v_and_b32_sdwa v8, v20, v0 dst_sel:DWORD dst_unused:UNUSED_PAD src0_sel:WORD_1 src1_sel:DWORD
	s_mov_b32 s23, exec_lo
	v_cmpx_ne_u16_e32 0, v8
	s_cbranch_execz .LBB241_1483
; %bb.1476:                             ;   in Loop: Header=BB241_16 Depth=1
	v_bfrev_b32_e32 v12, 1
	v_mov_b32_e32 v13, 0
	s_mov_b32 s24, exec_lo
	v_cmpx_ne_u16_e32 0x80, v8
	s_cbranch_execz .LBB241_1482
; %bb.1477:                             ;   in Loop: Header=BB241_16 Depth=1
	v_mov_b32_e32 v12, 0x7f800001
	v_bfe_u32 v8, v20, 16, 7
	v_mov_b32_e32 v13, 0
	s_mov_b32 s25, exec_lo
	v_cmpx_ne_u32_e32 0x7f, v8
	s_cbranch_execz .LBB241_1481
; %bb.1478:                             ;   in Loop: Header=BB241_16 Depth=1
	v_mov_b32_e32 v0, 7
	v_lshrrev_b32_e32 v18, 3, v8
	v_cmp_gt_u32_e64 s5, 8, v8
	v_and_b32_sdwa v76, v20, v0 dst_sel:DWORD dst_unused:UNUSED_PAD src0_sel:WORD_1 src1_sel:DWORD
	v_mov_b32_e32 v8, v76
	v_mov_b32_e32 v9, v77
	s_and_saveexec_b32 s26, s5
; %bb.1479:                             ;   in Loop: Header=BB241_16 Depth=1
	v_ffbh_u32_e32 v8, v76
	v_min_u32_e32 v18, 32, v8
	v_subrev_nc_u32_e32 v8, 28, v18
	v_sub_nc_u32_e32 v18, 29, v18
	v_lshlrev_b64 v[8:9], v8, v[76:77]
	v_and_b32_e32 v8, 7, v8
; %bb.1480:                             ;   in Loop: Header=BB241_16 Depth=1
	s_or_b32 exec_lo, exec_lo, s26
	v_mov_b32_e32 v0, 24
	v_lshlrev_b32_e32 v8, 20, v8
	v_lshl_add_u32 v14, v18, 23, 0x3c000000
	v_lshlrev_b32_sdwa v9, v0, v20 dst_sel:DWORD dst_unused:UNUSED_PAD src0_sel:DWORD src1_sel:WORD_1
	v_and_b32_e32 v9, 0x80000000, v9
	v_or3_b32 v76, v8, v9, v14
	v_mov_b32_e32 v12, v76
	v_mov_b32_e32 v13, v77
.LBB241_1481:                           ;   in Loop: Header=BB241_16 Depth=1
	s_or_b32 exec_lo, exec_lo, s25
.LBB241_1482:                           ;   in Loop: Header=BB241_16 Depth=1
	s_or_b32 exec_lo, exec_lo, s24
.LBB241_1483:                           ;   in Loop: Header=BB241_16 Depth=1
	s_or_b32 exec_lo, exec_lo, s23
	s_mov_b32 s23, exec_lo
	v_cmpx_lt_u32_e32 0xffffff, v20
	s_cbranch_execz .LBB241_1491
; %bb.1484:                             ;   in Loop: Header=BB241_16 Depth=1
	v_mov_b32_e32 v70, v77
	v_mov_b32_e32 v0, 0x80
	;; [unrolled: 1-line block ×3, first 2 shown]
	v_cmp_ne_u32_sdwa s5, v20, v0 src0_sel:BYTE_3 src1_sel:DWORD
	v_mov_b32_e32 v49, v71
	s_and_saveexec_b32 s24, s5
	s_cbranch_execz .LBB241_1490
; %bb.1485:                             ;   in Loop: Header=BB241_16 Depth=1
	s_clause 0x1
	buffer_load_dword v48, off, s[0:3], s32 offset:200
	buffer_load_dword v49, off, s[0:3], s32 offset:204
	v_bfe_u32 v8, v20, 24, 7
	s_waitcnt vmcnt(1)
	v_mov_b32_e32 v48, v77
	s_mov_b32 s25, exec_lo
	s_waitcnt vmcnt(0)
	v_mov_b32_e32 v1, v49
	buffer_store_dword v0, off, s[0:3], s32 offset:200 ; 4-byte Folded Spill
	buffer_store_dword v1, off, s[0:3], s32 offset:204 ; 4-byte Folded Spill
	v_cmpx_ne_u32_e32 0x7f, v8
	s_cbranch_execz .LBB241_1489
; %bb.1486:                             ;   in Loop: Header=BB241_16 Depth=1
	v_mov_b32_e32 v0, 7
	v_lshrrev_b32_e32 v18, 3, v8
	v_cmp_gt_u32_e64 s5, 8, v8
	v_and_b32_sdwa v76, v20, v0 dst_sel:DWORD dst_unused:UNUSED_PAD src0_sel:BYTE_3 src1_sel:DWORD
	v_mov_b32_e32 v8, v76
	v_mov_b32_e32 v9, v77
	s_and_saveexec_b32 s26, s5
; %bb.1487:                             ;   in Loop: Header=BB241_16 Depth=1
	v_ffbh_u32_e32 v8, v76
	v_min_u32_e32 v18, 32, v8
	v_subrev_nc_u32_e32 v8, 28, v18
	v_sub_nc_u32_e32 v18, 29, v18
	v_lshlrev_b64 v[8:9], v8, v[76:77]
	v_and_b32_e32 v8, 7, v8
; %bb.1488:                             ;   in Loop: Header=BB241_16 Depth=1
	s_or_b32 exec_lo, exec_lo, s26
	v_mov_b32_e32 v0, 24
	v_lshlrev_b32_e32 v8, 20, v8
	v_lshl_add_u32 v14, v18, 23, 0x3c000000
	v_mov_b32_e32 v48, v77
	v_lshlrev_b32_sdwa v9, v0, v20 dst_sel:DWORD dst_unused:UNUSED_PAD src0_sel:DWORD src1_sel:BYTE_3
	v_and_b32_e32 v9, 0x80000000, v9
	v_or3_b32 v49, v8, v9, v14
.LBB241_1489:                           ;   in Loop: Header=BB241_16 Depth=1
	s_or_b32 exec_lo, exec_lo, s25
.LBB241_1490:                           ;   in Loop: Header=BB241_16 Depth=1
	s_or_b32 exec_lo, exec_lo, s24
.LBB241_1491:                           ;   in Loop: Header=BB241_16 Depth=1
	s_or_b32 exec_lo, exec_lo, s23
	flat_load_dword v26, v[30:31] offset:1544
	v_mov_b32_e32 v92, 0
	v_mov_b32_e32 v8, 0
	;; [unrolled: 1-line block ×4, first 2 shown]
	s_waitcnt vmcnt(0) lgkmcnt(0)
	v_cmp_ne_u16_sdwa s5, v26, v77 src0_sel:BYTE_0 src1_sel:DWORD
	s_and_saveexec_b32 s23, s5
	s_cbranch_execz .LBB241_1499
; %bb.1492:                             ;   in Loop: Header=BB241_16 Depth=1
	v_mov_b32_e32 v0, 0x80
	v_bfrev_b32_e32 v8, 1
	v_mov_b32_e32 v9, 0
	v_cmp_ne_u16_sdwa s5, v26, v0 src0_sel:BYTE_0 src1_sel:DWORD
	s_and_saveexec_b32 s24, s5
	s_cbranch_execz .LBB241_1498
; %bb.1493:                             ;   in Loop: Header=BB241_16 Depth=1
	v_mov_b32_e32 v8, 0x7f800001
	v_and_b32_e32 v20, 0x7f, v26
	v_mov_b32_e32 v9, 0
	s_mov_b32 s25, exec_lo
	v_cmpx_ne_u32_e32 0x7f, v20
	s_cbranch_execz .LBB241_1497
; %bb.1494:                             ;   in Loop: Header=BB241_16 Depth=1
	v_and_b32_e32 v76, 7, v26
	v_lshrrev_b32_e32 v18, 3, v20
	s_mov_b32 s26, exec_lo
	v_mov_b32_e32 v8, v76
	v_mov_b32_e32 v9, v77
	v_cmpx_gt_u32_e32 8, v20
; %bb.1495:                             ;   in Loop: Header=BB241_16 Depth=1
	v_ffbh_u32_e32 v8, v76
	v_min_u32_e32 v18, 32, v8
	v_subrev_nc_u32_e32 v8, 28, v18
	v_sub_nc_u32_e32 v18, 29, v18
	v_lshlrev_b64 v[8:9], v8, v[76:77]
	v_and_b32_e32 v8, 7, v8
; %bb.1496:                             ;   in Loop: Header=BB241_16 Depth=1
	s_or_b32 exec_lo, exec_lo, s26
	v_lshlrev_b32_e32 v9, 24, v26
	v_lshlrev_b32_e32 v8, 20, v8
	v_lshl_add_u32 v14, v18, 23, 0x3c000000
	v_and_b32_e32 v9, 0x80000000, v9
	v_or3_b32 v76, v8, v9, v14
	v_mov_b32_e32 v8, v76
	v_mov_b32_e32 v9, v77
.LBB241_1497:                           ;   in Loop: Header=BB241_16 Depth=1
	s_or_b32 exec_lo, exec_lo, s25
.LBB241_1498:                           ;   in Loop: Header=BB241_16 Depth=1
	s_or_b32 exec_lo, exec_lo, s24
.LBB241_1499:                           ;   in Loop: Header=BB241_16 Depth=1
	s_or_b32 exec_lo, exec_lo, s23
	v_cmp_ne_u16_sdwa s5, v26, v77 src0_sel:BYTE_1 src1_sel:DWORD
	s_and_saveexec_b32 s23, s5
	s_cbranch_execz .LBB241_1507
; %bb.1500:                             ;   in Loop: Header=BB241_16 Depth=1
	v_mov_b32_e32 v70, v77
	v_mov_b32_e32 v0, 0x80
	;; [unrolled: 1-line block ×4, first 2 shown]
	v_cmp_ne_u16_sdwa s5, v26, v0 src0_sel:BYTE_1 src1_sel:DWORD
	s_and_saveexec_b32 s24, s5
	s_cbranch_execz .LBB241_1506
; %bb.1501:                             ;   in Loop: Header=BB241_16 Depth=1
	s_clause 0x1
	buffer_load_dword v92, off, s[0:3], s32 offset:200
	buffer_load_dword v93, off, s[0:3], s32 offset:204
	v_mov_b32_e32 v0, 0xffff
	s_waitcnt vmcnt(1)
	v_mov_b32_e32 v92, v77
	s_mov_b32 s25, exec_lo
	v_and_b32_sdwa v14, v0, v26 dst_sel:DWORD dst_unused:UNUSED_PAD src0_sel:DWORD src1_sel:BYTE_1
	v_and_b32_e32 v20, 0x7f, v14
	s_waitcnt vmcnt(0)
	v_mov_b32_e32 v1, v93
	buffer_store_dword v0, off, s[0:3], s32 offset:200 ; 4-byte Folded Spill
	buffer_store_dword v1, off, s[0:3], s32 offset:204 ; 4-byte Folded Spill
	v_cmpx_ne_u32_e32 0x7f, v20
	s_cbranch_execz .LBB241_1505
; %bb.1502:                             ;   in Loop: Header=BB241_16 Depth=1
	v_and_b32_e32 v76, 7, v14
	v_lshrrev_b32_e32 v18, 3, v20
	v_cmp_gt_u32_e64 s5, 8, v20
	v_mov_b32_e32 v20, v76
	v_mov_b32_e32 v21, v77
	s_and_saveexec_b32 s26, s5
; %bb.1503:                             ;   in Loop: Header=BB241_16 Depth=1
	v_ffbh_u32_e32 v18, v76
	v_min_u32_e32 v18, 32, v18
	v_subrev_nc_u32_e32 v20, 28, v18
	v_sub_nc_u32_e32 v18, 29, v18
	v_lshlrev_b64 v[20:21], v20, v[76:77]
	v_and_b32_e32 v20, 7, v20
; %bb.1504:                             ;   in Loop: Header=BB241_16 Depth=1
	s_or_b32 exec_lo, exec_lo, s26
	v_lshlrev_b32_e32 v14, 16, v26
	v_lshlrev_b32_e32 v20, 20, v20
	v_lshl_add_u32 v18, v18, 23, 0x3c000000
	v_mov_b32_e32 v92, v77
	v_and_b32_e32 v14, 0x80000000, v14
	v_or3_b32 v93, v20, v14, v18
.LBB241_1505:                           ;   in Loop: Header=BB241_16 Depth=1
	s_or_b32 exec_lo, exec_lo, s25
.LBB241_1506:                           ;   in Loop: Header=BB241_16 Depth=1
	s_or_b32 exec_lo, exec_lo, s24
.LBB241_1507:                           ;   in Loop: Header=BB241_16 Depth=1
	s_or_b32 exec_lo, exec_lo, s23
	v_mov_b32_e32 v0, 0xff
	v_mov_b32_e32 v72, 0
	;; [unrolled: 1-line block ×5, first 2 shown]
	v_and_b32_sdwa v14, v26, v0 dst_sel:DWORD dst_unused:UNUSED_PAD src0_sel:WORD_1 src1_sel:DWORD
	s_mov_b32 s23, exec_lo
	v_cmpx_ne_u16_e32 0, v14
	s_cbranch_execz .LBB241_1515
; %bb.1508:                             ;   in Loop: Header=BB241_16 Depth=1
	v_bfrev_b32_e32 v126, 1
	v_mov_b32_e32 v127, 0
	s_mov_b32 s24, exec_lo
	v_cmpx_ne_u16_e32 0x80, v14
	s_cbranch_execz .LBB241_1514
; %bb.1509:                             ;   in Loop: Header=BB241_16 Depth=1
	v_mov_b32_e32 v126, 0x7f800001
	v_bfe_u32 v20, v26, 16, 7
	v_mov_b32_e32 v127, 0
	s_mov_b32 s25, exec_lo
	v_cmpx_ne_u32_e32 0x7f, v20
	s_cbranch_execz .LBB241_1513
; %bb.1510:                             ;   in Loop: Header=BB241_16 Depth=1
	v_mov_b32_e32 v0, 7
	v_lshrrev_b32_e32 v18, 3, v20
	v_cmp_gt_u32_e64 s5, 8, v20
	v_and_b32_sdwa v76, v26, v0 dst_sel:DWORD dst_unused:UNUSED_PAD src0_sel:WORD_1 src1_sel:DWORD
	v_mov_b32_e32 v20, v76
	v_mov_b32_e32 v21, v77
	s_and_saveexec_b32 s26, s5
; %bb.1511:                             ;   in Loop: Header=BB241_16 Depth=1
	v_ffbh_u32_e32 v18, v76
	v_min_u32_e32 v18, 32, v18
	v_subrev_nc_u32_e32 v20, 28, v18
	v_sub_nc_u32_e32 v18, 29, v18
	v_lshlrev_b64 v[20:21], v20, v[76:77]
	v_and_b32_e32 v20, 7, v20
; %bb.1512:                             ;   in Loop: Header=BB241_16 Depth=1
	s_or_b32 exec_lo, exec_lo, s26
	v_mov_b32_e32 v0, 24
	v_lshlrev_b32_e32 v20, 20, v20
	v_lshl_add_u32 v18, v18, 23, 0x3c000000
	v_lshlrev_b32_sdwa v14, v0, v26 dst_sel:DWORD dst_unused:UNUSED_PAD src0_sel:DWORD src1_sel:WORD_1
	v_and_b32_e32 v14, 0x80000000, v14
	v_or3_b32 v76, v20, v14, v18
	v_mov_b32_e32 v127, v77
	v_mov_b32_e32 v126, v76
.LBB241_1513:                           ;   in Loop: Header=BB241_16 Depth=1
	s_or_b32 exec_lo, exec_lo, s25
.LBB241_1514:                           ;   in Loop: Header=BB241_16 Depth=1
	s_or_b32 exec_lo, exec_lo, s24
.LBB241_1515:                           ;   in Loop: Header=BB241_16 Depth=1
	s_or_b32 exec_lo, exec_lo, s23
	s_mov_b32 s23, exec_lo
	v_cmpx_lt_u32_e32 0xffffff, v26
	s_cbranch_execz .LBB241_1523
; %bb.1516:                             ;   in Loop: Header=BB241_16 Depth=1
	v_mov_b32_e32 v70, v77
	v_mov_b32_e32 v0, 0x80
	;; [unrolled: 1-line block ×4, first 2 shown]
	v_cmp_ne_u32_sdwa s5, v26, v0 src0_sel:BYTE_3 src1_sel:DWORD
	s_and_saveexec_b32 s24, s5
	s_cbranch_execz .LBB241_1522
; %bb.1517:                             ;   in Loop: Header=BB241_16 Depth=1
	s_clause 0x1
	buffer_load_dword v72, off, s[0:3], s32 offset:200
	buffer_load_dword v73, off, s[0:3], s32 offset:204
	v_bfe_u32 v20, v26, 24, 7
	s_waitcnt vmcnt(1)
	v_mov_b32_e32 v72, v77
	s_mov_b32 s25, exec_lo
	s_waitcnt vmcnt(0)
	v_mov_b32_e32 v1, v73
	buffer_store_dword v0, off, s[0:3], s32 offset:200 ; 4-byte Folded Spill
	buffer_store_dword v1, off, s[0:3], s32 offset:204 ; 4-byte Folded Spill
	v_cmpx_ne_u32_e32 0x7f, v20
	s_cbranch_execz .LBB241_1521
; %bb.1518:                             ;   in Loop: Header=BB241_16 Depth=1
	v_mov_b32_e32 v0, 7
	v_lshrrev_b32_e32 v18, 3, v20
	v_cmp_gt_u32_e64 s5, 8, v20
	v_and_b32_sdwa v76, v26, v0 dst_sel:DWORD dst_unused:UNUSED_PAD src0_sel:BYTE_3 src1_sel:DWORD
	v_mov_b32_e32 v20, v76
	v_mov_b32_e32 v21, v77
	s_and_saveexec_b32 s26, s5
; %bb.1519:                             ;   in Loop: Header=BB241_16 Depth=1
	v_ffbh_u32_e32 v18, v76
	v_min_u32_e32 v18, 32, v18
	v_subrev_nc_u32_e32 v20, 28, v18
	v_sub_nc_u32_e32 v18, 29, v18
	v_lshlrev_b64 v[20:21], v20, v[76:77]
	v_and_b32_e32 v20, 7, v20
; %bb.1520:                             ;   in Loop: Header=BB241_16 Depth=1
	s_or_b32 exec_lo, exec_lo, s26
	v_mov_b32_e32 v0, 24
	v_lshlrev_b32_e32 v20, 20, v20
	v_lshl_add_u32 v18, v18, 23, 0x3c000000
	v_mov_b32_e32 v72, v77
	v_lshlrev_b32_sdwa v14, v0, v26 dst_sel:DWORD dst_unused:UNUSED_PAD src0_sel:DWORD src1_sel:BYTE_3
	v_and_b32_e32 v14, 0x80000000, v14
	v_or3_b32 v73, v20, v14, v18
.LBB241_1521:                           ;   in Loop: Header=BB241_16 Depth=1
	s_or_b32 exec_lo, exec_lo, s25
.LBB241_1522:                           ;   in Loop: Header=BB241_16 Depth=1
	s_or_b32 exec_lo, exec_lo, s24
.LBB241_1523:                           ;   in Loop: Header=BB241_16 Depth=1
	s_or_b32 exec_lo, exec_lo, s23
	flat_load_dword v66, v[30:31] offset:1548
	v_mov_b32_e32 v62, 0
	v_mov_b32_e32 v0, 0
	;; [unrolled: 1-line block ×4, first 2 shown]
	s_waitcnt vmcnt(0) lgkmcnt(0)
	v_cmp_ne_u16_sdwa s5, v66, v77 src0_sel:BYTE_0 src1_sel:DWORD
	s_and_saveexec_b32 s23, s5
	s_cbranch_execz .LBB241_1531
; %bb.1524:                             ;   in Loop: Header=BB241_16 Depth=1
	v_mov_b32_e32 v14, 0x80
	v_bfrev_b32_e32 v0, 1
	v_mov_b32_e32 v1, 0
	v_cmp_ne_u16_sdwa s5, v66, v14 src0_sel:BYTE_0 src1_sel:DWORD
	s_and_saveexec_b32 s24, s5
	s_cbranch_execz .LBB241_1530
; %bb.1525:                             ;   in Loop: Header=BB241_16 Depth=1
	v_mov_b32_e32 v0, 0x7f800001
	v_and_b32_e32 v20, 0x7f, v66
	v_mov_b32_e32 v1, 0
	s_mov_b32 s25, exec_lo
	v_cmpx_ne_u32_e32 0x7f, v20
	s_cbranch_execz .LBB241_1529
; %bb.1526:                             ;   in Loop: Header=BB241_16 Depth=1
	v_and_b32_e32 v76, 7, v66
	v_lshrrev_b32_e32 v18, 3, v20
	v_cmp_gt_u32_e64 s5, 8, v20
	v_mov_b32_e32 v20, v76
	v_mov_b32_e32 v21, v77
	s_and_saveexec_b32 s26, s5
; %bb.1527:                             ;   in Loop: Header=BB241_16 Depth=1
	v_ffbh_u32_e32 v18, v76
	v_min_u32_e32 v18, 32, v18
	v_subrev_nc_u32_e32 v20, 28, v18
	v_sub_nc_u32_e32 v18, 29, v18
	v_lshlrev_b64 v[20:21], v20, v[76:77]
	v_and_b32_e32 v20, 7, v20
; %bb.1528:                             ;   in Loop: Header=BB241_16 Depth=1
	s_or_b32 exec_lo, exec_lo, s26
	v_lshlrev_b32_e32 v14, 24, v66
	v_lshlrev_b32_e32 v20, 20, v20
	v_lshl_add_u32 v18, v18, 23, 0x3c000000
	v_and_b32_e32 v14, 0x80000000, v14
	v_or3_b32 v76, v20, v14, v18
	v_mov_b32_e32 v0, v76
	v_mov_b32_e32 v1, v77
.LBB241_1529:                           ;   in Loop: Header=BB241_16 Depth=1
	s_or_b32 exec_lo, exec_lo, s25
.LBB241_1530:                           ;   in Loop: Header=BB241_16 Depth=1
	s_or_b32 exec_lo, exec_lo, s24
.LBB241_1531:                           ;   in Loop: Header=BB241_16 Depth=1
	s_or_b32 exec_lo, exec_lo, s23
	v_cmp_ne_u16_sdwa s5, v66, v77 src0_sel:BYTE_1 src1_sel:DWORD
	s_and_saveexec_b32 s23, s5
	s_cbranch_execz .LBB241_1539
; %bb.1532:                             ;   in Loop: Header=BB241_16 Depth=1
	v_mov_b32_e32 v70, v77
	v_mov_b32_e32 v14, 0x80
	;; [unrolled: 1-line block ×3, first 2 shown]
	v_cmp_ne_u16_sdwa s5, v66, v14 src0_sel:BYTE_1 src1_sel:DWORD
	v_mov_b32_e32 v63, v71
	s_and_saveexec_b32 s24, s5
	s_cbranch_execz .LBB241_1538
; %bb.1533:                             ;   in Loop: Header=BB241_16 Depth=1
	s_clause 0x1
	buffer_load_dword v62, off, s[0:3], s32 offset:200
	buffer_load_dword v63, off, s[0:3], s32 offset:204
	v_mov_b32_e32 v14, 0xffff
	s_waitcnt vmcnt(1)
	v_mov_b32_e32 v62, v77
	s_mov_b32 s25, exec_lo
	v_and_b32_sdwa v14, v14, v66 dst_sel:DWORD dst_unused:UNUSED_PAD src0_sel:DWORD src1_sel:BYTE_1
	v_and_b32_e32 v20, 0x7f, v14
	s_waitcnt vmcnt(0)
	v_mov_b32_e32 v15, v63
	buffer_store_dword v14, off, s[0:3], s32 offset:200 ; 4-byte Folded Spill
	buffer_store_dword v15, off, s[0:3], s32 offset:204 ; 4-byte Folded Spill
	v_cmpx_ne_u32_e32 0x7f, v20
	s_cbranch_execz .LBB241_1537
; %bb.1534:                             ;   in Loop: Header=BB241_16 Depth=1
	v_and_b32_e32 v76, 7, v14
	v_lshrrev_b32_e32 v18, 3, v20
	v_cmp_gt_u32_e64 s5, 8, v20
	v_mov_b32_e32 v20, v76
	v_mov_b32_e32 v21, v77
	s_and_saveexec_b32 s26, s5
; %bb.1535:                             ;   in Loop: Header=BB241_16 Depth=1
	v_ffbh_u32_e32 v18, v76
	v_min_u32_e32 v18, 32, v18
	v_subrev_nc_u32_e32 v20, 28, v18
	v_sub_nc_u32_e32 v18, 29, v18
	v_lshlrev_b64 v[20:21], v20, v[76:77]
	v_and_b32_e32 v20, 7, v20
; %bb.1536:                             ;   in Loop: Header=BB241_16 Depth=1
	s_or_b32 exec_lo, exec_lo, s26
	v_lshlrev_b32_e32 v14, 16, v66
	v_lshlrev_b32_e32 v20, 20, v20
	v_lshl_add_u32 v18, v18, 23, 0x3c000000
	v_mov_b32_e32 v62, v77
	v_and_b32_e32 v14, 0x80000000, v14
	v_or3_b32 v63, v20, v14, v18
.LBB241_1537:                           ;   in Loop: Header=BB241_16 Depth=1
	s_or_b32 exec_lo, exec_lo, s25
.LBB241_1538:                           ;   in Loop: Header=BB241_16 Depth=1
	s_or_b32 exec_lo, exec_lo, s24
.LBB241_1539:                           ;   in Loop: Header=BB241_16 Depth=1
	s_or_b32 exec_lo, exec_lo, s23
	v_mov_b32_e32 v14, 0xff
	v_mov_b32_e32 v26, 0
	;; [unrolled: 1-line block ×5, first 2 shown]
	v_and_b32_sdwa v14, v66, v14 dst_sel:DWORD dst_unused:UNUSED_PAD src0_sel:WORD_1 src1_sel:DWORD
	s_mov_b32 s23, exec_lo
	v_cmpx_ne_u16_e32 0, v14
	s_cbranch_execz .LBB241_1547
; %bb.1540:                             ;   in Loop: Header=BB241_16 Depth=1
	v_bfrev_b32_e32 v20, 1
	v_mov_b32_e32 v21, 0
	s_mov_b32 s24, exec_lo
	v_cmpx_ne_u16_e32 0x80, v14
	s_cbranch_execz .LBB241_1546
; %bb.1541:                             ;   in Loop: Header=BB241_16 Depth=1
	v_mov_b32_e32 v20, 0x7f800001
	v_bfe_u32 v67, v66, 16, 7
	v_mov_b32_e32 v21, 0
	s_mov_b32 s25, exec_lo
	v_cmpx_ne_u32_e32 0x7f, v67
	s_cbranch_execz .LBB241_1545
; %bb.1542:                             ;   in Loop: Header=BB241_16 Depth=1
	v_mov_b32_e32 v14, 7
	v_lshrrev_b32_e32 v18, 3, v67
	s_mov_b32 s26, exec_lo
	v_and_b32_sdwa v76, v66, v14 dst_sel:DWORD dst_unused:UNUSED_PAD src0_sel:WORD_1 src1_sel:DWORD
	v_mov_b32_e32 v20, v76
	v_mov_b32_e32 v21, v77
	v_cmpx_gt_u32_e32 8, v67
; %bb.1543:                             ;   in Loop: Header=BB241_16 Depth=1
	v_ffbh_u32_e32 v18, v76
	v_min_u32_e32 v18, 32, v18
	v_subrev_nc_u32_e32 v20, 28, v18
	v_sub_nc_u32_e32 v18, 29, v18
	v_lshlrev_b64 v[20:21], v20, v[76:77]
	v_and_b32_e32 v20, 7, v20
; %bb.1544:                             ;   in Loop: Header=BB241_16 Depth=1
	s_or_b32 exec_lo, exec_lo, s26
	v_mov_b32_e32 v14, 24
	v_lshlrev_b32_e32 v20, 20, v20
	v_lshl_add_u32 v18, v18, 23, 0x3c000000
	v_lshlrev_b32_sdwa v14, v14, v66 dst_sel:DWORD dst_unused:UNUSED_PAD src0_sel:DWORD src1_sel:WORD_1
	v_and_b32_e32 v14, 0x80000000, v14
	v_or3_b32 v76, v20, v14, v18
	v_mov_b32_e32 v20, v76
	v_mov_b32_e32 v21, v77
.LBB241_1545:                           ;   in Loop: Header=BB241_16 Depth=1
	s_or_b32 exec_lo, exec_lo, s25
.LBB241_1546:                           ;   in Loop: Header=BB241_16 Depth=1
	s_or_b32 exec_lo, exec_lo, s24
.LBB241_1547:                           ;   in Loop: Header=BB241_16 Depth=1
	s_or_b32 exec_lo, exec_lo, s23
	s_mov_b32 s23, exec_lo
	buffer_store_dword v108, off, s[0:3], s32 offset:1360 ; 4-byte Folded Spill
	buffer_store_dword v19, off, s[0:3], s32 offset:1356 ; 4-byte Folded Spill
	v_cmpx_lt_u32_e32 0xffffff, v66
	s_cbranch_execz .LBB241_14
; %bb.1548:                             ;   in Loop: Header=BB241_16 Depth=1
	v_mov_b32_e32 v70, v77
	v_mov_b32_e32 v14, 0x80
	;; [unrolled: 1-line block ×3, first 2 shown]
	v_cmp_ne_u32_sdwa s5, v66, v14 src0_sel:BYTE_3 src1_sel:DWORD
	v_mov_b32_e32 v27, v71
	s_and_saveexec_b32 s24, s5
	s_cbranch_execz .LBB241_13
; %bb.1549:                             ;   in Loop: Header=BB241_16 Depth=1
	s_clause 0x1
	buffer_load_dword v26, off, s[0:3], s32 offset:200
	buffer_load_dword v27, off, s[0:3], s32 offset:204
	v_bfe_u32 v67, v66, 24, 7
	s_waitcnt vmcnt(1)
	v_mov_b32_e32 v26, v77
	s_mov_b32 s25, exec_lo
	s_waitcnt vmcnt(0)
	v_mov_b32_e32 v14, v27
	buffer_store_dword v13, off, s[0:3], s32 offset:200 ; 4-byte Folded Spill
	buffer_store_dword v14, off, s[0:3], s32 offset:204 ; 4-byte Folded Spill
	v_cmpx_ne_u32_e32 0x7f, v67
	s_cbranch_execz .LBB241_12
; %bb.1550:                             ;   in Loop: Header=BB241_16 Depth=1
	v_mov_b32_e32 v14, 7
	v_lshrrev_b32_e32 v18, 3, v67
	s_mov_b32 s26, exec_lo
	v_and_b32_sdwa v76, v66, v14 dst_sel:DWORD dst_unused:UNUSED_PAD src0_sel:BYTE_3 src1_sel:DWORD
	v_mov_b32_e32 v26, v76
	v_mov_b32_e32 v27, v77
	v_cmpx_gt_u32_e32 8, v67
	s_cbranch_execz .LBB241_11
; %bb.1551:                             ;   in Loop: Header=BB241_16 Depth=1
	v_ffbh_u32_e32 v18, v76
	v_min_u32_e32 v18, 32, v18
	v_subrev_nc_u32_e32 v26, 28, v18
	v_sub_nc_u32_e32 v18, 29, v18
	v_lshlrev_b64 v[26:27], v26, v[76:77]
	v_and_b32_e32 v26, 7, v26
	s_branch .LBB241_11
.LBB241_1552:
	s_or_b32 exec_lo, exec_lo, s22
	s_clause 0xf
	buffer_load_dword v11, off, s[0:3], s32 offset:2412
	buffer_load_dword v10, off, s[0:3], s32 offset:2408
	;; [unrolled: 1-line block ×16, first 2 shown]
.LBB241_1553:
	s_or_b32 exec_lo, exec_lo, s17
	v_mbcnt_lo_u32_b32 v0, -1, 0
	v_max_f32_e32 v4, v108, v108
	s_waitcnt lgkmcnt(0)
	s_lshr_b32 s8, s15, 16
	v_xor_b32_e32 v1, 16, v0
	v_xor_b32_e32 v3, 8, v0
	;; [unrolled: 1-line block ×3, first 2 shown]
	v_cmp_gt_i32_e32 vcc_lo, 32, v1
	v_cndmask_b32_e32 v1, v0, v1, vcc_lo
	v_cmp_gt_i32_e32 vcc_lo, 32, v3
	v_lshlrev_b32_e32 v2, 2, v1
	v_cndmask_b32_e32 v3, v0, v3, vcc_lo
	v_cmp_gt_i32_e32 vcc_lo, 32, v5
	ds_bpermute_b32 v1, v2, v108
	v_lshlrev_b32_e32 v3, 2, v3
	v_cndmask_b32_e32 v5, v0, v5, vcc_lo
	v_lshlrev_b32_e32 v28, 2, v5
	v_xor_b32_e32 v5, 2, v0
	v_cmp_gt_i32_e32 vcc_lo, 32, v5
	v_cndmask_b32_e32 v5, v0, v5, vcc_lo
	s_waitcnt lgkmcnt(0)
	v_max_f32_e32 v1, v1, v1
	v_lshlrev_b32_e32 v27, 2, v5
	v_xor_b32_e32 v5, 1, v0
	v_max_f32_e32 v1, v4, v1
	v_cmp_gt_i32_e32 vcc_lo, 32, v5
	ds_bpermute_b32 v4, v3, v1
	v_cndmask_b32_e32 v5, v0, v5, vcc_lo
	v_lshlrev_b32_e32 v6, 2, v5
	s_waitcnt lgkmcnt(0)
	v_max_f32_e32 v4, v4, v4
	v_max_f32_e32 v1, v1, v4
	ds_bpermute_b32 v4, v28, v1
	s_waitcnt lgkmcnt(0)
	v_max_f32_e32 v4, v4, v4
	v_max_f32_e32 v1, v1, v4
	ds_bpermute_b32 v4, v27, v1
	s_waitcnt lgkmcnt(0)
	v_max_f32_e32 v4, v4, v4
	v_max_f32_e32 v0, v1, v4
	buffer_load_dword v4, off, s[0:3], s32 offset:1576 ; 4-byte Folded Reload
	ds_bpermute_b32 v1, v6, v0
	s_waitcnt vmcnt(0)
	v_cmp_eq_u32_e32 vcc_lo, 0, v4
	buffer_load_dword v4, off, s[0:3], s32 offset:2388 ; 4-byte Folded Reload
	s_waitcnt vmcnt(0)
	v_lshlrev_b32_e32 v4, 2, v4
	s_and_saveexec_b32 s5, vcc_lo
	s_cbranch_execz .LBB241_1555
; %bb.1554:
	s_waitcnt lgkmcnt(0)
	v_max_f32_e32 v1, v1, v1
	v_max_f32_e32 v0, v0, v0
	;; [unrolled: 1-line block ×3, first 2 shown]
	ds_write_b32 v4, v0 offset:768
.LBB241_1555:
	s_or_b32 exec_lo, exec_lo, s5
	buffer_load_dword v0, off, s[0:3], s32 offset:1576 ; 4-byte Folded Reload
	s_waitcnt vmcnt(0) lgkmcnt(0)
	s_waitcnt_vscnt null, 0x0
	s_barrier
	buffer_gl0_inv
	v_cmp_gt_u32_e64 s5, 4, v0
	v_mov_b32_e32 v0, 0xff7fffff
	s_and_saveexec_b32 s6, s5
; %bb.1556:
	ds_read_b32 v0, v16 offset:768
; %bb.1557:
	s_or_b32 exec_lo, exec_lo, s6
	buffer_load_dword v5, off, s[0:3], s32 offset:236 ; 4-byte Folded Reload
	s_waitcnt lgkmcnt(0)
	ds_bpermute_b32 v1, v27, v0
	v_max_f32_e32 v0, v0, v0
	s_waitcnt lgkmcnt(0)
	v_max_f32_e32 v1, v1, v1
	v_max_f32_e32 v0, v0, v1
	ds_bpermute_b32 v1, v6, v0
	s_waitcnt lgkmcnt(0)
	v_max_f32_e32 v1, v1, v1
	v_max_f32_e32 v0, v0, v1
	s_waitcnt vmcnt(0)
	v_subrev_nc_u32_e32 v7, s7, v5
	v_mov_b32_e32 v5, 0
	v_lshl_add_u32 v1, v7, 5, s21
	buffer_load_dword v7, off, s[0:3], s32 offset:208 ; 4-byte Folded Reload
	ds_bpermute_b32 v0, v5, v0
	s_waitcnt vmcnt(0)
	v_min_i32_e32 v1, v1, v7
	buffer_load_dword v7, off, s[0:3], s32 offset:1580 ; 4-byte Folded Reload
	v_subrev_nc_u32_e32 v1, s21, v1
	s_waitcnt vmcnt(0)
	v_cmp_lt_i32_e64 s6, v7, v1
	s_and_saveexec_b32 s9, s6
	s_cbranch_execz .LBB241_1561
; %bb.1558:
	buffer_load_dword v8, off, s[0:3], s32 offset:1580 ; 4-byte Folded Reload
	s_getpc_b64 s[22:23]
	s_add_u32 s22, s22, llvm.amdgcn.dynlds.offset.table@rel32@lo+4
	s_addc_u32 s23, s23, llvm.amdgcn.dynlds.offset.table@rel32@hi+12
	s_ashr_i32 s19, s18, 31
	v_mov_b32_e32 v5, 0
	s_lshl_b64 s[24:25], s[18:19], 2
	s_mov_b32 s15, 0
	s_add_u32 s22, s22, s24
	s_addc_u32 s23, s23, s25
	s_load_dword s7, s[22:23], 0x0
	s_waitcnt vmcnt(0) lgkmcnt(0)
	v_lshl_add_u32 v7, v8, 2, s7
	.p2align	6
.LBB241_1559:                           ; =>This Inner Loop Header: Depth=1
	ds_read_b32 v9, v7
	v_add_nc_u32_e32 v8, 0x80, v8
	v_cmp_ge_i32_e64 s7, v8, v1
	s_or_b32 s15, s7, s15
	s_waitcnt lgkmcnt(0)
	v_sub_f32_e32 v9, v9, v0
	v_mul_f32_e32 v9, 0x3fb8aa3b, v9
	v_exp_f32_e32 v9, v9
	ds_write_b32 v7, v9
	v_add_f32_e32 v5, v5, v9
	v_add_nc_u32_e32 v7, 0x200, v7
	s_andn2_b32 exec_lo, exec_lo, s15
	s_cbranch_execnz .LBB241_1559
; %bb.1560:
	s_or_b32 exec_lo, exec_lo, s15
.LBB241_1561:
	s_or_b32 exec_lo, exec_lo, s9
	ds_bpermute_b32 v2, v2, v5
	s_waitcnt lgkmcnt(0)
	v_add_f32_e32 v2, v5, v2
	ds_bpermute_b32 v3, v3, v2
	s_waitcnt lgkmcnt(0)
	v_add_f32_e32 v2, v2, v3
	;; [unrolled: 3-line block ×5, first 2 shown]
	s_and_saveexec_b32 s7, vcc_lo
; %bb.1562:
	ds_write_b32 v4, v2 offset:784
; %bb.1563:
	s_or_b32 exec_lo, exec_lo, s7
	s_waitcnt lgkmcnt(0)
	s_barrier
	buffer_gl0_inv
	s_and_saveexec_b32 s7, s5
; %bb.1564:
	ds_read_b32 v2, v16 offset:784
; %bb.1565:
	s_or_b32 exec_lo, exec_lo, s7
	s_waitcnt lgkmcnt(0)
	ds_bpermute_b32 v3, v27, v2
	s_waitcnt lgkmcnt(0)
	v_add_f32_e32 v2, v2, v3
	ds_bpermute_b32 v3, v6, v2
	s_waitcnt lgkmcnt(0)
	v_add_f32_e32 v2, v2, v3
	v_mov_b32_e32 v3, 0
	ds_bpermute_b32 v2, v3, v2
	s_and_saveexec_b32 s5, s6
	s_cbranch_execz .LBB241_1568
; %bb.1566:
	s_waitcnt lgkmcnt(0)
	v_add_f32_e32 v4, 0x358637bd, v2
	s_getpc_b64 s[6:7]
	s_add_u32 s6, s6, llvm.amdgcn.dynlds.offset.table@rel32@lo+4
	s_addc_u32 s7, s7, llvm.amdgcn.dynlds.offset.table@rel32@hi+12
	s_ashr_i32 s19, s18, 31
	s_lshl_b64 s[22:23], s[18:19], 2
	v_div_scale_f32 v3, null, v4, v4, 1.0
	v_div_scale_f32 v8, vcc_lo, 1.0, v4, 1.0
	s_add_u32 s6, s6, s22
	v_rcp_f32_e32 v5, v3
	s_addc_u32 s7, s7, s23
	s_load_dword s6, s[6:7], 0x0
	v_fma_f32 v7, -v3, v5, 1.0
	v_fmac_f32_e32 v5, v7, v5
	v_mul_f32_e32 v7, v8, v5
	v_fma_f32 v9, -v3, v7, v8
	v_fmac_f32_e32 v7, v9, v5
	v_fma_f32 v3, -v3, v7, v8
	v_div_fmas_f32 v5, v3, v5, v7
	buffer_load_dword v7, off, s[0:3], s32 offset:1580 ; 4-byte Folded Reload
	v_div_fixup_f32 v4, v5, v4, 1.0
	s_waitcnt vmcnt(0) lgkmcnt(0)
	v_lshl_add_u32 v3, v7, 2, s6
	v_mov_b32_e32 v5, v7
	s_mov_b32 s6, 0
.LBB241_1567:                           ; =>This Inner Loop Header: Depth=1
	ds_read_b32 v7, v3
	v_add_nc_u32_e32 v5, 0x80, v5
	v_cmp_ge_i32_e32 vcc_lo, v5, v1
	s_or_b32 s6, vcc_lo, s6
	s_waitcnt lgkmcnt(0)
	v_mul_f32_e32 v7, v4, v7
	ds_write_b32 v3, v7
	v_add_nc_u32_e32 v3, 0x200, v3
	s_andn2_b32 exec_lo, exec_lo, s6
	s_cbranch_execnz .LBB241_1567
.LBB241_1568:
	s_or_b32 exec_lo, exec_lo, s5
	buffer_load_dword v1, off, s[0:3], s32 offset:1580 ; 4-byte Folded Reload
	s_and_b32 s5, 0xffff, s8
	s_mov_b32 s6, exec_lo
	s_cmp_lg_u32 s5, 0
	s_waitcnt vmcnt(0) lgkmcnt(0)
	s_cselect_b32 s5, -1, 0
	s_barrier
	s_cmp_lg_u32 s5, 0
	buffer_gl0_inv
	s_addc_u32 s5, s13, 0
	v_cmpx_eq_u32_e32 0, v1
	s_cbranch_execz .LBB241_1570
; %bb.1569:
	s_mul_i32 s7, s5, s10
	s_mul_i32 s12, s5, s12
	s_mul_i32 s8, s7, s20
	s_ashr_i32 s13, s12, 31
	s_ashr_i32 s9, s8, 31
	s_lshl_b64 s[12:13], s[12:13], 2
	s_lshl_b64 s[8:9], s[8:9], 2
	s_ashr_i32 s15, s14, 31
	v_add_co_u32 v1, vcc_lo, v32, s8
	v_add_co_ci_u32_e64 v3, null, s9, v26, vcc_lo
	v_add_co_u32 v1, vcc_lo, v1, s12
	v_add_co_ci_u32_e64 v4, null, s13, v3, vcc_lo
	;; [unrolled: 2-line block ×3, first 2 shown]
	s_lshl_b64 s[8:9], s[14:15], 2
	v_add_co_u32 v7, vcc_lo, v3, s12
	v_add_co_ci_u32_e64 v5, null, s13, v5, vcc_lo
	v_add_co_u32 v3, vcc_lo, v1, s8
	v_add_co_ci_u32_e64 v4, null, s9, v4, vcc_lo
	;; [unrolled: 2-line block ×3, first 2 shown]
	flat_store_dword v[3:4], v0
	flat_store_dword v[7:8], v2
.LBB241_1570:
	s_or_b32 exec_lo, exec_lo, s6
	s_ashr_i32 s19, s18, 31
	s_getpc_b64 s[6:7]
	s_add_u32 s6, s6, llvm.amdgcn.dynlds.offset.table@rel32@lo+4
	s_addc_u32 s7, s7, llvm.amdgcn.dynlds.offset.table@rel32@hi+12
	s_lshl_b64 s[8:9], s[18:19], 2
	v_mov_b32_e32 v24, 0
	v_mov_b32_e32 v23, 0
	;; [unrolled: 1-line block ×48, first 2 shown]
	s_add_u32 s6, s6, s8
	s_addc_u32 s7, s7, s9
	s_and_saveexec_b32 s8, s4
	s_cbranch_execz .LBB241_3208
; %bb.1571:
	v_add_co_u32 v1, vcc_lo, v14, v100
	v_max_i32_e32 v117, v30, v103
	s_load_dword s4, s[6:7], 0x0
	v_mov_b32_e32 v41, 0x80
	buffer_store_dword v1, off, s[0:3], s32 offset:1352 ; 4-byte Folded Spill
	v_add_co_ci_u32_e64 v1, null, v15, v101, vcc_lo
	v_cvt_f32_u32_e32 v0, v117
	v_add_co_u32 v2, vcc_lo, v10, v33
	buffer_store_dword v1, off, s[0:3], s32 offset:1356 ; 4-byte Folded Spill
	buffer_load_dword v1, off, s[0:3], s32 offset:1580 ; 4-byte Folded Reload
	v_rcp_iflag_f32_e32 v0, v0
	v_add_co_ci_u32_e64 v3, null, v11, v13, vcc_lo
	buffer_store_dword v2, off, s[0:3], s32 offset:1360 ; 4-byte Folded Spill
	buffer_store_dword v3, off, s[0:3], s32 offset:1364 ; 4-byte Folded Spill
	v_add_nc_u32_e32 v2, -1, v12
	v_mov_b32_e32 v3, 0
	v_mov_b32_e32 v10, 0
	v_mul_f32_e32 v0, 0x4f7ffffe, v0
	v_bfrev_b32_e32 v12, 1
	buffer_store_dword v2, off, s[0:3], s32 offset:1368 ; 4-byte Folded Spill
	v_sub_nc_u32_e32 v2, 0, v117
	buffer_store_dword v3, off, s[0:3], s32 offset:964 ; 4-byte Folded Spill
	v_cvt_u32_f32_e32 v0, v0
	v_mov_b32_e32 v3, 0
	v_mov_b32_e32 v36, 0xffff
	;; [unrolled: 1-line block ×4, first 2 shown]
	v_mul_lo_u32 v2, v2, v0
	buffer_store_dword v3, off, s[0:3], s32 offset:972 ; 4-byte Folded Spill
	v_mov_b32_e32 v3, 0
	v_mov_b32_e32 v18, 0
	;; [unrolled: 1-line block ×5, first 2 shown]
	buffer_store_dword v3, off, s[0:3], s32 offset:980 ; 4-byte Folded Spill
	v_mul_hi_u32 v2, v0, v2
	v_mov_b32_e32 v3, 0
	v_mov_b32_e32 v17, 0
	;; [unrolled: 1-line block ×3, first 2 shown]
	s_lshl_b32 s9, s21, 2
	buffer_store_dword v3, off, s[0:3], s32 offset:988 ; 4-byte Folded Spill
	v_mov_b32_e32 v3, 0
	v_add_nc_u32_e32 v0, v0, v2
	s_waitcnt lgkmcnt(0)
	s_sub_i32 s12, s4, s9
	s_mov_b32 s9, 0
	buffer_store_dword v3, off, s[0:3], s32 offset:996 ; 4-byte Folded Spill
	buffer_store_dword v0, off, s[0:3], s32 offset:1300 ; 4-byte Folded Spill
	v_mov_b32_e32 v0, 0
	v_mov_b32_e32 v3, 0
	buffer_store_dword v0, off, s[0:3], s32 offset:1084 ; 4-byte Folded Spill
	v_mov_b32_e32 v0, 0
	buffer_store_dword v3, off, s[0:3], s32 offset:1004 ; 4-byte Folded Spill
	;; [unrolled: 2-line block ×20, first 2 shown]
	buffer_store_dword v0, off, s[0:3], s32 offset:1164 ; 4-byte Folded Spill
	v_mov_b32_e32 v0, 0
	buffer_store_dword v0, off, s[0:3], s32 offset:1172 ; 4-byte Folded Spill
	v_mov_b32_e32 v0, 0
	;; [unrolled: 2-line block ×16, first 2 shown]
	buffer_store_dword v0, off, s[0:3], s32 offset:1292 ; 4-byte Folded Spill
	s_waitcnt vmcnt(0)
	v_lshlrev_b32_e32 v1, 2, v1
	v_and_b32_e32 v3, 28, v1
	buffer_store_dword v3, off, s[0:3], s32 offset:1372 ; 4-byte Folded Spill
	v_and_b32_e32 v3, 0x7c, v1
	v_or_b32_e32 v1, 0xf80, v1
	buffer_store_dword v3, off, s[0:3], s32 offset:1376 ; 4-byte Folded Spill
	buffer_store_dword v1, off, s[0:3], s32 offset:1380 ; 4-byte Folded Spill
	s_clause 0x1
	buffer_load_dword v0, off, s[0:3], s32 offset:2392
	buffer_load_dword v1, off, s[0:3], s32 offset:2396
	s_branch .LBB241_1574
.LBB241_1572:                           ;   in Loop: Header=BB241_1574 Depth=1
	s_or_b32 exec_lo, exec_lo, s4
	buffer_load_dword v20, off, s[0:3], s32 offset:972 ; 4-byte Folded Reload
	v_mul_f32_e32 v13, v1, v42
	v_mul_f32_e32 v15, v1, v59
	;; [unrolled: 1-line block ×5, first 2 shown]
	v_fmac_f32_e32 v13, v0, v60
	v_fmac_f32_e32 v15, v0, v58
	;; [unrolled: 1-line block ×15, first 2 shown]
	v_mul_f32_e32 v19, v1, v84
	v_mul_f32_e32 v7, v1, v7
	v_fmac_f32_e32 v19, v0, v85
	v_fmac_f32_e32 v7, v0, v56
	;; [unrolled: 1-line block ×6, first 2 shown]
	s_waitcnt vmcnt(0)
	v_add_f32_e32 v20, v20, v13
	buffer_load_dword v13, off, s[0:3], s32 offset:980 ; 4-byte Folded Reload
	buffer_store_dword v20, off, s[0:3], s32 offset:972 ; 4-byte Folded Spill
	buffer_load_dword v20, off, s[0:3], s32 offset:1324 ; 4-byte Folded Reload
	s_waitcnt vmcnt(1)
	v_add_f32_e32 v13, v13, v15
	v_mul_f32_e32 v15, v1, v39
	buffer_store_dword v13, off, s[0:3], s32 offset:980 ; 4-byte Folded Spill
	buffer_load_dword v13, off, s[0:3], s32 offset:988 ; 4-byte Folded Reload
	v_fmac_f32_e32 v15, v0, v69
	v_fmac_f32_e32 v15, v2, v68
	;; [unrolled: 1-line block ×3, first 2 shown]
	s_waitcnt vmcnt(0)
	v_add_f32_e32 v13, v13, v16
	buffer_load_dword v16, off, s[0:3], s32 offset:996 ; 4-byte Folded Reload
	buffer_store_dword v13, off, s[0:3], s32 offset:988 ; 4-byte Folded Spill
	v_mul_f32_e32 v13, v1, v82
	v_fmac_f32_e32 v13, v0, v81
	v_fmac_f32_e32 v13, v2, v80
	;; [unrolled: 1-line block ×3, first 2 shown]
	s_waitcnt vmcnt(0)
	v_add_f32_e32 v16, v16, v17
	v_mul_f32_e32 v17, v1, v40
	buffer_store_dword v16, off, s[0:3], s32 offset:996 ; 4-byte Folded Spill
	buffer_load_dword v16, off, s[0:3], s32 offset:1004 ; 4-byte Folded Reload
	v_fmac_f32_e32 v17, v0, v50
	v_fmac_f32_e32 v17, v2, v37
	;; [unrolled: 1-line block ×3, first 2 shown]
	s_waitcnt vmcnt(0)
	v_add_f32_e32 v16, v16, v18
	v_mul_f32_e32 v18, v1, v34
	buffer_store_dword v16, off, s[0:3], s32 offset:1004 ; 4-byte Folded Spill
	buffer_load_dword v16, off, s[0:3], s32 offset:1012 ; 4-byte Folded Reload
	v_fmac_f32_e32 v18, v0, v33
	v_fmac_f32_e32 v18, v2, v32
	;; [unrolled: 1-line block ×3, first 2 shown]
	s_waitcnt vmcnt(0)
	v_add_f32_e32 v16, v16, v19
	buffer_load_dword v19, off, s[0:3], s32 offset:1036 ; 4-byte Folded Reload
	buffer_store_dword v16, off, s[0:3], s32 offset:1012 ; 4-byte Folded Spill
	buffer_load_dword v16, off, s[0:3], s32 offset:1020 ; 4-byte Folded Reload
	s_waitcnt vmcnt(0)
	v_add_f32_e32 v16, v16, v13
	buffer_load_dword v13, off, s[0:3], s32 offset:1028 ; 4-byte Folded Reload
	buffer_store_dword v16, off, s[0:3], s32 offset:1020 ; 4-byte Folded Spill
	v_mul_f32_e32 v16, v1, v67
	v_fmac_f32_e32 v16, v0, v49
	v_fmac_f32_e32 v16, v2, v48
	v_fmac_f32_e32 v16, v3, v38
	s_waitcnt vmcnt(0)
	v_add_f32_e32 v13, v13, v15
	v_mul_f32_e32 v15, v1, v71
	buffer_store_dword v13, off, s[0:3], s32 offset:1028 ; 4-byte Folded Spill
	v_mul_f32_e32 v13, v1, v66
	v_fmac_f32_e32 v15, v0, v53
	v_fmac_f32_e32 v13, v0, v65
	v_fmac_f32_e32 v15, v2, v52
	v_fmac_f32_e32 v13, v2, v64
	v_fmac_f32_e32 v15, v3, v86
	v_fmac_f32_e32 v13, v3, v54
	v_add_f32_e32 v19, v19, v13
	buffer_load_dword v13, off, s[0:3], s32 offset:1044 ; 4-byte Folded Reload
	buffer_store_dword v19, off, s[0:3], s32 offset:1036 ; 4-byte Folded Spill
	buffer_load_dword v19, off, s[0:3], s32 offset:1316 ; 4-byte Folded Reload
	s_waitcnt vmcnt(1)
	v_add_f32_e32 v13, v13, v15
	v_mul_f32_e32 v15, v1, v102
	buffer_store_dword v13, off, s[0:3], s32 offset:1044 ; 4-byte Folded Spill
	buffer_load_dword v13, off, s[0:3], s32 offset:1052 ; 4-byte Folded Reload
	v_fmac_f32_e32 v15, v0, v119
	v_fmac_f32_e32 v15, v2, v118
	v_fmac_f32_e32 v15, v3, v127
	s_waitcnt vmcnt(0)
	v_add_f32_e32 v13, v13, v16
	v_mul_f32_e32 v16, v1, v126
	buffer_store_dword v13, off, s[0:3], s32 offset:1052 ; 4-byte Folded Spill
	buffer_load_dword v13, off, s[0:3], s32 offset:1060 ; 4-byte Folded Reload
	v_fmac_f32_e32 v16, v0, v125
	v_fmac_f32_e32 v16, v2, v24
	v_fmac_f32_e32 v16, v3, v23
	;; [unrolled: 8-line block ×3, first 2 shown]
	s_waitcnt vmcnt(0)
	v_add_f32_e32 v13, v13, v18
	buffer_load_dword v18, off, s[0:3], s32 offset:1308 ; 4-byte Folded Reload
	buffer_store_dword v13, off, s[0:3], s32 offset:1068 ; 4-byte Folded Spill
	v_mul_f32_e32 v13, v1, v30
	v_fmac_f32_e32 v13, v0, v29
	v_fmac_f32_e32 v13, v2, v57
	;; [unrolled: 1-line block ×3, first 2 shown]
	buffer_load_dword v8, off, s[0:3], s32 offset:1076 ; 4-byte Folded Reload
	s_waitcnt vmcnt(0)
	v_add_f32_e32 v8, v8, v13
	v_mul_f32_e32 v13, v1, v106
	buffer_store_dword v8, off, s[0:3], s32 offset:1076 ; 4-byte Folded Spill
	buffer_load_dword v8, off, s[0:3], s32 offset:1084 ; 4-byte Folded Reload
	v_fmac_f32_e32 v13, v0, v105
	v_fmac_f32_e32 v13, v2, v95
	v_fmac_f32_e32 v13, v3, v94
	s_waitcnt vmcnt(0)
	v_add_f32_e32 v8, v8, v7
	buffer_load_dword v7, off, s[0:3], s32 offset:1092 ; 4-byte Folded Reload
	buffer_store_dword v8, off, s[0:3], s32 offset:1084 ; 4-byte Folded Spill
	v_mul_f32_e32 v8, v1, v110
	v_fmac_f32_e32 v8, v0, v109
	v_fmac_f32_e32 v8, v2, v108
	v_fmac_f32_e32 v8, v3, v107
	s_waitcnt vmcnt(0)
	v_add_f32_e32 v7, v7, v15
	v_mul_f32_e32 v15, v1, v93
	buffer_store_dword v7, off, s[0:3], s32 offset:1092 ; 4-byte Folded Spill
	buffer_load_dword v7, off, s[0:3], s32 offset:1100 ; 4-byte Folded Reload
	v_fmac_f32_e32 v15, v0, v92
	v_fmac_f32_e32 v15, v2, v91
	;; [unrolled: 1-line block ×3, first 2 shown]
	s_waitcnt vmcnt(0)
	v_add_f32_e32 v7, v7, v16
	v_mul_f32_e32 v16, v1, v89
	buffer_store_dword v7, off, s[0:3], s32 offset:1100 ; 4-byte Folded Spill
	buffer_load_dword v7, off, s[0:3], s32 offset:1108 ; 4-byte Folded Reload
	v_fmac_f32_e32 v16, v0, v88
	v_fmac_f32_e32 v16, v2, v79
	;; [unrolled: 1-line block ×3, first 2 shown]
	s_waitcnt vmcnt(0)
	v_add_f32_e32 v7, v7, v17
	buffer_load_dword v17, off, s[0:3], s32 offset:1116 ; 4-byte Folded Reload
	buffer_store_dword v7, off, s[0:3], s32 offset:1108 ; 4-byte Folded Spill
	v_mul_f32_e32 v7, v1, v122
	v_fmac_f32_e32 v7, v0, v121
	v_fmac_f32_e32 v7, v2, v120
	;; [unrolled: 1-line block ×3, first 2 shown]
	s_waitcnt vmcnt(0)
	v_add_f32_e32 v17, v17, v7
	buffer_load_dword v7, off, s[0:3], s32 offset:1124 ; 4-byte Folded Reload
	buffer_store_dword v17, off, s[0:3], s32 offset:1116 ; 4-byte Folded Spill
	buffer_load_dword v17, off, s[0:3], s32 offset:852 ; 4-byte Folded Reload
	s_waitcnt vmcnt(1)
	v_add_f32_e32 v7, v7, v8
	buffer_load_dword v8, off, s[0:3], s32 offset:956 ; 4-byte Folded Reload
	buffer_store_dword v7, off, s[0:3], s32 offset:1124 ; 4-byte Folded Spill
	buffer_load_dword v7, off, s[0:3], s32 offset:1132 ; 4-byte Folded Reload
	s_waitcnt vmcnt(0)
	v_add_f32_e32 v7, v7, v13
	buffer_load_dword v13, off, s[0:3], s32 offset:948 ; 4-byte Folded Reload
	v_mul_f32_e32 v8, v1, v8
	buffer_store_dword v7, off, s[0:3], s32 offset:1132 ; 4-byte Folded Spill
	buffer_load_dword v7, off, s[0:3], s32 offset:1140 ; 4-byte Folded Reload
	s_waitcnt vmcnt(1)
	v_fmac_f32_e32 v8, v0, v13
	buffer_load_dword v13, off, s[0:3], s32 offset:924 ; 4-byte Folded Reload
	s_waitcnt vmcnt(1)
	v_add_f32_e32 v7, v7, v15
	buffer_load_dword v15, off, s[0:3], s32 offset:916 ; 4-byte Folded Reload
	buffer_store_dword v7, off, s[0:3], s32 offset:1140 ; 4-byte Folded Spill
	buffer_load_dword v7, off, s[0:3], s32 offset:1148 ; 4-byte Folded Reload
	s_waitcnt vmcnt(2)
	v_mul_f32_e32 v13, v1, v13
	s_waitcnt vmcnt(1)
	v_fmac_f32_e32 v13, v0, v15
	buffer_load_dword v15, off, s[0:3], s32 offset:892 ; 4-byte Folded Reload
	s_waitcnt vmcnt(1)
	v_add_f32_e32 v7, v7, v16
	buffer_load_dword v16, off, s[0:3], s32 offset:884 ; 4-byte Folded Reload
	buffer_store_dword v7, off, s[0:3], s32 offset:1148 ; 4-byte Folded Spill
	v_mul_f32_e32 v7, v1, v74
	v_fmac_f32_e32 v7, v0, v45
	v_fmac_f32_e32 v7, v2, v73
	;; [unrolled: 1-line block ×3, first 2 shown]
	s_waitcnt vmcnt(1)
	v_mul_f32_e32 v15, v1, v15
	s_waitcnt vmcnt(0)
	v_fmac_f32_e32 v15, v0, v16
	buffer_load_dword v16, off, s[0:3], s32 offset:860 ; 4-byte Folded Reload
	s_waitcnt vmcnt(0)
	v_mul_f32_e32 v16, v1, v16
	v_fmac_f32_e32 v16, v0, v17
	buffer_load_dword v17, off, s[0:3], s32 offset:940 ; 4-byte Folded Reload
	s_waitcnt vmcnt(0)
	v_fmac_f32_e32 v8, v2, v17
	buffer_load_dword v17, off, s[0:3], s32 offset:908 ; 4-byte Folded Reload
	s_waitcnt vmcnt(0)
	;; [unrolled: 3-line block ×9, first 2 shown]
	v_add_f32_e32 v17, v17, v7
	buffer_load_dword v7, off, s[0:3], s32 offset:1164 ; 4-byte Folded Reload
	buffer_store_dword v17, off, s[0:3], s32 offset:1156 ; 4-byte Folded Spill
	buffer_load_dword v17, off, s[0:3], s32 offset:692 ; 4-byte Folded Reload
	s_waitcnt vmcnt(1)
	v_add_f32_e32 v7, v7, v8
	buffer_load_dword v8, off, s[0:3], s32 offset:820 ; 4-byte Folded Reload
	buffer_store_dword v7, off, s[0:3], s32 offset:1164 ; 4-byte Folded Spill
	buffer_load_dword v7, off, s[0:3], s32 offset:1172 ; 4-byte Folded Reload
	s_waitcnt vmcnt(0)
	;; [unrolled: 5-line block ×5, first 2 shown]
	v_mul_f32_e32 v7, v1, v7
	v_fmac_f32_e32 v7, v0, v8
	buffer_load_dword v8, off, s[0:3], s32 offset:796 ; 4-byte Folded Reload
	s_waitcnt vmcnt(0)
	v_mul_f32_e32 v8, v1, v8
	v_fmac_f32_e32 v8, v0, v13
	buffer_load_dword v13, off, s[0:3], s32 offset:764 ; 4-byte Folded Reload
	s_waitcnt vmcnt(0)
	;; [unrolled: 4-line block ×5, first 2 shown]
	v_fmac_f32_e32 v7, v2, v17
	buffer_load_dword v17, off, s[0:3], s32 offset:780 ; 4-byte Folded Reload
	s_waitcnt vmcnt(0)
	v_fmac_f32_e32 v8, v2, v17
	buffer_load_dword v17, off, s[0:3], s32 offset:748 ; 4-byte Folded Reload
	s_waitcnt vmcnt(0)
	;; [unrolled: 3-line block ×9, first 2 shown]
	v_fmac_f32_e32 v16, v3, v17
	buffer_load_dword v17, off, s[0:3], s32 offset:1196 ; 4-byte Folded Reload
	v_add_f32_e32 v19, v19, v16
	buffer_load_dword v16, off, s[0:3], s32 offset:540 ; 4-byte Folded Reload
	s_waitcnt vmcnt(1)
	v_add_f32_e32 v17, v17, v7
	buffer_load_dword v7, off, s[0:3], s32 offset:1204 ; 4-byte Folded Reload
	buffer_store_dword v17, off, s[0:3], s32 offset:1196 ; 4-byte Folded Spill
	buffer_load_dword v17, off, s[0:3], s32 offset:660 ; 4-byte Folded Reload
	s_waitcnt vmcnt(1)
	v_add_f32_e32 v7, v7, v8
	buffer_load_dword v8, off, s[0:3], s32 offset:636 ; 4-byte Folded Reload
	buffer_store_dword v7, off, s[0:3], s32 offset:1204 ; 4-byte Folded Spill
	;; [unrolled: 5-line block ×3, first 2 shown]
	buffer_load_dword v7, off, s[0:3], s32 offset:668 ; 4-byte Folded Reload
	v_add_f32_e32 v18, v18, v15
	buffer_load_dword v15, off, s[0:3], s32 offset:572 ; 4-byte Folded Reload
	s_waitcnt vmcnt(1)
	v_mul_f32_e32 v7, v1, v7
	v_fmac_f32_e32 v7, v0, v17
	buffer_load_dword v17, off, s[0:3], s32 offset:628 ; 4-byte Folded Reload
	v_mul_f32_e32 v8, v1, v8
	s_waitcnt vmcnt(0)
	v_fmac_f32_e32 v8, v0, v17
	buffer_load_dword v17, off, s[0:3], s32 offset:596 ; 4-byte Folded Reload
	v_mul_f32_e32 v13, v1, v13
	s_waitcnt vmcnt(0)
	;; [unrolled: 4-line block ×4, first 2 shown]
	v_fmac_f32_e32 v16, v0, v17
	buffer_load_dword v17, off, s[0:3], s32 offset:652 ; 4-byte Folded Reload
	s_waitcnt vmcnt(0)
	v_fmac_f32_e32 v7, v2, v17
	buffer_load_dword v17, off, s[0:3], s32 offset:620 ; 4-byte Folded Reload
	s_waitcnt vmcnt(0)
	;; [unrolled: 3-line block ×6, first 2 shown]
	v_fmac_f32_e32 v7, v3, v17
	buffer_load_dword v17, off, s[0:3], s32 offset:612 ; 4-byte Folded Reload
	v_add_f32_e32 v20, v20, v7
	buffer_load_dword v7, off, s[0:3], s32 offset:1220 ; 4-byte Folded Reload
	s_waitcnt vmcnt(1)
	v_fmac_f32_e32 v8, v3, v17
	buffer_load_dword v17, off, s[0:3], s32 offset:580 ; 4-byte Folded Reload
	s_waitcnt vmcnt(1)
	v_add_f32_e32 v7, v7, v8
	buffer_store_dword v7, off, s[0:3], s32 offset:1220 ; 4-byte Folded Spill
	buffer_load_dword v7, off, s[0:3], s32 offset:1228 ; 4-byte Folded Reload
	s_waitcnt vmcnt(1)
	v_fmac_f32_e32 v13, v3, v17
	buffer_load_dword v17, off, s[0:3], s32 offset:548 ; 4-byte Folded Reload
	s_waitcnt vmcnt(1)
	v_add_f32_e32 v7, v7, v13
	buffer_store_dword v7, off, s[0:3], s32 offset:1228 ; 4-byte Folded Spill
	;; [unrolled: 7-line block ×3, first 2 shown]
	buffer_load_dword v7, off, s[0:3], s32 offset:1244 ; 4-byte Folded Reload
	s_waitcnt vmcnt(1)
	v_fmac_f32_e32 v16, v3, v17
	s_waitcnt vmcnt(0)
	v_add_f32_e32 v7, v7, v16
	buffer_store_dword v7, off, s[0:3], s32 offset:1244 ; 4-byte Folded Spill
	buffer_load_dword v7, off, s[0:3], s32 offset:508 ; 4-byte Folded Reload
	s_waitcnt vmcnt(0)
	v_mul_f32_e32 v8, v1, v7
	buffer_load_dword v7, off, s[0:3], s32 offset:476 ; 4-byte Folded Reload
	s_waitcnt vmcnt(0)
	v_mul_f32_e32 v13, v1, v7
	;; [unrolled: 3-line block ×5, first 2 shown]
	buffer_load_dword v7, off, s[0:3], s32 offset:500 ; 4-byte Folded Reload
	s_waitcnt vmcnt(0)
	v_fmac_f32_e32 v8, v0, v7
	buffer_load_dword v7, off, s[0:3], s32 offset:468 ; 4-byte Folded Reload
	s_waitcnt vmcnt(0)
	v_fmac_f32_e32 v13, v0, v7
	;; [unrolled: 3-line block ×15, first 2 shown]
	buffer_load_dword v7, off, s[0:3], s32 offset:1252 ; 4-byte Folded Reload
	s_waitcnt vmcnt(0)
	v_add_f32_e32 v7, v7, v8
	buffer_load_dword v8, off, s[0:3], s32 offset:324 ; 4-byte Folded Reload
	buffer_store_dword v7, off, s[0:3], s32 offset:1252 ; 4-byte Folded Spill
	buffer_load_dword v7, off, s[0:3], s32 offset:1260 ; 4-byte Folded Reload
	s_waitcnt vmcnt(0)
	v_add_f32_e32 v7, v7, v13
	buffer_load_dword v13, off, s[0:3], s32 offset:292 ; 4-byte Folded Reload
	v_mul_f32_e32 v8, v1, v8
	buffer_store_dword v7, off, s[0:3], s32 offset:1260 ; 4-byte Folded Spill
	buffer_load_dword v7, off, s[0:3], s32 offset:1268 ; 4-byte Folded Reload
	s_waitcnt vmcnt(0)
	v_add_f32_e32 v7, v7, v15
	buffer_load_dword v15, off, s[0:3], s32 offset:260 ; 4-byte Folded Reload
	v_mul_f32_e32 v13, v1, v13
	buffer_store_dword v7, off, s[0:3], s32 offset:1268 ; 4-byte Folded Spill
	buffer_load_dword v7, off, s[0:3], s32 offset:1332 ; 4-byte Folded Reload
	s_waitcnt vmcnt(1)
	v_mul_f32_e32 v15, v1, v15
	s_waitcnt vmcnt(0)
	v_add_f32_e32 v16, v7, v16
	buffer_load_dword v7, off, s[0:3], s32 offset:1344 ; 4-byte Folded Reload
	s_waitcnt vmcnt(0)
	v_add_f32_e32 v17, v7, v17
	buffer_load_dword v7, off, s[0:3], s32 offset:356 ; 4-byte Folded Reload
	s_waitcnt vmcnt(0)
	v_mul_f32_e32 v7, v1, v7
	v_mul_f32_e32 v1, v1, v11
	buffer_load_dword v11, off, s[0:3], s32 offset:348 ; 4-byte Folded Reload
	v_fmac_f32_e32 v1, v0, v9
	v_fmac_f32_e32 v1, v2, v5
	;; [unrolled: 1-line block ×3, first 2 shown]
	s_waitcnt vmcnt(0)
	v_fmac_f32_e32 v7, v0, v11
	buffer_load_dword v11, off, s[0:3], s32 offset:316 ; 4-byte Folded Reload
	s_waitcnt vmcnt(0)
	v_fmac_f32_e32 v8, v0, v11
	buffer_load_dword v11, off, s[0:3], s32 offset:284 ; 4-byte Folded Reload
	;; [unrolled: 3-line block ×12, first 2 shown]
	s_waitcnt vmcnt(0)
	v_add_f32_e32 v0, v0, v7
	buffer_store_dword v0, off, s[0:3], s32 offset:1276 ; 4-byte Folded Spill
	buffer_load_dword v0, off, s[0:3], s32 offset:1284 ; 4-byte Folded Reload
	s_waitcnt vmcnt(0)
	v_add_f32_e32 v0, v0, v8
	buffer_store_dword v0, off, s[0:3], s32 offset:1284 ; 4-byte Folded Spill
	buffer_load_dword v0, off, s[0:3], s32 offset:1292 ; 4-byte Folded Reload
	s_waitcnt vmcnt(0)
	v_add_f32_e32 v0, v0, v13
	buffer_store_dword v0, off, s[0:3], s32 offset:1292 ; 4-byte Folded Spill
	buffer_load_dword v0, off, s[0:3], s32 offset:1348 ; 4-byte Folded Reload
	s_waitcnt vmcnt(0)
	v_add_f32_e32 v24, v0, v15
	buffer_load_dword v0, off, s[0:3], s32 offset:964 ; 4-byte Folded Reload
	s_waitcnt vmcnt(0)
	v_add_f32_e32 v0, v0, v1
	buffer_store_dword v0, off, s[0:3], s32 offset:964 ; 4-byte Folded Spill
.LBB241_1573:                           ;   in Loop: Header=BB241_1574 Depth=1
	s_or_b32 exec_lo, exec_lo, s13
	buffer_load_dword v1, off, s[0:3], s32 offset:236 ; 4-byte Folded Reload
	v_mov_b32_e32 v0, v72
	v_add_nc_u32_e32 v0, 4, v0
	s_waitcnt vmcnt(0)
	v_cmp_ge_i32_e32 vcc_lo, v0, v1
	s_or_b32 s9, vcc_lo, s9
	s_andn2_b32 exec_lo, exec_lo, s9
	s_cbranch_execz .LBB241_3207
.LBB241_1574:                           ; =>This Inner Loop Header: Depth=1
	s_clause 0x2
	buffer_load_dword v2, off, s[0:3], s32 offset:240
	buffer_load_dword v5, off, s[0:3], s32 offset:220
	buffer_load_dword v7, off, s[0:3], s32 offset:232
	s_waitcnt vmcnt(4)
	v_mov_b32_e32 v72, v0
	v_lshlrev_b32_e32 v0, 5, v0
	s_waitcnt vmcnt(3)
	v_sub_nc_u32_e32 v1, 0, v0
	v_max_i32_e32 v1, v0, v1
	s_waitcnt vmcnt(2)
	v_mul_hi_u32 v2, v1, v2
	s_waitcnt vmcnt(1)
	v_mul_lo_u32 v3, v2, v5
	v_sub_nc_u32_e32 v1, v1, v3
	v_add_nc_u32_e32 v3, 1, v2
	v_sub_nc_u32_e32 v4, v1, v5
	v_cmp_ge_u32_e32 vcc_lo, v1, v5
	v_cndmask_b32_e32 v2, v2, v3, vcc_lo
	v_cndmask_b32_e32 v1, v1, v4, vcc_lo
	v_ashrrev_i32_e32 v3, 31, v0
	v_add_nc_u32_e32 v4, 1, v2
	v_cmp_ge_u32_e32 vcc_lo, v1, v5
	s_waitcnt vmcnt(0)
	v_xor_b32_e32 v3, v3, v7
	v_cndmask_b32_e32 v1, v2, v4, vcc_lo
	v_xor_b32_e32 v1, v1, v3
	v_sub_nc_u32_e32 v1, v1, v3
	s_clause 0x2
	buffer_load_dword v2, off, s[0:3], s32 offset:224
	buffer_load_dword v3, off, s[0:3], s32 offset:228
	buffer_load_dword v4, off, s[0:3], s32 offset:1300
	s_waitcnt vmcnt(2)
	v_add_nc_u32_e32 v2, v1, v2
	s_waitcnt vmcnt(1)
	v_sub_nc_u32_e32 v3, 0, v2
	v_max_i32_e32 v3, v2, v3
	v_ashrrev_i32_e32 v2, 31, v2
	s_waitcnt vmcnt(0)
	v_mul_hi_u32 v4, v3, v4
	v_mul_lo_u32 v4, v4, v117
	v_sub_nc_u32_e32 v3, v3, v4
	v_sub_nc_u32_e32 v4, v3, v117
	v_cmp_ge_u32_e32 vcc_lo, v3, v117
	v_cndmask_b32_e32 v3, v3, v4, vcc_lo
	v_sub_nc_u32_e32 v4, v3, v117
	v_cmp_ge_u32_e32 vcc_lo, v3, v117
	v_cndmask_b32_e32 v3, v3, v4, vcc_lo
	v_xor_b32_e32 v3, v3, v2
	v_sub_nc_u32_e32 v2, v3, v2
	v_cmp_eq_u32_e32 vcc_lo, 0, v2
	buffer_load_dword v2, off, s[0:3], s32 offset:244 ; 4-byte Folded Reload
	s_waitcnt vmcnt(0)
	v_cmp_gt_i32_e64 s4, v1, v2
	s_or_b32 s4, vcc_lo, s4
	s_and_saveexec_b32 s13, s4
	s_cbranch_execz .LBB241_1573
; %bb.1575:                             ;   in Loop: Header=BB241_1574 Depth=1
	buffer_store_dword v24, off, s[0:3], s32 offset:1348 ; 4-byte Folded Spill
	buffer_store_dword v17, off, s[0:3], s32 offset:1344 ; 4-byte Folded Spill
	;; [unrolled: 1-line block ×6, first 2 shown]
	buffer_load_dword v3, off, s[0:3], s32 offset:1352 ; 4-byte Folded Reload
	v_mov_b32_e32 v1, v72
	v_mov_b32_e32 v19, 0
	;; [unrolled: 1-line block ×3, first 2 shown]
	v_ashrrev_i32_e32 v2, 31, v1
	v_lshlrev_b64 v[1:2], 2, v[1:2]
	s_waitcnt vmcnt(0)
	v_add_co_u32 v1, vcc_lo, v3, v1
	buffer_load_dword v3, off, s[0:3], s32 offset:1356 ; 4-byte Folded Reload
	s_waitcnt vmcnt(0)
	v_add_co_ci_u32_e64 v2, null, v3, v2, vcc_lo
	flat_load_dword v1, v[1:2]
	s_clause 0x2
	buffer_load_dword v2, off, s[0:3], s32 offset:1340
	buffer_load_dword v3, off, s[0:3], s32 offset:1360
	;; [unrolled: 1-line block ×3, first 2 shown]
	s_waitcnt vmcnt(0) lgkmcnt(0)
	v_mad_i64_i32 v[17:18], null, v1, v2, v[3:4]
	buffer_load_dword v1, off, s[0:3], s32 offset:1376 ; 4-byte Folded Reload
	v_mov_b32_e32 v4, 0
	v_mov_b32_e32 v5, 0
	s_waitcnt vmcnt(0)
	v_add_co_u32 v15, vcc_lo, v17, v1
	v_add_co_ci_u32_e64 v16, null, 0, v18, vcc_lo
	flat_load_dword v7, v[15:16]
	s_clause 0x1
	buffer_load_dword v1, off, s[0:3], s32 offset:1584
	buffer_load_dword v2, off, s[0:3], s32 offset:1588
	s_waitcnt vmcnt(2) lgkmcnt(0)
	v_cmp_ne_u16_sdwa s15, v7, v10 src0_sel:BYTE_0 src1_sel:DWORD
	s_waitcnt vmcnt(0)
	flat_load_dword v63, v[1:2]
	buffer_load_dword v1, off, s[0:3], s32 offset:1372 ; 4-byte Folded Reload
	s_waitcnt vmcnt(0)
	v_or_b32_e32 v62, v0, v1
	v_lshl_add_u32 v0, v62, 2, s12
	ds_read_b128 v[0:3], v0
	s_and_saveexec_b32 s4, s15
	s_cbranch_execz .LBB241_1583
; %bb.1576:                             ;   in Loop: Header=BB241_1574 Depth=1
	v_bfrev_b32_e32 v4, 1
	v_mov_b32_e32 v5, 0
	v_cmp_ne_u16_sdwa s17, v7, v41 src0_sel:BYTE_0 src1_sel:DWORD
	s_and_saveexec_b32 s15, s17
	s_cbranch_execz .LBB241_1582
; %bb.1577:                             ;   in Loop: Header=BB241_1574 Depth=1
	v_mov_b32_e32 v4, 0x7f800001
	v_and_b32_e32 v8, 0x7f, v7
	v_mov_b32_e32 v5, 0
	s_mov_b32 s17, exec_lo
	v_cmpx_ne_u32_e32 0x7f, v8
	s_cbranch_execz .LBB241_1581
; %bb.1578:                             ;   in Loop: Header=BB241_1574 Depth=1
	v_and_b32_e32 v9, 7, v7
	v_lshrrev_b32_e32 v4, 3, v8
	s_mov_b32 s18, exec_lo
	v_cmpx_gt_u32_e32 8, v8
; %bb.1579:                             ;   in Loop: Header=BB241_1574 Depth=1
	v_ffbh_u32_e32 v4, v9
	v_min_u32_e32 v4, 32, v4
	v_subrev_nc_u32_e32 v5, 28, v4
	v_sub_nc_u32_e32 v4, 29, v4
	v_lshlrev_b64 v[8:9], v5, v[9:10]
	v_and_b32_e32 v9, 7, v8
; %bb.1580:                             ;   in Loop: Header=BB241_1574 Depth=1
	s_or_b32 exec_lo, exec_lo, s18
	v_lshlrev_b32_e32 v5, 24, v7
	v_lshlrev_b32_e32 v8, 20, v9
	v_lshl_add_u32 v4, v4, 23, 0x3c000000
	v_and_b32_e32 v5, 0x80000000, v5
	v_or3_b32 v9, v8, v5, v4
	v_mov_b32_e32 v4, v9
	v_mov_b32_e32 v5, v10
.LBB241_1581:                           ;   in Loop: Header=BB241_1574 Depth=1
	s_or_b32 exec_lo, exec_lo, s17
.LBB241_1582:                           ;   in Loop: Header=BB241_1574 Depth=1
	s_or_b32 exec_lo, exec_lo, s15
.LBB241_1583:                           ;   in Loop: Header=BB241_1574 Depth=1
	s_or_b32 exec_lo, exec_lo, s4
	v_cmp_ne_u16_sdwa s15, v7, v10 src0_sel:BYTE_1 src1_sel:DWORD
	s_and_saveexec_b32 s4, s15
	s_cbranch_execz .LBB241_1591
; %bb.1584:                             ;   in Loop: Header=BB241_1574 Depth=1
	v_mov_b32_e32 v11, v10
	v_mov_b32_e32 v20, v12
	v_cmp_ne_u16_sdwa s17, v7, v41 src0_sel:BYTE_1 src1_sel:DWORD
	v_mov_b32_e32 v19, v11
	s_and_saveexec_b32 s15, s17
	s_cbranch_execz .LBB241_1590
; %bb.1585:                             ;   in Loop: Header=BB241_1574 Depth=1
	v_and_b32_sdwa v8, v36, v7 dst_sel:DWORD dst_unused:UNUSED_PAD src0_sel:DWORD src1_sel:BYTE_1
	v_mov_b32_e32 v13, v10
	v_mov_b32_e32 v20, v14
	s_mov_b32 s17, exec_lo
	v_and_b32_e32 v11, 0x7f, v8
	v_mov_b32_e32 v19, v13
	v_cmpx_ne_u32_e32 0x7f, v11
	s_cbranch_execz .LBB241_1589
; %bb.1586:                             ;   in Loop: Header=BB241_1574 Depth=1
	v_and_b32_e32 v9, 7, v8
	v_lshrrev_b32_e32 v8, 3, v11
	s_mov_b32 s18, exec_lo
	v_cmpx_gt_u32_e32 8, v11
; %bb.1587:                             ;   in Loop: Header=BB241_1574 Depth=1
	v_ffbh_u32_e32 v8, v9
	v_min_u32_e32 v8, 32, v8
	v_subrev_nc_u32_e32 v11, 28, v8
	v_sub_nc_u32_e32 v8, 29, v8
	v_lshlrev_b64 v[19:20], v11, v[9:10]
	v_and_b32_e32 v9, 7, v19
; %bb.1588:                             ;   in Loop: Header=BB241_1574 Depth=1
	s_or_b32 exec_lo, exec_lo, s18
	v_lshlrev_b32_e32 v11, 16, v7
	v_lshlrev_b32_e32 v9, 20, v9
	v_lshl_add_u32 v8, v8, 23, 0x3c000000
	v_mov_b32_e32 v19, v10
	v_and_b32_e32 v11, 0x80000000, v11
	v_or3_b32 v20, v9, v11, v8
.LBB241_1589:                           ;   in Loop: Header=BB241_1574 Depth=1
	s_or_b32 exec_lo, exec_lo, s17
.LBB241_1590:                           ;   in Loop: Header=BB241_1574 Depth=1
	s_or_b32 exec_lo, exec_lo, s15
.LBB241_1591:                           ;   in Loop: Header=BB241_1574 Depth=1
	s_or_b32 exec_lo, exec_lo, s4
	v_mov_b32_e32 v23, 0
	v_mov_b32_e32 v21, 0
	v_and_b32_sdwa v8, v7, v43 dst_sel:DWORD dst_unused:UNUSED_PAD src0_sel:WORD_1 src1_sel:DWORD
	v_mov_b32_e32 v24, 0
	v_mov_b32_e32 v22, 0
	s_mov_b32 s4, exec_lo
	v_cmpx_ne_u16_e32 0, v8
	s_cbranch_execz .LBB241_1599
; %bb.1592:                             ;   in Loop: Header=BB241_1574 Depth=1
	v_bfrev_b32_e32 v21, 1
	v_mov_b32_e32 v22, 0
	s_mov_b32 s15, exec_lo
	v_cmpx_ne_u16_e32 0x80, v8
	s_cbranch_execz .LBB241_1598
; %bb.1593:                             ;   in Loop: Header=BB241_1574 Depth=1
	v_mov_b32_e32 v21, 0x7f800001
	v_bfe_u32 v11, v7, 16, 7
	v_mov_b32_e32 v22, 0
	s_mov_b32 s17, exec_lo
	v_cmpx_ne_u32_e32 0x7f, v11
	s_cbranch_execz .LBB241_1597
; %bb.1594:                             ;   in Loop: Header=BB241_1574 Depth=1
	v_mov_b32_e32 v8, 7
	s_mov_b32 s18, exec_lo
	v_and_b32_sdwa v9, v7, v8 dst_sel:DWORD dst_unused:UNUSED_PAD src0_sel:WORD_1 src1_sel:DWORD
	v_lshrrev_b32_e32 v8, 3, v11
	v_cmpx_gt_u32_e32 8, v11
; %bb.1595:                             ;   in Loop: Header=BB241_1574 Depth=1
	v_ffbh_u32_e32 v8, v9
	v_min_u32_e32 v8, 32, v8
	v_subrev_nc_u32_e32 v11, 28, v8
	v_sub_nc_u32_e32 v8, 29, v8
	v_lshlrev_b64 v[21:22], v11, v[9:10]
	v_and_b32_e32 v9, 7, v21
; %bb.1596:                             ;   in Loop: Header=BB241_1574 Depth=1
	s_or_b32 exec_lo, exec_lo, s18
	v_mov_b32_e32 v11, 24
	v_lshlrev_b32_e32 v9, 20, v9
	v_lshl_add_u32 v8, v8, 23, 0x3c000000
	v_lshlrev_b32_sdwa v11, v11, v7 dst_sel:DWORD dst_unused:UNUSED_PAD src0_sel:DWORD src1_sel:WORD_1
	v_and_b32_e32 v11, 0x80000000, v11
	v_or3_b32 v9, v9, v11, v8
	v_mov_b32_e32 v22, v10
	v_mov_b32_e32 v21, v9
.LBB241_1597:                           ;   in Loop: Header=BB241_1574 Depth=1
	s_or_b32 exec_lo, exec_lo, s17
.LBB241_1598:                           ;   in Loop: Header=BB241_1574 Depth=1
	s_or_b32 exec_lo, exec_lo, s15
.LBB241_1599:                           ;   in Loop: Header=BB241_1574 Depth=1
	s_or_b32 exec_lo, exec_lo, s4
	s_mov_b32 s4, exec_lo
	v_cmpx_lt_u32_e32 0xffffff, v7
	s_cbranch_execz .LBB241_1607
; %bb.1600:                             ;   in Loop: Header=BB241_1574 Depth=1
	v_mov_b32_e32 v11, v10
	v_mov_b32_e32 v24, v12
	v_cmp_ne_u32_sdwa s17, v7, v41 src0_sel:BYTE_3 src1_sel:DWORD
	v_mov_b32_e32 v23, v11
	s_and_saveexec_b32 s15, s17
	s_cbranch_execz .LBB241_1606
; %bb.1601:                             ;   in Loop: Header=BB241_1574 Depth=1
	v_mov_b32_e32 v13, v10
	v_mov_b32_e32 v24, v14
	v_bfe_u32 v11, v7, 24, 7
	s_mov_b32 s17, exec_lo
	v_mov_b32_e32 v23, v13
	v_cmpx_ne_u32_e32 0x7f, v11
	s_cbranch_execz .LBB241_1605
; %bb.1602:                             ;   in Loop: Header=BB241_1574 Depth=1
	v_mov_b32_e32 v8, 7
	s_mov_b32 s18, exec_lo
	v_and_b32_sdwa v9, v7, v8 dst_sel:DWORD dst_unused:UNUSED_PAD src0_sel:BYTE_3 src1_sel:DWORD
	v_lshrrev_b32_e32 v8, 3, v11
	v_cmpx_gt_u32_e32 8, v11
; %bb.1603:                             ;   in Loop: Header=BB241_1574 Depth=1
	v_ffbh_u32_e32 v8, v9
	v_min_u32_e32 v8, 32, v8
	v_subrev_nc_u32_e32 v11, 28, v8
	v_sub_nc_u32_e32 v8, 29, v8
	v_lshlrev_b64 v[23:24], v11, v[9:10]
	v_and_b32_e32 v9, 7, v23
; %bb.1604:                             ;   in Loop: Header=BB241_1574 Depth=1
	s_or_b32 exec_lo, exec_lo, s18
	v_mov_b32_e32 v11, 24
	v_lshlrev_b32_e32 v9, 20, v9
	v_lshl_add_u32 v8, v8, 23, 0x3c000000
	v_mov_b32_e32 v23, v10
	v_lshlrev_b32_sdwa v7, v11, v7 dst_sel:DWORD dst_unused:UNUSED_PAD src0_sel:DWORD src1_sel:BYTE_3
	v_and_b32_e32 v7, 0x80000000, v7
	v_or3_b32 v24, v9, v7, v8
.LBB241_1605:                           ;   in Loop: Header=BB241_1574 Depth=1
	s_or_b32 exec_lo, exec_lo, s17
.LBB241_1606:                           ;   in Loop: Header=BB241_1574 Depth=1
	s_or_b32 exec_lo, exec_lo, s15
.LBB241_1607:                           ;   in Loop: Header=BB241_1574 Depth=1
	s_or_b32 exec_lo, exec_lo, s4
	buffer_load_dword v9, off, s[0:3], s32 offset:1368 ; 4-byte Folded Reload
	v_or_b32_e32 v4, v19, v4
	v_or_b32_e32 v7, v23, v21
	;; [unrolled: 1-line block ×5, first 2 shown]
	s_waitcnt lgkmcnt(1)
	v_mul_f32_e32 v4, v63, v4
	v_or_b32_e32 v77, 2, v62
	v_mul_f32_e32 v5, v63, v5
	v_or_b32_e32 v76, 3, v62
	buffer_store_dword v4, off, s[0:3], s32 offset:252 ; 4-byte Folded Spill
	v_mul_f32_e32 v4, v63, v7
	buffer_store_dword v5, off, s[0:3], s32 offset:260 ; 4-byte Folded Spill
	buffer_store_dword v4, off, s[0:3], s32 offset:248 ; 4-byte Folded Spill
	v_mul_f32_e32 v4, v63, v8
	buffer_store_dword v4, off, s[0:3], s32 offset:212 ; 4-byte Folded Spill
	s_waitcnt vmcnt(0)
	v_cmp_eq_u32_e32 vcc_lo, v72, v9
	s_and_saveexec_b32 s15, vcc_lo
	s_cbranch_execz .LBB241_1609
; %bb.1608:                             ;   in Loop: Header=BB241_1574 Depth=1
	s_clause 0x1
	buffer_load_dword v4, off, s[0:3], s32 offset:208
	buffer_load_dword v5, off, s[0:3], s32 offset:252
	s_waitcnt vmcnt(1)
	v_cmp_lt_i32_e64 s4, v62, v4
	s_waitcnt vmcnt(0)
	v_cndmask_b32_e64 v5, 0, v5, s4
	v_cmp_lt_i32_e64 s4, v78, v4
	buffer_store_dword v5, off, s[0:3], s32 offset:252 ; 4-byte Folded Spill
	buffer_load_dword v5, off, s[0:3], s32 offset:260 ; 4-byte Folded Reload
	s_waitcnt vmcnt(0)
	v_cndmask_b32_e64 v5, 0, v5, s4
	v_cmp_lt_i32_e64 s4, v77, v4
	buffer_store_dword v5, off, s[0:3], s32 offset:260 ; 4-byte Folded Spill
	buffer_load_dword v5, off, s[0:3], s32 offset:248 ; 4-byte Folded Reload
	s_waitcnt vmcnt(0)
	v_cndmask_b32_e64 v5, 0, v5, s4
	v_cmp_lt_i32_e64 s4, v76, v4
	buffer_load_dword v4, off, s[0:3], s32 offset:212 ; 4-byte Folded Reload
	buffer_store_dword v5, off, s[0:3], s32 offset:248 ; 4-byte Folded Spill
	s_waitcnt vmcnt(0)
	v_cndmask_b32_e64 v4, 0, v4, s4
	buffer_store_dword v4, off, s[0:3], s32 offset:212 ; 4-byte Folded Spill
.LBB241_1609:                           ;   in Loop: Header=BB241_1574 Depth=1
	s_or_b32 exec_lo, exec_lo, s15
	flat_load_dword v7, v[15:16] offset:128
	v_mov_b32_e32 v19, 0
	v_mov_b32_e32 v4, 0
	;; [unrolled: 1-line block ×4, first 2 shown]
	s_waitcnt vmcnt(0) lgkmcnt(0)
	v_cmp_ne_u16_sdwa s4, v7, v10 src0_sel:BYTE_0 src1_sel:DWORD
	s_and_saveexec_b32 s15, s4
	s_cbranch_execz .LBB241_1617
; %bb.1610:                             ;   in Loop: Header=BB241_1574 Depth=1
	v_bfrev_b32_e32 v4, 1
	v_mov_b32_e32 v5, 0
	v_cmp_ne_u16_sdwa s4, v7, v41 src0_sel:BYTE_0 src1_sel:DWORD
	s_and_saveexec_b32 s17, s4
	s_cbranch_execz .LBB241_1616
; %bb.1611:                             ;   in Loop: Header=BB241_1574 Depth=1
	v_mov_b32_e32 v4, 0x7f800001
	v_and_b32_e32 v8, 0x7f, v7
	v_mov_b32_e32 v5, 0
	s_mov_b32 s18, exec_lo
	v_cmpx_ne_u32_e32 0x7f, v8
	s_cbranch_execz .LBB241_1615
; %bb.1612:                             ;   in Loop: Header=BB241_1574 Depth=1
	v_and_b32_e32 v9, 7, v7
	v_lshrrev_b32_e32 v4, 3, v8
	s_mov_b32 s19, exec_lo
	v_cmpx_gt_u32_e32 8, v8
; %bb.1613:                             ;   in Loop: Header=BB241_1574 Depth=1
	v_ffbh_u32_e32 v4, v9
	v_min_u32_e32 v4, 32, v4
	v_subrev_nc_u32_e32 v5, 28, v4
	v_sub_nc_u32_e32 v4, 29, v4
	v_lshlrev_b64 v[8:9], v5, v[9:10]
	v_and_b32_e32 v9, 7, v8
; %bb.1614:                             ;   in Loop: Header=BB241_1574 Depth=1
	s_or_b32 exec_lo, exec_lo, s19
	v_lshlrev_b32_e32 v5, 24, v7
	v_lshlrev_b32_e32 v8, 20, v9
	v_lshl_add_u32 v4, v4, 23, 0x3c000000
	v_and_b32_e32 v5, 0x80000000, v5
	v_or3_b32 v9, v8, v5, v4
	v_mov_b32_e32 v4, v9
	v_mov_b32_e32 v5, v10
.LBB241_1615:                           ;   in Loop: Header=BB241_1574 Depth=1
	s_or_b32 exec_lo, exec_lo, s18
.LBB241_1616:                           ;   in Loop: Header=BB241_1574 Depth=1
	s_or_b32 exec_lo, exec_lo, s17
.LBB241_1617:                           ;   in Loop: Header=BB241_1574 Depth=1
	s_or_b32 exec_lo, exec_lo, s15
	v_cmp_ne_u16_sdwa s4, v7, v10 src0_sel:BYTE_1 src1_sel:DWORD
	s_and_saveexec_b32 s15, s4
	s_cbranch_execz .LBB241_1625
; %bb.1618:                             ;   in Loop: Header=BB241_1574 Depth=1
	v_mov_b32_e32 v11, v10
	v_mov_b32_e32 v20, v12
	v_cmp_ne_u16_sdwa s4, v7, v41 src0_sel:BYTE_1 src1_sel:DWORD
	v_mov_b32_e32 v19, v11
	s_and_saveexec_b32 s17, s4
	s_cbranch_execz .LBB241_1624
; %bb.1619:                             ;   in Loop: Header=BB241_1574 Depth=1
	v_and_b32_sdwa v8, v36, v7 dst_sel:DWORD dst_unused:UNUSED_PAD src0_sel:DWORD src1_sel:BYTE_1
	v_mov_b32_e32 v13, v10
	v_mov_b32_e32 v20, v14
	s_mov_b32 s18, exec_lo
	v_and_b32_e32 v11, 0x7f, v8
	v_mov_b32_e32 v19, v13
	v_cmpx_ne_u32_e32 0x7f, v11
	s_cbranch_execz .LBB241_1623
; %bb.1620:                             ;   in Loop: Header=BB241_1574 Depth=1
	v_and_b32_e32 v9, 7, v8
	v_lshrrev_b32_e32 v8, 3, v11
	s_mov_b32 s19, exec_lo
	v_cmpx_gt_u32_e32 8, v11
; %bb.1621:                             ;   in Loop: Header=BB241_1574 Depth=1
	v_ffbh_u32_e32 v8, v9
	v_min_u32_e32 v8, 32, v8
	v_subrev_nc_u32_e32 v11, 28, v8
	v_sub_nc_u32_e32 v8, 29, v8
	v_lshlrev_b64 v[19:20], v11, v[9:10]
	v_and_b32_e32 v9, 7, v19
; %bb.1622:                             ;   in Loop: Header=BB241_1574 Depth=1
	s_or_b32 exec_lo, exec_lo, s19
	v_lshlrev_b32_e32 v11, 16, v7
	v_lshlrev_b32_e32 v9, 20, v9
	v_lshl_add_u32 v8, v8, 23, 0x3c000000
	v_mov_b32_e32 v19, v10
	v_and_b32_e32 v11, 0x80000000, v11
	v_or3_b32 v20, v9, v11, v8
.LBB241_1623:                           ;   in Loop: Header=BB241_1574 Depth=1
	s_or_b32 exec_lo, exec_lo, s18
.LBB241_1624:                           ;   in Loop: Header=BB241_1574 Depth=1
	s_or_b32 exec_lo, exec_lo, s17
.LBB241_1625:                           ;   in Loop: Header=BB241_1574 Depth=1
	s_or_b32 exec_lo, exec_lo, s15
	v_mov_b32_e32 v23, 0
	v_mov_b32_e32 v21, 0
	v_and_b32_sdwa v8, v7, v43 dst_sel:DWORD dst_unused:UNUSED_PAD src0_sel:WORD_1 src1_sel:DWORD
	v_mov_b32_e32 v24, 0
	v_mov_b32_e32 v22, 0
	s_mov_b32 s15, exec_lo
	v_cmpx_ne_u16_e32 0, v8
	s_cbranch_execz .LBB241_1633
; %bb.1626:                             ;   in Loop: Header=BB241_1574 Depth=1
	v_bfrev_b32_e32 v21, 1
	v_mov_b32_e32 v22, 0
	s_mov_b32 s17, exec_lo
	v_cmpx_ne_u16_e32 0x80, v8
	s_cbranch_execz .LBB241_1632
; %bb.1627:                             ;   in Loop: Header=BB241_1574 Depth=1
	v_mov_b32_e32 v21, 0x7f800001
	v_bfe_u32 v11, v7, 16, 7
	v_mov_b32_e32 v22, 0
	s_mov_b32 s18, exec_lo
	v_cmpx_ne_u32_e32 0x7f, v11
	s_cbranch_execz .LBB241_1631
; %bb.1628:                             ;   in Loop: Header=BB241_1574 Depth=1
	v_mov_b32_e32 v8, 7
	s_mov_b32 s19, exec_lo
	v_and_b32_sdwa v9, v7, v8 dst_sel:DWORD dst_unused:UNUSED_PAD src0_sel:WORD_1 src1_sel:DWORD
	v_lshrrev_b32_e32 v8, 3, v11
	v_cmpx_gt_u32_e32 8, v11
; %bb.1629:                             ;   in Loop: Header=BB241_1574 Depth=1
	v_ffbh_u32_e32 v8, v9
	v_min_u32_e32 v8, 32, v8
	v_subrev_nc_u32_e32 v11, 28, v8
	v_sub_nc_u32_e32 v8, 29, v8
	v_lshlrev_b64 v[21:22], v11, v[9:10]
	v_and_b32_e32 v9, 7, v21
; %bb.1630:                             ;   in Loop: Header=BB241_1574 Depth=1
	s_or_b32 exec_lo, exec_lo, s19
	v_mov_b32_e32 v11, 24
	v_lshlrev_b32_e32 v9, 20, v9
	v_lshl_add_u32 v8, v8, 23, 0x3c000000
	v_lshlrev_b32_sdwa v11, v11, v7 dst_sel:DWORD dst_unused:UNUSED_PAD src0_sel:DWORD src1_sel:WORD_1
	v_and_b32_e32 v11, 0x80000000, v11
	v_or3_b32 v9, v9, v11, v8
	v_mov_b32_e32 v22, v10
	v_mov_b32_e32 v21, v9
.LBB241_1631:                           ;   in Loop: Header=BB241_1574 Depth=1
	s_or_b32 exec_lo, exec_lo, s18
.LBB241_1632:                           ;   in Loop: Header=BB241_1574 Depth=1
	s_or_b32 exec_lo, exec_lo, s17
.LBB241_1633:                           ;   in Loop: Header=BB241_1574 Depth=1
	s_or_b32 exec_lo, exec_lo, s15
	s_mov_b32 s15, exec_lo
	v_cmpx_lt_u32_e32 0xffffff, v7
	s_cbranch_execz .LBB241_1641
; %bb.1634:                             ;   in Loop: Header=BB241_1574 Depth=1
	v_mov_b32_e32 v11, v10
	v_mov_b32_e32 v24, v12
	v_cmp_ne_u32_sdwa s4, v7, v41 src0_sel:BYTE_3 src1_sel:DWORD
	v_mov_b32_e32 v23, v11
	s_and_saveexec_b32 s17, s4
	s_cbranch_execz .LBB241_1640
; %bb.1635:                             ;   in Loop: Header=BB241_1574 Depth=1
	v_mov_b32_e32 v13, v10
	v_mov_b32_e32 v24, v14
	v_bfe_u32 v11, v7, 24, 7
	s_mov_b32 s18, exec_lo
	v_mov_b32_e32 v23, v13
	v_cmpx_ne_u32_e32 0x7f, v11
	s_cbranch_execz .LBB241_1639
; %bb.1636:                             ;   in Loop: Header=BB241_1574 Depth=1
	v_mov_b32_e32 v8, 7
	s_mov_b32 s19, exec_lo
	v_and_b32_sdwa v9, v7, v8 dst_sel:DWORD dst_unused:UNUSED_PAD src0_sel:BYTE_3 src1_sel:DWORD
	v_lshrrev_b32_e32 v8, 3, v11
	v_cmpx_gt_u32_e32 8, v11
; %bb.1637:                             ;   in Loop: Header=BB241_1574 Depth=1
	v_ffbh_u32_e32 v8, v9
	v_min_u32_e32 v8, 32, v8
	v_subrev_nc_u32_e32 v11, 28, v8
	v_sub_nc_u32_e32 v8, 29, v8
	v_lshlrev_b64 v[23:24], v11, v[9:10]
	v_and_b32_e32 v9, 7, v23
; %bb.1638:                             ;   in Loop: Header=BB241_1574 Depth=1
	s_or_b32 exec_lo, exec_lo, s19
	v_mov_b32_e32 v11, 24
	v_lshlrev_b32_e32 v9, 20, v9
	v_lshl_add_u32 v8, v8, 23, 0x3c000000
	v_mov_b32_e32 v23, v10
	v_lshlrev_b32_sdwa v7, v11, v7 dst_sel:DWORD dst_unused:UNUSED_PAD src0_sel:DWORD src1_sel:BYTE_3
	v_and_b32_e32 v7, 0x80000000, v7
	v_or3_b32 v24, v9, v7, v8
.LBB241_1639:                           ;   in Loop: Header=BB241_1574 Depth=1
	s_or_b32 exec_lo, exec_lo, s18
.LBB241_1640:                           ;   in Loop: Header=BB241_1574 Depth=1
	s_or_b32 exec_lo, exec_lo, s17
.LBB241_1641:                           ;   in Loop: Header=BB241_1574 Depth=1
	s_or_b32 exec_lo, exec_lo, s15
	v_or_b32_e32 v4, v19, v4
	v_or_b32_e32 v7, v23, v21
	;; [unrolled: 1-line block ×4, first 2 shown]
	v_mul_f32_e32 v4, v63, v4
	v_mul_f32_e32 v5, v63, v5
	buffer_store_dword v4, off, s[0:3], s32 offset:284 ; 4-byte Folded Spill
	v_mul_f32_e32 v4, v63, v7
	buffer_store_dword v5, off, s[0:3], s32 offset:292 ; 4-byte Folded Spill
	buffer_store_dword v4, off, s[0:3], s32 offset:276 ; 4-byte Folded Spill
	v_mul_f32_e32 v4, v63, v8
	buffer_store_dword v4, off, s[0:3], s32 offset:268 ; 4-byte Folded Spill
	s_and_saveexec_b32 s15, vcc_lo
	s_cbranch_execz .LBB241_1643
; %bb.1642:                             ;   in Loop: Header=BB241_1574 Depth=1
	s_clause 0x1
	buffer_load_dword v4, off, s[0:3], s32 offset:208
	buffer_load_dword v5, off, s[0:3], s32 offset:284
	s_waitcnt vmcnt(1)
	v_cmp_lt_i32_e64 s4, v62, v4
	s_waitcnt vmcnt(0)
	v_cndmask_b32_e64 v5, 0, v5, s4
	v_cmp_lt_i32_e64 s4, v78, v4
	buffer_store_dword v5, off, s[0:3], s32 offset:284 ; 4-byte Folded Spill
	buffer_load_dword v5, off, s[0:3], s32 offset:292 ; 4-byte Folded Reload
	s_waitcnt vmcnt(0)
	v_cndmask_b32_e64 v5, 0, v5, s4
	v_cmp_lt_i32_e64 s4, v77, v4
	buffer_store_dword v5, off, s[0:3], s32 offset:292 ; 4-byte Folded Spill
	buffer_load_dword v5, off, s[0:3], s32 offset:276 ; 4-byte Folded Reload
	s_waitcnt vmcnt(0)
	v_cndmask_b32_e64 v5, 0, v5, s4
	v_cmp_lt_i32_e64 s4, v76, v4
	buffer_load_dword v4, off, s[0:3], s32 offset:268 ; 4-byte Folded Reload
	buffer_store_dword v5, off, s[0:3], s32 offset:276 ; 4-byte Folded Spill
	s_waitcnt vmcnt(0)
	v_cndmask_b32_e64 v4, 0, v4, s4
	buffer_store_dword v4, off, s[0:3], s32 offset:268 ; 4-byte Folded Spill
.LBB241_1643:                           ;   in Loop: Header=BB241_1574 Depth=1
	s_or_b32 exec_lo, exec_lo, s15
	flat_load_dword v7, v[15:16] offset:256
	v_mov_b32_e32 v19, 0
	v_mov_b32_e32 v4, 0
	;; [unrolled: 1-line block ×4, first 2 shown]
	s_waitcnt vmcnt(0) lgkmcnt(0)
	v_cmp_ne_u16_sdwa s4, v7, v10 src0_sel:BYTE_0 src1_sel:DWORD
	s_and_saveexec_b32 s15, s4
	s_cbranch_execz .LBB241_1651
; %bb.1644:                             ;   in Loop: Header=BB241_1574 Depth=1
	v_bfrev_b32_e32 v4, 1
	v_mov_b32_e32 v5, 0
	v_cmp_ne_u16_sdwa s4, v7, v41 src0_sel:BYTE_0 src1_sel:DWORD
	s_and_saveexec_b32 s17, s4
	s_cbranch_execz .LBB241_1650
; %bb.1645:                             ;   in Loop: Header=BB241_1574 Depth=1
	v_mov_b32_e32 v4, 0x7f800001
	v_and_b32_e32 v8, 0x7f, v7
	v_mov_b32_e32 v5, 0
	s_mov_b32 s18, exec_lo
	v_cmpx_ne_u32_e32 0x7f, v8
	s_cbranch_execz .LBB241_1649
; %bb.1646:                             ;   in Loop: Header=BB241_1574 Depth=1
	v_and_b32_e32 v9, 7, v7
	v_lshrrev_b32_e32 v4, 3, v8
	s_mov_b32 s19, exec_lo
	v_cmpx_gt_u32_e32 8, v8
; %bb.1647:                             ;   in Loop: Header=BB241_1574 Depth=1
	v_ffbh_u32_e32 v4, v9
	v_min_u32_e32 v4, 32, v4
	v_subrev_nc_u32_e32 v5, 28, v4
	v_sub_nc_u32_e32 v4, 29, v4
	v_lshlrev_b64 v[8:9], v5, v[9:10]
	v_and_b32_e32 v9, 7, v8
; %bb.1648:                             ;   in Loop: Header=BB241_1574 Depth=1
	s_or_b32 exec_lo, exec_lo, s19
	v_lshlrev_b32_e32 v5, 24, v7
	v_lshlrev_b32_e32 v8, 20, v9
	v_lshl_add_u32 v4, v4, 23, 0x3c000000
	v_and_b32_e32 v5, 0x80000000, v5
	v_or3_b32 v9, v8, v5, v4
	v_mov_b32_e32 v4, v9
	v_mov_b32_e32 v5, v10
.LBB241_1649:                           ;   in Loop: Header=BB241_1574 Depth=1
	s_or_b32 exec_lo, exec_lo, s18
.LBB241_1650:                           ;   in Loop: Header=BB241_1574 Depth=1
	s_or_b32 exec_lo, exec_lo, s17
.LBB241_1651:                           ;   in Loop: Header=BB241_1574 Depth=1
	s_or_b32 exec_lo, exec_lo, s15
	v_cmp_ne_u16_sdwa s4, v7, v10 src0_sel:BYTE_1 src1_sel:DWORD
	s_and_saveexec_b32 s15, s4
	s_cbranch_execz .LBB241_1659
; %bb.1652:                             ;   in Loop: Header=BB241_1574 Depth=1
	v_mov_b32_e32 v11, v10
	v_mov_b32_e32 v20, v12
	v_cmp_ne_u16_sdwa s4, v7, v41 src0_sel:BYTE_1 src1_sel:DWORD
	v_mov_b32_e32 v19, v11
	s_and_saveexec_b32 s17, s4
	s_cbranch_execz .LBB241_1658
; %bb.1653:                             ;   in Loop: Header=BB241_1574 Depth=1
	v_and_b32_sdwa v8, v36, v7 dst_sel:DWORD dst_unused:UNUSED_PAD src0_sel:DWORD src1_sel:BYTE_1
	v_mov_b32_e32 v13, v10
	v_mov_b32_e32 v20, v14
	s_mov_b32 s18, exec_lo
	v_and_b32_e32 v11, 0x7f, v8
	v_mov_b32_e32 v19, v13
	v_cmpx_ne_u32_e32 0x7f, v11
	s_cbranch_execz .LBB241_1657
; %bb.1654:                             ;   in Loop: Header=BB241_1574 Depth=1
	v_and_b32_e32 v9, 7, v8
	v_lshrrev_b32_e32 v8, 3, v11
	s_mov_b32 s19, exec_lo
	v_cmpx_gt_u32_e32 8, v11
; %bb.1655:                             ;   in Loop: Header=BB241_1574 Depth=1
	v_ffbh_u32_e32 v8, v9
	v_min_u32_e32 v8, 32, v8
	v_subrev_nc_u32_e32 v11, 28, v8
	v_sub_nc_u32_e32 v8, 29, v8
	v_lshlrev_b64 v[19:20], v11, v[9:10]
	v_and_b32_e32 v9, 7, v19
; %bb.1656:                             ;   in Loop: Header=BB241_1574 Depth=1
	s_or_b32 exec_lo, exec_lo, s19
	v_lshlrev_b32_e32 v11, 16, v7
	v_lshlrev_b32_e32 v9, 20, v9
	v_lshl_add_u32 v8, v8, 23, 0x3c000000
	v_mov_b32_e32 v19, v10
	v_and_b32_e32 v11, 0x80000000, v11
	v_or3_b32 v20, v9, v11, v8
.LBB241_1657:                           ;   in Loop: Header=BB241_1574 Depth=1
	s_or_b32 exec_lo, exec_lo, s18
.LBB241_1658:                           ;   in Loop: Header=BB241_1574 Depth=1
	s_or_b32 exec_lo, exec_lo, s17
.LBB241_1659:                           ;   in Loop: Header=BB241_1574 Depth=1
	s_or_b32 exec_lo, exec_lo, s15
	v_mov_b32_e32 v23, 0
	v_mov_b32_e32 v21, 0
	v_and_b32_sdwa v8, v7, v43 dst_sel:DWORD dst_unused:UNUSED_PAD src0_sel:WORD_1 src1_sel:DWORD
	v_mov_b32_e32 v24, 0
	v_mov_b32_e32 v22, 0
	s_mov_b32 s15, exec_lo
	v_cmpx_ne_u16_e32 0, v8
	s_cbranch_execz .LBB241_1667
; %bb.1660:                             ;   in Loop: Header=BB241_1574 Depth=1
	v_bfrev_b32_e32 v21, 1
	v_mov_b32_e32 v22, 0
	s_mov_b32 s17, exec_lo
	v_cmpx_ne_u16_e32 0x80, v8
	s_cbranch_execz .LBB241_1666
; %bb.1661:                             ;   in Loop: Header=BB241_1574 Depth=1
	v_mov_b32_e32 v21, 0x7f800001
	v_bfe_u32 v11, v7, 16, 7
	v_mov_b32_e32 v22, 0
	s_mov_b32 s18, exec_lo
	v_cmpx_ne_u32_e32 0x7f, v11
	s_cbranch_execz .LBB241_1665
; %bb.1662:                             ;   in Loop: Header=BB241_1574 Depth=1
	v_mov_b32_e32 v8, 7
	s_mov_b32 s19, exec_lo
	v_and_b32_sdwa v9, v7, v8 dst_sel:DWORD dst_unused:UNUSED_PAD src0_sel:WORD_1 src1_sel:DWORD
	v_lshrrev_b32_e32 v8, 3, v11
	v_cmpx_gt_u32_e32 8, v11
; %bb.1663:                             ;   in Loop: Header=BB241_1574 Depth=1
	v_ffbh_u32_e32 v8, v9
	v_min_u32_e32 v8, 32, v8
	v_subrev_nc_u32_e32 v11, 28, v8
	v_sub_nc_u32_e32 v8, 29, v8
	v_lshlrev_b64 v[21:22], v11, v[9:10]
	v_and_b32_e32 v9, 7, v21
; %bb.1664:                             ;   in Loop: Header=BB241_1574 Depth=1
	s_or_b32 exec_lo, exec_lo, s19
	v_mov_b32_e32 v11, 24
	v_lshlrev_b32_e32 v9, 20, v9
	v_lshl_add_u32 v8, v8, 23, 0x3c000000
	v_lshlrev_b32_sdwa v11, v11, v7 dst_sel:DWORD dst_unused:UNUSED_PAD src0_sel:DWORD src1_sel:WORD_1
	v_and_b32_e32 v11, 0x80000000, v11
	v_or3_b32 v9, v9, v11, v8
	v_mov_b32_e32 v22, v10
	v_mov_b32_e32 v21, v9
.LBB241_1665:                           ;   in Loop: Header=BB241_1574 Depth=1
	s_or_b32 exec_lo, exec_lo, s18
.LBB241_1666:                           ;   in Loop: Header=BB241_1574 Depth=1
	s_or_b32 exec_lo, exec_lo, s17
.LBB241_1667:                           ;   in Loop: Header=BB241_1574 Depth=1
	s_or_b32 exec_lo, exec_lo, s15
	s_mov_b32 s15, exec_lo
	v_cmpx_lt_u32_e32 0xffffff, v7
	s_cbranch_execz .LBB241_1675
; %bb.1668:                             ;   in Loop: Header=BB241_1574 Depth=1
	v_mov_b32_e32 v11, v10
	v_mov_b32_e32 v24, v12
	v_cmp_ne_u32_sdwa s4, v7, v41 src0_sel:BYTE_3 src1_sel:DWORD
	v_mov_b32_e32 v23, v11
	s_and_saveexec_b32 s17, s4
	s_cbranch_execz .LBB241_1674
; %bb.1669:                             ;   in Loop: Header=BB241_1574 Depth=1
	v_mov_b32_e32 v13, v10
	v_mov_b32_e32 v24, v14
	v_bfe_u32 v11, v7, 24, 7
	s_mov_b32 s18, exec_lo
	v_mov_b32_e32 v23, v13
	v_cmpx_ne_u32_e32 0x7f, v11
	s_cbranch_execz .LBB241_1673
; %bb.1670:                             ;   in Loop: Header=BB241_1574 Depth=1
	v_mov_b32_e32 v8, 7
	s_mov_b32 s19, exec_lo
	v_and_b32_sdwa v9, v7, v8 dst_sel:DWORD dst_unused:UNUSED_PAD src0_sel:BYTE_3 src1_sel:DWORD
	v_lshrrev_b32_e32 v8, 3, v11
	v_cmpx_gt_u32_e32 8, v11
; %bb.1671:                             ;   in Loop: Header=BB241_1574 Depth=1
	v_ffbh_u32_e32 v8, v9
	v_min_u32_e32 v8, 32, v8
	v_subrev_nc_u32_e32 v11, 28, v8
	v_sub_nc_u32_e32 v8, 29, v8
	v_lshlrev_b64 v[23:24], v11, v[9:10]
	v_and_b32_e32 v9, 7, v23
; %bb.1672:                             ;   in Loop: Header=BB241_1574 Depth=1
	s_or_b32 exec_lo, exec_lo, s19
	v_mov_b32_e32 v11, 24
	v_lshlrev_b32_e32 v9, 20, v9
	v_lshl_add_u32 v8, v8, 23, 0x3c000000
	v_mov_b32_e32 v23, v10
	v_lshlrev_b32_sdwa v7, v11, v7 dst_sel:DWORD dst_unused:UNUSED_PAD src0_sel:DWORD src1_sel:BYTE_3
	v_and_b32_e32 v7, 0x80000000, v7
	v_or3_b32 v24, v9, v7, v8
.LBB241_1673:                           ;   in Loop: Header=BB241_1574 Depth=1
	s_or_b32 exec_lo, exec_lo, s18
.LBB241_1674:                           ;   in Loop: Header=BB241_1574 Depth=1
	s_or_b32 exec_lo, exec_lo, s17
.LBB241_1675:                           ;   in Loop: Header=BB241_1574 Depth=1
	s_or_b32 exec_lo, exec_lo, s15
	v_or_b32_e32 v4, v19, v4
	v_or_b32_e32 v7, v23, v21
	;; [unrolled: 1-line block ×4, first 2 shown]
	v_mul_f32_e32 v4, v63, v4
	v_mul_f32_e32 v5, v63, v5
	buffer_store_dword v4, off, s[0:3], s32 offset:316 ; 4-byte Folded Spill
	v_mul_f32_e32 v4, v63, v7
	buffer_store_dword v5, off, s[0:3], s32 offset:324 ; 4-byte Folded Spill
	buffer_store_dword v4, off, s[0:3], s32 offset:308 ; 4-byte Folded Spill
	v_mul_f32_e32 v4, v63, v8
	buffer_store_dword v4, off, s[0:3], s32 offset:300 ; 4-byte Folded Spill
	s_and_saveexec_b32 s15, vcc_lo
	s_cbranch_execz .LBB241_1677
; %bb.1676:                             ;   in Loop: Header=BB241_1574 Depth=1
	s_clause 0x1
	buffer_load_dword v4, off, s[0:3], s32 offset:208
	buffer_load_dword v5, off, s[0:3], s32 offset:316
	s_waitcnt vmcnt(1)
	v_cmp_lt_i32_e64 s4, v62, v4
	s_waitcnt vmcnt(0)
	v_cndmask_b32_e64 v5, 0, v5, s4
	v_cmp_lt_i32_e64 s4, v78, v4
	buffer_store_dword v5, off, s[0:3], s32 offset:316 ; 4-byte Folded Spill
	buffer_load_dword v5, off, s[0:3], s32 offset:324 ; 4-byte Folded Reload
	s_waitcnt vmcnt(0)
	v_cndmask_b32_e64 v5, 0, v5, s4
	v_cmp_lt_i32_e64 s4, v77, v4
	buffer_store_dword v5, off, s[0:3], s32 offset:324 ; 4-byte Folded Spill
	buffer_load_dword v5, off, s[0:3], s32 offset:308 ; 4-byte Folded Reload
	s_waitcnt vmcnt(0)
	v_cndmask_b32_e64 v5, 0, v5, s4
	v_cmp_lt_i32_e64 s4, v76, v4
	buffer_load_dword v4, off, s[0:3], s32 offset:300 ; 4-byte Folded Reload
	buffer_store_dword v5, off, s[0:3], s32 offset:308 ; 4-byte Folded Spill
	s_waitcnt vmcnt(0)
	v_cndmask_b32_e64 v4, 0, v4, s4
	buffer_store_dword v4, off, s[0:3], s32 offset:300 ; 4-byte Folded Spill
.LBB241_1677:                           ;   in Loop: Header=BB241_1574 Depth=1
	s_or_b32 exec_lo, exec_lo, s15
	flat_load_dword v7, v[15:16] offset:384
	v_mov_b32_e32 v19, 0
	v_mov_b32_e32 v4, 0
	;; [unrolled: 1-line block ×4, first 2 shown]
	s_waitcnt vmcnt(0) lgkmcnt(0)
	v_cmp_ne_u16_sdwa s4, v7, v10 src0_sel:BYTE_0 src1_sel:DWORD
	s_and_saveexec_b32 s15, s4
	s_cbranch_execz .LBB241_1685
; %bb.1678:                             ;   in Loop: Header=BB241_1574 Depth=1
	v_bfrev_b32_e32 v4, 1
	v_mov_b32_e32 v5, 0
	v_cmp_ne_u16_sdwa s4, v7, v41 src0_sel:BYTE_0 src1_sel:DWORD
	s_and_saveexec_b32 s17, s4
	s_cbranch_execz .LBB241_1684
; %bb.1679:                             ;   in Loop: Header=BB241_1574 Depth=1
	v_mov_b32_e32 v4, 0x7f800001
	v_and_b32_e32 v8, 0x7f, v7
	v_mov_b32_e32 v5, 0
	s_mov_b32 s18, exec_lo
	v_cmpx_ne_u32_e32 0x7f, v8
	s_cbranch_execz .LBB241_1683
; %bb.1680:                             ;   in Loop: Header=BB241_1574 Depth=1
	v_and_b32_e32 v9, 7, v7
	v_lshrrev_b32_e32 v4, 3, v8
	s_mov_b32 s19, exec_lo
	v_cmpx_gt_u32_e32 8, v8
; %bb.1681:                             ;   in Loop: Header=BB241_1574 Depth=1
	v_ffbh_u32_e32 v4, v9
	v_min_u32_e32 v4, 32, v4
	v_subrev_nc_u32_e32 v5, 28, v4
	v_sub_nc_u32_e32 v4, 29, v4
	v_lshlrev_b64 v[8:9], v5, v[9:10]
	v_and_b32_e32 v9, 7, v8
; %bb.1682:                             ;   in Loop: Header=BB241_1574 Depth=1
	s_or_b32 exec_lo, exec_lo, s19
	v_lshlrev_b32_e32 v5, 24, v7
	v_lshlrev_b32_e32 v8, 20, v9
	v_lshl_add_u32 v4, v4, 23, 0x3c000000
	v_and_b32_e32 v5, 0x80000000, v5
	v_or3_b32 v9, v8, v5, v4
	v_mov_b32_e32 v4, v9
	v_mov_b32_e32 v5, v10
.LBB241_1683:                           ;   in Loop: Header=BB241_1574 Depth=1
	s_or_b32 exec_lo, exec_lo, s18
.LBB241_1684:                           ;   in Loop: Header=BB241_1574 Depth=1
	s_or_b32 exec_lo, exec_lo, s17
.LBB241_1685:                           ;   in Loop: Header=BB241_1574 Depth=1
	s_or_b32 exec_lo, exec_lo, s15
	v_cmp_ne_u16_sdwa s4, v7, v10 src0_sel:BYTE_1 src1_sel:DWORD
	s_and_saveexec_b32 s15, s4
	s_cbranch_execz .LBB241_1693
; %bb.1686:                             ;   in Loop: Header=BB241_1574 Depth=1
	v_mov_b32_e32 v11, v10
	v_mov_b32_e32 v20, v12
	v_cmp_ne_u16_sdwa s4, v7, v41 src0_sel:BYTE_1 src1_sel:DWORD
	v_mov_b32_e32 v19, v11
	s_and_saveexec_b32 s17, s4
	s_cbranch_execz .LBB241_1692
; %bb.1687:                             ;   in Loop: Header=BB241_1574 Depth=1
	v_and_b32_sdwa v8, v36, v7 dst_sel:DWORD dst_unused:UNUSED_PAD src0_sel:DWORD src1_sel:BYTE_1
	v_mov_b32_e32 v13, v10
	v_mov_b32_e32 v20, v14
	s_mov_b32 s18, exec_lo
	v_and_b32_e32 v11, 0x7f, v8
	v_mov_b32_e32 v19, v13
	v_cmpx_ne_u32_e32 0x7f, v11
	s_cbranch_execz .LBB241_1691
; %bb.1688:                             ;   in Loop: Header=BB241_1574 Depth=1
	v_and_b32_e32 v9, 7, v8
	v_lshrrev_b32_e32 v8, 3, v11
	s_mov_b32 s19, exec_lo
	v_cmpx_gt_u32_e32 8, v11
; %bb.1689:                             ;   in Loop: Header=BB241_1574 Depth=1
	v_ffbh_u32_e32 v8, v9
	v_min_u32_e32 v8, 32, v8
	v_subrev_nc_u32_e32 v11, 28, v8
	v_sub_nc_u32_e32 v8, 29, v8
	v_lshlrev_b64 v[19:20], v11, v[9:10]
	v_and_b32_e32 v9, 7, v19
; %bb.1690:                             ;   in Loop: Header=BB241_1574 Depth=1
	s_or_b32 exec_lo, exec_lo, s19
	v_lshlrev_b32_e32 v11, 16, v7
	v_lshlrev_b32_e32 v9, 20, v9
	v_lshl_add_u32 v8, v8, 23, 0x3c000000
	v_mov_b32_e32 v19, v10
	v_and_b32_e32 v11, 0x80000000, v11
	v_or3_b32 v20, v9, v11, v8
.LBB241_1691:                           ;   in Loop: Header=BB241_1574 Depth=1
	s_or_b32 exec_lo, exec_lo, s18
.LBB241_1692:                           ;   in Loop: Header=BB241_1574 Depth=1
	s_or_b32 exec_lo, exec_lo, s17
.LBB241_1693:                           ;   in Loop: Header=BB241_1574 Depth=1
	s_or_b32 exec_lo, exec_lo, s15
	v_mov_b32_e32 v23, 0
	v_mov_b32_e32 v21, 0
	v_and_b32_sdwa v8, v7, v43 dst_sel:DWORD dst_unused:UNUSED_PAD src0_sel:WORD_1 src1_sel:DWORD
	v_mov_b32_e32 v24, 0
	v_mov_b32_e32 v22, 0
	s_mov_b32 s15, exec_lo
	v_cmpx_ne_u16_e32 0, v8
	s_cbranch_execz .LBB241_1701
; %bb.1694:                             ;   in Loop: Header=BB241_1574 Depth=1
	v_bfrev_b32_e32 v21, 1
	v_mov_b32_e32 v22, 0
	s_mov_b32 s17, exec_lo
	v_cmpx_ne_u16_e32 0x80, v8
	s_cbranch_execz .LBB241_1700
; %bb.1695:                             ;   in Loop: Header=BB241_1574 Depth=1
	v_mov_b32_e32 v21, 0x7f800001
	v_bfe_u32 v11, v7, 16, 7
	v_mov_b32_e32 v22, 0
	s_mov_b32 s18, exec_lo
	v_cmpx_ne_u32_e32 0x7f, v11
	s_cbranch_execz .LBB241_1699
; %bb.1696:                             ;   in Loop: Header=BB241_1574 Depth=1
	v_mov_b32_e32 v8, 7
	s_mov_b32 s19, exec_lo
	v_and_b32_sdwa v9, v7, v8 dst_sel:DWORD dst_unused:UNUSED_PAD src0_sel:WORD_1 src1_sel:DWORD
	v_lshrrev_b32_e32 v8, 3, v11
	v_cmpx_gt_u32_e32 8, v11
; %bb.1697:                             ;   in Loop: Header=BB241_1574 Depth=1
	v_ffbh_u32_e32 v8, v9
	v_min_u32_e32 v8, 32, v8
	v_subrev_nc_u32_e32 v11, 28, v8
	v_sub_nc_u32_e32 v8, 29, v8
	v_lshlrev_b64 v[21:22], v11, v[9:10]
	v_and_b32_e32 v9, 7, v21
; %bb.1698:                             ;   in Loop: Header=BB241_1574 Depth=1
	s_or_b32 exec_lo, exec_lo, s19
	v_mov_b32_e32 v11, 24
	v_lshlrev_b32_e32 v9, 20, v9
	v_lshl_add_u32 v8, v8, 23, 0x3c000000
	v_lshlrev_b32_sdwa v11, v11, v7 dst_sel:DWORD dst_unused:UNUSED_PAD src0_sel:DWORD src1_sel:WORD_1
	v_and_b32_e32 v11, 0x80000000, v11
	v_or3_b32 v9, v9, v11, v8
	v_mov_b32_e32 v22, v10
	v_mov_b32_e32 v21, v9
.LBB241_1699:                           ;   in Loop: Header=BB241_1574 Depth=1
	s_or_b32 exec_lo, exec_lo, s18
.LBB241_1700:                           ;   in Loop: Header=BB241_1574 Depth=1
	s_or_b32 exec_lo, exec_lo, s17
.LBB241_1701:                           ;   in Loop: Header=BB241_1574 Depth=1
	s_or_b32 exec_lo, exec_lo, s15
	s_mov_b32 s15, exec_lo
	v_cmpx_lt_u32_e32 0xffffff, v7
	s_cbranch_execz .LBB241_1709
; %bb.1702:                             ;   in Loop: Header=BB241_1574 Depth=1
	v_mov_b32_e32 v11, v10
	v_mov_b32_e32 v24, v12
	v_cmp_ne_u32_sdwa s4, v7, v41 src0_sel:BYTE_3 src1_sel:DWORD
	v_mov_b32_e32 v23, v11
	s_and_saveexec_b32 s17, s4
	s_cbranch_execz .LBB241_1708
; %bb.1703:                             ;   in Loop: Header=BB241_1574 Depth=1
	v_mov_b32_e32 v13, v10
	v_mov_b32_e32 v24, v14
	v_bfe_u32 v11, v7, 24, 7
	s_mov_b32 s18, exec_lo
	v_mov_b32_e32 v23, v13
	v_cmpx_ne_u32_e32 0x7f, v11
	s_cbranch_execz .LBB241_1707
; %bb.1704:                             ;   in Loop: Header=BB241_1574 Depth=1
	v_mov_b32_e32 v8, 7
	s_mov_b32 s19, exec_lo
	v_and_b32_sdwa v9, v7, v8 dst_sel:DWORD dst_unused:UNUSED_PAD src0_sel:BYTE_3 src1_sel:DWORD
	v_lshrrev_b32_e32 v8, 3, v11
	v_cmpx_gt_u32_e32 8, v11
; %bb.1705:                             ;   in Loop: Header=BB241_1574 Depth=1
	v_ffbh_u32_e32 v8, v9
	v_min_u32_e32 v8, 32, v8
	v_subrev_nc_u32_e32 v11, 28, v8
	v_sub_nc_u32_e32 v8, 29, v8
	v_lshlrev_b64 v[23:24], v11, v[9:10]
	v_and_b32_e32 v9, 7, v23
; %bb.1706:                             ;   in Loop: Header=BB241_1574 Depth=1
	s_or_b32 exec_lo, exec_lo, s19
	v_mov_b32_e32 v11, 24
	v_lshlrev_b32_e32 v9, 20, v9
	v_lshl_add_u32 v8, v8, 23, 0x3c000000
	v_mov_b32_e32 v23, v10
	v_lshlrev_b32_sdwa v7, v11, v7 dst_sel:DWORD dst_unused:UNUSED_PAD src0_sel:DWORD src1_sel:BYTE_3
	v_and_b32_e32 v7, 0x80000000, v7
	v_or3_b32 v24, v9, v7, v8
.LBB241_1707:                           ;   in Loop: Header=BB241_1574 Depth=1
	s_or_b32 exec_lo, exec_lo, s18
.LBB241_1708:                           ;   in Loop: Header=BB241_1574 Depth=1
	s_or_b32 exec_lo, exec_lo, s17
.LBB241_1709:                           ;   in Loop: Header=BB241_1574 Depth=1
	s_or_b32 exec_lo, exec_lo, s15
	v_or_b32_e32 v4, v19, v4
	v_or_b32_e32 v7, v23, v21
	;; [unrolled: 1-line block ×4, first 2 shown]
	v_mul_f32_e32 v4, v63, v4
	v_mul_f32_e32 v5, v63, v5
	buffer_store_dword v4, off, s[0:3], s32 offset:348 ; 4-byte Folded Spill
	v_mul_f32_e32 v4, v63, v7
	buffer_store_dword v5, off, s[0:3], s32 offset:356 ; 4-byte Folded Spill
	buffer_store_dword v4, off, s[0:3], s32 offset:340 ; 4-byte Folded Spill
	v_mul_f32_e32 v4, v63, v8
	buffer_store_dword v4, off, s[0:3], s32 offset:332 ; 4-byte Folded Spill
	s_and_saveexec_b32 s15, vcc_lo
	s_cbranch_execz .LBB241_1711
; %bb.1710:                             ;   in Loop: Header=BB241_1574 Depth=1
	s_clause 0x1
	buffer_load_dword v4, off, s[0:3], s32 offset:208
	buffer_load_dword v5, off, s[0:3], s32 offset:348
	s_waitcnt vmcnt(1)
	v_cmp_lt_i32_e64 s4, v62, v4
	s_waitcnt vmcnt(0)
	v_cndmask_b32_e64 v5, 0, v5, s4
	v_cmp_lt_i32_e64 s4, v78, v4
	buffer_store_dword v5, off, s[0:3], s32 offset:348 ; 4-byte Folded Spill
	buffer_load_dword v5, off, s[0:3], s32 offset:356 ; 4-byte Folded Reload
	s_waitcnt vmcnt(0)
	v_cndmask_b32_e64 v5, 0, v5, s4
	v_cmp_lt_i32_e64 s4, v77, v4
	buffer_store_dword v5, off, s[0:3], s32 offset:356 ; 4-byte Folded Spill
	buffer_load_dword v5, off, s[0:3], s32 offset:340 ; 4-byte Folded Reload
	s_waitcnt vmcnt(0)
	v_cndmask_b32_e64 v5, 0, v5, s4
	v_cmp_lt_i32_e64 s4, v76, v4
	buffer_load_dword v4, off, s[0:3], s32 offset:332 ; 4-byte Folded Reload
	buffer_store_dword v5, off, s[0:3], s32 offset:340 ; 4-byte Folded Spill
	s_waitcnt vmcnt(0)
	v_cndmask_b32_e64 v4, 0, v4, s4
	buffer_store_dword v4, off, s[0:3], s32 offset:332 ; 4-byte Folded Spill
.LBB241_1711:                           ;   in Loop: Header=BB241_1574 Depth=1
	s_or_b32 exec_lo, exec_lo, s15
	flat_load_dword v7, v[15:16] offset:512
	v_mov_b32_e32 v19, 0
	v_mov_b32_e32 v4, 0
	;; [unrolled: 1-line block ×4, first 2 shown]
	s_waitcnt vmcnt(0) lgkmcnt(0)
	v_cmp_ne_u16_sdwa s4, v7, v10 src0_sel:BYTE_0 src1_sel:DWORD
	s_and_saveexec_b32 s15, s4
	s_cbranch_execz .LBB241_1719
; %bb.1712:                             ;   in Loop: Header=BB241_1574 Depth=1
	v_bfrev_b32_e32 v4, 1
	v_mov_b32_e32 v5, 0
	v_cmp_ne_u16_sdwa s4, v7, v41 src0_sel:BYTE_0 src1_sel:DWORD
	s_and_saveexec_b32 s17, s4
	s_cbranch_execz .LBB241_1718
; %bb.1713:                             ;   in Loop: Header=BB241_1574 Depth=1
	v_mov_b32_e32 v4, 0x7f800001
	v_and_b32_e32 v8, 0x7f, v7
	v_mov_b32_e32 v5, 0
	s_mov_b32 s18, exec_lo
	v_cmpx_ne_u32_e32 0x7f, v8
	s_cbranch_execz .LBB241_1717
; %bb.1714:                             ;   in Loop: Header=BB241_1574 Depth=1
	v_and_b32_e32 v9, 7, v7
	v_lshrrev_b32_e32 v4, 3, v8
	s_mov_b32 s19, exec_lo
	v_cmpx_gt_u32_e32 8, v8
; %bb.1715:                             ;   in Loop: Header=BB241_1574 Depth=1
	v_ffbh_u32_e32 v4, v9
	v_min_u32_e32 v4, 32, v4
	v_subrev_nc_u32_e32 v5, 28, v4
	v_sub_nc_u32_e32 v4, 29, v4
	v_lshlrev_b64 v[8:9], v5, v[9:10]
	v_and_b32_e32 v9, 7, v8
; %bb.1716:                             ;   in Loop: Header=BB241_1574 Depth=1
	s_or_b32 exec_lo, exec_lo, s19
	v_lshlrev_b32_e32 v5, 24, v7
	v_lshlrev_b32_e32 v8, 20, v9
	v_lshl_add_u32 v4, v4, 23, 0x3c000000
	v_and_b32_e32 v5, 0x80000000, v5
	v_or3_b32 v9, v8, v5, v4
	v_mov_b32_e32 v4, v9
	v_mov_b32_e32 v5, v10
.LBB241_1717:                           ;   in Loop: Header=BB241_1574 Depth=1
	s_or_b32 exec_lo, exec_lo, s18
.LBB241_1718:                           ;   in Loop: Header=BB241_1574 Depth=1
	s_or_b32 exec_lo, exec_lo, s17
.LBB241_1719:                           ;   in Loop: Header=BB241_1574 Depth=1
	s_or_b32 exec_lo, exec_lo, s15
	v_cmp_ne_u16_sdwa s4, v7, v10 src0_sel:BYTE_1 src1_sel:DWORD
	s_and_saveexec_b32 s15, s4
	s_cbranch_execz .LBB241_1727
; %bb.1720:                             ;   in Loop: Header=BB241_1574 Depth=1
	v_mov_b32_e32 v11, v10
	v_mov_b32_e32 v20, v12
	v_cmp_ne_u16_sdwa s4, v7, v41 src0_sel:BYTE_1 src1_sel:DWORD
	v_mov_b32_e32 v19, v11
	s_and_saveexec_b32 s17, s4
	s_cbranch_execz .LBB241_1726
; %bb.1721:                             ;   in Loop: Header=BB241_1574 Depth=1
	v_and_b32_sdwa v8, v36, v7 dst_sel:DWORD dst_unused:UNUSED_PAD src0_sel:DWORD src1_sel:BYTE_1
	v_mov_b32_e32 v13, v10
	v_mov_b32_e32 v20, v14
	s_mov_b32 s18, exec_lo
	v_and_b32_e32 v11, 0x7f, v8
	v_mov_b32_e32 v19, v13
	v_cmpx_ne_u32_e32 0x7f, v11
	s_cbranch_execz .LBB241_1725
; %bb.1722:                             ;   in Loop: Header=BB241_1574 Depth=1
	v_and_b32_e32 v9, 7, v8
	v_lshrrev_b32_e32 v8, 3, v11
	s_mov_b32 s19, exec_lo
	v_cmpx_gt_u32_e32 8, v11
; %bb.1723:                             ;   in Loop: Header=BB241_1574 Depth=1
	v_ffbh_u32_e32 v8, v9
	v_min_u32_e32 v8, 32, v8
	v_subrev_nc_u32_e32 v11, 28, v8
	v_sub_nc_u32_e32 v8, 29, v8
	v_lshlrev_b64 v[19:20], v11, v[9:10]
	v_and_b32_e32 v9, 7, v19
; %bb.1724:                             ;   in Loop: Header=BB241_1574 Depth=1
	s_or_b32 exec_lo, exec_lo, s19
	v_lshlrev_b32_e32 v11, 16, v7
	v_lshlrev_b32_e32 v9, 20, v9
	v_lshl_add_u32 v8, v8, 23, 0x3c000000
	v_mov_b32_e32 v19, v10
	v_and_b32_e32 v11, 0x80000000, v11
	v_or3_b32 v20, v9, v11, v8
.LBB241_1725:                           ;   in Loop: Header=BB241_1574 Depth=1
	s_or_b32 exec_lo, exec_lo, s18
.LBB241_1726:                           ;   in Loop: Header=BB241_1574 Depth=1
	s_or_b32 exec_lo, exec_lo, s17
.LBB241_1727:                           ;   in Loop: Header=BB241_1574 Depth=1
	s_or_b32 exec_lo, exec_lo, s15
	v_mov_b32_e32 v23, 0
	v_mov_b32_e32 v21, 0
	v_and_b32_sdwa v8, v7, v43 dst_sel:DWORD dst_unused:UNUSED_PAD src0_sel:WORD_1 src1_sel:DWORD
	v_mov_b32_e32 v24, 0
	v_mov_b32_e32 v22, 0
	s_mov_b32 s15, exec_lo
	v_cmpx_ne_u16_e32 0, v8
	s_cbranch_execz .LBB241_1735
; %bb.1728:                             ;   in Loop: Header=BB241_1574 Depth=1
	v_bfrev_b32_e32 v21, 1
	v_mov_b32_e32 v22, 0
	s_mov_b32 s17, exec_lo
	v_cmpx_ne_u16_e32 0x80, v8
	s_cbranch_execz .LBB241_1734
; %bb.1729:                             ;   in Loop: Header=BB241_1574 Depth=1
	v_mov_b32_e32 v21, 0x7f800001
	v_bfe_u32 v11, v7, 16, 7
	v_mov_b32_e32 v22, 0
	s_mov_b32 s18, exec_lo
	v_cmpx_ne_u32_e32 0x7f, v11
	s_cbranch_execz .LBB241_1733
; %bb.1730:                             ;   in Loop: Header=BB241_1574 Depth=1
	v_mov_b32_e32 v8, 7
	s_mov_b32 s19, exec_lo
	v_and_b32_sdwa v9, v7, v8 dst_sel:DWORD dst_unused:UNUSED_PAD src0_sel:WORD_1 src1_sel:DWORD
	v_lshrrev_b32_e32 v8, 3, v11
	v_cmpx_gt_u32_e32 8, v11
; %bb.1731:                             ;   in Loop: Header=BB241_1574 Depth=1
	v_ffbh_u32_e32 v8, v9
	v_min_u32_e32 v8, 32, v8
	v_subrev_nc_u32_e32 v11, 28, v8
	v_sub_nc_u32_e32 v8, 29, v8
	v_lshlrev_b64 v[21:22], v11, v[9:10]
	v_and_b32_e32 v9, 7, v21
; %bb.1732:                             ;   in Loop: Header=BB241_1574 Depth=1
	s_or_b32 exec_lo, exec_lo, s19
	v_mov_b32_e32 v11, 24
	v_lshlrev_b32_e32 v9, 20, v9
	v_lshl_add_u32 v8, v8, 23, 0x3c000000
	v_lshlrev_b32_sdwa v11, v11, v7 dst_sel:DWORD dst_unused:UNUSED_PAD src0_sel:DWORD src1_sel:WORD_1
	v_and_b32_e32 v11, 0x80000000, v11
	v_or3_b32 v9, v9, v11, v8
	v_mov_b32_e32 v22, v10
	v_mov_b32_e32 v21, v9
.LBB241_1733:                           ;   in Loop: Header=BB241_1574 Depth=1
	s_or_b32 exec_lo, exec_lo, s18
.LBB241_1734:                           ;   in Loop: Header=BB241_1574 Depth=1
	s_or_b32 exec_lo, exec_lo, s17
.LBB241_1735:                           ;   in Loop: Header=BB241_1574 Depth=1
	s_or_b32 exec_lo, exec_lo, s15
	s_mov_b32 s15, exec_lo
	v_cmpx_lt_u32_e32 0xffffff, v7
	s_cbranch_execz .LBB241_1743
; %bb.1736:                             ;   in Loop: Header=BB241_1574 Depth=1
	v_mov_b32_e32 v11, v10
	v_mov_b32_e32 v24, v12
	v_cmp_ne_u32_sdwa s4, v7, v41 src0_sel:BYTE_3 src1_sel:DWORD
	v_mov_b32_e32 v23, v11
	s_and_saveexec_b32 s17, s4
	s_cbranch_execz .LBB241_1742
; %bb.1737:                             ;   in Loop: Header=BB241_1574 Depth=1
	v_mov_b32_e32 v13, v10
	v_mov_b32_e32 v24, v14
	v_bfe_u32 v11, v7, 24, 7
	s_mov_b32 s18, exec_lo
	v_mov_b32_e32 v23, v13
	v_cmpx_ne_u32_e32 0x7f, v11
	s_cbranch_execz .LBB241_1741
; %bb.1738:                             ;   in Loop: Header=BB241_1574 Depth=1
	v_mov_b32_e32 v8, 7
	s_mov_b32 s19, exec_lo
	v_and_b32_sdwa v9, v7, v8 dst_sel:DWORD dst_unused:UNUSED_PAD src0_sel:BYTE_3 src1_sel:DWORD
	v_lshrrev_b32_e32 v8, 3, v11
	v_cmpx_gt_u32_e32 8, v11
; %bb.1739:                             ;   in Loop: Header=BB241_1574 Depth=1
	v_ffbh_u32_e32 v8, v9
	v_min_u32_e32 v8, 32, v8
	v_subrev_nc_u32_e32 v11, 28, v8
	v_sub_nc_u32_e32 v8, 29, v8
	v_lshlrev_b64 v[23:24], v11, v[9:10]
	v_and_b32_e32 v9, 7, v23
; %bb.1740:                             ;   in Loop: Header=BB241_1574 Depth=1
	s_or_b32 exec_lo, exec_lo, s19
	v_mov_b32_e32 v11, 24
	v_lshlrev_b32_e32 v9, 20, v9
	v_lshl_add_u32 v8, v8, 23, 0x3c000000
	v_mov_b32_e32 v23, v10
	v_lshlrev_b32_sdwa v7, v11, v7 dst_sel:DWORD dst_unused:UNUSED_PAD src0_sel:DWORD src1_sel:BYTE_3
	v_and_b32_e32 v7, 0x80000000, v7
	v_or3_b32 v24, v9, v7, v8
.LBB241_1741:                           ;   in Loop: Header=BB241_1574 Depth=1
	s_or_b32 exec_lo, exec_lo, s18
.LBB241_1742:                           ;   in Loop: Header=BB241_1574 Depth=1
	s_or_b32 exec_lo, exec_lo, s17
.LBB241_1743:                           ;   in Loop: Header=BB241_1574 Depth=1
	s_or_b32 exec_lo, exec_lo, s15
	v_or_b32_e32 v4, v19, v4
	v_or_b32_e32 v7, v23, v21
	v_or_b32_e32 v5, v20, v5
	v_or_b32_e32 v8, v24, v22
	v_mul_f32_e32 v4, v63, v4
	v_mul_f32_e32 v5, v63, v5
	buffer_store_dword v4, off, s[0:3], s32 offset:380 ; 4-byte Folded Spill
	v_mul_f32_e32 v4, v63, v7
	buffer_store_dword v5, off, s[0:3], s32 offset:388 ; 4-byte Folded Spill
	buffer_store_dword v4, off, s[0:3], s32 offset:372 ; 4-byte Folded Spill
	v_mul_f32_e32 v4, v63, v8
	buffer_store_dword v4, off, s[0:3], s32 offset:364 ; 4-byte Folded Spill
	s_and_saveexec_b32 s15, vcc_lo
	s_cbranch_execz .LBB241_1745
; %bb.1744:                             ;   in Loop: Header=BB241_1574 Depth=1
	s_clause 0x1
	buffer_load_dword v4, off, s[0:3], s32 offset:208
	buffer_load_dword v5, off, s[0:3], s32 offset:380
	s_waitcnt vmcnt(1)
	v_cmp_lt_i32_e64 s4, v62, v4
	s_waitcnt vmcnt(0)
	v_cndmask_b32_e64 v5, 0, v5, s4
	v_cmp_lt_i32_e64 s4, v78, v4
	buffer_store_dword v5, off, s[0:3], s32 offset:380 ; 4-byte Folded Spill
	buffer_load_dword v5, off, s[0:3], s32 offset:388 ; 4-byte Folded Reload
	s_waitcnt vmcnt(0)
	v_cndmask_b32_e64 v5, 0, v5, s4
	v_cmp_lt_i32_e64 s4, v77, v4
	buffer_store_dword v5, off, s[0:3], s32 offset:388 ; 4-byte Folded Spill
	buffer_load_dword v5, off, s[0:3], s32 offset:372 ; 4-byte Folded Reload
	s_waitcnt vmcnt(0)
	v_cndmask_b32_e64 v5, 0, v5, s4
	v_cmp_lt_i32_e64 s4, v76, v4
	buffer_load_dword v4, off, s[0:3], s32 offset:364 ; 4-byte Folded Reload
	buffer_store_dword v5, off, s[0:3], s32 offset:372 ; 4-byte Folded Spill
	s_waitcnt vmcnt(0)
	v_cndmask_b32_e64 v4, 0, v4, s4
	buffer_store_dword v4, off, s[0:3], s32 offset:364 ; 4-byte Folded Spill
.LBB241_1745:                           ;   in Loop: Header=BB241_1574 Depth=1
	s_or_b32 exec_lo, exec_lo, s15
	flat_load_dword v7, v[15:16] offset:640
	v_mov_b32_e32 v19, 0
	v_mov_b32_e32 v4, 0
	;; [unrolled: 1-line block ×4, first 2 shown]
	s_waitcnt vmcnt(0) lgkmcnt(0)
	v_cmp_ne_u16_sdwa s4, v7, v10 src0_sel:BYTE_0 src1_sel:DWORD
	s_and_saveexec_b32 s15, s4
	s_cbranch_execz .LBB241_1753
; %bb.1746:                             ;   in Loop: Header=BB241_1574 Depth=1
	v_bfrev_b32_e32 v4, 1
	v_mov_b32_e32 v5, 0
	v_cmp_ne_u16_sdwa s4, v7, v41 src0_sel:BYTE_0 src1_sel:DWORD
	s_and_saveexec_b32 s17, s4
	s_cbranch_execz .LBB241_1752
; %bb.1747:                             ;   in Loop: Header=BB241_1574 Depth=1
	v_mov_b32_e32 v4, 0x7f800001
	v_and_b32_e32 v8, 0x7f, v7
	v_mov_b32_e32 v5, 0
	s_mov_b32 s18, exec_lo
	v_cmpx_ne_u32_e32 0x7f, v8
	s_cbranch_execz .LBB241_1751
; %bb.1748:                             ;   in Loop: Header=BB241_1574 Depth=1
	v_and_b32_e32 v9, 7, v7
	v_lshrrev_b32_e32 v4, 3, v8
	s_mov_b32 s19, exec_lo
	v_cmpx_gt_u32_e32 8, v8
; %bb.1749:                             ;   in Loop: Header=BB241_1574 Depth=1
	v_ffbh_u32_e32 v4, v9
	v_min_u32_e32 v4, 32, v4
	v_subrev_nc_u32_e32 v5, 28, v4
	v_sub_nc_u32_e32 v4, 29, v4
	v_lshlrev_b64 v[8:9], v5, v[9:10]
	v_and_b32_e32 v9, 7, v8
; %bb.1750:                             ;   in Loop: Header=BB241_1574 Depth=1
	s_or_b32 exec_lo, exec_lo, s19
	v_lshlrev_b32_e32 v5, 24, v7
	v_lshlrev_b32_e32 v8, 20, v9
	v_lshl_add_u32 v4, v4, 23, 0x3c000000
	v_and_b32_e32 v5, 0x80000000, v5
	v_or3_b32 v9, v8, v5, v4
	v_mov_b32_e32 v4, v9
	v_mov_b32_e32 v5, v10
.LBB241_1751:                           ;   in Loop: Header=BB241_1574 Depth=1
	s_or_b32 exec_lo, exec_lo, s18
.LBB241_1752:                           ;   in Loop: Header=BB241_1574 Depth=1
	s_or_b32 exec_lo, exec_lo, s17
.LBB241_1753:                           ;   in Loop: Header=BB241_1574 Depth=1
	s_or_b32 exec_lo, exec_lo, s15
	v_cmp_ne_u16_sdwa s4, v7, v10 src0_sel:BYTE_1 src1_sel:DWORD
	s_and_saveexec_b32 s15, s4
	s_cbranch_execz .LBB241_1761
; %bb.1754:                             ;   in Loop: Header=BB241_1574 Depth=1
	v_mov_b32_e32 v11, v10
	v_mov_b32_e32 v20, v12
	v_cmp_ne_u16_sdwa s4, v7, v41 src0_sel:BYTE_1 src1_sel:DWORD
	v_mov_b32_e32 v19, v11
	s_and_saveexec_b32 s17, s4
	s_cbranch_execz .LBB241_1760
; %bb.1755:                             ;   in Loop: Header=BB241_1574 Depth=1
	v_and_b32_sdwa v8, v36, v7 dst_sel:DWORD dst_unused:UNUSED_PAD src0_sel:DWORD src1_sel:BYTE_1
	v_mov_b32_e32 v13, v10
	v_mov_b32_e32 v20, v14
	s_mov_b32 s18, exec_lo
	v_and_b32_e32 v11, 0x7f, v8
	v_mov_b32_e32 v19, v13
	v_cmpx_ne_u32_e32 0x7f, v11
	s_cbranch_execz .LBB241_1759
; %bb.1756:                             ;   in Loop: Header=BB241_1574 Depth=1
	v_and_b32_e32 v9, 7, v8
	v_lshrrev_b32_e32 v8, 3, v11
	s_mov_b32 s19, exec_lo
	v_cmpx_gt_u32_e32 8, v11
; %bb.1757:                             ;   in Loop: Header=BB241_1574 Depth=1
	v_ffbh_u32_e32 v8, v9
	v_min_u32_e32 v8, 32, v8
	v_subrev_nc_u32_e32 v11, 28, v8
	v_sub_nc_u32_e32 v8, 29, v8
	v_lshlrev_b64 v[19:20], v11, v[9:10]
	v_and_b32_e32 v9, 7, v19
; %bb.1758:                             ;   in Loop: Header=BB241_1574 Depth=1
	s_or_b32 exec_lo, exec_lo, s19
	v_lshlrev_b32_e32 v11, 16, v7
	v_lshlrev_b32_e32 v9, 20, v9
	v_lshl_add_u32 v8, v8, 23, 0x3c000000
	v_mov_b32_e32 v19, v10
	v_and_b32_e32 v11, 0x80000000, v11
	v_or3_b32 v20, v9, v11, v8
.LBB241_1759:                           ;   in Loop: Header=BB241_1574 Depth=1
	s_or_b32 exec_lo, exec_lo, s18
.LBB241_1760:                           ;   in Loop: Header=BB241_1574 Depth=1
	s_or_b32 exec_lo, exec_lo, s17
.LBB241_1761:                           ;   in Loop: Header=BB241_1574 Depth=1
	s_or_b32 exec_lo, exec_lo, s15
	v_mov_b32_e32 v23, 0
	v_mov_b32_e32 v21, 0
	v_and_b32_sdwa v8, v7, v43 dst_sel:DWORD dst_unused:UNUSED_PAD src0_sel:WORD_1 src1_sel:DWORD
	v_mov_b32_e32 v24, 0
	v_mov_b32_e32 v22, 0
	s_mov_b32 s15, exec_lo
	v_cmpx_ne_u16_e32 0, v8
	s_cbranch_execz .LBB241_1769
; %bb.1762:                             ;   in Loop: Header=BB241_1574 Depth=1
	v_bfrev_b32_e32 v21, 1
	v_mov_b32_e32 v22, 0
	s_mov_b32 s17, exec_lo
	v_cmpx_ne_u16_e32 0x80, v8
	s_cbranch_execz .LBB241_1768
; %bb.1763:                             ;   in Loop: Header=BB241_1574 Depth=1
	v_mov_b32_e32 v21, 0x7f800001
	v_bfe_u32 v11, v7, 16, 7
	v_mov_b32_e32 v22, 0
	s_mov_b32 s18, exec_lo
	v_cmpx_ne_u32_e32 0x7f, v11
	s_cbranch_execz .LBB241_1767
; %bb.1764:                             ;   in Loop: Header=BB241_1574 Depth=1
	v_mov_b32_e32 v8, 7
	s_mov_b32 s19, exec_lo
	v_and_b32_sdwa v9, v7, v8 dst_sel:DWORD dst_unused:UNUSED_PAD src0_sel:WORD_1 src1_sel:DWORD
	v_lshrrev_b32_e32 v8, 3, v11
	v_cmpx_gt_u32_e32 8, v11
; %bb.1765:                             ;   in Loop: Header=BB241_1574 Depth=1
	v_ffbh_u32_e32 v8, v9
	v_min_u32_e32 v8, 32, v8
	v_subrev_nc_u32_e32 v11, 28, v8
	v_sub_nc_u32_e32 v8, 29, v8
	v_lshlrev_b64 v[21:22], v11, v[9:10]
	v_and_b32_e32 v9, 7, v21
; %bb.1766:                             ;   in Loop: Header=BB241_1574 Depth=1
	s_or_b32 exec_lo, exec_lo, s19
	v_mov_b32_e32 v11, 24
	v_lshlrev_b32_e32 v9, 20, v9
	v_lshl_add_u32 v8, v8, 23, 0x3c000000
	v_lshlrev_b32_sdwa v11, v11, v7 dst_sel:DWORD dst_unused:UNUSED_PAD src0_sel:DWORD src1_sel:WORD_1
	v_and_b32_e32 v11, 0x80000000, v11
	v_or3_b32 v9, v9, v11, v8
	v_mov_b32_e32 v22, v10
	v_mov_b32_e32 v21, v9
.LBB241_1767:                           ;   in Loop: Header=BB241_1574 Depth=1
	s_or_b32 exec_lo, exec_lo, s18
.LBB241_1768:                           ;   in Loop: Header=BB241_1574 Depth=1
	s_or_b32 exec_lo, exec_lo, s17
.LBB241_1769:                           ;   in Loop: Header=BB241_1574 Depth=1
	s_or_b32 exec_lo, exec_lo, s15
	s_mov_b32 s15, exec_lo
	v_cmpx_lt_u32_e32 0xffffff, v7
	s_cbranch_execz .LBB241_1777
; %bb.1770:                             ;   in Loop: Header=BB241_1574 Depth=1
	v_mov_b32_e32 v11, v10
	v_mov_b32_e32 v24, v12
	v_cmp_ne_u32_sdwa s4, v7, v41 src0_sel:BYTE_3 src1_sel:DWORD
	v_mov_b32_e32 v23, v11
	s_and_saveexec_b32 s17, s4
	s_cbranch_execz .LBB241_1776
; %bb.1771:                             ;   in Loop: Header=BB241_1574 Depth=1
	v_mov_b32_e32 v13, v10
	v_mov_b32_e32 v24, v14
	v_bfe_u32 v11, v7, 24, 7
	s_mov_b32 s18, exec_lo
	v_mov_b32_e32 v23, v13
	v_cmpx_ne_u32_e32 0x7f, v11
	s_cbranch_execz .LBB241_1775
; %bb.1772:                             ;   in Loop: Header=BB241_1574 Depth=1
	v_mov_b32_e32 v8, 7
	s_mov_b32 s19, exec_lo
	v_and_b32_sdwa v9, v7, v8 dst_sel:DWORD dst_unused:UNUSED_PAD src0_sel:BYTE_3 src1_sel:DWORD
	v_lshrrev_b32_e32 v8, 3, v11
	v_cmpx_gt_u32_e32 8, v11
; %bb.1773:                             ;   in Loop: Header=BB241_1574 Depth=1
	v_ffbh_u32_e32 v8, v9
	v_min_u32_e32 v8, 32, v8
	v_subrev_nc_u32_e32 v11, 28, v8
	v_sub_nc_u32_e32 v8, 29, v8
	v_lshlrev_b64 v[23:24], v11, v[9:10]
	v_and_b32_e32 v9, 7, v23
; %bb.1774:                             ;   in Loop: Header=BB241_1574 Depth=1
	s_or_b32 exec_lo, exec_lo, s19
	v_mov_b32_e32 v11, 24
	v_lshlrev_b32_e32 v9, 20, v9
	v_lshl_add_u32 v8, v8, 23, 0x3c000000
	v_mov_b32_e32 v23, v10
	v_lshlrev_b32_sdwa v7, v11, v7 dst_sel:DWORD dst_unused:UNUSED_PAD src0_sel:DWORD src1_sel:BYTE_3
	v_and_b32_e32 v7, 0x80000000, v7
	v_or3_b32 v24, v9, v7, v8
.LBB241_1775:                           ;   in Loop: Header=BB241_1574 Depth=1
	s_or_b32 exec_lo, exec_lo, s18
.LBB241_1776:                           ;   in Loop: Header=BB241_1574 Depth=1
	s_or_b32 exec_lo, exec_lo, s17
.LBB241_1777:                           ;   in Loop: Header=BB241_1574 Depth=1
	s_or_b32 exec_lo, exec_lo, s15
	v_or_b32_e32 v4, v19, v4
	v_or_b32_e32 v7, v23, v21
	;; [unrolled: 1-line block ×4, first 2 shown]
	v_mul_f32_e32 v4, v63, v4
	v_mul_f32_e32 v5, v63, v5
	buffer_store_dword v4, off, s[0:3], s32 offset:412 ; 4-byte Folded Spill
	v_mul_f32_e32 v4, v63, v7
	buffer_store_dword v5, off, s[0:3], s32 offset:420 ; 4-byte Folded Spill
	buffer_store_dword v4, off, s[0:3], s32 offset:404 ; 4-byte Folded Spill
	v_mul_f32_e32 v4, v63, v8
	buffer_store_dword v4, off, s[0:3], s32 offset:396 ; 4-byte Folded Spill
	s_and_saveexec_b32 s15, vcc_lo
	s_cbranch_execz .LBB241_1779
; %bb.1778:                             ;   in Loop: Header=BB241_1574 Depth=1
	s_clause 0x1
	buffer_load_dword v4, off, s[0:3], s32 offset:208
	buffer_load_dword v5, off, s[0:3], s32 offset:412
	s_waitcnt vmcnt(1)
	v_cmp_lt_i32_e64 s4, v62, v4
	s_waitcnt vmcnt(0)
	v_cndmask_b32_e64 v5, 0, v5, s4
	v_cmp_lt_i32_e64 s4, v78, v4
	buffer_store_dword v5, off, s[0:3], s32 offset:412 ; 4-byte Folded Spill
	buffer_load_dword v5, off, s[0:3], s32 offset:420 ; 4-byte Folded Reload
	s_waitcnt vmcnt(0)
	v_cndmask_b32_e64 v5, 0, v5, s4
	v_cmp_lt_i32_e64 s4, v77, v4
	buffer_store_dword v5, off, s[0:3], s32 offset:420 ; 4-byte Folded Spill
	buffer_load_dword v5, off, s[0:3], s32 offset:404 ; 4-byte Folded Reload
	s_waitcnt vmcnt(0)
	v_cndmask_b32_e64 v5, 0, v5, s4
	v_cmp_lt_i32_e64 s4, v76, v4
	buffer_load_dword v4, off, s[0:3], s32 offset:396 ; 4-byte Folded Reload
	buffer_store_dword v5, off, s[0:3], s32 offset:404 ; 4-byte Folded Spill
	s_waitcnt vmcnt(0)
	v_cndmask_b32_e64 v4, 0, v4, s4
	buffer_store_dword v4, off, s[0:3], s32 offset:396 ; 4-byte Folded Spill
.LBB241_1779:                           ;   in Loop: Header=BB241_1574 Depth=1
	s_or_b32 exec_lo, exec_lo, s15
	flat_load_dword v7, v[15:16] offset:768
	v_mov_b32_e32 v19, 0
	v_mov_b32_e32 v4, 0
	;; [unrolled: 1-line block ×4, first 2 shown]
	s_waitcnt vmcnt(0) lgkmcnt(0)
	v_cmp_ne_u16_sdwa s4, v7, v10 src0_sel:BYTE_0 src1_sel:DWORD
	s_and_saveexec_b32 s15, s4
	s_cbranch_execz .LBB241_1787
; %bb.1780:                             ;   in Loop: Header=BB241_1574 Depth=1
	v_bfrev_b32_e32 v4, 1
	v_mov_b32_e32 v5, 0
	v_cmp_ne_u16_sdwa s4, v7, v41 src0_sel:BYTE_0 src1_sel:DWORD
	s_and_saveexec_b32 s17, s4
	s_cbranch_execz .LBB241_1786
; %bb.1781:                             ;   in Loop: Header=BB241_1574 Depth=1
	v_mov_b32_e32 v4, 0x7f800001
	v_and_b32_e32 v8, 0x7f, v7
	v_mov_b32_e32 v5, 0
	s_mov_b32 s18, exec_lo
	v_cmpx_ne_u32_e32 0x7f, v8
	s_cbranch_execz .LBB241_1785
; %bb.1782:                             ;   in Loop: Header=BB241_1574 Depth=1
	v_and_b32_e32 v9, 7, v7
	v_lshrrev_b32_e32 v4, 3, v8
	s_mov_b32 s19, exec_lo
	v_cmpx_gt_u32_e32 8, v8
; %bb.1783:                             ;   in Loop: Header=BB241_1574 Depth=1
	v_ffbh_u32_e32 v4, v9
	v_min_u32_e32 v4, 32, v4
	v_subrev_nc_u32_e32 v5, 28, v4
	v_sub_nc_u32_e32 v4, 29, v4
	v_lshlrev_b64 v[8:9], v5, v[9:10]
	v_and_b32_e32 v9, 7, v8
; %bb.1784:                             ;   in Loop: Header=BB241_1574 Depth=1
	s_or_b32 exec_lo, exec_lo, s19
	v_lshlrev_b32_e32 v5, 24, v7
	v_lshlrev_b32_e32 v8, 20, v9
	v_lshl_add_u32 v4, v4, 23, 0x3c000000
	v_and_b32_e32 v5, 0x80000000, v5
	v_or3_b32 v9, v8, v5, v4
	v_mov_b32_e32 v4, v9
	v_mov_b32_e32 v5, v10
.LBB241_1785:                           ;   in Loop: Header=BB241_1574 Depth=1
	s_or_b32 exec_lo, exec_lo, s18
.LBB241_1786:                           ;   in Loop: Header=BB241_1574 Depth=1
	s_or_b32 exec_lo, exec_lo, s17
.LBB241_1787:                           ;   in Loop: Header=BB241_1574 Depth=1
	s_or_b32 exec_lo, exec_lo, s15
	v_cmp_ne_u16_sdwa s4, v7, v10 src0_sel:BYTE_1 src1_sel:DWORD
	s_and_saveexec_b32 s15, s4
	s_cbranch_execz .LBB241_1795
; %bb.1788:                             ;   in Loop: Header=BB241_1574 Depth=1
	v_mov_b32_e32 v11, v10
	v_mov_b32_e32 v20, v12
	v_cmp_ne_u16_sdwa s4, v7, v41 src0_sel:BYTE_1 src1_sel:DWORD
	v_mov_b32_e32 v19, v11
	s_and_saveexec_b32 s17, s4
	s_cbranch_execz .LBB241_1794
; %bb.1789:                             ;   in Loop: Header=BB241_1574 Depth=1
	v_and_b32_sdwa v8, v36, v7 dst_sel:DWORD dst_unused:UNUSED_PAD src0_sel:DWORD src1_sel:BYTE_1
	v_mov_b32_e32 v13, v10
	v_mov_b32_e32 v20, v14
	s_mov_b32 s18, exec_lo
	v_and_b32_e32 v11, 0x7f, v8
	v_mov_b32_e32 v19, v13
	v_cmpx_ne_u32_e32 0x7f, v11
	s_cbranch_execz .LBB241_1793
; %bb.1790:                             ;   in Loop: Header=BB241_1574 Depth=1
	v_and_b32_e32 v9, 7, v8
	v_lshrrev_b32_e32 v8, 3, v11
	s_mov_b32 s19, exec_lo
	v_cmpx_gt_u32_e32 8, v11
; %bb.1791:                             ;   in Loop: Header=BB241_1574 Depth=1
	v_ffbh_u32_e32 v8, v9
	v_min_u32_e32 v8, 32, v8
	v_subrev_nc_u32_e32 v11, 28, v8
	v_sub_nc_u32_e32 v8, 29, v8
	v_lshlrev_b64 v[19:20], v11, v[9:10]
	v_and_b32_e32 v9, 7, v19
; %bb.1792:                             ;   in Loop: Header=BB241_1574 Depth=1
	s_or_b32 exec_lo, exec_lo, s19
	v_lshlrev_b32_e32 v11, 16, v7
	v_lshlrev_b32_e32 v9, 20, v9
	v_lshl_add_u32 v8, v8, 23, 0x3c000000
	v_mov_b32_e32 v19, v10
	v_and_b32_e32 v11, 0x80000000, v11
	v_or3_b32 v20, v9, v11, v8
.LBB241_1793:                           ;   in Loop: Header=BB241_1574 Depth=1
	s_or_b32 exec_lo, exec_lo, s18
.LBB241_1794:                           ;   in Loop: Header=BB241_1574 Depth=1
	s_or_b32 exec_lo, exec_lo, s17
.LBB241_1795:                           ;   in Loop: Header=BB241_1574 Depth=1
	s_or_b32 exec_lo, exec_lo, s15
	v_mov_b32_e32 v21, 0
	v_mov_b32_e32 v23, 0
	v_and_b32_sdwa v8, v7, v43 dst_sel:DWORD dst_unused:UNUSED_PAD src0_sel:WORD_1 src1_sel:DWORD
	v_mov_b32_e32 v22, 0
	v_mov_b32_e32 v24, 0
	s_mov_b32 s15, exec_lo
	v_cmpx_ne_u16_e32 0, v8
	s_cbranch_execz .LBB241_1803
; %bb.1796:                             ;   in Loop: Header=BB241_1574 Depth=1
	v_bfrev_b32_e32 v23, 1
	v_mov_b32_e32 v24, 0
	s_mov_b32 s17, exec_lo
	v_cmpx_ne_u16_e32 0x80, v8
	s_cbranch_execz .LBB241_1802
; %bb.1797:                             ;   in Loop: Header=BB241_1574 Depth=1
	v_mov_b32_e32 v23, 0x7f800001
	v_bfe_u32 v11, v7, 16, 7
	v_mov_b32_e32 v24, 0
	s_mov_b32 s18, exec_lo
	v_cmpx_ne_u32_e32 0x7f, v11
	s_cbranch_execz .LBB241_1801
; %bb.1798:                             ;   in Loop: Header=BB241_1574 Depth=1
	v_mov_b32_e32 v8, 7
	s_mov_b32 s19, exec_lo
	v_and_b32_sdwa v9, v7, v8 dst_sel:DWORD dst_unused:UNUSED_PAD src0_sel:WORD_1 src1_sel:DWORD
	v_lshrrev_b32_e32 v8, 3, v11
	v_cmpx_gt_u32_e32 8, v11
; %bb.1799:                             ;   in Loop: Header=BB241_1574 Depth=1
	v_ffbh_u32_e32 v8, v9
	v_min_u32_e32 v8, 32, v8
	v_subrev_nc_u32_e32 v11, 28, v8
	v_sub_nc_u32_e32 v8, 29, v8
	v_lshlrev_b64 v[23:24], v11, v[9:10]
	v_and_b32_e32 v9, 7, v23
; %bb.1800:                             ;   in Loop: Header=BB241_1574 Depth=1
	s_or_b32 exec_lo, exec_lo, s19
	v_mov_b32_e32 v11, 24
	v_lshlrev_b32_e32 v9, 20, v9
	v_lshl_add_u32 v8, v8, 23, 0x3c000000
	v_lshlrev_b32_sdwa v11, v11, v7 dst_sel:DWORD dst_unused:UNUSED_PAD src0_sel:DWORD src1_sel:WORD_1
	v_and_b32_e32 v11, 0x80000000, v11
	v_or3_b32 v9, v9, v11, v8
	v_mov_b32_e32 v24, v10
	v_mov_b32_e32 v23, v9
.LBB241_1801:                           ;   in Loop: Header=BB241_1574 Depth=1
	s_or_b32 exec_lo, exec_lo, s18
.LBB241_1802:                           ;   in Loop: Header=BB241_1574 Depth=1
	s_or_b32 exec_lo, exec_lo, s17
.LBB241_1803:                           ;   in Loop: Header=BB241_1574 Depth=1
	s_or_b32 exec_lo, exec_lo, s15
	s_mov_b32 s15, exec_lo
	v_cmpx_lt_u32_e32 0xffffff, v7
	s_cbranch_execz .LBB241_1811
; %bb.1804:                             ;   in Loop: Header=BB241_1574 Depth=1
	v_mov_b32_e32 v11, v10
	v_mov_b32_e32 v22, v12
	v_cmp_ne_u32_sdwa s4, v7, v41 src0_sel:BYTE_3 src1_sel:DWORD
	v_mov_b32_e32 v21, v11
	s_and_saveexec_b32 s17, s4
	s_cbranch_execz .LBB241_1810
; %bb.1805:                             ;   in Loop: Header=BB241_1574 Depth=1
	v_mov_b32_e32 v13, v10
	v_mov_b32_e32 v22, v14
	v_bfe_u32 v11, v7, 24, 7
	s_mov_b32 s18, exec_lo
	v_mov_b32_e32 v21, v13
	v_cmpx_ne_u32_e32 0x7f, v11
	s_cbranch_execz .LBB241_1809
; %bb.1806:                             ;   in Loop: Header=BB241_1574 Depth=1
	v_mov_b32_e32 v8, 7
	s_mov_b32 s19, exec_lo
	v_and_b32_sdwa v9, v7, v8 dst_sel:DWORD dst_unused:UNUSED_PAD src0_sel:BYTE_3 src1_sel:DWORD
	v_lshrrev_b32_e32 v8, 3, v11
	v_cmpx_gt_u32_e32 8, v11
; %bb.1807:                             ;   in Loop: Header=BB241_1574 Depth=1
	v_ffbh_u32_e32 v8, v9
	v_min_u32_e32 v8, 32, v8
	v_subrev_nc_u32_e32 v11, 28, v8
	v_sub_nc_u32_e32 v8, 29, v8
	v_lshlrev_b64 v[21:22], v11, v[9:10]
	v_and_b32_e32 v9, 7, v21
; %bb.1808:                             ;   in Loop: Header=BB241_1574 Depth=1
	s_or_b32 exec_lo, exec_lo, s19
	v_mov_b32_e32 v11, 24
	v_lshlrev_b32_e32 v9, 20, v9
	v_lshl_add_u32 v8, v8, 23, 0x3c000000
	v_mov_b32_e32 v21, v10
	v_lshlrev_b32_sdwa v7, v11, v7 dst_sel:DWORD dst_unused:UNUSED_PAD src0_sel:DWORD src1_sel:BYTE_3
	v_and_b32_e32 v7, 0x80000000, v7
	v_or3_b32 v22, v9, v7, v8
.LBB241_1809:                           ;   in Loop: Header=BB241_1574 Depth=1
	s_or_b32 exec_lo, exec_lo, s18
.LBB241_1810:                           ;   in Loop: Header=BB241_1574 Depth=1
	s_or_b32 exec_lo, exec_lo, s17
.LBB241_1811:                           ;   in Loop: Header=BB241_1574 Depth=1
	s_or_b32 exec_lo, exec_lo, s15
	v_or_b32_e32 v4, v19, v4
	v_or_b32_e32 v7, v21, v23
	;; [unrolled: 1-line block ×4, first 2 shown]
	v_mul_f32_e32 v4, v63, v4
	v_mul_f32_e32 v5, v63, v5
	buffer_store_dword v4, off, s[0:3], s32 offset:436 ; 4-byte Folded Spill
	v_mul_f32_e32 v4, v63, v7
	buffer_store_dword v5, off, s[0:3], s32 offset:444 ; 4-byte Folded Spill
	buffer_store_dword v4, off, s[0:3], s32 offset:200 ; 4-byte Folded Spill
	v_mul_f32_e32 v4, v63, v8
	buffer_store_dword v4, off, s[0:3], s32 offset:428 ; 4-byte Folded Spill
	s_and_saveexec_b32 s15, vcc_lo
	s_cbranch_execz .LBB241_1813
; %bb.1812:                             ;   in Loop: Header=BB241_1574 Depth=1
	s_clause 0x1
	buffer_load_dword v5, off, s[0:3], s32 offset:208
	buffer_load_dword v4, off, s[0:3], s32 offset:436
	s_waitcnt vmcnt(1)
	v_cmp_lt_i32_e64 s4, v62, v5
	s_waitcnt vmcnt(0)
	v_cndmask_b32_e64 v4, 0, v4, s4
	v_cmp_lt_i32_e64 s4, v78, v5
	buffer_store_dword v4, off, s[0:3], s32 offset:436 ; 4-byte Folded Spill
	buffer_load_dword v4, off, s[0:3], s32 offset:444 ; 4-byte Folded Reload
	s_waitcnt vmcnt(0)
	v_cndmask_b32_e64 v4, 0, v4, s4
	v_cmp_lt_i32_e64 s4, v77, v5
	buffer_store_dword v4, off, s[0:3], s32 offset:444 ; 4-byte Folded Spill
	buffer_load_dword v4, off, s[0:3], s32 offset:200 ; 4-byte Folded Reload
	;; [unrolled: 5-line block ×3, first 2 shown]
	s_waitcnt vmcnt(0)
	v_cndmask_b32_e64 v4, 0, v4, s4
	buffer_store_dword v4, off, s[0:3], s32 offset:428 ; 4-byte Folded Spill
.LBB241_1813:                           ;   in Loop: Header=BB241_1574 Depth=1
	s_or_b32 exec_lo, exec_lo, s15
	flat_load_dword v7, v[15:16] offset:896
	v_mov_b32_e32 v19, 0
	v_mov_b32_e32 v4, 0
	;; [unrolled: 1-line block ×4, first 2 shown]
	s_waitcnt vmcnt(0) lgkmcnt(0)
	v_cmp_ne_u16_sdwa s4, v7, v10 src0_sel:BYTE_0 src1_sel:DWORD
	s_and_saveexec_b32 s15, s4
	s_cbranch_execz .LBB241_1821
; %bb.1814:                             ;   in Loop: Header=BB241_1574 Depth=1
	v_bfrev_b32_e32 v4, 1
	v_mov_b32_e32 v5, 0
	v_cmp_ne_u16_sdwa s4, v7, v41 src0_sel:BYTE_0 src1_sel:DWORD
	s_and_saveexec_b32 s17, s4
	s_cbranch_execz .LBB241_1820
; %bb.1815:                             ;   in Loop: Header=BB241_1574 Depth=1
	v_mov_b32_e32 v4, 0x7f800001
	v_and_b32_e32 v8, 0x7f, v7
	v_mov_b32_e32 v5, 0
	s_mov_b32 s18, exec_lo
	v_cmpx_ne_u32_e32 0x7f, v8
	s_cbranch_execz .LBB241_1819
; %bb.1816:                             ;   in Loop: Header=BB241_1574 Depth=1
	v_and_b32_e32 v9, 7, v7
	v_lshrrev_b32_e32 v4, 3, v8
	s_mov_b32 s19, exec_lo
	v_cmpx_gt_u32_e32 8, v8
; %bb.1817:                             ;   in Loop: Header=BB241_1574 Depth=1
	v_ffbh_u32_e32 v4, v9
	v_min_u32_e32 v4, 32, v4
	v_subrev_nc_u32_e32 v5, 28, v4
	v_sub_nc_u32_e32 v4, 29, v4
	v_lshlrev_b64 v[8:9], v5, v[9:10]
	v_and_b32_e32 v9, 7, v8
; %bb.1818:                             ;   in Loop: Header=BB241_1574 Depth=1
	s_or_b32 exec_lo, exec_lo, s19
	v_lshlrev_b32_e32 v5, 24, v7
	v_lshlrev_b32_e32 v8, 20, v9
	v_lshl_add_u32 v4, v4, 23, 0x3c000000
	v_and_b32_e32 v5, 0x80000000, v5
	v_or3_b32 v9, v8, v5, v4
	v_mov_b32_e32 v4, v9
	v_mov_b32_e32 v5, v10
.LBB241_1819:                           ;   in Loop: Header=BB241_1574 Depth=1
	s_or_b32 exec_lo, exec_lo, s18
.LBB241_1820:                           ;   in Loop: Header=BB241_1574 Depth=1
	s_or_b32 exec_lo, exec_lo, s17
.LBB241_1821:                           ;   in Loop: Header=BB241_1574 Depth=1
	s_or_b32 exec_lo, exec_lo, s15
	v_cmp_ne_u16_sdwa s4, v7, v10 src0_sel:BYTE_1 src1_sel:DWORD
	s_and_saveexec_b32 s15, s4
	s_cbranch_execz .LBB241_1829
; %bb.1822:                             ;   in Loop: Header=BB241_1574 Depth=1
	v_mov_b32_e32 v11, v10
	v_mov_b32_e32 v20, v12
	v_cmp_ne_u16_sdwa s4, v7, v41 src0_sel:BYTE_1 src1_sel:DWORD
	v_mov_b32_e32 v19, v11
	s_and_saveexec_b32 s17, s4
	s_cbranch_execz .LBB241_1828
; %bb.1823:                             ;   in Loop: Header=BB241_1574 Depth=1
	v_and_b32_sdwa v8, v36, v7 dst_sel:DWORD dst_unused:UNUSED_PAD src0_sel:DWORD src1_sel:BYTE_1
	v_mov_b32_e32 v13, v10
	v_mov_b32_e32 v20, v14
	s_mov_b32 s18, exec_lo
	v_and_b32_e32 v11, 0x7f, v8
	v_mov_b32_e32 v19, v13
	v_cmpx_ne_u32_e32 0x7f, v11
	s_cbranch_execz .LBB241_1827
; %bb.1824:                             ;   in Loop: Header=BB241_1574 Depth=1
	v_and_b32_e32 v9, 7, v8
	v_lshrrev_b32_e32 v8, 3, v11
	s_mov_b32 s19, exec_lo
	v_cmpx_gt_u32_e32 8, v11
; %bb.1825:                             ;   in Loop: Header=BB241_1574 Depth=1
	v_ffbh_u32_e32 v8, v9
	v_min_u32_e32 v8, 32, v8
	v_subrev_nc_u32_e32 v11, 28, v8
	v_sub_nc_u32_e32 v8, 29, v8
	v_lshlrev_b64 v[19:20], v11, v[9:10]
	v_and_b32_e32 v9, 7, v19
; %bb.1826:                             ;   in Loop: Header=BB241_1574 Depth=1
	s_or_b32 exec_lo, exec_lo, s19
	v_lshlrev_b32_e32 v11, 16, v7
	v_lshlrev_b32_e32 v9, 20, v9
	v_lshl_add_u32 v8, v8, 23, 0x3c000000
	v_mov_b32_e32 v19, v10
	v_and_b32_e32 v11, 0x80000000, v11
	v_or3_b32 v20, v9, v11, v8
.LBB241_1827:                           ;   in Loop: Header=BB241_1574 Depth=1
	s_or_b32 exec_lo, exec_lo, s18
.LBB241_1828:                           ;   in Loop: Header=BB241_1574 Depth=1
	s_or_b32 exec_lo, exec_lo, s17
.LBB241_1829:                           ;   in Loop: Header=BB241_1574 Depth=1
	s_or_b32 exec_lo, exec_lo, s15
	v_mov_b32_e32 v21, 0
	v_mov_b32_e32 v23, 0
	v_and_b32_sdwa v8, v7, v43 dst_sel:DWORD dst_unused:UNUSED_PAD src0_sel:WORD_1 src1_sel:DWORD
	v_mov_b32_e32 v22, 0
	v_mov_b32_e32 v24, 0
	s_mov_b32 s15, exec_lo
	v_cmpx_ne_u16_e32 0, v8
	s_cbranch_execz .LBB241_1837
; %bb.1830:                             ;   in Loop: Header=BB241_1574 Depth=1
	v_bfrev_b32_e32 v23, 1
	v_mov_b32_e32 v24, 0
	s_mov_b32 s17, exec_lo
	v_cmpx_ne_u16_e32 0x80, v8
	s_cbranch_execz .LBB241_1836
; %bb.1831:                             ;   in Loop: Header=BB241_1574 Depth=1
	v_mov_b32_e32 v23, 0x7f800001
	v_bfe_u32 v11, v7, 16, 7
	v_mov_b32_e32 v24, 0
	s_mov_b32 s18, exec_lo
	v_cmpx_ne_u32_e32 0x7f, v11
	s_cbranch_execz .LBB241_1835
; %bb.1832:                             ;   in Loop: Header=BB241_1574 Depth=1
	v_mov_b32_e32 v8, 7
	s_mov_b32 s19, exec_lo
	v_and_b32_sdwa v9, v7, v8 dst_sel:DWORD dst_unused:UNUSED_PAD src0_sel:WORD_1 src1_sel:DWORD
	v_lshrrev_b32_e32 v8, 3, v11
	v_cmpx_gt_u32_e32 8, v11
; %bb.1833:                             ;   in Loop: Header=BB241_1574 Depth=1
	v_ffbh_u32_e32 v8, v9
	v_min_u32_e32 v8, 32, v8
	v_subrev_nc_u32_e32 v11, 28, v8
	v_sub_nc_u32_e32 v8, 29, v8
	v_lshlrev_b64 v[23:24], v11, v[9:10]
	v_and_b32_e32 v9, 7, v23
; %bb.1834:                             ;   in Loop: Header=BB241_1574 Depth=1
	s_or_b32 exec_lo, exec_lo, s19
	v_mov_b32_e32 v11, 24
	v_lshlrev_b32_e32 v9, 20, v9
	v_lshl_add_u32 v8, v8, 23, 0x3c000000
	v_lshlrev_b32_sdwa v11, v11, v7 dst_sel:DWORD dst_unused:UNUSED_PAD src0_sel:DWORD src1_sel:WORD_1
	v_and_b32_e32 v11, 0x80000000, v11
	v_or3_b32 v9, v9, v11, v8
	v_mov_b32_e32 v24, v10
	v_mov_b32_e32 v23, v9
.LBB241_1835:                           ;   in Loop: Header=BB241_1574 Depth=1
	s_or_b32 exec_lo, exec_lo, s18
.LBB241_1836:                           ;   in Loop: Header=BB241_1574 Depth=1
	s_or_b32 exec_lo, exec_lo, s17
.LBB241_1837:                           ;   in Loop: Header=BB241_1574 Depth=1
	s_or_b32 exec_lo, exec_lo, s15
	s_mov_b32 s15, exec_lo
	v_cmpx_lt_u32_e32 0xffffff, v7
	s_cbranch_execz .LBB241_1845
; %bb.1838:                             ;   in Loop: Header=BB241_1574 Depth=1
	v_mov_b32_e32 v11, v10
	v_mov_b32_e32 v22, v12
	v_cmp_ne_u32_sdwa s4, v7, v41 src0_sel:BYTE_3 src1_sel:DWORD
	v_mov_b32_e32 v21, v11
	s_and_saveexec_b32 s17, s4
	s_cbranch_execz .LBB241_1844
; %bb.1839:                             ;   in Loop: Header=BB241_1574 Depth=1
	v_mov_b32_e32 v13, v10
	v_mov_b32_e32 v22, v14
	v_bfe_u32 v11, v7, 24, 7
	s_mov_b32 s18, exec_lo
	v_mov_b32_e32 v21, v13
	v_cmpx_ne_u32_e32 0x7f, v11
	s_cbranch_execz .LBB241_1843
; %bb.1840:                             ;   in Loop: Header=BB241_1574 Depth=1
	v_mov_b32_e32 v8, 7
	s_mov_b32 s19, exec_lo
	v_and_b32_sdwa v9, v7, v8 dst_sel:DWORD dst_unused:UNUSED_PAD src0_sel:BYTE_3 src1_sel:DWORD
	v_lshrrev_b32_e32 v8, 3, v11
	v_cmpx_gt_u32_e32 8, v11
; %bb.1841:                             ;   in Loop: Header=BB241_1574 Depth=1
	v_ffbh_u32_e32 v8, v9
	v_min_u32_e32 v8, 32, v8
	v_subrev_nc_u32_e32 v11, 28, v8
	v_sub_nc_u32_e32 v8, 29, v8
	v_lshlrev_b64 v[21:22], v11, v[9:10]
	v_and_b32_e32 v9, 7, v21
; %bb.1842:                             ;   in Loop: Header=BB241_1574 Depth=1
	s_or_b32 exec_lo, exec_lo, s19
	v_mov_b32_e32 v11, 24
	v_lshlrev_b32_e32 v9, 20, v9
	v_lshl_add_u32 v8, v8, 23, 0x3c000000
	v_mov_b32_e32 v21, v10
	v_lshlrev_b32_sdwa v7, v11, v7 dst_sel:DWORD dst_unused:UNUSED_PAD src0_sel:DWORD src1_sel:BYTE_3
	v_and_b32_e32 v7, 0x80000000, v7
	v_or3_b32 v22, v9, v7, v8
.LBB241_1843:                           ;   in Loop: Header=BB241_1574 Depth=1
	s_or_b32 exec_lo, exec_lo, s18
.LBB241_1844:                           ;   in Loop: Header=BB241_1574 Depth=1
	s_or_b32 exec_lo, exec_lo, s17
.LBB241_1845:                           ;   in Loop: Header=BB241_1574 Depth=1
	s_or_b32 exec_lo, exec_lo, s15
	v_or_b32_e32 v4, v19, v4
	v_or_b32_e32 v7, v21, v23
	;; [unrolled: 1-line block ×4, first 2 shown]
	v_mul_f32_e32 v4, v63, v4
	v_mul_f32_e32 v5, v63, v5
	buffer_store_dword v4, off, s[0:3], s32 offset:468 ; 4-byte Folded Spill
	v_mul_f32_e32 v4, v63, v7
	buffer_store_dword v5, off, s[0:3], s32 offset:476 ; 4-byte Folded Spill
	buffer_store_dword v4, off, s[0:3], s32 offset:460 ; 4-byte Folded Spill
	v_mul_f32_e32 v4, v63, v8
	buffer_store_dword v4, off, s[0:3], s32 offset:452 ; 4-byte Folded Spill
	s_and_saveexec_b32 s15, vcc_lo
	s_cbranch_execz .LBB241_1847
; %bb.1846:                             ;   in Loop: Header=BB241_1574 Depth=1
	s_clause 0x1
	buffer_load_dword v4, off, s[0:3], s32 offset:208
	buffer_load_dword v5, off, s[0:3], s32 offset:468
	s_waitcnt vmcnt(1)
	v_cmp_lt_i32_e64 s4, v62, v4
	s_waitcnt vmcnt(0)
	v_cndmask_b32_e64 v5, 0, v5, s4
	v_cmp_lt_i32_e64 s4, v78, v4
	buffer_store_dword v5, off, s[0:3], s32 offset:468 ; 4-byte Folded Spill
	buffer_load_dword v5, off, s[0:3], s32 offset:476 ; 4-byte Folded Reload
	s_waitcnt vmcnt(0)
	v_cndmask_b32_e64 v5, 0, v5, s4
	v_cmp_lt_i32_e64 s4, v77, v4
	buffer_store_dword v5, off, s[0:3], s32 offset:476 ; 4-byte Folded Spill
	buffer_load_dword v5, off, s[0:3], s32 offset:460 ; 4-byte Folded Reload
	s_waitcnt vmcnt(0)
	v_cndmask_b32_e64 v5, 0, v5, s4
	v_cmp_lt_i32_e64 s4, v76, v4
	buffer_load_dword v4, off, s[0:3], s32 offset:452 ; 4-byte Folded Reload
	buffer_store_dword v5, off, s[0:3], s32 offset:460 ; 4-byte Folded Spill
	s_waitcnt vmcnt(0)
	v_cndmask_b32_e64 v4, 0, v4, s4
	buffer_store_dword v4, off, s[0:3], s32 offset:452 ; 4-byte Folded Spill
.LBB241_1847:                           ;   in Loop: Header=BB241_1574 Depth=1
	s_or_b32 exec_lo, exec_lo, s15
	flat_load_dword v7, v[15:16] offset:1024
	v_mov_b32_e32 v19, 0
	v_mov_b32_e32 v4, 0
	;; [unrolled: 1-line block ×4, first 2 shown]
	s_waitcnt vmcnt(0) lgkmcnt(0)
	v_cmp_ne_u16_sdwa s4, v7, v10 src0_sel:BYTE_0 src1_sel:DWORD
	s_and_saveexec_b32 s15, s4
	s_cbranch_execz .LBB241_1855
; %bb.1848:                             ;   in Loop: Header=BB241_1574 Depth=1
	v_bfrev_b32_e32 v4, 1
	v_mov_b32_e32 v5, 0
	v_cmp_ne_u16_sdwa s4, v7, v41 src0_sel:BYTE_0 src1_sel:DWORD
	s_and_saveexec_b32 s17, s4
	s_cbranch_execz .LBB241_1854
; %bb.1849:                             ;   in Loop: Header=BB241_1574 Depth=1
	v_mov_b32_e32 v4, 0x7f800001
	v_and_b32_e32 v8, 0x7f, v7
	v_mov_b32_e32 v5, 0
	s_mov_b32 s18, exec_lo
	v_cmpx_ne_u32_e32 0x7f, v8
	s_cbranch_execz .LBB241_1853
; %bb.1850:                             ;   in Loop: Header=BB241_1574 Depth=1
	v_and_b32_e32 v9, 7, v7
	v_lshrrev_b32_e32 v4, 3, v8
	s_mov_b32 s19, exec_lo
	v_cmpx_gt_u32_e32 8, v8
; %bb.1851:                             ;   in Loop: Header=BB241_1574 Depth=1
	v_ffbh_u32_e32 v4, v9
	v_min_u32_e32 v4, 32, v4
	v_subrev_nc_u32_e32 v5, 28, v4
	v_sub_nc_u32_e32 v4, 29, v4
	v_lshlrev_b64 v[8:9], v5, v[9:10]
	v_and_b32_e32 v9, 7, v8
; %bb.1852:                             ;   in Loop: Header=BB241_1574 Depth=1
	s_or_b32 exec_lo, exec_lo, s19
	v_lshlrev_b32_e32 v5, 24, v7
	v_lshlrev_b32_e32 v8, 20, v9
	v_lshl_add_u32 v4, v4, 23, 0x3c000000
	v_and_b32_e32 v5, 0x80000000, v5
	v_or3_b32 v9, v8, v5, v4
	v_mov_b32_e32 v4, v9
	v_mov_b32_e32 v5, v10
.LBB241_1853:                           ;   in Loop: Header=BB241_1574 Depth=1
	s_or_b32 exec_lo, exec_lo, s18
.LBB241_1854:                           ;   in Loop: Header=BB241_1574 Depth=1
	s_or_b32 exec_lo, exec_lo, s17
.LBB241_1855:                           ;   in Loop: Header=BB241_1574 Depth=1
	s_or_b32 exec_lo, exec_lo, s15
	v_cmp_ne_u16_sdwa s4, v7, v10 src0_sel:BYTE_1 src1_sel:DWORD
	s_and_saveexec_b32 s15, s4
	s_cbranch_execz .LBB241_1863
; %bb.1856:                             ;   in Loop: Header=BB241_1574 Depth=1
	v_mov_b32_e32 v11, v10
	v_mov_b32_e32 v20, v12
	v_cmp_ne_u16_sdwa s4, v7, v41 src0_sel:BYTE_1 src1_sel:DWORD
	v_mov_b32_e32 v19, v11
	s_and_saveexec_b32 s17, s4
	s_cbranch_execz .LBB241_1862
; %bb.1857:                             ;   in Loop: Header=BB241_1574 Depth=1
	v_and_b32_sdwa v8, v36, v7 dst_sel:DWORD dst_unused:UNUSED_PAD src0_sel:DWORD src1_sel:BYTE_1
	v_mov_b32_e32 v13, v10
	v_mov_b32_e32 v20, v14
	s_mov_b32 s18, exec_lo
	v_and_b32_e32 v11, 0x7f, v8
	v_mov_b32_e32 v19, v13
	v_cmpx_ne_u32_e32 0x7f, v11
	s_cbranch_execz .LBB241_1861
; %bb.1858:                             ;   in Loop: Header=BB241_1574 Depth=1
	v_and_b32_e32 v9, 7, v8
	v_lshrrev_b32_e32 v8, 3, v11
	s_mov_b32 s19, exec_lo
	v_cmpx_gt_u32_e32 8, v11
; %bb.1859:                             ;   in Loop: Header=BB241_1574 Depth=1
	v_ffbh_u32_e32 v8, v9
	v_min_u32_e32 v8, 32, v8
	v_subrev_nc_u32_e32 v11, 28, v8
	v_sub_nc_u32_e32 v8, 29, v8
	v_lshlrev_b64 v[19:20], v11, v[9:10]
	v_and_b32_e32 v9, 7, v19
; %bb.1860:                             ;   in Loop: Header=BB241_1574 Depth=1
	s_or_b32 exec_lo, exec_lo, s19
	v_lshlrev_b32_e32 v11, 16, v7
	v_lshlrev_b32_e32 v9, 20, v9
	v_lshl_add_u32 v8, v8, 23, 0x3c000000
	v_mov_b32_e32 v19, v10
	v_and_b32_e32 v11, 0x80000000, v11
	v_or3_b32 v20, v9, v11, v8
.LBB241_1861:                           ;   in Loop: Header=BB241_1574 Depth=1
	s_or_b32 exec_lo, exec_lo, s18
.LBB241_1862:                           ;   in Loop: Header=BB241_1574 Depth=1
	s_or_b32 exec_lo, exec_lo, s17
.LBB241_1863:                           ;   in Loop: Header=BB241_1574 Depth=1
	s_or_b32 exec_lo, exec_lo, s15
	v_mov_b32_e32 v21, 0
	v_mov_b32_e32 v23, 0
	v_and_b32_sdwa v8, v7, v43 dst_sel:DWORD dst_unused:UNUSED_PAD src0_sel:WORD_1 src1_sel:DWORD
	v_mov_b32_e32 v22, 0
	v_mov_b32_e32 v24, 0
	s_mov_b32 s15, exec_lo
	v_cmpx_ne_u16_e32 0, v8
	s_cbranch_execz .LBB241_1871
; %bb.1864:                             ;   in Loop: Header=BB241_1574 Depth=1
	v_bfrev_b32_e32 v23, 1
	v_mov_b32_e32 v24, 0
	s_mov_b32 s17, exec_lo
	v_cmpx_ne_u16_e32 0x80, v8
	s_cbranch_execz .LBB241_1870
; %bb.1865:                             ;   in Loop: Header=BB241_1574 Depth=1
	v_mov_b32_e32 v23, 0x7f800001
	v_bfe_u32 v11, v7, 16, 7
	v_mov_b32_e32 v24, 0
	s_mov_b32 s18, exec_lo
	v_cmpx_ne_u32_e32 0x7f, v11
	s_cbranch_execz .LBB241_1869
; %bb.1866:                             ;   in Loop: Header=BB241_1574 Depth=1
	v_mov_b32_e32 v8, 7
	s_mov_b32 s19, exec_lo
	v_and_b32_sdwa v9, v7, v8 dst_sel:DWORD dst_unused:UNUSED_PAD src0_sel:WORD_1 src1_sel:DWORD
	v_lshrrev_b32_e32 v8, 3, v11
	v_cmpx_gt_u32_e32 8, v11
; %bb.1867:                             ;   in Loop: Header=BB241_1574 Depth=1
	v_ffbh_u32_e32 v8, v9
	v_min_u32_e32 v8, 32, v8
	v_subrev_nc_u32_e32 v11, 28, v8
	v_sub_nc_u32_e32 v8, 29, v8
	v_lshlrev_b64 v[23:24], v11, v[9:10]
	v_and_b32_e32 v9, 7, v23
; %bb.1868:                             ;   in Loop: Header=BB241_1574 Depth=1
	s_or_b32 exec_lo, exec_lo, s19
	v_mov_b32_e32 v11, 24
	v_lshlrev_b32_e32 v9, 20, v9
	v_lshl_add_u32 v8, v8, 23, 0x3c000000
	v_lshlrev_b32_sdwa v11, v11, v7 dst_sel:DWORD dst_unused:UNUSED_PAD src0_sel:DWORD src1_sel:WORD_1
	v_and_b32_e32 v11, 0x80000000, v11
	v_or3_b32 v9, v9, v11, v8
	v_mov_b32_e32 v24, v10
	v_mov_b32_e32 v23, v9
.LBB241_1869:                           ;   in Loop: Header=BB241_1574 Depth=1
	s_or_b32 exec_lo, exec_lo, s18
.LBB241_1870:                           ;   in Loop: Header=BB241_1574 Depth=1
	s_or_b32 exec_lo, exec_lo, s17
.LBB241_1871:                           ;   in Loop: Header=BB241_1574 Depth=1
	s_or_b32 exec_lo, exec_lo, s15
	s_mov_b32 s15, exec_lo
	v_cmpx_lt_u32_e32 0xffffff, v7
	s_cbranch_execz .LBB241_1879
; %bb.1872:                             ;   in Loop: Header=BB241_1574 Depth=1
	v_mov_b32_e32 v11, v10
	v_mov_b32_e32 v22, v12
	v_cmp_ne_u32_sdwa s4, v7, v41 src0_sel:BYTE_3 src1_sel:DWORD
	v_mov_b32_e32 v21, v11
	s_and_saveexec_b32 s17, s4
	s_cbranch_execz .LBB241_1878
; %bb.1873:                             ;   in Loop: Header=BB241_1574 Depth=1
	v_mov_b32_e32 v13, v10
	v_mov_b32_e32 v22, v14
	v_bfe_u32 v11, v7, 24, 7
	s_mov_b32 s18, exec_lo
	v_mov_b32_e32 v21, v13
	v_cmpx_ne_u32_e32 0x7f, v11
	s_cbranch_execz .LBB241_1877
; %bb.1874:                             ;   in Loop: Header=BB241_1574 Depth=1
	v_mov_b32_e32 v8, 7
	s_mov_b32 s19, exec_lo
	v_and_b32_sdwa v9, v7, v8 dst_sel:DWORD dst_unused:UNUSED_PAD src0_sel:BYTE_3 src1_sel:DWORD
	v_lshrrev_b32_e32 v8, 3, v11
	v_cmpx_gt_u32_e32 8, v11
; %bb.1875:                             ;   in Loop: Header=BB241_1574 Depth=1
	v_ffbh_u32_e32 v8, v9
	v_min_u32_e32 v8, 32, v8
	v_subrev_nc_u32_e32 v11, 28, v8
	v_sub_nc_u32_e32 v8, 29, v8
	v_lshlrev_b64 v[21:22], v11, v[9:10]
	v_and_b32_e32 v9, 7, v21
; %bb.1876:                             ;   in Loop: Header=BB241_1574 Depth=1
	s_or_b32 exec_lo, exec_lo, s19
	v_mov_b32_e32 v11, 24
	v_lshlrev_b32_e32 v9, 20, v9
	v_lshl_add_u32 v8, v8, 23, 0x3c000000
	v_mov_b32_e32 v21, v10
	v_lshlrev_b32_sdwa v7, v11, v7 dst_sel:DWORD dst_unused:UNUSED_PAD src0_sel:DWORD src1_sel:BYTE_3
	v_and_b32_e32 v7, 0x80000000, v7
	v_or3_b32 v22, v9, v7, v8
.LBB241_1877:                           ;   in Loop: Header=BB241_1574 Depth=1
	s_or_b32 exec_lo, exec_lo, s18
.LBB241_1878:                           ;   in Loop: Header=BB241_1574 Depth=1
	s_or_b32 exec_lo, exec_lo, s17
.LBB241_1879:                           ;   in Loop: Header=BB241_1574 Depth=1
	s_or_b32 exec_lo, exec_lo, s15
	v_or_b32_e32 v4, v19, v4
	v_or_b32_e32 v7, v21, v23
	;; [unrolled: 1-line block ×4, first 2 shown]
	v_mul_f32_e32 v4, v63, v4
	v_mul_f32_e32 v5, v63, v5
	buffer_store_dword v4, off, s[0:3], s32 offset:500 ; 4-byte Folded Spill
	v_mul_f32_e32 v4, v63, v7
	buffer_store_dword v5, off, s[0:3], s32 offset:508 ; 4-byte Folded Spill
	buffer_store_dword v4, off, s[0:3], s32 offset:492 ; 4-byte Folded Spill
	v_mul_f32_e32 v4, v63, v8
	buffer_store_dword v4, off, s[0:3], s32 offset:484 ; 4-byte Folded Spill
	s_and_saveexec_b32 s15, vcc_lo
	s_cbranch_execz .LBB241_1881
; %bb.1880:                             ;   in Loop: Header=BB241_1574 Depth=1
	s_clause 0x1
	buffer_load_dword v4, off, s[0:3], s32 offset:208
	buffer_load_dword v5, off, s[0:3], s32 offset:500
	s_waitcnt vmcnt(1)
	v_cmp_lt_i32_e64 s4, v62, v4
	s_waitcnt vmcnt(0)
	v_cndmask_b32_e64 v5, 0, v5, s4
	v_cmp_lt_i32_e64 s4, v78, v4
	buffer_store_dword v5, off, s[0:3], s32 offset:500 ; 4-byte Folded Spill
	buffer_load_dword v5, off, s[0:3], s32 offset:508 ; 4-byte Folded Reload
	s_waitcnt vmcnt(0)
	v_cndmask_b32_e64 v5, 0, v5, s4
	v_cmp_lt_i32_e64 s4, v77, v4
	buffer_store_dword v5, off, s[0:3], s32 offset:508 ; 4-byte Folded Spill
	buffer_load_dword v5, off, s[0:3], s32 offset:492 ; 4-byte Folded Reload
	s_waitcnt vmcnt(0)
	v_cndmask_b32_e64 v5, 0, v5, s4
	v_cmp_lt_i32_e64 s4, v76, v4
	buffer_load_dword v4, off, s[0:3], s32 offset:484 ; 4-byte Folded Reload
	buffer_store_dword v5, off, s[0:3], s32 offset:492 ; 4-byte Folded Spill
	s_waitcnt vmcnt(0)
	v_cndmask_b32_e64 v4, 0, v4, s4
	buffer_store_dword v4, off, s[0:3], s32 offset:484 ; 4-byte Folded Spill
.LBB241_1881:                           ;   in Loop: Header=BB241_1574 Depth=1
	s_or_b32 exec_lo, exec_lo, s15
	flat_load_dword v7, v[15:16] offset:1152
	v_mov_b32_e32 v19, 0
	v_mov_b32_e32 v4, 0
	;; [unrolled: 1-line block ×4, first 2 shown]
	s_waitcnt vmcnt(0) lgkmcnt(0)
	v_cmp_ne_u16_sdwa s4, v7, v10 src0_sel:BYTE_0 src1_sel:DWORD
	s_and_saveexec_b32 s15, s4
	s_cbranch_execz .LBB241_1889
; %bb.1882:                             ;   in Loop: Header=BB241_1574 Depth=1
	v_bfrev_b32_e32 v4, 1
	v_mov_b32_e32 v5, 0
	v_cmp_ne_u16_sdwa s4, v7, v41 src0_sel:BYTE_0 src1_sel:DWORD
	s_and_saveexec_b32 s17, s4
	s_cbranch_execz .LBB241_1888
; %bb.1883:                             ;   in Loop: Header=BB241_1574 Depth=1
	v_mov_b32_e32 v4, 0x7f800001
	v_and_b32_e32 v8, 0x7f, v7
	v_mov_b32_e32 v5, 0
	s_mov_b32 s18, exec_lo
	v_cmpx_ne_u32_e32 0x7f, v8
	s_cbranch_execz .LBB241_1887
; %bb.1884:                             ;   in Loop: Header=BB241_1574 Depth=1
	v_and_b32_e32 v9, 7, v7
	v_lshrrev_b32_e32 v4, 3, v8
	s_mov_b32 s19, exec_lo
	v_cmpx_gt_u32_e32 8, v8
; %bb.1885:                             ;   in Loop: Header=BB241_1574 Depth=1
	v_ffbh_u32_e32 v4, v9
	v_min_u32_e32 v4, 32, v4
	v_subrev_nc_u32_e32 v5, 28, v4
	v_sub_nc_u32_e32 v4, 29, v4
	v_lshlrev_b64 v[8:9], v5, v[9:10]
	v_and_b32_e32 v9, 7, v8
; %bb.1886:                             ;   in Loop: Header=BB241_1574 Depth=1
	s_or_b32 exec_lo, exec_lo, s19
	v_lshlrev_b32_e32 v5, 24, v7
	v_lshlrev_b32_e32 v8, 20, v9
	v_lshl_add_u32 v4, v4, 23, 0x3c000000
	v_and_b32_e32 v5, 0x80000000, v5
	v_or3_b32 v9, v8, v5, v4
	v_mov_b32_e32 v4, v9
	v_mov_b32_e32 v5, v10
.LBB241_1887:                           ;   in Loop: Header=BB241_1574 Depth=1
	s_or_b32 exec_lo, exec_lo, s18
.LBB241_1888:                           ;   in Loop: Header=BB241_1574 Depth=1
	s_or_b32 exec_lo, exec_lo, s17
.LBB241_1889:                           ;   in Loop: Header=BB241_1574 Depth=1
	s_or_b32 exec_lo, exec_lo, s15
	v_cmp_ne_u16_sdwa s4, v7, v10 src0_sel:BYTE_1 src1_sel:DWORD
	s_and_saveexec_b32 s15, s4
	s_cbranch_execz .LBB241_1897
; %bb.1890:                             ;   in Loop: Header=BB241_1574 Depth=1
	v_mov_b32_e32 v11, v10
	v_mov_b32_e32 v20, v12
	v_cmp_ne_u16_sdwa s4, v7, v41 src0_sel:BYTE_1 src1_sel:DWORD
	v_mov_b32_e32 v19, v11
	s_and_saveexec_b32 s17, s4
	s_cbranch_execz .LBB241_1896
; %bb.1891:                             ;   in Loop: Header=BB241_1574 Depth=1
	v_and_b32_sdwa v8, v36, v7 dst_sel:DWORD dst_unused:UNUSED_PAD src0_sel:DWORD src1_sel:BYTE_1
	v_mov_b32_e32 v13, v10
	v_mov_b32_e32 v20, v14
	s_mov_b32 s18, exec_lo
	v_and_b32_e32 v11, 0x7f, v8
	v_mov_b32_e32 v19, v13
	v_cmpx_ne_u32_e32 0x7f, v11
	s_cbranch_execz .LBB241_1895
; %bb.1892:                             ;   in Loop: Header=BB241_1574 Depth=1
	v_and_b32_e32 v9, 7, v8
	v_lshrrev_b32_e32 v8, 3, v11
	s_mov_b32 s19, exec_lo
	v_cmpx_gt_u32_e32 8, v11
; %bb.1893:                             ;   in Loop: Header=BB241_1574 Depth=1
	v_ffbh_u32_e32 v8, v9
	v_min_u32_e32 v8, 32, v8
	v_subrev_nc_u32_e32 v11, 28, v8
	v_sub_nc_u32_e32 v8, 29, v8
	v_lshlrev_b64 v[19:20], v11, v[9:10]
	v_and_b32_e32 v9, 7, v19
; %bb.1894:                             ;   in Loop: Header=BB241_1574 Depth=1
	s_or_b32 exec_lo, exec_lo, s19
	v_lshlrev_b32_e32 v11, 16, v7
	v_lshlrev_b32_e32 v9, 20, v9
	v_lshl_add_u32 v8, v8, 23, 0x3c000000
	v_mov_b32_e32 v19, v10
	v_and_b32_e32 v11, 0x80000000, v11
	v_or3_b32 v20, v9, v11, v8
.LBB241_1895:                           ;   in Loop: Header=BB241_1574 Depth=1
	s_or_b32 exec_lo, exec_lo, s18
.LBB241_1896:                           ;   in Loop: Header=BB241_1574 Depth=1
	s_or_b32 exec_lo, exec_lo, s17
.LBB241_1897:                           ;   in Loop: Header=BB241_1574 Depth=1
	s_or_b32 exec_lo, exec_lo, s15
	v_mov_b32_e32 v21, 0
	v_mov_b32_e32 v23, 0
	v_and_b32_sdwa v8, v7, v43 dst_sel:DWORD dst_unused:UNUSED_PAD src0_sel:WORD_1 src1_sel:DWORD
	v_mov_b32_e32 v22, 0
	v_mov_b32_e32 v24, 0
	s_mov_b32 s15, exec_lo
	v_cmpx_ne_u16_e32 0, v8
	s_cbranch_execz .LBB241_1905
; %bb.1898:                             ;   in Loop: Header=BB241_1574 Depth=1
	v_bfrev_b32_e32 v23, 1
	v_mov_b32_e32 v24, 0
	s_mov_b32 s17, exec_lo
	v_cmpx_ne_u16_e32 0x80, v8
	s_cbranch_execz .LBB241_1904
; %bb.1899:                             ;   in Loop: Header=BB241_1574 Depth=1
	v_mov_b32_e32 v23, 0x7f800001
	v_bfe_u32 v11, v7, 16, 7
	v_mov_b32_e32 v24, 0
	s_mov_b32 s18, exec_lo
	v_cmpx_ne_u32_e32 0x7f, v11
	s_cbranch_execz .LBB241_1903
; %bb.1900:                             ;   in Loop: Header=BB241_1574 Depth=1
	v_mov_b32_e32 v8, 7
	s_mov_b32 s19, exec_lo
	v_and_b32_sdwa v9, v7, v8 dst_sel:DWORD dst_unused:UNUSED_PAD src0_sel:WORD_1 src1_sel:DWORD
	v_lshrrev_b32_e32 v8, 3, v11
	v_cmpx_gt_u32_e32 8, v11
; %bb.1901:                             ;   in Loop: Header=BB241_1574 Depth=1
	v_ffbh_u32_e32 v8, v9
	v_min_u32_e32 v8, 32, v8
	v_subrev_nc_u32_e32 v11, 28, v8
	v_sub_nc_u32_e32 v8, 29, v8
	v_lshlrev_b64 v[23:24], v11, v[9:10]
	v_and_b32_e32 v9, 7, v23
; %bb.1902:                             ;   in Loop: Header=BB241_1574 Depth=1
	s_or_b32 exec_lo, exec_lo, s19
	v_mov_b32_e32 v11, 24
	v_lshlrev_b32_e32 v9, 20, v9
	v_lshl_add_u32 v8, v8, 23, 0x3c000000
	v_lshlrev_b32_sdwa v11, v11, v7 dst_sel:DWORD dst_unused:UNUSED_PAD src0_sel:DWORD src1_sel:WORD_1
	v_and_b32_e32 v11, 0x80000000, v11
	v_or3_b32 v9, v9, v11, v8
	v_mov_b32_e32 v24, v10
	v_mov_b32_e32 v23, v9
.LBB241_1903:                           ;   in Loop: Header=BB241_1574 Depth=1
	s_or_b32 exec_lo, exec_lo, s18
.LBB241_1904:                           ;   in Loop: Header=BB241_1574 Depth=1
	s_or_b32 exec_lo, exec_lo, s17
.LBB241_1905:                           ;   in Loop: Header=BB241_1574 Depth=1
	s_or_b32 exec_lo, exec_lo, s15
	s_mov_b32 s15, exec_lo
	v_cmpx_lt_u32_e32 0xffffff, v7
	s_cbranch_execz .LBB241_1913
; %bb.1906:                             ;   in Loop: Header=BB241_1574 Depth=1
	v_mov_b32_e32 v11, v10
	v_mov_b32_e32 v22, v12
	v_cmp_ne_u32_sdwa s4, v7, v41 src0_sel:BYTE_3 src1_sel:DWORD
	v_mov_b32_e32 v21, v11
	s_and_saveexec_b32 s17, s4
	s_cbranch_execz .LBB241_1912
; %bb.1907:                             ;   in Loop: Header=BB241_1574 Depth=1
	v_mov_b32_e32 v13, v10
	v_mov_b32_e32 v22, v14
	v_bfe_u32 v11, v7, 24, 7
	s_mov_b32 s18, exec_lo
	v_mov_b32_e32 v21, v13
	v_cmpx_ne_u32_e32 0x7f, v11
	s_cbranch_execz .LBB241_1911
; %bb.1908:                             ;   in Loop: Header=BB241_1574 Depth=1
	v_mov_b32_e32 v8, 7
	s_mov_b32 s19, exec_lo
	v_and_b32_sdwa v9, v7, v8 dst_sel:DWORD dst_unused:UNUSED_PAD src0_sel:BYTE_3 src1_sel:DWORD
	v_lshrrev_b32_e32 v8, 3, v11
	v_cmpx_gt_u32_e32 8, v11
; %bb.1909:                             ;   in Loop: Header=BB241_1574 Depth=1
	v_ffbh_u32_e32 v8, v9
	v_min_u32_e32 v8, 32, v8
	v_subrev_nc_u32_e32 v11, 28, v8
	v_sub_nc_u32_e32 v8, 29, v8
	v_lshlrev_b64 v[21:22], v11, v[9:10]
	v_and_b32_e32 v9, 7, v21
; %bb.1910:                             ;   in Loop: Header=BB241_1574 Depth=1
	s_or_b32 exec_lo, exec_lo, s19
	v_mov_b32_e32 v11, 24
	v_lshlrev_b32_e32 v9, 20, v9
	v_lshl_add_u32 v8, v8, 23, 0x3c000000
	v_mov_b32_e32 v21, v10
	v_lshlrev_b32_sdwa v7, v11, v7 dst_sel:DWORD dst_unused:UNUSED_PAD src0_sel:DWORD src1_sel:BYTE_3
	v_and_b32_e32 v7, 0x80000000, v7
	v_or3_b32 v22, v9, v7, v8
.LBB241_1911:                           ;   in Loop: Header=BB241_1574 Depth=1
	s_or_b32 exec_lo, exec_lo, s18
.LBB241_1912:                           ;   in Loop: Header=BB241_1574 Depth=1
	s_or_b32 exec_lo, exec_lo, s17
.LBB241_1913:                           ;   in Loop: Header=BB241_1574 Depth=1
	s_or_b32 exec_lo, exec_lo, s15
	v_or_b32_e32 v4, v19, v4
	v_or_b32_e32 v7, v21, v23
	;; [unrolled: 1-line block ×4, first 2 shown]
	v_mul_f32_e32 v4, v63, v4
	v_mul_f32_e32 v5, v63, v5
	buffer_store_dword v4, off, s[0:3], s32 offset:532 ; 4-byte Folded Spill
	v_mul_f32_e32 v4, v63, v7
	buffer_store_dword v5, off, s[0:3], s32 offset:540 ; 4-byte Folded Spill
	buffer_store_dword v4, off, s[0:3], s32 offset:524 ; 4-byte Folded Spill
	v_mul_f32_e32 v4, v63, v8
	buffer_store_dword v4, off, s[0:3], s32 offset:516 ; 4-byte Folded Spill
	s_and_saveexec_b32 s15, vcc_lo
	s_cbranch_execz .LBB241_1915
; %bb.1914:                             ;   in Loop: Header=BB241_1574 Depth=1
	s_clause 0x1
	buffer_load_dword v4, off, s[0:3], s32 offset:208
	buffer_load_dword v5, off, s[0:3], s32 offset:532
	s_waitcnt vmcnt(1)
	v_cmp_lt_i32_e64 s4, v62, v4
	s_waitcnt vmcnt(0)
	v_cndmask_b32_e64 v5, 0, v5, s4
	v_cmp_lt_i32_e64 s4, v78, v4
	buffer_store_dword v5, off, s[0:3], s32 offset:532 ; 4-byte Folded Spill
	buffer_load_dword v5, off, s[0:3], s32 offset:540 ; 4-byte Folded Reload
	s_waitcnt vmcnt(0)
	v_cndmask_b32_e64 v5, 0, v5, s4
	v_cmp_lt_i32_e64 s4, v77, v4
	buffer_store_dword v5, off, s[0:3], s32 offset:540 ; 4-byte Folded Spill
	buffer_load_dword v5, off, s[0:3], s32 offset:524 ; 4-byte Folded Reload
	s_waitcnt vmcnt(0)
	v_cndmask_b32_e64 v5, 0, v5, s4
	v_cmp_lt_i32_e64 s4, v76, v4
	buffer_load_dword v4, off, s[0:3], s32 offset:516 ; 4-byte Folded Reload
	buffer_store_dword v5, off, s[0:3], s32 offset:524 ; 4-byte Folded Spill
	s_waitcnt vmcnt(0)
	v_cndmask_b32_e64 v4, 0, v4, s4
	buffer_store_dword v4, off, s[0:3], s32 offset:516 ; 4-byte Folded Spill
.LBB241_1915:                           ;   in Loop: Header=BB241_1574 Depth=1
	s_or_b32 exec_lo, exec_lo, s15
	flat_load_dword v7, v[15:16] offset:1280
	v_mov_b32_e32 v19, 0
	v_mov_b32_e32 v4, 0
	;; [unrolled: 1-line block ×4, first 2 shown]
	s_waitcnt vmcnt(0) lgkmcnt(0)
	v_cmp_ne_u16_sdwa s4, v7, v10 src0_sel:BYTE_0 src1_sel:DWORD
	s_and_saveexec_b32 s15, s4
	s_cbranch_execz .LBB241_1923
; %bb.1916:                             ;   in Loop: Header=BB241_1574 Depth=1
	v_bfrev_b32_e32 v4, 1
	v_mov_b32_e32 v5, 0
	v_cmp_ne_u16_sdwa s4, v7, v41 src0_sel:BYTE_0 src1_sel:DWORD
	s_and_saveexec_b32 s17, s4
	s_cbranch_execz .LBB241_1922
; %bb.1917:                             ;   in Loop: Header=BB241_1574 Depth=1
	v_mov_b32_e32 v4, 0x7f800001
	v_and_b32_e32 v8, 0x7f, v7
	v_mov_b32_e32 v5, 0
	s_mov_b32 s18, exec_lo
	v_cmpx_ne_u32_e32 0x7f, v8
	s_cbranch_execz .LBB241_1921
; %bb.1918:                             ;   in Loop: Header=BB241_1574 Depth=1
	v_and_b32_e32 v9, 7, v7
	v_lshrrev_b32_e32 v4, 3, v8
	s_mov_b32 s19, exec_lo
	v_cmpx_gt_u32_e32 8, v8
; %bb.1919:                             ;   in Loop: Header=BB241_1574 Depth=1
	v_ffbh_u32_e32 v4, v9
	v_min_u32_e32 v4, 32, v4
	v_subrev_nc_u32_e32 v5, 28, v4
	v_sub_nc_u32_e32 v4, 29, v4
	v_lshlrev_b64 v[8:9], v5, v[9:10]
	v_and_b32_e32 v9, 7, v8
; %bb.1920:                             ;   in Loop: Header=BB241_1574 Depth=1
	s_or_b32 exec_lo, exec_lo, s19
	v_lshlrev_b32_e32 v5, 24, v7
	v_lshlrev_b32_e32 v8, 20, v9
	v_lshl_add_u32 v4, v4, 23, 0x3c000000
	v_and_b32_e32 v5, 0x80000000, v5
	v_or3_b32 v9, v8, v5, v4
	v_mov_b32_e32 v4, v9
	v_mov_b32_e32 v5, v10
.LBB241_1921:                           ;   in Loop: Header=BB241_1574 Depth=1
	s_or_b32 exec_lo, exec_lo, s18
.LBB241_1922:                           ;   in Loop: Header=BB241_1574 Depth=1
	s_or_b32 exec_lo, exec_lo, s17
.LBB241_1923:                           ;   in Loop: Header=BB241_1574 Depth=1
	s_or_b32 exec_lo, exec_lo, s15
	v_cmp_ne_u16_sdwa s4, v7, v10 src0_sel:BYTE_1 src1_sel:DWORD
	s_and_saveexec_b32 s15, s4
	s_cbranch_execz .LBB241_1931
; %bb.1924:                             ;   in Loop: Header=BB241_1574 Depth=1
	v_mov_b32_e32 v11, v10
	v_mov_b32_e32 v20, v12
	v_cmp_ne_u16_sdwa s4, v7, v41 src0_sel:BYTE_1 src1_sel:DWORD
	v_mov_b32_e32 v19, v11
	s_and_saveexec_b32 s17, s4
	s_cbranch_execz .LBB241_1930
; %bb.1925:                             ;   in Loop: Header=BB241_1574 Depth=1
	v_and_b32_sdwa v8, v36, v7 dst_sel:DWORD dst_unused:UNUSED_PAD src0_sel:DWORD src1_sel:BYTE_1
	v_mov_b32_e32 v13, v10
	v_mov_b32_e32 v20, v14
	s_mov_b32 s18, exec_lo
	v_and_b32_e32 v11, 0x7f, v8
	v_mov_b32_e32 v19, v13
	v_cmpx_ne_u32_e32 0x7f, v11
	s_cbranch_execz .LBB241_1929
; %bb.1926:                             ;   in Loop: Header=BB241_1574 Depth=1
	v_and_b32_e32 v9, 7, v8
	v_lshrrev_b32_e32 v8, 3, v11
	s_mov_b32 s19, exec_lo
	v_cmpx_gt_u32_e32 8, v11
; %bb.1927:                             ;   in Loop: Header=BB241_1574 Depth=1
	v_ffbh_u32_e32 v8, v9
	v_min_u32_e32 v8, 32, v8
	v_subrev_nc_u32_e32 v11, 28, v8
	v_sub_nc_u32_e32 v8, 29, v8
	v_lshlrev_b64 v[19:20], v11, v[9:10]
	v_and_b32_e32 v9, 7, v19
; %bb.1928:                             ;   in Loop: Header=BB241_1574 Depth=1
	s_or_b32 exec_lo, exec_lo, s19
	v_lshlrev_b32_e32 v11, 16, v7
	v_lshlrev_b32_e32 v9, 20, v9
	v_lshl_add_u32 v8, v8, 23, 0x3c000000
	v_mov_b32_e32 v19, v10
	v_and_b32_e32 v11, 0x80000000, v11
	v_or3_b32 v20, v9, v11, v8
.LBB241_1929:                           ;   in Loop: Header=BB241_1574 Depth=1
	s_or_b32 exec_lo, exec_lo, s18
.LBB241_1930:                           ;   in Loop: Header=BB241_1574 Depth=1
	s_or_b32 exec_lo, exec_lo, s17
.LBB241_1931:                           ;   in Loop: Header=BB241_1574 Depth=1
	s_or_b32 exec_lo, exec_lo, s15
	v_mov_b32_e32 v21, 0
	v_mov_b32_e32 v23, 0
	v_and_b32_sdwa v8, v7, v43 dst_sel:DWORD dst_unused:UNUSED_PAD src0_sel:WORD_1 src1_sel:DWORD
	v_mov_b32_e32 v22, 0
	v_mov_b32_e32 v24, 0
	s_mov_b32 s15, exec_lo
	v_cmpx_ne_u16_e32 0, v8
	s_cbranch_execz .LBB241_1939
; %bb.1932:                             ;   in Loop: Header=BB241_1574 Depth=1
	v_bfrev_b32_e32 v23, 1
	v_mov_b32_e32 v24, 0
	s_mov_b32 s17, exec_lo
	v_cmpx_ne_u16_e32 0x80, v8
	s_cbranch_execz .LBB241_1938
; %bb.1933:                             ;   in Loop: Header=BB241_1574 Depth=1
	v_mov_b32_e32 v23, 0x7f800001
	v_bfe_u32 v11, v7, 16, 7
	v_mov_b32_e32 v24, 0
	s_mov_b32 s18, exec_lo
	v_cmpx_ne_u32_e32 0x7f, v11
	s_cbranch_execz .LBB241_1937
; %bb.1934:                             ;   in Loop: Header=BB241_1574 Depth=1
	v_mov_b32_e32 v8, 7
	s_mov_b32 s19, exec_lo
	v_and_b32_sdwa v9, v7, v8 dst_sel:DWORD dst_unused:UNUSED_PAD src0_sel:WORD_1 src1_sel:DWORD
	v_lshrrev_b32_e32 v8, 3, v11
	v_cmpx_gt_u32_e32 8, v11
; %bb.1935:                             ;   in Loop: Header=BB241_1574 Depth=1
	v_ffbh_u32_e32 v8, v9
	v_min_u32_e32 v8, 32, v8
	v_subrev_nc_u32_e32 v11, 28, v8
	v_sub_nc_u32_e32 v8, 29, v8
	v_lshlrev_b64 v[23:24], v11, v[9:10]
	v_and_b32_e32 v9, 7, v23
; %bb.1936:                             ;   in Loop: Header=BB241_1574 Depth=1
	s_or_b32 exec_lo, exec_lo, s19
	v_mov_b32_e32 v11, 24
	v_lshlrev_b32_e32 v9, 20, v9
	v_lshl_add_u32 v8, v8, 23, 0x3c000000
	v_lshlrev_b32_sdwa v11, v11, v7 dst_sel:DWORD dst_unused:UNUSED_PAD src0_sel:DWORD src1_sel:WORD_1
	v_and_b32_e32 v11, 0x80000000, v11
	v_or3_b32 v9, v9, v11, v8
	v_mov_b32_e32 v24, v10
	v_mov_b32_e32 v23, v9
.LBB241_1937:                           ;   in Loop: Header=BB241_1574 Depth=1
	s_or_b32 exec_lo, exec_lo, s18
.LBB241_1938:                           ;   in Loop: Header=BB241_1574 Depth=1
	s_or_b32 exec_lo, exec_lo, s17
.LBB241_1939:                           ;   in Loop: Header=BB241_1574 Depth=1
	s_or_b32 exec_lo, exec_lo, s15
	s_mov_b32 s15, exec_lo
	v_cmpx_lt_u32_e32 0xffffff, v7
	s_cbranch_execz .LBB241_1947
; %bb.1940:                             ;   in Loop: Header=BB241_1574 Depth=1
	v_mov_b32_e32 v11, v10
	v_mov_b32_e32 v22, v12
	v_cmp_ne_u32_sdwa s4, v7, v41 src0_sel:BYTE_3 src1_sel:DWORD
	v_mov_b32_e32 v21, v11
	s_and_saveexec_b32 s17, s4
	s_cbranch_execz .LBB241_1946
; %bb.1941:                             ;   in Loop: Header=BB241_1574 Depth=1
	v_mov_b32_e32 v13, v10
	v_mov_b32_e32 v22, v14
	v_bfe_u32 v11, v7, 24, 7
	s_mov_b32 s18, exec_lo
	v_mov_b32_e32 v21, v13
	v_cmpx_ne_u32_e32 0x7f, v11
	s_cbranch_execz .LBB241_1945
; %bb.1942:                             ;   in Loop: Header=BB241_1574 Depth=1
	v_mov_b32_e32 v8, 7
	s_mov_b32 s19, exec_lo
	v_and_b32_sdwa v9, v7, v8 dst_sel:DWORD dst_unused:UNUSED_PAD src0_sel:BYTE_3 src1_sel:DWORD
	v_lshrrev_b32_e32 v8, 3, v11
	v_cmpx_gt_u32_e32 8, v11
; %bb.1943:                             ;   in Loop: Header=BB241_1574 Depth=1
	v_ffbh_u32_e32 v8, v9
	v_min_u32_e32 v8, 32, v8
	v_subrev_nc_u32_e32 v11, 28, v8
	v_sub_nc_u32_e32 v8, 29, v8
	v_lshlrev_b64 v[21:22], v11, v[9:10]
	v_and_b32_e32 v9, 7, v21
; %bb.1944:                             ;   in Loop: Header=BB241_1574 Depth=1
	s_or_b32 exec_lo, exec_lo, s19
	v_mov_b32_e32 v11, 24
	v_lshlrev_b32_e32 v9, 20, v9
	v_lshl_add_u32 v8, v8, 23, 0x3c000000
	v_mov_b32_e32 v21, v10
	v_lshlrev_b32_sdwa v7, v11, v7 dst_sel:DWORD dst_unused:UNUSED_PAD src0_sel:DWORD src1_sel:BYTE_3
	v_and_b32_e32 v7, 0x80000000, v7
	v_or3_b32 v22, v9, v7, v8
.LBB241_1945:                           ;   in Loop: Header=BB241_1574 Depth=1
	s_or_b32 exec_lo, exec_lo, s18
.LBB241_1946:                           ;   in Loop: Header=BB241_1574 Depth=1
	s_or_b32 exec_lo, exec_lo, s17
.LBB241_1947:                           ;   in Loop: Header=BB241_1574 Depth=1
	s_or_b32 exec_lo, exec_lo, s15
	v_or_b32_e32 v4, v19, v4
	v_or_b32_e32 v7, v21, v23
	;; [unrolled: 1-line block ×4, first 2 shown]
	v_mul_f32_e32 v4, v63, v4
	v_mul_f32_e32 v5, v63, v5
	buffer_store_dword v4, off, s[0:3], s32 offset:564 ; 4-byte Folded Spill
	v_mul_f32_e32 v4, v63, v7
	buffer_store_dword v5, off, s[0:3], s32 offset:572 ; 4-byte Folded Spill
	buffer_store_dword v4, off, s[0:3], s32 offset:556 ; 4-byte Folded Spill
	v_mul_f32_e32 v4, v63, v8
	buffer_store_dword v4, off, s[0:3], s32 offset:548 ; 4-byte Folded Spill
	s_and_saveexec_b32 s15, vcc_lo
	s_cbranch_execz .LBB241_1949
; %bb.1948:                             ;   in Loop: Header=BB241_1574 Depth=1
	s_clause 0x1
	buffer_load_dword v4, off, s[0:3], s32 offset:208
	buffer_load_dword v5, off, s[0:3], s32 offset:564
	s_waitcnt vmcnt(1)
	v_cmp_lt_i32_e64 s4, v62, v4
	s_waitcnt vmcnt(0)
	v_cndmask_b32_e64 v5, 0, v5, s4
	v_cmp_lt_i32_e64 s4, v78, v4
	buffer_store_dword v5, off, s[0:3], s32 offset:564 ; 4-byte Folded Spill
	buffer_load_dword v5, off, s[0:3], s32 offset:572 ; 4-byte Folded Reload
	s_waitcnt vmcnt(0)
	v_cndmask_b32_e64 v5, 0, v5, s4
	v_cmp_lt_i32_e64 s4, v77, v4
	buffer_store_dword v5, off, s[0:3], s32 offset:572 ; 4-byte Folded Spill
	buffer_load_dword v5, off, s[0:3], s32 offset:556 ; 4-byte Folded Reload
	s_waitcnt vmcnt(0)
	v_cndmask_b32_e64 v5, 0, v5, s4
	v_cmp_lt_i32_e64 s4, v76, v4
	buffer_load_dword v4, off, s[0:3], s32 offset:548 ; 4-byte Folded Reload
	buffer_store_dword v5, off, s[0:3], s32 offset:556 ; 4-byte Folded Spill
	s_waitcnt vmcnt(0)
	v_cndmask_b32_e64 v4, 0, v4, s4
	buffer_store_dword v4, off, s[0:3], s32 offset:548 ; 4-byte Folded Spill
.LBB241_1949:                           ;   in Loop: Header=BB241_1574 Depth=1
	s_or_b32 exec_lo, exec_lo, s15
	flat_load_dword v7, v[15:16] offset:1408
	v_mov_b32_e32 v19, 0
	v_mov_b32_e32 v4, 0
	;; [unrolled: 1-line block ×4, first 2 shown]
	s_waitcnt vmcnt(0) lgkmcnt(0)
	v_cmp_ne_u16_sdwa s4, v7, v10 src0_sel:BYTE_0 src1_sel:DWORD
	s_and_saveexec_b32 s15, s4
	s_cbranch_execz .LBB241_1957
; %bb.1950:                             ;   in Loop: Header=BB241_1574 Depth=1
	v_bfrev_b32_e32 v4, 1
	v_mov_b32_e32 v5, 0
	v_cmp_ne_u16_sdwa s4, v7, v41 src0_sel:BYTE_0 src1_sel:DWORD
	s_and_saveexec_b32 s17, s4
	s_cbranch_execz .LBB241_1956
; %bb.1951:                             ;   in Loop: Header=BB241_1574 Depth=1
	v_mov_b32_e32 v4, 0x7f800001
	v_and_b32_e32 v8, 0x7f, v7
	v_mov_b32_e32 v5, 0
	s_mov_b32 s18, exec_lo
	v_cmpx_ne_u32_e32 0x7f, v8
	s_cbranch_execz .LBB241_1955
; %bb.1952:                             ;   in Loop: Header=BB241_1574 Depth=1
	v_and_b32_e32 v9, 7, v7
	v_lshrrev_b32_e32 v4, 3, v8
	s_mov_b32 s19, exec_lo
	v_cmpx_gt_u32_e32 8, v8
; %bb.1953:                             ;   in Loop: Header=BB241_1574 Depth=1
	v_ffbh_u32_e32 v4, v9
	v_min_u32_e32 v4, 32, v4
	v_subrev_nc_u32_e32 v5, 28, v4
	v_sub_nc_u32_e32 v4, 29, v4
	v_lshlrev_b64 v[8:9], v5, v[9:10]
	v_and_b32_e32 v9, 7, v8
; %bb.1954:                             ;   in Loop: Header=BB241_1574 Depth=1
	s_or_b32 exec_lo, exec_lo, s19
	v_lshlrev_b32_e32 v5, 24, v7
	v_lshlrev_b32_e32 v8, 20, v9
	v_lshl_add_u32 v4, v4, 23, 0x3c000000
	v_and_b32_e32 v5, 0x80000000, v5
	v_or3_b32 v9, v8, v5, v4
	v_mov_b32_e32 v4, v9
	v_mov_b32_e32 v5, v10
.LBB241_1955:                           ;   in Loop: Header=BB241_1574 Depth=1
	s_or_b32 exec_lo, exec_lo, s18
.LBB241_1956:                           ;   in Loop: Header=BB241_1574 Depth=1
	s_or_b32 exec_lo, exec_lo, s17
.LBB241_1957:                           ;   in Loop: Header=BB241_1574 Depth=1
	s_or_b32 exec_lo, exec_lo, s15
	v_cmp_ne_u16_sdwa s4, v7, v10 src0_sel:BYTE_1 src1_sel:DWORD
	s_and_saveexec_b32 s15, s4
	s_cbranch_execz .LBB241_1965
; %bb.1958:                             ;   in Loop: Header=BB241_1574 Depth=1
	v_mov_b32_e32 v11, v10
	v_mov_b32_e32 v20, v12
	v_cmp_ne_u16_sdwa s4, v7, v41 src0_sel:BYTE_1 src1_sel:DWORD
	v_mov_b32_e32 v19, v11
	s_and_saveexec_b32 s17, s4
	s_cbranch_execz .LBB241_1964
; %bb.1959:                             ;   in Loop: Header=BB241_1574 Depth=1
	v_and_b32_sdwa v8, v36, v7 dst_sel:DWORD dst_unused:UNUSED_PAD src0_sel:DWORD src1_sel:BYTE_1
	v_mov_b32_e32 v13, v10
	v_mov_b32_e32 v20, v14
	s_mov_b32 s18, exec_lo
	v_and_b32_e32 v11, 0x7f, v8
	v_mov_b32_e32 v19, v13
	v_cmpx_ne_u32_e32 0x7f, v11
	s_cbranch_execz .LBB241_1963
; %bb.1960:                             ;   in Loop: Header=BB241_1574 Depth=1
	v_and_b32_e32 v9, 7, v8
	v_lshrrev_b32_e32 v8, 3, v11
	s_mov_b32 s19, exec_lo
	v_cmpx_gt_u32_e32 8, v11
; %bb.1961:                             ;   in Loop: Header=BB241_1574 Depth=1
	v_ffbh_u32_e32 v8, v9
	v_min_u32_e32 v8, 32, v8
	v_subrev_nc_u32_e32 v11, 28, v8
	v_sub_nc_u32_e32 v8, 29, v8
	v_lshlrev_b64 v[19:20], v11, v[9:10]
	v_and_b32_e32 v9, 7, v19
; %bb.1962:                             ;   in Loop: Header=BB241_1574 Depth=1
	s_or_b32 exec_lo, exec_lo, s19
	v_lshlrev_b32_e32 v11, 16, v7
	v_lshlrev_b32_e32 v9, 20, v9
	v_lshl_add_u32 v8, v8, 23, 0x3c000000
	v_mov_b32_e32 v19, v10
	v_and_b32_e32 v11, 0x80000000, v11
	v_or3_b32 v20, v9, v11, v8
.LBB241_1963:                           ;   in Loop: Header=BB241_1574 Depth=1
	s_or_b32 exec_lo, exec_lo, s18
.LBB241_1964:                           ;   in Loop: Header=BB241_1574 Depth=1
	s_or_b32 exec_lo, exec_lo, s17
.LBB241_1965:                           ;   in Loop: Header=BB241_1574 Depth=1
	s_or_b32 exec_lo, exec_lo, s15
	v_mov_b32_e32 v21, 0
	v_mov_b32_e32 v23, 0
	v_and_b32_sdwa v8, v7, v43 dst_sel:DWORD dst_unused:UNUSED_PAD src0_sel:WORD_1 src1_sel:DWORD
	v_mov_b32_e32 v22, 0
	v_mov_b32_e32 v24, 0
	s_mov_b32 s15, exec_lo
	v_cmpx_ne_u16_e32 0, v8
	s_cbranch_execz .LBB241_1973
; %bb.1966:                             ;   in Loop: Header=BB241_1574 Depth=1
	v_bfrev_b32_e32 v23, 1
	v_mov_b32_e32 v24, 0
	s_mov_b32 s17, exec_lo
	v_cmpx_ne_u16_e32 0x80, v8
	s_cbranch_execz .LBB241_1972
; %bb.1967:                             ;   in Loop: Header=BB241_1574 Depth=1
	v_mov_b32_e32 v23, 0x7f800001
	v_bfe_u32 v11, v7, 16, 7
	v_mov_b32_e32 v24, 0
	s_mov_b32 s18, exec_lo
	v_cmpx_ne_u32_e32 0x7f, v11
	s_cbranch_execz .LBB241_1971
; %bb.1968:                             ;   in Loop: Header=BB241_1574 Depth=1
	v_mov_b32_e32 v8, 7
	s_mov_b32 s19, exec_lo
	v_and_b32_sdwa v9, v7, v8 dst_sel:DWORD dst_unused:UNUSED_PAD src0_sel:WORD_1 src1_sel:DWORD
	v_lshrrev_b32_e32 v8, 3, v11
	v_cmpx_gt_u32_e32 8, v11
; %bb.1969:                             ;   in Loop: Header=BB241_1574 Depth=1
	v_ffbh_u32_e32 v8, v9
	v_min_u32_e32 v8, 32, v8
	v_subrev_nc_u32_e32 v11, 28, v8
	v_sub_nc_u32_e32 v8, 29, v8
	v_lshlrev_b64 v[23:24], v11, v[9:10]
	v_and_b32_e32 v9, 7, v23
; %bb.1970:                             ;   in Loop: Header=BB241_1574 Depth=1
	s_or_b32 exec_lo, exec_lo, s19
	v_mov_b32_e32 v11, 24
	v_lshlrev_b32_e32 v9, 20, v9
	v_lshl_add_u32 v8, v8, 23, 0x3c000000
	v_lshlrev_b32_sdwa v11, v11, v7 dst_sel:DWORD dst_unused:UNUSED_PAD src0_sel:DWORD src1_sel:WORD_1
	v_and_b32_e32 v11, 0x80000000, v11
	v_or3_b32 v9, v9, v11, v8
	v_mov_b32_e32 v24, v10
	v_mov_b32_e32 v23, v9
.LBB241_1971:                           ;   in Loop: Header=BB241_1574 Depth=1
	s_or_b32 exec_lo, exec_lo, s18
.LBB241_1972:                           ;   in Loop: Header=BB241_1574 Depth=1
	s_or_b32 exec_lo, exec_lo, s17
.LBB241_1973:                           ;   in Loop: Header=BB241_1574 Depth=1
	s_or_b32 exec_lo, exec_lo, s15
	s_mov_b32 s15, exec_lo
	v_cmpx_lt_u32_e32 0xffffff, v7
	s_cbranch_execz .LBB241_1981
; %bb.1974:                             ;   in Loop: Header=BB241_1574 Depth=1
	v_mov_b32_e32 v11, v10
	v_mov_b32_e32 v22, v12
	v_cmp_ne_u32_sdwa s4, v7, v41 src0_sel:BYTE_3 src1_sel:DWORD
	v_mov_b32_e32 v21, v11
	s_and_saveexec_b32 s17, s4
	s_cbranch_execz .LBB241_1980
; %bb.1975:                             ;   in Loop: Header=BB241_1574 Depth=1
	v_mov_b32_e32 v13, v10
	v_mov_b32_e32 v22, v14
	v_bfe_u32 v11, v7, 24, 7
	s_mov_b32 s18, exec_lo
	v_mov_b32_e32 v21, v13
	v_cmpx_ne_u32_e32 0x7f, v11
	s_cbranch_execz .LBB241_1979
; %bb.1976:                             ;   in Loop: Header=BB241_1574 Depth=1
	v_mov_b32_e32 v8, 7
	s_mov_b32 s19, exec_lo
	v_and_b32_sdwa v9, v7, v8 dst_sel:DWORD dst_unused:UNUSED_PAD src0_sel:BYTE_3 src1_sel:DWORD
	v_lshrrev_b32_e32 v8, 3, v11
	v_cmpx_gt_u32_e32 8, v11
; %bb.1977:                             ;   in Loop: Header=BB241_1574 Depth=1
	v_ffbh_u32_e32 v8, v9
	v_min_u32_e32 v8, 32, v8
	v_subrev_nc_u32_e32 v11, 28, v8
	v_sub_nc_u32_e32 v8, 29, v8
	v_lshlrev_b64 v[21:22], v11, v[9:10]
	v_and_b32_e32 v9, 7, v21
; %bb.1978:                             ;   in Loop: Header=BB241_1574 Depth=1
	s_or_b32 exec_lo, exec_lo, s19
	v_mov_b32_e32 v11, 24
	v_lshlrev_b32_e32 v9, 20, v9
	v_lshl_add_u32 v8, v8, 23, 0x3c000000
	v_mov_b32_e32 v21, v10
	v_lshlrev_b32_sdwa v7, v11, v7 dst_sel:DWORD dst_unused:UNUSED_PAD src0_sel:DWORD src1_sel:BYTE_3
	v_and_b32_e32 v7, 0x80000000, v7
	v_or3_b32 v22, v9, v7, v8
.LBB241_1979:                           ;   in Loop: Header=BB241_1574 Depth=1
	s_or_b32 exec_lo, exec_lo, s18
.LBB241_1980:                           ;   in Loop: Header=BB241_1574 Depth=1
	s_or_b32 exec_lo, exec_lo, s17
.LBB241_1981:                           ;   in Loop: Header=BB241_1574 Depth=1
	s_or_b32 exec_lo, exec_lo, s15
	v_or_b32_e32 v4, v19, v4
	v_or_b32_e32 v7, v21, v23
	;; [unrolled: 1-line block ×4, first 2 shown]
	v_mul_f32_e32 v4, v63, v4
	v_mul_f32_e32 v5, v63, v5
	buffer_store_dword v4, off, s[0:3], s32 offset:596 ; 4-byte Folded Spill
	v_mul_f32_e32 v4, v63, v7
	buffer_store_dword v5, off, s[0:3], s32 offset:604 ; 4-byte Folded Spill
	buffer_store_dword v4, off, s[0:3], s32 offset:588 ; 4-byte Folded Spill
	v_mul_f32_e32 v4, v63, v8
	buffer_store_dword v4, off, s[0:3], s32 offset:580 ; 4-byte Folded Spill
	s_and_saveexec_b32 s15, vcc_lo
	s_cbranch_execz .LBB241_1983
; %bb.1982:                             ;   in Loop: Header=BB241_1574 Depth=1
	s_clause 0x1
	buffer_load_dword v4, off, s[0:3], s32 offset:208
	buffer_load_dword v5, off, s[0:3], s32 offset:596
	s_waitcnt vmcnt(1)
	v_cmp_lt_i32_e64 s4, v62, v4
	s_waitcnt vmcnt(0)
	v_cndmask_b32_e64 v5, 0, v5, s4
	v_cmp_lt_i32_e64 s4, v78, v4
	buffer_store_dword v5, off, s[0:3], s32 offset:596 ; 4-byte Folded Spill
	buffer_load_dword v5, off, s[0:3], s32 offset:604 ; 4-byte Folded Reload
	s_waitcnt vmcnt(0)
	v_cndmask_b32_e64 v5, 0, v5, s4
	v_cmp_lt_i32_e64 s4, v77, v4
	buffer_store_dword v5, off, s[0:3], s32 offset:604 ; 4-byte Folded Spill
	buffer_load_dword v5, off, s[0:3], s32 offset:588 ; 4-byte Folded Reload
	s_waitcnt vmcnt(0)
	v_cndmask_b32_e64 v5, 0, v5, s4
	v_cmp_lt_i32_e64 s4, v76, v4
	buffer_load_dword v4, off, s[0:3], s32 offset:580 ; 4-byte Folded Reload
	buffer_store_dword v5, off, s[0:3], s32 offset:588 ; 4-byte Folded Spill
	s_waitcnt vmcnt(0)
	v_cndmask_b32_e64 v4, 0, v4, s4
	buffer_store_dword v4, off, s[0:3], s32 offset:580 ; 4-byte Folded Spill
.LBB241_1983:                           ;   in Loop: Header=BB241_1574 Depth=1
	s_or_b32 exec_lo, exec_lo, s15
	flat_load_dword v7, v[15:16] offset:1536
	v_mov_b32_e32 v19, 0
	v_mov_b32_e32 v4, 0
	;; [unrolled: 1-line block ×4, first 2 shown]
	s_waitcnt vmcnt(0) lgkmcnt(0)
	v_cmp_ne_u16_sdwa s4, v7, v10 src0_sel:BYTE_0 src1_sel:DWORD
	s_and_saveexec_b32 s15, s4
	s_cbranch_execz .LBB241_1991
; %bb.1984:                             ;   in Loop: Header=BB241_1574 Depth=1
	v_bfrev_b32_e32 v4, 1
	v_mov_b32_e32 v5, 0
	v_cmp_ne_u16_sdwa s4, v7, v41 src0_sel:BYTE_0 src1_sel:DWORD
	s_and_saveexec_b32 s17, s4
	s_cbranch_execz .LBB241_1990
; %bb.1985:                             ;   in Loop: Header=BB241_1574 Depth=1
	v_mov_b32_e32 v4, 0x7f800001
	v_and_b32_e32 v8, 0x7f, v7
	v_mov_b32_e32 v5, 0
	s_mov_b32 s18, exec_lo
	v_cmpx_ne_u32_e32 0x7f, v8
	s_cbranch_execz .LBB241_1989
; %bb.1986:                             ;   in Loop: Header=BB241_1574 Depth=1
	v_and_b32_e32 v9, 7, v7
	v_lshrrev_b32_e32 v4, 3, v8
	s_mov_b32 s19, exec_lo
	v_cmpx_gt_u32_e32 8, v8
; %bb.1987:                             ;   in Loop: Header=BB241_1574 Depth=1
	v_ffbh_u32_e32 v4, v9
	v_min_u32_e32 v4, 32, v4
	v_subrev_nc_u32_e32 v5, 28, v4
	v_sub_nc_u32_e32 v4, 29, v4
	v_lshlrev_b64 v[8:9], v5, v[9:10]
	v_and_b32_e32 v9, 7, v8
; %bb.1988:                             ;   in Loop: Header=BB241_1574 Depth=1
	s_or_b32 exec_lo, exec_lo, s19
	v_lshlrev_b32_e32 v5, 24, v7
	v_lshlrev_b32_e32 v8, 20, v9
	v_lshl_add_u32 v4, v4, 23, 0x3c000000
	v_and_b32_e32 v5, 0x80000000, v5
	v_or3_b32 v9, v8, v5, v4
	v_mov_b32_e32 v4, v9
	v_mov_b32_e32 v5, v10
.LBB241_1989:                           ;   in Loop: Header=BB241_1574 Depth=1
	s_or_b32 exec_lo, exec_lo, s18
.LBB241_1990:                           ;   in Loop: Header=BB241_1574 Depth=1
	s_or_b32 exec_lo, exec_lo, s17
.LBB241_1991:                           ;   in Loop: Header=BB241_1574 Depth=1
	s_or_b32 exec_lo, exec_lo, s15
	v_cmp_ne_u16_sdwa s4, v7, v10 src0_sel:BYTE_1 src1_sel:DWORD
	s_and_saveexec_b32 s15, s4
	s_cbranch_execz .LBB241_1999
; %bb.1992:                             ;   in Loop: Header=BB241_1574 Depth=1
	v_mov_b32_e32 v11, v10
	v_mov_b32_e32 v20, v12
	v_cmp_ne_u16_sdwa s4, v7, v41 src0_sel:BYTE_1 src1_sel:DWORD
	v_mov_b32_e32 v19, v11
	s_and_saveexec_b32 s17, s4
	s_cbranch_execz .LBB241_1998
; %bb.1993:                             ;   in Loop: Header=BB241_1574 Depth=1
	v_and_b32_sdwa v8, v36, v7 dst_sel:DWORD dst_unused:UNUSED_PAD src0_sel:DWORD src1_sel:BYTE_1
	v_mov_b32_e32 v13, v10
	v_mov_b32_e32 v20, v14
	s_mov_b32 s18, exec_lo
	v_and_b32_e32 v11, 0x7f, v8
	v_mov_b32_e32 v19, v13
	v_cmpx_ne_u32_e32 0x7f, v11
	s_cbranch_execz .LBB241_1997
; %bb.1994:                             ;   in Loop: Header=BB241_1574 Depth=1
	v_and_b32_e32 v9, 7, v8
	v_lshrrev_b32_e32 v8, 3, v11
	s_mov_b32 s19, exec_lo
	v_cmpx_gt_u32_e32 8, v11
; %bb.1995:                             ;   in Loop: Header=BB241_1574 Depth=1
	v_ffbh_u32_e32 v8, v9
	v_min_u32_e32 v8, 32, v8
	v_subrev_nc_u32_e32 v11, 28, v8
	v_sub_nc_u32_e32 v8, 29, v8
	v_lshlrev_b64 v[19:20], v11, v[9:10]
	v_and_b32_e32 v9, 7, v19
; %bb.1996:                             ;   in Loop: Header=BB241_1574 Depth=1
	s_or_b32 exec_lo, exec_lo, s19
	v_lshlrev_b32_e32 v11, 16, v7
	v_lshlrev_b32_e32 v9, 20, v9
	v_lshl_add_u32 v8, v8, 23, 0x3c000000
	v_mov_b32_e32 v19, v10
	v_and_b32_e32 v11, 0x80000000, v11
	v_or3_b32 v20, v9, v11, v8
.LBB241_1997:                           ;   in Loop: Header=BB241_1574 Depth=1
	s_or_b32 exec_lo, exec_lo, s18
.LBB241_1998:                           ;   in Loop: Header=BB241_1574 Depth=1
	s_or_b32 exec_lo, exec_lo, s17
.LBB241_1999:                           ;   in Loop: Header=BB241_1574 Depth=1
	s_or_b32 exec_lo, exec_lo, s15
	v_mov_b32_e32 v21, 0
	v_mov_b32_e32 v23, 0
	v_and_b32_sdwa v8, v7, v43 dst_sel:DWORD dst_unused:UNUSED_PAD src0_sel:WORD_1 src1_sel:DWORD
	v_mov_b32_e32 v22, 0
	v_mov_b32_e32 v24, 0
	s_mov_b32 s15, exec_lo
	v_cmpx_ne_u16_e32 0, v8
	s_cbranch_execz .LBB241_2007
; %bb.2000:                             ;   in Loop: Header=BB241_1574 Depth=1
	v_bfrev_b32_e32 v23, 1
	v_mov_b32_e32 v24, 0
	s_mov_b32 s17, exec_lo
	v_cmpx_ne_u16_e32 0x80, v8
	s_cbranch_execz .LBB241_2006
; %bb.2001:                             ;   in Loop: Header=BB241_1574 Depth=1
	v_mov_b32_e32 v23, 0x7f800001
	v_bfe_u32 v11, v7, 16, 7
	v_mov_b32_e32 v24, 0
	s_mov_b32 s18, exec_lo
	v_cmpx_ne_u32_e32 0x7f, v11
	s_cbranch_execz .LBB241_2005
; %bb.2002:                             ;   in Loop: Header=BB241_1574 Depth=1
	v_mov_b32_e32 v8, 7
	s_mov_b32 s19, exec_lo
	v_and_b32_sdwa v9, v7, v8 dst_sel:DWORD dst_unused:UNUSED_PAD src0_sel:WORD_1 src1_sel:DWORD
	v_lshrrev_b32_e32 v8, 3, v11
	v_cmpx_gt_u32_e32 8, v11
; %bb.2003:                             ;   in Loop: Header=BB241_1574 Depth=1
	v_ffbh_u32_e32 v8, v9
	v_min_u32_e32 v8, 32, v8
	v_subrev_nc_u32_e32 v11, 28, v8
	v_sub_nc_u32_e32 v8, 29, v8
	v_lshlrev_b64 v[23:24], v11, v[9:10]
	v_and_b32_e32 v9, 7, v23
; %bb.2004:                             ;   in Loop: Header=BB241_1574 Depth=1
	s_or_b32 exec_lo, exec_lo, s19
	v_mov_b32_e32 v11, 24
	v_lshlrev_b32_e32 v9, 20, v9
	v_lshl_add_u32 v8, v8, 23, 0x3c000000
	v_lshlrev_b32_sdwa v11, v11, v7 dst_sel:DWORD dst_unused:UNUSED_PAD src0_sel:DWORD src1_sel:WORD_1
	v_and_b32_e32 v11, 0x80000000, v11
	v_or3_b32 v9, v9, v11, v8
	v_mov_b32_e32 v24, v10
	v_mov_b32_e32 v23, v9
.LBB241_2005:                           ;   in Loop: Header=BB241_1574 Depth=1
	s_or_b32 exec_lo, exec_lo, s18
.LBB241_2006:                           ;   in Loop: Header=BB241_1574 Depth=1
	s_or_b32 exec_lo, exec_lo, s17
.LBB241_2007:                           ;   in Loop: Header=BB241_1574 Depth=1
	s_or_b32 exec_lo, exec_lo, s15
	s_mov_b32 s15, exec_lo
	v_cmpx_lt_u32_e32 0xffffff, v7
	s_cbranch_execz .LBB241_2015
; %bb.2008:                             ;   in Loop: Header=BB241_1574 Depth=1
	v_mov_b32_e32 v11, v10
	v_mov_b32_e32 v22, v12
	v_cmp_ne_u32_sdwa s4, v7, v41 src0_sel:BYTE_3 src1_sel:DWORD
	v_mov_b32_e32 v21, v11
	s_and_saveexec_b32 s17, s4
	s_cbranch_execz .LBB241_2014
; %bb.2009:                             ;   in Loop: Header=BB241_1574 Depth=1
	v_mov_b32_e32 v13, v10
	v_mov_b32_e32 v22, v14
	v_bfe_u32 v11, v7, 24, 7
	s_mov_b32 s18, exec_lo
	v_mov_b32_e32 v21, v13
	v_cmpx_ne_u32_e32 0x7f, v11
	s_cbranch_execz .LBB241_2013
; %bb.2010:                             ;   in Loop: Header=BB241_1574 Depth=1
	v_mov_b32_e32 v8, 7
	s_mov_b32 s19, exec_lo
	v_and_b32_sdwa v9, v7, v8 dst_sel:DWORD dst_unused:UNUSED_PAD src0_sel:BYTE_3 src1_sel:DWORD
	v_lshrrev_b32_e32 v8, 3, v11
	v_cmpx_gt_u32_e32 8, v11
; %bb.2011:                             ;   in Loop: Header=BB241_1574 Depth=1
	v_ffbh_u32_e32 v8, v9
	v_min_u32_e32 v8, 32, v8
	v_subrev_nc_u32_e32 v11, 28, v8
	v_sub_nc_u32_e32 v8, 29, v8
	v_lshlrev_b64 v[21:22], v11, v[9:10]
	v_and_b32_e32 v9, 7, v21
; %bb.2012:                             ;   in Loop: Header=BB241_1574 Depth=1
	s_or_b32 exec_lo, exec_lo, s19
	v_mov_b32_e32 v11, 24
	v_lshlrev_b32_e32 v9, 20, v9
	v_lshl_add_u32 v8, v8, 23, 0x3c000000
	v_mov_b32_e32 v21, v10
	v_lshlrev_b32_sdwa v7, v11, v7 dst_sel:DWORD dst_unused:UNUSED_PAD src0_sel:DWORD src1_sel:BYTE_3
	v_and_b32_e32 v7, 0x80000000, v7
	v_or3_b32 v22, v9, v7, v8
.LBB241_2013:                           ;   in Loop: Header=BB241_1574 Depth=1
	s_or_b32 exec_lo, exec_lo, s18
.LBB241_2014:                           ;   in Loop: Header=BB241_1574 Depth=1
	s_or_b32 exec_lo, exec_lo, s17
.LBB241_2015:                           ;   in Loop: Header=BB241_1574 Depth=1
	s_or_b32 exec_lo, exec_lo, s15
	v_or_b32_e32 v4, v19, v4
	v_or_b32_e32 v7, v21, v23
	;; [unrolled: 1-line block ×4, first 2 shown]
	v_mul_f32_e32 v4, v63, v4
	v_mul_f32_e32 v5, v63, v5
	buffer_store_dword v4, off, s[0:3], s32 offset:628 ; 4-byte Folded Spill
	v_mul_f32_e32 v4, v63, v7
	buffer_store_dword v5, off, s[0:3], s32 offset:636 ; 4-byte Folded Spill
	buffer_store_dword v4, off, s[0:3], s32 offset:620 ; 4-byte Folded Spill
	v_mul_f32_e32 v4, v63, v8
	buffer_store_dword v4, off, s[0:3], s32 offset:612 ; 4-byte Folded Spill
	s_and_saveexec_b32 s15, vcc_lo
	s_cbranch_execz .LBB241_2017
; %bb.2016:                             ;   in Loop: Header=BB241_1574 Depth=1
	s_clause 0x1
	buffer_load_dword v4, off, s[0:3], s32 offset:208
	buffer_load_dword v5, off, s[0:3], s32 offset:628
	s_waitcnt vmcnt(1)
	v_cmp_lt_i32_e64 s4, v62, v4
	s_waitcnt vmcnt(0)
	v_cndmask_b32_e64 v5, 0, v5, s4
	v_cmp_lt_i32_e64 s4, v78, v4
	buffer_store_dword v5, off, s[0:3], s32 offset:628 ; 4-byte Folded Spill
	buffer_load_dword v5, off, s[0:3], s32 offset:636 ; 4-byte Folded Reload
	s_waitcnt vmcnt(0)
	v_cndmask_b32_e64 v5, 0, v5, s4
	v_cmp_lt_i32_e64 s4, v77, v4
	buffer_store_dword v5, off, s[0:3], s32 offset:636 ; 4-byte Folded Spill
	buffer_load_dword v5, off, s[0:3], s32 offset:620 ; 4-byte Folded Reload
	s_waitcnt vmcnt(0)
	v_cndmask_b32_e64 v5, 0, v5, s4
	v_cmp_lt_i32_e64 s4, v76, v4
	buffer_load_dword v4, off, s[0:3], s32 offset:612 ; 4-byte Folded Reload
	buffer_store_dword v5, off, s[0:3], s32 offset:620 ; 4-byte Folded Spill
	s_waitcnt vmcnt(0)
	v_cndmask_b32_e64 v4, 0, v4, s4
	buffer_store_dword v4, off, s[0:3], s32 offset:612 ; 4-byte Folded Spill
.LBB241_2017:                           ;   in Loop: Header=BB241_1574 Depth=1
	s_or_b32 exec_lo, exec_lo, s15
	flat_load_dword v7, v[15:16] offset:1664
	v_mov_b32_e32 v19, 0
	v_mov_b32_e32 v4, 0
	v_mov_b32_e32 v20, 0
	v_mov_b32_e32 v5, 0
	s_waitcnt vmcnt(0) lgkmcnt(0)
	v_cmp_ne_u16_sdwa s4, v7, v10 src0_sel:BYTE_0 src1_sel:DWORD
	s_and_saveexec_b32 s15, s4
	s_cbranch_execz .LBB241_2025
; %bb.2018:                             ;   in Loop: Header=BB241_1574 Depth=1
	v_bfrev_b32_e32 v4, 1
	v_mov_b32_e32 v5, 0
	v_cmp_ne_u16_sdwa s4, v7, v41 src0_sel:BYTE_0 src1_sel:DWORD
	s_and_saveexec_b32 s17, s4
	s_cbranch_execz .LBB241_2024
; %bb.2019:                             ;   in Loop: Header=BB241_1574 Depth=1
	v_mov_b32_e32 v4, 0x7f800001
	v_and_b32_e32 v8, 0x7f, v7
	v_mov_b32_e32 v5, 0
	s_mov_b32 s18, exec_lo
	v_cmpx_ne_u32_e32 0x7f, v8
	s_cbranch_execz .LBB241_2023
; %bb.2020:                             ;   in Loop: Header=BB241_1574 Depth=1
	v_and_b32_e32 v9, 7, v7
	v_lshrrev_b32_e32 v4, 3, v8
	s_mov_b32 s19, exec_lo
	v_cmpx_gt_u32_e32 8, v8
; %bb.2021:                             ;   in Loop: Header=BB241_1574 Depth=1
	v_ffbh_u32_e32 v4, v9
	v_min_u32_e32 v4, 32, v4
	v_subrev_nc_u32_e32 v5, 28, v4
	v_sub_nc_u32_e32 v4, 29, v4
	v_lshlrev_b64 v[8:9], v5, v[9:10]
	v_and_b32_e32 v9, 7, v8
; %bb.2022:                             ;   in Loop: Header=BB241_1574 Depth=1
	s_or_b32 exec_lo, exec_lo, s19
	v_lshlrev_b32_e32 v5, 24, v7
	v_lshlrev_b32_e32 v8, 20, v9
	v_lshl_add_u32 v4, v4, 23, 0x3c000000
	v_and_b32_e32 v5, 0x80000000, v5
	v_or3_b32 v9, v8, v5, v4
	v_mov_b32_e32 v4, v9
	v_mov_b32_e32 v5, v10
.LBB241_2023:                           ;   in Loop: Header=BB241_1574 Depth=1
	s_or_b32 exec_lo, exec_lo, s18
.LBB241_2024:                           ;   in Loop: Header=BB241_1574 Depth=1
	s_or_b32 exec_lo, exec_lo, s17
.LBB241_2025:                           ;   in Loop: Header=BB241_1574 Depth=1
	s_or_b32 exec_lo, exec_lo, s15
	v_cmp_ne_u16_sdwa s4, v7, v10 src0_sel:BYTE_1 src1_sel:DWORD
	s_and_saveexec_b32 s15, s4
	s_cbranch_execz .LBB241_2033
; %bb.2026:                             ;   in Loop: Header=BB241_1574 Depth=1
	v_mov_b32_e32 v11, v10
	v_mov_b32_e32 v20, v12
	v_cmp_ne_u16_sdwa s4, v7, v41 src0_sel:BYTE_1 src1_sel:DWORD
	v_mov_b32_e32 v19, v11
	s_and_saveexec_b32 s17, s4
	s_cbranch_execz .LBB241_2032
; %bb.2027:                             ;   in Loop: Header=BB241_1574 Depth=1
	v_and_b32_sdwa v8, v36, v7 dst_sel:DWORD dst_unused:UNUSED_PAD src0_sel:DWORD src1_sel:BYTE_1
	v_mov_b32_e32 v13, v10
	v_mov_b32_e32 v20, v14
	s_mov_b32 s18, exec_lo
	v_and_b32_e32 v11, 0x7f, v8
	v_mov_b32_e32 v19, v13
	v_cmpx_ne_u32_e32 0x7f, v11
	s_cbranch_execz .LBB241_2031
; %bb.2028:                             ;   in Loop: Header=BB241_1574 Depth=1
	v_and_b32_e32 v9, 7, v8
	v_lshrrev_b32_e32 v8, 3, v11
	s_mov_b32 s19, exec_lo
	v_cmpx_gt_u32_e32 8, v11
; %bb.2029:                             ;   in Loop: Header=BB241_1574 Depth=1
	v_ffbh_u32_e32 v8, v9
	v_min_u32_e32 v8, 32, v8
	v_subrev_nc_u32_e32 v11, 28, v8
	v_sub_nc_u32_e32 v8, 29, v8
	v_lshlrev_b64 v[19:20], v11, v[9:10]
	v_and_b32_e32 v9, 7, v19
; %bb.2030:                             ;   in Loop: Header=BB241_1574 Depth=1
	s_or_b32 exec_lo, exec_lo, s19
	v_lshlrev_b32_e32 v11, 16, v7
	v_lshlrev_b32_e32 v9, 20, v9
	v_lshl_add_u32 v8, v8, 23, 0x3c000000
	v_mov_b32_e32 v19, v10
	v_and_b32_e32 v11, 0x80000000, v11
	v_or3_b32 v20, v9, v11, v8
.LBB241_2031:                           ;   in Loop: Header=BB241_1574 Depth=1
	s_or_b32 exec_lo, exec_lo, s18
.LBB241_2032:                           ;   in Loop: Header=BB241_1574 Depth=1
	s_or_b32 exec_lo, exec_lo, s17
.LBB241_2033:                           ;   in Loop: Header=BB241_1574 Depth=1
	s_or_b32 exec_lo, exec_lo, s15
	v_mov_b32_e32 v21, 0
	v_mov_b32_e32 v23, 0
	v_and_b32_sdwa v8, v7, v43 dst_sel:DWORD dst_unused:UNUSED_PAD src0_sel:WORD_1 src1_sel:DWORD
	v_mov_b32_e32 v22, 0
	v_mov_b32_e32 v24, 0
	s_mov_b32 s15, exec_lo
	v_cmpx_ne_u16_e32 0, v8
	s_cbranch_execz .LBB241_2041
; %bb.2034:                             ;   in Loop: Header=BB241_1574 Depth=1
	v_bfrev_b32_e32 v23, 1
	v_mov_b32_e32 v24, 0
	s_mov_b32 s17, exec_lo
	v_cmpx_ne_u16_e32 0x80, v8
	s_cbranch_execz .LBB241_2040
; %bb.2035:                             ;   in Loop: Header=BB241_1574 Depth=1
	v_mov_b32_e32 v23, 0x7f800001
	v_bfe_u32 v11, v7, 16, 7
	v_mov_b32_e32 v24, 0
	s_mov_b32 s18, exec_lo
	v_cmpx_ne_u32_e32 0x7f, v11
	s_cbranch_execz .LBB241_2039
; %bb.2036:                             ;   in Loop: Header=BB241_1574 Depth=1
	v_mov_b32_e32 v8, 7
	s_mov_b32 s19, exec_lo
	v_and_b32_sdwa v9, v7, v8 dst_sel:DWORD dst_unused:UNUSED_PAD src0_sel:WORD_1 src1_sel:DWORD
	v_lshrrev_b32_e32 v8, 3, v11
	v_cmpx_gt_u32_e32 8, v11
; %bb.2037:                             ;   in Loop: Header=BB241_1574 Depth=1
	v_ffbh_u32_e32 v8, v9
	v_min_u32_e32 v8, 32, v8
	v_subrev_nc_u32_e32 v11, 28, v8
	v_sub_nc_u32_e32 v8, 29, v8
	v_lshlrev_b64 v[23:24], v11, v[9:10]
	v_and_b32_e32 v9, 7, v23
; %bb.2038:                             ;   in Loop: Header=BB241_1574 Depth=1
	s_or_b32 exec_lo, exec_lo, s19
	v_mov_b32_e32 v11, 24
	v_lshlrev_b32_e32 v9, 20, v9
	v_lshl_add_u32 v8, v8, 23, 0x3c000000
	v_lshlrev_b32_sdwa v11, v11, v7 dst_sel:DWORD dst_unused:UNUSED_PAD src0_sel:DWORD src1_sel:WORD_1
	v_and_b32_e32 v11, 0x80000000, v11
	v_or3_b32 v9, v9, v11, v8
	v_mov_b32_e32 v24, v10
	v_mov_b32_e32 v23, v9
.LBB241_2039:                           ;   in Loop: Header=BB241_1574 Depth=1
	s_or_b32 exec_lo, exec_lo, s18
.LBB241_2040:                           ;   in Loop: Header=BB241_1574 Depth=1
	s_or_b32 exec_lo, exec_lo, s17
.LBB241_2041:                           ;   in Loop: Header=BB241_1574 Depth=1
	s_or_b32 exec_lo, exec_lo, s15
	s_mov_b32 s15, exec_lo
	v_cmpx_lt_u32_e32 0xffffff, v7
	s_cbranch_execz .LBB241_2049
; %bb.2042:                             ;   in Loop: Header=BB241_1574 Depth=1
	v_mov_b32_e32 v11, v10
	v_mov_b32_e32 v22, v12
	v_cmp_ne_u32_sdwa s4, v7, v41 src0_sel:BYTE_3 src1_sel:DWORD
	v_mov_b32_e32 v21, v11
	s_and_saveexec_b32 s17, s4
	s_cbranch_execz .LBB241_2048
; %bb.2043:                             ;   in Loop: Header=BB241_1574 Depth=1
	v_mov_b32_e32 v13, v10
	v_mov_b32_e32 v22, v14
	v_bfe_u32 v11, v7, 24, 7
	s_mov_b32 s18, exec_lo
	v_mov_b32_e32 v21, v13
	v_cmpx_ne_u32_e32 0x7f, v11
	s_cbranch_execz .LBB241_2047
; %bb.2044:                             ;   in Loop: Header=BB241_1574 Depth=1
	v_mov_b32_e32 v8, 7
	s_mov_b32 s19, exec_lo
	v_and_b32_sdwa v9, v7, v8 dst_sel:DWORD dst_unused:UNUSED_PAD src0_sel:BYTE_3 src1_sel:DWORD
	v_lshrrev_b32_e32 v8, 3, v11
	v_cmpx_gt_u32_e32 8, v11
; %bb.2045:                             ;   in Loop: Header=BB241_1574 Depth=1
	v_ffbh_u32_e32 v8, v9
	v_min_u32_e32 v8, 32, v8
	v_subrev_nc_u32_e32 v11, 28, v8
	v_sub_nc_u32_e32 v8, 29, v8
	v_lshlrev_b64 v[21:22], v11, v[9:10]
	v_and_b32_e32 v9, 7, v21
; %bb.2046:                             ;   in Loop: Header=BB241_1574 Depth=1
	s_or_b32 exec_lo, exec_lo, s19
	v_mov_b32_e32 v11, 24
	v_lshlrev_b32_e32 v9, 20, v9
	v_lshl_add_u32 v8, v8, 23, 0x3c000000
	v_mov_b32_e32 v21, v10
	v_lshlrev_b32_sdwa v7, v11, v7 dst_sel:DWORD dst_unused:UNUSED_PAD src0_sel:DWORD src1_sel:BYTE_3
	v_and_b32_e32 v7, 0x80000000, v7
	v_or3_b32 v22, v9, v7, v8
.LBB241_2047:                           ;   in Loop: Header=BB241_1574 Depth=1
	s_or_b32 exec_lo, exec_lo, s18
.LBB241_2048:                           ;   in Loop: Header=BB241_1574 Depth=1
	s_or_b32 exec_lo, exec_lo, s17
.LBB241_2049:                           ;   in Loop: Header=BB241_1574 Depth=1
	s_or_b32 exec_lo, exec_lo, s15
	v_or_b32_e32 v4, v19, v4
	v_or_b32_e32 v7, v21, v23
	;; [unrolled: 1-line block ×4, first 2 shown]
	v_mul_f32_e32 v4, v63, v4
	v_mul_f32_e32 v5, v63, v5
	buffer_store_dword v4, off, s[0:3], s32 offset:660 ; 4-byte Folded Spill
	v_mul_f32_e32 v4, v63, v7
	buffer_store_dword v5, off, s[0:3], s32 offset:668 ; 4-byte Folded Spill
	buffer_store_dword v4, off, s[0:3], s32 offset:652 ; 4-byte Folded Spill
	v_mul_f32_e32 v4, v63, v8
	buffer_store_dword v4, off, s[0:3], s32 offset:644 ; 4-byte Folded Spill
	s_and_saveexec_b32 s15, vcc_lo
	s_cbranch_execz .LBB241_2051
; %bb.2050:                             ;   in Loop: Header=BB241_1574 Depth=1
	s_clause 0x1
	buffer_load_dword v4, off, s[0:3], s32 offset:208
	buffer_load_dword v5, off, s[0:3], s32 offset:660
	s_waitcnt vmcnt(1)
	v_cmp_lt_i32_e64 s4, v62, v4
	s_waitcnt vmcnt(0)
	v_cndmask_b32_e64 v5, 0, v5, s4
	v_cmp_lt_i32_e64 s4, v78, v4
	buffer_store_dword v5, off, s[0:3], s32 offset:660 ; 4-byte Folded Spill
	buffer_load_dword v5, off, s[0:3], s32 offset:668 ; 4-byte Folded Reload
	s_waitcnt vmcnt(0)
	v_cndmask_b32_e64 v5, 0, v5, s4
	v_cmp_lt_i32_e64 s4, v77, v4
	buffer_store_dword v5, off, s[0:3], s32 offset:668 ; 4-byte Folded Spill
	buffer_load_dword v5, off, s[0:3], s32 offset:652 ; 4-byte Folded Reload
	s_waitcnt vmcnt(0)
	v_cndmask_b32_e64 v5, 0, v5, s4
	v_cmp_lt_i32_e64 s4, v76, v4
	buffer_load_dword v4, off, s[0:3], s32 offset:644 ; 4-byte Folded Reload
	buffer_store_dword v5, off, s[0:3], s32 offset:652 ; 4-byte Folded Spill
	s_waitcnt vmcnt(0)
	v_cndmask_b32_e64 v4, 0, v4, s4
	buffer_store_dword v4, off, s[0:3], s32 offset:644 ; 4-byte Folded Spill
.LBB241_2051:                           ;   in Loop: Header=BB241_1574 Depth=1
	s_or_b32 exec_lo, exec_lo, s15
	flat_load_dword v7, v[15:16] offset:1792
	v_mov_b32_e32 v19, 0
	v_mov_b32_e32 v4, 0
	;; [unrolled: 1-line block ×4, first 2 shown]
	s_waitcnt vmcnt(0) lgkmcnt(0)
	v_cmp_ne_u16_sdwa s4, v7, v10 src0_sel:BYTE_0 src1_sel:DWORD
	s_and_saveexec_b32 s15, s4
	s_cbranch_execz .LBB241_2059
; %bb.2052:                             ;   in Loop: Header=BB241_1574 Depth=1
	v_bfrev_b32_e32 v4, 1
	v_mov_b32_e32 v5, 0
	v_cmp_ne_u16_sdwa s4, v7, v41 src0_sel:BYTE_0 src1_sel:DWORD
	s_and_saveexec_b32 s17, s4
	s_cbranch_execz .LBB241_2058
; %bb.2053:                             ;   in Loop: Header=BB241_1574 Depth=1
	v_mov_b32_e32 v4, 0x7f800001
	v_and_b32_e32 v8, 0x7f, v7
	v_mov_b32_e32 v5, 0
	s_mov_b32 s18, exec_lo
	v_cmpx_ne_u32_e32 0x7f, v8
	s_cbranch_execz .LBB241_2057
; %bb.2054:                             ;   in Loop: Header=BB241_1574 Depth=1
	v_and_b32_e32 v9, 7, v7
	v_lshrrev_b32_e32 v4, 3, v8
	s_mov_b32 s19, exec_lo
	v_cmpx_gt_u32_e32 8, v8
; %bb.2055:                             ;   in Loop: Header=BB241_1574 Depth=1
	v_ffbh_u32_e32 v4, v9
	v_min_u32_e32 v4, 32, v4
	v_subrev_nc_u32_e32 v5, 28, v4
	v_sub_nc_u32_e32 v4, 29, v4
	v_lshlrev_b64 v[8:9], v5, v[9:10]
	v_and_b32_e32 v9, 7, v8
; %bb.2056:                             ;   in Loop: Header=BB241_1574 Depth=1
	s_or_b32 exec_lo, exec_lo, s19
	v_lshlrev_b32_e32 v5, 24, v7
	v_lshlrev_b32_e32 v8, 20, v9
	v_lshl_add_u32 v4, v4, 23, 0x3c000000
	v_and_b32_e32 v5, 0x80000000, v5
	v_or3_b32 v9, v8, v5, v4
	v_mov_b32_e32 v4, v9
	v_mov_b32_e32 v5, v10
.LBB241_2057:                           ;   in Loop: Header=BB241_1574 Depth=1
	s_or_b32 exec_lo, exec_lo, s18
.LBB241_2058:                           ;   in Loop: Header=BB241_1574 Depth=1
	s_or_b32 exec_lo, exec_lo, s17
.LBB241_2059:                           ;   in Loop: Header=BB241_1574 Depth=1
	s_or_b32 exec_lo, exec_lo, s15
	v_cmp_ne_u16_sdwa s4, v7, v10 src0_sel:BYTE_1 src1_sel:DWORD
	s_and_saveexec_b32 s15, s4
	s_cbranch_execz .LBB241_2067
; %bb.2060:                             ;   in Loop: Header=BB241_1574 Depth=1
	v_mov_b32_e32 v11, v10
	v_mov_b32_e32 v20, v12
	v_cmp_ne_u16_sdwa s4, v7, v41 src0_sel:BYTE_1 src1_sel:DWORD
	v_mov_b32_e32 v19, v11
	s_and_saveexec_b32 s17, s4
	s_cbranch_execz .LBB241_2066
; %bb.2061:                             ;   in Loop: Header=BB241_1574 Depth=1
	v_and_b32_sdwa v8, v36, v7 dst_sel:DWORD dst_unused:UNUSED_PAD src0_sel:DWORD src1_sel:BYTE_1
	v_mov_b32_e32 v13, v10
	v_mov_b32_e32 v20, v14
	s_mov_b32 s18, exec_lo
	v_and_b32_e32 v11, 0x7f, v8
	v_mov_b32_e32 v19, v13
	v_cmpx_ne_u32_e32 0x7f, v11
	s_cbranch_execz .LBB241_2065
; %bb.2062:                             ;   in Loop: Header=BB241_1574 Depth=1
	v_and_b32_e32 v9, 7, v8
	v_lshrrev_b32_e32 v8, 3, v11
	s_mov_b32 s19, exec_lo
	v_cmpx_gt_u32_e32 8, v11
; %bb.2063:                             ;   in Loop: Header=BB241_1574 Depth=1
	v_ffbh_u32_e32 v8, v9
	v_min_u32_e32 v8, 32, v8
	v_subrev_nc_u32_e32 v11, 28, v8
	v_sub_nc_u32_e32 v8, 29, v8
	v_lshlrev_b64 v[19:20], v11, v[9:10]
	v_and_b32_e32 v9, 7, v19
; %bb.2064:                             ;   in Loop: Header=BB241_1574 Depth=1
	s_or_b32 exec_lo, exec_lo, s19
	v_lshlrev_b32_e32 v11, 16, v7
	v_lshlrev_b32_e32 v9, 20, v9
	v_lshl_add_u32 v8, v8, 23, 0x3c000000
	v_mov_b32_e32 v19, v10
	v_and_b32_e32 v11, 0x80000000, v11
	v_or3_b32 v20, v9, v11, v8
.LBB241_2065:                           ;   in Loop: Header=BB241_1574 Depth=1
	s_or_b32 exec_lo, exec_lo, s18
.LBB241_2066:                           ;   in Loop: Header=BB241_1574 Depth=1
	s_or_b32 exec_lo, exec_lo, s17
.LBB241_2067:                           ;   in Loop: Header=BB241_1574 Depth=1
	s_or_b32 exec_lo, exec_lo, s15
	v_mov_b32_e32 v21, 0
	v_mov_b32_e32 v23, 0
	v_and_b32_sdwa v8, v7, v43 dst_sel:DWORD dst_unused:UNUSED_PAD src0_sel:WORD_1 src1_sel:DWORD
	v_mov_b32_e32 v22, 0
	v_mov_b32_e32 v24, 0
	s_mov_b32 s15, exec_lo
	v_cmpx_ne_u16_e32 0, v8
	s_cbranch_execz .LBB241_2075
; %bb.2068:                             ;   in Loop: Header=BB241_1574 Depth=1
	v_bfrev_b32_e32 v23, 1
	v_mov_b32_e32 v24, 0
	s_mov_b32 s17, exec_lo
	v_cmpx_ne_u16_e32 0x80, v8
	s_cbranch_execz .LBB241_2074
; %bb.2069:                             ;   in Loop: Header=BB241_1574 Depth=1
	v_mov_b32_e32 v23, 0x7f800001
	v_bfe_u32 v11, v7, 16, 7
	v_mov_b32_e32 v24, 0
	s_mov_b32 s18, exec_lo
	v_cmpx_ne_u32_e32 0x7f, v11
	s_cbranch_execz .LBB241_2073
; %bb.2070:                             ;   in Loop: Header=BB241_1574 Depth=1
	v_mov_b32_e32 v8, 7
	s_mov_b32 s19, exec_lo
	v_and_b32_sdwa v9, v7, v8 dst_sel:DWORD dst_unused:UNUSED_PAD src0_sel:WORD_1 src1_sel:DWORD
	v_lshrrev_b32_e32 v8, 3, v11
	v_cmpx_gt_u32_e32 8, v11
; %bb.2071:                             ;   in Loop: Header=BB241_1574 Depth=1
	v_ffbh_u32_e32 v8, v9
	v_min_u32_e32 v8, 32, v8
	v_subrev_nc_u32_e32 v11, 28, v8
	v_sub_nc_u32_e32 v8, 29, v8
	v_lshlrev_b64 v[23:24], v11, v[9:10]
	v_and_b32_e32 v9, 7, v23
; %bb.2072:                             ;   in Loop: Header=BB241_1574 Depth=1
	s_or_b32 exec_lo, exec_lo, s19
	v_mov_b32_e32 v11, 24
	v_lshlrev_b32_e32 v9, 20, v9
	v_lshl_add_u32 v8, v8, 23, 0x3c000000
	v_lshlrev_b32_sdwa v11, v11, v7 dst_sel:DWORD dst_unused:UNUSED_PAD src0_sel:DWORD src1_sel:WORD_1
	v_and_b32_e32 v11, 0x80000000, v11
	v_or3_b32 v9, v9, v11, v8
	v_mov_b32_e32 v24, v10
	v_mov_b32_e32 v23, v9
.LBB241_2073:                           ;   in Loop: Header=BB241_1574 Depth=1
	s_or_b32 exec_lo, exec_lo, s18
.LBB241_2074:                           ;   in Loop: Header=BB241_1574 Depth=1
	s_or_b32 exec_lo, exec_lo, s17
.LBB241_2075:                           ;   in Loop: Header=BB241_1574 Depth=1
	s_or_b32 exec_lo, exec_lo, s15
	s_mov_b32 s15, exec_lo
	v_cmpx_lt_u32_e32 0xffffff, v7
	s_cbranch_execz .LBB241_2083
; %bb.2076:                             ;   in Loop: Header=BB241_1574 Depth=1
	v_mov_b32_e32 v11, v10
	v_mov_b32_e32 v22, v12
	v_cmp_ne_u32_sdwa s4, v7, v41 src0_sel:BYTE_3 src1_sel:DWORD
	v_mov_b32_e32 v21, v11
	s_and_saveexec_b32 s17, s4
	s_cbranch_execz .LBB241_2082
; %bb.2077:                             ;   in Loop: Header=BB241_1574 Depth=1
	v_mov_b32_e32 v13, v10
	v_mov_b32_e32 v22, v14
	v_bfe_u32 v11, v7, 24, 7
	s_mov_b32 s18, exec_lo
	v_mov_b32_e32 v21, v13
	v_cmpx_ne_u32_e32 0x7f, v11
	s_cbranch_execz .LBB241_2081
; %bb.2078:                             ;   in Loop: Header=BB241_1574 Depth=1
	v_mov_b32_e32 v8, 7
	s_mov_b32 s19, exec_lo
	v_and_b32_sdwa v9, v7, v8 dst_sel:DWORD dst_unused:UNUSED_PAD src0_sel:BYTE_3 src1_sel:DWORD
	v_lshrrev_b32_e32 v8, 3, v11
	v_cmpx_gt_u32_e32 8, v11
; %bb.2079:                             ;   in Loop: Header=BB241_1574 Depth=1
	v_ffbh_u32_e32 v8, v9
	v_min_u32_e32 v8, 32, v8
	v_subrev_nc_u32_e32 v11, 28, v8
	v_sub_nc_u32_e32 v8, 29, v8
	v_lshlrev_b64 v[21:22], v11, v[9:10]
	v_and_b32_e32 v9, 7, v21
; %bb.2080:                             ;   in Loop: Header=BB241_1574 Depth=1
	s_or_b32 exec_lo, exec_lo, s19
	v_mov_b32_e32 v11, 24
	v_lshlrev_b32_e32 v9, 20, v9
	v_lshl_add_u32 v8, v8, 23, 0x3c000000
	v_mov_b32_e32 v21, v10
	v_lshlrev_b32_sdwa v7, v11, v7 dst_sel:DWORD dst_unused:UNUSED_PAD src0_sel:DWORD src1_sel:BYTE_3
	v_and_b32_e32 v7, 0x80000000, v7
	v_or3_b32 v22, v9, v7, v8
.LBB241_2081:                           ;   in Loop: Header=BB241_1574 Depth=1
	s_or_b32 exec_lo, exec_lo, s18
.LBB241_2082:                           ;   in Loop: Header=BB241_1574 Depth=1
	s_or_b32 exec_lo, exec_lo, s17
.LBB241_2083:                           ;   in Loop: Header=BB241_1574 Depth=1
	s_or_b32 exec_lo, exec_lo, s15
	v_or_b32_e32 v4, v19, v4
	v_or_b32_e32 v7, v21, v23
	;; [unrolled: 1-line block ×4, first 2 shown]
	v_mul_f32_e32 v4, v63, v4
	v_mul_f32_e32 v5, v63, v5
	buffer_store_dword v4, off, s[0:3], s32 offset:692 ; 4-byte Folded Spill
	v_mul_f32_e32 v4, v63, v7
	buffer_store_dword v5, off, s[0:3], s32 offset:700 ; 4-byte Folded Spill
	buffer_store_dword v4, off, s[0:3], s32 offset:684 ; 4-byte Folded Spill
	v_mul_f32_e32 v4, v63, v8
	buffer_store_dword v4, off, s[0:3], s32 offset:676 ; 4-byte Folded Spill
	s_and_saveexec_b32 s15, vcc_lo
	s_cbranch_execz .LBB241_2085
; %bb.2084:                             ;   in Loop: Header=BB241_1574 Depth=1
	s_clause 0x1
	buffer_load_dword v4, off, s[0:3], s32 offset:208
	buffer_load_dword v5, off, s[0:3], s32 offset:692
	s_waitcnt vmcnt(1)
	v_cmp_lt_i32_e64 s4, v62, v4
	s_waitcnt vmcnt(0)
	v_cndmask_b32_e64 v5, 0, v5, s4
	v_cmp_lt_i32_e64 s4, v78, v4
	buffer_store_dword v5, off, s[0:3], s32 offset:692 ; 4-byte Folded Spill
	buffer_load_dword v5, off, s[0:3], s32 offset:700 ; 4-byte Folded Reload
	s_waitcnt vmcnt(0)
	v_cndmask_b32_e64 v5, 0, v5, s4
	v_cmp_lt_i32_e64 s4, v77, v4
	buffer_store_dword v5, off, s[0:3], s32 offset:700 ; 4-byte Folded Spill
	buffer_load_dword v5, off, s[0:3], s32 offset:684 ; 4-byte Folded Reload
	s_waitcnt vmcnt(0)
	v_cndmask_b32_e64 v5, 0, v5, s4
	v_cmp_lt_i32_e64 s4, v76, v4
	buffer_load_dword v4, off, s[0:3], s32 offset:676 ; 4-byte Folded Reload
	buffer_store_dword v5, off, s[0:3], s32 offset:684 ; 4-byte Folded Spill
	s_waitcnt vmcnt(0)
	v_cndmask_b32_e64 v4, 0, v4, s4
	buffer_store_dword v4, off, s[0:3], s32 offset:676 ; 4-byte Folded Spill
.LBB241_2085:                           ;   in Loop: Header=BB241_1574 Depth=1
	s_or_b32 exec_lo, exec_lo, s15
	flat_load_dword v7, v[15:16] offset:1920
	v_mov_b32_e32 v19, 0
	v_mov_b32_e32 v4, 0
	;; [unrolled: 1-line block ×4, first 2 shown]
	s_waitcnt vmcnt(0) lgkmcnt(0)
	v_cmp_ne_u16_sdwa s4, v7, v10 src0_sel:BYTE_0 src1_sel:DWORD
	s_and_saveexec_b32 s15, s4
	s_cbranch_execz .LBB241_2093
; %bb.2086:                             ;   in Loop: Header=BB241_1574 Depth=1
	v_bfrev_b32_e32 v4, 1
	v_mov_b32_e32 v5, 0
	v_cmp_ne_u16_sdwa s4, v7, v41 src0_sel:BYTE_0 src1_sel:DWORD
	s_and_saveexec_b32 s17, s4
	s_cbranch_execz .LBB241_2092
; %bb.2087:                             ;   in Loop: Header=BB241_1574 Depth=1
	v_mov_b32_e32 v4, 0x7f800001
	v_and_b32_e32 v8, 0x7f, v7
	v_mov_b32_e32 v5, 0
	s_mov_b32 s18, exec_lo
	v_cmpx_ne_u32_e32 0x7f, v8
	s_cbranch_execz .LBB241_2091
; %bb.2088:                             ;   in Loop: Header=BB241_1574 Depth=1
	v_and_b32_e32 v9, 7, v7
	v_lshrrev_b32_e32 v4, 3, v8
	s_mov_b32 s19, exec_lo
	v_cmpx_gt_u32_e32 8, v8
; %bb.2089:                             ;   in Loop: Header=BB241_1574 Depth=1
	v_ffbh_u32_e32 v4, v9
	v_min_u32_e32 v4, 32, v4
	v_subrev_nc_u32_e32 v5, 28, v4
	v_sub_nc_u32_e32 v4, 29, v4
	v_lshlrev_b64 v[8:9], v5, v[9:10]
	v_and_b32_e32 v9, 7, v8
; %bb.2090:                             ;   in Loop: Header=BB241_1574 Depth=1
	s_or_b32 exec_lo, exec_lo, s19
	v_lshlrev_b32_e32 v5, 24, v7
	v_lshlrev_b32_e32 v8, 20, v9
	v_lshl_add_u32 v4, v4, 23, 0x3c000000
	v_and_b32_e32 v5, 0x80000000, v5
	v_or3_b32 v9, v8, v5, v4
	v_mov_b32_e32 v4, v9
	v_mov_b32_e32 v5, v10
.LBB241_2091:                           ;   in Loop: Header=BB241_1574 Depth=1
	s_or_b32 exec_lo, exec_lo, s18
.LBB241_2092:                           ;   in Loop: Header=BB241_1574 Depth=1
	s_or_b32 exec_lo, exec_lo, s17
.LBB241_2093:                           ;   in Loop: Header=BB241_1574 Depth=1
	s_or_b32 exec_lo, exec_lo, s15
	v_cmp_ne_u16_sdwa s4, v7, v10 src0_sel:BYTE_1 src1_sel:DWORD
	s_and_saveexec_b32 s15, s4
	s_cbranch_execz .LBB241_2101
; %bb.2094:                             ;   in Loop: Header=BB241_1574 Depth=1
	v_mov_b32_e32 v11, v10
	v_mov_b32_e32 v20, v12
	v_cmp_ne_u16_sdwa s4, v7, v41 src0_sel:BYTE_1 src1_sel:DWORD
	v_mov_b32_e32 v19, v11
	s_and_saveexec_b32 s17, s4
	s_cbranch_execz .LBB241_2100
; %bb.2095:                             ;   in Loop: Header=BB241_1574 Depth=1
	v_and_b32_sdwa v8, v36, v7 dst_sel:DWORD dst_unused:UNUSED_PAD src0_sel:DWORD src1_sel:BYTE_1
	v_mov_b32_e32 v13, v10
	v_mov_b32_e32 v20, v14
	s_mov_b32 s18, exec_lo
	v_and_b32_e32 v11, 0x7f, v8
	v_mov_b32_e32 v19, v13
	v_cmpx_ne_u32_e32 0x7f, v11
	s_cbranch_execz .LBB241_2099
; %bb.2096:                             ;   in Loop: Header=BB241_1574 Depth=1
	v_and_b32_e32 v9, 7, v8
	v_lshrrev_b32_e32 v8, 3, v11
	s_mov_b32 s19, exec_lo
	v_cmpx_gt_u32_e32 8, v11
; %bb.2097:                             ;   in Loop: Header=BB241_1574 Depth=1
	v_ffbh_u32_e32 v8, v9
	v_min_u32_e32 v8, 32, v8
	v_subrev_nc_u32_e32 v11, 28, v8
	v_sub_nc_u32_e32 v8, 29, v8
	v_lshlrev_b64 v[19:20], v11, v[9:10]
	v_and_b32_e32 v9, 7, v19
; %bb.2098:                             ;   in Loop: Header=BB241_1574 Depth=1
	s_or_b32 exec_lo, exec_lo, s19
	v_lshlrev_b32_e32 v11, 16, v7
	v_lshlrev_b32_e32 v9, 20, v9
	v_lshl_add_u32 v8, v8, 23, 0x3c000000
	v_mov_b32_e32 v19, v10
	v_and_b32_e32 v11, 0x80000000, v11
	v_or3_b32 v20, v9, v11, v8
.LBB241_2099:                           ;   in Loop: Header=BB241_1574 Depth=1
	s_or_b32 exec_lo, exec_lo, s18
.LBB241_2100:                           ;   in Loop: Header=BB241_1574 Depth=1
	s_or_b32 exec_lo, exec_lo, s17
.LBB241_2101:                           ;   in Loop: Header=BB241_1574 Depth=1
	s_or_b32 exec_lo, exec_lo, s15
	v_mov_b32_e32 v21, 0
	v_mov_b32_e32 v23, 0
	v_and_b32_sdwa v8, v7, v43 dst_sel:DWORD dst_unused:UNUSED_PAD src0_sel:WORD_1 src1_sel:DWORD
	v_mov_b32_e32 v22, 0
	v_mov_b32_e32 v24, 0
	s_mov_b32 s15, exec_lo
	v_cmpx_ne_u16_e32 0, v8
	s_cbranch_execz .LBB241_2109
; %bb.2102:                             ;   in Loop: Header=BB241_1574 Depth=1
	v_bfrev_b32_e32 v23, 1
	v_mov_b32_e32 v24, 0
	s_mov_b32 s17, exec_lo
	v_cmpx_ne_u16_e32 0x80, v8
	s_cbranch_execz .LBB241_2108
; %bb.2103:                             ;   in Loop: Header=BB241_1574 Depth=1
	v_mov_b32_e32 v23, 0x7f800001
	v_bfe_u32 v11, v7, 16, 7
	v_mov_b32_e32 v24, 0
	s_mov_b32 s18, exec_lo
	v_cmpx_ne_u32_e32 0x7f, v11
	s_cbranch_execz .LBB241_2107
; %bb.2104:                             ;   in Loop: Header=BB241_1574 Depth=1
	v_mov_b32_e32 v8, 7
	s_mov_b32 s19, exec_lo
	v_and_b32_sdwa v9, v7, v8 dst_sel:DWORD dst_unused:UNUSED_PAD src0_sel:WORD_1 src1_sel:DWORD
	v_lshrrev_b32_e32 v8, 3, v11
	v_cmpx_gt_u32_e32 8, v11
; %bb.2105:                             ;   in Loop: Header=BB241_1574 Depth=1
	v_ffbh_u32_e32 v8, v9
	v_min_u32_e32 v8, 32, v8
	v_subrev_nc_u32_e32 v11, 28, v8
	v_sub_nc_u32_e32 v8, 29, v8
	v_lshlrev_b64 v[23:24], v11, v[9:10]
	v_and_b32_e32 v9, 7, v23
; %bb.2106:                             ;   in Loop: Header=BB241_1574 Depth=1
	s_or_b32 exec_lo, exec_lo, s19
	v_mov_b32_e32 v11, 24
	v_lshlrev_b32_e32 v9, 20, v9
	v_lshl_add_u32 v8, v8, 23, 0x3c000000
	v_lshlrev_b32_sdwa v11, v11, v7 dst_sel:DWORD dst_unused:UNUSED_PAD src0_sel:DWORD src1_sel:WORD_1
	v_and_b32_e32 v11, 0x80000000, v11
	v_or3_b32 v9, v9, v11, v8
	v_mov_b32_e32 v24, v10
	v_mov_b32_e32 v23, v9
.LBB241_2107:                           ;   in Loop: Header=BB241_1574 Depth=1
	s_or_b32 exec_lo, exec_lo, s18
.LBB241_2108:                           ;   in Loop: Header=BB241_1574 Depth=1
	s_or_b32 exec_lo, exec_lo, s17
.LBB241_2109:                           ;   in Loop: Header=BB241_1574 Depth=1
	s_or_b32 exec_lo, exec_lo, s15
	s_mov_b32 s15, exec_lo
	v_cmpx_lt_u32_e32 0xffffff, v7
	s_cbranch_execz .LBB241_2117
; %bb.2110:                             ;   in Loop: Header=BB241_1574 Depth=1
	v_mov_b32_e32 v11, v10
	v_mov_b32_e32 v22, v12
	v_cmp_ne_u32_sdwa s4, v7, v41 src0_sel:BYTE_3 src1_sel:DWORD
	v_mov_b32_e32 v21, v11
	s_and_saveexec_b32 s17, s4
	s_cbranch_execz .LBB241_2116
; %bb.2111:                             ;   in Loop: Header=BB241_1574 Depth=1
	v_mov_b32_e32 v13, v10
	v_mov_b32_e32 v22, v14
	v_bfe_u32 v11, v7, 24, 7
	s_mov_b32 s18, exec_lo
	v_mov_b32_e32 v21, v13
	v_cmpx_ne_u32_e32 0x7f, v11
	s_cbranch_execz .LBB241_2115
; %bb.2112:                             ;   in Loop: Header=BB241_1574 Depth=1
	v_mov_b32_e32 v8, 7
	s_mov_b32 s19, exec_lo
	v_and_b32_sdwa v9, v7, v8 dst_sel:DWORD dst_unused:UNUSED_PAD src0_sel:BYTE_3 src1_sel:DWORD
	v_lshrrev_b32_e32 v8, 3, v11
	v_cmpx_gt_u32_e32 8, v11
; %bb.2113:                             ;   in Loop: Header=BB241_1574 Depth=1
	v_ffbh_u32_e32 v8, v9
	v_min_u32_e32 v8, 32, v8
	v_subrev_nc_u32_e32 v11, 28, v8
	v_sub_nc_u32_e32 v8, 29, v8
	v_lshlrev_b64 v[21:22], v11, v[9:10]
	v_and_b32_e32 v9, 7, v21
; %bb.2114:                             ;   in Loop: Header=BB241_1574 Depth=1
	s_or_b32 exec_lo, exec_lo, s19
	v_mov_b32_e32 v11, 24
	v_lshlrev_b32_e32 v9, 20, v9
	v_lshl_add_u32 v8, v8, 23, 0x3c000000
	v_mov_b32_e32 v21, v10
	v_lshlrev_b32_sdwa v7, v11, v7 dst_sel:DWORD dst_unused:UNUSED_PAD src0_sel:DWORD src1_sel:BYTE_3
	v_and_b32_e32 v7, 0x80000000, v7
	v_or3_b32 v22, v9, v7, v8
.LBB241_2115:                           ;   in Loop: Header=BB241_1574 Depth=1
	s_or_b32 exec_lo, exec_lo, s18
.LBB241_2116:                           ;   in Loop: Header=BB241_1574 Depth=1
	s_or_b32 exec_lo, exec_lo, s17
.LBB241_2117:                           ;   in Loop: Header=BB241_1574 Depth=1
	s_or_b32 exec_lo, exec_lo, s15
	v_or_b32_e32 v4, v19, v4
	v_or_b32_e32 v7, v21, v23
	;; [unrolled: 1-line block ×4, first 2 shown]
	v_mul_f32_e32 v4, v63, v4
	v_mul_f32_e32 v5, v63, v5
	buffer_store_dword v4, off, s[0:3], s32 offset:724 ; 4-byte Folded Spill
	v_mul_f32_e32 v4, v63, v7
	buffer_store_dword v5, off, s[0:3], s32 offset:732 ; 4-byte Folded Spill
	buffer_store_dword v4, off, s[0:3], s32 offset:716 ; 4-byte Folded Spill
	v_mul_f32_e32 v4, v63, v8
	buffer_store_dword v4, off, s[0:3], s32 offset:708 ; 4-byte Folded Spill
	s_and_saveexec_b32 s15, vcc_lo
	s_cbranch_execz .LBB241_2119
; %bb.2118:                             ;   in Loop: Header=BB241_1574 Depth=1
	s_clause 0x1
	buffer_load_dword v4, off, s[0:3], s32 offset:208
	buffer_load_dword v5, off, s[0:3], s32 offset:724
	s_waitcnt vmcnt(1)
	v_cmp_lt_i32_e64 s4, v62, v4
	s_waitcnt vmcnt(0)
	v_cndmask_b32_e64 v5, 0, v5, s4
	v_cmp_lt_i32_e64 s4, v78, v4
	buffer_store_dword v5, off, s[0:3], s32 offset:724 ; 4-byte Folded Spill
	buffer_load_dword v5, off, s[0:3], s32 offset:732 ; 4-byte Folded Reload
	s_waitcnt vmcnt(0)
	v_cndmask_b32_e64 v5, 0, v5, s4
	v_cmp_lt_i32_e64 s4, v77, v4
	buffer_store_dword v5, off, s[0:3], s32 offset:732 ; 4-byte Folded Spill
	buffer_load_dword v5, off, s[0:3], s32 offset:716 ; 4-byte Folded Reload
	s_waitcnt vmcnt(0)
	v_cndmask_b32_e64 v5, 0, v5, s4
	v_cmp_lt_i32_e64 s4, v76, v4
	buffer_load_dword v4, off, s[0:3], s32 offset:708 ; 4-byte Folded Reload
	buffer_store_dword v5, off, s[0:3], s32 offset:716 ; 4-byte Folded Spill
	s_waitcnt vmcnt(0)
	v_cndmask_b32_e64 v4, 0, v4, s4
	buffer_store_dword v4, off, s[0:3], s32 offset:708 ; 4-byte Folded Spill
.LBB241_2119:                           ;   in Loop: Header=BB241_1574 Depth=1
	s_or_b32 exec_lo, exec_lo, s15
	v_add_co_u32 v19, s4, 0x800, v15
	v_add_co_ci_u32_e64 v20, null, 0, v16, s4
	v_mov_b32_e32 v21, 0
	v_mov_b32_e32 v4, 0
	v_mov_b32_e32 v22, 0
	flat_load_dword v7, v[19:20]
	v_mov_b32_e32 v5, 0
	s_waitcnt vmcnt(0) lgkmcnt(0)
	v_cmp_ne_u16_sdwa s4, v7, v10 src0_sel:BYTE_0 src1_sel:DWORD
	s_and_saveexec_b32 s15, s4
	s_cbranch_execz .LBB241_2127
; %bb.2120:                             ;   in Loop: Header=BB241_1574 Depth=1
	v_bfrev_b32_e32 v4, 1
	v_mov_b32_e32 v5, 0
	v_cmp_ne_u16_sdwa s4, v7, v41 src0_sel:BYTE_0 src1_sel:DWORD
	s_and_saveexec_b32 s17, s4
	s_cbranch_execz .LBB241_2126
; %bb.2121:                             ;   in Loop: Header=BB241_1574 Depth=1
	v_mov_b32_e32 v4, 0x7f800001
	v_and_b32_e32 v8, 0x7f, v7
	v_mov_b32_e32 v5, 0
	s_mov_b32 s18, exec_lo
	v_cmpx_ne_u32_e32 0x7f, v8
	s_cbranch_execz .LBB241_2125
; %bb.2122:                             ;   in Loop: Header=BB241_1574 Depth=1
	v_and_b32_e32 v9, 7, v7
	v_lshrrev_b32_e32 v4, 3, v8
	s_mov_b32 s19, exec_lo
	v_cmpx_gt_u32_e32 8, v8
; %bb.2123:                             ;   in Loop: Header=BB241_1574 Depth=1
	v_ffbh_u32_e32 v4, v9
	v_min_u32_e32 v4, 32, v4
	v_subrev_nc_u32_e32 v5, 28, v4
	v_sub_nc_u32_e32 v4, 29, v4
	v_lshlrev_b64 v[8:9], v5, v[9:10]
	v_and_b32_e32 v9, 7, v8
; %bb.2124:                             ;   in Loop: Header=BB241_1574 Depth=1
	s_or_b32 exec_lo, exec_lo, s19
	v_lshlrev_b32_e32 v5, 24, v7
	v_lshlrev_b32_e32 v8, 20, v9
	v_lshl_add_u32 v4, v4, 23, 0x3c000000
	v_and_b32_e32 v5, 0x80000000, v5
	v_or3_b32 v9, v8, v5, v4
	v_mov_b32_e32 v4, v9
	v_mov_b32_e32 v5, v10
.LBB241_2125:                           ;   in Loop: Header=BB241_1574 Depth=1
	s_or_b32 exec_lo, exec_lo, s18
.LBB241_2126:                           ;   in Loop: Header=BB241_1574 Depth=1
	s_or_b32 exec_lo, exec_lo, s17
.LBB241_2127:                           ;   in Loop: Header=BB241_1574 Depth=1
	s_or_b32 exec_lo, exec_lo, s15
	v_cmp_ne_u16_sdwa s4, v7, v10 src0_sel:BYTE_1 src1_sel:DWORD
	s_and_saveexec_b32 s15, s4
	s_cbranch_execz .LBB241_2135
; %bb.2128:                             ;   in Loop: Header=BB241_1574 Depth=1
	v_mov_b32_e32 v11, v10
	v_mov_b32_e32 v22, v12
	v_cmp_ne_u16_sdwa s4, v7, v41 src0_sel:BYTE_1 src1_sel:DWORD
	v_mov_b32_e32 v21, v11
	s_and_saveexec_b32 s17, s4
	s_cbranch_execz .LBB241_2134
; %bb.2129:                             ;   in Loop: Header=BB241_1574 Depth=1
	v_and_b32_sdwa v8, v36, v7 dst_sel:DWORD dst_unused:UNUSED_PAD src0_sel:DWORD src1_sel:BYTE_1
	v_mov_b32_e32 v13, v10
	v_mov_b32_e32 v22, v14
	s_mov_b32 s18, exec_lo
	v_and_b32_e32 v11, 0x7f, v8
	v_mov_b32_e32 v21, v13
	v_cmpx_ne_u32_e32 0x7f, v11
	s_cbranch_execz .LBB241_2133
; %bb.2130:                             ;   in Loop: Header=BB241_1574 Depth=1
	v_and_b32_e32 v9, 7, v8
	v_lshrrev_b32_e32 v8, 3, v11
	s_mov_b32 s19, exec_lo
	v_cmpx_gt_u32_e32 8, v11
; %bb.2131:                             ;   in Loop: Header=BB241_1574 Depth=1
	v_ffbh_u32_e32 v8, v9
	v_min_u32_e32 v8, 32, v8
	v_subrev_nc_u32_e32 v11, 28, v8
	v_sub_nc_u32_e32 v8, 29, v8
	v_lshlrev_b64 v[21:22], v11, v[9:10]
	v_and_b32_e32 v9, 7, v21
; %bb.2132:                             ;   in Loop: Header=BB241_1574 Depth=1
	s_or_b32 exec_lo, exec_lo, s19
	v_lshlrev_b32_e32 v11, 16, v7
	v_lshlrev_b32_e32 v9, 20, v9
	v_lshl_add_u32 v8, v8, 23, 0x3c000000
	v_mov_b32_e32 v21, v10
	v_and_b32_e32 v11, 0x80000000, v11
	v_or3_b32 v22, v9, v11, v8
.LBB241_2133:                           ;   in Loop: Header=BB241_1574 Depth=1
	s_or_b32 exec_lo, exec_lo, s18
.LBB241_2134:                           ;   in Loop: Header=BB241_1574 Depth=1
	s_or_b32 exec_lo, exec_lo, s17
.LBB241_2135:                           ;   in Loop: Header=BB241_1574 Depth=1
	s_or_b32 exec_lo, exec_lo, s15
	v_mov_b32_e32 v23, 0
	v_mov_b32_e32 v25, 0
	v_and_b32_sdwa v8, v7, v43 dst_sel:DWORD dst_unused:UNUSED_PAD src0_sel:WORD_1 src1_sel:DWORD
	v_mov_b32_e32 v24, 0
	v_mov_b32_e32 v26, 0
	s_mov_b32 s15, exec_lo
	v_cmpx_ne_u16_e32 0, v8
	s_cbranch_execz .LBB241_2143
; %bb.2136:                             ;   in Loop: Header=BB241_1574 Depth=1
	v_bfrev_b32_e32 v25, 1
	v_mov_b32_e32 v26, 0
	s_mov_b32 s17, exec_lo
	v_cmpx_ne_u16_e32 0x80, v8
	s_cbranch_execz .LBB241_2142
; %bb.2137:                             ;   in Loop: Header=BB241_1574 Depth=1
	v_mov_b32_e32 v25, 0x7f800001
	v_bfe_u32 v11, v7, 16, 7
	v_mov_b32_e32 v26, 0
	s_mov_b32 s18, exec_lo
	v_cmpx_ne_u32_e32 0x7f, v11
	s_cbranch_execz .LBB241_2141
; %bb.2138:                             ;   in Loop: Header=BB241_1574 Depth=1
	v_mov_b32_e32 v8, 7
	s_mov_b32 s19, exec_lo
	v_and_b32_sdwa v9, v7, v8 dst_sel:DWORD dst_unused:UNUSED_PAD src0_sel:WORD_1 src1_sel:DWORD
	v_lshrrev_b32_e32 v8, 3, v11
	v_cmpx_gt_u32_e32 8, v11
; %bb.2139:                             ;   in Loop: Header=BB241_1574 Depth=1
	v_ffbh_u32_e32 v8, v9
	v_min_u32_e32 v8, 32, v8
	v_subrev_nc_u32_e32 v11, 28, v8
	v_sub_nc_u32_e32 v8, 29, v8
	v_lshlrev_b64 v[25:26], v11, v[9:10]
	v_and_b32_e32 v9, 7, v25
; %bb.2140:                             ;   in Loop: Header=BB241_1574 Depth=1
	s_or_b32 exec_lo, exec_lo, s19
	v_mov_b32_e32 v11, 24
	v_lshlrev_b32_e32 v9, 20, v9
	v_lshl_add_u32 v8, v8, 23, 0x3c000000
	v_lshlrev_b32_sdwa v11, v11, v7 dst_sel:DWORD dst_unused:UNUSED_PAD src0_sel:DWORD src1_sel:WORD_1
	v_and_b32_e32 v11, 0x80000000, v11
	v_or3_b32 v9, v9, v11, v8
	v_mov_b32_e32 v26, v10
	v_mov_b32_e32 v25, v9
.LBB241_2141:                           ;   in Loop: Header=BB241_1574 Depth=1
	s_or_b32 exec_lo, exec_lo, s18
.LBB241_2142:                           ;   in Loop: Header=BB241_1574 Depth=1
	s_or_b32 exec_lo, exec_lo, s17
.LBB241_2143:                           ;   in Loop: Header=BB241_1574 Depth=1
	s_or_b32 exec_lo, exec_lo, s15
	s_mov_b32 s15, exec_lo
	v_cmpx_lt_u32_e32 0xffffff, v7
	s_cbranch_execz .LBB241_2151
; %bb.2144:                             ;   in Loop: Header=BB241_1574 Depth=1
	v_mov_b32_e32 v11, v10
	v_mov_b32_e32 v24, v12
	v_cmp_ne_u32_sdwa s4, v7, v41 src0_sel:BYTE_3 src1_sel:DWORD
	v_mov_b32_e32 v23, v11
	s_and_saveexec_b32 s17, s4
	s_cbranch_execz .LBB241_2150
; %bb.2145:                             ;   in Loop: Header=BB241_1574 Depth=1
	v_mov_b32_e32 v13, v10
	v_mov_b32_e32 v24, v14
	v_bfe_u32 v11, v7, 24, 7
	s_mov_b32 s18, exec_lo
	v_mov_b32_e32 v23, v13
	v_cmpx_ne_u32_e32 0x7f, v11
	s_cbranch_execz .LBB241_2149
; %bb.2146:                             ;   in Loop: Header=BB241_1574 Depth=1
	v_mov_b32_e32 v8, 7
	s_mov_b32 s19, exec_lo
	v_and_b32_sdwa v9, v7, v8 dst_sel:DWORD dst_unused:UNUSED_PAD src0_sel:BYTE_3 src1_sel:DWORD
	v_lshrrev_b32_e32 v8, 3, v11
	v_cmpx_gt_u32_e32 8, v11
; %bb.2147:                             ;   in Loop: Header=BB241_1574 Depth=1
	v_ffbh_u32_e32 v8, v9
	v_min_u32_e32 v8, 32, v8
	v_subrev_nc_u32_e32 v11, 28, v8
	v_sub_nc_u32_e32 v8, 29, v8
	v_lshlrev_b64 v[23:24], v11, v[9:10]
	v_and_b32_e32 v9, 7, v23
; %bb.2148:                             ;   in Loop: Header=BB241_1574 Depth=1
	s_or_b32 exec_lo, exec_lo, s19
	v_mov_b32_e32 v11, 24
	v_lshlrev_b32_e32 v9, 20, v9
	v_lshl_add_u32 v8, v8, 23, 0x3c000000
	v_mov_b32_e32 v23, v10
	v_lshlrev_b32_sdwa v7, v11, v7 dst_sel:DWORD dst_unused:UNUSED_PAD src0_sel:DWORD src1_sel:BYTE_3
	v_and_b32_e32 v7, 0x80000000, v7
	v_or3_b32 v24, v9, v7, v8
.LBB241_2149:                           ;   in Loop: Header=BB241_1574 Depth=1
	s_or_b32 exec_lo, exec_lo, s18
.LBB241_2150:                           ;   in Loop: Header=BB241_1574 Depth=1
	s_or_b32 exec_lo, exec_lo, s17
.LBB241_2151:                           ;   in Loop: Header=BB241_1574 Depth=1
	s_or_b32 exec_lo, exec_lo, s15
	v_or_b32_e32 v4, v21, v4
	v_or_b32_e32 v7, v23, v25
	;; [unrolled: 1-line block ×4, first 2 shown]
	v_mul_f32_e32 v4, v63, v4
	v_mul_f32_e32 v5, v63, v5
	buffer_store_dword v4, off, s[0:3], s32 offset:756 ; 4-byte Folded Spill
	v_mul_f32_e32 v4, v63, v7
	buffer_store_dword v5, off, s[0:3], s32 offset:764 ; 4-byte Folded Spill
	buffer_store_dword v4, off, s[0:3], s32 offset:748 ; 4-byte Folded Spill
	v_mul_f32_e32 v4, v63, v8
	buffer_store_dword v4, off, s[0:3], s32 offset:740 ; 4-byte Folded Spill
	s_and_saveexec_b32 s15, vcc_lo
	s_cbranch_execz .LBB241_2153
; %bb.2152:                             ;   in Loop: Header=BB241_1574 Depth=1
	s_clause 0x1
	buffer_load_dword v4, off, s[0:3], s32 offset:208
	buffer_load_dword v5, off, s[0:3], s32 offset:756
	s_waitcnt vmcnt(1)
	v_cmp_lt_i32_e64 s4, v62, v4
	s_waitcnt vmcnt(0)
	v_cndmask_b32_e64 v5, 0, v5, s4
	v_cmp_lt_i32_e64 s4, v78, v4
	buffer_store_dword v5, off, s[0:3], s32 offset:756 ; 4-byte Folded Spill
	buffer_load_dword v5, off, s[0:3], s32 offset:764 ; 4-byte Folded Reload
	s_waitcnt vmcnt(0)
	v_cndmask_b32_e64 v5, 0, v5, s4
	v_cmp_lt_i32_e64 s4, v77, v4
	buffer_store_dword v5, off, s[0:3], s32 offset:764 ; 4-byte Folded Spill
	buffer_load_dword v5, off, s[0:3], s32 offset:748 ; 4-byte Folded Reload
	s_waitcnt vmcnt(0)
	v_cndmask_b32_e64 v5, 0, v5, s4
	v_cmp_lt_i32_e64 s4, v76, v4
	buffer_load_dword v4, off, s[0:3], s32 offset:740 ; 4-byte Folded Reload
	buffer_store_dword v5, off, s[0:3], s32 offset:748 ; 4-byte Folded Spill
	s_waitcnt vmcnt(0)
	v_cndmask_b32_e64 v4, 0, v4, s4
	buffer_store_dword v4, off, s[0:3], s32 offset:740 ; 4-byte Folded Spill
.LBB241_2153:                           ;   in Loop: Header=BB241_1574 Depth=1
	s_or_b32 exec_lo, exec_lo, s15
	flat_load_dword v7, v[19:20] offset:128
	v_mov_b32_e32 v21, 0
	v_mov_b32_e32 v4, 0
	;; [unrolled: 1-line block ×4, first 2 shown]
	s_waitcnt vmcnt(0) lgkmcnt(0)
	v_cmp_ne_u16_sdwa s4, v7, v10 src0_sel:BYTE_0 src1_sel:DWORD
	s_and_saveexec_b32 s15, s4
	s_cbranch_execz .LBB241_2161
; %bb.2154:                             ;   in Loop: Header=BB241_1574 Depth=1
	v_bfrev_b32_e32 v4, 1
	v_mov_b32_e32 v5, 0
	v_cmp_ne_u16_sdwa s4, v7, v41 src0_sel:BYTE_0 src1_sel:DWORD
	s_and_saveexec_b32 s17, s4
	s_cbranch_execz .LBB241_2160
; %bb.2155:                             ;   in Loop: Header=BB241_1574 Depth=1
	v_mov_b32_e32 v4, 0x7f800001
	v_and_b32_e32 v8, 0x7f, v7
	v_mov_b32_e32 v5, 0
	s_mov_b32 s18, exec_lo
	v_cmpx_ne_u32_e32 0x7f, v8
	s_cbranch_execz .LBB241_2159
; %bb.2156:                             ;   in Loop: Header=BB241_1574 Depth=1
	v_and_b32_e32 v9, 7, v7
	v_lshrrev_b32_e32 v4, 3, v8
	s_mov_b32 s19, exec_lo
	v_cmpx_gt_u32_e32 8, v8
; %bb.2157:                             ;   in Loop: Header=BB241_1574 Depth=1
	v_ffbh_u32_e32 v4, v9
	v_min_u32_e32 v4, 32, v4
	v_subrev_nc_u32_e32 v5, 28, v4
	v_sub_nc_u32_e32 v4, 29, v4
	v_lshlrev_b64 v[8:9], v5, v[9:10]
	v_and_b32_e32 v9, 7, v8
; %bb.2158:                             ;   in Loop: Header=BB241_1574 Depth=1
	s_or_b32 exec_lo, exec_lo, s19
	v_lshlrev_b32_e32 v5, 24, v7
	v_lshlrev_b32_e32 v8, 20, v9
	v_lshl_add_u32 v4, v4, 23, 0x3c000000
	v_and_b32_e32 v5, 0x80000000, v5
	v_or3_b32 v9, v8, v5, v4
	v_mov_b32_e32 v4, v9
	v_mov_b32_e32 v5, v10
.LBB241_2159:                           ;   in Loop: Header=BB241_1574 Depth=1
	s_or_b32 exec_lo, exec_lo, s18
.LBB241_2160:                           ;   in Loop: Header=BB241_1574 Depth=1
	s_or_b32 exec_lo, exec_lo, s17
.LBB241_2161:                           ;   in Loop: Header=BB241_1574 Depth=1
	s_or_b32 exec_lo, exec_lo, s15
	v_cmp_ne_u16_sdwa s4, v7, v10 src0_sel:BYTE_1 src1_sel:DWORD
	s_and_saveexec_b32 s15, s4
	s_cbranch_execz .LBB241_2169
; %bb.2162:                             ;   in Loop: Header=BB241_1574 Depth=1
	v_mov_b32_e32 v11, v10
	v_mov_b32_e32 v22, v12
	v_cmp_ne_u16_sdwa s4, v7, v41 src0_sel:BYTE_1 src1_sel:DWORD
	v_mov_b32_e32 v21, v11
	s_and_saveexec_b32 s17, s4
	s_cbranch_execz .LBB241_2168
; %bb.2163:                             ;   in Loop: Header=BB241_1574 Depth=1
	v_and_b32_sdwa v8, v36, v7 dst_sel:DWORD dst_unused:UNUSED_PAD src0_sel:DWORD src1_sel:BYTE_1
	v_mov_b32_e32 v13, v10
	v_mov_b32_e32 v22, v14
	s_mov_b32 s18, exec_lo
	v_and_b32_e32 v11, 0x7f, v8
	v_mov_b32_e32 v21, v13
	v_cmpx_ne_u32_e32 0x7f, v11
	s_cbranch_execz .LBB241_2167
; %bb.2164:                             ;   in Loop: Header=BB241_1574 Depth=1
	v_and_b32_e32 v9, 7, v8
	v_lshrrev_b32_e32 v8, 3, v11
	s_mov_b32 s19, exec_lo
	v_cmpx_gt_u32_e32 8, v11
; %bb.2165:                             ;   in Loop: Header=BB241_1574 Depth=1
	v_ffbh_u32_e32 v8, v9
	v_min_u32_e32 v8, 32, v8
	v_subrev_nc_u32_e32 v11, 28, v8
	v_sub_nc_u32_e32 v8, 29, v8
	v_lshlrev_b64 v[21:22], v11, v[9:10]
	v_and_b32_e32 v9, 7, v21
; %bb.2166:                             ;   in Loop: Header=BB241_1574 Depth=1
	s_or_b32 exec_lo, exec_lo, s19
	v_lshlrev_b32_e32 v11, 16, v7
	v_lshlrev_b32_e32 v9, 20, v9
	v_lshl_add_u32 v8, v8, 23, 0x3c000000
	v_mov_b32_e32 v21, v10
	v_and_b32_e32 v11, 0x80000000, v11
	v_or3_b32 v22, v9, v11, v8
.LBB241_2167:                           ;   in Loop: Header=BB241_1574 Depth=1
	s_or_b32 exec_lo, exec_lo, s18
.LBB241_2168:                           ;   in Loop: Header=BB241_1574 Depth=1
	s_or_b32 exec_lo, exec_lo, s17
.LBB241_2169:                           ;   in Loop: Header=BB241_1574 Depth=1
	s_or_b32 exec_lo, exec_lo, s15
	v_mov_b32_e32 v23, 0
	v_mov_b32_e32 v25, 0
	v_and_b32_sdwa v8, v7, v43 dst_sel:DWORD dst_unused:UNUSED_PAD src0_sel:WORD_1 src1_sel:DWORD
	v_mov_b32_e32 v24, 0
	v_mov_b32_e32 v26, 0
	s_mov_b32 s15, exec_lo
	v_cmpx_ne_u16_e32 0, v8
	s_cbranch_execz .LBB241_2177
; %bb.2170:                             ;   in Loop: Header=BB241_1574 Depth=1
	v_bfrev_b32_e32 v25, 1
	v_mov_b32_e32 v26, 0
	s_mov_b32 s17, exec_lo
	v_cmpx_ne_u16_e32 0x80, v8
	s_cbranch_execz .LBB241_2176
; %bb.2171:                             ;   in Loop: Header=BB241_1574 Depth=1
	v_mov_b32_e32 v25, 0x7f800001
	v_bfe_u32 v11, v7, 16, 7
	v_mov_b32_e32 v26, 0
	s_mov_b32 s18, exec_lo
	v_cmpx_ne_u32_e32 0x7f, v11
	s_cbranch_execz .LBB241_2175
; %bb.2172:                             ;   in Loop: Header=BB241_1574 Depth=1
	v_mov_b32_e32 v8, 7
	s_mov_b32 s19, exec_lo
	v_and_b32_sdwa v9, v7, v8 dst_sel:DWORD dst_unused:UNUSED_PAD src0_sel:WORD_1 src1_sel:DWORD
	v_lshrrev_b32_e32 v8, 3, v11
	v_cmpx_gt_u32_e32 8, v11
; %bb.2173:                             ;   in Loop: Header=BB241_1574 Depth=1
	v_ffbh_u32_e32 v8, v9
	v_min_u32_e32 v8, 32, v8
	v_subrev_nc_u32_e32 v11, 28, v8
	v_sub_nc_u32_e32 v8, 29, v8
	v_lshlrev_b64 v[25:26], v11, v[9:10]
	v_and_b32_e32 v9, 7, v25
; %bb.2174:                             ;   in Loop: Header=BB241_1574 Depth=1
	s_or_b32 exec_lo, exec_lo, s19
	v_mov_b32_e32 v11, 24
	v_lshlrev_b32_e32 v9, 20, v9
	v_lshl_add_u32 v8, v8, 23, 0x3c000000
	v_lshlrev_b32_sdwa v11, v11, v7 dst_sel:DWORD dst_unused:UNUSED_PAD src0_sel:DWORD src1_sel:WORD_1
	v_and_b32_e32 v11, 0x80000000, v11
	v_or3_b32 v9, v9, v11, v8
	v_mov_b32_e32 v26, v10
	v_mov_b32_e32 v25, v9
.LBB241_2175:                           ;   in Loop: Header=BB241_1574 Depth=1
	s_or_b32 exec_lo, exec_lo, s18
.LBB241_2176:                           ;   in Loop: Header=BB241_1574 Depth=1
	s_or_b32 exec_lo, exec_lo, s17
.LBB241_2177:                           ;   in Loop: Header=BB241_1574 Depth=1
	s_or_b32 exec_lo, exec_lo, s15
	s_mov_b32 s15, exec_lo
	v_cmpx_lt_u32_e32 0xffffff, v7
	s_cbranch_execz .LBB241_2185
; %bb.2178:                             ;   in Loop: Header=BB241_1574 Depth=1
	v_mov_b32_e32 v11, v10
	v_mov_b32_e32 v24, v12
	v_cmp_ne_u32_sdwa s4, v7, v41 src0_sel:BYTE_3 src1_sel:DWORD
	v_mov_b32_e32 v23, v11
	s_and_saveexec_b32 s17, s4
	s_cbranch_execz .LBB241_2184
; %bb.2179:                             ;   in Loop: Header=BB241_1574 Depth=1
	v_mov_b32_e32 v13, v10
	v_mov_b32_e32 v24, v14
	v_bfe_u32 v11, v7, 24, 7
	s_mov_b32 s18, exec_lo
	v_mov_b32_e32 v23, v13
	v_cmpx_ne_u32_e32 0x7f, v11
	s_cbranch_execz .LBB241_2183
; %bb.2180:                             ;   in Loop: Header=BB241_1574 Depth=1
	v_mov_b32_e32 v8, 7
	s_mov_b32 s19, exec_lo
	v_and_b32_sdwa v9, v7, v8 dst_sel:DWORD dst_unused:UNUSED_PAD src0_sel:BYTE_3 src1_sel:DWORD
	v_lshrrev_b32_e32 v8, 3, v11
	v_cmpx_gt_u32_e32 8, v11
; %bb.2181:                             ;   in Loop: Header=BB241_1574 Depth=1
	v_ffbh_u32_e32 v8, v9
	v_min_u32_e32 v8, 32, v8
	v_subrev_nc_u32_e32 v11, 28, v8
	v_sub_nc_u32_e32 v8, 29, v8
	v_lshlrev_b64 v[23:24], v11, v[9:10]
	v_and_b32_e32 v9, 7, v23
; %bb.2182:                             ;   in Loop: Header=BB241_1574 Depth=1
	s_or_b32 exec_lo, exec_lo, s19
	v_mov_b32_e32 v11, 24
	v_lshlrev_b32_e32 v9, 20, v9
	v_lshl_add_u32 v8, v8, 23, 0x3c000000
	v_mov_b32_e32 v23, v10
	v_lshlrev_b32_sdwa v7, v11, v7 dst_sel:DWORD dst_unused:UNUSED_PAD src0_sel:DWORD src1_sel:BYTE_3
	v_and_b32_e32 v7, 0x80000000, v7
	v_or3_b32 v24, v9, v7, v8
.LBB241_2183:                           ;   in Loop: Header=BB241_1574 Depth=1
	s_or_b32 exec_lo, exec_lo, s18
.LBB241_2184:                           ;   in Loop: Header=BB241_1574 Depth=1
	s_or_b32 exec_lo, exec_lo, s17
.LBB241_2185:                           ;   in Loop: Header=BB241_1574 Depth=1
	s_or_b32 exec_lo, exec_lo, s15
	v_or_b32_e32 v4, v21, v4
	v_or_b32_e32 v7, v23, v25
	;; [unrolled: 1-line block ×4, first 2 shown]
	v_mul_f32_e32 v4, v63, v4
	v_mul_f32_e32 v5, v63, v5
	buffer_store_dword v4, off, s[0:3], s32 offset:788 ; 4-byte Folded Spill
	v_mul_f32_e32 v4, v63, v7
	buffer_store_dword v5, off, s[0:3], s32 offset:796 ; 4-byte Folded Spill
	buffer_store_dword v4, off, s[0:3], s32 offset:780 ; 4-byte Folded Spill
	v_mul_f32_e32 v4, v63, v8
	buffer_store_dword v4, off, s[0:3], s32 offset:772 ; 4-byte Folded Spill
	s_and_saveexec_b32 s15, vcc_lo
	s_cbranch_execz .LBB241_2187
; %bb.2186:                             ;   in Loop: Header=BB241_1574 Depth=1
	s_clause 0x1
	buffer_load_dword v4, off, s[0:3], s32 offset:208
	buffer_load_dword v5, off, s[0:3], s32 offset:788
	s_waitcnt vmcnt(1)
	v_cmp_lt_i32_e64 s4, v62, v4
	s_waitcnt vmcnt(0)
	v_cndmask_b32_e64 v5, 0, v5, s4
	v_cmp_lt_i32_e64 s4, v78, v4
	buffer_store_dword v5, off, s[0:3], s32 offset:788 ; 4-byte Folded Spill
	buffer_load_dword v5, off, s[0:3], s32 offset:796 ; 4-byte Folded Reload
	s_waitcnt vmcnt(0)
	v_cndmask_b32_e64 v5, 0, v5, s4
	v_cmp_lt_i32_e64 s4, v77, v4
	buffer_store_dword v5, off, s[0:3], s32 offset:796 ; 4-byte Folded Spill
	buffer_load_dword v5, off, s[0:3], s32 offset:780 ; 4-byte Folded Reload
	s_waitcnt vmcnt(0)
	v_cndmask_b32_e64 v5, 0, v5, s4
	v_cmp_lt_i32_e64 s4, v76, v4
	buffer_load_dword v4, off, s[0:3], s32 offset:772 ; 4-byte Folded Reload
	buffer_store_dword v5, off, s[0:3], s32 offset:780 ; 4-byte Folded Spill
	s_waitcnt vmcnt(0)
	v_cndmask_b32_e64 v4, 0, v4, s4
	buffer_store_dword v4, off, s[0:3], s32 offset:772 ; 4-byte Folded Spill
.LBB241_2187:                           ;   in Loop: Header=BB241_1574 Depth=1
	s_or_b32 exec_lo, exec_lo, s15
	flat_load_dword v7, v[19:20] offset:256
	v_mov_b32_e32 v21, 0
	v_mov_b32_e32 v4, 0
	v_mov_b32_e32 v22, 0
	v_mov_b32_e32 v5, 0
	s_waitcnt vmcnt(0) lgkmcnt(0)
	v_cmp_ne_u16_sdwa s4, v7, v10 src0_sel:BYTE_0 src1_sel:DWORD
	s_and_saveexec_b32 s15, s4
	s_cbranch_execz .LBB241_2195
; %bb.2188:                             ;   in Loop: Header=BB241_1574 Depth=1
	v_bfrev_b32_e32 v4, 1
	v_mov_b32_e32 v5, 0
	v_cmp_ne_u16_sdwa s4, v7, v41 src0_sel:BYTE_0 src1_sel:DWORD
	s_and_saveexec_b32 s17, s4
	s_cbranch_execz .LBB241_2194
; %bb.2189:                             ;   in Loop: Header=BB241_1574 Depth=1
	v_mov_b32_e32 v4, 0x7f800001
	v_and_b32_e32 v8, 0x7f, v7
	v_mov_b32_e32 v5, 0
	s_mov_b32 s18, exec_lo
	v_cmpx_ne_u32_e32 0x7f, v8
	s_cbranch_execz .LBB241_2193
; %bb.2190:                             ;   in Loop: Header=BB241_1574 Depth=1
	v_and_b32_e32 v9, 7, v7
	v_lshrrev_b32_e32 v4, 3, v8
	s_mov_b32 s19, exec_lo
	v_cmpx_gt_u32_e32 8, v8
; %bb.2191:                             ;   in Loop: Header=BB241_1574 Depth=1
	v_ffbh_u32_e32 v4, v9
	v_min_u32_e32 v4, 32, v4
	v_subrev_nc_u32_e32 v5, 28, v4
	v_sub_nc_u32_e32 v4, 29, v4
	v_lshlrev_b64 v[8:9], v5, v[9:10]
	v_and_b32_e32 v9, 7, v8
; %bb.2192:                             ;   in Loop: Header=BB241_1574 Depth=1
	s_or_b32 exec_lo, exec_lo, s19
	v_lshlrev_b32_e32 v5, 24, v7
	v_lshlrev_b32_e32 v8, 20, v9
	v_lshl_add_u32 v4, v4, 23, 0x3c000000
	v_and_b32_e32 v5, 0x80000000, v5
	v_or3_b32 v9, v8, v5, v4
	v_mov_b32_e32 v4, v9
	v_mov_b32_e32 v5, v10
.LBB241_2193:                           ;   in Loop: Header=BB241_1574 Depth=1
	s_or_b32 exec_lo, exec_lo, s18
.LBB241_2194:                           ;   in Loop: Header=BB241_1574 Depth=1
	s_or_b32 exec_lo, exec_lo, s17
.LBB241_2195:                           ;   in Loop: Header=BB241_1574 Depth=1
	s_or_b32 exec_lo, exec_lo, s15
	v_cmp_ne_u16_sdwa s4, v7, v10 src0_sel:BYTE_1 src1_sel:DWORD
	s_and_saveexec_b32 s15, s4
	s_cbranch_execz .LBB241_2203
; %bb.2196:                             ;   in Loop: Header=BB241_1574 Depth=1
	v_mov_b32_e32 v11, v10
	v_mov_b32_e32 v22, v12
	v_cmp_ne_u16_sdwa s4, v7, v41 src0_sel:BYTE_1 src1_sel:DWORD
	v_mov_b32_e32 v21, v11
	s_and_saveexec_b32 s17, s4
	s_cbranch_execz .LBB241_2202
; %bb.2197:                             ;   in Loop: Header=BB241_1574 Depth=1
	v_and_b32_sdwa v8, v36, v7 dst_sel:DWORD dst_unused:UNUSED_PAD src0_sel:DWORD src1_sel:BYTE_1
	v_mov_b32_e32 v13, v10
	v_mov_b32_e32 v22, v14
	s_mov_b32 s18, exec_lo
	v_and_b32_e32 v11, 0x7f, v8
	v_mov_b32_e32 v21, v13
	v_cmpx_ne_u32_e32 0x7f, v11
	s_cbranch_execz .LBB241_2201
; %bb.2198:                             ;   in Loop: Header=BB241_1574 Depth=1
	v_and_b32_e32 v9, 7, v8
	v_lshrrev_b32_e32 v8, 3, v11
	s_mov_b32 s19, exec_lo
	v_cmpx_gt_u32_e32 8, v11
; %bb.2199:                             ;   in Loop: Header=BB241_1574 Depth=1
	v_ffbh_u32_e32 v8, v9
	v_min_u32_e32 v8, 32, v8
	v_subrev_nc_u32_e32 v11, 28, v8
	v_sub_nc_u32_e32 v8, 29, v8
	v_lshlrev_b64 v[21:22], v11, v[9:10]
	v_and_b32_e32 v9, 7, v21
; %bb.2200:                             ;   in Loop: Header=BB241_1574 Depth=1
	s_or_b32 exec_lo, exec_lo, s19
	v_lshlrev_b32_e32 v11, 16, v7
	v_lshlrev_b32_e32 v9, 20, v9
	v_lshl_add_u32 v8, v8, 23, 0x3c000000
	v_mov_b32_e32 v21, v10
	v_and_b32_e32 v11, 0x80000000, v11
	v_or3_b32 v22, v9, v11, v8
.LBB241_2201:                           ;   in Loop: Header=BB241_1574 Depth=1
	s_or_b32 exec_lo, exec_lo, s18
.LBB241_2202:                           ;   in Loop: Header=BB241_1574 Depth=1
	s_or_b32 exec_lo, exec_lo, s17
.LBB241_2203:                           ;   in Loop: Header=BB241_1574 Depth=1
	s_or_b32 exec_lo, exec_lo, s15
	v_mov_b32_e32 v23, 0
	v_mov_b32_e32 v25, 0
	v_and_b32_sdwa v8, v7, v43 dst_sel:DWORD dst_unused:UNUSED_PAD src0_sel:WORD_1 src1_sel:DWORD
	v_mov_b32_e32 v24, 0
	v_mov_b32_e32 v26, 0
	s_mov_b32 s15, exec_lo
	v_cmpx_ne_u16_e32 0, v8
	s_cbranch_execz .LBB241_2211
; %bb.2204:                             ;   in Loop: Header=BB241_1574 Depth=1
	v_bfrev_b32_e32 v25, 1
	v_mov_b32_e32 v26, 0
	s_mov_b32 s17, exec_lo
	v_cmpx_ne_u16_e32 0x80, v8
	s_cbranch_execz .LBB241_2210
; %bb.2205:                             ;   in Loop: Header=BB241_1574 Depth=1
	v_mov_b32_e32 v25, 0x7f800001
	v_bfe_u32 v11, v7, 16, 7
	v_mov_b32_e32 v26, 0
	s_mov_b32 s18, exec_lo
	v_cmpx_ne_u32_e32 0x7f, v11
	s_cbranch_execz .LBB241_2209
; %bb.2206:                             ;   in Loop: Header=BB241_1574 Depth=1
	v_mov_b32_e32 v8, 7
	s_mov_b32 s19, exec_lo
	v_and_b32_sdwa v9, v7, v8 dst_sel:DWORD dst_unused:UNUSED_PAD src0_sel:WORD_1 src1_sel:DWORD
	v_lshrrev_b32_e32 v8, 3, v11
	v_cmpx_gt_u32_e32 8, v11
; %bb.2207:                             ;   in Loop: Header=BB241_1574 Depth=1
	v_ffbh_u32_e32 v8, v9
	v_min_u32_e32 v8, 32, v8
	v_subrev_nc_u32_e32 v11, 28, v8
	v_sub_nc_u32_e32 v8, 29, v8
	v_lshlrev_b64 v[25:26], v11, v[9:10]
	v_and_b32_e32 v9, 7, v25
; %bb.2208:                             ;   in Loop: Header=BB241_1574 Depth=1
	s_or_b32 exec_lo, exec_lo, s19
	v_mov_b32_e32 v11, 24
	v_lshlrev_b32_e32 v9, 20, v9
	v_lshl_add_u32 v8, v8, 23, 0x3c000000
	v_lshlrev_b32_sdwa v11, v11, v7 dst_sel:DWORD dst_unused:UNUSED_PAD src0_sel:DWORD src1_sel:WORD_1
	v_and_b32_e32 v11, 0x80000000, v11
	v_or3_b32 v9, v9, v11, v8
	v_mov_b32_e32 v26, v10
	v_mov_b32_e32 v25, v9
.LBB241_2209:                           ;   in Loop: Header=BB241_1574 Depth=1
	s_or_b32 exec_lo, exec_lo, s18
.LBB241_2210:                           ;   in Loop: Header=BB241_1574 Depth=1
	s_or_b32 exec_lo, exec_lo, s17
.LBB241_2211:                           ;   in Loop: Header=BB241_1574 Depth=1
	s_or_b32 exec_lo, exec_lo, s15
	s_mov_b32 s15, exec_lo
	v_cmpx_lt_u32_e32 0xffffff, v7
	s_cbranch_execz .LBB241_2219
; %bb.2212:                             ;   in Loop: Header=BB241_1574 Depth=1
	v_mov_b32_e32 v11, v10
	v_mov_b32_e32 v24, v12
	v_cmp_ne_u32_sdwa s4, v7, v41 src0_sel:BYTE_3 src1_sel:DWORD
	v_mov_b32_e32 v23, v11
	s_and_saveexec_b32 s17, s4
	s_cbranch_execz .LBB241_2218
; %bb.2213:                             ;   in Loop: Header=BB241_1574 Depth=1
	v_mov_b32_e32 v13, v10
	v_mov_b32_e32 v24, v14
	v_bfe_u32 v11, v7, 24, 7
	s_mov_b32 s18, exec_lo
	v_mov_b32_e32 v23, v13
	v_cmpx_ne_u32_e32 0x7f, v11
	s_cbranch_execz .LBB241_2217
; %bb.2214:                             ;   in Loop: Header=BB241_1574 Depth=1
	v_mov_b32_e32 v8, 7
	s_mov_b32 s19, exec_lo
	v_and_b32_sdwa v9, v7, v8 dst_sel:DWORD dst_unused:UNUSED_PAD src0_sel:BYTE_3 src1_sel:DWORD
	v_lshrrev_b32_e32 v8, 3, v11
	v_cmpx_gt_u32_e32 8, v11
; %bb.2215:                             ;   in Loop: Header=BB241_1574 Depth=1
	v_ffbh_u32_e32 v8, v9
	v_min_u32_e32 v8, 32, v8
	v_subrev_nc_u32_e32 v11, 28, v8
	v_sub_nc_u32_e32 v8, 29, v8
	v_lshlrev_b64 v[23:24], v11, v[9:10]
	v_and_b32_e32 v9, 7, v23
; %bb.2216:                             ;   in Loop: Header=BB241_1574 Depth=1
	s_or_b32 exec_lo, exec_lo, s19
	v_mov_b32_e32 v11, 24
	v_lshlrev_b32_e32 v9, 20, v9
	v_lshl_add_u32 v8, v8, 23, 0x3c000000
	v_mov_b32_e32 v23, v10
	v_lshlrev_b32_sdwa v7, v11, v7 dst_sel:DWORD dst_unused:UNUSED_PAD src0_sel:DWORD src1_sel:BYTE_3
	v_and_b32_e32 v7, 0x80000000, v7
	v_or3_b32 v24, v9, v7, v8
.LBB241_2217:                           ;   in Loop: Header=BB241_1574 Depth=1
	s_or_b32 exec_lo, exec_lo, s18
.LBB241_2218:                           ;   in Loop: Header=BB241_1574 Depth=1
	s_or_b32 exec_lo, exec_lo, s17
.LBB241_2219:                           ;   in Loop: Header=BB241_1574 Depth=1
	s_or_b32 exec_lo, exec_lo, s15
	v_or_b32_e32 v4, v21, v4
	v_or_b32_e32 v7, v23, v25
	;; [unrolled: 1-line block ×4, first 2 shown]
	v_mul_f32_e32 v4, v63, v4
	v_mul_f32_e32 v5, v63, v5
	buffer_store_dword v4, off, s[0:3], s32 offset:820 ; 4-byte Folded Spill
	v_mul_f32_e32 v4, v63, v7
	buffer_store_dword v5, off, s[0:3], s32 offset:828 ; 4-byte Folded Spill
	buffer_store_dword v4, off, s[0:3], s32 offset:812 ; 4-byte Folded Spill
	v_mul_f32_e32 v4, v63, v8
	buffer_store_dword v4, off, s[0:3], s32 offset:804 ; 4-byte Folded Spill
	s_and_saveexec_b32 s15, vcc_lo
	s_cbranch_execz .LBB241_2221
; %bb.2220:                             ;   in Loop: Header=BB241_1574 Depth=1
	s_clause 0x1
	buffer_load_dword v4, off, s[0:3], s32 offset:208
	buffer_load_dword v5, off, s[0:3], s32 offset:820
	s_waitcnt vmcnt(1)
	v_cmp_lt_i32_e64 s4, v62, v4
	s_waitcnt vmcnt(0)
	v_cndmask_b32_e64 v5, 0, v5, s4
	v_cmp_lt_i32_e64 s4, v78, v4
	buffer_store_dword v5, off, s[0:3], s32 offset:820 ; 4-byte Folded Spill
	buffer_load_dword v5, off, s[0:3], s32 offset:828 ; 4-byte Folded Reload
	s_waitcnt vmcnt(0)
	v_cndmask_b32_e64 v5, 0, v5, s4
	v_cmp_lt_i32_e64 s4, v77, v4
	buffer_store_dword v5, off, s[0:3], s32 offset:828 ; 4-byte Folded Spill
	buffer_load_dword v5, off, s[0:3], s32 offset:812 ; 4-byte Folded Reload
	s_waitcnt vmcnt(0)
	v_cndmask_b32_e64 v5, 0, v5, s4
	v_cmp_lt_i32_e64 s4, v76, v4
	buffer_load_dword v4, off, s[0:3], s32 offset:804 ; 4-byte Folded Reload
	buffer_store_dword v5, off, s[0:3], s32 offset:812 ; 4-byte Folded Spill
	s_waitcnt vmcnt(0)
	v_cndmask_b32_e64 v4, 0, v4, s4
	buffer_store_dword v4, off, s[0:3], s32 offset:804 ; 4-byte Folded Spill
.LBB241_2221:                           ;   in Loop: Header=BB241_1574 Depth=1
	s_or_b32 exec_lo, exec_lo, s15
	flat_load_dword v7, v[19:20] offset:384
	v_mov_b32_e32 v21, 0
	v_mov_b32_e32 v4, 0
	;; [unrolled: 1-line block ×4, first 2 shown]
	s_waitcnt vmcnt(0) lgkmcnt(0)
	v_cmp_ne_u16_sdwa s4, v7, v10 src0_sel:BYTE_0 src1_sel:DWORD
	s_and_saveexec_b32 s15, s4
	s_cbranch_execz .LBB241_2229
; %bb.2222:                             ;   in Loop: Header=BB241_1574 Depth=1
	v_bfrev_b32_e32 v4, 1
	v_mov_b32_e32 v5, 0
	v_cmp_ne_u16_sdwa s4, v7, v41 src0_sel:BYTE_0 src1_sel:DWORD
	s_and_saveexec_b32 s17, s4
	s_cbranch_execz .LBB241_2228
; %bb.2223:                             ;   in Loop: Header=BB241_1574 Depth=1
	v_mov_b32_e32 v4, 0x7f800001
	v_and_b32_e32 v8, 0x7f, v7
	v_mov_b32_e32 v5, 0
	s_mov_b32 s18, exec_lo
	v_cmpx_ne_u32_e32 0x7f, v8
	s_cbranch_execz .LBB241_2227
; %bb.2224:                             ;   in Loop: Header=BB241_1574 Depth=1
	v_and_b32_e32 v9, 7, v7
	v_lshrrev_b32_e32 v4, 3, v8
	s_mov_b32 s19, exec_lo
	v_cmpx_gt_u32_e32 8, v8
; %bb.2225:                             ;   in Loop: Header=BB241_1574 Depth=1
	v_ffbh_u32_e32 v4, v9
	v_min_u32_e32 v4, 32, v4
	v_subrev_nc_u32_e32 v5, 28, v4
	v_sub_nc_u32_e32 v4, 29, v4
	v_lshlrev_b64 v[8:9], v5, v[9:10]
	v_and_b32_e32 v9, 7, v8
; %bb.2226:                             ;   in Loop: Header=BB241_1574 Depth=1
	s_or_b32 exec_lo, exec_lo, s19
	v_lshlrev_b32_e32 v5, 24, v7
	v_lshlrev_b32_e32 v8, 20, v9
	v_lshl_add_u32 v4, v4, 23, 0x3c000000
	v_and_b32_e32 v5, 0x80000000, v5
	v_or3_b32 v9, v8, v5, v4
	v_mov_b32_e32 v4, v9
	v_mov_b32_e32 v5, v10
.LBB241_2227:                           ;   in Loop: Header=BB241_1574 Depth=1
	s_or_b32 exec_lo, exec_lo, s18
.LBB241_2228:                           ;   in Loop: Header=BB241_1574 Depth=1
	s_or_b32 exec_lo, exec_lo, s17
.LBB241_2229:                           ;   in Loop: Header=BB241_1574 Depth=1
	s_or_b32 exec_lo, exec_lo, s15
	v_cmp_ne_u16_sdwa s4, v7, v10 src0_sel:BYTE_1 src1_sel:DWORD
	s_and_saveexec_b32 s15, s4
	s_cbranch_execz .LBB241_2237
; %bb.2230:                             ;   in Loop: Header=BB241_1574 Depth=1
	v_mov_b32_e32 v11, v10
	v_mov_b32_e32 v22, v12
	v_cmp_ne_u16_sdwa s4, v7, v41 src0_sel:BYTE_1 src1_sel:DWORD
	v_mov_b32_e32 v21, v11
	s_and_saveexec_b32 s17, s4
	s_cbranch_execz .LBB241_2236
; %bb.2231:                             ;   in Loop: Header=BB241_1574 Depth=1
	v_and_b32_sdwa v8, v36, v7 dst_sel:DWORD dst_unused:UNUSED_PAD src0_sel:DWORD src1_sel:BYTE_1
	v_mov_b32_e32 v13, v10
	v_mov_b32_e32 v22, v14
	s_mov_b32 s18, exec_lo
	v_and_b32_e32 v11, 0x7f, v8
	v_mov_b32_e32 v21, v13
	v_cmpx_ne_u32_e32 0x7f, v11
	s_cbranch_execz .LBB241_2235
; %bb.2232:                             ;   in Loop: Header=BB241_1574 Depth=1
	v_and_b32_e32 v9, 7, v8
	v_lshrrev_b32_e32 v8, 3, v11
	s_mov_b32 s19, exec_lo
	v_cmpx_gt_u32_e32 8, v11
; %bb.2233:                             ;   in Loop: Header=BB241_1574 Depth=1
	v_ffbh_u32_e32 v8, v9
	v_min_u32_e32 v8, 32, v8
	v_subrev_nc_u32_e32 v11, 28, v8
	v_sub_nc_u32_e32 v8, 29, v8
	v_lshlrev_b64 v[21:22], v11, v[9:10]
	v_and_b32_e32 v9, 7, v21
; %bb.2234:                             ;   in Loop: Header=BB241_1574 Depth=1
	s_or_b32 exec_lo, exec_lo, s19
	v_lshlrev_b32_e32 v11, 16, v7
	v_lshlrev_b32_e32 v9, 20, v9
	v_lshl_add_u32 v8, v8, 23, 0x3c000000
	v_mov_b32_e32 v21, v10
	v_and_b32_e32 v11, 0x80000000, v11
	v_or3_b32 v22, v9, v11, v8
.LBB241_2235:                           ;   in Loop: Header=BB241_1574 Depth=1
	s_or_b32 exec_lo, exec_lo, s18
.LBB241_2236:                           ;   in Loop: Header=BB241_1574 Depth=1
	s_or_b32 exec_lo, exec_lo, s17
.LBB241_2237:                           ;   in Loop: Header=BB241_1574 Depth=1
	s_or_b32 exec_lo, exec_lo, s15
	v_mov_b32_e32 v23, 0
	v_mov_b32_e32 v25, 0
	v_and_b32_sdwa v8, v7, v43 dst_sel:DWORD dst_unused:UNUSED_PAD src0_sel:WORD_1 src1_sel:DWORD
	v_mov_b32_e32 v24, 0
	v_mov_b32_e32 v26, 0
	s_mov_b32 s15, exec_lo
	v_cmpx_ne_u16_e32 0, v8
	s_cbranch_execz .LBB241_2245
; %bb.2238:                             ;   in Loop: Header=BB241_1574 Depth=1
	v_bfrev_b32_e32 v25, 1
	v_mov_b32_e32 v26, 0
	s_mov_b32 s17, exec_lo
	v_cmpx_ne_u16_e32 0x80, v8
	s_cbranch_execz .LBB241_2244
; %bb.2239:                             ;   in Loop: Header=BB241_1574 Depth=1
	v_mov_b32_e32 v25, 0x7f800001
	v_bfe_u32 v11, v7, 16, 7
	v_mov_b32_e32 v26, 0
	s_mov_b32 s18, exec_lo
	v_cmpx_ne_u32_e32 0x7f, v11
	s_cbranch_execz .LBB241_2243
; %bb.2240:                             ;   in Loop: Header=BB241_1574 Depth=1
	v_mov_b32_e32 v8, 7
	s_mov_b32 s19, exec_lo
	v_and_b32_sdwa v9, v7, v8 dst_sel:DWORD dst_unused:UNUSED_PAD src0_sel:WORD_1 src1_sel:DWORD
	v_lshrrev_b32_e32 v8, 3, v11
	v_cmpx_gt_u32_e32 8, v11
; %bb.2241:                             ;   in Loop: Header=BB241_1574 Depth=1
	v_ffbh_u32_e32 v8, v9
	v_min_u32_e32 v8, 32, v8
	v_subrev_nc_u32_e32 v11, 28, v8
	v_sub_nc_u32_e32 v8, 29, v8
	v_lshlrev_b64 v[25:26], v11, v[9:10]
	v_and_b32_e32 v9, 7, v25
; %bb.2242:                             ;   in Loop: Header=BB241_1574 Depth=1
	s_or_b32 exec_lo, exec_lo, s19
	v_mov_b32_e32 v11, 24
	v_lshlrev_b32_e32 v9, 20, v9
	v_lshl_add_u32 v8, v8, 23, 0x3c000000
	v_lshlrev_b32_sdwa v11, v11, v7 dst_sel:DWORD dst_unused:UNUSED_PAD src0_sel:DWORD src1_sel:WORD_1
	v_and_b32_e32 v11, 0x80000000, v11
	v_or3_b32 v9, v9, v11, v8
	v_mov_b32_e32 v26, v10
	v_mov_b32_e32 v25, v9
.LBB241_2243:                           ;   in Loop: Header=BB241_1574 Depth=1
	s_or_b32 exec_lo, exec_lo, s18
.LBB241_2244:                           ;   in Loop: Header=BB241_1574 Depth=1
	s_or_b32 exec_lo, exec_lo, s17
.LBB241_2245:                           ;   in Loop: Header=BB241_1574 Depth=1
	s_or_b32 exec_lo, exec_lo, s15
	s_mov_b32 s15, exec_lo
	v_cmpx_lt_u32_e32 0xffffff, v7
	s_cbranch_execz .LBB241_2253
; %bb.2246:                             ;   in Loop: Header=BB241_1574 Depth=1
	v_mov_b32_e32 v11, v10
	v_mov_b32_e32 v24, v12
	v_cmp_ne_u32_sdwa s4, v7, v41 src0_sel:BYTE_3 src1_sel:DWORD
	v_mov_b32_e32 v23, v11
	s_and_saveexec_b32 s17, s4
	s_cbranch_execz .LBB241_2252
; %bb.2247:                             ;   in Loop: Header=BB241_1574 Depth=1
	v_mov_b32_e32 v13, v10
	v_mov_b32_e32 v24, v14
	v_bfe_u32 v11, v7, 24, 7
	s_mov_b32 s18, exec_lo
	v_mov_b32_e32 v23, v13
	v_cmpx_ne_u32_e32 0x7f, v11
	s_cbranch_execz .LBB241_2251
; %bb.2248:                             ;   in Loop: Header=BB241_1574 Depth=1
	v_mov_b32_e32 v8, 7
	s_mov_b32 s19, exec_lo
	v_and_b32_sdwa v9, v7, v8 dst_sel:DWORD dst_unused:UNUSED_PAD src0_sel:BYTE_3 src1_sel:DWORD
	v_lshrrev_b32_e32 v8, 3, v11
	v_cmpx_gt_u32_e32 8, v11
; %bb.2249:                             ;   in Loop: Header=BB241_1574 Depth=1
	v_ffbh_u32_e32 v8, v9
	v_min_u32_e32 v8, 32, v8
	v_subrev_nc_u32_e32 v11, 28, v8
	v_sub_nc_u32_e32 v8, 29, v8
	v_lshlrev_b64 v[23:24], v11, v[9:10]
	v_and_b32_e32 v9, 7, v23
; %bb.2250:                             ;   in Loop: Header=BB241_1574 Depth=1
	s_or_b32 exec_lo, exec_lo, s19
	v_mov_b32_e32 v11, 24
	v_lshlrev_b32_e32 v9, 20, v9
	v_lshl_add_u32 v8, v8, 23, 0x3c000000
	v_mov_b32_e32 v23, v10
	v_lshlrev_b32_sdwa v7, v11, v7 dst_sel:DWORD dst_unused:UNUSED_PAD src0_sel:DWORD src1_sel:BYTE_3
	v_and_b32_e32 v7, 0x80000000, v7
	v_or3_b32 v24, v9, v7, v8
.LBB241_2251:                           ;   in Loop: Header=BB241_1574 Depth=1
	s_or_b32 exec_lo, exec_lo, s18
.LBB241_2252:                           ;   in Loop: Header=BB241_1574 Depth=1
	s_or_b32 exec_lo, exec_lo, s17
.LBB241_2253:                           ;   in Loop: Header=BB241_1574 Depth=1
	s_or_b32 exec_lo, exec_lo, s15
	v_or_b32_e32 v4, v21, v4
	v_or_b32_e32 v7, v23, v25
	;; [unrolled: 1-line block ×4, first 2 shown]
	v_mul_f32_e32 v4, v63, v4
	v_mul_f32_e32 v5, v63, v5
	buffer_store_dword v4, off, s[0:3], s32 offset:852 ; 4-byte Folded Spill
	v_mul_f32_e32 v4, v63, v7
	buffer_store_dword v5, off, s[0:3], s32 offset:860 ; 4-byte Folded Spill
	buffer_store_dword v4, off, s[0:3], s32 offset:844 ; 4-byte Folded Spill
	v_mul_f32_e32 v4, v63, v8
	buffer_store_dword v4, off, s[0:3], s32 offset:836 ; 4-byte Folded Spill
	s_and_saveexec_b32 s15, vcc_lo
	s_cbranch_execz .LBB241_2255
; %bb.2254:                             ;   in Loop: Header=BB241_1574 Depth=1
	s_clause 0x1
	buffer_load_dword v4, off, s[0:3], s32 offset:208
	buffer_load_dword v5, off, s[0:3], s32 offset:852
	s_waitcnt vmcnt(1)
	v_cmp_lt_i32_e64 s4, v62, v4
	s_waitcnt vmcnt(0)
	v_cndmask_b32_e64 v5, 0, v5, s4
	v_cmp_lt_i32_e64 s4, v78, v4
	buffer_store_dword v5, off, s[0:3], s32 offset:852 ; 4-byte Folded Spill
	buffer_load_dword v5, off, s[0:3], s32 offset:860 ; 4-byte Folded Reload
	s_waitcnt vmcnt(0)
	v_cndmask_b32_e64 v5, 0, v5, s4
	v_cmp_lt_i32_e64 s4, v77, v4
	buffer_store_dword v5, off, s[0:3], s32 offset:860 ; 4-byte Folded Spill
	buffer_load_dword v5, off, s[0:3], s32 offset:844 ; 4-byte Folded Reload
	s_waitcnt vmcnt(0)
	v_cndmask_b32_e64 v5, 0, v5, s4
	v_cmp_lt_i32_e64 s4, v76, v4
	buffer_load_dword v4, off, s[0:3], s32 offset:836 ; 4-byte Folded Reload
	buffer_store_dword v5, off, s[0:3], s32 offset:844 ; 4-byte Folded Spill
	s_waitcnt vmcnt(0)
	v_cndmask_b32_e64 v4, 0, v4, s4
	buffer_store_dword v4, off, s[0:3], s32 offset:836 ; 4-byte Folded Spill
.LBB241_2255:                           ;   in Loop: Header=BB241_1574 Depth=1
	s_or_b32 exec_lo, exec_lo, s15
	flat_load_dword v7, v[19:20] offset:512
	v_mov_b32_e32 v21, 0
	v_mov_b32_e32 v4, 0
	;; [unrolled: 1-line block ×4, first 2 shown]
	s_waitcnt vmcnt(0) lgkmcnt(0)
	v_cmp_ne_u16_sdwa s4, v7, v10 src0_sel:BYTE_0 src1_sel:DWORD
	s_and_saveexec_b32 s15, s4
	s_cbranch_execz .LBB241_2263
; %bb.2256:                             ;   in Loop: Header=BB241_1574 Depth=1
	v_bfrev_b32_e32 v4, 1
	v_mov_b32_e32 v5, 0
	v_cmp_ne_u16_sdwa s4, v7, v41 src0_sel:BYTE_0 src1_sel:DWORD
	s_and_saveexec_b32 s17, s4
	s_cbranch_execz .LBB241_2262
; %bb.2257:                             ;   in Loop: Header=BB241_1574 Depth=1
	v_mov_b32_e32 v4, 0x7f800001
	v_and_b32_e32 v8, 0x7f, v7
	v_mov_b32_e32 v5, 0
	s_mov_b32 s18, exec_lo
	v_cmpx_ne_u32_e32 0x7f, v8
	s_cbranch_execz .LBB241_2261
; %bb.2258:                             ;   in Loop: Header=BB241_1574 Depth=1
	v_and_b32_e32 v9, 7, v7
	v_lshrrev_b32_e32 v4, 3, v8
	s_mov_b32 s19, exec_lo
	v_cmpx_gt_u32_e32 8, v8
; %bb.2259:                             ;   in Loop: Header=BB241_1574 Depth=1
	v_ffbh_u32_e32 v4, v9
	v_min_u32_e32 v4, 32, v4
	v_subrev_nc_u32_e32 v5, 28, v4
	v_sub_nc_u32_e32 v4, 29, v4
	v_lshlrev_b64 v[8:9], v5, v[9:10]
	v_and_b32_e32 v9, 7, v8
; %bb.2260:                             ;   in Loop: Header=BB241_1574 Depth=1
	s_or_b32 exec_lo, exec_lo, s19
	v_lshlrev_b32_e32 v5, 24, v7
	v_lshlrev_b32_e32 v8, 20, v9
	v_lshl_add_u32 v4, v4, 23, 0x3c000000
	v_and_b32_e32 v5, 0x80000000, v5
	v_or3_b32 v9, v8, v5, v4
	v_mov_b32_e32 v4, v9
	v_mov_b32_e32 v5, v10
.LBB241_2261:                           ;   in Loop: Header=BB241_1574 Depth=1
	s_or_b32 exec_lo, exec_lo, s18
.LBB241_2262:                           ;   in Loop: Header=BB241_1574 Depth=1
	s_or_b32 exec_lo, exec_lo, s17
.LBB241_2263:                           ;   in Loop: Header=BB241_1574 Depth=1
	s_or_b32 exec_lo, exec_lo, s15
	v_cmp_ne_u16_sdwa s4, v7, v10 src0_sel:BYTE_1 src1_sel:DWORD
	s_and_saveexec_b32 s15, s4
	s_cbranch_execz .LBB241_2271
; %bb.2264:                             ;   in Loop: Header=BB241_1574 Depth=1
	v_mov_b32_e32 v11, v10
	v_mov_b32_e32 v22, v12
	v_cmp_ne_u16_sdwa s4, v7, v41 src0_sel:BYTE_1 src1_sel:DWORD
	v_mov_b32_e32 v21, v11
	s_and_saveexec_b32 s17, s4
	s_cbranch_execz .LBB241_2270
; %bb.2265:                             ;   in Loop: Header=BB241_1574 Depth=1
	v_and_b32_sdwa v8, v36, v7 dst_sel:DWORD dst_unused:UNUSED_PAD src0_sel:DWORD src1_sel:BYTE_1
	v_mov_b32_e32 v13, v10
	v_mov_b32_e32 v22, v14
	s_mov_b32 s18, exec_lo
	v_and_b32_e32 v11, 0x7f, v8
	v_mov_b32_e32 v21, v13
	v_cmpx_ne_u32_e32 0x7f, v11
	s_cbranch_execz .LBB241_2269
; %bb.2266:                             ;   in Loop: Header=BB241_1574 Depth=1
	v_and_b32_e32 v9, 7, v8
	v_lshrrev_b32_e32 v8, 3, v11
	s_mov_b32 s19, exec_lo
	v_cmpx_gt_u32_e32 8, v11
; %bb.2267:                             ;   in Loop: Header=BB241_1574 Depth=1
	v_ffbh_u32_e32 v8, v9
	v_min_u32_e32 v8, 32, v8
	v_subrev_nc_u32_e32 v11, 28, v8
	v_sub_nc_u32_e32 v8, 29, v8
	v_lshlrev_b64 v[21:22], v11, v[9:10]
	v_and_b32_e32 v9, 7, v21
; %bb.2268:                             ;   in Loop: Header=BB241_1574 Depth=1
	s_or_b32 exec_lo, exec_lo, s19
	v_lshlrev_b32_e32 v11, 16, v7
	v_lshlrev_b32_e32 v9, 20, v9
	v_lshl_add_u32 v8, v8, 23, 0x3c000000
	v_mov_b32_e32 v21, v10
	v_and_b32_e32 v11, 0x80000000, v11
	v_or3_b32 v22, v9, v11, v8
.LBB241_2269:                           ;   in Loop: Header=BB241_1574 Depth=1
	s_or_b32 exec_lo, exec_lo, s18
.LBB241_2270:                           ;   in Loop: Header=BB241_1574 Depth=1
	s_or_b32 exec_lo, exec_lo, s17
.LBB241_2271:                           ;   in Loop: Header=BB241_1574 Depth=1
	s_or_b32 exec_lo, exec_lo, s15
	v_mov_b32_e32 v23, 0
	v_mov_b32_e32 v25, 0
	v_and_b32_sdwa v8, v7, v43 dst_sel:DWORD dst_unused:UNUSED_PAD src0_sel:WORD_1 src1_sel:DWORD
	v_mov_b32_e32 v24, 0
	v_mov_b32_e32 v26, 0
	s_mov_b32 s15, exec_lo
	v_cmpx_ne_u16_e32 0, v8
	s_cbranch_execz .LBB241_2279
; %bb.2272:                             ;   in Loop: Header=BB241_1574 Depth=1
	v_bfrev_b32_e32 v25, 1
	v_mov_b32_e32 v26, 0
	s_mov_b32 s17, exec_lo
	v_cmpx_ne_u16_e32 0x80, v8
	s_cbranch_execz .LBB241_2278
; %bb.2273:                             ;   in Loop: Header=BB241_1574 Depth=1
	v_mov_b32_e32 v25, 0x7f800001
	v_bfe_u32 v11, v7, 16, 7
	v_mov_b32_e32 v26, 0
	s_mov_b32 s18, exec_lo
	v_cmpx_ne_u32_e32 0x7f, v11
	s_cbranch_execz .LBB241_2277
; %bb.2274:                             ;   in Loop: Header=BB241_1574 Depth=1
	v_mov_b32_e32 v8, 7
	s_mov_b32 s19, exec_lo
	v_and_b32_sdwa v9, v7, v8 dst_sel:DWORD dst_unused:UNUSED_PAD src0_sel:WORD_1 src1_sel:DWORD
	v_lshrrev_b32_e32 v8, 3, v11
	v_cmpx_gt_u32_e32 8, v11
; %bb.2275:                             ;   in Loop: Header=BB241_1574 Depth=1
	v_ffbh_u32_e32 v8, v9
	v_min_u32_e32 v8, 32, v8
	v_subrev_nc_u32_e32 v11, 28, v8
	v_sub_nc_u32_e32 v8, 29, v8
	v_lshlrev_b64 v[25:26], v11, v[9:10]
	v_and_b32_e32 v9, 7, v25
; %bb.2276:                             ;   in Loop: Header=BB241_1574 Depth=1
	s_or_b32 exec_lo, exec_lo, s19
	v_mov_b32_e32 v11, 24
	v_lshlrev_b32_e32 v9, 20, v9
	v_lshl_add_u32 v8, v8, 23, 0x3c000000
	v_lshlrev_b32_sdwa v11, v11, v7 dst_sel:DWORD dst_unused:UNUSED_PAD src0_sel:DWORD src1_sel:WORD_1
	v_and_b32_e32 v11, 0x80000000, v11
	v_or3_b32 v9, v9, v11, v8
	v_mov_b32_e32 v26, v10
	v_mov_b32_e32 v25, v9
.LBB241_2277:                           ;   in Loop: Header=BB241_1574 Depth=1
	s_or_b32 exec_lo, exec_lo, s18
.LBB241_2278:                           ;   in Loop: Header=BB241_1574 Depth=1
	s_or_b32 exec_lo, exec_lo, s17
.LBB241_2279:                           ;   in Loop: Header=BB241_1574 Depth=1
	s_or_b32 exec_lo, exec_lo, s15
	s_mov_b32 s15, exec_lo
	v_cmpx_lt_u32_e32 0xffffff, v7
	s_cbranch_execz .LBB241_2287
; %bb.2280:                             ;   in Loop: Header=BB241_1574 Depth=1
	v_mov_b32_e32 v11, v10
	v_mov_b32_e32 v24, v12
	v_cmp_ne_u32_sdwa s4, v7, v41 src0_sel:BYTE_3 src1_sel:DWORD
	v_mov_b32_e32 v23, v11
	s_and_saveexec_b32 s17, s4
	s_cbranch_execz .LBB241_2286
; %bb.2281:                             ;   in Loop: Header=BB241_1574 Depth=1
	v_mov_b32_e32 v13, v10
	v_mov_b32_e32 v24, v14
	v_bfe_u32 v11, v7, 24, 7
	s_mov_b32 s18, exec_lo
	v_mov_b32_e32 v23, v13
	v_cmpx_ne_u32_e32 0x7f, v11
	s_cbranch_execz .LBB241_2285
; %bb.2282:                             ;   in Loop: Header=BB241_1574 Depth=1
	v_mov_b32_e32 v8, 7
	s_mov_b32 s19, exec_lo
	v_and_b32_sdwa v9, v7, v8 dst_sel:DWORD dst_unused:UNUSED_PAD src0_sel:BYTE_3 src1_sel:DWORD
	v_lshrrev_b32_e32 v8, 3, v11
	v_cmpx_gt_u32_e32 8, v11
; %bb.2283:                             ;   in Loop: Header=BB241_1574 Depth=1
	v_ffbh_u32_e32 v8, v9
	v_min_u32_e32 v8, 32, v8
	v_subrev_nc_u32_e32 v11, 28, v8
	v_sub_nc_u32_e32 v8, 29, v8
	v_lshlrev_b64 v[23:24], v11, v[9:10]
	v_and_b32_e32 v9, 7, v23
; %bb.2284:                             ;   in Loop: Header=BB241_1574 Depth=1
	s_or_b32 exec_lo, exec_lo, s19
	v_mov_b32_e32 v11, 24
	v_lshlrev_b32_e32 v9, 20, v9
	v_lshl_add_u32 v8, v8, 23, 0x3c000000
	v_mov_b32_e32 v23, v10
	v_lshlrev_b32_sdwa v7, v11, v7 dst_sel:DWORD dst_unused:UNUSED_PAD src0_sel:DWORD src1_sel:BYTE_3
	v_and_b32_e32 v7, 0x80000000, v7
	v_or3_b32 v24, v9, v7, v8
.LBB241_2285:                           ;   in Loop: Header=BB241_1574 Depth=1
	s_or_b32 exec_lo, exec_lo, s18
.LBB241_2286:                           ;   in Loop: Header=BB241_1574 Depth=1
	s_or_b32 exec_lo, exec_lo, s17
.LBB241_2287:                           ;   in Loop: Header=BB241_1574 Depth=1
	s_or_b32 exec_lo, exec_lo, s15
	v_or_b32_e32 v4, v21, v4
	v_or_b32_e32 v7, v23, v25
	;; [unrolled: 1-line block ×4, first 2 shown]
	v_mul_f32_e32 v4, v63, v4
	v_mul_f32_e32 v5, v63, v5
	buffer_store_dword v4, off, s[0:3], s32 offset:884 ; 4-byte Folded Spill
	v_mul_f32_e32 v4, v63, v7
	buffer_store_dword v5, off, s[0:3], s32 offset:892 ; 4-byte Folded Spill
	buffer_store_dword v4, off, s[0:3], s32 offset:876 ; 4-byte Folded Spill
	v_mul_f32_e32 v4, v63, v8
	buffer_store_dword v4, off, s[0:3], s32 offset:868 ; 4-byte Folded Spill
	s_and_saveexec_b32 s15, vcc_lo
	s_cbranch_execz .LBB241_2289
; %bb.2288:                             ;   in Loop: Header=BB241_1574 Depth=1
	s_clause 0x1
	buffer_load_dword v4, off, s[0:3], s32 offset:208
	buffer_load_dword v5, off, s[0:3], s32 offset:884
	s_waitcnt vmcnt(1)
	v_cmp_lt_i32_e64 s4, v62, v4
	s_waitcnt vmcnt(0)
	v_cndmask_b32_e64 v5, 0, v5, s4
	v_cmp_lt_i32_e64 s4, v78, v4
	buffer_store_dword v5, off, s[0:3], s32 offset:884 ; 4-byte Folded Spill
	buffer_load_dword v5, off, s[0:3], s32 offset:892 ; 4-byte Folded Reload
	s_waitcnt vmcnt(0)
	v_cndmask_b32_e64 v5, 0, v5, s4
	v_cmp_lt_i32_e64 s4, v77, v4
	buffer_store_dword v5, off, s[0:3], s32 offset:892 ; 4-byte Folded Spill
	buffer_load_dword v5, off, s[0:3], s32 offset:876 ; 4-byte Folded Reload
	s_waitcnt vmcnt(0)
	v_cndmask_b32_e64 v5, 0, v5, s4
	v_cmp_lt_i32_e64 s4, v76, v4
	buffer_load_dword v4, off, s[0:3], s32 offset:868 ; 4-byte Folded Reload
	buffer_store_dword v5, off, s[0:3], s32 offset:876 ; 4-byte Folded Spill
	s_waitcnt vmcnt(0)
	v_cndmask_b32_e64 v4, 0, v4, s4
	buffer_store_dword v4, off, s[0:3], s32 offset:868 ; 4-byte Folded Spill
.LBB241_2289:                           ;   in Loop: Header=BB241_1574 Depth=1
	s_or_b32 exec_lo, exec_lo, s15
	flat_load_dword v7, v[19:20] offset:640
	v_mov_b32_e32 v21, 0
	v_mov_b32_e32 v4, 0
	v_mov_b32_e32 v22, 0
	v_mov_b32_e32 v5, 0
	s_waitcnt vmcnt(0) lgkmcnt(0)
	v_cmp_ne_u16_sdwa s4, v7, v10 src0_sel:BYTE_0 src1_sel:DWORD
	s_and_saveexec_b32 s15, s4
	s_cbranch_execz .LBB241_2297
; %bb.2290:                             ;   in Loop: Header=BB241_1574 Depth=1
	v_bfrev_b32_e32 v4, 1
	v_mov_b32_e32 v5, 0
	v_cmp_ne_u16_sdwa s4, v7, v41 src0_sel:BYTE_0 src1_sel:DWORD
	s_and_saveexec_b32 s17, s4
	s_cbranch_execz .LBB241_2296
; %bb.2291:                             ;   in Loop: Header=BB241_1574 Depth=1
	v_mov_b32_e32 v4, 0x7f800001
	v_and_b32_e32 v8, 0x7f, v7
	v_mov_b32_e32 v5, 0
	s_mov_b32 s18, exec_lo
	v_cmpx_ne_u32_e32 0x7f, v8
	s_cbranch_execz .LBB241_2295
; %bb.2292:                             ;   in Loop: Header=BB241_1574 Depth=1
	v_and_b32_e32 v9, 7, v7
	v_lshrrev_b32_e32 v4, 3, v8
	s_mov_b32 s19, exec_lo
	v_cmpx_gt_u32_e32 8, v8
; %bb.2293:                             ;   in Loop: Header=BB241_1574 Depth=1
	v_ffbh_u32_e32 v4, v9
	v_min_u32_e32 v4, 32, v4
	v_subrev_nc_u32_e32 v5, 28, v4
	v_sub_nc_u32_e32 v4, 29, v4
	v_lshlrev_b64 v[8:9], v5, v[9:10]
	v_and_b32_e32 v9, 7, v8
; %bb.2294:                             ;   in Loop: Header=BB241_1574 Depth=1
	s_or_b32 exec_lo, exec_lo, s19
	v_lshlrev_b32_e32 v5, 24, v7
	v_lshlrev_b32_e32 v8, 20, v9
	v_lshl_add_u32 v4, v4, 23, 0x3c000000
	v_and_b32_e32 v5, 0x80000000, v5
	v_or3_b32 v9, v8, v5, v4
	v_mov_b32_e32 v4, v9
	v_mov_b32_e32 v5, v10
.LBB241_2295:                           ;   in Loop: Header=BB241_1574 Depth=1
	s_or_b32 exec_lo, exec_lo, s18
.LBB241_2296:                           ;   in Loop: Header=BB241_1574 Depth=1
	s_or_b32 exec_lo, exec_lo, s17
.LBB241_2297:                           ;   in Loop: Header=BB241_1574 Depth=1
	s_or_b32 exec_lo, exec_lo, s15
	v_cmp_ne_u16_sdwa s4, v7, v10 src0_sel:BYTE_1 src1_sel:DWORD
	s_and_saveexec_b32 s15, s4
	s_cbranch_execz .LBB241_2305
; %bb.2298:                             ;   in Loop: Header=BB241_1574 Depth=1
	v_mov_b32_e32 v11, v10
	v_mov_b32_e32 v22, v12
	v_cmp_ne_u16_sdwa s4, v7, v41 src0_sel:BYTE_1 src1_sel:DWORD
	v_mov_b32_e32 v21, v11
	s_and_saveexec_b32 s17, s4
	s_cbranch_execz .LBB241_2304
; %bb.2299:                             ;   in Loop: Header=BB241_1574 Depth=1
	v_and_b32_sdwa v8, v36, v7 dst_sel:DWORD dst_unused:UNUSED_PAD src0_sel:DWORD src1_sel:BYTE_1
	v_mov_b32_e32 v13, v10
	v_mov_b32_e32 v22, v14
	s_mov_b32 s18, exec_lo
	v_and_b32_e32 v11, 0x7f, v8
	v_mov_b32_e32 v21, v13
	v_cmpx_ne_u32_e32 0x7f, v11
	s_cbranch_execz .LBB241_2303
; %bb.2300:                             ;   in Loop: Header=BB241_1574 Depth=1
	v_and_b32_e32 v9, 7, v8
	v_lshrrev_b32_e32 v8, 3, v11
	s_mov_b32 s19, exec_lo
	v_cmpx_gt_u32_e32 8, v11
; %bb.2301:                             ;   in Loop: Header=BB241_1574 Depth=1
	v_ffbh_u32_e32 v8, v9
	v_min_u32_e32 v8, 32, v8
	v_subrev_nc_u32_e32 v11, 28, v8
	v_sub_nc_u32_e32 v8, 29, v8
	v_lshlrev_b64 v[21:22], v11, v[9:10]
	v_and_b32_e32 v9, 7, v21
; %bb.2302:                             ;   in Loop: Header=BB241_1574 Depth=1
	s_or_b32 exec_lo, exec_lo, s19
	v_lshlrev_b32_e32 v11, 16, v7
	v_lshlrev_b32_e32 v9, 20, v9
	v_lshl_add_u32 v8, v8, 23, 0x3c000000
	v_mov_b32_e32 v21, v10
	v_and_b32_e32 v11, 0x80000000, v11
	v_or3_b32 v22, v9, v11, v8
.LBB241_2303:                           ;   in Loop: Header=BB241_1574 Depth=1
	s_or_b32 exec_lo, exec_lo, s18
.LBB241_2304:                           ;   in Loop: Header=BB241_1574 Depth=1
	s_or_b32 exec_lo, exec_lo, s17
.LBB241_2305:                           ;   in Loop: Header=BB241_1574 Depth=1
	s_or_b32 exec_lo, exec_lo, s15
	v_mov_b32_e32 v23, 0
	v_mov_b32_e32 v25, 0
	v_and_b32_sdwa v8, v7, v43 dst_sel:DWORD dst_unused:UNUSED_PAD src0_sel:WORD_1 src1_sel:DWORD
	v_mov_b32_e32 v24, 0
	v_mov_b32_e32 v26, 0
	s_mov_b32 s15, exec_lo
	v_cmpx_ne_u16_e32 0, v8
	s_cbranch_execz .LBB241_2313
; %bb.2306:                             ;   in Loop: Header=BB241_1574 Depth=1
	v_bfrev_b32_e32 v25, 1
	v_mov_b32_e32 v26, 0
	s_mov_b32 s17, exec_lo
	v_cmpx_ne_u16_e32 0x80, v8
	s_cbranch_execz .LBB241_2312
; %bb.2307:                             ;   in Loop: Header=BB241_1574 Depth=1
	v_mov_b32_e32 v25, 0x7f800001
	v_bfe_u32 v11, v7, 16, 7
	v_mov_b32_e32 v26, 0
	s_mov_b32 s18, exec_lo
	v_cmpx_ne_u32_e32 0x7f, v11
	s_cbranch_execz .LBB241_2311
; %bb.2308:                             ;   in Loop: Header=BB241_1574 Depth=1
	v_mov_b32_e32 v8, 7
	s_mov_b32 s19, exec_lo
	v_and_b32_sdwa v9, v7, v8 dst_sel:DWORD dst_unused:UNUSED_PAD src0_sel:WORD_1 src1_sel:DWORD
	v_lshrrev_b32_e32 v8, 3, v11
	v_cmpx_gt_u32_e32 8, v11
; %bb.2309:                             ;   in Loop: Header=BB241_1574 Depth=1
	v_ffbh_u32_e32 v8, v9
	v_min_u32_e32 v8, 32, v8
	v_subrev_nc_u32_e32 v11, 28, v8
	v_sub_nc_u32_e32 v8, 29, v8
	v_lshlrev_b64 v[25:26], v11, v[9:10]
	v_and_b32_e32 v9, 7, v25
; %bb.2310:                             ;   in Loop: Header=BB241_1574 Depth=1
	s_or_b32 exec_lo, exec_lo, s19
	v_mov_b32_e32 v11, 24
	v_lshlrev_b32_e32 v9, 20, v9
	v_lshl_add_u32 v8, v8, 23, 0x3c000000
	v_lshlrev_b32_sdwa v11, v11, v7 dst_sel:DWORD dst_unused:UNUSED_PAD src0_sel:DWORD src1_sel:WORD_1
	v_and_b32_e32 v11, 0x80000000, v11
	v_or3_b32 v9, v9, v11, v8
	v_mov_b32_e32 v26, v10
	v_mov_b32_e32 v25, v9
.LBB241_2311:                           ;   in Loop: Header=BB241_1574 Depth=1
	s_or_b32 exec_lo, exec_lo, s18
.LBB241_2312:                           ;   in Loop: Header=BB241_1574 Depth=1
	s_or_b32 exec_lo, exec_lo, s17
.LBB241_2313:                           ;   in Loop: Header=BB241_1574 Depth=1
	s_or_b32 exec_lo, exec_lo, s15
	s_mov_b32 s15, exec_lo
	v_cmpx_lt_u32_e32 0xffffff, v7
	s_cbranch_execz .LBB241_2321
; %bb.2314:                             ;   in Loop: Header=BB241_1574 Depth=1
	v_mov_b32_e32 v11, v10
	v_mov_b32_e32 v24, v12
	v_cmp_ne_u32_sdwa s4, v7, v41 src0_sel:BYTE_3 src1_sel:DWORD
	v_mov_b32_e32 v23, v11
	s_and_saveexec_b32 s17, s4
	s_cbranch_execz .LBB241_2320
; %bb.2315:                             ;   in Loop: Header=BB241_1574 Depth=1
	v_mov_b32_e32 v13, v10
	v_mov_b32_e32 v24, v14
	v_bfe_u32 v11, v7, 24, 7
	s_mov_b32 s18, exec_lo
	v_mov_b32_e32 v23, v13
	v_cmpx_ne_u32_e32 0x7f, v11
	s_cbranch_execz .LBB241_2319
; %bb.2316:                             ;   in Loop: Header=BB241_1574 Depth=1
	v_mov_b32_e32 v8, 7
	s_mov_b32 s19, exec_lo
	v_and_b32_sdwa v9, v7, v8 dst_sel:DWORD dst_unused:UNUSED_PAD src0_sel:BYTE_3 src1_sel:DWORD
	v_lshrrev_b32_e32 v8, 3, v11
	v_cmpx_gt_u32_e32 8, v11
; %bb.2317:                             ;   in Loop: Header=BB241_1574 Depth=1
	v_ffbh_u32_e32 v8, v9
	v_min_u32_e32 v8, 32, v8
	v_subrev_nc_u32_e32 v11, 28, v8
	v_sub_nc_u32_e32 v8, 29, v8
	v_lshlrev_b64 v[23:24], v11, v[9:10]
	v_and_b32_e32 v9, 7, v23
; %bb.2318:                             ;   in Loop: Header=BB241_1574 Depth=1
	s_or_b32 exec_lo, exec_lo, s19
	v_mov_b32_e32 v11, 24
	v_lshlrev_b32_e32 v9, 20, v9
	v_lshl_add_u32 v8, v8, 23, 0x3c000000
	v_mov_b32_e32 v23, v10
	v_lshlrev_b32_sdwa v7, v11, v7 dst_sel:DWORD dst_unused:UNUSED_PAD src0_sel:DWORD src1_sel:BYTE_3
	v_and_b32_e32 v7, 0x80000000, v7
	v_or3_b32 v24, v9, v7, v8
.LBB241_2319:                           ;   in Loop: Header=BB241_1574 Depth=1
	s_or_b32 exec_lo, exec_lo, s18
.LBB241_2320:                           ;   in Loop: Header=BB241_1574 Depth=1
	s_or_b32 exec_lo, exec_lo, s17
.LBB241_2321:                           ;   in Loop: Header=BB241_1574 Depth=1
	s_or_b32 exec_lo, exec_lo, s15
	v_or_b32_e32 v4, v21, v4
	v_or_b32_e32 v7, v23, v25
	;; [unrolled: 1-line block ×4, first 2 shown]
	v_mul_f32_e32 v4, v63, v4
	v_mul_f32_e32 v5, v63, v5
	buffer_store_dword v4, off, s[0:3], s32 offset:916 ; 4-byte Folded Spill
	v_mul_f32_e32 v4, v63, v7
	buffer_store_dword v5, off, s[0:3], s32 offset:924 ; 4-byte Folded Spill
	buffer_store_dword v4, off, s[0:3], s32 offset:908 ; 4-byte Folded Spill
	v_mul_f32_e32 v4, v63, v8
	buffer_store_dword v4, off, s[0:3], s32 offset:900 ; 4-byte Folded Spill
	s_and_saveexec_b32 s15, vcc_lo
	s_cbranch_execz .LBB241_2323
; %bb.2322:                             ;   in Loop: Header=BB241_1574 Depth=1
	s_clause 0x1
	buffer_load_dword v4, off, s[0:3], s32 offset:208
	buffer_load_dword v5, off, s[0:3], s32 offset:916
	s_waitcnt vmcnt(1)
	v_cmp_lt_i32_e64 s4, v62, v4
	s_waitcnt vmcnt(0)
	v_cndmask_b32_e64 v5, 0, v5, s4
	v_cmp_lt_i32_e64 s4, v78, v4
	buffer_store_dword v5, off, s[0:3], s32 offset:916 ; 4-byte Folded Spill
	buffer_load_dword v5, off, s[0:3], s32 offset:924 ; 4-byte Folded Reload
	s_waitcnt vmcnt(0)
	v_cndmask_b32_e64 v5, 0, v5, s4
	v_cmp_lt_i32_e64 s4, v77, v4
	buffer_store_dword v5, off, s[0:3], s32 offset:924 ; 4-byte Folded Spill
	buffer_load_dword v5, off, s[0:3], s32 offset:908 ; 4-byte Folded Reload
	s_waitcnt vmcnt(0)
	v_cndmask_b32_e64 v5, 0, v5, s4
	v_cmp_lt_i32_e64 s4, v76, v4
	buffer_load_dword v4, off, s[0:3], s32 offset:900 ; 4-byte Folded Reload
	buffer_store_dword v5, off, s[0:3], s32 offset:908 ; 4-byte Folded Spill
	s_waitcnt vmcnt(0)
	v_cndmask_b32_e64 v4, 0, v4, s4
	buffer_store_dword v4, off, s[0:3], s32 offset:900 ; 4-byte Folded Spill
.LBB241_2323:                           ;   in Loop: Header=BB241_1574 Depth=1
	s_or_b32 exec_lo, exec_lo, s15
	flat_load_dword v7, v[19:20] offset:768
	v_mov_b32_e32 v21, 0
	v_mov_b32_e32 v4, 0
	;; [unrolled: 1-line block ×4, first 2 shown]
	s_waitcnt vmcnt(0) lgkmcnt(0)
	v_cmp_ne_u16_sdwa s4, v7, v10 src0_sel:BYTE_0 src1_sel:DWORD
	s_and_saveexec_b32 s15, s4
	s_cbranch_execz .LBB241_2331
; %bb.2324:                             ;   in Loop: Header=BB241_1574 Depth=1
	v_bfrev_b32_e32 v4, 1
	v_mov_b32_e32 v5, 0
	v_cmp_ne_u16_sdwa s4, v7, v41 src0_sel:BYTE_0 src1_sel:DWORD
	s_and_saveexec_b32 s17, s4
	s_cbranch_execz .LBB241_2330
; %bb.2325:                             ;   in Loop: Header=BB241_1574 Depth=1
	v_mov_b32_e32 v4, 0x7f800001
	v_and_b32_e32 v8, 0x7f, v7
	v_mov_b32_e32 v5, 0
	s_mov_b32 s18, exec_lo
	v_cmpx_ne_u32_e32 0x7f, v8
	s_cbranch_execz .LBB241_2329
; %bb.2326:                             ;   in Loop: Header=BB241_1574 Depth=1
	v_and_b32_e32 v9, 7, v7
	v_lshrrev_b32_e32 v4, 3, v8
	s_mov_b32 s19, exec_lo
	v_cmpx_gt_u32_e32 8, v8
; %bb.2327:                             ;   in Loop: Header=BB241_1574 Depth=1
	v_ffbh_u32_e32 v4, v9
	v_min_u32_e32 v4, 32, v4
	v_subrev_nc_u32_e32 v5, 28, v4
	v_sub_nc_u32_e32 v4, 29, v4
	v_lshlrev_b64 v[8:9], v5, v[9:10]
	v_and_b32_e32 v9, 7, v8
; %bb.2328:                             ;   in Loop: Header=BB241_1574 Depth=1
	s_or_b32 exec_lo, exec_lo, s19
	v_lshlrev_b32_e32 v5, 24, v7
	v_lshlrev_b32_e32 v8, 20, v9
	v_lshl_add_u32 v4, v4, 23, 0x3c000000
	v_and_b32_e32 v5, 0x80000000, v5
	v_or3_b32 v9, v8, v5, v4
	v_mov_b32_e32 v4, v9
	v_mov_b32_e32 v5, v10
.LBB241_2329:                           ;   in Loop: Header=BB241_1574 Depth=1
	s_or_b32 exec_lo, exec_lo, s18
.LBB241_2330:                           ;   in Loop: Header=BB241_1574 Depth=1
	s_or_b32 exec_lo, exec_lo, s17
.LBB241_2331:                           ;   in Loop: Header=BB241_1574 Depth=1
	s_or_b32 exec_lo, exec_lo, s15
	v_cmp_ne_u16_sdwa s4, v7, v10 src0_sel:BYTE_1 src1_sel:DWORD
	s_and_saveexec_b32 s15, s4
	s_cbranch_execz .LBB241_2339
; %bb.2332:                             ;   in Loop: Header=BB241_1574 Depth=1
	v_mov_b32_e32 v11, v10
	v_mov_b32_e32 v22, v12
	v_cmp_ne_u16_sdwa s4, v7, v41 src0_sel:BYTE_1 src1_sel:DWORD
	v_mov_b32_e32 v21, v11
	s_and_saveexec_b32 s17, s4
	s_cbranch_execz .LBB241_2338
; %bb.2333:                             ;   in Loop: Header=BB241_1574 Depth=1
	v_and_b32_sdwa v8, v36, v7 dst_sel:DWORD dst_unused:UNUSED_PAD src0_sel:DWORD src1_sel:BYTE_1
	v_mov_b32_e32 v13, v10
	v_mov_b32_e32 v22, v14
	s_mov_b32 s18, exec_lo
	v_and_b32_e32 v11, 0x7f, v8
	v_mov_b32_e32 v21, v13
	v_cmpx_ne_u32_e32 0x7f, v11
	s_cbranch_execz .LBB241_2337
; %bb.2334:                             ;   in Loop: Header=BB241_1574 Depth=1
	v_and_b32_e32 v9, 7, v8
	v_lshrrev_b32_e32 v8, 3, v11
	s_mov_b32 s19, exec_lo
	v_cmpx_gt_u32_e32 8, v11
; %bb.2335:                             ;   in Loop: Header=BB241_1574 Depth=1
	v_ffbh_u32_e32 v8, v9
	v_min_u32_e32 v8, 32, v8
	v_subrev_nc_u32_e32 v11, 28, v8
	v_sub_nc_u32_e32 v8, 29, v8
	v_lshlrev_b64 v[21:22], v11, v[9:10]
	v_and_b32_e32 v9, 7, v21
; %bb.2336:                             ;   in Loop: Header=BB241_1574 Depth=1
	s_or_b32 exec_lo, exec_lo, s19
	v_lshlrev_b32_e32 v11, 16, v7
	v_lshlrev_b32_e32 v9, 20, v9
	v_lshl_add_u32 v8, v8, 23, 0x3c000000
	v_mov_b32_e32 v21, v10
	v_and_b32_e32 v11, 0x80000000, v11
	v_or3_b32 v22, v9, v11, v8
.LBB241_2337:                           ;   in Loop: Header=BB241_1574 Depth=1
	s_or_b32 exec_lo, exec_lo, s18
.LBB241_2338:                           ;   in Loop: Header=BB241_1574 Depth=1
	s_or_b32 exec_lo, exec_lo, s17
.LBB241_2339:                           ;   in Loop: Header=BB241_1574 Depth=1
	s_or_b32 exec_lo, exec_lo, s15
	v_mov_b32_e32 v23, 0
	v_mov_b32_e32 v25, 0
	v_and_b32_sdwa v8, v7, v43 dst_sel:DWORD dst_unused:UNUSED_PAD src0_sel:WORD_1 src1_sel:DWORD
	v_mov_b32_e32 v24, 0
	v_mov_b32_e32 v26, 0
	s_mov_b32 s15, exec_lo
	v_cmpx_ne_u16_e32 0, v8
	s_cbranch_execz .LBB241_2347
; %bb.2340:                             ;   in Loop: Header=BB241_1574 Depth=1
	v_bfrev_b32_e32 v25, 1
	v_mov_b32_e32 v26, 0
	s_mov_b32 s17, exec_lo
	v_cmpx_ne_u16_e32 0x80, v8
	s_cbranch_execz .LBB241_2346
; %bb.2341:                             ;   in Loop: Header=BB241_1574 Depth=1
	v_mov_b32_e32 v25, 0x7f800001
	v_bfe_u32 v11, v7, 16, 7
	v_mov_b32_e32 v26, 0
	s_mov_b32 s18, exec_lo
	v_cmpx_ne_u32_e32 0x7f, v11
	s_cbranch_execz .LBB241_2345
; %bb.2342:                             ;   in Loop: Header=BB241_1574 Depth=1
	v_mov_b32_e32 v8, 7
	s_mov_b32 s19, exec_lo
	v_and_b32_sdwa v9, v7, v8 dst_sel:DWORD dst_unused:UNUSED_PAD src0_sel:WORD_1 src1_sel:DWORD
	v_lshrrev_b32_e32 v8, 3, v11
	v_cmpx_gt_u32_e32 8, v11
; %bb.2343:                             ;   in Loop: Header=BB241_1574 Depth=1
	v_ffbh_u32_e32 v8, v9
	v_min_u32_e32 v8, 32, v8
	v_subrev_nc_u32_e32 v11, 28, v8
	v_sub_nc_u32_e32 v8, 29, v8
	v_lshlrev_b64 v[25:26], v11, v[9:10]
	v_and_b32_e32 v9, 7, v25
; %bb.2344:                             ;   in Loop: Header=BB241_1574 Depth=1
	s_or_b32 exec_lo, exec_lo, s19
	v_mov_b32_e32 v11, 24
	v_lshlrev_b32_e32 v9, 20, v9
	v_lshl_add_u32 v8, v8, 23, 0x3c000000
	v_lshlrev_b32_sdwa v11, v11, v7 dst_sel:DWORD dst_unused:UNUSED_PAD src0_sel:DWORD src1_sel:WORD_1
	v_and_b32_e32 v11, 0x80000000, v11
	v_or3_b32 v9, v9, v11, v8
	v_mov_b32_e32 v26, v10
	v_mov_b32_e32 v25, v9
.LBB241_2345:                           ;   in Loop: Header=BB241_1574 Depth=1
	s_or_b32 exec_lo, exec_lo, s18
.LBB241_2346:                           ;   in Loop: Header=BB241_1574 Depth=1
	s_or_b32 exec_lo, exec_lo, s17
.LBB241_2347:                           ;   in Loop: Header=BB241_1574 Depth=1
	s_or_b32 exec_lo, exec_lo, s15
	s_mov_b32 s15, exec_lo
	v_cmpx_lt_u32_e32 0xffffff, v7
	s_cbranch_execz .LBB241_2355
; %bb.2348:                             ;   in Loop: Header=BB241_1574 Depth=1
	v_mov_b32_e32 v11, v10
	v_mov_b32_e32 v24, v12
	v_cmp_ne_u32_sdwa s4, v7, v41 src0_sel:BYTE_3 src1_sel:DWORD
	v_mov_b32_e32 v23, v11
	s_and_saveexec_b32 s17, s4
	s_cbranch_execz .LBB241_2354
; %bb.2349:                             ;   in Loop: Header=BB241_1574 Depth=1
	v_mov_b32_e32 v13, v10
	v_mov_b32_e32 v24, v14
	v_bfe_u32 v11, v7, 24, 7
	s_mov_b32 s18, exec_lo
	v_mov_b32_e32 v23, v13
	v_cmpx_ne_u32_e32 0x7f, v11
	s_cbranch_execz .LBB241_2353
; %bb.2350:                             ;   in Loop: Header=BB241_1574 Depth=1
	v_mov_b32_e32 v8, 7
	s_mov_b32 s19, exec_lo
	v_and_b32_sdwa v9, v7, v8 dst_sel:DWORD dst_unused:UNUSED_PAD src0_sel:BYTE_3 src1_sel:DWORD
	v_lshrrev_b32_e32 v8, 3, v11
	v_cmpx_gt_u32_e32 8, v11
; %bb.2351:                             ;   in Loop: Header=BB241_1574 Depth=1
	v_ffbh_u32_e32 v8, v9
	v_min_u32_e32 v8, 32, v8
	v_subrev_nc_u32_e32 v11, 28, v8
	v_sub_nc_u32_e32 v8, 29, v8
	v_lshlrev_b64 v[23:24], v11, v[9:10]
	v_and_b32_e32 v9, 7, v23
; %bb.2352:                             ;   in Loop: Header=BB241_1574 Depth=1
	s_or_b32 exec_lo, exec_lo, s19
	v_mov_b32_e32 v11, 24
	v_lshlrev_b32_e32 v9, 20, v9
	v_lshl_add_u32 v8, v8, 23, 0x3c000000
	v_mov_b32_e32 v23, v10
	v_lshlrev_b32_sdwa v7, v11, v7 dst_sel:DWORD dst_unused:UNUSED_PAD src0_sel:DWORD src1_sel:BYTE_3
	v_and_b32_e32 v7, 0x80000000, v7
	v_or3_b32 v24, v9, v7, v8
.LBB241_2353:                           ;   in Loop: Header=BB241_1574 Depth=1
	s_or_b32 exec_lo, exec_lo, s18
.LBB241_2354:                           ;   in Loop: Header=BB241_1574 Depth=1
	s_or_b32 exec_lo, exec_lo, s17
.LBB241_2355:                           ;   in Loop: Header=BB241_1574 Depth=1
	s_or_b32 exec_lo, exec_lo, s15
	v_or_b32_e32 v4, v21, v4
	v_or_b32_e32 v7, v23, v25
	;; [unrolled: 1-line block ×4, first 2 shown]
	v_mul_f32_e32 v4, v63, v4
	v_mul_f32_e32 v5, v63, v5
	buffer_store_dword v4, off, s[0:3], s32 offset:948 ; 4-byte Folded Spill
	v_mul_f32_e32 v4, v63, v7
	buffer_store_dword v5, off, s[0:3], s32 offset:956 ; 4-byte Folded Spill
	buffer_store_dword v4, off, s[0:3], s32 offset:940 ; 4-byte Folded Spill
	v_mul_f32_e32 v4, v63, v8
	buffer_store_dword v4, off, s[0:3], s32 offset:932 ; 4-byte Folded Spill
	s_and_saveexec_b32 s15, vcc_lo
	s_cbranch_execz .LBB241_2357
; %bb.2356:                             ;   in Loop: Header=BB241_1574 Depth=1
	s_clause 0x1
	buffer_load_dword v4, off, s[0:3], s32 offset:208
	buffer_load_dword v5, off, s[0:3], s32 offset:948
	s_waitcnt vmcnt(1)
	v_cmp_lt_i32_e64 s4, v62, v4
	s_waitcnt vmcnt(0)
	v_cndmask_b32_e64 v5, 0, v5, s4
	v_cmp_lt_i32_e64 s4, v78, v4
	buffer_store_dword v5, off, s[0:3], s32 offset:948 ; 4-byte Folded Spill
	buffer_load_dword v5, off, s[0:3], s32 offset:956 ; 4-byte Folded Reload
	s_waitcnt vmcnt(0)
	v_cndmask_b32_e64 v5, 0, v5, s4
	v_cmp_lt_i32_e64 s4, v77, v4
	buffer_store_dword v5, off, s[0:3], s32 offset:956 ; 4-byte Folded Spill
	buffer_load_dword v5, off, s[0:3], s32 offset:940 ; 4-byte Folded Reload
	s_waitcnt vmcnt(0)
	v_cndmask_b32_e64 v5, 0, v5, s4
	v_cmp_lt_i32_e64 s4, v76, v4
	buffer_load_dword v4, off, s[0:3], s32 offset:932 ; 4-byte Folded Reload
	buffer_store_dword v5, off, s[0:3], s32 offset:940 ; 4-byte Folded Spill
	s_waitcnt vmcnt(0)
	v_cndmask_b32_e64 v4, 0, v4, s4
	buffer_store_dword v4, off, s[0:3], s32 offset:932 ; 4-byte Folded Spill
.LBB241_2357:                           ;   in Loop: Header=BB241_1574 Depth=1
	s_or_b32 exec_lo, exec_lo, s15
	flat_load_dword v7, v[19:20] offset:896
	v_mov_b32_e32 v21, 0
	v_mov_b32_e32 v4, 0
	;; [unrolled: 1-line block ×4, first 2 shown]
	s_waitcnt vmcnt(0) lgkmcnt(0)
	v_cmp_ne_u16_sdwa s4, v7, v10 src0_sel:BYTE_0 src1_sel:DWORD
	s_and_saveexec_b32 s15, s4
	s_cbranch_execz .LBB241_2365
; %bb.2358:                             ;   in Loop: Header=BB241_1574 Depth=1
	v_bfrev_b32_e32 v4, 1
	v_mov_b32_e32 v5, 0
	v_cmp_ne_u16_sdwa s4, v7, v41 src0_sel:BYTE_0 src1_sel:DWORD
	s_and_saveexec_b32 s17, s4
	s_cbranch_execz .LBB241_2364
; %bb.2359:                             ;   in Loop: Header=BB241_1574 Depth=1
	v_mov_b32_e32 v4, 0x7f800001
	v_and_b32_e32 v8, 0x7f, v7
	v_mov_b32_e32 v5, 0
	s_mov_b32 s18, exec_lo
	v_cmpx_ne_u32_e32 0x7f, v8
	s_cbranch_execz .LBB241_2363
; %bb.2360:                             ;   in Loop: Header=BB241_1574 Depth=1
	v_and_b32_e32 v9, 7, v7
	v_lshrrev_b32_e32 v4, 3, v8
	s_mov_b32 s19, exec_lo
	v_cmpx_gt_u32_e32 8, v8
; %bb.2361:                             ;   in Loop: Header=BB241_1574 Depth=1
	v_ffbh_u32_e32 v4, v9
	v_min_u32_e32 v4, 32, v4
	v_subrev_nc_u32_e32 v5, 28, v4
	v_sub_nc_u32_e32 v4, 29, v4
	v_lshlrev_b64 v[8:9], v5, v[9:10]
	v_and_b32_e32 v9, 7, v8
; %bb.2362:                             ;   in Loop: Header=BB241_1574 Depth=1
	s_or_b32 exec_lo, exec_lo, s19
	v_lshlrev_b32_e32 v5, 24, v7
	v_lshlrev_b32_e32 v8, 20, v9
	v_lshl_add_u32 v4, v4, 23, 0x3c000000
	v_and_b32_e32 v5, 0x80000000, v5
	v_or3_b32 v9, v8, v5, v4
	v_mov_b32_e32 v4, v9
	v_mov_b32_e32 v5, v10
.LBB241_2363:                           ;   in Loop: Header=BB241_1574 Depth=1
	s_or_b32 exec_lo, exec_lo, s18
.LBB241_2364:                           ;   in Loop: Header=BB241_1574 Depth=1
	s_or_b32 exec_lo, exec_lo, s17
.LBB241_2365:                           ;   in Loop: Header=BB241_1574 Depth=1
	s_or_b32 exec_lo, exec_lo, s15
	v_cmp_ne_u16_sdwa s4, v7, v10 src0_sel:BYTE_1 src1_sel:DWORD
	s_and_saveexec_b32 s15, s4
	s_cbranch_execz .LBB241_2373
; %bb.2366:                             ;   in Loop: Header=BB241_1574 Depth=1
	v_mov_b32_e32 v11, v10
	v_mov_b32_e32 v22, v12
	v_cmp_ne_u16_sdwa s4, v7, v41 src0_sel:BYTE_1 src1_sel:DWORD
	v_mov_b32_e32 v21, v11
	s_and_saveexec_b32 s17, s4
	s_cbranch_execz .LBB241_2372
; %bb.2367:                             ;   in Loop: Header=BB241_1574 Depth=1
	v_and_b32_sdwa v8, v36, v7 dst_sel:DWORD dst_unused:UNUSED_PAD src0_sel:DWORD src1_sel:BYTE_1
	v_mov_b32_e32 v13, v10
	v_mov_b32_e32 v22, v14
	s_mov_b32 s18, exec_lo
	v_and_b32_e32 v11, 0x7f, v8
	v_mov_b32_e32 v21, v13
	v_cmpx_ne_u32_e32 0x7f, v11
	s_cbranch_execz .LBB241_2371
; %bb.2368:                             ;   in Loop: Header=BB241_1574 Depth=1
	v_and_b32_e32 v9, 7, v8
	v_lshrrev_b32_e32 v8, 3, v11
	s_mov_b32 s19, exec_lo
	v_cmpx_gt_u32_e32 8, v11
; %bb.2369:                             ;   in Loop: Header=BB241_1574 Depth=1
	v_ffbh_u32_e32 v8, v9
	v_min_u32_e32 v8, 32, v8
	v_subrev_nc_u32_e32 v11, 28, v8
	v_sub_nc_u32_e32 v8, 29, v8
	v_lshlrev_b64 v[21:22], v11, v[9:10]
	v_and_b32_e32 v9, 7, v21
; %bb.2370:                             ;   in Loop: Header=BB241_1574 Depth=1
	s_or_b32 exec_lo, exec_lo, s19
	v_lshlrev_b32_e32 v11, 16, v7
	v_lshlrev_b32_e32 v9, 20, v9
	v_lshl_add_u32 v8, v8, 23, 0x3c000000
	v_mov_b32_e32 v21, v10
	v_and_b32_e32 v11, 0x80000000, v11
	v_or3_b32 v22, v9, v11, v8
.LBB241_2371:                           ;   in Loop: Header=BB241_1574 Depth=1
	s_or_b32 exec_lo, exec_lo, s18
.LBB241_2372:                           ;   in Loop: Header=BB241_1574 Depth=1
	s_or_b32 exec_lo, exec_lo, s17
.LBB241_2373:                           ;   in Loop: Header=BB241_1574 Depth=1
	s_or_b32 exec_lo, exec_lo, s15
	v_mov_b32_e32 v23, 0
	v_mov_b32_e32 v25, 0
	v_and_b32_sdwa v8, v7, v43 dst_sel:DWORD dst_unused:UNUSED_PAD src0_sel:WORD_1 src1_sel:DWORD
	v_mov_b32_e32 v24, 0
	v_mov_b32_e32 v26, 0
	s_mov_b32 s15, exec_lo
	v_cmpx_ne_u16_e32 0, v8
	s_cbranch_execz .LBB241_2381
; %bb.2374:                             ;   in Loop: Header=BB241_1574 Depth=1
	v_bfrev_b32_e32 v25, 1
	v_mov_b32_e32 v26, 0
	s_mov_b32 s17, exec_lo
	v_cmpx_ne_u16_e32 0x80, v8
	s_cbranch_execz .LBB241_2380
; %bb.2375:                             ;   in Loop: Header=BB241_1574 Depth=1
	v_mov_b32_e32 v25, 0x7f800001
	v_bfe_u32 v11, v7, 16, 7
	v_mov_b32_e32 v26, 0
	s_mov_b32 s18, exec_lo
	v_cmpx_ne_u32_e32 0x7f, v11
	s_cbranch_execz .LBB241_2379
; %bb.2376:                             ;   in Loop: Header=BB241_1574 Depth=1
	v_mov_b32_e32 v8, 7
	s_mov_b32 s19, exec_lo
	v_and_b32_sdwa v9, v7, v8 dst_sel:DWORD dst_unused:UNUSED_PAD src0_sel:WORD_1 src1_sel:DWORD
	v_lshrrev_b32_e32 v8, 3, v11
	v_cmpx_gt_u32_e32 8, v11
; %bb.2377:                             ;   in Loop: Header=BB241_1574 Depth=1
	v_ffbh_u32_e32 v8, v9
	v_min_u32_e32 v8, 32, v8
	v_subrev_nc_u32_e32 v11, 28, v8
	v_sub_nc_u32_e32 v8, 29, v8
	v_lshlrev_b64 v[25:26], v11, v[9:10]
	v_and_b32_e32 v9, 7, v25
; %bb.2378:                             ;   in Loop: Header=BB241_1574 Depth=1
	s_or_b32 exec_lo, exec_lo, s19
	v_mov_b32_e32 v11, 24
	v_lshlrev_b32_e32 v9, 20, v9
	v_lshl_add_u32 v8, v8, 23, 0x3c000000
	v_lshlrev_b32_sdwa v11, v11, v7 dst_sel:DWORD dst_unused:UNUSED_PAD src0_sel:DWORD src1_sel:WORD_1
	v_and_b32_e32 v11, 0x80000000, v11
	v_or3_b32 v9, v9, v11, v8
	v_mov_b32_e32 v26, v10
	v_mov_b32_e32 v25, v9
.LBB241_2379:                           ;   in Loop: Header=BB241_1574 Depth=1
	s_or_b32 exec_lo, exec_lo, s18
.LBB241_2380:                           ;   in Loop: Header=BB241_1574 Depth=1
	s_or_b32 exec_lo, exec_lo, s17
.LBB241_2381:                           ;   in Loop: Header=BB241_1574 Depth=1
	s_or_b32 exec_lo, exec_lo, s15
	s_mov_b32 s15, exec_lo
	v_cmpx_lt_u32_e32 0xffffff, v7
	s_cbranch_execz .LBB241_2389
; %bb.2382:                             ;   in Loop: Header=BB241_1574 Depth=1
	v_mov_b32_e32 v11, v10
	v_mov_b32_e32 v24, v12
	v_cmp_ne_u32_sdwa s4, v7, v41 src0_sel:BYTE_3 src1_sel:DWORD
	v_mov_b32_e32 v23, v11
	s_and_saveexec_b32 s17, s4
	s_cbranch_execz .LBB241_2388
; %bb.2383:                             ;   in Loop: Header=BB241_1574 Depth=1
	v_mov_b32_e32 v13, v10
	v_mov_b32_e32 v24, v14
	v_bfe_u32 v11, v7, 24, 7
	s_mov_b32 s18, exec_lo
	v_mov_b32_e32 v23, v13
	v_cmpx_ne_u32_e32 0x7f, v11
	s_cbranch_execz .LBB241_2387
; %bb.2384:                             ;   in Loop: Header=BB241_1574 Depth=1
	v_mov_b32_e32 v8, 7
	s_mov_b32 s19, exec_lo
	v_and_b32_sdwa v9, v7, v8 dst_sel:DWORD dst_unused:UNUSED_PAD src0_sel:BYTE_3 src1_sel:DWORD
	v_lshrrev_b32_e32 v8, 3, v11
	v_cmpx_gt_u32_e32 8, v11
; %bb.2385:                             ;   in Loop: Header=BB241_1574 Depth=1
	v_ffbh_u32_e32 v8, v9
	v_min_u32_e32 v8, 32, v8
	v_subrev_nc_u32_e32 v11, 28, v8
	v_sub_nc_u32_e32 v8, 29, v8
	v_lshlrev_b64 v[23:24], v11, v[9:10]
	v_and_b32_e32 v9, 7, v23
; %bb.2386:                             ;   in Loop: Header=BB241_1574 Depth=1
	s_or_b32 exec_lo, exec_lo, s19
	v_mov_b32_e32 v11, 24
	v_lshlrev_b32_e32 v9, 20, v9
	v_lshl_add_u32 v8, v8, 23, 0x3c000000
	v_mov_b32_e32 v23, v10
	v_lshlrev_b32_sdwa v7, v11, v7 dst_sel:DWORD dst_unused:UNUSED_PAD src0_sel:DWORD src1_sel:BYTE_3
	v_and_b32_e32 v7, 0x80000000, v7
	v_or3_b32 v24, v9, v7, v8
.LBB241_2387:                           ;   in Loop: Header=BB241_1574 Depth=1
	s_or_b32 exec_lo, exec_lo, s18
.LBB241_2388:                           ;   in Loop: Header=BB241_1574 Depth=1
	s_or_b32 exec_lo, exec_lo, s17
.LBB241_2389:                           ;   in Loop: Header=BB241_1574 Depth=1
	s_or_b32 exec_lo, exec_lo, s15
	v_or_b32_e32 v5, v22, v5
	v_or_b32_e32 v4, v21, v4
	v_or_b32_e32 v7, v23, v25
	v_or_b32_e32 v8, v24, v26
	v_mul_f32_e32 v74, v63, v5
	v_mul_f32_e32 v45, v63, v4
	;; [unrolled: 1-line block ×4, first 2 shown]
	s_and_saveexec_b32 s15, vcc_lo
	s_cbranch_execz .LBB241_2391
; %bb.2390:                             ;   in Loop: Header=BB241_1574 Depth=1
	buffer_load_dword v4, off, s[0:3], s32 offset:208 ; 4-byte Folded Reload
	s_waitcnt vmcnt(0)
	v_cmp_lt_i32_e64 s4, v62, v4
	v_cndmask_b32_e64 v45, 0, v45, s4
	v_cmp_lt_i32_e64 s4, v78, v4
	v_cndmask_b32_e64 v74, 0, v74, s4
	;; [unrolled: 2-line block ×4, first 2 shown]
.LBB241_2391:                           ;   in Loop: Header=BB241_1574 Depth=1
	s_or_b32 exec_lo, exec_lo, s15
	flat_load_dword v7, v[19:20] offset:1024
	v_mov_b32_e32 v21, 0
	v_mov_b32_e32 v4, 0
	;; [unrolled: 1-line block ×4, first 2 shown]
	s_waitcnt vmcnt(0) lgkmcnt(0)
	v_cmp_ne_u16_sdwa s4, v7, v10 src0_sel:BYTE_0 src1_sel:DWORD
	s_and_saveexec_b32 s15, s4
	s_cbranch_execz .LBB241_2399
; %bb.2392:                             ;   in Loop: Header=BB241_1574 Depth=1
	v_bfrev_b32_e32 v4, 1
	v_mov_b32_e32 v5, 0
	v_cmp_ne_u16_sdwa s4, v7, v41 src0_sel:BYTE_0 src1_sel:DWORD
	s_and_saveexec_b32 s17, s4
	s_cbranch_execz .LBB241_2398
; %bb.2393:                             ;   in Loop: Header=BB241_1574 Depth=1
	v_mov_b32_e32 v4, 0x7f800001
	v_and_b32_e32 v8, 0x7f, v7
	v_mov_b32_e32 v5, 0
	s_mov_b32 s18, exec_lo
	v_cmpx_ne_u32_e32 0x7f, v8
	s_cbranch_execz .LBB241_2397
; %bb.2394:                             ;   in Loop: Header=BB241_1574 Depth=1
	v_and_b32_e32 v9, 7, v7
	v_lshrrev_b32_e32 v4, 3, v8
	s_mov_b32 s19, exec_lo
	v_cmpx_gt_u32_e32 8, v8
; %bb.2395:                             ;   in Loop: Header=BB241_1574 Depth=1
	v_ffbh_u32_e32 v4, v9
	v_min_u32_e32 v4, 32, v4
	v_subrev_nc_u32_e32 v5, 28, v4
	v_sub_nc_u32_e32 v4, 29, v4
	v_lshlrev_b64 v[8:9], v5, v[9:10]
	v_and_b32_e32 v9, 7, v8
; %bb.2396:                             ;   in Loop: Header=BB241_1574 Depth=1
	s_or_b32 exec_lo, exec_lo, s19
	v_lshlrev_b32_e32 v5, 24, v7
	v_lshlrev_b32_e32 v8, 20, v9
	v_lshl_add_u32 v4, v4, 23, 0x3c000000
	v_and_b32_e32 v5, 0x80000000, v5
	v_or3_b32 v9, v8, v5, v4
	v_mov_b32_e32 v4, v9
	v_mov_b32_e32 v5, v10
.LBB241_2397:                           ;   in Loop: Header=BB241_1574 Depth=1
	s_or_b32 exec_lo, exec_lo, s18
.LBB241_2398:                           ;   in Loop: Header=BB241_1574 Depth=1
	s_or_b32 exec_lo, exec_lo, s17
.LBB241_2399:                           ;   in Loop: Header=BB241_1574 Depth=1
	s_or_b32 exec_lo, exec_lo, s15
	v_cmp_ne_u16_sdwa s4, v7, v10 src0_sel:BYTE_1 src1_sel:DWORD
	s_and_saveexec_b32 s15, s4
	s_cbranch_execz .LBB241_2407
; %bb.2400:                             ;   in Loop: Header=BB241_1574 Depth=1
	v_mov_b32_e32 v11, v10
	v_mov_b32_e32 v22, v12
	v_cmp_ne_u16_sdwa s4, v7, v41 src0_sel:BYTE_1 src1_sel:DWORD
	v_mov_b32_e32 v21, v11
	s_and_saveexec_b32 s17, s4
	s_cbranch_execz .LBB241_2406
; %bb.2401:                             ;   in Loop: Header=BB241_1574 Depth=1
	v_and_b32_sdwa v8, v36, v7 dst_sel:DWORD dst_unused:UNUSED_PAD src0_sel:DWORD src1_sel:BYTE_1
	v_mov_b32_e32 v13, v10
	v_mov_b32_e32 v22, v14
	s_mov_b32 s18, exec_lo
	v_and_b32_e32 v11, 0x7f, v8
	v_mov_b32_e32 v21, v13
	v_cmpx_ne_u32_e32 0x7f, v11
	s_cbranch_execz .LBB241_2405
; %bb.2402:                             ;   in Loop: Header=BB241_1574 Depth=1
	v_and_b32_e32 v9, 7, v8
	v_lshrrev_b32_e32 v8, 3, v11
	s_mov_b32 s19, exec_lo
	v_cmpx_gt_u32_e32 8, v11
; %bb.2403:                             ;   in Loop: Header=BB241_1574 Depth=1
	v_ffbh_u32_e32 v8, v9
	v_min_u32_e32 v8, 32, v8
	v_subrev_nc_u32_e32 v11, 28, v8
	v_sub_nc_u32_e32 v8, 29, v8
	v_lshlrev_b64 v[21:22], v11, v[9:10]
	v_and_b32_e32 v9, 7, v21
; %bb.2404:                             ;   in Loop: Header=BB241_1574 Depth=1
	s_or_b32 exec_lo, exec_lo, s19
	v_lshlrev_b32_e32 v11, 16, v7
	v_lshlrev_b32_e32 v9, 20, v9
	v_lshl_add_u32 v8, v8, 23, 0x3c000000
	v_mov_b32_e32 v21, v10
	v_and_b32_e32 v11, 0x80000000, v11
	v_or3_b32 v22, v9, v11, v8
.LBB241_2405:                           ;   in Loop: Header=BB241_1574 Depth=1
	s_or_b32 exec_lo, exec_lo, s18
.LBB241_2406:                           ;   in Loop: Header=BB241_1574 Depth=1
	s_or_b32 exec_lo, exec_lo, s17
.LBB241_2407:                           ;   in Loop: Header=BB241_1574 Depth=1
	s_or_b32 exec_lo, exec_lo, s15
	v_mov_b32_e32 v23, 0
	v_mov_b32_e32 v25, 0
	v_and_b32_sdwa v8, v7, v43 dst_sel:DWORD dst_unused:UNUSED_PAD src0_sel:WORD_1 src1_sel:DWORD
	v_mov_b32_e32 v24, 0
	v_mov_b32_e32 v26, 0
	s_mov_b32 s15, exec_lo
	v_cmpx_ne_u16_e32 0, v8
	s_cbranch_execz .LBB241_2415
; %bb.2408:                             ;   in Loop: Header=BB241_1574 Depth=1
	v_bfrev_b32_e32 v25, 1
	v_mov_b32_e32 v26, 0
	s_mov_b32 s17, exec_lo
	v_cmpx_ne_u16_e32 0x80, v8
	s_cbranch_execz .LBB241_2414
; %bb.2409:                             ;   in Loop: Header=BB241_1574 Depth=1
	v_mov_b32_e32 v25, 0x7f800001
	v_bfe_u32 v11, v7, 16, 7
	v_mov_b32_e32 v26, 0
	s_mov_b32 s18, exec_lo
	v_cmpx_ne_u32_e32 0x7f, v11
	s_cbranch_execz .LBB241_2413
; %bb.2410:                             ;   in Loop: Header=BB241_1574 Depth=1
	v_mov_b32_e32 v8, 7
	s_mov_b32 s19, exec_lo
	v_and_b32_sdwa v9, v7, v8 dst_sel:DWORD dst_unused:UNUSED_PAD src0_sel:WORD_1 src1_sel:DWORD
	v_lshrrev_b32_e32 v8, 3, v11
	v_cmpx_gt_u32_e32 8, v11
; %bb.2411:                             ;   in Loop: Header=BB241_1574 Depth=1
	v_ffbh_u32_e32 v8, v9
	v_min_u32_e32 v8, 32, v8
	v_subrev_nc_u32_e32 v11, 28, v8
	v_sub_nc_u32_e32 v8, 29, v8
	v_lshlrev_b64 v[25:26], v11, v[9:10]
	v_and_b32_e32 v9, 7, v25
; %bb.2412:                             ;   in Loop: Header=BB241_1574 Depth=1
	s_or_b32 exec_lo, exec_lo, s19
	v_mov_b32_e32 v11, 24
	v_lshlrev_b32_e32 v9, 20, v9
	v_lshl_add_u32 v8, v8, 23, 0x3c000000
	v_lshlrev_b32_sdwa v11, v11, v7 dst_sel:DWORD dst_unused:UNUSED_PAD src0_sel:DWORD src1_sel:WORD_1
	v_and_b32_e32 v11, 0x80000000, v11
	v_or3_b32 v9, v9, v11, v8
	v_mov_b32_e32 v26, v10
	v_mov_b32_e32 v25, v9
.LBB241_2413:                           ;   in Loop: Header=BB241_1574 Depth=1
	s_or_b32 exec_lo, exec_lo, s18
.LBB241_2414:                           ;   in Loop: Header=BB241_1574 Depth=1
	s_or_b32 exec_lo, exec_lo, s17
.LBB241_2415:                           ;   in Loop: Header=BB241_1574 Depth=1
	s_or_b32 exec_lo, exec_lo, s15
	s_mov_b32 s15, exec_lo
	v_cmpx_lt_u32_e32 0xffffff, v7
	s_cbranch_execz .LBB241_2423
; %bb.2416:                             ;   in Loop: Header=BB241_1574 Depth=1
	v_mov_b32_e32 v11, v10
	v_mov_b32_e32 v24, v12
	v_cmp_ne_u32_sdwa s4, v7, v41 src0_sel:BYTE_3 src1_sel:DWORD
	v_mov_b32_e32 v23, v11
	s_and_saveexec_b32 s17, s4
	s_cbranch_execz .LBB241_2422
; %bb.2417:                             ;   in Loop: Header=BB241_1574 Depth=1
	v_mov_b32_e32 v13, v10
	v_mov_b32_e32 v24, v14
	v_bfe_u32 v11, v7, 24, 7
	s_mov_b32 s18, exec_lo
	v_mov_b32_e32 v23, v13
	v_cmpx_ne_u32_e32 0x7f, v11
	s_cbranch_execz .LBB241_2421
; %bb.2418:                             ;   in Loop: Header=BB241_1574 Depth=1
	v_mov_b32_e32 v8, 7
	s_mov_b32 s19, exec_lo
	v_and_b32_sdwa v9, v7, v8 dst_sel:DWORD dst_unused:UNUSED_PAD src0_sel:BYTE_3 src1_sel:DWORD
	v_lshrrev_b32_e32 v8, 3, v11
	v_cmpx_gt_u32_e32 8, v11
; %bb.2419:                             ;   in Loop: Header=BB241_1574 Depth=1
	v_ffbh_u32_e32 v8, v9
	v_min_u32_e32 v8, 32, v8
	v_subrev_nc_u32_e32 v11, 28, v8
	v_sub_nc_u32_e32 v8, 29, v8
	v_lshlrev_b64 v[23:24], v11, v[9:10]
	v_and_b32_e32 v9, 7, v23
; %bb.2420:                             ;   in Loop: Header=BB241_1574 Depth=1
	s_or_b32 exec_lo, exec_lo, s19
	v_mov_b32_e32 v11, 24
	v_lshlrev_b32_e32 v9, 20, v9
	v_lshl_add_u32 v8, v8, 23, 0x3c000000
	v_mov_b32_e32 v23, v10
	v_lshlrev_b32_sdwa v7, v11, v7 dst_sel:DWORD dst_unused:UNUSED_PAD src0_sel:DWORD src1_sel:BYTE_3
	v_and_b32_e32 v7, 0x80000000, v7
	v_or3_b32 v24, v9, v7, v8
.LBB241_2421:                           ;   in Loop: Header=BB241_1574 Depth=1
	s_or_b32 exec_lo, exec_lo, s18
.LBB241_2422:                           ;   in Loop: Header=BB241_1574 Depth=1
	s_or_b32 exec_lo, exec_lo, s17
.LBB241_2423:                           ;   in Loop: Header=BB241_1574 Depth=1
	s_or_b32 exec_lo, exec_lo, s15
	v_or_b32_e32 v5, v22, v5
	v_or_b32_e32 v4, v21, v4
	v_or_b32_e32 v7, v23, v25
	v_or_b32_e32 v8, v24, v26
	v_mul_f32_e32 v89, v63, v5
	v_mul_f32_e32 v88, v63, v4
	;; [unrolled: 1-line block ×4, first 2 shown]
	s_and_saveexec_b32 s15, vcc_lo
	s_cbranch_execz .LBB241_2425
; %bb.2424:                             ;   in Loop: Header=BB241_1574 Depth=1
	buffer_load_dword v4, off, s[0:3], s32 offset:208 ; 4-byte Folded Reload
	s_waitcnt vmcnt(0)
	v_cmp_lt_i32_e64 s4, v62, v4
	v_cndmask_b32_e64 v88, 0, v88, s4
	v_cmp_lt_i32_e64 s4, v78, v4
	v_cndmask_b32_e64 v89, 0, v89, s4
	;; [unrolled: 2-line block ×4, first 2 shown]
.LBB241_2425:                           ;   in Loop: Header=BB241_1574 Depth=1
	s_or_b32 exec_lo, exec_lo, s15
	flat_load_dword v7, v[19:20] offset:1152
	v_mov_b32_e32 v21, 0
	v_mov_b32_e32 v4, 0
	;; [unrolled: 1-line block ×4, first 2 shown]
	s_waitcnt vmcnt(0) lgkmcnt(0)
	v_cmp_ne_u16_sdwa s4, v7, v10 src0_sel:BYTE_0 src1_sel:DWORD
	s_and_saveexec_b32 s15, s4
	s_cbranch_execz .LBB241_2433
; %bb.2426:                             ;   in Loop: Header=BB241_1574 Depth=1
	v_bfrev_b32_e32 v4, 1
	v_mov_b32_e32 v5, 0
	v_cmp_ne_u16_sdwa s4, v7, v41 src0_sel:BYTE_0 src1_sel:DWORD
	s_and_saveexec_b32 s17, s4
	s_cbranch_execz .LBB241_2432
; %bb.2427:                             ;   in Loop: Header=BB241_1574 Depth=1
	v_mov_b32_e32 v4, 0x7f800001
	v_and_b32_e32 v8, 0x7f, v7
	v_mov_b32_e32 v5, 0
	s_mov_b32 s18, exec_lo
	v_cmpx_ne_u32_e32 0x7f, v8
	s_cbranch_execz .LBB241_2431
; %bb.2428:                             ;   in Loop: Header=BB241_1574 Depth=1
	v_and_b32_e32 v9, 7, v7
	v_lshrrev_b32_e32 v4, 3, v8
	s_mov_b32 s19, exec_lo
	v_cmpx_gt_u32_e32 8, v8
; %bb.2429:                             ;   in Loop: Header=BB241_1574 Depth=1
	v_ffbh_u32_e32 v4, v9
	v_min_u32_e32 v4, 32, v4
	v_subrev_nc_u32_e32 v5, 28, v4
	v_sub_nc_u32_e32 v4, 29, v4
	v_lshlrev_b64 v[8:9], v5, v[9:10]
	v_and_b32_e32 v9, 7, v8
; %bb.2430:                             ;   in Loop: Header=BB241_1574 Depth=1
	s_or_b32 exec_lo, exec_lo, s19
	v_lshlrev_b32_e32 v5, 24, v7
	v_lshlrev_b32_e32 v8, 20, v9
	v_lshl_add_u32 v4, v4, 23, 0x3c000000
	v_and_b32_e32 v5, 0x80000000, v5
	v_or3_b32 v9, v8, v5, v4
	v_mov_b32_e32 v4, v9
	v_mov_b32_e32 v5, v10
.LBB241_2431:                           ;   in Loop: Header=BB241_1574 Depth=1
	s_or_b32 exec_lo, exec_lo, s18
.LBB241_2432:                           ;   in Loop: Header=BB241_1574 Depth=1
	s_or_b32 exec_lo, exec_lo, s17
.LBB241_2433:                           ;   in Loop: Header=BB241_1574 Depth=1
	s_or_b32 exec_lo, exec_lo, s15
	v_cmp_ne_u16_sdwa s4, v7, v10 src0_sel:BYTE_1 src1_sel:DWORD
	s_and_saveexec_b32 s15, s4
	s_cbranch_execz .LBB241_2441
; %bb.2434:                             ;   in Loop: Header=BB241_1574 Depth=1
	v_mov_b32_e32 v11, v10
	v_mov_b32_e32 v22, v12
	v_cmp_ne_u16_sdwa s4, v7, v41 src0_sel:BYTE_1 src1_sel:DWORD
	v_mov_b32_e32 v21, v11
	s_and_saveexec_b32 s17, s4
	s_cbranch_execz .LBB241_2440
; %bb.2435:                             ;   in Loop: Header=BB241_1574 Depth=1
	v_and_b32_sdwa v8, v36, v7 dst_sel:DWORD dst_unused:UNUSED_PAD src0_sel:DWORD src1_sel:BYTE_1
	v_mov_b32_e32 v13, v10
	v_mov_b32_e32 v22, v14
	s_mov_b32 s18, exec_lo
	v_and_b32_e32 v11, 0x7f, v8
	v_mov_b32_e32 v21, v13
	v_cmpx_ne_u32_e32 0x7f, v11
	s_cbranch_execz .LBB241_2439
; %bb.2436:                             ;   in Loop: Header=BB241_1574 Depth=1
	v_and_b32_e32 v9, 7, v8
	v_lshrrev_b32_e32 v8, 3, v11
	s_mov_b32 s19, exec_lo
	v_cmpx_gt_u32_e32 8, v11
; %bb.2437:                             ;   in Loop: Header=BB241_1574 Depth=1
	v_ffbh_u32_e32 v8, v9
	v_min_u32_e32 v8, 32, v8
	v_subrev_nc_u32_e32 v11, 28, v8
	v_sub_nc_u32_e32 v8, 29, v8
	v_lshlrev_b64 v[21:22], v11, v[9:10]
	v_and_b32_e32 v9, 7, v21
; %bb.2438:                             ;   in Loop: Header=BB241_1574 Depth=1
	s_or_b32 exec_lo, exec_lo, s19
	v_lshlrev_b32_e32 v11, 16, v7
	v_lshlrev_b32_e32 v9, 20, v9
	v_lshl_add_u32 v8, v8, 23, 0x3c000000
	v_mov_b32_e32 v21, v10
	v_and_b32_e32 v11, 0x80000000, v11
	v_or3_b32 v22, v9, v11, v8
.LBB241_2439:                           ;   in Loop: Header=BB241_1574 Depth=1
	s_or_b32 exec_lo, exec_lo, s18
.LBB241_2440:                           ;   in Loop: Header=BB241_1574 Depth=1
	s_or_b32 exec_lo, exec_lo, s17
.LBB241_2441:                           ;   in Loop: Header=BB241_1574 Depth=1
	s_or_b32 exec_lo, exec_lo, s15
	v_mov_b32_e32 v23, 0
	v_mov_b32_e32 v25, 0
	v_and_b32_sdwa v8, v7, v43 dst_sel:DWORD dst_unused:UNUSED_PAD src0_sel:WORD_1 src1_sel:DWORD
	v_mov_b32_e32 v24, 0
	v_mov_b32_e32 v26, 0
	s_mov_b32 s15, exec_lo
	v_cmpx_ne_u16_e32 0, v8
	s_cbranch_execz .LBB241_2449
; %bb.2442:                             ;   in Loop: Header=BB241_1574 Depth=1
	v_bfrev_b32_e32 v25, 1
	v_mov_b32_e32 v26, 0
	s_mov_b32 s17, exec_lo
	v_cmpx_ne_u16_e32 0x80, v8
	s_cbranch_execz .LBB241_2448
; %bb.2443:                             ;   in Loop: Header=BB241_1574 Depth=1
	v_mov_b32_e32 v25, 0x7f800001
	v_bfe_u32 v11, v7, 16, 7
	v_mov_b32_e32 v26, 0
	s_mov_b32 s18, exec_lo
	v_cmpx_ne_u32_e32 0x7f, v11
	s_cbranch_execz .LBB241_2447
; %bb.2444:                             ;   in Loop: Header=BB241_1574 Depth=1
	v_mov_b32_e32 v8, 7
	s_mov_b32 s19, exec_lo
	v_and_b32_sdwa v9, v7, v8 dst_sel:DWORD dst_unused:UNUSED_PAD src0_sel:WORD_1 src1_sel:DWORD
	v_lshrrev_b32_e32 v8, 3, v11
	v_cmpx_gt_u32_e32 8, v11
; %bb.2445:                             ;   in Loop: Header=BB241_1574 Depth=1
	v_ffbh_u32_e32 v8, v9
	v_min_u32_e32 v8, 32, v8
	v_subrev_nc_u32_e32 v11, 28, v8
	v_sub_nc_u32_e32 v8, 29, v8
	v_lshlrev_b64 v[25:26], v11, v[9:10]
	v_and_b32_e32 v9, 7, v25
; %bb.2446:                             ;   in Loop: Header=BB241_1574 Depth=1
	s_or_b32 exec_lo, exec_lo, s19
	v_mov_b32_e32 v11, 24
	v_lshlrev_b32_e32 v9, 20, v9
	v_lshl_add_u32 v8, v8, 23, 0x3c000000
	v_lshlrev_b32_sdwa v11, v11, v7 dst_sel:DWORD dst_unused:UNUSED_PAD src0_sel:DWORD src1_sel:WORD_1
	v_and_b32_e32 v11, 0x80000000, v11
	v_or3_b32 v9, v9, v11, v8
	v_mov_b32_e32 v26, v10
	v_mov_b32_e32 v25, v9
.LBB241_2447:                           ;   in Loop: Header=BB241_1574 Depth=1
	s_or_b32 exec_lo, exec_lo, s18
.LBB241_2448:                           ;   in Loop: Header=BB241_1574 Depth=1
	s_or_b32 exec_lo, exec_lo, s17
.LBB241_2449:                           ;   in Loop: Header=BB241_1574 Depth=1
	s_or_b32 exec_lo, exec_lo, s15
	s_mov_b32 s15, exec_lo
	v_cmpx_lt_u32_e32 0xffffff, v7
	s_cbranch_execz .LBB241_2457
; %bb.2450:                             ;   in Loop: Header=BB241_1574 Depth=1
	v_mov_b32_e32 v11, v10
	v_mov_b32_e32 v24, v12
	v_cmp_ne_u32_sdwa s4, v7, v41 src0_sel:BYTE_3 src1_sel:DWORD
	v_mov_b32_e32 v23, v11
	s_and_saveexec_b32 s17, s4
	s_cbranch_execz .LBB241_2456
; %bb.2451:                             ;   in Loop: Header=BB241_1574 Depth=1
	v_mov_b32_e32 v13, v10
	v_mov_b32_e32 v24, v14
	v_bfe_u32 v11, v7, 24, 7
	s_mov_b32 s18, exec_lo
	v_mov_b32_e32 v23, v13
	v_cmpx_ne_u32_e32 0x7f, v11
	s_cbranch_execz .LBB241_2455
; %bb.2452:                             ;   in Loop: Header=BB241_1574 Depth=1
	v_mov_b32_e32 v8, 7
	s_mov_b32 s19, exec_lo
	v_and_b32_sdwa v9, v7, v8 dst_sel:DWORD dst_unused:UNUSED_PAD src0_sel:BYTE_3 src1_sel:DWORD
	v_lshrrev_b32_e32 v8, 3, v11
	v_cmpx_gt_u32_e32 8, v11
; %bb.2453:                             ;   in Loop: Header=BB241_1574 Depth=1
	v_ffbh_u32_e32 v8, v9
	v_min_u32_e32 v8, 32, v8
	v_subrev_nc_u32_e32 v11, 28, v8
	v_sub_nc_u32_e32 v8, 29, v8
	v_lshlrev_b64 v[23:24], v11, v[9:10]
	v_and_b32_e32 v9, 7, v23
; %bb.2454:                             ;   in Loop: Header=BB241_1574 Depth=1
	s_or_b32 exec_lo, exec_lo, s19
	v_mov_b32_e32 v11, 24
	v_lshlrev_b32_e32 v9, 20, v9
	v_lshl_add_u32 v8, v8, 23, 0x3c000000
	v_mov_b32_e32 v23, v10
	v_lshlrev_b32_sdwa v7, v11, v7 dst_sel:DWORD dst_unused:UNUSED_PAD src0_sel:DWORD src1_sel:BYTE_3
	v_and_b32_e32 v7, 0x80000000, v7
	v_or3_b32 v24, v9, v7, v8
.LBB241_2455:                           ;   in Loop: Header=BB241_1574 Depth=1
	s_or_b32 exec_lo, exec_lo, s18
.LBB241_2456:                           ;   in Loop: Header=BB241_1574 Depth=1
	s_or_b32 exec_lo, exec_lo, s17
.LBB241_2457:                           ;   in Loop: Header=BB241_1574 Depth=1
	s_or_b32 exec_lo, exec_lo, s15
	v_or_b32_e32 v5, v22, v5
	v_or_b32_e32 v4, v21, v4
	;; [unrolled: 1-line block ×4, first 2 shown]
	v_mul_f32_e32 v93, v63, v5
	v_mul_f32_e32 v92, v63, v4
	;; [unrolled: 1-line block ×4, first 2 shown]
	s_and_saveexec_b32 s15, vcc_lo
	s_cbranch_execz .LBB241_2459
; %bb.2458:                             ;   in Loop: Header=BB241_1574 Depth=1
	buffer_load_dword v4, off, s[0:3], s32 offset:208 ; 4-byte Folded Reload
	s_waitcnt vmcnt(0)
	v_cmp_lt_i32_e64 s4, v62, v4
	v_cndmask_b32_e64 v92, 0, v92, s4
	v_cmp_lt_i32_e64 s4, v78, v4
	v_cndmask_b32_e64 v93, 0, v93, s4
	;; [unrolled: 2-line block ×4, first 2 shown]
.LBB241_2459:                           ;   in Loop: Header=BB241_1574 Depth=1
	s_or_b32 exec_lo, exec_lo, s15
	flat_load_dword v7, v[19:20] offset:1280
	v_mov_b32_e32 v21, 0
	v_mov_b32_e32 v4, 0
	;; [unrolled: 1-line block ×4, first 2 shown]
	s_waitcnt vmcnt(0) lgkmcnt(0)
	v_cmp_ne_u16_sdwa s4, v7, v10 src0_sel:BYTE_0 src1_sel:DWORD
	s_and_saveexec_b32 s15, s4
	s_cbranch_execz .LBB241_2467
; %bb.2460:                             ;   in Loop: Header=BB241_1574 Depth=1
	v_bfrev_b32_e32 v4, 1
	v_mov_b32_e32 v5, 0
	v_cmp_ne_u16_sdwa s4, v7, v41 src0_sel:BYTE_0 src1_sel:DWORD
	s_and_saveexec_b32 s17, s4
	s_cbranch_execz .LBB241_2466
; %bb.2461:                             ;   in Loop: Header=BB241_1574 Depth=1
	v_mov_b32_e32 v4, 0x7f800001
	v_and_b32_e32 v8, 0x7f, v7
	v_mov_b32_e32 v5, 0
	s_mov_b32 s18, exec_lo
	v_cmpx_ne_u32_e32 0x7f, v8
	s_cbranch_execz .LBB241_2465
; %bb.2462:                             ;   in Loop: Header=BB241_1574 Depth=1
	v_and_b32_e32 v9, 7, v7
	v_lshrrev_b32_e32 v4, 3, v8
	s_mov_b32 s19, exec_lo
	v_cmpx_gt_u32_e32 8, v8
; %bb.2463:                             ;   in Loop: Header=BB241_1574 Depth=1
	v_ffbh_u32_e32 v4, v9
	v_min_u32_e32 v4, 32, v4
	v_subrev_nc_u32_e32 v5, 28, v4
	v_sub_nc_u32_e32 v4, 29, v4
	v_lshlrev_b64 v[8:9], v5, v[9:10]
	v_and_b32_e32 v9, 7, v8
; %bb.2464:                             ;   in Loop: Header=BB241_1574 Depth=1
	s_or_b32 exec_lo, exec_lo, s19
	v_lshlrev_b32_e32 v5, 24, v7
	v_lshlrev_b32_e32 v8, 20, v9
	v_lshl_add_u32 v4, v4, 23, 0x3c000000
	v_and_b32_e32 v5, 0x80000000, v5
	v_or3_b32 v9, v8, v5, v4
	v_mov_b32_e32 v4, v9
	v_mov_b32_e32 v5, v10
.LBB241_2465:                           ;   in Loop: Header=BB241_1574 Depth=1
	s_or_b32 exec_lo, exec_lo, s18
.LBB241_2466:                           ;   in Loop: Header=BB241_1574 Depth=1
	s_or_b32 exec_lo, exec_lo, s17
.LBB241_2467:                           ;   in Loop: Header=BB241_1574 Depth=1
	s_or_b32 exec_lo, exec_lo, s15
	v_cmp_ne_u16_sdwa s4, v7, v10 src0_sel:BYTE_1 src1_sel:DWORD
	s_and_saveexec_b32 s15, s4
	s_cbranch_execz .LBB241_2475
; %bb.2468:                             ;   in Loop: Header=BB241_1574 Depth=1
	v_mov_b32_e32 v11, v10
	v_mov_b32_e32 v22, v12
	v_cmp_ne_u16_sdwa s4, v7, v41 src0_sel:BYTE_1 src1_sel:DWORD
	v_mov_b32_e32 v21, v11
	s_and_saveexec_b32 s17, s4
	s_cbranch_execz .LBB241_2474
; %bb.2469:                             ;   in Loop: Header=BB241_1574 Depth=1
	v_and_b32_sdwa v8, v36, v7 dst_sel:DWORD dst_unused:UNUSED_PAD src0_sel:DWORD src1_sel:BYTE_1
	v_mov_b32_e32 v13, v10
	v_mov_b32_e32 v22, v14
	s_mov_b32 s18, exec_lo
	v_and_b32_e32 v11, 0x7f, v8
	v_mov_b32_e32 v21, v13
	v_cmpx_ne_u32_e32 0x7f, v11
	s_cbranch_execz .LBB241_2473
; %bb.2470:                             ;   in Loop: Header=BB241_1574 Depth=1
	v_and_b32_e32 v9, 7, v8
	v_lshrrev_b32_e32 v8, 3, v11
	s_mov_b32 s19, exec_lo
	v_cmpx_gt_u32_e32 8, v11
; %bb.2471:                             ;   in Loop: Header=BB241_1574 Depth=1
	v_ffbh_u32_e32 v8, v9
	v_min_u32_e32 v8, 32, v8
	v_subrev_nc_u32_e32 v11, 28, v8
	v_sub_nc_u32_e32 v8, 29, v8
	v_lshlrev_b64 v[21:22], v11, v[9:10]
	v_and_b32_e32 v9, 7, v21
; %bb.2472:                             ;   in Loop: Header=BB241_1574 Depth=1
	s_or_b32 exec_lo, exec_lo, s19
	v_lshlrev_b32_e32 v11, 16, v7
	v_lshlrev_b32_e32 v9, 20, v9
	v_lshl_add_u32 v8, v8, 23, 0x3c000000
	v_mov_b32_e32 v21, v10
	v_and_b32_e32 v11, 0x80000000, v11
	v_or3_b32 v22, v9, v11, v8
.LBB241_2473:                           ;   in Loop: Header=BB241_1574 Depth=1
	s_or_b32 exec_lo, exec_lo, s18
.LBB241_2474:                           ;   in Loop: Header=BB241_1574 Depth=1
	s_or_b32 exec_lo, exec_lo, s17
.LBB241_2475:                           ;   in Loop: Header=BB241_1574 Depth=1
	s_or_b32 exec_lo, exec_lo, s15
	v_mov_b32_e32 v23, 0
	v_mov_b32_e32 v25, 0
	v_and_b32_sdwa v8, v7, v43 dst_sel:DWORD dst_unused:UNUSED_PAD src0_sel:WORD_1 src1_sel:DWORD
	v_mov_b32_e32 v24, 0
	v_mov_b32_e32 v26, 0
	s_mov_b32 s15, exec_lo
	v_cmpx_ne_u16_e32 0, v8
	s_cbranch_execz .LBB241_2483
; %bb.2476:                             ;   in Loop: Header=BB241_1574 Depth=1
	v_bfrev_b32_e32 v25, 1
	v_mov_b32_e32 v26, 0
	s_mov_b32 s17, exec_lo
	v_cmpx_ne_u16_e32 0x80, v8
	s_cbranch_execz .LBB241_2482
; %bb.2477:                             ;   in Loop: Header=BB241_1574 Depth=1
	v_mov_b32_e32 v25, 0x7f800001
	v_bfe_u32 v11, v7, 16, 7
	v_mov_b32_e32 v26, 0
	s_mov_b32 s18, exec_lo
	v_cmpx_ne_u32_e32 0x7f, v11
	s_cbranch_execz .LBB241_2481
; %bb.2478:                             ;   in Loop: Header=BB241_1574 Depth=1
	v_mov_b32_e32 v8, 7
	s_mov_b32 s19, exec_lo
	v_and_b32_sdwa v9, v7, v8 dst_sel:DWORD dst_unused:UNUSED_PAD src0_sel:WORD_1 src1_sel:DWORD
	v_lshrrev_b32_e32 v8, 3, v11
	v_cmpx_gt_u32_e32 8, v11
; %bb.2479:                             ;   in Loop: Header=BB241_1574 Depth=1
	v_ffbh_u32_e32 v8, v9
	v_min_u32_e32 v8, 32, v8
	v_subrev_nc_u32_e32 v11, 28, v8
	v_sub_nc_u32_e32 v8, 29, v8
	v_lshlrev_b64 v[25:26], v11, v[9:10]
	v_and_b32_e32 v9, 7, v25
; %bb.2480:                             ;   in Loop: Header=BB241_1574 Depth=1
	s_or_b32 exec_lo, exec_lo, s19
	v_mov_b32_e32 v11, 24
	v_lshlrev_b32_e32 v9, 20, v9
	v_lshl_add_u32 v8, v8, 23, 0x3c000000
	v_lshlrev_b32_sdwa v11, v11, v7 dst_sel:DWORD dst_unused:UNUSED_PAD src0_sel:DWORD src1_sel:WORD_1
	v_and_b32_e32 v11, 0x80000000, v11
	v_or3_b32 v9, v9, v11, v8
	v_mov_b32_e32 v26, v10
	v_mov_b32_e32 v25, v9
.LBB241_2481:                           ;   in Loop: Header=BB241_1574 Depth=1
	s_or_b32 exec_lo, exec_lo, s18
.LBB241_2482:                           ;   in Loop: Header=BB241_1574 Depth=1
	s_or_b32 exec_lo, exec_lo, s17
.LBB241_2483:                           ;   in Loop: Header=BB241_1574 Depth=1
	s_or_b32 exec_lo, exec_lo, s15
	s_mov_b32 s15, exec_lo
	v_cmpx_lt_u32_e32 0xffffff, v7
	s_cbranch_execz .LBB241_2491
; %bb.2484:                             ;   in Loop: Header=BB241_1574 Depth=1
	v_mov_b32_e32 v11, v10
	v_mov_b32_e32 v24, v12
	v_cmp_ne_u32_sdwa s4, v7, v41 src0_sel:BYTE_3 src1_sel:DWORD
	v_mov_b32_e32 v23, v11
	s_and_saveexec_b32 s17, s4
	s_cbranch_execz .LBB241_2490
; %bb.2485:                             ;   in Loop: Header=BB241_1574 Depth=1
	v_mov_b32_e32 v13, v10
	v_mov_b32_e32 v24, v14
	v_bfe_u32 v11, v7, 24, 7
	s_mov_b32 s18, exec_lo
	v_mov_b32_e32 v23, v13
	v_cmpx_ne_u32_e32 0x7f, v11
	s_cbranch_execz .LBB241_2489
; %bb.2486:                             ;   in Loop: Header=BB241_1574 Depth=1
	v_mov_b32_e32 v8, 7
	s_mov_b32 s19, exec_lo
	v_and_b32_sdwa v9, v7, v8 dst_sel:DWORD dst_unused:UNUSED_PAD src0_sel:BYTE_3 src1_sel:DWORD
	v_lshrrev_b32_e32 v8, 3, v11
	v_cmpx_gt_u32_e32 8, v11
; %bb.2487:                             ;   in Loop: Header=BB241_1574 Depth=1
	v_ffbh_u32_e32 v8, v9
	v_min_u32_e32 v8, 32, v8
	v_subrev_nc_u32_e32 v11, 28, v8
	v_sub_nc_u32_e32 v8, 29, v8
	v_lshlrev_b64 v[23:24], v11, v[9:10]
	v_and_b32_e32 v9, 7, v23
; %bb.2488:                             ;   in Loop: Header=BB241_1574 Depth=1
	s_or_b32 exec_lo, exec_lo, s19
	v_mov_b32_e32 v11, 24
	v_lshlrev_b32_e32 v9, 20, v9
	v_lshl_add_u32 v8, v8, 23, 0x3c000000
	v_mov_b32_e32 v23, v10
	v_lshlrev_b32_sdwa v7, v11, v7 dst_sel:DWORD dst_unused:UNUSED_PAD src0_sel:DWORD src1_sel:BYTE_3
	v_and_b32_e32 v7, 0x80000000, v7
	v_or3_b32 v24, v9, v7, v8
.LBB241_2489:                           ;   in Loop: Header=BB241_1574 Depth=1
	s_or_b32 exec_lo, exec_lo, s18
.LBB241_2490:                           ;   in Loop: Header=BB241_1574 Depth=1
	s_or_b32 exec_lo, exec_lo, s17
.LBB241_2491:                           ;   in Loop: Header=BB241_1574 Depth=1
	s_or_b32 exec_lo, exec_lo, s15
	v_or_b32_e32 v5, v22, v5
	v_or_b32_e32 v4, v21, v4
	;; [unrolled: 1-line block ×4, first 2 shown]
	v_mul_f32_e32 v106, v63, v5
	v_mul_f32_e32 v105, v63, v4
	;; [unrolled: 1-line block ×4, first 2 shown]
	s_and_saveexec_b32 s15, vcc_lo
	s_cbranch_execz .LBB241_2493
; %bb.2492:                             ;   in Loop: Header=BB241_1574 Depth=1
	buffer_load_dword v4, off, s[0:3], s32 offset:208 ; 4-byte Folded Reload
	s_waitcnt vmcnt(0)
	v_cmp_lt_i32_e64 s4, v62, v4
	v_cndmask_b32_e64 v105, 0, v105, s4
	v_cmp_lt_i32_e64 s4, v78, v4
	v_cndmask_b32_e64 v106, 0, v106, s4
	;; [unrolled: 2-line block ×4, first 2 shown]
.LBB241_2493:                           ;   in Loop: Header=BB241_1574 Depth=1
	s_or_b32 exec_lo, exec_lo, s15
	flat_load_dword v7, v[19:20] offset:1408
	v_mov_b32_e32 v21, 0
	v_mov_b32_e32 v4, 0
	;; [unrolled: 1-line block ×4, first 2 shown]
	s_waitcnt vmcnt(0) lgkmcnt(0)
	v_cmp_ne_u16_sdwa s4, v7, v10 src0_sel:BYTE_0 src1_sel:DWORD
	s_and_saveexec_b32 s15, s4
	s_cbranch_execz .LBB241_2501
; %bb.2494:                             ;   in Loop: Header=BB241_1574 Depth=1
	v_bfrev_b32_e32 v4, 1
	v_mov_b32_e32 v5, 0
	v_cmp_ne_u16_sdwa s4, v7, v41 src0_sel:BYTE_0 src1_sel:DWORD
	s_and_saveexec_b32 s17, s4
	s_cbranch_execz .LBB241_2500
; %bb.2495:                             ;   in Loop: Header=BB241_1574 Depth=1
	v_mov_b32_e32 v4, 0x7f800001
	v_and_b32_e32 v8, 0x7f, v7
	v_mov_b32_e32 v5, 0
	s_mov_b32 s18, exec_lo
	v_cmpx_ne_u32_e32 0x7f, v8
	s_cbranch_execz .LBB241_2499
; %bb.2496:                             ;   in Loop: Header=BB241_1574 Depth=1
	v_and_b32_e32 v9, 7, v7
	v_lshrrev_b32_e32 v4, 3, v8
	s_mov_b32 s19, exec_lo
	v_cmpx_gt_u32_e32 8, v8
; %bb.2497:                             ;   in Loop: Header=BB241_1574 Depth=1
	v_ffbh_u32_e32 v4, v9
	v_min_u32_e32 v4, 32, v4
	v_subrev_nc_u32_e32 v5, 28, v4
	v_sub_nc_u32_e32 v4, 29, v4
	v_lshlrev_b64 v[8:9], v5, v[9:10]
	v_and_b32_e32 v9, 7, v8
; %bb.2498:                             ;   in Loop: Header=BB241_1574 Depth=1
	s_or_b32 exec_lo, exec_lo, s19
	v_lshlrev_b32_e32 v5, 24, v7
	v_lshlrev_b32_e32 v8, 20, v9
	v_lshl_add_u32 v4, v4, 23, 0x3c000000
	v_and_b32_e32 v5, 0x80000000, v5
	v_or3_b32 v9, v8, v5, v4
	v_mov_b32_e32 v4, v9
	v_mov_b32_e32 v5, v10
.LBB241_2499:                           ;   in Loop: Header=BB241_1574 Depth=1
	s_or_b32 exec_lo, exec_lo, s18
.LBB241_2500:                           ;   in Loop: Header=BB241_1574 Depth=1
	s_or_b32 exec_lo, exec_lo, s17
.LBB241_2501:                           ;   in Loop: Header=BB241_1574 Depth=1
	s_or_b32 exec_lo, exec_lo, s15
	v_cmp_ne_u16_sdwa s4, v7, v10 src0_sel:BYTE_1 src1_sel:DWORD
	s_and_saveexec_b32 s15, s4
	s_cbranch_execz .LBB241_2509
; %bb.2502:                             ;   in Loop: Header=BB241_1574 Depth=1
	v_mov_b32_e32 v11, v10
	v_mov_b32_e32 v22, v12
	v_cmp_ne_u16_sdwa s4, v7, v41 src0_sel:BYTE_1 src1_sel:DWORD
	v_mov_b32_e32 v21, v11
	s_and_saveexec_b32 s17, s4
	s_cbranch_execz .LBB241_2508
; %bb.2503:                             ;   in Loop: Header=BB241_1574 Depth=1
	v_and_b32_sdwa v8, v36, v7 dst_sel:DWORD dst_unused:UNUSED_PAD src0_sel:DWORD src1_sel:BYTE_1
	v_mov_b32_e32 v13, v10
	v_mov_b32_e32 v22, v14
	s_mov_b32 s18, exec_lo
	v_and_b32_e32 v11, 0x7f, v8
	v_mov_b32_e32 v21, v13
	v_cmpx_ne_u32_e32 0x7f, v11
	s_cbranch_execz .LBB241_2507
; %bb.2504:                             ;   in Loop: Header=BB241_1574 Depth=1
	v_and_b32_e32 v9, 7, v8
	v_lshrrev_b32_e32 v8, 3, v11
	s_mov_b32 s19, exec_lo
	v_cmpx_gt_u32_e32 8, v11
; %bb.2505:                             ;   in Loop: Header=BB241_1574 Depth=1
	v_ffbh_u32_e32 v8, v9
	v_min_u32_e32 v8, 32, v8
	v_subrev_nc_u32_e32 v11, 28, v8
	v_sub_nc_u32_e32 v8, 29, v8
	v_lshlrev_b64 v[21:22], v11, v[9:10]
	v_and_b32_e32 v9, 7, v21
; %bb.2506:                             ;   in Loop: Header=BB241_1574 Depth=1
	s_or_b32 exec_lo, exec_lo, s19
	v_lshlrev_b32_e32 v11, 16, v7
	v_lshlrev_b32_e32 v9, 20, v9
	v_lshl_add_u32 v8, v8, 23, 0x3c000000
	v_mov_b32_e32 v21, v10
	v_and_b32_e32 v11, 0x80000000, v11
	v_or3_b32 v22, v9, v11, v8
.LBB241_2507:                           ;   in Loop: Header=BB241_1574 Depth=1
	s_or_b32 exec_lo, exec_lo, s18
.LBB241_2508:                           ;   in Loop: Header=BB241_1574 Depth=1
	s_or_b32 exec_lo, exec_lo, s17
.LBB241_2509:                           ;   in Loop: Header=BB241_1574 Depth=1
	s_or_b32 exec_lo, exec_lo, s15
	v_mov_b32_e32 v23, 0
	v_mov_b32_e32 v25, 0
	v_and_b32_sdwa v8, v7, v43 dst_sel:DWORD dst_unused:UNUSED_PAD src0_sel:WORD_1 src1_sel:DWORD
	v_mov_b32_e32 v24, 0
	v_mov_b32_e32 v26, 0
	s_mov_b32 s15, exec_lo
	v_cmpx_ne_u16_e32 0, v8
	s_cbranch_execz .LBB241_2517
; %bb.2510:                             ;   in Loop: Header=BB241_1574 Depth=1
	v_bfrev_b32_e32 v25, 1
	v_mov_b32_e32 v26, 0
	s_mov_b32 s17, exec_lo
	v_cmpx_ne_u16_e32 0x80, v8
	s_cbranch_execz .LBB241_2516
; %bb.2511:                             ;   in Loop: Header=BB241_1574 Depth=1
	v_mov_b32_e32 v25, 0x7f800001
	v_bfe_u32 v11, v7, 16, 7
	v_mov_b32_e32 v26, 0
	s_mov_b32 s18, exec_lo
	v_cmpx_ne_u32_e32 0x7f, v11
	s_cbranch_execz .LBB241_2515
; %bb.2512:                             ;   in Loop: Header=BB241_1574 Depth=1
	v_mov_b32_e32 v8, 7
	s_mov_b32 s19, exec_lo
	v_and_b32_sdwa v9, v7, v8 dst_sel:DWORD dst_unused:UNUSED_PAD src0_sel:WORD_1 src1_sel:DWORD
	v_lshrrev_b32_e32 v8, 3, v11
	v_cmpx_gt_u32_e32 8, v11
; %bb.2513:                             ;   in Loop: Header=BB241_1574 Depth=1
	v_ffbh_u32_e32 v8, v9
	v_min_u32_e32 v8, 32, v8
	v_subrev_nc_u32_e32 v11, 28, v8
	v_sub_nc_u32_e32 v8, 29, v8
	v_lshlrev_b64 v[25:26], v11, v[9:10]
	v_and_b32_e32 v9, 7, v25
; %bb.2514:                             ;   in Loop: Header=BB241_1574 Depth=1
	s_or_b32 exec_lo, exec_lo, s19
	v_mov_b32_e32 v11, 24
	v_lshlrev_b32_e32 v9, 20, v9
	v_lshl_add_u32 v8, v8, 23, 0x3c000000
	v_lshlrev_b32_sdwa v11, v11, v7 dst_sel:DWORD dst_unused:UNUSED_PAD src0_sel:DWORD src1_sel:WORD_1
	v_and_b32_e32 v11, 0x80000000, v11
	v_or3_b32 v9, v9, v11, v8
	v_mov_b32_e32 v26, v10
	v_mov_b32_e32 v25, v9
.LBB241_2515:                           ;   in Loop: Header=BB241_1574 Depth=1
	s_or_b32 exec_lo, exec_lo, s18
.LBB241_2516:                           ;   in Loop: Header=BB241_1574 Depth=1
	s_or_b32 exec_lo, exec_lo, s17
.LBB241_2517:                           ;   in Loop: Header=BB241_1574 Depth=1
	s_or_b32 exec_lo, exec_lo, s15
	s_mov_b32 s15, exec_lo
	v_cmpx_lt_u32_e32 0xffffff, v7
	s_cbranch_execz .LBB241_2525
; %bb.2518:                             ;   in Loop: Header=BB241_1574 Depth=1
	v_mov_b32_e32 v11, v10
	v_mov_b32_e32 v24, v12
	v_cmp_ne_u32_sdwa s4, v7, v41 src0_sel:BYTE_3 src1_sel:DWORD
	v_mov_b32_e32 v23, v11
	s_and_saveexec_b32 s17, s4
	s_cbranch_execz .LBB241_2524
; %bb.2519:                             ;   in Loop: Header=BB241_1574 Depth=1
	v_mov_b32_e32 v13, v10
	v_mov_b32_e32 v24, v14
	v_bfe_u32 v11, v7, 24, 7
	s_mov_b32 s18, exec_lo
	v_mov_b32_e32 v23, v13
	v_cmpx_ne_u32_e32 0x7f, v11
	s_cbranch_execz .LBB241_2523
; %bb.2520:                             ;   in Loop: Header=BB241_1574 Depth=1
	v_mov_b32_e32 v8, 7
	s_mov_b32 s19, exec_lo
	v_and_b32_sdwa v9, v7, v8 dst_sel:DWORD dst_unused:UNUSED_PAD src0_sel:BYTE_3 src1_sel:DWORD
	v_lshrrev_b32_e32 v8, 3, v11
	v_cmpx_gt_u32_e32 8, v11
; %bb.2521:                             ;   in Loop: Header=BB241_1574 Depth=1
	v_ffbh_u32_e32 v8, v9
	v_min_u32_e32 v8, 32, v8
	v_subrev_nc_u32_e32 v11, 28, v8
	v_sub_nc_u32_e32 v8, 29, v8
	v_lshlrev_b64 v[23:24], v11, v[9:10]
	v_and_b32_e32 v9, 7, v23
; %bb.2522:                             ;   in Loop: Header=BB241_1574 Depth=1
	s_or_b32 exec_lo, exec_lo, s19
	v_mov_b32_e32 v11, 24
	v_lshlrev_b32_e32 v9, 20, v9
	v_lshl_add_u32 v8, v8, 23, 0x3c000000
	v_mov_b32_e32 v23, v10
	v_lshlrev_b32_sdwa v7, v11, v7 dst_sel:DWORD dst_unused:UNUSED_PAD src0_sel:DWORD src1_sel:BYTE_3
	v_and_b32_e32 v7, 0x80000000, v7
	v_or3_b32 v24, v9, v7, v8
.LBB241_2523:                           ;   in Loop: Header=BB241_1574 Depth=1
	s_or_b32 exec_lo, exec_lo, s18
.LBB241_2524:                           ;   in Loop: Header=BB241_1574 Depth=1
	s_or_b32 exec_lo, exec_lo, s17
.LBB241_2525:                           ;   in Loop: Header=BB241_1574 Depth=1
	s_or_b32 exec_lo, exec_lo, s15
	v_or_b32_e32 v5, v22, v5
	v_or_b32_e32 v4, v21, v4
	v_or_b32_e32 v7, v23, v25
	v_or_b32_e32 v8, v24, v26
	v_mul_f32_e32 v110, v63, v5
	v_mul_f32_e32 v109, v63, v4
	;; [unrolled: 1-line block ×4, first 2 shown]
	s_and_saveexec_b32 s15, vcc_lo
	s_cbranch_execz .LBB241_2527
; %bb.2526:                             ;   in Loop: Header=BB241_1574 Depth=1
	buffer_load_dword v4, off, s[0:3], s32 offset:208 ; 4-byte Folded Reload
	s_waitcnt vmcnt(0)
	v_cmp_lt_i32_e64 s4, v62, v4
	v_cndmask_b32_e64 v109, 0, v109, s4
	v_cmp_lt_i32_e64 s4, v78, v4
	v_cndmask_b32_e64 v110, 0, v110, s4
	;; [unrolled: 2-line block ×4, first 2 shown]
.LBB241_2527:                           ;   in Loop: Header=BB241_1574 Depth=1
	s_or_b32 exec_lo, exec_lo, s15
	flat_load_dword v7, v[19:20] offset:1536
	v_mov_b32_e32 v21, 0
	v_mov_b32_e32 v4, 0
	;; [unrolled: 1-line block ×4, first 2 shown]
	s_waitcnt vmcnt(0) lgkmcnt(0)
	v_cmp_ne_u16_sdwa s4, v7, v10 src0_sel:BYTE_0 src1_sel:DWORD
	s_and_saveexec_b32 s15, s4
	s_cbranch_execz .LBB241_2535
; %bb.2528:                             ;   in Loop: Header=BB241_1574 Depth=1
	v_bfrev_b32_e32 v4, 1
	v_mov_b32_e32 v5, 0
	v_cmp_ne_u16_sdwa s4, v7, v41 src0_sel:BYTE_0 src1_sel:DWORD
	s_and_saveexec_b32 s17, s4
	s_cbranch_execz .LBB241_2534
; %bb.2529:                             ;   in Loop: Header=BB241_1574 Depth=1
	v_mov_b32_e32 v4, 0x7f800001
	v_and_b32_e32 v8, 0x7f, v7
	v_mov_b32_e32 v5, 0
	s_mov_b32 s18, exec_lo
	v_cmpx_ne_u32_e32 0x7f, v8
	s_cbranch_execz .LBB241_2533
; %bb.2530:                             ;   in Loop: Header=BB241_1574 Depth=1
	v_and_b32_e32 v9, 7, v7
	v_lshrrev_b32_e32 v4, 3, v8
	s_mov_b32 s19, exec_lo
	v_cmpx_gt_u32_e32 8, v8
; %bb.2531:                             ;   in Loop: Header=BB241_1574 Depth=1
	v_ffbh_u32_e32 v4, v9
	v_min_u32_e32 v4, 32, v4
	v_subrev_nc_u32_e32 v5, 28, v4
	v_sub_nc_u32_e32 v4, 29, v4
	v_lshlrev_b64 v[8:9], v5, v[9:10]
	v_and_b32_e32 v9, 7, v8
; %bb.2532:                             ;   in Loop: Header=BB241_1574 Depth=1
	s_or_b32 exec_lo, exec_lo, s19
	v_lshlrev_b32_e32 v5, 24, v7
	v_lshlrev_b32_e32 v8, 20, v9
	v_lshl_add_u32 v4, v4, 23, 0x3c000000
	v_and_b32_e32 v5, 0x80000000, v5
	v_or3_b32 v9, v8, v5, v4
	v_mov_b32_e32 v4, v9
	v_mov_b32_e32 v5, v10
.LBB241_2533:                           ;   in Loop: Header=BB241_1574 Depth=1
	s_or_b32 exec_lo, exec_lo, s18
.LBB241_2534:                           ;   in Loop: Header=BB241_1574 Depth=1
	s_or_b32 exec_lo, exec_lo, s17
.LBB241_2535:                           ;   in Loop: Header=BB241_1574 Depth=1
	s_or_b32 exec_lo, exec_lo, s15
	v_cmp_ne_u16_sdwa s4, v7, v10 src0_sel:BYTE_1 src1_sel:DWORD
	s_and_saveexec_b32 s15, s4
	s_cbranch_execz .LBB241_2543
; %bb.2536:                             ;   in Loop: Header=BB241_1574 Depth=1
	v_mov_b32_e32 v11, v10
	v_mov_b32_e32 v22, v12
	v_cmp_ne_u16_sdwa s4, v7, v41 src0_sel:BYTE_1 src1_sel:DWORD
	v_mov_b32_e32 v21, v11
	s_and_saveexec_b32 s17, s4
	s_cbranch_execz .LBB241_2542
; %bb.2537:                             ;   in Loop: Header=BB241_1574 Depth=1
	v_and_b32_sdwa v8, v36, v7 dst_sel:DWORD dst_unused:UNUSED_PAD src0_sel:DWORD src1_sel:BYTE_1
	v_mov_b32_e32 v13, v10
	v_mov_b32_e32 v22, v14
	s_mov_b32 s18, exec_lo
	v_and_b32_e32 v11, 0x7f, v8
	v_mov_b32_e32 v21, v13
	v_cmpx_ne_u32_e32 0x7f, v11
	s_cbranch_execz .LBB241_2541
; %bb.2538:                             ;   in Loop: Header=BB241_1574 Depth=1
	v_and_b32_e32 v9, 7, v8
	v_lshrrev_b32_e32 v8, 3, v11
	s_mov_b32 s19, exec_lo
	v_cmpx_gt_u32_e32 8, v11
; %bb.2539:                             ;   in Loop: Header=BB241_1574 Depth=1
	v_ffbh_u32_e32 v8, v9
	v_min_u32_e32 v8, 32, v8
	v_subrev_nc_u32_e32 v11, 28, v8
	v_sub_nc_u32_e32 v8, 29, v8
	v_lshlrev_b64 v[21:22], v11, v[9:10]
	v_and_b32_e32 v9, 7, v21
; %bb.2540:                             ;   in Loop: Header=BB241_1574 Depth=1
	s_or_b32 exec_lo, exec_lo, s19
	v_lshlrev_b32_e32 v11, 16, v7
	v_lshlrev_b32_e32 v9, 20, v9
	v_lshl_add_u32 v8, v8, 23, 0x3c000000
	v_mov_b32_e32 v21, v10
	v_and_b32_e32 v11, 0x80000000, v11
	v_or3_b32 v22, v9, v11, v8
.LBB241_2541:                           ;   in Loop: Header=BB241_1574 Depth=1
	s_or_b32 exec_lo, exec_lo, s18
.LBB241_2542:                           ;   in Loop: Header=BB241_1574 Depth=1
	s_or_b32 exec_lo, exec_lo, s17
.LBB241_2543:                           ;   in Loop: Header=BB241_1574 Depth=1
	s_or_b32 exec_lo, exec_lo, s15
	v_mov_b32_e32 v23, 0
	v_mov_b32_e32 v25, 0
	v_and_b32_sdwa v8, v7, v43 dst_sel:DWORD dst_unused:UNUSED_PAD src0_sel:WORD_1 src1_sel:DWORD
	v_mov_b32_e32 v24, 0
	v_mov_b32_e32 v26, 0
	s_mov_b32 s15, exec_lo
	v_cmpx_ne_u16_e32 0, v8
	s_cbranch_execz .LBB241_2551
; %bb.2544:                             ;   in Loop: Header=BB241_1574 Depth=1
	v_bfrev_b32_e32 v25, 1
	v_mov_b32_e32 v26, 0
	s_mov_b32 s17, exec_lo
	v_cmpx_ne_u16_e32 0x80, v8
	s_cbranch_execz .LBB241_2550
; %bb.2545:                             ;   in Loop: Header=BB241_1574 Depth=1
	v_mov_b32_e32 v25, 0x7f800001
	v_bfe_u32 v11, v7, 16, 7
	v_mov_b32_e32 v26, 0
	s_mov_b32 s18, exec_lo
	v_cmpx_ne_u32_e32 0x7f, v11
	s_cbranch_execz .LBB241_2549
; %bb.2546:                             ;   in Loop: Header=BB241_1574 Depth=1
	v_mov_b32_e32 v8, 7
	s_mov_b32 s19, exec_lo
	v_and_b32_sdwa v9, v7, v8 dst_sel:DWORD dst_unused:UNUSED_PAD src0_sel:WORD_1 src1_sel:DWORD
	v_lshrrev_b32_e32 v8, 3, v11
	v_cmpx_gt_u32_e32 8, v11
; %bb.2547:                             ;   in Loop: Header=BB241_1574 Depth=1
	v_ffbh_u32_e32 v8, v9
	v_min_u32_e32 v8, 32, v8
	v_subrev_nc_u32_e32 v11, 28, v8
	v_sub_nc_u32_e32 v8, 29, v8
	v_lshlrev_b64 v[25:26], v11, v[9:10]
	v_and_b32_e32 v9, 7, v25
; %bb.2548:                             ;   in Loop: Header=BB241_1574 Depth=1
	s_or_b32 exec_lo, exec_lo, s19
	v_mov_b32_e32 v11, 24
	v_lshlrev_b32_e32 v9, 20, v9
	v_lshl_add_u32 v8, v8, 23, 0x3c000000
	v_lshlrev_b32_sdwa v11, v11, v7 dst_sel:DWORD dst_unused:UNUSED_PAD src0_sel:DWORD src1_sel:WORD_1
	v_and_b32_e32 v11, 0x80000000, v11
	v_or3_b32 v9, v9, v11, v8
	v_mov_b32_e32 v26, v10
	v_mov_b32_e32 v25, v9
.LBB241_2549:                           ;   in Loop: Header=BB241_1574 Depth=1
	s_or_b32 exec_lo, exec_lo, s18
.LBB241_2550:                           ;   in Loop: Header=BB241_1574 Depth=1
	s_or_b32 exec_lo, exec_lo, s17
.LBB241_2551:                           ;   in Loop: Header=BB241_1574 Depth=1
	s_or_b32 exec_lo, exec_lo, s15
	s_mov_b32 s15, exec_lo
	v_cmpx_lt_u32_e32 0xffffff, v7
	s_cbranch_execz .LBB241_2559
; %bb.2552:                             ;   in Loop: Header=BB241_1574 Depth=1
	v_mov_b32_e32 v11, v10
	v_mov_b32_e32 v24, v12
	v_cmp_ne_u32_sdwa s4, v7, v41 src0_sel:BYTE_3 src1_sel:DWORD
	v_mov_b32_e32 v23, v11
	s_and_saveexec_b32 s17, s4
	s_cbranch_execz .LBB241_2558
; %bb.2553:                             ;   in Loop: Header=BB241_1574 Depth=1
	v_mov_b32_e32 v13, v10
	v_mov_b32_e32 v24, v14
	v_bfe_u32 v11, v7, 24, 7
	s_mov_b32 s18, exec_lo
	v_mov_b32_e32 v23, v13
	v_cmpx_ne_u32_e32 0x7f, v11
	s_cbranch_execz .LBB241_2557
; %bb.2554:                             ;   in Loop: Header=BB241_1574 Depth=1
	v_mov_b32_e32 v8, 7
	s_mov_b32 s19, exec_lo
	v_and_b32_sdwa v9, v7, v8 dst_sel:DWORD dst_unused:UNUSED_PAD src0_sel:BYTE_3 src1_sel:DWORD
	v_lshrrev_b32_e32 v8, 3, v11
	v_cmpx_gt_u32_e32 8, v11
; %bb.2555:                             ;   in Loop: Header=BB241_1574 Depth=1
	v_ffbh_u32_e32 v8, v9
	v_min_u32_e32 v8, 32, v8
	v_subrev_nc_u32_e32 v11, 28, v8
	v_sub_nc_u32_e32 v8, 29, v8
	v_lshlrev_b64 v[23:24], v11, v[9:10]
	v_and_b32_e32 v9, 7, v23
; %bb.2556:                             ;   in Loop: Header=BB241_1574 Depth=1
	s_or_b32 exec_lo, exec_lo, s19
	v_mov_b32_e32 v11, 24
	v_lshlrev_b32_e32 v9, 20, v9
	v_lshl_add_u32 v8, v8, 23, 0x3c000000
	v_mov_b32_e32 v23, v10
	v_lshlrev_b32_sdwa v7, v11, v7 dst_sel:DWORD dst_unused:UNUSED_PAD src0_sel:DWORD src1_sel:BYTE_3
	v_and_b32_e32 v7, 0x80000000, v7
	v_or3_b32 v24, v9, v7, v8
.LBB241_2557:                           ;   in Loop: Header=BB241_1574 Depth=1
	s_or_b32 exec_lo, exec_lo, s18
.LBB241_2558:                           ;   in Loop: Header=BB241_1574 Depth=1
	s_or_b32 exec_lo, exec_lo, s17
.LBB241_2559:                           ;   in Loop: Header=BB241_1574 Depth=1
	s_or_b32 exec_lo, exec_lo, s15
	v_or_b32_e32 v5, v22, v5
	v_or_b32_e32 v4, v21, v4
	;; [unrolled: 1-line block ×4, first 2 shown]
	v_mul_f32_e32 v122, v63, v5
	v_mul_f32_e32 v121, v63, v4
	;; [unrolled: 1-line block ×4, first 2 shown]
	s_and_saveexec_b32 s15, vcc_lo
	s_cbranch_execz .LBB241_2561
; %bb.2560:                             ;   in Loop: Header=BB241_1574 Depth=1
	buffer_load_dword v4, off, s[0:3], s32 offset:208 ; 4-byte Folded Reload
	s_waitcnt vmcnt(0)
	v_cmp_lt_i32_e64 s4, v62, v4
	v_cndmask_b32_e64 v121, 0, v121, s4
	v_cmp_lt_i32_e64 s4, v78, v4
	v_cndmask_b32_e64 v122, 0, v122, s4
	;; [unrolled: 2-line block ×4, first 2 shown]
.LBB241_2561:                           ;   in Loop: Header=BB241_1574 Depth=1
	s_or_b32 exec_lo, exec_lo, s15
	flat_load_dword v7, v[19:20] offset:1664
	v_mov_b32_e32 v21, 0
	v_mov_b32_e32 v4, 0
	;; [unrolled: 1-line block ×4, first 2 shown]
	s_waitcnt vmcnt(0) lgkmcnt(0)
	v_cmp_ne_u16_sdwa s4, v7, v10 src0_sel:BYTE_0 src1_sel:DWORD
	s_and_saveexec_b32 s15, s4
	s_cbranch_execz .LBB241_2569
; %bb.2562:                             ;   in Loop: Header=BB241_1574 Depth=1
	v_bfrev_b32_e32 v4, 1
	v_mov_b32_e32 v5, 0
	v_cmp_ne_u16_sdwa s4, v7, v41 src0_sel:BYTE_0 src1_sel:DWORD
	s_and_saveexec_b32 s17, s4
	s_cbranch_execz .LBB241_2568
; %bb.2563:                             ;   in Loop: Header=BB241_1574 Depth=1
	v_mov_b32_e32 v4, 0x7f800001
	v_and_b32_e32 v8, 0x7f, v7
	v_mov_b32_e32 v5, 0
	s_mov_b32 s18, exec_lo
	v_cmpx_ne_u32_e32 0x7f, v8
	s_cbranch_execz .LBB241_2567
; %bb.2564:                             ;   in Loop: Header=BB241_1574 Depth=1
	v_and_b32_e32 v9, 7, v7
	v_lshrrev_b32_e32 v4, 3, v8
	s_mov_b32 s19, exec_lo
	v_cmpx_gt_u32_e32 8, v8
; %bb.2565:                             ;   in Loop: Header=BB241_1574 Depth=1
	v_ffbh_u32_e32 v4, v9
	v_min_u32_e32 v4, 32, v4
	v_subrev_nc_u32_e32 v5, 28, v4
	v_sub_nc_u32_e32 v4, 29, v4
	v_lshlrev_b64 v[8:9], v5, v[9:10]
	v_and_b32_e32 v9, 7, v8
; %bb.2566:                             ;   in Loop: Header=BB241_1574 Depth=1
	s_or_b32 exec_lo, exec_lo, s19
	v_lshlrev_b32_e32 v5, 24, v7
	v_lshlrev_b32_e32 v8, 20, v9
	v_lshl_add_u32 v4, v4, 23, 0x3c000000
	v_and_b32_e32 v5, 0x80000000, v5
	v_or3_b32 v9, v8, v5, v4
	v_mov_b32_e32 v4, v9
	v_mov_b32_e32 v5, v10
.LBB241_2567:                           ;   in Loop: Header=BB241_1574 Depth=1
	s_or_b32 exec_lo, exec_lo, s18
.LBB241_2568:                           ;   in Loop: Header=BB241_1574 Depth=1
	s_or_b32 exec_lo, exec_lo, s17
.LBB241_2569:                           ;   in Loop: Header=BB241_1574 Depth=1
	s_or_b32 exec_lo, exec_lo, s15
	v_cmp_ne_u16_sdwa s4, v7, v10 src0_sel:BYTE_1 src1_sel:DWORD
	s_and_saveexec_b32 s15, s4
	s_cbranch_execz .LBB241_2577
; %bb.2570:                             ;   in Loop: Header=BB241_1574 Depth=1
	v_mov_b32_e32 v11, v10
	v_mov_b32_e32 v22, v12
	v_cmp_ne_u16_sdwa s4, v7, v41 src0_sel:BYTE_1 src1_sel:DWORD
	v_mov_b32_e32 v21, v11
	s_and_saveexec_b32 s17, s4
	s_cbranch_execz .LBB241_2576
; %bb.2571:                             ;   in Loop: Header=BB241_1574 Depth=1
	v_and_b32_sdwa v8, v36, v7 dst_sel:DWORD dst_unused:UNUSED_PAD src0_sel:DWORD src1_sel:BYTE_1
	v_mov_b32_e32 v13, v10
	v_mov_b32_e32 v22, v14
	s_mov_b32 s18, exec_lo
	v_and_b32_e32 v11, 0x7f, v8
	v_mov_b32_e32 v21, v13
	v_cmpx_ne_u32_e32 0x7f, v11
	s_cbranch_execz .LBB241_2575
; %bb.2572:                             ;   in Loop: Header=BB241_1574 Depth=1
	v_and_b32_e32 v9, 7, v8
	v_lshrrev_b32_e32 v8, 3, v11
	s_mov_b32 s19, exec_lo
	v_cmpx_gt_u32_e32 8, v11
; %bb.2573:                             ;   in Loop: Header=BB241_1574 Depth=1
	v_ffbh_u32_e32 v8, v9
	v_min_u32_e32 v8, 32, v8
	v_subrev_nc_u32_e32 v11, 28, v8
	v_sub_nc_u32_e32 v8, 29, v8
	v_lshlrev_b64 v[21:22], v11, v[9:10]
	v_and_b32_e32 v9, 7, v21
; %bb.2574:                             ;   in Loop: Header=BB241_1574 Depth=1
	s_or_b32 exec_lo, exec_lo, s19
	v_lshlrev_b32_e32 v11, 16, v7
	v_lshlrev_b32_e32 v9, 20, v9
	v_lshl_add_u32 v8, v8, 23, 0x3c000000
	v_mov_b32_e32 v21, v10
	v_and_b32_e32 v11, 0x80000000, v11
	v_or3_b32 v22, v9, v11, v8
.LBB241_2575:                           ;   in Loop: Header=BB241_1574 Depth=1
	s_or_b32 exec_lo, exec_lo, s18
.LBB241_2576:                           ;   in Loop: Header=BB241_1574 Depth=1
	s_or_b32 exec_lo, exec_lo, s17
.LBB241_2577:                           ;   in Loop: Header=BB241_1574 Depth=1
	s_or_b32 exec_lo, exec_lo, s15
	v_mov_b32_e32 v23, 0
	v_mov_b32_e32 v25, 0
	v_and_b32_sdwa v8, v7, v43 dst_sel:DWORD dst_unused:UNUSED_PAD src0_sel:WORD_1 src1_sel:DWORD
	v_mov_b32_e32 v24, 0
	v_mov_b32_e32 v26, 0
	s_mov_b32 s15, exec_lo
	v_cmpx_ne_u16_e32 0, v8
	s_cbranch_execz .LBB241_2585
; %bb.2578:                             ;   in Loop: Header=BB241_1574 Depth=1
	v_bfrev_b32_e32 v25, 1
	v_mov_b32_e32 v26, 0
	s_mov_b32 s17, exec_lo
	v_cmpx_ne_u16_e32 0x80, v8
	s_cbranch_execz .LBB241_2584
; %bb.2579:                             ;   in Loop: Header=BB241_1574 Depth=1
	v_mov_b32_e32 v25, 0x7f800001
	v_bfe_u32 v11, v7, 16, 7
	v_mov_b32_e32 v26, 0
	s_mov_b32 s18, exec_lo
	v_cmpx_ne_u32_e32 0x7f, v11
	s_cbranch_execz .LBB241_2583
; %bb.2580:                             ;   in Loop: Header=BB241_1574 Depth=1
	v_mov_b32_e32 v8, 7
	s_mov_b32 s19, exec_lo
	v_and_b32_sdwa v9, v7, v8 dst_sel:DWORD dst_unused:UNUSED_PAD src0_sel:WORD_1 src1_sel:DWORD
	v_lshrrev_b32_e32 v8, 3, v11
	v_cmpx_gt_u32_e32 8, v11
; %bb.2581:                             ;   in Loop: Header=BB241_1574 Depth=1
	v_ffbh_u32_e32 v8, v9
	v_min_u32_e32 v8, 32, v8
	v_subrev_nc_u32_e32 v11, 28, v8
	v_sub_nc_u32_e32 v8, 29, v8
	v_lshlrev_b64 v[25:26], v11, v[9:10]
	v_and_b32_e32 v9, 7, v25
; %bb.2582:                             ;   in Loop: Header=BB241_1574 Depth=1
	s_or_b32 exec_lo, exec_lo, s19
	v_mov_b32_e32 v11, 24
	v_lshlrev_b32_e32 v9, 20, v9
	v_lshl_add_u32 v8, v8, 23, 0x3c000000
	v_lshlrev_b32_sdwa v11, v11, v7 dst_sel:DWORD dst_unused:UNUSED_PAD src0_sel:DWORD src1_sel:WORD_1
	v_and_b32_e32 v11, 0x80000000, v11
	v_or3_b32 v9, v9, v11, v8
	v_mov_b32_e32 v26, v10
	v_mov_b32_e32 v25, v9
.LBB241_2583:                           ;   in Loop: Header=BB241_1574 Depth=1
	s_or_b32 exec_lo, exec_lo, s18
.LBB241_2584:                           ;   in Loop: Header=BB241_1574 Depth=1
	s_or_b32 exec_lo, exec_lo, s17
.LBB241_2585:                           ;   in Loop: Header=BB241_1574 Depth=1
	s_or_b32 exec_lo, exec_lo, s15
	s_mov_b32 s15, exec_lo
	v_cmpx_lt_u32_e32 0xffffff, v7
	s_cbranch_execz .LBB241_2593
; %bb.2586:                             ;   in Loop: Header=BB241_1574 Depth=1
	v_mov_b32_e32 v11, v10
	v_mov_b32_e32 v24, v12
	v_cmp_ne_u32_sdwa s4, v7, v41 src0_sel:BYTE_3 src1_sel:DWORD
	v_mov_b32_e32 v23, v11
	s_and_saveexec_b32 s17, s4
	s_cbranch_execz .LBB241_2592
; %bb.2587:                             ;   in Loop: Header=BB241_1574 Depth=1
	v_mov_b32_e32 v13, v10
	v_mov_b32_e32 v24, v14
	v_bfe_u32 v11, v7, 24, 7
	s_mov_b32 s18, exec_lo
	v_mov_b32_e32 v23, v13
	v_cmpx_ne_u32_e32 0x7f, v11
	s_cbranch_execz .LBB241_2591
; %bb.2588:                             ;   in Loop: Header=BB241_1574 Depth=1
	v_mov_b32_e32 v8, 7
	s_mov_b32 s19, exec_lo
	v_and_b32_sdwa v9, v7, v8 dst_sel:DWORD dst_unused:UNUSED_PAD src0_sel:BYTE_3 src1_sel:DWORD
	v_lshrrev_b32_e32 v8, 3, v11
	v_cmpx_gt_u32_e32 8, v11
; %bb.2589:                             ;   in Loop: Header=BB241_1574 Depth=1
	v_ffbh_u32_e32 v8, v9
	v_min_u32_e32 v8, 32, v8
	v_subrev_nc_u32_e32 v11, 28, v8
	v_sub_nc_u32_e32 v8, 29, v8
	v_lshlrev_b64 v[23:24], v11, v[9:10]
	v_and_b32_e32 v9, 7, v23
; %bb.2590:                             ;   in Loop: Header=BB241_1574 Depth=1
	s_or_b32 exec_lo, exec_lo, s19
	v_mov_b32_e32 v11, 24
	v_lshlrev_b32_e32 v9, 20, v9
	v_lshl_add_u32 v8, v8, 23, 0x3c000000
	v_mov_b32_e32 v23, v10
	v_lshlrev_b32_sdwa v7, v11, v7 dst_sel:DWORD dst_unused:UNUSED_PAD src0_sel:DWORD src1_sel:BYTE_3
	v_and_b32_e32 v7, 0x80000000, v7
	v_or3_b32 v24, v9, v7, v8
.LBB241_2591:                           ;   in Loop: Header=BB241_1574 Depth=1
	s_or_b32 exec_lo, exec_lo, s18
.LBB241_2592:                           ;   in Loop: Header=BB241_1574 Depth=1
	s_or_b32 exec_lo, exec_lo, s17
.LBB241_2593:                           ;   in Loop: Header=BB241_1574 Depth=1
	s_or_b32 exec_lo, exec_lo, s15
	v_or_b32_e32 v5, v22, v5
	v_or_b32_e32 v4, v21, v4
	;; [unrolled: 1-line block ×4, first 2 shown]
	v_mul_f32_e32 v124, v63, v5
	v_mul_f32_e32 v123, v63, v4
	;; [unrolled: 1-line block ×4, first 2 shown]
	s_and_saveexec_b32 s15, vcc_lo
	s_cbranch_execz .LBB241_2595
; %bb.2594:                             ;   in Loop: Header=BB241_1574 Depth=1
	buffer_load_dword v4, off, s[0:3], s32 offset:208 ; 4-byte Folded Reload
	s_waitcnt vmcnt(0)
	v_cmp_lt_i32_e64 s4, v62, v4
	v_cndmask_b32_e64 v123, 0, v123, s4
	v_cmp_lt_i32_e64 s4, v78, v4
	v_cndmask_b32_e64 v124, 0, v124, s4
	;; [unrolled: 2-line block ×4, first 2 shown]
.LBB241_2595:                           ;   in Loop: Header=BB241_1574 Depth=1
	s_or_b32 exec_lo, exec_lo, s15
	flat_load_dword v7, v[19:20] offset:1792
	v_mov_b32_e32 v19, 0
	v_mov_b32_e32 v4, 0
	;; [unrolled: 1-line block ×4, first 2 shown]
	s_waitcnt vmcnt(0) lgkmcnt(0)
	v_cmp_ne_u16_sdwa s4, v7, v10 src0_sel:BYTE_0 src1_sel:DWORD
	s_and_saveexec_b32 s15, s4
	s_cbranch_execz .LBB241_2603
; %bb.2596:                             ;   in Loop: Header=BB241_1574 Depth=1
	v_bfrev_b32_e32 v4, 1
	v_mov_b32_e32 v5, 0
	v_cmp_ne_u16_sdwa s4, v7, v41 src0_sel:BYTE_0 src1_sel:DWORD
	s_and_saveexec_b32 s17, s4
	s_cbranch_execz .LBB241_2602
; %bb.2597:                             ;   in Loop: Header=BB241_1574 Depth=1
	v_mov_b32_e32 v4, 0x7f800001
	v_and_b32_e32 v8, 0x7f, v7
	v_mov_b32_e32 v5, 0
	s_mov_b32 s18, exec_lo
	v_cmpx_ne_u32_e32 0x7f, v8
	s_cbranch_execz .LBB241_2601
; %bb.2598:                             ;   in Loop: Header=BB241_1574 Depth=1
	v_and_b32_e32 v9, 7, v7
	v_lshrrev_b32_e32 v4, 3, v8
	s_mov_b32 s19, exec_lo
	v_cmpx_gt_u32_e32 8, v8
; %bb.2599:                             ;   in Loop: Header=BB241_1574 Depth=1
	v_ffbh_u32_e32 v4, v9
	v_min_u32_e32 v4, 32, v4
	v_subrev_nc_u32_e32 v5, 28, v4
	v_sub_nc_u32_e32 v4, 29, v4
	v_lshlrev_b64 v[8:9], v5, v[9:10]
	v_and_b32_e32 v9, 7, v8
; %bb.2600:                             ;   in Loop: Header=BB241_1574 Depth=1
	s_or_b32 exec_lo, exec_lo, s19
	v_lshlrev_b32_e32 v5, 24, v7
	v_lshlrev_b32_e32 v8, 20, v9
	v_lshl_add_u32 v4, v4, 23, 0x3c000000
	v_and_b32_e32 v5, 0x80000000, v5
	v_or3_b32 v9, v8, v5, v4
	v_mov_b32_e32 v4, v9
	v_mov_b32_e32 v5, v10
.LBB241_2601:                           ;   in Loop: Header=BB241_1574 Depth=1
	s_or_b32 exec_lo, exec_lo, s18
.LBB241_2602:                           ;   in Loop: Header=BB241_1574 Depth=1
	s_or_b32 exec_lo, exec_lo, s17
.LBB241_2603:                           ;   in Loop: Header=BB241_1574 Depth=1
	s_or_b32 exec_lo, exec_lo, s15
	v_cmp_ne_u16_sdwa s4, v7, v10 src0_sel:BYTE_1 src1_sel:DWORD
	s_and_saveexec_b32 s15, s4
	s_cbranch_execz .LBB241_2611
; %bb.2604:                             ;   in Loop: Header=BB241_1574 Depth=1
	v_mov_b32_e32 v11, v10
	v_mov_b32_e32 v20, v12
	v_cmp_ne_u16_sdwa s4, v7, v41 src0_sel:BYTE_1 src1_sel:DWORD
	v_mov_b32_e32 v19, v11
	s_and_saveexec_b32 s17, s4
	s_cbranch_execz .LBB241_2610
; %bb.2605:                             ;   in Loop: Header=BB241_1574 Depth=1
	v_and_b32_sdwa v8, v36, v7 dst_sel:DWORD dst_unused:UNUSED_PAD src0_sel:DWORD src1_sel:BYTE_1
	v_mov_b32_e32 v13, v10
	v_mov_b32_e32 v20, v14
	s_mov_b32 s18, exec_lo
	v_and_b32_e32 v11, 0x7f, v8
	v_mov_b32_e32 v19, v13
	v_cmpx_ne_u32_e32 0x7f, v11
	s_cbranch_execz .LBB241_2609
; %bb.2606:                             ;   in Loop: Header=BB241_1574 Depth=1
	v_and_b32_e32 v9, 7, v8
	v_lshrrev_b32_e32 v8, 3, v11
	s_mov_b32 s19, exec_lo
	v_cmpx_gt_u32_e32 8, v11
; %bb.2607:                             ;   in Loop: Header=BB241_1574 Depth=1
	v_ffbh_u32_e32 v8, v9
	v_min_u32_e32 v8, 32, v8
	v_subrev_nc_u32_e32 v11, 28, v8
	v_sub_nc_u32_e32 v8, 29, v8
	v_lshlrev_b64 v[19:20], v11, v[9:10]
	v_and_b32_e32 v9, 7, v19
; %bb.2608:                             ;   in Loop: Header=BB241_1574 Depth=1
	s_or_b32 exec_lo, exec_lo, s19
	v_lshlrev_b32_e32 v11, 16, v7
	v_lshlrev_b32_e32 v9, 20, v9
	v_lshl_add_u32 v8, v8, 23, 0x3c000000
	v_mov_b32_e32 v19, v10
	v_and_b32_e32 v11, 0x80000000, v11
	v_or3_b32 v20, v9, v11, v8
.LBB241_2609:                           ;   in Loop: Header=BB241_1574 Depth=1
	s_or_b32 exec_lo, exec_lo, s18
.LBB241_2610:                           ;   in Loop: Header=BB241_1574 Depth=1
	s_or_b32 exec_lo, exec_lo, s17
.LBB241_2611:                           ;   in Loop: Header=BB241_1574 Depth=1
	s_or_b32 exec_lo, exec_lo, s15
	v_mov_b32_e32 v21, 0
	v_mov_b32_e32 v23, 0
	v_and_b32_sdwa v8, v7, v43 dst_sel:DWORD dst_unused:UNUSED_PAD src0_sel:WORD_1 src1_sel:DWORD
	v_mov_b32_e32 v22, 0
	v_mov_b32_e32 v24, 0
	s_mov_b32 s15, exec_lo
	v_cmpx_ne_u16_e32 0, v8
	s_cbranch_execz .LBB241_2619
; %bb.2612:                             ;   in Loop: Header=BB241_1574 Depth=1
	v_bfrev_b32_e32 v23, 1
	v_mov_b32_e32 v24, 0
	s_mov_b32 s17, exec_lo
	v_cmpx_ne_u16_e32 0x80, v8
	s_cbranch_execz .LBB241_2618
; %bb.2613:                             ;   in Loop: Header=BB241_1574 Depth=1
	v_mov_b32_e32 v23, 0x7f800001
	v_bfe_u32 v11, v7, 16, 7
	v_mov_b32_e32 v24, 0
	s_mov_b32 s18, exec_lo
	v_cmpx_ne_u32_e32 0x7f, v11
	s_cbranch_execz .LBB241_2617
; %bb.2614:                             ;   in Loop: Header=BB241_1574 Depth=1
	v_mov_b32_e32 v8, 7
	s_mov_b32 s19, exec_lo
	v_and_b32_sdwa v9, v7, v8 dst_sel:DWORD dst_unused:UNUSED_PAD src0_sel:WORD_1 src1_sel:DWORD
	v_lshrrev_b32_e32 v8, 3, v11
	v_cmpx_gt_u32_e32 8, v11
; %bb.2615:                             ;   in Loop: Header=BB241_1574 Depth=1
	v_ffbh_u32_e32 v8, v9
	v_min_u32_e32 v8, 32, v8
	v_subrev_nc_u32_e32 v11, 28, v8
	v_sub_nc_u32_e32 v8, 29, v8
	v_lshlrev_b64 v[23:24], v11, v[9:10]
	v_and_b32_e32 v9, 7, v23
; %bb.2616:                             ;   in Loop: Header=BB241_1574 Depth=1
	s_or_b32 exec_lo, exec_lo, s19
	v_mov_b32_e32 v11, 24
	v_lshlrev_b32_e32 v9, 20, v9
	v_lshl_add_u32 v8, v8, 23, 0x3c000000
	v_lshlrev_b32_sdwa v11, v11, v7 dst_sel:DWORD dst_unused:UNUSED_PAD src0_sel:DWORD src1_sel:WORD_1
	v_and_b32_e32 v11, 0x80000000, v11
	v_or3_b32 v9, v9, v11, v8
	v_mov_b32_e32 v24, v10
	v_mov_b32_e32 v23, v9
.LBB241_2617:                           ;   in Loop: Header=BB241_1574 Depth=1
	s_or_b32 exec_lo, exec_lo, s18
.LBB241_2618:                           ;   in Loop: Header=BB241_1574 Depth=1
	s_or_b32 exec_lo, exec_lo, s17
.LBB241_2619:                           ;   in Loop: Header=BB241_1574 Depth=1
	s_or_b32 exec_lo, exec_lo, s15
	s_mov_b32 s15, exec_lo
	v_cmpx_lt_u32_e32 0xffffff, v7
	s_cbranch_execz .LBB241_2627
; %bb.2620:                             ;   in Loop: Header=BB241_1574 Depth=1
	v_mov_b32_e32 v11, v10
	v_mov_b32_e32 v22, v12
	v_cmp_ne_u32_sdwa s4, v7, v41 src0_sel:BYTE_3 src1_sel:DWORD
	v_mov_b32_e32 v21, v11
	s_and_saveexec_b32 s17, s4
	s_cbranch_execz .LBB241_2626
; %bb.2621:                             ;   in Loop: Header=BB241_1574 Depth=1
	v_mov_b32_e32 v13, v10
	v_mov_b32_e32 v22, v14
	v_bfe_u32 v11, v7, 24, 7
	s_mov_b32 s18, exec_lo
	v_mov_b32_e32 v21, v13
	v_cmpx_ne_u32_e32 0x7f, v11
	s_cbranch_execz .LBB241_2625
; %bb.2622:                             ;   in Loop: Header=BB241_1574 Depth=1
	v_mov_b32_e32 v8, 7
	s_mov_b32 s19, exec_lo
	v_and_b32_sdwa v9, v7, v8 dst_sel:DWORD dst_unused:UNUSED_PAD src0_sel:BYTE_3 src1_sel:DWORD
	v_lshrrev_b32_e32 v8, 3, v11
	v_cmpx_gt_u32_e32 8, v11
; %bb.2623:                             ;   in Loop: Header=BB241_1574 Depth=1
	v_ffbh_u32_e32 v8, v9
	v_min_u32_e32 v8, 32, v8
	v_subrev_nc_u32_e32 v11, 28, v8
	v_sub_nc_u32_e32 v8, 29, v8
	v_lshlrev_b64 v[21:22], v11, v[9:10]
	v_and_b32_e32 v9, 7, v21
; %bb.2624:                             ;   in Loop: Header=BB241_1574 Depth=1
	s_or_b32 exec_lo, exec_lo, s19
	v_mov_b32_e32 v11, 24
	v_lshlrev_b32_e32 v9, 20, v9
	v_lshl_add_u32 v8, v8, 23, 0x3c000000
	v_mov_b32_e32 v21, v10
	v_lshlrev_b32_sdwa v7, v11, v7 dst_sel:DWORD dst_unused:UNUSED_PAD src0_sel:DWORD src1_sel:BYTE_3
	v_and_b32_e32 v7, 0x80000000, v7
	v_or3_b32 v22, v9, v7, v8
.LBB241_2625:                           ;   in Loop: Header=BB241_1574 Depth=1
	s_or_b32 exec_lo, exec_lo, s18
.LBB241_2626:                           ;   in Loop: Header=BB241_1574 Depth=1
	s_or_b32 exec_lo, exec_lo, s17
.LBB241_2627:                           ;   in Loop: Header=BB241_1574 Depth=1
	s_or_b32 exec_lo, exec_lo, s15
	v_or_b32_e32 v5, v20, v5
	v_or_b32_e32 v4, v19, v4
	;; [unrolled: 1-line block ×4, first 2 shown]
	v_mul_f32_e32 v126, v63, v5
	v_mul_f32_e32 v125, v63, v4
	;; [unrolled: 1-line block ×4, first 2 shown]
	s_and_saveexec_b32 s15, vcc_lo
	s_cbranch_execz .LBB241_2629
; %bb.2628:                             ;   in Loop: Header=BB241_1574 Depth=1
	buffer_load_dword v4, off, s[0:3], s32 offset:208 ; 4-byte Folded Reload
	s_waitcnt vmcnt(0)
	v_cmp_lt_i32_e64 s4, v62, v4
	v_cndmask_b32_e64 v125, 0, v125, s4
	v_cmp_lt_i32_e64 s4, v78, v4
	v_cndmask_b32_e64 v126, 0, v126, s4
	;; [unrolled: 2-line block ×4, first 2 shown]
.LBB241_2629:                           ;   in Loop: Header=BB241_1574 Depth=1
	s_or_b32 exec_lo, exec_lo, s15
	buffer_load_dword v4, off, s[0:3], s32 offset:1380 ; 4-byte Folded Reload
	s_waitcnt vmcnt(0)
	v_add_co_u32 v4, s4, v17, v4
	v_add_co_ci_u32_e64 v5, null, 0, v18, s4
	v_mov_b32_e32 v17, 0
	v_mov_b32_e32 v18, 0
	flat_load_dword v7, v[4:5]
	v_mov_b32_e32 v4, 0
	v_mov_b32_e32 v5, 0
	s_waitcnt vmcnt(0) lgkmcnt(0)
	v_cmp_ne_u16_sdwa s4, v7, v10 src0_sel:BYTE_0 src1_sel:DWORD
	s_and_saveexec_b32 s15, s4
	s_cbranch_execz .LBB241_2637
; %bb.2630:                             ;   in Loop: Header=BB241_1574 Depth=1
	v_bfrev_b32_e32 v4, 1
	v_mov_b32_e32 v5, 0
	v_cmp_ne_u16_sdwa s4, v7, v41 src0_sel:BYTE_0 src1_sel:DWORD
	s_and_saveexec_b32 s17, s4
	s_cbranch_execz .LBB241_2636
; %bb.2631:                             ;   in Loop: Header=BB241_1574 Depth=1
	v_mov_b32_e32 v4, 0x7f800001
	v_and_b32_e32 v8, 0x7f, v7
	v_mov_b32_e32 v5, 0
	s_mov_b32 s18, exec_lo
	v_cmpx_ne_u32_e32 0x7f, v8
	s_cbranch_execz .LBB241_2635
; %bb.2632:                             ;   in Loop: Header=BB241_1574 Depth=1
	v_and_b32_e32 v9, 7, v7
	v_lshrrev_b32_e32 v4, 3, v8
	s_mov_b32 s19, exec_lo
	v_cmpx_gt_u32_e32 8, v8
; %bb.2633:                             ;   in Loop: Header=BB241_1574 Depth=1
	v_ffbh_u32_e32 v4, v9
	v_min_u32_e32 v4, 32, v4
	v_subrev_nc_u32_e32 v5, 28, v4
	v_sub_nc_u32_e32 v4, 29, v4
	v_lshlrev_b64 v[8:9], v5, v[9:10]
	v_and_b32_e32 v9, 7, v8
; %bb.2634:                             ;   in Loop: Header=BB241_1574 Depth=1
	s_or_b32 exec_lo, exec_lo, s19
	v_lshlrev_b32_e32 v5, 24, v7
	v_lshlrev_b32_e32 v8, 20, v9
	v_lshl_add_u32 v4, v4, 23, 0x3c000000
	v_and_b32_e32 v5, 0x80000000, v5
	v_or3_b32 v9, v8, v5, v4
	v_mov_b32_e32 v4, v9
	v_mov_b32_e32 v5, v10
.LBB241_2635:                           ;   in Loop: Header=BB241_1574 Depth=1
	s_or_b32 exec_lo, exec_lo, s18
.LBB241_2636:                           ;   in Loop: Header=BB241_1574 Depth=1
	s_or_b32 exec_lo, exec_lo, s17
.LBB241_2637:                           ;   in Loop: Header=BB241_1574 Depth=1
	s_or_b32 exec_lo, exec_lo, s15
	v_cmp_ne_u16_sdwa s4, v7, v10 src0_sel:BYTE_1 src1_sel:DWORD
	s_and_saveexec_b32 s15, s4
	s_cbranch_execz .LBB241_2645
; %bb.2638:                             ;   in Loop: Header=BB241_1574 Depth=1
	v_mov_b32_e32 v11, v10
	v_mov_b32_e32 v18, v12
	v_cmp_ne_u16_sdwa s4, v7, v41 src0_sel:BYTE_1 src1_sel:DWORD
	v_mov_b32_e32 v17, v11
	s_and_saveexec_b32 s17, s4
	s_cbranch_execz .LBB241_2644
; %bb.2639:                             ;   in Loop: Header=BB241_1574 Depth=1
	v_and_b32_sdwa v8, v36, v7 dst_sel:DWORD dst_unused:UNUSED_PAD src0_sel:DWORD src1_sel:BYTE_1
	v_mov_b32_e32 v13, v10
	v_mov_b32_e32 v18, v14
	s_mov_b32 s18, exec_lo
	v_and_b32_e32 v11, 0x7f, v8
	v_mov_b32_e32 v17, v13
	v_cmpx_ne_u32_e32 0x7f, v11
	s_cbranch_execz .LBB241_2643
; %bb.2640:                             ;   in Loop: Header=BB241_1574 Depth=1
	v_and_b32_e32 v9, 7, v8
	v_lshrrev_b32_e32 v8, 3, v11
	s_mov_b32 s19, exec_lo
	v_cmpx_gt_u32_e32 8, v11
; %bb.2641:                             ;   in Loop: Header=BB241_1574 Depth=1
	v_ffbh_u32_e32 v8, v9
	v_min_u32_e32 v8, 32, v8
	v_subrev_nc_u32_e32 v11, 28, v8
	v_sub_nc_u32_e32 v8, 29, v8
	v_lshlrev_b64 v[17:18], v11, v[9:10]
	v_and_b32_e32 v9, 7, v17
; %bb.2642:                             ;   in Loop: Header=BB241_1574 Depth=1
	s_or_b32 exec_lo, exec_lo, s19
	v_lshlrev_b32_e32 v11, 16, v7
	v_lshlrev_b32_e32 v9, 20, v9
	v_lshl_add_u32 v8, v8, 23, 0x3c000000
	v_mov_b32_e32 v17, v10
	v_and_b32_e32 v11, 0x80000000, v11
	v_or3_b32 v18, v9, v11, v8
.LBB241_2643:                           ;   in Loop: Header=BB241_1574 Depth=1
	s_or_b32 exec_lo, exec_lo, s18
.LBB241_2644:                           ;   in Loop: Header=BB241_1574 Depth=1
	s_or_b32 exec_lo, exec_lo, s17
.LBB241_2645:                           ;   in Loop: Header=BB241_1574 Depth=1
	s_or_b32 exec_lo, exec_lo, s15
	v_mov_b32_e32 v19, 0
	v_mov_b32_e32 v21, 0
	v_and_b32_sdwa v8, v7, v43 dst_sel:DWORD dst_unused:UNUSED_PAD src0_sel:WORD_1 src1_sel:DWORD
	v_mov_b32_e32 v20, 0
	v_mov_b32_e32 v22, 0
	s_mov_b32 s15, exec_lo
	v_cmpx_ne_u16_e32 0, v8
	s_cbranch_execz .LBB241_2653
; %bb.2646:                             ;   in Loop: Header=BB241_1574 Depth=1
	v_bfrev_b32_e32 v21, 1
	v_mov_b32_e32 v22, 0
	s_mov_b32 s17, exec_lo
	v_cmpx_ne_u16_e32 0x80, v8
	s_cbranch_execz .LBB241_2652
; %bb.2647:                             ;   in Loop: Header=BB241_1574 Depth=1
	v_mov_b32_e32 v21, 0x7f800001
	v_bfe_u32 v11, v7, 16, 7
	v_mov_b32_e32 v22, 0
	s_mov_b32 s18, exec_lo
	v_cmpx_ne_u32_e32 0x7f, v11
	s_cbranch_execz .LBB241_2651
; %bb.2648:                             ;   in Loop: Header=BB241_1574 Depth=1
	v_mov_b32_e32 v8, 7
	s_mov_b32 s19, exec_lo
	v_and_b32_sdwa v9, v7, v8 dst_sel:DWORD dst_unused:UNUSED_PAD src0_sel:WORD_1 src1_sel:DWORD
	v_lshrrev_b32_e32 v8, 3, v11
	v_cmpx_gt_u32_e32 8, v11
; %bb.2649:                             ;   in Loop: Header=BB241_1574 Depth=1
	v_ffbh_u32_e32 v8, v9
	v_min_u32_e32 v8, 32, v8
	v_subrev_nc_u32_e32 v11, 28, v8
	v_sub_nc_u32_e32 v8, 29, v8
	v_lshlrev_b64 v[21:22], v11, v[9:10]
	v_and_b32_e32 v9, 7, v21
; %bb.2650:                             ;   in Loop: Header=BB241_1574 Depth=1
	s_or_b32 exec_lo, exec_lo, s19
	v_mov_b32_e32 v11, 24
	v_lshlrev_b32_e32 v9, 20, v9
	v_lshl_add_u32 v8, v8, 23, 0x3c000000
	v_lshlrev_b32_sdwa v11, v11, v7 dst_sel:DWORD dst_unused:UNUSED_PAD src0_sel:DWORD src1_sel:WORD_1
	v_and_b32_e32 v11, 0x80000000, v11
	v_or3_b32 v9, v9, v11, v8
	v_mov_b32_e32 v22, v10
	v_mov_b32_e32 v21, v9
.LBB241_2651:                           ;   in Loop: Header=BB241_1574 Depth=1
	s_or_b32 exec_lo, exec_lo, s18
.LBB241_2652:                           ;   in Loop: Header=BB241_1574 Depth=1
	s_or_b32 exec_lo, exec_lo, s17
.LBB241_2653:                           ;   in Loop: Header=BB241_1574 Depth=1
	s_or_b32 exec_lo, exec_lo, s15
	s_mov_b32 s15, exec_lo
	v_cmpx_lt_u32_e32 0xffffff, v7
	s_cbranch_execz .LBB241_2661
; %bb.2654:                             ;   in Loop: Header=BB241_1574 Depth=1
	v_mov_b32_e32 v11, v10
	v_mov_b32_e32 v20, v12
	v_cmp_ne_u32_sdwa s4, v7, v41 src0_sel:BYTE_3 src1_sel:DWORD
	v_mov_b32_e32 v19, v11
	s_and_saveexec_b32 s17, s4
	s_cbranch_execz .LBB241_2660
; %bb.2655:                             ;   in Loop: Header=BB241_1574 Depth=1
	v_mov_b32_e32 v13, v10
	v_mov_b32_e32 v20, v14
	v_bfe_u32 v11, v7, 24, 7
	s_mov_b32 s18, exec_lo
	v_mov_b32_e32 v19, v13
	v_cmpx_ne_u32_e32 0x7f, v11
	s_cbranch_execz .LBB241_2659
; %bb.2656:                             ;   in Loop: Header=BB241_1574 Depth=1
	v_mov_b32_e32 v8, 7
	s_mov_b32 s19, exec_lo
	v_and_b32_sdwa v9, v7, v8 dst_sel:DWORD dst_unused:UNUSED_PAD src0_sel:BYTE_3 src1_sel:DWORD
	v_lshrrev_b32_e32 v8, 3, v11
	v_cmpx_gt_u32_e32 8, v11
; %bb.2657:                             ;   in Loop: Header=BB241_1574 Depth=1
	v_ffbh_u32_e32 v8, v9
	v_min_u32_e32 v8, 32, v8
	v_subrev_nc_u32_e32 v11, 28, v8
	v_sub_nc_u32_e32 v8, 29, v8
	v_lshlrev_b64 v[19:20], v11, v[9:10]
	v_and_b32_e32 v9, 7, v19
; %bb.2658:                             ;   in Loop: Header=BB241_1574 Depth=1
	s_or_b32 exec_lo, exec_lo, s19
	v_mov_b32_e32 v11, 24
	v_lshlrev_b32_e32 v9, 20, v9
	v_lshl_add_u32 v8, v8, 23, 0x3c000000
	v_mov_b32_e32 v19, v10
	v_lshlrev_b32_sdwa v7, v11, v7 dst_sel:DWORD dst_unused:UNUSED_PAD src0_sel:DWORD src1_sel:BYTE_3
	v_and_b32_e32 v7, 0x80000000, v7
	v_or3_b32 v20, v9, v7, v8
.LBB241_2659:                           ;   in Loop: Header=BB241_1574 Depth=1
	s_or_b32 exec_lo, exec_lo, s18
.LBB241_2660:                           ;   in Loop: Header=BB241_1574 Depth=1
	s_or_b32 exec_lo, exec_lo, s17
.LBB241_2661:                           ;   in Loop: Header=BB241_1574 Depth=1
	s_or_b32 exec_lo, exec_lo, s15
	v_or_b32_e32 v5, v18, v5
	v_or_b32_e32 v4, v17, v4
	v_or_b32_e32 v7, v19, v21
	v_or_b32_e32 v8, v20, v22
	v_mul_f32_e32 v102, v63, v5
	v_mul_f32_e32 v119, v63, v4
	;; [unrolled: 1-line block ×4, first 2 shown]
	s_and_saveexec_b32 s15, vcc_lo
	s_cbranch_execz .LBB241_2663
; %bb.2662:                             ;   in Loop: Header=BB241_1574 Depth=1
	buffer_load_dword v4, off, s[0:3], s32 offset:208 ; 4-byte Folded Reload
	s_waitcnt vmcnt(0)
	v_cmp_lt_i32_e64 s4, v62, v4
	v_cndmask_b32_e64 v119, 0, v119, s4
	v_cmp_lt_i32_e64 s4, v78, v4
	v_cndmask_b32_e64 v102, 0, v102, s4
	;; [unrolled: 2-line block ×4, first 2 shown]
.LBB241_2663:                           ;   in Loop: Header=BB241_1574 Depth=1
	s_or_b32 exec_lo, exec_lo, s15
	v_add_co_u32 v15, s4, 0x1000, v15
	v_add_co_ci_u32_e64 v16, null, 0, v16, s4
	v_mov_b32_e32 v17, 0
	v_mov_b32_e32 v4, 0
	;; [unrolled: 1-line block ×3, first 2 shown]
	flat_load_dword v7, v[15:16]
	v_mov_b32_e32 v5, 0
	s_waitcnt vmcnt(0) lgkmcnt(0)
	v_cmp_ne_u16_sdwa s4, v7, v10 src0_sel:BYTE_0 src1_sel:DWORD
	s_and_saveexec_b32 s15, s4
	s_cbranch_execz .LBB241_2671
; %bb.2664:                             ;   in Loop: Header=BB241_1574 Depth=1
	v_bfrev_b32_e32 v4, 1
	v_mov_b32_e32 v5, 0
	v_cmp_ne_u16_sdwa s4, v7, v41 src0_sel:BYTE_0 src1_sel:DWORD
	s_and_saveexec_b32 s17, s4
	s_cbranch_execz .LBB241_2670
; %bb.2665:                             ;   in Loop: Header=BB241_1574 Depth=1
	v_mov_b32_e32 v4, 0x7f800001
	v_and_b32_e32 v8, 0x7f, v7
	v_mov_b32_e32 v5, 0
	s_mov_b32 s18, exec_lo
	v_cmpx_ne_u32_e32 0x7f, v8
	s_cbranch_execz .LBB241_2669
; %bb.2666:                             ;   in Loop: Header=BB241_1574 Depth=1
	v_and_b32_e32 v9, 7, v7
	v_lshrrev_b32_e32 v4, 3, v8
	s_mov_b32 s19, exec_lo
	v_cmpx_gt_u32_e32 8, v8
; %bb.2667:                             ;   in Loop: Header=BB241_1574 Depth=1
	v_ffbh_u32_e32 v4, v9
	v_min_u32_e32 v4, 32, v4
	v_subrev_nc_u32_e32 v5, 28, v4
	v_sub_nc_u32_e32 v4, 29, v4
	v_lshlrev_b64 v[8:9], v5, v[9:10]
	v_and_b32_e32 v9, 7, v8
; %bb.2668:                             ;   in Loop: Header=BB241_1574 Depth=1
	s_or_b32 exec_lo, exec_lo, s19
	v_lshlrev_b32_e32 v5, 24, v7
	v_lshlrev_b32_e32 v8, 20, v9
	v_lshl_add_u32 v4, v4, 23, 0x3c000000
	v_and_b32_e32 v5, 0x80000000, v5
	v_or3_b32 v9, v8, v5, v4
	v_mov_b32_e32 v4, v9
	v_mov_b32_e32 v5, v10
.LBB241_2669:                           ;   in Loop: Header=BB241_1574 Depth=1
	s_or_b32 exec_lo, exec_lo, s18
.LBB241_2670:                           ;   in Loop: Header=BB241_1574 Depth=1
	s_or_b32 exec_lo, exec_lo, s17
.LBB241_2671:                           ;   in Loop: Header=BB241_1574 Depth=1
	s_or_b32 exec_lo, exec_lo, s15
	v_cmp_ne_u16_sdwa s4, v7, v10 src0_sel:BYTE_1 src1_sel:DWORD
	s_and_saveexec_b32 s15, s4
	s_cbranch_execz .LBB241_2679
; %bb.2672:                             ;   in Loop: Header=BB241_1574 Depth=1
	v_mov_b32_e32 v11, v10
	v_mov_b32_e32 v18, v12
	v_cmp_ne_u16_sdwa s4, v7, v41 src0_sel:BYTE_1 src1_sel:DWORD
	v_mov_b32_e32 v17, v11
	s_and_saveexec_b32 s17, s4
	s_cbranch_execz .LBB241_2678
; %bb.2673:                             ;   in Loop: Header=BB241_1574 Depth=1
	v_and_b32_sdwa v8, v36, v7 dst_sel:DWORD dst_unused:UNUSED_PAD src0_sel:DWORD src1_sel:BYTE_1
	v_mov_b32_e32 v13, v10
	v_mov_b32_e32 v18, v14
	s_mov_b32 s18, exec_lo
	v_and_b32_e32 v11, 0x7f, v8
	v_mov_b32_e32 v17, v13
	v_cmpx_ne_u32_e32 0x7f, v11
	s_cbranch_execz .LBB241_2677
; %bb.2674:                             ;   in Loop: Header=BB241_1574 Depth=1
	v_and_b32_e32 v9, 7, v8
	v_lshrrev_b32_e32 v8, 3, v11
	s_mov_b32 s19, exec_lo
	v_cmpx_gt_u32_e32 8, v11
; %bb.2675:                             ;   in Loop: Header=BB241_1574 Depth=1
	v_ffbh_u32_e32 v8, v9
	v_min_u32_e32 v8, 32, v8
	v_subrev_nc_u32_e32 v11, 28, v8
	v_sub_nc_u32_e32 v8, 29, v8
	v_lshlrev_b64 v[17:18], v11, v[9:10]
	v_and_b32_e32 v9, 7, v17
; %bb.2676:                             ;   in Loop: Header=BB241_1574 Depth=1
	s_or_b32 exec_lo, exec_lo, s19
	v_lshlrev_b32_e32 v11, 16, v7
	v_lshlrev_b32_e32 v9, 20, v9
	v_lshl_add_u32 v8, v8, 23, 0x3c000000
	v_mov_b32_e32 v17, v10
	v_and_b32_e32 v11, 0x80000000, v11
	v_or3_b32 v18, v9, v11, v8
.LBB241_2677:                           ;   in Loop: Header=BB241_1574 Depth=1
	s_or_b32 exec_lo, exec_lo, s18
.LBB241_2678:                           ;   in Loop: Header=BB241_1574 Depth=1
	s_or_b32 exec_lo, exec_lo, s17
.LBB241_2679:                           ;   in Loop: Header=BB241_1574 Depth=1
	s_or_b32 exec_lo, exec_lo, s15
	v_mov_b32_e32 v19, 0
	v_mov_b32_e32 v21, 0
	v_and_b32_sdwa v8, v7, v43 dst_sel:DWORD dst_unused:UNUSED_PAD src0_sel:WORD_1 src1_sel:DWORD
	v_mov_b32_e32 v20, 0
	v_mov_b32_e32 v22, 0
	s_mov_b32 s15, exec_lo
	v_cmpx_ne_u16_e32 0, v8
	s_cbranch_execz .LBB241_2687
; %bb.2680:                             ;   in Loop: Header=BB241_1574 Depth=1
	v_bfrev_b32_e32 v21, 1
	v_mov_b32_e32 v22, 0
	s_mov_b32 s17, exec_lo
	v_cmpx_ne_u16_e32 0x80, v8
	s_cbranch_execz .LBB241_2686
; %bb.2681:                             ;   in Loop: Header=BB241_1574 Depth=1
	v_mov_b32_e32 v21, 0x7f800001
	v_bfe_u32 v11, v7, 16, 7
	v_mov_b32_e32 v22, 0
	s_mov_b32 s18, exec_lo
	v_cmpx_ne_u32_e32 0x7f, v11
	s_cbranch_execz .LBB241_2685
; %bb.2682:                             ;   in Loop: Header=BB241_1574 Depth=1
	v_mov_b32_e32 v8, 7
	s_mov_b32 s19, exec_lo
	v_and_b32_sdwa v9, v7, v8 dst_sel:DWORD dst_unused:UNUSED_PAD src0_sel:WORD_1 src1_sel:DWORD
	v_lshrrev_b32_e32 v8, 3, v11
	v_cmpx_gt_u32_e32 8, v11
; %bb.2683:                             ;   in Loop: Header=BB241_1574 Depth=1
	v_ffbh_u32_e32 v8, v9
	v_min_u32_e32 v8, 32, v8
	v_subrev_nc_u32_e32 v11, 28, v8
	v_sub_nc_u32_e32 v8, 29, v8
	v_lshlrev_b64 v[21:22], v11, v[9:10]
	v_and_b32_e32 v9, 7, v21
; %bb.2684:                             ;   in Loop: Header=BB241_1574 Depth=1
	s_or_b32 exec_lo, exec_lo, s19
	v_mov_b32_e32 v11, 24
	v_lshlrev_b32_e32 v9, 20, v9
	v_lshl_add_u32 v8, v8, 23, 0x3c000000
	v_lshlrev_b32_sdwa v11, v11, v7 dst_sel:DWORD dst_unused:UNUSED_PAD src0_sel:DWORD src1_sel:WORD_1
	v_and_b32_e32 v11, 0x80000000, v11
	v_or3_b32 v9, v9, v11, v8
	v_mov_b32_e32 v22, v10
	v_mov_b32_e32 v21, v9
.LBB241_2685:                           ;   in Loop: Header=BB241_1574 Depth=1
	s_or_b32 exec_lo, exec_lo, s18
.LBB241_2686:                           ;   in Loop: Header=BB241_1574 Depth=1
	s_or_b32 exec_lo, exec_lo, s17
.LBB241_2687:                           ;   in Loop: Header=BB241_1574 Depth=1
	s_or_b32 exec_lo, exec_lo, s15
	s_mov_b32 s15, exec_lo
	v_cmpx_lt_u32_e32 0xffffff, v7
	s_cbranch_execz .LBB241_2695
; %bb.2688:                             ;   in Loop: Header=BB241_1574 Depth=1
	v_mov_b32_e32 v11, v10
	v_mov_b32_e32 v20, v12
	v_cmp_ne_u32_sdwa s4, v7, v41 src0_sel:BYTE_3 src1_sel:DWORD
	v_mov_b32_e32 v19, v11
	s_and_saveexec_b32 s17, s4
	s_cbranch_execz .LBB241_2694
; %bb.2689:                             ;   in Loop: Header=BB241_1574 Depth=1
	v_mov_b32_e32 v13, v10
	v_mov_b32_e32 v20, v14
	v_bfe_u32 v11, v7, 24, 7
	s_mov_b32 s18, exec_lo
	v_mov_b32_e32 v19, v13
	v_cmpx_ne_u32_e32 0x7f, v11
	s_cbranch_execz .LBB241_2693
; %bb.2690:                             ;   in Loop: Header=BB241_1574 Depth=1
	v_mov_b32_e32 v8, 7
	s_mov_b32 s19, exec_lo
	v_and_b32_sdwa v9, v7, v8 dst_sel:DWORD dst_unused:UNUSED_PAD src0_sel:BYTE_3 src1_sel:DWORD
	v_lshrrev_b32_e32 v8, 3, v11
	v_cmpx_gt_u32_e32 8, v11
; %bb.2691:                             ;   in Loop: Header=BB241_1574 Depth=1
	v_ffbh_u32_e32 v8, v9
	v_min_u32_e32 v8, 32, v8
	v_subrev_nc_u32_e32 v11, 28, v8
	v_sub_nc_u32_e32 v8, 29, v8
	v_lshlrev_b64 v[19:20], v11, v[9:10]
	v_and_b32_e32 v9, 7, v19
; %bb.2692:                             ;   in Loop: Header=BB241_1574 Depth=1
	s_or_b32 exec_lo, exec_lo, s19
	v_mov_b32_e32 v11, 24
	v_lshlrev_b32_e32 v9, 20, v9
	v_lshl_add_u32 v8, v8, 23, 0x3c000000
	v_mov_b32_e32 v19, v10
	v_lshlrev_b32_sdwa v7, v11, v7 dst_sel:DWORD dst_unused:UNUSED_PAD src0_sel:DWORD src1_sel:BYTE_3
	v_and_b32_e32 v7, 0x80000000, v7
	v_or3_b32 v20, v9, v7, v8
.LBB241_2693:                           ;   in Loop: Header=BB241_1574 Depth=1
	s_or_b32 exec_lo, exec_lo, s18
.LBB241_2694:                           ;   in Loop: Header=BB241_1574 Depth=1
	s_or_b32 exec_lo, exec_lo, s17
.LBB241_2695:                           ;   in Loop: Header=BB241_1574 Depth=1
	s_or_b32 exec_lo, exec_lo, s15
	v_or_b32_e32 v5, v18, v5
	v_or_b32_e32 v4, v17, v4
	;; [unrolled: 1-line block ×4, first 2 shown]
	v_mul_f32_e32 v7, v63, v5
	v_mul_f32_e32 v56, v63, v4
	;; [unrolled: 1-line block ×4, first 2 shown]
	s_and_saveexec_b32 s15, vcc_lo
	s_cbranch_execz .LBB241_2697
; %bb.2696:                             ;   in Loop: Header=BB241_1574 Depth=1
	buffer_load_dword v4, off, s[0:3], s32 offset:208 ; 4-byte Folded Reload
	s_waitcnt vmcnt(0)
	v_cmp_lt_i32_e64 s4, v62, v4
	v_cndmask_b32_e64 v56, 0, v56, s4
	v_cmp_lt_i32_e64 s4, v78, v4
	v_cndmask_b32_e64 v7, 0, v7, s4
	;; [unrolled: 2-line block ×4, first 2 shown]
.LBB241_2697:                           ;   in Loop: Header=BB241_1574 Depth=1
	s_or_b32 exec_lo, exec_lo, s15
	flat_load_dword v8, v[15:16] offset:128
	v_mov_b32_e32 v17, 0
	v_mov_b32_e32 v4, 0
	v_mov_b32_e32 v18, 0
	v_mov_b32_e32 v5, 0
	s_waitcnt vmcnt(0) lgkmcnt(0)
	v_cmp_ne_u16_sdwa s4, v8, v10 src0_sel:BYTE_0 src1_sel:DWORD
	s_and_saveexec_b32 s15, s4
	s_cbranch_execz .LBB241_2705
; %bb.2698:                             ;   in Loop: Header=BB241_1574 Depth=1
	v_bfrev_b32_e32 v4, 1
	v_mov_b32_e32 v5, 0
	v_cmp_ne_u16_sdwa s4, v8, v41 src0_sel:BYTE_0 src1_sel:DWORD
	s_and_saveexec_b32 s17, s4
	s_cbranch_execz .LBB241_2704
; %bb.2699:                             ;   in Loop: Header=BB241_1574 Depth=1
	v_mov_b32_e32 v4, 0x7f800001
	v_and_b32_e32 v11, 0x7f, v8
	v_mov_b32_e32 v5, 0
	s_mov_b32 s18, exec_lo
	v_cmpx_ne_u32_e32 0x7f, v11
	s_cbranch_execz .LBB241_2703
; %bb.2700:                             ;   in Loop: Header=BB241_1574 Depth=1
	v_and_b32_e32 v9, 7, v8
	v_lshrrev_b32_e32 v4, 3, v11
	s_mov_b32 s19, exec_lo
	v_cmpx_gt_u32_e32 8, v11
; %bb.2701:                             ;   in Loop: Header=BB241_1574 Depth=1
	v_ffbh_u32_e32 v4, v9
	v_min_u32_e32 v4, 32, v4
	v_subrev_nc_u32_e32 v5, 28, v4
	v_sub_nc_u32_e32 v4, 29, v4
	v_lshlrev_b64 v[19:20], v5, v[9:10]
	v_and_b32_e32 v9, 7, v19
; %bb.2702:                             ;   in Loop: Header=BB241_1574 Depth=1
	s_or_b32 exec_lo, exec_lo, s19
	v_lshlrev_b32_e32 v5, 24, v8
	v_lshlrev_b32_e32 v9, 20, v9
	v_lshl_add_u32 v4, v4, 23, 0x3c000000
	v_and_b32_e32 v5, 0x80000000, v5
	v_or3_b32 v9, v9, v5, v4
	v_mov_b32_e32 v4, v9
	v_mov_b32_e32 v5, v10
.LBB241_2703:                           ;   in Loop: Header=BB241_1574 Depth=1
	s_or_b32 exec_lo, exec_lo, s18
.LBB241_2704:                           ;   in Loop: Header=BB241_1574 Depth=1
	s_or_b32 exec_lo, exec_lo, s17
.LBB241_2705:                           ;   in Loop: Header=BB241_1574 Depth=1
	s_or_b32 exec_lo, exec_lo, s15
	v_cmp_ne_u16_sdwa s4, v8, v10 src0_sel:BYTE_1 src1_sel:DWORD
	s_and_saveexec_b32 s15, s4
	s_cbranch_execz .LBB241_2713
; %bb.2706:                             ;   in Loop: Header=BB241_1574 Depth=1
	v_mov_b32_e32 v11, v10
	v_mov_b32_e32 v18, v12
	v_cmp_ne_u16_sdwa s4, v8, v41 src0_sel:BYTE_1 src1_sel:DWORD
	v_mov_b32_e32 v17, v11
	s_and_saveexec_b32 s17, s4
	s_cbranch_execz .LBB241_2712
; %bb.2707:                             ;   in Loop: Header=BB241_1574 Depth=1
	v_and_b32_sdwa v9, v36, v8 dst_sel:DWORD dst_unused:UNUSED_PAD src0_sel:DWORD src1_sel:BYTE_1
	v_mov_b32_e32 v13, v10
	v_mov_b32_e32 v18, v14
	s_mov_b32 s18, exec_lo
	v_and_b32_e32 v19, 0x7f, v9
	v_mov_b32_e32 v17, v13
	v_cmpx_ne_u32_e32 0x7f, v19
	s_cbranch_execz .LBB241_2711
; %bb.2708:                             ;   in Loop: Header=BB241_1574 Depth=1
	v_and_b32_e32 v9, 7, v9
	v_lshrrev_b32_e32 v11, 3, v19
	s_mov_b32 s19, exec_lo
	v_cmpx_gt_u32_e32 8, v19
; %bb.2709:                             ;   in Loop: Header=BB241_1574 Depth=1
	v_ffbh_u32_e32 v11, v9
	v_min_u32_e32 v11, 32, v11
	v_subrev_nc_u32_e32 v13, 28, v11
	v_sub_nc_u32_e32 v11, 29, v11
	v_lshlrev_b64 v[17:18], v13, v[9:10]
	v_and_b32_e32 v9, 7, v17
; %bb.2710:                             ;   in Loop: Header=BB241_1574 Depth=1
	s_or_b32 exec_lo, exec_lo, s19
	v_lshlrev_b32_e32 v13, 16, v8
	v_lshlrev_b32_e32 v9, 20, v9
	v_lshl_add_u32 v11, v11, 23, 0x3c000000
	v_mov_b32_e32 v17, v10
	v_and_b32_e32 v13, 0x80000000, v13
	v_or3_b32 v18, v9, v13, v11
.LBB241_2711:                           ;   in Loop: Header=BB241_1574 Depth=1
	s_or_b32 exec_lo, exec_lo, s18
.LBB241_2712:                           ;   in Loop: Header=BB241_1574 Depth=1
	s_or_b32 exec_lo, exec_lo, s17
.LBB241_2713:                           ;   in Loop: Header=BB241_1574 Depth=1
	s_or_b32 exec_lo, exec_lo, s15
	v_mov_b32_e32 v19, 0
	v_mov_b32_e32 v21, 0
	v_and_b32_sdwa v9, v8, v43 dst_sel:DWORD dst_unused:UNUSED_PAD src0_sel:WORD_1 src1_sel:DWORD
	v_mov_b32_e32 v20, 0
	v_mov_b32_e32 v22, 0
	s_mov_b32 s15, exec_lo
	v_cmpx_ne_u16_e32 0, v9
	s_cbranch_execz .LBB241_2721
; %bb.2714:                             ;   in Loop: Header=BB241_1574 Depth=1
	v_bfrev_b32_e32 v21, 1
	v_mov_b32_e32 v22, 0
	s_mov_b32 s17, exec_lo
	v_cmpx_ne_u16_e32 0x80, v9
	s_cbranch_execz .LBB241_2720
; %bb.2715:                             ;   in Loop: Header=BB241_1574 Depth=1
	v_mov_b32_e32 v21, 0x7f800001
	v_bfe_u32 v13, v8, 16, 7
	v_mov_b32_e32 v22, 0
	s_mov_b32 s18, exec_lo
	v_cmpx_ne_u32_e32 0x7f, v13
	s_cbranch_execz .LBB241_2719
; %bb.2716:                             ;   in Loop: Header=BB241_1574 Depth=1
	v_mov_b32_e32 v9, 7
	v_lshrrev_b32_e32 v11, 3, v13
	s_mov_b32 s19, exec_lo
	v_and_b32_sdwa v9, v8, v9 dst_sel:DWORD dst_unused:UNUSED_PAD src0_sel:WORD_1 src1_sel:DWORD
	v_cmpx_gt_u32_e32 8, v13
; %bb.2717:                             ;   in Loop: Header=BB241_1574 Depth=1
	v_ffbh_u32_e32 v11, v9
	v_min_u32_e32 v11, 32, v11
	v_subrev_nc_u32_e32 v13, 28, v11
	v_sub_nc_u32_e32 v11, 29, v11
	v_lshlrev_b64 v[21:22], v13, v[9:10]
	v_and_b32_e32 v9, 7, v21
; %bb.2718:                             ;   in Loop: Header=BB241_1574 Depth=1
	s_or_b32 exec_lo, exec_lo, s19
	v_mov_b32_e32 v13, 24
	v_lshlrev_b32_e32 v9, 20, v9
	v_lshl_add_u32 v11, v11, 23, 0x3c000000
	v_lshlrev_b32_sdwa v13, v13, v8 dst_sel:DWORD dst_unused:UNUSED_PAD src0_sel:DWORD src1_sel:WORD_1
	v_and_b32_e32 v13, 0x80000000, v13
	v_or3_b32 v9, v9, v13, v11
	v_mov_b32_e32 v22, v10
	v_mov_b32_e32 v21, v9
.LBB241_2719:                           ;   in Loop: Header=BB241_1574 Depth=1
	s_or_b32 exec_lo, exec_lo, s18
.LBB241_2720:                           ;   in Loop: Header=BB241_1574 Depth=1
	s_or_b32 exec_lo, exec_lo, s17
.LBB241_2721:                           ;   in Loop: Header=BB241_1574 Depth=1
	s_or_b32 exec_lo, exec_lo, s15
	s_mov_b32 s15, exec_lo
	v_cmpx_lt_u32_e32 0xffffff, v8
	s_cbranch_execz .LBB241_2729
; %bb.2722:                             ;   in Loop: Header=BB241_1574 Depth=1
	v_mov_b32_e32 v11, v10
	v_mov_b32_e32 v20, v12
	v_cmp_ne_u32_sdwa s4, v8, v41 src0_sel:BYTE_3 src1_sel:DWORD
	v_mov_b32_e32 v19, v11
	s_and_saveexec_b32 s17, s4
	s_cbranch_execz .LBB241_2728
; %bb.2723:                             ;   in Loop: Header=BB241_1574 Depth=1
	v_mov_b32_e32 v13, v10
	v_mov_b32_e32 v20, v14
	v_bfe_u32 v29, v8, 24, 7
	s_mov_b32 s18, exec_lo
	v_mov_b32_e32 v19, v13
	v_cmpx_ne_u32_e32 0x7f, v29
	s_cbranch_execz .LBB241_2727
; %bb.2724:                             ;   in Loop: Header=BB241_1574 Depth=1
	v_mov_b32_e32 v9, 7
	v_lshrrev_b32_e32 v11, 3, v29
	s_mov_b32 s19, exec_lo
	v_and_b32_sdwa v9, v8, v9 dst_sel:DWORD dst_unused:UNUSED_PAD src0_sel:BYTE_3 src1_sel:DWORD
	v_mov_b32_e32 v20, v10
	v_mov_b32_e32 v19, v9
	v_cmpx_gt_u32_e32 8, v29
; %bb.2725:                             ;   in Loop: Header=BB241_1574 Depth=1
	v_ffbh_u32_e32 v11, v9
	v_min_u32_e32 v11, 32, v11
	v_subrev_nc_u32_e32 v13, 28, v11
	v_sub_nc_u32_e32 v11, 29, v11
	v_lshlrev_b64 v[19:20], v13, v[9:10]
	v_and_b32_e32 v19, 7, v19
; %bb.2726:                             ;   in Loop: Header=BB241_1574 Depth=1
	s_or_b32 exec_lo, exec_lo, s19
	v_mov_b32_e32 v9, 24
	v_lshl_add_u32 v11, v11, 23, 0x3c000000
	v_lshlrev_b32_sdwa v8, v9, v8 dst_sel:DWORD dst_unused:UNUSED_PAD src0_sel:DWORD src1_sel:BYTE_3
	v_lshlrev_b32_e32 v9, 20, v19
	v_mov_b32_e32 v19, v10
	v_and_b32_e32 v8, 0x80000000, v8
	v_or3_b32 v20, v9, v8, v11
.LBB241_2727:                           ;   in Loop: Header=BB241_1574 Depth=1
	s_or_b32 exec_lo, exec_lo, s18
.LBB241_2728:                           ;   in Loop: Header=BB241_1574 Depth=1
	s_or_b32 exec_lo, exec_lo, s17
.LBB241_2729:                           ;   in Loop: Header=BB241_1574 Depth=1
	s_or_b32 exec_lo, exec_lo, s15
	v_or_b32_e32 v5, v18, v5
	v_or_b32_e32 v4, v17, v4
	;; [unrolled: 1-line block ×4, first 2 shown]
	v_mul_f32_e32 v30, v63, v5
	v_mul_f32_e32 v29, v63, v4
	;; [unrolled: 1-line block ×4, first 2 shown]
	s_and_saveexec_b32 s15, vcc_lo
	s_cbranch_execz .LBB241_2731
; %bb.2730:                             ;   in Loop: Header=BB241_1574 Depth=1
	buffer_load_dword v4, off, s[0:3], s32 offset:208 ; 4-byte Folded Reload
	s_waitcnt vmcnt(0)
	v_cmp_lt_i32_e64 s4, v62, v4
	v_cndmask_b32_e64 v29, 0, v29, s4
	v_cmp_lt_i32_e64 s4, v78, v4
	v_cndmask_b32_e64 v30, 0, v30, s4
	;; [unrolled: 2-line block ×4, first 2 shown]
.LBB241_2731:                           ;   in Loop: Header=BB241_1574 Depth=1
	s_or_b32 exec_lo, exec_lo, s15
	flat_load_dword v31, v[15:16] offset:256
	v_mov_b32_e32 v17, 0
	v_mov_b32_e32 v4, 0
	;; [unrolled: 1-line block ×4, first 2 shown]
	s_waitcnt vmcnt(0) lgkmcnt(0)
	v_cmp_ne_u16_sdwa s4, v31, v10 src0_sel:BYTE_0 src1_sel:DWORD
	s_and_saveexec_b32 s15, s4
	s_cbranch_execz .LBB241_2739
; %bb.2732:                             ;   in Loop: Header=BB241_1574 Depth=1
	v_bfrev_b32_e32 v4, 1
	v_mov_b32_e32 v5, 0
	v_cmp_ne_u16_sdwa s4, v31, v41 src0_sel:BYTE_0 src1_sel:DWORD
	s_and_saveexec_b32 s17, s4
	s_cbranch_execz .LBB241_2738
; %bb.2733:                             ;   in Loop: Header=BB241_1574 Depth=1
	v_mov_b32_e32 v4, 0x7f800001
	v_and_b32_e32 v13, 0x7f, v31
	v_mov_b32_e32 v5, 0
	s_mov_b32 s18, exec_lo
	v_cmpx_ne_u32_e32 0x7f, v13
	s_cbranch_execz .LBB241_2737
; %bb.2734:                             ;   in Loop: Header=BB241_1574 Depth=1
	v_and_b32_e32 v9, 7, v31
	v_lshrrev_b32_e32 v11, 3, v13
	s_mov_b32 s19, exec_lo
	v_mov_b32_e32 v4, v9
	v_mov_b32_e32 v5, v10
	v_cmpx_gt_u32_e32 8, v13
; %bb.2735:                             ;   in Loop: Header=BB241_1574 Depth=1
	v_ffbh_u32_e32 v4, v9
	v_min_u32_e32 v11, 32, v4
	v_subrev_nc_u32_e32 v4, 28, v11
	v_sub_nc_u32_e32 v11, 29, v11
	v_lshlrev_b64 v[4:5], v4, v[9:10]
	v_and_b32_e32 v4, 7, v4
; %bb.2736:                             ;   in Loop: Header=BB241_1574 Depth=1
	s_or_b32 exec_lo, exec_lo, s19
	v_lshlrev_b32_e32 v5, 24, v31
	v_lshlrev_b32_e32 v4, 20, v4
	v_lshl_add_u32 v9, v11, 23, 0x3c000000
	v_and_b32_e32 v5, 0x80000000, v5
	v_or3_b32 v9, v4, v5, v9
	v_mov_b32_e32 v4, v9
	v_mov_b32_e32 v5, v10
.LBB241_2737:                           ;   in Loop: Header=BB241_1574 Depth=1
	s_or_b32 exec_lo, exec_lo, s18
.LBB241_2738:                           ;   in Loop: Header=BB241_1574 Depth=1
	s_or_b32 exec_lo, exec_lo, s17
.LBB241_2739:                           ;   in Loop: Header=BB241_1574 Depth=1
	s_or_b32 exec_lo, exec_lo, s15
	v_cmp_ne_u16_sdwa s4, v31, v10 src0_sel:BYTE_1 src1_sel:DWORD
	s_and_saveexec_b32 s15, s4
	s_cbranch_execz .LBB241_2747
; %bb.2740:                             ;   in Loop: Header=BB241_1574 Depth=1
	v_mov_b32_e32 v11, v10
	v_mov_b32_e32 v18, v12
	v_cmp_ne_u16_sdwa s4, v31, v41 src0_sel:BYTE_1 src1_sel:DWORD
	v_mov_b32_e32 v17, v11
	s_and_saveexec_b32 s17, s4
	s_cbranch_execz .LBB241_2746
; %bb.2741:                             ;   in Loop: Header=BB241_1574 Depth=1
	v_and_b32_sdwa v9, v36, v31 dst_sel:DWORD dst_unused:UNUSED_PAD src0_sel:DWORD src1_sel:BYTE_1
	v_mov_b32_e32 v13, v10
	v_mov_b32_e32 v18, v14
	s_mov_b32 s18, exec_lo
	v_and_b32_e32 v19, 0x7f, v9
	v_mov_b32_e32 v17, v13
	v_cmpx_ne_u32_e32 0x7f, v19
	s_cbranch_execz .LBB241_2745
; %bb.2742:                             ;   in Loop: Header=BB241_1574 Depth=1
	v_and_b32_e32 v9, 7, v9
	v_mov_b32_e32 v18, v10
	v_lshrrev_b32_e32 v11, 3, v19
	s_mov_b32 s19, exec_lo
	v_mov_b32_e32 v17, v9
	v_cmpx_gt_u32_e32 8, v19
; %bb.2743:                             ;   in Loop: Header=BB241_1574 Depth=1
	v_ffbh_u32_e32 v11, v9
	v_min_u32_e32 v11, 32, v11
	v_subrev_nc_u32_e32 v13, 28, v11
	v_sub_nc_u32_e32 v11, 29, v11
	v_lshlrev_b64 v[17:18], v13, v[9:10]
	v_and_b32_e32 v17, 7, v17
; %bb.2744:                             ;   in Loop: Header=BB241_1574 Depth=1
	s_or_b32 exec_lo, exec_lo, s19
	v_lshlrev_b32_e32 v9, 16, v31
	v_lshlrev_b32_e32 v13, 20, v17
	v_lshl_add_u32 v11, v11, 23, 0x3c000000
	v_mov_b32_e32 v17, v10
	v_and_b32_e32 v9, 0x80000000, v9
	v_or3_b32 v18, v13, v9, v11
.LBB241_2745:                           ;   in Loop: Header=BB241_1574 Depth=1
	s_or_b32 exec_lo, exec_lo, s18
.LBB241_2746:                           ;   in Loop: Header=BB241_1574 Depth=1
	s_or_b32 exec_lo, exec_lo, s17
.LBB241_2747:                           ;   in Loop: Header=BB241_1574 Depth=1
	s_or_b32 exec_lo, exec_lo, s15
	v_mov_b32_e32 v19, 0
	v_mov_b32_e32 v21, 0
	v_and_b32_sdwa v9, v31, v43 dst_sel:DWORD dst_unused:UNUSED_PAD src0_sel:WORD_1 src1_sel:DWORD
	v_mov_b32_e32 v20, 0
	v_mov_b32_e32 v22, 0
	s_mov_b32 s15, exec_lo
	v_cmpx_ne_u16_e32 0, v9
	s_cbranch_execz .LBB241_2755
; %bb.2748:                             ;   in Loop: Header=BB241_1574 Depth=1
	v_bfrev_b32_e32 v21, 1
	v_mov_b32_e32 v22, 0
	s_mov_b32 s17, exec_lo
	v_cmpx_ne_u16_e32 0x80, v9
	s_cbranch_execz .LBB241_2754
; %bb.2749:                             ;   in Loop: Header=BB241_1574 Depth=1
	v_mov_b32_e32 v21, 0x7f800001
	v_bfe_u32 v13, v31, 16, 7
	v_mov_b32_e32 v22, 0
	s_mov_b32 s18, exec_lo
	v_cmpx_ne_u32_e32 0x7f, v13
	s_cbranch_execz .LBB241_2753
; %bb.2750:                             ;   in Loop: Header=BB241_1574 Depth=1
	v_mov_b32_e32 v9, 7
	v_lshrrev_b32_e32 v11, 3, v13
	s_mov_b32 s19, exec_lo
	v_and_b32_sdwa v9, v31, v9 dst_sel:DWORD dst_unused:UNUSED_PAD src0_sel:WORD_1 src1_sel:DWORD
	v_mov_b32_e32 v22, v10
	v_mov_b32_e32 v21, v9
	v_cmpx_gt_u32_e32 8, v13
; %bb.2751:                             ;   in Loop: Header=BB241_1574 Depth=1
	v_ffbh_u32_e32 v11, v9
	v_min_u32_e32 v11, 32, v11
	v_subrev_nc_u32_e32 v13, 28, v11
	v_sub_nc_u32_e32 v11, 29, v11
	v_lshlrev_b64 v[21:22], v13, v[9:10]
	v_and_b32_e32 v21, 7, v21
; %bb.2752:                             ;   in Loop: Header=BB241_1574 Depth=1
	s_or_b32 exec_lo, exec_lo, s19
	v_mov_b32_e32 v9, 24
	v_lshlrev_b32_e32 v13, 20, v21
	v_lshl_add_u32 v11, v11, 23, 0x3c000000
	v_lshlrev_b32_sdwa v9, v9, v31 dst_sel:DWORD dst_unused:UNUSED_PAD src0_sel:DWORD src1_sel:WORD_1
	v_and_b32_e32 v9, 0x80000000, v9
	v_or3_b32 v9, v13, v9, v11
	v_mov_b32_e32 v22, v10
	v_mov_b32_e32 v21, v9
.LBB241_2753:                           ;   in Loop: Header=BB241_1574 Depth=1
	s_or_b32 exec_lo, exec_lo, s18
.LBB241_2754:                           ;   in Loop: Header=BB241_1574 Depth=1
	s_or_b32 exec_lo, exec_lo, s17
.LBB241_2755:                           ;   in Loop: Header=BB241_1574 Depth=1
	s_or_b32 exec_lo, exec_lo, s15
	s_mov_b32 s15, exec_lo
	v_cmpx_lt_u32_e32 0xffffff, v31
	s_cbranch_execz .LBB241_2763
; %bb.2756:                             ;   in Loop: Header=BB241_1574 Depth=1
	v_mov_b32_e32 v11, v10
	v_mov_b32_e32 v20, v12
	v_cmp_ne_u32_sdwa s4, v31, v41 src0_sel:BYTE_3 src1_sel:DWORD
	v_mov_b32_e32 v19, v11
	s_and_saveexec_b32 s17, s4
	s_cbranch_execz .LBB241_2762
; %bb.2757:                             ;   in Loop: Header=BB241_1574 Depth=1
	v_mov_b32_e32 v13, v10
	v_mov_b32_e32 v20, v14
	v_bfe_u32 v32, v31, 24, 7
	s_mov_b32 s18, exec_lo
	v_mov_b32_e32 v19, v13
	v_cmpx_ne_u32_e32 0x7f, v32
	s_cbranch_execz .LBB241_2761
; %bb.2758:                             ;   in Loop: Header=BB241_1574 Depth=1
	v_mov_b32_e32 v9, 7
	v_lshrrev_b32_e32 v11, 3, v32
	s_mov_b32 s19, exec_lo
	v_and_b32_sdwa v9, v31, v9 dst_sel:DWORD dst_unused:UNUSED_PAD src0_sel:BYTE_3 src1_sel:DWORD
	v_mov_b32_e32 v20, v10
	v_mov_b32_e32 v19, v9
	v_cmpx_gt_u32_e32 8, v32
; %bb.2759:                             ;   in Loop: Header=BB241_1574 Depth=1
	v_ffbh_u32_e32 v11, v9
	v_min_u32_e32 v11, 32, v11
	v_subrev_nc_u32_e32 v13, 28, v11
	v_sub_nc_u32_e32 v11, 29, v11
	v_lshlrev_b64 v[19:20], v13, v[9:10]
	v_and_b32_e32 v19, 7, v19
; %bb.2760:                             ;   in Loop: Header=BB241_1574 Depth=1
	s_or_b32 exec_lo, exec_lo, s19
	v_mov_b32_e32 v9, 24
	v_lshlrev_b32_e32 v13, 20, v19
	v_lshl_add_u32 v11, v11, 23, 0x3c000000
	v_mov_b32_e32 v19, v10
	v_lshlrev_b32_sdwa v9, v9, v31 dst_sel:DWORD dst_unused:UNUSED_PAD src0_sel:DWORD src1_sel:BYTE_3
	v_and_b32_e32 v9, 0x80000000, v9
	v_or3_b32 v20, v13, v9, v11
.LBB241_2761:                           ;   in Loop: Header=BB241_1574 Depth=1
	s_or_b32 exec_lo, exec_lo, s18
.LBB241_2762:                           ;   in Loop: Header=BB241_1574 Depth=1
	s_or_b32 exec_lo, exec_lo, s17
.LBB241_2763:                           ;   in Loop: Header=BB241_1574 Depth=1
	s_or_b32 exec_lo, exec_lo, s15
	v_or_b32_e32 v5, v18, v5
	v_or_b32_e32 v4, v17, v4
	;; [unrolled: 1-line block ×4, first 2 shown]
	v_mul_f32_e32 v34, v63, v5
	v_mul_f32_e32 v33, v63, v4
	;; [unrolled: 1-line block ×4, first 2 shown]
	s_and_saveexec_b32 s15, vcc_lo
	s_cbranch_execz .LBB241_2765
; %bb.2764:                             ;   in Loop: Header=BB241_1574 Depth=1
	buffer_load_dword v4, off, s[0:3], s32 offset:208 ; 4-byte Folded Reload
	s_waitcnt vmcnt(0)
	v_cmp_lt_i32_e64 s4, v62, v4
	v_cndmask_b32_e64 v33, 0, v33, s4
	v_cmp_lt_i32_e64 s4, v78, v4
	v_cndmask_b32_e64 v34, 0, v34, s4
	;; [unrolled: 2-line block ×4, first 2 shown]
.LBB241_2765:                           ;   in Loop: Header=BB241_1574 Depth=1
	s_or_b32 exec_lo, exec_lo, s15
	flat_load_dword v35, v[15:16] offset:384
	v_mov_b32_e32 v17, 0
	v_mov_b32_e32 v4, 0
	;; [unrolled: 1-line block ×4, first 2 shown]
	s_waitcnt vmcnt(0) lgkmcnt(0)
	v_cmp_ne_u16_sdwa s4, v35, v10 src0_sel:BYTE_0 src1_sel:DWORD
	s_and_saveexec_b32 s15, s4
	s_cbranch_execz .LBB241_2773
; %bb.2766:                             ;   in Loop: Header=BB241_1574 Depth=1
	v_bfrev_b32_e32 v4, 1
	v_mov_b32_e32 v5, 0
	v_cmp_ne_u16_sdwa s4, v35, v41 src0_sel:BYTE_0 src1_sel:DWORD
	s_and_saveexec_b32 s17, s4
	s_cbranch_execz .LBB241_2772
; %bb.2767:                             ;   in Loop: Header=BB241_1574 Depth=1
	v_mov_b32_e32 v4, 0x7f800001
	v_and_b32_e32 v13, 0x7f, v35
	v_mov_b32_e32 v5, 0
	s_mov_b32 s18, exec_lo
	v_cmpx_ne_u32_e32 0x7f, v13
	s_cbranch_execz .LBB241_2771
; %bb.2768:                             ;   in Loop: Header=BB241_1574 Depth=1
	v_and_b32_e32 v9, 7, v35
	v_lshrrev_b32_e32 v11, 3, v13
	s_mov_b32 s19, exec_lo
	v_mov_b32_e32 v4, v9
	v_mov_b32_e32 v5, v10
	v_cmpx_gt_u32_e32 8, v13
; %bb.2769:                             ;   in Loop: Header=BB241_1574 Depth=1
	v_ffbh_u32_e32 v4, v9
	v_min_u32_e32 v11, 32, v4
	v_subrev_nc_u32_e32 v4, 28, v11
	v_sub_nc_u32_e32 v11, 29, v11
	v_lshlrev_b64 v[4:5], v4, v[9:10]
	v_and_b32_e32 v4, 7, v4
; %bb.2770:                             ;   in Loop: Header=BB241_1574 Depth=1
	s_or_b32 exec_lo, exec_lo, s19
	v_lshlrev_b32_e32 v5, 24, v35
	v_lshlrev_b32_e32 v4, 20, v4
	v_lshl_add_u32 v9, v11, 23, 0x3c000000
	v_and_b32_e32 v5, 0x80000000, v5
	v_or3_b32 v9, v4, v5, v9
	v_mov_b32_e32 v4, v9
	v_mov_b32_e32 v5, v10
.LBB241_2771:                           ;   in Loop: Header=BB241_1574 Depth=1
	s_or_b32 exec_lo, exec_lo, s18
.LBB241_2772:                           ;   in Loop: Header=BB241_1574 Depth=1
	s_or_b32 exec_lo, exec_lo, s17
.LBB241_2773:                           ;   in Loop: Header=BB241_1574 Depth=1
	s_or_b32 exec_lo, exec_lo, s15
	v_cmp_ne_u16_sdwa s4, v35, v10 src0_sel:BYTE_1 src1_sel:DWORD
	s_and_saveexec_b32 s15, s4
	s_cbranch_execz .LBB241_2781
; %bb.2774:                             ;   in Loop: Header=BB241_1574 Depth=1
	v_mov_b32_e32 v11, v10
	v_mov_b32_e32 v18, v12
	v_cmp_ne_u16_sdwa s4, v35, v41 src0_sel:BYTE_1 src1_sel:DWORD
	v_mov_b32_e32 v17, v11
	s_and_saveexec_b32 s17, s4
	s_cbranch_execz .LBB241_2780
; %bb.2775:                             ;   in Loop: Header=BB241_1574 Depth=1
	v_and_b32_sdwa v9, v36, v35 dst_sel:DWORD dst_unused:UNUSED_PAD src0_sel:DWORD src1_sel:BYTE_1
	v_mov_b32_e32 v13, v10
	v_mov_b32_e32 v18, v14
	s_mov_b32 s18, exec_lo
	v_and_b32_e32 v19, 0x7f, v9
	v_mov_b32_e32 v17, v13
	v_cmpx_ne_u32_e32 0x7f, v19
	s_cbranch_execz .LBB241_2779
; %bb.2776:                             ;   in Loop: Header=BB241_1574 Depth=1
	v_and_b32_e32 v9, 7, v9
	v_mov_b32_e32 v18, v10
	v_lshrrev_b32_e32 v11, 3, v19
	s_mov_b32 s19, exec_lo
	v_mov_b32_e32 v17, v9
	v_cmpx_gt_u32_e32 8, v19
; %bb.2777:                             ;   in Loop: Header=BB241_1574 Depth=1
	v_ffbh_u32_e32 v11, v9
	v_min_u32_e32 v11, 32, v11
	v_subrev_nc_u32_e32 v13, 28, v11
	v_sub_nc_u32_e32 v11, 29, v11
	v_lshlrev_b64 v[17:18], v13, v[9:10]
	v_and_b32_e32 v17, 7, v17
; %bb.2778:                             ;   in Loop: Header=BB241_1574 Depth=1
	s_or_b32 exec_lo, exec_lo, s19
	v_lshlrev_b32_e32 v9, 16, v35
	v_lshlrev_b32_e32 v13, 20, v17
	v_lshl_add_u32 v11, v11, 23, 0x3c000000
	v_mov_b32_e32 v17, v10
	v_and_b32_e32 v9, 0x80000000, v9
	v_or3_b32 v18, v13, v9, v11
.LBB241_2779:                           ;   in Loop: Header=BB241_1574 Depth=1
	s_or_b32 exec_lo, exec_lo, s18
.LBB241_2780:                           ;   in Loop: Header=BB241_1574 Depth=1
	s_or_b32 exec_lo, exec_lo, s17
.LBB241_2781:                           ;   in Loop: Header=BB241_1574 Depth=1
	s_or_b32 exec_lo, exec_lo, s15
	v_mov_b32_e32 v19, 0
	v_mov_b32_e32 v21, 0
	v_and_b32_sdwa v9, v35, v43 dst_sel:DWORD dst_unused:UNUSED_PAD src0_sel:WORD_1 src1_sel:DWORD
	v_mov_b32_e32 v20, 0
	v_mov_b32_e32 v22, 0
	s_mov_b32 s15, exec_lo
	v_cmpx_ne_u16_e32 0, v9
	s_cbranch_execz .LBB241_2789
; %bb.2782:                             ;   in Loop: Header=BB241_1574 Depth=1
	v_bfrev_b32_e32 v21, 1
	v_mov_b32_e32 v22, 0
	s_mov_b32 s17, exec_lo
	v_cmpx_ne_u16_e32 0x80, v9
	s_cbranch_execz .LBB241_2788
; %bb.2783:                             ;   in Loop: Header=BB241_1574 Depth=1
	v_mov_b32_e32 v21, 0x7f800001
	v_bfe_u32 v13, v35, 16, 7
	v_mov_b32_e32 v22, 0
	s_mov_b32 s18, exec_lo
	v_cmpx_ne_u32_e32 0x7f, v13
	s_cbranch_execz .LBB241_2787
; %bb.2784:                             ;   in Loop: Header=BB241_1574 Depth=1
	v_mov_b32_e32 v9, 7
	v_lshrrev_b32_e32 v11, 3, v13
	s_mov_b32 s19, exec_lo
	v_and_b32_sdwa v9, v35, v9 dst_sel:DWORD dst_unused:UNUSED_PAD src0_sel:WORD_1 src1_sel:DWORD
	v_mov_b32_e32 v22, v10
	v_mov_b32_e32 v21, v9
	v_cmpx_gt_u32_e32 8, v13
; %bb.2785:                             ;   in Loop: Header=BB241_1574 Depth=1
	v_ffbh_u32_e32 v11, v9
	v_min_u32_e32 v11, 32, v11
	v_subrev_nc_u32_e32 v13, 28, v11
	v_sub_nc_u32_e32 v11, 29, v11
	v_lshlrev_b64 v[21:22], v13, v[9:10]
	v_and_b32_e32 v21, 7, v21
; %bb.2786:                             ;   in Loop: Header=BB241_1574 Depth=1
	s_or_b32 exec_lo, exec_lo, s19
	v_mov_b32_e32 v9, 24
	v_lshlrev_b32_e32 v13, 20, v21
	v_lshl_add_u32 v11, v11, 23, 0x3c000000
	v_lshlrev_b32_sdwa v9, v9, v35 dst_sel:DWORD dst_unused:UNUSED_PAD src0_sel:DWORD src1_sel:WORD_1
	v_and_b32_e32 v9, 0x80000000, v9
	v_or3_b32 v9, v13, v9, v11
	v_mov_b32_e32 v22, v10
	v_mov_b32_e32 v21, v9
.LBB241_2787:                           ;   in Loop: Header=BB241_1574 Depth=1
	s_or_b32 exec_lo, exec_lo, s18
.LBB241_2788:                           ;   in Loop: Header=BB241_1574 Depth=1
	s_or_b32 exec_lo, exec_lo, s17
.LBB241_2789:                           ;   in Loop: Header=BB241_1574 Depth=1
	s_or_b32 exec_lo, exec_lo, s15
	s_mov_b32 s15, exec_lo
	v_cmpx_lt_u32_e32 0xffffff, v35
	s_cbranch_execz .LBB241_2797
; %bb.2790:                             ;   in Loop: Header=BB241_1574 Depth=1
	v_mov_b32_e32 v11, v10
	v_mov_b32_e32 v20, v12
	v_cmp_ne_u32_sdwa s4, v35, v41 src0_sel:BYTE_3 src1_sel:DWORD
	v_mov_b32_e32 v19, v11
	s_and_saveexec_b32 s17, s4
	s_cbranch_execz .LBB241_2796
; %bb.2791:                             ;   in Loop: Header=BB241_1574 Depth=1
	v_mov_b32_e32 v13, v10
	v_mov_b32_e32 v20, v14
	v_bfe_u32 v36, v35, 24, 7
	s_mov_b32 s18, exec_lo
	v_mov_b32_e32 v19, v13
	v_cmpx_ne_u32_e32 0x7f, v36
	s_cbranch_execz .LBB241_2795
; %bb.2792:                             ;   in Loop: Header=BB241_1574 Depth=1
	v_mov_b32_e32 v9, 7
	v_lshrrev_b32_e32 v11, 3, v36
	s_mov_b32 s19, exec_lo
	v_and_b32_sdwa v9, v35, v9 dst_sel:DWORD dst_unused:UNUSED_PAD src0_sel:BYTE_3 src1_sel:DWORD
	v_mov_b32_e32 v20, v10
	v_mov_b32_e32 v19, v9
	v_cmpx_gt_u32_e32 8, v36
; %bb.2793:                             ;   in Loop: Header=BB241_1574 Depth=1
	v_ffbh_u32_e32 v11, v9
	v_min_u32_e32 v11, 32, v11
	v_subrev_nc_u32_e32 v13, 28, v11
	v_sub_nc_u32_e32 v11, 29, v11
	v_lshlrev_b64 v[19:20], v13, v[9:10]
	v_and_b32_e32 v19, 7, v19
; %bb.2794:                             ;   in Loop: Header=BB241_1574 Depth=1
	s_or_b32 exec_lo, exec_lo, s19
	v_mov_b32_e32 v9, 24
	v_lshlrev_b32_e32 v13, 20, v19
	v_lshl_add_u32 v11, v11, 23, 0x3c000000
	v_mov_b32_e32 v19, v10
	v_lshlrev_b32_sdwa v9, v9, v35 dst_sel:DWORD dst_unused:UNUSED_PAD src0_sel:DWORD src1_sel:BYTE_3
	v_and_b32_e32 v9, 0x80000000, v9
	v_or3_b32 v20, v13, v9, v11
.LBB241_2795:                           ;   in Loop: Header=BB241_1574 Depth=1
	s_or_b32 exec_lo, exec_lo, s18
	v_mov_b32_e32 v36, 0xffff
.LBB241_2796:                           ;   in Loop: Header=BB241_1574 Depth=1
	s_or_b32 exec_lo, exec_lo, s17
.LBB241_2797:                           ;   in Loop: Header=BB241_1574 Depth=1
	s_or_b32 exec_lo, exec_lo, s15
	v_or_b32_e32 v5, v18, v5
	v_or_b32_e32 v4, v17, v4
	;; [unrolled: 1-line block ×4, first 2 shown]
	v_mul_f32_e32 v40, v63, v5
	v_mul_f32_e32 v50, v63, v4
	;; [unrolled: 1-line block ×4, first 2 shown]
	s_and_saveexec_b32 s15, vcc_lo
	s_cbranch_execz .LBB241_2799
; %bb.2798:                             ;   in Loop: Header=BB241_1574 Depth=1
	buffer_load_dword v4, off, s[0:3], s32 offset:208 ; 4-byte Folded Reload
	s_waitcnt vmcnt(0)
	v_cmp_lt_i32_e64 s4, v62, v4
	v_cndmask_b32_e64 v50, 0, v50, s4
	v_cmp_lt_i32_e64 s4, v78, v4
	v_cndmask_b32_e64 v40, 0, v40, s4
	;; [unrolled: 2-line block ×4, first 2 shown]
.LBB241_2799:                           ;   in Loop: Header=BB241_1574 Depth=1
	s_or_b32 exec_lo, exec_lo, s15
	flat_load_dword v38, v[15:16] offset:512
	v_mov_b32_e32 v17, 0
	v_mov_b32_e32 v4, 0
	;; [unrolled: 1-line block ×4, first 2 shown]
	s_waitcnt vmcnt(0) lgkmcnt(0)
	v_cmp_ne_u16_sdwa s4, v38, v10 src0_sel:BYTE_0 src1_sel:DWORD
	s_and_saveexec_b32 s15, s4
	s_cbranch_execz .LBB241_2807
; %bb.2800:                             ;   in Loop: Header=BB241_1574 Depth=1
	v_bfrev_b32_e32 v4, 1
	v_mov_b32_e32 v5, 0
	v_cmp_ne_u16_sdwa s4, v38, v41 src0_sel:BYTE_0 src1_sel:DWORD
	s_and_saveexec_b32 s17, s4
	s_cbranch_execz .LBB241_2806
; %bb.2801:                             ;   in Loop: Header=BB241_1574 Depth=1
	v_mov_b32_e32 v4, 0x7f800001
	v_and_b32_e32 v13, 0x7f, v38
	v_mov_b32_e32 v5, 0
	s_mov_b32 s18, exec_lo
	v_cmpx_ne_u32_e32 0x7f, v13
	s_cbranch_execz .LBB241_2805
; %bb.2802:                             ;   in Loop: Header=BB241_1574 Depth=1
	v_and_b32_e32 v9, 7, v38
	v_lshrrev_b32_e32 v11, 3, v13
	s_mov_b32 s19, exec_lo
	v_mov_b32_e32 v4, v9
	v_mov_b32_e32 v5, v10
	v_cmpx_gt_u32_e32 8, v13
; %bb.2803:                             ;   in Loop: Header=BB241_1574 Depth=1
	v_ffbh_u32_e32 v4, v9
	v_min_u32_e32 v11, 32, v4
	v_subrev_nc_u32_e32 v4, 28, v11
	v_sub_nc_u32_e32 v11, 29, v11
	v_lshlrev_b64 v[4:5], v4, v[9:10]
	v_and_b32_e32 v4, 7, v4
; %bb.2804:                             ;   in Loop: Header=BB241_1574 Depth=1
	s_or_b32 exec_lo, exec_lo, s19
	v_lshlrev_b32_e32 v5, 24, v38
	v_lshlrev_b32_e32 v4, 20, v4
	v_lshl_add_u32 v9, v11, 23, 0x3c000000
	v_and_b32_e32 v5, 0x80000000, v5
	v_or3_b32 v9, v4, v5, v9
	v_mov_b32_e32 v4, v9
	v_mov_b32_e32 v5, v10
.LBB241_2805:                           ;   in Loop: Header=BB241_1574 Depth=1
	s_or_b32 exec_lo, exec_lo, s18
.LBB241_2806:                           ;   in Loop: Header=BB241_1574 Depth=1
	s_or_b32 exec_lo, exec_lo, s17
.LBB241_2807:                           ;   in Loop: Header=BB241_1574 Depth=1
	s_or_b32 exec_lo, exec_lo, s15
	v_cmp_ne_u16_sdwa s4, v38, v10 src0_sel:BYTE_1 src1_sel:DWORD
	s_and_saveexec_b32 s15, s4
	s_cbranch_execz .LBB241_2815
; %bb.2808:                             ;   in Loop: Header=BB241_1574 Depth=1
	v_mov_b32_e32 v11, v10
	v_mov_b32_e32 v18, v12
	v_cmp_ne_u16_sdwa s4, v38, v41 src0_sel:BYTE_1 src1_sel:DWORD
	v_mov_b32_e32 v17, v11
	s_and_saveexec_b32 s17, s4
	s_cbranch_execz .LBB241_2814
; %bb.2809:                             ;   in Loop: Header=BB241_1574 Depth=1
	v_and_b32_sdwa v9, v36, v38 dst_sel:DWORD dst_unused:UNUSED_PAD src0_sel:DWORD src1_sel:BYTE_1
	v_mov_b32_e32 v13, v10
	v_mov_b32_e32 v18, v14
	s_mov_b32 s18, exec_lo
	v_and_b32_e32 v19, 0x7f, v9
	v_mov_b32_e32 v17, v13
	v_cmpx_ne_u32_e32 0x7f, v19
	s_cbranch_execz .LBB241_2813
; %bb.2810:                             ;   in Loop: Header=BB241_1574 Depth=1
	v_and_b32_e32 v9, 7, v9
	v_mov_b32_e32 v18, v10
	v_lshrrev_b32_e32 v11, 3, v19
	s_mov_b32 s19, exec_lo
	v_mov_b32_e32 v17, v9
	v_cmpx_gt_u32_e32 8, v19
; %bb.2811:                             ;   in Loop: Header=BB241_1574 Depth=1
	v_ffbh_u32_e32 v11, v9
	v_min_u32_e32 v11, 32, v11
	v_subrev_nc_u32_e32 v13, 28, v11
	v_sub_nc_u32_e32 v11, 29, v11
	v_lshlrev_b64 v[17:18], v13, v[9:10]
	v_and_b32_e32 v17, 7, v17
; %bb.2812:                             ;   in Loop: Header=BB241_1574 Depth=1
	s_or_b32 exec_lo, exec_lo, s19
	v_lshlrev_b32_e32 v9, 16, v38
	v_lshlrev_b32_e32 v13, 20, v17
	v_lshl_add_u32 v11, v11, 23, 0x3c000000
	v_mov_b32_e32 v17, v10
	v_and_b32_e32 v9, 0x80000000, v9
	v_or3_b32 v18, v13, v9, v11
.LBB241_2813:                           ;   in Loop: Header=BB241_1574 Depth=1
	s_or_b32 exec_lo, exec_lo, s18
.LBB241_2814:                           ;   in Loop: Header=BB241_1574 Depth=1
	s_or_b32 exec_lo, exec_lo, s17
.LBB241_2815:                           ;   in Loop: Header=BB241_1574 Depth=1
	s_or_b32 exec_lo, exec_lo, s15
	v_mov_b32_e32 v19, 0
	v_mov_b32_e32 v21, 0
	v_and_b32_sdwa v9, v38, v43 dst_sel:DWORD dst_unused:UNUSED_PAD src0_sel:WORD_1 src1_sel:DWORD
	v_mov_b32_e32 v20, 0
	v_mov_b32_e32 v22, 0
	s_mov_b32 s15, exec_lo
	v_cmpx_ne_u16_e32 0, v9
	s_cbranch_execz .LBB241_2823
; %bb.2816:                             ;   in Loop: Header=BB241_1574 Depth=1
	v_bfrev_b32_e32 v21, 1
	v_mov_b32_e32 v22, 0
	s_mov_b32 s17, exec_lo
	v_cmpx_ne_u16_e32 0x80, v9
	s_cbranch_execz .LBB241_2822
; %bb.2817:                             ;   in Loop: Header=BB241_1574 Depth=1
	v_mov_b32_e32 v21, 0x7f800001
	v_bfe_u32 v13, v38, 16, 7
	v_mov_b32_e32 v22, 0
	s_mov_b32 s18, exec_lo
	v_cmpx_ne_u32_e32 0x7f, v13
	s_cbranch_execz .LBB241_2821
; %bb.2818:                             ;   in Loop: Header=BB241_1574 Depth=1
	v_mov_b32_e32 v9, 7
	v_lshrrev_b32_e32 v11, 3, v13
	s_mov_b32 s19, exec_lo
	v_and_b32_sdwa v9, v38, v9 dst_sel:DWORD dst_unused:UNUSED_PAD src0_sel:WORD_1 src1_sel:DWORD
	v_mov_b32_e32 v22, v10
	v_mov_b32_e32 v21, v9
	v_cmpx_gt_u32_e32 8, v13
; %bb.2819:                             ;   in Loop: Header=BB241_1574 Depth=1
	v_ffbh_u32_e32 v11, v9
	v_min_u32_e32 v11, 32, v11
	v_subrev_nc_u32_e32 v13, 28, v11
	v_sub_nc_u32_e32 v11, 29, v11
	v_lshlrev_b64 v[21:22], v13, v[9:10]
	v_and_b32_e32 v21, 7, v21
; %bb.2820:                             ;   in Loop: Header=BB241_1574 Depth=1
	s_or_b32 exec_lo, exec_lo, s19
	v_mov_b32_e32 v9, 24
	v_lshlrev_b32_e32 v13, 20, v21
	v_lshl_add_u32 v11, v11, 23, 0x3c000000
	v_lshlrev_b32_sdwa v9, v9, v38 dst_sel:DWORD dst_unused:UNUSED_PAD src0_sel:DWORD src1_sel:WORD_1
	v_and_b32_e32 v9, 0x80000000, v9
	v_or3_b32 v9, v13, v9, v11
	v_mov_b32_e32 v22, v10
	v_mov_b32_e32 v21, v9
.LBB241_2821:                           ;   in Loop: Header=BB241_1574 Depth=1
	s_or_b32 exec_lo, exec_lo, s18
.LBB241_2822:                           ;   in Loop: Header=BB241_1574 Depth=1
	s_or_b32 exec_lo, exec_lo, s17
.LBB241_2823:                           ;   in Loop: Header=BB241_1574 Depth=1
	s_or_b32 exec_lo, exec_lo, s15
	s_mov_b32 s15, exec_lo
	v_cmpx_lt_u32_e32 0xffffff, v38
	s_cbranch_execz .LBB241_2831
; %bb.2824:                             ;   in Loop: Header=BB241_1574 Depth=1
	v_mov_b32_e32 v11, v10
	v_mov_b32_e32 v20, v12
	v_cmp_ne_u32_sdwa s4, v38, v41 src0_sel:BYTE_3 src1_sel:DWORD
	v_mov_b32_e32 v19, v11
	s_and_saveexec_b32 s17, s4
	s_cbranch_execz .LBB241_2830
; %bb.2825:                             ;   in Loop: Header=BB241_1574 Depth=1
	v_mov_b32_e32 v13, v10
	v_mov_b32_e32 v20, v14
	v_bfe_u32 v36, v38, 24, 7
	s_mov_b32 s18, exec_lo
	v_mov_b32_e32 v19, v13
	v_cmpx_ne_u32_e32 0x7f, v36
	s_cbranch_execz .LBB241_2829
; %bb.2826:                             ;   in Loop: Header=BB241_1574 Depth=1
	v_mov_b32_e32 v9, 7
	v_lshrrev_b32_e32 v11, 3, v36
	s_mov_b32 s19, exec_lo
	v_and_b32_sdwa v9, v38, v9 dst_sel:DWORD dst_unused:UNUSED_PAD src0_sel:BYTE_3 src1_sel:DWORD
	v_mov_b32_e32 v20, v10
	v_mov_b32_e32 v19, v9
	v_cmpx_gt_u32_e32 8, v36
; %bb.2827:                             ;   in Loop: Header=BB241_1574 Depth=1
	v_ffbh_u32_e32 v11, v9
	v_min_u32_e32 v11, 32, v11
	v_subrev_nc_u32_e32 v13, 28, v11
	v_sub_nc_u32_e32 v11, 29, v11
	v_lshlrev_b64 v[19:20], v13, v[9:10]
	v_and_b32_e32 v19, 7, v19
; %bb.2828:                             ;   in Loop: Header=BB241_1574 Depth=1
	s_or_b32 exec_lo, exec_lo, s19
	v_mov_b32_e32 v9, 24
	v_lshlrev_b32_e32 v13, 20, v19
	v_lshl_add_u32 v11, v11, 23, 0x3c000000
	v_mov_b32_e32 v19, v10
	v_lshlrev_b32_sdwa v9, v9, v38 dst_sel:DWORD dst_unused:UNUSED_PAD src0_sel:DWORD src1_sel:BYTE_3
	v_and_b32_e32 v9, 0x80000000, v9
	v_or3_b32 v20, v13, v9, v11
.LBB241_2829:                           ;   in Loop: Header=BB241_1574 Depth=1
	s_or_b32 exec_lo, exec_lo, s18
	v_mov_b32_e32 v36, 0xffff
.LBB241_2830:                           ;   in Loop: Header=BB241_1574 Depth=1
	s_or_b32 exec_lo, exec_lo, s17
.LBB241_2831:                           ;   in Loop: Header=BB241_1574 Depth=1
	s_or_b32 exec_lo, exec_lo, s15
	v_or_b32_e32 v5, v18, v5
	v_or_b32_e32 v4, v17, v4
	;; [unrolled: 1-line block ×4, first 2 shown]
	v_mul_f32_e32 v67, v63, v5
	v_mul_f32_e32 v49, v63, v4
	;; [unrolled: 1-line block ×4, first 2 shown]
	s_and_saveexec_b32 s15, vcc_lo
	s_cbranch_execz .LBB241_2833
; %bb.2832:                             ;   in Loop: Header=BB241_1574 Depth=1
	buffer_load_dword v4, off, s[0:3], s32 offset:208 ; 4-byte Folded Reload
	s_waitcnt vmcnt(0)
	v_cmp_lt_i32_e64 s4, v62, v4
	v_cndmask_b32_e64 v49, 0, v49, s4
	v_cmp_lt_i32_e64 s4, v78, v4
	v_cndmask_b32_e64 v67, 0, v67, s4
	;; [unrolled: 2-line block ×4, first 2 shown]
.LBB241_2833:                           ;   in Loop: Header=BB241_1574 Depth=1
	s_or_b32 exec_lo, exec_lo, s15
	flat_load_dword v39, v[15:16] offset:640
	v_mov_b32_e32 v17, 0
	v_mov_b32_e32 v4, 0
	;; [unrolled: 1-line block ×4, first 2 shown]
	s_waitcnt vmcnt(0) lgkmcnt(0)
	v_cmp_ne_u16_sdwa s4, v39, v10 src0_sel:BYTE_0 src1_sel:DWORD
	s_and_saveexec_b32 s15, s4
	s_cbranch_execz .LBB241_2841
; %bb.2834:                             ;   in Loop: Header=BB241_1574 Depth=1
	v_bfrev_b32_e32 v4, 1
	v_mov_b32_e32 v5, 0
	v_cmp_ne_u16_sdwa s4, v39, v41 src0_sel:BYTE_0 src1_sel:DWORD
	s_and_saveexec_b32 s17, s4
	s_cbranch_execz .LBB241_2840
; %bb.2835:                             ;   in Loop: Header=BB241_1574 Depth=1
	v_mov_b32_e32 v4, 0x7f800001
	v_and_b32_e32 v13, 0x7f, v39
	v_mov_b32_e32 v5, 0
	s_mov_b32 s18, exec_lo
	v_cmpx_ne_u32_e32 0x7f, v13
	s_cbranch_execz .LBB241_2839
; %bb.2836:                             ;   in Loop: Header=BB241_1574 Depth=1
	v_and_b32_e32 v9, 7, v39
	v_lshrrev_b32_e32 v11, 3, v13
	s_mov_b32 s19, exec_lo
	v_mov_b32_e32 v4, v9
	v_mov_b32_e32 v5, v10
	v_cmpx_gt_u32_e32 8, v13
; %bb.2837:                             ;   in Loop: Header=BB241_1574 Depth=1
	v_ffbh_u32_e32 v4, v9
	v_min_u32_e32 v11, 32, v4
	v_subrev_nc_u32_e32 v4, 28, v11
	v_sub_nc_u32_e32 v11, 29, v11
	v_lshlrev_b64 v[4:5], v4, v[9:10]
	v_and_b32_e32 v4, 7, v4
; %bb.2838:                             ;   in Loop: Header=BB241_1574 Depth=1
	s_or_b32 exec_lo, exec_lo, s19
	v_lshlrev_b32_e32 v5, 24, v39
	v_lshlrev_b32_e32 v4, 20, v4
	v_lshl_add_u32 v9, v11, 23, 0x3c000000
	v_and_b32_e32 v5, 0x80000000, v5
	v_or3_b32 v9, v4, v5, v9
	v_mov_b32_e32 v4, v9
	v_mov_b32_e32 v5, v10
.LBB241_2839:                           ;   in Loop: Header=BB241_1574 Depth=1
	s_or_b32 exec_lo, exec_lo, s18
.LBB241_2840:                           ;   in Loop: Header=BB241_1574 Depth=1
	s_or_b32 exec_lo, exec_lo, s17
.LBB241_2841:                           ;   in Loop: Header=BB241_1574 Depth=1
	s_or_b32 exec_lo, exec_lo, s15
	v_cmp_ne_u16_sdwa s4, v39, v10 src0_sel:BYTE_1 src1_sel:DWORD
	s_and_saveexec_b32 s15, s4
	s_cbranch_execz .LBB241_2849
; %bb.2842:                             ;   in Loop: Header=BB241_1574 Depth=1
	v_mov_b32_e32 v11, v10
	v_mov_b32_e32 v18, v12
	v_cmp_ne_u16_sdwa s4, v39, v41 src0_sel:BYTE_1 src1_sel:DWORD
	v_mov_b32_e32 v17, v11
	s_and_saveexec_b32 s17, s4
	s_cbranch_execz .LBB241_2848
; %bb.2843:                             ;   in Loop: Header=BB241_1574 Depth=1
	v_and_b32_sdwa v9, v36, v39 dst_sel:DWORD dst_unused:UNUSED_PAD src0_sel:DWORD src1_sel:BYTE_1
	v_mov_b32_e32 v13, v10
	v_mov_b32_e32 v18, v14
	s_mov_b32 s18, exec_lo
	v_and_b32_e32 v19, 0x7f, v9
	v_mov_b32_e32 v17, v13
	v_cmpx_ne_u32_e32 0x7f, v19
	s_cbranch_execz .LBB241_2847
; %bb.2844:                             ;   in Loop: Header=BB241_1574 Depth=1
	v_and_b32_e32 v9, 7, v9
	v_mov_b32_e32 v18, v10
	v_lshrrev_b32_e32 v11, 3, v19
	s_mov_b32 s19, exec_lo
	v_mov_b32_e32 v17, v9
	v_cmpx_gt_u32_e32 8, v19
; %bb.2845:                             ;   in Loop: Header=BB241_1574 Depth=1
	v_ffbh_u32_e32 v11, v9
	v_min_u32_e32 v11, 32, v11
	v_subrev_nc_u32_e32 v13, 28, v11
	v_sub_nc_u32_e32 v11, 29, v11
	v_lshlrev_b64 v[17:18], v13, v[9:10]
	v_and_b32_e32 v17, 7, v17
; %bb.2846:                             ;   in Loop: Header=BB241_1574 Depth=1
	s_or_b32 exec_lo, exec_lo, s19
	v_lshlrev_b32_e32 v9, 16, v39
	v_lshlrev_b32_e32 v13, 20, v17
	v_lshl_add_u32 v11, v11, 23, 0x3c000000
	v_mov_b32_e32 v17, v10
	v_and_b32_e32 v9, 0x80000000, v9
	v_or3_b32 v18, v13, v9, v11
.LBB241_2847:                           ;   in Loop: Header=BB241_1574 Depth=1
	s_or_b32 exec_lo, exec_lo, s18
.LBB241_2848:                           ;   in Loop: Header=BB241_1574 Depth=1
	s_or_b32 exec_lo, exec_lo, s17
.LBB241_2849:                           ;   in Loop: Header=BB241_1574 Depth=1
	s_or_b32 exec_lo, exec_lo, s15
	v_mov_b32_e32 v19, 0
	v_mov_b32_e32 v21, 0
	v_and_b32_sdwa v9, v39, v43 dst_sel:DWORD dst_unused:UNUSED_PAD src0_sel:WORD_1 src1_sel:DWORD
	v_mov_b32_e32 v20, 0
	v_mov_b32_e32 v22, 0
	s_mov_b32 s15, exec_lo
	v_cmpx_ne_u16_e32 0, v9
	s_cbranch_execz .LBB241_2857
; %bb.2850:                             ;   in Loop: Header=BB241_1574 Depth=1
	v_bfrev_b32_e32 v21, 1
	v_mov_b32_e32 v22, 0
	s_mov_b32 s17, exec_lo
	v_cmpx_ne_u16_e32 0x80, v9
	s_cbranch_execz .LBB241_2856
; %bb.2851:                             ;   in Loop: Header=BB241_1574 Depth=1
	v_mov_b32_e32 v21, 0x7f800001
	v_bfe_u32 v13, v39, 16, 7
	v_mov_b32_e32 v22, 0
	s_mov_b32 s18, exec_lo
	v_cmpx_ne_u32_e32 0x7f, v13
	s_cbranch_execz .LBB241_2855
; %bb.2852:                             ;   in Loop: Header=BB241_1574 Depth=1
	v_mov_b32_e32 v9, 7
	v_lshrrev_b32_e32 v11, 3, v13
	s_mov_b32 s19, exec_lo
	v_and_b32_sdwa v9, v39, v9 dst_sel:DWORD dst_unused:UNUSED_PAD src0_sel:WORD_1 src1_sel:DWORD
	v_mov_b32_e32 v22, v10
	v_mov_b32_e32 v21, v9
	v_cmpx_gt_u32_e32 8, v13
; %bb.2853:                             ;   in Loop: Header=BB241_1574 Depth=1
	v_ffbh_u32_e32 v11, v9
	v_min_u32_e32 v11, 32, v11
	v_subrev_nc_u32_e32 v13, 28, v11
	v_sub_nc_u32_e32 v11, 29, v11
	v_lshlrev_b64 v[21:22], v13, v[9:10]
	v_and_b32_e32 v21, 7, v21
; %bb.2854:                             ;   in Loop: Header=BB241_1574 Depth=1
	s_or_b32 exec_lo, exec_lo, s19
	v_mov_b32_e32 v9, 24
	v_lshlrev_b32_e32 v13, 20, v21
	v_lshl_add_u32 v11, v11, 23, 0x3c000000
	v_lshlrev_b32_sdwa v9, v9, v39 dst_sel:DWORD dst_unused:UNUSED_PAD src0_sel:DWORD src1_sel:WORD_1
	v_and_b32_e32 v9, 0x80000000, v9
	v_or3_b32 v9, v13, v9, v11
	v_mov_b32_e32 v22, v10
	v_mov_b32_e32 v21, v9
.LBB241_2855:                           ;   in Loop: Header=BB241_1574 Depth=1
	s_or_b32 exec_lo, exec_lo, s18
.LBB241_2856:                           ;   in Loop: Header=BB241_1574 Depth=1
	s_or_b32 exec_lo, exec_lo, s17
.LBB241_2857:                           ;   in Loop: Header=BB241_1574 Depth=1
	s_or_b32 exec_lo, exec_lo, s15
	s_mov_b32 s15, exec_lo
	v_cmpx_lt_u32_e32 0xffffff, v39
	s_cbranch_execz .LBB241_2865
; %bb.2858:                             ;   in Loop: Header=BB241_1574 Depth=1
	v_mov_b32_e32 v11, v10
	v_mov_b32_e32 v20, v12
	v_cmp_ne_u32_sdwa s4, v39, v41 src0_sel:BYTE_3 src1_sel:DWORD
	v_mov_b32_e32 v19, v11
	s_and_saveexec_b32 s17, s4
	s_cbranch_execz .LBB241_2864
; %bb.2859:                             ;   in Loop: Header=BB241_1574 Depth=1
	v_mov_b32_e32 v13, v10
	v_mov_b32_e32 v20, v14
	v_bfe_u32 v36, v39, 24, 7
	s_mov_b32 s18, exec_lo
	v_mov_b32_e32 v19, v13
	v_cmpx_ne_u32_e32 0x7f, v36
	s_cbranch_execz .LBB241_2863
; %bb.2860:                             ;   in Loop: Header=BB241_1574 Depth=1
	v_mov_b32_e32 v9, 7
	v_lshrrev_b32_e32 v11, 3, v36
	s_mov_b32 s19, exec_lo
	v_and_b32_sdwa v9, v39, v9 dst_sel:DWORD dst_unused:UNUSED_PAD src0_sel:BYTE_3 src1_sel:DWORD
	v_mov_b32_e32 v20, v10
	v_mov_b32_e32 v19, v9
	v_cmpx_gt_u32_e32 8, v36
; %bb.2861:                             ;   in Loop: Header=BB241_1574 Depth=1
	v_ffbh_u32_e32 v11, v9
	v_min_u32_e32 v11, 32, v11
	v_subrev_nc_u32_e32 v13, 28, v11
	v_sub_nc_u32_e32 v11, 29, v11
	v_lshlrev_b64 v[19:20], v13, v[9:10]
	v_and_b32_e32 v19, 7, v19
; %bb.2862:                             ;   in Loop: Header=BB241_1574 Depth=1
	s_or_b32 exec_lo, exec_lo, s19
	v_mov_b32_e32 v9, 24
	v_lshlrev_b32_e32 v13, 20, v19
	v_lshl_add_u32 v11, v11, 23, 0x3c000000
	v_mov_b32_e32 v19, v10
	v_lshlrev_b32_sdwa v9, v9, v39 dst_sel:DWORD dst_unused:UNUSED_PAD src0_sel:DWORD src1_sel:BYTE_3
	v_and_b32_e32 v9, 0x80000000, v9
	v_or3_b32 v20, v13, v9, v11
.LBB241_2863:                           ;   in Loop: Header=BB241_1574 Depth=1
	s_or_b32 exec_lo, exec_lo, s18
	v_mov_b32_e32 v36, 0xffff
.LBB241_2864:                           ;   in Loop: Header=BB241_1574 Depth=1
	s_or_b32 exec_lo, exec_lo, s17
.LBB241_2865:                           ;   in Loop: Header=BB241_1574 Depth=1
	s_or_b32 exec_lo, exec_lo, s15
	v_or_b32_e32 v5, v18, v5
	v_or_b32_e32 v4, v17, v4
	;; [unrolled: 1-line block ×4, first 2 shown]
	v_mul_f32_e32 v71, v63, v5
	v_mul_f32_e32 v53, v63, v4
	;; [unrolled: 1-line block ×4, first 2 shown]
	s_and_saveexec_b32 s15, vcc_lo
	s_cbranch_execz .LBB241_2867
; %bb.2866:                             ;   in Loop: Header=BB241_1574 Depth=1
	buffer_load_dword v4, off, s[0:3], s32 offset:208 ; 4-byte Folded Reload
	s_waitcnt vmcnt(0)
	v_cmp_lt_i32_e64 s4, v62, v4
	v_cndmask_b32_e64 v53, 0, v53, s4
	v_cmp_lt_i32_e64 s4, v78, v4
	v_cndmask_b32_e64 v71, 0, v71, s4
	;; [unrolled: 2-line block ×4, first 2 shown]
.LBB241_2867:                           ;   in Loop: Header=BB241_1574 Depth=1
	s_or_b32 exec_lo, exec_lo, s15
	flat_load_dword v39, v[15:16] offset:768
	v_mov_b32_e32 v17, 0
	v_mov_b32_e32 v4, 0
	;; [unrolled: 1-line block ×4, first 2 shown]
	s_waitcnt vmcnt(0) lgkmcnt(0)
	v_cmp_ne_u16_sdwa s4, v39, v10 src0_sel:BYTE_0 src1_sel:DWORD
	s_and_saveexec_b32 s15, s4
	s_cbranch_execz .LBB241_2875
; %bb.2868:                             ;   in Loop: Header=BB241_1574 Depth=1
	v_bfrev_b32_e32 v4, 1
	v_mov_b32_e32 v5, 0
	v_cmp_ne_u16_sdwa s4, v39, v41 src0_sel:BYTE_0 src1_sel:DWORD
	s_and_saveexec_b32 s17, s4
	s_cbranch_execz .LBB241_2874
; %bb.2869:                             ;   in Loop: Header=BB241_1574 Depth=1
	v_mov_b32_e32 v4, 0x7f800001
	v_and_b32_e32 v13, 0x7f, v39
	v_mov_b32_e32 v5, 0
	s_mov_b32 s18, exec_lo
	v_cmpx_ne_u32_e32 0x7f, v13
	s_cbranch_execz .LBB241_2873
; %bb.2870:                             ;   in Loop: Header=BB241_1574 Depth=1
	v_and_b32_e32 v9, 7, v39
	v_lshrrev_b32_e32 v11, 3, v13
	s_mov_b32 s19, exec_lo
	v_mov_b32_e32 v4, v9
	v_mov_b32_e32 v5, v10
	v_cmpx_gt_u32_e32 8, v13
; %bb.2871:                             ;   in Loop: Header=BB241_1574 Depth=1
	v_ffbh_u32_e32 v4, v9
	v_min_u32_e32 v11, 32, v4
	v_subrev_nc_u32_e32 v4, 28, v11
	v_sub_nc_u32_e32 v11, 29, v11
	v_lshlrev_b64 v[4:5], v4, v[9:10]
	v_and_b32_e32 v4, 7, v4
; %bb.2872:                             ;   in Loop: Header=BB241_1574 Depth=1
	s_or_b32 exec_lo, exec_lo, s19
	v_lshlrev_b32_e32 v5, 24, v39
	v_lshlrev_b32_e32 v4, 20, v4
	v_lshl_add_u32 v9, v11, 23, 0x3c000000
	v_and_b32_e32 v5, 0x80000000, v5
	v_or3_b32 v9, v4, v5, v9
	v_mov_b32_e32 v4, v9
	v_mov_b32_e32 v5, v10
.LBB241_2873:                           ;   in Loop: Header=BB241_1574 Depth=1
	s_or_b32 exec_lo, exec_lo, s18
.LBB241_2874:                           ;   in Loop: Header=BB241_1574 Depth=1
	s_or_b32 exec_lo, exec_lo, s17
.LBB241_2875:                           ;   in Loop: Header=BB241_1574 Depth=1
	s_or_b32 exec_lo, exec_lo, s15
	v_cmp_ne_u16_sdwa s4, v39, v10 src0_sel:BYTE_1 src1_sel:DWORD
	s_and_saveexec_b32 s15, s4
	s_cbranch_execz .LBB241_2883
; %bb.2876:                             ;   in Loop: Header=BB241_1574 Depth=1
	v_mov_b32_e32 v11, v10
	v_mov_b32_e32 v18, v12
	v_cmp_ne_u16_sdwa s4, v39, v41 src0_sel:BYTE_1 src1_sel:DWORD
	v_mov_b32_e32 v17, v11
	s_and_saveexec_b32 s17, s4
	s_cbranch_execz .LBB241_2882
; %bb.2877:                             ;   in Loop: Header=BB241_1574 Depth=1
	v_and_b32_sdwa v9, v36, v39 dst_sel:DWORD dst_unused:UNUSED_PAD src0_sel:DWORD src1_sel:BYTE_1
	v_mov_b32_e32 v13, v10
	v_mov_b32_e32 v18, v14
	s_mov_b32 s18, exec_lo
	v_and_b32_e32 v19, 0x7f, v9
	v_mov_b32_e32 v17, v13
	v_cmpx_ne_u32_e32 0x7f, v19
	s_cbranch_execz .LBB241_2881
; %bb.2878:                             ;   in Loop: Header=BB241_1574 Depth=1
	v_and_b32_e32 v9, 7, v9
	v_mov_b32_e32 v18, v10
	v_lshrrev_b32_e32 v11, 3, v19
	s_mov_b32 s19, exec_lo
	v_mov_b32_e32 v17, v9
	v_cmpx_gt_u32_e32 8, v19
; %bb.2879:                             ;   in Loop: Header=BB241_1574 Depth=1
	v_ffbh_u32_e32 v11, v9
	v_min_u32_e32 v11, 32, v11
	v_subrev_nc_u32_e32 v13, 28, v11
	v_sub_nc_u32_e32 v11, 29, v11
	v_lshlrev_b64 v[17:18], v13, v[9:10]
	v_and_b32_e32 v17, 7, v17
; %bb.2880:                             ;   in Loop: Header=BB241_1574 Depth=1
	s_or_b32 exec_lo, exec_lo, s19
	v_lshlrev_b32_e32 v9, 16, v39
	v_lshlrev_b32_e32 v13, 20, v17
	v_lshl_add_u32 v11, v11, 23, 0x3c000000
	v_mov_b32_e32 v17, v10
	v_and_b32_e32 v9, 0x80000000, v9
	v_or3_b32 v18, v13, v9, v11
.LBB241_2881:                           ;   in Loop: Header=BB241_1574 Depth=1
	s_or_b32 exec_lo, exec_lo, s18
.LBB241_2882:                           ;   in Loop: Header=BB241_1574 Depth=1
	s_or_b32 exec_lo, exec_lo, s17
.LBB241_2883:                           ;   in Loop: Header=BB241_1574 Depth=1
	s_or_b32 exec_lo, exec_lo, s15
	v_mov_b32_e32 v19, 0
	v_mov_b32_e32 v21, 0
	v_and_b32_sdwa v9, v39, v43 dst_sel:DWORD dst_unused:UNUSED_PAD src0_sel:WORD_1 src1_sel:DWORD
	v_mov_b32_e32 v20, 0
	v_mov_b32_e32 v22, 0
	s_mov_b32 s15, exec_lo
	v_cmpx_ne_u16_e32 0, v9
	s_cbranch_execz .LBB241_2891
; %bb.2884:                             ;   in Loop: Header=BB241_1574 Depth=1
	v_bfrev_b32_e32 v21, 1
	v_mov_b32_e32 v22, 0
	s_mov_b32 s17, exec_lo
	v_cmpx_ne_u16_e32 0x80, v9
	s_cbranch_execz .LBB241_2890
; %bb.2885:                             ;   in Loop: Header=BB241_1574 Depth=1
	v_mov_b32_e32 v21, 0x7f800001
	v_bfe_u32 v13, v39, 16, 7
	v_mov_b32_e32 v22, 0
	s_mov_b32 s18, exec_lo
	v_cmpx_ne_u32_e32 0x7f, v13
	s_cbranch_execz .LBB241_2889
; %bb.2886:                             ;   in Loop: Header=BB241_1574 Depth=1
	v_mov_b32_e32 v9, 7
	v_lshrrev_b32_e32 v11, 3, v13
	s_mov_b32 s19, exec_lo
	v_and_b32_sdwa v9, v39, v9 dst_sel:DWORD dst_unused:UNUSED_PAD src0_sel:WORD_1 src1_sel:DWORD
	v_mov_b32_e32 v22, v10
	v_mov_b32_e32 v21, v9
	v_cmpx_gt_u32_e32 8, v13
; %bb.2887:                             ;   in Loop: Header=BB241_1574 Depth=1
	v_ffbh_u32_e32 v11, v9
	v_min_u32_e32 v11, 32, v11
	v_subrev_nc_u32_e32 v13, 28, v11
	v_sub_nc_u32_e32 v11, 29, v11
	v_lshlrev_b64 v[21:22], v13, v[9:10]
	v_and_b32_e32 v21, 7, v21
; %bb.2888:                             ;   in Loop: Header=BB241_1574 Depth=1
	s_or_b32 exec_lo, exec_lo, s19
	v_mov_b32_e32 v9, 24
	v_lshlrev_b32_e32 v13, 20, v21
	v_lshl_add_u32 v11, v11, 23, 0x3c000000
	v_lshlrev_b32_sdwa v9, v9, v39 dst_sel:DWORD dst_unused:UNUSED_PAD src0_sel:DWORD src1_sel:WORD_1
	v_and_b32_e32 v9, 0x80000000, v9
	v_or3_b32 v9, v13, v9, v11
	v_mov_b32_e32 v22, v10
	v_mov_b32_e32 v21, v9
.LBB241_2889:                           ;   in Loop: Header=BB241_1574 Depth=1
	s_or_b32 exec_lo, exec_lo, s18
.LBB241_2890:                           ;   in Loop: Header=BB241_1574 Depth=1
	s_or_b32 exec_lo, exec_lo, s17
.LBB241_2891:                           ;   in Loop: Header=BB241_1574 Depth=1
	s_or_b32 exec_lo, exec_lo, s15
	s_mov_b32 s15, exec_lo
	v_cmpx_lt_u32_e32 0xffffff, v39
	s_cbranch_execz .LBB241_2899
; %bb.2892:                             ;   in Loop: Header=BB241_1574 Depth=1
	v_mov_b32_e32 v11, v10
	v_mov_b32_e32 v20, v12
	v_cmp_ne_u32_sdwa s4, v39, v41 src0_sel:BYTE_3 src1_sel:DWORD
	v_mov_b32_e32 v19, v11
	s_and_saveexec_b32 s17, s4
	s_cbranch_execz .LBB241_2898
; %bb.2893:                             ;   in Loop: Header=BB241_1574 Depth=1
	v_mov_b32_e32 v13, v10
	v_mov_b32_e32 v20, v14
	v_bfe_u32 v36, v39, 24, 7
	s_mov_b32 s18, exec_lo
	v_mov_b32_e32 v19, v13
	v_cmpx_ne_u32_e32 0x7f, v36
	s_cbranch_execz .LBB241_2897
; %bb.2894:                             ;   in Loop: Header=BB241_1574 Depth=1
	v_mov_b32_e32 v9, 7
	v_lshrrev_b32_e32 v11, 3, v36
	s_mov_b32 s19, exec_lo
	v_and_b32_sdwa v9, v39, v9 dst_sel:DWORD dst_unused:UNUSED_PAD src0_sel:BYTE_3 src1_sel:DWORD
	v_mov_b32_e32 v20, v10
	v_mov_b32_e32 v19, v9
	v_cmpx_gt_u32_e32 8, v36
; %bb.2895:                             ;   in Loop: Header=BB241_1574 Depth=1
	v_ffbh_u32_e32 v11, v9
	v_min_u32_e32 v11, 32, v11
	v_subrev_nc_u32_e32 v13, 28, v11
	v_sub_nc_u32_e32 v11, 29, v11
	v_lshlrev_b64 v[19:20], v13, v[9:10]
	v_and_b32_e32 v19, 7, v19
; %bb.2896:                             ;   in Loop: Header=BB241_1574 Depth=1
	s_or_b32 exec_lo, exec_lo, s19
	v_mov_b32_e32 v9, 24
	v_lshlrev_b32_e32 v13, 20, v19
	v_lshl_add_u32 v11, v11, 23, 0x3c000000
	v_mov_b32_e32 v19, v10
	v_lshlrev_b32_sdwa v9, v9, v39 dst_sel:DWORD dst_unused:UNUSED_PAD src0_sel:DWORD src1_sel:BYTE_3
	v_and_b32_e32 v9, 0x80000000, v9
	v_or3_b32 v20, v13, v9, v11
.LBB241_2897:                           ;   in Loop: Header=BB241_1574 Depth=1
	s_or_b32 exec_lo, exec_lo, s18
	v_mov_b32_e32 v36, 0xffff
.LBB241_2898:                           ;   in Loop: Header=BB241_1574 Depth=1
	s_or_b32 exec_lo, exec_lo, s17
.LBB241_2899:                           ;   in Loop: Header=BB241_1574 Depth=1
	s_or_b32 exec_lo, exec_lo, s15
	v_or_b32_e32 v5, v18, v5
	v_or_b32_e32 v4, v17, v4
	;; [unrolled: 1-line block ×4, first 2 shown]
	v_mul_f32_e32 v66, v63, v5
	v_mul_f32_e32 v65, v63, v4
	;; [unrolled: 1-line block ×4, first 2 shown]
	s_and_saveexec_b32 s15, vcc_lo
	s_cbranch_execz .LBB241_2901
; %bb.2900:                             ;   in Loop: Header=BB241_1574 Depth=1
	buffer_load_dword v4, off, s[0:3], s32 offset:208 ; 4-byte Folded Reload
	s_waitcnt vmcnt(0)
	v_cmp_lt_i32_e64 s4, v62, v4
	v_cndmask_b32_e64 v65, 0, v65, s4
	v_cmp_lt_i32_e64 s4, v78, v4
	v_cndmask_b32_e64 v66, 0, v66, s4
	;; [unrolled: 2-line block ×4, first 2 shown]
.LBB241_2901:                           ;   in Loop: Header=BB241_1574 Depth=1
	s_or_b32 exec_lo, exec_lo, s15
	flat_load_dword v39, v[15:16] offset:896
	v_mov_b32_e32 v17, 0
	v_mov_b32_e32 v4, 0
	;; [unrolled: 1-line block ×4, first 2 shown]
	s_waitcnt vmcnt(0) lgkmcnt(0)
	v_cmp_ne_u16_sdwa s4, v39, v10 src0_sel:BYTE_0 src1_sel:DWORD
	s_and_saveexec_b32 s15, s4
	s_cbranch_execz .LBB241_2909
; %bb.2902:                             ;   in Loop: Header=BB241_1574 Depth=1
	v_bfrev_b32_e32 v4, 1
	v_mov_b32_e32 v5, 0
	v_cmp_ne_u16_sdwa s4, v39, v41 src0_sel:BYTE_0 src1_sel:DWORD
	s_and_saveexec_b32 s17, s4
	s_cbranch_execz .LBB241_2908
; %bb.2903:                             ;   in Loop: Header=BB241_1574 Depth=1
	v_mov_b32_e32 v4, 0x7f800001
	v_and_b32_e32 v13, 0x7f, v39
	v_mov_b32_e32 v5, 0
	s_mov_b32 s18, exec_lo
	v_cmpx_ne_u32_e32 0x7f, v13
	s_cbranch_execz .LBB241_2907
; %bb.2904:                             ;   in Loop: Header=BB241_1574 Depth=1
	v_and_b32_e32 v9, 7, v39
	v_lshrrev_b32_e32 v11, 3, v13
	s_mov_b32 s19, exec_lo
	v_mov_b32_e32 v4, v9
	v_mov_b32_e32 v5, v10
	v_cmpx_gt_u32_e32 8, v13
; %bb.2905:                             ;   in Loop: Header=BB241_1574 Depth=1
	v_ffbh_u32_e32 v4, v9
	v_min_u32_e32 v11, 32, v4
	v_subrev_nc_u32_e32 v4, 28, v11
	v_sub_nc_u32_e32 v11, 29, v11
	v_lshlrev_b64 v[4:5], v4, v[9:10]
	v_and_b32_e32 v4, 7, v4
; %bb.2906:                             ;   in Loop: Header=BB241_1574 Depth=1
	s_or_b32 exec_lo, exec_lo, s19
	v_lshlrev_b32_e32 v5, 24, v39
	v_lshlrev_b32_e32 v4, 20, v4
	v_lshl_add_u32 v9, v11, 23, 0x3c000000
	v_and_b32_e32 v5, 0x80000000, v5
	v_or3_b32 v9, v4, v5, v9
	v_mov_b32_e32 v4, v9
	v_mov_b32_e32 v5, v10
.LBB241_2907:                           ;   in Loop: Header=BB241_1574 Depth=1
	s_or_b32 exec_lo, exec_lo, s18
.LBB241_2908:                           ;   in Loop: Header=BB241_1574 Depth=1
	s_or_b32 exec_lo, exec_lo, s17
.LBB241_2909:                           ;   in Loop: Header=BB241_1574 Depth=1
	s_or_b32 exec_lo, exec_lo, s15
	v_cmp_ne_u16_sdwa s4, v39, v10 src0_sel:BYTE_1 src1_sel:DWORD
	s_and_saveexec_b32 s15, s4
	s_cbranch_execz .LBB241_2917
; %bb.2910:                             ;   in Loop: Header=BB241_1574 Depth=1
	v_mov_b32_e32 v11, v10
	v_mov_b32_e32 v18, v12
	v_cmp_ne_u16_sdwa s4, v39, v41 src0_sel:BYTE_1 src1_sel:DWORD
	v_mov_b32_e32 v17, v11
	s_and_saveexec_b32 s17, s4
	s_cbranch_execz .LBB241_2916
; %bb.2911:                             ;   in Loop: Header=BB241_1574 Depth=1
	v_and_b32_sdwa v9, v36, v39 dst_sel:DWORD dst_unused:UNUSED_PAD src0_sel:DWORD src1_sel:BYTE_1
	v_mov_b32_e32 v13, v10
	v_mov_b32_e32 v18, v14
	s_mov_b32 s18, exec_lo
	v_and_b32_e32 v19, 0x7f, v9
	v_mov_b32_e32 v17, v13
	v_cmpx_ne_u32_e32 0x7f, v19
	s_cbranch_execz .LBB241_2915
; %bb.2912:                             ;   in Loop: Header=BB241_1574 Depth=1
	v_and_b32_e32 v9, 7, v9
	v_mov_b32_e32 v18, v10
	v_lshrrev_b32_e32 v11, 3, v19
	s_mov_b32 s19, exec_lo
	v_mov_b32_e32 v17, v9
	v_cmpx_gt_u32_e32 8, v19
; %bb.2913:                             ;   in Loop: Header=BB241_1574 Depth=1
	v_ffbh_u32_e32 v11, v9
	v_min_u32_e32 v11, 32, v11
	v_subrev_nc_u32_e32 v13, 28, v11
	v_sub_nc_u32_e32 v11, 29, v11
	v_lshlrev_b64 v[17:18], v13, v[9:10]
	v_and_b32_e32 v17, 7, v17
; %bb.2914:                             ;   in Loop: Header=BB241_1574 Depth=1
	s_or_b32 exec_lo, exec_lo, s19
	v_lshlrev_b32_e32 v9, 16, v39
	v_lshlrev_b32_e32 v13, 20, v17
	v_lshl_add_u32 v11, v11, 23, 0x3c000000
	v_mov_b32_e32 v17, v10
	v_and_b32_e32 v9, 0x80000000, v9
	v_or3_b32 v18, v13, v9, v11
.LBB241_2915:                           ;   in Loop: Header=BB241_1574 Depth=1
	s_or_b32 exec_lo, exec_lo, s18
.LBB241_2916:                           ;   in Loop: Header=BB241_1574 Depth=1
	s_or_b32 exec_lo, exec_lo, s17
.LBB241_2917:                           ;   in Loop: Header=BB241_1574 Depth=1
	s_or_b32 exec_lo, exec_lo, s15
	v_mov_b32_e32 v19, 0
	v_mov_b32_e32 v21, 0
	v_and_b32_sdwa v9, v39, v43 dst_sel:DWORD dst_unused:UNUSED_PAD src0_sel:WORD_1 src1_sel:DWORD
	v_mov_b32_e32 v20, 0
	v_mov_b32_e32 v22, 0
	s_mov_b32 s15, exec_lo
	v_cmpx_ne_u16_e32 0, v9
	s_cbranch_execz .LBB241_2925
; %bb.2918:                             ;   in Loop: Header=BB241_1574 Depth=1
	v_bfrev_b32_e32 v21, 1
	v_mov_b32_e32 v22, 0
	s_mov_b32 s17, exec_lo
	v_cmpx_ne_u16_e32 0x80, v9
	s_cbranch_execz .LBB241_2924
; %bb.2919:                             ;   in Loop: Header=BB241_1574 Depth=1
	v_mov_b32_e32 v21, 0x7f800001
	v_bfe_u32 v13, v39, 16, 7
	v_mov_b32_e32 v22, 0
	s_mov_b32 s18, exec_lo
	v_cmpx_ne_u32_e32 0x7f, v13
	s_cbranch_execz .LBB241_2923
; %bb.2920:                             ;   in Loop: Header=BB241_1574 Depth=1
	v_mov_b32_e32 v9, 7
	v_lshrrev_b32_e32 v11, 3, v13
	s_mov_b32 s19, exec_lo
	v_and_b32_sdwa v9, v39, v9 dst_sel:DWORD dst_unused:UNUSED_PAD src0_sel:WORD_1 src1_sel:DWORD
	v_mov_b32_e32 v22, v10
	v_mov_b32_e32 v21, v9
	v_cmpx_gt_u32_e32 8, v13
; %bb.2921:                             ;   in Loop: Header=BB241_1574 Depth=1
	v_ffbh_u32_e32 v11, v9
	v_min_u32_e32 v11, 32, v11
	v_subrev_nc_u32_e32 v13, 28, v11
	v_sub_nc_u32_e32 v11, 29, v11
	v_lshlrev_b64 v[21:22], v13, v[9:10]
	v_and_b32_e32 v21, 7, v21
; %bb.2922:                             ;   in Loop: Header=BB241_1574 Depth=1
	s_or_b32 exec_lo, exec_lo, s19
	v_mov_b32_e32 v9, 24
	v_lshlrev_b32_e32 v13, 20, v21
	v_lshl_add_u32 v11, v11, 23, 0x3c000000
	v_lshlrev_b32_sdwa v9, v9, v39 dst_sel:DWORD dst_unused:UNUSED_PAD src0_sel:DWORD src1_sel:WORD_1
	v_and_b32_e32 v9, 0x80000000, v9
	v_or3_b32 v9, v13, v9, v11
	v_mov_b32_e32 v22, v10
	v_mov_b32_e32 v21, v9
.LBB241_2923:                           ;   in Loop: Header=BB241_1574 Depth=1
	s_or_b32 exec_lo, exec_lo, s18
.LBB241_2924:                           ;   in Loop: Header=BB241_1574 Depth=1
	s_or_b32 exec_lo, exec_lo, s17
.LBB241_2925:                           ;   in Loop: Header=BB241_1574 Depth=1
	s_or_b32 exec_lo, exec_lo, s15
	s_mov_b32 s15, exec_lo
	v_cmpx_lt_u32_e32 0xffffff, v39
	s_cbranch_execz .LBB241_2933
; %bb.2926:                             ;   in Loop: Header=BB241_1574 Depth=1
	v_mov_b32_e32 v11, v10
	v_mov_b32_e32 v20, v12
	v_cmp_ne_u32_sdwa s4, v39, v41 src0_sel:BYTE_3 src1_sel:DWORD
	v_mov_b32_e32 v19, v11
	s_and_saveexec_b32 s17, s4
	s_cbranch_execz .LBB241_2932
; %bb.2927:                             ;   in Loop: Header=BB241_1574 Depth=1
	v_mov_b32_e32 v13, v10
	v_mov_b32_e32 v20, v14
	v_bfe_u32 v36, v39, 24, 7
	s_mov_b32 s18, exec_lo
	v_mov_b32_e32 v19, v13
	v_cmpx_ne_u32_e32 0x7f, v36
	s_cbranch_execz .LBB241_2931
; %bb.2928:                             ;   in Loop: Header=BB241_1574 Depth=1
	v_mov_b32_e32 v9, 7
	v_lshrrev_b32_e32 v11, 3, v36
	s_mov_b32 s19, exec_lo
	v_and_b32_sdwa v9, v39, v9 dst_sel:DWORD dst_unused:UNUSED_PAD src0_sel:BYTE_3 src1_sel:DWORD
	v_mov_b32_e32 v20, v10
	v_mov_b32_e32 v19, v9
	v_cmpx_gt_u32_e32 8, v36
; %bb.2929:                             ;   in Loop: Header=BB241_1574 Depth=1
	v_ffbh_u32_e32 v11, v9
	v_min_u32_e32 v11, 32, v11
	v_subrev_nc_u32_e32 v13, 28, v11
	v_sub_nc_u32_e32 v11, 29, v11
	v_lshlrev_b64 v[19:20], v13, v[9:10]
	v_and_b32_e32 v19, 7, v19
; %bb.2930:                             ;   in Loop: Header=BB241_1574 Depth=1
	s_or_b32 exec_lo, exec_lo, s19
	v_mov_b32_e32 v9, 24
	v_lshlrev_b32_e32 v13, 20, v19
	v_lshl_add_u32 v11, v11, 23, 0x3c000000
	v_mov_b32_e32 v19, v10
	v_lshlrev_b32_sdwa v9, v9, v39 dst_sel:DWORD dst_unused:UNUSED_PAD src0_sel:DWORD src1_sel:BYTE_3
	v_and_b32_e32 v9, 0x80000000, v9
	v_or3_b32 v20, v13, v9, v11
.LBB241_2931:                           ;   in Loop: Header=BB241_1574 Depth=1
	s_or_b32 exec_lo, exec_lo, s18
	v_mov_b32_e32 v36, 0xffff
.LBB241_2932:                           ;   in Loop: Header=BB241_1574 Depth=1
	s_or_b32 exec_lo, exec_lo, s17
.LBB241_2933:                           ;   in Loop: Header=BB241_1574 Depth=1
	s_or_b32 exec_lo, exec_lo, s15
	v_or_b32_e32 v5, v18, v5
	v_or_b32_e32 v4, v17, v4
	v_or_b32_e32 v9, v19, v21
	v_or_b32_e32 v11, v20, v22
	v_mul_f32_e32 v39, v63, v5
	v_mul_f32_e32 v69, v63, v4
	;; [unrolled: 1-line block ×4, first 2 shown]
	s_and_saveexec_b32 s15, vcc_lo
	s_cbranch_execz .LBB241_2935
; %bb.2934:                             ;   in Loop: Header=BB241_1574 Depth=1
	buffer_load_dword v4, off, s[0:3], s32 offset:208 ; 4-byte Folded Reload
	s_waitcnt vmcnt(0)
	v_cmp_lt_i32_e64 s4, v62, v4
	v_cndmask_b32_e64 v69, 0, v69, s4
	v_cmp_lt_i32_e64 s4, v78, v4
	v_cndmask_b32_e64 v39, 0, v39, s4
	v_cmp_lt_i32_e64 s4, v77, v4
	v_cndmask_b32_e64 v68, 0, v68, s4
	v_cmp_lt_i32_e64 s4, v76, v4
	v_cndmask_b32_e64 v51, 0, v51, s4
.LBB241_2935:                           ;   in Loop: Header=BB241_1574 Depth=1
	s_or_b32 exec_lo, exec_lo, s15
	flat_load_dword v55, v[15:16] offset:1024
	v_mov_b32_e32 v17, 0
	v_mov_b32_e32 v4, 0
	;; [unrolled: 1-line block ×4, first 2 shown]
	s_waitcnt vmcnt(0) lgkmcnt(0)
	v_cmp_ne_u16_sdwa s4, v55, v10 src0_sel:BYTE_0 src1_sel:DWORD
	s_and_saveexec_b32 s15, s4
	s_cbranch_execz .LBB241_2943
; %bb.2936:                             ;   in Loop: Header=BB241_1574 Depth=1
	v_bfrev_b32_e32 v4, 1
	v_mov_b32_e32 v5, 0
	v_cmp_ne_u16_sdwa s4, v55, v41 src0_sel:BYTE_0 src1_sel:DWORD
	s_and_saveexec_b32 s17, s4
	s_cbranch_execz .LBB241_2942
; %bb.2937:                             ;   in Loop: Header=BB241_1574 Depth=1
	v_mov_b32_e32 v4, 0x7f800001
	v_and_b32_e32 v13, 0x7f, v55
	v_mov_b32_e32 v5, 0
	s_mov_b32 s18, exec_lo
	v_cmpx_ne_u32_e32 0x7f, v13
	s_cbranch_execz .LBB241_2941
; %bb.2938:                             ;   in Loop: Header=BB241_1574 Depth=1
	v_and_b32_e32 v9, 7, v55
	v_lshrrev_b32_e32 v11, 3, v13
	s_mov_b32 s19, exec_lo
	v_mov_b32_e32 v4, v9
	v_mov_b32_e32 v5, v10
	v_cmpx_gt_u32_e32 8, v13
; %bb.2939:                             ;   in Loop: Header=BB241_1574 Depth=1
	v_ffbh_u32_e32 v4, v9
	v_min_u32_e32 v11, 32, v4
	v_subrev_nc_u32_e32 v4, 28, v11
	v_sub_nc_u32_e32 v11, 29, v11
	v_lshlrev_b64 v[4:5], v4, v[9:10]
	v_and_b32_e32 v4, 7, v4
; %bb.2940:                             ;   in Loop: Header=BB241_1574 Depth=1
	s_or_b32 exec_lo, exec_lo, s19
	v_lshlrev_b32_e32 v5, 24, v55
	v_lshlrev_b32_e32 v4, 20, v4
	v_lshl_add_u32 v9, v11, 23, 0x3c000000
	v_and_b32_e32 v5, 0x80000000, v5
	v_or3_b32 v9, v4, v5, v9
	v_mov_b32_e32 v4, v9
	v_mov_b32_e32 v5, v10
.LBB241_2941:                           ;   in Loop: Header=BB241_1574 Depth=1
	s_or_b32 exec_lo, exec_lo, s18
.LBB241_2942:                           ;   in Loop: Header=BB241_1574 Depth=1
	s_or_b32 exec_lo, exec_lo, s17
.LBB241_2943:                           ;   in Loop: Header=BB241_1574 Depth=1
	s_or_b32 exec_lo, exec_lo, s15
	v_cmp_ne_u16_sdwa s4, v55, v10 src0_sel:BYTE_1 src1_sel:DWORD
	s_and_saveexec_b32 s15, s4
	s_cbranch_execz .LBB241_2951
; %bb.2944:                             ;   in Loop: Header=BB241_1574 Depth=1
	v_mov_b32_e32 v11, v10
	v_mov_b32_e32 v18, v12
	v_cmp_ne_u16_sdwa s4, v55, v41 src0_sel:BYTE_1 src1_sel:DWORD
	v_mov_b32_e32 v17, v11
	s_and_saveexec_b32 s17, s4
	s_cbranch_execz .LBB241_2950
; %bb.2945:                             ;   in Loop: Header=BB241_1574 Depth=1
	v_and_b32_sdwa v9, v36, v55 dst_sel:DWORD dst_unused:UNUSED_PAD src0_sel:DWORD src1_sel:BYTE_1
	v_mov_b32_e32 v13, v10
	v_mov_b32_e32 v18, v14
	s_mov_b32 s18, exec_lo
	v_and_b32_e32 v19, 0x7f, v9
	v_mov_b32_e32 v17, v13
	v_cmpx_ne_u32_e32 0x7f, v19
	s_cbranch_execz .LBB241_2949
; %bb.2946:                             ;   in Loop: Header=BB241_1574 Depth=1
	v_and_b32_e32 v9, 7, v9
	v_mov_b32_e32 v18, v10
	v_lshrrev_b32_e32 v11, 3, v19
	s_mov_b32 s19, exec_lo
	v_mov_b32_e32 v17, v9
	v_cmpx_gt_u32_e32 8, v19
; %bb.2947:                             ;   in Loop: Header=BB241_1574 Depth=1
	v_ffbh_u32_e32 v11, v9
	v_min_u32_e32 v11, 32, v11
	v_subrev_nc_u32_e32 v13, 28, v11
	v_sub_nc_u32_e32 v11, 29, v11
	v_lshlrev_b64 v[17:18], v13, v[9:10]
	v_and_b32_e32 v17, 7, v17
; %bb.2948:                             ;   in Loop: Header=BB241_1574 Depth=1
	s_or_b32 exec_lo, exec_lo, s19
	v_lshlrev_b32_e32 v9, 16, v55
	v_lshlrev_b32_e32 v13, 20, v17
	v_lshl_add_u32 v11, v11, 23, 0x3c000000
	v_mov_b32_e32 v17, v10
	v_and_b32_e32 v9, 0x80000000, v9
	v_or3_b32 v18, v13, v9, v11
.LBB241_2949:                           ;   in Loop: Header=BB241_1574 Depth=1
	s_or_b32 exec_lo, exec_lo, s18
.LBB241_2950:                           ;   in Loop: Header=BB241_1574 Depth=1
	s_or_b32 exec_lo, exec_lo, s17
.LBB241_2951:                           ;   in Loop: Header=BB241_1574 Depth=1
	s_or_b32 exec_lo, exec_lo, s15
	v_mov_b32_e32 v19, 0
	v_mov_b32_e32 v21, 0
	v_and_b32_sdwa v9, v55, v43 dst_sel:DWORD dst_unused:UNUSED_PAD src0_sel:WORD_1 src1_sel:DWORD
	v_mov_b32_e32 v20, 0
	v_mov_b32_e32 v22, 0
	s_mov_b32 s15, exec_lo
	v_cmpx_ne_u16_e32 0, v9
	s_cbranch_execz .LBB241_2959
; %bb.2952:                             ;   in Loop: Header=BB241_1574 Depth=1
	v_bfrev_b32_e32 v21, 1
	v_mov_b32_e32 v22, 0
	s_mov_b32 s17, exec_lo
	v_cmpx_ne_u16_e32 0x80, v9
	s_cbranch_execz .LBB241_2958
; %bb.2953:                             ;   in Loop: Header=BB241_1574 Depth=1
	v_mov_b32_e32 v21, 0x7f800001
	v_bfe_u32 v13, v55, 16, 7
	v_mov_b32_e32 v22, 0
	s_mov_b32 s18, exec_lo
	v_cmpx_ne_u32_e32 0x7f, v13
	s_cbranch_execz .LBB241_2957
; %bb.2954:                             ;   in Loop: Header=BB241_1574 Depth=1
	v_mov_b32_e32 v9, 7
	v_lshrrev_b32_e32 v11, 3, v13
	s_mov_b32 s19, exec_lo
	v_and_b32_sdwa v9, v55, v9 dst_sel:DWORD dst_unused:UNUSED_PAD src0_sel:WORD_1 src1_sel:DWORD
	v_mov_b32_e32 v22, v10
	v_mov_b32_e32 v21, v9
	v_cmpx_gt_u32_e32 8, v13
; %bb.2955:                             ;   in Loop: Header=BB241_1574 Depth=1
	v_ffbh_u32_e32 v11, v9
	v_min_u32_e32 v11, 32, v11
	v_subrev_nc_u32_e32 v13, 28, v11
	v_sub_nc_u32_e32 v11, 29, v11
	v_lshlrev_b64 v[21:22], v13, v[9:10]
	v_and_b32_e32 v21, 7, v21
; %bb.2956:                             ;   in Loop: Header=BB241_1574 Depth=1
	s_or_b32 exec_lo, exec_lo, s19
	v_mov_b32_e32 v9, 24
	v_lshlrev_b32_e32 v13, 20, v21
	v_lshl_add_u32 v11, v11, 23, 0x3c000000
	v_lshlrev_b32_sdwa v9, v9, v55 dst_sel:DWORD dst_unused:UNUSED_PAD src0_sel:DWORD src1_sel:WORD_1
	v_and_b32_e32 v9, 0x80000000, v9
	v_or3_b32 v9, v13, v9, v11
	v_mov_b32_e32 v22, v10
	v_mov_b32_e32 v21, v9
.LBB241_2957:                           ;   in Loop: Header=BB241_1574 Depth=1
	s_or_b32 exec_lo, exec_lo, s18
.LBB241_2958:                           ;   in Loop: Header=BB241_1574 Depth=1
	s_or_b32 exec_lo, exec_lo, s17
.LBB241_2959:                           ;   in Loop: Header=BB241_1574 Depth=1
	s_or_b32 exec_lo, exec_lo, s15
	s_mov_b32 s15, exec_lo
	v_cmpx_lt_u32_e32 0xffffff, v55
	s_cbranch_execz .LBB241_2967
; %bb.2960:                             ;   in Loop: Header=BB241_1574 Depth=1
	v_mov_b32_e32 v11, v10
	v_mov_b32_e32 v20, v12
	v_cmp_ne_u32_sdwa s4, v55, v41 src0_sel:BYTE_3 src1_sel:DWORD
	v_mov_b32_e32 v19, v11
	s_and_saveexec_b32 s17, s4
	s_cbranch_execz .LBB241_2966
; %bb.2961:                             ;   in Loop: Header=BB241_1574 Depth=1
	v_mov_b32_e32 v13, v10
	v_mov_b32_e32 v20, v14
	v_bfe_u32 v36, v55, 24, 7
	s_mov_b32 s18, exec_lo
	v_mov_b32_e32 v19, v13
	v_cmpx_ne_u32_e32 0x7f, v36
	s_cbranch_execz .LBB241_2965
; %bb.2962:                             ;   in Loop: Header=BB241_1574 Depth=1
	v_mov_b32_e32 v9, 7
	v_lshrrev_b32_e32 v11, 3, v36
	s_mov_b32 s19, exec_lo
	v_and_b32_sdwa v9, v55, v9 dst_sel:DWORD dst_unused:UNUSED_PAD src0_sel:BYTE_3 src1_sel:DWORD
	v_mov_b32_e32 v20, v10
	v_mov_b32_e32 v19, v9
	v_cmpx_gt_u32_e32 8, v36
; %bb.2963:                             ;   in Loop: Header=BB241_1574 Depth=1
	v_ffbh_u32_e32 v11, v9
	v_min_u32_e32 v11, 32, v11
	v_subrev_nc_u32_e32 v13, 28, v11
	v_sub_nc_u32_e32 v11, 29, v11
	v_lshlrev_b64 v[19:20], v13, v[9:10]
	v_and_b32_e32 v19, 7, v19
; %bb.2964:                             ;   in Loop: Header=BB241_1574 Depth=1
	s_or_b32 exec_lo, exec_lo, s19
	v_mov_b32_e32 v9, 24
	v_lshlrev_b32_e32 v13, 20, v19
	v_lshl_add_u32 v11, v11, 23, 0x3c000000
	v_mov_b32_e32 v19, v10
	v_lshlrev_b32_sdwa v9, v9, v55 dst_sel:DWORD dst_unused:UNUSED_PAD src0_sel:DWORD src1_sel:BYTE_3
	v_and_b32_e32 v9, 0x80000000, v9
	v_or3_b32 v20, v13, v9, v11
.LBB241_2965:                           ;   in Loop: Header=BB241_1574 Depth=1
	s_or_b32 exec_lo, exec_lo, s18
	v_mov_b32_e32 v36, 0xffff
.LBB241_2966:                           ;   in Loop: Header=BB241_1574 Depth=1
	s_or_b32 exec_lo, exec_lo, s17
.LBB241_2967:                           ;   in Loop: Header=BB241_1574 Depth=1
	s_or_b32 exec_lo, exec_lo, s15
	v_or_b32_e32 v5, v18, v5
	v_or_b32_e32 v4, v17, v4
	v_or_b32_e32 v9, v19, v21
	v_or_b32_e32 v11, v20, v22
	v_mul_f32_e32 v82, v63, v5
	v_mul_f32_e32 v81, v63, v4
	;; [unrolled: 1-line block ×4, first 2 shown]
	s_and_saveexec_b32 s15, vcc_lo
	s_cbranch_execz .LBB241_2969
; %bb.2968:                             ;   in Loop: Header=BB241_1574 Depth=1
	buffer_load_dword v4, off, s[0:3], s32 offset:208 ; 4-byte Folded Reload
	s_waitcnt vmcnt(0)
	v_cmp_lt_i32_e64 s4, v62, v4
	v_cndmask_b32_e64 v81, 0, v81, s4
	v_cmp_lt_i32_e64 s4, v78, v4
	v_cndmask_b32_e64 v82, 0, v82, s4
	v_cmp_lt_i32_e64 s4, v77, v4
	v_cndmask_b32_e64 v80, 0, v80, s4
	v_cmp_lt_i32_e64 s4, v76, v4
	v_cndmask_b32_e64 v103, 0, v103, s4
.LBB241_2969:                           ;   in Loop: Header=BB241_1574 Depth=1
	s_or_b32 exec_lo, exec_lo, s15
	flat_load_dword v55, v[15:16] offset:1152
	v_mov_b32_e32 v17, 0
	v_mov_b32_e32 v4, 0
	;; [unrolled: 1-line block ×4, first 2 shown]
	s_waitcnt vmcnt(0) lgkmcnt(0)
	v_cmp_ne_u16_sdwa s4, v55, v10 src0_sel:BYTE_0 src1_sel:DWORD
	s_and_saveexec_b32 s15, s4
	s_cbranch_execz .LBB241_2977
; %bb.2970:                             ;   in Loop: Header=BB241_1574 Depth=1
	v_bfrev_b32_e32 v4, 1
	v_mov_b32_e32 v5, 0
	v_cmp_ne_u16_sdwa s4, v55, v41 src0_sel:BYTE_0 src1_sel:DWORD
	s_and_saveexec_b32 s17, s4
	s_cbranch_execz .LBB241_2976
; %bb.2971:                             ;   in Loop: Header=BB241_1574 Depth=1
	v_mov_b32_e32 v4, 0x7f800001
	v_and_b32_e32 v13, 0x7f, v55
	v_mov_b32_e32 v5, 0
	s_mov_b32 s18, exec_lo
	v_cmpx_ne_u32_e32 0x7f, v13
	s_cbranch_execz .LBB241_2975
; %bb.2972:                             ;   in Loop: Header=BB241_1574 Depth=1
	v_and_b32_e32 v9, 7, v55
	v_lshrrev_b32_e32 v11, 3, v13
	s_mov_b32 s19, exec_lo
	v_mov_b32_e32 v4, v9
	v_mov_b32_e32 v5, v10
	v_cmpx_gt_u32_e32 8, v13
; %bb.2973:                             ;   in Loop: Header=BB241_1574 Depth=1
	v_ffbh_u32_e32 v4, v9
	v_min_u32_e32 v11, 32, v4
	v_subrev_nc_u32_e32 v4, 28, v11
	v_sub_nc_u32_e32 v11, 29, v11
	v_lshlrev_b64 v[4:5], v4, v[9:10]
	v_and_b32_e32 v4, 7, v4
; %bb.2974:                             ;   in Loop: Header=BB241_1574 Depth=1
	s_or_b32 exec_lo, exec_lo, s19
	v_lshlrev_b32_e32 v5, 24, v55
	v_lshlrev_b32_e32 v4, 20, v4
	v_lshl_add_u32 v9, v11, 23, 0x3c000000
	v_and_b32_e32 v5, 0x80000000, v5
	v_or3_b32 v9, v4, v5, v9
	v_mov_b32_e32 v4, v9
	v_mov_b32_e32 v5, v10
.LBB241_2975:                           ;   in Loop: Header=BB241_1574 Depth=1
	s_or_b32 exec_lo, exec_lo, s18
.LBB241_2976:                           ;   in Loop: Header=BB241_1574 Depth=1
	s_or_b32 exec_lo, exec_lo, s17
.LBB241_2977:                           ;   in Loop: Header=BB241_1574 Depth=1
	s_or_b32 exec_lo, exec_lo, s15
	v_cmp_ne_u16_sdwa s4, v55, v10 src0_sel:BYTE_1 src1_sel:DWORD
	s_and_saveexec_b32 s15, s4
	s_cbranch_execz .LBB241_2985
; %bb.2978:                             ;   in Loop: Header=BB241_1574 Depth=1
	v_mov_b32_e32 v11, v10
	v_mov_b32_e32 v18, v12
	v_cmp_ne_u16_sdwa s4, v55, v41 src0_sel:BYTE_1 src1_sel:DWORD
	v_mov_b32_e32 v17, v11
	s_and_saveexec_b32 s17, s4
	s_cbranch_execz .LBB241_2984
; %bb.2979:                             ;   in Loop: Header=BB241_1574 Depth=1
	v_and_b32_sdwa v9, v36, v55 dst_sel:DWORD dst_unused:UNUSED_PAD src0_sel:DWORD src1_sel:BYTE_1
	v_mov_b32_e32 v13, v10
	v_mov_b32_e32 v18, v14
	s_mov_b32 s18, exec_lo
	v_and_b32_e32 v19, 0x7f, v9
	v_mov_b32_e32 v17, v13
	v_cmpx_ne_u32_e32 0x7f, v19
	s_cbranch_execz .LBB241_2983
; %bb.2980:                             ;   in Loop: Header=BB241_1574 Depth=1
	v_and_b32_e32 v9, 7, v9
	v_mov_b32_e32 v18, v10
	v_lshrrev_b32_e32 v11, 3, v19
	s_mov_b32 s19, exec_lo
	v_mov_b32_e32 v17, v9
	v_cmpx_gt_u32_e32 8, v19
; %bb.2981:                             ;   in Loop: Header=BB241_1574 Depth=1
	v_ffbh_u32_e32 v11, v9
	v_min_u32_e32 v11, 32, v11
	v_subrev_nc_u32_e32 v13, 28, v11
	v_sub_nc_u32_e32 v11, 29, v11
	v_lshlrev_b64 v[17:18], v13, v[9:10]
	v_and_b32_e32 v17, 7, v17
; %bb.2982:                             ;   in Loop: Header=BB241_1574 Depth=1
	s_or_b32 exec_lo, exec_lo, s19
	v_lshlrev_b32_e32 v9, 16, v55
	v_lshlrev_b32_e32 v13, 20, v17
	v_lshl_add_u32 v11, v11, 23, 0x3c000000
	v_mov_b32_e32 v17, v10
	v_and_b32_e32 v9, 0x80000000, v9
	v_or3_b32 v18, v13, v9, v11
.LBB241_2983:                           ;   in Loop: Header=BB241_1574 Depth=1
	s_or_b32 exec_lo, exec_lo, s18
.LBB241_2984:                           ;   in Loop: Header=BB241_1574 Depth=1
	s_or_b32 exec_lo, exec_lo, s17
.LBB241_2985:                           ;   in Loop: Header=BB241_1574 Depth=1
	s_or_b32 exec_lo, exec_lo, s15
	v_mov_b32_e32 v19, 0
	v_mov_b32_e32 v21, 0
	v_and_b32_sdwa v9, v55, v43 dst_sel:DWORD dst_unused:UNUSED_PAD src0_sel:WORD_1 src1_sel:DWORD
	v_mov_b32_e32 v20, 0
	v_mov_b32_e32 v22, 0
	s_mov_b32 s15, exec_lo
	v_cmpx_ne_u16_e32 0, v9
	s_cbranch_execz .LBB241_2993
; %bb.2986:                             ;   in Loop: Header=BB241_1574 Depth=1
	v_bfrev_b32_e32 v21, 1
	v_mov_b32_e32 v22, 0
	s_mov_b32 s17, exec_lo
	v_cmpx_ne_u16_e32 0x80, v9
	s_cbranch_execz .LBB241_2992
; %bb.2987:                             ;   in Loop: Header=BB241_1574 Depth=1
	v_mov_b32_e32 v21, 0x7f800001
	v_bfe_u32 v13, v55, 16, 7
	v_mov_b32_e32 v22, 0
	s_mov_b32 s18, exec_lo
	v_cmpx_ne_u32_e32 0x7f, v13
	s_cbranch_execz .LBB241_2991
; %bb.2988:                             ;   in Loop: Header=BB241_1574 Depth=1
	v_mov_b32_e32 v9, 7
	v_lshrrev_b32_e32 v11, 3, v13
	s_mov_b32 s19, exec_lo
	v_and_b32_sdwa v9, v55, v9 dst_sel:DWORD dst_unused:UNUSED_PAD src0_sel:WORD_1 src1_sel:DWORD
	v_mov_b32_e32 v22, v10
	v_mov_b32_e32 v21, v9
	v_cmpx_gt_u32_e32 8, v13
; %bb.2989:                             ;   in Loop: Header=BB241_1574 Depth=1
	v_ffbh_u32_e32 v11, v9
	v_min_u32_e32 v11, 32, v11
	v_subrev_nc_u32_e32 v13, 28, v11
	v_sub_nc_u32_e32 v11, 29, v11
	v_lshlrev_b64 v[21:22], v13, v[9:10]
	v_and_b32_e32 v21, 7, v21
; %bb.2990:                             ;   in Loop: Header=BB241_1574 Depth=1
	s_or_b32 exec_lo, exec_lo, s19
	v_mov_b32_e32 v9, 24
	v_lshlrev_b32_e32 v13, 20, v21
	v_lshl_add_u32 v11, v11, 23, 0x3c000000
	v_lshlrev_b32_sdwa v9, v9, v55 dst_sel:DWORD dst_unused:UNUSED_PAD src0_sel:DWORD src1_sel:WORD_1
	v_and_b32_e32 v9, 0x80000000, v9
	v_or3_b32 v9, v13, v9, v11
	v_mov_b32_e32 v22, v10
	v_mov_b32_e32 v21, v9
.LBB241_2991:                           ;   in Loop: Header=BB241_1574 Depth=1
	s_or_b32 exec_lo, exec_lo, s18
.LBB241_2992:                           ;   in Loop: Header=BB241_1574 Depth=1
	s_or_b32 exec_lo, exec_lo, s17
.LBB241_2993:                           ;   in Loop: Header=BB241_1574 Depth=1
	s_or_b32 exec_lo, exec_lo, s15
	s_mov_b32 s15, exec_lo
	v_cmpx_lt_u32_e32 0xffffff, v55
	s_cbranch_execz .LBB241_3001
; %bb.2994:                             ;   in Loop: Header=BB241_1574 Depth=1
	v_mov_b32_e32 v11, v10
	v_mov_b32_e32 v20, v12
	v_cmp_ne_u32_sdwa s4, v55, v41 src0_sel:BYTE_3 src1_sel:DWORD
	v_mov_b32_e32 v19, v11
	s_and_saveexec_b32 s17, s4
	s_cbranch_execz .LBB241_3000
; %bb.2995:                             ;   in Loop: Header=BB241_1574 Depth=1
	v_mov_b32_e32 v13, v10
	v_mov_b32_e32 v20, v14
	v_bfe_u32 v36, v55, 24, 7
	s_mov_b32 s18, exec_lo
	v_mov_b32_e32 v19, v13
	v_cmpx_ne_u32_e32 0x7f, v36
	s_cbranch_execz .LBB241_2999
; %bb.2996:                             ;   in Loop: Header=BB241_1574 Depth=1
	v_mov_b32_e32 v9, 7
	v_lshrrev_b32_e32 v11, 3, v36
	s_mov_b32 s19, exec_lo
	v_and_b32_sdwa v9, v55, v9 dst_sel:DWORD dst_unused:UNUSED_PAD src0_sel:BYTE_3 src1_sel:DWORD
	v_mov_b32_e32 v20, v10
	v_mov_b32_e32 v19, v9
	v_cmpx_gt_u32_e32 8, v36
; %bb.2997:                             ;   in Loop: Header=BB241_1574 Depth=1
	v_ffbh_u32_e32 v11, v9
	v_min_u32_e32 v11, 32, v11
	v_subrev_nc_u32_e32 v13, 28, v11
	v_sub_nc_u32_e32 v11, 29, v11
	v_lshlrev_b64 v[19:20], v13, v[9:10]
	v_and_b32_e32 v19, 7, v19
; %bb.2998:                             ;   in Loop: Header=BB241_1574 Depth=1
	s_or_b32 exec_lo, exec_lo, s19
	v_mov_b32_e32 v9, 24
	v_lshlrev_b32_e32 v13, 20, v19
	v_lshl_add_u32 v11, v11, 23, 0x3c000000
	v_mov_b32_e32 v19, v10
	v_lshlrev_b32_sdwa v9, v9, v55 dst_sel:DWORD dst_unused:UNUSED_PAD src0_sel:DWORD src1_sel:BYTE_3
	v_and_b32_e32 v9, 0x80000000, v9
	v_or3_b32 v20, v13, v9, v11
.LBB241_2999:                           ;   in Loop: Header=BB241_1574 Depth=1
	s_or_b32 exec_lo, exec_lo, s18
	v_mov_b32_e32 v36, 0xffff
.LBB241_3000:                           ;   in Loop: Header=BB241_1574 Depth=1
	s_or_b32 exec_lo, exec_lo, s17
.LBB241_3001:                           ;   in Loop: Header=BB241_1574 Depth=1
	s_or_b32 exec_lo, exec_lo, s15
	v_or_b32_e32 v5, v18, v5
	v_or_b32_e32 v4, v17, v4
	;; [unrolled: 1-line block ×4, first 2 shown]
	v_mul_f32_e32 v84, v63, v5
	v_mul_f32_e32 v85, v63, v4
	;; [unrolled: 1-line block ×4, first 2 shown]
	s_and_saveexec_b32 s15, vcc_lo
	s_cbranch_execz .LBB241_3003
; %bb.3002:                             ;   in Loop: Header=BB241_1574 Depth=1
	buffer_load_dword v4, off, s[0:3], s32 offset:208 ; 4-byte Folded Reload
	s_waitcnt vmcnt(0)
	v_cmp_lt_i32_e64 s4, v62, v4
	v_cndmask_b32_e64 v85, 0, v85, s4
	v_cmp_lt_i32_e64 s4, v78, v4
	v_cndmask_b32_e64 v84, 0, v84, s4
	;; [unrolled: 2-line block ×4, first 2 shown]
.LBB241_3003:                           ;   in Loop: Header=BB241_1574 Depth=1
	s_or_b32 exec_lo, exec_lo, s15
	flat_load_dword v70, v[15:16] offset:1280
	v_mov_b32_e32 v17, 0
	v_mov_b32_e32 v4, 0
	;; [unrolled: 1-line block ×4, first 2 shown]
	s_waitcnt vmcnt(0) lgkmcnt(0)
	v_cmp_ne_u16_sdwa s4, v70, v10 src0_sel:BYTE_0 src1_sel:DWORD
	s_and_saveexec_b32 s15, s4
	s_cbranch_execz .LBB241_3011
; %bb.3004:                             ;   in Loop: Header=BB241_1574 Depth=1
	v_bfrev_b32_e32 v4, 1
	v_mov_b32_e32 v5, 0
	v_cmp_ne_u16_sdwa s4, v70, v41 src0_sel:BYTE_0 src1_sel:DWORD
	s_and_saveexec_b32 s17, s4
	s_cbranch_execz .LBB241_3010
; %bb.3005:                             ;   in Loop: Header=BB241_1574 Depth=1
	v_mov_b32_e32 v4, 0x7f800001
	v_and_b32_e32 v13, 0x7f, v70
	v_mov_b32_e32 v5, 0
	s_mov_b32 s18, exec_lo
	v_cmpx_ne_u32_e32 0x7f, v13
	s_cbranch_execz .LBB241_3009
; %bb.3006:                             ;   in Loop: Header=BB241_1574 Depth=1
	v_and_b32_e32 v9, 7, v70
	v_lshrrev_b32_e32 v11, 3, v13
	s_mov_b32 s19, exec_lo
	v_mov_b32_e32 v4, v9
	v_mov_b32_e32 v5, v10
	v_cmpx_gt_u32_e32 8, v13
; %bb.3007:                             ;   in Loop: Header=BB241_1574 Depth=1
	v_ffbh_u32_e32 v4, v9
	v_min_u32_e32 v11, 32, v4
	v_subrev_nc_u32_e32 v4, 28, v11
	v_sub_nc_u32_e32 v11, 29, v11
	v_lshlrev_b64 v[4:5], v4, v[9:10]
	v_and_b32_e32 v4, 7, v4
; %bb.3008:                             ;   in Loop: Header=BB241_1574 Depth=1
	s_or_b32 exec_lo, exec_lo, s19
	v_lshlrev_b32_e32 v5, 24, v70
	v_lshlrev_b32_e32 v4, 20, v4
	v_lshl_add_u32 v9, v11, 23, 0x3c000000
	v_and_b32_e32 v5, 0x80000000, v5
	v_or3_b32 v9, v4, v5, v9
	v_mov_b32_e32 v4, v9
	v_mov_b32_e32 v5, v10
.LBB241_3009:                           ;   in Loop: Header=BB241_1574 Depth=1
	s_or_b32 exec_lo, exec_lo, s18
.LBB241_3010:                           ;   in Loop: Header=BB241_1574 Depth=1
	s_or_b32 exec_lo, exec_lo, s17
.LBB241_3011:                           ;   in Loop: Header=BB241_1574 Depth=1
	s_or_b32 exec_lo, exec_lo, s15
	v_cmp_ne_u16_sdwa s4, v70, v10 src0_sel:BYTE_1 src1_sel:DWORD
	s_and_saveexec_b32 s15, s4
	s_cbranch_execz .LBB241_3019
; %bb.3012:                             ;   in Loop: Header=BB241_1574 Depth=1
	v_mov_b32_e32 v11, v10
	v_mov_b32_e32 v18, v12
	v_cmp_ne_u16_sdwa s4, v70, v41 src0_sel:BYTE_1 src1_sel:DWORD
	v_mov_b32_e32 v17, v11
	s_and_saveexec_b32 s17, s4
	s_cbranch_execz .LBB241_3018
; %bb.3013:                             ;   in Loop: Header=BB241_1574 Depth=1
	v_and_b32_sdwa v9, v36, v70 dst_sel:DWORD dst_unused:UNUSED_PAD src0_sel:DWORD src1_sel:BYTE_1
	v_mov_b32_e32 v13, v10
	v_mov_b32_e32 v18, v14
	s_mov_b32 s18, exec_lo
	v_and_b32_e32 v19, 0x7f, v9
	v_mov_b32_e32 v17, v13
	v_cmpx_ne_u32_e32 0x7f, v19
	s_cbranch_execz .LBB241_3017
; %bb.3014:                             ;   in Loop: Header=BB241_1574 Depth=1
	v_and_b32_e32 v9, 7, v9
	v_mov_b32_e32 v18, v10
	v_lshrrev_b32_e32 v11, 3, v19
	s_mov_b32 s19, exec_lo
	v_mov_b32_e32 v17, v9
	v_cmpx_gt_u32_e32 8, v19
; %bb.3015:                             ;   in Loop: Header=BB241_1574 Depth=1
	v_ffbh_u32_e32 v11, v9
	v_min_u32_e32 v11, 32, v11
	v_subrev_nc_u32_e32 v13, 28, v11
	v_sub_nc_u32_e32 v11, 29, v11
	v_lshlrev_b64 v[17:18], v13, v[9:10]
	v_and_b32_e32 v17, 7, v17
; %bb.3016:                             ;   in Loop: Header=BB241_1574 Depth=1
	s_or_b32 exec_lo, exec_lo, s19
	v_lshlrev_b32_e32 v9, 16, v70
	v_lshlrev_b32_e32 v13, 20, v17
	v_lshl_add_u32 v11, v11, 23, 0x3c000000
	v_mov_b32_e32 v17, v10
	v_and_b32_e32 v9, 0x80000000, v9
	v_or3_b32 v18, v13, v9, v11
.LBB241_3017:                           ;   in Loop: Header=BB241_1574 Depth=1
	s_or_b32 exec_lo, exec_lo, s18
.LBB241_3018:                           ;   in Loop: Header=BB241_1574 Depth=1
	s_or_b32 exec_lo, exec_lo, s17
.LBB241_3019:                           ;   in Loop: Header=BB241_1574 Depth=1
	s_or_b32 exec_lo, exec_lo, s15
	v_mov_b32_e32 v19, 0
	v_mov_b32_e32 v21, 0
	v_and_b32_sdwa v9, v70, v43 dst_sel:DWORD dst_unused:UNUSED_PAD src0_sel:WORD_1 src1_sel:DWORD
	v_mov_b32_e32 v20, 0
	v_mov_b32_e32 v22, 0
	s_mov_b32 s15, exec_lo
	v_cmpx_ne_u16_e32 0, v9
	s_cbranch_execz .LBB241_3027
; %bb.3020:                             ;   in Loop: Header=BB241_1574 Depth=1
	v_bfrev_b32_e32 v21, 1
	v_mov_b32_e32 v22, 0
	s_mov_b32 s17, exec_lo
	v_cmpx_ne_u16_e32 0x80, v9
	s_cbranch_execz .LBB241_3026
; %bb.3021:                             ;   in Loop: Header=BB241_1574 Depth=1
	v_mov_b32_e32 v21, 0x7f800001
	v_bfe_u32 v13, v70, 16, 7
	v_mov_b32_e32 v22, 0
	s_mov_b32 s18, exec_lo
	v_cmpx_ne_u32_e32 0x7f, v13
	s_cbranch_execz .LBB241_3025
; %bb.3022:                             ;   in Loop: Header=BB241_1574 Depth=1
	v_mov_b32_e32 v9, 7
	v_lshrrev_b32_e32 v11, 3, v13
	s_mov_b32 s19, exec_lo
	v_and_b32_sdwa v9, v70, v9 dst_sel:DWORD dst_unused:UNUSED_PAD src0_sel:WORD_1 src1_sel:DWORD
	v_mov_b32_e32 v22, v10
	v_mov_b32_e32 v21, v9
	v_cmpx_gt_u32_e32 8, v13
; %bb.3023:                             ;   in Loop: Header=BB241_1574 Depth=1
	v_ffbh_u32_e32 v11, v9
	v_min_u32_e32 v11, 32, v11
	v_subrev_nc_u32_e32 v13, 28, v11
	v_sub_nc_u32_e32 v11, 29, v11
	v_lshlrev_b64 v[21:22], v13, v[9:10]
	v_and_b32_e32 v21, 7, v21
; %bb.3024:                             ;   in Loop: Header=BB241_1574 Depth=1
	s_or_b32 exec_lo, exec_lo, s19
	v_mov_b32_e32 v9, 24
	v_lshlrev_b32_e32 v13, 20, v21
	v_lshl_add_u32 v11, v11, 23, 0x3c000000
	v_lshlrev_b32_sdwa v9, v9, v70 dst_sel:DWORD dst_unused:UNUSED_PAD src0_sel:DWORD src1_sel:WORD_1
	v_and_b32_e32 v9, 0x80000000, v9
	v_or3_b32 v9, v13, v9, v11
	v_mov_b32_e32 v22, v10
	v_mov_b32_e32 v21, v9
.LBB241_3025:                           ;   in Loop: Header=BB241_1574 Depth=1
	s_or_b32 exec_lo, exec_lo, s18
.LBB241_3026:                           ;   in Loop: Header=BB241_1574 Depth=1
	s_or_b32 exec_lo, exec_lo, s17
.LBB241_3027:                           ;   in Loop: Header=BB241_1574 Depth=1
	s_or_b32 exec_lo, exec_lo, s15
	s_mov_b32 s15, exec_lo
	v_cmpx_lt_u32_e32 0xffffff, v70
	s_cbranch_execz .LBB241_3035
; %bb.3028:                             ;   in Loop: Header=BB241_1574 Depth=1
	v_mov_b32_e32 v11, v10
	v_mov_b32_e32 v20, v12
	v_cmp_ne_u32_sdwa s4, v70, v41 src0_sel:BYTE_3 src1_sel:DWORD
	v_mov_b32_e32 v19, v11
	s_and_saveexec_b32 s17, s4
	s_cbranch_execz .LBB241_3034
; %bb.3029:                             ;   in Loop: Header=BB241_1574 Depth=1
	v_mov_b32_e32 v13, v10
	v_mov_b32_e32 v20, v14
	v_bfe_u32 v36, v70, 24, 7
	s_mov_b32 s18, exec_lo
	v_mov_b32_e32 v19, v13
	v_cmpx_ne_u32_e32 0x7f, v36
	s_cbranch_execz .LBB241_3033
; %bb.3030:                             ;   in Loop: Header=BB241_1574 Depth=1
	v_mov_b32_e32 v9, 7
	v_lshrrev_b32_e32 v11, 3, v36
	s_mov_b32 s19, exec_lo
	v_and_b32_sdwa v9, v70, v9 dst_sel:DWORD dst_unused:UNUSED_PAD src0_sel:BYTE_3 src1_sel:DWORD
	v_mov_b32_e32 v20, v10
	v_mov_b32_e32 v19, v9
	v_cmpx_gt_u32_e32 8, v36
; %bb.3031:                             ;   in Loop: Header=BB241_1574 Depth=1
	v_ffbh_u32_e32 v11, v9
	v_min_u32_e32 v11, 32, v11
	v_subrev_nc_u32_e32 v13, 28, v11
	v_sub_nc_u32_e32 v11, 29, v11
	v_lshlrev_b64 v[19:20], v13, v[9:10]
	v_and_b32_e32 v19, 7, v19
; %bb.3032:                             ;   in Loop: Header=BB241_1574 Depth=1
	s_or_b32 exec_lo, exec_lo, s19
	v_mov_b32_e32 v9, 24
	v_lshlrev_b32_e32 v13, 20, v19
	v_lshl_add_u32 v11, v11, 23, 0x3c000000
	v_mov_b32_e32 v19, v10
	v_lshlrev_b32_sdwa v9, v9, v70 dst_sel:DWORD dst_unused:UNUSED_PAD src0_sel:DWORD src1_sel:BYTE_3
	v_and_b32_e32 v9, 0x80000000, v9
	v_or3_b32 v20, v13, v9, v11
.LBB241_3033:                           ;   in Loop: Header=BB241_1574 Depth=1
	s_or_b32 exec_lo, exec_lo, s18
	v_mov_b32_e32 v36, 0xffff
.LBB241_3034:                           ;   in Loop: Header=BB241_1574 Depth=1
	s_or_b32 exec_lo, exec_lo, s17
.LBB241_3035:                           ;   in Loop: Header=BB241_1574 Depth=1
	s_or_b32 exec_lo, exec_lo, s15
	v_or_b32_e32 v5, v18, v5
	v_or_b32_e32 v4, v17, v4
	;; [unrolled: 1-line block ×4, first 2 shown]
	v_mul_f32_e32 v98, v63, v5
	v_mul_f32_e32 v97, v63, v4
	;; [unrolled: 1-line block ×4, first 2 shown]
	s_and_saveexec_b32 s15, vcc_lo
	s_cbranch_execz .LBB241_3037
; %bb.3036:                             ;   in Loop: Header=BB241_1574 Depth=1
	buffer_load_dword v4, off, s[0:3], s32 offset:208 ; 4-byte Folded Reload
	s_waitcnt vmcnt(0)
	v_cmp_lt_i32_e64 s4, v62, v4
	v_cndmask_b32_e64 v97, 0, v97, s4
	v_cmp_lt_i32_e64 s4, v78, v4
	v_cndmask_b32_e64 v98, 0, v98, s4
	;; [unrolled: 2-line block ×4, first 2 shown]
.LBB241_3037:                           ;   in Loop: Header=BB241_1574 Depth=1
	s_or_b32 exec_lo, exec_lo, s15
	flat_load_dword v70, v[15:16] offset:1408
	v_mov_b32_e32 v17, 0
	v_mov_b32_e32 v4, 0
	;; [unrolled: 1-line block ×4, first 2 shown]
	s_waitcnt vmcnt(0) lgkmcnt(0)
	v_cmp_ne_u16_sdwa s4, v70, v10 src0_sel:BYTE_0 src1_sel:DWORD
	s_and_saveexec_b32 s15, s4
	s_cbranch_execz .LBB241_3045
; %bb.3038:                             ;   in Loop: Header=BB241_1574 Depth=1
	v_bfrev_b32_e32 v4, 1
	v_mov_b32_e32 v5, 0
	v_cmp_ne_u16_sdwa s4, v70, v41 src0_sel:BYTE_0 src1_sel:DWORD
	s_and_saveexec_b32 s17, s4
	s_cbranch_execz .LBB241_3044
; %bb.3039:                             ;   in Loop: Header=BB241_1574 Depth=1
	v_mov_b32_e32 v4, 0x7f800001
	v_and_b32_e32 v13, 0x7f, v70
	v_mov_b32_e32 v5, 0
	s_mov_b32 s18, exec_lo
	v_cmpx_ne_u32_e32 0x7f, v13
	s_cbranch_execz .LBB241_3043
; %bb.3040:                             ;   in Loop: Header=BB241_1574 Depth=1
	v_and_b32_e32 v9, 7, v70
	v_lshrrev_b32_e32 v11, 3, v13
	s_mov_b32 s19, exec_lo
	v_mov_b32_e32 v4, v9
	v_mov_b32_e32 v5, v10
	v_cmpx_gt_u32_e32 8, v13
; %bb.3041:                             ;   in Loop: Header=BB241_1574 Depth=1
	v_ffbh_u32_e32 v4, v9
	v_min_u32_e32 v11, 32, v4
	v_subrev_nc_u32_e32 v4, 28, v11
	v_sub_nc_u32_e32 v11, 29, v11
	v_lshlrev_b64 v[4:5], v4, v[9:10]
	v_and_b32_e32 v4, 7, v4
; %bb.3042:                             ;   in Loop: Header=BB241_1574 Depth=1
	s_or_b32 exec_lo, exec_lo, s19
	v_lshlrev_b32_e32 v5, 24, v70
	v_lshlrev_b32_e32 v4, 20, v4
	v_lshl_add_u32 v9, v11, 23, 0x3c000000
	v_and_b32_e32 v5, 0x80000000, v5
	v_or3_b32 v9, v4, v5, v9
	v_mov_b32_e32 v4, v9
	v_mov_b32_e32 v5, v10
.LBB241_3043:                           ;   in Loop: Header=BB241_1574 Depth=1
	s_or_b32 exec_lo, exec_lo, s18
.LBB241_3044:                           ;   in Loop: Header=BB241_1574 Depth=1
	s_or_b32 exec_lo, exec_lo, s17
.LBB241_3045:                           ;   in Loop: Header=BB241_1574 Depth=1
	s_or_b32 exec_lo, exec_lo, s15
	v_cmp_ne_u16_sdwa s4, v70, v10 src0_sel:BYTE_1 src1_sel:DWORD
	s_and_saveexec_b32 s15, s4
	s_cbranch_execz .LBB241_3053
; %bb.3046:                             ;   in Loop: Header=BB241_1574 Depth=1
	v_mov_b32_e32 v11, v10
	v_mov_b32_e32 v18, v12
	v_cmp_ne_u16_sdwa s4, v70, v41 src0_sel:BYTE_1 src1_sel:DWORD
	v_mov_b32_e32 v17, v11
	s_and_saveexec_b32 s17, s4
	s_cbranch_execz .LBB241_3052
; %bb.3047:                             ;   in Loop: Header=BB241_1574 Depth=1
	v_and_b32_sdwa v9, v36, v70 dst_sel:DWORD dst_unused:UNUSED_PAD src0_sel:DWORD src1_sel:BYTE_1
	v_mov_b32_e32 v13, v10
	v_mov_b32_e32 v18, v14
	s_mov_b32 s18, exec_lo
	v_and_b32_e32 v19, 0x7f, v9
	v_mov_b32_e32 v17, v13
	v_cmpx_ne_u32_e32 0x7f, v19
	s_cbranch_execz .LBB241_3051
; %bb.3048:                             ;   in Loop: Header=BB241_1574 Depth=1
	v_and_b32_e32 v9, 7, v9
	v_mov_b32_e32 v18, v10
	v_lshrrev_b32_e32 v11, 3, v19
	s_mov_b32 s19, exec_lo
	v_mov_b32_e32 v17, v9
	v_cmpx_gt_u32_e32 8, v19
; %bb.3049:                             ;   in Loop: Header=BB241_1574 Depth=1
	v_ffbh_u32_e32 v11, v9
	v_min_u32_e32 v11, 32, v11
	v_subrev_nc_u32_e32 v13, 28, v11
	v_sub_nc_u32_e32 v11, 29, v11
	v_lshlrev_b64 v[17:18], v13, v[9:10]
	v_and_b32_e32 v17, 7, v17
; %bb.3050:                             ;   in Loop: Header=BB241_1574 Depth=1
	s_or_b32 exec_lo, exec_lo, s19
	v_lshlrev_b32_e32 v9, 16, v70
	v_lshlrev_b32_e32 v13, 20, v17
	v_lshl_add_u32 v11, v11, 23, 0x3c000000
	v_mov_b32_e32 v17, v10
	v_and_b32_e32 v9, 0x80000000, v9
	v_or3_b32 v18, v13, v9, v11
.LBB241_3051:                           ;   in Loop: Header=BB241_1574 Depth=1
	s_or_b32 exec_lo, exec_lo, s18
.LBB241_3052:                           ;   in Loop: Header=BB241_1574 Depth=1
	s_or_b32 exec_lo, exec_lo, s17
.LBB241_3053:                           ;   in Loop: Header=BB241_1574 Depth=1
	s_or_b32 exec_lo, exec_lo, s15
	v_mov_b32_e32 v19, 0
	v_mov_b32_e32 v21, 0
	v_and_b32_sdwa v9, v70, v43 dst_sel:DWORD dst_unused:UNUSED_PAD src0_sel:WORD_1 src1_sel:DWORD
	v_mov_b32_e32 v20, 0
	v_mov_b32_e32 v22, 0
	s_mov_b32 s15, exec_lo
	v_cmpx_ne_u16_e32 0, v9
	s_cbranch_execz .LBB241_3061
; %bb.3054:                             ;   in Loop: Header=BB241_1574 Depth=1
	v_bfrev_b32_e32 v21, 1
	v_mov_b32_e32 v22, 0
	s_mov_b32 s17, exec_lo
	v_cmpx_ne_u16_e32 0x80, v9
	s_cbranch_execz .LBB241_3060
; %bb.3055:                             ;   in Loop: Header=BB241_1574 Depth=1
	v_mov_b32_e32 v21, 0x7f800001
	v_bfe_u32 v13, v70, 16, 7
	v_mov_b32_e32 v22, 0
	s_mov_b32 s18, exec_lo
	v_cmpx_ne_u32_e32 0x7f, v13
	s_cbranch_execz .LBB241_3059
; %bb.3056:                             ;   in Loop: Header=BB241_1574 Depth=1
	v_mov_b32_e32 v9, 7
	v_lshrrev_b32_e32 v11, 3, v13
	s_mov_b32 s19, exec_lo
	v_and_b32_sdwa v9, v70, v9 dst_sel:DWORD dst_unused:UNUSED_PAD src0_sel:WORD_1 src1_sel:DWORD
	v_mov_b32_e32 v22, v10
	v_mov_b32_e32 v21, v9
	v_cmpx_gt_u32_e32 8, v13
; %bb.3057:                             ;   in Loop: Header=BB241_1574 Depth=1
	v_ffbh_u32_e32 v11, v9
	v_min_u32_e32 v11, 32, v11
	v_subrev_nc_u32_e32 v13, 28, v11
	v_sub_nc_u32_e32 v11, 29, v11
	v_lshlrev_b64 v[21:22], v13, v[9:10]
	v_and_b32_e32 v21, 7, v21
; %bb.3058:                             ;   in Loop: Header=BB241_1574 Depth=1
	s_or_b32 exec_lo, exec_lo, s19
	v_mov_b32_e32 v9, 24
	v_lshlrev_b32_e32 v13, 20, v21
	v_lshl_add_u32 v11, v11, 23, 0x3c000000
	v_lshlrev_b32_sdwa v9, v9, v70 dst_sel:DWORD dst_unused:UNUSED_PAD src0_sel:DWORD src1_sel:WORD_1
	v_and_b32_e32 v9, 0x80000000, v9
	v_or3_b32 v9, v13, v9, v11
	v_mov_b32_e32 v22, v10
	v_mov_b32_e32 v21, v9
.LBB241_3059:                           ;   in Loop: Header=BB241_1574 Depth=1
	s_or_b32 exec_lo, exec_lo, s18
.LBB241_3060:                           ;   in Loop: Header=BB241_1574 Depth=1
	s_or_b32 exec_lo, exec_lo, s17
.LBB241_3061:                           ;   in Loop: Header=BB241_1574 Depth=1
	s_or_b32 exec_lo, exec_lo, s15
	s_mov_b32 s15, exec_lo
	v_cmpx_lt_u32_e32 0xffffff, v70
	s_cbranch_execz .LBB241_3069
; %bb.3062:                             ;   in Loop: Header=BB241_1574 Depth=1
	v_mov_b32_e32 v11, v10
	v_mov_b32_e32 v20, v12
	v_cmp_ne_u32_sdwa s4, v70, v41 src0_sel:BYTE_3 src1_sel:DWORD
	v_mov_b32_e32 v19, v11
	s_and_saveexec_b32 s17, s4
	s_cbranch_execz .LBB241_3068
; %bb.3063:                             ;   in Loop: Header=BB241_1574 Depth=1
	v_mov_b32_e32 v13, v10
	v_mov_b32_e32 v20, v14
	v_bfe_u32 v36, v70, 24, 7
	s_mov_b32 s18, exec_lo
	v_mov_b32_e32 v19, v13
	v_cmpx_ne_u32_e32 0x7f, v36
	s_cbranch_execz .LBB241_3067
; %bb.3064:                             ;   in Loop: Header=BB241_1574 Depth=1
	v_mov_b32_e32 v9, 7
	v_lshrrev_b32_e32 v11, 3, v36
	s_mov_b32 s19, exec_lo
	v_and_b32_sdwa v9, v70, v9 dst_sel:DWORD dst_unused:UNUSED_PAD src0_sel:BYTE_3 src1_sel:DWORD
	v_mov_b32_e32 v20, v10
	v_mov_b32_e32 v19, v9
	v_cmpx_gt_u32_e32 8, v36
; %bb.3065:                             ;   in Loop: Header=BB241_1574 Depth=1
	v_ffbh_u32_e32 v11, v9
	v_min_u32_e32 v11, 32, v11
	v_subrev_nc_u32_e32 v13, 28, v11
	v_sub_nc_u32_e32 v11, 29, v11
	v_lshlrev_b64 v[19:20], v13, v[9:10]
	v_and_b32_e32 v19, 7, v19
; %bb.3066:                             ;   in Loop: Header=BB241_1574 Depth=1
	s_or_b32 exec_lo, exec_lo, s19
	v_mov_b32_e32 v9, 24
	v_lshlrev_b32_e32 v13, 20, v19
	v_lshl_add_u32 v11, v11, 23, 0x3c000000
	v_mov_b32_e32 v19, v10
	v_lshlrev_b32_sdwa v9, v9, v70 dst_sel:DWORD dst_unused:UNUSED_PAD src0_sel:DWORD src1_sel:BYTE_3
	v_and_b32_e32 v9, 0x80000000, v9
	v_or3_b32 v20, v13, v9, v11
.LBB241_3067:                           ;   in Loop: Header=BB241_1574 Depth=1
	s_or_b32 exec_lo, exec_lo, s18
	v_mov_b32_e32 v36, 0xffff
.LBB241_3068:                           ;   in Loop: Header=BB241_1574 Depth=1
	s_or_b32 exec_lo, exec_lo, s17
.LBB241_3069:                           ;   in Loop: Header=BB241_1574 Depth=1
	s_or_b32 exec_lo, exec_lo, s15
	v_or_b32_e32 v5, v18, v5
	v_or_b32_e32 v4, v17, v4
	;; [unrolled: 1-line block ×4, first 2 shown]
	v_mul_f32_e32 v104, v63, v5
	v_mul_f32_e32 v101, v63, v4
	v_mul_f32_e32 v100, v63, v9
	v_mul_f32_e32 v99, v63, v11
	s_and_saveexec_b32 s15, vcc_lo
	s_cbranch_execz .LBB241_3071
; %bb.3070:                             ;   in Loop: Header=BB241_1574 Depth=1
	buffer_load_dword v4, off, s[0:3], s32 offset:208 ; 4-byte Folded Reload
	s_waitcnt vmcnt(0)
	v_cmp_lt_i32_e64 s4, v62, v4
	v_cndmask_b32_e64 v101, 0, v101, s4
	v_cmp_lt_i32_e64 s4, v78, v4
	v_cndmask_b32_e64 v104, 0, v104, s4
	;; [unrolled: 2-line block ×4, first 2 shown]
.LBB241_3071:                           ;   in Loop: Header=BB241_1574 Depth=1
	s_or_b32 exec_lo, exec_lo, s15
	flat_load_dword v70, v[15:16] offset:1536
	v_mov_b32_e32 v17, 0
	v_mov_b32_e32 v4, 0
	;; [unrolled: 1-line block ×4, first 2 shown]
	s_waitcnt vmcnt(0) lgkmcnt(0)
	v_cmp_ne_u16_sdwa s4, v70, v10 src0_sel:BYTE_0 src1_sel:DWORD
	s_and_saveexec_b32 s15, s4
	s_cbranch_execz .LBB241_3079
; %bb.3072:                             ;   in Loop: Header=BB241_1574 Depth=1
	v_bfrev_b32_e32 v4, 1
	v_mov_b32_e32 v5, 0
	v_cmp_ne_u16_sdwa s4, v70, v41 src0_sel:BYTE_0 src1_sel:DWORD
	s_and_saveexec_b32 s17, s4
	s_cbranch_execz .LBB241_3078
; %bb.3073:                             ;   in Loop: Header=BB241_1574 Depth=1
	v_mov_b32_e32 v4, 0x7f800001
	v_and_b32_e32 v13, 0x7f, v70
	v_mov_b32_e32 v5, 0
	s_mov_b32 s18, exec_lo
	v_cmpx_ne_u32_e32 0x7f, v13
	s_cbranch_execz .LBB241_3077
; %bb.3074:                             ;   in Loop: Header=BB241_1574 Depth=1
	v_and_b32_e32 v9, 7, v70
	v_lshrrev_b32_e32 v11, 3, v13
	s_mov_b32 s19, exec_lo
	v_mov_b32_e32 v4, v9
	v_mov_b32_e32 v5, v10
	v_cmpx_gt_u32_e32 8, v13
; %bb.3075:                             ;   in Loop: Header=BB241_1574 Depth=1
	v_ffbh_u32_e32 v4, v9
	v_min_u32_e32 v11, 32, v4
	v_subrev_nc_u32_e32 v4, 28, v11
	v_sub_nc_u32_e32 v11, 29, v11
	v_lshlrev_b64 v[4:5], v4, v[9:10]
	v_and_b32_e32 v4, 7, v4
; %bb.3076:                             ;   in Loop: Header=BB241_1574 Depth=1
	s_or_b32 exec_lo, exec_lo, s19
	v_lshlrev_b32_e32 v5, 24, v70
	v_lshlrev_b32_e32 v4, 20, v4
	v_lshl_add_u32 v9, v11, 23, 0x3c000000
	v_and_b32_e32 v5, 0x80000000, v5
	v_or3_b32 v9, v4, v5, v9
	v_mov_b32_e32 v4, v9
	v_mov_b32_e32 v5, v10
.LBB241_3077:                           ;   in Loop: Header=BB241_1574 Depth=1
	s_or_b32 exec_lo, exec_lo, s18
.LBB241_3078:                           ;   in Loop: Header=BB241_1574 Depth=1
	s_or_b32 exec_lo, exec_lo, s17
.LBB241_3079:                           ;   in Loop: Header=BB241_1574 Depth=1
	s_or_b32 exec_lo, exec_lo, s15
	v_cmp_ne_u16_sdwa s4, v70, v10 src0_sel:BYTE_1 src1_sel:DWORD
	s_and_saveexec_b32 s15, s4
	s_cbranch_execz .LBB241_3087
; %bb.3080:                             ;   in Loop: Header=BB241_1574 Depth=1
	v_mov_b32_e32 v11, v10
	v_mov_b32_e32 v18, v12
	v_cmp_ne_u16_sdwa s4, v70, v41 src0_sel:BYTE_1 src1_sel:DWORD
	v_mov_b32_e32 v17, v11
	s_and_saveexec_b32 s17, s4
	s_cbranch_execz .LBB241_3086
; %bb.3081:                             ;   in Loop: Header=BB241_1574 Depth=1
	v_and_b32_sdwa v9, v36, v70 dst_sel:DWORD dst_unused:UNUSED_PAD src0_sel:DWORD src1_sel:BYTE_1
	v_mov_b32_e32 v13, v10
	v_mov_b32_e32 v18, v14
	s_mov_b32 s18, exec_lo
	v_and_b32_e32 v19, 0x7f, v9
	v_mov_b32_e32 v17, v13
	v_cmpx_ne_u32_e32 0x7f, v19
	s_cbranch_execz .LBB241_3085
; %bb.3082:                             ;   in Loop: Header=BB241_1574 Depth=1
	v_and_b32_e32 v9, 7, v9
	v_mov_b32_e32 v18, v10
	v_lshrrev_b32_e32 v11, 3, v19
	s_mov_b32 s19, exec_lo
	v_mov_b32_e32 v17, v9
	v_cmpx_gt_u32_e32 8, v19
; %bb.3083:                             ;   in Loop: Header=BB241_1574 Depth=1
	v_ffbh_u32_e32 v11, v9
	v_min_u32_e32 v11, 32, v11
	v_subrev_nc_u32_e32 v13, 28, v11
	v_sub_nc_u32_e32 v11, 29, v11
	v_lshlrev_b64 v[17:18], v13, v[9:10]
	v_and_b32_e32 v17, 7, v17
; %bb.3084:                             ;   in Loop: Header=BB241_1574 Depth=1
	s_or_b32 exec_lo, exec_lo, s19
	v_lshlrev_b32_e32 v9, 16, v70
	v_lshlrev_b32_e32 v13, 20, v17
	v_lshl_add_u32 v11, v11, 23, 0x3c000000
	v_mov_b32_e32 v17, v10
	v_and_b32_e32 v9, 0x80000000, v9
	v_or3_b32 v18, v13, v9, v11
.LBB241_3085:                           ;   in Loop: Header=BB241_1574 Depth=1
	s_or_b32 exec_lo, exec_lo, s18
.LBB241_3086:                           ;   in Loop: Header=BB241_1574 Depth=1
	s_or_b32 exec_lo, exec_lo, s17
.LBB241_3087:                           ;   in Loop: Header=BB241_1574 Depth=1
	s_or_b32 exec_lo, exec_lo, s15
	v_mov_b32_e32 v19, 0
	v_mov_b32_e32 v21, 0
	v_and_b32_sdwa v9, v70, v43 dst_sel:DWORD dst_unused:UNUSED_PAD src0_sel:WORD_1 src1_sel:DWORD
	v_mov_b32_e32 v20, 0
	v_mov_b32_e32 v22, 0
	s_mov_b32 s15, exec_lo
	v_cmpx_ne_u16_e32 0, v9
	s_cbranch_execz .LBB241_3095
; %bb.3088:                             ;   in Loop: Header=BB241_1574 Depth=1
	v_bfrev_b32_e32 v21, 1
	v_mov_b32_e32 v22, 0
	s_mov_b32 s17, exec_lo
	v_cmpx_ne_u16_e32 0x80, v9
	s_cbranch_execz .LBB241_3094
; %bb.3089:                             ;   in Loop: Header=BB241_1574 Depth=1
	v_mov_b32_e32 v21, 0x7f800001
	v_bfe_u32 v13, v70, 16, 7
	v_mov_b32_e32 v22, 0
	s_mov_b32 s18, exec_lo
	v_cmpx_ne_u32_e32 0x7f, v13
	s_cbranch_execz .LBB241_3093
; %bb.3090:                             ;   in Loop: Header=BB241_1574 Depth=1
	v_mov_b32_e32 v9, 7
	v_lshrrev_b32_e32 v11, 3, v13
	s_mov_b32 s19, exec_lo
	v_and_b32_sdwa v9, v70, v9 dst_sel:DWORD dst_unused:UNUSED_PAD src0_sel:WORD_1 src1_sel:DWORD
	v_mov_b32_e32 v22, v10
	v_mov_b32_e32 v21, v9
	v_cmpx_gt_u32_e32 8, v13
; %bb.3091:                             ;   in Loop: Header=BB241_1574 Depth=1
	v_ffbh_u32_e32 v11, v9
	v_min_u32_e32 v11, 32, v11
	v_subrev_nc_u32_e32 v13, 28, v11
	v_sub_nc_u32_e32 v11, 29, v11
	v_lshlrev_b64 v[21:22], v13, v[9:10]
	v_and_b32_e32 v21, 7, v21
; %bb.3092:                             ;   in Loop: Header=BB241_1574 Depth=1
	s_or_b32 exec_lo, exec_lo, s19
	v_mov_b32_e32 v9, 24
	v_lshlrev_b32_e32 v13, 20, v21
	v_lshl_add_u32 v11, v11, 23, 0x3c000000
	v_lshlrev_b32_sdwa v9, v9, v70 dst_sel:DWORD dst_unused:UNUSED_PAD src0_sel:DWORD src1_sel:WORD_1
	v_and_b32_e32 v9, 0x80000000, v9
	v_or3_b32 v9, v13, v9, v11
	v_mov_b32_e32 v22, v10
	v_mov_b32_e32 v21, v9
.LBB241_3093:                           ;   in Loop: Header=BB241_1574 Depth=1
	s_or_b32 exec_lo, exec_lo, s18
.LBB241_3094:                           ;   in Loop: Header=BB241_1574 Depth=1
	s_or_b32 exec_lo, exec_lo, s17
.LBB241_3095:                           ;   in Loop: Header=BB241_1574 Depth=1
	s_or_b32 exec_lo, exec_lo, s15
	s_mov_b32 s15, exec_lo
	v_cmpx_lt_u32_e32 0xffffff, v70
	s_cbranch_execz .LBB241_3103
; %bb.3096:                             ;   in Loop: Header=BB241_1574 Depth=1
	v_mov_b32_e32 v11, v10
	v_mov_b32_e32 v20, v12
	v_cmp_ne_u32_sdwa s4, v70, v41 src0_sel:BYTE_3 src1_sel:DWORD
	v_mov_b32_e32 v19, v11
	s_and_saveexec_b32 s17, s4
	s_cbranch_execz .LBB241_3102
; %bb.3097:                             ;   in Loop: Header=BB241_1574 Depth=1
	v_mov_b32_e32 v13, v10
	v_mov_b32_e32 v20, v14
	v_bfe_u32 v36, v70, 24, 7
	s_mov_b32 s18, exec_lo
	v_mov_b32_e32 v19, v13
	v_cmpx_ne_u32_e32 0x7f, v36
	s_cbranch_execz .LBB241_3101
; %bb.3098:                             ;   in Loop: Header=BB241_1574 Depth=1
	v_mov_b32_e32 v9, 7
	v_lshrrev_b32_e32 v11, 3, v36
	s_mov_b32 s19, exec_lo
	v_and_b32_sdwa v9, v70, v9 dst_sel:DWORD dst_unused:UNUSED_PAD src0_sel:BYTE_3 src1_sel:DWORD
	v_mov_b32_e32 v20, v10
	v_mov_b32_e32 v19, v9
	v_cmpx_gt_u32_e32 8, v36
; %bb.3099:                             ;   in Loop: Header=BB241_1574 Depth=1
	v_ffbh_u32_e32 v11, v9
	v_min_u32_e32 v11, 32, v11
	v_subrev_nc_u32_e32 v13, 28, v11
	v_sub_nc_u32_e32 v11, 29, v11
	v_lshlrev_b64 v[19:20], v13, v[9:10]
	v_and_b32_e32 v19, 7, v19
; %bb.3100:                             ;   in Loop: Header=BB241_1574 Depth=1
	s_or_b32 exec_lo, exec_lo, s19
	v_mov_b32_e32 v9, 24
	v_lshlrev_b32_e32 v13, 20, v19
	v_lshl_add_u32 v11, v11, 23, 0x3c000000
	v_mov_b32_e32 v19, v10
	v_lshlrev_b32_sdwa v9, v9, v70 dst_sel:DWORD dst_unused:UNUSED_PAD src0_sel:DWORD src1_sel:BYTE_3
	v_and_b32_e32 v9, 0x80000000, v9
	v_or3_b32 v20, v13, v9, v11
.LBB241_3101:                           ;   in Loop: Header=BB241_1574 Depth=1
	s_or_b32 exec_lo, exec_lo, s18
	v_mov_b32_e32 v36, 0xffff
.LBB241_3102:                           ;   in Loop: Header=BB241_1574 Depth=1
	s_or_b32 exec_lo, exec_lo, s17
.LBB241_3103:                           ;   in Loop: Header=BB241_1574 Depth=1
	s_or_b32 exec_lo, exec_lo, s15
	v_or_b32_e32 v5, v18, v5
	v_or_b32_e32 v4, v17, v4
	;; [unrolled: 1-line block ×4, first 2 shown]
	v_mul_f32_e32 v114, v63, v5
	v_mul_f32_e32 v113, v63, v4
	;; [unrolled: 1-line block ×4, first 2 shown]
	s_and_saveexec_b32 s15, vcc_lo
	s_cbranch_execz .LBB241_3105
; %bb.3104:                             ;   in Loop: Header=BB241_1574 Depth=1
	buffer_load_dword v4, off, s[0:3], s32 offset:208 ; 4-byte Folded Reload
	s_waitcnt vmcnt(0)
	v_cmp_lt_i32_e64 s4, v62, v4
	v_cndmask_b32_e64 v113, 0, v113, s4
	v_cmp_lt_i32_e64 s4, v78, v4
	v_cndmask_b32_e64 v114, 0, v114, s4
	;; [unrolled: 2-line block ×4, first 2 shown]
.LBB241_3105:                           ;   in Loop: Header=BB241_1574 Depth=1
	s_or_b32 exec_lo, exec_lo, s15
	flat_load_dword v115, v[15:16] offset:1664
	v_mov_b32_e32 v17, 0
	v_mov_b32_e32 v4, 0
	;; [unrolled: 1-line block ×4, first 2 shown]
	s_waitcnt vmcnt(0) lgkmcnt(0)
	v_cmp_ne_u16_sdwa s4, v115, v10 src0_sel:BYTE_0 src1_sel:DWORD
	s_and_saveexec_b32 s15, s4
	s_cbranch_execz .LBB241_3113
; %bb.3106:                             ;   in Loop: Header=BB241_1574 Depth=1
	v_bfrev_b32_e32 v4, 1
	v_mov_b32_e32 v5, 0
	v_cmp_ne_u16_sdwa s4, v115, v41 src0_sel:BYTE_0 src1_sel:DWORD
	s_and_saveexec_b32 s17, s4
	s_cbranch_execz .LBB241_3112
; %bb.3107:                             ;   in Loop: Header=BB241_1574 Depth=1
	v_mov_b32_e32 v4, 0x7f800001
	v_and_b32_e32 v13, 0x7f, v115
	v_mov_b32_e32 v5, 0
	s_mov_b32 s18, exec_lo
	v_cmpx_ne_u32_e32 0x7f, v13
	s_cbranch_execz .LBB241_3111
; %bb.3108:                             ;   in Loop: Header=BB241_1574 Depth=1
	v_and_b32_e32 v9, 7, v115
	v_lshrrev_b32_e32 v11, 3, v13
	s_mov_b32 s19, exec_lo
	v_mov_b32_e32 v4, v9
	v_mov_b32_e32 v5, v10
	v_cmpx_gt_u32_e32 8, v13
; %bb.3109:                             ;   in Loop: Header=BB241_1574 Depth=1
	v_ffbh_u32_e32 v4, v9
	v_min_u32_e32 v11, 32, v4
	v_subrev_nc_u32_e32 v4, 28, v11
	v_sub_nc_u32_e32 v11, 29, v11
	v_lshlrev_b64 v[4:5], v4, v[9:10]
	v_and_b32_e32 v4, 7, v4
; %bb.3110:                             ;   in Loop: Header=BB241_1574 Depth=1
	s_or_b32 exec_lo, exec_lo, s19
	v_lshlrev_b32_e32 v5, 24, v115
	v_lshlrev_b32_e32 v4, 20, v4
	v_lshl_add_u32 v9, v11, 23, 0x3c000000
	v_and_b32_e32 v5, 0x80000000, v5
	v_or3_b32 v9, v4, v5, v9
	v_mov_b32_e32 v4, v9
	v_mov_b32_e32 v5, v10
.LBB241_3111:                           ;   in Loop: Header=BB241_1574 Depth=1
	s_or_b32 exec_lo, exec_lo, s18
.LBB241_3112:                           ;   in Loop: Header=BB241_1574 Depth=1
	s_or_b32 exec_lo, exec_lo, s17
.LBB241_3113:                           ;   in Loop: Header=BB241_1574 Depth=1
	s_or_b32 exec_lo, exec_lo, s15
	v_cmp_ne_u16_sdwa s4, v115, v10 src0_sel:BYTE_1 src1_sel:DWORD
	s_and_saveexec_b32 s15, s4
	s_cbranch_execz .LBB241_3121
; %bb.3114:                             ;   in Loop: Header=BB241_1574 Depth=1
	v_mov_b32_e32 v11, v10
	v_mov_b32_e32 v18, v12
	v_cmp_ne_u16_sdwa s4, v115, v41 src0_sel:BYTE_1 src1_sel:DWORD
	v_mov_b32_e32 v17, v11
	s_and_saveexec_b32 s17, s4
	s_cbranch_execz .LBB241_3120
; %bb.3115:                             ;   in Loop: Header=BB241_1574 Depth=1
	v_and_b32_sdwa v9, v36, v115 dst_sel:DWORD dst_unused:UNUSED_PAD src0_sel:DWORD src1_sel:BYTE_1
	v_mov_b32_e32 v13, v10
	v_mov_b32_e32 v18, v14
	s_mov_b32 s18, exec_lo
	v_and_b32_e32 v19, 0x7f, v9
	v_mov_b32_e32 v17, v13
	v_cmpx_ne_u32_e32 0x7f, v19
	s_cbranch_execz .LBB241_3119
; %bb.3116:                             ;   in Loop: Header=BB241_1574 Depth=1
	v_and_b32_e32 v9, 7, v9
	v_mov_b32_e32 v18, v10
	v_lshrrev_b32_e32 v11, 3, v19
	s_mov_b32 s19, exec_lo
	v_mov_b32_e32 v17, v9
	v_cmpx_gt_u32_e32 8, v19
; %bb.3117:                             ;   in Loop: Header=BB241_1574 Depth=1
	v_ffbh_u32_e32 v11, v9
	v_min_u32_e32 v11, 32, v11
	v_subrev_nc_u32_e32 v13, 28, v11
	v_sub_nc_u32_e32 v11, 29, v11
	v_lshlrev_b64 v[17:18], v13, v[9:10]
	v_and_b32_e32 v17, 7, v17
; %bb.3118:                             ;   in Loop: Header=BB241_1574 Depth=1
	s_or_b32 exec_lo, exec_lo, s19
	v_lshlrev_b32_e32 v9, 16, v115
	v_lshlrev_b32_e32 v13, 20, v17
	v_lshl_add_u32 v11, v11, 23, 0x3c000000
	v_mov_b32_e32 v17, v10
	v_and_b32_e32 v9, 0x80000000, v9
	v_or3_b32 v18, v13, v9, v11
.LBB241_3119:                           ;   in Loop: Header=BB241_1574 Depth=1
	s_or_b32 exec_lo, exec_lo, s18
.LBB241_3120:                           ;   in Loop: Header=BB241_1574 Depth=1
	s_or_b32 exec_lo, exec_lo, s17
.LBB241_3121:                           ;   in Loop: Header=BB241_1574 Depth=1
	s_or_b32 exec_lo, exec_lo, s15
	v_mov_b32_e32 v19, 0
	v_mov_b32_e32 v21, 0
	v_and_b32_sdwa v9, v115, v43 dst_sel:DWORD dst_unused:UNUSED_PAD src0_sel:WORD_1 src1_sel:DWORD
	v_mov_b32_e32 v20, 0
	v_mov_b32_e32 v22, 0
	s_mov_b32 s15, exec_lo
	v_cmpx_ne_u16_e32 0, v9
	s_cbranch_execz .LBB241_3129
; %bb.3122:                             ;   in Loop: Header=BB241_1574 Depth=1
	v_bfrev_b32_e32 v21, 1
	v_mov_b32_e32 v22, 0
	s_mov_b32 s17, exec_lo
	v_cmpx_ne_u16_e32 0x80, v9
	s_cbranch_execz .LBB241_3128
; %bb.3123:                             ;   in Loop: Header=BB241_1574 Depth=1
	v_mov_b32_e32 v21, 0x7f800001
	v_bfe_u32 v13, v115, 16, 7
	v_mov_b32_e32 v22, 0
	s_mov_b32 s18, exec_lo
	v_cmpx_ne_u32_e32 0x7f, v13
	s_cbranch_execz .LBB241_3127
; %bb.3124:                             ;   in Loop: Header=BB241_1574 Depth=1
	v_mov_b32_e32 v9, 7
	v_lshrrev_b32_e32 v11, 3, v13
	s_mov_b32 s19, exec_lo
	v_and_b32_sdwa v9, v115, v9 dst_sel:DWORD dst_unused:UNUSED_PAD src0_sel:WORD_1 src1_sel:DWORD
	v_mov_b32_e32 v22, v10
	v_mov_b32_e32 v21, v9
	v_cmpx_gt_u32_e32 8, v13
; %bb.3125:                             ;   in Loop: Header=BB241_1574 Depth=1
	v_ffbh_u32_e32 v11, v9
	v_min_u32_e32 v11, 32, v11
	v_subrev_nc_u32_e32 v13, 28, v11
	v_sub_nc_u32_e32 v11, 29, v11
	v_lshlrev_b64 v[21:22], v13, v[9:10]
	v_and_b32_e32 v21, 7, v21
; %bb.3126:                             ;   in Loop: Header=BB241_1574 Depth=1
	s_or_b32 exec_lo, exec_lo, s19
	v_mov_b32_e32 v9, 24
	v_lshlrev_b32_e32 v13, 20, v21
	v_lshl_add_u32 v11, v11, 23, 0x3c000000
	v_lshlrev_b32_sdwa v9, v9, v115 dst_sel:DWORD dst_unused:UNUSED_PAD src0_sel:DWORD src1_sel:WORD_1
	v_and_b32_e32 v9, 0x80000000, v9
	v_or3_b32 v9, v13, v9, v11
	v_mov_b32_e32 v22, v10
	v_mov_b32_e32 v21, v9
.LBB241_3127:                           ;   in Loop: Header=BB241_1574 Depth=1
	s_or_b32 exec_lo, exec_lo, s18
.LBB241_3128:                           ;   in Loop: Header=BB241_1574 Depth=1
	s_or_b32 exec_lo, exec_lo, s17
.LBB241_3129:                           ;   in Loop: Header=BB241_1574 Depth=1
	s_or_b32 exec_lo, exec_lo, s15
	s_mov_b32 s15, exec_lo
	v_cmpx_lt_u32_e32 0xffffff, v115
	s_cbranch_execz .LBB241_3137
; %bb.3130:                             ;   in Loop: Header=BB241_1574 Depth=1
	v_mov_b32_e32 v11, v10
	v_mov_b32_e32 v20, v12
	v_cmp_ne_u32_sdwa s4, v115, v41 src0_sel:BYTE_3 src1_sel:DWORD
	v_mov_b32_e32 v19, v11
	s_and_saveexec_b32 s17, s4
	s_cbranch_execz .LBB241_3136
; %bb.3131:                             ;   in Loop: Header=BB241_1574 Depth=1
	v_mov_b32_e32 v13, v10
	v_mov_b32_e32 v20, v14
	v_bfe_u32 v36, v115, 24, 7
	s_mov_b32 s18, exec_lo
	v_mov_b32_e32 v19, v13
	v_cmpx_ne_u32_e32 0x7f, v36
	s_cbranch_execz .LBB241_3135
; %bb.3132:                             ;   in Loop: Header=BB241_1574 Depth=1
	v_mov_b32_e32 v9, 7
	v_lshrrev_b32_e32 v11, 3, v36
	s_mov_b32 s19, exec_lo
	v_and_b32_sdwa v9, v115, v9 dst_sel:DWORD dst_unused:UNUSED_PAD src0_sel:BYTE_3 src1_sel:DWORD
	v_mov_b32_e32 v20, v10
	v_mov_b32_e32 v19, v9
	v_cmpx_gt_u32_e32 8, v36
; %bb.3133:                             ;   in Loop: Header=BB241_1574 Depth=1
	v_ffbh_u32_e32 v11, v9
	v_min_u32_e32 v11, 32, v11
	v_subrev_nc_u32_e32 v13, 28, v11
	v_sub_nc_u32_e32 v11, 29, v11
	v_lshlrev_b64 v[19:20], v13, v[9:10]
	v_and_b32_e32 v19, 7, v19
; %bb.3134:                             ;   in Loop: Header=BB241_1574 Depth=1
	s_or_b32 exec_lo, exec_lo, s19
	v_mov_b32_e32 v9, 24
	v_lshlrev_b32_e32 v13, 20, v19
	v_lshl_add_u32 v11, v11, 23, 0x3c000000
	v_mov_b32_e32 v19, v10
	v_lshlrev_b32_sdwa v9, v9, v115 dst_sel:DWORD dst_unused:UNUSED_PAD src0_sel:DWORD src1_sel:BYTE_3
	v_and_b32_e32 v9, 0x80000000, v9
	v_or3_b32 v20, v13, v9, v11
.LBB241_3135:                           ;   in Loop: Header=BB241_1574 Depth=1
	s_or_b32 exec_lo, exec_lo, s18
	v_mov_b32_e32 v36, 0xffff
.LBB241_3136:                           ;   in Loop: Header=BB241_1574 Depth=1
	s_or_b32 exec_lo, exec_lo, s17
.LBB241_3137:                           ;   in Loop: Header=BB241_1574 Depth=1
	s_or_b32 exec_lo, exec_lo, s15
	v_or_b32_e32 v5, v18, v5
	v_or_b32_e32 v4, v17, v4
	;; [unrolled: 1-line block ×4, first 2 shown]
	v_mul_f32_e32 v59, v63, v5
	v_mul_f32_e32 v58, v63, v4
	;; [unrolled: 1-line block ×4, first 2 shown]
	s_and_saveexec_b32 s15, vcc_lo
	s_cbranch_execz .LBB241_3139
; %bb.3138:                             ;   in Loop: Header=BB241_1574 Depth=1
	buffer_load_dword v4, off, s[0:3], s32 offset:208 ; 4-byte Folded Reload
	s_waitcnt vmcnt(0)
	v_cmp_lt_i32_e64 s4, v62, v4
	v_cndmask_b32_e64 v58, 0, v58, s4
	v_cmp_lt_i32_e64 s4, v78, v4
	v_cndmask_b32_e64 v59, 0, v59, s4
	;; [unrolled: 2-line block ×4, first 2 shown]
.LBB241_3139:                           ;   in Loop: Header=BB241_1574 Depth=1
	s_or_b32 exec_lo, exec_lo, s15
	flat_load_dword v42, v[15:16] offset:1792
	v_mov_b32_e32 v17, 0
	v_mov_b32_e32 v4, 0
	;; [unrolled: 1-line block ×4, first 2 shown]
	s_waitcnt vmcnt(0) lgkmcnt(0)
	v_cmp_ne_u16_sdwa s4, v42, v10 src0_sel:BYTE_0 src1_sel:DWORD
	s_and_saveexec_b32 s15, s4
	s_cbranch_execz .LBB241_3147
; %bb.3140:                             ;   in Loop: Header=BB241_1574 Depth=1
	v_bfrev_b32_e32 v4, 1
	v_mov_b32_e32 v5, 0
	v_cmp_ne_u16_sdwa s4, v42, v41 src0_sel:BYTE_0 src1_sel:DWORD
	s_and_saveexec_b32 s17, s4
	s_cbranch_execz .LBB241_3146
; %bb.3141:                             ;   in Loop: Header=BB241_1574 Depth=1
	v_mov_b32_e32 v4, 0x7f800001
	v_and_b32_e32 v13, 0x7f, v42
	v_mov_b32_e32 v5, 0
	s_mov_b32 s18, exec_lo
	v_cmpx_ne_u32_e32 0x7f, v13
	s_cbranch_execz .LBB241_3145
; %bb.3142:                             ;   in Loop: Header=BB241_1574 Depth=1
	v_and_b32_e32 v9, 7, v42
	v_lshrrev_b32_e32 v11, 3, v13
	s_mov_b32 s19, exec_lo
	v_mov_b32_e32 v4, v9
	v_mov_b32_e32 v5, v10
	v_cmpx_gt_u32_e32 8, v13
; %bb.3143:                             ;   in Loop: Header=BB241_1574 Depth=1
	v_ffbh_u32_e32 v4, v9
	v_min_u32_e32 v11, 32, v4
	v_subrev_nc_u32_e32 v4, 28, v11
	v_sub_nc_u32_e32 v11, 29, v11
	v_lshlrev_b64 v[4:5], v4, v[9:10]
	v_and_b32_e32 v4, 7, v4
; %bb.3144:                             ;   in Loop: Header=BB241_1574 Depth=1
	s_or_b32 exec_lo, exec_lo, s19
	v_lshlrev_b32_e32 v5, 24, v42
	v_lshlrev_b32_e32 v4, 20, v4
	v_lshl_add_u32 v9, v11, 23, 0x3c000000
	v_and_b32_e32 v5, 0x80000000, v5
	v_or3_b32 v9, v4, v5, v9
	v_mov_b32_e32 v4, v9
	v_mov_b32_e32 v5, v10
.LBB241_3145:                           ;   in Loop: Header=BB241_1574 Depth=1
	s_or_b32 exec_lo, exec_lo, s18
.LBB241_3146:                           ;   in Loop: Header=BB241_1574 Depth=1
	s_or_b32 exec_lo, exec_lo, s17
.LBB241_3147:                           ;   in Loop: Header=BB241_1574 Depth=1
	s_or_b32 exec_lo, exec_lo, s15
	v_cmp_ne_u16_sdwa s4, v42, v10 src0_sel:BYTE_1 src1_sel:DWORD
	s_and_saveexec_b32 s15, s4
	s_cbranch_execz .LBB241_3155
; %bb.3148:                             ;   in Loop: Header=BB241_1574 Depth=1
	v_mov_b32_e32 v11, v10
	v_mov_b32_e32 v18, v12
	v_cmp_ne_u16_sdwa s4, v42, v41 src0_sel:BYTE_1 src1_sel:DWORD
	v_mov_b32_e32 v17, v11
	s_and_saveexec_b32 s17, s4
	s_cbranch_execz .LBB241_3154
; %bb.3149:                             ;   in Loop: Header=BB241_1574 Depth=1
	v_and_b32_sdwa v9, v36, v42 dst_sel:DWORD dst_unused:UNUSED_PAD src0_sel:DWORD src1_sel:BYTE_1
	v_mov_b32_e32 v13, v10
	v_mov_b32_e32 v18, v14
	s_mov_b32 s18, exec_lo
	v_and_b32_e32 v19, 0x7f, v9
	v_mov_b32_e32 v17, v13
	v_cmpx_ne_u32_e32 0x7f, v19
	s_cbranch_execz .LBB241_3153
; %bb.3150:                             ;   in Loop: Header=BB241_1574 Depth=1
	v_and_b32_e32 v9, 7, v9
	v_mov_b32_e32 v18, v10
	v_lshrrev_b32_e32 v11, 3, v19
	s_mov_b32 s19, exec_lo
	v_mov_b32_e32 v17, v9
	v_cmpx_gt_u32_e32 8, v19
; %bb.3151:                             ;   in Loop: Header=BB241_1574 Depth=1
	v_ffbh_u32_e32 v11, v9
	v_min_u32_e32 v11, 32, v11
	v_subrev_nc_u32_e32 v13, 28, v11
	v_sub_nc_u32_e32 v11, 29, v11
	v_lshlrev_b64 v[17:18], v13, v[9:10]
	v_and_b32_e32 v17, 7, v17
; %bb.3152:                             ;   in Loop: Header=BB241_1574 Depth=1
	s_or_b32 exec_lo, exec_lo, s19
	v_lshlrev_b32_e32 v9, 16, v42
	v_lshlrev_b32_e32 v13, 20, v17
	v_lshl_add_u32 v11, v11, 23, 0x3c000000
	v_mov_b32_e32 v17, v10
	v_and_b32_e32 v9, 0x80000000, v9
	v_or3_b32 v18, v13, v9, v11
.LBB241_3153:                           ;   in Loop: Header=BB241_1574 Depth=1
	s_or_b32 exec_lo, exec_lo, s18
.LBB241_3154:                           ;   in Loop: Header=BB241_1574 Depth=1
	s_or_b32 exec_lo, exec_lo, s17
.LBB241_3155:                           ;   in Loop: Header=BB241_1574 Depth=1
	s_or_b32 exec_lo, exec_lo, s15
	v_mov_b32_e32 v19, 0
	v_mov_b32_e32 v21, 0
	v_and_b32_sdwa v9, v42, v43 dst_sel:DWORD dst_unused:UNUSED_PAD src0_sel:WORD_1 src1_sel:DWORD
	v_mov_b32_e32 v20, 0
	v_mov_b32_e32 v22, 0
	s_mov_b32 s15, exec_lo
	v_cmpx_ne_u16_e32 0, v9
	s_cbranch_execz .LBB241_3163
; %bb.3156:                             ;   in Loop: Header=BB241_1574 Depth=1
	v_bfrev_b32_e32 v21, 1
	v_mov_b32_e32 v22, 0
	s_mov_b32 s17, exec_lo
	v_cmpx_ne_u16_e32 0x80, v9
	s_cbranch_execz .LBB241_3162
; %bb.3157:                             ;   in Loop: Header=BB241_1574 Depth=1
	v_mov_b32_e32 v21, 0x7f800001
	v_bfe_u32 v13, v42, 16, 7
	v_mov_b32_e32 v22, 0
	s_mov_b32 s18, exec_lo
	v_cmpx_ne_u32_e32 0x7f, v13
	s_cbranch_execz .LBB241_3161
; %bb.3158:                             ;   in Loop: Header=BB241_1574 Depth=1
	v_mov_b32_e32 v9, 7
	v_lshrrev_b32_e32 v11, 3, v13
	s_mov_b32 s19, exec_lo
	v_and_b32_sdwa v9, v42, v9 dst_sel:DWORD dst_unused:UNUSED_PAD src0_sel:WORD_1 src1_sel:DWORD
	v_mov_b32_e32 v22, v10
	v_mov_b32_e32 v21, v9
	v_cmpx_gt_u32_e32 8, v13
; %bb.3159:                             ;   in Loop: Header=BB241_1574 Depth=1
	v_ffbh_u32_e32 v11, v9
	v_min_u32_e32 v11, 32, v11
	v_subrev_nc_u32_e32 v13, 28, v11
	v_sub_nc_u32_e32 v11, 29, v11
	v_lshlrev_b64 v[21:22], v13, v[9:10]
	v_and_b32_e32 v21, 7, v21
; %bb.3160:                             ;   in Loop: Header=BB241_1574 Depth=1
	s_or_b32 exec_lo, exec_lo, s19
	v_mov_b32_e32 v9, 24
	v_lshlrev_b32_e32 v13, 20, v21
	v_lshl_add_u32 v11, v11, 23, 0x3c000000
	v_lshlrev_b32_sdwa v9, v9, v42 dst_sel:DWORD dst_unused:UNUSED_PAD src0_sel:DWORD src1_sel:WORD_1
	v_and_b32_e32 v9, 0x80000000, v9
	v_or3_b32 v9, v13, v9, v11
	v_mov_b32_e32 v22, v10
	v_mov_b32_e32 v21, v9
.LBB241_3161:                           ;   in Loop: Header=BB241_1574 Depth=1
	s_or_b32 exec_lo, exec_lo, s18
.LBB241_3162:                           ;   in Loop: Header=BB241_1574 Depth=1
	s_or_b32 exec_lo, exec_lo, s17
.LBB241_3163:                           ;   in Loop: Header=BB241_1574 Depth=1
	s_or_b32 exec_lo, exec_lo, s15
	s_mov_b32 s15, exec_lo
	v_cmpx_lt_u32_e32 0xffffff, v42
	s_cbranch_execz .LBB241_3171
; %bb.3164:                             ;   in Loop: Header=BB241_1574 Depth=1
	v_mov_b32_e32 v11, v10
	v_mov_b32_e32 v20, v12
	v_cmp_ne_u32_sdwa s4, v42, v41 src0_sel:BYTE_3 src1_sel:DWORD
	v_mov_b32_e32 v19, v11
	s_and_saveexec_b32 s17, s4
	s_cbranch_execz .LBB241_3170
; %bb.3165:                             ;   in Loop: Header=BB241_1574 Depth=1
	v_mov_b32_e32 v13, v10
	v_mov_b32_e32 v20, v14
	v_bfe_u32 v36, v42, 24, 7
	s_mov_b32 s18, exec_lo
	v_mov_b32_e32 v19, v13
	v_cmpx_ne_u32_e32 0x7f, v36
	s_cbranch_execz .LBB241_3169
; %bb.3166:                             ;   in Loop: Header=BB241_1574 Depth=1
	v_mov_b32_e32 v9, 7
	v_lshrrev_b32_e32 v11, 3, v36
	s_mov_b32 s19, exec_lo
	v_and_b32_sdwa v9, v42, v9 dst_sel:DWORD dst_unused:UNUSED_PAD src0_sel:BYTE_3 src1_sel:DWORD
	v_mov_b32_e32 v20, v10
	v_mov_b32_e32 v19, v9
	v_cmpx_gt_u32_e32 8, v36
; %bb.3167:                             ;   in Loop: Header=BB241_1574 Depth=1
	v_ffbh_u32_e32 v11, v9
	v_min_u32_e32 v11, 32, v11
	v_subrev_nc_u32_e32 v13, 28, v11
	v_sub_nc_u32_e32 v11, 29, v11
	v_lshlrev_b64 v[19:20], v13, v[9:10]
	v_and_b32_e32 v19, 7, v19
; %bb.3168:                             ;   in Loop: Header=BB241_1574 Depth=1
	s_or_b32 exec_lo, exec_lo, s19
	v_mov_b32_e32 v9, 24
	v_lshlrev_b32_e32 v13, 20, v19
	v_lshl_add_u32 v11, v11, 23, 0x3c000000
	v_mov_b32_e32 v19, v10
	v_lshlrev_b32_sdwa v9, v9, v42 dst_sel:DWORD dst_unused:UNUSED_PAD src0_sel:DWORD src1_sel:BYTE_3
	v_and_b32_e32 v9, 0x80000000, v9
	v_or3_b32 v20, v13, v9, v11
.LBB241_3169:                           ;   in Loop: Header=BB241_1574 Depth=1
	s_or_b32 exec_lo, exec_lo, s18
	v_mov_b32_e32 v36, 0xffff
.LBB241_3170:                           ;   in Loop: Header=BB241_1574 Depth=1
	s_or_b32 exec_lo, exec_lo, s17
.LBB241_3171:                           ;   in Loop: Header=BB241_1574 Depth=1
	s_or_b32 exec_lo, exec_lo, s15
	v_or_b32_e32 v5, v18, v5
	v_or_b32_e32 v4, v17, v4
	;; [unrolled: 1-line block ×4, first 2 shown]
	v_mul_f32_e32 v42, v63, v5
	v_mul_f32_e32 v60, v63, v4
	;; [unrolled: 1-line block ×4, first 2 shown]
	s_and_saveexec_b32 s15, vcc_lo
	s_cbranch_execz .LBB241_3173
; %bb.3172:                             ;   in Loop: Header=BB241_1574 Depth=1
	buffer_load_dword v4, off, s[0:3], s32 offset:208 ; 4-byte Folded Reload
	s_waitcnt vmcnt(0)
	v_cmp_lt_i32_e64 s4, v62, v4
	v_cndmask_b32_e64 v60, 0, v60, s4
	v_cmp_lt_i32_e64 s4, v78, v4
	v_cndmask_b32_e64 v42, 0, v42, s4
	;; [unrolled: 2-line block ×4, first 2 shown]
.LBB241_3173:                           ;   in Loop: Header=BB241_1574 Depth=1
	s_or_b32 exec_lo, exec_lo, s15
	flat_load_dword v44, v[15:16] offset:1920
	v_mov_b32_e32 v15, 0
	v_mov_b32_e32 v4, 0
	;; [unrolled: 1-line block ×4, first 2 shown]
	s_waitcnt vmcnt(0) lgkmcnt(0)
	v_cmp_ne_u16_sdwa s4, v44, v10 src0_sel:BYTE_0 src1_sel:DWORD
	s_and_saveexec_b32 s15, s4
	s_cbranch_execz .LBB241_3181
; %bb.3174:                             ;   in Loop: Header=BB241_1574 Depth=1
	v_bfrev_b32_e32 v4, 1
	v_mov_b32_e32 v5, 0
	v_cmp_ne_u16_sdwa s4, v44, v41 src0_sel:BYTE_0 src1_sel:DWORD
	s_and_saveexec_b32 s17, s4
	s_cbranch_execz .LBB241_3180
; %bb.3175:                             ;   in Loop: Header=BB241_1574 Depth=1
	v_mov_b32_e32 v4, 0x7f800001
	v_and_b32_e32 v13, 0x7f, v44
	v_mov_b32_e32 v5, 0
	s_mov_b32 s18, exec_lo
	v_cmpx_ne_u32_e32 0x7f, v13
	s_cbranch_execz .LBB241_3179
; %bb.3176:                             ;   in Loop: Header=BB241_1574 Depth=1
	v_and_b32_e32 v9, 7, v44
	v_lshrrev_b32_e32 v11, 3, v13
	s_mov_b32 s19, exec_lo
	v_mov_b32_e32 v4, v9
	v_mov_b32_e32 v5, v10
	v_cmpx_gt_u32_e32 8, v13
; %bb.3177:                             ;   in Loop: Header=BB241_1574 Depth=1
	v_ffbh_u32_e32 v4, v9
	v_min_u32_e32 v11, 32, v4
	v_subrev_nc_u32_e32 v4, 28, v11
	v_sub_nc_u32_e32 v11, 29, v11
	v_lshlrev_b64 v[4:5], v4, v[9:10]
	v_and_b32_e32 v4, 7, v4
; %bb.3178:                             ;   in Loop: Header=BB241_1574 Depth=1
	s_or_b32 exec_lo, exec_lo, s19
	v_lshlrev_b32_e32 v5, 24, v44
	v_lshlrev_b32_e32 v4, 20, v4
	v_lshl_add_u32 v9, v11, 23, 0x3c000000
	v_and_b32_e32 v5, 0x80000000, v5
	v_or3_b32 v9, v4, v5, v9
	v_mov_b32_e32 v4, v9
	v_mov_b32_e32 v5, v10
.LBB241_3179:                           ;   in Loop: Header=BB241_1574 Depth=1
	s_or_b32 exec_lo, exec_lo, s18
.LBB241_3180:                           ;   in Loop: Header=BB241_1574 Depth=1
	s_or_b32 exec_lo, exec_lo, s17
.LBB241_3181:                           ;   in Loop: Header=BB241_1574 Depth=1
	s_or_b32 exec_lo, exec_lo, s15
	v_cmp_ne_u16_sdwa s4, v44, v10 src0_sel:BYTE_1 src1_sel:DWORD
	s_and_saveexec_b32 s15, s4
	s_cbranch_execz .LBB241_3189
; %bb.3182:                             ;   in Loop: Header=BB241_1574 Depth=1
	v_mov_b32_e32 v11, v10
	v_mov_b32_e32 v16, v12
	v_cmp_ne_u16_sdwa s4, v44, v41 src0_sel:BYTE_1 src1_sel:DWORD
	v_mov_b32_e32 v15, v11
	s_and_saveexec_b32 s17, s4
	s_cbranch_execz .LBB241_3188
; %bb.3183:                             ;   in Loop: Header=BB241_1574 Depth=1
	v_and_b32_sdwa v9, v36, v44 dst_sel:DWORD dst_unused:UNUSED_PAD src0_sel:DWORD src1_sel:BYTE_1
	v_mov_b32_e32 v13, v10
	v_mov_b32_e32 v16, v14
	s_mov_b32 s18, exec_lo
	v_and_b32_e32 v17, 0x7f, v9
	v_mov_b32_e32 v15, v13
	v_cmpx_ne_u32_e32 0x7f, v17
	s_cbranch_execz .LBB241_3187
; %bb.3184:                             ;   in Loop: Header=BB241_1574 Depth=1
	v_and_b32_e32 v9, 7, v9
	v_mov_b32_e32 v16, v10
	v_lshrrev_b32_e32 v11, 3, v17
	s_mov_b32 s19, exec_lo
	v_mov_b32_e32 v15, v9
	v_cmpx_gt_u32_e32 8, v17
; %bb.3185:                             ;   in Loop: Header=BB241_1574 Depth=1
	v_ffbh_u32_e32 v11, v9
	v_min_u32_e32 v11, 32, v11
	v_subrev_nc_u32_e32 v13, 28, v11
	v_sub_nc_u32_e32 v11, 29, v11
	v_lshlrev_b64 v[15:16], v13, v[9:10]
	v_and_b32_e32 v15, 7, v15
; %bb.3186:                             ;   in Loop: Header=BB241_1574 Depth=1
	s_or_b32 exec_lo, exec_lo, s19
	v_lshlrev_b32_e32 v9, 16, v44
	v_lshlrev_b32_e32 v13, 20, v15
	v_lshl_add_u32 v11, v11, 23, 0x3c000000
	v_mov_b32_e32 v15, v10
	v_and_b32_e32 v9, 0x80000000, v9
	v_or3_b32 v16, v13, v9, v11
.LBB241_3187:                           ;   in Loop: Header=BB241_1574 Depth=1
	s_or_b32 exec_lo, exec_lo, s18
.LBB241_3188:                           ;   in Loop: Header=BB241_1574 Depth=1
	s_or_b32 exec_lo, exec_lo, s17
.LBB241_3189:                           ;   in Loop: Header=BB241_1574 Depth=1
	s_or_b32 exec_lo, exec_lo, s15
	v_mov_b32_e32 v17, 0
	v_mov_b32_e32 v19, 0
	v_and_b32_sdwa v9, v44, v43 dst_sel:DWORD dst_unused:UNUSED_PAD src0_sel:WORD_1 src1_sel:DWORD
	v_mov_b32_e32 v18, 0
	v_mov_b32_e32 v20, 0
	s_mov_b32 s15, exec_lo
	v_cmpx_ne_u16_e32 0, v9
	s_cbranch_execz .LBB241_3197
; %bb.3190:                             ;   in Loop: Header=BB241_1574 Depth=1
	v_bfrev_b32_e32 v19, 1
	v_mov_b32_e32 v20, 0
	s_mov_b32 s17, exec_lo
	v_cmpx_ne_u16_e32 0x80, v9
	s_cbranch_execz .LBB241_3196
; %bb.3191:                             ;   in Loop: Header=BB241_1574 Depth=1
	v_mov_b32_e32 v19, 0x7f800001
	v_bfe_u32 v13, v44, 16, 7
	v_mov_b32_e32 v20, 0
	s_mov_b32 s18, exec_lo
	v_cmpx_ne_u32_e32 0x7f, v13
	s_cbranch_execz .LBB241_3195
; %bb.3192:                             ;   in Loop: Header=BB241_1574 Depth=1
	v_mov_b32_e32 v9, 7
	v_lshrrev_b32_e32 v11, 3, v13
	s_mov_b32 s19, exec_lo
	v_and_b32_sdwa v9, v44, v9 dst_sel:DWORD dst_unused:UNUSED_PAD src0_sel:WORD_1 src1_sel:DWORD
	v_mov_b32_e32 v20, v10
	v_mov_b32_e32 v19, v9
	v_cmpx_gt_u32_e32 8, v13
; %bb.3193:                             ;   in Loop: Header=BB241_1574 Depth=1
	v_ffbh_u32_e32 v11, v9
	v_min_u32_e32 v11, 32, v11
	v_subrev_nc_u32_e32 v13, 28, v11
	v_sub_nc_u32_e32 v11, 29, v11
	v_lshlrev_b64 v[19:20], v13, v[9:10]
	v_and_b32_e32 v19, 7, v19
; %bb.3194:                             ;   in Loop: Header=BB241_1574 Depth=1
	s_or_b32 exec_lo, exec_lo, s19
	v_mov_b32_e32 v9, 24
	v_lshlrev_b32_e32 v13, 20, v19
	v_lshl_add_u32 v11, v11, 23, 0x3c000000
	v_lshlrev_b32_sdwa v9, v9, v44 dst_sel:DWORD dst_unused:UNUSED_PAD src0_sel:DWORD src1_sel:WORD_1
	v_and_b32_e32 v9, 0x80000000, v9
	v_or3_b32 v9, v13, v9, v11
	v_mov_b32_e32 v20, v10
	v_mov_b32_e32 v19, v9
.LBB241_3195:                           ;   in Loop: Header=BB241_1574 Depth=1
	s_or_b32 exec_lo, exec_lo, s18
.LBB241_3196:                           ;   in Loop: Header=BB241_1574 Depth=1
	s_or_b32 exec_lo, exec_lo, s17
.LBB241_3197:                           ;   in Loop: Header=BB241_1574 Depth=1
	s_or_b32 exec_lo, exec_lo, s15
	s_mov_b32 s15, exec_lo
	v_cmpx_lt_u32_e32 0xffffff, v44
	s_cbranch_execz .LBB241_3205
; %bb.3198:                             ;   in Loop: Header=BB241_1574 Depth=1
	v_mov_b32_e32 v11, v10
	v_mov_b32_e32 v18, v12
	v_cmp_ne_u32_sdwa s4, v44, v41 src0_sel:BYTE_3 src1_sel:DWORD
	v_mov_b32_e32 v17, v11
	s_and_saveexec_b32 s17, s4
	s_cbranch_execz .LBB241_3204
; %bb.3199:                             ;   in Loop: Header=BB241_1574 Depth=1
	v_mov_b32_e32 v13, v10
	v_mov_b32_e32 v18, v14
	v_bfe_u32 v36, v44, 24, 7
	s_mov_b32 s18, exec_lo
	v_mov_b32_e32 v17, v13
	v_cmpx_ne_u32_e32 0x7f, v36
	s_cbranch_execz .LBB241_3203
; %bb.3200:                             ;   in Loop: Header=BB241_1574 Depth=1
	v_mov_b32_e32 v9, 7
	v_lshrrev_b32_e32 v11, 3, v36
	s_mov_b32 s19, exec_lo
	v_and_b32_sdwa v9, v44, v9 dst_sel:DWORD dst_unused:UNUSED_PAD src0_sel:BYTE_3 src1_sel:DWORD
	v_mov_b32_e32 v18, v10
	v_mov_b32_e32 v17, v9
	v_cmpx_gt_u32_e32 8, v36
; %bb.3201:                             ;   in Loop: Header=BB241_1574 Depth=1
	v_ffbh_u32_e32 v11, v9
	v_min_u32_e32 v11, 32, v11
	v_subrev_nc_u32_e32 v13, 28, v11
	v_sub_nc_u32_e32 v11, 29, v11
	v_lshlrev_b64 v[17:18], v13, v[9:10]
	v_and_b32_e32 v17, 7, v17
; %bb.3202:                             ;   in Loop: Header=BB241_1574 Depth=1
	s_or_b32 exec_lo, exec_lo, s19
	v_mov_b32_e32 v9, 24
	v_lshlrev_b32_e32 v13, 20, v17
	v_lshl_add_u32 v11, v11, 23, 0x3c000000
	v_mov_b32_e32 v17, v10
	v_lshlrev_b32_sdwa v9, v9, v44 dst_sel:DWORD dst_unused:UNUSED_PAD src0_sel:DWORD src1_sel:BYTE_3
	v_and_b32_e32 v9, 0x80000000, v9
	v_or3_b32 v18, v13, v9, v11
.LBB241_3203:                           ;   in Loop: Header=BB241_1574 Depth=1
	s_or_b32 exec_lo, exec_lo, s18
	v_mov_b32_e32 v36, 0xffff
.LBB241_3204:                           ;   in Loop: Header=BB241_1574 Depth=1
	s_or_b32 exec_lo, exec_lo, s17
.LBB241_3205:                           ;   in Loop: Header=BB241_1574 Depth=1
	s_or_b32 exec_lo, exec_lo, s15
	v_or_b32_e32 v5, v16, v5
	v_or_b32_e32 v4, v15, v4
	;; [unrolled: 1-line block ×4, first 2 shown]
	v_mul_f32_e32 v11, v63, v5
	v_mul_f32_e32 v9, v63, v4
	;; [unrolled: 1-line block ×4, first 2 shown]
	s_and_saveexec_b32 s4, vcc_lo
	s_cbranch_execz .LBB241_1572
; %bb.3206:                             ;   in Loop: Header=BB241_1574 Depth=1
	buffer_load_dword v13, off, s[0:3], s32 offset:208 ; 4-byte Folded Reload
	s_waitcnt vmcnt(0)
	v_cmp_lt_i32_e32 vcc_lo, v62, v13
	v_cndmask_b32_e32 v9, 0, v9, vcc_lo
	v_cmp_lt_i32_e32 vcc_lo, v78, v13
	v_cndmask_b32_e32 v11, 0, v11, vcc_lo
	;; [unrolled: 2-line block ×4, first 2 shown]
	s_branch .LBB241_1572
.LBB241_3207:
	s_or_b32 exec_lo, exec_lo, s9
	s_clause 0x29
	buffer_load_dword v83, off, s[0:3], s32 offset:964
	buffer_load_dword v84, off, s[0:3], s32 offset:972
	;; [unrolled: 1-line block ×42, first 2 shown]
.LBB241_3208:
	s_or_b32 exec_lo, exec_lo, s8
	ds_bpermute_b32 v0, v28, v24
	s_waitcnt vmcnt(0)
	ds_bpermute_b32 v1, v28, v23
	ds_bpermute_b32 v4, v28, v17
	;; [unrolled: 1-line block ×11, first 2 shown]
	v_mov_b32_e32 v101, v16
	ds_bpermute_b32 v16, v28, v18
	v_mov_b32_e32 v100, v18
	ds_bpermute_b32 v15, v28, v19
	;; [unrolled: 2-line block ×4, first 2 shown]
	s_waitcnt lgkmcnt(15)
	v_add_f32_e32 v0, v24, v0
	s_waitcnt lgkmcnt(14)
	v_add_f32_e32 v1, v23, v1
	;; [unrolled: 2-line block ×5, first 2 shown]
	ds_bpermute_b32 v17, v27, v0
	ds_bpermute_b32 v18, v27, v1
	;; [unrolled: 1-line block ×5, first 2 shown]
	s_waitcnt lgkmcnt(15)
	v_add_f32_e32 v5, v101, v5
	s_waitcnt lgkmcnt(14)
	v_add_f32_e32 v7, v35, v7
	;; [unrolled: 2-line block ×5, first 2 shown]
	ds_bpermute_b32 v25, v27, v5
	s_waitcnt lgkmcnt(11)
	v_add_f32_e32 v10, v29, v10
	s_waitcnt lgkmcnt(10)
	v_add_f32_e32 v11, v26, v11
	ds_bpermute_b32 v26, v27, v7
	ds_bpermute_b32 v29, v27, v8
	ds_bpermute_b32 v22, v28, v67
	ds_bpermute_b32 v30, v27, v9
	ds_bpermute_b32 v31, v27, v10
	ds_bpermute_b32 v23, v28, v66
	s_waitcnt lgkmcnt(14)
	v_add_f32_e32 v15, v32, v15
	s_waitcnt lgkmcnt(11)
	v_add_f32_e32 v0, v0, v17
	;; [unrolled: 2-line block ×6, first 2 shown]
	ds_bpermute_b32 v17, v6, v0
	ds_bpermute_b32 v18, v6, v1
	;; [unrolled: 1-line block ×6, first 2 shown]
	s_waitcnt lgkmcnt(12)
	v_add_f32_e32 v5, v5, v25
	ds_bpermute_b32 v24, v28, v65
	v_add_f32_e32 v13, v34, v13
	v_add_f32_e32 v14, v33, v14
	ds_bpermute_b32 v33, v27, v12
	s_waitcnt lgkmcnt(13)
	v_add_f32_e32 v7, v7, v26
	s_waitcnt lgkmcnt(12)
	v_add_f32_e32 v8, v8, v29
	ds_bpermute_b32 v26, v6, v5
	v_add_f32_e32 v16, v100, v16
	ds_bpermute_b32 v34, v27, v13
	ds_bpermute_b32 v35, v27, v14
	ds_bpermute_b32 v25, v27, v15
	s_waitcnt lgkmcnt(14)
	v_add_f32_e32 v9, v9, v30
	s_waitcnt lgkmcnt(13)
	v_add_f32_e32 v10, v10, v31
	;; [unrolled: 2-line block ×5, first 2 shown]
	ds_bpermute_b32 v17, v6, v8
	v_add_f32_e32 v18, v67, v22
	ds_bpermute_b32 v21, v27, v16
	ds_bpermute_b32 v29, v6, v7
	s_waitcnt lgkmcnt(11)
	v_add_f32_e32 v2, v2, v19
	ds_bpermute_b32 v19, v6, v9
	ds_bpermute_b32 v22, v27, v18
	;; [unrolled: 1-line block ×3, first 2 shown]
	s_waitcnt lgkmcnt(13)
	v_add_f32_e32 v3, v3, v20
	ds_bpermute_b32 v20, v6, v10
	s_waitcnt lgkmcnt(13)
	v_add_f32_e32 v11, v11, v32
	v_add_f32_e32 v23, v66, v23
	s_waitcnt lgkmcnt(11)
	v_add_f32_e32 v12, v12, v33
	s_waitcnt lgkmcnt(10)
	v_add_f32_e32 v5, v5, v26
	v_add_f32_e32 v24, v65, v24
	ds_bpermute_b32 v26, v6, v11
	ds_bpermute_b32 v32, v27, v23
	s_waitcnt lgkmcnt(11)
	v_add_f32_e32 v13, v13, v34
	ds_bpermute_b32 v31, v6, v12
	s_waitcnt lgkmcnt(11)
	v_add_f32_e32 v14, v14, v35
	s_waitcnt lgkmcnt(10)
	v_add_f32_e32 v15, v15, v25
	;; [unrolled: 2-line block ×3, first 2 shown]
	ds_bpermute_b32 v17, v27, v24
	s_waitcnt lgkmcnt(9)
	v_add_f32_e32 v16, v16, v21
	ds_bpermute_b32 v21, v28, v38
	ds_bpermute_b32 v33, v6, v13
	s_waitcnt lgkmcnt(10)
	v_add_f32_e32 v7, v7, v29
	ds_bpermute_b32 v25, v6, v14
	ds_bpermute_b32 v29, v6, v15
	s_waitcnt lgkmcnt(10)
	v_add_f32_e32 v18, v18, v22
	v_add_f32_e32 v9, v9, v19
	s_waitcnt lgkmcnt(9)
	v_add_f32_e32 v19, v64, v30
	ds_bpermute_b32 v22, v6, v16
	s_waitcnt lgkmcnt(9)
	v_add_f32_e32 v10, v10, v20
	ds_bpermute_b32 v20, v6, v18
	ds_bpermute_b32 v30, v28, v36
	;; [unrolled: 1-line block ×3, first 2 shown]
	s_waitcnt lgkmcnt(10)
	v_add_f32_e32 v23, v23, v32
	v_add_f32_e32 v11, v11, v26
	ds_bpermute_b32 v26, v28, v37
	s_waitcnt lgkmcnt(10)
	v_add_f32_e32 v12, v12, v31
	ds_bpermute_b32 v32, v28, v39
	ds_bpermute_b32 v31, v6, v23
	s_waitcnt lgkmcnt(11)
	v_add_f32_e32 v24, v24, v17
	s_waitcnt lgkmcnt(10)
	v_add_f32_e32 v21, v38, v21
	;; [unrolled: 2-line block ×3, first 2 shown]
	ds_bpermute_b32 v33, v28, v55
	s_waitcnt lgkmcnt(9)
	v_add_f32_e32 v14, v14, v25
	s_waitcnt lgkmcnt(8)
	v_add_f32_e32 v15, v15, v29
	ds_bpermute_b32 v25, v28, v48
	ds_bpermute_b32 v29, v6, v24
	;; [unrolled: 1-line block ×3, first 2 shown]
	s_waitcnt lgkmcnt(10)
	v_add_f32_e32 v16, v16, v22
	ds_bpermute_b32 v22, v27, v21
	s_waitcnt lgkmcnt(10)
	v_add_f32_e32 v17, v18, v20
	s_waitcnt lgkmcnt(9)
	v_add_f32_e32 v20, v36, v30
	;; [unrolled: 2-line block ×3, first 2 shown]
	ds_bpermute_b32 v34, v28, v52
	ds_bpermute_b32 v36, v28, v50
	s_waitcnt lgkmcnt(9)
	v_add_f32_e32 v26, v37, v26
	ds_bpermute_b32 v38, v28, v51
	ds_bpermute_b32 v37, v27, v20
	s_waitcnt lgkmcnt(9)
	v_add_f32_e32 v18, v23, v31
	v_add_f32_e32 v23, v39, v32
	ds_bpermute_b32 v31, v27, v26
	ds_bpermute_b32 v32, v28, v54
	;; [unrolled: 1-line block ×5, first 2 shown]
	s_waitcnt lgkmcnt(12)
	v_add_f32_e32 v25, v48, v25
	s_waitcnt lgkmcnt(11)
	v_add_f32_e32 v19, v24, v29
	v_add_f32_e32 v24, v55, v33
	s_waitcnt lgkmcnt(10)
	v_add_f32_e32 v29, v49, v35
	s_waitcnt lgkmcnt(9)
	v_add_f32_e32 v21, v21, v22
	ds_bpermute_b32 v22, v28, v53
	ds_bpermute_b32 v48, v27, v23
	;; [unrolled: 1-line block ×5, first 2 shown]
	s_waitcnt lgkmcnt(13)
	v_add_f32_e32 v34, v52, v34
	s_waitcnt lgkmcnt(12)
	v_add_f32_e32 v36, v50, v36
	;; [unrolled: 2-line block ×3, first 2 shown]
	ds_bpermute_b32 v50, v6, v21
	s_waitcnt lgkmcnt(11)
	v_add_f32_e32 v37, v20, v37
	ds_bpermute_b32 v51, v27, v34
	ds_bpermute_b32 v52, v27, v36
	s_waitcnt lgkmcnt(12)
	v_add_f32_e32 v26, v26, v31
	s_waitcnt lgkmcnt(11)
	v_add_f32_e32 v31, v54, v32
	ds_bpermute_b32 v32, v27, v38
	s_waitcnt lgkmcnt(11)
	v_add_f32_e32 v20, v30, v39
	ds_bpermute_b32 v55, v28, v99
	s_waitcnt lgkmcnt(0)
	s_waitcnt_vscnt null, 0x0
	ds_bpermute_b32 v39, v27, v31
	s_barrier
	v_add_f32_e32 v53, v53, v22
	v_add_f32_e32 v30, v23, v48
	ds_bpermute_b32 v23, v6, v37
	ds_bpermute_b32 v48, v6, v26
	v_add_f32_e32 v25, v25, v33
	v_add_f32_e32 v35, v24, v35
	;; [unrolled: 1-line block ×3, first 2 shown]
	ds_bpermute_b32 v49, v27, v53
	ds_bpermute_b32 v24, v28, v68
	;; [unrolled: 1-line block ×4, first 2 shown]
	v_add_f32_e32 v34, v34, v51
	ds_bpermute_b32 v33, v6, v30
	v_add_f32_e32 v36, v36, v52
	v_add_f32_e32 v21, v21, v50
	ds_bpermute_b32 v50, v6, v29
	v_add_f32_e32 v32, v38, v32
	ds_bpermute_b32 v38, v6, v34
	ds_bpermute_b32 v52, v28, v98
	;; [unrolled: 1-line block ×3, first 2 shown]
	s_waitcnt lgkmcnt(11)
	v_add_f32_e32 v39, v31, v39
	ds_bpermute_b32 v65, v6, v32
	s_waitcnt lgkmcnt(11)
	v_add_f32_e32 v22, v37, v23
	s_waitcnt lgkmcnt(10)
	v_add_f32_e32 v23, v26, v48
	s_waitcnt lgkmcnt(0)
	buffer_gl0_inv
	ds_bpermute_b32 v37, v6, v39
	s_load_dword s6, s[6:7], 0x0
	v_add_f32_e32 v48, v53, v49
	v_add_f32_e32 v49, v99, v55
	v_add_f32_e32 v68, v68, v24
	v_add_f32_e32 v25, v25, v54
	v_add_f32_e32 v26, v35, v64
	ds_bpermute_b32 v35, v6, v48
	ds_bpermute_b32 v54, v27, v49
	v_add_f32_e32 v24, v30, v33
	ds_bpermute_b32 v53, v27, v68
	v_add_f32_e32 v29, v29, v50
	v_add_f32_e32 v30, v34, v38
	ds_bpermute_b32 v38, v28, v69
	v_add_f32_e32 v50, v98, v52
	v_add_f32_e32 v31, v36, v51
	;; [unrolled: 1-line block ×5, first 2 shown]
	ds_bpermute_b32 v52, v27, v50
	s_waitcnt lgkmcnt(0)
	v_add_f32_e32 v33, v39, v37
	ds_bpermute_b32 v39, v27, v36
	ds_bpermute_b32 v55, v27, v51
	;; [unrolled: 1-line block ×6, first 2 shown]
	v_add_f32_e32 v34, v48, v35
	v_add_f32_e32 v35, v49, v54
	ds_bpermute_b32 v54, v28, v85
	ds_bpermute_b32 v64, v28, v87
	v_add_f32_e32 v53, v68, v53
	ds_bpermute_b32 v48, v28, v80
	v_add_f32_e32 v38, v69, v38
	ds_bpermute_b32 v68, v28, v82
	ds_bpermute_b32 v70, v28, v84
	ds_bpermute_b32 v28, v28, v83
	ds_bpermute_b32 v49, v6, v53
	ds_bpermute_b32 v69, v6, v35
	v_add_f32_e32 v50, v50, v52
	ds_bpermute_b32 v52, v27, v38
	s_waitcnt lgkmcnt(14)
	v_add_f32_e32 v36, v36, v39
	s_waitcnt lgkmcnt(13)
	v_add_f32_e32 v39, v51, v55
	s_waitcnt lgkmcnt(12)
	v_add_f32_e32 v55, v86, v65
	s_waitcnt lgkmcnt(11)
	v_add_f32_e32 v65, v81, v66
	s_waitcnt lgkmcnt(10)
	v_add_f32_e32 v66, v71, v67
	s_waitcnt lgkmcnt(9)
	v_add_f32_e32 v37, v96, v37
	ds_bpermute_b32 v86, v6, v36
	ds_bpermute_b32 v71, v27, v55
	s_waitcnt lgkmcnt(10)
	v_add_f32_e32 v54, v85, v54
	ds_bpermute_b32 v81, v27, v66
	s_waitcnt lgkmcnt(10)
	v_add_f32_e32 v51, v87, v64
	s_waitcnt lgkmcnt(9)
	v_add_f32_e32 v48, v80, v48
	ds_bpermute_b32 v80, v27, v65
	s_waitcnt lgkmcnt(9)
	v_add_f32_e32 v68, v82, v68
	s_waitcnt lgkmcnt(8)
	v_add_f32_e32 v70, v84, v70
	;; [unrolled: 2-line block ×3, first 2 shown]
	ds_bpermute_b32 v83, v27, v54
	ds_bpermute_b32 v64, v27, v37
	;; [unrolled: 1-line block ×3, first 2 shown]
	s_waitcnt lgkmcnt(7)
	v_add_f32_e32 v38, v38, v52
	ds_bpermute_b32 v52, v27, v70
	ds_bpermute_b32 v82, v27, v48
	;; [unrolled: 1-line block ×6, first 2 shown]
	s_mov_b32 s7, exec_lo
	s_waitcnt lgkmcnt(11)
	v_add_f32_e32 v55, v55, v71
	s_waitcnt lgkmcnt(10)
	v_add_f32_e32 v66, v66, v81
	;; [unrolled: 2-line block ×3, first 2 shown]
	ds_bpermute_b32 v80, v6, v55
	ds_bpermute_b32 v96, v6, v66
	s_waitcnt lgkmcnt(10)
	v_add_f32_e32 v54, v54, v83
	s_waitcnt lgkmcnt(9)
	v_add_f32_e32 v64, v37, v64
	ds_bpermute_b32 v37, v6, v39
	s_waitcnt lgkmcnt(9)
	v_add_f32_e32 v51, v51, v67
	s_waitcnt lgkmcnt(8)
	v_add_f32_e32 v70, v70, v52
	;; [unrolled: 5-line block ×3, first 2 shown]
	s_waitcnt lgkmcnt(6)
	v_add_f32_e32 v84, v28, v27
	s_waitcnt lgkmcnt(5)
	v_add_f32_e32 v28, v50, v85
	ds_bpermute_b32 v67, v6, v64
	ds_bpermute_b32 v82, v6, v65
	;; [unrolled: 1-line block ×7, first 2 shown]
	s_waitcnt lgkmcnt(10)
	v_add_f32_e32 v48, v55, v80
	s_waitcnt lgkmcnt(9)
	v_add_f32_e32 v50, v66, v96
	s_clause 0x1
	buffer_load_dword v55, off, s[0:3], s32 offset:1580
	buffer_load_dword v66, off, s[0:3], s32 offset:2388
	v_add_f32_e32 v27, v53, v49
	v_add_f32_e32 v6, v35, v69
	;; [unrolled: 1-line block ×3, first 2 shown]
	s_waitcnt lgkmcnt(8)
	v_add_f32_e32 v36, v39, v37
	s_waitcnt lgkmcnt(7)
	v_add_f32_e32 v52, v54, v52
	buffer_load_dword v54, off, s[0:3], s32 offset:1576 ; 4-byte Folded Reload
	v_add_f32_e32 v37, v38, v87
	s_waitcnt lgkmcnt(6)
	v_add_f32_e32 v38, v64, v67
	s_waitcnt lgkmcnt(5)
	;; [unrolled: 2-line block ×5, first 2 shown]
	v_add_f32_e32 v53, v68, v97
	s_waitcnt vmcnt(2)
	v_and_b32_e32 v65, 7, v55
	v_and_b32_e32 v67, 0x3c0, v55
	s_waitcnt lgkmcnt(0)
	v_add_f32_e32 v55, v84, v99
	s_waitcnt vmcnt(1)
	v_mul_u32_u24_e32 v66, 0x300, v66
	v_cmp_eq_u32_e32 vcc_lo, 0, v65
	s_waitcnt vmcnt(0)
	v_lshrrev_b32_e32 v64, 3, v54
	v_add_f32_e32 v54, v70, v98
	v_lshl_add_u32 v65, v64, 2, s6
	v_cmpx_eq_u32_e32 64, v67
	s_cbranch_execz .LBB241_3211
; %bb.3209:
	s_and_b32 exec_lo, exec_lo, vcc_lo
	s_cbranch_execz .LBB241_3211
; %bb.3210:
	v_add_nc_u32_e32 v67, v65, v66
	v_add_nc_u32_e32 v68, 0xfffffa00, v67
	;; [unrolled: 1-line block ×8, first 2 shown]
	ds_write_b32 v68, v0
	ds_write_b32 v69, v1
	;; [unrolled: 1-line block ×3, first 2 shown]
	v_add_nc_u32_e32 v68, 0xfffffa70, v67
	ds_write_b32 v71, v3
	ds_write_b32 v80, v4
	ds_write_b32 v81, v5
	ds_write_b32 v82, v7
	ds_write_b32 v68, v8
	v_add_nc_u32_e32 v68, 0xfffffa80, v67
	v_add_nc_u32_e32 v69, 0xfffffa90, v67
	v_add_nc_u32_e32 v70, 0xfffffaa0, v67
	v_add_nc_u32_e32 v71, 0xfffffab0, v67
	v_add_nc_u32_e32 v80, 0xfffffac0, v67
	ds_write_b32 v68, v9
	ds_write_b32 v69, v10
	ds_write_b32 v70, v11
	ds_write_b32 v71, v12
	ds_write_b32 v80, v13
	v_add_nc_u32_e32 v68, 0xfffffad0, v67
	v_add_nc_u32_e32 v69, 0xfffffae0, v67
	v_add_nc_u32_e32 v70, 0xfffffaf0, v67
	v_add_nc_u32_e32 v71, 0xfffffb00, v67
	;; [unrolled: 10-line block ×8, first 2 shown]
	v_add_nc_u32_e32 v67, 0xfffffcf0, v67
	ds_write_b32 v68, v51
	ds_write_b32 v69, v52
	;; [unrolled: 1-line block ×5, first 2 shown]
.LBB241_3211:
	s_or_b32 exec_lo, exec_lo, s7
	v_lshlrev_b32_e32 v64, 2, v64
	v_add3_u32 v64, s6, v66, v64
	buffer_load_dword v66, off, s[0:3], s32 offset:1580 ; 4-byte Folded Reload
	s_mov_b32 s6, exec_lo
	s_waitcnt vmcnt(0) lgkmcnt(0)
	s_barrier
	buffer_gl0_inv
	v_cmpx_gt_u32_e32 64, v66
	s_cbranch_execz .LBB241_3262
; %bb.3212:
	s_and_saveexec_b32 s4, vcc_lo
	s_cbranch_execnz .LBB241_3319
; %bb.3213:
	s_or_b32 exec_lo, exec_lo, s4
	s_and_saveexec_b32 s4, vcc_lo
	s_cbranch_execnz .LBB241_3320
.LBB241_3214:
	s_or_b32 exec_lo, exec_lo, s4
	s_and_saveexec_b32 s4, vcc_lo
	s_cbranch_execnz .LBB241_3321
.LBB241_3215:
	s_or_b32 exec_lo, exec_lo, s4
	s_and_saveexec_b32 s4, vcc_lo
	s_cbranch_execnz .LBB241_3322
.LBB241_3216:
	s_or_b32 exec_lo, exec_lo, s4
	s_and_saveexec_b32 s4, vcc_lo
	s_cbranch_execnz .LBB241_3323
.LBB241_3217:
	s_or_b32 exec_lo, exec_lo, s4
	s_and_saveexec_b32 s4, vcc_lo
	s_cbranch_execnz .LBB241_3324
.LBB241_3218:
	s_or_b32 exec_lo, exec_lo, s4
	s_and_saveexec_b32 s4, vcc_lo
	s_cbranch_execnz .LBB241_3325
.LBB241_3219:
	s_or_b32 exec_lo, exec_lo, s4
	s_and_saveexec_b32 s4, vcc_lo
	s_cbranch_execnz .LBB241_3326
.LBB241_3220:
	s_or_b32 exec_lo, exec_lo, s4
	s_and_saveexec_b32 s4, vcc_lo
	s_cbranch_execnz .LBB241_3327
.LBB241_3221:
	s_or_b32 exec_lo, exec_lo, s4
	s_and_saveexec_b32 s4, vcc_lo
	s_cbranch_execnz .LBB241_3328
.LBB241_3222:
	s_or_b32 exec_lo, exec_lo, s4
	s_and_saveexec_b32 s4, vcc_lo
	s_cbranch_execnz .LBB241_3329
.LBB241_3223:
	s_or_b32 exec_lo, exec_lo, s4
	s_and_saveexec_b32 s4, vcc_lo
	s_cbranch_execnz .LBB241_3330
.LBB241_3224:
	s_or_b32 exec_lo, exec_lo, s4
	s_and_saveexec_b32 s4, vcc_lo
	s_cbranch_execnz .LBB241_3331
.LBB241_3225:
	s_or_b32 exec_lo, exec_lo, s4
	s_and_saveexec_b32 s4, vcc_lo
	s_cbranch_execnz .LBB241_3332
.LBB241_3226:
	s_or_b32 exec_lo, exec_lo, s4
	s_and_saveexec_b32 s4, vcc_lo
	s_cbranch_execnz .LBB241_3333
.LBB241_3227:
	s_or_b32 exec_lo, exec_lo, s4
	s_and_saveexec_b32 s4, vcc_lo
	s_cbranch_execnz .LBB241_3334
.LBB241_3228:
	s_or_b32 exec_lo, exec_lo, s4
	s_and_saveexec_b32 s4, vcc_lo
	s_cbranch_execnz .LBB241_3335
.LBB241_3229:
	s_or_b32 exec_lo, exec_lo, s4
	s_and_saveexec_b32 s4, vcc_lo
	s_cbranch_execnz .LBB241_3336
.LBB241_3230:
	s_or_b32 exec_lo, exec_lo, s4
	s_and_saveexec_b32 s4, vcc_lo
	s_cbranch_execnz .LBB241_3337
.LBB241_3231:
	s_or_b32 exec_lo, exec_lo, s4
	s_and_saveexec_b32 s4, vcc_lo
	s_cbranch_execnz .LBB241_3338
.LBB241_3232:
	s_or_b32 exec_lo, exec_lo, s4
	s_and_saveexec_b32 s4, vcc_lo
	s_cbranch_execnz .LBB241_3339
.LBB241_3233:
	s_or_b32 exec_lo, exec_lo, s4
	s_and_saveexec_b32 s4, vcc_lo
	s_cbranch_execnz .LBB241_3340
.LBB241_3234:
	s_or_b32 exec_lo, exec_lo, s4
	s_and_saveexec_b32 s4, vcc_lo
	s_cbranch_execnz .LBB241_3341
.LBB241_3235:
	s_or_b32 exec_lo, exec_lo, s4
	s_and_saveexec_b32 s4, vcc_lo
	s_cbranch_execnz .LBB241_3342
.LBB241_3236:
	s_or_b32 exec_lo, exec_lo, s4
	s_and_saveexec_b32 s4, vcc_lo
	s_cbranch_execnz .LBB241_3343
.LBB241_3237:
	s_or_b32 exec_lo, exec_lo, s4
	s_and_saveexec_b32 s4, vcc_lo
	s_cbranch_execnz .LBB241_3344
.LBB241_3238:
	s_or_b32 exec_lo, exec_lo, s4
	s_and_saveexec_b32 s4, vcc_lo
	s_cbranch_execnz .LBB241_3345
.LBB241_3239:
	s_or_b32 exec_lo, exec_lo, s4
	s_and_saveexec_b32 s4, vcc_lo
	s_cbranch_execnz .LBB241_3346
.LBB241_3240:
	s_or_b32 exec_lo, exec_lo, s4
	s_and_saveexec_b32 s4, vcc_lo
	s_cbranch_execnz .LBB241_3347
.LBB241_3241:
	s_or_b32 exec_lo, exec_lo, s4
	s_and_saveexec_b32 s4, vcc_lo
	s_cbranch_execnz .LBB241_3348
.LBB241_3242:
	s_or_b32 exec_lo, exec_lo, s4
	s_and_saveexec_b32 s4, vcc_lo
	s_cbranch_execnz .LBB241_3349
.LBB241_3243:
	s_or_b32 exec_lo, exec_lo, s4
	s_and_saveexec_b32 s4, vcc_lo
	s_cbranch_execnz .LBB241_3350
.LBB241_3244:
	s_or_b32 exec_lo, exec_lo, s4
	s_and_saveexec_b32 s4, vcc_lo
	s_cbranch_execnz .LBB241_3351
.LBB241_3245:
	s_or_b32 exec_lo, exec_lo, s4
	s_and_saveexec_b32 s4, vcc_lo
	s_cbranch_execnz .LBB241_3352
.LBB241_3246:
	s_or_b32 exec_lo, exec_lo, s4
	s_and_saveexec_b32 s4, vcc_lo
	s_cbranch_execnz .LBB241_3353
.LBB241_3247:
	s_or_b32 exec_lo, exec_lo, s4
	s_and_saveexec_b32 s4, vcc_lo
	s_cbranch_execnz .LBB241_3354
.LBB241_3248:
	s_or_b32 exec_lo, exec_lo, s4
	s_and_saveexec_b32 s4, vcc_lo
	s_cbranch_execnz .LBB241_3355
.LBB241_3249:
	s_or_b32 exec_lo, exec_lo, s4
	s_and_saveexec_b32 s4, vcc_lo
	s_cbranch_execnz .LBB241_3356
.LBB241_3250:
	s_or_b32 exec_lo, exec_lo, s4
	s_and_saveexec_b32 s4, vcc_lo
	s_cbranch_execnz .LBB241_3357
.LBB241_3251:
	s_or_b32 exec_lo, exec_lo, s4
	s_and_saveexec_b32 s4, vcc_lo
	s_cbranch_execnz .LBB241_3358
.LBB241_3252:
	s_or_b32 exec_lo, exec_lo, s4
	s_and_saveexec_b32 s4, vcc_lo
	s_cbranch_execnz .LBB241_3359
.LBB241_3253:
	s_or_b32 exec_lo, exec_lo, s4
	s_and_saveexec_b32 s4, vcc_lo
	s_cbranch_execnz .LBB241_3360
.LBB241_3254:
	s_or_b32 exec_lo, exec_lo, s4
	s_and_saveexec_b32 s4, vcc_lo
	s_cbranch_execnz .LBB241_3361
.LBB241_3255:
	s_or_b32 exec_lo, exec_lo, s4
	s_and_saveexec_b32 s4, vcc_lo
	s_cbranch_execnz .LBB241_3362
.LBB241_3256:
	s_or_b32 exec_lo, exec_lo, s4
	s_and_saveexec_b32 s4, vcc_lo
	s_cbranch_execnz .LBB241_3363
.LBB241_3257:
	s_or_b32 exec_lo, exec_lo, s4
	s_and_saveexec_b32 s4, vcc_lo
	s_cbranch_execnz .LBB241_3364
.LBB241_3258:
	s_or_b32 exec_lo, exec_lo, s4
	s_and_saveexec_b32 s4, vcc_lo
	s_cbranch_execnz .LBB241_3365
.LBB241_3259:
	s_or_b32 exec_lo, exec_lo, s4
	s_and_saveexec_b32 s4, vcc_lo
	s_cbranch_execz .LBB241_3261
.LBB241_3260:
	ds_read_b32 v66, v64 offset:752
	s_waitcnt lgkmcnt(0)
	v_add_f32_e32 v55, v66, v55
.LBB241_3261:
	s_or_b32 exec_lo, exec_lo, s4
.LBB241_3262:
	s_or_b32 exec_lo, exec_lo, s6
	buffer_load_dword v66, off, s[0:3], s32 offset:1580 ; 4-byte Folded Reload
	s_mov_b32 s6, exec_lo
	s_waitcnt vmcnt(0)
	s_barrier
	buffer_gl0_inv
	v_and_b32_e32 v66, 0x3e7, v66
	v_cmpx_eq_u32_e32 32, v66
	s_cbranch_execz .LBB241_3264
; %bb.3263:
	ds_write2_b32 v65, v0, v1 offset1:4
	ds_write2_b32 v65, v2, v3 offset0:8 offset1:12
	ds_write2_b32 v65, v4, v5 offset0:16 offset1:20
	;; [unrolled: 1-line block ×23, first 2 shown]
.LBB241_3264:
	s_or_b32 exec_lo, exec_lo, s6
	buffer_load_dword v65, off, s[0:3], s32 offset:1580 ; 4-byte Folded Reload
	s_waitcnt vmcnt(0) lgkmcnt(0)
	s_barrier
	buffer_gl0_inv
	v_cmp_gt_u32_e64 s4, 32, v65
	s_and_saveexec_b32 s6, s4
	s_cbranch_execz .LBB241_3315
; %bb.3265:
	s_and_saveexec_b32 s7, vcc_lo
	s_cbranch_execnz .LBB241_3366
; %bb.3266:
	s_or_b32 exec_lo, exec_lo, s7
	s_and_saveexec_b32 s7, vcc_lo
	s_cbranch_execnz .LBB241_3367
.LBB241_3267:
	s_or_b32 exec_lo, exec_lo, s7
	s_and_saveexec_b32 s7, vcc_lo
	s_cbranch_execnz .LBB241_3368
.LBB241_3268:
	s_or_b32 exec_lo, exec_lo, s7
	s_and_saveexec_b32 s7, vcc_lo
	s_cbranch_execnz .LBB241_3369
.LBB241_3269:
	s_or_b32 exec_lo, exec_lo, s7
	s_and_saveexec_b32 s7, vcc_lo
	s_cbranch_execnz .LBB241_3370
.LBB241_3270:
	s_or_b32 exec_lo, exec_lo, s7
	s_and_saveexec_b32 s7, vcc_lo
	s_cbranch_execnz .LBB241_3371
.LBB241_3271:
	s_or_b32 exec_lo, exec_lo, s7
	s_and_saveexec_b32 s7, vcc_lo
	s_cbranch_execnz .LBB241_3372
.LBB241_3272:
	s_or_b32 exec_lo, exec_lo, s7
	s_and_saveexec_b32 s7, vcc_lo
	s_cbranch_execnz .LBB241_3373
.LBB241_3273:
	s_or_b32 exec_lo, exec_lo, s7
	s_and_saveexec_b32 s7, vcc_lo
	s_cbranch_execnz .LBB241_3374
.LBB241_3274:
	s_or_b32 exec_lo, exec_lo, s7
	s_and_saveexec_b32 s7, vcc_lo
	s_cbranch_execnz .LBB241_3375
.LBB241_3275:
	s_or_b32 exec_lo, exec_lo, s7
	s_and_saveexec_b32 s7, vcc_lo
	s_cbranch_execnz .LBB241_3376
.LBB241_3276:
	s_or_b32 exec_lo, exec_lo, s7
	s_and_saveexec_b32 s7, vcc_lo
	s_cbranch_execnz .LBB241_3377
.LBB241_3277:
	s_or_b32 exec_lo, exec_lo, s7
	s_and_saveexec_b32 s7, vcc_lo
	s_cbranch_execnz .LBB241_3378
.LBB241_3278:
	s_or_b32 exec_lo, exec_lo, s7
	s_and_saveexec_b32 s7, vcc_lo
	s_cbranch_execnz .LBB241_3379
.LBB241_3279:
	s_or_b32 exec_lo, exec_lo, s7
	s_and_saveexec_b32 s7, vcc_lo
	s_cbranch_execnz .LBB241_3380
.LBB241_3280:
	s_or_b32 exec_lo, exec_lo, s7
	s_and_saveexec_b32 s7, vcc_lo
	s_cbranch_execnz .LBB241_3381
.LBB241_3281:
	s_or_b32 exec_lo, exec_lo, s7
	s_and_saveexec_b32 s7, vcc_lo
	s_cbranch_execnz .LBB241_3382
.LBB241_3282:
	s_or_b32 exec_lo, exec_lo, s7
	s_and_saveexec_b32 s7, vcc_lo
	s_cbranch_execnz .LBB241_3383
.LBB241_3283:
	s_or_b32 exec_lo, exec_lo, s7
	s_and_saveexec_b32 s7, vcc_lo
	s_cbranch_execnz .LBB241_3384
.LBB241_3284:
	s_or_b32 exec_lo, exec_lo, s7
	s_and_saveexec_b32 s7, vcc_lo
	s_cbranch_execnz .LBB241_3385
.LBB241_3285:
	s_or_b32 exec_lo, exec_lo, s7
	s_and_saveexec_b32 s7, vcc_lo
	s_cbranch_execnz .LBB241_3386
.LBB241_3286:
	s_or_b32 exec_lo, exec_lo, s7
	s_and_saveexec_b32 s7, vcc_lo
	s_cbranch_execnz .LBB241_3387
.LBB241_3287:
	s_or_b32 exec_lo, exec_lo, s7
	s_and_saveexec_b32 s7, vcc_lo
	s_cbranch_execnz .LBB241_3388
.LBB241_3288:
	s_or_b32 exec_lo, exec_lo, s7
	s_and_saveexec_b32 s7, vcc_lo
	s_cbranch_execnz .LBB241_3389
.LBB241_3289:
	s_or_b32 exec_lo, exec_lo, s7
	s_and_saveexec_b32 s7, vcc_lo
	s_cbranch_execnz .LBB241_3390
.LBB241_3290:
	s_or_b32 exec_lo, exec_lo, s7
	s_and_saveexec_b32 s7, vcc_lo
	s_cbranch_execnz .LBB241_3391
.LBB241_3291:
	s_or_b32 exec_lo, exec_lo, s7
	s_and_saveexec_b32 s7, vcc_lo
	s_cbranch_execnz .LBB241_3392
.LBB241_3292:
	s_or_b32 exec_lo, exec_lo, s7
	s_and_saveexec_b32 s7, vcc_lo
	s_cbranch_execnz .LBB241_3393
.LBB241_3293:
	s_or_b32 exec_lo, exec_lo, s7
	s_and_saveexec_b32 s7, vcc_lo
	s_cbranch_execnz .LBB241_3394
.LBB241_3294:
	s_or_b32 exec_lo, exec_lo, s7
	s_and_saveexec_b32 s7, vcc_lo
	s_cbranch_execnz .LBB241_3395
.LBB241_3295:
	s_or_b32 exec_lo, exec_lo, s7
	s_and_saveexec_b32 s7, vcc_lo
	s_cbranch_execnz .LBB241_3396
.LBB241_3296:
	s_or_b32 exec_lo, exec_lo, s7
	s_and_saveexec_b32 s7, vcc_lo
	s_cbranch_execnz .LBB241_3397
.LBB241_3297:
	s_or_b32 exec_lo, exec_lo, s7
	s_and_saveexec_b32 s7, vcc_lo
	s_cbranch_execnz .LBB241_3398
.LBB241_3298:
	s_or_b32 exec_lo, exec_lo, s7
	s_and_saveexec_b32 s7, vcc_lo
	s_cbranch_execnz .LBB241_3399
.LBB241_3299:
	s_or_b32 exec_lo, exec_lo, s7
	s_and_saveexec_b32 s7, vcc_lo
	s_cbranch_execnz .LBB241_3400
.LBB241_3300:
	s_or_b32 exec_lo, exec_lo, s7
	s_and_saveexec_b32 s7, vcc_lo
	s_cbranch_execnz .LBB241_3401
.LBB241_3301:
	s_or_b32 exec_lo, exec_lo, s7
	s_and_saveexec_b32 s7, vcc_lo
	s_cbranch_execnz .LBB241_3402
.LBB241_3302:
	s_or_b32 exec_lo, exec_lo, s7
	s_and_saveexec_b32 s7, vcc_lo
	s_cbranch_execnz .LBB241_3403
.LBB241_3303:
	s_or_b32 exec_lo, exec_lo, s7
	s_and_saveexec_b32 s7, vcc_lo
	s_cbranch_execnz .LBB241_3404
.LBB241_3304:
	s_or_b32 exec_lo, exec_lo, s7
	s_and_saveexec_b32 s7, vcc_lo
	s_cbranch_execnz .LBB241_3405
.LBB241_3305:
	s_or_b32 exec_lo, exec_lo, s7
	s_and_saveexec_b32 s7, vcc_lo
	s_cbranch_execnz .LBB241_3406
.LBB241_3306:
	s_or_b32 exec_lo, exec_lo, s7
	s_and_saveexec_b32 s7, vcc_lo
	s_cbranch_execnz .LBB241_3407
.LBB241_3307:
	s_or_b32 exec_lo, exec_lo, s7
	s_and_saveexec_b32 s7, vcc_lo
	s_cbranch_execnz .LBB241_3408
.LBB241_3308:
	s_or_b32 exec_lo, exec_lo, s7
	s_and_saveexec_b32 s7, vcc_lo
	s_cbranch_execnz .LBB241_3409
.LBB241_3309:
	s_or_b32 exec_lo, exec_lo, s7
	s_and_saveexec_b32 s7, vcc_lo
	s_cbranch_execnz .LBB241_3410
.LBB241_3310:
	s_or_b32 exec_lo, exec_lo, s7
	s_and_saveexec_b32 s7, vcc_lo
	s_cbranch_execnz .LBB241_3411
.LBB241_3311:
	s_or_b32 exec_lo, exec_lo, s7
	s_and_saveexec_b32 s7, vcc_lo
	s_cbranch_execnz .LBB241_3412
.LBB241_3312:
	s_or_b32 exec_lo, exec_lo, s7
	s_and_saveexec_b32 s7, vcc_lo
	s_cbranch_execz .LBB241_3314
.LBB241_3313:
	ds_read_b32 v64, v64 offset:752
	s_waitcnt lgkmcnt(0)
	v_add_f32_e32 v55, v64, v55
.LBB241_3314:
	s_or_b32 exec_lo, exec_lo, s7
.LBB241_3315:
	s_or_b32 exec_lo, exec_lo, s6
	s_barrier
	buffer_gl0_inv
	s_and_b32 exec_lo, exec_lo, s4
	s_cbranch_execz .LBB241_3318
; %bb.3316:
	s_and_b32 exec_lo, exec_lo, vcc_lo
	s_cbranch_execz .LBB241_3318
; %bb.3317:
	s_clause 0x2
	buffer_load_dword v64, off, s[0:3], s32 offset:2404
	buffer_load_dword v65, off, s[0:3], s32 offset:2400
	;; [unrolled: 1-line block ×3, first 2 shown]
	s_mul_i32 s4, s5, s10
	s_mul_i32 s6, s16, s5
	;; [unrolled: 1-line block ×3, first 2 shown]
	s_ashr_i32 s7, s6, 31
	s_mulk_i32 s4, 0xc0
	s_lshl_b64 s[6:7], s[6:7], 2
	s_ashr_i32 s5, s4, 31
	s_lshl_b64 s[4:5], s[4:5], 2
	s_waitcnt vmcnt(2)
	v_add_co_u32 v64, vcc_lo, v64, s4
	s_waitcnt vmcnt(1)
	v_add_co_ci_u32_e64 v65, null, s5, v65, vcc_lo
	s_mul_i32 s4, s14, 0xc0
	s_waitcnt vmcnt(0)
	v_lshrrev_b32_e32 v66, 1, v66
	v_add_co_u32 v64, vcc_lo, v64, s6
	s_ashr_i32 s5, s4, 31
	v_add_co_ci_u32_e64 v65, null, s7, v65, vcc_lo
	s_lshl_b64 s[4:5], s[4:5], 2
	v_and_b32_e32 v66, 0x1fc, v66
	v_add_co_u32 v64, vcc_lo, v64, s4
	v_add_co_ci_u32_e64 v65, null, s5, v65, vcc_lo
	v_add_co_u32 v64, vcc_lo, v64, v66
	v_add_co_ci_u32_e64 v65, null, 0, v65, vcc_lo
	flat_store_dword v[64:65], v0
	flat_store_dword v[64:65], v1 offset:16
	flat_store_dword v[64:65], v2 offset:32
	;; [unrolled: 1-line block ×47, first 2 shown]
.LBB241_3318:
	s_or_b32 exec_lo, exec_lo, s11
	s_clause 0x2f
	buffer_load_dword v127, off, s[0:3], s32 offset:8
	buffer_load_dword v126, off, s[0:3], s32 offset:12
	;; [unrolled: 1-line block ×48, first 2 shown]
	s_waitcnt vmcnt(0) lgkmcnt(0)
	s_setpc_b64 s[30:31]
.LBB241_3319:
	ds_read_b32 v66, v64
	s_waitcnt lgkmcnt(0)
	v_add_f32_e32 v0, v66, v0
	s_or_b32 exec_lo, exec_lo, s4
	s_and_saveexec_b32 s4, vcc_lo
	s_cbranch_execz .LBB241_3214
.LBB241_3320:
	ds_read_b32 v66, v64 offset:16
	s_waitcnt lgkmcnt(0)
	v_add_f32_e32 v1, v66, v1
	s_or_b32 exec_lo, exec_lo, s4
	s_and_saveexec_b32 s4, vcc_lo
	s_cbranch_execz .LBB241_3215
.LBB241_3321:
	ds_read_b32 v66, v64 offset:32
	s_waitcnt lgkmcnt(0)
	v_add_f32_e32 v2, v66, v2
	s_or_b32 exec_lo, exec_lo, s4
	s_and_saveexec_b32 s4, vcc_lo
	s_cbranch_execz .LBB241_3216
.LBB241_3322:
	ds_read_b32 v66, v64 offset:48
	s_waitcnt lgkmcnt(0)
	v_add_f32_e32 v3, v66, v3
	s_or_b32 exec_lo, exec_lo, s4
	s_and_saveexec_b32 s4, vcc_lo
	s_cbranch_execz .LBB241_3217
.LBB241_3323:
	ds_read_b32 v66, v64 offset:64
	s_waitcnt lgkmcnt(0)
	v_add_f32_e32 v4, v66, v4
	s_or_b32 exec_lo, exec_lo, s4
	s_and_saveexec_b32 s4, vcc_lo
	s_cbranch_execz .LBB241_3218
.LBB241_3324:
	ds_read_b32 v66, v64 offset:80
	s_waitcnt lgkmcnt(0)
	v_add_f32_e32 v5, v66, v5
	s_or_b32 exec_lo, exec_lo, s4
	s_and_saveexec_b32 s4, vcc_lo
	s_cbranch_execz .LBB241_3219
.LBB241_3325:
	ds_read_b32 v66, v64 offset:96
	s_waitcnt lgkmcnt(0)
	v_add_f32_e32 v7, v66, v7
	s_or_b32 exec_lo, exec_lo, s4
	s_and_saveexec_b32 s4, vcc_lo
	s_cbranch_execz .LBB241_3220
.LBB241_3326:
	ds_read_b32 v66, v64 offset:112
	s_waitcnt lgkmcnt(0)
	v_add_f32_e32 v8, v66, v8
	s_or_b32 exec_lo, exec_lo, s4
	s_and_saveexec_b32 s4, vcc_lo
	s_cbranch_execz .LBB241_3221
.LBB241_3327:
	ds_read_b32 v66, v64 offset:128
	s_waitcnt lgkmcnt(0)
	v_add_f32_e32 v9, v66, v9
	s_or_b32 exec_lo, exec_lo, s4
	s_and_saveexec_b32 s4, vcc_lo
	s_cbranch_execz .LBB241_3222
.LBB241_3328:
	ds_read_b32 v66, v64 offset:144
	s_waitcnt lgkmcnt(0)
	v_add_f32_e32 v10, v66, v10
	s_or_b32 exec_lo, exec_lo, s4
	s_and_saveexec_b32 s4, vcc_lo
	s_cbranch_execz .LBB241_3223
.LBB241_3329:
	ds_read_b32 v66, v64 offset:160
	s_waitcnt lgkmcnt(0)
	v_add_f32_e32 v11, v66, v11
	s_or_b32 exec_lo, exec_lo, s4
	s_and_saveexec_b32 s4, vcc_lo
	s_cbranch_execz .LBB241_3224
.LBB241_3330:
	ds_read_b32 v66, v64 offset:176
	s_waitcnt lgkmcnt(0)
	v_add_f32_e32 v12, v66, v12
	s_or_b32 exec_lo, exec_lo, s4
	s_and_saveexec_b32 s4, vcc_lo
	s_cbranch_execz .LBB241_3225
.LBB241_3331:
	ds_read_b32 v66, v64 offset:192
	s_waitcnt lgkmcnt(0)
	v_add_f32_e32 v13, v66, v13
	s_or_b32 exec_lo, exec_lo, s4
	s_and_saveexec_b32 s4, vcc_lo
	s_cbranch_execz .LBB241_3226
.LBB241_3332:
	ds_read_b32 v66, v64 offset:208
	s_waitcnt lgkmcnt(0)
	v_add_f32_e32 v14, v66, v14
	s_or_b32 exec_lo, exec_lo, s4
	s_and_saveexec_b32 s4, vcc_lo
	s_cbranch_execz .LBB241_3227
.LBB241_3333:
	ds_read_b32 v66, v64 offset:224
	s_waitcnt lgkmcnt(0)
	v_add_f32_e32 v15, v66, v15
	s_or_b32 exec_lo, exec_lo, s4
	s_and_saveexec_b32 s4, vcc_lo
	s_cbranch_execz .LBB241_3228
.LBB241_3334:
	ds_read_b32 v66, v64 offset:240
	s_waitcnt lgkmcnt(0)
	v_add_f32_e32 v16, v66, v16
	s_or_b32 exec_lo, exec_lo, s4
	s_and_saveexec_b32 s4, vcc_lo
	s_cbranch_execz .LBB241_3229
.LBB241_3335:
	ds_read_b32 v66, v64 offset:256
	s_waitcnt lgkmcnt(0)
	v_add_f32_e32 v17, v66, v17
	s_or_b32 exec_lo, exec_lo, s4
	s_and_saveexec_b32 s4, vcc_lo
	s_cbranch_execz .LBB241_3230
.LBB241_3336:
	ds_read_b32 v66, v64 offset:272
	s_waitcnt lgkmcnt(0)
	v_add_f32_e32 v18, v66, v18
	s_or_b32 exec_lo, exec_lo, s4
	s_and_saveexec_b32 s4, vcc_lo
	s_cbranch_execz .LBB241_3231
.LBB241_3337:
	ds_read_b32 v66, v64 offset:288
	s_waitcnt lgkmcnt(0)
	v_add_f32_e32 v19, v66, v19
	s_or_b32 exec_lo, exec_lo, s4
	s_and_saveexec_b32 s4, vcc_lo
	s_cbranch_execz .LBB241_3232
.LBB241_3338:
	ds_read_b32 v66, v64 offset:304
	s_waitcnt lgkmcnt(0)
	v_add_f32_e32 v20, v66, v20
	s_or_b32 exec_lo, exec_lo, s4
	s_and_saveexec_b32 s4, vcc_lo
	s_cbranch_execz .LBB241_3233
.LBB241_3339:
	ds_read_b32 v66, v64 offset:320
	s_waitcnt lgkmcnt(0)
	v_add_f32_e32 v21, v66, v21
	s_or_b32 exec_lo, exec_lo, s4
	s_and_saveexec_b32 s4, vcc_lo
	s_cbranch_execz .LBB241_3234
.LBB241_3340:
	ds_read_b32 v66, v64 offset:336
	s_waitcnt lgkmcnt(0)
	v_add_f32_e32 v22, v66, v22
	s_or_b32 exec_lo, exec_lo, s4
	s_and_saveexec_b32 s4, vcc_lo
	s_cbranch_execz .LBB241_3235
.LBB241_3341:
	ds_read_b32 v66, v64 offset:352
	s_waitcnt lgkmcnt(0)
	v_add_f32_e32 v23, v66, v23
	s_or_b32 exec_lo, exec_lo, s4
	s_and_saveexec_b32 s4, vcc_lo
	s_cbranch_execz .LBB241_3236
.LBB241_3342:
	ds_read_b32 v66, v64 offset:368
	s_waitcnt lgkmcnt(0)
	v_add_f32_e32 v24, v66, v24
	s_or_b32 exec_lo, exec_lo, s4
	s_and_saveexec_b32 s4, vcc_lo
	s_cbranch_execz .LBB241_3237
.LBB241_3343:
	ds_read_b32 v66, v64 offset:384
	s_waitcnt lgkmcnt(0)
	v_add_f32_e32 v25, v66, v25
	s_or_b32 exec_lo, exec_lo, s4
	s_and_saveexec_b32 s4, vcc_lo
	s_cbranch_execz .LBB241_3238
.LBB241_3344:
	ds_read_b32 v66, v64 offset:400
	s_waitcnt lgkmcnt(0)
	v_add_f32_e32 v26, v66, v26
	s_or_b32 exec_lo, exec_lo, s4
	s_and_saveexec_b32 s4, vcc_lo
	s_cbranch_execz .LBB241_3239
.LBB241_3345:
	ds_read_b32 v66, v64 offset:416
	s_waitcnt lgkmcnt(0)
	v_add_f32_e32 v29, v66, v29
	s_or_b32 exec_lo, exec_lo, s4
	s_and_saveexec_b32 s4, vcc_lo
	s_cbranch_execz .LBB241_3240
.LBB241_3346:
	ds_read_b32 v66, v64 offset:432
	s_waitcnt lgkmcnt(0)
	v_add_f32_e32 v30, v66, v30
	s_or_b32 exec_lo, exec_lo, s4
	s_and_saveexec_b32 s4, vcc_lo
	s_cbranch_execz .LBB241_3241
.LBB241_3347:
	ds_read_b32 v66, v64 offset:448
	s_waitcnt lgkmcnt(0)
	v_add_f32_e32 v31, v66, v31
	s_or_b32 exec_lo, exec_lo, s4
	s_and_saveexec_b32 s4, vcc_lo
	s_cbranch_execz .LBB241_3242
.LBB241_3348:
	ds_read_b32 v66, v64 offset:464
	s_waitcnt lgkmcnt(0)
	v_add_f32_e32 v32, v66, v32
	s_or_b32 exec_lo, exec_lo, s4
	s_and_saveexec_b32 s4, vcc_lo
	s_cbranch_execz .LBB241_3243
.LBB241_3349:
	ds_read_b32 v66, v64 offset:480
	s_waitcnt lgkmcnt(0)
	v_add_f32_e32 v33, v66, v33
	s_or_b32 exec_lo, exec_lo, s4
	s_and_saveexec_b32 s4, vcc_lo
	s_cbranch_execz .LBB241_3244
.LBB241_3350:
	ds_read_b32 v66, v64 offset:496
	s_waitcnt lgkmcnt(0)
	v_add_f32_e32 v34, v66, v34
	s_or_b32 exec_lo, exec_lo, s4
	s_and_saveexec_b32 s4, vcc_lo
	s_cbranch_execz .LBB241_3245
.LBB241_3351:
	ds_read_b32 v66, v64 offset:512
	s_waitcnt lgkmcnt(0)
	v_add_f32_e32 v27, v66, v27
	s_or_b32 exec_lo, exec_lo, s4
	s_and_saveexec_b32 s4, vcc_lo
	s_cbranch_execz .LBB241_3246
.LBB241_3352:
	ds_read_b32 v66, v64 offset:528
	s_waitcnt lgkmcnt(0)
	v_add_f32_e32 v6, v66, v6
	s_or_b32 exec_lo, exec_lo, s4
	s_and_saveexec_b32 s4, vcc_lo
	s_cbranch_execz .LBB241_3247
.LBB241_3353:
	ds_read_b32 v66, v64 offset:544
	s_waitcnt lgkmcnt(0)
	v_add_f32_e32 v28, v66, v28
	s_or_b32 exec_lo, exec_lo, s4
	s_and_saveexec_b32 s4, vcc_lo
	s_cbranch_execz .LBB241_3248
.LBB241_3354:
	ds_read_b32 v66, v64 offset:560
	s_waitcnt lgkmcnt(0)
	v_add_f32_e32 v35, v66, v35
	s_or_b32 exec_lo, exec_lo, s4
	s_and_saveexec_b32 s4, vcc_lo
	s_cbranch_execz .LBB241_3249
.LBB241_3355:
	ds_read_b32 v66, v64 offset:576
	s_waitcnt lgkmcnt(0)
	v_add_f32_e32 v36, v66, v36
	s_or_b32 exec_lo, exec_lo, s4
	s_and_saveexec_b32 s4, vcc_lo
	s_cbranch_execz .LBB241_3250
.LBB241_3356:
	ds_read_b32 v66, v64 offset:592
	s_waitcnt lgkmcnt(0)
	v_add_f32_e32 v37, v66, v37
	s_or_b32 exec_lo, exec_lo, s4
	s_and_saveexec_b32 s4, vcc_lo
	s_cbranch_execz .LBB241_3251
.LBB241_3357:
	ds_read_b32 v66, v64 offset:608
	s_waitcnt lgkmcnt(0)
	v_add_f32_e32 v38, v66, v38
	s_or_b32 exec_lo, exec_lo, s4
	s_and_saveexec_b32 s4, vcc_lo
	s_cbranch_execz .LBB241_3252
.LBB241_3358:
	ds_read_b32 v66, v64 offset:624
	s_waitcnt lgkmcnt(0)
	v_add_f32_e32 v39, v66, v39
	s_or_b32 exec_lo, exec_lo, s4
	s_and_saveexec_b32 s4, vcc_lo
	s_cbranch_execz .LBB241_3253
.LBB241_3359:
	ds_read_b32 v66, v64 offset:640
	s_waitcnt lgkmcnt(0)
	v_add_f32_e32 v48, v66, v48
	s_or_b32 exec_lo, exec_lo, s4
	s_and_saveexec_b32 s4, vcc_lo
	s_cbranch_execz .LBB241_3254
.LBB241_3360:
	ds_read_b32 v66, v64 offset:656
	s_waitcnt lgkmcnt(0)
	v_add_f32_e32 v49, v66, v49
	s_or_b32 exec_lo, exec_lo, s4
	s_and_saveexec_b32 s4, vcc_lo
	s_cbranch_execz .LBB241_3255
.LBB241_3361:
	ds_read_b32 v66, v64 offset:672
	s_waitcnt lgkmcnt(0)
	v_add_f32_e32 v50, v66, v50
	s_or_b32 exec_lo, exec_lo, s4
	s_and_saveexec_b32 s4, vcc_lo
	s_cbranch_execz .LBB241_3256
.LBB241_3362:
	ds_read_b32 v66, v64 offset:688
	s_waitcnt lgkmcnt(0)
	v_add_f32_e32 v51, v66, v51
	s_or_b32 exec_lo, exec_lo, s4
	s_and_saveexec_b32 s4, vcc_lo
	s_cbranch_execz .LBB241_3257
.LBB241_3363:
	ds_read_b32 v66, v64 offset:704
	s_waitcnt lgkmcnt(0)
	v_add_f32_e32 v52, v66, v52
	s_or_b32 exec_lo, exec_lo, s4
	s_and_saveexec_b32 s4, vcc_lo
	s_cbranch_execz .LBB241_3258
.LBB241_3364:
	ds_read_b32 v66, v64 offset:720
	s_waitcnt lgkmcnt(0)
	v_add_f32_e32 v53, v66, v53
	s_or_b32 exec_lo, exec_lo, s4
	s_and_saveexec_b32 s4, vcc_lo
	s_cbranch_execz .LBB241_3259
.LBB241_3365:
	ds_read_b32 v66, v64 offset:736
	s_waitcnt lgkmcnt(0)
	v_add_f32_e32 v54, v66, v54
	s_or_b32 exec_lo, exec_lo, s4
	s_and_saveexec_b32 s4, vcc_lo
	s_cbranch_execnz .LBB241_3260
	s_branch .LBB241_3261
.LBB241_3366:
	ds_read_b32 v65, v64
	s_waitcnt lgkmcnt(0)
	v_add_f32_e32 v0, v65, v0
	s_or_b32 exec_lo, exec_lo, s7
	s_and_saveexec_b32 s7, vcc_lo
	s_cbranch_execz .LBB241_3267
.LBB241_3367:
	ds_read_b32 v65, v64 offset:16
	s_waitcnt lgkmcnt(0)
	v_add_f32_e32 v1, v65, v1
	s_or_b32 exec_lo, exec_lo, s7
	s_and_saveexec_b32 s7, vcc_lo
	s_cbranch_execz .LBB241_3268
.LBB241_3368:
	ds_read_b32 v65, v64 offset:32
	s_waitcnt lgkmcnt(0)
	v_add_f32_e32 v2, v65, v2
	s_or_b32 exec_lo, exec_lo, s7
	s_and_saveexec_b32 s7, vcc_lo
	s_cbranch_execz .LBB241_3269
.LBB241_3369:
	ds_read_b32 v65, v64 offset:48
	s_waitcnt lgkmcnt(0)
	v_add_f32_e32 v3, v65, v3
	s_or_b32 exec_lo, exec_lo, s7
	s_and_saveexec_b32 s7, vcc_lo
	s_cbranch_execz .LBB241_3270
.LBB241_3370:
	ds_read_b32 v65, v64 offset:64
	s_waitcnt lgkmcnt(0)
	v_add_f32_e32 v4, v65, v4
	s_or_b32 exec_lo, exec_lo, s7
	s_and_saveexec_b32 s7, vcc_lo
	s_cbranch_execz .LBB241_3271
.LBB241_3371:
	ds_read_b32 v65, v64 offset:80
	s_waitcnt lgkmcnt(0)
	v_add_f32_e32 v5, v65, v5
	s_or_b32 exec_lo, exec_lo, s7
	s_and_saveexec_b32 s7, vcc_lo
	s_cbranch_execz .LBB241_3272
.LBB241_3372:
	ds_read_b32 v65, v64 offset:96
	s_waitcnt lgkmcnt(0)
	v_add_f32_e32 v7, v65, v7
	s_or_b32 exec_lo, exec_lo, s7
	s_and_saveexec_b32 s7, vcc_lo
	s_cbranch_execz .LBB241_3273
.LBB241_3373:
	ds_read_b32 v65, v64 offset:112
	s_waitcnt lgkmcnt(0)
	v_add_f32_e32 v8, v65, v8
	s_or_b32 exec_lo, exec_lo, s7
	s_and_saveexec_b32 s7, vcc_lo
	s_cbranch_execz .LBB241_3274
.LBB241_3374:
	ds_read_b32 v65, v64 offset:128
	s_waitcnt lgkmcnt(0)
	v_add_f32_e32 v9, v65, v9
	s_or_b32 exec_lo, exec_lo, s7
	s_and_saveexec_b32 s7, vcc_lo
	s_cbranch_execz .LBB241_3275
.LBB241_3375:
	ds_read_b32 v65, v64 offset:144
	s_waitcnt lgkmcnt(0)
	v_add_f32_e32 v10, v65, v10
	s_or_b32 exec_lo, exec_lo, s7
	s_and_saveexec_b32 s7, vcc_lo
	s_cbranch_execz .LBB241_3276
.LBB241_3376:
	ds_read_b32 v65, v64 offset:160
	s_waitcnt lgkmcnt(0)
	v_add_f32_e32 v11, v65, v11
	s_or_b32 exec_lo, exec_lo, s7
	s_and_saveexec_b32 s7, vcc_lo
	s_cbranch_execz .LBB241_3277
.LBB241_3377:
	ds_read_b32 v65, v64 offset:176
	s_waitcnt lgkmcnt(0)
	v_add_f32_e32 v12, v65, v12
	s_or_b32 exec_lo, exec_lo, s7
	s_and_saveexec_b32 s7, vcc_lo
	s_cbranch_execz .LBB241_3278
.LBB241_3378:
	ds_read_b32 v65, v64 offset:192
	s_waitcnt lgkmcnt(0)
	v_add_f32_e32 v13, v65, v13
	s_or_b32 exec_lo, exec_lo, s7
	s_and_saveexec_b32 s7, vcc_lo
	s_cbranch_execz .LBB241_3279
.LBB241_3379:
	ds_read_b32 v65, v64 offset:208
	s_waitcnt lgkmcnt(0)
	v_add_f32_e32 v14, v65, v14
	s_or_b32 exec_lo, exec_lo, s7
	s_and_saveexec_b32 s7, vcc_lo
	s_cbranch_execz .LBB241_3280
.LBB241_3380:
	ds_read_b32 v65, v64 offset:224
	s_waitcnt lgkmcnt(0)
	v_add_f32_e32 v15, v65, v15
	s_or_b32 exec_lo, exec_lo, s7
	s_and_saveexec_b32 s7, vcc_lo
	s_cbranch_execz .LBB241_3281
.LBB241_3381:
	ds_read_b32 v65, v64 offset:240
	s_waitcnt lgkmcnt(0)
	v_add_f32_e32 v16, v65, v16
	s_or_b32 exec_lo, exec_lo, s7
	s_and_saveexec_b32 s7, vcc_lo
	s_cbranch_execz .LBB241_3282
.LBB241_3382:
	ds_read_b32 v65, v64 offset:256
	s_waitcnt lgkmcnt(0)
	v_add_f32_e32 v17, v65, v17
	s_or_b32 exec_lo, exec_lo, s7
	s_and_saveexec_b32 s7, vcc_lo
	s_cbranch_execz .LBB241_3283
.LBB241_3383:
	ds_read_b32 v65, v64 offset:272
	s_waitcnt lgkmcnt(0)
	v_add_f32_e32 v18, v65, v18
	s_or_b32 exec_lo, exec_lo, s7
	s_and_saveexec_b32 s7, vcc_lo
	s_cbranch_execz .LBB241_3284
.LBB241_3384:
	ds_read_b32 v65, v64 offset:288
	s_waitcnt lgkmcnt(0)
	v_add_f32_e32 v19, v65, v19
	s_or_b32 exec_lo, exec_lo, s7
	s_and_saveexec_b32 s7, vcc_lo
	s_cbranch_execz .LBB241_3285
.LBB241_3385:
	ds_read_b32 v65, v64 offset:304
	s_waitcnt lgkmcnt(0)
	v_add_f32_e32 v20, v65, v20
	s_or_b32 exec_lo, exec_lo, s7
	s_and_saveexec_b32 s7, vcc_lo
	s_cbranch_execz .LBB241_3286
.LBB241_3386:
	ds_read_b32 v65, v64 offset:320
	s_waitcnt lgkmcnt(0)
	v_add_f32_e32 v21, v65, v21
	s_or_b32 exec_lo, exec_lo, s7
	s_and_saveexec_b32 s7, vcc_lo
	s_cbranch_execz .LBB241_3287
.LBB241_3387:
	ds_read_b32 v65, v64 offset:336
	s_waitcnt lgkmcnt(0)
	v_add_f32_e32 v22, v65, v22
	s_or_b32 exec_lo, exec_lo, s7
	s_and_saveexec_b32 s7, vcc_lo
	s_cbranch_execz .LBB241_3288
.LBB241_3388:
	ds_read_b32 v65, v64 offset:352
	s_waitcnt lgkmcnt(0)
	v_add_f32_e32 v23, v65, v23
	s_or_b32 exec_lo, exec_lo, s7
	s_and_saveexec_b32 s7, vcc_lo
	s_cbranch_execz .LBB241_3289
.LBB241_3389:
	ds_read_b32 v65, v64 offset:368
	s_waitcnt lgkmcnt(0)
	v_add_f32_e32 v24, v65, v24
	s_or_b32 exec_lo, exec_lo, s7
	s_and_saveexec_b32 s7, vcc_lo
	s_cbranch_execz .LBB241_3290
.LBB241_3390:
	ds_read_b32 v65, v64 offset:384
	s_waitcnt lgkmcnt(0)
	v_add_f32_e32 v25, v65, v25
	s_or_b32 exec_lo, exec_lo, s7
	s_and_saveexec_b32 s7, vcc_lo
	s_cbranch_execz .LBB241_3291
.LBB241_3391:
	ds_read_b32 v65, v64 offset:400
	s_waitcnt lgkmcnt(0)
	v_add_f32_e32 v26, v65, v26
	s_or_b32 exec_lo, exec_lo, s7
	s_and_saveexec_b32 s7, vcc_lo
	s_cbranch_execz .LBB241_3292
.LBB241_3392:
	ds_read_b32 v65, v64 offset:416
	s_waitcnt lgkmcnt(0)
	v_add_f32_e32 v29, v65, v29
	s_or_b32 exec_lo, exec_lo, s7
	s_and_saveexec_b32 s7, vcc_lo
	s_cbranch_execz .LBB241_3293
.LBB241_3393:
	ds_read_b32 v65, v64 offset:432
	s_waitcnt lgkmcnt(0)
	v_add_f32_e32 v30, v65, v30
	s_or_b32 exec_lo, exec_lo, s7
	s_and_saveexec_b32 s7, vcc_lo
	s_cbranch_execz .LBB241_3294
.LBB241_3394:
	ds_read_b32 v65, v64 offset:448
	s_waitcnt lgkmcnt(0)
	v_add_f32_e32 v31, v65, v31
	s_or_b32 exec_lo, exec_lo, s7
	s_and_saveexec_b32 s7, vcc_lo
	s_cbranch_execz .LBB241_3295
.LBB241_3395:
	ds_read_b32 v65, v64 offset:464
	s_waitcnt lgkmcnt(0)
	v_add_f32_e32 v32, v65, v32
	s_or_b32 exec_lo, exec_lo, s7
	s_and_saveexec_b32 s7, vcc_lo
	s_cbranch_execz .LBB241_3296
.LBB241_3396:
	ds_read_b32 v65, v64 offset:480
	s_waitcnt lgkmcnt(0)
	v_add_f32_e32 v33, v65, v33
	s_or_b32 exec_lo, exec_lo, s7
	s_and_saveexec_b32 s7, vcc_lo
	s_cbranch_execz .LBB241_3297
.LBB241_3397:
	ds_read_b32 v65, v64 offset:496
	s_waitcnt lgkmcnt(0)
	v_add_f32_e32 v34, v65, v34
	s_or_b32 exec_lo, exec_lo, s7
	s_and_saveexec_b32 s7, vcc_lo
	s_cbranch_execz .LBB241_3298
.LBB241_3398:
	ds_read_b32 v65, v64 offset:512
	s_waitcnt lgkmcnt(0)
	v_add_f32_e32 v27, v65, v27
	s_or_b32 exec_lo, exec_lo, s7
	s_and_saveexec_b32 s7, vcc_lo
	s_cbranch_execz .LBB241_3299
.LBB241_3399:
	ds_read_b32 v65, v64 offset:528
	s_waitcnt lgkmcnt(0)
	v_add_f32_e32 v6, v65, v6
	s_or_b32 exec_lo, exec_lo, s7
	s_and_saveexec_b32 s7, vcc_lo
	s_cbranch_execz .LBB241_3300
.LBB241_3400:
	ds_read_b32 v65, v64 offset:544
	s_waitcnt lgkmcnt(0)
	v_add_f32_e32 v28, v65, v28
	s_or_b32 exec_lo, exec_lo, s7
	s_and_saveexec_b32 s7, vcc_lo
	s_cbranch_execz .LBB241_3301
.LBB241_3401:
	ds_read_b32 v65, v64 offset:560
	s_waitcnt lgkmcnt(0)
	v_add_f32_e32 v35, v65, v35
	s_or_b32 exec_lo, exec_lo, s7
	s_and_saveexec_b32 s7, vcc_lo
	s_cbranch_execz .LBB241_3302
.LBB241_3402:
	ds_read_b32 v65, v64 offset:576
	s_waitcnt lgkmcnt(0)
	v_add_f32_e32 v36, v65, v36
	s_or_b32 exec_lo, exec_lo, s7
	s_and_saveexec_b32 s7, vcc_lo
	s_cbranch_execz .LBB241_3303
.LBB241_3403:
	ds_read_b32 v65, v64 offset:592
	s_waitcnt lgkmcnt(0)
	v_add_f32_e32 v37, v65, v37
	s_or_b32 exec_lo, exec_lo, s7
	s_and_saveexec_b32 s7, vcc_lo
	s_cbranch_execz .LBB241_3304
.LBB241_3404:
	ds_read_b32 v65, v64 offset:608
	s_waitcnt lgkmcnt(0)
	v_add_f32_e32 v38, v65, v38
	s_or_b32 exec_lo, exec_lo, s7
	s_and_saveexec_b32 s7, vcc_lo
	s_cbranch_execz .LBB241_3305
.LBB241_3405:
	ds_read_b32 v65, v64 offset:624
	s_waitcnt lgkmcnt(0)
	v_add_f32_e32 v39, v65, v39
	s_or_b32 exec_lo, exec_lo, s7
	s_and_saveexec_b32 s7, vcc_lo
	s_cbranch_execz .LBB241_3306
.LBB241_3406:
	ds_read_b32 v65, v64 offset:640
	s_waitcnt lgkmcnt(0)
	v_add_f32_e32 v48, v65, v48
	s_or_b32 exec_lo, exec_lo, s7
	s_and_saveexec_b32 s7, vcc_lo
	s_cbranch_execz .LBB241_3307
.LBB241_3407:
	ds_read_b32 v65, v64 offset:656
	s_waitcnt lgkmcnt(0)
	v_add_f32_e32 v49, v65, v49
	s_or_b32 exec_lo, exec_lo, s7
	s_and_saveexec_b32 s7, vcc_lo
	s_cbranch_execz .LBB241_3308
.LBB241_3408:
	ds_read_b32 v65, v64 offset:672
	s_waitcnt lgkmcnt(0)
	v_add_f32_e32 v50, v65, v50
	s_or_b32 exec_lo, exec_lo, s7
	s_and_saveexec_b32 s7, vcc_lo
	s_cbranch_execz .LBB241_3309
.LBB241_3409:
	ds_read_b32 v65, v64 offset:688
	s_waitcnt lgkmcnt(0)
	v_add_f32_e32 v51, v65, v51
	s_or_b32 exec_lo, exec_lo, s7
	s_and_saveexec_b32 s7, vcc_lo
	s_cbranch_execz .LBB241_3310
.LBB241_3410:
	ds_read_b32 v65, v64 offset:704
	s_waitcnt lgkmcnt(0)
	v_add_f32_e32 v52, v65, v52
	s_or_b32 exec_lo, exec_lo, s7
	s_and_saveexec_b32 s7, vcc_lo
	s_cbranch_execz .LBB241_3311
.LBB241_3411:
	ds_read_b32 v65, v64 offset:720
	s_waitcnt lgkmcnt(0)
	v_add_f32_e32 v53, v65, v53
	s_or_b32 exec_lo, exec_lo, s7
	s_and_saveexec_b32 s7, vcc_lo
	s_cbranch_execz .LBB241_3312
.LBB241_3412:
	ds_read_b32 v65, v64 offset:736
	s_waitcnt lgkmcnt(0)
	v_add_f32_e32 v54, v65, v54
	s_or_b32 exec_lo, exec_lo, s7
	s_and_saveexec_b32 s7, vcc_lo
	s_cbranch_execnz .LBB241_3313
	s_branch .LBB241_3314
.Lfunc_end241:
	.size	_ZN4vllm22paged_attention_kernelIfhLi192ELi32ELi128ELNS_18Fp8KVCacheDataTypeE1ELb1ELi512EEEvPfS2_PT_PKS3_PKT0_S9_ifPKiSB_iPKfiiiSD_SD_iiiii, .Lfunc_end241-_ZN4vllm22paged_attention_kernelIfhLi192ELi32ELi128ELNS_18Fp8KVCacheDataTypeE1ELb1ELi512EEEvPfS2_PT_PKS3_PKT0_S9_ifPKiSB_iPKfiiiSD_SD_iiiii
                                        ; -- End function
	.set .L_ZN4vllm22paged_attention_kernelIfhLi192ELi32ELi128ELNS_18Fp8KVCacheDataTypeE1ELb1ELi512EEEvPfS2_PT_PKS3_PKT0_S9_ifPKiSB_iPKfiiiSD_SD_iiiii.num_vgpr, 128
	.set .L_ZN4vllm22paged_attention_kernelIfhLi192ELi32ELi128ELNS_18Fp8KVCacheDataTypeE1ELb1ELi512EEEvPfS2_PT_PKS3_PKT0_S9_ifPKiSB_iPKfiiiSD_SD_iiiii.num_agpr, 0
	.set .L_ZN4vllm22paged_attention_kernelIfhLi192ELi32ELi128ELNS_18Fp8KVCacheDataTypeE1ELb1ELi512EEEvPfS2_PT_PKS3_PKT0_S9_ifPKiSB_iPKfiiiSD_SD_iiiii.numbered_sgpr, 33
	.set .L_ZN4vllm22paged_attention_kernelIfhLi192ELi32ELi128ELNS_18Fp8KVCacheDataTypeE1ELb1ELi512EEEvPfS2_PT_PKS3_PKT0_S9_ifPKiSB_iPKfiiiSD_SD_iiiii.num_named_barrier, 0
	.set .L_ZN4vllm22paged_attention_kernelIfhLi192ELi32ELi128ELNS_18Fp8KVCacheDataTypeE1ELb1ELi512EEEvPfS2_PT_PKS3_PKT0_S9_ifPKiSB_iPKfiiiSD_SD_iiiii.private_seg_size, 2476
	.set .L_ZN4vllm22paged_attention_kernelIfhLi192ELi32ELi128ELNS_18Fp8KVCacheDataTypeE1ELb1ELi512EEEvPfS2_PT_PKS3_PKT0_S9_ifPKiSB_iPKfiiiSD_SD_iiiii.uses_vcc, 1
	.set .L_ZN4vllm22paged_attention_kernelIfhLi192ELi32ELi128ELNS_18Fp8KVCacheDataTypeE1ELb1ELi512EEEvPfS2_PT_PKS3_PKT0_S9_ifPKiSB_iPKfiiiSD_SD_iiiii.uses_flat_scratch, 0
	.set .L_ZN4vllm22paged_attention_kernelIfhLi192ELi32ELi128ELNS_18Fp8KVCacheDataTypeE1ELb1ELi512EEEvPfS2_PT_PKS3_PKT0_S9_ifPKiSB_iPKfiiiSD_SD_iiiii.has_dyn_sized_stack, 0
	.set .L_ZN4vllm22paged_attention_kernelIfhLi192ELi32ELi128ELNS_18Fp8KVCacheDataTypeE1ELb1ELi512EEEvPfS2_PT_PKS3_PKT0_S9_ifPKiSB_iPKfiiiSD_SD_iiiii.has_recursion, 0
	.set .L_ZN4vllm22paged_attention_kernelIfhLi192ELi32ELi128ELNS_18Fp8KVCacheDataTypeE1ELb1ELi512EEEvPfS2_PT_PKS3_PKT0_S9_ifPKiSB_iPKfiiiSD_SD_iiiii.has_indirect_call, 0
	.section	.AMDGPU.csdata,"",@progbits
; Function info:
; codeLenInByte = 129048
; TotalNumSgprs: 35
; NumVgprs: 128
; ScratchSize: 2476
; MemoryBound: 0
	.section	.text._ZN4vllm25paged_attention_v2_kernelIfhLi192ELi32ELi128ELNS_18Fp8KVCacheDataTypeE1ELb1ELi512EEEvPfS2_PT_PKS3_PKT0_S9_ifPKiSB_iPKfiiiSD_SD_iiiii,"axG",@progbits,_ZN4vllm25paged_attention_v2_kernelIfhLi192ELi32ELi128ELNS_18Fp8KVCacheDataTypeE1ELb1ELi512EEEvPfS2_PT_PKS3_PKT0_S9_ifPKiSB_iPKfiiiSD_SD_iiiii,comdat
	.protected	_ZN4vllm25paged_attention_v2_kernelIfhLi192ELi32ELi128ELNS_18Fp8KVCacheDataTypeE1ELb1ELi512EEEvPfS2_PT_PKS3_PKT0_S9_ifPKiSB_iPKfiiiSD_SD_iiiii ; -- Begin function _ZN4vllm25paged_attention_v2_kernelIfhLi192ELi32ELi128ELNS_18Fp8KVCacheDataTypeE1ELb1ELi512EEEvPfS2_PT_PKS3_PKT0_S9_ifPKiSB_iPKfiiiSD_SD_iiiii
	.globl	_ZN4vllm25paged_attention_v2_kernelIfhLi192ELi32ELi128ELNS_18Fp8KVCacheDataTypeE1ELb1ELi512EEEvPfS2_PT_PKS3_PKT0_S9_ifPKiSB_iPKfiiiSD_SD_iiiii
	.p2align	8
	.type	_ZN4vllm25paged_attention_v2_kernelIfhLi192ELi32ELi128ELNS_18Fp8KVCacheDataTypeE1ELb1ELi512EEEvPfS2_PT_PKS3_PKT0_S9_ifPKiSB_iPKfiiiSD_SD_iiiii,@function
_ZN4vllm25paged_attention_v2_kernelIfhLi192ELi32ELi128ELNS_18Fp8KVCacheDataTypeE1ELb1ELi512EEEvPfS2_PT_PKS3_PKT0_S9_ifPKiSB_iPKfiiiSD_SD_iiiii: ; @_ZN4vllm25paged_attention_v2_kernelIfhLi192ELi32ELi128ELNS_18Fp8KVCacheDataTypeE1ELb1ELi512EEEvPfS2_PT_PKS3_PKT0_S9_ifPKiSB_iPKfiiiSD_SD_iiiii
; %bb.0:
	s_mov_b32 s14, s8
	s_clause 0x7
	s_load_dwordx4 s[36:39], s[4:5], 0x78
	s_load_dword s8, s[4:5], 0x88
	s_load_dwordx8 s[40:47], s[4:5], 0x0
	s_load_dwordx8 s[24:31], s[4:5], 0x20
	s_load_dwordx2 s[10:11], s[4:5], 0x40
	s_load_dwordx2 s[34:35], s[4:5], 0x50
	s_load_dword s13, s[4:5], 0x48
	s_load_dwordx8 s[16:23], s[4:5], 0x58
	s_add_u32 s0, s0, s9
	s_mov_b32 s32, 0
	s_addc_u32 s1, s1, 0
	v_mov_b32_e32 v31, v0
	s_mov_b32 s12, s6
	s_mov_b32 s15, 25
	s_waitcnt lgkmcnt(0)
	v_mov_b32_e32 v1, s39
	v_mov_b32_e32 v2, s8
	;; [unrolled: 1-line block ×4, first 2 shown]
	buffer_store_dword v1, off, s[0:3], s32
	buffer_store_dword v2, off, s[0:3], s32 offset:4
	v_mov_b32_e32 v1, s41
	v_mov_b32_e32 v2, s42
	;; [unrolled: 1-line block ×29, first 2 shown]
	s_add_u32 s8, s4, 0x90
	s_addc_u32 s9, s5, 0
	s_getpc_b64 s[4:5]
	s_add_u32 s4, s4, _ZN4vllm22paged_attention_kernelIfhLi192ELi32ELi128ELNS_18Fp8KVCacheDataTypeE1ELb1ELi512EEEvPfS2_PT_PKS3_PKT0_S9_ifPKiSB_iPKfiiiSD_SD_iiiii@rel32@lo+4
	s_addc_u32 s5, s5, _ZN4vllm22paged_attention_kernelIfhLi192ELi32ELi128ELNS_18Fp8KVCacheDataTypeE1ELb1ELi512EEEvPfS2_PT_PKS3_PKT0_S9_ifPKiSB_iPKfiiiSD_SD_iiiii@rel32@hi+12
	s_mov_b32 s13, s7
	s_swappc_b64 s[30:31], s[4:5]
	s_endpgm
	.section	.rodata,"a",@progbits
	.p2align	6, 0x0
	.amdhsa_kernel _ZN4vllm25paged_attention_v2_kernelIfhLi192ELi32ELi128ELNS_18Fp8KVCacheDataTypeE1ELb1ELi512EEEvPfS2_PT_PKS3_PKT0_S9_ifPKiSB_iPKfiiiSD_SD_iiiii
		.amdhsa_group_segment_fixed_size 800
		.amdhsa_private_segment_fixed_size 2476
		.amdhsa_kernarg_size 400
		.amdhsa_user_sgpr_count 6
		.amdhsa_user_sgpr_private_segment_buffer 1
		.amdhsa_user_sgpr_dispatch_ptr 0
		.amdhsa_user_sgpr_queue_ptr 0
		.amdhsa_user_sgpr_kernarg_segment_ptr 1
		.amdhsa_user_sgpr_dispatch_id 0
		.amdhsa_user_sgpr_flat_scratch_init 0
		.amdhsa_user_sgpr_private_segment_size 0
		.amdhsa_wavefront_size32 1
		.amdhsa_uses_dynamic_stack 0
		.amdhsa_system_sgpr_private_segment_wavefront_offset 1
		.amdhsa_system_sgpr_workgroup_id_x 1
		.amdhsa_system_sgpr_workgroup_id_y 1
		.amdhsa_system_sgpr_workgroup_id_z 1
		.amdhsa_system_sgpr_workgroup_info 0
		.amdhsa_system_vgpr_workitem_id 0
		.amdhsa_next_free_vgpr 128
		.amdhsa_next_free_sgpr 48
		.amdhsa_reserve_vcc 1
		.amdhsa_reserve_flat_scratch 0
		.amdhsa_float_round_mode_32 0
		.amdhsa_float_round_mode_16_64 0
		.amdhsa_float_denorm_mode_32 3
		.amdhsa_float_denorm_mode_16_64 3
		.amdhsa_dx10_clamp 1
		.amdhsa_ieee_mode 1
		.amdhsa_fp16_overflow 0
		.amdhsa_workgroup_processor_mode 1
		.amdhsa_memory_ordered 1
		.amdhsa_forward_progress 1
		.amdhsa_shared_vgpr_count 0
		.amdhsa_exception_fp_ieee_invalid_op 0
		.amdhsa_exception_fp_denorm_src 0
		.amdhsa_exception_fp_ieee_div_zero 0
		.amdhsa_exception_fp_ieee_overflow 0
		.amdhsa_exception_fp_ieee_underflow 0
		.amdhsa_exception_fp_ieee_inexact 0
		.amdhsa_exception_int_div_zero 0
	.end_amdhsa_kernel
	.section	.text._ZN4vllm25paged_attention_v2_kernelIfhLi192ELi32ELi128ELNS_18Fp8KVCacheDataTypeE1ELb1ELi512EEEvPfS2_PT_PKS3_PKT0_S9_ifPKiSB_iPKfiiiSD_SD_iiiii,"axG",@progbits,_ZN4vllm25paged_attention_v2_kernelIfhLi192ELi32ELi128ELNS_18Fp8KVCacheDataTypeE1ELb1ELi512EEEvPfS2_PT_PKS3_PKT0_S9_ifPKiSB_iPKfiiiSD_SD_iiiii,comdat
.Lfunc_end242:
	.size	_ZN4vllm25paged_attention_v2_kernelIfhLi192ELi32ELi128ELNS_18Fp8KVCacheDataTypeE1ELb1ELi512EEEvPfS2_PT_PKS3_PKT0_S9_ifPKiSB_iPKfiiiSD_SD_iiiii, .Lfunc_end242-_ZN4vllm25paged_attention_v2_kernelIfhLi192ELi32ELi128ELNS_18Fp8KVCacheDataTypeE1ELb1ELi512EEEvPfS2_PT_PKS3_PKT0_S9_ifPKiSB_iPKfiiiSD_SD_iiiii
                                        ; -- End function
	.set _ZN4vllm25paged_attention_v2_kernelIfhLi192ELi32ELi128ELNS_18Fp8KVCacheDataTypeE1ELb1ELi512EEEvPfS2_PT_PKS3_PKT0_S9_ifPKiSB_iPKfiiiSD_SD_iiiii.num_vgpr, max(32, .L_ZN4vllm22paged_attention_kernelIfhLi192ELi32ELi128ELNS_18Fp8KVCacheDataTypeE1ELb1ELi512EEEvPfS2_PT_PKS3_PKT0_S9_ifPKiSB_iPKfiiiSD_SD_iiiii.num_vgpr)
	.set _ZN4vllm25paged_attention_v2_kernelIfhLi192ELi32ELi128ELNS_18Fp8KVCacheDataTypeE1ELb1ELi512EEEvPfS2_PT_PKS3_PKT0_S9_ifPKiSB_iPKfiiiSD_SD_iiiii.num_agpr, max(0, .L_ZN4vllm22paged_attention_kernelIfhLi192ELi32ELi128ELNS_18Fp8KVCacheDataTypeE1ELb1ELi512EEEvPfS2_PT_PKS3_PKT0_S9_ifPKiSB_iPKfiiiSD_SD_iiiii.num_agpr)
	.set _ZN4vllm25paged_attention_v2_kernelIfhLi192ELi32ELi128ELNS_18Fp8KVCacheDataTypeE1ELb1ELi512EEEvPfS2_PT_PKS3_PKT0_S9_ifPKiSB_iPKfiiiSD_SD_iiiii.numbered_sgpr, max(48, .L_ZN4vllm22paged_attention_kernelIfhLi192ELi32ELi128ELNS_18Fp8KVCacheDataTypeE1ELb1ELi512EEEvPfS2_PT_PKS3_PKT0_S9_ifPKiSB_iPKfiiiSD_SD_iiiii.numbered_sgpr)
	.set _ZN4vllm25paged_attention_v2_kernelIfhLi192ELi32ELi128ELNS_18Fp8KVCacheDataTypeE1ELb1ELi512EEEvPfS2_PT_PKS3_PKT0_S9_ifPKiSB_iPKfiiiSD_SD_iiiii.num_named_barrier, max(0, .L_ZN4vllm22paged_attention_kernelIfhLi192ELi32ELi128ELNS_18Fp8KVCacheDataTypeE1ELb1ELi512EEEvPfS2_PT_PKS3_PKT0_S9_ifPKiSB_iPKfiiiSD_SD_iiiii.num_named_barrier)
	.set _ZN4vllm25paged_attention_v2_kernelIfhLi192ELi32ELi128ELNS_18Fp8KVCacheDataTypeE1ELb1ELi512EEEvPfS2_PT_PKS3_PKT0_S9_ifPKiSB_iPKfiiiSD_SD_iiiii.private_seg_size, 0+max(.L_ZN4vllm22paged_attention_kernelIfhLi192ELi32ELi128ELNS_18Fp8KVCacheDataTypeE1ELb1ELi512EEEvPfS2_PT_PKS3_PKT0_S9_ifPKiSB_iPKfiiiSD_SD_iiiii.private_seg_size)
	.set _ZN4vllm25paged_attention_v2_kernelIfhLi192ELi32ELi128ELNS_18Fp8KVCacheDataTypeE1ELb1ELi512EEEvPfS2_PT_PKS3_PKT0_S9_ifPKiSB_iPKfiiiSD_SD_iiiii.uses_vcc, or(1, .L_ZN4vllm22paged_attention_kernelIfhLi192ELi32ELi128ELNS_18Fp8KVCacheDataTypeE1ELb1ELi512EEEvPfS2_PT_PKS3_PKT0_S9_ifPKiSB_iPKfiiiSD_SD_iiiii.uses_vcc)
	.set _ZN4vllm25paged_attention_v2_kernelIfhLi192ELi32ELi128ELNS_18Fp8KVCacheDataTypeE1ELb1ELi512EEEvPfS2_PT_PKS3_PKT0_S9_ifPKiSB_iPKfiiiSD_SD_iiiii.uses_flat_scratch, or(0, .L_ZN4vllm22paged_attention_kernelIfhLi192ELi32ELi128ELNS_18Fp8KVCacheDataTypeE1ELb1ELi512EEEvPfS2_PT_PKS3_PKT0_S9_ifPKiSB_iPKfiiiSD_SD_iiiii.uses_flat_scratch)
	.set _ZN4vllm25paged_attention_v2_kernelIfhLi192ELi32ELi128ELNS_18Fp8KVCacheDataTypeE1ELb1ELi512EEEvPfS2_PT_PKS3_PKT0_S9_ifPKiSB_iPKfiiiSD_SD_iiiii.has_dyn_sized_stack, or(0, .L_ZN4vllm22paged_attention_kernelIfhLi192ELi32ELi128ELNS_18Fp8KVCacheDataTypeE1ELb1ELi512EEEvPfS2_PT_PKS3_PKT0_S9_ifPKiSB_iPKfiiiSD_SD_iiiii.has_dyn_sized_stack)
	.set _ZN4vllm25paged_attention_v2_kernelIfhLi192ELi32ELi128ELNS_18Fp8KVCacheDataTypeE1ELb1ELi512EEEvPfS2_PT_PKS3_PKT0_S9_ifPKiSB_iPKfiiiSD_SD_iiiii.has_recursion, or(0, .L_ZN4vllm22paged_attention_kernelIfhLi192ELi32ELi128ELNS_18Fp8KVCacheDataTypeE1ELb1ELi512EEEvPfS2_PT_PKS3_PKT0_S9_ifPKiSB_iPKfiiiSD_SD_iiiii.has_recursion)
	.set _ZN4vllm25paged_attention_v2_kernelIfhLi192ELi32ELi128ELNS_18Fp8KVCacheDataTypeE1ELb1ELi512EEEvPfS2_PT_PKS3_PKT0_S9_ifPKiSB_iPKfiiiSD_SD_iiiii.has_indirect_call, or(0, .L_ZN4vllm22paged_attention_kernelIfhLi192ELi32ELi128ELNS_18Fp8KVCacheDataTypeE1ELb1ELi512EEEvPfS2_PT_PKS3_PKT0_S9_ifPKiSB_iPKfiiiSD_SD_iiiii.has_indirect_call)
	.section	.AMDGPU.csdata,"",@progbits
; Kernel info:
; codeLenInByte = 292
; TotalNumSgprs: 50
; NumVgprs: 128
; ScratchSize: 2476
; MemoryBound: 0
; FloatMode: 240
; IeeeMode: 1
; LDSByteSize: 800 bytes/workgroup (compile time only)
; SGPRBlocks: 0
; VGPRBlocks: 15
; NumSGPRsForWavesPerEU: 50
; NumVGPRsForWavesPerEU: 128
; Occupancy: 8
; WaveLimiterHint : 1
; COMPUTE_PGM_RSRC2:SCRATCH_EN: 1
; COMPUTE_PGM_RSRC2:USER_SGPR: 6
; COMPUTE_PGM_RSRC2:TRAP_HANDLER: 0
; COMPUTE_PGM_RSRC2:TGID_X_EN: 1
; COMPUTE_PGM_RSRC2:TGID_Y_EN: 1
; COMPUTE_PGM_RSRC2:TGID_Z_EN: 1
; COMPUTE_PGM_RSRC2:TIDIG_COMP_CNT: 0
	.text
	.p2align	2                               ; -- Begin function _ZN4vllm22paged_attention_kernelIfhLi256ELi32ELi128ELNS_18Fp8KVCacheDataTypeE1ELb1ELi512EEEvPfS2_PT_PKS3_PKT0_S9_ifPKiSB_iPKfiiiSD_SD_iiiii
	.type	_ZN4vllm22paged_attention_kernelIfhLi256ELi32ELi128ELNS_18Fp8KVCacheDataTypeE1ELb1ELi512EEEvPfS2_PT_PKS3_PKT0_S9_ifPKiSB_iPKfiiiSD_SD_iiiii,@function
_ZN4vllm22paged_attention_kernelIfhLi256ELi32ELi128ELNS_18Fp8KVCacheDataTypeE1ELb1ELi512EEEvPfS2_PT_PKS3_PKT0_S9_ifPKiSB_iPKfiiiSD_SD_iiiii: ; @_ZN4vllm22paged_attention_kernelIfhLi256ELi32ELi128ELNS_18Fp8KVCacheDataTypeE1ELb1ELi512EEEvPfS2_PT_PKS3_PKT0_S9_ifPKiSB_iPKfiiiSD_SD_iiiii
; %bb.0:
	s_waitcnt vmcnt(0) expcnt(0) lgkmcnt(0)
	buffer_store_dword v40, off, s[0:3], s32 offset:196 ; 4-byte Folded Spill
	buffer_store_dword v41, off, s[0:3], s32 offset:192 ; 4-byte Folded Spill
	;; [unrolled: 1-line block ×48, first 2 shown]
	s_mov_b32 s10, s13
	s_ashr_i32 s11, s13, 31
	buffer_store_dword v26, off, s[0:3], s32 offset:2128 ; 4-byte Folded Spill
	buffer_store_dword v27, off, s[0:3], s32 offset:2132 ; 4-byte Folded Spill
	;; [unrolled: 1-line block ×8, first 2 shown]
	s_lshl_b64 s[4:5], s[10:11], 2
	v_mov_b32_e32 v25, v0
	v_add_co_u32 v0, vcc_lo, v16, s4
	v_mov_b32_e32 v24, v1
	v_add_co_ci_u32_e64 v1, null, s5, v17, vcc_lo
	v_mov_b32_e32 v26, v3
	v_mov_b32_e32 v27, v2
	s_lshl_b32 s7, s14, 9
	flat_load_dword v0, v[0:1]
	s_clause 0x1
	buffer_load_dword v2, off, s[0:3], s32 offset:4
	buffer_load_dword v3, off, s[0:3], s32
	s_mov_b32 s11, exec_lo
	s_waitcnt vmcnt(2) lgkmcnt(0)
	buffer_store_dword v0, off, s[0:3], s32 offset:1860 ; 4-byte Folded Spill
	v_cmpx_lt_i32_e64 s7, v0
	s_cbranch_execnz .LBB243_1
; %bb.4277:
	s_getpc_b64 s[28:29]
.Lpost_getpc0:
	s_add_u32 s28, s28, (.LBB243_4276-.Lpost_getpc0)&4294967295
	s_addc_u32 s29, s29, (.LBB243_4276-.Lpost_getpc0)>>32
	s_setpc_b64 s[28:29]
.LBB243_1:
	v_sub_nc_u32_e32 v0, 0, v12
	s_clause 0x1
	s_load_dword s4, s[8:9], 0x10
	s_load_dword s5, s[8:9], 0x0
	s_mov_b32 s18, s15
	v_max_i32_e32 v0, v12, v0
	v_cvt_f32_u32_e32 v1, v0
	v_sub_nc_u32_e32 v4, 0, v0
	v_rcp_iflag_f32_e32 v1, v1
	s_waitcnt lgkmcnt(0)
	s_lshr_b32 s4, s4, 16
	s_cmp_lg_u32 s4, 0
	s_cselect_b32 s4, -1, 0
	v_mul_f32_e32 v1, 0x4f7ffffe, v1
	s_cmp_lg_u32 s4, 0
	s_addc_u32 s20, s5, 0
	s_mov_b32 s5, exec_lo
	v_cvt_u32_f32_e32 v1, v1
	s_abs_i32 s4, s20
	v_mul_lo_u32 v4, v4, v1
	v_mul_hi_u32 v4, v1, v4
	v_add_nc_u32_e32 v1, v1, v4
	v_mul_hi_u32 v1, s4, v1
	v_mul_lo_u32 v4, v1, v0
	v_add_nc_u32_e32 v5, 1, v1
	v_sub_nc_u32_e32 v4, s4, v4
	s_abs_i32 s4, s12
	v_sub_nc_u32_e32 v13, v4, v0
	v_cmp_ge_u32_e32 vcc_lo, v4, v0
	v_cndmask_b32_e32 v1, v1, v5, vcc_lo
	v_cndmask_b32_e32 v4, v4, v13, vcc_lo
	v_xor_b32_e32 v5, s20, v12
	v_add_nc_u32_e32 v13, 1, v1
	v_cmp_ge_u32_e32 vcc_lo, v4, v0
	v_ashrrev_i32_e32 v5, 31, v5
	v_cndmask_b32_e32 v0, v1, v13, vcc_lo
	v_xor_b32_e32 v0, v0, v5
	v_sub_nc_u32_e32 v5, v0, v5
	v_sub_nc_u32_e32 v0, 0, v5
	v_max_i32_e32 v4, v5, v0
	v_cvt_f32_u32_e32 v0, v4
	v_sub_nc_u32_e32 v1, 0, v4
	v_rcp_iflag_f32_e32 v0, v0
	v_mul_f32_e32 v0, 0x4f7ffffe, v0
	v_cvt_u32_f32_e32 v0, v0
	v_mul_lo_u32 v1, v1, v0
	v_mul_hi_u32 v1, v0, v1
	v_add_nc_u32_e32 v0, v0, v1
	v_mad_u64_u32 v[0:1], null, s4, v0, 0
	v_mov_b32_e32 v0, 0
	buffer_store_dword v0, off, s[0:3], s32 offset:2148 ; 4-byte Folded Spill
	v_cmpx_ne_u64_e32 0, v[19:20]
	s_cbranch_execz .LBB243_3
; %bb.2:
	s_ashr_i32 s13, s12, 31
	s_lshl_b64 s[16:17], s[12:13], 2
	v_add_co_u32 v16, vcc_lo, v19, s16
	v_add_co_ci_u32_e64 v17, null, s17, v20, vcc_lo
	flat_load_dword v0, v[16:17]
	s_waitcnt vmcnt(0) lgkmcnt(0)
	buffer_store_dword v0, off, s[0:3], s32 offset:2148 ; 4-byte Folded Spill
.LBB243_3:
	s_or_b32 exec_lo, exec_lo, s5
	v_and_b32_e32 v13, 0x3ff, v31
	v_ashrrev_i32_e32 v0, 31, v5
	s_ashr_i32 s5, s12, 31
	s_lshl_b32 s16, s12, 8
	s_mov_b32 s6, exec_lo
	buffer_store_dword v13, off, s[0:3], s32 offset:2124 ; 4-byte Folded Spill
	v_cmpx_gt_u32_e32 64, v13
	s_cbranch_execz .LBB243_5
; %bb.4:
	buffer_load_dword v5, off, s[0:3], s32 offset:2124 ; 4-byte Folded Reload
	v_mul_lo_u32 v16, v21, s10
	s_ashr_i32 s17, s16, 31
	s_lshl_b64 s[22:23], s[16:17], 2
	v_ashrrev_i32_e32 v17, 31, v16
	v_lshlrev_b64 v[19:20], 2, v[16:17]
	s_waitcnt vmcnt(0)
	v_lshlrev_b32_e32 v17, 4, v5
	v_add_co_u32 v5, vcc_lo, v6, v19
	v_add_co_ci_u32_e64 v6, null, v7, v20, vcc_lo
	v_add_co_u32 v5, vcc_lo, v5, s22
	v_add_co_ci_u32_e64 v6, null, s23, v6, vcc_lo
	;; [unrolled: 2-line block ×3, first 2 shown]
	flat_load_dwordx4 v[19:22], v[5:6]
	s_waitcnt vmcnt(0) lgkmcnt(0)
	ds_write_b128 v17, v[19:22]
.LBB243_5:
	s_or_b32 exec_lo, exec_lo, s6
	s_waitcnt vmcnt(0)
	v_sub_nc_u32_e32 v5, 0, v3
	v_mul_lo_u32 v6, v1, v4
	v_max_i32_e32 v13, v3, v5
	v_sub_nc_u32_e32 v6, s4, v6
	v_cvt_f32_u32_e32 v5, v13
	buffer_store_dword v13, off, s[0:3], s32 offset:228 ; 4-byte Folded Spill
	s_mov_b32 s4, exec_lo
	v_sub_nc_u32_e32 v17, v6, v4
	v_rcp_iflag_f32_e32 v5, v5
	v_cmp_ge_u32_e32 vcc_lo, v6, v4
	v_cndmask_b32_e32 v6, v6, v17, vcc_lo
	v_mul_f32_e32 v5, 0x4f7ffffe, v5
	v_cvt_u32_f32_e32 v7, v5
	v_sub_nc_u32_e32 v5, 0, v13
	v_add_nc_u32_e32 v13, 1, v1
	v_mul_lo_u32 v16, v5, v7
	buffer_load_dword v5, off, s[0:3], s32 offset:1860 ; 4-byte Folded Reload
	v_cndmask_b32_e32 v1, v1, v13, vcc_lo
	v_cmp_ge_u32_e32 vcc_lo, v6, v4
	v_add_nc_u32_e32 v13, 1, v1
	v_mul_hi_u32 v19, v7, v16
	v_xor_b32_e32 v16, s5, v0
	v_cndmask_b32_e32 v0, v1, v13, vcc_lo
	v_add_nc_u32_e32 v1, v7, v19
	v_xor_b32_e32 v6, v0, v16
	buffer_store_dword v1, off, s[0:3], s32 offset:248 ; 4-byte Folded Spill
	s_waitcnt vmcnt(0) lgkmcnt(0)
	s_waitcnt_vscnt null, 0x0
	s_barrier
	buffer_gl0_inv
	v_add_nc_u32_e32 v5, -1, v5
	v_sub_nc_u32_e32 v17, 0, v5
	v_max_i32_e32 v4, v5, v17
	v_mad_u64_u32 v[0:1], null, v4, v1, 0
	v_sub_nc_u32_e32 v0, v6, v16
                                        ; implicit-def: $vgpr6
	buffer_store_dword v6, off, s[0:3], s32 offset:232 ; 4-byte Folded Spill
	buffer_store_dword v7, off, s[0:3], s32 offset:236 ; 4-byte Folded Spill
	v_cmpx_gt_i32_e32 0, v2
	s_xor_b32 s4, exec_lo, s4
	s_cbranch_execz .LBB243_7
; %bb.6:
	v_mad_u64_u32 v[6:7], null, v28, v12, v[0:1]
                                        ; implicit-def: $vgpr28
	v_mul_lo_u32 v2, v6, v2
	v_sub_nc_u32_e32 v2, 1, v2
	buffer_store_dword v2, off, s[0:3], s32 offset:232 ; 4-byte Folded Spill
	buffer_store_dword v3, off, s[0:3], s32 offset:236 ; 4-byte Folded Spill
                                        ; implicit-def: $vgpr2
.LBB243_7:
	s_or_saveexec_b32 s4, s4
	v_ashrrev_i32_e32 v5, 31, v5
	v_ashrrev_i32_e32 v3, 31, v3
	buffer_store_dword v3, off, s[0:3], s32 offset:240 ; 4-byte Folded Spill
	s_xor_b32 exec_lo, exec_lo, s4
	s_cbranch_execz .LBB243_9
; %bb.8:
	v_mad_u64_u32 v[6:7], null, s20, v28, s[12:13]
	v_mad_u64_u32 v[2:3], null, v6, v2, 1
	buffer_store_dword v2, off, s[0:3], s32 offset:232 ; 4-byte Folded Spill
	buffer_store_dword v3, off, s[0:3], s32 offset:236 ; 4-byte Folded Spill
.LBB243_9:
	s_or_b32 exec_lo, exec_lo, s4
	buffer_load_dword v16, off, s[0:3], s32 offset:228 ; 4-byte Folded Reload
	s_clause 0x1
	s_load_dword s17, s[8:9], 0x14
	s_load_dword s13, s[8:9], 0x8
	s_clause 0x2
	buffer_load_dword v3, off, s[0:3], s32 offset:1860
	buffer_load_dword v13, off, s[0:3], s32 offset:2124
	;; [unrolled: 1-line block ×3, first 2 shown]
	v_add_nc_u32_e32 v6, 1, v1
	s_lshl_b32 s15, s14, 4
	v_mov_b32_e32 v49, 0xff7fffff
	s_add_i32 s4, s15, 16
	s_waitcnt vmcnt(3)
	v_mul_lo_u32 v2, v1, v16
	s_waitcnt vmcnt(2)
	v_add_nc_u32_e32 v3, 31, v3
	s_waitcnt vmcnt(1)
	v_lshrrev_b32_e32 v17, 5, v13
	s_waitcnt vmcnt(0)
	v_xor_b32_e32 v5, v5, v7
	v_ashrrev_i32_e32 v7, 31, v3
	v_sub_nc_u32_e32 v4, v4, v2
	buffer_store_dword v17, off, s[0:3], s32 offset:3188 ; 4-byte Folded Spill
	v_mul_lo_u32 v2, v18, s10
	v_sub_nc_u32_e32 v12, v4, v16
	v_cmp_ge_u32_e32 vcc_lo, v4, v16
	v_cndmask_b32_e32 v1, v1, v6, vcc_lo
	v_cndmask_b32_e32 v4, v4, v12, vcc_lo
	v_lshrrev_b32_e32 v6, 27, v7
	v_and_b32_e32 v12, 31, v13
	v_add_nc_u32_e32 v7, 1, v1
	v_cmp_ge_u32_e32 vcc_lo, v4, v16
	v_add_nc_u32_e32 v3, v3, v6
	v_mul_lo_u32 v6, v0, v23
	v_sub_nc_u32_e32 v0, 0, v30
	v_add_nc_u32_e32 v4, s15, v17
	v_cndmask_b32_e32 v1, v1, v7, vcc_lo
	v_ashrrev_i32_e32 v7, 5, v3
	v_ashrrev_i32_e32 v3, 31, v2
	buffer_store_dword v0, off, s[0:3], s32 offset:3216 ; 4-byte Folded Spill
	v_xor_b32_e32 v0, v1, v5
	v_lshl_add_u32 v1, v17, 5, s7
	buffer_store_dword v7, off, s[0:3], s32 offset:3212 ; 4-byte Folded Spill
	buffer_store_dword v6, off, s[0:3], s32 offset:3204 ; 4-byte Folded Spill
	v_lshlrev_b64 v[46:47], 2, v[2:3]
	v_sub_nc_u32_e32 v0, v0, v5
	v_ashrrev_i32_e32 v5, 31, v6
	buffer_store_dword v1, off, s[0:3], s32 offset:216 ; 4-byte Folded Spill
	v_min_i32_e32 v1, s4, v7
	v_sub_nc_u32_e32 v0, v0, v29
	buffer_store_dword v5, off, s[0:3], s32 offset:3208 ; 4-byte Folded Spill
	v_ashrrev_i32_e32 v5, 31, v4
	buffer_store_dword v4, off, s[0:3], s32 offset:208 ; 4-byte Folded Spill
	buffer_store_dword v5, off, s[0:3], s32 offset:212 ; 4-byte Folded Spill
	;; [unrolled: 1-line block ×5, first 2 shown]
	v_lshlrev_b32_e32 v0, 2, v12
	buffer_store_dword v0, off, s[0:3], s32 offset:3192 ; 4-byte Folded Spill
	v_cmp_lt_i32_e64 s4, v4, v1
	s_and_saveexec_b32 s21, s4
	s_cbranch_execz .LBB243_2065
; %bb.10:
	buffer_store_dword v27, off, s[0:3], s32 offset:3252 ; 4-byte Folded Spill
	buffer_store_dword v26, off, s[0:3], s32 offset:3248 ; 4-byte Folded Spill
	;; [unrolled: 1-line block ×7, first 2 shown]
	s_clause 0x1
	buffer_load_dword v1, off, s[0:3], s32 offset:3204
	buffer_load_dword v7, off, s[0:3], s32 offset:2120
	v_sub_nc_u32_e32 v0, 0, v30
	s_ashr_i32 s19, s18, 31
	s_getpc_b64 s[8:9]
	s_add_u32 s8, s8, llvm.amdgcn.dynlds.offset.table@rel32@lo+4
	s_addc_u32 s9, s9, llvm.amdgcn.dynlds.offset.table@rel32@hi+12
	s_lshl_b64 s[24:25], s[18:19], 2
	v_mov_b32_e32 v49, 0xff7fffff
	v_max_i32_e32 v12, v30, v0
	s_add_u32 s8, s8, s24
	s_addc_u32 s9, s9, s25
	s_mov_b32 s22, 0
	v_cvt_f32_u32_e32 v0, v12
	v_rcp_iflag_f32_e32 v4, v0
	buffer_load_dword v0, off, s[0:3], s32 offset:2148 ; 4-byte Folded Reload
	v_mul_f32_e32 v4, 0x4f7ffffe, v4
	v_cvt_u32_f32_e32 v4, v4
	s_waitcnt vmcnt(2)
	v_add_co_u32 v2, vcc_lo, v8, v1
	s_clause 0x4
	buffer_load_dword v1, off, s[0:3], s32 offset:3208
	buffer_load_dword v10, off, s[0:3], s32 offset:208
	buffer_load_dword v11, off, s[0:3], s32 offset:212
	buffer_load_dword v6, off, s[0:3], s32 offset:3188
	buffer_load_dword v8, off, s[0:3], s32 offset:3192
	s_waitcnt vmcnt(6)
	v_lshlrev_b32_e32 v5, 4, v7
	buffer_store_dword v12, off, s[0:3], s32 offset:1868 ; 4-byte Folded Spill
	v_add_co_u32 v2, s5, v2, v5
	s_waitcnt vmcnt(4)
	v_add_co_ci_u32_e64 v3, null, v9, v1, vcc_lo
	s_waitcnt vmcnt(1)
	v_lshl_add_u32 v17, v6, 5, s7
	s_waitcnt vmcnt(0)
	v_lshl_or_b32 v35, v6, 7, v8
	buffer_load_dword v6, off, s[0:3], s32 offset:1860 ; 4-byte Folded Reload
	v_add_co_ci_u32_e64 v3, null, 0, v3, s5
	v_mov_b32_e32 v9, 0
	buffer_store_dword v2, off, s[0:3], s32 offset:2152 ; 4-byte Folded Spill
	buffer_store_dword v3, off, s[0:3], s32 offset:2156 ; 4-byte Folded Spill
	v_cmp_neq_f32_e32 vcc_lo, 0, v0
	ds_read_b128 v[18:21], v9
	v_lshlrev_b64 v[0:1], 2, v[10:11]
	s_waitcnt lgkmcnt(0)
	buffer_store_dword v18, off, s[0:3], s32 offset:2160 ; 4-byte Folded Spill
	buffer_store_dword v19, off, s[0:3], s32 offset:2164 ; 4-byte Folded Spill
	;; [unrolled: 1-line block ×4, first 2 shown]
	ds_read_b128 v[18:21], v9 offset:16
	v_add_co_u32 v0, s5, v46, v0
	s_waitcnt lgkmcnt(0)
	buffer_store_dword v18, off, s[0:3], s32 offset:2176 ; 4-byte Folded Spill
	buffer_store_dword v19, off, s[0:3], s32 offset:2180 ; 4-byte Folded Spill
	buffer_store_dword v20, off, s[0:3], s32 offset:2184 ; 4-byte Folded Spill
	buffer_store_dword v21, off, s[0:3], s32 offset:2188 ; 4-byte Folded Spill
	ds_read_b128 v[18:21], v9 offset:32
	s_waitcnt lgkmcnt(0)
	buffer_store_dword v18, off, s[0:3], s32 offset:2192 ; 4-byte Folded Spill
	buffer_store_dword v19, off, s[0:3], s32 offset:2196 ; 4-byte Folded Spill
	buffer_store_dword v20, off, s[0:3], s32 offset:2200 ; 4-byte Folded Spill
	buffer_store_dword v21, off, s[0:3], s32 offset:2204 ; 4-byte Folded Spill
	ds_read_b128 v[18:21], v9 offset:48
	;; [unrolled: 6-line block ×4, first 2 shown]
	s_waitcnt lgkmcnt(0)
	buffer_store_dword v18, off, s[0:3], s32 offset:2240 ; 4-byte Folded Spill
	buffer_store_dword v19, off, s[0:3], s32 offset:2244 ; 4-byte Folded Spill
	;; [unrolled: 1-line block ×4, first 2 shown]
	s_waitcnt vmcnt(0)
	v_sub_nc_u32_e32 v6, v7, v6
	v_sub_nc_u32_e32 v7, 0, v12
	v_add_nc_u32_e32 v3, 1, v6
	v_mul_lo_u32 v2, v7, v4
	buffer_store_dword v3, off, s[0:3], s32 offset:2256 ; 4-byte Folded Spill
	buffer_store_dword v46, off, s[0:3], s32 offset:3256 ; 4-byte Folded Spill
	;; [unrolled: 1-line block ×3, first 2 shown]
	s_load_dword s19, s[8:9], 0x0
	buffer_store_dword v14, off, s[0:3], s32 offset:3232 ; 4-byte Folded Spill
	v_mul_hi_u32 v2, v4, v2
	buffer_store_dword v15, off, s[0:3], s32 offset:3228 ; 4-byte Folded Spill
	v_add_co_ci_u32_e64 v1, null, v47, v1, s5
	v_add_co_u32 v0, s5, v14, v0
	v_bfrev_b32_e32 v47, 1
	v_add_co_ci_u32_e64 v1, null, v15, v1, s5
	buffer_store_dword v0, off, s[0:3], s32 offset:220 ; 4-byte Folded Spill
	buffer_store_dword v1, off, s[0:3], s32 offset:224 ; 4-byte Folded Spill
	v_add_nc_u32_e32 v0, v4, v2
	v_mov_b32_e32 v1, 0x7f800001
	v_mov_b32_e32 v2, v10
	buffer_store_dword v0, off, s[0:3], s32 offset:1872 ; 4-byte Folded Spill
	buffer_store_dword v0, off, s[0:3], s32 offset:200 ; 4-byte Folded Spill
	buffer_store_dword v1, off, s[0:3], s32 offset:204 ; 4-byte Folded Spill
	ds_read_b128 v[3:6], v9 offset:96
	s_waitcnt lgkmcnt(0)
	buffer_store_dword v3, off, s[0:3], s32 offset:2260 ; 4-byte Folded Spill
	buffer_store_dword v4, off, s[0:3], s32 offset:2264 ; 4-byte Folded Spill
	buffer_store_dword v5, off, s[0:3], s32 offset:2268 ; 4-byte Folded Spill
	buffer_store_dword v6, off, s[0:3], s32 offset:2272 ; 4-byte Folded Spill
	ds_read_b128 v[3:6], v9 offset:112
	s_waitcnt lgkmcnt(0)
	buffer_store_dword v3, off, s[0:3], s32 offset:2276 ; 4-byte Folded Spill
	;; [unrolled: 6-line block ×58, first 2 shown]
	buffer_store_dword v4, off, s[0:3], s32 offset:3176 ; 4-byte Folded Spill
	buffer_store_dword v5, off, s[0:3], s32 offset:3180 ; 4-byte Folded Spill
	;; [unrolled: 1-line block ×3, first 2 shown]
	s_branch .LBB243_16
.LBB243_11:                             ;   in Loop: Header=BB243_16 Depth=1
	s_or_b32 exec_lo, exec_lo, s26
	v_mov_b32_e32 v0, 24
	v_lshlrev_b32_e32 v30, 20, v80
	v_lshl_add_u32 v10, v10, 23, 0x3c000000
	v_lshlrev_b32_sdwa v8, v0, v118 dst_sel:DWORD dst_unused:UNUSED_PAD src0_sel:DWORD src1_sel:BYTE_3
	v_mov_b32_e32 v0, v9
	v_and_b32_e32 v8, 0x80000000, v8
	v_or3_b32 v1, v30, v8, v10
.LBB243_12:                             ;   in Loop: Header=BB243_16 Depth=1
	s_or_b32 exec_lo, exec_lo, s25
	v_mov_b32_e32 v31, v48
	v_mov_b32_e32 v32, v49
.LBB243_13:                             ;   in Loop: Header=BB243_16 Depth=1
	s_or_b32 exec_lo, exec_lo, s24
.LBB243_14:                             ;   in Loop: Header=BB243_16 Depth=1
	s_or_b32 exec_lo, exec_lo, s23
	v_or_b32_e32 v6, v51, v115
	v_or_b32_e32 v4, v4, v42
	;; [unrolled: 1-line block ×5, first 2 shown]
	buffer_store_dword v6, off, s[0:3], s32 offset:1892 ; 4-byte Folded Spill
	v_or_b32_e32 v6, v50, v114
	buffer_store_dword v4, off, s[0:3], s32 offset:2000 ; 4-byte Folded Spill
	v_or_b32_e32 v4, v29, v109
	buffer_store_dword v5, off, s[0:3], s32 offset:1992 ; 4-byte Folded Spill
	buffer_store_dword v6, off, s[0:3], s32 offset:1900 ; 4-byte Folded Spill
	v_or_b32_e32 v6, v25, v103
	buffer_store_dword v4, off, s[0:3], s32 offset:1988 ; 4-byte Folded Spill
	v_or_b32_e32 v4, v28, v108
	;; [unrolled: 2-line block ×43, first 2 shown]
	buffer_store_dword v4, off, s[0:3], s32 offset:2076 ; 4-byte Folded Spill
	buffer_store_dword v6, off, s[0:3], s32 offset:1980 ; 4-byte Folded Spill
	s_clause 0x1
	buffer_load_dword v4, off, s[0:3], s32 offset:1852
	buffer_load_dword v5, off, s[0:3], s32 offset:1856
	s_waitcnt vmcnt(1)
	v_or_b32_e32 v4, v52, v4
	s_waitcnt vmcnt(0)
	v_or_b32_e32 v5, v53, v5
	buffer_store_dword v4, off, s[0:3], s32 offset:2092 ; 4-byte Folded Spill
	v_or_b32_e32 v4, v101, v39
	buffer_store_dword v5, off, s[0:3], s32 offset:2084 ; 4-byte Folded Spill
	buffer_store_dword v4, off, s[0:3], s32 offset:1852 ; 4-byte Folded Spill
	v_or_b32_e32 v4, v100, v38
	buffer_store_dword v4, off, s[0:3], s32 offset:2088 ; 4-byte Folded Spill
	s_clause 0x3
	buffer_load_dword v4, off, s[0:3], s32 offset:1820
	buffer_load_dword v5, off, s[0:3], s32 offset:1824
	buffer_load_dword v6, off, s[0:3], s32 offset:1828
	buffer_load_dword v7, off, s[0:3], s32 offset:1832
	s_waitcnt vmcnt(1)
	v_or_b32_e32 v4, v6, v4
	s_waitcnt vmcnt(0)
	v_or_b32_e32 v5, v7, v5
	buffer_store_dword v4, off, s[0:3], s32 offset:2100 ; 4-byte Folded Spill
	buffer_store_dword v5, off, s[0:3], s32 offset:2096 ; 4-byte Folded Spill
	s_clause 0x3
	buffer_load_dword v4, off, s[0:3], s32 offset:1836
	buffer_load_dword v5, off, s[0:3], s32 offset:1840
	buffer_load_dword v6, off, s[0:3], s32 offset:1844
	buffer_load_dword v7, off, s[0:3], s32 offset:1848
	s_waitcnt vmcnt(1)
	v_or_b32_e32 v4, v4, v6
	s_waitcnt vmcnt(0)
	v_or_b32_e32 v5, v5, v7
	buffer_store_dword v4, off, s[0:3], s32 offset:1828 ; 4-byte Folded Spill
	;; [unrolled: 11-line block ×40, first 2 shown]
	buffer_store_dword v5, off, s[0:3], s32 offset:1212 ; 4-byte Folded Spill
	s_clause 0x3
	buffer_load_dword v4, off, s[0:3], s32 offset:1180
	buffer_load_dword v5, off, s[0:3], s32 offset:1184
	buffer_load_dword v6, off, s[0:3], s32 offset:1188
	buffer_load_dword v7, off, s[0:3], s32 offset:1192
	s_waitcnt vmcnt(1)
	v_or_b32_e32 v122, v6, v4
	s_waitcnt vmcnt(0)
	v_or_b32_e32 v126, v7, v5
	s_clause 0x3
	buffer_load_dword v4, off, s[0:3], s32 offset:1196
	buffer_load_dword v5, off, s[0:3], s32 offset:1200
	;; [unrolled: 1-line block ×4, first 2 shown]
	s_waitcnt vmcnt(1)
	v_or_b32_e32 v124, v4, v6
	s_waitcnt vmcnt(0)
	v_or_b32_e32 v5, v5, v7
	buffer_store_dword v5, off, s[0:3], s32 offset:1180 ; 4-byte Folded Spill
	s_clause 0x3
	buffer_load_dword v4, off, s[0:3], s32 offset:1148
	buffer_load_dword v5, off, s[0:3], s32 offset:1152
	buffer_load_dword v6, off, s[0:3], s32 offset:1156
	buffer_load_dword v7, off, s[0:3], s32 offset:1160
	s_waitcnt vmcnt(1)
	v_or_b32_e32 v104, v6, v4
	s_waitcnt vmcnt(0)
	v_or_b32_e32 v110, v7, v5
	s_clause 0x3
	buffer_load_dword v4, off, s[0:3], s32 offset:1164
	buffer_load_dword v5, off, s[0:3], s32 offset:1168
	buffer_load_dword v6, off, s[0:3], s32 offset:1172
	buffer_load_dword v7, off, s[0:3], s32 offset:1176
	s_waitcnt vmcnt(1)
	v_or_b32_e32 v108, v4, v6
	s_waitcnt vmcnt(0)
	v_or_b32_e32 v120, v5, v7
	;; [unrolled: 9-line block ×21, first 2 shown]
	buffer_store_dword v4, off, s[0:3], s32 offset:828 ; 4-byte Folded Spill
	s_clause 0x3
	buffer_load_dword v4, off, s[0:3], s32 offset:844
	buffer_load_dword v5, off, s[0:3], s32 offset:848
	buffer_load_dword v6, off, s[0:3], s32 offset:852
	buffer_load_dword v7, off, s[0:3], s32 offset:856
	s_waitcnt vmcnt(1)
	v_or_b32_e32 v30, v4, v6
	s_waitcnt vmcnt(0)
	v_or_b32_e32 v36, v5, v7
	s_clause 0x3
	buffer_load_dword v4, off, s[0:3], s32 offset:796
	buffer_load_dword v5, off, s[0:3], s32 offset:800
	buffer_load_dword v6, off, s[0:3], s32 offset:804
	buffer_load_dword v7, off, s[0:3], s32 offset:808
	s_waitcnt vmcnt(1)
	v_or_b32_e32 v24, v6, v4
	s_waitcnt vmcnt(0)
	v_or_b32_e32 v26, v7, v5
	;; [unrolled: 9-line block ×4, first 2 shown]
	buffer_store_dword v4, off, s[0:3], s32 offset:764 ; 4-byte Folded Spill
	s_clause 0x3
	buffer_load_dword v4, off, s[0:3], s32 offset:780
	buffer_load_dword v5, off, s[0:3], s32 offset:784
	buffer_load_dword v6, off, s[0:3], s32 offset:788
	buffer_load_dword v7, off, s[0:3], s32 offset:792
	s_waitcnt vmcnt(1)
	v_or_b32_e32 v14, v4, v6
	s_waitcnt vmcnt(0)
	v_or_b32_e32 v20, v5, v7
	s_clause 0x3
	buffer_load_dword v4, off, s[0:3], s32 offset:732
	buffer_load_dword v5, off, s[0:3], s32 offset:736
	buffer_load_dword v6, off, s[0:3], s32 offset:740
	buffer_load_dword v7, off, s[0:3], s32 offset:744
	s_waitcnt vmcnt(1)
	v_or_b32_e32 v61, v6, v4
	s_waitcnt vmcnt(0)
	v_or_b32_e32 v10, v7, v5
	s_clause 0x3
	buffer_load_dword v4, off, s[0:3], s32 offset:748
	buffer_load_dword v5, off, s[0:3], s32 offset:752
	buffer_load_dword v6, off, s[0:3], s32 offset:756
	buffer_load_dword v7, off, s[0:3], s32 offset:760
	s_waitcnt vmcnt(1)
	v_or_b32_e32 v4, v4, v6
	s_waitcnt vmcnt(0)
	v_or_b32_e32 v12, v5, v7
	buffer_store_dword v4, off, s[0:3], s32 offset:732 ; 4-byte Folded Spill
	s_clause 0x3
	buffer_load_dword v4, off, s[0:3], s32 offset:700
	buffer_load_dword v5, off, s[0:3], s32 offset:704
	buffer_load_dword v6, off, s[0:3], s32 offset:708
	buffer_load_dword v7, off, s[0:3], s32 offset:712
	s_waitcnt vmcnt(1)
	v_or_b32_e32 v105, v6, v4
	s_waitcnt vmcnt(0)
	v_or_b32_e32 v77, v7, v5
	s_clause 0x3
	buffer_load_dword v4, off, s[0:3], s32 offset:716
	buffer_load_dword v5, off, s[0:3], s32 offset:720
	buffer_load_dword v6, off, s[0:3], s32 offset:724
	buffer_load_dword v7, off, s[0:3], s32 offset:728
	s_waitcnt vmcnt(1)
	v_or_b32_e32 v89, v4, v6
	s_waitcnt vmcnt(0)
	v_or_b32_e32 v59, v5, v7
	;; [unrolled: 9-line block ×6, first 2 shown]
	s_clause 0x1
	buffer_load_dword v4, off, s[0:3], s32 offset:612
	buffer_load_dword v5, off, s[0:3], s32 offset:616
	s_waitcnt vmcnt(1)
	v_or_b32_e32 v71, v4, v31
	s_waitcnt vmcnt(0)
	v_or_b32_e32 v49, v5, v32
	s_clause 0x3
	buffer_load_dword v4, off, s[0:3], s32 offset:620
	buffer_load_dword v5, off, s[0:3], s32 offset:624
	buffer_load_dword v6, off, s[0:3], s32 offset:628
	buffer_load_dword v7, off, s[0:3], s32 offset:632
	s_waitcnt vmcnt(1)
	v_or_b32_e32 v32, v4, v6
	s_waitcnt vmcnt(0)
	v_or_b32_e32 v80, v5, v7
	s_clause 0x3
	buffer_load_dword v4, off, s[0:3], s32 offset:580
	buffer_load_dword v5, off, s[0:3], s32 offset:584
	;; [unrolled: 9-line block ×23, first 2 shown]
	buffer_load_dword v6, off, s[0:3], s32 offset:284
	buffer_load_dword v7, off, s[0:3], s32 offset:288
	v_mul_f32_e32 v16, v119, v16
	s_waitcnt vmcnt(1)
	v_or_b32_e32 v48, v4, v6
	s_waitcnt vmcnt(0)
	v_or_b32_e32 v13, v5, v7
	s_clause 0x3
	buffer_load_dword v4, off, s[0:3], s32 offset:2104
	buffer_load_dword v5, off, s[0:3], s32 offset:2108
	;; [unrolled: 1-line block ×4, first 2 shown]
	buffer_store_dword v1, off, s[0:3], s32 offset:260 ; 4-byte Folded Spill
	buffer_store_dword v0, off, s[0:3], s32 offset:276 ; 4-byte Folded Spill
	v_mul_f32_e32 v0, v119, v106
	v_mul_f32_e32 v13, v119, v13
	s_waitcnt vmcnt(1)
	v_or_b32_e32 v4, v6, v4
	s_waitcnt vmcnt(0)
	v_or_b32_e32 v5, v7, v5
	buffer_store_dword v4, off, s[0:3], s32 offset:284 ; 4-byte Folded Spill
	buffer_store_dword v5, off, s[0:3], s32 offset:268 ; 4-byte Folded Spill
	s_clause 0x3
	buffer_load_dword v4, off, s[0:3], s32 offset:2176
	buffer_load_dword v5, off, s[0:3], s32 offset:2180
	;; [unrolled: 1-line block ×4, first 2 shown]
	s_waitcnt vmcnt(3)
	v_mul_f32_e32 v81, v4, v0
	s_clause 0x3
	buffer_load_dword v0, off, s[0:3], s32 offset:2160
	buffer_load_dword v1, off, s[0:3], s32 offset:2164
	;; [unrolled: 1-line block ×4, first 2 shown]
	s_waitcnt vmcnt(3)
	v_fmac_f32_e32 v81, v0, v16
	v_mul_f32_e32 v0, v119, v75
	v_mul_f32_e32 v16, v119, v69
	;; [unrolled: 1-line block ×4, first 2 shown]
	s_waitcnt vmcnt(2)
	v_fmac_f32_e32 v75, v1, v16
	v_mul_f32_e32 v106, v6, v0
	v_mul_f32_e32 v0, v119, v107
	;; [unrolled: 1-line block ×5, first 2 shown]
	s_waitcnt vmcnt(1)
	v_fmac_f32_e32 v106, v2, v16
	s_waitcnt vmcnt(0)
	v_fmac_f32_e32 v107, v3, v13
	s_clause 0x3
	buffer_load_dword v0, off, s[0:3], s32 offset:2192
	buffer_load_dword v1, off, s[0:3], s32 offset:2196
	;; [unrolled: 1-line block ×4, first 2 shown]
	s_waitcnt vmcnt(3)
	v_fmac_f32_e32 v81, v0, v6
	v_mul_f32_e32 v6, v119, v109
	s_waitcnt vmcnt(2)
	v_fmac_f32_e32 v75, v1, v6
	v_mul_f32_e32 v6, v119, v39
	s_waitcnt vmcnt(1)
	v_fmac_f32_e32 v106, v2, v6
	v_mul_f32_e32 v6, v119, v18
	s_waitcnt vmcnt(0)
	v_fmac_f32_e32 v107, v3, v6
	s_clause 0x3
	buffer_load_dword v0, off, s[0:3], s32 offset:2208
	buffer_load_dword v1, off, s[0:3], s32 offset:2212
	buffer_load_dword v2, off, s[0:3], s32 offset:2216
	buffer_load_dword v3, off, s[0:3], s32 offset:2220
	v_mul_f32_e32 v6, v119, v97
	s_waitcnt vmcnt(3)
	v_fmac_f32_e32 v81, v0, v6
	v_mul_f32_e32 v6, v119, v43
	s_waitcnt vmcnt(2)
	v_fmac_f32_e32 v75, v1, v6
	v_mul_f32_e32 v6, v119, v111
	s_waitcnt vmcnt(1)
	v_fmac_f32_e32 v106, v2, v6
	v_mul_f32_e32 v6, v119, v87
	s_waitcnt vmcnt(0)
	v_fmac_f32_e32 v107, v3, v6
	s_clause 0x3
	buffer_load_dword v0, off, s[0:3], s32 offset:2224
	buffer_load_dword v1, off, s[0:3], s32 offset:2228
	buffer_load_dword v2, off, s[0:3], s32 offset:2232
	buffer_load_dword v3, off, s[0:3], s32 offset:2236
	v_mul_f32_e32 v6, v119, v85
	;; [unrolled: 17-line block ×13, first 2 shown]
	s_waitcnt vmcnt(3)
	v_fmac_f32_e32 v81, v1, v0
	v_mul_f32_e32 v0, v119, v10
	s_waitcnt vmcnt(2)
	v_fmac_f32_e32 v75, v2, v0
	buffer_load_dword v0, off, s[0:3], s32 offset:732 ; 4-byte Folded Reload
	s_waitcnt vmcnt(0)
	v_mul_f32_e32 v0, v119, v0
	v_fmac_f32_e32 v106, v3, v0
	v_mul_f32_e32 v0, v119, v12
	v_fmac_f32_e32 v107, v4, v0
	s_clause 0x4
	buffer_load_dword v0, off, s[0:3], s32 offset:764
	buffer_load_dword v1, off, s[0:3], s32 offset:2420
	;; [unrolled: 1-line block ×5, first 2 shown]
	s_waitcnt vmcnt(4)
	v_mul_f32_e32 v0, v119, v0
	s_waitcnt vmcnt(3)
	v_fmac_f32_e32 v81, v1, v0
	v_mul_f32_e32 v0, v119, v17
	s_waitcnt vmcnt(2)
	v_fmac_f32_e32 v75, v2, v0
	;; [unrolled: 3-line block ×4, first 2 shown]
	s_clause 0x3
	buffer_load_dword v1, off, s[0:3], s32 offset:2436
	buffer_load_dword v2, off, s[0:3], s32 offset:2440
	;; [unrolled: 1-line block ×4, first 2 shown]
	v_mul_f32_e32 v0, v119, v24
	s_waitcnt vmcnt(3)
	v_fmac_f32_e32 v81, v1, v0
	v_mul_f32_e32 v0, v119, v26
	s_waitcnt vmcnt(2)
	v_fmac_f32_e32 v75, v2, v0
	;; [unrolled: 3-line block ×4, first 2 shown]
	s_clause 0x4
	buffer_load_dword v0, off, s[0:3], s32 offset:828
	buffer_load_dword v1, off, s[0:3], s32 offset:2452
	;; [unrolled: 1-line block ×5, first 2 shown]
	s_waitcnt vmcnt(4)
	v_mul_f32_e32 v0, v119, v0
	s_waitcnt vmcnt(3)
	v_fmac_f32_e32 v81, v1, v0
	v_mul_f32_e32 v0, v119, v33
	s_waitcnt vmcnt(2)
	v_fmac_f32_e32 v75, v2, v0
	v_mul_f32_e32 v0, v119, v30
	s_waitcnt vmcnt(1)
	v_fmac_f32_e32 v106, v3, v0
	v_mul_f32_e32 v0, v119, v36
	s_waitcnt vmcnt(0)
	v_fmac_f32_e32 v107, v4, v0
	s_clause 0x3
	buffer_load_dword v1, off, s[0:3], s32 offset:2468
	buffer_load_dword v2, off, s[0:3], s32 offset:2472
	buffer_load_dword v3, off, s[0:3], s32 offset:2476
	buffer_load_dword v4, off, s[0:3], s32 offset:2480
	v_mul_f32_e32 v0, v119, v38
	s_waitcnt vmcnt(3)
	v_fmac_f32_e32 v81, v1, v0
	v_mul_f32_e32 v0, v119, v51
	s_waitcnt vmcnt(2)
	v_fmac_f32_e32 v75, v2, v0
	v_mul_f32_e32 v0, v119, v50
	s_waitcnt vmcnt(1)
	v_fmac_f32_e32 v106, v3, v0
	v_mul_f32_e32 v0, v119, v52
	s_waitcnt vmcnt(0)
	v_fmac_f32_e32 v107, v4, v0
	s_clause 0x3
	buffer_load_dword v1, off, s[0:3], s32 offset:2484
	buffer_load_dword v2, off, s[0:3], s32 offset:2488
	buffer_load_dword v3, off, s[0:3], s32 offset:2492
	buffer_load_dword v4, off, s[0:3], s32 offset:2496
	;; [unrolled: 17-line block ×11, first 2 shown]
	v_mul_f32_e32 v0, v119, v122
	s_waitcnt vmcnt(3)
	v_fmac_f32_e32 v81, v1, v0
	v_mul_f32_e32 v0, v119, v126
	s_waitcnt vmcnt(2)
	v_fmac_f32_e32 v75, v2, v0
	;; [unrolled: 3-line block ×3, first 2 shown]
	buffer_load_dword v0, off, s[0:3], s32 offset:1180 ; 4-byte Folded Reload
	s_waitcnt vmcnt(0)
	v_mul_f32_e32 v0, v119, v0
	v_fmac_f32_e32 v107, v4, v0
	s_clause 0x4
	buffer_load_dword v0, off, s[0:3], s32 offset:1268
	buffer_load_dword v1, off, s[0:3], s32 offset:2644
	buffer_load_dword v2, off, s[0:3], s32 offset:2648
	buffer_load_dword v3, off, s[0:3], s32 offset:2652
	buffer_load_dword v4, off, s[0:3], s32 offset:2656
	s_waitcnt vmcnt(4)
	v_mul_f32_e32 v0, v119, v0
	s_waitcnt vmcnt(3)
	v_fmac_f32_e32 v81, v1, v0
	buffer_load_dword v0, off, s[0:3], s32 offset:1260 ; 4-byte Folded Reload
	s_waitcnt vmcnt(0)
	v_mul_f32_e32 v0, v119, v0
	v_fmac_f32_e32 v75, v2, v0
	buffer_load_dword v0, off, s[0:3], s32 offset:1220 ; 4-byte Folded Reload
	s_waitcnt vmcnt(0)
	v_mul_f32_e32 v0, v119, v0
	v_fmac_f32_e32 v106, v3, v0
	buffer_load_dword v0, off, s[0:3], s32 offset:1212 ; 4-byte Folded Reload
	s_waitcnt vmcnt(0)
	v_mul_f32_e32 v0, v119, v0
	v_fmac_f32_e32 v107, v4, v0
	s_clause 0x4
	buffer_load_dword v0, off, s[0:3], s32 offset:1300
	buffer_load_dword v1, off, s[0:3], s32 offset:2660
	buffer_load_dword v2, off, s[0:3], s32 offset:2664
	buffer_load_dword v3, off, s[0:3], s32 offset:2668
	buffer_load_dword v4, off, s[0:3], s32 offset:2672
	s_waitcnt vmcnt(4)
	v_mul_f32_e32 v0, v119, v0
	s_waitcnt vmcnt(3)
	v_fmac_f32_e32 v81, v1, v0
	buffer_load_dword v0, off, s[0:3], s32 offset:1292 ; 4-byte Folded Reload
	s_waitcnt vmcnt(0)
	v_mul_f32_e32 v0, v119, v0
	v_fmac_f32_e32 v75, v2, v0
	buffer_load_dword v0, off, s[0:3], s32 offset:1252 ; 4-byte Folded Reload
	s_waitcnt vmcnt(0)
	v_mul_f32_e32 v0, v119, v0
	v_fmac_f32_e32 v106, v3, v0
	;; [unrolled: 22-line block ×33, first 2 shown]
	s_clause 0x6
	buffer_load_dword v0, off, s[0:3], s32 offset:284
	buffer_load_dword v5, off, s[0:3], s32 offset:3172
	;; [unrolled: 1-line block ×7, first 2 shown]
	s_waitcnt vmcnt(6)
	v_mul_f32_e32 v0, v119, v0
	s_waitcnt vmcnt(1)
	v_mul_f32_e32 v1, v119, v1
	;; [unrolled: 2-line block ×3, first 2 shown]
	v_fmac_f32_e32 v81, v5, v0
	buffer_load_dword v0, off, s[0:3], s32 offset:268 ; 4-byte Folded Reload
	v_fmac_f32_e32 v106, v7, v1
	s_waitcnt vmcnt(0)
	v_mul_f32_e32 v0, v119, v0
	v_fmac_f32_e32 v75, v6, v0
	s_clause 0x2
	buffer_load_dword v0, off, s[0:3], s32 offset:1888
	buffer_load_dword v17, off, s[0:3], s32 offset:1876
	;; [unrolled: 1-line block ×3, first 2 shown]
	s_load_dword s23, s[8:9], 0x0
	s_clause 0x1
	buffer_load_dword v35, off, s[0:3], s32 offset:1880
	buffer_load_dword v49, off, s[0:3], s32 offset:1884
	s_waitcnt vmcnt(4)
	v_mul_f32_e32 v0, v119, v0
	s_waitcnt vmcnt(2)
	v_add_nc_u32_e32 v1, v1, v17
	v_fmac_f32_e32 v107, v4, v0
	v_cvt_f32_i32_e32 v1, v1
	v_add_f32_e32 v0, v81, v75
	v_fmac_f32_e32 v107, v8, v2
	buffer_load_dword v2, off, s[0:3], s32 offset:2148 ; 4-byte Folded Reload
	v_add_f32_e32 v0, v106, v0
	v_add_f32_e32 v0, v107, v0
	s_waitcnt vmcnt(0)
	v_mul_f32_e32 v1, v2, v1
	buffer_load_dword v2, off, s[0:3], s32 offset:2144 ; 4-byte Folded Reload
	v_cndmask_b32_e32 v1, 0, v1, vcc_lo
	s_waitcnt vmcnt(0)
	v_fmac_f32_e32 v1, v2, v0
	s_clause 0x1
	buffer_load_dword v0, off, s[0:3], s32 offset:2120
	buffer_load_dword v2, off, s[0:3], s32 offset:1860
	s_waitcnt vmcnt(1)
	v_add_nc_u32_e32 v0, v0, v17
	s_waitcnt vmcnt(0)
	v_cmp_lt_i32_e64 s5, v0, v2
	s_waitcnt lgkmcnt(0)
	v_add_nc_u32_e32 v0, s23, v35
	v_cndmask_b32_e64 v2, 0, v1, s5
	ds_write_b32 v0, v2
	v_max_f32_e32 v0, v49, v49
	v_max_f32_e32 v0, v0, v1
	v_cndmask_b32_e64 v49, v49, v0, s5
.LBB243_15:                             ;   in Loop: Header=BB243_16 Depth=1
	s_or_b32 exec_lo, exec_lo, s6
	s_clause 0x2
	buffer_load_dword v2, off, s[0:3], s32 offset:256
	buffer_load_dword v0, off, s[0:3], s32 offset:220
	;; [unrolled: 1-line block ×3, first 2 shown]
	v_add_nc_u32_e32 v17, 0x80, v17
	v_add_nc_u32_e32 v35, 0x200, v35
	s_waitcnt vmcnt(1)
	v_add_co_u32 v0, s5, v0, 16
	s_waitcnt vmcnt(0)
	v_add_co_ci_u32_e64 v1, null, 0, v1, s5
	v_add_nc_u32_e32 v2, 4, v2
	buffer_store_dword v0, off, s[0:3], s32 offset:220 ; 4-byte Folded Spill
	buffer_store_dword v1, off, s[0:3], s32 offset:224 ; 4-byte Folded Spill
	buffer_load_dword v0, off, s[0:3], s32 offset:244 ; 4-byte Folded Reload
	s_waitcnt vmcnt(0)
	v_cmp_ge_i32_e64 s5, v2, v0
	s_or_b32 s22, s5, s22
	s_andn2_b32 exec_lo, exec_lo, s22
	s_cbranch_execz .LBB243_2064
.LBB243_16:                             ; =>This Inner Loop Header: Depth=1
	s_clause 0x2
	buffer_load_dword v1, off, s[0:3], s32 offset:248
	buffer_load_dword v4, off, s[0:3], s32 offset:228
	;; [unrolled: 1-line block ×3, first 2 shown]
	v_sub_nc_u32_e32 v0, 0, v17
	buffer_store_dword v2, off, s[0:3], s32 offset:256 ; 4-byte Folded Spill
	v_max_i32_e32 v0, v17, v0
	s_waitcnt vmcnt(2)
	v_mul_hi_u32 v1, v0, v1
	s_waitcnt vmcnt(1)
	v_mul_lo_u32 v2, v1, v4
	v_sub_nc_u32_e32 v0, v0, v2
	v_add_nc_u32_e32 v2, 1, v1
	v_sub_nc_u32_e32 v3, v0, v4
	v_cmp_ge_u32_e64 s5, v0, v4
	v_cndmask_b32_e64 v1, v1, v2, s5
	v_cndmask_b32_e64 v0, v0, v3, s5
	v_ashrrev_i32_e32 v2, 31, v17
	v_add_nc_u32_e32 v3, 1, v1
	v_cmp_ge_u32_e64 s5, v0, v4
	s_waitcnt vmcnt(0)
	v_xor_b32_e32 v2, v2, v5
	v_cndmask_b32_e64 v0, v1, v3, s5
	v_xor_b32_e32 v0, v0, v2
	v_sub_nc_u32_e32 v0, v0, v2
	s_clause 0x3
	buffer_load_dword v1, off, s[0:3], s32 offset:232
	buffer_load_dword v2, off, s[0:3], s32 offset:236
	;; [unrolled: 1-line block ×4, first 2 shown]
	s_waitcnt vmcnt(3)
	v_add_nc_u32_e32 v1, v0, v1
	s_waitcnt vmcnt(2)
	v_sub_nc_u32_e32 v2, 0, v1
	v_max_i32_e32 v2, v1, v2
	v_ashrrev_i32_e32 v1, 31, v1
	s_waitcnt vmcnt(1)
	v_mul_hi_u32 v3, v2, v3
	s_waitcnt vmcnt(0)
	v_mul_lo_u32 v3, v3, v4
	v_sub_nc_u32_e32 v2, v2, v3
	v_sub_nc_u32_e32 v3, v2, v4
	v_cmp_ge_u32_e64 s5, v2, v4
	v_cndmask_b32_e64 v2, v2, v3, s5
	v_sub_nc_u32_e32 v3, v2, v4
	v_cmp_ge_u32_e64 s5, v2, v4
	v_cndmask_b32_e64 v2, v2, v3, s5
	v_xor_b32_e32 v2, v2, v1
	v_sub_nc_u32_e32 v1, v2, v1
	v_cmp_ne_u32_e64 s5, 0, v1
	buffer_load_dword v1, off, s[0:3], s32 offset:252 ; 4-byte Folded Reload
	s_waitcnt vmcnt(0)
	v_cmp_le_i32_e64 s6, v0, v1
	s_and_b32 s5, s5, s6
	s_and_saveexec_b32 s6, s5
	s_xor_b32 s5, exec_lo, s6
; %bb.17:                               ;   in Loop: Header=BB243_16 Depth=1
	v_add_nc_u32_e32 v0, s19, v35
	v_mov_b32_e32 v1, 0xff7fffff
	ds_write_b32 v0, v1
; %bb.18:                               ;   in Loop: Header=BB243_16 Depth=1
	s_andn2_saveexec_b32 s6, s5
	s_cbranch_execz .LBB243_15
; %bb.19:                               ;   in Loop: Header=BB243_16 Depth=1
	s_clause 0x1
	buffer_load_dword v0, off, s[0:3], s32 offset:220
	buffer_load_dword v1, off, s[0:3], s32 offset:224
	s_waitcnt vmcnt(0)
	flat_load_dword v0, v[0:1]
	s_clause 0x2
	buffer_load_dword v1, off, s[0:3], s32 offset:1864
	buffer_load_dword v2, off, s[0:3], s32 offset:2152
	;; [unrolled: 1-line block ×3, first 2 shown]
	s_waitcnt vmcnt(0) lgkmcnt(0)
	v_mad_i64_i32 v[114:115], null, v0, v1, v[2:3]
	flat_load_dword v0, v[114:115]
	s_clause 0x1
	buffer_load_dword v1, off, s[0:3], s32 offset:2136
	buffer_load_dword v2, off, s[0:3], s32 offset:2140
	s_waitcnt vmcnt(2) lgkmcnt(0)
	v_cmp_ne_u16_sdwa s5, v0, v9 src0_sel:BYTE_0 src1_sel:DWORD
	s_waitcnt vmcnt(0)
	flat_load_dword v119, v[1:2]
	v_mov_b32_e32 v1, 0
	v_mov_b32_e32 v2, 0
	buffer_store_dword v1, off, s[0:3], s32 offset:268 ; 4-byte Folded Spill
	buffer_store_dword v2, off, s[0:3], s32 offset:272 ; 4-byte Folded Spill
	v_mov_b32_e32 v1, 0
	v_mov_b32_e32 v2, 0
	buffer_store_dword v1, off, s[0:3], s32 offset:260 ; 4-byte Folded Spill
	buffer_store_dword v2, off, s[0:3], s32 offset:264 ; 4-byte Folded Spill
	s_and_saveexec_b32 s23, s5
	s_cbranch_execz .LBB243_27
; %bb.20:                               ;   in Loop: Header=BB243_16 Depth=1
	v_bfrev_b32_e32 v1, 1
	v_mov_b32_e32 v2, 0
	buffer_store_dword v1, off, s[0:3], s32 offset:260 ; 4-byte Folded Spill
	buffer_store_dword v2, off, s[0:3], s32 offset:264 ; 4-byte Folded Spill
	v_mov_b32_e32 v1, 0x80
	v_cmp_ne_u16_sdwa s5, v0, v1 src0_sel:BYTE_0 src1_sel:DWORD
	s_and_saveexec_b32 s24, s5
	s_cbranch_execz .LBB243_26
; %bb.21:                               ;   in Loop: Header=BB243_16 Depth=1
	v_mov_b32_e32 v3, 0x7f800001
	v_and_b32_e32 v2, 0x7f, v0
	v_mov_b32_e32 v4, 0
	s_mov_b32 s25, exec_lo
	buffer_store_dword v3, off, s[0:3], s32 offset:260 ; 4-byte Folded Spill
	buffer_store_dword v4, off, s[0:3], s32 offset:264 ; 4-byte Folded Spill
	v_cmpx_ne_u32_e32 0x7f, v2
	s_cbranch_execz .LBB243_25
; %bb.22:                               ;   in Loop: Header=BB243_16 Depth=1
	v_and_b32_e32 v8, 7, v0
	v_lshrrev_b32_e32 v1, 3, v2
	s_mov_b32 s26, exec_lo
	v_cmpx_gt_u32_e32 8, v2
; %bb.23:                               ;   in Loop: Header=BB243_16 Depth=1
	v_ffbh_u32_e32 v1, v8
	v_min_u32_e32 v1, 32, v1
	v_subrev_nc_u32_e32 v2, 28, v1
	v_sub_nc_u32_e32 v1, 29, v1
	v_lshlrev_b64 v[2:3], v2, v[8:9]
	v_and_b32_e32 v8, 7, v2
; %bb.24:                               ;   in Loop: Header=BB243_16 Depth=1
	s_or_b32 exec_lo, exec_lo, s26
	v_lshlrev_b32_e32 v2, 24, v0
	v_lshlrev_b32_e32 v3, 20, v8
	v_lshl_add_u32 v1, v1, 23, 0x3c000000
	v_and_b32_e32 v2, 0x80000000, v2
	v_or3_b32 v8, v3, v2, v1
	buffer_store_dword v8, off, s[0:3], s32 offset:260 ; 4-byte Folded Spill
	buffer_store_dword v9, off, s[0:3], s32 offset:264 ; 4-byte Folded Spill
.LBB243_25:                             ;   in Loop: Header=BB243_16 Depth=1
	s_or_b32 exec_lo, exec_lo, s25
.LBB243_26:                             ;   in Loop: Header=BB243_16 Depth=1
	s_or_b32 exec_lo, exec_lo, s24
.LBB243_27:                             ;   in Loop: Header=BB243_16 Depth=1
	s_or_b32 exec_lo, exec_lo, s23
	v_cmp_ne_u16_sdwa s5, v0, v9 src0_sel:BYTE_1 src1_sel:DWORD
	s_and_saveexec_b32 s23, s5
	s_cbranch_execz .LBB243_35
; %bb.28:                               ;   in Loop: Header=BB243_16 Depth=1
	v_mov_b32_e32 v1, 0x80
	v_mov_b32_e32 v46, v9
	buffer_store_dword v46, off, s[0:3], s32 offset:268 ; 4-byte Folded Spill
	buffer_store_dword v47, off, s[0:3], s32 offset:272 ; 4-byte Folded Spill
	v_cmp_ne_u16_sdwa s5, v0, v1 src0_sel:BYTE_1 src1_sel:DWORD
	s_and_saveexec_b32 s24, s5
	s_cbranch_execz .LBB243_34
; %bb.29:                               ;   in Loop: Header=BB243_16 Depth=1
	s_clause 0x1
	buffer_load_dword v3, off, s[0:3], s32 offset:200
	buffer_load_dword v4, off, s[0:3], s32 offset:204
	v_mov_b32_e32 v1, 0xffff
	s_mov_b32 s25, exec_lo
	v_and_b32_sdwa v1, v1, v0 dst_sel:DWORD dst_unused:UNUSED_PAD src0_sel:DWORD src1_sel:BYTE_1
	v_and_b32_e32 v2, 0x7f, v1
	s_waitcnt vmcnt(0)
	v_mov_b32_e32 v5, v4
	v_mov_b32_e32 v4, v9
	v_mov_b32_e32 v3, v5
	buffer_store_dword v2, off, s[0:3], s32 offset:200 ; 4-byte Folded Spill
	buffer_store_dword v3, off, s[0:3], s32 offset:204 ; 4-byte Folded Spill
	;; [unrolled: 1-line block ×4, first 2 shown]
	v_cmpx_ne_u32_e32 0x7f, v2
	s_cbranch_execz .LBB243_33
; %bb.30:                               ;   in Loop: Header=BB243_16 Depth=1
	v_and_b32_e32 v8, 7, v1
	v_lshrrev_b32_e32 v1, 3, v2
	s_mov_b32 s26, exec_lo
	v_cmpx_gt_u32_e32 8, v2
; %bb.31:                               ;   in Loop: Header=BB243_16 Depth=1
	v_ffbh_u32_e32 v1, v8
	v_min_u32_e32 v1, 32, v1
	v_subrev_nc_u32_e32 v2, 28, v1
	v_sub_nc_u32_e32 v1, 29, v1
	v_lshlrev_b64 v[2:3], v2, v[8:9]
	v_and_b32_e32 v8, 7, v2
; %bb.32:                               ;   in Loop: Header=BB243_16 Depth=1
	s_or_b32 exec_lo, exec_lo, s26
	v_lshlrev_b32_e32 v2, 16, v0
	v_lshlrev_b32_e32 v3, 20, v8
	v_lshl_add_u32 v1, v1, 23, 0x3c000000
	v_and_b32_e32 v2, 0x80000000, v2
	v_or3_b32 v2, v3, v2, v1
	v_mov_b32_e32 v1, v9
	buffer_store_dword v1, off, s[0:3], s32 offset:268 ; 4-byte Folded Spill
	buffer_store_dword v2, off, s[0:3], s32 offset:272 ; 4-byte Folded Spill
.LBB243_33:                             ;   in Loop: Header=BB243_16 Depth=1
	s_or_b32 exec_lo, exec_lo, s25
.LBB243_34:                             ;   in Loop: Header=BB243_16 Depth=1
	s_or_b32 exec_lo, exec_lo, s24
.LBB243_35:                             ;   in Loop: Header=BB243_16 Depth=1
	s_or_b32 exec_lo, exec_lo, s23
	v_mov_b32_e32 v2, 0
	v_mov_b32_e32 v3, 0
	;; [unrolled: 1-line block ×3, first 2 shown]
	s_mov_b32 s23, exec_lo
	buffer_store_dword v2, off, s[0:3], s32 offset:276 ; 4-byte Folded Spill
	buffer_store_dword v3, off, s[0:3], s32 offset:280 ; 4-byte Folded Spill
	v_mov_b32_e32 v2, 0
	v_and_b32_sdwa v1, v0, v1 dst_sel:DWORD dst_unused:UNUSED_PAD src0_sel:WORD_1 src1_sel:DWORD
	v_mov_b32_e32 v3, 0
	buffer_store_dword v2, off, s[0:3], s32 offset:284 ; 4-byte Folded Spill
	buffer_store_dword v3, off, s[0:3], s32 offset:288 ; 4-byte Folded Spill
	v_cmpx_ne_u16_e32 0, v1
	s_cbranch_execz .LBB243_43
; %bb.36:                               ;   in Loop: Header=BB243_16 Depth=1
	v_cmp_ne_u16_e64 s5, 0x80, v1
	v_bfrev_b32_e32 v1, 1
	v_mov_b32_e32 v2, 0
	buffer_store_dword v1, off, s[0:3], s32 offset:284 ; 4-byte Folded Spill
	buffer_store_dword v2, off, s[0:3], s32 offset:288 ; 4-byte Folded Spill
	s_and_saveexec_b32 s24, s5
	s_cbranch_execz .LBB243_42
; %bb.37:                               ;   in Loop: Header=BB243_16 Depth=1
	v_mov_b32_e32 v3, 0x7f800001
	v_bfe_u32 v2, v0, 16, 7
	v_mov_b32_e32 v4, 0
	s_mov_b32 s25, exec_lo
	buffer_store_dword v3, off, s[0:3], s32 offset:284 ; 4-byte Folded Spill
	buffer_store_dword v4, off, s[0:3], s32 offset:288 ; 4-byte Folded Spill
	v_cmpx_ne_u32_e32 0x7f, v2
	s_cbranch_execz .LBB243_41
; %bb.38:                               ;   in Loop: Header=BB243_16 Depth=1
	v_mov_b32_e32 v1, 7
	s_mov_b32 s26, exec_lo
	v_and_b32_sdwa v8, v0, v1 dst_sel:DWORD dst_unused:UNUSED_PAD src0_sel:WORD_1 src1_sel:DWORD
	v_lshrrev_b32_e32 v1, 3, v2
	v_cmpx_gt_u32_e32 8, v2
; %bb.39:                               ;   in Loop: Header=BB243_16 Depth=1
	v_ffbh_u32_e32 v1, v8
	v_min_u32_e32 v1, 32, v1
	v_subrev_nc_u32_e32 v2, 28, v1
	v_sub_nc_u32_e32 v1, 29, v1
	v_lshlrev_b64 v[2:3], v2, v[8:9]
	v_and_b32_e32 v8, 7, v2
; %bb.40:                               ;   in Loop: Header=BB243_16 Depth=1
	s_or_b32 exec_lo, exec_lo, s26
	v_mov_b32_e32 v2, 24
	v_lshlrev_b32_e32 v3, 20, v8
	v_lshl_add_u32 v1, v1, 23, 0x3c000000
	v_lshlrev_b32_sdwa v2, v2, v0 dst_sel:DWORD dst_unused:UNUSED_PAD src0_sel:DWORD src1_sel:WORD_1
	v_and_b32_e32 v2, 0x80000000, v2
	v_or3_b32 v8, v3, v2, v1
	buffer_store_dword v8, off, s[0:3], s32 offset:284 ; 4-byte Folded Spill
	buffer_store_dword v9, off, s[0:3], s32 offset:288 ; 4-byte Folded Spill
.LBB243_41:                             ;   in Loop: Header=BB243_16 Depth=1
	s_or_b32 exec_lo, exec_lo, s25
.LBB243_42:                             ;   in Loop: Header=BB243_16 Depth=1
	s_or_b32 exec_lo, exec_lo, s24
.LBB243_43:                             ;   in Loop: Header=BB243_16 Depth=1
	s_or_b32 exec_lo, exec_lo, s23
	s_mov_b32 s23, exec_lo
	v_cmpx_lt_u32_e32 0xffffff, v0
	s_cbranch_execz .LBB243_51
; %bb.44:                               ;   in Loop: Header=BB243_16 Depth=1
	v_mov_b32_e32 v1, 0x80
	v_mov_b32_e32 v46, v9
	buffer_store_dword v46, off, s[0:3], s32 offset:276 ; 4-byte Folded Spill
	buffer_store_dword v47, off, s[0:3], s32 offset:280 ; 4-byte Folded Spill
	v_cmp_ne_u32_sdwa s5, v0, v1 src0_sel:BYTE_3 src1_sel:DWORD
	s_and_saveexec_b32 s24, s5
	s_cbranch_execz .LBB243_50
; %bb.45:                               ;   in Loop: Header=BB243_16 Depth=1
	s_clause 0x1
	buffer_load_dword v3, off, s[0:3], s32 offset:200
	buffer_load_dword v4, off, s[0:3], s32 offset:204
	v_bfe_u32 v2, v0, 24, 7
	s_waitcnt vmcnt(1)
	v_mov_b32_e32 v3, v9
	s_mov_b32 s25, exec_lo
	s_waitcnt vmcnt(0)
	v_mov_b32_e32 v1, v4
	buffer_store_dword v0, off, s[0:3], s32 offset:200 ; 4-byte Folded Spill
	buffer_store_dword v1, off, s[0:3], s32 offset:204 ; 4-byte Folded Spill
	;; [unrolled: 1-line block ×4, first 2 shown]
	v_cmpx_ne_u32_e32 0x7f, v2
	s_cbranch_execz .LBB243_49
; %bb.46:                               ;   in Loop: Header=BB243_16 Depth=1
	v_mov_b32_e32 v1, 7
	s_mov_b32 s26, exec_lo
	v_and_b32_sdwa v8, v0, v1 dst_sel:DWORD dst_unused:UNUSED_PAD src0_sel:BYTE_3 src1_sel:DWORD
	v_lshrrev_b32_e32 v1, 3, v2
	v_cmpx_gt_u32_e32 8, v2
; %bb.47:                               ;   in Loop: Header=BB243_16 Depth=1
	v_ffbh_u32_e32 v1, v8
	v_min_u32_e32 v1, 32, v1
	v_subrev_nc_u32_e32 v2, 28, v1
	v_sub_nc_u32_e32 v1, 29, v1
	v_lshlrev_b64 v[2:3], v2, v[8:9]
	v_and_b32_e32 v8, 7, v2
; %bb.48:                               ;   in Loop: Header=BB243_16 Depth=1
	s_or_b32 exec_lo, exec_lo, s26
	v_mov_b32_e32 v2, 24
	v_lshl_add_u32 v1, v1, 23, 0x3c000000
	v_lshlrev_b32_sdwa v0, v2, v0 dst_sel:DWORD dst_unused:UNUSED_PAD src0_sel:DWORD src1_sel:BYTE_3
	v_lshlrev_b32_e32 v2, 20, v8
	v_and_b32_e32 v0, 0x80000000, v0
	v_or3_b32 v1, v2, v0, v1
	v_mov_b32_e32 v0, v9
	buffer_store_dword v0, off, s[0:3], s32 offset:276 ; 4-byte Folded Spill
	buffer_store_dword v1, off, s[0:3], s32 offset:280 ; 4-byte Folded Spill
.LBB243_49:                             ;   in Loop: Header=BB243_16 Depth=1
	s_or_b32 exec_lo, exec_lo, s25
.LBB243_50:                             ;   in Loop: Header=BB243_16 Depth=1
	s_or_b32 exec_lo, exec_lo, s24
.LBB243_51:                             ;   in Loop: Header=BB243_16 Depth=1
	s_or_b32 exec_lo, exec_lo, s23
	flat_load_dword v0, v[114:115] offset:4
	v_mov_b32_e32 v1, 0
	v_mov_b32_e32 v2, 0
	buffer_store_dword v1, off, s[0:3], s32 offset:300 ; 4-byte Folded Spill
	buffer_store_dword v2, off, s[0:3], s32 offset:304 ; 4-byte Folded Spill
	v_mov_b32_e32 v1, 0
	v_mov_b32_e32 v2, 0
	buffer_store_dword v1, off, s[0:3], s32 offset:292 ; 4-byte Folded Spill
	buffer_store_dword v2, off, s[0:3], s32 offset:296 ; 4-byte Folded Spill
	s_waitcnt vmcnt(0) lgkmcnt(0)
	v_cmp_ne_u16_sdwa s5, v0, v9 src0_sel:BYTE_0 src1_sel:DWORD
	s_and_saveexec_b32 s23, s5
	s_cbranch_execz .LBB243_59
; %bb.52:                               ;   in Loop: Header=BB243_16 Depth=1
	v_bfrev_b32_e32 v1, 1
	v_mov_b32_e32 v2, 0
	buffer_store_dword v1, off, s[0:3], s32 offset:292 ; 4-byte Folded Spill
	buffer_store_dword v2, off, s[0:3], s32 offset:296 ; 4-byte Folded Spill
	v_mov_b32_e32 v1, 0x80
	v_cmp_ne_u16_sdwa s5, v0, v1 src0_sel:BYTE_0 src1_sel:DWORD
	s_and_saveexec_b32 s24, s5
	s_cbranch_execz .LBB243_58
; %bb.53:                               ;   in Loop: Header=BB243_16 Depth=1
	v_mov_b32_e32 v3, 0x7f800001
	v_and_b32_e32 v2, 0x7f, v0
	v_mov_b32_e32 v4, 0
	s_mov_b32 s25, exec_lo
	buffer_store_dword v3, off, s[0:3], s32 offset:292 ; 4-byte Folded Spill
	buffer_store_dword v4, off, s[0:3], s32 offset:296 ; 4-byte Folded Spill
	v_cmpx_ne_u32_e32 0x7f, v2
	s_cbranch_execz .LBB243_57
; %bb.54:                               ;   in Loop: Header=BB243_16 Depth=1
	v_and_b32_e32 v8, 7, v0
	v_lshrrev_b32_e32 v1, 3, v2
	s_mov_b32 s26, exec_lo
	v_cmpx_gt_u32_e32 8, v2
; %bb.55:                               ;   in Loop: Header=BB243_16 Depth=1
	v_ffbh_u32_e32 v1, v8
	v_min_u32_e32 v1, 32, v1
	v_subrev_nc_u32_e32 v2, 28, v1
	v_sub_nc_u32_e32 v1, 29, v1
	v_lshlrev_b64 v[2:3], v2, v[8:9]
	v_and_b32_e32 v8, 7, v2
; %bb.56:                               ;   in Loop: Header=BB243_16 Depth=1
	s_or_b32 exec_lo, exec_lo, s26
	v_lshlrev_b32_e32 v2, 24, v0
	v_lshlrev_b32_e32 v3, 20, v8
	v_lshl_add_u32 v1, v1, 23, 0x3c000000
	v_and_b32_e32 v2, 0x80000000, v2
	v_or3_b32 v8, v3, v2, v1
	buffer_store_dword v8, off, s[0:3], s32 offset:292 ; 4-byte Folded Spill
	buffer_store_dword v9, off, s[0:3], s32 offset:296 ; 4-byte Folded Spill
.LBB243_57:                             ;   in Loop: Header=BB243_16 Depth=1
	s_or_b32 exec_lo, exec_lo, s25
.LBB243_58:                             ;   in Loop: Header=BB243_16 Depth=1
	s_or_b32 exec_lo, exec_lo, s24
.LBB243_59:                             ;   in Loop: Header=BB243_16 Depth=1
	s_or_b32 exec_lo, exec_lo, s23
	v_cmp_ne_u16_sdwa s5, v0, v9 src0_sel:BYTE_1 src1_sel:DWORD
	s_and_saveexec_b32 s23, s5
	s_cbranch_execz .LBB243_67
; %bb.60:                               ;   in Loop: Header=BB243_16 Depth=1
	v_mov_b32_e32 v1, 0x80
	v_mov_b32_e32 v46, v9
	buffer_store_dword v46, off, s[0:3], s32 offset:300 ; 4-byte Folded Spill
	buffer_store_dword v47, off, s[0:3], s32 offset:304 ; 4-byte Folded Spill
	v_cmp_ne_u16_sdwa s5, v0, v1 src0_sel:BYTE_1 src1_sel:DWORD
	s_and_saveexec_b32 s24, s5
	s_cbranch_execz .LBB243_66
; %bb.61:                               ;   in Loop: Header=BB243_16 Depth=1
	s_clause 0x1
	buffer_load_dword v3, off, s[0:3], s32 offset:200
	buffer_load_dword v4, off, s[0:3], s32 offset:204
	v_mov_b32_e32 v1, 0xffff
	s_mov_b32 s25, exec_lo
	v_and_b32_sdwa v1, v1, v0 dst_sel:DWORD dst_unused:UNUSED_PAD src0_sel:DWORD src1_sel:BYTE_1
	v_and_b32_e32 v2, 0x7f, v1
	s_waitcnt vmcnt(0)
	v_mov_b32_e32 v5, v4
	v_mov_b32_e32 v4, v9
	;; [unrolled: 1-line block ×3, first 2 shown]
	buffer_store_dword v2, off, s[0:3], s32 offset:200 ; 4-byte Folded Spill
	buffer_store_dword v3, off, s[0:3], s32 offset:204 ; 4-byte Folded Spill
	;; [unrolled: 1-line block ×4, first 2 shown]
	v_cmpx_ne_u32_e32 0x7f, v2
	s_cbranch_execz .LBB243_65
; %bb.62:                               ;   in Loop: Header=BB243_16 Depth=1
	v_and_b32_e32 v8, 7, v1
	v_lshrrev_b32_e32 v1, 3, v2
	s_mov_b32 s26, exec_lo
	v_cmpx_gt_u32_e32 8, v2
; %bb.63:                               ;   in Loop: Header=BB243_16 Depth=1
	v_ffbh_u32_e32 v1, v8
	v_min_u32_e32 v1, 32, v1
	v_subrev_nc_u32_e32 v2, 28, v1
	v_sub_nc_u32_e32 v1, 29, v1
	v_lshlrev_b64 v[2:3], v2, v[8:9]
	v_and_b32_e32 v8, 7, v2
; %bb.64:                               ;   in Loop: Header=BB243_16 Depth=1
	s_or_b32 exec_lo, exec_lo, s26
	v_lshlrev_b32_e32 v2, 16, v0
	v_lshlrev_b32_e32 v3, 20, v8
	v_lshl_add_u32 v1, v1, 23, 0x3c000000
	v_and_b32_e32 v2, 0x80000000, v2
	v_or3_b32 v2, v3, v2, v1
	v_mov_b32_e32 v1, v9
	buffer_store_dword v1, off, s[0:3], s32 offset:300 ; 4-byte Folded Spill
	buffer_store_dword v2, off, s[0:3], s32 offset:304 ; 4-byte Folded Spill
.LBB243_65:                             ;   in Loop: Header=BB243_16 Depth=1
	s_or_b32 exec_lo, exec_lo, s25
.LBB243_66:                             ;   in Loop: Header=BB243_16 Depth=1
	s_or_b32 exec_lo, exec_lo, s24
.LBB243_67:                             ;   in Loop: Header=BB243_16 Depth=1
	s_or_b32 exec_lo, exec_lo, s23
	v_mov_b32_e32 v2, 0
	v_mov_b32_e32 v3, 0
	;; [unrolled: 1-line block ×3, first 2 shown]
	s_mov_b32 s23, exec_lo
	buffer_store_dword v2, off, s[0:3], s32 offset:308 ; 4-byte Folded Spill
	buffer_store_dword v3, off, s[0:3], s32 offset:312 ; 4-byte Folded Spill
	v_mov_b32_e32 v2, 0
	v_and_b32_sdwa v1, v0, v1 dst_sel:DWORD dst_unused:UNUSED_PAD src0_sel:WORD_1 src1_sel:DWORD
	v_mov_b32_e32 v3, 0
	buffer_store_dword v2, off, s[0:3], s32 offset:316 ; 4-byte Folded Spill
	buffer_store_dword v3, off, s[0:3], s32 offset:320 ; 4-byte Folded Spill
	v_cmpx_ne_u16_e32 0, v1
	s_cbranch_execz .LBB243_75
; %bb.68:                               ;   in Loop: Header=BB243_16 Depth=1
	v_cmp_ne_u16_e64 s5, 0x80, v1
	v_bfrev_b32_e32 v1, 1
	v_mov_b32_e32 v2, 0
	buffer_store_dword v1, off, s[0:3], s32 offset:316 ; 4-byte Folded Spill
	buffer_store_dword v2, off, s[0:3], s32 offset:320 ; 4-byte Folded Spill
	s_and_saveexec_b32 s24, s5
	s_cbranch_execz .LBB243_74
; %bb.69:                               ;   in Loop: Header=BB243_16 Depth=1
	v_mov_b32_e32 v3, 0x7f800001
	v_bfe_u32 v2, v0, 16, 7
	v_mov_b32_e32 v4, 0
	s_mov_b32 s25, exec_lo
	buffer_store_dword v3, off, s[0:3], s32 offset:316 ; 4-byte Folded Spill
	buffer_store_dword v4, off, s[0:3], s32 offset:320 ; 4-byte Folded Spill
	v_cmpx_ne_u32_e32 0x7f, v2
	s_cbranch_execz .LBB243_73
; %bb.70:                               ;   in Loop: Header=BB243_16 Depth=1
	v_mov_b32_e32 v1, 7
	s_mov_b32 s26, exec_lo
	v_and_b32_sdwa v8, v0, v1 dst_sel:DWORD dst_unused:UNUSED_PAD src0_sel:WORD_1 src1_sel:DWORD
	v_lshrrev_b32_e32 v1, 3, v2
	v_cmpx_gt_u32_e32 8, v2
; %bb.71:                               ;   in Loop: Header=BB243_16 Depth=1
	v_ffbh_u32_e32 v1, v8
	v_min_u32_e32 v1, 32, v1
	v_subrev_nc_u32_e32 v2, 28, v1
	v_sub_nc_u32_e32 v1, 29, v1
	v_lshlrev_b64 v[2:3], v2, v[8:9]
	v_and_b32_e32 v8, 7, v2
; %bb.72:                               ;   in Loop: Header=BB243_16 Depth=1
	s_or_b32 exec_lo, exec_lo, s26
	v_mov_b32_e32 v2, 24
	v_lshlrev_b32_e32 v3, 20, v8
	v_lshl_add_u32 v1, v1, 23, 0x3c000000
	v_lshlrev_b32_sdwa v2, v2, v0 dst_sel:DWORD dst_unused:UNUSED_PAD src0_sel:DWORD src1_sel:WORD_1
	v_and_b32_e32 v2, 0x80000000, v2
	v_or3_b32 v8, v3, v2, v1
	buffer_store_dword v8, off, s[0:3], s32 offset:316 ; 4-byte Folded Spill
	buffer_store_dword v9, off, s[0:3], s32 offset:320 ; 4-byte Folded Spill
.LBB243_73:                             ;   in Loop: Header=BB243_16 Depth=1
	s_or_b32 exec_lo, exec_lo, s25
.LBB243_74:                             ;   in Loop: Header=BB243_16 Depth=1
	s_or_b32 exec_lo, exec_lo, s24
.LBB243_75:                             ;   in Loop: Header=BB243_16 Depth=1
	s_or_b32 exec_lo, exec_lo, s23
	s_mov_b32 s23, exec_lo
	v_cmpx_lt_u32_e32 0xffffff, v0
	s_cbranch_execz .LBB243_83
; %bb.76:                               ;   in Loop: Header=BB243_16 Depth=1
	v_mov_b32_e32 v1, 0x80
	v_mov_b32_e32 v46, v9
	buffer_store_dword v46, off, s[0:3], s32 offset:308 ; 4-byte Folded Spill
	buffer_store_dword v47, off, s[0:3], s32 offset:312 ; 4-byte Folded Spill
	v_cmp_ne_u32_sdwa s5, v0, v1 src0_sel:BYTE_3 src1_sel:DWORD
	s_and_saveexec_b32 s24, s5
	s_cbranch_execz .LBB243_82
; %bb.77:                               ;   in Loop: Header=BB243_16 Depth=1
	s_clause 0x1
	buffer_load_dword v3, off, s[0:3], s32 offset:200
	buffer_load_dword v4, off, s[0:3], s32 offset:204
	v_bfe_u32 v2, v0, 24, 7
	s_waitcnt vmcnt(1)
	v_mov_b32_e32 v3, v9
	s_mov_b32 s25, exec_lo
	s_waitcnt vmcnt(0)
	v_mov_b32_e32 v1, v4
	buffer_store_dword v0, off, s[0:3], s32 offset:200 ; 4-byte Folded Spill
	buffer_store_dword v1, off, s[0:3], s32 offset:204 ; 4-byte Folded Spill
	;; [unrolled: 1-line block ×4, first 2 shown]
	v_cmpx_ne_u32_e32 0x7f, v2
	s_cbranch_execz .LBB243_81
; %bb.78:                               ;   in Loop: Header=BB243_16 Depth=1
	v_mov_b32_e32 v1, 7
	s_mov_b32 s26, exec_lo
	v_and_b32_sdwa v8, v0, v1 dst_sel:DWORD dst_unused:UNUSED_PAD src0_sel:BYTE_3 src1_sel:DWORD
	v_lshrrev_b32_e32 v1, 3, v2
	v_cmpx_gt_u32_e32 8, v2
; %bb.79:                               ;   in Loop: Header=BB243_16 Depth=1
	v_ffbh_u32_e32 v1, v8
	v_min_u32_e32 v1, 32, v1
	v_subrev_nc_u32_e32 v2, 28, v1
	v_sub_nc_u32_e32 v1, 29, v1
	v_lshlrev_b64 v[2:3], v2, v[8:9]
	v_and_b32_e32 v8, 7, v2
; %bb.80:                               ;   in Loop: Header=BB243_16 Depth=1
	s_or_b32 exec_lo, exec_lo, s26
	v_mov_b32_e32 v2, 24
	v_lshl_add_u32 v1, v1, 23, 0x3c000000
	v_lshlrev_b32_sdwa v0, v2, v0 dst_sel:DWORD dst_unused:UNUSED_PAD src0_sel:DWORD src1_sel:BYTE_3
	v_lshlrev_b32_e32 v2, 20, v8
	v_and_b32_e32 v0, 0x80000000, v0
	v_or3_b32 v1, v2, v0, v1
	v_mov_b32_e32 v0, v9
	buffer_store_dword v0, off, s[0:3], s32 offset:308 ; 4-byte Folded Spill
	buffer_store_dword v1, off, s[0:3], s32 offset:312 ; 4-byte Folded Spill
.LBB243_81:                             ;   in Loop: Header=BB243_16 Depth=1
	s_or_b32 exec_lo, exec_lo, s25
.LBB243_82:                             ;   in Loop: Header=BB243_16 Depth=1
	s_or_b32 exec_lo, exec_lo, s24
.LBB243_83:                             ;   in Loop: Header=BB243_16 Depth=1
	s_or_b32 exec_lo, exec_lo, s23
	flat_load_dword v0, v[114:115] offset:8
	v_mov_b32_e32 v1, 0
	v_mov_b32_e32 v2, 0
	buffer_store_dword v1, off, s[0:3], s32 offset:332 ; 4-byte Folded Spill
	buffer_store_dword v2, off, s[0:3], s32 offset:336 ; 4-byte Folded Spill
	v_mov_b32_e32 v1, 0
	v_mov_b32_e32 v2, 0
	buffer_store_dword v1, off, s[0:3], s32 offset:324 ; 4-byte Folded Spill
	buffer_store_dword v2, off, s[0:3], s32 offset:328 ; 4-byte Folded Spill
	s_waitcnt vmcnt(0) lgkmcnt(0)
	v_cmp_ne_u16_sdwa s5, v0, v9 src0_sel:BYTE_0 src1_sel:DWORD
	s_and_saveexec_b32 s23, s5
	s_cbranch_execz .LBB243_91
; %bb.84:                               ;   in Loop: Header=BB243_16 Depth=1
	v_bfrev_b32_e32 v1, 1
	v_mov_b32_e32 v2, 0
	buffer_store_dword v1, off, s[0:3], s32 offset:324 ; 4-byte Folded Spill
	buffer_store_dword v2, off, s[0:3], s32 offset:328 ; 4-byte Folded Spill
	v_mov_b32_e32 v1, 0x80
	v_cmp_ne_u16_sdwa s5, v0, v1 src0_sel:BYTE_0 src1_sel:DWORD
	s_and_saveexec_b32 s24, s5
	s_cbranch_execz .LBB243_90
; %bb.85:                               ;   in Loop: Header=BB243_16 Depth=1
	v_mov_b32_e32 v3, 0x7f800001
	v_and_b32_e32 v2, 0x7f, v0
	v_mov_b32_e32 v4, 0
	s_mov_b32 s25, exec_lo
	buffer_store_dword v3, off, s[0:3], s32 offset:324 ; 4-byte Folded Spill
	buffer_store_dword v4, off, s[0:3], s32 offset:328 ; 4-byte Folded Spill
	v_cmpx_ne_u32_e32 0x7f, v2
	s_cbranch_execz .LBB243_89
; %bb.86:                               ;   in Loop: Header=BB243_16 Depth=1
	v_and_b32_e32 v8, 7, v0
	v_lshrrev_b32_e32 v1, 3, v2
	s_mov_b32 s26, exec_lo
	v_cmpx_gt_u32_e32 8, v2
; %bb.87:                               ;   in Loop: Header=BB243_16 Depth=1
	v_ffbh_u32_e32 v1, v8
	v_min_u32_e32 v1, 32, v1
	v_subrev_nc_u32_e32 v2, 28, v1
	v_sub_nc_u32_e32 v1, 29, v1
	v_lshlrev_b64 v[2:3], v2, v[8:9]
	v_and_b32_e32 v8, 7, v2
; %bb.88:                               ;   in Loop: Header=BB243_16 Depth=1
	s_or_b32 exec_lo, exec_lo, s26
	v_lshlrev_b32_e32 v2, 24, v0
	v_lshlrev_b32_e32 v3, 20, v8
	v_lshl_add_u32 v1, v1, 23, 0x3c000000
	v_and_b32_e32 v2, 0x80000000, v2
	v_or3_b32 v8, v3, v2, v1
	buffer_store_dword v8, off, s[0:3], s32 offset:324 ; 4-byte Folded Spill
	buffer_store_dword v9, off, s[0:3], s32 offset:328 ; 4-byte Folded Spill
.LBB243_89:                             ;   in Loop: Header=BB243_16 Depth=1
	s_or_b32 exec_lo, exec_lo, s25
.LBB243_90:                             ;   in Loop: Header=BB243_16 Depth=1
	s_or_b32 exec_lo, exec_lo, s24
.LBB243_91:                             ;   in Loop: Header=BB243_16 Depth=1
	s_or_b32 exec_lo, exec_lo, s23
	v_cmp_ne_u16_sdwa s5, v0, v9 src0_sel:BYTE_1 src1_sel:DWORD
	s_and_saveexec_b32 s23, s5
	s_cbranch_execz .LBB243_99
; %bb.92:                               ;   in Loop: Header=BB243_16 Depth=1
	v_mov_b32_e32 v1, 0x80
	v_mov_b32_e32 v46, v9
	buffer_store_dword v46, off, s[0:3], s32 offset:332 ; 4-byte Folded Spill
	buffer_store_dword v47, off, s[0:3], s32 offset:336 ; 4-byte Folded Spill
	v_cmp_ne_u16_sdwa s5, v0, v1 src0_sel:BYTE_1 src1_sel:DWORD
	s_and_saveexec_b32 s24, s5
	s_cbranch_execz .LBB243_98
; %bb.93:                               ;   in Loop: Header=BB243_16 Depth=1
	s_clause 0x1
	buffer_load_dword v3, off, s[0:3], s32 offset:200
	buffer_load_dword v4, off, s[0:3], s32 offset:204
	v_mov_b32_e32 v1, 0xffff
	s_mov_b32 s25, exec_lo
	v_and_b32_sdwa v1, v1, v0 dst_sel:DWORD dst_unused:UNUSED_PAD src0_sel:DWORD src1_sel:BYTE_1
	v_and_b32_e32 v2, 0x7f, v1
	s_waitcnt vmcnt(0)
	v_mov_b32_e32 v5, v4
	v_mov_b32_e32 v4, v9
	v_mov_b32_e32 v3, v5
	buffer_store_dword v2, off, s[0:3], s32 offset:200 ; 4-byte Folded Spill
	buffer_store_dword v3, off, s[0:3], s32 offset:204 ; 4-byte Folded Spill
	;; [unrolled: 1-line block ×4, first 2 shown]
	v_cmpx_ne_u32_e32 0x7f, v2
	s_cbranch_execz .LBB243_97
; %bb.94:                               ;   in Loop: Header=BB243_16 Depth=1
	v_and_b32_e32 v8, 7, v1
	v_lshrrev_b32_e32 v1, 3, v2
	s_mov_b32 s26, exec_lo
	v_cmpx_gt_u32_e32 8, v2
; %bb.95:                               ;   in Loop: Header=BB243_16 Depth=1
	v_ffbh_u32_e32 v1, v8
	v_min_u32_e32 v1, 32, v1
	v_subrev_nc_u32_e32 v2, 28, v1
	v_sub_nc_u32_e32 v1, 29, v1
	v_lshlrev_b64 v[2:3], v2, v[8:9]
	v_and_b32_e32 v8, 7, v2
; %bb.96:                               ;   in Loop: Header=BB243_16 Depth=1
	s_or_b32 exec_lo, exec_lo, s26
	v_lshlrev_b32_e32 v2, 16, v0
	v_lshlrev_b32_e32 v3, 20, v8
	v_lshl_add_u32 v1, v1, 23, 0x3c000000
	v_and_b32_e32 v2, 0x80000000, v2
	v_or3_b32 v2, v3, v2, v1
	v_mov_b32_e32 v1, v9
	buffer_store_dword v1, off, s[0:3], s32 offset:332 ; 4-byte Folded Spill
	buffer_store_dword v2, off, s[0:3], s32 offset:336 ; 4-byte Folded Spill
.LBB243_97:                             ;   in Loop: Header=BB243_16 Depth=1
	s_or_b32 exec_lo, exec_lo, s25
.LBB243_98:                             ;   in Loop: Header=BB243_16 Depth=1
	s_or_b32 exec_lo, exec_lo, s24
.LBB243_99:                             ;   in Loop: Header=BB243_16 Depth=1
	s_or_b32 exec_lo, exec_lo, s23
	v_mov_b32_e32 v2, 0
	v_mov_b32_e32 v3, 0
	;; [unrolled: 1-line block ×3, first 2 shown]
	s_mov_b32 s23, exec_lo
	buffer_store_dword v2, off, s[0:3], s32 offset:340 ; 4-byte Folded Spill
	buffer_store_dword v3, off, s[0:3], s32 offset:344 ; 4-byte Folded Spill
	v_mov_b32_e32 v2, 0
	v_and_b32_sdwa v1, v0, v1 dst_sel:DWORD dst_unused:UNUSED_PAD src0_sel:WORD_1 src1_sel:DWORD
	v_mov_b32_e32 v3, 0
	buffer_store_dword v2, off, s[0:3], s32 offset:348 ; 4-byte Folded Spill
	buffer_store_dword v3, off, s[0:3], s32 offset:352 ; 4-byte Folded Spill
	v_cmpx_ne_u16_e32 0, v1
	s_cbranch_execz .LBB243_107
; %bb.100:                              ;   in Loop: Header=BB243_16 Depth=1
	v_cmp_ne_u16_e64 s5, 0x80, v1
	v_bfrev_b32_e32 v1, 1
	v_mov_b32_e32 v2, 0
	buffer_store_dword v1, off, s[0:3], s32 offset:348 ; 4-byte Folded Spill
	buffer_store_dword v2, off, s[0:3], s32 offset:352 ; 4-byte Folded Spill
	s_and_saveexec_b32 s24, s5
	s_cbranch_execz .LBB243_106
; %bb.101:                              ;   in Loop: Header=BB243_16 Depth=1
	v_mov_b32_e32 v3, 0x7f800001
	v_bfe_u32 v2, v0, 16, 7
	v_mov_b32_e32 v4, 0
	s_mov_b32 s25, exec_lo
	buffer_store_dword v3, off, s[0:3], s32 offset:348 ; 4-byte Folded Spill
	buffer_store_dword v4, off, s[0:3], s32 offset:352 ; 4-byte Folded Spill
	v_cmpx_ne_u32_e32 0x7f, v2
	s_cbranch_execz .LBB243_105
; %bb.102:                              ;   in Loop: Header=BB243_16 Depth=1
	v_mov_b32_e32 v1, 7
	s_mov_b32 s26, exec_lo
	v_and_b32_sdwa v8, v0, v1 dst_sel:DWORD dst_unused:UNUSED_PAD src0_sel:WORD_1 src1_sel:DWORD
	v_lshrrev_b32_e32 v1, 3, v2
	v_cmpx_gt_u32_e32 8, v2
; %bb.103:                              ;   in Loop: Header=BB243_16 Depth=1
	v_ffbh_u32_e32 v1, v8
	v_min_u32_e32 v1, 32, v1
	v_subrev_nc_u32_e32 v2, 28, v1
	v_sub_nc_u32_e32 v1, 29, v1
	v_lshlrev_b64 v[2:3], v2, v[8:9]
	v_and_b32_e32 v8, 7, v2
; %bb.104:                              ;   in Loop: Header=BB243_16 Depth=1
	s_or_b32 exec_lo, exec_lo, s26
	v_mov_b32_e32 v2, 24
	v_lshlrev_b32_e32 v3, 20, v8
	v_lshl_add_u32 v1, v1, 23, 0x3c000000
	v_lshlrev_b32_sdwa v2, v2, v0 dst_sel:DWORD dst_unused:UNUSED_PAD src0_sel:DWORD src1_sel:WORD_1
	v_and_b32_e32 v2, 0x80000000, v2
	v_or3_b32 v8, v3, v2, v1
	buffer_store_dword v8, off, s[0:3], s32 offset:348 ; 4-byte Folded Spill
	buffer_store_dword v9, off, s[0:3], s32 offset:352 ; 4-byte Folded Spill
.LBB243_105:                            ;   in Loop: Header=BB243_16 Depth=1
	s_or_b32 exec_lo, exec_lo, s25
.LBB243_106:                            ;   in Loop: Header=BB243_16 Depth=1
	s_or_b32 exec_lo, exec_lo, s24
.LBB243_107:                            ;   in Loop: Header=BB243_16 Depth=1
	s_or_b32 exec_lo, exec_lo, s23
	s_mov_b32 s23, exec_lo
	v_cmpx_lt_u32_e32 0xffffff, v0
	s_cbranch_execz .LBB243_115
; %bb.108:                              ;   in Loop: Header=BB243_16 Depth=1
	v_mov_b32_e32 v1, 0x80
	v_mov_b32_e32 v46, v9
	buffer_store_dword v46, off, s[0:3], s32 offset:340 ; 4-byte Folded Spill
	buffer_store_dword v47, off, s[0:3], s32 offset:344 ; 4-byte Folded Spill
	v_cmp_ne_u32_sdwa s5, v0, v1 src0_sel:BYTE_3 src1_sel:DWORD
	s_and_saveexec_b32 s24, s5
	s_cbranch_execz .LBB243_114
; %bb.109:                              ;   in Loop: Header=BB243_16 Depth=1
	s_clause 0x1
	buffer_load_dword v3, off, s[0:3], s32 offset:200
	buffer_load_dword v4, off, s[0:3], s32 offset:204
	v_bfe_u32 v2, v0, 24, 7
	s_waitcnt vmcnt(1)
	v_mov_b32_e32 v3, v9
	s_mov_b32 s25, exec_lo
	s_waitcnt vmcnt(0)
	v_mov_b32_e32 v1, v4
	buffer_store_dword v0, off, s[0:3], s32 offset:200 ; 4-byte Folded Spill
	buffer_store_dword v1, off, s[0:3], s32 offset:204 ; 4-byte Folded Spill
	;; [unrolled: 1-line block ×4, first 2 shown]
	v_cmpx_ne_u32_e32 0x7f, v2
	s_cbranch_execz .LBB243_113
; %bb.110:                              ;   in Loop: Header=BB243_16 Depth=1
	v_mov_b32_e32 v1, 7
	s_mov_b32 s26, exec_lo
	v_and_b32_sdwa v8, v0, v1 dst_sel:DWORD dst_unused:UNUSED_PAD src0_sel:BYTE_3 src1_sel:DWORD
	v_lshrrev_b32_e32 v1, 3, v2
	v_cmpx_gt_u32_e32 8, v2
; %bb.111:                              ;   in Loop: Header=BB243_16 Depth=1
	v_ffbh_u32_e32 v1, v8
	v_min_u32_e32 v1, 32, v1
	v_subrev_nc_u32_e32 v2, 28, v1
	v_sub_nc_u32_e32 v1, 29, v1
	v_lshlrev_b64 v[2:3], v2, v[8:9]
	v_and_b32_e32 v8, 7, v2
; %bb.112:                              ;   in Loop: Header=BB243_16 Depth=1
	s_or_b32 exec_lo, exec_lo, s26
	v_mov_b32_e32 v2, 24
	v_lshl_add_u32 v1, v1, 23, 0x3c000000
	v_lshlrev_b32_sdwa v0, v2, v0 dst_sel:DWORD dst_unused:UNUSED_PAD src0_sel:DWORD src1_sel:BYTE_3
	v_lshlrev_b32_e32 v2, 20, v8
	v_and_b32_e32 v0, 0x80000000, v0
	v_or3_b32 v1, v2, v0, v1
	v_mov_b32_e32 v0, v9
	buffer_store_dword v0, off, s[0:3], s32 offset:340 ; 4-byte Folded Spill
	buffer_store_dword v1, off, s[0:3], s32 offset:344 ; 4-byte Folded Spill
.LBB243_113:                            ;   in Loop: Header=BB243_16 Depth=1
	s_or_b32 exec_lo, exec_lo, s25
.LBB243_114:                            ;   in Loop: Header=BB243_16 Depth=1
	s_or_b32 exec_lo, exec_lo, s24
.LBB243_115:                            ;   in Loop: Header=BB243_16 Depth=1
	s_or_b32 exec_lo, exec_lo, s23
	flat_load_dword v0, v[114:115] offset:12
	v_mov_b32_e32 v1, 0
	v_mov_b32_e32 v2, 0
	buffer_store_dword v1, off, s[0:3], s32 offset:364 ; 4-byte Folded Spill
	buffer_store_dword v2, off, s[0:3], s32 offset:368 ; 4-byte Folded Spill
	v_mov_b32_e32 v1, 0
	v_mov_b32_e32 v2, 0
	buffer_store_dword v1, off, s[0:3], s32 offset:356 ; 4-byte Folded Spill
	buffer_store_dword v2, off, s[0:3], s32 offset:360 ; 4-byte Folded Spill
	s_waitcnt vmcnt(0) lgkmcnt(0)
	v_cmp_ne_u16_sdwa s5, v0, v9 src0_sel:BYTE_0 src1_sel:DWORD
	s_and_saveexec_b32 s23, s5
	s_cbranch_execz .LBB243_123
; %bb.116:                              ;   in Loop: Header=BB243_16 Depth=1
	v_bfrev_b32_e32 v1, 1
	v_mov_b32_e32 v2, 0
	buffer_store_dword v1, off, s[0:3], s32 offset:356 ; 4-byte Folded Spill
	buffer_store_dword v2, off, s[0:3], s32 offset:360 ; 4-byte Folded Spill
	v_mov_b32_e32 v1, 0x80
	v_cmp_ne_u16_sdwa s5, v0, v1 src0_sel:BYTE_0 src1_sel:DWORD
	s_and_saveexec_b32 s24, s5
	s_cbranch_execz .LBB243_122
; %bb.117:                              ;   in Loop: Header=BB243_16 Depth=1
	v_mov_b32_e32 v3, 0x7f800001
	v_and_b32_e32 v2, 0x7f, v0
	v_mov_b32_e32 v4, 0
	s_mov_b32 s25, exec_lo
	buffer_store_dword v3, off, s[0:3], s32 offset:356 ; 4-byte Folded Spill
	buffer_store_dword v4, off, s[0:3], s32 offset:360 ; 4-byte Folded Spill
	v_cmpx_ne_u32_e32 0x7f, v2
	s_cbranch_execz .LBB243_121
; %bb.118:                              ;   in Loop: Header=BB243_16 Depth=1
	v_and_b32_e32 v8, 7, v0
	v_lshrrev_b32_e32 v1, 3, v2
	s_mov_b32 s26, exec_lo
	v_cmpx_gt_u32_e32 8, v2
; %bb.119:                              ;   in Loop: Header=BB243_16 Depth=1
	v_ffbh_u32_e32 v1, v8
	v_min_u32_e32 v1, 32, v1
	v_subrev_nc_u32_e32 v2, 28, v1
	v_sub_nc_u32_e32 v1, 29, v1
	v_lshlrev_b64 v[2:3], v2, v[8:9]
	v_and_b32_e32 v8, 7, v2
; %bb.120:                              ;   in Loop: Header=BB243_16 Depth=1
	s_or_b32 exec_lo, exec_lo, s26
	v_lshlrev_b32_e32 v2, 24, v0
	v_lshlrev_b32_e32 v3, 20, v8
	v_lshl_add_u32 v1, v1, 23, 0x3c000000
	v_and_b32_e32 v2, 0x80000000, v2
	v_or3_b32 v8, v3, v2, v1
	buffer_store_dword v8, off, s[0:3], s32 offset:356 ; 4-byte Folded Spill
	buffer_store_dword v9, off, s[0:3], s32 offset:360 ; 4-byte Folded Spill
.LBB243_121:                            ;   in Loop: Header=BB243_16 Depth=1
	s_or_b32 exec_lo, exec_lo, s25
.LBB243_122:                            ;   in Loop: Header=BB243_16 Depth=1
	s_or_b32 exec_lo, exec_lo, s24
.LBB243_123:                            ;   in Loop: Header=BB243_16 Depth=1
	s_or_b32 exec_lo, exec_lo, s23
	v_cmp_ne_u16_sdwa s5, v0, v9 src0_sel:BYTE_1 src1_sel:DWORD
	s_and_saveexec_b32 s23, s5
	s_cbranch_execz .LBB243_131
; %bb.124:                              ;   in Loop: Header=BB243_16 Depth=1
	v_mov_b32_e32 v1, 0x80
	v_mov_b32_e32 v46, v9
	buffer_store_dword v46, off, s[0:3], s32 offset:364 ; 4-byte Folded Spill
	buffer_store_dword v47, off, s[0:3], s32 offset:368 ; 4-byte Folded Spill
	v_cmp_ne_u16_sdwa s5, v0, v1 src0_sel:BYTE_1 src1_sel:DWORD
	s_and_saveexec_b32 s24, s5
	s_cbranch_execz .LBB243_130
; %bb.125:                              ;   in Loop: Header=BB243_16 Depth=1
	s_clause 0x1
	buffer_load_dword v3, off, s[0:3], s32 offset:200
	buffer_load_dword v4, off, s[0:3], s32 offset:204
	v_mov_b32_e32 v1, 0xffff
	s_mov_b32 s25, exec_lo
	v_and_b32_sdwa v1, v1, v0 dst_sel:DWORD dst_unused:UNUSED_PAD src0_sel:DWORD src1_sel:BYTE_1
	v_and_b32_e32 v2, 0x7f, v1
	s_waitcnt vmcnt(0)
	v_mov_b32_e32 v5, v4
	v_mov_b32_e32 v4, v9
	;; [unrolled: 1-line block ×3, first 2 shown]
	buffer_store_dword v2, off, s[0:3], s32 offset:200 ; 4-byte Folded Spill
	buffer_store_dword v3, off, s[0:3], s32 offset:204 ; 4-byte Folded Spill
	;; [unrolled: 1-line block ×4, first 2 shown]
	v_cmpx_ne_u32_e32 0x7f, v2
	s_cbranch_execz .LBB243_129
; %bb.126:                              ;   in Loop: Header=BB243_16 Depth=1
	v_and_b32_e32 v8, 7, v1
	v_lshrrev_b32_e32 v1, 3, v2
	s_mov_b32 s26, exec_lo
	v_cmpx_gt_u32_e32 8, v2
; %bb.127:                              ;   in Loop: Header=BB243_16 Depth=1
	v_ffbh_u32_e32 v1, v8
	v_min_u32_e32 v1, 32, v1
	v_subrev_nc_u32_e32 v2, 28, v1
	v_sub_nc_u32_e32 v1, 29, v1
	v_lshlrev_b64 v[2:3], v2, v[8:9]
	v_and_b32_e32 v8, 7, v2
; %bb.128:                              ;   in Loop: Header=BB243_16 Depth=1
	s_or_b32 exec_lo, exec_lo, s26
	v_lshlrev_b32_e32 v2, 16, v0
	v_lshlrev_b32_e32 v3, 20, v8
	v_lshl_add_u32 v1, v1, 23, 0x3c000000
	v_and_b32_e32 v2, 0x80000000, v2
	v_or3_b32 v2, v3, v2, v1
	v_mov_b32_e32 v1, v9
	buffer_store_dword v1, off, s[0:3], s32 offset:364 ; 4-byte Folded Spill
	buffer_store_dword v2, off, s[0:3], s32 offset:368 ; 4-byte Folded Spill
.LBB243_129:                            ;   in Loop: Header=BB243_16 Depth=1
	s_or_b32 exec_lo, exec_lo, s25
.LBB243_130:                            ;   in Loop: Header=BB243_16 Depth=1
	s_or_b32 exec_lo, exec_lo, s24
.LBB243_131:                            ;   in Loop: Header=BB243_16 Depth=1
	s_or_b32 exec_lo, exec_lo, s23
	v_mov_b32_e32 v2, 0
	v_mov_b32_e32 v3, 0
	;; [unrolled: 1-line block ×3, first 2 shown]
	s_mov_b32 s23, exec_lo
	buffer_store_dword v2, off, s[0:3], s32 offset:372 ; 4-byte Folded Spill
	buffer_store_dword v3, off, s[0:3], s32 offset:376 ; 4-byte Folded Spill
	v_mov_b32_e32 v2, 0
	v_and_b32_sdwa v1, v0, v1 dst_sel:DWORD dst_unused:UNUSED_PAD src0_sel:WORD_1 src1_sel:DWORD
	v_mov_b32_e32 v3, 0
	buffer_store_dword v2, off, s[0:3], s32 offset:380 ; 4-byte Folded Spill
	buffer_store_dword v3, off, s[0:3], s32 offset:384 ; 4-byte Folded Spill
	v_cmpx_ne_u16_e32 0, v1
	s_cbranch_execz .LBB243_139
; %bb.132:                              ;   in Loop: Header=BB243_16 Depth=1
	v_cmp_ne_u16_e64 s5, 0x80, v1
	v_bfrev_b32_e32 v1, 1
	v_mov_b32_e32 v2, 0
	buffer_store_dword v1, off, s[0:3], s32 offset:380 ; 4-byte Folded Spill
	buffer_store_dword v2, off, s[0:3], s32 offset:384 ; 4-byte Folded Spill
	s_and_saveexec_b32 s24, s5
	s_cbranch_execz .LBB243_138
; %bb.133:                              ;   in Loop: Header=BB243_16 Depth=1
	v_mov_b32_e32 v3, 0x7f800001
	v_bfe_u32 v2, v0, 16, 7
	v_mov_b32_e32 v4, 0
	s_mov_b32 s25, exec_lo
	buffer_store_dword v3, off, s[0:3], s32 offset:380 ; 4-byte Folded Spill
	buffer_store_dword v4, off, s[0:3], s32 offset:384 ; 4-byte Folded Spill
	v_cmpx_ne_u32_e32 0x7f, v2
	s_cbranch_execz .LBB243_137
; %bb.134:                              ;   in Loop: Header=BB243_16 Depth=1
	v_mov_b32_e32 v1, 7
	s_mov_b32 s26, exec_lo
	v_and_b32_sdwa v8, v0, v1 dst_sel:DWORD dst_unused:UNUSED_PAD src0_sel:WORD_1 src1_sel:DWORD
	v_lshrrev_b32_e32 v1, 3, v2
	v_cmpx_gt_u32_e32 8, v2
; %bb.135:                              ;   in Loop: Header=BB243_16 Depth=1
	v_ffbh_u32_e32 v1, v8
	v_min_u32_e32 v1, 32, v1
	v_subrev_nc_u32_e32 v2, 28, v1
	v_sub_nc_u32_e32 v1, 29, v1
	v_lshlrev_b64 v[2:3], v2, v[8:9]
	v_and_b32_e32 v8, 7, v2
; %bb.136:                              ;   in Loop: Header=BB243_16 Depth=1
	s_or_b32 exec_lo, exec_lo, s26
	v_mov_b32_e32 v2, 24
	v_lshlrev_b32_e32 v3, 20, v8
	v_lshl_add_u32 v1, v1, 23, 0x3c000000
	v_lshlrev_b32_sdwa v2, v2, v0 dst_sel:DWORD dst_unused:UNUSED_PAD src0_sel:DWORD src1_sel:WORD_1
	v_and_b32_e32 v2, 0x80000000, v2
	v_or3_b32 v8, v3, v2, v1
	buffer_store_dword v8, off, s[0:3], s32 offset:380 ; 4-byte Folded Spill
	buffer_store_dword v9, off, s[0:3], s32 offset:384 ; 4-byte Folded Spill
.LBB243_137:                            ;   in Loop: Header=BB243_16 Depth=1
	s_or_b32 exec_lo, exec_lo, s25
.LBB243_138:                            ;   in Loop: Header=BB243_16 Depth=1
	s_or_b32 exec_lo, exec_lo, s24
.LBB243_139:                            ;   in Loop: Header=BB243_16 Depth=1
	s_or_b32 exec_lo, exec_lo, s23
	s_mov_b32 s23, exec_lo
	v_cmpx_lt_u32_e32 0xffffff, v0
	s_cbranch_execz .LBB243_147
; %bb.140:                              ;   in Loop: Header=BB243_16 Depth=1
	v_mov_b32_e32 v1, 0x80
	v_mov_b32_e32 v46, v9
	buffer_store_dword v46, off, s[0:3], s32 offset:372 ; 4-byte Folded Spill
	buffer_store_dword v47, off, s[0:3], s32 offset:376 ; 4-byte Folded Spill
	v_cmp_ne_u32_sdwa s5, v0, v1 src0_sel:BYTE_3 src1_sel:DWORD
	s_and_saveexec_b32 s24, s5
	s_cbranch_execz .LBB243_146
; %bb.141:                              ;   in Loop: Header=BB243_16 Depth=1
	s_clause 0x1
	buffer_load_dword v3, off, s[0:3], s32 offset:200
	buffer_load_dword v4, off, s[0:3], s32 offset:204
	v_bfe_u32 v2, v0, 24, 7
	s_waitcnt vmcnt(1)
	v_mov_b32_e32 v3, v9
	s_mov_b32 s25, exec_lo
	s_waitcnt vmcnt(0)
	v_mov_b32_e32 v1, v4
	buffer_store_dword v0, off, s[0:3], s32 offset:200 ; 4-byte Folded Spill
	buffer_store_dword v1, off, s[0:3], s32 offset:204 ; 4-byte Folded Spill
	;; [unrolled: 1-line block ×4, first 2 shown]
	v_cmpx_ne_u32_e32 0x7f, v2
	s_cbranch_execz .LBB243_145
; %bb.142:                              ;   in Loop: Header=BB243_16 Depth=1
	v_mov_b32_e32 v1, 7
	s_mov_b32 s26, exec_lo
	v_and_b32_sdwa v8, v0, v1 dst_sel:DWORD dst_unused:UNUSED_PAD src0_sel:BYTE_3 src1_sel:DWORD
	v_lshrrev_b32_e32 v1, 3, v2
	v_cmpx_gt_u32_e32 8, v2
; %bb.143:                              ;   in Loop: Header=BB243_16 Depth=1
	v_ffbh_u32_e32 v1, v8
	v_min_u32_e32 v1, 32, v1
	v_subrev_nc_u32_e32 v2, 28, v1
	v_sub_nc_u32_e32 v1, 29, v1
	v_lshlrev_b64 v[2:3], v2, v[8:9]
	v_and_b32_e32 v8, 7, v2
; %bb.144:                              ;   in Loop: Header=BB243_16 Depth=1
	s_or_b32 exec_lo, exec_lo, s26
	v_mov_b32_e32 v2, 24
	v_lshl_add_u32 v1, v1, 23, 0x3c000000
	v_lshlrev_b32_sdwa v0, v2, v0 dst_sel:DWORD dst_unused:UNUSED_PAD src0_sel:DWORD src1_sel:BYTE_3
	v_lshlrev_b32_e32 v2, 20, v8
	v_and_b32_e32 v0, 0x80000000, v0
	v_or3_b32 v1, v2, v0, v1
	v_mov_b32_e32 v0, v9
	buffer_store_dword v0, off, s[0:3], s32 offset:372 ; 4-byte Folded Spill
	buffer_store_dword v1, off, s[0:3], s32 offset:376 ; 4-byte Folded Spill
.LBB243_145:                            ;   in Loop: Header=BB243_16 Depth=1
	s_or_b32 exec_lo, exec_lo, s25
.LBB243_146:                            ;   in Loop: Header=BB243_16 Depth=1
	s_or_b32 exec_lo, exec_lo, s24
.LBB243_147:                            ;   in Loop: Header=BB243_16 Depth=1
	s_or_b32 exec_lo, exec_lo, s23
	flat_load_dword v0, v[114:115] offset:512
	v_mov_b32_e32 v1, 0
	v_mov_b32_e32 v2, 0
	buffer_store_dword v1, off, s[0:3], s32 offset:396 ; 4-byte Folded Spill
	buffer_store_dword v2, off, s[0:3], s32 offset:400 ; 4-byte Folded Spill
	v_mov_b32_e32 v1, 0
	v_mov_b32_e32 v2, 0
	buffer_store_dword v1, off, s[0:3], s32 offset:388 ; 4-byte Folded Spill
	buffer_store_dword v2, off, s[0:3], s32 offset:392 ; 4-byte Folded Spill
	s_waitcnt vmcnt(0) lgkmcnt(0)
	v_cmp_ne_u16_sdwa s5, v0, v9 src0_sel:BYTE_0 src1_sel:DWORD
	s_and_saveexec_b32 s23, s5
	s_cbranch_execz .LBB243_155
; %bb.148:                              ;   in Loop: Header=BB243_16 Depth=1
	v_bfrev_b32_e32 v1, 1
	v_mov_b32_e32 v2, 0
	buffer_store_dword v1, off, s[0:3], s32 offset:388 ; 4-byte Folded Spill
	buffer_store_dword v2, off, s[0:3], s32 offset:392 ; 4-byte Folded Spill
	v_mov_b32_e32 v1, 0x80
	v_cmp_ne_u16_sdwa s5, v0, v1 src0_sel:BYTE_0 src1_sel:DWORD
	s_and_saveexec_b32 s24, s5
	s_cbranch_execz .LBB243_154
; %bb.149:                              ;   in Loop: Header=BB243_16 Depth=1
	v_mov_b32_e32 v3, 0x7f800001
	v_and_b32_e32 v2, 0x7f, v0
	v_mov_b32_e32 v4, 0
	s_mov_b32 s25, exec_lo
	buffer_store_dword v3, off, s[0:3], s32 offset:388 ; 4-byte Folded Spill
	buffer_store_dword v4, off, s[0:3], s32 offset:392 ; 4-byte Folded Spill
	v_cmpx_ne_u32_e32 0x7f, v2
	s_cbranch_execz .LBB243_153
; %bb.150:                              ;   in Loop: Header=BB243_16 Depth=1
	v_and_b32_e32 v8, 7, v0
	v_lshrrev_b32_e32 v1, 3, v2
	s_mov_b32 s26, exec_lo
	v_cmpx_gt_u32_e32 8, v2
; %bb.151:                              ;   in Loop: Header=BB243_16 Depth=1
	v_ffbh_u32_e32 v1, v8
	v_min_u32_e32 v1, 32, v1
	v_subrev_nc_u32_e32 v2, 28, v1
	v_sub_nc_u32_e32 v1, 29, v1
	v_lshlrev_b64 v[2:3], v2, v[8:9]
	v_and_b32_e32 v8, 7, v2
; %bb.152:                              ;   in Loop: Header=BB243_16 Depth=1
	s_or_b32 exec_lo, exec_lo, s26
	v_lshlrev_b32_e32 v2, 24, v0
	v_lshlrev_b32_e32 v3, 20, v8
	v_lshl_add_u32 v1, v1, 23, 0x3c000000
	v_and_b32_e32 v2, 0x80000000, v2
	v_or3_b32 v8, v3, v2, v1
	buffer_store_dword v8, off, s[0:3], s32 offset:388 ; 4-byte Folded Spill
	buffer_store_dword v9, off, s[0:3], s32 offset:392 ; 4-byte Folded Spill
.LBB243_153:                            ;   in Loop: Header=BB243_16 Depth=1
	s_or_b32 exec_lo, exec_lo, s25
.LBB243_154:                            ;   in Loop: Header=BB243_16 Depth=1
	s_or_b32 exec_lo, exec_lo, s24
.LBB243_155:                            ;   in Loop: Header=BB243_16 Depth=1
	s_or_b32 exec_lo, exec_lo, s23
	v_cmp_ne_u16_sdwa s5, v0, v9 src0_sel:BYTE_1 src1_sel:DWORD
	s_and_saveexec_b32 s23, s5
	s_cbranch_execz .LBB243_163
; %bb.156:                              ;   in Loop: Header=BB243_16 Depth=1
	v_mov_b32_e32 v1, 0x80
	v_mov_b32_e32 v46, v9
	buffer_store_dword v46, off, s[0:3], s32 offset:396 ; 4-byte Folded Spill
	buffer_store_dword v47, off, s[0:3], s32 offset:400 ; 4-byte Folded Spill
	v_cmp_ne_u16_sdwa s5, v0, v1 src0_sel:BYTE_1 src1_sel:DWORD
	s_and_saveexec_b32 s24, s5
	s_cbranch_execz .LBB243_162
; %bb.157:                              ;   in Loop: Header=BB243_16 Depth=1
	s_clause 0x1
	buffer_load_dword v3, off, s[0:3], s32 offset:200
	buffer_load_dword v4, off, s[0:3], s32 offset:204
	v_mov_b32_e32 v1, 0xffff
	s_mov_b32 s25, exec_lo
	v_and_b32_sdwa v1, v1, v0 dst_sel:DWORD dst_unused:UNUSED_PAD src0_sel:DWORD src1_sel:BYTE_1
	v_and_b32_e32 v2, 0x7f, v1
	s_waitcnt vmcnt(0)
	v_mov_b32_e32 v5, v4
	v_mov_b32_e32 v4, v9
	;; [unrolled: 1-line block ×3, first 2 shown]
	buffer_store_dword v2, off, s[0:3], s32 offset:200 ; 4-byte Folded Spill
	buffer_store_dword v3, off, s[0:3], s32 offset:204 ; 4-byte Folded Spill
	buffer_store_dword v4, off, s[0:3], s32 offset:396 ; 4-byte Folded Spill
	buffer_store_dword v5, off, s[0:3], s32 offset:400 ; 4-byte Folded Spill
	v_cmpx_ne_u32_e32 0x7f, v2
	s_cbranch_execz .LBB243_161
; %bb.158:                              ;   in Loop: Header=BB243_16 Depth=1
	v_and_b32_e32 v8, 7, v1
	v_lshrrev_b32_e32 v1, 3, v2
	s_mov_b32 s26, exec_lo
	v_cmpx_gt_u32_e32 8, v2
; %bb.159:                              ;   in Loop: Header=BB243_16 Depth=1
	v_ffbh_u32_e32 v1, v8
	v_min_u32_e32 v1, 32, v1
	v_subrev_nc_u32_e32 v2, 28, v1
	v_sub_nc_u32_e32 v1, 29, v1
	v_lshlrev_b64 v[2:3], v2, v[8:9]
	v_and_b32_e32 v8, 7, v2
; %bb.160:                              ;   in Loop: Header=BB243_16 Depth=1
	s_or_b32 exec_lo, exec_lo, s26
	v_lshlrev_b32_e32 v2, 16, v0
	v_lshlrev_b32_e32 v3, 20, v8
	v_lshl_add_u32 v1, v1, 23, 0x3c000000
	v_and_b32_e32 v2, 0x80000000, v2
	v_or3_b32 v2, v3, v2, v1
	v_mov_b32_e32 v1, v9
	buffer_store_dword v1, off, s[0:3], s32 offset:396 ; 4-byte Folded Spill
	buffer_store_dword v2, off, s[0:3], s32 offset:400 ; 4-byte Folded Spill
.LBB243_161:                            ;   in Loop: Header=BB243_16 Depth=1
	s_or_b32 exec_lo, exec_lo, s25
.LBB243_162:                            ;   in Loop: Header=BB243_16 Depth=1
	s_or_b32 exec_lo, exec_lo, s24
.LBB243_163:                            ;   in Loop: Header=BB243_16 Depth=1
	s_or_b32 exec_lo, exec_lo, s23
	v_mov_b32_e32 v2, 0
	v_mov_b32_e32 v3, 0
	;; [unrolled: 1-line block ×3, first 2 shown]
	s_mov_b32 s23, exec_lo
	buffer_store_dword v2, off, s[0:3], s32 offset:404 ; 4-byte Folded Spill
	buffer_store_dword v3, off, s[0:3], s32 offset:408 ; 4-byte Folded Spill
	v_mov_b32_e32 v2, 0
	v_and_b32_sdwa v1, v0, v1 dst_sel:DWORD dst_unused:UNUSED_PAD src0_sel:WORD_1 src1_sel:DWORD
	v_mov_b32_e32 v3, 0
	buffer_store_dword v2, off, s[0:3], s32 offset:412 ; 4-byte Folded Spill
	buffer_store_dword v3, off, s[0:3], s32 offset:416 ; 4-byte Folded Spill
	v_cmpx_ne_u16_e32 0, v1
	s_cbranch_execz .LBB243_171
; %bb.164:                              ;   in Loop: Header=BB243_16 Depth=1
	v_cmp_ne_u16_e64 s5, 0x80, v1
	v_bfrev_b32_e32 v1, 1
	v_mov_b32_e32 v2, 0
	buffer_store_dword v1, off, s[0:3], s32 offset:412 ; 4-byte Folded Spill
	buffer_store_dword v2, off, s[0:3], s32 offset:416 ; 4-byte Folded Spill
	s_and_saveexec_b32 s24, s5
	s_cbranch_execz .LBB243_170
; %bb.165:                              ;   in Loop: Header=BB243_16 Depth=1
	v_mov_b32_e32 v3, 0x7f800001
	v_bfe_u32 v2, v0, 16, 7
	v_mov_b32_e32 v4, 0
	s_mov_b32 s25, exec_lo
	buffer_store_dword v3, off, s[0:3], s32 offset:412 ; 4-byte Folded Spill
	buffer_store_dword v4, off, s[0:3], s32 offset:416 ; 4-byte Folded Spill
	v_cmpx_ne_u32_e32 0x7f, v2
	s_cbranch_execz .LBB243_169
; %bb.166:                              ;   in Loop: Header=BB243_16 Depth=1
	v_mov_b32_e32 v1, 7
	s_mov_b32 s26, exec_lo
	v_and_b32_sdwa v8, v0, v1 dst_sel:DWORD dst_unused:UNUSED_PAD src0_sel:WORD_1 src1_sel:DWORD
	v_lshrrev_b32_e32 v1, 3, v2
	v_cmpx_gt_u32_e32 8, v2
; %bb.167:                              ;   in Loop: Header=BB243_16 Depth=1
	v_ffbh_u32_e32 v1, v8
	v_min_u32_e32 v1, 32, v1
	v_subrev_nc_u32_e32 v2, 28, v1
	v_sub_nc_u32_e32 v1, 29, v1
	v_lshlrev_b64 v[2:3], v2, v[8:9]
	v_and_b32_e32 v8, 7, v2
; %bb.168:                              ;   in Loop: Header=BB243_16 Depth=1
	s_or_b32 exec_lo, exec_lo, s26
	v_mov_b32_e32 v2, 24
	v_lshlrev_b32_e32 v3, 20, v8
	v_lshl_add_u32 v1, v1, 23, 0x3c000000
	v_lshlrev_b32_sdwa v2, v2, v0 dst_sel:DWORD dst_unused:UNUSED_PAD src0_sel:DWORD src1_sel:WORD_1
	v_and_b32_e32 v2, 0x80000000, v2
	v_or3_b32 v8, v3, v2, v1
	buffer_store_dword v8, off, s[0:3], s32 offset:412 ; 4-byte Folded Spill
	buffer_store_dword v9, off, s[0:3], s32 offset:416 ; 4-byte Folded Spill
.LBB243_169:                            ;   in Loop: Header=BB243_16 Depth=1
	s_or_b32 exec_lo, exec_lo, s25
.LBB243_170:                            ;   in Loop: Header=BB243_16 Depth=1
	s_or_b32 exec_lo, exec_lo, s24
.LBB243_171:                            ;   in Loop: Header=BB243_16 Depth=1
	s_or_b32 exec_lo, exec_lo, s23
	s_mov_b32 s23, exec_lo
	v_cmpx_lt_u32_e32 0xffffff, v0
	s_cbranch_execz .LBB243_179
; %bb.172:                              ;   in Loop: Header=BB243_16 Depth=1
	v_mov_b32_e32 v1, 0x80
	v_mov_b32_e32 v46, v9
	buffer_store_dword v46, off, s[0:3], s32 offset:404 ; 4-byte Folded Spill
	buffer_store_dword v47, off, s[0:3], s32 offset:408 ; 4-byte Folded Spill
	v_cmp_ne_u32_sdwa s5, v0, v1 src0_sel:BYTE_3 src1_sel:DWORD
	s_and_saveexec_b32 s24, s5
	s_cbranch_execz .LBB243_178
; %bb.173:                              ;   in Loop: Header=BB243_16 Depth=1
	s_clause 0x1
	buffer_load_dword v3, off, s[0:3], s32 offset:200
	buffer_load_dword v4, off, s[0:3], s32 offset:204
	v_bfe_u32 v2, v0, 24, 7
	s_waitcnt vmcnt(1)
	v_mov_b32_e32 v3, v9
	s_mov_b32 s25, exec_lo
	s_waitcnt vmcnt(0)
	v_mov_b32_e32 v1, v4
	buffer_store_dword v0, off, s[0:3], s32 offset:200 ; 4-byte Folded Spill
	buffer_store_dword v1, off, s[0:3], s32 offset:204 ; 4-byte Folded Spill
	;; [unrolled: 1-line block ×4, first 2 shown]
	v_cmpx_ne_u32_e32 0x7f, v2
	s_cbranch_execz .LBB243_177
; %bb.174:                              ;   in Loop: Header=BB243_16 Depth=1
	v_mov_b32_e32 v1, 7
	s_mov_b32 s26, exec_lo
	v_and_b32_sdwa v8, v0, v1 dst_sel:DWORD dst_unused:UNUSED_PAD src0_sel:BYTE_3 src1_sel:DWORD
	v_lshrrev_b32_e32 v1, 3, v2
	v_cmpx_gt_u32_e32 8, v2
; %bb.175:                              ;   in Loop: Header=BB243_16 Depth=1
	v_ffbh_u32_e32 v1, v8
	v_min_u32_e32 v1, 32, v1
	v_subrev_nc_u32_e32 v2, 28, v1
	v_sub_nc_u32_e32 v1, 29, v1
	v_lshlrev_b64 v[2:3], v2, v[8:9]
	v_and_b32_e32 v8, 7, v2
; %bb.176:                              ;   in Loop: Header=BB243_16 Depth=1
	s_or_b32 exec_lo, exec_lo, s26
	v_mov_b32_e32 v2, 24
	v_lshl_add_u32 v1, v1, 23, 0x3c000000
	v_lshlrev_b32_sdwa v0, v2, v0 dst_sel:DWORD dst_unused:UNUSED_PAD src0_sel:DWORD src1_sel:BYTE_3
	v_lshlrev_b32_e32 v2, 20, v8
	v_and_b32_e32 v0, 0x80000000, v0
	v_or3_b32 v1, v2, v0, v1
	v_mov_b32_e32 v0, v9
	buffer_store_dword v0, off, s[0:3], s32 offset:404 ; 4-byte Folded Spill
	buffer_store_dword v1, off, s[0:3], s32 offset:408 ; 4-byte Folded Spill
.LBB243_177:                            ;   in Loop: Header=BB243_16 Depth=1
	s_or_b32 exec_lo, exec_lo, s25
.LBB243_178:                            ;   in Loop: Header=BB243_16 Depth=1
	s_or_b32 exec_lo, exec_lo, s24
.LBB243_179:                            ;   in Loop: Header=BB243_16 Depth=1
	s_or_b32 exec_lo, exec_lo, s23
	flat_load_dword v0, v[114:115] offset:516
	v_mov_b32_e32 v1, 0
	v_mov_b32_e32 v2, 0
	buffer_store_dword v1, off, s[0:3], s32 offset:428 ; 4-byte Folded Spill
	buffer_store_dword v2, off, s[0:3], s32 offset:432 ; 4-byte Folded Spill
	v_mov_b32_e32 v1, 0
	v_mov_b32_e32 v2, 0
	buffer_store_dword v1, off, s[0:3], s32 offset:420 ; 4-byte Folded Spill
	buffer_store_dword v2, off, s[0:3], s32 offset:424 ; 4-byte Folded Spill
	s_waitcnt vmcnt(0) lgkmcnt(0)
	v_cmp_ne_u16_sdwa s5, v0, v9 src0_sel:BYTE_0 src1_sel:DWORD
	s_and_saveexec_b32 s23, s5
	s_cbranch_execz .LBB243_187
; %bb.180:                              ;   in Loop: Header=BB243_16 Depth=1
	v_bfrev_b32_e32 v1, 1
	v_mov_b32_e32 v2, 0
	buffer_store_dword v1, off, s[0:3], s32 offset:420 ; 4-byte Folded Spill
	buffer_store_dword v2, off, s[0:3], s32 offset:424 ; 4-byte Folded Spill
	v_mov_b32_e32 v1, 0x80
	v_cmp_ne_u16_sdwa s5, v0, v1 src0_sel:BYTE_0 src1_sel:DWORD
	s_and_saveexec_b32 s24, s5
	s_cbranch_execz .LBB243_186
; %bb.181:                              ;   in Loop: Header=BB243_16 Depth=1
	v_mov_b32_e32 v3, 0x7f800001
	v_and_b32_e32 v2, 0x7f, v0
	v_mov_b32_e32 v4, 0
	s_mov_b32 s25, exec_lo
	buffer_store_dword v3, off, s[0:3], s32 offset:420 ; 4-byte Folded Spill
	buffer_store_dword v4, off, s[0:3], s32 offset:424 ; 4-byte Folded Spill
	v_cmpx_ne_u32_e32 0x7f, v2
	s_cbranch_execz .LBB243_185
; %bb.182:                              ;   in Loop: Header=BB243_16 Depth=1
	v_and_b32_e32 v8, 7, v0
	v_lshrrev_b32_e32 v1, 3, v2
	s_mov_b32 s26, exec_lo
	v_cmpx_gt_u32_e32 8, v2
; %bb.183:                              ;   in Loop: Header=BB243_16 Depth=1
	v_ffbh_u32_e32 v1, v8
	v_min_u32_e32 v1, 32, v1
	v_subrev_nc_u32_e32 v2, 28, v1
	v_sub_nc_u32_e32 v1, 29, v1
	v_lshlrev_b64 v[2:3], v2, v[8:9]
	v_and_b32_e32 v8, 7, v2
; %bb.184:                              ;   in Loop: Header=BB243_16 Depth=1
	s_or_b32 exec_lo, exec_lo, s26
	v_lshlrev_b32_e32 v2, 24, v0
	v_lshlrev_b32_e32 v3, 20, v8
	v_lshl_add_u32 v1, v1, 23, 0x3c000000
	v_and_b32_e32 v2, 0x80000000, v2
	v_or3_b32 v8, v3, v2, v1
	buffer_store_dword v8, off, s[0:3], s32 offset:420 ; 4-byte Folded Spill
	buffer_store_dword v9, off, s[0:3], s32 offset:424 ; 4-byte Folded Spill
.LBB243_185:                            ;   in Loop: Header=BB243_16 Depth=1
	s_or_b32 exec_lo, exec_lo, s25
.LBB243_186:                            ;   in Loop: Header=BB243_16 Depth=1
	s_or_b32 exec_lo, exec_lo, s24
.LBB243_187:                            ;   in Loop: Header=BB243_16 Depth=1
	s_or_b32 exec_lo, exec_lo, s23
	v_cmp_ne_u16_sdwa s5, v0, v9 src0_sel:BYTE_1 src1_sel:DWORD
	s_and_saveexec_b32 s23, s5
	s_cbranch_execz .LBB243_195
; %bb.188:                              ;   in Loop: Header=BB243_16 Depth=1
	v_mov_b32_e32 v1, 0x80
	v_mov_b32_e32 v46, v9
	buffer_store_dword v46, off, s[0:3], s32 offset:428 ; 4-byte Folded Spill
	buffer_store_dword v47, off, s[0:3], s32 offset:432 ; 4-byte Folded Spill
	v_cmp_ne_u16_sdwa s5, v0, v1 src0_sel:BYTE_1 src1_sel:DWORD
	s_and_saveexec_b32 s24, s5
	s_cbranch_execz .LBB243_194
; %bb.189:                              ;   in Loop: Header=BB243_16 Depth=1
	s_clause 0x1
	buffer_load_dword v3, off, s[0:3], s32 offset:200
	buffer_load_dword v4, off, s[0:3], s32 offset:204
	v_mov_b32_e32 v1, 0xffff
	s_mov_b32 s25, exec_lo
	v_and_b32_sdwa v1, v1, v0 dst_sel:DWORD dst_unused:UNUSED_PAD src0_sel:DWORD src1_sel:BYTE_1
	v_and_b32_e32 v2, 0x7f, v1
	s_waitcnt vmcnt(0)
	v_mov_b32_e32 v5, v4
	v_mov_b32_e32 v4, v9
	;; [unrolled: 1-line block ×3, first 2 shown]
	buffer_store_dword v2, off, s[0:3], s32 offset:200 ; 4-byte Folded Spill
	buffer_store_dword v3, off, s[0:3], s32 offset:204 ; 4-byte Folded Spill
	;; [unrolled: 1-line block ×4, first 2 shown]
	v_cmpx_ne_u32_e32 0x7f, v2
	s_cbranch_execz .LBB243_193
; %bb.190:                              ;   in Loop: Header=BB243_16 Depth=1
	v_and_b32_e32 v8, 7, v1
	v_lshrrev_b32_e32 v1, 3, v2
	s_mov_b32 s26, exec_lo
	v_cmpx_gt_u32_e32 8, v2
; %bb.191:                              ;   in Loop: Header=BB243_16 Depth=1
	v_ffbh_u32_e32 v1, v8
	v_min_u32_e32 v1, 32, v1
	v_subrev_nc_u32_e32 v2, 28, v1
	v_sub_nc_u32_e32 v1, 29, v1
	v_lshlrev_b64 v[2:3], v2, v[8:9]
	v_and_b32_e32 v8, 7, v2
; %bb.192:                              ;   in Loop: Header=BB243_16 Depth=1
	s_or_b32 exec_lo, exec_lo, s26
	v_lshlrev_b32_e32 v2, 16, v0
	v_lshlrev_b32_e32 v3, 20, v8
	v_lshl_add_u32 v1, v1, 23, 0x3c000000
	v_and_b32_e32 v2, 0x80000000, v2
	v_or3_b32 v2, v3, v2, v1
	v_mov_b32_e32 v1, v9
	buffer_store_dword v1, off, s[0:3], s32 offset:428 ; 4-byte Folded Spill
	buffer_store_dword v2, off, s[0:3], s32 offset:432 ; 4-byte Folded Spill
.LBB243_193:                            ;   in Loop: Header=BB243_16 Depth=1
	s_or_b32 exec_lo, exec_lo, s25
.LBB243_194:                            ;   in Loop: Header=BB243_16 Depth=1
	s_or_b32 exec_lo, exec_lo, s24
.LBB243_195:                            ;   in Loop: Header=BB243_16 Depth=1
	s_or_b32 exec_lo, exec_lo, s23
	v_mov_b32_e32 v2, 0
	v_mov_b32_e32 v3, 0
	;; [unrolled: 1-line block ×3, first 2 shown]
	s_mov_b32 s23, exec_lo
	buffer_store_dword v2, off, s[0:3], s32 offset:436 ; 4-byte Folded Spill
	buffer_store_dword v3, off, s[0:3], s32 offset:440 ; 4-byte Folded Spill
	v_mov_b32_e32 v2, 0
	v_and_b32_sdwa v1, v0, v1 dst_sel:DWORD dst_unused:UNUSED_PAD src0_sel:WORD_1 src1_sel:DWORD
	v_mov_b32_e32 v3, 0
	buffer_store_dword v2, off, s[0:3], s32 offset:444 ; 4-byte Folded Spill
	buffer_store_dword v3, off, s[0:3], s32 offset:448 ; 4-byte Folded Spill
	v_cmpx_ne_u16_e32 0, v1
	s_cbranch_execz .LBB243_203
; %bb.196:                              ;   in Loop: Header=BB243_16 Depth=1
	v_cmp_ne_u16_e64 s5, 0x80, v1
	v_bfrev_b32_e32 v1, 1
	v_mov_b32_e32 v2, 0
	buffer_store_dword v1, off, s[0:3], s32 offset:444 ; 4-byte Folded Spill
	buffer_store_dword v2, off, s[0:3], s32 offset:448 ; 4-byte Folded Spill
	s_and_saveexec_b32 s24, s5
	s_cbranch_execz .LBB243_202
; %bb.197:                              ;   in Loop: Header=BB243_16 Depth=1
	v_mov_b32_e32 v3, 0x7f800001
	v_bfe_u32 v2, v0, 16, 7
	v_mov_b32_e32 v4, 0
	s_mov_b32 s25, exec_lo
	buffer_store_dword v3, off, s[0:3], s32 offset:444 ; 4-byte Folded Spill
	buffer_store_dword v4, off, s[0:3], s32 offset:448 ; 4-byte Folded Spill
	v_cmpx_ne_u32_e32 0x7f, v2
	s_cbranch_execz .LBB243_201
; %bb.198:                              ;   in Loop: Header=BB243_16 Depth=1
	v_mov_b32_e32 v1, 7
	s_mov_b32 s26, exec_lo
	v_and_b32_sdwa v8, v0, v1 dst_sel:DWORD dst_unused:UNUSED_PAD src0_sel:WORD_1 src1_sel:DWORD
	v_lshrrev_b32_e32 v1, 3, v2
	v_cmpx_gt_u32_e32 8, v2
; %bb.199:                              ;   in Loop: Header=BB243_16 Depth=1
	v_ffbh_u32_e32 v1, v8
	v_min_u32_e32 v1, 32, v1
	v_subrev_nc_u32_e32 v2, 28, v1
	v_sub_nc_u32_e32 v1, 29, v1
	v_lshlrev_b64 v[2:3], v2, v[8:9]
	v_and_b32_e32 v8, 7, v2
; %bb.200:                              ;   in Loop: Header=BB243_16 Depth=1
	s_or_b32 exec_lo, exec_lo, s26
	v_mov_b32_e32 v2, 24
	v_lshlrev_b32_e32 v3, 20, v8
	v_lshl_add_u32 v1, v1, 23, 0x3c000000
	v_lshlrev_b32_sdwa v2, v2, v0 dst_sel:DWORD dst_unused:UNUSED_PAD src0_sel:DWORD src1_sel:WORD_1
	v_and_b32_e32 v2, 0x80000000, v2
	v_or3_b32 v8, v3, v2, v1
	buffer_store_dword v8, off, s[0:3], s32 offset:444 ; 4-byte Folded Spill
	buffer_store_dword v9, off, s[0:3], s32 offset:448 ; 4-byte Folded Spill
.LBB243_201:                            ;   in Loop: Header=BB243_16 Depth=1
	s_or_b32 exec_lo, exec_lo, s25
.LBB243_202:                            ;   in Loop: Header=BB243_16 Depth=1
	s_or_b32 exec_lo, exec_lo, s24
.LBB243_203:                            ;   in Loop: Header=BB243_16 Depth=1
	s_or_b32 exec_lo, exec_lo, s23
	s_mov_b32 s23, exec_lo
	v_cmpx_lt_u32_e32 0xffffff, v0
	s_cbranch_execz .LBB243_211
; %bb.204:                              ;   in Loop: Header=BB243_16 Depth=1
	v_mov_b32_e32 v1, 0x80
	v_mov_b32_e32 v46, v9
	buffer_store_dword v46, off, s[0:3], s32 offset:436 ; 4-byte Folded Spill
	buffer_store_dword v47, off, s[0:3], s32 offset:440 ; 4-byte Folded Spill
	v_cmp_ne_u32_sdwa s5, v0, v1 src0_sel:BYTE_3 src1_sel:DWORD
	s_and_saveexec_b32 s24, s5
	s_cbranch_execz .LBB243_210
; %bb.205:                              ;   in Loop: Header=BB243_16 Depth=1
	s_clause 0x1
	buffer_load_dword v3, off, s[0:3], s32 offset:200
	buffer_load_dword v4, off, s[0:3], s32 offset:204
	v_bfe_u32 v2, v0, 24, 7
	s_waitcnt vmcnt(1)
	v_mov_b32_e32 v3, v9
	s_mov_b32 s25, exec_lo
	s_waitcnt vmcnt(0)
	v_mov_b32_e32 v1, v4
	buffer_store_dword v0, off, s[0:3], s32 offset:200 ; 4-byte Folded Spill
	buffer_store_dword v1, off, s[0:3], s32 offset:204 ; 4-byte Folded Spill
	;; [unrolled: 1-line block ×4, first 2 shown]
	v_cmpx_ne_u32_e32 0x7f, v2
	s_cbranch_execz .LBB243_209
; %bb.206:                              ;   in Loop: Header=BB243_16 Depth=1
	v_mov_b32_e32 v1, 7
	s_mov_b32 s26, exec_lo
	v_and_b32_sdwa v8, v0, v1 dst_sel:DWORD dst_unused:UNUSED_PAD src0_sel:BYTE_3 src1_sel:DWORD
	v_lshrrev_b32_e32 v1, 3, v2
	v_cmpx_gt_u32_e32 8, v2
; %bb.207:                              ;   in Loop: Header=BB243_16 Depth=1
	v_ffbh_u32_e32 v1, v8
	v_min_u32_e32 v1, 32, v1
	v_subrev_nc_u32_e32 v2, 28, v1
	v_sub_nc_u32_e32 v1, 29, v1
	v_lshlrev_b64 v[2:3], v2, v[8:9]
	v_and_b32_e32 v8, 7, v2
; %bb.208:                              ;   in Loop: Header=BB243_16 Depth=1
	s_or_b32 exec_lo, exec_lo, s26
	v_mov_b32_e32 v2, 24
	v_lshl_add_u32 v1, v1, 23, 0x3c000000
	v_lshlrev_b32_sdwa v0, v2, v0 dst_sel:DWORD dst_unused:UNUSED_PAD src0_sel:DWORD src1_sel:BYTE_3
	v_lshlrev_b32_e32 v2, 20, v8
	v_and_b32_e32 v0, 0x80000000, v0
	v_or3_b32 v1, v2, v0, v1
	v_mov_b32_e32 v0, v9
	buffer_store_dword v0, off, s[0:3], s32 offset:436 ; 4-byte Folded Spill
	buffer_store_dword v1, off, s[0:3], s32 offset:440 ; 4-byte Folded Spill
.LBB243_209:                            ;   in Loop: Header=BB243_16 Depth=1
	s_or_b32 exec_lo, exec_lo, s25
.LBB243_210:                            ;   in Loop: Header=BB243_16 Depth=1
	s_or_b32 exec_lo, exec_lo, s24
.LBB243_211:                            ;   in Loop: Header=BB243_16 Depth=1
	s_or_b32 exec_lo, exec_lo, s23
	flat_load_dword v0, v[114:115] offset:520
	v_mov_b32_e32 v1, 0
	v_mov_b32_e32 v2, 0
	buffer_store_dword v1, off, s[0:3], s32 offset:460 ; 4-byte Folded Spill
	buffer_store_dword v2, off, s[0:3], s32 offset:464 ; 4-byte Folded Spill
	v_mov_b32_e32 v1, 0
	v_mov_b32_e32 v2, 0
	buffer_store_dword v1, off, s[0:3], s32 offset:452 ; 4-byte Folded Spill
	buffer_store_dword v2, off, s[0:3], s32 offset:456 ; 4-byte Folded Spill
	s_waitcnt vmcnt(0) lgkmcnt(0)
	v_cmp_ne_u16_sdwa s5, v0, v9 src0_sel:BYTE_0 src1_sel:DWORD
	s_and_saveexec_b32 s23, s5
	s_cbranch_execz .LBB243_219
; %bb.212:                              ;   in Loop: Header=BB243_16 Depth=1
	v_bfrev_b32_e32 v1, 1
	v_mov_b32_e32 v2, 0
	buffer_store_dword v1, off, s[0:3], s32 offset:452 ; 4-byte Folded Spill
	buffer_store_dword v2, off, s[0:3], s32 offset:456 ; 4-byte Folded Spill
	v_mov_b32_e32 v1, 0x80
	v_cmp_ne_u16_sdwa s5, v0, v1 src0_sel:BYTE_0 src1_sel:DWORD
	s_and_saveexec_b32 s24, s5
	s_cbranch_execz .LBB243_218
; %bb.213:                              ;   in Loop: Header=BB243_16 Depth=1
	v_mov_b32_e32 v3, 0x7f800001
	v_and_b32_e32 v2, 0x7f, v0
	v_mov_b32_e32 v4, 0
	s_mov_b32 s25, exec_lo
	buffer_store_dword v3, off, s[0:3], s32 offset:452 ; 4-byte Folded Spill
	buffer_store_dword v4, off, s[0:3], s32 offset:456 ; 4-byte Folded Spill
	v_cmpx_ne_u32_e32 0x7f, v2
	s_cbranch_execz .LBB243_217
; %bb.214:                              ;   in Loop: Header=BB243_16 Depth=1
	v_and_b32_e32 v8, 7, v0
	v_lshrrev_b32_e32 v1, 3, v2
	s_mov_b32 s26, exec_lo
	v_cmpx_gt_u32_e32 8, v2
; %bb.215:                              ;   in Loop: Header=BB243_16 Depth=1
	v_ffbh_u32_e32 v1, v8
	v_min_u32_e32 v1, 32, v1
	v_subrev_nc_u32_e32 v2, 28, v1
	v_sub_nc_u32_e32 v1, 29, v1
	v_lshlrev_b64 v[2:3], v2, v[8:9]
	v_and_b32_e32 v8, 7, v2
; %bb.216:                              ;   in Loop: Header=BB243_16 Depth=1
	s_or_b32 exec_lo, exec_lo, s26
	v_lshlrev_b32_e32 v2, 24, v0
	v_lshlrev_b32_e32 v3, 20, v8
	v_lshl_add_u32 v1, v1, 23, 0x3c000000
	v_and_b32_e32 v2, 0x80000000, v2
	v_or3_b32 v8, v3, v2, v1
	buffer_store_dword v8, off, s[0:3], s32 offset:452 ; 4-byte Folded Spill
	buffer_store_dword v9, off, s[0:3], s32 offset:456 ; 4-byte Folded Spill
.LBB243_217:                            ;   in Loop: Header=BB243_16 Depth=1
	s_or_b32 exec_lo, exec_lo, s25
.LBB243_218:                            ;   in Loop: Header=BB243_16 Depth=1
	s_or_b32 exec_lo, exec_lo, s24
.LBB243_219:                            ;   in Loop: Header=BB243_16 Depth=1
	s_or_b32 exec_lo, exec_lo, s23
	v_cmp_ne_u16_sdwa s5, v0, v9 src0_sel:BYTE_1 src1_sel:DWORD
	s_and_saveexec_b32 s23, s5
	s_cbranch_execz .LBB243_227
; %bb.220:                              ;   in Loop: Header=BB243_16 Depth=1
	v_mov_b32_e32 v1, 0x80
	v_mov_b32_e32 v46, v9
	buffer_store_dword v46, off, s[0:3], s32 offset:460 ; 4-byte Folded Spill
	buffer_store_dword v47, off, s[0:3], s32 offset:464 ; 4-byte Folded Spill
	v_cmp_ne_u16_sdwa s5, v0, v1 src0_sel:BYTE_1 src1_sel:DWORD
	s_and_saveexec_b32 s24, s5
	s_cbranch_execz .LBB243_226
; %bb.221:                              ;   in Loop: Header=BB243_16 Depth=1
	s_clause 0x1
	buffer_load_dword v3, off, s[0:3], s32 offset:200
	buffer_load_dword v4, off, s[0:3], s32 offset:204
	v_mov_b32_e32 v1, 0xffff
	s_mov_b32 s25, exec_lo
	v_and_b32_sdwa v1, v1, v0 dst_sel:DWORD dst_unused:UNUSED_PAD src0_sel:DWORD src1_sel:BYTE_1
	v_and_b32_e32 v2, 0x7f, v1
	s_waitcnt vmcnt(0)
	v_mov_b32_e32 v5, v4
	v_mov_b32_e32 v4, v9
	;; [unrolled: 1-line block ×3, first 2 shown]
	buffer_store_dword v2, off, s[0:3], s32 offset:200 ; 4-byte Folded Spill
	buffer_store_dword v3, off, s[0:3], s32 offset:204 ; 4-byte Folded Spill
	;; [unrolled: 1-line block ×4, first 2 shown]
	v_cmpx_ne_u32_e32 0x7f, v2
	s_cbranch_execz .LBB243_225
; %bb.222:                              ;   in Loop: Header=BB243_16 Depth=1
	v_and_b32_e32 v8, 7, v1
	v_lshrrev_b32_e32 v1, 3, v2
	s_mov_b32 s26, exec_lo
	v_cmpx_gt_u32_e32 8, v2
; %bb.223:                              ;   in Loop: Header=BB243_16 Depth=1
	v_ffbh_u32_e32 v1, v8
	v_min_u32_e32 v1, 32, v1
	v_subrev_nc_u32_e32 v2, 28, v1
	v_sub_nc_u32_e32 v1, 29, v1
	v_lshlrev_b64 v[2:3], v2, v[8:9]
	v_and_b32_e32 v8, 7, v2
; %bb.224:                              ;   in Loop: Header=BB243_16 Depth=1
	s_or_b32 exec_lo, exec_lo, s26
	v_lshlrev_b32_e32 v2, 16, v0
	v_lshlrev_b32_e32 v3, 20, v8
	v_lshl_add_u32 v1, v1, 23, 0x3c000000
	v_and_b32_e32 v2, 0x80000000, v2
	v_or3_b32 v2, v3, v2, v1
	v_mov_b32_e32 v1, v9
	buffer_store_dword v1, off, s[0:3], s32 offset:460 ; 4-byte Folded Spill
	buffer_store_dword v2, off, s[0:3], s32 offset:464 ; 4-byte Folded Spill
.LBB243_225:                            ;   in Loop: Header=BB243_16 Depth=1
	s_or_b32 exec_lo, exec_lo, s25
.LBB243_226:                            ;   in Loop: Header=BB243_16 Depth=1
	s_or_b32 exec_lo, exec_lo, s24
.LBB243_227:                            ;   in Loop: Header=BB243_16 Depth=1
	s_or_b32 exec_lo, exec_lo, s23
	v_mov_b32_e32 v2, 0
	v_mov_b32_e32 v3, 0
	;; [unrolled: 1-line block ×3, first 2 shown]
	s_mov_b32 s23, exec_lo
	buffer_store_dword v2, off, s[0:3], s32 offset:468 ; 4-byte Folded Spill
	buffer_store_dword v3, off, s[0:3], s32 offset:472 ; 4-byte Folded Spill
	v_mov_b32_e32 v2, 0
	v_and_b32_sdwa v1, v0, v1 dst_sel:DWORD dst_unused:UNUSED_PAD src0_sel:WORD_1 src1_sel:DWORD
	v_mov_b32_e32 v3, 0
	buffer_store_dword v2, off, s[0:3], s32 offset:476 ; 4-byte Folded Spill
	buffer_store_dword v3, off, s[0:3], s32 offset:480 ; 4-byte Folded Spill
	v_cmpx_ne_u16_e32 0, v1
	s_cbranch_execz .LBB243_235
; %bb.228:                              ;   in Loop: Header=BB243_16 Depth=1
	v_cmp_ne_u16_e64 s5, 0x80, v1
	v_bfrev_b32_e32 v1, 1
	v_mov_b32_e32 v2, 0
	buffer_store_dword v1, off, s[0:3], s32 offset:476 ; 4-byte Folded Spill
	buffer_store_dword v2, off, s[0:3], s32 offset:480 ; 4-byte Folded Spill
	s_and_saveexec_b32 s24, s5
	s_cbranch_execz .LBB243_234
; %bb.229:                              ;   in Loop: Header=BB243_16 Depth=1
	v_mov_b32_e32 v3, 0x7f800001
	v_bfe_u32 v2, v0, 16, 7
	v_mov_b32_e32 v4, 0
	s_mov_b32 s25, exec_lo
	buffer_store_dword v3, off, s[0:3], s32 offset:476 ; 4-byte Folded Spill
	buffer_store_dword v4, off, s[0:3], s32 offset:480 ; 4-byte Folded Spill
	v_cmpx_ne_u32_e32 0x7f, v2
	s_cbranch_execz .LBB243_233
; %bb.230:                              ;   in Loop: Header=BB243_16 Depth=1
	v_mov_b32_e32 v1, 7
	s_mov_b32 s26, exec_lo
	v_and_b32_sdwa v8, v0, v1 dst_sel:DWORD dst_unused:UNUSED_PAD src0_sel:WORD_1 src1_sel:DWORD
	v_lshrrev_b32_e32 v1, 3, v2
	v_cmpx_gt_u32_e32 8, v2
; %bb.231:                              ;   in Loop: Header=BB243_16 Depth=1
	v_ffbh_u32_e32 v1, v8
	v_min_u32_e32 v1, 32, v1
	v_subrev_nc_u32_e32 v2, 28, v1
	v_sub_nc_u32_e32 v1, 29, v1
	v_lshlrev_b64 v[2:3], v2, v[8:9]
	v_and_b32_e32 v8, 7, v2
; %bb.232:                              ;   in Loop: Header=BB243_16 Depth=1
	s_or_b32 exec_lo, exec_lo, s26
	v_mov_b32_e32 v2, 24
	v_lshlrev_b32_e32 v3, 20, v8
	v_lshl_add_u32 v1, v1, 23, 0x3c000000
	v_lshlrev_b32_sdwa v2, v2, v0 dst_sel:DWORD dst_unused:UNUSED_PAD src0_sel:DWORD src1_sel:WORD_1
	v_and_b32_e32 v2, 0x80000000, v2
	v_or3_b32 v8, v3, v2, v1
	buffer_store_dword v8, off, s[0:3], s32 offset:476 ; 4-byte Folded Spill
	buffer_store_dword v9, off, s[0:3], s32 offset:480 ; 4-byte Folded Spill
.LBB243_233:                            ;   in Loop: Header=BB243_16 Depth=1
	s_or_b32 exec_lo, exec_lo, s25
.LBB243_234:                            ;   in Loop: Header=BB243_16 Depth=1
	s_or_b32 exec_lo, exec_lo, s24
.LBB243_235:                            ;   in Loop: Header=BB243_16 Depth=1
	s_or_b32 exec_lo, exec_lo, s23
	s_mov_b32 s23, exec_lo
	v_cmpx_lt_u32_e32 0xffffff, v0
	s_cbranch_execz .LBB243_243
; %bb.236:                              ;   in Loop: Header=BB243_16 Depth=1
	v_mov_b32_e32 v1, 0x80
	v_mov_b32_e32 v46, v9
	buffer_store_dword v46, off, s[0:3], s32 offset:468 ; 4-byte Folded Spill
	buffer_store_dword v47, off, s[0:3], s32 offset:472 ; 4-byte Folded Spill
	v_cmp_ne_u32_sdwa s5, v0, v1 src0_sel:BYTE_3 src1_sel:DWORD
	s_and_saveexec_b32 s24, s5
	s_cbranch_execz .LBB243_242
; %bb.237:                              ;   in Loop: Header=BB243_16 Depth=1
	s_clause 0x1
	buffer_load_dword v3, off, s[0:3], s32 offset:200
	buffer_load_dword v4, off, s[0:3], s32 offset:204
	v_bfe_u32 v2, v0, 24, 7
	s_waitcnt vmcnt(1)
	v_mov_b32_e32 v3, v9
	s_mov_b32 s25, exec_lo
	s_waitcnt vmcnt(0)
	v_mov_b32_e32 v1, v4
	buffer_store_dword v0, off, s[0:3], s32 offset:200 ; 4-byte Folded Spill
	buffer_store_dword v1, off, s[0:3], s32 offset:204 ; 4-byte Folded Spill
	;; [unrolled: 1-line block ×4, first 2 shown]
	v_cmpx_ne_u32_e32 0x7f, v2
	s_cbranch_execz .LBB243_241
; %bb.238:                              ;   in Loop: Header=BB243_16 Depth=1
	v_mov_b32_e32 v1, 7
	s_mov_b32 s26, exec_lo
	v_and_b32_sdwa v8, v0, v1 dst_sel:DWORD dst_unused:UNUSED_PAD src0_sel:BYTE_3 src1_sel:DWORD
	v_lshrrev_b32_e32 v1, 3, v2
	v_cmpx_gt_u32_e32 8, v2
; %bb.239:                              ;   in Loop: Header=BB243_16 Depth=1
	v_ffbh_u32_e32 v1, v8
	v_min_u32_e32 v1, 32, v1
	v_subrev_nc_u32_e32 v2, 28, v1
	v_sub_nc_u32_e32 v1, 29, v1
	v_lshlrev_b64 v[2:3], v2, v[8:9]
	v_and_b32_e32 v8, 7, v2
; %bb.240:                              ;   in Loop: Header=BB243_16 Depth=1
	s_or_b32 exec_lo, exec_lo, s26
	v_mov_b32_e32 v2, 24
	v_lshl_add_u32 v1, v1, 23, 0x3c000000
	v_lshlrev_b32_sdwa v0, v2, v0 dst_sel:DWORD dst_unused:UNUSED_PAD src0_sel:DWORD src1_sel:BYTE_3
	v_lshlrev_b32_e32 v2, 20, v8
	v_and_b32_e32 v0, 0x80000000, v0
	v_or3_b32 v1, v2, v0, v1
	v_mov_b32_e32 v0, v9
	buffer_store_dword v0, off, s[0:3], s32 offset:468 ; 4-byte Folded Spill
	buffer_store_dword v1, off, s[0:3], s32 offset:472 ; 4-byte Folded Spill
.LBB243_241:                            ;   in Loop: Header=BB243_16 Depth=1
	s_or_b32 exec_lo, exec_lo, s25
.LBB243_242:                            ;   in Loop: Header=BB243_16 Depth=1
	s_or_b32 exec_lo, exec_lo, s24
.LBB243_243:                            ;   in Loop: Header=BB243_16 Depth=1
	s_or_b32 exec_lo, exec_lo, s23
	flat_load_dword v0, v[114:115] offset:524
	v_mov_b32_e32 v1, 0
	v_mov_b32_e32 v2, 0
	buffer_store_dword v1, off, s[0:3], s32 offset:492 ; 4-byte Folded Spill
	buffer_store_dword v2, off, s[0:3], s32 offset:496 ; 4-byte Folded Spill
	v_mov_b32_e32 v1, 0
	v_mov_b32_e32 v2, 0
	buffer_store_dword v1, off, s[0:3], s32 offset:484 ; 4-byte Folded Spill
	buffer_store_dword v2, off, s[0:3], s32 offset:488 ; 4-byte Folded Spill
	s_waitcnt vmcnt(0) lgkmcnt(0)
	v_cmp_ne_u16_sdwa s5, v0, v9 src0_sel:BYTE_0 src1_sel:DWORD
	s_and_saveexec_b32 s23, s5
	s_cbranch_execz .LBB243_251
; %bb.244:                              ;   in Loop: Header=BB243_16 Depth=1
	v_bfrev_b32_e32 v1, 1
	v_mov_b32_e32 v2, 0
	buffer_store_dword v1, off, s[0:3], s32 offset:484 ; 4-byte Folded Spill
	buffer_store_dword v2, off, s[0:3], s32 offset:488 ; 4-byte Folded Spill
	v_mov_b32_e32 v1, 0x80
	v_cmp_ne_u16_sdwa s5, v0, v1 src0_sel:BYTE_0 src1_sel:DWORD
	s_and_saveexec_b32 s24, s5
	s_cbranch_execz .LBB243_250
; %bb.245:                              ;   in Loop: Header=BB243_16 Depth=1
	v_mov_b32_e32 v3, 0x7f800001
	v_and_b32_e32 v2, 0x7f, v0
	v_mov_b32_e32 v4, 0
	s_mov_b32 s25, exec_lo
	buffer_store_dword v3, off, s[0:3], s32 offset:484 ; 4-byte Folded Spill
	buffer_store_dword v4, off, s[0:3], s32 offset:488 ; 4-byte Folded Spill
	v_cmpx_ne_u32_e32 0x7f, v2
	s_cbranch_execz .LBB243_249
; %bb.246:                              ;   in Loop: Header=BB243_16 Depth=1
	v_and_b32_e32 v8, 7, v0
	v_lshrrev_b32_e32 v1, 3, v2
	s_mov_b32 s26, exec_lo
	v_cmpx_gt_u32_e32 8, v2
; %bb.247:                              ;   in Loop: Header=BB243_16 Depth=1
	v_ffbh_u32_e32 v1, v8
	v_min_u32_e32 v1, 32, v1
	v_subrev_nc_u32_e32 v2, 28, v1
	v_sub_nc_u32_e32 v1, 29, v1
	v_lshlrev_b64 v[2:3], v2, v[8:9]
	v_and_b32_e32 v8, 7, v2
; %bb.248:                              ;   in Loop: Header=BB243_16 Depth=1
	s_or_b32 exec_lo, exec_lo, s26
	v_lshlrev_b32_e32 v2, 24, v0
	v_lshlrev_b32_e32 v3, 20, v8
	v_lshl_add_u32 v1, v1, 23, 0x3c000000
	v_and_b32_e32 v2, 0x80000000, v2
	v_or3_b32 v8, v3, v2, v1
	buffer_store_dword v8, off, s[0:3], s32 offset:484 ; 4-byte Folded Spill
	buffer_store_dword v9, off, s[0:3], s32 offset:488 ; 4-byte Folded Spill
.LBB243_249:                            ;   in Loop: Header=BB243_16 Depth=1
	s_or_b32 exec_lo, exec_lo, s25
.LBB243_250:                            ;   in Loop: Header=BB243_16 Depth=1
	s_or_b32 exec_lo, exec_lo, s24
.LBB243_251:                            ;   in Loop: Header=BB243_16 Depth=1
	s_or_b32 exec_lo, exec_lo, s23
	v_cmp_ne_u16_sdwa s5, v0, v9 src0_sel:BYTE_1 src1_sel:DWORD
	s_and_saveexec_b32 s23, s5
	s_cbranch_execz .LBB243_259
; %bb.252:                              ;   in Loop: Header=BB243_16 Depth=1
	v_mov_b32_e32 v1, 0x80
	v_mov_b32_e32 v46, v9
	buffer_store_dword v46, off, s[0:3], s32 offset:492 ; 4-byte Folded Spill
	buffer_store_dword v47, off, s[0:3], s32 offset:496 ; 4-byte Folded Spill
	v_cmp_ne_u16_sdwa s5, v0, v1 src0_sel:BYTE_1 src1_sel:DWORD
	s_and_saveexec_b32 s24, s5
	s_cbranch_execz .LBB243_258
; %bb.253:                              ;   in Loop: Header=BB243_16 Depth=1
	s_clause 0x1
	buffer_load_dword v3, off, s[0:3], s32 offset:200
	buffer_load_dword v4, off, s[0:3], s32 offset:204
	v_mov_b32_e32 v1, 0xffff
	s_mov_b32 s25, exec_lo
	v_and_b32_sdwa v1, v1, v0 dst_sel:DWORD dst_unused:UNUSED_PAD src0_sel:DWORD src1_sel:BYTE_1
	v_and_b32_e32 v2, 0x7f, v1
	s_waitcnt vmcnt(0)
	v_mov_b32_e32 v5, v4
	v_mov_b32_e32 v4, v9
	;; [unrolled: 1-line block ×3, first 2 shown]
	buffer_store_dword v2, off, s[0:3], s32 offset:200 ; 4-byte Folded Spill
	buffer_store_dword v3, off, s[0:3], s32 offset:204 ; 4-byte Folded Spill
	;; [unrolled: 1-line block ×4, first 2 shown]
	v_cmpx_ne_u32_e32 0x7f, v2
	s_cbranch_execz .LBB243_257
; %bb.254:                              ;   in Loop: Header=BB243_16 Depth=1
	v_and_b32_e32 v8, 7, v1
	v_lshrrev_b32_e32 v1, 3, v2
	s_mov_b32 s26, exec_lo
	v_cmpx_gt_u32_e32 8, v2
; %bb.255:                              ;   in Loop: Header=BB243_16 Depth=1
	v_ffbh_u32_e32 v1, v8
	v_min_u32_e32 v1, 32, v1
	v_subrev_nc_u32_e32 v2, 28, v1
	v_sub_nc_u32_e32 v1, 29, v1
	v_lshlrev_b64 v[2:3], v2, v[8:9]
	v_and_b32_e32 v8, 7, v2
; %bb.256:                              ;   in Loop: Header=BB243_16 Depth=1
	s_or_b32 exec_lo, exec_lo, s26
	v_lshlrev_b32_e32 v2, 16, v0
	v_lshlrev_b32_e32 v3, 20, v8
	v_lshl_add_u32 v1, v1, 23, 0x3c000000
	v_and_b32_e32 v2, 0x80000000, v2
	v_or3_b32 v2, v3, v2, v1
	v_mov_b32_e32 v1, v9
	buffer_store_dword v1, off, s[0:3], s32 offset:492 ; 4-byte Folded Spill
	buffer_store_dword v2, off, s[0:3], s32 offset:496 ; 4-byte Folded Spill
.LBB243_257:                            ;   in Loop: Header=BB243_16 Depth=1
	s_or_b32 exec_lo, exec_lo, s25
.LBB243_258:                            ;   in Loop: Header=BB243_16 Depth=1
	s_or_b32 exec_lo, exec_lo, s24
.LBB243_259:                            ;   in Loop: Header=BB243_16 Depth=1
	s_or_b32 exec_lo, exec_lo, s23
	v_mov_b32_e32 v2, 0
	v_mov_b32_e32 v3, 0
	;; [unrolled: 1-line block ×3, first 2 shown]
	s_mov_b32 s23, exec_lo
	buffer_store_dword v2, off, s[0:3], s32 offset:500 ; 4-byte Folded Spill
	buffer_store_dword v3, off, s[0:3], s32 offset:504 ; 4-byte Folded Spill
	v_mov_b32_e32 v2, 0
	v_and_b32_sdwa v1, v0, v1 dst_sel:DWORD dst_unused:UNUSED_PAD src0_sel:WORD_1 src1_sel:DWORD
	v_mov_b32_e32 v3, 0
	buffer_store_dword v2, off, s[0:3], s32 offset:508 ; 4-byte Folded Spill
	buffer_store_dword v3, off, s[0:3], s32 offset:512 ; 4-byte Folded Spill
	v_cmpx_ne_u16_e32 0, v1
	s_cbranch_execz .LBB243_267
; %bb.260:                              ;   in Loop: Header=BB243_16 Depth=1
	v_cmp_ne_u16_e64 s5, 0x80, v1
	v_bfrev_b32_e32 v1, 1
	v_mov_b32_e32 v2, 0
	buffer_store_dword v1, off, s[0:3], s32 offset:508 ; 4-byte Folded Spill
	buffer_store_dword v2, off, s[0:3], s32 offset:512 ; 4-byte Folded Spill
	s_and_saveexec_b32 s24, s5
	s_cbranch_execz .LBB243_266
; %bb.261:                              ;   in Loop: Header=BB243_16 Depth=1
	v_mov_b32_e32 v3, 0x7f800001
	v_bfe_u32 v2, v0, 16, 7
	v_mov_b32_e32 v4, 0
	s_mov_b32 s25, exec_lo
	buffer_store_dword v3, off, s[0:3], s32 offset:508 ; 4-byte Folded Spill
	buffer_store_dword v4, off, s[0:3], s32 offset:512 ; 4-byte Folded Spill
	v_cmpx_ne_u32_e32 0x7f, v2
	s_cbranch_execz .LBB243_265
; %bb.262:                              ;   in Loop: Header=BB243_16 Depth=1
	v_mov_b32_e32 v1, 7
	s_mov_b32 s26, exec_lo
	v_and_b32_sdwa v8, v0, v1 dst_sel:DWORD dst_unused:UNUSED_PAD src0_sel:WORD_1 src1_sel:DWORD
	v_lshrrev_b32_e32 v1, 3, v2
	v_cmpx_gt_u32_e32 8, v2
; %bb.263:                              ;   in Loop: Header=BB243_16 Depth=1
	v_ffbh_u32_e32 v1, v8
	v_min_u32_e32 v1, 32, v1
	v_subrev_nc_u32_e32 v2, 28, v1
	v_sub_nc_u32_e32 v1, 29, v1
	v_lshlrev_b64 v[2:3], v2, v[8:9]
	v_and_b32_e32 v8, 7, v2
; %bb.264:                              ;   in Loop: Header=BB243_16 Depth=1
	s_or_b32 exec_lo, exec_lo, s26
	v_mov_b32_e32 v2, 24
	v_lshlrev_b32_e32 v3, 20, v8
	v_lshl_add_u32 v1, v1, 23, 0x3c000000
	v_lshlrev_b32_sdwa v2, v2, v0 dst_sel:DWORD dst_unused:UNUSED_PAD src0_sel:DWORD src1_sel:WORD_1
	v_and_b32_e32 v2, 0x80000000, v2
	v_or3_b32 v8, v3, v2, v1
	buffer_store_dword v8, off, s[0:3], s32 offset:508 ; 4-byte Folded Spill
	buffer_store_dword v9, off, s[0:3], s32 offset:512 ; 4-byte Folded Spill
.LBB243_265:                            ;   in Loop: Header=BB243_16 Depth=1
	s_or_b32 exec_lo, exec_lo, s25
.LBB243_266:                            ;   in Loop: Header=BB243_16 Depth=1
	s_or_b32 exec_lo, exec_lo, s24
.LBB243_267:                            ;   in Loop: Header=BB243_16 Depth=1
	s_or_b32 exec_lo, exec_lo, s23
	s_mov_b32 s23, exec_lo
	v_cmpx_lt_u32_e32 0xffffff, v0
	s_cbranch_execz .LBB243_275
; %bb.268:                              ;   in Loop: Header=BB243_16 Depth=1
	v_mov_b32_e32 v1, 0x80
	v_mov_b32_e32 v46, v9
	buffer_store_dword v46, off, s[0:3], s32 offset:500 ; 4-byte Folded Spill
	buffer_store_dword v47, off, s[0:3], s32 offset:504 ; 4-byte Folded Spill
	v_cmp_ne_u32_sdwa s5, v0, v1 src0_sel:BYTE_3 src1_sel:DWORD
	s_and_saveexec_b32 s24, s5
	s_cbranch_execz .LBB243_274
; %bb.269:                              ;   in Loop: Header=BB243_16 Depth=1
	s_clause 0x1
	buffer_load_dword v3, off, s[0:3], s32 offset:200
	buffer_load_dword v4, off, s[0:3], s32 offset:204
	v_bfe_u32 v2, v0, 24, 7
	s_waitcnt vmcnt(1)
	v_mov_b32_e32 v3, v9
	s_mov_b32 s25, exec_lo
	s_waitcnt vmcnt(0)
	v_mov_b32_e32 v1, v4
	buffer_store_dword v0, off, s[0:3], s32 offset:200 ; 4-byte Folded Spill
	buffer_store_dword v1, off, s[0:3], s32 offset:204 ; 4-byte Folded Spill
	;; [unrolled: 1-line block ×4, first 2 shown]
	v_cmpx_ne_u32_e32 0x7f, v2
	s_cbranch_execz .LBB243_273
; %bb.270:                              ;   in Loop: Header=BB243_16 Depth=1
	v_mov_b32_e32 v1, 7
	s_mov_b32 s26, exec_lo
	v_and_b32_sdwa v8, v0, v1 dst_sel:DWORD dst_unused:UNUSED_PAD src0_sel:BYTE_3 src1_sel:DWORD
	v_lshrrev_b32_e32 v1, 3, v2
	v_cmpx_gt_u32_e32 8, v2
; %bb.271:                              ;   in Loop: Header=BB243_16 Depth=1
	v_ffbh_u32_e32 v1, v8
	v_min_u32_e32 v1, 32, v1
	v_subrev_nc_u32_e32 v2, 28, v1
	v_sub_nc_u32_e32 v1, 29, v1
	v_lshlrev_b64 v[2:3], v2, v[8:9]
	v_and_b32_e32 v8, 7, v2
; %bb.272:                              ;   in Loop: Header=BB243_16 Depth=1
	s_or_b32 exec_lo, exec_lo, s26
	v_mov_b32_e32 v2, 24
	v_lshl_add_u32 v1, v1, 23, 0x3c000000
	v_lshlrev_b32_sdwa v0, v2, v0 dst_sel:DWORD dst_unused:UNUSED_PAD src0_sel:DWORD src1_sel:BYTE_3
	v_lshlrev_b32_e32 v2, 20, v8
	v_and_b32_e32 v0, 0x80000000, v0
	v_or3_b32 v1, v2, v0, v1
	v_mov_b32_e32 v0, v9
	buffer_store_dword v0, off, s[0:3], s32 offset:500 ; 4-byte Folded Spill
	buffer_store_dword v1, off, s[0:3], s32 offset:504 ; 4-byte Folded Spill
.LBB243_273:                            ;   in Loop: Header=BB243_16 Depth=1
	s_or_b32 exec_lo, exec_lo, s25
.LBB243_274:                            ;   in Loop: Header=BB243_16 Depth=1
	s_or_b32 exec_lo, exec_lo, s24
.LBB243_275:                            ;   in Loop: Header=BB243_16 Depth=1
	s_or_b32 exec_lo, exec_lo, s23
	flat_load_dword v0, v[114:115] offset:1024
	v_mov_b32_e32 v1, 0
	v_mov_b32_e32 v2, 0
	buffer_store_dword v1, off, s[0:3], s32 offset:524 ; 4-byte Folded Spill
	buffer_store_dword v2, off, s[0:3], s32 offset:528 ; 4-byte Folded Spill
	v_mov_b32_e32 v1, 0
	v_mov_b32_e32 v2, 0
	buffer_store_dword v1, off, s[0:3], s32 offset:516 ; 4-byte Folded Spill
	buffer_store_dword v2, off, s[0:3], s32 offset:520 ; 4-byte Folded Spill
	s_waitcnt vmcnt(0) lgkmcnt(0)
	v_cmp_ne_u16_sdwa s5, v0, v9 src0_sel:BYTE_0 src1_sel:DWORD
	s_and_saveexec_b32 s23, s5
	s_cbranch_execz .LBB243_283
; %bb.276:                              ;   in Loop: Header=BB243_16 Depth=1
	v_bfrev_b32_e32 v1, 1
	v_mov_b32_e32 v2, 0
	buffer_store_dword v1, off, s[0:3], s32 offset:516 ; 4-byte Folded Spill
	buffer_store_dword v2, off, s[0:3], s32 offset:520 ; 4-byte Folded Spill
	v_mov_b32_e32 v1, 0x80
	v_cmp_ne_u16_sdwa s5, v0, v1 src0_sel:BYTE_0 src1_sel:DWORD
	s_and_saveexec_b32 s24, s5
	s_cbranch_execz .LBB243_282
; %bb.277:                              ;   in Loop: Header=BB243_16 Depth=1
	v_mov_b32_e32 v3, 0x7f800001
	v_and_b32_e32 v2, 0x7f, v0
	v_mov_b32_e32 v4, 0
	s_mov_b32 s25, exec_lo
	buffer_store_dword v3, off, s[0:3], s32 offset:516 ; 4-byte Folded Spill
	buffer_store_dword v4, off, s[0:3], s32 offset:520 ; 4-byte Folded Spill
	v_cmpx_ne_u32_e32 0x7f, v2
	s_cbranch_execz .LBB243_281
; %bb.278:                              ;   in Loop: Header=BB243_16 Depth=1
	v_and_b32_e32 v8, 7, v0
	v_lshrrev_b32_e32 v1, 3, v2
	s_mov_b32 s26, exec_lo
	v_cmpx_gt_u32_e32 8, v2
; %bb.279:                              ;   in Loop: Header=BB243_16 Depth=1
	v_ffbh_u32_e32 v1, v8
	v_min_u32_e32 v1, 32, v1
	v_subrev_nc_u32_e32 v2, 28, v1
	v_sub_nc_u32_e32 v1, 29, v1
	v_lshlrev_b64 v[2:3], v2, v[8:9]
	v_and_b32_e32 v8, 7, v2
; %bb.280:                              ;   in Loop: Header=BB243_16 Depth=1
	s_or_b32 exec_lo, exec_lo, s26
	v_lshlrev_b32_e32 v2, 24, v0
	v_lshlrev_b32_e32 v3, 20, v8
	v_lshl_add_u32 v1, v1, 23, 0x3c000000
	v_and_b32_e32 v2, 0x80000000, v2
	v_or3_b32 v8, v3, v2, v1
	buffer_store_dword v8, off, s[0:3], s32 offset:516 ; 4-byte Folded Spill
	buffer_store_dword v9, off, s[0:3], s32 offset:520 ; 4-byte Folded Spill
.LBB243_281:                            ;   in Loop: Header=BB243_16 Depth=1
	s_or_b32 exec_lo, exec_lo, s25
.LBB243_282:                            ;   in Loop: Header=BB243_16 Depth=1
	s_or_b32 exec_lo, exec_lo, s24
.LBB243_283:                            ;   in Loop: Header=BB243_16 Depth=1
	s_or_b32 exec_lo, exec_lo, s23
	v_cmp_ne_u16_sdwa s5, v0, v9 src0_sel:BYTE_1 src1_sel:DWORD
	s_and_saveexec_b32 s23, s5
	s_cbranch_execz .LBB243_291
; %bb.284:                              ;   in Loop: Header=BB243_16 Depth=1
	v_mov_b32_e32 v1, 0x80
	v_mov_b32_e32 v46, v9
	buffer_store_dword v46, off, s[0:3], s32 offset:524 ; 4-byte Folded Spill
	buffer_store_dword v47, off, s[0:3], s32 offset:528 ; 4-byte Folded Spill
	v_cmp_ne_u16_sdwa s5, v0, v1 src0_sel:BYTE_1 src1_sel:DWORD
	s_and_saveexec_b32 s24, s5
	s_cbranch_execz .LBB243_290
; %bb.285:                              ;   in Loop: Header=BB243_16 Depth=1
	s_clause 0x1
	buffer_load_dword v3, off, s[0:3], s32 offset:200
	buffer_load_dword v4, off, s[0:3], s32 offset:204
	v_mov_b32_e32 v1, 0xffff
	s_mov_b32 s25, exec_lo
	v_and_b32_sdwa v1, v1, v0 dst_sel:DWORD dst_unused:UNUSED_PAD src0_sel:DWORD src1_sel:BYTE_1
	v_and_b32_e32 v2, 0x7f, v1
	s_waitcnt vmcnt(0)
	v_mov_b32_e32 v5, v4
	v_mov_b32_e32 v4, v9
	;; [unrolled: 1-line block ×3, first 2 shown]
	buffer_store_dword v2, off, s[0:3], s32 offset:200 ; 4-byte Folded Spill
	buffer_store_dword v3, off, s[0:3], s32 offset:204 ; 4-byte Folded Spill
	;; [unrolled: 1-line block ×4, first 2 shown]
	v_cmpx_ne_u32_e32 0x7f, v2
	s_cbranch_execz .LBB243_289
; %bb.286:                              ;   in Loop: Header=BB243_16 Depth=1
	v_and_b32_e32 v8, 7, v1
	v_lshrrev_b32_e32 v1, 3, v2
	s_mov_b32 s26, exec_lo
	v_cmpx_gt_u32_e32 8, v2
; %bb.287:                              ;   in Loop: Header=BB243_16 Depth=1
	v_ffbh_u32_e32 v1, v8
	v_min_u32_e32 v1, 32, v1
	v_subrev_nc_u32_e32 v2, 28, v1
	v_sub_nc_u32_e32 v1, 29, v1
	v_lshlrev_b64 v[2:3], v2, v[8:9]
	v_and_b32_e32 v8, 7, v2
; %bb.288:                              ;   in Loop: Header=BB243_16 Depth=1
	s_or_b32 exec_lo, exec_lo, s26
	v_lshlrev_b32_e32 v2, 16, v0
	v_lshlrev_b32_e32 v3, 20, v8
	v_lshl_add_u32 v1, v1, 23, 0x3c000000
	v_and_b32_e32 v2, 0x80000000, v2
	v_or3_b32 v2, v3, v2, v1
	v_mov_b32_e32 v1, v9
	buffer_store_dword v1, off, s[0:3], s32 offset:524 ; 4-byte Folded Spill
	buffer_store_dword v2, off, s[0:3], s32 offset:528 ; 4-byte Folded Spill
.LBB243_289:                            ;   in Loop: Header=BB243_16 Depth=1
	s_or_b32 exec_lo, exec_lo, s25
.LBB243_290:                            ;   in Loop: Header=BB243_16 Depth=1
	s_or_b32 exec_lo, exec_lo, s24
.LBB243_291:                            ;   in Loop: Header=BB243_16 Depth=1
	s_or_b32 exec_lo, exec_lo, s23
	v_mov_b32_e32 v2, 0
	v_mov_b32_e32 v3, 0
	v_mov_b32_e32 v1, 0xff
	s_mov_b32 s23, exec_lo
	buffer_store_dword v2, off, s[0:3], s32 offset:532 ; 4-byte Folded Spill
	buffer_store_dword v3, off, s[0:3], s32 offset:536 ; 4-byte Folded Spill
	v_mov_b32_e32 v2, 0
	v_and_b32_sdwa v1, v0, v1 dst_sel:DWORD dst_unused:UNUSED_PAD src0_sel:WORD_1 src1_sel:DWORD
	v_mov_b32_e32 v3, 0
	buffer_store_dword v2, off, s[0:3], s32 offset:540 ; 4-byte Folded Spill
	buffer_store_dword v3, off, s[0:3], s32 offset:544 ; 4-byte Folded Spill
	v_cmpx_ne_u16_e32 0, v1
	s_cbranch_execz .LBB243_299
; %bb.292:                              ;   in Loop: Header=BB243_16 Depth=1
	v_cmp_ne_u16_e64 s5, 0x80, v1
	v_bfrev_b32_e32 v1, 1
	v_mov_b32_e32 v2, 0
	buffer_store_dword v1, off, s[0:3], s32 offset:540 ; 4-byte Folded Spill
	buffer_store_dword v2, off, s[0:3], s32 offset:544 ; 4-byte Folded Spill
	s_and_saveexec_b32 s24, s5
	s_cbranch_execz .LBB243_298
; %bb.293:                              ;   in Loop: Header=BB243_16 Depth=1
	v_mov_b32_e32 v3, 0x7f800001
	v_bfe_u32 v2, v0, 16, 7
	v_mov_b32_e32 v4, 0
	s_mov_b32 s25, exec_lo
	buffer_store_dword v3, off, s[0:3], s32 offset:540 ; 4-byte Folded Spill
	buffer_store_dword v4, off, s[0:3], s32 offset:544 ; 4-byte Folded Spill
	v_cmpx_ne_u32_e32 0x7f, v2
	s_cbranch_execz .LBB243_297
; %bb.294:                              ;   in Loop: Header=BB243_16 Depth=1
	v_mov_b32_e32 v1, 7
	s_mov_b32 s26, exec_lo
	v_and_b32_sdwa v8, v0, v1 dst_sel:DWORD dst_unused:UNUSED_PAD src0_sel:WORD_1 src1_sel:DWORD
	v_lshrrev_b32_e32 v1, 3, v2
	v_cmpx_gt_u32_e32 8, v2
; %bb.295:                              ;   in Loop: Header=BB243_16 Depth=1
	v_ffbh_u32_e32 v1, v8
	v_min_u32_e32 v1, 32, v1
	v_subrev_nc_u32_e32 v2, 28, v1
	v_sub_nc_u32_e32 v1, 29, v1
	v_lshlrev_b64 v[2:3], v2, v[8:9]
	v_and_b32_e32 v8, 7, v2
; %bb.296:                              ;   in Loop: Header=BB243_16 Depth=1
	s_or_b32 exec_lo, exec_lo, s26
	v_mov_b32_e32 v2, 24
	v_lshlrev_b32_e32 v3, 20, v8
	v_lshl_add_u32 v1, v1, 23, 0x3c000000
	v_lshlrev_b32_sdwa v2, v2, v0 dst_sel:DWORD dst_unused:UNUSED_PAD src0_sel:DWORD src1_sel:WORD_1
	v_and_b32_e32 v2, 0x80000000, v2
	v_or3_b32 v8, v3, v2, v1
	buffer_store_dword v8, off, s[0:3], s32 offset:540 ; 4-byte Folded Spill
	buffer_store_dword v9, off, s[0:3], s32 offset:544 ; 4-byte Folded Spill
.LBB243_297:                            ;   in Loop: Header=BB243_16 Depth=1
	s_or_b32 exec_lo, exec_lo, s25
.LBB243_298:                            ;   in Loop: Header=BB243_16 Depth=1
	s_or_b32 exec_lo, exec_lo, s24
.LBB243_299:                            ;   in Loop: Header=BB243_16 Depth=1
	s_or_b32 exec_lo, exec_lo, s23
	s_mov_b32 s23, exec_lo
	v_cmpx_lt_u32_e32 0xffffff, v0
	s_cbranch_execz .LBB243_307
; %bb.300:                              ;   in Loop: Header=BB243_16 Depth=1
	v_mov_b32_e32 v1, 0x80
	v_mov_b32_e32 v46, v9
	buffer_store_dword v46, off, s[0:3], s32 offset:532 ; 4-byte Folded Spill
	buffer_store_dword v47, off, s[0:3], s32 offset:536 ; 4-byte Folded Spill
	v_cmp_ne_u32_sdwa s5, v0, v1 src0_sel:BYTE_3 src1_sel:DWORD
	s_and_saveexec_b32 s24, s5
	s_cbranch_execz .LBB243_306
; %bb.301:                              ;   in Loop: Header=BB243_16 Depth=1
	s_clause 0x1
	buffer_load_dword v3, off, s[0:3], s32 offset:200
	buffer_load_dword v4, off, s[0:3], s32 offset:204
	v_bfe_u32 v2, v0, 24, 7
	s_waitcnt vmcnt(1)
	v_mov_b32_e32 v3, v9
	s_mov_b32 s25, exec_lo
	s_waitcnt vmcnt(0)
	v_mov_b32_e32 v1, v4
	buffer_store_dword v0, off, s[0:3], s32 offset:200 ; 4-byte Folded Spill
	buffer_store_dword v1, off, s[0:3], s32 offset:204 ; 4-byte Folded Spill
	;; [unrolled: 1-line block ×4, first 2 shown]
	v_cmpx_ne_u32_e32 0x7f, v2
	s_cbranch_execz .LBB243_305
; %bb.302:                              ;   in Loop: Header=BB243_16 Depth=1
	v_mov_b32_e32 v1, 7
	s_mov_b32 s26, exec_lo
	v_and_b32_sdwa v8, v0, v1 dst_sel:DWORD dst_unused:UNUSED_PAD src0_sel:BYTE_3 src1_sel:DWORD
	v_lshrrev_b32_e32 v1, 3, v2
	v_cmpx_gt_u32_e32 8, v2
; %bb.303:                              ;   in Loop: Header=BB243_16 Depth=1
	v_ffbh_u32_e32 v1, v8
	v_min_u32_e32 v1, 32, v1
	v_subrev_nc_u32_e32 v2, 28, v1
	v_sub_nc_u32_e32 v1, 29, v1
	v_lshlrev_b64 v[2:3], v2, v[8:9]
	v_and_b32_e32 v8, 7, v2
; %bb.304:                              ;   in Loop: Header=BB243_16 Depth=1
	s_or_b32 exec_lo, exec_lo, s26
	v_mov_b32_e32 v2, 24
	v_lshl_add_u32 v1, v1, 23, 0x3c000000
	v_lshlrev_b32_sdwa v0, v2, v0 dst_sel:DWORD dst_unused:UNUSED_PAD src0_sel:DWORD src1_sel:BYTE_3
	v_lshlrev_b32_e32 v2, 20, v8
	v_and_b32_e32 v0, 0x80000000, v0
	v_or3_b32 v1, v2, v0, v1
	v_mov_b32_e32 v0, v9
	buffer_store_dword v0, off, s[0:3], s32 offset:532 ; 4-byte Folded Spill
	buffer_store_dword v1, off, s[0:3], s32 offset:536 ; 4-byte Folded Spill
.LBB243_305:                            ;   in Loop: Header=BB243_16 Depth=1
	s_or_b32 exec_lo, exec_lo, s25
.LBB243_306:                            ;   in Loop: Header=BB243_16 Depth=1
	s_or_b32 exec_lo, exec_lo, s24
.LBB243_307:                            ;   in Loop: Header=BB243_16 Depth=1
	s_or_b32 exec_lo, exec_lo, s23
	flat_load_dword v0, v[114:115] offset:1028
	v_mov_b32_e32 v1, 0
	v_mov_b32_e32 v2, 0
	buffer_store_dword v1, off, s[0:3], s32 offset:556 ; 4-byte Folded Spill
	buffer_store_dword v2, off, s[0:3], s32 offset:560 ; 4-byte Folded Spill
	v_mov_b32_e32 v1, 0
	v_mov_b32_e32 v2, 0
	buffer_store_dword v1, off, s[0:3], s32 offset:548 ; 4-byte Folded Spill
	buffer_store_dword v2, off, s[0:3], s32 offset:552 ; 4-byte Folded Spill
	s_waitcnt vmcnt(0) lgkmcnt(0)
	v_cmp_ne_u16_sdwa s5, v0, v9 src0_sel:BYTE_0 src1_sel:DWORD
	s_and_saveexec_b32 s23, s5
	s_cbranch_execz .LBB243_315
; %bb.308:                              ;   in Loop: Header=BB243_16 Depth=1
	v_bfrev_b32_e32 v1, 1
	v_mov_b32_e32 v2, 0
	buffer_store_dword v1, off, s[0:3], s32 offset:548 ; 4-byte Folded Spill
	buffer_store_dword v2, off, s[0:3], s32 offset:552 ; 4-byte Folded Spill
	v_mov_b32_e32 v1, 0x80
	v_cmp_ne_u16_sdwa s5, v0, v1 src0_sel:BYTE_0 src1_sel:DWORD
	s_and_saveexec_b32 s24, s5
	s_cbranch_execz .LBB243_314
; %bb.309:                              ;   in Loop: Header=BB243_16 Depth=1
	v_mov_b32_e32 v3, 0x7f800001
	v_and_b32_e32 v2, 0x7f, v0
	v_mov_b32_e32 v4, 0
	s_mov_b32 s25, exec_lo
	buffer_store_dword v3, off, s[0:3], s32 offset:548 ; 4-byte Folded Spill
	buffer_store_dword v4, off, s[0:3], s32 offset:552 ; 4-byte Folded Spill
	v_cmpx_ne_u32_e32 0x7f, v2
	s_cbranch_execz .LBB243_313
; %bb.310:                              ;   in Loop: Header=BB243_16 Depth=1
	v_and_b32_e32 v8, 7, v0
	v_lshrrev_b32_e32 v1, 3, v2
	s_mov_b32 s26, exec_lo
	v_cmpx_gt_u32_e32 8, v2
; %bb.311:                              ;   in Loop: Header=BB243_16 Depth=1
	v_ffbh_u32_e32 v1, v8
	v_min_u32_e32 v1, 32, v1
	v_subrev_nc_u32_e32 v2, 28, v1
	v_sub_nc_u32_e32 v1, 29, v1
	v_lshlrev_b64 v[2:3], v2, v[8:9]
	v_and_b32_e32 v8, 7, v2
; %bb.312:                              ;   in Loop: Header=BB243_16 Depth=1
	s_or_b32 exec_lo, exec_lo, s26
	v_lshlrev_b32_e32 v2, 24, v0
	v_lshlrev_b32_e32 v3, 20, v8
	v_lshl_add_u32 v1, v1, 23, 0x3c000000
	v_and_b32_e32 v2, 0x80000000, v2
	v_or3_b32 v8, v3, v2, v1
	buffer_store_dword v8, off, s[0:3], s32 offset:548 ; 4-byte Folded Spill
	buffer_store_dword v9, off, s[0:3], s32 offset:552 ; 4-byte Folded Spill
.LBB243_313:                            ;   in Loop: Header=BB243_16 Depth=1
	s_or_b32 exec_lo, exec_lo, s25
.LBB243_314:                            ;   in Loop: Header=BB243_16 Depth=1
	s_or_b32 exec_lo, exec_lo, s24
.LBB243_315:                            ;   in Loop: Header=BB243_16 Depth=1
	s_or_b32 exec_lo, exec_lo, s23
	v_cmp_ne_u16_sdwa s5, v0, v9 src0_sel:BYTE_1 src1_sel:DWORD
	s_and_saveexec_b32 s23, s5
	s_cbranch_execz .LBB243_323
; %bb.316:                              ;   in Loop: Header=BB243_16 Depth=1
	v_mov_b32_e32 v1, 0x80
	v_mov_b32_e32 v46, v9
	buffer_store_dword v46, off, s[0:3], s32 offset:556 ; 4-byte Folded Spill
	buffer_store_dword v47, off, s[0:3], s32 offset:560 ; 4-byte Folded Spill
	v_cmp_ne_u16_sdwa s5, v0, v1 src0_sel:BYTE_1 src1_sel:DWORD
	s_and_saveexec_b32 s24, s5
	s_cbranch_execz .LBB243_322
; %bb.317:                              ;   in Loop: Header=BB243_16 Depth=1
	s_clause 0x1
	buffer_load_dword v3, off, s[0:3], s32 offset:200
	buffer_load_dword v4, off, s[0:3], s32 offset:204
	v_mov_b32_e32 v1, 0xffff
	s_mov_b32 s25, exec_lo
	v_and_b32_sdwa v1, v1, v0 dst_sel:DWORD dst_unused:UNUSED_PAD src0_sel:DWORD src1_sel:BYTE_1
	v_and_b32_e32 v2, 0x7f, v1
	s_waitcnt vmcnt(0)
	v_mov_b32_e32 v5, v4
	v_mov_b32_e32 v4, v9
	;; [unrolled: 1-line block ×3, first 2 shown]
	buffer_store_dword v2, off, s[0:3], s32 offset:200 ; 4-byte Folded Spill
	buffer_store_dword v3, off, s[0:3], s32 offset:204 ; 4-byte Folded Spill
	;; [unrolled: 1-line block ×4, first 2 shown]
	v_cmpx_ne_u32_e32 0x7f, v2
	s_cbranch_execz .LBB243_321
; %bb.318:                              ;   in Loop: Header=BB243_16 Depth=1
	v_and_b32_e32 v8, 7, v1
	v_lshrrev_b32_e32 v1, 3, v2
	s_mov_b32 s26, exec_lo
	v_cmpx_gt_u32_e32 8, v2
; %bb.319:                              ;   in Loop: Header=BB243_16 Depth=1
	v_ffbh_u32_e32 v1, v8
	v_min_u32_e32 v1, 32, v1
	v_subrev_nc_u32_e32 v2, 28, v1
	v_sub_nc_u32_e32 v1, 29, v1
	v_lshlrev_b64 v[2:3], v2, v[8:9]
	v_and_b32_e32 v8, 7, v2
; %bb.320:                              ;   in Loop: Header=BB243_16 Depth=1
	s_or_b32 exec_lo, exec_lo, s26
	v_lshlrev_b32_e32 v2, 16, v0
	v_lshlrev_b32_e32 v3, 20, v8
	v_lshl_add_u32 v1, v1, 23, 0x3c000000
	v_and_b32_e32 v2, 0x80000000, v2
	v_or3_b32 v2, v3, v2, v1
	v_mov_b32_e32 v1, v9
	buffer_store_dword v1, off, s[0:3], s32 offset:556 ; 4-byte Folded Spill
	buffer_store_dword v2, off, s[0:3], s32 offset:560 ; 4-byte Folded Spill
.LBB243_321:                            ;   in Loop: Header=BB243_16 Depth=1
	s_or_b32 exec_lo, exec_lo, s25
.LBB243_322:                            ;   in Loop: Header=BB243_16 Depth=1
	s_or_b32 exec_lo, exec_lo, s24
.LBB243_323:                            ;   in Loop: Header=BB243_16 Depth=1
	s_or_b32 exec_lo, exec_lo, s23
	v_mov_b32_e32 v2, 0
	v_mov_b32_e32 v3, 0
	;; [unrolled: 1-line block ×3, first 2 shown]
	s_mov_b32 s23, exec_lo
	buffer_store_dword v2, off, s[0:3], s32 offset:564 ; 4-byte Folded Spill
	buffer_store_dword v3, off, s[0:3], s32 offset:568 ; 4-byte Folded Spill
	v_mov_b32_e32 v2, 0
	v_and_b32_sdwa v1, v0, v1 dst_sel:DWORD dst_unused:UNUSED_PAD src0_sel:WORD_1 src1_sel:DWORD
	v_mov_b32_e32 v3, 0
	buffer_store_dword v2, off, s[0:3], s32 offset:572 ; 4-byte Folded Spill
	buffer_store_dword v3, off, s[0:3], s32 offset:576 ; 4-byte Folded Spill
	v_cmpx_ne_u16_e32 0, v1
	s_cbranch_execz .LBB243_331
; %bb.324:                              ;   in Loop: Header=BB243_16 Depth=1
	v_cmp_ne_u16_e64 s5, 0x80, v1
	v_bfrev_b32_e32 v1, 1
	v_mov_b32_e32 v2, 0
	buffer_store_dword v1, off, s[0:3], s32 offset:572 ; 4-byte Folded Spill
	buffer_store_dword v2, off, s[0:3], s32 offset:576 ; 4-byte Folded Spill
	s_and_saveexec_b32 s24, s5
	s_cbranch_execz .LBB243_330
; %bb.325:                              ;   in Loop: Header=BB243_16 Depth=1
	v_mov_b32_e32 v3, 0x7f800001
	v_bfe_u32 v2, v0, 16, 7
	v_mov_b32_e32 v4, 0
	s_mov_b32 s25, exec_lo
	buffer_store_dword v3, off, s[0:3], s32 offset:572 ; 4-byte Folded Spill
	buffer_store_dword v4, off, s[0:3], s32 offset:576 ; 4-byte Folded Spill
	v_cmpx_ne_u32_e32 0x7f, v2
	s_cbranch_execz .LBB243_329
; %bb.326:                              ;   in Loop: Header=BB243_16 Depth=1
	v_mov_b32_e32 v1, 7
	s_mov_b32 s26, exec_lo
	v_and_b32_sdwa v8, v0, v1 dst_sel:DWORD dst_unused:UNUSED_PAD src0_sel:WORD_1 src1_sel:DWORD
	v_lshrrev_b32_e32 v1, 3, v2
	v_cmpx_gt_u32_e32 8, v2
; %bb.327:                              ;   in Loop: Header=BB243_16 Depth=1
	v_ffbh_u32_e32 v1, v8
	v_min_u32_e32 v1, 32, v1
	v_subrev_nc_u32_e32 v2, 28, v1
	v_sub_nc_u32_e32 v1, 29, v1
	v_lshlrev_b64 v[2:3], v2, v[8:9]
	v_and_b32_e32 v8, 7, v2
; %bb.328:                              ;   in Loop: Header=BB243_16 Depth=1
	s_or_b32 exec_lo, exec_lo, s26
	v_mov_b32_e32 v2, 24
	v_lshlrev_b32_e32 v3, 20, v8
	v_lshl_add_u32 v1, v1, 23, 0x3c000000
	v_lshlrev_b32_sdwa v2, v2, v0 dst_sel:DWORD dst_unused:UNUSED_PAD src0_sel:DWORD src1_sel:WORD_1
	v_and_b32_e32 v2, 0x80000000, v2
	v_or3_b32 v8, v3, v2, v1
	buffer_store_dword v8, off, s[0:3], s32 offset:572 ; 4-byte Folded Spill
	buffer_store_dword v9, off, s[0:3], s32 offset:576 ; 4-byte Folded Spill
.LBB243_329:                            ;   in Loop: Header=BB243_16 Depth=1
	s_or_b32 exec_lo, exec_lo, s25
.LBB243_330:                            ;   in Loop: Header=BB243_16 Depth=1
	s_or_b32 exec_lo, exec_lo, s24
.LBB243_331:                            ;   in Loop: Header=BB243_16 Depth=1
	s_or_b32 exec_lo, exec_lo, s23
	s_mov_b32 s23, exec_lo
	v_cmpx_lt_u32_e32 0xffffff, v0
	s_cbranch_execz .LBB243_339
; %bb.332:                              ;   in Loop: Header=BB243_16 Depth=1
	v_mov_b32_e32 v1, 0x80
	v_mov_b32_e32 v46, v9
	buffer_store_dword v46, off, s[0:3], s32 offset:564 ; 4-byte Folded Spill
	buffer_store_dword v47, off, s[0:3], s32 offset:568 ; 4-byte Folded Spill
	v_cmp_ne_u32_sdwa s5, v0, v1 src0_sel:BYTE_3 src1_sel:DWORD
	s_and_saveexec_b32 s24, s5
	s_cbranch_execz .LBB243_338
; %bb.333:                              ;   in Loop: Header=BB243_16 Depth=1
	s_clause 0x1
	buffer_load_dword v3, off, s[0:3], s32 offset:200
	buffer_load_dword v4, off, s[0:3], s32 offset:204
	v_bfe_u32 v2, v0, 24, 7
	s_waitcnt vmcnt(1)
	v_mov_b32_e32 v3, v9
	s_mov_b32 s25, exec_lo
	s_waitcnt vmcnt(0)
	v_mov_b32_e32 v1, v4
	buffer_store_dword v0, off, s[0:3], s32 offset:200 ; 4-byte Folded Spill
	buffer_store_dword v1, off, s[0:3], s32 offset:204 ; 4-byte Folded Spill
	;; [unrolled: 1-line block ×4, first 2 shown]
	v_cmpx_ne_u32_e32 0x7f, v2
	s_cbranch_execz .LBB243_337
; %bb.334:                              ;   in Loop: Header=BB243_16 Depth=1
	v_mov_b32_e32 v1, 7
	s_mov_b32 s26, exec_lo
	v_and_b32_sdwa v8, v0, v1 dst_sel:DWORD dst_unused:UNUSED_PAD src0_sel:BYTE_3 src1_sel:DWORD
	v_lshrrev_b32_e32 v1, 3, v2
	v_cmpx_gt_u32_e32 8, v2
; %bb.335:                              ;   in Loop: Header=BB243_16 Depth=1
	v_ffbh_u32_e32 v1, v8
	v_min_u32_e32 v1, 32, v1
	v_subrev_nc_u32_e32 v2, 28, v1
	v_sub_nc_u32_e32 v1, 29, v1
	v_lshlrev_b64 v[2:3], v2, v[8:9]
	v_and_b32_e32 v8, 7, v2
; %bb.336:                              ;   in Loop: Header=BB243_16 Depth=1
	s_or_b32 exec_lo, exec_lo, s26
	v_mov_b32_e32 v2, 24
	v_lshl_add_u32 v1, v1, 23, 0x3c000000
	v_lshlrev_b32_sdwa v0, v2, v0 dst_sel:DWORD dst_unused:UNUSED_PAD src0_sel:DWORD src1_sel:BYTE_3
	v_lshlrev_b32_e32 v2, 20, v8
	v_and_b32_e32 v0, 0x80000000, v0
	v_or3_b32 v1, v2, v0, v1
	v_mov_b32_e32 v0, v9
	buffer_store_dword v0, off, s[0:3], s32 offset:564 ; 4-byte Folded Spill
	buffer_store_dword v1, off, s[0:3], s32 offset:568 ; 4-byte Folded Spill
.LBB243_337:                            ;   in Loop: Header=BB243_16 Depth=1
	s_or_b32 exec_lo, exec_lo, s25
.LBB243_338:                            ;   in Loop: Header=BB243_16 Depth=1
	s_or_b32 exec_lo, exec_lo, s24
.LBB243_339:                            ;   in Loop: Header=BB243_16 Depth=1
	s_or_b32 exec_lo, exec_lo, s23
	flat_load_dword v0, v[114:115] offset:1032
	v_mov_b32_e32 v1, 0
	v_mov_b32_e32 v2, 0
	buffer_store_dword v1, off, s[0:3], s32 offset:588 ; 4-byte Folded Spill
	buffer_store_dword v2, off, s[0:3], s32 offset:592 ; 4-byte Folded Spill
	v_mov_b32_e32 v1, 0
	v_mov_b32_e32 v2, 0
	buffer_store_dword v1, off, s[0:3], s32 offset:580 ; 4-byte Folded Spill
	buffer_store_dword v2, off, s[0:3], s32 offset:584 ; 4-byte Folded Spill
	s_waitcnt vmcnt(0) lgkmcnt(0)
	v_cmp_ne_u16_sdwa s5, v0, v9 src0_sel:BYTE_0 src1_sel:DWORD
	s_and_saveexec_b32 s23, s5
	s_cbranch_execz .LBB243_347
; %bb.340:                              ;   in Loop: Header=BB243_16 Depth=1
	v_bfrev_b32_e32 v1, 1
	v_mov_b32_e32 v2, 0
	buffer_store_dword v1, off, s[0:3], s32 offset:580 ; 4-byte Folded Spill
	buffer_store_dword v2, off, s[0:3], s32 offset:584 ; 4-byte Folded Spill
	v_mov_b32_e32 v1, 0x80
	v_cmp_ne_u16_sdwa s5, v0, v1 src0_sel:BYTE_0 src1_sel:DWORD
	s_and_saveexec_b32 s24, s5
	s_cbranch_execz .LBB243_346
; %bb.341:                              ;   in Loop: Header=BB243_16 Depth=1
	v_mov_b32_e32 v3, 0x7f800001
	v_and_b32_e32 v2, 0x7f, v0
	v_mov_b32_e32 v4, 0
	s_mov_b32 s25, exec_lo
	buffer_store_dword v3, off, s[0:3], s32 offset:580 ; 4-byte Folded Spill
	buffer_store_dword v4, off, s[0:3], s32 offset:584 ; 4-byte Folded Spill
	v_cmpx_ne_u32_e32 0x7f, v2
	s_cbranch_execz .LBB243_345
; %bb.342:                              ;   in Loop: Header=BB243_16 Depth=1
	v_and_b32_e32 v8, 7, v0
	v_lshrrev_b32_e32 v1, 3, v2
	s_mov_b32 s26, exec_lo
	v_cmpx_gt_u32_e32 8, v2
; %bb.343:                              ;   in Loop: Header=BB243_16 Depth=1
	v_ffbh_u32_e32 v1, v8
	v_min_u32_e32 v1, 32, v1
	v_subrev_nc_u32_e32 v2, 28, v1
	v_sub_nc_u32_e32 v1, 29, v1
	v_lshlrev_b64 v[2:3], v2, v[8:9]
	v_and_b32_e32 v8, 7, v2
; %bb.344:                              ;   in Loop: Header=BB243_16 Depth=1
	s_or_b32 exec_lo, exec_lo, s26
	v_lshlrev_b32_e32 v2, 24, v0
	v_lshlrev_b32_e32 v3, 20, v8
	v_lshl_add_u32 v1, v1, 23, 0x3c000000
	v_and_b32_e32 v2, 0x80000000, v2
	v_or3_b32 v8, v3, v2, v1
	buffer_store_dword v8, off, s[0:3], s32 offset:580 ; 4-byte Folded Spill
	buffer_store_dword v9, off, s[0:3], s32 offset:584 ; 4-byte Folded Spill
.LBB243_345:                            ;   in Loop: Header=BB243_16 Depth=1
	s_or_b32 exec_lo, exec_lo, s25
.LBB243_346:                            ;   in Loop: Header=BB243_16 Depth=1
	s_or_b32 exec_lo, exec_lo, s24
.LBB243_347:                            ;   in Loop: Header=BB243_16 Depth=1
	s_or_b32 exec_lo, exec_lo, s23
	v_cmp_ne_u16_sdwa s5, v0, v9 src0_sel:BYTE_1 src1_sel:DWORD
	s_and_saveexec_b32 s23, s5
	s_cbranch_execz .LBB243_355
; %bb.348:                              ;   in Loop: Header=BB243_16 Depth=1
	v_mov_b32_e32 v1, 0x80
	v_mov_b32_e32 v46, v9
	buffer_store_dword v46, off, s[0:3], s32 offset:588 ; 4-byte Folded Spill
	buffer_store_dword v47, off, s[0:3], s32 offset:592 ; 4-byte Folded Spill
	v_cmp_ne_u16_sdwa s5, v0, v1 src0_sel:BYTE_1 src1_sel:DWORD
	s_and_saveexec_b32 s24, s5
	s_cbranch_execz .LBB243_354
; %bb.349:                              ;   in Loop: Header=BB243_16 Depth=1
	s_clause 0x1
	buffer_load_dword v3, off, s[0:3], s32 offset:200
	buffer_load_dword v4, off, s[0:3], s32 offset:204
	v_mov_b32_e32 v1, 0xffff
	s_mov_b32 s25, exec_lo
	v_and_b32_sdwa v1, v1, v0 dst_sel:DWORD dst_unused:UNUSED_PAD src0_sel:DWORD src1_sel:BYTE_1
	v_and_b32_e32 v2, 0x7f, v1
	s_waitcnt vmcnt(0)
	v_mov_b32_e32 v5, v4
	v_mov_b32_e32 v4, v9
	;; [unrolled: 1-line block ×3, first 2 shown]
	buffer_store_dword v2, off, s[0:3], s32 offset:200 ; 4-byte Folded Spill
	buffer_store_dword v3, off, s[0:3], s32 offset:204 ; 4-byte Folded Spill
	;; [unrolled: 1-line block ×4, first 2 shown]
	v_cmpx_ne_u32_e32 0x7f, v2
	s_cbranch_execz .LBB243_353
; %bb.350:                              ;   in Loop: Header=BB243_16 Depth=1
	v_and_b32_e32 v8, 7, v1
	v_lshrrev_b32_e32 v1, 3, v2
	s_mov_b32 s26, exec_lo
	v_cmpx_gt_u32_e32 8, v2
; %bb.351:                              ;   in Loop: Header=BB243_16 Depth=1
	v_ffbh_u32_e32 v1, v8
	v_min_u32_e32 v1, 32, v1
	v_subrev_nc_u32_e32 v2, 28, v1
	v_sub_nc_u32_e32 v1, 29, v1
	v_lshlrev_b64 v[2:3], v2, v[8:9]
	v_and_b32_e32 v8, 7, v2
; %bb.352:                              ;   in Loop: Header=BB243_16 Depth=1
	s_or_b32 exec_lo, exec_lo, s26
	v_lshlrev_b32_e32 v2, 16, v0
	v_lshlrev_b32_e32 v3, 20, v8
	v_lshl_add_u32 v1, v1, 23, 0x3c000000
	v_and_b32_e32 v2, 0x80000000, v2
	v_or3_b32 v2, v3, v2, v1
	v_mov_b32_e32 v1, v9
	buffer_store_dword v1, off, s[0:3], s32 offset:588 ; 4-byte Folded Spill
	buffer_store_dword v2, off, s[0:3], s32 offset:592 ; 4-byte Folded Spill
.LBB243_353:                            ;   in Loop: Header=BB243_16 Depth=1
	s_or_b32 exec_lo, exec_lo, s25
.LBB243_354:                            ;   in Loop: Header=BB243_16 Depth=1
	s_or_b32 exec_lo, exec_lo, s24
.LBB243_355:                            ;   in Loop: Header=BB243_16 Depth=1
	s_or_b32 exec_lo, exec_lo, s23
	v_mov_b32_e32 v2, 0
	v_mov_b32_e32 v3, 0
	;; [unrolled: 1-line block ×3, first 2 shown]
	s_mov_b32 s23, exec_lo
	buffer_store_dword v2, off, s[0:3], s32 offset:596 ; 4-byte Folded Spill
	buffer_store_dword v3, off, s[0:3], s32 offset:600 ; 4-byte Folded Spill
	v_mov_b32_e32 v2, 0
	v_and_b32_sdwa v1, v0, v1 dst_sel:DWORD dst_unused:UNUSED_PAD src0_sel:WORD_1 src1_sel:DWORD
	v_mov_b32_e32 v3, 0
	buffer_store_dword v2, off, s[0:3], s32 offset:604 ; 4-byte Folded Spill
	buffer_store_dword v3, off, s[0:3], s32 offset:608 ; 4-byte Folded Spill
	v_cmpx_ne_u16_e32 0, v1
	s_cbranch_execz .LBB243_363
; %bb.356:                              ;   in Loop: Header=BB243_16 Depth=1
	v_cmp_ne_u16_e64 s5, 0x80, v1
	v_bfrev_b32_e32 v1, 1
	v_mov_b32_e32 v2, 0
	buffer_store_dword v1, off, s[0:3], s32 offset:604 ; 4-byte Folded Spill
	buffer_store_dword v2, off, s[0:3], s32 offset:608 ; 4-byte Folded Spill
	s_and_saveexec_b32 s24, s5
	s_cbranch_execz .LBB243_362
; %bb.357:                              ;   in Loop: Header=BB243_16 Depth=1
	v_mov_b32_e32 v3, 0x7f800001
	v_bfe_u32 v2, v0, 16, 7
	v_mov_b32_e32 v4, 0
	s_mov_b32 s25, exec_lo
	buffer_store_dword v3, off, s[0:3], s32 offset:604 ; 4-byte Folded Spill
	buffer_store_dword v4, off, s[0:3], s32 offset:608 ; 4-byte Folded Spill
	v_cmpx_ne_u32_e32 0x7f, v2
	s_cbranch_execz .LBB243_361
; %bb.358:                              ;   in Loop: Header=BB243_16 Depth=1
	v_mov_b32_e32 v1, 7
	s_mov_b32 s26, exec_lo
	v_and_b32_sdwa v8, v0, v1 dst_sel:DWORD dst_unused:UNUSED_PAD src0_sel:WORD_1 src1_sel:DWORD
	v_lshrrev_b32_e32 v1, 3, v2
	v_cmpx_gt_u32_e32 8, v2
; %bb.359:                              ;   in Loop: Header=BB243_16 Depth=1
	v_ffbh_u32_e32 v1, v8
	v_min_u32_e32 v1, 32, v1
	v_subrev_nc_u32_e32 v2, 28, v1
	v_sub_nc_u32_e32 v1, 29, v1
	v_lshlrev_b64 v[2:3], v2, v[8:9]
	v_and_b32_e32 v8, 7, v2
; %bb.360:                              ;   in Loop: Header=BB243_16 Depth=1
	s_or_b32 exec_lo, exec_lo, s26
	v_mov_b32_e32 v2, 24
	v_lshlrev_b32_e32 v3, 20, v8
	v_lshl_add_u32 v1, v1, 23, 0x3c000000
	v_lshlrev_b32_sdwa v2, v2, v0 dst_sel:DWORD dst_unused:UNUSED_PAD src0_sel:DWORD src1_sel:WORD_1
	v_and_b32_e32 v2, 0x80000000, v2
	v_or3_b32 v8, v3, v2, v1
	buffer_store_dword v8, off, s[0:3], s32 offset:604 ; 4-byte Folded Spill
	buffer_store_dword v9, off, s[0:3], s32 offset:608 ; 4-byte Folded Spill
.LBB243_361:                            ;   in Loop: Header=BB243_16 Depth=1
	s_or_b32 exec_lo, exec_lo, s25
.LBB243_362:                            ;   in Loop: Header=BB243_16 Depth=1
	s_or_b32 exec_lo, exec_lo, s24
.LBB243_363:                            ;   in Loop: Header=BB243_16 Depth=1
	s_or_b32 exec_lo, exec_lo, s23
	s_mov_b32 s23, exec_lo
	v_cmpx_lt_u32_e32 0xffffff, v0
	s_cbranch_execz .LBB243_371
; %bb.364:                              ;   in Loop: Header=BB243_16 Depth=1
	v_mov_b32_e32 v1, 0x80
	v_mov_b32_e32 v46, v9
	buffer_store_dword v46, off, s[0:3], s32 offset:596 ; 4-byte Folded Spill
	buffer_store_dword v47, off, s[0:3], s32 offset:600 ; 4-byte Folded Spill
	v_cmp_ne_u32_sdwa s5, v0, v1 src0_sel:BYTE_3 src1_sel:DWORD
	s_and_saveexec_b32 s24, s5
	s_cbranch_execz .LBB243_370
; %bb.365:                              ;   in Loop: Header=BB243_16 Depth=1
	s_clause 0x1
	buffer_load_dword v3, off, s[0:3], s32 offset:200
	buffer_load_dword v4, off, s[0:3], s32 offset:204
	v_bfe_u32 v2, v0, 24, 7
	s_waitcnt vmcnt(1)
	v_mov_b32_e32 v3, v9
	s_mov_b32 s25, exec_lo
	s_waitcnt vmcnt(0)
	v_mov_b32_e32 v1, v4
	buffer_store_dword v0, off, s[0:3], s32 offset:200 ; 4-byte Folded Spill
	buffer_store_dword v1, off, s[0:3], s32 offset:204 ; 4-byte Folded Spill
	;; [unrolled: 1-line block ×4, first 2 shown]
	v_cmpx_ne_u32_e32 0x7f, v2
	s_cbranch_execz .LBB243_369
; %bb.366:                              ;   in Loop: Header=BB243_16 Depth=1
	v_mov_b32_e32 v1, 7
	s_mov_b32 s26, exec_lo
	v_and_b32_sdwa v8, v0, v1 dst_sel:DWORD dst_unused:UNUSED_PAD src0_sel:BYTE_3 src1_sel:DWORD
	v_lshrrev_b32_e32 v1, 3, v2
	v_cmpx_gt_u32_e32 8, v2
; %bb.367:                              ;   in Loop: Header=BB243_16 Depth=1
	v_ffbh_u32_e32 v1, v8
	v_min_u32_e32 v1, 32, v1
	v_subrev_nc_u32_e32 v2, 28, v1
	v_sub_nc_u32_e32 v1, 29, v1
	v_lshlrev_b64 v[2:3], v2, v[8:9]
	v_and_b32_e32 v8, 7, v2
; %bb.368:                              ;   in Loop: Header=BB243_16 Depth=1
	s_or_b32 exec_lo, exec_lo, s26
	v_mov_b32_e32 v2, 24
	v_lshl_add_u32 v1, v1, 23, 0x3c000000
	v_lshlrev_b32_sdwa v0, v2, v0 dst_sel:DWORD dst_unused:UNUSED_PAD src0_sel:DWORD src1_sel:BYTE_3
	v_lshlrev_b32_e32 v2, 20, v8
	v_and_b32_e32 v0, 0x80000000, v0
	v_or3_b32 v1, v2, v0, v1
	v_mov_b32_e32 v0, v9
	buffer_store_dword v0, off, s[0:3], s32 offset:596 ; 4-byte Folded Spill
	buffer_store_dword v1, off, s[0:3], s32 offset:600 ; 4-byte Folded Spill
.LBB243_369:                            ;   in Loop: Header=BB243_16 Depth=1
	s_or_b32 exec_lo, exec_lo, s25
.LBB243_370:                            ;   in Loop: Header=BB243_16 Depth=1
	s_or_b32 exec_lo, exec_lo, s24
.LBB243_371:                            ;   in Loop: Header=BB243_16 Depth=1
	s_or_b32 exec_lo, exec_lo, s23
	flat_load_dword v0, v[114:115] offset:1036
	v_mov_b32_e32 v1, 0
	v_mov_b32_e32 v31, 0
	;; [unrolled: 1-line block ×4, first 2 shown]
	buffer_store_dword v1, off, s[0:3], s32 offset:612 ; 4-byte Folded Spill
	buffer_store_dword v2, off, s[0:3], s32 offset:616 ; 4-byte Folded Spill
	s_waitcnt vmcnt(0) lgkmcnt(0)
	v_cmp_ne_u16_sdwa s5, v0, v9 src0_sel:BYTE_0 src1_sel:DWORD
	s_and_saveexec_b32 s23, s5
	s_cbranch_execz .LBB243_379
; %bb.372:                              ;   in Loop: Header=BB243_16 Depth=1
	v_mov_b32_e32 v1, 0x80
	v_bfrev_b32_e32 v31, 1
	v_mov_b32_e32 v32, 0
	v_cmp_ne_u16_sdwa s5, v0, v1 src0_sel:BYTE_0 src1_sel:DWORD
	s_and_saveexec_b32 s24, s5
	s_cbranch_execz .LBB243_378
; %bb.373:                              ;   in Loop: Header=BB243_16 Depth=1
	v_mov_b32_e32 v31, 0x7f800001
	v_and_b32_e32 v2, 0x7f, v0
	v_mov_b32_e32 v32, 0
	s_mov_b32 s25, exec_lo
	v_cmpx_ne_u32_e32 0x7f, v2
	s_cbranch_execz .LBB243_377
; %bb.374:                              ;   in Loop: Header=BB243_16 Depth=1
	v_and_b32_e32 v8, 7, v0
	v_lshrrev_b32_e32 v1, 3, v2
	s_mov_b32 s26, exec_lo
	v_cmpx_gt_u32_e32 8, v2
; %bb.375:                              ;   in Loop: Header=BB243_16 Depth=1
	v_ffbh_u32_e32 v1, v8
	v_min_u32_e32 v1, 32, v1
	v_subrev_nc_u32_e32 v2, 28, v1
	v_sub_nc_u32_e32 v1, 29, v1
	v_lshlrev_b64 v[2:3], v2, v[8:9]
	v_and_b32_e32 v8, 7, v2
; %bb.376:                              ;   in Loop: Header=BB243_16 Depth=1
	s_or_b32 exec_lo, exec_lo, s26
	v_lshlrev_b32_e32 v2, 24, v0
	v_lshlrev_b32_e32 v3, 20, v8
	v_lshl_add_u32 v1, v1, 23, 0x3c000000
	v_and_b32_e32 v2, 0x80000000, v2
	v_or3_b32 v8, v3, v2, v1
	v_mov_b32_e32 v32, v9
	v_mov_b32_e32 v31, v8
.LBB243_377:                            ;   in Loop: Header=BB243_16 Depth=1
	s_or_b32 exec_lo, exec_lo, s25
.LBB243_378:                            ;   in Loop: Header=BB243_16 Depth=1
	s_or_b32 exec_lo, exec_lo, s24
.LBB243_379:                            ;   in Loop: Header=BB243_16 Depth=1
	s_or_b32 exec_lo, exec_lo, s23
	v_cmp_ne_u16_sdwa s5, v0, v9 src0_sel:BYTE_1 src1_sel:DWORD
	s_and_saveexec_b32 s23, s5
	s_cbranch_execz .LBB243_387
; %bb.380:                              ;   in Loop: Header=BB243_16 Depth=1
	v_mov_b32_e32 v1, 0x80
	v_mov_b32_e32 v46, v9
	buffer_store_dword v46, off, s[0:3], s32 offset:612 ; 4-byte Folded Spill
	buffer_store_dword v47, off, s[0:3], s32 offset:616 ; 4-byte Folded Spill
	v_cmp_ne_u16_sdwa s5, v0, v1 src0_sel:BYTE_1 src1_sel:DWORD
	s_and_saveexec_b32 s24, s5
	s_cbranch_execz .LBB243_386
; %bb.381:                              ;   in Loop: Header=BB243_16 Depth=1
	s_clause 0x1
	buffer_load_dword v3, off, s[0:3], s32 offset:200
	buffer_load_dword v4, off, s[0:3], s32 offset:204
	v_mov_b32_e32 v1, 0xffff
	s_mov_b32 s25, exec_lo
	v_and_b32_sdwa v1, v1, v0 dst_sel:DWORD dst_unused:UNUSED_PAD src0_sel:DWORD src1_sel:BYTE_1
	v_and_b32_e32 v2, 0x7f, v1
	s_waitcnt vmcnt(0)
	v_mov_b32_e32 v5, v4
	v_mov_b32_e32 v4, v9
	;; [unrolled: 1-line block ×3, first 2 shown]
	buffer_store_dword v2, off, s[0:3], s32 offset:200 ; 4-byte Folded Spill
	buffer_store_dword v3, off, s[0:3], s32 offset:204 ; 4-byte Folded Spill
	;; [unrolled: 1-line block ×4, first 2 shown]
	v_cmpx_ne_u32_e32 0x7f, v2
	s_cbranch_execz .LBB243_385
; %bb.382:                              ;   in Loop: Header=BB243_16 Depth=1
	v_and_b32_e32 v8, 7, v1
	v_lshrrev_b32_e32 v1, 3, v2
	s_mov_b32 s26, exec_lo
	v_cmpx_gt_u32_e32 8, v2
; %bb.383:                              ;   in Loop: Header=BB243_16 Depth=1
	v_ffbh_u32_e32 v1, v8
	v_min_u32_e32 v1, 32, v1
	v_subrev_nc_u32_e32 v2, 28, v1
	v_sub_nc_u32_e32 v1, 29, v1
	v_lshlrev_b64 v[2:3], v2, v[8:9]
	v_and_b32_e32 v8, 7, v2
; %bb.384:                              ;   in Loop: Header=BB243_16 Depth=1
	s_or_b32 exec_lo, exec_lo, s26
	v_lshlrev_b32_e32 v2, 16, v0
	v_lshlrev_b32_e32 v3, 20, v8
	v_lshl_add_u32 v1, v1, 23, 0x3c000000
	v_and_b32_e32 v2, 0x80000000, v2
	v_or3_b32 v2, v3, v2, v1
	v_mov_b32_e32 v1, v9
	buffer_store_dword v1, off, s[0:3], s32 offset:612 ; 4-byte Folded Spill
	buffer_store_dword v2, off, s[0:3], s32 offset:616 ; 4-byte Folded Spill
.LBB243_385:                            ;   in Loop: Header=BB243_16 Depth=1
	s_or_b32 exec_lo, exec_lo, s25
.LBB243_386:                            ;   in Loop: Header=BB243_16 Depth=1
	s_or_b32 exec_lo, exec_lo, s24
.LBB243_387:                            ;   in Loop: Header=BB243_16 Depth=1
	s_or_b32 exec_lo, exec_lo, s23
	v_mov_b32_e32 v2, 0
	v_mov_b32_e32 v3, 0
	;; [unrolled: 1-line block ×3, first 2 shown]
	s_mov_b32 s23, exec_lo
	buffer_store_dword v2, off, s[0:3], s32 offset:620 ; 4-byte Folded Spill
	buffer_store_dword v3, off, s[0:3], s32 offset:624 ; 4-byte Folded Spill
	v_mov_b32_e32 v2, 0
	v_and_b32_sdwa v1, v0, v1 dst_sel:DWORD dst_unused:UNUSED_PAD src0_sel:WORD_1 src1_sel:DWORD
	v_mov_b32_e32 v3, 0
	buffer_store_dword v2, off, s[0:3], s32 offset:628 ; 4-byte Folded Spill
	buffer_store_dword v3, off, s[0:3], s32 offset:632 ; 4-byte Folded Spill
	v_cmpx_ne_u16_e32 0, v1
	s_cbranch_execz .LBB243_395
; %bb.388:                              ;   in Loop: Header=BB243_16 Depth=1
	v_cmp_ne_u16_e64 s5, 0x80, v1
	v_bfrev_b32_e32 v1, 1
	v_mov_b32_e32 v2, 0
	buffer_store_dword v1, off, s[0:3], s32 offset:628 ; 4-byte Folded Spill
	buffer_store_dword v2, off, s[0:3], s32 offset:632 ; 4-byte Folded Spill
	s_and_saveexec_b32 s24, s5
	s_cbranch_execz .LBB243_394
; %bb.389:                              ;   in Loop: Header=BB243_16 Depth=1
	v_mov_b32_e32 v3, 0x7f800001
	v_bfe_u32 v2, v0, 16, 7
	v_mov_b32_e32 v4, 0
	s_mov_b32 s25, exec_lo
	buffer_store_dword v3, off, s[0:3], s32 offset:628 ; 4-byte Folded Spill
	buffer_store_dword v4, off, s[0:3], s32 offset:632 ; 4-byte Folded Spill
	v_cmpx_ne_u32_e32 0x7f, v2
	s_cbranch_execz .LBB243_393
; %bb.390:                              ;   in Loop: Header=BB243_16 Depth=1
	v_mov_b32_e32 v1, 7
	s_mov_b32 s26, exec_lo
	v_and_b32_sdwa v8, v0, v1 dst_sel:DWORD dst_unused:UNUSED_PAD src0_sel:WORD_1 src1_sel:DWORD
	v_lshrrev_b32_e32 v1, 3, v2
	v_cmpx_gt_u32_e32 8, v2
; %bb.391:                              ;   in Loop: Header=BB243_16 Depth=1
	v_ffbh_u32_e32 v1, v8
	v_min_u32_e32 v1, 32, v1
	v_subrev_nc_u32_e32 v2, 28, v1
	v_sub_nc_u32_e32 v1, 29, v1
	v_lshlrev_b64 v[2:3], v2, v[8:9]
	v_and_b32_e32 v8, 7, v2
; %bb.392:                              ;   in Loop: Header=BB243_16 Depth=1
	s_or_b32 exec_lo, exec_lo, s26
	v_mov_b32_e32 v2, 24
	v_lshlrev_b32_e32 v3, 20, v8
	v_lshl_add_u32 v1, v1, 23, 0x3c000000
	v_lshlrev_b32_sdwa v2, v2, v0 dst_sel:DWORD dst_unused:UNUSED_PAD src0_sel:DWORD src1_sel:WORD_1
	v_and_b32_e32 v2, 0x80000000, v2
	v_or3_b32 v8, v3, v2, v1
	buffer_store_dword v8, off, s[0:3], s32 offset:628 ; 4-byte Folded Spill
	buffer_store_dword v9, off, s[0:3], s32 offset:632 ; 4-byte Folded Spill
.LBB243_393:                            ;   in Loop: Header=BB243_16 Depth=1
	s_or_b32 exec_lo, exec_lo, s25
.LBB243_394:                            ;   in Loop: Header=BB243_16 Depth=1
	s_or_b32 exec_lo, exec_lo, s24
.LBB243_395:                            ;   in Loop: Header=BB243_16 Depth=1
	s_or_b32 exec_lo, exec_lo, s23
	s_mov_b32 s23, exec_lo
	v_cmpx_lt_u32_e32 0xffffff, v0
	s_cbranch_execz .LBB243_403
; %bb.396:                              ;   in Loop: Header=BB243_16 Depth=1
	v_mov_b32_e32 v1, 0x80
	v_mov_b32_e32 v46, v9
	buffer_store_dword v46, off, s[0:3], s32 offset:620 ; 4-byte Folded Spill
	buffer_store_dword v47, off, s[0:3], s32 offset:624 ; 4-byte Folded Spill
	v_cmp_ne_u32_sdwa s5, v0, v1 src0_sel:BYTE_3 src1_sel:DWORD
	s_and_saveexec_b32 s24, s5
	s_cbranch_execz .LBB243_402
; %bb.397:                              ;   in Loop: Header=BB243_16 Depth=1
	s_clause 0x1
	buffer_load_dword v3, off, s[0:3], s32 offset:200
	buffer_load_dword v4, off, s[0:3], s32 offset:204
	v_bfe_u32 v2, v0, 24, 7
	s_waitcnt vmcnt(1)
	v_mov_b32_e32 v3, v9
	s_mov_b32 s25, exec_lo
	s_waitcnt vmcnt(0)
	v_mov_b32_e32 v1, v4
	buffer_store_dword v0, off, s[0:3], s32 offset:200 ; 4-byte Folded Spill
	buffer_store_dword v1, off, s[0:3], s32 offset:204 ; 4-byte Folded Spill
	;; [unrolled: 1-line block ×4, first 2 shown]
	v_cmpx_ne_u32_e32 0x7f, v2
	s_cbranch_execz .LBB243_401
; %bb.398:                              ;   in Loop: Header=BB243_16 Depth=1
	v_mov_b32_e32 v1, 7
	s_mov_b32 s26, exec_lo
	v_and_b32_sdwa v8, v0, v1 dst_sel:DWORD dst_unused:UNUSED_PAD src0_sel:BYTE_3 src1_sel:DWORD
	v_lshrrev_b32_e32 v1, 3, v2
	v_cmpx_gt_u32_e32 8, v2
; %bb.399:                              ;   in Loop: Header=BB243_16 Depth=1
	v_ffbh_u32_e32 v1, v8
	v_min_u32_e32 v1, 32, v1
	v_subrev_nc_u32_e32 v2, 28, v1
	v_sub_nc_u32_e32 v1, 29, v1
	v_lshlrev_b64 v[2:3], v2, v[8:9]
	v_and_b32_e32 v8, 7, v2
; %bb.400:                              ;   in Loop: Header=BB243_16 Depth=1
	s_or_b32 exec_lo, exec_lo, s26
	v_mov_b32_e32 v2, 24
	v_lshl_add_u32 v1, v1, 23, 0x3c000000
	v_lshlrev_b32_sdwa v0, v2, v0 dst_sel:DWORD dst_unused:UNUSED_PAD src0_sel:DWORD src1_sel:BYTE_3
	v_lshlrev_b32_e32 v2, 20, v8
	v_and_b32_e32 v0, 0x80000000, v0
	v_or3_b32 v1, v2, v0, v1
	v_mov_b32_e32 v0, v9
	buffer_store_dword v0, off, s[0:3], s32 offset:620 ; 4-byte Folded Spill
	buffer_store_dword v1, off, s[0:3], s32 offset:624 ; 4-byte Folded Spill
.LBB243_401:                            ;   in Loop: Header=BB243_16 Depth=1
	s_or_b32 exec_lo, exec_lo, s25
.LBB243_402:                            ;   in Loop: Header=BB243_16 Depth=1
	s_or_b32 exec_lo, exec_lo, s24
.LBB243_403:                            ;   in Loop: Header=BB243_16 Depth=1
	s_or_b32 exec_lo, exec_lo, s23
	flat_load_dword v0, v[114:115] offset:1536
	v_mov_b32_e32 v1, 0
	v_mov_b32_e32 v2, 0
	buffer_store_dword v1, off, s[0:3], s32 offset:644 ; 4-byte Folded Spill
	buffer_store_dword v2, off, s[0:3], s32 offset:648 ; 4-byte Folded Spill
	v_mov_b32_e32 v1, 0
	v_mov_b32_e32 v2, 0
	buffer_store_dword v1, off, s[0:3], s32 offset:636 ; 4-byte Folded Spill
	buffer_store_dword v2, off, s[0:3], s32 offset:640 ; 4-byte Folded Spill
	s_waitcnt vmcnt(0) lgkmcnt(0)
	v_cmp_ne_u16_sdwa s5, v0, v9 src0_sel:BYTE_0 src1_sel:DWORD
	s_and_saveexec_b32 s23, s5
	s_cbranch_execz .LBB243_411
; %bb.404:                              ;   in Loop: Header=BB243_16 Depth=1
	v_bfrev_b32_e32 v1, 1
	v_mov_b32_e32 v2, 0
	buffer_store_dword v1, off, s[0:3], s32 offset:636 ; 4-byte Folded Spill
	buffer_store_dword v2, off, s[0:3], s32 offset:640 ; 4-byte Folded Spill
	v_mov_b32_e32 v1, 0x80
	v_cmp_ne_u16_sdwa s5, v0, v1 src0_sel:BYTE_0 src1_sel:DWORD
	s_and_saveexec_b32 s24, s5
	s_cbranch_execz .LBB243_410
; %bb.405:                              ;   in Loop: Header=BB243_16 Depth=1
	v_mov_b32_e32 v3, 0x7f800001
	v_and_b32_e32 v2, 0x7f, v0
	v_mov_b32_e32 v4, 0
	s_mov_b32 s25, exec_lo
	buffer_store_dword v3, off, s[0:3], s32 offset:636 ; 4-byte Folded Spill
	buffer_store_dword v4, off, s[0:3], s32 offset:640 ; 4-byte Folded Spill
	v_cmpx_ne_u32_e32 0x7f, v2
	s_cbranch_execz .LBB243_409
; %bb.406:                              ;   in Loop: Header=BB243_16 Depth=1
	v_and_b32_e32 v8, 7, v0
	v_lshrrev_b32_e32 v1, 3, v2
	s_mov_b32 s26, exec_lo
	v_cmpx_gt_u32_e32 8, v2
; %bb.407:                              ;   in Loop: Header=BB243_16 Depth=1
	v_ffbh_u32_e32 v1, v8
	v_min_u32_e32 v1, 32, v1
	v_subrev_nc_u32_e32 v2, 28, v1
	v_sub_nc_u32_e32 v1, 29, v1
	v_lshlrev_b64 v[2:3], v2, v[8:9]
	v_and_b32_e32 v8, 7, v2
; %bb.408:                              ;   in Loop: Header=BB243_16 Depth=1
	s_or_b32 exec_lo, exec_lo, s26
	v_lshlrev_b32_e32 v2, 24, v0
	v_lshlrev_b32_e32 v3, 20, v8
	v_lshl_add_u32 v1, v1, 23, 0x3c000000
	v_and_b32_e32 v2, 0x80000000, v2
	v_or3_b32 v8, v3, v2, v1
	buffer_store_dword v8, off, s[0:3], s32 offset:636 ; 4-byte Folded Spill
	buffer_store_dword v9, off, s[0:3], s32 offset:640 ; 4-byte Folded Spill
.LBB243_409:                            ;   in Loop: Header=BB243_16 Depth=1
	s_or_b32 exec_lo, exec_lo, s25
.LBB243_410:                            ;   in Loop: Header=BB243_16 Depth=1
	s_or_b32 exec_lo, exec_lo, s24
.LBB243_411:                            ;   in Loop: Header=BB243_16 Depth=1
	s_or_b32 exec_lo, exec_lo, s23
	v_cmp_ne_u16_sdwa s5, v0, v9 src0_sel:BYTE_1 src1_sel:DWORD
	s_and_saveexec_b32 s23, s5
	s_cbranch_execz .LBB243_419
; %bb.412:                              ;   in Loop: Header=BB243_16 Depth=1
	v_mov_b32_e32 v1, 0x80
	v_mov_b32_e32 v46, v9
	buffer_store_dword v46, off, s[0:3], s32 offset:644 ; 4-byte Folded Spill
	buffer_store_dword v47, off, s[0:3], s32 offset:648 ; 4-byte Folded Spill
	v_cmp_ne_u16_sdwa s5, v0, v1 src0_sel:BYTE_1 src1_sel:DWORD
	s_and_saveexec_b32 s24, s5
	s_cbranch_execz .LBB243_418
; %bb.413:                              ;   in Loop: Header=BB243_16 Depth=1
	s_clause 0x1
	buffer_load_dword v3, off, s[0:3], s32 offset:200
	buffer_load_dword v4, off, s[0:3], s32 offset:204
	v_mov_b32_e32 v1, 0xffff
	s_mov_b32 s25, exec_lo
	v_and_b32_sdwa v1, v1, v0 dst_sel:DWORD dst_unused:UNUSED_PAD src0_sel:DWORD src1_sel:BYTE_1
	v_and_b32_e32 v2, 0x7f, v1
	s_waitcnt vmcnt(0)
	v_mov_b32_e32 v5, v4
	v_mov_b32_e32 v4, v9
	;; [unrolled: 1-line block ×3, first 2 shown]
	buffer_store_dword v2, off, s[0:3], s32 offset:200 ; 4-byte Folded Spill
	buffer_store_dword v3, off, s[0:3], s32 offset:204 ; 4-byte Folded Spill
	;; [unrolled: 1-line block ×4, first 2 shown]
	v_cmpx_ne_u32_e32 0x7f, v2
	s_cbranch_execz .LBB243_417
; %bb.414:                              ;   in Loop: Header=BB243_16 Depth=1
	v_and_b32_e32 v8, 7, v1
	v_lshrrev_b32_e32 v1, 3, v2
	s_mov_b32 s26, exec_lo
	v_cmpx_gt_u32_e32 8, v2
; %bb.415:                              ;   in Loop: Header=BB243_16 Depth=1
	v_ffbh_u32_e32 v1, v8
	v_min_u32_e32 v1, 32, v1
	v_subrev_nc_u32_e32 v2, 28, v1
	v_sub_nc_u32_e32 v1, 29, v1
	v_lshlrev_b64 v[2:3], v2, v[8:9]
	v_and_b32_e32 v8, 7, v2
; %bb.416:                              ;   in Loop: Header=BB243_16 Depth=1
	s_or_b32 exec_lo, exec_lo, s26
	v_lshlrev_b32_e32 v2, 16, v0
	v_lshlrev_b32_e32 v3, 20, v8
	v_lshl_add_u32 v1, v1, 23, 0x3c000000
	v_and_b32_e32 v2, 0x80000000, v2
	v_or3_b32 v2, v3, v2, v1
	v_mov_b32_e32 v1, v9
	buffer_store_dword v1, off, s[0:3], s32 offset:644 ; 4-byte Folded Spill
	buffer_store_dword v2, off, s[0:3], s32 offset:648 ; 4-byte Folded Spill
.LBB243_417:                            ;   in Loop: Header=BB243_16 Depth=1
	s_or_b32 exec_lo, exec_lo, s25
.LBB243_418:                            ;   in Loop: Header=BB243_16 Depth=1
	s_or_b32 exec_lo, exec_lo, s24
.LBB243_419:                            ;   in Loop: Header=BB243_16 Depth=1
	s_or_b32 exec_lo, exec_lo, s23
	v_mov_b32_e32 v2, 0
	v_mov_b32_e32 v3, 0
	;; [unrolled: 1-line block ×3, first 2 shown]
	s_mov_b32 s23, exec_lo
	buffer_store_dword v2, off, s[0:3], s32 offset:652 ; 4-byte Folded Spill
	buffer_store_dword v3, off, s[0:3], s32 offset:656 ; 4-byte Folded Spill
	v_mov_b32_e32 v2, 0
	v_and_b32_sdwa v1, v0, v1 dst_sel:DWORD dst_unused:UNUSED_PAD src0_sel:WORD_1 src1_sel:DWORD
	v_mov_b32_e32 v3, 0
	buffer_store_dword v2, off, s[0:3], s32 offset:660 ; 4-byte Folded Spill
	buffer_store_dword v3, off, s[0:3], s32 offset:664 ; 4-byte Folded Spill
	v_cmpx_ne_u16_e32 0, v1
	s_cbranch_execz .LBB243_427
; %bb.420:                              ;   in Loop: Header=BB243_16 Depth=1
	v_cmp_ne_u16_e64 s5, 0x80, v1
	v_bfrev_b32_e32 v1, 1
	v_mov_b32_e32 v2, 0
	buffer_store_dword v1, off, s[0:3], s32 offset:660 ; 4-byte Folded Spill
	buffer_store_dword v2, off, s[0:3], s32 offset:664 ; 4-byte Folded Spill
	s_and_saveexec_b32 s24, s5
	s_cbranch_execz .LBB243_426
; %bb.421:                              ;   in Loop: Header=BB243_16 Depth=1
	v_mov_b32_e32 v3, 0x7f800001
	v_bfe_u32 v2, v0, 16, 7
	v_mov_b32_e32 v4, 0
	s_mov_b32 s25, exec_lo
	buffer_store_dword v3, off, s[0:3], s32 offset:660 ; 4-byte Folded Spill
	buffer_store_dword v4, off, s[0:3], s32 offset:664 ; 4-byte Folded Spill
	v_cmpx_ne_u32_e32 0x7f, v2
	s_cbranch_execz .LBB243_425
; %bb.422:                              ;   in Loop: Header=BB243_16 Depth=1
	v_mov_b32_e32 v1, 7
	s_mov_b32 s26, exec_lo
	v_and_b32_sdwa v8, v0, v1 dst_sel:DWORD dst_unused:UNUSED_PAD src0_sel:WORD_1 src1_sel:DWORD
	v_lshrrev_b32_e32 v1, 3, v2
	v_cmpx_gt_u32_e32 8, v2
; %bb.423:                              ;   in Loop: Header=BB243_16 Depth=1
	v_ffbh_u32_e32 v1, v8
	v_min_u32_e32 v1, 32, v1
	v_subrev_nc_u32_e32 v2, 28, v1
	v_sub_nc_u32_e32 v1, 29, v1
	v_lshlrev_b64 v[2:3], v2, v[8:9]
	v_and_b32_e32 v8, 7, v2
; %bb.424:                              ;   in Loop: Header=BB243_16 Depth=1
	s_or_b32 exec_lo, exec_lo, s26
	v_mov_b32_e32 v2, 24
	v_lshlrev_b32_e32 v3, 20, v8
	v_lshl_add_u32 v1, v1, 23, 0x3c000000
	v_lshlrev_b32_sdwa v2, v2, v0 dst_sel:DWORD dst_unused:UNUSED_PAD src0_sel:DWORD src1_sel:WORD_1
	v_and_b32_e32 v2, 0x80000000, v2
	v_or3_b32 v8, v3, v2, v1
	buffer_store_dword v8, off, s[0:3], s32 offset:660 ; 4-byte Folded Spill
	buffer_store_dword v9, off, s[0:3], s32 offset:664 ; 4-byte Folded Spill
.LBB243_425:                            ;   in Loop: Header=BB243_16 Depth=1
	s_or_b32 exec_lo, exec_lo, s25
.LBB243_426:                            ;   in Loop: Header=BB243_16 Depth=1
	s_or_b32 exec_lo, exec_lo, s24
.LBB243_427:                            ;   in Loop: Header=BB243_16 Depth=1
	s_or_b32 exec_lo, exec_lo, s23
	s_mov_b32 s23, exec_lo
	v_cmpx_lt_u32_e32 0xffffff, v0
	s_cbranch_execz .LBB243_435
; %bb.428:                              ;   in Loop: Header=BB243_16 Depth=1
	v_mov_b32_e32 v1, 0x80
	v_mov_b32_e32 v46, v9
	buffer_store_dword v46, off, s[0:3], s32 offset:652 ; 4-byte Folded Spill
	buffer_store_dword v47, off, s[0:3], s32 offset:656 ; 4-byte Folded Spill
	v_cmp_ne_u32_sdwa s5, v0, v1 src0_sel:BYTE_3 src1_sel:DWORD
	s_and_saveexec_b32 s24, s5
	s_cbranch_execz .LBB243_434
; %bb.429:                              ;   in Loop: Header=BB243_16 Depth=1
	s_clause 0x1
	buffer_load_dword v3, off, s[0:3], s32 offset:200
	buffer_load_dword v4, off, s[0:3], s32 offset:204
	v_bfe_u32 v2, v0, 24, 7
	s_waitcnt vmcnt(1)
	v_mov_b32_e32 v3, v9
	s_mov_b32 s25, exec_lo
	s_waitcnt vmcnt(0)
	v_mov_b32_e32 v1, v4
	buffer_store_dword v0, off, s[0:3], s32 offset:200 ; 4-byte Folded Spill
	buffer_store_dword v1, off, s[0:3], s32 offset:204 ; 4-byte Folded Spill
	;; [unrolled: 1-line block ×4, first 2 shown]
	v_cmpx_ne_u32_e32 0x7f, v2
	s_cbranch_execz .LBB243_433
; %bb.430:                              ;   in Loop: Header=BB243_16 Depth=1
	v_mov_b32_e32 v1, 7
	s_mov_b32 s26, exec_lo
	v_and_b32_sdwa v8, v0, v1 dst_sel:DWORD dst_unused:UNUSED_PAD src0_sel:BYTE_3 src1_sel:DWORD
	v_lshrrev_b32_e32 v1, 3, v2
	v_cmpx_gt_u32_e32 8, v2
; %bb.431:                              ;   in Loop: Header=BB243_16 Depth=1
	v_ffbh_u32_e32 v1, v8
	v_min_u32_e32 v1, 32, v1
	v_subrev_nc_u32_e32 v2, 28, v1
	v_sub_nc_u32_e32 v1, 29, v1
	v_lshlrev_b64 v[2:3], v2, v[8:9]
	v_and_b32_e32 v8, 7, v2
; %bb.432:                              ;   in Loop: Header=BB243_16 Depth=1
	s_or_b32 exec_lo, exec_lo, s26
	v_mov_b32_e32 v2, 24
	v_lshl_add_u32 v1, v1, 23, 0x3c000000
	v_lshlrev_b32_sdwa v0, v2, v0 dst_sel:DWORD dst_unused:UNUSED_PAD src0_sel:DWORD src1_sel:BYTE_3
	v_lshlrev_b32_e32 v2, 20, v8
	v_and_b32_e32 v0, 0x80000000, v0
	v_or3_b32 v1, v2, v0, v1
	v_mov_b32_e32 v0, v9
	buffer_store_dword v0, off, s[0:3], s32 offset:652 ; 4-byte Folded Spill
	buffer_store_dword v1, off, s[0:3], s32 offset:656 ; 4-byte Folded Spill
.LBB243_433:                            ;   in Loop: Header=BB243_16 Depth=1
	s_or_b32 exec_lo, exec_lo, s25
.LBB243_434:                            ;   in Loop: Header=BB243_16 Depth=1
	s_or_b32 exec_lo, exec_lo, s24
.LBB243_435:                            ;   in Loop: Header=BB243_16 Depth=1
	s_or_b32 exec_lo, exec_lo, s23
	flat_load_dword v0, v[114:115] offset:1540
	v_mov_b32_e32 v1, 0
	v_mov_b32_e32 v2, 0
	buffer_store_dword v1, off, s[0:3], s32 offset:676 ; 4-byte Folded Spill
	buffer_store_dword v2, off, s[0:3], s32 offset:680 ; 4-byte Folded Spill
	v_mov_b32_e32 v1, 0
	v_mov_b32_e32 v2, 0
	buffer_store_dword v1, off, s[0:3], s32 offset:668 ; 4-byte Folded Spill
	buffer_store_dword v2, off, s[0:3], s32 offset:672 ; 4-byte Folded Spill
	s_waitcnt vmcnt(0) lgkmcnt(0)
	v_cmp_ne_u16_sdwa s5, v0, v9 src0_sel:BYTE_0 src1_sel:DWORD
	s_and_saveexec_b32 s23, s5
	s_cbranch_execz .LBB243_443
; %bb.436:                              ;   in Loop: Header=BB243_16 Depth=1
	v_bfrev_b32_e32 v1, 1
	v_mov_b32_e32 v2, 0
	buffer_store_dword v1, off, s[0:3], s32 offset:668 ; 4-byte Folded Spill
	buffer_store_dword v2, off, s[0:3], s32 offset:672 ; 4-byte Folded Spill
	v_mov_b32_e32 v1, 0x80
	v_cmp_ne_u16_sdwa s5, v0, v1 src0_sel:BYTE_0 src1_sel:DWORD
	s_and_saveexec_b32 s24, s5
	s_cbranch_execz .LBB243_442
; %bb.437:                              ;   in Loop: Header=BB243_16 Depth=1
	v_mov_b32_e32 v3, 0x7f800001
	v_and_b32_e32 v2, 0x7f, v0
	v_mov_b32_e32 v4, 0
	s_mov_b32 s25, exec_lo
	buffer_store_dword v3, off, s[0:3], s32 offset:668 ; 4-byte Folded Spill
	buffer_store_dword v4, off, s[0:3], s32 offset:672 ; 4-byte Folded Spill
	v_cmpx_ne_u32_e32 0x7f, v2
	s_cbranch_execz .LBB243_441
; %bb.438:                              ;   in Loop: Header=BB243_16 Depth=1
	v_and_b32_e32 v8, 7, v0
	v_lshrrev_b32_e32 v1, 3, v2
	s_mov_b32 s26, exec_lo
	v_cmpx_gt_u32_e32 8, v2
; %bb.439:                              ;   in Loop: Header=BB243_16 Depth=1
	v_ffbh_u32_e32 v1, v8
	v_min_u32_e32 v1, 32, v1
	v_subrev_nc_u32_e32 v2, 28, v1
	v_sub_nc_u32_e32 v1, 29, v1
	v_lshlrev_b64 v[2:3], v2, v[8:9]
	v_and_b32_e32 v8, 7, v2
; %bb.440:                              ;   in Loop: Header=BB243_16 Depth=1
	s_or_b32 exec_lo, exec_lo, s26
	v_lshlrev_b32_e32 v2, 24, v0
	v_lshlrev_b32_e32 v3, 20, v8
	v_lshl_add_u32 v1, v1, 23, 0x3c000000
	v_and_b32_e32 v2, 0x80000000, v2
	v_or3_b32 v8, v3, v2, v1
	buffer_store_dword v8, off, s[0:3], s32 offset:668 ; 4-byte Folded Spill
	buffer_store_dword v9, off, s[0:3], s32 offset:672 ; 4-byte Folded Spill
.LBB243_441:                            ;   in Loop: Header=BB243_16 Depth=1
	s_or_b32 exec_lo, exec_lo, s25
.LBB243_442:                            ;   in Loop: Header=BB243_16 Depth=1
	s_or_b32 exec_lo, exec_lo, s24
.LBB243_443:                            ;   in Loop: Header=BB243_16 Depth=1
	s_or_b32 exec_lo, exec_lo, s23
	v_cmp_ne_u16_sdwa s5, v0, v9 src0_sel:BYTE_1 src1_sel:DWORD
	s_and_saveexec_b32 s23, s5
	s_cbranch_execz .LBB243_451
; %bb.444:                              ;   in Loop: Header=BB243_16 Depth=1
	v_mov_b32_e32 v1, 0x80
	v_mov_b32_e32 v46, v9
	buffer_store_dword v46, off, s[0:3], s32 offset:676 ; 4-byte Folded Spill
	buffer_store_dword v47, off, s[0:3], s32 offset:680 ; 4-byte Folded Spill
	v_cmp_ne_u16_sdwa s5, v0, v1 src0_sel:BYTE_1 src1_sel:DWORD
	s_and_saveexec_b32 s24, s5
	s_cbranch_execz .LBB243_450
; %bb.445:                              ;   in Loop: Header=BB243_16 Depth=1
	s_clause 0x1
	buffer_load_dword v3, off, s[0:3], s32 offset:200
	buffer_load_dword v4, off, s[0:3], s32 offset:204
	v_mov_b32_e32 v1, 0xffff
	s_mov_b32 s25, exec_lo
	v_and_b32_sdwa v1, v1, v0 dst_sel:DWORD dst_unused:UNUSED_PAD src0_sel:DWORD src1_sel:BYTE_1
	v_and_b32_e32 v2, 0x7f, v1
	s_waitcnt vmcnt(0)
	v_mov_b32_e32 v5, v4
	v_mov_b32_e32 v4, v9
	;; [unrolled: 1-line block ×3, first 2 shown]
	buffer_store_dword v2, off, s[0:3], s32 offset:200 ; 4-byte Folded Spill
	buffer_store_dword v3, off, s[0:3], s32 offset:204 ; 4-byte Folded Spill
	;; [unrolled: 1-line block ×4, first 2 shown]
	v_cmpx_ne_u32_e32 0x7f, v2
	s_cbranch_execz .LBB243_449
; %bb.446:                              ;   in Loop: Header=BB243_16 Depth=1
	v_and_b32_e32 v8, 7, v1
	v_lshrrev_b32_e32 v1, 3, v2
	s_mov_b32 s26, exec_lo
	v_cmpx_gt_u32_e32 8, v2
; %bb.447:                              ;   in Loop: Header=BB243_16 Depth=1
	v_ffbh_u32_e32 v1, v8
	v_min_u32_e32 v1, 32, v1
	v_subrev_nc_u32_e32 v2, 28, v1
	v_sub_nc_u32_e32 v1, 29, v1
	v_lshlrev_b64 v[2:3], v2, v[8:9]
	v_and_b32_e32 v8, 7, v2
; %bb.448:                              ;   in Loop: Header=BB243_16 Depth=1
	s_or_b32 exec_lo, exec_lo, s26
	v_lshlrev_b32_e32 v2, 16, v0
	v_lshlrev_b32_e32 v3, 20, v8
	v_lshl_add_u32 v1, v1, 23, 0x3c000000
	v_and_b32_e32 v2, 0x80000000, v2
	v_or3_b32 v2, v3, v2, v1
	v_mov_b32_e32 v1, v9
	buffer_store_dword v1, off, s[0:3], s32 offset:676 ; 4-byte Folded Spill
	buffer_store_dword v2, off, s[0:3], s32 offset:680 ; 4-byte Folded Spill
.LBB243_449:                            ;   in Loop: Header=BB243_16 Depth=1
	s_or_b32 exec_lo, exec_lo, s25
.LBB243_450:                            ;   in Loop: Header=BB243_16 Depth=1
	s_or_b32 exec_lo, exec_lo, s24
.LBB243_451:                            ;   in Loop: Header=BB243_16 Depth=1
	s_or_b32 exec_lo, exec_lo, s23
	v_mov_b32_e32 v2, 0
	v_mov_b32_e32 v3, 0
	;; [unrolled: 1-line block ×3, first 2 shown]
	s_mov_b32 s23, exec_lo
	buffer_store_dword v2, off, s[0:3], s32 offset:684 ; 4-byte Folded Spill
	buffer_store_dword v3, off, s[0:3], s32 offset:688 ; 4-byte Folded Spill
	v_mov_b32_e32 v2, 0
	v_and_b32_sdwa v1, v0, v1 dst_sel:DWORD dst_unused:UNUSED_PAD src0_sel:WORD_1 src1_sel:DWORD
	v_mov_b32_e32 v3, 0
	buffer_store_dword v2, off, s[0:3], s32 offset:692 ; 4-byte Folded Spill
	buffer_store_dword v3, off, s[0:3], s32 offset:696 ; 4-byte Folded Spill
	v_cmpx_ne_u16_e32 0, v1
	s_cbranch_execz .LBB243_459
; %bb.452:                              ;   in Loop: Header=BB243_16 Depth=1
	v_cmp_ne_u16_e64 s5, 0x80, v1
	v_bfrev_b32_e32 v1, 1
	v_mov_b32_e32 v2, 0
	buffer_store_dword v1, off, s[0:3], s32 offset:692 ; 4-byte Folded Spill
	buffer_store_dword v2, off, s[0:3], s32 offset:696 ; 4-byte Folded Spill
	s_and_saveexec_b32 s24, s5
	s_cbranch_execz .LBB243_458
; %bb.453:                              ;   in Loop: Header=BB243_16 Depth=1
	v_mov_b32_e32 v3, 0x7f800001
	v_bfe_u32 v2, v0, 16, 7
	v_mov_b32_e32 v4, 0
	s_mov_b32 s25, exec_lo
	buffer_store_dword v3, off, s[0:3], s32 offset:692 ; 4-byte Folded Spill
	buffer_store_dword v4, off, s[0:3], s32 offset:696 ; 4-byte Folded Spill
	v_cmpx_ne_u32_e32 0x7f, v2
	s_cbranch_execz .LBB243_457
; %bb.454:                              ;   in Loop: Header=BB243_16 Depth=1
	v_mov_b32_e32 v1, 7
	s_mov_b32 s26, exec_lo
	v_and_b32_sdwa v8, v0, v1 dst_sel:DWORD dst_unused:UNUSED_PAD src0_sel:WORD_1 src1_sel:DWORD
	v_lshrrev_b32_e32 v1, 3, v2
	v_cmpx_gt_u32_e32 8, v2
; %bb.455:                              ;   in Loop: Header=BB243_16 Depth=1
	v_ffbh_u32_e32 v1, v8
	v_min_u32_e32 v1, 32, v1
	v_subrev_nc_u32_e32 v2, 28, v1
	v_sub_nc_u32_e32 v1, 29, v1
	v_lshlrev_b64 v[2:3], v2, v[8:9]
	v_and_b32_e32 v8, 7, v2
; %bb.456:                              ;   in Loop: Header=BB243_16 Depth=1
	s_or_b32 exec_lo, exec_lo, s26
	v_mov_b32_e32 v2, 24
	v_lshlrev_b32_e32 v3, 20, v8
	v_lshl_add_u32 v1, v1, 23, 0x3c000000
	v_lshlrev_b32_sdwa v2, v2, v0 dst_sel:DWORD dst_unused:UNUSED_PAD src0_sel:DWORD src1_sel:WORD_1
	v_and_b32_e32 v2, 0x80000000, v2
	v_or3_b32 v8, v3, v2, v1
	buffer_store_dword v8, off, s[0:3], s32 offset:692 ; 4-byte Folded Spill
	buffer_store_dword v9, off, s[0:3], s32 offset:696 ; 4-byte Folded Spill
.LBB243_457:                            ;   in Loop: Header=BB243_16 Depth=1
	s_or_b32 exec_lo, exec_lo, s25
.LBB243_458:                            ;   in Loop: Header=BB243_16 Depth=1
	s_or_b32 exec_lo, exec_lo, s24
.LBB243_459:                            ;   in Loop: Header=BB243_16 Depth=1
	s_or_b32 exec_lo, exec_lo, s23
	s_mov_b32 s23, exec_lo
	v_cmpx_lt_u32_e32 0xffffff, v0
	s_cbranch_execz .LBB243_467
; %bb.460:                              ;   in Loop: Header=BB243_16 Depth=1
	v_mov_b32_e32 v1, 0x80
	v_mov_b32_e32 v46, v9
	buffer_store_dword v46, off, s[0:3], s32 offset:684 ; 4-byte Folded Spill
	buffer_store_dword v47, off, s[0:3], s32 offset:688 ; 4-byte Folded Spill
	v_cmp_ne_u32_sdwa s5, v0, v1 src0_sel:BYTE_3 src1_sel:DWORD
	s_and_saveexec_b32 s24, s5
	s_cbranch_execz .LBB243_466
; %bb.461:                              ;   in Loop: Header=BB243_16 Depth=1
	s_clause 0x1
	buffer_load_dword v3, off, s[0:3], s32 offset:200
	buffer_load_dword v4, off, s[0:3], s32 offset:204
	v_bfe_u32 v2, v0, 24, 7
	s_waitcnt vmcnt(1)
	v_mov_b32_e32 v3, v9
	s_mov_b32 s25, exec_lo
	s_waitcnt vmcnt(0)
	v_mov_b32_e32 v1, v4
	buffer_store_dword v0, off, s[0:3], s32 offset:200 ; 4-byte Folded Spill
	buffer_store_dword v1, off, s[0:3], s32 offset:204 ; 4-byte Folded Spill
	;; [unrolled: 1-line block ×4, first 2 shown]
	v_cmpx_ne_u32_e32 0x7f, v2
	s_cbranch_execz .LBB243_465
; %bb.462:                              ;   in Loop: Header=BB243_16 Depth=1
	v_mov_b32_e32 v1, 7
	s_mov_b32 s26, exec_lo
	v_and_b32_sdwa v8, v0, v1 dst_sel:DWORD dst_unused:UNUSED_PAD src0_sel:BYTE_3 src1_sel:DWORD
	v_lshrrev_b32_e32 v1, 3, v2
	v_cmpx_gt_u32_e32 8, v2
; %bb.463:                              ;   in Loop: Header=BB243_16 Depth=1
	v_ffbh_u32_e32 v1, v8
	v_min_u32_e32 v1, 32, v1
	v_subrev_nc_u32_e32 v2, 28, v1
	v_sub_nc_u32_e32 v1, 29, v1
	v_lshlrev_b64 v[2:3], v2, v[8:9]
	v_and_b32_e32 v8, 7, v2
; %bb.464:                              ;   in Loop: Header=BB243_16 Depth=1
	s_or_b32 exec_lo, exec_lo, s26
	v_mov_b32_e32 v2, 24
	v_lshl_add_u32 v1, v1, 23, 0x3c000000
	v_lshlrev_b32_sdwa v0, v2, v0 dst_sel:DWORD dst_unused:UNUSED_PAD src0_sel:DWORD src1_sel:BYTE_3
	v_lshlrev_b32_e32 v2, 20, v8
	v_and_b32_e32 v0, 0x80000000, v0
	v_or3_b32 v1, v2, v0, v1
	v_mov_b32_e32 v0, v9
	buffer_store_dword v0, off, s[0:3], s32 offset:684 ; 4-byte Folded Spill
	buffer_store_dword v1, off, s[0:3], s32 offset:688 ; 4-byte Folded Spill
.LBB243_465:                            ;   in Loop: Header=BB243_16 Depth=1
	s_or_b32 exec_lo, exec_lo, s25
.LBB243_466:                            ;   in Loop: Header=BB243_16 Depth=1
	s_or_b32 exec_lo, exec_lo, s24
.LBB243_467:                            ;   in Loop: Header=BB243_16 Depth=1
	s_or_b32 exec_lo, exec_lo, s23
	flat_load_dword v0, v[114:115] offset:1544
	v_mov_b32_e32 v1, 0
	v_mov_b32_e32 v2, 0
	buffer_store_dword v1, off, s[0:3], s32 offset:708 ; 4-byte Folded Spill
	buffer_store_dword v2, off, s[0:3], s32 offset:712 ; 4-byte Folded Spill
	v_mov_b32_e32 v1, 0
	v_mov_b32_e32 v2, 0
	buffer_store_dword v1, off, s[0:3], s32 offset:700 ; 4-byte Folded Spill
	buffer_store_dword v2, off, s[0:3], s32 offset:704 ; 4-byte Folded Spill
	s_waitcnt vmcnt(0) lgkmcnt(0)
	v_cmp_ne_u16_sdwa s5, v0, v9 src0_sel:BYTE_0 src1_sel:DWORD
	s_and_saveexec_b32 s23, s5
	s_cbranch_execz .LBB243_475
; %bb.468:                              ;   in Loop: Header=BB243_16 Depth=1
	v_bfrev_b32_e32 v1, 1
	v_mov_b32_e32 v2, 0
	buffer_store_dword v1, off, s[0:3], s32 offset:700 ; 4-byte Folded Spill
	buffer_store_dword v2, off, s[0:3], s32 offset:704 ; 4-byte Folded Spill
	v_mov_b32_e32 v1, 0x80
	v_cmp_ne_u16_sdwa s5, v0, v1 src0_sel:BYTE_0 src1_sel:DWORD
	s_and_saveexec_b32 s24, s5
	s_cbranch_execz .LBB243_474
; %bb.469:                              ;   in Loop: Header=BB243_16 Depth=1
	v_mov_b32_e32 v3, 0x7f800001
	v_and_b32_e32 v2, 0x7f, v0
	v_mov_b32_e32 v4, 0
	s_mov_b32 s25, exec_lo
	buffer_store_dword v3, off, s[0:3], s32 offset:700 ; 4-byte Folded Spill
	buffer_store_dword v4, off, s[0:3], s32 offset:704 ; 4-byte Folded Spill
	v_cmpx_ne_u32_e32 0x7f, v2
	s_cbranch_execz .LBB243_473
; %bb.470:                              ;   in Loop: Header=BB243_16 Depth=1
	v_and_b32_e32 v8, 7, v0
	v_lshrrev_b32_e32 v1, 3, v2
	s_mov_b32 s26, exec_lo
	v_cmpx_gt_u32_e32 8, v2
; %bb.471:                              ;   in Loop: Header=BB243_16 Depth=1
	v_ffbh_u32_e32 v1, v8
	v_min_u32_e32 v1, 32, v1
	v_subrev_nc_u32_e32 v2, 28, v1
	v_sub_nc_u32_e32 v1, 29, v1
	v_lshlrev_b64 v[2:3], v2, v[8:9]
	v_and_b32_e32 v8, 7, v2
; %bb.472:                              ;   in Loop: Header=BB243_16 Depth=1
	s_or_b32 exec_lo, exec_lo, s26
	v_lshlrev_b32_e32 v2, 24, v0
	v_lshlrev_b32_e32 v3, 20, v8
	v_lshl_add_u32 v1, v1, 23, 0x3c000000
	v_and_b32_e32 v2, 0x80000000, v2
	v_or3_b32 v8, v3, v2, v1
	buffer_store_dword v8, off, s[0:3], s32 offset:700 ; 4-byte Folded Spill
	buffer_store_dword v9, off, s[0:3], s32 offset:704 ; 4-byte Folded Spill
.LBB243_473:                            ;   in Loop: Header=BB243_16 Depth=1
	s_or_b32 exec_lo, exec_lo, s25
.LBB243_474:                            ;   in Loop: Header=BB243_16 Depth=1
	s_or_b32 exec_lo, exec_lo, s24
.LBB243_475:                            ;   in Loop: Header=BB243_16 Depth=1
	s_or_b32 exec_lo, exec_lo, s23
	v_cmp_ne_u16_sdwa s5, v0, v9 src0_sel:BYTE_1 src1_sel:DWORD
	s_and_saveexec_b32 s23, s5
	s_cbranch_execz .LBB243_483
; %bb.476:                              ;   in Loop: Header=BB243_16 Depth=1
	v_mov_b32_e32 v1, 0x80
	v_mov_b32_e32 v46, v9
	buffer_store_dword v46, off, s[0:3], s32 offset:708 ; 4-byte Folded Spill
	buffer_store_dword v47, off, s[0:3], s32 offset:712 ; 4-byte Folded Spill
	v_cmp_ne_u16_sdwa s5, v0, v1 src0_sel:BYTE_1 src1_sel:DWORD
	s_and_saveexec_b32 s24, s5
	s_cbranch_execz .LBB243_482
; %bb.477:                              ;   in Loop: Header=BB243_16 Depth=1
	s_clause 0x1
	buffer_load_dword v3, off, s[0:3], s32 offset:200
	buffer_load_dword v4, off, s[0:3], s32 offset:204
	v_mov_b32_e32 v1, 0xffff
	s_mov_b32 s25, exec_lo
	v_and_b32_sdwa v1, v1, v0 dst_sel:DWORD dst_unused:UNUSED_PAD src0_sel:DWORD src1_sel:BYTE_1
	v_and_b32_e32 v2, 0x7f, v1
	s_waitcnt vmcnt(0)
	v_mov_b32_e32 v5, v4
	v_mov_b32_e32 v4, v9
	v_mov_b32_e32 v3, v5
	buffer_store_dword v2, off, s[0:3], s32 offset:200 ; 4-byte Folded Spill
	buffer_store_dword v3, off, s[0:3], s32 offset:204 ; 4-byte Folded Spill
	;; [unrolled: 1-line block ×4, first 2 shown]
	v_cmpx_ne_u32_e32 0x7f, v2
	s_cbranch_execz .LBB243_481
; %bb.478:                              ;   in Loop: Header=BB243_16 Depth=1
	v_and_b32_e32 v8, 7, v1
	v_lshrrev_b32_e32 v1, 3, v2
	s_mov_b32 s26, exec_lo
	v_cmpx_gt_u32_e32 8, v2
; %bb.479:                              ;   in Loop: Header=BB243_16 Depth=1
	v_ffbh_u32_e32 v1, v8
	v_min_u32_e32 v1, 32, v1
	v_subrev_nc_u32_e32 v2, 28, v1
	v_sub_nc_u32_e32 v1, 29, v1
	v_lshlrev_b64 v[2:3], v2, v[8:9]
	v_and_b32_e32 v8, 7, v2
; %bb.480:                              ;   in Loop: Header=BB243_16 Depth=1
	s_or_b32 exec_lo, exec_lo, s26
	v_lshlrev_b32_e32 v2, 16, v0
	v_lshlrev_b32_e32 v3, 20, v8
	v_lshl_add_u32 v1, v1, 23, 0x3c000000
	v_and_b32_e32 v2, 0x80000000, v2
	v_or3_b32 v2, v3, v2, v1
	v_mov_b32_e32 v1, v9
	buffer_store_dword v1, off, s[0:3], s32 offset:708 ; 4-byte Folded Spill
	buffer_store_dword v2, off, s[0:3], s32 offset:712 ; 4-byte Folded Spill
.LBB243_481:                            ;   in Loop: Header=BB243_16 Depth=1
	s_or_b32 exec_lo, exec_lo, s25
.LBB243_482:                            ;   in Loop: Header=BB243_16 Depth=1
	s_or_b32 exec_lo, exec_lo, s24
.LBB243_483:                            ;   in Loop: Header=BB243_16 Depth=1
	s_or_b32 exec_lo, exec_lo, s23
	v_mov_b32_e32 v2, 0
	v_mov_b32_e32 v3, 0
	;; [unrolled: 1-line block ×3, first 2 shown]
	s_mov_b32 s23, exec_lo
	buffer_store_dword v2, off, s[0:3], s32 offset:716 ; 4-byte Folded Spill
	buffer_store_dword v3, off, s[0:3], s32 offset:720 ; 4-byte Folded Spill
	v_mov_b32_e32 v2, 0
	v_and_b32_sdwa v1, v0, v1 dst_sel:DWORD dst_unused:UNUSED_PAD src0_sel:WORD_1 src1_sel:DWORD
	v_mov_b32_e32 v3, 0
	buffer_store_dword v2, off, s[0:3], s32 offset:724 ; 4-byte Folded Spill
	buffer_store_dword v3, off, s[0:3], s32 offset:728 ; 4-byte Folded Spill
	v_cmpx_ne_u16_e32 0, v1
	s_cbranch_execz .LBB243_491
; %bb.484:                              ;   in Loop: Header=BB243_16 Depth=1
	v_cmp_ne_u16_e64 s5, 0x80, v1
	v_bfrev_b32_e32 v1, 1
	v_mov_b32_e32 v2, 0
	buffer_store_dword v1, off, s[0:3], s32 offset:724 ; 4-byte Folded Spill
	buffer_store_dword v2, off, s[0:3], s32 offset:728 ; 4-byte Folded Spill
	s_and_saveexec_b32 s24, s5
	s_cbranch_execz .LBB243_490
; %bb.485:                              ;   in Loop: Header=BB243_16 Depth=1
	v_mov_b32_e32 v3, 0x7f800001
	v_bfe_u32 v2, v0, 16, 7
	v_mov_b32_e32 v4, 0
	s_mov_b32 s25, exec_lo
	buffer_store_dword v3, off, s[0:3], s32 offset:724 ; 4-byte Folded Spill
	buffer_store_dword v4, off, s[0:3], s32 offset:728 ; 4-byte Folded Spill
	v_cmpx_ne_u32_e32 0x7f, v2
	s_cbranch_execz .LBB243_489
; %bb.486:                              ;   in Loop: Header=BB243_16 Depth=1
	v_mov_b32_e32 v1, 7
	s_mov_b32 s26, exec_lo
	v_and_b32_sdwa v8, v0, v1 dst_sel:DWORD dst_unused:UNUSED_PAD src0_sel:WORD_1 src1_sel:DWORD
	v_lshrrev_b32_e32 v1, 3, v2
	v_cmpx_gt_u32_e32 8, v2
; %bb.487:                              ;   in Loop: Header=BB243_16 Depth=1
	v_ffbh_u32_e32 v1, v8
	v_min_u32_e32 v1, 32, v1
	v_subrev_nc_u32_e32 v2, 28, v1
	v_sub_nc_u32_e32 v1, 29, v1
	v_lshlrev_b64 v[2:3], v2, v[8:9]
	v_and_b32_e32 v8, 7, v2
; %bb.488:                              ;   in Loop: Header=BB243_16 Depth=1
	s_or_b32 exec_lo, exec_lo, s26
	v_mov_b32_e32 v2, 24
	v_lshlrev_b32_e32 v3, 20, v8
	v_lshl_add_u32 v1, v1, 23, 0x3c000000
	v_lshlrev_b32_sdwa v2, v2, v0 dst_sel:DWORD dst_unused:UNUSED_PAD src0_sel:DWORD src1_sel:WORD_1
	v_and_b32_e32 v2, 0x80000000, v2
	v_or3_b32 v8, v3, v2, v1
	buffer_store_dword v8, off, s[0:3], s32 offset:724 ; 4-byte Folded Spill
	buffer_store_dword v9, off, s[0:3], s32 offset:728 ; 4-byte Folded Spill
.LBB243_489:                            ;   in Loop: Header=BB243_16 Depth=1
	s_or_b32 exec_lo, exec_lo, s25
.LBB243_490:                            ;   in Loop: Header=BB243_16 Depth=1
	s_or_b32 exec_lo, exec_lo, s24
.LBB243_491:                            ;   in Loop: Header=BB243_16 Depth=1
	s_or_b32 exec_lo, exec_lo, s23
	s_mov_b32 s23, exec_lo
	v_cmpx_lt_u32_e32 0xffffff, v0
	s_cbranch_execz .LBB243_499
; %bb.492:                              ;   in Loop: Header=BB243_16 Depth=1
	v_mov_b32_e32 v1, 0x80
	v_mov_b32_e32 v46, v9
	buffer_store_dword v46, off, s[0:3], s32 offset:716 ; 4-byte Folded Spill
	buffer_store_dword v47, off, s[0:3], s32 offset:720 ; 4-byte Folded Spill
	v_cmp_ne_u32_sdwa s5, v0, v1 src0_sel:BYTE_3 src1_sel:DWORD
	s_and_saveexec_b32 s24, s5
	s_cbranch_execz .LBB243_498
; %bb.493:                              ;   in Loop: Header=BB243_16 Depth=1
	s_clause 0x1
	buffer_load_dword v3, off, s[0:3], s32 offset:200
	buffer_load_dword v4, off, s[0:3], s32 offset:204
	v_bfe_u32 v2, v0, 24, 7
	s_waitcnt vmcnt(1)
	v_mov_b32_e32 v3, v9
	s_mov_b32 s25, exec_lo
	s_waitcnt vmcnt(0)
	v_mov_b32_e32 v1, v4
	buffer_store_dword v0, off, s[0:3], s32 offset:200 ; 4-byte Folded Spill
	buffer_store_dword v1, off, s[0:3], s32 offset:204 ; 4-byte Folded Spill
	;; [unrolled: 1-line block ×4, first 2 shown]
	v_cmpx_ne_u32_e32 0x7f, v2
	s_cbranch_execz .LBB243_497
; %bb.494:                              ;   in Loop: Header=BB243_16 Depth=1
	v_mov_b32_e32 v1, 7
	s_mov_b32 s26, exec_lo
	v_and_b32_sdwa v8, v0, v1 dst_sel:DWORD dst_unused:UNUSED_PAD src0_sel:BYTE_3 src1_sel:DWORD
	v_lshrrev_b32_e32 v1, 3, v2
	v_cmpx_gt_u32_e32 8, v2
; %bb.495:                              ;   in Loop: Header=BB243_16 Depth=1
	v_ffbh_u32_e32 v1, v8
	v_min_u32_e32 v1, 32, v1
	v_subrev_nc_u32_e32 v2, 28, v1
	v_sub_nc_u32_e32 v1, 29, v1
	v_lshlrev_b64 v[2:3], v2, v[8:9]
	v_and_b32_e32 v8, 7, v2
; %bb.496:                              ;   in Loop: Header=BB243_16 Depth=1
	s_or_b32 exec_lo, exec_lo, s26
	v_mov_b32_e32 v2, 24
	v_lshl_add_u32 v1, v1, 23, 0x3c000000
	v_lshlrev_b32_sdwa v0, v2, v0 dst_sel:DWORD dst_unused:UNUSED_PAD src0_sel:DWORD src1_sel:BYTE_3
	v_lshlrev_b32_e32 v2, 20, v8
	v_and_b32_e32 v0, 0x80000000, v0
	v_or3_b32 v1, v2, v0, v1
	v_mov_b32_e32 v0, v9
	buffer_store_dword v0, off, s[0:3], s32 offset:716 ; 4-byte Folded Spill
	buffer_store_dword v1, off, s[0:3], s32 offset:720 ; 4-byte Folded Spill
.LBB243_497:                            ;   in Loop: Header=BB243_16 Depth=1
	s_or_b32 exec_lo, exec_lo, s25
.LBB243_498:                            ;   in Loop: Header=BB243_16 Depth=1
	s_or_b32 exec_lo, exec_lo, s24
.LBB243_499:                            ;   in Loop: Header=BB243_16 Depth=1
	s_or_b32 exec_lo, exec_lo, s23
	flat_load_dword v0, v[114:115] offset:1548
	v_mov_b32_e32 v1, 0
	v_mov_b32_e32 v2, 0
	buffer_store_dword v1, off, s[0:3], s32 offset:740 ; 4-byte Folded Spill
	buffer_store_dword v2, off, s[0:3], s32 offset:744 ; 4-byte Folded Spill
	v_mov_b32_e32 v1, 0
	v_mov_b32_e32 v2, 0
	buffer_store_dword v1, off, s[0:3], s32 offset:732 ; 4-byte Folded Spill
	buffer_store_dword v2, off, s[0:3], s32 offset:736 ; 4-byte Folded Spill
	s_waitcnt vmcnt(0) lgkmcnt(0)
	v_cmp_ne_u16_sdwa s5, v0, v9 src0_sel:BYTE_0 src1_sel:DWORD
	s_and_saveexec_b32 s23, s5
	s_cbranch_execz .LBB243_507
; %bb.500:                              ;   in Loop: Header=BB243_16 Depth=1
	v_bfrev_b32_e32 v1, 1
	v_mov_b32_e32 v2, 0
	buffer_store_dword v1, off, s[0:3], s32 offset:732 ; 4-byte Folded Spill
	buffer_store_dword v2, off, s[0:3], s32 offset:736 ; 4-byte Folded Spill
	v_mov_b32_e32 v1, 0x80
	v_cmp_ne_u16_sdwa s5, v0, v1 src0_sel:BYTE_0 src1_sel:DWORD
	s_and_saveexec_b32 s24, s5
	s_cbranch_execz .LBB243_506
; %bb.501:                              ;   in Loop: Header=BB243_16 Depth=1
	v_mov_b32_e32 v3, 0x7f800001
	v_and_b32_e32 v2, 0x7f, v0
	v_mov_b32_e32 v4, 0
	s_mov_b32 s25, exec_lo
	buffer_store_dword v3, off, s[0:3], s32 offset:732 ; 4-byte Folded Spill
	buffer_store_dword v4, off, s[0:3], s32 offset:736 ; 4-byte Folded Spill
	v_cmpx_ne_u32_e32 0x7f, v2
	s_cbranch_execz .LBB243_505
; %bb.502:                              ;   in Loop: Header=BB243_16 Depth=1
	v_and_b32_e32 v8, 7, v0
	v_lshrrev_b32_e32 v1, 3, v2
	s_mov_b32 s26, exec_lo
	v_cmpx_gt_u32_e32 8, v2
; %bb.503:                              ;   in Loop: Header=BB243_16 Depth=1
	v_ffbh_u32_e32 v1, v8
	v_min_u32_e32 v1, 32, v1
	v_subrev_nc_u32_e32 v2, 28, v1
	v_sub_nc_u32_e32 v1, 29, v1
	v_lshlrev_b64 v[2:3], v2, v[8:9]
	v_and_b32_e32 v8, 7, v2
; %bb.504:                              ;   in Loop: Header=BB243_16 Depth=1
	s_or_b32 exec_lo, exec_lo, s26
	v_lshlrev_b32_e32 v2, 24, v0
	v_lshlrev_b32_e32 v3, 20, v8
	v_lshl_add_u32 v1, v1, 23, 0x3c000000
	v_and_b32_e32 v2, 0x80000000, v2
	v_or3_b32 v8, v3, v2, v1
	buffer_store_dword v8, off, s[0:3], s32 offset:732 ; 4-byte Folded Spill
	buffer_store_dword v9, off, s[0:3], s32 offset:736 ; 4-byte Folded Spill
.LBB243_505:                            ;   in Loop: Header=BB243_16 Depth=1
	s_or_b32 exec_lo, exec_lo, s25
.LBB243_506:                            ;   in Loop: Header=BB243_16 Depth=1
	s_or_b32 exec_lo, exec_lo, s24
.LBB243_507:                            ;   in Loop: Header=BB243_16 Depth=1
	s_or_b32 exec_lo, exec_lo, s23
	v_cmp_ne_u16_sdwa s5, v0, v9 src0_sel:BYTE_1 src1_sel:DWORD
	s_and_saveexec_b32 s23, s5
	s_cbranch_execz .LBB243_515
; %bb.508:                              ;   in Loop: Header=BB243_16 Depth=1
	v_mov_b32_e32 v1, 0x80
	v_mov_b32_e32 v46, v9
	buffer_store_dword v46, off, s[0:3], s32 offset:740 ; 4-byte Folded Spill
	buffer_store_dword v47, off, s[0:3], s32 offset:744 ; 4-byte Folded Spill
	v_cmp_ne_u16_sdwa s5, v0, v1 src0_sel:BYTE_1 src1_sel:DWORD
	s_and_saveexec_b32 s24, s5
	s_cbranch_execz .LBB243_514
; %bb.509:                              ;   in Loop: Header=BB243_16 Depth=1
	s_clause 0x1
	buffer_load_dword v3, off, s[0:3], s32 offset:200
	buffer_load_dword v4, off, s[0:3], s32 offset:204
	v_mov_b32_e32 v1, 0xffff
	s_mov_b32 s25, exec_lo
	v_and_b32_sdwa v1, v1, v0 dst_sel:DWORD dst_unused:UNUSED_PAD src0_sel:DWORD src1_sel:BYTE_1
	v_and_b32_e32 v2, 0x7f, v1
	s_waitcnt vmcnt(0)
	v_mov_b32_e32 v5, v4
	v_mov_b32_e32 v4, v9
	;; [unrolled: 1-line block ×3, first 2 shown]
	buffer_store_dword v2, off, s[0:3], s32 offset:200 ; 4-byte Folded Spill
	buffer_store_dword v3, off, s[0:3], s32 offset:204 ; 4-byte Folded Spill
	buffer_store_dword v4, off, s[0:3], s32 offset:740 ; 4-byte Folded Spill
	buffer_store_dword v5, off, s[0:3], s32 offset:744 ; 4-byte Folded Spill
	v_cmpx_ne_u32_e32 0x7f, v2
	s_cbranch_execz .LBB243_513
; %bb.510:                              ;   in Loop: Header=BB243_16 Depth=1
	v_and_b32_e32 v8, 7, v1
	v_lshrrev_b32_e32 v1, 3, v2
	s_mov_b32 s26, exec_lo
	v_cmpx_gt_u32_e32 8, v2
; %bb.511:                              ;   in Loop: Header=BB243_16 Depth=1
	v_ffbh_u32_e32 v1, v8
	v_min_u32_e32 v1, 32, v1
	v_subrev_nc_u32_e32 v2, 28, v1
	v_sub_nc_u32_e32 v1, 29, v1
	v_lshlrev_b64 v[2:3], v2, v[8:9]
	v_and_b32_e32 v8, 7, v2
; %bb.512:                              ;   in Loop: Header=BB243_16 Depth=1
	s_or_b32 exec_lo, exec_lo, s26
	v_lshlrev_b32_e32 v2, 16, v0
	v_lshlrev_b32_e32 v3, 20, v8
	v_lshl_add_u32 v1, v1, 23, 0x3c000000
	v_and_b32_e32 v2, 0x80000000, v2
	v_or3_b32 v2, v3, v2, v1
	v_mov_b32_e32 v1, v9
	buffer_store_dword v1, off, s[0:3], s32 offset:740 ; 4-byte Folded Spill
	buffer_store_dword v2, off, s[0:3], s32 offset:744 ; 4-byte Folded Spill
.LBB243_513:                            ;   in Loop: Header=BB243_16 Depth=1
	s_or_b32 exec_lo, exec_lo, s25
.LBB243_514:                            ;   in Loop: Header=BB243_16 Depth=1
	s_or_b32 exec_lo, exec_lo, s24
.LBB243_515:                            ;   in Loop: Header=BB243_16 Depth=1
	s_or_b32 exec_lo, exec_lo, s23
	v_mov_b32_e32 v2, 0
	v_mov_b32_e32 v3, 0
	;; [unrolled: 1-line block ×3, first 2 shown]
	s_mov_b32 s23, exec_lo
	buffer_store_dword v2, off, s[0:3], s32 offset:748 ; 4-byte Folded Spill
	buffer_store_dword v3, off, s[0:3], s32 offset:752 ; 4-byte Folded Spill
	v_mov_b32_e32 v2, 0
	v_and_b32_sdwa v1, v0, v1 dst_sel:DWORD dst_unused:UNUSED_PAD src0_sel:WORD_1 src1_sel:DWORD
	v_mov_b32_e32 v3, 0
	buffer_store_dword v2, off, s[0:3], s32 offset:756 ; 4-byte Folded Spill
	buffer_store_dword v3, off, s[0:3], s32 offset:760 ; 4-byte Folded Spill
	v_cmpx_ne_u16_e32 0, v1
	s_cbranch_execz .LBB243_523
; %bb.516:                              ;   in Loop: Header=BB243_16 Depth=1
	v_cmp_ne_u16_e64 s5, 0x80, v1
	v_bfrev_b32_e32 v1, 1
	v_mov_b32_e32 v2, 0
	buffer_store_dword v1, off, s[0:3], s32 offset:756 ; 4-byte Folded Spill
	buffer_store_dword v2, off, s[0:3], s32 offset:760 ; 4-byte Folded Spill
	s_and_saveexec_b32 s24, s5
	s_cbranch_execz .LBB243_522
; %bb.517:                              ;   in Loop: Header=BB243_16 Depth=1
	v_mov_b32_e32 v3, 0x7f800001
	v_bfe_u32 v2, v0, 16, 7
	v_mov_b32_e32 v4, 0
	s_mov_b32 s25, exec_lo
	buffer_store_dword v3, off, s[0:3], s32 offset:756 ; 4-byte Folded Spill
	buffer_store_dword v4, off, s[0:3], s32 offset:760 ; 4-byte Folded Spill
	v_cmpx_ne_u32_e32 0x7f, v2
	s_cbranch_execz .LBB243_521
; %bb.518:                              ;   in Loop: Header=BB243_16 Depth=1
	v_mov_b32_e32 v1, 7
	s_mov_b32 s26, exec_lo
	v_and_b32_sdwa v8, v0, v1 dst_sel:DWORD dst_unused:UNUSED_PAD src0_sel:WORD_1 src1_sel:DWORD
	v_lshrrev_b32_e32 v1, 3, v2
	v_cmpx_gt_u32_e32 8, v2
; %bb.519:                              ;   in Loop: Header=BB243_16 Depth=1
	v_ffbh_u32_e32 v1, v8
	v_min_u32_e32 v1, 32, v1
	v_subrev_nc_u32_e32 v2, 28, v1
	v_sub_nc_u32_e32 v1, 29, v1
	v_lshlrev_b64 v[2:3], v2, v[8:9]
	v_and_b32_e32 v8, 7, v2
; %bb.520:                              ;   in Loop: Header=BB243_16 Depth=1
	s_or_b32 exec_lo, exec_lo, s26
	v_mov_b32_e32 v2, 24
	v_lshlrev_b32_e32 v3, 20, v8
	v_lshl_add_u32 v1, v1, 23, 0x3c000000
	v_lshlrev_b32_sdwa v2, v2, v0 dst_sel:DWORD dst_unused:UNUSED_PAD src0_sel:DWORD src1_sel:WORD_1
	v_and_b32_e32 v2, 0x80000000, v2
	v_or3_b32 v8, v3, v2, v1
	buffer_store_dword v8, off, s[0:3], s32 offset:756 ; 4-byte Folded Spill
	buffer_store_dword v9, off, s[0:3], s32 offset:760 ; 4-byte Folded Spill
.LBB243_521:                            ;   in Loop: Header=BB243_16 Depth=1
	s_or_b32 exec_lo, exec_lo, s25
.LBB243_522:                            ;   in Loop: Header=BB243_16 Depth=1
	s_or_b32 exec_lo, exec_lo, s24
.LBB243_523:                            ;   in Loop: Header=BB243_16 Depth=1
	s_or_b32 exec_lo, exec_lo, s23
	s_mov_b32 s23, exec_lo
	v_cmpx_lt_u32_e32 0xffffff, v0
	s_cbranch_execz .LBB243_531
; %bb.524:                              ;   in Loop: Header=BB243_16 Depth=1
	v_mov_b32_e32 v1, 0x80
	v_mov_b32_e32 v46, v9
	buffer_store_dword v46, off, s[0:3], s32 offset:748 ; 4-byte Folded Spill
	buffer_store_dword v47, off, s[0:3], s32 offset:752 ; 4-byte Folded Spill
	v_cmp_ne_u32_sdwa s5, v0, v1 src0_sel:BYTE_3 src1_sel:DWORD
	s_and_saveexec_b32 s24, s5
	s_cbranch_execz .LBB243_530
; %bb.525:                              ;   in Loop: Header=BB243_16 Depth=1
	s_clause 0x1
	buffer_load_dword v3, off, s[0:3], s32 offset:200
	buffer_load_dword v4, off, s[0:3], s32 offset:204
	v_bfe_u32 v2, v0, 24, 7
	s_waitcnt vmcnt(1)
	v_mov_b32_e32 v3, v9
	s_mov_b32 s25, exec_lo
	s_waitcnt vmcnt(0)
	v_mov_b32_e32 v1, v4
	buffer_store_dword v0, off, s[0:3], s32 offset:200 ; 4-byte Folded Spill
	buffer_store_dword v1, off, s[0:3], s32 offset:204 ; 4-byte Folded Spill
	;; [unrolled: 1-line block ×4, first 2 shown]
	v_cmpx_ne_u32_e32 0x7f, v2
	s_cbranch_execz .LBB243_529
; %bb.526:                              ;   in Loop: Header=BB243_16 Depth=1
	v_mov_b32_e32 v1, 7
	s_mov_b32 s26, exec_lo
	v_and_b32_sdwa v8, v0, v1 dst_sel:DWORD dst_unused:UNUSED_PAD src0_sel:BYTE_3 src1_sel:DWORD
	v_lshrrev_b32_e32 v1, 3, v2
	v_cmpx_gt_u32_e32 8, v2
; %bb.527:                              ;   in Loop: Header=BB243_16 Depth=1
	v_ffbh_u32_e32 v1, v8
	v_min_u32_e32 v1, 32, v1
	v_subrev_nc_u32_e32 v2, 28, v1
	v_sub_nc_u32_e32 v1, 29, v1
	v_lshlrev_b64 v[2:3], v2, v[8:9]
	v_and_b32_e32 v8, 7, v2
; %bb.528:                              ;   in Loop: Header=BB243_16 Depth=1
	s_or_b32 exec_lo, exec_lo, s26
	v_mov_b32_e32 v2, 24
	v_lshl_add_u32 v1, v1, 23, 0x3c000000
	v_lshlrev_b32_sdwa v0, v2, v0 dst_sel:DWORD dst_unused:UNUSED_PAD src0_sel:DWORD src1_sel:BYTE_3
	v_lshlrev_b32_e32 v2, 20, v8
	v_and_b32_e32 v0, 0x80000000, v0
	v_or3_b32 v1, v2, v0, v1
	v_mov_b32_e32 v0, v9
	buffer_store_dword v0, off, s[0:3], s32 offset:748 ; 4-byte Folded Spill
	buffer_store_dword v1, off, s[0:3], s32 offset:752 ; 4-byte Folded Spill
.LBB243_529:                            ;   in Loop: Header=BB243_16 Depth=1
	s_or_b32 exec_lo, exec_lo, s25
.LBB243_530:                            ;   in Loop: Header=BB243_16 Depth=1
	s_or_b32 exec_lo, exec_lo, s24
.LBB243_531:                            ;   in Loop: Header=BB243_16 Depth=1
	s_or_b32 exec_lo, exec_lo, s23
	v_add_co_u32 v0, s5, 0x800, v114
	v_add_co_ci_u32_e64 v1, null, 0, v115, s5
	v_mov_b32_e32 v3, 0
	v_mov_b32_e32 v4, 0
	flat_load_dword v2, v[0:1]
	buffer_store_dword v3, off, s[0:3], s32 offset:772 ; 4-byte Folded Spill
	buffer_store_dword v4, off, s[0:3], s32 offset:776 ; 4-byte Folded Spill
	v_mov_b32_e32 v3, 0
	v_mov_b32_e32 v4, 0
	buffer_store_dword v3, off, s[0:3], s32 offset:764 ; 4-byte Folded Spill
	buffer_store_dword v4, off, s[0:3], s32 offset:768 ; 4-byte Folded Spill
	s_waitcnt vmcnt(0) lgkmcnt(0)
	v_cmp_ne_u16_sdwa s5, v2, v9 src0_sel:BYTE_0 src1_sel:DWORD
	s_and_saveexec_b32 s23, s5
	s_cbranch_execz .LBB243_539
; %bb.532:                              ;   in Loop: Header=BB243_16 Depth=1
	v_bfrev_b32_e32 v3, 1
	v_mov_b32_e32 v4, 0
	buffer_store_dword v3, off, s[0:3], s32 offset:764 ; 4-byte Folded Spill
	buffer_store_dword v4, off, s[0:3], s32 offset:768 ; 4-byte Folded Spill
	v_mov_b32_e32 v3, 0x80
	v_cmp_ne_u16_sdwa s5, v2, v3 src0_sel:BYTE_0 src1_sel:DWORD
	s_and_saveexec_b32 s24, s5
	s_cbranch_execz .LBB243_538
; %bb.533:                              ;   in Loop: Header=BB243_16 Depth=1
	v_mov_b32_e32 v5, 0x7f800001
	v_and_b32_e32 v4, 0x7f, v2
	v_mov_b32_e32 v6, 0
	s_mov_b32 s25, exec_lo
	buffer_store_dword v5, off, s[0:3], s32 offset:764 ; 4-byte Folded Spill
	buffer_store_dword v6, off, s[0:3], s32 offset:768 ; 4-byte Folded Spill
	v_cmpx_ne_u32_e32 0x7f, v4
	s_cbranch_execz .LBB243_537
; %bb.534:                              ;   in Loop: Header=BB243_16 Depth=1
	v_and_b32_e32 v8, 7, v2
	v_lshrrev_b32_e32 v3, 3, v4
	s_mov_b32 s26, exec_lo
	v_cmpx_gt_u32_e32 8, v4
; %bb.535:                              ;   in Loop: Header=BB243_16 Depth=1
	v_ffbh_u32_e32 v3, v8
	v_min_u32_e32 v3, 32, v3
	v_subrev_nc_u32_e32 v4, 28, v3
	v_sub_nc_u32_e32 v3, 29, v3
	v_lshlrev_b64 v[4:5], v4, v[8:9]
	v_and_b32_e32 v8, 7, v4
; %bb.536:                              ;   in Loop: Header=BB243_16 Depth=1
	s_or_b32 exec_lo, exec_lo, s26
	v_lshlrev_b32_e32 v4, 24, v2
	v_lshlrev_b32_e32 v5, 20, v8
	v_lshl_add_u32 v3, v3, 23, 0x3c000000
	v_and_b32_e32 v4, 0x80000000, v4
	v_or3_b32 v8, v5, v4, v3
	buffer_store_dword v8, off, s[0:3], s32 offset:764 ; 4-byte Folded Spill
	buffer_store_dword v9, off, s[0:3], s32 offset:768 ; 4-byte Folded Spill
.LBB243_537:                            ;   in Loop: Header=BB243_16 Depth=1
	s_or_b32 exec_lo, exec_lo, s25
.LBB243_538:                            ;   in Loop: Header=BB243_16 Depth=1
	s_or_b32 exec_lo, exec_lo, s24
.LBB243_539:                            ;   in Loop: Header=BB243_16 Depth=1
	s_or_b32 exec_lo, exec_lo, s23
	v_cmp_ne_u16_sdwa s5, v2, v9 src0_sel:BYTE_1 src1_sel:DWORD
	s_and_saveexec_b32 s23, s5
	s_cbranch_execz .LBB243_547
; %bb.540:                              ;   in Loop: Header=BB243_16 Depth=1
	v_mov_b32_e32 v3, 0x80
	v_mov_b32_e32 v46, v9
	buffer_store_dword v46, off, s[0:3], s32 offset:772 ; 4-byte Folded Spill
	buffer_store_dword v47, off, s[0:3], s32 offset:776 ; 4-byte Folded Spill
	v_cmp_ne_u16_sdwa s5, v2, v3 src0_sel:BYTE_1 src1_sel:DWORD
	s_and_saveexec_b32 s24, s5
	s_cbranch_execz .LBB243_546
; %bb.541:                              ;   in Loop: Header=BB243_16 Depth=1
	s_clause 0x1
	buffer_load_dword v5, off, s[0:3], s32 offset:200
	buffer_load_dword v6, off, s[0:3], s32 offset:204
	v_mov_b32_e32 v3, 0xffff
	s_mov_b32 s25, exec_lo
	v_and_b32_sdwa v3, v3, v2 dst_sel:DWORD dst_unused:UNUSED_PAD src0_sel:DWORD src1_sel:BYTE_1
	v_and_b32_e32 v4, 0x7f, v3
	s_waitcnt vmcnt(0)
	v_mov_b32_e32 v7, v6
	v_mov_b32_e32 v6, v9
	;; [unrolled: 1-line block ×3, first 2 shown]
	buffer_store_dword v4, off, s[0:3], s32 offset:200 ; 4-byte Folded Spill
	buffer_store_dword v5, off, s[0:3], s32 offset:204 ; 4-byte Folded Spill
	;; [unrolled: 1-line block ×4, first 2 shown]
	v_cmpx_ne_u32_e32 0x7f, v4
	s_cbranch_execz .LBB243_545
; %bb.542:                              ;   in Loop: Header=BB243_16 Depth=1
	v_and_b32_e32 v8, 7, v3
	v_lshrrev_b32_e32 v3, 3, v4
	s_mov_b32 s26, exec_lo
	v_cmpx_gt_u32_e32 8, v4
; %bb.543:                              ;   in Loop: Header=BB243_16 Depth=1
	v_ffbh_u32_e32 v3, v8
	v_min_u32_e32 v3, 32, v3
	v_subrev_nc_u32_e32 v4, 28, v3
	v_sub_nc_u32_e32 v3, 29, v3
	v_lshlrev_b64 v[4:5], v4, v[8:9]
	v_and_b32_e32 v8, 7, v4
; %bb.544:                              ;   in Loop: Header=BB243_16 Depth=1
	s_or_b32 exec_lo, exec_lo, s26
	v_lshlrev_b32_e32 v4, 16, v2
	v_lshlrev_b32_e32 v5, 20, v8
	v_lshl_add_u32 v3, v3, 23, 0x3c000000
	v_and_b32_e32 v4, 0x80000000, v4
	v_or3_b32 v4, v5, v4, v3
	v_mov_b32_e32 v3, v9
	buffer_store_dword v3, off, s[0:3], s32 offset:772 ; 4-byte Folded Spill
	buffer_store_dword v4, off, s[0:3], s32 offset:776 ; 4-byte Folded Spill
.LBB243_545:                            ;   in Loop: Header=BB243_16 Depth=1
	s_or_b32 exec_lo, exec_lo, s25
.LBB243_546:                            ;   in Loop: Header=BB243_16 Depth=1
	s_or_b32 exec_lo, exec_lo, s24
.LBB243_547:                            ;   in Loop: Header=BB243_16 Depth=1
	s_or_b32 exec_lo, exec_lo, s23
	v_mov_b32_e32 v4, 0
	v_mov_b32_e32 v5, 0
	;; [unrolled: 1-line block ×3, first 2 shown]
	s_mov_b32 s23, exec_lo
	buffer_store_dword v4, off, s[0:3], s32 offset:780 ; 4-byte Folded Spill
	buffer_store_dword v5, off, s[0:3], s32 offset:784 ; 4-byte Folded Spill
	v_mov_b32_e32 v4, 0
	v_and_b32_sdwa v3, v2, v3 dst_sel:DWORD dst_unused:UNUSED_PAD src0_sel:WORD_1 src1_sel:DWORD
	v_mov_b32_e32 v5, 0
	buffer_store_dword v4, off, s[0:3], s32 offset:788 ; 4-byte Folded Spill
	buffer_store_dword v5, off, s[0:3], s32 offset:792 ; 4-byte Folded Spill
	v_cmpx_ne_u16_e32 0, v3
	s_cbranch_execz .LBB243_555
; %bb.548:                              ;   in Loop: Header=BB243_16 Depth=1
	v_cmp_ne_u16_e64 s5, 0x80, v3
	v_bfrev_b32_e32 v3, 1
	v_mov_b32_e32 v4, 0
	buffer_store_dword v3, off, s[0:3], s32 offset:788 ; 4-byte Folded Spill
	buffer_store_dword v4, off, s[0:3], s32 offset:792 ; 4-byte Folded Spill
	s_and_saveexec_b32 s24, s5
	s_cbranch_execz .LBB243_554
; %bb.549:                              ;   in Loop: Header=BB243_16 Depth=1
	v_mov_b32_e32 v5, 0x7f800001
	v_bfe_u32 v4, v2, 16, 7
	v_mov_b32_e32 v6, 0
	s_mov_b32 s25, exec_lo
	buffer_store_dword v5, off, s[0:3], s32 offset:788 ; 4-byte Folded Spill
	buffer_store_dword v6, off, s[0:3], s32 offset:792 ; 4-byte Folded Spill
	v_cmpx_ne_u32_e32 0x7f, v4
	s_cbranch_execz .LBB243_553
; %bb.550:                              ;   in Loop: Header=BB243_16 Depth=1
	v_mov_b32_e32 v3, 7
	s_mov_b32 s26, exec_lo
	v_and_b32_sdwa v8, v2, v3 dst_sel:DWORD dst_unused:UNUSED_PAD src0_sel:WORD_1 src1_sel:DWORD
	v_lshrrev_b32_e32 v3, 3, v4
	v_cmpx_gt_u32_e32 8, v4
; %bb.551:                              ;   in Loop: Header=BB243_16 Depth=1
	v_ffbh_u32_e32 v3, v8
	v_min_u32_e32 v3, 32, v3
	v_subrev_nc_u32_e32 v4, 28, v3
	v_sub_nc_u32_e32 v3, 29, v3
	v_lshlrev_b64 v[4:5], v4, v[8:9]
	v_and_b32_e32 v8, 7, v4
; %bb.552:                              ;   in Loop: Header=BB243_16 Depth=1
	s_or_b32 exec_lo, exec_lo, s26
	v_mov_b32_e32 v4, 24
	v_lshlrev_b32_e32 v5, 20, v8
	v_lshl_add_u32 v3, v3, 23, 0x3c000000
	v_lshlrev_b32_sdwa v4, v4, v2 dst_sel:DWORD dst_unused:UNUSED_PAD src0_sel:DWORD src1_sel:WORD_1
	v_and_b32_e32 v4, 0x80000000, v4
	v_or3_b32 v8, v5, v4, v3
	buffer_store_dword v8, off, s[0:3], s32 offset:788 ; 4-byte Folded Spill
	buffer_store_dword v9, off, s[0:3], s32 offset:792 ; 4-byte Folded Spill
.LBB243_553:                            ;   in Loop: Header=BB243_16 Depth=1
	s_or_b32 exec_lo, exec_lo, s25
.LBB243_554:                            ;   in Loop: Header=BB243_16 Depth=1
	s_or_b32 exec_lo, exec_lo, s24
.LBB243_555:                            ;   in Loop: Header=BB243_16 Depth=1
	s_or_b32 exec_lo, exec_lo, s23
	s_mov_b32 s23, exec_lo
	v_cmpx_lt_u32_e32 0xffffff, v2
	s_cbranch_execz .LBB243_563
; %bb.556:                              ;   in Loop: Header=BB243_16 Depth=1
	v_mov_b32_e32 v3, 0x80
	v_mov_b32_e32 v46, v9
	buffer_store_dword v46, off, s[0:3], s32 offset:780 ; 4-byte Folded Spill
	buffer_store_dword v47, off, s[0:3], s32 offset:784 ; 4-byte Folded Spill
	v_cmp_ne_u32_sdwa s5, v2, v3 src0_sel:BYTE_3 src1_sel:DWORD
	s_and_saveexec_b32 s24, s5
	s_cbranch_execz .LBB243_562
; %bb.557:                              ;   in Loop: Header=BB243_16 Depth=1
	s_clause 0x1
	buffer_load_dword v5, off, s[0:3], s32 offset:200
	buffer_load_dword v6, off, s[0:3], s32 offset:204
	v_bfe_u32 v4, v2, 24, 7
	s_waitcnt vmcnt(1)
	v_mov_b32_e32 v5, v9
	s_mov_b32 s25, exec_lo
	s_waitcnt vmcnt(0)
	v_mov_b32_e32 v3, v6
	buffer_store_dword v2, off, s[0:3], s32 offset:200 ; 4-byte Folded Spill
	buffer_store_dword v3, off, s[0:3], s32 offset:204 ; 4-byte Folded Spill
	;; [unrolled: 1-line block ×4, first 2 shown]
	v_cmpx_ne_u32_e32 0x7f, v4
	s_cbranch_execz .LBB243_561
; %bb.558:                              ;   in Loop: Header=BB243_16 Depth=1
	v_mov_b32_e32 v3, 7
	s_mov_b32 s26, exec_lo
	v_and_b32_sdwa v8, v2, v3 dst_sel:DWORD dst_unused:UNUSED_PAD src0_sel:BYTE_3 src1_sel:DWORD
	v_lshrrev_b32_e32 v3, 3, v4
	v_cmpx_gt_u32_e32 8, v4
; %bb.559:                              ;   in Loop: Header=BB243_16 Depth=1
	v_ffbh_u32_e32 v3, v8
	v_min_u32_e32 v3, 32, v3
	v_subrev_nc_u32_e32 v4, 28, v3
	v_sub_nc_u32_e32 v3, 29, v3
	v_lshlrev_b64 v[4:5], v4, v[8:9]
	v_and_b32_e32 v8, 7, v4
; %bb.560:                              ;   in Loop: Header=BB243_16 Depth=1
	s_or_b32 exec_lo, exec_lo, s26
	v_mov_b32_e32 v4, 24
	v_lshl_add_u32 v3, v3, 23, 0x3c000000
	v_lshlrev_b32_sdwa v2, v4, v2 dst_sel:DWORD dst_unused:UNUSED_PAD src0_sel:DWORD src1_sel:BYTE_3
	v_lshlrev_b32_e32 v4, 20, v8
	v_and_b32_e32 v2, 0x80000000, v2
	v_or3_b32 v3, v4, v2, v3
	v_mov_b32_e32 v2, v9
	buffer_store_dword v2, off, s[0:3], s32 offset:780 ; 4-byte Folded Spill
	buffer_store_dword v3, off, s[0:3], s32 offset:784 ; 4-byte Folded Spill
.LBB243_561:                            ;   in Loop: Header=BB243_16 Depth=1
	s_or_b32 exec_lo, exec_lo, s25
.LBB243_562:                            ;   in Loop: Header=BB243_16 Depth=1
	s_or_b32 exec_lo, exec_lo, s24
.LBB243_563:                            ;   in Loop: Header=BB243_16 Depth=1
	s_or_b32 exec_lo, exec_lo, s23
	flat_load_dword v2, v[0:1] offset:4
	v_mov_b32_e32 v3, 0
	v_mov_b32_e32 v4, 0
	buffer_store_dword v3, off, s[0:3], s32 offset:804 ; 4-byte Folded Spill
	buffer_store_dword v4, off, s[0:3], s32 offset:808 ; 4-byte Folded Spill
	v_mov_b32_e32 v3, 0
	v_mov_b32_e32 v4, 0
	buffer_store_dword v3, off, s[0:3], s32 offset:796 ; 4-byte Folded Spill
	buffer_store_dword v4, off, s[0:3], s32 offset:800 ; 4-byte Folded Spill
	s_waitcnt vmcnt(0) lgkmcnt(0)
	v_cmp_ne_u16_sdwa s5, v2, v9 src0_sel:BYTE_0 src1_sel:DWORD
	s_and_saveexec_b32 s23, s5
	s_cbranch_execz .LBB243_571
; %bb.564:                              ;   in Loop: Header=BB243_16 Depth=1
	v_bfrev_b32_e32 v3, 1
	v_mov_b32_e32 v4, 0
	buffer_store_dword v3, off, s[0:3], s32 offset:796 ; 4-byte Folded Spill
	buffer_store_dword v4, off, s[0:3], s32 offset:800 ; 4-byte Folded Spill
	v_mov_b32_e32 v3, 0x80
	v_cmp_ne_u16_sdwa s5, v2, v3 src0_sel:BYTE_0 src1_sel:DWORD
	s_and_saveexec_b32 s24, s5
	s_cbranch_execz .LBB243_570
; %bb.565:                              ;   in Loop: Header=BB243_16 Depth=1
	v_mov_b32_e32 v5, 0x7f800001
	v_and_b32_e32 v4, 0x7f, v2
	v_mov_b32_e32 v6, 0
	s_mov_b32 s25, exec_lo
	buffer_store_dword v5, off, s[0:3], s32 offset:796 ; 4-byte Folded Spill
	buffer_store_dword v6, off, s[0:3], s32 offset:800 ; 4-byte Folded Spill
	v_cmpx_ne_u32_e32 0x7f, v4
	s_cbranch_execz .LBB243_569
; %bb.566:                              ;   in Loop: Header=BB243_16 Depth=1
	v_and_b32_e32 v8, 7, v2
	v_lshrrev_b32_e32 v3, 3, v4
	s_mov_b32 s26, exec_lo
	v_cmpx_gt_u32_e32 8, v4
; %bb.567:                              ;   in Loop: Header=BB243_16 Depth=1
	v_ffbh_u32_e32 v3, v8
	v_min_u32_e32 v3, 32, v3
	v_subrev_nc_u32_e32 v4, 28, v3
	v_sub_nc_u32_e32 v3, 29, v3
	v_lshlrev_b64 v[4:5], v4, v[8:9]
	v_and_b32_e32 v8, 7, v4
; %bb.568:                              ;   in Loop: Header=BB243_16 Depth=1
	s_or_b32 exec_lo, exec_lo, s26
	v_lshlrev_b32_e32 v4, 24, v2
	v_lshlrev_b32_e32 v5, 20, v8
	v_lshl_add_u32 v3, v3, 23, 0x3c000000
	v_and_b32_e32 v4, 0x80000000, v4
	v_or3_b32 v8, v5, v4, v3
	buffer_store_dword v8, off, s[0:3], s32 offset:796 ; 4-byte Folded Spill
	buffer_store_dword v9, off, s[0:3], s32 offset:800 ; 4-byte Folded Spill
.LBB243_569:                            ;   in Loop: Header=BB243_16 Depth=1
	s_or_b32 exec_lo, exec_lo, s25
.LBB243_570:                            ;   in Loop: Header=BB243_16 Depth=1
	s_or_b32 exec_lo, exec_lo, s24
.LBB243_571:                            ;   in Loop: Header=BB243_16 Depth=1
	s_or_b32 exec_lo, exec_lo, s23
	v_cmp_ne_u16_sdwa s5, v2, v9 src0_sel:BYTE_1 src1_sel:DWORD
	s_and_saveexec_b32 s23, s5
	s_cbranch_execz .LBB243_579
; %bb.572:                              ;   in Loop: Header=BB243_16 Depth=1
	v_mov_b32_e32 v3, 0x80
	v_mov_b32_e32 v46, v9
	buffer_store_dword v46, off, s[0:3], s32 offset:804 ; 4-byte Folded Spill
	buffer_store_dword v47, off, s[0:3], s32 offset:808 ; 4-byte Folded Spill
	v_cmp_ne_u16_sdwa s5, v2, v3 src0_sel:BYTE_1 src1_sel:DWORD
	s_and_saveexec_b32 s24, s5
	s_cbranch_execz .LBB243_578
; %bb.573:                              ;   in Loop: Header=BB243_16 Depth=1
	s_clause 0x1
	buffer_load_dword v5, off, s[0:3], s32 offset:200
	buffer_load_dword v6, off, s[0:3], s32 offset:204
	v_mov_b32_e32 v3, 0xffff
	s_mov_b32 s25, exec_lo
	v_and_b32_sdwa v3, v3, v2 dst_sel:DWORD dst_unused:UNUSED_PAD src0_sel:DWORD src1_sel:BYTE_1
	v_and_b32_e32 v4, 0x7f, v3
	s_waitcnt vmcnt(0)
	v_mov_b32_e32 v7, v6
	v_mov_b32_e32 v6, v9
	;; [unrolled: 1-line block ×3, first 2 shown]
	buffer_store_dword v4, off, s[0:3], s32 offset:200 ; 4-byte Folded Spill
	buffer_store_dword v5, off, s[0:3], s32 offset:204 ; 4-byte Folded Spill
	buffer_store_dword v6, off, s[0:3], s32 offset:804 ; 4-byte Folded Spill
	buffer_store_dword v7, off, s[0:3], s32 offset:808 ; 4-byte Folded Spill
	v_cmpx_ne_u32_e32 0x7f, v4
	s_cbranch_execz .LBB243_577
; %bb.574:                              ;   in Loop: Header=BB243_16 Depth=1
	v_and_b32_e32 v8, 7, v3
	v_lshrrev_b32_e32 v3, 3, v4
	s_mov_b32 s26, exec_lo
	v_cmpx_gt_u32_e32 8, v4
; %bb.575:                              ;   in Loop: Header=BB243_16 Depth=1
	v_ffbh_u32_e32 v3, v8
	v_min_u32_e32 v3, 32, v3
	v_subrev_nc_u32_e32 v4, 28, v3
	v_sub_nc_u32_e32 v3, 29, v3
	v_lshlrev_b64 v[4:5], v4, v[8:9]
	v_and_b32_e32 v8, 7, v4
; %bb.576:                              ;   in Loop: Header=BB243_16 Depth=1
	s_or_b32 exec_lo, exec_lo, s26
	v_lshlrev_b32_e32 v4, 16, v2
	v_lshlrev_b32_e32 v5, 20, v8
	v_lshl_add_u32 v3, v3, 23, 0x3c000000
	v_and_b32_e32 v4, 0x80000000, v4
	v_or3_b32 v4, v5, v4, v3
	v_mov_b32_e32 v3, v9
	buffer_store_dword v3, off, s[0:3], s32 offset:804 ; 4-byte Folded Spill
	buffer_store_dword v4, off, s[0:3], s32 offset:808 ; 4-byte Folded Spill
.LBB243_577:                            ;   in Loop: Header=BB243_16 Depth=1
	s_or_b32 exec_lo, exec_lo, s25
.LBB243_578:                            ;   in Loop: Header=BB243_16 Depth=1
	s_or_b32 exec_lo, exec_lo, s24
.LBB243_579:                            ;   in Loop: Header=BB243_16 Depth=1
	s_or_b32 exec_lo, exec_lo, s23
	v_mov_b32_e32 v4, 0
	v_mov_b32_e32 v5, 0
	v_mov_b32_e32 v3, 0xff
	s_mov_b32 s23, exec_lo
	buffer_store_dword v4, off, s[0:3], s32 offset:812 ; 4-byte Folded Spill
	buffer_store_dword v5, off, s[0:3], s32 offset:816 ; 4-byte Folded Spill
	v_mov_b32_e32 v4, 0
	v_and_b32_sdwa v3, v2, v3 dst_sel:DWORD dst_unused:UNUSED_PAD src0_sel:WORD_1 src1_sel:DWORD
	v_mov_b32_e32 v5, 0
	buffer_store_dword v4, off, s[0:3], s32 offset:820 ; 4-byte Folded Spill
	buffer_store_dword v5, off, s[0:3], s32 offset:824 ; 4-byte Folded Spill
	v_cmpx_ne_u16_e32 0, v3
	s_cbranch_execz .LBB243_587
; %bb.580:                              ;   in Loop: Header=BB243_16 Depth=1
	v_cmp_ne_u16_e64 s5, 0x80, v3
	v_bfrev_b32_e32 v3, 1
	v_mov_b32_e32 v4, 0
	buffer_store_dword v3, off, s[0:3], s32 offset:820 ; 4-byte Folded Spill
	buffer_store_dword v4, off, s[0:3], s32 offset:824 ; 4-byte Folded Spill
	s_and_saveexec_b32 s24, s5
	s_cbranch_execz .LBB243_586
; %bb.581:                              ;   in Loop: Header=BB243_16 Depth=1
	v_mov_b32_e32 v5, 0x7f800001
	v_bfe_u32 v4, v2, 16, 7
	v_mov_b32_e32 v6, 0
	s_mov_b32 s25, exec_lo
	buffer_store_dword v5, off, s[0:3], s32 offset:820 ; 4-byte Folded Spill
	buffer_store_dword v6, off, s[0:3], s32 offset:824 ; 4-byte Folded Spill
	v_cmpx_ne_u32_e32 0x7f, v4
	s_cbranch_execz .LBB243_585
; %bb.582:                              ;   in Loop: Header=BB243_16 Depth=1
	v_mov_b32_e32 v3, 7
	s_mov_b32 s26, exec_lo
	v_and_b32_sdwa v8, v2, v3 dst_sel:DWORD dst_unused:UNUSED_PAD src0_sel:WORD_1 src1_sel:DWORD
	v_lshrrev_b32_e32 v3, 3, v4
	v_cmpx_gt_u32_e32 8, v4
; %bb.583:                              ;   in Loop: Header=BB243_16 Depth=1
	v_ffbh_u32_e32 v3, v8
	v_min_u32_e32 v3, 32, v3
	v_subrev_nc_u32_e32 v4, 28, v3
	v_sub_nc_u32_e32 v3, 29, v3
	v_lshlrev_b64 v[4:5], v4, v[8:9]
	v_and_b32_e32 v8, 7, v4
; %bb.584:                              ;   in Loop: Header=BB243_16 Depth=1
	s_or_b32 exec_lo, exec_lo, s26
	v_mov_b32_e32 v4, 24
	v_lshlrev_b32_e32 v5, 20, v8
	v_lshl_add_u32 v3, v3, 23, 0x3c000000
	v_lshlrev_b32_sdwa v4, v4, v2 dst_sel:DWORD dst_unused:UNUSED_PAD src0_sel:DWORD src1_sel:WORD_1
	v_and_b32_e32 v4, 0x80000000, v4
	v_or3_b32 v8, v5, v4, v3
	buffer_store_dword v8, off, s[0:3], s32 offset:820 ; 4-byte Folded Spill
	buffer_store_dword v9, off, s[0:3], s32 offset:824 ; 4-byte Folded Spill
.LBB243_585:                            ;   in Loop: Header=BB243_16 Depth=1
	s_or_b32 exec_lo, exec_lo, s25
.LBB243_586:                            ;   in Loop: Header=BB243_16 Depth=1
	s_or_b32 exec_lo, exec_lo, s24
.LBB243_587:                            ;   in Loop: Header=BB243_16 Depth=1
	s_or_b32 exec_lo, exec_lo, s23
	s_mov_b32 s23, exec_lo
	v_cmpx_lt_u32_e32 0xffffff, v2
	s_cbranch_execz .LBB243_595
; %bb.588:                              ;   in Loop: Header=BB243_16 Depth=1
	v_mov_b32_e32 v3, 0x80
	v_mov_b32_e32 v46, v9
	buffer_store_dword v46, off, s[0:3], s32 offset:812 ; 4-byte Folded Spill
	buffer_store_dword v47, off, s[0:3], s32 offset:816 ; 4-byte Folded Spill
	v_cmp_ne_u32_sdwa s5, v2, v3 src0_sel:BYTE_3 src1_sel:DWORD
	s_and_saveexec_b32 s24, s5
	s_cbranch_execz .LBB243_594
; %bb.589:                              ;   in Loop: Header=BB243_16 Depth=1
	s_clause 0x1
	buffer_load_dword v5, off, s[0:3], s32 offset:200
	buffer_load_dword v6, off, s[0:3], s32 offset:204
	v_bfe_u32 v4, v2, 24, 7
	s_waitcnt vmcnt(1)
	v_mov_b32_e32 v5, v9
	s_mov_b32 s25, exec_lo
	s_waitcnt vmcnt(0)
	v_mov_b32_e32 v3, v6
	buffer_store_dword v2, off, s[0:3], s32 offset:200 ; 4-byte Folded Spill
	buffer_store_dword v3, off, s[0:3], s32 offset:204 ; 4-byte Folded Spill
	;; [unrolled: 1-line block ×4, first 2 shown]
	v_cmpx_ne_u32_e32 0x7f, v4
	s_cbranch_execz .LBB243_593
; %bb.590:                              ;   in Loop: Header=BB243_16 Depth=1
	v_mov_b32_e32 v3, 7
	s_mov_b32 s26, exec_lo
	v_and_b32_sdwa v8, v2, v3 dst_sel:DWORD dst_unused:UNUSED_PAD src0_sel:BYTE_3 src1_sel:DWORD
	v_lshrrev_b32_e32 v3, 3, v4
	v_cmpx_gt_u32_e32 8, v4
; %bb.591:                              ;   in Loop: Header=BB243_16 Depth=1
	v_ffbh_u32_e32 v3, v8
	v_min_u32_e32 v3, 32, v3
	v_subrev_nc_u32_e32 v4, 28, v3
	v_sub_nc_u32_e32 v3, 29, v3
	v_lshlrev_b64 v[4:5], v4, v[8:9]
	v_and_b32_e32 v8, 7, v4
; %bb.592:                              ;   in Loop: Header=BB243_16 Depth=1
	s_or_b32 exec_lo, exec_lo, s26
	v_mov_b32_e32 v4, 24
	v_lshl_add_u32 v3, v3, 23, 0x3c000000
	v_lshlrev_b32_sdwa v2, v4, v2 dst_sel:DWORD dst_unused:UNUSED_PAD src0_sel:DWORD src1_sel:BYTE_3
	v_lshlrev_b32_e32 v4, 20, v8
	v_and_b32_e32 v2, 0x80000000, v2
	v_or3_b32 v3, v4, v2, v3
	v_mov_b32_e32 v2, v9
	buffer_store_dword v2, off, s[0:3], s32 offset:812 ; 4-byte Folded Spill
	buffer_store_dword v3, off, s[0:3], s32 offset:816 ; 4-byte Folded Spill
.LBB243_593:                            ;   in Loop: Header=BB243_16 Depth=1
	s_or_b32 exec_lo, exec_lo, s25
.LBB243_594:                            ;   in Loop: Header=BB243_16 Depth=1
	s_or_b32 exec_lo, exec_lo, s24
.LBB243_595:                            ;   in Loop: Header=BB243_16 Depth=1
	s_or_b32 exec_lo, exec_lo, s23
	flat_load_dword v2, v[0:1] offset:8
	v_mov_b32_e32 v3, 0
	v_mov_b32_e32 v4, 0
	buffer_store_dword v3, off, s[0:3], s32 offset:836 ; 4-byte Folded Spill
	buffer_store_dword v4, off, s[0:3], s32 offset:840 ; 4-byte Folded Spill
	v_mov_b32_e32 v3, 0
	v_mov_b32_e32 v4, 0
	buffer_store_dword v3, off, s[0:3], s32 offset:828 ; 4-byte Folded Spill
	buffer_store_dword v4, off, s[0:3], s32 offset:832 ; 4-byte Folded Spill
	s_waitcnt vmcnt(0) lgkmcnt(0)
	v_cmp_ne_u16_sdwa s5, v2, v9 src0_sel:BYTE_0 src1_sel:DWORD
	s_and_saveexec_b32 s23, s5
	s_cbranch_execz .LBB243_603
; %bb.596:                              ;   in Loop: Header=BB243_16 Depth=1
	v_bfrev_b32_e32 v3, 1
	v_mov_b32_e32 v4, 0
	buffer_store_dword v3, off, s[0:3], s32 offset:828 ; 4-byte Folded Spill
	buffer_store_dword v4, off, s[0:3], s32 offset:832 ; 4-byte Folded Spill
	v_mov_b32_e32 v3, 0x80
	v_cmp_ne_u16_sdwa s5, v2, v3 src0_sel:BYTE_0 src1_sel:DWORD
	s_and_saveexec_b32 s24, s5
	s_cbranch_execz .LBB243_602
; %bb.597:                              ;   in Loop: Header=BB243_16 Depth=1
	v_mov_b32_e32 v5, 0x7f800001
	v_and_b32_e32 v4, 0x7f, v2
	v_mov_b32_e32 v6, 0
	s_mov_b32 s25, exec_lo
	buffer_store_dword v5, off, s[0:3], s32 offset:828 ; 4-byte Folded Spill
	buffer_store_dword v6, off, s[0:3], s32 offset:832 ; 4-byte Folded Spill
	v_cmpx_ne_u32_e32 0x7f, v4
	s_cbranch_execz .LBB243_601
; %bb.598:                              ;   in Loop: Header=BB243_16 Depth=1
	v_and_b32_e32 v8, 7, v2
	v_lshrrev_b32_e32 v3, 3, v4
	s_mov_b32 s26, exec_lo
	v_cmpx_gt_u32_e32 8, v4
; %bb.599:                              ;   in Loop: Header=BB243_16 Depth=1
	v_ffbh_u32_e32 v3, v8
	v_min_u32_e32 v3, 32, v3
	v_subrev_nc_u32_e32 v4, 28, v3
	v_sub_nc_u32_e32 v3, 29, v3
	v_lshlrev_b64 v[4:5], v4, v[8:9]
	v_and_b32_e32 v8, 7, v4
; %bb.600:                              ;   in Loop: Header=BB243_16 Depth=1
	s_or_b32 exec_lo, exec_lo, s26
	v_lshlrev_b32_e32 v4, 24, v2
	v_lshlrev_b32_e32 v5, 20, v8
	v_lshl_add_u32 v3, v3, 23, 0x3c000000
	v_and_b32_e32 v4, 0x80000000, v4
	v_or3_b32 v8, v5, v4, v3
	buffer_store_dword v8, off, s[0:3], s32 offset:828 ; 4-byte Folded Spill
	buffer_store_dword v9, off, s[0:3], s32 offset:832 ; 4-byte Folded Spill
.LBB243_601:                            ;   in Loop: Header=BB243_16 Depth=1
	s_or_b32 exec_lo, exec_lo, s25
.LBB243_602:                            ;   in Loop: Header=BB243_16 Depth=1
	s_or_b32 exec_lo, exec_lo, s24
.LBB243_603:                            ;   in Loop: Header=BB243_16 Depth=1
	s_or_b32 exec_lo, exec_lo, s23
	v_cmp_ne_u16_sdwa s5, v2, v9 src0_sel:BYTE_1 src1_sel:DWORD
	s_and_saveexec_b32 s23, s5
	s_cbranch_execz .LBB243_611
; %bb.604:                              ;   in Loop: Header=BB243_16 Depth=1
	v_mov_b32_e32 v3, 0x80
	v_mov_b32_e32 v46, v9
	buffer_store_dword v46, off, s[0:3], s32 offset:836 ; 4-byte Folded Spill
	buffer_store_dword v47, off, s[0:3], s32 offset:840 ; 4-byte Folded Spill
	v_cmp_ne_u16_sdwa s5, v2, v3 src0_sel:BYTE_1 src1_sel:DWORD
	s_and_saveexec_b32 s24, s5
	s_cbranch_execz .LBB243_610
; %bb.605:                              ;   in Loop: Header=BB243_16 Depth=1
	s_clause 0x1
	buffer_load_dword v5, off, s[0:3], s32 offset:200
	buffer_load_dword v6, off, s[0:3], s32 offset:204
	v_mov_b32_e32 v3, 0xffff
	s_mov_b32 s25, exec_lo
	v_and_b32_sdwa v3, v3, v2 dst_sel:DWORD dst_unused:UNUSED_PAD src0_sel:DWORD src1_sel:BYTE_1
	v_and_b32_e32 v4, 0x7f, v3
	s_waitcnt vmcnt(0)
	v_mov_b32_e32 v7, v6
	v_mov_b32_e32 v6, v9
	;; [unrolled: 1-line block ×3, first 2 shown]
	buffer_store_dword v4, off, s[0:3], s32 offset:200 ; 4-byte Folded Spill
	buffer_store_dword v5, off, s[0:3], s32 offset:204 ; 4-byte Folded Spill
	buffer_store_dword v6, off, s[0:3], s32 offset:836 ; 4-byte Folded Spill
	buffer_store_dword v7, off, s[0:3], s32 offset:840 ; 4-byte Folded Spill
	v_cmpx_ne_u32_e32 0x7f, v4
	s_cbranch_execz .LBB243_609
; %bb.606:                              ;   in Loop: Header=BB243_16 Depth=1
	v_and_b32_e32 v8, 7, v3
	v_lshrrev_b32_e32 v3, 3, v4
	s_mov_b32 s26, exec_lo
	v_cmpx_gt_u32_e32 8, v4
; %bb.607:                              ;   in Loop: Header=BB243_16 Depth=1
	v_ffbh_u32_e32 v3, v8
	v_min_u32_e32 v3, 32, v3
	v_subrev_nc_u32_e32 v4, 28, v3
	v_sub_nc_u32_e32 v3, 29, v3
	v_lshlrev_b64 v[4:5], v4, v[8:9]
	v_and_b32_e32 v8, 7, v4
; %bb.608:                              ;   in Loop: Header=BB243_16 Depth=1
	s_or_b32 exec_lo, exec_lo, s26
	v_lshlrev_b32_e32 v4, 16, v2
	v_lshlrev_b32_e32 v5, 20, v8
	v_lshl_add_u32 v3, v3, 23, 0x3c000000
	v_and_b32_e32 v4, 0x80000000, v4
	v_or3_b32 v4, v5, v4, v3
	v_mov_b32_e32 v3, v9
	buffer_store_dword v3, off, s[0:3], s32 offset:836 ; 4-byte Folded Spill
	buffer_store_dword v4, off, s[0:3], s32 offset:840 ; 4-byte Folded Spill
.LBB243_609:                            ;   in Loop: Header=BB243_16 Depth=1
	s_or_b32 exec_lo, exec_lo, s25
.LBB243_610:                            ;   in Loop: Header=BB243_16 Depth=1
	s_or_b32 exec_lo, exec_lo, s24
.LBB243_611:                            ;   in Loop: Header=BB243_16 Depth=1
	s_or_b32 exec_lo, exec_lo, s23
	v_mov_b32_e32 v4, 0
	v_mov_b32_e32 v5, 0
	;; [unrolled: 1-line block ×3, first 2 shown]
	s_mov_b32 s23, exec_lo
	buffer_store_dword v4, off, s[0:3], s32 offset:844 ; 4-byte Folded Spill
	buffer_store_dword v5, off, s[0:3], s32 offset:848 ; 4-byte Folded Spill
	v_mov_b32_e32 v4, 0
	v_and_b32_sdwa v3, v2, v3 dst_sel:DWORD dst_unused:UNUSED_PAD src0_sel:WORD_1 src1_sel:DWORD
	v_mov_b32_e32 v5, 0
	buffer_store_dword v4, off, s[0:3], s32 offset:852 ; 4-byte Folded Spill
	buffer_store_dword v5, off, s[0:3], s32 offset:856 ; 4-byte Folded Spill
	v_cmpx_ne_u16_e32 0, v3
	s_cbranch_execz .LBB243_619
; %bb.612:                              ;   in Loop: Header=BB243_16 Depth=1
	v_cmp_ne_u16_e64 s5, 0x80, v3
	v_bfrev_b32_e32 v3, 1
	v_mov_b32_e32 v4, 0
	buffer_store_dword v3, off, s[0:3], s32 offset:852 ; 4-byte Folded Spill
	buffer_store_dword v4, off, s[0:3], s32 offset:856 ; 4-byte Folded Spill
	s_and_saveexec_b32 s24, s5
	s_cbranch_execz .LBB243_618
; %bb.613:                              ;   in Loop: Header=BB243_16 Depth=1
	v_mov_b32_e32 v5, 0x7f800001
	v_bfe_u32 v4, v2, 16, 7
	v_mov_b32_e32 v6, 0
	s_mov_b32 s25, exec_lo
	buffer_store_dword v5, off, s[0:3], s32 offset:852 ; 4-byte Folded Spill
	buffer_store_dword v6, off, s[0:3], s32 offset:856 ; 4-byte Folded Spill
	v_cmpx_ne_u32_e32 0x7f, v4
	s_cbranch_execz .LBB243_617
; %bb.614:                              ;   in Loop: Header=BB243_16 Depth=1
	v_mov_b32_e32 v3, 7
	s_mov_b32 s26, exec_lo
	v_and_b32_sdwa v8, v2, v3 dst_sel:DWORD dst_unused:UNUSED_PAD src0_sel:WORD_1 src1_sel:DWORD
	v_lshrrev_b32_e32 v3, 3, v4
	v_cmpx_gt_u32_e32 8, v4
; %bb.615:                              ;   in Loop: Header=BB243_16 Depth=1
	v_ffbh_u32_e32 v3, v8
	v_min_u32_e32 v3, 32, v3
	v_subrev_nc_u32_e32 v4, 28, v3
	v_sub_nc_u32_e32 v3, 29, v3
	v_lshlrev_b64 v[4:5], v4, v[8:9]
	v_and_b32_e32 v8, 7, v4
; %bb.616:                              ;   in Loop: Header=BB243_16 Depth=1
	s_or_b32 exec_lo, exec_lo, s26
	v_mov_b32_e32 v4, 24
	v_lshlrev_b32_e32 v5, 20, v8
	v_lshl_add_u32 v3, v3, 23, 0x3c000000
	v_lshlrev_b32_sdwa v4, v4, v2 dst_sel:DWORD dst_unused:UNUSED_PAD src0_sel:DWORD src1_sel:WORD_1
	v_and_b32_e32 v4, 0x80000000, v4
	v_or3_b32 v8, v5, v4, v3
	buffer_store_dword v8, off, s[0:3], s32 offset:852 ; 4-byte Folded Spill
	buffer_store_dword v9, off, s[0:3], s32 offset:856 ; 4-byte Folded Spill
.LBB243_617:                            ;   in Loop: Header=BB243_16 Depth=1
	s_or_b32 exec_lo, exec_lo, s25
.LBB243_618:                            ;   in Loop: Header=BB243_16 Depth=1
	s_or_b32 exec_lo, exec_lo, s24
.LBB243_619:                            ;   in Loop: Header=BB243_16 Depth=1
	s_or_b32 exec_lo, exec_lo, s23
	s_mov_b32 s23, exec_lo
	v_cmpx_lt_u32_e32 0xffffff, v2
	s_cbranch_execz .LBB243_627
; %bb.620:                              ;   in Loop: Header=BB243_16 Depth=1
	v_mov_b32_e32 v3, 0x80
	v_mov_b32_e32 v46, v9
	buffer_store_dword v46, off, s[0:3], s32 offset:844 ; 4-byte Folded Spill
	buffer_store_dword v47, off, s[0:3], s32 offset:848 ; 4-byte Folded Spill
	v_cmp_ne_u32_sdwa s5, v2, v3 src0_sel:BYTE_3 src1_sel:DWORD
	s_and_saveexec_b32 s24, s5
	s_cbranch_execz .LBB243_626
; %bb.621:                              ;   in Loop: Header=BB243_16 Depth=1
	s_clause 0x1
	buffer_load_dword v5, off, s[0:3], s32 offset:200
	buffer_load_dword v6, off, s[0:3], s32 offset:204
	v_bfe_u32 v4, v2, 24, 7
	s_waitcnt vmcnt(1)
	v_mov_b32_e32 v5, v9
	s_mov_b32 s25, exec_lo
	s_waitcnt vmcnt(0)
	v_mov_b32_e32 v3, v6
	buffer_store_dword v2, off, s[0:3], s32 offset:200 ; 4-byte Folded Spill
	buffer_store_dword v3, off, s[0:3], s32 offset:204 ; 4-byte Folded Spill
	buffer_store_dword v5, off, s[0:3], s32 offset:844 ; 4-byte Folded Spill
	buffer_store_dword v6, off, s[0:3], s32 offset:848 ; 4-byte Folded Spill
	v_cmpx_ne_u32_e32 0x7f, v4
	s_cbranch_execz .LBB243_625
; %bb.622:                              ;   in Loop: Header=BB243_16 Depth=1
	v_mov_b32_e32 v3, 7
	s_mov_b32 s26, exec_lo
	v_and_b32_sdwa v8, v2, v3 dst_sel:DWORD dst_unused:UNUSED_PAD src0_sel:BYTE_3 src1_sel:DWORD
	v_lshrrev_b32_e32 v3, 3, v4
	v_cmpx_gt_u32_e32 8, v4
; %bb.623:                              ;   in Loop: Header=BB243_16 Depth=1
	v_ffbh_u32_e32 v3, v8
	v_min_u32_e32 v3, 32, v3
	v_subrev_nc_u32_e32 v4, 28, v3
	v_sub_nc_u32_e32 v3, 29, v3
	v_lshlrev_b64 v[4:5], v4, v[8:9]
	v_and_b32_e32 v8, 7, v4
; %bb.624:                              ;   in Loop: Header=BB243_16 Depth=1
	s_or_b32 exec_lo, exec_lo, s26
	v_mov_b32_e32 v4, 24
	v_lshl_add_u32 v3, v3, 23, 0x3c000000
	v_lshlrev_b32_sdwa v2, v4, v2 dst_sel:DWORD dst_unused:UNUSED_PAD src0_sel:DWORD src1_sel:BYTE_3
	v_lshlrev_b32_e32 v4, 20, v8
	v_and_b32_e32 v2, 0x80000000, v2
	v_or3_b32 v3, v4, v2, v3
	v_mov_b32_e32 v2, v9
	buffer_store_dword v2, off, s[0:3], s32 offset:844 ; 4-byte Folded Spill
	buffer_store_dword v3, off, s[0:3], s32 offset:848 ; 4-byte Folded Spill
.LBB243_625:                            ;   in Loop: Header=BB243_16 Depth=1
	s_or_b32 exec_lo, exec_lo, s25
.LBB243_626:                            ;   in Loop: Header=BB243_16 Depth=1
	s_or_b32 exec_lo, exec_lo, s24
.LBB243_627:                            ;   in Loop: Header=BB243_16 Depth=1
	s_or_b32 exec_lo, exec_lo, s23
	flat_load_dword v2, v[0:1] offset:12
	v_mov_b32_e32 v3, 0
	v_mov_b32_e32 v4, 0
	buffer_store_dword v3, off, s[0:3], s32 offset:868 ; 4-byte Folded Spill
	buffer_store_dword v4, off, s[0:3], s32 offset:872 ; 4-byte Folded Spill
	v_mov_b32_e32 v3, 0
	v_mov_b32_e32 v4, 0
	buffer_store_dword v3, off, s[0:3], s32 offset:860 ; 4-byte Folded Spill
	buffer_store_dword v4, off, s[0:3], s32 offset:864 ; 4-byte Folded Spill
	s_waitcnt vmcnt(0) lgkmcnt(0)
	v_cmp_ne_u16_sdwa s5, v2, v9 src0_sel:BYTE_0 src1_sel:DWORD
	s_and_saveexec_b32 s23, s5
	s_cbranch_execz .LBB243_635
; %bb.628:                              ;   in Loop: Header=BB243_16 Depth=1
	v_bfrev_b32_e32 v3, 1
	v_mov_b32_e32 v4, 0
	buffer_store_dword v3, off, s[0:3], s32 offset:860 ; 4-byte Folded Spill
	buffer_store_dword v4, off, s[0:3], s32 offset:864 ; 4-byte Folded Spill
	v_mov_b32_e32 v3, 0x80
	v_cmp_ne_u16_sdwa s5, v2, v3 src0_sel:BYTE_0 src1_sel:DWORD
	s_and_saveexec_b32 s24, s5
	s_cbranch_execz .LBB243_634
; %bb.629:                              ;   in Loop: Header=BB243_16 Depth=1
	v_mov_b32_e32 v5, 0x7f800001
	v_and_b32_e32 v4, 0x7f, v2
	v_mov_b32_e32 v6, 0
	s_mov_b32 s25, exec_lo
	buffer_store_dword v5, off, s[0:3], s32 offset:860 ; 4-byte Folded Spill
	buffer_store_dword v6, off, s[0:3], s32 offset:864 ; 4-byte Folded Spill
	v_cmpx_ne_u32_e32 0x7f, v4
	s_cbranch_execz .LBB243_633
; %bb.630:                              ;   in Loop: Header=BB243_16 Depth=1
	v_and_b32_e32 v8, 7, v2
	v_lshrrev_b32_e32 v3, 3, v4
	s_mov_b32 s26, exec_lo
	v_cmpx_gt_u32_e32 8, v4
; %bb.631:                              ;   in Loop: Header=BB243_16 Depth=1
	v_ffbh_u32_e32 v3, v8
	v_min_u32_e32 v3, 32, v3
	v_subrev_nc_u32_e32 v4, 28, v3
	v_sub_nc_u32_e32 v3, 29, v3
	v_lshlrev_b64 v[4:5], v4, v[8:9]
	v_and_b32_e32 v8, 7, v4
; %bb.632:                              ;   in Loop: Header=BB243_16 Depth=1
	s_or_b32 exec_lo, exec_lo, s26
	v_lshlrev_b32_e32 v4, 24, v2
	v_lshlrev_b32_e32 v5, 20, v8
	v_lshl_add_u32 v3, v3, 23, 0x3c000000
	v_and_b32_e32 v4, 0x80000000, v4
	v_or3_b32 v8, v5, v4, v3
	buffer_store_dword v8, off, s[0:3], s32 offset:860 ; 4-byte Folded Spill
	buffer_store_dword v9, off, s[0:3], s32 offset:864 ; 4-byte Folded Spill
.LBB243_633:                            ;   in Loop: Header=BB243_16 Depth=1
	s_or_b32 exec_lo, exec_lo, s25
.LBB243_634:                            ;   in Loop: Header=BB243_16 Depth=1
	s_or_b32 exec_lo, exec_lo, s24
.LBB243_635:                            ;   in Loop: Header=BB243_16 Depth=1
	s_or_b32 exec_lo, exec_lo, s23
	v_cmp_ne_u16_sdwa s5, v2, v9 src0_sel:BYTE_1 src1_sel:DWORD
	s_and_saveexec_b32 s23, s5
	s_cbranch_execz .LBB243_643
; %bb.636:                              ;   in Loop: Header=BB243_16 Depth=1
	v_mov_b32_e32 v3, 0x80
	v_mov_b32_e32 v46, v9
	buffer_store_dword v46, off, s[0:3], s32 offset:868 ; 4-byte Folded Spill
	buffer_store_dword v47, off, s[0:3], s32 offset:872 ; 4-byte Folded Spill
	v_cmp_ne_u16_sdwa s5, v2, v3 src0_sel:BYTE_1 src1_sel:DWORD
	s_and_saveexec_b32 s24, s5
	s_cbranch_execz .LBB243_642
; %bb.637:                              ;   in Loop: Header=BB243_16 Depth=1
	s_clause 0x1
	buffer_load_dword v5, off, s[0:3], s32 offset:200
	buffer_load_dword v6, off, s[0:3], s32 offset:204
	v_mov_b32_e32 v3, 0xffff
	s_mov_b32 s25, exec_lo
	v_and_b32_sdwa v3, v3, v2 dst_sel:DWORD dst_unused:UNUSED_PAD src0_sel:DWORD src1_sel:BYTE_1
	v_and_b32_e32 v4, 0x7f, v3
	s_waitcnt vmcnt(0)
	v_mov_b32_e32 v7, v6
	v_mov_b32_e32 v6, v9
	;; [unrolled: 1-line block ×3, first 2 shown]
	buffer_store_dword v4, off, s[0:3], s32 offset:200 ; 4-byte Folded Spill
	buffer_store_dword v5, off, s[0:3], s32 offset:204 ; 4-byte Folded Spill
	;; [unrolled: 1-line block ×4, first 2 shown]
	v_cmpx_ne_u32_e32 0x7f, v4
	s_cbranch_execz .LBB243_641
; %bb.638:                              ;   in Loop: Header=BB243_16 Depth=1
	v_and_b32_e32 v8, 7, v3
	v_lshrrev_b32_e32 v3, 3, v4
	s_mov_b32 s26, exec_lo
	v_cmpx_gt_u32_e32 8, v4
; %bb.639:                              ;   in Loop: Header=BB243_16 Depth=1
	v_ffbh_u32_e32 v3, v8
	v_min_u32_e32 v3, 32, v3
	v_subrev_nc_u32_e32 v4, 28, v3
	v_sub_nc_u32_e32 v3, 29, v3
	v_lshlrev_b64 v[4:5], v4, v[8:9]
	v_and_b32_e32 v8, 7, v4
; %bb.640:                              ;   in Loop: Header=BB243_16 Depth=1
	s_or_b32 exec_lo, exec_lo, s26
	v_lshlrev_b32_e32 v4, 16, v2
	v_lshlrev_b32_e32 v5, 20, v8
	v_lshl_add_u32 v3, v3, 23, 0x3c000000
	v_and_b32_e32 v4, 0x80000000, v4
	v_or3_b32 v4, v5, v4, v3
	v_mov_b32_e32 v3, v9
	buffer_store_dword v3, off, s[0:3], s32 offset:868 ; 4-byte Folded Spill
	buffer_store_dword v4, off, s[0:3], s32 offset:872 ; 4-byte Folded Spill
.LBB243_641:                            ;   in Loop: Header=BB243_16 Depth=1
	s_or_b32 exec_lo, exec_lo, s25
.LBB243_642:                            ;   in Loop: Header=BB243_16 Depth=1
	s_or_b32 exec_lo, exec_lo, s24
.LBB243_643:                            ;   in Loop: Header=BB243_16 Depth=1
	s_or_b32 exec_lo, exec_lo, s23
	v_mov_b32_e32 v4, 0
	v_mov_b32_e32 v5, 0
	;; [unrolled: 1-line block ×3, first 2 shown]
	s_mov_b32 s23, exec_lo
	buffer_store_dword v4, off, s[0:3], s32 offset:876 ; 4-byte Folded Spill
	buffer_store_dword v5, off, s[0:3], s32 offset:880 ; 4-byte Folded Spill
	v_mov_b32_e32 v4, 0
	v_and_b32_sdwa v3, v2, v3 dst_sel:DWORD dst_unused:UNUSED_PAD src0_sel:WORD_1 src1_sel:DWORD
	v_mov_b32_e32 v5, 0
	buffer_store_dword v4, off, s[0:3], s32 offset:884 ; 4-byte Folded Spill
	buffer_store_dword v5, off, s[0:3], s32 offset:888 ; 4-byte Folded Spill
	v_cmpx_ne_u16_e32 0, v3
	s_cbranch_execz .LBB243_651
; %bb.644:                              ;   in Loop: Header=BB243_16 Depth=1
	v_cmp_ne_u16_e64 s5, 0x80, v3
	v_bfrev_b32_e32 v3, 1
	v_mov_b32_e32 v4, 0
	buffer_store_dword v3, off, s[0:3], s32 offset:884 ; 4-byte Folded Spill
	buffer_store_dword v4, off, s[0:3], s32 offset:888 ; 4-byte Folded Spill
	s_and_saveexec_b32 s24, s5
	s_cbranch_execz .LBB243_650
; %bb.645:                              ;   in Loop: Header=BB243_16 Depth=1
	v_mov_b32_e32 v5, 0x7f800001
	v_bfe_u32 v4, v2, 16, 7
	v_mov_b32_e32 v6, 0
	s_mov_b32 s25, exec_lo
	buffer_store_dword v5, off, s[0:3], s32 offset:884 ; 4-byte Folded Spill
	buffer_store_dword v6, off, s[0:3], s32 offset:888 ; 4-byte Folded Spill
	v_cmpx_ne_u32_e32 0x7f, v4
	s_cbranch_execz .LBB243_649
; %bb.646:                              ;   in Loop: Header=BB243_16 Depth=1
	v_mov_b32_e32 v3, 7
	s_mov_b32 s26, exec_lo
	v_and_b32_sdwa v8, v2, v3 dst_sel:DWORD dst_unused:UNUSED_PAD src0_sel:WORD_1 src1_sel:DWORD
	v_lshrrev_b32_e32 v3, 3, v4
	v_cmpx_gt_u32_e32 8, v4
; %bb.647:                              ;   in Loop: Header=BB243_16 Depth=1
	v_ffbh_u32_e32 v3, v8
	v_min_u32_e32 v3, 32, v3
	v_subrev_nc_u32_e32 v4, 28, v3
	v_sub_nc_u32_e32 v3, 29, v3
	v_lshlrev_b64 v[4:5], v4, v[8:9]
	v_and_b32_e32 v8, 7, v4
; %bb.648:                              ;   in Loop: Header=BB243_16 Depth=1
	s_or_b32 exec_lo, exec_lo, s26
	v_mov_b32_e32 v4, 24
	v_lshlrev_b32_e32 v5, 20, v8
	v_lshl_add_u32 v3, v3, 23, 0x3c000000
	v_lshlrev_b32_sdwa v4, v4, v2 dst_sel:DWORD dst_unused:UNUSED_PAD src0_sel:DWORD src1_sel:WORD_1
	v_and_b32_e32 v4, 0x80000000, v4
	v_or3_b32 v8, v5, v4, v3
	buffer_store_dword v8, off, s[0:3], s32 offset:884 ; 4-byte Folded Spill
	buffer_store_dword v9, off, s[0:3], s32 offset:888 ; 4-byte Folded Spill
.LBB243_649:                            ;   in Loop: Header=BB243_16 Depth=1
	s_or_b32 exec_lo, exec_lo, s25
.LBB243_650:                            ;   in Loop: Header=BB243_16 Depth=1
	s_or_b32 exec_lo, exec_lo, s24
.LBB243_651:                            ;   in Loop: Header=BB243_16 Depth=1
	s_or_b32 exec_lo, exec_lo, s23
	s_mov_b32 s23, exec_lo
	v_cmpx_lt_u32_e32 0xffffff, v2
	s_cbranch_execz .LBB243_659
; %bb.652:                              ;   in Loop: Header=BB243_16 Depth=1
	v_mov_b32_e32 v3, 0x80
	v_mov_b32_e32 v46, v9
	buffer_store_dword v46, off, s[0:3], s32 offset:876 ; 4-byte Folded Spill
	buffer_store_dword v47, off, s[0:3], s32 offset:880 ; 4-byte Folded Spill
	v_cmp_ne_u32_sdwa s5, v2, v3 src0_sel:BYTE_3 src1_sel:DWORD
	s_and_saveexec_b32 s24, s5
	s_cbranch_execz .LBB243_658
; %bb.653:                              ;   in Loop: Header=BB243_16 Depth=1
	s_clause 0x1
	buffer_load_dword v5, off, s[0:3], s32 offset:200
	buffer_load_dword v6, off, s[0:3], s32 offset:204
	v_bfe_u32 v4, v2, 24, 7
	s_waitcnt vmcnt(1)
	v_mov_b32_e32 v5, v9
	s_mov_b32 s25, exec_lo
	s_waitcnt vmcnt(0)
	v_mov_b32_e32 v3, v6
	buffer_store_dword v2, off, s[0:3], s32 offset:200 ; 4-byte Folded Spill
	buffer_store_dword v3, off, s[0:3], s32 offset:204 ; 4-byte Folded Spill
	;; [unrolled: 1-line block ×4, first 2 shown]
	v_cmpx_ne_u32_e32 0x7f, v4
	s_cbranch_execz .LBB243_657
; %bb.654:                              ;   in Loop: Header=BB243_16 Depth=1
	v_mov_b32_e32 v3, 7
	s_mov_b32 s26, exec_lo
	v_and_b32_sdwa v8, v2, v3 dst_sel:DWORD dst_unused:UNUSED_PAD src0_sel:BYTE_3 src1_sel:DWORD
	v_lshrrev_b32_e32 v3, 3, v4
	v_cmpx_gt_u32_e32 8, v4
; %bb.655:                              ;   in Loop: Header=BB243_16 Depth=1
	v_ffbh_u32_e32 v3, v8
	v_min_u32_e32 v3, 32, v3
	v_subrev_nc_u32_e32 v4, 28, v3
	v_sub_nc_u32_e32 v3, 29, v3
	v_lshlrev_b64 v[4:5], v4, v[8:9]
	v_and_b32_e32 v8, 7, v4
; %bb.656:                              ;   in Loop: Header=BB243_16 Depth=1
	s_or_b32 exec_lo, exec_lo, s26
	v_mov_b32_e32 v4, 24
	v_lshl_add_u32 v3, v3, 23, 0x3c000000
	v_lshlrev_b32_sdwa v2, v4, v2 dst_sel:DWORD dst_unused:UNUSED_PAD src0_sel:DWORD src1_sel:BYTE_3
	v_lshlrev_b32_e32 v4, 20, v8
	v_and_b32_e32 v2, 0x80000000, v2
	v_or3_b32 v3, v4, v2, v3
	v_mov_b32_e32 v2, v9
	buffer_store_dword v2, off, s[0:3], s32 offset:876 ; 4-byte Folded Spill
	buffer_store_dword v3, off, s[0:3], s32 offset:880 ; 4-byte Folded Spill
.LBB243_657:                            ;   in Loop: Header=BB243_16 Depth=1
	s_or_b32 exec_lo, exec_lo, s25
.LBB243_658:                            ;   in Loop: Header=BB243_16 Depth=1
	s_or_b32 exec_lo, exec_lo, s24
.LBB243_659:                            ;   in Loop: Header=BB243_16 Depth=1
	s_or_b32 exec_lo, exec_lo, s23
	flat_load_dword v2, v[0:1] offset:512
	v_mov_b32_e32 v3, 0
	v_mov_b32_e32 v4, 0
	buffer_store_dword v3, off, s[0:3], s32 offset:900 ; 4-byte Folded Spill
	buffer_store_dword v4, off, s[0:3], s32 offset:904 ; 4-byte Folded Spill
	v_mov_b32_e32 v3, 0
	v_mov_b32_e32 v4, 0
	buffer_store_dword v3, off, s[0:3], s32 offset:892 ; 4-byte Folded Spill
	buffer_store_dword v4, off, s[0:3], s32 offset:896 ; 4-byte Folded Spill
	s_waitcnt vmcnt(0) lgkmcnt(0)
	v_cmp_ne_u16_sdwa s5, v2, v9 src0_sel:BYTE_0 src1_sel:DWORD
	s_and_saveexec_b32 s23, s5
	s_cbranch_execz .LBB243_667
; %bb.660:                              ;   in Loop: Header=BB243_16 Depth=1
	v_bfrev_b32_e32 v3, 1
	v_mov_b32_e32 v4, 0
	buffer_store_dword v3, off, s[0:3], s32 offset:892 ; 4-byte Folded Spill
	buffer_store_dword v4, off, s[0:3], s32 offset:896 ; 4-byte Folded Spill
	v_mov_b32_e32 v3, 0x80
	v_cmp_ne_u16_sdwa s5, v2, v3 src0_sel:BYTE_0 src1_sel:DWORD
	s_and_saveexec_b32 s24, s5
	s_cbranch_execz .LBB243_666
; %bb.661:                              ;   in Loop: Header=BB243_16 Depth=1
	v_mov_b32_e32 v5, 0x7f800001
	v_and_b32_e32 v4, 0x7f, v2
	v_mov_b32_e32 v6, 0
	s_mov_b32 s25, exec_lo
	buffer_store_dword v5, off, s[0:3], s32 offset:892 ; 4-byte Folded Spill
	buffer_store_dword v6, off, s[0:3], s32 offset:896 ; 4-byte Folded Spill
	v_cmpx_ne_u32_e32 0x7f, v4
	s_cbranch_execz .LBB243_665
; %bb.662:                              ;   in Loop: Header=BB243_16 Depth=1
	v_and_b32_e32 v8, 7, v2
	v_lshrrev_b32_e32 v3, 3, v4
	s_mov_b32 s26, exec_lo
	v_cmpx_gt_u32_e32 8, v4
; %bb.663:                              ;   in Loop: Header=BB243_16 Depth=1
	v_ffbh_u32_e32 v3, v8
	v_min_u32_e32 v3, 32, v3
	v_subrev_nc_u32_e32 v4, 28, v3
	v_sub_nc_u32_e32 v3, 29, v3
	v_lshlrev_b64 v[4:5], v4, v[8:9]
	v_and_b32_e32 v8, 7, v4
; %bb.664:                              ;   in Loop: Header=BB243_16 Depth=1
	s_or_b32 exec_lo, exec_lo, s26
	v_lshlrev_b32_e32 v4, 24, v2
	v_lshlrev_b32_e32 v5, 20, v8
	v_lshl_add_u32 v3, v3, 23, 0x3c000000
	v_and_b32_e32 v4, 0x80000000, v4
	v_or3_b32 v8, v5, v4, v3
	buffer_store_dword v8, off, s[0:3], s32 offset:892 ; 4-byte Folded Spill
	buffer_store_dword v9, off, s[0:3], s32 offset:896 ; 4-byte Folded Spill
.LBB243_665:                            ;   in Loop: Header=BB243_16 Depth=1
	s_or_b32 exec_lo, exec_lo, s25
.LBB243_666:                            ;   in Loop: Header=BB243_16 Depth=1
	s_or_b32 exec_lo, exec_lo, s24
.LBB243_667:                            ;   in Loop: Header=BB243_16 Depth=1
	s_or_b32 exec_lo, exec_lo, s23
	v_cmp_ne_u16_sdwa s5, v2, v9 src0_sel:BYTE_1 src1_sel:DWORD
	s_and_saveexec_b32 s23, s5
	s_cbranch_execz .LBB243_675
; %bb.668:                              ;   in Loop: Header=BB243_16 Depth=1
	v_mov_b32_e32 v3, 0x80
	v_mov_b32_e32 v46, v9
	buffer_store_dword v46, off, s[0:3], s32 offset:900 ; 4-byte Folded Spill
	buffer_store_dword v47, off, s[0:3], s32 offset:904 ; 4-byte Folded Spill
	v_cmp_ne_u16_sdwa s5, v2, v3 src0_sel:BYTE_1 src1_sel:DWORD
	s_and_saveexec_b32 s24, s5
	s_cbranch_execz .LBB243_674
; %bb.669:                              ;   in Loop: Header=BB243_16 Depth=1
	s_clause 0x1
	buffer_load_dword v5, off, s[0:3], s32 offset:200
	buffer_load_dword v6, off, s[0:3], s32 offset:204
	v_mov_b32_e32 v3, 0xffff
	s_mov_b32 s25, exec_lo
	v_and_b32_sdwa v3, v3, v2 dst_sel:DWORD dst_unused:UNUSED_PAD src0_sel:DWORD src1_sel:BYTE_1
	v_and_b32_e32 v4, 0x7f, v3
	s_waitcnt vmcnt(0)
	v_mov_b32_e32 v7, v6
	v_mov_b32_e32 v6, v9
	;; [unrolled: 1-line block ×3, first 2 shown]
	buffer_store_dword v4, off, s[0:3], s32 offset:200 ; 4-byte Folded Spill
	buffer_store_dword v5, off, s[0:3], s32 offset:204 ; 4-byte Folded Spill
	;; [unrolled: 1-line block ×4, first 2 shown]
	v_cmpx_ne_u32_e32 0x7f, v4
	s_cbranch_execz .LBB243_673
; %bb.670:                              ;   in Loop: Header=BB243_16 Depth=1
	v_and_b32_e32 v8, 7, v3
	v_lshrrev_b32_e32 v3, 3, v4
	s_mov_b32 s26, exec_lo
	v_cmpx_gt_u32_e32 8, v4
; %bb.671:                              ;   in Loop: Header=BB243_16 Depth=1
	v_ffbh_u32_e32 v3, v8
	v_min_u32_e32 v3, 32, v3
	v_subrev_nc_u32_e32 v4, 28, v3
	v_sub_nc_u32_e32 v3, 29, v3
	v_lshlrev_b64 v[4:5], v4, v[8:9]
	v_and_b32_e32 v8, 7, v4
; %bb.672:                              ;   in Loop: Header=BB243_16 Depth=1
	s_or_b32 exec_lo, exec_lo, s26
	v_lshlrev_b32_e32 v4, 16, v2
	v_lshlrev_b32_e32 v5, 20, v8
	v_lshl_add_u32 v3, v3, 23, 0x3c000000
	v_and_b32_e32 v4, 0x80000000, v4
	v_or3_b32 v4, v5, v4, v3
	v_mov_b32_e32 v3, v9
	buffer_store_dword v3, off, s[0:3], s32 offset:900 ; 4-byte Folded Spill
	buffer_store_dword v4, off, s[0:3], s32 offset:904 ; 4-byte Folded Spill
.LBB243_673:                            ;   in Loop: Header=BB243_16 Depth=1
	s_or_b32 exec_lo, exec_lo, s25
.LBB243_674:                            ;   in Loop: Header=BB243_16 Depth=1
	s_or_b32 exec_lo, exec_lo, s24
.LBB243_675:                            ;   in Loop: Header=BB243_16 Depth=1
	s_or_b32 exec_lo, exec_lo, s23
	v_mov_b32_e32 v4, 0
	v_mov_b32_e32 v5, 0
	;; [unrolled: 1-line block ×3, first 2 shown]
	s_mov_b32 s23, exec_lo
	buffer_store_dword v4, off, s[0:3], s32 offset:908 ; 4-byte Folded Spill
	buffer_store_dword v5, off, s[0:3], s32 offset:912 ; 4-byte Folded Spill
	v_mov_b32_e32 v4, 0
	v_and_b32_sdwa v3, v2, v3 dst_sel:DWORD dst_unused:UNUSED_PAD src0_sel:WORD_1 src1_sel:DWORD
	v_mov_b32_e32 v5, 0
	buffer_store_dword v4, off, s[0:3], s32 offset:916 ; 4-byte Folded Spill
	buffer_store_dword v5, off, s[0:3], s32 offset:920 ; 4-byte Folded Spill
	v_cmpx_ne_u16_e32 0, v3
	s_cbranch_execz .LBB243_683
; %bb.676:                              ;   in Loop: Header=BB243_16 Depth=1
	v_cmp_ne_u16_e64 s5, 0x80, v3
	v_bfrev_b32_e32 v3, 1
	v_mov_b32_e32 v4, 0
	buffer_store_dword v3, off, s[0:3], s32 offset:916 ; 4-byte Folded Spill
	buffer_store_dword v4, off, s[0:3], s32 offset:920 ; 4-byte Folded Spill
	s_and_saveexec_b32 s24, s5
	s_cbranch_execz .LBB243_682
; %bb.677:                              ;   in Loop: Header=BB243_16 Depth=1
	v_mov_b32_e32 v5, 0x7f800001
	v_bfe_u32 v4, v2, 16, 7
	v_mov_b32_e32 v6, 0
	s_mov_b32 s25, exec_lo
	buffer_store_dword v5, off, s[0:3], s32 offset:916 ; 4-byte Folded Spill
	buffer_store_dword v6, off, s[0:3], s32 offset:920 ; 4-byte Folded Spill
	v_cmpx_ne_u32_e32 0x7f, v4
	s_cbranch_execz .LBB243_681
; %bb.678:                              ;   in Loop: Header=BB243_16 Depth=1
	v_mov_b32_e32 v3, 7
	s_mov_b32 s26, exec_lo
	v_and_b32_sdwa v8, v2, v3 dst_sel:DWORD dst_unused:UNUSED_PAD src0_sel:WORD_1 src1_sel:DWORD
	v_lshrrev_b32_e32 v3, 3, v4
	v_cmpx_gt_u32_e32 8, v4
; %bb.679:                              ;   in Loop: Header=BB243_16 Depth=1
	v_ffbh_u32_e32 v3, v8
	v_min_u32_e32 v3, 32, v3
	v_subrev_nc_u32_e32 v4, 28, v3
	v_sub_nc_u32_e32 v3, 29, v3
	v_lshlrev_b64 v[4:5], v4, v[8:9]
	v_and_b32_e32 v8, 7, v4
; %bb.680:                              ;   in Loop: Header=BB243_16 Depth=1
	s_or_b32 exec_lo, exec_lo, s26
	v_mov_b32_e32 v4, 24
	v_lshlrev_b32_e32 v5, 20, v8
	v_lshl_add_u32 v3, v3, 23, 0x3c000000
	v_lshlrev_b32_sdwa v4, v4, v2 dst_sel:DWORD dst_unused:UNUSED_PAD src0_sel:DWORD src1_sel:WORD_1
	v_and_b32_e32 v4, 0x80000000, v4
	v_or3_b32 v8, v5, v4, v3
	buffer_store_dword v8, off, s[0:3], s32 offset:916 ; 4-byte Folded Spill
	buffer_store_dword v9, off, s[0:3], s32 offset:920 ; 4-byte Folded Spill
.LBB243_681:                            ;   in Loop: Header=BB243_16 Depth=1
	s_or_b32 exec_lo, exec_lo, s25
.LBB243_682:                            ;   in Loop: Header=BB243_16 Depth=1
	s_or_b32 exec_lo, exec_lo, s24
.LBB243_683:                            ;   in Loop: Header=BB243_16 Depth=1
	s_or_b32 exec_lo, exec_lo, s23
	s_mov_b32 s23, exec_lo
	v_cmpx_lt_u32_e32 0xffffff, v2
	s_cbranch_execz .LBB243_691
; %bb.684:                              ;   in Loop: Header=BB243_16 Depth=1
	v_mov_b32_e32 v3, 0x80
	v_mov_b32_e32 v46, v9
	buffer_store_dword v46, off, s[0:3], s32 offset:908 ; 4-byte Folded Spill
	buffer_store_dword v47, off, s[0:3], s32 offset:912 ; 4-byte Folded Spill
	v_cmp_ne_u32_sdwa s5, v2, v3 src0_sel:BYTE_3 src1_sel:DWORD
	s_and_saveexec_b32 s24, s5
	s_cbranch_execz .LBB243_690
; %bb.685:                              ;   in Loop: Header=BB243_16 Depth=1
	s_clause 0x1
	buffer_load_dword v5, off, s[0:3], s32 offset:200
	buffer_load_dword v6, off, s[0:3], s32 offset:204
	v_bfe_u32 v4, v2, 24, 7
	s_waitcnt vmcnt(1)
	v_mov_b32_e32 v5, v9
	s_mov_b32 s25, exec_lo
	s_waitcnt vmcnt(0)
	v_mov_b32_e32 v3, v6
	buffer_store_dword v2, off, s[0:3], s32 offset:200 ; 4-byte Folded Spill
	buffer_store_dword v3, off, s[0:3], s32 offset:204 ; 4-byte Folded Spill
	;; [unrolled: 1-line block ×4, first 2 shown]
	v_cmpx_ne_u32_e32 0x7f, v4
	s_cbranch_execz .LBB243_689
; %bb.686:                              ;   in Loop: Header=BB243_16 Depth=1
	v_mov_b32_e32 v3, 7
	s_mov_b32 s26, exec_lo
	v_and_b32_sdwa v8, v2, v3 dst_sel:DWORD dst_unused:UNUSED_PAD src0_sel:BYTE_3 src1_sel:DWORD
	v_lshrrev_b32_e32 v3, 3, v4
	v_cmpx_gt_u32_e32 8, v4
; %bb.687:                              ;   in Loop: Header=BB243_16 Depth=1
	v_ffbh_u32_e32 v3, v8
	v_min_u32_e32 v3, 32, v3
	v_subrev_nc_u32_e32 v4, 28, v3
	v_sub_nc_u32_e32 v3, 29, v3
	v_lshlrev_b64 v[4:5], v4, v[8:9]
	v_and_b32_e32 v8, 7, v4
; %bb.688:                              ;   in Loop: Header=BB243_16 Depth=1
	s_or_b32 exec_lo, exec_lo, s26
	v_mov_b32_e32 v4, 24
	v_lshl_add_u32 v3, v3, 23, 0x3c000000
	v_lshlrev_b32_sdwa v2, v4, v2 dst_sel:DWORD dst_unused:UNUSED_PAD src0_sel:DWORD src1_sel:BYTE_3
	v_lshlrev_b32_e32 v4, 20, v8
	v_and_b32_e32 v2, 0x80000000, v2
	v_or3_b32 v3, v4, v2, v3
	v_mov_b32_e32 v2, v9
	buffer_store_dword v2, off, s[0:3], s32 offset:908 ; 4-byte Folded Spill
	buffer_store_dword v3, off, s[0:3], s32 offset:912 ; 4-byte Folded Spill
.LBB243_689:                            ;   in Loop: Header=BB243_16 Depth=1
	s_or_b32 exec_lo, exec_lo, s25
.LBB243_690:                            ;   in Loop: Header=BB243_16 Depth=1
	s_or_b32 exec_lo, exec_lo, s24
.LBB243_691:                            ;   in Loop: Header=BB243_16 Depth=1
	s_or_b32 exec_lo, exec_lo, s23
	flat_load_dword v2, v[0:1] offset:516
	v_mov_b32_e32 v3, 0
	v_mov_b32_e32 v4, 0
	buffer_store_dword v3, off, s[0:3], s32 offset:932 ; 4-byte Folded Spill
	buffer_store_dword v4, off, s[0:3], s32 offset:936 ; 4-byte Folded Spill
	v_mov_b32_e32 v3, 0
	v_mov_b32_e32 v4, 0
	buffer_store_dword v3, off, s[0:3], s32 offset:924 ; 4-byte Folded Spill
	buffer_store_dword v4, off, s[0:3], s32 offset:928 ; 4-byte Folded Spill
	s_waitcnt vmcnt(0) lgkmcnt(0)
	v_cmp_ne_u16_sdwa s5, v2, v9 src0_sel:BYTE_0 src1_sel:DWORD
	s_and_saveexec_b32 s23, s5
	s_cbranch_execz .LBB243_699
; %bb.692:                              ;   in Loop: Header=BB243_16 Depth=1
	v_bfrev_b32_e32 v3, 1
	v_mov_b32_e32 v4, 0
	buffer_store_dword v3, off, s[0:3], s32 offset:924 ; 4-byte Folded Spill
	buffer_store_dword v4, off, s[0:3], s32 offset:928 ; 4-byte Folded Spill
	v_mov_b32_e32 v3, 0x80
	v_cmp_ne_u16_sdwa s5, v2, v3 src0_sel:BYTE_0 src1_sel:DWORD
	s_and_saveexec_b32 s24, s5
	s_cbranch_execz .LBB243_698
; %bb.693:                              ;   in Loop: Header=BB243_16 Depth=1
	v_mov_b32_e32 v5, 0x7f800001
	v_and_b32_e32 v4, 0x7f, v2
	v_mov_b32_e32 v6, 0
	s_mov_b32 s25, exec_lo
	buffer_store_dword v5, off, s[0:3], s32 offset:924 ; 4-byte Folded Spill
	buffer_store_dword v6, off, s[0:3], s32 offset:928 ; 4-byte Folded Spill
	v_cmpx_ne_u32_e32 0x7f, v4
	s_cbranch_execz .LBB243_697
; %bb.694:                              ;   in Loop: Header=BB243_16 Depth=1
	v_and_b32_e32 v8, 7, v2
	v_lshrrev_b32_e32 v3, 3, v4
	s_mov_b32 s26, exec_lo
	v_cmpx_gt_u32_e32 8, v4
; %bb.695:                              ;   in Loop: Header=BB243_16 Depth=1
	v_ffbh_u32_e32 v3, v8
	v_min_u32_e32 v3, 32, v3
	v_subrev_nc_u32_e32 v4, 28, v3
	v_sub_nc_u32_e32 v3, 29, v3
	v_lshlrev_b64 v[4:5], v4, v[8:9]
	v_and_b32_e32 v8, 7, v4
; %bb.696:                              ;   in Loop: Header=BB243_16 Depth=1
	s_or_b32 exec_lo, exec_lo, s26
	v_lshlrev_b32_e32 v4, 24, v2
	v_lshlrev_b32_e32 v5, 20, v8
	v_lshl_add_u32 v3, v3, 23, 0x3c000000
	v_and_b32_e32 v4, 0x80000000, v4
	v_or3_b32 v8, v5, v4, v3
	buffer_store_dword v8, off, s[0:3], s32 offset:924 ; 4-byte Folded Spill
	buffer_store_dword v9, off, s[0:3], s32 offset:928 ; 4-byte Folded Spill
.LBB243_697:                            ;   in Loop: Header=BB243_16 Depth=1
	s_or_b32 exec_lo, exec_lo, s25
.LBB243_698:                            ;   in Loop: Header=BB243_16 Depth=1
	s_or_b32 exec_lo, exec_lo, s24
.LBB243_699:                            ;   in Loop: Header=BB243_16 Depth=1
	s_or_b32 exec_lo, exec_lo, s23
	v_cmp_ne_u16_sdwa s5, v2, v9 src0_sel:BYTE_1 src1_sel:DWORD
	s_and_saveexec_b32 s23, s5
	s_cbranch_execz .LBB243_707
; %bb.700:                              ;   in Loop: Header=BB243_16 Depth=1
	v_mov_b32_e32 v3, 0x80
	v_mov_b32_e32 v46, v9
	buffer_store_dword v46, off, s[0:3], s32 offset:932 ; 4-byte Folded Spill
	buffer_store_dword v47, off, s[0:3], s32 offset:936 ; 4-byte Folded Spill
	v_cmp_ne_u16_sdwa s5, v2, v3 src0_sel:BYTE_1 src1_sel:DWORD
	s_and_saveexec_b32 s24, s5
	s_cbranch_execz .LBB243_706
; %bb.701:                              ;   in Loop: Header=BB243_16 Depth=1
	s_clause 0x1
	buffer_load_dword v5, off, s[0:3], s32 offset:200
	buffer_load_dword v6, off, s[0:3], s32 offset:204
	v_mov_b32_e32 v3, 0xffff
	s_mov_b32 s25, exec_lo
	v_and_b32_sdwa v3, v3, v2 dst_sel:DWORD dst_unused:UNUSED_PAD src0_sel:DWORD src1_sel:BYTE_1
	v_and_b32_e32 v4, 0x7f, v3
	s_waitcnt vmcnt(0)
	v_mov_b32_e32 v7, v6
	v_mov_b32_e32 v6, v9
	v_mov_b32_e32 v5, v7
	buffer_store_dword v4, off, s[0:3], s32 offset:200 ; 4-byte Folded Spill
	buffer_store_dword v5, off, s[0:3], s32 offset:204 ; 4-byte Folded Spill
	;; [unrolled: 1-line block ×4, first 2 shown]
	v_cmpx_ne_u32_e32 0x7f, v4
	s_cbranch_execz .LBB243_705
; %bb.702:                              ;   in Loop: Header=BB243_16 Depth=1
	v_and_b32_e32 v8, 7, v3
	v_lshrrev_b32_e32 v3, 3, v4
	s_mov_b32 s26, exec_lo
	v_cmpx_gt_u32_e32 8, v4
; %bb.703:                              ;   in Loop: Header=BB243_16 Depth=1
	v_ffbh_u32_e32 v3, v8
	v_min_u32_e32 v3, 32, v3
	v_subrev_nc_u32_e32 v4, 28, v3
	v_sub_nc_u32_e32 v3, 29, v3
	v_lshlrev_b64 v[4:5], v4, v[8:9]
	v_and_b32_e32 v8, 7, v4
; %bb.704:                              ;   in Loop: Header=BB243_16 Depth=1
	s_or_b32 exec_lo, exec_lo, s26
	v_lshlrev_b32_e32 v4, 16, v2
	v_lshlrev_b32_e32 v5, 20, v8
	v_lshl_add_u32 v3, v3, 23, 0x3c000000
	v_and_b32_e32 v4, 0x80000000, v4
	v_or3_b32 v4, v5, v4, v3
	v_mov_b32_e32 v3, v9
	buffer_store_dword v3, off, s[0:3], s32 offset:932 ; 4-byte Folded Spill
	buffer_store_dword v4, off, s[0:3], s32 offset:936 ; 4-byte Folded Spill
.LBB243_705:                            ;   in Loop: Header=BB243_16 Depth=1
	s_or_b32 exec_lo, exec_lo, s25
.LBB243_706:                            ;   in Loop: Header=BB243_16 Depth=1
	s_or_b32 exec_lo, exec_lo, s24
.LBB243_707:                            ;   in Loop: Header=BB243_16 Depth=1
	s_or_b32 exec_lo, exec_lo, s23
	v_mov_b32_e32 v4, 0
	v_mov_b32_e32 v5, 0
	;; [unrolled: 1-line block ×3, first 2 shown]
	s_mov_b32 s23, exec_lo
	buffer_store_dword v4, off, s[0:3], s32 offset:940 ; 4-byte Folded Spill
	buffer_store_dword v5, off, s[0:3], s32 offset:944 ; 4-byte Folded Spill
	v_mov_b32_e32 v4, 0
	v_and_b32_sdwa v3, v2, v3 dst_sel:DWORD dst_unused:UNUSED_PAD src0_sel:WORD_1 src1_sel:DWORD
	v_mov_b32_e32 v5, 0
	buffer_store_dword v4, off, s[0:3], s32 offset:948 ; 4-byte Folded Spill
	buffer_store_dword v5, off, s[0:3], s32 offset:952 ; 4-byte Folded Spill
	v_cmpx_ne_u16_e32 0, v3
	s_cbranch_execz .LBB243_715
; %bb.708:                              ;   in Loop: Header=BB243_16 Depth=1
	v_cmp_ne_u16_e64 s5, 0x80, v3
	v_bfrev_b32_e32 v3, 1
	v_mov_b32_e32 v4, 0
	buffer_store_dword v3, off, s[0:3], s32 offset:948 ; 4-byte Folded Spill
	buffer_store_dword v4, off, s[0:3], s32 offset:952 ; 4-byte Folded Spill
	s_and_saveexec_b32 s24, s5
	s_cbranch_execz .LBB243_714
; %bb.709:                              ;   in Loop: Header=BB243_16 Depth=1
	v_mov_b32_e32 v5, 0x7f800001
	v_bfe_u32 v4, v2, 16, 7
	v_mov_b32_e32 v6, 0
	s_mov_b32 s25, exec_lo
	buffer_store_dword v5, off, s[0:3], s32 offset:948 ; 4-byte Folded Spill
	buffer_store_dword v6, off, s[0:3], s32 offset:952 ; 4-byte Folded Spill
	v_cmpx_ne_u32_e32 0x7f, v4
	s_cbranch_execz .LBB243_713
; %bb.710:                              ;   in Loop: Header=BB243_16 Depth=1
	v_mov_b32_e32 v3, 7
	s_mov_b32 s26, exec_lo
	v_and_b32_sdwa v8, v2, v3 dst_sel:DWORD dst_unused:UNUSED_PAD src0_sel:WORD_1 src1_sel:DWORD
	v_lshrrev_b32_e32 v3, 3, v4
	v_cmpx_gt_u32_e32 8, v4
; %bb.711:                              ;   in Loop: Header=BB243_16 Depth=1
	v_ffbh_u32_e32 v3, v8
	v_min_u32_e32 v3, 32, v3
	v_subrev_nc_u32_e32 v4, 28, v3
	v_sub_nc_u32_e32 v3, 29, v3
	v_lshlrev_b64 v[4:5], v4, v[8:9]
	v_and_b32_e32 v8, 7, v4
; %bb.712:                              ;   in Loop: Header=BB243_16 Depth=1
	s_or_b32 exec_lo, exec_lo, s26
	v_mov_b32_e32 v4, 24
	v_lshlrev_b32_e32 v5, 20, v8
	v_lshl_add_u32 v3, v3, 23, 0x3c000000
	v_lshlrev_b32_sdwa v4, v4, v2 dst_sel:DWORD dst_unused:UNUSED_PAD src0_sel:DWORD src1_sel:WORD_1
	v_and_b32_e32 v4, 0x80000000, v4
	v_or3_b32 v8, v5, v4, v3
	buffer_store_dword v8, off, s[0:3], s32 offset:948 ; 4-byte Folded Spill
	buffer_store_dword v9, off, s[0:3], s32 offset:952 ; 4-byte Folded Spill
.LBB243_713:                            ;   in Loop: Header=BB243_16 Depth=1
	s_or_b32 exec_lo, exec_lo, s25
.LBB243_714:                            ;   in Loop: Header=BB243_16 Depth=1
	s_or_b32 exec_lo, exec_lo, s24
.LBB243_715:                            ;   in Loop: Header=BB243_16 Depth=1
	s_or_b32 exec_lo, exec_lo, s23
	s_mov_b32 s23, exec_lo
	v_cmpx_lt_u32_e32 0xffffff, v2
	s_cbranch_execz .LBB243_723
; %bb.716:                              ;   in Loop: Header=BB243_16 Depth=1
	v_mov_b32_e32 v3, 0x80
	v_mov_b32_e32 v46, v9
	buffer_store_dword v46, off, s[0:3], s32 offset:940 ; 4-byte Folded Spill
	buffer_store_dword v47, off, s[0:3], s32 offset:944 ; 4-byte Folded Spill
	v_cmp_ne_u32_sdwa s5, v2, v3 src0_sel:BYTE_3 src1_sel:DWORD
	s_and_saveexec_b32 s24, s5
	s_cbranch_execz .LBB243_722
; %bb.717:                              ;   in Loop: Header=BB243_16 Depth=1
	s_clause 0x1
	buffer_load_dword v5, off, s[0:3], s32 offset:200
	buffer_load_dword v6, off, s[0:3], s32 offset:204
	v_bfe_u32 v4, v2, 24, 7
	s_waitcnt vmcnt(1)
	v_mov_b32_e32 v5, v9
	s_mov_b32 s25, exec_lo
	s_waitcnt vmcnt(0)
	v_mov_b32_e32 v3, v6
	buffer_store_dword v2, off, s[0:3], s32 offset:200 ; 4-byte Folded Spill
	buffer_store_dword v3, off, s[0:3], s32 offset:204 ; 4-byte Folded Spill
	;; [unrolled: 1-line block ×4, first 2 shown]
	v_cmpx_ne_u32_e32 0x7f, v4
	s_cbranch_execz .LBB243_721
; %bb.718:                              ;   in Loop: Header=BB243_16 Depth=1
	v_mov_b32_e32 v3, 7
	s_mov_b32 s26, exec_lo
	v_and_b32_sdwa v8, v2, v3 dst_sel:DWORD dst_unused:UNUSED_PAD src0_sel:BYTE_3 src1_sel:DWORD
	v_lshrrev_b32_e32 v3, 3, v4
	v_cmpx_gt_u32_e32 8, v4
; %bb.719:                              ;   in Loop: Header=BB243_16 Depth=1
	v_ffbh_u32_e32 v3, v8
	v_min_u32_e32 v3, 32, v3
	v_subrev_nc_u32_e32 v4, 28, v3
	v_sub_nc_u32_e32 v3, 29, v3
	v_lshlrev_b64 v[4:5], v4, v[8:9]
	v_and_b32_e32 v8, 7, v4
; %bb.720:                              ;   in Loop: Header=BB243_16 Depth=1
	s_or_b32 exec_lo, exec_lo, s26
	v_mov_b32_e32 v4, 24
	v_lshl_add_u32 v3, v3, 23, 0x3c000000
	v_lshlrev_b32_sdwa v2, v4, v2 dst_sel:DWORD dst_unused:UNUSED_PAD src0_sel:DWORD src1_sel:BYTE_3
	v_lshlrev_b32_e32 v4, 20, v8
	v_and_b32_e32 v2, 0x80000000, v2
	v_or3_b32 v3, v4, v2, v3
	v_mov_b32_e32 v2, v9
	buffer_store_dword v2, off, s[0:3], s32 offset:940 ; 4-byte Folded Spill
	buffer_store_dword v3, off, s[0:3], s32 offset:944 ; 4-byte Folded Spill
.LBB243_721:                            ;   in Loop: Header=BB243_16 Depth=1
	s_or_b32 exec_lo, exec_lo, s25
.LBB243_722:                            ;   in Loop: Header=BB243_16 Depth=1
	s_or_b32 exec_lo, exec_lo, s24
.LBB243_723:                            ;   in Loop: Header=BB243_16 Depth=1
	s_or_b32 exec_lo, exec_lo, s23
	flat_load_dword v2, v[0:1] offset:520
	v_mov_b32_e32 v3, 0
	v_mov_b32_e32 v4, 0
	buffer_store_dword v3, off, s[0:3], s32 offset:964 ; 4-byte Folded Spill
	buffer_store_dword v4, off, s[0:3], s32 offset:968 ; 4-byte Folded Spill
	v_mov_b32_e32 v3, 0
	v_mov_b32_e32 v4, 0
	buffer_store_dword v3, off, s[0:3], s32 offset:956 ; 4-byte Folded Spill
	buffer_store_dword v4, off, s[0:3], s32 offset:960 ; 4-byte Folded Spill
	s_waitcnt vmcnt(0) lgkmcnt(0)
	v_cmp_ne_u16_sdwa s5, v2, v9 src0_sel:BYTE_0 src1_sel:DWORD
	s_and_saveexec_b32 s23, s5
	s_cbranch_execz .LBB243_731
; %bb.724:                              ;   in Loop: Header=BB243_16 Depth=1
	v_bfrev_b32_e32 v3, 1
	v_mov_b32_e32 v4, 0
	buffer_store_dword v3, off, s[0:3], s32 offset:956 ; 4-byte Folded Spill
	buffer_store_dword v4, off, s[0:3], s32 offset:960 ; 4-byte Folded Spill
	v_mov_b32_e32 v3, 0x80
	v_cmp_ne_u16_sdwa s5, v2, v3 src0_sel:BYTE_0 src1_sel:DWORD
	s_and_saveexec_b32 s24, s5
	s_cbranch_execz .LBB243_730
; %bb.725:                              ;   in Loop: Header=BB243_16 Depth=1
	v_mov_b32_e32 v5, 0x7f800001
	v_and_b32_e32 v4, 0x7f, v2
	v_mov_b32_e32 v6, 0
	s_mov_b32 s25, exec_lo
	buffer_store_dword v5, off, s[0:3], s32 offset:956 ; 4-byte Folded Spill
	buffer_store_dword v6, off, s[0:3], s32 offset:960 ; 4-byte Folded Spill
	v_cmpx_ne_u32_e32 0x7f, v4
	s_cbranch_execz .LBB243_729
; %bb.726:                              ;   in Loop: Header=BB243_16 Depth=1
	v_and_b32_e32 v8, 7, v2
	v_lshrrev_b32_e32 v3, 3, v4
	s_mov_b32 s26, exec_lo
	v_cmpx_gt_u32_e32 8, v4
; %bb.727:                              ;   in Loop: Header=BB243_16 Depth=1
	v_ffbh_u32_e32 v3, v8
	v_min_u32_e32 v3, 32, v3
	v_subrev_nc_u32_e32 v4, 28, v3
	v_sub_nc_u32_e32 v3, 29, v3
	v_lshlrev_b64 v[4:5], v4, v[8:9]
	v_and_b32_e32 v8, 7, v4
; %bb.728:                              ;   in Loop: Header=BB243_16 Depth=1
	s_or_b32 exec_lo, exec_lo, s26
	v_lshlrev_b32_e32 v4, 24, v2
	v_lshlrev_b32_e32 v5, 20, v8
	v_lshl_add_u32 v3, v3, 23, 0x3c000000
	v_and_b32_e32 v4, 0x80000000, v4
	v_or3_b32 v8, v5, v4, v3
	buffer_store_dword v8, off, s[0:3], s32 offset:956 ; 4-byte Folded Spill
	buffer_store_dword v9, off, s[0:3], s32 offset:960 ; 4-byte Folded Spill
.LBB243_729:                            ;   in Loop: Header=BB243_16 Depth=1
	s_or_b32 exec_lo, exec_lo, s25
.LBB243_730:                            ;   in Loop: Header=BB243_16 Depth=1
	s_or_b32 exec_lo, exec_lo, s24
.LBB243_731:                            ;   in Loop: Header=BB243_16 Depth=1
	s_or_b32 exec_lo, exec_lo, s23
	v_cmp_ne_u16_sdwa s5, v2, v9 src0_sel:BYTE_1 src1_sel:DWORD
	s_and_saveexec_b32 s23, s5
	s_cbranch_execz .LBB243_739
; %bb.732:                              ;   in Loop: Header=BB243_16 Depth=1
	v_mov_b32_e32 v3, 0x80
	v_mov_b32_e32 v46, v9
	buffer_store_dword v46, off, s[0:3], s32 offset:964 ; 4-byte Folded Spill
	buffer_store_dword v47, off, s[0:3], s32 offset:968 ; 4-byte Folded Spill
	v_cmp_ne_u16_sdwa s5, v2, v3 src0_sel:BYTE_1 src1_sel:DWORD
	s_and_saveexec_b32 s24, s5
	s_cbranch_execz .LBB243_738
; %bb.733:                              ;   in Loop: Header=BB243_16 Depth=1
	s_clause 0x1
	buffer_load_dword v5, off, s[0:3], s32 offset:200
	buffer_load_dword v6, off, s[0:3], s32 offset:204
	v_mov_b32_e32 v3, 0xffff
	s_mov_b32 s25, exec_lo
	v_and_b32_sdwa v3, v3, v2 dst_sel:DWORD dst_unused:UNUSED_PAD src0_sel:DWORD src1_sel:BYTE_1
	v_and_b32_e32 v4, 0x7f, v3
	s_waitcnt vmcnt(0)
	v_mov_b32_e32 v7, v6
	v_mov_b32_e32 v6, v9
	;; [unrolled: 1-line block ×3, first 2 shown]
	buffer_store_dword v4, off, s[0:3], s32 offset:200 ; 4-byte Folded Spill
	buffer_store_dword v5, off, s[0:3], s32 offset:204 ; 4-byte Folded Spill
	;; [unrolled: 1-line block ×4, first 2 shown]
	v_cmpx_ne_u32_e32 0x7f, v4
	s_cbranch_execz .LBB243_737
; %bb.734:                              ;   in Loop: Header=BB243_16 Depth=1
	v_and_b32_e32 v8, 7, v3
	v_lshrrev_b32_e32 v3, 3, v4
	s_mov_b32 s26, exec_lo
	v_cmpx_gt_u32_e32 8, v4
; %bb.735:                              ;   in Loop: Header=BB243_16 Depth=1
	v_ffbh_u32_e32 v3, v8
	v_min_u32_e32 v3, 32, v3
	v_subrev_nc_u32_e32 v4, 28, v3
	v_sub_nc_u32_e32 v3, 29, v3
	v_lshlrev_b64 v[4:5], v4, v[8:9]
	v_and_b32_e32 v8, 7, v4
; %bb.736:                              ;   in Loop: Header=BB243_16 Depth=1
	s_or_b32 exec_lo, exec_lo, s26
	v_lshlrev_b32_e32 v4, 16, v2
	v_lshlrev_b32_e32 v5, 20, v8
	v_lshl_add_u32 v3, v3, 23, 0x3c000000
	v_and_b32_e32 v4, 0x80000000, v4
	v_or3_b32 v4, v5, v4, v3
	v_mov_b32_e32 v3, v9
	buffer_store_dword v3, off, s[0:3], s32 offset:964 ; 4-byte Folded Spill
	buffer_store_dword v4, off, s[0:3], s32 offset:968 ; 4-byte Folded Spill
.LBB243_737:                            ;   in Loop: Header=BB243_16 Depth=1
	s_or_b32 exec_lo, exec_lo, s25
.LBB243_738:                            ;   in Loop: Header=BB243_16 Depth=1
	s_or_b32 exec_lo, exec_lo, s24
.LBB243_739:                            ;   in Loop: Header=BB243_16 Depth=1
	s_or_b32 exec_lo, exec_lo, s23
	v_mov_b32_e32 v4, 0
	v_mov_b32_e32 v5, 0
	;; [unrolled: 1-line block ×3, first 2 shown]
	s_mov_b32 s23, exec_lo
	buffer_store_dword v4, off, s[0:3], s32 offset:972 ; 4-byte Folded Spill
	buffer_store_dword v5, off, s[0:3], s32 offset:976 ; 4-byte Folded Spill
	v_mov_b32_e32 v4, 0
	v_and_b32_sdwa v3, v2, v3 dst_sel:DWORD dst_unused:UNUSED_PAD src0_sel:WORD_1 src1_sel:DWORD
	v_mov_b32_e32 v5, 0
	buffer_store_dword v4, off, s[0:3], s32 offset:980 ; 4-byte Folded Spill
	buffer_store_dword v5, off, s[0:3], s32 offset:984 ; 4-byte Folded Spill
	v_cmpx_ne_u16_e32 0, v3
	s_cbranch_execz .LBB243_747
; %bb.740:                              ;   in Loop: Header=BB243_16 Depth=1
	v_cmp_ne_u16_e64 s5, 0x80, v3
	v_bfrev_b32_e32 v3, 1
	v_mov_b32_e32 v4, 0
	buffer_store_dword v3, off, s[0:3], s32 offset:980 ; 4-byte Folded Spill
	buffer_store_dword v4, off, s[0:3], s32 offset:984 ; 4-byte Folded Spill
	s_and_saveexec_b32 s24, s5
	s_cbranch_execz .LBB243_746
; %bb.741:                              ;   in Loop: Header=BB243_16 Depth=1
	v_mov_b32_e32 v5, 0x7f800001
	v_bfe_u32 v4, v2, 16, 7
	v_mov_b32_e32 v6, 0
	s_mov_b32 s25, exec_lo
	buffer_store_dword v5, off, s[0:3], s32 offset:980 ; 4-byte Folded Spill
	buffer_store_dword v6, off, s[0:3], s32 offset:984 ; 4-byte Folded Spill
	v_cmpx_ne_u32_e32 0x7f, v4
	s_cbranch_execz .LBB243_745
; %bb.742:                              ;   in Loop: Header=BB243_16 Depth=1
	v_mov_b32_e32 v3, 7
	s_mov_b32 s26, exec_lo
	v_and_b32_sdwa v8, v2, v3 dst_sel:DWORD dst_unused:UNUSED_PAD src0_sel:WORD_1 src1_sel:DWORD
	v_lshrrev_b32_e32 v3, 3, v4
	v_cmpx_gt_u32_e32 8, v4
; %bb.743:                              ;   in Loop: Header=BB243_16 Depth=1
	v_ffbh_u32_e32 v3, v8
	v_min_u32_e32 v3, 32, v3
	v_subrev_nc_u32_e32 v4, 28, v3
	v_sub_nc_u32_e32 v3, 29, v3
	v_lshlrev_b64 v[4:5], v4, v[8:9]
	v_and_b32_e32 v8, 7, v4
; %bb.744:                              ;   in Loop: Header=BB243_16 Depth=1
	s_or_b32 exec_lo, exec_lo, s26
	v_mov_b32_e32 v4, 24
	v_lshlrev_b32_e32 v5, 20, v8
	v_lshl_add_u32 v3, v3, 23, 0x3c000000
	v_lshlrev_b32_sdwa v4, v4, v2 dst_sel:DWORD dst_unused:UNUSED_PAD src0_sel:DWORD src1_sel:WORD_1
	v_and_b32_e32 v4, 0x80000000, v4
	v_or3_b32 v8, v5, v4, v3
	buffer_store_dword v8, off, s[0:3], s32 offset:980 ; 4-byte Folded Spill
	buffer_store_dword v9, off, s[0:3], s32 offset:984 ; 4-byte Folded Spill
.LBB243_745:                            ;   in Loop: Header=BB243_16 Depth=1
	s_or_b32 exec_lo, exec_lo, s25
.LBB243_746:                            ;   in Loop: Header=BB243_16 Depth=1
	s_or_b32 exec_lo, exec_lo, s24
.LBB243_747:                            ;   in Loop: Header=BB243_16 Depth=1
	s_or_b32 exec_lo, exec_lo, s23
	s_mov_b32 s23, exec_lo
	v_cmpx_lt_u32_e32 0xffffff, v2
	s_cbranch_execz .LBB243_755
; %bb.748:                              ;   in Loop: Header=BB243_16 Depth=1
	v_mov_b32_e32 v3, 0x80
	v_mov_b32_e32 v46, v9
	buffer_store_dword v46, off, s[0:3], s32 offset:972 ; 4-byte Folded Spill
	buffer_store_dword v47, off, s[0:3], s32 offset:976 ; 4-byte Folded Spill
	v_cmp_ne_u32_sdwa s5, v2, v3 src0_sel:BYTE_3 src1_sel:DWORD
	s_and_saveexec_b32 s24, s5
	s_cbranch_execz .LBB243_754
; %bb.749:                              ;   in Loop: Header=BB243_16 Depth=1
	s_clause 0x1
	buffer_load_dword v5, off, s[0:3], s32 offset:200
	buffer_load_dword v6, off, s[0:3], s32 offset:204
	v_bfe_u32 v4, v2, 24, 7
	s_waitcnt vmcnt(1)
	v_mov_b32_e32 v5, v9
	s_mov_b32 s25, exec_lo
	s_waitcnt vmcnt(0)
	v_mov_b32_e32 v3, v6
	buffer_store_dword v2, off, s[0:3], s32 offset:200 ; 4-byte Folded Spill
	buffer_store_dword v3, off, s[0:3], s32 offset:204 ; 4-byte Folded Spill
	;; [unrolled: 1-line block ×4, first 2 shown]
	v_cmpx_ne_u32_e32 0x7f, v4
	s_cbranch_execz .LBB243_753
; %bb.750:                              ;   in Loop: Header=BB243_16 Depth=1
	v_mov_b32_e32 v3, 7
	s_mov_b32 s26, exec_lo
	v_and_b32_sdwa v8, v2, v3 dst_sel:DWORD dst_unused:UNUSED_PAD src0_sel:BYTE_3 src1_sel:DWORD
	v_lshrrev_b32_e32 v3, 3, v4
	v_cmpx_gt_u32_e32 8, v4
; %bb.751:                              ;   in Loop: Header=BB243_16 Depth=1
	v_ffbh_u32_e32 v3, v8
	v_min_u32_e32 v3, 32, v3
	v_subrev_nc_u32_e32 v4, 28, v3
	v_sub_nc_u32_e32 v3, 29, v3
	v_lshlrev_b64 v[4:5], v4, v[8:9]
	v_and_b32_e32 v8, 7, v4
; %bb.752:                              ;   in Loop: Header=BB243_16 Depth=1
	s_or_b32 exec_lo, exec_lo, s26
	v_mov_b32_e32 v4, 24
	v_lshl_add_u32 v3, v3, 23, 0x3c000000
	v_lshlrev_b32_sdwa v2, v4, v2 dst_sel:DWORD dst_unused:UNUSED_PAD src0_sel:DWORD src1_sel:BYTE_3
	v_lshlrev_b32_e32 v4, 20, v8
	v_and_b32_e32 v2, 0x80000000, v2
	v_or3_b32 v3, v4, v2, v3
	v_mov_b32_e32 v2, v9
	buffer_store_dword v2, off, s[0:3], s32 offset:972 ; 4-byte Folded Spill
	buffer_store_dword v3, off, s[0:3], s32 offset:976 ; 4-byte Folded Spill
.LBB243_753:                            ;   in Loop: Header=BB243_16 Depth=1
	s_or_b32 exec_lo, exec_lo, s25
.LBB243_754:                            ;   in Loop: Header=BB243_16 Depth=1
	s_or_b32 exec_lo, exec_lo, s24
.LBB243_755:                            ;   in Loop: Header=BB243_16 Depth=1
	s_or_b32 exec_lo, exec_lo, s23
	flat_load_dword v2, v[0:1] offset:524
	v_mov_b32_e32 v3, 0
	v_mov_b32_e32 v4, 0
	buffer_store_dword v3, off, s[0:3], s32 offset:996 ; 4-byte Folded Spill
	buffer_store_dword v4, off, s[0:3], s32 offset:1000 ; 4-byte Folded Spill
	v_mov_b32_e32 v3, 0
	v_mov_b32_e32 v4, 0
	buffer_store_dword v3, off, s[0:3], s32 offset:988 ; 4-byte Folded Spill
	buffer_store_dword v4, off, s[0:3], s32 offset:992 ; 4-byte Folded Spill
	s_waitcnt vmcnt(0) lgkmcnt(0)
	v_cmp_ne_u16_sdwa s5, v2, v9 src0_sel:BYTE_0 src1_sel:DWORD
	s_and_saveexec_b32 s23, s5
	s_cbranch_execz .LBB243_763
; %bb.756:                              ;   in Loop: Header=BB243_16 Depth=1
	v_bfrev_b32_e32 v3, 1
	v_mov_b32_e32 v4, 0
	buffer_store_dword v3, off, s[0:3], s32 offset:988 ; 4-byte Folded Spill
	buffer_store_dword v4, off, s[0:3], s32 offset:992 ; 4-byte Folded Spill
	v_mov_b32_e32 v3, 0x80
	v_cmp_ne_u16_sdwa s5, v2, v3 src0_sel:BYTE_0 src1_sel:DWORD
	s_and_saveexec_b32 s24, s5
	s_cbranch_execz .LBB243_762
; %bb.757:                              ;   in Loop: Header=BB243_16 Depth=1
	v_mov_b32_e32 v5, 0x7f800001
	v_and_b32_e32 v4, 0x7f, v2
	v_mov_b32_e32 v6, 0
	s_mov_b32 s25, exec_lo
	buffer_store_dword v5, off, s[0:3], s32 offset:988 ; 4-byte Folded Spill
	buffer_store_dword v6, off, s[0:3], s32 offset:992 ; 4-byte Folded Spill
	v_cmpx_ne_u32_e32 0x7f, v4
	s_cbranch_execz .LBB243_761
; %bb.758:                              ;   in Loop: Header=BB243_16 Depth=1
	v_and_b32_e32 v8, 7, v2
	v_lshrrev_b32_e32 v3, 3, v4
	s_mov_b32 s26, exec_lo
	v_cmpx_gt_u32_e32 8, v4
; %bb.759:                              ;   in Loop: Header=BB243_16 Depth=1
	v_ffbh_u32_e32 v3, v8
	v_min_u32_e32 v3, 32, v3
	v_subrev_nc_u32_e32 v4, 28, v3
	v_sub_nc_u32_e32 v3, 29, v3
	v_lshlrev_b64 v[4:5], v4, v[8:9]
	v_and_b32_e32 v8, 7, v4
; %bb.760:                              ;   in Loop: Header=BB243_16 Depth=1
	s_or_b32 exec_lo, exec_lo, s26
	v_lshlrev_b32_e32 v4, 24, v2
	v_lshlrev_b32_e32 v5, 20, v8
	v_lshl_add_u32 v3, v3, 23, 0x3c000000
	v_and_b32_e32 v4, 0x80000000, v4
	v_or3_b32 v8, v5, v4, v3
	buffer_store_dword v8, off, s[0:3], s32 offset:988 ; 4-byte Folded Spill
	buffer_store_dword v9, off, s[0:3], s32 offset:992 ; 4-byte Folded Spill
.LBB243_761:                            ;   in Loop: Header=BB243_16 Depth=1
	s_or_b32 exec_lo, exec_lo, s25
.LBB243_762:                            ;   in Loop: Header=BB243_16 Depth=1
	s_or_b32 exec_lo, exec_lo, s24
.LBB243_763:                            ;   in Loop: Header=BB243_16 Depth=1
	s_or_b32 exec_lo, exec_lo, s23
	v_cmp_ne_u16_sdwa s5, v2, v9 src0_sel:BYTE_1 src1_sel:DWORD
	s_and_saveexec_b32 s23, s5
	s_cbranch_execz .LBB243_771
; %bb.764:                              ;   in Loop: Header=BB243_16 Depth=1
	v_mov_b32_e32 v3, 0x80
	v_mov_b32_e32 v46, v9
	buffer_store_dword v46, off, s[0:3], s32 offset:996 ; 4-byte Folded Spill
	buffer_store_dword v47, off, s[0:3], s32 offset:1000 ; 4-byte Folded Spill
	v_cmp_ne_u16_sdwa s5, v2, v3 src0_sel:BYTE_1 src1_sel:DWORD
	s_and_saveexec_b32 s24, s5
	s_cbranch_execz .LBB243_770
; %bb.765:                              ;   in Loop: Header=BB243_16 Depth=1
	s_clause 0x1
	buffer_load_dword v5, off, s[0:3], s32 offset:200
	buffer_load_dword v6, off, s[0:3], s32 offset:204
	v_mov_b32_e32 v3, 0xffff
	s_mov_b32 s25, exec_lo
	v_and_b32_sdwa v3, v3, v2 dst_sel:DWORD dst_unused:UNUSED_PAD src0_sel:DWORD src1_sel:BYTE_1
	v_and_b32_e32 v4, 0x7f, v3
	s_waitcnt vmcnt(0)
	v_mov_b32_e32 v7, v6
	v_mov_b32_e32 v6, v9
	;; [unrolled: 1-line block ×3, first 2 shown]
	buffer_store_dword v4, off, s[0:3], s32 offset:200 ; 4-byte Folded Spill
	buffer_store_dword v5, off, s[0:3], s32 offset:204 ; 4-byte Folded Spill
	;; [unrolled: 1-line block ×4, first 2 shown]
	v_cmpx_ne_u32_e32 0x7f, v4
	s_cbranch_execz .LBB243_769
; %bb.766:                              ;   in Loop: Header=BB243_16 Depth=1
	v_and_b32_e32 v8, 7, v3
	v_lshrrev_b32_e32 v3, 3, v4
	s_mov_b32 s26, exec_lo
	v_cmpx_gt_u32_e32 8, v4
; %bb.767:                              ;   in Loop: Header=BB243_16 Depth=1
	v_ffbh_u32_e32 v3, v8
	v_min_u32_e32 v3, 32, v3
	v_subrev_nc_u32_e32 v4, 28, v3
	v_sub_nc_u32_e32 v3, 29, v3
	v_lshlrev_b64 v[4:5], v4, v[8:9]
	v_and_b32_e32 v8, 7, v4
; %bb.768:                              ;   in Loop: Header=BB243_16 Depth=1
	s_or_b32 exec_lo, exec_lo, s26
	v_lshlrev_b32_e32 v4, 16, v2
	v_lshlrev_b32_e32 v5, 20, v8
	v_lshl_add_u32 v3, v3, 23, 0x3c000000
	v_and_b32_e32 v4, 0x80000000, v4
	v_or3_b32 v4, v5, v4, v3
	v_mov_b32_e32 v3, v9
	buffer_store_dword v3, off, s[0:3], s32 offset:996 ; 4-byte Folded Spill
	buffer_store_dword v4, off, s[0:3], s32 offset:1000 ; 4-byte Folded Spill
.LBB243_769:                            ;   in Loop: Header=BB243_16 Depth=1
	s_or_b32 exec_lo, exec_lo, s25
.LBB243_770:                            ;   in Loop: Header=BB243_16 Depth=1
	s_or_b32 exec_lo, exec_lo, s24
.LBB243_771:                            ;   in Loop: Header=BB243_16 Depth=1
	s_or_b32 exec_lo, exec_lo, s23
	v_mov_b32_e32 v4, 0
	v_mov_b32_e32 v5, 0
	;; [unrolled: 1-line block ×3, first 2 shown]
	s_mov_b32 s23, exec_lo
	buffer_store_dword v4, off, s[0:3], s32 offset:1004 ; 4-byte Folded Spill
	buffer_store_dword v5, off, s[0:3], s32 offset:1008 ; 4-byte Folded Spill
	v_mov_b32_e32 v4, 0
	v_and_b32_sdwa v3, v2, v3 dst_sel:DWORD dst_unused:UNUSED_PAD src0_sel:WORD_1 src1_sel:DWORD
	v_mov_b32_e32 v5, 0
	buffer_store_dword v4, off, s[0:3], s32 offset:1012 ; 4-byte Folded Spill
	buffer_store_dword v5, off, s[0:3], s32 offset:1016 ; 4-byte Folded Spill
	v_cmpx_ne_u16_e32 0, v3
	s_cbranch_execz .LBB243_779
; %bb.772:                              ;   in Loop: Header=BB243_16 Depth=1
	v_cmp_ne_u16_e64 s5, 0x80, v3
	v_bfrev_b32_e32 v3, 1
	v_mov_b32_e32 v4, 0
	buffer_store_dword v3, off, s[0:3], s32 offset:1012 ; 4-byte Folded Spill
	buffer_store_dword v4, off, s[0:3], s32 offset:1016 ; 4-byte Folded Spill
	s_and_saveexec_b32 s24, s5
	s_cbranch_execz .LBB243_778
; %bb.773:                              ;   in Loop: Header=BB243_16 Depth=1
	v_mov_b32_e32 v5, 0x7f800001
	v_bfe_u32 v4, v2, 16, 7
	v_mov_b32_e32 v6, 0
	s_mov_b32 s25, exec_lo
	buffer_store_dword v5, off, s[0:3], s32 offset:1012 ; 4-byte Folded Spill
	buffer_store_dword v6, off, s[0:3], s32 offset:1016 ; 4-byte Folded Spill
	v_cmpx_ne_u32_e32 0x7f, v4
	s_cbranch_execz .LBB243_777
; %bb.774:                              ;   in Loop: Header=BB243_16 Depth=1
	v_mov_b32_e32 v3, 7
	s_mov_b32 s26, exec_lo
	v_and_b32_sdwa v8, v2, v3 dst_sel:DWORD dst_unused:UNUSED_PAD src0_sel:WORD_1 src1_sel:DWORD
	v_lshrrev_b32_e32 v3, 3, v4
	v_cmpx_gt_u32_e32 8, v4
; %bb.775:                              ;   in Loop: Header=BB243_16 Depth=1
	v_ffbh_u32_e32 v3, v8
	v_min_u32_e32 v3, 32, v3
	v_subrev_nc_u32_e32 v4, 28, v3
	v_sub_nc_u32_e32 v3, 29, v3
	v_lshlrev_b64 v[4:5], v4, v[8:9]
	v_and_b32_e32 v8, 7, v4
; %bb.776:                              ;   in Loop: Header=BB243_16 Depth=1
	s_or_b32 exec_lo, exec_lo, s26
	v_mov_b32_e32 v4, 24
	v_lshlrev_b32_e32 v5, 20, v8
	v_lshl_add_u32 v3, v3, 23, 0x3c000000
	v_lshlrev_b32_sdwa v4, v4, v2 dst_sel:DWORD dst_unused:UNUSED_PAD src0_sel:DWORD src1_sel:WORD_1
	v_and_b32_e32 v4, 0x80000000, v4
	v_or3_b32 v8, v5, v4, v3
	buffer_store_dword v8, off, s[0:3], s32 offset:1012 ; 4-byte Folded Spill
	buffer_store_dword v9, off, s[0:3], s32 offset:1016 ; 4-byte Folded Spill
.LBB243_777:                            ;   in Loop: Header=BB243_16 Depth=1
	s_or_b32 exec_lo, exec_lo, s25
.LBB243_778:                            ;   in Loop: Header=BB243_16 Depth=1
	s_or_b32 exec_lo, exec_lo, s24
.LBB243_779:                            ;   in Loop: Header=BB243_16 Depth=1
	s_or_b32 exec_lo, exec_lo, s23
	s_mov_b32 s23, exec_lo
	v_cmpx_lt_u32_e32 0xffffff, v2
	s_cbranch_execz .LBB243_787
; %bb.780:                              ;   in Loop: Header=BB243_16 Depth=1
	v_mov_b32_e32 v3, 0x80
	v_mov_b32_e32 v46, v9
	buffer_store_dword v46, off, s[0:3], s32 offset:1004 ; 4-byte Folded Spill
	buffer_store_dword v47, off, s[0:3], s32 offset:1008 ; 4-byte Folded Spill
	v_cmp_ne_u32_sdwa s5, v2, v3 src0_sel:BYTE_3 src1_sel:DWORD
	s_and_saveexec_b32 s24, s5
	s_cbranch_execz .LBB243_786
; %bb.781:                              ;   in Loop: Header=BB243_16 Depth=1
	s_clause 0x1
	buffer_load_dword v5, off, s[0:3], s32 offset:200
	buffer_load_dword v6, off, s[0:3], s32 offset:204
	v_bfe_u32 v4, v2, 24, 7
	s_waitcnt vmcnt(1)
	v_mov_b32_e32 v5, v9
	s_mov_b32 s25, exec_lo
	s_waitcnt vmcnt(0)
	v_mov_b32_e32 v3, v6
	buffer_store_dword v2, off, s[0:3], s32 offset:200 ; 4-byte Folded Spill
	buffer_store_dword v3, off, s[0:3], s32 offset:204 ; 4-byte Folded Spill
	;; [unrolled: 1-line block ×4, first 2 shown]
	v_cmpx_ne_u32_e32 0x7f, v4
	s_cbranch_execz .LBB243_785
; %bb.782:                              ;   in Loop: Header=BB243_16 Depth=1
	v_mov_b32_e32 v3, 7
	s_mov_b32 s26, exec_lo
	v_and_b32_sdwa v8, v2, v3 dst_sel:DWORD dst_unused:UNUSED_PAD src0_sel:BYTE_3 src1_sel:DWORD
	v_lshrrev_b32_e32 v3, 3, v4
	v_cmpx_gt_u32_e32 8, v4
; %bb.783:                              ;   in Loop: Header=BB243_16 Depth=1
	v_ffbh_u32_e32 v3, v8
	v_min_u32_e32 v3, 32, v3
	v_subrev_nc_u32_e32 v4, 28, v3
	v_sub_nc_u32_e32 v3, 29, v3
	v_lshlrev_b64 v[4:5], v4, v[8:9]
	v_and_b32_e32 v8, 7, v4
; %bb.784:                              ;   in Loop: Header=BB243_16 Depth=1
	s_or_b32 exec_lo, exec_lo, s26
	v_mov_b32_e32 v4, 24
	v_lshl_add_u32 v3, v3, 23, 0x3c000000
	v_lshlrev_b32_sdwa v2, v4, v2 dst_sel:DWORD dst_unused:UNUSED_PAD src0_sel:DWORD src1_sel:BYTE_3
	v_lshlrev_b32_e32 v4, 20, v8
	v_and_b32_e32 v2, 0x80000000, v2
	v_or3_b32 v3, v4, v2, v3
	v_mov_b32_e32 v2, v9
	buffer_store_dword v2, off, s[0:3], s32 offset:1004 ; 4-byte Folded Spill
	buffer_store_dword v3, off, s[0:3], s32 offset:1008 ; 4-byte Folded Spill
.LBB243_785:                            ;   in Loop: Header=BB243_16 Depth=1
	s_or_b32 exec_lo, exec_lo, s25
.LBB243_786:                            ;   in Loop: Header=BB243_16 Depth=1
	s_or_b32 exec_lo, exec_lo, s24
.LBB243_787:                            ;   in Loop: Header=BB243_16 Depth=1
	s_or_b32 exec_lo, exec_lo, s23
	flat_load_dword v2, v[0:1] offset:1024
	v_mov_b32_e32 v3, 0
	v_mov_b32_e32 v4, 0
	buffer_store_dword v3, off, s[0:3], s32 offset:1028 ; 4-byte Folded Spill
	buffer_store_dword v4, off, s[0:3], s32 offset:1032 ; 4-byte Folded Spill
	v_mov_b32_e32 v3, 0
	v_mov_b32_e32 v4, 0
	buffer_store_dword v3, off, s[0:3], s32 offset:1020 ; 4-byte Folded Spill
	buffer_store_dword v4, off, s[0:3], s32 offset:1024 ; 4-byte Folded Spill
	s_waitcnt vmcnt(0) lgkmcnt(0)
	v_cmp_ne_u16_sdwa s5, v2, v9 src0_sel:BYTE_0 src1_sel:DWORD
	s_and_saveexec_b32 s23, s5
	s_cbranch_execz .LBB243_795
; %bb.788:                              ;   in Loop: Header=BB243_16 Depth=1
	v_bfrev_b32_e32 v3, 1
	v_mov_b32_e32 v4, 0
	buffer_store_dword v3, off, s[0:3], s32 offset:1020 ; 4-byte Folded Spill
	buffer_store_dword v4, off, s[0:3], s32 offset:1024 ; 4-byte Folded Spill
	v_mov_b32_e32 v3, 0x80
	v_cmp_ne_u16_sdwa s5, v2, v3 src0_sel:BYTE_0 src1_sel:DWORD
	s_and_saveexec_b32 s24, s5
	s_cbranch_execz .LBB243_794
; %bb.789:                              ;   in Loop: Header=BB243_16 Depth=1
	v_mov_b32_e32 v5, 0x7f800001
	v_and_b32_e32 v4, 0x7f, v2
	v_mov_b32_e32 v6, 0
	s_mov_b32 s25, exec_lo
	buffer_store_dword v5, off, s[0:3], s32 offset:1020 ; 4-byte Folded Spill
	buffer_store_dword v6, off, s[0:3], s32 offset:1024 ; 4-byte Folded Spill
	v_cmpx_ne_u32_e32 0x7f, v4
	s_cbranch_execz .LBB243_793
; %bb.790:                              ;   in Loop: Header=BB243_16 Depth=1
	v_and_b32_e32 v8, 7, v2
	v_lshrrev_b32_e32 v3, 3, v4
	s_mov_b32 s26, exec_lo
	v_cmpx_gt_u32_e32 8, v4
; %bb.791:                              ;   in Loop: Header=BB243_16 Depth=1
	v_ffbh_u32_e32 v3, v8
	v_min_u32_e32 v3, 32, v3
	v_subrev_nc_u32_e32 v4, 28, v3
	v_sub_nc_u32_e32 v3, 29, v3
	v_lshlrev_b64 v[4:5], v4, v[8:9]
	v_and_b32_e32 v8, 7, v4
; %bb.792:                              ;   in Loop: Header=BB243_16 Depth=1
	s_or_b32 exec_lo, exec_lo, s26
	v_lshlrev_b32_e32 v4, 24, v2
	v_lshlrev_b32_e32 v5, 20, v8
	v_lshl_add_u32 v3, v3, 23, 0x3c000000
	v_and_b32_e32 v4, 0x80000000, v4
	v_or3_b32 v8, v5, v4, v3
	buffer_store_dword v8, off, s[0:3], s32 offset:1020 ; 4-byte Folded Spill
	buffer_store_dword v9, off, s[0:3], s32 offset:1024 ; 4-byte Folded Spill
.LBB243_793:                            ;   in Loop: Header=BB243_16 Depth=1
	s_or_b32 exec_lo, exec_lo, s25
.LBB243_794:                            ;   in Loop: Header=BB243_16 Depth=1
	s_or_b32 exec_lo, exec_lo, s24
.LBB243_795:                            ;   in Loop: Header=BB243_16 Depth=1
	s_or_b32 exec_lo, exec_lo, s23
	v_cmp_ne_u16_sdwa s5, v2, v9 src0_sel:BYTE_1 src1_sel:DWORD
	s_and_saveexec_b32 s23, s5
	s_cbranch_execz .LBB243_803
; %bb.796:                              ;   in Loop: Header=BB243_16 Depth=1
	v_mov_b32_e32 v3, 0x80
	v_mov_b32_e32 v46, v9
	buffer_store_dword v46, off, s[0:3], s32 offset:1028 ; 4-byte Folded Spill
	buffer_store_dword v47, off, s[0:3], s32 offset:1032 ; 4-byte Folded Spill
	v_cmp_ne_u16_sdwa s5, v2, v3 src0_sel:BYTE_1 src1_sel:DWORD
	s_and_saveexec_b32 s24, s5
	s_cbranch_execz .LBB243_802
; %bb.797:                              ;   in Loop: Header=BB243_16 Depth=1
	s_clause 0x1
	buffer_load_dword v5, off, s[0:3], s32 offset:200
	buffer_load_dword v6, off, s[0:3], s32 offset:204
	v_mov_b32_e32 v3, 0xffff
	s_mov_b32 s25, exec_lo
	v_and_b32_sdwa v3, v3, v2 dst_sel:DWORD dst_unused:UNUSED_PAD src0_sel:DWORD src1_sel:BYTE_1
	v_and_b32_e32 v4, 0x7f, v3
	s_waitcnt vmcnt(0)
	v_mov_b32_e32 v7, v6
	v_mov_b32_e32 v6, v9
	;; [unrolled: 1-line block ×3, first 2 shown]
	buffer_store_dword v4, off, s[0:3], s32 offset:200 ; 4-byte Folded Spill
	buffer_store_dword v5, off, s[0:3], s32 offset:204 ; 4-byte Folded Spill
	;; [unrolled: 1-line block ×4, first 2 shown]
	v_cmpx_ne_u32_e32 0x7f, v4
	s_cbranch_execz .LBB243_801
; %bb.798:                              ;   in Loop: Header=BB243_16 Depth=1
	v_and_b32_e32 v8, 7, v3
	v_lshrrev_b32_e32 v3, 3, v4
	s_mov_b32 s26, exec_lo
	v_cmpx_gt_u32_e32 8, v4
; %bb.799:                              ;   in Loop: Header=BB243_16 Depth=1
	v_ffbh_u32_e32 v3, v8
	v_min_u32_e32 v3, 32, v3
	v_subrev_nc_u32_e32 v4, 28, v3
	v_sub_nc_u32_e32 v3, 29, v3
	v_lshlrev_b64 v[4:5], v4, v[8:9]
	v_and_b32_e32 v8, 7, v4
; %bb.800:                              ;   in Loop: Header=BB243_16 Depth=1
	s_or_b32 exec_lo, exec_lo, s26
	v_lshlrev_b32_e32 v4, 16, v2
	v_lshlrev_b32_e32 v5, 20, v8
	v_lshl_add_u32 v3, v3, 23, 0x3c000000
	v_and_b32_e32 v4, 0x80000000, v4
	v_or3_b32 v4, v5, v4, v3
	v_mov_b32_e32 v3, v9
	buffer_store_dword v3, off, s[0:3], s32 offset:1028 ; 4-byte Folded Spill
	buffer_store_dword v4, off, s[0:3], s32 offset:1032 ; 4-byte Folded Spill
.LBB243_801:                            ;   in Loop: Header=BB243_16 Depth=1
	s_or_b32 exec_lo, exec_lo, s25
.LBB243_802:                            ;   in Loop: Header=BB243_16 Depth=1
	s_or_b32 exec_lo, exec_lo, s24
.LBB243_803:                            ;   in Loop: Header=BB243_16 Depth=1
	s_or_b32 exec_lo, exec_lo, s23
	v_mov_b32_e32 v4, 0
	v_mov_b32_e32 v5, 0
	;; [unrolled: 1-line block ×3, first 2 shown]
	s_mov_b32 s23, exec_lo
	buffer_store_dword v4, off, s[0:3], s32 offset:1036 ; 4-byte Folded Spill
	buffer_store_dword v5, off, s[0:3], s32 offset:1040 ; 4-byte Folded Spill
	v_mov_b32_e32 v4, 0
	v_and_b32_sdwa v3, v2, v3 dst_sel:DWORD dst_unused:UNUSED_PAD src0_sel:WORD_1 src1_sel:DWORD
	v_mov_b32_e32 v5, 0
	buffer_store_dword v4, off, s[0:3], s32 offset:1044 ; 4-byte Folded Spill
	buffer_store_dword v5, off, s[0:3], s32 offset:1048 ; 4-byte Folded Spill
	v_cmpx_ne_u16_e32 0, v3
	s_cbranch_execz .LBB243_811
; %bb.804:                              ;   in Loop: Header=BB243_16 Depth=1
	v_cmp_ne_u16_e64 s5, 0x80, v3
	v_bfrev_b32_e32 v3, 1
	v_mov_b32_e32 v4, 0
	buffer_store_dword v3, off, s[0:3], s32 offset:1044 ; 4-byte Folded Spill
	buffer_store_dword v4, off, s[0:3], s32 offset:1048 ; 4-byte Folded Spill
	s_and_saveexec_b32 s24, s5
	s_cbranch_execz .LBB243_810
; %bb.805:                              ;   in Loop: Header=BB243_16 Depth=1
	v_mov_b32_e32 v5, 0x7f800001
	v_bfe_u32 v4, v2, 16, 7
	v_mov_b32_e32 v6, 0
	s_mov_b32 s25, exec_lo
	buffer_store_dword v5, off, s[0:3], s32 offset:1044 ; 4-byte Folded Spill
	buffer_store_dword v6, off, s[0:3], s32 offset:1048 ; 4-byte Folded Spill
	v_cmpx_ne_u32_e32 0x7f, v4
	s_cbranch_execz .LBB243_809
; %bb.806:                              ;   in Loop: Header=BB243_16 Depth=1
	v_mov_b32_e32 v3, 7
	s_mov_b32 s26, exec_lo
	v_and_b32_sdwa v8, v2, v3 dst_sel:DWORD dst_unused:UNUSED_PAD src0_sel:WORD_1 src1_sel:DWORD
	v_lshrrev_b32_e32 v3, 3, v4
	v_cmpx_gt_u32_e32 8, v4
; %bb.807:                              ;   in Loop: Header=BB243_16 Depth=1
	v_ffbh_u32_e32 v3, v8
	v_min_u32_e32 v3, 32, v3
	v_subrev_nc_u32_e32 v4, 28, v3
	v_sub_nc_u32_e32 v3, 29, v3
	v_lshlrev_b64 v[4:5], v4, v[8:9]
	v_and_b32_e32 v8, 7, v4
; %bb.808:                              ;   in Loop: Header=BB243_16 Depth=1
	s_or_b32 exec_lo, exec_lo, s26
	v_mov_b32_e32 v4, 24
	v_lshlrev_b32_e32 v5, 20, v8
	v_lshl_add_u32 v3, v3, 23, 0x3c000000
	v_lshlrev_b32_sdwa v4, v4, v2 dst_sel:DWORD dst_unused:UNUSED_PAD src0_sel:DWORD src1_sel:WORD_1
	v_and_b32_e32 v4, 0x80000000, v4
	v_or3_b32 v8, v5, v4, v3
	buffer_store_dword v8, off, s[0:3], s32 offset:1044 ; 4-byte Folded Spill
	buffer_store_dword v9, off, s[0:3], s32 offset:1048 ; 4-byte Folded Spill
.LBB243_809:                            ;   in Loop: Header=BB243_16 Depth=1
	s_or_b32 exec_lo, exec_lo, s25
.LBB243_810:                            ;   in Loop: Header=BB243_16 Depth=1
	s_or_b32 exec_lo, exec_lo, s24
.LBB243_811:                            ;   in Loop: Header=BB243_16 Depth=1
	s_or_b32 exec_lo, exec_lo, s23
	s_mov_b32 s23, exec_lo
	v_cmpx_lt_u32_e32 0xffffff, v2
	s_cbranch_execz .LBB243_819
; %bb.812:                              ;   in Loop: Header=BB243_16 Depth=1
	v_mov_b32_e32 v3, 0x80
	v_mov_b32_e32 v46, v9
	buffer_store_dword v46, off, s[0:3], s32 offset:1036 ; 4-byte Folded Spill
	buffer_store_dword v47, off, s[0:3], s32 offset:1040 ; 4-byte Folded Spill
	v_cmp_ne_u32_sdwa s5, v2, v3 src0_sel:BYTE_3 src1_sel:DWORD
	s_and_saveexec_b32 s24, s5
	s_cbranch_execz .LBB243_818
; %bb.813:                              ;   in Loop: Header=BB243_16 Depth=1
	s_clause 0x1
	buffer_load_dword v5, off, s[0:3], s32 offset:200
	buffer_load_dword v6, off, s[0:3], s32 offset:204
	v_bfe_u32 v4, v2, 24, 7
	s_waitcnt vmcnt(1)
	v_mov_b32_e32 v5, v9
	s_mov_b32 s25, exec_lo
	s_waitcnt vmcnt(0)
	v_mov_b32_e32 v3, v6
	buffer_store_dword v2, off, s[0:3], s32 offset:200 ; 4-byte Folded Spill
	buffer_store_dword v3, off, s[0:3], s32 offset:204 ; 4-byte Folded Spill
	;; [unrolled: 1-line block ×4, first 2 shown]
	v_cmpx_ne_u32_e32 0x7f, v4
	s_cbranch_execz .LBB243_817
; %bb.814:                              ;   in Loop: Header=BB243_16 Depth=1
	v_mov_b32_e32 v3, 7
	s_mov_b32 s26, exec_lo
	v_and_b32_sdwa v8, v2, v3 dst_sel:DWORD dst_unused:UNUSED_PAD src0_sel:BYTE_3 src1_sel:DWORD
	v_lshrrev_b32_e32 v3, 3, v4
	v_cmpx_gt_u32_e32 8, v4
; %bb.815:                              ;   in Loop: Header=BB243_16 Depth=1
	v_ffbh_u32_e32 v3, v8
	v_min_u32_e32 v3, 32, v3
	v_subrev_nc_u32_e32 v4, 28, v3
	v_sub_nc_u32_e32 v3, 29, v3
	v_lshlrev_b64 v[4:5], v4, v[8:9]
	v_and_b32_e32 v8, 7, v4
; %bb.816:                              ;   in Loop: Header=BB243_16 Depth=1
	s_or_b32 exec_lo, exec_lo, s26
	v_mov_b32_e32 v4, 24
	v_lshl_add_u32 v3, v3, 23, 0x3c000000
	v_lshlrev_b32_sdwa v2, v4, v2 dst_sel:DWORD dst_unused:UNUSED_PAD src0_sel:DWORD src1_sel:BYTE_3
	v_lshlrev_b32_e32 v4, 20, v8
	v_and_b32_e32 v2, 0x80000000, v2
	v_or3_b32 v3, v4, v2, v3
	v_mov_b32_e32 v2, v9
	buffer_store_dword v2, off, s[0:3], s32 offset:1036 ; 4-byte Folded Spill
	buffer_store_dword v3, off, s[0:3], s32 offset:1040 ; 4-byte Folded Spill
.LBB243_817:                            ;   in Loop: Header=BB243_16 Depth=1
	s_or_b32 exec_lo, exec_lo, s25
.LBB243_818:                            ;   in Loop: Header=BB243_16 Depth=1
	s_or_b32 exec_lo, exec_lo, s24
.LBB243_819:                            ;   in Loop: Header=BB243_16 Depth=1
	s_or_b32 exec_lo, exec_lo, s23
	flat_load_dword v2, v[0:1] offset:1028
	v_mov_b32_e32 v3, 0
	v_mov_b32_e32 v4, 0
	buffer_store_dword v3, off, s[0:3], s32 offset:1060 ; 4-byte Folded Spill
	buffer_store_dword v4, off, s[0:3], s32 offset:1064 ; 4-byte Folded Spill
	v_mov_b32_e32 v3, 0
	v_mov_b32_e32 v4, 0
	buffer_store_dword v3, off, s[0:3], s32 offset:1052 ; 4-byte Folded Spill
	buffer_store_dword v4, off, s[0:3], s32 offset:1056 ; 4-byte Folded Spill
	s_waitcnt vmcnt(0) lgkmcnt(0)
	v_cmp_ne_u16_sdwa s5, v2, v9 src0_sel:BYTE_0 src1_sel:DWORD
	s_and_saveexec_b32 s23, s5
	s_cbranch_execz .LBB243_827
; %bb.820:                              ;   in Loop: Header=BB243_16 Depth=1
	v_bfrev_b32_e32 v3, 1
	v_mov_b32_e32 v4, 0
	buffer_store_dword v3, off, s[0:3], s32 offset:1052 ; 4-byte Folded Spill
	buffer_store_dword v4, off, s[0:3], s32 offset:1056 ; 4-byte Folded Spill
	v_mov_b32_e32 v3, 0x80
	v_cmp_ne_u16_sdwa s5, v2, v3 src0_sel:BYTE_0 src1_sel:DWORD
	s_and_saveexec_b32 s24, s5
	s_cbranch_execz .LBB243_826
; %bb.821:                              ;   in Loop: Header=BB243_16 Depth=1
	v_mov_b32_e32 v5, 0x7f800001
	v_and_b32_e32 v4, 0x7f, v2
	v_mov_b32_e32 v6, 0
	s_mov_b32 s25, exec_lo
	buffer_store_dword v5, off, s[0:3], s32 offset:1052 ; 4-byte Folded Spill
	buffer_store_dword v6, off, s[0:3], s32 offset:1056 ; 4-byte Folded Spill
	v_cmpx_ne_u32_e32 0x7f, v4
	s_cbranch_execz .LBB243_825
; %bb.822:                              ;   in Loop: Header=BB243_16 Depth=1
	v_and_b32_e32 v8, 7, v2
	v_lshrrev_b32_e32 v3, 3, v4
	s_mov_b32 s26, exec_lo
	v_cmpx_gt_u32_e32 8, v4
; %bb.823:                              ;   in Loop: Header=BB243_16 Depth=1
	v_ffbh_u32_e32 v3, v8
	v_min_u32_e32 v3, 32, v3
	v_subrev_nc_u32_e32 v4, 28, v3
	v_sub_nc_u32_e32 v3, 29, v3
	v_lshlrev_b64 v[4:5], v4, v[8:9]
	v_and_b32_e32 v8, 7, v4
; %bb.824:                              ;   in Loop: Header=BB243_16 Depth=1
	s_or_b32 exec_lo, exec_lo, s26
	v_lshlrev_b32_e32 v4, 24, v2
	v_lshlrev_b32_e32 v5, 20, v8
	v_lshl_add_u32 v3, v3, 23, 0x3c000000
	v_and_b32_e32 v4, 0x80000000, v4
	v_or3_b32 v8, v5, v4, v3
	buffer_store_dword v8, off, s[0:3], s32 offset:1052 ; 4-byte Folded Spill
	buffer_store_dword v9, off, s[0:3], s32 offset:1056 ; 4-byte Folded Spill
.LBB243_825:                            ;   in Loop: Header=BB243_16 Depth=1
	s_or_b32 exec_lo, exec_lo, s25
.LBB243_826:                            ;   in Loop: Header=BB243_16 Depth=1
	s_or_b32 exec_lo, exec_lo, s24
.LBB243_827:                            ;   in Loop: Header=BB243_16 Depth=1
	s_or_b32 exec_lo, exec_lo, s23
	v_cmp_ne_u16_sdwa s5, v2, v9 src0_sel:BYTE_1 src1_sel:DWORD
	s_and_saveexec_b32 s23, s5
	s_cbranch_execz .LBB243_835
; %bb.828:                              ;   in Loop: Header=BB243_16 Depth=1
	v_mov_b32_e32 v3, 0x80
	v_mov_b32_e32 v46, v9
	buffer_store_dword v46, off, s[0:3], s32 offset:1060 ; 4-byte Folded Spill
	buffer_store_dword v47, off, s[0:3], s32 offset:1064 ; 4-byte Folded Spill
	v_cmp_ne_u16_sdwa s5, v2, v3 src0_sel:BYTE_1 src1_sel:DWORD
	s_and_saveexec_b32 s24, s5
	s_cbranch_execz .LBB243_834
; %bb.829:                              ;   in Loop: Header=BB243_16 Depth=1
	s_clause 0x1
	buffer_load_dword v5, off, s[0:3], s32 offset:200
	buffer_load_dword v6, off, s[0:3], s32 offset:204
	v_mov_b32_e32 v3, 0xffff
	s_mov_b32 s25, exec_lo
	v_and_b32_sdwa v3, v3, v2 dst_sel:DWORD dst_unused:UNUSED_PAD src0_sel:DWORD src1_sel:BYTE_1
	v_and_b32_e32 v4, 0x7f, v3
	s_waitcnt vmcnt(0)
	v_mov_b32_e32 v7, v6
	v_mov_b32_e32 v6, v9
	;; [unrolled: 1-line block ×3, first 2 shown]
	buffer_store_dword v4, off, s[0:3], s32 offset:200 ; 4-byte Folded Spill
	buffer_store_dword v5, off, s[0:3], s32 offset:204 ; 4-byte Folded Spill
	;; [unrolled: 1-line block ×4, first 2 shown]
	v_cmpx_ne_u32_e32 0x7f, v4
	s_cbranch_execz .LBB243_833
; %bb.830:                              ;   in Loop: Header=BB243_16 Depth=1
	v_and_b32_e32 v8, 7, v3
	v_lshrrev_b32_e32 v3, 3, v4
	s_mov_b32 s26, exec_lo
	v_cmpx_gt_u32_e32 8, v4
; %bb.831:                              ;   in Loop: Header=BB243_16 Depth=1
	v_ffbh_u32_e32 v3, v8
	v_min_u32_e32 v3, 32, v3
	v_subrev_nc_u32_e32 v4, 28, v3
	v_sub_nc_u32_e32 v3, 29, v3
	v_lshlrev_b64 v[4:5], v4, v[8:9]
	v_and_b32_e32 v8, 7, v4
; %bb.832:                              ;   in Loop: Header=BB243_16 Depth=1
	s_or_b32 exec_lo, exec_lo, s26
	v_lshlrev_b32_e32 v4, 16, v2
	v_lshlrev_b32_e32 v5, 20, v8
	v_lshl_add_u32 v3, v3, 23, 0x3c000000
	v_and_b32_e32 v4, 0x80000000, v4
	v_or3_b32 v4, v5, v4, v3
	v_mov_b32_e32 v3, v9
	buffer_store_dword v3, off, s[0:3], s32 offset:1060 ; 4-byte Folded Spill
	buffer_store_dword v4, off, s[0:3], s32 offset:1064 ; 4-byte Folded Spill
.LBB243_833:                            ;   in Loop: Header=BB243_16 Depth=1
	s_or_b32 exec_lo, exec_lo, s25
.LBB243_834:                            ;   in Loop: Header=BB243_16 Depth=1
	s_or_b32 exec_lo, exec_lo, s24
.LBB243_835:                            ;   in Loop: Header=BB243_16 Depth=1
	s_or_b32 exec_lo, exec_lo, s23
	v_mov_b32_e32 v4, 0
	v_mov_b32_e32 v5, 0
	;; [unrolled: 1-line block ×3, first 2 shown]
	s_mov_b32 s23, exec_lo
	buffer_store_dword v4, off, s[0:3], s32 offset:1068 ; 4-byte Folded Spill
	buffer_store_dword v5, off, s[0:3], s32 offset:1072 ; 4-byte Folded Spill
	v_mov_b32_e32 v4, 0
	v_and_b32_sdwa v3, v2, v3 dst_sel:DWORD dst_unused:UNUSED_PAD src0_sel:WORD_1 src1_sel:DWORD
	v_mov_b32_e32 v5, 0
	buffer_store_dword v4, off, s[0:3], s32 offset:1076 ; 4-byte Folded Spill
	buffer_store_dword v5, off, s[0:3], s32 offset:1080 ; 4-byte Folded Spill
	v_cmpx_ne_u16_e32 0, v3
	s_cbranch_execz .LBB243_843
; %bb.836:                              ;   in Loop: Header=BB243_16 Depth=1
	v_cmp_ne_u16_e64 s5, 0x80, v3
	v_bfrev_b32_e32 v3, 1
	v_mov_b32_e32 v4, 0
	buffer_store_dword v3, off, s[0:3], s32 offset:1076 ; 4-byte Folded Spill
	buffer_store_dword v4, off, s[0:3], s32 offset:1080 ; 4-byte Folded Spill
	s_and_saveexec_b32 s24, s5
	s_cbranch_execz .LBB243_842
; %bb.837:                              ;   in Loop: Header=BB243_16 Depth=1
	v_mov_b32_e32 v5, 0x7f800001
	v_bfe_u32 v4, v2, 16, 7
	v_mov_b32_e32 v6, 0
	s_mov_b32 s25, exec_lo
	buffer_store_dword v5, off, s[0:3], s32 offset:1076 ; 4-byte Folded Spill
	buffer_store_dword v6, off, s[0:3], s32 offset:1080 ; 4-byte Folded Spill
	v_cmpx_ne_u32_e32 0x7f, v4
	s_cbranch_execz .LBB243_841
; %bb.838:                              ;   in Loop: Header=BB243_16 Depth=1
	v_mov_b32_e32 v3, 7
	s_mov_b32 s26, exec_lo
	v_and_b32_sdwa v8, v2, v3 dst_sel:DWORD dst_unused:UNUSED_PAD src0_sel:WORD_1 src1_sel:DWORD
	v_lshrrev_b32_e32 v3, 3, v4
	v_cmpx_gt_u32_e32 8, v4
; %bb.839:                              ;   in Loop: Header=BB243_16 Depth=1
	v_ffbh_u32_e32 v3, v8
	v_min_u32_e32 v3, 32, v3
	v_subrev_nc_u32_e32 v4, 28, v3
	v_sub_nc_u32_e32 v3, 29, v3
	v_lshlrev_b64 v[4:5], v4, v[8:9]
	v_and_b32_e32 v8, 7, v4
; %bb.840:                              ;   in Loop: Header=BB243_16 Depth=1
	s_or_b32 exec_lo, exec_lo, s26
	v_mov_b32_e32 v4, 24
	v_lshlrev_b32_e32 v5, 20, v8
	v_lshl_add_u32 v3, v3, 23, 0x3c000000
	v_lshlrev_b32_sdwa v4, v4, v2 dst_sel:DWORD dst_unused:UNUSED_PAD src0_sel:DWORD src1_sel:WORD_1
	v_and_b32_e32 v4, 0x80000000, v4
	v_or3_b32 v8, v5, v4, v3
	buffer_store_dword v8, off, s[0:3], s32 offset:1076 ; 4-byte Folded Spill
	buffer_store_dword v9, off, s[0:3], s32 offset:1080 ; 4-byte Folded Spill
.LBB243_841:                            ;   in Loop: Header=BB243_16 Depth=1
	s_or_b32 exec_lo, exec_lo, s25
.LBB243_842:                            ;   in Loop: Header=BB243_16 Depth=1
	s_or_b32 exec_lo, exec_lo, s24
.LBB243_843:                            ;   in Loop: Header=BB243_16 Depth=1
	s_or_b32 exec_lo, exec_lo, s23
	s_mov_b32 s23, exec_lo
	v_cmpx_lt_u32_e32 0xffffff, v2
	s_cbranch_execz .LBB243_851
; %bb.844:                              ;   in Loop: Header=BB243_16 Depth=1
	v_mov_b32_e32 v3, 0x80
	v_mov_b32_e32 v46, v9
	buffer_store_dword v46, off, s[0:3], s32 offset:1068 ; 4-byte Folded Spill
	buffer_store_dword v47, off, s[0:3], s32 offset:1072 ; 4-byte Folded Spill
	v_cmp_ne_u32_sdwa s5, v2, v3 src0_sel:BYTE_3 src1_sel:DWORD
	s_and_saveexec_b32 s24, s5
	s_cbranch_execz .LBB243_850
; %bb.845:                              ;   in Loop: Header=BB243_16 Depth=1
	s_clause 0x1
	buffer_load_dword v5, off, s[0:3], s32 offset:200
	buffer_load_dword v6, off, s[0:3], s32 offset:204
	v_bfe_u32 v4, v2, 24, 7
	s_waitcnt vmcnt(1)
	v_mov_b32_e32 v5, v9
	s_mov_b32 s25, exec_lo
	s_waitcnt vmcnt(0)
	v_mov_b32_e32 v3, v6
	buffer_store_dword v2, off, s[0:3], s32 offset:200 ; 4-byte Folded Spill
	buffer_store_dword v3, off, s[0:3], s32 offset:204 ; 4-byte Folded Spill
	buffer_store_dword v5, off, s[0:3], s32 offset:1068 ; 4-byte Folded Spill
	buffer_store_dword v6, off, s[0:3], s32 offset:1072 ; 4-byte Folded Spill
	v_cmpx_ne_u32_e32 0x7f, v4
	s_cbranch_execz .LBB243_849
; %bb.846:                              ;   in Loop: Header=BB243_16 Depth=1
	v_mov_b32_e32 v3, 7
	s_mov_b32 s26, exec_lo
	v_and_b32_sdwa v8, v2, v3 dst_sel:DWORD dst_unused:UNUSED_PAD src0_sel:BYTE_3 src1_sel:DWORD
	v_lshrrev_b32_e32 v3, 3, v4
	v_cmpx_gt_u32_e32 8, v4
; %bb.847:                              ;   in Loop: Header=BB243_16 Depth=1
	v_ffbh_u32_e32 v3, v8
	v_min_u32_e32 v3, 32, v3
	v_subrev_nc_u32_e32 v4, 28, v3
	v_sub_nc_u32_e32 v3, 29, v3
	v_lshlrev_b64 v[4:5], v4, v[8:9]
	v_and_b32_e32 v8, 7, v4
; %bb.848:                              ;   in Loop: Header=BB243_16 Depth=1
	s_or_b32 exec_lo, exec_lo, s26
	v_mov_b32_e32 v4, 24
	v_lshl_add_u32 v3, v3, 23, 0x3c000000
	v_lshlrev_b32_sdwa v2, v4, v2 dst_sel:DWORD dst_unused:UNUSED_PAD src0_sel:DWORD src1_sel:BYTE_3
	v_lshlrev_b32_e32 v4, 20, v8
	v_and_b32_e32 v2, 0x80000000, v2
	v_or3_b32 v3, v4, v2, v3
	v_mov_b32_e32 v2, v9
	buffer_store_dword v2, off, s[0:3], s32 offset:1068 ; 4-byte Folded Spill
	buffer_store_dword v3, off, s[0:3], s32 offset:1072 ; 4-byte Folded Spill
.LBB243_849:                            ;   in Loop: Header=BB243_16 Depth=1
	s_or_b32 exec_lo, exec_lo, s25
.LBB243_850:                            ;   in Loop: Header=BB243_16 Depth=1
	s_or_b32 exec_lo, exec_lo, s24
.LBB243_851:                            ;   in Loop: Header=BB243_16 Depth=1
	s_or_b32 exec_lo, exec_lo, s23
	flat_load_dword v2, v[0:1] offset:1032
	v_mov_b32_e32 v3, 0
	v_mov_b32_e32 v4, 0
	buffer_store_dword v3, off, s[0:3], s32 offset:1092 ; 4-byte Folded Spill
	buffer_store_dword v4, off, s[0:3], s32 offset:1096 ; 4-byte Folded Spill
	v_mov_b32_e32 v3, 0
	v_mov_b32_e32 v4, 0
	buffer_store_dword v3, off, s[0:3], s32 offset:1084 ; 4-byte Folded Spill
	buffer_store_dword v4, off, s[0:3], s32 offset:1088 ; 4-byte Folded Spill
	s_waitcnt vmcnt(0) lgkmcnt(0)
	v_cmp_ne_u16_sdwa s5, v2, v9 src0_sel:BYTE_0 src1_sel:DWORD
	s_and_saveexec_b32 s23, s5
	s_cbranch_execz .LBB243_859
; %bb.852:                              ;   in Loop: Header=BB243_16 Depth=1
	v_bfrev_b32_e32 v3, 1
	v_mov_b32_e32 v4, 0
	buffer_store_dword v3, off, s[0:3], s32 offset:1084 ; 4-byte Folded Spill
	buffer_store_dword v4, off, s[0:3], s32 offset:1088 ; 4-byte Folded Spill
	v_mov_b32_e32 v3, 0x80
	v_cmp_ne_u16_sdwa s5, v2, v3 src0_sel:BYTE_0 src1_sel:DWORD
	s_and_saveexec_b32 s24, s5
	s_cbranch_execz .LBB243_858
; %bb.853:                              ;   in Loop: Header=BB243_16 Depth=1
	v_mov_b32_e32 v5, 0x7f800001
	v_and_b32_e32 v4, 0x7f, v2
	v_mov_b32_e32 v6, 0
	s_mov_b32 s25, exec_lo
	buffer_store_dword v5, off, s[0:3], s32 offset:1084 ; 4-byte Folded Spill
	buffer_store_dword v6, off, s[0:3], s32 offset:1088 ; 4-byte Folded Spill
	v_cmpx_ne_u32_e32 0x7f, v4
	s_cbranch_execz .LBB243_857
; %bb.854:                              ;   in Loop: Header=BB243_16 Depth=1
	v_and_b32_e32 v8, 7, v2
	v_lshrrev_b32_e32 v3, 3, v4
	s_mov_b32 s26, exec_lo
	v_cmpx_gt_u32_e32 8, v4
; %bb.855:                              ;   in Loop: Header=BB243_16 Depth=1
	v_ffbh_u32_e32 v3, v8
	v_min_u32_e32 v3, 32, v3
	v_subrev_nc_u32_e32 v4, 28, v3
	v_sub_nc_u32_e32 v3, 29, v3
	v_lshlrev_b64 v[4:5], v4, v[8:9]
	v_and_b32_e32 v8, 7, v4
; %bb.856:                              ;   in Loop: Header=BB243_16 Depth=1
	s_or_b32 exec_lo, exec_lo, s26
	v_lshlrev_b32_e32 v4, 24, v2
	v_lshlrev_b32_e32 v5, 20, v8
	v_lshl_add_u32 v3, v3, 23, 0x3c000000
	v_and_b32_e32 v4, 0x80000000, v4
	v_or3_b32 v8, v5, v4, v3
	buffer_store_dword v8, off, s[0:3], s32 offset:1084 ; 4-byte Folded Spill
	buffer_store_dword v9, off, s[0:3], s32 offset:1088 ; 4-byte Folded Spill
.LBB243_857:                            ;   in Loop: Header=BB243_16 Depth=1
	s_or_b32 exec_lo, exec_lo, s25
.LBB243_858:                            ;   in Loop: Header=BB243_16 Depth=1
	s_or_b32 exec_lo, exec_lo, s24
.LBB243_859:                            ;   in Loop: Header=BB243_16 Depth=1
	s_or_b32 exec_lo, exec_lo, s23
	v_cmp_ne_u16_sdwa s5, v2, v9 src0_sel:BYTE_1 src1_sel:DWORD
	s_and_saveexec_b32 s23, s5
	s_cbranch_execz .LBB243_867
; %bb.860:                              ;   in Loop: Header=BB243_16 Depth=1
	v_mov_b32_e32 v3, 0x80
	v_mov_b32_e32 v46, v9
	buffer_store_dword v46, off, s[0:3], s32 offset:1092 ; 4-byte Folded Spill
	buffer_store_dword v47, off, s[0:3], s32 offset:1096 ; 4-byte Folded Spill
	v_cmp_ne_u16_sdwa s5, v2, v3 src0_sel:BYTE_1 src1_sel:DWORD
	s_and_saveexec_b32 s24, s5
	s_cbranch_execz .LBB243_866
; %bb.861:                              ;   in Loop: Header=BB243_16 Depth=1
	s_clause 0x1
	buffer_load_dword v5, off, s[0:3], s32 offset:200
	buffer_load_dword v6, off, s[0:3], s32 offset:204
	v_mov_b32_e32 v3, 0xffff
	s_mov_b32 s25, exec_lo
	v_and_b32_sdwa v3, v3, v2 dst_sel:DWORD dst_unused:UNUSED_PAD src0_sel:DWORD src1_sel:BYTE_1
	v_and_b32_e32 v4, 0x7f, v3
	s_waitcnt vmcnt(0)
	v_mov_b32_e32 v7, v6
	v_mov_b32_e32 v6, v9
	;; [unrolled: 1-line block ×3, first 2 shown]
	buffer_store_dword v4, off, s[0:3], s32 offset:200 ; 4-byte Folded Spill
	buffer_store_dword v5, off, s[0:3], s32 offset:204 ; 4-byte Folded Spill
	;; [unrolled: 1-line block ×4, first 2 shown]
	v_cmpx_ne_u32_e32 0x7f, v4
	s_cbranch_execz .LBB243_865
; %bb.862:                              ;   in Loop: Header=BB243_16 Depth=1
	v_and_b32_e32 v8, 7, v3
	v_lshrrev_b32_e32 v3, 3, v4
	s_mov_b32 s26, exec_lo
	v_cmpx_gt_u32_e32 8, v4
; %bb.863:                              ;   in Loop: Header=BB243_16 Depth=1
	v_ffbh_u32_e32 v3, v8
	v_min_u32_e32 v3, 32, v3
	v_subrev_nc_u32_e32 v4, 28, v3
	v_sub_nc_u32_e32 v3, 29, v3
	v_lshlrev_b64 v[4:5], v4, v[8:9]
	v_and_b32_e32 v8, 7, v4
; %bb.864:                              ;   in Loop: Header=BB243_16 Depth=1
	s_or_b32 exec_lo, exec_lo, s26
	v_lshlrev_b32_e32 v4, 16, v2
	v_lshlrev_b32_e32 v5, 20, v8
	v_lshl_add_u32 v3, v3, 23, 0x3c000000
	v_and_b32_e32 v4, 0x80000000, v4
	v_or3_b32 v4, v5, v4, v3
	v_mov_b32_e32 v3, v9
	buffer_store_dword v3, off, s[0:3], s32 offset:1092 ; 4-byte Folded Spill
	buffer_store_dword v4, off, s[0:3], s32 offset:1096 ; 4-byte Folded Spill
.LBB243_865:                            ;   in Loop: Header=BB243_16 Depth=1
	s_or_b32 exec_lo, exec_lo, s25
.LBB243_866:                            ;   in Loop: Header=BB243_16 Depth=1
	s_or_b32 exec_lo, exec_lo, s24
.LBB243_867:                            ;   in Loop: Header=BB243_16 Depth=1
	s_or_b32 exec_lo, exec_lo, s23
	v_mov_b32_e32 v4, 0
	v_mov_b32_e32 v5, 0
	;; [unrolled: 1-line block ×3, first 2 shown]
	s_mov_b32 s23, exec_lo
	buffer_store_dword v4, off, s[0:3], s32 offset:1100 ; 4-byte Folded Spill
	buffer_store_dword v5, off, s[0:3], s32 offset:1104 ; 4-byte Folded Spill
	v_mov_b32_e32 v4, 0
	v_and_b32_sdwa v3, v2, v3 dst_sel:DWORD dst_unused:UNUSED_PAD src0_sel:WORD_1 src1_sel:DWORD
	v_mov_b32_e32 v5, 0
	buffer_store_dword v4, off, s[0:3], s32 offset:1108 ; 4-byte Folded Spill
	buffer_store_dword v5, off, s[0:3], s32 offset:1112 ; 4-byte Folded Spill
	v_cmpx_ne_u16_e32 0, v3
	s_cbranch_execz .LBB243_875
; %bb.868:                              ;   in Loop: Header=BB243_16 Depth=1
	v_cmp_ne_u16_e64 s5, 0x80, v3
	v_bfrev_b32_e32 v3, 1
	v_mov_b32_e32 v4, 0
	buffer_store_dword v3, off, s[0:3], s32 offset:1108 ; 4-byte Folded Spill
	buffer_store_dword v4, off, s[0:3], s32 offset:1112 ; 4-byte Folded Spill
	s_and_saveexec_b32 s24, s5
	s_cbranch_execz .LBB243_874
; %bb.869:                              ;   in Loop: Header=BB243_16 Depth=1
	v_mov_b32_e32 v5, 0x7f800001
	v_bfe_u32 v4, v2, 16, 7
	v_mov_b32_e32 v6, 0
	s_mov_b32 s25, exec_lo
	buffer_store_dword v5, off, s[0:3], s32 offset:1108 ; 4-byte Folded Spill
	buffer_store_dword v6, off, s[0:3], s32 offset:1112 ; 4-byte Folded Spill
	v_cmpx_ne_u32_e32 0x7f, v4
	s_cbranch_execz .LBB243_873
; %bb.870:                              ;   in Loop: Header=BB243_16 Depth=1
	v_mov_b32_e32 v3, 7
	s_mov_b32 s26, exec_lo
	v_and_b32_sdwa v8, v2, v3 dst_sel:DWORD dst_unused:UNUSED_PAD src0_sel:WORD_1 src1_sel:DWORD
	v_lshrrev_b32_e32 v3, 3, v4
	v_cmpx_gt_u32_e32 8, v4
; %bb.871:                              ;   in Loop: Header=BB243_16 Depth=1
	v_ffbh_u32_e32 v3, v8
	v_min_u32_e32 v3, 32, v3
	v_subrev_nc_u32_e32 v4, 28, v3
	v_sub_nc_u32_e32 v3, 29, v3
	v_lshlrev_b64 v[4:5], v4, v[8:9]
	v_and_b32_e32 v8, 7, v4
; %bb.872:                              ;   in Loop: Header=BB243_16 Depth=1
	s_or_b32 exec_lo, exec_lo, s26
	v_mov_b32_e32 v4, 24
	v_lshlrev_b32_e32 v5, 20, v8
	v_lshl_add_u32 v3, v3, 23, 0x3c000000
	v_lshlrev_b32_sdwa v4, v4, v2 dst_sel:DWORD dst_unused:UNUSED_PAD src0_sel:DWORD src1_sel:WORD_1
	v_and_b32_e32 v4, 0x80000000, v4
	v_or3_b32 v8, v5, v4, v3
	buffer_store_dword v8, off, s[0:3], s32 offset:1108 ; 4-byte Folded Spill
	buffer_store_dword v9, off, s[0:3], s32 offset:1112 ; 4-byte Folded Spill
.LBB243_873:                            ;   in Loop: Header=BB243_16 Depth=1
	s_or_b32 exec_lo, exec_lo, s25
.LBB243_874:                            ;   in Loop: Header=BB243_16 Depth=1
	s_or_b32 exec_lo, exec_lo, s24
.LBB243_875:                            ;   in Loop: Header=BB243_16 Depth=1
	s_or_b32 exec_lo, exec_lo, s23
	s_mov_b32 s23, exec_lo
	v_cmpx_lt_u32_e32 0xffffff, v2
	s_cbranch_execz .LBB243_883
; %bb.876:                              ;   in Loop: Header=BB243_16 Depth=1
	v_mov_b32_e32 v3, 0x80
	v_mov_b32_e32 v46, v9
	buffer_store_dword v46, off, s[0:3], s32 offset:1100 ; 4-byte Folded Spill
	buffer_store_dword v47, off, s[0:3], s32 offset:1104 ; 4-byte Folded Spill
	v_cmp_ne_u32_sdwa s5, v2, v3 src0_sel:BYTE_3 src1_sel:DWORD
	s_and_saveexec_b32 s24, s5
	s_cbranch_execz .LBB243_882
; %bb.877:                              ;   in Loop: Header=BB243_16 Depth=1
	s_clause 0x1
	buffer_load_dword v5, off, s[0:3], s32 offset:200
	buffer_load_dword v6, off, s[0:3], s32 offset:204
	v_bfe_u32 v4, v2, 24, 7
	s_waitcnt vmcnt(1)
	v_mov_b32_e32 v5, v9
	s_mov_b32 s25, exec_lo
	s_waitcnt vmcnt(0)
	v_mov_b32_e32 v3, v6
	buffer_store_dword v2, off, s[0:3], s32 offset:200 ; 4-byte Folded Spill
	buffer_store_dword v3, off, s[0:3], s32 offset:204 ; 4-byte Folded Spill
	;; [unrolled: 1-line block ×4, first 2 shown]
	v_cmpx_ne_u32_e32 0x7f, v4
	s_cbranch_execz .LBB243_881
; %bb.878:                              ;   in Loop: Header=BB243_16 Depth=1
	v_mov_b32_e32 v3, 7
	s_mov_b32 s26, exec_lo
	v_and_b32_sdwa v8, v2, v3 dst_sel:DWORD dst_unused:UNUSED_PAD src0_sel:BYTE_3 src1_sel:DWORD
	v_lshrrev_b32_e32 v3, 3, v4
	v_cmpx_gt_u32_e32 8, v4
; %bb.879:                              ;   in Loop: Header=BB243_16 Depth=1
	v_ffbh_u32_e32 v3, v8
	v_min_u32_e32 v3, 32, v3
	v_subrev_nc_u32_e32 v4, 28, v3
	v_sub_nc_u32_e32 v3, 29, v3
	v_lshlrev_b64 v[4:5], v4, v[8:9]
	v_and_b32_e32 v8, 7, v4
; %bb.880:                              ;   in Loop: Header=BB243_16 Depth=1
	s_or_b32 exec_lo, exec_lo, s26
	v_mov_b32_e32 v4, 24
	v_lshl_add_u32 v3, v3, 23, 0x3c000000
	v_lshlrev_b32_sdwa v2, v4, v2 dst_sel:DWORD dst_unused:UNUSED_PAD src0_sel:DWORD src1_sel:BYTE_3
	v_lshlrev_b32_e32 v4, 20, v8
	v_and_b32_e32 v2, 0x80000000, v2
	v_or3_b32 v3, v4, v2, v3
	v_mov_b32_e32 v2, v9
	buffer_store_dword v2, off, s[0:3], s32 offset:1100 ; 4-byte Folded Spill
	buffer_store_dword v3, off, s[0:3], s32 offset:1104 ; 4-byte Folded Spill
.LBB243_881:                            ;   in Loop: Header=BB243_16 Depth=1
	s_or_b32 exec_lo, exec_lo, s25
.LBB243_882:                            ;   in Loop: Header=BB243_16 Depth=1
	s_or_b32 exec_lo, exec_lo, s24
.LBB243_883:                            ;   in Loop: Header=BB243_16 Depth=1
	s_or_b32 exec_lo, exec_lo, s23
	flat_load_dword v2, v[0:1] offset:1036
	v_mov_b32_e32 v3, 0
	v_mov_b32_e32 v4, 0
	buffer_store_dword v3, off, s[0:3], s32 offset:1124 ; 4-byte Folded Spill
	buffer_store_dword v4, off, s[0:3], s32 offset:1128 ; 4-byte Folded Spill
	v_mov_b32_e32 v3, 0
	v_mov_b32_e32 v4, 0
	buffer_store_dword v3, off, s[0:3], s32 offset:1116 ; 4-byte Folded Spill
	buffer_store_dword v4, off, s[0:3], s32 offset:1120 ; 4-byte Folded Spill
	s_waitcnt vmcnt(0) lgkmcnt(0)
	v_cmp_ne_u16_sdwa s5, v2, v9 src0_sel:BYTE_0 src1_sel:DWORD
	s_and_saveexec_b32 s23, s5
	s_cbranch_execz .LBB243_891
; %bb.884:                              ;   in Loop: Header=BB243_16 Depth=1
	v_bfrev_b32_e32 v3, 1
	v_mov_b32_e32 v4, 0
	buffer_store_dword v3, off, s[0:3], s32 offset:1116 ; 4-byte Folded Spill
	buffer_store_dword v4, off, s[0:3], s32 offset:1120 ; 4-byte Folded Spill
	v_mov_b32_e32 v3, 0x80
	v_cmp_ne_u16_sdwa s5, v2, v3 src0_sel:BYTE_0 src1_sel:DWORD
	s_and_saveexec_b32 s24, s5
	s_cbranch_execz .LBB243_890
; %bb.885:                              ;   in Loop: Header=BB243_16 Depth=1
	v_mov_b32_e32 v5, 0x7f800001
	v_and_b32_e32 v4, 0x7f, v2
	v_mov_b32_e32 v6, 0
	s_mov_b32 s25, exec_lo
	buffer_store_dword v5, off, s[0:3], s32 offset:1116 ; 4-byte Folded Spill
	buffer_store_dword v6, off, s[0:3], s32 offset:1120 ; 4-byte Folded Spill
	v_cmpx_ne_u32_e32 0x7f, v4
	s_cbranch_execz .LBB243_889
; %bb.886:                              ;   in Loop: Header=BB243_16 Depth=1
	v_and_b32_e32 v8, 7, v2
	v_lshrrev_b32_e32 v3, 3, v4
	s_mov_b32 s26, exec_lo
	v_cmpx_gt_u32_e32 8, v4
; %bb.887:                              ;   in Loop: Header=BB243_16 Depth=1
	v_ffbh_u32_e32 v3, v8
	v_min_u32_e32 v3, 32, v3
	v_subrev_nc_u32_e32 v4, 28, v3
	v_sub_nc_u32_e32 v3, 29, v3
	v_lshlrev_b64 v[4:5], v4, v[8:9]
	v_and_b32_e32 v8, 7, v4
; %bb.888:                              ;   in Loop: Header=BB243_16 Depth=1
	s_or_b32 exec_lo, exec_lo, s26
	v_lshlrev_b32_e32 v4, 24, v2
	v_lshlrev_b32_e32 v5, 20, v8
	v_lshl_add_u32 v3, v3, 23, 0x3c000000
	v_and_b32_e32 v4, 0x80000000, v4
	v_or3_b32 v8, v5, v4, v3
	buffer_store_dword v8, off, s[0:3], s32 offset:1116 ; 4-byte Folded Spill
	buffer_store_dword v9, off, s[0:3], s32 offset:1120 ; 4-byte Folded Spill
.LBB243_889:                            ;   in Loop: Header=BB243_16 Depth=1
	s_or_b32 exec_lo, exec_lo, s25
.LBB243_890:                            ;   in Loop: Header=BB243_16 Depth=1
	s_or_b32 exec_lo, exec_lo, s24
.LBB243_891:                            ;   in Loop: Header=BB243_16 Depth=1
	s_or_b32 exec_lo, exec_lo, s23
	v_cmp_ne_u16_sdwa s5, v2, v9 src0_sel:BYTE_1 src1_sel:DWORD
	s_and_saveexec_b32 s23, s5
	s_cbranch_execz .LBB243_899
; %bb.892:                              ;   in Loop: Header=BB243_16 Depth=1
	v_mov_b32_e32 v3, 0x80
	v_mov_b32_e32 v46, v9
	buffer_store_dword v46, off, s[0:3], s32 offset:1124 ; 4-byte Folded Spill
	buffer_store_dword v47, off, s[0:3], s32 offset:1128 ; 4-byte Folded Spill
	v_cmp_ne_u16_sdwa s5, v2, v3 src0_sel:BYTE_1 src1_sel:DWORD
	s_and_saveexec_b32 s24, s5
	s_cbranch_execz .LBB243_898
; %bb.893:                              ;   in Loop: Header=BB243_16 Depth=1
	s_clause 0x1
	buffer_load_dword v5, off, s[0:3], s32 offset:200
	buffer_load_dword v6, off, s[0:3], s32 offset:204
	v_mov_b32_e32 v3, 0xffff
	s_mov_b32 s25, exec_lo
	v_and_b32_sdwa v3, v3, v2 dst_sel:DWORD dst_unused:UNUSED_PAD src0_sel:DWORD src1_sel:BYTE_1
	v_and_b32_e32 v4, 0x7f, v3
	s_waitcnt vmcnt(0)
	v_mov_b32_e32 v7, v6
	v_mov_b32_e32 v6, v9
	;; [unrolled: 1-line block ×3, first 2 shown]
	buffer_store_dword v4, off, s[0:3], s32 offset:200 ; 4-byte Folded Spill
	buffer_store_dword v5, off, s[0:3], s32 offset:204 ; 4-byte Folded Spill
	;; [unrolled: 1-line block ×4, first 2 shown]
	v_cmpx_ne_u32_e32 0x7f, v4
	s_cbranch_execz .LBB243_897
; %bb.894:                              ;   in Loop: Header=BB243_16 Depth=1
	v_and_b32_e32 v8, 7, v3
	v_lshrrev_b32_e32 v3, 3, v4
	s_mov_b32 s26, exec_lo
	v_cmpx_gt_u32_e32 8, v4
; %bb.895:                              ;   in Loop: Header=BB243_16 Depth=1
	v_ffbh_u32_e32 v3, v8
	v_min_u32_e32 v3, 32, v3
	v_subrev_nc_u32_e32 v4, 28, v3
	v_sub_nc_u32_e32 v3, 29, v3
	v_lshlrev_b64 v[4:5], v4, v[8:9]
	v_and_b32_e32 v8, 7, v4
; %bb.896:                              ;   in Loop: Header=BB243_16 Depth=1
	s_or_b32 exec_lo, exec_lo, s26
	v_lshlrev_b32_e32 v4, 16, v2
	v_lshlrev_b32_e32 v5, 20, v8
	v_lshl_add_u32 v3, v3, 23, 0x3c000000
	v_and_b32_e32 v4, 0x80000000, v4
	v_or3_b32 v4, v5, v4, v3
	v_mov_b32_e32 v3, v9
	buffer_store_dword v3, off, s[0:3], s32 offset:1124 ; 4-byte Folded Spill
	buffer_store_dword v4, off, s[0:3], s32 offset:1128 ; 4-byte Folded Spill
.LBB243_897:                            ;   in Loop: Header=BB243_16 Depth=1
	s_or_b32 exec_lo, exec_lo, s25
.LBB243_898:                            ;   in Loop: Header=BB243_16 Depth=1
	s_or_b32 exec_lo, exec_lo, s24
.LBB243_899:                            ;   in Loop: Header=BB243_16 Depth=1
	s_or_b32 exec_lo, exec_lo, s23
	v_mov_b32_e32 v4, 0
	v_mov_b32_e32 v5, 0
	;; [unrolled: 1-line block ×3, first 2 shown]
	s_mov_b32 s23, exec_lo
	buffer_store_dword v4, off, s[0:3], s32 offset:1132 ; 4-byte Folded Spill
	buffer_store_dword v5, off, s[0:3], s32 offset:1136 ; 4-byte Folded Spill
	v_mov_b32_e32 v4, 0
	v_and_b32_sdwa v3, v2, v3 dst_sel:DWORD dst_unused:UNUSED_PAD src0_sel:WORD_1 src1_sel:DWORD
	v_mov_b32_e32 v5, 0
	buffer_store_dword v4, off, s[0:3], s32 offset:1140 ; 4-byte Folded Spill
	buffer_store_dword v5, off, s[0:3], s32 offset:1144 ; 4-byte Folded Spill
	v_cmpx_ne_u16_e32 0, v3
	s_cbranch_execz .LBB243_907
; %bb.900:                              ;   in Loop: Header=BB243_16 Depth=1
	v_cmp_ne_u16_e64 s5, 0x80, v3
	v_bfrev_b32_e32 v3, 1
	v_mov_b32_e32 v4, 0
	buffer_store_dword v3, off, s[0:3], s32 offset:1140 ; 4-byte Folded Spill
	buffer_store_dword v4, off, s[0:3], s32 offset:1144 ; 4-byte Folded Spill
	s_and_saveexec_b32 s24, s5
	s_cbranch_execz .LBB243_906
; %bb.901:                              ;   in Loop: Header=BB243_16 Depth=1
	v_mov_b32_e32 v5, 0x7f800001
	v_bfe_u32 v4, v2, 16, 7
	v_mov_b32_e32 v6, 0
	s_mov_b32 s25, exec_lo
	buffer_store_dword v5, off, s[0:3], s32 offset:1140 ; 4-byte Folded Spill
	buffer_store_dword v6, off, s[0:3], s32 offset:1144 ; 4-byte Folded Spill
	v_cmpx_ne_u32_e32 0x7f, v4
	s_cbranch_execz .LBB243_905
; %bb.902:                              ;   in Loop: Header=BB243_16 Depth=1
	v_mov_b32_e32 v3, 7
	s_mov_b32 s26, exec_lo
	v_and_b32_sdwa v8, v2, v3 dst_sel:DWORD dst_unused:UNUSED_PAD src0_sel:WORD_1 src1_sel:DWORD
	v_lshrrev_b32_e32 v3, 3, v4
	v_cmpx_gt_u32_e32 8, v4
; %bb.903:                              ;   in Loop: Header=BB243_16 Depth=1
	v_ffbh_u32_e32 v3, v8
	v_min_u32_e32 v3, 32, v3
	v_subrev_nc_u32_e32 v4, 28, v3
	v_sub_nc_u32_e32 v3, 29, v3
	v_lshlrev_b64 v[4:5], v4, v[8:9]
	v_and_b32_e32 v8, 7, v4
; %bb.904:                              ;   in Loop: Header=BB243_16 Depth=1
	s_or_b32 exec_lo, exec_lo, s26
	v_mov_b32_e32 v4, 24
	v_lshlrev_b32_e32 v5, 20, v8
	v_lshl_add_u32 v3, v3, 23, 0x3c000000
	v_lshlrev_b32_sdwa v4, v4, v2 dst_sel:DWORD dst_unused:UNUSED_PAD src0_sel:DWORD src1_sel:WORD_1
	v_and_b32_e32 v4, 0x80000000, v4
	v_or3_b32 v8, v5, v4, v3
	buffer_store_dword v8, off, s[0:3], s32 offset:1140 ; 4-byte Folded Spill
	buffer_store_dword v9, off, s[0:3], s32 offset:1144 ; 4-byte Folded Spill
.LBB243_905:                            ;   in Loop: Header=BB243_16 Depth=1
	s_or_b32 exec_lo, exec_lo, s25
.LBB243_906:                            ;   in Loop: Header=BB243_16 Depth=1
	s_or_b32 exec_lo, exec_lo, s24
.LBB243_907:                            ;   in Loop: Header=BB243_16 Depth=1
	s_or_b32 exec_lo, exec_lo, s23
	s_mov_b32 s23, exec_lo
	v_cmpx_lt_u32_e32 0xffffff, v2
	s_cbranch_execz .LBB243_915
; %bb.908:                              ;   in Loop: Header=BB243_16 Depth=1
	v_mov_b32_e32 v3, 0x80
	v_mov_b32_e32 v46, v9
	buffer_store_dword v46, off, s[0:3], s32 offset:1132 ; 4-byte Folded Spill
	buffer_store_dword v47, off, s[0:3], s32 offset:1136 ; 4-byte Folded Spill
	v_cmp_ne_u32_sdwa s5, v2, v3 src0_sel:BYTE_3 src1_sel:DWORD
	s_and_saveexec_b32 s24, s5
	s_cbranch_execz .LBB243_914
; %bb.909:                              ;   in Loop: Header=BB243_16 Depth=1
	s_clause 0x1
	buffer_load_dword v5, off, s[0:3], s32 offset:200
	buffer_load_dword v6, off, s[0:3], s32 offset:204
	v_bfe_u32 v4, v2, 24, 7
	s_waitcnt vmcnt(1)
	v_mov_b32_e32 v5, v9
	s_mov_b32 s25, exec_lo
	s_waitcnt vmcnt(0)
	v_mov_b32_e32 v3, v6
	buffer_store_dword v2, off, s[0:3], s32 offset:200 ; 4-byte Folded Spill
	buffer_store_dword v3, off, s[0:3], s32 offset:204 ; 4-byte Folded Spill
	;; [unrolled: 1-line block ×4, first 2 shown]
	v_cmpx_ne_u32_e32 0x7f, v4
	s_cbranch_execz .LBB243_913
; %bb.910:                              ;   in Loop: Header=BB243_16 Depth=1
	v_mov_b32_e32 v3, 7
	s_mov_b32 s26, exec_lo
	v_and_b32_sdwa v8, v2, v3 dst_sel:DWORD dst_unused:UNUSED_PAD src0_sel:BYTE_3 src1_sel:DWORD
	v_lshrrev_b32_e32 v3, 3, v4
	v_cmpx_gt_u32_e32 8, v4
; %bb.911:                              ;   in Loop: Header=BB243_16 Depth=1
	v_ffbh_u32_e32 v3, v8
	v_min_u32_e32 v3, 32, v3
	v_subrev_nc_u32_e32 v4, 28, v3
	v_sub_nc_u32_e32 v3, 29, v3
	v_lshlrev_b64 v[4:5], v4, v[8:9]
	v_and_b32_e32 v8, 7, v4
; %bb.912:                              ;   in Loop: Header=BB243_16 Depth=1
	s_or_b32 exec_lo, exec_lo, s26
	v_mov_b32_e32 v4, 24
	v_lshl_add_u32 v3, v3, 23, 0x3c000000
	v_lshlrev_b32_sdwa v2, v4, v2 dst_sel:DWORD dst_unused:UNUSED_PAD src0_sel:DWORD src1_sel:BYTE_3
	v_lshlrev_b32_e32 v4, 20, v8
	v_and_b32_e32 v2, 0x80000000, v2
	v_or3_b32 v3, v4, v2, v3
	v_mov_b32_e32 v2, v9
	buffer_store_dword v2, off, s[0:3], s32 offset:1132 ; 4-byte Folded Spill
	buffer_store_dword v3, off, s[0:3], s32 offset:1136 ; 4-byte Folded Spill
.LBB243_913:                            ;   in Loop: Header=BB243_16 Depth=1
	s_or_b32 exec_lo, exec_lo, s25
.LBB243_914:                            ;   in Loop: Header=BB243_16 Depth=1
	s_or_b32 exec_lo, exec_lo, s24
.LBB243_915:                            ;   in Loop: Header=BB243_16 Depth=1
	s_or_b32 exec_lo, exec_lo, s23
	flat_load_dword v2, v[0:1] offset:1536
	v_mov_b32_e32 v3, 0
	v_mov_b32_e32 v4, 0
	buffer_store_dword v3, off, s[0:3], s32 offset:1156 ; 4-byte Folded Spill
	buffer_store_dword v4, off, s[0:3], s32 offset:1160 ; 4-byte Folded Spill
	v_mov_b32_e32 v3, 0
	v_mov_b32_e32 v4, 0
	buffer_store_dword v3, off, s[0:3], s32 offset:1148 ; 4-byte Folded Spill
	buffer_store_dword v4, off, s[0:3], s32 offset:1152 ; 4-byte Folded Spill
	s_waitcnt vmcnt(0) lgkmcnt(0)
	v_cmp_ne_u16_sdwa s5, v2, v9 src0_sel:BYTE_0 src1_sel:DWORD
	s_and_saveexec_b32 s23, s5
	s_cbranch_execz .LBB243_923
; %bb.916:                              ;   in Loop: Header=BB243_16 Depth=1
	v_bfrev_b32_e32 v3, 1
	v_mov_b32_e32 v4, 0
	buffer_store_dword v3, off, s[0:3], s32 offset:1148 ; 4-byte Folded Spill
	buffer_store_dword v4, off, s[0:3], s32 offset:1152 ; 4-byte Folded Spill
	v_mov_b32_e32 v3, 0x80
	v_cmp_ne_u16_sdwa s5, v2, v3 src0_sel:BYTE_0 src1_sel:DWORD
	s_and_saveexec_b32 s24, s5
	s_cbranch_execz .LBB243_922
; %bb.917:                              ;   in Loop: Header=BB243_16 Depth=1
	v_mov_b32_e32 v5, 0x7f800001
	v_and_b32_e32 v4, 0x7f, v2
	v_mov_b32_e32 v6, 0
	s_mov_b32 s25, exec_lo
	buffer_store_dword v5, off, s[0:3], s32 offset:1148 ; 4-byte Folded Spill
	buffer_store_dword v6, off, s[0:3], s32 offset:1152 ; 4-byte Folded Spill
	v_cmpx_ne_u32_e32 0x7f, v4
	s_cbranch_execz .LBB243_921
; %bb.918:                              ;   in Loop: Header=BB243_16 Depth=1
	v_and_b32_e32 v8, 7, v2
	v_lshrrev_b32_e32 v3, 3, v4
	s_mov_b32 s26, exec_lo
	v_cmpx_gt_u32_e32 8, v4
; %bb.919:                              ;   in Loop: Header=BB243_16 Depth=1
	v_ffbh_u32_e32 v3, v8
	v_min_u32_e32 v3, 32, v3
	v_subrev_nc_u32_e32 v4, 28, v3
	v_sub_nc_u32_e32 v3, 29, v3
	v_lshlrev_b64 v[4:5], v4, v[8:9]
	v_and_b32_e32 v8, 7, v4
; %bb.920:                              ;   in Loop: Header=BB243_16 Depth=1
	s_or_b32 exec_lo, exec_lo, s26
	v_lshlrev_b32_e32 v4, 24, v2
	v_lshlrev_b32_e32 v5, 20, v8
	v_lshl_add_u32 v3, v3, 23, 0x3c000000
	v_and_b32_e32 v4, 0x80000000, v4
	v_or3_b32 v8, v5, v4, v3
	buffer_store_dword v8, off, s[0:3], s32 offset:1148 ; 4-byte Folded Spill
	buffer_store_dword v9, off, s[0:3], s32 offset:1152 ; 4-byte Folded Spill
.LBB243_921:                            ;   in Loop: Header=BB243_16 Depth=1
	s_or_b32 exec_lo, exec_lo, s25
.LBB243_922:                            ;   in Loop: Header=BB243_16 Depth=1
	s_or_b32 exec_lo, exec_lo, s24
.LBB243_923:                            ;   in Loop: Header=BB243_16 Depth=1
	s_or_b32 exec_lo, exec_lo, s23
	v_cmp_ne_u16_sdwa s5, v2, v9 src0_sel:BYTE_1 src1_sel:DWORD
	s_and_saveexec_b32 s23, s5
	s_cbranch_execz .LBB243_931
; %bb.924:                              ;   in Loop: Header=BB243_16 Depth=1
	v_mov_b32_e32 v3, 0x80
	v_mov_b32_e32 v46, v9
	buffer_store_dword v46, off, s[0:3], s32 offset:1156 ; 4-byte Folded Spill
	buffer_store_dword v47, off, s[0:3], s32 offset:1160 ; 4-byte Folded Spill
	v_cmp_ne_u16_sdwa s5, v2, v3 src0_sel:BYTE_1 src1_sel:DWORD
	s_and_saveexec_b32 s24, s5
	s_cbranch_execz .LBB243_930
; %bb.925:                              ;   in Loop: Header=BB243_16 Depth=1
	s_clause 0x1
	buffer_load_dword v5, off, s[0:3], s32 offset:200
	buffer_load_dword v6, off, s[0:3], s32 offset:204
	v_mov_b32_e32 v3, 0xffff
	s_mov_b32 s25, exec_lo
	v_and_b32_sdwa v3, v3, v2 dst_sel:DWORD dst_unused:UNUSED_PAD src0_sel:DWORD src1_sel:BYTE_1
	v_and_b32_e32 v4, 0x7f, v3
	s_waitcnt vmcnt(0)
	v_mov_b32_e32 v7, v6
	v_mov_b32_e32 v6, v9
	;; [unrolled: 1-line block ×3, first 2 shown]
	buffer_store_dword v4, off, s[0:3], s32 offset:200 ; 4-byte Folded Spill
	buffer_store_dword v5, off, s[0:3], s32 offset:204 ; 4-byte Folded Spill
	;; [unrolled: 1-line block ×4, first 2 shown]
	v_cmpx_ne_u32_e32 0x7f, v4
	s_cbranch_execz .LBB243_929
; %bb.926:                              ;   in Loop: Header=BB243_16 Depth=1
	v_and_b32_e32 v8, 7, v3
	v_lshrrev_b32_e32 v3, 3, v4
	s_mov_b32 s26, exec_lo
	v_cmpx_gt_u32_e32 8, v4
; %bb.927:                              ;   in Loop: Header=BB243_16 Depth=1
	v_ffbh_u32_e32 v3, v8
	v_min_u32_e32 v3, 32, v3
	v_subrev_nc_u32_e32 v4, 28, v3
	v_sub_nc_u32_e32 v3, 29, v3
	v_lshlrev_b64 v[4:5], v4, v[8:9]
	v_and_b32_e32 v8, 7, v4
; %bb.928:                              ;   in Loop: Header=BB243_16 Depth=1
	s_or_b32 exec_lo, exec_lo, s26
	v_lshlrev_b32_e32 v4, 16, v2
	v_lshlrev_b32_e32 v5, 20, v8
	v_lshl_add_u32 v3, v3, 23, 0x3c000000
	v_and_b32_e32 v4, 0x80000000, v4
	v_or3_b32 v4, v5, v4, v3
	v_mov_b32_e32 v3, v9
	buffer_store_dword v3, off, s[0:3], s32 offset:1156 ; 4-byte Folded Spill
	buffer_store_dword v4, off, s[0:3], s32 offset:1160 ; 4-byte Folded Spill
.LBB243_929:                            ;   in Loop: Header=BB243_16 Depth=1
	s_or_b32 exec_lo, exec_lo, s25
.LBB243_930:                            ;   in Loop: Header=BB243_16 Depth=1
	s_or_b32 exec_lo, exec_lo, s24
.LBB243_931:                            ;   in Loop: Header=BB243_16 Depth=1
	s_or_b32 exec_lo, exec_lo, s23
	v_mov_b32_e32 v4, 0
	v_mov_b32_e32 v5, 0
	v_mov_b32_e32 v3, 0xff
	s_mov_b32 s23, exec_lo
	buffer_store_dword v4, off, s[0:3], s32 offset:1164 ; 4-byte Folded Spill
	buffer_store_dword v5, off, s[0:3], s32 offset:1168 ; 4-byte Folded Spill
	v_mov_b32_e32 v4, 0
	v_and_b32_sdwa v3, v2, v3 dst_sel:DWORD dst_unused:UNUSED_PAD src0_sel:WORD_1 src1_sel:DWORD
	v_mov_b32_e32 v5, 0
	buffer_store_dword v4, off, s[0:3], s32 offset:1172 ; 4-byte Folded Spill
	buffer_store_dword v5, off, s[0:3], s32 offset:1176 ; 4-byte Folded Spill
	v_cmpx_ne_u16_e32 0, v3
	s_cbranch_execz .LBB243_939
; %bb.932:                              ;   in Loop: Header=BB243_16 Depth=1
	v_cmp_ne_u16_e64 s5, 0x80, v3
	v_bfrev_b32_e32 v3, 1
	v_mov_b32_e32 v4, 0
	buffer_store_dword v3, off, s[0:3], s32 offset:1172 ; 4-byte Folded Spill
	buffer_store_dword v4, off, s[0:3], s32 offset:1176 ; 4-byte Folded Spill
	s_and_saveexec_b32 s24, s5
	s_cbranch_execz .LBB243_938
; %bb.933:                              ;   in Loop: Header=BB243_16 Depth=1
	v_mov_b32_e32 v5, 0x7f800001
	v_bfe_u32 v4, v2, 16, 7
	v_mov_b32_e32 v6, 0
	s_mov_b32 s25, exec_lo
	buffer_store_dword v5, off, s[0:3], s32 offset:1172 ; 4-byte Folded Spill
	buffer_store_dword v6, off, s[0:3], s32 offset:1176 ; 4-byte Folded Spill
	v_cmpx_ne_u32_e32 0x7f, v4
	s_cbranch_execz .LBB243_937
; %bb.934:                              ;   in Loop: Header=BB243_16 Depth=1
	v_mov_b32_e32 v3, 7
	s_mov_b32 s26, exec_lo
	v_and_b32_sdwa v8, v2, v3 dst_sel:DWORD dst_unused:UNUSED_PAD src0_sel:WORD_1 src1_sel:DWORD
	v_lshrrev_b32_e32 v3, 3, v4
	v_cmpx_gt_u32_e32 8, v4
; %bb.935:                              ;   in Loop: Header=BB243_16 Depth=1
	v_ffbh_u32_e32 v3, v8
	v_min_u32_e32 v3, 32, v3
	v_subrev_nc_u32_e32 v4, 28, v3
	v_sub_nc_u32_e32 v3, 29, v3
	v_lshlrev_b64 v[4:5], v4, v[8:9]
	v_and_b32_e32 v8, 7, v4
; %bb.936:                              ;   in Loop: Header=BB243_16 Depth=1
	s_or_b32 exec_lo, exec_lo, s26
	v_mov_b32_e32 v4, 24
	v_lshlrev_b32_e32 v5, 20, v8
	v_lshl_add_u32 v3, v3, 23, 0x3c000000
	v_lshlrev_b32_sdwa v4, v4, v2 dst_sel:DWORD dst_unused:UNUSED_PAD src0_sel:DWORD src1_sel:WORD_1
	v_and_b32_e32 v4, 0x80000000, v4
	v_or3_b32 v8, v5, v4, v3
	buffer_store_dword v8, off, s[0:3], s32 offset:1172 ; 4-byte Folded Spill
	buffer_store_dword v9, off, s[0:3], s32 offset:1176 ; 4-byte Folded Spill
.LBB243_937:                            ;   in Loop: Header=BB243_16 Depth=1
	s_or_b32 exec_lo, exec_lo, s25
.LBB243_938:                            ;   in Loop: Header=BB243_16 Depth=1
	s_or_b32 exec_lo, exec_lo, s24
.LBB243_939:                            ;   in Loop: Header=BB243_16 Depth=1
	s_or_b32 exec_lo, exec_lo, s23
	s_mov_b32 s23, exec_lo
	v_cmpx_lt_u32_e32 0xffffff, v2
	s_cbranch_execz .LBB243_947
; %bb.940:                              ;   in Loop: Header=BB243_16 Depth=1
	v_mov_b32_e32 v3, 0x80
	v_mov_b32_e32 v46, v9
	buffer_store_dword v46, off, s[0:3], s32 offset:1164 ; 4-byte Folded Spill
	buffer_store_dword v47, off, s[0:3], s32 offset:1168 ; 4-byte Folded Spill
	v_cmp_ne_u32_sdwa s5, v2, v3 src0_sel:BYTE_3 src1_sel:DWORD
	s_and_saveexec_b32 s24, s5
	s_cbranch_execz .LBB243_946
; %bb.941:                              ;   in Loop: Header=BB243_16 Depth=1
	s_clause 0x1
	buffer_load_dword v5, off, s[0:3], s32 offset:200
	buffer_load_dword v6, off, s[0:3], s32 offset:204
	v_bfe_u32 v4, v2, 24, 7
	s_waitcnt vmcnt(1)
	v_mov_b32_e32 v5, v9
	s_mov_b32 s25, exec_lo
	s_waitcnt vmcnt(0)
	v_mov_b32_e32 v3, v6
	buffer_store_dword v2, off, s[0:3], s32 offset:200 ; 4-byte Folded Spill
	buffer_store_dword v3, off, s[0:3], s32 offset:204 ; 4-byte Folded Spill
	;; [unrolled: 1-line block ×4, first 2 shown]
	v_cmpx_ne_u32_e32 0x7f, v4
	s_cbranch_execz .LBB243_945
; %bb.942:                              ;   in Loop: Header=BB243_16 Depth=1
	v_mov_b32_e32 v3, 7
	s_mov_b32 s26, exec_lo
	v_and_b32_sdwa v8, v2, v3 dst_sel:DWORD dst_unused:UNUSED_PAD src0_sel:BYTE_3 src1_sel:DWORD
	v_lshrrev_b32_e32 v3, 3, v4
	v_cmpx_gt_u32_e32 8, v4
; %bb.943:                              ;   in Loop: Header=BB243_16 Depth=1
	v_ffbh_u32_e32 v3, v8
	v_min_u32_e32 v3, 32, v3
	v_subrev_nc_u32_e32 v4, 28, v3
	v_sub_nc_u32_e32 v3, 29, v3
	v_lshlrev_b64 v[4:5], v4, v[8:9]
	v_and_b32_e32 v8, 7, v4
; %bb.944:                              ;   in Loop: Header=BB243_16 Depth=1
	s_or_b32 exec_lo, exec_lo, s26
	v_mov_b32_e32 v4, 24
	v_lshl_add_u32 v3, v3, 23, 0x3c000000
	v_lshlrev_b32_sdwa v2, v4, v2 dst_sel:DWORD dst_unused:UNUSED_PAD src0_sel:DWORD src1_sel:BYTE_3
	v_lshlrev_b32_e32 v4, 20, v8
	v_and_b32_e32 v2, 0x80000000, v2
	v_or3_b32 v3, v4, v2, v3
	v_mov_b32_e32 v2, v9
	buffer_store_dword v2, off, s[0:3], s32 offset:1164 ; 4-byte Folded Spill
	buffer_store_dword v3, off, s[0:3], s32 offset:1168 ; 4-byte Folded Spill
.LBB243_945:                            ;   in Loop: Header=BB243_16 Depth=1
	s_or_b32 exec_lo, exec_lo, s25
.LBB243_946:                            ;   in Loop: Header=BB243_16 Depth=1
	s_or_b32 exec_lo, exec_lo, s24
.LBB243_947:                            ;   in Loop: Header=BB243_16 Depth=1
	s_or_b32 exec_lo, exec_lo, s23
	flat_load_dword v2, v[0:1] offset:1540
	v_mov_b32_e32 v3, 0
	v_mov_b32_e32 v4, 0
	buffer_store_dword v3, off, s[0:3], s32 offset:1188 ; 4-byte Folded Spill
	buffer_store_dword v4, off, s[0:3], s32 offset:1192 ; 4-byte Folded Spill
	v_mov_b32_e32 v3, 0
	v_mov_b32_e32 v4, 0
	buffer_store_dword v3, off, s[0:3], s32 offset:1180 ; 4-byte Folded Spill
	buffer_store_dword v4, off, s[0:3], s32 offset:1184 ; 4-byte Folded Spill
	s_waitcnt vmcnt(0) lgkmcnt(0)
	v_cmp_ne_u16_sdwa s5, v2, v9 src0_sel:BYTE_0 src1_sel:DWORD
	s_and_saveexec_b32 s23, s5
	s_cbranch_execz .LBB243_955
; %bb.948:                              ;   in Loop: Header=BB243_16 Depth=1
	v_bfrev_b32_e32 v3, 1
	v_mov_b32_e32 v4, 0
	buffer_store_dword v3, off, s[0:3], s32 offset:1180 ; 4-byte Folded Spill
	buffer_store_dword v4, off, s[0:3], s32 offset:1184 ; 4-byte Folded Spill
	v_mov_b32_e32 v3, 0x80
	v_cmp_ne_u16_sdwa s5, v2, v3 src0_sel:BYTE_0 src1_sel:DWORD
	s_and_saveexec_b32 s24, s5
	s_cbranch_execz .LBB243_954
; %bb.949:                              ;   in Loop: Header=BB243_16 Depth=1
	v_mov_b32_e32 v5, 0x7f800001
	v_and_b32_e32 v4, 0x7f, v2
	v_mov_b32_e32 v6, 0
	s_mov_b32 s25, exec_lo
	buffer_store_dword v5, off, s[0:3], s32 offset:1180 ; 4-byte Folded Spill
	buffer_store_dword v6, off, s[0:3], s32 offset:1184 ; 4-byte Folded Spill
	v_cmpx_ne_u32_e32 0x7f, v4
	s_cbranch_execz .LBB243_953
; %bb.950:                              ;   in Loop: Header=BB243_16 Depth=1
	v_and_b32_e32 v8, 7, v2
	v_lshrrev_b32_e32 v3, 3, v4
	s_mov_b32 s26, exec_lo
	v_cmpx_gt_u32_e32 8, v4
; %bb.951:                              ;   in Loop: Header=BB243_16 Depth=1
	v_ffbh_u32_e32 v3, v8
	v_min_u32_e32 v3, 32, v3
	v_subrev_nc_u32_e32 v4, 28, v3
	v_sub_nc_u32_e32 v3, 29, v3
	v_lshlrev_b64 v[4:5], v4, v[8:9]
	v_and_b32_e32 v8, 7, v4
; %bb.952:                              ;   in Loop: Header=BB243_16 Depth=1
	s_or_b32 exec_lo, exec_lo, s26
	v_lshlrev_b32_e32 v4, 24, v2
	v_lshlrev_b32_e32 v5, 20, v8
	v_lshl_add_u32 v3, v3, 23, 0x3c000000
	v_and_b32_e32 v4, 0x80000000, v4
	v_or3_b32 v8, v5, v4, v3
	buffer_store_dword v8, off, s[0:3], s32 offset:1180 ; 4-byte Folded Spill
	buffer_store_dword v9, off, s[0:3], s32 offset:1184 ; 4-byte Folded Spill
.LBB243_953:                            ;   in Loop: Header=BB243_16 Depth=1
	s_or_b32 exec_lo, exec_lo, s25
.LBB243_954:                            ;   in Loop: Header=BB243_16 Depth=1
	s_or_b32 exec_lo, exec_lo, s24
.LBB243_955:                            ;   in Loop: Header=BB243_16 Depth=1
	s_or_b32 exec_lo, exec_lo, s23
	v_cmp_ne_u16_sdwa s5, v2, v9 src0_sel:BYTE_1 src1_sel:DWORD
	s_and_saveexec_b32 s23, s5
	s_cbranch_execz .LBB243_963
; %bb.956:                              ;   in Loop: Header=BB243_16 Depth=1
	v_mov_b32_e32 v3, 0x80
	v_mov_b32_e32 v46, v9
	buffer_store_dword v46, off, s[0:3], s32 offset:1188 ; 4-byte Folded Spill
	buffer_store_dword v47, off, s[0:3], s32 offset:1192 ; 4-byte Folded Spill
	v_cmp_ne_u16_sdwa s5, v2, v3 src0_sel:BYTE_1 src1_sel:DWORD
	s_and_saveexec_b32 s24, s5
	s_cbranch_execz .LBB243_962
; %bb.957:                              ;   in Loop: Header=BB243_16 Depth=1
	s_clause 0x1
	buffer_load_dword v5, off, s[0:3], s32 offset:200
	buffer_load_dword v6, off, s[0:3], s32 offset:204
	v_mov_b32_e32 v3, 0xffff
	s_mov_b32 s25, exec_lo
	v_and_b32_sdwa v3, v3, v2 dst_sel:DWORD dst_unused:UNUSED_PAD src0_sel:DWORD src1_sel:BYTE_1
	v_and_b32_e32 v4, 0x7f, v3
	s_waitcnt vmcnt(0)
	v_mov_b32_e32 v7, v6
	v_mov_b32_e32 v6, v9
	;; [unrolled: 1-line block ×3, first 2 shown]
	buffer_store_dword v4, off, s[0:3], s32 offset:200 ; 4-byte Folded Spill
	buffer_store_dword v5, off, s[0:3], s32 offset:204 ; 4-byte Folded Spill
	;; [unrolled: 1-line block ×4, first 2 shown]
	v_cmpx_ne_u32_e32 0x7f, v4
	s_cbranch_execz .LBB243_961
; %bb.958:                              ;   in Loop: Header=BB243_16 Depth=1
	v_and_b32_e32 v8, 7, v3
	v_lshrrev_b32_e32 v3, 3, v4
	s_mov_b32 s26, exec_lo
	v_cmpx_gt_u32_e32 8, v4
; %bb.959:                              ;   in Loop: Header=BB243_16 Depth=1
	v_ffbh_u32_e32 v3, v8
	v_min_u32_e32 v3, 32, v3
	v_subrev_nc_u32_e32 v4, 28, v3
	v_sub_nc_u32_e32 v3, 29, v3
	v_lshlrev_b64 v[4:5], v4, v[8:9]
	v_and_b32_e32 v8, 7, v4
; %bb.960:                              ;   in Loop: Header=BB243_16 Depth=1
	s_or_b32 exec_lo, exec_lo, s26
	v_lshlrev_b32_e32 v4, 16, v2
	v_lshlrev_b32_e32 v5, 20, v8
	v_lshl_add_u32 v3, v3, 23, 0x3c000000
	v_and_b32_e32 v4, 0x80000000, v4
	v_or3_b32 v4, v5, v4, v3
	v_mov_b32_e32 v3, v9
	buffer_store_dword v3, off, s[0:3], s32 offset:1188 ; 4-byte Folded Spill
	buffer_store_dword v4, off, s[0:3], s32 offset:1192 ; 4-byte Folded Spill
.LBB243_961:                            ;   in Loop: Header=BB243_16 Depth=1
	s_or_b32 exec_lo, exec_lo, s25
.LBB243_962:                            ;   in Loop: Header=BB243_16 Depth=1
	s_or_b32 exec_lo, exec_lo, s24
.LBB243_963:                            ;   in Loop: Header=BB243_16 Depth=1
	s_or_b32 exec_lo, exec_lo, s23
	v_mov_b32_e32 v4, 0
	v_mov_b32_e32 v5, 0
	;; [unrolled: 1-line block ×3, first 2 shown]
	s_mov_b32 s23, exec_lo
	buffer_store_dword v4, off, s[0:3], s32 offset:1196 ; 4-byte Folded Spill
	buffer_store_dword v5, off, s[0:3], s32 offset:1200 ; 4-byte Folded Spill
	v_mov_b32_e32 v4, 0
	v_and_b32_sdwa v3, v2, v3 dst_sel:DWORD dst_unused:UNUSED_PAD src0_sel:WORD_1 src1_sel:DWORD
	v_mov_b32_e32 v5, 0
	buffer_store_dword v4, off, s[0:3], s32 offset:1204 ; 4-byte Folded Spill
	buffer_store_dword v5, off, s[0:3], s32 offset:1208 ; 4-byte Folded Spill
	v_cmpx_ne_u16_e32 0, v3
	s_cbranch_execz .LBB243_971
; %bb.964:                              ;   in Loop: Header=BB243_16 Depth=1
	v_cmp_ne_u16_e64 s5, 0x80, v3
	v_bfrev_b32_e32 v3, 1
	v_mov_b32_e32 v4, 0
	buffer_store_dword v3, off, s[0:3], s32 offset:1204 ; 4-byte Folded Spill
	buffer_store_dword v4, off, s[0:3], s32 offset:1208 ; 4-byte Folded Spill
	s_and_saveexec_b32 s24, s5
	s_cbranch_execz .LBB243_970
; %bb.965:                              ;   in Loop: Header=BB243_16 Depth=1
	v_mov_b32_e32 v5, 0x7f800001
	v_bfe_u32 v4, v2, 16, 7
	v_mov_b32_e32 v6, 0
	s_mov_b32 s25, exec_lo
	buffer_store_dword v5, off, s[0:3], s32 offset:1204 ; 4-byte Folded Spill
	buffer_store_dword v6, off, s[0:3], s32 offset:1208 ; 4-byte Folded Spill
	v_cmpx_ne_u32_e32 0x7f, v4
	s_cbranch_execz .LBB243_969
; %bb.966:                              ;   in Loop: Header=BB243_16 Depth=1
	v_mov_b32_e32 v3, 7
	s_mov_b32 s26, exec_lo
	v_and_b32_sdwa v8, v2, v3 dst_sel:DWORD dst_unused:UNUSED_PAD src0_sel:WORD_1 src1_sel:DWORD
	v_lshrrev_b32_e32 v3, 3, v4
	v_cmpx_gt_u32_e32 8, v4
; %bb.967:                              ;   in Loop: Header=BB243_16 Depth=1
	v_ffbh_u32_e32 v3, v8
	v_min_u32_e32 v3, 32, v3
	v_subrev_nc_u32_e32 v4, 28, v3
	v_sub_nc_u32_e32 v3, 29, v3
	v_lshlrev_b64 v[4:5], v4, v[8:9]
	v_and_b32_e32 v8, 7, v4
; %bb.968:                              ;   in Loop: Header=BB243_16 Depth=1
	s_or_b32 exec_lo, exec_lo, s26
	v_mov_b32_e32 v4, 24
	v_lshlrev_b32_e32 v5, 20, v8
	v_lshl_add_u32 v3, v3, 23, 0x3c000000
	v_lshlrev_b32_sdwa v4, v4, v2 dst_sel:DWORD dst_unused:UNUSED_PAD src0_sel:DWORD src1_sel:WORD_1
	v_and_b32_e32 v4, 0x80000000, v4
	v_or3_b32 v8, v5, v4, v3
	buffer_store_dword v8, off, s[0:3], s32 offset:1204 ; 4-byte Folded Spill
	buffer_store_dword v9, off, s[0:3], s32 offset:1208 ; 4-byte Folded Spill
.LBB243_969:                            ;   in Loop: Header=BB243_16 Depth=1
	s_or_b32 exec_lo, exec_lo, s25
.LBB243_970:                            ;   in Loop: Header=BB243_16 Depth=1
	s_or_b32 exec_lo, exec_lo, s24
.LBB243_971:                            ;   in Loop: Header=BB243_16 Depth=1
	s_or_b32 exec_lo, exec_lo, s23
	s_mov_b32 s23, exec_lo
	v_cmpx_lt_u32_e32 0xffffff, v2
	s_cbranch_execz .LBB243_979
; %bb.972:                              ;   in Loop: Header=BB243_16 Depth=1
	v_mov_b32_e32 v3, 0x80
	v_mov_b32_e32 v46, v9
	buffer_store_dword v46, off, s[0:3], s32 offset:1196 ; 4-byte Folded Spill
	buffer_store_dword v47, off, s[0:3], s32 offset:1200 ; 4-byte Folded Spill
	v_cmp_ne_u32_sdwa s5, v2, v3 src0_sel:BYTE_3 src1_sel:DWORD
	s_and_saveexec_b32 s24, s5
	s_cbranch_execz .LBB243_978
; %bb.973:                              ;   in Loop: Header=BB243_16 Depth=1
	s_clause 0x1
	buffer_load_dword v5, off, s[0:3], s32 offset:200
	buffer_load_dword v6, off, s[0:3], s32 offset:204
	v_bfe_u32 v4, v2, 24, 7
	s_waitcnt vmcnt(1)
	v_mov_b32_e32 v5, v9
	s_mov_b32 s25, exec_lo
	s_waitcnt vmcnt(0)
	v_mov_b32_e32 v3, v6
	buffer_store_dword v2, off, s[0:3], s32 offset:200 ; 4-byte Folded Spill
	buffer_store_dword v3, off, s[0:3], s32 offset:204 ; 4-byte Folded Spill
	;; [unrolled: 1-line block ×4, first 2 shown]
	v_cmpx_ne_u32_e32 0x7f, v4
	s_cbranch_execz .LBB243_977
; %bb.974:                              ;   in Loop: Header=BB243_16 Depth=1
	v_mov_b32_e32 v3, 7
	s_mov_b32 s26, exec_lo
	v_and_b32_sdwa v8, v2, v3 dst_sel:DWORD dst_unused:UNUSED_PAD src0_sel:BYTE_3 src1_sel:DWORD
	v_lshrrev_b32_e32 v3, 3, v4
	v_cmpx_gt_u32_e32 8, v4
; %bb.975:                              ;   in Loop: Header=BB243_16 Depth=1
	v_ffbh_u32_e32 v3, v8
	v_min_u32_e32 v3, 32, v3
	v_subrev_nc_u32_e32 v4, 28, v3
	v_sub_nc_u32_e32 v3, 29, v3
	v_lshlrev_b64 v[4:5], v4, v[8:9]
	v_and_b32_e32 v8, 7, v4
; %bb.976:                              ;   in Loop: Header=BB243_16 Depth=1
	s_or_b32 exec_lo, exec_lo, s26
	v_mov_b32_e32 v4, 24
	v_lshl_add_u32 v3, v3, 23, 0x3c000000
	v_lshlrev_b32_sdwa v2, v4, v2 dst_sel:DWORD dst_unused:UNUSED_PAD src0_sel:DWORD src1_sel:BYTE_3
	v_lshlrev_b32_e32 v4, 20, v8
	v_and_b32_e32 v2, 0x80000000, v2
	v_or3_b32 v3, v4, v2, v3
	v_mov_b32_e32 v2, v9
	buffer_store_dword v2, off, s[0:3], s32 offset:1196 ; 4-byte Folded Spill
	buffer_store_dword v3, off, s[0:3], s32 offset:1200 ; 4-byte Folded Spill
.LBB243_977:                            ;   in Loop: Header=BB243_16 Depth=1
	s_or_b32 exec_lo, exec_lo, s25
.LBB243_978:                            ;   in Loop: Header=BB243_16 Depth=1
	s_or_b32 exec_lo, exec_lo, s24
.LBB243_979:                            ;   in Loop: Header=BB243_16 Depth=1
	s_or_b32 exec_lo, exec_lo, s23
	flat_load_dword v2, v[0:1] offset:1544
	v_mov_b32_e32 v3, 0
	v_mov_b32_e32 v4, 0
	buffer_store_dword v3, off, s[0:3], s32 offset:1220 ; 4-byte Folded Spill
	buffer_store_dword v4, off, s[0:3], s32 offset:1224 ; 4-byte Folded Spill
	v_mov_b32_e32 v3, 0
	v_mov_b32_e32 v4, 0
	buffer_store_dword v3, off, s[0:3], s32 offset:1212 ; 4-byte Folded Spill
	buffer_store_dword v4, off, s[0:3], s32 offset:1216 ; 4-byte Folded Spill
	s_waitcnt vmcnt(0) lgkmcnt(0)
	v_cmp_ne_u16_sdwa s5, v2, v9 src0_sel:BYTE_0 src1_sel:DWORD
	s_and_saveexec_b32 s23, s5
	s_cbranch_execz .LBB243_987
; %bb.980:                              ;   in Loop: Header=BB243_16 Depth=1
	v_bfrev_b32_e32 v3, 1
	v_mov_b32_e32 v4, 0
	buffer_store_dword v3, off, s[0:3], s32 offset:1212 ; 4-byte Folded Spill
	buffer_store_dword v4, off, s[0:3], s32 offset:1216 ; 4-byte Folded Spill
	v_mov_b32_e32 v3, 0x80
	v_cmp_ne_u16_sdwa s5, v2, v3 src0_sel:BYTE_0 src1_sel:DWORD
	s_and_saveexec_b32 s24, s5
	s_cbranch_execz .LBB243_986
; %bb.981:                              ;   in Loop: Header=BB243_16 Depth=1
	v_mov_b32_e32 v5, 0x7f800001
	v_and_b32_e32 v4, 0x7f, v2
	v_mov_b32_e32 v6, 0
	s_mov_b32 s25, exec_lo
	buffer_store_dword v5, off, s[0:3], s32 offset:1212 ; 4-byte Folded Spill
	buffer_store_dword v6, off, s[0:3], s32 offset:1216 ; 4-byte Folded Spill
	v_cmpx_ne_u32_e32 0x7f, v4
	s_cbranch_execz .LBB243_985
; %bb.982:                              ;   in Loop: Header=BB243_16 Depth=1
	v_and_b32_e32 v8, 7, v2
	v_lshrrev_b32_e32 v3, 3, v4
	s_mov_b32 s26, exec_lo
	v_cmpx_gt_u32_e32 8, v4
; %bb.983:                              ;   in Loop: Header=BB243_16 Depth=1
	v_ffbh_u32_e32 v3, v8
	v_min_u32_e32 v3, 32, v3
	v_subrev_nc_u32_e32 v4, 28, v3
	v_sub_nc_u32_e32 v3, 29, v3
	v_lshlrev_b64 v[4:5], v4, v[8:9]
	v_and_b32_e32 v8, 7, v4
; %bb.984:                              ;   in Loop: Header=BB243_16 Depth=1
	s_or_b32 exec_lo, exec_lo, s26
	v_lshlrev_b32_e32 v4, 24, v2
	v_lshlrev_b32_e32 v5, 20, v8
	v_lshl_add_u32 v3, v3, 23, 0x3c000000
	v_and_b32_e32 v4, 0x80000000, v4
	v_or3_b32 v8, v5, v4, v3
	buffer_store_dword v8, off, s[0:3], s32 offset:1212 ; 4-byte Folded Spill
	buffer_store_dword v9, off, s[0:3], s32 offset:1216 ; 4-byte Folded Spill
.LBB243_985:                            ;   in Loop: Header=BB243_16 Depth=1
	s_or_b32 exec_lo, exec_lo, s25
.LBB243_986:                            ;   in Loop: Header=BB243_16 Depth=1
	s_or_b32 exec_lo, exec_lo, s24
.LBB243_987:                            ;   in Loop: Header=BB243_16 Depth=1
	s_or_b32 exec_lo, exec_lo, s23
	v_cmp_ne_u16_sdwa s5, v2, v9 src0_sel:BYTE_1 src1_sel:DWORD
	s_and_saveexec_b32 s23, s5
	s_cbranch_execz .LBB243_995
; %bb.988:                              ;   in Loop: Header=BB243_16 Depth=1
	v_mov_b32_e32 v3, 0x80
	v_mov_b32_e32 v46, v9
	buffer_store_dword v46, off, s[0:3], s32 offset:1220 ; 4-byte Folded Spill
	buffer_store_dword v47, off, s[0:3], s32 offset:1224 ; 4-byte Folded Spill
	v_cmp_ne_u16_sdwa s5, v2, v3 src0_sel:BYTE_1 src1_sel:DWORD
	s_and_saveexec_b32 s24, s5
	s_cbranch_execz .LBB243_994
; %bb.989:                              ;   in Loop: Header=BB243_16 Depth=1
	s_clause 0x1
	buffer_load_dword v5, off, s[0:3], s32 offset:200
	buffer_load_dword v6, off, s[0:3], s32 offset:204
	v_mov_b32_e32 v3, 0xffff
	s_mov_b32 s25, exec_lo
	v_and_b32_sdwa v3, v3, v2 dst_sel:DWORD dst_unused:UNUSED_PAD src0_sel:DWORD src1_sel:BYTE_1
	v_and_b32_e32 v4, 0x7f, v3
	s_waitcnt vmcnt(0)
	v_mov_b32_e32 v7, v6
	v_mov_b32_e32 v6, v9
	;; [unrolled: 1-line block ×3, first 2 shown]
	buffer_store_dword v4, off, s[0:3], s32 offset:200 ; 4-byte Folded Spill
	buffer_store_dword v5, off, s[0:3], s32 offset:204 ; 4-byte Folded Spill
	;; [unrolled: 1-line block ×4, first 2 shown]
	v_cmpx_ne_u32_e32 0x7f, v4
	s_cbranch_execz .LBB243_993
; %bb.990:                              ;   in Loop: Header=BB243_16 Depth=1
	v_and_b32_e32 v8, 7, v3
	v_lshrrev_b32_e32 v3, 3, v4
	s_mov_b32 s26, exec_lo
	v_cmpx_gt_u32_e32 8, v4
; %bb.991:                              ;   in Loop: Header=BB243_16 Depth=1
	v_ffbh_u32_e32 v3, v8
	v_min_u32_e32 v3, 32, v3
	v_subrev_nc_u32_e32 v4, 28, v3
	v_sub_nc_u32_e32 v3, 29, v3
	v_lshlrev_b64 v[4:5], v4, v[8:9]
	v_and_b32_e32 v8, 7, v4
; %bb.992:                              ;   in Loop: Header=BB243_16 Depth=1
	s_or_b32 exec_lo, exec_lo, s26
	v_lshlrev_b32_e32 v4, 16, v2
	v_lshlrev_b32_e32 v5, 20, v8
	v_lshl_add_u32 v3, v3, 23, 0x3c000000
	v_and_b32_e32 v4, 0x80000000, v4
	v_or3_b32 v4, v5, v4, v3
	v_mov_b32_e32 v3, v9
	buffer_store_dword v3, off, s[0:3], s32 offset:1220 ; 4-byte Folded Spill
	buffer_store_dword v4, off, s[0:3], s32 offset:1224 ; 4-byte Folded Spill
.LBB243_993:                            ;   in Loop: Header=BB243_16 Depth=1
	s_or_b32 exec_lo, exec_lo, s25
.LBB243_994:                            ;   in Loop: Header=BB243_16 Depth=1
	s_or_b32 exec_lo, exec_lo, s24
.LBB243_995:                            ;   in Loop: Header=BB243_16 Depth=1
	s_or_b32 exec_lo, exec_lo, s23
	v_mov_b32_e32 v4, 0
	v_mov_b32_e32 v5, 0
	;; [unrolled: 1-line block ×3, first 2 shown]
	s_mov_b32 s23, exec_lo
	buffer_store_dword v4, off, s[0:3], s32 offset:1228 ; 4-byte Folded Spill
	buffer_store_dword v5, off, s[0:3], s32 offset:1232 ; 4-byte Folded Spill
	v_mov_b32_e32 v4, 0
	v_and_b32_sdwa v3, v2, v3 dst_sel:DWORD dst_unused:UNUSED_PAD src0_sel:WORD_1 src1_sel:DWORD
	v_mov_b32_e32 v5, 0
	buffer_store_dword v4, off, s[0:3], s32 offset:1236 ; 4-byte Folded Spill
	buffer_store_dword v5, off, s[0:3], s32 offset:1240 ; 4-byte Folded Spill
	v_cmpx_ne_u16_e32 0, v3
	s_cbranch_execz .LBB243_1003
; %bb.996:                              ;   in Loop: Header=BB243_16 Depth=1
	v_cmp_ne_u16_e64 s5, 0x80, v3
	v_bfrev_b32_e32 v3, 1
	v_mov_b32_e32 v4, 0
	buffer_store_dword v3, off, s[0:3], s32 offset:1236 ; 4-byte Folded Spill
	buffer_store_dword v4, off, s[0:3], s32 offset:1240 ; 4-byte Folded Spill
	s_and_saveexec_b32 s24, s5
	s_cbranch_execz .LBB243_1002
; %bb.997:                              ;   in Loop: Header=BB243_16 Depth=1
	v_mov_b32_e32 v5, 0x7f800001
	v_bfe_u32 v4, v2, 16, 7
	v_mov_b32_e32 v6, 0
	s_mov_b32 s25, exec_lo
	buffer_store_dword v5, off, s[0:3], s32 offset:1236 ; 4-byte Folded Spill
	buffer_store_dword v6, off, s[0:3], s32 offset:1240 ; 4-byte Folded Spill
	v_cmpx_ne_u32_e32 0x7f, v4
	s_cbranch_execz .LBB243_1001
; %bb.998:                              ;   in Loop: Header=BB243_16 Depth=1
	v_mov_b32_e32 v3, 7
	s_mov_b32 s26, exec_lo
	v_and_b32_sdwa v8, v2, v3 dst_sel:DWORD dst_unused:UNUSED_PAD src0_sel:WORD_1 src1_sel:DWORD
	v_lshrrev_b32_e32 v3, 3, v4
	v_cmpx_gt_u32_e32 8, v4
; %bb.999:                              ;   in Loop: Header=BB243_16 Depth=1
	v_ffbh_u32_e32 v3, v8
	v_min_u32_e32 v3, 32, v3
	v_subrev_nc_u32_e32 v4, 28, v3
	v_sub_nc_u32_e32 v3, 29, v3
	v_lshlrev_b64 v[4:5], v4, v[8:9]
	v_and_b32_e32 v8, 7, v4
; %bb.1000:                             ;   in Loop: Header=BB243_16 Depth=1
	s_or_b32 exec_lo, exec_lo, s26
	v_mov_b32_e32 v4, 24
	v_lshlrev_b32_e32 v5, 20, v8
	v_lshl_add_u32 v3, v3, 23, 0x3c000000
	v_lshlrev_b32_sdwa v4, v4, v2 dst_sel:DWORD dst_unused:UNUSED_PAD src0_sel:DWORD src1_sel:WORD_1
	v_and_b32_e32 v4, 0x80000000, v4
	v_or3_b32 v8, v5, v4, v3
	buffer_store_dword v8, off, s[0:3], s32 offset:1236 ; 4-byte Folded Spill
	buffer_store_dword v9, off, s[0:3], s32 offset:1240 ; 4-byte Folded Spill
.LBB243_1001:                           ;   in Loop: Header=BB243_16 Depth=1
	s_or_b32 exec_lo, exec_lo, s25
.LBB243_1002:                           ;   in Loop: Header=BB243_16 Depth=1
	s_or_b32 exec_lo, exec_lo, s24
.LBB243_1003:                           ;   in Loop: Header=BB243_16 Depth=1
	s_or_b32 exec_lo, exec_lo, s23
	s_mov_b32 s23, exec_lo
	v_cmpx_lt_u32_e32 0xffffff, v2
	s_cbranch_execz .LBB243_1011
; %bb.1004:                             ;   in Loop: Header=BB243_16 Depth=1
	v_mov_b32_e32 v3, 0x80
	v_mov_b32_e32 v46, v9
	buffer_store_dword v46, off, s[0:3], s32 offset:1228 ; 4-byte Folded Spill
	buffer_store_dword v47, off, s[0:3], s32 offset:1232 ; 4-byte Folded Spill
	v_cmp_ne_u32_sdwa s5, v2, v3 src0_sel:BYTE_3 src1_sel:DWORD
	s_and_saveexec_b32 s24, s5
	s_cbranch_execz .LBB243_1010
; %bb.1005:                             ;   in Loop: Header=BB243_16 Depth=1
	s_clause 0x1
	buffer_load_dword v5, off, s[0:3], s32 offset:200
	buffer_load_dword v6, off, s[0:3], s32 offset:204
	v_bfe_u32 v4, v2, 24, 7
	s_waitcnt vmcnt(1)
	v_mov_b32_e32 v5, v9
	s_mov_b32 s25, exec_lo
	s_waitcnt vmcnt(0)
	v_mov_b32_e32 v3, v6
	buffer_store_dword v2, off, s[0:3], s32 offset:200 ; 4-byte Folded Spill
	buffer_store_dword v3, off, s[0:3], s32 offset:204 ; 4-byte Folded Spill
	;; [unrolled: 1-line block ×4, first 2 shown]
	v_cmpx_ne_u32_e32 0x7f, v4
	s_cbranch_execz .LBB243_1009
; %bb.1006:                             ;   in Loop: Header=BB243_16 Depth=1
	v_mov_b32_e32 v3, 7
	s_mov_b32 s26, exec_lo
	v_and_b32_sdwa v8, v2, v3 dst_sel:DWORD dst_unused:UNUSED_PAD src0_sel:BYTE_3 src1_sel:DWORD
	v_lshrrev_b32_e32 v3, 3, v4
	v_cmpx_gt_u32_e32 8, v4
; %bb.1007:                             ;   in Loop: Header=BB243_16 Depth=1
	v_ffbh_u32_e32 v3, v8
	v_min_u32_e32 v3, 32, v3
	v_subrev_nc_u32_e32 v4, 28, v3
	v_sub_nc_u32_e32 v3, 29, v3
	v_lshlrev_b64 v[4:5], v4, v[8:9]
	v_and_b32_e32 v8, 7, v4
; %bb.1008:                             ;   in Loop: Header=BB243_16 Depth=1
	s_or_b32 exec_lo, exec_lo, s26
	v_mov_b32_e32 v4, 24
	v_lshl_add_u32 v3, v3, 23, 0x3c000000
	v_lshlrev_b32_sdwa v2, v4, v2 dst_sel:DWORD dst_unused:UNUSED_PAD src0_sel:DWORD src1_sel:BYTE_3
	v_lshlrev_b32_e32 v4, 20, v8
	v_and_b32_e32 v2, 0x80000000, v2
	v_or3_b32 v3, v4, v2, v3
	v_mov_b32_e32 v2, v9
	buffer_store_dword v2, off, s[0:3], s32 offset:1228 ; 4-byte Folded Spill
	buffer_store_dword v3, off, s[0:3], s32 offset:1232 ; 4-byte Folded Spill
.LBB243_1009:                           ;   in Loop: Header=BB243_16 Depth=1
	s_or_b32 exec_lo, exec_lo, s25
.LBB243_1010:                           ;   in Loop: Header=BB243_16 Depth=1
	s_or_b32 exec_lo, exec_lo, s24
.LBB243_1011:                           ;   in Loop: Header=BB243_16 Depth=1
	s_or_b32 exec_lo, exec_lo, s23
	flat_load_dword v0, v[0:1] offset:1548
	v_mov_b32_e32 v1, 0
	v_mov_b32_e32 v2, 0
	buffer_store_dword v1, off, s[0:3], s32 offset:1252 ; 4-byte Folded Spill
	buffer_store_dword v2, off, s[0:3], s32 offset:1256 ; 4-byte Folded Spill
	v_mov_b32_e32 v1, 0
	v_mov_b32_e32 v2, 0
	buffer_store_dword v1, off, s[0:3], s32 offset:1244 ; 4-byte Folded Spill
	buffer_store_dword v2, off, s[0:3], s32 offset:1248 ; 4-byte Folded Spill
	s_waitcnt vmcnt(0) lgkmcnt(0)
	v_cmp_ne_u16_sdwa s5, v0, v9 src0_sel:BYTE_0 src1_sel:DWORD
	s_and_saveexec_b32 s23, s5
	s_cbranch_execz .LBB243_1019
; %bb.1012:                             ;   in Loop: Header=BB243_16 Depth=1
	v_bfrev_b32_e32 v1, 1
	v_mov_b32_e32 v2, 0
	buffer_store_dword v1, off, s[0:3], s32 offset:1244 ; 4-byte Folded Spill
	buffer_store_dword v2, off, s[0:3], s32 offset:1248 ; 4-byte Folded Spill
	v_mov_b32_e32 v1, 0x80
	v_cmp_ne_u16_sdwa s5, v0, v1 src0_sel:BYTE_0 src1_sel:DWORD
	s_and_saveexec_b32 s24, s5
	s_cbranch_execz .LBB243_1018
; %bb.1013:                             ;   in Loop: Header=BB243_16 Depth=1
	v_mov_b32_e32 v3, 0x7f800001
	v_and_b32_e32 v2, 0x7f, v0
	v_mov_b32_e32 v4, 0
	s_mov_b32 s25, exec_lo
	buffer_store_dword v3, off, s[0:3], s32 offset:1244 ; 4-byte Folded Spill
	buffer_store_dword v4, off, s[0:3], s32 offset:1248 ; 4-byte Folded Spill
	v_cmpx_ne_u32_e32 0x7f, v2
	s_cbranch_execz .LBB243_1017
; %bb.1014:                             ;   in Loop: Header=BB243_16 Depth=1
	v_and_b32_e32 v8, 7, v0
	v_lshrrev_b32_e32 v1, 3, v2
	s_mov_b32 s26, exec_lo
	v_cmpx_gt_u32_e32 8, v2
; %bb.1015:                             ;   in Loop: Header=BB243_16 Depth=1
	v_ffbh_u32_e32 v1, v8
	v_min_u32_e32 v1, 32, v1
	v_subrev_nc_u32_e32 v2, 28, v1
	v_sub_nc_u32_e32 v1, 29, v1
	v_lshlrev_b64 v[2:3], v2, v[8:9]
	v_and_b32_e32 v8, 7, v2
; %bb.1016:                             ;   in Loop: Header=BB243_16 Depth=1
	s_or_b32 exec_lo, exec_lo, s26
	v_lshlrev_b32_e32 v2, 24, v0
	v_lshlrev_b32_e32 v3, 20, v8
	v_lshl_add_u32 v1, v1, 23, 0x3c000000
	v_and_b32_e32 v2, 0x80000000, v2
	v_or3_b32 v8, v3, v2, v1
	buffer_store_dword v8, off, s[0:3], s32 offset:1244 ; 4-byte Folded Spill
	buffer_store_dword v9, off, s[0:3], s32 offset:1248 ; 4-byte Folded Spill
.LBB243_1017:                           ;   in Loop: Header=BB243_16 Depth=1
	s_or_b32 exec_lo, exec_lo, s25
.LBB243_1018:                           ;   in Loop: Header=BB243_16 Depth=1
	s_or_b32 exec_lo, exec_lo, s24
.LBB243_1019:                           ;   in Loop: Header=BB243_16 Depth=1
	s_or_b32 exec_lo, exec_lo, s23
	v_cmp_ne_u16_sdwa s5, v0, v9 src0_sel:BYTE_1 src1_sel:DWORD
	s_and_saveexec_b32 s23, s5
	s_cbranch_execz .LBB243_1027
; %bb.1020:                             ;   in Loop: Header=BB243_16 Depth=1
	v_mov_b32_e32 v1, 0x80
	v_mov_b32_e32 v46, v9
	buffer_store_dword v46, off, s[0:3], s32 offset:1252 ; 4-byte Folded Spill
	buffer_store_dword v47, off, s[0:3], s32 offset:1256 ; 4-byte Folded Spill
	v_cmp_ne_u16_sdwa s5, v0, v1 src0_sel:BYTE_1 src1_sel:DWORD
	s_and_saveexec_b32 s24, s5
	s_cbranch_execz .LBB243_1026
; %bb.1021:                             ;   in Loop: Header=BB243_16 Depth=1
	s_clause 0x1
	buffer_load_dword v3, off, s[0:3], s32 offset:200
	buffer_load_dword v4, off, s[0:3], s32 offset:204
	v_mov_b32_e32 v1, 0xffff
	s_mov_b32 s25, exec_lo
	v_and_b32_sdwa v1, v1, v0 dst_sel:DWORD dst_unused:UNUSED_PAD src0_sel:DWORD src1_sel:BYTE_1
	v_and_b32_e32 v2, 0x7f, v1
	s_waitcnt vmcnt(0)
	v_mov_b32_e32 v5, v4
	v_mov_b32_e32 v4, v9
	;; [unrolled: 1-line block ×3, first 2 shown]
	buffer_store_dword v2, off, s[0:3], s32 offset:200 ; 4-byte Folded Spill
	buffer_store_dword v3, off, s[0:3], s32 offset:204 ; 4-byte Folded Spill
	;; [unrolled: 1-line block ×4, first 2 shown]
	v_cmpx_ne_u32_e32 0x7f, v2
	s_cbranch_execz .LBB243_1025
; %bb.1022:                             ;   in Loop: Header=BB243_16 Depth=1
	v_and_b32_e32 v8, 7, v1
	v_lshrrev_b32_e32 v1, 3, v2
	s_mov_b32 s26, exec_lo
	v_cmpx_gt_u32_e32 8, v2
; %bb.1023:                             ;   in Loop: Header=BB243_16 Depth=1
	v_ffbh_u32_e32 v1, v8
	v_min_u32_e32 v1, 32, v1
	v_subrev_nc_u32_e32 v2, 28, v1
	v_sub_nc_u32_e32 v1, 29, v1
	v_lshlrev_b64 v[2:3], v2, v[8:9]
	v_and_b32_e32 v8, 7, v2
; %bb.1024:                             ;   in Loop: Header=BB243_16 Depth=1
	s_or_b32 exec_lo, exec_lo, s26
	v_lshlrev_b32_e32 v2, 16, v0
	v_lshlrev_b32_e32 v3, 20, v8
	v_lshl_add_u32 v1, v1, 23, 0x3c000000
	v_and_b32_e32 v2, 0x80000000, v2
	v_or3_b32 v2, v3, v2, v1
	v_mov_b32_e32 v1, v9
	buffer_store_dword v1, off, s[0:3], s32 offset:1252 ; 4-byte Folded Spill
	buffer_store_dword v2, off, s[0:3], s32 offset:1256 ; 4-byte Folded Spill
.LBB243_1025:                           ;   in Loop: Header=BB243_16 Depth=1
	s_or_b32 exec_lo, exec_lo, s25
.LBB243_1026:                           ;   in Loop: Header=BB243_16 Depth=1
	s_or_b32 exec_lo, exec_lo, s24
.LBB243_1027:                           ;   in Loop: Header=BB243_16 Depth=1
	s_or_b32 exec_lo, exec_lo, s23
	v_mov_b32_e32 v2, 0
	v_mov_b32_e32 v3, 0
	;; [unrolled: 1-line block ×3, first 2 shown]
	s_mov_b32 s23, exec_lo
	buffer_store_dword v2, off, s[0:3], s32 offset:1260 ; 4-byte Folded Spill
	buffer_store_dword v3, off, s[0:3], s32 offset:1264 ; 4-byte Folded Spill
	v_mov_b32_e32 v2, 0
	v_and_b32_sdwa v1, v0, v1 dst_sel:DWORD dst_unused:UNUSED_PAD src0_sel:WORD_1 src1_sel:DWORD
	v_mov_b32_e32 v3, 0
	buffer_store_dword v2, off, s[0:3], s32 offset:1268 ; 4-byte Folded Spill
	buffer_store_dword v3, off, s[0:3], s32 offset:1272 ; 4-byte Folded Spill
	v_cmpx_ne_u16_e32 0, v1
	s_cbranch_execz .LBB243_1035
; %bb.1028:                             ;   in Loop: Header=BB243_16 Depth=1
	v_cmp_ne_u16_e64 s5, 0x80, v1
	v_bfrev_b32_e32 v1, 1
	v_mov_b32_e32 v2, 0
	buffer_store_dword v1, off, s[0:3], s32 offset:1268 ; 4-byte Folded Spill
	buffer_store_dword v2, off, s[0:3], s32 offset:1272 ; 4-byte Folded Spill
	s_and_saveexec_b32 s24, s5
	s_cbranch_execz .LBB243_1034
; %bb.1029:                             ;   in Loop: Header=BB243_16 Depth=1
	v_mov_b32_e32 v3, 0x7f800001
	v_bfe_u32 v2, v0, 16, 7
	v_mov_b32_e32 v4, 0
	s_mov_b32 s25, exec_lo
	buffer_store_dword v3, off, s[0:3], s32 offset:1268 ; 4-byte Folded Spill
	buffer_store_dword v4, off, s[0:3], s32 offset:1272 ; 4-byte Folded Spill
	v_cmpx_ne_u32_e32 0x7f, v2
	s_cbranch_execz .LBB243_1033
; %bb.1030:                             ;   in Loop: Header=BB243_16 Depth=1
	v_mov_b32_e32 v1, 7
	s_mov_b32 s26, exec_lo
	v_and_b32_sdwa v8, v0, v1 dst_sel:DWORD dst_unused:UNUSED_PAD src0_sel:WORD_1 src1_sel:DWORD
	v_lshrrev_b32_e32 v1, 3, v2
	v_cmpx_gt_u32_e32 8, v2
; %bb.1031:                             ;   in Loop: Header=BB243_16 Depth=1
	v_ffbh_u32_e32 v1, v8
	v_min_u32_e32 v1, 32, v1
	v_subrev_nc_u32_e32 v2, 28, v1
	v_sub_nc_u32_e32 v1, 29, v1
	v_lshlrev_b64 v[2:3], v2, v[8:9]
	v_and_b32_e32 v8, 7, v2
; %bb.1032:                             ;   in Loop: Header=BB243_16 Depth=1
	s_or_b32 exec_lo, exec_lo, s26
	v_mov_b32_e32 v2, 24
	v_lshlrev_b32_e32 v3, 20, v8
	v_lshl_add_u32 v1, v1, 23, 0x3c000000
	v_lshlrev_b32_sdwa v2, v2, v0 dst_sel:DWORD dst_unused:UNUSED_PAD src0_sel:DWORD src1_sel:WORD_1
	v_and_b32_e32 v2, 0x80000000, v2
	v_or3_b32 v8, v3, v2, v1
	buffer_store_dword v8, off, s[0:3], s32 offset:1268 ; 4-byte Folded Spill
	buffer_store_dword v9, off, s[0:3], s32 offset:1272 ; 4-byte Folded Spill
.LBB243_1033:                           ;   in Loop: Header=BB243_16 Depth=1
	s_or_b32 exec_lo, exec_lo, s25
.LBB243_1034:                           ;   in Loop: Header=BB243_16 Depth=1
	s_or_b32 exec_lo, exec_lo, s24
.LBB243_1035:                           ;   in Loop: Header=BB243_16 Depth=1
	s_or_b32 exec_lo, exec_lo, s23
	s_mov_b32 s23, exec_lo
	v_cmpx_lt_u32_e32 0xffffff, v0
	s_cbranch_execz .LBB243_1043
; %bb.1036:                             ;   in Loop: Header=BB243_16 Depth=1
	v_mov_b32_e32 v1, 0x80
	v_mov_b32_e32 v46, v9
	buffer_store_dword v46, off, s[0:3], s32 offset:1260 ; 4-byte Folded Spill
	buffer_store_dword v47, off, s[0:3], s32 offset:1264 ; 4-byte Folded Spill
	v_cmp_ne_u32_sdwa s5, v0, v1 src0_sel:BYTE_3 src1_sel:DWORD
	s_and_saveexec_b32 s24, s5
	s_cbranch_execz .LBB243_1042
; %bb.1037:                             ;   in Loop: Header=BB243_16 Depth=1
	s_clause 0x1
	buffer_load_dword v3, off, s[0:3], s32 offset:200
	buffer_load_dword v4, off, s[0:3], s32 offset:204
	v_bfe_u32 v2, v0, 24, 7
	s_waitcnt vmcnt(1)
	v_mov_b32_e32 v3, v9
	s_mov_b32 s25, exec_lo
	s_waitcnt vmcnt(0)
	v_mov_b32_e32 v1, v4
	buffer_store_dword v0, off, s[0:3], s32 offset:200 ; 4-byte Folded Spill
	buffer_store_dword v1, off, s[0:3], s32 offset:204 ; 4-byte Folded Spill
	;; [unrolled: 1-line block ×4, first 2 shown]
	v_cmpx_ne_u32_e32 0x7f, v2
	s_cbranch_execz .LBB243_1041
; %bb.1038:                             ;   in Loop: Header=BB243_16 Depth=1
	v_mov_b32_e32 v1, 7
	s_mov_b32 s26, exec_lo
	v_and_b32_sdwa v8, v0, v1 dst_sel:DWORD dst_unused:UNUSED_PAD src0_sel:BYTE_3 src1_sel:DWORD
	v_lshrrev_b32_e32 v1, 3, v2
	v_cmpx_gt_u32_e32 8, v2
; %bb.1039:                             ;   in Loop: Header=BB243_16 Depth=1
	v_ffbh_u32_e32 v1, v8
	v_min_u32_e32 v1, 32, v1
	v_subrev_nc_u32_e32 v2, 28, v1
	v_sub_nc_u32_e32 v1, 29, v1
	v_lshlrev_b64 v[2:3], v2, v[8:9]
	v_and_b32_e32 v8, 7, v2
; %bb.1040:                             ;   in Loop: Header=BB243_16 Depth=1
	s_or_b32 exec_lo, exec_lo, s26
	v_mov_b32_e32 v2, 24
	v_lshl_add_u32 v1, v1, 23, 0x3c000000
	v_lshlrev_b32_sdwa v0, v2, v0 dst_sel:DWORD dst_unused:UNUSED_PAD src0_sel:DWORD src1_sel:BYTE_3
	v_lshlrev_b32_e32 v2, 20, v8
	v_and_b32_e32 v0, 0x80000000, v0
	v_or3_b32 v1, v2, v0, v1
	v_mov_b32_e32 v0, v9
	buffer_store_dword v0, off, s[0:3], s32 offset:1260 ; 4-byte Folded Spill
	buffer_store_dword v1, off, s[0:3], s32 offset:1264 ; 4-byte Folded Spill
.LBB243_1041:                           ;   in Loop: Header=BB243_16 Depth=1
	s_or_b32 exec_lo, exec_lo, s25
.LBB243_1042:                           ;   in Loop: Header=BB243_16 Depth=1
	s_or_b32 exec_lo, exec_lo, s24
.LBB243_1043:                           ;   in Loop: Header=BB243_16 Depth=1
	s_or_b32 exec_lo, exec_lo, s23
	v_add_co_u32 v0, s5, 0x1000, v114
	v_add_co_ci_u32_e64 v1, null, 0, v115, s5
	v_mov_b32_e32 v3, 0
	v_mov_b32_e32 v4, 0
	flat_load_dword v2, v[0:1]
	buffer_store_dword v3, off, s[0:3], s32 offset:1284 ; 4-byte Folded Spill
	buffer_store_dword v4, off, s[0:3], s32 offset:1288 ; 4-byte Folded Spill
	v_mov_b32_e32 v3, 0
	v_mov_b32_e32 v4, 0
	buffer_store_dword v3, off, s[0:3], s32 offset:1276 ; 4-byte Folded Spill
	buffer_store_dword v4, off, s[0:3], s32 offset:1280 ; 4-byte Folded Spill
	s_waitcnt vmcnt(0) lgkmcnt(0)
	v_cmp_ne_u16_sdwa s5, v2, v9 src0_sel:BYTE_0 src1_sel:DWORD
	s_and_saveexec_b32 s23, s5
	s_cbranch_execz .LBB243_1051
; %bb.1044:                             ;   in Loop: Header=BB243_16 Depth=1
	v_bfrev_b32_e32 v3, 1
	v_mov_b32_e32 v4, 0
	buffer_store_dword v3, off, s[0:3], s32 offset:1276 ; 4-byte Folded Spill
	buffer_store_dword v4, off, s[0:3], s32 offset:1280 ; 4-byte Folded Spill
	v_mov_b32_e32 v3, 0x80
	v_cmp_ne_u16_sdwa s5, v2, v3 src0_sel:BYTE_0 src1_sel:DWORD
	s_and_saveexec_b32 s24, s5
	s_cbranch_execz .LBB243_1050
; %bb.1045:                             ;   in Loop: Header=BB243_16 Depth=1
	v_mov_b32_e32 v5, 0x7f800001
	v_and_b32_e32 v4, 0x7f, v2
	v_mov_b32_e32 v6, 0
	s_mov_b32 s25, exec_lo
	buffer_store_dword v5, off, s[0:3], s32 offset:1276 ; 4-byte Folded Spill
	buffer_store_dword v6, off, s[0:3], s32 offset:1280 ; 4-byte Folded Spill
	v_cmpx_ne_u32_e32 0x7f, v4
	s_cbranch_execz .LBB243_1049
; %bb.1046:                             ;   in Loop: Header=BB243_16 Depth=1
	v_and_b32_e32 v8, 7, v2
	v_lshrrev_b32_e32 v3, 3, v4
	s_mov_b32 s26, exec_lo
	v_cmpx_gt_u32_e32 8, v4
; %bb.1047:                             ;   in Loop: Header=BB243_16 Depth=1
	v_ffbh_u32_e32 v3, v8
	v_min_u32_e32 v3, 32, v3
	v_subrev_nc_u32_e32 v4, 28, v3
	v_sub_nc_u32_e32 v3, 29, v3
	v_lshlrev_b64 v[4:5], v4, v[8:9]
	v_and_b32_e32 v8, 7, v4
; %bb.1048:                             ;   in Loop: Header=BB243_16 Depth=1
	s_or_b32 exec_lo, exec_lo, s26
	v_lshlrev_b32_e32 v4, 24, v2
	v_lshlrev_b32_e32 v5, 20, v8
	v_lshl_add_u32 v3, v3, 23, 0x3c000000
	v_and_b32_e32 v4, 0x80000000, v4
	v_or3_b32 v8, v5, v4, v3
	buffer_store_dword v8, off, s[0:3], s32 offset:1276 ; 4-byte Folded Spill
	buffer_store_dword v9, off, s[0:3], s32 offset:1280 ; 4-byte Folded Spill
.LBB243_1049:                           ;   in Loop: Header=BB243_16 Depth=1
	s_or_b32 exec_lo, exec_lo, s25
.LBB243_1050:                           ;   in Loop: Header=BB243_16 Depth=1
	s_or_b32 exec_lo, exec_lo, s24
.LBB243_1051:                           ;   in Loop: Header=BB243_16 Depth=1
	s_or_b32 exec_lo, exec_lo, s23
	v_cmp_ne_u16_sdwa s5, v2, v9 src0_sel:BYTE_1 src1_sel:DWORD
	s_and_saveexec_b32 s23, s5
	s_cbranch_execz .LBB243_1059
; %bb.1052:                             ;   in Loop: Header=BB243_16 Depth=1
	v_mov_b32_e32 v3, 0x80
	v_mov_b32_e32 v46, v9
	buffer_store_dword v46, off, s[0:3], s32 offset:1284 ; 4-byte Folded Spill
	buffer_store_dword v47, off, s[0:3], s32 offset:1288 ; 4-byte Folded Spill
	v_cmp_ne_u16_sdwa s5, v2, v3 src0_sel:BYTE_1 src1_sel:DWORD
	s_and_saveexec_b32 s24, s5
	s_cbranch_execz .LBB243_1058
; %bb.1053:                             ;   in Loop: Header=BB243_16 Depth=1
	s_clause 0x1
	buffer_load_dword v5, off, s[0:3], s32 offset:200
	buffer_load_dword v6, off, s[0:3], s32 offset:204
	v_mov_b32_e32 v3, 0xffff
	s_mov_b32 s25, exec_lo
	v_and_b32_sdwa v3, v3, v2 dst_sel:DWORD dst_unused:UNUSED_PAD src0_sel:DWORD src1_sel:BYTE_1
	v_and_b32_e32 v4, 0x7f, v3
	s_waitcnt vmcnt(0)
	v_mov_b32_e32 v7, v6
	v_mov_b32_e32 v6, v9
	;; [unrolled: 1-line block ×3, first 2 shown]
	buffer_store_dword v4, off, s[0:3], s32 offset:200 ; 4-byte Folded Spill
	buffer_store_dword v5, off, s[0:3], s32 offset:204 ; 4-byte Folded Spill
	;; [unrolled: 1-line block ×4, first 2 shown]
	v_cmpx_ne_u32_e32 0x7f, v4
	s_cbranch_execz .LBB243_1057
; %bb.1054:                             ;   in Loop: Header=BB243_16 Depth=1
	v_and_b32_e32 v8, 7, v3
	v_lshrrev_b32_e32 v3, 3, v4
	s_mov_b32 s26, exec_lo
	v_cmpx_gt_u32_e32 8, v4
; %bb.1055:                             ;   in Loop: Header=BB243_16 Depth=1
	v_ffbh_u32_e32 v3, v8
	v_min_u32_e32 v3, 32, v3
	v_subrev_nc_u32_e32 v4, 28, v3
	v_sub_nc_u32_e32 v3, 29, v3
	v_lshlrev_b64 v[4:5], v4, v[8:9]
	v_and_b32_e32 v8, 7, v4
; %bb.1056:                             ;   in Loop: Header=BB243_16 Depth=1
	s_or_b32 exec_lo, exec_lo, s26
	v_lshlrev_b32_e32 v4, 16, v2
	v_lshlrev_b32_e32 v5, 20, v8
	v_lshl_add_u32 v3, v3, 23, 0x3c000000
	v_and_b32_e32 v4, 0x80000000, v4
	v_or3_b32 v4, v5, v4, v3
	v_mov_b32_e32 v3, v9
	buffer_store_dword v3, off, s[0:3], s32 offset:1284 ; 4-byte Folded Spill
	buffer_store_dword v4, off, s[0:3], s32 offset:1288 ; 4-byte Folded Spill
.LBB243_1057:                           ;   in Loop: Header=BB243_16 Depth=1
	s_or_b32 exec_lo, exec_lo, s25
.LBB243_1058:                           ;   in Loop: Header=BB243_16 Depth=1
	s_or_b32 exec_lo, exec_lo, s24
.LBB243_1059:                           ;   in Loop: Header=BB243_16 Depth=1
	s_or_b32 exec_lo, exec_lo, s23
	v_mov_b32_e32 v4, 0
	v_mov_b32_e32 v5, 0
	;; [unrolled: 1-line block ×3, first 2 shown]
	s_mov_b32 s23, exec_lo
	buffer_store_dword v4, off, s[0:3], s32 offset:1292 ; 4-byte Folded Spill
	buffer_store_dword v5, off, s[0:3], s32 offset:1296 ; 4-byte Folded Spill
	v_mov_b32_e32 v4, 0
	v_and_b32_sdwa v3, v2, v3 dst_sel:DWORD dst_unused:UNUSED_PAD src0_sel:WORD_1 src1_sel:DWORD
	v_mov_b32_e32 v5, 0
	buffer_store_dword v4, off, s[0:3], s32 offset:1300 ; 4-byte Folded Spill
	buffer_store_dword v5, off, s[0:3], s32 offset:1304 ; 4-byte Folded Spill
	v_cmpx_ne_u16_e32 0, v3
	s_cbranch_execz .LBB243_1067
; %bb.1060:                             ;   in Loop: Header=BB243_16 Depth=1
	v_cmp_ne_u16_e64 s5, 0x80, v3
	v_bfrev_b32_e32 v3, 1
	v_mov_b32_e32 v4, 0
	buffer_store_dword v3, off, s[0:3], s32 offset:1300 ; 4-byte Folded Spill
	buffer_store_dword v4, off, s[0:3], s32 offset:1304 ; 4-byte Folded Spill
	s_and_saveexec_b32 s24, s5
	s_cbranch_execz .LBB243_1066
; %bb.1061:                             ;   in Loop: Header=BB243_16 Depth=1
	v_mov_b32_e32 v5, 0x7f800001
	v_bfe_u32 v4, v2, 16, 7
	v_mov_b32_e32 v6, 0
	s_mov_b32 s25, exec_lo
	buffer_store_dword v5, off, s[0:3], s32 offset:1300 ; 4-byte Folded Spill
	buffer_store_dword v6, off, s[0:3], s32 offset:1304 ; 4-byte Folded Spill
	v_cmpx_ne_u32_e32 0x7f, v4
	s_cbranch_execz .LBB243_1065
; %bb.1062:                             ;   in Loop: Header=BB243_16 Depth=1
	v_mov_b32_e32 v3, 7
	s_mov_b32 s26, exec_lo
	v_and_b32_sdwa v8, v2, v3 dst_sel:DWORD dst_unused:UNUSED_PAD src0_sel:WORD_1 src1_sel:DWORD
	v_lshrrev_b32_e32 v3, 3, v4
	v_cmpx_gt_u32_e32 8, v4
; %bb.1063:                             ;   in Loop: Header=BB243_16 Depth=1
	v_ffbh_u32_e32 v3, v8
	v_min_u32_e32 v3, 32, v3
	v_subrev_nc_u32_e32 v4, 28, v3
	v_sub_nc_u32_e32 v3, 29, v3
	v_lshlrev_b64 v[4:5], v4, v[8:9]
	v_and_b32_e32 v8, 7, v4
; %bb.1064:                             ;   in Loop: Header=BB243_16 Depth=1
	s_or_b32 exec_lo, exec_lo, s26
	v_mov_b32_e32 v4, 24
	v_lshlrev_b32_e32 v5, 20, v8
	v_lshl_add_u32 v3, v3, 23, 0x3c000000
	v_lshlrev_b32_sdwa v4, v4, v2 dst_sel:DWORD dst_unused:UNUSED_PAD src0_sel:DWORD src1_sel:WORD_1
	v_and_b32_e32 v4, 0x80000000, v4
	v_or3_b32 v8, v5, v4, v3
	buffer_store_dword v8, off, s[0:3], s32 offset:1300 ; 4-byte Folded Spill
	buffer_store_dword v9, off, s[0:3], s32 offset:1304 ; 4-byte Folded Spill
.LBB243_1065:                           ;   in Loop: Header=BB243_16 Depth=1
	s_or_b32 exec_lo, exec_lo, s25
.LBB243_1066:                           ;   in Loop: Header=BB243_16 Depth=1
	s_or_b32 exec_lo, exec_lo, s24
.LBB243_1067:                           ;   in Loop: Header=BB243_16 Depth=1
	s_or_b32 exec_lo, exec_lo, s23
	s_mov_b32 s23, exec_lo
	v_cmpx_lt_u32_e32 0xffffff, v2
	s_cbranch_execz .LBB243_1075
; %bb.1068:                             ;   in Loop: Header=BB243_16 Depth=1
	v_mov_b32_e32 v3, 0x80
	v_mov_b32_e32 v46, v9
	buffer_store_dword v46, off, s[0:3], s32 offset:1292 ; 4-byte Folded Spill
	buffer_store_dword v47, off, s[0:3], s32 offset:1296 ; 4-byte Folded Spill
	v_cmp_ne_u32_sdwa s5, v2, v3 src0_sel:BYTE_3 src1_sel:DWORD
	s_and_saveexec_b32 s24, s5
	s_cbranch_execz .LBB243_1074
; %bb.1069:                             ;   in Loop: Header=BB243_16 Depth=1
	s_clause 0x1
	buffer_load_dword v5, off, s[0:3], s32 offset:200
	buffer_load_dword v6, off, s[0:3], s32 offset:204
	v_bfe_u32 v4, v2, 24, 7
	s_waitcnt vmcnt(1)
	v_mov_b32_e32 v5, v9
	s_mov_b32 s25, exec_lo
	s_waitcnt vmcnt(0)
	v_mov_b32_e32 v3, v6
	buffer_store_dword v2, off, s[0:3], s32 offset:200 ; 4-byte Folded Spill
	buffer_store_dword v3, off, s[0:3], s32 offset:204 ; 4-byte Folded Spill
	;; [unrolled: 1-line block ×4, first 2 shown]
	v_cmpx_ne_u32_e32 0x7f, v4
	s_cbranch_execz .LBB243_1073
; %bb.1070:                             ;   in Loop: Header=BB243_16 Depth=1
	v_mov_b32_e32 v3, 7
	s_mov_b32 s26, exec_lo
	v_and_b32_sdwa v8, v2, v3 dst_sel:DWORD dst_unused:UNUSED_PAD src0_sel:BYTE_3 src1_sel:DWORD
	v_lshrrev_b32_e32 v3, 3, v4
	v_cmpx_gt_u32_e32 8, v4
; %bb.1071:                             ;   in Loop: Header=BB243_16 Depth=1
	v_ffbh_u32_e32 v3, v8
	v_min_u32_e32 v3, 32, v3
	v_subrev_nc_u32_e32 v4, 28, v3
	v_sub_nc_u32_e32 v3, 29, v3
	v_lshlrev_b64 v[4:5], v4, v[8:9]
	v_and_b32_e32 v8, 7, v4
; %bb.1072:                             ;   in Loop: Header=BB243_16 Depth=1
	s_or_b32 exec_lo, exec_lo, s26
	v_mov_b32_e32 v4, 24
	v_lshl_add_u32 v3, v3, 23, 0x3c000000
	v_lshlrev_b32_sdwa v2, v4, v2 dst_sel:DWORD dst_unused:UNUSED_PAD src0_sel:DWORD src1_sel:BYTE_3
	v_lshlrev_b32_e32 v4, 20, v8
	v_and_b32_e32 v2, 0x80000000, v2
	v_or3_b32 v3, v4, v2, v3
	v_mov_b32_e32 v2, v9
	buffer_store_dword v2, off, s[0:3], s32 offset:1292 ; 4-byte Folded Spill
	buffer_store_dword v3, off, s[0:3], s32 offset:1296 ; 4-byte Folded Spill
.LBB243_1073:                           ;   in Loop: Header=BB243_16 Depth=1
	s_or_b32 exec_lo, exec_lo, s25
.LBB243_1074:                           ;   in Loop: Header=BB243_16 Depth=1
	s_or_b32 exec_lo, exec_lo, s24
.LBB243_1075:                           ;   in Loop: Header=BB243_16 Depth=1
	s_or_b32 exec_lo, exec_lo, s23
	flat_load_dword v2, v[0:1] offset:4
	v_mov_b32_e32 v3, 0
	v_mov_b32_e32 v4, 0
	buffer_store_dword v3, off, s[0:3], s32 offset:1316 ; 4-byte Folded Spill
	buffer_store_dword v4, off, s[0:3], s32 offset:1320 ; 4-byte Folded Spill
	v_mov_b32_e32 v3, 0
	v_mov_b32_e32 v4, 0
	buffer_store_dword v3, off, s[0:3], s32 offset:1308 ; 4-byte Folded Spill
	buffer_store_dword v4, off, s[0:3], s32 offset:1312 ; 4-byte Folded Spill
	s_waitcnt vmcnt(0) lgkmcnt(0)
	v_cmp_ne_u16_sdwa s5, v2, v9 src0_sel:BYTE_0 src1_sel:DWORD
	s_and_saveexec_b32 s23, s5
	s_cbranch_execz .LBB243_1083
; %bb.1076:                             ;   in Loop: Header=BB243_16 Depth=1
	v_bfrev_b32_e32 v3, 1
	v_mov_b32_e32 v4, 0
	buffer_store_dword v3, off, s[0:3], s32 offset:1308 ; 4-byte Folded Spill
	buffer_store_dword v4, off, s[0:3], s32 offset:1312 ; 4-byte Folded Spill
	v_mov_b32_e32 v3, 0x80
	v_cmp_ne_u16_sdwa s5, v2, v3 src0_sel:BYTE_0 src1_sel:DWORD
	s_and_saveexec_b32 s24, s5
	s_cbranch_execz .LBB243_1082
; %bb.1077:                             ;   in Loop: Header=BB243_16 Depth=1
	v_mov_b32_e32 v5, 0x7f800001
	v_and_b32_e32 v4, 0x7f, v2
	v_mov_b32_e32 v6, 0
	s_mov_b32 s25, exec_lo
	buffer_store_dword v5, off, s[0:3], s32 offset:1308 ; 4-byte Folded Spill
	buffer_store_dword v6, off, s[0:3], s32 offset:1312 ; 4-byte Folded Spill
	v_cmpx_ne_u32_e32 0x7f, v4
	s_cbranch_execz .LBB243_1081
; %bb.1078:                             ;   in Loop: Header=BB243_16 Depth=1
	v_and_b32_e32 v8, 7, v2
	v_lshrrev_b32_e32 v3, 3, v4
	s_mov_b32 s26, exec_lo
	v_cmpx_gt_u32_e32 8, v4
; %bb.1079:                             ;   in Loop: Header=BB243_16 Depth=1
	v_ffbh_u32_e32 v3, v8
	v_min_u32_e32 v3, 32, v3
	v_subrev_nc_u32_e32 v4, 28, v3
	v_sub_nc_u32_e32 v3, 29, v3
	v_lshlrev_b64 v[4:5], v4, v[8:9]
	v_and_b32_e32 v8, 7, v4
; %bb.1080:                             ;   in Loop: Header=BB243_16 Depth=1
	s_or_b32 exec_lo, exec_lo, s26
	v_lshlrev_b32_e32 v4, 24, v2
	v_lshlrev_b32_e32 v5, 20, v8
	v_lshl_add_u32 v3, v3, 23, 0x3c000000
	v_and_b32_e32 v4, 0x80000000, v4
	v_or3_b32 v8, v5, v4, v3
	buffer_store_dword v8, off, s[0:3], s32 offset:1308 ; 4-byte Folded Spill
	buffer_store_dword v9, off, s[0:3], s32 offset:1312 ; 4-byte Folded Spill
.LBB243_1081:                           ;   in Loop: Header=BB243_16 Depth=1
	s_or_b32 exec_lo, exec_lo, s25
.LBB243_1082:                           ;   in Loop: Header=BB243_16 Depth=1
	s_or_b32 exec_lo, exec_lo, s24
.LBB243_1083:                           ;   in Loop: Header=BB243_16 Depth=1
	s_or_b32 exec_lo, exec_lo, s23
	v_cmp_ne_u16_sdwa s5, v2, v9 src0_sel:BYTE_1 src1_sel:DWORD
	s_and_saveexec_b32 s23, s5
	s_cbranch_execz .LBB243_1091
; %bb.1084:                             ;   in Loop: Header=BB243_16 Depth=1
	v_mov_b32_e32 v3, 0x80
	v_mov_b32_e32 v46, v9
	buffer_store_dword v46, off, s[0:3], s32 offset:1316 ; 4-byte Folded Spill
	buffer_store_dword v47, off, s[0:3], s32 offset:1320 ; 4-byte Folded Spill
	v_cmp_ne_u16_sdwa s5, v2, v3 src0_sel:BYTE_1 src1_sel:DWORD
	s_and_saveexec_b32 s24, s5
	s_cbranch_execz .LBB243_1090
; %bb.1085:                             ;   in Loop: Header=BB243_16 Depth=1
	s_clause 0x1
	buffer_load_dword v5, off, s[0:3], s32 offset:200
	buffer_load_dword v6, off, s[0:3], s32 offset:204
	v_mov_b32_e32 v3, 0xffff
	s_mov_b32 s25, exec_lo
	v_and_b32_sdwa v3, v3, v2 dst_sel:DWORD dst_unused:UNUSED_PAD src0_sel:DWORD src1_sel:BYTE_1
	v_and_b32_e32 v4, 0x7f, v3
	s_waitcnt vmcnt(0)
	v_mov_b32_e32 v7, v6
	v_mov_b32_e32 v6, v9
	;; [unrolled: 1-line block ×3, first 2 shown]
	buffer_store_dword v4, off, s[0:3], s32 offset:200 ; 4-byte Folded Spill
	buffer_store_dword v5, off, s[0:3], s32 offset:204 ; 4-byte Folded Spill
	;; [unrolled: 1-line block ×4, first 2 shown]
	v_cmpx_ne_u32_e32 0x7f, v4
	s_cbranch_execz .LBB243_1089
; %bb.1086:                             ;   in Loop: Header=BB243_16 Depth=1
	v_and_b32_e32 v8, 7, v3
	v_lshrrev_b32_e32 v3, 3, v4
	s_mov_b32 s26, exec_lo
	v_cmpx_gt_u32_e32 8, v4
; %bb.1087:                             ;   in Loop: Header=BB243_16 Depth=1
	v_ffbh_u32_e32 v3, v8
	v_min_u32_e32 v3, 32, v3
	v_subrev_nc_u32_e32 v4, 28, v3
	v_sub_nc_u32_e32 v3, 29, v3
	v_lshlrev_b64 v[4:5], v4, v[8:9]
	v_and_b32_e32 v8, 7, v4
; %bb.1088:                             ;   in Loop: Header=BB243_16 Depth=1
	s_or_b32 exec_lo, exec_lo, s26
	v_lshlrev_b32_e32 v4, 16, v2
	v_lshlrev_b32_e32 v5, 20, v8
	v_lshl_add_u32 v3, v3, 23, 0x3c000000
	v_and_b32_e32 v4, 0x80000000, v4
	v_or3_b32 v4, v5, v4, v3
	v_mov_b32_e32 v3, v9
	buffer_store_dword v3, off, s[0:3], s32 offset:1316 ; 4-byte Folded Spill
	buffer_store_dword v4, off, s[0:3], s32 offset:1320 ; 4-byte Folded Spill
.LBB243_1089:                           ;   in Loop: Header=BB243_16 Depth=1
	s_or_b32 exec_lo, exec_lo, s25
.LBB243_1090:                           ;   in Loop: Header=BB243_16 Depth=1
	s_or_b32 exec_lo, exec_lo, s24
.LBB243_1091:                           ;   in Loop: Header=BB243_16 Depth=1
	s_or_b32 exec_lo, exec_lo, s23
	v_mov_b32_e32 v4, 0
	v_mov_b32_e32 v5, 0
	;; [unrolled: 1-line block ×3, first 2 shown]
	s_mov_b32 s23, exec_lo
	buffer_store_dword v4, off, s[0:3], s32 offset:1324 ; 4-byte Folded Spill
	buffer_store_dword v5, off, s[0:3], s32 offset:1328 ; 4-byte Folded Spill
	v_mov_b32_e32 v4, 0
	v_and_b32_sdwa v3, v2, v3 dst_sel:DWORD dst_unused:UNUSED_PAD src0_sel:WORD_1 src1_sel:DWORD
	v_mov_b32_e32 v5, 0
	buffer_store_dword v4, off, s[0:3], s32 offset:1332 ; 4-byte Folded Spill
	buffer_store_dword v5, off, s[0:3], s32 offset:1336 ; 4-byte Folded Spill
	v_cmpx_ne_u16_e32 0, v3
	s_cbranch_execz .LBB243_1099
; %bb.1092:                             ;   in Loop: Header=BB243_16 Depth=1
	v_cmp_ne_u16_e64 s5, 0x80, v3
	v_bfrev_b32_e32 v3, 1
	v_mov_b32_e32 v4, 0
	buffer_store_dword v3, off, s[0:3], s32 offset:1332 ; 4-byte Folded Spill
	buffer_store_dword v4, off, s[0:3], s32 offset:1336 ; 4-byte Folded Spill
	s_and_saveexec_b32 s24, s5
	s_cbranch_execz .LBB243_1098
; %bb.1093:                             ;   in Loop: Header=BB243_16 Depth=1
	v_mov_b32_e32 v5, 0x7f800001
	v_bfe_u32 v4, v2, 16, 7
	v_mov_b32_e32 v6, 0
	s_mov_b32 s25, exec_lo
	buffer_store_dword v5, off, s[0:3], s32 offset:1332 ; 4-byte Folded Spill
	buffer_store_dword v6, off, s[0:3], s32 offset:1336 ; 4-byte Folded Spill
	v_cmpx_ne_u32_e32 0x7f, v4
	s_cbranch_execz .LBB243_1097
; %bb.1094:                             ;   in Loop: Header=BB243_16 Depth=1
	v_mov_b32_e32 v3, 7
	s_mov_b32 s26, exec_lo
	v_and_b32_sdwa v8, v2, v3 dst_sel:DWORD dst_unused:UNUSED_PAD src0_sel:WORD_1 src1_sel:DWORD
	v_lshrrev_b32_e32 v3, 3, v4
	v_cmpx_gt_u32_e32 8, v4
; %bb.1095:                             ;   in Loop: Header=BB243_16 Depth=1
	v_ffbh_u32_e32 v3, v8
	v_min_u32_e32 v3, 32, v3
	v_subrev_nc_u32_e32 v4, 28, v3
	v_sub_nc_u32_e32 v3, 29, v3
	v_lshlrev_b64 v[4:5], v4, v[8:9]
	v_and_b32_e32 v8, 7, v4
; %bb.1096:                             ;   in Loop: Header=BB243_16 Depth=1
	s_or_b32 exec_lo, exec_lo, s26
	v_mov_b32_e32 v4, 24
	v_lshlrev_b32_e32 v5, 20, v8
	v_lshl_add_u32 v3, v3, 23, 0x3c000000
	v_lshlrev_b32_sdwa v4, v4, v2 dst_sel:DWORD dst_unused:UNUSED_PAD src0_sel:DWORD src1_sel:WORD_1
	v_and_b32_e32 v4, 0x80000000, v4
	v_or3_b32 v8, v5, v4, v3
	buffer_store_dword v8, off, s[0:3], s32 offset:1332 ; 4-byte Folded Spill
	buffer_store_dword v9, off, s[0:3], s32 offset:1336 ; 4-byte Folded Spill
.LBB243_1097:                           ;   in Loop: Header=BB243_16 Depth=1
	s_or_b32 exec_lo, exec_lo, s25
.LBB243_1098:                           ;   in Loop: Header=BB243_16 Depth=1
	s_or_b32 exec_lo, exec_lo, s24
.LBB243_1099:                           ;   in Loop: Header=BB243_16 Depth=1
	s_or_b32 exec_lo, exec_lo, s23
	s_mov_b32 s23, exec_lo
	v_cmpx_lt_u32_e32 0xffffff, v2
	s_cbranch_execz .LBB243_1107
; %bb.1100:                             ;   in Loop: Header=BB243_16 Depth=1
	v_mov_b32_e32 v3, 0x80
	v_mov_b32_e32 v46, v9
	buffer_store_dword v46, off, s[0:3], s32 offset:1324 ; 4-byte Folded Spill
	buffer_store_dword v47, off, s[0:3], s32 offset:1328 ; 4-byte Folded Spill
	v_cmp_ne_u32_sdwa s5, v2, v3 src0_sel:BYTE_3 src1_sel:DWORD
	s_and_saveexec_b32 s24, s5
	s_cbranch_execz .LBB243_1106
; %bb.1101:                             ;   in Loop: Header=BB243_16 Depth=1
	s_clause 0x1
	buffer_load_dword v5, off, s[0:3], s32 offset:200
	buffer_load_dword v6, off, s[0:3], s32 offset:204
	v_bfe_u32 v4, v2, 24, 7
	s_waitcnt vmcnt(1)
	v_mov_b32_e32 v5, v9
	s_mov_b32 s25, exec_lo
	s_waitcnt vmcnt(0)
	v_mov_b32_e32 v3, v6
	buffer_store_dword v2, off, s[0:3], s32 offset:200 ; 4-byte Folded Spill
	buffer_store_dword v3, off, s[0:3], s32 offset:204 ; 4-byte Folded Spill
	buffer_store_dword v5, off, s[0:3], s32 offset:1324 ; 4-byte Folded Spill
	buffer_store_dword v6, off, s[0:3], s32 offset:1328 ; 4-byte Folded Spill
	v_cmpx_ne_u32_e32 0x7f, v4
	s_cbranch_execz .LBB243_1105
; %bb.1102:                             ;   in Loop: Header=BB243_16 Depth=1
	v_mov_b32_e32 v3, 7
	s_mov_b32 s26, exec_lo
	v_and_b32_sdwa v8, v2, v3 dst_sel:DWORD dst_unused:UNUSED_PAD src0_sel:BYTE_3 src1_sel:DWORD
	v_lshrrev_b32_e32 v3, 3, v4
	v_cmpx_gt_u32_e32 8, v4
; %bb.1103:                             ;   in Loop: Header=BB243_16 Depth=1
	v_ffbh_u32_e32 v3, v8
	v_min_u32_e32 v3, 32, v3
	v_subrev_nc_u32_e32 v4, 28, v3
	v_sub_nc_u32_e32 v3, 29, v3
	v_lshlrev_b64 v[4:5], v4, v[8:9]
	v_and_b32_e32 v8, 7, v4
; %bb.1104:                             ;   in Loop: Header=BB243_16 Depth=1
	s_or_b32 exec_lo, exec_lo, s26
	v_mov_b32_e32 v4, 24
	v_lshl_add_u32 v3, v3, 23, 0x3c000000
	v_lshlrev_b32_sdwa v2, v4, v2 dst_sel:DWORD dst_unused:UNUSED_PAD src0_sel:DWORD src1_sel:BYTE_3
	v_lshlrev_b32_e32 v4, 20, v8
	v_and_b32_e32 v2, 0x80000000, v2
	v_or3_b32 v3, v4, v2, v3
	v_mov_b32_e32 v2, v9
	buffer_store_dword v2, off, s[0:3], s32 offset:1324 ; 4-byte Folded Spill
	buffer_store_dword v3, off, s[0:3], s32 offset:1328 ; 4-byte Folded Spill
.LBB243_1105:                           ;   in Loop: Header=BB243_16 Depth=1
	s_or_b32 exec_lo, exec_lo, s25
.LBB243_1106:                           ;   in Loop: Header=BB243_16 Depth=1
	s_or_b32 exec_lo, exec_lo, s24
.LBB243_1107:                           ;   in Loop: Header=BB243_16 Depth=1
	s_or_b32 exec_lo, exec_lo, s23
	flat_load_dword v2, v[0:1] offset:8
	v_mov_b32_e32 v3, 0
	v_mov_b32_e32 v4, 0
	buffer_store_dword v3, off, s[0:3], s32 offset:1348 ; 4-byte Folded Spill
	buffer_store_dword v4, off, s[0:3], s32 offset:1352 ; 4-byte Folded Spill
	v_mov_b32_e32 v3, 0
	v_mov_b32_e32 v4, 0
	buffer_store_dword v3, off, s[0:3], s32 offset:1340 ; 4-byte Folded Spill
	buffer_store_dword v4, off, s[0:3], s32 offset:1344 ; 4-byte Folded Spill
	s_waitcnt vmcnt(0) lgkmcnt(0)
	v_cmp_ne_u16_sdwa s5, v2, v9 src0_sel:BYTE_0 src1_sel:DWORD
	s_and_saveexec_b32 s23, s5
	s_cbranch_execz .LBB243_1115
; %bb.1108:                             ;   in Loop: Header=BB243_16 Depth=1
	v_bfrev_b32_e32 v3, 1
	v_mov_b32_e32 v4, 0
	buffer_store_dword v3, off, s[0:3], s32 offset:1340 ; 4-byte Folded Spill
	buffer_store_dword v4, off, s[0:3], s32 offset:1344 ; 4-byte Folded Spill
	v_mov_b32_e32 v3, 0x80
	v_cmp_ne_u16_sdwa s5, v2, v3 src0_sel:BYTE_0 src1_sel:DWORD
	s_and_saveexec_b32 s24, s5
	s_cbranch_execz .LBB243_1114
; %bb.1109:                             ;   in Loop: Header=BB243_16 Depth=1
	v_mov_b32_e32 v5, 0x7f800001
	v_and_b32_e32 v4, 0x7f, v2
	v_mov_b32_e32 v6, 0
	s_mov_b32 s25, exec_lo
	buffer_store_dword v5, off, s[0:3], s32 offset:1340 ; 4-byte Folded Spill
	buffer_store_dword v6, off, s[0:3], s32 offset:1344 ; 4-byte Folded Spill
	v_cmpx_ne_u32_e32 0x7f, v4
	s_cbranch_execz .LBB243_1113
; %bb.1110:                             ;   in Loop: Header=BB243_16 Depth=1
	v_and_b32_e32 v8, 7, v2
	v_lshrrev_b32_e32 v3, 3, v4
	s_mov_b32 s26, exec_lo
	v_cmpx_gt_u32_e32 8, v4
; %bb.1111:                             ;   in Loop: Header=BB243_16 Depth=1
	v_ffbh_u32_e32 v3, v8
	v_min_u32_e32 v3, 32, v3
	v_subrev_nc_u32_e32 v4, 28, v3
	v_sub_nc_u32_e32 v3, 29, v3
	v_lshlrev_b64 v[4:5], v4, v[8:9]
	v_and_b32_e32 v8, 7, v4
; %bb.1112:                             ;   in Loop: Header=BB243_16 Depth=1
	s_or_b32 exec_lo, exec_lo, s26
	v_lshlrev_b32_e32 v4, 24, v2
	v_lshlrev_b32_e32 v5, 20, v8
	v_lshl_add_u32 v3, v3, 23, 0x3c000000
	v_and_b32_e32 v4, 0x80000000, v4
	v_or3_b32 v8, v5, v4, v3
	buffer_store_dword v8, off, s[0:3], s32 offset:1340 ; 4-byte Folded Spill
	buffer_store_dword v9, off, s[0:3], s32 offset:1344 ; 4-byte Folded Spill
.LBB243_1113:                           ;   in Loop: Header=BB243_16 Depth=1
	s_or_b32 exec_lo, exec_lo, s25
.LBB243_1114:                           ;   in Loop: Header=BB243_16 Depth=1
	s_or_b32 exec_lo, exec_lo, s24
.LBB243_1115:                           ;   in Loop: Header=BB243_16 Depth=1
	s_or_b32 exec_lo, exec_lo, s23
	v_cmp_ne_u16_sdwa s5, v2, v9 src0_sel:BYTE_1 src1_sel:DWORD
	s_and_saveexec_b32 s23, s5
	s_cbranch_execz .LBB243_1123
; %bb.1116:                             ;   in Loop: Header=BB243_16 Depth=1
	v_mov_b32_e32 v3, 0x80
	v_mov_b32_e32 v46, v9
	buffer_store_dword v46, off, s[0:3], s32 offset:1348 ; 4-byte Folded Spill
	buffer_store_dword v47, off, s[0:3], s32 offset:1352 ; 4-byte Folded Spill
	v_cmp_ne_u16_sdwa s5, v2, v3 src0_sel:BYTE_1 src1_sel:DWORD
	s_and_saveexec_b32 s24, s5
	s_cbranch_execz .LBB243_1122
; %bb.1117:                             ;   in Loop: Header=BB243_16 Depth=1
	s_clause 0x1
	buffer_load_dword v5, off, s[0:3], s32 offset:200
	buffer_load_dword v6, off, s[0:3], s32 offset:204
	v_mov_b32_e32 v3, 0xffff
	s_mov_b32 s25, exec_lo
	v_and_b32_sdwa v3, v3, v2 dst_sel:DWORD dst_unused:UNUSED_PAD src0_sel:DWORD src1_sel:BYTE_1
	v_and_b32_e32 v4, 0x7f, v3
	s_waitcnt vmcnt(0)
	v_mov_b32_e32 v7, v6
	v_mov_b32_e32 v6, v9
	;; [unrolled: 1-line block ×3, first 2 shown]
	buffer_store_dword v4, off, s[0:3], s32 offset:200 ; 4-byte Folded Spill
	buffer_store_dword v5, off, s[0:3], s32 offset:204 ; 4-byte Folded Spill
	;; [unrolled: 1-line block ×4, first 2 shown]
	v_cmpx_ne_u32_e32 0x7f, v4
	s_cbranch_execz .LBB243_1121
; %bb.1118:                             ;   in Loop: Header=BB243_16 Depth=1
	v_and_b32_e32 v8, 7, v3
	v_lshrrev_b32_e32 v3, 3, v4
	s_mov_b32 s26, exec_lo
	v_cmpx_gt_u32_e32 8, v4
; %bb.1119:                             ;   in Loop: Header=BB243_16 Depth=1
	v_ffbh_u32_e32 v3, v8
	v_min_u32_e32 v3, 32, v3
	v_subrev_nc_u32_e32 v4, 28, v3
	v_sub_nc_u32_e32 v3, 29, v3
	v_lshlrev_b64 v[4:5], v4, v[8:9]
	v_and_b32_e32 v8, 7, v4
; %bb.1120:                             ;   in Loop: Header=BB243_16 Depth=1
	s_or_b32 exec_lo, exec_lo, s26
	v_lshlrev_b32_e32 v4, 16, v2
	v_lshlrev_b32_e32 v5, 20, v8
	v_lshl_add_u32 v3, v3, 23, 0x3c000000
	v_and_b32_e32 v4, 0x80000000, v4
	v_or3_b32 v4, v5, v4, v3
	v_mov_b32_e32 v3, v9
	buffer_store_dword v3, off, s[0:3], s32 offset:1348 ; 4-byte Folded Spill
	buffer_store_dword v4, off, s[0:3], s32 offset:1352 ; 4-byte Folded Spill
.LBB243_1121:                           ;   in Loop: Header=BB243_16 Depth=1
	s_or_b32 exec_lo, exec_lo, s25
.LBB243_1122:                           ;   in Loop: Header=BB243_16 Depth=1
	s_or_b32 exec_lo, exec_lo, s24
.LBB243_1123:                           ;   in Loop: Header=BB243_16 Depth=1
	s_or_b32 exec_lo, exec_lo, s23
	v_mov_b32_e32 v4, 0
	v_mov_b32_e32 v5, 0
	;; [unrolled: 1-line block ×3, first 2 shown]
	s_mov_b32 s23, exec_lo
	buffer_store_dword v4, off, s[0:3], s32 offset:1356 ; 4-byte Folded Spill
	buffer_store_dword v5, off, s[0:3], s32 offset:1360 ; 4-byte Folded Spill
	v_mov_b32_e32 v4, 0
	v_and_b32_sdwa v3, v2, v3 dst_sel:DWORD dst_unused:UNUSED_PAD src0_sel:WORD_1 src1_sel:DWORD
	v_mov_b32_e32 v5, 0
	buffer_store_dword v4, off, s[0:3], s32 offset:1364 ; 4-byte Folded Spill
	buffer_store_dword v5, off, s[0:3], s32 offset:1368 ; 4-byte Folded Spill
	v_cmpx_ne_u16_e32 0, v3
	s_cbranch_execz .LBB243_1131
; %bb.1124:                             ;   in Loop: Header=BB243_16 Depth=1
	v_cmp_ne_u16_e64 s5, 0x80, v3
	v_bfrev_b32_e32 v3, 1
	v_mov_b32_e32 v4, 0
	buffer_store_dword v3, off, s[0:3], s32 offset:1364 ; 4-byte Folded Spill
	buffer_store_dword v4, off, s[0:3], s32 offset:1368 ; 4-byte Folded Spill
	s_and_saveexec_b32 s24, s5
	s_cbranch_execz .LBB243_1130
; %bb.1125:                             ;   in Loop: Header=BB243_16 Depth=1
	v_mov_b32_e32 v5, 0x7f800001
	v_bfe_u32 v4, v2, 16, 7
	v_mov_b32_e32 v6, 0
	s_mov_b32 s25, exec_lo
	buffer_store_dword v5, off, s[0:3], s32 offset:1364 ; 4-byte Folded Spill
	buffer_store_dword v6, off, s[0:3], s32 offset:1368 ; 4-byte Folded Spill
	v_cmpx_ne_u32_e32 0x7f, v4
	s_cbranch_execz .LBB243_1129
; %bb.1126:                             ;   in Loop: Header=BB243_16 Depth=1
	v_mov_b32_e32 v3, 7
	s_mov_b32 s26, exec_lo
	v_and_b32_sdwa v8, v2, v3 dst_sel:DWORD dst_unused:UNUSED_PAD src0_sel:WORD_1 src1_sel:DWORD
	v_lshrrev_b32_e32 v3, 3, v4
	v_cmpx_gt_u32_e32 8, v4
; %bb.1127:                             ;   in Loop: Header=BB243_16 Depth=1
	v_ffbh_u32_e32 v3, v8
	v_min_u32_e32 v3, 32, v3
	v_subrev_nc_u32_e32 v4, 28, v3
	v_sub_nc_u32_e32 v3, 29, v3
	v_lshlrev_b64 v[4:5], v4, v[8:9]
	v_and_b32_e32 v8, 7, v4
; %bb.1128:                             ;   in Loop: Header=BB243_16 Depth=1
	s_or_b32 exec_lo, exec_lo, s26
	v_mov_b32_e32 v4, 24
	v_lshlrev_b32_e32 v5, 20, v8
	v_lshl_add_u32 v3, v3, 23, 0x3c000000
	v_lshlrev_b32_sdwa v4, v4, v2 dst_sel:DWORD dst_unused:UNUSED_PAD src0_sel:DWORD src1_sel:WORD_1
	v_and_b32_e32 v4, 0x80000000, v4
	v_or3_b32 v8, v5, v4, v3
	buffer_store_dword v8, off, s[0:3], s32 offset:1364 ; 4-byte Folded Spill
	buffer_store_dword v9, off, s[0:3], s32 offset:1368 ; 4-byte Folded Spill
.LBB243_1129:                           ;   in Loop: Header=BB243_16 Depth=1
	s_or_b32 exec_lo, exec_lo, s25
.LBB243_1130:                           ;   in Loop: Header=BB243_16 Depth=1
	s_or_b32 exec_lo, exec_lo, s24
.LBB243_1131:                           ;   in Loop: Header=BB243_16 Depth=1
	s_or_b32 exec_lo, exec_lo, s23
	s_mov_b32 s23, exec_lo
	v_cmpx_lt_u32_e32 0xffffff, v2
	s_cbranch_execz .LBB243_1139
; %bb.1132:                             ;   in Loop: Header=BB243_16 Depth=1
	v_mov_b32_e32 v3, 0x80
	v_mov_b32_e32 v46, v9
	buffer_store_dword v46, off, s[0:3], s32 offset:1356 ; 4-byte Folded Spill
	buffer_store_dword v47, off, s[0:3], s32 offset:1360 ; 4-byte Folded Spill
	v_cmp_ne_u32_sdwa s5, v2, v3 src0_sel:BYTE_3 src1_sel:DWORD
	s_and_saveexec_b32 s24, s5
	s_cbranch_execz .LBB243_1138
; %bb.1133:                             ;   in Loop: Header=BB243_16 Depth=1
	s_clause 0x1
	buffer_load_dword v5, off, s[0:3], s32 offset:200
	buffer_load_dword v6, off, s[0:3], s32 offset:204
	v_bfe_u32 v4, v2, 24, 7
	s_waitcnt vmcnt(1)
	v_mov_b32_e32 v5, v9
	s_mov_b32 s25, exec_lo
	s_waitcnt vmcnt(0)
	v_mov_b32_e32 v3, v6
	buffer_store_dword v2, off, s[0:3], s32 offset:200 ; 4-byte Folded Spill
	buffer_store_dword v3, off, s[0:3], s32 offset:204 ; 4-byte Folded Spill
	;; [unrolled: 1-line block ×4, first 2 shown]
	v_cmpx_ne_u32_e32 0x7f, v4
	s_cbranch_execz .LBB243_1137
; %bb.1134:                             ;   in Loop: Header=BB243_16 Depth=1
	v_mov_b32_e32 v3, 7
	s_mov_b32 s26, exec_lo
	v_and_b32_sdwa v8, v2, v3 dst_sel:DWORD dst_unused:UNUSED_PAD src0_sel:BYTE_3 src1_sel:DWORD
	v_lshrrev_b32_e32 v3, 3, v4
	v_cmpx_gt_u32_e32 8, v4
; %bb.1135:                             ;   in Loop: Header=BB243_16 Depth=1
	v_ffbh_u32_e32 v3, v8
	v_min_u32_e32 v3, 32, v3
	v_subrev_nc_u32_e32 v4, 28, v3
	v_sub_nc_u32_e32 v3, 29, v3
	v_lshlrev_b64 v[4:5], v4, v[8:9]
	v_and_b32_e32 v8, 7, v4
; %bb.1136:                             ;   in Loop: Header=BB243_16 Depth=1
	s_or_b32 exec_lo, exec_lo, s26
	v_mov_b32_e32 v4, 24
	v_lshl_add_u32 v3, v3, 23, 0x3c000000
	v_lshlrev_b32_sdwa v2, v4, v2 dst_sel:DWORD dst_unused:UNUSED_PAD src0_sel:DWORD src1_sel:BYTE_3
	v_lshlrev_b32_e32 v4, 20, v8
	v_and_b32_e32 v2, 0x80000000, v2
	v_or3_b32 v3, v4, v2, v3
	v_mov_b32_e32 v2, v9
	buffer_store_dword v2, off, s[0:3], s32 offset:1356 ; 4-byte Folded Spill
	buffer_store_dword v3, off, s[0:3], s32 offset:1360 ; 4-byte Folded Spill
.LBB243_1137:                           ;   in Loop: Header=BB243_16 Depth=1
	s_or_b32 exec_lo, exec_lo, s25
.LBB243_1138:                           ;   in Loop: Header=BB243_16 Depth=1
	s_or_b32 exec_lo, exec_lo, s24
.LBB243_1139:                           ;   in Loop: Header=BB243_16 Depth=1
	s_or_b32 exec_lo, exec_lo, s23
	flat_load_dword v2, v[0:1] offset:12
	v_mov_b32_e32 v3, 0
	v_mov_b32_e32 v4, 0
	buffer_store_dword v3, off, s[0:3], s32 offset:1380 ; 4-byte Folded Spill
	buffer_store_dword v4, off, s[0:3], s32 offset:1384 ; 4-byte Folded Spill
	v_mov_b32_e32 v3, 0
	v_mov_b32_e32 v4, 0
	buffer_store_dword v3, off, s[0:3], s32 offset:1372 ; 4-byte Folded Spill
	buffer_store_dword v4, off, s[0:3], s32 offset:1376 ; 4-byte Folded Spill
	s_waitcnt vmcnt(0) lgkmcnt(0)
	v_cmp_ne_u16_sdwa s5, v2, v9 src0_sel:BYTE_0 src1_sel:DWORD
	s_and_saveexec_b32 s23, s5
	s_cbranch_execz .LBB243_1147
; %bb.1140:                             ;   in Loop: Header=BB243_16 Depth=1
	v_bfrev_b32_e32 v3, 1
	v_mov_b32_e32 v4, 0
	buffer_store_dword v3, off, s[0:3], s32 offset:1372 ; 4-byte Folded Spill
	buffer_store_dword v4, off, s[0:3], s32 offset:1376 ; 4-byte Folded Spill
	v_mov_b32_e32 v3, 0x80
	v_cmp_ne_u16_sdwa s5, v2, v3 src0_sel:BYTE_0 src1_sel:DWORD
	s_and_saveexec_b32 s24, s5
	s_cbranch_execz .LBB243_1146
; %bb.1141:                             ;   in Loop: Header=BB243_16 Depth=1
	v_mov_b32_e32 v5, 0x7f800001
	v_and_b32_e32 v4, 0x7f, v2
	v_mov_b32_e32 v6, 0
	s_mov_b32 s25, exec_lo
	buffer_store_dword v5, off, s[0:3], s32 offset:1372 ; 4-byte Folded Spill
	buffer_store_dword v6, off, s[0:3], s32 offset:1376 ; 4-byte Folded Spill
	v_cmpx_ne_u32_e32 0x7f, v4
	s_cbranch_execz .LBB243_1145
; %bb.1142:                             ;   in Loop: Header=BB243_16 Depth=1
	v_and_b32_e32 v8, 7, v2
	v_lshrrev_b32_e32 v3, 3, v4
	s_mov_b32 s26, exec_lo
	v_cmpx_gt_u32_e32 8, v4
; %bb.1143:                             ;   in Loop: Header=BB243_16 Depth=1
	v_ffbh_u32_e32 v3, v8
	v_min_u32_e32 v3, 32, v3
	v_subrev_nc_u32_e32 v4, 28, v3
	v_sub_nc_u32_e32 v3, 29, v3
	v_lshlrev_b64 v[4:5], v4, v[8:9]
	v_and_b32_e32 v8, 7, v4
; %bb.1144:                             ;   in Loop: Header=BB243_16 Depth=1
	s_or_b32 exec_lo, exec_lo, s26
	v_lshlrev_b32_e32 v4, 24, v2
	v_lshlrev_b32_e32 v5, 20, v8
	v_lshl_add_u32 v3, v3, 23, 0x3c000000
	v_and_b32_e32 v4, 0x80000000, v4
	v_or3_b32 v8, v5, v4, v3
	buffer_store_dword v8, off, s[0:3], s32 offset:1372 ; 4-byte Folded Spill
	buffer_store_dword v9, off, s[0:3], s32 offset:1376 ; 4-byte Folded Spill
.LBB243_1145:                           ;   in Loop: Header=BB243_16 Depth=1
	s_or_b32 exec_lo, exec_lo, s25
.LBB243_1146:                           ;   in Loop: Header=BB243_16 Depth=1
	s_or_b32 exec_lo, exec_lo, s24
.LBB243_1147:                           ;   in Loop: Header=BB243_16 Depth=1
	s_or_b32 exec_lo, exec_lo, s23
	v_cmp_ne_u16_sdwa s5, v2, v9 src0_sel:BYTE_1 src1_sel:DWORD
	s_and_saveexec_b32 s23, s5
	s_cbranch_execz .LBB243_1155
; %bb.1148:                             ;   in Loop: Header=BB243_16 Depth=1
	v_mov_b32_e32 v3, 0x80
	v_mov_b32_e32 v46, v9
	buffer_store_dword v46, off, s[0:3], s32 offset:1380 ; 4-byte Folded Spill
	buffer_store_dword v47, off, s[0:3], s32 offset:1384 ; 4-byte Folded Spill
	v_cmp_ne_u16_sdwa s5, v2, v3 src0_sel:BYTE_1 src1_sel:DWORD
	s_and_saveexec_b32 s24, s5
	s_cbranch_execz .LBB243_1154
; %bb.1149:                             ;   in Loop: Header=BB243_16 Depth=1
	s_clause 0x1
	buffer_load_dword v5, off, s[0:3], s32 offset:200
	buffer_load_dword v6, off, s[0:3], s32 offset:204
	v_mov_b32_e32 v3, 0xffff
	s_mov_b32 s25, exec_lo
	v_and_b32_sdwa v3, v3, v2 dst_sel:DWORD dst_unused:UNUSED_PAD src0_sel:DWORD src1_sel:BYTE_1
	v_and_b32_e32 v4, 0x7f, v3
	s_waitcnt vmcnt(0)
	v_mov_b32_e32 v7, v6
	v_mov_b32_e32 v6, v9
	;; [unrolled: 1-line block ×3, first 2 shown]
	buffer_store_dword v4, off, s[0:3], s32 offset:200 ; 4-byte Folded Spill
	buffer_store_dword v5, off, s[0:3], s32 offset:204 ; 4-byte Folded Spill
	;; [unrolled: 1-line block ×4, first 2 shown]
	v_cmpx_ne_u32_e32 0x7f, v4
	s_cbranch_execz .LBB243_1153
; %bb.1150:                             ;   in Loop: Header=BB243_16 Depth=1
	v_and_b32_e32 v8, 7, v3
	v_lshrrev_b32_e32 v3, 3, v4
	s_mov_b32 s26, exec_lo
	v_cmpx_gt_u32_e32 8, v4
; %bb.1151:                             ;   in Loop: Header=BB243_16 Depth=1
	v_ffbh_u32_e32 v3, v8
	v_min_u32_e32 v3, 32, v3
	v_subrev_nc_u32_e32 v4, 28, v3
	v_sub_nc_u32_e32 v3, 29, v3
	v_lshlrev_b64 v[4:5], v4, v[8:9]
	v_and_b32_e32 v8, 7, v4
; %bb.1152:                             ;   in Loop: Header=BB243_16 Depth=1
	s_or_b32 exec_lo, exec_lo, s26
	v_lshlrev_b32_e32 v4, 16, v2
	v_lshlrev_b32_e32 v5, 20, v8
	v_lshl_add_u32 v3, v3, 23, 0x3c000000
	v_and_b32_e32 v4, 0x80000000, v4
	v_or3_b32 v4, v5, v4, v3
	v_mov_b32_e32 v3, v9
	buffer_store_dword v3, off, s[0:3], s32 offset:1380 ; 4-byte Folded Spill
	buffer_store_dword v4, off, s[0:3], s32 offset:1384 ; 4-byte Folded Spill
.LBB243_1153:                           ;   in Loop: Header=BB243_16 Depth=1
	s_or_b32 exec_lo, exec_lo, s25
.LBB243_1154:                           ;   in Loop: Header=BB243_16 Depth=1
	s_or_b32 exec_lo, exec_lo, s24
.LBB243_1155:                           ;   in Loop: Header=BB243_16 Depth=1
	s_or_b32 exec_lo, exec_lo, s23
	v_mov_b32_e32 v4, 0
	v_mov_b32_e32 v5, 0
	;; [unrolled: 1-line block ×3, first 2 shown]
	s_mov_b32 s23, exec_lo
	buffer_store_dword v4, off, s[0:3], s32 offset:1388 ; 4-byte Folded Spill
	buffer_store_dword v5, off, s[0:3], s32 offset:1392 ; 4-byte Folded Spill
	v_mov_b32_e32 v4, 0
	v_and_b32_sdwa v3, v2, v3 dst_sel:DWORD dst_unused:UNUSED_PAD src0_sel:WORD_1 src1_sel:DWORD
	v_mov_b32_e32 v5, 0
	buffer_store_dword v4, off, s[0:3], s32 offset:1396 ; 4-byte Folded Spill
	buffer_store_dword v5, off, s[0:3], s32 offset:1400 ; 4-byte Folded Spill
	v_cmpx_ne_u16_e32 0, v3
	s_cbranch_execz .LBB243_1163
; %bb.1156:                             ;   in Loop: Header=BB243_16 Depth=1
	v_cmp_ne_u16_e64 s5, 0x80, v3
	v_bfrev_b32_e32 v3, 1
	v_mov_b32_e32 v4, 0
	buffer_store_dword v3, off, s[0:3], s32 offset:1396 ; 4-byte Folded Spill
	buffer_store_dword v4, off, s[0:3], s32 offset:1400 ; 4-byte Folded Spill
	s_and_saveexec_b32 s24, s5
	s_cbranch_execz .LBB243_1162
; %bb.1157:                             ;   in Loop: Header=BB243_16 Depth=1
	v_mov_b32_e32 v5, 0x7f800001
	v_bfe_u32 v4, v2, 16, 7
	v_mov_b32_e32 v6, 0
	s_mov_b32 s25, exec_lo
	buffer_store_dword v5, off, s[0:3], s32 offset:1396 ; 4-byte Folded Spill
	buffer_store_dword v6, off, s[0:3], s32 offset:1400 ; 4-byte Folded Spill
	v_cmpx_ne_u32_e32 0x7f, v4
	s_cbranch_execz .LBB243_1161
; %bb.1158:                             ;   in Loop: Header=BB243_16 Depth=1
	v_mov_b32_e32 v3, 7
	s_mov_b32 s26, exec_lo
	v_and_b32_sdwa v8, v2, v3 dst_sel:DWORD dst_unused:UNUSED_PAD src0_sel:WORD_1 src1_sel:DWORD
	v_lshrrev_b32_e32 v3, 3, v4
	v_cmpx_gt_u32_e32 8, v4
; %bb.1159:                             ;   in Loop: Header=BB243_16 Depth=1
	v_ffbh_u32_e32 v3, v8
	v_min_u32_e32 v3, 32, v3
	v_subrev_nc_u32_e32 v4, 28, v3
	v_sub_nc_u32_e32 v3, 29, v3
	v_lshlrev_b64 v[4:5], v4, v[8:9]
	v_and_b32_e32 v8, 7, v4
; %bb.1160:                             ;   in Loop: Header=BB243_16 Depth=1
	s_or_b32 exec_lo, exec_lo, s26
	v_mov_b32_e32 v4, 24
	v_lshlrev_b32_e32 v5, 20, v8
	v_lshl_add_u32 v3, v3, 23, 0x3c000000
	v_lshlrev_b32_sdwa v4, v4, v2 dst_sel:DWORD dst_unused:UNUSED_PAD src0_sel:DWORD src1_sel:WORD_1
	v_and_b32_e32 v4, 0x80000000, v4
	v_or3_b32 v8, v5, v4, v3
	buffer_store_dword v8, off, s[0:3], s32 offset:1396 ; 4-byte Folded Spill
	buffer_store_dword v9, off, s[0:3], s32 offset:1400 ; 4-byte Folded Spill
.LBB243_1161:                           ;   in Loop: Header=BB243_16 Depth=1
	s_or_b32 exec_lo, exec_lo, s25
.LBB243_1162:                           ;   in Loop: Header=BB243_16 Depth=1
	s_or_b32 exec_lo, exec_lo, s24
.LBB243_1163:                           ;   in Loop: Header=BB243_16 Depth=1
	s_or_b32 exec_lo, exec_lo, s23
	s_mov_b32 s23, exec_lo
	v_cmpx_lt_u32_e32 0xffffff, v2
	s_cbranch_execz .LBB243_1171
; %bb.1164:                             ;   in Loop: Header=BB243_16 Depth=1
	v_mov_b32_e32 v3, 0x80
	v_mov_b32_e32 v46, v9
	buffer_store_dword v46, off, s[0:3], s32 offset:1388 ; 4-byte Folded Spill
	buffer_store_dword v47, off, s[0:3], s32 offset:1392 ; 4-byte Folded Spill
	v_cmp_ne_u32_sdwa s5, v2, v3 src0_sel:BYTE_3 src1_sel:DWORD
	s_and_saveexec_b32 s24, s5
	s_cbranch_execz .LBB243_1170
; %bb.1165:                             ;   in Loop: Header=BB243_16 Depth=1
	s_clause 0x1
	buffer_load_dword v5, off, s[0:3], s32 offset:200
	buffer_load_dword v6, off, s[0:3], s32 offset:204
	v_bfe_u32 v4, v2, 24, 7
	s_waitcnt vmcnt(1)
	v_mov_b32_e32 v5, v9
	s_mov_b32 s25, exec_lo
	s_waitcnt vmcnt(0)
	v_mov_b32_e32 v3, v6
	buffer_store_dword v2, off, s[0:3], s32 offset:200 ; 4-byte Folded Spill
	buffer_store_dword v3, off, s[0:3], s32 offset:204 ; 4-byte Folded Spill
	;; [unrolled: 1-line block ×4, first 2 shown]
	v_cmpx_ne_u32_e32 0x7f, v4
	s_cbranch_execz .LBB243_1169
; %bb.1166:                             ;   in Loop: Header=BB243_16 Depth=1
	v_mov_b32_e32 v3, 7
	s_mov_b32 s26, exec_lo
	v_and_b32_sdwa v8, v2, v3 dst_sel:DWORD dst_unused:UNUSED_PAD src0_sel:BYTE_3 src1_sel:DWORD
	v_lshrrev_b32_e32 v3, 3, v4
	v_cmpx_gt_u32_e32 8, v4
; %bb.1167:                             ;   in Loop: Header=BB243_16 Depth=1
	v_ffbh_u32_e32 v3, v8
	v_min_u32_e32 v3, 32, v3
	v_subrev_nc_u32_e32 v4, 28, v3
	v_sub_nc_u32_e32 v3, 29, v3
	v_lshlrev_b64 v[4:5], v4, v[8:9]
	v_and_b32_e32 v8, 7, v4
; %bb.1168:                             ;   in Loop: Header=BB243_16 Depth=1
	s_or_b32 exec_lo, exec_lo, s26
	v_mov_b32_e32 v4, 24
	v_lshl_add_u32 v3, v3, 23, 0x3c000000
	v_lshlrev_b32_sdwa v2, v4, v2 dst_sel:DWORD dst_unused:UNUSED_PAD src0_sel:DWORD src1_sel:BYTE_3
	v_lshlrev_b32_e32 v4, 20, v8
	v_and_b32_e32 v2, 0x80000000, v2
	v_or3_b32 v3, v4, v2, v3
	v_mov_b32_e32 v2, v9
	buffer_store_dword v2, off, s[0:3], s32 offset:1388 ; 4-byte Folded Spill
	buffer_store_dword v3, off, s[0:3], s32 offset:1392 ; 4-byte Folded Spill
.LBB243_1169:                           ;   in Loop: Header=BB243_16 Depth=1
	s_or_b32 exec_lo, exec_lo, s25
.LBB243_1170:                           ;   in Loop: Header=BB243_16 Depth=1
	s_or_b32 exec_lo, exec_lo, s24
.LBB243_1171:                           ;   in Loop: Header=BB243_16 Depth=1
	s_or_b32 exec_lo, exec_lo, s23
	flat_load_dword v2, v[0:1] offset:512
	v_mov_b32_e32 v3, 0
	v_mov_b32_e32 v4, 0
	buffer_store_dword v3, off, s[0:3], s32 offset:1412 ; 4-byte Folded Spill
	buffer_store_dword v4, off, s[0:3], s32 offset:1416 ; 4-byte Folded Spill
	v_mov_b32_e32 v3, 0
	v_mov_b32_e32 v4, 0
	buffer_store_dword v3, off, s[0:3], s32 offset:1404 ; 4-byte Folded Spill
	buffer_store_dword v4, off, s[0:3], s32 offset:1408 ; 4-byte Folded Spill
	s_waitcnt vmcnt(0) lgkmcnt(0)
	v_cmp_ne_u16_sdwa s5, v2, v9 src0_sel:BYTE_0 src1_sel:DWORD
	s_and_saveexec_b32 s23, s5
	s_cbranch_execz .LBB243_1179
; %bb.1172:                             ;   in Loop: Header=BB243_16 Depth=1
	v_bfrev_b32_e32 v3, 1
	v_mov_b32_e32 v4, 0
	buffer_store_dword v3, off, s[0:3], s32 offset:1404 ; 4-byte Folded Spill
	buffer_store_dword v4, off, s[0:3], s32 offset:1408 ; 4-byte Folded Spill
	v_mov_b32_e32 v3, 0x80
	v_cmp_ne_u16_sdwa s5, v2, v3 src0_sel:BYTE_0 src1_sel:DWORD
	s_and_saveexec_b32 s24, s5
	s_cbranch_execz .LBB243_1178
; %bb.1173:                             ;   in Loop: Header=BB243_16 Depth=1
	v_mov_b32_e32 v5, 0x7f800001
	v_and_b32_e32 v4, 0x7f, v2
	v_mov_b32_e32 v6, 0
	s_mov_b32 s25, exec_lo
	buffer_store_dword v5, off, s[0:3], s32 offset:1404 ; 4-byte Folded Spill
	buffer_store_dword v6, off, s[0:3], s32 offset:1408 ; 4-byte Folded Spill
	v_cmpx_ne_u32_e32 0x7f, v4
	s_cbranch_execz .LBB243_1177
; %bb.1174:                             ;   in Loop: Header=BB243_16 Depth=1
	v_and_b32_e32 v8, 7, v2
	v_lshrrev_b32_e32 v3, 3, v4
	s_mov_b32 s26, exec_lo
	v_cmpx_gt_u32_e32 8, v4
; %bb.1175:                             ;   in Loop: Header=BB243_16 Depth=1
	v_ffbh_u32_e32 v3, v8
	v_min_u32_e32 v3, 32, v3
	v_subrev_nc_u32_e32 v4, 28, v3
	v_sub_nc_u32_e32 v3, 29, v3
	v_lshlrev_b64 v[4:5], v4, v[8:9]
	v_and_b32_e32 v8, 7, v4
; %bb.1176:                             ;   in Loop: Header=BB243_16 Depth=1
	s_or_b32 exec_lo, exec_lo, s26
	v_lshlrev_b32_e32 v4, 24, v2
	v_lshlrev_b32_e32 v5, 20, v8
	v_lshl_add_u32 v3, v3, 23, 0x3c000000
	v_and_b32_e32 v4, 0x80000000, v4
	v_or3_b32 v8, v5, v4, v3
	buffer_store_dword v8, off, s[0:3], s32 offset:1404 ; 4-byte Folded Spill
	buffer_store_dword v9, off, s[0:3], s32 offset:1408 ; 4-byte Folded Spill
.LBB243_1177:                           ;   in Loop: Header=BB243_16 Depth=1
	s_or_b32 exec_lo, exec_lo, s25
.LBB243_1178:                           ;   in Loop: Header=BB243_16 Depth=1
	s_or_b32 exec_lo, exec_lo, s24
.LBB243_1179:                           ;   in Loop: Header=BB243_16 Depth=1
	s_or_b32 exec_lo, exec_lo, s23
	v_cmp_ne_u16_sdwa s5, v2, v9 src0_sel:BYTE_1 src1_sel:DWORD
	s_and_saveexec_b32 s23, s5
	s_cbranch_execz .LBB243_1187
; %bb.1180:                             ;   in Loop: Header=BB243_16 Depth=1
	v_mov_b32_e32 v3, 0x80
	v_mov_b32_e32 v46, v9
	buffer_store_dword v46, off, s[0:3], s32 offset:1412 ; 4-byte Folded Spill
	buffer_store_dword v47, off, s[0:3], s32 offset:1416 ; 4-byte Folded Spill
	v_cmp_ne_u16_sdwa s5, v2, v3 src0_sel:BYTE_1 src1_sel:DWORD
	s_and_saveexec_b32 s24, s5
	s_cbranch_execz .LBB243_1186
; %bb.1181:                             ;   in Loop: Header=BB243_16 Depth=1
	s_clause 0x1
	buffer_load_dword v5, off, s[0:3], s32 offset:200
	buffer_load_dword v6, off, s[0:3], s32 offset:204
	v_mov_b32_e32 v3, 0xffff
	s_mov_b32 s25, exec_lo
	v_and_b32_sdwa v3, v3, v2 dst_sel:DWORD dst_unused:UNUSED_PAD src0_sel:DWORD src1_sel:BYTE_1
	v_and_b32_e32 v4, 0x7f, v3
	s_waitcnt vmcnt(0)
	v_mov_b32_e32 v7, v6
	v_mov_b32_e32 v6, v9
	;; [unrolled: 1-line block ×3, first 2 shown]
	buffer_store_dword v4, off, s[0:3], s32 offset:200 ; 4-byte Folded Spill
	buffer_store_dword v5, off, s[0:3], s32 offset:204 ; 4-byte Folded Spill
	;; [unrolled: 1-line block ×4, first 2 shown]
	v_cmpx_ne_u32_e32 0x7f, v4
	s_cbranch_execz .LBB243_1185
; %bb.1182:                             ;   in Loop: Header=BB243_16 Depth=1
	v_and_b32_e32 v8, 7, v3
	v_lshrrev_b32_e32 v3, 3, v4
	s_mov_b32 s26, exec_lo
	v_cmpx_gt_u32_e32 8, v4
; %bb.1183:                             ;   in Loop: Header=BB243_16 Depth=1
	v_ffbh_u32_e32 v3, v8
	v_min_u32_e32 v3, 32, v3
	v_subrev_nc_u32_e32 v4, 28, v3
	v_sub_nc_u32_e32 v3, 29, v3
	v_lshlrev_b64 v[4:5], v4, v[8:9]
	v_and_b32_e32 v8, 7, v4
; %bb.1184:                             ;   in Loop: Header=BB243_16 Depth=1
	s_or_b32 exec_lo, exec_lo, s26
	v_lshlrev_b32_e32 v4, 16, v2
	v_lshlrev_b32_e32 v5, 20, v8
	v_lshl_add_u32 v3, v3, 23, 0x3c000000
	v_and_b32_e32 v4, 0x80000000, v4
	v_or3_b32 v4, v5, v4, v3
	v_mov_b32_e32 v3, v9
	buffer_store_dword v3, off, s[0:3], s32 offset:1412 ; 4-byte Folded Spill
	buffer_store_dword v4, off, s[0:3], s32 offset:1416 ; 4-byte Folded Spill
.LBB243_1185:                           ;   in Loop: Header=BB243_16 Depth=1
	s_or_b32 exec_lo, exec_lo, s25
.LBB243_1186:                           ;   in Loop: Header=BB243_16 Depth=1
	s_or_b32 exec_lo, exec_lo, s24
.LBB243_1187:                           ;   in Loop: Header=BB243_16 Depth=1
	s_or_b32 exec_lo, exec_lo, s23
	v_mov_b32_e32 v4, 0
	v_mov_b32_e32 v5, 0
	;; [unrolled: 1-line block ×3, first 2 shown]
	s_mov_b32 s23, exec_lo
	buffer_store_dword v4, off, s[0:3], s32 offset:1420 ; 4-byte Folded Spill
	buffer_store_dword v5, off, s[0:3], s32 offset:1424 ; 4-byte Folded Spill
	v_mov_b32_e32 v4, 0
	v_and_b32_sdwa v3, v2, v3 dst_sel:DWORD dst_unused:UNUSED_PAD src0_sel:WORD_1 src1_sel:DWORD
	v_mov_b32_e32 v5, 0
	buffer_store_dword v4, off, s[0:3], s32 offset:1428 ; 4-byte Folded Spill
	buffer_store_dword v5, off, s[0:3], s32 offset:1432 ; 4-byte Folded Spill
	v_cmpx_ne_u16_e32 0, v3
	s_cbranch_execz .LBB243_1195
; %bb.1188:                             ;   in Loop: Header=BB243_16 Depth=1
	v_cmp_ne_u16_e64 s5, 0x80, v3
	v_bfrev_b32_e32 v3, 1
	v_mov_b32_e32 v4, 0
	buffer_store_dword v3, off, s[0:3], s32 offset:1428 ; 4-byte Folded Spill
	buffer_store_dword v4, off, s[0:3], s32 offset:1432 ; 4-byte Folded Spill
	s_and_saveexec_b32 s24, s5
	s_cbranch_execz .LBB243_1194
; %bb.1189:                             ;   in Loop: Header=BB243_16 Depth=1
	v_mov_b32_e32 v5, 0x7f800001
	v_bfe_u32 v4, v2, 16, 7
	v_mov_b32_e32 v6, 0
	s_mov_b32 s25, exec_lo
	buffer_store_dword v5, off, s[0:3], s32 offset:1428 ; 4-byte Folded Spill
	buffer_store_dword v6, off, s[0:3], s32 offset:1432 ; 4-byte Folded Spill
	v_cmpx_ne_u32_e32 0x7f, v4
	s_cbranch_execz .LBB243_1193
; %bb.1190:                             ;   in Loop: Header=BB243_16 Depth=1
	v_mov_b32_e32 v3, 7
	s_mov_b32 s26, exec_lo
	v_and_b32_sdwa v8, v2, v3 dst_sel:DWORD dst_unused:UNUSED_PAD src0_sel:WORD_1 src1_sel:DWORD
	v_lshrrev_b32_e32 v3, 3, v4
	v_cmpx_gt_u32_e32 8, v4
; %bb.1191:                             ;   in Loop: Header=BB243_16 Depth=1
	v_ffbh_u32_e32 v3, v8
	v_min_u32_e32 v3, 32, v3
	v_subrev_nc_u32_e32 v4, 28, v3
	v_sub_nc_u32_e32 v3, 29, v3
	v_lshlrev_b64 v[4:5], v4, v[8:9]
	v_and_b32_e32 v8, 7, v4
; %bb.1192:                             ;   in Loop: Header=BB243_16 Depth=1
	s_or_b32 exec_lo, exec_lo, s26
	v_mov_b32_e32 v4, 24
	v_lshlrev_b32_e32 v5, 20, v8
	v_lshl_add_u32 v3, v3, 23, 0x3c000000
	v_lshlrev_b32_sdwa v4, v4, v2 dst_sel:DWORD dst_unused:UNUSED_PAD src0_sel:DWORD src1_sel:WORD_1
	v_and_b32_e32 v4, 0x80000000, v4
	v_or3_b32 v8, v5, v4, v3
	buffer_store_dword v8, off, s[0:3], s32 offset:1428 ; 4-byte Folded Spill
	buffer_store_dword v9, off, s[0:3], s32 offset:1432 ; 4-byte Folded Spill
.LBB243_1193:                           ;   in Loop: Header=BB243_16 Depth=1
	s_or_b32 exec_lo, exec_lo, s25
.LBB243_1194:                           ;   in Loop: Header=BB243_16 Depth=1
	s_or_b32 exec_lo, exec_lo, s24
.LBB243_1195:                           ;   in Loop: Header=BB243_16 Depth=1
	s_or_b32 exec_lo, exec_lo, s23
	s_mov_b32 s23, exec_lo
	v_cmpx_lt_u32_e32 0xffffff, v2
	s_cbranch_execz .LBB243_1203
; %bb.1196:                             ;   in Loop: Header=BB243_16 Depth=1
	v_mov_b32_e32 v3, 0x80
	v_mov_b32_e32 v46, v9
	buffer_store_dword v46, off, s[0:3], s32 offset:1420 ; 4-byte Folded Spill
	buffer_store_dword v47, off, s[0:3], s32 offset:1424 ; 4-byte Folded Spill
	v_cmp_ne_u32_sdwa s5, v2, v3 src0_sel:BYTE_3 src1_sel:DWORD
	s_and_saveexec_b32 s24, s5
	s_cbranch_execz .LBB243_1202
; %bb.1197:                             ;   in Loop: Header=BB243_16 Depth=1
	s_clause 0x1
	buffer_load_dword v5, off, s[0:3], s32 offset:200
	buffer_load_dword v6, off, s[0:3], s32 offset:204
	v_bfe_u32 v4, v2, 24, 7
	s_waitcnt vmcnt(1)
	v_mov_b32_e32 v5, v9
	s_mov_b32 s25, exec_lo
	s_waitcnt vmcnt(0)
	v_mov_b32_e32 v3, v6
	buffer_store_dword v2, off, s[0:3], s32 offset:200 ; 4-byte Folded Spill
	buffer_store_dword v3, off, s[0:3], s32 offset:204 ; 4-byte Folded Spill
	;; [unrolled: 1-line block ×4, first 2 shown]
	v_cmpx_ne_u32_e32 0x7f, v4
	s_cbranch_execz .LBB243_1201
; %bb.1198:                             ;   in Loop: Header=BB243_16 Depth=1
	v_mov_b32_e32 v3, 7
	s_mov_b32 s26, exec_lo
	v_and_b32_sdwa v8, v2, v3 dst_sel:DWORD dst_unused:UNUSED_PAD src0_sel:BYTE_3 src1_sel:DWORD
	v_lshrrev_b32_e32 v3, 3, v4
	v_cmpx_gt_u32_e32 8, v4
; %bb.1199:                             ;   in Loop: Header=BB243_16 Depth=1
	v_ffbh_u32_e32 v3, v8
	v_min_u32_e32 v3, 32, v3
	v_subrev_nc_u32_e32 v4, 28, v3
	v_sub_nc_u32_e32 v3, 29, v3
	v_lshlrev_b64 v[4:5], v4, v[8:9]
	v_and_b32_e32 v8, 7, v4
; %bb.1200:                             ;   in Loop: Header=BB243_16 Depth=1
	s_or_b32 exec_lo, exec_lo, s26
	v_mov_b32_e32 v4, 24
	v_lshl_add_u32 v3, v3, 23, 0x3c000000
	v_lshlrev_b32_sdwa v2, v4, v2 dst_sel:DWORD dst_unused:UNUSED_PAD src0_sel:DWORD src1_sel:BYTE_3
	v_lshlrev_b32_e32 v4, 20, v8
	v_and_b32_e32 v2, 0x80000000, v2
	v_or3_b32 v3, v4, v2, v3
	v_mov_b32_e32 v2, v9
	buffer_store_dword v2, off, s[0:3], s32 offset:1420 ; 4-byte Folded Spill
	buffer_store_dword v3, off, s[0:3], s32 offset:1424 ; 4-byte Folded Spill
.LBB243_1201:                           ;   in Loop: Header=BB243_16 Depth=1
	s_or_b32 exec_lo, exec_lo, s25
.LBB243_1202:                           ;   in Loop: Header=BB243_16 Depth=1
	s_or_b32 exec_lo, exec_lo, s24
.LBB243_1203:                           ;   in Loop: Header=BB243_16 Depth=1
	s_or_b32 exec_lo, exec_lo, s23
	flat_load_dword v2, v[0:1] offset:516
	v_mov_b32_e32 v3, 0
	v_mov_b32_e32 v4, 0
	buffer_store_dword v3, off, s[0:3], s32 offset:1444 ; 4-byte Folded Spill
	buffer_store_dword v4, off, s[0:3], s32 offset:1448 ; 4-byte Folded Spill
	v_mov_b32_e32 v3, 0
	v_mov_b32_e32 v4, 0
	buffer_store_dword v3, off, s[0:3], s32 offset:1436 ; 4-byte Folded Spill
	buffer_store_dword v4, off, s[0:3], s32 offset:1440 ; 4-byte Folded Spill
	s_waitcnt vmcnt(0) lgkmcnt(0)
	v_cmp_ne_u16_sdwa s5, v2, v9 src0_sel:BYTE_0 src1_sel:DWORD
	s_and_saveexec_b32 s23, s5
	s_cbranch_execz .LBB243_1211
; %bb.1204:                             ;   in Loop: Header=BB243_16 Depth=1
	v_bfrev_b32_e32 v3, 1
	v_mov_b32_e32 v4, 0
	buffer_store_dword v3, off, s[0:3], s32 offset:1436 ; 4-byte Folded Spill
	buffer_store_dword v4, off, s[0:3], s32 offset:1440 ; 4-byte Folded Spill
	v_mov_b32_e32 v3, 0x80
	v_cmp_ne_u16_sdwa s5, v2, v3 src0_sel:BYTE_0 src1_sel:DWORD
	s_and_saveexec_b32 s24, s5
	s_cbranch_execz .LBB243_1210
; %bb.1205:                             ;   in Loop: Header=BB243_16 Depth=1
	v_mov_b32_e32 v5, 0x7f800001
	v_and_b32_e32 v4, 0x7f, v2
	v_mov_b32_e32 v6, 0
	s_mov_b32 s25, exec_lo
	buffer_store_dword v5, off, s[0:3], s32 offset:1436 ; 4-byte Folded Spill
	buffer_store_dword v6, off, s[0:3], s32 offset:1440 ; 4-byte Folded Spill
	v_cmpx_ne_u32_e32 0x7f, v4
	s_cbranch_execz .LBB243_1209
; %bb.1206:                             ;   in Loop: Header=BB243_16 Depth=1
	v_and_b32_e32 v8, 7, v2
	v_lshrrev_b32_e32 v3, 3, v4
	s_mov_b32 s26, exec_lo
	v_cmpx_gt_u32_e32 8, v4
; %bb.1207:                             ;   in Loop: Header=BB243_16 Depth=1
	v_ffbh_u32_e32 v3, v8
	v_min_u32_e32 v3, 32, v3
	v_subrev_nc_u32_e32 v4, 28, v3
	v_sub_nc_u32_e32 v3, 29, v3
	v_lshlrev_b64 v[4:5], v4, v[8:9]
	v_and_b32_e32 v8, 7, v4
; %bb.1208:                             ;   in Loop: Header=BB243_16 Depth=1
	s_or_b32 exec_lo, exec_lo, s26
	v_lshlrev_b32_e32 v4, 24, v2
	v_lshlrev_b32_e32 v5, 20, v8
	v_lshl_add_u32 v3, v3, 23, 0x3c000000
	v_and_b32_e32 v4, 0x80000000, v4
	v_or3_b32 v8, v5, v4, v3
	buffer_store_dword v8, off, s[0:3], s32 offset:1436 ; 4-byte Folded Spill
	buffer_store_dword v9, off, s[0:3], s32 offset:1440 ; 4-byte Folded Spill
.LBB243_1209:                           ;   in Loop: Header=BB243_16 Depth=1
	s_or_b32 exec_lo, exec_lo, s25
.LBB243_1210:                           ;   in Loop: Header=BB243_16 Depth=1
	s_or_b32 exec_lo, exec_lo, s24
.LBB243_1211:                           ;   in Loop: Header=BB243_16 Depth=1
	s_or_b32 exec_lo, exec_lo, s23
	v_cmp_ne_u16_sdwa s5, v2, v9 src0_sel:BYTE_1 src1_sel:DWORD
	s_and_saveexec_b32 s23, s5
	s_cbranch_execz .LBB243_1219
; %bb.1212:                             ;   in Loop: Header=BB243_16 Depth=1
	v_mov_b32_e32 v3, 0x80
	v_mov_b32_e32 v46, v9
	buffer_store_dword v46, off, s[0:3], s32 offset:1444 ; 4-byte Folded Spill
	buffer_store_dword v47, off, s[0:3], s32 offset:1448 ; 4-byte Folded Spill
	v_cmp_ne_u16_sdwa s5, v2, v3 src0_sel:BYTE_1 src1_sel:DWORD
	s_and_saveexec_b32 s24, s5
	s_cbranch_execz .LBB243_1218
; %bb.1213:                             ;   in Loop: Header=BB243_16 Depth=1
	s_clause 0x1
	buffer_load_dword v5, off, s[0:3], s32 offset:200
	buffer_load_dword v6, off, s[0:3], s32 offset:204
	v_mov_b32_e32 v3, 0xffff
	s_mov_b32 s25, exec_lo
	v_and_b32_sdwa v3, v3, v2 dst_sel:DWORD dst_unused:UNUSED_PAD src0_sel:DWORD src1_sel:BYTE_1
	v_and_b32_e32 v4, 0x7f, v3
	s_waitcnt vmcnt(0)
	v_mov_b32_e32 v7, v6
	v_mov_b32_e32 v6, v9
	;; [unrolled: 1-line block ×3, first 2 shown]
	buffer_store_dword v4, off, s[0:3], s32 offset:200 ; 4-byte Folded Spill
	buffer_store_dword v5, off, s[0:3], s32 offset:204 ; 4-byte Folded Spill
	;; [unrolled: 1-line block ×4, first 2 shown]
	v_cmpx_ne_u32_e32 0x7f, v4
	s_cbranch_execz .LBB243_1217
; %bb.1214:                             ;   in Loop: Header=BB243_16 Depth=1
	v_and_b32_e32 v8, 7, v3
	v_lshrrev_b32_e32 v3, 3, v4
	s_mov_b32 s26, exec_lo
	v_cmpx_gt_u32_e32 8, v4
; %bb.1215:                             ;   in Loop: Header=BB243_16 Depth=1
	v_ffbh_u32_e32 v3, v8
	v_min_u32_e32 v3, 32, v3
	v_subrev_nc_u32_e32 v4, 28, v3
	v_sub_nc_u32_e32 v3, 29, v3
	v_lshlrev_b64 v[4:5], v4, v[8:9]
	v_and_b32_e32 v8, 7, v4
; %bb.1216:                             ;   in Loop: Header=BB243_16 Depth=1
	s_or_b32 exec_lo, exec_lo, s26
	v_lshlrev_b32_e32 v4, 16, v2
	v_lshlrev_b32_e32 v5, 20, v8
	v_lshl_add_u32 v3, v3, 23, 0x3c000000
	v_and_b32_e32 v4, 0x80000000, v4
	v_or3_b32 v4, v5, v4, v3
	v_mov_b32_e32 v3, v9
	buffer_store_dword v3, off, s[0:3], s32 offset:1444 ; 4-byte Folded Spill
	buffer_store_dword v4, off, s[0:3], s32 offset:1448 ; 4-byte Folded Spill
.LBB243_1217:                           ;   in Loop: Header=BB243_16 Depth=1
	s_or_b32 exec_lo, exec_lo, s25
.LBB243_1218:                           ;   in Loop: Header=BB243_16 Depth=1
	s_or_b32 exec_lo, exec_lo, s24
.LBB243_1219:                           ;   in Loop: Header=BB243_16 Depth=1
	s_or_b32 exec_lo, exec_lo, s23
	v_mov_b32_e32 v4, 0
	v_mov_b32_e32 v5, 0
	;; [unrolled: 1-line block ×3, first 2 shown]
	s_mov_b32 s23, exec_lo
	buffer_store_dword v4, off, s[0:3], s32 offset:1452 ; 4-byte Folded Spill
	buffer_store_dword v5, off, s[0:3], s32 offset:1456 ; 4-byte Folded Spill
	v_mov_b32_e32 v4, 0
	v_and_b32_sdwa v3, v2, v3 dst_sel:DWORD dst_unused:UNUSED_PAD src0_sel:WORD_1 src1_sel:DWORD
	v_mov_b32_e32 v5, 0
	buffer_store_dword v4, off, s[0:3], s32 offset:1460 ; 4-byte Folded Spill
	buffer_store_dword v5, off, s[0:3], s32 offset:1464 ; 4-byte Folded Spill
	v_cmpx_ne_u16_e32 0, v3
	s_cbranch_execz .LBB243_1227
; %bb.1220:                             ;   in Loop: Header=BB243_16 Depth=1
	v_cmp_ne_u16_e64 s5, 0x80, v3
	v_bfrev_b32_e32 v3, 1
	v_mov_b32_e32 v4, 0
	buffer_store_dword v3, off, s[0:3], s32 offset:1460 ; 4-byte Folded Spill
	buffer_store_dword v4, off, s[0:3], s32 offset:1464 ; 4-byte Folded Spill
	s_and_saveexec_b32 s24, s5
	s_cbranch_execz .LBB243_1226
; %bb.1221:                             ;   in Loop: Header=BB243_16 Depth=1
	v_mov_b32_e32 v5, 0x7f800001
	v_bfe_u32 v4, v2, 16, 7
	v_mov_b32_e32 v6, 0
	s_mov_b32 s25, exec_lo
	buffer_store_dword v5, off, s[0:3], s32 offset:1460 ; 4-byte Folded Spill
	buffer_store_dword v6, off, s[0:3], s32 offset:1464 ; 4-byte Folded Spill
	v_cmpx_ne_u32_e32 0x7f, v4
	s_cbranch_execz .LBB243_1225
; %bb.1222:                             ;   in Loop: Header=BB243_16 Depth=1
	v_mov_b32_e32 v3, 7
	s_mov_b32 s26, exec_lo
	v_and_b32_sdwa v8, v2, v3 dst_sel:DWORD dst_unused:UNUSED_PAD src0_sel:WORD_1 src1_sel:DWORD
	v_lshrrev_b32_e32 v3, 3, v4
	v_cmpx_gt_u32_e32 8, v4
; %bb.1223:                             ;   in Loop: Header=BB243_16 Depth=1
	v_ffbh_u32_e32 v3, v8
	v_min_u32_e32 v3, 32, v3
	v_subrev_nc_u32_e32 v4, 28, v3
	v_sub_nc_u32_e32 v3, 29, v3
	v_lshlrev_b64 v[4:5], v4, v[8:9]
	v_and_b32_e32 v8, 7, v4
; %bb.1224:                             ;   in Loop: Header=BB243_16 Depth=1
	s_or_b32 exec_lo, exec_lo, s26
	v_mov_b32_e32 v4, 24
	v_lshlrev_b32_e32 v5, 20, v8
	v_lshl_add_u32 v3, v3, 23, 0x3c000000
	v_lshlrev_b32_sdwa v4, v4, v2 dst_sel:DWORD dst_unused:UNUSED_PAD src0_sel:DWORD src1_sel:WORD_1
	v_and_b32_e32 v4, 0x80000000, v4
	v_or3_b32 v8, v5, v4, v3
	buffer_store_dword v8, off, s[0:3], s32 offset:1460 ; 4-byte Folded Spill
	buffer_store_dword v9, off, s[0:3], s32 offset:1464 ; 4-byte Folded Spill
.LBB243_1225:                           ;   in Loop: Header=BB243_16 Depth=1
	s_or_b32 exec_lo, exec_lo, s25
.LBB243_1226:                           ;   in Loop: Header=BB243_16 Depth=1
	s_or_b32 exec_lo, exec_lo, s24
.LBB243_1227:                           ;   in Loop: Header=BB243_16 Depth=1
	s_or_b32 exec_lo, exec_lo, s23
	s_mov_b32 s23, exec_lo
	v_cmpx_lt_u32_e32 0xffffff, v2
	s_cbranch_execz .LBB243_1235
; %bb.1228:                             ;   in Loop: Header=BB243_16 Depth=1
	v_mov_b32_e32 v3, 0x80
	v_mov_b32_e32 v46, v9
	buffer_store_dword v46, off, s[0:3], s32 offset:1452 ; 4-byte Folded Spill
	buffer_store_dword v47, off, s[0:3], s32 offset:1456 ; 4-byte Folded Spill
	v_cmp_ne_u32_sdwa s5, v2, v3 src0_sel:BYTE_3 src1_sel:DWORD
	s_and_saveexec_b32 s24, s5
	s_cbranch_execz .LBB243_1234
; %bb.1229:                             ;   in Loop: Header=BB243_16 Depth=1
	s_clause 0x1
	buffer_load_dword v5, off, s[0:3], s32 offset:200
	buffer_load_dword v6, off, s[0:3], s32 offset:204
	v_bfe_u32 v4, v2, 24, 7
	s_waitcnt vmcnt(1)
	v_mov_b32_e32 v5, v9
	s_mov_b32 s25, exec_lo
	s_waitcnt vmcnt(0)
	v_mov_b32_e32 v3, v6
	buffer_store_dword v2, off, s[0:3], s32 offset:200 ; 4-byte Folded Spill
	buffer_store_dword v3, off, s[0:3], s32 offset:204 ; 4-byte Folded Spill
	;; [unrolled: 1-line block ×4, first 2 shown]
	v_cmpx_ne_u32_e32 0x7f, v4
	s_cbranch_execz .LBB243_1233
; %bb.1230:                             ;   in Loop: Header=BB243_16 Depth=1
	v_mov_b32_e32 v3, 7
	s_mov_b32 s26, exec_lo
	v_and_b32_sdwa v8, v2, v3 dst_sel:DWORD dst_unused:UNUSED_PAD src0_sel:BYTE_3 src1_sel:DWORD
	v_lshrrev_b32_e32 v3, 3, v4
	v_cmpx_gt_u32_e32 8, v4
; %bb.1231:                             ;   in Loop: Header=BB243_16 Depth=1
	v_ffbh_u32_e32 v3, v8
	v_min_u32_e32 v3, 32, v3
	v_subrev_nc_u32_e32 v4, 28, v3
	v_sub_nc_u32_e32 v3, 29, v3
	v_lshlrev_b64 v[4:5], v4, v[8:9]
	v_and_b32_e32 v8, 7, v4
; %bb.1232:                             ;   in Loop: Header=BB243_16 Depth=1
	s_or_b32 exec_lo, exec_lo, s26
	v_mov_b32_e32 v4, 24
	v_lshl_add_u32 v3, v3, 23, 0x3c000000
	v_lshlrev_b32_sdwa v2, v4, v2 dst_sel:DWORD dst_unused:UNUSED_PAD src0_sel:DWORD src1_sel:BYTE_3
	v_lshlrev_b32_e32 v4, 20, v8
	v_and_b32_e32 v2, 0x80000000, v2
	v_or3_b32 v3, v4, v2, v3
	v_mov_b32_e32 v2, v9
	buffer_store_dword v2, off, s[0:3], s32 offset:1452 ; 4-byte Folded Spill
	buffer_store_dword v3, off, s[0:3], s32 offset:1456 ; 4-byte Folded Spill
.LBB243_1233:                           ;   in Loop: Header=BB243_16 Depth=1
	s_or_b32 exec_lo, exec_lo, s25
.LBB243_1234:                           ;   in Loop: Header=BB243_16 Depth=1
	s_or_b32 exec_lo, exec_lo, s24
.LBB243_1235:                           ;   in Loop: Header=BB243_16 Depth=1
	s_or_b32 exec_lo, exec_lo, s23
	flat_load_dword v2, v[0:1] offset:520
	v_mov_b32_e32 v3, 0
	v_mov_b32_e32 v4, 0
	buffer_store_dword v3, off, s[0:3], s32 offset:1476 ; 4-byte Folded Spill
	buffer_store_dword v4, off, s[0:3], s32 offset:1480 ; 4-byte Folded Spill
	v_mov_b32_e32 v3, 0
	v_mov_b32_e32 v4, 0
	buffer_store_dword v3, off, s[0:3], s32 offset:1468 ; 4-byte Folded Spill
	buffer_store_dword v4, off, s[0:3], s32 offset:1472 ; 4-byte Folded Spill
	s_waitcnt vmcnt(0) lgkmcnt(0)
	v_cmp_ne_u16_sdwa s5, v2, v9 src0_sel:BYTE_0 src1_sel:DWORD
	s_and_saveexec_b32 s23, s5
	s_cbranch_execz .LBB243_1243
; %bb.1236:                             ;   in Loop: Header=BB243_16 Depth=1
	v_bfrev_b32_e32 v3, 1
	v_mov_b32_e32 v4, 0
	buffer_store_dword v3, off, s[0:3], s32 offset:1468 ; 4-byte Folded Spill
	buffer_store_dword v4, off, s[0:3], s32 offset:1472 ; 4-byte Folded Spill
	v_mov_b32_e32 v3, 0x80
	v_cmp_ne_u16_sdwa s5, v2, v3 src0_sel:BYTE_0 src1_sel:DWORD
	s_and_saveexec_b32 s24, s5
	s_cbranch_execz .LBB243_1242
; %bb.1237:                             ;   in Loop: Header=BB243_16 Depth=1
	v_mov_b32_e32 v5, 0x7f800001
	v_and_b32_e32 v4, 0x7f, v2
	v_mov_b32_e32 v6, 0
	s_mov_b32 s25, exec_lo
	buffer_store_dword v5, off, s[0:3], s32 offset:1468 ; 4-byte Folded Spill
	buffer_store_dword v6, off, s[0:3], s32 offset:1472 ; 4-byte Folded Spill
	v_cmpx_ne_u32_e32 0x7f, v4
	s_cbranch_execz .LBB243_1241
; %bb.1238:                             ;   in Loop: Header=BB243_16 Depth=1
	v_and_b32_e32 v8, 7, v2
	v_lshrrev_b32_e32 v3, 3, v4
	s_mov_b32 s26, exec_lo
	v_cmpx_gt_u32_e32 8, v4
; %bb.1239:                             ;   in Loop: Header=BB243_16 Depth=1
	v_ffbh_u32_e32 v3, v8
	v_min_u32_e32 v3, 32, v3
	v_subrev_nc_u32_e32 v4, 28, v3
	v_sub_nc_u32_e32 v3, 29, v3
	v_lshlrev_b64 v[4:5], v4, v[8:9]
	v_and_b32_e32 v8, 7, v4
; %bb.1240:                             ;   in Loop: Header=BB243_16 Depth=1
	s_or_b32 exec_lo, exec_lo, s26
	v_lshlrev_b32_e32 v4, 24, v2
	v_lshlrev_b32_e32 v5, 20, v8
	v_lshl_add_u32 v3, v3, 23, 0x3c000000
	v_and_b32_e32 v4, 0x80000000, v4
	v_or3_b32 v8, v5, v4, v3
	buffer_store_dword v8, off, s[0:3], s32 offset:1468 ; 4-byte Folded Spill
	buffer_store_dword v9, off, s[0:3], s32 offset:1472 ; 4-byte Folded Spill
.LBB243_1241:                           ;   in Loop: Header=BB243_16 Depth=1
	s_or_b32 exec_lo, exec_lo, s25
.LBB243_1242:                           ;   in Loop: Header=BB243_16 Depth=1
	s_or_b32 exec_lo, exec_lo, s24
.LBB243_1243:                           ;   in Loop: Header=BB243_16 Depth=1
	s_or_b32 exec_lo, exec_lo, s23
	v_cmp_ne_u16_sdwa s5, v2, v9 src0_sel:BYTE_1 src1_sel:DWORD
	s_and_saveexec_b32 s23, s5
	s_cbranch_execz .LBB243_1251
; %bb.1244:                             ;   in Loop: Header=BB243_16 Depth=1
	v_mov_b32_e32 v3, 0x80
	v_mov_b32_e32 v46, v9
	buffer_store_dword v46, off, s[0:3], s32 offset:1476 ; 4-byte Folded Spill
	buffer_store_dword v47, off, s[0:3], s32 offset:1480 ; 4-byte Folded Spill
	v_cmp_ne_u16_sdwa s5, v2, v3 src0_sel:BYTE_1 src1_sel:DWORD
	s_and_saveexec_b32 s24, s5
	s_cbranch_execz .LBB243_1250
; %bb.1245:                             ;   in Loop: Header=BB243_16 Depth=1
	s_clause 0x1
	buffer_load_dword v5, off, s[0:3], s32 offset:200
	buffer_load_dword v6, off, s[0:3], s32 offset:204
	v_mov_b32_e32 v3, 0xffff
	s_mov_b32 s25, exec_lo
	v_and_b32_sdwa v3, v3, v2 dst_sel:DWORD dst_unused:UNUSED_PAD src0_sel:DWORD src1_sel:BYTE_1
	v_and_b32_e32 v4, 0x7f, v3
	s_waitcnt vmcnt(0)
	v_mov_b32_e32 v7, v6
	v_mov_b32_e32 v6, v9
	;; [unrolled: 1-line block ×3, first 2 shown]
	buffer_store_dword v4, off, s[0:3], s32 offset:200 ; 4-byte Folded Spill
	buffer_store_dword v5, off, s[0:3], s32 offset:204 ; 4-byte Folded Spill
	;; [unrolled: 1-line block ×4, first 2 shown]
	v_cmpx_ne_u32_e32 0x7f, v4
	s_cbranch_execz .LBB243_1249
; %bb.1246:                             ;   in Loop: Header=BB243_16 Depth=1
	v_and_b32_e32 v8, 7, v3
	v_lshrrev_b32_e32 v3, 3, v4
	s_mov_b32 s26, exec_lo
	v_cmpx_gt_u32_e32 8, v4
; %bb.1247:                             ;   in Loop: Header=BB243_16 Depth=1
	v_ffbh_u32_e32 v3, v8
	v_min_u32_e32 v3, 32, v3
	v_subrev_nc_u32_e32 v4, 28, v3
	v_sub_nc_u32_e32 v3, 29, v3
	v_lshlrev_b64 v[4:5], v4, v[8:9]
	v_and_b32_e32 v8, 7, v4
; %bb.1248:                             ;   in Loop: Header=BB243_16 Depth=1
	s_or_b32 exec_lo, exec_lo, s26
	v_lshlrev_b32_e32 v4, 16, v2
	v_lshlrev_b32_e32 v5, 20, v8
	v_lshl_add_u32 v3, v3, 23, 0x3c000000
	v_and_b32_e32 v4, 0x80000000, v4
	v_or3_b32 v4, v5, v4, v3
	v_mov_b32_e32 v3, v9
	buffer_store_dword v3, off, s[0:3], s32 offset:1476 ; 4-byte Folded Spill
	buffer_store_dword v4, off, s[0:3], s32 offset:1480 ; 4-byte Folded Spill
.LBB243_1249:                           ;   in Loop: Header=BB243_16 Depth=1
	s_or_b32 exec_lo, exec_lo, s25
.LBB243_1250:                           ;   in Loop: Header=BB243_16 Depth=1
	s_or_b32 exec_lo, exec_lo, s24
.LBB243_1251:                           ;   in Loop: Header=BB243_16 Depth=1
	s_or_b32 exec_lo, exec_lo, s23
	v_mov_b32_e32 v4, 0
	v_mov_b32_e32 v5, 0
	;; [unrolled: 1-line block ×3, first 2 shown]
	s_mov_b32 s23, exec_lo
	buffer_store_dword v4, off, s[0:3], s32 offset:1484 ; 4-byte Folded Spill
	buffer_store_dword v5, off, s[0:3], s32 offset:1488 ; 4-byte Folded Spill
	v_mov_b32_e32 v4, 0
	v_and_b32_sdwa v3, v2, v3 dst_sel:DWORD dst_unused:UNUSED_PAD src0_sel:WORD_1 src1_sel:DWORD
	v_mov_b32_e32 v5, 0
	buffer_store_dword v4, off, s[0:3], s32 offset:1492 ; 4-byte Folded Spill
	buffer_store_dword v5, off, s[0:3], s32 offset:1496 ; 4-byte Folded Spill
	v_cmpx_ne_u16_e32 0, v3
	s_cbranch_execz .LBB243_1259
; %bb.1252:                             ;   in Loop: Header=BB243_16 Depth=1
	v_cmp_ne_u16_e64 s5, 0x80, v3
	v_bfrev_b32_e32 v3, 1
	v_mov_b32_e32 v4, 0
	buffer_store_dword v3, off, s[0:3], s32 offset:1492 ; 4-byte Folded Spill
	buffer_store_dword v4, off, s[0:3], s32 offset:1496 ; 4-byte Folded Spill
	s_and_saveexec_b32 s24, s5
	s_cbranch_execz .LBB243_1258
; %bb.1253:                             ;   in Loop: Header=BB243_16 Depth=1
	v_mov_b32_e32 v5, 0x7f800001
	v_bfe_u32 v4, v2, 16, 7
	v_mov_b32_e32 v6, 0
	s_mov_b32 s25, exec_lo
	buffer_store_dword v5, off, s[0:3], s32 offset:1492 ; 4-byte Folded Spill
	buffer_store_dword v6, off, s[0:3], s32 offset:1496 ; 4-byte Folded Spill
	v_cmpx_ne_u32_e32 0x7f, v4
	s_cbranch_execz .LBB243_1257
; %bb.1254:                             ;   in Loop: Header=BB243_16 Depth=1
	v_mov_b32_e32 v3, 7
	s_mov_b32 s26, exec_lo
	v_and_b32_sdwa v8, v2, v3 dst_sel:DWORD dst_unused:UNUSED_PAD src0_sel:WORD_1 src1_sel:DWORD
	v_lshrrev_b32_e32 v3, 3, v4
	v_cmpx_gt_u32_e32 8, v4
; %bb.1255:                             ;   in Loop: Header=BB243_16 Depth=1
	v_ffbh_u32_e32 v3, v8
	v_min_u32_e32 v3, 32, v3
	v_subrev_nc_u32_e32 v4, 28, v3
	v_sub_nc_u32_e32 v3, 29, v3
	v_lshlrev_b64 v[4:5], v4, v[8:9]
	v_and_b32_e32 v8, 7, v4
; %bb.1256:                             ;   in Loop: Header=BB243_16 Depth=1
	s_or_b32 exec_lo, exec_lo, s26
	v_mov_b32_e32 v4, 24
	v_lshlrev_b32_e32 v5, 20, v8
	v_lshl_add_u32 v3, v3, 23, 0x3c000000
	v_lshlrev_b32_sdwa v4, v4, v2 dst_sel:DWORD dst_unused:UNUSED_PAD src0_sel:DWORD src1_sel:WORD_1
	v_and_b32_e32 v4, 0x80000000, v4
	v_or3_b32 v8, v5, v4, v3
	buffer_store_dword v8, off, s[0:3], s32 offset:1492 ; 4-byte Folded Spill
	buffer_store_dword v9, off, s[0:3], s32 offset:1496 ; 4-byte Folded Spill
.LBB243_1257:                           ;   in Loop: Header=BB243_16 Depth=1
	s_or_b32 exec_lo, exec_lo, s25
.LBB243_1258:                           ;   in Loop: Header=BB243_16 Depth=1
	s_or_b32 exec_lo, exec_lo, s24
.LBB243_1259:                           ;   in Loop: Header=BB243_16 Depth=1
	s_or_b32 exec_lo, exec_lo, s23
	s_mov_b32 s23, exec_lo
	v_cmpx_lt_u32_e32 0xffffff, v2
	s_cbranch_execz .LBB243_1267
; %bb.1260:                             ;   in Loop: Header=BB243_16 Depth=1
	v_mov_b32_e32 v3, 0x80
	v_mov_b32_e32 v46, v9
	buffer_store_dword v46, off, s[0:3], s32 offset:1484 ; 4-byte Folded Spill
	buffer_store_dword v47, off, s[0:3], s32 offset:1488 ; 4-byte Folded Spill
	v_cmp_ne_u32_sdwa s5, v2, v3 src0_sel:BYTE_3 src1_sel:DWORD
	s_and_saveexec_b32 s24, s5
	s_cbranch_execz .LBB243_1266
; %bb.1261:                             ;   in Loop: Header=BB243_16 Depth=1
	s_clause 0x1
	buffer_load_dword v5, off, s[0:3], s32 offset:200
	buffer_load_dword v6, off, s[0:3], s32 offset:204
	v_bfe_u32 v4, v2, 24, 7
	s_waitcnt vmcnt(1)
	v_mov_b32_e32 v5, v9
	s_mov_b32 s25, exec_lo
	s_waitcnt vmcnt(0)
	v_mov_b32_e32 v3, v6
	buffer_store_dword v2, off, s[0:3], s32 offset:200 ; 4-byte Folded Spill
	buffer_store_dword v3, off, s[0:3], s32 offset:204 ; 4-byte Folded Spill
	;; [unrolled: 1-line block ×4, first 2 shown]
	v_cmpx_ne_u32_e32 0x7f, v4
	s_cbranch_execz .LBB243_1265
; %bb.1262:                             ;   in Loop: Header=BB243_16 Depth=1
	v_mov_b32_e32 v3, 7
	s_mov_b32 s26, exec_lo
	v_and_b32_sdwa v8, v2, v3 dst_sel:DWORD dst_unused:UNUSED_PAD src0_sel:BYTE_3 src1_sel:DWORD
	v_lshrrev_b32_e32 v3, 3, v4
	v_cmpx_gt_u32_e32 8, v4
; %bb.1263:                             ;   in Loop: Header=BB243_16 Depth=1
	v_ffbh_u32_e32 v3, v8
	v_min_u32_e32 v3, 32, v3
	v_subrev_nc_u32_e32 v4, 28, v3
	v_sub_nc_u32_e32 v3, 29, v3
	v_lshlrev_b64 v[4:5], v4, v[8:9]
	v_and_b32_e32 v8, 7, v4
; %bb.1264:                             ;   in Loop: Header=BB243_16 Depth=1
	s_or_b32 exec_lo, exec_lo, s26
	v_mov_b32_e32 v4, 24
	v_lshl_add_u32 v3, v3, 23, 0x3c000000
	v_lshlrev_b32_sdwa v2, v4, v2 dst_sel:DWORD dst_unused:UNUSED_PAD src0_sel:DWORD src1_sel:BYTE_3
	v_lshlrev_b32_e32 v4, 20, v8
	v_and_b32_e32 v2, 0x80000000, v2
	v_or3_b32 v3, v4, v2, v3
	v_mov_b32_e32 v2, v9
	buffer_store_dword v2, off, s[0:3], s32 offset:1484 ; 4-byte Folded Spill
	buffer_store_dword v3, off, s[0:3], s32 offset:1488 ; 4-byte Folded Spill
.LBB243_1265:                           ;   in Loop: Header=BB243_16 Depth=1
	s_or_b32 exec_lo, exec_lo, s25
.LBB243_1266:                           ;   in Loop: Header=BB243_16 Depth=1
	s_or_b32 exec_lo, exec_lo, s24
.LBB243_1267:                           ;   in Loop: Header=BB243_16 Depth=1
	s_or_b32 exec_lo, exec_lo, s23
	flat_load_dword v2, v[0:1] offset:524
	v_mov_b32_e32 v3, 0
	v_mov_b32_e32 v4, 0
	buffer_store_dword v3, off, s[0:3], s32 offset:1508 ; 4-byte Folded Spill
	buffer_store_dword v4, off, s[0:3], s32 offset:1512 ; 4-byte Folded Spill
	v_mov_b32_e32 v3, 0
	v_mov_b32_e32 v4, 0
	buffer_store_dword v3, off, s[0:3], s32 offset:1500 ; 4-byte Folded Spill
	buffer_store_dword v4, off, s[0:3], s32 offset:1504 ; 4-byte Folded Spill
	s_waitcnt vmcnt(0) lgkmcnt(0)
	v_cmp_ne_u16_sdwa s5, v2, v9 src0_sel:BYTE_0 src1_sel:DWORD
	s_and_saveexec_b32 s23, s5
	s_cbranch_execz .LBB243_1275
; %bb.1268:                             ;   in Loop: Header=BB243_16 Depth=1
	v_bfrev_b32_e32 v3, 1
	v_mov_b32_e32 v4, 0
	buffer_store_dword v3, off, s[0:3], s32 offset:1500 ; 4-byte Folded Spill
	buffer_store_dword v4, off, s[0:3], s32 offset:1504 ; 4-byte Folded Spill
	v_mov_b32_e32 v3, 0x80
	v_cmp_ne_u16_sdwa s5, v2, v3 src0_sel:BYTE_0 src1_sel:DWORD
	s_and_saveexec_b32 s24, s5
	s_cbranch_execz .LBB243_1274
; %bb.1269:                             ;   in Loop: Header=BB243_16 Depth=1
	v_mov_b32_e32 v5, 0x7f800001
	v_and_b32_e32 v4, 0x7f, v2
	v_mov_b32_e32 v6, 0
	s_mov_b32 s25, exec_lo
	buffer_store_dword v5, off, s[0:3], s32 offset:1500 ; 4-byte Folded Spill
	buffer_store_dword v6, off, s[0:3], s32 offset:1504 ; 4-byte Folded Spill
	v_cmpx_ne_u32_e32 0x7f, v4
	s_cbranch_execz .LBB243_1273
; %bb.1270:                             ;   in Loop: Header=BB243_16 Depth=1
	v_and_b32_e32 v8, 7, v2
	v_lshrrev_b32_e32 v3, 3, v4
	s_mov_b32 s26, exec_lo
	v_cmpx_gt_u32_e32 8, v4
; %bb.1271:                             ;   in Loop: Header=BB243_16 Depth=1
	v_ffbh_u32_e32 v3, v8
	v_min_u32_e32 v3, 32, v3
	v_subrev_nc_u32_e32 v4, 28, v3
	v_sub_nc_u32_e32 v3, 29, v3
	v_lshlrev_b64 v[4:5], v4, v[8:9]
	v_and_b32_e32 v8, 7, v4
; %bb.1272:                             ;   in Loop: Header=BB243_16 Depth=1
	s_or_b32 exec_lo, exec_lo, s26
	v_lshlrev_b32_e32 v4, 24, v2
	v_lshlrev_b32_e32 v5, 20, v8
	v_lshl_add_u32 v3, v3, 23, 0x3c000000
	v_and_b32_e32 v4, 0x80000000, v4
	v_or3_b32 v8, v5, v4, v3
	buffer_store_dword v8, off, s[0:3], s32 offset:1500 ; 4-byte Folded Spill
	buffer_store_dword v9, off, s[0:3], s32 offset:1504 ; 4-byte Folded Spill
.LBB243_1273:                           ;   in Loop: Header=BB243_16 Depth=1
	s_or_b32 exec_lo, exec_lo, s25
.LBB243_1274:                           ;   in Loop: Header=BB243_16 Depth=1
	s_or_b32 exec_lo, exec_lo, s24
.LBB243_1275:                           ;   in Loop: Header=BB243_16 Depth=1
	s_or_b32 exec_lo, exec_lo, s23
	v_cmp_ne_u16_sdwa s5, v2, v9 src0_sel:BYTE_1 src1_sel:DWORD
	s_and_saveexec_b32 s23, s5
	s_cbranch_execz .LBB243_1283
; %bb.1276:                             ;   in Loop: Header=BB243_16 Depth=1
	v_mov_b32_e32 v3, 0x80
	v_mov_b32_e32 v46, v9
	buffer_store_dword v46, off, s[0:3], s32 offset:1508 ; 4-byte Folded Spill
	buffer_store_dword v47, off, s[0:3], s32 offset:1512 ; 4-byte Folded Spill
	v_cmp_ne_u16_sdwa s5, v2, v3 src0_sel:BYTE_1 src1_sel:DWORD
	s_and_saveexec_b32 s24, s5
	s_cbranch_execz .LBB243_1282
; %bb.1277:                             ;   in Loop: Header=BB243_16 Depth=1
	s_clause 0x1
	buffer_load_dword v5, off, s[0:3], s32 offset:200
	buffer_load_dword v6, off, s[0:3], s32 offset:204
	v_mov_b32_e32 v3, 0xffff
	s_mov_b32 s25, exec_lo
	v_and_b32_sdwa v3, v3, v2 dst_sel:DWORD dst_unused:UNUSED_PAD src0_sel:DWORD src1_sel:BYTE_1
	v_and_b32_e32 v4, 0x7f, v3
	s_waitcnt vmcnt(0)
	v_mov_b32_e32 v7, v6
	v_mov_b32_e32 v6, v9
	;; [unrolled: 1-line block ×3, first 2 shown]
	buffer_store_dword v4, off, s[0:3], s32 offset:200 ; 4-byte Folded Spill
	buffer_store_dword v5, off, s[0:3], s32 offset:204 ; 4-byte Folded Spill
	;; [unrolled: 1-line block ×4, first 2 shown]
	v_cmpx_ne_u32_e32 0x7f, v4
	s_cbranch_execz .LBB243_1281
; %bb.1278:                             ;   in Loop: Header=BB243_16 Depth=1
	v_and_b32_e32 v8, 7, v3
	v_lshrrev_b32_e32 v3, 3, v4
	s_mov_b32 s26, exec_lo
	v_cmpx_gt_u32_e32 8, v4
; %bb.1279:                             ;   in Loop: Header=BB243_16 Depth=1
	v_ffbh_u32_e32 v3, v8
	v_min_u32_e32 v3, 32, v3
	v_subrev_nc_u32_e32 v4, 28, v3
	v_sub_nc_u32_e32 v3, 29, v3
	v_lshlrev_b64 v[4:5], v4, v[8:9]
	v_and_b32_e32 v8, 7, v4
; %bb.1280:                             ;   in Loop: Header=BB243_16 Depth=1
	s_or_b32 exec_lo, exec_lo, s26
	v_lshlrev_b32_e32 v4, 16, v2
	v_lshlrev_b32_e32 v5, 20, v8
	v_lshl_add_u32 v3, v3, 23, 0x3c000000
	v_and_b32_e32 v4, 0x80000000, v4
	v_or3_b32 v4, v5, v4, v3
	v_mov_b32_e32 v3, v9
	buffer_store_dword v3, off, s[0:3], s32 offset:1508 ; 4-byte Folded Spill
	buffer_store_dword v4, off, s[0:3], s32 offset:1512 ; 4-byte Folded Spill
.LBB243_1281:                           ;   in Loop: Header=BB243_16 Depth=1
	s_or_b32 exec_lo, exec_lo, s25
.LBB243_1282:                           ;   in Loop: Header=BB243_16 Depth=1
	s_or_b32 exec_lo, exec_lo, s24
.LBB243_1283:                           ;   in Loop: Header=BB243_16 Depth=1
	s_or_b32 exec_lo, exec_lo, s23
	v_mov_b32_e32 v4, 0
	v_mov_b32_e32 v5, 0
	;; [unrolled: 1-line block ×3, first 2 shown]
	s_mov_b32 s23, exec_lo
	buffer_store_dword v4, off, s[0:3], s32 offset:1516 ; 4-byte Folded Spill
	buffer_store_dword v5, off, s[0:3], s32 offset:1520 ; 4-byte Folded Spill
	v_mov_b32_e32 v4, 0
	v_and_b32_sdwa v3, v2, v3 dst_sel:DWORD dst_unused:UNUSED_PAD src0_sel:WORD_1 src1_sel:DWORD
	v_mov_b32_e32 v5, 0
	buffer_store_dword v4, off, s[0:3], s32 offset:1524 ; 4-byte Folded Spill
	buffer_store_dword v5, off, s[0:3], s32 offset:1528 ; 4-byte Folded Spill
	v_cmpx_ne_u16_e32 0, v3
	s_cbranch_execz .LBB243_1291
; %bb.1284:                             ;   in Loop: Header=BB243_16 Depth=1
	v_cmp_ne_u16_e64 s5, 0x80, v3
	v_bfrev_b32_e32 v3, 1
	v_mov_b32_e32 v4, 0
	buffer_store_dword v3, off, s[0:3], s32 offset:1524 ; 4-byte Folded Spill
	buffer_store_dword v4, off, s[0:3], s32 offset:1528 ; 4-byte Folded Spill
	s_and_saveexec_b32 s24, s5
	s_cbranch_execz .LBB243_1290
; %bb.1285:                             ;   in Loop: Header=BB243_16 Depth=1
	v_mov_b32_e32 v5, 0x7f800001
	v_bfe_u32 v4, v2, 16, 7
	v_mov_b32_e32 v6, 0
	s_mov_b32 s25, exec_lo
	buffer_store_dword v5, off, s[0:3], s32 offset:1524 ; 4-byte Folded Spill
	buffer_store_dword v6, off, s[0:3], s32 offset:1528 ; 4-byte Folded Spill
	v_cmpx_ne_u32_e32 0x7f, v4
	s_cbranch_execz .LBB243_1289
; %bb.1286:                             ;   in Loop: Header=BB243_16 Depth=1
	v_mov_b32_e32 v3, 7
	s_mov_b32 s26, exec_lo
	v_and_b32_sdwa v8, v2, v3 dst_sel:DWORD dst_unused:UNUSED_PAD src0_sel:WORD_1 src1_sel:DWORD
	v_lshrrev_b32_e32 v3, 3, v4
	v_cmpx_gt_u32_e32 8, v4
; %bb.1287:                             ;   in Loop: Header=BB243_16 Depth=1
	v_ffbh_u32_e32 v3, v8
	v_min_u32_e32 v3, 32, v3
	v_subrev_nc_u32_e32 v4, 28, v3
	v_sub_nc_u32_e32 v3, 29, v3
	v_lshlrev_b64 v[4:5], v4, v[8:9]
	v_and_b32_e32 v8, 7, v4
; %bb.1288:                             ;   in Loop: Header=BB243_16 Depth=1
	s_or_b32 exec_lo, exec_lo, s26
	v_mov_b32_e32 v4, 24
	v_lshlrev_b32_e32 v5, 20, v8
	v_lshl_add_u32 v3, v3, 23, 0x3c000000
	v_lshlrev_b32_sdwa v4, v4, v2 dst_sel:DWORD dst_unused:UNUSED_PAD src0_sel:DWORD src1_sel:WORD_1
	v_and_b32_e32 v4, 0x80000000, v4
	v_or3_b32 v8, v5, v4, v3
	buffer_store_dword v8, off, s[0:3], s32 offset:1524 ; 4-byte Folded Spill
	buffer_store_dword v9, off, s[0:3], s32 offset:1528 ; 4-byte Folded Spill
.LBB243_1289:                           ;   in Loop: Header=BB243_16 Depth=1
	s_or_b32 exec_lo, exec_lo, s25
.LBB243_1290:                           ;   in Loop: Header=BB243_16 Depth=1
	s_or_b32 exec_lo, exec_lo, s24
.LBB243_1291:                           ;   in Loop: Header=BB243_16 Depth=1
	s_or_b32 exec_lo, exec_lo, s23
	s_mov_b32 s23, exec_lo
	v_cmpx_lt_u32_e32 0xffffff, v2
	s_cbranch_execz .LBB243_1299
; %bb.1292:                             ;   in Loop: Header=BB243_16 Depth=1
	v_mov_b32_e32 v3, 0x80
	v_mov_b32_e32 v46, v9
	buffer_store_dword v46, off, s[0:3], s32 offset:1516 ; 4-byte Folded Spill
	buffer_store_dword v47, off, s[0:3], s32 offset:1520 ; 4-byte Folded Spill
	v_cmp_ne_u32_sdwa s5, v2, v3 src0_sel:BYTE_3 src1_sel:DWORD
	s_and_saveexec_b32 s24, s5
	s_cbranch_execz .LBB243_1298
; %bb.1293:                             ;   in Loop: Header=BB243_16 Depth=1
	s_clause 0x1
	buffer_load_dword v5, off, s[0:3], s32 offset:200
	buffer_load_dword v6, off, s[0:3], s32 offset:204
	v_bfe_u32 v4, v2, 24, 7
	s_waitcnt vmcnt(1)
	v_mov_b32_e32 v5, v9
	s_mov_b32 s25, exec_lo
	s_waitcnt vmcnt(0)
	v_mov_b32_e32 v3, v6
	buffer_store_dword v2, off, s[0:3], s32 offset:200 ; 4-byte Folded Spill
	buffer_store_dword v3, off, s[0:3], s32 offset:204 ; 4-byte Folded Spill
	;; [unrolled: 1-line block ×4, first 2 shown]
	v_cmpx_ne_u32_e32 0x7f, v4
	s_cbranch_execz .LBB243_1297
; %bb.1294:                             ;   in Loop: Header=BB243_16 Depth=1
	v_mov_b32_e32 v3, 7
	s_mov_b32 s26, exec_lo
	v_and_b32_sdwa v8, v2, v3 dst_sel:DWORD dst_unused:UNUSED_PAD src0_sel:BYTE_3 src1_sel:DWORD
	v_lshrrev_b32_e32 v3, 3, v4
	v_cmpx_gt_u32_e32 8, v4
; %bb.1295:                             ;   in Loop: Header=BB243_16 Depth=1
	v_ffbh_u32_e32 v3, v8
	v_min_u32_e32 v3, 32, v3
	v_subrev_nc_u32_e32 v4, 28, v3
	v_sub_nc_u32_e32 v3, 29, v3
	v_lshlrev_b64 v[4:5], v4, v[8:9]
	v_and_b32_e32 v8, 7, v4
; %bb.1296:                             ;   in Loop: Header=BB243_16 Depth=1
	s_or_b32 exec_lo, exec_lo, s26
	v_mov_b32_e32 v4, 24
	v_lshl_add_u32 v3, v3, 23, 0x3c000000
	v_lshlrev_b32_sdwa v2, v4, v2 dst_sel:DWORD dst_unused:UNUSED_PAD src0_sel:DWORD src1_sel:BYTE_3
	v_lshlrev_b32_e32 v4, 20, v8
	v_and_b32_e32 v2, 0x80000000, v2
	v_or3_b32 v3, v4, v2, v3
	v_mov_b32_e32 v2, v9
	buffer_store_dword v2, off, s[0:3], s32 offset:1516 ; 4-byte Folded Spill
	buffer_store_dword v3, off, s[0:3], s32 offset:1520 ; 4-byte Folded Spill
.LBB243_1297:                           ;   in Loop: Header=BB243_16 Depth=1
	s_or_b32 exec_lo, exec_lo, s25
.LBB243_1298:                           ;   in Loop: Header=BB243_16 Depth=1
	s_or_b32 exec_lo, exec_lo, s24
.LBB243_1299:                           ;   in Loop: Header=BB243_16 Depth=1
	s_or_b32 exec_lo, exec_lo, s23
	flat_load_dword v2, v[0:1] offset:1024
	v_mov_b32_e32 v3, 0
	v_mov_b32_e32 v4, 0
	buffer_store_dword v3, off, s[0:3], s32 offset:1540 ; 4-byte Folded Spill
	buffer_store_dword v4, off, s[0:3], s32 offset:1544 ; 4-byte Folded Spill
	v_mov_b32_e32 v3, 0
	v_mov_b32_e32 v4, 0
	buffer_store_dword v3, off, s[0:3], s32 offset:1532 ; 4-byte Folded Spill
	buffer_store_dword v4, off, s[0:3], s32 offset:1536 ; 4-byte Folded Spill
	s_waitcnt vmcnt(0) lgkmcnt(0)
	v_cmp_ne_u16_sdwa s5, v2, v9 src0_sel:BYTE_0 src1_sel:DWORD
	s_and_saveexec_b32 s23, s5
	s_cbranch_execz .LBB243_1307
; %bb.1300:                             ;   in Loop: Header=BB243_16 Depth=1
	v_bfrev_b32_e32 v3, 1
	v_mov_b32_e32 v4, 0
	buffer_store_dword v3, off, s[0:3], s32 offset:1532 ; 4-byte Folded Spill
	buffer_store_dword v4, off, s[0:3], s32 offset:1536 ; 4-byte Folded Spill
	v_mov_b32_e32 v3, 0x80
	v_cmp_ne_u16_sdwa s5, v2, v3 src0_sel:BYTE_0 src1_sel:DWORD
	s_and_saveexec_b32 s24, s5
	s_cbranch_execz .LBB243_1306
; %bb.1301:                             ;   in Loop: Header=BB243_16 Depth=1
	v_mov_b32_e32 v5, 0x7f800001
	v_and_b32_e32 v4, 0x7f, v2
	v_mov_b32_e32 v6, 0
	s_mov_b32 s25, exec_lo
	buffer_store_dword v5, off, s[0:3], s32 offset:1532 ; 4-byte Folded Spill
	buffer_store_dword v6, off, s[0:3], s32 offset:1536 ; 4-byte Folded Spill
	v_cmpx_ne_u32_e32 0x7f, v4
	s_cbranch_execz .LBB243_1305
; %bb.1302:                             ;   in Loop: Header=BB243_16 Depth=1
	v_and_b32_e32 v8, 7, v2
	v_lshrrev_b32_e32 v3, 3, v4
	s_mov_b32 s26, exec_lo
	v_cmpx_gt_u32_e32 8, v4
; %bb.1303:                             ;   in Loop: Header=BB243_16 Depth=1
	v_ffbh_u32_e32 v3, v8
	v_min_u32_e32 v3, 32, v3
	v_subrev_nc_u32_e32 v4, 28, v3
	v_sub_nc_u32_e32 v3, 29, v3
	v_lshlrev_b64 v[4:5], v4, v[8:9]
	v_and_b32_e32 v8, 7, v4
; %bb.1304:                             ;   in Loop: Header=BB243_16 Depth=1
	s_or_b32 exec_lo, exec_lo, s26
	v_lshlrev_b32_e32 v4, 24, v2
	v_lshlrev_b32_e32 v5, 20, v8
	v_lshl_add_u32 v3, v3, 23, 0x3c000000
	v_and_b32_e32 v4, 0x80000000, v4
	v_or3_b32 v8, v5, v4, v3
	buffer_store_dword v8, off, s[0:3], s32 offset:1532 ; 4-byte Folded Spill
	buffer_store_dword v9, off, s[0:3], s32 offset:1536 ; 4-byte Folded Spill
.LBB243_1305:                           ;   in Loop: Header=BB243_16 Depth=1
	s_or_b32 exec_lo, exec_lo, s25
.LBB243_1306:                           ;   in Loop: Header=BB243_16 Depth=1
	s_or_b32 exec_lo, exec_lo, s24
.LBB243_1307:                           ;   in Loop: Header=BB243_16 Depth=1
	s_or_b32 exec_lo, exec_lo, s23
	v_cmp_ne_u16_sdwa s5, v2, v9 src0_sel:BYTE_1 src1_sel:DWORD
	s_and_saveexec_b32 s23, s5
	s_cbranch_execz .LBB243_1315
; %bb.1308:                             ;   in Loop: Header=BB243_16 Depth=1
	v_mov_b32_e32 v3, 0x80
	v_mov_b32_e32 v46, v9
	buffer_store_dword v46, off, s[0:3], s32 offset:1540 ; 4-byte Folded Spill
	buffer_store_dword v47, off, s[0:3], s32 offset:1544 ; 4-byte Folded Spill
	v_cmp_ne_u16_sdwa s5, v2, v3 src0_sel:BYTE_1 src1_sel:DWORD
	s_and_saveexec_b32 s24, s5
	s_cbranch_execz .LBB243_1314
; %bb.1309:                             ;   in Loop: Header=BB243_16 Depth=1
	s_clause 0x1
	buffer_load_dword v5, off, s[0:3], s32 offset:200
	buffer_load_dword v6, off, s[0:3], s32 offset:204
	v_mov_b32_e32 v3, 0xffff
	s_mov_b32 s25, exec_lo
	v_and_b32_sdwa v3, v3, v2 dst_sel:DWORD dst_unused:UNUSED_PAD src0_sel:DWORD src1_sel:BYTE_1
	v_and_b32_e32 v4, 0x7f, v3
	s_waitcnt vmcnt(0)
	v_mov_b32_e32 v7, v6
	v_mov_b32_e32 v6, v9
	;; [unrolled: 1-line block ×3, first 2 shown]
	buffer_store_dword v4, off, s[0:3], s32 offset:200 ; 4-byte Folded Spill
	buffer_store_dword v5, off, s[0:3], s32 offset:204 ; 4-byte Folded Spill
	;; [unrolled: 1-line block ×4, first 2 shown]
	v_cmpx_ne_u32_e32 0x7f, v4
	s_cbranch_execz .LBB243_1313
; %bb.1310:                             ;   in Loop: Header=BB243_16 Depth=1
	v_and_b32_e32 v8, 7, v3
	v_lshrrev_b32_e32 v3, 3, v4
	s_mov_b32 s26, exec_lo
	v_cmpx_gt_u32_e32 8, v4
; %bb.1311:                             ;   in Loop: Header=BB243_16 Depth=1
	v_ffbh_u32_e32 v3, v8
	v_min_u32_e32 v3, 32, v3
	v_subrev_nc_u32_e32 v4, 28, v3
	v_sub_nc_u32_e32 v3, 29, v3
	v_lshlrev_b64 v[4:5], v4, v[8:9]
	v_and_b32_e32 v8, 7, v4
; %bb.1312:                             ;   in Loop: Header=BB243_16 Depth=1
	s_or_b32 exec_lo, exec_lo, s26
	v_lshlrev_b32_e32 v4, 16, v2
	v_lshlrev_b32_e32 v5, 20, v8
	v_lshl_add_u32 v3, v3, 23, 0x3c000000
	v_and_b32_e32 v4, 0x80000000, v4
	v_or3_b32 v4, v5, v4, v3
	v_mov_b32_e32 v3, v9
	buffer_store_dword v3, off, s[0:3], s32 offset:1540 ; 4-byte Folded Spill
	buffer_store_dword v4, off, s[0:3], s32 offset:1544 ; 4-byte Folded Spill
.LBB243_1313:                           ;   in Loop: Header=BB243_16 Depth=1
	s_or_b32 exec_lo, exec_lo, s25
.LBB243_1314:                           ;   in Loop: Header=BB243_16 Depth=1
	s_or_b32 exec_lo, exec_lo, s24
.LBB243_1315:                           ;   in Loop: Header=BB243_16 Depth=1
	s_or_b32 exec_lo, exec_lo, s23
	v_mov_b32_e32 v4, 0
	v_mov_b32_e32 v5, 0
	;; [unrolled: 1-line block ×3, first 2 shown]
	s_mov_b32 s23, exec_lo
	buffer_store_dword v4, off, s[0:3], s32 offset:1548 ; 4-byte Folded Spill
	buffer_store_dword v5, off, s[0:3], s32 offset:1552 ; 4-byte Folded Spill
	v_mov_b32_e32 v4, 0
	v_and_b32_sdwa v3, v2, v3 dst_sel:DWORD dst_unused:UNUSED_PAD src0_sel:WORD_1 src1_sel:DWORD
	v_mov_b32_e32 v5, 0
	buffer_store_dword v4, off, s[0:3], s32 offset:1556 ; 4-byte Folded Spill
	buffer_store_dword v5, off, s[0:3], s32 offset:1560 ; 4-byte Folded Spill
	v_cmpx_ne_u16_e32 0, v3
	s_cbranch_execz .LBB243_1323
; %bb.1316:                             ;   in Loop: Header=BB243_16 Depth=1
	v_cmp_ne_u16_e64 s5, 0x80, v3
	v_bfrev_b32_e32 v3, 1
	v_mov_b32_e32 v4, 0
	buffer_store_dword v3, off, s[0:3], s32 offset:1556 ; 4-byte Folded Spill
	buffer_store_dword v4, off, s[0:3], s32 offset:1560 ; 4-byte Folded Spill
	s_and_saveexec_b32 s24, s5
	s_cbranch_execz .LBB243_1322
; %bb.1317:                             ;   in Loop: Header=BB243_16 Depth=1
	v_mov_b32_e32 v5, 0x7f800001
	v_bfe_u32 v4, v2, 16, 7
	v_mov_b32_e32 v6, 0
	s_mov_b32 s25, exec_lo
	buffer_store_dword v5, off, s[0:3], s32 offset:1556 ; 4-byte Folded Spill
	buffer_store_dword v6, off, s[0:3], s32 offset:1560 ; 4-byte Folded Spill
	v_cmpx_ne_u32_e32 0x7f, v4
	s_cbranch_execz .LBB243_1321
; %bb.1318:                             ;   in Loop: Header=BB243_16 Depth=1
	v_mov_b32_e32 v3, 7
	s_mov_b32 s26, exec_lo
	v_and_b32_sdwa v8, v2, v3 dst_sel:DWORD dst_unused:UNUSED_PAD src0_sel:WORD_1 src1_sel:DWORD
	v_lshrrev_b32_e32 v3, 3, v4
	v_cmpx_gt_u32_e32 8, v4
; %bb.1319:                             ;   in Loop: Header=BB243_16 Depth=1
	v_ffbh_u32_e32 v3, v8
	v_min_u32_e32 v3, 32, v3
	v_subrev_nc_u32_e32 v4, 28, v3
	v_sub_nc_u32_e32 v3, 29, v3
	v_lshlrev_b64 v[4:5], v4, v[8:9]
	v_and_b32_e32 v8, 7, v4
; %bb.1320:                             ;   in Loop: Header=BB243_16 Depth=1
	s_or_b32 exec_lo, exec_lo, s26
	v_mov_b32_e32 v4, 24
	v_lshlrev_b32_e32 v5, 20, v8
	v_lshl_add_u32 v3, v3, 23, 0x3c000000
	v_lshlrev_b32_sdwa v4, v4, v2 dst_sel:DWORD dst_unused:UNUSED_PAD src0_sel:DWORD src1_sel:WORD_1
	v_and_b32_e32 v4, 0x80000000, v4
	v_or3_b32 v8, v5, v4, v3
	buffer_store_dword v8, off, s[0:3], s32 offset:1556 ; 4-byte Folded Spill
	buffer_store_dword v9, off, s[0:3], s32 offset:1560 ; 4-byte Folded Spill
.LBB243_1321:                           ;   in Loop: Header=BB243_16 Depth=1
	s_or_b32 exec_lo, exec_lo, s25
.LBB243_1322:                           ;   in Loop: Header=BB243_16 Depth=1
	s_or_b32 exec_lo, exec_lo, s24
.LBB243_1323:                           ;   in Loop: Header=BB243_16 Depth=1
	s_or_b32 exec_lo, exec_lo, s23
	s_mov_b32 s23, exec_lo
	v_cmpx_lt_u32_e32 0xffffff, v2
	s_cbranch_execz .LBB243_1331
; %bb.1324:                             ;   in Loop: Header=BB243_16 Depth=1
	v_mov_b32_e32 v3, 0x80
	v_mov_b32_e32 v46, v9
	buffer_store_dword v46, off, s[0:3], s32 offset:1548 ; 4-byte Folded Spill
	buffer_store_dword v47, off, s[0:3], s32 offset:1552 ; 4-byte Folded Spill
	v_cmp_ne_u32_sdwa s5, v2, v3 src0_sel:BYTE_3 src1_sel:DWORD
	s_and_saveexec_b32 s24, s5
	s_cbranch_execz .LBB243_1330
; %bb.1325:                             ;   in Loop: Header=BB243_16 Depth=1
	s_clause 0x1
	buffer_load_dword v5, off, s[0:3], s32 offset:200
	buffer_load_dword v6, off, s[0:3], s32 offset:204
	v_bfe_u32 v4, v2, 24, 7
	s_waitcnt vmcnt(1)
	v_mov_b32_e32 v5, v9
	s_mov_b32 s25, exec_lo
	s_waitcnt vmcnt(0)
	v_mov_b32_e32 v3, v6
	buffer_store_dword v2, off, s[0:3], s32 offset:200 ; 4-byte Folded Spill
	buffer_store_dword v3, off, s[0:3], s32 offset:204 ; 4-byte Folded Spill
	;; [unrolled: 1-line block ×4, first 2 shown]
	v_cmpx_ne_u32_e32 0x7f, v4
	s_cbranch_execz .LBB243_1329
; %bb.1326:                             ;   in Loop: Header=BB243_16 Depth=1
	v_mov_b32_e32 v3, 7
	s_mov_b32 s26, exec_lo
	v_and_b32_sdwa v8, v2, v3 dst_sel:DWORD dst_unused:UNUSED_PAD src0_sel:BYTE_3 src1_sel:DWORD
	v_lshrrev_b32_e32 v3, 3, v4
	v_cmpx_gt_u32_e32 8, v4
; %bb.1327:                             ;   in Loop: Header=BB243_16 Depth=1
	v_ffbh_u32_e32 v3, v8
	v_min_u32_e32 v3, 32, v3
	v_subrev_nc_u32_e32 v4, 28, v3
	v_sub_nc_u32_e32 v3, 29, v3
	v_lshlrev_b64 v[4:5], v4, v[8:9]
	v_and_b32_e32 v8, 7, v4
; %bb.1328:                             ;   in Loop: Header=BB243_16 Depth=1
	s_or_b32 exec_lo, exec_lo, s26
	v_mov_b32_e32 v4, 24
	v_lshl_add_u32 v3, v3, 23, 0x3c000000
	v_lshlrev_b32_sdwa v2, v4, v2 dst_sel:DWORD dst_unused:UNUSED_PAD src0_sel:DWORD src1_sel:BYTE_3
	v_lshlrev_b32_e32 v4, 20, v8
	v_and_b32_e32 v2, 0x80000000, v2
	v_or3_b32 v3, v4, v2, v3
	v_mov_b32_e32 v2, v9
	buffer_store_dword v2, off, s[0:3], s32 offset:1548 ; 4-byte Folded Spill
	buffer_store_dword v3, off, s[0:3], s32 offset:1552 ; 4-byte Folded Spill
.LBB243_1329:                           ;   in Loop: Header=BB243_16 Depth=1
	s_or_b32 exec_lo, exec_lo, s25
.LBB243_1330:                           ;   in Loop: Header=BB243_16 Depth=1
	s_or_b32 exec_lo, exec_lo, s24
.LBB243_1331:                           ;   in Loop: Header=BB243_16 Depth=1
	s_or_b32 exec_lo, exec_lo, s23
	flat_load_dword v4, v[0:1] offset:1028
	v_mov_b32_e32 v2, 0
	v_mov_b32_e32 v3, 0
	buffer_store_dword v2, off, s[0:3], s32 offset:1572 ; 4-byte Folded Spill
	buffer_store_dword v3, off, s[0:3], s32 offset:1576 ; 4-byte Folded Spill
	v_mov_b32_e32 v2, 0
	v_mov_b32_e32 v3, 0
	buffer_store_dword v2, off, s[0:3], s32 offset:1564 ; 4-byte Folded Spill
	buffer_store_dword v3, off, s[0:3], s32 offset:1568 ; 4-byte Folded Spill
	s_waitcnt vmcnt(0) lgkmcnt(0)
	v_cmp_ne_u16_sdwa s5, v4, v9 src0_sel:BYTE_0 src1_sel:DWORD
	s_and_saveexec_b32 s23, s5
	s_cbranch_execz .LBB243_1339
; %bb.1332:                             ;   in Loop: Header=BB243_16 Depth=1
	v_bfrev_b32_e32 v2, 1
	v_mov_b32_e32 v3, 0
	buffer_store_dword v2, off, s[0:3], s32 offset:1564 ; 4-byte Folded Spill
	buffer_store_dword v3, off, s[0:3], s32 offset:1568 ; 4-byte Folded Spill
	v_mov_b32_e32 v2, 0x80
	v_cmp_ne_u16_sdwa s5, v4, v2 src0_sel:BYTE_0 src1_sel:DWORD
	s_and_saveexec_b32 s24, s5
	s_cbranch_execz .LBB243_1338
; %bb.1333:                             ;   in Loop: Header=BB243_16 Depth=1
	v_mov_b32_e32 v5, 0x7f800001
	v_and_b32_e32 v3, 0x7f, v4
	v_mov_b32_e32 v6, 0
	s_mov_b32 s25, exec_lo
	buffer_store_dword v5, off, s[0:3], s32 offset:1564 ; 4-byte Folded Spill
	buffer_store_dword v6, off, s[0:3], s32 offset:1568 ; 4-byte Folded Spill
	v_cmpx_ne_u32_e32 0x7f, v3
	s_cbranch_execz .LBB243_1337
; %bb.1334:                             ;   in Loop: Header=BB243_16 Depth=1
	v_and_b32_e32 v8, 7, v4
	v_lshrrev_b32_e32 v2, 3, v3
	s_mov_b32 s26, exec_lo
	v_cmpx_gt_u32_e32 8, v3
; %bb.1335:                             ;   in Loop: Header=BB243_16 Depth=1
	v_ffbh_u32_e32 v2, v8
	v_min_u32_e32 v2, 32, v2
	v_subrev_nc_u32_e32 v3, 28, v2
	v_sub_nc_u32_e32 v2, 29, v2
	v_lshlrev_b64 v[5:6], v3, v[8:9]
	v_and_b32_e32 v8, 7, v5
; %bb.1336:                             ;   in Loop: Header=BB243_16 Depth=1
	s_or_b32 exec_lo, exec_lo, s26
	v_lshlrev_b32_e32 v3, 24, v4
	v_lshlrev_b32_e32 v5, 20, v8
	v_lshl_add_u32 v2, v2, 23, 0x3c000000
	v_and_b32_e32 v3, 0x80000000, v3
	v_or3_b32 v8, v5, v3, v2
	buffer_store_dword v8, off, s[0:3], s32 offset:1564 ; 4-byte Folded Spill
	buffer_store_dword v9, off, s[0:3], s32 offset:1568 ; 4-byte Folded Spill
.LBB243_1337:                           ;   in Loop: Header=BB243_16 Depth=1
	s_or_b32 exec_lo, exec_lo, s25
.LBB243_1338:                           ;   in Loop: Header=BB243_16 Depth=1
	s_or_b32 exec_lo, exec_lo, s24
.LBB243_1339:                           ;   in Loop: Header=BB243_16 Depth=1
	s_or_b32 exec_lo, exec_lo, s23
	v_cmp_ne_u16_sdwa s5, v4, v9 src0_sel:BYTE_1 src1_sel:DWORD
	s_and_saveexec_b32 s23, s5
	s_cbranch_execz .LBB243_1347
; %bb.1340:                             ;   in Loop: Header=BB243_16 Depth=1
	v_mov_b32_e32 v2, 0x80
	v_mov_b32_e32 v46, v9
	buffer_store_dword v46, off, s[0:3], s32 offset:1572 ; 4-byte Folded Spill
	buffer_store_dword v47, off, s[0:3], s32 offset:1576 ; 4-byte Folded Spill
	v_cmp_ne_u16_sdwa s5, v4, v2 src0_sel:BYTE_1 src1_sel:DWORD
	s_and_saveexec_b32 s24, s5
	s_cbranch_execz .LBB243_1346
; %bb.1341:                             ;   in Loop: Header=BB243_16 Depth=1
	s_clause 0x1
	buffer_load_dword v5, off, s[0:3], s32 offset:200
	buffer_load_dword v6, off, s[0:3], s32 offset:204
	v_mov_b32_e32 v2, 0xffff
	s_mov_b32 s25, exec_lo
	v_and_b32_sdwa v2, v2, v4 dst_sel:DWORD dst_unused:UNUSED_PAD src0_sel:DWORD src1_sel:BYTE_1
	v_and_b32_e32 v3, 0x7f, v2
	s_waitcnt vmcnt(0)
	v_mov_b32_e32 v7, v6
	v_mov_b32_e32 v6, v9
	;; [unrolled: 1-line block ×3, first 2 shown]
	buffer_store_dword v4, off, s[0:3], s32 offset:200 ; 4-byte Folded Spill
	buffer_store_dword v5, off, s[0:3], s32 offset:204 ; 4-byte Folded Spill
	;; [unrolled: 1-line block ×4, first 2 shown]
	v_cmpx_ne_u32_e32 0x7f, v3
	s_cbranch_execz .LBB243_1345
; %bb.1342:                             ;   in Loop: Header=BB243_16 Depth=1
	v_and_b32_e32 v8, 7, v2
	v_lshrrev_b32_e32 v2, 3, v3
	s_mov_b32 s26, exec_lo
	v_cmpx_gt_u32_e32 8, v3
; %bb.1343:                             ;   in Loop: Header=BB243_16 Depth=1
	v_ffbh_u32_e32 v2, v8
	v_min_u32_e32 v2, 32, v2
	v_subrev_nc_u32_e32 v3, 28, v2
	v_sub_nc_u32_e32 v2, 29, v2
	v_lshlrev_b64 v[5:6], v3, v[8:9]
	v_and_b32_e32 v8, 7, v5
; %bb.1344:                             ;   in Loop: Header=BB243_16 Depth=1
	s_or_b32 exec_lo, exec_lo, s26
	v_lshlrev_b32_e32 v3, 16, v4
	v_lshlrev_b32_e32 v5, 20, v8
	v_lshl_add_u32 v2, v2, 23, 0x3c000000
	v_and_b32_e32 v3, 0x80000000, v3
	v_or3_b32 v3, v5, v3, v2
	v_mov_b32_e32 v2, v9
	buffer_store_dword v2, off, s[0:3], s32 offset:1572 ; 4-byte Folded Spill
	buffer_store_dword v3, off, s[0:3], s32 offset:1576 ; 4-byte Folded Spill
.LBB243_1345:                           ;   in Loop: Header=BB243_16 Depth=1
	s_or_b32 exec_lo, exec_lo, s25
.LBB243_1346:                           ;   in Loop: Header=BB243_16 Depth=1
	s_or_b32 exec_lo, exec_lo, s24
.LBB243_1347:                           ;   in Loop: Header=BB243_16 Depth=1
	s_or_b32 exec_lo, exec_lo, s23
	v_mov_b32_e32 v5, 0
	v_mov_b32_e32 v6, 0
	;; [unrolled: 1-line block ×3, first 2 shown]
	s_mov_b32 s23, exec_lo
	buffer_store_dword v5, off, s[0:3], s32 offset:1580 ; 4-byte Folded Spill
	buffer_store_dword v6, off, s[0:3], s32 offset:1584 ; 4-byte Folded Spill
	v_mov_b32_e32 v5, 0
	v_and_b32_sdwa v2, v4, v2 dst_sel:DWORD dst_unused:UNUSED_PAD src0_sel:WORD_1 src1_sel:DWORD
	v_mov_b32_e32 v6, 0
	buffer_store_dword v5, off, s[0:3], s32 offset:1588 ; 4-byte Folded Spill
	buffer_store_dword v6, off, s[0:3], s32 offset:1592 ; 4-byte Folded Spill
	v_cmpx_ne_u16_e32 0, v2
	s_cbranch_execz .LBB243_1355
; %bb.1348:                             ;   in Loop: Header=BB243_16 Depth=1
	v_cmp_ne_u16_e64 s5, 0x80, v2
	v_bfrev_b32_e32 v2, 1
	v_mov_b32_e32 v3, 0
	buffer_store_dword v2, off, s[0:3], s32 offset:1588 ; 4-byte Folded Spill
	buffer_store_dword v3, off, s[0:3], s32 offset:1592 ; 4-byte Folded Spill
	s_and_saveexec_b32 s24, s5
	s_cbranch_execz .LBB243_1354
; %bb.1349:                             ;   in Loop: Header=BB243_16 Depth=1
	v_mov_b32_e32 v5, 0x7f800001
	v_bfe_u32 v3, v4, 16, 7
	v_mov_b32_e32 v6, 0
	s_mov_b32 s25, exec_lo
	buffer_store_dword v5, off, s[0:3], s32 offset:1588 ; 4-byte Folded Spill
	buffer_store_dword v6, off, s[0:3], s32 offset:1592 ; 4-byte Folded Spill
	v_cmpx_ne_u32_e32 0x7f, v3
	s_cbranch_execz .LBB243_1353
; %bb.1350:                             ;   in Loop: Header=BB243_16 Depth=1
	v_mov_b32_e32 v2, 7
	s_mov_b32 s26, exec_lo
	v_and_b32_sdwa v8, v4, v2 dst_sel:DWORD dst_unused:UNUSED_PAD src0_sel:WORD_1 src1_sel:DWORD
	v_lshrrev_b32_e32 v2, 3, v3
	v_cmpx_gt_u32_e32 8, v3
; %bb.1351:                             ;   in Loop: Header=BB243_16 Depth=1
	v_ffbh_u32_e32 v2, v8
	v_min_u32_e32 v2, 32, v2
	v_subrev_nc_u32_e32 v3, 28, v2
	v_sub_nc_u32_e32 v2, 29, v2
	v_lshlrev_b64 v[5:6], v3, v[8:9]
	v_and_b32_e32 v8, 7, v5
; %bb.1352:                             ;   in Loop: Header=BB243_16 Depth=1
	s_or_b32 exec_lo, exec_lo, s26
	v_mov_b32_e32 v3, 24
	v_lshlrev_b32_e32 v5, 20, v8
	v_lshl_add_u32 v2, v2, 23, 0x3c000000
	v_lshlrev_b32_sdwa v3, v3, v4 dst_sel:DWORD dst_unused:UNUSED_PAD src0_sel:DWORD src1_sel:WORD_1
	v_and_b32_e32 v3, 0x80000000, v3
	v_or3_b32 v8, v5, v3, v2
	buffer_store_dword v8, off, s[0:3], s32 offset:1588 ; 4-byte Folded Spill
	buffer_store_dword v9, off, s[0:3], s32 offset:1592 ; 4-byte Folded Spill
.LBB243_1353:                           ;   in Loop: Header=BB243_16 Depth=1
	s_or_b32 exec_lo, exec_lo, s25
.LBB243_1354:                           ;   in Loop: Header=BB243_16 Depth=1
	s_or_b32 exec_lo, exec_lo, s24
.LBB243_1355:                           ;   in Loop: Header=BB243_16 Depth=1
	s_or_b32 exec_lo, exec_lo, s23
	s_mov_b32 s23, exec_lo
	v_cmpx_lt_u32_e32 0xffffff, v4
	s_cbranch_execz .LBB243_1363
; %bb.1356:                             ;   in Loop: Header=BB243_16 Depth=1
	v_mov_b32_e32 v2, 0x80
	v_mov_b32_e32 v46, v9
	buffer_store_dword v46, off, s[0:3], s32 offset:1580 ; 4-byte Folded Spill
	buffer_store_dword v47, off, s[0:3], s32 offset:1584 ; 4-byte Folded Spill
	v_cmp_ne_u32_sdwa s5, v4, v2 src0_sel:BYTE_3 src1_sel:DWORD
	s_and_saveexec_b32 s24, s5
	s_cbranch_execz .LBB243_1362
; %bb.1357:                             ;   in Loop: Header=BB243_16 Depth=1
	s_clause 0x1
	buffer_load_dword v5, off, s[0:3], s32 offset:200
	buffer_load_dword v6, off, s[0:3], s32 offset:204
	v_bfe_u32 v2, v4, 24, 7
	s_waitcnt vmcnt(1)
	v_mov_b32_e32 v5, v9
	s_mov_b32 s25, exec_lo
	s_waitcnt vmcnt(0)
	v_mov_b32_e32 v3, v6
	buffer_store_dword v2, off, s[0:3], s32 offset:200 ; 4-byte Folded Spill
	buffer_store_dword v3, off, s[0:3], s32 offset:204 ; 4-byte Folded Spill
	;; [unrolled: 1-line block ×4, first 2 shown]
	v_cmpx_ne_u32_e32 0x7f, v2
	s_cbranch_execz .LBB243_1361
; %bb.1358:                             ;   in Loop: Header=BB243_16 Depth=1
	v_mov_b32_e32 v3, 7
	v_lshrrev_b32_e32 v5, 3, v2
	v_cmp_gt_u32_e64 s5, 8, v2
	v_and_b32_sdwa v8, v4, v3 dst_sel:DWORD dst_unused:UNUSED_PAD src0_sel:BYTE_3 src1_sel:DWORD
	v_mov_b32_e32 v2, v8
	v_mov_b32_e32 v3, v9
	s_and_saveexec_b32 s26, s5
; %bb.1359:                             ;   in Loop: Header=BB243_16 Depth=1
	v_ffbh_u32_e32 v2, v8
	v_min_u32_e32 v5, 32, v2
	v_subrev_nc_u32_e32 v2, 28, v5
	v_sub_nc_u32_e32 v5, 29, v5
	v_lshlrev_b64 v[2:3], v2, v[8:9]
	v_and_b32_e32 v2, 7, v2
; %bb.1360:                             ;   in Loop: Header=BB243_16 Depth=1
	s_or_b32 exec_lo, exec_lo, s26
	v_mov_b32_e32 v3, 24
	v_lshlrev_b32_e32 v2, 20, v2
	v_lshlrev_b32_sdwa v3, v3, v4 dst_sel:DWORD dst_unused:UNUSED_PAD src0_sel:DWORD src1_sel:BYTE_3
	v_lshl_add_u32 v4, v5, 23, 0x3c000000
	v_and_b32_e32 v3, 0x80000000, v3
	v_or3_b32 v3, v2, v3, v4
	v_mov_b32_e32 v2, v9
	buffer_store_dword v2, off, s[0:3], s32 offset:1580 ; 4-byte Folded Spill
	buffer_store_dword v3, off, s[0:3], s32 offset:1584 ; 4-byte Folded Spill
.LBB243_1361:                           ;   in Loop: Header=BB243_16 Depth=1
	s_or_b32 exec_lo, exec_lo, s25
.LBB243_1362:                           ;   in Loop: Header=BB243_16 Depth=1
	s_or_b32 exec_lo, exec_lo, s24
.LBB243_1363:                           ;   in Loop: Header=BB243_16 Depth=1
	s_or_b32 exec_lo, exec_lo, s23
	flat_load_dword v4, v[0:1] offset:1032
	v_mov_b32_e32 v2, 0
	v_mov_b32_e32 v3, 0
	buffer_store_dword v2, off, s[0:3], s32 offset:1604 ; 4-byte Folded Spill
	buffer_store_dword v3, off, s[0:3], s32 offset:1608 ; 4-byte Folded Spill
	v_mov_b32_e32 v2, 0
	v_mov_b32_e32 v3, 0
	buffer_store_dword v2, off, s[0:3], s32 offset:1596 ; 4-byte Folded Spill
	buffer_store_dword v3, off, s[0:3], s32 offset:1600 ; 4-byte Folded Spill
	s_waitcnt vmcnt(0) lgkmcnt(0)
	v_cmp_ne_u16_sdwa s5, v4, v9 src0_sel:BYTE_0 src1_sel:DWORD
	s_and_saveexec_b32 s23, s5
	s_cbranch_execz .LBB243_1371
; %bb.1364:                             ;   in Loop: Header=BB243_16 Depth=1
	v_bfrev_b32_e32 v2, 1
	v_mov_b32_e32 v3, 0
	buffer_store_dword v2, off, s[0:3], s32 offset:1596 ; 4-byte Folded Spill
	buffer_store_dword v3, off, s[0:3], s32 offset:1600 ; 4-byte Folded Spill
	v_mov_b32_e32 v2, 0x80
	v_cmp_ne_u16_sdwa s5, v4, v2 src0_sel:BYTE_0 src1_sel:DWORD
	s_and_saveexec_b32 s24, s5
	s_cbranch_execz .LBB243_1370
; %bb.1365:                             ;   in Loop: Header=BB243_16 Depth=1
	v_mov_b32_e32 v5, 0x7f800001
	v_and_b32_e32 v2, 0x7f, v4
	v_mov_b32_e32 v6, 0
	s_mov_b32 s25, exec_lo
	buffer_store_dword v5, off, s[0:3], s32 offset:1596 ; 4-byte Folded Spill
	buffer_store_dword v6, off, s[0:3], s32 offset:1600 ; 4-byte Folded Spill
	v_cmpx_ne_u32_e32 0x7f, v2
	s_cbranch_execz .LBB243_1369
; %bb.1366:                             ;   in Loop: Header=BB243_16 Depth=1
	v_and_b32_e32 v8, 7, v4
	v_lshrrev_b32_e32 v5, 3, v2
	v_cmp_gt_u32_e64 s5, 8, v2
	v_mov_b32_e32 v2, v8
	v_mov_b32_e32 v3, v9
	s_and_saveexec_b32 s26, s5
; %bb.1367:                             ;   in Loop: Header=BB243_16 Depth=1
	v_ffbh_u32_e32 v2, v8
	v_min_u32_e32 v5, 32, v2
	v_subrev_nc_u32_e32 v2, 28, v5
	v_sub_nc_u32_e32 v5, 29, v5
	v_lshlrev_b64 v[2:3], v2, v[8:9]
	v_and_b32_e32 v2, 7, v2
; %bb.1368:                             ;   in Loop: Header=BB243_16 Depth=1
	s_or_b32 exec_lo, exec_lo, s26
	v_lshlrev_b32_e32 v3, 24, v4
	v_lshlrev_b32_e32 v2, 20, v2
	v_lshl_add_u32 v5, v5, 23, 0x3c000000
	v_and_b32_e32 v3, 0x80000000, v3
	v_or3_b32 v8, v2, v3, v5
	buffer_store_dword v8, off, s[0:3], s32 offset:1596 ; 4-byte Folded Spill
	buffer_store_dword v9, off, s[0:3], s32 offset:1600 ; 4-byte Folded Spill
.LBB243_1369:                           ;   in Loop: Header=BB243_16 Depth=1
	s_or_b32 exec_lo, exec_lo, s25
.LBB243_1370:                           ;   in Loop: Header=BB243_16 Depth=1
	s_or_b32 exec_lo, exec_lo, s24
.LBB243_1371:                           ;   in Loop: Header=BB243_16 Depth=1
	s_or_b32 exec_lo, exec_lo, s23
	v_cmp_ne_u16_sdwa s5, v4, v9 src0_sel:BYTE_1 src1_sel:DWORD
	s_and_saveexec_b32 s23, s5
	s_cbranch_execz .LBB243_1379
; %bb.1372:                             ;   in Loop: Header=BB243_16 Depth=1
	v_mov_b32_e32 v2, 0x80
	v_mov_b32_e32 v46, v9
	buffer_store_dword v46, off, s[0:3], s32 offset:1604 ; 4-byte Folded Spill
	buffer_store_dword v47, off, s[0:3], s32 offset:1608 ; 4-byte Folded Spill
	v_cmp_ne_u16_sdwa s5, v4, v2 src0_sel:BYTE_1 src1_sel:DWORD
	s_and_saveexec_b32 s24, s5
	s_cbranch_execz .LBB243_1378
; %bb.1373:                             ;   in Loop: Header=BB243_16 Depth=1
	s_clause 0x1
	buffer_load_dword v5, off, s[0:3], s32 offset:200
	buffer_load_dword v6, off, s[0:3], s32 offset:204
	v_mov_b32_e32 v2, 0xffff
	s_mov_b32 s25, exec_lo
	v_and_b32_sdwa v3, v2, v4 dst_sel:DWORD dst_unused:UNUSED_PAD src0_sel:DWORD src1_sel:BYTE_1
	v_and_b32_e32 v2, 0x7f, v3
	s_waitcnt vmcnt(0)
	v_mov_b32_e32 v7, v6
	v_mov_b32_e32 v6, v9
	;; [unrolled: 1-line block ×3, first 2 shown]
	buffer_store_dword v4, off, s[0:3], s32 offset:200 ; 4-byte Folded Spill
	buffer_store_dword v5, off, s[0:3], s32 offset:204 ; 4-byte Folded Spill
	;; [unrolled: 1-line block ×4, first 2 shown]
	v_cmpx_ne_u32_e32 0x7f, v2
	s_cbranch_execz .LBB243_1377
; %bb.1374:                             ;   in Loop: Header=BB243_16 Depth=1
	v_and_b32_e32 v8, 7, v3
	v_lshrrev_b32_e32 v5, 3, v2
	v_cmp_gt_u32_e64 s5, 8, v2
	v_mov_b32_e32 v2, v8
	v_mov_b32_e32 v3, v9
	s_and_saveexec_b32 s26, s5
; %bb.1375:                             ;   in Loop: Header=BB243_16 Depth=1
	v_ffbh_u32_e32 v2, v8
	v_min_u32_e32 v5, 32, v2
	v_subrev_nc_u32_e32 v2, 28, v5
	v_sub_nc_u32_e32 v5, 29, v5
	v_lshlrev_b64 v[2:3], v2, v[8:9]
	v_and_b32_e32 v2, 7, v2
; %bb.1376:                             ;   in Loop: Header=BB243_16 Depth=1
	s_or_b32 exec_lo, exec_lo, s26
	v_lshlrev_b32_e32 v3, 16, v4
	v_lshlrev_b32_e32 v2, 20, v2
	v_lshl_add_u32 v5, v5, 23, 0x3c000000
	v_and_b32_e32 v3, 0x80000000, v3
	v_or3_b32 v3, v2, v3, v5
	v_mov_b32_e32 v2, v9
	buffer_store_dword v2, off, s[0:3], s32 offset:1604 ; 4-byte Folded Spill
	buffer_store_dword v3, off, s[0:3], s32 offset:1608 ; 4-byte Folded Spill
.LBB243_1377:                           ;   in Loop: Header=BB243_16 Depth=1
	s_or_b32 exec_lo, exec_lo, s25
.LBB243_1378:                           ;   in Loop: Header=BB243_16 Depth=1
	s_or_b32 exec_lo, exec_lo, s24
.LBB243_1379:                           ;   in Loop: Header=BB243_16 Depth=1
	s_or_b32 exec_lo, exec_lo, s23
	v_mov_b32_e32 v5, 0
	v_mov_b32_e32 v6, 0
	;; [unrolled: 1-line block ×3, first 2 shown]
	s_mov_b32 s23, exec_lo
	buffer_store_dword v5, off, s[0:3], s32 offset:1612 ; 4-byte Folded Spill
	buffer_store_dword v6, off, s[0:3], s32 offset:1616 ; 4-byte Folded Spill
	v_mov_b32_e32 v5, 0
	v_and_b32_sdwa v2, v4, v2 dst_sel:DWORD dst_unused:UNUSED_PAD src0_sel:WORD_1 src1_sel:DWORD
	v_mov_b32_e32 v6, 0
	buffer_store_dword v5, off, s[0:3], s32 offset:1620 ; 4-byte Folded Spill
	buffer_store_dword v6, off, s[0:3], s32 offset:1624 ; 4-byte Folded Spill
	v_cmpx_ne_u16_e32 0, v2
	s_cbranch_execz .LBB243_1387
; %bb.1380:                             ;   in Loop: Header=BB243_16 Depth=1
	v_cmp_ne_u16_e64 s5, 0x80, v2
	v_bfrev_b32_e32 v2, 1
	v_mov_b32_e32 v3, 0
	buffer_store_dword v2, off, s[0:3], s32 offset:1620 ; 4-byte Folded Spill
	buffer_store_dword v3, off, s[0:3], s32 offset:1624 ; 4-byte Folded Spill
	s_and_saveexec_b32 s24, s5
	s_cbranch_execz .LBB243_1386
; %bb.1381:                             ;   in Loop: Header=BB243_16 Depth=1
	v_mov_b32_e32 v5, 0x7f800001
	v_bfe_u32 v2, v4, 16, 7
	v_mov_b32_e32 v6, 0
	s_mov_b32 s25, exec_lo
	buffer_store_dword v5, off, s[0:3], s32 offset:1620 ; 4-byte Folded Spill
	buffer_store_dword v6, off, s[0:3], s32 offset:1624 ; 4-byte Folded Spill
	v_cmpx_ne_u32_e32 0x7f, v2
	s_cbranch_execz .LBB243_1385
; %bb.1382:                             ;   in Loop: Header=BB243_16 Depth=1
	v_mov_b32_e32 v3, 7
	v_lshrrev_b32_e32 v5, 3, v2
	v_cmp_gt_u32_e64 s5, 8, v2
	v_and_b32_sdwa v8, v4, v3 dst_sel:DWORD dst_unused:UNUSED_PAD src0_sel:WORD_1 src1_sel:DWORD
	v_mov_b32_e32 v2, v8
	v_mov_b32_e32 v3, v9
	s_and_saveexec_b32 s26, s5
; %bb.1383:                             ;   in Loop: Header=BB243_16 Depth=1
	v_ffbh_u32_e32 v2, v8
	v_min_u32_e32 v5, 32, v2
	v_subrev_nc_u32_e32 v2, 28, v5
	v_sub_nc_u32_e32 v5, 29, v5
	v_lshlrev_b64 v[2:3], v2, v[8:9]
	v_and_b32_e32 v2, 7, v2
; %bb.1384:                             ;   in Loop: Header=BB243_16 Depth=1
	s_or_b32 exec_lo, exec_lo, s26
	v_mov_b32_e32 v3, 24
	v_lshlrev_b32_e32 v2, 20, v2
	v_lshl_add_u32 v5, v5, 23, 0x3c000000
	v_lshlrev_b32_sdwa v3, v3, v4 dst_sel:DWORD dst_unused:UNUSED_PAD src0_sel:DWORD src1_sel:WORD_1
	v_and_b32_e32 v3, 0x80000000, v3
	v_or3_b32 v8, v2, v3, v5
	buffer_store_dword v8, off, s[0:3], s32 offset:1620 ; 4-byte Folded Spill
	buffer_store_dword v9, off, s[0:3], s32 offset:1624 ; 4-byte Folded Spill
.LBB243_1385:                           ;   in Loop: Header=BB243_16 Depth=1
	s_or_b32 exec_lo, exec_lo, s25
.LBB243_1386:                           ;   in Loop: Header=BB243_16 Depth=1
	s_or_b32 exec_lo, exec_lo, s24
.LBB243_1387:                           ;   in Loop: Header=BB243_16 Depth=1
	s_or_b32 exec_lo, exec_lo, s23
	s_mov_b32 s23, exec_lo
	v_cmpx_lt_u32_e32 0xffffff, v4
	s_cbranch_execz .LBB243_1395
; %bb.1388:                             ;   in Loop: Header=BB243_16 Depth=1
	v_mov_b32_e32 v2, 0x80
	v_mov_b32_e32 v46, v9
	buffer_store_dword v46, off, s[0:3], s32 offset:1612 ; 4-byte Folded Spill
	buffer_store_dword v47, off, s[0:3], s32 offset:1616 ; 4-byte Folded Spill
	v_cmp_ne_u32_sdwa s5, v4, v2 src0_sel:BYTE_3 src1_sel:DWORD
	s_and_saveexec_b32 s24, s5
	s_cbranch_execz .LBB243_1394
; %bb.1389:                             ;   in Loop: Header=BB243_16 Depth=1
	s_clause 0x1
	buffer_load_dword v5, off, s[0:3], s32 offset:200
	buffer_load_dword v6, off, s[0:3], s32 offset:204
	v_bfe_u32 v2, v4, 24, 7
	s_waitcnt vmcnt(1)
	v_mov_b32_e32 v5, v9
	s_mov_b32 s25, exec_lo
	s_waitcnt vmcnt(0)
	v_mov_b32_e32 v3, v6
	buffer_store_dword v2, off, s[0:3], s32 offset:200 ; 4-byte Folded Spill
	buffer_store_dword v3, off, s[0:3], s32 offset:204 ; 4-byte Folded Spill
	;; [unrolled: 1-line block ×4, first 2 shown]
	v_cmpx_ne_u32_e32 0x7f, v2
	s_cbranch_execz .LBB243_1393
; %bb.1390:                             ;   in Loop: Header=BB243_16 Depth=1
	v_mov_b32_e32 v3, 7
	v_lshrrev_b32_e32 v5, 3, v2
	v_cmp_gt_u32_e64 s5, 8, v2
	v_and_b32_sdwa v8, v4, v3 dst_sel:DWORD dst_unused:UNUSED_PAD src0_sel:BYTE_3 src1_sel:DWORD
	v_mov_b32_e32 v2, v8
	v_mov_b32_e32 v3, v9
	s_and_saveexec_b32 s26, s5
; %bb.1391:                             ;   in Loop: Header=BB243_16 Depth=1
	v_ffbh_u32_e32 v2, v8
	v_min_u32_e32 v5, 32, v2
	v_subrev_nc_u32_e32 v2, 28, v5
	v_sub_nc_u32_e32 v5, 29, v5
	v_lshlrev_b64 v[2:3], v2, v[8:9]
	v_and_b32_e32 v2, 7, v2
; %bb.1392:                             ;   in Loop: Header=BB243_16 Depth=1
	s_or_b32 exec_lo, exec_lo, s26
	v_mov_b32_e32 v3, 24
	v_lshlrev_b32_e32 v2, 20, v2
	v_lshlrev_b32_sdwa v3, v3, v4 dst_sel:DWORD dst_unused:UNUSED_PAD src0_sel:DWORD src1_sel:BYTE_3
	v_lshl_add_u32 v4, v5, 23, 0x3c000000
	v_and_b32_e32 v3, 0x80000000, v3
	v_or3_b32 v3, v2, v3, v4
	v_mov_b32_e32 v2, v9
	buffer_store_dword v2, off, s[0:3], s32 offset:1612 ; 4-byte Folded Spill
	buffer_store_dword v3, off, s[0:3], s32 offset:1616 ; 4-byte Folded Spill
.LBB243_1393:                           ;   in Loop: Header=BB243_16 Depth=1
	s_or_b32 exec_lo, exec_lo, s25
.LBB243_1394:                           ;   in Loop: Header=BB243_16 Depth=1
	s_or_b32 exec_lo, exec_lo, s24
.LBB243_1395:                           ;   in Loop: Header=BB243_16 Depth=1
	s_or_b32 exec_lo, exec_lo, s23
	flat_load_dword v4, v[0:1] offset:1036
	v_mov_b32_e32 v2, 0
	v_mov_b32_e32 v3, 0
	buffer_store_dword v2, off, s[0:3], s32 offset:1636 ; 4-byte Folded Spill
	buffer_store_dword v3, off, s[0:3], s32 offset:1640 ; 4-byte Folded Spill
	v_mov_b32_e32 v2, 0
	v_mov_b32_e32 v3, 0
	buffer_store_dword v2, off, s[0:3], s32 offset:1628 ; 4-byte Folded Spill
	buffer_store_dword v3, off, s[0:3], s32 offset:1632 ; 4-byte Folded Spill
	s_waitcnt vmcnt(0) lgkmcnt(0)
	v_cmp_ne_u16_sdwa s5, v4, v9 src0_sel:BYTE_0 src1_sel:DWORD
	s_and_saveexec_b32 s23, s5
	s_cbranch_execz .LBB243_1403
; %bb.1396:                             ;   in Loop: Header=BB243_16 Depth=1
	v_bfrev_b32_e32 v2, 1
	v_mov_b32_e32 v3, 0
	buffer_store_dword v2, off, s[0:3], s32 offset:1628 ; 4-byte Folded Spill
	buffer_store_dword v3, off, s[0:3], s32 offset:1632 ; 4-byte Folded Spill
	v_mov_b32_e32 v2, 0x80
	v_cmp_ne_u16_sdwa s5, v4, v2 src0_sel:BYTE_0 src1_sel:DWORD
	s_and_saveexec_b32 s24, s5
	s_cbranch_execz .LBB243_1402
; %bb.1397:                             ;   in Loop: Header=BB243_16 Depth=1
	v_mov_b32_e32 v5, 0x7f800001
	v_and_b32_e32 v2, 0x7f, v4
	v_mov_b32_e32 v6, 0
	s_mov_b32 s25, exec_lo
	buffer_store_dword v5, off, s[0:3], s32 offset:1628 ; 4-byte Folded Spill
	buffer_store_dword v6, off, s[0:3], s32 offset:1632 ; 4-byte Folded Spill
	v_cmpx_ne_u32_e32 0x7f, v2
	s_cbranch_execz .LBB243_1401
; %bb.1398:                             ;   in Loop: Header=BB243_16 Depth=1
	v_and_b32_e32 v8, 7, v4
	v_lshrrev_b32_e32 v5, 3, v2
	v_cmp_gt_u32_e64 s5, 8, v2
	v_mov_b32_e32 v2, v8
	v_mov_b32_e32 v3, v9
	s_and_saveexec_b32 s26, s5
; %bb.1399:                             ;   in Loop: Header=BB243_16 Depth=1
	v_ffbh_u32_e32 v2, v8
	v_min_u32_e32 v5, 32, v2
	v_subrev_nc_u32_e32 v2, 28, v5
	v_sub_nc_u32_e32 v5, 29, v5
	v_lshlrev_b64 v[2:3], v2, v[8:9]
	v_and_b32_e32 v2, 7, v2
; %bb.1400:                             ;   in Loop: Header=BB243_16 Depth=1
	s_or_b32 exec_lo, exec_lo, s26
	v_lshlrev_b32_e32 v3, 24, v4
	v_lshlrev_b32_e32 v2, 20, v2
	v_lshl_add_u32 v5, v5, 23, 0x3c000000
	v_and_b32_e32 v3, 0x80000000, v3
	v_or3_b32 v8, v2, v3, v5
	buffer_store_dword v8, off, s[0:3], s32 offset:1628 ; 4-byte Folded Spill
	buffer_store_dword v9, off, s[0:3], s32 offset:1632 ; 4-byte Folded Spill
.LBB243_1401:                           ;   in Loop: Header=BB243_16 Depth=1
	s_or_b32 exec_lo, exec_lo, s25
.LBB243_1402:                           ;   in Loop: Header=BB243_16 Depth=1
	s_or_b32 exec_lo, exec_lo, s24
.LBB243_1403:                           ;   in Loop: Header=BB243_16 Depth=1
	s_or_b32 exec_lo, exec_lo, s23
	v_cmp_ne_u16_sdwa s5, v4, v9 src0_sel:BYTE_1 src1_sel:DWORD
	s_and_saveexec_b32 s23, s5
	s_cbranch_execz .LBB243_1411
; %bb.1404:                             ;   in Loop: Header=BB243_16 Depth=1
	v_mov_b32_e32 v2, 0x80
	v_mov_b32_e32 v46, v9
	buffer_store_dword v46, off, s[0:3], s32 offset:1636 ; 4-byte Folded Spill
	buffer_store_dword v47, off, s[0:3], s32 offset:1640 ; 4-byte Folded Spill
	v_cmp_ne_u16_sdwa s5, v4, v2 src0_sel:BYTE_1 src1_sel:DWORD
	s_and_saveexec_b32 s24, s5
	s_cbranch_execz .LBB243_1410
; %bb.1405:                             ;   in Loop: Header=BB243_16 Depth=1
	s_clause 0x1
	buffer_load_dword v5, off, s[0:3], s32 offset:200
	buffer_load_dword v6, off, s[0:3], s32 offset:204
	v_mov_b32_e32 v2, 0xffff
	s_mov_b32 s25, exec_lo
	v_and_b32_sdwa v3, v2, v4 dst_sel:DWORD dst_unused:UNUSED_PAD src0_sel:DWORD src1_sel:BYTE_1
	v_and_b32_e32 v2, 0x7f, v3
	s_waitcnt vmcnt(0)
	v_mov_b32_e32 v7, v6
	v_mov_b32_e32 v6, v9
	;; [unrolled: 1-line block ×3, first 2 shown]
	buffer_store_dword v4, off, s[0:3], s32 offset:200 ; 4-byte Folded Spill
	buffer_store_dword v5, off, s[0:3], s32 offset:204 ; 4-byte Folded Spill
	;; [unrolled: 1-line block ×4, first 2 shown]
	v_cmpx_ne_u32_e32 0x7f, v2
	s_cbranch_execz .LBB243_1409
; %bb.1406:                             ;   in Loop: Header=BB243_16 Depth=1
	v_and_b32_e32 v8, 7, v3
	v_lshrrev_b32_e32 v5, 3, v2
	v_cmp_gt_u32_e64 s5, 8, v2
	v_mov_b32_e32 v2, v8
	v_mov_b32_e32 v3, v9
	s_and_saveexec_b32 s26, s5
; %bb.1407:                             ;   in Loop: Header=BB243_16 Depth=1
	v_ffbh_u32_e32 v2, v8
	v_min_u32_e32 v5, 32, v2
	v_subrev_nc_u32_e32 v2, 28, v5
	v_sub_nc_u32_e32 v5, 29, v5
	v_lshlrev_b64 v[2:3], v2, v[8:9]
	v_and_b32_e32 v2, 7, v2
; %bb.1408:                             ;   in Loop: Header=BB243_16 Depth=1
	s_or_b32 exec_lo, exec_lo, s26
	v_lshlrev_b32_e32 v3, 16, v4
	v_lshlrev_b32_e32 v2, 20, v2
	v_lshl_add_u32 v5, v5, 23, 0x3c000000
	v_and_b32_e32 v3, 0x80000000, v3
	v_or3_b32 v3, v2, v3, v5
	v_mov_b32_e32 v2, v9
	buffer_store_dword v2, off, s[0:3], s32 offset:1636 ; 4-byte Folded Spill
	buffer_store_dword v3, off, s[0:3], s32 offset:1640 ; 4-byte Folded Spill
.LBB243_1409:                           ;   in Loop: Header=BB243_16 Depth=1
	s_or_b32 exec_lo, exec_lo, s25
.LBB243_1410:                           ;   in Loop: Header=BB243_16 Depth=1
	s_or_b32 exec_lo, exec_lo, s24
.LBB243_1411:                           ;   in Loop: Header=BB243_16 Depth=1
	s_or_b32 exec_lo, exec_lo, s23
	v_mov_b32_e32 v5, 0
	v_mov_b32_e32 v6, 0
	v_mov_b32_e32 v2, 0xff
	s_mov_b32 s23, exec_lo
	buffer_store_dword v5, off, s[0:3], s32 offset:1644 ; 4-byte Folded Spill
	buffer_store_dword v6, off, s[0:3], s32 offset:1648 ; 4-byte Folded Spill
	v_mov_b32_e32 v5, 0
	v_and_b32_sdwa v2, v4, v2 dst_sel:DWORD dst_unused:UNUSED_PAD src0_sel:WORD_1 src1_sel:DWORD
	v_mov_b32_e32 v6, 0
	buffer_store_dword v5, off, s[0:3], s32 offset:1652 ; 4-byte Folded Spill
	buffer_store_dword v6, off, s[0:3], s32 offset:1656 ; 4-byte Folded Spill
	v_cmpx_ne_u16_e32 0, v2
	s_cbranch_execz .LBB243_1419
; %bb.1412:                             ;   in Loop: Header=BB243_16 Depth=1
	v_cmp_ne_u16_e64 s5, 0x80, v2
	v_bfrev_b32_e32 v2, 1
	v_mov_b32_e32 v3, 0
	buffer_store_dword v2, off, s[0:3], s32 offset:1652 ; 4-byte Folded Spill
	buffer_store_dword v3, off, s[0:3], s32 offset:1656 ; 4-byte Folded Spill
	s_and_saveexec_b32 s24, s5
	s_cbranch_execz .LBB243_1418
; %bb.1413:                             ;   in Loop: Header=BB243_16 Depth=1
	v_mov_b32_e32 v5, 0x7f800001
	v_bfe_u32 v2, v4, 16, 7
	v_mov_b32_e32 v6, 0
	s_mov_b32 s25, exec_lo
	buffer_store_dword v5, off, s[0:3], s32 offset:1652 ; 4-byte Folded Spill
	buffer_store_dword v6, off, s[0:3], s32 offset:1656 ; 4-byte Folded Spill
	v_cmpx_ne_u32_e32 0x7f, v2
	s_cbranch_execz .LBB243_1417
; %bb.1414:                             ;   in Loop: Header=BB243_16 Depth=1
	v_mov_b32_e32 v3, 7
	v_lshrrev_b32_e32 v5, 3, v2
	v_cmp_gt_u32_e64 s5, 8, v2
	v_and_b32_sdwa v8, v4, v3 dst_sel:DWORD dst_unused:UNUSED_PAD src0_sel:WORD_1 src1_sel:DWORD
	v_mov_b32_e32 v2, v8
	v_mov_b32_e32 v3, v9
	s_and_saveexec_b32 s26, s5
; %bb.1415:                             ;   in Loop: Header=BB243_16 Depth=1
	v_ffbh_u32_e32 v2, v8
	v_min_u32_e32 v5, 32, v2
	v_subrev_nc_u32_e32 v2, 28, v5
	v_sub_nc_u32_e32 v5, 29, v5
	v_lshlrev_b64 v[2:3], v2, v[8:9]
	v_and_b32_e32 v2, 7, v2
; %bb.1416:                             ;   in Loop: Header=BB243_16 Depth=1
	s_or_b32 exec_lo, exec_lo, s26
	v_mov_b32_e32 v3, 24
	v_lshlrev_b32_e32 v2, 20, v2
	v_lshl_add_u32 v5, v5, 23, 0x3c000000
	v_lshlrev_b32_sdwa v3, v3, v4 dst_sel:DWORD dst_unused:UNUSED_PAD src0_sel:DWORD src1_sel:WORD_1
	v_and_b32_e32 v3, 0x80000000, v3
	v_or3_b32 v8, v2, v3, v5
	buffer_store_dword v8, off, s[0:3], s32 offset:1652 ; 4-byte Folded Spill
	buffer_store_dword v9, off, s[0:3], s32 offset:1656 ; 4-byte Folded Spill
.LBB243_1417:                           ;   in Loop: Header=BB243_16 Depth=1
	s_or_b32 exec_lo, exec_lo, s25
.LBB243_1418:                           ;   in Loop: Header=BB243_16 Depth=1
	s_or_b32 exec_lo, exec_lo, s24
.LBB243_1419:                           ;   in Loop: Header=BB243_16 Depth=1
	s_or_b32 exec_lo, exec_lo, s23
	s_mov_b32 s23, exec_lo
	v_cmpx_lt_u32_e32 0xffffff, v4
	s_cbranch_execz .LBB243_1427
; %bb.1420:                             ;   in Loop: Header=BB243_16 Depth=1
	v_mov_b32_e32 v2, 0x80
	v_mov_b32_e32 v46, v9
	buffer_store_dword v46, off, s[0:3], s32 offset:1644 ; 4-byte Folded Spill
	buffer_store_dword v47, off, s[0:3], s32 offset:1648 ; 4-byte Folded Spill
	v_cmp_ne_u32_sdwa s5, v4, v2 src0_sel:BYTE_3 src1_sel:DWORD
	s_and_saveexec_b32 s24, s5
	s_cbranch_execz .LBB243_1426
; %bb.1421:                             ;   in Loop: Header=BB243_16 Depth=1
	s_clause 0x1
	buffer_load_dword v5, off, s[0:3], s32 offset:200
	buffer_load_dword v6, off, s[0:3], s32 offset:204
	v_bfe_u32 v2, v4, 24, 7
	s_waitcnt vmcnt(1)
	v_mov_b32_e32 v5, v9
	s_mov_b32 s25, exec_lo
	s_waitcnt vmcnt(0)
	v_mov_b32_e32 v3, v6
	buffer_store_dword v2, off, s[0:3], s32 offset:200 ; 4-byte Folded Spill
	buffer_store_dword v3, off, s[0:3], s32 offset:204 ; 4-byte Folded Spill
	;; [unrolled: 1-line block ×4, first 2 shown]
	v_cmpx_ne_u32_e32 0x7f, v2
	s_cbranch_execz .LBB243_1425
; %bb.1422:                             ;   in Loop: Header=BB243_16 Depth=1
	v_mov_b32_e32 v3, 7
	v_lshrrev_b32_e32 v5, 3, v2
	v_cmp_gt_u32_e64 s5, 8, v2
	v_and_b32_sdwa v8, v4, v3 dst_sel:DWORD dst_unused:UNUSED_PAD src0_sel:BYTE_3 src1_sel:DWORD
	v_mov_b32_e32 v2, v8
	v_mov_b32_e32 v3, v9
	s_and_saveexec_b32 s26, s5
; %bb.1423:                             ;   in Loop: Header=BB243_16 Depth=1
	v_ffbh_u32_e32 v2, v8
	v_min_u32_e32 v5, 32, v2
	v_subrev_nc_u32_e32 v2, 28, v5
	v_sub_nc_u32_e32 v5, 29, v5
	v_lshlrev_b64 v[2:3], v2, v[8:9]
	v_and_b32_e32 v2, 7, v2
; %bb.1424:                             ;   in Loop: Header=BB243_16 Depth=1
	s_or_b32 exec_lo, exec_lo, s26
	v_mov_b32_e32 v3, 24
	v_lshlrev_b32_e32 v2, 20, v2
	v_lshlrev_b32_sdwa v3, v3, v4 dst_sel:DWORD dst_unused:UNUSED_PAD src0_sel:DWORD src1_sel:BYTE_3
	v_lshl_add_u32 v4, v5, 23, 0x3c000000
	v_and_b32_e32 v3, 0x80000000, v3
	v_or3_b32 v3, v2, v3, v4
	v_mov_b32_e32 v2, v9
	buffer_store_dword v2, off, s[0:3], s32 offset:1644 ; 4-byte Folded Spill
	buffer_store_dword v3, off, s[0:3], s32 offset:1648 ; 4-byte Folded Spill
.LBB243_1425:                           ;   in Loop: Header=BB243_16 Depth=1
	s_or_b32 exec_lo, exec_lo, s25
.LBB243_1426:                           ;   in Loop: Header=BB243_16 Depth=1
	s_or_b32 exec_lo, exec_lo, s24
.LBB243_1427:                           ;   in Loop: Header=BB243_16 Depth=1
	s_or_b32 exec_lo, exec_lo, s23
	flat_load_dword v4, v[0:1] offset:1536
	v_mov_b32_e32 v2, 0
	v_mov_b32_e32 v3, 0
	buffer_store_dword v2, off, s[0:3], s32 offset:1668 ; 4-byte Folded Spill
	buffer_store_dword v3, off, s[0:3], s32 offset:1672 ; 4-byte Folded Spill
	v_mov_b32_e32 v2, 0
	v_mov_b32_e32 v3, 0
	buffer_store_dword v2, off, s[0:3], s32 offset:1660 ; 4-byte Folded Spill
	buffer_store_dword v3, off, s[0:3], s32 offset:1664 ; 4-byte Folded Spill
	s_waitcnt vmcnt(0) lgkmcnt(0)
	v_cmp_ne_u16_sdwa s5, v4, v9 src0_sel:BYTE_0 src1_sel:DWORD
	s_and_saveexec_b32 s23, s5
	s_cbranch_execz .LBB243_1435
; %bb.1428:                             ;   in Loop: Header=BB243_16 Depth=1
	v_bfrev_b32_e32 v2, 1
	v_mov_b32_e32 v3, 0
	buffer_store_dword v2, off, s[0:3], s32 offset:1660 ; 4-byte Folded Spill
	buffer_store_dword v3, off, s[0:3], s32 offset:1664 ; 4-byte Folded Spill
	v_mov_b32_e32 v2, 0x80
	v_cmp_ne_u16_sdwa s5, v4, v2 src0_sel:BYTE_0 src1_sel:DWORD
	s_and_saveexec_b32 s24, s5
	s_cbranch_execz .LBB243_1434
; %bb.1429:                             ;   in Loop: Header=BB243_16 Depth=1
	v_mov_b32_e32 v5, 0x7f800001
	v_and_b32_e32 v2, 0x7f, v4
	v_mov_b32_e32 v6, 0
	s_mov_b32 s25, exec_lo
	buffer_store_dword v5, off, s[0:3], s32 offset:1660 ; 4-byte Folded Spill
	buffer_store_dword v6, off, s[0:3], s32 offset:1664 ; 4-byte Folded Spill
	v_cmpx_ne_u32_e32 0x7f, v2
	s_cbranch_execz .LBB243_1433
; %bb.1430:                             ;   in Loop: Header=BB243_16 Depth=1
	v_and_b32_e32 v8, 7, v4
	v_lshrrev_b32_e32 v5, 3, v2
	v_cmp_gt_u32_e64 s5, 8, v2
	v_mov_b32_e32 v2, v8
	v_mov_b32_e32 v3, v9
	s_and_saveexec_b32 s26, s5
; %bb.1431:                             ;   in Loop: Header=BB243_16 Depth=1
	v_ffbh_u32_e32 v2, v8
	v_min_u32_e32 v5, 32, v2
	v_subrev_nc_u32_e32 v2, 28, v5
	v_sub_nc_u32_e32 v5, 29, v5
	v_lshlrev_b64 v[2:3], v2, v[8:9]
	v_and_b32_e32 v2, 7, v2
; %bb.1432:                             ;   in Loop: Header=BB243_16 Depth=1
	s_or_b32 exec_lo, exec_lo, s26
	v_lshlrev_b32_e32 v3, 24, v4
	v_lshlrev_b32_e32 v2, 20, v2
	v_lshl_add_u32 v5, v5, 23, 0x3c000000
	v_and_b32_e32 v3, 0x80000000, v3
	v_or3_b32 v8, v2, v3, v5
	buffer_store_dword v8, off, s[0:3], s32 offset:1660 ; 4-byte Folded Spill
	buffer_store_dword v9, off, s[0:3], s32 offset:1664 ; 4-byte Folded Spill
.LBB243_1433:                           ;   in Loop: Header=BB243_16 Depth=1
	s_or_b32 exec_lo, exec_lo, s25
.LBB243_1434:                           ;   in Loop: Header=BB243_16 Depth=1
	s_or_b32 exec_lo, exec_lo, s24
.LBB243_1435:                           ;   in Loop: Header=BB243_16 Depth=1
	s_or_b32 exec_lo, exec_lo, s23
	v_cmp_ne_u16_sdwa s5, v4, v9 src0_sel:BYTE_1 src1_sel:DWORD
	s_and_saveexec_b32 s23, s5
	s_cbranch_execz .LBB243_1443
; %bb.1436:                             ;   in Loop: Header=BB243_16 Depth=1
	v_mov_b32_e32 v2, 0x80
	v_mov_b32_e32 v46, v9
	buffer_store_dword v46, off, s[0:3], s32 offset:1668 ; 4-byte Folded Spill
	buffer_store_dword v47, off, s[0:3], s32 offset:1672 ; 4-byte Folded Spill
	v_cmp_ne_u16_sdwa s5, v4, v2 src0_sel:BYTE_1 src1_sel:DWORD
	s_and_saveexec_b32 s24, s5
	s_cbranch_execz .LBB243_1442
; %bb.1437:                             ;   in Loop: Header=BB243_16 Depth=1
	s_clause 0x1
	buffer_load_dword v5, off, s[0:3], s32 offset:200
	buffer_load_dword v6, off, s[0:3], s32 offset:204
	v_mov_b32_e32 v2, 0xffff
	s_mov_b32 s25, exec_lo
	v_and_b32_sdwa v3, v2, v4 dst_sel:DWORD dst_unused:UNUSED_PAD src0_sel:DWORD src1_sel:BYTE_1
	v_and_b32_e32 v2, 0x7f, v3
	s_waitcnt vmcnt(0)
	v_mov_b32_e32 v7, v6
	v_mov_b32_e32 v6, v9
	;; [unrolled: 1-line block ×3, first 2 shown]
	buffer_store_dword v4, off, s[0:3], s32 offset:200 ; 4-byte Folded Spill
	buffer_store_dword v5, off, s[0:3], s32 offset:204 ; 4-byte Folded Spill
	;; [unrolled: 1-line block ×4, first 2 shown]
	v_cmpx_ne_u32_e32 0x7f, v2
	s_cbranch_execz .LBB243_1441
; %bb.1438:                             ;   in Loop: Header=BB243_16 Depth=1
	v_and_b32_e32 v8, 7, v3
	v_lshrrev_b32_e32 v5, 3, v2
	v_cmp_gt_u32_e64 s5, 8, v2
	v_mov_b32_e32 v2, v8
	v_mov_b32_e32 v3, v9
	s_and_saveexec_b32 s26, s5
; %bb.1439:                             ;   in Loop: Header=BB243_16 Depth=1
	v_ffbh_u32_e32 v2, v8
	v_min_u32_e32 v5, 32, v2
	v_subrev_nc_u32_e32 v2, 28, v5
	v_sub_nc_u32_e32 v5, 29, v5
	v_lshlrev_b64 v[2:3], v2, v[8:9]
	v_and_b32_e32 v2, 7, v2
; %bb.1440:                             ;   in Loop: Header=BB243_16 Depth=1
	s_or_b32 exec_lo, exec_lo, s26
	v_lshlrev_b32_e32 v3, 16, v4
	v_lshlrev_b32_e32 v2, 20, v2
	v_lshl_add_u32 v5, v5, 23, 0x3c000000
	v_and_b32_e32 v3, 0x80000000, v3
	v_or3_b32 v3, v2, v3, v5
	v_mov_b32_e32 v2, v9
	buffer_store_dword v2, off, s[0:3], s32 offset:1668 ; 4-byte Folded Spill
	buffer_store_dword v3, off, s[0:3], s32 offset:1672 ; 4-byte Folded Spill
.LBB243_1441:                           ;   in Loop: Header=BB243_16 Depth=1
	s_or_b32 exec_lo, exec_lo, s25
.LBB243_1442:                           ;   in Loop: Header=BB243_16 Depth=1
	s_or_b32 exec_lo, exec_lo, s24
.LBB243_1443:                           ;   in Loop: Header=BB243_16 Depth=1
	s_or_b32 exec_lo, exec_lo, s23
	v_mov_b32_e32 v5, 0
	v_mov_b32_e32 v6, 0
	;; [unrolled: 1-line block ×3, first 2 shown]
	s_mov_b32 s23, exec_lo
	buffer_store_dword v5, off, s[0:3], s32 offset:1676 ; 4-byte Folded Spill
	buffer_store_dword v6, off, s[0:3], s32 offset:1680 ; 4-byte Folded Spill
	v_mov_b32_e32 v5, 0
	v_and_b32_sdwa v2, v4, v2 dst_sel:DWORD dst_unused:UNUSED_PAD src0_sel:WORD_1 src1_sel:DWORD
	v_mov_b32_e32 v6, 0
	buffer_store_dword v5, off, s[0:3], s32 offset:1684 ; 4-byte Folded Spill
	buffer_store_dword v6, off, s[0:3], s32 offset:1688 ; 4-byte Folded Spill
	v_cmpx_ne_u16_e32 0, v2
	s_cbranch_execz .LBB243_1451
; %bb.1444:                             ;   in Loop: Header=BB243_16 Depth=1
	v_cmp_ne_u16_e64 s5, 0x80, v2
	v_bfrev_b32_e32 v2, 1
	v_mov_b32_e32 v3, 0
	buffer_store_dword v2, off, s[0:3], s32 offset:1684 ; 4-byte Folded Spill
	buffer_store_dword v3, off, s[0:3], s32 offset:1688 ; 4-byte Folded Spill
	s_and_saveexec_b32 s24, s5
	s_cbranch_execz .LBB243_1450
; %bb.1445:                             ;   in Loop: Header=BB243_16 Depth=1
	v_mov_b32_e32 v5, 0x7f800001
	v_bfe_u32 v2, v4, 16, 7
	v_mov_b32_e32 v6, 0
	s_mov_b32 s25, exec_lo
	buffer_store_dword v5, off, s[0:3], s32 offset:1684 ; 4-byte Folded Spill
	buffer_store_dword v6, off, s[0:3], s32 offset:1688 ; 4-byte Folded Spill
	v_cmpx_ne_u32_e32 0x7f, v2
	s_cbranch_execz .LBB243_1449
; %bb.1446:                             ;   in Loop: Header=BB243_16 Depth=1
	v_mov_b32_e32 v3, 7
	v_lshrrev_b32_e32 v5, 3, v2
	v_cmp_gt_u32_e64 s5, 8, v2
	v_and_b32_sdwa v8, v4, v3 dst_sel:DWORD dst_unused:UNUSED_PAD src0_sel:WORD_1 src1_sel:DWORD
	v_mov_b32_e32 v2, v8
	v_mov_b32_e32 v3, v9
	s_and_saveexec_b32 s26, s5
; %bb.1447:                             ;   in Loop: Header=BB243_16 Depth=1
	v_ffbh_u32_e32 v2, v8
	v_min_u32_e32 v5, 32, v2
	v_subrev_nc_u32_e32 v2, 28, v5
	v_sub_nc_u32_e32 v5, 29, v5
	v_lshlrev_b64 v[2:3], v2, v[8:9]
	v_and_b32_e32 v2, 7, v2
; %bb.1448:                             ;   in Loop: Header=BB243_16 Depth=1
	s_or_b32 exec_lo, exec_lo, s26
	v_mov_b32_e32 v3, 24
	v_lshlrev_b32_e32 v2, 20, v2
	v_lshl_add_u32 v5, v5, 23, 0x3c000000
	v_lshlrev_b32_sdwa v3, v3, v4 dst_sel:DWORD dst_unused:UNUSED_PAD src0_sel:DWORD src1_sel:WORD_1
	v_and_b32_e32 v3, 0x80000000, v3
	v_or3_b32 v8, v2, v3, v5
	buffer_store_dword v8, off, s[0:3], s32 offset:1684 ; 4-byte Folded Spill
	buffer_store_dword v9, off, s[0:3], s32 offset:1688 ; 4-byte Folded Spill
.LBB243_1449:                           ;   in Loop: Header=BB243_16 Depth=1
	s_or_b32 exec_lo, exec_lo, s25
.LBB243_1450:                           ;   in Loop: Header=BB243_16 Depth=1
	s_or_b32 exec_lo, exec_lo, s24
.LBB243_1451:                           ;   in Loop: Header=BB243_16 Depth=1
	s_or_b32 exec_lo, exec_lo, s23
	s_mov_b32 s23, exec_lo
	v_cmpx_lt_u32_e32 0xffffff, v4
	s_cbranch_execz .LBB243_1459
; %bb.1452:                             ;   in Loop: Header=BB243_16 Depth=1
	v_mov_b32_e32 v2, 0x80
	v_mov_b32_e32 v46, v9
	buffer_store_dword v46, off, s[0:3], s32 offset:1676 ; 4-byte Folded Spill
	buffer_store_dword v47, off, s[0:3], s32 offset:1680 ; 4-byte Folded Spill
	v_cmp_ne_u32_sdwa s5, v4, v2 src0_sel:BYTE_3 src1_sel:DWORD
	s_and_saveexec_b32 s24, s5
	s_cbranch_execz .LBB243_1458
; %bb.1453:                             ;   in Loop: Header=BB243_16 Depth=1
	s_clause 0x1
	buffer_load_dword v5, off, s[0:3], s32 offset:200
	buffer_load_dword v6, off, s[0:3], s32 offset:204
	v_bfe_u32 v2, v4, 24, 7
	s_waitcnt vmcnt(1)
	v_mov_b32_e32 v5, v9
	s_mov_b32 s25, exec_lo
	s_waitcnt vmcnt(0)
	v_mov_b32_e32 v3, v6
	buffer_store_dword v2, off, s[0:3], s32 offset:200 ; 4-byte Folded Spill
	buffer_store_dword v3, off, s[0:3], s32 offset:204 ; 4-byte Folded Spill
	;; [unrolled: 1-line block ×4, first 2 shown]
	v_cmpx_ne_u32_e32 0x7f, v2
	s_cbranch_execz .LBB243_1457
; %bb.1454:                             ;   in Loop: Header=BB243_16 Depth=1
	v_mov_b32_e32 v3, 7
	v_lshrrev_b32_e32 v5, 3, v2
	v_cmp_gt_u32_e64 s5, 8, v2
	v_and_b32_sdwa v8, v4, v3 dst_sel:DWORD dst_unused:UNUSED_PAD src0_sel:BYTE_3 src1_sel:DWORD
	v_mov_b32_e32 v2, v8
	v_mov_b32_e32 v3, v9
	s_and_saveexec_b32 s26, s5
; %bb.1455:                             ;   in Loop: Header=BB243_16 Depth=1
	v_ffbh_u32_e32 v2, v8
	v_min_u32_e32 v5, 32, v2
	v_subrev_nc_u32_e32 v2, 28, v5
	v_sub_nc_u32_e32 v5, 29, v5
	v_lshlrev_b64 v[2:3], v2, v[8:9]
	v_and_b32_e32 v2, 7, v2
; %bb.1456:                             ;   in Loop: Header=BB243_16 Depth=1
	s_or_b32 exec_lo, exec_lo, s26
	v_mov_b32_e32 v3, 24
	v_lshlrev_b32_e32 v2, 20, v2
	v_lshlrev_b32_sdwa v3, v3, v4 dst_sel:DWORD dst_unused:UNUSED_PAD src0_sel:DWORD src1_sel:BYTE_3
	v_lshl_add_u32 v4, v5, 23, 0x3c000000
	v_and_b32_e32 v3, 0x80000000, v3
	v_or3_b32 v3, v2, v3, v4
	v_mov_b32_e32 v2, v9
	buffer_store_dword v2, off, s[0:3], s32 offset:1676 ; 4-byte Folded Spill
	buffer_store_dword v3, off, s[0:3], s32 offset:1680 ; 4-byte Folded Spill
.LBB243_1457:                           ;   in Loop: Header=BB243_16 Depth=1
	s_or_b32 exec_lo, exec_lo, s25
.LBB243_1458:                           ;   in Loop: Header=BB243_16 Depth=1
	s_or_b32 exec_lo, exec_lo, s24
.LBB243_1459:                           ;   in Loop: Header=BB243_16 Depth=1
	s_or_b32 exec_lo, exec_lo, s23
	flat_load_dword v4, v[0:1] offset:1540
	v_mov_b32_e32 v2, 0
	v_mov_b32_e32 v3, 0
	buffer_store_dword v2, off, s[0:3], s32 offset:1700 ; 4-byte Folded Spill
	buffer_store_dword v3, off, s[0:3], s32 offset:1704 ; 4-byte Folded Spill
	v_mov_b32_e32 v2, 0
	v_mov_b32_e32 v3, 0
	buffer_store_dword v2, off, s[0:3], s32 offset:1692 ; 4-byte Folded Spill
	buffer_store_dword v3, off, s[0:3], s32 offset:1696 ; 4-byte Folded Spill
	s_waitcnt vmcnt(0) lgkmcnt(0)
	v_cmp_ne_u16_sdwa s5, v4, v9 src0_sel:BYTE_0 src1_sel:DWORD
	s_and_saveexec_b32 s23, s5
	s_cbranch_execz .LBB243_1467
; %bb.1460:                             ;   in Loop: Header=BB243_16 Depth=1
	v_bfrev_b32_e32 v2, 1
	v_mov_b32_e32 v3, 0
	buffer_store_dword v2, off, s[0:3], s32 offset:1692 ; 4-byte Folded Spill
	buffer_store_dword v3, off, s[0:3], s32 offset:1696 ; 4-byte Folded Spill
	v_mov_b32_e32 v2, 0x80
	v_cmp_ne_u16_sdwa s5, v4, v2 src0_sel:BYTE_0 src1_sel:DWORD
	s_and_saveexec_b32 s24, s5
	s_cbranch_execz .LBB243_1466
; %bb.1461:                             ;   in Loop: Header=BB243_16 Depth=1
	v_mov_b32_e32 v5, 0x7f800001
	v_and_b32_e32 v2, 0x7f, v4
	v_mov_b32_e32 v6, 0
	s_mov_b32 s25, exec_lo
	buffer_store_dword v5, off, s[0:3], s32 offset:1692 ; 4-byte Folded Spill
	buffer_store_dword v6, off, s[0:3], s32 offset:1696 ; 4-byte Folded Spill
	v_cmpx_ne_u32_e32 0x7f, v2
	s_cbranch_execz .LBB243_1465
; %bb.1462:                             ;   in Loop: Header=BB243_16 Depth=1
	v_and_b32_e32 v8, 7, v4
	v_lshrrev_b32_e32 v5, 3, v2
	v_cmp_gt_u32_e64 s5, 8, v2
	v_mov_b32_e32 v2, v8
	v_mov_b32_e32 v3, v9
	s_and_saveexec_b32 s26, s5
; %bb.1463:                             ;   in Loop: Header=BB243_16 Depth=1
	v_ffbh_u32_e32 v2, v8
	v_min_u32_e32 v5, 32, v2
	v_subrev_nc_u32_e32 v2, 28, v5
	v_sub_nc_u32_e32 v5, 29, v5
	v_lshlrev_b64 v[2:3], v2, v[8:9]
	v_and_b32_e32 v2, 7, v2
; %bb.1464:                             ;   in Loop: Header=BB243_16 Depth=1
	s_or_b32 exec_lo, exec_lo, s26
	v_lshlrev_b32_e32 v3, 24, v4
	v_lshlrev_b32_e32 v2, 20, v2
	v_lshl_add_u32 v5, v5, 23, 0x3c000000
	v_and_b32_e32 v3, 0x80000000, v3
	v_or3_b32 v8, v2, v3, v5
	buffer_store_dword v8, off, s[0:3], s32 offset:1692 ; 4-byte Folded Spill
	buffer_store_dword v9, off, s[0:3], s32 offset:1696 ; 4-byte Folded Spill
.LBB243_1465:                           ;   in Loop: Header=BB243_16 Depth=1
	s_or_b32 exec_lo, exec_lo, s25
.LBB243_1466:                           ;   in Loop: Header=BB243_16 Depth=1
	s_or_b32 exec_lo, exec_lo, s24
.LBB243_1467:                           ;   in Loop: Header=BB243_16 Depth=1
	s_or_b32 exec_lo, exec_lo, s23
	v_cmp_ne_u16_sdwa s5, v4, v9 src0_sel:BYTE_1 src1_sel:DWORD
	s_and_saveexec_b32 s23, s5
	s_cbranch_execz .LBB243_1475
; %bb.1468:                             ;   in Loop: Header=BB243_16 Depth=1
	v_mov_b32_e32 v2, 0x80
	v_mov_b32_e32 v46, v9
	buffer_store_dword v46, off, s[0:3], s32 offset:1700 ; 4-byte Folded Spill
	buffer_store_dword v47, off, s[0:3], s32 offset:1704 ; 4-byte Folded Spill
	v_cmp_ne_u16_sdwa s5, v4, v2 src0_sel:BYTE_1 src1_sel:DWORD
	s_and_saveexec_b32 s24, s5
	s_cbranch_execz .LBB243_1474
; %bb.1469:                             ;   in Loop: Header=BB243_16 Depth=1
	s_clause 0x1
	buffer_load_dword v5, off, s[0:3], s32 offset:200
	buffer_load_dword v6, off, s[0:3], s32 offset:204
	v_mov_b32_e32 v2, 0xffff
	s_mov_b32 s25, exec_lo
	v_and_b32_sdwa v3, v2, v4 dst_sel:DWORD dst_unused:UNUSED_PAD src0_sel:DWORD src1_sel:BYTE_1
	v_and_b32_e32 v2, 0x7f, v3
	s_waitcnt vmcnt(0)
	v_mov_b32_e32 v7, v6
	v_mov_b32_e32 v6, v9
	;; [unrolled: 1-line block ×3, first 2 shown]
	buffer_store_dword v4, off, s[0:3], s32 offset:200 ; 4-byte Folded Spill
	buffer_store_dword v5, off, s[0:3], s32 offset:204 ; 4-byte Folded Spill
	;; [unrolled: 1-line block ×4, first 2 shown]
	v_cmpx_ne_u32_e32 0x7f, v2
	s_cbranch_execz .LBB243_1473
; %bb.1470:                             ;   in Loop: Header=BB243_16 Depth=1
	v_and_b32_e32 v8, 7, v3
	v_lshrrev_b32_e32 v5, 3, v2
	v_cmp_gt_u32_e64 s5, 8, v2
	v_mov_b32_e32 v2, v8
	v_mov_b32_e32 v3, v9
	s_and_saveexec_b32 s26, s5
; %bb.1471:                             ;   in Loop: Header=BB243_16 Depth=1
	v_ffbh_u32_e32 v2, v8
	v_min_u32_e32 v5, 32, v2
	v_subrev_nc_u32_e32 v2, 28, v5
	v_sub_nc_u32_e32 v5, 29, v5
	v_lshlrev_b64 v[2:3], v2, v[8:9]
	v_and_b32_e32 v2, 7, v2
; %bb.1472:                             ;   in Loop: Header=BB243_16 Depth=1
	s_or_b32 exec_lo, exec_lo, s26
	v_lshlrev_b32_e32 v3, 16, v4
	v_lshlrev_b32_e32 v2, 20, v2
	v_lshl_add_u32 v5, v5, 23, 0x3c000000
	v_and_b32_e32 v3, 0x80000000, v3
	v_or3_b32 v3, v2, v3, v5
	v_mov_b32_e32 v2, v9
	buffer_store_dword v2, off, s[0:3], s32 offset:1700 ; 4-byte Folded Spill
	buffer_store_dword v3, off, s[0:3], s32 offset:1704 ; 4-byte Folded Spill
.LBB243_1473:                           ;   in Loop: Header=BB243_16 Depth=1
	s_or_b32 exec_lo, exec_lo, s25
.LBB243_1474:                           ;   in Loop: Header=BB243_16 Depth=1
	s_or_b32 exec_lo, exec_lo, s24
.LBB243_1475:                           ;   in Loop: Header=BB243_16 Depth=1
	s_or_b32 exec_lo, exec_lo, s23
	v_mov_b32_e32 v5, 0
	v_mov_b32_e32 v6, 0
	;; [unrolled: 1-line block ×3, first 2 shown]
	s_mov_b32 s23, exec_lo
	buffer_store_dword v5, off, s[0:3], s32 offset:1708 ; 4-byte Folded Spill
	buffer_store_dword v6, off, s[0:3], s32 offset:1712 ; 4-byte Folded Spill
	v_mov_b32_e32 v5, 0
	v_and_b32_sdwa v2, v4, v2 dst_sel:DWORD dst_unused:UNUSED_PAD src0_sel:WORD_1 src1_sel:DWORD
	v_mov_b32_e32 v6, 0
	buffer_store_dword v5, off, s[0:3], s32 offset:1716 ; 4-byte Folded Spill
	buffer_store_dword v6, off, s[0:3], s32 offset:1720 ; 4-byte Folded Spill
	v_cmpx_ne_u16_e32 0, v2
	s_cbranch_execz .LBB243_1483
; %bb.1476:                             ;   in Loop: Header=BB243_16 Depth=1
	v_cmp_ne_u16_e64 s5, 0x80, v2
	v_bfrev_b32_e32 v2, 1
	v_mov_b32_e32 v3, 0
	buffer_store_dword v2, off, s[0:3], s32 offset:1716 ; 4-byte Folded Spill
	buffer_store_dword v3, off, s[0:3], s32 offset:1720 ; 4-byte Folded Spill
	s_and_saveexec_b32 s24, s5
	s_cbranch_execz .LBB243_1482
; %bb.1477:                             ;   in Loop: Header=BB243_16 Depth=1
	v_mov_b32_e32 v5, 0x7f800001
	v_bfe_u32 v2, v4, 16, 7
	v_mov_b32_e32 v6, 0
	s_mov_b32 s25, exec_lo
	buffer_store_dword v5, off, s[0:3], s32 offset:1716 ; 4-byte Folded Spill
	buffer_store_dword v6, off, s[0:3], s32 offset:1720 ; 4-byte Folded Spill
	v_cmpx_ne_u32_e32 0x7f, v2
	s_cbranch_execz .LBB243_1481
; %bb.1478:                             ;   in Loop: Header=BB243_16 Depth=1
	v_mov_b32_e32 v3, 7
	v_lshrrev_b32_e32 v5, 3, v2
	v_cmp_gt_u32_e64 s5, 8, v2
	v_and_b32_sdwa v8, v4, v3 dst_sel:DWORD dst_unused:UNUSED_PAD src0_sel:WORD_1 src1_sel:DWORD
	v_mov_b32_e32 v2, v8
	v_mov_b32_e32 v3, v9
	s_and_saveexec_b32 s26, s5
; %bb.1479:                             ;   in Loop: Header=BB243_16 Depth=1
	v_ffbh_u32_e32 v2, v8
	v_min_u32_e32 v5, 32, v2
	v_subrev_nc_u32_e32 v2, 28, v5
	v_sub_nc_u32_e32 v5, 29, v5
	v_lshlrev_b64 v[2:3], v2, v[8:9]
	v_and_b32_e32 v2, 7, v2
; %bb.1480:                             ;   in Loop: Header=BB243_16 Depth=1
	s_or_b32 exec_lo, exec_lo, s26
	v_mov_b32_e32 v3, 24
	v_lshlrev_b32_e32 v2, 20, v2
	v_lshl_add_u32 v5, v5, 23, 0x3c000000
	v_lshlrev_b32_sdwa v3, v3, v4 dst_sel:DWORD dst_unused:UNUSED_PAD src0_sel:DWORD src1_sel:WORD_1
	v_and_b32_e32 v3, 0x80000000, v3
	v_or3_b32 v8, v2, v3, v5
	buffer_store_dword v8, off, s[0:3], s32 offset:1716 ; 4-byte Folded Spill
	buffer_store_dword v9, off, s[0:3], s32 offset:1720 ; 4-byte Folded Spill
.LBB243_1481:                           ;   in Loop: Header=BB243_16 Depth=1
	s_or_b32 exec_lo, exec_lo, s25
.LBB243_1482:                           ;   in Loop: Header=BB243_16 Depth=1
	s_or_b32 exec_lo, exec_lo, s24
.LBB243_1483:                           ;   in Loop: Header=BB243_16 Depth=1
	s_or_b32 exec_lo, exec_lo, s23
	s_mov_b32 s23, exec_lo
	v_cmpx_lt_u32_e32 0xffffff, v4
	s_cbranch_execz .LBB243_1491
; %bb.1484:                             ;   in Loop: Header=BB243_16 Depth=1
	v_mov_b32_e32 v2, 0x80
	v_mov_b32_e32 v46, v9
	buffer_store_dword v46, off, s[0:3], s32 offset:1708 ; 4-byte Folded Spill
	buffer_store_dword v47, off, s[0:3], s32 offset:1712 ; 4-byte Folded Spill
	v_cmp_ne_u32_sdwa s5, v4, v2 src0_sel:BYTE_3 src1_sel:DWORD
	s_and_saveexec_b32 s24, s5
	s_cbranch_execz .LBB243_1490
; %bb.1485:                             ;   in Loop: Header=BB243_16 Depth=1
	s_clause 0x1
	buffer_load_dword v5, off, s[0:3], s32 offset:200
	buffer_load_dword v6, off, s[0:3], s32 offset:204
	v_bfe_u32 v2, v4, 24, 7
	s_waitcnt vmcnt(1)
	v_mov_b32_e32 v5, v9
	s_mov_b32 s25, exec_lo
	s_waitcnt vmcnt(0)
	v_mov_b32_e32 v3, v6
	buffer_store_dword v2, off, s[0:3], s32 offset:200 ; 4-byte Folded Spill
	buffer_store_dword v3, off, s[0:3], s32 offset:204 ; 4-byte Folded Spill
	;; [unrolled: 1-line block ×4, first 2 shown]
	v_cmpx_ne_u32_e32 0x7f, v2
	s_cbranch_execz .LBB243_1489
; %bb.1486:                             ;   in Loop: Header=BB243_16 Depth=1
	v_mov_b32_e32 v3, 7
	v_lshrrev_b32_e32 v5, 3, v2
	v_cmp_gt_u32_e64 s5, 8, v2
	v_and_b32_sdwa v8, v4, v3 dst_sel:DWORD dst_unused:UNUSED_PAD src0_sel:BYTE_3 src1_sel:DWORD
	v_mov_b32_e32 v2, v8
	v_mov_b32_e32 v3, v9
	s_and_saveexec_b32 s26, s5
; %bb.1487:                             ;   in Loop: Header=BB243_16 Depth=1
	v_ffbh_u32_e32 v2, v8
	v_min_u32_e32 v5, 32, v2
	v_subrev_nc_u32_e32 v2, 28, v5
	v_sub_nc_u32_e32 v5, 29, v5
	v_lshlrev_b64 v[2:3], v2, v[8:9]
	v_and_b32_e32 v2, 7, v2
; %bb.1488:                             ;   in Loop: Header=BB243_16 Depth=1
	s_or_b32 exec_lo, exec_lo, s26
	v_mov_b32_e32 v3, 24
	v_lshlrev_b32_e32 v2, 20, v2
	v_lshlrev_b32_sdwa v3, v3, v4 dst_sel:DWORD dst_unused:UNUSED_PAD src0_sel:DWORD src1_sel:BYTE_3
	v_lshl_add_u32 v4, v5, 23, 0x3c000000
	v_and_b32_e32 v3, 0x80000000, v3
	v_or3_b32 v3, v2, v3, v4
	v_mov_b32_e32 v2, v9
	buffer_store_dword v2, off, s[0:3], s32 offset:1708 ; 4-byte Folded Spill
	buffer_store_dword v3, off, s[0:3], s32 offset:1712 ; 4-byte Folded Spill
.LBB243_1489:                           ;   in Loop: Header=BB243_16 Depth=1
	s_or_b32 exec_lo, exec_lo, s25
.LBB243_1490:                           ;   in Loop: Header=BB243_16 Depth=1
	s_or_b32 exec_lo, exec_lo, s24
.LBB243_1491:                           ;   in Loop: Header=BB243_16 Depth=1
	s_or_b32 exec_lo, exec_lo, s23
	flat_load_dword v4, v[0:1] offset:1544
	v_mov_b32_e32 v2, 0
	v_mov_b32_e32 v3, 0
	buffer_store_dword v2, off, s[0:3], s32 offset:1732 ; 4-byte Folded Spill
	buffer_store_dword v3, off, s[0:3], s32 offset:1736 ; 4-byte Folded Spill
	v_mov_b32_e32 v2, 0
	v_mov_b32_e32 v3, 0
	buffer_store_dword v2, off, s[0:3], s32 offset:1724 ; 4-byte Folded Spill
	buffer_store_dword v3, off, s[0:3], s32 offset:1728 ; 4-byte Folded Spill
	s_waitcnt vmcnt(0) lgkmcnt(0)
	v_cmp_ne_u16_sdwa s5, v4, v9 src0_sel:BYTE_0 src1_sel:DWORD
	s_and_saveexec_b32 s23, s5
	s_cbranch_execz .LBB243_1499
; %bb.1492:                             ;   in Loop: Header=BB243_16 Depth=1
	v_bfrev_b32_e32 v2, 1
	v_mov_b32_e32 v3, 0
	buffer_store_dword v2, off, s[0:3], s32 offset:1724 ; 4-byte Folded Spill
	buffer_store_dword v3, off, s[0:3], s32 offset:1728 ; 4-byte Folded Spill
	v_mov_b32_e32 v2, 0x80
	v_cmp_ne_u16_sdwa s5, v4, v2 src0_sel:BYTE_0 src1_sel:DWORD
	s_and_saveexec_b32 s24, s5
	s_cbranch_execz .LBB243_1498
; %bb.1493:                             ;   in Loop: Header=BB243_16 Depth=1
	v_mov_b32_e32 v5, 0x7f800001
	v_and_b32_e32 v2, 0x7f, v4
	v_mov_b32_e32 v6, 0
	s_mov_b32 s25, exec_lo
	buffer_store_dword v5, off, s[0:3], s32 offset:1724 ; 4-byte Folded Spill
	buffer_store_dword v6, off, s[0:3], s32 offset:1728 ; 4-byte Folded Spill
	v_cmpx_ne_u32_e32 0x7f, v2
	s_cbranch_execz .LBB243_1497
; %bb.1494:                             ;   in Loop: Header=BB243_16 Depth=1
	v_and_b32_e32 v8, 7, v4
	v_lshrrev_b32_e32 v5, 3, v2
	v_cmp_gt_u32_e64 s5, 8, v2
	v_mov_b32_e32 v2, v8
	v_mov_b32_e32 v3, v9
	s_and_saveexec_b32 s26, s5
; %bb.1495:                             ;   in Loop: Header=BB243_16 Depth=1
	v_ffbh_u32_e32 v2, v8
	v_min_u32_e32 v5, 32, v2
	v_subrev_nc_u32_e32 v2, 28, v5
	v_sub_nc_u32_e32 v5, 29, v5
	v_lshlrev_b64 v[2:3], v2, v[8:9]
	v_and_b32_e32 v2, 7, v2
; %bb.1496:                             ;   in Loop: Header=BB243_16 Depth=1
	s_or_b32 exec_lo, exec_lo, s26
	v_lshlrev_b32_e32 v3, 24, v4
	v_lshlrev_b32_e32 v2, 20, v2
	v_lshl_add_u32 v5, v5, 23, 0x3c000000
	v_and_b32_e32 v3, 0x80000000, v3
	v_or3_b32 v8, v2, v3, v5
	buffer_store_dword v8, off, s[0:3], s32 offset:1724 ; 4-byte Folded Spill
	buffer_store_dword v9, off, s[0:3], s32 offset:1728 ; 4-byte Folded Spill
.LBB243_1497:                           ;   in Loop: Header=BB243_16 Depth=1
	s_or_b32 exec_lo, exec_lo, s25
.LBB243_1498:                           ;   in Loop: Header=BB243_16 Depth=1
	s_or_b32 exec_lo, exec_lo, s24
.LBB243_1499:                           ;   in Loop: Header=BB243_16 Depth=1
	s_or_b32 exec_lo, exec_lo, s23
	v_cmp_ne_u16_sdwa s5, v4, v9 src0_sel:BYTE_1 src1_sel:DWORD
	s_and_saveexec_b32 s23, s5
	s_cbranch_execz .LBB243_1507
; %bb.1500:                             ;   in Loop: Header=BB243_16 Depth=1
	v_mov_b32_e32 v2, 0x80
	v_mov_b32_e32 v46, v9
	buffer_store_dword v46, off, s[0:3], s32 offset:1732 ; 4-byte Folded Spill
	buffer_store_dword v47, off, s[0:3], s32 offset:1736 ; 4-byte Folded Spill
	v_cmp_ne_u16_sdwa s5, v4, v2 src0_sel:BYTE_1 src1_sel:DWORD
	s_and_saveexec_b32 s24, s5
	s_cbranch_execz .LBB243_1506
; %bb.1501:                             ;   in Loop: Header=BB243_16 Depth=1
	s_clause 0x1
	buffer_load_dword v5, off, s[0:3], s32 offset:200
	buffer_load_dword v6, off, s[0:3], s32 offset:204
	v_mov_b32_e32 v2, 0xffff
	s_mov_b32 s25, exec_lo
	v_and_b32_sdwa v3, v2, v4 dst_sel:DWORD dst_unused:UNUSED_PAD src0_sel:DWORD src1_sel:BYTE_1
	v_and_b32_e32 v2, 0x7f, v3
	s_waitcnt vmcnt(0)
	v_mov_b32_e32 v7, v6
	v_mov_b32_e32 v6, v9
	;; [unrolled: 1-line block ×3, first 2 shown]
	buffer_store_dword v4, off, s[0:3], s32 offset:200 ; 4-byte Folded Spill
	buffer_store_dword v5, off, s[0:3], s32 offset:204 ; 4-byte Folded Spill
	;; [unrolled: 1-line block ×4, first 2 shown]
	v_cmpx_ne_u32_e32 0x7f, v2
	s_cbranch_execz .LBB243_1505
; %bb.1502:                             ;   in Loop: Header=BB243_16 Depth=1
	v_and_b32_e32 v8, 7, v3
	v_lshrrev_b32_e32 v5, 3, v2
	v_cmp_gt_u32_e64 s5, 8, v2
	v_mov_b32_e32 v2, v8
	v_mov_b32_e32 v3, v9
	s_and_saveexec_b32 s26, s5
; %bb.1503:                             ;   in Loop: Header=BB243_16 Depth=1
	v_ffbh_u32_e32 v2, v8
	v_min_u32_e32 v5, 32, v2
	v_subrev_nc_u32_e32 v2, 28, v5
	v_sub_nc_u32_e32 v5, 29, v5
	v_lshlrev_b64 v[2:3], v2, v[8:9]
	v_and_b32_e32 v2, 7, v2
; %bb.1504:                             ;   in Loop: Header=BB243_16 Depth=1
	s_or_b32 exec_lo, exec_lo, s26
	v_lshlrev_b32_e32 v3, 16, v4
	v_lshlrev_b32_e32 v2, 20, v2
	v_lshl_add_u32 v5, v5, 23, 0x3c000000
	v_and_b32_e32 v3, 0x80000000, v3
	v_or3_b32 v3, v2, v3, v5
	v_mov_b32_e32 v2, v9
	buffer_store_dword v2, off, s[0:3], s32 offset:1732 ; 4-byte Folded Spill
	buffer_store_dword v3, off, s[0:3], s32 offset:1736 ; 4-byte Folded Spill
.LBB243_1505:                           ;   in Loop: Header=BB243_16 Depth=1
	s_or_b32 exec_lo, exec_lo, s25
.LBB243_1506:                           ;   in Loop: Header=BB243_16 Depth=1
	s_or_b32 exec_lo, exec_lo, s24
.LBB243_1507:                           ;   in Loop: Header=BB243_16 Depth=1
	s_or_b32 exec_lo, exec_lo, s23
	v_mov_b32_e32 v5, 0
	v_mov_b32_e32 v6, 0
	;; [unrolled: 1-line block ×3, first 2 shown]
	s_mov_b32 s23, exec_lo
	buffer_store_dword v5, off, s[0:3], s32 offset:1740 ; 4-byte Folded Spill
	buffer_store_dword v6, off, s[0:3], s32 offset:1744 ; 4-byte Folded Spill
	v_mov_b32_e32 v5, 0
	v_and_b32_sdwa v2, v4, v2 dst_sel:DWORD dst_unused:UNUSED_PAD src0_sel:WORD_1 src1_sel:DWORD
	v_mov_b32_e32 v6, 0
	buffer_store_dword v5, off, s[0:3], s32 offset:1748 ; 4-byte Folded Spill
	buffer_store_dword v6, off, s[0:3], s32 offset:1752 ; 4-byte Folded Spill
	v_cmpx_ne_u16_e32 0, v2
	s_cbranch_execz .LBB243_1515
; %bb.1508:                             ;   in Loop: Header=BB243_16 Depth=1
	v_cmp_ne_u16_e64 s5, 0x80, v2
	v_bfrev_b32_e32 v2, 1
	v_mov_b32_e32 v3, 0
	buffer_store_dword v2, off, s[0:3], s32 offset:1748 ; 4-byte Folded Spill
	buffer_store_dword v3, off, s[0:3], s32 offset:1752 ; 4-byte Folded Spill
	s_and_saveexec_b32 s24, s5
	s_cbranch_execz .LBB243_1514
; %bb.1509:                             ;   in Loop: Header=BB243_16 Depth=1
	v_mov_b32_e32 v5, 0x7f800001
	v_bfe_u32 v2, v4, 16, 7
	v_mov_b32_e32 v6, 0
	s_mov_b32 s25, exec_lo
	buffer_store_dword v5, off, s[0:3], s32 offset:1748 ; 4-byte Folded Spill
	buffer_store_dword v6, off, s[0:3], s32 offset:1752 ; 4-byte Folded Spill
	v_cmpx_ne_u32_e32 0x7f, v2
	s_cbranch_execz .LBB243_1513
; %bb.1510:                             ;   in Loop: Header=BB243_16 Depth=1
	v_mov_b32_e32 v3, 7
	v_lshrrev_b32_e32 v5, 3, v2
	v_cmp_gt_u32_e64 s5, 8, v2
	v_and_b32_sdwa v8, v4, v3 dst_sel:DWORD dst_unused:UNUSED_PAD src0_sel:WORD_1 src1_sel:DWORD
	v_mov_b32_e32 v2, v8
	v_mov_b32_e32 v3, v9
	s_and_saveexec_b32 s26, s5
; %bb.1511:                             ;   in Loop: Header=BB243_16 Depth=1
	v_ffbh_u32_e32 v2, v8
	v_min_u32_e32 v5, 32, v2
	v_subrev_nc_u32_e32 v2, 28, v5
	v_sub_nc_u32_e32 v5, 29, v5
	v_lshlrev_b64 v[2:3], v2, v[8:9]
	v_and_b32_e32 v2, 7, v2
; %bb.1512:                             ;   in Loop: Header=BB243_16 Depth=1
	s_or_b32 exec_lo, exec_lo, s26
	v_mov_b32_e32 v3, 24
	v_lshlrev_b32_e32 v2, 20, v2
	v_lshl_add_u32 v5, v5, 23, 0x3c000000
	v_lshlrev_b32_sdwa v3, v3, v4 dst_sel:DWORD dst_unused:UNUSED_PAD src0_sel:DWORD src1_sel:WORD_1
	v_and_b32_e32 v3, 0x80000000, v3
	v_or3_b32 v8, v2, v3, v5
	buffer_store_dword v8, off, s[0:3], s32 offset:1748 ; 4-byte Folded Spill
	buffer_store_dword v9, off, s[0:3], s32 offset:1752 ; 4-byte Folded Spill
.LBB243_1513:                           ;   in Loop: Header=BB243_16 Depth=1
	s_or_b32 exec_lo, exec_lo, s25
.LBB243_1514:                           ;   in Loop: Header=BB243_16 Depth=1
	s_or_b32 exec_lo, exec_lo, s24
.LBB243_1515:                           ;   in Loop: Header=BB243_16 Depth=1
	s_or_b32 exec_lo, exec_lo, s23
	s_mov_b32 s23, exec_lo
	v_cmpx_lt_u32_e32 0xffffff, v4
	s_cbranch_execz .LBB243_1523
; %bb.1516:                             ;   in Loop: Header=BB243_16 Depth=1
	v_mov_b32_e32 v2, 0x80
	v_mov_b32_e32 v46, v9
	buffer_store_dword v46, off, s[0:3], s32 offset:1740 ; 4-byte Folded Spill
	buffer_store_dword v47, off, s[0:3], s32 offset:1744 ; 4-byte Folded Spill
	v_cmp_ne_u32_sdwa s5, v4, v2 src0_sel:BYTE_3 src1_sel:DWORD
	s_and_saveexec_b32 s24, s5
	s_cbranch_execz .LBB243_1522
; %bb.1517:                             ;   in Loop: Header=BB243_16 Depth=1
	s_clause 0x1
	buffer_load_dword v5, off, s[0:3], s32 offset:200
	buffer_load_dword v6, off, s[0:3], s32 offset:204
	v_bfe_u32 v2, v4, 24, 7
	s_waitcnt vmcnt(1)
	v_mov_b32_e32 v5, v9
	s_mov_b32 s25, exec_lo
	s_waitcnt vmcnt(0)
	v_mov_b32_e32 v3, v6
	buffer_store_dword v2, off, s[0:3], s32 offset:200 ; 4-byte Folded Spill
	buffer_store_dword v3, off, s[0:3], s32 offset:204 ; 4-byte Folded Spill
	;; [unrolled: 1-line block ×4, first 2 shown]
	v_cmpx_ne_u32_e32 0x7f, v2
	s_cbranch_execz .LBB243_1521
; %bb.1518:                             ;   in Loop: Header=BB243_16 Depth=1
	v_mov_b32_e32 v3, 7
	v_lshrrev_b32_e32 v5, 3, v2
	v_cmp_gt_u32_e64 s5, 8, v2
	v_and_b32_sdwa v8, v4, v3 dst_sel:DWORD dst_unused:UNUSED_PAD src0_sel:BYTE_3 src1_sel:DWORD
	v_mov_b32_e32 v2, v8
	v_mov_b32_e32 v3, v9
	s_and_saveexec_b32 s26, s5
; %bb.1519:                             ;   in Loop: Header=BB243_16 Depth=1
	v_ffbh_u32_e32 v2, v8
	v_min_u32_e32 v5, 32, v2
	v_subrev_nc_u32_e32 v2, 28, v5
	v_sub_nc_u32_e32 v5, 29, v5
	v_lshlrev_b64 v[2:3], v2, v[8:9]
	v_and_b32_e32 v2, 7, v2
; %bb.1520:                             ;   in Loop: Header=BB243_16 Depth=1
	s_or_b32 exec_lo, exec_lo, s26
	v_mov_b32_e32 v3, 24
	v_lshlrev_b32_e32 v2, 20, v2
	v_lshlrev_b32_sdwa v3, v3, v4 dst_sel:DWORD dst_unused:UNUSED_PAD src0_sel:DWORD src1_sel:BYTE_3
	v_lshl_add_u32 v4, v5, 23, 0x3c000000
	v_and_b32_e32 v3, 0x80000000, v3
	v_or3_b32 v3, v2, v3, v4
	v_mov_b32_e32 v2, v9
	buffer_store_dword v2, off, s[0:3], s32 offset:1740 ; 4-byte Folded Spill
	buffer_store_dword v3, off, s[0:3], s32 offset:1744 ; 4-byte Folded Spill
.LBB243_1521:                           ;   in Loop: Header=BB243_16 Depth=1
	s_or_b32 exec_lo, exec_lo, s25
.LBB243_1522:                           ;   in Loop: Header=BB243_16 Depth=1
	s_or_b32 exec_lo, exec_lo, s24
.LBB243_1523:                           ;   in Loop: Header=BB243_16 Depth=1
	s_or_b32 exec_lo, exec_lo, s23
	flat_load_dword v2, v[0:1] offset:1548
	v_mov_b32_e32 v0, 0
	v_mov_b32_e32 v1, 0
	buffer_store_dword v0, off, s[0:3], s32 offset:1764 ; 4-byte Folded Spill
	buffer_store_dword v1, off, s[0:3], s32 offset:1768 ; 4-byte Folded Spill
	v_mov_b32_e32 v0, 0
	v_mov_b32_e32 v1, 0
	buffer_store_dword v0, off, s[0:3], s32 offset:1756 ; 4-byte Folded Spill
	buffer_store_dword v1, off, s[0:3], s32 offset:1760 ; 4-byte Folded Spill
	s_waitcnt vmcnt(0) lgkmcnt(0)
	v_cmp_ne_u16_sdwa s5, v2, v9 src0_sel:BYTE_0 src1_sel:DWORD
	s_and_saveexec_b32 s23, s5
	s_cbranch_execz .LBB243_1531
; %bb.1524:                             ;   in Loop: Header=BB243_16 Depth=1
	v_bfrev_b32_e32 v0, 1
	v_mov_b32_e32 v1, 0
	buffer_store_dword v0, off, s[0:3], s32 offset:1756 ; 4-byte Folded Spill
	buffer_store_dword v1, off, s[0:3], s32 offset:1760 ; 4-byte Folded Spill
	v_mov_b32_e32 v0, 0x80
	v_cmp_ne_u16_sdwa s5, v2, v0 src0_sel:BYTE_0 src1_sel:DWORD
	s_and_saveexec_b32 s24, s5
	s_cbranch_execz .LBB243_1530
; %bb.1525:                             ;   in Loop: Header=BB243_16 Depth=1
	v_mov_b32_e32 v3, 0x7f800001
	v_and_b32_e32 v0, 0x7f, v2
	v_mov_b32_e32 v4, 0
	s_mov_b32 s25, exec_lo
	buffer_store_dword v3, off, s[0:3], s32 offset:1756 ; 4-byte Folded Spill
	buffer_store_dword v4, off, s[0:3], s32 offset:1760 ; 4-byte Folded Spill
	v_cmpx_ne_u32_e32 0x7f, v0
	s_cbranch_execz .LBB243_1529
; %bb.1526:                             ;   in Loop: Header=BB243_16 Depth=1
	v_and_b32_e32 v8, 7, v2
	v_lshrrev_b32_e32 v3, 3, v0
	v_cmp_gt_u32_e64 s5, 8, v0
	v_mov_b32_e32 v0, v8
	v_mov_b32_e32 v1, v9
	s_and_saveexec_b32 s26, s5
; %bb.1527:                             ;   in Loop: Header=BB243_16 Depth=1
	v_ffbh_u32_e32 v0, v8
	v_min_u32_e32 v3, 32, v0
	v_subrev_nc_u32_e32 v0, 28, v3
	v_sub_nc_u32_e32 v3, 29, v3
	v_lshlrev_b64 v[0:1], v0, v[8:9]
	v_and_b32_e32 v0, 7, v0
; %bb.1528:                             ;   in Loop: Header=BB243_16 Depth=1
	s_or_b32 exec_lo, exec_lo, s26
	v_lshlrev_b32_e32 v1, 24, v2
	v_lshlrev_b32_e32 v0, 20, v0
	v_lshl_add_u32 v3, v3, 23, 0x3c000000
	v_and_b32_e32 v1, 0x80000000, v1
	v_or3_b32 v8, v0, v1, v3
	buffer_store_dword v8, off, s[0:3], s32 offset:1756 ; 4-byte Folded Spill
	buffer_store_dword v9, off, s[0:3], s32 offset:1760 ; 4-byte Folded Spill
.LBB243_1529:                           ;   in Loop: Header=BB243_16 Depth=1
	s_or_b32 exec_lo, exec_lo, s25
.LBB243_1530:                           ;   in Loop: Header=BB243_16 Depth=1
	s_or_b32 exec_lo, exec_lo, s24
.LBB243_1531:                           ;   in Loop: Header=BB243_16 Depth=1
	s_or_b32 exec_lo, exec_lo, s23
	v_cmp_ne_u16_sdwa s5, v2, v9 src0_sel:BYTE_1 src1_sel:DWORD
	s_and_saveexec_b32 s23, s5
	s_cbranch_execz .LBB243_1539
; %bb.1532:                             ;   in Loop: Header=BB243_16 Depth=1
	v_mov_b32_e32 v0, 0x80
	v_mov_b32_e32 v46, v9
	buffer_store_dword v46, off, s[0:3], s32 offset:1764 ; 4-byte Folded Spill
	buffer_store_dword v47, off, s[0:3], s32 offset:1768 ; 4-byte Folded Spill
	v_cmp_ne_u16_sdwa s5, v2, v0 src0_sel:BYTE_1 src1_sel:DWORD
	s_and_saveexec_b32 s24, s5
	s_cbranch_execz .LBB243_1538
; %bb.1533:                             ;   in Loop: Header=BB243_16 Depth=1
	s_clause 0x1
	buffer_load_dword v3, off, s[0:3], s32 offset:200
	buffer_load_dword v4, off, s[0:3], s32 offset:204
	v_mov_b32_e32 v0, 0xffff
	s_mov_b32 s25, exec_lo
	v_and_b32_sdwa v1, v0, v2 dst_sel:DWORD dst_unused:UNUSED_PAD src0_sel:DWORD src1_sel:BYTE_1
	v_and_b32_e32 v0, 0x7f, v1
	s_waitcnt vmcnt(0)
	v_mov_b32_e32 v5, v4
	v_mov_b32_e32 v4, v9
	;; [unrolled: 1-line block ×3, first 2 shown]
	buffer_store_dword v2, off, s[0:3], s32 offset:200 ; 4-byte Folded Spill
	buffer_store_dword v3, off, s[0:3], s32 offset:204 ; 4-byte Folded Spill
	;; [unrolled: 1-line block ×4, first 2 shown]
	v_cmpx_ne_u32_e32 0x7f, v0
	s_cbranch_execz .LBB243_1537
; %bb.1534:                             ;   in Loop: Header=BB243_16 Depth=1
	v_and_b32_e32 v8, 7, v1
	v_lshrrev_b32_e32 v3, 3, v0
	v_cmp_gt_u32_e64 s5, 8, v0
	v_mov_b32_e32 v0, v8
	v_mov_b32_e32 v1, v9
	s_and_saveexec_b32 s26, s5
; %bb.1535:                             ;   in Loop: Header=BB243_16 Depth=1
	v_ffbh_u32_e32 v0, v8
	v_min_u32_e32 v3, 32, v0
	v_subrev_nc_u32_e32 v0, 28, v3
	v_sub_nc_u32_e32 v3, 29, v3
	v_lshlrev_b64 v[0:1], v0, v[8:9]
	v_and_b32_e32 v0, 7, v0
; %bb.1536:                             ;   in Loop: Header=BB243_16 Depth=1
	s_or_b32 exec_lo, exec_lo, s26
	v_lshlrev_b32_e32 v1, 16, v2
	v_lshlrev_b32_e32 v0, 20, v0
	v_lshl_add_u32 v3, v3, 23, 0x3c000000
	v_and_b32_e32 v1, 0x80000000, v1
	v_or3_b32 v1, v0, v1, v3
	v_mov_b32_e32 v0, v9
	buffer_store_dword v0, off, s[0:3], s32 offset:1764 ; 4-byte Folded Spill
	buffer_store_dword v1, off, s[0:3], s32 offset:1768 ; 4-byte Folded Spill
.LBB243_1537:                           ;   in Loop: Header=BB243_16 Depth=1
	s_or_b32 exec_lo, exec_lo, s25
.LBB243_1538:                           ;   in Loop: Header=BB243_16 Depth=1
	s_or_b32 exec_lo, exec_lo, s24
.LBB243_1539:                           ;   in Loop: Header=BB243_16 Depth=1
	s_or_b32 exec_lo, exec_lo, s23
	v_mov_b32_e32 v3, 0
	v_mov_b32_e32 v4, 0
	v_mov_b32_e32 v0, 0xff
	s_mov_b32 s23, exec_lo
	buffer_store_dword v3, off, s[0:3], s32 offset:1772 ; 4-byte Folded Spill
	buffer_store_dword v4, off, s[0:3], s32 offset:1776 ; 4-byte Folded Spill
	v_mov_b32_e32 v3, 0
	v_and_b32_sdwa v0, v2, v0 dst_sel:DWORD dst_unused:UNUSED_PAD src0_sel:WORD_1 src1_sel:DWORD
	v_mov_b32_e32 v4, 0
	buffer_store_dword v3, off, s[0:3], s32 offset:1780 ; 4-byte Folded Spill
	buffer_store_dword v4, off, s[0:3], s32 offset:1784 ; 4-byte Folded Spill
	v_cmpx_ne_u16_e32 0, v0
	s_cbranch_execz .LBB243_1547
; %bb.1540:                             ;   in Loop: Header=BB243_16 Depth=1
	v_cmp_ne_u16_e64 s5, 0x80, v0
	v_bfrev_b32_e32 v0, 1
	v_mov_b32_e32 v1, 0
	buffer_store_dword v0, off, s[0:3], s32 offset:1780 ; 4-byte Folded Spill
	buffer_store_dword v1, off, s[0:3], s32 offset:1784 ; 4-byte Folded Spill
	s_and_saveexec_b32 s24, s5
	s_cbranch_execz .LBB243_1546
; %bb.1541:                             ;   in Loop: Header=BB243_16 Depth=1
	v_mov_b32_e32 v3, 0x7f800001
	v_bfe_u32 v0, v2, 16, 7
	v_mov_b32_e32 v4, 0
	s_mov_b32 s25, exec_lo
	buffer_store_dword v3, off, s[0:3], s32 offset:1780 ; 4-byte Folded Spill
	buffer_store_dword v4, off, s[0:3], s32 offset:1784 ; 4-byte Folded Spill
	v_cmpx_ne_u32_e32 0x7f, v0
	s_cbranch_execz .LBB243_1545
; %bb.1542:                             ;   in Loop: Header=BB243_16 Depth=1
	v_mov_b32_e32 v1, 7
	v_lshrrev_b32_e32 v3, 3, v0
	v_cmp_gt_u32_e64 s5, 8, v0
	v_and_b32_sdwa v8, v2, v1 dst_sel:DWORD dst_unused:UNUSED_PAD src0_sel:WORD_1 src1_sel:DWORD
	v_mov_b32_e32 v0, v8
	v_mov_b32_e32 v1, v9
	s_and_saveexec_b32 s26, s5
; %bb.1543:                             ;   in Loop: Header=BB243_16 Depth=1
	v_ffbh_u32_e32 v0, v8
	v_min_u32_e32 v3, 32, v0
	v_subrev_nc_u32_e32 v0, 28, v3
	v_sub_nc_u32_e32 v3, 29, v3
	v_lshlrev_b64 v[0:1], v0, v[8:9]
	v_and_b32_e32 v0, 7, v0
; %bb.1544:                             ;   in Loop: Header=BB243_16 Depth=1
	s_or_b32 exec_lo, exec_lo, s26
	v_mov_b32_e32 v1, 24
	v_lshlrev_b32_e32 v0, 20, v0
	v_lshl_add_u32 v3, v3, 23, 0x3c000000
	v_lshlrev_b32_sdwa v1, v1, v2 dst_sel:DWORD dst_unused:UNUSED_PAD src0_sel:DWORD src1_sel:WORD_1
	v_and_b32_e32 v1, 0x80000000, v1
	v_or3_b32 v8, v0, v1, v3
	buffer_store_dword v8, off, s[0:3], s32 offset:1780 ; 4-byte Folded Spill
	buffer_store_dword v9, off, s[0:3], s32 offset:1784 ; 4-byte Folded Spill
.LBB243_1545:                           ;   in Loop: Header=BB243_16 Depth=1
	s_or_b32 exec_lo, exec_lo, s25
.LBB243_1546:                           ;   in Loop: Header=BB243_16 Depth=1
	s_or_b32 exec_lo, exec_lo, s24
.LBB243_1547:                           ;   in Loop: Header=BB243_16 Depth=1
	s_or_b32 exec_lo, exec_lo, s23
	s_mov_b32 s23, exec_lo
	v_cmpx_lt_u32_e32 0xffffff, v2
	s_cbranch_execz .LBB243_1555
; %bb.1548:                             ;   in Loop: Header=BB243_16 Depth=1
	v_mov_b32_e32 v0, 0x80
	v_mov_b32_e32 v46, v9
	buffer_store_dword v46, off, s[0:3], s32 offset:1772 ; 4-byte Folded Spill
	buffer_store_dword v47, off, s[0:3], s32 offset:1776 ; 4-byte Folded Spill
	v_cmp_ne_u32_sdwa s5, v2, v0 src0_sel:BYTE_3 src1_sel:DWORD
	s_and_saveexec_b32 s24, s5
	s_cbranch_execz .LBB243_1554
; %bb.1549:                             ;   in Loop: Header=BB243_16 Depth=1
	s_clause 0x1
	buffer_load_dword v3, off, s[0:3], s32 offset:200
	buffer_load_dword v4, off, s[0:3], s32 offset:204
	v_bfe_u32 v0, v2, 24, 7
	s_waitcnt vmcnt(1)
	v_mov_b32_e32 v3, v9
	s_mov_b32 s25, exec_lo
	s_waitcnt vmcnt(0)
	v_mov_b32_e32 v1, v4
	buffer_store_dword v0, off, s[0:3], s32 offset:200 ; 4-byte Folded Spill
	buffer_store_dword v1, off, s[0:3], s32 offset:204 ; 4-byte Folded Spill
	;; [unrolled: 1-line block ×4, first 2 shown]
	v_cmpx_ne_u32_e32 0x7f, v0
	s_cbranch_execz .LBB243_1553
; %bb.1550:                             ;   in Loop: Header=BB243_16 Depth=1
	v_mov_b32_e32 v1, 7
	v_lshrrev_b32_e32 v3, 3, v0
	v_cmp_gt_u32_e64 s5, 8, v0
	v_and_b32_sdwa v8, v2, v1 dst_sel:DWORD dst_unused:UNUSED_PAD src0_sel:BYTE_3 src1_sel:DWORD
	v_mov_b32_e32 v0, v8
	v_mov_b32_e32 v1, v9
	s_and_saveexec_b32 s26, s5
; %bb.1551:                             ;   in Loop: Header=BB243_16 Depth=1
	v_ffbh_u32_e32 v0, v8
	v_min_u32_e32 v3, 32, v0
	v_subrev_nc_u32_e32 v0, 28, v3
	v_sub_nc_u32_e32 v3, 29, v3
	v_lshlrev_b64 v[0:1], v0, v[8:9]
	v_and_b32_e32 v0, 7, v0
; %bb.1552:                             ;   in Loop: Header=BB243_16 Depth=1
	s_or_b32 exec_lo, exec_lo, s26
	v_mov_b32_e32 v1, 24
	v_lshlrev_b32_e32 v0, 20, v0
	v_lshlrev_b32_sdwa v1, v1, v2 dst_sel:DWORD dst_unused:UNUSED_PAD src0_sel:DWORD src1_sel:BYTE_3
	v_lshl_add_u32 v2, v3, 23, 0x3c000000
	v_and_b32_e32 v1, 0x80000000, v1
	v_or3_b32 v1, v0, v1, v2
	v_mov_b32_e32 v0, v9
	buffer_store_dword v0, off, s[0:3], s32 offset:1772 ; 4-byte Folded Spill
	buffer_store_dword v1, off, s[0:3], s32 offset:1776 ; 4-byte Folded Spill
.LBB243_1553:                           ;   in Loop: Header=BB243_16 Depth=1
	s_or_b32 exec_lo, exec_lo, s25
.LBB243_1554:                           ;   in Loop: Header=BB243_16 Depth=1
	s_or_b32 exec_lo, exec_lo, s24
.LBB243_1555:                           ;   in Loop: Header=BB243_16 Depth=1
	s_or_b32 exec_lo, exec_lo, s23
	v_add_co_u32 v68, s5, 0x1800, v114
	v_add_co_ci_u32_e64 v69, null, 0, v115, s5
	v_mov_b32_e32 v0, 0
	v_mov_b32_e32 v1, 0
	flat_load_dword v2, v[68:69]
	buffer_store_dword v0, off, s[0:3], s32 offset:1796 ; 4-byte Folded Spill
	buffer_store_dword v1, off, s[0:3], s32 offset:1800 ; 4-byte Folded Spill
	v_mov_b32_e32 v0, 0
	v_mov_b32_e32 v1, 0
	buffer_store_dword v0, off, s[0:3], s32 offset:1788 ; 4-byte Folded Spill
	buffer_store_dword v1, off, s[0:3], s32 offset:1792 ; 4-byte Folded Spill
	s_waitcnt vmcnt(0) lgkmcnt(0)
	v_cmp_ne_u16_sdwa s5, v2, v9 src0_sel:BYTE_0 src1_sel:DWORD
	s_and_saveexec_b32 s23, s5
	s_cbranch_execz .LBB243_1563
; %bb.1556:                             ;   in Loop: Header=BB243_16 Depth=1
	v_bfrev_b32_e32 v0, 1
	v_mov_b32_e32 v1, 0
	buffer_store_dword v0, off, s[0:3], s32 offset:1788 ; 4-byte Folded Spill
	buffer_store_dword v1, off, s[0:3], s32 offset:1792 ; 4-byte Folded Spill
	v_mov_b32_e32 v0, 0x80
	v_cmp_ne_u16_sdwa s5, v2, v0 src0_sel:BYTE_0 src1_sel:DWORD
	s_and_saveexec_b32 s24, s5
	s_cbranch_execz .LBB243_1562
; %bb.1557:                             ;   in Loop: Header=BB243_16 Depth=1
	v_mov_b32_e32 v3, 0x7f800001
	v_and_b32_e32 v0, 0x7f, v2
	v_mov_b32_e32 v4, 0
	s_mov_b32 s25, exec_lo
	buffer_store_dword v3, off, s[0:3], s32 offset:1788 ; 4-byte Folded Spill
	buffer_store_dword v4, off, s[0:3], s32 offset:1792 ; 4-byte Folded Spill
	v_cmpx_ne_u32_e32 0x7f, v0
	s_cbranch_execz .LBB243_1561
; %bb.1558:                             ;   in Loop: Header=BB243_16 Depth=1
	v_and_b32_e32 v8, 7, v2
	v_lshrrev_b32_e32 v3, 3, v0
	v_cmp_gt_u32_e64 s5, 8, v0
	v_mov_b32_e32 v0, v8
	v_mov_b32_e32 v1, v9
	s_and_saveexec_b32 s26, s5
; %bb.1559:                             ;   in Loop: Header=BB243_16 Depth=1
	v_ffbh_u32_e32 v0, v8
	v_min_u32_e32 v3, 32, v0
	v_subrev_nc_u32_e32 v0, 28, v3
	v_sub_nc_u32_e32 v3, 29, v3
	v_lshlrev_b64 v[0:1], v0, v[8:9]
	v_and_b32_e32 v0, 7, v0
; %bb.1560:                             ;   in Loop: Header=BB243_16 Depth=1
	s_or_b32 exec_lo, exec_lo, s26
	v_lshlrev_b32_e32 v1, 24, v2
	v_lshlrev_b32_e32 v0, 20, v0
	v_lshl_add_u32 v3, v3, 23, 0x3c000000
	v_and_b32_e32 v1, 0x80000000, v1
	v_or3_b32 v8, v0, v1, v3
	buffer_store_dword v8, off, s[0:3], s32 offset:1788 ; 4-byte Folded Spill
	buffer_store_dword v9, off, s[0:3], s32 offset:1792 ; 4-byte Folded Spill
.LBB243_1561:                           ;   in Loop: Header=BB243_16 Depth=1
	s_or_b32 exec_lo, exec_lo, s25
.LBB243_1562:                           ;   in Loop: Header=BB243_16 Depth=1
	s_or_b32 exec_lo, exec_lo, s24
.LBB243_1563:                           ;   in Loop: Header=BB243_16 Depth=1
	s_or_b32 exec_lo, exec_lo, s23
	v_cmp_ne_u16_sdwa s5, v2, v9 src0_sel:BYTE_1 src1_sel:DWORD
	s_and_saveexec_b32 s23, s5
	s_cbranch_execz .LBB243_1571
; %bb.1564:                             ;   in Loop: Header=BB243_16 Depth=1
	v_mov_b32_e32 v0, 0x80
	v_mov_b32_e32 v46, v9
	buffer_store_dword v46, off, s[0:3], s32 offset:1796 ; 4-byte Folded Spill
	buffer_store_dword v47, off, s[0:3], s32 offset:1800 ; 4-byte Folded Spill
	v_cmp_ne_u16_sdwa s5, v2, v0 src0_sel:BYTE_1 src1_sel:DWORD
	s_and_saveexec_b32 s24, s5
	s_cbranch_execz .LBB243_1570
; %bb.1565:                             ;   in Loop: Header=BB243_16 Depth=1
	s_clause 0x1
	buffer_load_dword v3, off, s[0:3], s32 offset:200
	buffer_load_dword v4, off, s[0:3], s32 offset:204
	v_mov_b32_e32 v0, 0xffff
	s_mov_b32 s25, exec_lo
	v_and_b32_sdwa v1, v0, v2 dst_sel:DWORD dst_unused:UNUSED_PAD src0_sel:DWORD src1_sel:BYTE_1
	v_and_b32_e32 v0, 0x7f, v1
	s_waitcnt vmcnt(0)
	v_mov_b32_e32 v5, v4
	v_mov_b32_e32 v4, v9
	;; [unrolled: 1-line block ×3, first 2 shown]
	buffer_store_dword v2, off, s[0:3], s32 offset:200 ; 4-byte Folded Spill
	buffer_store_dword v3, off, s[0:3], s32 offset:204 ; 4-byte Folded Spill
	;; [unrolled: 1-line block ×4, first 2 shown]
	v_cmpx_ne_u32_e32 0x7f, v0
	s_cbranch_execz .LBB243_1569
; %bb.1566:                             ;   in Loop: Header=BB243_16 Depth=1
	v_and_b32_e32 v8, 7, v1
	v_lshrrev_b32_e32 v3, 3, v0
	v_cmp_gt_u32_e64 s5, 8, v0
	v_mov_b32_e32 v0, v8
	v_mov_b32_e32 v1, v9
	s_and_saveexec_b32 s26, s5
; %bb.1567:                             ;   in Loop: Header=BB243_16 Depth=1
	v_ffbh_u32_e32 v0, v8
	v_min_u32_e32 v3, 32, v0
	v_subrev_nc_u32_e32 v0, 28, v3
	v_sub_nc_u32_e32 v3, 29, v3
	v_lshlrev_b64 v[0:1], v0, v[8:9]
	v_and_b32_e32 v0, 7, v0
; %bb.1568:                             ;   in Loop: Header=BB243_16 Depth=1
	s_or_b32 exec_lo, exec_lo, s26
	v_lshlrev_b32_e32 v1, 16, v2
	v_lshlrev_b32_e32 v0, 20, v0
	v_lshl_add_u32 v3, v3, 23, 0x3c000000
	v_and_b32_e32 v1, 0x80000000, v1
	v_or3_b32 v1, v0, v1, v3
	v_mov_b32_e32 v0, v9
	buffer_store_dword v0, off, s[0:3], s32 offset:1796 ; 4-byte Folded Spill
	buffer_store_dword v1, off, s[0:3], s32 offset:1800 ; 4-byte Folded Spill
.LBB243_1569:                           ;   in Loop: Header=BB243_16 Depth=1
	s_or_b32 exec_lo, exec_lo, s25
.LBB243_1570:                           ;   in Loop: Header=BB243_16 Depth=1
	s_or_b32 exec_lo, exec_lo, s24
.LBB243_1571:                           ;   in Loop: Header=BB243_16 Depth=1
	s_or_b32 exec_lo, exec_lo, s23
	v_mov_b32_e32 v3, 0
	v_mov_b32_e32 v4, 0
	;; [unrolled: 1-line block ×3, first 2 shown]
	s_mov_b32 s23, exec_lo
	buffer_store_dword v3, off, s[0:3], s32 offset:1804 ; 4-byte Folded Spill
	buffer_store_dword v4, off, s[0:3], s32 offset:1808 ; 4-byte Folded Spill
	v_mov_b32_e32 v3, 0
	v_and_b32_sdwa v0, v2, v0 dst_sel:DWORD dst_unused:UNUSED_PAD src0_sel:WORD_1 src1_sel:DWORD
	v_mov_b32_e32 v4, 0
	buffer_store_dword v3, off, s[0:3], s32 offset:1812 ; 4-byte Folded Spill
	buffer_store_dword v4, off, s[0:3], s32 offset:1816 ; 4-byte Folded Spill
	v_cmpx_ne_u16_e32 0, v0
	s_cbranch_execz .LBB243_1579
; %bb.1572:                             ;   in Loop: Header=BB243_16 Depth=1
	v_cmp_ne_u16_e64 s5, 0x80, v0
	v_bfrev_b32_e32 v0, 1
	v_mov_b32_e32 v1, 0
	buffer_store_dword v0, off, s[0:3], s32 offset:1812 ; 4-byte Folded Spill
	buffer_store_dword v1, off, s[0:3], s32 offset:1816 ; 4-byte Folded Spill
	s_and_saveexec_b32 s24, s5
	s_cbranch_execz .LBB243_1578
; %bb.1573:                             ;   in Loop: Header=BB243_16 Depth=1
	v_mov_b32_e32 v3, 0x7f800001
	v_bfe_u32 v0, v2, 16, 7
	v_mov_b32_e32 v4, 0
	s_mov_b32 s25, exec_lo
	buffer_store_dword v3, off, s[0:3], s32 offset:1812 ; 4-byte Folded Spill
	buffer_store_dword v4, off, s[0:3], s32 offset:1816 ; 4-byte Folded Spill
	v_cmpx_ne_u32_e32 0x7f, v0
	s_cbranch_execz .LBB243_1577
; %bb.1574:                             ;   in Loop: Header=BB243_16 Depth=1
	v_mov_b32_e32 v1, 7
	v_lshrrev_b32_e32 v3, 3, v0
	v_cmp_gt_u32_e64 s5, 8, v0
	v_and_b32_sdwa v8, v2, v1 dst_sel:DWORD dst_unused:UNUSED_PAD src0_sel:WORD_1 src1_sel:DWORD
	v_mov_b32_e32 v0, v8
	v_mov_b32_e32 v1, v9
	s_and_saveexec_b32 s26, s5
; %bb.1575:                             ;   in Loop: Header=BB243_16 Depth=1
	v_ffbh_u32_e32 v0, v8
	v_min_u32_e32 v3, 32, v0
	v_subrev_nc_u32_e32 v0, 28, v3
	v_sub_nc_u32_e32 v3, 29, v3
	v_lshlrev_b64 v[0:1], v0, v[8:9]
	v_and_b32_e32 v0, 7, v0
; %bb.1576:                             ;   in Loop: Header=BB243_16 Depth=1
	s_or_b32 exec_lo, exec_lo, s26
	v_mov_b32_e32 v1, 24
	v_lshlrev_b32_e32 v0, 20, v0
	v_lshl_add_u32 v3, v3, 23, 0x3c000000
	v_lshlrev_b32_sdwa v1, v1, v2 dst_sel:DWORD dst_unused:UNUSED_PAD src0_sel:DWORD src1_sel:WORD_1
	v_and_b32_e32 v1, 0x80000000, v1
	v_or3_b32 v8, v0, v1, v3
	buffer_store_dword v8, off, s[0:3], s32 offset:1812 ; 4-byte Folded Spill
	buffer_store_dword v9, off, s[0:3], s32 offset:1816 ; 4-byte Folded Spill
.LBB243_1577:                           ;   in Loop: Header=BB243_16 Depth=1
	s_or_b32 exec_lo, exec_lo, s25
.LBB243_1578:                           ;   in Loop: Header=BB243_16 Depth=1
	s_or_b32 exec_lo, exec_lo, s24
.LBB243_1579:                           ;   in Loop: Header=BB243_16 Depth=1
	s_or_b32 exec_lo, exec_lo, s23
	s_mov_b32 s23, exec_lo
	v_cmpx_lt_u32_e32 0xffffff, v2
	s_cbranch_execz .LBB243_1587
; %bb.1580:                             ;   in Loop: Header=BB243_16 Depth=1
	v_mov_b32_e32 v0, 0x80
	v_mov_b32_e32 v46, v9
	buffer_store_dword v46, off, s[0:3], s32 offset:1804 ; 4-byte Folded Spill
	buffer_store_dword v47, off, s[0:3], s32 offset:1808 ; 4-byte Folded Spill
	v_cmp_ne_u32_sdwa s5, v2, v0 src0_sel:BYTE_3 src1_sel:DWORD
	s_and_saveexec_b32 s24, s5
	s_cbranch_execz .LBB243_1586
; %bb.1581:                             ;   in Loop: Header=BB243_16 Depth=1
	s_clause 0x1
	buffer_load_dword v3, off, s[0:3], s32 offset:200
	buffer_load_dword v4, off, s[0:3], s32 offset:204
	v_bfe_u32 v0, v2, 24, 7
	s_waitcnt vmcnt(1)
	v_mov_b32_e32 v3, v9
	s_mov_b32 s25, exec_lo
	s_waitcnt vmcnt(0)
	v_mov_b32_e32 v1, v4
	buffer_store_dword v0, off, s[0:3], s32 offset:200 ; 4-byte Folded Spill
	buffer_store_dword v1, off, s[0:3], s32 offset:204 ; 4-byte Folded Spill
	;; [unrolled: 1-line block ×4, first 2 shown]
	v_cmpx_ne_u32_e32 0x7f, v0
	s_cbranch_execz .LBB243_1585
; %bb.1582:                             ;   in Loop: Header=BB243_16 Depth=1
	v_mov_b32_e32 v1, 7
	v_lshrrev_b32_e32 v3, 3, v0
	v_cmp_gt_u32_e64 s5, 8, v0
	v_and_b32_sdwa v8, v2, v1 dst_sel:DWORD dst_unused:UNUSED_PAD src0_sel:BYTE_3 src1_sel:DWORD
	v_mov_b32_e32 v0, v8
	v_mov_b32_e32 v1, v9
	s_and_saveexec_b32 s26, s5
; %bb.1583:                             ;   in Loop: Header=BB243_16 Depth=1
	v_ffbh_u32_e32 v0, v8
	v_min_u32_e32 v3, 32, v0
	v_subrev_nc_u32_e32 v0, 28, v3
	v_sub_nc_u32_e32 v3, 29, v3
	v_lshlrev_b64 v[0:1], v0, v[8:9]
	v_and_b32_e32 v0, 7, v0
; %bb.1584:                             ;   in Loop: Header=BB243_16 Depth=1
	s_or_b32 exec_lo, exec_lo, s26
	v_mov_b32_e32 v1, 24
	v_lshlrev_b32_e32 v0, 20, v0
	v_lshlrev_b32_sdwa v1, v1, v2 dst_sel:DWORD dst_unused:UNUSED_PAD src0_sel:DWORD src1_sel:BYTE_3
	v_lshl_add_u32 v2, v3, 23, 0x3c000000
	v_and_b32_e32 v1, 0x80000000, v1
	v_or3_b32 v1, v0, v1, v2
	v_mov_b32_e32 v0, v9
	buffer_store_dword v0, off, s[0:3], s32 offset:1804 ; 4-byte Folded Spill
	buffer_store_dword v1, off, s[0:3], s32 offset:1808 ; 4-byte Folded Spill
.LBB243_1585:                           ;   in Loop: Header=BB243_16 Depth=1
	s_or_b32 exec_lo, exec_lo, s25
.LBB243_1586:                           ;   in Loop: Header=BB243_16 Depth=1
	s_or_b32 exec_lo, exec_lo, s24
.LBB243_1587:                           ;   in Loop: Header=BB243_16 Depth=1
	s_or_b32 exec_lo, exec_lo, s23
	flat_load_dword v2, v[68:69] offset:4
	v_mov_b32_e32 v0, 0
	v_mov_b32_e32 v1, 0
	buffer_store_dword v0, off, s[0:3], s32 offset:1828 ; 4-byte Folded Spill
	buffer_store_dword v1, off, s[0:3], s32 offset:1832 ; 4-byte Folded Spill
	v_mov_b32_e32 v0, 0
	v_mov_b32_e32 v1, 0
	buffer_store_dword v0, off, s[0:3], s32 offset:1820 ; 4-byte Folded Spill
	buffer_store_dword v1, off, s[0:3], s32 offset:1824 ; 4-byte Folded Spill
	s_waitcnt vmcnt(0) lgkmcnt(0)
	v_cmp_ne_u16_sdwa s5, v2, v9 src0_sel:BYTE_0 src1_sel:DWORD
	s_and_saveexec_b32 s23, s5
	s_cbranch_execz .LBB243_1595
; %bb.1588:                             ;   in Loop: Header=BB243_16 Depth=1
	v_bfrev_b32_e32 v0, 1
	v_mov_b32_e32 v1, 0
	buffer_store_dword v0, off, s[0:3], s32 offset:1820 ; 4-byte Folded Spill
	buffer_store_dword v1, off, s[0:3], s32 offset:1824 ; 4-byte Folded Spill
	v_mov_b32_e32 v0, 0x80
	v_cmp_ne_u16_sdwa s5, v2, v0 src0_sel:BYTE_0 src1_sel:DWORD
	s_and_saveexec_b32 s24, s5
	s_cbranch_execz .LBB243_1594
; %bb.1589:                             ;   in Loop: Header=BB243_16 Depth=1
	v_mov_b32_e32 v3, 0x7f800001
	v_and_b32_e32 v0, 0x7f, v2
	v_mov_b32_e32 v4, 0
	s_mov_b32 s25, exec_lo
	buffer_store_dword v3, off, s[0:3], s32 offset:1820 ; 4-byte Folded Spill
	buffer_store_dword v4, off, s[0:3], s32 offset:1824 ; 4-byte Folded Spill
	v_cmpx_ne_u32_e32 0x7f, v0
	s_cbranch_execz .LBB243_1593
; %bb.1590:                             ;   in Loop: Header=BB243_16 Depth=1
	v_and_b32_e32 v8, 7, v2
	v_lshrrev_b32_e32 v3, 3, v0
	v_cmp_gt_u32_e64 s5, 8, v0
	v_mov_b32_e32 v0, v8
	v_mov_b32_e32 v1, v9
	s_and_saveexec_b32 s26, s5
; %bb.1591:                             ;   in Loop: Header=BB243_16 Depth=1
	v_ffbh_u32_e32 v0, v8
	v_min_u32_e32 v3, 32, v0
	v_subrev_nc_u32_e32 v0, 28, v3
	v_sub_nc_u32_e32 v3, 29, v3
	v_lshlrev_b64 v[0:1], v0, v[8:9]
	v_and_b32_e32 v0, 7, v0
; %bb.1592:                             ;   in Loop: Header=BB243_16 Depth=1
	s_or_b32 exec_lo, exec_lo, s26
	v_lshlrev_b32_e32 v1, 24, v2
	v_lshlrev_b32_e32 v0, 20, v0
	v_lshl_add_u32 v3, v3, 23, 0x3c000000
	v_and_b32_e32 v1, 0x80000000, v1
	v_or3_b32 v8, v0, v1, v3
	buffer_store_dword v8, off, s[0:3], s32 offset:1820 ; 4-byte Folded Spill
	buffer_store_dword v9, off, s[0:3], s32 offset:1824 ; 4-byte Folded Spill
.LBB243_1593:                           ;   in Loop: Header=BB243_16 Depth=1
	s_or_b32 exec_lo, exec_lo, s25
.LBB243_1594:                           ;   in Loop: Header=BB243_16 Depth=1
	s_or_b32 exec_lo, exec_lo, s24
.LBB243_1595:                           ;   in Loop: Header=BB243_16 Depth=1
	s_or_b32 exec_lo, exec_lo, s23
	v_cmp_ne_u16_sdwa s5, v2, v9 src0_sel:BYTE_1 src1_sel:DWORD
	s_and_saveexec_b32 s23, s5
	s_cbranch_execz .LBB243_1603
; %bb.1596:                             ;   in Loop: Header=BB243_16 Depth=1
	v_mov_b32_e32 v0, 0x80
	v_mov_b32_e32 v46, v9
	buffer_store_dword v46, off, s[0:3], s32 offset:1828 ; 4-byte Folded Spill
	buffer_store_dword v47, off, s[0:3], s32 offset:1832 ; 4-byte Folded Spill
	v_cmp_ne_u16_sdwa s5, v2, v0 src0_sel:BYTE_1 src1_sel:DWORD
	s_and_saveexec_b32 s24, s5
	s_cbranch_execz .LBB243_1602
; %bb.1597:                             ;   in Loop: Header=BB243_16 Depth=1
	s_clause 0x1
	buffer_load_dword v3, off, s[0:3], s32 offset:200
	buffer_load_dword v4, off, s[0:3], s32 offset:204
	v_mov_b32_e32 v0, 0xffff
	s_mov_b32 s25, exec_lo
	v_and_b32_sdwa v1, v0, v2 dst_sel:DWORD dst_unused:UNUSED_PAD src0_sel:DWORD src1_sel:BYTE_1
	v_and_b32_e32 v0, 0x7f, v1
	s_waitcnt vmcnt(0)
	v_mov_b32_e32 v5, v4
	v_mov_b32_e32 v4, v9
	;; [unrolled: 1-line block ×3, first 2 shown]
	buffer_store_dword v2, off, s[0:3], s32 offset:200 ; 4-byte Folded Spill
	buffer_store_dword v3, off, s[0:3], s32 offset:204 ; 4-byte Folded Spill
	;; [unrolled: 1-line block ×4, first 2 shown]
	v_cmpx_ne_u32_e32 0x7f, v0
	s_cbranch_execz .LBB243_1601
; %bb.1598:                             ;   in Loop: Header=BB243_16 Depth=1
	v_and_b32_e32 v8, 7, v1
	v_lshrrev_b32_e32 v3, 3, v0
	v_cmp_gt_u32_e64 s5, 8, v0
	v_mov_b32_e32 v0, v8
	v_mov_b32_e32 v1, v9
	s_and_saveexec_b32 s26, s5
; %bb.1599:                             ;   in Loop: Header=BB243_16 Depth=1
	v_ffbh_u32_e32 v0, v8
	v_min_u32_e32 v3, 32, v0
	v_subrev_nc_u32_e32 v0, 28, v3
	v_sub_nc_u32_e32 v3, 29, v3
	v_lshlrev_b64 v[0:1], v0, v[8:9]
	v_and_b32_e32 v0, 7, v0
; %bb.1600:                             ;   in Loop: Header=BB243_16 Depth=1
	s_or_b32 exec_lo, exec_lo, s26
	v_lshlrev_b32_e32 v1, 16, v2
	v_lshlrev_b32_e32 v0, 20, v0
	v_lshl_add_u32 v3, v3, 23, 0x3c000000
	v_and_b32_e32 v1, 0x80000000, v1
	v_or3_b32 v1, v0, v1, v3
	v_mov_b32_e32 v0, v9
	buffer_store_dword v0, off, s[0:3], s32 offset:1828 ; 4-byte Folded Spill
	buffer_store_dword v1, off, s[0:3], s32 offset:1832 ; 4-byte Folded Spill
.LBB243_1601:                           ;   in Loop: Header=BB243_16 Depth=1
	s_or_b32 exec_lo, exec_lo, s25
.LBB243_1602:                           ;   in Loop: Header=BB243_16 Depth=1
	s_or_b32 exec_lo, exec_lo, s24
.LBB243_1603:                           ;   in Loop: Header=BB243_16 Depth=1
	s_or_b32 exec_lo, exec_lo, s23
	v_mov_b32_e32 v3, 0
	v_mov_b32_e32 v4, 0
	;; [unrolled: 1-line block ×3, first 2 shown]
	s_mov_b32 s23, exec_lo
	buffer_store_dword v3, off, s[0:3], s32 offset:1836 ; 4-byte Folded Spill
	buffer_store_dword v4, off, s[0:3], s32 offset:1840 ; 4-byte Folded Spill
	v_mov_b32_e32 v3, 0
	v_and_b32_sdwa v0, v2, v0 dst_sel:DWORD dst_unused:UNUSED_PAD src0_sel:WORD_1 src1_sel:DWORD
	v_mov_b32_e32 v4, 0
	buffer_store_dword v3, off, s[0:3], s32 offset:1844 ; 4-byte Folded Spill
	buffer_store_dword v4, off, s[0:3], s32 offset:1848 ; 4-byte Folded Spill
	v_cmpx_ne_u16_e32 0, v0
	s_cbranch_execz .LBB243_1611
; %bb.1604:                             ;   in Loop: Header=BB243_16 Depth=1
	v_cmp_ne_u16_e64 s5, 0x80, v0
	v_bfrev_b32_e32 v0, 1
	v_mov_b32_e32 v1, 0
	buffer_store_dword v0, off, s[0:3], s32 offset:1844 ; 4-byte Folded Spill
	buffer_store_dword v1, off, s[0:3], s32 offset:1848 ; 4-byte Folded Spill
	s_and_saveexec_b32 s24, s5
	s_cbranch_execz .LBB243_1610
; %bb.1605:                             ;   in Loop: Header=BB243_16 Depth=1
	v_mov_b32_e32 v3, 0x7f800001
	v_bfe_u32 v0, v2, 16, 7
	v_mov_b32_e32 v4, 0
	s_mov_b32 s25, exec_lo
	buffer_store_dword v3, off, s[0:3], s32 offset:1844 ; 4-byte Folded Spill
	buffer_store_dword v4, off, s[0:3], s32 offset:1848 ; 4-byte Folded Spill
	v_cmpx_ne_u32_e32 0x7f, v0
	s_cbranch_execz .LBB243_1609
; %bb.1606:                             ;   in Loop: Header=BB243_16 Depth=1
	v_mov_b32_e32 v1, 7
	v_lshrrev_b32_e32 v3, 3, v0
	v_cmp_gt_u32_e64 s5, 8, v0
	v_and_b32_sdwa v8, v2, v1 dst_sel:DWORD dst_unused:UNUSED_PAD src0_sel:WORD_1 src1_sel:DWORD
	v_mov_b32_e32 v0, v8
	v_mov_b32_e32 v1, v9
	s_and_saveexec_b32 s26, s5
; %bb.1607:                             ;   in Loop: Header=BB243_16 Depth=1
	v_ffbh_u32_e32 v0, v8
	v_min_u32_e32 v3, 32, v0
	v_subrev_nc_u32_e32 v0, 28, v3
	v_sub_nc_u32_e32 v3, 29, v3
	v_lshlrev_b64 v[0:1], v0, v[8:9]
	v_and_b32_e32 v0, 7, v0
; %bb.1608:                             ;   in Loop: Header=BB243_16 Depth=1
	s_or_b32 exec_lo, exec_lo, s26
	v_mov_b32_e32 v1, 24
	v_lshlrev_b32_e32 v0, 20, v0
	v_lshl_add_u32 v3, v3, 23, 0x3c000000
	v_lshlrev_b32_sdwa v1, v1, v2 dst_sel:DWORD dst_unused:UNUSED_PAD src0_sel:DWORD src1_sel:WORD_1
	v_and_b32_e32 v1, 0x80000000, v1
	v_or3_b32 v8, v0, v1, v3
	buffer_store_dword v8, off, s[0:3], s32 offset:1844 ; 4-byte Folded Spill
	buffer_store_dword v9, off, s[0:3], s32 offset:1848 ; 4-byte Folded Spill
.LBB243_1609:                           ;   in Loop: Header=BB243_16 Depth=1
	s_or_b32 exec_lo, exec_lo, s25
.LBB243_1610:                           ;   in Loop: Header=BB243_16 Depth=1
	s_or_b32 exec_lo, exec_lo, s24
.LBB243_1611:                           ;   in Loop: Header=BB243_16 Depth=1
	s_or_b32 exec_lo, exec_lo, s23
	s_mov_b32 s23, exec_lo
	v_cmpx_lt_u32_e32 0xffffff, v2
	s_cbranch_execz .LBB243_1619
; %bb.1612:                             ;   in Loop: Header=BB243_16 Depth=1
	v_mov_b32_e32 v0, 0x80
	v_mov_b32_e32 v46, v9
	buffer_store_dword v46, off, s[0:3], s32 offset:1836 ; 4-byte Folded Spill
	buffer_store_dword v47, off, s[0:3], s32 offset:1840 ; 4-byte Folded Spill
	v_cmp_ne_u32_sdwa s5, v2, v0 src0_sel:BYTE_3 src1_sel:DWORD
	s_and_saveexec_b32 s24, s5
	s_cbranch_execz .LBB243_1618
; %bb.1613:                             ;   in Loop: Header=BB243_16 Depth=1
	s_clause 0x1
	buffer_load_dword v3, off, s[0:3], s32 offset:200
	buffer_load_dword v4, off, s[0:3], s32 offset:204
	v_bfe_u32 v0, v2, 24, 7
	s_waitcnt vmcnt(1)
	v_mov_b32_e32 v3, v9
	s_mov_b32 s25, exec_lo
	s_waitcnt vmcnt(0)
	v_mov_b32_e32 v1, v4
	buffer_store_dword v0, off, s[0:3], s32 offset:200 ; 4-byte Folded Spill
	buffer_store_dword v1, off, s[0:3], s32 offset:204 ; 4-byte Folded Spill
	;; [unrolled: 1-line block ×4, first 2 shown]
	v_cmpx_ne_u32_e32 0x7f, v0
	s_cbranch_execz .LBB243_1617
; %bb.1614:                             ;   in Loop: Header=BB243_16 Depth=1
	v_mov_b32_e32 v1, 7
	v_lshrrev_b32_e32 v3, 3, v0
	v_cmp_gt_u32_e64 s5, 8, v0
	v_and_b32_sdwa v8, v2, v1 dst_sel:DWORD dst_unused:UNUSED_PAD src0_sel:BYTE_3 src1_sel:DWORD
	v_mov_b32_e32 v0, v8
	v_mov_b32_e32 v1, v9
	s_and_saveexec_b32 s26, s5
; %bb.1615:                             ;   in Loop: Header=BB243_16 Depth=1
	v_ffbh_u32_e32 v0, v8
	v_min_u32_e32 v3, 32, v0
	v_subrev_nc_u32_e32 v0, 28, v3
	v_sub_nc_u32_e32 v3, 29, v3
	v_lshlrev_b64 v[0:1], v0, v[8:9]
	v_and_b32_e32 v0, 7, v0
; %bb.1616:                             ;   in Loop: Header=BB243_16 Depth=1
	s_or_b32 exec_lo, exec_lo, s26
	v_mov_b32_e32 v1, 24
	v_lshlrev_b32_e32 v0, 20, v0
	v_lshlrev_b32_sdwa v1, v1, v2 dst_sel:DWORD dst_unused:UNUSED_PAD src0_sel:DWORD src1_sel:BYTE_3
	v_lshl_add_u32 v2, v3, 23, 0x3c000000
	v_and_b32_e32 v1, 0x80000000, v1
	v_or3_b32 v1, v0, v1, v2
	v_mov_b32_e32 v0, v9
	buffer_store_dword v0, off, s[0:3], s32 offset:1836 ; 4-byte Folded Spill
	buffer_store_dword v1, off, s[0:3], s32 offset:1840 ; 4-byte Folded Spill
.LBB243_1617:                           ;   in Loop: Header=BB243_16 Depth=1
	s_or_b32 exec_lo, exec_lo, s25
.LBB243_1618:                           ;   in Loop: Header=BB243_16 Depth=1
	s_or_b32 exec_lo, exec_lo, s24
.LBB243_1619:                           ;   in Loop: Header=BB243_16 Depth=1
	s_or_b32 exec_lo, exec_lo, s23
	flat_load_dword v2, v[68:69] offset:8
	v_mov_b32_e32 v52, 0
	v_mov_b32_e32 v0, 0
	;; [unrolled: 1-line block ×4, first 2 shown]
	buffer_store_dword v0, off, s[0:3], s32 offset:1852 ; 4-byte Folded Spill
	buffer_store_dword v1, off, s[0:3], s32 offset:1856 ; 4-byte Folded Spill
	s_waitcnt vmcnt(0) lgkmcnt(0)
	v_cmp_ne_u16_sdwa s5, v2, v9 src0_sel:BYTE_0 src1_sel:DWORD
	s_and_saveexec_b32 s23, s5
	s_cbranch_execz .LBB243_1627
; %bb.1620:                             ;   in Loop: Header=BB243_16 Depth=1
	v_bfrev_b32_e32 v0, 1
	v_mov_b32_e32 v1, 0
	buffer_store_dword v0, off, s[0:3], s32 offset:1852 ; 4-byte Folded Spill
	buffer_store_dword v1, off, s[0:3], s32 offset:1856 ; 4-byte Folded Spill
	v_mov_b32_e32 v0, 0x80
	v_cmp_ne_u16_sdwa s5, v2, v0 src0_sel:BYTE_0 src1_sel:DWORD
	s_and_saveexec_b32 s24, s5
	s_cbranch_execz .LBB243_1626
; %bb.1621:                             ;   in Loop: Header=BB243_16 Depth=1
	v_mov_b32_e32 v3, 0x7f800001
	v_and_b32_e32 v0, 0x7f, v2
	v_mov_b32_e32 v4, 0
	s_mov_b32 s25, exec_lo
	buffer_store_dword v3, off, s[0:3], s32 offset:1852 ; 4-byte Folded Spill
	buffer_store_dword v4, off, s[0:3], s32 offset:1856 ; 4-byte Folded Spill
	v_cmpx_ne_u32_e32 0x7f, v0
	s_cbranch_execz .LBB243_1625
; %bb.1622:                             ;   in Loop: Header=BB243_16 Depth=1
	v_and_b32_e32 v8, 7, v2
	v_lshrrev_b32_e32 v3, 3, v0
	v_cmp_gt_u32_e64 s5, 8, v0
	v_mov_b32_e32 v0, v8
	v_mov_b32_e32 v1, v9
	s_and_saveexec_b32 s26, s5
; %bb.1623:                             ;   in Loop: Header=BB243_16 Depth=1
	v_ffbh_u32_e32 v0, v8
	v_min_u32_e32 v3, 32, v0
	v_subrev_nc_u32_e32 v0, 28, v3
	v_sub_nc_u32_e32 v3, 29, v3
	v_lshlrev_b64 v[0:1], v0, v[8:9]
	v_and_b32_e32 v0, 7, v0
; %bb.1624:                             ;   in Loop: Header=BB243_16 Depth=1
	s_or_b32 exec_lo, exec_lo, s26
	v_lshlrev_b32_e32 v1, 24, v2
	v_lshlrev_b32_e32 v0, 20, v0
	v_lshl_add_u32 v3, v3, 23, 0x3c000000
	v_and_b32_e32 v1, 0x80000000, v1
	v_or3_b32 v8, v0, v1, v3
	buffer_store_dword v8, off, s[0:3], s32 offset:1852 ; 4-byte Folded Spill
	buffer_store_dword v9, off, s[0:3], s32 offset:1856 ; 4-byte Folded Spill
.LBB243_1625:                           ;   in Loop: Header=BB243_16 Depth=1
	s_or_b32 exec_lo, exec_lo, s25
.LBB243_1626:                           ;   in Loop: Header=BB243_16 Depth=1
	s_or_b32 exec_lo, exec_lo, s24
.LBB243_1627:                           ;   in Loop: Header=BB243_16 Depth=1
	s_or_b32 exec_lo, exec_lo, s23
	v_cmp_ne_u16_sdwa s5, v2, v9 src0_sel:BYTE_1 src1_sel:DWORD
	s_and_saveexec_b32 s23, s5
	s_cbranch_execz .LBB243_1635
; %bb.1628:                             ;   in Loop: Header=BB243_16 Depth=1
	v_mov_b32_e32 v46, v9
	v_mov_b32_e32 v0, 0x80
	;; [unrolled: 1-line block ×4, first 2 shown]
	v_cmp_ne_u16_sdwa s5, v2, v0 src0_sel:BYTE_1 src1_sel:DWORD
	s_and_saveexec_b32 s24, s5
	s_cbranch_execz .LBB243_1634
; %bb.1629:                             ;   in Loop: Header=BB243_16 Depth=1
	s_clause 0x1
	buffer_load_dword v52, off, s[0:3], s32 offset:200
	buffer_load_dword v53, off, s[0:3], s32 offset:204
	v_mov_b32_e32 v0, 0xffff
	s_waitcnt vmcnt(1)
	v_mov_b32_e32 v52, v9
	s_mov_b32 s25, exec_lo
	v_and_b32_sdwa v1, v0, v2 dst_sel:DWORD dst_unused:UNUSED_PAD src0_sel:DWORD src1_sel:BYTE_1
	v_and_b32_e32 v0, 0x7f, v1
	s_waitcnt vmcnt(0)
	v_mov_b32_e32 v3, v53
	buffer_store_dword v2, off, s[0:3], s32 offset:200 ; 4-byte Folded Spill
	buffer_store_dword v3, off, s[0:3], s32 offset:204 ; 4-byte Folded Spill
	v_cmpx_ne_u32_e32 0x7f, v0
	s_cbranch_execz .LBB243_1633
; %bb.1630:                             ;   in Loop: Header=BB243_16 Depth=1
	v_and_b32_e32 v8, 7, v1
	v_lshrrev_b32_e32 v3, 3, v0
	v_cmp_gt_u32_e64 s5, 8, v0
	v_mov_b32_e32 v0, v8
	v_mov_b32_e32 v1, v9
	s_and_saveexec_b32 s26, s5
; %bb.1631:                             ;   in Loop: Header=BB243_16 Depth=1
	v_ffbh_u32_e32 v0, v8
	v_min_u32_e32 v3, 32, v0
	v_subrev_nc_u32_e32 v0, 28, v3
	v_sub_nc_u32_e32 v3, 29, v3
	v_lshlrev_b64 v[0:1], v0, v[8:9]
	v_and_b32_e32 v0, 7, v0
; %bb.1632:                             ;   in Loop: Header=BB243_16 Depth=1
	s_or_b32 exec_lo, exec_lo, s26
	v_lshlrev_b32_e32 v1, 16, v2
	v_lshlrev_b32_e32 v0, 20, v0
	v_lshl_add_u32 v3, v3, 23, 0x3c000000
	v_mov_b32_e32 v52, v9
	v_and_b32_e32 v1, 0x80000000, v1
	v_or3_b32 v53, v0, v1, v3
.LBB243_1633:                           ;   in Loop: Header=BB243_16 Depth=1
	s_or_b32 exec_lo, exec_lo, s25
.LBB243_1634:                           ;   in Loop: Header=BB243_16 Depth=1
	s_or_b32 exec_lo, exec_lo, s24
.LBB243_1635:                           ;   in Loop: Header=BB243_16 Depth=1
	s_or_b32 exec_lo, exec_lo, s23
	v_mov_b32_e32 v0, 0xff
	v_mov_b32_e32 v100, 0
	;; [unrolled: 1-line block ×5, first 2 shown]
	v_and_b32_sdwa v0, v2, v0 dst_sel:DWORD dst_unused:UNUSED_PAD src0_sel:WORD_1 src1_sel:DWORD
	s_mov_b32 s23, exec_lo
	v_cmpx_ne_u16_e32 0, v0
	s_cbranch_execz .LBB243_1643
; %bb.1636:                             ;   in Loop: Header=BB243_16 Depth=1
	v_bfrev_b32_e32 v38, 1
	v_mov_b32_e32 v39, 0
	s_mov_b32 s24, exec_lo
	v_cmpx_ne_u16_e32 0x80, v0
	s_cbranch_execz .LBB243_1642
; %bb.1637:                             ;   in Loop: Header=BB243_16 Depth=1
	v_mov_b32_e32 v38, 0x7f800001
	v_bfe_u32 v0, v2, 16, 7
	v_mov_b32_e32 v39, 0
	s_mov_b32 s25, exec_lo
	v_cmpx_ne_u32_e32 0x7f, v0
	s_cbranch_execz .LBB243_1641
; %bb.1638:                             ;   in Loop: Header=BB243_16 Depth=1
	v_mov_b32_e32 v1, 7
	v_lshrrev_b32_e32 v3, 3, v0
	v_cmp_gt_u32_e64 s5, 8, v0
	v_and_b32_sdwa v8, v2, v1 dst_sel:DWORD dst_unused:UNUSED_PAD src0_sel:WORD_1 src1_sel:DWORD
	v_mov_b32_e32 v0, v8
	v_mov_b32_e32 v1, v9
	s_and_saveexec_b32 s26, s5
; %bb.1639:                             ;   in Loop: Header=BB243_16 Depth=1
	v_ffbh_u32_e32 v0, v8
	v_min_u32_e32 v3, 32, v0
	v_subrev_nc_u32_e32 v0, 28, v3
	v_sub_nc_u32_e32 v3, 29, v3
	v_lshlrev_b64 v[0:1], v0, v[8:9]
	v_and_b32_e32 v0, 7, v0
; %bb.1640:                             ;   in Loop: Header=BB243_16 Depth=1
	s_or_b32 exec_lo, exec_lo, s26
	v_mov_b32_e32 v1, 24
	v_lshlrev_b32_e32 v0, 20, v0
	v_lshl_add_u32 v3, v3, 23, 0x3c000000
	v_lshlrev_b32_sdwa v1, v1, v2 dst_sel:DWORD dst_unused:UNUSED_PAD src0_sel:DWORD src1_sel:WORD_1
	v_and_b32_e32 v1, 0x80000000, v1
	v_or3_b32 v8, v0, v1, v3
	v_mov_b32_e32 v39, v9
	v_mov_b32_e32 v38, v8
.LBB243_1641:                           ;   in Loop: Header=BB243_16 Depth=1
	s_or_b32 exec_lo, exec_lo, s25
.LBB243_1642:                           ;   in Loop: Header=BB243_16 Depth=1
	s_or_b32 exec_lo, exec_lo, s24
.LBB243_1643:                           ;   in Loop: Header=BB243_16 Depth=1
	s_or_b32 exec_lo, exec_lo, s23
	s_mov_b32 s23, exec_lo
	v_cmpx_lt_u32_e32 0xffffff, v2
	s_cbranch_execz .LBB243_1651
; %bb.1644:                             ;   in Loop: Header=BB243_16 Depth=1
	v_mov_b32_e32 v46, v9
	v_mov_b32_e32 v0, 0x80
	v_mov_b32_e32 v101, v47
	v_mov_b32_e32 v100, v46
	v_cmp_ne_u32_sdwa s5, v2, v0 src0_sel:BYTE_3 src1_sel:DWORD
	s_and_saveexec_b32 s24, s5
	s_cbranch_execz .LBB243_1650
; %bb.1645:                             ;   in Loop: Header=BB243_16 Depth=1
	s_clause 0x1
	buffer_load_dword v100, off, s[0:3], s32 offset:200
	buffer_load_dword v101, off, s[0:3], s32 offset:204
	v_bfe_u32 v0, v2, 24, 7
	s_waitcnt vmcnt(1)
	v_mov_b32_e32 v100, v9
	s_mov_b32 s25, exec_lo
	s_waitcnt vmcnt(0)
	v_mov_b32_e32 v1, v101
	buffer_store_dword v0, off, s[0:3], s32 offset:200 ; 4-byte Folded Spill
	buffer_store_dword v1, off, s[0:3], s32 offset:204 ; 4-byte Folded Spill
	v_cmpx_ne_u32_e32 0x7f, v0
	s_cbranch_execz .LBB243_1649
; %bb.1646:                             ;   in Loop: Header=BB243_16 Depth=1
	v_mov_b32_e32 v1, 7
	v_lshrrev_b32_e32 v3, 3, v0
	v_cmp_gt_u32_e64 s5, 8, v0
	v_and_b32_sdwa v8, v2, v1 dst_sel:DWORD dst_unused:UNUSED_PAD src0_sel:BYTE_3 src1_sel:DWORD
	v_mov_b32_e32 v0, v8
	v_mov_b32_e32 v1, v9
	s_and_saveexec_b32 s26, s5
; %bb.1647:                             ;   in Loop: Header=BB243_16 Depth=1
	v_ffbh_u32_e32 v0, v8
	v_min_u32_e32 v3, 32, v0
	v_subrev_nc_u32_e32 v0, 28, v3
	v_sub_nc_u32_e32 v3, 29, v3
	v_lshlrev_b64 v[0:1], v0, v[8:9]
	v_and_b32_e32 v0, 7, v0
; %bb.1648:                             ;   in Loop: Header=BB243_16 Depth=1
	s_or_b32 exec_lo, exec_lo, s26
	v_mov_b32_e32 v1, 24
	v_lshlrev_b32_e32 v0, 20, v0
	v_mov_b32_e32 v100, v9
	v_lshlrev_b32_sdwa v1, v1, v2 dst_sel:DWORD dst_unused:UNUSED_PAD src0_sel:DWORD src1_sel:BYTE_3
	v_lshl_add_u32 v2, v3, 23, 0x3c000000
	v_and_b32_e32 v1, 0x80000000, v1
	v_or3_b32 v101, v0, v1, v2
.LBB243_1649:                           ;   in Loop: Header=BB243_16 Depth=1
	s_or_b32 exec_lo, exec_lo, s25
.LBB243_1650:                           ;   in Loop: Header=BB243_16 Depth=1
	s_or_b32 exec_lo, exec_lo, s24
.LBB243_1651:                           ;   in Loop: Header=BB243_16 Depth=1
	s_or_b32 exec_lo, exec_lo, s23
	flat_load_dword v2, v[68:69] offset:12
	v_mov_b32_e32 v54, 0
	v_mov_b32_e32 v88, 0
	;; [unrolled: 1-line block ×4, first 2 shown]
	s_waitcnt vmcnt(0) lgkmcnt(0)
	v_cmp_ne_u16_sdwa s5, v2, v9 src0_sel:BYTE_0 src1_sel:DWORD
	s_and_saveexec_b32 s23, s5
	s_cbranch_execz .LBB243_1659
; %bb.1652:                             ;   in Loop: Header=BB243_16 Depth=1
	v_mov_b32_e32 v0, 0x80
	v_bfrev_b32_e32 v88, 1
	v_mov_b32_e32 v89, 0
	v_cmp_ne_u16_sdwa s5, v2, v0 src0_sel:BYTE_0 src1_sel:DWORD
	s_and_saveexec_b32 s24, s5
	s_cbranch_execz .LBB243_1658
; %bb.1653:                             ;   in Loop: Header=BB243_16 Depth=1
	v_mov_b32_e32 v88, 0x7f800001
	v_and_b32_e32 v0, 0x7f, v2
	v_mov_b32_e32 v89, 0
	s_mov_b32 s25, exec_lo
	v_cmpx_ne_u32_e32 0x7f, v0
	s_cbranch_execz .LBB243_1657
; %bb.1654:                             ;   in Loop: Header=BB243_16 Depth=1
	v_and_b32_e32 v8, 7, v2
	v_lshrrev_b32_e32 v3, 3, v0
	v_cmp_gt_u32_e64 s5, 8, v0
	v_mov_b32_e32 v0, v8
	v_mov_b32_e32 v1, v9
	s_and_saveexec_b32 s26, s5
; %bb.1655:                             ;   in Loop: Header=BB243_16 Depth=1
	v_ffbh_u32_e32 v0, v8
	v_min_u32_e32 v3, 32, v0
	v_subrev_nc_u32_e32 v0, 28, v3
	v_sub_nc_u32_e32 v3, 29, v3
	v_lshlrev_b64 v[0:1], v0, v[8:9]
	v_and_b32_e32 v0, 7, v0
; %bb.1656:                             ;   in Loop: Header=BB243_16 Depth=1
	s_or_b32 exec_lo, exec_lo, s26
	v_lshlrev_b32_e32 v1, 24, v2
	v_lshlrev_b32_e32 v0, 20, v0
	v_lshl_add_u32 v3, v3, 23, 0x3c000000
	v_and_b32_e32 v1, 0x80000000, v1
	v_or3_b32 v8, v0, v1, v3
	v_mov_b32_e32 v89, v9
	v_mov_b32_e32 v88, v8
.LBB243_1657:                           ;   in Loop: Header=BB243_16 Depth=1
	s_or_b32 exec_lo, exec_lo, s25
.LBB243_1658:                           ;   in Loop: Header=BB243_16 Depth=1
	s_or_b32 exec_lo, exec_lo, s24
.LBB243_1659:                           ;   in Loop: Header=BB243_16 Depth=1
	s_or_b32 exec_lo, exec_lo, s23
	v_cmp_ne_u16_sdwa s5, v2, v9 src0_sel:BYTE_1 src1_sel:DWORD
	s_and_saveexec_b32 s23, s5
	s_cbranch_execz .LBB243_1667
; %bb.1660:                             ;   in Loop: Header=BB243_16 Depth=1
	v_mov_b32_e32 v46, v9
	v_mov_b32_e32 v0, 0x80
	;; [unrolled: 1-line block ×4, first 2 shown]
	v_cmp_ne_u16_sdwa s5, v2, v0 src0_sel:BYTE_1 src1_sel:DWORD
	s_and_saveexec_b32 s24, s5
	s_cbranch_execz .LBB243_1666
; %bb.1661:                             ;   in Loop: Header=BB243_16 Depth=1
	s_clause 0x1
	buffer_load_dword v54, off, s[0:3], s32 offset:200
	buffer_load_dword v55, off, s[0:3], s32 offset:204
	v_mov_b32_e32 v0, 0xffff
	s_waitcnt vmcnt(1)
	v_mov_b32_e32 v54, v9
	s_mov_b32 s25, exec_lo
	v_and_b32_sdwa v1, v0, v2 dst_sel:DWORD dst_unused:UNUSED_PAD src0_sel:DWORD src1_sel:BYTE_1
	v_and_b32_e32 v0, 0x7f, v1
	s_waitcnt vmcnt(0)
	v_mov_b32_e32 v3, v55
	buffer_store_dword v2, off, s[0:3], s32 offset:200 ; 4-byte Folded Spill
	buffer_store_dword v3, off, s[0:3], s32 offset:204 ; 4-byte Folded Spill
	v_cmpx_ne_u32_e32 0x7f, v0
	s_cbranch_execz .LBB243_1665
; %bb.1662:                             ;   in Loop: Header=BB243_16 Depth=1
	v_and_b32_e32 v8, 7, v1
	v_lshrrev_b32_e32 v3, 3, v0
	v_cmp_gt_u32_e64 s5, 8, v0
	v_mov_b32_e32 v0, v8
	v_mov_b32_e32 v1, v9
	s_and_saveexec_b32 s26, s5
; %bb.1663:                             ;   in Loop: Header=BB243_16 Depth=1
	v_ffbh_u32_e32 v0, v8
	v_min_u32_e32 v3, 32, v0
	v_subrev_nc_u32_e32 v0, 28, v3
	v_sub_nc_u32_e32 v3, 29, v3
	v_lshlrev_b64 v[0:1], v0, v[8:9]
	v_and_b32_e32 v0, 7, v0
; %bb.1664:                             ;   in Loop: Header=BB243_16 Depth=1
	s_or_b32 exec_lo, exec_lo, s26
	v_lshlrev_b32_e32 v1, 16, v2
	v_lshlrev_b32_e32 v0, 20, v0
	v_lshl_add_u32 v3, v3, 23, 0x3c000000
	v_mov_b32_e32 v54, v9
	v_and_b32_e32 v1, 0x80000000, v1
	v_or3_b32 v55, v0, v1, v3
.LBB243_1665:                           ;   in Loop: Header=BB243_16 Depth=1
	s_or_b32 exec_lo, exec_lo, s25
.LBB243_1666:                           ;   in Loop: Header=BB243_16 Depth=1
	s_or_b32 exec_lo, exec_lo, s24
.LBB243_1667:                           ;   in Loop: Header=BB243_16 Depth=1
	s_or_b32 exec_lo, exec_lo, s23
	v_mov_b32_e32 v0, 0xff
	v_mov_b32_e32 v62, 0
	;; [unrolled: 1-line block ×5, first 2 shown]
	v_and_b32_sdwa v0, v2, v0 dst_sel:DWORD dst_unused:UNUSED_PAD src0_sel:WORD_1 src1_sel:DWORD
	s_mov_b32 s23, exec_lo
	v_cmpx_ne_u16_e32 0, v0
	s_cbranch_execz .LBB243_1675
; %bb.1668:                             ;   in Loop: Header=BB243_16 Depth=1
	v_bfrev_b32_e32 v110, 1
	v_mov_b32_e32 v111, 0
	s_mov_b32 s24, exec_lo
	v_cmpx_ne_u16_e32 0x80, v0
	s_cbranch_execz .LBB243_1674
; %bb.1669:                             ;   in Loop: Header=BB243_16 Depth=1
	v_mov_b32_e32 v110, 0x7f800001
	v_bfe_u32 v0, v2, 16, 7
	v_mov_b32_e32 v111, 0
	s_mov_b32 s25, exec_lo
	v_cmpx_ne_u32_e32 0x7f, v0
	s_cbranch_execz .LBB243_1673
; %bb.1670:                             ;   in Loop: Header=BB243_16 Depth=1
	v_mov_b32_e32 v1, 7
	v_lshrrev_b32_e32 v3, 3, v0
	v_cmp_gt_u32_e64 s5, 8, v0
	v_and_b32_sdwa v8, v2, v1 dst_sel:DWORD dst_unused:UNUSED_PAD src0_sel:WORD_1 src1_sel:DWORD
	v_mov_b32_e32 v0, v8
	v_mov_b32_e32 v1, v9
	s_and_saveexec_b32 s26, s5
; %bb.1671:                             ;   in Loop: Header=BB243_16 Depth=1
	v_ffbh_u32_e32 v0, v8
	v_min_u32_e32 v3, 32, v0
	v_subrev_nc_u32_e32 v0, 28, v3
	v_sub_nc_u32_e32 v3, 29, v3
	v_lshlrev_b64 v[0:1], v0, v[8:9]
	v_and_b32_e32 v0, 7, v0
; %bb.1672:                             ;   in Loop: Header=BB243_16 Depth=1
	s_or_b32 exec_lo, exec_lo, s26
	v_mov_b32_e32 v1, 24
	v_lshlrev_b32_e32 v0, 20, v0
	v_lshl_add_u32 v3, v3, 23, 0x3c000000
	v_lshlrev_b32_sdwa v1, v1, v2 dst_sel:DWORD dst_unused:UNUSED_PAD src0_sel:DWORD src1_sel:WORD_1
	v_and_b32_e32 v1, 0x80000000, v1
	v_or3_b32 v8, v0, v1, v3
	v_mov_b32_e32 v111, v9
	v_mov_b32_e32 v110, v8
.LBB243_1673:                           ;   in Loop: Header=BB243_16 Depth=1
	s_or_b32 exec_lo, exec_lo, s25
.LBB243_1674:                           ;   in Loop: Header=BB243_16 Depth=1
	s_or_b32 exec_lo, exec_lo, s24
.LBB243_1675:                           ;   in Loop: Header=BB243_16 Depth=1
	s_or_b32 exec_lo, exec_lo, s23
	s_mov_b32 s23, exec_lo
	v_cmpx_lt_u32_e32 0xffffff, v2
	s_cbranch_execz .LBB243_1683
; %bb.1676:                             ;   in Loop: Header=BB243_16 Depth=1
	v_mov_b32_e32 v46, v9
	v_mov_b32_e32 v0, 0x80
	;; [unrolled: 1-line block ×4, first 2 shown]
	v_cmp_ne_u32_sdwa s5, v2, v0 src0_sel:BYTE_3 src1_sel:DWORD
	s_and_saveexec_b32 s24, s5
	s_cbranch_execz .LBB243_1682
; %bb.1677:                             ;   in Loop: Header=BB243_16 Depth=1
	s_clause 0x1
	buffer_load_dword v62, off, s[0:3], s32 offset:200
	buffer_load_dword v63, off, s[0:3], s32 offset:204
	v_bfe_u32 v0, v2, 24, 7
	s_waitcnt vmcnt(1)
	v_mov_b32_e32 v62, v9
	s_mov_b32 s25, exec_lo
	s_waitcnt vmcnt(0)
	v_mov_b32_e32 v1, v63
	buffer_store_dword v0, off, s[0:3], s32 offset:200 ; 4-byte Folded Spill
	buffer_store_dword v1, off, s[0:3], s32 offset:204 ; 4-byte Folded Spill
	v_cmpx_ne_u32_e32 0x7f, v0
	s_cbranch_execz .LBB243_1681
; %bb.1678:                             ;   in Loop: Header=BB243_16 Depth=1
	v_mov_b32_e32 v1, 7
	v_lshrrev_b32_e32 v3, 3, v0
	v_cmp_gt_u32_e64 s5, 8, v0
	v_and_b32_sdwa v8, v2, v1 dst_sel:DWORD dst_unused:UNUSED_PAD src0_sel:BYTE_3 src1_sel:DWORD
	v_mov_b32_e32 v0, v8
	v_mov_b32_e32 v1, v9
	s_and_saveexec_b32 s26, s5
; %bb.1679:                             ;   in Loop: Header=BB243_16 Depth=1
	v_ffbh_u32_e32 v0, v8
	v_min_u32_e32 v3, 32, v0
	v_subrev_nc_u32_e32 v0, 28, v3
	v_sub_nc_u32_e32 v3, 29, v3
	v_lshlrev_b64 v[0:1], v0, v[8:9]
	v_and_b32_e32 v0, 7, v0
; %bb.1680:                             ;   in Loop: Header=BB243_16 Depth=1
	s_or_b32 exec_lo, exec_lo, s26
	v_mov_b32_e32 v1, 24
	v_lshlrev_b32_e32 v0, 20, v0
	v_mov_b32_e32 v62, v9
	v_lshlrev_b32_sdwa v1, v1, v2 dst_sel:DWORD dst_unused:UNUSED_PAD src0_sel:DWORD src1_sel:BYTE_3
	v_lshl_add_u32 v2, v3, 23, 0x3c000000
	v_and_b32_e32 v1, 0x80000000, v1
	v_or3_b32 v63, v0, v1, v2
.LBB243_1681:                           ;   in Loop: Header=BB243_16 Depth=1
	s_or_b32 exec_lo, exec_lo, s25
.LBB243_1682:                           ;   in Loop: Header=BB243_16 Depth=1
	s_or_b32 exec_lo, exec_lo, s24
.LBB243_1683:                           ;   in Loop: Header=BB243_16 Depth=1
	s_or_b32 exec_lo, exec_lo, s23
	flat_load_dword v2, v[68:69] offset:512
	v_mov_b32_e32 v74, 0
	v_mov_b32_e32 v104, 0
	;; [unrolled: 1-line block ×4, first 2 shown]
	s_waitcnt vmcnt(0) lgkmcnt(0)
	v_cmp_ne_u16_sdwa s5, v2, v9 src0_sel:BYTE_0 src1_sel:DWORD
	s_and_saveexec_b32 s23, s5
	s_cbranch_execz .LBB243_1691
; %bb.1684:                             ;   in Loop: Header=BB243_16 Depth=1
	v_mov_b32_e32 v0, 0x80
	v_bfrev_b32_e32 v104, 1
	v_mov_b32_e32 v105, 0
	v_cmp_ne_u16_sdwa s5, v2, v0 src0_sel:BYTE_0 src1_sel:DWORD
	s_and_saveexec_b32 s24, s5
	s_cbranch_execz .LBB243_1690
; %bb.1685:                             ;   in Loop: Header=BB243_16 Depth=1
	v_mov_b32_e32 v104, 0x7f800001
	v_and_b32_e32 v0, 0x7f, v2
	v_mov_b32_e32 v105, 0
	s_mov_b32 s25, exec_lo
	v_cmpx_ne_u32_e32 0x7f, v0
	s_cbranch_execz .LBB243_1689
; %bb.1686:                             ;   in Loop: Header=BB243_16 Depth=1
	v_and_b32_e32 v8, 7, v2
	v_lshrrev_b32_e32 v3, 3, v0
	v_cmp_gt_u32_e64 s5, 8, v0
	v_mov_b32_e32 v0, v8
	v_mov_b32_e32 v1, v9
	s_and_saveexec_b32 s26, s5
; %bb.1687:                             ;   in Loop: Header=BB243_16 Depth=1
	v_ffbh_u32_e32 v0, v8
	v_min_u32_e32 v3, 32, v0
	v_subrev_nc_u32_e32 v0, 28, v3
	v_sub_nc_u32_e32 v3, 29, v3
	v_lshlrev_b64 v[0:1], v0, v[8:9]
	v_and_b32_e32 v0, 7, v0
; %bb.1688:                             ;   in Loop: Header=BB243_16 Depth=1
	s_or_b32 exec_lo, exec_lo, s26
	v_lshlrev_b32_e32 v1, 24, v2
	v_lshlrev_b32_e32 v0, 20, v0
	v_lshl_add_u32 v3, v3, 23, 0x3c000000
	v_and_b32_e32 v1, 0x80000000, v1
	v_or3_b32 v8, v0, v1, v3
	v_mov_b32_e32 v105, v9
	v_mov_b32_e32 v104, v8
.LBB243_1689:                           ;   in Loop: Header=BB243_16 Depth=1
	s_or_b32 exec_lo, exec_lo, s25
.LBB243_1690:                           ;   in Loop: Header=BB243_16 Depth=1
	s_or_b32 exec_lo, exec_lo, s24
.LBB243_1691:                           ;   in Loop: Header=BB243_16 Depth=1
	s_or_b32 exec_lo, exec_lo, s23
	v_cmp_ne_u16_sdwa s5, v2, v9 src0_sel:BYTE_1 src1_sel:DWORD
	s_and_saveexec_b32 s23, s5
	s_cbranch_execz .LBB243_1699
; %bb.1692:                             ;   in Loop: Header=BB243_16 Depth=1
	v_mov_b32_e32 v46, v9
	v_mov_b32_e32 v0, 0x80
	;; [unrolled: 1-line block ×4, first 2 shown]
	v_cmp_ne_u16_sdwa s5, v2, v0 src0_sel:BYTE_1 src1_sel:DWORD
	s_and_saveexec_b32 s24, s5
	s_cbranch_execz .LBB243_1698
; %bb.1693:                             ;   in Loop: Header=BB243_16 Depth=1
	s_clause 0x1
	buffer_load_dword v74, off, s[0:3], s32 offset:200
	buffer_load_dword v75, off, s[0:3], s32 offset:204
	v_mov_b32_e32 v0, 0xffff
	s_waitcnt vmcnt(1)
	v_mov_b32_e32 v74, v9
	s_mov_b32 s25, exec_lo
	v_and_b32_sdwa v1, v0, v2 dst_sel:DWORD dst_unused:UNUSED_PAD src0_sel:DWORD src1_sel:BYTE_1
	v_and_b32_e32 v0, 0x7f, v1
	s_waitcnt vmcnt(0)
	v_mov_b32_e32 v3, v75
	buffer_store_dword v2, off, s[0:3], s32 offset:200 ; 4-byte Folded Spill
	buffer_store_dword v3, off, s[0:3], s32 offset:204 ; 4-byte Folded Spill
	v_cmpx_ne_u32_e32 0x7f, v0
	s_cbranch_execz .LBB243_1697
; %bb.1694:                             ;   in Loop: Header=BB243_16 Depth=1
	v_and_b32_e32 v8, 7, v1
	v_lshrrev_b32_e32 v3, 3, v0
	v_cmp_gt_u32_e64 s5, 8, v0
	v_mov_b32_e32 v0, v8
	v_mov_b32_e32 v1, v9
	s_and_saveexec_b32 s26, s5
; %bb.1695:                             ;   in Loop: Header=BB243_16 Depth=1
	v_ffbh_u32_e32 v0, v8
	v_min_u32_e32 v3, 32, v0
	v_subrev_nc_u32_e32 v0, 28, v3
	v_sub_nc_u32_e32 v3, 29, v3
	v_lshlrev_b64 v[0:1], v0, v[8:9]
	v_and_b32_e32 v0, 7, v0
; %bb.1696:                             ;   in Loop: Header=BB243_16 Depth=1
	s_or_b32 exec_lo, exec_lo, s26
	v_lshlrev_b32_e32 v1, 16, v2
	v_lshlrev_b32_e32 v0, 20, v0
	v_lshl_add_u32 v3, v3, 23, 0x3c000000
	v_mov_b32_e32 v74, v9
	v_and_b32_e32 v1, 0x80000000, v1
	v_or3_b32 v75, v0, v1, v3
.LBB243_1697:                           ;   in Loop: Header=BB243_16 Depth=1
	s_or_b32 exec_lo, exec_lo, s25
.LBB243_1698:                           ;   in Loop: Header=BB243_16 Depth=1
	s_or_b32 exec_lo, exec_lo, s24
.LBB243_1699:                           ;   in Loop: Header=BB243_16 Depth=1
	s_or_b32 exec_lo, exec_lo, s23
	v_mov_b32_e32 v0, 0xff
	v_mov_b32_e32 v72, 0
	;; [unrolled: 1-line block ×5, first 2 shown]
	v_and_b32_sdwa v0, v2, v0 dst_sel:DWORD dst_unused:UNUSED_PAD src0_sel:WORD_1 src1_sel:DWORD
	s_mov_b32 s23, exec_lo
	v_cmpx_ne_u16_e32 0, v0
	s_cbranch_execz .LBB243_1707
; %bb.1700:                             ;   in Loop: Header=BB243_16 Depth=1
	v_bfrev_b32_e32 v66, 1
	v_mov_b32_e32 v67, 0
	s_mov_b32 s24, exec_lo
	v_cmpx_ne_u16_e32 0x80, v0
	s_cbranch_execz .LBB243_1706
; %bb.1701:                             ;   in Loop: Header=BB243_16 Depth=1
	v_mov_b32_e32 v66, 0x7f800001
	v_bfe_u32 v0, v2, 16, 7
	v_mov_b32_e32 v67, 0
	s_mov_b32 s25, exec_lo
	v_cmpx_ne_u32_e32 0x7f, v0
	s_cbranch_execz .LBB243_1705
; %bb.1702:                             ;   in Loop: Header=BB243_16 Depth=1
	v_mov_b32_e32 v1, 7
	v_lshrrev_b32_e32 v3, 3, v0
	v_cmp_gt_u32_e64 s5, 8, v0
	v_and_b32_sdwa v8, v2, v1 dst_sel:DWORD dst_unused:UNUSED_PAD src0_sel:WORD_1 src1_sel:DWORD
	v_mov_b32_e32 v0, v8
	v_mov_b32_e32 v1, v9
	s_and_saveexec_b32 s26, s5
; %bb.1703:                             ;   in Loop: Header=BB243_16 Depth=1
	v_ffbh_u32_e32 v0, v8
	v_min_u32_e32 v3, 32, v0
	v_subrev_nc_u32_e32 v0, 28, v3
	v_sub_nc_u32_e32 v3, 29, v3
	v_lshlrev_b64 v[0:1], v0, v[8:9]
	v_and_b32_e32 v0, 7, v0
; %bb.1704:                             ;   in Loop: Header=BB243_16 Depth=1
	s_or_b32 exec_lo, exec_lo, s26
	v_mov_b32_e32 v1, 24
	v_lshlrev_b32_e32 v0, 20, v0
	v_lshl_add_u32 v3, v3, 23, 0x3c000000
	v_lshlrev_b32_sdwa v1, v1, v2 dst_sel:DWORD dst_unused:UNUSED_PAD src0_sel:DWORD src1_sel:WORD_1
	v_and_b32_e32 v1, 0x80000000, v1
	v_or3_b32 v8, v0, v1, v3
	v_mov_b32_e32 v67, v9
	v_mov_b32_e32 v66, v8
.LBB243_1705:                           ;   in Loop: Header=BB243_16 Depth=1
	s_or_b32 exec_lo, exec_lo, s25
.LBB243_1706:                           ;   in Loop: Header=BB243_16 Depth=1
	s_or_b32 exec_lo, exec_lo, s24
.LBB243_1707:                           ;   in Loop: Header=BB243_16 Depth=1
	s_or_b32 exec_lo, exec_lo, s23
	s_mov_b32 s23, exec_lo
	v_cmpx_lt_u32_e32 0xffffff, v2
	s_cbranch_execz .LBB243_1715
; %bb.1708:                             ;   in Loop: Header=BB243_16 Depth=1
	v_mov_b32_e32 v46, v9
	v_mov_b32_e32 v0, 0x80
	;; [unrolled: 1-line block ×4, first 2 shown]
	v_cmp_ne_u32_sdwa s5, v2, v0 src0_sel:BYTE_3 src1_sel:DWORD
	s_and_saveexec_b32 s24, s5
	s_cbranch_execz .LBB243_1714
; %bb.1709:                             ;   in Loop: Header=BB243_16 Depth=1
	s_clause 0x1
	buffer_load_dword v72, off, s[0:3], s32 offset:200
	buffer_load_dword v73, off, s[0:3], s32 offset:204
	v_bfe_u32 v0, v2, 24, 7
	s_waitcnt vmcnt(1)
	v_mov_b32_e32 v72, v9
	s_mov_b32 s25, exec_lo
	s_waitcnt vmcnt(0)
	v_mov_b32_e32 v1, v73
	buffer_store_dword v0, off, s[0:3], s32 offset:200 ; 4-byte Folded Spill
	buffer_store_dword v1, off, s[0:3], s32 offset:204 ; 4-byte Folded Spill
	v_cmpx_ne_u32_e32 0x7f, v0
	s_cbranch_execz .LBB243_1713
; %bb.1710:                             ;   in Loop: Header=BB243_16 Depth=1
	v_mov_b32_e32 v1, 7
	v_lshrrev_b32_e32 v3, 3, v0
	v_cmp_gt_u32_e64 s5, 8, v0
	v_and_b32_sdwa v8, v2, v1 dst_sel:DWORD dst_unused:UNUSED_PAD src0_sel:BYTE_3 src1_sel:DWORD
	v_mov_b32_e32 v0, v8
	v_mov_b32_e32 v1, v9
	s_and_saveexec_b32 s26, s5
; %bb.1711:                             ;   in Loop: Header=BB243_16 Depth=1
	v_ffbh_u32_e32 v0, v8
	v_min_u32_e32 v3, 32, v0
	v_subrev_nc_u32_e32 v0, 28, v3
	v_sub_nc_u32_e32 v3, 29, v3
	v_lshlrev_b64 v[0:1], v0, v[8:9]
	v_and_b32_e32 v0, 7, v0
; %bb.1712:                             ;   in Loop: Header=BB243_16 Depth=1
	s_or_b32 exec_lo, exec_lo, s26
	v_mov_b32_e32 v1, 24
	v_lshlrev_b32_e32 v0, 20, v0
	v_mov_b32_e32 v72, v9
	v_lshlrev_b32_sdwa v1, v1, v2 dst_sel:DWORD dst_unused:UNUSED_PAD src0_sel:DWORD src1_sel:BYTE_3
	v_lshl_add_u32 v2, v3, 23, 0x3c000000
	v_and_b32_e32 v1, 0x80000000, v1
	v_or3_b32 v73, v0, v1, v2
.LBB243_1713:                           ;   in Loop: Header=BB243_16 Depth=1
	s_or_b32 exec_lo, exec_lo, s25
.LBB243_1714:                           ;   in Loop: Header=BB243_16 Depth=1
	s_or_b32 exec_lo, exec_lo, s24
.LBB243_1715:                           ;   in Loop: Header=BB243_16 Depth=1
	s_or_b32 exec_lo, exec_lo, s23
	flat_load_dword v2, v[68:69] offset:516
	v_mov_b32_e32 v116, 0
	v_mov_b32_e32 v44, 0
	;; [unrolled: 1-line block ×4, first 2 shown]
	s_waitcnt vmcnt(0) lgkmcnt(0)
	v_cmp_ne_u16_sdwa s5, v2, v9 src0_sel:BYTE_0 src1_sel:DWORD
	s_and_saveexec_b32 s23, s5
	s_cbranch_execz .LBB243_1723
; %bb.1716:                             ;   in Loop: Header=BB243_16 Depth=1
	v_mov_b32_e32 v0, 0x80
	v_bfrev_b32_e32 v44, 1
	v_mov_b32_e32 v45, 0
	v_cmp_ne_u16_sdwa s5, v2, v0 src0_sel:BYTE_0 src1_sel:DWORD
	s_and_saveexec_b32 s24, s5
	s_cbranch_execz .LBB243_1722
; %bb.1717:                             ;   in Loop: Header=BB243_16 Depth=1
	v_mov_b32_e32 v44, 0x7f800001
	v_and_b32_e32 v0, 0x7f, v2
	v_mov_b32_e32 v45, 0
	s_mov_b32 s25, exec_lo
	v_cmpx_ne_u32_e32 0x7f, v0
	s_cbranch_execz .LBB243_1721
; %bb.1718:                             ;   in Loop: Header=BB243_16 Depth=1
	v_and_b32_e32 v8, 7, v2
	v_lshrrev_b32_e32 v3, 3, v0
	v_cmp_gt_u32_e64 s5, 8, v0
	v_mov_b32_e32 v0, v8
	v_mov_b32_e32 v1, v9
	s_and_saveexec_b32 s26, s5
; %bb.1719:                             ;   in Loop: Header=BB243_16 Depth=1
	v_ffbh_u32_e32 v0, v8
	v_min_u32_e32 v3, 32, v0
	v_subrev_nc_u32_e32 v0, 28, v3
	v_sub_nc_u32_e32 v3, 29, v3
	v_lshlrev_b64 v[0:1], v0, v[8:9]
	v_and_b32_e32 v0, 7, v0
; %bb.1720:                             ;   in Loop: Header=BB243_16 Depth=1
	s_or_b32 exec_lo, exec_lo, s26
	v_lshlrev_b32_e32 v1, 24, v2
	v_lshlrev_b32_e32 v0, 20, v0
	v_lshl_add_u32 v3, v3, 23, 0x3c000000
	v_and_b32_e32 v1, 0x80000000, v1
	v_or3_b32 v8, v0, v1, v3
	v_mov_b32_e32 v45, v9
	v_mov_b32_e32 v44, v8
.LBB243_1721:                           ;   in Loop: Header=BB243_16 Depth=1
	s_or_b32 exec_lo, exec_lo, s25
.LBB243_1722:                           ;   in Loop: Header=BB243_16 Depth=1
	s_or_b32 exec_lo, exec_lo, s24
.LBB243_1723:                           ;   in Loop: Header=BB243_16 Depth=1
	s_or_b32 exec_lo, exec_lo, s23
	v_cmp_ne_u16_sdwa s5, v2, v9 src0_sel:BYTE_1 src1_sel:DWORD
	s_and_saveexec_b32 s23, s5
	s_cbranch_execz .LBB243_1731
; %bb.1724:                             ;   in Loop: Header=BB243_16 Depth=1
	v_mov_b32_e32 v46, v9
	v_mov_b32_e32 v0, 0x80
	;; [unrolled: 1-line block ×4, first 2 shown]
	v_cmp_ne_u16_sdwa s5, v2, v0 src0_sel:BYTE_1 src1_sel:DWORD
	s_and_saveexec_b32 s24, s5
	s_cbranch_execz .LBB243_1730
; %bb.1725:                             ;   in Loop: Header=BB243_16 Depth=1
	s_clause 0x1
	buffer_load_dword v116, off, s[0:3], s32 offset:200
	buffer_load_dword v117, off, s[0:3], s32 offset:204
	v_mov_b32_e32 v0, 0xffff
	s_waitcnt vmcnt(1)
	v_mov_b32_e32 v116, v9
	s_mov_b32 s25, exec_lo
	v_and_b32_sdwa v1, v0, v2 dst_sel:DWORD dst_unused:UNUSED_PAD src0_sel:DWORD src1_sel:BYTE_1
	v_and_b32_e32 v0, 0x7f, v1
	s_waitcnt vmcnt(0)
	v_mov_b32_e32 v3, v117
	buffer_store_dword v2, off, s[0:3], s32 offset:200 ; 4-byte Folded Spill
	buffer_store_dword v3, off, s[0:3], s32 offset:204 ; 4-byte Folded Spill
	v_cmpx_ne_u32_e32 0x7f, v0
	s_cbranch_execz .LBB243_1729
; %bb.1726:                             ;   in Loop: Header=BB243_16 Depth=1
	v_and_b32_e32 v8, 7, v1
	v_lshrrev_b32_e32 v3, 3, v0
	v_cmp_gt_u32_e64 s5, 8, v0
	v_mov_b32_e32 v0, v8
	v_mov_b32_e32 v1, v9
	s_and_saveexec_b32 s26, s5
; %bb.1727:                             ;   in Loop: Header=BB243_16 Depth=1
	v_ffbh_u32_e32 v0, v8
	v_min_u32_e32 v3, 32, v0
	v_subrev_nc_u32_e32 v0, 28, v3
	v_sub_nc_u32_e32 v3, 29, v3
	v_lshlrev_b64 v[0:1], v0, v[8:9]
	v_and_b32_e32 v0, 7, v0
; %bb.1728:                             ;   in Loop: Header=BB243_16 Depth=1
	s_or_b32 exec_lo, exec_lo, s26
	v_lshlrev_b32_e32 v1, 16, v2
	v_lshlrev_b32_e32 v0, 20, v0
	v_lshl_add_u32 v3, v3, 23, 0x3c000000
	v_mov_b32_e32 v116, v9
	v_and_b32_e32 v1, 0x80000000, v1
	v_or3_b32 v117, v0, v1, v3
.LBB243_1729:                           ;   in Loop: Header=BB243_16 Depth=1
	s_or_b32 exec_lo, exec_lo, s25
.LBB243_1730:                           ;   in Loop: Header=BB243_16 Depth=1
	s_or_b32 exec_lo, exec_lo, s24
.LBB243_1731:                           ;   in Loop: Header=BB243_16 Depth=1
	s_or_b32 exec_lo, exec_lo, s23
	v_mov_b32_e32 v0, 0xff
	v_mov_b32_e32 v78, 0
	v_mov_b32_e32 v58, 0
	v_mov_b32_e32 v79, 0
	v_mov_b32_e32 v59, 0
	v_and_b32_sdwa v0, v2, v0 dst_sel:DWORD dst_unused:UNUSED_PAD src0_sel:WORD_1 src1_sel:DWORD
	s_mov_b32 s23, exec_lo
	v_cmpx_ne_u16_e32 0, v0
	s_cbranch_execz .LBB243_1739
; %bb.1732:                             ;   in Loop: Header=BB243_16 Depth=1
	v_bfrev_b32_e32 v58, 1
	v_mov_b32_e32 v59, 0
	s_mov_b32 s24, exec_lo
	v_cmpx_ne_u16_e32 0x80, v0
	s_cbranch_execz .LBB243_1738
; %bb.1733:                             ;   in Loop: Header=BB243_16 Depth=1
	v_mov_b32_e32 v58, 0x7f800001
	v_bfe_u32 v0, v2, 16, 7
	v_mov_b32_e32 v59, 0
	s_mov_b32 s25, exec_lo
	v_cmpx_ne_u32_e32 0x7f, v0
	s_cbranch_execz .LBB243_1737
; %bb.1734:                             ;   in Loop: Header=BB243_16 Depth=1
	v_mov_b32_e32 v1, 7
	v_lshrrev_b32_e32 v3, 3, v0
	v_cmp_gt_u32_e64 s5, 8, v0
	v_and_b32_sdwa v8, v2, v1 dst_sel:DWORD dst_unused:UNUSED_PAD src0_sel:WORD_1 src1_sel:DWORD
	v_mov_b32_e32 v0, v8
	v_mov_b32_e32 v1, v9
	s_and_saveexec_b32 s26, s5
; %bb.1735:                             ;   in Loop: Header=BB243_16 Depth=1
	v_ffbh_u32_e32 v0, v8
	v_min_u32_e32 v3, 32, v0
	v_subrev_nc_u32_e32 v0, 28, v3
	v_sub_nc_u32_e32 v3, 29, v3
	v_lshlrev_b64 v[0:1], v0, v[8:9]
	v_and_b32_e32 v0, 7, v0
; %bb.1736:                             ;   in Loop: Header=BB243_16 Depth=1
	s_or_b32 exec_lo, exec_lo, s26
	v_mov_b32_e32 v1, 24
	v_lshlrev_b32_e32 v0, 20, v0
	v_lshl_add_u32 v3, v3, 23, 0x3c000000
	v_lshlrev_b32_sdwa v1, v1, v2 dst_sel:DWORD dst_unused:UNUSED_PAD src0_sel:DWORD src1_sel:WORD_1
	v_and_b32_e32 v1, 0x80000000, v1
	v_or3_b32 v8, v0, v1, v3
	v_mov_b32_e32 v59, v9
	v_mov_b32_e32 v58, v8
.LBB243_1737:                           ;   in Loop: Header=BB243_16 Depth=1
	s_or_b32 exec_lo, exec_lo, s25
.LBB243_1738:                           ;   in Loop: Header=BB243_16 Depth=1
	s_or_b32 exec_lo, exec_lo, s24
.LBB243_1739:                           ;   in Loop: Header=BB243_16 Depth=1
	s_or_b32 exec_lo, exec_lo, s23
	s_mov_b32 s23, exec_lo
	v_cmpx_lt_u32_e32 0xffffff, v2
	s_cbranch_execz .LBB243_1747
; %bb.1740:                             ;   in Loop: Header=BB243_16 Depth=1
	v_mov_b32_e32 v46, v9
	v_mov_b32_e32 v0, 0x80
	;; [unrolled: 1-line block ×4, first 2 shown]
	v_cmp_ne_u32_sdwa s5, v2, v0 src0_sel:BYTE_3 src1_sel:DWORD
	s_and_saveexec_b32 s24, s5
	s_cbranch_execz .LBB243_1746
; %bb.1741:                             ;   in Loop: Header=BB243_16 Depth=1
	s_clause 0x1
	buffer_load_dword v78, off, s[0:3], s32 offset:200
	buffer_load_dword v79, off, s[0:3], s32 offset:204
	v_bfe_u32 v0, v2, 24, 7
	s_waitcnt vmcnt(1)
	v_mov_b32_e32 v78, v9
	s_mov_b32 s25, exec_lo
	s_waitcnt vmcnt(0)
	v_mov_b32_e32 v1, v79
	buffer_store_dword v0, off, s[0:3], s32 offset:200 ; 4-byte Folded Spill
	buffer_store_dword v1, off, s[0:3], s32 offset:204 ; 4-byte Folded Spill
	v_cmpx_ne_u32_e32 0x7f, v0
	s_cbranch_execz .LBB243_1745
; %bb.1742:                             ;   in Loop: Header=BB243_16 Depth=1
	v_mov_b32_e32 v1, 7
	v_lshrrev_b32_e32 v3, 3, v0
	v_cmp_gt_u32_e64 s5, 8, v0
	v_and_b32_sdwa v8, v2, v1 dst_sel:DWORD dst_unused:UNUSED_PAD src0_sel:BYTE_3 src1_sel:DWORD
	v_mov_b32_e32 v0, v8
	v_mov_b32_e32 v1, v9
	s_and_saveexec_b32 s26, s5
; %bb.1743:                             ;   in Loop: Header=BB243_16 Depth=1
	v_ffbh_u32_e32 v0, v8
	v_min_u32_e32 v3, 32, v0
	v_subrev_nc_u32_e32 v0, 28, v3
	v_sub_nc_u32_e32 v3, 29, v3
	v_lshlrev_b64 v[0:1], v0, v[8:9]
	v_and_b32_e32 v0, 7, v0
; %bb.1744:                             ;   in Loop: Header=BB243_16 Depth=1
	s_or_b32 exec_lo, exec_lo, s26
	v_mov_b32_e32 v1, 24
	v_lshlrev_b32_e32 v0, 20, v0
	v_mov_b32_e32 v78, v9
	v_lshlrev_b32_sdwa v1, v1, v2 dst_sel:DWORD dst_unused:UNUSED_PAD src0_sel:DWORD src1_sel:BYTE_3
	v_lshl_add_u32 v2, v3, 23, 0x3c000000
	v_and_b32_e32 v1, 0x80000000, v1
	v_or3_b32 v79, v0, v1, v2
.LBB243_1745:                           ;   in Loop: Header=BB243_16 Depth=1
	s_or_b32 exec_lo, exec_lo, s25
.LBB243_1746:                           ;   in Loop: Header=BB243_16 Depth=1
	s_or_b32 exec_lo, exec_lo, s24
.LBB243_1747:                           ;   in Loop: Header=BB243_16 Depth=1
	s_or_b32 exec_lo, exec_lo, s23
	flat_load_dword v2, v[68:69] offset:520
	v_mov_b32_e32 v56, 0
	v_mov_b32_e32 v120, 0
	;; [unrolled: 1-line block ×4, first 2 shown]
	s_waitcnt vmcnt(0) lgkmcnt(0)
	v_cmp_ne_u16_sdwa s5, v2, v9 src0_sel:BYTE_0 src1_sel:DWORD
	s_and_saveexec_b32 s23, s5
	s_cbranch_execz .LBB243_1755
; %bb.1748:                             ;   in Loop: Header=BB243_16 Depth=1
	v_mov_b32_e32 v0, 0x80
	v_bfrev_b32_e32 v120, 1
	v_mov_b32_e32 v121, 0
	v_cmp_ne_u16_sdwa s5, v2, v0 src0_sel:BYTE_0 src1_sel:DWORD
	s_and_saveexec_b32 s24, s5
	s_cbranch_execz .LBB243_1754
; %bb.1749:                             ;   in Loop: Header=BB243_16 Depth=1
	v_mov_b32_e32 v120, 0x7f800001
	v_and_b32_e32 v0, 0x7f, v2
	v_mov_b32_e32 v121, 0
	s_mov_b32 s25, exec_lo
	v_cmpx_ne_u32_e32 0x7f, v0
	s_cbranch_execz .LBB243_1753
; %bb.1750:                             ;   in Loop: Header=BB243_16 Depth=1
	v_and_b32_e32 v8, 7, v2
	v_lshrrev_b32_e32 v3, 3, v0
	v_cmp_gt_u32_e64 s5, 8, v0
	v_mov_b32_e32 v0, v8
	v_mov_b32_e32 v1, v9
	s_and_saveexec_b32 s26, s5
; %bb.1751:                             ;   in Loop: Header=BB243_16 Depth=1
	v_ffbh_u32_e32 v0, v8
	v_min_u32_e32 v3, 32, v0
	v_subrev_nc_u32_e32 v0, 28, v3
	v_sub_nc_u32_e32 v3, 29, v3
	v_lshlrev_b64 v[0:1], v0, v[8:9]
	v_and_b32_e32 v0, 7, v0
; %bb.1752:                             ;   in Loop: Header=BB243_16 Depth=1
	s_or_b32 exec_lo, exec_lo, s26
	v_lshlrev_b32_e32 v1, 24, v2
	v_lshlrev_b32_e32 v0, 20, v0
	v_lshl_add_u32 v3, v3, 23, 0x3c000000
	v_and_b32_e32 v1, 0x80000000, v1
	v_or3_b32 v8, v0, v1, v3
	v_mov_b32_e32 v121, v9
	v_mov_b32_e32 v120, v8
.LBB243_1753:                           ;   in Loop: Header=BB243_16 Depth=1
	s_or_b32 exec_lo, exec_lo, s25
.LBB243_1754:                           ;   in Loop: Header=BB243_16 Depth=1
	s_or_b32 exec_lo, exec_lo, s24
.LBB243_1755:                           ;   in Loop: Header=BB243_16 Depth=1
	s_or_b32 exec_lo, exec_lo, s23
	v_cmp_ne_u16_sdwa s5, v2, v9 src0_sel:BYTE_1 src1_sel:DWORD
	s_and_saveexec_b32 s23, s5
	s_cbranch_execz .LBB243_1763
; %bb.1756:                             ;   in Loop: Header=BB243_16 Depth=1
	v_mov_b32_e32 v46, v9
	v_mov_b32_e32 v0, 0x80
	;; [unrolled: 1-line block ×4, first 2 shown]
	v_cmp_ne_u16_sdwa s5, v2, v0 src0_sel:BYTE_1 src1_sel:DWORD
	s_and_saveexec_b32 s24, s5
	s_cbranch_execz .LBB243_1762
; %bb.1757:                             ;   in Loop: Header=BB243_16 Depth=1
	s_clause 0x1
	buffer_load_dword v56, off, s[0:3], s32 offset:200
	buffer_load_dword v57, off, s[0:3], s32 offset:204
	v_mov_b32_e32 v0, 0xffff
	s_waitcnt vmcnt(1)
	v_mov_b32_e32 v56, v9
	s_mov_b32 s25, exec_lo
	v_and_b32_sdwa v1, v0, v2 dst_sel:DWORD dst_unused:UNUSED_PAD src0_sel:DWORD src1_sel:BYTE_1
	v_and_b32_e32 v0, 0x7f, v1
	s_waitcnt vmcnt(0)
	v_mov_b32_e32 v3, v57
	buffer_store_dword v2, off, s[0:3], s32 offset:200 ; 4-byte Folded Spill
	buffer_store_dword v3, off, s[0:3], s32 offset:204 ; 4-byte Folded Spill
	v_cmpx_ne_u32_e32 0x7f, v0
	s_cbranch_execz .LBB243_1761
; %bb.1758:                             ;   in Loop: Header=BB243_16 Depth=1
	v_and_b32_e32 v8, 7, v1
	v_lshrrev_b32_e32 v3, 3, v0
	v_cmp_gt_u32_e64 s5, 8, v0
	v_mov_b32_e32 v0, v8
	v_mov_b32_e32 v1, v9
	s_and_saveexec_b32 s26, s5
; %bb.1759:                             ;   in Loop: Header=BB243_16 Depth=1
	v_ffbh_u32_e32 v0, v8
	v_min_u32_e32 v3, 32, v0
	v_subrev_nc_u32_e32 v0, 28, v3
	v_sub_nc_u32_e32 v3, 29, v3
	v_lshlrev_b64 v[0:1], v0, v[8:9]
	v_and_b32_e32 v0, 7, v0
; %bb.1760:                             ;   in Loop: Header=BB243_16 Depth=1
	s_or_b32 exec_lo, exec_lo, s26
	v_lshlrev_b32_e32 v1, 16, v2
	v_lshlrev_b32_e32 v0, 20, v0
	v_lshl_add_u32 v3, v3, 23, 0x3c000000
	v_mov_b32_e32 v56, v9
	v_and_b32_e32 v1, 0x80000000, v1
	v_or3_b32 v57, v0, v1, v3
.LBB243_1761:                           ;   in Loop: Header=BB243_16 Depth=1
	s_or_b32 exec_lo, exec_lo, s25
.LBB243_1762:                           ;   in Loop: Header=BB243_16 Depth=1
	s_or_b32 exec_lo, exec_lo, s24
.LBB243_1763:                           ;   in Loop: Header=BB243_16 Depth=1
	s_or_b32 exec_lo, exec_lo, s23
	v_mov_b32_e32 v0, 0xff
	v_mov_b32_e32 v90, 0
	;; [unrolled: 1-line block ×5, first 2 shown]
	v_and_b32_sdwa v0, v2, v0 dst_sel:DWORD dst_unused:UNUSED_PAD src0_sel:WORD_1 src1_sel:DWORD
	s_mov_b32 s23, exec_lo
	v_cmpx_ne_u16_e32 0, v0
	s_cbranch_execz .LBB243_1771
; %bb.1764:                             ;   in Loop: Header=BB243_16 Depth=1
	v_bfrev_b32_e32 v64, 1
	v_mov_b32_e32 v65, 0
	s_mov_b32 s24, exec_lo
	v_cmpx_ne_u16_e32 0x80, v0
	s_cbranch_execz .LBB243_1770
; %bb.1765:                             ;   in Loop: Header=BB243_16 Depth=1
	v_mov_b32_e32 v64, 0x7f800001
	v_bfe_u32 v0, v2, 16, 7
	v_mov_b32_e32 v65, 0
	s_mov_b32 s25, exec_lo
	v_cmpx_ne_u32_e32 0x7f, v0
	s_cbranch_execz .LBB243_1769
; %bb.1766:                             ;   in Loop: Header=BB243_16 Depth=1
	v_mov_b32_e32 v1, 7
	v_lshrrev_b32_e32 v3, 3, v0
	v_cmp_gt_u32_e64 s5, 8, v0
	v_and_b32_sdwa v8, v2, v1 dst_sel:DWORD dst_unused:UNUSED_PAD src0_sel:WORD_1 src1_sel:DWORD
	v_mov_b32_e32 v0, v8
	v_mov_b32_e32 v1, v9
	s_and_saveexec_b32 s26, s5
; %bb.1767:                             ;   in Loop: Header=BB243_16 Depth=1
	v_ffbh_u32_e32 v0, v8
	v_min_u32_e32 v3, 32, v0
	v_subrev_nc_u32_e32 v0, 28, v3
	v_sub_nc_u32_e32 v3, 29, v3
	v_lshlrev_b64 v[0:1], v0, v[8:9]
	v_and_b32_e32 v0, 7, v0
; %bb.1768:                             ;   in Loop: Header=BB243_16 Depth=1
	s_or_b32 exec_lo, exec_lo, s26
	v_mov_b32_e32 v1, 24
	v_lshlrev_b32_e32 v0, 20, v0
	v_lshl_add_u32 v3, v3, 23, 0x3c000000
	v_lshlrev_b32_sdwa v1, v1, v2 dst_sel:DWORD dst_unused:UNUSED_PAD src0_sel:DWORD src1_sel:WORD_1
	v_and_b32_e32 v1, 0x80000000, v1
	v_or3_b32 v8, v0, v1, v3
	v_mov_b32_e32 v65, v9
	v_mov_b32_e32 v64, v8
.LBB243_1769:                           ;   in Loop: Header=BB243_16 Depth=1
	s_or_b32 exec_lo, exec_lo, s25
.LBB243_1770:                           ;   in Loop: Header=BB243_16 Depth=1
	s_or_b32 exec_lo, exec_lo, s24
.LBB243_1771:                           ;   in Loop: Header=BB243_16 Depth=1
	s_or_b32 exec_lo, exec_lo, s23
	s_mov_b32 s23, exec_lo
	v_cmpx_lt_u32_e32 0xffffff, v2
	s_cbranch_execz .LBB243_1779
; %bb.1772:                             ;   in Loop: Header=BB243_16 Depth=1
	v_mov_b32_e32 v46, v9
	v_mov_b32_e32 v0, 0x80
	v_mov_b32_e32 v91, v47
	v_mov_b32_e32 v90, v46
	v_cmp_ne_u32_sdwa s5, v2, v0 src0_sel:BYTE_3 src1_sel:DWORD
	s_and_saveexec_b32 s24, s5
	s_cbranch_execz .LBB243_1778
; %bb.1773:                             ;   in Loop: Header=BB243_16 Depth=1
	s_clause 0x1
	buffer_load_dword v90, off, s[0:3], s32 offset:200
	buffer_load_dword v91, off, s[0:3], s32 offset:204
	v_bfe_u32 v0, v2, 24, 7
	s_waitcnt vmcnt(1)
	v_mov_b32_e32 v90, v9
	s_mov_b32 s25, exec_lo
	s_waitcnt vmcnt(0)
	v_mov_b32_e32 v1, v91
	buffer_store_dword v0, off, s[0:3], s32 offset:200 ; 4-byte Folded Spill
	buffer_store_dword v1, off, s[0:3], s32 offset:204 ; 4-byte Folded Spill
	v_cmpx_ne_u32_e32 0x7f, v0
	s_cbranch_execz .LBB243_1777
; %bb.1774:                             ;   in Loop: Header=BB243_16 Depth=1
	v_mov_b32_e32 v1, 7
	v_lshrrev_b32_e32 v3, 3, v0
	v_cmp_gt_u32_e64 s5, 8, v0
	v_and_b32_sdwa v8, v2, v1 dst_sel:DWORD dst_unused:UNUSED_PAD src0_sel:BYTE_3 src1_sel:DWORD
	v_mov_b32_e32 v0, v8
	v_mov_b32_e32 v1, v9
	s_and_saveexec_b32 s26, s5
; %bb.1775:                             ;   in Loop: Header=BB243_16 Depth=1
	v_ffbh_u32_e32 v0, v8
	v_min_u32_e32 v3, 32, v0
	v_subrev_nc_u32_e32 v0, 28, v3
	v_sub_nc_u32_e32 v3, 29, v3
	v_lshlrev_b64 v[0:1], v0, v[8:9]
	v_and_b32_e32 v0, 7, v0
; %bb.1776:                             ;   in Loop: Header=BB243_16 Depth=1
	s_or_b32 exec_lo, exec_lo, s26
	v_mov_b32_e32 v1, 24
	v_lshlrev_b32_e32 v0, 20, v0
	v_mov_b32_e32 v90, v9
	v_lshlrev_b32_sdwa v1, v1, v2 dst_sel:DWORD dst_unused:UNUSED_PAD src0_sel:DWORD src1_sel:BYTE_3
	v_lshl_add_u32 v2, v3, 23, 0x3c000000
	v_and_b32_e32 v1, 0x80000000, v1
	v_or3_b32 v91, v0, v1, v2
.LBB243_1777:                           ;   in Loop: Header=BB243_16 Depth=1
	s_or_b32 exec_lo, exec_lo, s25
.LBB243_1778:                           ;   in Loop: Header=BB243_16 Depth=1
	s_or_b32 exec_lo, exec_lo, s24
.LBB243_1779:                           ;   in Loop: Header=BB243_16 Depth=1
	s_or_b32 exec_lo, exec_lo, s23
	flat_load_dword v4, v[68:69] offset:524
	v_mov_b32_e32 v26, 0
	v_mov_b32_e32 v76, 0
	;; [unrolled: 1-line block ×4, first 2 shown]
	s_waitcnt vmcnt(0) lgkmcnt(0)
	v_cmp_ne_u16_sdwa s5, v4, v9 src0_sel:BYTE_0 src1_sel:DWORD
	s_and_saveexec_b32 s23, s5
	s_cbranch_execz .LBB243_1787
; %bb.1780:                             ;   in Loop: Header=BB243_16 Depth=1
	v_mov_b32_e32 v0, 0x80
	v_bfrev_b32_e32 v76, 1
	v_mov_b32_e32 v77, 0
	v_cmp_ne_u16_sdwa s5, v4, v0 src0_sel:BYTE_0 src1_sel:DWORD
	s_and_saveexec_b32 s24, s5
	s_cbranch_execz .LBB243_1786
; %bb.1781:                             ;   in Loop: Header=BB243_16 Depth=1
	v_mov_b32_e32 v76, 0x7f800001
	v_and_b32_e32 v0, 0x7f, v4
	v_mov_b32_e32 v77, 0
	s_mov_b32 s25, exec_lo
	v_cmpx_ne_u32_e32 0x7f, v0
	s_cbranch_execz .LBB243_1785
; %bb.1782:                             ;   in Loop: Header=BB243_16 Depth=1
	v_and_b32_e32 v8, 7, v4
	v_lshrrev_b32_e32 v2, 3, v0
	v_cmp_gt_u32_e64 s5, 8, v0
	v_mov_b32_e32 v0, v8
	v_mov_b32_e32 v1, v9
	s_and_saveexec_b32 s26, s5
; %bb.1783:                             ;   in Loop: Header=BB243_16 Depth=1
	v_ffbh_u32_e32 v0, v8
	v_min_u32_e32 v2, 32, v0
	v_subrev_nc_u32_e32 v0, 28, v2
	v_sub_nc_u32_e32 v2, 29, v2
	v_lshlrev_b64 v[0:1], v0, v[8:9]
	v_and_b32_e32 v0, 7, v0
; %bb.1784:                             ;   in Loop: Header=BB243_16 Depth=1
	s_or_b32 exec_lo, exec_lo, s26
	v_lshlrev_b32_e32 v1, 24, v4
	v_lshlrev_b32_e32 v0, 20, v0
	v_lshl_add_u32 v2, v2, 23, 0x3c000000
	v_and_b32_e32 v1, 0x80000000, v1
	v_or3_b32 v8, v0, v1, v2
	v_mov_b32_e32 v77, v9
	v_mov_b32_e32 v76, v8
.LBB243_1785:                           ;   in Loop: Header=BB243_16 Depth=1
	s_or_b32 exec_lo, exec_lo, s25
.LBB243_1786:                           ;   in Loop: Header=BB243_16 Depth=1
	s_or_b32 exec_lo, exec_lo, s24
.LBB243_1787:                           ;   in Loop: Header=BB243_16 Depth=1
	s_or_b32 exec_lo, exec_lo, s23
	v_cmp_ne_u16_sdwa s5, v4, v9 src0_sel:BYTE_1 src1_sel:DWORD
	s_and_saveexec_b32 s23, s5
	s_cbranch_execz .LBB243_1795
; %bb.1788:                             ;   in Loop: Header=BB243_16 Depth=1
	v_mov_b32_e32 v46, v9
	v_mov_b32_e32 v0, 0x80
	v_mov_b32_e32 v26, v46
	v_cmp_ne_u16_sdwa s5, v4, v0 src0_sel:BYTE_1 src1_sel:DWORD
	v_mov_b32_e32 v27, v47
	s_and_saveexec_b32 s24, s5
	s_cbranch_execz .LBB243_1794
; %bb.1789:                             ;   in Loop: Header=BB243_16 Depth=1
	s_clause 0x1
	buffer_load_dword v26, off, s[0:3], s32 offset:200
	buffer_load_dword v27, off, s[0:3], s32 offset:204
	v_mov_b32_e32 v0, 0xffff
	s_waitcnt vmcnt(1)
	v_mov_b32_e32 v26, v9
	s_mov_b32 s25, exec_lo
	v_and_b32_sdwa v1, v0, v4 dst_sel:DWORD dst_unused:UNUSED_PAD src0_sel:DWORD src1_sel:BYTE_1
	v_and_b32_e32 v0, 0x7f, v1
	s_waitcnt vmcnt(0)
	v_mov_b32_e32 v2, v27
	buffer_store_dword v1, off, s[0:3], s32 offset:200 ; 4-byte Folded Spill
	buffer_store_dword v2, off, s[0:3], s32 offset:204 ; 4-byte Folded Spill
	v_cmpx_ne_u32_e32 0x7f, v0
	s_cbranch_execz .LBB243_1793
; %bb.1790:                             ;   in Loop: Header=BB243_16 Depth=1
	v_and_b32_e32 v8, 7, v1
	v_lshrrev_b32_e32 v5, 3, v0
	v_cmp_gt_u32_e64 s5, 8, v0
	v_mov_b32_e32 v0, v8
	v_mov_b32_e32 v1, v9
	s_and_saveexec_b32 s26, s5
; %bb.1791:                             ;   in Loop: Header=BB243_16 Depth=1
	v_ffbh_u32_e32 v0, v8
	v_min_u32_e32 v5, 32, v0
	v_subrev_nc_u32_e32 v0, 28, v5
	v_sub_nc_u32_e32 v5, 29, v5
	v_lshlrev_b64 v[0:1], v0, v[8:9]
	v_and_b32_e32 v0, 7, v0
; %bb.1792:                             ;   in Loop: Header=BB243_16 Depth=1
	s_or_b32 exec_lo, exec_lo, s26
	v_lshlrev_b32_e32 v1, 16, v4
	v_lshlrev_b32_e32 v0, 20, v0
	v_lshl_add_u32 v5, v5, 23, 0x3c000000
	v_mov_b32_e32 v26, v9
	v_and_b32_e32 v1, 0x80000000, v1
	v_or3_b32 v27, v0, v1, v5
.LBB243_1793:                           ;   in Loop: Header=BB243_16 Depth=1
	s_or_b32 exec_lo, exec_lo, s25
.LBB243_1794:                           ;   in Loop: Header=BB243_16 Depth=1
	s_or_b32 exec_lo, exec_lo, s24
.LBB243_1795:                           ;   in Loop: Header=BB243_16 Depth=1
	s_or_b32 exec_lo, exec_lo, s23
	v_mov_b32_e32 v0, 0xff
	v_mov_b32_e32 v92, 0
	;; [unrolled: 1-line block ×5, first 2 shown]
	v_and_b32_sdwa v0, v4, v0 dst_sel:DWORD dst_unused:UNUSED_PAD src0_sel:WORD_1 src1_sel:DWORD
	s_mov_b32 s23, exec_lo
	v_cmpx_ne_u16_e32 0, v0
	s_cbranch_execz .LBB243_1803
; %bb.1796:                             ;   in Loop: Header=BB243_16 Depth=1
	v_bfrev_b32_e32 v86, 1
	v_mov_b32_e32 v87, 0
	s_mov_b32 s24, exec_lo
	v_cmpx_ne_u16_e32 0x80, v0
	s_cbranch_execz .LBB243_1802
; %bb.1797:                             ;   in Loop: Header=BB243_16 Depth=1
	v_mov_b32_e32 v86, 0x7f800001
	v_bfe_u32 v0, v4, 16, 7
	v_mov_b32_e32 v87, 0
	s_mov_b32 s25, exec_lo
	v_cmpx_ne_u32_e32 0x7f, v0
	s_cbranch_execz .LBB243_1801
; %bb.1798:                             ;   in Loop: Header=BB243_16 Depth=1
	v_mov_b32_e32 v1, 7
	v_lshrrev_b32_e32 v5, 3, v0
	v_cmp_gt_u32_e64 s5, 8, v0
	v_and_b32_sdwa v8, v4, v1 dst_sel:DWORD dst_unused:UNUSED_PAD src0_sel:WORD_1 src1_sel:DWORD
	v_mov_b32_e32 v0, v8
	v_mov_b32_e32 v1, v9
	s_and_saveexec_b32 s26, s5
; %bb.1799:                             ;   in Loop: Header=BB243_16 Depth=1
	v_ffbh_u32_e32 v0, v8
	v_min_u32_e32 v5, 32, v0
	v_subrev_nc_u32_e32 v0, 28, v5
	v_sub_nc_u32_e32 v5, 29, v5
	v_lshlrev_b64 v[0:1], v0, v[8:9]
	v_and_b32_e32 v0, 7, v0
; %bb.1800:                             ;   in Loop: Header=BB243_16 Depth=1
	s_or_b32 exec_lo, exec_lo, s26
	v_mov_b32_e32 v1, 24
	v_lshlrev_b32_e32 v0, 20, v0
	v_lshl_add_u32 v5, v5, 23, 0x3c000000
	v_lshlrev_b32_sdwa v1, v1, v4 dst_sel:DWORD dst_unused:UNUSED_PAD src0_sel:DWORD src1_sel:WORD_1
	v_and_b32_e32 v1, 0x80000000, v1
	v_or3_b32 v8, v0, v1, v5
	v_mov_b32_e32 v87, v9
	v_mov_b32_e32 v86, v8
.LBB243_1801:                           ;   in Loop: Header=BB243_16 Depth=1
	s_or_b32 exec_lo, exec_lo, s25
.LBB243_1802:                           ;   in Loop: Header=BB243_16 Depth=1
	s_or_b32 exec_lo, exec_lo, s24
.LBB243_1803:                           ;   in Loop: Header=BB243_16 Depth=1
	s_or_b32 exec_lo, exec_lo, s23
	s_mov_b32 s23, exec_lo
	v_cmpx_lt_u32_e32 0xffffff, v4
	s_cbranch_execz .LBB243_1811
; %bb.1804:                             ;   in Loop: Header=BB243_16 Depth=1
	v_mov_b32_e32 v46, v9
	v_mov_b32_e32 v0, 0x80
	;; [unrolled: 1-line block ×4, first 2 shown]
	v_cmp_ne_u32_sdwa s5, v4, v0 src0_sel:BYTE_3 src1_sel:DWORD
	s_and_saveexec_b32 s24, s5
	s_cbranch_execz .LBB243_1810
; %bb.1805:                             ;   in Loop: Header=BB243_16 Depth=1
	s_clause 0x1
	buffer_load_dword v92, off, s[0:3], s32 offset:200
	buffer_load_dword v93, off, s[0:3], s32 offset:204
	v_bfe_u32 v0, v4, 24, 7
	s_waitcnt vmcnt(1)
	v_mov_b32_e32 v92, v9
	s_mov_b32 s25, exec_lo
	s_waitcnt vmcnt(0)
	v_mov_b32_e32 v1, v93
	buffer_store_dword v0, off, s[0:3], s32 offset:200 ; 4-byte Folded Spill
	buffer_store_dword v1, off, s[0:3], s32 offset:204 ; 4-byte Folded Spill
	v_cmpx_ne_u32_e32 0x7f, v0
	s_cbranch_execz .LBB243_1809
; %bb.1806:                             ;   in Loop: Header=BB243_16 Depth=1
	v_mov_b32_e32 v1, 7
	v_lshrrev_b32_e32 v5, 3, v0
	v_cmp_gt_u32_e64 s5, 8, v0
	v_and_b32_sdwa v8, v4, v1 dst_sel:DWORD dst_unused:UNUSED_PAD src0_sel:BYTE_3 src1_sel:DWORD
	v_mov_b32_e32 v0, v8
	v_mov_b32_e32 v1, v9
	s_and_saveexec_b32 s26, s5
; %bb.1807:                             ;   in Loop: Header=BB243_16 Depth=1
	v_ffbh_u32_e32 v0, v8
	v_min_u32_e32 v5, 32, v0
	v_subrev_nc_u32_e32 v0, 28, v5
	v_sub_nc_u32_e32 v5, 29, v5
	v_lshlrev_b64 v[0:1], v0, v[8:9]
	v_and_b32_e32 v0, 7, v0
; %bb.1808:                             ;   in Loop: Header=BB243_16 Depth=1
	s_or_b32 exec_lo, exec_lo, s26
	v_mov_b32_e32 v1, 24
	v_lshlrev_b32_e32 v0, 20, v0
	v_mov_b32_e32 v92, v9
	v_lshlrev_b32_sdwa v1, v1, v4 dst_sel:DWORD dst_unused:UNUSED_PAD src0_sel:DWORD src1_sel:BYTE_3
	v_lshl_add_u32 v4, v5, 23, 0x3c000000
	v_and_b32_e32 v1, 0x80000000, v1
	v_or3_b32 v93, v0, v1, v4
.LBB243_1809:                           ;   in Loop: Header=BB243_16 Depth=1
	s_or_b32 exec_lo, exec_lo, s25
.LBB243_1810:                           ;   in Loop: Header=BB243_16 Depth=1
	s_or_b32 exec_lo, exec_lo, s24
.LBB243_1811:                           ;   in Loop: Header=BB243_16 Depth=1
	s_or_b32 exec_lo, exec_lo, s23
	flat_load_dword v6, v[68:69] offset:1024
	v_mov_b32_e32 v4, 0
	v_mov_b32_e32 v42, 0
	;; [unrolled: 1-line block ×4, first 2 shown]
	s_waitcnt vmcnt(0) lgkmcnt(0)
	v_cmp_ne_u16_sdwa s5, v6, v9 src0_sel:BYTE_0 src1_sel:DWORD
	s_and_saveexec_b32 s23, s5
	s_cbranch_execz .LBB243_1819
; %bb.1812:                             ;   in Loop: Header=BB243_16 Depth=1
	v_mov_b32_e32 v0, 0x80
	v_bfrev_b32_e32 v42, 1
	v_mov_b32_e32 v43, 0
	v_cmp_ne_u16_sdwa s5, v6, v0 src0_sel:BYTE_0 src1_sel:DWORD
	s_and_saveexec_b32 s24, s5
	s_cbranch_execz .LBB243_1818
; %bb.1813:                             ;   in Loop: Header=BB243_16 Depth=1
	v_mov_b32_e32 v42, 0x7f800001
	v_and_b32_e32 v0, 0x7f, v6
	v_mov_b32_e32 v43, 0
	s_mov_b32 s25, exec_lo
	v_cmpx_ne_u32_e32 0x7f, v0
	s_cbranch_execz .LBB243_1817
; %bb.1814:                             ;   in Loop: Header=BB243_16 Depth=1
	v_and_b32_e32 v8, 7, v6
	v_lshrrev_b32_e32 v7, 3, v0
	v_cmp_gt_u32_e64 s5, 8, v0
	v_mov_b32_e32 v0, v8
	v_mov_b32_e32 v1, v9
	s_and_saveexec_b32 s26, s5
; %bb.1815:                             ;   in Loop: Header=BB243_16 Depth=1
	v_ffbh_u32_e32 v0, v8
	v_min_u32_e32 v7, 32, v0
	v_subrev_nc_u32_e32 v0, 28, v7
	v_sub_nc_u32_e32 v7, 29, v7
	v_lshlrev_b64 v[0:1], v0, v[8:9]
	v_and_b32_e32 v0, 7, v0
; %bb.1816:                             ;   in Loop: Header=BB243_16 Depth=1
	s_or_b32 exec_lo, exec_lo, s26
	v_lshlrev_b32_e32 v1, 24, v6
	v_lshlrev_b32_e32 v0, 20, v0
	v_lshl_add_u32 v7, v7, 23, 0x3c000000
	v_and_b32_e32 v1, 0x80000000, v1
	v_or3_b32 v8, v0, v1, v7
	v_mov_b32_e32 v43, v9
	v_mov_b32_e32 v42, v8
.LBB243_1817:                           ;   in Loop: Header=BB243_16 Depth=1
	s_or_b32 exec_lo, exec_lo, s25
.LBB243_1818:                           ;   in Loop: Header=BB243_16 Depth=1
	s_or_b32 exec_lo, exec_lo, s24
.LBB243_1819:                           ;   in Loop: Header=BB243_16 Depth=1
	s_or_b32 exec_lo, exec_lo, s23
	v_cmp_ne_u16_sdwa s5, v6, v9 src0_sel:BYTE_1 src1_sel:DWORD
	s_and_saveexec_b32 s23, s5
	s_cbranch_execz .LBB243_1827
; %bb.1820:                             ;   in Loop: Header=BB243_16 Depth=1
	v_mov_b32_e32 v46, v9
	v_mov_b32_e32 v0, 0x80
	;; [unrolled: 1-line block ×3, first 2 shown]
	v_cmp_ne_u16_sdwa s5, v6, v0 src0_sel:BYTE_1 src1_sel:DWORD
	v_mov_b32_e32 v5, v47
	s_and_saveexec_b32 s24, s5
	s_cbranch_execz .LBB243_1826
; %bb.1821:                             ;   in Loop: Header=BB243_16 Depth=1
	s_clause 0x1
	buffer_load_dword v4, off, s[0:3], s32 offset:200
	buffer_load_dword v5, off, s[0:3], s32 offset:204
	v_mov_b32_e32 v0, 0xffff
	s_waitcnt vmcnt(1)
	v_mov_b32_e32 v4, v9
	s_mov_b32 s25, exec_lo
	v_and_b32_sdwa v1, v0, v6 dst_sel:DWORD dst_unused:UNUSED_PAD src0_sel:DWORD src1_sel:BYTE_1
	v_and_b32_e32 v0, 0x7f, v1
	s_waitcnt vmcnt(0)
	v_mov_b32_e32 v2, v5
	buffer_store_dword v1, off, s[0:3], s32 offset:200 ; 4-byte Folded Spill
	buffer_store_dword v2, off, s[0:3], s32 offset:204 ; 4-byte Folded Spill
	v_cmpx_ne_u32_e32 0x7f, v0
	s_cbranch_execz .LBB243_1825
; %bb.1822:                             ;   in Loop: Header=BB243_16 Depth=1
	v_and_b32_e32 v8, 7, v1
	v_lshrrev_b32_e32 v4, 3, v0
	v_cmp_gt_u32_e64 s5, 8, v0
	v_mov_b32_e32 v0, v8
	v_mov_b32_e32 v1, v9
	s_and_saveexec_b32 s26, s5
; %bb.1823:                             ;   in Loop: Header=BB243_16 Depth=1
	v_ffbh_u32_e32 v0, v8
	v_min_u32_e32 v4, 32, v0
	v_subrev_nc_u32_e32 v0, 28, v4
	v_sub_nc_u32_e32 v4, 29, v4
	v_lshlrev_b64 v[0:1], v0, v[8:9]
	v_and_b32_e32 v0, 7, v0
; %bb.1824:                             ;   in Loop: Header=BB243_16 Depth=1
	s_or_b32 exec_lo, exec_lo, s26
	v_lshlrev_b32_e32 v1, 16, v6
	v_lshlrev_b32_e32 v0, 20, v0
	v_lshl_add_u32 v4, v4, 23, 0x3c000000
	v_and_b32_e32 v1, 0x80000000, v1
	v_or3_b32 v5, v0, v1, v4
	v_mov_b32_e32 v4, v9
.LBB243_1825:                           ;   in Loop: Header=BB243_16 Depth=1
	s_or_b32 exec_lo, exec_lo, s25
.LBB243_1826:                           ;   in Loop: Header=BB243_16 Depth=1
	s_or_b32 exec_lo, exec_lo, s24
.LBB243_1827:                           ;   in Loop: Header=BB243_16 Depth=1
	s_or_b32 exec_lo, exec_lo, s23
	v_mov_b32_e32 v0, 0xff
	v_mov_b32_e32 v28, 0
	;; [unrolled: 1-line block ×5, first 2 shown]
	v_and_b32_sdwa v0, v6, v0 dst_sel:DWORD dst_unused:UNUSED_PAD src0_sel:WORD_1 src1_sel:DWORD
	s_mov_b32 s23, exec_lo
	v_cmpx_ne_u16_e32 0, v0
	s_cbranch_execz .LBB243_1835
; %bb.1828:                             ;   in Loop: Header=BB243_16 Depth=1
	v_bfrev_b32_e32 v108, 1
	v_mov_b32_e32 v109, 0
	s_mov_b32 s24, exec_lo
	v_cmpx_ne_u16_e32 0x80, v0
	s_cbranch_execz .LBB243_1834
; %bb.1829:                             ;   in Loop: Header=BB243_16 Depth=1
	v_mov_b32_e32 v108, 0x7f800001
	v_bfe_u32 v1, v6, 16, 7
	v_mov_b32_e32 v109, 0
	s_mov_b32 s25, exec_lo
	v_cmpx_ne_u32_e32 0x7f, v1
	s_cbranch_execz .LBB243_1833
; %bb.1830:                             ;   in Loop: Header=BB243_16 Depth=1
	v_mov_b32_e32 v0, 7
	s_mov_b32 s26, exec_lo
	v_and_b32_sdwa v8, v6, v0 dst_sel:DWORD dst_unused:UNUSED_PAD src0_sel:WORD_1 src1_sel:DWORD
	v_mov_b32_e32 v13, v9
	v_lshrrev_b32_e32 v0, 3, v1
	v_mov_b32_e32 v12, v8
	v_cmpx_gt_u32_e32 8, v1
; %bb.1831:                             ;   in Loop: Header=BB243_16 Depth=1
	v_ffbh_u32_e32 v0, v8
	v_min_u32_e32 v0, 32, v0
	v_subrev_nc_u32_e32 v1, 28, v0
	v_sub_nc_u32_e32 v0, 29, v0
	v_lshlrev_b64 v[7:8], v1, v[8:9]
	v_and_b32_e32 v12, 7, v7
; %bb.1832:                             ;   in Loop: Header=BB243_16 Depth=1
	s_or_b32 exec_lo, exec_lo, s26
	v_mov_b32_e32 v1, 24
	v_lshlrev_b32_e32 v7, 20, v12
	v_lshl_add_u32 v0, v0, 23, 0x3c000000
	v_lshlrev_b32_sdwa v1, v1, v6 dst_sel:DWORD dst_unused:UNUSED_PAD src0_sel:DWORD src1_sel:WORD_1
	v_and_b32_e32 v1, 0x80000000, v1
	v_or3_b32 v8, v7, v1, v0
	v_mov_b32_e32 v109, v9
	v_mov_b32_e32 v108, v8
.LBB243_1833:                           ;   in Loop: Header=BB243_16 Depth=1
	s_or_b32 exec_lo, exec_lo, s25
.LBB243_1834:                           ;   in Loop: Header=BB243_16 Depth=1
	s_or_b32 exec_lo, exec_lo, s24
.LBB243_1835:                           ;   in Loop: Header=BB243_16 Depth=1
	s_or_b32 exec_lo, exec_lo, s23
	s_mov_b32 s23, exec_lo
	v_cmpx_lt_u32_e32 0xffffff, v6
	s_cbranch_execz .LBB243_1843
; %bb.1836:                             ;   in Loop: Header=BB243_16 Depth=1
	v_mov_b32_e32 v46, v9
	v_mov_b32_e32 v0, 0x80
	;; [unrolled: 1-line block ×3, first 2 shown]
	v_cmp_ne_u32_sdwa s5, v6, v0 src0_sel:BYTE_3 src1_sel:DWORD
	v_mov_b32_e32 v29, v47
	s_and_saveexec_b32 s24, s5
	s_cbranch_execz .LBB243_1842
; %bb.1837:                             ;   in Loop: Header=BB243_16 Depth=1
	s_clause 0x1
	buffer_load_dword v28, off, s[0:3], s32 offset:200
	buffer_load_dword v29, off, s[0:3], s32 offset:204
	v_bfe_u32 v0, v6, 24, 7
	s_waitcnt vmcnt(1)
	v_mov_b32_e32 v28, v9
	s_mov_b32 s25, exec_lo
	s_waitcnt vmcnt(0)
	v_mov_b32_e32 v1, v29
	buffer_store_dword v0, off, s[0:3], s32 offset:200 ; 4-byte Folded Spill
	buffer_store_dword v1, off, s[0:3], s32 offset:204 ; 4-byte Folded Spill
	v_cmpx_ne_u32_e32 0x7f, v0
	s_cbranch_execz .LBB243_1841
; %bb.1838:                             ;   in Loop: Header=BB243_16 Depth=1
	v_mov_b32_e32 v1, 7
	v_lshrrev_b32_e32 v7, 3, v0
	v_cmp_gt_u32_e64 s5, 8, v0
	v_and_b32_sdwa v8, v6, v1 dst_sel:DWORD dst_unused:UNUSED_PAD src0_sel:BYTE_3 src1_sel:DWORD
	v_mov_b32_e32 v0, v8
	v_mov_b32_e32 v1, v9
	s_and_saveexec_b32 s26, s5
; %bb.1839:                             ;   in Loop: Header=BB243_16 Depth=1
	v_ffbh_u32_e32 v0, v8
	v_min_u32_e32 v7, 32, v0
	v_subrev_nc_u32_e32 v0, 28, v7
	v_sub_nc_u32_e32 v7, 29, v7
	v_lshlrev_b64 v[0:1], v0, v[8:9]
	v_and_b32_e32 v0, 7, v0
; %bb.1840:                             ;   in Loop: Header=BB243_16 Depth=1
	s_or_b32 exec_lo, exec_lo, s26
	v_mov_b32_e32 v1, 24
	v_lshlrev_b32_e32 v0, 20, v0
	v_mov_b32_e32 v28, v9
	v_lshlrev_b32_sdwa v1, v1, v6 dst_sel:DWORD dst_unused:UNUSED_PAD src0_sel:DWORD src1_sel:BYTE_3
	v_lshl_add_u32 v6, v7, 23, 0x3c000000
	v_and_b32_e32 v1, 0x80000000, v1
	v_or3_b32 v29, v0, v1, v6
.LBB243_1841:                           ;   in Loop: Header=BB243_16 Depth=1
	s_or_b32 exec_lo, exec_lo, s25
.LBB243_1842:                           ;   in Loop: Header=BB243_16 Depth=1
	s_or_b32 exec_lo, exec_lo, s24
.LBB243_1843:                           ;   in Loop: Header=BB243_16 Depth=1
	s_or_b32 exec_lo, exec_lo, s23
	flat_load_dword v16, v[68:69] offset:1028
	v_mov_b32_e32 v94, 0
	v_mov_b32_e32 v20, 0
	;; [unrolled: 1-line block ×4, first 2 shown]
	s_waitcnt vmcnt(0) lgkmcnt(0)
	v_cmp_ne_u16_sdwa s5, v16, v9 src0_sel:BYTE_0 src1_sel:DWORD
	s_and_saveexec_b32 s23, s5
	s_cbranch_execz .LBB243_1851
; %bb.1844:                             ;   in Loop: Header=BB243_16 Depth=1
	v_mov_b32_e32 v0, 0x80
	v_bfrev_b32_e32 v20, 1
	v_mov_b32_e32 v21, 0
	v_cmp_ne_u16_sdwa s5, v16, v0 src0_sel:BYTE_0 src1_sel:DWORD
	s_and_saveexec_b32 s24, s5
	s_cbranch_execz .LBB243_1850
; %bb.1845:                             ;   in Loop: Header=BB243_16 Depth=1
	v_mov_b32_e32 v20, 0x7f800001
	v_and_b32_e32 v1, 0x7f, v16
	v_mov_b32_e32 v21, 0
	s_mov_b32 s25, exec_lo
	v_cmpx_ne_u32_e32 0x7f, v1
	s_cbranch_execz .LBB243_1849
; %bb.1846:                             ;   in Loop: Header=BB243_16 Depth=1
	v_and_b32_e32 v8, 7, v16
	v_mov_b32_e32 v13, v9
	v_lshrrev_b32_e32 v0, 3, v1
	s_mov_b32 s26, exec_lo
	v_mov_b32_e32 v12, v8
	v_cmpx_gt_u32_e32 8, v1
; %bb.1847:                             ;   in Loop: Header=BB243_16 Depth=1
	v_ffbh_u32_e32 v0, v8
	v_min_u32_e32 v0, 32, v0
	v_subrev_nc_u32_e32 v1, 28, v0
	v_sub_nc_u32_e32 v0, 29, v0
	v_lshlrev_b64 v[6:7], v1, v[8:9]
	v_and_b32_e32 v12, 7, v6
; %bb.1848:                             ;   in Loop: Header=BB243_16 Depth=1
	s_or_b32 exec_lo, exec_lo, s26
	v_lshlrev_b32_e32 v1, 24, v16
	v_lshlrev_b32_e32 v6, 20, v12
	v_lshl_add_u32 v0, v0, 23, 0x3c000000
	v_and_b32_e32 v1, 0x80000000, v1
	v_or3_b32 v8, v6, v1, v0
	v_mov_b32_e32 v21, v9
	v_mov_b32_e32 v20, v8
.LBB243_1849:                           ;   in Loop: Header=BB243_16 Depth=1
	s_or_b32 exec_lo, exec_lo, s25
.LBB243_1850:                           ;   in Loop: Header=BB243_16 Depth=1
	s_or_b32 exec_lo, exec_lo, s24
.LBB243_1851:                           ;   in Loop: Header=BB243_16 Depth=1
	s_or_b32 exec_lo, exec_lo, s23
	v_cmp_ne_u16_sdwa s5, v16, v9 src0_sel:BYTE_1 src1_sel:DWORD
	s_and_saveexec_b32 s23, s5
	s_cbranch_execz .LBB243_1859
; %bb.1852:                             ;   in Loop: Header=BB243_16 Depth=1
	v_mov_b32_e32 v46, v9
	v_mov_b32_e32 v0, 0x80
	;; [unrolled: 1-line block ×4, first 2 shown]
	v_cmp_ne_u16_sdwa s5, v16, v0 src0_sel:BYTE_1 src1_sel:DWORD
	s_and_saveexec_b32 s24, s5
	s_cbranch_execz .LBB243_1858
; %bb.1853:                             ;   in Loop: Header=BB243_16 Depth=1
	s_clause 0x1
	buffer_load_dword v94, off, s[0:3], s32 offset:200
	buffer_load_dword v95, off, s[0:3], s32 offset:204
	v_mov_b32_e32 v0, 0xffff
	s_waitcnt vmcnt(1)
	v_mov_b32_e32 v94, v9
	s_mov_b32 s25, exec_lo
	v_and_b32_sdwa v0, v0, v16 dst_sel:DWORD dst_unused:UNUSED_PAD src0_sel:DWORD src1_sel:BYTE_1
	v_and_b32_e32 v1, 0x7f, v0
	s_waitcnt vmcnt(0)
	v_mov_b32_e32 v2, v95
	buffer_store_dword v1, off, s[0:3], s32 offset:200 ; 4-byte Folded Spill
	buffer_store_dword v2, off, s[0:3], s32 offset:204 ; 4-byte Folded Spill
	v_cmpx_ne_u32_e32 0x7f, v1
	s_cbranch_execz .LBB243_1857
; %bb.1854:                             ;   in Loop: Header=BB243_16 Depth=1
	v_and_b32_e32 v8, 7, v0
	v_mov_b32_e32 v13, v9
	v_lshrrev_b32_e32 v0, 3, v1
	s_mov_b32 s26, exec_lo
	v_mov_b32_e32 v12, v8
	v_cmpx_gt_u32_e32 8, v1
; %bb.1855:                             ;   in Loop: Header=BB243_16 Depth=1
	v_ffbh_u32_e32 v0, v8
	v_min_u32_e32 v0, 32, v0
	v_subrev_nc_u32_e32 v1, 28, v0
	v_sub_nc_u32_e32 v0, 29, v0
	v_lshlrev_b64 v[6:7], v1, v[8:9]
	v_and_b32_e32 v12, 7, v6
; %bb.1856:                             ;   in Loop: Header=BB243_16 Depth=1
	s_or_b32 exec_lo, exec_lo, s26
	v_lshlrev_b32_e32 v1, 16, v16
	v_lshlrev_b32_e32 v6, 20, v12
	v_lshl_add_u32 v0, v0, 23, 0x3c000000
	v_mov_b32_e32 v94, v9
	v_and_b32_e32 v1, 0x80000000, v1
	v_or3_b32 v95, v6, v1, v0
.LBB243_1857:                           ;   in Loop: Header=BB243_16 Depth=1
	s_or_b32 exec_lo, exec_lo, s25
.LBB243_1858:                           ;   in Loop: Header=BB243_16 Depth=1
	s_or_b32 exec_lo, exec_lo, s24
.LBB243_1859:                           ;   in Loop: Header=BB243_16 Depth=1
	s_or_b32 exec_lo, exec_lo, s23
	v_mov_b32_e32 v0, 0xff
	v_mov_b32_e32 v22, 0
	;; [unrolled: 1-line block ×5, first 2 shown]
	v_and_b32_sdwa v8, v16, v0 dst_sel:DWORD dst_unused:UNUSED_PAD src0_sel:WORD_1 src1_sel:DWORD
	s_mov_b32 s23, exec_lo
	v_cmpx_ne_u16_e32 0, v8
	s_cbranch_execz .LBB243_1867
; %bb.1860:                             ;   in Loop: Header=BB243_16 Depth=1
	v_bfrev_b32_e32 v70, 1
	v_mov_b32_e32 v71, 0
	s_mov_b32 s24, exec_lo
	v_cmpx_ne_u16_e32 0x80, v8
	s_cbranch_execz .LBB243_1866
; %bb.1861:                             ;   in Loop: Header=BB243_16 Depth=1
	v_mov_b32_e32 v70, 0x7f800001
	v_bfe_u32 v10, v16, 16, 7
	v_mov_b32_e32 v71, 0
	s_mov_b32 s25, exec_lo
	v_cmpx_ne_u32_e32 0x7f, v10
	s_cbranch_execz .LBB243_1865
; %bb.1862:                             ;   in Loop: Header=BB243_16 Depth=1
	v_mov_b32_e32 v0, 7
	v_lshrrev_b32_e32 v6, 3, v10
	s_mov_b32 s26, exec_lo
	v_and_b32_sdwa v8, v16, v0 dst_sel:DWORD dst_unused:UNUSED_PAD src0_sel:WORD_1 src1_sel:DWORD
	v_mov_b32_e32 v13, v9
	v_mov_b32_e32 v12, v8
	v_cmpx_gt_u32_e32 8, v10
; %bb.1863:                             ;   in Loop: Header=BB243_16 Depth=1
	v_ffbh_u32_e32 v6, v8
	v_min_u32_e32 v6, 32, v6
	v_subrev_nc_u32_e32 v7, 28, v6
	v_sub_nc_u32_e32 v6, 29, v6
	v_lshlrev_b64 v[7:8], v7, v[8:9]
	v_and_b32_e32 v12, 7, v7
; %bb.1864:                             ;   in Loop: Header=BB243_16 Depth=1
	s_or_b32 exec_lo, exec_lo, s26
	v_mov_b32_e32 v0, 24
	v_lshlrev_b32_e32 v8, 20, v12
	v_lshl_add_u32 v6, v6, 23, 0x3c000000
	v_lshlrev_b32_sdwa v7, v0, v16 dst_sel:DWORD dst_unused:UNUSED_PAD src0_sel:DWORD src1_sel:WORD_1
	v_and_b32_e32 v7, 0x80000000, v7
	v_or3_b32 v8, v8, v7, v6
	v_mov_b32_e32 v71, v9
	v_mov_b32_e32 v70, v8
.LBB243_1865:                           ;   in Loop: Header=BB243_16 Depth=1
	s_or_b32 exec_lo, exec_lo, s25
.LBB243_1866:                           ;   in Loop: Header=BB243_16 Depth=1
	s_or_b32 exec_lo, exec_lo, s24
.LBB243_1867:                           ;   in Loop: Header=BB243_16 Depth=1
	s_or_b32 exec_lo, exec_lo, s23
	s_mov_b32 s23, exec_lo
	v_cmpx_lt_u32_e32 0xffffff, v16
	s_cbranch_execz .LBB243_1875
; %bb.1868:                             ;   in Loop: Header=BB243_16 Depth=1
	v_mov_b32_e32 v46, v9
	v_mov_b32_e32 v0, 0x80
	;; [unrolled: 1-line block ×3, first 2 shown]
	v_cmp_ne_u32_sdwa s5, v16, v0 src0_sel:BYTE_3 src1_sel:DWORD
	v_mov_b32_e32 v23, v47
	s_and_saveexec_b32 s24, s5
	s_cbranch_execz .LBB243_1874
; %bb.1869:                             ;   in Loop: Header=BB243_16 Depth=1
	s_clause 0x1
	buffer_load_dword v22, off, s[0:3], s32 offset:200
	buffer_load_dword v23, off, s[0:3], s32 offset:204
	v_bfe_u32 v10, v16, 24, 7
	s_waitcnt vmcnt(1)
	v_mov_b32_e32 v22, v9
	s_mov_b32 s25, exec_lo
	s_waitcnt vmcnt(0)
	v_mov_b32_e32 v1, v23
	buffer_store_dword v0, off, s[0:3], s32 offset:200 ; 4-byte Folded Spill
	buffer_store_dword v1, off, s[0:3], s32 offset:204 ; 4-byte Folded Spill
	v_cmpx_ne_u32_e32 0x7f, v10
	s_cbranch_execz .LBB243_1873
; %bb.1870:                             ;   in Loop: Header=BB243_16 Depth=1
	v_mov_b32_e32 v0, 7
	s_mov_b32 s26, exec_lo
	v_and_b32_sdwa v8, v16, v0 dst_sel:DWORD dst_unused:UNUSED_PAD src0_sel:BYTE_3 src1_sel:DWORD
	v_mov_b32_e32 v13, v9
	v_lshrrev_b32_e32 v0, 3, v10
	v_mov_b32_e32 v12, v8
	v_cmpx_gt_u32_e32 8, v10
; %bb.1871:                             ;   in Loop: Header=BB243_16 Depth=1
	v_ffbh_u32_e32 v0, v8
	v_min_u32_e32 v0, 32, v0
	v_subrev_nc_u32_e32 v1, 28, v0
	v_sub_nc_u32_e32 v0, 29, v0
	v_lshlrev_b64 v[12:13], v1, v[8:9]
	v_and_b32_e32 v12, 7, v12
; %bb.1872:                             ;   in Loop: Header=BB243_16 Depth=1
	s_or_b32 exec_lo, exec_lo, s26
	v_mov_b32_e32 v1, 24
	v_lshlrev_b32_e32 v8, 20, v12
	v_lshl_add_u32 v0, v0, 23, 0x3c000000
	v_mov_b32_e32 v22, v9
	v_lshlrev_b32_sdwa v1, v1, v16 dst_sel:DWORD dst_unused:UNUSED_PAD src0_sel:DWORD src1_sel:BYTE_3
	v_and_b32_e32 v1, 0x80000000, v1
	v_or3_b32 v23, v8, v1, v0
.LBB243_1873:                           ;   in Loop: Header=BB243_16 Depth=1
	s_or_b32 exec_lo, exec_lo, s25
.LBB243_1874:                           ;   in Loop: Header=BB243_16 Depth=1
	s_or_b32 exec_lo, exec_lo, s24
.LBB243_1875:                           ;   in Loop: Header=BB243_16 Depth=1
	s_or_b32 exec_lo, exec_lo, s23
	flat_load_dword v16, v[68:69] offset:1032
	v_mov_b32_e32 v112, 0
	v_mov_b32_e32 v18, 0
	;; [unrolled: 1-line block ×4, first 2 shown]
	s_waitcnt vmcnt(0) lgkmcnt(0)
	v_cmp_ne_u16_sdwa s5, v16, v9 src0_sel:BYTE_0 src1_sel:DWORD
	s_and_saveexec_b32 s23, s5
	s_cbranch_execz .LBB243_1883
; %bb.1876:                             ;   in Loop: Header=BB243_16 Depth=1
	v_mov_b32_e32 v0, 0x80
	v_bfrev_b32_e32 v18, 1
	v_mov_b32_e32 v19, 0
	v_cmp_ne_u16_sdwa s5, v16, v0 src0_sel:BYTE_0 src1_sel:DWORD
	s_and_saveexec_b32 s24, s5
	s_cbranch_execz .LBB243_1882
; %bb.1877:                             ;   in Loop: Header=BB243_16 Depth=1
	v_mov_b32_e32 v18, 0x7f800001
	v_and_b32_e32 v12, 0x7f, v16
	v_mov_b32_e32 v19, 0
	s_mov_b32 s25, exec_lo
	v_cmpx_ne_u32_e32 0x7f, v12
	s_cbranch_execz .LBB243_1881
; %bb.1878:                             ;   in Loop: Header=BB243_16 Depth=1
	v_and_b32_e32 v8, 7, v16
	v_lshrrev_b32_e32 v10, 3, v12
	v_cmp_gt_u32_e64 s5, 8, v12
	v_mov_b32_e32 v13, v9
	v_mov_b32_e32 v12, v8
	s_and_saveexec_b32 s26, s5
; %bb.1879:                             ;   in Loop: Header=BB243_16 Depth=1
	v_ffbh_u32_e32 v10, v8
	v_min_u32_e32 v10, 32, v10
	v_subrev_nc_u32_e32 v12, 28, v10
	v_sub_nc_u32_e32 v10, 29, v10
	v_lshlrev_b64 v[12:13], v12, v[8:9]
	v_and_b32_e32 v12, 7, v12
; %bb.1880:                             ;   in Loop: Header=BB243_16 Depth=1
	s_or_b32 exec_lo, exec_lo, s26
	v_lshlrev_b32_e32 v8, 24, v16
	v_lshlrev_b32_e32 v12, 20, v12
	v_lshl_add_u32 v10, v10, 23, 0x3c000000
	v_and_b32_e32 v8, 0x80000000, v8
	v_or3_b32 v8, v12, v8, v10
	v_mov_b32_e32 v19, v9
	v_mov_b32_e32 v18, v8
.LBB243_1881:                           ;   in Loop: Header=BB243_16 Depth=1
	s_or_b32 exec_lo, exec_lo, s25
.LBB243_1882:                           ;   in Loop: Header=BB243_16 Depth=1
	s_or_b32 exec_lo, exec_lo, s24
.LBB243_1883:                           ;   in Loop: Header=BB243_16 Depth=1
	s_or_b32 exec_lo, exec_lo, s23
	v_cmp_ne_u16_sdwa s5, v16, v9 src0_sel:BYTE_1 src1_sel:DWORD
	s_and_saveexec_b32 s23, s5
	s_cbranch_execz .LBB243_1891
; %bb.1884:                             ;   in Loop: Header=BB243_16 Depth=1
	v_mov_b32_e32 v46, v9
	v_mov_b32_e32 v0, 0x80
	;; [unrolled: 1-line block ×4, first 2 shown]
	v_cmp_ne_u16_sdwa s5, v16, v0 src0_sel:BYTE_1 src1_sel:DWORD
	s_and_saveexec_b32 s24, s5
	s_cbranch_execz .LBB243_1890
; %bb.1885:                             ;   in Loop: Header=BB243_16 Depth=1
	s_clause 0x1
	buffer_load_dword v112, off, s[0:3], s32 offset:200
	buffer_load_dword v113, off, s[0:3], s32 offset:204
	v_mov_b32_e32 v0, 0xffff
	s_waitcnt vmcnt(1)
	v_mov_b32_e32 v112, v9
	s_mov_b32 s25, exec_lo
	v_and_b32_sdwa v8, v0, v16 dst_sel:DWORD dst_unused:UNUSED_PAD src0_sel:DWORD src1_sel:BYTE_1
	v_and_b32_e32 v12, 0x7f, v8
	s_waitcnt vmcnt(0)
	v_mov_b32_e32 v1, v113
	buffer_store_dword v0, off, s[0:3], s32 offset:200 ; 4-byte Folded Spill
	buffer_store_dword v1, off, s[0:3], s32 offset:204 ; 4-byte Folded Spill
	v_cmpx_ne_u32_e32 0x7f, v12
	s_cbranch_execz .LBB243_1889
; %bb.1886:                             ;   in Loop: Header=BB243_16 Depth=1
	v_and_b32_e32 v8, 7, v8
	v_lshrrev_b32_e32 v10, 3, v12
	v_cmp_gt_u32_e64 s5, 8, v12
	v_mov_b32_e32 v13, v9
	v_mov_b32_e32 v12, v8
	s_and_saveexec_b32 s26, s5
; %bb.1887:                             ;   in Loop: Header=BB243_16 Depth=1
	v_ffbh_u32_e32 v10, v8
	v_min_u32_e32 v10, 32, v10
	v_subrev_nc_u32_e32 v12, 28, v10
	v_sub_nc_u32_e32 v10, 29, v10
	v_lshlrev_b64 v[12:13], v12, v[8:9]
	v_and_b32_e32 v12, 7, v12
; %bb.1888:                             ;   in Loop: Header=BB243_16 Depth=1
	s_or_b32 exec_lo, exec_lo, s26
	v_lshlrev_b32_e32 v8, 16, v16
	v_lshlrev_b32_e32 v12, 20, v12
	v_lshl_add_u32 v10, v10, 23, 0x3c000000
	v_mov_b32_e32 v112, v9
	v_and_b32_e32 v8, 0x80000000, v8
	v_or3_b32 v113, v12, v8, v10
.LBB243_1889:                           ;   in Loop: Header=BB243_16 Depth=1
	s_or_b32 exec_lo, exec_lo, s25
.LBB243_1890:                           ;   in Loop: Header=BB243_16 Depth=1
	s_or_b32 exec_lo, exec_lo, s24
.LBB243_1891:                           ;   in Loop: Header=BB243_16 Depth=1
	s_or_b32 exec_lo, exec_lo, s23
	v_mov_b32_e32 v0, 0xff
	v_mov_b32_e32 v36, 0
	;; [unrolled: 1-line block ×5, first 2 shown]
	v_and_b32_sdwa v8, v16, v0 dst_sel:DWORD dst_unused:UNUSED_PAD src0_sel:WORD_1 src1_sel:DWORD
	s_mov_b32 s23, exec_lo
	v_cmpx_ne_u16_e32 0, v8
	s_cbranch_execz .LBB243_1899
; %bb.1892:                             ;   in Loop: Header=BB243_16 Depth=1
	v_bfrev_b32_e32 v82, 1
	v_mov_b32_e32 v83, 0
	s_mov_b32 s24, exec_lo
	v_cmpx_ne_u16_e32 0x80, v8
	s_cbranch_execz .LBB243_1898
; %bb.1893:                             ;   in Loop: Header=BB243_16 Depth=1
	v_mov_b32_e32 v82, 0x7f800001
	v_bfe_u32 v12, v16, 16, 7
	v_mov_b32_e32 v83, 0
	s_mov_b32 s25, exec_lo
	v_cmpx_ne_u32_e32 0x7f, v12
	s_cbranch_execz .LBB243_1897
; %bb.1894:                             ;   in Loop: Header=BB243_16 Depth=1
	v_mov_b32_e32 v0, 7
	v_lshrrev_b32_e32 v10, 3, v12
	v_cmp_gt_u32_e64 s5, 8, v12
	v_and_b32_sdwa v8, v16, v0 dst_sel:DWORD dst_unused:UNUSED_PAD src0_sel:WORD_1 src1_sel:DWORD
	v_mov_b32_e32 v13, v9
	v_mov_b32_e32 v12, v8
	s_and_saveexec_b32 s26, s5
; %bb.1895:                             ;   in Loop: Header=BB243_16 Depth=1
	v_ffbh_u32_e32 v10, v8
	v_min_u32_e32 v10, 32, v10
	v_subrev_nc_u32_e32 v12, 28, v10
	v_sub_nc_u32_e32 v10, 29, v10
	v_lshlrev_b64 v[12:13], v12, v[8:9]
	v_and_b32_e32 v12, 7, v12
; %bb.1896:                             ;   in Loop: Header=BB243_16 Depth=1
	s_or_b32 exec_lo, exec_lo, s26
	v_mov_b32_e32 v0, 24
	v_lshlrev_b32_e32 v12, 20, v12
	v_lshl_add_u32 v10, v10, 23, 0x3c000000
	v_lshlrev_b32_sdwa v8, v0, v16 dst_sel:DWORD dst_unused:UNUSED_PAD src0_sel:DWORD src1_sel:WORD_1
	v_and_b32_e32 v8, 0x80000000, v8
	v_or3_b32 v8, v12, v8, v10
	v_mov_b32_e32 v83, v9
	v_mov_b32_e32 v82, v8
.LBB243_1897:                           ;   in Loop: Header=BB243_16 Depth=1
	s_or_b32 exec_lo, exec_lo, s25
.LBB243_1898:                           ;   in Loop: Header=BB243_16 Depth=1
	s_or_b32 exec_lo, exec_lo, s24
.LBB243_1899:                           ;   in Loop: Header=BB243_16 Depth=1
	s_or_b32 exec_lo, exec_lo, s23
	s_mov_b32 s23, exec_lo
	v_cmpx_lt_u32_e32 0xffffff, v16
	s_cbranch_execz .LBB243_1907
; %bb.1900:                             ;   in Loop: Header=BB243_16 Depth=1
	v_mov_b32_e32 v46, v9
	v_mov_b32_e32 v0, 0x80
	;; [unrolled: 1-line block ×3, first 2 shown]
	v_cmp_ne_u32_sdwa s5, v16, v0 src0_sel:BYTE_3 src1_sel:DWORD
	v_mov_b32_e32 v37, v47
	s_and_saveexec_b32 s24, s5
	s_cbranch_execz .LBB243_1906
; %bb.1901:                             ;   in Loop: Header=BB243_16 Depth=1
	s_clause 0x1
	buffer_load_dword v36, off, s[0:3], s32 offset:200
	buffer_load_dword v37, off, s[0:3], s32 offset:204
	v_bfe_u32 v12, v16, 24, 7
	s_waitcnt vmcnt(1)
	v_mov_b32_e32 v36, v9
	s_mov_b32 s25, exec_lo
	s_waitcnt vmcnt(0)
	v_mov_b32_e32 v1, v37
	buffer_store_dword v0, off, s[0:3], s32 offset:200 ; 4-byte Folded Spill
	buffer_store_dword v1, off, s[0:3], s32 offset:204 ; 4-byte Folded Spill
	v_cmpx_ne_u32_e32 0x7f, v12
	s_cbranch_execz .LBB243_1905
; %bb.1902:                             ;   in Loop: Header=BB243_16 Depth=1
	v_mov_b32_e32 v0, 7
	v_lshrrev_b32_e32 v10, 3, v12
	v_cmp_gt_u32_e64 s5, 8, v12
	v_and_b32_sdwa v8, v16, v0 dst_sel:DWORD dst_unused:UNUSED_PAD src0_sel:BYTE_3 src1_sel:DWORD
	v_mov_b32_e32 v13, v9
	v_mov_b32_e32 v12, v8
	s_and_saveexec_b32 s26, s5
; %bb.1903:                             ;   in Loop: Header=BB243_16 Depth=1
	v_ffbh_u32_e32 v10, v8
	v_min_u32_e32 v10, 32, v10
	v_subrev_nc_u32_e32 v12, 28, v10
	v_sub_nc_u32_e32 v10, 29, v10
	v_lshlrev_b64 v[12:13], v12, v[8:9]
	v_and_b32_e32 v12, 7, v12
; %bb.1904:                             ;   in Loop: Header=BB243_16 Depth=1
	s_or_b32 exec_lo, exec_lo, s26
	v_mov_b32_e32 v0, 24
	v_lshlrev_b32_e32 v12, 20, v12
	v_lshl_add_u32 v10, v10, 23, 0x3c000000
	v_mov_b32_e32 v36, v9
	v_lshlrev_b32_sdwa v8, v0, v16 dst_sel:DWORD dst_unused:UNUSED_PAD src0_sel:DWORD src1_sel:BYTE_3
	v_and_b32_e32 v8, 0x80000000, v8
	v_or3_b32 v37, v12, v8, v10
.LBB243_1905:                           ;   in Loop: Header=BB243_16 Depth=1
	s_or_b32 exec_lo, exec_lo, s25
.LBB243_1906:                           ;   in Loop: Header=BB243_16 Depth=1
	s_or_b32 exec_lo, exec_lo, s24
.LBB243_1907:                           ;   in Loop: Header=BB243_16 Depth=1
	s_or_b32 exec_lo, exec_lo, s23
	flat_load_dword v24, v[68:69] offset:1036
	v_mov_b32_e32 v84, 0
	v_mov_b32_e32 v60, 0
	v_mov_b32_e32 v85, 0
	v_mov_b32_e32 v61, 0
	s_waitcnt vmcnt(0) lgkmcnt(0)
	v_cmp_ne_u16_sdwa s5, v24, v9 src0_sel:BYTE_0 src1_sel:DWORD
	s_and_saveexec_b32 s23, s5
	s_cbranch_execz .LBB243_1915
; %bb.1908:                             ;   in Loop: Header=BB243_16 Depth=1
	v_mov_b32_e32 v0, 0x80
	v_bfrev_b32_e32 v60, 1
	v_mov_b32_e32 v61, 0
	v_cmp_ne_u16_sdwa s5, v24, v0 src0_sel:BYTE_0 src1_sel:DWORD
	s_and_saveexec_b32 s24, s5
	s_cbranch_execz .LBB243_1914
; %bb.1909:                             ;   in Loop: Header=BB243_16 Depth=1
	v_mov_b32_e32 v60, 0x7f800001
	v_and_b32_e32 v12, 0x7f, v24
	v_mov_b32_e32 v61, 0
	s_mov_b32 s25, exec_lo
	v_cmpx_ne_u32_e32 0x7f, v12
	s_cbranch_execz .LBB243_1913
; %bb.1910:                             ;   in Loop: Header=BB243_16 Depth=1
	v_and_b32_e32 v8, 7, v24
	v_lshrrev_b32_e32 v10, 3, v12
	v_cmp_gt_u32_e64 s5, 8, v12
	v_mov_b32_e32 v13, v9
	v_mov_b32_e32 v12, v8
	s_and_saveexec_b32 s26, s5
; %bb.1911:                             ;   in Loop: Header=BB243_16 Depth=1
	v_ffbh_u32_e32 v10, v8
	v_min_u32_e32 v10, 32, v10
	v_subrev_nc_u32_e32 v12, 28, v10
	v_sub_nc_u32_e32 v10, 29, v10
	v_lshlrev_b64 v[12:13], v12, v[8:9]
	v_and_b32_e32 v12, 7, v12
; %bb.1912:                             ;   in Loop: Header=BB243_16 Depth=1
	s_or_b32 exec_lo, exec_lo, s26
	v_lshlrev_b32_e32 v8, 24, v24
	v_lshlrev_b32_e32 v12, 20, v12
	v_lshl_add_u32 v10, v10, 23, 0x3c000000
	v_and_b32_e32 v8, 0x80000000, v8
	v_or3_b32 v8, v12, v8, v10
	v_mov_b32_e32 v61, v9
	v_mov_b32_e32 v60, v8
.LBB243_1913:                           ;   in Loop: Header=BB243_16 Depth=1
	s_or_b32 exec_lo, exec_lo, s25
.LBB243_1914:                           ;   in Loop: Header=BB243_16 Depth=1
	s_or_b32 exec_lo, exec_lo, s24
.LBB243_1915:                           ;   in Loop: Header=BB243_16 Depth=1
	s_or_b32 exec_lo, exec_lo, s23
	v_cmp_ne_u16_sdwa s5, v24, v9 src0_sel:BYTE_1 src1_sel:DWORD
	s_and_saveexec_b32 s23, s5
	s_cbranch_execz .LBB243_1923
; %bb.1916:                             ;   in Loop: Header=BB243_16 Depth=1
	v_mov_b32_e32 v46, v9
	v_mov_b32_e32 v0, 0x80
	;; [unrolled: 1-line block ×4, first 2 shown]
	v_cmp_ne_u16_sdwa s5, v24, v0 src0_sel:BYTE_1 src1_sel:DWORD
	s_and_saveexec_b32 s24, s5
	s_cbranch_execz .LBB243_1922
; %bb.1917:                             ;   in Loop: Header=BB243_16 Depth=1
	s_clause 0x1
	buffer_load_dword v84, off, s[0:3], s32 offset:200
	buffer_load_dword v85, off, s[0:3], s32 offset:204
	v_mov_b32_e32 v0, 0xffff
	s_waitcnt vmcnt(1)
	v_mov_b32_e32 v84, v9
	s_mov_b32 s25, exec_lo
	v_and_b32_sdwa v8, v0, v24 dst_sel:DWORD dst_unused:UNUSED_PAD src0_sel:DWORD src1_sel:BYTE_1
	v_and_b32_e32 v12, 0x7f, v8
	s_waitcnt vmcnt(0)
	v_mov_b32_e32 v1, v85
	buffer_store_dword v0, off, s[0:3], s32 offset:200 ; 4-byte Folded Spill
	buffer_store_dword v1, off, s[0:3], s32 offset:204 ; 4-byte Folded Spill
	v_cmpx_ne_u32_e32 0x7f, v12
	s_cbranch_execz .LBB243_1921
; %bb.1918:                             ;   in Loop: Header=BB243_16 Depth=1
	v_and_b32_e32 v8, 7, v8
	v_lshrrev_b32_e32 v10, 3, v12
	v_cmp_gt_u32_e64 s5, 8, v12
	v_mov_b32_e32 v13, v9
	v_mov_b32_e32 v12, v8
	s_and_saveexec_b32 s26, s5
; %bb.1919:                             ;   in Loop: Header=BB243_16 Depth=1
	v_ffbh_u32_e32 v10, v8
	v_min_u32_e32 v10, 32, v10
	v_subrev_nc_u32_e32 v12, 28, v10
	v_sub_nc_u32_e32 v10, 29, v10
	v_lshlrev_b64 v[12:13], v12, v[8:9]
	v_and_b32_e32 v12, 7, v12
; %bb.1920:                             ;   in Loop: Header=BB243_16 Depth=1
	s_or_b32 exec_lo, exec_lo, s26
	v_lshlrev_b32_e32 v8, 16, v24
	v_lshlrev_b32_e32 v12, 20, v12
	v_lshl_add_u32 v10, v10, 23, 0x3c000000
	v_mov_b32_e32 v84, v9
	v_and_b32_e32 v8, 0x80000000, v8
	v_or3_b32 v85, v12, v8, v10
.LBB243_1921:                           ;   in Loop: Header=BB243_16 Depth=1
	s_or_b32 exec_lo, exec_lo, s25
.LBB243_1922:                           ;   in Loop: Header=BB243_16 Depth=1
	s_or_b32 exec_lo, exec_lo, s24
.LBB243_1923:                           ;   in Loop: Header=BB243_16 Depth=1
	s_or_b32 exec_lo, exec_lo, s23
	v_mov_b32_e32 v0, 0xff
	v_mov_b32_e32 v33, 0
	;; [unrolled: 1-line block ×5, first 2 shown]
	v_and_b32_sdwa v8, v24, v0 dst_sel:DWORD dst_unused:UNUSED_PAD src0_sel:WORD_1 src1_sel:DWORD
	s_mov_b32 s23, exec_lo
	v_cmpx_ne_u16_e32 0, v8
	s_cbranch_execz .LBB243_1931
; %bb.1924:                             ;   in Loop: Header=BB243_16 Depth=1
	v_bfrev_b32_e32 v122, 1
	v_mov_b32_e32 v123, 0
	s_mov_b32 s24, exec_lo
	v_cmpx_ne_u16_e32 0x80, v8
	s_cbranch_execz .LBB243_1930
; %bb.1925:                             ;   in Loop: Header=BB243_16 Depth=1
	v_mov_b32_e32 v122, 0x7f800001
	v_bfe_u32 v12, v24, 16, 7
	v_mov_b32_e32 v123, 0
	s_mov_b32 s25, exec_lo
	v_cmpx_ne_u32_e32 0x7f, v12
	s_cbranch_execz .LBB243_1929
; %bb.1926:                             ;   in Loop: Header=BB243_16 Depth=1
	v_mov_b32_e32 v0, 7
	v_lshrrev_b32_e32 v10, 3, v12
	v_cmp_gt_u32_e64 s5, 8, v12
	v_and_b32_sdwa v8, v24, v0 dst_sel:DWORD dst_unused:UNUSED_PAD src0_sel:WORD_1 src1_sel:DWORD
	v_mov_b32_e32 v13, v9
	v_mov_b32_e32 v12, v8
	s_and_saveexec_b32 s26, s5
; %bb.1927:                             ;   in Loop: Header=BB243_16 Depth=1
	v_ffbh_u32_e32 v10, v8
	v_min_u32_e32 v10, 32, v10
	v_subrev_nc_u32_e32 v12, 28, v10
	v_sub_nc_u32_e32 v10, 29, v10
	v_lshlrev_b64 v[12:13], v12, v[8:9]
	v_and_b32_e32 v12, 7, v12
; %bb.1928:                             ;   in Loop: Header=BB243_16 Depth=1
	s_or_b32 exec_lo, exec_lo, s26
	v_mov_b32_e32 v0, 24
	v_lshlrev_b32_e32 v12, 20, v12
	v_lshl_add_u32 v10, v10, 23, 0x3c000000
	v_lshlrev_b32_sdwa v8, v0, v24 dst_sel:DWORD dst_unused:UNUSED_PAD src0_sel:DWORD src1_sel:WORD_1
	v_and_b32_e32 v8, 0x80000000, v8
	v_or3_b32 v8, v12, v8, v10
	v_mov_b32_e32 v123, v9
	v_mov_b32_e32 v122, v8
.LBB243_1929:                           ;   in Loop: Header=BB243_16 Depth=1
	s_or_b32 exec_lo, exec_lo, s25
.LBB243_1930:                           ;   in Loop: Header=BB243_16 Depth=1
	s_or_b32 exec_lo, exec_lo, s24
.LBB243_1931:                           ;   in Loop: Header=BB243_16 Depth=1
	s_or_b32 exec_lo, exec_lo, s23
	s_mov_b32 s23, exec_lo
	v_cmpx_lt_u32_e32 0xffffff, v24
	s_cbranch_execz .LBB243_1939
; %bb.1932:                             ;   in Loop: Header=BB243_16 Depth=1
	v_mov_b32_e32 v46, v9
	v_mov_b32_e32 v0, 0x80
	;; [unrolled: 1-line block ×3, first 2 shown]
	v_cmp_ne_u32_sdwa s5, v24, v0 src0_sel:BYTE_3 src1_sel:DWORD
	v_mov_b32_e32 v34, v47
	s_and_saveexec_b32 s24, s5
	s_cbranch_execz .LBB243_1938
; %bb.1933:                             ;   in Loop: Header=BB243_16 Depth=1
	s_clause 0x1
	buffer_load_dword v33, off, s[0:3], s32 offset:200
	buffer_load_dword v34, off, s[0:3], s32 offset:204
	v_bfe_u32 v12, v24, 24, 7
	s_waitcnt vmcnt(1)
	v_mov_b32_e32 v33, v9
	s_mov_b32 s25, exec_lo
	s_waitcnt vmcnt(0)
	v_mov_b32_e32 v1, v34
	buffer_store_dword v0, off, s[0:3], s32 offset:200 ; 4-byte Folded Spill
	buffer_store_dword v1, off, s[0:3], s32 offset:204 ; 4-byte Folded Spill
	v_cmpx_ne_u32_e32 0x7f, v12
	s_cbranch_execz .LBB243_1937
; %bb.1934:                             ;   in Loop: Header=BB243_16 Depth=1
	v_mov_b32_e32 v0, 7
	v_lshrrev_b32_e32 v10, 3, v12
	v_cmp_gt_u32_e64 s5, 8, v12
	v_and_b32_sdwa v8, v24, v0 dst_sel:DWORD dst_unused:UNUSED_PAD src0_sel:BYTE_3 src1_sel:DWORD
	v_mov_b32_e32 v13, v9
	v_mov_b32_e32 v12, v8
	s_and_saveexec_b32 s26, s5
; %bb.1935:                             ;   in Loop: Header=BB243_16 Depth=1
	v_ffbh_u32_e32 v10, v8
	v_min_u32_e32 v10, 32, v10
	v_subrev_nc_u32_e32 v12, 28, v10
	v_sub_nc_u32_e32 v10, 29, v10
	v_lshlrev_b64 v[12:13], v12, v[8:9]
	v_and_b32_e32 v12, 7, v12
; %bb.1936:                             ;   in Loop: Header=BB243_16 Depth=1
	s_or_b32 exec_lo, exec_lo, s26
	v_mov_b32_e32 v0, 24
	v_lshlrev_b32_e32 v12, 20, v12
	v_lshl_add_u32 v10, v10, 23, 0x3c000000
	v_mov_b32_e32 v33, v9
	v_lshlrev_b32_sdwa v8, v0, v24 dst_sel:DWORD dst_unused:UNUSED_PAD src0_sel:DWORD src1_sel:BYTE_3
	v_and_b32_e32 v8, 0x80000000, v8
	v_or3_b32 v34, v12, v8, v10
.LBB243_1937:                           ;   in Loop: Header=BB243_16 Depth=1
	s_or_b32 exec_lo, exec_lo, s25
.LBB243_1938:                           ;   in Loop: Header=BB243_16 Depth=1
	s_or_b32 exec_lo, exec_lo, s24
.LBB243_1939:                           ;   in Loop: Header=BB243_16 Depth=1
	s_or_b32 exec_lo, exec_lo, s23
	flat_load_dword v48, v[68:69] offset:1536
	v_mov_b32_e32 v124, 0
	v_mov_b32_e32 v98, 0
	v_mov_b32_e32 v125, 0
	v_mov_b32_e32 v99, 0
	s_waitcnt vmcnt(0) lgkmcnt(0)
	v_cmp_ne_u16_sdwa s5, v48, v9 src0_sel:BYTE_0 src1_sel:DWORD
	s_and_saveexec_b32 s23, s5
	s_cbranch_execz .LBB243_1947
; %bb.1940:                             ;   in Loop: Header=BB243_16 Depth=1
	v_mov_b32_e32 v0, 0x80
	v_bfrev_b32_e32 v98, 1
	v_mov_b32_e32 v99, 0
	v_cmp_ne_u16_sdwa s5, v48, v0 src0_sel:BYTE_0 src1_sel:DWORD
	s_and_saveexec_b32 s24, s5
	s_cbranch_execz .LBB243_1946
; %bb.1941:                             ;   in Loop: Header=BB243_16 Depth=1
	v_mov_b32_e32 v98, 0x7f800001
	v_and_b32_e32 v12, 0x7f, v48
	v_mov_b32_e32 v99, 0
	s_mov_b32 s25, exec_lo
	v_cmpx_ne_u32_e32 0x7f, v12
	s_cbranch_execz .LBB243_1945
; %bb.1942:                             ;   in Loop: Header=BB243_16 Depth=1
	v_and_b32_e32 v8, 7, v48
	v_lshrrev_b32_e32 v10, 3, v12
	v_cmp_gt_u32_e64 s5, 8, v12
	v_mov_b32_e32 v13, v9
	v_mov_b32_e32 v12, v8
	s_and_saveexec_b32 s26, s5
; %bb.1943:                             ;   in Loop: Header=BB243_16 Depth=1
	v_ffbh_u32_e32 v10, v8
	v_min_u32_e32 v10, 32, v10
	v_subrev_nc_u32_e32 v12, 28, v10
	v_sub_nc_u32_e32 v10, 29, v10
	v_lshlrev_b64 v[12:13], v12, v[8:9]
	v_and_b32_e32 v12, 7, v12
; %bb.1944:                             ;   in Loop: Header=BB243_16 Depth=1
	s_or_b32 exec_lo, exec_lo, s26
	v_lshlrev_b32_e32 v8, 24, v48
	v_lshlrev_b32_e32 v12, 20, v12
	v_lshl_add_u32 v10, v10, 23, 0x3c000000
	v_and_b32_e32 v8, 0x80000000, v8
	v_or3_b32 v8, v12, v8, v10
	v_mov_b32_e32 v99, v9
	v_mov_b32_e32 v98, v8
.LBB243_1945:                           ;   in Loop: Header=BB243_16 Depth=1
	s_or_b32 exec_lo, exec_lo, s25
.LBB243_1946:                           ;   in Loop: Header=BB243_16 Depth=1
	s_or_b32 exec_lo, exec_lo, s24
.LBB243_1947:                           ;   in Loop: Header=BB243_16 Depth=1
	s_or_b32 exec_lo, exec_lo, s23
	v_cmp_ne_u16_sdwa s5, v48, v9 src0_sel:BYTE_1 src1_sel:DWORD
	s_and_saveexec_b32 s23, s5
	s_cbranch_execz .LBB243_1955
; %bb.1948:                             ;   in Loop: Header=BB243_16 Depth=1
	v_mov_b32_e32 v46, v9
	v_mov_b32_e32 v0, 0x80
	;; [unrolled: 1-line block ×4, first 2 shown]
	v_cmp_ne_u16_sdwa s5, v48, v0 src0_sel:BYTE_1 src1_sel:DWORD
	s_and_saveexec_b32 s24, s5
	s_cbranch_execz .LBB243_1954
; %bb.1949:                             ;   in Loop: Header=BB243_16 Depth=1
	s_clause 0x1
	buffer_load_dword v124, off, s[0:3], s32 offset:200
	buffer_load_dword v125, off, s[0:3], s32 offset:204
	v_mov_b32_e32 v0, 0xffff
	s_waitcnt vmcnt(1)
	v_mov_b32_e32 v124, v9
	s_mov_b32 s25, exec_lo
	v_and_b32_sdwa v8, v0, v48 dst_sel:DWORD dst_unused:UNUSED_PAD src0_sel:DWORD src1_sel:BYTE_1
	v_and_b32_e32 v12, 0x7f, v8
	s_waitcnt vmcnt(0)
	v_mov_b32_e32 v1, v125
	buffer_store_dword v0, off, s[0:3], s32 offset:200 ; 4-byte Folded Spill
	buffer_store_dword v1, off, s[0:3], s32 offset:204 ; 4-byte Folded Spill
	v_cmpx_ne_u32_e32 0x7f, v12
	s_cbranch_execz .LBB243_1953
; %bb.1950:                             ;   in Loop: Header=BB243_16 Depth=1
	v_and_b32_e32 v8, 7, v8
	v_lshrrev_b32_e32 v10, 3, v12
	v_cmp_gt_u32_e64 s5, 8, v12
	v_mov_b32_e32 v13, v9
	v_mov_b32_e32 v12, v8
	s_and_saveexec_b32 s26, s5
; %bb.1951:                             ;   in Loop: Header=BB243_16 Depth=1
	v_ffbh_u32_e32 v10, v8
	v_min_u32_e32 v10, 32, v10
	v_subrev_nc_u32_e32 v12, 28, v10
	v_sub_nc_u32_e32 v10, 29, v10
	v_lshlrev_b64 v[12:13], v12, v[8:9]
	v_and_b32_e32 v12, 7, v12
; %bb.1952:                             ;   in Loop: Header=BB243_16 Depth=1
	s_or_b32 exec_lo, exec_lo, s26
	v_lshlrev_b32_e32 v8, 16, v48
	v_lshlrev_b32_e32 v12, 20, v12
	v_lshl_add_u32 v10, v10, 23, 0x3c000000
	v_mov_b32_e32 v124, v9
	v_and_b32_e32 v8, 0x80000000, v8
	v_or3_b32 v125, v12, v8, v10
.LBB243_1953:                           ;   in Loop: Header=BB243_16 Depth=1
	s_or_b32 exec_lo, exec_lo, s25
.LBB243_1954:                           ;   in Loop: Header=BB243_16 Depth=1
	s_or_b32 exec_lo, exec_lo, s24
.LBB243_1955:                           ;   in Loop: Header=BB243_16 Depth=1
	s_or_b32 exec_lo, exec_lo, s23
	v_mov_b32_e32 v0, 0xff
	v_mov_b32_e32 v11, 0
	;; [unrolled: 1-line block ×5, first 2 shown]
	v_and_b32_sdwa v8, v48, v0 dst_sel:DWORD dst_unused:UNUSED_PAD src0_sel:WORD_1 src1_sel:DWORD
	s_mov_b32 s23, exec_lo
	v_cmpx_ne_u16_e32 0, v8
	s_cbranch_execz .LBB243_1963
; %bb.1956:                             ;   in Loop: Header=BB243_16 Depth=1
	v_bfrev_b32_e32 v126, 1
	v_mov_b32_e32 v127, 0
	s_mov_b32 s24, exec_lo
	v_cmpx_ne_u16_e32 0x80, v8
	s_cbranch_execz .LBB243_1962
; %bb.1957:                             ;   in Loop: Header=BB243_16 Depth=1
	v_mov_b32_e32 v126, 0x7f800001
	v_bfe_u32 v24, v48, 16, 7
	v_mov_b32_e32 v127, 0
	s_mov_b32 s25, exec_lo
	v_cmpx_ne_u32_e32 0x7f, v24
	s_cbranch_execz .LBB243_1961
; %bb.1958:                             ;   in Loop: Header=BB243_16 Depth=1
	v_mov_b32_e32 v0, 7
	v_lshrrev_b32_e32 v10, 3, v24
	v_cmp_gt_u32_e64 s5, 8, v24
	v_and_b32_sdwa v8, v48, v0 dst_sel:DWORD dst_unused:UNUSED_PAD src0_sel:WORD_1 src1_sel:DWORD
	v_mov_b32_e32 v25, v9
	v_mov_b32_e32 v24, v8
	s_and_saveexec_b32 s26, s5
; %bb.1959:                             ;   in Loop: Header=BB243_16 Depth=1
	v_ffbh_u32_e32 v10, v8
	v_min_u32_e32 v10, 32, v10
	v_subrev_nc_u32_e32 v24, 28, v10
	v_sub_nc_u32_e32 v10, 29, v10
	v_lshlrev_b64 v[24:25], v24, v[8:9]
	v_and_b32_e32 v24, 7, v24
; %bb.1960:                             ;   in Loop: Header=BB243_16 Depth=1
	s_or_b32 exec_lo, exec_lo, s26
	v_mov_b32_e32 v0, 24
	v_lshlrev_b32_e32 v24, 20, v24
	v_lshl_add_u32 v10, v10, 23, 0x3c000000
	v_lshlrev_b32_sdwa v8, v0, v48 dst_sel:DWORD dst_unused:UNUSED_PAD src0_sel:DWORD src1_sel:WORD_1
	v_and_b32_e32 v8, 0x80000000, v8
	v_or3_b32 v8, v24, v8, v10
	v_mov_b32_e32 v127, v9
	v_mov_b32_e32 v126, v8
.LBB243_1961:                           ;   in Loop: Header=BB243_16 Depth=1
	s_or_b32 exec_lo, exec_lo, s25
.LBB243_1962:                           ;   in Loop: Header=BB243_16 Depth=1
	s_or_b32 exec_lo, exec_lo, s24
.LBB243_1963:                           ;   in Loop: Header=BB243_16 Depth=1
	s_or_b32 exec_lo, exec_lo, s23
	s_mov_b32 s23, exec_lo
	v_cmpx_lt_u32_e32 0xffffff, v48
	s_cbranch_execz .LBB243_1971
; %bb.1964:                             ;   in Loop: Header=BB243_16 Depth=1
	v_mov_b32_e32 v46, v9
	v_mov_b32_e32 v0, 0x80
	;; [unrolled: 1-line block ×3, first 2 shown]
	v_cmp_ne_u32_sdwa s5, v48, v0 src0_sel:BYTE_3 src1_sel:DWORD
	v_mov_b32_e32 v12, v47
	s_and_saveexec_b32 s24, s5
	s_cbranch_execz .LBB243_1970
; %bb.1965:                             ;   in Loop: Header=BB243_16 Depth=1
	s_clause 0x1
	buffer_load_dword v11, off, s[0:3], s32 offset:200
	buffer_load_dword v12, off, s[0:3], s32 offset:204
	v_bfe_u32 v24, v48, 24, 7
	s_waitcnt vmcnt(1)
	v_mov_b32_e32 v11, v9
	s_mov_b32 s25, exec_lo
	s_waitcnt vmcnt(0)
	v_mov_b32_e32 v1, v12
	buffer_store_dword v0, off, s[0:3], s32 offset:200 ; 4-byte Folded Spill
	buffer_store_dword v1, off, s[0:3], s32 offset:204 ; 4-byte Folded Spill
	v_cmpx_ne_u32_e32 0x7f, v24
	s_cbranch_execz .LBB243_1969
; %bb.1966:                             ;   in Loop: Header=BB243_16 Depth=1
	v_mov_b32_e32 v0, 7
	v_lshrrev_b32_e32 v10, 3, v24
	s_mov_b32 s26, exec_lo
	v_and_b32_sdwa v8, v48, v0 dst_sel:DWORD dst_unused:UNUSED_PAD src0_sel:BYTE_3 src1_sel:DWORD
	v_mov_b32_e32 v13, v9
	v_mov_b32_e32 v12, v8
	v_cmpx_gt_u32_e32 8, v24
; %bb.1967:                             ;   in Loop: Header=BB243_16 Depth=1
	v_ffbh_u32_e32 v10, v8
	v_min_u32_e32 v10, 32, v10
	v_subrev_nc_u32_e32 v12, 28, v10
	v_sub_nc_u32_e32 v10, 29, v10
	v_lshlrev_b64 v[12:13], v12, v[8:9]
	v_and_b32_e32 v12, 7, v12
; %bb.1968:                             ;   in Loop: Header=BB243_16 Depth=1
	s_or_b32 exec_lo, exec_lo, s26
	v_mov_b32_e32 v0, 24
	v_lshlrev_b32_e32 v12, 20, v12
	v_lshl_add_u32 v10, v10, 23, 0x3c000000
	v_mov_b32_e32 v11, v9
	v_lshlrev_b32_sdwa v8, v0, v48 dst_sel:DWORD dst_unused:UNUSED_PAD src0_sel:DWORD src1_sel:BYTE_3
	v_and_b32_e32 v8, 0x80000000, v8
	v_or3_b32 v12, v12, v8, v10
.LBB243_1969:                           ;   in Loop: Header=BB243_16 Depth=1
	s_or_b32 exec_lo, exec_lo, s25
.LBB243_1970:                           ;   in Loop: Header=BB243_16 Depth=1
	s_or_b32 exec_lo, exec_lo, s24
.LBB243_1971:                           ;   in Loop: Header=BB243_16 Depth=1
	s_or_b32 exec_lo, exec_lo, s23
	flat_load_dword v50, v[68:69] offset:1540
	v_mov_b32_e32 v13, 0
	v_mov_b32_e32 v15, 0
	v_mov_b32_e32 v14, 0
	v_mov_b32_e32 v16, 0
	s_waitcnt vmcnt(0) lgkmcnt(0)
	v_cmp_ne_u16_sdwa s5, v50, v9 src0_sel:BYTE_0 src1_sel:DWORD
	s_and_saveexec_b32 s23, s5
	s_cbranch_execz .LBB243_1979
; %bb.1972:                             ;   in Loop: Header=BB243_16 Depth=1
	v_mov_b32_e32 v0, 0x80
	v_bfrev_b32_e32 v15, 1
	v_mov_b32_e32 v16, 0
	v_cmp_ne_u16_sdwa s5, v50, v0 src0_sel:BYTE_0 src1_sel:DWORD
	s_and_saveexec_b32 s24, s5
	s_cbranch_execz .LBB243_1978
; %bb.1973:                             ;   in Loop: Header=BB243_16 Depth=1
	v_mov_b32_e32 v15, 0x7f800001
	v_and_b32_e32 v24, 0x7f, v50
	v_mov_b32_e32 v16, 0
	s_mov_b32 s25, exec_lo
	v_cmpx_ne_u32_e32 0x7f, v24
	s_cbranch_execz .LBB243_1977
; %bb.1974:                             ;   in Loop: Header=BB243_16 Depth=1
	v_and_b32_e32 v8, 7, v50
	v_lshrrev_b32_e32 v10, 3, v24
	v_cmp_gt_u32_e64 s5, 8, v24
	v_mov_b32_e32 v25, v9
	v_mov_b32_e32 v24, v8
	s_and_saveexec_b32 s26, s5
; %bb.1975:                             ;   in Loop: Header=BB243_16 Depth=1
	v_ffbh_u32_e32 v10, v8
	v_min_u32_e32 v10, 32, v10
	v_subrev_nc_u32_e32 v24, 28, v10
	v_sub_nc_u32_e32 v10, 29, v10
	v_lshlrev_b64 v[24:25], v24, v[8:9]
	v_and_b32_e32 v24, 7, v24
; %bb.1976:                             ;   in Loop: Header=BB243_16 Depth=1
	s_or_b32 exec_lo, exec_lo, s26
	v_lshlrev_b32_e32 v8, 24, v50
	v_lshlrev_b32_e32 v24, 20, v24
	v_lshl_add_u32 v10, v10, 23, 0x3c000000
	v_and_b32_e32 v8, 0x80000000, v8
	v_or3_b32 v8, v24, v8, v10
	v_mov_b32_e32 v16, v9
	v_mov_b32_e32 v15, v8
.LBB243_1977:                           ;   in Loop: Header=BB243_16 Depth=1
	s_or_b32 exec_lo, exec_lo, s25
.LBB243_1978:                           ;   in Loop: Header=BB243_16 Depth=1
	s_or_b32 exec_lo, exec_lo, s24
.LBB243_1979:                           ;   in Loop: Header=BB243_16 Depth=1
	s_or_b32 exec_lo, exec_lo, s23
	v_cmp_ne_u16_sdwa s5, v50, v9 src0_sel:BYTE_1 src1_sel:DWORD
	s_and_saveexec_b32 s23, s5
	s_cbranch_execz .LBB243_1987
; %bb.1980:                             ;   in Loop: Header=BB243_16 Depth=1
	v_mov_b32_e32 v46, v9
	v_mov_b32_e32 v0, 0x80
	;; [unrolled: 1-line block ×3, first 2 shown]
	v_cmp_ne_u16_sdwa s5, v50, v0 src0_sel:BYTE_1 src1_sel:DWORD
	v_mov_b32_e32 v14, v47
	s_and_saveexec_b32 s24, s5
	s_cbranch_execz .LBB243_1986
; %bb.1981:                             ;   in Loop: Header=BB243_16 Depth=1
	s_clause 0x1
	buffer_load_dword v13, off, s[0:3], s32 offset:200
	buffer_load_dword v14, off, s[0:3], s32 offset:204
	v_mov_b32_e32 v0, 0xffff
	s_waitcnt vmcnt(1)
	v_mov_b32_e32 v13, v9
	s_mov_b32 s25, exec_lo
	v_and_b32_sdwa v8, v0, v50 dst_sel:DWORD dst_unused:UNUSED_PAD src0_sel:DWORD src1_sel:BYTE_1
	v_and_b32_e32 v24, 0x7f, v8
	s_waitcnt vmcnt(0)
	v_mov_b32_e32 v1, v14
	buffer_store_dword v0, off, s[0:3], s32 offset:200 ; 4-byte Folded Spill
	buffer_store_dword v1, off, s[0:3], s32 offset:204 ; 4-byte Folded Spill
	v_cmpx_ne_u32_e32 0x7f, v24
	s_cbranch_execz .LBB243_1985
; %bb.1982:                             ;   in Loop: Header=BB243_16 Depth=1
	v_and_b32_e32 v8, 7, v8
	v_lshrrev_b32_e32 v10, 3, v24
	v_cmp_gt_u32_e64 s5, 8, v24
	v_mov_b32_e32 v25, v9
	v_mov_b32_e32 v24, v8
	s_and_saveexec_b32 s26, s5
; %bb.1983:                             ;   in Loop: Header=BB243_16 Depth=1
	v_ffbh_u32_e32 v10, v8
	v_min_u32_e32 v10, 32, v10
	v_subrev_nc_u32_e32 v24, 28, v10
	v_sub_nc_u32_e32 v10, 29, v10
	v_lshlrev_b64 v[24:25], v24, v[8:9]
	v_and_b32_e32 v24, 7, v24
; %bb.1984:                             ;   in Loop: Header=BB243_16 Depth=1
	s_or_b32 exec_lo, exec_lo, s26
	v_lshlrev_b32_e32 v8, 16, v50
	v_lshlrev_b32_e32 v24, 20, v24
	v_lshl_add_u32 v10, v10, 23, 0x3c000000
	v_mov_b32_e32 v13, v9
	v_and_b32_e32 v8, 0x80000000, v8
	v_or3_b32 v14, v24, v8, v10
.LBB243_1985:                           ;   in Loop: Header=BB243_16 Depth=1
	s_or_b32 exec_lo, exec_lo, s25
.LBB243_1986:                           ;   in Loop: Header=BB243_16 Depth=1
	s_or_b32 exec_lo, exec_lo, s24
.LBB243_1987:                           ;   in Loop: Header=BB243_16 Depth=1
	s_or_b32 exec_lo, exec_lo, s23
	v_mov_b32_e32 v0, 0xff
	v_mov_b32_e32 v40, 0
	;; [unrolled: 1-line block ×5, first 2 shown]
	v_and_b32_sdwa v8, v50, v0 dst_sel:DWORD dst_unused:UNUSED_PAD src0_sel:WORD_1 src1_sel:DWORD
	s_mov_b32 s23, exec_lo
	v_cmpx_ne_u16_e32 0, v8
	s_cbranch_execz .LBB243_1995
; %bb.1988:                             ;   in Loop: Header=BB243_16 Depth=1
	v_bfrev_b32_e32 v96, 1
	v_mov_b32_e32 v97, 0
	s_mov_b32 s24, exec_lo
	v_cmpx_ne_u16_e32 0x80, v8
	s_cbranch_execz .LBB243_1994
; %bb.1989:                             ;   in Loop: Header=BB243_16 Depth=1
	v_mov_b32_e32 v96, 0x7f800001
	v_bfe_u32 v24, v50, 16, 7
	v_mov_b32_e32 v97, 0
	s_mov_b32 s25, exec_lo
	v_cmpx_ne_u32_e32 0x7f, v24
	s_cbranch_execz .LBB243_1993
; %bb.1990:                             ;   in Loop: Header=BB243_16 Depth=1
	v_mov_b32_e32 v0, 7
	v_lshrrev_b32_e32 v10, 3, v24
	v_cmp_gt_u32_e64 s5, 8, v24
	v_and_b32_sdwa v8, v50, v0 dst_sel:DWORD dst_unused:UNUSED_PAD src0_sel:WORD_1 src1_sel:DWORD
	v_mov_b32_e32 v25, v9
	v_mov_b32_e32 v24, v8
	s_and_saveexec_b32 s26, s5
; %bb.1991:                             ;   in Loop: Header=BB243_16 Depth=1
	v_ffbh_u32_e32 v10, v8
	v_min_u32_e32 v10, 32, v10
	v_subrev_nc_u32_e32 v24, 28, v10
	v_sub_nc_u32_e32 v10, 29, v10
	v_lshlrev_b64 v[24:25], v24, v[8:9]
	v_and_b32_e32 v24, 7, v24
; %bb.1992:                             ;   in Loop: Header=BB243_16 Depth=1
	s_or_b32 exec_lo, exec_lo, s26
	v_mov_b32_e32 v0, 24
	v_lshlrev_b32_e32 v24, 20, v24
	v_lshl_add_u32 v10, v10, 23, 0x3c000000
	v_lshlrev_b32_sdwa v8, v0, v50 dst_sel:DWORD dst_unused:UNUSED_PAD src0_sel:DWORD src1_sel:WORD_1
	v_and_b32_e32 v8, 0x80000000, v8
	v_or3_b32 v8, v24, v8, v10
	v_mov_b32_e32 v97, v9
	v_mov_b32_e32 v96, v8
.LBB243_1993:                           ;   in Loop: Header=BB243_16 Depth=1
	s_or_b32 exec_lo, exec_lo, s25
.LBB243_1994:                           ;   in Loop: Header=BB243_16 Depth=1
	s_or_b32 exec_lo, exec_lo, s24
.LBB243_1995:                           ;   in Loop: Header=BB243_16 Depth=1
	s_or_b32 exec_lo, exec_lo, s23
	s_mov_b32 s23, exec_lo
	v_cmpx_lt_u32_e32 0xffffff, v50
	s_cbranch_execz .LBB243_2003
; %bb.1996:                             ;   in Loop: Header=BB243_16 Depth=1
	v_mov_b32_e32 v46, v9
	v_mov_b32_e32 v0, 0x80
	;; [unrolled: 1-line block ×3, first 2 shown]
	v_cmp_ne_u32_sdwa s5, v50, v0 src0_sel:BYTE_3 src1_sel:DWORD
	v_mov_b32_e32 v41, v47
	s_and_saveexec_b32 s24, s5
	s_cbranch_execz .LBB243_2002
; %bb.1997:                             ;   in Loop: Header=BB243_16 Depth=1
	s_clause 0x1
	buffer_load_dword v40, off, s[0:3], s32 offset:200
	buffer_load_dword v41, off, s[0:3], s32 offset:204
	v_bfe_u32 v24, v50, 24, 7
	s_waitcnt vmcnt(1)
	v_mov_b32_e32 v40, v9
	s_mov_b32 s25, exec_lo
	s_waitcnt vmcnt(0)
	v_mov_b32_e32 v1, v41
	buffer_store_dword v0, off, s[0:3], s32 offset:200 ; 4-byte Folded Spill
	buffer_store_dword v1, off, s[0:3], s32 offset:204 ; 4-byte Folded Spill
	v_cmpx_ne_u32_e32 0x7f, v24
	s_cbranch_execz .LBB243_2001
; %bb.1998:                             ;   in Loop: Header=BB243_16 Depth=1
	v_mov_b32_e32 v0, 7
	v_lshrrev_b32_e32 v10, 3, v24
	v_cmp_gt_u32_e64 s5, 8, v24
	v_and_b32_sdwa v8, v50, v0 dst_sel:DWORD dst_unused:UNUSED_PAD src0_sel:BYTE_3 src1_sel:DWORD
	v_mov_b32_e32 v25, v9
	v_mov_b32_e32 v24, v8
	s_and_saveexec_b32 s26, s5
; %bb.1999:                             ;   in Loop: Header=BB243_16 Depth=1
	v_ffbh_u32_e32 v10, v8
	v_min_u32_e32 v10, 32, v10
	v_subrev_nc_u32_e32 v24, 28, v10
	v_sub_nc_u32_e32 v10, 29, v10
	v_lshlrev_b64 v[24:25], v24, v[8:9]
	v_and_b32_e32 v24, 7, v24
; %bb.2000:                             ;   in Loop: Header=BB243_16 Depth=1
	s_or_b32 exec_lo, exec_lo, s26
	v_mov_b32_e32 v0, 24
	v_lshlrev_b32_e32 v24, 20, v24
	v_lshl_add_u32 v10, v10, 23, 0x3c000000
	v_mov_b32_e32 v40, v9
	v_lshlrev_b32_sdwa v8, v0, v50 dst_sel:DWORD dst_unused:UNUSED_PAD src0_sel:DWORD src1_sel:BYTE_3
	v_and_b32_e32 v8, 0x80000000, v8
	v_or3_b32 v41, v24, v8, v10
.LBB243_2001:                           ;   in Loop: Header=BB243_16 Depth=1
	s_or_b32 exec_lo, exec_lo, s25
.LBB243_2002:                           ;   in Loop: Header=BB243_16 Depth=1
	s_or_b32 exec_lo, exec_lo, s24
.LBB243_2003:                           ;   in Loop: Header=BB243_16 Depth=1
	s_or_b32 exec_lo, exec_lo, s23
	flat_load_dword v118, v[68:69] offset:1544
	v_mov_b32_e32 v50, 0
	v_mov_b32_e32 v114, 0
	;; [unrolled: 1-line block ×4, first 2 shown]
	s_waitcnt vmcnt(0) lgkmcnt(0)
	v_cmp_ne_u16_sdwa s5, v118, v9 src0_sel:BYTE_0 src1_sel:DWORD
	s_and_saveexec_b32 s23, s5
	s_cbranch_execz .LBB243_2011
; %bb.2004:                             ;   in Loop: Header=BB243_16 Depth=1
	v_mov_b32_e32 v0, 0x80
	v_bfrev_b32_e32 v114, 1
	v_mov_b32_e32 v115, 0
	v_cmp_ne_u16_sdwa s5, v118, v0 src0_sel:BYTE_0 src1_sel:DWORD
	s_and_saveexec_b32 s24, s5
	s_cbranch_execz .LBB243_2010
; %bb.2005:                             ;   in Loop: Header=BB243_16 Depth=1
	v_mov_b32_e32 v114, 0x7f800001
	v_and_b32_e32 v24, 0x7f, v118
	v_mov_b32_e32 v115, 0
	s_mov_b32 s25, exec_lo
	v_cmpx_ne_u32_e32 0x7f, v24
	s_cbranch_execz .LBB243_2009
; %bb.2006:                             ;   in Loop: Header=BB243_16 Depth=1
	v_and_b32_e32 v8, 7, v118
	v_lshrrev_b32_e32 v10, 3, v24
	v_cmp_gt_u32_e64 s5, 8, v24
	v_mov_b32_e32 v25, v9
	v_mov_b32_e32 v24, v8
	s_and_saveexec_b32 s26, s5
; %bb.2007:                             ;   in Loop: Header=BB243_16 Depth=1
	v_ffbh_u32_e32 v10, v8
	v_min_u32_e32 v10, 32, v10
	v_subrev_nc_u32_e32 v24, 28, v10
	v_sub_nc_u32_e32 v10, 29, v10
	v_lshlrev_b64 v[24:25], v24, v[8:9]
	v_and_b32_e32 v24, 7, v24
; %bb.2008:                             ;   in Loop: Header=BB243_16 Depth=1
	s_or_b32 exec_lo, exec_lo, s26
	v_lshlrev_b32_e32 v8, 24, v118
	v_lshlrev_b32_e32 v24, 20, v24
	v_lshl_add_u32 v10, v10, 23, 0x3c000000
	v_and_b32_e32 v8, 0x80000000, v8
	v_or3_b32 v8, v24, v8, v10
	v_mov_b32_e32 v115, v9
	v_mov_b32_e32 v114, v8
.LBB243_2009:                           ;   in Loop: Header=BB243_16 Depth=1
	s_or_b32 exec_lo, exec_lo, s25
.LBB243_2010:                           ;   in Loop: Header=BB243_16 Depth=1
	s_or_b32 exec_lo, exec_lo, s24
.LBB243_2011:                           ;   in Loop: Header=BB243_16 Depth=1
	s_or_b32 exec_lo, exec_lo, s23
	v_cmp_ne_u16_sdwa s5, v118, v9 src0_sel:BYTE_1 src1_sel:DWORD
	s_and_saveexec_b32 s23, s5
	s_cbranch_execz .LBB243_2019
; %bb.2012:                             ;   in Loop: Header=BB243_16 Depth=1
	v_mov_b32_e32 v46, v9
	v_mov_b32_e32 v0, 0x80
	;; [unrolled: 1-line block ×4, first 2 shown]
	v_cmp_ne_u16_sdwa s5, v118, v0 src0_sel:BYTE_1 src1_sel:DWORD
	s_and_saveexec_b32 s24, s5
	s_cbranch_execz .LBB243_2018
; %bb.2013:                             ;   in Loop: Header=BB243_16 Depth=1
	s_clause 0x1
	buffer_load_dword v50, off, s[0:3], s32 offset:200
	buffer_load_dword v51, off, s[0:3], s32 offset:204
	v_mov_b32_e32 v0, 0xffff
	s_waitcnt vmcnt(1)
	v_mov_b32_e32 v50, v9
	s_mov_b32 s25, exec_lo
	v_and_b32_sdwa v8, v0, v118 dst_sel:DWORD dst_unused:UNUSED_PAD src0_sel:DWORD src1_sel:BYTE_1
	v_and_b32_e32 v24, 0x7f, v8
	s_waitcnt vmcnt(0)
	v_mov_b32_e32 v1, v51
	buffer_store_dword v0, off, s[0:3], s32 offset:200 ; 4-byte Folded Spill
	buffer_store_dword v1, off, s[0:3], s32 offset:204 ; 4-byte Folded Spill
	v_cmpx_ne_u32_e32 0x7f, v24
	s_cbranch_execz .LBB243_2017
; %bb.2014:                             ;   in Loop: Header=BB243_16 Depth=1
	v_and_b32_e32 v8, 7, v8
	v_lshrrev_b32_e32 v10, 3, v24
	v_cmp_gt_u32_e64 s5, 8, v24
	v_mov_b32_e32 v25, v9
	v_mov_b32_e32 v24, v8
	s_and_saveexec_b32 s26, s5
; %bb.2015:                             ;   in Loop: Header=BB243_16 Depth=1
	v_ffbh_u32_e32 v10, v8
	v_min_u32_e32 v10, 32, v10
	v_subrev_nc_u32_e32 v24, 28, v10
	v_sub_nc_u32_e32 v10, 29, v10
	v_lshlrev_b64 v[24:25], v24, v[8:9]
	v_and_b32_e32 v24, 7, v24
; %bb.2016:                             ;   in Loop: Header=BB243_16 Depth=1
	s_or_b32 exec_lo, exec_lo, s26
	v_lshlrev_b32_e32 v8, 16, v118
	v_lshlrev_b32_e32 v24, 20, v24
	v_lshl_add_u32 v10, v10, 23, 0x3c000000
	v_mov_b32_e32 v50, v9
	v_and_b32_e32 v8, 0x80000000, v8
	v_or3_b32 v51, v24, v8, v10
.LBB243_2017:                           ;   in Loop: Header=BB243_16 Depth=1
	s_or_b32 exec_lo, exec_lo, s25
.LBB243_2018:                           ;   in Loop: Header=BB243_16 Depth=1
	s_or_b32 exec_lo, exec_lo, s24
.LBB243_2019:                           ;   in Loop: Header=BB243_16 Depth=1
	s_or_b32 exec_lo, exec_lo, s23
	v_mov_b32_e32 v0, 0xff
	v_mov_b32_e32 v24, 0
	;; [unrolled: 1-line block ×5, first 2 shown]
	v_and_b32_sdwa v8, v118, v0 dst_sel:DWORD dst_unused:UNUSED_PAD src0_sel:WORD_1 src1_sel:DWORD
	s_mov_b32 s23, exec_lo
	v_cmpx_ne_u16_e32 0, v8
	s_cbranch_execz .LBB243_2027
; %bb.2020:                             ;   in Loop: Header=BB243_16 Depth=1
	v_bfrev_b32_e32 v102, 1
	v_mov_b32_e32 v103, 0
	s_mov_b32 s24, exec_lo
	v_cmpx_ne_u16_e32 0x80, v8
	s_cbranch_execz .LBB243_2026
; %bb.2021:                             ;   in Loop: Header=BB243_16 Depth=1
	v_mov_b32_e32 v102, 0x7f800001
	v_bfe_u32 v30, v118, 16, 7
	v_mov_b32_e32 v103, 0
	s_mov_b32 s25, exec_lo
	v_cmpx_ne_u32_e32 0x7f, v30
	s_cbranch_execz .LBB243_2025
; %bb.2022:                             ;   in Loop: Header=BB243_16 Depth=1
	v_mov_b32_e32 v0, 7
	v_lshrrev_b32_e32 v10, 3, v30
	s_mov_b32 s26, exec_lo
	v_and_b32_sdwa v8, v118, v0 dst_sel:DWORD dst_unused:UNUSED_PAD src0_sel:WORD_1 src1_sel:DWORD
	v_mov_b32_e32 v81, v9
	v_mov_b32_e32 v80, v8
	v_cmpx_gt_u32_e32 8, v30
	s_cbranch_execz .LBB243_2024
; %bb.2023:                             ;   in Loop: Header=BB243_16 Depth=1
	v_ffbh_u32_e32 v10, v8
	v_mov_b32_e32 v0, v31
	v_mov_b32_e32 v1, v32
	v_min_u32_e32 v10, 32, v10
	v_subrev_nc_u32_e32 v30, 28, v10
	v_sub_nc_u32_e32 v10, 29, v10
	v_lshlrev_b64 v[30:31], v30, v[8:9]
	v_mov_b32_e32 v32, v1
	v_mov_b32_e32 v31, v0
	v_and_b32_e32 v80, 7, v30
.LBB243_2024:                           ;   in Loop: Header=BB243_16 Depth=1
	s_or_b32 exec_lo, exec_lo, s26
	v_mov_b32_e32 v0, 24
	v_lshlrev_b32_e32 v30, 20, v80
	v_lshl_add_u32 v10, v10, 23, 0x3c000000
	v_lshlrev_b32_sdwa v8, v0, v118 dst_sel:DWORD dst_unused:UNUSED_PAD src0_sel:DWORD src1_sel:WORD_1
	v_and_b32_e32 v8, 0x80000000, v8
	v_or3_b32 v8, v30, v8, v10
	v_mov_b32_e32 v103, v9
	v_mov_b32_e32 v102, v8
.LBB243_2025:                           ;   in Loop: Header=BB243_16 Depth=1
	s_or_b32 exec_lo, exec_lo, s25
.LBB243_2026:                           ;   in Loop: Header=BB243_16 Depth=1
	s_or_b32 exec_lo, exec_lo, s24
.LBB243_2027:                           ;   in Loop: Header=BB243_16 Depth=1
	s_or_b32 exec_lo, exec_lo, s23
	s_mov_b32 s23, exec_lo
	v_cmpx_lt_u32_e32 0xffffff, v118
	s_cbranch_execz .LBB243_2035
; %bb.2028:                             ;   in Loop: Header=BB243_16 Depth=1
	v_mov_b32_e32 v46, v9
	v_mov_b32_e32 v0, 0x80
	;; [unrolled: 1-line block ×3, first 2 shown]
	v_cmp_ne_u32_sdwa s5, v118, v0 src0_sel:BYTE_3 src1_sel:DWORD
	v_mov_b32_e32 v25, v47
	s_and_saveexec_b32 s24, s5
	s_cbranch_execz .LBB243_2034
; %bb.2029:                             ;   in Loop: Header=BB243_16 Depth=1
	s_clause 0x1
	buffer_load_dword v24, off, s[0:3], s32 offset:200
	buffer_load_dword v25, off, s[0:3], s32 offset:204
	v_mov_b32_e32 v2, v31
	v_mov_b32_e32 v3, v32
	v_bfe_u32 v32, v118, 24, 7
	s_waitcnt vmcnt(1)
	v_mov_b32_e32 v24, v9
	s_mov_b32 s25, exec_lo
	s_waitcnt vmcnt(0)
	v_mov_b32_e32 v1, v25
	buffer_store_dword v0, off, s[0:3], s32 offset:200 ; 4-byte Folded Spill
	buffer_store_dword v1, off, s[0:3], s32 offset:204 ; 4-byte Folded Spill
	v_cmpx_ne_u32_e32 0x7f, v32
	s_cbranch_execz .LBB243_2033
; %bb.2030:                             ;   in Loop: Header=BB243_16 Depth=1
	v_mov_b32_e32 v0, 7
	v_lshrrev_b32_e32 v10, 3, v32
	s_mov_b32 s26, exec_lo
	v_and_b32_sdwa v8, v118, v0 dst_sel:DWORD dst_unused:UNUSED_PAD src0_sel:BYTE_3 src1_sel:DWORD
	v_mov_b32_e32 v25, v9
	v_mov_b32_e32 v24, v8
	v_cmpx_gt_u32_e32 8, v32
; %bb.2031:                             ;   in Loop: Header=BB243_16 Depth=1
	v_ffbh_u32_e32 v10, v8
	v_min_u32_e32 v10, 32, v10
	v_subrev_nc_u32_e32 v24, 28, v10
	v_sub_nc_u32_e32 v10, 29, v10
	v_lshlrev_b64 v[24:25], v24, v[8:9]
	v_and_b32_e32 v24, 7, v24
; %bb.2032:                             ;   in Loop: Header=BB243_16 Depth=1
	s_or_b32 exec_lo, exec_lo, s26
	v_mov_b32_e32 v0, 24
	v_lshlrev_b32_e32 v24, 20, v24
	v_lshl_add_u32 v10, v10, 23, 0x3c000000
	v_lshlrev_b32_sdwa v8, v0, v118 dst_sel:DWORD dst_unused:UNUSED_PAD src0_sel:DWORD src1_sel:BYTE_3
	v_and_b32_e32 v8, 0x80000000, v8
	v_or3_b32 v25, v24, v8, v10
	v_mov_b32_e32 v24, v9
.LBB243_2033:                           ;   in Loop: Header=BB243_16 Depth=1
	s_or_b32 exec_lo, exec_lo, s25
	v_mov_b32_e32 v32, v3
	v_mov_b32_e32 v31, v2
.LBB243_2034:                           ;   in Loop: Header=BB243_16 Depth=1
	s_or_b32 exec_lo, exec_lo, s24
.LBB243_2035:                           ;   in Loop: Header=BB243_16 Depth=1
	s_or_b32 exec_lo, exec_lo, s23
	flat_load_dword v118, v[68:69] offset:1548
	v_mov_b32_e32 v80, 0
	v_mov_b32_e32 v68, 0
	;; [unrolled: 1-line block ×4, first 2 shown]
	s_waitcnt vmcnt(0) lgkmcnt(0)
	v_cmp_ne_u16_sdwa s5, v118, v9 src0_sel:BYTE_0 src1_sel:DWORD
	s_and_saveexec_b32 s23, s5
	s_cbranch_execz .LBB243_2043
; %bb.2036:                             ;   in Loop: Header=BB243_16 Depth=1
	v_mov_b32_e32 v0, 0x80
	v_bfrev_b32_e32 v68, 1
	v_mov_b32_e32 v69, 0
	v_cmp_ne_u16_sdwa s5, v118, v0 src0_sel:BYTE_0 src1_sel:DWORD
	s_and_saveexec_b32 s24, s5
	s_cbranch_execz .LBB243_2042
; %bb.2037:                             ;   in Loop: Header=BB243_16 Depth=1
	v_mov_b32_e32 v68, 0x7f800001
	v_and_b32_e32 v30, 0x7f, v118
	v_mov_b32_e32 v69, 0
	s_mov_b32 s25, exec_lo
	v_cmpx_ne_u32_e32 0x7f, v30
	s_cbranch_execz .LBB243_2041
; %bb.2038:                             ;   in Loop: Header=BB243_16 Depth=1
	v_and_b32_e32 v8, 7, v118
	v_mov_b32_e32 v69, v9
	v_lshrrev_b32_e32 v10, 3, v30
	s_mov_b32 s26, exec_lo
	v_mov_b32_e32 v68, v8
	v_cmpx_gt_u32_e32 8, v30
	s_cbranch_execz .LBB243_2040
; %bb.2039:                             ;   in Loop: Header=BB243_16 Depth=1
	v_ffbh_u32_e32 v10, v8
	v_mov_b32_e32 v0, v31
	v_mov_b32_e32 v1, v32
	v_min_u32_e32 v10, 32, v10
	v_subrev_nc_u32_e32 v30, 28, v10
	v_sub_nc_u32_e32 v10, 29, v10
	v_lshlrev_b64 v[30:31], v30, v[8:9]
	v_mov_b32_e32 v32, v1
	v_mov_b32_e32 v31, v0
	v_and_b32_e32 v68, 7, v30
.LBB243_2040:                           ;   in Loop: Header=BB243_16 Depth=1
	s_or_b32 exec_lo, exec_lo, s26
	v_lshlrev_b32_e32 v8, 24, v118
	v_lshlrev_b32_e32 v30, 20, v68
	v_lshl_add_u32 v10, v10, 23, 0x3c000000
	v_and_b32_e32 v8, 0x80000000, v8
	v_or3_b32 v8, v30, v8, v10
	v_mov_b32_e32 v69, v9
	v_mov_b32_e32 v68, v8
.LBB243_2041:                           ;   in Loop: Header=BB243_16 Depth=1
	s_or_b32 exec_lo, exec_lo, s25
.LBB243_2042:                           ;   in Loop: Header=BB243_16 Depth=1
	s_or_b32 exec_lo, exec_lo, s24
.LBB243_2043:                           ;   in Loop: Header=BB243_16 Depth=1
	s_or_b32 exec_lo, exec_lo, s23
	v_cmp_ne_u16_sdwa s5, v118, v9 src0_sel:BYTE_1 src1_sel:DWORD
	s_and_saveexec_b32 s23, s5
	s_cbranch_execz .LBB243_2051
; %bb.2044:                             ;   in Loop: Header=BB243_16 Depth=1
	v_mov_b32_e32 v46, v9
	v_mov_b32_e32 v0, 0x80
	;; [unrolled: 1-line block ×4, first 2 shown]
	v_cmp_ne_u16_sdwa s5, v118, v0 src0_sel:BYTE_1 src1_sel:DWORD
	s_and_saveexec_b32 s24, s5
	s_cbranch_execz .LBB243_2050
; %bb.2045:                             ;   in Loop: Header=BB243_16 Depth=1
	v_mov_b32_e32 v0, 0xffff
	v_mov_b32_e32 v2, v9
	;; [unrolled: 1-line block ×4, first 2 shown]
	s_mov_b32 s25, exec_lo
	v_and_b32_sdwa v8, v0, v118 dst_sel:DWORD dst_unused:UNUSED_PAD src0_sel:DWORD src1_sel:BYTE_1
	s_clause 0x1
	buffer_load_dword v0, off, s[0:3], s32 offset:200
	buffer_load_dword v1, off, s[0:3], s32 offset:204
	v_and_b32_e32 v32, 0x7f, v8
	s_waitcnt vmcnt(0)
	v_mov_b32_e32 v3, v1
	buffer_store_dword v0, off, s[0:3], s32 offset:200 ; 4-byte Folded Spill
	buffer_store_dword v1, off, s[0:3], s32 offset:204 ; 4-byte Folded Spill
	v_mov_b32_e32 v81, v3
	v_mov_b32_e32 v80, v2
	v_cmpx_ne_u32_e32 0x7f, v32
	s_cbranch_execz .LBB243_2049
; %bb.2046:                             ;   in Loop: Header=BB243_16 Depth=1
	v_and_b32_e32 v8, 7, v8
	v_mov_b32_e32 v81, v9
	v_lshrrev_b32_e32 v10, 3, v32
	s_mov_b32 s26, exec_lo
	v_mov_b32_e32 v80, v8
	v_cmpx_gt_u32_e32 8, v32
; %bb.2047:                             ;   in Loop: Header=BB243_16 Depth=1
	v_ffbh_u32_e32 v10, v8
	v_min_u32_e32 v10, 32, v10
	v_subrev_nc_u32_e32 v30, 28, v10
	v_sub_nc_u32_e32 v10, 29, v10
	v_lshlrev_b64 v[30:31], v30, v[8:9]
	v_and_b32_e32 v80, 7, v30
; %bb.2048:                             ;   in Loop: Header=BB243_16 Depth=1
	s_or_b32 exec_lo, exec_lo, s26
	v_lshlrev_b32_e32 v8, 16, v118
	v_lshlrev_b32_e32 v30, 20, v80
	v_lshl_add_u32 v10, v10, 23, 0x3c000000
	v_mov_b32_e32 v80, v9
	v_and_b32_e32 v8, 0x80000000, v8
	v_or3_b32 v81, v30, v8, v10
.LBB243_2049:                           ;   in Loop: Header=BB243_16 Depth=1
	s_or_b32 exec_lo, exec_lo, s25
	v_mov_b32_e32 v32, v7
	v_mov_b32_e32 v31, v6
.LBB243_2050:                           ;   in Loop: Header=BB243_16 Depth=1
	s_or_b32 exec_lo, exec_lo, s24
.LBB243_2051:                           ;   in Loop: Header=BB243_16 Depth=1
	s_or_b32 exec_lo, exec_lo, s23
	v_mov_b32_e32 v0, 0xff
	v_mov_b32_e32 v2, 0
	;; [unrolled: 1-line block ×3, first 2 shown]
	s_mov_b32 s23, exec_lo
	v_and_b32_sdwa v8, v118, v0 dst_sel:DWORD dst_unused:UNUSED_PAD src0_sel:WORD_1 src1_sel:DWORD
	v_mov_b32_e32 v0, 0
	v_mov_b32_e32 v1, 0
	v_cmpx_ne_u16_e32 0, v8
	s_cbranch_execz .LBB243_2059
; %bb.2052:                             ;   in Loop: Header=BB243_16 Depth=1
	v_bfrev_b32_e32 v2, 1
	v_mov_b32_e32 v3, 0
	s_mov_b32 s24, exec_lo
	v_cmpx_ne_u16_e32 0x80, v8
	s_cbranch_execz .LBB243_2058
; %bb.2053:                             ;   in Loop: Header=BB243_16 Depth=1
	v_mov_b32_e32 v2, 0x7f800001
	v_bfe_u32 v30, v118, 16, 7
	v_mov_b32_e32 v3, 0
	s_mov_b32 s25, exec_lo
	v_cmpx_ne_u32_e32 0x7f, v30
	s_cbranch_execz .LBB243_2057
; %bb.2054:                             ;   in Loop: Header=BB243_16 Depth=1
	v_mov_b32_e32 v2, 7
	v_lshrrev_b32_e32 v10, 3, v30
	s_mov_b32 s26, exec_lo
	v_and_b32_sdwa v8, v118, v2 dst_sel:DWORD dst_unused:UNUSED_PAD src0_sel:WORD_1 src1_sel:DWORD
	v_mov_b32_e32 v107, v9
	v_mov_b32_e32 v106, v8
	v_cmpx_gt_u32_e32 8, v30
	s_cbranch_execz .LBB243_2056
; %bb.2055:                             ;   in Loop: Header=BB243_16 Depth=1
	v_ffbh_u32_e32 v10, v8
	v_mov_b32_e32 v2, v31
	v_mov_b32_e32 v3, v32
	v_min_u32_e32 v10, 32, v10
	v_subrev_nc_u32_e32 v30, 28, v10
	v_sub_nc_u32_e32 v10, 29, v10
	v_lshlrev_b64 v[30:31], v30, v[8:9]
	v_mov_b32_e32 v32, v3
	v_mov_b32_e32 v31, v2
	v_and_b32_e32 v106, 7, v30
.LBB243_2056:                           ;   in Loop: Header=BB243_16 Depth=1
	s_or_b32 exec_lo, exec_lo, s26
	v_mov_b32_e32 v2, 24
	v_lshlrev_b32_e32 v30, 20, v106
	v_lshl_add_u32 v10, v10, 23, 0x3c000000
	v_lshlrev_b32_sdwa v8, v2, v118 dst_sel:DWORD dst_unused:UNUSED_PAD src0_sel:DWORD src1_sel:WORD_1
	v_and_b32_e32 v8, 0x80000000, v8
	v_or3_b32 v8, v30, v8, v10
	v_mov_b32_e32 v2, v8
	v_mov_b32_e32 v3, v9
.LBB243_2057:                           ;   in Loop: Header=BB243_16 Depth=1
	s_or_b32 exec_lo, exec_lo, s25
.LBB243_2058:                           ;   in Loop: Header=BB243_16 Depth=1
	s_or_b32 exec_lo, exec_lo, s24
.LBB243_2059:                           ;   in Loop: Header=BB243_16 Depth=1
	s_or_b32 exec_lo, exec_lo, s23
	s_mov_b32 s23, exec_lo
	buffer_store_dword v80, off, s[0:3], s32 offset:2112 ; 4-byte Folded Spill
	buffer_store_dword v81, off, s[0:3], s32 offset:2116 ; 4-byte Folded Spill
	;; [unrolled: 1-line block ×7, first 2 shown]
	v_cmpx_lt_u32_e32 0xffffff, v118
	s_cbranch_execz .LBB243_14
; %bb.2060:                             ;   in Loop: Header=BB243_16 Depth=1
	v_mov_b32_e32 v46, v9
	v_mov_b32_e32 v0, 0x80
	v_cmp_ne_u32_sdwa s5, v118, v0 src0_sel:BYTE_3 src1_sel:DWORD
	v_mov_b32_e32 v0, v46
	v_mov_b32_e32 v1, v47
	s_and_saveexec_b32 s24, s5
	s_cbranch_execz .LBB243_13
; %bb.2061:                             ;   in Loop: Header=BB243_16 Depth=1
	s_clause 0x1
	buffer_load_dword v0, off, s[0:3], s32 offset:200
	buffer_load_dword v1, off, s[0:3], s32 offset:204
	v_mov_b32_e32 v6, v9
	v_mov_b32_e32 v49, v32
	;; [unrolled: 1-line block ×3, first 2 shown]
	v_bfe_u32 v32, v118, 24, 7
	s_mov_b32 s25, exec_lo
	s_waitcnt vmcnt(0)
	v_mov_b32_e32 v7, v1
	buffer_store_dword v0, off, s[0:3], s32 offset:200 ; 4-byte Folded Spill
	buffer_store_dword v1, off, s[0:3], s32 offset:204 ; 4-byte Folded Spill
	v_mov_b32_e32 v0, v6
	v_mov_b32_e32 v1, v7
	v_cmpx_ne_u32_e32 0x7f, v32
	s_cbranch_execz .LBB243_12
; %bb.2062:                             ;   in Loop: Header=BB243_16 Depth=1
	v_mov_b32_e32 v0, 7
	v_lshrrev_b32_e32 v10, 3, v32
	s_mov_b32 s26, exec_lo
	v_and_b32_sdwa v8, v118, v0 dst_sel:DWORD dst_unused:UNUSED_PAD src0_sel:BYTE_3 src1_sel:DWORD
	v_mov_b32_e32 v81, v9
	v_mov_b32_e32 v80, v8
	v_cmpx_gt_u32_e32 8, v32
	s_cbranch_execz .LBB243_11
; %bb.2063:                             ;   in Loop: Header=BB243_16 Depth=1
	v_ffbh_u32_e32 v10, v8
	v_min_u32_e32 v10, 32, v10
	v_subrev_nc_u32_e32 v30, 28, v10
	v_sub_nc_u32_e32 v10, 29, v10
	v_lshlrev_b64 v[30:31], v30, v[8:9]
	v_and_b32_e32 v80, 7, v30
	s_branch .LBB243_11
.LBB243_2064:
	s_or_b32 exec_lo, exec_lo, s22
	s_clause 0xa
	buffer_load_dword v11, off, s[0:3], s32 offset:3224
	buffer_load_dword v10, off, s[0:3], s32 offset:3220
	;; [unrolled: 1-line block ×11, first 2 shown]
.LBB243_2065:
	s_or_b32 exec_lo, exec_lo, s21
	v_mbcnt_lo_u32_b32 v0, -1, 0
	v_max_f32_e32 v4, v49, v49
	s_waitcnt lgkmcnt(0)
	s_lshr_b32 s8, s17, 16
	v_xor_b32_e32 v1, 16, v0
	v_xor_b32_e32 v3, 8, v0
	;; [unrolled: 1-line block ×3, first 2 shown]
	v_cmp_gt_i32_e32 vcc_lo, 32, v1
	v_cndmask_b32_e32 v1, v0, v1, vcc_lo
	v_cmp_gt_i32_e32 vcc_lo, 32, v3
	v_lshlrev_b32_e32 v2, 2, v1
	v_cndmask_b32_e32 v3, v0, v3, vcc_lo
	v_cmp_gt_i32_e32 vcc_lo, 32, v5
	ds_bpermute_b32 v1, v2, v49
	v_lshlrev_b32_e32 v3, 2, v3
	v_cndmask_b32_e32 v5, v0, v5, vcc_lo
	v_lshlrev_b32_e32 v112, 2, v5
	v_xor_b32_e32 v5, 2, v0
	v_cmp_gt_i32_e32 vcc_lo, 32, v5
	v_cndmask_b32_e32 v5, v0, v5, vcc_lo
	s_waitcnt lgkmcnt(0)
	v_max_f32_e32 v1, v1, v1
	v_lshlrev_b32_e32 v78, 2, v5
	v_xor_b32_e32 v5, 1, v0
	v_max_f32_e32 v1, v4, v1
	v_cmp_gt_i32_e32 vcc_lo, 32, v5
	ds_bpermute_b32 v4, v3, v1
	v_cndmask_b32_e32 v5, v0, v5, vcc_lo
	v_lshlrev_b32_e32 v29, 2, v5
	s_waitcnt lgkmcnt(0)
	v_max_f32_e32 v4, v4, v4
	v_max_f32_e32 v1, v1, v4
	ds_bpermute_b32 v4, v112, v1
	s_waitcnt lgkmcnt(0)
	v_max_f32_e32 v4, v4, v4
	v_max_f32_e32 v1, v1, v4
	ds_bpermute_b32 v4, v78, v1
	s_waitcnt lgkmcnt(0)
	v_max_f32_e32 v4, v4, v4
	v_max_f32_e32 v0, v1, v4
	buffer_load_dword v4, off, s[0:3], s32 offset:2120 ; 4-byte Folded Reload
	ds_bpermute_b32 v1, v29, v0
	s_waitcnt vmcnt(0)
	v_cmp_eq_u32_e32 vcc_lo, 0, v4
	buffer_load_dword v4, off, s[0:3], s32 offset:3188 ; 4-byte Folded Reload
	s_waitcnt vmcnt(0)
	v_lshlrev_b32_e32 v4, 2, v4
	s_and_saveexec_b32 s5, vcc_lo
	s_cbranch_execz .LBB243_2067
; %bb.2066:
	s_waitcnt lgkmcnt(0)
	v_max_f32_e32 v1, v1, v1
	v_max_f32_e32 v0, v0, v0
	;; [unrolled: 1-line block ×3, first 2 shown]
	ds_write_b32 v4, v0 offset:1024
.LBB243_2067:
	s_or_b32 exec_lo, exec_lo, s5
	buffer_load_dword v0, off, s[0:3], s32 offset:2120 ; 4-byte Folded Reload
	s_waitcnt vmcnt(0) lgkmcnt(0)
	s_waitcnt_vscnt null, 0x0
	s_barrier
	buffer_gl0_inv
	v_cmp_gt_u32_e64 s5, 4, v0
	v_mov_b32_e32 v0, 0xff7fffff
	s_and_saveexec_b32 s6, s5
	s_cbranch_execz .LBB243_2069
; %bb.2068:
	buffer_load_dword v0, off, s[0:3], s32 offset:3192 ; 4-byte Folded Reload
	s_waitcnt vmcnt(0)
	ds_read_b32 v0, v0 offset:1024
.LBB243_2069:
	s_or_b32 exec_lo, exec_lo, s6
	buffer_load_dword v5, off, s[0:3], s32 offset:244 ; 4-byte Folded Reload
	s_waitcnt lgkmcnt(0)
	ds_bpermute_b32 v1, v78, v0
	v_max_f32_e32 v0, v0, v0
	s_waitcnt lgkmcnt(0)
	v_max_f32_e32 v1, v1, v1
	v_max_f32_e32 v0, v0, v1
	ds_bpermute_b32 v1, v29, v0
	s_waitcnt lgkmcnt(0)
	v_max_f32_e32 v1, v1, v1
	v_max_f32_e32 v0, v0, v1
	s_waitcnt vmcnt(0)
	v_subrev_nc_u32_e32 v6, s15, v5
	v_mov_b32_e32 v5, 0
	v_lshl_add_u32 v1, v6, 5, s7
	buffer_load_dword v6, off, s[0:3], s32 offset:1860 ; 4-byte Folded Reload
	ds_bpermute_b32 v0, v5, v0
	s_waitcnt vmcnt(0)
	v_min_i32_e32 v1, v1, v6
	buffer_load_dword v6, off, s[0:3], s32 offset:2124 ; 4-byte Folded Reload
	v_subrev_nc_u32_e32 v1, s7, v1
	s_waitcnt vmcnt(0)
	v_cmp_lt_i32_e64 s6, v6, v1
	s_and_saveexec_b32 s9, s6
	s_cbranch_execz .LBB243_2073
; %bb.2070:
	buffer_load_dword v7, off, s[0:3], s32 offset:2124 ; 4-byte Folded Reload
	s_getpc_b64 s[22:23]
	s_add_u32 s22, s22, llvm.amdgcn.dynlds.offset.table@rel32@lo+4
	s_addc_u32 s23, s23, llvm.amdgcn.dynlds.offset.table@rel32@hi+12
	s_ashr_i32 s19, s18, 31
	v_mov_b32_e32 v5, 0
	s_lshl_b64 s[24:25], s[18:19], 2
	s_mov_b32 s15, 0
	s_add_u32 s22, s22, s24
	s_addc_u32 s23, s23, s25
	s_load_dword s7, s[22:23], 0x0
	s_waitcnt vmcnt(0) lgkmcnt(0)
	v_lshl_add_u32 v6, v7, 2, s7
	.p2align	6
.LBB243_2071:                           ; =>This Inner Loop Header: Depth=1
	ds_read_b32 v8, v6
	v_add_nc_u32_e32 v7, 0x80, v7
	v_cmp_ge_i32_e64 s7, v7, v1
	s_or_b32 s15, s7, s15
	s_waitcnt lgkmcnt(0)
	v_sub_f32_e32 v8, v8, v0
	v_mul_f32_e32 v8, 0x3fb8aa3b, v8
	v_exp_f32_e32 v8, v8
	ds_write_b32 v6, v8
	v_add_f32_e32 v5, v5, v8
	v_add_nc_u32_e32 v6, 0x200, v6
	s_andn2_b32 exec_lo, exec_lo, s15
	s_cbranch_execnz .LBB243_2071
; %bb.2072:
	s_or_b32 exec_lo, exec_lo, s15
.LBB243_2073:
	s_or_b32 exec_lo, exec_lo, s9
	ds_bpermute_b32 v2, v2, v5
	s_waitcnt lgkmcnt(0)
	v_add_f32_e32 v2, v5, v2
	ds_bpermute_b32 v3, v3, v2
	s_waitcnt lgkmcnt(0)
	v_add_f32_e32 v2, v2, v3
	;; [unrolled: 3-line block ×5, first 2 shown]
	s_and_saveexec_b32 s7, vcc_lo
; %bb.2074:
	ds_write_b32 v4, v2 offset:1040
; %bb.2075:
	s_or_b32 exec_lo, exec_lo, s7
	s_waitcnt lgkmcnt(0)
	s_barrier
	buffer_gl0_inv
	s_and_saveexec_b32 s7, s5
	s_cbranch_execz .LBB243_2077
; %bb.2076:
	buffer_load_dword v2, off, s[0:3], s32 offset:3192 ; 4-byte Folded Reload
	s_waitcnt vmcnt(0)
	ds_read_b32 v2, v2 offset:1040
.LBB243_2077:
	s_or_b32 exec_lo, exec_lo, s7
	s_waitcnt lgkmcnt(0)
	ds_bpermute_b32 v3, v78, v2
	s_waitcnt lgkmcnt(0)
	v_add_f32_e32 v2, v2, v3
	ds_bpermute_b32 v3, v29, v2
	s_waitcnt lgkmcnt(0)
	v_add_f32_e32 v2, v2, v3
	v_mov_b32_e32 v3, 0
	ds_bpermute_b32 v2, v3, v2
	s_and_saveexec_b32 s5, s6
	s_cbranch_execz .LBB243_2080
; %bb.2078:
	s_waitcnt lgkmcnt(0)
	v_add_f32_e32 v4, 0x358637bd, v2
	s_getpc_b64 s[6:7]
	s_add_u32 s6, s6, llvm.amdgcn.dynlds.offset.table@rel32@lo+4
	s_addc_u32 s7, s7, llvm.amdgcn.dynlds.offset.table@rel32@hi+12
	s_ashr_i32 s19, s18, 31
	s_lshl_b64 s[22:23], s[18:19], 2
	v_div_scale_f32 v3, null, v4, v4, 1.0
	v_div_scale_f32 v7, vcc_lo, 1.0, v4, 1.0
	s_add_u32 s6, s6, s22
	v_rcp_f32_e32 v5, v3
	s_addc_u32 s7, s7, s23
	s_load_dword s6, s[6:7], 0x0
	v_fma_f32 v6, -v3, v5, 1.0
	v_fmac_f32_e32 v5, v6, v5
	v_mul_f32_e32 v6, v7, v5
	v_fma_f32 v8, -v3, v6, v7
	v_fmac_f32_e32 v6, v8, v5
	v_fma_f32 v3, -v3, v6, v7
	v_div_fmas_f32 v5, v3, v5, v6
	buffer_load_dword v6, off, s[0:3], s32 offset:2124 ; 4-byte Folded Reload
	v_div_fixup_f32 v4, v5, v4, 1.0
	s_waitcnt vmcnt(0) lgkmcnt(0)
	v_lshl_add_u32 v3, v6, 2, s6
	v_mov_b32_e32 v5, v6
	s_mov_b32 s6, 0
.LBB243_2079:                           ; =>This Inner Loop Header: Depth=1
	ds_read_b32 v6, v3
	v_add_nc_u32_e32 v5, 0x80, v5
	v_cmp_ge_i32_e32 vcc_lo, v5, v1
	s_or_b32 s6, vcc_lo, s6
	s_waitcnt lgkmcnt(0)
	v_mul_f32_e32 v6, v4, v6
	ds_write_b32 v3, v6
	v_add_nc_u32_e32 v3, 0x200, v3
	s_andn2_b32 exec_lo, exec_lo, s6
	s_cbranch_execnz .LBB243_2079
.LBB243_2080:
	s_or_b32 exec_lo, exec_lo, s5
	buffer_load_dword v1, off, s[0:3], s32 offset:2124 ; 4-byte Folded Reload
	s_and_b32 s5, 0xffff, s8
	s_waitcnt vmcnt(0) lgkmcnt(0)
	s_cmp_lg_u32 s5, 0
	s_barrier
	s_cselect_b32 s5, -1, 0
	buffer_gl0_inv
	s_cmp_lg_u32 s5, 0
	s_mov_b32 s5, exec_lo
	s_addc_u32 s9, s13, 0
	v_cmpx_eq_u32_e32 0, v1
	s_cbranch_execz .LBB243_2082
; %bb.2081:
	s_mul_i32 s6, s9, s10
	s_mul_i32 s12, s9, s12
	;; [unrolled: 1-line block ×3, first 2 shown]
	s_ashr_i32 s13, s12, 31
	s_ashr_i32 s7, s6, 31
	s_lshl_b64 s[12:13], s[12:13], 2
	s_lshl_b64 s[6:7], s[6:7], 2
	s_ashr_i32 s15, s14, 31
	v_add_co_u32 v1, vcc_lo, v27, s6
	v_add_co_ci_u32_e64 v3, null, s7, v26, vcc_lo
	v_add_co_u32 v1, vcc_lo, v1, s12
	v_add_co_ci_u32_e64 v4, null, s13, v3, vcc_lo
	;; [unrolled: 2-line block ×3, first 2 shown]
	s_lshl_b64 s[6:7], s[14:15], 2
	v_add_co_u32 v6, vcc_lo, v3, s12
	v_add_co_ci_u32_e64 v7, null, s13, v5, vcc_lo
	v_add_co_u32 v3, vcc_lo, v1, s6
	v_add_co_ci_u32_e64 v4, null, s7, v4, vcc_lo
	v_add_co_u32 v5, vcc_lo, v6, s6
	v_add_co_ci_u32_e64 v6, null, s7, v7, vcc_lo
	flat_store_dword v[3:4], v0
	flat_store_dword v[5:6], v2
.LBB243_2082:
	s_or_b32 exec_lo, exec_lo, s5
	buffer_load_dword v0, off, s[0:3], s32 offset:2124 ; 4-byte Folded Reload
	s_ashr_i32 s19, s18, 31
	s_getpc_b64 s[6:7]
	s_add_u32 s6, s6, llvm.amdgcn.dynlds.offset.table@rel32@lo+4
	s_addc_u32 s7, s7, llvm.amdgcn.dynlds.offset.table@rel32@hi+12
	s_lshl_b64 s[12:13], s[18:19], 2
	v_mov_b32_e32 v68, 0
	v_mov_b32_e32 v35, 0
	;; [unrolled: 1-line block ×64, first 2 shown]
	s_add_u32 s12, s6, s12
	s_addc_u32 s13, s7, s13
	s_waitcnt vmcnt(0)
	v_and_b32_e32 v56, 7, v0
	s_and_saveexec_b32 s15, s4
	s_cbranch_execz .LBB243_4264
; %bb.2083:
	s_clause 0x1
	buffer_load_dword v0, off, s[0:3], s32 offset:3216
	buffer_load_dword v1, off, s[0:3], s32 offset:2124
	buffer_store_dword v112, off, s[0:3], s32 offset:1964 ; 4-byte Folded Spill
	s_load_dword s4, s[12:13], 0x0
	v_mov_b32_e32 v6, 0
	v_lshlrev_b32_e32 v4, 4, v56
	v_mov_b32_e32 v7, 0
	v_mov_b32_e32 v75, 0x80
	v_bfrev_b32_e32 v9, 1
	v_mov_b32_e32 v77, 0xff
	v_mov_b32_e32 v79, 24
	;; [unrolled: 1-line block ×9, first 2 shown]
	s_mov_b32 s17, 0
	s_waitcnt vmcnt(1)
	v_max_i32_e32 v73, v30, v0
	v_mov_b32_e32 v30, 7
	v_cvt_f32_u32_e32 v0, v73
	v_sub_nc_u32_e32 v5, 0, v73
	v_rcp_iflag_f32_e32 v3, v0
	buffer_load_dword v0, off, s[0:3], s32 offset:3204 ; 4-byte Folded Reload
	s_waitcnt vmcnt(1)
	v_lshlrev_b32_e32 v2, 2, v1
	buffer_load_dword v1, off, s[0:3], s32 offset:3208 ; 4-byte Folded Reload
	v_mul_f32_e32 v3, 0x4f7ffffe, v3
	v_cvt_u32_f32_e32 v3, v3
	v_mul_lo_u32 v5, v5, v3
	s_waitcnt vmcnt(1)
	v_add_co_u32 v0, vcc_lo, v10, v0
	s_waitcnt vmcnt(0)
	v_add_co_ci_u32_e64 v1, null, v11, v1, vcc_lo
	v_mov_b32_e32 v11, 0x7f800001
	buffer_store_dword v0, off, s[0:3], s32 offset:1936 ; 4-byte Folded Spill
	buffer_store_dword v1, off, s[0:3], s32 offset:1940 ; 4-byte Folded Spill
	buffer_load_dword v0, off, s[0:3], s32 offset:3212 ; 4-byte Folded Reload
	s_waitcnt vmcnt(0)
	v_add_nc_u32_e32 v0, -1, v0
	buffer_store_dword v0, off, s[0:3], s32 offset:1944 ; 4-byte Folded Spill
	s_clause 0x1
	buffer_load_dword v0, off, s[0:3], s32 offset:208
	buffer_load_dword v1, off, s[0:3], s32 offset:212
	buffer_store_dword v6, off, s[0:3], s32 offset:1484 ; 4-byte Folded Spill
	v_mov_b32_e32 v6, 0
	buffer_store_dword v56, off, s[0:3], s32 offset:1968 ; 4-byte Folded Spill
	buffer_store_dword v6, off, s[0:3], s32 offset:1492 ; 4-byte Folded Spill
	v_mov_b32_e32 v6, 0
	buffer_store_dword v6, off, s[0:3], s32 offset:1500 ; 4-byte Folded Spill
	v_mov_b32_e32 v6, 0
	;; [unrolled: 2-line block ×4, first 2 shown]
	buffer_store_dword v6, off, s[0:3], s32 offset:1524 ; 4-byte Folded Spill
	v_and_b32_e32 v6, 28, v2
	buffer_store_dword v6, off, s[0:3], s32 offset:1948 ; 4-byte Folded Spill
	v_and_b32_e32 v6, 0x7c, v2
	buffer_store_dword v6, off, s[0:3], s32 offset:1952 ; 4-byte Folded Spill
	v_or_b32_e32 v6, 0xf80, v2
	v_or_b32_e32 v2, 0x1f80, v2
	buffer_store_dword v6, off, s[0:3], s32 offset:1956 ; 4-byte Folded Spill
	buffer_store_dword v2, off, s[0:3], s32 offset:1960 ; 4-byte Folded Spill
	v_mul_hi_u32 v2, v3, v5
	buffer_load_dword v5, off, s[0:3], s32 offset:3188 ; 4-byte Folded Reload
	s_waitcnt vmcnt(1)
	v_lshlrev_b64 v[0:1], 2, v[0:1]
	v_add_co_u32 v0, vcc_lo, v46, v0
	v_add_co_ci_u32_e64 v1, null, v47, v1, vcc_lo
	v_add_co_u32 v12, vcc_lo, v14, v0
	v_add_nc_u32_e32 v0, v3, v2
	v_add_co_ci_u32_e64 v13, null, v15, v1, vcc_lo
	buffer_store_dword v0, off, s[0:3], s32 offset:1908 ; 4-byte Folded Spill
	v_mov_b32_e32 v0, 0
	buffer_store_dword v0, off, s[0:3], s32 offset:1532 ; 4-byte Folded Spill
	v_mov_b32_e32 v0, 0
	;; [unrolled: 2-line block ×51, first 2 shown]
	buffer_store_dword v0, off, s[0:3], s32 offset:1904 ; 4-byte Folded Spill
	buffer_load_dword v0, off, s[0:3], s32 offset:216 ; 4-byte Folded Reload
	s_waitcnt vmcnt(1)
	v_lshl_or_b32 v4, v5, 7, v4
	s_waitcnt lgkmcnt(0)
	v_add_nc_u32_e32 v92, s4, v4
	s_branch .LBB243_2086
.LBB243_2084:                           ;   in Loop: Header=BB243_2086 Depth=1
	s_or_b32 exec_lo, exec_lo, s8
	s_clause 0x1
	buffer_load_dword v19, off, s[0:3], s32 offset:1484
	buffer_load_dword v20, off, s[0:3], s32 offset:1516
	v_mul_f32_e32 v15, v1, v103
	v_mul_f32_e32 v16, v1, v102
	;; [unrolled: 1-line block ×4, first 2 shown]
	buffer_load_dword v21, off, s[0:3], s32 offset:540 ; 4-byte Folded Reload
	v_fmac_f32_e32 v15, v0, v24
	v_fmac_f32_e32 v16, v0, v101
	;; [unrolled: 1-line block ×12, first 2 shown]
	buffer_load_dword v22, off, s[0:3], s32 offset:1924 ; 4-byte Folded Reload
	s_waitcnt vmcnt(3)
	v_add_f32_e32 v19, v19, v15
	buffer_load_dword v15, off, s[0:3], s32 offset:1492 ; 4-byte Folded Reload
	buffer_store_dword v19, off, s[0:3], s32 offset:1484 ; 4-byte Folded Spill
	v_mul_f32_e32 v19, v1, v52
	v_fmac_f32_e32 v19, v0, v51
	v_fmac_f32_e32 v19, v2, v50
	;; [unrolled: 1-line block ×3, first 2 shown]
	s_waitcnt vmcnt(0)
	v_add_f32_e32 v15, v15, v16
	v_mul_f32_e32 v16, v1, v80
	buffer_store_dword v15, off, s[0:3], s32 offset:1492 ; 4-byte Folded Spill
	buffer_load_dword v15, off, s[0:3], s32 offset:1500 ; 4-byte Folded Reload
	v_fmac_f32_e32 v16, v0, v71
	v_fmac_f32_e32 v16, v2, v70
	;; [unrolled: 1-line block ×3, first 2 shown]
	s_waitcnt vmcnt(0)
	v_add_f32_e32 v15, v15, v17
	v_mul_f32_e32 v17, v1, v68
	buffer_load_dword v68, off, s[0:3], s32 offset:1932 ; 4-byte Folded Reload
	buffer_store_dword v15, off, s[0:3], s32 offset:1500 ; 4-byte Folded Spill
	buffer_load_dword v15, off, s[0:3], s32 offset:1508 ; 4-byte Folded Reload
	v_fmac_f32_e32 v17, v0, v67
	v_fmac_f32_e32 v17, v2, v66
	;; [unrolled: 1-line block ×3, first 2 shown]
	s_waitcnt vmcnt(0)
	v_add_f32_e32 v15, v15, v18
	v_mul_f32_e32 v18, v1, v64
	buffer_store_dword v15, off, s[0:3], s32 offset:1508 ; 4-byte Folded Spill
	v_mul_f32_e32 v15, v1, v84
	v_fmac_f32_e32 v18, v0, v55
	v_fmac_f32_e32 v15, v0, v83
	;; [unrolled: 1-line block ×6, first 2 shown]
	v_add_f32_e32 v20, v20, v15
	buffer_load_dword v15, off, s[0:3], s32 offset:1524 ; 4-byte Folded Reload
	buffer_store_dword v20, off, s[0:3], s32 offset:1516 ; 4-byte Folded Spill
	buffer_load_dword v20, off, s[0:3], s32 offset:1920 ; 4-byte Folded Reload
	s_waitcnt vmcnt(1)
	v_add_f32_e32 v15, v15, v16
	v_mul_f32_e32 v16, v1, v36
	buffer_store_dword v15, off, s[0:3], s32 offset:1524 ; 4-byte Folded Spill
	buffer_load_dword v15, off, s[0:3], s32 offset:1532 ; 4-byte Folded Reload
	v_fmac_f32_e32 v16, v0, v35
	v_fmac_f32_e32 v16, v2, v34
	;; [unrolled: 1-line block ×3, first 2 shown]
	s_waitcnt vmcnt(0)
	v_add_f32_e32 v15, v15, v17
	v_mul_f32_e32 v17, v1, v93
	buffer_store_dword v15, off, s[0:3], s32 offset:1532 ; 4-byte Folded Spill
	buffer_load_dword v15, off, s[0:3], s32 offset:1540 ; 4-byte Folded Reload
	v_fmac_f32_e32 v17, v0, v5
	v_mul_f32_e32 v5, v1, v90
	v_fmac_f32_e32 v17, v2, v4
	buffer_load_dword v4, off, s[0:3], s32 offset:1556 ; 4-byte Folded Reload
	v_fmac_f32_e32 v5, v0, v89
	v_fmac_f32_e32 v17, v3, v91
	;; [unrolled: 1-line block ×4, first 2 shown]
	s_waitcnt vmcnt(1)
	v_add_f32_e32 v15, v15, v18
	v_mul_f32_e32 v18, v1, v32
	buffer_store_dword v15, off, s[0:3], s32 offset:1540 ; 4-byte Folded Spill
	buffer_load_dword v15, off, s[0:3], s32 offset:1548 ; 4-byte Folded Reload
	v_fmac_f32_e32 v18, v0, v127
	v_fmac_f32_e32 v18, v2, v126
	;; [unrolled: 1-line block ×3, first 2 shown]
	s_waitcnt vmcnt(0)
	v_add_f32_e32 v15, v15, v19
	buffer_load_dword v19, off, s[0:3], s32 offset:1916 ; 4-byte Folded Reload
	buffer_store_dword v15, off, s[0:3], s32 offset:1548 ; 4-byte Folded Spill
	v_mul_f32_e32 v15, v1, v48
	v_fmac_f32_e32 v15, v0, v39
	v_fmac_f32_e32 v15, v2, v38
	;; [unrolled: 1-line block ×3, first 2 shown]
	v_add_f32_e32 v4, v4, v15
	v_mul_f32_e32 v15, v1, v108
	buffer_store_dword v4, off, s[0:3], s32 offset:1556 ; 4-byte Folded Spill
	buffer_load_dword v4, off, s[0:3], s32 offset:1564 ; 4-byte Folded Reload
	v_fmac_f32_e32 v15, v0, v107
	v_fmac_f32_e32 v15, v2, v28
	v_fmac_f32_e32 v15, v3, v27
	s_waitcnt vmcnt(0)
	v_add_f32_e32 v4, v4, v16
	v_mul_f32_e32 v16, v1, v105
	buffer_store_dword v4, off, s[0:3], s32 offset:1564 ; 4-byte Folded Spill
	buffer_load_dword v4, off, s[0:3], s32 offset:1572 ; 4-byte Folded Reload
	v_fmac_f32_e32 v16, v0, v104
	v_fmac_f32_e32 v16, v2, v95
	v_fmac_f32_e32 v16, v3, v94
	s_waitcnt vmcnt(0)
	;; [unrolled: 8-line block ×4, first 2 shown]
	v_add_f32_e32 v4, v4, v18
	buffer_load_dword v18, off, s[0:3], s32 offset:1596 ; 4-byte Folded Reload
	buffer_store_dword v4, off, s[0:3], s32 offset:1588 ; 4-byte Folded Spill
	v_mul_f32_e32 v4, v1, v124
	v_fmac_f32_e32 v4, v0, v123
	v_fmac_f32_e32 v4, v2, v122
	;; [unrolled: 1-line block ×3, first 2 shown]
	s_waitcnt vmcnt(0)
	v_add_f32_e32 v18, v18, v4
	buffer_load_dword v4, off, s[0:3], s32 offset:1604 ; 4-byte Folded Reload
	buffer_store_dword v18, off, s[0:3], s32 offset:1596 ; 4-byte Folded Spill
	buffer_load_dword v18, off, s[0:3], s32 offset:1636 ; 4-byte Folded Reload
	s_waitcnt vmcnt(1)
	v_add_f32_e32 v4, v4, v5
	v_mul_f32_e32 v5, v1, v56
	buffer_store_dword v4, off, s[0:3], s32 offset:1604 ; 4-byte Folded Spill
	buffer_load_dword v4, off, s[0:3], s32 offset:1612 ; 4-byte Folded Reload
	v_fmac_f32_e32 v5, v0, v47
	v_fmac_f32_e32 v5, v2, v46
	v_fmac_f32_e32 v5, v3, v45
	s_waitcnt vmcnt(0)
	v_add_f32_e32 v4, v4, v15
	v_mul_f32_e32 v15, v1, v44
	buffer_store_dword v4, off, s[0:3], s32 offset:1612 ; 4-byte Folded Spill
	buffer_load_dword v4, off, s[0:3], s32 offset:1620 ; 4-byte Folded Reload
	v_fmac_f32_e32 v15, v0, v43
	v_fmac_f32_e32 v15, v2, v42
	v_fmac_f32_e32 v15, v3, v41
	;; [unrolled: 8-line block ×3, first 2 shown]
	s_waitcnt vmcnt(0)
	v_add_f32_e32 v4, v4, v17
	v_mul_f32_e32 v17, v1, v116
	buffer_store_dword v4, off, s[0:3], s32 offset:1628 ; 4-byte Folded Spill
	v_mul_f32_e32 v4, v1, v60
	v_fmac_f32_e32 v17, v0, v115
	v_fmac_f32_e32 v4, v0, v59
	;; [unrolled: 1-line block ×6, first 2 shown]
	v_add_f32_e32 v18, v18, v4
	buffer_load_dword v4, off, s[0:3], s32 offset:1644 ; 4-byte Folded Reload
	buffer_store_dword v18, off, s[0:3], s32 offset:1636 ; 4-byte Folded Spill
	buffer_load_dword v18, off, s[0:3], s32 offset:1340 ; 4-byte Folded Reload
	s_waitcnt vmcnt(1)
	v_add_f32_e32 v4, v4, v5
	buffer_load_dword v5, off, s[0:3], s32 offset:1468 ; 4-byte Folded Reload
	buffer_store_dword v4, off, s[0:3], s32 offset:1644 ; 4-byte Folded Spill
	buffer_load_dword v4, off, s[0:3], s32 offset:1652 ; 4-byte Folded Reload
	s_waitcnt vmcnt(0)
	;; [unrolled: 5-line block ×5, first 2 shown]
	v_mul_f32_e32 v4, v1, v4
	v_fmac_f32_e32 v4, v0, v5
	buffer_load_dword v5, off, s[0:3], s32 offset:1444 ; 4-byte Folded Reload
	s_waitcnt vmcnt(0)
	v_mul_f32_e32 v5, v1, v5
	v_fmac_f32_e32 v5, v0, v15
	buffer_load_dword v15, off, s[0:3], s32 offset:1412 ; 4-byte Folded Reload
	s_waitcnt vmcnt(0)
	;; [unrolled: 4-line block ×5, first 2 shown]
	v_fmac_f32_e32 v4, v2, v18
	buffer_load_dword v18, off, s[0:3], s32 offset:1428 ; 4-byte Folded Reload
	s_waitcnt vmcnt(0)
	v_fmac_f32_e32 v5, v2, v18
	buffer_load_dword v18, off, s[0:3], s32 offset:1396 ; 4-byte Folded Reload
	s_waitcnt vmcnt(0)
	;; [unrolled: 3-line block ×10, first 2 shown]
	v_add_f32_e32 v18, v18, v4
	buffer_load_dword v4, off, s[0:3], s32 offset:1684 ; 4-byte Folded Reload
	buffer_store_dword v18, off, s[0:3], s32 offset:1676 ; 4-byte Folded Spill
	buffer_load_dword v18, off, s[0:3], s32 offset:1180 ; 4-byte Folded Reload
	s_waitcnt vmcnt(1)
	v_add_f32_e32 v4, v4, v5
	buffer_load_dword v5, off, s[0:3], s32 offset:1308 ; 4-byte Folded Reload
	buffer_store_dword v4, off, s[0:3], s32 offset:1684 ; 4-byte Folded Spill
	buffer_load_dword v4, off, s[0:3], s32 offset:1692 ; 4-byte Folded Reload
	s_waitcnt vmcnt(0)
	;; [unrolled: 5-line block ×5, first 2 shown]
	v_mul_f32_e32 v4, v1, v4
	v_fmac_f32_e32 v4, v0, v5
	buffer_load_dword v5, off, s[0:3], s32 offset:1284 ; 4-byte Folded Reload
	s_waitcnt vmcnt(0)
	v_mul_f32_e32 v5, v1, v5
	v_fmac_f32_e32 v5, v0, v15
	buffer_load_dword v15, off, s[0:3], s32 offset:1252 ; 4-byte Folded Reload
	s_waitcnt vmcnt(0)
	v_mul_f32_e32 v15, v1, v15
	v_fmac_f32_e32 v15, v0, v16
	buffer_load_dword v16, off, s[0:3], s32 offset:1220 ; 4-byte Folded Reload
	s_waitcnt vmcnt(0)
	v_mul_f32_e32 v16, v1, v16
	v_fmac_f32_e32 v16, v0, v17
	buffer_load_dword v17, off, s[0:3], s32 offset:1188 ; 4-byte Folded Reload
	s_waitcnt vmcnt(0)
	v_mul_f32_e32 v17, v1, v17
	v_fmac_f32_e32 v17, v0, v18
	buffer_load_dword v18, off, s[0:3], s32 offset:1300 ; 4-byte Folded Reload
	s_waitcnt vmcnt(0)
	v_fmac_f32_e32 v4, v2, v18
	buffer_load_dword v18, off, s[0:3], s32 offset:1268 ; 4-byte Folded Reload
	s_waitcnt vmcnt(0)
	v_fmac_f32_e32 v5, v2, v18
	buffer_load_dword v18, off, s[0:3], s32 offset:1236 ; 4-byte Folded Reload
	s_waitcnt vmcnt(0)
	;; [unrolled: 3-line block ×10, first 2 shown]
	v_add_f32_e32 v18, v18, v4
	buffer_load_dword v4, off, s[0:3], s32 offset:1724 ; 4-byte Folded Reload
	buffer_store_dword v18, off, s[0:3], s32 offset:1716 ; 4-byte Folded Spill
	buffer_load_dword v18, off, s[0:3], s32 offset:1020 ; 4-byte Folded Reload
	s_waitcnt vmcnt(1)
	v_add_f32_e32 v4, v4, v5
	buffer_load_dword v5, off, s[0:3], s32 offset:1148 ; 4-byte Folded Reload
	buffer_store_dword v4, off, s[0:3], s32 offset:1724 ; 4-byte Folded Spill
	buffer_load_dword v4, off, s[0:3], s32 offset:1732 ; 4-byte Folded Reload
	s_waitcnt vmcnt(0)
	;; [unrolled: 5-line block ×5, first 2 shown]
	v_mul_f32_e32 v4, v1, v4
	v_fmac_f32_e32 v4, v0, v5
	buffer_load_dword v5, off, s[0:3], s32 offset:1124 ; 4-byte Folded Reload
	s_waitcnt vmcnt(0)
	v_mul_f32_e32 v5, v1, v5
	v_fmac_f32_e32 v5, v0, v15
	buffer_load_dword v15, off, s[0:3], s32 offset:1092 ; 4-byte Folded Reload
	s_waitcnt vmcnt(0)
	;; [unrolled: 4-line block ×5, first 2 shown]
	v_fmac_f32_e32 v4, v2, v18
	buffer_load_dword v18, off, s[0:3], s32 offset:1108 ; 4-byte Folded Reload
	s_waitcnt vmcnt(0)
	v_fmac_f32_e32 v5, v2, v18
	buffer_load_dword v18, off, s[0:3], s32 offset:1076 ; 4-byte Folded Reload
	s_waitcnt vmcnt(0)
	;; [unrolled: 3-line block ×10, first 2 shown]
	v_add_f32_e32 v18, v18, v4
	buffer_load_dword v4, off, s[0:3], s32 offset:1764 ; 4-byte Folded Reload
	buffer_store_dword v18, off, s[0:3], s32 offset:1756 ; 4-byte Folded Spill
	buffer_load_dword v18, off, s[0:3], s32 offset:860 ; 4-byte Folded Reload
	s_waitcnt vmcnt(1)
	v_add_f32_e32 v4, v4, v5
	buffer_load_dword v5, off, s[0:3], s32 offset:988 ; 4-byte Folded Reload
	buffer_store_dword v4, off, s[0:3], s32 offset:1764 ; 4-byte Folded Spill
	buffer_load_dword v4, off, s[0:3], s32 offset:1772 ; 4-byte Folded Reload
	s_waitcnt vmcnt(0)
	;; [unrolled: 5-line block ×5, first 2 shown]
	v_mul_f32_e32 v4, v1, v4
	v_fmac_f32_e32 v4, v0, v5
	buffer_load_dword v5, off, s[0:3], s32 offset:964 ; 4-byte Folded Reload
	s_waitcnt vmcnt(0)
	v_mul_f32_e32 v5, v1, v5
	v_fmac_f32_e32 v5, v0, v15
	buffer_load_dword v15, off, s[0:3], s32 offset:932 ; 4-byte Folded Reload
	s_waitcnt vmcnt(0)
	;; [unrolled: 4-line block ×5, first 2 shown]
	v_fmac_f32_e32 v4, v2, v18
	buffer_load_dword v18, off, s[0:3], s32 offset:948 ; 4-byte Folded Reload
	s_waitcnt vmcnt(0)
	v_fmac_f32_e32 v5, v2, v18
	buffer_load_dword v18, off, s[0:3], s32 offset:916 ; 4-byte Folded Reload
	s_waitcnt vmcnt(0)
	;; [unrolled: 3-line block ×10, first 2 shown]
	v_add_f32_e32 v18, v18, v4
	buffer_load_dword v4, off, s[0:3], s32 offset:1804 ; 4-byte Folded Reload
	buffer_store_dword v18, off, s[0:3], s32 offset:1796 ; 4-byte Folded Spill
	buffer_load_dword v18, off, s[0:3], s32 offset:700 ; 4-byte Folded Reload
	s_waitcnt vmcnt(1)
	v_add_f32_e32 v4, v4, v5
	buffer_load_dword v5, off, s[0:3], s32 offset:828 ; 4-byte Folded Reload
	buffer_store_dword v4, off, s[0:3], s32 offset:1804 ; 4-byte Folded Spill
	buffer_load_dword v4, off, s[0:3], s32 offset:1812 ; 4-byte Folded Reload
	s_waitcnt vmcnt(0)
	;; [unrolled: 5-line block ×5, first 2 shown]
	v_mul_f32_e32 v4, v1, v4
	v_fmac_f32_e32 v4, v0, v5
	buffer_load_dword v5, off, s[0:3], s32 offset:804 ; 4-byte Folded Reload
	s_waitcnt vmcnt(0)
	v_mul_f32_e32 v5, v1, v5
	v_fmac_f32_e32 v5, v0, v15
	buffer_load_dword v15, off, s[0:3], s32 offset:772 ; 4-byte Folded Reload
	s_waitcnt vmcnt(0)
	;; [unrolled: 4-line block ×5, first 2 shown]
	v_fmac_f32_e32 v4, v2, v18
	buffer_load_dword v18, off, s[0:3], s32 offset:788 ; 4-byte Folded Reload
	s_waitcnt vmcnt(0)
	v_fmac_f32_e32 v5, v2, v18
	buffer_load_dword v18, off, s[0:3], s32 offset:756 ; 4-byte Folded Reload
	s_waitcnt vmcnt(0)
	;; [unrolled: 3-line block ×10, first 2 shown]
	v_add_f32_e32 v18, v18, v4
	buffer_load_dword v4, off, s[0:3], s32 offset:1844 ; 4-byte Folded Reload
	buffer_store_dword v18, off, s[0:3], s32 offset:1836 ; 4-byte Folded Spill
	buffer_load_dword v18, off, s[0:3], s32 offset:1912 ; 4-byte Folded Reload
	s_waitcnt vmcnt(1)
	v_add_f32_e32 v4, v4, v5
	buffer_load_dword v5, off, s[0:3], s32 offset:668 ; 4-byte Folded Reload
	buffer_store_dword v4, off, s[0:3], s32 offset:1844 ; 4-byte Folded Spill
	buffer_load_dword v4, off, s[0:3], s32 offset:676 ; 4-byte Folded Reload
	s_waitcnt vmcnt(0)
	v_mul_f32_e32 v4, v1, v4
	v_fmac_f32_e32 v4, v0, v5
	buffer_load_dword v5, off, s[0:3], s32 offset:644 ; 4-byte Folded Reload
	v_add_f32_e32 v18, v18, v15
	buffer_load_dword v15, off, s[0:3], s32 offset:636 ; 4-byte Folded Reload
	s_waitcnt vmcnt(1)
	v_mul_f32_e32 v5, v1, v5
	s_waitcnt vmcnt(0)
	v_fmac_f32_e32 v5, v0, v15
	buffer_load_dword v15, off, s[0:3], s32 offset:612 ; 4-byte Folded Reload
	v_add_f32_e32 v19, v19, v16
	buffer_load_dword v16, off, s[0:3], s32 offset:604 ; 4-byte Folded Reload
	s_waitcnt vmcnt(1)
	v_mul_f32_e32 v15, v1, v15
	s_waitcnt vmcnt(0)
	;; [unrolled: 7-line block ×3, first 2 shown]
	v_fmac_f32_e32 v16, v0, v17
	buffer_load_dword v17, off, s[0:3], s32 offset:548 ; 4-byte Folded Reload
	s_waitcnt vmcnt(0)
	v_mul_f32_e32 v17, v1, v17
	v_fmac_f32_e32 v17, v0, v21
	buffer_load_dword v21, off, s[0:3], s32 offset:660 ; 4-byte Folded Reload
	s_waitcnt vmcnt(0)
	v_fmac_f32_e32 v4, v2, v21
	buffer_load_dword v21, off, s[0:3], s32 offset:628 ; 4-byte Folded Reload
	s_waitcnt vmcnt(0)
	;; [unrolled: 3-line block ×6, first 2 shown]
	v_fmac_f32_e32 v4, v3, v21
	buffer_load_dword v21, off, s[0:3], s32 offset:620 ; 4-byte Folded Reload
	v_add_f32_e32 v22, v22, v4
	buffer_load_dword v4, off, s[0:3], s32 offset:1852 ; 4-byte Folded Reload
	s_waitcnt vmcnt(1)
	v_fmac_f32_e32 v5, v3, v21
	buffer_load_dword v21, off, s[0:3], s32 offset:588 ; 4-byte Folded Reload
	s_waitcnt vmcnt(1)
	v_add_f32_e32 v4, v4, v5
	buffer_load_dword v5, off, s[0:3], s32 offset:484 ; 4-byte Folded Reload
	buffer_store_dword v4, off, s[0:3], s32 offset:1852 ; 4-byte Folded Spill
	buffer_load_dword v4, off, s[0:3], s32 offset:1868 ; 4-byte Folded Reload
	s_waitcnt vmcnt(2)
	v_fmac_f32_e32 v15, v3, v21
	buffer_load_dword v21, off, s[0:3], s32 offset:556 ; 4-byte Folded Reload
	s_waitcnt vmcnt(1)
	v_add_f32_e32 v4, v4, v15
	buffer_load_dword v15, off, s[0:3], s32 offset:452 ; 4-byte Folded Reload
	buffer_store_dword v4, off, s[0:3], s32 offset:1868 ; 4-byte Folded Spill
	;; [unrolled: 8-line block ×4, first 2 shown]
	buffer_load_dword v4, off, s[0:3], s32 offset:516 ; 4-byte Folded Reload
	s_waitcnt vmcnt(0)
	v_mul_f32_e32 v4, v1, v4
	v_fmac_f32_e32 v4, v0, v21
	buffer_load_dword v21, off, s[0:3], s32 offset:476 ; 4-byte Folded Reload
	v_mul_f32_e32 v5, v1, v5
	s_waitcnt vmcnt(0)
	v_fmac_f32_e32 v5, v0, v21
	buffer_load_dword v21, off, s[0:3], s32 offset:444 ; 4-byte Folded Reload
	v_mul_f32_e32 v15, v1, v15
	s_waitcnt vmcnt(0)
	;; [unrolled: 4-line block ×4, first 2 shown]
	v_fmac_f32_e32 v17, v0, v21
	buffer_load_dword v21, off, s[0:3], s32 offset:500 ; 4-byte Folded Reload
	s_waitcnt vmcnt(0)
	v_fmac_f32_e32 v4, v2, v21
	buffer_load_dword v21, off, s[0:3], s32 offset:468 ; 4-byte Folded Reload
	s_waitcnt vmcnt(0)
	;; [unrolled: 3-line block ×11, first 2 shown]
	v_add_f32_e32 v21, v21, v4
	buffer_load_dword v4, off, s[0:3], s32 offset:1884 ; 4-byte Folded Reload
	buffer_store_dword v21, off, s[0:3], s32 offset:1880 ; 4-byte Folded Spill
	s_waitcnt vmcnt(0)
	v_add_f32_e32 v4, v4, v5
	buffer_load_dword v5, off, s[0:3], s32 offset:324 ; 4-byte Folded Reload
	buffer_store_dword v4, off, s[0:3], s32 offset:1884 ; 4-byte Folded Spill
	buffer_load_dword v4, off, s[0:3], s32 offset:1888 ; 4-byte Folded Reload
	s_waitcnt vmcnt(0)
	v_add_f32_e32 v4, v4, v15
	buffer_load_dword v15, off, s[0:3], s32 offset:292 ; 4-byte Folded Reload
	v_mul_f32_e32 v5, v1, v5
	buffer_store_dword v4, off, s[0:3], s32 offset:1888 ; 4-byte Folded Spill
	buffer_load_dword v4, off, s[0:3], s32 offset:1892 ; 4-byte Folded Reload
	s_waitcnt vmcnt(0)
	v_add_f32_e32 v4, v4, v16
	buffer_load_dword v16, off, s[0:3], s32 offset:260 ; 4-byte Folded Reload
	v_mul_f32_e32 v15, v1, v15
	buffer_store_dword v4, off, s[0:3], s32 offset:1892 ; 4-byte Folded Spill
	buffer_load_dword v4, off, s[0:3], s32 offset:1928 ; 4-byte Folded Reload
	s_waitcnt vmcnt(1)
	v_mul_f32_e32 v16, v1, v16
	s_waitcnt vmcnt(0)
	v_add_f32_e32 v17, v4, v17
	buffer_load_dword v4, off, s[0:3], s32 offset:356 ; 4-byte Folded Reload
	s_waitcnt vmcnt(0)
	v_mul_f32_e32 v4, v1, v4
	v_mul_f32_e32 v1, v1, v14
	buffer_load_dword v14, off, s[0:3], s32 offset:348 ; 4-byte Folded Reload
	v_fmac_f32_e32 v1, v0, v10
	v_fmac_f32_e32 v1, v2, v8
	;; [unrolled: 1-line block ×3, first 2 shown]
	v_add_f32_e32 v76, v76, v1
	s_waitcnt vmcnt(0)
	v_fmac_f32_e32 v4, v0, v14
	buffer_load_dword v14, off, s[0:3], s32 offset:316 ; 4-byte Folded Reload
	s_waitcnt vmcnt(0)
	v_fmac_f32_e32 v5, v0, v14
	buffer_load_dword v14, off, s[0:3], s32 offset:284 ; 4-byte Folded Reload
	;; [unrolled: 3-line block ×12, first 2 shown]
	v_add_f32_e32 v68, v68, v16
	s_waitcnt vmcnt(0)
	v_add_f32_e32 v0, v0, v4
	buffer_store_dword v0, off, s[0:3], s32 offset:1896 ; 4-byte Folded Spill
	buffer_load_dword v0, off, s[0:3], s32 offset:1900 ; 4-byte Folded Reload
	s_waitcnt vmcnt(0)
	v_add_f32_e32 v0, v0, v5
	buffer_store_dword v0, off, s[0:3], s32 offset:1900 ; 4-byte Folded Spill
	buffer_load_dword v0, off, s[0:3], s32 offset:1904 ; 4-byte Folded Reload
	s_waitcnt vmcnt(0)
	v_add_f32_e32 v0, v0, v15
	buffer_store_dword v0, off, s[0:3], s32 offset:1904 ; 4-byte Folded Spill
.LBB243_2085:                           ;   in Loop: Header=BB243_2086 Depth=1
	s_or_b32 exec_lo, exec_lo, s18
	s_clause 0x1
	buffer_load_dword v0, off, s[0:3], s32 offset:208
	buffer_load_dword v1, off, s[0:3], s32 offset:212
	v_add_co_u32 v12, s4, v12, 16
	v_add_co_ci_u32_e64 v13, null, 0, v13, s4
	v_add_nc_u32_e32 v92, 0x200, v92
	s_waitcnt vmcnt(0)
	v_mov_b32_e32 v1, v0
	v_add_nc_u32_e32 v1, 4, v1
	v_mov_b32_e32 v0, v1
	buffer_store_dword v0, off, s[0:3], s32 offset:208 ; 4-byte Folded Spill
	buffer_store_dword v1, off, s[0:3], s32 offset:212 ; 4-byte Folded Spill
	buffer_load_dword v0, off, s[0:3], s32 offset:244 ; 4-byte Folded Reload
	s_waitcnt vmcnt(0)
	v_cmp_ge_i32_e32 vcc_lo, v1, v0
	buffer_load_dword v0, off, s[0:3], s32 offset:216 ; 4-byte Folded Reload
	s_or_b32 s17, vcc_lo, s17
	s_waitcnt vmcnt(0)
	v_add_nc_u32_e32 v0, 0x80, v0
	s_andn2_b32 exec_lo, exec_lo, s17
	s_cbranch_execz .LBB243_4263
.LBB243_2086:                           ; =>This Inner Loop Header: Depth=1
	s_clause 0x1
	buffer_load_dword v1, off, s[0:3], s32 offset:248
	buffer_load_dword v4, off, s[0:3], s32 offset:228
	s_waitcnt vmcnt(2)
	v_mov_b32_e32 v5, v0
	v_sub_nc_u32_e32 v0, 0, v5
	buffer_store_dword v5, off, s[0:3], s32 offset:216 ; 4-byte Folded Spill
	v_max_i32_e32 v0, v5, v0
	s_waitcnt vmcnt(1)
	v_mul_hi_u32 v1, v0, v1
	s_waitcnt vmcnt(0)
	v_mul_lo_u32 v2, v1, v4
	v_sub_nc_u32_e32 v0, v0, v2
	v_add_nc_u32_e32 v2, 1, v1
	v_cmp_ge_u32_e32 vcc_lo, v0, v4
	v_sub_nc_u32_e32 v3, v0, v4
	v_cndmask_b32_e32 v1, v1, v2, vcc_lo
	v_ashrrev_i32_e32 v2, 31, v5
	buffer_load_dword v5, off, s[0:3], s32 offset:240 ; 4-byte Folded Reload
	v_cndmask_b32_e32 v0, v0, v3, vcc_lo
	v_add_nc_u32_e32 v3, 1, v1
	v_cmp_ge_u32_e32 vcc_lo, v0, v4
	v_cndmask_b32_e32 v0, v1, v3, vcc_lo
	s_waitcnt vmcnt(0)
	v_xor_b32_e32 v2, v2, v5
	v_xor_b32_e32 v0, v0, v2
	v_sub_nc_u32_e32 v0, v0, v2
	s_clause 0x2
	buffer_load_dword v1, off, s[0:3], s32 offset:232
	buffer_load_dword v2, off, s[0:3], s32 offset:236
	;; [unrolled: 1-line block ×3, first 2 shown]
	s_waitcnt vmcnt(2)
	v_add_nc_u32_e32 v1, v0, v1
	s_waitcnt vmcnt(1)
	v_sub_nc_u32_e32 v2, 0, v1
	v_max_i32_e32 v2, v1, v2
	v_ashrrev_i32_e32 v1, 31, v1
	s_waitcnt vmcnt(0)
	v_mul_hi_u32 v3, v2, v3
	v_mul_lo_u32 v3, v3, v73
	v_sub_nc_u32_e32 v2, v2, v3
	v_sub_nc_u32_e32 v3, v2, v73
	v_cmp_ge_u32_e32 vcc_lo, v2, v73
	v_cndmask_b32_e32 v2, v2, v3, vcc_lo
	v_sub_nc_u32_e32 v3, v2, v73
	v_cmp_ge_u32_e32 vcc_lo, v2, v73
	v_cndmask_b32_e32 v2, v2, v3, vcc_lo
	v_xor_b32_e32 v2, v2, v1
	v_sub_nc_u32_e32 v1, v2, v1
	v_cmp_eq_u32_e32 vcc_lo, 0, v1
	buffer_load_dword v1, off, s[0:3], s32 offset:252 ; 4-byte Folded Reload
	s_waitcnt vmcnt(0)
	v_cmp_gt_i32_e64 s4, v0, v1
	s_or_b32 s4, vcc_lo, s4
	s_and_saveexec_b32 s18, s4
	s_cbranch_execz .LBB243_2085
; %bb.2087:                             ;   in Loop: Header=BB243_2086 Depth=1
	buffer_store_dword v68, off, s[0:3], s32 offset:1932 ; 4-byte Folded Spill
	buffer_store_dword v17, off, s[0:3], s32 offset:1928 ; 4-byte Folded Spill
	;; [unrolled: 1-line block ×6, first 2 shown]
	flat_load_dword v0, v[12:13]
	s_clause 0x2
	buffer_load_dword v1, off, s[0:3], s32 offset:1864
	buffer_load_dword v2, off, s[0:3], s32 offset:1936
	;; [unrolled: 1-line block ×3, first 2 shown]
	v_mov_b32_e32 v21, 0
	v_mov_b32_e32 v19, 0
	;; [unrolled: 1-line block ×4, first 2 shown]
	s_waitcnt vmcnt(0) lgkmcnt(0)
	v_mad_i64_i32 v[15:16], null, v0, v1, v[2:3]
	buffer_load_dword v0, off, s[0:3], s32 offset:1952 ; 4-byte Folded Reload
	s_waitcnt vmcnt(0)
	v_add_co_u32 v17, vcc_lo, v15, v0
	v_add_co_ci_u32_e64 v18, null, 0, v16, vcc_lo
	flat_load_dword v4, v[17:18]
	s_clause 0x1
	buffer_load_dword v0, off, s[0:3], s32 offset:2128
	buffer_load_dword v1, off, s[0:3], s32 offset:2132
	s_waitcnt vmcnt(2) lgkmcnt(0)
	v_cmp_ne_u16_sdwa s5, v4, v7 src0_sel:BYTE_0 src1_sel:DWORD
	s_waitcnt vmcnt(0)
	flat_load_dword v106, v[0:1]
	ds_read_b128 v[0:3], v92
	s_and_saveexec_b32 s4, s5
	s_cbranch_execz .LBB243_2095
; %bb.2088:                             ;   in Loop: Header=BB243_2086 Depth=1
	v_bfrev_b32_e32 v19, 1
	v_mov_b32_e32 v20, 0
	v_cmp_ne_u16_sdwa s6, v4, v75 src0_sel:BYTE_0 src1_sel:DWORD
	s_and_saveexec_b32 s5, s6
	s_cbranch_execz .LBB243_2094
; %bb.2089:                             ;   in Loop: Header=BB243_2086 Depth=1
	v_mov_b32_e32 v19, 0x7f800001
	v_and_b32_e32 v8, 0x7f, v4
	v_mov_b32_e32 v20, 0
	s_mov_b32 s6, exec_lo
	v_cmpx_ne_u32_e32 0x7f, v8
	s_cbranch_execz .LBB243_2093
; %bb.2090:                             ;   in Loop: Header=BB243_2086 Depth=1
	v_and_b32_e32 v6, 7, v4
	v_lshrrev_b32_e32 v5, 3, v8
	s_mov_b32 s7, exec_lo
	v_cmpx_gt_u32_e32 8, v8
; %bb.2091:                             ;   in Loop: Header=BB243_2086 Depth=1
	v_ffbh_u32_e32 v5, v6
	v_min_u32_e32 v5, 32, v5
	v_subrev_nc_u32_e32 v8, 28, v5
	v_sub_nc_u32_e32 v5, 29, v5
	v_lshlrev_b64 v[19:20], v8, v[6:7]
	v_and_b32_e32 v6, 7, v19
; %bb.2092:                             ;   in Loop: Header=BB243_2086 Depth=1
	s_or_b32 exec_lo, exec_lo, s7
	v_lshlrev_b32_e32 v8, 24, v4
	v_lshlrev_b32_e32 v6, 20, v6
	v_lshl_add_u32 v5, v5, 23, 0x3c000000
	v_and_b32_e32 v8, 0x80000000, v8
	v_or3_b32 v6, v6, v8, v5
	v_mov_b32_e32 v20, v7
	v_mov_b32_e32 v19, v6
.LBB243_2093:                           ;   in Loop: Header=BB243_2086 Depth=1
	s_or_b32 exec_lo, exec_lo, s6
.LBB243_2094:                           ;   in Loop: Header=BB243_2086 Depth=1
	s_or_b32 exec_lo, exec_lo, s5
.LBB243_2095:                           ;   in Loop: Header=BB243_2086 Depth=1
	s_or_b32 exec_lo, exec_lo, s4
	v_cmp_ne_u16_sdwa s5, v4, v7 src0_sel:BYTE_1 src1_sel:DWORD
	s_and_saveexec_b32 s4, s5
	s_cbranch_execz .LBB243_2103
; %bb.2096:                             ;   in Loop: Header=BB243_2086 Depth=1
	v_mov_b32_e32 v8, v7
	v_mov_b32_e32 v22, v9
	v_cmp_ne_u16_sdwa s6, v4, v75 src0_sel:BYTE_1 src1_sel:DWORD
	v_mov_b32_e32 v21, v8
	s_and_saveexec_b32 s5, s6
	s_cbranch_execz .LBB243_2102
; %bb.2097:                             ;   in Loop: Header=BB243_2086 Depth=1
	v_mov_b32_e32 v5, 0xffff
	v_mov_b32_e32 v10, v7
	v_mov_b32_e32 v22, v11
	s_mov_b32 s6, exec_lo
	v_and_b32_sdwa v5, v5, v4 dst_sel:DWORD dst_unused:UNUSED_PAD src0_sel:DWORD src1_sel:BYTE_1
	v_mov_b32_e32 v21, v10
	v_and_b32_e32 v8, 0x7f, v5
	v_cmpx_ne_u32_e32 0x7f, v8
	s_cbranch_execz .LBB243_2101
; %bb.2098:                             ;   in Loop: Header=BB243_2086 Depth=1
	v_and_b32_e32 v6, 7, v5
	v_lshrrev_b32_e32 v5, 3, v8
	s_mov_b32 s7, exec_lo
	v_cmpx_gt_u32_e32 8, v8
; %bb.2099:                             ;   in Loop: Header=BB243_2086 Depth=1
	v_ffbh_u32_e32 v5, v6
	v_min_u32_e32 v5, 32, v5
	v_subrev_nc_u32_e32 v8, 28, v5
	v_sub_nc_u32_e32 v5, 29, v5
	v_lshlrev_b64 v[21:22], v8, v[6:7]
	v_and_b32_e32 v6, 7, v21
; %bb.2100:                             ;   in Loop: Header=BB243_2086 Depth=1
	s_or_b32 exec_lo, exec_lo, s7
	v_lshlrev_b32_e32 v8, 16, v4
	v_lshlrev_b32_e32 v6, 20, v6
	v_lshl_add_u32 v5, v5, 23, 0x3c000000
	v_mov_b32_e32 v21, v7
	v_and_b32_e32 v8, 0x80000000, v8
	v_or3_b32 v22, v6, v8, v5
.LBB243_2101:                           ;   in Loop: Header=BB243_2086 Depth=1
	s_or_b32 exec_lo, exec_lo, s6
.LBB243_2102:                           ;   in Loop: Header=BB243_2086 Depth=1
	s_or_b32 exec_lo, exec_lo, s5
.LBB243_2103:                           ;   in Loop: Header=BB243_2086 Depth=1
	s_or_b32 exec_lo, exec_lo, s4
	v_mov_b32_e32 v25, 0
	v_mov_b32_e32 v23, 0
	v_and_b32_sdwa v5, v4, v77 dst_sel:DWORD dst_unused:UNUSED_PAD src0_sel:WORD_1 src1_sel:DWORD
	v_mov_b32_e32 v26, 0
	v_mov_b32_e32 v24, 0
	s_mov_b32 s4, exec_lo
	v_cmpx_ne_u16_e32 0, v5
	s_cbranch_execz .LBB243_2111
; %bb.2104:                             ;   in Loop: Header=BB243_2086 Depth=1
	v_bfrev_b32_e32 v23, 1
	v_mov_b32_e32 v24, 0
	s_mov_b32 s5, exec_lo
	v_cmpx_ne_u16_e32 0x80, v5
	s_cbranch_execz .LBB243_2110
; %bb.2105:                             ;   in Loop: Header=BB243_2086 Depth=1
	v_mov_b32_e32 v23, 0x7f800001
	v_bfe_u32 v8, v4, 16, 7
	v_mov_b32_e32 v24, 0
	s_mov_b32 s6, exec_lo
	v_cmpx_ne_u32_e32 0x7f, v8
	s_cbranch_execz .LBB243_2109
; %bb.2106:                             ;   in Loop: Header=BB243_2086 Depth=1
	v_and_b32_sdwa v6, v4, v30 dst_sel:DWORD dst_unused:UNUSED_PAD src0_sel:WORD_1 src1_sel:DWORD
	v_lshrrev_b32_e32 v5, 3, v8
	s_mov_b32 s7, exec_lo
	v_cmpx_gt_u32_e32 8, v8
; %bb.2107:                             ;   in Loop: Header=BB243_2086 Depth=1
	v_ffbh_u32_e32 v5, v6
	v_min_u32_e32 v5, 32, v5
	v_subrev_nc_u32_e32 v8, 28, v5
	v_sub_nc_u32_e32 v5, 29, v5
	v_lshlrev_b64 v[23:24], v8, v[6:7]
	v_and_b32_e32 v6, 7, v23
; %bb.2108:                             ;   in Loop: Header=BB243_2086 Depth=1
	s_or_b32 exec_lo, exec_lo, s7
	v_lshlrev_b32_sdwa v8, v79, v4 dst_sel:DWORD dst_unused:UNUSED_PAD src0_sel:DWORD src1_sel:WORD_1
	v_lshlrev_b32_e32 v6, 20, v6
	v_lshl_add_u32 v5, v5, 23, 0x3c000000
	v_and_b32_e32 v8, 0x80000000, v8
	v_or3_b32 v6, v6, v8, v5
	v_mov_b32_e32 v24, v7
	v_mov_b32_e32 v23, v6
.LBB243_2109:                           ;   in Loop: Header=BB243_2086 Depth=1
	s_or_b32 exec_lo, exec_lo, s6
.LBB243_2110:                           ;   in Loop: Header=BB243_2086 Depth=1
	s_or_b32 exec_lo, exec_lo, s5
.LBB243_2111:                           ;   in Loop: Header=BB243_2086 Depth=1
	s_or_b32 exec_lo, exec_lo, s4
	s_mov_b32 s4, exec_lo
	v_cmpx_lt_u32_e32 0xffffff, v4
	s_cbranch_execz .LBB243_2119
; %bb.2112:                             ;   in Loop: Header=BB243_2086 Depth=1
	v_mov_b32_e32 v8, v7
	v_mov_b32_e32 v26, v9
	v_cmp_ne_u32_sdwa s6, v4, v75 src0_sel:BYTE_3 src1_sel:DWORD
	v_mov_b32_e32 v25, v8
	s_and_saveexec_b32 s5, s6
	s_cbranch_execz .LBB243_2118
; %bb.2113:                             ;   in Loop: Header=BB243_2086 Depth=1
	v_mov_b32_e32 v10, v7
	v_mov_b32_e32 v26, v11
	v_bfe_u32 v8, v4, 24, 7
	s_mov_b32 s6, exec_lo
	v_mov_b32_e32 v25, v10
	v_cmpx_ne_u32_e32 0x7f, v8
	s_cbranch_execz .LBB243_2117
; %bb.2114:                             ;   in Loop: Header=BB243_2086 Depth=1
	v_and_b32_sdwa v6, v4, v30 dst_sel:DWORD dst_unused:UNUSED_PAD src0_sel:BYTE_3 src1_sel:DWORD
	v_lshrrev_b32_e32 v5, 3, v8
	s_mov_b32 s7, exec_lo
	v_cmpx_gt_u32_e32 8, v8
; %bb.2115:                             ;   in Loop: Header=BB243_2086 Depth=1
	v_ffbh_u32_e32 v5, v6
	v_min_u32_e32 v5, 32, v5
	v_subrev_nc_u32_e32 v8, 28, v5
	v_sub_nc_u32_e32 v5, 29, v5
	v_lshlrev_b64 v[25:26], v8, v[6:7]
	v_and_b32_e32 v6, 7, v25
; %bb.2116:                             ;   in Loop: Header=BB243_2086 Depth=1
	s_or_b32 exec_lo, exec_lo, s7
	v_lshlrev_b32_sdwa v4, v79, v4 dst_sel:DWORD dst_unused:UNUSED_PAD src0_sel:DWORD src1_sel:BYTE_3
	v_lshlrev_b32_e32 v6, 20, v6
	v_lshl_add_u32 v5, v5, 23, 0x3c000000
	v_mov_b32_e32 v25, v7
	v_and_b32_e32 v4, 0x80000000, v4
	v_or3_b32 v26, v6, v4, v5
.LBB243_2117:                           ;   in Loop: Header=BB243_2086 Depth=1
	s_or_b32 exec_lo, exec_lo, s6
.LBB243_2118:                           ;   in Loop: Header=BB243_2086 Depth=1
	s_or_b32 exec_lo, exec_lo, s5
.LBB243_2119:                           ;   in Loop: Header=BB243_2086 Depth=1
	s_or_b32 exec_lo, exec_lo, s4
	s_clause 0x1
	buffer_load_dword v4, off, s[0:3], s32 offset:216
	buffer_load_dword v5, off, s[0:3], s32 offset:1948
	v_or_b32_e32 v14, v25, v23
	s_waitcnt vmcnt(0)
	v_add_nc_u32_e32 v4, v5, v4
	s_clause 0x2
	buffer_load_dword v5, off, s[0:3], s32 offset:208
	buffer_load_dword v6, off, s[0:3], s32 offset:212
	;; [unrolled: 1-line block ×3, first 2 shown]
	v_add_nc_u32_e32 v8, 1, v4
	v_add_nc_u32_e32 v10, 2, v4
	s_waitcnt vmcnt(0)
	v_cmp_eq_u32_e32 vcc_lo, v6, v5
	v_or_b32_e32 v5, v22, v20
	buffer_load_dword v20, off, s[0:3], s32 offset:1860 ; 4-byte Folded Reload
	v_or_b32_e32 v6, v21, v19
	v_add_nc_u32_e32 v19, 3, v4
	s_waitcnt lgkmcnt(1)
	v_mul_f32_e32 v5, v106, v5
	buffer_store_dword v5, off, s[0:3], s32 offset:260 ; 4-byte Folded Spill
	v_mul_f32_e32 v5, v106, v6
	buffer_store_dword v5, off, s[0:3], s32 offset:256 ; 4-byte Folded Spill
	;; [unrolled: 2-line block ×3, first 2 shown]
	s_waitcnt vmcnt(0)
	v_cmp_lt_i32_e64 s4, v4, v20
	v_or_b32_e32 v4, v26, v24
	v_cmp_lt_i32_e64 s5, v8, v20
	v_cmp_lt_i32_e64 s6, v10, v20
	;; [unrolled: 1-line block ×3, first 2 shown]
	v_mul_f32_e32 v4, v106, v4
	buffer_store_dword v4, off, s[0:3], s32 offset:200 ; 4-byte Folded Spill
	s_and_saveexec_b32 s8, vcc_lo
	s_cbranch_execz .LBB243_2121
; %bb.2120:                             ;   in Loop: Header=BB243_2086 Depth=1
	buffer_load_dword v4, off, s[0:3], s32 offset:256 ; 4-byte Folded Reload
	s_waitcnt vmcnt(0)
	v_cndmask_b32_e64 v4, 0, v4, s4
	buffer_store_dword v4, off, s[0:3], s32 offset:256 ; 4-byte Folded Spill
	buffer_load_dword v4, off, s[0:3], s32 offset:260 ; 4-byte Folded Reload
	s_waitcnt vmcnt(0)
	v_cndmask_b32_e64 v4, 0, v4, s5
	buffer_store_dword v4, off, s[0:3], s32 offset:260 ; 4-byte Folded Spill
	;; [unrolled: 4-line block ×4, first 2 shown]
.LBB243_2121:                           ;   in Loop: Header=BB243_2086 Depth=1
	s_or_b32 exec_lo, exec_lo, s8
	flat_load_dword v4, v[17:18] offset:128
	v_mov_b32_e32 v21, 0
	v_mov_b32_e32 v19, 0
	v_mov_b32_e32 v22, 0
	v_mov_b32_e32 v20, 0
	s_waitcnt vmcnt(0) lgkmcnt(0)
	v_cmp_ne_u16_sdwa s8, v4, v7 src0_sel:BYTE_0 src1_sel:DWORD
	s_and_saveexec_b32 s19, s8
	s_cbranch_execz .LBB243_2129
; %bb.2122:                             ;   in Loop: Header=BB243_2086 Depth=1
	v_bfrev_b32_e32 v19, 1
	v_mov_b32_e32 v20, 0
	v_cmp_ne_u16_sdwa s8, v4, v75 src0_sel:BYTE_0 src1_sel:DWORD
	s_and_saveexec_b32 s21, s8
	s_cbranch_execz .LBB243_2128
; %bb.2123:                             ;   in Loop: Header=BB243_2086 Depth=1
	v_mov_b32_e32 v19, 0x7f800001
	v_and_b32_e32 v8, 0x7f, v4
	v_mov_b32_e32 v20, 0
	s_mov_b32 s22, exec_lo
	v_cmpx_ne_u32_e32 0x7f, v8
	s_cbranch_execz .LBB243_2127
; %bb.2124:                             ;   in Loop: Header=BB243_2086 Depth=1
	v_and_b32_e32 v6, 7, v4
	v_lshrrev_b32_e32 v5, 3, v8
	s_mov_b32 s23, exec_lo
	v_cmpx_gt_u32_e32 8, v8
; %bb.2125:                             ;   in Loop: Header=BB243_2086 Depth=1
	v_ffbh_u32_e32 v5, v6
	v_min_u32_e32 v5, 32, v5
	v_subrev_nc_u32_e32 v8, 28, v5
	v_sub_nc_u32_e32 v5, 29, v5
	v_lshlrev_b64 v[19:20], v8, v[6:7]
	v_and_b32_e32 v6, 7, v19
; %bb.2126:                             ;   in Loop: Header=BB243_2086 Depth=1
	s_or_b32 exec_lo, exec_lo, s23
	v_lshlrev_b32_e32 v8, 24, v4
	v_lshlrev_b32_e32 v6, 20, v6
	v_lshl_add_u32 v5, v5, 23, 0x3c000000
	v_and_b32_e32 v8, 0x80000000, v8
	v_or3_b32 v6, v6, v8, v5
	v_mov_b32_e32 v20, v7
	v_mov_b32_e32 v19, v6
.LBB243_2127:                           ;   in Loop: Header=BB243_2086 Depth=1
	s_or_b32 exec_lo, exec_lo, s22
.LBB243_2128:                           ;   in Loop: Header=BB243_2086 Depth=1
	s_or_b32 exec_lo, exec_lo, s21
.LBB243_2129:                           ;   in Loop: Header=BB243_2086 Depth=1
	s_or_b32 exec_lo, exec_lo, s19
	v_cmp_ne_u16_sdwa s8, v4, v7 src0_sel:BYTE_1 src1_sel:DWORD
	s_and_saveexec_b32 s19, s8
	s_cbranch_execz .LBB243_2137
; %bb.2130:                             ;   in Loop: Header=BB243_2086 Depth=1
	v_mov_b32_e32 v8, v7
	v_mov_b32_e32 v22, v9
	v_cmp_ne_u16_sdwa s8, v4, v75 src0_sel:BYTE_1 src1_sel:DWORD
	v_mov_b32_e32 v21, v8
	s_and_saveexec_b32 s21, s8
	s_cbranch_execz .LBB243_2136
; %bb.2131:                             ;   in Loop: Header=BB243_2086 Depth=1
	v_mov_b32_e32 v5, 0xffff
	v_mov_b32_e32 v10, v7
	;; [unrolled: 1-line block ×3, first 2 shown]
	s_mov_b32 s22, exec_lo
	v_and_b32_sdwa v5, v5, v4 dst_sel:DWORD dst_unused:UNUSED_PAD src0_sel:DWORD src1_sel:BYTE_1
	v_mov_b32_e32 v21, v10
	v_and_b32_e32 v8, 0x7f, v5
	v_cmpx_ne_u32_e32 0x7f, v8
	s_cbranch_execz .LBB243_2135
; %bb.2132:                             ;   in Loop: Header=BB243_2086 Depth=1
	v_and_b32_e32 v6, 7, v5
	v_lshrrev_b32_e32 v5, 3, v8
	s_mov_b32 s23, exec_lo
	v_cmpx_gt_u32_e32 8, v8
; %bb.2133:                             ;   in Loop: Header=BB243_2086 Depth=1
	v_ffbh_u32_e32 v5, v6
	v_min_u32_e32 v5, 32, v5
	v_subrev_nc_u32_e32 v8, 28, v5
	v_sub_nc_u32_e32 v5, 29, v5
	v_lshlrev_b64 v[21:22], v8, v[6:7]
	v_and_b32_e32 v6, 7, v21
; %bb.2134:                             ;   in Loop: Header=BB243_2086 Depth=1
	s_or_b32 exec_lo, exec_lo, s23
	v_lshlrev_b32_e32 v8, 16, v4
	v_lshlrev_b32_e32 v6, 20, v6
	v_lshl_add_u32 v5, v5, 23, 0x3c000000
	v_mov_b32_e32 v21, v7
	v_and_b32_e32 v8, 0x80000000, v8
	v_or3_b32 v22, v6, v8, v5
.LBB243_2135:                           ;   in Loop: Header=BB243_2086 Depth=1
	s_or_b32 exec_lo, exec_lo, s22
.LBB243_2136:                           ;   in Loop: Header=BB243_2086 Depth=1
	s_or_b32 exec_lo, exec_lo, s21
.LBB243_2137:                           ;   in Loop: Header=BB243_2086 Depth=1
	s_or_b32 exec_lo, exec_lo, s19
	v_mov_b32_e32 v25, 0
	v_mov_b32_e32 v23, 0
	v_and_b32_sdwa v5, v4, v77 dst_sel:DWORD dst_unused:UNUSED_PAD src0_sel:WORD_1 src1_sel:DWORD
	v_mov_b32_e32 v26, 0
	v_mov_b32_e32 v24, 0
	s_mov_b32 s19, exec_lo
	v_cmpx_ne_u16_e32 0, v5
	s_cbranch_execz .LBB243_2145
; %bb.2138:                             ;   in Loop: Header=BB243_2086 Depth=1
	v_bfrev_b32_e32 v23, 1
	v_mov_b32_e32 v24, 0
	s_mov_b32 s21, exec_lo
	v_cmpx_ne_u16_e32 0x80, v5
	s_cbranch_execz .LBB243_2144
; %bb.2139:                             ;   in Loop: Header=BB243_2086 Depth=1
	v_mov_b32_e32 v23, 0x7f800001
	v_bfe_u32 v8, v4, 16, 7
	v_mov_b32_e32 v24, 0
	s_mov_b32 s22, exec_lo
	v_cmpx_ne_u32_e32 0x7f, v8
	s_cbranch_execz .LBB243_2143
; %bb.2140:                             ;   in Loop: Header=BB243_2086 Depth=1
	v_and_b32_sdwa v6, v4, v30 dst_sel:DWORD dst_unused:UNUSED_PAD src0_sel:WORD_1 src1_sel:DWORD
	v_lshrrev_b32_e32 v5, 3, v8
	s_mov_b32 s23, exec_lo
	v_cmpx_gt_u32_e32 8, v8
; %bb.2141:                             ;   in Loop: Header=BB243_2086 Depth=1
	v_ffbh_u32_e32 v5, v6
	v_min_u32_e32 v5, 32, v5
	v_subrev_nc_u32_e32 v8, 28, v5
	v_sub_nc_u32_e32 v5, 29, v5
	v_lshlrev_b64 v[23:24], v8, v[6:7]
	v_and_b32_e32 v6, 7, v23
; %bb.2142:                             ;   in Loop: Header=BB243_2086 Depth=1
	s_or_b32 exec_lo, exec_lo, s23
	v_lshlrev_b32_sdwa v8, v79, v4 dst_sel:DWORD dst_unused:UNUSED_PAD src0_sel:DWORD src1_sel:WORD_1
	v_lshlrev_b32_e32 v6, 20, v6
	v_lshl_add_u32 v5, v5, 23, 0x3c000000
	v_and_b32_e32 v8, 0x80000000, v8
	v_or3_b32 v6, v6, v8, v5
	v_mov_b32_e32 v24, v7
	v_mov_b32_e32 v23, v6
.LBB243_2143:                           ;   in Loop: Header=BB243_2086 Depth=1
	s_or_b32 exec_lo, exec_lo, s22
.LBB243_2144:                           ;   in Loop: Header=BB243_2086 Depth=1
	s_or_b32 exec_lo, exec_lo, s21
.LBB243_2145:                           ;   in Loop: Header=BB243_2086 Depth=1
	s_or_b32 exec_lo, exec_lo, s19
	s_mov_b32 s19, exec_lo
	v_cmpx_lt_u32_e32 0xffffff, v4
	s_cbranch_execz .LBB243_2153
; %bb.2146:                             ;   in Loop: Header=BB243_2086 Depth=1
	v_mov_b32_e32 v8, v7
	v_mov_b32_e32 v26, v9
	v_cmp_ne_u32_sdwa s8, v4, v75 src0_sel:BYTE_3 src1_sel:DWORD
	v_mov_b32_e32 v25, v8
	s_and_saveexec_b32 s21, s8
	s_cbranch_execz .LBB243_2152
; %bb.2147:                             ;   in Loop: Header=BB243_2086 Depth=1
	v_mov_b32_e32 v10, v7
	v_mov_b32_e32 v26, v11
	v_bfe_u32 v8, v4, 24, 7
	s_mov_b32 s22, exec_lo
	v_mov_b32_e32 v25, v10
	v_cmpx_ne_u32_e32 0x7f, v8
	s_cbranch_execz .LBB243_2151
; %bb.2148:                             ;   in Loop: Header=BB243_2086 Depth=1
	v_and_b32_sdwa v6, v4, v30 dst_sel:DWORD dst_unused:UNUSED_PAD src0_sel:BYTE_3 src1_sel:DWORD
	v_lshrrev_b32_e32 v5, 3, v8
	s_mov_b32 s23, exec_lo
	v_cmpx_gt_u32_e32 8, v8
; %bb.2149:                             ;   in Loop: Header=BB243_2086 Depth=1
	v_ffbh_u32_e32 v5, v6
	v_min_u32_e32 v5, 32, v5
	v_subrev_nc_u32_e32 v8, 28, v5
	v_sub_nc_u32_e32 v5, 29, v5
	v_lshlrev_b64 v[25:26], v8, v[6:7]
	v_and_b32_e32 v6, 7, v25
; %bb.2150:                             ;   in Loop: Header=BB243_2086 Depth=1
	s_or_b32 exec_lo, exec_lo, s23
	v_lshlrev_b32_sdwa v4, v79, v4 dst_sel:DWORD dst_unused:UNUSED_PAD src0_sel:DWORD src1_sel:BYTE_3
	v_lshlrev_b32_e32 v6, 20, v6
	v_lshl_add_u32 v5, v5, 23, 0x3c000000
	v_mov_b32_e32 v25, v7
	v_and_b32_e32 v4, 0x80000000, v4
	v_or3_b32 v26, v6, v4, v5
.LBB243_2151:                           ;   in Loop: Header=BB243_2086 Depth=1
	s_or_b32 exec_lo, exec_lo, s22
.LBB243_2152:                           ;   in Loop: Header=BB243_2086 Depth=1
	s_or_b32 exec_lo, exec_lo, s21
.LBB243_2153:                           ;   in Loop: Header=BB243_2086 Depth=1
	s_or_b32 exec_lo, exec_lo, s19
	v_or_b32_e32 v4, v22, v20
	v_or_b32_e32 v5, v21, v19
	;; [unrolled: 1-line block ×4, first 2 shown]
	v_mul_f32_e32 v4, v106, v4
	buffer_store_dword v4, off, s[0:3], s32 offset:292 ; 4-byte Folded Spill
	v_mul_f32_e32 v4, v106, v5
	buffer_store_dword v4, off, s[0:3], s32 offset:284 ; 4-byte Folded Spill
	;; [unrolled: 2-line block ×4, first 2 shown]
	s_and_saveexec_b32 s8, vcc_lo
	s_cbranch_execz .LBB243_2155
; %bb.2154:                             ;   in Loop: Header=BB243_2086 Depth=1
	buffer_load_dword v4, off, s[0:3], s32 offset:284 ; 4-byte Folded Reload
	s_waitcnt vmcnt(0)
	v_cndmask_b32_e64 v4, 0, v4, s4
	buffer_store_dword v4, off, s[0:3], s32 offset:284 ; 4-byte Folded Spill
	buffer_load_dword v4, off, s[0:3], s32 offset:292 ; 4-byte Folded Reload
	s_waitcnt vmcnt(0)
	v_cndmask_b32_e64 v4, 0, v4, s5
	buffer_store_dword v4, off, s[0:3], s32 offset:292 ; 4-byte Folded Spill
	;; [unrolled: 4-line block ×4, first 2 shown]
.LBB243_2155:                           ;   in Loop: Header=BB243_2086 Depth=1
	s_or_b32 exec_lo, exec_lo, s8
	flat_load_dword v4, v[17:18] offset:256
	v_mov_b32_e32 v21, 0
	v_mov_b32_e32 v19, 0
	;; [unrolled: 1-line block ×4, first 2 shown]
	s_waitcnt vmcnt(0) lgkmcnt(0)
	v_cmp_ne_u16_sdwa s8, v4, v7 src0_sel:BYTE_0 src1_sel:DWORD
	s_and_saveexec_b32 s19, s8
	s_cbranch_execz .LBB243_2163
; %bb.2156:                             ;   in Loop: Header=BB243_2086 Depth=1
	v_bfrev_b32_e32 v19, 1
	v_mov_b32_e32 v20, 0
	v_cmp_ne_u16_sdwa s8, v4, v75 src0_sel:BYTE_0 src1_sel:DWORD
	s_and_saveexec_b32 s21, s8
	s_cbranch_execz .LBB243_2162
; %bb.2157:                             ;   in Loop: Header=BB243_2086 Depth=1
	v_mov_b32_e32 v19, 0x7f800001
	v_and_b32_e32 v8, 0x7f, v4
	v_mov_b32_e32 v20, 0
	s_mov_b32 s22, exec_lo
	v_cmpx_ne_u32_e32 0x7f, v8
	s_cbranch_execz .LBB243_2161
; %bb.2158:                             ;   in Loop: Header=BB243_2086 Depth=1
	v_and_b32_e32 v6, 7, v4
	v_lshrrev_b32_e32 v5, 3, v8
	s_mov_b32 s23, exec_lo
	v_cmpx_gt_u32_e32 8, v8
; %bb.2159:                             ;   in Loop: Header=BB243_2086 Depth=1
	v_ffbh_u32_e32 v5, v6
	v_min_u32_e32 v5, 32, v5
	v_subrev_nc_u32_e32 v8, 28, v5
	v_sub_nc_u32_e32 v5, 29, v5
	v_lshlrev_b64 v[19:20], v8, v[6:7]
	v_and_b32_e32 v6, 7, v19
; %bb.2160:                             ;   in Loop: Header=BB243_2086 Depth=1
	s_or_b32 exec_lo, exec_lo, s23
	v_lshlrev_b32_e32 v8, 24, v4
	v_lshlrev_b32_e32 v6, 20, v6
	v_lshl_add_u32 v5, v5, 23, 0x3c000000
	v_and_b32_e32 v8, 0x80000000, v8
	v_or3_b32 v6, v6, v8, v5
	v_mov_b32_e32 v20, v7
	v_mov_b32_e32 v19, v6
.LBB243_2161:                           ;   in Loop: Header=BB243_2086 Depth=1
	s_or_b32 exec_lo, exec_lo, s22
.LBB243_2162:                           ;   in Loop: Header=BB243_2086 Depth=1
	s_or_b32 exec_lo, exec_lo, s21
.LBB243_2163:                           ;   in Loop: Header=BB243_2086 Depth=1
	s_or_b32 exec_lo, exec_lo, s19
	v_cmp_ne_u16_sdwa s8, v4, v7 src0_sel:BYTE_1 src1_sel:DWORD
	s_and_saveexec_b32 s19, s8
	s_cbranch_execz .LBB243_2171
; %bb.2164:                             ;   in Loop: Header=BB243_2086 Depth=1
	v_mov_b32_e32 v8, v7
	v_mov_b32_e32 v22, v9
	v_cmp_ne_u16_sdwa s8, v4, v75 src0_sel:BYTE_1 src1_sel:DWORD
	v_mov_b32_e32 v21, v8
	s_and_saveexec_b32 s21, s8
	s_cbranch_execz .LBB243_2170
; %bb.2165:                             ;   in Loop: Header=BB243_2086 Depth=1
	v_mov_b32_e32 v5, 0xffff
	v_mov_b32_e32 v10, v7
	;; [unrolled: 1-line block ×3, first 2 shown]
	s_mov_b32 s22, exec_lo
	v_and_b32_sdwa v5, v5, v4 dst_sel:DWORD dst_unused:UNUSED_PAD src0_sel:DWORD src1_sel:BYTE_1
	v_mov_b32_e32 v21, v10
	v_and_b32_e32 v8, 0x7f, v5
	v_cmpx_ne_u32_e32 0x7f, v8
	s_cbranch_execz .LBB243_2169
; %bb.2166:                             ;   in Loop: Header=BB243_2086 Depth=1
	v_and_b32_e32 v6, 7, v5
	v_lshrrev_b32_e32 v5, 3, v8
	s_mov_b32 s23, exec_lo
	v_cmpx_gt_u32_e32 8, v8
; %bb.2167:                             ;   in Loop: Header=BB243_2086 Depth=1
	v_ffbh_u32_e32 v5, v6
	v_min_u32_e32 v5, 32, v5
	v_subrev_nc_u32_e32 v8, 28, v5
	v_sub_nc_u32_e32 v5, 29, v5
	v_lshlrev_b64 v[21:22], v8, v[6:7]
	v_and_b32_e32 v6, 7, v21
; %bb.2168:                             ;   in Loop: Header=BB243_2086 Depth=1
	s_or_b32 exec_lo, exec_lo, s23
	v_lshlrev_b32_e32 v8, 16, v4
	v_lshlrev_b32_e32 v6, 20, v6
	v_lshl_add_u32 v5, v5, 23, 0x3c000000
	v_mov_b32_e32 v21, v7
	v_and_b32_e32 v8, 0x80000000, v8
	v_or3_b32 v22, v6, v8, v5
.LBB243_2169:                           ;   in Loop: Header=BB243_2086 Depth=1
	s_or_b32 exec_lo, exec_lo, s22
.LBB243_2170:                           ;   in Loop: Header=BB243_2086 Depth=1
	s_or_b32 exec_lo, exec_lo, s21
.LBB243_2171:                           ;   in Loop: Header=BB243_2086 Depth=1
	s_or_b32 exec_lo, exec_lo, s19
	v_mov_b32_e32 v23, 0
	v_mov_b32_e32 v25, 0
	v_and_b32_sdwa v5, v4, v77 dst_sel:DWORD dst_unused:UNUSED_PAD src0_sel:WORD_1 src1_sel:DWORD
	v_mov_b32_e32 v24, 0
	v_mov_b32_e32 v26, 0
	s_mov_b32 s19, exec_lo
	v_cmpx_ne_u16_e32 0, v5
	s_cbranch_execz .LBB243_2179
; %bb.2172:                             ;   in Loop: Header=BB243_2086 Depth=1
	v_bfrev_b32_e32 v25, 1
	v_mov_b32_e32 v26, 0
	s_mov_b32 s21, exec_lo
	v_cmpx_ne_u16_e32 0x80, v5
	s_cbranch_execz .LBB243_2178
; %bb.2173:                             ;   in Loop: Header=BB243_2086 Depth=1
	v_mov_b32_e32 v25, 0x7f800001
	v_bfe_u32 v8, v4, 16, 7
	v_mov_b32_e32 v26, 0
	s_mov_b32 s22, exec_lo
	v_cmpx_ne_u32_e32 0x7f, v8
	s_cbranch_execz .LBB243_2177
; %bb.2174:                             ;   in Loop: Header=BB243_2086 Depth=1
	v_and_b32_sdwa v6, v4, v30 dst_sel:DWORD dst_unused:UNUSED_PAD src0_sel:WORD_1 src1_sel:DWORD
	v_lshrrev_b32_e32 v5, 3, v8
	s_mov_b32 s23, exec_lo
	v_cmpx_gt_u32_e32 8, v8
; %bb.2175:                             ;   in Loop: Header=BB243_2086 Depth=1
	v_ffbh_u32_e32 v5, v6
	v_min_u32_e32 v5, 32, v5
	v_subrev_nc_u32_e32 v8, 28, v5
	v_sub_nc_u32_e32 v5, 29, v5
	v_lshlrev_b64 v[25:26], v8, v[6:7]
	v_and_b32_e32 v6, 7, v25
; %bb.2176:                             ;   in Loop: Header=BB243_2086 Depth=1
	s_or_b32 exec_lo, exec_lo, s23
	v_lshlrev_b32_sdwa v8, v79, v4 dst_sel:DWORD dst_unused:UNUSED_PAD src0_sel:DWORD src1_sel:WORD_1
	v_lshlrev_b32_e32 v6, 20, v6
	v_lshl_add_u32 v5, v5, 23, 0x3c000000
	v_and_b32_e32 v8, 0x80000000, v8
	v_or3_b32 v6, v6, v8, v5
	v_mov_b32_e32 v26, v7
	v_mov_b32_e32 v25, v6
.LBB243_2177:                           ;   in Loop: Header=BB243_2086 Depth=1
	s_or_b32 exec_lo, exec_lo, s22
.LBB243_2178:                           ;   in Loop: Header=BB243_2086 Depth=1
	s_or_b32 exec_lo, exec_lo, s21
.LBB243_2179:                           ;   in Loop: Header=BB243_2086 Depth=1
	s_or_b32 exec_lo, exec_lo, s19
	s_mov_b32 s19, exec_lo
	v_cmpx_lt_u32_e32 0xffffff, v4
	s_cbranch_execz .LBB243_2187
; %bb.2180:                             ;   in Loop: Header=BB243_2086 Depth=1
	v_mov_b32_e32 v8, v7
	v_mov_b32_e32 v24, v9
	v_cmp_ne_u32_sdwa s8, v4, v75 src0_sel:BYTE_3 src1_sel:DWORD
	v_mov_b32_e32 v23, v8
	s_and_saveexec_b32 s21, s8
	s_cbranch_execz .LBB243_2186
; %bb.2181:                             ;   in Loop: Header=BB243_2086 Depth=1
	v_mov_b32_e32 v10, v7
	v_mov_b32_e32 v24, v11
	v_bfe_u32 v8, v4, 24, 7
	s_mov_b32 s22, exec_lo
	v_mov_b32_e32 v23, v10
	v_cmpx_ne_u32_e32 0x7f, v8
	s_cbranch_execz .LBB243_2185
; %bb.2182:                             ;   in Loop: Header=BB243_2086 Depth=1
	v_and_b32_sdwa v6, v4, v30 dst_sel:DWORD dst_unused:UNUSED_PAD src0_sel:BYTE_3 src1_sel:DWORD
	v_lshrrev_b32_e32 v5, 3, v8
	s_mov_b32 s23, exec_lo
	v_cmpx_gt_u32_e32 8, v8
; %bb.2183:                             ;   in Loop: Header=BB243_2086 Depth=1
	v_ffbh_u32_e32 v5, v6
	v_min_u32_e32 v5, 32, v5
	v_subrev_nc_u32_e32 v8, 28, v5
	v_sub_nc_u32_e32 v5, 29, v5
	v_lshlrev_b64 v[23:24], v8, v[6:7]
	v_and_b32_e32 v6, 7, v23
; %bb.2184:                             ;   in Loop: Header=BB243_2086 Depth=1
	s_or_b32 exec_lo, exec_lo, s23
	v_lshlrev_b32_sdwa v4, v79, v4 dst_sel:DWORD dst_unused:UNUSED_PAD src0_sel:DWORD src1_sel:BYTE_3
	v_lshlrev_b32_e32 v6, 20, v6
	v_lshl_add_u32 v5, v5, 23, 0x3c000000
	v_mov_b32_e32 v23, v7
	v_and_b32_e32 v4, 0x80000000, v4
	v_or3_b32 v24, v6, v4, v5
.LBB243_2185:                           ;   in Loop: Header=BB243_2086 Depth=1
	s_or_b32 exec_lo, exec_lo, s22
.LBB243_2186:                           ;   in Loop: Header=BB243_2086 Depth=1
	s_or_b32 exec_lo, exec_lo, s21
.LBB243_2187:                           ;   in Loop: Header=BB243_2086 Depth=1
	s_or_b32 exec_lo, exec_lo, s19
	v_or_b32_e32 v4, v22, v20
	v_or_b32_e32 v5, v21, v19
	;; [unrolled: 1-line block ×4, first 2 shown]
	v_mul_f32_e32 v4, v106, v4
	buffer_store_dword v4, off, s[0:3], s32 offset:324 ; 4-byte Folded Spill
	v_mul_f32_e32 v4, v106, v5
	buffer_store_dword v4, off, s[0:3], s32 offset:316 ; 4-byte Folded Spill
	;; [unrolled: 2-line block ×4, first 2 shown]
	s_and_saveexec_b32 s8, vcc_lo
	s_cbranch_execz .LBB243_2189
; %bb.2188:                             ;   in Loop: Header=BB243_2086 Depth=1
	buffer_load_dword v4, off, s[0:3], s32 offset:316 ; 4-byte Folded Reload
	s_waitcnt vmcnt(0)
	v_cndmask_b32_e64 v4, 0, v4, s4
	buffer_store_dword v4, off, s[0:3], s32 offset:316 ; 4-byte Folded Spill
	buffer_load_dword v4, off, s[0:3], s32 offset:324 ; 4-byte Folded Reload
	s_waitcnt vmcnt(0)
	v_cndmask_b32_e64 v4, 0, v4, s5
	buffer_store_dword v4, off, s[0:3], s32 offset:324 ; 4-byte Folded Spill
	;; [unrolled: 4-line block ×4, first 2 shown]
.LBB243_2189:                           ;   in Loop: Header=BB243_2086 Depth=1
	s_or_b32 exec_lo, exec_lo, s8
	flat_load_dword v4, v[17:18] offset:384
	v_mov_b32_e32 v21, 0
	v_mov_b32_e32 v19, 0
	;; [unrolled: 1-line block ×4, first 2 shown]
	s_waitcnt vmcnt(0) lgkmcnt(0)
	v_cmp_ne_u16_sdwa s8, v4, v7 src0_sel:BYTE_0 src1_sel:DWORD
	s_and_saveexec_b32 s19, s8
	s_cbranch_execz .LBB243_2197
; %bb.2190:                             ;   in Loop: Header=BB243_2086 Depth=1
	v_bfrev_b32_e32 v19, 1
	v_mov_b32_e32 v20, 0
	v_cmp_ne_u16_sdwa s8, v4, v75 src0_sel:BYTE_0 src1_sel:DWORD
	s_and_saveexec_b32 s21, s8
	s_cbranch_execz .LBB243_2196
; %bb.2191:                             ;   in Loop: Header=BB243_2086 Depth=1
	v_mov_b32_e32 v19, 0x7f800001
	v_and_b32_e32 v8, 0x7f, v4
	v_mov_b32_e32 v20, 0
	s_mov_b32 s22, exec_lo
	v_cmpx_ne_u32_e32 0x7f, v8
	s_cbranch_execz .LBB243_2195
; %bb.2192:                             ;   in Loop: Header=BB243_2086 Depth=1
	v_and_b32_e32 v6, 7, v4
	v_lshrrev_b32_e32 v5, 3, v8
	s_mov_b32 s23, exec_lo
	v_cmpx_gt_u32_e32 8, v8
; %bb.2193:                             ;   in Loop: Header=BB243_2086 Depth=1
	v_ffbh_u32_e32 v5, v6
	v_min_u32_e32 v5, 32, v5
	v_subrev_nc_u32_e32 v8, 28, v5
	v_sub_nc_u32_e32 v5, 29, v5
	v_lshlrev_b64 v[19:20], v8, v[6:7]
	v_and_b32_e32 v6, 7, v19
; %bb.2194:                             ;   in Loop: Header=BB243_2086 Depth=1
	s_or_b32 exec_lo, exec_lo, s23
	v_lshlrev_b32_e32 v8, 24, v4
	v_lshlrev_b32_e32 v6, 20, v6
	v_lshl_add_u32 v5, v5, 23, 0x3c000000
	v_and_b32_e32 v8, 0x80000000, v8
	v_or3_b32 v6, v6, v8, v5
	v_mov_b32_e32 v20, v7
	v_mov_b32_e32 v19, v6
.LBB243_2195:                           ;   in Loop: Header=BB243_2086 Depth=1
	s_or_b32 exec_lo, exec_lo, s22
.LBB243_2196:                           ;   in Loop: Header=BB243_2086 Depth=1
	s_or_b32 exec_lo, exec_lo, s21
.LBB243_2197:                           ;   in Loop: Header=BB243_2086 Depth=1
	s_or_b32 exec_lo, exec_lo, s19
	v_cmp_ne_u16_sdwa s8, v4, v7 src0_sel:BYTE_1 src1_sel:DWORD
	s_and_saveexec_b32 s19, s8
	s_cbranch_execz .LBB243_2205
; %bb.2198:                             ;   in Loop: Header=BB243_2086 Depth=1
	v_mov_b32_e32 v8, v7
	v_mov_b32_e32 v22, v9
	v_cmp_ne_u16_sdwa s8, v4, v75 src0_sel:BYTE_1 src1_sel:DWORD
	v_mov_b32_e32 v21, v8
	s_and_saveexec_b32 s21, s8
	s_cbranch_execz .LBB243_2204
; %bb.2199:                             ;   in Loop: Header=BB243_2086 Depth=1
	v_mov_b32_e32 v5, 0xffff
	v_mov_b32_e32 v10, v7
	v_mov_b32_e32 v22, v11
	s_mov_b32 s22, exec_lo
	v_and_b32_sdwa v5, v5, v4 dst_sel:DWORD dst_unused:UNUSED_PAD src0_sel:DWORD src1_sel:BYTE_1
	v_mov_b32_e32 v21, v10
	v_and_b32_e32 v8, 0x7f, v5
	v_cmpx_ne_u32_e32 0x7f, v8
	s_cbranch_execz .LBB243_2203
; %bb.2200:                             ;   in Loop: Header=BB243_2086 Depth=1
	v_and_b32_e32 v6, 7, v5
	v_lshrrev_b32_e32 v5, 3, v8
	s_mov_b32 s23, exec_lo
	v_cmpx_gt_u32_e32 8, v8
; %bb.2201:                             ;   in Loop: Header=BB243_2086 Depth=1
	v_ffbh_u32_e32 v5, v6
	v_min_u32_e32 v5, 32, v5
	v_subrev_nc_u32_e32 v8, 28, v5
	v_sub_nc_u32_e32 v5, 29, v5
	v_lshlrev_b64 v[21:22], v8, v[6:7]
	v_and_b32_e32 v6, 7, v21
; %bb.2202:                             ;   in Loop: Header=BB243_2086 Depth=1
	s_or_b32 exec_lo, exec_lo, s23
	v_lshlrev_b32_e32 v8, 16, v4
	v_lshlrev_b32_e32 v6, 20, v6
	v_lshl_add_u32 v5, v5, 23, 0x3c000000
	v_mov_b32_e32 v21, v7
	v_and_b32_e32 v8, 0x80000000, v8
	v_or3_b32 v22, v6, v8, v5
.LBB243_2203:                           ;   in Loop: Header=BB243_2086 Depth=1
	s_or_b32 exec_lo, exec_lo, s22
.LBB243_2204:                           ;   in Loop: Header=BB243_2086 Depth=1
	s_or_b32 exec_lo, exec_lo, s21
.LBB243_2205:                           ;   in Loop: Header=BB243_2086 Depth=1
	s_or_b32 exec_lo, exec_lo, s19
	v_mov_b32_e32 v23, 0
	v_mov_b32_e32 v25, 0
	v_and_b32_sdwa v5, v4, v77 dst_sel:DWORD dst_unused:UNUSED_PAD src0_sel:WORD_1 src1_sel:DWORD
	v_mov_b32_e32 v24, 0
	v_mov_b32_e32 v26, 0
	s_mov_b32 s19, exec_lo
	v_cmpx_ne_u16_e32 0, v5
	s_cbranch_execz .LBB243_2213
; %bb.2206:                             ;   in Loop: Header=BB243_2086 Depth=1
	v_bfrev_b32_e32 v25, 1
	v_mov_b32_e32 v26, 0
	s_mov_b32 s21, exec_lo
	v_cmpx_ne_u16_e32 0x80, v5
	s_cbranch_execz .LBB243_2212
; %bb.2207:                             ;   in Loop: Header=BB243_2086 Depth=1
	v_mov_b32_e32 v25, 0x7f800001
	v_bfe_u32 v8, v4, 16, 7
	v_mov_b32_e32 v26, 0
	s_mov_b32 s22, exec_lo
	v_cmpx_ne_u32_e32 0x7f, v8
	s_cbranch_execz .LBB243_2211
; %bb.2208:                             ;   in Loop: Header=BB243_2086 Depth=1
	v_and_b32_sdwa v6, v4, v30 dst_sel:DWORD dst_unused:UNUSED_PAD src0_sel:WORD_1 src1_sel:DWORD
	v_lshrrev_b32_e32 v5, 3, v8
	s_mov_b32 s23, exec_lo
	v_cmpx_gt_u32_e32 8, v8
; %bb.2209:                             ;   in Loop: Header=BB243_2086 Depth=1
	v_ffbh_u32_e32 v5, v6
	v_min_u32_e32 v5, 32, v5
	v_subrev_nc_u32_e32 v8, 28, v5
	v_sub_nc_u32_e32 v5, 29, v5
	v_lshlrev_b64 v[25:26], v8, v[6:7]
	v_and_b32_e32 v6, 7, v25
; %bb.2210:                             ;   in Loop: Header=BB243_2086 Depth=1
	s_or_b32 exec_lo, exec_lo, s23
	v_lshlrev_b32_sdwa v8, v79, v4 dst_sel:DWORD dst_unused:UNUSED_PAD src0_sel:DWORD src1_sel:WORD_1
	v_lshlrev_b32_e32 v6, 20, v6
	v_lshl_add_u32 v5, v5, 23, 0x3c000000
	v_and_b32_e32 v8, 0x80000000, v8
	v_or3_b32 v6, v6, v8, v5
	v_mov_b32_e32 v26, v7
	v_mov_b32_e32 v25, v6
.LBB243_2211:                           ;   in Loop: Header=BB243_2086 Depth=1
	s_or_b32 exec_lo, exec_lo, s22
.LBB243_2212:                           ;   in Loop: Header=BB243_2086 Depth=1
	s_or_b32 exec_lo, exec_lo, s21
.LBB243_2213:                           ;   in Loop: Header=BB243_2086 Depth=1
	s_or_b32 exec_lo, exec_lo, s19
	s_mov_b32 s19, exec_lo
	v_cmpx_lt_u32_e32 0xffffff, v4
	s_cbranch_execz .LBB243_2221
; %bb.2214:                             ;   in Loop: Header=BB243_2086 Depth=1
	v_mov_b32_e32 v8, v7
	v_mov_b32_e32 v24, v9
	v_cmp_ne_u32_sdwa s8, v4, v75 src0_sel:BYTE_3 src1_sel:DWORD
	v_mov_b32_e32 v23, v8
	s_and_saveexec_b32 s21, s8
	s_cbranch_execz .LBB243_2220
; %bb.2215:                             ;   in Loop: Header=BB243_2086 Depth=1
	v_mov_b32_e32 v10, v7
	v_mov_b32_e32 v24, v11
	v_bfe_u32 v8, v4, 24, 7
	s_mov_b32 s22, exec_lo
	v_mov_b32_e32 v23, v10
	v_cmpx_ne_u32_e32 0x7f, v8
	s_cbranch_execz .LBB243_2219
; %bb.2216:                             ;   in Loop: Header=BB243_2086 Depth=1
	v_and_b32_sdwa v6, v4, v30 dst_sel:DWORD dst_unused:UNUSED_PAD src0_sel:BYTE_3 src1_sel:DWORD
	v_lshrrev_b32_e32 v5, 3, v8
	s_mov_b32 s23, exec_lo
	v_cmpx_gt_u32_e32 8, v8
; %bb.2217:                             ;   in Loop: Header=BB243_2086 Depth=1
	v_ffbh_u32_e32 v5, v6
	v_min_u32_e32 v5, 32, v5
	v_subrev_nc_u32_e32 v8, 28, v5
	v_sub_nc_u32_e32 v5, 29, v5
	v_lshlrev_b64 v[23:24], v8, v[6:7]
	v_and_b32_e32 v6, 7, v23
; %bb.2218:                             ;   in Loop: Header=BB243_2086 Depth=1
	s_or_b32 exec_lo, exec_lo, s23
	v_lshlrev_b32_sdwa v4, v79, v4 dst_sel:DWORD dst_unused:UNUSED_PAD src0_sel:DWORD src1_sel:BYTE_3
	v_lshlrev_b32_e32 v6, 20, v6
	v_lshl_add_u32 v5, v5, 23, 0x3c000000
	v_mov_b32_e32 v23, v7
	v_and_b32_e32 v4, 0x80000000, v4
	v_or3_b32 v24, v6, v4, v5
.LBB243_2219:                           ;   in Loop: Header=BB243_2086 Depth=1
	s_or_b32 exec_lo, exec_lo, s22
.LBB243_2220:                           ;   in Loop: Header=BB243_2086 Depth=1
	s_or_b32 exec_lo, exec_lo, s21
.LBB243_2221:                           ;   in Loop: Header=BB243_2086 Depth=1
	s_or_b32 exec_lo, exec_lo, s19
	v_or_b32_e32 v4, v22, v20
	v_or_b32_e32 v5, v21, v19
	;; [unrolled: 1-line block ×4, first 2 shown]
	v_mul_f32_e32 v4, v106, v4
	buffer_store_dword v4, off, s[0:3], s32 offset:356 ; 4-byte Folded Spill
	v_mul_f32_e32 v4, v106, v5
	buffer_store_dword v4, off, s[0:3], s32 offset:348 ; 4-byte Folded Spill
	;; [unrolled: 2-line block ×4, first 2 shown]
	s_and_saveexec_b32 s8, vcc_lo
	s_cbranch_execz .LBB243_2223
; %bb.2222:                             ;   in Loop: Header=BB243_2086 Depth=1
	buffer_load_dword v4, off, s[0:3], s32 offset:348 ; 4-byte Folded Reload
	s_waitcnt vmcnt(0)
	v_cndmask_b32_e64 v4, 0, v4, s4
	buffer_store_dword v4, off, s[0:3], s32 offset:348 ; 4-byte Folded Spill
	buffer_load_dword v4, off, s[0:3], s32 offset:356 ; 4-byte Folded Reload
	s_waitcnt vmcnt(0)
	v_cndmask_b32_e64 v4, 0, v4, s5
	buffer_store_dword v4, off, s[0:3], s32 offset:356 ; 4-byte Folded Spill
	buffer_load_dword v4, off, s[0:3], s32 offset:340 ; 4-byte Folded Reload
	s_waitcnt vmcnt(0)
	v_cndmask_b32_e64 v4, 0, v4, s6
	buffer_store_dword v4, off, s[0:3], s32 offset:340 ; 4-byte Folded Spill
	buffer_load_dword v4, off, s[0:3], s32 offset:332 ; 4-byte Folded Reload
	s_waitcnt vmcnt(0)
	v_cndmask_b32_e64 v4, 0, v4, s7
	buffer_store_dword v4, off, s[0:3], s32 offset:332 ; 4-byte Folded Spill
.LBB243_2223:                           ;   in Loop: Header=BB243_2086 Depth=1
	s_or_b32 exec_lo, exec_lo, s8
	flat_load_dword v4, v[17:18] offset:512
	v_mov_b32_e32 v21, 0
	v_mov_b32_e32 v19, 0
	;; [unrolled: 1-line block ×4, first 2 shown]
	s_waitcnt vmcnt(0) lgkmcnt(0)
	v_cmp_ne_u16_sdwa s8, v4, v7 src0_sel:BYTE_0 src1_sel:DWORD
	s_and_saveexec_b32 s19, s8
	s_cbranch_execz .LBB243_2231
; %bb.2224:                             ;   in Loop: Header=BB243_2086 Depth=1
	v_bfrev_b32_e32 v19, 1
	v_mov_b32_e32 v20, 0
	v_cmp_ne_u16_sdwa s8, v4, v75 src0_sel:BYTE_0 src1_sel:DWORD
	s_and_saveexec_b32 s21, s8
	s_cbranch_execz .LBB243_2230
; %bb.2225:                             ;   in Loop: Header=BB243_2086 Depth=1
	v_mov_b32_e32 v19, 0x7f800001
	v_and_b32_e32 v8, 0x7f, v4
	v_mov_b32_e32 v20, 0
	s_mov_b32 s22, exec_lo
	v_cmpx_ne_u32_e32 0x7f, v8
	s_cbranch_execz .LBB243_2229
; %bb.2226:                             ;   in Loop: Header=BB243_2086 Depth=1
	v_and_b32_e32 v6, 7, v4
	v_lshrrev_b32_e32 v5, 3, v8
	s_mov_b32 s23, exec_lo
	v_cmpx_gt_u32_e32 8, v8
; %bb.2227:                             ;   in Loop: Header=BB243_2086 Depth=1
	v_ffbh_u32_e32 v5, v6
	v_min_u32_e32 v5, 32, v5
	v_subrev_nc_u32_e32 v8, 28, v5
	v_sub_nc_u32_e32 v5, 29, v5
	v_lshlrev_b64 v[19:20], v8, v[6:7]
	v_and_b32_e32 v6, 7, v19
; %bb.2228:                             ;   in Loop: Header=BB243_2086 Depth=1
	s_or_b32 exec_lo, exec_lo, s23
	v_lshlrev_b32_e32 v8, 24, v4
	v_lshlrev_b32_e32 v6, 20, v6
	v_lshl_add_u32 v5, v5, 23, 0x3c000000
	v_and_b32_e32 v8, 0x80000000, v8
	v_or3_b32 v6, v6, v8, v5
	v_mov_b32_e32 v20, v7
	v_mov_b32_e32 v19, v6
.LBB243_2229:                           ;   in Loop: Header=BB243_2086 Depth=1
	s_or_b32 exec_lo, exec_lo, s22
.LBB243_2230:                           ;   in Loop: Header=BB243_2086 Depth=1
	s_or_b32 exec_lo, exec_lo, s21
.LBB243_2231:                           ;   in Loop: Header=BB243_2086 Depth=1
	s_or_b32 exec_lo, exec_lo, s19
	v_cmp_ne_u16_sdwa s8, v4, v7 src0_sel:BYTE_1 src1_sel:DWORD
	s_and_saveexec_b32 s19, s8
	s_cbranch_execz .LBB243_2239
; %bb.2232:                             ;   in Loop: Header=BB243_2086 Depth=1
	v_mov_b32_e32 v8, v7
	v_mov_b32_e32 v22, v9
	v_cmp_ne_u16_sdwa s8, v4, v75 src0_sel:BYTE_1 src1_sel:DWORD
	v_mov_b32_e32 v21, v8
	s_and_saveexec_b32 s21, s8
	s_cbranch_execz .LBB243_2238
; %bb.2233:                             ;   in Loop: Header=BB243_2086 Depth=1
	v_mov_b32_e32 v5, 0xffff
	v_mov_b32_e32 v10, v7
	;; [unrolled: 1-line block ×3, first 2 shown]
	s_mov_b32 s22, exec_lo
	v_and_b32_sdwa v5, v5, v4 dst_sel:DWORD dst_unused:UNUSED_PAD src0_sel:DWORD src1_sel:BYTE_1
	v_mov_b32_e32 v21, v10
	v_and_b32_e32 v8, 0x7f, v5
	v_cmpx_ne_u32_e32 0x7f, v8
	s_cbranch_execz .LBB243_2237
; %bb.2234:                             ;   in Loop: Header=BB243_2086 Depth=1
	v_and_b32_e32 v6, 7, v5
	v_lshrrev_b32_e32 v5, 3, v8
	s_mov_b32 s23, exec_lo
	v_cmpx_gt_u32_e32 8, v8
; %bb.2235:                             ;   in Loop: Header=BB243_2086 Depth=1
	v_ffbh_u32_e32 v5, v6
	v_min_u32_e32 v5, 32, v5
	v_subrev_nc_u32_e32 v8, 28, v5
	v_sub_nc_u32_e32 v5, 29, v5
	v_lshlrev_b64 v[21:22], v8, v[6:7]
	v_and_b32_e32 v6, 7, v21
; %bb.2236:                             ;   in Loop: Header=BB243_2086 Depth=1
	s_or_b32 exec_lo, exec_lo, s23
	v_lshlrev_b32_e32 v8, 16, v4
	v_lshlrev_b32_e32 v6, 20, v6
	v_lshl_add_u32 v5, v5, 23, 0x3c000000
	v_mov_b32_e32 v21, v7
	v_and_b32_e32 v8, 0x80000000, v8
	v_or3_b32 v22, v6, v8, v5
.LBB243_2237:                           ;   in Loop: Header=BB243_2086 Depth=1
	s_or_b32 exec_lo, exec_lo, s22
.LBB243_2238:                           ;   in Loop: Header=BB243_2086 Depth=1
	s_or_b32 exec_lo, exec_lo, s21
.LBB243_2239:                           ;   in Loop: Header=BB243_2086 Depth=1
	s_or_b32 exec_lo, exec_lo, s19
	v_mov_b32_e32 v23, 0
	v_mov_b32_e32 v25, 0
	v_and_b32_sdwa v5, v4, v77 dst_sel:DWORD dst_unused:UNUSED_PAD src0_sel:WORD_1 src1_sel:DWORD
	v_mov_b32_e32 v24, 0
	v_mov_b32_e32 v26, 0
	s_mov_b32 s19, exec_lo
	v_cmpx_ne_u16_e32 0, v5
	s_cbranch_execz .LBB243_2247
; %bb.2240:                             ;   in Loop: Header=BB243_2086 Depth=1
	v_bfrev_b32_e32 v25, 1
	v_mov_b32_e32 v26, 0
	s_mov_b32 s21, exec_lo
	v_cmpx_ne_u16_e32 0x80, v5
	s_cbranch_execz .LBB243_2246
; %bb.2241:                             ;   in Loop: Header=BB243_2086 Depth=1
	v_mov_b32_e32 v25, 0x7f800001
	v_bfe_u32 v8, v4, 16, 7
	v_mov_b32_e32 v26, 0
	s_mov_b32 s22, exec_lo
	v_cmpx_ne_u32_e32 0x7f, v8
	s_cbranch_execz .LBB243_2245
; %bb.2242:                             ;   in Loop: Header=BB243_2086 Depth=1
	v_and_b32_sdwa v6, v4, v30 dst_sel:DWORD dst_unused:UNUSED_PAD src0_sel:WORD_1 src1_sel:DWORD
	v_lshrrev_b32_e32 v5, 3, v8
	s_mov_b32 s23, exec_lo
	v_cmpx_gt_u32_e32 8, v8
; %bb.2243:                             ;   in Loop: Header=BB243_2086 Depth=1
	v_ffbh_u32_e32 v5, v6
	v_min_u32_e32 v5, 32, v5
	v_subrev_nc_u32_e32 v8, 28, v5
	v_sub_nc_u32_e32 v5, 29, v5
	v_lshlrev_b64 v[25:26], v8, v[6:7]
	v_and_b32_e32 v6, 7, v25
; %bb.2244:                             ;   in Loop: Header=BB243_2086 Depth=1
	s_or_b32 exec_lo, exec_lo, s23
	v_lshlrev_b32_sdwa v8, v79, v4 dst_sel:DWORD dst_unused:UNUSED_PAD src0_sel:DWORD src1_sel:WORD_1
	v_lshlrev_b32_e32 v6, 20, v6
	v_lshl_add_u32 v5, v5, 23, 0x3c000000
	v_and_b32_e32 v8, 0x80000000, v8
	v_or3_b32 v6, v6, v8, v5
	v_mov_b32_e32 v26, v7
	v_mov_b32_e32 v25, v6
.LBB243_2245:                           ;   in Loop: Header=BB243_2086 Depth=1
	s_or_b32 exec_lo, exec_lo, s22
.LBB243_2246:                           ;   in Loop: Header=BB243_2086 Depth=1
	s_or_b32 exec_lo, exec_lo, s21
.LBB243_2247:                           ;   in Loop: Header=BB243_2086 Depth=1
	s_or_b32 exec_lo, exec_lo, s19
	s_mov_b32 s19, exec_lo
	v_cmpx_lt_u32_e32 0xffffff, v4
	s_cbranch_execz .LBB243_2255
; %bb.2248:                             ;   in Loop: Header=BB243_2086 Depth=1
	v_mov_b32_e32 v8, v7
	v_mov_b32_e32 v24, v9
	v_cmp_ne_u32_sdwa s8, v4, v75 src0_sel:BYTE_3 src1_sel:DWORD
	v_mov_b32_e32 v23, v8
	s_and_saveexec_b32 s21, s8
	s_cbranch_execz .LBB243_2254
; %bb.2249:                             ;   in Loop: Header=BB243_2086 Depth=1
	v_mov_b32_e32 v10, v7
	v_mov_b32_e32 v24, v11
	v_bfe_u32 v8, v4, 24, 7
	s_mov_b32 s22, exec_lo
	v_mov_b32_e32 v23, v10
	v_cmpx_ne_u32_e32 0x7f, v8
	s_cbranch_execz .LBB243_2253
; %bb.2250:                             ;   in Loop: Header=BB243_2086 Depth=1
	v_and_b32_sdwa v6, v4, v30 dst_sel:DWORD dst_unused:UNUSED_PAD src0_sel:BYTE_3 src1_sel:DWORD
	v_lshrrev_b32_e32 v5, 3, v8
	s_mov_b32 s23, exec_lo
	v_cmpx_gt_u32_e32 8, v8
; %bb.2251:                             ;   in Loop: Header=BB243_2086 Depth=1
	v_ffbh_u32_e32 v5, v6
	v_min_u32_e32 v5, 32, v5
	v_subrev_nc_u32_e32 v8, 28, v5
	v_sub_nc_u32_e32 v5, 29, v5
	v_lshlrev_b64 v[23:24], v8, v[6:7]
	v_and_b32_e32 v6, 7, v23
; %bb.2252:                             ;   in Loop: Header=BB243_2086 Depth=1
	s_or_b32 exec_lo, exec_lo, s23
	v_lshlrev_b32_sdwa v4, v79, v4 dst_sel:DWORD dst_unused:UNUSED_PAD src0_sel:DWORD src1_sel:BYTE_3
	v_lshlrev_b32_e32 v6, 20, v6
	v_lshl_add_u32 v5, v5, 23, 0x3c000000
	v_mov_b32_e32 v23, v7
	v_and_b32_e32 v4, 0x80000000, v4
	v_or3_b32 v24, v6, v4, v5
.LBB243_2253:                           ;   in Loop: Header=BB243_2086 Depth=1
	s_or_b32 exec_lo, exec_lo, s22
.LBB243_2254:                           ;   in Loop: Header=BB243_2086 Depth=1
	s_or_b32 exec_lo, exec_lo, s21
.LBB243_2255:                           ;   in Loop: Header=BB243_2086 Depth=1
	s_or_b32 exec_lo, exec_lo, s19
	v_or_b32_e32 v4, v22, v20
	v_or_b32_e32 v5, v21, v19
	;; [unrolled: 1-line block ×4, first 2 shown]
	v_mul_f32_e32 v4, v106, v4
	buffer_store_dword v4, off, s[0:3], s32 offset:388 ; 4-byte Folded Spill
	v_mul_f32_e32 v4, v106, v5
	buffer_store_dword v4, off, s[0:3], s32 offset:380 ; 4-byte Folded Spill
	;; [unrolled: 2-line block ×4, first 2 shown]
	s_and_saveexec_b32 s8, vcc_lo
	s_cbranch_execz .LBB243_2257
; %bb.2256:                             ;   in Loop: Header=BB243_2086 Depth=1
	buffer_load_dword v4, off, s[0:3], s32 offset:380 ; 4-byte Folded Reload
	s_waitcnt vmcnt(0)
	v_cndmask_b32_e64 v4, 0, v4, s4
	buffer_store_dword v4, off, s[0:3], s32 offset:380 ; 4-byte Folded Spill
	buffer_load_dword v4, off, s[0:3], s32 offset:388 ; 4-byte Folded Reload
	s_waitcnt vmcnt(0)
	v_cndmask_b32_e64 v4, 0, v4, s5
	buffer_store_dword v4, off, s[0:3], s32 offset:388 ; 4-byte Folded Spill
	;; [unrolled: 4-line block ×4, first 2 shown]
.LBB243_2257:                           ;   in Loop: Header=BB243_2086 Depth=1
	s_or_b32 exec_lo, exec_lo, s8
	flat_load_dword v4, v[17:18] offset:640
	v_mov_b32_e32 v21, 0
	v_mov_b32_e32 v19, 0
	;; [unrolled: 1-line block ×4, first 2 shown]
	s_waitcnt vmcnt(0) lgkmcnt(0)
	v_cmp_ne_u16_sdwa s8, v4, v7 src0_sel:BYTE_0 src1_sel:DWORD
	s_and_saveexec_b32 s19, s8
	s_cbranch_execz .LBB243_2265
; %bb.2258:                             ;   in Loop: Header=BB243_2086 Depth=1
	v_bfrev_b32_e32 v19, 1
	v_mov_b32_e32 v20, 0
	v_cmp_ne_u16_sdwa s8, v4, v75 src0_sel:BYTE_0 src1_sel:DWORD
	s_and_saveexec_b32 s21, s8
	s_cbranch_execz .LBB243_2264
; %bb.2259:                             ;   in Loop: Header=BB243_2086 Depth=1
	v_mov_b32_e32 v19, 0x7f800001
	v_and_b32_e32 v8, 0x7f, v4
	v_mov_b32_e32 v20, 0
	s_mov_b32 s22, exec_lo
	v_cmpx_ne_u32_e32 0x7f, v8
	s_cbranch_execz .LBB243_2263
; %bb.2260:                             ;   in Loop: Header=BB243_2086 Depth=1
	v_and_b32_e32 v6, 7, v4
	v_lshrrev_b32_e32 v5, 3, v8
	s_mov_b32 s23, exec_lo
	v_cmpx_gt_u32_e32 8, v8
; %bb.2261:                             ;   in Loop: Header=BB243_2086 Depth=1
	v_ffbh_u32_e32 v5, v6
	v_min_u32_e32 v5, 32, v5
	v_subrev_nc_u32_e32 v8, 28, v5
	v_sub_nc_u32_e32 v5, 29, v5
	v_lshlrev_b64 v[19:20], v8, v[6:7]
	v_and_b32_e32 v6, 7, v19
; %bb.2262:                             ;   in Loop: Header=BB243_2086 Depth=1
	s_or_b32 exec_lo, exec_lo, s23
	v_lshlrev_b32_e32 v8, 24, v4
	v_lshlrev_b32_e32 v6, 20, v6
	v_lshl_add_u32 v5, v5, 23, 0x3c000000
	v_and_b32_e32 v8, 0x80000000, v8
	v_or3_b32 v6, v6, v8, v5
	v_mov_b32_e32 v20, v7
	v_mov_b32_e32 v19, v6
.LBB243_2263:                           ;   in Loop: Header=BB243_2086 Depth=1
	s_or_b32 exec_lo, exec_lo, s22
.LBB243_2264:                           ;   in Loop: Header=BB243_2086 Depth=1
	s_or_b32 exec_lo, exec_lo, s21
.LBB243_2265:                           ;   in Loop: Header=BB243_2086 Depth=1
	s_or_b32 exec_lo, exec_lo, s19
	v_cmp_ne_u16_sdwa s8, v4, v7 src0_sel:BYTE_1 src1_sel:DWORD
	s_and_saveexec_b32 s19, s8
	s_cbranch_execz .LBB243_2273
; %bb.2266:                             ;   in Loop: Header=BB243_2086 Depth=1
	v_mov_b32_e32 v8, v7
	v_mov_b32_e32 v22, v9
	v_cmp_ne_u16_sdwa s8, v4, v75 src0_sel:BYTE_1 src1_sel:DWORD
	v_mov_b32_e32 v21, v8
	s_and_saveexec_b32 s21, s8
	s_cbranch_execz .LBB243_2272
; %bb.2267:                             ;   in Loop: Header=BB243_2086 Depth=1
	v_mov_b32_e32 v5, 0xffff
	v_mov_b32_e32 v10, v7
	;; [unrolled: 1-line block ×3, first 2 shown]
	s_mov_b32 s22, exec_lo
	v_and_b32_sdwa v5, v5, v4 dst_sel:DWORD dst_unused:UNUSED_PAD src0_sel:DWORD src1_sel:BYTE_1
	v_mov_b32_e32 v21, v10
	v_and_b32_e32 v8, 0x7f, v5
	v_cmpx_ne_u32_e32 0x7f, v8
	s_cbranch_execz .LBB243_2271
; %bb.2268:                             ;   in Loop: Header=BB243_2086 Depth=1
	v_and_b32_e32 v6, 7, v5
	v_lshrrev_b32_e32 v5, 3, v8
	s_mov_b32 s23, exec_lo
	v_cmpx_gt_u32_e32 8, v8
; %bb.2269:                             ;   in Loop: Header=BB243_2086 Depth=1
	v_ffbh_u32_e32 v5, v6
	v_min_u32_e32 v5, 32, v5
	v_subrev_nc_u32_e32 v8, 28, v5
	v_sub_nc_u32_e32 v5, 29, v5
	v_lshlrev_b64 v[21:22], v8, v[6:7]
	v_and_b32_e32 v6, 7, v21
; %bb.2270:                             ;   in Loop: Header=BB243_2086 Depth=1
	s_or_b32 exec_lo, exec_lo, s23
	v_lshlrev_b32_e32 v8, 16, v4
	v_lshlrev_b32_e32 v6, 20, v6
	v_lshl_add_u32 v5, v5, 23, 0x3c000000
	v_mov_b32_e32 v21, v7
	v_and_b32_e32 v8, 0x80000000, v8
	v_or3_b32 v22, v6, v8, v5
.LBB243_2271:                           ;   in Loop: Header=BB243_2086 Depth=1
	s_or_b32 exec_lo, exec_lo, s22
.LBB243_2272:                           ;   in Loop: Header=BB243_2086 Depth=1
	s_or_b32 exec_lo, exec_lo, s21
.LBB243_2273:                           ;   in Loop: Header=BB243_2086 Depth=1
	s_or_b32 exec_lo, exec_lo, s19
	v_mov_b32_e32 v23, 0
	v_mov_b32_e32 v25, 0
	v_and_b32_sdwa v5, v4, v77 dst_sel:DWORD dst_unused:UNUSED_PAD src0_sel:WORD_1 src1_sel:DWORD
	v_mov_b32_e32 v24, 0
	v_mov_b32_e32 v26, 0
	s_mov_b32 s19, exec_lo
	v_cmpx_ne_u16_e32 0, v5
	s_cbranch_execz .LBB243_2281
; %bb.2274:                             ;   in Loop: Header=BB243_2086 Depth=1
	v_bfrev_b32_e32 v25, 1
	v_mov_b32_e32 v26, 0
	s_mov_b32 s21, exec_lo
	v_cmpx_ne_u16_e32 0x80, v5
	s_cbranch_execz .LBB243_2280
; %bb.2275:                             ;   in Loop: Header=BB243_2086 Depth=1
	v_mov_b32_e32 v25, 0x7f800001
	v_bfe_u32 v8, v4, 16, 7
	v_mov_b32_e32 v26, 0
	s_mov_b32 s22, exec_lo
	v_cmpx_ne_u32_e32 0x7f, v8
	s_cbranch_execz .LBB243_2279
; %bb.2276:                             ;   in Loop: Header=BB243_2086 Depth=1
	v_and_b32_sdwa v6, v4, v30 dst_sel:DWORD dst_unused:UNUSED_PAD src0_sel:WORD_1 src1_sel:DWORD
	v_lshrrev_b32_e32 v5, 3, v8
	s_mov_b32 s23, exec_lo
	v_cmpx_gt_u32_e32 8, v8
; %bb.2277:                             ;   in Loop: Header=BB243_2086 Depth=1
	v_ffbh_u32_e32 v5, v6
	v_min_u32_e32 v5, 32, v5
	v_subrev_nc_u32_e32 v8, 28, v5
	v_sub_nc_u32_e32 v5, 29, v5
	v_lshlrev_b64 v[25:26], v8, v[6:7]
	v_and_b32_e32 v6, 7, v25
; %bb.2278:                             ;   in Loop: Header=BB243_2086 Depth=1
	s_or_b32 exec_lo, exec_lo, s23
	v_lshlrev_b32_sdwa v8, v79, v4 dst_sel:DWORD dst_unused:UNUSED_PAD src0_sel:DWORD src1_sel:WORD_1
	v_lshlrev_b32_e32 v6, 20, v6
	v_lshl_add_u32 v5, v5, 23, 0x3c000000
	v_and_b32_e32 v8, 0x80000000, v8
	v_or3_b32 v6, v6, v8, v5
	v_mov_b32_e32 v26, v7
	v_mov_b32_e32 v25, v6
.LBB243_2279:                           ;   in Loop: Header=BB243_2086 Depth=1
	s_or_b32 exec_lo, exec_lo, s22
.LBB243_2280:                           ;   in Loop: Header=BB243_2086 Depth=1
	s_or_b32 exec_lo, exec_lo, s21
.LBB243_2281:                           ;   in Loop: Header=BB243_2086 Depth=1
	s_or_b32 exec_lo, exec_lo, s19
	s_mov_b32 s19, exec_lo
	v_cmpx_lt_u32_e32 0xffffff, v4
	s_cbranch_execz .LBB243_2289
; %bb.2282:                             ;   in Loop: Header=BB243_2086 Depth=1
	v_mov_b32_e32 v8, v7
	v_mov_b32_e32 v24, v9
	v_cmp_ne_u32_sdwa s8, v4, v75 src0_sel:BYTE_3 src1_sel:DWORD
	v_mov_b32_e32 v23, v8
	s_and_saveexec_b32 s21, s8
	s_cbranch_execz .LBB243_2288
; %bb.2283:                             ;   in Loop: Header=BB243_2086 Depth=1
	v_mov_b32_e32 v10, v7
	v_mov_b32_e32 v24, v11
	v_bfe_u32 v8, v4, 24, 7
	s_mov_b32 s22, exec_lo
	v_mov_b32_e32 v23, v10
	v_cmpx_ne_u32_e32 0x7f, v8
	s_cbranch_execz .LBB243_2287
; %bb.2284:                             ;   in Loop: Header=BB243_2086 Depth=1
	v_and_b32_sdwa v6, v4, v30 dst_sel:DWORD dst_unused:UNUSED_PAD src0_sel:BYTE_3 src1_sel:DWORD
	v_lshrrev_b32_e32 v5, 3, v8
	s_mov_b32 s23, exec_lo
	v_cmpx_gt_u32_e32 8, v8
; %bb.2285:                             ;   in Loop: Header=BB243_2086 Depth=1
	v_ffbh_u32_e32 v5, v6
	v_min_u32_e32 v5, 32, v5
	v_subrev_nc_u32_e32 v8, 28, v5
	v_sub_nc_u32_e32 v5, 29, v5
	v_lshlrev_b64 v[23:24], v8, v[6:7]
	v_and_b32_e32 v6, 7, v23
; %bb.2286:                             ;   in Loop: Header=BB243_2086 Depth=1
	s_or_b32 exec_lo, exec_lo, s23
	v_lshlrev_b32_sdwa v4, v79, v4 dst_sel:DWORD dst_unused:UNUSED_PAD src0_sel:DWORD src1_sel:BYTE_3
	v_lshlrev_b32_e32 v6, 20, v6
	v_lshl_add_u32 v5, v5, 23, 0x3c000000
	v_mov_b32_e32 v23, v7
	v_and_b32_e32 v4, 0x80000000, v4
	v_or3_b32 v24, v6, v4, v5
.LBB243_2287:                           ;   in Loop: Header=BB243_2086 Depth=1
	s_or_b32 exec_lo, exec_lo, s22
.LBB243_2288:                           ;   in Loop: Header=BB243_2086 Depth=1
	s_or_b32 exec_lo, exec_lo, s21
.LBB243_2289:                           ;   in Loop: Header=BB243_2086 Depth=1
	s_or_b32 exec_lo, exec_lo, s19
	v_or_b32_e32 v4, v22, v20
	v_or_b32_e32 v5, v21, v19
	;; [unrolled: 1-line block ×4, first 2 shown]
	v_mul_f32_e32 v4, v106, v4
	buffer_store_dword v4, off, s[0:3], s32 offset:420 ; 4-byte Folded Spill
	v_mul_f32_e32 v4, v106, v5
	buffer_store_dword v4, off, s[0:3], s32 offset:412 ; 4-byte Folded Spill
	;; [unrolled: 2-line block ×4, first 2 shown]
	s_and_saveexec_b32 s8, vcc_lo
	s_cbranch_execz .LBB243_2291
; %bb.2290:                             ;   in Loop: Header=BB243_2086 Depth=1
	buffer_load_dword v4, off, s[0:3], s32 offset:412 ; 4-byte Folded Reload
	s_waitcnt vmcnt(0)
	v_cndmask_b32_e64 v4, 0, v4, s4
	buffer_store_dword v4, off, s[0:3], s32 offset:412 ; 4-byte Folded Spill
	buffer_load_dword v4, off, s[0:3], s32 offset:420 ; 4-byte Folded Reload
	s_waitcnt vmcnt(0)
	v_cndmask_b32_e64 v4, 0, v4, s5
	buffer_store_dword v4, off, s[0:3], s32 offset:420 ; 4-byte Folded Spill
	;; [unrolled: 4-line block ×4, first 2 shown]
.LBB243_2291:                           ;   in Loop: Header=BB243_2086 Depth=1
	s_or_b32 exec_lo, exec_lo, s8
	flat_load_dword v4, v[17:18] offset:768
	v_mov_b32_e32 v21, 0
	v_mov_b32_e32 v19, 0
	;; [unrolled: 1-line block ×4, first 2 shown]
	s_waitcnt vmcnt(0) lgkmcnt(0)
	v_cmp_ne_u16_sdwa s8, v4, v7 src0_sel:BYTE_0 src1_sel:DWORD
	s_and_saveexec_b32 s19, s8
	s_cbranch_execz .LBB243_2299
; %bb.2292:                             ;   in Loop: Header=BB243_2086 Depth=1
	v_bfrev_b32_e32 v19, 1
	v_mov_b32_e32 v20, 0
	v_cmp_ne_u16_sdwa s8, v4, v75 src0_sel:BYTE_0 src1_sel:DWORD
	s_and_saveexec_b32 s21, s8
	s_cbranch_execz .LBB243_2298
; %bb.2293:                             ;   in Loop: Header=BB243_2086 Depth=1
	v_mov_b32_e32 v19, 0x7f800001
	v_and_b32_e32 v8, 0x7f, v4
	v_mov_b32_e32 v20, 0
	s_mov_b32 s22, exec_lo
	v_cmpx_ne_u32_e32 0x7f, v8
	s_cbranch_execz .LBB243_2297
; %bb.2294:                             ;   in Loop: Header=BB243_2086 Depth=1
	v_and_b32_e32 v6, 7, v4
	v_lshrrev_b32_e32 v5, 3, v8
	s_mov_b32 s23, exec_lo
	v_cmpx_gt_u32_e32 8, v8
; %bb.2295:                             ;   in Loop: Header=BB243_2086 Depth=1
	v_ffbh_u32_e32 v5, v6
	v_min_u32_e32 v5, 32, v5
	v_subrev_nc_u32_e32 v8, 28, v5
	v_sub_nc_u32_e32 v5, 29, v5
	v_lshlrev_b64 v[19:20], v8, v[6:7]
	v_and_b32_e32 v6, 7, v19
; %bb.2296:                             ;   in Loop: Header=BB243_2086 Depth=1
	s_or_b32 exec_lo, exec_lo, s23
	v_lshlrev_b32_e32 v8, 24, v4
	v_lshlrev_b32_e32 v6, 20, v6
	v_lshl_add_u32 v5, v5, 23, 0x3c000000
	v_and_b32_e32 v8, 0x80000000, v8
	v_or3_b32 v6, v6, v8, v5
	v_mov_b32_e32 v20, v7
	v_mov_b32_e32 v19, v6
.LBB243_2297:                           ;   in Loop: Header=BB243_2086 Depth=1
	s_or_b32 exec_lo, exec_lo, s22
.LBB243_2298:                           ;   in Loop: Header=BB243_2086 Depth=1
	s_or_b32 exec_lo, exec_lo, s21
.LBB243_2299:                           ;   in Loop: Header=BB243_2086 Depth=1
	s_or_b32 exec_lo, exec_lo, s19
	v_cmp_ne_u16_sdwa s8, v4, v7 src0_sel:BYTE_1 src1_sel:DWORD
	s_and_saveexec_b32 s19, s8
	s_cbranch_execz .LBB243_2307
; %bb.2300:                             ;   in Loop: Header=BB243_2086 Depth=1
	v_mov_b32_e32 v8, v7
	v_mov_b32_e32 v22, v9
	v_cmp_ne_u16_sdwa s8, v4, v75 src0_sel:BYTE_1 src1_sel:DWORD
	v_mov_b32_e32 v21, v8
	s_and_saveexec_b32 s21, s8
	s_cbranch_execz .LBB243_2306
; %bb.2301:                             ;   in Loop: Header=BB243_2086 Depth=1
	v_mov_b32_e32 v5, 0xffff
	v_mov_b32_e32 v10, v7
	;; [unrolled: 1-line block ×3, first 2 shown]
	s_mov_b32 s22, exec_lo
	v_and_b32_sdwa v5, v5, v4 dst_sel:DWORD dst_unused:UNUSED_PAD src0_sel:DWORD src1_sel:BYTE_1
	v_mov_b32_e32 v21, v10
	v_and_b32_e32 v8, 0x7f, v5
	v_cmpx_ne_u32_e32 0x7f, v8
	s_cbranch_execz .LBB243_2305
; %bb.2302:                             ;   in Loop: Header=BB243_2086 Depth=1
	v_and_b32_e32 v6, 7, v5
	v_lshrrev_b32_e32 v5, 3, v8
	s_mov_b32 s23, exec_lo
	v_cmpx_gt_u32_e32 8, v8
; %bb.2303:                             ;   in Loop: Header=BB243_2086 Depth=1
	v_ffbh_u32_e32 v5, v6
	v_min_u32_e32 v5, 32, v5
	v_subrev_nc_u32_e32 v8, 28, v5
	v_sub_nc_u32_e32 v5, 29, v5
	v_lshlrev_b64 v[21:22], v8, v[6:7]
	v_and_b32_e32 v6, 7, v21
; %bb.2304:                             ;   in Loop: Header=BB243_2086 Depth=1
	s_or_b32 exec_lo, exec_lo, s23
	v_lshlrev_b32_e32 v8, 16, v4
	v_lshlrev_b32_e32 v6, 20, v6
	v_lshl_add_u32 v5, v5, 23, 0x3c000000
	v_mov_b32_e32 v21, v7
	v_and_b32_e32 v8, 0x80000000, v8
	v_or3_b32 v22, v6, v8, v5
.LBB243_2305:                           ;   in Loop: Header=BB243_2086 Depth=1
	s_or_b32 exec_lo, exec_lo, s22
.LBB243_2306:                           ;   in Loop: Header=BB243_2086 Depth=1
	s_or_b32 exec_lo, exec_lo, s21
.LBB243_2307:                           ;   in Loop: Header=BB243_2086 Depth=1
	s_or_b32 exec_lo, exec_lo, s19
	v_mov_b32_e32 v23, 0
	v_mov_b32_e32 v25, 0
	v_and_b32_sdwa v5, v4, v77 dst_sel:DWORD dst_unused:UNUSED_PAD src0_sel:WORD_1 src1_sel:DWORD
	v_mov_b32_e32 v24, 0
	v_mov_b32_e32 v26, 0
	s_mov_b32 s19, exec_lo
	v_cmpx_ne_u16_e32 0, v5
	s_cbranch_execz .LBB243_2315
; %bb.2308:                             ;   in Loop: Header=BB243_2086 Depth=1
	v_bfrev_b32_e32 v25, 1
	v_mov_b32_e32 v26, 0
	s_mov_b32 s21, exec_lo
	v_cmpx_ne_u16_e32 0x80, v5
	s_cbranch_execz .LBB243_2314
; %bb.2309:                             ;   in Loop: Header=BB243_2086 Depth=1
	v_mov_b32_e32 v25, 0x7f800001
	v_bfe_u32 v8, v4, 16, 7
	v_mov_b32_e32 v26, 0
	s_mov_b32 s22, exec_lo
	v_cmpx_ne_u32_e32 0x7f, v8
	s_cbranch_execz .LBB243_2313
; %bb.2310:                             ;   in Loop: Header=BB243_2086 Depth=1
	v_and_b32_sdwa v6, v4, v30 dst_sel:DWORD dst_unused:UNUSED_PAD src0_sel:WORD_1 src1_sel:DWORD
	v_lshrrev_b32_e32 v5, 3, v8
	s_mov_b32 s23, exec_lo
	v_cmpx_gt_u32_e32 8, v8
; %bb.2311:                             ;   in Loop: Header=BB243_2086 Depth=1
	v_ffbh_u32_e32 v5, v6
	v_min_u32_e32 v5, 32, v5
	v_subrev_nc_u32_e32 v8, 28, v5
	v_sub_nc_u32_e32 v5, 29, v5
	v_lshlrev_b64 v[25:26], v8, v[6:7]
	v_and_b32_e32 v6, 7, v25
; %bb.2312:                             ;   in Loop: Header=BB243_2086 Depth=1
	s_or_b32 exec_lo, exec_lo, s23
	v_lshlrev_b32_sdwa v8, v79, v4 dst_sel:DWORD dst_unused:UNUSED_PAD src0_sel:DWORD src1_sel:WORD_1
	v_lshlrev_b32_e32 v6, 20, v6
	v_lshl_add_u32 v5, v5, 23, 0x3c000000
	v_and_b32_e32 v8, 0x80000000, v8
	v_or3_b32 v6, v6, v8, v5
	v_mov_b32_e32 v26, v7
	v_mov_b32_e32 v25, v6
.LBB243_2313:                           ;   in Loop: Header=BB243_2086 Depth=1
	s_or_b32 exec_lo, exec_lo, s22
.LBB243_2314:                           ;   in Loop: Header=BB243_2086 Depth=1
	s_or_b32 exec_lo, exec_lo, s21
.LBB243_2315:                           ;   in Loop: Header=BB243_2086 Depth=1
	s_or_b32 exec_lo, exec_lo, s19
	s_mov_b32 s19, exec_lo
	v_cmpx_lt_u32_e32 0xffffff, v4
	s_cbranch_execz .LBB243_2323
; %bb.2316:                             ;   in Loop: Header=BB243_2086 Depth=1
	v_mov_b32_e32 v8, v7
	v_mov_b32_e32 v24, v9
	v_cmp_ne_u32_sdwa s8, v4, v75 src0_sel:BYTE_3 src1_sel:DWORD
	v_mov_b32_e32 v23, v8
	s_and_saveexec_b32 s21, s8
	s_cbranch_execz .LBB243_2322
; %bb.2317:                             ;   in Loop: Header=BB243_2086 Depth=1
	v_mov_b32_e32 v10, v7
	v_mov_b32_e32 v24, v11
	v_bfe_u32 v8, v4, 24, 7
	s_mov_b32 s22, exec_lo
	v_mov_b32_e32 v23, v10
	v_cmpx_ne_u32_e32 0x7f, v8
	s_cbranch_execz .LBB243_2321
; %bb.2318:                             ;   in Loop: Header=BB243_2086 Depth=1
	v_and_b32_sdwa v6, v4, v30 dst_sel:DWORD dst_unused:UNUSED_PAD src0_sel:BYTE_3 src1_sel:DWORD
	v_lshrrev_b32_e32 v5, 3, v8
	s_mov_b32 s23, exec_lo
	v_cmpx_gt_u32_e32 8, v8
; %bb.2319:                             ;   in Loop: Header=BB243_2086 Depth=1
	v_ffbh_u32_e32 v5, v6
	v_min_u32_e32 v5, 32, v5
	v_subrev_nc_u32_e32 v8, 28, v5
	v_sub_nc_u32_e32 v5, 29, v5
	v_lshlrev_b64 v[23:24], v8, v[6:7]
	v_and_b32_e32 v6, 7, v23
; %bb.2320:                             ;   in Loop: Header=BB243_2086 Depth=1
	s_or_b32 exec_lo, exec_lo, s23
	v_lshlrev_b32_sdwa v4, v79, v4 dst_sel:DWORD dst_unused:UNUSED_PAD src0_sel:DWORD src1_sel:BYTE_3
	v_lshlrev_b32_e32 v6, 20, v6
	v_lshl_add_u32 v5, v5, 23, 0x3c000000
	v_mov_b32_e32 v23, v7
	v_and_b32_e32 v4, 0x80000000, v4
	v_or3_b32 v24, v6, v4, v5
.LBB243_2321:                           ;   in Loop: Header=BB243_2086 Depth=1
	s_or_b32 exec_lo, exec_lo, s22
.LBB243_2322:                           ;   in Loop: Header=BB243_2086 Depth=1
	s_or_b32 exec_lo, exec_lo, s21
.LBB243_2323:                           ;   in Loop: Header=BB243_2086 Depth=1
	s_or_b32 exec_lo, exec_lo, s19
	v_or_b32_e32 v4, v22, v20
	v_or_b32_e32 v5, v21, v19
	;; [unrolled: 1-line block ×4, first 2 shown]
	v_mul_f32_e32 v4, v106, v4
	buffer_store_dword v4, off, s[0:3], s32 offset:452 ; 4-byte Folded Spill
	v_mul_f32_e32 v4, v106, v5
	buffer_store_dword v4, off, s[0:3], s32 offset:444 ; 4-byte Folded Spill
	;; [unrolled: 2-line block ×4, first 2 shown]
	s_and_saveexec_b32 s8, vcc_lo
	s_cbranch_execz .LBB243_2325
; %bb.2324:                             ;   in Loop: Header=BB243_2086 Depth=1
	buffer_load_dword v4, off, s[0:3], s32 offset:444 ; 4-byte Folded Reload
	s_waitcnt vmcnt(0)
	v_cndmask_b32_e64 v4, 0, v4, s4
	buffer_store_dword v4, off, s[0:3], s32 offset:444 ; 4-byte Folded Spill
	buffer_load_dword v4, off, s[0:3], s32 offset:452 ; 4-byte Folded Reload
	s_waitcnt vmcnt(0)
	v_cndmask_b32_e64 v4, 0, v4, s5
	buffer_store_dword v4, off, s[0:3], s32 offset:452 ; 4-byte Folded Spill
	;; [unrolled: 4-line block ×4, first 2 shown]
.LBB243_2325:                           ;   in Loop: Header=BB243_2086 Depth=1
	s_or_b32 exec_lo, exec_lo, s8
	flat_load_dword v4, v[17:18] offset:896
	v_mov_b32_e32 v21, 0
	v_mov_b32_e32 v19, 0
	;; [unrolled: 1-line block ×4, first 2 shown]
	s_waitcnt vmcnt(0) lgkmcnt(0)
	v_cmp_ne_u16_sdwa s8, v4, v7 src0_sel:BYTE_0 src1_sel:DWORD
	s_and_saveexec_b32 s19, s8
	s_cbranch_execz .LBB243_2333
; %bb.2326:                             ;   in Loop: Header=BB243_2086 Depth=1
	v_bfrev_b32_e32 v19, 1
	v_mov_b32_e32 v20, 0
	v_cmp_ne_u16_sdwa s8, v4, v75 src0_sel:BYTE_0 src1_sel:DWORD
	s_and_saveexec_b32 s21, s8
	s_cbranch_execz .LBB243_2332
; %bb.2327:                             ;   in Loop: Header=BB243_2086 Depth=1
	v_mov_b32_e32 v19, 0x7f800001
	v_and_b32_e32 v8, 0x7f, v4
	v_mov_b32_e32 v20, 0
	s_mov_b32 s22, exec_lo
	v_cmpx_ne_u32_e32 0x7f, v8
	s_cbranch_execz .LBB243_2331
; %bb.2328:                             ;   in Loop: Header=BB243_2086 Depth=1
	v_and_b32_e32 v6, 7, v4
	v_lshrrev_b32_e32 v5, 3, v8
	s_mov_b32 s23, exec_lo
	v_cmpx_gt_u32_e32 8, v8
; %bb.2329:                             ;   in Loop: Header=BB243_2086 Depth=1
	v_ffbh_u32_e32 v5, v6
	v_min_u32_e32 v5, 32, v5
	v_subrev_nc_u32_e32 v8, 28, v5
	v_sub_nc_u32_e32 v5, 29, v5
	v_lshlrev_b64 v[19:20], v8, v[6:7]
	v_and_b32_e32 v6, 7, v19
; %bb.2330:                             ;   in Loop: Header=BB243_2086 Depth=1
	s_or_b32 exec_lo, exec_lo, s23
	v_lshlrev_b32_e32 v8, 24, v4
	v_lshlrev_b32_e32 v6, 20, v6
	v_lshl_add_u32 v5, v5, 23, 0x3c000000
	v_and_b32_e32 v8, 0x80000000, v8
	v_or3_b32 v6, v6, v8, v5
	v_mov_b32_e32 v20, v7
	v_mov_b32_e32 v19, v6
.LBB243_2331:                           ;   in Loop: Header=BB243_2086 Depth=1
	s_or_b32 exec_lo, exec_lo, s22
.LBB243_2332:                           ;   in Loop: Header=BB243_2086 Depth=1
	s_or_b32 exec_lo, exec_lo, s21
.LBB243_2333:                           ;   in Loop: Header=BB243_2086 Depth=1
	s_or_b32 exec_lo, exec_lo, s19
	v_cmp_ne_u16_sdwa s8, v4, v7 src0_sel:BYTE_1 src1_sel:DWORD
	s_and_saveexec_b32 s19, s8
	s_cbranch_execz .LBB243_2341
; %bb.2334:                             ;   in Loop: Header=BB243_2086 Depth=1
	v_mov_b32_e32 v8, v7
	v_mov_b32_e32 v22, v9
	v_cmp_ne_u16_sdwa s8, v4, v75 src0_sel:BYTE_1 src1_sel:DWORD
	v_mov_b32_e32 v21, v8
	s_and_saveexec_b32 s21, s8
	s_cbranch_execz .LBB243_2340
; %bb.2335:                             ;   in Loop: Header=BB243_2086 Depth=1
	v_mov_b32_e32 v5, 0xffff
	v_mov_b32_e32 v10, v7
	;; [unrolled: 1-line block ×3, first 2 shown]
	s_mov_b32 s22, exec_lo
	v_and_b32_sdwa v5, v5, v4 dst_sel:DWORD dst_unused:UNUSED_PAD src0_sel:DWORD src1_sel:BYTE_1
	v_mov_b32_e32 v21, v10
	v_and_b32_e32 v8, 0x7f, v5
	v_cmpx_ne_u32_e32 0x7f, v8
	s_cbranch_execz .LBB243_2339
; %bb.2336:                             ;   in Loop: Header=BB243_2086 Depth=1
	v_and_b32_e32 v6, 7, v5
	v_lshrrev_b32_e32 v5, 3, v8
	s_mov_b32 s23, exec_lo
	v_cmpx_gt_u32_e32 8, v8
; %bb.2337:                             ;   in Loop: Header=BB243_2086 Depth=1
	v_ffbh_u32_e32 v5, v6
	v_min_u32_e32 v5, 32, v5
	v_subrev_nc_u32_e32 v8, 28, v5
	v_sub_nc_u32_e32 v5, 29, v5
	v_lshlrev_b64 v[21:22], v8, v[6:7]
	v_and_b32_e32 v6, 7, v21
; %bb.2338:                             ;   in Loop: Header=BB243_2086 Depth=1
	s_or_b32 exec_lo, exec_lo, s23
	v_lshlrev_b32_e32 v8, 16, v4
	v_lshlrev_b32_e32 v6, 20, v6
	v_lshl_add_u32 v5, v5, 23, 0x3c000000
	v_mov_b32_e32 v21, v7
	v_and_b32_e32 v8, 0x80000000, v8
	v_or3_b32 v22, v6, v8, v5
.LBB243_2339:                           ;   in Loop: Header=BB243_2086 Depth=1
	s_or_b32 exec_lo, exec_lo, s22
.LBB243_2340:                           ;   in Loop: Header=BB243_2086 Depth=1
	s_or_b32 exec_lo, exec_lo, s21
.LBB243_2341:                           ;   in Loop: Header=BB243_2086 Depth=1
	s_or_b32 exec_lo, exec_lo, s19
	v_mov_b32_e32 v23, 0
	v_mov_b32_e32 v25, 0
	v_and_b32_sdwa v5, v4, v77 dst_sel:DWORD dst_unused:UNUSED_PAD src0_sel:WORD_1 src1_sel:DWORD
	v_mov_b32_e32 v24, 0
	v_mov_b32_e32 v26, 0
	s_mov_b32 s19, exec_lo
	v_cmpx_ne_u16_e32 0, v5
	s_cbranch_execz .LBB243_2349
; %bb.2342:                             ;   in Loop: Header=BB243_2086 Depth=1
	v_bfrev_b32_e32 v25, 1
	v_mov_b32_e32 v26, 0
	s_mov_b32 s21, exec_lo
	v_cmpx_ne_u16_e32 0x80, v5
	s_cbranch_execz .LBB243_2348
; %bb.2343:                             ;   in Loop: Header=BB243_2086 Depth=1
	v_mov_b32_e32 v25, 0x7f800001
	v_bfe_u32 v8, v4, 16, 7
	v_mov_b32_e32 v26, 0
	s_mov_b32 s22, exec_lo
	v_cmpx_ne_u32_e32 0x7f, v8
	s_cbranch_execz .LBB243_2347
; %bb.2344:                             ;   in Loop: Header=BB243_2086 Depth=1
	v_and_b32_sdwa v6, v4, v30 dst_sel:DWORD dst_unused:UNUSED_PAD src0_sel:WORD_1 src1_sel:DWORD
	v_lshrrev_b32_e32 v5, 3, v8
	s_mov_b32 s23, exec_lo
	v_cmpx_gt_u32_e32 8, v8
; %bb.2345:                             ;   in Loop: Header=BB243_2086 Depth=1
	v_ffbh_u32_e32 v5, v6
	v_min_u32_e32 v5, 32, v5
	v_subrev_nc_u32_e32 v8, 28, v5
	v_sub_nc_u32_e32 v5, 29, v5
	v_lshlrev_b64 v[25:26], v8, v[6:7]
	v_and_b32_e32 v6, 7, v25
; %bb.2346:                             ;   in Loop: Header=BB243_2086 Depth=1
	s_or_b32 exec_lo, exec_lo, s23
	v_lshlrev_b32_sdwa v8, v79, v4 dst_sel:DWORD dst_unused:UNUSED_PAD src0_sel:DWORD src1_sel:WORD_1
	v_lshlrev_b32_e32 v6, 20, v6
	v_lshl_add_u32 v5, v5, 23, 0x3c000000
	v_and_b32_e32 v8, 0x80000000, v8
	v_or3_b32 v6, v6, v8, v5
	v_mov_b32_e32 v26, v7
	v_mov_b32_e32 v25, v6
.LBB243_2347:                           ;   in Loop: Header=BB243_2086 Depth=1
	s_or_b32 exec_lo, exec_lo, s22
.LBB243_2348:                           ;   in Loop: Header=BB243_2086 Depth=1
	s_or_b32 exec_lo, exec_lo, s21
.LBB243_2349:                           ;   in Loop: Header=BB243_2086 Depth=1
	s_or_b32 exec_lo, exec_lo, s19
	s_mov_b32 s19, exec_lo
	v_cmpx_lt_u32_e32 0xffffff, v4
	s_cbranch_execz .LBB243_2357
; %bb.2350:                             ;   in Loop: Header=BB243_2086 Depth=1
	v_mov_b32_e32 v8, v7
	v_mov_b32_e32 v24, v9
	v_cmp_ne_u32_sdwa s8, v4, v75 src0_sel:BYTE_3 src1_sel:DWORD
	v_mov_b32_e32 v23, v8
	s_and_saveexec_b32 s21, s8
	s_cbranch_execz .LBB243_2356
; %bb.2351:                             ;   in Loop: Header=BB243_2086 Depth=1
	v_mov_b32_e32 v10, v7
	v_mov_b32_e32 v24, v11
	v_bfe_u32 v8, v4, 24, 7
	s_mov_b32 s22, exec_lo
	v_mov_b32_e32 v23, v10
	v_cmpx_ne_u32_e32 0x7f, v8
	s_cbranch_execz .LBB243_2355
; %bb.2352:                             ;   in Loop: Header=BB243_2086 Depth=1
	v_and_b32_sdwa v6, v4, v30 dst_sel:DWORD dst_unused:UNUSED_PAD src0_sel:BYTE_3 src1_sel:DWORD
	v_lshrrev_b32_e32 v5, 3, v8
	s_mov_b32 s23, exec_lo
	v_cmpx_gt_u32_e32 8, v8
; %bb.2353:                             ;   in Loop: Header=BB243_2086 Depth=1
	v_ffbh_u32_e32 v5, v6
	v_min_u32_e32 v5, 32, v5
	v_subrev_nc_u32_e32 v8, 28, v5
	v_sub_nc_u32_e32 v5, 29, v5
	v_lshlrev_b64 v[23:24], v8, v[6:7]
	v_and_b32_e32 v6, 7, v23
; %bb.2354:                             ;   in Loop: Header=BB243_2086 Depth=1
	s_or_b32 exec_lo, exec_lo, s23
	v_lshlrev_b32_sdwa v4, v79, v4 dst_sel:DWORD dst_unused:UNUSED_PAD src0_sel:DWORD src1_sel:BYTE_3
	v_lshlrev_b32_e32 v6, 20, v6
	v_lshl_add_u32 v5, v5, 23, 0x3c000000
	v_mov_b32_e32 v23, v7
	v_and_b32_e32 v4, 0x80000000, v4
	v_or3_b32 v24, v6, v4, v5
.LBB243_2355:                           ;   in Loop: Header=BB243_2086 Depth=1
	s_or_b32 exec_lo, exec_lo, s22
.LBB243_2356:                           ;   in Loop: Header=BB243_2086 Depth=1
	s_or_b32 exec_lo, exec_lo, s21
.LBB243_2357:                           ;   in Loop: Header=BB243_2086 Depth=1
	s_or_b32 exec_lo, exec_lo, s19
	v_or_b32_e32 v4, v22, v20
	v_or_b32_e32 v5, v21, v19
	;; [unrolled: 1-line block ×4, first 2 shown]
	v_mul_f32_e32 v4, v106, v4
	buffer_store_dword v4, off, s[0:3], s32 offset:484 ; 4-byte Folded Spill
	v_mul_f32_e32 v4, v106, v5
	buffer_store_dword v4, off, s[0:3], s32 offset:476 ; 4-byte Folded Spill
	;; [unrolled: 2-line block ×4, first 2 shown]
	s_and_saveexec_b32 s8, vcc_lo
	s_cbranch_execz .LBB243_2359
; %bb.2358:                             ;   in Loop: Header=BB243_2086 Depth=1
	buffer_load_dword v4, off, s[0:3], s32 offset:476 ; 4-byte Folded Reload
	s_waitcnt vmcnt(0)
	v_cndmask_b32_e64 v4, 0, v4, s4
	buffer_store_dword v4, off, s[0:3], s32 offset:476 ; 4-byte Folded Spill
	buffer_load_dword v4, off, s[0:3], s32 offset:484 ; 4-byte Folded Reload
	s_waitcnt vmcnt(0)
	v_cndmask_b32_e64 v4, 0, v4, s5
	buffer_store_dword v4, off, s[0:3], s32 offset:484 ; 4-byte Folded Spill
	;; [unrolled: 4-line block ×4, first 2 shown]
.LBB243_2359:                           ;   in Loop: Header=BB243_2086 Depth=1
	s_or_b32 exec_lo, exec_lo, s8
	flat_load_dword v4, v[17:18] offset:1024
	v_mov_b32_e32 v21, 0
	v_mov_b32_e32 v19, 0
	;; [unrolled: 1-line block ×4, first 2 shown]
	s_waitcnt vmcnt(0) lgkmcnt(0)
	v_cmp_ne_u16_sdwa s8, v4, v7 src0_sel:BYTE_0 src1_sel:DWORD
	s_and_saveexec_b32 s19, s8
	s_cbranch_execz .LBB243_2367
; %bb.2360:                             ;   in Loop: Header=BB243_2086 Depth=1
	v_bfrev_b32_e32 v19, 1
	v_mov_b32_e32 v20, 0
	v_cmp_ne_u16_sdwa s8, v4, v75 src0_sel:BYTE_0 src1_sel:DWORD
	s_and_saveexec_b32 s21, s8
	s_cbranch_execz .LBB243_2366
; %bb.2361:                             ;   in Loop: Header=BB243_2086 Depth=1
	v_mov_b32_e32 v19, 0x7f800001
	v_and_b32_e32 v8, 0x7f, v4
	v_mov_b32_e32 v20, 0
	s_mov_b32 s22, exec_lo
	v_cmpx_ne_u32_e32 0x7f, v8
	s_cbranch_execz .LBB243_2365
; %bb.2362:                             ;   in Loop: Header=BB243_2086 Depth=1
	v_and_b32_e32 v6, 7, v4
	v_lshrrev_b32_e32 v5, 3, v8
	s_mov_b32 s23, exec_lo
	v_cmpx_gt_u32_e32 8, v8
; %bb.2363:                             ;   in Loop: Header=BB243_2086 Depth=1
	v_ffbh_u32_e32 v5, v6
	v_min_u32_e32 v5, 32, v5
	v_subrev_nc_u32_e32 v8, 28, v5
	v_sub_nc_u32_e32 v5, 29, v5
	v_lshlrev_b64 v[19:20], v8, v[6:7]
	v_and_b32_e32 v6, 7, v19
; %bb.2364:                             ;   in Loop: Header=BB243_2086 Depth=1
	s_or_b32 exec_lo, exec_lo, s23
	v_lshlrev_b32_e32 v8, 24, v4
	v_lshlrev_b32_e32 v6, 20, v6
	v_lshl_add_u32 v5, v5, 23, 0x3c000000
	v_and_b32_e32 v8, 0x80000000, v8
	v_or3_b32 v6, v6, v8, v5
	v_mov_b32_e32 v20, v7
	v_mov_b32_e32 v19, v6
.LBB243_2365:                           ;   in Loop: Header=BB243_2086 Depth=1
	s_or_b32 exec_lo, exec_lo, s22
.LBB243_2366:                           ;   in Loop: Header=BB243_2086 Depth=1
	s_or_b32 exec_lo, exec_lo, s21
.LBB243_2367:                           ;   in Loop: Header=BB243_2086 Depth=1
	s_or_b32 exec_lo, exec_lo, s19
	v_cmp_ne_u16_sdwa s8, v4, v7 src0_sel:BYTE_1 src1_sel:DWORD
	s_and_saveexec_b32 s19, s8
	s_cbranch_execz .LBB243_2375
; %bb.2368:                             ;   in Loop: Header=BB243_2086 Depth=1
	v_mov_b32_e32 v8, v7
	v_mov_b32_e32 v22, v9
	v_cmp_ne_u16_sdwa s8, v4, v75 src0_sel:BYTE_1 src1_sel:DWORD
	v_mov_b32_e32 v21, v8
	s_and_saveexec_b32 s21, s8
	s_cbranch_execz .LBB243_2374
; %bb.2369:                             ;   in Loop: Header=BB243_2086 Depth=1
	v_mov_b32_e32 v5, 0xffff
	v_mov_b32_e32 v10, v7
	;; [unrolled: 1-line block ×3, first 2 shown]
	s_mov_b32 s22, exec_lo
	v_and_b32_sdwa v5, v5, v4 dst_sel:DWORD dst_unused:UNUSED_PAD src0_sel:DWORD src1_sel:BYTE_1
	v_mov_b32_e32 v21, v10
	v_and_b32_e32 v8, 0x7f, v5
	v_cmpx_ne_u32_e32 0x7f, v8
	s_cbranch_execz .LBB243_2373
; %bb.2370:                             ;   in Loop: Header=BB243_2086 Depth=1
	v_and_b32_e32 v6, 7, v5
	v_lshrrev_b32_e32 v5, 3, v8
	s_mov_b32 s23, exec_lo
	v_cmpx_gt_u32_e32 8, v8
; %bb.2371:                             ;   in Loop: Header=BB243_2086 Depth=1
	v_ffbh_u32_e32 v5, v6
	v_min_u32_e32 v5, 32, v5
	v_subrev_nc_u32_e32 v8, 28, v5
	v_sub_nc_u32_e32 v5, 29, v5
	v_lshlrev_b64 v[21:22], v8, v[6:7]
	v_and_b32_e32 v6, 7, v21
; %bb.2372:                             ;   in Loop: Header=BB243_2086 Depth=1
	s_or_b32 exec_lo, exec_lo, s23
	v_lshlrev_b32_e32 v8, 16, v4
	v_lshlrev_b32_e32 v6, 20, v6
	v_lshl_add_u32 v5, v5, 23, 0x3c000000
	v_mov_b32_e32 v21, v7
	v_and_b32_e32 v8, 0x80000000, v8
	v_or3_b32 v22, v6, v8, v5
.LBB243_2373:                           ;   in Loop: Header=BB243_2086 Depth=1
	s_or_b32 exec_lo, exec_lo, s22
.LBB243_2374:                           ;   in Loop: Header=BB243_2086 Depth=1
	s_or_b32 exec_lo, exec_lo, s21
.LBB243_2375:                           ;   in Loop: Header=BB243_2086 Depth=1
	s_or_b32 exec_lo, exec_lo, s19
	v_mov_b32_e32 v23, 0
	v_mov_b32_e32 v25, 0
	v_and_b32_sdwa v5, v4, v77 dst_sel:DWORD dst_unused:UNUSED_PAD src0_sel:WORD_1 src1_sel:DWORD
	v_mov_b32_e32 v24, 0
	v_mov_b32_e32 v26, 0
	s_mov_b32 s19, exec_lo
	v_cmpx_ne_u16_e32 0, v5
	s_cbranch_execz .LBB243_2383
; %bb.2376:                             ;   in Loop: Header=BB243_2086 Depth=1
	v_bfrev_b32_e32 v25, 1
	v_mov_b32_e32 v26, 0
	s_mov_b32 s21, exec_lo
	v_cmpx_ne_u16_e32 0x80, v5
	s_cbranch_execz .LBB243_2382
; %bb.2377:                             ;   in Loop: Header=BB243_2086 Depth=1
	v_mov_b32_e32 v25, 0x7f800001
	v_bfe_u32 v8, v4, 16, 7
	v_mov_b32_e32 v26, 0
	s_mov_b32 s22, exec_lo
	v_cmpx_ne_u32_e32 0x7f, v8
	s_cbranch_execz .LBB243_2381
; %bb.2378:                             ;   in Loop: Header=BB243_2086 Depth=1
	v_and_b32_sdwa v6, v4, v30 dst_sel:DWORD dst_unused:UNUSED_PAD src0_sel:WORD_1 src1_sel:DWORD
	v_lshrrev_b32_e32 v5, 3, v8
	s_mov_b32 s23, exec_lo
	v_cmpx_gt_u32_e32 8, v8
; %bb.2379:                             ;   in Loop: Header=BB243_2086 Depth=1
	v_ffbh_u32_e32 v5, v6
	v_min_u32_e32 v5, 32, v5
	v_subrev_nc_u32_e32 v8, 28, v5
	v_sub_nc_u32_e32 v5, 29, v5
	v_lshlrev_b64 v[25:26], v8, v[6:7]
	v_and_b32_e32 v6, 7, v25
; %bb.2380:                             ;   in Loop: Header=BB243_2086 Depth=1
	s_or_b32 exec_lo, exec_lo, s23
	v_lshlrev_b32_sdwa v8, v79, v4 dst_sel:DWORD dst_unused:UNUSED_PAD src0_sel:DWORD src1_sel:WORD_1
	v_lshlrev_b32_e32 v6, 20, v6
	v_lshl_add_u32 v5, v5, 23, 0x3c000000
	v_and_b32_e32 v8, 0x80000000, v8
	v_or3_b32 v6, v6, v8, v5
	v_mov_b32_e32 v26, v7
	v_mov_b32_e32 v25, v6
.LBB243_2381:                           ;   in Loop: Header=BB243_2086 Depth=1
	s_or_b32 exec_lo, exec_lo, s22
.LBB243_2382:                           ;   in Loop: Header=BB243_2086 Depth=1
	s_or_b32 exec_lo, exec_lo, s21
.LBB243_2383:                           ;   in Loop: Header=BB243_2086 Depth=1
	s_or_b32 exec_lo, exec_lo, s19
	s_mov_b32 s19, exec_lo
	v_cmpx_lt_u32_e32 0xffffff, v4
	s_cbranch_execz .LBB243_2391
; %bb.2384:                             ;   in Loop: Header=BB243_2086 Depth=1
	v_mov_b32_e32 v8, v7
	v_mov_b32_e32 v24, v9
	v_cmp_ne_u32_sdwa s8, v4, v75 src0_sel:BYTE_3 src1_sel:DWORD
	v_mov_b32_e32 v23, v8
	s_and_saveexec_b32 s21, s8
	s_cbranch_execz .LBB243_2390
; %bb.2385:                             ;   in Loop: Header=BB243_2086 Depth=1
	v_mov_b32_e32 v10, v7
	v_mov_b32_e32 v24, v11
	v_bfe_u32 v8, v4, 24, 7
	s_mov_b32 s22, exec_lo
	v_mov_b32_e32 v23, v10
	v_cmpx_ne_u32_e32 0x7f, v8
	s_cbranch_execz .LBB243_2389
; %bb.2386:                             ;   in Loop: Header=BB243_2086 Depth=1
	v_and_b32_sdwa v6, v4, v30 dst_sel:DWORD dst_unused:UNUSED_PAD src0_sel:BYTE_3 src1_sel:DWORD
	v_lshrrev_b32_e32 v5, 3, v8
	s_mov_b32 s23, exec_lo
	v_cmpx_gt_u32_e32 8, v8
; %bb.2387:                             ;   in Loop: Header=BB243_2086 Depth=1
	v_ffbh_u32_e32 v5, v6
	v_min_u32_e32 v5, 32, v5
	v_subrev_nc_u32_e32 v8, 28, v5
	v_sub_nc_u32_e32 v5, 29, v5
	v_lshlrev_b64 v[23:24], v8, v[6:7]
	v_and_b32_e32 v6, 7, v23
; %bb.2388:                             ;   in Loop: Header=BB243_2086 Depth=1
	s_or_b32 exec_lo, exec_lo, s23
	v_lshlrev_b32_sdwa v4, v79, v4 dst_sel:DWORD dst_unused:UNUSED_PAD src0_sel:DWORD src1_sel:BYTE_3
	v_lshlrev_b32_e32 v6, 20, v6
	v_lshl_add_u32 v5, v5, 23, 0x3c000000
	v_mov_b32_e32 v23, v7
	v_and_b32_e32 v4, 0x80000000, v4
	v_or3_b32 v24, v6, v4, v5
.LBB243_2389:                           ;   in Loop: Header=BB243_2086 Depth=1
	s_or_b32 exec_lo, exec_lo, s22
.LBB243_2390:                           ;   in Loop: Header=BB243_2086 Depth=1
	s_or_b32 exec_lo, exec_lo, s21
.LBB243_2391:                           ;   in Loop: Header=BB243_2086 Depth=1
	s_or_b32 exec_lo, exec_lo, s19
	v_or_b32_e32 v4, v22, v20
	v_or_b32_e32 v5, v21, v19
	;; [unrolled: 1-line block ×4, first 2 shown]
	v_mul_f32_e32 v4, v106, v4
	buffer_store_dword v4, off, s[0:3], s32 offset:516 ; 4-byte Folded Spill
	v_mul_f32_e32 v4, v106, v5
	buffer_store_dword v4, off, s[0:3], s32 offset:508 ; 4-byte Folded Spill
	v_mul_f32_e32 v4, v106, v6
	buffer_store_dword v4, off, s[0:3], s32 offset:500 ; 4-byte Folded Spill
	v_mul_f32_e32 v4, v106, v8
	buffer_store_dword v4, off, s[0:3], s32 offset:492 ; 4-byte Folded Spill
	s_and_saveexec_b32 s8, vcc_lo
	s_cbranch_execz .LBB243_2393
; %bb.2392:                             ;   in Loop: Header=BB243_2086 Depth=1
	buffer_load_dword v4, off, s[0:3], s32 offset:508 ; 4-byte Folded Reload
	s_waitcnt vmcnt(0)
	v_cndmask_b32_e64 v4, 0, v4, s4
	buffer_store_dword v4, off, s[0:3], s32 offset:508 ; 4-byte Folded Spill
	buffer_load_dword v4, off, s[0:3], s32 offset:516 ; 4-byte Folded Reload
	s_waitcnt vmcnt(0)
	v_cndmask_b32_e64 v4, 0, v4, s5
	buffer_store_dword v4, off, s[0:3], s32 offset:516 ; 4-byte Folded Spill
	;; [unrolled: 4-line block ×4, first 2 shown]
.LBB243_2393:                           ;   in Loop: Header=BB243_2086 Depth=1
	s_or_b32 exec_lo, exec_lo, s8
	flat_load_dword v4, v[17:18] offset:1152
	v_mov_b32_e32 v21, 0
	v_mov_b32_e32 v19, 0
	;; [unrolled: 1-line block ×4, first 2 shown]
	s_waitcnt vmcnt(0) lgkmcnt(0)
	v_cmp_ne_u16_sdwa s8, v4, v7 src0_sel:BYTE_0 src1_sel:DWORD
	s_and_saveexec_b32 s19, s8
	s_cbranch_execz .LBB243_2401
; %bb.2394:                             ;   in Loop: Header=BB243_2086 Depth=1
	v_bfrev_b32_e32 v19, 1
	v_mov_b32_e32 v20, 0
	v_cmp_ne_u16_sdwa s8, v4, v75 src0_sel:BYTE_0 src1_sel:DWORD
	s_and_saveexec_b32 s21, s8
	s_cbranch_execz .LBB243_2400
; %bb.2395:                             ;   in Loop: Header=BB243_2086 Depth=1
	v_mov_b32_e32 v19, 0x7f800001
	v_and_b32_e32 v8, 0x7f, v4
	v_mov_b32_e32 v20, 0
	s_mov_b32 s22, exec_lo
	v_cmpx_ne_u32_e32 0x7f, v8
	s_cbranch_execz .LBB243_2399
; %bb.2396:                             ;   in Loop: Header=BB243_2086 Depth=1
	v_and_b32_e32 v6, 7, v4
	v_lshrrev_b32_e32 v5, 3, v8
	s_mov_b32 s23, exec_lo
	v_cmpx_gt_u32_e32 8, v8
; %bb.2397:                             ;   in Loop: Header=BB243_2086 Depth=1
	v_ffbh_u32_e32 v5, v6
	v_min_u32_e32 v5, 32, v5
	v_subrev_nc_u32_e32 v8, 28, v5
	v_sub_nc_u32_e32 v5, 29, v5
	v_lshlrev_b64 v[19:20], v8, v[6:7]
	v_and_b32_e32 v6, 7, v19
; %bb.2398:                             ;   in Loop: Header=BB243_2086 Depth=1
	s_or_b32 exec_lo, exec_lo, s23
	v_lshlrev_b32_e32 v8, 24, v4
	v_lshlrev_b32_e32 v6, 20, v6
	v_lshl_add_u32 v5, v5, 23, 0x3c000000
	v_and_b32_e32 v8, 0x80000000, v8
	v_or3_b32 v6, v6, v8, v5
	v_mov_b32_e32 v20, v7
	v_mov_b32_e32 v19, v6
.LBB243_2399:                           ;   in Loop: Header=BB243_2086 Depth=1
	s_or_b32 exec_lo, exec_lo, s22
.LBB243_2400:                           ;   in Loop: Header=BB243_2086 Depth=1
	s_or_b32 exec_lo, exec_lo, s21
.LBB243_2401:                           ;   in Loop: Header=BB243_2086 Depth=1
	s_or_b32 exec_lo, exec_lo, s19
	v_cmp_ne_u16_sdwa s8, v4, v7 src0_sel:BYTE_1 src1_sel:DWORD
	s_and_saveexec_b32 s19, s8
	s_cbranch_execz .LBB243_2409
; %bb.2402:                             ;   in Loop: Header=BB243_2086 Depth=1
	v_mov_b32_e32 v8, v7
	v_mov_b32_e32 v22, v9
	v_cmp_ne_u16_sdwa s8, v4, v75 src0_sel:BYTE_1 src1_sel:DWORD
	v_mov_b32_e32 v21, v8
	s_and_saveexec_b32 s21, s8
	s_cbranch_execz .LBB243_2408
; %bb.2403:                             ;   in Loop: Header=BB243_2086 Depth=1
	v_mov_b32_e32 v5, 0xffff
	v_mov_b32_e32 v10, v7
	;; [unrolled: 1-line block ×3, first 2 shown]
	s_mov_b32 s22, exec_lo
	v_and_b32_sdwa v5, v5, v4 dst_sel:DWORD dst_unused:UNUSED_PAD src0_sel:DWORD src1_sel:BYTE_1
	v_mov_b32_e32 v21, v10
	v_and_b32_e32 v8, 0x7f, v5
	v_cmpx_ne_u32_e32 0x7f, v8
	s_cbranch_execz .LBB243_2407
; %bb.2404:                             ;   in Loop: Header=BB243_2086 Depth=1
	v_and_b32_e32 v6, 7, v5
	v_lshrrev_b32_e32 v5, 3, v8
	s_mov_b32 s23, exec_lo
	v_cmpx_gt_u32_e32 8, v8
; %bb.2405:                             ;   in Loop: Header=BB243_2086 Depth=1
	v_ffbh_u32_e32 v5, v6
	v_min_u32_e32 v5, 32, v5
	v_subrev_nc_u32_e32 v8, 28, v5
	v_sub_nc_u32_e32 v5, 29, v5
	v_lshlrev_b64 v[21:22], v8, v[6:7]
	v_and_b32_e32 v6, 7, v21
; %bb.2406:                             ;   in Loop: Header=BB243_2086 Depth=1
	s_or_b32 exec_lo, exec_lo, s23
	v_lshlrev_b32_e32 v8, 16, v4
	v_lshlrev_b32_e32 v6, 20, v6
	v_lshl_add_u32 v5, v5, 23, 0x3c000000
	v_mov_b32_e32 v21, v7
	v_and_b32_e32 v8, 0x80000000, v8
	v_or3_b32 v22, v6, v8, v5
.LBB243_2407:                           ;   in Loop: Header=BB243_2086 Depth=1
	s_or_b32 exec_lo, exec_lo, s22
.LBB243_2408:                           ;   in Loop: Header=BB243_2086 Depth=1
	s_or_b32 exec_lo, exec_lo, s21
.LBB243_2409:                           ;   in Loop: Header=BB243_2086 Depth=1
	s_or_b32 exec_lo, exec_lo, s19
	v_mov_b32_e32 v23, 0
	v_mov_b32_e32 v25, 0
	v_and_b32_sdwa v5, v4, v77 dst_sel:DWORD dst_unused:UNUSED_PAD src0_sel:WORD_1 src1_sel:DWORD
	v_mov_b32_e32 v24, 0
	v_mov_b32_e32 v26, 0
	s_mov_b32 s19, exec_lo
	v_cmpx_ne_u16_e32 0, v5
	s_cbranch_execz .LBB243_2417
; %bb.2410:                             ;   in Loop: Header=BB243_2086 Depth=1
	v_bfrev_b32_e32 v25, 1
	v_mov_b32_e32 v26, 0
	s_mov_b32 s21, exec_lo
	v_cmpx_ne_u16_e32 0x80, v5
	s_cbranch_execz .LBB243_2416
; %bb.2411:                             ;   in Loop: Header=BB243_2086 Depth=1
	v_mov_b32_e32 v25, 0x7f800001
	v_bfe_u32 v8, v4, 16, 7
	v_mov_b32_e32 v26, 0
	s_mov_b32 s22, exec_lo
	v_cmpx_ne_u32_e32 0x7f, v8
	s_cbranch_execz .LBB243_2415
; %bb.2412:                             ;   in Loop: Header=BB243_2086 Depth=1
	v_and_b32_sdwa v6, v4, v30 dst_sel:DWORD dst_unused:UNUSED_PAD src0_sel:WORD_1 src1_sel:DWORD
	v_lshrrev_b32_e32 v5, 3, v8
	s_mov_b32 s23, exec_lo
	v_cmpx_gt_u32_e32 8, v8
; %bb.2413:                             ;   in Loop: Header=BB243_2086 Depth=1
	v_ffbh_u32_e32 v5, v6
	v_min_u32_e32 v5, 32, v5
	v_subrev_nc_u32_e32 v8, 28, v5
	v_sub_nc_u32_e32 v5, 29, v5
	v_lshlrev_b64 v[25:26], v8, v[6:7]
	v_and_b32_e32 v6, 7, v25
; %bb.2414:                             ;   in Loop: Header=BB243_2086 Depth=1
	s_or_b32 exec_lo, exec_lo, s23
	v_lshlrev_b32_sdwa v8, v79, v4 dst_sel:DWORD dst_unused:UNUSED_PAD src0_sel:DWORD src1_sel:WORD_1
	v_lshlrev_b32_e32 v6, 20, v6
	v_lshl_add_u32 v5, v5, 23, 0x3c000000
	v_and_b32_e32 v8, 0x80000000, v8
	v_or3_b32 v6, v6, v8, v5
	v_mov_b32_e32 v26, v7
	v_mov_b32_e32 v25, v6
.LBB243_2415:                           ;   in Loop: Header=BB243_2086 Depth=1
	s_or_b32 exec_lo, exec_lo, s22
.LBB243_2416:                           ;   in Loop: Header=BB243_2086 Depth=1
	s_or_b32 exec_lo, exec_lo, s21
.LBB243_2417:                           ;   in Loop: Header=BB243_2086 Depth=1
	s_or_b32 exec_lo, exec_lo, s19
	s_mov_b32 s19, exec_lo
	v_cmpx_lt_u32_e32 0xffffff, v4
	s_cbranch_execz .LBB243_2425
; %bb.2418:                             ;   in Loop: Header=BB243_2086 Depth=1
	v_mov_b32_e32 v8, v7
	v_mov_b32_e32 v24, v9
	v_cmp_ne_u32_sdwa s8, v4, v75 src0_sel:BYTE_3 src1_sel:DWORD
	v_mov_b32_e32 v23, v8
	s_and_saveexec_b32 s21, s8
	s_cbranch_execz .LBB243_2424
; %bb.2419:                             ;   in Loop: Header=BB243_2086 Depth=1
	v_mov_b32_e32 v10, v7
	v_mov_b32_e32 v24, v11
	v_bfe_u32 v8, v4, 24, 7
	s_mov_b32 s22, exec_lo
	v_mov_b32_e32 v23, v10
	v_cmpx_ne_u32_e32 0x7f, v8
	s_cbranch_execz .LBB243_2423
; %bb.2420:                             ;   in Loop: Header=BB243_2086 Depth=1
	v_and_b32_sdwa v6, v4, v30 dst_sel:DWORD dst_unused:UNUSED_PAD src0_sel:BYTE_3 src1_sel:DWORD
	v_lshrrev_b32_e32 v5, 3, v8
	s_mov_b32 s23, exec_lo
	v_cmpx_gt_u32_e32 8, v8
; %bb.2421:                             ;   in Loop: Header=BB243_2086 Depth=1
	v_ffbh_u32_e32 v5, v6
	v_min_u32_e32 v5, 32, v5
	v_subrev_nc_u32_e32 v8, 28, v5
	v_sub_nc_u32_e32 v5, 29, v5
	v_lshlrev_b64 v[23:24], v8, v[6:7]
	v_and_b32_e32 v6, 7, v23
; %bb.2422:                             ;   in Loop: Header=BB243_2086 Depth=1
	s_or_b32 exec_lo, exec_lo, s23
	v_lshlrev_b32_sdwa v4, v79, v4 dst_sel:DWORD dst_unused:UNUSED_PAD src0_sel:DWORD src1_sel:BYTE_3
	v_lshlrev_b32_e32 v6, 20, v6
	v_lshl_add_u32 v5, v5, 23, 0x3c000000
	v_mov_b32_e32 v23, v7
	v_and_b32_e32 v4, 0x80000000, v4
	v_or3_b32 v24, v6, v4, v5
.LBB243_2423:                           ;   in Loop: Header=BB243_2086 Depth=1
	s_or_b32 exec_lo, exec_lo, s22
.LBB243_2424:                           ;   in Loop: Header=BB243_2086 Depth=1
	s_or_b32 exec_lo, exec_lo, s21
.LBB243_2425:                           ;   in Loop: Header=BB243_2086 Depth=1
	s_or_b32 exec_lo, exec_lo, s19
	v_or_b32_e32 v4, v22, v20
	v_or_b32_e32 v5, v21, v19
	;; [unrolled: 1-line block ×4, first 2 shown]
	v_mul_f32_e32 v4, v106, v4
	buffer_store_dword v4, off, s[0:3], s32 offset:548 ; 4-byte Folded Spill
	v_mul_f32_e32 v4, v106, v5
	buffer_store_dword v4, off, s[0:3], s32 offset:540 ; 4-byte Folded Spill
	;; [unrolled: 2-line block ×4, first 2 shown]
	s_and_saveexec_b32 s8, vcc_lo
	s_cbranch_execz .LBB243_2427
; %bb.2426:                             ;   in Loop: Header=BB243_2086 Depth=1
	buffer_load_dword v4, off, s[0:3], s32 offset:540 ; 4-byte Folded Reload
	s_waitcnt vmcnt(0)
	v_cndmask_b32_e64 v4, 0, v4, s4
	buffer_store_dword v4, off, s[0:3], s32 offset:540 ; 4-byte Folded Spill
	buffer_load_dword v4, off, s[0:3], s32 offset:548 ; 4-byte Folded Reload
	s_waitcnt vmcnt(0)
	v_cndmask_b32_e64 v4, 0, v4, s5
	buffer_store_dword v4, off, s[0:3], s32 offset:548 ; 4-byte Folded Spill
	;; [unrolled: 4-line block ×4, first 2 shown]
.LBB243_2427:                           ;   in Loop: Header=BB243_2086 Depth=1
	s_or_b32 exec_lo, exec_lo, s8
	flat_load_dword v4, v[17:18] offset:1280
	v_mov_b32_e32 v21, 0
	v_mov_b32_e32 v19, 0
	v_mov_b32_e32 v22, 0
	v_mov_b32_e32 v20, 0
	s_waitcnt vmcnt(0) lgkmcnt(0)
	v_cmp_ne_u16_sdwa s8, v4, v7 src0_sel:BYTE_0 src1_sel:DWORD
	s_and_saveexec_b32 s19, s8
	s_cbranch_execz .LBB243_2435
; %bb.2428:                             ;   in Loop: Header=BB243_2086 Depth=1
	v_bfrev_b32_e32 v19, 1
	v_mov_b32_e32 v20, 0
	v_cmp_ne_u16_sdwa s8, v4, v75 src0_sel:BYTE_0 src1_sel:DWORD
	s_and_saveexec_b32 s21, s8
	s_cbranch_execz .LBB243_2434
; %bb.2429:                             ;   in Loop: Header=BB243_2086 Depth=1
	v_mov_b32_e32 v19, 0x7f800001
	v_and_b32_e32 v8, 0x7f, v4
	v_mov_b32_e32 v20, 0
	s_mov_b32 s22, exec_lo
	v_cmpx_ne_u32_e32 0x7f, v8
	s_cbranch_execz .LBB243_2433
; %bb.2430:                             ;   in Loop: Header=BB243_2086 Depth=1
	v_and_b32_e32 v6, 7, v4
	v_lshrrev_b32_e32 v5, 3, v8
	s_mov_b32 s23, exec_lo
	v_cmpx_gt_u32_e32 8, v8
; %bb.2431:                             ;   in Loop: Header=BB243_2086 Depth=1
	v_ffbh_u32_e32 v5, v6
	v_min_u32_e32 v5, 32, v5
	v_subrev_nc_u32_e32 v8, 28, v5
	v_sub_nc_u32_e32 v5, 29, v5
	v_lshlrev_b64 v[19:20], v8, v[6:7]
	v_and_b32_e32 v6, 7, v19
; %bb.2432:                             ;   in Loop: Header=BB243_2086 Depth=1
	s_or_b32 exec_lo, exec_lo, s23
	v_lshlrev_b32_e32 v8, 24, v4
	v_lshlrev_b32_e32 v6, 20, v6
	v_lshl_add_u32 v5, v5, 23, 0x3c000000
	v_and_b32_e32 v8, 0x80000000, v8
	v_or3_b32 v6, v6, v8, v5
	v_mov_b32_e32 v20, v7
	v_mov_b32_e32 v19, v6
.LBB243_2433:                           ;   in Loop: Header=BB243_2086 Depth=1
	s_or_b32 exec_lo, exec_lo, s22
.LBB243_2434:                           ;   in Loop: Header=BB243_2086 Depth=1
	s_or_b32 exec_lo, exec_lo, s21
.LBB243_2435:                           ;   in Loop: Header=BB243_2086 Depth=1
	s_or_b32 exec_lo, exec_lo, s19
	v_cmp_ne_u16_sdwa s8, v4, v7 src0_sel:BYTE_1 src1_sel:DWORD
	s_and_saveexec_b32 s19, s8
	s_cbranch_execz .LBB243_2443
; %bb.2436:                             ;   in Loop: Header=BB243_2086 Depth=1
	v_mov_b32_e32 v8, v7
	v_mov_b32_e32 v22, v9
	v_cmp_ne_u16_sdwa s8, v4, v75 src0_sel:BYTE_1 src1_sel:DWORD
	v_mov_b32_e32 v21, v8
	s_and_saveexec_b32 s21, s8
	s_cbranch_execz .LBB243_2442
; %bb.2437:                             ;   in Loop: Header=BB243_2086 Depth=1
	v_mov_b32_e32 v5, 0xffff
	v_mov_b32_e32 v10, v7
	v_mov_b32_e32 v22, v11
	s_mov_b32 s22, exec_lo
	v_and_b32_sdwa v5, v5, v4 dst_sel:DWORD dst_unused:UNUSED_PAD src0_sel:DWORD src1_sel:BYTE_1
	v_mov_b32_e32 v21, v10
	v_and_b32_e32 v8, 0x7f, v5
	v_cmpx_ne_u32_e32 0x7f, v8
	s_cbranch_execz .LBB243_2441
; %bb.2438:                             ;   in Loop: Header=BB243_2086 Depth=1
	v_and_b32_e32 v6, 7, v5
	v_lshrrev_b32_e32 v5, 3, v8
	s_mov_b32 s23, exec_lo
	v_cmpx_gt_u32_e32 8, v8
; %bb.2439:                             ;   in Loop: Header=BB243_2086 Depth=1
	v_ffbh_u32_e32 v5, v6
	v_min_u32_e32 v5, 32, v5
	v_subrev_nc_u32_e32 v8, 28, v5
	v_sub_nc_u32_e32 v5, 29, v5
	v_lshlrev_b64 v[21:22], v8, v[6:7]
	v_and_b32_e32 v6, 7, v21
; %bb.2440:                             ;   in Loop: Header=BB243_2086 Depth=1
	s_or_b32 exec_lo, exec_lo, s23
	v_lshlrev_b32_e32 v8, 16, v4
	v_lshlrev_b32_e32 v6, 20, v6
	v_lshl_add_u32 v5, v5, 23, 0x3c000000
	v_mov_b32_e32 v21, v7
	v_and_b32_e32 v8, 0x80000000, v8
	v_or3_b32 v22, v6, v8, v5
.LBB243_2441:                           ;   in Loop: Header=BB243_2086 Depth=1
	s_or_b32 exec_lo, exec_lo, s22
.LBB243_2442:                           ;   in Loop: Header=BB243_2086 Depth=1
	s_or_b32 exec_lo, exec_lo, s21
.LBB243_2443:                           ;   in Loop: Header=BB243_2086 Depth=1
	s_or_b32 exec_lo, exec_lo, s19
	v_mov_b32_e32 v23, 0
	v_mov_b32_e32 v25, 0
	v_and_b32_sdwa v5, v4, v77 dst_sel:DWORD dst_unused:UNUSED_PAD src0_sel:WORD_1 src1_sel:DWORD
	v_mov_b32_e32 v24, 0
	v_mov_b32_e32 v26, 0
	s_mov_b32 s19, exec_lo
	v_cmpx_ne_u16_e32 0, v5
	s_cbranch_execz .LBB243_2451
; %bb.2444:                             ;   in Loop: Header=BB243_2086 Depth=1
	v_bfrev_b32_e32 v25, 1
	v_mov_b32_e32 v26, 0
	s_mov_b32 s21, exec_lo
	v_cmpx_ne_u16_e32 0x80, v5
	s_cbranch_execz .LBB243_2450
; %bb.2445:                             ;   in Loop: Header=BB243_2086 Depth=1
	v_mov_b32_e32 v25, 0x7f800001
	v_bfe_u32 v8, v4, 16, 7
	v_mov_b32_e32 v26, 0
	s_mov_b32 s22, exec_lo
	v_cmpx_ne_u32_e32 0x7f, v8
	s_cbranch_execz .LBB243_2449
; %bb.2446:                             ;   in Loop: Header=BB243_2086 Depth=1
	v_and_b32_sdwa v6, v4, v30 dst_sel:DWORD dst_unused:UNUSED_PAD src0_sel:WORD_1 src1_sel:DWORD
	v_lshrrev_b32_e32 v5, 3, v8
	s_mov_b32 s23, exec_lo
	v_cmpx_gt_u32_e32 8, v8
; %bb.2447:                             ;   in Loop: Header=BB243_2086 Depth=1
	v_ffbh_u32_e32 v5, v6
	v_min_u32_e32 v5, 32, v5
	v_subrev_nc_u32_e32 v8, 28, v5
	v_sub_nc_u32_e32 v5, 29, v5
	v_lshlrev_b64 v[25:26], v8, v[6:7]
	v_and_b32_e32 v6, 7, v25
; %bb.2448:                             ;   in Loop: Header=BB243_2086 Depth=1
	s_or_b32 exec_lo, exec_lo, s23
	v_lshlrev_b32_sdwa v8, v79, v4 dst_sel:DWORD dst_unused:UNUSED_PAD src0_sel:DWORD src1_sel:WORD_1
	v_lshlrev_b32_e32 v6, 20, v6
	v_lshl_add_u32 v5, v5, 23, 0x3c000000
	v_and_b32_e32 v8, 0x80000000, v8
	v_or3_b32 v6, v6, v8, v5
	v_mov_b32_e32 v26, v7
	v_mov_b32_e32 v25, v6
.LBB243_2449:                           ;   in Loop: Header=BB243_2086 Depth=1
	s_or_b32 exec_lo, exec_lo, s22
.LBB243_2450:                           ;   in Loop: Header=BB243_2086 Depth=1
	s_or_b32 exec_lo, exec_lo, s21
.LBB243_2451:                           ;   in Loop: Header=BB243_2086 Depth=1
	s_or_b32 exec_lo, exec_lo, s19
	s_mov_b32 s19, exec_lo
	v_cmpx_lt_u32_e32 0xffffff, v4
	s_cbranch_execz .LBB243_2459
; %bb.2452:                             ;   in Loop: Header=BB243_2086 Depth=1
	v_mov_b32_e32 v8, v7
	v_mov_b32_e32 v24, v9
	v_cmp_ne_u32_sdwa s8, v4, v75 src0_sel:BYTE_3 src1_sel:DWORD
	v_mov_b32_e32 v23, v8
	s_and_saveexec_b32 s21, s8
	s_cbranch_execz .LBB243_2458
; %bb.2453:                             ;   in Loop: Header=BB243_2086 Depth=1
	v_mov_b32_e32 v10, v7
	v_mov_b32_e32 v24, v11
	v_bfe_u32 v8, v4, 24, 7
	s_mov_b32 s22, exec_lo
	v_mov_b32_e32 v23, v10
	v_cmpx_ne_u32_e32 0x7f, v8
	s_cbranch_execz .LBB243_2457
; %bb.2454:                             ;   in Loop: Header=BB243_2086 Depth=1
	v_and_b32_sdwa v6, v4, v30 dst_sel:DWORD dst_unused:UNUSED_PAD src0_sel:BYTE_3 src1_sel:DWORD
	v_lshrrev_b32_e32 v5, 3, v8
	s_mov_b32 s23, exec_lo
	v_cmpx_gt_u32_e32 8, v8
; %bb.2455:                             ;   in Loop: Header=BB243_2086 Depth=1
	v_ffbh_u32_e32 v5, v6
	v_min_u32_e32 v5, 32, v5
	v_subrev_nc_u32_e32 v8, 28, v5
	v_sub_nc_u32_e32 v5, 29, v5
	v_lshlrev_b64 v[23:24], v8, v[6:7]
	v_and_b32_e32 v6, 7, v23
; %bb.2456:                             ;   in Loop: Header=BB243_2086 Depth=1
	s_or_b32 exec_lo, exec_lo, s23
	v_lshlrev_b32_sdwa v4, v79, v4 dst_sel:DWORD dst_unused:UNUSED_PAD src0_sel:DWORD src1_sel:BYTE_3
	v_lshlrev_b32_e32 v6, 20, v6
	v_lshl_add_u32 v5, v5, 23, 0x3c000000
	v_mov_b32_e32 v23, v7
	v_and_b32_e32 v4, 0x80000000, v4
	v_or3_b32 v24, v6, v4, v5
.LBB243_2457:                           ;   in Loop: Header=BB243_2086 Depth=1
	s_or_b32 exec_lo, exec_lo, s22
.LBB243_2458:                           ;   in Loop: Header=BB243_2086 Depth=1
	s_or_b32 exec_lo, exec_lo, s21
.LBB243_2459:                           ;   in Loop: Header=BB243_2086 Depth=1
	s_or_b32 exec_lo, exec_lo, s19
	v_or_b32_e32 v4, v22, v20
	v_or_b32_e32 v5, v21, v19
	;; [unrolled: 1-line block ×4, first 2 shown]
	v_mul_f32_e32 v4, v106, v4
	buffer_store_dword v4, off, s[0:3], s32 offset:580 ; 4-byte Folded Spill
	v_mul_f32_e32 v4, v106, v5
	buffer_store_dword v4, off, s[0:3], s32 offset:572 ; 4-byte Folded Spill
	;; [unrolled: 2-line block ×4, first 2 shown]
	s_and_saveexec_b32 s8, vcc_lo
	s_cbranch_execz .LBB243_2461
; %bb.2460:                             ;   in Loop: Header=BB243_2086 Depth=1
	buffer_load_dword v4, off, s[0:3], s32 offset:572 ; 4-byte Folded Reload
	s_waitcnt vmcnt(0)
	v_cndmask_b32_e64 v4, 0, v4, s4
	buffer_store_dword v4, off, s[0:3], s32 offset:572 ; 4-byte Folded Spill
	buffer_load_dword v4, off, s[0:3], s32 offset:580 ; 4-byte Folded Reload
	s_waitcnt vmcnt(0)
	v_cndmask_b32_e64 v4, 0, v4, s5
	buffer_store_dword v4, off, s[0:3], s32 offset:580 ; 4-byte Folded Spill
	;; [unrolled: 4-line block ×4, first 2 shown]
.LBB243_2461:                           ;   in Loop: Header=BB243_2086 Depth=1
	s_or_b32 exec_lo, exec_lo, s8
	flat_load_dword v4, v[17:18] offset:1408
	v_mov_b32_e32 v21, 0
	v_mov_b32_e32 v19, 0
	;; [unrolled: 1-line block ×4, first 2 shown]
	s_waitcnt vmcnt(0) lgkmcnt(0)
	v_cmp_ne_u16_sdwa s8, v4, v7 src0_sel:BYTE_0 src1_sel:DWORD
	s_and_saveexec_b32 s19, s8
	s_cbranch_execz .LBB243_2469
; %bb.2462:                             ;   in Loop: Header=BB243_2086 Depth=1
	v_bfrev_b32_e32 v19, 1
	v_mov_b32_e32 v20, 0
	v_cmp_ne_u16_sdwa s8, v4, v75 src0_sel:BYTE_0 src1_sel:DWORD
	s_and_saveexec_b32 s21, s8
	s_cbranch_execz .LBB243_2468
; %bb.2463:                             ;   in Loop: Header=BB243_2086 Depth=1
	v_mov_b32_e32 v19, 0x7f800001
	v_and_b32_e32 v8, 0x7f, v4
	v_mov_b32_e32 v20, 0
	s_mov_b32 s22, exec_lo
	v_cmpx_ne_u32_e32 0x7f, v8
	s_cbranch_execz .LBB243_2467
; %bb.2464:                             ;   in Loop: Header=BB243_2086 Depth=1
	v_and_b32_e32 v6, 7, v4
	v_lshrrev_b32_e32 v5, 3, v8
	s_mov_b32 s23, exec_lo
	v_cmpx_gt_u32_e32 8, v8
; %bb.2465:                             ;   in Loop: Header=BB243_2086 Depth=1
	v_ffbh_u32_e32 v5, v6
	v_min_u32_e32 v5, 32, v5
	v_subrev_nc_u32_e32 v8, 28, v5
	v_sub_nc_u32_e32 v5, 29, v5
	v_lshlrev_b64 v[19:20], v8, v[6:7]
	v_and_b32_e32 v6, 7, v19
; %bb.2466:                             ;   in Loop: Header=BB243_2086 Depth=1
	s_or_b32 exec_lo, exec_lo, s23
	v_lshlrev_b32_e32 v8, 24, v4
	v_lshlrev_b32_e32 v6, 20, v6
	v_lshl_add_u32 v5, v5, 23, 0x3c000000
	v_and_b32_e32 v8, 0x80000000, v8
	v_or3_b32 v6, v6, v8, v5
	v_mov_b32_e32 v20, v7
	v_mov_b32_e32 v19, v6
.LBB243_2467:                           ;   in Loop: Header=BB243_2086 Depth=1
	s_or_b32 exec_lo, exec_lo, s22
.LBB243_2468:                           ;   in Loop: Header=BB243_2086 Depth=1
	s_or_b32 exec_lo, exec_lo, s21
.LBB243_2469:                           ;   in Loop: Header=BB243_2086 Depth=1
	s_or_b32 exec_lo, exec_lo, s19
	v_cmp_ne_u16_sdwa s8, v4, v7 src0_sel:BYTE_1 src1_sel:DWORD
	s_and_saveexec_b32 s19, s8
	s_cbranch_execz .LBB243_2477
; %bb.2470:                             ;   in Loop: Header=BB243_2086 Depth=1
	v_mov_b32_e32 v8, v7
	v_mov_b32_e32 v22, v9
	v_cmp_ne_u16_sdwa s8, v4, v75 src0_sel:BYTE_1 src1_sel:DWORD
	v_mov_b32_e32 v21, v8
	s_and_saveexec_b32 s21, s8
	s_cbranch_execz .LBB243_2476
; %bb.2471:                             ;   in Loop: Header=BB243_2086 Depth=1
	v_mov_b32_e32 v5, 0xffff
	v_mov_b32_e32 v10, v7
	;; [unrolled: 1-line block ×3, first 2 shown]
	s_mov_b32 s22, exec_lo
	v_and_b32_sdwa v5, v5, v4 dst_sel:DWORD dst_unused:UNUSED_PAD src0_sel:DWORD src1_sel:BYTE_1
	v_mov_b32_e32 v21, v10
	v_and_b32_e32 v8, 0x7f, v5
	v_cmpx_ne_u32_e32 0x7f, v8
	s_cbranch_execz .LBB243_2475
; %bb.2472:                             ;   in Loop: Header=BB243_2086 Depth=1
	v_and_b32_e32 v6, 7, v5
	v_lshrrev_b32_e32 v5, 3, v8
	s_mov_b32 s23, exec_lo
	v_cmpx_gt_u32_e32 8, v8
; %bb.2473:                             ;   in Loop: Header=BB243_2086 Depth=1
	v_ffbh_u32_e32 v5, v6
	v_min_u32_e32 v5, 32, v5
	v_subrev_nc_u32_e32 v8, 28, v5
	v_sub_nc_u32_e32 v5, 29, v5
	v_lshlrev_b64 v[21:22], v8, v[6:7]
	v_and_b32_e32 v6, 7, v21
; %bb.2474:                             ;   in Loop: Header=BB243_2086 Depth=1
	s_or_b32 exec_lo, exec_lo, s23
	v_lshlrev_b32_e32 v8, 16, v4
	v_lshlrev_b32_e32 v6, 20, v6
	v_lshl_add_u32 v5, v5, 23, 0x3c000000
	v_mov_b32_e32 v21, v7
	v_and_b32_e32 v8, 0x80000000, v8
	v_or3_b32 v22, v6, v8, v5
.LBB243_2475:                           ;   in Loop: Header=BB243_2086 Depth=1
	s_or_b32 exec_lo, exec_lo, s22
.LBB243_2476:                           ;   in Loop: Header=BB243_2086 Depth=1
	s_or_b32 exec_lo, exec_lo, s21
.LBB243_2477:                           ;   in Loop: Header=BB243_2086 Depth=1
	s_or_b32 exec_lo, exec_lo, s19
	v_mov_b32_e32 v23, 0
	v_mov_b32_e32 v25, 0
	v_and_b32_sdwa v5, v4, v77 dst_sel:DWORD dst_unused:UNUSED_PAD src0_sel:WORD_1 src1_sel:DWORD
	v_mov_b32_e32 v24, 0
	v_mov_b32_e32 v26, 0
	s_mov_b32 s19, exec_lo
	v_cmpx_ne_u16_e32 0, v5
	s_cbranch_execz .LBB243_2485
; %bb.2478:                             ;   in Loop: Header=BB243_2086 Depth=1
	v_bfrev_b32_e32 v25, 1
	v_mov_b32_e32 v26, 0
	s_mov_b32 s21, exec_lo
	v_cmpx_ne_u16_e32 0x80, v5
	s_cbranch_execz .LBB243_2484
; %bb.2479:                             ;   in Loop: Header=BB243_2086 Depth=1
	v_mov_b32_e32 v25, 0x7f800001
	v_bfe_u32 v8, v4, 16, 7
	v_mov_b32_e32 v26, 0
	s_mov_b32 s22, exec_lo
	v_cmpx_ne_u32_e32 0x7f, v8
	s_cbranch_execz .LBB243_2483
; %bb.2480:                             ;   in Loop: Header=BB243_2086 Depth=1
	v_and_b32_sdwa v6, v4, v30 dst_sel:DWORD dst_unused:UNUSED_PAD src0_sel:WORD_1 src1_sel:DWORD
	v_lshrrev_b32_e32 v5, 3, v8
	s_mov_b32 s23, exec_lo
	v_cmpx_gt_u32_e32 8, v8
; %bb.2481:                             ;   in Loop: Header=BB243_2086 Depth=1
	v_ffbh_u32_e32 v5, v6
	v_min_u32_e32 v5, 32, v5
	v_subrev_nc_u32_e32 v8, 28, v5
	v_sub_nc_u32_e32 v5, 29, v5
	v_lshlrev_b64 v[25:26], v8, v[6:7]
	v_and_b32_e32 v6, 7, v25
; %bb.2482:                             ;   in Loop: Header=BB243_2086 Depth=1
	s_or_b32 exec_lo, exec_lo, s23
	v_lshlrev_b32_sdwa v8, v79, v4 dst_sel:DWORD dst_unused:UNUSED_PAD src0_sel:DWORD src1_sel:WORD_1
	v_lshlrev_b32_e32 v6, 20, v6
	v_lshl_add_u32 v5, v5, 23, 0x3c000000
	v_and_b32_e32 v8, 0x80000000, v8
	v_or3_b32 v6, v6, v8, v5
	v_mov_b32_e32 v26, v7
	v_mov_b32_e32 v25, v6
.LBB243_2483:                           ;   in Loop: Header=BB243_2086 Depth=1
	s_or_b32 exec_lo, exec_lo, s22
.LBB243_2484:                           ;   in Loop: Header=BB243_2086 Depth=1
	s_or_b32 exec_lo, exec_lo, s21
.LBB243_2485:                           ;   in Loop: Header=BB243_2086 Depth=1
	s_or_b32 exec_lo, exec_lo, s19
	s_mov_b32 s19, exec_lo
	v_cmpx_lt_u32_e32 0xffffff, v4
	s_cbranch_execz .LBB243_2493
; %bb.2486:                             ;   in Loop: Header=BB243_2086 Depth=1
	v_mov_b32_e32 v8, v7
	v_mov_b32_e32 v24, v9
	v_cmp_ne_u32_sdwa s8, v4, v75 src0_sel:BYTE_3 src1_sel:DWORD
	v_mov_b32_e32 v23, v8
	s_and_saveexec_b32 s21, s8
	s_cbranch_execz .LBB243_2492
; %bb.2487:                             ;   in Loop: Header=BB243_2086 Depth=1
	v_mov_b32_e32 v10, v7
	v_mov_b32_e32 v24, v11
	v_bfe_u32 v8, v4, 24, 7
	s_mov_b32 s22, exec_lo
	v_mov_b32_e32 v23, v10
	v_cmpx_ne_u32_e32 0x7f, v8
	s_cbranch_execz .LBB243_2491
; %bb.2488:                             ;   in Loop: Header=BB243_2086 Depth=1
	v_and_b32_sdwa v6, v4, v30 dst_sel:DWORD dst_unused:UNUSED_PAD src0_sel:BYTE_3 src1_sel:DWORD
	v_lshrrev_b32_e32 v5, 3, v8
	s_mov_b32 s23, exec_lo
	v_cmpx_gt_u32_e32 8, v8
; %bb.2489:                             ;   in Loop: Header=BB243_2086 Depth=1
	v_ffbh_u32_e32 v5, v6
	v_min_u32_e32 v5, 32, v5
	v_subrev_nc_u32_e32 v8, 28, v5
	v_sub_nc_u32_e32 v5, 29, v5
	v_lshlrev_b64 v[23:24], v8, v[6:7]
	v_and_b32_e32 v6, 7, v23
; %bb.2490:                             ;   in Loop: Header=BB243_2086 Depth=1
	s_or_b32 exec_lo, exec_lo, s23
	v_lshlrev_b32_sdwa v4, v79, v4 dst_sel:DWORD dst_unused:UNUSED_PAD src0_sel:DWORD src1_sel:BYTE_3
	v_lshlrev_b32_e32 v6, 20, v6
	v_lshl_add_u32 v5, v5, 23, 0x3c000000
	v_mov_b32_e32 v23, v7
	v_and_b32_e32 v4, 0x80000000, v4
	v_or3_b32 v24, v6, v4, v5
.LBB243_2491:                           ;   in Loop: Header=BB243_2086 Depth=1
	s_or_b32 exec_lo, exec_lo, s22
.LBB243_2492:                           ;   in Loop: Header=BB243_2086 Depth=1
	s_or_b32 exec_lo, exec_lo, s21
.LBB243_2493:                           ;   in Loop: Header=BB243_2086 Depth=1
	s_or_b32 exec_lo, exec_lo, s19
	v_or_b32_e32 v4, v22, v20
	v_or_b32_e32 v5, v21, v19
	;; [unrolled: 1-line block ×4, first 2 shown]
	v_mul_f32_e32 v4, v106, v4
	buffer_store_dword v4, off, s[0:3], s32 offset:612 ; 4-byte Folded Spill
	v_mul_f32_e32 v4, v106, v5
	buffer_store_dword v4, off, s[0:3], s32 offset:604 ; 4-byte Folded Spill
	v_mul_f32_e32 v4, v106, v6
	buffer_store_dword v4, off, s[0:3], s32 offset:596 ; 4-byte Folded Spill
	v_mul_f32_e32 v4, v106, v8
	buffer_store_dword v4, off, s[0:3], s32 offset:588 ; 4-byte Folded Spill
	s_and_saveexec_b32 s8, vcc_lo
	s_cbranch_execz .LBB243_2495
; %bb.2494:                             ;   in Loop: Header=BB243_2086 Depth=1
	buffer_load_dword v4, off, s[0:3], s32 offset:604 ; 4-byte Folded Reload
	s_waitcnt vmcnt(0)
	v_cndmask_b32_e64 v4, 0, v4, s4
	buffer_store_dword v4, off, s[0:3], s32 offset:604 ; 4-byte Folded Spill
	buffer_load_dword v4, off, s[0:3], s32 offset:612 ; 4-byte Folded Reload
	s_waitcnt vmcnt(0)
	v_cndmask_b32_e64 v4, 0, v4, s5
	buffer_store_dword v4, off, s[0:3], s32 offset:612 ; 4-byte Folded Spill
	;; [unrolled: 4-line block ×4, first 2 shown]
.LBB243_2495:                           ;   in Loop: Header=BB243_2086 Depth=1
	s_or_b32 exec_lo, exec_lo, s8
	flat_load_dword v4, v[17:18] offset:1536
	v_mov_b32_e32 v21, 0
	v_mov_b32_e32 v19, 0
	v_mov_b32_e32 v22, 0
	v_mov_b32_e32 v20, 0
	s_waitcnt vmcnt(0) lgkmcnt(0)
	v_cmp_ne_u16_sdwa s8, v4, v7 src0_sel:BYTE_0 src1_sel:DWORD
	s_and_saveexec_b32 s19, s8
	s_cbranch_execz .LBB243_2503
; %bb.2496:                             ;   in Loop: Header=BB243_2086 Depth=1
	v_bfrev_b32_e32 v19, 1
	v_mov_b32_e32 v20, 0
	v_cmp_ne_u16_sdwa s8, v4, v75 src0_sel:BYTE_0 src1_sel:DWORD
	s_and_saveexec_b32 s21, s8
	s_cbranch_execz .LBB243_2502
; %bb.2497:                             ;   in Loop: Header=BB243_2086 Depth=1
	v_mov_b32_e32 v19, 0x7f800001
	v_and_b32_e32 v8, 0x7f, v4
	v_mov_b32_e32 v20, 0
	s_mov_b32 s22, exec_lo
	v_cmpx_ne_u32_e32 0x7f, v8
	s_cbranch_execz .LBB243_2501
; %bb.2498:                             ;   in Loop: Header=BB243_2086 Depth=1
	v_and_b32_e32 v6, 7, v4
	v_lshrrev_b32_e32 v5, 3, v8
	s_mov_b32 s23, exec_lo
	v_cmpx_gt_u32_e32 8, v8
; %bb.2499:                             ;   in Loop: Header=BB243_2086 Depth=1
	v_ffbh_u32_e32 v5, v6
	v_min_u32_e32 v5, 32, v5
	v_subrev_nc_u32_e32 v8, 28, v5
	v_sub_nc_u32_e32 v5, 29, v5
	v_lshlrev_b64 v[19:20], v8, v[6:7]
	v_and_b32_e32 v6, 7, v19
; %bb.2500:                             ;   in Loop: Header=BB243_2086 Depth=1
	s_or_b32 exec_lo, exec_lo, s23
	v_lshlrev_b32_e32 v8, 24, v4
	v_lshlrev_b32_e32 v6, 20, v6
	v_lshl_add_u32 v5, v5, 23, 0x3c000000
	v_and_b32_e32 v8, 0x80000000, v8
	v_or3_b32 v6, v6, v8, v5
	v_mov_b32_e32 v20, v7
	v_mov_b32_e32 v19, v6
.LBB243_2501:                           ;   in Loop: Header=BB243_2086 Depth=1
	s_or_b32 exec_lo, exec_lo, s22
.LBB243_2502:                           ;   in Loop: Header=BB243_2086 Depth=1
	s_or_b32 exec_lo, exec_lo, s21
.LBB243_2503:                           ;   in Loop: Header=BB243_2086 Depth=1
	s_or_b32 exec_lo, exec_lo, s19
	v_cmp_ne_u16_sdwa s8, v4, v7 src0_sel:BYTE_1 src1_sel:DWORD
	s_and_saveexec_b32 s19, s8
	s_cbranch_execz .LBB243_2511
; %bb.2504:                             ;   in Loop: Header=BB243_2086 Depth=1
	v_mov_b32_e32 v8, v7
	v_mov_b32_e32 v22, v9
	v_cmp_ne_u16_sdwa s8, v4, v75 src0_sel:BYTE_1 src1_sel:DWORD
	v_mov_b32_e32 v21, v8
	s_and_saveexec_b32 s21, s8
	s_cbranch_execz .LBB243_2510
; %bb.2505:                             ;   in Loop: Header=BB243_2086 Depth=1
	v_mov_b32_e32 v5, 0xffff
	v_mov_b32_e32 v10, v7
	;; [unrolled: 1-line block ×3, first 2 shown]
	s_mov_b32 s22, exec_lo
	v_and_b32_sdwa v5, v5, v4 dst_sel:DWORD dst_unused:UNUSED_PAD src0_sel:DWORD src1_sel:BYTE_1
	v_mov_b32_e32 v21, v10
	v_and_b32_e32 v8, 0x7f, v5
	v_cmpx_ne_u32_e32 0x7f, v8
	s_cbranch_execz .LBB243_2509
; %bb.2506:                             ;   in Loop: Header=BB243_2086 Depth=1
	v_and_b32_e32 v6, 7, v5
	v_lshrrev_b32_e32 v5, 3, v8
	s_mov_b32 s23, exec_lo
	v_cmpx_gt_u32_e32 8, v8
; %bb.2507:                             ;   in Loop: Header=BB243_2086 Depth=1
	v_ffbh_u32_e32 v5, v6
	v_min_u32_e32 v5, 32, v5
	v_subrev_nc_u32_e32 v8, 28, v5
	v_sub_nc_u32_e32 v5, 29, v5
	v_lshlrev_b64 v[21:22], v8, v[6:7]
	v_and_b32_e32 v6, 7, v21
; %bb.2508:                             ;   in Loop: Header=BB243_2086 Depth=1
	s_or_b32 exec_lo, exec_lo, s23
	v_lshlrev_b32_e32 v8, 16, v4
	v_lshlrev_b32_e32 v6, 20, v6
	v_lshl_add_u32 v5, v5, 23, 0x3c000000
	v_mov_b32_e32 v21, v7
	v_and_b32_e32 v8, 0x80000000, v8
	v_or3_b32 v22, v6, v8, v5
.LBB243_2509:                           ;   in Loop: Header=BB243_2086 Depth=1
	s_or_b32 exec_lo, exec_lo, s22
.LBB243_2510:                           ;   in Loop: Header=BB243_2086 Depth=1
	s_or_b32 exec_lo, exec_lo, s21
.LBB243_2511:                           ;   in Loop: Header=BB243_2086 Depth=1
	s_or_b32 exec_lo, exec_lo, s19
	v_mov_b32_e32 v23, 0
	v_mov_b32_e32 v25, 0
	v_and_b32_sdwa v5, v4, v77 dst_sel:DWORD dst_unused:UNUSED_PAD src0_sel:WORD_1 src1_sel:DWORD
	v_mov_b32_e32 v24, 0
	v_mov_b32_e32 v26, 0
	s_mov_b32 s19, exec_lo
	v_cmpx_ne_u16_e32 0, v5
	s_cbranch_execz .LBB243_2519
; %bb.2512:                             ;   in Loop: Header=BB243_2086 Depth=1
	v_bfrev_b32_e32 v25, 1
	v_mov_b32_e32 v26, 0
	s_mov_b32 s21, exec_lo
	v_cmpx_ne_u16_e32 0x80, v5
	s_cbranch_execz .LBB243_2518
; %bb.2513:                             ;   in Loop: Header=BB243_2086 Depth=1
	v_mov_b32_e32 v25, 0x7f800001
	v_bfe_u32 v8, v4, 16, 7
	v_mov_b32_e32 v26, 0
	s_mov_b32 s22, exec_lo
	v_cmpx_ne_u32_e32 0x7f, v8
	s_cbranch_execz .LBB243_2517
; %bb.2514:                             ;   in Loop: Header=BB243_2086 Depth=1
	v_and_b32_sdwa v6, v4, v30 dst_sel:DWORD dst_unused:UNUSED_PAD src0_sel:WORD_1 src1_sel:DWORD
	v_lshrrev_b32_e32 v5, 3, v8
	s_mov_b32 s23, exec_lo
	v_cmpx_gt_u32_e32 8, v8
; %bb.2515:                             ;   in Loop: Header=BB243_2086 Depth=1
	v_ffbh_u32_e32 v5, v6
	v_min_u32_e32 v5, 32, v5
	v_subrev_nc_u32_e32 v8, 28, v5
	v_sub_nc_u32_e32 v5, 29, v5
	v_lshlrev_b64 v[25:26], v8, v[6:7]
	v_and_b32_e32 v6, 7, v25
; %bb.2516:                             ;   in Loop: Header=BB243_2086 Depth=1
	s_or_b32 exec_lo, exec_lo, s23
	v_lshlrev_b32_sdwa v8, v79, v4 dst_sel:DWORD dst_unused:UNUSED_PAD src0_sel:DWORD src1_sel:WORD_1
	v_lshlrev_b32_e32 v6, 20, v6
	v_lshl_add_u32 v5, v5, 23, 0x3c000000
	v_and_b32_e32 v8, 0x80000000, v8
	v_or3_b32 v6, v6, v8, v5
	v_mov_b32_e32 v26, v7
	v_mov_b32_e32 v25, v6
.LBB243_2517:                           ;   in Loop: Header=BB243_2086 Depth=1
	s_or_b32 exec_lo, exec_lo, s22
.LBB243_2518:                           ;   in Loop: Header=BB243_2086 Depth=1
	s_or_b32 exec_lo, exec_lo, s21
.LBB243_2519:                           ;   in Loop: Header=BB243_2086 Depth=1
	s_or_b32 exec_lo, exec_lo, s19
	s_mov_b32 s19, exec_lo
	v_cmpx_lt_u32_e32 0xffffff, v4
	s_cbranch_execz .LBB243_2527
; %bb.2520:                             ;   in Loop: Header=BB243_2086 Depth=1
	v_mov_b32_e32 v8, v7
	v_mov_b32_e32 v24, v9
	v_cmp_ne_u32_sdwa s8, v4, v75 src0_sel:BYTE_3 src1_sel:DWORD
	v_mov_b32_e32 v23, v8
	s_and_saveexec_b32 s21, s8
	s_cbranch_execz .LBB243_2526
; %bb.2521:                             ;   in Loop: Header=BB243_2086 Depth=1
	v_mov_b32_e32 v10, v7
	v_mov_b32_e32 v24, v11
	v_bfe_u32 v8, v4, 24, 7
	s_mov_b32 s22, exec_lo
	v_mov_b32_e32 v23, v10
	v_cmpx_ne_u32_e32 0x7f, v8
	s_cbranch_execz .LBB243_2525
; %bb.2522:                             ;   in Loop: Header=BB243_2086 Depth=1
	v_and_b32_sdwa v6, v4, v30 dst_sel:DWORD dst_unused:UNUSED_PAD src0_sel:BYTE_3 src1_sel:DWORD
	v_lshrrev_b32_e32 v5, 3, v8
	s_mov_b32 s23, exec_lo
	v_cmpx_gt_u32_e32 8, v8
; %bb.2523:                             ;   in Loop: Header=BB243_2086 Depth=1
	v_ffbh_u32_e32 v5, v6
	v_min_u32_e32 v5, 32, v5
	v_subrev_nc_u32_e32 v8, 28, v5
	v_sub_nc_u32_e32 v5, 29, v5
	v_lshlrev_b64 v[23:24], v8, v[6:7]
	v_and_b32_e32 v6, 7, v23
; %bb.2524:                             ;   in Loop: Header=BB243_2086 Depth=1
	s_or_b32 exec_lo, exec_lo, s23
	v_lshlrev_b32_sdwa v4, v79, v4 dst_sel:DWORD dst_unused:UNUSED_PAD src0_sel:DWORD src1_sel:BYTE_3
	v_lshlrev_b32_e32 v6, 20, v6
	v_lshl_add_u32 v5, v5, 23, 0x3c000000
	v_mov_b32_e32 v23, v7
	v_and_b32_e32 v4, 0x80000000, v4
	v_or3_b32 v24, v6, v4, v5
.LBB243_2525:                           ;   in Loop: Header=BB243_2086 Depth=1
	s_or_b32 exec_lo, exec_lo, s22
.LBB243_2526:                           ;   in Loop: Header=BB243_2086 Depth=1
	s_or_b32 exec_lo, exec_lo, s21
.LBB243_2527:                           ;   in Loop: Header=BB243_2086 Depth=1
	s_or_b32 exec_lo, exec_lo, s19
	v_or_b32_e32 v4, v22, v20
	v_or_b32_e32 v5, v21, v19
	;; [unrolled: 1-line block ×4, first 2 shown]
	v_mul_f32_e32 v4, v106, v4
	buffer_store_dword v4, off, s[0:3], s32 offset:644 ; 4-byte Folded Spill
	v_mul_f32_e32 v4, v106, v5
	buffer_store_dword v4, off, s[0:3], s32 offset:636 ; 4-byte Folded Spill
	;; [unrolled: 2-line block ×4, first 2 shown]
	s_and_saveexec_b32 s8, vcc_lo
	s_cbranch_execz .LBB243_2529
; %bb.2528:                             ;   in Loop: Header=BB243_2086 Depth=1
	buffer_load_dword v4, off, s[0:3], s32 offset:636 ; 4-byte Folded Reload
	s_waitcnt vmcnt(0)
	v_cndmask_b32_e64 v4, 0, v4, s4
	buffer_store_dword v4, off, s[0:3], s32 offset:636 ; 4-byte Folded Spill
	buffer_load_dword v4, off, s[0:3], s32 offset:644 ; 4-byte Folded Reload
	s_waitcnt vmcnt(0)
	v_cndmask_b32_e64 v4, 0, v4, s5
	buffer_store_dword v4, off, s[0:3], s32 offset:644 ; 4-byte Folded Spill
	;; [unrolled: 4-line block ×4, first 2 shown]
.LBB243_2529:                           ;   in Loop: Header=BB243_2086 Depth=1
	s_or_b32 exec_lo, exec_lo, s8
	flat_load_dword v4, v[17:18] offset:1664
	v_mov_b32_e32 v21, 0
	v_mov_b32_e32 v19, 0
	;; [unrolled: 1-line block ×4, first 2 shown]
	s_waitcnt vmcnt(0) lgkmcnt(0)
	v_cmp_ne_u16_sdwa s8, v4, v7 src0_sel:BYTE_0 src1_sel:DWORD
	s_and_saveexec_b32 s19, s8
	s_cbranch_execz .LBB243_2537
; %bb.2530:                             ;   in Loop: Header=BB243_2086 Depth=1
	v_bfrev_b32_e32 v19, 1
	v_mov_b32_e32 v20, 0
	v_cmp_ne_u16_sdwa s8, v4, v75 src0_sel:BYTE_0 src1_sel:DWORD
	s_and_saveexec_b32 s21, s8
	s_cbranch_execz .LBB243_2536
; %bb.2531:                             ;   in Loop: Header=BB243_2086 Depth=1
	v_mov_b32_e32 v19, 0x7f800001
	v_and_b32_e32 v8, 0x7f, v4
	v_mov_b32_e32 v20, 0
	s_mov_b32 s22, exec_lo
	v_cmpx_ne_u32_e32 0x7f, v8
	s_cbranch_execz .LBB243_2535
; %bb.2532:                             ;   in Loop: Header=BB243_2086 Depth=1
	v_and_b32_e32 v6, 7, v4
	v_lshrrev_b32_e32 v5, 3, v8
	s_mov_b32 s23, exec_lo
	v_cmpx_gt_u32_e32 8, v8
; %bb.2533:                             ;   in Loop: Header=BB243_2086 Depth=1
	v_ffbh_u32_e32 v5, v6
	v_min_u32_e32 v5, 32, v5
	v_subrev_nc_u32_e32 v8, 28, v5
	v_sub_nc_u32_e32 v5, 29, v5
	v_lshlrev_b64 v[19:20], v8, v[6:7]
	v_and_b32_e32 v6, 7, v19
; %bb.2534:                             ;   in Loop: Header=BB243_2086 Depth=1
	s_or_b32 exec_lo, exec_lo, s23
	v_lshlrev_b32_e32 v8, 24, v4
	v_lshlrev_b32_e32 v6, 20, v6
	v_lshl_add_u32 v5, v5, 23, 0x3c000000
	v_and_b32_e32 v8, 0x80000000, v8
	v_or3_b32 v6, v6, v8, v5
	v_mov_b32_e32 v20, v7
	v_mov_b32_e32 v19, v6
.LBB243_2535:                           ;   in Loop: Header=BB243_2086 Depth=1
	s_or_b32 exec_lo, exec_lo, s22
.LBB243_2536:                           ;   in Loop: Header=BB243_2086 Depth=1
	s_or_b32 exec_lo, exec_lo, s21
.LBB243_2537:                           ;   in Loop: Header=BB243_2086 Depth=1
	s_or_b32 exec_lo, exec_lo, s19
	v_cmp_ne_u16_sdwa s8, v4, v7 src0_sel:BYTE_1 src1_sel:DWORD
	s_and_saveexec_b32 s19, s8
	s_cbranch_execz .LBB243_2545
; %bb.2538:                             ;   in Loop: Header=BB243_2086 Depth=1
	v_mov_b32_e32 v8, v7
	v_mov_b32_e32 v22, v9
	v_cmp_ne_u16_sdwa s8, v4, v75 src0_sel:BYTE_1 src1_sel:DWORD
	v_mov_b32_e32 v21, v8
	s_and_saveexec_b32 s21, s8
	s_cbranch_execz .LBB243_2544
; %bb.2539:                             ;   in Loop: Header=BB243_2086 Depth=1
	v_mov_b32_e32 v5, 0xffff
	v_mov_b32_e32 v10, v7
	;; [unrolled: 1-line block ×3, first 2 shown]
	s_mov_b32 s22, exec_lo
	v_and_b32_sdwa v5, v5, v4 dst_sel:DWORD dst_unused:UNUSED_PAD src0_sel:DWORD src1_sel:BYTE_1
	v_mov_b32_e32 v21, v10
	v_and_b32_e32 v8, 0x7f, v5
	v_cmpx_ne_u32_e32 0x7f, v8
	s_cbranch_execz .LBB243_2543
; %bb.2540:                             ;   in Loop: Header=BB243_2086 Depth=1
	v_and_b32_e32 v6, 7, v5
	v_lshrrev_b32_e32 v5, 3, v8
	s_mov_b32 s23, exec_lo
	v_cmpx_gt_u32_e32 8, v8
; %bb.2541:                             ;   in Loop: Header=BB243_2086 Depth=1
	v_ffbh_u32_e32 v5, v6
	v_min_u32_e32 v5, 32, v5
	v_subrev_nc_u32_e32 v8, 28, v5
	v_sub_nc_u32_e32 v5, 29, v5
	v_lshlrev_b64 v[21:22], v8, v[6:7]
	v_and_b32_e32 v6, 7, v21
; %bb.2542:                             ;   in Loop: Header=BB243_2086 Depth=1
	s_or_b32 exec_lo, exec_lo, s23
	v_lshlrev_b32_e32 v8, 16, v4
	v_lshlrev_b32_e32 v6, 20, v6
	v_lshl_add_u32 v5, v5, 23, 0x3c000000
	v_mov_b32_e32 v21, v7
	v_and_b32_e32 v8, 0x80000000, v8
	v_or3_b32 v22, v6, v8, v5
.LBB243_2543:                           ;   in Loop: Header=BB243_2086 Depth=1
	s_or_b32 exec_lo, exec_lo, s22
.LBB243_2544:                           ;   in Loop: Header=BB243_2086 Depth=1
	s_or_b32 exec_lo, exec_lo, s21
.LBB243_2545:                           ;   in Loop: Header=BB243_2086 Depth=1
	s_or_b32 exec_lo, exec_lo, s19
	v_mov_b32_e32 v23, 0
	v_mov_b32_e32 v25, 0
	v_and_b32_sdwa v5, v4, v77 dst_sel:DWORD dst_unused:UNUSED_PAD src0_sel:WORD_1 src1_sel:DWORD
	v_mov_b32_e32 v24, 0
	v_mov_b32_e32 v26, 0
	s_mov_b32 s19, exec_lo
	v_cmpx_ne_u16_e32 0, v5
	s_cbranch_execz .LBB243_2553
; %bb.2546:                             ;   in Loop: Header=BB243_2086 Depth=1
	v_bfrev_b32_e32 v25, 1
	v_mov_b32_e32 v26, 0
	s_mov_b32 s21, exec_lo
	v_cmpx_ne_u16_e32 0x80, v5
	s_cbranch_execz .LBB243_2552
; %bb.2547:                             ;   in Loop: Header=BB243_2086 Depth=1
	v_mov_b32_e32 v25, 0x7f800001
	v_bfe_u32 v8, v4, 16, 7
	v_mov_b32_e32 v26, 0
	s_mov_b32 s22, exec_lo
	v_cmpx_ne_u32_e32 0x7f, v8
	s_cbranch_execz .LBB243_2551
; %bb.2548:                             ;   in Loop: Header=BB243_2086 Depth=1
	v_and_b32_sdwa v6, v4, v30 dst_sel:DWORD dst_unused:UNUSED_PAD src0_sel:WORD_1 src1_sel:DWORD
	v_lshrrev_b32_e32 v5, 3, v8
	s_mov_b32 s23, exec_lo
	v_cmpx_gt_u32_e32 8, v8
; %bb.2549:                             ;   in Loop: Header=BB243_2086 Depth=1
	v_ffbh_u32_e32 v5, v6
	v_min_u32_e32 v5, 32, v5
	v_subrev_nc_u32_e32 v8, 28, v5
	v_sub_nc_u32_e32 v5, 29, v5
	v_lshlrev_b64 v[25:26], v8, v[6:7]
	v_and_b32_e32 v6, 7, v25
; %bb.2550:                             ;   in Loop: Header=BB243_2086 Depth=1
	s_or_b32 exec_lo, exec_lo, s23
	v_lshlrev_b32_sdwa v8, v79, v4 dst_sel:DWORD dst_unused:UNUSED_PAD src0_sel:DWORD src1_sel:WORD_1
	v_lshlrev_b32_e32 v6, 20, v6
	v_lshl_add_u32 v5, v5, 23, 0x3c000000
	v_and_b32_e32 v8, 0x80000000, v8
	v_or3_b32 v6, v6, v8, v5
	v_mov_b32_e32 v26, v7
	v_mov_b32_e32 v25, v6
.LBB243_2551:                           ;   in Loop: Header=BB243_2086 Depth=1
	s_or_b32 exec_lo, exec_lo, s22
.LBB243_2552:                           ;   in Loop: Header=BB243_2086 Depth=1
	s_or_b32 exec_lo, exec_lo, s21
.LBB243_2553:                           ;   in Loop: Header=BB243_2086 Depth=1
	s_or_b32 exec_lo, exec_lo, s19
	s_mov_b32 s19, exec_lo
	v_cmpx_lt_u32_e32 0xffffff, v4
	s_cbranch_execz .LBB243_2561
; %bb.2554:                             ;   in Loop: Header=BB243_2086 Depth=1
	v_mov_b32_e32 v8, v7
	v_mov_b32_e32 v24, v9
	v_cmp_ne_u32_sdwa s8, v4, v75 src0_sel:BYTE_3 src1_sel:DWORD
	v_mov_b32_e32 v23, v8
	s_and_saveexec_b32 s21, s8
	s_cbranch_execz .LBB243_2560
; %bb.2555:                             ;   in Loop: Header=BB243_2086 Depth=1
	v_mov_b32_e32 v10, v7
	v_mov_b32_e32 v24, v11
	v_bfe_u32 v8, v4, 24, 7
	s_mov_b32 s22, exec_lo
	v_mov_b32_e32 v23, v10
	v_cmpx_ne_u32_e32 0x7f, v8
	s_cbranch_execz .LBB243_2559
; %bb.2556:                             ;   in Loop: Header=BB243_2086 Depth=1
	v_and_b32_sdwa v6, v4, v30 dst_sel:DWORD dst_unused:UNUSED_PAD src0_sel:BYTE_3 src1_sel:DWORD
	v_lshrrev_b32_e32 v5, 3, v8
	s_mov_b32 s23, exec_lo
	v_cmpx_gt_u32_e32 8, v8
; %bb.2557:                             ;   in Loop: Header=BB243_2086 Depth=1
	v_ffbh_u32_e32 v5, v6
	v_min_u32_e32 v5, 32, v5
	v_subrev_nc_u32_e32 v8, 28, v5
	v_sub_nc_u32_e32 v5, 29, v5
	v_lshlrev_b64 v[23:24], v8, v[6:7]
	v_and_b32_e32 v6, 7, v23
; %bb.2558:                             ;   in Loop: Header=BB243_2086 Depth=1
	s_or_b32 exec_lo, exec_lo, s23
	v_lshlrev_b32_sdwa v4, v79, v4 dst_sel:DWORD dst_unused:UNUSED_PAD src0_sel:DWORD src1_sel:BYTE_3
	v_lshlrev_b32_e32 v6, 20, v6
	v_lshl_add_u32 v5, v5, 23, 0x3c000000
	v_mov_b32_e32 v23, v7
	v_and_b32_e32 v4, 0x80000000, v4
	v_or3_b32 v24, v6, v4, v5
.LBB243_2559:                           ;   in Loop: Header=BB243_2086 Depth=1
	s_or_b32 exec_lo, exec_lo, s22
.LBB243_2560:                           ;   in Loop: Header=BB243_2086 Depth=1
	s_or_b32 exec_lo, exec_lo, s21
.LBB243_2561:                           ;   in Loop: Header=BB243_2086 Depth=1
	s_or_b32 exec_lo, exec_lo, s19
	v_or_b32_e32 v4, v22, v20
	v_or_b32_e32 v5, v21, v19
	;; [unrolled: 1-line block ×4, first 2 shown]
	v_mul_f32_e32 v4, v106, v4
	buffer_store_dword v4, off, s[0:3], s32 offset:676 ; 4-byte Folded Spill
	v_mul_f32_e32 v4, v106, v5
	buffer_store_dword v4, off, s[0:3], s32 offset:668 ; 4-byte Folded Spill
	;; [unrolled: 2-line block ×4, first 2 shown]
	s_and_saveexec_b32 s8, vcc_lo
	s_cbranch_execz .LBB243_2563
; %bb.2562:                             ;   in Loop: Header=BB243_2086 Depth=1
	buffer_load_dword v4, off, s[0:3], s32 offset:668 ; 4-byte Folded Reload
	s_waitcnt vmcnt(0)
	v_cndmask_b32_e64 v4, 0, v4, s4
	buffer_store_dword v4, off, s[0:3], s32 offset:668 ; 4-byte Folded Spill
	buffer_load_dword v4, off, s[0:3], s32 offset:676 ; 4-byte Folded Reload
	s_waitcnt vmcnt(0)
	v_cndmask_b32_e64 v4, 0, v4, s5
	buffer_store_dword v4, off, s[0:3], s32 offset:676 ; 4-byte Folded Spill
	;; [unrolled: 4-line block ×4, first 2 shown]
.LBB243_2563:                           ;   in Loop: Header=BB243_2086 Depth=1
	s_or_b32 exec_lo, exec_lo, s8
	flat_load_dword v4, v[17:18] offset:1792
	v_mov_b32_e32 v21, 0
	v_mov_b32_e32 v19, 0
	;; [unrolled: 1-line block ×4, first 2 shown]
	s_waitcnt vmcnt(0) lgkmcnt(0)
	v_cmp_ne_u16_sdwa s8, v4, v7 src0_sel:BYTE_0 src1_sel:DWORD
	s_and_saveexec_b32 s19, s8
	s_cbranch_execz .LBB243_2571
; %bb.2564:                             ;   in Loop: Header=BB243_2086 Depth=1
	v_bfrev_b32_e32 v19, 1
	v_mov_b32_e32 v20, 0
	v_cmp_ne_u16_sdwa s8, v4, v75 src0_sel:BYTE_0 src1_sel:DWORD
	s_and_saveexec_b32 s21, s8
	s_cbranch_execz .LBB243_2570
; %bb.2565:                             ;   in Loop: Header=BB243_2086 Depth=1
	v_mov_b32_e32 v19, 0x7f800001
	v_and_b32_e32 v8, 0x7f, v4
	v_mov_b32_e32 v20, 0
	s_mov_b32 s22, exec_lo
	v_cmpx_ne_u32_e32 0x7f, v8
	s_cbranch_execz .LBB243_2569
; %bb.2566:                             ;   in Loop: Header=BB243_2086 Depth=1
	v_and_b32_e32 v6, 7, v4
	v_lshrrev_b32_e32 v5, 3, v8
	s_mov_b32 s23, exec_lo
	v_cmpx_gt_u32_e32 8, v8
; %bb.2567:                             ;   in Loop: Header=BB243_2086 Depth=1
	v_ffbh_u32_e32 v5, v6
	v_min_u32_e32 v5, 32, v5
	v_subrev_nc_u32_e32 v8, 28, v5
	v_sub_nc_u32_e32 v5, 29, v5
	v_lshlrev_b64 v[19:20], v8, v[6:7]
	v_and_b32_e32 v6, 7, v19
; %bb.2568:                             ;   in Loop: Header=BB243_2086 Depth=1
	s_or_b32 exec_lo, exec_lo, s23
	v_lshlrev_b32_e32 v8, 24, v4
	v_lshlrev_b32_e32 v6, 20, v6
	v_lshl_add_u32 v5, v5, 23, 0x3c000000
	v_and_b32_e32 v8, 0x80000000, v8
	v_or3_b32 v6, v6, v8, v5
	v_mov_b32_e32 v20, v7
	v_mov_b32_e32 v19, v6
.LBB243_2569:                           ;   in Loop: Header=BB243_2086 Depth=1
	s_or_b32 exec_lo, exec_lo, s22
.LBB243_2570:                           ;   in Loop: Header=BB243_2086 Depth=1
	s_or_b32 exec_lo, exec_lo, s21
.LBB243_2571:                           ;   in Loop: Header=BB243_2086 Depth=1
	s_or_b32 exec_lo, exec_lo, s19
	v_cmp_ne_u16_sdwa s8, v4, v7 src0_sel:BYTE_1 src1_sel:DWORD
	s_and_saveexec_b32 s19, s8
	s_cbranch_execz .LBB243_2579
; %bb.2572:                             ;   in Loop: Header=BB243_2086 Depth=1
	v_mov_b32_e32 v8, v7
	v_mov_b32_e32 v22, v9
	v_cmp_ne_u16_sdwa s8, v4, v75 src0_sel:BYTE_1 src1_sel:DWORD
	v_mov_b32_e32 v21, v8
	s_and_saveexec_b32 s21, s8
	s_cbranch_execz .LBB243_2578
; %bb.2573:                             ;   in Loop: Header=BB243_2086 Depth=1
	v_mov_b32_e32 v5, 0xffff
	v_mov_b32_e32 v10, v7
	;; [unrolled: 1-line block ×3, first 2 shown]
	s_mov_b32 s22, exec_lo
	v_and_b32_sdwa v5, v5, v4 dst_sel:DWORD dst_unused:UNUSED_PAD src0_sel:DWORD src1_sel:BYTE_1
	v_mov_b32_e32 v21, v10
	v_and_b32_e32 v8, 0x7f, v5
	v_cmpx_ne_u32_e32 0x7f, v8
	s_cbranch_execz .LBB243_2577
; %bb.2574:                             ;   in Loop: Header=BB243_2086 Depth=1
	v_and_b32_e32 v6, 7, v5
	v_lshrrev_b32_e32 v5, 3, v8
	s_mov_b32 s23, exec_lo
	v_cmpx_gt_u32_e32 8, v8
; %bb.2575:                             ;   in Loop: Header=BB243_2086 Depth=1
	v_ffbh_u32_e32 v5, v6
	v_min_u32_e32 v5, 32, v5
	v_subrev_nc_u32_e32 v8, 28, v5
	v_sub_nc_u32_e32 v5, 29, v5
	v_lshlrev_b64 v[21:22], v8, v[6:7]
	v_and_b32_e32 v6, 7, v21
; %bb.2576:                             ;   in Loop: Header=BB243_2086 Depth=1
	s_or_b32 exec_lo, exec_lo, s23
	v_lshlrev_b32_e32 v8, 16, v4
	v_lshlrev_b32_e32 v6, 20, v6
	v_lshl_add_u32 v5, v5, 23, 0x3c000000
	v_mov_b32_e32 v21, v7
	v_and_b32_e32 v8, 0x80000000, v8
	v_or3_b32 v22, v6, v8, v5
.LBB243_2577:                           ;   in Loop: Header=BB243_2086 Depth=1
	s_or_b32 exec_lo, exec_lo, s22
.LBB243_2578:                           ;   in Loop: Header=BB243_2086 Depth=1
	s_or_b32 exec_lo, exec_lo, s21
.LBB243_2579:                           ;   in Loop: Header=BB243_2086 Depth=1
	s_or_b32 exec_lo, exec_lo, s19
	v_mov_b32_e32 v23, 0
	v_mov_b32_e32 v25, 0
	v_and_b32_sdwa v5, v4, v77 dst_sel:DWORD dst_unused:UNUSED_PAD src0_sel:WORD_1 src1_sel:DWORD
	v_mov_b32_e32 v24, 0
	v_mov_b32_e32 v26, 0
	s_mov_b32 s19, exec_lo
	v_cmpx_ne_u16_e32 0, v5
	s_cbranch_execz .LBB243_2587
; %bb.2580:                             ;   in Loop: Header=BB243_2086 Depth=1
	v_bfrev_b32_e32 v25, 1
	v_mov_b32_e32 v26, 0
	s_mov_b32 s21, exec_lo
	v_cmpx_ne_u16_e32 0x80, v5
	s_cbranch_execz .LBB243_2586
; %bb.2581:                             ;   in Loop: Header=BB243_2086 Depth=1
	v_mov_b32_e32 v25, 0x7f800001
	v_bfe_u32 v8, v4, 16, 7
	v_mov_b32_e32 v26, 0
	s_mov_b32 s22, exec_lo
	v_cmpx_ne_u32_e32 0x7f, v8
	s_cbranch_execz .LBB243_2585
; %bb.2582:                             ;   in Loop: Header=BB243_2086 Depth=1
	v_and_b32_sdwa v6, v4, v30 dst_sel:DWORD dst_unused:UNUSED_PAD src0_sel:WORD_1 src1_sel:DWORD
	v_lshrrev_b32_e32 v5, 3, v8
	s_mov_b32 s23, exec_lo
	v_cmpx_gt_u32_e32 8, v8
; %bb.2583:                             ;   in Loop: Header=BB243_2086 Depth=1
	v_ffbh_u32_e32 v5, v6
	v_min_u32_e32 v5, 32, v5
	v_subrev_nc_u32_e32 v8, 28, v5
	v_sub_nc_u32_e32 v5, 29, v5
	v_lshlrev_b64 v[25:26], v8, v[6:7]
	v_and_b32_e32 v6, 7, v25
; %bb.2584:                             ;   in Loop: Header=BB243_2086 Depth=1
	s_or_b32 exec_lo, exec_lo, s23
	v_lshlrev_b32_sdwa v8, v79, v4 dst_sel:DWORD dst_unused:UNUSED_PAD src0_sel:DWORD src1_sel:WORD_1
	v_lshlrev_b32_e32 v6, 20, v6
	v_lshl_add_u32 v5, v5, 23, 0x3c000000
	v_and_b32_e32 v8, 0x80000000, v8
	v_or3_b32 v6, v6, v8, v5
	v_mov_b32_e32 v26, v7
	v_mov_b32_e32 v25, v6
.LBB243_2585:                           ;   in Loop: Header=BB243_2086 Depth=1
	s_or_b32 exec_lo, exec_lo, s22
.LBB243_2586:                           ;   in Loop: Header=BB243_2086 Depth=1
	s_or_b32 exec_lo, exec_lo, s21
.LBB243_2587:                           ;   in Loop: Header=BB243_2086 Depth=1
	s_or_b32 exec_lo, exec_lo, s19
	s_mov_b32 s19, exec_lo
	v_cmpx_lt_u32_e32 0xffffff, v4
	s_cbranch_execz .LBB243_2595
; %bb.2588:                             ;   in Loop: Header=BB243_2086 Depth=1
	v_mov_b32_e32 v8, v7
	v_mov_b32_e32 v24, v9
	v_cmp_ne_u32_sdwa s8, v4, v75 src0_sel:BYTE_3 src1_sel:DWORD
	v_mov_b32_e32 v23, v8
	s_and_saveexec_b32 s21, s8
	s_cbranch_execz .LBB243_2594
; %bb.2589:                             ;   in Loop: Header=BB243_2086 Depth=1
	v_mov_b32_e32 v10, v7
	v_mov_b32_e32 v24, v11
	v_bfe_u32 v8, v4, 24, 7
	s_mov_b32 s22, exec_lo
	v_mov_b32_e32 v23, v10
	v_cmpx_ne_u32_e32 0x7f, v8
	s_cbranch_execz .LBB243_2593
; %bb.2590:                             ;   in Loop: Header=BB243_2086 Depth=1
	v_and_b32_sdwa v6, v4, v30 dst_sel:DWORD dst_unused:UNUSED_PAD src0_sel:BYTE_3 src1_sel:DWORD
	v_lshrrev_b32_e32 v5, 3, v8
	s_mov_b32 s23, exec_lo
	v_cmpx_gt_u32_e32 8, v8
; %bb.2591:                             ;   in Loop: Header=BB243_2086 Depth=1
	v_ffbh_u32_e32 v5, v6
	v_min_u32_e32 v5, 32, v5
	v_subrev_nc_u32_e32 v8, 28, v5
	v_sub_nc_u32_e32 v5, 29, v5
	v_lshlrev_b64 v[23:24], v8, v[6:7]
	v_and_b32_e32 v6, 7, v23
; %bb.2592:                             ;   in Loop: Header=BB243_2086 Depth=1
	s_or_b32 exec_lo, exec_lo, s23
	v_lshlrev_b32_sdwa v4, v79, v4 dst_sel:DWORD dst_unused:UNUSED_PAD src0_sel:DWORD src1_sel:BYTE_3
	v_lshlrev_b32_e32 v6, 20, v6
	v_lshl_add_u32 v5, v5, 23, 0x3c000000
	v_mov_b32_e32 v23, v7
	v_and_b32_e32 v4, 0x80000000, v4
	v_or3_b32 v24, v6, v4, v5
.LBB243_2593:                           ;   in Loop: Header=BB243_2086 Depth=1
	s_or_b32 exec_lo, exec_lo, s22
.LBB243_2594:                           ;   in Loop: Header=BB243_2086 Depth=1
	s_or_b32 exec_lo, exec_lo, s21
.LBB243_2595:                           ;   in Loop: Header=BB243_2086 Depth=1
	s_or_b32 exec_lo, exec_lo, s19
	v_or_b32_e32 v4, v22, v20
	v_or_b32_e32 v5, v21, v19
	;; [unrolled: 1-line block ×4, first 2 shown]
	v_mul_f32_e32 v4, v106, v4
	buffer_store_dword v4, off, s[0:3], s32 offset:708 ; 4-byte Folded Spill
	v_mul_f32_e32 v4, v106, v5
	buffer_store_dword v4, off, s[0:3], s32 offset:700 ; 4-byte Folded Spill
	v_mul_f32_e32 v4, v106, v6
	buffer_store_dword v4, off, s[0:3], s32 offset:692 ; 4-byte Folded Spill
	v_mul_f32_e32 v4, v106, v8
	buffer_store_dword v4, off, s[0:3], s32 offset:684 ; 4-byte Folded Spill
	s_and_saveexec_b32 s8, vcc_lo
	s_cbranch_execz .LBB243_2597
; %bb.2596:                             ;   in Loop: Header=BB243_2086 Depth=1
	buffer_load_dword v4, off, s[0:3], s32 offset:700 ; 4-byte Folded Reload
	s_waitcnt vmcnt(0)
	v_cndmask_b32_e64 v4, 0, v4, s4
	buffer_store_dword v4, off, s[0:3], s32 offset:700 ; 4-byte Folded Spill
	buffer_load_dword v4, off, s[0:3], s32 offset:708 ; 4-byte Folded Reload
	s_waitcnt vmcnt(0)
	v_cndmask_b32_e64 v4, 0, v4, s5
	buffer_store_dword v4, off, s[0:3], s32 offset:708 ; 4-byte Folded Spill
	;; [unrolled: 4-line block ×4, first 2 shown]
.LBB243_2597:                           ;   in Loop: Header=BB243_2086 Depth=1
	s_or_b32 exec_lo, exec_lo, s8
	flat_load_dword v4, v[17:18] offset:1920
	v_mov_b32_e32 v21, 0
	v_mov_b32_e32 v19, 0
	;; [unrolled: 1-line block ×4, first 2 shown]
	s_waitcnt vmcnt(0) lgkmcnt(0)
	v_cmp_ne_u16_sdwa s8, v4, v7 src0_sel:BYTE_0 src1_sel:DWORD
	s_and_saveexec_b32 s19, s8
	s_cbranch_execz .LBB243_2605
; %bb.2598:                             ;   in Loop: Header=BB243_2086 Depth=1
	v_bfrev_b32_e32 v19, 1
	v_mov_b32_e32 v20, 0
	v_cmp_ne_u16_sdwa s8, v4, v75 src0_sel:BYTE_0 src1_sel:DWORD
	s_and_saveexec_b32 s21, s8
	s_cbranch_execz .LBB243_2604
; %bb.2599:                             ;   in Loop: Header=BB243_2086 Depth=1
	v_mov_b32_e32 v19, 0x7f800001
	v_and_b32_e32 v8, 0x7f, v4
	v_mov_b32_e32 v20, 0
	s_mov_b32 s22, exec_lo
	v_cmpx_ne_u32_e32 0x7f, v8
	s_cbranch_execz .LBB243_2603
; %bb.2600:                             ;   in Loop: Header=BB243_2086 Depth=1
	v_and_b32_e32 v6, 7, v4
	v_lshrrev_b32_e32 v5, 3, v8
	s_mov_b32 s23, exec_lo
	v_cmpx_gt_u32_e32 8, v8
; %bb.2601:                             ;   in Loop: Header=BB243_2086 Depth=1
	v_ffbh_u32_e32 v5, v6
	v_min_u32_e32 v5, 32, v5
	v_subrev_nc_u32_e32 v8, 28, v5
	v_sub_nc_u32_e32 v5, 29, v5
	v_lshlrev_b64 v[19:20], v8, v[6:7]
	v_and_b32_e32 v6, 7, v19
; %bb.2602:                             ;   in Loop: Header=BB243_2086 Depth=1
	s_or_b32 exec_lo, exec_lo, s23
	v_lshlrev_b32_e32 v8, 24, v4
	v_lshlrev_b32_e32 v6, 20, v6
	v_lshl_add_u32 v5, v5, 23, 0x3c000000
	v_and_b32_e32 v8, 0x80000000, v8
	v_or3_b32 v6, v6, v8, v5
	v_mov_b32_e32 v20, v7
	v_mov_b32_e32 v19, v6
.LBB243_2603:                           ;   in Loop: Header=BB243_2086 Depth=1
	s_or_b32 exec_lo, exec_lo, s22
.LBB243_2604:                           ;   in Loop: Header=BB243_2086 Depth=1
	s_or_b32 exec_lo, exec_lo, s21
.LBB243_2605:                           ;   in Loop: Header=BB243_2086 Depth=1
	s_or_b32 exec_lo, exec_lo, s19
	v_cmp_ne_u16_sdwa s8, v4, v7 src0_sel:BYTE_1 src1_sel:DWORD
	s_and_saveexec_b32 s19, s8
	s_cbranch_execz .LBB243_2613
; %bb.2606:                             ;   in Loop: Header=BB243_2086 Depth=1
	v_mov_b32_e32 v8, v7
	v_mov_b32_e32 v22, v9
	v_cmp_ne_u16_sdwa s8, v4, v75 src0_sel:BYTE_1 src1_sel:DWORD
	v_mov_b32_e32 v21, v8
	s_and_saveexec_b32 s21, s8
	s_cbranch_execz .LBB243_2612
; %bb.2607:                             ;   in Loop: Header=BB243_2086 Depth=1
	v_mov_b32_e32 v5, 0xffff
	v_mov_b32_e32 v10, v7
	;; [unrolled: 1-line block ×3, first 2 shown]
	s_mov_b32 s22, exec_lo
	v_and_b32_sdwa v5, v5, v4 dst_sel:DWORD dst_unused:UNUSED_PAD src0_sel:DWORD src1_sel:BYTE_1
	v_mov_b32_e32 v21, v10
	v_and_b32_e32 v8, 0x7f, v5
	v_cmpx_ne_u32_e32 0x7f, v8
	s_cbranch_execz .LBB243_2611
; %bb.2608:                             ;   in Loop: Header=BB243_2086 Depth=1
	v_and_b32_e32 v6, 7, v5
	v_lshrrev_b32_e32 v5, 3, v8
	s_mov_b32 s23, exec_lo
	v_cmpx_gt_u32_e32 8, v8
; %bb.2609:                             ;   in Loop: Header=BB243_2086 Depth=1
	v_ffbh_u32_e32 v5, v6
	v_min_u32_e32 v5, 32, v5
	v_subrev_nc_u32_e32 v8, 28, v5
	v_sub_nc_u32_e32 v5, 29, v5
	v_lshlrev_b64 v[21:22], v8, v[6:7]
	v_and_b32_e32 v6, 7, v21
; %bb.2610:                             ;   in Loop: Header=BB243_2086 Depth=1
	s_or_b32 exec_lo, exec_lo, s23
	v_lshlrev_b32_e32 v8, 16, v4
	v_lshlrev_b32_e32 v6, 20, v6
	v_lshl_add_u32 v5, v5, 23, 0x3c000000
	v_mov_b32_e32 v21, v7
	v_and_b32_e32 v8, 0x80000000, v8
	v_or3_b32 v22, v6, v8, v5
.LBB243_2611:                           ;   in Loop: Header=BB243_2086 Depth=1
	s_or_b32 exec_lo, exec_lo, s22
.LBB243_2612:                           ;   in Loop: Header=BB243_2086 Depth=1
	s_or_b32 exec_lo, exec_lo, s21
.LBB243_2613:                           ;   in Loop: Header=BB243_2086 Depth=1
	s_or_b32 exec_lo, exec_lo, s19
	v_mov_b32_e32 v23, 0
	v_mov_b32_e32 v25, 0
	v_and_b32_sdwa v5, v4, v77 dst_sel:DWORD dst_unused:UNUSED_PAD src0_sel:WORD_1 src1_sel:DWORD
	v_mov_b32_e32 v24, 0
	v_mov_b32_e32 v26, 0
	s_mov_b32 s19, exec_lo
	v_cmpx_ne_u16_e32 0, v5
	s_cbranch_execz .LBB243_2621
; %bb.2614:                             ;   in Loop: Header=BB243_2086 Depth=1
	v_bfrev_b32_e32 v25, 1
	v_mov_b32_e32 v26, 0
	s_mov_b32 s21, exec_lo
	v_cmpx_ne_u16_e32 0x80, v5
	s_cbranch_execz .LBB243_2620
; %bb.2615:                             ;   in Loop: Header=BB243_2086 Depth=1
	v_mov_b32_e32 v25, 0x7f800001
	v_bfe_u32 v8, v4, 16, 7
	v_mov_b32_e32 v26, 0
	s_mov_b32 s22, exec_lo
	v_cmpx_ne_u32_e32 0x7f, v8
	s_cbranch_execz .LBB243_2619
; %bb.2616:                             ;   in Loop: Header=BB243_2086 Depth=1
	v_and_b32_sdwa v6, v4, v30 dst_sel:DWORD dst_unused:UNUSED_PAD src0_sel:WORD_1 src1_sel:DWORD
	v_lshrrev_b32_e32 v5, 3, v8
	s_mov_b32 s23, exec_lo
	v_cmpx_gt_u32_e32 8, v8
; %bb.2617:                             ;   in Loop: Header=BB243_2086 Depth=1
	v_ffbh_u32_e32 v5, v6
	v_min_u32_e32 v5, 32, v5
	v_subrev_nc_u32_e32 v8, 28, v5
	v_sub_nc_u32_e32 v5, 29, v5
	v_lshlrev_b64 v[25:26], v8, v[6:7]
	v_and_b32_e32 v6, 7, v25
; %bb.2618:                             ;   in Loop: Header=BB243_2086 Depth=1
	s_or_b32 exec_lo, exec_lo, s23
	v_lshlrev_b32_sdwa v8, v79, v4 dst_sel:DWORD dst_unused:UNUSED_PAD src0_sel:DWORD src1_sel:WORD_1
	v_lshlrev_b32_e32 v6, 20, v6
	v_lshl_add_u32 v5, v5, 23, 0x3c000000
	v_and_b32_e32 v8, 0x80000000, v8
	v_or3_b32 v6, v6, v8, v5
	v_mov_b32_e32 v26, v7
	v_mov_b32_e32 v25, v6
.LBB243_2619:                           ;   in Loop: Header=BB243_2086 Depth=1
	s_or_b32 exec_lo, exec_lo, s22
.LBB243_2620:                           ;   in Loop: Header=BB243_2086 Depth=1
	s_or_b32 exec_lo, exec_lo, s21
.LBB243_2621:                           ;   in Loop: Header=BB243_2086 Depth=1
	s_or_b32 exec_lo, exec_lo, s19
	s_mov_b32 s19, exec_lo
	v_cmpx_lt_u32_e32 0xffffff, v4
	s_cbranch_execz .LBB243_2629
; %bb.2622:                             ;   in Loop: Header=BB243_2086 Depth=1
	v_mov_b32_e32 v8, v7
	v_mov_b32_e32 v24, v9
	v_cmp_ne_u32_sdwa s8, v4, v75 src0_sel:BYTE_3 src1_sel:DWORD
	v_mov_b32_e32 v23, v8
	s_and_saveexec_b32 s21, s8
	s_cbranch_execz .LBB243_2628
; %bb.2623:                             ;   in Loop: Header=BB243_2086 Depth=1
	v_mov_b32_e32 v10, v7
	v_mov_b32_e32 v24, v11
	v_bfe_u32 v8, v4, 24, 7
	s_mov_b32 s22, exec_lo
	v_mov_b32_e32 v23, v10
	v_cmpx_ne_u32_e32 0x7f, v8
	s_cbranch_execz .LBB243_2627
; %bb.2624:                             ;   in Loop: Header=BB243_2086 Depth=1
	v_and_b32_sdwa v6, v4, v30 dst_sel:DWORD dst_unused:UNUSED_PAD src0_sel:BYTE_3 src1_sel:DWORD
	v_lshrrev_b32_e32 v5, 3, v8
	s_mov_b32 s23, exec_lo
	v_cmpx_gt_u32_e32 8, v8
; %bb.2625:                             ;   in Loop: Header=BB243_2086 Depth=1
	v_ffbh_u32_e32 v5, v6
	v_min_u32_e32 v5, 32, v5
	v_subrev_nc_u32_e32 v8, 28, v5
	v_sub_nc_u32_e32 v5, 29, v5
	v_lshlrev_b64 v[23:24], v8, v[6:7]
	v_and_b32_e32 v6, 7, v23
; %bb.2626:                             ;   in Loop: Header=BB243_2086 Depth=1
	s_or_b32 exec_lo, exec_lo, s23
	v_lshlrev_b32_sdwa v4, v79, v4 dst_sel:DWORD dst_unused:UNUSED_PAD src0_sel:DWORD src1_sel:BYTE_3
	v_lshlrev_b32_e32 v6, 20, v6
	v_lshl_add_u32 v5, v5, 23, 0x3c000000
	v_mov_b32_e32 v23, v7
	v_and_b32_e32 v4, 0x80000000, v4
	v_or3_b32 v24, v6, v4, v5
.LBB243_2627:                           ;   in Loop: Header=BB243_2086 Depth=1
	s_or_b32 exec_lo, exec_lo, s22
.LBB243_2628:                           ;   in Loop: Header=BB243_2086 Depth=1
	s_or_b32 exec_lo, exec_lo, s21
.LBB243_2629:                           ;   in Loop: Header=BB243_2086 Depth=1
	s_or_b32 exec_lo, exec_lo, s19
	v_or_b32_e32 v4, v22, v20
	v_or_b32_e32 v5, v21, v19
	;; [unrolled: 1-line block ×4, first 2 shown]
	v_mul_f32_e32 v4, v106, v4
	buffer_store_dword v4, off, s[0:3], s32 offset:740 ; 4-byte Folded Spill
	v_mul_f32_e32 v4, v106, v5
	buffer_store_dword v4, off, s[0:3], s32 offset:732 ; 4-byte Folded Spill
	;; [unrolled: 2-line block ×4, first 2 shown]
	s_and_saveexec_b32 s8, vcc_lo
	s_cbranch_execz .LBB243_2631
; %bb.2630:                             ;   in Loop: Header=BB243_2086 Depth=1
	buffer_load_dword v4, off, s[0:3], s32 offset:732 ; 4-byte Folded Reload
	s_waitcnt vmcnt(0)
	v_cndmask_b32_e64 v4, 0, v4, s4
	buffer_store_dword v4, off, s[0:3], s32 offset:732 ; 4-byte Folded Spill
	buffer_load_dword v4, off, s[0:3], s32 offset:740 ; 4-byte Folded Reload
	s_waitcnt vmcnt(0)
	v_cndmask_b32_e64 v4, 0, v4, s5
	buffer_store_dword v4, off, s[0:3], s32 offset:740 ; 4-byte Folded Spill
	;; [unrolled: 4-line block ×4, first 2 shown]
.LBB243_2631:                           ;   in Loop: Header=BB243_2086 Depth=1
	s_or_b32 exec_lo, exec_lo, s8
	v_add_co_u32 v19, s8, 0x800, v17
	v_add_co_ci_u32_e64 v20, null, 0, v18, s8
	v_mov_b32_e32 v23, 0
	v_mov_b32_e32 v21, 0
	;; [unrolled: 1-line block ×3, first 2 shown]
	flat_load_dword v4, v[19:20]
	v_mov_b32_e32 v22, 0
	s_waitcnt vmcnt(0) lgkmcnt(0)
	v_cmp_ne_u16_sdwa s8, v4, v7 src0_sel:BYTE_0 src1_sel:DWORD
	s_and_saveexec_b32 s19, s8
	s_cbranch_execz .LBB243_2639
; %bb.2632:                             ;   in Loop: Header=BB243_2086 Depth=1
	v_bfrev_b32_e32 v21, 1
	v_mov_b32_e32 v22, 0
	v_cmp_ne_u16_sdwa s8, v4, v75 src0_sel:BYTE_0 src1_sel:DWORD
	s_and_saveexec_b32 s21, s8
	s_cbranch_execz .LBB243_2638
; %bb.2633:                             ;   in Loop: Header=BB243_2086 Depth=1
	v_mov_b32_e32 v21, 0x7f800001
	v_and_b32_e32 v8, 0x7f, v4
	v_mov_b32_e32 v22, 0
	s_mov_b32 s22, exec_lo
	v_cmpx_ne_u32_e32 0x7f, v8
	s_cbranch_execz .LBB243_2637
; %bb.2634:                             ;   in Loop: Header=BB243_2086 Depth=1
	v_and_b32_e32 v6, 7, v4
	v_lshrrev_b32_e32 v5, 3, v8
	s_mov_b32 s23, exec_lo
	v_cmpx_gt_u32_e32 8, v8
; %bb.2635:                             ;   in Loop: Header=BB243_2086 Depth=1
	v_ffbh_u32_e32 v5, v6
	v_min_u32_e32 v5, 32, v5
	v_subrev_nc_u32_e32 v8, 28, v5
	v_sub_nc_u32_e32 v5, 29, v5
	v_lshlrev_b64 v[21:22], v8, v[6:7]
	v_and_b32_e32 v6, 7, v21
; %bb.2636:                             ;   in Loop: Header=BB243_2086 Depth=1
	s_or_b32 exec_lo, exec_lo, s23
	v_lshlrev_b32_e32 v8, 24, v4
	v_lshlrev_b32_e32 v6, 20, v6
	v_lshl_add_u32 v5, v5, 23, 0x3c000000
	v_and_b32_e32 v8, 0x80000000, v8
	v_or3_b32 v6, v6, v8, v5
	v_mov_b32_e32 v22, v7
	v_mov_b32_e32 v21, v6
.LBB243_2637:                           ;   in Loop: Header=BB243_2086 Depth=1
	s_or_b32 exec_lo, exec_lo, s22
.LBB243_2638:                           ;   in Loop: Header=BB243_2086 Depth=1
	s_or_b32 exec_lo, exec_lo, s21
.LBB243_2639:                           ;   in Loop: Header=BB243_2086 Depth=1
	s_or_b32 exec_lo, exec_lo, s19
	v_cmp_ne_u16_sdwa s8, v4, v7 src0_sel:BYTE_1 src1_sel:DWORD
	s_and_saveexec_b32 s19, s8
	s_cbranch_execz .LBB243_2647
; %bb.2640:                             ;   in Loop: Header=BB243_2086 Depth=1
	v_mov_b32_e32 v8, v7
	v_mov_b32_e32 v24, v9
	v_cmp_ne_u16_sdwa s8, v4, v75 src0_sel:BYTE_1 src1_sel:DWORD
	v_mov_b32_e32 v23, v8
	s_and_saveexec_b32 s21, s8
	s_cbranch_execz .LBB243_2646
; %bb.2641:                             ;   in Loop: Header=BB243_2086 Depth=1
	v_mov_b32_e32 v5, 0xffff
	v_mov_b32_e32 v10, v7
	;; [unrolled: 1-line block ×3, first 2 shown]
	s_mov_b32 s22, exec_lo
	v_and_b32_sdwa v5, v5, v4 dst_sel:DWORD dst_unused:UNUSED_PAD src0_sel:DWORD src1_sel:BYTE_1
	v_mov_b32_e32 v23, v10
	v_and_b32_e32 v8, 0x7f, v5
	v_cmpx_ne_u32_e32 0x7f, v8
	s_cbranch_execz .LBB243_2645
; %bb.2642:                             ;   in Loop: Header=BB243_2086 Depth=1
	v_and_b32_e32 v6, 7, v5
	v_lshrrev_b32_e32 v5, 3, v8
	s_mov_b32 s23, exec_lo
	v_cmpx_gt_u32_e32 8, v8
; %bb.2643:                             ;   in Loop: Header=BB243_2086 Depth=1
	v_ffbh_u32_e32 v5, v6
	v_min_u32_e32 v5, 32, v5
	v_subrev_nc_u32_e32 v8, 28, v5
	v_sub_nc_u32_e32 v5, 29, v5
	v_lshlrev_b64 v[23:24], v8, v[6:7]
	v_and_b32_e32 v6, 7, v23
; %bb.2644:                             ;   in Loop: Header=BB243_2086 Depth=1
	s_or_b32 exec_lo, exec_lo, s23
	v_lshlrev_b32_e32 v8, 16, v4
	v_lshlrev_b32_e32 v6, 20, v6
	v_lshl_add_u32 v5, v5, 23, 0x3c000000
	v_mov_b32_e32 v23, v7
	v_and_b32_e32 v8, 0x80000000, v8
	v_or3_b32 v24, v6, v8, v5
.LBB243_2645:                           ;   in Loop: Header=BB243_2086 Depth=1
	s_or_b32 exec_lo, exec_lo, s22
.LBB243_2646:                           ;   in Loop: Header=BB243_2086 Depth=1
	s_or_b32 exec_lo, exec_lo, s21
.LBB243_2647:                           ;   in Loop: Header=BB243_2086 Depth=1
	s_or_b32 exec_lo, exec_lo, s19
	v_mov_b32_e32 v25, 0
	v_mov_b32_e32 v27, 0
	v_and_b32_sdwa v5, v4, v77 dst_sel:DWORD dst_unused:UNUSED_PAD src0_sel:WORD_1 src1_sel:DWORD
	v_mov_b32_e32 v26, 0
	v_mov_b32_e32 v28, 0
	s_mov_b32 s19, exec_lo
	v_cmpx_ne_u16_e32 0, v5
	s_cbranch_execz .LBB243_2655
; %bb.2648:                             ;   in Loop: Header=BB243_2086 Depth=1
	v_bfrev_b32_e32 v27, 1
	v_mov_b32_e32 v28, 0
	s_mov_b32 s21, exec_lo
	v_cmpx_ne_u16_e32 0x80, v5
	s_cbranch_execz .LBB243_2654
; %bb.2649:                             ;   in Loop: Header=BB243_2086 Depth=1
	v_mov_b32_e32 v27, 0x7f800001
	v_bfe_u32 v8, v4, 16, 7
	v_mov_b32_e32 v28, 0
	s_mov_b32 s22, exec_lo
	v_cmpx_ne_u32_e32 0x7f, v8
	s_cbranch_execz .LBB243_2653
; %bb.2650:                             ;   in Loop: Header=BB243_2086 Depth=1
	v_and_b32_sdwa v6, v4, v30 dst_sel:DWORD dst_unused:UNUSED_PAD src0_sel:WORD_1 src1_sel:DWORD
	v_lshrrev_b32_e32 v5, 3, v8
	s_mov_b32 s23, exec_lo
	v_cmpx_gt_u32_e32 8, v8
; %bb.2651:                             ;   in Loop: Header=BB243_2086 Depth=1
	v_ffbh_u32_e32 v5, v6
	v_min_u32_e32 v5, 32, v5
	v_subrev_nc_u32_e32 v8, 28, v5
	v_sub_nc_u32_e32 v5, 29, v5
	v_lshlrev_b64 v[27:28], v8, v[6:7]
	v_and_b32_e32 v6, 7, v27
; %bb.2652:                             ;   in Loop: Header=BB243_2086 Depth=1
	s_or_b32 exec_lo, exec_lo, s23
	v_lshlrev_b32_sdwa v8, v79, v4 dst_sel:DWORD dst_unused:UNUSED_PAD src0_sel:DWORD src1_sel:WORD_1
	v_lshlrev_b32_e32 v6, 20, v6
	v_lshl_add_u32 v5, v5, 23, 0x3c000000
	v_and_b32_e32 v8, 0x80000000, v8
	v_or3_b32 v6, v6, v8, v5
	v_mov_b32_e32 v28, v7
	v_mov_b32_e32 v27, v6
.LBB243_2653:                           ;   in Loop: Header=BB243_2086 Depth=1
	s_or_b32 exec_lo, exec_lo, s22
.LBB243_2654:                           ;   in Loop: Header=BB243_2086 Depth=1
	s_or_b32 exec_lo, exec_lo, s21
.LBB243_2655:                           ;   in Loop: Header=BB243_2086 Depth=1
	s_or_b32 exec_lo, exec_lo, s19
	s_mov_b32 s19, exec_lo
	v_cmpx_lt_u32_e32 0xffffff, v4
	s_cbranch_execz .LBB243_2663
; %bb.2656:                             ;   in Loop: Header=BB243_2086 Depth=1
	v_mov_b32_e32 v8, v7
	v_mov_b32_e32 v26, v9
	v_cmp_ne_u32_sdwa s8, v4, v75 src0_sel:BYTE_3 src1_sel:DWORD
	v_mov_b32_e32 v25, v8
	s_and_saveexec_b32 s21, s8
	s_cbranch_execz .LBB243_2662
; %bb.2657:                             ;   in Loop: Header=BB243_2086 Depth=1
	v_mov_b32_e32 v10, v7
	v_mov_b32_e32 v26, v11
	v_bfe_u32 v8, v4, 24, 7
	s_mov_b32 s22, exec_lo
	v_mov_b32_e32 v25, v10
	v_cmpx_ne_u32_e32 0x7f, v8
	s_cbranch_execz .LBB243_2661
; %bb.2658:                             ;   in Loop: Header=BB243_2086 Depth=1
	v_and_b32_sdwa v6, v4, v30 dst_sel:DWORD dst_unused:UNUSED_PAD src0_sel:BYTE_3 src1_sel:DWORD
	v_lshrrev_b32_e32 v5, 3, v8
	s_mov_b32 s23, exec_lo
	v_cmpx_gt_u32_e32 8, v8
; %bb.2659:                             ;   in Loop: Header=BB243_2086 Depth=1
	v_ffbh_u32_e32 v5, v6
	v_min_u32_e32 v5, 32, v5
	v_subrev_nc_u32_e32 v8, 28, v5
	v_sub_nc_u32_e32 v5, 29, v5
	v_lshlrev_b64 v[25:26], v8, v[6:7]
	v_and_b32_e32 v6, 7, v25
; %bb.2660:                             ;   in Loop: Header=BB243_2086 Depth=1
	s_or_b32 exec_lo, exec_lo, s23
	v_lshlrev_b32_sdwa v4, v79, v4 dst_sel:DWORD dst_unused:UNUSED_PAD src0_sel:DWORD src1_sel:BYTE_3
	v_lshlrev_b32_e32 v6, 20, v6
	v_lshl_add_u32 v5, v5, 23, 0x3c000000
	v_mov_b32_e32 v25, v7
	v_and_b32_e32 v4, 0x80000000, v4
	v_or3_b32 v26, v6, v4, v5
.LBB243_2661:                           ;   in Loop: Header=BB243_2086 Depth=1
	s_or_b32 exec_lo, exec_lo, s22
.LBB243_2662:                           ;   in Loop: Header=BB243_2086 Depth=1
	s_or_b32 exec_lo, exec_lo, s21
.LBB243_2663:                           ;   in Loop: Header=BB243_2086 Depth=1
	s_or_b32 exec_lo, exec_lo, s19
	v_or_b32_e32 v4, v24, v22
	v_or_b32_e32 v5, v23, v21
	;; [unrolled: 1-line block ×4, first 2 shown]
	v_mul_f32_e32 v4, v106, v4
	buffer_store_dword v4, off, s[0:3], s32 offset:772 ; 4-byte Folded Spill
	v_mul_f32_e32 v4, v106, v5
	buffer_store_dword v4, off, s[0:3], s32 offset:764 ; 4-byte Folded Spill
	;; [unrolled: 2-line block ×4, first 2 shown]
	s_and_saveexec_b32 s8, vcc_lo
	s_cbranch_execz .LBB243_2665
; %bb.2664:                             ;   in Loop: Header=BB243_2086 Depth=1
	buffer_load_dword v4, off, s[0:3], s32 offset:764 ; 4-byte Folded Reload
	s_waitcnt vmcnt(0)
	v_cndmask_b32_e64 v4, 0, v4, s4
	buffer_store_dword v4, off, s[0:3], s32 offset:764 ; 4-byte Folded Spill
	buffer_load_dword v4, off, s[0:3], s32 offset:772 ; 4-byte Folded Reload
	s_waitcnt vmcnt(0)
	v_cndmask_b32_e64 v4, 0, v4, s5
	buffer_store_dword v4, off, s[0:3], s32 offset:772 ; 4-byte Folded Spill
	;; [unrolled: 4-line block ×4, first 2 shown]
.LBB243_2665:                           ;   in Loop: Header=BB243_2086 Depth=1
	s_or_b32 exec_lo, exec_lo, s8
	flat_load_dword v4, v[19:20] offset:128
	v_mov_b32_e32 v23, 0
	v_mov_b32_e32 v21, 0
	;; [unrolled: 1-line block ×4, first 2 shown]
	s_waitcnt vmcnt(0) lgkmcnt(0)
	v_cmp_ne_u16_sdwa s8, v4, v7 src0_sel:BYTE_0 src1_sel:DWORD
	s_and_saveexec_b32 s19, s8
	s_cbranch_execz .LBB243_2673
; %bb.2666:                             ;   in Loop: Header=BB243_2086 Depth=1
	v_bfrev_b32_e32 v21, 1
	v_mov_b32_e32 v22, 0
	v_cmp_ne_u16_sdwa s8, v4, v75 src0_sel:BYTE_0 src1_sel:DWORD
	s_and_saveexec_b32 s21, s8
	s_cbranch_execz .LBB243_2672
; %bb.2667:                             ;   in Loop: Header=BB243_2086 Depth=1
	v_mov_b32_e32 v21, 0x7f800001
	v_and_b32_e32 v8, 0x7f, v4
	v_mov_b32_e32 v22, 0
	s_mov_b32 s22, exec_lo
	v_cmpx_ne_u32_e32 0x7f, v8
	s_cbranch_execz .LBB243_2671
; %bb.2668:                             ;   in Loop: Header=BB243_2086 Depth=1
	v_and_b32_e32 v6, 7, v4
	v_lshrrev_b32_e32 v5, 3, v8
	s_mov_b32 s23, exec_lo
	v_cmpx_gt_u32_e32 8, v8
; %bb.2669:                             ;   in Loop: Header=BB243_2086 Depth=1
	v_ffbh_u32_e32 v5, v6
	v_min_u32_e32 v5, 32, v5
	v_subrev_nc_u32_e32 v8, 28, v5
	v_sub_nc_u32_e32 v5, 29, v5
	v_lshlrev_b64 v[21:22], v8, v[6:7]
	v_and_b32_e32 v6, 7, v21
; %bb.2670:                             ;   in Loop: Header=BB243_2086 Depth=1
	s_or_b32 exec_lo, exec_lo, s23
	v_lshlrev_b32_e32 v8, 24, v4
	v_lshlrev_b32_e32 v6, 20, v6
	v_lshl_add_u32 v5, v5, 23, 0x3c000000
	v_and_b32_e32 v8, 0x80000000, v8
	v_or3_b32 v6, v6, v8, v5
	v_mov_b32_e32 v22, v7
	v_mov_b32_e32 v21, v6
.LBB243_2671:                           ;   in Loop: Header=BB243_2086 Depth=1
	s_or_b32 exec_lo, exec_lo, s22
.LBB243_2672:                           ;   in Loop: Header=BB243_2086 Depth=1
	s_or_b32 exec_lo, exec_lo, s21
.LBB243_2673:                           ;   in Loop: Header=BB243_2086 Depth=1
	s_or_b32 exec_lo, exec_lo, s19
	v_cmp_ne_u16_sdwa s8, v4, v7 src0_sel:BYTE_1 src1_sel:DWORD
	s_and_saveexec_b32 s19, s8
	s_cbranch_execz .LBB243_2681
; %bb.2674:                             ;   in Loop: Header=BB243_2086 Depth=1
	v_mov_b32_e32 v8, v7
	v_mov_b32_e32 v24, v9
	v_cmp_ne_u16_sdwa s8, v4, v75 src0_sel:BYTE_1 src1_sel:DWORD
	v_mov_b32_e32 v23, v8
	s_and_saveexec_b32 s21, s8
	s_cbranch_execz .LBB243_2680
; %bb.2675:                             ;   in Loop: Header=BB243_2086 Depth=1
	v_mov_b32_e32 v5, 0xffff
	v_mov_b32_e32 v10, v7
	;; [unrolled: 1-line block ×3, first 2 shown]
	s_mov_b32 s22, exec_lo
	v_and_b32_sdwa v5, v5, v4 dst_sel:DWORD dst_unused:UNUSED_PAD src0_sel:DWORD src1_sel:BYTE_1
	v_mov_b32_e32 v23, v10
	v_and_b32_e32 v8, 0x7f, v5
	v_cmpx_ne_u32_e32 0x7f, v8
	s_cbranch_execz .LBB243_2679
; %bb.2676:                             ;   in Loop: Header=BB243_2086 Depth=1
	v_and_b32_e32 v6, 7, v5
	v_lshrrev_b32_e32 v5, 3, v8
	s_mov_b32 s23, exec_lo
	v_cmpx_gt_u32_e32 8, v8
; %bb.2677:                             ;   in Loop: Header=BB243_2086 Depth=1
	v_ffbh_u32_e32 v5, v6
	v_min_u32_e32 v5, 32, v5
	v_subrev_nc_u32_e32 v8, 28, v5
	v_sub_nc_u32_e32 v5, 29, v5
	v_lshlrev_b64 v[23:24], v8, v[6:7]
	v_and_b32_e32 v6, 7, v23
; %bb.2678:                             ;   in Loop: Header=BB243_2086 Depth=1
	s_or_b32 exec_lo, exec_lo, s23
	v_lshlrev_b32_e32 v8, 16, v4
	v_lshlrev_b32_e32 v6, 20, v6
	v_lshl_add_u32 v5, v5, 23, 0x3c000000
	v_mov_b32_e32 v23, v7
	v_and_b32_e32 v8, 0x80000000, v8
	v_or3_b32 v24, v6, v8, v5
.LBB243_2679:                           ;   in Loop: Header=BB243_2086 Depth=1
	s_or_b32 exec_lo, exec_lo, s22
.LBB243_2680:                           ;   in Loop: Header=BB243_2086 Depth=1
	s_or_b32 exec_lo, exec_lo, s21
.LBB243_2681:                           ;   in Loop: Header=BB243_2086 Depth=1
	s_or_b32 exec_lo, exec_lo, s19
	v_mov_b32_e32 v25, 0
	v_mov_b32_e32 v27, 0
	v_and_b32_sdwa v5, v4, v77 dst_sel:DWORD dst_unused:UNUSED_PAD src0_sel:WORD_1 src1_sel:DWORD
	v_mov_b32_e32 v26, 0
	v_mov_b32_e32 v28, 0
	s_mov_b32 s19, exec_lo
	v_cmpx_ne_u16_e32 0, v5
	s_cbranch_execz .LBB243_2689
; %bb.2682:                             ;   in Loop: Header=BB243_2086 Depth=1
	v_bfrev_b32_e32 v27, 1
	v_mov_b32_e32 v28, 0
	s_mov_b32 s21, exec_lo
	v_cmpx_ne_u16_e32 0x80, v5
	s_cbranch_execz .LBB243_2688
; %bb.2683:                             ;   in Loop: Header=BB243_2086 Depth=1
	v_mov_b32_e32 v27, 0x7f800001
	v_bfe_u32 v8, v4, 16, 7
	v_mov_b32_e32 v28, 0
	s_mov_b32 s22, exec_lo
	v_cmpx_ne_u32_e32 0x7f, v8
	s_cbranch_execz .LBB243_2687
; %bb.2684:                             ;   in Loop: Header=BB243_2086 Depth=1
	v_and_b32_sdwa v6, v4, v30 dst_sel:DWORD dst_unused:UNUSED_PAD src0_sel:WORD_1 src1_sel:DWORD
	v_lshrrev_b32_e32 v5, 3, v8
	s_mov_b32 s23, exec_lo
	v_cmpx_gt_u32_e32 8, v8
; %bb.2685:                             ;   in Loop: Header=BB243_2086 Depth=1
	v_ffbh_u32_e32 v5, v6
	v_min_u32_e32 v5, 32, v5
	v_subrev_nc_u32_e32 v8, 28, v5
	v_sub_nc_u32_e32 v5, 29, v5
	v_lshlrev_b64 v[27:28], v8, v[6:7]
	v_and_b32_e32 v6, 7, v27
; %bb.2686:                             ;   in Loop: Header=BB243_2086 Depth=1
	s_or_b32 exec_lo, exec_lo, s23
	v_lshlrev_b32_sdwa v8, v79, v4 dst_sel:DWORD dst_unused:UNUSED_PAD src0_sel:DWORD src1_sel:WORD_1
	v_lshlrev_b32_e32 v6, 20, v6
	v_lshl_add_u32 v5, v5, 23, 0x3c000000
	v_and_b32_e32 v8, 0x80000000, v8
	v_or3_b32 v6, v6, v8, v5
	v_mov_b32_e32 v28, v7
	v_mov_b32_e32 v27, v6
.LBB243_2687:                           ;   in Loop: Header=BB243_2086 Depth=1
	s_or_b32 exec_lo, exec_lo, s22
.LBB243_2688:                           ;   in Loop: Header=BB243_2086 Depth=1
	s_or_b32 exec_lo, exec_lo, s21
.LBB243_2689:                           ;   in Loop: Header=BB243_2086 Depth=1
	s_or_b32 exec_lo, exec_lo, s19
	s_mov_b32 s19, exec_lo
	v_cmpx_lt_u32_e32 0xffffff, v4
	s_cbranch_execz .LBB243_2697
; %bb.2690:                             ;   in Loop: Header=BB243_2086 Depth=1
	v_mov_b32_e32 v8, v7
	v_mov_b32_e32 v26, v9
	v_cmp_ne_u32_sdwa s8, v4, v75 src0_sel:BYTE_3 src1_sel:DWORD
	v_mov_b32_e32 v25, v8
	s_and_saveexec_b32 s21, s8
	s_cbranch_execz .LBB243_2696
; %bb.2691:                             ;   in Loop: Header=BB243_2086 Depth=1
	v_mov_b32_e32 v10, v7
	v_mov_b32_e32 v26, v11
	v_bfe_u32 v8, v4, 24, 7
	s_mov_b32 s22, exec_lo
	v_mov_b32_e32 v25, v10
	v_cmpx_ne_u32_e32 0x7f, v8
	s_cbranch_execz .LBB243_2695
; %bb.2692:                             ;   in Loop: Header=BB243_2086 Depth=1
	v_and_b32_sdwa v6, v4, v30 dst_sel:DWORD dst_unused:UNUSED_PAD src0_sel:BYTE_3 src1_sel:DWORD
	v_lshrrev_b32_e32 v5, 3, v8
	s_mov_b32 s23, exec_lo
	v_cmpx_gt_u32_e32 8, v8
; %bb.2693:                             ;   in Loop: Header=BB243_2086 Depth=1
	v_ffbh_u32_e32 v5, v6
	v_min_u32_e32 v5, 32, v5
	v_subrev_nc_u32_e32 v8, 28, v5
	v_sub_nc_u32_e32 v5, 29, v5
	v_lshlrev_b64 v[25:26], v8, v[6:7]
	v_and_b32_e32 v6, 7, v25
; %bb.2694:                             ;   in Loop: Header=BB243_2086 Depth=1
	s_or_b32 exec_lo, exec_lo, s23
	v_lshlrev_b32_sdwa v4, v79, v4 dst_sel:DWORD dst_unused:UNUSED_PAD src0_sel:DWORD src1_sel:BYTE_3
	v_lshlrev_b32_e32 v6, 20, v6
	v_lshl_add_u32 v5, v5, 23, 0x3c000000
	v_mov_b32_e32 v25, v7
	v_and_b32_e32 v4, 0x80000000, v4
	v_or3_b32 v26, v6, v4, v5
.LBB243_2695:                           ;   in Loop: Header=BB243_2086 Depth=1
	s_or_b32 exec_lo, exec_lo, s22
.LBB243_2696:                           ;   in Loop: Header=BB243_2086 Depth=1
	s_or_b32 exec_lo, exec_lo, s21
.LBB243_2697:                           ;   in Loop: Header=BB243_2086 Depth=1
	s_or_b32 exec_lo, exec_lo, s19
	v_or_b32_e32 v4, v24, v22
	v_or_b32_e32 v5, v23, v21
	;; [unrolled: 1-line block ×4, first 2 shown]
	v_mul_f32_e32 v4, v106, v4
	buffer_store_dword v4, off, s[0:3], s32 offset:804 ; 4-byte Folded Spill
	v_mul_f32_e32 v4, v106, v5
	buffer_store_dword v4, off, s[0:3], s32 offset:796 ; 4-byte Folded Spill
	;; [unrolled: 2-line block ×4, first 2 shown]
	s_and_saveexec_b32 s8, vcc_lo
	s_cbranch_execz .LBB243_2699
; %bb.2698:                             ;   in Loop: Header=BB243_2086 Depth=1
	buffer_load_dword v4, off, s[0:3], s32 offset:796 ; 4-byte Folded Reload
	s_waitcnt vmcnt(0)
	v_cndmask_b32_e64 v4, 0, v4, s4
	buffer_store_dword v4, off, s[0:3], s32 offset:796 ; 4-byte Folded Spill
	buffer_load_dword v4, off, s[0:3], s32 offset:804 ; 4-byte Folded Reload
	s_waitcnt vmcnt(0)
	v_cndmask_b32_e64 v4, 0, v4, s5
	buffer_store_dword v4, off, s[0:3], s32 offset:804 ; 4-byte Folded Spill
	;; [unrolled: 4-line block ×4, first 2 shown]
.LBB243_2699:                           ;   in Loop: Header=BB243_2086 Depth=1
	s_or_b32 exec_lo, exec_lo, s8
	flat_load_dword v4, v[19:20] offset:256
	v_mov_b32_e32 v23, 0
	v_mov_b32_e32 v21, 0
	;; [unrolled: 1-line block ×4, first 2 shown]
	s_waitcnt vmcnt(0) lgkmcnt(0)
	v_cmp_ne_u16_sdwa s8, v4, v7 src0_sel:BYTE_0 src1_sel:DWORD
	s_and_saveexec_b32 s19, s8
	s_cbranch_execz .LBB243_2707
; %bb.2700:                             ;   in Loop: Header=BB243_2086 Depth=1
	v_bfrev_b32_e32 v21, 1
	v_mov_b32_e32 v22, 0
	v_cmp_ne_u16_sdwa s8, v4, v75 src0_sel:BYTE_0 src1_sel:DWORD
	s_and_saveexec_b32 s21, s8
	s_cbranch_execz .LBB243_2706
; %bb.2701:                             ;   in Loop: Header=BB243_2086 Depth=1
	v_mov_b32_e32 v21, 0x7f800001
	v_and_b32_e32 v8, 0x7f, v4
	v_mov_b32_e32 v22, 0
	s_mov_b32 s22, exec_lo
	v_cmpx_ne_u32_e32 0x7f, v8
	s_cbranch_execz .LBB243_2705
; %bb.2702:                             ;   in Loop: Header=BB243_2086 Depth=1
	v_and_b32_e32 v6, 7, v4
	v_lshrrev_b32_e32 v5, 3, v8
	s_mov_b32 s23, exec_lo
	v_cmpx_gt_u32_e32 8, v8
; %bb.2703:                             ;   in Loop: Header=BB243_2086 Depth=1
	v_ffbh_u32_e32 v5, v6
	v_min_u32_e32 v5, 32, v5
	v_subrev_nc_u32_e32 v8, 28, v5
	v_sub_nc_u32_e32 v5, 29, v5
	v_lshlrev_b64 v[21:22], v8, v[6:7]
	v_and_b32_e32 v6, 7, v21
; %bb.2704:                             ;   in Loop: Header=BB243_2086 Depth=1
	s_or_b32 exec_lo, exec_lo, s23
	v_lshlrev_b32_e32 v8, 24, v4
	v_lshlrev_b32_e32 v6, 20, v6
	v_lshl_add_u32 v5, v5, 23, 0x3c000000
	v_and_b32_e32 v8, 0x80000000, v8
	v_or3_b32 v6, v6, v8, v5
	v_mov_b32_e32 v22, v7
	v_mov_b32_e32 v21, v6
.LBB243_2705:                           ;   in Loop: Header=BB243_2086 Depth=1
	s_or_b32 exec_lo, exec_lo, s22
.LBB243_2706:                           ;   in Loop: Header=BB243_2086 Depth=1
	s_or_b32 exec_lo, exec_lo, s21
.LBB243_2707:                           ;   in Loop: Header=BB243_2086 Depth=1
	s_or_b32 exec_lo, exec_lo, s19
	v_cmp_ne_u16_sdwa s8, v4, v7 src0_sel:BYTE_1 src1_sel:DWORD
	s_and_saveexec_b32 s19, s8
	s_cbranch_execz .LBB243_2715
; %bb.2708:                             ;   in Loop: Header=BB243_2086 Depth=1
	v_mov_b32_e32 v8, v7
	v_mov_b32_e32 v24, v9
	v_cmp_ne_u16_sdwa s8, v4, v75 src0_sel:BYTE_1 src1_sel:DWORD
	v_mov_b32_e32 v23, v8
	s_and_saveexec_b32 s21, s8
	s_cbranch_execz .LBB243_2714
; %bb.2709:                             ;   in Loop: Header=BB243_2086 Depth=1
	v_mov_b32_e32 v5, 0xffff
	v_mov_b32_e32 v10, v7
	;; [unrolled: 1-line block ×3, first 2 shown]
	s_mov_b32 s22, exec_lo
	v_and_b32_sdwa v5, v5, v4 dst_sel:DWORD dst_unused:UNUSED_PAD src0_sel:DWORD src1_sel:BYTE_1
	v_mov_b32_e32 v23, v10
	v_and_b32_e32 v8, 0x7f, v5
	v_cmpx_ne_u32_e32 0x7f, v8
	s_cbranch_execz .LBB243_2713
; %bb.2710:                             ;   in Loop: Header=BB243_2086 Depth=1
	v_and_b32_e32 v6, 7, v5
	v_lshrrev_b32_e32 v5, 3, v8
	s_mov_b32 s23, exec_lo
	v_cmpx_gt_u32_e32 8, v8
; %bb.2711:                             ;   in Loop: Header=BB243_2086 Depth=1
	v_ffbh_u32_e32 v5, v6
	v_min_u32_e32 v5, 32, v5
	v_subrev_nc_u32_e32 v8, 28, v5
	v_sub_nc_u32_e32 v5, 29, v5
	v_lshlrev_b64 v[23:24], v8, v[6:7]
	v_and_b32_e32 v6, 7, v23
; %bb.2712:                             ;   in Loop: Header=BB243_2086 Depth=1
	s_or_b32 exec_lo, exec_lo, s23
	v_lshlrev_b32_e32 v8, 16, v4
	v_lshlrev_b32_e32 v6, 20, v6
	v_lshl_add_u32 v5, v5, 23, 0x3c000000
	v_mov_b32_e32 v23, v7
	v_and_b32_e32 v8, 0x80000000, v8
	v_or3_b32 v24, v6, v8, v5
.LBB243_2713:                           ;   in Loop: Header=BB243_2086 Depth=1
	s_or_b32 exec_lo, exec_lo, s22
.LBB243_2714:                           ;   in Loop: Header=BB243_2086 Depth=1
	s_or_b32 exec_lo, exec_lo, s21
.LBB243_2715:                           ;   in Loop: Header=BB243_2086 Depth=1
	s_or_b32 exec_lo, exec_lo, s19
	v_mov_b32_e32 v25, 0
	v_mov_b32_e32 v27, 0
	v_and_b32_sdwa v5, v4, v77 dst_sel:DWORD dst_unused:UNUSED_PAD src0_sel:WORD_1 src1_sel:DWORD
	v_mov_b32_e32 v26, 0
	v_mov_b32_e32 v28, 0
	s_mov_b32 s19, exec_lo
	v_cmpx_ne_u16_e32 0, v5
	s_cbranch_execz .LBB243_2723
; %bb.2716:                             ;   in Loop: Header=BB243_2086 Depth=1
	v_bfrev_b32_e32 v27, 1
	v_mov_b32_e32 v28, 0
	s_mov_b32 s21, exec_lo
	v_cmpx_ne_u16_e32 0x80, v5
	s_cbranch_execz .LBB243_2722
; %bb.2717:                             ;   in Loop: Header=BB243_2086 Depth=1
	v_mov_b32_e32 v27, 0x7f800001
	v_bfe_u32 v8, v4, 16, 7
	v_mov_b32_e32 v28, 0
	s_mov_b32 s22, exec_lo
	v_cmpx_ne_u32_e32 0x7f, v8
	s_cbranch_execz .LBB243_2721
; %bb.2718:                             ;   in Loop: Header=BB243_2086 Depth=1
	v_and_b32_sdwa v6, v4, v30 dst_sel:DWORD dst_unused:UNUSED_PAD src0_sel:WORD_1 src1_sel:DWORD
	v_lshrrev_b32_e32 v5, 3, v8
	s_mov_b32 s23, exec_lo
	v_cmpx_gt_u32_e32 8, v8
; %bb.2719:                             ;   in Loop: Header=BB243_2086 Depth=1
	v_ffbh_u32_e32 v5, v6
	v_min_u32_e32 v5, 32, v5
	v_subrev_nc_u32_e32 v8, 28, v5
	v_sub_nc_u32_e32 v5, 29, v5
	v_lshlrev_b64 v[27:28], v8, v[6:7]
	v_and_b32_e32 v6, 7, v27
; %bb.2720:                             ;   in Loop: Header=BB243_2086 Depth=1
	s_or_b32 exec_lo, exec_lo, s23
	v_lshlrev_b32_sdwa v8, v79, v4 dst_sel:DWORD dst_unused:UNUSED_PAD src0_sel:DWORD src1_sel:WORD_1
	v_lshlrev_b32_e32 v6, 20, v6
	v_lshl_add_u32 v5, v5, 23, 0x3c000000
	v_and_b32_e32 v8, 0x80000000, v8
	v_or3_b32 v6, v6, v8, v5
	v_mov_b32_e32 v28, v7
	v_mov_b32_e32 v27, v6
.LBB243_2721:                           ;   in Loop: Header=BB243_2086 Depth=1
	s_or_b32 exec_lo, exec_lo, s22
.LBB243_2722:                           ;   in Loop: Header=BB243_2086 Depth=1
	s_or_b32 exec_lo, exec_lo, s21
.LBB243_2723:                           ;   in Loop: Header=BB243_2086 Depth=1
	s_or_b32 exec_lo, exec_lo, s19
	s_mov_b32 s19, exec_lo
	v_cmpx_lt_u32_e32 0xffffff, v4
	s_cbranch_execz .LBB243_2731
; %bb.2724:                             ;   in Loop: Header=BB243_2086 Depth=1
	v_mov_b32_e32 v8, v7
	v_mov_b32_e32 v26, v9
	v_cmp_ne_u32_sdwa s8, v4, v75 src0_sel:BYTE_3 src1_sel:DWORD
	v_mov_b32_e32 v25, v8
	s_and_saveexec_b32 s21, s8
	s_cbranch_execz .LBB243_2730
; %bb.2725:                             ;   in Loop: Header=BB243_2086 Depth=1
	v_mov_b32_e32 v10, v7
	v_mov_b32_e32 v26, v11
	v_bfe_u32 v8, v4, 24, 7
	s_mov_b32 s22, exec_lo
	v_mov_b32_e32 v25, v10
	v_cmpx_ne_u32_e32 0x7f, v8
	s_cbranch_execz .LBB243_2729
; %bb.2726:                             ;   in Loop: Header=BB243_2086 Depth=1
	v_and_b32_sdwa v6, v4, v30 dst_sel:DWORD dst_unused:UNUSED_PAD src0_sel:BYTE_3 src1_sel:DWORD
	v_lshrrev_b32_e32 v5, 3, v8
	s_mov_b32 s23, exec_lo
	v_cmpx_gt_u32_e32 8, v8
; %bb.2727:                             ;   in Loop: Header=BB243_2086 Depth=1
	v_ffbh_u32_e32 v5, v6
	v_min_u32_e32 v5, 32, v5
	v_subrev_nc_u32_e32 v8, 28, v5
	v_sub_nc_u32_e32 v5, 29, v5
	v_lshlrev_b64 v[25:26], v8, v[6:7]
	v_and_b32_e32 v6, 7, v25
; %bb.2728:                             ;   in Loop: Header=BB243_2086 Depth=1
	s_or_b32 exec_lo, exec_lo, s23
	v_lshlrev_b32_sdwa v4, v79, v4 dst_sel:DWORD dst_unused:UNUSED_PAD src0_sel:DWORD src1_sel:BYTE_3
	v_lshlrev_b32_e32 v6, 20, v6
	v_lshl_add_u32 v5, v5, 23, 0x3c000000
	v_mov_b32_e32 v25, v7
	v_and_b32_e32 v4, 0x80000000, v4
	v_or3_b32 v26, v6, v4, v5
.LBB243_2729:                           ;   in Loop: Header=BB243_2086 Depth=1
	s_or_b32 exec_lo, exec_lo, s22
.LBB243_2730:                           ;   in Loop: Header=BB243_2086 Depth=1
	s_or_b32 exec_lo, exec_lo, s21
.LBB243_2731:                           ;   in Loop: Header=BB243_2086 Depth=1
	s_or_b32 exec_lo, exec_lo, s19
	v_or_b32_e32 v4, v24, v22
	v_or_b32_e32 v5, v23, v21
	;; [unrolled: 1-line block ×4, first 2 shown]
	v_mul_f32_e32 v4, v106, v4
	buffer_store_dword v4, off, s[0:3], s32 offset:836 ; 4-byte Folded Spill
	v_mul_f32_e32 v4, v106, v5
	buffer_store_dword v4, off, s[0:3], s32 offset:828 ; 4-byte Folded Spill
	;; [unrolled: 2-line block ×4, first 2 shown]
	s_and_saveexec_b32 s8, vcc_lo
	s_cbranch_execz .LBB243_2733
; %bb.2732:                             ;   in Loop: Header=BB243_2086 Depth=1
	buffer_load_dword v4, off, s[0:3], s32 offset:828 ; 4-byte Folded Reload
	s_waitcnt vmcnt(0)
	v_cndmask_b32_e64 v4, 0, v4, s4
	buffer_store_dword v4, off, s[0:3], s32 offset:828 ; 4-byte Folded Spill
	buffer_load_dword v4, off, s[0:3], s32 offset:836 ; 4-byte Folded Reload
	s_waitcnt vmcnt(0)
	v_cndmask_b32_e64 v4, 0, v4, s5
	buffer_store_dword v4, off, s[0:3], s32 offset:836 ; 4-byte Folded Spill
	;; [unrolled: 4-line block ×4, first 2 shown]
.LBB243_2733:                           ;   in Loop: Header=BB243_2086 Depth=1
	s_or_b32 exec_lo, exec_lo, s8
	flat_load_dword v4, v[19:20] offset:384
	v_mov_b32_e32 v23, 0
	v_mov_b32_e32 v21, 0
	;; [unrolled: 1-line block ×4, first 2 shown]
	s_waitcnt vmcnt(0) lgkmcnt(0)
	v_cmp_ne_u16_sdwa s8, v4, v7 src0_sel:BYTE_0 src1_sel:DWORD
	s_and_saveexec_b32 s19, s8
	s_cbranch_execz .LBB243_2741
; %bb.2734:                             ;   in Loop: Header=BB243_2086 Depth=1
	v_bfrev_b32_e32 v21, 1
	v_mov_b32_e32 v22, 0
	v_cmp_ne_u16_sdwa s8, v4, v75 src0_sel:BYTE_0 src1_sel:DWORD
	s_and_saveexec_b32 s21, s8
	s_cbranch_execz .LBB243_2740
; %bb.2735:                             ;   in Loop: Header=BB243_2086 Depth=1
	v_mov_b32_e32 v21, 0x7f800001
	v_and_b32_e32 v8, 0x7f, v4
	v_mov_b32_e32 v22, 0
	s_mov_b32 s22, exec_lo
	v_cmpx_ne_u32_e32 0x7f, v8
	s_cbranch_execz .LBB243_2739
; %bb.2736:                             ;   in Loop: Header=BB243_2086 Depth=1
	v_and_b32_e32 v6, 7, v4
	v_lshrrev_b32_e32 v5, 3, v8
	s_mov_b32 s23, exec_lo
	v_cmpx_gt_u32_e32 8, v8
; %bb.2737:                             ;   in Loop: Header=BB243_2086 Depth=1
	v_ffbh_u32_e32 v5, v6
	v_min_u32_e32 v5, 32, v5
	v_subrev_nc_u32_e32 v8, 28, v5
	v_sub_nc_u32_e32 v5, 29, v5
	v_lshlrev_b64 v[21:22], v8, v[6:7]
	v_and_b32_e32 v6, 7, v21
; %bb.2738:                             ;   in Loop: Header=BB243_2086 Depth=1
	s_or_b32 exec_lo, exec_lo, s23
	v_lshlrev_b32_e32 v8, 24, v4
	v_lshlrev_b32_e32 v6, 20, v6
	v_lshl_add_u32 v5, v5, 23, 0x3c000000
	v_and_b32_e32 v8, 0x80000000, v8
	v_or3_b32 v6, v6, v8, v5
	v_mov_b32_e32 v22, v7
	v_mov_b32_e32 v21, v6
.LBB243_2739:                           ;   in Loop: Header=BB243_2086 Depth=1
	s_or_b32 exec_lo, exec_lo, s22
.LBB243_2740:                           ;   in Loop: Header=BB243_2086 Depth=1
	s_or_b32 exec_lo, exec_lo, s21
.LBB243_2741:                           ;   in Loop: Header=BB243_2086 Depth=1
	s_or_b32 exec_lo, exec_lo, s19
	v_cmp_ne_u16_sdwa s8, v4, v7 src0_sel:BYTE_1 src1_sel:DWORD
	s_and_saveexec_b32 s19, s8
	s_cbranch_execz .LBB243_2749
; %bb.2742:                             ;   in Loop: Header=BB243_2086 Depth=1
	v_mov_b32_e32 v8, v7
	v_mov_b32_e32 v24, v9
	v_cmp_ne_u16_sdwa s8, v4, v75 src0_sel:BYTE_1 src1_sel:DWORD
	v_mov_b32_e32 v23, v8
	s_and_saveexec_b32 s21, s8
	s_cbranch_execz .LBB243_2748
; %bb.2743:                             ;   in Loop: Header=BB243_2086 Depth=1
	v_mov_b32_e32 v5, 0xffff
	v_mov_b32_e32 v10, v7
	;; [unrolled: 1-line block ×3, first 2 shown]
	s_mov_b32 s22, exec_lo
	v_and_b32_sdwa v5, v5, v4 dst_sel:DWORD dst_unused:UNUSED_PAD src0_sel:DWORD src1_sel:BYTE_1
	v_mov_b32_e32 v23, v10
	v_and_b32_e32 v8, 0x7f, v5
	v_cmpx_ne_u32_e32 0x7f, v8
	s_cbranch_execz .LBB243_2747
; %bb.2744:                             ;   in Loop: Header=BB243_2086 Depth=1
	v_and_b32_e32 v6, 7, v5
	v_lshrrev_b32_e32 v5, 3, v8
	s_mov_b32 s23, exec_lo
	v_cmpx_gt_u32_e32 8, v8
; %bb.2745:                             ;   in Loop: Header=BB243_2086 Depth=1
	v_ffbh_u32_e32 v5, v6
	v_min_u32_e32 v5, 32, v5
	v_subrev_nc_u32_e32 v8, 28, v5
	v_sub_nc_u32_e32 v5, 29, v5
	v_lshlrev_b64 v[23:24], v8, v[6:7]
	v_and_b32_e32 v6, 7, v23
; %bb.2746:                             ;   in Loop: Header=BB243_2086 Depth=1
	s_or_b32 exec_lo, exec_lo, s23
	v_lshlrev_b32_e32 v8, 16, v4
	v_lshlrev_b32_e32 v6, 20, v6
	v_lshl_add_u32 v5, v5, 23, 0x3c000000
	v_mov_b32_e32 v23, v7
	v_and_b32_e32 v8, 0x80000000, v8
	v_or3_b32 v24, v6, v8, v5
.LBB243_2747:                           ;   in Loop: Header=BB243_2086 Depth=1
	s_or_b32 exec_lo, exec_lo, s22
.LBB243_2748:                           ;   in Loop: Header=BB243_2086 Depth=1
	s_or_b32 exec_lo, exec_lo, s21
.LBB243_2749:                           ;   in Loop: Header=BB243_2086 Depth=1
	s_or_b32 exec_lo, exec_lo, s19
	v_mov_b32_e32 v25, 0
	v_mov_b32_e32 v27, 0
	v_and_b32_sdwa v5, v4, v77 dst_sel:DWORD dst_unused:UNUSED_PAD src0_sel:WORD_1 src1_sel:DWORD
	v_mov_b32_e32 v26, 0
	v_mov_b32_e32 v28, 0
	s_mov_b32 s19, exec_lo
	v_cmpx_ne_u16_e32 0, v5
	s_cbranch_execz .LBB243_2757
; %bb.2750:                             ;   in Loop: Header=BB243_2086 Depth=1
	v_bfrev_b32_e32 v27, 1
	v_mov_b32_e32 v28, 0
	s_mov_b32 s21, exec_lo
	v_cmpx_ne_u16_e32 0x80, v5
	s_cbranch_execz .LBB243_2756
; %bb.2751:                             ;   in Loop: Header=BB243_2086 Depth=1
	v_mov_b32_e32 v27, 0x7f800001
	v_bfe_u32 v8, v4, 16, 7
	v_mov_b32_e32 v28, 0
	s_mov_b32 s22, exec_lo
	v_cmpx_ne_u32_e32 0x7f, v8
	s_cbranch_execz .LBB243_2755
; %bb.2752:                             ;   in Loop: Header=BB243_2086 Depth=1
	v_and_b32_sdwa v6, v4, v30 dst_sel:DWORD dst_unused:UNUSED_PAD src0_sel:WORD_1 src1_sel:DWORD
	v_lshrrev_b32_e32 v5, 3, v8
	s_mov_b32 s23, exec_lo
	v_cmpx_gt_u32_e32 8, v8
; %bb.2753:                             ;   in Loop: Header=BB243_2086 Depth=1
	v_ffbh_u32_e32 v5, v6
	v_min_u32_e32 v5, 32, v5
	v_subrev_nc_u32_e32 v8, 28, v5
	v_sub_nc_u32_e32 v5, 29, v5
	v_lshlrev_b64 v[27:28], v8, v[6:7]
	v_and_b32_e32 v6, 7, v27
; %bb.2754:                             ;   in Loop: Header=BB243_2086 Depth=1
	s_or_b32 exec_lo, exec_lo, s23
	v_lshlrev_b32_sdwa v8, v79, v4 dst_sel:DWORD dst_unused:UNUSED_PAD src0_sel:DWORD src1_sel:WORD_1
	v_lshlrev_b32_e32 v6, 20, v6
	v_lshl_add_u32 v5, v5, 23, 0x3c000000
	v_and_b32_e32 v8, 0x80000000, v8
	v_or3_b32 v6, v6, v8, v5
	v_mov_b32_e32 v28, v7
	v_mov_b32_e32 v27, v6
.LBB243_2755:                           ;   in Loop: Header=BB243_2086 Depth=1
	s_or_b32 exec_lo, exec_lo, s22
.LBB243_2756:                           ;   in Loop: Header=BB243_2086 Depth=1
	s_or_b32 exec_lo, exec_lo, s21
.LBB243_2757:                           ;   in Loop: Header=BB243_2086 Depth=1
	s_or_b32 exec_lo, exec_lo, s19
	s_mov_b32 s19, exec_lo
	v_cmpx_lt_u32_e32 0xffffff, v4
	s_cbranch_execz .LBB243_2765
; %bb.2758:                             ;   in Loop: Header=BB243_2086 Depth=1
	v_mov_b32_e32 v8, v7
	v_mov_b32_e32 v26, v9
	v_cmp_ne_u32_sdwa s8, v4, v75 src0_sel:BYTE_3 src1_sel:DWORD
	v_mov_b32_e32 v25, v8
	s_and_saveexec_b32 s21, s8
	s_cbranch_execz .LBB243_2764
; %bb.2759:                             ;   in Loop: Header=BB243_2086 Depth=1
	v_mov_b32_e32 v10, v7
	v_mov_b32_e32 v26, v11
	v_bfe_u32 v8, v4, 24, 7
	s_mov_b32 s22, exec_lo
	v_mov_b32_e32 v25, v10
	v_cmpx_ne_u32_e32 0x7f, v8
	s_cbranch_execz .LBB243_2763
; %bb.2760:                             ;   in Loop: Header=BB243_2086 Depth=1
	v_and_b32_sdwa v6, v4, v30 dst_sel:DWORD dst_unused:UNUSED_PAD src0_sel:BYTE_3 src1_sel:DWORD
	v_lshrrev_b32_e32 v5, 3, v8
	s_mov_b32 s23, exec_lo
	v_cmpx_gt_u32_e32 8, v8
; %bb.2761:                             ;   in Loop: Header=BB243_2086 Depth=1
	v_ffbh_u32_e32 v5, v6
	v_min_u32_e32 v5, 32, v5
	v_subrev_nc_u32_e32 v8, 28, v5
	v_sub_nc_u32_e32 v5, 29, v5
	v_lshlrev_b64 v[25:26], v8, v[6:7]
	v_and_b32_e32 v6, 7, v25
; %bb.2762:                             ;   in Loop: Header=BB243_2086 Depth=1
	s_or_b32 exec_lo, exec_lo, s23
	v_lshlrev_b32_sdwa v4, v79, v4 dst_sel:DWORD dst_unused:UNUSED_PAD src0_sel:DWORD src1_sel:BYTE_3
	v_lshlrev_b32_e32 v6, 20, v6
	v_lshl_add_u32 v5, v5, 23, 0x3c000000
	v_mov_b32_e32 v25, v7
	v_and_b32_e32 v4, 0x80000000, v4
	v_or3_b32 v26, v6, v4, v5
.LBB243_2763:                           ;   in Loop: Header=BB243_2086 Depth=1
	s_or_b32 exec_lo, exec_lo, s22
.LBB243_2764:                           ;   in Loop: Header=BB243_2086 Depth=1
	s_or_b32 exec_lo, exec_lo, s21
.LBB243_2765:                           ;   in Loop: Header=BB243_2086 Depth=1
	s_or_b32 exec_lo, exec_lo, s19
	v_or_b32_e32 v4, v24, v22
	v_or_b32_e32 v5, v23, v21
	;; [unrolled: 1-line block ×4, first 2 shown]
	v_mul_f32_e32 v4, v106, v4
	buffer_store_dword v4, off, s[0:3], s32 offset:868 ; 4-byte Folded Spill
	v_mul_f32_e32 v4, v106, v5
	buffer_store_dword v4, off, s[0:3], s32 offset:860 ; 4-byte Folded Spill
	;; [unrolled: 2-line block ×4, first 2 shown]
	s_and_saveexec_b32 s8, vcc_lo
	s_cbranch_execz .LBB243_2767
; %bb.2766:                             ;   in Loop: Header=BB243_2086 Depth=1
	buffer_load_dword v4, off, s[0:3], s32 offset:860 ; 4-byte Folded Reload
	s_waitcnt vmcnt(0)
	v_cndmask_b32_e64 v4, 0, v4, s4
	buffer_store_dword v4, off, s[0:3], s32 offset:860 ; 4-byte Folded Spill
	buffer_load_dword v4, off, s[0:3], s32 offset:868 ; 4-byte Folded Reload
	s_waitcnt vmcnt(0)
	v_cndmask_b32_e64 v4, 0, v4, s5
	buffer_store_dword v4, off, s[0:3], s32 offset:868 ; 4-byte Folded Spill
	;; [unrolled: 4-line block ×4, first 2 shown]
.LBB243_2767:                           ;   in Loop: Header=BB243_2086 Depth=1
	s_or_b32 exec_lo, exec_lo, s8
	flat_load_dword v4, v[19:20] offset:512
	v_mov_b32_e32 v23, 0
	v_mov_b32_e32 v21, 0
	;; [unrolled: 1-line block ×4, first 2 shown]
	s_waitcnt vmcnt(0) lgkmcnt(0)
	v_cmp_ne_u16_sdwa s8, v4, v7 src0_sel:BYTE_0 src1_sel:DWORD
	s_and_saveexec_b32 s19, s8
	s_cbranch_execz .LBB243_2775
; %bb.2768:                             ;   in Loop: Header=BB243_2086 Depth=1
	v_bfrev_b32_e32 v21, 1
	v_mov_b32_e32 v22, 0
	v_cmp_ne_u16_sdwa s8, v4, v75 src0_sel:BYTE_0 src1_sel:DWORD
	s_and_saveexec_b32 s21, s8
	s_cbranch_execz .LBB243_2774
; %bb.2769:                             ;   in Loop: Header=BB243_2086 Depth=1
	v_mov_b32_e32 v21, 0x7f800001
	v_and_b32_e32 v8, 0x7f, v4
	v_mov_b32_e32 v22, 0
	s_mov_b32 s22, exec_lo
	v_cmpx_ne_u32_e32 0x7f, v8
	s_cbranch_execz .LBB243_2773
; %bb.2770:                             ;   in Loop: Header=BB243_2086 Depth=1
	v_and_b32_e32 v6, 7, v4
	v_lshrrev_b32_e32 v5, 3, v8
	s_mov_b32 s23, exec_lo
	v_cmpx_gt_u32_e32 8, v8
; %bb.2771:                             ;   in Loop: Header=BB243_2086 Depth=1
	v_ffbh_u32_e32 v5, v6
	v_min_u32_e32 v5, 32, v5
	v_subrev_nc_u32_e32 v8, 28, v5
	v_sub_nc_u32_e32 v5, 29, v5
	v_lshlrev_b64 v[21:22], v8, v[6:7]
	v_and_b32_e32 v6, 7, v21
; %bb.2772:                             ;   in Loop: Header=BB243_2086 Depth=1
	s_or_b32 exec_lo, exec_lo, s23
	v_lshlrev_b32_e32 v8, 24, v4
	v_lshlrev_b32_e32 v6, 20, v6
	v_lshl_add_u32 v5, v5, 23, 0x3c000000
	v_and_b32_e32 v8, 0x80000000, v8
	v_or3_b32 v6, v6, v8, v5
	v_mov_b32_e32 v22, v7
	v_mov_b32_e32 v21, v6
.LBB243_2773:                           ;   in Loop: Header=BB243_2086 Depth=1
	s_or_b32 exec_lo, exec_lo, s22
.LBB243_2774:                           ;   in Loop: Header=BB243_2086 Depth=1
	s_or_b32 exec_lo, exec_lo, s21
.LBB243_2775:                           ;   in Loop: Header=BB243_2086 Depth=1
	s_or_b32 exec_lo, exec_lo, s19
	v_cmp_ne_u16_sdwa s8, v4, v7 src0_sel:BYTE_1 src1_sel:DWORD
	s_and_saveexec_b32 s19, s8
	s_cbranch_execz .LBB243_2783
; %bb.2776:                             ;   in Loop: Header=BB243_2086 Depth=1
	v_mov_b32_e32 v8, v7
	v_mov_b32_e32 v24, v9
	v_cmp_ne_u16_sdwa s8, v4, v75 src0_sel:BYTE_1 src1_sel:DWORD
	v_mov_b32_e32 v23, v8
	s_and_saveexec_b32 s21, s8
	s_cbranch_execz .LBB243_2782
; %bb.2777:                             ;   in Loop: Header=BB243_2086 Depth=1
	v_mov_b32_e32 v5, 0xffff
	v_mov_b32_e32 v10, v7
	;; [unrolled: 1-line block ×3, first 2 shown]
	s_mov_b32 s22, exec_lo
	v_and_b32_sdwa v5, v5, v4 dst_sel:DWORD dst_unused:UNUSED_PAD src0_sel:DWORD src1_sel:BYTE_1
	v_mov_b32_e32 v23, v10
	v_and_b32_e32 v8, 0x7f, v5
	v_cmpx_ne_u32_e32 0x7f, v8
	s_cbranch_execz .LBB243_2781
; %bb.2778:                             ;   in Loop: Header=BB243_2086 Depth=1
	v_and_b32_e32 v6, 7, v5
	v_lshrrev_b32_e32 v5, 3, v8
	s_mov_b32 s23, exec_lo
	v_cmpx_gt_u32_e32 8, v8
; %bb.2779:                             ;   in Loop: Header=BB243_2086 Depth=1
	v_ffbh_u32_e32 v5, v6
	v_min_u32_e32 v5, 32, v5
	v_subrev_nc_u32_e32 v8, 28, v5
	v_sub_nc_u32_e32 v5, 29, v5
	v_lshlrev_b64 v[23:24], v8, v[6:7]
	v_and_b32_e32 v6, 7, v23
; %bb.2780:                             ;   in Loop: Header=BB243_2086 Depth=1
	s_or_b32 exec_lo, exec_lo, s23
	v_lshlrev_b32_e32 v8, 16, v4
	v_lshlrev_b32_e32 v6, 20, v6
	v_lshl_add_u32 v5, v5, 23, 0x3c000000
	v_mov_b32_e32 v23, v7
	v_and_b32_e32 v8, 0x80000000, v8
	v_or3_b32 v24, v6, v8, v5
.LBB243_2781:                           ;   in Loop: Header=BB243_2086 Depth=1
	s_or_b32 exec_lo, exec_lo, s22
.LBB243_2782:                           ;   in Loop: Header=BB243_2086 Depth=1
	s_or_b32 exec_lo, exec_lo, s21
.LBB243_2783:                           ;   in Loop: Header=BB243_2086 Depth=1
	s_or_b32 exec_lo, exec_lo, s19
	v_mov_b32_e32 v25, 0
	v_mov_b32_e32 v27, 0
	v_and_b32_sdwa v5, v4, v77 dst_sel:DWORD dst_unused:UNUSED_PAD src0_sel:WORD_1 src1_sel:DWORD
	v_mov_b32_e32 v26, 0
	v_mov_b32_e32 v28, 0
	s_mov_b32 s19, exec_lo
	v_cmpx_ne_u16_e32 0, v5
	s_cbranch_execz .LBB243_2791
; %bb.2784:                             ;   in Loop: Header=BB243_2086 Depth=1
	v_bfrev_b32_e32 v27, 1
	v_mov_b32_e32 v28, 0
	s_mov_b32 s21, exec_lo
	v_cmpx_ne_u16_e32 0x80, v5
	s_cbranch_execz .LBB243_2790
; %bb.2785:                             ;   in Loop: Header=BB243_2086 Depth=1
	v_mov_b32_e32 v27, 0x7f800001
	v_bfe_u32 v8, v4, 16, 7
	v_mov_b32_e32 v28, 0
	s_mov_b32 s22, exec_lo
	v_cmpx_ne_u32_e32 0x7f, v8
	s_cbranch_execz .LBB243_2789
; %bb.2786:                             ;   in Loop: Header=BB243_2086 Depth=1
	v_and_b32_sdwa v6, v4, v30 dst_sel:DWORD dst_unused:UNUSED_PAD src0_sel:WORD_1 src1_sel:DWORD
	v_lshrrev_b32_e32 v5, 3, v8
	s_mov_b32 s23, exec_lo
	v_cmpx_gt_u32_e32 8, v8
; %bb.2787:                             ;   in Loop: Header=BB243_2086 Depth=1
	v_ffbh_u32_e32 v5, v6
	v_min_u32_e32 v5, 32, v5
	v_subrev_nc_u32_e32 v8, 28, v5
	v_sub_nc_u32_e32 v5, 29, v5
	v_lshlrev_b64 v[27:28], v8, v[6:7]
	v_and_b32_e32 v6, 7, v27
; %bb.2788:                             ;   in Loop: Header=BB243_2086 Depth=1
	s_or_b32 exec_lo, exec_lo, s23
	v_lshlrev_b32_sdwa v8, v79, v4 dst_sel:DWORD dst_unused:UNUSED_PAD src0_sel:DWORD src1_sel:WORD_1
	v_lshlrev_b32_e32 v6, 20, v6
	v_lshl_add_u32 v5, v5, 23, 0x3c000000
	v_and_b32_e32 v8, 0x80000000, v8
	v_or3_b32 v6, v6, v8, v5
	v_mov_b32_e32 v28, v7
	v_mov_b32_e32 v27, v6
.LBB243_2789:                           ;   in Loop: Header=BB243_2086 Depth=1
	s_or_b32 exec_lo, exec_lo, s22
.LBB243_2790:                           ;   in Loop: Header=BB243_2086 Depth=1
	s_or_b32 exec_lo, exec_lo, s21
.LBB243_2791:                           ;   in Loop: Header=BB243_2086 Depth=1
	s_or_b32 exec_lo, exec_lo, s19
	s_mov_b32 s19, exec_lo
	v_cmpx_lt_u32_e32 0xffffff, v4
	s_cbranch_execz .LBB243_2799
; %bb.2792:                             ;   in Loop: Header=BB243_2086 Depth=1
	v_mov_b32_e32 v8, v7
	v_mov_b32_e32 v26, v9
	v_cmp_ne_u32_sdwa s8, v4, v75 src0_sel:BYTE_3 src1_sel:DWORD
	v_mov_b32_e32 v25, v8
	s_and_saveexec_b32 s21, s8
	s_cbranch_execz .LBB243_2798
; %bb.2793:                             ;   in Loop: Header=BB243_2086 Depth=1
	v_mov_b32_e32 v10, v7
	v_mov_b32_e32 v26, v11
	v_bfe_u32 v8, v4, 24, 7
	s_mov_b32 s22, exec_lo
	v_mov_b32_e32 v25, v10
	v_cmpx_ne_u32_e32 0x7f, v8
	s_cbranch_execz .LBB243_2797
; %bb.2794:                             ;   in Loop: Header=BB243_2086 Depth=1
	v_and_b32_sdwa v6, v4, v30 dst_sel:DWORD dst_unused:UNUSED_PAD src0_sel:BYTE_3 src1_sel:DWORD
	v_lshrrev_b32_e32 v5, 3, v8
	s_mov_b32 s23, exec_lo
	v_cmpx_gt_u32_e32 8, v8
; %bb.2795:                             ;   in Loop: Header=BB243_2086 Depth=1
	v_ffbh_u32_e32 v5, v6
	v_min_u32_e32 v5, 32, v5
	v_subrev_nc_u32_e32 v8, 28, v5
	v_sub_nc_u32_e32 v5, 29, v5
	v_lshlrev_b64 v[25:26], v8, v[6:7]
	v_and_b32_e32 v6, 7, v25
; %bb.2796:                             ;   in Loop: Header=BB243_2086 Depth=1
	s_or_b32 exec_lo, exec_lo, s23
	v_lshlrev_b32_sdwa v4, v79, v4 dst_sel:DWORD dst_unused:UNUSED_PAD src0_sel:DWORD src1_sel:BYTE_3
	v_lshlrev_b32_e32 v6, 20, v6
	v_lshl_add_u32 v5, v5, 23, 0x3c000000
	v_mov_b32_e32 v25, v7
	v_and_b32_e32 v4, 0x80000000, v4
	v_or3_b32 v26, v6, v4, v5
.LBB243_2797:                           ;   in Loop: Header=BB243_2086 Depth=1
	s_or_b32 exec_lo, exec_lo, s22
.LBB243_2798:                           ;   in Loop: Header=BB243_2086 Depth=1
	s_or_b32 exec_lo, exec_lo, s21
.LBB243_2799:                           ;   in Loop: Header=BB243_2086 Depth=1
	s_or_b32 exec_lo, exec_lo, s19
	v_or_b32_e32 v4, v24, v22
	v_or_b32_e32 v5, v23, v21
	;; [unrolled: 1-line block ×4, first 2 shown]
	v_mul_f32_e32 v4, v106, v4
	buffer_store_dword v4, off, s[0:3], s32 offset:900 ; 4-byte Folded Spill
	v_mul_f32_e32 v4, v106, v5
	buffer_store_dword v4, off, s[0:3], s32 offset:892 ; 4-byte Folded Spill
	;; [unrolled: 2-line block ×4, first 2 shown]
	s_and_saveexec_b32 s8, vcc_lo
	s_cbranch_execz .LBB243_2801
; %bb.2800:                             ;   in Loop: Header=BB243_2086 Depth=1
	buffer_load_dword v4, off, s[0:3], s32 offset:892 ; 4-byte Folded Reload
	s_waitcnt vmcnt(0)
	v_cndmask_b32_e64 v4, 0, v4, s4
	buffer_store_dword v4, off, s[0:3], s32 offset:892 ; 4-byte Folded Spill
	buffer_load_dword v4, off, s[0:3], s32 offset:900 ; 4-byte Folded Reload
	s_waitcnt vmcnt(0)
	v_cndmask_b32_e64 v4, 0, v4, s5
	buffer_store_dword v4, off, s[0:3], s32 offset:900 ; 4-byte Folded Spill
	;; [unrolled: 4-line block ×4, first 2 shown]
.LBB243_2801:                           ;   in Loop: Header=BB243_2086 Depth=1
	s_or_b32 exec_lo, exec_lo, s8
	flat_load_dword v4, v[19:20] offset:640
	v_mov_b32_e32 v23, 0
	v_mov_b32_e32 v21, 0
	;; [unrolled: 1-line block ×4, first 2 shown]
	s_waitcnt vmcnt(0) lgkmcnt(0)
	v_cmp_ne_u16_sdwa s8, v4, v7 src0_sel:BYTE_0 src1_sel:DWORD
	s_and_saveexec_b32 s19, s8
	s_cbranch_execz .LBB243_2809
; %bb.2802:                             ;   in Loop: Header=BB243_2086 Depth=1
	v_bfrev_b32_e32 v21, 1
	v_mov_b32_e32 v22, 0
	v_cmp_ne_u16_sdwa s8, v4, v75 src0_sel:BYTE_0 src1_sel:DWORD
	s_and_saveexec_b32 s21, s8
	s_cbranch_execz .LBB243_2808
; %bb.2803:                             ;   in Loop: Header=BB243_2086 Depth=1
	v_mov_b32_e32 v21, 0x7f800001
	v_and_b32_e32 v8, 0x7f, v4
	v_mov_b32_e32 v22, 0
	s_mov_b32 s22, exec_lo
	v_cmpx_ne_u32_e32 0x7f, v8
	s_cbranch_execz .LBB243_2807
; %bb.2804:                             ;   in Loop: Header=BB243_2086 Depth=1
	v_and_b32_e32 v6, 7, v4
	v_lshrrev_b32_e32 v5, 3, v8
	s_mov_b32 s23, exec_lo
	v_cmpx_gt_u32_e32 8, v8
; %bb.2805:                             ;   in Loop: Header=BB243_2086 Depth=1
	v_ffbh_u32_e32 v5, v6
	v_min_u32_e32 v5, 32, v5
	v_subrev_nc_u32_e32 v8, 28, v5
	v_sub_nc_u32_e32 v5, 29, v5
	v_lshlrev_b64 v[21:22], v8, v[6:7]
	v_and_b32_e32 v6, 7, v21
; %bb.2806:                             ;   in Loop: Header=BB243_2086 Depth=1
	s_or_b32 exec_lo, exec_lo, s23
	v_lshlrev_b32_e32 v8, 24, v4
	v_lshlrev_b32_e32 v6, 20, v6
	v_lshl_add_u32 v5, v5, 23, 0x3c000000
	v_and_b32_e32 v8, 0x80000000, v8
	v_or3_b32 v6, v6, v8, v5
	v_mov_b32_e32 v22, v7
	v_mov_b32_e32 v21, v6
.LBB243_2807:                           ;   in Loop: Header=BB243_2086 Depth=1
	s_or_b32 exec_lo, exec_lo, s22
.LBB243_2808:                           ;   in Loop: Header=BB243_2086 Depth=1
	s_or_b32 exec_lo, exec_lo, s21
.LBB243_2809:                           ;   in Loop: Header=BB243_2086 Depth=1
	s_or_b32 exec_lo, exec_lo, s19
	v_cmp_ne_u16_sdwa s8, v4, v7 src0_sel:BYTE_1 src1_sel:DWORD
	s_and_saveexec_b32 s19, s8
	s_cbranch_execz .LBB243_2817
; %bb.2810:                             ;   in Loop: Header=BB243_2086 Depth=1
	v_mov_b32_e32 v8, v7
	v_mov_b32_e32 v24, v9
	v_cmp_ne_u16_sdwa s8, v4, v75 src0_sel:BYTE_1 src1_sel:DWORD
	v_mov_b32_e32 v23, v8
	s_and_saveexec_b32 s21, s8
	s_cbranch_execz .LBB243_2816
; %bb.2811:                             ;   in Loop: Header=BB243_2086 Depth=1
	v_mov_b32_e32 v5, 0xffff
	v_mov_b32_e32 v10, v7
	;; [unrolled: 1-line block ×3, first 2 shown]
	s_mov_b32 s22, exec_lo
	v_and_b32_sdwa v5, v5, v4 dst_sel:DWORD dst_unused:UNUSED_PAD src0_sel:DWORD src1_sel:BYTE_1
	v_mov_b32_e32 v23, v10
	v_and_b32_e32 v8, 0x7f, v5
	v_cmpx_ne_u32_e32 0x7f, v8
	s_cbranch_execz .LBB243_2815
; %bb.2812:                             ;   in Loop: Header=BB243_2086 Depth=1
	v_and_b32_e32 v6, 7, v5
	v_lshrrev_b32_e32 v5, 3, v8
	s_mov_b32 s23, exec_lo
	v_cmpx_gt_u32_e32 8, v8
; %bb.2813:                             ;   in Loop: Header=BB243_2086 Depth=1
	v_ffbh_u32_e32 v5, v6
	v_min_u32_e32 v5, 32, v5
	v_subrev_nc_u32_e32 v8, 28, v5
	v_sub_nc_u32_e32 v5, 29, v5
	v_lshlrev_b64 v[23:24], v8, v[6:7]
	v_and_b32_e32 v6, 7, v23
; %bb.2814:                             ;   in Loop: Header=BB243_2086 Depth=1
	s_or_b32 exec_lo, exec_lo, s23
	v_lshlrev_b32_e32 v8, 16, v4
	v_lshlrev_b32_e32 v6, 20, v6
	v_lshl_add_u32 v5, v5, 23, 0x3c000000
	v_mov_b32_e32 v23, v7
	v_and_b32_e32 v8, 0x80000000, v8
	v_or3_b32 v24, v6, v8, v5
.LBB243_2815:                           ;   in Loop: Header=BB243_2086 Depth=1
	s_or_b32 exec_lo, exec_lo, s22
.LBB243_2816:                           ;   in Loop: Header=BB243_2086 Depth=1
	s_or_b32 exec_lo, exec_lo, s21
.LBB243_2817:                           ;   in Loop: Header=BB243_2086 Depth=1
	s_or_b32 exec_lo, exec_lo, s19
	v_mov_b32_e32 v25, 0
	v_mov_b32_e32 v27, 0
	v_and_b32_sdwa v5, v4, v77 dst_sel:DWORD dst_unused:UNUSED_PAD src0_sel:WORD_1 src1_sel:DWORD
	v_mov_b32_e32 v26, 0
	v_mov_b32_e32 v28, 0
	s_mov_b32 s19, exec_lo
	v_cmpx_ne_u16_e32 0, v5
	s_cbranch_execz .LBB243_2825
; %bb.2818:                             ;   in Loop: Header=BB243_2086 Depth=1
	v_bfrev_b32_e32 v27, 1
	v_mov_b32_e32 v28, 0
	s_mov_b32 s21, exec_lo
	v_cmpx_ne_u16_e32 0x80, v5
	s_cbranch_execz .LBB243_2824
; %bb.2819:                             ;   in Loop: Header=BB243_2086 Depth=1
	v_mov_b32_e32 v27, 0x7f800001
	v_bfe_u32 v8, v4, 16, 7
	v_mov_b32_e32 v28, 0
	s_mov_b32 s22, exec_lo
	v_cmpx_ne_u32_e32 0x7f, v8
	s_cbranch_execz .LBB243_2823
; %bb.2820:                             ;   in Loop: Header=BB243_2086 Depth=1
	v_and_b32_sdwa v6, v4, v30 dst_sel:DWORD dst_unused:UNUSED_PAD src0_sel:WORD_1 src1_sel:DWORD
	v_lshrrev_b32_e32 v5, 3, v8
	s_mov_b32 s23, exec_lo
	v_cmpx_gt_u32_e32 8, v8
; %bb.2821:                             ;   in Loop: Header=BB243_2086 Depth=1
	v_ffbh_u32_e32 v5, v6
	v_min_u32_e32 v5, 32, v5
	v_subrev_nc_u32_e32 v8, 28, v5
	v_sub_nc_u32_e32 v5, 29, v5
	v_lshlrev_b64 v[27:28], v8, v[6:7]
	v_and_b32_e32 v6, 7, v27
; %bb.2822:                             ;   in Loop: Header=BB243_2086 Depth=1
	s_or_b32 exec_lo, exec_lo, s23
	v_lshlrev_b32_sdwa v8, v79, v4 dst_sel:DWORD dst_unused:UNUSED_PAD src0_sel:DWORD src1_sel:WORD_1
	v_lshlrev_b32_e32 v6, 20, v6
	v_lshl_add_u32 v5, v5, 23, 0x3c000000
	v_and_b32_e32 v8, 0x80000000, v8
	v_or3_b32 v6, v6, v8, v5
	v_mov_b32_e32 v28, v7
	v_mov_b32_e32 v27, v6
.LBB243_2823:                           ;   in Loop: Header=BB243_2086 Depth=1
	s_or_b32 exec_lo, exec_lo, s22
.LBB243_2824:                           ;   in Loop: Header=BB243_2086 Depth=1
	s_or_b32 exec_lo, exec_lo, s21
.LBB243_2825:                           ;   in Loop: Header=BB243_2086 Depth=1
	s_or_b32 exec_lo, exec_lo, s19
	s_mov_b32 s19, exec_lo
	v_cmpx_lt_u32_e32 0xffffff, v4
	s_cbranch_execz .LBB243_2833
; %bb.2826:                             ;   in Loop: Header=BB243_2086 Depth=1
	v_mov_b32_e32 v8, v7
	v_mov_b32_e32 v26, v9
	v_cmp_ne_u32_sdwa s8, v4, v75 src0_sel:BYTE_3 src1_sel:DWORD
	v_mov_b32_e32 v25, v8
	s_and_saveexec_b32 s21, s8
	s_cbranch_execz .LBB243_2832
; %bb.2827:                             ;   in Loop: Header=BB243_2086 Depth=1
	v_mov_b32_e32 v10, v7
	v_mov_b32_e32 v26, v11
	v_bfe_u32 v8, v4, 24, 7
	s_mov_b32 s22, exec_lo
	v_mov_b32_e32 v25, v10
	v_cmpx_ne_u32_e32 0x7f, v8
	s_cbranch_execz .LBB243_2831
; %bb.2828:                             ;   in Loop: Header=BB243_2086 Depth=1
	v_and_b32_sdwa v6, v4, v30 dst_sel:DWORD dst_unused:UNUSED_PAD src0_sel:BYTE_3 src1_sel:DWORD
	v_lshrrev_b32_e32 v5, 3, v8
	s_mov_b32 s23, exec_lo
	v_cmpx_gt_u32_e32 8, v8
; %bb.2829:                             ;   in Loop: Header=BB243_2086 Depth=1
	v_ffbh_u32_e32 v5, v6
	v_min_u32_e32 v5, 32, v5
	v_subrev_nc_u32_e32 v8, 28, v5
	v_sub_nc_u32_e32 v5, 29, v5
	v_lshlrev_b64 v[25:26], v8, v[6:7]
	v_and_b32_e32 v6, 7, v25
; %bb.2830:                             ;   in Loop: Header=BB243_2086 Depth=1
	s_or_b32 exec_lo, exec_lo, s23
	v_lshlrev_b32_sdwa v4, v79, v4 dst_sel:DWORD dst_unused:UNUSED_PAD src0_sel:DWORD src1_sel:BYTE_3
	v_lshlrev_b32_e32 v6, 20, v6
	v_lshl_add_u32 v5, v5, 23, 0x3c000000
	v_mov_b32_e32 v25, v7
	v_and_b32_e32 v4, 0x80000000, v4
	v_or3_b32 v26, v6, v4, v5
.LBB243_2831:                           ;   in Loop: Header=BB243_2086 Depth=1
	s_or_b32 exec_lo, exec_lo, s22
.LBB243_2832:                           ;   in Loop: Header=BB243_2086 Depth=1
	s_or_b32 exec_lo, exec_lo, s21
.LBB243_2833:                           ;   in Loop: Header=BB243_2086 Depth=1
	s_or_b32 exec_lo, exec_lo, s19
	v_or_b32_e32 v4, v24, v22
	v_or_b32_e32 v5, v23, v21
	;; [unrolled: 1-line block ×4, first 2 shown]
	v_mul_f32_e32 v4, v106, v4
	buffer_store_dword v4, off, s[0:3], s32 offset:932 ; 4-byte Folded Spill
	v_mul_f32_e32 v4, v106, v5
	buffer_store_dword v4, off, s[0:3], s32 offset:924 ; 4-byte Folded Spill
	;; [unrolled: 2-line block ×4, first 2 shown]
	s_and_saveexec_b32 s8, vcc_lo
	s_cbranch_execz .LBB243_2835
; %bb.2834:                             ;   in Loop: Header=BB243_2086 Depth=1
	buffer_load_dword v4, off, s[0:3], s32 offset:924 ; 4-byte Folded Reload
	s_waitcnt vmcnt(0)
	v_cndmask_b32_e64 v4, 0, v4, s4
	buffer_store_dword v4, off, s[0:3], s32 offset:924 ; 4-byte Folded Spill
	buffer_load_dword v4, off, s[0:3], s32 offset:932 ; 4-byte Folded Reload
	s_waitcnt vmcnt(0)
	v_cndmask_b32_e64 v4, 0, v4, s5
	buffer_store_dword v4, off, s[0:3], s32 offset:932 ; 4-byte Folded Spill
	;; [unrolled: 4-line block ×4, first 2 shown]
.LBB243_2835:                           ;   in Loop: Header=BB243_2086 Depth=1
	s_or_b32 exec_lo, exec_lo, s8
	flat_load_dword v4, v[19:20] offset:768
	v_mov_b32_e32 v23, 0
	v_mov_b32_e32 v21, 0
	;; [unrolled: 1-line block ×4, first 2 shown]
	s_waitcnt vmcnt(0) lgkmcnt(0)
	v_cmp_ne_u16_sdwa s8, v4, v7 src0_sel:BYTE_0 src1_sel:DWORD
	s_and_saveexec_b32 s19, s8
	s_cbranch_execz .LBB243_2843
; %bb.2836:                             ;   in Loop: Header=BB243_2086 Depth=1
	v_bfrev_b32_e32 v21, 1
	v_mov_b32_e32 v22, 0
	v_cmp_ne_u16_sdwa s8, v4, v75 src0_sel:BYTE_0 src1_sel:DWORD
	s_and_saveexec_b32 s21, s8
	s_cbranch_execz .LBB243_2842
; %bb.2837:                             ;   in Loop: Header=BB243_2086 Depth=1
	v_mov_b32_e32 v21, 0x7f800001
	v_and_b32_e32 v8, 0x7f, v4
	v_mov_b32_e32 v22, 0
	s_mov_b32 s22, exec_lo
	v_cmpx_ne_u32_e32 0x7f, v8
	s_cbranch_execz .LBB243_2841
; %bb.2838:                             ;   in Loop: Header=BB243_2086 Depth=1
	v_and_b32_e32 v6, 7, v4
	v_lshrrev_b32_e32 v5, 3, v8
	s_mov_b32 s23, exec_lo
	v_cmpx_gt_u32_e32 8, v8
; %bb.2839:                             ;   in Loop: Header=BB243_2086 Depth=1
	v_ffbh_u32_e32 v5, v6
	v_min_u32_e32 v5, 32, v5
	v_subrev_nc_u32_e32 v8, 28, v5
	v_sub_nc_u32_e32 v5, 29, v5
	v_lshlrev_b64 v[21:22], v8, v[6:7]
	v_and_b32_e32 v6, 7, v21
; %bb.2840:                             ;   in Loop: Header=BB243_2086 Depth=1
	s_or_b32 exec_lo, exec_lo, s23
	v_lshlrev_b32_e32 v8, 24, v4
	v_lshlrev_b32_e32 v6, 20, v6
	v_lshl_add_u32 v5, v5, 23, 0x3c000000
	v_and_b32_e32 v8, 0x80000000, v8
	v_or3_b32 v6, v6, v8, v5
	v_mov_b32_e32 v22, v7
	v_mov_b32_e32 v21, v6
.LBB243_2841:                           ;   in Loop: Header=BB243_2086 Depth=1
	s_or_b32 exec_lo, exec_lo, s22
.LBB243_2842:                           ;   in Loop: Header=BB243_2086 Depth=1
	s_or_b32 exec_lo, exec_lo, s21
.LBB243_2843:                           ;   in Loop: Header=BB243_2086 Depth=1
	s_or_b32 exec_lo, exec_lo, s19
	v_cmp_ne_u16_sdwa s8, v4, v7 src0_sel:BYTE_1 src1_sel:DWORD
	s_and_saveexec_b32 s19, s8
	s_cbranch_execz .LBB243_2851
; %bb.2844:                             ;   in Loop: Header=BB243_2086 Depth=1
	v_mov_b32_e32 v8, v7
	v_mov_b32_e32 v24, v9
	v_cmp_ne_u16_sdwa s8, v4, v75 src0_sel:BYTE_1 src1_sel:DWORD
	v_mov_b32_e32 v23, v8
	s_and_saveexec_b32 s21, s8
	s_cbranch_execz .LBB243_2850
; %bb.2845:                             ;   in Loop: Header=BB243_2086 Depth=1
	v_mov_b32_e32 v5, 0xffff
	v_mov_b32_e32 v10, v7
	;; [unrolled: 1-line block ×3, first 2 shown]
	s_mov_b32 s22, exec_lo
	v_and_b32_sdwa v5, v5, v4 dst_sel:DWORD dst_unused:UNUSED_PAD src0_sel:DWORD src1_sel:BYTE_1
	v_mov_b32_e32 v23, v10
	v_and_b32_e32 v8, 0x7f, v5
	v_cmpx_ne_u32_e32 0x7f, v8
	s_cbranch_execz .LBB243_2849
; %bb.2846:                             ;   in Loop: Header=BB243_2086 Depth=1
	v_and_b32_e32 v6, 7, v5
	v_lshrrev_b32_e32 v5, 3, v8
	s_mov_b32 s23, exec_lo
	v_cmpx_gt_u32_e32 8, v8
; %bb.2847:                             ;   in Loop: Header=BB243_2086 Depth=1
	v_ffbh_u32_e32 v5, v6
	v_min_u32_e32 v5, 32, v5
	v_subrev_nc_u32_e32 v8, 28, v5
	v_sub_nc_u32_e32 v5, 29, v5
	v_lshlrev_b64 v[23:24], v8, v[6:7]
	v_and_b32_e32 v6, 7, v23
; %bb.2848:                             ;   in Loop: Header=BB243_2086 Depth=1
	s_or_b32 exec_lo, exec_lo, s23
	v_lshlrev_b32_e32 v8, 16, v4
	v_lshlrev_b32_e32 v6, 20, v6
	v_lshl_add_u32 v5, v5, 23, 0x3c000000
	v_mov_b32_e32 v23, v7
	v_and_b32_e32 v8, 0x80000000, v8
	v_or3_b32 v24, v6, v8, v5
.LBB243_2849:                           ;   in Loop: Header=BB243_2086 Depth=1
	s_or_b32 exec_lo, exec_lo, s22
.LBB243_2850:                           ;   in Loop: Header=BB243_2086 Depth=1
	s_or_b32 exec_lo, exec_lo, s21
.LBB243_2851:                           ;   in Loop: Header=BB243_2086 Depth=1
	s_or_b32 exec_lo, exec_lo, s19
	v_mov_b32_e32 v25, 0
	v_mov_b32_e32 v27, 0
	v_and_b32_sdwa v5, v4, v77 dst_sel:DWORD dst_unused:UNUSED_PAD src0_sel:WORD_1 src1_sel:DWORD
	v_mov_b32_e32 v26, 0
	v_mov_b32_e32 v28, 0
	s_mov_b32 s19, exec_lo
	v_cmpx_ne_u16_e32 0, v5
	s_cbranch_execz .LBB243_2859
; %bb.2852:                             ;   in Loop: Header=BB243_2086 Depth=1
	v_bfrev_b32_e32 v27, 1
	v_mov_b32_e32 v28, 0
	s_mov_b32 s21, exec_lo
	v_cmpx_ne_u16_e32 0x80, v5
	s_cbranch_execz .LBB243_2858
; %bb.2853:                             ;   in Loop: Header=BB243_2086 Depth=1
	v_mov_b32_e32 v27, 0x7f800001
	v_bfe_u32 v8, v4, 16, 7
	v_mov_b32_e32 v28, 0
	s_mov_b32 s22, exec_lo
	v_cmpx_ne_u32_e32 0x7f, v8
	s_cbranch_execz .LBB243_2857
; %bb.2854:                             ;   in Loop: Header=BB243_2086 Depth=1
	v_and_b32_sdwa v6, v4, v30 dst_sel:DWORD dst_unused:UNUSED_PAD src0_sel:WORD_1 src1_sel:DWORD
	v_lshrrev_b32_e32 v5, 3, v8
	s_mov_b32 s23, exec_lo
	v_cmpx_gt_u32_e32 8, v8
; %bb.2855:                             ;   in Loop: Header=BB243_2086 Depth=1
	v_ffbh_u32_e32 v5, v6
	v_min_u32_e32 v5, 32, v5
	v_subrev_nc_u32_e32 v8, 28, v5
	v_sub_nc_u32_e32 v5, 29, v5
	v_lshlrev_b64 v[27:28], v8, v[6:7]
	v_and_b32_e32 v6, 7, v27
; %bb.2856:                             ;   in Loop: Header=BB243_2086 Depth=1
	s_or_b32 exec_lo, exec_lo, s23
	v_lshlrev_b32_sdwa v8, v79, v4 dst_sel:DWORD dst_unused:UNUSED_PAD src0_sel:DWORD src1_sel:WORD_1
	v_lshlrev_b32_e32 v6, 20, v6
	v_lshl_add_u32 v5, v5, 23, 0x3c000000
	v_and_b32_e32 v8, 0x80000000, v8
	v_or3_b32 v6, v6, v8, v5
	v_mov_b32_e32 v28, v7
	v_mov_b32_e32 v27, v6
.LBB243_2857:                           ;   in Loop: Header=BB243_2086 Depth=1
	s_or_b32 exec_lo, exec_lo, s22
.LBB243_2858:                           ;   in Loop: Header=BB243_2086 Depth=1
	s_or_b32 exec_lo, exec_lo, s21
.LBB243_2859:                           ;   in Loop: Header=BB243_2086 Depth=1
	s_or_b32 exec_lo, exec_lo, s19
	s_mov_b32 s19, exec_lo
	v_cmpx_lt_u32_e32 0xffffff, v4
	s_cbranch_execz .LBB243_2867
; %bb.2860:                             ;   in Loop: Header=BB243_2086 Depth=1
	v_mov_b32_e32 v8, v7
	v_mov_b32_e32 v26, v9
	v_cmp_ne_u32_sdwa s8, v4, v75 src0_sel:BYTE_3 src1_sel:DWORD
	v_mov_b32_e32 v25, v8
	s_and_saveexec_b32 s21, s8
	s_cbranch_execz .LBB243_2866
; %bb.2861:                             ;   in Loop: Header=BB243_2086 Depth=1
	v_mov_b32_e32 v10, v7
	v_mov_b32_e32 v26, v11
	v_bfe_u32 v8, v4, 24, 7
	s_mov_b32 s22, exec_lo
	v_mov_b32_e32 v25, v10
	v_cmpx_ne_u32_e32 0x7f, v8
	s_cbranch_execz .LBB243_2865
; %bb.2862:                             ;   in Loop: Header=BB243_2086 Depth=1
	v_and_b32_sdwa v6, v4, v30 dst_sel:DWORD dst_unused:UNUSED_PAD src0_sel:BYTE_3 src1_sel:DWORD
	v_lshrrev_b32_e32 v5, 3, v8
	s_mov_b32 s23, exec_lo
	v_cmpx_gt_u32_e32 8, v8
; %bb.2863:                             ;   in Loop: Header=BB243_2086 Depth=1
	v_ffbh_u32_e32 v5, v6
	v_min_u32_e32 v5, 32, v5
	v_subrev_nc_u32_e32 v8, 28, v5
	v_sub_nc_u32_e32 v5, 29, v5
	v_lshlrev_b64 v[25:26], v8, v[6:7]
	v_and_b32_e32 v6, 7, v25
; %bb.2864:                             ;   in Loop: Header=BB243_2086 Depth=1
	s_or_b32 exec_lo, exec_lo, s23
	v_lshlrev_b32_sdwa v4, v79, v4 dst_sel:DWORD dst_unused:UNUSED_PAD src0_sel:DWORD src1_sel:BYTE_3
	v_lshlrev_b32_e32 v6, 20, v6
	v_lshl_add_u32 v5, v5, 23, 0x3c000000
	v_mov_b32_e32 v25, v7
	v_and_b32_e32 v4, 0x80000000, v4
	v_or3_b32 v26, v6, v4, v5
.LBB243_2865:                           ;   in Loop: Header=BB243_2086 Depth=1
	s_or_b32 exec_lo, exec_lo, s22
.LBB243_2866:                           ;   in Loop: Header=BB243_2086 Depth=1
	s_or_b32 exec_lo, exec_lo, s21
.LBB243_2867:                           ;   in Loop: Header=BB243_2086 Depth=1
	s_or_b32 exec_lo, exec_lo, s19
	v_or_b32_e32 v4, v24, v22
	v_or_b32_e32 v5, v23, v21
	;; [unrolled: 1-line block ×4, first 2 shown]
	v_mul_f32_e32 v4, v106, v4
	buffer_store_dword v4, off, s[0:3], s32 offset:964 ; 4-byte Folded Spill
	v_mul_f32_e32 v4, v106, v5
	buffer_store_dword v4, off, s[0:3], s32 offset:956 ; 4-byte Folded Spill
	;; [unrolled: 2-line block ×4, first 2 shown]
	s_and_saveexec_b32 s8, vcc_lo
	s_cbranch_execz .LBB243_2869
; %bb.2868:                             ;   in Loop: Header=BB243_2086 Depth=1
	buffer_load_dword v4, off, s[0:3], s32 offset:956 ; 4-byte Folded Reload
	s_waitcnt vmcnt(0)
	v_cndmask_b32_e64 v4, 0, v4, s4
	buffer_store_dword v4, off, s[0:3], s32 offset:956 ; 4-byte Folded Spill
	buffer_load_dword v4, off, s[0:3], s32 offset:964 ; 4-byte Folded Reload
	s_waitcnt vmcnt(0)
	v_cndmask_b32_e64 v4, 0, v4, s5
	buffer_store_dword v4, off, s[0:3], s32 offset:964 ; 4-byte Folded Spill
	;; [unrolled: 4-line block ×4, first 2 shown]
.LBB243_2869:                           ;   in Loop: Header=BB243_2086 Depth=1
	s_or_b32 exec_lo, exec_lo, s8
	flat_load_dword v4, v[19:20] offset:896
	v_mov_b32_e32 v23, 0
	v_mov_b32_e32 v21, 0
	;; [unrolled: 1-line block ×4, first 2 shown]
	s_waitcnt vmcnt(0) lgkmcnt(0)
	v_cmp_ne_u16_sdwa s8, v4, v7 src0_sel:BYTE_0 src1_sel:DWORD
	s_and_saveexec_b32 s19, s8
	s_cbranch_execz .LBB243_2877
; %bb.2870:                             ;   in Loop: Header=BB243_2086 Depth=1
	v_bfrev_b32_e32 v21, 1
	v_mov_b32_e32 v22, 0
	v_cmp_ne_u16_sdwa s8, v4, v75 src0_sel:BYTE_0 src1_sel:DWORD
	s_and_saveexec_b32 s21, s8
	s_cbranch_execz .LBB243_2876
; %bb.2871:                             ;   in Loop: Header=BB243_2086 Depth=1
	v_mov_b32_e32 v21, 0x7f800001
	v_and_b32_e32 v8, 0x7f, v4
	v_mov_b32_e32 v22, 0
	s_mov_b32 s22, exec_lo
	v_cmpx_ne_u32_e32 0x7f, v8
	s_cbranch_execz .LBB243_2875
; %bb.2872:                             ;   in Loop: Header=BB243_2086 Depth=1
	v_and_b32_e32 v6, 7, v4
	v_lshrrev_b32_e32 v5, 3, v8
	s_mov_b32 s23, exec_lo
	v_cmpx_gt_u32_e32 8, v8
; %bb.2873:                             ;   in Loop: Header=BB243_2086 Depth=1
	v_ffbh_u32_e32 v5, v6
	v_min_u32_e32 v5, 32, v5
	v_subrev_nc_u32_e32 v8, 28, v5
	v_sub_nc_u32_e32 v5, 29, v5
	v_lshlrev_b64 v[21:22], v8, v[6:7]
	v_and_b32_e32 v6, 7, v21
; %bb.2874:                             ;   in Loop: Header=BB243_2086 Depth=1
	s_or_b32 exec_lo, exec_lo, s23
	v_lshlrev_b32_e32 v8, 24, v4
	v_lshlrev_b32_e32 v6, 20, v6
	v_lshl_add_u32 v5, v5, 23, 0x3c000000
	v_and_b32_e32 v8, 0x80000000, v8
	v_or3_b32 v6, v6, v8, v5
	v_mov_b32_e32 v22, v7
	v_mov_b32_e32 v21, v6
.LBB243_2875:                           ;   in Loop: Header=BB243_2086 Depth=1
	s_or_b32 exec_lo, exec_lo, s22
.LBB243_2876:                           ;   in Loop: Header=BB243_2086 Depth=1
	s_or_b32 exec_lo, exec_lo, s21
.LBB243_2877:                           ;   in Loop: Header=BB243_2086 Depth=1
	s_or_b32 exec_lo, exec_lo, s19
	v_cmp_ne_u16_sdwa s8, v4, v7 src0_sel:BYTE_1 src1_sel:DWORD
	s_and_saveexec_b32 s19, s8
	s_cbranch_execz .LBB243_2885
; %bb.2878:                             ;   in Loop: Header=BB243_2086 Depth=1
	v_mov_b32_e32 v8, v7
	v_mov_b32_e32 v24, v9
	v_cmp_ne_u16_sdwa s8, v4, v75 src0_sel:BYTE_1 src1_sel:DWORD
	v_mov_b32_e32 v23, v8
	s_and_saveexec_b32 s21, s8
	s_cbranch_execz .LBB243_2884
; %bb.2879:                             ;   in Loop: Header=BB243_2086 Depth=1
	v_mov_b32_e32 v5, 0xffff
	v_mov_b32_e32 v10, v7
	;; [unrolled: 1-line block ×3, first 2 shown]
	s_mov_b32 s22, exec_lo
	v_and_b32_sdwa v5, v5, v4 dst_sel:DWORD dst_unused:UNUSED_PAD src0_sel:DWORD src1_sel:BYTE_1
	v_mov_b32_e32 v23, v10
	v_and_b32_e32 v8, 0x7f, v5
	v_cmpx_ne_u32_e32 0x7f, v8
	s_cbranch_execz .LBB243_2883
; %bb.2880:                             ;   in Loop: Header=BB243_2086 Depth=1
	v_and_b32_e32 v6, 7, v5
	v_lshrrev_b32_e32 v5, 3, v8
	s_mov_b32 s23, exec_lo
	v_cmpx_gt_u32_e32 8, v8
; %bb.2881:                             ;   in Loop: Header=BB243_2086 Depth=1
	v_ffbh_u32_e32 v5, v6
	v_min_u32_e32 v5, 32, v5
	v_subrev_nc_u32_e32 v8, 28, v5
	v_sub_nc_u32_e32 v5, 29, v5
	v_lshlrev_b64 v[23:24], v8, v[6:7]
	v_and_b32_e32 v6, 7, v23
; %bb.2882:                             ;   in Loop: Header=BB243_2086 Depth=1
	s_or_b32 exec_lo, exec_lo, s23
	v_lshlrev_b32_e32 v8, 16, v4
	v_lshlrev_b32_e32 v6, 20, v6
	v_lshl_add_u32 v5, v5, 23, 0x3c000000
	v_mov_b32_e32 v23, v7
	v_and_b32_e32 v8, 0x80000000, v8
	v_or3_b32 v24, v6, v8, v5
.LBB243_2883:                           ;   in Loop: Header=BB243_2086 Depth=1
	s_or_b32 exec_lo, exec_lo, s22
.LBB243_2884:                           ;   in Loop: Header=BB243_2086 Depth=1
	s_or_b32 exec_lo, exec_lo, s21
.LBB243_2885:                           ;   in Loop: Header=BB243_2086 Depth=1
	s_or_b32 exec_lo, exec_lo, s19
	v_mov_b32_e32 v25, 0
	v_mov_b32_e32 v27, 0
	v_and_b32_sdwa v5, v4, v77 dst_sel:DWORD dst_unused:UNUSED_PAD src0_sel:WORD_1 src1_sel:DWORD
	v_mov_b32_e32 v26, 0
	v_mov_b32_e32 v28, 0
	s_mov_b32 s19, exec_lo
	v_cmpx_ne_u16_e32 0, v5
	s_cbranch_execz .LBB243_2893
; %bb.2886:                             ;   in Loop: Header=BB243_2086 Depth=1
	v_bfrev_b32_e32 v27, 1
	v_mov_b32_e32 v28, 0
	s_mov_b32 s21, exec_lo
	v_cmpx_ne_u16_e32 0x80, v5
	s_cbranch_execz .LBB243_2892
; %bb.2887:                             ;   in Loop: Header=BB243_2086 Depth=1
	v_mov_b32_e32 v27, 0x7f800001
	v_bfe_u32 v8, v4, 16, 7
	v_mov_b32_e32 v28, 0
	s_mov_b32 s22, exec_lo
	v_cmpx_ne_u32_e32 0x7f, v8
	s_cbranch_execz .LBB243_2891
; %bb.2888:                             ;   in Loop: Header=BB243_2086 Depth=1
	v_and_b32_sdwa v6, v4, v30 dst_sel:DWORD dst_unused:UNUSED_PAD src0_sel:WORD_1 src1_sel:DWORD
	v_lshrrev_b32_e32 v5, 3, v8
	s_mov_b32 s23, exec_lo
	v_cmpx_gt_u32_e32 8, v8
; %bb.2889:                             ;   in Loop: Header=BB243_2086 Depth=1
	v_ffbh_u32_e32 v5, v6
	v_min_u32_e32 v5, 32, v5
	v_subrev_nc_u32_e32 v8, 28, v5
	v_sub_nc_u32_e32 v5, 29, v5
	v_lshlrev_b64 v[27:28], v8, v[6:7]
	v_and_b32_e32 v6, 7, v27
; %bb.2890:                             ;   in Loop: Header=BB243_2086 Depth=1
	s_or_b32 exec_lo, exec_lo, s23
	v_lshlrev_b32_sdwa v8, v79, v4 dst_sel:DWORD dst_unused:UNUSED_PAD src0_sel:DWORD src1_sel:WORD_1
	v_lshlrev_b32_e32 v6, 20, v6
	v_lshl_add_u32 v5, v5, 23, 0x3c000000
	v_and_b32_e32 v8, 0x80000000, v8
	v_or3_b32 v6, v6, v8, v5
	v_mov_b32_e32 v28, v7
	v_mov_b32_e32 v27, v6
.LBB243_2891:                           ;   in Loop: Header=BB243_2086 Depth=1
	s_or_b32 exec_lo, exec_lo, s22
.LBB243_2892:                           ;   in Loop: Header=BB243_2086 Depth=1
	s_or_b32 exec_lo, exec_lo, s21
.LBB243_2893:                           ;   in Loop: Header=BB243_2086 Depth=1
	s_or_b32 exec_lo, exec_lo, s19
	s_mov_b32 s19, exec_lo
	v_cmpx_lt_u32_e32 0xffffff, v4
	s_cbranch_execz .LBB243_2901
; %bb.2894:                             ;   in Loop: Header=BB243_2086 Depth=1
	v_mov_b32_e32 v8, v7
	v_mov_b32_e32 v26, v9
	v_cmp_ne_u32_sdwa s8, v4, v75 src0_sel:BYTE_3 src1_sel:DWORD
	v_mov_b32_e32 v25, v8
	s_and_saveexec_b32 s21, s8
	s_cbranch_execz .LBB243_2900
; %bb.2895:                             ;   in Loop: Header=BB243_2086 Depth=1
	v_mov_b32_e32 v10, v7
	v_mov_b32_e32 v26, v11
	v_bfe_u32 v8, v4, 24, 7
	s_mov_b32 s22, exec_lo
	v_mov_b32_e32 v25, v10
	v_cmpx_ne_u32_e32 0x7f, v8
	s_cbranch_execz .LBB243_2899
; %bb.2896:                             ;   in Loop: Header=BB243_2086 Depth=1
	v_and_b32_sdwa v6, v4, v30 dst_sel:DWORD dst_unused:UNUSED_PAD src0_sel:BYTE_3 src1_sel:DWORD
	v_lshrrev_b32_e32 v5, 3, v8
	s_mov_b32 s23, exec_lo
	v_cmpx_gt_u32_e32 8, v8
; %bb.2897:                             ;   in Loop: Header=BB243_2086 Depth=1
	v_ffbh_u32_e32 v5, v6
	v_min_u32_e32 v5, 32, v5
	v_subrev_nc_u32_e32 v8, 28, v5
	v_sub_nc_u32_e32 v5, 29, v5
	v_lshlrev_b64 v[25:26], v8, v[6:7]
	v_and_b32_e32 v6, 7, v25
; %bb.2898:                             ;   in Loop: Header=BB243_2086 Depth=1
	s_or_b32 exec_lo, exec_lo, s23
	v_lshlrev_b32_sdwa v4, v79, v4 dst_sel:DWORD dst_unused:UNUSED_PAD src0_sel:DWORD src1_sel:BYTE_3
	v_lshlrev_b32_e32 v6, 20, v6
	v_lshl_add_u32 v5, v5, 23, 0x3c000000
	v_mov_b32_e32 v25, v7
	v_and_b32_e32 v4, 0x80000000, v4
	v_or3_b32 v26, v6, v4, v5
.LBB243_2899:                           ;   in Loop: Header=BB243_2086 Depth=1
	s_or_b32 exec_lo, exec_lo, s22
.LBB243_2900:                           ;   in Loop: Header=BB243_2086 Depth=1
	s_or_b32 exec_lo, exec_lo, s21
.LBB243_2901:                           ;   in Loop: Header=BB243_2086 Depth=1
	s_or_b32 exec_lo, exec_lo, s19
	v_or_b32_e32 v4, v24, v22
	v_or_b32_e32 v5, v23, v21
	;; [unrolled: 1-line block ×4, first 2 shown]
	v_mul_f32_e32 v4, v106, v4
	buffer_store_dword v4, off, s[0:3], s32 offset:996 ; 4-byte Folded Spill
	v_mul_f32_e32 v4, v106, v5
	buffer_store_dword v4, off, s[0:3], s32 offset:988 ; 4-byte Folded Spill
	;; [unrolled: 2-line block ×4, first 2 shown]
	s_and_saveexec_b32 s8, vcc_lo
	s_cbranch_execz .LBB243_2903
; %bb.2902:                             ;   in Loop: Header=BB243_2086 Depth=1
	buffer_load_dword v4, off, s[0:3], s32 offset:988 ; 4-byte Folded Reload
	s_waitcnt vmcnt(0)
	v_cndmask_b32_e64 v4, 0, v4, s4
	buffer_store_dword v4, off, s[0:3], s32 offset:988 ; 4-byte Folded Spill
	buffer_load_dword v4, off, s[0:3], s32 offset:996 ; 4-byte Folded Reload
	s_waitcnt vmcnt(0)
	v_cndmask_b32_e64 v4, 0, v4, s5
	buffer_store_dword v4, off, s[0:3], s32 offset:996 ; 4-byte Folded Spill
	;; [unrolled: 4-line block ×4, first 2 shown]
.LBB243_2903:                           ;   in Loop: Header=BB243_2086 Depth=1
	s_or_b32 exec_lo, exec_lo, s8
	flat_load_dword v4, v[19:20] offset:1024
	v_mov_b32_e32 v23, 0
	v_mov_b32_e32 v21, 0
	;; [unrolled: 1-line block ×4, first 2 shown]
	s_waitcnt vmcnt(0) lgkmcnt(0)
	v_cmp_ne_u16_sdwa s8, v4, v7 src0_sel:BYTE_0 src1_sel:DWORD
	s_and_saveexec_b32 s19, s8
	s_cbranch_execz .LBB243_2911
; %bb.2904:                             ;   in Loop: Header=BB243_2086 Depth=1
	v_bfrev_b32_e32 v21, 1
	v_mov_b32_e32 v22, 0
	v_cmp_ne_u16_sdwa s8, v4, v75 src0_sel:BYTE_0 src1_sel:DWORD
	s_and_saveexec_b32 s21, s8
	s_cbranch_execz .LBB243_2910
; %bb.2905:                             ;   in Loop: Header=BB243_2086 Depth=1
	v_mov_b32_e32 v21, 0x7f800001
	v_and_b32_e32 v8, 0x7f, v4
	v_mov_b32_e32 v22, 0
	s_mov_b32 s22, exec_lo
	v_cmpx_ne_u32_e32 0x7f, v8
	s_cbranch_execz .LBB243_2909
; %bb.2906:                             ;   in Loop: Header=BB243_2086 Depth=1
	v_and_b32_e32 v6, 7, v4
	v_lshrrev_b32_e32 v5, 3, v8
	s_mov_b32 s23, exec_lo
	v_cmpx_gt_u32_e32 8, v8
; %bb.2907:                             ;   in Loop: Header=BB243_2086 Depth=1
	v_ffbh_u32_e32 v5, v6
	v_min_u32_e32 v5, 32, v5
	v_subrev_nc_u32_e32 v8, 28, v5
	v_sub_nc_u32_e32 v5, 29, v5
	v_lshlrev_b64 v[21:22], v8, v[6:7]
	v_and_b32_e32 v6, 7, v21
; %bb.2908:                             ;   in Loop: Header=BB243_2086 Depth=1
	s_or_b32 exec_lo, exec_lo, s23
	v_lshlrev_b32_e32 v8, 24, v4
	v_lshlrev_b32_e32 v6, 20, v6
	v_lshl_add_u32 v5, v5, 23, 0x3c000000
	v_and_b32_e32 v8, 0x80000000, v8
	v_or3_b32 v6, v6, v8, v5
	v_mov_b32_e32 v22, v7
	v_mov_b32_e32 v21, v6
.LBB243_2909:                           ;   in Loop: Header=BB243_2086 Depth=1
	s_or_b32 exec_lo, exec_lo, s22
.LBB243_2910:                           ;   in Loop: Header=BB243_2086 Depth=1
	s_or_b32 exec_lo, exec_lo, s21
.LBB243_2911:                           ;   in Loop: Header=BB243_2086 Depth=1
	s_or_b32 exec_lo, exec_lo, s19
	v_cmp_ne_u16_sdwa s8, v4, v7 src0_sel:BYTE_1 src1_sel:DWORD
	s_and_saveexec_b32 s19, s8
	s_cbranch_execz .LBB243_2919
; %bb.2912:                             ;   in Loop: Header=BB243_2086 Depth=1
	v_mov_b32_e32 v8, v7
	v_mov_b32_e32 v24, v9
	v_cmp_ne_u16_sdwa s8, v4, v75 src0_sel:BYTE_1 src1_sel:DWORD
	v_mov_b32_e32 v23, v8
	s_and_saveexec_b32 s21, s8
	s_cbranch_execz .LBB243_2918
; %bb.2913:                             ;   in Loop: Header=BB243_2086 Depth=1
	v_mov_b32_e32 v5, 0xffff
	v_mov_b32_e32 v10, v7
	;; [unrolled: 1-line block ×3, first 2 shown]
	s_mov_b32 s22, exec_lo
	v_and_b32_sdwa v5, v5, v4 dst_sel:DWORD dst_unused:UNUSED_PAD src0_sel:DWORD src1_sel:BYTE_1
	v_mov_b32_e32 v23, v10
	v_and_b32_e32 v8, 0x7f, v5
	v_cmpx_ne_u32_e32 0x7f, v8
	s_cbranch_execz .LBB243_2917
; %bb.2914:                             ;   in Loop: Header=BB243_2086 Depth=1
	v_and_b32_e32 v6, 7, v5
	v_lshrrev_b32_e32 v5, 3, v8
	s_mov_b32 s23, exec_lo
	v_cmpx_gt_u32_e32 8, v8
; %bb.2915:                             ;   in Loop: Header=BB243_2086 Depth=1
	v_ffbh_u32_e32 v5, v6
	v_min_u32_e32 v5, 32, v5
	v_subrev_nc_u32_e32 v8, 28, v5
	v_sub_nc_u32_e32 v5, 29, v5
	v_lshlrev_b64 v[23:24], v8, v[6:7]
	v_and_b32_e32 v6, 7, v23
; %bb.2916:                             ;   in Loop: Header=BB243_2086 Depth=1
	s_or_b32 exec_lo, exec_lo, s23
	v_lshlrev_b32_e32 v8, 16, v4
	v_lshlrev_b32_e32 v6, 20, v6
	v_lshl_add_u32 v5, v5, 23, 0x3c000000
	v_mov_b32_e32 v23, v7
	v_and_b32_e32 v8, 0x80000000, v8
	v_or3_b32 v24, v6, v8, v5
.LBB243_2917:                           ;   in Loop: Header=BB243_2086 Depth=1
	s_or_b32 exec_lo, exec_lo, s22
.LBB243_2918:                           ;   in Loop: Header=BB243_2086 Depth=1
	s_or_b32 exec_lo, exec_lo, s21
.LBB243_2919:                           ;   in Loop: Header=BB243_2086 Depth=1
	s_or_b32 exec_lo, exec_lo, s19
	v_mov_b32_e32 v25, 0
	v_mov_b32_e32 v27, 0
	v_and_b32_sdwa v5, v4, v77 dst_sel:DWORD dst_unused:UNUSED_PAD src0_sel:WORD_1 src1_sel:DWORD
	v_mov_b32_e32 v26, 0
	v_mov_b32_e32 v28, 0
	s_mov_b32 s19, exec_lo
	v_cmpx_ne_u16_e32 0, v5
	s_cbranch_execz .LBB243_2927
; %bb.2920:                             ;   in Loop: Header=BB243_2086 Depth=1
	v_bfrev_b32_e32 v27, 1
	v_mov_b32_e32 v28, 0
	s_mov_b32 s21, exec_lo
	v_cmpx_ne_u16_e32 0x80, v5
	s_cbranch_execz .LBB243_2926
; %bb.2921:                             ;   in Loop: Header=BB243_2086 Depth=1
	v_mov_b32_e32 v27, 0x7f800001
	v_bfe_u32 v8, v4, 16, 7
	v_mov_b32_e32 v28, 0
	s_mov_b32 s22, exec_lo
	v_cmpx_ne_u32_e32 0x7f, v8
	s_cbranch_execz .LBB243_2925
; %bb.2922:                             ;   in Loop: Header=BB243_2086 Depth=1
	v_and_b32_sdwa v6, v4, v30 dst_sel:DWORD dst_unused:UNUSED_PAD src0_sel:WORD_1 src1_sel:DWORD
	v_lshrrev_b32_e32 v5, 3, v8
	s_mov_b32 s23, exec_lo
	v_cmpx_gt_u32_e32 8, v8
; %bb.2923:                             ;   in Loop: Header=BB243_2086 Depth=1
	v_ffbh_u32_e32 v5, v6
	v_min_u32_e32 v5, 32, v5
	v_subrev_nc_u32_e32 v8, 28, v5
	v_sub_nc_u32_e32 v5, 29, v5
	v_lshlrev_b64 v[27:28], v8, v[6:7]
	v_and_b32_e32 v6, 7, v27
; %bb.2924:                             ;   in Loop: Header=BB243_2086 Depth=1
	s_or_b32 exec_lo, exec_lo, s23
	v_lshlrev_b32_sdwa v8, v79, v4 dst_sel:DWORD dst_unused:UNUSED_PAD src0_sel:DWORD src1_sel:WORD_1
	v_lshlrev_b32_e32 v6, 20, v6
	v_lshl_add_u32 v5, v5, 23, 0x3c000000
	v_and_b32_e32 v8, 0x80000000, v8
	v_or3_b32 v6, v6, v8, v5
	v_mov_b32_e32 v28, v7
	v_mov_b32_e32 v27, v6
.LBB243_2925:                           ;   in Loop: Header=BB243_2086 Depth=1
	s_or_b32 exec_lo, exec_lo, s22
.LBB243_2926:                           ;   in Loop: Header=BB243_2086 Depth=1
	s_or_b32 exec_lo, exec_lo, s21
.LBB243_2927:                           ;   in Loop: Header=BB243_2086 Depth=1
	s_or_b32 exec_lo, exec_lo, s19
	s_mov_b32 s19, exec_lo
	v_cmpx_lt_u32_e32 0xffffff, v4
	s_cbranch_execz .LBB243_2935
; %bb.2928:                             ;   in Loop: Header=BB243_2086 Depth=1
	v_mov_b32_e32 v8, v7
	v_mov_b32_e32 v26, v9
	v_cmp_ne_u32_sdwa s8, v4, v75 src0_sel:BYTE_3 src1_sel:DWORD
	v_mov_b32_e32 v25, v8
	s_and_saveexec_b32 s21, s8
	s_cbranch_execz .LBB243_2934
; %bb.2929:                             ;   in Loop: Header=BB243_2086 Depth=1
	v_mov_b32_e32 v10, v7
	v_mov_b32_e32 v26, v11
	v_bfe_u32 v8, v4, 24, 7
	s_mov_b32 s22, exec_lo
	v_mov_b32_e32 v25, v10
	v_cmpx_ne_u32_e32 0x7f, v8
	s_cbranch_execz .LBB243_2933
; %bb.2930:                             ;   in Loop: Header=BB243_2086 Depth=1
	v_and_b32_sdwa v6, v4, v30 dst_sel:DWORD dst_unused:UNUSED_PAD src0_sel:BYTE_3 src1_sel:DWORD
	v_lshrrev_b32_e32 v5, 3, v8
	s_mov_b32 s23, exec_lo
	v_cmpx_gt_u32_e32 8, v8
; %bb.2931:                             ;   in Loop: Header=BB243_2086 Depth=1
	v_ffbh_u32_e32 v5, v6
	v_min_u32_e32 v5, 32, v5
	v_subrev_nc_u32_e32 v8, 28, v5
	v_sub_nc_u32_e32 v5, 29, v5
	v_lshlrev_b64 v[25:26], v8, v[6:7]
	v_and_b32_e32 v6, 7, v25
; %bb.2932:                             ;   in Loop: Header=BB243_2086 Depth=1
	s_or_b32 exec_lo, exec_lo, s23
	v_lshlrev_b32_sdwa v4, v79, v4 dst_sel:DWORD dst_unused:UNUSED_PAD src0_sel:DWORD src1_sel:BYTE_3
	v_lshlrev_b32_e32 v6, 20, v6
	v_lshl_add_u32 v5, v5, 23, 0x3c000000
	v_mov_b32_e32 v25, v7
	v_and_b32_e32 v4, 0x80000000, v4
	v_or3_b32 v26, v6, v4, v5
.LBB243_2933:                           ;   in Loop: Header=BB243_2086 Depth=1
	s_or_b32 exec_lo, exec_lo, s22
.LBB243_2934:                           ;   in Loop: Header=BB243_2086 Depth=1
	s_or_b32 exec_lo, exec_lo, s21
.LBB243_2935:                           ;   in Loop: Header=BB243_2086 Depth=1
	s_or_b32 exec_lo, exec_lo, s19
	v_or_b32_e32 v4, v24, v22
	v_or_b32_e32 v5, v23, v21
	;; [unrolled: 1-line block ×4, first 2 shown]
	v_mul_f32_e32 v4, v106, v4
	buffer_store_dword v4, off, s[0:3], s32 offset:1028 ; 4-byte Folded Spill
	v_mul_f32_e32 v4, v106, v5
	buffer_store_dword v4, off, s[0:3], s32 offset:1020 ; 4-byte Folded Spill
	;; [unrolled: 2-line block ×4, first 2 shown]
	s_and_saveexec_b32 s8, vcc_lo
	s_cbranch_execz .LBB243_2937
; %bb.2936:                             ;   in Loop: Header=BB243_2086 Depth=1
	buffer_load_dword v4, off, s[0:3], s32 offset:1020 ; 4-byte Folded Reload
	s_waitcnt vmcnt(0)
	v_cndmask_b32_e64 v4, 0, v4, s4
	buffer_store_dword v4, off, s[0:3], s32 offset:1020 ; 4-byte Folded Spill
	buffer_load_dword v4, off, s[0:3], s32 offset:1028 ; 4-byte Folded Reload
	s_waitcnt vmcnt(0)
	v_cndmask_b32_e64 v4, 0, v4, s5
	buffer_store_dword v4, off, s[0:3], s32 offset:1028 ; 4-byte Folded Spill
	;; [unrolled: 4-line block ×4, first 2 shown]
.LBB243_2937:                           ;   in Loop: Header=BB243_2086 Depth=1
	s_or_b32 exec_lo, exec_lo, s8
	flat_load_dword v4, v[19:20] offset:1152
	v_mov_b32_e32 v23, 0
	v_mov_b32_e32 v21, 0
	;; [unrolled: 1-line block ×4, first 2 shown]
	s_waitcnt vmcnt(0) lgkmcnt(0)
	v_cmp_ne_u16_sdwa s8, v4, v7 src0_sel:BYTE_0 src1_sel:DWORD
	s_and_saveexec_b32 s19, s8
	s_cbranch_execz .LBB243_2945
; %bb.2938:                             ;   in Loop: Header=BB243_2086 Depth=1
	v_bfrev_b32_e32 v21, 1
	v_mov_b32_e32 v22, 0
	v_cmp_ne_u16_sdwa s8, v4, v75 src0_sel:BYTE_0 src1_sel:DWORD
	s_and_saveexec_b32 s21, s8
	s_cbranch_execz .LBB243_2944
; %bb.2939:                             ;   in Loop: Header=BB243_2086 Depth=1
	v_mov_b32_e32 v21, 0x7f800001
	v_and_b32_e32 v8, 0x7f, v4
	v_mov_b32_e32 v22, 0
	s_mov_b32 s22, exec_lo
	v_cmpx_ne_u32_e32 0x7f, v8
	s_cbranch_execz .LBB243_2943
; %bb.2940:                             ;   in Loop: Header=BB243_2086 Depth=1
	v_and_b32_e32 v6, 7, v4
	v_lshrrev_b32_e32 v5, 3, v8
	s_mov_b32 s23, exec_lo
	v_cmpx_gt_u32_e32 8, v8
; %bb.2941:                             ;   in Loop: Header=BB243_2086 Depth=1
	v_ffbh_u32_e32 v5, v6
	v_min_u32_e32 v5, 32, v5
	v_subrev_nc_u32_e32 v8, 28, v5
	v_sub_nc_u32_e32 v5, 29, v5
	v_lshlrev_b64 v[21:22], v8, v[6:7]
	v_and_b32_e32 v6, 7, v21
; %bb.2942:                             ;   in Loop: Header=BB243_2086 Depth=1
	s_or_b32 exec_lo, exec_lo, s23
	v_lshlrev_b32_e32 v8, 24, v4
	v_lshlrev_b32_e32 v6, 20, v6
	v_lshl_add_u32 v5, v5, 23, 0x3c000000
	v_and_b32_e32 v8, 0x80000000, v8
	v_or3_b32 v6, v6, v8, v5
	v_mov_b32_e32 v22, v7
	v_mov_b32_e32 v21, v6
.LBB243_2943:                           ;   in Loop: Header=BB243_2086 Depth=1
	s_or_b32 exec_lo, exec_lo, s22
.LBB243_2944:                           ;   in Loop: Header=BB243_2086 Depth=1
	s_or_b32 exec_lo, exec_lo, s21
.LBB243_2945:                           ;   in Loop: Header=BB243_2086 Depth=1
	s_or_b32 exec_lo, exec_lo, s19
	v_cmp_ne_u16_sdwa s8, v4, v7 src0_sel:BYTE_1 src1_sel:DWORD
	s_and_saveexec_b32 s19, s8
	s_cbranch_execz .LBB243_2953
; %bb.2946:                             ;   in Loop: Header=BB243_2086 Depth=1
	v_mov_b32_e32 v8, v7
	v_mov_b32_e32 v24, v9
	v_cmp_ne_u16_sdwa s8, v4, v75 src0_sel:BYTE_1 src1_sel:DWORD
	v_mov_b32_e32 v23, v8
	s_and_saveexec_b32 s21, s8
	s_cbranch_execz .LBB243_2952
; %bb.2947:                             ;   in Loop: Header=BB243_2086 Depth=1
	v_mov_b32_e32 v5, 0xffff
	v_mov_b32_e32 v10, v7
	;; [unrolled: 1-line block ×3, first 2 shown]
	s_mov_b32 s22, exec_lo
	v_and_b32_sdwa v5, v5, v4 dst_sel:DWORD dst_unused:UNUSED_PAD src0_sel:DWORD src1_sel:BYTE_1
	v_mov_b32_e32 v23, v10
	v_and_b32_e32 v8, 0x7f, v5
	v_cmpx_ne_u32_e32 0x7f, v8
	s_cbranch_execz .LBB243_2951
; %bb.2948:                             ;   in Loop: Header=BB243_2086 Depth=1
	v_and_b32_e32 v6, 7, v5
	v_lshrrev_b32_e32 v5, 3, v8
	s_mov_b32 s23, exec_lo
	v_cmpx_gt_u32_e32 8, v8
; %bb.2949:                             ;   in Loop: Header=BB243_2086 Depth=1
	v_ffbh_u32_e32 v5, v6
	v_min_u32_e32 v5, 32, v5
	v_subrev_nc_u32_e32 v8, 28, v5
	v_sub_nc_u32_e32 v5, 29, v5
	v_lshlrev_b64 v[23:24], v8, v[6:7]
	v_and_b32_e32 v6, 7, v23
; %bb.2950:                             ;   in Loop: Header=BB243_2086 Depth=1
	s_or_b32 exec_lo, exec_lo, s23
	v_lshlrev_b32_e32 v8, 16, v4
	v_lshlrev_b32_e32 v6, 20, v6
	v_lshl_add_u32 v5, v5, 23, 0x3c000000
	v_mov_b32_e32 v23, v7
	v_and_b32_e32 v8, 0x80000000, v8
	v_or3_b32 v24, v6, v8, v5
.LBB243_2951:                           ;   in Loop: Header=BB243_2086 Depth=1
	s_or_b32 exec_lo, exec_lo, s22
.LBB243_2952:                           ;   in Loop: Header=BB243_2086 Depth=1
	s_or_b32 exec_lo, exec_lo, s21
.LBB243_2953:                           ;   in Loop: Header=BB243_2086 Depth=1
	s_or_b32 exec_lo, exec_lo, s19
	v_mov_b32_e32 v25, 0
	v_mov_b32_e32 v27, 0
	v_and_b32_sdwa v5, v4, v77 dst_sel:DWORD dst_unused:UNUSED_PAD src0_sel:WORD_1 src1_sel:DWORD
	v_mov_b32_e32 v26, 0
	v_mov_b32_e32 v28, 0
	s_mov_b32 s19, exec_lo
	v_cmpx_ne_u16_e32 0, v5
	s_cbranch_execz .LBB243_2961
; %bb.2954:                             ;   in Loop: Header=BB243_2086 Depth=1
	v_bfrev_b32_e32 v27, 1
	v_mov_b32_e32 v28, 0
	s_mov_b32 s21, exec_lo
	v_cmpx_ne_u16_e32 0x80, v5
	s_cbranch_execz .LBB243_2960
; %bb.2955:                             ;   in Loop: Header=BB243_2086 Depth=1
	v_mov_b32_e32 v27, 0x7f800001
	v_bfe_u32 v8, v4, 16, 7
	v_mov_b32_e32 v28, 0
	s_mov_b32 s22, exec_lo
	v_cmpx_ne_u32_e32 0x7f, v8
	s_cbranch_execz .LBB243_2959
; %bb.2956:                             ;   in Loop: Header=BB243_2086 Depth=1
	v_and_b32_sdwa v6, v4, v30 dst_sel:DWORD dst_unused:UNUSED_PAD src0_sel:WORD_1 src1_sel:DWORD
	v_lshrrev_b32_e32 v5, 3, v8
	s_mov_b32 s23, exec_lo
	v_cmpx_gt_u32_e32 8, v8
; %bb.2957:                             ;   in Loop: Header=BB243_2086 Depth=1
	v_ffbh_u32_e32 v5, v6
	v_min_u32_e32 v5, 32, v5
	v_subrev_nc_u32_e32 v8, 28, v5
	v_sub_nc_u32_e32 v5, 29, v5
	v_lshlrev_b64 v[27:28], v8, v[6:7]
	v_and_b32_e32 v6, 7, v27
; %bb.2958:                             ;   in Loop: Header=BB243_2086 Depth=1
	s_or_b32 exec_lo, exec_lo, s23
	v_lshlrev_b32_sdwa v8, v79, v4 dst_sel:DWORD dst_unused:UNUSED_PAD src0_sel:DWORD src1_sel:WORD_1
	v_lshlrev_b32_e32 v6, 20, v6
	v_lshl_add_u32 v5, v5, 23, 0x3c000000
	v_and_b32_e32 v8, 0x80000000, v8
	v_or3_b32 v6, v6, v8, v5
	v_mov_b32_e32 v28, v7
	v_mov_b32_e32 v27, v6
.LBB243_2959:                           ;   in Loop: Header=BB243_2086 Depth=1
	s_or_b32 exec_lo, exec_lo, s22
.LBB243_2960:                           ;   in Loop: Header=BB243_2086 Depth=1
	s_or_b32 exec_lo, exec_lo, s21
.LBB243_2961:                           ;   in Loop: Header=BB243_2086 Depth=1
	s_or_b32 exec_lo, exec_lo, s19
	s_mov_b32 s19, exec_lo
	v_cmpx_lt_u32_e32 0xffffff, v4
	s_cbranch_execz .LBB243_2969
; %bb.2962:                             ;   in Loop: Header=BB243_2086 Depth=1
	v_mov_b32_e32 v8, v7
	v_mov_b32_e32 v26, v9
	v_cmp_ne_u32_sdwa s8, v4, v75 src0_sel:BYTE_3 src1_sel:DWORD
	v_mov_b32_e32 v25, v8
	s_and_saveexec_b32 s21, s8
	s_cbranch_execz .LBB243_2968
; %bb.2963:                             ;   in Loop: Header=BB243_2086 Depth=1
	v_mov_b32_e32 v10, v7
	v_mov_b32_e32 v26, v11
	v_bfe_u32 v8, v4, 24, 7
	s_mov_b32 s22, exec_lo
	v_mov_b32_e32 v25, v10
	v_cmpx_ne_u32_e32 0x7f, v8
	s_cbranch_execz .LBB243_2967
; %bb.2964:                             ;   in Loop: Header=BB243_2086 Depth=1
	v_and_b32_sdwa v6, v4, v30 dst_sel:DWORD dst_unused:UNUSED_PAD src0_sel:BYTE_3 src1_sel:DWORD
	v_lshrrev_b32_e32 v5, 3, v8
	s_mov_b32 s23, exec_lo
	v_cmpx_gt_u32_e32 8, v8
; %bb.2965:                             ;   in Loop: Header=BB243_2086 Depth=1
	v_ffbh_u32_e32 v5, v6
	v_min_u32_e32 v5, 32, v5
	v_subrev_nc_u32_e32 v8, 28, v5
	v_sub_nc_u32_e32 v5, 29, v5
	v_lshlrev_b64 v[25:26], v8, v[6:7]
	v_and_b32_e32 v6, 7, v25
; %bb.2966:                             ;   in Loop: Header=BB243_2086 Depth=1
	s_or_b32 exec_lo, exec_lo, s23
	v_lshlrev_b32_sdwa v4, v79, v4 dst_sel:DWORD dst_unused:UNUSED_PAD src0_sel:DWORD src1_sel:BYTE_3
	v_lshlrev_b32_e32 v6, 20, v6
	v_lshl_add_u32 v5, v5, 23, 0x3c000000
	v_mov_b32_e32 v25, v7
	v_and_b32_e32 v4, 0x80000000, v4
	v_or3_b32 v26, v6, v4, v5
.LBB243_2967:                           ;   in Loop: Header=BB243_2086 Depth=1
	s_or_b32 exec_lo, exec_lo, s22
.LBB243_2968:                           ;   in Loop: Header=BB243_2086 Depth=1
	s_or_b32 exec_lo, exec_lo, s21
.LBB243_2969:                           ;   in Loop: Header=BB243_2086 Depth=1
	s_or_b32 exec_lo, exec_lo, s19
	v_or_b32_e32 v4, v24, v22
	v_or_b32_e32 v5, v23, v21
	;; [unrolled: 1-line block ×4, first 2 shown]
	v_mul_f32_e32 v4, v106, v4
	buffer_store_dword v4, off, s[0:3], s32 offset:1060 ; 4-byte Folded Spill
	v_mul_f32_e32 v4, v106, v5
	buffer_store_dword v4, off, s[0:3], s32 offset:1052 ; 4-byte Folded Spill
	v_mul_f32_e32 v4, v106, v6
	buffer_store_dword v4, off, s[0:3], s32 offset:1044 ; 4-byte Folded Spill
	v_mul_f32_e32 v4, v106, v8
	buffer_store_dword v4, off, s[0:3], s32 offset:1036 ; 4-byte Folded Spill
	s_and_saveexec_b32 s8, vcc_lo
	s_cbranch_execz .LBB243_2971
; %bb.2970:                             ;   in Loop: Header=BB243_2086 Depth=1
	buffer_load_dword v4, off, s[0:3], s32 offset:1052 ; 4-byte Folded Reload
	s_waitcnt vmcnt(0)
	v_cndmask_b32_e64 v4, 0, v4, s4
	buffer_store_dword v4, off, s[0:3], s32 offset:1052 ; 4-byte Folded Spill
	buffer_load_dword v4, off, s[0:3], s32 offset:1060 ; 4-byte Folded Reload
	s_waitcnt vmcnt(0)
	v_cndmask_b32_e64 v4, 0, v4, s5
	buffer_store_dword v4, off, s[0:3], s32 offset:1060 ; 4-byte Folded Spill
	;; [unrolled: 4-line block ×4, first 2 shown]
.LBB243_2971:                           ;   in Loop: Header=BB243_2086 Depth=1
	s_or_b32 exec_lo, exec_lo, s8
	flat_load_dword v4, v[19:20] offset:1280
	v_mov_b32_e32 v23, 0
	v_mov_b32_e32 v21, 0
	;; [unrolled: 1-line block ×4, first 2 shown]
	s_waitcnt vmcnt(0) lgkmcnt(0)
	v_cmp_ne_u16_sdwa s8, v4, v7 src0_sel:BYTE_0 src1_sel:DWORD
	s_and_saveexec_b32 s19, s8
	s_cbranch_execz .LBB243_2979
; %bb.2972:                             ;   in Loop: Header=BB243_2086 Depth=1
	v_bfrev_b32_e32 v21, 1
	v_mov_b32_e32 v22, 0
	v_cmp_ne_u16_sdwa s8, v4, v75 src0_sel:BYTE_0 src1_sel:DWORD
	s_and_saveexec_b32 s21, s8
	s_cbranch_execz .LBB243_2978
; %bb.2973:                             ;   in Loop: Header=BB243_2086 Depth=1
	v_mov_b32_e32 v21, 0x7f800001
	v_and_b32_e32 v8, 0x7f, v4
	v_mov_b32_e32 v22, 0
	s_mov_b32 s22, exec_lo
	v_cmpx_ne_u32_e32 0x7f, v8
	s_cbranch_execz .LBB243_2977
; %bb.2974:                             ;   in Loop: Header=BB243_2086 Depth=1
	v_and_b32_e32 v6, 7, v4
	v_lshrrev_b32_e32 v5, 3, v8
	s_mov_b32 s23, exec_lo
	v_cmpx_gt_u32_e32 8, v8
; %bb.2975:                             ;   in Loop: Header=BB243_2086 Depth=1
	v_ffbh_u32_e32 v5, v6
	v_min_u32_e32 v5, 32, v5
	v_subrev_nc_u32_e32 v8, 28, v5
	v_sub_nc_u32_e32 v5, 29, v5
	v_lshlrev_b64 v[21:22], v8, v[6:7]
	v_and_b32_e32 v6, 7, v21
; %bb.2976:                             ;   in Loop: Header=BB243_2086 Depth=1
	s_or_b32 exec_lo, exec_lo, s23
	v_lshlrev_b32_e32 v8, 24, v4
	v_lshlrev_b32_e32 v6, 20, v6
	v_lshl_add_u32 v5, v5, 23, 0x3c000000
	v_and_b32_e32 v8, 0x80000000, v8
	v_or3_b32 v6, v6, v8, v5
	v_mov_b32_e32 v22, v7
	v_mov_b32_e32 v21, v6
.LBB243_2977:                           ;   in Loop: Header=BB243_2086 Depth=1
	s_or_b32 exec_lo, exec_lo, s22
.LBB243_2978:                           ;   in Loop: Header=BB243_2086 Depth=1
	s_or_b32 exec_lo, exec_lo, s21
.LBB243_2979:                           ;   in Loop: Header=BB243_2086 Depth=1
	s_or_b32 exec_lo, exec_lo, s19
	v_cmp_ne_u16_sdwa s8, v4, v7 src0_sel:BYTE_1 src1_sel:DWORD
	s_and_saveexec_b32 s19, s8
	s_cbranch_execz .LBB243_2987
; %bb.2980:                             ;   in Loop: Header=BB243_2086 Depth=1
	v_mov_b32_e32 v8, v7
	v_mov_b32_e32 v24, v9
	v_cmp_ne_u16_sdwa s8, v4, v75 src0_sel:BYTE_1 src1_sel:DWORD
	v_mov_b32_e32 v23, v8
	s_and_saveexec_b32 s21, s8
	s_cbranch_execz .LBB243_2986
; %bb.2981:                             ;   in Loop: Header=BB243_2086 Depth=1
	v_mov_b32_e32 v5, 0xffff
	v_mov_b32_e32 v10, v7
	;; [unrolled: 1-line block ×3, first 2 shown]
	s_mov_b32 s22, exec_lo
	v_and_b32_sdwa v5, v5, v4 dst_sel:DWORD dst_unused:UNUSED_PAD src0_sel:DWORD src1_sel:BYTE_1
	v_mov_b32_e32 v23, v10
	v_and_b32_e32 v8, 0x7f, v5
	v_cmpx_ne_u32_e32 0x7f, v8
	s_cbranch_execz .LBB243_2985
; %bb.2982:                             ;   in Loop: Header=BB243_2086 Depth=1
	v_and_b32_e32 v6, 7, v5
	v_lshrrev_b32_e32 v5, 3, v8
	s_mov_b32 s23, exec_lo
	v_cmpx_gt_u32_e32 8, v8
; %bb.2983:                             ;   in Loop: Header=BB243_2086 Depth=1
	v_ffbh_u32_e32 v5, v6
	v_min_u32_e32 v5, 32, v5
	v_subrev_nc_u32_e32 v8, 28, v5
	v_sub_nc_u32_e32 v5, 29, v5
	v_lshlrev_b64 v[23:24], v8, v[6:7]
	v_and_b32_e32 v6, 7, v23
; %bb.2984:                             ;   in Loop: Header=BB243_2086 Depth=1
	s_or_b32 exec_lo, exec_lo, s23
	v_lshlrev_b32_e32 v8, 16, v4
	v_lshlrev_b32_e32 v6, 20, v6
	v_lshl_add_u32 v5, v5, 23, 0x3c000000
	v_mov_b32_e32 v23, v7
	v_and_b32_e32 v8, 0x80000000, v8
	v_or3_b32 v24, v6, v8, v5
.LBB243_2985:                           ;   in Loop: Header=BB243_2086 Depth=1
	s_or_b32 exec_lo, exec_lo, s22
.LBB243_2986:                           ;   in Loop: Header=BB243_2086 Depth=1
	s_or_b32 exec_lo, exec_lo, s21
.LBB243_2987:                           ;   in Loop: Header=BB243_2086 Depth=1
	s_or_b32 exec_lo, exec_lo, s19
	v_mov_b32_e32 v25, 0
	v_mov_b32_e32 v27, 0
	v_and_b32_sdwa v5, v4, v77 dst_sel:DWORD dst_unused:UNUSED_PAD src0_sel:WORD_1 src1_sel:DWORD
	v_mov_b32_e32 v26, 0
	v_mov_b32_e32 v28, 0
	s_mov_b32 s19, exec_lo
	v_cmpx_ne_u16_e32 0, v5
	s_cbranch_execz .LBB243_2995
; %bb.2988:                             ;   in Loop: Header=BB243_2086 Depth=1
	v_bfrev_b32_e32 v27, 1
	v_mov_b32_e32 v28, 0
	s_mov_b32 s21, exec_lo
	v_cmpx_ne_u16_e32 0x80, v5
	s_cbranch_execz .LBB243_2994
; %bb.2989:                             ;   in Loop: Header=BB243_2086 Depth=1
	v_mov_b32_e32 v27, 0x7f800001
	v_bfe_u32 v8, v4, 16, 7
	v_mov_b32_e32 v28, 0
	s_mov_b32 s22, exec_lo
	v_cmpx_ne_u32_e32 0x7f, v8
	s_cbranch_execz .LBB243_2993
; %bb.2990:                             ;   in Loop: Header=BB243_2086 Depth=1
	v_and_b32_sdwa v6, v4, v30 dst_sel:DWORD dst_unused:UNUSED_PAD src0_sel:WORD_1 src1_sel:DWORD
	v_lshrrev_b32_e32 v5, 3, v8
	s_mov_b32 s23, exec_lo
	v_cmpx_gt_u32_e32 8, v8
; %bb.2991:                             ;   in Loop: Header=BB243_2086 Depth=1
	v_ffbh_u32_e32 v5, v6
	v_min_u32_e32 v5, 32, v5
	v_subrev_nc_u32_e32 v8, 28, v5
	v_sub_nc_u32_e32 v5, 29, v5
	v_lshlrev_b64 v[27:28], v8, v[6:7]
	v_and_b32_e32 v6, 7, v27
; %bb.2992:                             ;   in Loop: Header=BB243_2086 Depth=1
	s_or_b32 exec_lo, exec_lo, s23
	v_lshlrev_b32_sdwa v8, v79, v4 dst_sel:DWORD dst_unused:UNUSED_PAD src0_sel:DWORD src1_sel:WORD_1
	v_lshlrev_b32_e32 v6, 20, v6
	v_lshl_add_u32 v5, v5, 23, 0x3c000000
	v_and_b32_e32 v8, 0x80000000, v8
	v_or3_b32 v6, v6, v8, v5
	v_mov_b32_e32 v28, v7
	v_mov_b32_e32 v27, v6
.LBB243_2993:                           ;   in Loop: Header=BB243_2086 Depth=1
	s_or_b32 exec_lo, exec_lo, s22
.LBB243_2994:                           ;   in Loop: Header=BB243_2086 Depth=1
	s_or_b32 exec_lo, exec_lo, s21
.LBB243_2995:                           ;   in Loop: Header=BB243_2086 Depth=1
	s_or_b32 exec_lo, exec_lo, s19
	s_mov_b32 s19, exec_lo
	v_cmpx_lt_u32_e32 0xffffff, v4
	s_cbranch_execz .LBB243_3003
; %bb.2996:                             ;   in Loop: Header=BB243_2086 Depth=1
	v_mov_b32_e32 v8, v7
	v_mov_b32_e32 v26, v9
	v_cmp_ne_u32_sdwa s8, v4, v75 src0_sel:BYTE_3 src1_sel:DWORD
	v_mov_b32_e32 v25, v8
	s_and_saveexec_b32 s21, s8
	s_cbranch_execz .LBB243_3002
; %bb.2997:                             ;   in Loop: Header=BB243_2086 Depth=1
	v_mov_b32_e32 v10, v7
	v_mov_b32_e32 v26, v11
	v_bfe_u32 v8, v4, 24, 7
	s_mov_b32 s22, exec_lo
	v_mov_b32_e32 v25, v10
	v_cmpx_ne_u32_e32 0x7f, v8
	s_cbranch_execz .LBB243_3001
; %bb.2998:                             ;   in Loop: Header=BB243_2086 Depth=1
	v_and_b32_sdwa v6, v4, v30 dst_sel:DWORD dst_unused:UNUSED_PAD src0_sel:BYTE_3 src1_sel:DWORD
	v_lshrrev_b32_e32 v5, 3, v8
	s_mov_b32 s23, exec_lo
	v_cmpx_gt_u32_e32 8, v8
; %bb.2999:                             ;   in Loop: Header=BB243_2086 Depth=1
	v_ffbh_u32_e32 v5, v6
	v_min_u32_e32 v5, 32, v5
	v_subrev_nc_u32_e32 v8, 28, v5
	v_sub_nc_u32_e32 v5, 29, v5
	v_lshlrev_b64 v[25:26], v8, v[6:7]
	v_and_b32_e32 v6, 7, v25
; %bb.3000:                             ;   in Loop: Header=BB243_2086 Depth=1
	s_or_b32 exec_lo, exec_lo, s23
	v_lshlrev_b32_sdwa v4, v79, v4 dst_sel:DWORD dst_unused:UNUSED_PAD src0_sel:DWORD src1_sel:BYTE_3
	v_lshlrev_b32_e32 v6, 20, v6
	v_lshl_add_u32 v5, v5, 23, 0x3c000000
	v_mov_b32_e32 v25, v7
	v_and_b32_e32 v4, 0x80000000, v4
	v_or3_b32 v26, v6, v4, v5
.LBB243_3001:                           ;   in Loop: Header=BB243_2086 Depth=1
	s_or_b32 exec_lo, exec_lo, s22
.LBB243_3002:                           ;   in Loop: Header=BB243_2086 Depth=1
	s_or_b32 exec_lo, exec_lo, s21
.LBB243_3003:                           ;   in Loop: Header=BB243_2086 Depth=1
	s_or_b32 exec_lo, exec_lo, s19
	v_or_b32_e32 v4, v24, v22
	v_or_b32_e32 v5, v23, v21
	;; [unrolled: 1-line block ×4, first 2 shown]
	v_mul_f32_e32 v4, v106, v4
	buffer_store_dword v4, off, s[0:3], s32 offset:1092 ; 4-byte Folded Spill
	v_mul_f32_e32 v4, v106, v5
	buffer_store_dword v4, off, s[0:3], s32 offset:1084 ; 4-byte Folded Spill
	;; [unrolled: 2-line block ×4, first 2 shown]
	s_and_saveexec_b32 s8, vcc_lo
	s_cbranch_execz .LBB243_3005
; %bb.3004:                             ;   in Loop: Header=BB243_2086 Depth=1
	buffer_load_dword v4, off, s[0:3], s32 offset:1084 ; 4-byte Folded Reload
	s_waitcnt vmcnt(0)
	v_cndmask_b32_e64 v4, 0, v4, s4
	buffer_store_dword v4, off, s[0:3], s32 offset:1084 ; 4-byte Folded Spill
	buffer_load_dword v4, off, s[0:3], s32 offset:1092 ; 4-byte Folded Reload
	s_waitcnt vmcnt(0)
	v_cndmask_b32_e64 v4, 0, v4, s5
	buffer_store_dword v4, off, s[0:3], s32 offset:1092 ; 4-byte Folded Spill
	buffer_load_dword v4, off, s[0:3], s32 offset:1076 ; 4-byte Folded Reload
	s_waitcnt vmcnt(0)
	v_cndmask_b32_e64 v4, 0, v4, s6
	buffer_store_dword v4, off, s[0:3], s32 offset:1076 ; 4-byte Folded Spill
	buffer_load_dword v4, off, s[0:3], s32 offset:1068 ; 4-byte Folded Reload
	s_waitcnt vmcnt(0)
	v_cndmask_b32_e64 v4, 0, v4, s7
	buffer_store_dword v4, off, s[0:3], s32 offset:1068 ; 4-byte Folded Spill
.LBB243_3005:                           ;   in Loop: Header=BB243_2086 Depth=1
	s_or_b32 exec_lo, exec_lo, s8
	flat_load_dword v4, v[19:20] offset:1408
	v_mov_b32_e32 v23, 0
	v_mov_b32_e32 v21, 0
	;; [unrolled: 1-line block ×4, first 2 shown]
	s_waitcnt vmcnt(0) lgkmcnt(0)
	v_cmp_ne_u16_sdwa s8, v4, v7 src0_sel:BYTE_0 src1_sel:DWORD
	s_and_saveexec_b32 s19, s8
	s_cbranch_execz .LBB243_3013
; %bb.3006:                             ;   in Loop: Header=BB243_2086 Depth=1
	v_bfrev_b32_e32 v21, 1
	v_mov_b32_e32 v22, 0
	v_cmp_ne_u16_sdwa s8, v4, v75 src0_sel:BYTE_0 src1_sel:DWORD
	s_and_saveexec_b32 s21, s8
	s_cbranch_execz .LBB243_3012
; %bb.3007:                             ;   in Loop: Header=BB243_2086 Depth=1
	v_mov_b32_e32 v21, 0x7f800001
	v_and_b32_e32 v8, 0x7f, v4
	v_mov_b32_e32 v22, 0
	s_mov_b32 s22, exec_lo
	v_cmpx_ne_u32_e32 0x7f, v8
	s_cbranch_execz .LBB243_3011
; %bb.3008:                             ;   in Loop: Header=BB243_2086 Depth=1
	v_and_b32_e32 v6, 7, v4
	v_lshrrev_b32_e32 v5, 3, v8
	s_mov_b32 s23, exec_lo
	v_cmpx_gt_u32_e32 8, v8
; %bb.3009:                             ;   in Loop: Header=BB243_2086 Depth=1
	v_ffbh_u32_e32 v5, v6
	v_min_u32_e32 v5, 32, v5
	v_subrev_nc_u32_e32 v8, 28, v5
	v_sub_nc_u32_e32 v5, 29, v5
	v_lshlrev_b64 v[21:22], v8, v[6:7]
	v_and_b32_e32 v6, 7, v21
; %bb.3010:                             ;   in Loop: Header=BB243_2086 Depth=1
	s_or_b32 exec_lo, exec_lo, s23
	v_lshlrev_b32_e32 v8, 24, v4
	v_lshlrev_b32_e32 v6, 20, v6
	v_lshl_add_u32 v5, v5, 23, 0x3c000000
	v_and_b32_e32 v8, 0x80000000, v8
	v_or3_b32 v6, v6, v8, v5
	v_mov_b32_e32 v22, v7
	v_mov_b32_e32 v21, v6
.LBB243_3011:                           ;   in Loop: Header=BB243_2086 Depth=1
	s_or_b32 exec_lo, exec_lo, s22
.LBB243_3012:                           ;   in Loop: Header=BB243_2086 Depth=1
	s_or_b32 exec_lo, exec_lo, s21
.LBB243_3013:                           ;   in Loop: Header=BB243_2086 Depth=1
	s_or_b32 exec_lo, exec_lo, s19
	v_cmp_ne_u16_sdwa s8, v4, v7 src0_sel:BYTE_1 src1_sel:DWORD
	s_and_saveexec_b32 s19, s8
	s_cbranch_execz .LBB243_3021
; %bb.3014:                             ;   in Loop: Header=BB243_2086 Depth=1
	v_mov_b32_e32 v8, v7
	v_mov_b32_e32 v24, v9
	v_cmp_ne_u16_sdwa s8, v4, v75 src0_sel:BYTE_1 src1_sel:DWORD
	v_mov_b32_e32 v23, v8
	s_and_saveexec_b32 s21, s8
	s_cbranch_execz .LBB243_3020
; %bb.3015:                             ;   in Loop: Header=BB243_2086 Depth=1
	v_mov_b32_e32 v5, 0xffff
	v_mov_b32_e32 v10, v7
	;; [unrolled: 1-line block ×3, first 2 shown]
	s_mov_b32 s22, exec_lo
	v_and_b32_sdwa v5, v5, v4 dst_sel:DWORD dst_unused:UNUSED_PAD src0_sel:DWORD src1_sel:BYTE_1
	v_mov_b32_e32 v23, v10
	v_and_b32_e32 v8, 0x7f, v5
	v_cmpx_ne_u32_e32 0x7f, v8
	s_cbranch_execz .LBB243_3019
; %bb.3016:                             ;   in Loop: Header=BB243_2086 Depth=1
	v_and_b32_e32 v6, 7, v5
	v_lshrrev_b32_e32 v5, 3, v8
	s_mov_b32 s23, exec_lo
	v_cmpx_gt_u32_e32 8, v8
; %bb.3017:                             ;   in Loop: Header=BB243_2086 Depth=1
	v_ffbh_u32_e32 v5, v6
	v_min_u32_e32 v5, 32, v5
	v_subrev_nc_u32_e32 v8, 28, v5
	v_sub_nc_u32_e32 v5, 29, v5
	v_lshlrev_b64 v[23:24], v8, v[6:7]
	v_and_b32_e32 v6, 7, v23
; %bb.3018:                             ;   in Loop: Header=BB243_2086 Depth=1
	s_or_b32 exec_lo, exec_lo, s23
	v_lshlrev_b32_e32 v8, 16, v4
	v_lshlrev_b32_e32 v6, 20, v6
	v_lshl_add_u32 v5, v5, 23, 0x3c000000
	v_mov_b32_e32 v23, v7
	v_and_b32_e32 v8, 0x80000000, v8
	v_or3_b32 v24, v6, v8, v5
.LBB243_3019:                           ;   in Loop: Header=BB243_2086 Depth=1
	s_or_b32 exec_lo, exec_lo, s22
.LBB243_3020:                           ;   in Loop: Header=BB243_2086 Depth=1
	s_or_b32 exec_lo, exec_lo, s21
.LBB243_3021:                           ;   in Loop: Header=BB243_2086 Depth=1
	s_or_b32 exec_lo, exec_lo, s19
	v_mov_b32_e32 v25, 0
	v_mov_b32_e32 v27, 0
	v_and_b32_sdwa v5, v4, v77 dst_sel:DWORD dst_unused:UNUSED_PAD src0_sel:WORD_1 src1_sel:DWORD
	v_mov_b32_e32 v26, 0
	v_mov_b32_e32 v28, 0
	s_mov_b32 s19, exec_lo
	v_cmpx_ne_u16_e32 0, v5
	s_cbranch_execz .LBB243_3029
; %bb.3022:                             ;   in Loop: Header=BB243_2086 Depth=1
	v_bfrev_b32_e32 v27, 1
	v_mov_b32_e32 v28, 0
	s_mov_b32 s21, exec_lo
	v_cmpx_ne_u16_e32 0x80, v5
	s_cbranch_execz .LBB243_3028
; %bb.3023:                             ;   in Loop: Header=BB243_2086 Depth=1
	v_mov_b32_e32 v27, 0x7f800001
	v_bfe_u32 v8, v4, 16, 7
	v_mov_b32_e32 v28, 0
	s_mov_b32 s22, exec_lo
	v_cmpx_ne_u32_e32 0x7f, v8
	s_cbranch_execz .LBB243_3027
; %bb.3024:                             ;   in Loop: Header=BB243_2086 Depth=1
	v_and_b32_sdwa v6, v4, v30 dst_sel:DWORD dst_unused:UNUSED_PAD src0_sel:WORD_1 src1_sel:DWORD
	v_lshrrev_b32_e32 v5, 3, v8
	s_mov_b32 s23, exec_lo
	v_cmpx_gt_u32_e32 8, v8
; %bb.3025:                             ;   in Loop: Header=BB243_2086 Depth=1
	v_ffbh_u32_e32 v5, v6
	v_min_u32_e32 v5, 32, v5
	v_subrev_nc_u32_e32 v8, 28, v5
	v_sub_nc_u32_e32 v5, 29, v5
	v_lshlrev_b64 v[27:28], v8, v[6:7]
	v_and_b32_e32 v6, 7, v27
; %bb.3026:                             ;   in Loop: Header=BB243_2086 Depth=1
	s_or_b32 exec_lo, exec_lo, s23
	v_lshlrev_b32_sdwa v8, v79, v4 dst_sel:DWORD dst_unused:UNUSED_PAD src0_sel:DWORD src1_sel:WORD_1
	v_lshlrev_b32_e32 v6, 20, v6
	v_lshl_add_u32 v5, v5, 23, 0x3c000000
	v_and_b32_e32 v8, 0x80000000, v8
	v_or3_b32 v6, v6, v8, v5
	v_mov_b32_e32 v28, v7
	v_mov_b32_e32 v27, v6
.LBB243_3027:                           ;   in Loop: Header=BB243_2086 Depth=1
	s_or_b32 exec_lo, exec_lo, s22
.LBB243_3028:                           ;   in Loop: Header=BB243_2086 Depth=1
	s_or_b32 exec_lo, exec_lo, s21
.LBB243_3029:                           ;   in Loop: Header=BB243_2086 Depth=1
	s_or_b32 exec_lo, exec_lo, s19
	s_mov_b32 s19, exec_lo
	v_cmpx_lt_u32_e32 0xffffff, v4
	s_cbranch_execz .LBB243_3037
; %bb.3030:                             ;   in Loop: Header=BB243_2086 Depth=1
	v_mov_b32_e32 v8, v7
	v_mov_b32_e32 v26, v9
	v_cmp_ne_u32_sdwa s8, v4, v75 src0_sel:BYTE_3 src1_sel:DWORD
	v_mov_b32_e32 v25, v8
	s_and_saveexec_b32 s21, s8
	s_cbranch_execz .LBB243_3036
; %bb.3031:                             ;   in Loop: Header=BB243_2086 Depth=1
	v_mov_b32_e32 v10, v7
	v_mov_b32_e32 v26, v11
	v_bfe_u32 v8, v4, 24, 7
	s_mov_b32 s22, exec_lo
	v_mov_b32_e32 v25, v10
	v_cmpx_ne_u32_e32 0x7f, v8
	s_cbranch_execz .LBB243_3035
; %bb.3032:                             ;   in Loop: Header=BB243_2086 Depth=1
	v_and_b32_sdwa v6, v4, v30 dst_sel:DWORD dst_unused:UNUSED_PAD src0_sel:BYTE_3 src1_sel:DWORD
	v_lshrrev_b32_e32 v5, 3, v8
	s_mov_b32 s23, exec_lo
	v_cmpx_gt_u32_e32 8, v8
; %bb.3033:                             ;   in Loop: Header=BB243_2086 Depth=1
	v_ffbh_u32_e32 v5, v6
	v_min_u32_e32 v5, 32, v5
	v_subrev_nc_u32_e32 v8, 28, v5
	v_sub_nc_u32_e32 v5, 29, v5
	v_lshlrev_b64 v[25:26], v8, v[6:7]
	v_and_b32_e32 v6, 7, v25
; %bb.3034:                             ;   in Loop: Header=BB243_2086 Depth=1
	s_or_b32 exec_lo, exec_lo, s23
	v_lshlrev_b32_sdwa v4, v79, v4 dst_sel:DWORD dst_unused:UNUSED_PAD src0_sel:DWORD src1_sel:BYTE_3
	v_lshlrev_b32_e32 v6, 20, v6
	v_lshl_add_u32 v5, v5, 23, 0x3c000000
	v_mov_b32_e32 v25, v7
	v_and_b32_e32 v4, 0x80000000, v4
	v_or3_b32 v26, v6, v4, v5
.LBB243_3035:                           ;   in Loop: Header=BB243_2086 Depth=1
	s_or_b32 exec_lo, exec_lo, s22
.LBB243_3036:                           ;   in Loop: Header=BB243_2086 Depth=1
	s_or_b32 exec_lo, exec_lo, s21
.LBB243_3037:                           ;   in Loop: Header=BB243_2086 Depth=1
	s_or_b32 exec_lo, exec_lo, s19
	v_or_b32_e32 v4, v24, v22
	v_or_b32_e32 v5, v23, v21
	;; [unrolled: 1-line block ×4, first 2 shown]
	v_mul_f32_e32 v4, v106, v4
	buffer_store_dword v4, off, s[0:3], s32 offset:1124 ; 4-byte Folded Spill
	v_mul_f32_e32 v4, v106, v5
	buffer_store_dword v4, off, s[0:3], s32 offset:1116 ; 4-byte Folded Spill
	;; [unrolled: 2-line block ×4, first 2 shown]
	s_and_saveexec_b32 s8, vcc_lo
	s_cbranch_execz .LBB243_3039
; %bb.3038:                             ;   in Loop: Header=BB243_2086 Depth=1
	buffer_load_dword v4, off, s[0:3], s32 offset:1116 ; 4-byte Folded Reload
	s_waitcnt vmcnt(0)
	v_cndmask_b32_e64 v4, 0, v4, s4
	buffer_store_dword v4, off, s[0:3], s32 offset:1116 ; 4-byte Folded Spill
	buffer_load_dword v4, off, s[0:3], s32 offset:1124 ; 4-byte Folded Reload
	s_waitcnt vmcnt(0)
	v_cndmask_b32_e64 v4, 0, v4, s5
	buffer_store_dword v4, off, s[0:3], s32 offset:1124 ; 4-byte Folded Spill
	buffer_load_dword v4, off, s[0:3], s32 offset:1108 ; 4-byte Folded Reload
	s_waitcnt vmcnt(0)
	v_cndmask_b32_e64 v4, 0, v4, s6
	buffer_store_dword v4, off, s[0:3], s32 offset:1108 ; 4-byte Folded Spill
	buffer_load_dword v4, off, s[0:3], s32 offset:1100 ; 4-byte Folded Reload
	s_waitcnt vmcnt(0)
	v_cndmask_b32_e64 v4, 0, v4, s7
	buffer_store_dword v4, off, s[0:3], s32 offset:1100 ; 4-byte Folded Spill
.LBB243_3039:                           ;   in Loop: Header=BB243_2086 Depth=1
	s_or_b32 exec_lo, exec_lo, s8
	flat_load_dword v4, v[19:20] offset:1536
	v_mov_b32_e32 v23, 0
	v_mov_b32_e32 v21, 0
	;; [unrolled: 1-line block ×4, first 2 shown]
	s_waitcnt vmcnt(0) lgkmcnt(0)
	v_cmp_ne_u16_sdwa s8, v4, v7 src0_sel:BYTE_0 src1_sel:DWORD
	s_and_saveexec_b32 s19, s8
	s_cbranch_execz .LBB243_3047
; %bb.3040:                             ;   in Loop: Header=BB243_2086 Depth=1
	v_bfrev_b32_e32 v21, 1
	v_mov_b32_e32 v22, 0
	v_cmp_ne_u16_sdwa s8, v4, v75 src0_sel:BYTE_0 src1_sel:DWORD
	s_and_saveexec_b32 s21, s8
	s_cbranch_execz .LBB243_3046
; %bb.3041:                             ;   in Loop: Header=BB243_2086 Depth=1
	v_mov_b32_e32 v21, 0x7f800001
	v_and_b32_e32 v8, 0x7f, v4
	v_mov_b32_e32 v22, 0
	s_mov_b32 s22, exec_lo
	v_cmpx_ne_u32_e32 0x7f, v8
	s_cbranch_execz .LBB243_3045
; %bb.3042:                             ;   in Loop: Header=BB243_2086 Depth=1
	v_and_b32_e32 v6, 7, v4
	v_lshrrev_b32_e32 v5, 3, v8
	s_mov_b32 s23, exec_lo
	v_cmpx_gt_u32_e32 8, v8
; %bb.3043:                             ;   in Loop: Header=BB243_2086 Depth=1
	v_ffbh_u32_e32 v5, v6
	v_min_u32_e32 v5, 32, v5
	v_subrev_nc_u32_e32 v8, 28, v5
	v_sub_nc_u32_e32 v5, 29, v5
	v_lshlrev_b64 v[21:22], v8, v[6:7]
	v_and_b32_e32 v6, 7, v21
; %bb.3044:                             ;   in Loop: Header=BB243_2086 Depth=1
	s_or_b32 exec_lo, exec_lo, s23
	v_lshlrev_b32_e32 v8, 24, v4
	v_lshlrev_b32_e32 v6, 20, v6
	v_lshl_add_u32 v5, v5, 23, 0x3c000000
	v_and_b32_e32 v8, 0x80000000, v8
	v_or3_b32 v6, v6, v8, v5
	v_mov_b32_e32 v22, v7
	v_mov_b32_e32 v21, v6
.LBB243_3045:                           ;   in Loop: Header=BB243_2086 Depth=1
	s_or_b32 exec_lo, exec_lo, s22
.LBB243_3046:                           ;   in Loop: Header=BB243_2086 Depth=1
	s_or_b32 exec_lo, exec_lo, s21
.LBB243_3047:                           ;   in Loop: Header=BB243_2086 Depth=1
	s_or_b32 exec_lo, exec_lo, s19
	v_cmp_ne_u16_sdwa s8, v4, v7 src0_sel:BYTE_1 src1_sel:DWORD
	s_and_saveexec_b32 s19, s8
	s_cbranch_execz .LBB243_3055
; %bb.3048:                             ;   in Loop: Header=BB243_2086 Depth=1
	v_mov_b32_e32 v8, v7
	v_mov_b32_e32 v24, v9
	v_cmp_ne_u16_sdwa s8, v4, v75 src0_sel:BYTE_1 src1_sel:DWORD
	v_mov_b32_e32 v23, v8
	s_and_saveexec_b32 s21, s8
	s_cbranch_execz .LBB243_3054
; %bb.3049:                             ;   in Loop: Header=BB243_2086 Depth=1
	v_mov_b32_e32 v5, 0xffff
	v_mov_b32_e32 v10, v7
	;; [unrolled: 1-line block ×3, first 2 shown]
	s_mov_b32 s22, exec_lo
	v_and_b32_sdwa v5, v5, v4 dst_sel:DWORD dst_unused:UNUSED_PAD src0_sel:DWORD src1_sel:BYTE_1
	v_mov_b32_e32 v23, v10
	v_and_b32_e32 v8, 0x7f, v5
	v_cmpx_ne_u32_e32 0x7f, v8
	s_cbranch_execz .LBB243_3053
; %bb.3050:                             ;   in Loop: Header=BB243_2086 Depth=1
	v_and_b32_e32 v6, 7, v5
	v_lshrrev_b32_e32 v5, 3, v8
	s_mov_b32 s23, exec_lo
	v_cmpx_gt_u32_e32 8, v8
; %bb.3051:                             ;   in Loop: Header=BB243_2086 Depth=1
	v_ffbh_u32_e32 v5, v6
	v_min_u32_e32 v5, 32, v5
	v_subrev_nc_u32_e32 v8, 28, v5
	v_sub_nc_u32_e32 v5, 29, v5
	v_lshlrev_b64 v[23:24], v8, v[6:7]
	v_and_b32_e32 v6, 7, v23
; %bb.3052:                             ;   in Loop: Header=BB243_2086 Depth=1
	s_or_b32 exec_lo, exec_lo, s23
	v_lshlrev_b32_e32 v8, 16, v4
	v_lshlrev_b32_e32 v6, 20, v6
	v_lshl_add_u32 v5, v5, 23, 0x3c000000
	v_mov_b32_e32 v23, v7
	v_and_b32_e32 v8, 0x80000000, v8
	v_or3_b32 v24, v6, v8, v5
.LBB243_3053:                           ;   in Loop: Header=BB243_2086 Depth=1
	s_or_b32 exec_lo, exec_lo, s22
.LBB243_3054:                           ;   in Loop: Header=BB243_2086 Depth=1
	s_or_b32 exec_lo, exec_lo, s21
.LBB243_3055:                           ;   in Loop: Header=BB243_2086 Depth=1
	s_or_b32 exec_lo, exec_lo, s19
	v_mov_b32_e32 v25, 0
	v_mov_b32_e32 v27, 0
	v_and_b32_sdwa v5, v4, v77 dst_sel:DWORD dst_unused:UNUSED_PAD src0_sel:WORD_1 src1_sel:DWORD
	v_mov_b32_e32 v26, 0
	v_mov_b32_e32 v28, 0
	s_mov_b32 s19, exec_lo
	v_cmpx_ne_u16_e32 0, v5
	s_cbranch_execz .LBB243_3063
; %bb.3056:                             ;   in Loop: Header=BB243_2086 Depth=1
	v_bfrev_b32_e32 v27, 1
	v_mov_b32_e32 v28, 0
	s_mov_b32 s21, exec_lo
	v_cmpx_ne_u16_e32 0x80, v5
	s_cbranch_execz .LBB243_3062
; %bb.3057:                             ;   in Loop: Header=BB243_2086 Depth=1
	v_mov_b32_e32 v27, 0x7f800001
	v_bfe_u32 v8, v4, 16, 7
	v_mov_b32_e32 v28, 0
	s_mov_b32 s22, exec_lo
	v_cmpx_ne_u32_e32 0x7f, v8
	s_cbranch_execz .LBB243_3061
; %bb.3058:                             ;   in Loop: Header=BB243_2086 Depth=1
	v_and_b32_sdwa v6, v4, v30 dst_sel:DWORD dst_unused:UNUSED_PAD src0_sel:WORD_1 src1_sel:DWORD
	v_lshrrev_b32_e32 v5, 3, v8
	s_mov_b32 s23, exec_lo
	v_cmpx_gt_u32_e32 8, v8
; %bb.3059:                             ;   in Loop: Header=BB243_2086 Depth=1
	v_ffbh_u32_e32 v5, v6
	v_min_u32_e32 v5, 32, v5
	v_subrev_nc_u32_e32 v8, 28, v5
	v_sub_nc_u32_e32 v5, 29, v5
	v_lshlrev_b64 v[27:28], v8, v[6:7]
	v_and_b32_e32 v6, 7, v27
; %bb.3060:                             ;   in Loop: Header=BB243_2086 Depth=1
	s_or_b32 exec_lo, exec_lo, s23
	v_lshlrev_b32_sdwa v8, v79, v4 dst_sel:DWORD dst_unused:UNUSED_PAD src0_sel:DWORD src1_sel:WORD_1
	v_lshlrev_b32_e32 v6, 20, v6
	v_lshl_add_u32 v5, v5, 23, 0x3c000000
	v_and_b32_e32 v8, 0x80000000, v8
	v_or3_b32 v6, v6, v8, v5
	v_mov_b32_e32 v28, v7
	v_mov_b32_e32 v27, v6
.LBB243_3061:                           ;   in Loop: Header=BB243_2086 Depth=1
	s_or_b32 exec_lo, exec_lo, s22
.LBB243_3062:                           ;   in Loop: Header=BB243_2086 Depth=1
	s_or_b32 exec_lo, exec_lo, s21
.LBB243_3063:                           ;   in Loop: Header=BB243_2086 Depth=1
	s_or_b32 exec_lo, exec_lo, s19
	s_mov_b32 s19, exec_lo
	v_cmpx_lt_u32_e32 0xffffff, v4
	s_cbranch_execz .LBB243_3071
; %bb.3064:                             ;   in Loop: Header=BB243_2086 Depth=1
	v_mov_b32_e32 v8, v7
	v_mov_b32_e32 v26, v9
	v_cmp_ne_u32_sdwa s8, v4, v75 src0_sel:BYTE_3 src1_sel:DWORD
	v_mov_b32_e32 v25, v8
	s_and_saveexec_b32 s21, s8
	s_cbranch_execz .LBB243_3070
; %bb.3065:                             ;   in Loop: Header=BB243_2086 Depth=1
	v_mov_b32_e32 v10, v7
	v_mov_b32_e32 v26, v11
	v_bfe_u32 v8, v4, 24, 7
	s_mov_b32 s22, exec_lo
	v_mov_b32_e32 v25, v10
	v_cmpx_ne_u32_e32 0x7f, v8
	s_cbranch_execz .LBB243_3069
; %bb.3066:                             ;   in Loop: Header=BB243_2086 Depth=1
	v_and_b32_sdwa v6, v4, v30 dst_sel:DWORD dst_unused:UNUSED_PAD src0_sel:BYTE_3 src1_sel:DWORD
	v_lshrrev_b32_e32 v5, 3, v8
	s_mov_b32 s23, exec_lo
	v_cmpx_gt_u32_e32 8, v8
; %bb.3067:                             ;   in Loop: Header=BB243_2086 Depth=1
	v_ffbh_u32_e32 v5, v6
	v_min_u32_e32 v5, 32, v5
	v_subrev_nc_u32_e32 v8, 28, v5
	v_sub_nc_u32_e32 v5, 29, v5
	v_lshlrev_b64 v[25:26], v8, v[6:7]
	v_and_b32_e32 v6, 7, v25
; %bb.3068:                             ;   in Loop: Header=BB243_2086 Depth=1
	s_or_b32 exec_lo, exec_lo, s23
	v_lshlrev_b32_sdwa v4, v79, v4 dst_sel:DWORD dst_unused:UNUSED_PAD src0_sel:DWORD src1_sel:BYTE_3
	v_lshlrev_b32_e32 v6, 20, v6
	v_lshl_add_u32 v5, v5, 23, 0x3c000000
	v_mov_b32_e32 v25, v7
	v_and_b32_e32 v4, 0x80000000, v4
	v_or3_b32 v26, v6, v4, v5
.LBB243_3069:                           ;   in Loop: Header=BB243_2086 Depth=1
	s_or_b32 exec_lo, exec_lo, s22
.LBB243_3070:                           ;   in Loop: Header=BB243_2086 Depth=1
	s_or_b32 exec_lo, exec_lo, s21
.LBB243_3071:                           ;   in Loop: Header=BB243_2086 Depth=1
	s_or_b32 exec_lo, exec_lo, s19
	v_or_b32_e32 v4, v24, v22
	v_or_b32_e32 v5, v23, v21
	;; [unrolled: 1-line block ×4, first 2 shown]
	v_mul_f32_e32 v4, v106, v4
	buffer_store_dword v4, off, s[0:3], s32 offset:1156 ; 4-byte Folded Spill
	v_mul_f32_e32 v4, v106, v5
	buffer_store_dword v4, off, s[0:3], s32 offset:1148 ; 4-byte Folded Spill
	;; [unrolled: 2-line block ×4, first 2 shown]
	s_and_saveexec_b32 s8, vcc_lo
	s_cbranch_execz .LBB243_3073
; %bb.3072:                             ;   in Loop: Header=BB243_2086 Depth=1
	buffer_load_dword v4, off, s[0:3], s32 offset:1148 ; 4-byte Folded Reload
	s_waitcnt vmcnt(0)
	v_cndmask_b32_e64 v4, 0, v4, s4
	buffer_store_dword v4, off, s[0:3], s32 offset:1148 ; 4-byte Folded Spill
	buffer_load_dword v4, off, s[0:3], s32 offset:1156 ; 4-byte Folded Reload
	s_waitcnt vmcnt(0)
	v_cndmask_b32_e64 v4, 0, v4, s5
	buffer_store_dword v4, off, s[0:3], s32 offset:1156 ; 4-byte Folded Spill
	;; [unrolled: 4-line block ×4, first 2 shown]
.LBB243_3073:                           ;   in Loop: Header=BB243_2086 Depth=1
	s_or_b32 exec_lo, exec_lo, s8
	flat_load_dword v4, v[19:20] offset:1664
	v_mov_b32_e32 v23, 0
	v_mov_b32_e32 v21, 0
	;; [unrolled: 1-line block ×4, first 2 shown]
	s_waitcnt vmcnt(0) lgkmcnt(0)
	v_cmp_ne_u16_sdwa s8, v4, v7 src0_sel:BYTE_0 src1_sel:DWORD
	s_and_saveexec_b32 s19, s8
	s_cbranch_execz .LBB243_3081
; %bb.3074:                             ;   in Loop: Header=BB243_2086 Depth=1
	v_bfrev_b32_e32 v21, 1
	v_mov_b32_e32 v22, 0
	v_cmp_ne_u16_sdwa s8, v4, v75 src0_sel:BYTE_0 src1_sel:DWORD
	s_and_saveexec_b32 s21, s8
	s_cbranch_execz .LBB243_3080
; %bb.3075:                             ;   in Loop: Header=BB243_2086 Depth=1
	v_mov_b32_e32 v21, 0x7f800001
	v_and_b32_e32 v8, 0x7f, v4
	v_mov_b32_e32 v22, 0
	s_mov_b32 s22, exec_lo
	v_cmpx_ne_u32_e32 0x7f, v8
	s_cbranch_execz .LBB243_3079
; %bb.3076:                             ;   in Loop: Header=BB243_2086 Depth=1
	v_and_b32_e32 v6, 7, v4
	v_lshrrev_b32_e32 v5, 3, v8
	s_mov_b32 s23, exec_lo
	v_cmpx_gt_u32_e32 8, v8
; %bb.3077:                             ;   in Loop: Header=BB243_2086 Depth=1
	v_ffbh_u32_e32 v5, v6
	v_min_u32_e32 v5, 32, v5
	v_subrev_nc_u32_e32 v8, 28, v5
	v_sub_nc_u32_e32 v5, 29, v5
	v_lshlrev_b64 v[21:22], v8, v[6:7]
	v_and_b32_e32 v6, 7, v21
; %bb.3078:                             ;   in Loop: Header=BB243_2086 Depth=1
	s_or_b32 exec_lo, exec_lo, s23
	v_lshlrev_b32_e32 v8, 24, v4
	v_lshlrev_b32_e32 v6, 20, v6
	v_lshl_add_u32 v5, v5, 23, 0x3c000000
	v_and_b32_e32 v8, 0x80000000, v8
	v_or3_b32 v6, v6, v8, v5
	v_mov_b32_e32 v22, v7
	v_mov_b32_e32 v21, v6
.LBB243_3079:                           ;   in Loop: Header=BB243_2086 Depth=1
	s_or_b32 exec_lo, exec_lo, s22
.LBB243_3080:                           ;   in Loop: Header=BB243_2086 Depth=1
	s_or_b32 exec_lo, exec_lo, s21
.LBB243_3081:                           ;   in Loop: Header=BB243_2086 Depth=1
	s_or_b32 exec_lo, exec_lo, s19
	v_cmp_ne_u16_sdwa s8, v4, v7 src0_sel:BYTE_1 src1_sel:DWORD
	s_and_saveexec_b32 s19, s8
	s_cbranch_execz .LBB243_3089
; %bb.3082:                             ;   in Loop: Header=BB243_2086 Depth=1
	v_mov_b32_e32 v8, v7
	v_mov_b32_e32 v24, v9
	v_cmp_ne_u16_sdwa s8, v4, v75 src0_sel:BYTE_1 src1_sel:DWORD
	v_mov_b32_e32 v23, v8
	s_and_saveexec_b32 s21, s8
	s_cbranch_execz .LBB243_3088
; %bb.3083:                             ;   in Loop: Header=BB243_2086 Depth=1
	v_mov_b32_e32 v5, 0xffff
	v_mov_b32_e32 v10, v7
	;; [unrolled: 1-line block ×3, first 2 shown]
	s_mov_b32 s22, exec_lo
	v_and_b32_sdwa v5, v5, v4 dst_sel:DWORD dst_unused:UNUSED_PAD src0_sel:DWORD src1_sel:BYTE_1
	v_mov_b32_e32 v23, v10
	v_and_b32_e32 v8, 0x7f, v5
	v_cmpx_ne_u32_e32 0x7f, v8
	s_cbranch_execz .LBB243_3087
; %bb.3084:                             ;   in Loop: Header=BB243_2086 Depth=1
	v_and_b32_e32 v6, 7, v5
	v_lshrrev_b32_e32 v5, 3, v8
	s_mov_b32 s23, exec_lo
	v_cmpx_gt_u32_e32 8, v8
; %bb.3085:                             ;   in Loop: Header=BB243_2086 Depth=1
	v_ffbh_u32_e32 v5, v6
	v_min_u32_e32 v5, 32, v5
	v_subrev_nc_u32_e32 v8, 28, v5
	v_sub_nc_u32_e32 v5, 29, v5
	v_lshlrev_b64 v[23:24], v8, v[6:7]
	v_and_b32_e32 v6, 7, v23
; %bb.3086:                             ;   in Loop: Header=BB243_2086 Depth=1
	s_or_b32 exec_lo, exec_lo, s23
	v_lshlrev_b32_e32 v8, 16, v4
	v_lshlrev_b32_e32 v6, 20, v6
	v_lshl_add_u32 v5, v5, 23, 0x3c000000
	v_mov_b32_e32 v23, v7
	v_and_b32_e32 v8, 0x80000000, v8
	v_or3_b32 v24, v6, v8, v5
.LBB243_3087:                           ;   in Loop: Header=BB243_2086 Depth=1
	s_or_b32 exec_lo, exec_lo, s22
.LBB243_3088:                           ;   in Loop: Header=BB243_2086 Depth=1
	s_or_b32 exec_lo, exec_lo, s21
.LBB243_3089:                           ;   in Loop: Header=BB243_2086 Depth=1
	s_or_b32 exec_lo, exec_lo, s19
	v_mov_b32_e32 v25, 0
	v_mov_b32_e32 v27, 0
	v_and_b32_sdwa v5, v4, v77 dst_sel:DWORD dst_unused:UNUSED_PAD src0_sel:WORD_1 src1_sel:DWORD
	v_mov_b32_e32 v26, 0
	v_mov_b32_e32 v28, 0
	s_mov_b32 s19, exec_lo
	v_cmpx_ne_u16_e32 0, v5
	s_cbranch_execz .LBB243_3097
; %bb.3090:                             ;   in Loop: Header=BB243_2086 Depth=1
	v_bfrev_b32_e32 v27, 1
	v_mov_b32_e32 v28, 0
	s_mov_b32 s21, exec_lo
	v_cmpx_ne_u16_e32 0x80, v5
	s_cbranch_execz .LBB243_3096
; %bb.3091:                             ;   in Loop: Header=BB243_2086 Depth=1
	v_mov_b32_e32 v27, 0x7f800001
	v_bfe_u32 v8, v4, 16, 7
	v_mov_b32_e32 v28, 0
	s_mov_b32 s22, exec_lo
	v_cmpx_ne_u32_e32 0x7f, v8
	s_cbranch_execz .LBB243_3095
; %bb.3092:                             ;   in Loop: Header=BB243_2086 Depth=1
	v_and_b32_sdwa v6, v4, v30 dst_sel:DWORD dst_unused:UNUSED_PAD src0_sel:WORD_1 src1_sel:DWORD
	v_lshrrev_b32_e32 v5, 3, v8
	s_mov_b32 s23, exec_lo
	v_cmpx_gt_u32_e32 8, v8
; %bb.3093:                             ;   in Loop: Header=BB243_2086 Depth=1
	v_ffbh_u32_e32 v5, v6
	v_min_u32_e32 v5, 32, v5
	v_subrev_nc_u32_e32 v8, 28, v5
	v_sub_nc_u32_e32 v5, 29, v5
	v_lshlrev_b64 v[27:28], v8, v[6:7]
	v_and_b32_e32 v6, 7, v27
; %bb.3094:                             ;   in Loop: Header=BB243_2086 Depth=1
	s_or_b32 exec_lo, exec_lo, s23
	v_lshlrev_b32_sdwa v8, v79, v4 dst_sel:DWORD dst_unused:UNUSED_PAD src0_sel:DWORD src1_sel:WORD_1
	v_lshlrev_b32_e32 v6, 20, v6
	v_lshl_add_u32 v5, v5, 23, 0x3c000000
	v_and_b32_e32 v8, 0x80000000, v8
	v_or3_b32 v6, v6, v8, v5
	v_mov_b32_e32 v28, v7
	v_mov_b32_e32 v27, v6
.LBB243_3095:                           ;   in Loop: Header=BB243_2086 Depth=1
	s_or_b32 exec_lo, exec_lo, s22
.LBB243_3096:                           ;   in Loop: Header=BB243_2086 Depth=1
	s_or_b32 exec_lo, exec_lo, s21
.LBB243_3097:                           ;   in Loop: Header=BB243_2086 Depth=1
	s_or_b32 exec_lo, exec_lo, s19
	s_mov_b32 s19, exec_lo
	v_cmpx_lt_u32_e32 0xffffff, v4
	s_cbranch_execz .LBB243_3105
; %bb.3098:                             ;   in Loop: Header=BB243_2086 Depth=1
	v_mov_b32_e32 v8, v7
	v_mov_b32_e32 v26, v9
	v_cmp_ne_u32_sdwa s8, v4, v75 src0_sel:BYTE_3 src1_sel:DWORD
	v_mov_b32_e32 v25, v8
	s_and_saveexec_b32 s21, s8
	s_cbranch_execz .LBB243_3104
; %bb.3099:                             ;   in Loop: Header=BB243_2086 Depth=1
	v_mov_b32_e32 v10, v7
	v_mov_b32_e32 v26, v11
	v_bfe_u32 v8, v4, 24, 7
	s_mov_b32 s22, exec_lo
	v_mov_b32_e32 v25, v10
	v_cmpx_ne_u32_e32 0x7f, v8
	s_cbranch_execz .LBB243_3103
; %bb.3100:                             ;   in Loop: Header=BB243_2086 Depth=1
	v_and_b32_sdwa v6, v4, v30 dst_sel:DWORD dst_unused:UNUSED_PAD src0_sel:BYTE_3 src1_sel:DWORD
	v_lshrrev_b32_e32 v5, 3, v8
	s_mov_b32 s23, exec_lo
	v_cmpx_gt_u32_e32 8, v8
; %bb.3101:                             ;   in Loop: Header=BB243_2086 Depth=1
	v_ffbh_u32_e32 v5, v6
	v_min_u32_e32 v5, 32, v5
	v_subrev_nc_u32_e32 v8, 28, v5
	v_sub_nc_u32_e32 v5, 29, v5
	v_lshlrev_b64 v[25:26], v8, v[6:7]
	v_and_b32_e32 v6, 7, v25
; %bb.3102:                             ;   in Loop: Header=BB243_2086 Depth=1
	s_or_b32 exec_lo, exec_lo, s23
	v_lshlrev_b32_sdwa v4, v79, v4 dst_sel:DWORD dst_unused:UNUSED_PAD src0_sel:DWORD src1_sel:BYTE_3
	v_lshlrev_b32_e32 v6, 20, v6
	v_lshl_add_u32 v5, v5, 23, 0x3c000000
	v_mov_b32_e32 v25, v7
	v_and_b32_e32 v4, 0x80000000, v4
	v_or3_b32 v26, v6, v4, v5
.LBB243_3103:                           ;   in Loop: Header=BB243_2086 Depth=1
	s_or_b32 exec_lo, exec_lo, s22
.LBB243_3104:                           ;   in Loop: Header=BB243_2086 Depth=1
	s_or_b32 exec_lo, exec_lo, s21
.LBB243_3105:                           ;   in Loop: Header=BB243_2086 Depth=1
	s_or_b32 exec_lo, exec_lo, s19
	v_or_b32_e32 v4, v24, v22
	v_or_b32_e32 v5, v23, v21
	;; [unrolled: 1-line block ×4, first 2 shown]
	v_mul_f32_e32 v4, v106, v4
	buffer_store_dword v4, off, s[0:3], s32 offset:1188 ; 4-byte Folded Spill
	v_mul_f32_e32 v4, v106, v5
	buffer_store_dword v4, off, s[0:3], s32 offset:1180 ; 4-byte Folded Spill
	;; [unrolled: 2-line block ×4, first 2 shown]
	s_and_saveexec_b32 s8, vcc_lo
	s_cbranch_execz .LBB243_3107
; %bb.3106:                             ;   in Loop: Header=BB243_2086 Depth=1
	buffer_load_dword v4, off, s[0:3], s32 offset:1180 ; 4-byte Folded Reload
	s_waitcnt vmcnt(0)
	v_cndmask_b32_e64 v4, 0, v4, s4
	buffer_store_dword v4, off, s[0:3], s32 offset:1180 ; 4-byte Folded Spill
	buffer_load_dword v4, off, s[0:3], s32 offset:1188 ; 4-byte Folded Reload
	s_waitcnt vmcnt(0)
	v_cndmask_b32_e64 v4, 0, v4, s5
	buffer_store_dword v4, off, s[0:3], s32 offset:1188 ; 4-byte Folded Spill
	;; [unrolled: 4-line block ×4, first 2 shown]
.LBB243_3107:                           ;   in Loop: Header=BB243_2086 Depth=1
	s_or_b32 exec_lo, exec_lo, s8
	flat_load_dword v4, v[19:20] offset:1792
	v_mov_b32_e32 v21, 0
	v_mov_b32_e32 v19, 0
	;; [unrolled: 1-line block ×4, first 2 shown]
	s_waitcnt vmcnt(0) lgkmcnt(0)
	v_cmp_ne_u16_sdwa s8, v4, v7 src0_sel:BYTE_0 src1_sel:DWORD
	s_and_saveexec_b32 s19, s8
	s_cbranch_execz .LBB243_3115
; %bb.3108:                             ;   in Loop: Header=BB243_2086 Depth=1
	v_bfrev_b32_e32 v19, 1
	v_mov_b32_e32 v20, 0
	v_cmp_ne_u16_sdwa s8, v4, v75 src0_sel:BYTE_0 src1_sel:DWORD
	s_and_saveexec_b32 s21, s8
	s_cbranch_execz .LBB243_3114
; %bb.3109:                             ;   in Loop: Header=BB243_2086 Depth=1
	v_mov_b32_e32 v19, 0x7f800001
	v_and_b32_e32 v8, 0x7f, v4
	v_mov_b32_e32 v20, 0
	s_mov_b32 s22, exec_lo
	v_cmpx_ne_u32_e32 0x7f, v8
	s_cbranch_execz .LBB243_3113
; %bb.3110:                             ;   in Loop: Header=BB243_2086 Depth=1
	v_and_b32_e32 v6, 7, v4
	v_lshrrev_b32_e32 v5, 3, v8
	s_mov_b32 s23, exec_lo
	v_cmpx_gt_u32_e32 8, v8
; %bb.3111:                             ;   in Loop: Header=BB243_2086 Depth=1
	v_ffbh_u32_e32 v5, v6
	v_min_u32_e32 v5, 32, v5
	v_subrev_nc_u32_e32 v8, 28, v5
	v_sub_nc_u32_e32 v5, 29, v5
	v_lshlrev_b64 v[19:20], v8, v[6:7]
	v_and_b32_e32 v6, 7, v19
; %bb.3112:                             ;   in Loop: Header=BB243_2086 Depth=1
	s_or_b32 exec_lo, exec_lo, s23
	v_lshlrev_b32_e32 v8, 24, v4
	v_lshlrev_b32_e32 v6, 20, v6
	v_lshl_add_u32 v5, v5, 23, 0x3c000000
	v_and_b32_e32 v8, 0x80000000, v8
	v_or3_b32 v6, v6, v8, v5
	v_mov_b32_e32 v20, v7
	v_mov_b32_e32 v19, v6
.LBB243_3113:                           ;   in Loop: Header=BB243_2086 Depth=1
	s_or_b32 exec_lo, exec_lo, s22
.LBB243_3114:                           ;   in Loop: Header=BB243_2086 Depth=1
	s_or_b32 exec_lo, exec_lo, s21
.LBB243_3115:                           ;   in Loop: Header=BB243_2086 Depth=1
	s_or_b32 exec_lo, exec_lo, s19
	v_cmp_ne_u16_sdwa s8, v4, v7 src0_sel:BYTE_1 src1_sel:DWORD
	s_and_saveexec_b32 s19, s8
	s_cbranch_execz .LBB243_3123
; %bb.3116:                             ;   in Loop: Header=BB243_2086 Depth=1
	v_mov_b32_e32 v8, v7
	v_mov_b32_e32 v22, v9
	v_cmp_ne_u16_sdwa s8, v4, v75 src0_sel:BYTE_1 src1_sel:DWORD
	v_mov_b32_e32 v21, v8
	s_and_saveexec_b32 s21, s8
	s_cbranch_execz .LBB243_3122
; %bb.3117:                             ;   in Loop: Header=BB243_2086 Depth=1
	v_mov_b32_e32 v5, 0xffff
	v_mov_b32_e32 v10, v7
	;; [unrolled: 1-line block ×3, first 2 shown]
	s_mov_b32 s22, exec_lo
	v_and_b32_sdwa v5, v5, v4 dst_sel:DWORD dst_unused:UNUSED_PAD src0_sel:DWORD src1_sel:BYTE_1
	v_mov_b32_e32 v21, v10
	v_and_b32_e32 v8, 0x7f, v5
	v_cmpx_ne_u32_e32 0x7f, v8
	s_cbranch_execz .LBB243_3121
; %bb.3118:                             ;   in Loop: Header=BB243_2086 Depth=1
	v_and_b32_e32 v6, 7, v5
	v_lshrrev_b32_e32 v5, 3, v8
	s_mov_b32 s23, exec_lo
	v_cmpx_gt_u32_e32 8, v8
; %bb.3119:                             ;   in Loop: Header=BB243_2086 Depth=1
	v_ffbh_u32_e32 v5, v6
	v_min_u32_e32 v5, 32, v5
	v_subrev_nc_u32_e32 v8, 28, v5
	v_sub_nc_u32_e32 v5, 29, v5
	v_lshlrev_b64 v[21:22], v8, v[6:7]
	v_and_b32_e32 v6, 7, v21
; %bb.3120:                             ;   in Loop: Header=BB243_2086 Depth=1
	s_or_b32 exec_lo, exec_lo, s23
	v_lshlrev_b32_e32 v8, 16, v4
	v_lshlrev_b32_e32 v6, 20, v6
	v_lshl_add_u32 v5, v5, 23, 0x3c000000
	v_mov_b32_e32 v21, v7
	v_and_b32_e32 v8, 0x80000000, v8
	v_or3_b32 v22, v6, v8, v5
.LBB243_3121:                           ;   in Loop: Header=BB243_2086 Depth=1
	s_or_b32 exec_lo, exec_lo, s22
.LBB243_3122:                           ;   in Loop: Header=BB243_2086 Depth=1
	s_or_b32 exec_lo, exec_lo, s21
.LBB243_3123:                           ;   in Loop: Header=BB243_2086 Depth=1
	s_or_b32 exec_lo, exec_lo, s19
	v_mov_b32_e32 v23, 0
	v_mov_b32_e32 v25, 0
	v_and_b32_sdwa v5, v4, v77 dst_sel:DWORD dst_unused:UNUSED_PAD src0_sel:WORD_1 src1_sel:DWORD
	v_mov_b32_e32 v24, 0
	v_mov_b32_e32 v26, 0
	s_mov_b32 s19, exec_lo
	v_cmpx_ne_u16_e32 0, v5
	s_cbranch_execz .LBB243_3131
; %bb.3124:                             ;   in Loop: Header=BB243_2086 Depth=1
	v_bfrev_b32_e32 v25, 1
	v_mov_b32_e32 v26, 0
	s_mov_b32 s21, exec_lo
	v_cmpx_ne_u16_e32 0x80, v5
	s_cbranch_execz .LBB243_3130
; %bb.3125:                             ;   in Loop: Header=BB243_2086 Depth=1
	v_mov_b32_e32 v25, 0x7f800001
	v_bfe_u32 v8, v4, 16, 7
	v_mov_b32_e32 v26, 0
	s_mov_b32 s22, exec_lo
	v_cmpx_ne_u32_e32 0x7f, v8
	s_cbranch_execz .LBB243_3129
; %bb.3126:                             ;   in Loop: Header=BB243_2086 Depth=1
	v_and_b32_sdwa v6, v4, v30 dst_sel:DWORD dst_unused:UNUSED_PAD src0_sel:WORD_1 src1_sel:DWORD
	v_lshrrev_b32_e32 v5, 3, v8
	s_mov_b32 s23, exec_lo
	v_cmpx_gt_u32_e32 8, v8
; %bb.3127:                             ;   in Loop: Header=BB243_2086 Depth=1
	v_ffbh_u32_e32 v5, v6
	v_min_u32_e32 v5, 32, v5
	v_subrev_nc_u32_e32 v8, 28, v5
	v_sub_nc_u32_e32 v5, 29, v5
	v_lshlrev_b64 v[25:26], v8, v[6:7]
	v_and_b32_e32 v6, 7, v25
; %bb.3128:                             ;   in Loop: Header=BB243_2086 Depth=1
	s_or_b32 exec_lo, exec_lo, s23
	v_lshlrev_b32_sdwa v8, v79, v4 dst_sel:DWORD dst_unused:UNUSED_PAD src0_sel:DWORD src1_sel:WORD_1
	v_lshlrev_b32_e32 v6, 20, v6
	v_lshl_add_u32 v5, v5, 23, 0x3c000000
	v_and_b32_e32 v8, 0x80000000, v8
	v_or3_b32 v6, v6, v8, v5
	v_mov_b32_e32 v26, v7
	v_mov_b32_e32 v25, v6
.LBB243_3129:                           ;   in Loop: Header=BB243_2086 Depth=1
	s_or_b32 exec_lo, exec_lo, s22
.LBB243_3130:                           ;   in Loop: Header=BB243_2086 Depth=1
	s_or_b32 exec_lo, exec_lo, s21
.LBB243_3131:                           ;   in Loop: Header=BB243_2086 Depth=1
	s_or_b32 exec_lo, exec_lo, s19
	s_mov_b32 s19, exec_lo
	v_cmpx_lt_u32_e32 0xffffff, v4
	s_cbranch_execz .LBB243_3139
; %bb.3132:                             ;   in Loop: Header=BB243_2086 Depth=1
	v_mov_b32_e32 v8, v7
	v_mov_b32_e32 v24, v9
	v_cmp_ne_u32_sdwa s8, v4, v75 src0_sel:BYTE_3 src1_sel:DWORD
	v_mov_b32_e32 v23, v8
	s_and_saveexec_b32 s21, s8
	s_cbranch_execz .LBB243_3138
; %bb.3133:                             ;   in Loop: Header=BB243_2086 Depth=1
	v_mov_b32_e32 v10, v7
	v_mov_b32_e32 v24, v11
	v_bfe_u32 v8, v4, 24, 7
	s_mov_b32 s22, exec_lo
	v_mov_b32_e32 v23, v10
	v_cmpx_ne_u32_e32 0x7f, v8
	s_cbranch_execz .LBB243_3137
; %bb.3134:                             ;   in Loop: Header=BB243_2086 Depth=1
	v_and_b32_sdwa v6, v4, v30 dst_sel:DWORD dst_unused:UNUSED_PAD src0_sel:BYTE_3 src1_sel:DWORD
	v_lshrrev_b32_e32 v5, 3, v8
	s_mov_b32 s23, exec_lo
	v_cmpx_gt_u32_e32 8, v8
; %bb.3135:                             ;   in Loop: Header=BB243_2086 Depth=1
	v_ffbh_u32_e32 v5, v6
	v_min_u32_e32 v5, 32, v5
	v_subrev_nc_u32_e32 v8, 28, v5
	v_sub_nc_u32_e32 v5, 29, v5
	v_lshlrev_b64 v[23:24], v8, v[6:7]
	v_and_b32_e32 v6, 7, v23
; %bb.3136:                             ;   in Loop: Header=BB243_2086 Depth=1
	s_or_b32 exec_lo, exec_lo, s23
	v_lshlrev_b32_sdwa v4, v79, v4 dst_sel:DWORD dst_unused:UNUSED_PAD src0_sel:DWORD src1_sel:BYTE_3
	v_lshlrev_b32_e32 v6, 20, v6
	v_lshl_add_u32 v5, v5, 23, 0x3c000000
	v_mov_b32_e32 v23, v7
	v_and_b32_e32 v4, 0x80000000, v4
	v_or3_b32 v24, v6, v4, v5
.LBB243_3137:                           ;   in Loop: Header=BB243_2086 Depth=1
	s_or_b32 exec_lo, exec_lo, s22
.LBB243_3138:                           ;   in Loop: Header=BB243_2086 Depth=1
	s_or_b32 exec_lo, exec_lo, s21
.LBB243_3139:                           ;   in Loop: Header=BB243_2086 Depth=1
	s_or_b32 exec_lo, exec_lo, s19
	v_or_b32_e32 v4, v22, v20
	v_or_b32_e32 v5, v21, v19
	;; [unrolled: 1-line block ×4, first 2 shown]
	v_mul_f32_e32 v4, v106, v4
	buffer_store_dword v4, off, s[0:3], s32 offset:1220 ; 4-byte Folded Spill
	v_mul_f32_e32 v4, v106, v5
	buffer_store_dword v4, off, s[0:3], s32 offset:1212 ; 4-byte Folded Spill
	;; [unrolled: 2-line block ×4, first 2 shown]
	s_and_saveexec_b32 s8, vcc_lo
	s_cbranch_execz .LBB243_3141
; %bb.3140:                             ;   in Loop: Header=BB243_2086 Depth=1
	buffer_load_dword v4, off, s[0:3], s32 offset:1212 ; 4-byte Folded Reload
	s_waitcnt vmcnt(0)
	v_cndmask_b32_e64 v4, 0, v4, s4
	buffer_store_dword v4, off, s[0:3], s32 offset:1212 ; 4-byte Folded Spill
	buffer_load_dword v4, off, s[0:3], s32 offset:1220 ; 4-byte Folded Reload
	s_waitcnt vmcnt(0)
	v_cndmask_b32_e64 v4, 0, v4, s5
	buffer_store_dword v4, off, s[0:3], s32 offset:1220 ; 4-byte Folded Spill
	;; [unrolled: 4-line block ×4, first 2 shown]
.LBB243_3141:                           ;   in Loop: Header=BB243_2086 Depth=1
	s_or_b32 exec_lo, exec_lo, s8
	buffer_load_dword v4, off, s[0:3], s32 offset:1956 ; 4-byte Folded Reload
	v_mov_b32_e32 v21, 0
	v_mov_b32_e32 v19, 0
	;; [unrolled: 1-line block ×4, first 2 shown]
	s_waitcnt vmcnt(0)
	v_add_co_u32 v4, s8, v15, v4
	v_add_co_ci_u32_e64 v5, null, 0, v16, s8
	flat_load_dword v4, v[4:5]
	s_waitcnt vmcnt(0) lgkmcnt(0)
	v_cmp_ne_u16_sdwa s8, v4, v7 src0_sel:BYTE_0 src1_sel:DWORD
	s_and_saveexec_b32 s19, s8
	s_cbranch_execz .LBB243_3149
; %bb.3142:                             ;   in Loop: Header=BB243_2086 Depth=1
	v_bfrev_b32_e32 v19, 1
	v_mov_b32_e32 v20, 0
	v_cmp_ne_u16_sdwa s8, v4, v75 src0_sel:BYTE_0 src1_sel:DWORD
	s_and_saveexec_b32 s21, s8
	s_cbranch_execz .LBB243_3148
; %bb.3143:                             ;   in Loop: Header=BB243_2086 Depth=1
	v_mov_b32_e32 v19, 0x7f800001
	v_and_b32_e32 v8, 0x7f, v4
	v_mov_b32_e32 v20, 0
	s_mov_b32 s22, exec_lo
	v_cmpx_ne_u32_e32 0x7f, v8
	s_cbranch_execz .LBB243_3147
; %bb.3144:                             ;   in Loop: Header=BB243_2086 Depth=1
	v_and_b32_e32 v6, 7, v4
	v_lshrrev_b32_e32 v5, 3, v8
	s_mov_b32 s23, exec_lo
	v_cmpx_gt_u32_e32 8, v8
; %bb.3145:                             ;   in Loop: Header=BB243_2086 Depth=1
	v_ffbh_u32_e32 v5, v6
	v_min_u32_e32 v5, 32, v5
	v_subrev_nc_u32_e32 v8, 28, v5
	v_sub_nc_u32_e32 v5, 29, v5
	v_lshlrev_b64 v[19:20], v8, v[6:7]
	v_and_b32_e32 v6, 7, v19
; %bb.3146:                             ;   in Loop: Header=BB243_2086 Depth=1
	s_or_b32 exec_lo, exec_lo, s23
	v_lshlrev_b32_e32 v8, 24, v4
	v_lshlrev_b32_e32 v6, 20, v6
	v_lshl_add_u32 v5, v5, 23, 0x3c000000
	v_and_b32_e32 v8, 0x80000000, v8
	v_or3_b32 v6, v6, v8, v5
	v_mov_b32_e32 v20, v7
	v_mov_b32_e32 v19, v6
.LBB243_3147:                           ;   in Loop: Header=BB243_2086 Depth=1
	s_or_b32 exec_lo, exec_lo, s22
.LBB243_3148:                           ;   in Loop: Header=BB243_2086 Depth=1
	s_or_b32 exec_lo, exec_lo, s21
.LBB243_3149:                           ;   in Loop: Header=BB243_2086 Depth=1
	s_or_b32 exec_lo, exec_lo, s19
	v_cmp_ne_u16_sdwa s8, v4, v7 src0_sel:BYTE_1 src1_sel:DWORD
	s_and_saveexec_b32 s19, s8
	s_cbranch_execz .LBB243_3157
; %bb.3150:                             ;   in Loop: Header=BB243_2086 Depth=1
	v_mov_b32_e32 v8, v7
	v_mov_b32_e32 v22, v9
	v_cmp_ne_u16_sdwa s8, v4, v75 src0_sel:BYTE_1 src1_sel:DWORD
	v_mov_b32_e32 v21, v8
	s_and_saveexec_b32 s21, s8
	s_cbranch_execz .LBB243_3156
; %bb.3151:                             ;   in Loop: Header=BB243_2086 Depth=1
	v_mov_b32_e32 v5, 0xffff
	v_mov_b32_e32 v10, v7
	;; [unrolled: 1-line block ×3, first 2 shown]
	s_mov_b32 s22, exec_lo
	v_and_b32_sdwa v5, v5, v4 dst_sel:DWORD dst_unused:UNUSED_PAD src0_sel:DWORD src1_sel:BYTE_1
	v_mov_b32_e32 v21, v10
	v_and_b32_e32 v8, 0x7f, v5
	v_cmpx_ne_u32_e32 0x7f, v8
	s_cbranch_execz .LBB243_3155
; %bb.3152:                             ;   in Loop: Header=BB243_2086 Depth=1
	v_and_b32_e32 v6, 7, v5
	v_mov_b32_e32 v22, v7
	v_lshrrev_b32_e32 v5, 3, v8
	s_mov_b32 s23, exec_lo
	v_mov_b32_e32 v21, v6
	v_cmpx_gt_u32_e32 8, v8
; %bb.3153:                             ;   in Loop: Header=BB243_2086 Depth=1
	v_ffbh_u32_e32 v5, v6
	v_min_u32_e32 v5, 32, v5
	v_subrev_nc_u32_e32 v8, 28, v5
	v_sub_nc_u32_e32 v5, 29, v5
	v_lshlrev_b64 v[21:22], v8, v[6:7]
	v_and_b32_e32 v21, 7, v21
; %bb.3154:                             ;   in Loop: Header=BB243_2086 Depth=1
	s_or_b32 exec_lo, exec_lo, s23
	v_lshlrev_b32_e32 v6, 16, v4
	v_lshlrev_b32_e32 v8, 20, v21
	v_lshl_add_u32 v5, v5, 23, 0x3c000000
	v_mov_b32_e32 v21, v7
	v_and_b32_e32 v6, 0x80000000, v6
	v_or3_b32 v22, v8, v6, v5
.LBB243_3155:                           ;   in Loop: Header=BB243_2086 Depth=1
	s_or_b32 exec_lo, exec_lo, s22
.LBB243_3156:                           ;   in Loop: Header=BB243_2086 Depth=1
	s_or_b32 exec_lo, exec_lo, s21
.LBB243_3157:                           ;   in Loop: Header=BB243_2086 Depth=1
	s_or_b32 exec_lo, exec_lo, s19
	v_mov_b32_e32 v23, 0
	v_mov_b32_e32 v25, 0
	v_and_b32_sdwa v5, v4, v77 dst_sel:DWORD dst_unused:UNUSED_PAD src0_sel:WORD_1 src1_sel:DWORD
	v_mov_b32_e32 v24, 0
	v_mov_b32_e32 v26, 0
	s_mov_b32 s19, exec_lo
	v_cmpx_ne_u16_e32 0, v5
	s_cbranch_execz .LBB243_3165
; %bb.3158:                             ;   in Loop: Header=BB243_2086 Depth=1
	v_bfrev_b32_e32 v25, 1
	v_mov_b32_e32 v26, 0
	s_mov_b32 s21, exec_lo
	v_cmpx_ne_u16_e32 0x80, v5
	s_cbranch_execz .LBB243_3164
; %bb.3159:                             ;   in Loop: Header=BB243_2086 Depth=1
	v_mov_b32_e32 v25, 0x7f800001
	v_bfe_u32 v8, v4, 16, 7
	v_mov_b32_e32 v26, 0
	s_mov_b32 s22, exec_lo
	v_cmpx_ne_u32_e32 0x7f, v8
	s_cbranch_execz .LBB243_3163
; %bb.3160:                             ;   in Loop: Header=BB243_2086 Depth=1
	v_and_b32_sdwa v6, v4, v30 dst_sel:DWORD dst_unused:UNUSED_PAD src0_sel:WORD_1 src1_sel:DWORD
	v_mov_b32_e32 v26, v7
	v_lshrrev_b32_e32 v5, 3, v8
	s_mov_b32 s23, exec_lo
	v_mov_b32_e32 v25, v6
	v_cmpx_gt_u32_e32 8, v8
; %bb.3161:                             ;   in Loop: Header=BB243_2086 Depth=1
	v_ffbh_u32_e32 v5, v6
	v_min_u32_e32 v5, 32, v5
	v_subrev_nc_u32_e32 v8, 28, v5
	v_sub_nc_u32_e32 v5, 29, v5
	v_lshlrev_b64 v[25:26], v8, v[6:7]
	v_and_b32_e32 v25, 7, v25
; %bb.3162:                             ;   in Loop: Header=BB243_2086 Depth=1
	s_or_b32 exec_lo, exec_lo, s23
	v_lshlrev_b32_sdwa v6, v79, v4 dst_sel:DWORD dst_unused:UNUSED_PAD src0_sel:DWORD src1_sel:WORD_1
	v_lshlrev_b32_e32 v8, 20, v25
	v_lshl_add_u32 v5, v5, 23, 0x3c000000
	v_and_b32_e32 v6, 0x80000000, v6
	v_or3_b32 v6, v8, v6, v5
	v_mov_b32_e32 v26, v7
	v_mov_b32_e32 v25, v6
.LBB243_3163:                           ;   in Loop: Header=BB243_2086 Depth=1
	s_or_b32 exec_lo, exec_lo, s22
.LBB243_3164:                           ;   in Loop: Header=BB243_2086 Depth=1
	s_or_b32 exec_lo, exec_lo, s21
.LBB243_3165:                           ;   in Loop: Header=BB243_2086 Depth=1
	s_or_b32 exec_lo, exec_lo, s19
	s_mov_b32 s19, exec_lo
	v_cmpx_lt_u32_e32 0xffffff, v4
	s_cbranch_execz .LBB243_3173
; %bb.3166:                             ;   in Loop: Header=BB243_2086 Depth=1
	v_mov_b32_e32 v8, v7
	v_mov_b32_e32 v24, v9
	v_cmp_ne_u32_sdwa s8, v4, v75 src0_sel:BYTE_3 src1_sel:DWORD
	v_mov_b32_e32 v23, v8
	s_and_saveexec_b32 s21, s8
	s_cbranch_execz .LBB243_3172
; %bb.3167:                             ;   in Loop: Header=BB243_2086 Depth=1
	v_mov_b32_e32 v10, v7
	v_mov_b32_e32 v24, v11
	v_bfe_u32 v8, v4, 24, 7
	s_mov_b32 s22, exec_lo
	v_mov_b32_e32 v23, v10
	v_cmpx_ne_u32_e32 0x7f, v8
	s_cbranch_execz .LBB243_3171
; %bb.3168:                             ;   in Loop: Header=BB243_2086 Depth=1
	v_and_b32_sdwa v6, v4, v30 dst_sel:DWORD dst_unused:UNUSED_PAD src0_sel:BYTE_3 src1_sel:DWORD
	v_mov_b32_e32 v24, v7
	v_lshrrev_b32_e32 v5, 3, v8
	s_mov_b32 s23, exec_lo
	v_mov_b32_e32 v23, v6
	v_cmpx_gt_u32_e32 8, v8
; %bb.3169:                             ;   in Loop: Header=BB243_2086 Depth=1
	v_ffbh_u32_e32 v5, v6
	v_min_u32_e32 v5, 32, v5
	v_subrev_nc_u32_e32 v8, 28, v5
	v_sub_nc_u32_e32 v5, 29, v5
	v_lshlrev_b64 v[23:24], v8, v[6:7]
	v_and_b32_e32 v23, 7, v23
; %bb.3170:                             ;   in Loop: Header=BB243_2086 Depth=1
	s_or_b32 exec_lo, exec_lo, s23
	v_lshlrev_b32_sdwa v4, v79, v4 dst_sel:DWORD dst_unused:UNUSED_PAD src0_sel:DWORD src1_sel:BYTE_3
	v_lshlrev_b32_e32 v6, 20, v23
	v_lshl_add_u32 v5, v5, 23, 0x3c000000
	v_mov_b32_e32 v23, v7
	v_and_b32_e32 v4, 0x80000000, v4
	v_or3_b32 v24, v6, v4, v5
.LBB243_3171:                           ;   in Loop: Header=BB243_2086 Depth=1
	s_or_b32 exec_lo, exec_lo, s22
.LBB243_3172:                           ;   in Loop: Header=BB243_2086 Depth=1
	s_or_b32 exec_lo, exec_lo, s21
.LBB243_3173:                           ;   in Loop: Header=BB243_2086 Depth=1
	s_or_b32 exec_lo, exec_lo, s19
	v_or_b32_e32 v4, v22, v20
	v_or_b32_e32 v5, v21, v19
	;; [unrolled: 1-line block ×4, first 2 shown]
	v_mul_f32_e32 v4, v106, v4
	buffer_store_dword v4, off, s[0:3], s32 offset:1252 ; 4-byte Folded Spill
	v_mul_f32_e32 v4, v106, v5
	buffer_store_dword v4, off, s[0:3], s32 offset:1244 ; 4-byte Folded Spill
	;; [unrolled: 2-line block ×4, first 2 shown]
	s_and_saveexec_b32 s8, vcc_lo
	s_cbranch_execz .LBB243_3175
; %bb.3174:                             ;   in Loop: Header=BB243_2086 Depth=1
	buffer_load_dword v4, off, s[0:3], s32 offset:1244 ; 4-byte Folded Reload
	s_waitcnt vmcnt(0)
	v_cndmask_b32_e64 v4, 0, v4, s4
	buffer_store_dword v4, off, s[0:3], s32 offset:1244 ; 4-byte Folded Spill
	buffer_load_dword v4, off, s[0:3], s32 offset:1252 ; 4-byte Folded Reload
	s_waitcnt vmcnt(0)
	v_cndmask_b32_e64 v4, 0, v4, s5
	buffer_store_dword v4, off, s[0:3], s32 offset:1252 ; 4-byte Folded Spill
	buffer_load_dword v4, off, s[0:3], s32 offset:1236 ; 4-byte Folded Reload
	s_waitcnt vmcnt(0)
	v_cndmask_b32_e64 v4, 0, v4, s6
	buffer_store_dword v4, off, s[0:3], s32 offset:1236 ; 4-byte Folded Spill
	buffer_load_dword v4, off, s[0:3], s32 offset:1228 ; 4-byte Folded Reload
	s_waitcnt vmcnt(0)
	v_cndmask_b32_e64 v4, 0, v4, s7
	buffer_store_dword v4, off, s[0:3], s32 offset:1228 ; 4-byte Folded Spill
.LBB243_3175:                           ;   in Loop: Header=BB243_2086 Depth=1
	s_or_b32 exec_lo, exec_lo, s8
	v_add_co_u32 v19, s8, 0x1000, v17
	v_add_co_ci_u32_e64 v20, null, 0, v18, s8
	v_mov_b32_e32 v23, 0
	v_mov_b32_e32 v21, 0
	;; [unrolled: 1-line block ×3, first 2 shown]
	flat_load_dword v4, v[19:20]
	v_mov_b32_e32 v22, 0
	s_waitcnt vmcnt(0) lgkmcnt(0)
	v_cmp_ne_u16_sdwa s8, v4, v7 src0_sel:BYTE_0 src1_sel:DWORD
	s_and_saveexec_b32 s19, s8
	s_cbranch_execz .LBB243_3183
; %bb.3176:                             ;   in Loop: Header=BB243_2086 Depth=1
	v_bfrev_b32_e32 v21, 1
	v_mov_b32_e32 v22, 0
	v_cmp_ne_u16_sdwa s8, v4, v75 src0_sel:BYTE_0 src1_sel:DWORD
	s_and_saveexec_b32 s21, s8
	s_cbranch_execz .LBB243_3182
; %bb.3177:                             ;   in Loop: Header=BB243_2086 Depth=1
	v_mov_b32_e32 v21, 0x7f800001
	v_and_b32_e32 v8, 0x7f, v4
	v_mov_b32_e32 v22, 0
	s_mov_b32 s22, exec_lo
	v_cmpx_ne_u32_e32 0x7f, v8
	s_cbranch_execz .LBB243_3181
; %bb.3178:                             ;   in Loop: Header=BB243_2086 Depth=1
	v_and_b32_e32 v6, 7, v4
	v_mov_b32_e32 v22, v7
	v_lshrrev_b32_e32 v5, 3, v8
	s_mov_b32 s23, exec_lo
	v_mov_b32_e32 v21, v6
	v_cmpx_gt_u32_e32 8, v8
; %bb.3179:                             ;   in Loop: Header=BB243_2086 Depth=1
	v_ffbh_u32_e32 v5, v6
	v_min_u32_e32 v5, 32, v5
	v_subrev_nc_u32_e32 v8, 28, v5
	v_sub_nc_u32_e32 v5, 29, v5
	v_lshlrev_b64 v[21:22], v8, v[6:7]
	v_and_b32_e32 v21, 7, v21
; %bb.3180:                             ;   in Loop: Header=BB243_2086 Depth=1
	s_or_b32 exec_lo, exec_lo, s23
	v_lshlrev_b32_e32 v6, 24, v4
	v_lshlrev_b32_e32 v8, 20, v21
	v_lshl_add_u32 v5, v5, 23, 0x3c000000
	v_and_b32_e32 v6, 0x80000000, v6
	v_or3_b32 v6, v8, v6, v5
	v_mov_b32_e32 v22, v7
	v_mov_b32_e32 v21, v6
.LBB243_3181:                           ;   in Loop: Header=BB243_2086 Depth=1
	s_or_b32 exec_lo, exec_lo, s22
.LBB243_3182:                           ;   in Loop: Header=BB243_2086 Depth=1
	s_or_b32 exec_lo, exec_lo, s21
.LBB243_3183:                           ;   in Loop: Header=BB243_2086 Depth=1
	s_or_b32 exec_lo, exec_lo, s19
	v_cmp_ne_u16_sdwa s8, v4, v7 src0_sel:BYTE_1 src1_sel:DWORD
	s_and_saveexec_b32 s19, s8
	s_cbranch_execz .LBB243_3191
; %bb.3184:                             ;   in Loop: Header=BB243_2086 Depth=1
	v_mov_b32_e32 v8, v7
	v_mov_b32_e32 v24, v9
	v_cmp_ne_u16_sdwa s8, v4, v75 src0_sel:BYTE_1 src1_sel:DWORD
	v_mov_b32_e32 v23, v8
	s_and_saveexec_b32 s21, s8
	s_cbranch_execz .LBB243_3190
; %bb.3185:                             ;   in Loop: Header=BB243_2086 Depth=1
	v_mov_b32_e32 v5, 0xffff
	v_mov_b32_e32 v10, v7
	;; [unrolled: 1-line block ×3, first 2 shown]
	s_mov_b32 s22, exec_lo
	v_and_b32_sdwa v5, v5, v4 dst_sel:DWORD dst_unused:UNUSED_PAD src0_sel:DWORD src1_sel:BYTE_1
	v_mov_b32_e32 v23, v10
	v_and_b32_e32 v8, 0x7f, v5
	v_cmpx_ne_u32_e32 0x7f, v8
	s_cbranch_execz .LBB243_3189
; %bb.3186:                             ;   in Loop: Header=BB243_2086 Depth=1
	v_and_b32_e32 v6, 7, v5
	v_mov_b32_e32 v24, v7
	v_lshrrev_b32_e32 v5, 3, v8
	s_mov_b32 s23, exec_lo
	v_mov_b32_e32 v23, v6
	v_cmpx_gt_u32_e32 8, v8
; %bb.3187:                             ;   in Loop: Header=BB243_2086 Depth=1
	v_ffbh_u32_e32 v5, v6
	v_min_u32_e32 v5, 32, v5
	v_subrev_nc_u32_e32 v8, 28, v5
	v_sub_nc_u32_e32 v5, 29, v5
	v_lshlrev_b64 v[23:24], v8, v[6:7]
	v_and_b32_e32 v23, 7, v23
; %bb.3188:                             ;   in Loop: Header=BB243_2086 Depth=1
	s_or_b32 exec_lo, exec_lo, s23
	v_lshlrev_b32_e32 v6, 16, v4
	v_lshlrev_b32_e32 v8, 20, v23
	v_lshl_add_u32 v5, v5, 23, 0x3c000000
	v_mov_b32_e32 v23, v7
	v_and_b32_e32 v6, 0x80000000, v6
	v_or3_b32 v24, v8, v6, v5
.LBB243_3189:                           ;   in Loop: Header=BB243_2086 Depth=1
	s_or_b32 exec_lo, exec_lo, s22
.LBB243_3190:                           ;   in Loop: Header=BB243_2086 Depth=1
	s_or_b32 exec_lo, exec_lo, s21
.LBB243_3191:                           ;   in Loop: Header=BB243_2086 Depth=1
	s_or_b32 exec_lo, exec_lo, s19
	v_mov_b32_e32 v25, 0
	v_mov_b32_e32 v27, 0
	v_and_b32_sdwa v5, v4, v77 dst_sel:DWORD dst_unused:UNUSED_PAD src0_sel:WORD_1 src1_sel:DWORD
	v_mov_b32_e32 v26, 0
	v_mov_b32_e32 v28, 0
	s_mov_b32 s19, exec_lo
	v_cmpx_ne_u16_e32 0, v5
	s_cbranch_execz .LBB243_3199
; %bb.3192:                             ;   in Loop: Header=BB243_2086 Depth=1
	v_bfrev_b32_e32 v27, 1
	v_mov_b32_e32 v28, 0
	s_mov_b32 s21, exec_lo
	v_cmpx_ne_u16_e32 0x80, v5
	s_cbranch_execz .LBB243_3198
; %bb.3193:                             ;   in Loop: Header=BB243_2086 Depth=1
	v_mov_b32_e32 v27, 0x7f800001
	v_bfe_u32 v8, v4, 16, 7
	v_mov_b32_e32 v28, 0
	s_mov_b32 s22, exec_lo
	v_cmpx_ne_u32_e32 0x7f, v8
	s_cbranch_execz .LBB243_3197
; %bb.3194:                             ;   in Loop: Header=BB243_2086 Depth=1
	v_and_b32_sdwa v6, v4, v30 dst_sel:DWORD dst_unused:UNUSED_PAD src0_sel:WORD_1 src1_sel:DWORD
	v_mov_b32_e32 v28, v7
	v_lshrrev_b32_e32 v5, 3, v8
	s_mov_b32 s23, exec_lo
	v_mov_b32_e32 v27, v6
	v_cmpx_gt_u32_e32 8, v8
; %bb.3195:                             ;   in Loop: Header=BB243_2086 Depth=1
	v_ffbh_u32_e32 v5, v6
	v_min_u32_e32 v5, 32, v5
	v_subrev_nc_u32_e32 v8, 28, v5
	v_sub_nc_u32_e32 v5, 29, v5
	v_lshlrev_b64 v[27:28], v8, v[6:7]
	v_and_b32_e32 v27, 7, v27
; %bb.3196:                             ;   in Loop: Header=BB243_2086 Depth=1
	s_or_b32 exec_lo, exec_lo, s23
	v_lshlrev_b32_sdwa v6, v79, v4 dst_sel:DWORD dst_unused:UNUSED_PAD src0_sel:DWORD src1_sel:WORD_1
	v_lshlrev_b32_e32 v8, 20, v27
	v_lshl_add_u32 v5, v5, 23, 0x3c000000
	v_and_b32_e32 v6, 0x80000000, v6
	v_or3_b32 v6, v8, v6, v5
	v_mov_b32_e32 v28, v7
	v_mov_b32_e32 v27, v6
.LBB243_3197:                           ;   in Loop: Header=BB243_2086 Depth=1
	s_or_b32 exec_lo, exec_lo, s22
.LBB243_3198:                           ;   in Loop: Header=BB243_2086 Depth=1
	s_or_b32 exec_lo, exec_lo, s21
.LBB243_3199:                           ;   in Loop: Header=BB243_2086 Depth=1
	s_or_b32 exec_lo, exec_lo, s19
	s_mov_b32 s19, exec_lo
	v_cmpx_lt_u32_e32 0xffffff, v4
	s_cbranch_execz .LBB243_3207
; %bb.3200:                             ;   in Loop: Header=BB243_2086 Depth=1
	v_mov_b32_e32 v8, v7
	v_mov_b32_e32 v26, v9
	v_cmp_ne_u32_sdwa s8, v4, v75 src0_sel:BYTE_3 src1_sel:DWORD
	v_mov_b32_e32 v25, v8
	s_and_saveexec_b32 s21, s8
	s_cbranch_execz .LBB243_3206
; %bb.3201:                             ;   in Loop: Header=BB243_2086 Depth=1
	v_mov_b32_e32 v10, v7
	v_mov_b32_e32 v26, v11
	v_bfe_u32 v8, v4, 24, 7
	s_mov_b32 s22, exec_lo
	v_mov_b32_e32 v25, v10
	v_cmpx_ne_u32_e32 0x7f, v8
	s_cbranch_execz .LBB243_3205
; %bb.3202:                             ;   in Loop: Header=BB243_2086 Depth=1
	v_and_b32_sdwa v6, v4, v30 dst_sel:DWORD dst_unused:UNUSED_PAD src0_sel:BYTE_3 src1_sel:DWORD
	v_mov_b32_e32 v26, v7
	v_lshrrev_b32_e32 v5, 3, v8
	s_mov_b32 s23, exec_lo
	v_mov_b32_e32 v25, v6
	v_cmpx_gt_u32_e32 8, v8
; %bb.3203:                             ;   in Loop: Header=BB243_2086 Depth=1
	v_ffbh_u32_e32 v5, v6
	v_min_u32_e32 v5, 32, v5
	v_subrev_nc_u32_e32 v8, 28, v5
	v_sub_nc_u32_e32 v5, 29, v5
	v_lshlrev_b64 v[25:26], v8, v[6:7]
	v_and_b32_e32 v25, 7, v25
; %bb.3204:                             ;   in Loop: Header=BB243_2086 Depth=1
	s_or_b32 exec_lo, exec_lo, s23
	v_lshlrev_b32_sdwa v4, v79, v4 dst_sel:DWORD dst_unused:UNUSED_PAD src0_sel:DWORD src1_sel:BYTE_3
	v_lshlrev_b32_e32 v6, 20, v25
	v_lshl_add_u32 v5, v5, 23, 0x3c000000
	v_mov_b32_e32 v25, v7
	v_and_b32_e32 v4, 0x80000000, v4
	v_or3_b32 v26, v6, v4, v5
.LBB243_3205:                           ;   in Loop: Header=BB243_2086 Depth=1
	s_or_b32 exec_lo, exec_lo, s22
.LBB243_3206:                           ;   in Loop: Header=BB243_2086 Depth=1
	s_or_b32 exec_lo, exec_lo, s21
.LBB243_3207:                           ;   in Loop: Header=BB243_2086 Depth=1
	s_or_b32 exec_lo, exec_lo, s19
	v_or_b32_e32 v4, v24, v22
	v_or_b32_e32 v5, v23, v21
	;; [unrolled: 1-line block ×4, first 2 shown]
	v_mul_f32_e32 v4, v106, v4
	buffer_store_dword v4, off, s[0:3], s32 offset:1284 ; 4-byte Folded Spill
	v_mul_f32_e32 v4, v106, v5
	buffer_store_dword v4, off, s[0:3], s32 offset:1276 ; 4-byte Folded Spill
	;; [unrolled: 2-line block ×4, first 2 shown]
	s_and_saveexec_b32 s8, vcc_lo
	s_cbranch_execz .LBB243_3209
; %bb.3208:                             ;   in Loop: Header=BB243_2086 Depth=1
	buffer_load_dword v4, off, s[0:3], s32 offset:1276 ; 4-byte Folded Reload
	s_waitcnt vmcnt(0)
	v_cndmask_b32_e64 v4, 0, v4, s4
	buffer_store_dword v4, off, s[0:3], s32 offset:1276 ; 4-byte Folded Spill
	buffer_load_dword v4, off, s[0:3], s32 offset:1284 ; 4-byte Folded Reload
	s_waitcnt vmcnt(0)
	v_cndmask_b32_e64 v4, 0, v4, s5
	buffer_store_dword v4, off, s[0:3], s32 offset:1284 ; 4-byte Folded Spill
	;; [unrolled: 4-line block ×4, first 2 shown]
.LBB243_3209:                           ;   in Loop: Header=BB243_2086 Depth=1
	s_or_b32 exec_lo, exec_lo, s8
	flat_load_dword v4, v[19:20] offset:128
	v_mov_b32_e32 v23, 0
	v_mov_b32_e32 v21, 0
	;; [unrolled: 1-line block ×4, first 2 shown]
	s_waitcnt vmcnt(0) lgkmcnt(0)
	v_cmp_ne_u16_sdwa s8, v4, v7 src0_sel:BYTE_0 src1_sel:DWORD
	s_and_saveexec_b32 s19, s8
	s_cbranch_execz .LBB243_3217
; %bb.3210:                             ;   in Loop: Header=BB243_2086 Depth=1
	v_bfrev_b32_e32 v21, 1
	v_mov_b32_e32 v22, 0
	v_cmp_ne_u16_sdwa s8, v4, v75 src0_sel:BYTE_0 src1_sel:DWORD
	s_and_saveexec_b32 s21, s8
	s_cbranch_execz .LBB243_3216
; %bb.3211:                             ;   in Loop: Header=BB243_2086 Depth=1
	v_mov_b32_e32 v21, 0x7f800001
	v_and_b32_e32 v8, 0x7f, v4
	v_mov_b32_e32 v22, 0
	s_mov_b32 s22, exec_lo
	v_cmpx_ne_u32_e32 0x7f, v8
	s_cbranch_execz .LBB243_3215
; %bb.3212:                             ;   in Loop: Header=BB243_2086 Depth=1
	v_and_b32_e32 v6, 7, v4
	v_mov_b32_e32 v22, v7
	v_lshrrev_b32_e32 v5, 3, v8
	s_mov_b32 s23, exec_lo
	v_mov_b32_e32 v21, v6
	v_cmpx_gt_u32_e32 8, v8
; %bb.3213:                             ;   in Loop: Header=BB243_2086 Depth=1
	v_ffbh_u32_e32 v5, v6
	v_min_u32_e32 v5, 32, v5
	v_subrev_nc_u32_e32 v8, 28, v5
	v_sub_nc_u32_e32 v5, 29, v5
	v_lshlrev_b64 v[21:22], v8, v[6:7]
	v_and_b32_e32 v21, 7, v21
; %bb.3214:                             ;   in Loop: Header=BB243_2086 Depth=1
	s_or_b32 exec_lo, exec_lo, s23
	v_lshlrev_b32_e32 v6, 24, v4
	v_lshlrev_b32_e32 v8, 20, v21
	v_lshl_add_u32 v5, v5, 23, 0x3c000000
	v_and_b32_e32 v6, 0x80000000, v6
	v_or3_b32 v6, v8, v6, v5
	v_mov_b32_e32 v22, v7
	v_mov_b32_e32 v21, v6
.LBB243_3215:                           ;   in Loop: Header=BB243_2086 Depth=1
	s_or_b32 exec_lo, exec_lo, s22
.LBB243_3216:                           ;   in Loop: Header=BB243_2086 Depth=1
	s_or_b32 exec_lo, exec_lo, s21
.LBB243_3217:                           ;   in Loop: Header=BB243_2086 Depth=1
	s_or_b32 exec_lo, exec_lo, s19
	v_cmp_ne_u16_sdwa s8, v4, v7 src0_sel:BYTE_1 src1_sel:DWORD
	s_and_saveexec_b32 s19, s8
	s_cbranch_execz .LBB243_3225
; %bb.3218:                             ;   in Loop: Header=BB243_2086 Depth=1
	v_mov_b32_e32 v8, v7
	v_mov_b32_e32 v24, v9
	v_cmp_ne_u16_sdwa s8, v4, v75 src0_sel:BYTE_1 src1_sel:DWORD
	v_mov_b32_e32 v23, v8
	s_and_saveexec_b32 s21, s8
	s_cbranch_execz .LBB243_3224
; %bb.3219:                             ;   in Loop: Header=BB243_2086 Depth=1
	v_mov_b32_e32 v5, 0xffff
	v_mov_b32_e32 v10, v7
	;; [unrolled: 1-line block ×3, first 2 shown]
	s_mov_b32 s22, exec_lo
	v_and_b32_sdwa v5, v5, v4 dst_sel:DWORD dst_unused:UNUSED_PAD src0_sel:DWORD src1_sel:BYTE_1
	v_mov_b32_e32 v23, v10
	v_and_b32_e32 v8, 0x7f, v5
	v_cmpx_ne_u32_e32 0x7f, v8
	s_cbranch_execz .LBB243_3223
; %bb.3220:                             ;   in Loop: Header=BB243_2086 Depth=1
	v_and_b32_e32 v6, 7, v5
	v_mov_b32_e32 v24, v7
	v_lshrrev_b32_e32 v5, 3, v8
	s_mov_b32 s23, exec_lo
	v_mov_b32_e32 v23, v6
	v_cmpx_gt_u32_e32 8, v8
; %bb.3221:                             ;   in Loop: Header=BB243_2086 Depth=1
	v_ffbh_u32_e32 v5, v6
	v_min_u32_e32 v5, 32, v5
	v_subrev_nc_u32_e32 v8, 28, v5
	v_sub_nc_u32_e32 v5, 29, v5
	v_lshlrev_b64 v[23:24], v8, v[6:7]
	v_and_b32_e32 v23, 7, v23
; %bb.3222:                             ;   in Loop: Header=BB243_2086 Depth=1
	s_or_b32 exec_lo, exec_lo, s23
	v_lshlrev_b32_e32 v6, 16, v4
	v_lshlrev_b32_e32 v8, 20, v23
	v_lshl_add_u32 v5, v5, 23, 0x3c000000
	v_mov_b32_e32 v23, v7
	v_and_b32_e32 v6, 0x80000000, v6
	v_or3_b32 v24, v8, v6, v5
.LBB243_3223:                           ;   in Loop: Header=BB243_2086 Depth=1
	s_or_b32 exec_lo, exec_lo, s22
.LBB243_3224:                           ;   in Loop: Header=BB243_2086 Depth=1
	s_or_b32 exec_lo, exec_lo, s21
.LBB243_3225:                           ;   in Loop: Header=BB243_2086 Depth=1
	s_or_b32 exec_lo, exec_lo, s19
	v_mov_b32_e32 v25, 0
	v_mov_b32_e32 v27, 0
	v_and_b32_sdwa v5, v4, v77 dst_sel:DWORD dst_unused:UNUSED_PAD src0_sel:WORD_1 src1_sel:DWORD
	v_mov_b32_e32 v26, 0
	v_mov_b32_e32 v28, 0
	s_mov_b32 s19, exec_lo
	v_cmpx_ne_u16_e32 0, v5
	s_cbranch_execz .LBB243_3233
; %bb.3226:                             ;   in Loop: Header=BB243_2086 Depth=1
	v_bfrev_b32_e32 v27, 1
	v_mov_b32_e32 v28, 0
	s_mov_b32 s21, exec_lo
	v_cmpx_ne_u16_e32 0x80, v5
	s_cbranch_execz .LBB243_3232
; %bb.3227:                             ;   in Loop: Header=BB243_2086 Depth=1
	v_mov_b32_e32 v27, 0x7f800001
	v_bfe_u32 v8, v4, 16, 7
	v_mov_b32_e32 v28, 0
	s_mov_b32 s22, exec_lo
	v_cmpx_ne_u32_e32 0x7f, v8
	s_cbranch_execz .LBB243_3231
; %bb.3228:                             ;   in Loop: Header=BB243_2086 Depth=1
	v_and_b32_sdwa v6, v4, v30 dst_sel:DWORD dst_unused:UNUSED_PAD src0_sel:WORD_1 src1_sel:DWORD
	v_mov_b32_e32 v28, v7
	v_lshrrev_b32_e32 v5, 3, v8
	s_mov_b32 s23, exec_lo
	v_mov_b32_e32 v27, v6
	v_cmpx_gt_u32_e32 8, v8
; %bb.3229:                             ;   in Loop: Header=BB243_2086 Depth=1
	v_ffbh_u32_e32 v5, v6
	v_min_u32_e32 v5, 32, v5
	v_subrev_nc_u32_e32 v8, 28, v5
	v_sub_nc_u32_e32 v5, 29, v5
	v_lshlrev_b64 v[27:28], v8, v[6:7]
	v_and_b32_e32 v27, 7, v27
; %bb.3230:                             ;   in Loop: Header=BB243_2086 Depth=1
	s_or_b32 exec_lo, exec_lo, s23
	v_lshlrev_b32_sdwa v6, v79, v4 dst_sel:DWORD dst_unused:UNUSED_PAD src0_sel:DWORD src1_sel:WORD_1
	v_lshlrev_b32_e32 v8, 20, v27
	v_lshl_add_u32 v5, v5, 23, 0x3c000000
	v_and_b32_e32 v6, 0x80000000, v6
	v_or3_b32 v6, v8, v6, v5
	v_mov_b32_e32 v28, v7
	v_mov_b32_e32 v27, v6
.LBB243_3231:                           ;   in Loop: Header=BB243_2086 Depth=1
	s_or_b32 exec_lo, exec_lo, s22
.LBB243_3232:                           ;   in Loop: Header=BB243_2086 Depth=1
	s_or_b32 exec_lo, exec_lo, s21
.LBB243_3233:                           ;   in Loop: Header=BB243_2086 Depth=1
	s_or_b32 exec_lo, exec_lo, s19
	s_mov_b32 s19, exec_lo
	v_cmpx_lt_u32_e32 0xffffff, v4
	s_cbranch_execz .LBB243_3241
; %bb.3234:                             ;   in Loop: Header=BB243_2086 Depth=1
	v_mov_b32_e32 v8, v7
	v_mov_b32_e32 v26, v9
	v_cmp_ne_u32_sdwa s8, v4, v75 src0_sel:BYTE_3 src1_sel:DWORD
	v_mov_b32_e32 v25, v8
	s_and_saveexec_b32 s21, s8
	s_cbranch_execz .LBB243_3240
; %bb.3235:                             ;   in Loop: Header=BB243_2086 Depth=1
	v_mov_b32_e32 v10, v7
	v_mov_b32_e32 v26, v11
	v_bfe_u32 v8, v4, 24, 7
	s_mov_b32 s22, exec_lo
	v_mov_b32_e32 v25, v10
	v_cmpx_ne_u32_e32 0x7f, v8
	s_cbranch_execz .LBB243_3239
; %bb.3236:                             ;   in Loop: Header=BB243_2086 Depth=1
	v_and_b32_sdwa v6, v4, v30 dst_sel:DWORD dst_unused:UNUSED_PAD src0_sel:BYTE_3 src1_sel:DWORD
	v_mov_b32_e32 v26, v7
	v_lshrrev_b32_e32 v5, 3, v8
	s_mov_b32 s23, exec_lo
	v_mov_b32_e32 v25, v6
	v_cmpx_gt_u32_e32 8, v8
; %bb.3237:                             ;   in Loop: Header=BB243_2086 Depth=1
	v_ffbh_u32_e32 v5, v6
	v_min_u32_e32 v5, 32, v5
	v_subrev_nc_u32_e32 v8, 28, v5
	v_sub_nc_u32_e32 v5, 29, v5
	v_lshlrev_b64 v[25:26], v8, v[6:7]
	v_and_b32_e32 v25, 7, v25
; %bb.3238:                             ;   in Loop: Header=BB243_2086 Depth=1
	s_or_b32 exec_lo, exec_lo, s23
	v_lshlrev_b32_sdwa v4, v79, v4 dst_sel:DWORD dst_unused:UNUSED_PAD src0_sel:DWORD src1_sel:BYTE_3
	v_lshlrev_b32_e32 v6, 20, v25
	v_lshl_add_u32 v5, v5, 23, 0x3c000000
	v_mov_b32_e32 v25, v7
	v_and_b32_e32 v4, 0x80000000, v4
	v_or3_b32 v26, v6, v4, v5
.LBB243_3239:                           ;   in Loop: Header=BB243_2086 Depth=1
	s_or_b32 exec_lo, exec_lo, s22
.LBB243_3240:                           ;   in Loop: Header=BB243_2086 Depth=1
	s_or_b32 exec_lo, exec_lo, s21
.LBB243_3241:                           ;   in Loop: Header=BB243_2086 Depth=1
	s_or_b32 exec_lo, exec_lo, s19
	v_or_b32_e32 v4, v24, v22
	v_or_b32_e32 v5, v23, v21
	;; [unrolled: 1-line block ×4, first 2 shown]
	v_mul_f32_e32 v4, v106, v4
	buffer_store_dword v4, off, s[0:3], s32 offset:1316 ; 4-byte Folded Spill
	v_mul_f32_e32 v4, v106, v5
	buffer_store_dword v4, off, s[0:3], s32 offset:1308 ; 4-byte Folded Spill
	;; [unrolled: 2-line block ×4, first 2 shown]
	s_and_saveexec_b32 s8, vcc_lo
	s_cbranch_execz .LBB243_3243
; %bb.3242:                             ;   in Loop: Header=BB243_2086 Depth=1
	buffer_load_dword v4, off, s[0:3], s32 offset:1308 ; 4-byte Folded Reload
	s_waitcnt vmcnt(0)
	v_cndmask_b32_e64 v4, 0, v4, s4
	buffer_store_dword v4, off, s[0:3], s32 offset:1308 ; 4-byte Folded Spill
	buffer_load_dword v4, off, s[0:3], s32 offset:1316 ; 4-byte Folded Reload
	s_waitcnt vmcnt(0)
	v_cndmask_b32_e64 v4, 0, v4, s5
	buffer_store_dword v4, off, s[0:3], s32 offset:1316 ; 4-byte Folded Spill
	;; [unrolled: 4-line block ×4, first 2 shown]
.LBB243_3243:                           ;   in Loop: Header=BB243_2086 Depth=1
	s_or_b32 exec_lo, exec_lo, s8
	flat_load_dword v4, v[19:20] offset:256
	v_mov_b32_e32 v23, 0
	v_mov_b32_e32 v21, 0
	;; [unrolled: 1-line block ×4, first 2 shown]
	s_waitcnt vmcnt(0) lgkmcnt(0)
	v_cmp_ne_u16_sdwa s8, v4, v7 src0_sel:BYTE_0 src1_sel:DWORD
	s_and_saveexec_b32 s19, s8
	s_cbranch_execz .LBB243_3251
; %bb.3244:                             ;   in Loop: Header=BB243_2086 Depth=1
	v_bfrev_b32_e32 v21, 1
	v_mov_b32_e32 v22, 0
	v_cmp_ne_u16_sdwa s8, v4, v75 src0_sel:BYTE_0 src1_sel:DWORD
	s_and_saveexec_b32 s21, s8
	s_cbranch_execz .LBB243_3250
; %bb.3245:                             ;   in Loop: Header=BB243_2086 Depth=1
	v_mov_b32_e32 v21, 0x7f800001
	v_and_b32_e32 v8, 0x7f, v4
	v_mov_b32_e32 v22, 0
	s_mov_b32 s22, exec_lo
	v_cmpx_ne_u32_e32 0x7f, v8
	s_cbranch_execz .LBB243_3249
; %bb.3246:                             ;   in Loop: Header=BB243_2086 Depth=1
	v_and_b32_e32 v6, 7, v4
	v_mov_b32_e32 v22, v7
	v_lshrrev_b32_e32 v5, 3, v8
	s_mov_b32 s23, exec_lo
	v_mov_b32_e32 v21, v6
	v_cmpx_gt_u32_e32 8, v8
; %bb.3247:                             ;   in Loop: Header=BB243_2086 Depth=1
	v_ffbh_u32_e32 v5, v6
	v_min_u32_e32 v5, 32, v5
	v_subrev_nc_u32_e32 v8, 28, v5
	v_sub_nc_u32_e32 v5, 29, v5
	v_lshlrev_b64 v[21:22], v8, v[6:7]
	v_and_b32_e32 v21, 7, v21
; %bb.3248:                             ;   in Loop: Header=BB243_2086 Depth=1
	s_or_b32 exec_lo, exec_lo, s23
	v_lshlrev_b32_e32 v6, 24, v4
	v_lshlrev_b32_e32 v8, 20, v21
	v_lshl_add_u32 v5, v5, 23, 0x3c000000
	v_and_b32_e32 v6, 0x80000000, v6
	v_or3_b32 v6, v8, v6, v5
	v_mov_b32_e32 v22, v7
	v_mov_b32_e32 v21, v6
.LBB243_3249:                           ;   in Loop: Header=BB243_2086 Depth=1
	s_or_b32 exec_lo, exec_lo, s22
.LBB243_3250:                           ;   in Loop: Header=BB243_2086 Depth=1
	s_or_b32 exec_lo, exec_lo, s21
.LBB243_3251:                           ;   in Loop: Header=BB243_2086 Depth=1
	s_or_b32 exec_lo, exec_lo, s19
	v_cmp_ne_u16_sdwa s8, v4, v7 src0_sel:BYTE_1 src1_sel:DWORD
	s_and_saveexec_b32 s19, s8
	s_cbranch_execz .LBB243_3259
; %bb.3252:                             ;   in Loop: Header=BB243_2086 Depth=1
	v_mov_b32_e32 v8, v7
	v_mov_b32_e32 v24, v9
	v_cmp_ne_u16_sdwa s8, v4, v75 src0_sel:BYTE_1 src1_sel:DWORD
	v_mov_b32_e32 v23, v8
	s_and_saveexec_b32 s21, s8
	s_cbranch_execz .LBB243_3258
; %bb.3253:                             ;   in Loop: Header=BB243_2086 Depth=1
	v_mov_b32_e32 v5, 0xffff
	v_mov_b32_e32 v10, v7
	v_mov_b32_e32 v24, v11
	s_mov_b32 s22, exec_lo
	v_and_b32_sdwa v5, v5, v4 dst_sel:DWORD dst_unused:UNUSED_PAD src0_sel:DWORD src1_sel:BYTE_1
	v_mov_b32_e32 v23, v10
	v_and_b32_e32 v8, 0x7f, v5
	v_cmpx_ne_u32_e32 0x7f, v8
	s_cbranch_execz .LBB243_3257
; %bb.3254:                             ;   in Loop: Header=BB243_2086 Depth=1
	v_and_b32_e32 v6, 7, v5
	v_mov_b32_e32 v24, v7
	v_lshrrev_b32_e32 v5, 3, v8
	s_mov_b32 s23, exec_lo
	v_mov_b32_e32 v23, v6
	v_cmpx_gt_u32_e32 8, v8
; %bb.3255:                             ;   in Loop: Header=BB243_2086 Depth=1
	v_ffbh_u32_e32 v5, v6
	v_min_u32_e32 v5, 32, v5
	v_subrev_nc_u32_e32 v8, 28, v5
	v_sub_nc_u32_e32 v5, 29, v5
	v_lshlrev_b64 v[23:24], v8, v[6:7]
	v_and_b32_e32 v23, 7, v23
; %bb.3256:                             ;   in Loop: Header=BB243_2086 Depth=1
	s_or_b32 exec_lo, exec_lo, s23
	v_lshlrev_b32_e32 v6, 16, v4
	v_lshlrev_b32_e32 v8, 20, v23
	v_lshl_add_u32 v5, v5, 23, 0x3c000000
	v_mov_b32_e32 v23, v7
	v_and_b32_e32 v6, 0x80000000, v6
	v_or3_b32 v24, v8, v6, v5
.LBB243_3257:                           ;   in Loop: Header=BB243_2086 Depth=1
	s_or_b32 exec_lo, exec_lo, s22
.LBB243_3258:                           ;   in Loop: Header=BB243_2086 Depth=1
	s_or_b32 exec_lo, exec_lo, s21
.LBB243_3259:                           ;   in Loop: Header=BB243_2086 Depth=1
	s_or_b32 exec_lo, exec_lo, s19
	v_mov_b32_e32 v25, 0
	v_mov_b32_e32 v27, 0
	v_and_b32_sdwa v5, v4, v77 dst_sel:DWORD dst_unused:UNUSED_PAD src0_sel:WORD_1 src1_sel:DWORD
	v_mov_b32_e32 v26, 0
	v_mov_b32_e32 v28, 0
	s_mov_b32 s19, exec_lo
	v_cmpx_ne_u16_e32 0, v5
	s_cbranch_execz .LBB243_3267
; %bb.3260:                             ;   in Loop: Header=BB243_2086 Depth=1
	v_bfrev_b32_e32 v27, 1
	v_mov_b32_e32 v28, 0
	s_mov_b32 s21, exec_lo
	v_cmpx_ne_u16_e32 0x80, v5
	s_cbranch_execz .LBB243_3266
; %bb.3261:                             ;   in Loop: Header=BB243_2086 Depth=1
	v_mov_b32_e32 v27, 0x7f800001
	v_bfe_u32 v8, v4, 16, 7
	v_mov_b32_e32 v28, 0
	s_mov_b32 s22, exec_lo
	v_cmpx_ne_u32_e32 0x7f, v8
	s_cbranch_execz .LBB243_3265
; %bb.3262:                             ;   in Loop: Header=BB243_2086 Depth=1
	v_and_b32_sdwa v6, v4, v30 dst_sel:DWORD dst_unused:UNUSED_PAD src0_sel:WORD_1 src1_sel:DWORD
	v_mov_b32_e32 v28, v7
	v_lshrrev_b32_e32 v5, 3, v8
	s_mov_b32 s23, exec_lo
	v_mov_b32_e32 v27, v6
	v_cmpx_gt_u32_e32 8, v8
; %bb.3263:                             ;   in Loop: Header=BB243_2086 Depth=1
	v_ffbh_u32_e32 v5, v6
	v_min_u32_e32 v5, 32, v5
	v_subrev_nc_u32_e32 v8, 28, v5
	v_sub_nc_u32_e32 v5, 29, v5
	v_lshlrev_b64 v[27:28], v8, v[6:7]
	v_and_b32_e32 v27, 7, v27
; %bb.3264:                             ;   in Loop: Header=BB243_2086 Depth=1
	s_or_b32 exec_lo, exec_lo, s23
	v_lshlrev_b32_sdwa v6, v79, v4 dst_sel:DWORD dst_unused:UNUSED_PAD src0_sel:DWORD src1_sel:WORD_1
	v_lshlrev_b32_e32 v8, 20, v27
	v_lshl_add_u32 v5, v5, 23, 0x3c000000
	v_and_b32_e32 v6, 0x80000000, v6
	v_or3_b32 v6, v8, v6, v5
	v_mov_b32_e32 v28, v7
	v_mov_b32_e32 v27, v6
.LBB243_3265:                           ;   in Loop: Header=BB243_2086 Depth=1
	s_or_b32 exec_lo, exec_lo, s22
.LBB243_3266:                           ;   in Loop: Header=BB243_2086 Depth=1
	s_or_b32 exec_lo, exec_lo, s21
.LBB243_3267:                           ;   in Loop: Header=BB243_2086 Depth=1
	s_or_b32 exec_lo, exec_lo, s19
	s_mov_b32 s19, exec_lo
	v_cmpx_lt_u32_e32 0xffffff, v4
	s_cbranch_execz .LBB243_3275
; %bb.3268:                             ;   in Loop: Header=BB243_2086 Depth=1
	v_mov_b32_e32 v8, v7
	v_mov_b32_e32 v26, v9
	v_cmp_ne_u32_sdwa s8, v4, v75 src0_sel:BYTE_3 src1_sel:DWORD
	v_mov_b32_e32 v25, v8
	s_and_saveexec_b32 s21, s8
	s_cbranch_execz .LBB243_3274
; %bb.3269:                             ;   in Loop: Header=BB243_2086 Depth=1
	v_mov_b32_e32 v10, v7
	v_mov_b32_e32 v26, v11
	v_bfe_u32 v8, v4, 24, 7
	s_mov_b32 s22, exec_lo
	v_mov_b32_e32 v25, v10
	v_cmpx_ne_u32_e32 0x7f, v8
	s_cbranch_execz .LBB243_3273
; %bb.3270:                             ;   in Loop: Header=BB243_2086 Depth=1
	v_and_b32_sdwa v6, v4, v30 dst_sel:DWORD dst_unused:UNUSED_PAD src0_sel:BYTE_3 src1_sel:DWORD
	v_mov_b32_e32 v26, v7
	v_lshrrev_b32_e32 v5, 3, v8
	s_mov_b32 s23, exec_lo
	v_mov_b32_e32 v25, v6
	v_cmpx_gt_u32_e32 8, v8
; %bb.3271:                             ;   in Loop: Header=BB243_2086 Depth=1
	v_ffbh_u32_e32 v5, v6
	v_min_u32_e32 v5, 32, v5
	v_subrev_nc_u32_e32 v8, 28, v5
	v_sub_nc_u32_e32 v5, 29, v5
	v_lshlrev_b64 v[25:26], v8, v[6:7]
	v_and_b32_e32 v25, 7, v25
; %bb.3272:                             ;   in Loop: Header=BB243_2086 Depth=1
	s_or_b32 exec_lo, exec_lo, s23
	v_lshlrev_b32_sdwa v4, v79, v4 dst_sel:DWORD dst_unused:UNUSED_PAD src0_sel:DWORD src1_sel:BYTE_3
	v_lshlrev_b32_e32 v6, 20, v25
	v_lshl_add_u32 v5, v5, 23, 0x3c000000
	v_mov_b32_e32 v25, v7
	v_and_b32_e32 v4, 0x80000000, v4
	v_or3_b32 v26, v6, v4, v5
.LBB243_3273:                           ;   in Loop: Header=BB243_2086 Depth=1
	s_or_b32 exec_lo, exec_lo, s22
.LBB243_3274:                           ;   in Loop: Header=BB243_2086 Depth=1
	s_or_b32 exec_lo, exec_lo, s21
.LBB243_3275:                           ;   in Loop: Header=BB243_2086 Depth=1
	s_or_b32 exec_lo, exec_lo, s19
	v_or_b32_e32 v4, v24, v22
	v_or_b32_e32 v5, v23, v21
	;; [unrolled: 1-line block ×4, first 2 shown]
	v_mul_f32_e32 v4, v106, v4
	buffer_store_dword v4, off, s[0:3], s32 offset:1348 ; 4-byte Folded Spill
	v_mul_f32_e32 v4, v106, v5
	buffer_store_dword v4, off, s[0:3], s32 offset:1340 ; 4-byte Folded Spill
	;; [unrolled: 2-line block ×4, first 2 shown]
	s_and_saveexec_b32 s8, vcc_lo
	s_cbranch_execz .LBB243_3277
; %bb.3276:                             ;   in Loop: Header=BB243_2086 Depth=1
	buffer_load_dword v4, off, s[0:3], s32 offset:1340 ; 4-byte Folded Reload
	s_waitcnt vmcnt(0)
	v_cndmask_b32_e64 v4, 0, v4, s4
	buffer_store_dword v4, off, s[0:3], s32 offset:1340 ; 4-byte Folded Spill
	buffer_load_dword v4, off, s[0:3], s32 offset:1348 ; 4-byte Folded Reload
	s_waitcnt vmcnt(0)
	v_cndmask_b32_e64 v4, 0, v4, s5
	buffer_store_dword v4, off, s[0:3], s32 offset:1348 ; 4-byte Folded Spill
	;; [unrolled: 4-line block ×4, first 2 shown]
.LBB243_3277:                           ;   in Loop: Header=BB243_2086 Depth=1
	s_or_b32 exec_lo, exec_lo, s8
	flat_load_dword v4, v[19:20] offset:384
	v_mov_b32_e32 v23, 0
	v_mov_b32_e32 v21, 0
	;; [unrolled: 1-line block ×4, first 2 shown]
	s_waitcnt vmcnt(0) lgkmcnt(0)
	v_cmp_ne_u16_sdwa s8, v4, v7 src0_sel:BYTE_0 src1_sel:DWORD
	s_and_saveexec_b32 s19, s8
	s_cbranch_execz .LBB243_3285
; %bb.3278:                             ;   in Loop: Header=BB243_2086 Depth=1
	v_bfrev_b32_e32 v21, 1
	v_mov_b32_e32 v22, 0
	v_cmp_ne_u16_sdwa s8, v4, v75 src0_sel:BYTE_0 src1_sel:DWORD
	s_and_saveexec_b32 s21, s8
	s_cbranch_execz .LBB243_3284
; %bb.3279:                             ;   in Loop: Header=BB243_2086 Depth=1
	v_mov_b32_e32 v21, 0x7f800001
	v_and_b32_e32 v8, 0x7f, v4
	v_mov_b32_e32 v22, 0
	s_mov_b32 s22, exec_lo
	v_cmpx_ne_u32_e32 0x7f, v8
	s_cbranch_execz .LBB243_3283
; %bb.3280:                             ;   in Loop: Header=BB243_2086 Depth=1
	v_and_b32_e32 v6, 7, v4
	v_mov_b32_e32 v22, v7
	v_lshrrev_b32_e32 v5, 3, v8
	s_mov_b32 s23, exec_lo
	v_mov_b32_e32 v21, v6
	v_cmpx_gt_u32_e32 8, v8
; %bb.3281:                             ;   in Loop: Header=BB243_2086 Depth=1
	v_ffbh_u32_e32 v5, v6
	v_min_u32_e32 v5, 32, v5
	v_subrev_nc_u32_e32 v8, 28, v5
	v_sub_nc_u32_e32 v5, 29, v5
	v_lshlrev_b64 v[21:22], v8, v[6:7]
	v_and_b32_e32 v21, 7, v21
; %bb.3282:                             ;   in Loop: Header=BB243_2086 Depth=1
	s_or_b32 exec_lo, exec_lo, s23
	v_lshlrev_b32_e32 v6, 24, v4
	v_lshlrev_b32_e32 v8, 20, v21
	v_lshl_add_u32 v5, v5, 23, 0x3c000000
	v_and_b32_e32 v6, 0x80000000, v6
	v_or3_b32 v6, v8, v6, v5
	v_mov_b32_e32 v22, v7
	v_mov_b32_e32 v21, v6
.LBB243_3283:                           ;   in Loop: Header=BB243_2086 Depth=1
	s_or_b32 exec_lo, exec_lo, s22
.LBB243_3284:                           ;   in Loop: Header=BB243_2086 Depth=1
	s_or_b32 exec_lo, exec_lo, s21
.LBB243_3285:                           ;   in Loop: Header=BB243_2086 Depth=1
	s_or_b32 exec_lo, exec_lo, s19
	v_cmp_ne_u16_sdwa s8, v4, v7 src0_sel:BYTE_1 src1_sel:DWORD
	s_and_saveexec_b32 s19, s8
	s_cbranch_execz .LBB243_3293
; %bb.3286:                             ;   in Loop: Header=BB243_2086 Depth=1
	v_mov_b32_e32 v8, v7
	v_mov_b32_e32 v24, v9
	v_cmp_ne_u16_sdwa s8, v4, v75 src0_sel:BYTE_1 src1_sel:DWORD
	v_mov_b32_e32 v23, v8
	s_and_saveexec_b32 s21, s8
	s_cbranch_execz .LBB243_3292
; %bb.3287:                             ;   in Loop: Header=BB243_2086 Depth=1
	v_mov_b32_e32 v5, 0xffff
	v_mov_b32_e32 v10, v7
	;; [unrolled: 1-line block ×3, first 2 shown]
	s_mov_b32 s22, exec_lo
	v_and_b32_sdwa v5, v5, v4 dst_sel:DWORD dst_unused:UNUSED_PAD src0_sel:DWORD src1_sel:BYTE_1
	v_mov_b32_e32 v23, v10
	v_and_b32_e32 v8, 0x7f, v5
	v_cmpx_ne_u32_e32 0x7f, v8
	s_cbranch_execz .LBB243_3291
; %bb.3288:                             ;   in Loop: Header=BB243_2086 Depth=1
	v_and_b32_e32 v6, 7, v5
	v_mov_b32_e32 v24, v7
	v_lshrrev_b32_e32 v5, 3, v8
	s_mov_b32 s23, exec_lo
	v_mov_b32_e32 v23, v6
	v_cmpx_gt_u32_e32 8, v8
; %bb.3289:                             ;   in Loop: Header=BB243_2086 Depth=1
	v_ffbh_u32_e32 v5, v6
	v_min_u32_e32 v5, 32, v5
	v_subrev_nc_u32_e32 v8, 28, v5
	v_sub_nc_u32_e32 v5, 29, v5
	v_lshlrev_b64 v[23:24], v8, v[6:7]
	v_and_b32_e32 v23, 7, v23
; %bb.3290:                             ;   in Loop: Header=BB243_2086 Depth=1
	s_or_b32 exec_lo, exec_lo, s23
	v_lshlrev_b32_e32 v6, 16, v4
	v_lshlrev_b32_e32 v8, 20, v23
	v_lshl_add_u32 v5, v5, 23, 0x3c000000
	v_mov_b32_e32 v23, v7
	v_and_b32_e32 v6, 0x80000000, v6
	v_or3_b32 v24, v8, v6, v5
.LBB243_3291:                           ;   in Loop: Header=BB243_2086 Depth=1
	s_or_b32 exec_lo, exec_lo, s22
.LBB243_3292:                           ;   in Loop: Header=BB243_2086 Depth=1
	s_or_b32 exec_lo, exec_lo, s21
.LBB243_3293:                           ;   in Loop: Header=BB243_2086 Depth=1
	s_or_b32 exec_lo, exec_lo, s19
	v_mov_b32_e32 v25, 0
	v_mov_b32_e32 v27, 0
	v_and_b32_sdwa v5, v4, v77 dst_sel:DWORD dst_unused:UNUSED_PAD src0_sel:WORD_1 src1_sel:DWORD
	v_mov_b32_e32 v26, 0
	v_mov_b32_e32 v28, 0
	s_mov_b32 s19, exec_lo
	v_cmpx_ne_u16_e32 0, v5
	s_cbranch_execz .LBB243_3301
; %bb.3294:                             ;   in Loop: Header=BB243_2086 Depth=1
	v_bfrev_b32_e32 v27, 1
	v_mov_b32_e32 v28, 0
	s_mov_b32 s21, exec_lo
	v_cmpx_ne_u16_e32 0x80, v5
	s_cbranch_execz .LBB243_3300
; %bb.3295:                             ;   in Loop: Header=BB243_2086 Depth=1
	v_mov_b32_e32 v27, 0x7f800001
	v_bfe_u32 v8, v4, 16, 7
	v_mov_b32_e32 v28, 0
	s_mov_b32 s22, exec_lo
	v_cmpx_ne_u32_e32 0x7f, v8
	s_cbranch_execz .LBB243_3299
; %bb.3296:                             ;   in Loop: Header=BB243_2086 Depth=1
	v_and_b32_sdwa v6, v4, v30 dst_sel:DWORD dst_unused:UNUSED_PAD src0_sel:WORD_1 src1_sel:DWORD
	v_mov_b32_e32 v28, v7
	v_lshrrev_b32_e32 v5, 3, v8
	s_mov_b32 s23, exec_lo
	v_mov_b32_e32 v27, v6
	v_cmpx_gt_u32_e32 8, v8
; %bb.3297:                             ;   in Loop: Header=BB243_2086 Depth=1
	v_ffbh_u32_e32 v5, v6
	v_min_u32_e32 v5, 32, v5
	v_subrev_nc_u32_e32 v8, 28, v5
	v_sub_nc_u32_e32 v5, 29, v5
	v_lshlrev_b64 v[27:28], v8, v[6:7]
	v_and_b32_e32 v27, 7, v27
; %bb.3298:                             ;   in Loop: Header=BB243_2086 Depth=1
	s_or_b32 exec_lo, exec_lo, s23
	v_lshlrev_b32_sdwa v6, v79, v4 dst_sel:DWORD dst_unused:UNUSED_PAD src0_sel:DWORD src1_sel:WORD_1
	v_lshlrev_b32_e32 v8, 20, v27
	v_lshl_add_u32 v5, v5, 23, 0x3c000000
	v_and_b32_e32 v6, 0x80000000, v6
	v_or3_b32 v6, v8, v6, v5
	v_mov_b32_e32 v28, v7
	v_mov_b32_e32 v27, v6
.LBB243_3299:                           ;   in Loop: Header=BB243_2086 Depth=1
	s_or_b32 exec_lo, exec_lo, s22
.LBB243_3300:                           ;   in Loop: Header=BB243_2086 Depth=1
	s_or_b32 exec_lo, exec_lo, s21
.LBB243_3301:                           ;   in Loop: Header=BB243_2086 Depth=1
	s_or_b32 exec_lo, exec_lo, s19
	s_mov_b32 s19, exec_lo
	v_cmpx_lt_u32_e32 0xffffff, v4
	s_cbranch_execz .LBB243_3309
; %bb.3302:                             ;   in Loop: Header=BB243_2086 Depth=1
	v_mov_b32_e32 v8, v7
	v_mov_b32_e32 v26, v9
	v_cmp_ne_u32_sdwa s8, v4, v75 src0_sel:BYTE_3 src1_sel:DWORD
	v_mov_b32_e32 v25, v8
	s_and_saveexec_b32 s21, s8
	s_cbranch_execz .LBB243_3308
; %bb.3303:                             ;   in Loop: Header=BB243_2086 Depth=1
	v_mov_b32_e32 v10, v7
	v_mov_b32_e32 v26, v11
	v_bfe_u32 v8, v4, 24, 7
	s_mov_b32 s22, exec_lo
	v_mov_b32_e32 v25, v10
	v_cmpx_ne_u32_e32 0x7f, v8
	s_cbranch_execz .LBB243_3307
; %bb.3304:                             ;   in Loop: Header=BB243_2086 Depth=1
	v_and_b32_sdwa v6, v4, v30 dst_sel:DWORD dst_unused:UNUSED_PAD src0_sel:BYTE_3 src1_sel:DWORD
	v_mov_b32_e32 v26, v7
	v_lshrrev_b32_e32 v5, 3, v8
	s_mov_b32 s23, exec_lo
	v_mov_b32_e32 v25, v6
	v_cmpx_gt_u32_e32 8, v8
; %bb.3305:                             ;   in Loop: Header=BB243_2086 Depth=1
	v_ffbh_u32_e32 v5, v6
	v_min_u32_e32 v5, 32, v5
	v_subrev_nc_u32_e32 v8, 28, v5
	v_sub_nc_u32_e32 v5, 29, v5
	v_lshlrev_b64 v[25:26], v8, v[6:7]
	v_and_b32_e32 v25, 7, v25
; %bb.3306:                             ;   in Loop: Header=BB243_2086 Depth=1
	s_or_b32 exec_lo, exec_lo, s23
	v_lshlrev_b32_sdwa v4, v79, v4 dst_sel:DWORD dst_unused:UNUSED_PAD src0_sel:DWORD src1_sel:BYTE_3
	v_lshlrev_b32_e32 v6, 20, v25
	v_lshl_add_u32 v5, v5, 23, 0x3c000000
	v_mov_b32_e32 v25, v7
	v_and_b32_e32 v4, 0x80000000, v4
	v_or3_b32 v26, v6, v4, v5
.LBB243_3307:                           ;   in Loop: Header=BB243_2086 Depth=1
	s_or_b32 exec_lo, exec_lo, s22
.LBB243_3308:                           ;   in Loop: Header=BB243_2086 Depth=1
	s_or_b32 exec_lo, exec_lo, s21
.LBB243_3309:                           ;   in Loop: Header=BB243_2086 Depth=1
	s_or_b32 exec_lo, exec_lo, s19
	v_or_b32_e32 v4, v24, v22
	v_or_b32_e32 v5, v23, v21
	;; [unrolled: 1-line block ×4, first 2 shown]
	v_mul_f32_e32 v4, v106, v4
	buffer_store_dword v4, off, s[0:3], s32 offset:1380 ; 4-byte Folded Spill
	v_mul_f32_e32 v4, v106, v5
	buffer_store_dword v4, off, s[0:3], s32 offset:1372 ; 4-byte Folded Spill
	;; [unrolled: 2-line block ×4, first 2 shown]
	s_and_saveexec_b32 s8, vcc_lo
	s_cbranch_execz .LBB243_3311
; %bb.3310:                             ;   in Loop: Header=BB243_2086 Depth=1
	buffer_load_dword v4, off, s[0:3], s32 offset:1372 ; 4-byte Folded Reload
	s_waitcnt vmcnt(0)
	v_cndmask_b32_e64 v4, 0, v4, s4
	buffer_store_dword v4, off, s[0:3], s32 offset:1372 ; 4-byte Folded Spill
	buffer_load_dword v4, off, s[0:3], s32 offset:1380 ; 4-byte Folded Reload
	s_waitcnt vmcnt(0)
	v_cndmask_b32_e64 v4, 0, v4, s5
	buffer_store_dword v4, off, s[0:3], s32 offset:1380 ; 4-byte Folded Spill
	;; [unrolled: 4-line block ×4, first 2 shown]
.LBB243_3311:                           ;   in Loop: Header=BB243_2086 Depth=1
	s_or_b32 exec_lo, exec_lo, s8
	flat_load_dword v4, v[19:20] offset:512
	v_mov_b32_e32 v23, 0
	v_mov_b32_e32 v21, 0
	;; [unrolled: 1-line block ×4, first 2 shown]
	s_waitcnt vmcnt(0) lgkmcnt(0)
	v_cmp_ne_u16_sdwa s8, v4, v7 src0_sel:BYTE_0 src1_sel:DWORD
	s_and_saveexec_b32 s19, s8
	s_cbranch_execz .LBB243_3319
; %bb.3312:                             ;   in Loop: Header=BB243_2086 Depth=1
	v_bfrev_b32_e32 v21, 1
	v_mov_b32_e32 v22, 0
	v_cmp_ne_u16_sdwa s8, v4, v75 src0_sel:BYTE_0 src1_sel:DWORD
	s_and_saveexec_b32 s21, s8
	s_cbranch_execz .LBB243_3318
; %bb.3313:                             ;   in Loop: Header=BB243_2086 Depth=1
	v_mov_b32_e32 v21, 0x7f800001
	v_and_b32_e32 v8, 0x7f, v4
	v_mov_b32_e32 v22, 0
	s_mov_b32 s22, exec_lo
	v_cmpx_ne_u32_e32 0x7f, v8
	s_cbranch_execz .LBB243_3317
; %bb.3314:                             ;   in Loop: Header=BB243_2086 Depth=1
	v_and_b32_e32 v6, 7, v4
	v_mov_b32_e32 v22, v7
	v_lshrrev_b32_e32 v5, 3, v8
	s_mov_b32 s23, exec_lo
	v_mov_b32_e32 v21, v6
	v_cmpx_gt_u32_e32 8, v8
; %bb.3315:                             ;   in Loop: Header=BB243_2086 Depth=1
	v_ffbh_u32_e32 v5, v6
	v_min_u32_e32 v5, 32, v5
	v_subrev_nc_u32_e32 v8, 28, v5
	v_sub_nc_u32_e32 v5, 29, v5
	v_lshlrev_b64 v[21:22], v8, v[6:7]
	v_and_b32_e32 v21, 7, v21
; %bb.3316:                             ;   in Loop: Header=BB243_2086 Depth=1
	s_or_b32 exec_lo, exec_lo, s23
	v_lshlrev_b32_e32 v6, 24, v4
	v_lshlrev_b32_e32 v8, 20, v21
	v_lshl_add_u32 v5, v5, 23, 0x3c000000
	v_and_b32_e32 v6, 0x80000000, v6
	v_or3_b32 v6, v8, v6, v5
	v_mov_b32_e32 v22, v7
	v_mov_b32_e32 v21, v6
.LBB243_3317:                           ;   in Loop: Header=BB243_2086 Depth=1
	s_or_b32 exec_lo, exec_lo, s22
.LBB243_3318:                           ;   in Loop: Header=BB243_2086 Depth=1
	s_or_b32 exec_lo, exec_lo, s21
.LBB243_3319:                           ;   in Loop: Header=BB243_2086 Depth=1
	s_or_b32 exec_lo, exec_lo, s19
	v_cmp_ne_u16_sdwa s8, v4, v7 src0_sel:BYTE_1 src1_sel:DWORD
	s_and_saveexec_b32 s19, s8
	s_cbranch_execz .LBB243_3327
; %bb.3320:                             ;   in Loop: Header=BB243_2086 Depth=1
	v_mov_b32_e32 v8, v7
	v_mov_b32_e32 v24, v9
	v_cmp_ne_u16_sdwa s8, v4, v75 src0_sel:BYTE_1 src1_sel:DWORD
	v_mov_b32_e32 v23, v8
	s_and_saveexec_b32 s21, s8
	s_cbranch_execz .LBB243_3326
; %bb.3321:                             ;   in Loop: Header=BB243_2086 Depth=1
	v_mov_b32_e32 v5, 0xffff
	v_mov_b32_e32 v10, v7
	;; [unrolled: 1-line block ×3, first 2 shown]
	s_mov_b32 s22, exec_lo
	v_and_b32_sdwa v5, v5, v4 dst_sel:DWORD dst_unused:UNUSED_PAD src0_sel:DWORD src1_sel:BYTE_1
	v_mov_b32_e32 v23, v10
	v_and_b32_e32 v8, 0x7f, v5
	v_cmpx_ne_u32_e32 0x7f, v8
	s_cbranch_execz .LBB243_3325
; %bb.3322:                             ;   in Loop: Header=BB243_2086 Depth=1
	v_and_b32_e32 v6, 7, v5
	v_mov_b32_e32 v24, v7
	v_lshrrev_b32_e32 v5, 3, v8
	s_mov_b32 s23, exec_lo
	v_mov_b32_e32 v23, v6
	v_cmpx_gt_u32_e32 8, v8
; %bb.3323:                             ;   in Loop: Header=BB243_2086 Depth=1
	v_ffbh_u32_e32 v5, v6
	v_min_u32_e32 v5, 32, v5
	v_subrev_nc_u32_e32 v8, 28, v5
	v_sub_nc_u32_e32 v5, 29, v5
	v_lshlrev_b64 v[23:24], v8, v[6:7]
	v_and_b32_e32 v23, 7, v23
; %bb.3324:                             ;   in Loop: Header=BB243_2086 Depth=1
	s_or_b32 exec_lo, exec_lo, s23
	v_lshlrev_b32_e32 v6, 16, v4
	v_lshlrev_b32_e32 v8, 20, v23
	v_lshl_add_u32 v5, v5, 23, 0x3c000000
	v_mov_b32_e32 v23, v7
	v_and_b32_e32 v6, 0x80000000, v6
	v_or3_b32 v24, v8, v6, v5
.LBB243_3325:                           ;   in Loop: Header=BB243_2086 Depth=1
	s_or_b32 exec_lo, exec_lo, s22
.LBB243_3326:                           ;   in Loop: Header=BB243_2086 Depth=1
	s_or_b32 exec_lo, exec_lo, s21
.LBB243_3327:                           ;   in Loop: Header=BB243_2086 Depth=1
	s_or_b32 exec_lo, exec_lo, s19
	v_mov_b32_e32 v25, 0
	v_mov_b32_e32 v27, 0
	v_and_b32_sdwa v5, v4, v77 dst_sel:DWORD dst_unused:UNUSED_PAD src0_sel:WORD_1 src1_sel:DWORD
	v_mov_b32_e32 v26, 0
	v_mov_b32_e32 v28, 0
	s_mov_b32 s19, exec_lo
	v_cmpx_ne_u16_e32 0, v5
	s_cbranch_execz .LBB243_3335
; %bb.3328:                             ;   in Loop: Header=BB243_2086 Depth=1
	v_bfrev_b32_e32 v27, 1
	v_mov_b32_e32 v28, 0
	s_mov_b32 s21, exec_lo
	v_cmpx_ne_u16_e32 0x80, v5
	s_cbranch_execz .LBB243_3334
; %bb.3329:                             ;   in Loop: Header=BB243_2086 Depth=1
	v_mov_b32_e32 v27, 0x7f800001
	v_bfe_u32 v8, v4, 16, 7
	v_mov_b32_e32 v28, 0
	s_mov_b32 s22, exec_lo
	v_cmpx_ne_u32_e32 0x7f, v8
	s_cbranch_execz .LBB243_3333
; %bb.3330:                             ;   in Loop: Header=BB243_2086 Depth=1
	v_and_b32_sdwa v6, v4, v30 dst_sel:DWORD dst_unused:UNUSED_PAD src0_sel:WORD_1 src1_sel:DWORD
	v_mov_b32_e32 v28, v7
	v_lshrrev_b32_e32 v5, 3, v8
	s_mov_b32 s23, exec_lo
	v_mov_b32_e32 v27, v6
	v_cmpx_gt_u32_e32 8, v8
; %bb.3331:                             ;   in Loop: Header=BB243_2086 Depth=1
	v_ffbh_u32_e32 v5, v6
	v_min_u32_e32 v5, 32, v5
	v_subrev_nc_u32_e32 v8, 28, v5
	v_sub_nc_u32_e32 v5, 29, v5
	v_lshlrev_b64 v[27:28], v8, v[6:7]
	v_and_b32_e32 v27, 7, v27
; %bb.3332:                             ;   in Loop: Header=BB243_2086 Depth=1
	s_or_b32 exec_lo, exec_lo, s23
	v_lshlrev_b32_sdwa v6, v79, v4 dst_sel:DWORD dst_unused:UNUSED_PAD src0_sel:DWORD src1_sel:WORD_1
	v_lshlrev_b32_e32 v8, 20, v27
	v_lshl_add_u32 v5, v5, 23, 0x3c000000
	v_and_b32_e32 v6, 0x80000000, v6
	v_or3_b32 v6, v8, v6, v5
	v_mov_b32_e32 v28, v7
	v_mov_b32_e32 v27, v6
.LBB243_3333:                           ;   in Loop: Header=BB243_2086 Depth=1
	s_or_b32 exec_lo, exec_lo, s22
.LBB243_3334:                           ;   in Loop: Header=BB243_2086 Depth=1
	s_or_b32 exec_lo, exec_lo, s21
.LBB243_3335:                           ;   in Loop: Header=BB243_2086 Depth=1
	s_or_b32 exec_lo, exec_lo, s19
	s_mov_b32 s19, exec_lo
	v_cmpx_lt_u32_e32 0xffffff, v4
	s_cbranch_execz .LBB243_3343
; %bb.3336:                             ;   in Loop: Header=BB243_2086 Depth=1
	v_mov_b32_e32 v8, v7
	v_mov_b32_e32 v26, v9
	v_cmp_ne_u32_sdwa s8, v4, v75 src0_sel:BYTE_3 src1_sel:DWORD
	v_mov_b32_e32 v25, v8
	s_and_saveexec_b32 s21, s8
	s_cbranch_execz .LBB243_3342
; %bb.3337:                             ;   in Loop: Header=BB243_2086 Depth=1
	v_mov_b32_e32 v10, v7
	v_mov_b32_e32 v26, v11
	v_bfe_u32 v8, v4, 24, 7
	s_mov_b32 s22, exec_lo
	v_mov_b32_e32 v25, v10
	v_cmpx_ne_u32_e32 0x7f, v8
	s_cbranch_execz .LBB243_3341
; %bb.3338:                             ;   in Loop: Header=BB243_2086 Depth=1
	v_and_b32_sdwa v6, v4, v30 dst_sel:DWORD dst_unused:UNUSED_PAD src0_sel:BYTE_3 src1_sel:DWORD
	v_mov_b32_e32 v26, v7
	v_lshrrev_b32_e32 v5, 3, v8
	s_mov_b32 s23, exec_lo
	v_mov_b32_e32 v25, v6
	v_cmpx_gt_u32_e32 8, v8
; %bb.3339:                             ;   in Loop: Header=BB243_2086 Depth=1
	v_ffbh_u32_e32 v5, v6
	v_min_u32_e32 v5, 32, v5
	v_subrev_nc_u32_e32 v8, 28, v5
	v_sub_nc_u32_e32 v5, 29, v5
	v_lshlrev_b64 v[25:26], v8, v[6:7]
	v_and_b32_e32 v25, 7, v25
; %bb.3340:                             ;   in Loop: Header=BB243_2086 Depth=1
	s_or_b32 exec_lo, exec_lo, s23
	v_lshlrev_b32_sdwa v4, v79, v4 dst_sel:DWORD dst_unused:UNUSED_PAD src0_sel:DWORD src1_sel:BYTE_3
	v_lshlrev_b32_e32 v6, 20, v25
	v_lshl_add_u32 v5, v5, 23, 0x3c000000
	v_mov_b32_e32 v25, v7
	v_and_b32_e32 v4, 0x80000000, v4
	v_or3_b32 v26, v6, v4, v5
.LBB243_3341:                           ;   in Loop: Header=BB243_2086 Depth=1
	s_or_b32 exec_lo, exec_lo, s22
.LBB243_3342:                           ;   in Loop: Header=BB243_2086 Depth=1
	s_or_b32 exec_lo, exec_lo, s21
.LBB243_3343:                           ;   in Loop: Header=BB243_2086 Depth=1
	s_or_b32 exec_lo, exec_lo, s19
	v_or_b32_e32 v4, v24, v22
	v_or_b32_e32 v5, v23, v21
	;; [unrolled: 1-line block ×4, first 2 shown]
	v_mul_f32_e32 v4, v106, v4
	buffer_store_dword v4, off, s[0:3], s32 offset:1412 ; 4-byte Folded Spill
	v_mul_f32_e32 v4, v106, v5
	buffer_store_dword v4, off, s[0:3], s32 offset:1404 ; 4-byte Folded Spill
	;; [unrolled: 2-line block ×4, first 2 shown]
	s_and_saveexec_b32 s8, vcc_lo
	s_cbranch_execz .LBB243_3345
; %bb.3344:                             ;   in Loop: Header=BB243_2086 Depth=1
	buffer_load_dword v4, off, s[0:3], s32 offset:1404 ; 4-byte Folded Reload
	s_waitcnt vmcnt(0)
	v_cndmask_b32_e64 v4, 0, v4, s4
	buffer_store_dword v4, off, s[0:3], s32 offset:1404 ; 4-byte Folded Spill
	buffer_load_dword v4, off, s[0:3], s32 offset:1412 ; 4-byte Folded Reload
	s_waitcnt vmcnt(0)
	v_cndmask_b32_e64 v4, 0, v4, s5
	buffer_store_dword v4, off, s[0:3], s32 offset:1412 ; 4-byte Folded Spill
	;; [unrolled: 4-line block ×4, first 2 shown]
.LBB243_3345:                           ;   in Loop: Header=BB243_2086 Depth=1
	s_or_b32 exec_lo, exec_lo, s8
	flat_load_dword v4, v[19:20] offset:640
	v_mov_b32_e32 v23, 0
	v_mov_b32_e32 v21, 0
	v_mov_b32_e32 v24, 0
	v_mov_b32_e32 v22, 0
	s_waitcnt vmcnt(0) lgkmcnt(0)
	v_cmp_ne_u16_sdwa s8, v4, v7 src0_sel:BYTE_0 src1_sel:DWORD
	s_and_saveexec_b32 s19, s8
	s_cbranch_execz .LBB243_3353
; %bb.3346:                             ;   in Loop: Header=BB243_2086 Depth=1
	v_bfrev_b32_e32 v21, 1
	v_mov_b32_e32 v22, 0
	v_cmp_ne_u16_sdwa s8, v4, v75 src0_sel:BYTE_0 src1_sel:DWORD
	s_and_saveexec_b32 s21, s8
	s_cbranch_execz .LBB243_3352
; %bb.3347:                             ;   in Loop: Header=BB243_2086 Depth=1
	v_mov_b32_e32 v21, 0x7f800001
	v_and_b32_e32 v8, 0x7f, v4
	v_mov_b32_e32 v22, 0
	s_mov_b32 s22, exec_lo
	v_cmpx_ne_u32_e32 0x7f, v8
	s_cbranch_execz .LBB243_3351
; %bb.3348:                             ;   in Loop: Header=BB243_2086 Depth=1
	v_and_b32_e32 v6, 7, v4
	v_mov_b32_e32 v22, v7
	v_lshrrev_b32_e32 v5, 3, v8
	s_mov_b32 s23, exec_lo
	v_mov_b32_e32 v21, v6
	v_cmpx_gt_u32_e32 8, v8
; %bb.3349:                             ;   in Loop: Header=BB243_2086 Depth=1
	v_ffbh_u32_e32 v5, v6
	v_min_u32_e32 v5, 32, v5
	v_subrev_nc_u32_e32 v8, 28, v5
	v_sub_nc_u32_e32 v5, 29, v5
	v_lshlrev_b64 v[21:22], v8, v[6:7]
	v_and_b32_e32 v21, 7, v21
; %bb.3350:                             ;   in Loop: Header=BB243_2086 Depth=1
	s_or_b32 exec_lo, exec_lo, s23
	v_lshlrev_b32_e32 v6, 24, v4
	v_lshlrev_b32_e32 v8, 20, v21
	v_lshl_add_u32 v5, v5, 23, 0x3c000000
	v_and_b32_e32 v6, 0x80000000, v6
	v_or3_b32 v6, v8, v6, v5
	v_mov_b32_e32 v22, v7
	v_mov_b32_e32 v21, v6
.LBB243_3351:                           ;   in Loop: Header=BB243_2086 Depth=1
	s_or_b32 exec_lo, exec_lo, s22
.LBB243_3352:                           ;   in Loop: Header=BB243_2086 Depth=1
	s_or_b32 exec_lo, exec_lo, s21
.LBB243_3353:                           ;   in Loop: Header=BB243_2086 Depth=1
	s_or_b32 exec_lo, exec_lo, s19
	v_cmp_ne_u16_sdwa s8, v4, v7 src0_sel:BYTE_1 src1_sel:DWORD
	s_and_saveexec_b32 s19, s8
	s_cbranch_execz .LBB243_3361
; %bb.3354:                             ;   in Loop: Header=BB243_2086 Depth=1
	v_mov_b32_e32 v8, v7
	v_mov_b32_e32 v24, v9
	v_cmp_ne_u16_sdwa s8, v4, v75 src0_sel:BYTE_1 src1_sel:DWORD
	v_mov_b32_e32 v23, v8
	s_and_saveexec_b32 s21, s8
	s_cbranch_execz .LBB243_3360
; %bb.3355:                             ;   in Loop: Header=BB243_2086 Depth=1
	v_mov_b32_e32 v5, 0xffff
	v_mov_b32_e32 v10, v7
	;; [unrolled: 1-line block ×3, first 2 shown]
	s_mov_b32 s22, exec_lo
	v_and_b32_sdwa v5, v5, v4 dst_sel:DWORD dst_unused:UNUSED_PAD src0_sel:DWORD src1_sel:BYTE_1
	v_mov_b32_e32 v23, v10
	v_and_b32_e32 v8, 0x7f, v5
	v_cmpx_ne_u32_e32 0x7f, v8
	s_cbranch_execz .LBB243_3359
; %bb.3356:                             ;   in Loop: Header=BB243_2086 Depth=1
	v_and_b32_e32 v6, 7, v5
	v_mov_b32_e32 v24, v7
	v_lshrrev_b32_e32 v5, 3, v8
	s_mov_b32 s23, exec_lo
	v_mov_b32_e32 v23, v6
	v_cmpx_gt_u32_e32 8, v8
; %bb.3357:                             ;   in Loop: Header=BB243_2086 Depth=1
	v_ffbh_u32_e32 v5, v6
	v_min_u32_e32 v5, 32, v5
	v_subrev_nc_u32_e32 v8, 28, v5
	v_sub_nc_u32_e32 v5, 29, v5
	v_lshlrev_b64 v[23:24], v8, v[6:7]
	v_and_b32_e32 v23, 7, v23
; %bb.3358:                             ;   in Loop: Header=BB243_2086 Depth=1
	s_or_b32 exec_lo, exec_lo, s23
	v_lshlrev_b32_e32 v6, 16, v4
	v_lshlrev_b32_e32 v8, 20, v23
	v_lshl_add_u32 v5, v5, 23, 0x3c000000
	v_mov_b32_e32 v23, v7
	v_and_b32_e32 v6, 0x80000000, v6
	v_or3_b32 v24, v8, v6, v5
.LBB243_3359:                           ;   in Loop: Header=BB243_2086 Depth=1
	s_or_b32 exec_lo, exec_lo, s22
.LBB243_3360:                           ;   in Loop: Header=BB243_2086 Depth=1
	s_or_b32 exec_lo, exec_lo, s21
.LBB243_3361:                           ;   in Loop: Header=BB243_2086 Depth=1
	s_or_b32 exec_lo, exec_lo, s19
	v_mov_b32_e32 v25, 0
	v_mov_b32_e32 v27, 0
	v_and_b32_sdwa v5, v4, v77 dst_sel:DWORD dst_unused:UNUSED_PAD src0_sel:WORD_1 src1_sel:DWORD
	v_mov_b32_e32 v26, 0
	v_mov_b32_e32 v28, 0
	s_mov_b32 s19, exec_lo
	v_cmpx_ne_u16_e32 0, v5
	s_cbranch_execz .LBB243_3369
; %bb.3362:                             ;   in Loop: Header=BB243_2086 Depth=1
	v_bfrev_b32_e32 v27, 1
	v_mov_b32_e32 v28, 0
	s_mov_b32 s21, exec_lo
	v_cmpx_ne_u16_e32 0x80, v5
	s_cbranch_execz .LBB243_3368
; %bb.3363:                             ;   in Loop: Header=BB243_2086 Depth=1
	v_mov_b32_e32 v27, 0x7f800001
	v_bfe_u32 v8, v4, 16, 7
	v_mov_b32_e32 v28, 0
	s_mov_b32 s22, exec_lo
	v_cmpx_ne_u32_e32 0x7f, v8
	s_cbranch_execz .LBB243_3367
; %bb.3364:                             ;   in Loop: Header=BB243_2086 Depth=1
	v_and_b32_sdwa v6, v4, v30 dst_sel:DWORD dst_unused:UNUSED_PAD src0_sel:WORD_1 src1_sel:DWORD
	v_mov_b32_e32 v28, v7
	v_lshrrev_b32_e32 v5, 3, v8
	s_mov_b32 s23, exec_lo
	v_mov_b32_e32 v27, v6
	v_cmpx_gt_u32_e32 8, v8
; %bb.3365:                             ;   in Loop: Header=BB243_2086 Depth=1
	v_ffbh_u32_e32 v5, v6
	v_min_u32_e32 v5, 32, v5
	v_subrev_nc_u32_e32 v8, 28, v5
	v_sub_nc_u32_e32 v5, 29, v5
	v_lshlrev_b64 v[27:28], v8, v[6:7]
	v_and_b32_e32 v27, 7, v27
; %bb.3366:                             ;   in Loop: Header=BB243_2086 Depth=1
	s_or_b32 exec_lo, exec_lo, s23
	v_lshlrev_b32_sdwa v6, v79, v4 dst_sel:DWORD dst_unused:UNUSED_PAD src0_sel:DWORD src1_sel:WORD_1
	v_lshlrev_b32_e32 v8, 20, v27
	v_lshl_add_u32 v5, v5, 23, 0x3c000000
	v_and_b32_e32 v6, 0x80000000, v6
	v_or3_b32 v6, v8, v6, v5
	v_mov_b32_e32 v28, v7
	v_mov_b32_e32 v27, v6
.LBB243_3367:                           ;   in Loop: Header=BB243_2086 Depth=1
	s_or_b32 exec_lo, exec_lo, s22
.LBB243_3368:                           ;   in Loop: Header=BB243_2086 Depth=1
	s_or_b32 exec_lo, exec_lo, s21
.LBB243_3369:                           ;   in Loop: Header=BB243_2086 Depth=1
	s_or_b32 exec_lo, exec_lo, s19
	s_mov_b32 s19, exec_lo
	v_cmpx_lt_u32_e32 0xffffff, v4
	s_cbranch_execz .LBB243_3377
; %bb.3370:                             ;   in Loop: Header=BB243_2086 Depth=1
	v_mov_b32_e32 v8, v7
	v_mov_b32_e32 v26, v9
	v_cmp_ne_u32_sdwa s8, v4, v75 src0_sel:BYTE_3 src1_sel:DWORD
	v_mov_b32_e32 v25, v8
	s_and_saveexec_b32 s21, s8
	s_cbranch_execz .LBB243_3376
; %bb.3371:                             ;   in Loop: Header=BB243_2086 Depth=1
	v_mov_b32_e32 v10, v7
	v_mov_b32_e32 v26, v11
	v_bfe_u32 v8, v4, 24, 7
	s_mov_b32 s22, exec_lo
	v_mov_b32_e32 v25, v10
	v_cmpx_ne_u32_e32 0x7f, v8
	s_cbranch_execz .LBB243_3375
; %bb.3372:                             ;   in Loop: Header=BB243_2086 Depth=1
	v_and_b32_sdwa v6, v4, v30 dst_sel:DWORD dst_unused:UNUSED_PAD src0_sel:BYTE_3 src1_sel:DWORD
	v_mov_b32_e32 v26, v7
	v_lshrrev_b32_e32 v5, 3, v8
	s_mov_b32 s23, exec_lo
	v_mov_b32_e32 v25, v6
	v_cmpx_gt_u32_e32 8, v8
; %bb.3373:                             ;   in Loop: Header=BB243_2086 Depth=1
	v_ffbh_u32_e32 v5, v6
	v_min_u32_e32 v5, 32, v5
	v_subrev_nc_u32_e32 v8, 28, v5
	v_sub_nc_u32_e32 v5, 29, v5
	v_lshlrev_b64 v[25:26], v8, v[6:7]
	v_and_b32_e32 v25, 7, v25
; %bb.3374:                             ;   in Loop: Header=BB243_2086 Depth=1
	s_or_b32 exec_lo, exec_lo, s23
	v_lshlrev_b32_sdwa v4, v79, v4 dst_sel:DWORD dst_unused:UNUSED_PAD src0_sel:DWORD src1_sel:BYTE_3
	v_lshlrev_b32_e32 v6, 20, v25
	v_lshl_add_u32 v5, v5, 23, 0x3c000000
	v_mov_b32_e32 v25, v7
	v_and_b32_e32 v4, 0x80000000, v4
	v_or3_b32 v26, v6, v4, v5
.LBB243_3375:                           ;   in Loop: Header=BB243_2086 Depth=1
	s_or_b32 exec_lo, exec_lo, s22
.LBB243_3376:                           ;   in Loop: Header=BB243_2086 Depth=1
	s_or_b32 exec_lo, exec_lo, s21
.LBB243_3377:                           ;   in Loop: Header=BB243_2086 Depth=1
	s_or_b32 exec_lo, exec_lo, s19
	v_or_b32_e32 v4, v24, v22
	v_or_b32_e32 v5, v23, v21
	;; [unrolled: 1-line block ×4, first 2 shown]
	v_mul_f32_e32 v4, v106, v4
	buffer_store_dword v4, off, s[0:3], s32 offset:1444 ; 4-byte Folded Spill
	v_mul_f32_e32 v4, v106, v5
	buffer_store_dword v4, off, s[0:3], s32 offset:1436 ; 4-byte Folded Spill
	v_mul_f32_e32 v4, v106, v6
	buffer_store_dword v4, off, s[0:3], s32 offset:1428 ; 4-byte Folded Spill
	v_mul_f32_e32 v4, v106, v8
	buffer_store_dword v4, off, s[0:3], s32 offset:1420 ; 4-byte Folded Spill
	s_and_saveexec_b32 s8, vcc_lo
	s_cbranch_execz .LBB243_3379
; %bb.3378:                             ;   in Loop: Header=BB243_2086 Depth=1
	buffer_load_dword v4, off, s[0:3], s32 offset:1436 ; 4-byte Folded Reload
	s_waitcnt vmcnt(0)
	v_cndmask_b32_e64 v4, 0, v4, s4
	buffer_store_dword v4, off, s[0:3], s32 offset:1436 ; 4-byte Folded Spill
	buffer_load_dword v4, off, s[0:3], s32 offset:1444 ; 4-byte Folded Reload
	s_waitcnt vmcnt(0)
	v_cndmask_b32_e64 v4, 0, v4, s5
	buffer_store_dword v4, off, s[0:3], s32 offset:1444 ; 4-byte Folded Spill
	;; [unrolled: 4-line block ×4, first 2 shown]
.LBB243_3379:                           ;   in Loop: Header=BB243_2086 Depth=1
	s_or_b32 exec_lo, exec_lo, s8
	flat_load_dword v4, v[19:20] offset:768
	v_mov_b32_e32 v23, 0
	v_mov_b32_e32 v21, 0
	;; [unrolled: 1-line block ×4, first 2 shown]
	s_waitcnt vmcnt(0) lgkmcnt(0)
	v_cmp_ne_u16_sdwa s8, v4, v7 src0_sel:BYTE_0 src1_sel:DWORD
	s_and_saveexec_b32 s19, s8
	s_cbranch_execz .LBB243_3387
; %bb.3380:                             ;   in Loop: Header=BB243_2086 Depth=1
	v_bfrev_b32_e32 v21, 1
	v_mov_b32_e32 v22, 0
	v_cmp_ne_u16_sdwa s8, v4, v75 src0_sel:BYTE_0 src1_sel:DWORD
	s_and_saveexec_b32 s21, s8
	s_cbranch_execz .LBB243_3386
; %bb.3381:                             ;   in Loop: Header=BB243_2086 Depth=1
	v_mov_b32_e32 v21, 0x7f800001
	v_and_b32_e32 v8, 0x7f, v4
	v_mov_b32_e32 v22, 0
	s_mov_b32 s22, exec_lo
	v_cmpx_ne_u32_e32 0x7f, v8
	s_cbranch_execz .LBB243_3385
; %bb.3382:                             ;   in Loop: Header=BB243_2086 Depth=1
	v_and_b32_e32 v6, 7, v4
	v_mov_b32_e32 v22, v7
	v_lshrrev_b32_e32 v5, 3, v8
	s_mov_b32 s23, exec_lo
	v_mov_b32_e32 v21, v6
	v_cmpx_gt_u32_e32 8, v8
; %bb.3383:                             ;   in Loop: Header=BB243_2086 Depth=1
	v_ffbh_u32_e32 v5, v6
	v_min_u32_e32 v5, 32, v5
	v_subrev_nc_u32_e32 v8, 28, v5
	v_sub_nc_u32_e32 v5, 29, v5
	v_lshlrev_b64 v[21:22], v8, v[6:7]
	v_and_b32_e32 v21, 7, v21
; %bb.3384:                             ;   in Loop: Header=BB243_2086 Depth=1
	s_or_b32 exec_lo, exec_lo, s23
	v_lshlrev_b32_e32 v6, 24, v4
	v_lshlrev_b32_e32 v8, 20, v21
	v_lshl_add_u32 v5, v5, 23, 0x3c000000
	v_and_b32_e32 v6, 0x80000000, v6
	v_or3_b32 v6, v8, v6, v5
	v_mov_b32_e32 v22, v7
	v_mov_b32_e32 v21, v6
.LBB243_3385:                           ;   in Loop: Header=BB243_2086 Depth=1
	s_or_b32 exec_lo, exec_lo, s22
.LBB243_3386:                           ;   in Loop: Header=BB243_2086 Depth=1
	s_or_b32 exec_lo, exec_lo, s21
.LBB243_3387:                           ;   in Loop: Header=BB243_2086 Depth=1
	s_or_b32 exec_lo, exec_lo, s19
	v_cmp_ne_u16_sdwa s8, v4, v7 src0_sel:BYTE_1 src1_sel:DWORD
	s_and_saveexec_b32 s19, s8
	s_cbranch_execz .LBB243_3395
; %bb.3388:                             ;   in Loop: Header=BB243_2086 Depth=1
	v_mov_b32_e32 v8, v7
	v_mov_b32_e32 v24, v9
	v_cmp_ne_u16_sdwa s8, v4, v75 src0_sel:BYTE_1 src1_sel:DWORD
	v_mov_b32_e32 v23, v8
	s_and_saveexec_b32 s21, s8
	s_cbranch_execz .LBB243_3394
; %bb.3389:                             ;   in Loop: Header=BB243_2086 Depth=1
	v_mov_b32_e32 v5, 0xffff
	v_mov_b32_e32 v10, v7
	;; [unrolled: 1-line block ×3, first 2 shown]
	s_mov_b32 s22, exec_lo
	v_and_b32_sdwa v5, v5, v4 dst_sel:DWORD dst_unused:UNUSED_PAD src0_sel:DWORD src1_sel:BYTE_1
	v_mov_b32_e32 v23, v10
	v_and_b32_e32 v8, 0x7f, v5
	v_cmpx_ne_u32_e32 0x7f, v8
	s_cbranch_execz .LBB243_3393
; %bb.3390:                             ;   in Loop: Header=BB243_2086 Depth=1
	v_and_b32_e32 v6, 7, v5
	v_mov_b32_e32 v24, v7
	v_lshrrev_b32_e32 v5, 3, v8
	s_mov_b32 s23, exec_lo
	v_mov_b32_e32 v23, v6
	v_cmpx_gt_u32_e32 8, v8
; %bb.3391:                             ;   in Loop: Header=BB243_2086 Depth=1
	v_ffbh_u32_e32 v5, v6
	v_min_u32_e32 v5, 32, v5
	v_subrev_nc_u32_e32 v8, 28, v5
	v_sub_nc_u32_e32 v5, 29, v5
	v_lshlrev_b64 v[23:24], v8, v[6:7]
	v_and_b32_e32 v23, 7, v23
; %bb.3392:                             ;   in Loop: Header=BB243_2086 Depth=1
	s_or_b32 exec_lo, exec_lo, s23
	v_lshlrev_b32_e32 v6, 16, v4
	v_lshlrev_b32_e32 v8, 20, v23
	v_lshl_add_u32 v5, v5, 23, 0x3c000000
	v_mov_b32_e32 v23, v7
	v_and_b32_e32 v6, 0x80000000, v6
	v_or3_b32 v24, v8, v6, v5
.LBB243_3393:                           ;   in Loop: Header=BB243_2086 Depth=1
	s_or_b32 exec_lo, exec_lo, s22
.LBB243_3394:                           ;   in Loop: Header=BB243_2086 Depth=1
	s_or_b32 exec_lo, exec_lo, s21
.LBB243_3395:                           ;   in Loop: Header=BB243_2086 Depth=1
	s_or_b32 exec_lo, exec_lo, s19
	v_mov_b32_e32 v25, 0
	v_mov_b32_e32 v27, 0
	v_and_b32_sdwa v5, v4, v77 dst_sel:DWORD dst_unused:UNUSED_PAD src0_sel:WORD_1 src1_sel:DWORD
	v_mov_b32_e32 v26, 0
	v_mov_b32_e32 v28, 0
	s_mov_b32 s19, exec_lo
	v_cmpx_ne_u16_e32 0, v5
	s_cbranch_execz .LBB243_3403
; %bb.3396:                             ;   in Loop: Header=BB243_2086 Depth=1
	v_bfrev_b32_e32 v27, 1
	v_mov_b32_e32 v28, 0
	s_mov_b32 s21, exec_lo
	v_cmpx_ne_u16_e32 0x80, v5
	s_cbranch_execz .LBB243_3402
; %bb.3397:                             ;   in Loop: Header=BB243_2086 Depth=1
	v_mov_b32_e32 v27, 0x7f800001
	v_bfe_u32 v8, v4, 16, 7
	v_mov_b32_e32 v28, 0
	s_mov_b32 s22, exec_lo
	v_cmpx_ne_u32_e32 0x7f, v8
	s_cbranch_execz .LBB243_3401
; %bb.3398:                             ;   in Loop: Header=BB243_2086 Depth=1
	v_and_b32_sdwa v6, v4, v30 dst_sel:DWORD dst_unused:UNUSED_PAD src0_sel:WORD_1 src1_sel:DWORD
	v_mov_b32_e32 v28, v7
	v_lshrrev_b32_e32 v5, 3, v8
	s_mov_b32 s23, exec_lo
	v_mov_b32_e32 v27, v6
	v_cmpx_gt_u32_e32 8, v8
; %bb.3399:                             ;   in Loop: Header=BB243_2086 Depth=1
	v_ffbh_u32_e32 v5, v6
	v_min_u32_e32 v5, 32, v5
	v_subrev_nc_u32_e32 v8, 28, v5
	v_sub_nc_u32_e32 v5, 29, v5
	v_lshlrev_b64 v[27:28], v8, v[6:7]
	v_and_b32_e32 v27, 7, v27
; %bb.3400:                             ;   in Loop: Header=BB243_2086 Depth=1
	s_or_b32 exec_lo, exec_lo, s23
	v_lshlrev_b32_sdwa v6, v79, v4 dst_sel:DWORD dst_unused:UNUSED_PAD src0_sel:DWORD src1_sel:WORD_1
	v_lshlrev_b32_e32 v8, 20, v27
	v_lshl_add_u32 v5, v5, 23, 0x3c000000
	v_and_b32_e32 v6, 0x80000000, v6
	v_or3_b32 v6, v8, v6, v5
	v_mov_b32_e32 v28, v7
	v_mov_b32_e32 v27, v6
.LBB243_3401:                           ;   in Loop: Header=BB243_2086 Depth=1
	s_or_b32 exec_lo, exec_lo, s22
.LBB243_3402:                           ;   in Loop: Header=BB243_2086 Depth=1
	s_or_b32 exec_lo, exec_lo, s21
.LBB243_3403:                           ;   in Loop: Header=BB243_2086 Depth=1
	s_or_b32 exec_lo, exec_lo, s19
	s_mov_b32 s19, exec_lo
	v_cmpx_lt_u32_e32 0xffffff, v4
	s_cbranch_execz .LBB243_3411
; %bb.3404:                             ;   in Loop: Header=BB243_2086 Depth=1
	v_mov_b32_e32 v8, v7
	v_mov_b32_e32 v26, v9
	v_cmp_ne_u32_sdwa s8, v4, v75 src0_sel:BYTE_3 src1_sel:DWORD
	v_mov_b32_e32 v25, v8
	s_and_saveexec_b32 s21, s8
	s_cbranch_execz .LBB243_3410
; %bb.3405:                             ;   in Loop: Header=BB243_2086 Depth=1
	v_mov_b32_e32 v10, v7
	v_mov_b32_e32 v26, v11
	v_bfe_u32 v8, v4, 24, 7
	s_mov_b32 s22, exec_lo
	v_mov_b32_e32 v25, v10
	v_cmpx_ne_u32_e32 0x7f, v8
	s_cbranch_execz .LBB243_3409
; %bb.3406:                             ;   in Loop: Header=BB243_2086 Depth=1
	v_and_b32_sdwa v6, v4, v30 dst_sel:DWORD dst_unused:UNUSED_PAD src0_sel:BYTE_3 src1_sel:DWORD
	v_mov_b32_e32 v26, v7
	v_lshrrev_b32_e32 v5, 3, v8
	s_mov_b32 s23, exec_lo
	v_mov_b32_e32 v25, v6
	v_cmpx_gt_u32_e32 8, v8
; %bb.3407:                             ;   in Loop: Header=BB243_2086 Depth=1
	v_ffbh_u32_e32 v5, v6
	v_min_u32_e32 v5, 32, v5
	v_subrev_nc_u32_e32 v8, 28, v5
	v_sub_nc_u32_e32 v5, 29, v5
	v_lshlrev_b64 v[25:26], v8, v[6:7]
	v_and_b32_e32 v25, 7, v25
; %bb.3408:                             ;   in Loop: Header=BB243_2086 Depth=1
	s_or_b32 exec_lo, exec_lo, s23
	v_lshlrev_b32_sdwa v4, v79, v4 dst_sel:DWORD dst_unused:UNUSED_PAD src0_sel:DWORD src1_sel:BYTE_3
	v_lshlrev_b32_e32 v6, 20, v25
	v_lshl_add_u32 v5, v5, 23, 0x3c000000
	v_mov_b32_e32 v25, v7
	v_and_b32_e32 v4, 0x80000000, v4
	v_or3_b32 v26, v6, v4, v5
.LBB243_3409:                           ;   in Loop: Header=BB243_2086 Depth=1
	s_or_b32 exec_lo, exec_lo, s22
.LBB243_3410:                           ;   in Loop: Header=BB243_2086 Depth=1
	s_or_b32 exec_lo, exec_lo, s21
.LBB243_3411:                           ;   in Loop: Header=BB243_2086 Depth=1
	s_or_b32 exec_lo, exec_lo, s19
	v_or_b32_e32 v4, v24, v22
	v_or_b32_e32 v5, v23, v21
	;; [unrolled: 1-line block ×4, first 2 shown]
	v_mul_f32_e32 v4, v106, v4
	buffer_store_dword v4, off, s[0:3], s32 offset:1476 ; 4-byte Folded Spill
	v_mul_f32_e32 v4, v106, v5
	buffer_store_dword v4, off, s[0:3], s32 offset:1468 ; 4-byte Folded Spill
	;; [unrolled: 2-line block ×4, first 2 shown]
	s_and_saveexec_b32 s8, vcc_lo
	s_cbranch_execz .LBB243_3413
; %bb.3412:                             ;   in Loop: Header=BB243_2086 Depth=1
	buffer_load_dword v4, off, s[0:3], s32 offset:1468 ; 4-byte Folded Reload
	s_waitcnt vmcnt(0)
	v_cndmask_b32_e64 v4, 0, v4, s4
	buffer_store_dword v4, off, s[0:3], s32 offset:1468 ; 4-byte Folded Spill
	buffer_load_dword v4, off, s[0:3], s32 offset:1476 ; 4-byte Folded Reload
	s_waitcnt vmcnt(0)
	v_cndmask_b32_e64 v4, 0, v4, s5
	buffer_store_dword v4, off, s[0:3], s32 offset:1476 ; 4-byte Folded Spill
	;; [unrolled: 4-line block ×4, first 2 shown]
.LBB243_3413:                           ;   in Loop: Header=BB243_2086 Depth=1
	s_or_b32 exec_lo, exec_lo, s8
	flat_load_dword v4, v[19:20] offset:896
	v_mov_b32_e32 v23, 0
	v_mov_b32_e32 v21, 0
	;; [unrolled: 1-line block ×4, first 2 shown]
	s_waitcnt vmcnt(0) lgkmcnt(0)
	v_cmp_ne_u16_sdwa s8, v4, v7 src0_sel:BYTE_0 src1_sel:DWORD
	s_and_saveexec_b32 s19, s8
	s_cbranch_execz .LBB243_3421
; %bb.3414:                             ;   in Loop: Header=BB243_2086 Depth=1
	v_bfrev_b32_e32 v21, 1
	v_mov_b32_e32 v22, 0
	v_cmp_ne_u16_sdwa s8, v4, v75 src0_sel:BYTE_0 src1_sel:DWORD
	s_and_saveexec_b32 s21, s8
	s_cbranch_execz .LBB243_3420
; %bb.3415:                             ;   in Loop: Header=BB243_2086 Depth=1
	v_mov_b32_e32 v21, 0x7f800001
	v_and_b32_e32 v8, 0x7f, v4
	v_mov_b32_e32 v22, 0
	s_mov_b32 s22, exec_lo
	v_cmpx_ne_u32_e32 0x7f, v8
	s_cbranch_execz .LBB243_3419
; %bb.3416:                             ;   in Loop: Header=BB243_2086 Depth=1
	v_and_b32_e32 v6, 7, v4
	v_mov_b32_e32 v22, v7
	v_lshrrev_b32_e32 v5, 3, v8
	s_mov_b32 s23, exec_lo
	v_mov_b32_e32 v21, v6
	v_cmpx_gt_u32_e32 8, v8
; %bb.3417:                             ;   in Loop: Header=BB243_2086 Depth=1
	v_ffbh_u32_e32 v5, v6
	v_min_u32_e32 v5, 32, v5
	v_subrev_nc_u32_e32 v8, 28, v5
	v_sub_nc_u32_e32 v5, 29, v5
	v_lshlrev_b64 v[21:22], v8, v[6:7]
	v_and_b32_e32 v21, 7, v21
; %bb.3418:                             ;   in Loop: Header=BB243_2086 Depth=1
	s_or_b32 exec_lo, exec_lo, s23
	v_lshlrev_b32_e32 v6, 24, v4
	v_lshlrev_b32_e32 v8, 20, v21
	v_lshl_add_u32 v5, v5, 23, 0x3c000000
	v_and_b32_e32 v6, 0x80000000, v6
	v_or3_b32 v6, v8, v6, v5
	v_mov_b32_e32 v22, v7
	v_mov_b32_e32 v21, v6
.LBB243_3419:                           ;   in Loop: Header=BB243_2086 Depth=1
	s_or_b32 exec_lo, exec_lo, s22
.LBB243_3420:                           ;   in Loop: Header=BB243_2086 Depth=1
	s_or_b32 exec_lo, exec_lo, s21
.LBB243_3421:                           ;   in Loop: Header=BB243_2086 Depth=1
	s_or_b32 exec_lo, exec_lo, s19
	v_cmp_ne_u16_sdwa s8, v4, v7 src0_sel:BYTE_1 src1_sel:DWORD
	s_and_saveexec_b32 s19, s8
	s_cbranch_execz .LBB243_3429
; %bb.3422:                             ;   in Loop: Header=BB243_2086 Depth=1
	v_mov_b32_e32 v8, v7
	v_mov_b32_e32 v24, v9
	v_cmp_ne_u16_sdwa s8, v4, v75 src0_sel:BYTE_1 src1_sel:DWORD
	v_mov_b32_e32 v23, v8
	s_and_saveexec_b32 s21, s8
	s_cbranch_execz .LBB243_3428
; %bb.3423:                             ;   in Loop: Header=BB243_2086 Depth=1
	v_mov_b32_e32 v5, 0xffff
	v_mov_b32_e32 v10, v7
	;; [unrolled: 1-line block ×3, first 2 shown]
	s_mov_b32 s22, exec_lo
	v_and_b32_sdwa v5, v5, v4 dst_sel:DWORD dst_unused:UNUSED_PAD src0_sel:DWORD src1_sel:BYTE_1
	v_mov_b32_e32 v23, v10
	v_and_b32_e32 v8, 0x7f, v5
	v_cmpx_ne_u32_e32 0x7f, v8
	s_cbranch_execz .LBB243_3427
; %bb.3424:                             ;   in Loop: Header=BB243_2086 Depth=1
	v_and_b32_e32 v6, 7, v5
	v_mov_b32_e32 v24, v7
	v_lshrrev_b32_e32 v5, 3, v8
	s_mov_b32 s23, exec_lo
	v_mov_b32_e32 v23, v6
	v_cmpx_gt_u32_e32 8, v8
; %bb.3425:                             ;   in Loop: Header=BB243_2086 Depth=1
	v_ffbh_u32_e32 v5, v6
	v_min_u32_e32 v5, 32, v5
	v_subrev_nc_u32_e32 v8, 28, v5
	v_sub_nc_u32_e32 v5, 29, v5
	v_lshlrev_b64 v[23:24], v8, v[6:7]
	v_and_b32_e32 v23, 7, v23
; %bb.3426:                             ;   in Loop: Header=BB243_2086 Depth=1
	s_or_b32 exec_lo, exec_lo, s23
	v_lshlrev_b32_e32 v6, 16, v4
	v_lshlrev_b32_e32 v8, 20, v23
	v_lshl_add_u32 v5, v5, 23, 0x3c000000
	v_mov_b32_e32 v23, v7
	v_and_b32_e32 v6, 0x80000000, v6
	v_or3_b32 v24, v8, v6, v5
.LBB243_3427:                           ;   in Loop: Header=BB243_2086 Depth=1
	s_or_b32 exec_lo, exec_lo, s22
.LBB243_3428:                           ;   in Loop: Header=BB243_2086 Depth=1
	s_or_b32 exec_lo, exec_lo, s21
.LBB243_3429:                           ;   in Loop: Header=BB243_2086 Depth=1
	s_or_b32 exec_lo, exec_lo, s19
	v_mov_b32_e32 v25, 0
	v_mov_b32_e32 v27, 0
	v_and_b32_sdwa v5, v4, v77 dst_sel:DWORD dst_unused:UNUSED_PAD src0_sel:WORD_1 src1_sel:DWORD
	v_mov_b32_e32 v26, 0
	v_mov_b32_e32 v28, 0
	s_mov_b32 s19, exec_lo
	v_cmpx_ne_u16_e32 0, v5
	s_cbranch_execz .LBB243_3437
; %bb.3430:                             ;   in Loop: Header=BB243_2086 Depth=1
	v_bfrev_b32_e32 v27, 1
	v_mov_b32_e32 v28, 0
	s_mov_b32 s21, exec_lo
	v_cmpx_ne_u16_e32 0x80, v5
	s_cbranch_execz .LBB243_3436
; %bb.3431:                             ;   in Loop: Header=BB243_2086 Depth=1
	v_mov_b32_e32 v27, 0x7f800001
	v_bfe_u32 v8, v4, 16, 7
	v_mov_b32_e32 v28, 0
	s_mov_b32 s22, exec_lo
	v_cmpx_ne_u32_e32 0x7f, v8
	s_cbranch_execz .LBB243_3435
; %bb.3432:                             ;   in Loop: Header=BB243_2086 Depth=1
	v_and_b32_sdwa v6, v4, v30 dst_sel:DWORD dst_unused:UNUSED_PAD src0_sel:WORD_1 src1_sel:DWORD
	v_mov_b32_e32 v28, v7
	v_lshrrev_b32_e32 v5, 3, v8
	s_mov_b32 s23, exec_lo
	v_mov_b32_e32 v27, v6
	v_cmpx_gt_u32_e32 8, v8
; %bb.3433:                             ;   in Loop: Header=BB243_2086 Depth=1
	v_ffbh_u32_e32 v5, v6
	v_min_u32_e32 v5, 32, v5
	v_subrev_nc_u32_e32 v8, 28, v5
	v_sub_nc_u32_e32 v5, 29, v5
	v_lshlrev_b64 v[27:28], v8, v[6:7]
	v_and_b32_e32 v27, 7, v27
; %bb.3434:                             ;   in Loop: Header=BB243_2086 Depth=1
	s_or_b32 exec_lo, exec_lo, s23
	v_lshlrev_b32_sdwa v6, v79, v4 dst_sel:DWORD dst_unused:UNUSED_PAD src0_sel:DWORD src1_sel:WORD_1
	v_lshlrev_b32_e32 v8, 20, v27
	v_lshl_add_u32 v5, v5, 23, 0x3c000000
	v_and_b32_e32 v6, 0x80000000, v6
	v_or3_b32 v6, v8, v6, v5
	v_mov_b32_e32 v28, v7
	v_mov_b32_e32 v27, v6
.LBB243_3435:                           ;   in Loop: Header=BB243_2086 Depth=1
	s_or_b32 exec_lo, exec_lo, s22
.LBB243_3436:                           ;   in Loop: Header=BB243_2086 Depth=1
	s_or_b32 exec_lo, exec_lo, s21
.LBB243_3437:                           ;   in Loop: Header=BB243_2086 Depth=1
	s_or_b32 exec_lo, exec_lo, s19
	s_mov_b32 s19, exec_lo
	v_cmpx_lt_u32_e32 0xffffff, v4
	s_cbranch_execz .LBB243_3445
; %bb.3438:                             ;   in Loop: Header=BB243_2086 Depth=1
	v_mov_b32_e32 v8, v7
	v_mov_b32_e32 v26, v9
	v_cmp_ne_u32_sdwa s8, v4, v75 src0_sel:BYTE_3 src1_sel:DWORD
	v_mov_b32_e32 v25, v8
	s_and_saveexec_b32 s21, s8
	s_cbranch_execz .LBB243_3444
; %bb.3439:                             ;   in Loop: Header=BB243_2086 Depth=1
	v_mov_b32_e32 v10, v7
	v_mov_b32_e32 v26, v11
	v_bfe_u32 v8, v4, 24, 7
	s_mov_b32 s22, exec_lo
	v_mov_b32_e32 v25, v10
	v_cmpx_ne_u32_e32 0x7f, v8
	s_cbranch_execz .LBB243_3443
; %bb.3440:                             ;   in Loop: Header=BB243_2086 Depth=1
	v_and_b32_sdwa v6, v4, v30 dst_sel:DWORD dst_unused:UNUSED_PAD src0_sel:BYTE_3 src1_sel:DWORD
	v_mov_b32_e32 v26, v7
	v_lshrrev_b32_e32 v5, 3, v8
	s_mov_b32 s23, exec_lo
	v_mov_b32_e32 v25, v6
	v_cmpx_gt_u32_e32 8, v8
; %bb.3441:                             ;   in Loop: Header=BB243_2086 Depth=1
	v_ffbh_u32_e32 v5, v6
	v_min_u32_e32 v5, 32, v5
	v_subrev_nc_u32_e32 v8, 28, v5
	v_sub_nc_u32_e32 v5, 29, v5
	v_lshlrev_b64 v[25:26], v8, v[6:7]
	v_and_b32_e32 v25, 7, v25
; %bb.3442:                             ;   in Loop: Header=BB243_2086 Depth=1
	s_or_b32 exec_lo, exec_lo, s23
	v_lshlrev_b32_sdwa v4, v79, v4 dst_sel:DWORD dst_unused:UNUSED_PAD src0_sel:DWORD src1_sel:BYTE_3
	v_lshlrev_b32_e32 v6, 20, v25
	v_lshl_add_u32 v5, v5, 23, 0x3c000000
	v_mov_b32_e32 v25, v7
	v_and_b32_e32 v4, 0x80000000, v4
	v_or3_b32 v26, v6, v4, v5
.LBB243_3443:                           ;   in Loop: Header=BB243_2086 Depth=1
	s_or_b32 exec_lo, exec_lo, s22
.LBB243_3444:                           ;   in Loop: Header=BB243_2086 Depth=1
	s_or_b32 exec_lo, exec_lo, s21
.LBB243_3445:                           ;   in Loop: Header=BB243_2086 Depth=1
	s_or_b32 exec_lo, exec_lo, s19
	v_or_b32_e32 v4, v24, v22
	v_or_b32_e32 v5, v23, v21
	;; [unrolled: 1-line block ×4, first 2 shown]
	v_mul_f32_e32 v116, v106, v4
	v_mul_f32_e32 v115, v106, v5
	;; [unrolled: 1-line block ×4, first 2 shown]
	s_and_saveexec_b32 s8, vcc_lo
; %bb.3446:                             ;   in Loop: Header=BB243_2086 Depth=1
	v_cndmask_b32_e64 v115, 0, v115, s4
	v_cndmask_b32_e64 v116, 0, v116, s5
	v_cndmask_b32_e64 v114, 0, v114, s6
	v_cndmask_b32_e64 v113, 0, v113, s7
; %bb.3447:                             ;   in Loop: Header=BB243_2086 Depth=1
	s_or_b32 exec_lo, exec_lo, s8
	flat_load_dword v4, v[19:20] offset:1024
	v_mov_b32_e32 v23, 0
	v_mov_b32_e32 v21, 0
	;; [unrolled: 1-line block ×4, first 2 shown]
	s_waitcnt vmcnt(0) lgkmcnt(0)
	v_cmp_ne_u16_sdwa s8, v4, v7 src0_sel:BYTE_0 src1_sel:DWORD
	s_and_saveexec_b32 s19, s8
	s_cbranch_execz .LBB243_3455
; %bb.3448:                             ;   in Loop: Header=BB243_2086 Depth=1
	v_bfrev_b32_e32 v21, 1
	v_mov_b32_e32 v22, 0
	v_cmp_ne_u16_sdwa s8, v4, v75 src0_sel:BYTE_0 src1_sel:DWORD
	s_and_saveexec_b32 s21, s8
	s_cbranch_execz .LBB243_3454
; %bb.3449:                             ;   in Loop: Header=BB243_2086 Depth=1
	v_mov_b32_e32 v21, 0x7f800001
	v_and_b32_e32 v8, 0x7f, v4
	v_mov_b32_e32 v22, 0
	s_mov_b32 s22, exec_lo
	v_cmpx_ne_u32_e32 0x7f, v8
	s_cbranch_execz .LBB243_3453
; %bb.3450:                             ;   in Loop: Header=BB243_2086 Depth=1
	v_and_b32_e32 v6, 7, v4
	v_mov_b32_e32 v22, v7
	v_lshrrev_b32_e32 v5, 3, v8
	s_mov_b32 s23, exec_lo
	v_mov_b32_e32 v21, v6
	v_cmpx_gt_u32_e32 8, v8
; %bb.3451:                             ;   in Loop: Header=BB243_2086 Depth=1
	v_ffbh_u32_e32 v5, v6
	v_min_u32_e32 v5, 32, v5
	v_subrev_nc_u32_e32 v8, 28, v5
	v_sub_nc_u32_e32 v5, 29, v5
	v_lshlrev_b64 v[21:22], v8, v[6:7]
	v_and_b32_e32 v21, 7, v21
; %bb.3452:                             ;   in Loop: Header=BB243_2086 Depth=1
	s_or_b32 exec_lo, exec_lo, s23
	v_lshlrev_b32_e32 v6, 24, v4
	v_lshlrev_b32_e32 v8, 20, v21
	v_lshl_add_u32 v5, v5, 23, 0x3c000000
	v_and_b32_e32 v6, 0x80000000, v6
	v_or3_b32 v6, v8, v6, v5
	v_mov_b32_e32 v22, v7
	v_mov_b32_e32 v21, v6
.LBB243_3453:                           ;   in Loop: Header=BB243_2086 Depth=1
	s_or_b32 exec_lo, exec_lo, s22
.LBB243_3454:                           ;   in Loop: Header=BB243_2086 Depth=1
	s_or_b32 exec_lo, exec_lo, s21
.LBB243_3455:                           ;   in Loop: Header=BB243_2086 Depth=1
	s_or_b32 exec_lo, exec_lo, s19
	v_cmp_ne_u16_sdwa s8, v4, v7 src0_sel:BYTE_1 src1_sel:DWORD
	s_and_saveexec_b32 s19, s8
	s_cbranch_execz .LBB243_3463
; %bb.3456:                             ;   in Loop: Header=BB243_2086 Depth=1
	v_mov_b32_e32 v8, v7
	v_mov_b32_e32 v24, v9
	v_cmp_ne_u16_sdwa s8, v4, v75 src0_sel:BYTE_1 src1_sel:DWORD
	v_mov_b32_e32 v23, v8
	s_and_saveexec_b32 s21, s8
	s_cbranch_execz .LBB243_3462
; %bb.3457:                             ;   in Loop: Header=BB243_2086 Depth=1
	v_mov_b32_e32 v5, 0xffff
	v_mov_b32_e32 v10, v7
	;; [unrolled: 1-line block ×3, first 2 shown]
	s_mov_b32 s22, exec_lo
	v_and_b32_sdwa v5, v5, v4 dst_sel:DWORD dst_unused:UNUSED_PAD src0_sel:DWORD src1_sel:BYTE_1
	v_mov_b32_e32 v23, v10
	v_and_b32_e32 v8, 0x7f, v5
	v_cmpx_ne_u32_e32 0x7f, v8
	s_cbranch_execz .LBB243_3461
; %bb.3458:                             ;   in Loop: Header=BB243_2086 Depth=1
	v_and_b32_e32 v6, 7, v5
	v_mov_b32_e32 v24, v7
	v_lshrrev_b32_e32 v5, 3, v8
	s_mov_b32 s23, exec_lo
	v_mov_b32_e32 v23, v6
	v_cmpx_gt_u32_e32 8, v8
; %bb.3459:                             ;   in Loop: Header=BB243_2086 Depth=1
	v_ffbh_u32_e32 v5, v6
	v_min_u32_e32 v5, 32, v5
	v_subrev_nc_u32_e32 v8, 28, v5
	v_sub_nc_u32_e32 v5, 29, v5
	v_lshlrev_b64 v[23:24], v8, v[6:7]
	v_and_b32_e32 v23, 7, v23
; %bb.3460:                             ;   in Loop: Header=BB243_2086 Depth=1
	s_or_b32 exec_lo, exec_lo, s23
	v_lshlrev_b32_e32 v6, 16, v4
	v_lshlrev_b32_e32 v8, 20, v23
	v_lshl_add_u32 v5, v5, 23, 0x3c000000
	v_mov_b32_e32 v23, v7
	v_and_b32_e32 v6, 0x80000000, v6
	v_or3_b32 v24, v8, v6, v5
.LBB243_3461:                           ;   in Loop: Header=BB243_2086 Depth=1
	s_or_b32 exec_lo, exec_lo, s22
.LBB243_3462:                           ;   in Loop: Header=BB243_2086 Depth=1
	s_or_b32 exec_lo, exec_lo, s21
.LBB243_3463:                           ;   in Loop: Header=BB243_2086 Depth=1
	s_or_b32 exec_lo, exec_lo, s19
	v_mov_b32_e32 v25, 0
	v_mov_b32_e32 v27, 0
	v_and_b32_sdwa v5, v4, v77 dst_sel:DWORD dst_unused:UNUSED_PAD src0_sel:WORD_1 src1_sel:DWORD
	v_mov_b32_e32 v26, 0
	v_mov_b32_e32 v28, 0
	s_mov_b32 s19, exec_lo
	v_cmpx_ne_u16_e32 0, v5
	s_cbranch_execz .LBB243_3471
; %bb.3464:                             ;   in Loop: Header=BB243_2086 Depth=1
	v_bfrev_b32_e32 v27, 1
	v_mov_b32_e32 v28, 0
	s_mov_b32 s21, exec_lo
	v_cmpx_ne_u16_e32 0x80, v5
	s_cbranch_execz .LBB243_3470
; %bb.3465:                             ;   in Loop: Header=BB243_2086 Depth=1
	v_mov_b32_e32 v27, 0x7f800001
	v_bfe_u32 v8, v4, 16, 7
	v_mov_b32_e32 v28, 0
	s_mov_b32 s22, exec_lo
	v_cmpx_ne_u32_e32 0x7f, v8
	s_cbranch_execz .LBB243_3469
; %bb.3466:                             ;   in Loop: Header=BB243_2086 Depth=1
	v_and_b32_sdwa v6, v4, v30 dst_sel:DWORD dst_unused:UNUSED_PAD src0_sel:WORD_1 src1_sel:DWORD
	v_mov_b32_e32 v28, v7
	v_lshrrev_b32_e32 v5, 3, v8
	s_mov_b32 s23, exec_lo
	v_mov_b32_e32 v27, v6
	v_cmpx_gt_u32_e32 8, v8
; %bb.3467:                             ;   in Loop: Header=BB243_2086 Depth=1
	v_ffbh_u32_e32 v5, v6
	v_min_u32_e32 v5, 32, v5
	v_subrev_nc_u32_e32 v8, 28, v5
	v_sub_nc_u32_e32 v5, 29, v5
	v_lshlrev_b64 v[27:28], v8, v[6:7]
	v_and_b32_e32 v27, 7, v27
; %bb.3468:                             ;   in Loop: Header=BB243_2086 Depth=1
	s_or_b32 exec_lo, exec_lo, s23
	v_lshlrev_b32_sdwa v6, v79, v4 dst_sel:DWORD dst_unused:UNUSED_PAD src0_sel:DWORD src1_sel:WORD_1
	v_lshlrev_b32_e32 v8, 20, v27
	v_lshl_add_u32 v5, v5, 23, 0x3c000000
	v_and_b32_e32 v6, 0x80000000, v6
	v_or3_b32 v6, v8, v6, v5
	v_mov_b32_e32 v28, v7
	v_mov_b32_e32 v27, v6
.LBB243_3469:                           ;   in Loop: Header=BB243_2086 Depth=1
	s_or_b32 exec_lo, exec_lo, s22
.LBB243_3470:                           ;   in Loop: Header=BB243_2086 Depth=1
	s_or_b32 exec_lo, exec_lo, s21
.LBB243_3471:                           ;   in Loop: Header=BB243_2086 Depth=1
	s_or_b32 exec_lo, exec_lo, s19
	s_mov_b32 s19, exec_lo
	v_cmpx_lt_u32_e32 0xffffff, v4
	s_cbranch_execz .LBB243_3479
; %bb.3472:                             ;   in Loop: Header=BB243_2086 Depth=1
	v_mov_b32_e32 v8, v7
	v_mov_b32_e32 v26, v9
	v_cmp_ne_u32_sdwa s8, v4, v75 src0_sel:BYTE_3 src1_sel:DWORD
	v_mov_b32_e32 v25, v8
	s_and_saveexec_b32 s21, s8
	s_cbranch_execz .LBB243_3478
; %bb.3473:                             ;   in Loop: Header=BB243_2086 Depth=1
	v_mov_b32_e32 v10, v7
	v_mov_b32_e32 v26, v11
	v_bfe_u32 v8, v4, 24, 7
	s_mov_b32 s22, exec_lo
	v_mov_b32_e32 v25, v10
	v_cmpx_ne_u32_e32 0x7f, v8
	s_cbranch_execz .LBB243_3477
; %bb.3474:                             ;   in Loop: Header=BB243_2086 Depth=1
	v_and_b32_sdwa v6, v4, v30 dst_sel:DWORD dst_unused:UNUSED_PAD src0_sel:BYTE_3 src1_sel:DWORD
	v_mov_b32_e32 v26, v7
	v_lshrrev_b32_e32 v5, 3, v8
	s_mov_b32 s23, exec_lo
	v_mov_b32_e32 v25, v6
	v_cmpx_gt_u32_e32 8, v8
; %bb.3475:                             ;   in Loop: Header=BB243_2086 Depth=1
	v_ffbh_u32_e32 v5, v6
	v_min_u32_e32 v5, 32, v5
	v_subrev_nc_u32_e32 v8, 28, v5
	v_sub_nc_u32_e32 v5, 29, v5
	v_lshlrev_b64 v[25:26], v8, v[6:7]
	v_and_b32_e32 v25, 7, v25
; %bb.3476:                             ;   in Loop: Header=BB243_2086 Depth=1
	s_or_b32 exec_lo, exec_lo, s23
	v_lshlrev_b32_sdwa v4, v79, v4 dst_sel:DWORD dst_unused:UNUSED_PAD src0_sel:DWORD src1_sel:BYTE_3
	v_lshlrev_b32_e32 v6, 20, v25
	v_lshl_add_u32 v5, v5, 23, 0x3c000000
	v_mov_b32_e32 v25, v7
	v_and_b32_e32 v4, 0x80000000, v4
	v_or3_b32 v26, v6, v4, v5
.LBB243_3477:                           ;   in Loop: Header=BB243_2086 Depth=1
	s_or_b32 exec_lo, exec_lo, s22
.LBB243_3478:                           ;   in Loop: Header=BB243_2086 Depth=1
	s_or_b32 exec_lo, exec_lo, s21
.LBB243_3479:                           ;   in Loop: Header=BB243_2086 Depth=1
	s_or_b32 exec_lo, exec_lo, s19
	v_or_b32_e32 v4, v24, v22
	v_or_b32_e32 v5, v23, v21
	;; [unrolled: 1-line block ×4, first 2 shown]
	v_mul_f32_e32 v40, v106, v4
	v_mul_f32_e32 v119, v106, v5
	;; [unrolled: 1-line block ×4, first 2 shown]
	s_and_saveexec_b32 s8, vcc_lo
; %bb.3480:                             ;   in Loop: Header=BB243_2086 Depth=1
	v_cndmask_b32_e64 v119, 0, v119, s4
	v_cndmask_b32_e64 v40, 0, v40, s5
	;; [unrolled: 1-line block ×4, first 2 shown]
; %bb.3481:                             ;   in Loop: Header=BB243_2086 Depth=1
	s_or_b32 exec_lo, exec_lo, s8
	flat_load_dword v4, v[19:20] offset:1152
	v_mov_b32_e32 v23, 0
	v_mov_b32_e32 v21, 0
	;; [unrolled: 1-line block ×4, first 2 shown]
	s_waitcnt vmcnt(0) lgkmcnt(0)
	v_cmp_ne_u16_sdwa s8, v4, v7 src0_sel:BYTE_0 src1_sel:DWORD
	s_and_saveexec_b32 s19, s8
	s_cbranch_execz .LBB243_3489
; %bb.3482:                             ;   in Loop: Header=BB243_2086 Depth=1
	v_bfrev_b32_e32 v21, 1
	v_mov_b32_e32 v22, 0
	v_cmp_ne_u16_sdwa s8, v4, v75 src0_sel:BYTE_0 src1_sel:DWORD
	s_and_saveexec_b32 s21, s8
	s_cbranch_execz .LBB243_3488
; %bb.3483:                             ;   in Loop: Header=BB243_2086 Depth=1
	v_mov_b32_e32 v21, 0x7f800001
	v_and_b32_e32 v8, 0x7f, v4
	v_mov_b32_e32 v22, 0
	s_mov_b32 s22, exec_lo
	v_cmpx_ne_u32_e32 0x7f, v8
	s_cbranch_execz .LBB243_3487
; %bb.3484:                             ;   in Loop: Header=BB243_2086 Depth=1
	v_and_b32_e32 v6, 7, v4
	v_mov_b32_e32 v22, v7
	v_lshrrev_b32_e32 v5, 3, v8
	s_mov_b32 s23, exec_lo
	v_mov_b32_e32 v21, v6
	v_cmpx_gt_u32_e32 8, v8
; %bb.3485:                             ;   in Loop: Header=BB243_2086 Depth=1
	v_ffbh_u32_e32 v5, v6
	v_min_u32_e32 v5, 32, v5
	v_subrev_nc_u32_e32 v8, 28, v5
	v_sub_nc_u32_e32 v5, 29, v5
	v_lshlrev_b64 v[21:22], v8, v[6:7]
	v_and_b32_e32 v21, 7, v21
; %bb.3486:                             ;   in Loop: Header=BB243_2086 Depth=1
	s_or_b32 exec_lo, exec_lo, s23
	v_lshlrev_b32_e32 v6, 24, v4
	v_lshlrev_b32_e32 v8, 20, v21
	v_lshl_add_u32 v5, v5, 23, 0x3c000000
	v_and_b32_e32 v6, 0x80000000, v6
	v_or3_b32 v6, v8, v6, v5
	v_mov_b32_e32 v22, v7
	v_mov_b32_e32 v21, v6
.LBB243_3487:                           ;   in Loop: Header=BB243_2086 Depth=1
	s_or_b32 exec_lo, exec_lo, s22
.LBB243_3488:                           ;   in Loop: Header=BB243_2086 Depth=1
	s_or_b32 exec_lo, exec_lo, s21
.LBB243_3489:                           ;   in Loop: Header=BB243_2086 Depth=1
	s_or_b32 exec_lo, exec_lo, s19
	v_cmp_ne_u16_sdwa s8, v4, v7 src0_sel:BYTE_1 src1_sel:DWORD
	s_and_saveexec_b32 s19, s8
	s_cbranch_execz .LBB243_3497
; %bb.3490:                             ;   in Loop: Header=BB243_2086 Depth=1
	v_mov_b32_e32 v8, v7
	v_mov_b32_e32 v24, v9
	v_cmp_ne_u16_sdwa s8, v4, v75 src0_sel:BYTE_1 src1_sel:DWORD
	v_mov_b32_e32 v23, v8
	s_and_saveexec_b32 s21, s8
	s_cbranch_execz .LBB243_3496
; %bb.3491:                             ;   in Loop: Header=BB243_2086 Depth=1
	v_mov_b32_e32 v5, 0xffff
	v_mov_b32_e32 v10, v7
	;; [unrolled: 1-line block ×3, first 2 shown]
	s_mov_b32 s22, exec_lo
	v_and_b32_sdwa v5, v5, v4 dst_sel:DWORD dst_unused:UNUSED_PAD src0_sel:DWORD src1_sel:BYTE_1
	v_mov_b32_e32 v23, v10
	v_and_b32_e32 v8, 0x7f, v5
	v_cmpx_ne_u32_e32 0x7f, v8
	s_cbranch_execz .LBB243_3495
; %bb.3492:                             ;   in Loop: Header=BB243_2086 Depth=1
	v_and_b32_e32 v6, 7, v5
	v_mov_b32_e32 v24, v7
	v_lshrrev_b32_e32 v5, 3, v8
	s_mov_b32 s23, exec_lo
	v_mov_b32_e32 v23, v6
	v_cmpx_gt_u32_e32 8, v8
; %bb.3493:                             ;   in Loop: Header=BB243_2086 Depth=1
	v_ffbh_u32_e32 v5, v6
	v_min_u32_e32 v5, 32, v5
	v_subrev_nc_u32_e32 v8, 28, v5
	v_sub_nc_u32_e32 v5, 29, v5
	v_lshlrev_b64 v[23:24], v8, v[6:7]
	v_and_b32_e32 v23, 7, v23
; %bb.3494:                             ;   in Loop: Header=BB243_2086 Depth=1
	s_or_b32 exec_lo, exec_lo, s23
	v_lshlrev_b32_e32 v6, 16, v4
	v_lshlrev_b32_e32 v8, 20, v23
	v_lshl_add_u32 v5, v5, 23, 0x3c000000
	v_mov_b32_e32 v23, v7
	v_and_b32_e32 v6, 0x80000000, v6
	v_or3_b32 v24, v8, v6, v5
.LBB243_3495:                           ;   in Loop: Header=BB243_2086 Depth=1
	s_or_b32 exec_lo, exec_lo, s22
.LBB243_3496:                           ;   in Loop: Header=BB243_2086 Depth=1
	s_or_b32 exec_lo, exec_lo, s21
.LBB243_3497:                           ;   in Loop: Header=BB243_2086 Depth=1
	s_or_b32 exec_lo, exec_lo, s19
	v_mov_b32_e32 v25, 0
	v_mov_b32_e32 v27, 0
	v_and_b32_sdwa v5, v4, v77 dst_sel:DWORD dst_unused:UNUSED_PAD src0_sel:WORD_1 src1_sel:DWORD
	v_mov_b32_e32 v26, 0
	v_mov_b32_e32 v28, 0
	s_mov_b32 s19, exec_lo
	v_cmpx_ne_u16_e32 0, v5
	s_cbranch_execz .LBB243_3505
; %bb.3498:                             ;   in Loop: Header=BB243_2086 Depth=1
	v_bfrev_b32_e32 v27, 1
	v_mov_b32_e32 v28, 0
	s_mov_b32 s21, exec_lo
	v_cmpx_ne_u16_e32 0x80, v5
	s_cbranch_execz .LBB243_3504
; %bb.3499:                             ;   in Loop: Header=BB243_2086 Depth=1
	v_mov_b32_e32 v27, 0x7f800001
	v_bfe_u32 v8, v4, 16, 7
	v_mov_b32_e32 v28, 0
	s_mov_b32 s22, exec_lo
	v_cmpx_ne_u32_e32 0x7f, v8
	s_cbranch_execz .LBB243_3503
; %bb.3500:                             ;   in Loop: Header=BB243_2086 Depth=1
	v_and_b32_sdwa v6, v4, v30 dst_sel:DWORD dst_unused:UNUSED_PAD src0_sel:WORD_1 src1_sel:DWORD
	v_mov_b32_e32 v28, v7
	v_lshrrev_b32_e32 v5, 3, v8
	s_mov_b32 s23, exec_lo
	v_mov_b32_e32 v27, v6
	v_cmpx_gt_u32_e32 8, v8
; %bb.3501:                             ;   in Loop: Header=BB243_2086 Depth=1
	v_ffbh_u32_e32 v5, v6
	v_min_u32_e32 v5, 32, v5
	v_subrev_nc_u32_e32 v8, 28, v5
	v_sub_nc_u32_e32 v5, 29, v5
	v_lshlrev_b64 v[27:28], v8, v[6:7]
	v_and_b32_e32 v27, 7, v27
; %bb.3502:                             ;   in Loop: Header=BB243_2086 Depth=1
	s_or_b32 exec_lo, exec_lo, s23
	v_lshlrev_b32_sdwa v6, v79, v4 dst_sel:DWORD dst_unused:UNUSED_PAD src0_sel:DWORD src1_sel:WORD_1
	v_lshlrev_b32_e32 v8, 20, v27
	v_lshl_add_u32 v5, v5, 23, 0x3c000000
	v_and_b32_e32 v6, 0x80000000, v6
	v_or3_b32 v6, v8, v6, v5
	v_mov_b32_e32 v28, v7
	v_mov_b32_e32 v27, v6
.LBB243_3503:                           ;   in Loop: Header=BB243_2086 Depth=1
	s_or_b32 exec_lo, exec_lo, s22
.LBB243_3504:                           ;   in Loop: Header=BB243_2086 Depth=1
	s_or_b32 exec_lo, exec_lo, s21
.LBB243_3505:                           ;   in Loop: Header=BB243_2086 Depth=1
	s_or_b32 exec_lo, exec_lo, s19
	s_mov_b32 s19, exec_lo
	v_cmpx_lt_u32_e32 0xffffff, v4
	s_cbranch_execz .LBB243_3513
; %bb.3506:                             ;   in Loop: Header=BB243_2086 Depth=1
	v_mov_b32_e32 v8, v7
	v_mov_b32_e32 v26, v9
	v_cmp_ne_u32_sdwa s8, v4, v75 src0_sel:BYTE_3 src1_sel:DWORD
	v_mov_b32_e32 v25, v8
	s_and_saveexec_b32 s21, s8
	s_cbranch_execz .LBB243_3512
; %bb.3507:                             ;   in Loop: Header=BB243_2086 Depth=1
	v_mov_b32_e32 v10, v7
	v_mov_b32_e32 v26, v11
	v_bfe_u32 v8, v4, 24, 7
	s_mov_b32 s22, exec_lo
	v_mov_b32_e32 v25, v10
	v_cmpx_ne_u32_e32 0x7f, v8
	s_cbranch_execz .LBB243_3511
; %bb.3508:                             ;   in Loop: Header=BB243_2086 Depth=1
	v_and_b32_sdwa v6, v4, v30 dst_sel:DWORD dst_unused:UNUSED_PAD src0_sel:BYTE_3 src1_sel:DWORD
	v_mov_b32_e32 v26, v7
	v_lshrrev_b32_e32 v5, 3, v8
	s_mov_b32 s23, exec_lo
	v_mov_b32_e32 v25, v6
	v_cmpx_gt_u32_e32 8, v8
; %bb.3509:                             ;   in Loop: Header=BB243_2086 Depth=1
	v_ffbh_u32_e32 v5, v6
	v_min_u32_e32 v5, 32, v5
	v_subrev_nc_u32_e32 v8, 28, v5
	v_sub_nc_u32_e32 v5, 29, v5
	v_lshlrev_b64 v[25:26], v8, v[6:7]
	v_and_b32_e32 v25, 7, v25
; %bb.3510:                             ;   in Loop: Header=BB243_2086 Depth=1
	s_or_b32 exec_lo, exec_lo, s23
	v_lshlrev_b32_sdwa v4, v79, v4 dst_sel:DWORD dst_unused:UNUSED_PAD src0_sel:DWORD src1_sel:BYTE_3
	v_lshlrev_b32_e32 v6, 20, v25
	v_lshl_add_u32 v5, v5, 23, 0x3c000000
	v_mov_b32_e32 v25, v7
	v_and_b32_e32 v4, 0x80000000, v4
	v_or3_b32 v26, v6, v4, v5
.LBB243_3511:                           ;   in Loop: Header=BB243_2086 Depth=1
	s_or_b32 exec_lo, exec_lo, s22
.LBB243_3512:                           ;   in Loop: Header=BB243_2086 Depth=1
	s_or_b32 exec_lo, exec_lo, s21
.LBB243_3513:                           ;   in Loop: Header=BB243_2086 Depth=1
	s_or_b32 exec_lo, exec_lo, s19
	v_or_b32_e32 v4, v24, v22
	v_or_b32_e32 v5, v23, v21
	;; [unrolled: 1-line block ×4, first 2 shown]
	v_mul_f32_e32 v44, v106, v4
	v_mul_f32_e32 v43, v106, v5
	;; [unrolled: 1-line block ×4, first 2 shown]
	s_and_saveexec_b32 s8, vcc_lo
; %bb.3514:                             ;   in Loop: Header=BB243_2086 Depth=1
	v_cndmask_b32_e64 v43, 0, v43, s4
	v_cndmask_b32_e64 v44, 0, v44, s5
	;; [unrolled: 1-line block ×4, first 2 shown]
; %bb.3515:                             ;   in Loop: Header=BB243_2086 Depth=1
	s_or_b32 exec_lo, exec_lo, s8
	flat_load_dword v4, v[19:20] offset:1280
	v_mov_b32_e32 v23, 0
	v_mov_b32_e32 v21, 0
	;; [unrolled: 1-line block ×4, first 2 shown]
	s_waitcnt vmcnt(0) lgkmcnt(0)
	v_cmp_ne_u16_sdwa s8, v4, v7 src0_sel:BYTE_0 src1_sel:DWORD
	s_and_saveexec_b32 s19, s8
	s_cbranch_execz .LBB243_3523
; %bb.3516:                             ;   in Loop: Header=BB243_2086 Depth=1
	v_bfrev_b32_e32 v21, 1
	v_mov_b32_e32 v22, 0
	v_cmp_ne_u16_sdwa s8, v4, v75 src0_sel:BYTE_0 src1_sel:DWORD
	s_and_saveexec_b32 s21, s8
	s_cbranch_execz .LBB243_3522
; %bb.3517:                             ;   in Loop: Header=BB243_2086 Depth=1
	v_mov_b32_e32 v21, 0x7f800001
	v_and_b32_e32 v8, 0x7f, v4
	v_mov_b32_e32 v22, 0
	s_mov_b32 s22, exec_lo
	v_cmpx_ne_u32_e32 0x7f, v8
	s_cbranch_execz .LBB243_3521
; %bb.3518:                             ;   in Loop: Header=BB243_2086 Depth=1
	v_and_b32_e32 v6, 7, v4
	v_mov_b32_e32 v22, v7
	v_lshrrev_b32_e32 v5, 3, v8
	s_mov_b32 s23, exec_lo
	v_mov_b32_e32 v21, v6
	v_cmpx_gt_u32_e32 8, v8
; %bb.3519:                             ;   in Loop: Header=BB243_2086 Depth=1
	v_ffbh_u32_e32 v5, v6
	v_min_u32_e32 v5, 32, v5
	v_subrev_nc_u32_e32 v8, 28, v5
	v_sub_nc_u32_e32 v5, 29, v5
	v_lshlrev_b64 v[21:22], v8, v[6:7]
	v_and_b32_e32 v21, 7, v21
; %bb.3520:                             ;   in Loop: Header=BB243_2086 Depth=1
	s_or_b32 exec_lo, exec_lo, s23
	v_lshlrev_b32_e32 v6, 24, v4
	v_lshlrev_b32_e32 v8, 20, v21
	v_lshl_add_u32 v5, v5, 23, 0x3c000000
	v_and_b32_e32 v6, 0x80000000, v6
	v_or3_b32 v6, v8, v6, v5
	v_mov_b32_e32 v22, v7
	v_mov_b32_e32 v21, v6
.LBB243_3521:                           ;   in Loop: Header=BB243_2086 Depth=1
	s_or_b32 exec_lo, exec_lo, s22
.LBB243_3522:                           ;   in Loop: Header=BB243_2086 Depth=1
	s_or_b32 exec_lo, exec_lo, s21
.LBB243_3523:                           ;   in Loop: Header=BB243_2086 Depth=1
	s_or_b32 exec_lo, exec_lo, s19
	v_cmp_ne_u16_sdwa s8, v4, v7 src0_sel:BYTE_1 src1_sel:DWORD
	s_and_saveexec_b32 s19, s8
	s_cbranch_execz .LBB243_3531
; %bb.3524:                             ;   in Loop: Header=BB243_2086 Depth=1
	v_mov_b32_e32 v8, v7
	v_mov_b32_e32 v24, v9
	v_cmp_ne_u16_sdwa s8, v4, v75 src0_sel:BYTE_1 src1_sel:DWORD
	v_mov_b32_e32 v23, v8
	s_and_saveexec_b32 s21, s8
	s_cbranch_execz .LBB243_3530
; %bb.3525:                             ;   in Loop: Header=BB243_2086 Depth=1
	v_mov_b32_e32 v5, 0xffff
	v_mov_b32_e32 v10, v7
	;; [unrolled: 1-line block ×3, first 2 shown]
	s_mov_b32 s22, exec_lo
	v_and_b32_sdwa v5, v5, v4 dst_sel:DWORD dst_unused:UNUSED_PAD src0_sel:DWORD src1_sel:BYTE_1
	v_mov_b32_e32 v23, v10
	v_and_b32_e32 v8, 0x7f, v5
	v_cmpx_ne_u32_e32 0x7f, v8
	s_cbranch_execz .LBB243_3529
; %bb.3526:                             ;   in Loop: Header=BB243_2086 Depth=1
	v_and_b32_e32 v6, 7, v5
	v_mov_b32_e32 v24, v7
	v_lshrrev_b32_e32 v5, 3, v8
	s_mov_b32 s23, exec_lo
	v_mov_b32_e32 v23, v6
	v_cmpx_gt_u32_e32 8, v8
; %bb.3527:                             ;   in Loop: Header=BB243_2086 Depth=1
	v_ffbh_u32_e32 v5, v6
	v_min_u32_e32 v5, 32, v5
	v_subrev_nc_u32_e32 v8, 28, v5
	v_sub_nc_u32_e32 v5, 29, v5
	v_lshlrev_b64 v[23:24], v8, v[6:7]
	v_and_b32_e32 v23, 7, v23
; %bb.3528:                             ;   in Loop: Header=BB243_2086 Depth=1
	s_or_b32 exec_lo, exec_lo, s23
	v_lshlrev_b32_e32 v6, 16, v4
	v_lshlrev_b32_e32 v8, 20, v23
	v_lshl_add_u32 v5, v5, 23, 0x3c000000
	v_mov_b32_e32 v23, v7
	v_and_b32_e32 v6, 0x80000000, v6
	v_or3_b32 v24, v8, v6, v5
.LBB243_3529:                           ;   in Loop: Header=BB243_2086 Depth=1
	s_or_b32 exec_lo, exec_lo, s22
.LBB243_3530:                           ;   in Loop: Header=BB243_2086 Depth=1
	s_or_b32 exec_lo, exec_lo, s21
.LBB243_3531:                           ;   in Loop: Header=BB243_2086 Depth=1
	s_or_b32 exec_lo, exec_lo, s19
	v_mov_b32_e32 v25, 0
	v_mov_b32_e32 v27, 0
	v_and_b32_sdwa v5, v4, v77 dst_sel:DWORD dst_unused:UNUSED_PAD src0_sel:WORD_1 src1_sel:DWORD
	v_mov_b32_e32 v26, 0
	v_mov_b32_e32 v28, 0
	s_mov_b32 s19, exec_lo
	v_cmpx_ne_u16_e32 0, v5
	s_cbranch_execz .LBB243_3539
; %bb.3532:                             ;   in Loop: Header=BB243_2086 Depth=1
	v_bfrev_b32_e32 v27, 1
	v_mov_b32_e32 v28, 0
	s_mov_b32 s21, exec_lo
	v_cmpx_ne_u16_e32 0x80, v5
	s_cbranch_execz .LBB243_3538
; %bb.3533:                             ;   in Loop: Header=BB243_2086 Depth=1
	v_mov_b32_e32 v27, 0x7f800001
	v_bfe_u32 v8, v4, 16, 7
	v_mov_b32_e32 v28, 0
	s_mov_b32 s22, exec_lo
	v_cmpx_ne_u32_e32 0x7f, v8
	s_cbranch_execz .LBB243_3537
; %bb.3534:                             ;   in Loop: Header=BB243_2086 Depth=1
	v_and_b32_sdwa v6, v4, v30 dst_sel:DWORD dst_unused:UNUSED_PAD src0_sel:WORD_1 src1_sel:DWORD
	v_mov_b32_e32 v28, v7
	v_lshrrev_b32_e32 v5, 3, v8
	s_mov_b32 s23, exec_lo
	v_mov_b32_e32 v27, v6
	v_cmpx_gt_u32_e32 8, v8
; %bb.3535:                             ;   in Loop: Header=BB243_2086 Depth=1
	v_ffbh_u32_e32 v5, v6
	v_min_u32_e32 v5, 32, v5
	v_subrev_nc_u32_e32 v8, 28, v5
	v_sub_nc_u32_e32 v5, 29, v5
	v_lshlrev_b64 v[27:28], v8, v[6:7]
	v_and_b32_e32 v27, 7, v27
; %bb.3536:                             ;   in Loop: Header=BB243_2086 Depth=1
	s_or_b32 exec_lo, exec_lo, s23
	v_lshlrev_b32_sdwa v6, v79, v4 dst_sel:DWORD dst_unused:UNUSED_PAD src0_sel:DWORD src1_sel:WORD_1
	v_lshlrev_b32_e32 v8, 20, v27
	v_lshl_add_u32 v5, v5, 23, 0x3c000000
	v_and_b32_e32 v6, 0x80000000, v6
	v_or3_b32 v6, v8, v6, v5
	v_mov_b32_e32 v28, v7
	v_mov_b32_e32 v27, v6
.LBB243_3537:                           ;   in Loop: Header=BB243_2086 Depth=1
	s_or_b32 exec_lo, exec_lo, s22
.LBB243_3538:                           ;   in Loop: Header=BB243_2086 Depth=1
	s_or_b32 exec_lo, exec_lo, s21
.LBB243_3539:                           ;   in Loop: Header=BB243_2086 Depth=1
	s_or_b32 exec_lo, exec_lo, s19
	s_mov_b32 s19, exec_lo
	v_cmpx_lt_u32_e32 0xffffff, v4
	s_cbranch_execz .LBB243_3547
; %bb.3540:                             ;   in Loop: Header=BB243_2086 Depth=1
	v_mov_b32_e32 v8, v7
	v_mov_b32_e32 v26, v9
	v_cmp_ne_u32_sdwa s8, v4, v75 src0_sel:BYTE_3 src1_sel:DWORD
	v_mov_b32_e32 v25, v8
	s_and_saveexec_b32 s21, s8
	s_cbranch_execz .LBB243_3546
; %bb.3541:                             ;   in Loop: Header=BB243_2086 Depth=1
	v_mov_b32_e32 v10, v7
	v_mov_b32_e32 v26, v11
	v_bfe_u32 v8, v4, 24, 7
	s_mov_b32 s22, exec_lo
	v_mov_b32_e32 v25, v10
	v_cmpx_ne_u32_e32 0x7f, v8
	s_cbranch_execz .LBB243_3545
; %bb.3542:                             ;   in Loop: Header=BB243_2086 Depth=1
	v_and_b32_sdwa v6, v4, v30 dst_sel:DWORD dst_unused:UNUSED_PAD src0_sel:BYTE_3 src1_sel:DWORD
	v_mov_b32_e32 v26, v7
	v_lshrrev_b32_e32 v5, 3, v8
	s_mov_b32 s23, exec_lo
	v_mov_b32_e32 v25, v6
	v_cmpx_gt_u32_e32 8, v8
; %bb.3543:                             ;   in Loop: Header=BB243_2086 Depth=1
	v_ffbh_u32_e32 v5, v6
	v_min_u32_e32 v5, 32, v5
	v_subrev_nc_u32_e32 v8, 28, v5
	v_sub_nc_u32_e32 v5, 29, v5
	v_lshlrev_b64 v[25:26], v8, v[6:7]
	v_and_b32_e32 v25, 7, v25
; %bb.3544:                             ;   in Loop: Header=BB243_2086 Depth=1
	s_or_b32 exec_lo, exec_lo, s23
	v_lshlrev_b32_sdwa v4, v79, v4 dst_sel:DWORD dst_unused:UNUSED_PAD src0_sel:DWORD src1_sel:BYTE_3
	v_lshlrev_b32_e32 v6, 20, v25
	v_lshl_add_u32 v5, v5, 23, 0x3c000000
	v_mov_b32_e32 v25, v7
	v_and_b32_e32 v4, 0x80000000, v4
	v_or3_b32 v26, v6, v4, v5
.LBB243_3545:                           ;   in Loop: Header=BB243_2086 Depth=1
	s_or_b32 exec_lo, exec_lo, s22
.LBB243_3546:                           ;   in Loop: Header=BB243_2086 Depth=1
	s_or_b32 exec_lo, exec_lo, s21
.LBB243_3547:                           ;   in Loop: Header=BB243_2086 Depth=1
	s_or_b32 exec_lo, exec_lo, s19
	v_or_b32_e32 v4, v24, v22
	v_or_b32_e32 v5, v23, v21
	;; [unrolled: 1-line block ×4, first 2 shown]
	v_mul_f32_e32 v56, v106, v4
	v_mul_f32_e32 v47, v106, v5
	;; [unrolled: 1-line block ×4, first 2 shown]
	s_and_saveexec_b32 s8, vcc_lo
; %bb.3548:                             ;   in Loop: Header=BB243_2086 Depth=1
	v_cndmask_b32_e64 v47, 0, v47, s4
	v_cndmask_b32_e64 v56, 0, v56, s5
	;; [unrolled: 1-line block ×4, first 2 shown]
; %bb.3549:                             ;   in Loop: Header=BB243_2086 Depth=1
	s_or_b32 exec_lo, exec_lo, s8
	flat_load_dword v4, v[19:20] offset:1408
	v_mov_b32_e32 v23, 0
	v_mov_b32_e32 v21, 0
	;; [unrolled: 1-line block ×4, first 2 shown]
	s_waitcnt vmcnt(0) lgkmcnt(0)
	v_cmp_ne_u16_sdwa s8, v4, v7 src0_sel:BYTE_0 src1_sel:DWORD
	s_and_saveexec_b32 s19, s8
	s_cbranch_execz .LBB243_3557
; %bb.3550:                             ;   in Loop: Header=BB243_2086 Depth=1
	v_bfrev_b32_e32 v21, 1
	v_mov_b32_e32 v22, 0
	v_cmp_ne_u16_sdwa s8, v4, v75 src0_sel:BYTE_0 src1_sel:DWORD
	s_and_saveexec_b32 s21, s8
	s_cbranch_execz .LBB243_3556
; %bb.3551:                             ;   in Loop: Header=BB243_2086 Depth=1
	v_mov_b32_e32 v21, 0x7f800001
	v_and_b32_e32 v8, 0x7f, v4
	v_mov_b32_e32 v22, 0
	s_mov_b32 s22, exec_lo
	v_cmpx_ne_u32_e32 0x7f, v8
	s_cbranch_execz .LBB243_3555
; %bb.3552:                             ;   in Loop: Header=BB243_2086 Depth=1
	v_and_b32_e32 v6, 7, v4
	v_mov_b32_e32 v22, v7
	v_lshrrev_b32_e32 v5, 3, v8
	s_mov_b32 s23, exec_lo
	v_mov_b32_e32 v21, v6
	v_cmpx_gt_u32_e32 8, v8
; %bb.3553:                             ;   in Loop: Header=BB243_2086 Depth=1
	v_ffbh_u32_e32 v5, v6
	v_min_u32_e32 v5, 32, v5
	v_subrev_nc_u32_e32 v8, 28, v5
	v_sub_nc_u32_e32 v5, 29, v5
	v_lshlrev_b64 v[21:22], v8, v[6:7]
	v_and_b32_e32 v21, 7, v21
; %bb.3554:                             ;   in Loop: Header=BB243_2086 Depth=1
	s_or_b32 exec_lo, exec_lo, s23
	v_lshlrev_b32_e32 v6, 24, v4
	v_lshlrev_b32_e32 v8, 20, v21
	v_lshl_add_u32 v5, v5, 23, 0x3c000000
	v_and_b32_e32 v6, 0x80000000, v6
	v_or3_b32 v6, v8, v6, v5
	v_mov_b32_e32 v22, v7
	v_mov_b32_e32 v21, v6
.LBB243_3555:                           ;   in Loop: Header=BB243_2086 Depth=1
	s_or_b32 exec_lo, exec_lo, s22
.LBB243_3556:                           ;   in Loop: Header=BB243_2086 Depth=1
	s_or_b32 exec_lo, exec_lo, s21
.LBB243_3557:                           ;   in Loop: Header=BB243_2086 Depth=1
	s_or_b32 exec_lo, exec_lo, s19
	v_cmp_ne_u16_sdwa s8, v4, v7 src0_sel:BYTE_1 src1_sel:DWORD
	s_and_saveexec_b32 s19, s8
	s_cbranch_execz .LBB243_3565
; %bb.3558:                             ;   in Loop: Header=BB243_2086 Depth=1
	v_mov_b32_e32 v8, v7
	v_mov_b32_e32 v24, v9
	v_cmp_ne_u16_sdwa s8, v4, v75 src0_sel:BYTE_1 src1_sel:DWORD
	v_mov_b32_e32 v23, v8
	s_and_saveexec_b32 s21, s8
	s_cbranch_execz .LBB243_3564
; %bb.3559:                             ;   in Loop: Header=BB243_2086 Depth=1
	v_mov_b32_e32 v5, 0xffff
	v_mov_b32_e32 v10, v7
	v_mov_b32_e32 v24, v11
	s_mov_b32 s22, exec_lo
	v_and_b32_sdwa v5, v5, v4 dst_sel:DWORD dst_unused:UNUSED_PAD src0_sel:DWORD src1_sel:BYTE_1
	v_mov_b32_e32 v23, v10
	v_and_b32_e32 v8, 0x7f, v5
	v_cmpx_ne_u32_e32 0x7f, v8
	s_cbranch_execz .LBB243_3563
; %bb.3560:                             ;   in Loop: Header=BB243_2086 Depth=1
	v_and_b32_e32 v6, 7, v5
	v_mov_b32_e32 v24, v7
	v_lshrrev_b32_e32 v5, 3, v8
	s_mov_b32 s23, exec_lo
	v_mov_b32_e32 v23, v6
	v_cmpx_gt_u32_e32 8, v8
; %bb.3561:                             ;   in Loop: Header=BB243_2086 Depth=1
	v_ffbh_u32_e32 v5, v6
	v_min_u32_e32 v5, 32, v5
	v_subrev_nc_u32_e32 v8, 28, v5
	v_sub_nc_u32_e32 v5, 29, v5
	v_lshlrev_b64 v[23:24], v8, v[6:7]
	v_and_b32_e32 v23, 7, v23
; %bb.3562:                             ;   in Loop: Header=BB243_2086 Depth=1
	s_or_b32 exec_lo, exec_lo, s23
	v_lshlrev_b32_e32 v6, 16, v4
	v_lshlrev_b32_e32 v8, 20, v23
	v_lshl_add_u32 v5, v5, 23, 0x3c000000
	v_mov_b32_e32 v23, v7
	v_and_b32_e32 v6, 0x80000000, v6
	v_or3_b32 v24, v8, v6, v5
.LBB243_3563:                           ;   in Loop: Header=BB243_2086 Depth=1
	s_or_b32 exec_lo, exec_lo, s22
.LBB243_3564:                           ;   in Loop: Header=BB243_2086 Depth=1
	s_or_b32 exec_lo, exec_lo, s21
.LBB243_3565:                           ;   in Loop: Header=BB243_2086 Depth=1
	s_or_b32 exec_lo, exec_lo, s19
	v_mov_b32_e32 v25, 0
	v_mov_b32_e32 v27, 0
	v_and_b32_sdwa v5, v4, v77 dst_sel:DWORD dst_unused:UNUSED_PAD src0_sel:WORD_1 src1_sel:DWORD
	v_mov_b32_e32 v26, 0
	v_mov_b32_e32 v28, 0
	s_mov_b32 s19, exec_lo
	v_cmpx_ne_u16_e32 0, v5
	s_cbranch_execz .LBB243_3573
; %bb.3566:                             ;   in Loop: Header=BB243_2086 Depth=1
	v_bfrev_b32_e32 v27, 1
	v_mov_b32_e32 v28, 0
	s_mov_b32 s21, exec_lo
	v_cmpx_ne_u16_e32 0x80, v5
	s_cbranch_execz .LBB243_3572
; %bb.3567:                             ;   in Loop: Header=BB243_2086 Depth=1
	v_mov_b32_e32 v27, 0x7f800001
	v_bfe_u32 v8, v4, 16, 7
	v_mov_b32_e32 v28, 0
	s_mov_b32 s22, exec_lo
	v_cmpx_ne_u32_e32 0x7f, v8
	s_cbranch_execz .LBB243_3571
; %bb.3568:                             ;   in Loop: Header=BB243_2086 Depth=1
	v_and_b32_sdwa v6, v4, v30 dst_sel:DWORD dst_unused:UNUSED_PAD src0_sel:WORD_1 src1_sel:DWORD
	v_mov_b32_e32 v28, v7
	v_lshrrev_b32_e32 v5, 3, v8
	s_mov_b32 s23, exec_lo
	v_mov_b32_e32 v27, v6
	v_cmpx_gt_u32_e32 8, v8
; %bb.3569:                             ;   in Loop: Header=BB243_2086 Depth=1
	v_ffbh_u32_e32 v5, v6
	v_min_u32_e32 v5, 32, v5
	v_subrev_nc_u32_e32 v8, 28, v5
	v_sub_nc_u32_e32 v5, 29, v5
	v_lshlrev_b64 v[27:28], v8, v[6:7]
	v_and_b32_e32 v27, 7, v27
; %bb.3570:                             ;   in Loop: Header=BB243_2086 Depth=1
	s_or_b32 exec_lo, exec_lo, s23
	v_lshlrev_b32_sdwa v6, v79, v4 dst_sel:DWORD dst_unused:UNUSED_PAD src0_sel:DWORD src1_sel:WORD_1
	v_lshlrev_b32_e32 v8, 20, v27
	v_lshl_add_u32 v5, v5, 23, 0x3c000000
	v_and_b32_e32 v6, 0x80000000, v6
	v_or3_b32 v6, v8, v6, v5
	v_mov_b32_e32 v28, v7
	v_mov_b32_e32 v27, v6
.LBB243_3571:                           ;   in Loop: Header=BB243_2086 Depth=1
	s_or_b32 exec_lo, exec_lo, s22
.LBB243_3572:                           ;   in Loop: Header=BB243_2086 Depth=1
	s_or_b32 exec_lo, exec_lo, s21
.LBB243_3573:                           ;   in Loop: Header=BB243_2086 Depth=1
	s_or_b32 exec_lo, exec_lo, s19
	s_mov_b32 s19, exec_lo
	v_cmpx_lt_u32_e32 0xffffff, v4
	s_cbranch_execz .LBB243_3581
; %bb.3574:                             ;   in Loop: Header=BB243_2086 Depth=1
	v_mov_b32_e32 v8, v7
	v_mov_b32_e32 v26, v9
	v_cmp_ne_u32_sdwa s8, v4, v75 src0_sel:BYTE_3 src1_sel:DWORD
	v_mov_b32_e32 v25, v8
	s_and_saveexec_b32 s21, s8
	s_cbranch_execz .LBB243_3580
; %bb.3575:                             ;   in Loop: Header=BB243_2086 Depth=1
	v_mov_b32_e32 v10, v7
	v_mov_b32_e32 v26, v11
	v_bfe_u32 v8, v4, 24, 7
	s_mov_b32 s22, exec_lo
	v_mov_b32_e32 v25, v10
	v_cmpx_ne_u32_e32 0x7f, v8
	s_cbranch_execz .LBB243_3579
; %bb.3576:                             ;   in Loop: Header=BB243_2086 Depth=1
	v_and_b32_sdwa v6, v4, v30 dst_sel:DWORD dst_unused:UNUSED_PAD src0_sel:BYTE_3 src1_sel:DWORD
	v_mov_b32_e32 v26, v7
	v_lshrrev_b32_e32 v5, 3, v8
	s_mov_b32 s23, exec_lo
	v_mov_b32_e32 v25, v6
	v_cmpx_gt_u32_e32 8, v8
; %bb.3577:                             ;   in Loop: Header=BB243_2086 Depth=1
	v_ffbh_u32_e32 v5, v6
	v_min_u32_e32 v5, 32, v5
	v_subrev_nc_u32_e32 v8, 28, v5
	v_sub_nc_u32_e32 v5, 29, v5
	v_lshlrev_b64 v[25:26], v8, v[6:7]
	v_and_b32_e32 v25, 7, v25
; %bb.3578:                             ;   in Loop: Header=BB243_2086 Depth=1
	s_or_b32 exec_lo, exec_lo, s23
	v_lshlrev_b32_sdwa v4, v79, v4 dst_sel:DWORD dst_unused:UNUSED_PAD src0_sel:DWORD src1_sel:BYTE_3
	v_lshlrev_b32_e32 v6, 20, v25
	v_lshl_add_u32 v5, v5, 23, 0x3c000000
	v_mov_b32_e32 v25, v7
	v_and_b32_e32 v4, 0x80000000, v4
	v_or3_b32 v26, v6, v4, v5
.LBB243_3579:                           ;   in Loop: Header=BB243_2086 Depth=1
	s_or_b32 exec_lo, exec_lo, s22
.LBB243_3580:                           ;   in Loop: Header=BB243_2086 Depth=1
	s_or_b32 exec_lo, exec_lo, s21
.LBB243_3581:                           ;   in Loop: Header=BB243_2086 Depth=1
	s_or_b32 exec_lo, exec_lo, s19
	v_or_b32_e32 v4, v24, v22
	v_or_b32_e32 v5, v23, v21
	;; [unrolled: 1-line block ×4, first 2 shown]
	v_mul_f32_e32 v60, v106, v4
	v_mul_f32_e32 v59, v106, v5
	;; [unrolled: 1-line block ×4, first 2 shown]
	s_and_saveexec_b32 s8, vcc_lo
; %bb.3582:                             ;   in Loop: Header=BB243_2086 Depth=1
	v_cndmask_b32_e64 v59, 0, v59, s4
	v_cndmask_b32_e64 v60, 0, v60, s5
	;; [unrolled: 1-line block ×4, first 2 shown]
; %bb.3583:                             ;   in Loop: Header=BB243_2086 Depth=1
	s_or_b32 exec_lo, exec_lo, s8
	flat_load_dword v4, v[19:20] offset:1536
	v_mov_b32_e32 v23, 0
	v_mov_b32_e32 v21, 0
	;; [unrolled: 1-line block ×4, first 2 shown]
	s_waitcnt vmcnt(0) lgkmcnt(0)
	v_cmp_ne_u16_sdwa s8, v4, v7 src0_sel:BYTE_0 src1_sel:DWORD
	s_and_saveexec_b32 s19, s8
	s_cbranch_execz .LBB243_3591
; %bb.3584:                             ;   in Loop: Header=BB243_2086 Depth=1
	v_bfrev_b32_e32 v21, 1
	v_mov_b32_e32 v22, 0
	v_cmp_ne_u16_sdwa s8, v4, v75 src0_sel:BYTE_0 src1_sel:DWORD
	s_and_saveexec_b32 s21, s8
	s_cbranch_execz .LBB243_3590
; %bb.3585:                             ;   in Loop: Header=BB243_2086 Depth=1
	v_mov_b32_e32 v21, 0x7f800001
	v_and_b32_e32 v8, 0x7f, v4
	v_mov_b32_e32 v22, 0
	s_mov_b32 s22, exec_lo
	v_cmpx_ne_u32_e32 0x7f, v8
	s_cbranch_execz .LBB243_3589
; %bb.3586:                             ;   in Loop: Header=BB243_2086 Depth=1
	v_and_b32_e32 v6, 7, v4
	v_mov_b32_e32 v22, v7
	v_lshrrev_b32_e32 v5, 3, v8
	s_mov_b32 s23, exec_lo
	v_mov_b32_e32 v21, v6
	v_cmpx_gt_u32_e32 8, v8
; %bb.3587:                             ;   in Loop: Header=BB243_2086 Depth=1
	v_ffbh_u32_e32 v5, v6
	v_min_u32_e32 v5, 32, v5
	v_subrev_nc_u32_e32 v8, 28, v5
	v_sub_nc_u32_e32 v5, 29, v5
	v_lshlrev_b64 v[21:22], v8, v[6:7]
	v_and_b32_e32 v21, 7, v21
; %bb.3588:                             ;   in Loop: Header=BB243_2086 Depth=1
	s_or_b32 exec_lo, exec_lo, s23
	v_lshlrev_b32_e32 v6, 24, v4
	v_lshlrev_b32_e32 v8, 20, v21
	v_lshl_add_u32 v5, v5, 23, 0x3c000000
	v_and_b32_e32 v6, 0x80000000, v6
	v_or3_b32 v6, v8, v6, v5
	v_mov_b32_e32 v22, v7
	v_mov_b32_e32 v21, v6
.LBB243_3589:                           ;   in Loop: Header=BB243_2086 Depth=1
	s_or_b32 exec_lo, exec_lo, s22
.LBB243_3590:                           ;   in Loop: Header=BB243_2086 Depth=1
	s_or_b32 exec_lo, exec_lo, s21
.LBB243_3591:                           ;   in Loop: Header=BB243_2086 Depth=1
	s_or_b32 exec_lo, exec_lo, s19
	v_cmp_ne_u16_sdwa s8, v4, v7 src0_sel:BYTE_1 src1_sel:DWORD
	s_and_saveexec_b32 s19, s8
	s_cbranch_execz .LBB243_3599
; %bb.3592:                             ;   in Loop: Header=BB243_2086 Depth=1
	v_mov_b32_e32 v8, v7
	v_mov_b32_e32 v24, v9
	v_cmp_ne_u16_sdwa s8, v4, v75 src0_sel:BYTE_1 src1_sel:DWORD
	v_mov_b32_e32 v23, v8
	s_and_saveexec_b32 s21, s8
	s_cbranch_execz .LBB243_3598
; %bb.3593:                             ;   in Loop: Header=BB243_2086 Depth=1
	v_mov_b32_e32 v5, 0xffff
	v_mov_b32_e32 v10, v7
	;; [unrolled: 1-line block ×3, first 2 shown]
	s_mov_b32 s22, exec_lo
	v_and_b32_sdwa v5, v5, v4 dst_sel:DWORD dst_unused:UNUSED_PAD src0_sel:DWORD src1_sel:BYTE_1
	v_mov_b32_e32 v23, v10
	v_and_b32_e32 v8, 0x7f, v5
	v_cmpx_ne_u32_e32 0x7f, v8
	s_cbranch_execz .LBB243_3597
; %bb.3594:                             ;   in Loop: Header=BB243_2086 Depth=1
	v_and_b32_e32 v6, 7, v5
	v_mov_b32_e32 v24, v7
	v_lshrrev_b32_e32 v5, 3, v8
	s_mov_b32 s23, exec_lo
	v_mov_b32_e32 v23, v6
	v_cmpx_gt_u32_e32 8, v8
; %bb.3595:                             ;   in Loop: Header=BB243_2086 Depth=1
	v_ffbh_u32_e32 v5, v6
	v_min_u32_e32 v5, 32, v5
	v_subrev_nc_u32_e32 v8, 28, v5
	v_sub_nc_u32_e32 v5, 29, v5
	v_lshlrev_b64 v[23:24], v8, v[6:7]
	v_and_b32_e32 v23, 7, v23
; %bb.3596:                             ;   in Loop: Header=BB243_2086 Depth=1
	s_or_b32 exec_lo, exec_lo, s23
	v_lshlrev_b32_e32 v6, 16, v4
	v_lshlrev_b32_e32 v8, 20, v23
	v_lshl_add_u32 v5, v5, 23, 0x3c000000
	v_mov_b32_e32 v23, v7
	v_and_b32_e32 v6, 0x80000000, v6
	v_or3_b32 v24, v8, v6, v5
.LBB243_3597:                           ;   in Loop: Header=BB243_2086 Depth=1
	s_or_b32 exec_lo, exec_lo, s22
.LBB243_3598:                           ;   in Loop: Header=BB243_2086 Depth=1
	s_or_b32 exec_lo, exec_lo, s21
.LBB243_3599:                           ;   in Loop: Header=BB243_2086 Depth=1
	s_or_b32 exec_lo, exec_lo, s19
	v_mov_b32_e32 v25, 0
	v_mov_b32_e32 v27, 0
	v_and_b32_sdwa v5, v4, v77 dst_sel:DWORD dst_unused:UNUSED_PAD src0_sel:WORD_1 src1_sel:DWORD
	v_mov_b32_e32 v26, 0
	v_mov_b32_e32 v28, 0
	s_mov_b32 s19, exec_lo
	v_cmpx_ne_u16_e32 0, v5
	s_cbranch_execz .LBB243_3607
; %bb.3600:                             ;   in Loop: Header=BB243_2086 Depth=1
	v_bfrev_b32_e32 v27, 1
	v_mov_b32_e32 v28, 0
	s_mov_b32 s21, exec_lo
	v_cmpx_ne_u16_e32 0x80, v5
	s_cbranch_execz .LBB243_3606
; %bb.3601:                             ;   in Loop: Header=BB243_2086 Depth=1
	v_mov_b32_e32 v27, 0x7f800001
	v_bfe_u32 v8, v4, 16, 7
	v_mov_b32_e32 v28, 0
	s_mov_b32 s22, exec_lo
	v_cmpx_ne_u32_e32 0x7f, v8
	s_cbranch_execz .LBB243_3605
; %bb.3602:                             ;   in Loop: Header=BB243_2086 Depth=1
	v_and_b32_sdwa v6, v4, v30 dst_sel:DWORD dst_unused:UNUSED_PAD src0_sel:WORD_1 src1_sel:DWORD
	v_mov_b32_e32 v28, v7
	v_lshrrev_b32_e32 v5, 3, v8
	s_mov_b32 s23, exec_lo
	v_mov_b32_e32 v27, v6
	v_cmpx_gt_u32_e32 8, v8
; %bb.3603:                             ;   in Loop: Header=BB243_2086 Depth=1
	v_ffbh_u32_e32 v5, v6
	v_min_u32_e32 v5, 32, v5
	v_subrev_nc_u32_e32 v8, 28, v5
	v_sub_nc_u32_e32 v5, 29, v5
	v_lshlrev_b64 v[27:28], v8, v[6:7]
	v_and_b32_e32 v27, 7, v27
; %bb.3604:                             ;   in Loop: Header=BB243_2086 Depth=1
	s_or_b32 exec_lo, exec_lo, s23
	v_lshlrev_b32_sdwa v6, v79, v4 dst_sel:DWORD dst_unused:UNUSED_PAD src0_sel:DWORD src1_sel:WORD_1
	v_lshlrev_b32_e32 v8, 20, v27
	v_lshl_add_u32 v5, v5, 23, 0x3c000000
	v_and_b32_e32 v6, 0x80000000, v6
	v_or3_b32 v6, v8, v6, v5
	v_mov_b32_e32 v28, v7
	v_mov_b32_e32 v27, v6
.LBB243_3605:                           ;   in Loop: Header=BB243_2086 Depth=1
	s_or_b32 exec_lo, exec_lo, s22
.LBB243_3606:                           ;   in Loop: Header=BB243_2086 Depth=1
	s_or_b32 exec_lo, exec_lo, s21
.LBB243_3607:                           ;   in Loop: Header=BB243_2086 Depth=1
	s_or_b32 exec_lo, exec_lo, s19
	s_mov_b32 s19, exec_lo
	v_cmpx_lt_u32_e32 0xffffff, v4
	s_cbranch_execz .LBB243_3615
; %bb.3608:                             ;   in Loop: Header=BB243_2086 Depth=1
	v_mov_b32_e32 v8, v7
	v_mov_b32_e32 v26, v9
	v_cmp_ne_u32_sdwa s8, v4, v75 src0_sel:BYTE_3 src1_sel:DWORD
	v_mov_b32_e32 v25, v8
	s_and_saveexec_b32 s21, s8
	s_cbranch_execz .LBB243_3614
; %bb.3609:                             ;   in Loop: Header=BB243_2086 Depth=1
	v_mov_b32_e32 v10, v7
	v_mov_b32_e32 v26, v11
	v_bfe_u32 v8, v4, 24, 7
	s_mov_b32 s22, exec_lo
	v_mov_b32_e32 v25, v10
	v_cmpx_ne_u32_e32 0x7f, v8
	s_cbranch_execz .LBB243_3613
; %bb.3610:                             ;   in Loop: Header=BB243_2086 Depth=1
	v_and_b32_sdwa v6, v4, v30 dst_sel:DWORD dst_unused:UNUSED_PAD src0_sel:BYTE_3 src1_sel:DWORD
	v_mov_b32_e32 v26, v7
	v_lshrrev_b32_e32 v5, 3, v8
	s_mov_b32 s23, exec_lo
	v_mov_b32_e32 v25, v6
	v_cmpx_gt_u32_e32 8, v8
; %bb.3611:                             ;   in Loop: Header=BB243_2086 Depth=1
	v_ffbh_u32_e32 v5, v6
	v_min_u32_e32 v5, 32, v5
	v_subrev_nc_u32_e32 v8, 28, v5
	v_sub_nc_u32_e32 v5, 29, v5
	v_lshlrev_b64 v[25:26], v8, v[6:7]
	v_and_b32_e32 v25, 7, v25
; %bb.3612:                             ;   in Loop: Header=BB243_2086 Depth=1
	s_or_b32 exec_lo, exec_lo, s23
	v_lshlrev_b32_sdwa v4, v79, v4 dst_sel:DWORD dst_unused:UNUSED_PAD src0_sel:DWORD src1_sel:BYTE_3
	v_lshlrev_b32_e32 v6, 20, v25
	v_lshl_add_u32 v5, v5, 23, 0x3c000000
	v_mov_b32_e32 v25, v7
	v_and_b32_e32 v4, 0x80000000, v4
	v_or3_b32 v26, v6, v4, v5
.LBB243_3613:                           ;   in Loop: Header=BB243_2086 Depth=1
	s_or_b32 exec_lo, exec_lo, s22
.LBB243_3614:                           ;   in Loop: Header=BB243_2086 Depth=1
	s_or_b32 exec_lo, exec_lo, s21
.LBB243_3615:                           ;   in Loop: Header=BB243_2086 Depth=1
	s_or_b32 exec_lo, exec_lo, s19
	v_or_b32_e32 v4, v24, v22
	v_or_b32_e32 v5, v23, v21
	;; [unrolled: 1-line block ×4, first 2 shown]
	v_mul_f32_e32 v72, v106, v4
	v_mul_f32_e32 v63, v106, v5
	;; [unrolled: 1-line block ×4, first 2 shown]
	s_and_saveexec_b32 s8, vcc_lo
; %bb.3616:                             ;   in Loop: Header=BB243_2086 Depth=1
	v_cndmask_b32_e64 v63, 0, v63, s4
	v_cndmask_b32_e64 v72, 0, v72, s5
	;; [unrolled: 1-line block ×4, first 2 shown]
; %bb.3617:                             ;   in Loop: Header=BB243_2086 Depth=1
	s_or_b32 exec_lo, exec_lo, s8
	flat_load_dword v4, v[19:20] offset:1664
	v_mov_b32_e32 v23, 0
	v_mov_b32_e32 v21, 0
	;; [unrolled: 1-line block ×4, first 2 shown]
	s_waitcnt vmcnt(0) lgkmcnt(0)
	v_cmp_ne_u16_sdwa s8, v4, v7 src0_sel:BYTE_0 src1_sel:DWORD
	s_and_saveexec_b32 s19, s8
	s_cbranch_execz .LBB243_3625
; %bb.3618:                             ;   in Loop: Header=BB243_2086 Depth=1
	v_bfrev_b32_e32 v21, 1
	v_mov_b32_e32 v22, 0
	v_cmp_ne_u16_sdwa s8, v4, v75 src0_sel:BYTE_0 src1_sel:DWORD
	s_and_saveexec_b32 s21, s8
	s_cbranch_execz .LBB243_3624
; %bb.3619:                             ;   in Loop: Header=BB243_2086 Depth=1
	v_mov_b32_e32 v21, 0x7f800001
	v_and_b32_e32 v8, 0x7f, v4
	v_mov_b32_e32 v22, 0
	s_mov_b32 s22, exec_lo
	v_cmpx_ne_u32_e32 0x7f, v8
	s_cbranch_execz .LBB243_3623
; %bb.3620:                             ;   in Loop: Header=BB243_2086 Depth=1
	v_and_b32_e32 v6, 7, v4
	v_mov_b32_e32 v22, v7
	v_lshrrev_b32_e32 v5, 3, v8
	s_mov_b32 s23, exec_lo
	v_mov_b32_e32 v21, v6
	v_cmpx_gt_u32_e32 8, v8
; %bb.3621:                             ;   in Loop: Header=BB243_2086 Depth=1
	v_ffbh_u32_e32 v5, v6
	v_min_u32_e32 v5, 32, v5
	v_subrev_nc_u32_e32 v8, 28, v5
	v_sub_nc_u32_e32 v5, 29, v5
	v_lshlrev_b64 v[21:22], v8, v[6:7]
	v_and_b32_e32 v21, 7, v21
; %bb.3622:                             ;   in Loop: Header=BB243_2086 Depth=1
	s_or_b32 exec_lo, exec_lo, s23
	v_lshlrev_b32_e32 v6, 24, v4
	v_lshlrev_b32_e32 v8, 20, v21
	v_lshl_add_u32 v5, v5, 23, 0x3c000000
	v_and_b32_e32 v6, 0x80000000, v6
	v_or3_b32 v6, v8, v6, v5
	v_mov_b32_e32 v22, v7
	v_mov_b32_e32 v21, v6
.LBB243_3623:                           ;   in Loop: Header=BB243_2086 Depth=1
	s_or_b32 exec_lo, exec_lo, s22
.LBB243_3624:                           ;   in Loop: Header=BB243_2086 Depth=1
	s_or_b32 exec_lo, exec_lo, s21
.LBB243_3625:                           ;   in Loop: Header=BB243_2086 Depth=1
	s_or_b32 exec_lo, exec_lo, s19
	v_cmp_ne_u16_sdwa s8, v4, v7 src0_sel:BYTE_1 src1_sel:DWORD
	s_and_saveexec_b32 s19, s8
	s_cbranch_execz .LBB243_3633
; %bb.3626:                             ;   in Loop: Header=BB243_2086 Depth=1
	v_mov_b32_e32 v8, v7
	v_mov_b32_e32 v24, v9
	v_cmp_ne_u16_sdwa s8, v4, v75 src0_sel:BYTE_1 src1_sel:DWORD
	v_mov_b32_e32 v23, v8
	s_and_saveexec_b32 s21, s8
	s_cbranch_execz .LBB243_3632
; %bb.3627:                             ;   in Loop: Header=BB243_2086 Depth=1
	v_mov_b32_e32 v5, 0xffff
	v_mov_b32_e32 v10, v7
	;; [unrolled: 1-line block ×3, first 2 shown]
	s_mov_b32 s22, exec_lo
	v_and_b32_sdwa v5, v5, v4 dst_sel:DWORD dst_unused:UNUSED_PAD src0_sel:DWORD src1_sel:BYTE_1
	v_mov_b32_e32 v23, v10
	v_and_b32_e32 v8, 0x7f, v5
	v_cmpx_ne_u32_e32 0x7f, v8
	s_cbranch_execz .LBB243_3631
; %bb.3628:                             ;   in Loop: Header=BB243_2086 Depth=1
	v_and_b32_e32 v6, 7, v5
	v_mov_b32_e32 v24, v7
	v_lshrrev_b32_e32 v5, 3, v8
	s_mov_b32 s23, exec_lo
	v_mov_b32_e32 v23, v6
	v_cmpx_gt_u32_e32 8, v8
; %bb.3629:                             ;   in Loop: Header=BB243_2086 Depth=1
	v_ffbh_u32_e32 v5, v6
	v_min_u32_e32 v5, 32, v5
	v_subrev_nc_u32_e32 v8, 28, v5
	v_sub_nc_u32_e32 v5, 29, v5
	v_lshlrev_b64 v[23:24], v8, v[6:7]
	v_and_b32_e32 v23, 7, v23
; %bb.3630:                             ;   in Loop: Header=BB243_2086 Depth=1
	s_or_b32 exec_lo, exec_lo, s23
	v_lshlrev_b32_e32 v6, 16, v4
	v_lshlrev_b32_e32 v8, 20, v23
	v_lshl_add_u32 v5, v5, 23, 0x3c000000
	v_mov_b32_e32 v23, v7
	v_and_b32_e32 v6, 0x80000000, v6
	v_or3_b32 v24, v8, v6, v5
.LBB243_3631:                           ;   in Loop: Header=BB243_2086 Depth=1
	s_or_b32 exec_lo, exec_lo, s22
.LBB243_3632:                           ;   in Loop: Header=BB243_2086 Depth=1
	s_or_b32 exec_lo, exec_lo, s21
.LBB243_3633:                           ;   in Loop: Header=BB243_2086 Depth=1
	s_or_b32 exec_lo, exec_lo, s19
	v_mov_b32_e32 v25, 0
	v_mov_b32_e32 v27, 0
	v_and_b32_sdwa v5, v4, v77 dst_sel:DWORD dst_unused:UNUSED_PAD src0_sel:WORD_1 src1_sel:DWORD
	v_mov_b32_e32 v26, 0
	v_mov_b32_e32 v28, 0
	s_mov_b32 s19, exec_lo
	v_cmpx_ne_u16_e32 0, v5
	s_cbranch_execz .LBB243_3641
; %bb.3634:                             ;   in Loop: Header=BB243_2086 Depth=1
	v_bfrev_b32_e32 v27, 1
	v_mov_b32_e32 v28, 0
	s_mov_b32 s21, exec_lo
	v_cmpx_ne_u16_e32 0x80, v5
	s_cbranch_execz .LBB243_3640
; %bb.3635:                             ;   in Loop: Header=BB243_2086 Depth=1
	v_mov_b32_e32 v27, 0x7f800001
	v_bfe_u32 v8, v4, 16, 7
	v_mov_b32_e32 v28, 0
	s_mov_b32 s22, exec_lo
	v_cmpx_ne_u32_e32 0x7f, v8
	s_cbranch_execz .LBB243_3639
; %bb.3636:                             ;   in Loop: Header=BB243_2086 Depth=1
	v_and_b32_sdwa v6, v4, v30 dst_sel:DWORD dst_unused:UNUSED_PAD src0_sel:WORD_1 src1_sel:DWORD
	v_mov_b32_e32 v28, v7
	v_lshrrev_b32_e32 v5, 3, v8
	s_mov_b32 s23, exec_lo
	v_mov_b32_e32 v27, v6
	v_cmpx_gt_u32_e32 8, v8
; %bb.3637:                             ;   in Loop: Header=BB243_2086 Depth=1
	v_ffbh_u32_e32 v5, v6
	v_min_u32_e32 v5, 32, v5
	v_subrev_nc_u32_e32 v8, 28, v5
	v_sub_nc_u32_e32 v5, 29, v5
	v_lshlrev_b64 v[27:28], v8, v[6:7]
	v_and_b32_e32 v27, 7, v27
; %bb.3638:                             ;   in Loop: Header=BB243_2086 Depth=1
	s_or_b32 exec_lo, exec_lo, s23
	v_lshlrev_b32_sdwa v6, v79, v4 dst_sel:DWORD dst_unused:UNUSED_PAD src0_sel:DWORD src1_sel:WORD_1
	v_lshlrev_b32_e32 v8, 20, v27
	v_lshl_add_u32 v5, v5, 23, 0x3c000000
	v_and_b32_e32 v6, 0x80000000, v6
	v_or3_b32 v6, v8, v6, v5
	v_mov_b32_e32 v28, v7
	v_mov_b32_e32 v27, v6
.LBB243_3639:                           ;   in Loop: Header=BB243_2086 Depth=1
	s_or_b32 exec_lo, exec_lo, s22
.LBB243_3640:                           ;   in Loop: Header=BB243_2086 Depth=1
	s_or_b32 exec_lo, exec_lo, s21
.LBB243_3641:                           ;   in Loop: Header=BB243_2086 Depth=1
	s_or_b32 exec_lo, exec_lo, s19
	s_mov_b32 s19, exec_lo
	v_cmpx_lt_u32_e32 0xffffff, v4
	s_cbranch_execz .LBB243_3649
; %bb.3642:                             ;   in Loop: Header=BB243_2086 Depth=1
	v_mov_b32_e32 v8, v7
	v_mov_b32_e32 v26, v9
	v_cmp_ne_u32_sdwa s8, v4, v75 src0_sel:BYTE_3 src1_sel:DWORD
	v_mov_b32_e32 v25, v8
	s_and_saveexec_b32 s21, s8
	s_cbranch_execz .LBB243_3648
; %bb.3643:                             ;   in Loop: Header=BB243_2086 Depth=1
	v_mov_b32_e32 v10, v7
	v_mov_b32_e32 v26, v11
	v_bfe_u32 v8, v4, 24, 7
	s_mov_b32 s22, exec_lo
	v_mov_b32_e32 v25, v10
	v_cmpx_ne_u32_e32 0x7f, v8
	s_cbranch_execz .LBB243_3647
; %bb.3644:                             ;   in Loop: Header=BB243_2086 Depth=1
	v_and_b32_sdwa v6, v4, v30 dst_sel:DWORD dst_unused:UNUSED_PAD src0_sel:BYTE_3 src1_sel:DWORD
	v_mov_b32_e32 v26, v7
	v_lshrrev_b32_e32 v5, 3, v8
	s_mov_b32 s23, exec_lo
	v_mov_b32_e32 v25, v6
	v_cmpx_gt_u32_e32 8, v8
; %bb.3645:                             ;   in Loop: Header=BB243_2086 Depth=1
	v_ffbh_u32_e32 v5, v6
	v_min_u32_e32 v5, 32, v5
	v_subrev_nc_u32_e32 v8, 28, v5
	v_sub_nc_u32_e32 v5, 29, v5
	v_lshlrev_b64 v[25:26], v8, v[6:7]
	v_and_b32_e32 v25, 7, v25
; %bb.3646:                             ;   in Loop: Header=BB243_2086 Depth=1
	s_or_b32 exec_lo, exec_lo, s23
	v_lshlrev_b32_sdwa v4, v79, v4 dst_sel:DWORD dst_unused:UNUSED_PAD src0_sel:DWORD src1_sel:BYTE_3
	v_lshlrev_b32_e32 v6, 20, v25
	v_lshl_add_u32 v5, v5, 23, 0x3c000000
	v_mov_b32_e32 v25, v7
	v_and_b32_e32 v4, 0x80000000, v4
	v_or3_b32 v26, v6, v4, v5
.LBB243_3647:                           ;   in Loop: Header=BB243_2086 Depth=1
	s_or_b32 exec_lo, exec_lo, s22
.LBB243_3648:                           ;   in Loop: Header=BB243_2086 Depth=1
	s_or_b32 exec_lo, exec_lo, s21
.LBB243_3649:                           ;   in Loop: Header=BB243_2086 Depth=1
	s_or_b32 exec_lo, exec_lo, s19
	v_or_b32_e32 v4, v24, v22
	v_or_b32_e32 v5, v23, v21
	;; [unrolled: 1-line block ×4, first 2 shown]
	v_mul_f32_e32 v105, v106, v4
	v_mul_f32_e32 v104, v106, v5
	;; [unrolled: 1-line block ×4, first 2 shown]
	s_and_saveexec_b32 s8, vcc_lo
; %bb.3650:                             ;   in Loop: Header=BB243_2086 Depth=1
	v_cndmask_b32_e64 v104, 0, v104, s4
	v_cndmask_b32_e64 v105, 0, v105, s5
	;; [unrolled: 1-line block ×4, first 2 shown]
; %bb.3651:                             ;   in Loop: Header=BB243_2086 Depth=1
	s_or_b32 exec_lo, exec_lo, s8
	flat_load_dword v4, v[19:20] offset:1792
	v_mov_b32_e32 v23, 0
	v_mov_b32_e32 v21, 0
	;; [unrolled: 1-line block ×4, first 2 shown]
	s_waitcnt vmcnt(0) lgkmcnt(0)
	v_cmp_ne_u16_sdwa s8, v4, v7 src0_sel:BYTE_0 src1_sel:DWORD
	s_and_saveexec_b32 s19, s8
	s_cbranch_execz .LBB243_3659
; %bb.3652:                             ;   in Loop: Header=BB243_2086 Depth=1
	v_bfrev_b32_e32 v21, 1
	v_mov_b32_e32 v22, 0
	v_cmp_ne_u16_sdwa s8, v4, v75 src0_sel:BYTE_0 src1_sel:DWORD
	s_and_saveexec_b32 s21, s8
	s_cbranch_execz .LBB243_3658
; %bb.3653:                             ;   in Loop: Header=BB243_2086 Depth=1
	v_mov_b32_e32 v21, 0x7f800001
	v_and_b32_e32 v8, 0x7f, v4
	v_mov_b32_e32 v22, 0
	s_mov_b32 s22, exec_lo
	v_cmpx_ne_u32_e32 0x7f, v8
	s_cbranch_execz .LBB243_3657
; %bb.3654:                             ;   in Loop: Header=BB243_2086 Depth=1
	v_and_b32_e32 v6, 7, v4
	v_mov_b32_e32 v22, v7
	v_lshrrev_b32_e32 v5, 3, v8
	s_mov_b32 s23, exec_lo
	v_mov_b32_e32 v21, v6
	v_cmpx_gt_u32_e32 8, v8
; %bb.3655:                             ;   in Loop: Header=BB243_2086 Depth=1
	v_ffbh_u32_e32 v5, v6
	v_min_u32_e32 v5, 32, v5
	v_subrev_nc_u32_e32 v8, 28, v5
	v_sub_nc_u32_e32 v5, 29, v5
	v_lshlrev_b64 v[21:22], v8, v[6:7]
	v_and_b32_e32 v21, 7, v21
; %bb.3656:                             ;   in Loop: Header=BB243_2086 Depth=1
	s_or_b32 exec_lo, exec_lo, s23
	v_lshlrev_b32_e32 v6, 24, v4
	v_lshlrev_b32_e32 v8, 20, v21
	v_lshl_add_u32 v5, v5, 23, 0x3c000000
	v_and_b32_e32 v6, 0x80000000, v6
	v_or3_b32 v6, v8, v6, v5
	v_mov_b32_e32 v22, v7
	v_mov_b32_e32 v21, v6
.LBB243_3657:                           ;   in Loop: Header=BB243_2086 Depth=1
	s_or_b32 exec_lo, exec_lo, s22
.LBB243_3658:                           ;   in Loop: Header=BB243_2086 Depth=1
	s_or_b32 exec_lo, exec_lo, s21
.LBB243_3659:                           ;   in Loop: Header=BB243_2086 Depth=1
	s_or_b32 exec_lo, exec_lo, s19
	v_cmp_ne_u16_sdwa s8, v4, v7 src0_sel:BYTE_1 src1_sel:DWORD
	s_and_saveexec_b32 s19, s8
	s_cbranch_execz .LBB243_3667
; %bb.3660:                             ;   in Loop: Header=BB243_2086 Depth=1
	v_mov_b32_e32 v8, v7
	v_mov_b32_e32 v24, v9
	v_cmp_ne_u16_sdwa s8, v4, v75 src0_sel:BYTE_1 src1_sel:DWORD
	v_mov_b32_e32 v23, v8
	s_and_saveexec_b32 s21, s8
	s_cbranch_execz .LBB243_3666
; %bb.3661:                             ;   in Loop: Header=BB243_2086 Depth=1
	v_mov_b32_e32 v5, 0xffff
	v_mov_b32_e32 v10, v7
	;; [unrolled: 1-line block ×3, first 2 shown]
	s_mov_b32 s22, exec_lo
	v_and_b32_sdwa v5, v5, v4 dst_sel:DWORD dst_unused:UNUSED_PAD src0_sel:DWORD src1_sel:BYTE_1
	v_mov_b32_e32 v23, v10
	v_and_b32_e32 v8, 0x7f, v5
	v_cmpx_ne_u32_e32 0x7f, v8
	s_cbranch_execz .LBB243_3665
; %bb.3662:                             ;   in Loop: Header=BB243_2086 Depth=1
	v_and_b32_e32 v6, 7, v5
	v_mov_b32_e32 v24, v7
	v_lshrrev_b32_e32 v5, 3, v8
	s_mov_b32 s23, exec_lo
	v_mov_b32_e32 v23, v6
	v_cmpx_gt_u32_e32 8, v8
; %bb.3663:                             ;   in Loop: Header=BB243_2086 Depth=1
	v_ffbh_u32_e32 v5, v6
	v_min_u32_e32 v5, 32, v5
	v_subrev_nc_u32_e32 v8, 28, v5
	v_sub_nc_u32_e32 v5, 29, v5
	v_lshlrev_b64 v[23:24], v8, v[6:7]
	v_and_b32_e32 v23, 7, v23
; %bb.3664:                             ;   in Loop: Header=BB243_2086 Depth=1
	s_or_b32 exec_lo, exec_lo, s23
	v_lshlrev_b32_e32 v6, 16, v4
	v_lshlrev_b32_e32 v8, 20, v23
	v_lshl_add_u32 v5, v5, 23, 0x3c000000
	v_mov_b32_e32 v23, v7
	v_and_b32_e32 v6, 0x80000000, v6
	v_or3_b32 v24, v8, v6, v5
.LBB243_3665:                           ;   in Loop: Header=BB243_2086 Depth=1
	s_or_b32 exec_lo, exec_lo, s22
.LBB243_3666:                           ;   in Loop: Header=BB243_2086 Depth=1
	s_or_b32 exec_lo, exec_lo, s21
.LBB243_3667:                           ;   in Loop: Header=BB243_2086 Depth=1
	s_or_b32 exec_lo, exec_lo, s19
	v_mov_b32_e32 v25, 0
	v_mov_b32_e32 v27, 0
	v_and_b32_sdwa v5, v4, v77 dst_sel:DWORD dst_unused:UNUSED_PAD src0_sel:WORD_1 src1_sel:DWORD
	v_mov_b32_e32 v26, 0
	v_mov_b32_e32 v28, 0
	s_mov_b32 s19, exec_lo
	v_cmpx_ne_u16_e32 0, v5
	s_cbranch_execz .LBB243_3675
; %bb.3668:                             ;   in Loop: Header=BB243_2086 Depth=1
	v_bfrev_b32_e32 v27, 1
	v_mov_b32_e32 v28, 0
	s_mov_b32 s21, exec_lo
	v_cmpx_ne_u16_e32 0x80, v5
	s_cbranch_execz .LBB243_3674
; %bb.3669:                             ;   in Loop: Header=BB243_2086 Depth=1
	v_mov_b32_e32 v27, 0x7f800001
	v_bfe_u32 v8, v4, 16, 7
	v_mov_b32_e32 v28, 0
	s_mov_b32 s22, exec_lo
	v_cmpx_ne_u32_e32 0x7f, v8
	s_cbranch_execz .LBB243_3673
; %bb.3670:                             ;   in Loop: Header=BB243_2086 Depth=1
	v_and_b32_sdwa v6, v4, v30 dst_sel:DWORD dst_unused:UNUSED_PAD src0_sel:WORD_1 src1_sel:DWORD
	v_mov_b32_e32 v28, v7
	v_lshrrev_b32_e32 v5, 3, v8
	s_mov_b32 s23, exec_lo
	v_mov_b32_e32 v27, v6
	v_cmpx_gt_u32_e32 8, v8
; %bb.3671:                             ;   in Loop: Header=BB243_2086 Depth=1
	v_ffbh_u32_e32 v5, v6
	v_min_u32_e32 v5, 32, v5
	v_subrev_nc_u32_e32 v8, 28, v5
	v_sub_nc_u32_e32 v5, 29, v5
	v_lshlrev_b64 v[27:28], v8, v[6:7]
	v_and_b32_e32 v27, 7, v27
; %bb.3672:                             ;   in Loop: Header=BB243_2086 Depth=1
	s_or_b32 exec_lo, exec_lo, s23
	v_lshlrev_b32_sdwa v6, v79, v4 dst_sel:DWORD dst_unused:UNUSED_PAD src0_sel:DWORD src1_sel:WORD_1
	v_lshlrev_b32_e32 v8, 20, v27
	v_lshl_add_u32 v5, v5, 23, 0x3c000000
	v_and_b32_e32 v6, 0x80000000, v6
	v_or3_b32 v6, v8, v6, v5
	v_mov_b32_e32 v28, v7
	v_mov_b32_e32 v27, v6
.LBB243_3673:                           ;   in Loop: Header=BB243_2086 Depth=1
	s_or_b32 exec_lo, exec_lo, s22
.LBB243_3674:                           ;   in Loop: Header=BB243_2086 Depth=1
	s_or_b32 exec_lo, exec_lo, s21
.LBB243_3675:                           ;   in Loop: Header=BB243_2086 Depth=1
	s_or_b32 exec_lo, exec_lo, s19
	s_mov_b32 s19, exec_lo
	v_cmpx_lt_u32_e32 0xffffff, v4
	s_cbranch_execz .LBB243_3683
; %bb.3676:                             ;   in Loop: Header=BB243_2086 Depth=1
	v_mov_b32_e32 v8, v7
	v_mov_b32_e32 v26, v9
	v_cmp_ne_u32_sdwa s8, v4, v75 src0_sel:BYTE_3 src1_sel:DWORD
	v_mov_b32_e32 v25, v8
	s_and_saveexec_b32 s21, s8
	s_cbranch_execz .LBB243_3682
; %bb.3677:                             ;   in Loop: Header=BB243_2086 Depth=1
	v_mov_b32_e32 v10, v7
	v_mov_b32_e32 v26, v11
	v_bfe_u32 v8, v4, 24, 7
	s_mov_b32 s22, exec_lo
	v_mov_b32_e32 v25, v10
	v_cmpx_ne_u32_e32 0x7f, v8
	s_cbranch_execz .LBB243_3681
; %bb.3678:                             ;   in Loop: Header=BB243_2086 Depth=1
	v_and_b32_sdwa v6, v4, v30 dst_sel:DWORD dst_unused:UNUSED_PAD src0_sel:BYTE_3 src1_sel:DWORD
	v_mov_b32_e32 v26, v7
	v_lshrrev_b32_e32 v5, 3, v8
	s_mov_b32 s23, exec_lo
	v_mov_b32_e32 v25, v6
	v_cmpx_gt_u32_e32 8, v8
; %bb.3679:                             ;   in Loop: Header=BB243_2086 Depth=1
	v_ffbh_u32_e32 v5, v6
	v_min_u32_e32 v5, 32, v5
	v_subrev_nc_u32_e32 v8, 28, v5
	v_sub_nc_u32_e32 v5, 29, v5
	v_lshlrev_b64 v[25:26], v8, v[6:7]
	v_and_b32_e32 v25, 7, v25
; %bb.3680:                             ;   in Loop: Header=BB243_2086 Depth=1
	s_or_b32 exec_lo, exec_lo, s23
	v_lshlrev_b32_sdwa v4, v79, v4 dst_sel:DWORD dst_unused:UNUSED_PAD src0_sel:DWORD src1_sel:BYTE_3
	v_lshlrev_b32_e32 v6, 20, v25
	v_lshl_add_u32 v5, v5, 23, 0x3c000000
	v_mov_b32_e32 v25, v7
	v_and_b32_e32 v4, 0x80000000, v4
	v_or3_b32 v26, v6, v4, v5
.LBB243_3681:                           ;   in Loop: Header=BB243_2086 Depth=1
	s_or_b32 exec_lo, exec_lo, s22
.LBB243_3682:                           ;   in Loop: Header=BB243_2086 Depth=1
	s_or_b32 exec_lo, exec_lo, s21
.LBB243_3683:                           ;   in Loop: Header=BB243_2086 Depth=1
	s_or_b32 exec_lo, exec_lo, s19
	v_or_b32_e32 v4, v24, v22
	v_or_b32_e32 v5, v23, v21
	;; [unrolled: 1-line block ×4, first 2 shown]
	v_mul_f32_e32 v108, v106, v4
	v_mul_f32_e32 v107, v106, v5
	;; [unrolled: 1-line block ×4, first 2 shown]
	s_and_saveexec_b32 s8, vcc_lo
; %bb.3684:                             ;   in Loop: Header=BB243_2086 Depth=1
	v_cndmask_b32_e64 v107, 0, v107, s4
	v_cndmask_b32_e64 v108, 0, v108, s5
	;; [unrolled: 1-line block ×4, first 2 shown]
; %bb.3685:                             ;   in Loop: Header=BB243_2086 Depth=1
	s_or_b32 exec_lo, exec_lo, s8
	flat_load_dword v4, v[19:20] offset:1920
	v_mov_b32_e32 v21, 0
	v_mov_b32_e32 v19, 0
	v_mov_b32_e32 v22, 0
	v_mov_b32_e32 v20, 0
	s_waitcnt vmcnt(0) lgkmcnt(0)
	v_cmp_ne_u16_sdwa s8, v4, v7 src0_sel:BYTE_0 src1_sel:DWORD
	s_and_saveexec_b32 s19, s8
	s_cbranch_execz .LBB243_3693
; %bb.3686:                             ;   in Loop: Header=BB243_2086 Depth=1
	v_bfrev_b32_e32 v19, 1
	v_mov_b32_e32 v20, 0
	v_cmp_ne_u16_sdwa s8, v4, v75 src0_sel:BYTE_0 src1_sel:DWORD
	s_and_saveexec_b32 s21, s8
	s_cbranch_execz .LBB243_3692
; %bb.3687:                             ;   in Loop: Header=BB243_2086 Depth=1
	v_mov_b32_e32 v19, 0x7f800001
	v_and_b32_e32 v8, 0x7f, v4
	v_mov_b32_e32 v20, 0
	s_mov_b32 s22, exec_lo
	v_cmpx_ne_u32_e32 0x7f, v8
	s_cbranch_execz .LBB243_3691
; %bb.3688:                             ;   in Loop: Header=BB243_2086 Depth=1
	v_and_b32_e32 v6, 7, v4
	v_mov_b32_e32 v20, v7
	v_lshrrev_b32_e32 v5, 3, v8
	s_mov_b32 s23, exec_lo
	v_mov_b32_e32 v19, v6
	v_cmpx_gt_u32_e32 8, v8
; %bb.3689:                             ;   in Loop: Header=BB243_2086 Depth=1
	v_ffbh_u32_e32 v5, v6
	v_min_u32_e32 v5, 32, v5
	v_subrev_nc_u32_e32 v8, 28, v5
	v_sub_nc_u32_e32 v5, 29, v5
	v_lshlrev_b64 v[19:20], v8, v[6:7]
	v_and_b32_e32 v19, 7, v19
; %bb.3690:                             ;   in Loop: Header=BB243_2086 Depth=1
	s_or_b32 exec_lo, exec_lo, s23
	v_lshlrev_b32_e32 v6, 24, v4
	v_lshlrev_b32_e32 v8, 20, v19
	v_lshl_add_u32 v5, v5, 23, 0x3c000000
	v_and_b32_e32 v6, 0x80000000, v6
	v_or3_b32 v6, v8, v6, v5
	v_mov_b32_e32 v20, v7
	v_mov_b32_e32 v19, v6
.LBB243_3691:                           ;   in Loop: Header=BB243_2086 Depth=1
	s_or_b32 exec_lo, exec_lo, s22
.LBB243_3692:                           ;   in Loop: Header=BB243_2086 Depth=1
	s_or_b32 exec_lo, exec_lo, s21
.LBB243_3693:                           ;   in Loop: Header=BB243_2086 Depth=1
	s_or_b32 exec_lo, exec_lo, s19
	v_cmp_ne_u16_sdwa s8, v4, v7 src0_sel:BYTE_1 src1_sel:DWORD
	s_and_saveexec_b32 s19, s8
	s_cbranch_execz .LBB243_3701
; %bb.3694:                             ;   in Loop: Header=BB243_2086 Depth=1
	v_mov_b32_e32 v8, v7
	v_mov_b32_e32 v22, v9
	v_cmp_ne_u16_sdwa s8, v4, v75 src0_sel:BYTE_1 src1_sel:DWORD
	v_mov_b32_e32 v21, v8
	s_and_saveexec_b32 s21, s8
	s_cbranch_execz .LBB243_3700
; %bb.3695:                             ;   in Loop: Header=BB243_2086 Depth=1
	v_mov_b32_e32 v5, 0xffff
	v_mov_b32_e32 v10, v7
	;; [unrolled: 1-line block ×3, first 2 shown]
	s_mov_b32 s22, exec_lo
	v_and_b32_sdwa v5, v5, v4 dst_sel:DWORD dst_unused:UNUSED_PAD src0_sel:DWORD src1_sel:BYTE_1
	v_mov_b32_e32 v21, v10
	v_and_b32_e32 v8, 0x7f, v5
	v_cmpx_ne_u32_e32 0x7f, v8
	s_cbranch_execz .LBB243_3699
; %bb.3696:                             ;   in Loop: Header=BB243_2086 Depth=1
	v_and_b32_e32 v6, 7, v5
	v_mov_b32_e32 v22, v7
	v_lshrrev_b32_e32 v5, 3, v8
	s_mov_b32 s23, exec_lo
	v_mov_b32_e32 v21, v6
	v_cmpx_gt_u32_e32 8, v8
; %bb.3697:                             ;   in Loop: Header=BB243_2086 Depth=1
	v_ffbh_u32_e32 v5, v6
	v_min_u32_e32 v5, 32, v5
	v_subrev_nc_u32_e32 v8, 28, v5
	v_sub_nc_u32_e32 v5, 29, v5
	v_lshlrev_b64 v[21:22], v8, v[6:7]
	v_and_b32_e32 v21, 7, v21
; %bb.3698:                             ;   in Loop: Header=BB243_2086 Depth=1
	s_or_b32 exec_lo, exec_lo, s23
	v_lshlrev_b32_e32 v6, 16, v4
	v_lshlrev_b32_e32 v8, 20, v21
	v_lshl_add_u32 v5, v5, 23, 0x3c000000
	v_mov_b32_e32 v21, v7
	v_and_b32_e32 v6, 0x80000000, v6
	v_or3_b32 v22, v8, v6, v5
.LBB243_3699:                           ;   in Loop: Header=BB243_2086 Depth=1
	s_or_b32 exec_lo, exec_lo, s22
.LBB243_3700:                           ;   in Loop: Header=BB243_2086 Depth=1
	s_or_b32 exec_lo, exec_lo, s21
.LBB243_3701:                           ;   in Loop: Header=BB243_2086 Depth=1
	s_or_b32 exec_lo, exec_lo, s19
	v_mov_b32_e32 v23, 0
	v_mov_b32_e32 v25, 0
	v_and_b32_sdwa v5, v4, v77 dst_sel:DWORD dst_unused:UNUSED_PAD src0_sel:WORD_1 src1_sel:DWORD
	v_mov_b32_e32 v24, 0
	v_mov_b32_e32 v26, 0
	s_mov_b32 s19, exec_lo
	v_cmpx_ne_u16_e32 0, v5
	s_cbranch_execz .LBB243_3709
; %bb.3702:                             ;   in Loop: Header=BB243_2086 Depth=1
	v_bfrev_b32_e32 v25, 1
	v_mov_b32_e32 v26, 0
	s_mov_b32 s21, exec_lo
	v_cmpx_ne_u16_e32 0x80, v5
	s_cbranch_execz .LBB243_3708
; %bb.3703:                             ;   in Loop: Header=BB243_2086 Depth=1
	v_mov_b32_e32 v25, 0x7f800001
	v_bfe_u32 v8, v4, 16, 7
	v_mov_b32_e32 v26, 0
	s_mov_b32 s22, exec_lo
	v_cmpx_ne_u32_e32 0x7f, v8
	s_cbranch_execz .LBB243_3707
; %bb.3704:                             ;   in Loop: Header=BB243_2086 Depth=1
	v_and_b32_sdwa v6, v4, v30 dst_sel:DWORD dst_unused:UNUSED_PAD src0_sel:WORD_1 src1_sel:DWORD
	v_mov_b32_e32 v26, v7
	v_lshrrev_b32_e32 v5, 3, v8
	s_mov_b32 s23, exec_lo
	v_mov_b32_e32 v25, v6
	v_cmpx_gt_u32_e32 8, v8
; %bb.3705:                             ;   in Loop: Header=BB243_2086 Depth=1
	v_ffbh_u32_e32 v5, v6
	v_min_u32_e32 v5, 32, v5
	v_subrev_nc_u32_e32 v8, 28, v5
	v_sub_nc_u32_e32 v5, 29, v5
	v_lshlrev_b64 v[25:26], v8, v[6:7]
	v_and_b32_e32 v25, 7, v25
; %bb.3706:                             ;   in Loop: Header=BB243_2086 Depth=1
	s_or_b32 exec_lo, exec_lo, s23
	v_lshlrev_b32_sdwa v6, v79, v4 dst_sel:DWORD dst_unused:UNUSED_PAD src0_sel:DWORD src1_sel:WORD_1
	v_lshlrev_b32_e32 v8, 20, v25
	v_lshl_add_u32 v5, v5, 23, 0x3c000000
	v_and_b32_e32 v6, 0x80000000, v6
	v_or3_b32 v6, v8, v6, v5
	v_mov_b32_e32 v26, v7
	v_mov_b32_e32 v25, v6
.LBB243_3707:                           ;   in Loop: Header=BB243_2086 Depth=1
	s_or_b32 exec_lo, exec_lo, s22
.LBB243_3708:                           ;   in Loop: Header=BB243_2086 Depth=1
	s_or_b32 exec_lo, exec_lo, s21
.LBB243_3709:                           ;   in Loop: Header=BB243_2086 Depth=1
	s_or_b32 exec_lo, exec_lo, s19
	s_mov_b32 s19, exec_lo
	v_cmpx_lt_u32_e32 0xffffff, v4
	s_cbranch_execz .LBB243_3717
; %bb.3710:                             ;   in Loop: Header=BB243_2086 Depth=1
	v_mov_b32_e32 v8, v7
	v_mov_b32_e32 v24, v9
	v_cmp_ne_u32_sdwa s8, v4, v75 src0_sel:BYTE_3 src1_sel:DWORD
	v_mov_b32_e32 v23, v8
	s_and_saveexec_b32 s21, s8
	s_cbranch_execz .LBB243_3716
; %bb.3711:                             ;   in Loop: Header=BB243_2086 Depth=1
	v_mov_b32_e32 v10, v7
	v_mov_b32_e32 v24, v11
	v_bfe_u32 v8, v4, 24, 7
	s_mov_b32 s22, exec_lo
	v_mov_b32_e32 v23, v10
	v_cmpx_ne_u32_e32 0x7f, v8
	s_cbranch_execz .LBB243_3715
; %bb.3712:                             ;   in Loop: Header=BB243_2086 Depth=1
	v_and_b32_sdwa v6, v4, v30 dst_sel:DWORD dst_unused:UNUSED_PAD src0_sel:BYTE_3 src1_sel:DWORD
	v_mov_b32_e32 v24, v7
	v_lshrrev_b32_e32 v5, 3, v8
	s_mov_b32 s23, exec_lo
	v_mov_b32_e32 v23, v6
	v_cmpx_gt_u32_e32 8, v8
; %bb.3713:                             ;   in Loop: Header=BB243_2086 Depth=1
	v_ffbh_u32_e32 v5, v6
	v_min_u32_e32 v5, 32, v5
	v_subrev_nc_u32_e32 v8, 28, v5
	v_sub_nc_u32_e32 v5, 29, v5
	v_lshlrev_b64 v[23:24], v8, v[6:7]
	v_and_b32_e32 v23, 7, v23
; %bb.3714:                             ;   in Loop: Header=BB243_2086 Depth=1
	s_or_b32 exec_lo, exec_lo, s23
	v_lshlrev_b32_sdwa v4, v79, v4 dst_sel:DWORD dst_unused:UNUSED_PAD src0_sel:DWORD src1_sel:BYTE_3
	v_lshlrev_b32_e32 v6, 20, v23
	v_lshl_add_u32 v5, v5, 23, 0x3c000000
	v_mov_b32_e32 v23, v7
	v_and_b32_e32 v4, 0x80000000, v4
	v_or3_b32 v24, v6, v4, v5
.LBB243_3715:                           ;   in Loop: Header=BB243_2086 Depth=1
	s_or_b32 exec_lo, exec_lo, s22
.LBB243_3716:                           ;   in Loop: Header=BB243_2086 Depth=1
	s_or_b32 exec_lo, exec_lo, s21
.LBB243_3717:                           ;   in Loop: Header=BB243_2086 Depth=1
	s_or_b32 exec_lo, exec_lo, s19
	v_or_b32_e32 v4, v22, v20
	v_or_b32_e32 v5, v21, v19
	;; [unrolled: 1-line block ×4, first 2 shown]
	v_mul_f32_e32 v120, v106, v4
	v_mul_f32_e32 v111, v106, v5
	;; [unrolled: 1-line block ×4, first 2 shown]
	s_and_saveexec_b32 s8, vcc_lo
; %bb.3718:                             ;   in Loop: Header=BB243_2086 Depth=1
	v_cndmask_b32_e64 v111, 0, v111, s4
	v_cndmask_b32_e64 v120, 0, v120, s5
	;; [unrolled: 1-line block ×4, first 2 shown]
; %bb.3719:                             ;   in Loop: Header=BB243_2086 Depth=1
	s_or_b32 exec_lo, exec_lo, s8
	v_add_co_u32 v17, s8, 0x1800, v17
	v_add_co_ci_u32_e64 v18, null, 0, v18, s8
	v_mov_b32_e32 v21, 0
	v_mov_b32_e32 v19, 0
	v_mov_b32_e32 v22, 0
	flat_load_dword v4, v[17:18]
	v_mov_b32_e32 v20, 0
	s_waitcnt vmcnt(0) lgkmcnt(0)
	v_cmp_ne_u16_sdwa s8, v4, v7 src0_sel:BYTE_0 src1_sel:DWORD
	s_and_saveexec_b32 s19, s8
	s_cbranch_execz .LBB243_3727
; %bb.3720:                             ;   in Loop: Header=BB243_2086 Depth=1
	v_bfrev_b32_e32 v19, 1
	v_mov_b32_e32 v20, 0
	v_cmp_ne_u16_sdwa s8, v4, v75 src0_sel:BYTE_0 src1_sel:DWORD
	s_and_saveexec_b32 s21, s8
	s_cbranch_execz .LBB243_3726
; %bb.3721:                             ;   in Loop: Header=BB243_2086 Depth=1
	v_mov_b32_e32 v19, 0x7f800001
	v_and_b32_e32 v8, 0x7f, v4
	v_mov_b32_e32 v20, 0
	s_mov_b32 s22, exec_lo
	v_cmpx_ne_u32_e32 0x7f, v8
	s_cbranch_execz .LBB243_3725
; %bb.3722:                             ;   in Loop: Header=BB243_2086 Depth=1
	v_and_b32_e32 v6, 7, v4
	v_mov_b32_e32 v20, v7
	v_lshrrev_b32_e32 v5, 3, v8
	s_mov_b32 s23, exec_lo
	v_mov_b32_e32 v19, v6
	v_cmpx_gt_u32_e32 8, v8
; %bb.3723:                             ;   in Loop: Header=BB243_2086 Depth=1
	v_ffbh_u32_e32 v5, v6
	v_min_u32_e32 v5, 32, v5
	v_subrev_nc_u32_e32 v8, 28, v5
	v_sub_nc_u32_e32 v5, 29, v5
	v_lshlrev_b64 v[19:20], v8, v[6:7]
	v_and_b32_e32 v19, 7, v19
; %bb.3724:                             ;   in Loop: Header=BB243_2086 Depth=1
	s_or_b32 exec_lo, exec_lo, s23
	v_lshlrev_b32_e32 v6, 24, v4
	v_lshlrev_b32_e32 v8, 20, v19
	v_lshl_add_u32 v5, v5, 23, 0x3c000000
	v_and_b32_e32 v6, 0x80000000, v6
	v_or3_b32 v6, v8, v6, v5
	v_mov_b32_e32 v20, v7
	v_mov_b32_e32 v19, v6
.LBB243_3725:                           ;   in Loop: Header=BB243_2086 Depth=1
	s_or_b32 exec_lo, exec_lo, s22
.LBB243_3726:                           ;   in Loop: Header=BB243_2086 Depth=1
	s_or_b32 exec_lo, exec_lo, s21
.LBB243_3727:                           ;   in Loop: Header=BB243_2086 Depth=1
	s_or_b32 exec_lo, exec_lo, s19
	v_cmp_ne_u16_sdwa s8, v4, v7 src0_sel:BYTE_1 src1_sel:DWORD
	s_and_saveexec_b32 s19, s8
	s_cbranch_execz .LBB243_3735
; %bb.3728:                             ;   in Loop: Header=BB243_2086 Depth=1
	v_mov_b32_e32 v8, v7
	v_mov_b32_e32 v22, v9
	v_cmp_ne_u16_sdwa s8, v4, v75 src0_sel:BYTE_1 src1_sel:DWORD
	v_mov_b32_e32 v21, v8
	s_and_saveexec_b32 s21, s8
	s_cbranch_execz .LBB243_3734
; %bb.3729:                             ;   in Loop: Header=BB243_2086 Depth=1
	v_mov_b32_e32 v5, 0xffff
	v_mov_b32_e32 v10, v7
	;; [unrolled: 1-line block ×3, first 2 shown]
	s_mov_b32 s22, exec_lo
	v_and_b32_sdwa v5, v5, v4 dst_sel:DWORD dst_unused:UNUSED_PAD src0_sel:DWORD src1_sel:BYTE_1
	v_mov_b32_e32 v21, v10
	v_and_b32_e32 v8, 0x7f, v5
	v_cmpx_ne_u32_e32 0x7f, v8
	s_cbranch_execz .LBB243_3733
; %bb.3730:                             ;   in Loop: Header=BB243_2086 Depth=1
	v_and_b32_e32 v6, 7, v5
	v_mov_b32_e32 v22, v7
	v_lshrrev_b32_e32 v5, 3, v8
	s_mov_b32 s23, exec_lo
	v_mov_b32_e32 v21, v6
	v_cmpx_gt_u32_e32 8, v8
; %bb.3731:                             ;   in Loop: Header=BB243_2086 Depth=1
	v_ffbh_u32_e32 v5, v6
	v_min_u32_e32 v5, 32, v5
	v_subrev_nc_u32_e32 v8, 28, v5
	v_sub_nc_u32_e32 v5, 29, v5
	v_lshlrev_b64 v[21:22], v8, v[6:7]
	v_and_b32_e32 v21, 7, v21
; %bb.3732:                             ;   in Loop: Header=BB243_2086 Depth=1
	s_or_b32 exec_lo, exec_lo, s23
	v_lshlrev_b32_e32 v6, 16, v4
	v_lshlrev_b32_e32 v8, 20, v21
	v_lshl_add_u32 v5, v5, 23, 0x3c000000
	v_mov_b32_e32 v21, v7
	v_and_b32_e32 v6, 0x80000000, v6
	v_or3_b32 v22, v8, v6, v5
.LBB243_3733:                           ;   in Loop: Header=BB243_2086 Depth=1
	s_or_b32 exec_lo, exec_lo, s22
.LBB243_3734:                           ;   in Loop: Header=BB243_2086 Depth=1
	s_or_b32 exec_lo, exec_lo, s21
.LBB243_3735:                           ;   in Loop: Header=BB243_2086 Depth=1
	s_or_b32 exec_lo, exec_lo, s19
	v_mov_b32_e32 v23, 0
	v_mov_b32_e32 v25, 0
	v_and_b32_sdwa v5, v4, v77 dst_sel:DWORD dst_unused:UNUSED_PAD src0_sel:WORD_1 src1_sel:DWORD
	v_mov_b32_e32 v24, 0
	v_mov_b32_e32 v26, 0
	s_mov_b32 s19, exec_lo
	v_cmpx_ne_u16_e32 0, v5
	s_cbranch_execz .LBB243_3743
; %bb.3736:                             ;   in Loop: Header=BB243_2086 Depth=1
	v_bfrev_b32_e32 v25, 1
	v_mov_b32_e32 v26, 0
	s_mov_b32 s21, exec_lo
	v_cmpx_ne_u16_e32 0x80, v5
	s_cbranch_execz .LBB243_3742
; %bb.3737:                             ;   in Loop: Header=BB243_2086 Depth=1
	v_mov_b32_e32 v25, 0x7f800001
	v_bfe_u32 v8, v4, 16, 7
	v_mov_b32_e32 v26, 0
	s_mov_b32 s22, exec_lo
	v_cmpx_ne_u32_e32 0x7f, v8
	s_cbranch_execz .LBB243_3741
; %bb.3738:                             ;   in Loop: Header=BB243_2086 Depth=1
	v_and_b32_sdwa v6, v4, v30 dst_sel:DWORD dst_unused:UNUSED_PAD src0_sel:WORD_1 src1_sel:DWORD
	v_mov_b32_e32 v26, v7
	v_lshrrev_b32_e32 v5, 3, v8
	s_mov_b32 s23, exec_lo
	v_mov_b32_e32 v25, v6
	v_cmpx_gt_u32_e32 8, v8
; %bb.3739:                             ;   in Loop: Header=BB243_2086 Depth=1
	v_ffbh_u32_e32 v5, v6
	v_min_u32_e32 v5, 32, v5
	v_subrev_nc_u32_e32 v8, 28, v5
	v_sub_nc_u32_e32 v5, 29, v5
	v_lshlrev_b64 v[25:26], v8, v[6:7]
	v_and_b32_e32 v25, 7, v25
; %bb.3740:                             ;   in Loop: Header=BB243_2086 Depth=1
	s_or_b32 exec_lo, exec_lo, s23
	v_lshlrev_b32_sdwa v6, v79, v4 dst_sel:DWORD dst_unused:UNUSED_PAD src0_sel:DWORD src1_sel:WORD_1
	v_lshlrev_b32_e32 v8, 20, v25
	v_lshl_add_u32 v5, v5, 23, 0x3c000000
	v_and_b32_e32 v6, 0x80000000, v6
	v_or3_b32 v6, v8, v6, v5
	v_mov_b32_e32 v26, v7
	v_mov_b32_e32 v25, v6
.LBB243_3741:                           ;   in Loop: Header=BB243_2086 Depth=1
	s_or_b32 exec_lo, exec_lo, s22
.LBB243_3742:                           ;   in Loop: Header=BB243_2086 Depth=1
	s_or_b32 exec_lo, exec_lo, s21
.LBB243_3743:                           ;   in Loop: Header=BB243_2086 Depth=1
	s_or_b32 exec_lo, exec_lo, s19
	s_mov_b32 s19, exec_lo
	v_cmpx_lt_u32_e32 0xffffff, v4
	s_cbranch_execz .LBB243_3751
; %bb.3744:                             ;   in Loop: Header=BB243_2086 Depth=1
	v_mov_b32_e32 v8, v7
	v_mov_b32_e32 v24, v9
	v_cmp_ne_u32_sdwa s8, v4, v75 src0_sel:BYTE_3 src1_sel:DWORD
	v_mov_b32_e32 v23, v8
	s_and_saveexec_b32 s21, s8
	s_cbranch_execz .LBB243_3750
; %bb.3745:                             ;   in Loop: Header=BB243_2086 Depth=1
	v_mov_b32_e32 v10, v7
	v_mov_b32_e32 v24, v11
	v_bfe_u32 v8, v4, 24, 7
	s_mov_b32 s22, exec_lo
	v_mov_b32_e32 v23, v10
	v_cmpx_ne_u32_e32 0x7f, v8
	s_cbranch_execz .LBB243_3749
; %bb.3746:                             ;   in Loop: Header=BB243_2086 Depth=1
	v_and_b32_sdwa v6, v4, v30 dst_sel:DWORD dst_unused:UNUSED_PAD src0_sel:BYTE_3 src1_sel:DWORD
	v_mov_b32_e32 v24, v7
	v_lshrrev_b32_e32 v5, 3, v8
	s_mov_b32 s23, exec_lo
	v_mov_b32_e32 v23, v6
	v_cmpx_gt_u32_e32 8, v8
; %bb.3747:                             ;   in Loop: Header=BB243_2086 Depth=1
	v_ffbh_u32_e32 v5, v6
	v_min_u32_e32 v5, 32, v5
	v_subrev_nc_u32_e32 v8, 28, v5
	v_sub_nc_u32_e32 v5, 29, v5
	v_lshlrev_b64 v[23:24], v8, v[6:7]
	v_and_b32_e32 v23, 7, v23
; %bb.3748:                             ;   in Loop: Header=BB243_2086 Depth=1
	s_or_b32 exec_lo, exec_lo, s23
	v_lshlrev_b32_sdwa v4, v79, v4 dst_sel:DWORD dst_unused:UNUSED_PAD src0_sel:DWORD src1_sel:BYTE_3
	v_lshlrev_b32_e32 v6, 20, v23
	v_lshl_add_u32 v5, v5, 23, 0x3c000000
	v_mov_b32_e32 v23, v7
	v_and_b32_e32 v4, 0x80000000, v4
	v_or3_b32 v24, v6, v4, v5
.LBB243_3749:                           ;   in Loop: Header=BB243_2086 Depth=1
	s_or_b32 exec_lo, exec_lo, s22
.LBB243_3750:                           ;   in Loop: Header=BB243_2086 Depth=1
	s_or_b32 exec_lo, exec_lo, s21
.LBB243_3751:                           ;   in Loop: Header=BB243_2086 Depth=1
	s_or_b32 exec_lo, exec_lo, s19
	v_or_b32_e32 v4, v22, v20
	v_or_b32_e32 v5, v21, v19
	;; [unrolled: 1-line block ×4, first 2 shown]
	v_mul_f32_e32 v124, v106, v4
	v_mul_f32_e32 v123, v106, v5
	;; [unrolled: 1-line block ×4, first 2 shown]
	s_and_saveexec_b32 s8, vcc_lo
; %bb.3752:                             ;   in Loop: Header=BB243_2086 Depth=1
	v_cndmask_b32_e64 v123, 0, v123, s4
	v_cndmask_b32_e64 v124, 0, v124, s5
	;; [unrolled: 1-line block ×4, first 2 shown]
; %bb.3753:                             ;   in Loop: Header=BB243_2086 Depth=1
	s_or_b32 exec_lo, exec_lo, s8
	flat_load_dword v4, v[17:18] offset:128
	v_mov_b32_e32 v21, 0
	v_mov_b32_e32 v19, 0
	;; [unrolled: 1-line block ×4, first 2 shown]
	s_waitcnt vmcnt(0) lgkmcnt(0)
	v_cmp_ne_u16_sdwa s8, v4, v7 src0_sel:BYTE_0 src1_sel:DWORD
	s_and_saveexec_b32 s19, s8
	s_cbranch_execz .LBB243_3761
; %bb.3754:                             ;   in Loop: Header=BB243_2086 Depth=1
	v_bfrev_b32_e32 v19, 1
	v_mov_b32_e32 v20, 0
	v_cmp_ne_u16_sdwa s8, v4, v75 src0_sel:BYTE_0 src1_sel:DWORD
	s_and_saveexec_b32 s21, s8
	s_cbranch_execz .LBB243_3760
; %bb.3755:                             ;   in Loop: Header=BB243_2086 Depth=1
	v_mov_b32_e32 v19, 0x7f800001
	v_and_b32_e32 v8, 0x7f, v4
	v_mov_b32_e32 v20, 0
	s_mov_b32 s22, exec_lo
	v_cmpx_ne_u32_e32 0x7f, v8
	s_cbranch_execz .LBB243_3759
; %bb.3756:                             ;   in Loop: Header=BB243_2086 Depth=1
	v_and_b32_e32 v6, 7, v4
	v_mov_b32_e32 v20, v7
	v_lshrrev_b32_e32 v5, 3, v8
	s_mov_b32 s23, exec_lo
	v_mov_b32_e32 v19, v6
	v_cmpx_gt_u32_e32 8, v8
; %bb.3757:                             ;   in Loop: Header=BB243_2086 Depth=1
	v_ffbh_u32_e32 v5, v6
	v_min_u32_e32 v5, 32, v5
	v_subrev_nc_u32_e32 v8, 28, v5
	v_sub_nc_u32_e32 v5, 29, v5
	v_lshlrev_b64 v[19:20], v8, v[6:7]
	v_and_b32_e32 v19, 7, v19
; %bb.3758:                             ;   in Loop: Header=BB243_2086 Depth=1
	s_or_b32 exec_lo, exec_lo, s23
	v_lshlrev_b32_e32 v6, 24, v4
	v_lshlrev_b32_e32 v8, 20, v19
	v_lshl_add_u32 v5, v5, 23, 0x3c000000
	v_and_b32_e32 v6, 0x80000000, v6
	v_or3_b32 v6, v8, v6, v5
	v_mov_b32_e32 v20, v7
	v_mov_b32_e32 v19, v6
.LBB243_3759:                           ;   in Loop: Header=BB243_2086 Depth=1
	s_or_b32 exec_lo, exec_lo, s22
.LBB243_3760:                           ;   in Loop: Header=BB243_2086 Depth=1
	s_or_b32 exec_lo, exec_lo, s21
.LBB243_3761:                           ;   in Loop: Header=BB243_2086 Depth=1
	s_or_b32 exec_lo, exec_lo, s19
	v_cmp_ne_u16_sdwa s8, v4, v7 src0_sel:BYTE_1 src1_sel:DWORD
	s_and_saveexec_b32 s19, s8
	s_cbranch_execz .LBB243_3769
; %bb.3762:                             ;   in Loop: Header=BB243_2086 Depth=1
	v_mov_b32_e32 v8, v7
	v_mov_b32_e32 v22, v9
	v_cmp_ne_u16_sdwa s8, v4, v75 src0_sel:BYTE_1 src1_sel:DWORD
	v_mov_b32_e32 v21, v8
	s_and_saveexec_b32 s21, s8
	s_cbranch_execz .LBB243_3768
; %bb.3763:                             ;   in Loop: Header=BB243_2086 Depth=1
	v_mov_b32_e32 v5, 0xffff
	v_mov_b32_e32 v10, v7
	;; [unrolled: 1-line block ×3, first 2 shown]
	s_mov_b32 s22, exec_lo
	v_and_b32_sdwa v5, v5, v4 dst_sel:DWORD dst_unused:UNUSED_PAD src0_sel:DWORD src1_sel:BYTE_1
	v_mov_b32_e32 v21, v10
	v_and_b32_e32 v8, 0x7f, v5
	v_cmpx_ne_u32_e32 0x7f, v8
	s_cbranch_execz .LBB243_3767
; %bb.3764:                             ;   in Loop: Header=BB243_2086 Depth=1
	v_and_b32_e32 v6, 7, v5
	v_mov_b32_e32 v22, v7
	v_lshrrev_b32_e32 v5, 3, v8
	s_mov_b32 s23, exec_lo
	v_mov_b32_e32 v21, v6
	v_cmpx_gt_u32_e32 8, v8
; %bb.3765:                             ;   in Loop: Header=BB243_2086 Depth=1
	v_ffbh_u32_e32 v5, v6
	v_min_u32_e32 v5, 32, v5
	v_subrev_nc_u32_e32 v8, 28, v5
	v_sub_nc_u32_e32 v5, 29, v5
	v_lshlrev_b64 v[21:22], v8, v[6:7]
	v_and_b32_e32 v21, 7, v21
; %bb.3766:                             ;   in Loop: Header=BB243_2086 Depth=1
	s_or_b32 exec_lo, exec_lo, s23
	v_lshlrev_b32_e32 v6, 16, v4
	v_lshlrev_b32_e32 v8, 20, v21
	v_lshl_add_u32 v5, v5, 23, 0x3c000000
	v_mov_b32_e32 v21, v7
	v_and_b32_e32 v6, 0x80000000, v6
	v_or3_b32 v22, v8, v6, v5
.LBB243_3767:                           ;   in Loop: Header=BB243_2086 Depth=1
	s_or_b32 exec_lo, exec_lo, s22
.LBB243_3768:                           ;   in Loop: Header=BB243_2086 Depth=1
	s_or_b32 exec_lo, exec_lo, s21
.LBB243_3769:                           ;   in Loop: Header=BB243_2086 Depth=1
	s_or_b32 exec_lo, exec_lo, s19
	v_mov_b32_e32 v23, 0
	v_mov_b32_e32 v25, 0
	v_and_b32_sdwa v5, v4, v77 dst_sel:DWORD dst_unused:UNUSED_PAD src0_sel:WORD_1 src1_sel:DWORD
	v_mov_b32_e32 v24, 0
	v_mov_b32_e32 v26, 0
	s_mov_b32 s19, exec_lo
	v_cmpx_ne_u16_e32 0, v5
	s_cbranch_execz .LBB243_3777
; %bb.3770:                             ;   in Loop: Header=BB243_2086 Depth=1
	v_bfrev_b32_e32 v25, 1
	v_mov_b32_e32 v26, 0
	s_mov_b32 s21, exec_lo
	v_cmpx_ne_u16_e32 0x80, v5
	s_cbranch_execz .LBB243_3776
; %bb.3771:                             ;   in Loop: Header=BB243_2086 Depth=1
	v_mov_b32_e32 v25, 0x7f800001
	v_bfe_u32 v8, v4, 16, 7
	v_mov_b32_e32 v26, 0
	s_mov_b32 s22, exec_lo
	v_cmpx_ne_u32_e32 0x7f, v8
	s_cbranch_execz .LBB243_3775
; %bb.3772:                             ;   in Loop: Header=BB243_2086 Depth=1
	v_and_b32_sdwa v6, v4, v30 dst_sel:DWORD dst_unused:UNUSED_PAD src0_sel:WORD_1 src1_sel:DWORD
	v_mov_b32_e32 v26, v7
	v_lshrrev_b32_e32 v5, 3, v8
	s_mov_b32 s23, exec_lo
	v_mov_b32_e32 v25, v6
	v_cmpx_gt_u32_e32 8, v8
; %bb.3773:                             ;   in Loop: Header=BB243_2086 Depth=1
	v_ffbh_u32_e32 v5, v6
	v_min_u32_e32 v5, 32, v5
	v_subrev_nc_u32_e32 v8, 28, v5
	v_sub_nc_u32_e32 v5, 29, v5
	v_lshlrev_b64 v[25:26], v8, v[6:7]
	v_and_b32_e32 v25, 7, v25
; %bb.3774:                             ;   in Loop: Header=BB243_2086 Depth=1
	s_or_b32 exec_lo, exec_lo, s23
	v_lshlrev_b32_sdwa v6, v79, v4 dst_sel:DWORD dst_unused:UNUSED_PAD src0_sel:DWORD src1_sel:WORD_1
	v_lshlrev_b32_e32 v8, 20, v25
	v_lshl_add_u32 v5, v5, 23, 0x3c000000
	v_and_b32_e32 v6, 0x80000000, v6
	v_or3_b32 v6, v8, v6, v5
	v_mov_b32_e32 v26, v7
	v_mov_b32_e32 v25, v6
.LBB243_3775:                           ;   in Loop: Header=BB243_2086 Depth=1
	s_or_b32 exec_lo, exec_lo, s22
.LBB243_3776:                           ;   in Loop: Header=BB243_2086 Depth=1
	s_or_b32 exec_lo, exec_lo, s21
.LBB243_3777:                           ;   in Loop: Header=BB243_2086 Depth=1
	s_or_b32 exec_lo, exec_lo, s19
	s_mov_b32 s19, exec_lo
	v_cmpx_lt_u32_e32 0xffffff, v4
	s_cbranch_execz .LBB243_3785
; %bb.3778:                             ;   in Loop: Header=BB243_2086 Depth=1
	v_mov_b32_e32 v8, v7
	v_mov_b32_e32 v24, v9
	v_cmp_ne_u32_sdwa s8, v4, v75 src0_sel:BYTE_3 src1_sel:DWORD
	v_mov_b32_e32 v23, v8
	s_and_saveexec_b32 s21, s8
	s_cbranch_execz .LBB243_3784
; %bb.3779:                             ;   in Loop: Header=BB243_2086 Depth=1
	v_mov_b32_e32 v10, v7
	v_mov_b32_e32 v24, v11
	v_bfe_u32 v8, v4, 24, 7
	s_mov_b32 s22, exec_lo
	v_mov_b32_e32 v23, v10
	v_cmpx_ne_u32_e32 0x7f, v8
	s_cbranch_execz .LBB243_3783
; %bb.3780:                             ;   in Loop: Header=BB243_2086 Depth=1
	v_and_b32_sdwa v6, v4, v30 dst_sel:DWORD dst_unused:UNUSED_PAD src0_sel:BYTE_3 src1_sel:DWORD
	v_mov_b32_e32 v24, v7
	v_lshrrev_b32_e32 v5, 3, v8
	s_mov_b32 s23, exec_lo
	v_mov_b32_e32 v23, v6
	v_cmpx_gt_u32_e32 8, v8
; %bb.3781:                             ;   in Loop: Header=BB243_2086 Depth=1
	v_ffbh_u32_e32 v5, v6
	v_min_u32_e32 v5, 32, v5
	v_subrev_nc_u32_e32 v8, 28, v5
	v_sub_nc_u32_e32 v5, 29, v5
	v_lshlrev_b64 v[23:24], v8, v[6:7]
	v_and_b32_e32 v23, 7, v23
; %bb.3782:                             ;   in Loop: Header=BB243_2086 Depth=1
	s_or_b32 exec_lo, exec_lo, s23
	v_lshlrev_b32_sdwa v4, v79, v4 dst_sel:DWORD dst_unused:UNUSED_PAD src0_sel:DWORD src1_sel:BYTE_3
	v_lshlrev_b32_e32 v6, 20, v23
	v_lshl_add_u32 v5, v5, 23, 0x3c000000
	v_mov_b32_e32 v23, v7
	v_and_b32_e32 v4, 0x80000000, v4
	v_or3_b32 v24, v6, v4, v5
.LBB243_3783:                           ;   in Loop: Header=BB243_2086 Depth=1
	s_or_b32 exec_lo, exec_lo, s22
.LBB243_3784:                           ;   in Loop: Header=BB243_2086 Depth=1
	s_or_b32 exec_lo, exec_lo, s21
.LBB243_3785:                           ;   in Loop: Header=BB243_2086 Depth=1
	s_or_b32 exec_lo, exec_lo, s19
	v_or_b32_e32 v4, v22, v20
	v_or_b32_e32 v5, v21, v19
	;; [unrolled: 1-line block ×4, first 2 shown]
	v_mul_f32_e32 v32, v106, v4
	v_mul_f32_e32 v127, v106, v5
	;; [unrolled: 1-line block ×4, first 2 shown]
	s_and_saveexec_b32 s8, vcc_lo
; %bb.3786:                             ;   in Loop: Header=BB243_2086 Depth=1
	v_cndmask_b32_e64 v127, 0, v127, s4
	v_cndmask_b32_e64 v32, 0, v32, s5
	;; [unrolled: 1-line block ×4, first 2 shown]
; %bb.3787:                             ;   in Loop: Header=BB243_2086 Depth=1
	s_or_b32 exec_lo, exec_lo, s8
	flat_load_dword v4, v[17:18] offset:256
	v_mov_b32_e32 v21, 0
	v_mov_b32_e32 v19, 0
	;; [unrolled: 1-line block ×4, first 2 shown]
	s_waitcnt vmcnt(0) lgkmcnt(0)
	v_cmp_ne_u16_sdwa s8, v4, v7 src0_sel:BYTE_0 src1_sel:DWORD
	s_and_saveexec_b32 s19, s8
	s_cbranch_execz .LBB243_3795
; %bb.3788:                             ;   in Loop: Header=BB243_2086 Depth=1
	v_bfrev_b32_e32 v19, 1
	v_mov_b32_e32 v20, 0
	v_cmp_ne_u16_sdwa s8, v4, v75 src0_sel:BYTE_0 src1_sel:DWORD
	s_and_saveexec_b32 s21, s8
	s_cbranch_execz .LBB243_3794
; %bb.3789:                             ;   in Loop: Header=BB243_2086 Depth=1
	v_mov_b32_e32 v19, 0x7f800001
	v_and_b32_e32 v8, 0x7f, v4
	v_mov_b32_e32 v20, 0
	s_mov_b32 s22, exec_lo
	v_cmpx_ne_u32_e32 0x7f, v8
	s_cbranch_execz .LBB243_3793
; %bb.3790:                             ;   in Loop: Header=BB243_2086 Depth=1
	v_and_b32_e32 v6, 7, v4
	v_mov_b32_e32 v20, v7
	v_lshrrev_b32_e32 v5, 3, v8
	s_mov_b32 s23, exec_lo
	v_mov_b32_e32 v19, v6
	v_cmpx_gt_u32_e32 8, v8
; %bb.3791:                             ;   in Loop: Header=BB243_2086 Depth=1
	v_ffbh_u32_e32 v5, v6
	v_min_u32_e32 v5, 32, v5
	v_subrev_nc_u32_e32 v8, 28, v5
	v_sub_nc_u32_e32 v5, 29, v5
	v_lshlrev_b64 v[19:20], v8, v[6:7]
	v_and_b32_e32 v19, 7, v19
; %bb.3792:                             ;   in Loop: Header=BB243_2086 Depth=1
	s_or_b32 exec_lo, exec_lo, s23
	v_lshlrev_b32_e32 v6, 24, v4
	v_lshlrev_b32_e32 v8, 20, v19
	v_lshl_add_u32 v5, v5, 23, 0x3c000000
	v_and_b32_e32 v6, 0x80000000, v6
	v_or3_b32 v6, v8, v6, v5
	v_mov_b32_e32 v20, v7
	v_mov_b32_e32 v19, v6
.LBB243_3793:                           ;   in Loop: Header=BB243_2086 Depth=1
	s_or_b32 exec_lo, exec_lo, s22
.LBB243_3794:                           ;   in Loop: Header=BB243_2086 Depth=1
	s_or_b32 exec_lo, exec_lo, s21
.LBB243_3795:                           ;   in Loop: Header=BB243_2086 Depth=1
	s_or_b32 exec_lo, exec_lo, s19
	v_cmp_ne_u16_sdwa s8, v4, v7 src0_sel:BYTE_1 src1_sel:DWORD
	s_and_saveexec_b32 s19, s8
	s_cbranch_execz .LBB243_3803
; %bb.3796:                             ;   in Loop: Header=BB243_2086 Depth=1
	v_mov_b32_e32 v8, v7
	v_mov_b32_e32 v22, v9
	v_cmp_ne_u16_sdwa s8, v4, v75 src0_sel:BYTE_1 src1_sel:DWORD
	v_mov_b32_e32 v21, v8
	s_and_saveexec_b32 s21, s8
	s_cbranch_execz .LBB243_3802
; %bb.3797:                             ;   in Loop: Header=BB243_2086 Depth=1
	v_mov_b32_e32 v5, 0xffff
	v_mov_b32_e32 v10, v7
	;; [unrolled: 1-line block ×3, first 2 shown]
	s_mov_b32 s22, exec_lo
	v_and_b32_sdwa v5, v5, v4 dst_sel:DWORD dst_unused:UNUSED_PAD src0_sel:DWORD src1_sel:BYTE_1
	v_mov_b32_e32 v21, v10
	v_and_b32_e32 v8, 0x7f, v5
	v_cmpx_ne_u32_e32 0x7f, v8
	s_cbranch_execz .LBB243_3801
; %bb.3798:                             ;   in Loop: Header=BB243_2086 Depth=1
	v_and_b32_e32 v6, 7, v5
	v_mov_b32_e32 v22, v7
	v_lshrrev_b32_e32 v5, 3, v8
	s_mov_b32 s23, exec_lo
	v_mov_b32_e32 v21, v6
	v_cmpx_gt_u32_e32 8, v8
; %bb.3799:                             ;   in Loop: Header=BB243_2086 Depth=1
	v_ffbh_u32_e32 v5, v6
	v_min_u32_e32 v5, 32, v5
	v_subrev_nc_u32_e32 v8, 28, v5
	v_sub_nc_u32_e32 v5, 29, v5
	v_lshlrev_b64 v[21:22], v8, v[6:7]
	v_and_b32_e32 v21, 7, v21
; %bb.3800:                             ;   in Loop: Header=BB243_2086 Depth=1
	s_or_b32 exec_lo, exec_lo, s23
	v_lshlrev_b32_e32 v6, 16, v4
	v_lshlrev_b32_e32 v8, 20, v21
	v_lshl_add_u32 v5, v5, 23, 0x3c000000
	v_mov_b32_e32 v21, v7
	v_and_b32_e32 v6, 0x80000000, v6
	v_or3_b32 v22, v8, v6, v5
.LBB243_3801:                           ;   in Loop: Header=BB243_2086 Depth=1
	s_or_b32 exec_lo, exec_lo, s22
.LBB243_3802:                           ;   in Loop: Header=BB243_2086 Depth=1
	s_or_b32 exec_lo, exec_lo, s21
.LBB243_3803:                           ;   in Loop: Header=BB243_2086 Depth=1
	s_or_b32 exec_lo, exec_lo, s19
	v_mov_b32_e32 v23, 0
	v_mov_b32_e32 v25, 0
	v_and_b32_sdwa v5, v4, v77 dst_sel:DWORD dst_unused:UNUSED_PAD src0_sel:WORD_1 src1_sel:DWORD
	v_mov_b32_e32 v24, 0
	v_mov_b32_e32 v26, 0
	s_mov_b32 s19, exec_lo
	v_cmpx_ne_u16_e32 0, v5
	s_cbranch_execz .LBB243_3811
; %bb.3804:                             ;   in Loop: Header=BB243_2086 Depth=1
	v_bfrev_b32_e32 v25, 1
	v_mov_b32_e32 v26, 0
	s_mov_b32 s21, exec_lo
	v_cmpx_ne_u16_e32 0x80, v5
	s_cbranch_execz .LBB243_3810
; %bb.3805:                             ;   in Loop: Header=BB243_2086 Depth=1
	v_mov_b32_e32 v25, 0x7f800001
	v_bfe_u32 v8, v4, 16, 7
	v_mov_b32_e32 v26, 0
	s_mov_b32 s22, exec_lo
	v_cmpx_ne_u32_e32 0x7f, v8
	s_cbranch_execz .LBB243_3809
; %bb.3806:                             ;   in Loop: Header=BB243_2086 Depth=1
	v_and_b32_sdwa v6, v4, v30 dst_sel:DWORD dst_unused:UNUSED_PAD src0_sel:WORD_1 src1_sel:DWORD
	v_mov_b32_e32 v26, v7
	v_lshrrev_b32_e32 v5, 3, v8
	s_mov_b32 s23, exec_lo
	v_mov_b32_e32 v25, v6
	v_cmpx_gt_u32_e32 8, v8
; %bb.3807:                             ;   in Loop: Header=BB243_2086 Depth=1
	v_ffbh_u32_e32 v5, v6
	v_min_u32_e32 v5, 32, v5
	v_subrev_nc_u32_e32 v8, 28, v5
	v_sub_nc_u32_e32 v5, 29, v5
	v_lshlrev_b64 v[25:26], v8, v[6:7]
	v_and_b32_e32 v25, 7, v25
; %bb.3808:                             ;   in Loop: Header=BB243_2086 Depth=1
	s_or_b32 exec_lo, exec_lo, s23
	v_lshlrev_b32_sdwa v6, v79, v4 dst_sel:DWORD dst_unused:UNUSED_PAD src0_sel:DWORD src1_sel:WORD_1
	v_lshlrev_b32_e32 v8, 20, v25
	v_lshl_add_u32 v5, v5, 23, 0x3c000000
	v_and_b32_e32 v6, 0x80000000, v6
	v_or3_b32 v6, v8, v6, v5
	v_mov_b32_e32 v26, v7
	v_mov_b32_e32 v25, v6
.LBB243_3809:                           ;   in Loop: Header=BB243_2086 Depth=1
	s_or_b32 exec_lo, exec_lo, s22
.LBB243_3810:                           ;   in Loop: Header=BB243_2086 Depth=1
	s_or_b32 exec_lo, exec_lo, s21
.LBB243_3811:                           ;   in Loop: Header=BB243_2086 Depth=1
	s_or_b32 exec_lo, exec_lo, s19
	s_mov_b32 s19, exec_lo
	v_cmpx_lt_u32_e32 0xffffff, v4
	s_cbranch_execz .LBB243_3819
; %bb.3812:                             ;   in Loop: Header=BB243_2086 Depth=1
	v_mov_b32_e32 v8, v7
	v_mov_b32_e32 v24, v9
	v_cmp_ne_u32_sdwa s8, v4, v75 src0_sel:BYTE_3 src1_sel:DWORD
	v_mov_b32_e32 v23, v8
	s_and_saveexec_b32 s21, s8
	s_cbranch_execz .LBB243_3818
; %bb.3813:                             ;   in Loop: Header=BB243_2086 Depth=1
	v_mov_b32_e32 v10, v7
	v_mov_b32_e32 v24, v11
	v_bfe_u32 v8, v4, 24, 7
	s_mov_b32 s22, exec_lo
	v_mov_b32_e32 v23, v10
	v_cmpx_ne_u32_e32 0x7f, v8
	s_cbranch_execz .LBB243_3817
; %bb.3814:                             ;   in Loop: Header=BB243_2086 Depth=1
	v_and_b32_sdwa v6, v4, v30 dst_sel:DWORD dst_unused:UNUSED_PAD src0_sel:BYTE_3 src1_sel:DWORD
	v_mov_b32_e32 v24, v7
	v_lshrrev_b32_e32 v5, 3, v8
	s_mov_b32 s23, exec_lo
	v_mov_b32_e32 v23, v6
	v_cmpx_gt_u32_e32 8, v8
; %bb.3815:                             ;   in Loop: Header=BB243_2086 Depth=1
	v_ffbh_u32_e32 v5, v6
	v_min_u32_e32 v5, 32, v5
	v_subrev_nc_u32_e32 v8, 28, v5
	v_sub_nc_u32_e32 v5, 29, v5
	v_lshlrev_b64 v[23:24], v8, v[6:7]
	v_and_b32_e32 v23, 7, v23
; %bb.3816:                             ;   in Loop: Header=BB243_2086 Depth=1
	s_or_b32 exec_lo, exec_lo, s23
	v_lshlrev_b32_sdwa v4, v79, v4 dst_sel:DWORD dst_unused:UNUSED_PAD src0_sel:DWORD src1_sel:BYTE_3
	v_lshlrev_b32_e32 v6, 20, v23
	v_lshl_add_u32 v5, v5, 23, 0x3c000000
	v_mov_b32_e32 v23, v7
	v_and_b32_e32 v4, 0x80000000, v4
	v_or3_b32 v24, v6, v4, v5
.LBB243_3817:                           ;   in Loop: Header=BB243_2086 Depth=1
	s_or_b32 exec_lo, exec_lo, s22
.LBB243_3818:                           ;   in Loop: Header=BB243_2086 Depth=1
	s_or_b32 exec_lo, exec_lo, s21
.LBB243_3819:                           ;   in Loop: Header=BB243_2086 Depth=1
	s_or_b32 exec_lo, exec_lo, s19
	v_or_b32_e32 v4, v22, v20
	v_or_b32_e32 v5, v21, v19
	;; [unrolled: 1-line block ×4, first 2 shown]
	v_mul_f32_e32 v90, v106, v4
	v_mul_f32_e32 v89, v106, v5
	;; [unrolled: 1-line block ×4, first 2 shown]
	s_and_saveexec_b32 s8, vcc_lo
; %bb.3820:                             ;   in Loop: Header=BB243_2086 Depth=1
	v_cndmask_b32_e64 v89, 0, v89, s4
	v_cndmask_b32_e64 v90, 0, v90, s5
	;; [unrolled: 1-line block ×4, first 2 shown]
; %bb.3821:                             ;   in Loop: Header=BB243_2086 Depth=1
	s_or_b32 exec_lo, exec_lo, s8
	flat_load_dword v4, v[17:18] offset:384
	v_mov_b32_e32 v21, 0
	v_mov_b32_e32 v19, 0
	;; [unrolled: 1-line block ×4, first 2 shown]
	s_waitcnt vmcnt(0) lgkmcnt(0)
	v_cmp_ne_u16_sdwa s8, v4, v7 src0_sel:BYTE_0 src1_sel:DWORD
	s_and_saveexec_b32 s19, s8
	s_cbranch_execz .LBB243_3829
; %bb.3822:                             ;   in Loop: Header=BB243_2086 Depth=1
	v_bfrev_b32_e32 v19, 1
	v_mov_b32_e32 v20, 0
	v_cmp_ne_u16_sdwa s8, v4, v75 src0_sel:BYTE_0 src1_sel:DWORD
	s_and_saveexec_b32 s21, s8
	s_cbranch_execz .LBB243_3828
; %bb.3823:                             ;   in Loop: Header=BB243_2086 Depth=1
	v_mov_b32_e32 v19, 0x7f800001
	v_and_b32_e32 v8, 0x7f, v4
	v_mov_b32_e32 v20, 0
	s_mov_b32 s22, exec_lo
	v_cmpx_ne_u32_e32 0x7f, v8
	s_cbranch_execz .LBB243_3827
; %bb.3824:                             ;   in Loop: Header=BB243_2086 Depth=1
	v_and_b32_e32 v6, 7, v4
	v_mov_b32_e32 v20, v7
	v_lshrrev_b32_e32 v5, 3, v8
	s_mov_b32 s23, exec_lo
	v_mov_b32_e32 v19, v6
	v_cmpx_gt_u32_e32 8, v8
; %bb.3825:                             ;   in Loop: Header=BB243_2086 Depth=1
	v_ffbh_u32_e32 v5, v6
	v_min_u32_e32 v5, 32, v5
	v_subrev_nc_u32_e32 v8, 28, v5
	v_sub_nc_u32_e32 v5, 29, v5
	v_lshlrev_b64 v[19:20], v8, v[6:7]
	v_and_b32_e32 v19, 7, v19
; %bb.3826:                             ;   in Loop: Header=BB243_2086 Depth=1
	s_or_b32 exec_lo, exec_lo, s23
	v_lshlrev_b32_e32 v6, 24, v4
	v_lshlrev_b32_e32 v8, 20, v19
	v_lshl_add_u32 v5, v5, 23, 0x3c000000
	v_and_b32_e32 v6, 0x80000000, v6
	v_or3_b32 v6, v8, v6, v5
	v_mov_b32_e32 v20, v7
	v_mov_b32_e32 v19, v6
.LBB243_3827:                           ;   in Loop: Header=BB243_2086 Depth=1
	s_or_b32 exec_lo, exec_lo, s22
.LBB243_3828:                           ;   in Loop: Header=BB243_2086 Depth=1
	s_or_b32 exec_lo, exec_lo, s21
.LBB243_3829:                           ;   in Loop: Header=BB243_2086 Depth=1
	s_or_b32 exec_lo, exec_lo, s19
	v_cmp_ne_u16_sdwa s8, v4, v7 src0_sel:BYTE_1 src1_sel:DWORD
	s_and_saveexec_b32 s19, s8
	s_cbranch_execz .LBB243_3837
; %bb.3830:                             ;   in Loop: Header=BB243_2086 Depth=1
	v_mov_b32_e32 v8, v7
	v_mov_b32_e32 v22, v9
	v_cmp_ne_u16_sdwa s8, v4, v75 src0_sel:BYTE_1 src1_sel:DWORD
	v_mov_b32_e32 v21, v8
	s_and_saveexec_b32 s21, s8
	s_cbranch_execz .LBB243_3836
; %bb.3831:                             ;   in Loop: Header=BB243_2086 Depth=1
	v_mov_b32_e32 v5, 0xffff
	v_mov_b32_e32 v10, v7
	;; [unrolled: 1-line block ×3, first 2 shown]
	s_mov_b32 s22, exec_lo
	v_and_b32_sdwa v5, v5, v4 dst_sel:DWORD dst_unused:UNUSED_PAD src0_sel:DWORD src1_sel:BYTE_1
	v_mov_b32_e32 v21, v10
	v_and_b32_e32 v8, 0x7f, v5
	v_cmpx_ne_u32_e32 0x7f, v8
	s_cbranch_execz .LBB243_3835
; %bb.3832:                             ;   in Loop: Header=BB243_2086 Depth=1
	v_and_b32_e32 v6, 7, v5
	v_mov_b32_e32 v22, v7
	v_lshrrev_b32_e32 v5, 3, v8
	s_mov_b32 s23, exec_lo
	v_mov_b32_e32 v21, v6
	v_cmpx_gt_u32_e32 8, v8
; %bb.3833:                             ;   in Loop: Header=BB243_2086 Depth=1
	v_ffbh_u32_e32 v5, v6
	v_min_u32_e32 v5, 32, v5
	v_subrev_nc_u32_e32 v8, 28, v5
	v_sub_nc_u32_e32 v5, 29, v5
	v_lshlrev_b64 v[21:22], v8, v[6:7]
	v_and_b32_e32 v21, 7, v21
; %bb.3834:                             ;   in Loop: Header=BB243_2086 Depth=1
	s_or_b32 exec_lo, exec_lo, s23
	v_lshlrev_b32_e32 v6, 16, v4
	v_lshlrev_b32_e32 v8, 20, v21
	v_lshl_add_u32 v5, v5, 23, 0x3c000000
	v_mov_b32_e32 v21, v7
	v_and_b32_e32 v6, 0x80000000, v6
	v_or3_b32 v22, v8, v6, v5
.LBB243_3835:                           ;   in Loop: Header=BB243_2086 Depth=1
	s_or_b32 exec_lo, exec_lo, s22
.LBB243_3836:                           ;   in Loop: Header=BB243_2086 Depth=1
	s_or_b32 exec_lo, exec_lo, s21
.LBB243_3837:                           ;   in Loop: Header=BB243_2086 Depth=1
	s_or_b32 exec_lo, exec_lo, s19
	v_mov_b32_e32 v23, 0
	v_mov_b32_e32 v25, 0
	v_and_b32_sdwa v5, v4, v77 dst_sel:DWORD dst_unused:UNUSED_PAD src0_sel:WORD_1 src1_sel:DWORD
	v_mov_b32_e32 v24, 0
	v_mov_b32_e32 v26, 0
	s_mov_b32 s19, exec_lo
	v_cmpx_ne_u16_e32 0, v5
	s_cbranch_execz .LBB243_3845
; %bb.3838:                             ;   in Loop: Header=BB243_2086 Depth=1
	v_bfrev_b32_e32 v25, 1
	v_mov_b32_e32 v26, 0
	s_mov_b32 s21, exec_lo
	v_cmpx_ne_u16_e32 0x80, v5
	s_cbranch_execz .LBB243_3844
; %bb.3839:                             ;   in Loop: Header=BB243_2086 Depth=1
	v_mov_b32_e32 v25, 0x7f800001
	v_bfe_u32 v8, v4, 16, 7
	v_mov_b32_e32 v26, 0
	s_mov_b32 s22, exec_lo
	v_cmpx_ne_u32_e32 0x7f, v8
	s_cbranch_execz .LBB243_3843
; %bb.3840:                             ;   in Loop: Header=BB243_2086 Depth=1
	v_and_b32_sdwa v6, v4, v30 dst_sel:DWORD dst_unused:UNUSED_PAD src0_sel:WORD_1 src1_sel:DWORD
	v_mov_b32_e32 v26, v7
	v_lshrrev_b32_e32 v5, 3, v8
	s_mov_b32 s23, exec_lo
	v_mov_b32_e32 v25, v6
	v_cmpx_gt_u32_e32 8, v8
; %bb.3841:                             ;   in Loop: Header=BB243_2086 Depth=1
	v_ffbh_u32_e32 v5, v6
	v_min_u32_e32 v5, 32, v5
	v_subrev_nc_u32_e32 v8, 28, v5
	v_sub_nc_u32_e32 v5, 29, v5
	v_lshlrev_b64 v[25:26], v8, v[6:7]
	v_and_b32_e32 v25, 7, v25
; %bb.3842:                             ;   in Loop: Header=BB243_2086 Depth=1
	s_or_b32 exec_lo, exec_lo, s23
	v_lshlrev_b32_sdwa v6, v79, v4 dst_sel:DWORD dst_unused:UNUSED_PAD src0_sel:DWORD src1_sel:WORD_1
	v_lshlrev_b32_e32 v8, 20, v25
	v_lshl_add_u32 v5, v5, 23, 0x3c000000
	v_and_b32_e32 v6, 0x80000000, v6
	v_or3_b32 v6, v8, v6, v5
	v_mov_b32_e32 v26, v7
	v_mov_b32_e32 v25, v6
.LBB243_3843:                           ;   in Loop: Header=BB243_2086 Depth=1
	s_or_b32 exec_lo, exec_lo, s22
.LBB243_3844:                           ;   in Loop: Header=BB243_2086 Depth=1
	s_or_b32 exec_lo, exec_lo, s21
.LBB243_3845:                           ;   in Loop: Header=BB243_2086 Depth=1
	s_or_b32 exec_lo, exec_lo, s19
	s_mov_b32 s19, exec_lo
	v_cmpx_lt_u32_e32 0xffffff, v4
	s_cbranch_execz .LBB243_3853
; %bb.3846:                             ;   in Loop: Header=BB243_2086 Depth=1
	v_mov_b32_e32 v8, v7
	v_mov_b32_e32 v24, v9
	v_cmp_ne_u32_sdwa s8, v4, v75 src0_sel:BYTE_3 src1_sel:DWORD
	v_mov_b32_e32 v23, v8
	s_and_saveexec_b32 s21, s8
	s_cbranch_execz .LBB243_3852
; %bb.3847:                             ;   in Loop: Header=BB243_2086 Depth=1
	v_mov_b32_e32 v10, v7
	v_mov_b32_e32 v24, v11
	v_bfe_u32 v8, v4, 24, 7
	s_mov_b32 s22, exec_lo
	v_mov_b32_e32 v23, v10
	v_cmpx_ne_u32_e32 0x7f, v8
	s_cbranch_execz .LBB243_3851
; %bb.3848:                             ;   in Loop: Header=BB243_2086 Depth=1
	v_and_b32_sdwa v6, v4, v30 dst_sel:DWORD dst_unused:UNUSED_PAD src0_sel:BYTE_3 src1_sel:DWORD
	v_mov_b32_e32 v24, v7
	v_lshrrev_b32_e32 v5, 3, v8
	s_mov_b32 s23, exec_lo
	v_mov_b32_e32 v23, v6
	v_cmpx_gt_u32_e32 8, v8
; %bb.3849:                             ;   in Loop: Header=BB243_2086 Depth=1
	v_ffbh_u32_e32 v5, v6
	v_min_u32_e32 v5, 32, v5
	v_subrev_nc_u32_e32 v8, 28, v5
	v_sub_nc_u32_e32 v5, 29, v5
	v_lshlrev_b64 v[23:24], v8, v[6:7]
	v_and_b32_e32 v23, 7, v23
; %bb.3850:                             ;   in Loop: Header=BB243_2086 Depth=1
	s_or_b32 exec_lo, exec_lo, s23
	v_lshlrev_b32_sdwa v4, v79, v4 dst_sel:DWORD dst_unused:UNUSED_PAD src0_sel:DWORD src1_sel:BYTE_3
	v_lshlrev_b32_e32 v6, 20, v23
	v_lshl_add_u32 v5, v5, 23, 0x3c000000
	v_mov_b32_e32 v23, v7
	v_and_b32_e32 v4, 0x80000000, v4
	v_or3_b32 v24, v6, v4, v5
.LBB243_3851:                           ;   in Loop: Header=BB243_2086 Depth=1
	s_or_b32 exec_lo, exec_lo, s22
.LBB243_3852:                           ;   in Loop: Header=BB243_2086 Depth=1
	s_or_b32 exec_lo, exec_lo, s21
.LBB243_3853:                           ;   in Loop: Header=BB243_2086 Depth=1
	s_or_b32 exec_lo, exec_lo, s19
	v_or_b32_e32 v4, v22, v20
	v_or_b32_e32 v5, v21, v19
	;; [unrolled: 1-line block ×4, first 2 shown]
	v_mul_f32_e32 v93, v106, v4
	v_mul_f32_e32 v5, v106, v5
	;; [unrolled: 1-line block ×4, first 2 shown]
	s_and_saveexec_b32 s8, vcc_lo
; %bb.3854:                             ;   in Loop: Header=BB243_2086 Depth=1
	v_cndmask_b32_e64 v5, 0, v5, s4
	v_cndmask_b32_e64 v93, 0, v93, s5
	;; [unrolled: 1-line block ×4, first 2 shown]
; %bb.3855:                             ;   in Loop: Header=BB243_2086 Depth=1
	s_or_b32 exec_lo, exec_lo, s8
	flat_load_dword v14, v[17:18] offset:512
	v_mov_b32_e32 v21, 0
	v_mov_b32_e32 v19, 0
	;; [unrolled: 1-line block ×4, first 2 shown]
	s_waitcnt vmcnt(0) lgkmcnt(0)
	v_cmp_ne_u16_sdwa s8, v14, v7 src0_sel:BYTE_0 src1_sel:DWORD
	s_and_saveexec_b32 s19, s8
	s_cbranch_execz .LBB243_3863
; %bb.3856:                             ;   in Loop: Header=BB243_2086 Depth=1
	v_bfrev_b32_e32 v19, 1
	v_mov_b32_e32 v20, 0
	v_cmp_ne_u16_sdwa s8, v14, v75 src0_sel:BYTE_0 src1_sel:DWORD
	s_and_saveexec_b32 s21, s8
	s_cbranch_execz .LBB243_3862
; %bb.3857:                             ;   in Loop: Header=BB243_2086 Depth=1
	v_mov_b32_e32 v19, 0x7f800001
	v_and_b32_e32 v10, 0x7f, v14
	v_mov_b32_e32 v20, 0
	s_mov_b32 s22, exec_lo
	v_cmpx_ne_u32_e32 0x7f, v10
	s_cbranch_execz .LBB243_3861
; %bb.3858:                             ;   in Loop: Header=BB243_2086 Depth=1
	v_and_b32_e32 v6, 7, v14
	v_mov_b32_e32 v20, v7
	v_lshrrev_b32_e32 v8, 3, v10
	s_mov_b32 s23, exec_lo
	v_mov_b32_e32 v19, v6
	v_cmpx_gt_u32_e32 8, v10
; %bb.3859:                             ;   in Loop: Header=BB243_2086 Depth=1
	v_ffbh_u32_e32 v8, v6
	v_min_u32_e32 v8, 32, v8
	v_subrev_nc_u32_e32 v10, 28, v8
	v_sub_nc_u32_e32 v8, 29, v8
	v_lshlrev_b64 v[19:20], v10, v[6:7]
	v_and_b32_e32 v19, 7, v19
; %bb.3860:                             ;   in Loop: Header=BB243_2086 Depth=1
	s_or_b32 exec_lo, exec_lo, s23
	v_lshlrev_b32_e32 v6, 24, v14
	v_lshlrev_b32_e32 v10, 20, v19
	v_lshl_add_u32 v8, v8, 23, 0x3c000000
	v_and_b32_e32 v6, 0x80000000, v6
	v_or3_b32 v6, v10, v6, v8
	v_mov_b32_e32 v20, v7
	v_mov_b32_e32 v19, v6
.LBB243_3861:                           ;   in Loop: Header=BB243_2086 Depth=1
	s_or_b32 exec_lo, exec_lo, s22
.LBB243_3862:                           ;   in Loop: Header=BB243_2086 Depth=1
	s_or_b32 exec_lo, exec_lo, s21
.LBB243_3863:                           ;   in Loop: Header=BB243_2086 Depth=1
	s_or_b32 exec_lo, exec_lo, s19
	v_cmp_ne_u16_sdwa s8, v14, v7 src0_sel:BYTE_1 src1_sel:DWORD
	s_and_saveexec_b32 s19, s8
	s_cbranch_execz .LBB243_3871
; %bb.3864:                             ;   in Loop: Header=BB243_2086 Depth=1
	v_mov_b32_e32 v8, v7
	v_mov_b32_e32 v22, v9
	v_cmp_ne_u16_sdwa s8, v14, v75 src0_sel:BYTE_1 src1_sel:DWORD
	v_mov_b32_e32 v21, v8
	s_and_saveexec_b32 s21, s8
	s_cbranch_execz .LBB243_3870
; %bb.3865:                             ;   in Loop: Header=BB243_2086 Depth=1
	v_mov_b32_e32 v6, 0xffff
	v_mov_b32_e32 v10, v7
	;; [unrolled: 1-line block ×3, first 2 shown]
	s_mov_b32 s22, exec_lo
	v_and_b32_sdwa v6, v6, v14 dst_sel:DWORD dst_unused:UNUSED_PAD src0_sel:DWORD src1_sel:BYTE_1
	v_mov_b32_e32 v21, v10
	v_and_b32_e32 v23, 0x7f, v6
	v_cmpx_ne_u32_e32 0x7f, v23
	s_cbranch_execz .LBB243_3869
; %bb.3866:                             ;   in Loop: Header=BB243_2086 Depth=1
	v_and_b32_e32 v6, 7, v6
	v_mov_b32_e32 v22, v7
	v_lshrrev_b32_e32 v8, 3, v23
	s_mov_b32 s23, exec_lo
	v_mov_b32_e32 v21, v6
	v_cmpx_gt_u32_e32 8, v23
; %bb.3867:                             ;   in Loop: Header=BB243_2086 Depth=1
	v_ffbh_u32_e32 v8, v6
	v_min_u32_e32 v8, 32, v8
	v_subrev_nc_u32_e32 v10, 28, v8
	v_sub_nc_u32_e32 v8, 29, v8
	v_lshlrev_b64 v[21:22], v10, v[6:7]
	v_and_b32_e32 v21, 7, v21
; %bb.3868:                             ;   in Loop: Header=BB243_2086 Depth=1
	s_or_b32 exec_lo, exec_lo, s23
	v_lshlrev_b32_e32 v6, 16, v14
	v_lshlrev_b32_e32 v10, 20, v21
	v_lshl_add_u32 v8, v8, 23, 0x3c000000
	v_mov_b32_e32 v21, v7
	v_and_b32_e32 v6, 0x80000000, v6
	v_or3_b32 v22, v10, v6, v8
.LBB243_3869:                           ;   in Loop: Header=BB243_2086 Depth=1
	s_or_b32 exec_lo, exec_lo, s22
.LBB243_3870:                           ;   in Loop: Header=BB243_2086 Depth=1
	s_or_b32 exec_lo, exec_lo, s21
.LBB243_3871:                           ;   in Loop: Header=BB243_2086 Depth=1
	s_or_b32 exec_lo, exec_lo, s19
	v_mov_b32_e32 v23, 0
	v_mov_b32_e32 v25, 0
	v_and_b32_sdwa v6, v14, v77 dst_sel:DWORD dst_unused:UNUSED_PAD src0_sel:WORD_1 src1_sel:DWORD
	v_mov_b32_e32 v24, 0
	v_mov_b32_e32 v26, 0
	s_mov_b32 s19, exec_lo
	v_cmpx_ne_u16_e32 0, v6
	s_cbranch_execz .LBB243_3879
; %bb.3872:                             ;   in Loop: Header=BB243_2086 Depth=1
	v_bfrev_b32_e32 v25, 1
	v_mov_b32_e32 v26, 0
	s_mov_b32 s21, exec_lo
	v_cmpx_ne_u16_e32 0x80, v6
	s_cbranch_execz .LBB243_3878
; %bb.3873:                             ;   in Loop: Header=BB243_2086 Depth=1
	v_mov_b32_e32 v25, 0x7f800001
	v_bfe_u32 v10, v14, 16, 7
	v_mov_b32_e32 v26, 0
	s_mov_b32 s22, exec_lo
	v_cmpx_ne_u32_e32 0x7f, v10
	s_cbranch_execz .LBB243_3877
; %bb.3874:                             ;   in Loop: Header=BB243_2086 Depth=1
	v_and_b32_sdwa v6, v14, v30 dst_sel:DWORD dst_unused:UNUSED_PAD src0_sel:WORD_1 src1_sel:DWORD
	v_mov_b32_e32 v26, v7
	v_lshrrev_b32_e32 v8, 3, v10
	s_mov_b32 s23, exec_lo
	v_mov_b32_e32 v25, v6
	v_cmpx_gt_u32_e32 8, v10
; %bb.3875:                             ;   in Loop: Header=BB243_2086 Depth=1
	v_ffbh_u32_e32 v8, v6
	v_min_u32_e32 v8, 32, v8
	v_subrev_nc_u32_e32 v10, 28, v8
	v_sub_nc_u32_e32 v8, 29, v8
	v_lshlrev_b64 v[25:26], v10, v[6:7]
	v_and_b32_e32 v25, 7, v25
; %bb.3876:                             ;   in Loop: Header=BB243_2086 Depth=1
	s_or_b32 exec_lo, exec_lo, s23
	v_lshlrev_b32_sdwa v6, v79, v14 dst_sel:DWORD dst_unused:UNUSED_PAD src0_sel:DWORD src1_sel:WORD_1
	v_lshlrev_b32_e32 v10, 20, v25
	v_lshl_add_u32 v8, v8, 23, 0x3c000000
	v_and_b32_e32 v6, 0x80000000, v6
	v_or3_b32 v6, v10, v6, v8
	v_mov_b32_e32 v26, v7
	v_mov_b32_e32 v25, v6
.LBB243_3877:                           ;   in Loop: Header=BB243_2086 Depth=1
	s_or_b32 exec_lo, exec_lo, s22
.LBB243_3878:                           ;   in Loop: Header=BB243_2086 Depth=1
	s_or_b32 exec_lo, exec_lo, s21
.LBB243_3879:                           ;   in Loop: Header=BB243_2086 Depth=1
	s_or_b32 exec_lo, exec_lo, s19
	s_mov_b32 s19, exec_lo
	v_cmpx_lt_u32_e32 0xffffff, v14
	s_cbranch_execz .LBB243_3887
; %bb.3880:                             ;   in Loop: Header=BB243_2086 Depth=1
	v_mov_b32_e32 v8, v7
	v_mov_b32_e32 v24, v9
	v_cmp_ne_u32_sdwa s8, v14, v75 src0_sel:BYTE_3 src1_sel:DWORD
	v_mov_b32_e32 v23, v8
	s_and_saveexec_b32 s21, s8
	s_cbranch_execz .LBB243_3886
; %bb.3881:                             ;   in Loop: Header=BB243_2086 Depth=1
	v_mov_b32_e32 v10, v7
	v_mov_b32_e32 v24, v11
	v_bfe_u32 v33, v14, 24, 7
	s_mov_b32 s22, exec_lo
	v_mov_b32_e32 v23, v10
	v_cmpx_ne_u32_e32 0x7f, v33
	s_cbranch_execz .LBB243_3885
; %bb.3882:                             ;   in Loop: Header=BB243_2086 Depth=1
	v_and_b32_sdwa v6, v14, v30 dst_sel:DWORD dst_unused:UNUSED_PAD src0_sel:BYTE_3 src1_sel:DWORD
	v_mov_b32_e32 v24, v7
	v_lshrrev_b32_e32 v8, 3, v33
	s_mov_b32 s23, exec_lo
	v_mov_b32_e32 v23, v6
	v_cmpx_gt_u32_e32 8, v33
; %bb.3883:                             ;   in Loop: Header=BB243_2086 Depth=1
	v_ffbh_u32_e32 v8, v6
	v_min_u32_e32 v8, 32, v8
	v_subrev_nc_u32_e32 v10, 28, v8
	v_sub_nc_u32_e32 v8, 29, v8
	v_lshlrev_b64 v[23:24], v10, v[6:7]
	v_and_b32_e32 v23, 7, v23
; %bb.3884:                             ;   in Loop: Header=BB243_2086 Depth=1
	s_or_b32 exec_lo, exec_lo, s23
	v_lshlrev_b32_sdwa v6, v79, v14 dst_sel:DWORD dst_unused:UNUSED_PAD src0_sel:DWORD src1_sel:BYTE_3
	v_lshlrev_b32_e32 v10, 20, v23
	v_lshl_add_u32 v8, v8, 23, 0x3c000000
	v_mov_b32_e32 v23, v7
	v_and_b32_e32 v6, 0x80000000, v6
	v_or3_b32 v24, v10, v6, v8
.LBB243_3885:                           ;   in Loop: Header=BB243_2086 Depth=1
	s_or_b32 exec_lo, exec_lo, s22
.LBB243_3886:                           ;   in Loop: Header=BB243_2086 Depth=1
	s_or_b32 exec_lo, exec_lo, s21
.LBB243_3887:                           ;   in Loop: Header=BB243_2086 Depth=1
	s_or_b32 exec_lo, exec_lo, s19
	v_or_b32_e32 v6, v22, v20
	v_or_b32_e32 v8, v21, v19
	;; [unrolled: 1-line block ×4, first 2 shown]
	v_mul_f32_e32 v36, v106, v6
	v_mul_f32_e32 v35, v106, v8
	;; [unrolled: 1-line block ×4, first 2 shown]
	s_and_saveexec_b32 s8, vcc_lo
; %bb.3888:                             ;   in Loop: Header=BB243_2086 Depth=1
	v_cndmask_b32_e64 v35, 0, v35, s4
	v_cndmask_b32_e64 v36, 0, v36, s5
	;; [unrolled: 1-line block ×4, first 2 shown]
; %bb.3889:                             ;   in Loop: Header=BB243_2086 Depth=1
	s_or_b32 exec_lo, exec_lo, s8
	flat_load_dword v14, v[17:18] offset:640
	v_mov_b32_e32 v21, 0
	v_mov_b32_e32 v19, 0
	;; [unrolled: 1-line block ×4, first 2 shown]
	s_waitcnt vmcnt(0) lgkmcnt(0)
	v_cmp_ne_u16_sdwa s8, v14, v7 src0_sel:BYTE_0 src1_sel:DWORD
	s_and_saveexec_b32 s19, s8
	s_cbranch_execz .LBB243_3897
; %bb.3890:                             ;   in Loop: Header=BB243_2086 Depth=1
	v_bfrev_b32_e32 v19, 1
	v_mov_b32_e32 v20, 0
	v_cmp_ne_u16_sdwa s8, v14, v75 src0_sel:BYTE_0 src1_sel:DWORD
	s_and_saveexec_b32 s21, s8
	s_cbranch_execz .LBB243_3896
; %bb.3891:                             ;   in Loop: Header=BB243_2086 Depth=1
	v_mov_b32_e32 v19, 0x7f800001
	v_and_b32_e32 v10, 0x7f, v14
	v_mov_b32_e32 v20, 0
	s_mov_b32 s22, exec_lo
	v_cmpx_ne_u32_e32 0x7f, v10
	s_cbranch_execz .LBB243_3895
; %bb.3892:                             ;   in Loop: Header=BB243_2086 Depth=1
	v_and_b32_e32 v6, 7, v14
	v_mov_b32_e32 v20, v7
	v_lshrrev_b32_e32 v8, 3, v10
	s_mov_b32 s23, exec_lo
	v_mov_b32_e32 v19, v6
	v_cmpx_gt_u32_e32 8, v10
; %bb.3893:                             ;   in Loop: Header=BB243_2086 Depth=1
	v_ffbh_u32_e32 v8, v6
	v_min_u32_e32 v8, 32, v8
	v_subrev_nc_u32_e32 v10, 28, v8
	v_sub_nc_u32_e32 v8, 29, v8
	v_lshlrev_b64 v[19:20], v10, v[6:7]
	v_and_b32_e32 v19, 7, v19
; %bb.3894:                             ;   in Loop: Header=BB243_2086 Depth=1
	s_or_b32 exec_lo, exec_lo, s23
	v_lshlrev_b32_e32 v6, 24, v14
	v_lshlrev_b32_e32 v10, 20, v19
	v_lshl_add_u32 v8, v8, 23, 0x3c000000
	v_and_b32_e32 v6, 0x80000000, v6
	v_or3_b32 v6, v10, v6, v8
	v_mov_b32_e32 v20, v7
	v_mov_b32_e32 v19, v6
.LBB243_3895:                           ;   in Loop: Header=BB243_2086 Depth=1
	s_or_b32 exec_lo, exec_lo, s22
.LBB243_3896:                           ;   in Loop: Header=BB243_2086 Depth=1
	s_or_b32 exec_lo, exec_lo, s21
.LBB243_3897:                           ;   in Loop: Header=BB243_2086 Depth=1
	s_or_b32 exec_lo, exec_lo, s19
	v_cmp_ne_u16_sdwa s8, v14, v7 src0_sel:BYTE_1 src1_sel:DWORD
	s_and_saveexec_b32 s19, s8
	s_cbranch_execz .LBB243_3905
; %bb.3898:                             ;   in Loop: Header=BB243_2086 Depth=1
	v_mov_b32_e32 v8, v7
	v_mov_b32_e32 v22, v9
	v_cmp_ne_u16_sdwa s8, v14, v75 src0_sel:BYTE_1 src1_sel:DWORD
	v_mov_b32_e32 v21, v8
	s_and_saveexec_b32 s21, s8
	s_cbranch_execz .LBB243_3904
; %bb.3899:                             ;   in Loop: Header=BB243_2086 Depth=1
	v_mov_b32_e32 v6, 0xffff
	v_mov_b32_e32 v10, v7
	;; [unrolled: 1-line block ×3, first 2 shown]
	s_mov_b32 s22, exec_lo
	v_and_b32_sdwa v6, v6, v14 dst_sel:DWORD dst_unused:UNUSED_PAD src0_sel:DWORD src1_sel:BYTE_1
	v_mov_b32_e32 v21, v10
	v_and_b32_e32 v23, 0x7f, v6
	v_cmpx_ne_u32_e32 0x7f, v23
	s_cbranch_execz .LBB243_3903
; %bb.3900:                             ;   in Loop: Header=BB243_2086 Depth=1
	v_and_b32_e32 v6, 7, v6
	v_mov_b32_e32 v22, v7
	v_lshrrev_b32_e32 v8, 3, v23
	s_mov_b32 s23, exec_lo
	v_mov_b32_e32 v21, v6
	v_cmpx_gt_u32_e32 8, v23
; %bb.3901:                             ;   in Loop: Header=BB243_2086 Depth=1
	v_ffbh_u32_e32 v8, v6
	v_min_u32_e32 v8, 32, v8
	v_subrev_nc_u32_e32 v10, 28, v8
	v_sub_nc_u32_e32 v8, 29, v8
	v_lshlrev_b64 v[21:22], v10, v[6:7]
	v_and_b32_e32 v21, 7, v21
; %bb.3902:                             ;   in Loop: Header=BB243_2086 Depth=1
	s_or_b32 exec_lo, exec_lo, s23
	v_lshlrev_b32_e32 v6, 16, v14
	v_lshlrev_b32_e32 v10, 20, v21
	v_lshl_add_u32 v8, v8, 23, 0x3c000000
	v_mov_b32_e32 v21, v7
	v_and_b32_e32 v6, 0x80000000, v6
	v_or3_b32 v22, v10, v6, v8
.LBB243_3903:                           ;   in Loop: Header=BB243_2086 Depth=1
	s_or_b32 exec_lo, exec_lo, s22
.LBB243_3904:                           ;   in Loop: Header=BB243_2086 Depth=1
	s_or_b32 exec_lo, exec_lo, s21
.LBB243_3905:                           ;   in Loop: Header=BB243_2086 Depth=1
	s_or_b32 exec_lo, exec_lo, s19
	v_mov_b32_e32 v23, 0
	v_mov_b32_e32 v25, 0
	v_and_b32_sdwa v6, v14, v77 dst_sel:DWORD dst_unused:UNUSED_PAD src0_sel:WORD_1 src1_sel:DWORD
	v_mov_b32_e32 v24, 0
	v_mov_b32_e32 v26, 0
	s_mov_b32 s19, exec_lo
	v_cmpx_ne_u16_e32 0, v6
	s_cbranch_execz .LBB243_3913
; %bb.3906:                             ;   in Loop: Header=BB243_2086 Depth=1
	v_bfrev_b32_e32 v25, 1
	v_mov_b32_e32 v26, 0
	s_mov_b32 s21, exec_lo
	v_cmpx_ne_u16_e32 0x80, v6
	s_cbranch_execz .LBB243_3912
; %bb.3907:                             ;   in Loop: Header=BB243_2086 Depth=1
	v_mov_b32_e32 v25, 0x7f800001
	v_bfe_u32 v10, v14, 16, 7
	v_mov_b32_e32 v26, 0
	s_mov_b32 s22, exec_lo
	v_cmpx_ne_u32_e32 0x7f, v10
	s_cbranch_execz .LBB243_3911
; %bb.3908:                             ;   in Loop: Header=BB243_2086 Depth=1
	v_and_b32_sdwa v6, v14, v30 dst_sel:DWORD dst_unused:UNUSED_PAD src0_sel:WORD_1 src1_sel:DWORD
	v_mov_b32_e32 v26, v7
	v_lshrrev_b32_e32 v8, 3, v10
	s_mov_b32 s23, exec_lo
	v_mov_b32_e32 v25, v6
	v_cmpx_gt_u32_e32 8, v10
; %bb.3909:                             ;   in Loop: Header=BB243_2086 Depth=1
	v_ffbh_u32_e32 v8, v6
	v_min_u32_e32 v8, 32, v8
	v_subrev_nc_u32_e32 v10, 28, v8
	v_sub_nc_u32_e32 v8, 29, v8
	v_lshlrev_b64 v[25:26], v10, v[6:7]
	v_and_b32_e32 v25, 7, v25
; %bb.3910:                             ;   in Loop: Header=BB243_2086 Depth=1
	s_or_b32 exec_lo, exec_lo, s23
	v_lshlrev_b32_sdwa v6, v79, v14 dst_sel:DWORD dst_unused:UNUSED_PAD src0_sel:DWORD src1_sel:WORD_1
	v_lshlrev_b32_e32 v10, 20, v25
	v_lshl_add_u32 v8, v8, 23, 0x3c000000
	v_and_b32_e32 v6, 0x80000000, v6
	v_or3_b32 v6, v10, v6, v8
	v_mov_b32_e32 v26, v7
	v_mov_b32_e32 v25, v6
.LBB243_3911:                           ;   in Loop: Header=BB243_2086 Depth=1
	s_or_b32 exec_lo, exec_lo, s22
.LBB243_3912:                           ;   in Loop: Header=BB243_2086 Depth=1
	s_or_b32 exec_lo, exec_lo, s21
.LBB243_3913:                           ;   in Loop: Header=BB243_2086 Depth=1
	s_or_b32 exec_lo, exec_lo, s19
	s_mov_b32 s19, exec_lo
	v_cmpx_lt_u32_e32 0xffffff, v14
	s_cbranch_execz .LBB243_3921
; %bb.3914:                             ;   in Loop: Header=BB243_2086 Depth=1
	v_mov_b32_e32 v8, v7
	v_mov_b32_e32 v24, v9
	v_cmp_ne_u32_sdwa s8, v14, v75 src0_sel:BYTE_3 src1_sel:DWORD
	v_mov_b32_e32 v23, v8
	s_and_saveexec_b32 s21, s8
	s_cbranch_execz .LBB243_3920
; %bb.3915:                             ;   in Loop: Header=BB243_2086 Depth=1
	v_mov_b32_e32 v10, v7
	v_mov_b32_e32 v24, v11
	v_bfe_u32 v37, v14, 24, 7
	s_mov_b32 s22, exec_lo
	v_mov_b32_e32 v23, v10
	v_cmpx_ne_u32_e32 0x7f, v37
	s_cbranch_execz .LBB243_3919
; %bb.3916:                             ;   in Loop: Header=BB243_2086 Depth=1
	v_and_b32_sdwa v6, v14, v30 dst_sel:DWORD dst_unused:UNUSED_PAD src0_sel:BYTE_3 src1_sel:DWORD
	v_mov_b32_e32 v24, v7
	v_lshrrev_b32_e32 v8, 3, v37
	s_mov_b32 s23, exec_lo
	v_mov_b32_e32 v23, v6
	v_cmpx_gt_u32_e32 8, v37
; %bb.3917:                             ;   in Loop: Header=BB243_2086 Depth=1
	v_ffbh_u32_e32 v8, v6
	v_min_u32_e32 v8, 32, v8
	v_subrev_nc_u32_e32 v10, 28, v8
	v_sub_nc_u32_e32 v8, 29, v8
	v_lshlrev_b64 v[23:24], v10, v[6:7]
	v_and_b32_e32 v23, 7, v23
; %bb.3918:                             ;   in Loop: Header=BB243_2086 Depth=1
	s_or_b32 exec_lo, exec_lo, s23
	v_lshlrev_b32_sdwa v6, v79, v14 dst_sel:DWORD dst_unused:UNUSED_PAD src0_sel:DWORD src1_sel:BYTE_3
	v_lshlrev_b32_e32 v10, 20, v23
	v_lshl_add_u32 v8, v8, 23, 0x3c000000
	v_mov_b32_e32 v23, v7
	v_and_b32_e32 v6, 0x80000000, v6
	v_or3_b32 v24, v10, v6, v8
.LBB243_3919:                           ;   in Loop: Header=BB243_2086 Depth=1
	s_or_b32 exec_lo, exec_lo, s22
.LBB243_3920:                           ;   in Loop: Header=BB243_2086 Depth=1
	s_or_b32 exec_lo, exec_lo, s21
.LBB243_3921:                           ;   in Loop: Header=BB243_2086 Depth=1
	s_or_b32 exec_lo, exec_lo, s19
	v_or_b32_e32 v6, v22, v20
	v_or_b32_e32 v8, v21, v19
	;; [unrolled: 1-line block ×4, first 2 shown]
	v_mul_f32_e32 v48, v106, v6
	v_mul_f32_e32 v39, v106, v8
	;; [unrolled: 1-line block ×4, first 2 shown]
	s_and_saveexec_b32 s8, vcc_lo
; %bb.3922:                             ;   in Loop: Header=BB243_2086 Depth=1
	v_cndmask_b32_e64 v39, 0, v39, s4
	v_cndmask_b32_e64 v48, 0, v48, s5
	;; [unrolled: 1-line block ×4, first 2 shown]
; %bb.3923:                             ;   in Loop: Header=BB243_2086 Depth=1
	s_or_b32 exec_lo, exec_lo, s8
	flat_load_dword v14, v[17:18] offset:768
	v_mov_b32_e32 v21, 0
	v_mov_b32_e32 v19, 0
	;; [unrolled: 1-line block ×4, first 2 shown]
	s_waitcnt vmcnt(0) lgkmcnt(0)
	v_cmp_ne_u16_sdwa s8, v14, v7 src0_sel:BYTE_0 src1_sel:DWORD
	s_and_saveexec_b32 s19, s8
	s_cbranch_execz .LBB243_3931
; %bb.3924:                             ;   in Loop: Header=BB243_2086 Depth=1
	v_bfrev_b32_e32 v19, 1
	v_mov_b32_e32 v20, 0
	v_cmp_ne_u16_sdwa s8, v14, v75 src0_sel:BYTE_0 src1_sel:DWORD
	s_and_saveexec_b32 s21, s8
	s_cbranch_execz .LBB243_3930
; %bb.3925:                             ;   in Loop: Header=BB243_2086 Depth=1
	v_mov_b32_e32 v19, 0x7f800001
	v_and_b32_e32 v10, 0x7f, v14
	v_mov_b32_e32 v20, 0
	s_mov_b32 s22, exec_lo
	v_cmpx_ne_u32_e32 0x7f, v10
	s_cbranch_execz .LBB243_3929
; %bb.3926:                             ;   in Loop: Header=BB243_2086 Depth=1
	v_and_b32_e32 v6, 7, v14
	v_mov_b32_e32 v20, v7
	v_lshrrev_b32_e32 v8, 3, v10
	s_mov_b32 s23, exec_lo
	v_mov_b32_e32 v19, v6
	v_cmpx_gt_u32_e32 8, v10
; %bb.3927:                             ;   in Loop: Header=BB243_2086 Depth=1
	v_ffbh_u32_e32 v8, v6
	v_min_u32_e32 v8, 32, v8
	v_subrev_nc_u32_e32 v10, 28, v8
	v_sub_nc_u32_e32 v8, 29, v8
	v_lshlrev_b64 v[19:20], v10, v[6:7]
	v_and_b32_e32 v19, 7, v19
; %bb.3928:                             ;   in Loop: Header=BB243_2086 Depth=1
	s_or_b32 exec_lo, exec_lo, s23
	v_lshlrev_b32_e32 v6, 24, v14
	v_lshlrev_b32_e32 v10, 20, v19
	v_lshl_add_u32 v8, v8, 23, 0x3c000000
	v_and_b32_e32 v6, 0x80000000, v6
	v_or3_b32 v6, v10, v6, v8
	v_mov_b32_e32 v20, v7
	v_mov_b32_e32 v19, v6
.LBB243_3929:                           ;   in Loop: Header=BB243_2086 Depth=1
	s_or_b32 exec_lo, exec_lo, s22
.LBB243_3930:                           ;   in Loop: Header=BB243_2086 Depth=1
	s_or_b32 exec_lo, exec_lo, s21
.LBB243_3931:                           ;   in Loop: Header=BB243_2086 Depth=1
	s_or_b32 exec_lo, exec_lo, s19
	v_cmp_ne_u16_sdwa s8, v14, v7 src0_sel:BYTE_1 src1_sel:DWORD
	s_and_saveexec_b32 s19, s8
	s_cbranch_execz .LBB243_3939
; %bb.3932:                             ;   in Loop: Header=BB243_2086 Depth=1
	v_mov_b32_e32 v8, v7
	v_mov_b32_e32 v22, v9
	v_cmp_ne_u16_sdwa s8, v14, v75 src0_sel:BYTE_1 src1_sel:DWORD
	v_mov_b32_e32 v21, v8
	s_and_saveexec_b32 s21, s8
	s_cbranch_execz .LBB243_3938
; %bb.3933:                             ;   in Loop: Header=BB243_2086 Depth=1
	v_mov_b32_e32 v6, 0xffff
	v_mov_b32_e32 v10, v7
	;; [unrolled: 1-line block ×3, first 2 shown]
	s_mov_b32 s22, exec_lo
	v_and_b32_sdwa v6, v6, v14 dst_sel:DWORD dst_unused:UNUSED_PAD src0_sel:DWORD src1_sel:BYTE_1
	v_mov_b32_e32 v21, v10
	v_and_b32_e32 v23, 0x7f, v6
	v_cmpx_ne_u32_e32 0x7f, v23
	s_cbranch_execz .LBB243_3937
; %bb.3934:                             ;   in Loop: Header=BB243_2086 Depth=1
	v_and_b32_e32 v6, 7, v6
	v_mov_b32_e32 v22, v7
	v_lshrrev_b32_e32 v8, 3, v23
	s_mov_b32 s23, exec_lo
	v_mov_b32_e32 v21, v6
	v_cmpx_gt_u32_e32 8, v23
; %bb.3935:                             ;   in Loop: Header=BB243_2086 Depth=1
	v_ffbh_u32_e32 v8, v6
	v_min_u32_e32 v8, 32, v8
	v_subrev_nc_u32_e32 v10, 28, v8
	v_sub_nc_u32_e32 v8, 29, v8
	v_lshlrev_b64 v[21:22], v10, v[6:7]
	v_and_b32_e32 v21, 7, v21
; %bb.3936:                             ;   in Loop: Header=BB243_2086 Depth=1
	s_or_b32 exec_lo, exec_lo, s23
	v_lshlrev_b32_e32 v6, 16, v14
	v_lshlrev_b32_e32 v10, 20, v21
	v_lshl_add_u32 v8, v8, 23, 0x3c000000
	v_mov_b32_e32 v21, v7
	v_and_b32_e32 v6, 0x80000000, v6
	v_or3_b32 v22, v10, v6, v8
.LBB243_3937:                           ;   in Loop: Header=BB243_2086 Depth=1
	s_or_b32 exec_lo, exec_lo, s22
.LBB243_3938:                           ;   in Loop: Header=BB243_2086 Depth=1
	s_or_b32 exec_lo, exec_lo, s21
.LBB243_3939:                           ;   in Loop: Header=BB243_2086 Depth=1
	s_or_b32 exec_lo, exec_lo, s19
	v_mov_b32_e32 v23, 0
	v_mov_b32_e32 v25, 0
	v_and_b32_sdwa v6, v14, v77 dst_sel:DWORD dst_unused:UNUSED_PAD src0_sel:WORD_1 src1_sel:DWORD
	v_mov_b32_e32 v24, 0
	v_mov_b32_e32 v26, 0
	s_mov_b32 s19, exec_lo
	v_cmpx_ne_u16_e32 0, v6
	s_cbranch_execz .LBB243_3947
; %bb.3940:                             ;   in Loop: Header=BB243_2086 Depth=1
	v_bfrev_b32_e32 v25, 1
	v_mov_b32_e32 v26, 0
	s_mov_b32 s21, exec_lo
	v_cmpx_ne_u16_e32 0x80, v6
	s_cbranch_execz .LBB243_3946
; %bb.3941:                             ;   in Loop: Header=BB243_2086 Depth=1
	v_mov_b32_e32 v25, 0x7f800001
	v_bfe_u32 v10, v14, 16, 7
	v_mov_b32_e32 v26, 0
	s_mov_b32 s22, exec_lo
	v_cmpx_ne_u32_e32 0x7f, v10
	s_cbranch_execz .LBB243_3945
; %bb.3942:                             ;   in Loop: Header=BB243_2086 Depth=1
	v_and_b32_sdwa v6, v14, v30 dst_sel:DWORD dst_unused:UNUSED_PAD src0_sel:WORD_1 src1_sel:DWORD
	v_mov_b32_e32 v26, v7
	v_lshrrev_b32_e32 v8, 3, v10
	s_mov_b32 s23, exec_lo
	v_mov_b32_e32 v25, v6
	v_cmpx_gt_u32_e32 8, v10
; %bb.3943:                             ;   in Loop: Header=BB243_2086 Depth=1
	v_ffbh_u32_e32 v8, v6
	v_min_u32_e32 v8, 32, v8
	v_subrev_nc_u32_e32 v10, 28, v8
	v_sub_nc_u32_e32 v8, 29, v8
	v_lshlrev_b64 v[25:26], v10, v[6:7]
	v_and_b32_e32 v25, 7, v25
; %bb.3944:                             ;   in Loop: Header=BB243_2086 Depth=1
	s_or_b32 exec_lo, exec_lo, s23
	v_lshlrev_b32_sdwa v6, v79, v14 dst_sel:DWORD dst_unused:UNUSED_PAD src0_sel:DWORD src1_sel:WORD_1
	v_lshlrev_b32_e32 v10, 20, v25
	v_lshl_add_u32 v8, v8, 23, 0x3c000000
	v_and_b32_e32 v6, 0x80000000, v6
	v_or3_b32 v6, v10, v6, v8
	v_mov_b32_e32 v26, v7
	v_mov_b32_e32 v25, v6
.LBB243_3945:                           ;   in Loop: Header=BB243_2086 Depth=1
	s_or_b32 exec_lo, exec_lo, s22
.LBB243_3946:                           ;   in Loop: Header=BB243_2086 Depth=1
	s_or_b32 exec_lo, exec_lo, s21
.LBB243_3947:                           ;   in Loop: Header=BB243_2086 Depth=1
	s_or_b32 exec_lo, exec_lo, s19
	s_mov_b32 s19, exec_lo
	v_cmpx_lt_u32_e32 0xffffff, v14
	s_cbranch_execz .LBB243_3955
; %bb.3948:                             ;   in Loop: Header=BB243_2086 Depth=1
	v_mov_b32_e32 v8, v7
	v_mov_b32_e32 v24, v9
	v_cmp_ne_u32_sdwa s8, v14, v75 src0_sel:BYTE_3 src1_sel:DWORD
	v_mov_b32_e32 v23, v8
	s_and_saveexec_b32 s21, s8
	s_cbranch_execz .LBB243_3954
; %bb.3949:                             ;   in Loop: Header=BB243_2086 Depth=1
	v_mov_b32_e32 v10, v7
	v_mov_b32_e32 v24, v11
	v_bfe_u32 v49, v14, 24, 7
	s_mov_b32 s22, exec_lo
	v_mov_b32_e32 v23, v10
	v_cmpx_ne_u32_e32 0x7f, v49
	s_cbranch_execz .LBB243_3953
; %bb.3950:                             ;   in Loop: Header=BB243_2086 Depth=1
	v_and_b32_sdwa v6, v14, v30 dst_sel:DWORD dst_unused:UNUSED_PAD src0_sel:BYTE_3 src1_sel:DWORD
	v_mov_b32_e32 v24, v7
	v_lshrrev_b32_e32 v8, 3, v49
	s_mov_b32 s23, exec_lo
	v_mov_b32_e32 v23, v6
	v_cmpx_gt_u32_e32 8, v49
; %bb.3951:                             ;   in Loop: Header=BB243_2086 Depth=1
	v_ffbh_u32_e32 v8, v6
	v_min_u32_e32 v8, 32, v8
	v_subrev_nc_u32_e32 v10, 28, v8
	v_sub_nc_u32_e32 v8, 29, v8
	v_lshlrev_b64 v[23:24], v10, v[6:7]
	v_and_b32_e32 v23, 7, v23
; %bb.3952:                             ;   in Loop: Header=BB243_2086 Depth=1
	s_or_b32 exec_lo, exec_lo, s23
	v_lshlrev_b32_sdwa v6, v79, v14 dst_sel:DWORD dst_unused:UNUSED_PAD src0_sel:DWORD src1_sel:BYTE_3
	v_lshlrev_b32_e32 v10, 20, v23
	v_lshl_add_u32 v8, v8, 23, 0x3c000000
	v_mov_b32_e32 v23, v7
	v_and_b32_e32 v6, 0x80000000, v6
	v_or3_b32 v24, v10, v6, v8
.LBB243_3953:                           ;   in Loop: Header=BB243_2086 Depth=1
	s_or_b32 exec_lo, exec_lo, s22
.LBB243_3954:                           ;   in Loop: Header=BB243_2086 Depth=1
	s_or_b32 exec_lo, exec_lo, s21
.LBB243_3955:                           ;   in Loop: Header=BB243_2086 Depth=1
	s_or_b32 exec_lo, exec_lo, s19
	v_or_b32_e32 v6, v22, v20
	v_or_b32_e32 v8, v21, v19
	;; [unrolled: 1-line block ×4, first 2 shown]
	v_mul_f32_e32 v52, v106, v6
	v_mul_f32_e32 v51, v106, v8
	;; [unrolled: 1-line block ×4, first 2 shown]
	s_and_saveexec_b32 s8, vcc_lo
; %bb.3956:                             ;   in Loop: Header=BB243_2086 Depth=1
	v_cndmask_b32_e64 v51, 0, v51, s4
	v_cndmask_b32_e64 v52, 0, v52, s5
	;; [unrolled: 1-line block ×4, first 2 shown]
; %bb.3957:                             ;   in Loop: Header=BB243_2086 Depth=1
	s_or_b32 exec_lo, exec_lo, s8
	flat_load_dword v14, v[17:18] offset:896
	v_mov_b32_e32 v21, 0
	v_mov_b32_e32 v19, 0
	;; [unrolled: 1-line block ×4, first 2 shown]
	s_waitcnt vmcnt(0) lgkmcnt(0)
	v_cmp_ne_u16_sdwa s8, v14, v7 src0_sel:BYTE_0 src1_sel:DWORD
	s_and_saveexec_b32 s19, s8
	s_cbranch_execz .LBB243_3965
; %bb.3958:                             ;   in Loop: Header=BB243_2086 Depth=1
	v_bfrev_b32_e32 v19, 1
	v_mov_b32_e32 v20, 0
	v_cmp_ne_u16_sdwa s8, v14, v75 src0_sel:BYTE_0 src1_sel:DWORD
	s_and_saveexec_b32 s21, s8
	s_cbranch_execz .LBB243_3964
; %bb.3959:                             ;   in Loop: Header=BB243_2086 Depth=1
	v_mov_b32_e32 v19, 0x7f800001
	v_and_b32_e32 v10, 0x7f, v14
	v_mov_b32_e32 v20, 0
	s_mov_b32 s22, exec_lo
	v_cmpx_ne_u32_e32 0x7f, v10
	s_cbranch_execz .LBB243_3963
; %bb.3960:                             ;   in Loop: Header=BB243_2086 Depth=1
	v_and_b32_e32 v6, 7, v14
	v_mov_b32_e32 v20, v7
	v_lshrrev_b32_e32 v8, 3, v10
	s_mov_b32 s23, exec_lo
	v_mov_b32_e32 v19, v6
	v_cmpx_gt_u32_e32 8, v10
; %bb.3961:                             ;   in Loop: Header=BB243_2086 Depth=1
	v_ffbh_u32_e32 v8, v6
	v_min_u32_e32 v8, 32, v8
	v_subrev_nc_u32_e32 v10, 28, v8
	v_sub_nc_u32_e32 v8, 29, v8
	v_lshlrev_b64 v[19:20], v10, v[6:7]
	v_and_b32_e32 v19, 7, v19
; %bb.3962:                             ;   in Loop: Header=BB243_2086 Depth=1
	s_or_b32 exec_lo, exec_lo, s23
	v_lshlrev_b32_e32 v6, 24, v14
	v_lshlrev_b32_e32 v10, 20, v19
	v_lshl_add_u32 v8, v8, 23, 0x3c000000
	v_and_b32_e32 v6, 0x80000000, v6
	v_or3_b32 v6, v10, v6, v8
	v_mov_b32_e32 v20, v7
	v_mov_b32_e32 v19, v6
.LBB243_3963:                           ;   in Loop: Header=BB243_2086 Depth=1
	s_or_b32 exec_lo, exec_lo, s22
.LBB243_3964:                           ;   in Loop: Header=BB243_2086 Depth=1
	s_or_b32 exec_lo, exec_lo, s21
.LBB243_3965:                           ;   in Loop: Header=BB243_2086 Depth=1
	s_or_b32 exec_lo, exec_lo, s19
	v_cmp_ne_u16_sdwa s8, v14, v7 src0_sel:BYTE_1 src1_sel:DWORD
	s_and_saveexec_b32 s19, s8
	s_cbranch_execz .LBB243_3973
; %bb.3966:                             ;   in Loop: Header=BB243_2086 Depth=1
	v_mov_b32_e32 v8, v7
	v_mov_b32_e32 v22, v9
	v_cmp_ne_u16_sdwa s8, v14, v75 src0_sel:BYTE_1 src1_sel:DWORD
	v_mov_b32_e32 v21, v8
	s_and_saveexec_b32 s21, s8
	s_cbranch_execz .LBB243_3972
; %bb.3967:                             ;   in Loop: Header=BB243_2086 Depth=1
	v_mov_b32_e32 v6, 0xffff
	v_mov_b32_e32 v10, v7
	;; [unrolled: 1-line block ×3, first 2 shown]
	s_mov_b32 s22, exec_lo
	v_and_b32_sdwa v6, v6, v14 dst_sel:DWORD dst_unused:UNUSED_PAD src0_sel:DWORD src1_sel:BYTE_1
	v_mov_b32_e32 v21, v10
	v_and_b32_e32 v23, 0x7f, v6
	v_cmpx_ne_u32_e32 0x7f, v23
	s_cbranch_execz .LBB243_3971
; %bb.3968:                             ;   in Loop: Header=BB243_2086 Depth=1
	v_and_b32_e32 v6, 7, v6
	v_mov_b32_e32 v22, v7
	v_lshrrev_b32_e32 v8, 3, v23
	s_mov_b32 s23, exec_lo
	v_mov_b32_e32 v21, v6
	v_cmpx_gt_u32_e32 8, v23
; %bb.3969:                             ;   in Loop: Header=BB243_2086 Depth=1
	v_ffbh_u32_e32 v8, v6
	v_min_u32_e32 v8, 32, v8
	v_subrev_nc_u32_e32 v10, 28, v8
	v_sub_nc_u32_e32 v8, 29, v8
	v_lshlrev_b64 v[21:22], v10, v[6:7]
	v_and_b32_e32 v21, 7, v21
; %bb.3970:                             ;   in Loop: Header=BB243_2086 Depth=1
	s_or_b32 exec_lo, exec_lo, s23
	v_lshlrev_b32_e32 v6, 16, v14
	v_lshlrev_b32_e32 v10, 20, v21
	v_lshl_add_u32 v8, v8, 23, 0x3c000000
	v_mov_b32_e32 v21, v7
	v_and_b32_e32 v6, 0x80000000, v6
	v_or3_b32 v22, v10, v6, v8
.LBB243_3971:                           ;   in Loop: Header=BB243_2086 Depth=1
	s_or_b32 exec_lo, exec_lo, s22
.LBB243_3972:                           ;   in Loop: Header=BB243_2086 Depth=1
	s_or_b32 exec_lo, exec_lo, s21
.LBB243_3973:                           ;   in Loop: Header=BB243_2086 Depth=1
	s_or_b32 exec_lo, exec_lo, s19
	v_mov_b32_e32 v23, 0
	v_mov_b32_e32 v25, 0
	v_and_b32_sdwa v6, v14, v77 dst_sel:DWORD dst_unused:UNUSED_PAD src0_sel:WORD_1 src1_sel:DWORD
	v_mov_b32_e32 v24, 0
	v_mov_b32_e32 v26, 0
	s_mov_b32 s19, exec_lo
	v_cmpx_ne_u16_e32 0, v6
	s_cbranch_execz .LBB243_3981
; %bb.3974:                             ;   in Loop: Header=BB243_2086 Depth=1
	v_bfrev_b32_e32 v25, 1
	v_mov_b32_e32 v26, 0
	s_mov_b32 s21, exec_lo
	v_cmpx_ne_u16_e32 0x80, v6
	s_cbranch_execz .LBB243_3980
; %bb.3975:                             ;   in Loop: Header=BB243_2086 Depth=1
	v_mov_b32_e32 v25, 0x7f800001
	v_bfe_u32 v10, v14, 16, 7
	v_mov_b32_e32 v26, 0
	s_mov_b32 s22, exec_lo
	v_cmpx_ne_u32_e32 0x7f, v10
	s_cbranch_execz .LBB243_3979
; %bb.3976:                             ;   in Loop: Header=BB243_2086 Depth=1
	v_and_b32_sdwa v6, v14, v30 dst_sel:DWORD dst_unused:UNUSED_PAD src0_sel:WORD_1 src1_sel:DWORD
	v_mov_b32_e32 v26, v7
	v_lshrrev_b32_e32 v8, 3, v10
	s_mov_b32 s23, exec_lo
	v_mov_b32_e32 v25, v6
	v_cmpx_gt_u32_e32 8, v10
; %bb.3977:                             ;   in Loop: Header=BB243_2086 Depth=1
	v_ffbh_u32_e32 v8, v6
	v_min_u32_e32 v8, 32, v8
	v_subrev_nc_u32_e32 v10, 28, v8
	v_sub_nc_u32_e32 v8, 29, v8
	v_lshlrev_b64 v[25:26], v10, v[6:7]
	v_and_b32_e32 v25, 7, v25
; %bb.3978:                             ;   in Loop: Header=BB243_2086 Depth=1
	s_or_b32 exec_lo, exec_lo, s23
	v_lshlrev_b32_sdwa v6, v79, v14 dst_sel:DWORD dst_unused:UNUSED_PAD src0_sel:DWORD src1_sel:WORD_1
	v_lshlrev_b32_e32 v10, 20, v25
	v_lshl_add_u32 v8, v8, 23, 0x3c000000
	v_and_b32_e32 v6, 0x80000000, v6
	v_or3_b32 v6, v10, v6, v8
	v_mov_b32_e32 v26, v7
	v_mov_b32_e32 v25, v6
.LBB243_3979:                           ;   in Loop: Header=BB243_2086 Depth=1
	s_or_b32 exec_lo, exec_lo, s22
.LBB243_3980:                           ;   in Loop: Header=BB243_2086 Depth=1
	s_or_b32 exec_lo, exec_lo, s21
.LBB243_3981:                           ;   in Loop: Header=BB243_2086 Depth=1
	s_or_b32 exec_lo, exec_lo, s19
	s_mov_b32 s19, exec_lo
	v_cmpx_lt_u32_e32 0xffffff, v14
	s_cbranch_execz .LBB243_3989
; %bb.3982:                             ;   in Loop: Header=BB243_2086 Depth=1
	v_mov_b32_e32 v8, v7
	v_mov_b32_e32 v24, v9
	v_cmp_ne_u32_sdwa s8, v14, v75 src0_sel:BYTE_3 src1_sel:DWORD
	v_mov_b32_e32 v23, v8
	s_and_saveexec_b32 s21, s8
	s_cbranch_execz .LBB243_3988
; %bb.3983:                             ;   in Loop: Header=BB243_2086 Depth=1
	v_mov_b32_e32 v10, v7
	v_mov_b32_e32 v24, v11
	v_bfe_u32 v53, v14, 24, 7
	s_mov_b32 s22, exec_lo
	v_mov_b32_e32 v23, v10
	v_cmpx_ne_u32_e32 0x7f, v53
	s_cbranch_execz .LBB243_3987
; %bb.3984:                             ;   in Loop: Header=BB243_2086 Depth=1
	v_and_b32_sdwa v6, v14, v30 dst_sel:DWORD dst_unused:UNUSED_PAD src0_sel:BYTE_3 src1_sel:DWORD
	v_mov_b32_e32 v24, v7
	v_lshrrev_b32_e32 v8, 3, v53
	s_mov_b32 s23, exec_lo
	v_mov_b32_e32 v23, v6
	v_cmpx_gt_u32_e32 8, v53
; %bb.3985:                             ;   in Loop: Header=BB243_2086 Depth=1
	v_ffbh_u32_e32 v8, v6
	v_min_u32_e32 v8, 32, v8
	v_subrev_nc_u32_e32 v10, 28, v8
	v_sub_nc_u32_e32 v8, 29, v8
	v_lshlrev_b64 v[23:24], v10, v[6:7]
	v_and_b32_e32 v23, 7, v23
; %bb.3986:                             ;   in Loop: Header=BB243_2086 Depth=1
	s_or_b32 exec_lo, exec_lo, s23
	v_lshlrev_b32_sdwa v6, v79, v14 dst_sel:DWORD dst_unused:UNUSED_PAD src0_sel:DWORD src1_sel:BYTE_3
	v_lshlrev_b32_e32 v10, 20, v23
	v_lshl_add_u32 v8, v8, 23, 0x3c000000
	v_mov_b32_e32 v23, v7
	v_and_b32_e32 v6, 0x80000000, v6
	v_or3_b32 v24, v10, v6, v8
.LBB243_3987:                           ;   in Loop: Header=BB243_2086 Depth=1
	s_or_b32 exec_lo, exec_lo, s22
.LBB243_3988:                           ;   in Loop: Header=BB243_2086 Depth=1
	s_or_b32 exec_lo, exec_lo, s21
.LBB243_3989:                           ;   in Loop: Header=BB243_2086 Depth=1
	s_or_b32 exec_lo, exec_lo, s19
	v_or_b32_e32 v6, v22, v20
	v_or_b32_e32 v8, v21, v19
	;; [unrolled: 1-line block ×4, first 2 shown]
	v_mul_f32_e32 v64, v106, v6
	v_mul_f32_e32 v55, v106, v8
	;; [unrolled: 1-line block ×4, first 2 shown]
	s_and_saveexec_b32 s8, vcc_lo
; %bb.3990:                             ;   in Loop: Header=BB243_2086 Depth=1
	v_cndmask_b32_e64 v55, 0, v55, s4
	v_cndmask_b32_e64 v64, 0, v64, s5
	;; [unrolled: 1-line block ×4, first 2 shown]
; %bb.3991:                             ;   in Loop: Header=BB243_2086 Depth=1
	s_or_b32 exec_lo, exec_lo, s8
	flat_load_dword v14, v[17:18] offset:1024
	v_mov_b32_e32 v21, 0
	v_mov_b32_e32 v19, 0
	;; [unrolled: 1-line block ×4, first 2 shown]
	s_waitcnt vmcnt(0) lgkmcnt(0)
	v_cmp_ne_u16_sdwa s8, v14, v7 src0_sel:BYTE_0 src1_sel:DWORD
	s_and_saveexec_b32 s19, s8
	s_cbranch_execz .LBB243_3999
; %bb.3992:                             ;   in Loop: Header=BB243_2086 Depth=1
	v_bfrev_b32_e32 v19, 1
	v_mov_b32_e32 v20, 0
	v_cmp_ne_u16_sdwa s8, v14, v75 src0_sel:BYTE_0 src1_sel:DWORD
	s_and_saveexec_b32 s21, s8
	s_cbranch_execz .LBB243_3998
; %bb.3993:                             ;   in Loop: Header=BB243_2086 Depth=1
	v_mov_b32_e32 v19, 0x7f800001
	v_and_b32_e32 v10, 0x7f, v14
	v_mov_b32_e32 v20, 0
	s_mov_b32 s22, exec_lo
	v_cmpx_ne_u32_e32 0x7f, v10
	s_cbranch_execz .LBB243_3997
; %bb.3994:                             ;   in Loop: Header=BB243_2086 Depth=1
	v_and_b32_e32 v6, 7, v14
	v_mov_b32_e32 v20, v7
	v_lshrrev_b32_e32 v8, 3, v10
	s_mov_b32 s23, exec_lo
	v_mov_b32_e32 v19, v6
	v_cmpx_gt_u32_e32 8, v10
; %bb.3995:                             ;   in Loop: Header=BB243_2086 Depth=1
	v_ffbh_u32_e32 v8, v6
	v_min_u32_e32 v8, 32, v8
	v_subrev_nc_u32_e32 v10, 28, v8
	v_sub_nc_u32_e32 v8, 29, v8
	v_lshlrev_b64 v[19:20], v10, v[6:7]
	v_and_b32_e32 v19, 7, v19
; %bb.3996:                             ;   in Loop: Header=BB243_2086 Depth=1
	s_or_b32 exec_lo, exec_lo, s23
	v_lshlrev_b32_e32 v6, 24, v14
	v_lshlrev_b32_e32 v10, 20, v19
	v_lshl_add_u32 v8, v8, 23, 0x3c000000
	v_and_b32_e32 v6, 0x80000000, v6
	v_or3_b32 v6, v10, v6, v8
	v_mov_b32_e32 v20, v7
	v_mov_b32_e32 v19, v6
.LBB243_3997:                           ;   in Loop: Header=BB243_2086 Depth=1
	s_or_b32 exec_lo, exec_lo, s22
.LBB243_3998:                           ;   in Loop: Header=BB243_2086 Depth=1
	s_or_b32 exec_lo, exec_lo, s21
.LBB243_3999:                           ;   in Loop: Header=BB243_2086 Depth=1
	s_or_b32 exec_lo, exec_lo, s19
	v_cmp_ne_u16_sdwa s8, v14, v7 src0_sel:BYTE_1 src1_sel:DWORD
	s_and_saveexec_b32 s19, s8
	s_cbranch_execz .LBB243_4007
; %bb.4000:                             ;   in Loop: Header=BB243_2086 Depth=1
	v_mov_b32_e32 v8, v7
	v_mov_b32_e32 v22, v9
	v_cmp_ne_u16_sdwa s8, v14, v75 src0_sel:BYTE_1 src1_sel:DWORD
	v_mov_b32_e32 v21, v8
	s_and_saveexec_b32 s21, s8
	s_cbranch_execz .LBB243_4006
; %bb.4001:                             ;   in Loop: Header=BB243_2086 Depth=1
	v_mov_b32_e32 v6, 0xffff
	v_mov_b32_e32 v10, v7
	;; [unrolled: 1-line block ×3, first 2 shown]
	s_mov_b32 s22, exec_lo
	v_and_b32_sdwa v6, v6, v14 dst_sel:DWORD dst_unused:UNUSED_PAD src0_sel:DWORD src1_sel:BYTE_1
	v_mov_b32_e32 v21, v10
	v_and_b32_e32 v23, 0x7f, v6
	v_cmpx_ne_u32_e32 0x7f, v23
	s_cbranch_execz .LBB243_4005
; %bb.4002:                             ;   in Loop: Header=BB243_2086 Depth=1
	v_and_b32_e32 v6, 7, v6
	v_mov_b32_e32 v22, v7
	v_lshrrev_b32_e32 v8, 3, v23
	s_mov_b32 s23, exec_lo
	v_mov_b32_e32 v21, v6
	v_cmpx_gt_u32_e32 8, v23
; %bb.4003:                             ;   in Loop: Header=BB243_2086 Depth=1
	v_ffbh_u32_e32 v8, v6
	v_min_u32_e32 v8, 32, v8
	v_subrev_nc_u32_e32 v10, 28, v8
	v_sub_nc_u32_e32 v8, 29, v8
	v_lshlrev_b64 v[21:22], v10, v[6:7]
	v_and_b32_e32 v21, 7, v21
; %bb.4004:                             ;   in Loop: Header=BB243_2086 Depth=1
	s_or_b32 exec_lo, exec_lo, s23
	v_lshlrev_b32_e32 v6, 16, v14
	v_lshlrev_b32_e32 v10, 20, v21
	v_lshl_add_u32 v8, v8, 23, 0x3c000000
	v_mov_b32_e32 v21, v7
	v_and_b32_e32 v6, 0x80000000, v6
	v_or3_b32 v22, v10, v6, v8
.LBB243_4005:                           ;   in Loop: Header=BB243_2086 Depth=1
	s_or_b32 exec_lo, exec_lo, s22
.LBB243_4006:                           ;   in Loop: Header=BB243_2086 Depth=1
	s_or_b32 exec_lo, exec_lo, s21
.LBB243_4007:                           ;   in Loop: Header=BB243_2086 Depth=1
	s_or_b32 exec_lo, exec_lo, s19
	v_mov_b32_e32 v23, 0
	v_mov_b32_e32 v25, 0
	v_and_b32_sdwa v6, v14, v77 dst_sel:DWORD dst_unused:UNUSED_PAD src0_sel:WORD_1 src1_sel:DWORD
	v_mov_b32_e32 v24, 0
	v_mov_b32_e32 v26, 0
	s_mov_b32 s19, exec_lo
	v_cmpx_ne_u16_e32 0, v6
	s_cbranch_execz .LBB243_4015
; %bb.4008:                             ;   in Loop: Header=BB243_2086 Depth=1
	v_bfrev_b32_e32 v25, 1
	v_mov_b32_e32 v26, 0
	s_mov_b32 s21, exec_lo
	v_cmpx_ne_u16_e32 0x80, v6
	s_cbranch_execz .LBB243_4014
; %bb.4009:                             ;   in Loop: Header=BB243_2086 Depth=1
	v_mov_b32_e32 v25, 0x7f800001
	v_bfe_u32 v10, v14, 16, 7
	v_mov_b32_e32 v26, 0
	s_mov_b32 s22, exec_lo
	v_cmpx_ne_u32_e32 0x7f, v10
	s_cbranch_execz .LBB243_4013
; %bb.4010:                             ;   in Loop: Header=BB243_2086 Depth=1
	v_and_b32_sdwa v6, v14, v30 dst_sel:DWORD dst_unused:UNUSED_PAD src0_sel:WORD_1 src1_sel:DWORD
	v_mov_b32_e32 v26, v7
	v_lshrrev_b32_e32 v8, 3, v10
	s_mov_b32 s23, exec_lo
	v_mov_b32_e32 v25, v6
	v_cmpx_gt_u32_e32 8, v10
; %bb.4011:                             ;   in Loop: Header=BB243_2086 Depth=1
	v_ffbh_u32_e32 v8, v6
	v_min_u32_e32 v8, 32, v8
	v_subrev_nc_u32_e32 v10, 28, v8
	v_sub_nc_u32_e32 v8, 29, v8
	v_lshlrev_b64 v[25:26], v10, v[6:7]
	v_and_b32_e32 v25, 7, v25
; %bb.4012:                             ;   in Loop: Header=BB243_2086 Depth=1
	s_or_b32 exec_lo, exec_lo, s23
	v_lshlrev_b32_sdwa v6, v79, v14 dst_sel:DWORD dst_unused:UNUSED_PAD src0_sel:DWORD src1_sel:WORD_1
	v_lshlrev_b32_e32 v10, 20, v25
	v_lshl_add_u32 v8, v8, 23, 0x3c000000
	v_and_b32_e32 v6, 0x80000000, v6
	v_or3_b32 v6, v10, v6, v8
	v_mov_b32_e32 v26, v7
	v_mov_b32_e32 v25, v6
.LBB243_4013:                           ;   in Loop: Header=BB243_2086 Depth=1
	s_or_b32 exec_lo, exec_lo, s22
.LBB243_4014:                           ;   in Loop: Header=BB243_2086 Depth=1
	s_or_b32 exec_lo, exec_lo, s21
.LBB243_4015:                           ;   in Loop: Header=BB243_2086 Depth=1
	s_or_b32 exec_lo, exec_lo, s19
	s_mov_b32 s19, exec_lo
	v_cmpx_lt_u32_e32 0xffffff, v14
	s_cbranch_execz .LBB243_4023
; %bb.4016:                             ;   in Loop: Header=BB243_2086 Depth=1
	v_mov_b32_e32 v8, v7
	v_mov_b32_e32 v24, v9
	v_cmp_ne_u32_sdwa s8, v14, v75 src0_sel:BYTE_3 src1_sel:DWORD
	v_mov_b32_e32 v23, v8
	s_and_saveexec_b32 s21, s8
	s_cbranch_execz .LBB243_4022
; %bb.4017:                             ;   in Loop: Header=BB243_2086 Depth=1
	v_mov_b32_e32 v10, v7
	v_mov_b32_e32 v24, v11
	v_bfe_u32 v65, v14, 24, 7
	s_mov_b32 s22, exec_lo
	v_mov_b32_e32 v23, v10
	v_cmpx_ne_u32_e32 0x7f, v65
	s_cbranch_execz .LBB243_4021
; %bb.4018:                             ;   in Loop: Header=BB243_2086 Depth=1
	v_and_b32_sdwa v6, v14, v30 dst_sel:DWORD dst_unused:UNUSED_PAD src0_sel:BYTE_3 src1_sel:DWORD
	v_mov_b32_e32 v24, v7
	v_lshrrev_b32_e32 v8, 3, v65
	s_mov_b32 s23, exec_lo
	v_mov_b32_e32 v23, v6
	v_cmpx_gt_u32_e32 8, v65
; %bb.4019:                             ;   in Loop: Header=BB243_2086 Depth=1
	v_ffbh_u32_e32 v8, v6
	v_min_u32_e32 v8, 32, v8
	v_subrev_nc_u32_e32 v10, 28, v8
	v_sub_nc_u32_e32 v8, 29, v8
	v_lshlrev_b64 v[23:24], v10, v[6:7]
	v_and_b32_e32 v23, 7, v23
; %bb.4020:                             ;   in Loop: Header=BB243_2086 Depth=1
	s_or_b32 exec_lo, exec_lo, s23
	v_lshlrev_b32_sdwa v6, v79, v14 dst_sel:DWORD dst_unused:UNUSED_PAD src0_sel:DWORD src1_sel:BYTE_3
	v_lshlrev_b32_e32 v10, 20, v23
	v_lshl_add_u32 v8, v8, 23, 0x3c000000
	v_mov_b32_e32 v23, v7
	v_and_b32_e32 v6, 0x80000000, v6
	v_or3_b32 v24, v10, v6, v8
.LBB243_4021:                           ;   in Loop: Header=BB243_2086 Depth=1
	s_or_b32 exec_lo, exec_lo, s22
.LBB243_4022:                           ;   in Loop: Header=BB243_2086 Depth=1
	s_or_b32 exec_lo, exec_lo, s21
.LBB243_4023:                           ;   in Loop: Header=BB243_2086 Depth=1
	s_or_b32 exec_lo, exec_lo, s19
	v_or_b32_e32 v6, v22, v20
	v_or_b32_e32 v8, v21, v19
	;; [unrolled: 1-line block ×4, first 2 shown]
	v_mul_f32_e32 v68, v106, v6
	v_mul_f32_e32 v67, v106, v8
	;; [unrolled: 1-line block ×4, first 2 shown]
	s_and_saveexec_b32 s8, vcc_lo
; %bb.4024:                             ;   in Loop: Header=BB243_2086 Depth=1
	v_cndmask_b32_e64 v67, 0, v67, s4
	v_cndmask_b32_e64 v68, 0, v68, s5
	v_cndmask_b32_e64 v66, 0, v66, s6
	v_cndmask_b32_e64 v65, 0, v65, s7
; %bb.4025:                             ;   in Loop: Header=BB243_2086 Depth=1
	s_or_b32 exec_lo, exec_lo, s8
	flat_load_dword v14, v[17:18] offset:1152
	v_mov_b32_e32 v21, 0
	v_mov_b32_e32 v19, 0
	v_mov_b32_e32 v22, 0
	v_mov_b32_e32 v20, 0
	s_waitcnt vmcnt(0) lgkmcnt(0)
	v_cmp_ne_u16_sdwa s8, v14, v7 src0_sel:BYTE_0 src1_sel:DWORD
	s_and_saveexec_b32 s19, s8
	s_cbranch_execz .LBB243_4033
; %bb.4026:                             ;   in Loop: Header=BB243_2086 Depth=1
	v_bfrev_b32_e32 v19, 1
	v_mov_b32_e32 v20, 0
	v_cmp_ne_u16_sdwa s8, v14, v75 src0_sel:BYTE_0 src1_sel:DWORD
	s_and_saveexec_b32 s21, s8
	s_cbranch_execz .LBB243_4032
; %bb.4027:                             ;   in Loop: Header=BB243_2086 Depth=1
	v_mov_b32_e32 v19, 0x7f800001
	v_and_b32_e32 v10, 0x7f, v14
	v_mov_b32_e32 v20, 0
	s_mov_b32 s22, exec_lo
	v_cmpx_ne_u32_e32 0x7f, v10
	s_cbranch_execz .LBB243_4031
; %bb.4028:                             ;   in Loop: Header=BB243_2086 Depth=1
	v_and_b32_e32 v6, 7, v14
	v_mov_b32_e32 v20, v7
	v_lshrrev_b32_e32 v8, 3, v10
	s_mov_b32 s23, exec_lo
	v_mov_b32_e32 v19, v6
	v_cmpx_gt_u32_e32 8, v10
; %bb.4029:                             ;   in Loop: Header=BB243_2086 Depth=1
	v_ffbh_u32_e32 v8, v6
	v_min_u32_e32 v8, 32, v8
	v_subrev_nc_u32_e32 v10, 28, v8
	v_sub_nc_u32_e32 v8, 29, v8
	v_lshlrev_b64 v[19:20], v10, v[6:7]
	v_and_b32_e32 v19, 7, v19
; %bb.4030:                             ;   in Loop: Header=BB243_2086 Depth=1
	s_or_b32 exec_lo, exec_lo, s23
	v_lshlrev_b32_e32 v6, 24, v14
	v_lshlrev_b32_e32 v10, 20, v19
	v_lshl_add_u32 v8, v8, 23, 0x3c000000
	v_and_b32_e32 v6, 0x80000000, v6
	v_or3_b32 v6, v10, v6, v8
	v_mov_b32_e32 v20, v7
	v_mov_b32_e32 v19, v6
.LBB243_4031:                           ;   in Loop: Header=BB243_2086 Depth=1
	s_or_b32 exec_lo, exec_lo, s22
.LBB243_4032:                           ;   in Loop: Header=BB243_2086 Depth=1
	s_or_b32 exec_lo, exec_lo, s21
.LBB243_4033:                           ;   in Loop: Header=BB243_2086 Depth=1
	s_or_b32 exec_lo, exec_lo, s19
	v_cmp_ne_u16_sdwa s8, v14, v7 src0_sel:BYTE_1 src1_sel:DWORD
	s_and_saveexec_b32 s19, s8
	s_cbranch_execz .LBB243_4041
; %bb.4034:                             ;   in Loop: Header=BB243_2086 Depth=1
	v_mov_b32_e32 v8, v7
	v_mov_b32_e32 v22, v9
	v_cmp_ne_u16_sdwa s8, v14, v75 src0_sel:BYTE_1 src1_sel:DWORD
	v_mov_b32_e32 v21, v8
	s_and_saveexec_b32 s21, s8
	s_cbranch_execz .LBB243_4040
; %bb.4035:                             ;   in Loop: Header=BB243_2086 Depth=1
	v_mov_b32_e32 v6, 0xffff
	v_mov_b32_e32 v10, v7
	;; [unrolled: 1-line block ×3, first 2 shown]
	s_mov_b32 s22, exec_lo
	v_and_b32_sdwa v6, v6, v14 dst_sel:DWORD dst_unused:UNUSED_PAD src0_sel:DWORD src1_sel:BYTE_1
	v_mov_b32_e32 v21, v10
	v_and_b32_e32 v23, 0x7f, v6
	v_cmpx_ne_u32_e32 0x7f, v23
	s_cbranch_execz .LBB243_4039
; %bb.4036:                             ;   in Loop: Header=BB243_2086 Depth=1
	v_and_b32_e32 v6, 7, v6
	v_mov_b32_e32 v22, v7
	v_lshrrev_b32_e32 v8, 3, v23
	s_mov_b32 s23, exec_lo
	v_mov_b32_e32 v21, v6
	v_cmpx_gt_u32_e32 8, v23
; %bb.4037:                             ;   in Loop: Header=BB243_2086 Depth=1
	v_ffbh_u32_e32 v8, v6
	v_min_u32_e32 v8, 32, v8
	v_subrev_nc_u32_e32 v10, 28, v8
	v_sub_nc_u32_e32 v8, 29, v8
	v_lshlrev_b64 v[21:22], v10, v[6:7]
	v_and_b32_e32 v21, 7, v21
; %bb.4038:                             ;   in Loop: Header=BB243_2086 Depth=1
	s_or_b32 exec_lo, exec_lo, s23
	v_lshlrev_b32_e32 v6, 16, v14
	v_lshlrev_b32_e32 v10, 20, v21
	v_lshl_add_u32 v8, v8, 23, 0x3c000000
	v_mov_b32_e32 v21, v7
	v_and_b32_e32 v6, 0x80000000, v6
	v_or3_b32 v22, v10, v6, v8
.LBB243_4039:                           ;   in Loop: Header=BB243_2086 Depth=1
	s_or_b32 exec_lo, exec_lo, s22
.LBB243_4040:                           ;   in Loop: Header=BB243_2086 Depth=1
	s_or_b32 exec_lo, exec_lo, s21
.LBB243_4041:                           ;   in Loop: Header=BB243_2086 Depth=1
	s_or_b32 exec_lo, exec_lo, s19
	v_mov_b32_e32 v23, 0
	v_mov_b32_e32 v25, 0
	v_and_b32_sdwa v6, v14, v77 dst_sel:DWORD dst_unused:UNUSED_PAD src0_sel:WORD_1 src1_sel:DWORD
	v_mov_b32_e32 v24, 0
	v_mov_b32_e32 v26, 0
	s_mov_b32 s19, exec_lo
	v_cmpx_ne_u16_e32 0, v6
	s_cbranch_execz .LBB243_4049
; %bb.4042:                             ;   in Loop: Header=BB243_2086 Depth=1
	v_bfrev_b32_e32 v25, 1
	v_mov_b32_e32 v26, 0
	s_mov_b32 s21, exec_lo
	v_cmpx_ne_u16_e32 0x80, v6
	s_cbranch_execz .LBB243_4048
; %bb.4043:                             ;   in Loop: Header=BB243_2086 Depth=1
	v_mov_b32_e32 v25, 0x7f800001
	v_bfe_u32 v10, v14, 16, 7
	v_mov_b32_e32 v26, 0
	s_mov_b32 s22, exec_lo
	v_cmpx_ne_u32_e32 0x7f, v10
	s_cbranch_execz .LBB243_4047
; %bb.4044:                             ;   in Loop: Header=BB243_2086 Depth=1
	v_and_b32_sdwa v6, v14, v30 dst_sel:DWORD dst_unused:UNUSED_PAD src0_sel:WORD_1 src1_sel:DWORD
	v_mov_b32_e32 v26, v7
	v_lshrrev_b32_e32 v8, 3, v10
	s_mov_b32 s23, exec_lo
	v_mov_b32_e32 v25, v6
	v_cmpx_gt_u32_e32 8, v10
; %bb.4045:                             ;   in Loop: Header=BB243_2086 Depth=1
	v_ffbh_u32_e32 v8, v6
	v_min_u32_e32 v8, 32, v8
	v_subrev_nc_u32_e32 v10, 28, v8
	v_sub_nc_u32_e32 v8, 29, v8
	v_lshlrev_b64 v[25:26], v10, v[6:7]
	v_and_b32_e32 v25, 7, v25
; %bb.4046:                             ;   in Loop: Header=BB243_2086 Depth=1
	s_or_b32 exec_lo, exec_lo, s23
	v_lshlrev_b32_sdwa v6, v79, v14 dst_sel:DWORD dst_unused:UNUSED_PAD src0_sel:DWORD src1_sel:WORD_1
	v_lshlrev_b32_e32 v10, 20, v25
	v_lshl_add_u32 v8, v8, 23, 0x3c000000
	v_and_b32_e32 v6, 0x80000000, v6
	v_or3_b32 v6, v10, v6, v8
	v_mov_b32_e32 v26, v7
	v_mov_b32_e32 v25, v6
.LBB243_4047:                           ;   in Loop: Header=BB243_2086 Depth=1
	s_or_b32 exec_lo, exec_lo, s22
.LBB243_4048:                           ;   in Loop: Header=BB243_2086 Depth=1
	s_or_b32 exec_lo, exec_lo, s21
.LBB243_4049:                           ;   in Loop: Header=BB243_2086 Depth=1
	s_or_b32 exec_lo, exec_lo, s19
	s_mov_b32 s19, exec_lo
	v_cmpx_lt_u32_e32 0xffffff, v14
	s_cbranch_execz .LBB243_4057
; %bb.4050:                             ;   in Loop: Header=BB243_2086 Depth=1
	v_mov_b32_e32 v8, v7
	v_mov_b32_e32 v24, v9
	v_cmp_ne_u32_sdwa s8, v14, v75 src0_sel:BYTE_3 src1_sel:DWORD
	v_mov_b32_e32 v23, v8
	s_and_saveexec_b32 s21, s8
	s_cbranch_execz .LBB243_4056
; %bb.4051:                             ;   in Loop: Header=BB243_2086 Depth=1
	v_mov_b32_e32 v10, v7
	v_mov_b32_e32 v24, v11
	v_bfe_u32 v69, v14, 24, 7
	s_mov_b32 s22, exec_lo
	v_mov_b32_e32 v23, v10
	v_cmpx_ne_u32_e32 0x7f, v69
	s_cbranch_execz .LBB243_4055
; %bb.4052:                             ;   in Loop: Header=BB243_2086 Depth=1
	v_and_b32_sdwa v6, v14, v30 dst_sel:DWORD dst_unused:UNUSED_PAD src0_sel:BYTE_3 src1_sel:DWORD
	v_mov_b32_e32 v24, v7
	v_lshrrev_b32_e32 v8, 3, v69
	s_mov_b32 s23, exec_lo
	v_mov_b32_e32 v23, v6
	v_cmpx_gt_u32_e32 8, v69
; %bb.4053:                             ;   in Loop: Header=BB243_2086 Depth=1
	v_ffbh_u32_e32 v8, v6
	v_min_u32_e32 v8, 32, v8
	v_subrev_nc_u32_e32 v10, 28, v8
	v_sub_nc_u32_e32 v8, 29, v8
	v_lshlrev_b64 v[23:24], v10, v[6:7]
	v_and_b32_e32 v23, 7, v23
; %bb.4054:                             ;   in Loop: Header=BB243_2086 Depth=1
	s_or_b32 exec_lo, exec_lo, s23
	v_lshlrev_b32_sdwa v6, v79, v14 dst_sel:DWORD dst_unused:UNUSED_PAD src0_sel:DWORD src1_sel:BYTE_3
	v_lshlrev_b32_e32 v10, 20, v23
	v_lshl_add_u32 v8, v8, 23, 0x3c000000
	v_mov_b32_e32 v23, v7
	v_and_b32_e32 v6, 0x80000000, v6
	v_or3_b32 v24, v10, v6, v8
.LBB243_4055:                           ;   in Loop: Header=BB243_2086 Depth=1
	s_or_b32 exec_lo, exec_lo, s22
.LBB243_4056:                           ;   in Loop: Header=BB243_2086 Depth=1
	s_or_b32 exec_lo, exec_lo, s21
.LBB243_4057:                           ;   in Loop: Header=BB243_2086 Depth=1
	s_or_b32 exec_lo, exec_lo, s19
	v_or_b32_e32 v6, v22, v20
	v_or_b32_e32 v8, v21, v19
	;; [unrolled: 1-line block ×4, first 2 shown]
	v_mul_f32_e32 v80, v106, v6
	v_mul_f32_e32 v71, v106, v8
	;; [unrolled: 1-line block ×4, first 2 shown]
	s_and_saveexec_b32 s8, vcc_lo
; %bb.4058:                             ;   in Loop: Header=BB243_2086 Depth=1
	v_cndmask_b32_e64 v71, 0, v71, s4
	v_cndmask_b32_e64 v80, 0, v80, s5
	v_cndmask_b32_e64 v70, 0, v70, s6
	v_cndmask_b32_e64 v69, 0, v69, s7
; %bb.4059:                             ;   in Loop: Header=BB243_2086 Depth=1
	s_or_b32 exec_lo, exec_lo, s8
	flat_load_dword v14, v[17:18] offset:1280
	v_mov_b32_e32 v21, 0
	v_mov_b32_e32 v19, 0
	;; [unrolled: 1-line block ×4, first 2 shown]
	s_waitcnt vmcnt(0) lgkmcnt(0)
	v_cmp_ne_u16_sdwa s8, v14, v7 src0_sel:BYTE_0 src1_sel:DWORD
	s_and_saveexec_b32 s19, s8
	s_cbranch_execz .LBB243_4067
; %bb.4060:                             ;   in Loop: Header=BB243_2086 Depth=1
	v_bfrev_b32_e32 v19, 1
	v_mov_b32_e32 v20, 0
	v_cmp_ne_u16_sdwa s8, v14, v75 src0_sel:BYTE_0 src1_sel:DWORD
	s_and_saveexec_b32 s21, s8
	s_cbranch_execz .LBB243_4066
; %bb.4061:                             ;   in Loop: Header=BB243_2086 Depth=1
	v_mov_b32_e32 v19, 0x7f800001
	v_and_b32_e32 v10, 0x7f, v14
	v_mov_b32_e32 v20, 0
	s_mov_b32 s22, exec_lo
	v_cmpx_ne_u32_e32 0x7f, v10
	s_cbranch_execz .LBB243_4065
; %bb.4062:                             ;   in Loop: Header=BB243_2086 Depth=1
	v_and_b32_e32 v6, 7, v14
	v_mov_b32_e32 v20, v7
	v_lshrrev_b32_e32 v8, 3, v10
	s_mov_b32 s23, exec_lo
	v_mov_b32_e32 v19, v6
	v_cmpx_gt_u32_e32 8, v10
; %bb.4063:                             ;   in Loop: Header=BB243_2086 Depth=1
	v_ffbh_u32_e32 v8, v6
	v_min_u32_e32 v8, 32, v8
	v_subrev_nc_u32_e32 v10, 28, v8
	v_sub_nc_u32_e32 v8, 29, v8
	v_lshlrev_b64 v[19:20], v10, v[6:7]
	v_and_b32_e32 v19, 7, v19
; %bb.4064:                             ;   in Loop: Header=BB243_2086 Depth=1
	s_or_b32 exec_lo, exec_lo, s23
	v_lshlrev_b32_e32 v6, 24, v14
	v_lshlrev_b32_e32 v10, 20, v19
	v_lshl_add_u32 v8, v8, 23, 0x3c000000
	v_and_b32_e32 v6, 0x80000000, v6
	v_or3_b32 v6, v10, v6, v8
	v_mov_b32_e32 v20, v7
	v_mov_b32_e32 v19, v6
.LBB243_4065:                           ;   in Loop: Header=BB243_2086 Depth=1
	s_or_b32 exec_lo, exec_lo, s22
.LBB243_4066:                           ;   in Loop: Header=BB243_2086 Depth=1
	s_or_b32 exec_lo, exec_lo, s21
.LBB243_4067:                           ;   in Loop: Header=BB243_2086 Depth=1
	s_or_b32 exec_lo, exec_lo, s19
	v_cmp_ne_u16_sdwa s8, v14, v7 src0_sel:BYTE_1 src1_sel:DWORD
	s_and_saveexec_b32 s19, s8
	s_cbranch_execz .LBB243_4075
; %bb.4068:                             ;   in Loop: Header=BB243_2086 Depth=1
	v_mov_b32_e32 v8, v7
	v_mov_b32_e32 v22, v9
	v_cmp_ne_u16_sdwa s8, v14, v75 src0_sel:BYTE_1 src1_sel:DWORD
	v_mov_b32_e32 v21, v8
	s_and_saveexec_b32 s21, s8
	s_cbranch_execz .LBB243_4074
; %bb.4069:                             ;   in Loop: Header=BB243_2086 Depth=1
	v_mov_b32_e32 v6, 0xffff
	v_mov_b32_e32 v10, v7
	;; [unrolled: 1-line block ×3, first 2 shown]
	s_mov_b32 s22, exec_lo
	v_and_b32_sdwa v6, v6, v14 dst_sel:DWORD dst_unused:UNUSED_PAD src0_sel:DWORD src1_sel:BYTE_1
	v_mov_b32_e32 v21, v10
	v_and_b32_e32 v23, 0x7f, v6
	v_cmpx_ne_u32_e32 0x7f, v23
	s_cbranch_execz .LBB243_4073
; %bb.4070:                             ;   in Loop: Header=BB243_2086 Depth=1
	v_and_b32_e32 v6, 7, v6
	v_mov_b32_e32 v22, v7
	v_lshrrev_b32_e32 v8, 3, v23
	s_mov_b32 s23, exec_lo
	v_mov_b32_e32 v21, v6
	v_cmpx_gt_u32_e32 8, v23
; %bb.4071:                             ;   in Loop: Header=BB243_2086 Depth=1
	v_ffbh_u32_e32 v8, v6
	v_min_u32_e32 v8, 32, v8
	v_subrev_nc_u32_e32 v10, 28, v8
	v_sub_nc_u32_e32 v8, 29, v8
	v_lshlrev_b64 v[21:22], v10, v[6:7]
	v_and_b32_e32 v21, 7, v21
; %bb.4072:                             ;   in Loop: Header=BB243_2086 Depth=1
	s_or_b32 exec_lo, exec_lo, s23
	v_lshlrev_b32_e32 v6, 16, v14
	v_lshlrev_b32_e32 v10, 20, v21
	v_lshl_add_u32 v8, v8, 23, 0x3c000000
	v_mov_b32_e32 v21, v7
	v_and_b32_e32 v6, 0x80000000, v6
	v_or3_b32 v22, v10, v6, v8
.LBB243_4073:                           ;   in Loop: Header=BB243_2086 Depth=1
	s_or_b32 exec_lo, exec_lo, s22
.LBB243_4074:                           ;   in Loop: Header=BB243_2086 Depth=1
	s_or_b32 exec_lo, exec_lo, s21
.LBB243_4075:                           ;   in Loop: Header=BB243_2086 Depth=1
	s_or_b32 exec_lo, exec_lo, s19
	v_mov_b32_e32 v23, 0
	v_mov_b32_e32 v25, 0
	v_and_b32_sdwa v6, v14, v77 dst_sel:DWORD dst_unused:UNUSED_PAD src0_sel:WORD_1 src1_sel:DWORD
	v_mov_b32_e32 v24, 0
	v_mov_b32_e32 v26, 0
	s_mov_b32 s19, exec_lo
	v_cmpx_ne_u16_e32 0, v6
	s_cbranch_execz .LBB243_4083
; %bb.4076:                             ;   in Loop: Header=BB243_2086 Depth=1
	v_bfrev_b32_e32 v25, 1
	v_mov_b32_e32 v26, 0
	s_mov_b32 s21, exec_lo
	v_cmpx_ne_u16_e32 0x80, v6
	s_cbranch_execz .LBB243_4082
; %bb.4077:                             ;   in Loop: Header=BB243_2086 Depth=1
	v_mov_b32_e32 v25, 0x7f800001
	v_bfe_u32 v10, v14, 16, 7
	v_mov_b32_e32 v26, 0
	s_mov_b32 s22, exec_lo
	v_cmpx_ne_u32_e32 0x7f, v10
	s_cbranch_execz .LBB243_4081
; %bb.4078:                             ;   in Loop: Header=BB243_2086 Depth=1
	v_and_b32_sdwa v6, v14, v30 dst_sel:DWORD dst_unused:UNUSED_PAD src0_sel:WORD_1 src1_sel:DWORD
	v_mov_b32_e32 v26, v7
	v_lshrrev_b32_e32 v8, 3, v10
	s_mov_b32 s23, exec_lo
	v_mov_b32_e32 v25, v6
	v_cmpx_gt_u32_e32 8, v10
; %bb.4079:                             ;   in Loop: Header=BB243_2086 Depth=1
	v_ffbh_u32_e32 v8, v6
	v_min_u32_e32 v8, 32, v8
	v_subrev_nc_u32_e32 v10, 28, v8
	v_sub_nc_u32_e32 v8, 29, v8
	v_lshlrev_b64 v[25:26], v10, v[6:7]
	v_and_b32_e32 v25, 7, v25
; %bb.4080:                             ;   in Loop: Header=BB243_2086 Depth=1
	s_or_b32 exec_lo, exec_lo, s23
	v_lshlrev_b32_sdwa v6, v79, v14 dst_sel:DWORD dst_unused:UNUSED_PAD src0_sel:DWORD src1_sel:WORD_1
	v_lshlrev_b32_e32 v10, 20, v25
	v_lshl_add_u32 v8, v8, 23, 0x3c000000
	v_and_b32_e32 v6, 0x80000000, v6
	v_or3_b32 v6, v10, v6, v8
	v_mov_b32_e32 v26, v7
	v_mov_b32_e32 v25, v6
.LBB243_4081:                           ;   in Loop: Header=BB243_2086 Depth=1
	s_or_b32 exec_lo, exec_lo, s22
.LBB243_4082:                           ;   in Loop: Header=BB243_2086 Depth=1
	s_or_b32 exec_lo, exec_lo, s21
.LBB243_4083:                           ;   in Loop: Header=BB243_2086 Depth=1
	s_or_b32 exec_lo, exec_lo, s19
	s_mov_b32 s19, exec_lo
	v_cmpx_lt_u32_e32 0xffffff, v14
	s_cbranch_execz .LBB243_4091
; %bb.4084:                             ;   in Loop: Header=BB243_2086 Depth=1
	v_mov_b32_e32 v8, v7
	v_mov_b32_e32 v24, v9
	v_cmp_ne_u32_sdwa s8, v14, v75 src0_sel:BYTE_3 src1_sel:DWORD
	v_mov_b32_e32 v23, v8
	s_and_saveexec_b32 s21, s8
	s_cbranch_execz .LBB243_4090
; %bb.4085:                             ;   in Loop: Header=BB243_2086 Depth=1
	v_mov_b32_e32 v10, v7
	v_mov_b32_e32 v24, v11
	v_bfe_u32 v81, v14, 24, 7
	s_mov_b32 s22, exec_lo
	v_mov_b32_e32 v23, v10
	v_cmpx_ne_u32_e32 0x7f, v81
	s_cbranch_execz .LBB243_4089
; %bb.4086:                             ;   in Loop: Header=BB243_2086 Depth=1
	v_and_b32_sdwa v6, v14, v30 dst_sel:DWORD dst_unused:UNUSED_PAD src0_sel:BYTE_3 src1_sel:DWORD
	v_mov_b32_e32 v24, v7
	v_lshrrev_b32_e32 v8, 3, v81
	s_mov_b32 s23, exec_lo
	v_mov_b32_e32 v23, v6
	v_cmpx_gt_u32_e32 8, v81
; %bb.4087:                             ;   in Loop: Header=BB243_2086 Depth=1
	v_ffbh_u32_e32 v8, v6
	v_min_u32_e32 v8, 32, v8
	v_subrev_nc_u32_e32 v10, 28, v8
	v_sub_nc_u32_e32 v8, 29, v8
	v_lshlrev_b64 v[23:24], v10, v[6:7]
	v_and_b32_e32 v23, 7, v23
; %bb.4088:                             ;   in Loop: Header=BB243_2086 Depth=1
	s_or_b32 exec_lo, exec_lo, s23
	v_lshlrev_b32_sdwa v6, v79, v14 dst_sel:DWORD dst_unused:UNUSED_PAD src0_sel:DWORD src1_sel:BYTE_3
	v_lshlrev_b32_e32 v10, 20, v23
	v_lshl_add_u32 v8, v8, 23, 0x3c000000
	v_mov_b32_e32 v23, v7
	v_and_b32_e32 v6, 0x80000000, v6
	v_or3_b32 v24, v10, v6, v8
.LBB243_4089:                           ;   in Loop: Header=BB243_2086 Depth=1
	s_or_b32 exec_lo, exec_lo, s22
.LBB243_4090:                           ;   in Loop: Header=BB243_2086 Depth=1
	s_or_b32 exec_lo, exec_lo, s21
.LBB243_4091:                           ;   in Loop: Header=BB243_2086 Depth=1
	s_or_b32 exec_lo, exec_lo, s19
	v_or_b32_e32 v6, v22, v20
	v_or_b32_e32 v8, v21, v19
	;; [unrolled: 1-line block ×4, first 2 shown]
	v_mul_f32_e32 v84, v106, v6
	v_mul_f32_e32 v83, v106, v8
	;; [unrolled: 1-line block ×4, first 2 shown]
	s_and_saveexec_b32 s8, vcc_lo
; %bb.4092:                             ;   in Loop: Header=BB243_2086 Depth=1
	v_cndmask_b32_e64 v83, 0, v83, s4
	v_cndmask_b32_e64 v84, 0, v84, s5
	;; [unrolled: 1-line block ×4, first 2 shown]
; %bb.4093:                             ;   in Loop: Header=BB243_2086 Depth=1
	s_or_b32 exec_lo, exec_lo, s8
	flat_load_dword v14, v[17:18] offset:1408
	v_mov_b32_e32 v21, 0
	v_mov_b32_e32 v19, 0
	;; [unrolled: 1-line block ×4, first 2 shown]
	s_waitcnt vmcnt(0) lgkmcnt(0)
	v_cmp_ne_u16_sdwa s8, v14, v7 src0_sel:BYTE_0 src1_sel:DWORD
	s_and_saveexec_b32 s19, s8
	s_cbranch_execz .LBB243_4101
; %bb.4094:                             ;   in Loop: Header=BB243_2086 Depth=1
	v_bfrev_b32_e32 v19, 1
	v_mov_b32_e32 v20, 0
	v_cmp_ne_u16_sdwa s8, v14, v75 src0_sel:BYTE_0 src1_sel:DWORD
	s_and_saveexec_b32 s21, s8
	s_cbranch_execz .LBB243_4100
; %bb.4095:                             ;   in Loop: Header=BB243_2086 Depth=1
	v_mov_b32_e32 v19, 0x7f800001
	v_and_b32_e32 v10, 0x7f, v14
	v_mov_b32_e32 v20, 0
	s_mov_b32 s22, exec_lo
	v_cmpx_ne_u32_e32 0x7f, v10
	s_cbranch_execz .LBB243_4099
; %bb.4096:                             ;   in Loop: Header=BB243_2086 Depth=1
	v_and_b32_e32 v6, 7, v14
	v_mov_b32_e32 v20, v7
	v_lshrrev_b32_e32 v8, 3, v10
	s_mov_b32 s23, exec_lo
	v_mov_b32_e32 v19, v6
	v_cmpx_gt_u32_e32 8, v10
; %bb.4097:                             ;   in Loop: Header=BB243_2086 Depth=1
	v_ffbh_u32_e32 v8, v6
	v_min_u32_e32 v8, 32, v8
	v_subrev_nc_u32_e32 v10, 28, v8
	v_sub_nc_u32_e32 v8, 29, v8
	v_lshlrev_b64 v[19:20], v10, v[6:7]
	v_and_b32_e32 v19, 7, v19
; %bb.4098:                             ;   in Loop: Header=BB243_2086 Depth=1
	s_or_b32 exec_lo, exec_lo, s23
	v_lshlrev_b32_e32 v6, 24, v14
	v_lshlrev_b32_e32 v10, 20, v19
	v_lshl_add_u32 v8, v8, 23, 0x3c000000
	v_and_b32_e32 v6, 0x80000000, v6
	v_or3_b32 v6, v10, v6, v8
	v_mov_b32_e32 v20, v7
	v_mov_b32_e32 v19, v6
.LBB243_4099:                           ;   in Loop: Header=BB243_2086 Depth=1
	s_or_b32 exec_lo, exec_lo, s22
.LBB243_4100:                           ;   in Loop: Header=BB243_2086 Depth=1
	s_or_b32 exec_lo, exec_lo, s21
.LBB243_4101:                           ;   in Loop: Header=BB243_2086 Depth=1
	s_or_b32 exec_lo, exec_lo, s19
	v_cmp_ne_u16_sdwa s8, v14, v7 src0_sel:BYTE_1 src1_sel:DWORD
	s_and_saveexec_b32 s19, s8
	s_cbranch_execz .LBB243_4109
; %bb.4102:                             ;   in Loop: Header=BB243_2086 Depth=1
	v_mov_b32_e32 v8, v7
	v_mov_b32_e32 v22, v9
	v_cmp_ne_u16_sdwa s8, v14, v75 src0_sel:BYTE_1 src1_sel:DWORD
	v_mov_b32_e32 v21, v8
	s_and_saveexec_b32 s21, s8
	s_cbranch_execz .LBB243_4108
; %bb.4103:                             ;   in Loop: Header=BB243_2086 Depth=1
	v_mov_b32_e32 v6, 0xffff
	v_mov_b32_e32 v10, v7
	;; [unrolled: 1-line block ×3, first 2 shown]
	s_mov_b32 s22, exec_lo
	v_and_b32_sdwa v6, v6, v14 dst_sel:DWORD dst_unused:UNUSED_PAD src0_sel:DWORD src1_sel:BYTE_1
	v_mov_b32_e32 v21, v10
	v_and_b32_e32 v23, 0x7f, v6
	v_cmpx_ne_u32_e32 0x7f, v23
	s_cbranch_execz .LBB243_4107
; %bb.4104:                             ;   in Loop: Header=BB243_2086 Depth=1
	v_and_b32_e32 v6, 7, v6
	v_mov_b32_e32 v22, v7
	v_lshrrev_b32_e32 v8, 3, v23
	s_mov_b32 s23, exec_lo
	v_mov_b32_e32 v21, v6
	v_cmpx_gt_u32_e32 8, v23
; %bb.4105:                             ;   in Loop: Header=BB243_2086 Depth=1
	v_ffbh_u32_e32 v8, v6
	v_min_u32_e32 v8, 32, v8
	v_subrev_nc_u32_e32 v10, 28, v8
	v_sub_nc_u32_e32 v8, 29, v8
	v_lshlrev_b64 v[21:22], v10, v[6:7]
	v_and_b32_e32 v21, 7, v21
; %bb.4106:                             ;   in Loop: Header=BB243_2086 Depth=1
	s_or_b32 exec_lo, exec_lo, s23
	v_lshlrev_b32_e32 v6, 16, v14
	v_lshlrev_b32_e32 v10, 20, v21
	v_lshl_add_u32 v8, v8, 23, 0x3c000000
	v_mov_b32_e32 v21, v7
	v_and_b32_e32 v6, 0x80000000, v6
	v_or3_b32 v22, v10, v6, v8
.LBB243_4107:                           ;   in Loop: Header=BB243_2086 Depth=1
	s_or_b32 exec_lo, exec_lo, s22
.LBB243_4108:                           ;   in Loop: Header=BB243_2086 Depth=1
	s_or_b32 exec_lo, exec_lo, s21
.LBB243_4109:                           ;   in Loop: Header=BB243_2086 Depth=1
	s_or_b32 exec_lo, exec_lo, s19
	v_mov_b32_e32 v23, 0
	v_mov_b32_e32 v25, 0
	v_and_b32_sdwa v6, v14, v77 dst_sel:DWORD dst_unused:UNUSED_PAD src0_sel:WORD_1 src1_sel:DWORD
	v_mov_b32_e32 v24, 0
	v_mov_b32_e32 v26, 0
	s_mov_b32 s19, exec_lo
	v_cmpx_ne_u16_e32 0, v6
	s_cbranch_execz .LBB243_4117
; %bb.4110:                             ;   in Loop: Header=BB243_2086 Depth=1
	v_bfrev_b32_e32 v25, 1
	v_mov_b32_e32 v26, 0
	s_mov_b32 s21, exec_lo
	v_cmpx_ne_u16_e32 0x80, v6
	s_cbranch_execz .LBB243_4116
; %bb.4111:                             ;   in Loop: Header=BB243_2086 Depth=1
	v_mov_b32_e32 v25, 0x7f800001
	v_bfe_u32 v10, v14, 16, 7
	v_mov_b32_e32 v26, 0
	s_mov_b32 s22, exec_lo
	v_cmpx_ne_u32_e32 0x7f, v10
	s_cbranch_execz .LBB243_4115
; %bb.4112:                             ;   in Loop: Header=BB243_2086 Depth=1
	v_and_b32_sdwa v6, v14, v30 dst_sel:DWORD dst_unused:UNUSED_PAD src0_sel:WORD_1 src1_sel:DWORD
	v_mov_b32_e32 v26, v7
	v_lshrrev_b32_e32 v8, 3, v10
	s_mov_b32 s23, exec_lo
	v_mov_b32_e32 v25, v6
	v_cmpx_gt_u32_e32 8, v10
; %bb.4113:                             ;   in Loop: Header=BB243_2086 Depth=1
	v_ffbh_u32_e32 v8, v6
	v_min_u32_e32 v8, 32, v8
	v_subrev_nc_u32_e32 v10, 28, v8
	v_sub_nc_u32_e32 v8, 29, v8
	v_lshlrev_b64 v[25:26], v10, v[6:7]
	v_and_b32_e32 v25, 7, v25
; %bb.4114:                             ;   in Loop: Header=BB243_2086 Depth=1
	s_or_b32 exec_lo, exec_lo, s23
	v_lshlrev_b32_sdwa v6, v79, v14 dst_sel:DWORD dst_unused:UNUSED_PAD src0_sel:DWORD src1_sel:WORD_1
	v_lshlrev_b32_e32 v10, 20, v25
	v_lshl_add_u32 v8, v8, 23, 0x3c000000
	v_and_b32_e32 v6, 0x80000000, v6
	v_or3_b32 v6, v10, v6, v8
	v_mov_b32_e32 v26, v7
	v_mov_b32_e32 v25, v6
.LBB243_4115:                           ;   in Loop: Header=BB243_2086 Depth=1
	s_or_b32 exec_lo, exec_lo, s22
.LBB243_4116:                           ;   in Loop: Header=BB243_2086 Depth=1
	s_or_b32 exec_lo, exec_lo, s21
.LBB243_4117:                           ;   in Loop: Header=BB243_2086 Depth=1
	s_or_b32 exec_lo, exec_lo, s19
	s_mov_b32 s19, exec_lo
	v_cmpx_lt_u32_e32 0xffffff, v14
	s_cbranch_execz .LBB243_4125
; %bb.4118:                             ;   in Loop: Header=BB243_2086 Depth=1
	v_mov_b32_e32 v8, v7
	v_mov_b32_e32 v24, v9
	v_cmp_ne_u32_sdwa s8, v14, v75 src0_sel:BYTE_3 src1_sel:DWORD
	v_mov_b32_e32 v23, v8
	s_and_saveexec_b32 s21, s8
	s_cbranch_execz .LBB243_4124
; %bb.4119:                             ;   in Loop: Header=BB243_2086 Depth=1
	v_mov_b32_e32 v10, v7
	v_mov_b32_e32 v24, v11
	v_bfe_u32 v85, v14, 24, 7
	s_mov_b32 s22, exec_lo
	v_mov_b32_e32 v23, v10
	v_cmpx_ne_u32_e32 0x7f, v85
	s_cbranch_execz .LBB243_4123
; %bb.4120:                             ;   in Loop: Header=BB243_2086 Depth=1
	v_and_b32_sdwa v6, v14, v30 dst_sel:DWORD dst_unused:UNUSED_PAD src0_sel:BYTE_3 src1_sel:DWORD
	v_mov_b32_e32 v24, v7
	v_lshrrev_b32_e32 v8, 3, v85
	s_mov_b32 s23, exec_lo
	v_mov_b32_e32 v23, v6
	v_cmpx_gt_u32_e32 8, v85
; %bb.4121:                             ;   in Loop: Header=BB243_2086 Depth=1
	v_ffbh_u32_e32 v8, v6
	v_min_u32_e32 v8, 32, v8
	v_subrev_nc_u32_e32 v10, 28, v8
	v_sub_nc_u32_e32 v8, 29, v8
	v_lshlrev_b64 v[23:24], v10, v[6:7]
	v_and_b32_e32 v23, 7, v23
; %bb.4122:                             ;   in Loop: Header=BB243_2086 Depth=1
	s_or_b32 exec_lo, exec_lo, s23
	v_lshlrev_b32_sdwa v6, v79, v14 dst_sel:DWORD dst_unused:UNUSED_PAD src0_sel:DWORD src1_sel:BYTE_3
	v_lshlrev_b32_e32 v10, 20, v23
	v_lshl_add_u32 v8, v8, 23, 0x3c000000
	v_mov_b32_e32 v23, v7
	v_and_b32_e32 v6, 0x80000000, v6
	v_or3_b32 v24, v10, v6, v8
.LBB243_4123:                           ;   in Loop: Header=BB243_2086 Depth=1
	s_or_b32 exec_lo, exec_lo, s22
.LBB243_4124:                           ;   in Loop: Header=BB243_2086 Depth=1
	s_or_b32 exec_lo, exec_lo, s21
.LBB243_4125:                           ;   in Loop: Header=BB243_2086 Depth=1
	s_or_b32 exec_lo, exec_lo, s19
	v_or_b32_e32 v6, v22, v20
	v_or_b32_e32 v8, v21, v19
	;; [unrolled: 1-line block ×4, first 2 shown]
	v_mul_f32_e32 v96, v106, v6
	v_mul_f32_e32 v87, v106, v8
	v_mul_f32_e32 v86, v106, v10
	v_mul_f32_e32 v85, v106, v14
	s_and_saveexec_b32 s8, vcc_lo
; %bb.4126:                             ;   in Loop: Header=BB243_2086 Depth=1
	v_cndmask_b32_e64 v87, 0, v87, s4
	v_cndmask_b32_e64 v96, 0, v96, s5
	v_cndmask_b32_e64 v86, 0, v86, s6
	v_cndmask_b32_e64 v85, 0, v85, s7
; %bb.4127:                             ;   in Loop: Header=BB243_2086 Depth=1
	s_or_b32 exec_lo, exec_lo, s8
	flat_load_dword v14, v[17:18] offset:1536
	v_mov_b32_e32 v21, 0
	v_mov_b32_e32 v19, 0
	;; [unrolled: 1-line block ×4, first 2 shown]
	s_waitcnt vmcnt(0) lgkmcnt(0)
	v_cmp_ne_u16_sdwa s8, v14, v7 src0_sel:BYTE_0 src1_sel:DWORD
	s_and_saveexec_b32 s19, s8
	s_cbranch_execz .LBB243_4135
; %bb.4128:                             ;   in Loop: Header=BB243_2086 Depth=1
	v_bfrev_b32_e32 v19, 1
	v_mov_b32_e32 v20, 0
	v_cmp_ne_u16_sdwa s8, v14, v75 src0_sel:BYTE_0 src1_sel:DWORD
	s_and_saveexec_b32 s21, s8
	s_cbranch_execz .LBB243_4134
; %bb.4129:                             ;   in Loop: Header=BB243_2086 Depth=1
	v_mov_b32_e32 v19, 0x7f800001
	v_and_b32_e32 v10, 0x7f, v14
	v_mov_b32_e32 v20, 0
	s_mov_b32 s22, exec_lo
	v_cmpx_ne_u32_e32 0x7f, v10
	s_cbranch_execz .LBB243_4133
; %bb.4130:                             ;   in Loop: Header=BB243_2086 Depth=1
	v_and_b32_e32 v6, 7, v14
	v_mov_b32_e32 v20, v7
	v_lshrrev_b32_e32 v8, 3, v10
	s_mov_b32 s23, exec_lo
	v_mov_b32_e32 v19, v6
	v_cmpx_gt_u32_e32 8, v10
; %bb.4131:                             ;   in Loop: Header=BB243_2086 Depth=1
	v_ffbh_u32_e32 v8, v6
	v_min_u32_e32 v8, 32, v8
	v_subrev_nc_u32_e32 v10, 28, v8
	v_sub_nc_u32_e32 v8, 29, v8
	v_lshlrev_b64 v[19:20], v10, v[6:7]
	v_and_b32_e32 v19, 7, v19
; %bb.4132:                             ;   in Loop: Header=BB243_2086 Depth=1
	s_or_b32 exec_lo, exec_lo, s23
	v_lshlrev_b32_e32 v6, 24, v14
	v_lshlrev_b32_e32 v10, 20, v19
	v_lshl_add_u32 v8, v8, 23, 0x3c000000
	v_and_b32_e32 v6, 0x80000000, v6
	v_or3_b32 v6, v10, v6, v8
	v_mov_b32_e32 v20, v7
	v_mov_b32_e32 v19, v6
.LBB243_4133:                           ;   in Loop: Header=BB243_2086 Depth=1
	s_or_b32 exec_lo, exec_lo, s22
.LBB243_4134:                           ;   in Loop: Header=BB243_2086 Depth=1
	s_or_b32 exec_lo, exec_lo, s21
.LBB243_4135:                           ;   in Loop: Header=BB243_2086 Depth=1
	s_or_b32 exec_lo, exec_lo, s19
	v_cmp_ne_u16_sdwa s8, v14, v7 src0_sel:BYTE_1 src1_sel:DWORD
	s_and_saveexec_b32 s19, s8
	s_cbranch_execz .LBB243_4143
; %bb.4136:                             ;   in Loop: Header=BB243_2086 Depth=1
	v_mov_b32_e32 v8, v7
	v_mov_b32_e32 v22, v9
	v_cmp_ne_u16_sdwa s8, v14, v75 src0_sel:BYTE_1 src1_sel:DWORD
	v_mov_b32_e32 v21, v8
	s_and_saveexec_b32 s21, s8
	s_cbranch_execz .LBB243_4142
; %bb.4137:                             ;   in Loop: Header=BB243_2086 Depth=1
	v_mov_b32_e32 v6, 0xffff
	v_mov_b32_e32 v10, v7
	;; [unrolled: 1-line block ×3, first 2 shown]
	s_mov_b32 s22, exec_lo
	v_and_b32_sdwa v6, v6, v14 dst_sel:DWORD dst_unused:UNUSED_PAD src0_sel:DWORD src1_sel:BYTE_1
	v_mov_b32_e32 v21, v10
	v_and_b32_e32 v23, 0x7f, v6
	v_cmpx_ne_u32_e32 0x7f, v23
	s_cbranch_execz .LBB243_4141
; %bb.4138:                             ;   in Loop: Header=BB243_2086 Depth=1
	v_and_b32_e32 v6, 7, v6
	v_mov_b32_e32 v22, v7
	v_lshrrev_b32_e32 v8, 3, v23
	s_mov_b32 s23, exec_lo
	v_mov_b32_e32 v21, v6
	v_cmpx_gt_u32_e32 8, v23
; %bb.4139:                             ;   in Loop: Header=BB243_2086 Depth=1
	v_ffbh_u32_e32 v8, v6
	v_min_u32_e32 v8, 32, v8
	v_subrev_nc_u32_e32 v10, 28, v8
	v_sub_nc_u32_e32 v8, 29, v8
	v_lshlrev_b64 v[21:22], v10, v[6:7]
	v_and_b32_e32 v21, 7, v21
; %bb.4140:                             ;   in Loop: Header=BB243_2086 Depth=1
	s_or_b32 exec_lo, exec_lo, s23
	v_lshlrev_b32_e32 v6, 16, v14
	v_lshlrev_b32_e32 v10, 20, v21
	v_lshl_add_u32 v8, v8, 23, 0x3c000000
	v_mov_b32_e32 v21, v7
	v_and_b32_e32 v6, 0x80000000, v6
	v_or3_b32 v22, v10, v6, v8
.LBB243_4141:                           ;   in Loop: Header=BB243_2086 Depth=1
	s_or_b32 exec_lo, exec_lo, s22
.LBB243_4142:                           ;   in Loop: Header=BB243_2086 Depth=1
	s_or_b32 exec_lo, exec_lo, s21
.LBB243_4143:                           ;   in Loop: Header=BB243_2086 Depth=1
	s_or_b32 exec_lo, exec_lo, s19
	v_mov_b32_e32 v23, 0
	v_mov_b32_e32 v25, 0
	v_and_b32_sdwa v6, v14, v77 dst_sel:DWORD dst_unused:UNUSED_PAD src0_sel:WORD_1 src1_sel:DWORD
	v_mov_b32_e32 v24, 0
	v_mov_b32_e32 v26, 0
	s_mov_b32 s19, exec_lo
	v_cmpx_ne_u16_e32 0, v6
	s_cbranch_execz .LBB243_4151
; %bb.4144:                             ;   in Loop: Header=BB243_2086 Depth=1
	v_bfrev_b32_e32 v25, 1
	v_mov_b32_e32 v26, 0
	s_mov_b32 s21, exec_lo
	v_cmpx_ne_u16_e32 0x80, v6
	s_cbranch_execz .LBB243_4150
; %bb.4145:                             ;   in Loop: Header=BB243_2086 Depth=1
	v_mov_b32_e32 v25, 0x7f800001
	v_bfe_u32 v10, v14, 16, 7
	v_mov_b32_e32 v26, 0
	s_mov_b32 s22, exec_lo
	v_cmpx_ne_u32_e32 0x7f, v10
	s_cbranch_execz .LBB243_4149
; %bb.4146:                             ;   in Loop: Header=BB243_2086 Depth=1
	v_and_b32_sdwa v6, v14, v30 dst_sel:DWORD dst_unused:UNUSED_PAD src0_sel:WORD_1 src1_sel:DWORD
	v_mov_b32_e32 v26, v7
	v_lshrrev_b32_e32 v8, 3, v10
	s_mov_b32 s23, exec_lo
	v_mov_b32_e32 v25, v6
	v_cmpx_gt_u32_e32 8, v10
; %bb.4147:                             ;   in Loop: Header=BB243_2086 Depth=1
	v_ffbh_u32_e32 v8, v6
	v_min_u32_e32 v8, 32, v8
	v_subrev_nc_u32_e32 v10, 28, v8
	v_sub_nc_u32_e32 v8, 29, v8
	v_lshlrev_b64 v[25:26], v10, v[6:7]
	v_and_b32_e32 v25, 7, v25
; %bb.4148:                             ;   in Loop: Header=BB243_2086 Depth=1
	s_or_b32 exec_lo, exec_lo, s23
	v_lshlrev_b32_sdwa v6, v79, v14 dst_sel:DWORD dst_unused:UNUSED_PAD src0_sel:DWORD src1_sel:WORD_1
	v_lshlrev_b32_e32 v10, 20, v25
	v_lshl_add_u32 v8, v8, 23, 0x3c000000
	v_and_b32_e32 v6, 0x80000000, v6
	v_or3_b32 v6, v10, v6, v8
	v_mov_b32_e32 v26, v7
	v_mov_b32_e32 v25, v6
.LBB243_4149:                           ;   in Loop: Header=BB243_2086 Depth=1
	s_or_b32 exec_lo, exec_lo, s22
.LBB243_4150:                           ;   in Loop: Header=BB243_2086 Depth=1
	s_or_b32 exec_lo, exec_lo, s21
.LBB243_4151:                           ;   in Loop: Header=BB243_2086 Depth=1
	s_or_b32 exec_lo, exec_lo, s19
	s_mov_b32 s19, exec_lo
	v_cmpx_lt_u32_e32 0xffffff, v14
	s_cbranch_execz .LBB243_4159
; %bb.4152:                             ;   in Loop: Header=BB243_2086 Depth=1
	v_mov_b32_e32 v8, v7
	v_mov_b32_e32 v24, v9
	v_cmp_ne_u32_sdwa s8, v14, v75 src0_sel:BYTE_3 src1_sel:DWORD
	v_mov_b32_e32 v23, v8
	s_and_saveexec_b32 s21, s8
	s_cbranch_execz .LBB243_4158
; %bb.4153:                             ;   in Loop: Header=BB243_2086 Depth=1
	v_mov_b32_e32 v10, v7
	v_mov_b32_e32 v24, v11
	v_bfe_u32 v97, v14, 24, 7
	s_mov_b32 s22, exec_lo
	v_mov_b32_e32 v23, v10
	v_cmpx_ne_u32_e32 0x7f, v97
	s_cbranch_execz .LBB243_4157
; %bb.4154:                             ;   in Loop: Header=BB243_2086 Depth=1
	v_and_b32_sdwa v6, v14, v30 dst_sel:DWORD dst_unused:UNUSED_PAD src0_sel:BYTE_3 src1_sel:DWORD
	v_mov_b32_e32 v24, v7
	v_lshrrev_b32_e32 v8, 3, v97
	s_mov_b32 s23, exec_lo
	v_mov_b32_e32 v23, v6
	v_cmpx_gt_u32_e32 8, v97
; %bb.4155:                             ;   in Loop: Header=BB243_2086 Depth=1
	v_ffbh_u32_e32 v8, v6
	v_min_u32_e32 v8, 32, v8
	v_subrev_nc_u32_e32 v10, 28, v8
	v_sub_nc_u32_e32 v8, 29, v8
	v_lshlrev_b64 v[23:24], v10, v[6:7]
	v_and_b32_e32 v23, 7, v23
; %bb.4156:                             ;   in Loop: Header=BB243_2086 Depth=1
	s_or_b32 exec_lo, exec_lo, s23
	v_lshlrev_b32_sdwa v6, v79, v14 dst_sel:DWORD dst_unused:UNUSED_PAD src0_sel:DWORD src1_sel:BYTE_3
	v_lshlrev_b32_e32 v10, 20, v23
	v_lshl_add_u32 v8, v8, 23, 0x3c000000
	v_mov_b32_e32 v23, v7
	v_and_b32_e32 v6, 0x80000000, v6
	v_or3_b32 v24, v10, v6, v8
.LBB243_4157:                           ;   in Loop: Header=BB243_2086 Depth=1
	s_or_b32 exec_lo, exec_lo, s22
.LBB243_4158:                           ;   in Loop: Header=BB243_2086 Depth=1
	s_or_b32 exec_lo, exec_lo, s21
.LBB243_4159:                           ;   in Loop: Header=BB243_2086 Depth=1
	s_or_b32 exec_lo, exec_lo, s19
	v_or_b32_e32 v6, v22, v20
	v_or_b32_e32 v8, v21, v19
	;; [unrolled: 1-line block ×4, first 2 shown]
	v_mul_f32_e32 v100, v106, v6
	v_mul_f32_e32 v99, v106, v8
	;; [unrolled: 1-line block ×4, first 2 shown]
	s_and_saveexec_b32 s8, vcc_lo
; %bb.4160:                             ;   in Loop: Header=BB243_2086 Depth=1
	v_cndmask_b32_e64 v99, 0, v99, s4
	v_cndmask_b32_e64 v100, 0, v100, s5
	;; [unrolled: 1-line block ×4, first 2 shown]
; %bb.4161:                             ;   in Loop: Header=BB243_2086 Depth=1
	s_or_b32 exec_lo, exec_lo, s8
	flat_load_dword v14, v[17:18] offset:1664
	v_mov_b32_e32 v21, 0
	v_mov_b32_e32 v19, 0
	;; [unrolled: 1-line block ×4, first 2 shown]
	s_waitcnt vmcnt(0) lgkmcnt(0)
	v_cmp_ne_u16_sdwa s8, v14, v7 src0_sel:BYTE_0 src1_sel:DWORD
	s_and_saveexec_b32 s19, s8
	s_cbranch_execz .LBB243_4169
; %bb.4162:                             ;   in Loop: Header=BB243_2086 Depth=1
	v_bfrev_b32_e32 v19, 1
	v_mov_b32_e32 v20, 0
	v_cmp_ne_u16_sdwa s8, v14, v75 src0_sel:BYTE_0 src1_sel:DWORD
	s_and_saveexec_b32 s21, s8
	s_cbranch_execz .LBB243_4168
; %bb.4163:                             ;   in Loop: Header=BB243_2086 Depth=1
	v_mov_b32_e32 v19, 0x7f800001
	v_and_b32_e32 v10, 0x7f, v14
	v_mov_b32_e32 v20, 0
	s_mov_b32 s22, exec_lo
	v_cmpx_ne_u32_e32 0x7f, v10
	s_cbranch_execz .LBB243_4167
; %bb.4164:                             ;   in Loop: Header=BB243_2086 Depth=1
	v_and_b32_e32 v6, 7, v14
	v_mov_b32_e32 v20, v7
	v_lshrrev_b32_e32 v8, 3, v10
	s_mov_b32 s23, exec_lo
	v_mov_b32_e32 v19, v6
	v_cmpx_gt_u32_e32 8, v10
; %bb.4165:                             ;   in Loop: Header=BB243_2086 Depth=1
	v_ffbh_u32_e32 v8, v6
	v_min_u32_e32 v8, 32, v8
	v_subrev_nc_u32_e32 v10, 28, v8
	v_sub_nc_u32_e32 v8, 29, v8
	v_lshlrev_b64 v[19:20], v10, v[6:7]
	v_and_b32_e32 v19, 7, v19
; %bb.4166:                             ;   in Loop: Header=BB243_2086 Depth=1
	s_or_b32 exec_lo, exec_lo, s23
	v_lshlrev_b32_e32 v6, 24, v14
	v_lshlrev_b32_e32 v10, 20, v19
	v_lshl_add_u32 v8, v8, 23, 0x3c000000
	v_and_b32_e32 v6, 0x80000000, v6
	v_or3_b32 v6, v10, v6, v8
	v_mov_b32_e32 v20, v7
	v_mov_b32_e32 v19, v6
.LBB243_4167:                           ;   in Loop: Header=BB243_2086 Depth=1
	s_or_b32 exec_lo, exec_lo, s22
.LBB243_4168:                           ;   in Loop: Header=BB243_2086 Depth=1
	s_or_b32 exec_lo, exec_lo, s21
.LBB243_4169:                           ;   in Loop: Header=BB243_2086 Depth=1
	s_or_b32 exec_lo, exec_lo, s19
	v_cmp_ne_u16_sdwa s8, v14, v7 src0_sel:BYTE_1 src1_sel:DWORD
	s_and_saveexec_b32 s19, s8
	s_cbranch_execz .LBB243_4177
; %bb.4170:                             ;   in Loop: Header=BB243_2086 Depth=1
	v_mov_b32_e32 v8, v7
	v_mov_b32_e32 v22, v9
	v_cmp_ne_u16_sdwa s8, v14, v75 src0_sel:BYTE_1 src1_sel:DWORD
	v_mov_b32_e32 v21, v8
	s_and_saveexec_b32 s21, s8
	s_cbranch_execz .LBB243_4176
; %bb.4171:                             ;   in Loop: Header=BB243_2086 Depth=1
	v_mov_b32_e32 v6, 0xffff
	v_mov_b32_e32 v10, v7
	;; [unrolled: 1-line block ×3, first 2 shown]
	s_mov_b32 s22, exec_lo
	v_and_b32_sdwa v6, v6, v14 dst_sel:DWORD dst_unused:UNUSED_PAD src0_sel:DWORD src1_sel:BYTE_1
	v_mov_b32_e32 v21, v10
	v_and_b32_e32 v23, 0x7f, v6
	v_cmpx_ne_u32_e32 0x7f, v23
	s_cbranch_execz .LBB243_4175
; %bb.4172:                             ;   in Loop: Header=BB243_2086 Depth=1
	v_and_b32_e32 v6, 7, v6
	v_mov_b32_e32 v22, v7
	v_lshrrev_b32_e32 v8, 3, v23
	s_mov_b32 s23, exec_lo
	v_mov_b32_e32 v21, v6
	v_cmpx_gt_u32_e32 8, v23
; %bb.4173:                             ;   in Loop: Header=BB243_2086 Depth=1
	v_ffbh_u32_e32 v8, v6
	v_min_u32_e32 v8, 32, v8
	v_subrev_nc_u32_e32 v10, 28, v8
	v_sub_nc_u32_e32 v8, 29, v8
	v_lshlrev_b64 v[21:22], v10, v[6:7]
	v_and_b32_e32 v21, 7, v21
; %bb.4174:                             ;   in Loop: Header=BB243_2086 Depth=1
	s_or_b32 exec_lo, exec_lo, s23
	v_lshlrev_b32_e32 v6, 16, v14
	v_lshlrev_b32_e32 v10, 20, v21
	v_lshl_add_u32 v8, v8, 23, 0x3c000000
	v_mov_b32_e32 v21, v7
	v_and_b32_e32 v6, 0x80000000, v6
	v_or3_b32 v22, v10, v6, v8
.LBB243_4175:                           ;   in Loop: Header=BB243_2086 Depth=1
	s_or_b32 exec_lo, exec_lo, s22
.LBB243_4176:                           ;   in Loop: Header=BB243_2086 Depth=1
	s_or_b32 exec_lo, exec_lo, s21
.LBB243_4177:                           ;   in Loop: Header=BB243_2086 Depth=1
	s_or_b32 exec_lo, exec_lo, s19
	v_mov_b32_e32 v23, 0
	v_mov_b32_e32 v25, 0
	v_and_b32_sdwa v6, v14, v77 dst_sel:DWORD dst_unused:UNUSED_PAD src0_sel:WORD_1 src1_sel:DWORD
	v_mov_b32_e32 v24, 0
	v_mov_b32_e32 v26, 0
	s_mov_b32 s19, exec_lo
	v_cmpx_ne_u16_e32 0, v6
	s_cbranch_execz .LBB243_4185
; %bb.4178:                             ;   in Loop: Header=BB243_2086 Depth=1
	v_bfrev_b32_e32 v25, 1
	v_mov_b32_e32 v26, 0
	s_mov_b32 s21, exec_lo
	v_cmpx_ne_u16_e32 0x80, v6
	s_cbranch_execz .LBB243_4184
; %bb.4179:                             ;   in Loop: Header=BB243_2086 Depth=1
	v_mov_b32_e32 v25, 0x7f800001
	v_bfe_u32 v10, v14, 16, 7
	v_mov_b32_e32 v26, 0
	s_mov_b32 s22, exec_lo
	v_cmpx_ne_u32_e32 0x7f, v10
	s_cbranch_execz .LBB243_4183
; %bb.4180:                             ;   in Loop: Header=BB243_2086 Depth=1
	v_and_b32_sdwa v6, v14, v30 dst_sel:DWORD dst_unused:UNUSED_PAD src0_sel:WORD_1 src1_sel:DWORD
	v_mov_b32_e32 v26, v7
	v_lshrrev_b32_e32 v8, 3, v10
	s_mov_b32 s23, exec_lo
	v_mov_b32_e32 v25, v6
	v_cmpx_gt_u32_e32 8, v10
; %bb.4181:                             ;   in Loop: Header=BB243_2086 Depth=1
	v_ffbh_u32_e32 v8, v6
	v_min_u32_e32 v8, 32, v8
	v_subrev_nc_u32_e32 v10, 28, v8
	v_sub_nc_u32_e32 v8, 29, v8
	v_lshlrev_b64 v[25:26], v10, v[6:7]
	v_and_b32_e32 v25, 7, v25
; %bb.4182:                             ;   in Loop: Header=BB243_2086 Depth=1
	s_or_b32 exec_lo, exec_lo, s23
	v_lshlrev_b32_sdwa v6, v79, v14 dst_sel:DWORD dst_unused:UNUSED_PAD src0_sel:DWORD src1_sel:WORD_1
	v_lshlrev_b32_e32 v10, 20, v25
	v_lshl_add_u32 v8, v8, 23, 0x3c000000
	v_and_b32_e32 v6, 0x80000000, v6
	v_or3_b32 v6, v10, v6, v8
	v_mov_b32_e32 v26, v7
	v_mov_b32_e32 v25, v6
.LBB243_4183:                           ;   in Loop: Header=BB243_2086 Depth=1
	s_or_b32 exec_lo, exec_lo, s22
.LBB243_4184:                           ;   in Loop: Header=BB243_2086 Depth=1
	s_or_b32 exec_lo, exec_lo, s21
.LBB243_4185:                           ;   in Loop: Header=BB243_2086 Depth=1
	s_or_b32 exec_lo, exec_lo, s19
	s_mov_b32 s19, exec_lo
	v_cmpx_lt_u32_e32 0xffffff, v14
	s_cbranch_execz .LBB243_4193
; %bb.4186:                             ;   in Loop: Header=BB243_2086 Depth=1
	v_mov_b32_e32 v8, v7
	v_mov_b32_e32 v24, v9
	v_cmp_ne_u32_sdwa s8, v14, v75 src0_sel:BYTE_3 src1_sel:DWORD
	v_mov_b32_e32 v23, v8
	s_and_saveexec_b32 s21, s8
	s_cbranch_execz .LBB243_4192
; %bb.4187:                             ;   in Loop: Header=BB243_2086 Depth=1
	v_mov_b32_e32 v10, v7
	v_mov_b32_e32 v24, v11
	v_bfe_u32 v101, v14, 24, 7
	s_mov_b32 s22, exec_lo
	v_mov_b32_e32 v23, v10
	v_cmpx_ne_u32_e32 0x7f, v101
	s_cbranch_execz .LBB243_4191
; %bb.4188:                             ;   in Loop: Header=BB243_2086 Depth=1
	v_and_b32_sdwa v6, v14, v30 dst_sel:DWORD dst_unused:UNUSED_PAD src0_sel:BYTE_3 src1_sel:DWORD
	v_mov_b32_e32 v24, v7
	v_lshrrev_b32_e32 v8, 3, v101
	s_mov_b32 s23, exec_lo
	v_mov_b32_e32 v23, v6
	v_cmpx_gt_u32_e32 8, v101
; %bb.4189:                             ;   in Loop: Header=BB243_2086 Depth=1
	v_ffbh_u32_e32 v8, v6
	v_min_u32_e32 v8, 32, v8
	v_subrev_nc_u32_e32 v10, 28, v8
	v_sub_nc_u32_e32 v8, 29, v8
	v_lshlrev_b64 v[23:24], v10, v[6:7]
	v_and_b32_e32 v23, 7, v23
; %bb.4190:                             ;   in Loop: Header=BB243_2086 Depth=1
	s_or_b32 exec_lo, exec_lo, s23
	v_lshlrev_b32_sdwa v6, v79, v14 dst_sel:DWORD dst_unused:UNUSED_PAD src0_sel:DWORD src1_sel:BYTE_3
	v_lshlrev_b32_e32 v10, 20, v23
	v_lshl_add_u32 v8, v8, 23, 0x3c000000
	v_mov_b32_e32 v23, v7
	v_and_b32_e32 v6, 0x80000000, v6
	v_or3_b32 v24, v10, v6, v8
.LBB243_4191:                           ;   in Loop: Header=BB243_2086 Depth=1
	s_or_b32 exec_lo, exec_lo, s22
.LBB243_4192:                           ;   in Loop: Header=BB243_2086 Depth=1
	s_or_b32 exec_lo, exec_lo, s21
.LBB243_4193:                           ;   in Loop: Header=BB243_2086 Depth=1
	s_or_b32 exec_lo, exec_lo, s19
	v_or_b32_e32 v6, v22, v20
	v_or_b32_e32 v8, v21, v19
	;; [unrolled: 1-line block ×4, first 2 shown]
	v_mul_f32_e32 v102, v106, v6
	v_mul_f32_e32 v101, v106, v8
	;; [unrolled: 1-line block ×4, first 2 shown]
	s_and_saveexec_b32 s8, vcc_lo
; %bb.4194:                             ;   in Loop: Header=BB243_2086 Depth=1
	v_cndmask_b32_e64 v101, 0, v101, s4
	v_cndmask_b32_e64 v102, 0, v102, s5
	;; [unrolled: 1-line block ×4, first 2 shown]
; %bb.4195:                             ;   in Loop: Header=BB243_2086 Depth=1
	s_or_b32 exec_lo, exec_lo, s8
	flat_load_dword v14, v[17:18] offset:1792
	v_mov_b32_e32 v19, 0
	v_mov_b32_e32 v17, 0
	;; [unrolled: 1-line block ×4, first 2 shown]
	s_waitcnt vmcnt(0) lgkmcnt(0)
	v_cmp_ne_u16_sdwa s8, v14, v7 src0_sel:BYTE_0 src1_sel:DWORD
	s_and_saveexec_b32 s19, s8
	s_cbranch_execz .LBB243_4203
; %bb.4196:                             ;   in Loop: Header=BB243_2086 Depth=1
	v_bfrev_b32_e32 v17, 1
	v_mov_b32_e32 v18, 0
	v_cmp_ne_u16_sdwa s8, v14, v75 src0_sel:BYTE_0 src1_sel:DWORD
	s_and_saveexec_b32 s21, s8
	s_cbranch_execz .LBB243_4202
; %bb.4197:                             ;   in Loop: Header=BB243_2086 Depth=1
	v_mov_b32_e32 v17, 0x7f800001
	v_and_b32_e32 v10, 0x7f, v14
	v_mov_b32_e32 v18, 0
	s_mov_b32 s22, exec_lo
	v_cmpx_ne_u32_e32 0x7f, v10
	s_cbranch_execz .LBB243_4201
; %bb.4198:                             ;   in Loop: Header=BB243_2086 Depth=1
	v_and_b32_e32 v6, 7, v14
	v_mov_b32_e32 v18, v7
	v_lshrrev_b32_e32 v8, 3, v10
	s_mov_b32 s23, exec_lo
	v_mov_b32_e32 v17, v6
	v_cmpx_gt_u32_e32 8, v10
; %bb.4199:                             ;   in Loop: Header=BB243_2086 Depth=1
	v_ffbh_u32_e32 v8, v6
	v_min_u32_e32 v8, 32, v8
	v_subrev_nc_u32_e32 v10, 28, v8
	v_sub_nc_u32_e32 v8, 29, v8
	v_lshlrev_b64 v[17:18], v10, v[6:7]
	v_and_b32_e32 v17, 7, v17
; %bb.4200:                             ;   in Loop: Header=BB243_2086 Depth=1
	s_or_b32 exec_lo, exec_lo, s23
	v_lshlrev_b32_e32 v6, 24, v14
	v_lshlrev_b32_e32 v10, 20, v17
	v_lshl_add_u32 v8, v8, 23, 0x3c000000
	v_and_b32_e32 v6, 0x80000000, v6
	v_or3_b32 v6, v10, v6, v8
	v_mov_b32_e32 v18, v7
	v_mov_b32_e32 v17, v6
.LBB243_4201:                           ;   in Loop: Header=BB243_2086 Depth=1
	s_or_b32 exec_lo, exec_lo, s22
.LBB243_4202:                           ;   in Loop: Header=BB243_2086 Depth=1
	s_or_b32 exec_lo, exec_lo, s21
.LBB243_4203:                           ;   in Loop: Header=BB243_2086 Depth=1
	s_or_b32 exec_lo, exec_lo, s19
	v_cmp_ne_u16_sdwa s8, v14, v7 src0_sel:BYTE_1 src1_sel:DWORD
	s_and_saveexec_b32 s19, s8
	s_cbranch_execz .LBB243_4211
; %bb.4204:                             ;   in Loop: Header=BB243_2086 Depth=1
	v_mov_b32_e32 v8, v7
	v_mov_b32_e32 v20, v9
	v_cmp_ne_u16_sdwa s8, v14, v75 src0_sel:BYTE_1 src1_sel:DWORD
	v_mov_b32_e32 v19, v8
	s_and_saveexec_b32 s21, s8
	s_cbranch_execz .LBB243_4210
; %bb.4205:                             ;   in Loop: Header=BB243_2086 Depth=1
	v_mov_b32_e32 v6, 0xffff
	v_mov_b32_e32 v10, v7
	v_mov_b32_e32 v20, v11
	s_mov_b32 s22, exec_lo
	v_and_b32_sdwa v6, v6, v14 dst_sel:DWORD dst_unused:UNUSED_PAD src0_sel:DWORD src1_sel:BYTE_1
	v_mov_b32_e32 v19, v10
	v_and_b32_e32 v21, 0x7f, v6
	v_cmpx_ne_u32_e32 0x7f, v21
	s_cbranch_execz .LBB243_4209
; %bb.4206:                             ;   in Loop: Header=BB243_2086 Depth=1
	v_and_b32_e32 v6, 7, v6
	v_mov_b32_e32 v20, v7
	v_lshrrev_b32_e32 v8, 3, v21
	s_mov_b32 s23, exec_lo
	v_mov_b32_e32 v19, v6
	v_cmpx_gt_u32_e32 8, v21
; %bb.4207:                             ;   in Loop: Header=BB243_2086 Depth=1
	v_ffbh_u32_e32 v8, v6
	v_min_u32_e32 v8, 32, v8
	v_subrev_nc_u32_e32 v10, 28, v8
	v_sub_nc_u32_e32 v8, 29, v8
	v_lshlrev_b64 v[19:20], v10, v[6:7]
	v_and_b32_e32 v19, 7, v19
; %bb.4208:                             ;   in Loop: Header=BB243_2086 Depth=1
	s_or_b32 exec_lo, exec_lo, s23
	v_lshlrev_b32_e32 v6, 16, v14
	v_lshlrev_b32_e32 v10, 20, v19
	v_lshl_add_u32 v8, v8, 23, 0x3c000000
	v_mov_b32_e32 v19, v7
	v_and_b32_e32 v6, 0x80000000, v6
	v_or3_b32 v20, v10, v6, v8
.LBB243_4209:                           ;   in Loop: Header=BB243_2086 Depth=1
	s_or_b32 exec_lo, exec_lo, s22
.LBB243_4210:                           ;   in Loop: Header=BB243_2086 Depth=1
	s_or_b32 exec_lo, exec_lo, s21
.LBB243_4211:                           ;   in Loop: Header=BB243_2086 Depth=1
	s_or_b32 exec_lo, exec_lo, s19
	v_mov_b32_e32 v21, 0
	v_mov_b32_e32 v23, 0
	v_and_b32_sdwa v6, v14, v77 dst_sel:DWORD dst_unused:UNUSED_PAD src0_sel:WORD_1 src1_sel:DWORD
	v_mov_b32_e32 v22, 0
	v_mov_b32_e32 v24, 0
	s_mov_b32 s19, exec_lo
	v_cmpx_ne_u16_e32 0, v6
	s_cbranch_execz .LBB243_4219
; %bb.4212:                             ;   in Loop: Header=BB243_2086 Depth=1
	v_bfrev_b32_e32 v23, 1
	v_mov_b32_e32 v24, 0
	s_mov_b32 s21, exec_lo
	v_cmpx_ne_u16_e32 0x80, v6
	s_cbranch_execz .LBB243_4218
; %bb.4213:                             ;   in Loop: Header=BB243_2086 Depth=1
	v_mov_b32_e32 v23, 0x7f800001
	v_bfe_u32 v10, v14, 16, 7
	v_mov_b32_e32 v24, 0
	s_mov_b32 s22, exec_lo
	v_cmpx_ne_u32_e32 0x7f, v10
	s_cbranch_execz .LBB243_4217
; %bb.4214:                             ;   in Loop: Header=BB243_2086 Depth=1
	v_and_b32_sdwa v6, v14, v30 dst_sel:DWORD dst_unused:UNUSED_PAD src0_sel:WORD_1 src1_sel:DWORD
	v_mov_b32_e32 v24, v7
	v_lshrrev_b32_e32 v8, 3, v10
	s_mov_b32 s23, exec_lo
	v_mov_b32_e32 v23, v6
	v_cmpx_gt_u32_e32 8, v10
; %bb.4215:                             ;   in Loop: Header=BB243_2086 Depth=1
	v_ffbh_u32_e32 v8, v6
	v_min_u32_e32 v8, 32, v8
	v_subrev_nc_u32_e32 v10, 28, v8
	v_sub_nc_u32_e32 v8, 29, v8
	v_lshlrev_b64 v[23:24], v10, v[6:7]
	v_and_b32_e32 v23, 7, v23
; %bb.4216:                             ;   in Loop: Header=BB243_2086 Depth=1
	s_or_b32 exec_lo, exec_lo, s23
	v_lshlrev_b32_sdwa v6, v79, v14 dst_sel:DWORD dst_unused:UNUSED_PAD src0_sel:DWORD src1_sel:WORD_1
	v_lshlrev_b32_e32 v10, 20, v23
	v_lshl_add_u32 v8, v8, 23, 0x3c000000
	v_and_b32_e32 v6, 0x80000000, v6
	v_or3_b32 v6, v10, v6, v8
	v_mov_b32_e32 v24, v7
	v_mov_b32_e32 v23, v6
.LBB243_4217:                           ;   in Loop: Header=BB243_2086 Depth=1
	s_or_b32 exec_lo, exec_lo, s22
.LBB243_4218:                           ;   in Loop: Header=BB243_2086 Depth=1
	s_or_b32 exec_lo, exec_lo, s21
.LBB243_4219:                           ;   in Loop: Header=BB243_2086 Depth=1
	s_or_b32 exec_lo, exec_lo, s19
	s_mov_b32 s19, exec_lo
	v_cmpx_lt_u32_e32 0xffffff, v14
	s_cbranch_execz .LBB243_4227
; %bb.4220:                             ;   in Loop: Header=BB243_2086 Depth=1
	v_mov_b32_e32 v8, v7
	v_mov_b32_e32 v22, v9
	v_cmp_ne_u32_sdwa s8, v14, v75 src0_sel:BYTE_3 src1_sel:DWORD
	v_mov_b32_e32 v21, v8
	s_and_saveexec_b32 s21, s8
	s_cbranch_execz .LBB243_4226
; %bb.4221:                             ;   in Loop: Header=BB243_2086 Depth=1
	v_mov_b32_e32 v10, v7
	v_mov_b32_e32 v22, v11
	v_bfe_u32 v103, v14, 24, 7
	s_mov_b32 s22, exec_lo
	v_mov_b32_e32 v21, v10
	v_cmpx_ne_u32_e32 0x7f, v103
	s_cbranch_execz .LBB243_4225
; %bb.4222:                             ;   in Loop: Header=BB243_2086 Depth=1
	v_and_b32_sdwa v6, v14, v30 dst_sel:DWORD dst_unused:UNUSED_PAD src0_sel:BYTE_3 src1_sel:DWORD
	v_mov_b32_e32 v22, v7
	v_lshrrev_b32_e32 v8, 3, v103
	s_mov_b32 s23, exec_lo
	v_mov_b32_e32 v21, v6
	v_cmpx_gt_u32_e32 8, v103
; %bb.4223:                             ;   in Loop: Header=BB243_2086 Depth=1
	v_ffbh_u32_e32 v8, v6
	v_min_u32_e32 v8, 32, v8
	v_subrev_nc_u32_e32 v10, 28, v8
	v_sub_nc_u32_e32 v8, 29, v8
	v_lshlrev_b64 v[21:22], v10, v[6:7]
	v_and_b32_e32 v21, 7, v21
; %bb.4224:                             ;   in Loop: Header=BB243_2086 Depth=1
	s_or_b32 exec_lo, exec_lo, s23
	v_lshlrev_b32_sdwa v6, v79, v14 dst_sel:DWORD dst_unused:UNUSED_PAD src0_sel:DWORD src1_sel:BYTE_3
	v_lshlrev_b32_e32 v10, 20, v21
	v_lshl_add_u32 v8, v8, 23, 0x3c000000
	v_mov_b32_e32 v21, v7
	v_and_b32_e32 v6, 0x80000000, v6
	v_or3_b32 v22, v10, v6, v8
.LBB243_4225:                           ;   in Loop: Header=BB243_2086 Depth=1
	s_or_b32 exec_lo, exec_lo, s22
.LBB243_4226:                           ;   in Loop: Header=BB243_2086 Depth=1
	s_or_b32 exec_lo, exec_lo, s21
.LBB243_4227:                           ;   in Loop: Header=BB243_2086 Depth=1
	s_or_b32 exec_lo, exec_lo, s19
	v_or_b32_e32 v6, v20, v18
	v_or_b32_e32 v8, v19, v17
	;; [unrolled: 1-line block ×4, first 2 shown]
	v_mul_f32_e32 v103, v106, v6
	v_mul_f32_e32 v24, v106, v8
	v_mul_f32_e32 v23, v106, v10
	v_mul_f32_e32 v22, v106, v14
	s_and_saveexec_b32 s8, vcc_lo
; %bb.4228:                             ;   in Loop: Header=BB243_2086 Depth=1
	v_cndmask_b32_e64 v24, 0, v24, s4
	v_cndmask_b32_e64 v103, 0, v103, s5
	;; [unrolled: 1-line block ×4, first 2 shown]
; %bb.4229:                             ;   in Loop: Header=BB243_2086 Depth=1
	s_or_b32 exec_lo, exec_lo, s8
	buffer_load_dword v6, off, s[0:3], s32 offset:1960 ; 4-byte Folded Reload
	s_waitcnt vmcnt(0)
	v_add_co_u32 v14, s8, v15, v6
	v_add_co_ci_u32_e64 v15, null, 0, v16, s8
	v_mov_b32_e32 v16, 0
	v_mov_b32_e32 v17, 0
	flat_load_dword v112, v[14:15]
	v_mov_b32_e32 v14, 0
	v_mov_b32_e32 v15, 0
	s_waitcnt vmcnt(0) lgkmcnt(0)
	v_cmp_ne_u16_sdwa s8, v112, v7 src0_sel:BYTE_0 src1_sel:DWORD
	s_and_saveexec_b32 s19, s8
	s_cbranch_execz .LBB243_4237
; %bb.4230:                             ;   in Loop: Header=BB243_2086 Depth=1
	v_bfrev_b32_e32 v14, 1
	v_mov_b32_e32 v15, 0
	v_cmp_ne_u16_sdwa s8, v112, v75 src0_sel:BYTE_0 src1_sel:DWORD
	s_and_saveexec_b32 s21, s8
	s_cbranch_execz .LBB243_4236
; %bb.4231:                             ;   in Loop: Header=BB243_2086 Depth=1
	v_mov_b32_e32 v14, 0x7f800001
	v_and_b32_e32 v10, 0x7f, v112
	v_mov_b32_e32 v15, 0
	s_mov_b32 s22, exec_lo
	v_cmpx_ne_u32_e32 0x7f, v10
	s_cbranch_execz .LBB243_4235
; %bb.4232:                             ;   in Loop: Header=BB243_2086 Depth=1
	v_and_b32_e32 v6, 7, v112
	v_mov_b32_e32 v15, v7
	v_lshrrev_b32_e32 v8, 3, v10
	s_mov_b32 s23, exec_lo
	v_mov_b32_e32 v14, v6
	v_cmpx_gt_u32_e32 8, v10
; %bb.4233:                             ;   in Loop: Header=BB243_2086 Depth=1
	v_ffbh_u32_e32 v8, v6
	v_min_u32_e32 v8, 32, v8
	v_subrev_nc_u32_e32 v10, 28, v8
	v_sub_nc_u32_e32 v8, 29, v8
	v_lshlrev_b64 v[14:15], v10, v[6:7]
	v_and_b32_e32 v14, 7, v14
; %bb.4234:                             ;   in Loop: Header=BB243_2086 Depth=1
	s_or_b32 exec_lo, exec_lo, s23
	v_lshlrev_b32_e32 v6, 24, v112
	v_lshlrev_b32_e32 v10, 20, v14
	v_lshl_add_u32 v8, v8, 23, 0x3c000000
	v_and_b32_e32 v6, 0x80000000, v6
	v_or3_b32 v6, v10, v6, v8
	v_mov_b32_e32 v15, v7
	v_mov_b32_e32 v14, v6
.LBB243_4235:                           ;   in Loop: Header=BB243_2086 Depth=1
	s_or_b32 exec_lo, exec_lo, s22
.LBB243_4236:                           ;   in Loop: Header=BB243_2086 Depth=1
	s_or_b32 exec_lo, exec_lo, s21
.LBB243_4237:                           ;   in Loop: Header=BB243_2086 Depth=1
	s_or_b32 exec_lo, exec_lo, s19
	v_cmp_ne_u16_sdwa s8, v112, v7 src0_sel:BYTE_1 src1_sel:DWORD
	s_and_saveexec_b32 s19, s8
	s_cbranch_execz .LBB243_4245
; %bb.4238:                             ;   in Loop: Header=BB243_2086 Depth=1
	v_mov_b32_e32 v8, v7
	v_mov_b32_e32 v17, v9
	v_cmp_ne_u16_sdwa s8, v112, v75 src0_sel:BYTE_1 src1_sel:DWORD
	v_mov_b32_e32 v16, v8
	s_and_saveexec_b32 s21, s8
	s_cbranch_execz .LBB243_4244
; %bb.4239:                             ;   in Loop: Header=BB243_2086 Depth=1
	v_mov_b32_e32 v6, 0xffff
	v_mov_b32_e32 v10, v7
	v_mov_b32_e32 v17, v11
	s_mov_b32 s22, exec_lo
	v_and_b32_sdwa v6, v6, v112 dst_sel:DWORD dst_unused:UNUSED_PAD src0_sel:DWORD src1_sel:BYTE_1
	v_mov_b32_e32 v16, v10
	v_and_b32_e32 v18, 0x7f, v6
	v_cmpx_ne_u32_e32 0x7f, v18
	s_cbranch_execz .LBB243_4243
; %bb.4240:                             ;   in Loop: Header=BB243_2086 Depth=1
	v_and_b32_e32 v6, 7, v6
	v_mov_b32_e32 v17, v7
	v_lshrrev_b32_e32 v8, 3, v18
	s_mov_b32 s23, exec_lo
	v_mov_b32_e32 v16, v6
	v_cmpx_gt_u32_e32 8, v18
; %bb.4241:                             ;   in Loop: Header=BB243_2086 Depth=1
	v_ffbh_u32_e32 v8, v6
	v_min_u32_e32 v8, 32, v8
	v_subrev_nc_u32_e32 v10, 28, v8
	v_sub_nc_u32_e32 v8, 29, v8
	v_lshlrev_b64 v[16:17], v10, v[6:7]
	v_and_b32_e32 v16, 7, v16
; %bb.4242:                             ;   in Loop: Header=BB243_2086 Depth=1
	s_or_b32 exec_lo, exec_lo, s23
	v_lshlrev_b32_e32 v6, 16, v112
	v_lshlrev_b32_e32 v10, 20, v16
	v_lshl_add_u32 v8, v8, 23, 0x3c000000
	v_mov_b32_e32 v16, v7
	v_and_b32_e32 v6, 0x80000000, v6
	v_or3_b32 v17, v10, v6, v8
.LBB243_4243:                           ;   in Loop: Header=BB243_2086 Depth=1
	s_or_b32 exec_lo, exec_lo, s22
.LBB243_4244:                           ;   in Loop: Header=BB243_2086 Depth=1
	s_or_b32 exec_lo, exec_lo, s21
.LBB243_4245:                           ;   in Loop: Header=BB243_2086 Depth=1
	s_or_b32 exec_lo, exec_lo, s19
	v_mov_b32_e32 v18, 0
	v_mov_b32_e32 v20, 0
	v_and_b32_sdwa v6, v112, v77 dst_sel:DWORD dst_unused:UNUSED_PAD src0_sel:WORD_1 src1_sel:DWORD
	v_mov_b32_e32 v19, 0
	v_mov_b32_e32 v21, 0
	s_mov_b32 s19, exec_lo
	v_cmpx_ne_u16_e32 0, v6
	s_cbranch_execz .LBB243_4253
; %bb.4246:                             ;   in Loop: Header=BB243_2086 Depth=1
	v_bfrev_b32_e32 v20, 1
	v_mov_b32_e32 v21, 0
	s_mov_b32 s21, exec_lo
	v_cmpx_ne_u16_e32 0x80, v6
	s_cbranch_execz .LBB243_4252
; %bb.4247:                             ;   in Loop: Header=BB243_2086 Depth=1
	v_mov_b32_e32 v20, 0x7f800001
	v_bfe_u32 v10, v112, 16, 7
	v_mov_b32_e32 v21, 0
	s_mov_b32 s22, exec_lo
	v_cmpx_ne_u32_e32 0x7f, v10
	s_cbranch_execz .LBB243_4251
; %bb.4248:                             ;   in Loop: Header=BB243_2086 Depth=1
	v_and_b32_sdwa v6, v112, v30 dst_sel:DWORD dst_unused:UNUSED_PAD src0_sel:WORD_1 src1_sel:DWORD
	v_mov_b32_e32 v21, v7
	v_lshrrev_b32_e32 v8, 3, v10
	s_mov_b32 s23, exec_lo
	v_mov_b32_e32 v20, v6
	v_cmpx_gt_u32_e32 8, v10
; %bb.4249:                             ;   in Loop: Header=BB243_2086 Depth=1
	v_ffbh_u32_e32 v8, v6
	v_min_u32_e32 v8, 32, v8
	v_subrev_nc_u32_e32 v10, 28, v8
	v_sub_nc_u32_e32 v8, 29, v8
	v_lshlrev_b64 v[20:21], v10, v[6:7]
	v_and_b32_e32 v20, 7, v20
; %bb.4250:                             ;   in Loop: Header=BB243_2086 Depth=1
	s_or_b32 exec_lo, exec_lo, s23
	v_lshlrev_b32_sdwa v6, v79, v112 dst_sel:DWORD dst_unused:UNUSED_PAD src0_sel:DWORD src1_sel:WORD_1
	v_lshlrev_b32_e32 v10, 20, v20
	v_lshl_add_u32 v8, v8, 23, 0x3c000000
	v_and_b32_e32 v6, 0x80000000, v6
	v_or3_b32 v6, v10, v6, v8
	v_mov_b32_e32 v21, v7
	v_mov_b32_e32 v20, v6
.LBB243_4251:                           ;   in Loop: Header=BB243_2086 Depth=1
	s_or_b32 exec_lo, exec_lo, s22
.LBB243_4252:                           ;   in Loop: Header=BB243_2086 Depth=1
	s_or_b32 exec_lo, exec_lo, s21
.LBB243_4253:                           ;   in Loop: Header=BB243_2086 Depth=1
	s_or_b32 exec_lo, exec_lo, s19
	s_mov_b32 s19, exec_lo
	v_cmpx_lt_u32_e32 0xffffff, v112
	s_cbranch_execz .LBB243_4261
; %bb.4254:                             ;   in Loop: Header=BB243_2086 Depth=1
	v_mov_b32_e32 v8, v7
	v_mov_b32_e32 v19, v9
	v_cmp_ne_u32_sdwa s8, v112, v75 src0_sel:BYTE_3 src1_sel:DWORD
	v_mov_b32_e32 v18, v8
	s_and_saveexec_b32 s21, s8
	s_cbranch_execz .LBB243_4260
; %bb.4255:                             ;   in Loop: Header=BB243_2086 Depth=1
	v_mov_b32_e32 v10, v7
	v_mov_b32_e32 v19, v11
	v_bfe_u32 v31, v112, 24, 7
	s_mov_b32 s22, exec_lo
	v_mov_b32_e32 v18, v10
	v_cmpx_ne_u32_e32 0x7f, v31
	s_cbranch_execz .LBB243_4259
; %bb.4256:                             ;   in Loop: Header=BB243_2086 Depth=1
	v_and_b32_sdwa v6, v112, v30 dst_sel:DWORD dst_unused:UNUSED_PAD src0_sel:BYTE_3 src1_sel:DWORD
	v_mov_b32_e32 v19, v7
	v_lshrrev_b32_e32 v8, 3, v31
	s_mov_b32 s23, exec_lo
	v_mov_b32_e32 v18, v6
	v_cmpx_gt_u32_e32 8, v31
; %bb.4257:                             ;   in Loop: Header=BB243_2086 Depth=1
	v_ffbh_u32_e32 v8, v6
	v_min_u32_e32 v8, 32, v8
	v_subrev_nc_u32_e32 v10, 28, v8
	v_sub_nc_u32_e32 v8, 29, v8
	v_lshlrev_b64 v[18:19], v10, v[6:7]
	v_and_b32_e32 v18, 7, v18
; %bb.4258:                             ;   in Loop: Header=BB243_2086 Depth=1
	s_or_b32 exec_lo, exec_lo, s23
	v_lshlrev_b32_sdwa v6, v79, v112 dst_sel:DWORD dst_unused:UNUSED_PAD src0_sel:DWORD src1_sel:BYTE_3
	v_lshlrev_b32_e32 v10, 20, v18
	v_lshl_add_u32 v8, v8, 23, 0x3c000000
	v_mov_b32_e32 v18, v7
	v_and_b32_e32 v6, 0x80000000, v6
	v_or3_b32 v19, v10, v6, v8
.LBB243_4259:                           ;   in Loop: Header=BB243_2086 Depth=1
	s_or_b32 exec_lo, exec_lo, s22
.LBB243_4260:                           ;   in Loop: Header=BB243_2086 Depth=1
	s_or_b32 exec_lo, exec_lo, s21
.LBB243_4261:                           ;   in Loop: Header=BB243_2086 Depth=1
	s_or_b32 exec_lo, exec_lo, s19
	v_or_b32_e32 v6, v17, v15
	v_or_b32_e32 v8, v16, v14
	;; [unrolled: 1-line block ×4, first 2 shown]
	v_mul_f32_e32 v14, v106, v6
	v_mul_f32_e32 v10, v106, v8
	v_mul_f32_e32 v8, v106, v15
	v_mul_f32_e32 v6, v106, v16
	s_and_saveexec_b32 s8, vcc_lo
	s_cbranch_execz .LBB243_2084
; %bb.4262:                             ;   in Loop: Header=BB243_2086 Depth=1
	v_cndmask_b32_e64 v10, 0, v10, s4
	v_cndmask_b32_e64 v14, 0, v14, s5
	;; [unrolled: 1-line block ×4, first 2 shown]
	s_branch .LBB243_2084
.LBB243_4263:
	s_or_b32 exec_lo, exec_lo, s17
	s_clause 0x3a
	buffer_load_dword v112, off, s[0:3], s32 offset:1964
	buffer_load_dword v56, off, s[0:3], s32 offset:1968
	;; [unrolled: 1-line block ×59, first 2 shown]
.LBB243_4264:
	s_or_b32 exec_lo, exec_lo, s15
	s_waitcnt vmcnt(58)
	ds_bpermute_b32 v0, v112, v68
	s_waitcnt vmcnt(0)
	ds_bpermute_b32 v1, v112, v35
	ds_bpermute_b32 v2, v112, v34
	;; [unrolled: 1-line block ×9, first 2 shown]
	v_mov_b32_e32 v31, v68
	ds_bpermute_b32 v10, v112, v24
	ds_bpermute_b32 v8, v112, v26
	;; [unrolled: 1-line block ×5, first 2 shown]
	v_mov_b32_e32 v68, v18
	v_mov_b32_e32 v100, v19
	ds_bpermute_b32 v13, v112, v22
	ds_bpermute_b32 v14, v112, v20
	s_waitcnt lgkmcnt(16)
	v_add_f32_e32 v0, v31, v0
	s_waitcnt lgkmcnt(15)
	v_add_f32_e32 v1, v35, v1
	s_waitcnt lgkmcnt(14)
	v_add_f32_e32 v2, v34, v2
	s_waitcnt lgkmcnt(13)
	v_add_f32_e32 v3, v33, v3
	s_waitcnt lgkmcnt(12)
	v_add_f32_e32 v4, v17, v4
	ds_bpermute_b32 v17, v78, v0
	ds_bpermute_b32 v18, v78, v1
	;; [unrolled: 1-line block ×3, first 2 shown]
	v_mov_b32_e32 v46, v20
	ds_bpermute_b32 v20, v78, v3
	s_waitcnt lgkmcnt(15)
	v_add_f32_e32 v5, v32, v5
	s_waitcnt lgkmcnt(14)
	v_add_f32_e32 v6, v28, v6
	;; [unrolled: 2-line block ×5, first 2 shown]
	ds_bpermute_b32 v21, v78, v4
	v_mov_b32_e32 v31, v22
	ds_bpermute_b32 v22, v78, v5
	ds_bpermute_b32 v23, v78, v6
	s_waitcnt lgkmcnt(13)
	v_add_f32_e32 v10, v24, v10
	ds_bpermute_b32 v24, v78, v7
	ds_bpermute_b32 v28, v78, v11
	s_waitcnt lgkmcnt(14)
	v_add_f32_e32 v8, v26, v8
	s_waitcnt lgkmcnt(13)
	v_add_f32_e32 v9, v25, v9
	ds_bpermute_b32 v27, v78, v10
	s_waitcnt lgkmcnt(9)
	v_add_f32_e32 v0, v0, v17
	s_waitcnt lgkmcnt(8)
	v_add_f32_e32 v1, v1, v18
	;; [unrolled: 2-line block ×3, first 2 shown]
	ds_bpermute_b32 v25, v78, v8
	ds_bpermute_b32 v26, v78, v9
	s_waitcnt lgkmcnt(8)
	v_add_f32_e32 v18, v3, v20
	v_add_f32_e32 v13, v31, v13
	ds_bpermute_b32 v2, v29, v0
	ds_bpermute_b32 v19, v29, v1
	;; [unrolled: 1-line block ×8, first 2 shown]
	s_waitcnt lgkmcnt(15)
	v_add_f32_e32 v4, v4, v21
	s_waitcnt lgkmcnt(14)
	v_add_f32_e32 v5, v5, v22
	;; [unrolled: 2-line block ×5, first 2 shown]
	ds_bpermute_b32 v6, v29, v4
	ds_bpermute_b32 v11, v29, v5
	;; [unrolled: 1-line block ×3, first 2 shown]
	s_waitcnt lgkmcnt(12)
	v_add_f32_e32 v8, v8, v25
	s_waitcnt lgkmcnt(11)
	v_add_f32_e32 v9, v9, v26
	v_add_f32_e32 v10, v10, v27
	;; [unrolled: 1-line block ×3, first 2 shown]
	s_waitcnt lgkmcnt(10)
	v_add_f32_e32 v3, v0, v2
	s_waitcnt lgkmcnt(9)
	v_add_f32_e32 v2, v1, v19
	;; [unrolled: 2-line block ×4, first 2 shown]
	v_add_f32_e32 v15, v100, v15
	v_add_f32_e32 v16, v68, v16
	s_waitcnt lgkmcnt(6)
	v_add_f32_e32 v27, v49, v33
	ds_bpermute_b32 v25, v29, v22
	s_waitcnt lgkmcnt(6)
	v_add_f32_e32 v0, v18, v31
	ds_bpermute_b32 v12, v29, v8
	ds_bpermute_b32 v18, v29, v9
	;; [unrolled: 1-line block ×4, first 2 shown]
	s_waitcnt lgkmcnt(8)
	v_add_f32_e32 v13, v13, v35
	ds_bpermute_b32 v31, v78, v14
	ds_bpermute_b32 v32, v78, v15
	;; [unrolled: 1-line block ×4, first 2 shown]
	v_add_f32_e32 v34, v48, v34
	ds_bpermute_b32 v19, v29, v10
	ds_bpermute_b32 v28, v29, v13
	s_waitcnt lgkmcnt(13)
	v_add_f32_e32 v7, v4, v6
	s_waitcnt lgkmcnt(12)
	v_add_f32_e32 v6, v5, v11
	;; [unrolled: 2-line block ×3, first 2 shown]
	ds_bpermute_b32 v21, v78, v34
	s_waitcnt lgkmcnt(0)
	s_waitcnt_vscnt null, 0x0
	s_barrier
	v_add_f32_e32 v4, v22, v25
	buffer_gl0_inv
	v_add_f32_e32 v12, v8, v12
	v_add_f32_e32 v11, v9, v18
	;; [unrolled: 1-line block ×4, first 2 shown]
	ds_bpermute_b32 v17, v112, v39
	ds_bpermute_b32 v18, v112, v36
	;; [unrolled: 1-line block ×3, first 2 shown]
	v_add_f32_e32 v14, v14, v31
	v_add_f32_e32 v15, v15, v32
	;; [unrolled: 1-line block ×5, first 2 shown]
	ds_bpermute_b32 v19, v112, v38
	v_add_f32_e32 v13, v13, v28
	ds_bpermute_b32 v16, v112, v50
	ds_bpermute_b32 v24, v29, v14
	;; [unrolled: 1-line block ×5, first 2 shown]
	v_add_f32_e32 v21, v34, v21
	ds_bpermute_b32 v28, v112, v55
	ds_bpermute_b32 v33, v112, v52
	ds_bpermute_b32 v31, v112, v54
	ds_bpermute_b32 v32, v112, v53
	ds_bpermute_b32 v34, v29, v21
	s_waitcnt lgkmcnt(13)
	v_add_f32_e32 v35, v39, v17
	s_waitcnt lgkmcnt(12)
	v_add_f32_e32 v36, v36, v18
	;; [unrolled: 2-line block ×3, first 2 shown]
	ds_bpermute_b32 v37, v112, v51
	s_load_dword s5, s[12:13], 0x0
	s_mov_b32 s6, exec_lo
	ds_bpermute_b32 v39, v78, v36
	s_waitcnt lgkmcnt(0)
	v_add_f32_e32 v19, v38, v19
	ds_bpermute_b32 v38, v78, v35
	ds_bpermute_b32 v49, v78, v20
	v_add_f32_e32 v50, v50, v16
	v_add_f32_e32 v17, v14, v24
	;; [unrolled: 1-line block ×7, first 2 shown]
	ds_bpermute_b32 v48, v78, v19
	ds_bpermute_b32 v22, v78, v50
	v_add_f32_e32 v24, v54, v31
	v_add_f32_e32 v18, v21, v34
	ds_bpermute_b32 v21, v78, v23
	ds_bpermute_b32 v31, v78, v26
	v_add_f32_e32 v25, v53, v32
	v_add_f32_e32 v32, v51, v37
	ds_bpermute_b32 v27, v78, v24
	v_add_f32_e32 v34, v36, v39
	ds_bpermute_b32 v36, v112, v67
	ds_bpermute_b32 v28, v78, v25
	s_waitcnt lgkmcnt(8)
	v_add_f32_e32 v33, v35, v38
	s_waitcnt lgkmcnt(7)
	v_add_f32_e32 v35, v20, v49
	ds_bpermute_b32 v20, v78, v32
	ds_bpermute_b32 v37, v112, v66
	;; [unrolled: 1-line block ×6, first 2 shown]
	s_waitcnt lgkmcnt(12)
	v_add_f32_e32 v19, v19, v48
	s_waitcnt lgkmcnt(11)
	v_add_f32_e32 v50, v50, v22
	ds_bpermute_b32 v22, v112, v69
	ds_bpermute_b32 v48, v29, v33
	s_waitcnt lgkmcnt(12)
	v_add_f32_e32 v23, v23, v21
	s_waitcnt lgkmcnt(11)
	v_add_f32_e32 v31, v26, v31
	ds_bpermute_b32 v51, v29, v19
	v_cmp_eq_u32_e32 vcc_lo, 0, v56
	s_waitcnt lgkmcnt(11)
	v_add_f32_e32 v24, v24, v27
	ds_bpermute_b32 v26, v29, v23
	ds_bpermute_b32 v55, v29, v31
	s_waitcnt lgkmcnt(11)
	v_add_f32_e32 v28, v25, v28
	v_add_f32_e32 v36, v67, v36
	ds_bpermute_b32 v25, v29, v50
	s_waitcnt lgkmcnt(11)
	v_add_f32_e32 v32, v32, v20
	s_waitcnt lgkmcnt(10)
	v_add_f32_e32 v37, v66, v37
	;; [unrolled: 2-line block ×4, first 2 shown]
	ds_bpermute_b32 v53, v29, v24
	ds_bpermute_b32 v54, v29, v28
	;; [unrolled: 1-line block ×7, first 2 shown]
	s_waitcnt lgkmcnt(12)
	v_add_f32_e32 v69, v69, v22
	s_waitcnt lgkmcnt(11)
	v_add_f32_e32 v22, v33, v48
	v_add_f32_e32 v21, v34, v49
	s_waitcnt lgkmcnt(10)
	v_add_f32_e32 v20, v19, v51
	v_add_f32_e32 v19, v35, v52
	ds_bpermute_b32 v33, v78, v69
	s_waitcnt lgkmcnt(10)
	v_add_f32_e32 v26, v23, v26
	s_waitcnt lgkmcnt(9)
	v_add_f32_e32 v23, v31, v55
	ds_bpermute_b32 v31, v112, v81
	ds_bpermute_b32 v34, v112, v80
	;; [unrolled: 1-line block ×4, first 2 shown]
	s_waitcnt lgkmcnt(12)
	v_add_f32_e32 v27, v50, v25
	s_waitcnt lgkmcnt(11)
	v_add_f32_e32 v25, v24, v53
	;; [unrolled: 2-line block ×8, first 2 shown]
	ds_bpermute_b32 v39, v112, v87
	ds_bpermute_b32 v49, v29, v32
	;; [unrolled: 1-line block ×5, first 2 shown]
	s_waitcnt lgkmcnt(9)
	v_add_f32_e32 v53, v69, v33
	ds_bpermute_b32 v50, v29, v36
	ds_bpermute_b32 v51, v29, v37
	s_waitcnt lgkmcnt(10)
	v_add_f32_e32 v31, v81, v31
	s_waitcnt lgkmcnt(9)
	v_add_f32_e32 v67, v80, v34
	;; [unrolled: 2-line block ×3, first 2 shown]
	ds_bpermute_b32 v64, v112, v84
	ds_bpermute_b32 v65, v112, v83
	;; [unrolled: 1-line block ×3, first 2 shown]
	s_waitcnt lgkmcnt(10)
	v_add_f32_e32 v48, v70, v48
	ds_bpermute_b32 v69, v112, v82
	ds_bpermute_b32 v70, v78, v31
	;; [unrolled: 1-line block ×5, first 2 shown]
	s_waitcnt lgkmcnt(14)
	v_add_f32_e32 v39, v87, v39
	s_waitcnt lgkmcnt(13)
	v_add_f32_e32 v35, v32, v49
	;; [unrolled: 2-line block ×4, first 2 shown]
	v_add_f32_e32 v38, v86, v54
	s_waitcnt lgkmcnt(9)
	v_add_f32_e32 v34, v36, v50
	s_waitcnt lgkmcnt(8)
	v_add_f32_e32 v33, v37, v51
	ds_bpermute_b32 v37, v78, v39
	ds_bpermute_b32 v52, v78, v38
	s_waitcnt lgkmcnt(9)
	v_add_f32_e32 v50, v84, v64
	s_waitcnt lgkmcnt(8)
	v_add_f32_e32 v51, v83, v65
	;; [unrolled: 2-line block ×3, first 2 shown]
	ds_bpermute_b32 v53, v78, v49
	s_waitcnt lgkmcnt(7)
	v_add_f32_e32 v64, v82, v69
	s_waitcnt lgkmcnt(6)
	v_add_f32_e32 v31, v31, v70
	;; [unrolled: 2-line block ×4, first 2 shown]
	ds_bpermute_b32 v68, v112, v99
	ds_bpermute_b32 v69, v112, v98
	;; [unrolled: 1-line block ×6, first 2 shown]
	s_waitcnt lgkmcnt(9)
	v_add_f32_e32 v67, v48, v81
	ds_bpermute_b32 v48, v78, v64
	ds_bpermute_b32 v81, v29, v65
	;; [unrolled: 1-line block ×4, first 2 shown]
	s_waitcnt lgkmcnt(12)
	v_add_f32_e32 v84, v39, v37
	s_waitcnt lgkmcnt(11)
	v_add_f32_e32 v52, v38, v52
	ds_bpermute_b32 v83, v29, v67
	ds_bpermute_b32 v37, v112, v101
	s_waitcnt lgkmcnt(12)
	v_add_f32_e32 v49, v49, v53
	s_waitcnt lgkmcnt(11)
	v_add_f32_e32 v68, v99, v68
	;; [unrolled: 2-line block ×7, first 2 shown]
	ds_bpermute_b32 v51, v29, v84
	ds_bpermute_b32 v55, v29, v52
	;; [unrolled: 1-line block ×3, first 2 shown]
	s_waitcnt lgkmcnt(8)
	v_add_f32_e32 v64, v64, v48
	ds_bpermute_b32 v97, v78, v68
	ds_bpermute_b32 v98, v78, v69
	;; [unrolled: 1-line block ×4, first 2 shown]
	s_waitcnt lgkmcnt(11)
	v_add_f32_e32 v39, v65, v81
	s_waitcnt lgkmcnt(10)
	v_add_f32_e32 v38, v66, v82
	ds_bpermute_b32 v65, v112, v45
	ds_bpermute_b32 v66, v112, v44
	;; [unrolled: 1-line block ×6, first 2 shown]
	s_waitcnt lgkmcnt(15)
	v_add_f32_e32 v48, v31, v80
	ds_bpermute_b32 v80, v112, v103
	s_waitcnt lgkmcnt(14)
	v_add_f32_e32 v101, v101, v37
	v_add_f32_e32 v37, v67, v83
	s_waitcnt lgkmcnt(13)
	v_add_f32_e32 v53, v84, v51
	s_waitcnt lgkmcnt(12)
	;; [unrolled: 2-line block ×3, first 2 shown]
	v_add_f32_e32 v51, v49, v85
	ds_bpermute_b32 v67, v112, v43
	s_waitcnt lgkmcnt(11)
	v_add_f32_e32 v55, v68, v97
	s_waitcnt lgkmcnt(10)
	v_add_f32_e32 v68, v69, v98
	;; [unrolled: 2-line block ×4, first 2 shown]
	ds_bpermute_b32 v31, v78, v101
	ds_bpermute_b32 v99, v112, v42
	s_waitcnt lgkmcnt(9)
	v_add_f32_e32 v84, v45, v65
	s_waitcnt lgkmcnt(8)
	v_add_f32_e32 v85, v44, v66
	;; [unrolled: 2-line block ×6, first 2 shown]
	ds_bpermute_b32 v64, v29, v55
	ds_bpermute_b32 v83, v29, v70
	s_waitcnt lgkmcnt(5)
	v_add_f32_e32 v80, v103, v80
	ds_bpermute_b32 v86, v78, v84
	ds_bpermute_b32 v87, v78, v85
	;; [unrolled: 1-line block ×6, first 2 shown]
	s_waitcnt lgkmcnt(10)
	v_add_f32_e32 v67, v43, v67
	ds_bpermute_b32 v97, v78, v80
	ds_bpermute_b32 v102, v112, v119
	s_waitcnt lgkmcnt(11)
	v_add_f32_e32 v31, v101, v31
	ds_bpermute_b32 v101, v112, v40
	ds_bpermute_b32 v96, v78, v67
	;; [unrolled: 1-line block ×3, first 2 shown]
	s_waitcnt lgkmcnt(12)
	v_add_f32_e32 v66, v55, v64
	s_waitcnt lgkmcnt(11)
	v_add_f32_e32 v55, v70, v83
	ds_bpermute_b32 v83, v112, v76
	s_waitcnt lgkmcnt(11)
	v_add_f32_e32 v84, v84, v86
	s_waitcnt lgkmcnt(10)
	v_add_f32_e32 v86, v85, v87
	;; [unrolled: 2-line block ×5, first 2 shown]
	ds_bpermute_b32 v69, v112, v117
	ds_bpermute_b32 v82, v112, v114
	s_waitcnt lgkmcnt(8)
	v_add_f32_e32 v65, v68, v71
	ds_bpermute_b32 v103, v78, v98
	ds_bpermute_b32 v71, v112, v115
	s_waitcnt lgkmcnt(9)
	v_add_f32_e32 v80, v80, v97
	s_waitcnt lgkmcnt(6)
	v_add_f32_e32 v67, v67, v96
	v_add_f32_e32 v81, v42, v99
	;; [unrolled: 1-line block ×4, first 2 shown]
	ds_bpermute_b32 v119, v29, v80
	ds_bpermute_b32 v118, v29, v67
	;; [unrolled: 1-line block ×4, first 2 shown]
	s_waitcnt lgkmcnt(8)
	v_add_f32_e32 v83, v76, v83
	ds_bpermute_b32 v70, v112, v116
	v_add_f32_e32 v85, v41, v100
	ds_bpermute_b32 v101, v78, v96
	ds_bpermute_b32 v102, v78, v97
	;; [unrolled: 1-line block ×3, first 2 shown]
	s_waitcnt lgkmcnt(11)
	v_add_f32_e32 v69, v117, v69
	s_waitcnt lgkmcnt(10)
	v_add_f32_e32 v82, v114, v82
	ds_bpermute_b32 v117, v29, v86
	s_waitcnt lgkmcnt(10)
	v_add_f32_e32 v98, v98, v103
	s_waitcnt lgkmcnt(9)
	v_add_f32_e32 v71, v115, v71
	ds_bpermute_b32 v100, v78, v85
	ds_bpermute_b32 v115, v78, v82
	;; [unrolled: 1-line block ×6, first 2 shown]
	s_waitcnt lgkmcnt(12)
	v_add_f32_e32 v99, v81, v99
	v_add_f32_e32 v81, v80, v119
	s_waitcnt lgkmcnt(11)
	v_add_f32_e32 v80, v87, v40
	buffer_load_dword v87, off, s[0:3], s32 offset:2124 ; 4-byte Folded Reload
	s_waitcnt lgkmcnt(10)
	v_add_f32_e32 v70, v116, v70
	s_waitcnt lgkmcnt(9)
	v_add_f32_e32 v96, v96, v101
	;; [unrolled: 2-line block ×4, first 2 shown]
	ds_bpermute_b32 v116, v29, v84
	ds_bpermute_b32 v113, v78, v70
	s_waitcnt lgkmcnt(8)
	v_add_f32_e32 v83, v86, v117
	buffer_load_dword v86, off, s[0:3], s32 offset:2120 ; 4-byte Folded Reload
	ds_bpermute_b32 v103, v29, v96
	s_waitcnt lgkmcnt(8)
	v_add_f32_e32 v100, v85, v100
	s_waitcnt lgkmcnt(7)
	v_add_f32_e32 v115, v82, v115
	v_add_f32_e32 v82, v67, v118
	s_waitcnt lgkmcnt(5)
	v_add_f32_e32 v67, v98, v42
	buffer_load_dword v98, off, s[0:3], s32 offset:3188 ; 4-byte Folded Reload
	v_add_f32_e32 v112, v69, v112
	s_waitcnt lgkmcnt(4)
	v_add_f32_e32 v114, v71, v114
	ds_bpermute_b32 v101, v29, v99
	ds_bpermute_b32 v102, v29, v100
	;; [unrolled: 1-line block ×7, first 2 shown]
	s_waitcnt lgkmcnt(10)
	v_add_f32_e32 v85, v31, v68
	s_waitcnt lgkmcnt(9)
	v_add_f32_e32 v84, v84, v116
	;; [unrolled: 2-line block ×4, first 2 shown]
	ds_bpermute_b32 v44, v29, v113
	s_waitcnt lgkmcnt(7)
	v_add_f32_e32 v71, v99, v101
	s_waitcnt lgkmcnt(6)
	v_add_f32_e32 v70, v100, v102
	;; [unrolled: 2-line block ×6, first 2 shown]
	s_waitcnt vmcnt(2)
	v_and_b32_e32 v99, 0x3c0, v87
	v_add_f32_e32 v87, v43, v47
	s_waitcnt vmcnt(1)
	v_lshrrev_b32_e32 v96, 3, v86
	v_add_f32_e32 v86, v115, v46
	v_lshl_add_u32 v97, v96, 2, s5
	s_waitcnt vmcnt(0)
	v_lshlrev_b32_e32 v98, 10, v98
	v_cmpx_eq_u32_e32 64, v99
	s_cbranch_execz .LBB243_4267
; %bb.4265:
	s_and_b32 exec_lo, exec_lo, vcc_lo
	s_cbranch_execz .LBB243_4267
; %bb.4266:
	v_add_nc_u32_e32 v99, v97, v98
	v_add_nc_u32_e32 v100, 0xfffff800, v99
	;; [unrolled: 1-line block ×7, first 2 shown]
	ds_write_b32 v100, v3
	ds_write_b32 v101, v2
	;; [unrolled: 1-line block ×4, first 2 shown]
	v_add_nc_u32_e32 v100, 0xfffff860, v99
	v_add_nc_u32_e32 v101, 0xfffff870, v99
	v_add_nc_u32_e32 v102, 0xfffff880, v99
	ds_write_b32 v112, v7
	ds_write_b32 v113, v6
	ds_write_b32 v100, v5
	ds_write_b32 v101, v4
	ds_write_b32 v102, v12
	v_add_nc_u32_e32 v100, 0xfffff890, v99
	v_add_nc_u32_e32 v101, 0xfffff8a0, v99
	v_add_nc_u32_e32 v102, 0xfffff8b0, v99
	v_add_nc_u32_e32 v103, 0xfffff8c0, v99
	v_add_nc_u32_e32 v112, 0xfffff8d0, v99
	ds_write_b32 v100, v11
	ds_write_b32 v101, v10
	ds_write_b32 v102, v9
	ds_write_b32 v103, v8
	ds_write_b32 v112, v13
	v_add_nc_u32_e32 v100, 0xfffff8e0, v99
	v_add_nc_u32_e32 v101, 0xfffff8f0, v99
	;; [unrolled: 10-line block ×11, first 2 shown]
	v_add_nc_u32_e32 v102, 0xfffffbd0, v99
	v_add_nc_u32_e32 v103, 0xfffffbe0, v99
	;; [unrolled: 1-line block ×3, first 2 shown]
	ds_write_b32 v100, v31
	ds_write_b32 v101, v30
	;; [unrolled: 1-line block ×5, first 2 shown]
.LBB243_4267:
	s_or_b32 exec_lo, exec_lo, s6
	buffer_load_dword v99, off, s[0:3], s32 offset:2124 ; 4-byte Folded Reload
	v_lshlrev_b32_e32 v96, 2, v96
	s_waitcnt vmcnt(0) lgkmcnt(0)
	s_barrier
	buffer_gl0_inv
	v_add3_u32 v96, s5, v98, v96
	s_mov_b32 s5, exec_lo
	v_and_b32_e32 v99, 0x3c7, v99
	v_cmpx_eq_u32_e32 0, v99
	s_cbranch_execz .LBB243_4269
; %bb.4268:
	ds_read2_b32 v[98:99], v96 offset1:4
	ds_read2_b32 v[100:101], v96 offset0:8 offset1:12
	ds_read2_b32 v[102:103], v96 offset0:16 offset1:20
	ds_read2_b32 v[112:113], v96 offset0:24 offset1:28
	ds_read2_b32 v[114:115], v96 offset0:32 offset1:36
	ds_read2_b32 v[116:117], v96 offset0:40 offset1:44
	ds_read2_b32 v[118:119], v96 offset0:48 offset1:52
	ds_read2_b32 v[40:41], v96 offset0:56 offset1:60
	ds_read2_b32 v[42:43], v96 offset0:64 offset1:68
	ds_read2_b32 v[44:45], v96 offset0:72 offset1:76
	ds_read2_b32 v[46:47], v96 offset0:80 offset1:84
	ds_read2_b32 v[56:57], v96 offset0:88 offset1:92
	s_waitcnt lgkmcnt(11)
	v_add_f32_e32 v3, v98, v3
	v_add_f32_e32 v2, v99, v2
	s_waitcnt lgkmcnt(10)
	v_add_f32_e32 v1, v100, v1
	v_add_f32_e32 v0, v101, v0
	ds_read2_b32 v[98:99], v96 offset0:96 offset1:100
	ds_read2_b32 v[100:101], v96 offset0:104 offset1:108
	s_waitcnt lgkmcnt(11)
	v_add_f32_e32 v7, v102, v7
	v_add_f32_e32 v6, v103, v6
	s_waitcnt lgkmcnt(10)
	v_add_f32_e32 v5, v112, v5
	v_add_f32_e32 v4, v113, v4
	;; [unrolled: 3-line block ×5, first 2 shown]
	ds_read2_b32 v[102:103], v96 offset0:112 offset1:116
	ds_read2_b32 v[112:113], v96 offset0:120 offset1:124
	;; [unrolled: 1-line block ×5, first 2 shown]
	s_waitcnt lgkmcnt(11)
	v_add_f32_e32 v17, v40, v17
	v_add_f32_e32 v16, v41, v16
	s_waitcnt lgkmcnt(10)
	v_add_f32_e32 v15, v42, v15
	s_waitcnt lgkmcnt(6)
	v_add_f32_e32 v26, v98, v26
	v_add_f32_e32 v25, v99, v25
	ds_read2_b32 v[98:99], v96 offset0:152 offset1:156
	s_waitcnt lgkmcnt(6)
	v_add_f32_e32 v24, v100, v24
	v_add_f32_e32 v23, v101, v23
	ds_read2_b32 v[100:101], v96 offset0:160 offset1:164
	v_add_f32_e32 v14, v43, v14
	v_add_f32_e32 v18, v44, v18
	;; [unrolled: 1-line block ×5, first 2 shown]
	ds_read2_b32 v[40:41], v96 offset0:200 offset1:204
	s_waitcnt lgkmcnt(7)
	v_add_f32_e32 v28, v102, v28
	v_add_f32_e32 v35, v103, v35
	s_waitcnt lgkmcnt(6)
	v_add_f32_e32 v34, v112, v34
	v_add_f32_e32 v33, v113, v33
	ds_read2_b32 v[102:103], v96 offset0:168 offset1:172
	s_waitcnt lgkmcnt(6)
	v_add_f32_e32 v32, v114, v32
	v_add_f32_e32 v36, v115, v36
	ds_read2_b32 v[112:113], v96 offset0:176 offset1:180
	s_waitcnt lgkmcnt(6)
	v_add_f32_e32 v48, v116, v48
	ds_read2_b32 v[114:115], v96 offset0:184 offset1:188
	v_add_f32_e32 v39, v117, v39
	ds_read2_b32 v[116:117], v96 offset0:192 offset1:196
	s_waitcnt lgkmcnt(7)
	v_add_f32_e32 v38, v118, v38
	v_add_f32_e32 v37, v119, v37
	ds_read2_b32 v[118:119], v96 offset0:208 offset1:212
	s_waitcnt lgkmcnt(7)
	v_add_f32_e32 v53, v98, v53
	ds_read2_b32 v[42:43], v96 offset0:216 offset1:220
	v_add_f32_e32 v52, v99, v52
	ds_read2_b32 v[98:99], v96 offset0:224 offset1:228
	s_waitcnt lgkmcnt(8)
	v_add_f32_e32 v51, v100, v51
	ds_read2_b32 v[44:45], v96 offset0:232 offset1:236
	v_add_f32_e32 v50, v101, v50
	ds_read2_b32 v[100:101], v96 offset0:240 offset1:244
	ds_read2_b32 v[46:47], v96 offset0:248 offset1:252
	v_add_f32_e32 v19, v56, v19
	v_add_f32_e32 v27, v57, v27
	s_waitcnt lgkmcnt(9)
	v_add_f32_e32 v49, v102, v49
	v_add_f32_e32 v54, v103, v54
	s_waitcnt lgkmcnt(8)
	;; [unrolled: 3-line block ×4, first 2 shown]
	v_add_f32_e32 v85, v116, v85
	v_add_f32_e32 v84, v117, v84
	;; [unrolled: 1-line block ×4, first 2 shown]
	s_waitcnt lgkmcnt(5)
	v_add_f32_e32 v81, v118, v81
	v_add_f32_e32 v80, v119, v80
	s_waitcnt lgkmcnt(4)
	v_add_f32_e32 v71, v42, v71
	v_add_f32_e32 v70, v43, v70
	;; [unrolled: 3-line block ×6, first 2 shown]
.LBB243_4269:
	s_or_b32 exec_lo, exec_lo, s5
	buffer_load_dword v98, off, s[0:3], s32 offset:2124 ; 4-byte Folded Reload
	s_mov_b32 s5, exec_lo
	s_waitcnt vmcnt(0)
	s_barrier
	buffer_gl0_inv
	v_and_b32_e32 v98, 0x3e7, v98
	v_cmpx_eq_u32_e32 32, v98
	s_cbranch_execz .LBB243_4271
; %bb.4270:
	ds_write2_b32 v97, v3, v2 offset1:4
	ds_write2_b32 v97, v1, v0 offset0:8 offset1:12
	ds_write2_b32 v97, v7, v6 offset0:16 offset1:20
	;; [unrolled: 1-line block ×31, first 2 shown]
.LBB243_4271:
	s_or_b32 exec_lo, exec_lo, s5
	s_mov_b32 s5, exec_lo
	s_waitcnt lgkmcnt(0)
	s_barrier
	buffer_gl0_inv
	v_cmpx_eq_u32_e32 0, v98
	s_cbranch_execz .LBB243_4273
; %bb.4272:
	ds_read2_b32 v[97:98], v96 offset1:4
	ds_read2_b32 v[99:100], v96 offset0:8 offset1:12
	ds_read2_b32 v[101:102], v96 offset0:16 offset1:20
	;; [unrolled: 1-line block ×11, first 2 shown]
	s_waitcnt lgkmcnt(11)
	v_add_f32_e32 v3, v97, v3
	v_add_f32_e32 v2, v98, v2
	s_waitcnt lgkmcnt(10)
	v_add_f32_e32 v1, v99, v1
	v_add_f32_e32 v0, v100, v0
	ds_read2_b32 v[97:98], v96 offset0:96 offset1:100
	ds_read2_b32 v[99:100], v96 offset0:104 offset1:108
	s_waitcnt lgkmcnt(11)
	v_add_f32_e32 v7, v101, v7
	v_add_f32_e32 v6, v102, v6
	s_waitcnt lgkmcnt(10)
	v_add_f32_e32 v5, v112, v5
	v_add_f32_e32 v4, v113, v4
	;; [unrolled: 3-line block ×5, first 2 shown]
	ds_read2_b32 v[101:102], v96 offset0:112 offset1:116
	ds_read2_b32 v[112:113], v96 offset0:120 offset1:124
	;; [unrolled: 1-line block ×5, first 2 shown]
	s_waitcnt lgkmcnt(11)
	v_add_f32_e32 v17, v40, v17
	v_add_f32_e32 v16, v41, v16
	s_waitcnt lgkmcnt(10)
	v_add_f32_e32 v15, v42, v15
	s_waitcnt lgkmcnt(6)
	v_add_f32_e32 v26, v97, v26
	v_add_f32_e32 v25, v98, v25
	ds_read2_b32 v[97:98], v96 offset0:152 offset1:156
	s_waitcnt lgkmcnt(6)
	v_add_f32_e32 v24, v99, v24
	v_add_f32_e32 v23, v100, v23
	ds_read2_b32 v[99:100], v96 offset0:160 offset1:164
	v_add_f32_e32 v14, v43, v14
	v_add_f32_e32 v18, v44, v18
	;; [unrolled: 1-line block ×5, first 2 shown]
	ds_read2_b32 v[40:41], v96 offset0:200 offset1:204
	s_waitcnt lgkmcnt(7)
	v_add_f32_e32 v28, v101, v28
	v_add_f32_e32 v35, v102, v35
	s_waitcnt lgkmcnt(6)
	v_add_f32_e32 v34, v112, v34
	v_add_f32_e32 v33, v113, v33
	ds_read2_b32 v[101:102], v96 offset0:168 offset1:172
	s_waitcnt lgkmcnt(6)
	v_add_f32_e32 v32, v114, v32
	v_add_f32_e32 v36, v115, v36
	ds_read2_b32 v[112:113], v96 offset0:176 offset1:180
	s_waitcnt lgkmcnt(6)
	v_add_f32_e32 v48, v116, v48
	ds_read2_b32 v[114:115], v96 offset0:184 offset1:188
	v_add_f32_e32 v39, v117, v39
	ds_read2_b32 v[116:117], v96 offset0:192 offset1:196
	s_waitcnt lgkmcnt(7)
	v_add_f32_e32 v38, v118, v38
	v_add_f32_e32 v37, v119, v37
	ds_read2_b32 v[118:119], v96 offset0:208 offset1:212
	s_waitcnt lgkmcnt(7)
	v_add_f32_e32 v53, v97, v53
	ds_read2_b32 v[42:43], v96 offset0:216 offset1:220
	v_add_f32_e32 v52, v98, v52
	ds_read2_b32 v[97:98], v96 offset0:224 offset1:228
	s_waitcnt lgkmcnt(8)
	v_add_f32_e32 v51, v99, v51
	ds_read2_b32 v[44:45], v96 offset0:232 offset1:236
	v_add_f32_e32 v50, v100, v50
	ds_read2_b32 v[99:100], v96 offset0:240 offset1:244
	ds_read2_b32 v[46:47], v96 offset0:248 offset1:252
	v_add_f32_e32 v19, v56, v19
	v_add_f32_e32 v27, v57, v27
	s_waitcnt lgkmcnt(9)
	v_add_f32_e32 v49, v101, v49
	v_add_f32_e32 v54, v102, v54
	s_waitcnt lgkmcnt(8)
	;; [unrolled: 3-line block ×4, first 2 shown]
	v_add_f32_e32 v85, v116, v85
	v_add_f32_e32 v84, v117, v84
	;; [unrolled: 1-line block ×4, first 2 shown]
	s_waitcnt lgkmcnt(5)
	v_add_f32_e32 v81, v118, v81
	v_add_f32_e32 v80, v119, v80
	s_waitcnt lgkmcnt(4)
	v_add_f32_e32 v71, v42, v71
	v_add_f32_e32 v70, v43, v70
	;; [unrolled: 3-line block ×6, first 2 shown]
.LBB243_4273:
	s_or_b32 exec_lo, exec_lo, s5
	buffer_load_dword v96, off, s[0:3], s32 offset:2124 ; 4-byte Folded Reload
	s_waitcnt vmcnt(0)
	s_barrier
	buffer_gl0_inv
	v_cmp_gt_u32_e64 s4, 32, v96
	s_and_b32 exec_lo, exec_lo, s4
	s_cbranch_execz .LBB243_4276
; %bb.4274:
	s_and_b32 exec_lo, exec_lo, vcc_lo
	s_cbranch_execz .LBB243_4276
; %bb.4275:
	s_clause 0x2
	buffer_load_dword v96, off, s[0:3], s32 offset:3200
	buffer_load_dword v97, off, s[0:3], s32 offset:3196
	;; [unrolled: 1-line block ×3, first 2 shown]
	s_mul_i32 s4, s9, s10
	s_mul_i32 s6, s16, s9
	;; [unrolled: 1-line block ×3, first 2 shown]
	s_ashr_i32 s7, s6, 31
	s_lshl_b32 s4, s4, 8
	s_lshl_b64 s[6:7], s[6:7], 2
	s_ashr_i32 s5, s4, 31
	s_lshl_b64 s[4:5], s[4:5], 2
	s_waitcnt vmcnt(2)
	v_add_co_u32 v96, vcc_lo, v96, s4
	s_waitcnt vmcnt(1)
	v_add_co_ci_u32_e64 v97, null, s5, v97, vcc_lo
	s_lshl_b32 s4, s14, 8
	s_waitcnt vmcnt(0)
	v_lshrrev_b32_e32 v98, 1, v98
	v_add_co_u32 v96, vcc_lo, v96, s6
	s_ashr_i32 s5, s4, 31
	v_add_co_ci_u32_e64 v97, null, s7, v97, vcc_lo
	s_lshl_b64 s[4:5], s[4:5], 2
	v_and_b32_e32 v98, 0x1fc, v98
	v_add_co_u32 v96, vcc_lo, v96, s4
	v_add_co_ci_u32_e64 v97, null, s5, v97, vcc_lo
	v_add_co_u32 v96, vcc_lo, v96, v98
	v_add_co_ci_u32_e64 v97, null, 0, v97, vcc_lo
	flat_store_dword v[96:97], v3
	flat_store_dword v[96:97], v2 offset:16
	flat_store_dword v[96:97], v1 offset:32
	flat_store_dword v[96:97], v0 offset:48
	flat_store_dword v[96:97], v7 offset:64
	flat_store_dword v[96:97], v6 offset:80
	flat_store_dword v[96:97], v5 offset:96
	flat_store_dword v[96:97], v4 offset:112
	flat_store_dword v[96:97], v12 offset:128
	flat_store_dword v[96:97], v11 offset:144
	flat_store_dword v[96:97], v10 offset:160
	flat_store_dword v[96:97], v9 offset:176
	flat_store_dword v[96:97], v8 offset:192
	flat_store_dword v[96:97], v13 offset:208
	flat_store_dword v[96:97], v17 offset:224
	flat_store_dword v[96:97], v16 offset:240
	flat_store_dword v[96:97], v15 offset:256
	flat_store_dword v[96:97], v14 offset:272
	flat_store_dword v[96:97], v18 offset:288
	flat_store_dword v[96:97], v22 offset:304
	flat_store_dword v[96:97], v21 offset:320
	flat_store_dword v[96:97], v20 offset:336
	flat_store_dword v[96:97], v19 offset:352
	flat_store_dword v[96:97], v27 offset:368
	flat_store_dword v[96:97], v26 offset:384
	flat_store_dword v[96:97], v25 offset:400
	flat_store_dword v[96:97], v24 offset:416
	flat_store_dword v[96:97], v23 offset:432
	flat_store_dword v[96:97], v28 offset:448
	flat_store_dword v[96:97], v35 offset:464
	flat_store_dword v[96:97], v34 offset:480
	flat_store_dword v[96:97], v33 offset:496
	flat_store_dword v[96:97], v32 offset:512
	flat_store_dword v[96:97], v36 offset:528
	flat_store_dword v[96:97], v48 offset:544
	flat_store_dword v[96:97], v39 offset:560
	flat_store_dword v[96:97], v38 offset:576
	flat_store_dword v[96:97], v37 offset:592
	flat_store_dword v[96:97], v53 offset:608
	flat_store_dword v[96:97], v52 offset:624
	flat_store_dword v[96:97], v51 offset:640
	flat_store_dword v[96:97], v50 offset:656
	flat_store_dword v[96:97], v49 offset:672
	flat_store_dword v[96:97], v54 offset:688
	flat_store_dword v[96:97], v66 offset:704
	flat_store_dword v[96:97], v65 offset:720
	flat_store_dword v[96:97], v64 offset:736
	flat_store_dword v[96:97], v55 offset:752
	flat_store_dword v[96:97], v85 offset:768
	flat_store_dword v[96:97], v84 offset:784
	flat_store_dword v[96:97], v83 offset:800
	flat_store_dword v[96:97], v82 offset:816
	flat_store_dword v[96:97], v81 offset:832
	flat_store_dword v[96:97], v80 offset:848
	flat_store_dword v[96:97], v71 offset:864
	flat_store_dword v[96:97], v70 offset:880
	flat_store_dword v[96:97], v69 offset:896
	flat_store_dword v[96:97], v68 offset:912
	flat_store_dword v[96:97], v67 offset:928
	flat_store_dword v[96:97], v31 offset:944
	flat_store_dword v[96:97], v30 offset:960
	flat_store_dword v[96:97], v29 offset:976
	flat_store_dword v[96:97], v86 offset:992
	flat_store_dword v[96:97], v87 offset:1008
.LBB243_4276:
	s_or_b32 exec_lo, exec_lo, s11
	s_clause 0x2f
	buffer_load_dword v127, off, s[0:3], s32 offset:8
	buffer_load_dword v126, off, s[0:3], s32 offset:12
	buffer_load_dword v125, off, s[0:3], s32 offset:16
	buffer_load_dword v124, off, s[0:3], s32 offset:20
	buffer_load_dword v123, off, s[0:3], s32 offset:24
	buffer_load_dword v122, off, s[0:3], s32 offset:28
	buffer_load_dword v121, off, s[0:3], s32 offset:32
	buffer_load_dword v120, off, s[0:3], s32 offset:36
	buffer_load_dword v111, off, s[0:3], s32 offset:40
	buffer_load_dword v110, off, s[0:3], s32 offset:44
	buffer_load_dword v109, off, s[0:3], s32 offset:48
	buffer_load_dword v108, off, s[0:3], s32 offset:52
	buffer_load_dword v107, off, s[0:3], s32 offset:56
	buffer_load_dword v106, off, s[0:3], s32 offset:60
	buffer_load_dword v105, off, s[0:3], s32 offset:64
	buffer_load_dword v104, off, s[0:3], s32 offset:68
	buffer_load_dword v95, off, s[0:3], s32 offset:72
	buffer_load_dword v94, off, s[0:3], s32 offset:76
	buffer_load_dword v93, off, s[0:3], s32 offset:80
	buffer_load_dword v92, off, s[0:3], s32 offset:84
	buffer_load_dword v91, off, s[0:3], s32 offset:88
	buffer_load_dword v90, off, s[0:3], s32 offset:92
	buffer_load_dword v89, off, s[0:3], s32 offset:96
	buffer_load_dword v88, off, s[0:3], s32 offset:100
	buffer_load_dword v79, off, s[0:3], s32 offset:104
	buffer_load_dword v78, off, s[0:3], s32 offset:108
	buffer_load_dword v77, off, s[0:3], s32 offset:112
	buffer_load_dword v76, off, s[0:3], s32 offset:116
	buffer_load_dword v75, off, s[0:3], s32 offset:120
	buffer_load_dword v74, off, s[0:3], s32 offset:124
	buffer_load_dword v73, off, s[0:3], s32 offset:128
	buffer_load_dword v72, off, s[0:3], s32 offset:132
	buffer_load_dword v63, off, s[0:3], s32 offset:136
	buffer_load_dword v62, off, s[0:3], s32 offset:140
	buffer_load_dword v61, off, s[0:3], s32 offset:144
	buffer_load_dword v60, off, s[0:3], s32 offset:148
	buffer_load_dword v59, off, s[0:3], s32 offset:152
	buffer_load_dword v58, off, s[0:3], s32 offset:156
	buffer_load_dword v57, off, s[0:3], s32 offset:160
	buffer_load_dword v56, off, s[0:3], s32 offset:164
	buffer_load_dword v47, off, s[0:3], s32 offset:168
	buffer_load_dword v46, off, s[0:3], s32 offset:172
	buffer_load_dword v45, off, s[0:3], s32 offset:176
	buffer_load_dword v44, off, s[0:3], s32 offset:180
	buffer_load_dword v43, off, s[0:3], s32 offset:184
	buffer_load_dword v42, off, s[0:3], s32 offset:188
	buffer_load_dword v41, off, s[0:3], s32 offset:192
	buffer_load_dword v40, off, s[0:3], s32 offset:196
	s_waitcnt vmcnt(0) lgkmcnt(0)
	s_setpc_b64 s[30:31]
.Lfunc_end243:
	.size	_ZN4vllm22paged_attention_kernelIfhLi256ELi32ELi128ELNS_18Fp8KVCacheDataTypeE1ELb1ELi512EEEvPfS2_PT_PKS3_PKT0_S9_ifPKiSB_iPKfiiiSD_SD_iiiii, .Lfunc_end243-_ZN4vllm22paged_attention_kernelIfhLi256ELi32ELi128ELNS_18Fp8KVCacheDataTypeE1ELb1ELi512EEEvPfS2_PT_PKS3_PKT0_S9_ifPKiSB_iPKfiiiSD_SD_iiiii
                                        ; -- End function
	.set .L_ZN4vllm22paged_attention_kernelIfhLi256ELi32ELi128ELNS_18Fp8KVCacheDataTypeE1ELb1ELi512EEEvPfS2_PT_PKS3_PKT0_S9_ifPKiSB_iPKfiiiSD_SD_iiiii.num_vgpr, 128
	.set .L_ZN4vllm22paged_attention_kernelIfhLi256ELi32ELi128ELNS_18Fp8KVCacheDataTypeE1ELb1ELi512EEEvPfS2_PT_PKS3_PKT0_S9_ifPKiSB_iPKfiiiSD_SD_iiiii.num_agpr, 0
	.set .L_ZN4vllm22paged_attention_kernelIfhLi256ELi32ELi128ELNS_18Fp8KVCacheDataTypeE1ELb1ELi512EEEvPfS2_PT_PKS3_PKT0_S9_ifPKiSB_iPKfiiiSD_SD_iiiii.numbered_sgpr, 33
	.set .L_ZN4vllm22paged_attention_kernelIfhLi256ELi32ELi128ELNS_18Fp8KVCacheDataTypeE1ELb1ELi512EEEvPfS2_PT_PKS3_PKT0_S9_ifPKiSB_iPKfiiiSD_SD_iiiii.num_named_barrier, 0
	.set .L_ZN4vllm22paged_attention_kernelIfhLi256ELi32ELi128ELNS_18Fp8KVCacheDataTypeE1ELb1ELi512EEEvPfS2_PT_PKS3_PKT0_S9_ifPKiSB_iPKfiiiSD_SD_iiiii.private_seg_size, 3268
	.set .L_ZN4vllm22paged_attention_kernelIfhLi256ELi32ELi128ELNS_18Fp8KVCacheDataTypeE1ELb1ELi512EEEvPfS2_PT_PKS3_PKT0_S9_ifPKiSB_iPKfiiiSD_SD_iiiii.uses_vcc, 1
	.set .L_ZN4vllm22paged_attention_kernelIfhLi256ELi32ELi128ELNS_18Fp8KVCacheDataTypeE1ELb1ELi512EEEvPfS2_PT_PKS3_PKT0_S9_ifPKiSB_iPKfiiiSD_SD_iiiii.uses_flat_scratch, 0
	.set .L_ZN4vllm22paged_attention_kernelIfhLi256ELi32ELi128ELNS_18Fp8KVCacheDataTypeE1ELb1ELi512EEEvPfS2_PT_PKS3_PKT0_S9_ifPKiSB_iPKfiiiSD_SD_iiiii.has_dyn_sized_stack, 0
	.set .L_ZN4vllm22paged_attention_kernelIfhLi256ELi32ELi128ELNS_18Fp8KVCacheDataTypeE1ELb1ELi512EEEvPfS2_PT_PKS3_PKT0_S9_ifPKiSB_iPKfiiiSD_SD_iiiii.has_recursion, 0
	.set .L_ZN4vllm22paged_attention_kernelIfhLi256ELi32ELi128ELNS_18Fp8KVCacheDataTypeE1ELb1ELi512EEEvPfS2_PT_PKS3_PKT0_S9_ifPKiSB_iPKfiiiSD_SD_iiiii.has_indirect_call, 0
	.section	.AMDGPU.csdata,"",@progbits
; Function info:
; codeLenInByte = 167568
; TotalNumSgprs: 35
; NumVgprs: 128
; ScratchSize: 3268
; MemoryBound: 0
	.section	.text._ZN4vllm25paged_attention_v2_kernelIfhLi256ELi32ELi128ELNS_18Fp8KVCacheDataTypeE1ELb1ELi512EEEvPfS2_PT_PKS3_PKT0_S9_ifPKiSB_iPKfiiiSD_SD_iiiii,"axG",@progbits,_ZN4vllm25paged_attention_v2_kernelIfhLi256ELi32ELi128ELNS_18Fp8KVCacheDataTypeE1ELb1ELi512EEEvPfS2_PT_PKS3_PKT0_S9_ifPKiSB_iPKfiiiSD_SD_iiiii,comdat
	.protected	_ZN4vllm25paged_attention_v2_kernelIfhLi256ELi32ELi128ELNS_18Fp8KVCacheDataTypeE1ELb1ELi512EEEvPfS2_PT_PKS3_PKT0_S9_ifPKiSB_iPKfiiiSD_SD_iiiii ; -- Begin function _ZN4vllm25paged_attention_v2_kernelIfhLi256ELi32ELi128ELNS_18Fp8KVCacheDataTypeE1ELb1ELi512EEEvPfS2_PT_PKS3_PKT0_S9_ifPKiSB_iPKfiiiSD_SD_iiiii
	.globl	_ZN4vllm25paged_attention_v2_kernelIfhLi256ELi32ELi128ELNS_18Fp8KVCacheDataTypeE1ELb1ELi512EEEvPfS2_PT_PKS3_PKT0_S9_ifPKiSB_iPKfiiiSD_SD_iiiii
	.p2align	8
	.type	_ZN4vllm25paged_attention_v2_kernelIfhLi256ELi32ELi128ELNS_18Fp8KVCacheDataTypeE1ELb1ELi512EEEvPfS2_PT_PKS3_PKT0_S9_ifPKiSB_iPKfiiiSD_SD_iiiii,@function
_ZN4vllm25paged_attention_v2_kernelIfhLi256ELi32ELi128ELNS_18Fp8KVCacheDataTypeE1ELb1ELi512EEEvPfS2_PT_PKS3_PKT0_S9_ifPKiSB_iPKfiiiSD_SD_iiiii: ; @_ZN4vllm25paged_attention_v2_kernelIfhLi256ELi32ELi128ELNS_18Fp8KVCacheDataTypeE1ELb1ELi512EEEvPfS2_PT_PKS3_PKT0_S9_ifPKiSB_iPKfiiiSD_SD_iiiii
; %bb.0:
	s_mov_b32 s14, s8
	s_clause 0x7
	s_load_dwordx4 s[36:39], s[4:5], 0x78
	s_load_dword s8, s[4:5], 0x88
	s_load_dwordx8 s[40:47], s[4:5], 0x0
	s_load_dwordx8 s[24:31], s[4:5], 0x20
	s_load_dwordx2 s[10:11], s[4:5], 0x40
	s_load_dwordx2 s[34:35], s[4:5], 0x50
	s_load_dword s13, s[4:5], 0x48
	s_load_dwordx8 s[16:23], s[4:5], 0x58
	s_add_u32 s0, s0, s9
	s_mov_b32 s32, 0
	s_addc_u32 s1, s1, 0
	v_mov_b32_e32 v31, v0
	s_mov_b32 s12, s6
	s_mov_b32 s15, 29
	s_waitcnt lgkmcnt(0)
	v_mov_b32_e32 v1, s39
	v_mov_b32_e32 v2, s8
	;; [unrolled: 1-line block ×4, first 2 shown]
	buffer_store_dword v1, off, s[0:3], s32
	buffer_store_dword v2, off, s[0:3], s32 offset:4
	v_mov_b32_e32 v1, s41
	v_mov_b32_e32 v2, s42
	;; [unrolled: 1-line block ×29, first 2 shown]
	s_add_u32 s8, s4, 0x90
	s_addc_u32 s9, s5, 0
	s_getpc_b64 s[4:5]
	s_add_u32 s4, s4, _ZN4vllm22paged_attention_kernelIfhLi256ELi32ELi128ELNS_18Fp8KVCacheDataTypeE1ELb1ELi512EEEvPfS2_PT_PKS3_PKT0_S9_ifPKiSB_iPKfiiiSD_SD_iiiii@rel32@lo+4
	s_addc_u32 s5, s5, _ZN4vllm22paged_attention_kernelIfhLi256ELi32ELi128ELNS_18Fp8KVCacheDataTypeE1ELb1ELi512EEEvPfS2_PT_PKS3_PKT0_S9_ifPKiSB_iPKfiiiSD_SD_iiiii@rel32@hi+12
	s_mov_b32 s13, s7
	s_swappc_b64 s[30:31], s[4:5]
	s_endpgm
	.section	.rodata,"a",@progbits
	.p2align	6, 0x0
	.amdhsa_kernel _ZN4vllm25paged_attention_v2_kernelIfhLi256ELi32ELi128ELNS_18Fp8KVCacheDataTypeE1ELb1ELi512EEEvPfS2_PT_PKS3_PKT0_S9_ifPKiSB_iPKfiiiSD_SD_iiiii
		.amdhsa_group_segment_fixed_size 1056
		.amdhsa_private_segment_fixed_size 3268
		.amdhsa_kernarg_size 400
		.amdhsa_user_sgpr_count 6
		.amdhsa_user_sgpr_private_segment_buffer 1
		.amdhsa_user_sgpr_dispatch_ptr 0
		.amdhsa_user_sgpr_queue_ptr 0
		.amdhsa_user_sgpr_kernarg_segment_ptr 1
		.amdhsa_user_sgpr_dispatch_id 0
		.amdhsa_user_sgpr_flat_scratch_init 0
		.amdhsa_user_sgpr_private_segment_size 0
		.amdhsa_wavefront_size32 1
		.amdhsa_uses_dynamic_stack 0
		.amdhsa_system_sgpr_private_segment_wavefront_offset 1
		.amdhsa_system_sgpr_workgroup_id_x 1
		.amdhsa_system_sgpr_workgroup_id_y 1
		.amdhsa_system_sgpr_workgroup_id_z 1
		.amdhsa_system_sgpr_workgroup_info 0
		.amdhsa_system_vgpr_workitem_id 0
		.amdhsa_next_free_vgpr 128
		.amdhsa_next_free_sgpr 48
		.amdhsa_reserve_vcc 1
		.amdhsa_reserve_flat_scratch 0
		.amdhsa_float_round_mode_32 0
		.amdhsa_float_round_mode_16_64 0
		.amdhsa_float_denorm_mode_32 3
		.amdhsa_float_denorm_mode_16_64 3
		.amdhsa_dx10_clamp 1
		.amdhsa_ieee_mode 1
		.amdhsa_fp16_overflow 0
		.amdhsa_workgroup_processor_mode 1
		.amdhsa_memory_ordered 1
		.amdhsa_forward_progress 1
		.amdhsa_shared_vgpr_count 0
		.amdhsa_exception_fp_ieee_invalid_op 0
		.amdhsa_exception_fp_denorm_src 0
		.amdhsa_exception_fp_ieee_div_zero 0
		.amdhsa_exception_fp_ieee_overflow 0
		.amdhsa_exception_fp_ieee_underflow 0
		.amdhsa_exception_fp_ieee_inexact 0
		.amdhsa_exception_int_div_zero 0
	.end_amdhsa_kernel
	.section	.text._ZN4vllm25paged_attention_v2_kernelIfhLi256ELi32ELi128ELNS_18Fp8KVCacheDataTypeE1ELb1ELi512EEEvPfS2_PT_PKS3_PKT0_S9_ifPKiSB_iPKfiiiSD_SD_iiiii,"axG",@progbits,_ZN4vllm25paged_attention_v2_kernelIfhLi256ELi32ELi128ELNS_18Fp8KVCacheDataTypeE1ELb1ELi512EEEvPfS2_PT_PKS3_PKT0_S9_ifPKiSB_iPKfiiiSD_SD_iiiii,comdat
.Lfunc_end244:
	.size	_ZN4vllm25paged_attention_v2_kernelIfhLi256ELi32ELi128ELNS_18Fp8KVCacheDataTypeE1ELb1ELi512EEEvPfS2_PT_PKS3_PKT0_S9_ifPKiSB_iPKfiiiSD_SD_iiiii, .Lfunc_end244-_ZN4vllm25paged_attention_v2_kernelIfhLi256ELi32ELi128ELNS_18Fp8KVCacheDataTypeE1ELb1ELi512EEEvPfS2_PT_PKS3_PKT0_S9_ifPKiSB_iPKfiiiSD_SD_iiiii
                                        ; -- End function
	.set _ZN4vllm25paged_attention_v2_kernelIfhLi256ELi32ELi128ELNS_18Fp8KVCacheDataTypeE1ELb1ELi512EEEvPfS2_PT_PKS3_PKT0_S9_ifPKiSB_iPKfiiiSD_SD_iiiii.num_vgpr, max(32, .L_ZN4vllm22paged_attention_kernelIfhLi256ELi32ELi128ELNS_18Fp8KVCacheDataTypeE1ELb1ELi512EEEvPfS2_PT_PKS3_PKT0_S9_ifPKiSB_iPKfiiiSD_SD_iiiii.num_vgpr)
	.set _ZN4vllm25paged_attention_v2_kernelIfhLi256ELi32ELi128ELNS_18Fp8KVCacheDataTypeE1ELb1ELi512EEEvPfS2_PT_PKS3_PKT0_S9_ifPKiSB_iPKfiiiSD_SD_iiiii.num_agpr, max(0, .L_ZN4vllm22paged_attention_kernelIfhLi256ELi32ELi128ELNS_18Fp8KVCacheDataTypeE1ELb1ELi512EEEvPfS2_PT_PKS3_PKT0_S9_ifPKiSB_iPKfiiiSD_SD_iiiii.num_agpr)
	.set _ZN4vllm25paged_attention_v2_kernelIfhLi256ELi32ELi128ELNS_18Fp8KVCacheDataTypeE1ELb1ELi512EEEvPfS2_PT_PKS3_PKT0_S9_ifPKiSB_iPKfiiiSD_SD_iiiii.numbered_sgpr, max(48, .L_ZN4vllm22paged_attention_kernelIfhLi256ELi32ELi128ELNS_18Fp8KVCacheDataTypeE1ELb1ELi512EEEvPfS2_PT_PKS3_PKT0_S9_ifPKiSB_iPKfiiiSD_SD_iiiii.numbered_sgpr)
	.set _ZN4vllm25paged_attention_v2_kernelIfhLi256ELi32ELi128ELNS_18Fp8KVCacheDataTypeE1ELb1ELi512EEEvPfS2_PT_PKS3_PKT0_S9_ifPKiSB_iPKfiiiSD_SD_iiiii.num_named_barrier, max(0, .L_ZN4vllm22paged_attention_kernelIfhLi256ELi32ELi128ELNS_18Fp8KVCacheDataTypeE1ELb1ELi512EEEvPfS2_PT_PKS3_PKT0_S9_ifPKiSB_iPKfiiiSD_SD_iiiii.num_named_barrier)
	.set _ZN4vllm25paged_attention_v2_kernelIfhLi256ELi32ELi128ELNS_18Fp8KVCacheDataTypeE1ELb1ELi512EEEvPfS2_PT_PKS3_PKT0_S9_ifPKiSB_iPKfiiiSD_SD_iiiii.private_seg_size, 0+max(.L_ZN4vllm22paged_attention_kernelIfhLi256ELi32ELi128ELNS_18Fp8KVCacheDataTypeE1ELb1ELi512EEEvPfS2_PT_PKS3_PKT0_S9_ifPKiSB_iPKfiiiSD_SD_iiiii.private_seg_size)
	.set _ZN4vllm25paged_attention_v2_kernelIfhLi256ELi32ELi128ELNS_18Fp8KVCacheDataTypeE1ELb1ELi512EEEvPfS2_PT_PKS3_PKT0_S9_ifPKiSB_iPKfiiiSD_SD_iiiii.uses_vcc, or(1, .L_ZN4vllm22paged_attention_kernelIfhLi256ELi32ELi128ELNS_18Fp8KVCacheDataTypeE1ELb1ELi512EEEvPfS2_PT_PKS3_PKT0_S9_ifPKiSB_iPKfiiiSD_SD_iiiii.uses_vcc)
	.set _ZN4vllm25paged_attention_v2_kernelIfhLi256ELi32ELi128ELNS_18Fp8KVCacheDataTypeE1ELb1ELi512EEEvPfS2_PT_PKS3_PKT0_S9_ifPKiSB_iPKfiiiSD_SD_iiiii.uses_flat_scratch, or(0, .L_ZN4vllm22paged_attention_kernelIfhLi256ELi32ELi128ELNS_18Fp8KVCacheDataTypeE1ELb1ELi512EEEvPfS2_PT_PKS3_PKT0_S9_ifPKiSB_iPKfiiiSD_SD_iiiii.uses_flat_scratch)
	.set _ZN4vllm25paged_attention_v2_kernelIfhLi256ELi32ELi128ELNS_18Fp8KVCacheDataTypeE1ELb1ELi512EEEvPfS2_PT_PKS3_PKT0_S9_ifPKiSB_iPKfiiiSD_SD_iiiii.has_dyn_sized_stack, or(0, .L_ZN4vllm22paged_attention_kernelIfhLi256ELi32ELi128ELNS_18Fp8KVCacheDataTypeE1ELb1ELi512EEEvPfS2_PT_PKS3_PKT0_S9_ifPKiSB_iPKfiiiSD_SD_iiiii.has_dyn_sized_stack)
	.set _ZN4vllm25paged_attention_v2_kernelIfhLi256ELi32ELi128ELNS_18Fp8KVCacheDataTypeE1ELb1ELi512EEEvPfS2_PT_PKS3_PKT0_S9_ifPKiSB_iPKfiiiSD_SD_iiiii.has_recursion, or(0, .L_ZN4vllm22paged_attention_kernelIfhLi256ELi32ELi128ELNS_18Fp8KVCacheDataTypeE1ELb1ELi512EEEvPfS2_PT_PKS3_PKT0_S9_ifPKiSB_iPKfiiiSD_SD_iiiii.has_recursion)
	.set _ZN4vllm25paged_attention_v2_kernelIfhLi256ELi32ELi128ELNS_18Fp8KVCacheDataTypeE1ELb1ELi512EEEvPfS2_PT_PKS3_PKT0_S9_ifPKiSB_iPKfiiiSD_SD_iiiii.has_indirect_call, or(0, .L_ZN4vllm22paged_attention_kernelIfhLi256ELi32ELi128ELNS_18Fp8KVCacheDataTypeE1ELb1ELi512EEEvPfS2_PT_PKS3_PKT0_S9_ifPKiSB_iPKfiiiSD_SD_iiiii.has_indirect_call)
	.section	.AMDGPU.csdata,"",@progbits
; Kernel info:
; codeLenInByte = 292
; TotalNumSgprs: 50
; NumVgprs: 128
; ScratchSize: 3268
; MemoryBound: 0
; FloatMode: 240
; IeeeMode: 1
; LDSByteSize: 1056 bytes/workgroup (compile time only)
; SGPRBlocks: 0
; VGPRBlocks: 15
; NumSGPRsForWavesPerEU: 50
; NumVGPRsForWavesPerEU: 128
; Occupancy: 8
; WaveLimiterHint : 1
; COMPUTE_PGM_RSRC2:SCRATCH_EN: 1
; COMPUTE_PGM_RSRC2:USER_SGPR: 6
; COMPUTE_PGM_RSRC2:TRAP_HANDLER: 0
; COMPUTE_PGM_RSRC2:TGID_X_EN: 1
; COMPUTE_PGM_RSRC2:TGID_Y_EN: 1
; COMPUTE_PGM_RSRC2:TGID_Z_EN: 1
; COMPUTE_PGM_RSRC2:TIDIG_COMP_CNT: 0
	.section	.text._ZN4vllm25paged_attention_v2_kernelIfhLi32ELi32ELi128ELNS_18Fp8KVCacheDataTypeE1ELb0ELi512EEEvPfS2_PT_PKS3_PKT0_S9_ifPKiSB_iPKfiiiSD_SD_iiiii,"axG",@progbits,_ZN4vllm25paged_attention_v2_kernelIfhLi32ELi32ELi128ELNS_18Fp8KVCacheDataTypeE1ELb0ELi512EEEvPfS2_PT_PKS3_PKT0_S9_ifPKiSB_iPKfiiiSD_SD_iiiii,comdat
	.protected	_ZN4vllm25paged_attention_v2_kernelIfhLi32ELi32ELi128ELNS_18Fp8KVCacheDataTypeE1ELb0ELi512EEEvPfS2_PT_PKS3_PKT0_S9_ifPKiSB_iPKfiiiSD_SD_iiiii ; -- Begin function _ZN4vllm25paged_attention_v2_kernelIfhLi32ELi32ELi128ELNS_18Fp8KVCacheDataTypeE1ELb0ELi512EEEvPfS2_PT_PKS3_PKT0_S9_ifPKiSB_iPKfiiiSD_SD_iiiii
	.globl	_ZN4vllm25paged_attention_v2_kernelIfhLi32ELi32ELi128ELNS_18Fp8KVCacheDataTypeE1ELb0ELi512EEEvPfS2_PT_PKS3_PKT0_S9_ifPKiSB_iPKfiiiSD_SD_iiiii
	.p2align	8
	.type	_ZN4vllm25paged_attention_v2_kernelIfhLi32ELi32ELi128ELNS_18Fp8KVCacheDataTypeE1ELb0ELi512EEEvPfS2_PT_PKS3_PKT0_S9_ifPKiSB_iPKfiiiSD_SD_iiiii,@function
_ZN4vllm25paged_attention_v2_kernelIfhLi32ELi32ELi128ELNS_18Fp8KVCacheDataTypeE1ELb0ELi512EEEvPfS2_PT_PKS3_PKT0_S9_ifPKiSB_iPKfiiiSD_SD_iiiii: ; @_ZN4vllm25paged_attention_v2_kernelIfhLi32ELi32ELi128ELNS_18Fp8KVCacheDataTypeE1ELb0ELi512EEEvPfS2_PT_PKS3_PKT0_S9_ifPKiSB_iPKfiiiSD_SD_iiiii
; %bb.0:
	s_load_dwordx2 s[0:1], s[4:5], 0x40
	s_mov_b32 s28, s7
	s_ashr_i32 s29, s7, 31
	s_lshl_b64 s[2:3], s[28:29], 2
	s_waitcnt lgkmcnt(0)
	s_add_u32 s0, s0, s2
	s_addc_u32 s1, s1, s3
	s_lshl_b32 s33, s8, 9
	s_load_dword s29, s[0:1], 0x0
	s_waitcnt lgkmcnt(0)
	s_cmp_ge_i32 s33, s29
	s_cbranch_scc1 .LBB245_586
; %bb.1:
	s_clause 0x1
	s_load_dword s9, s[4:5], 0x90
	s_load_dwordx2 s[2:3], s[4:5], 0x30
	s_mov_b32 s36, 0
	s_waitcnt lgkmcnt(0)
	s_abs_i32 s10, s9
	s_abs_i32 s0, s2
	s_xor_b32 s2, s9, s2
	v_cvt_f32_u32_e32 v1, s0
	s_sub_i32 s7, 0, s0
	s_ashr_i32 s2, s2, 31
	v_rcp_iflag_f32_e32 v1, v1
	v_mul_f32_e32 v1, 0x4f7ffffe, v1
	v_cvt_u32_f32_e32 v1, v1
	v_readfirstlane_b32 s1, v1
	s_mul_i32 s7, s7, s1
	s_mul_hi_u32 s7, s1, s7
	s_add_i32 s1, s1, s7
	s_mul_hi_u32 s1, s10, s1
	s_mul_i32 s7, s1, s0
	s_sub_i32 s7, s10, s7
	s_add_i32 s10, s1, 1
	s_sub_i32 s11, s7, s0
	s_cmp_ge_u32 s7, s0
	s_cselect_b32 s1, s10, s1
	s_cselect_b32 s7, s11, s7
	s_add_i32 s10, s1, 1
	s_cmp_ge_u32 s7, s0
	s_cselect_b32 s0, s10, s1
	s_abs_i32 s17, s6
	s_xor_b32 s0, s0, s2
	s_sub_i32 s10, s0, s2
	s_load_dwordx2 s[0:1], s[4:5], 0x50
	s_abs_i32 s2, s10
	v_cvt_f32_u32_e32 v1, s2
	s_sub_i32 s11, 0, s2
	v_rcp_iflag_f32_e32 v1, v1
	v_mul_f32_e32 v1, 0x4f7ffffe, v1
	v_cvt_u32_f32_e32 v1, v1
	v_readfirstlane_b32 s7, v1
	s_mul_i32 s11, s11, s7
	s_mul_hi_u32 s11, s7, s11
	s_add_i32 s7, s7, s11
	s_waitcnt lgkmcnt(0)
	s_cmp_eq_u64 s[0:1], 0
	s_mul_hi_u32 s16, s17, s7
	s_cbranch_scc1 .LBB245_3
; %bb.2:
	s_ashr_i32 s7, s6, 31
	s_lshl_b64 s[12:13], s[6:7], 2
	s_add_u32 s0, s0, s12
	s_addc_u32 s1, s1, s13
	s_load_dword s36, s[0:1], 0x0
.LBB245_3:
	s_clause 0x1
	s_load_dwordx2 s[26:27], s[4:5], 0x38
	s_load_dwordx4 s[12:15], s[4:5], 0x58
	s_ashr_i32 s0, s6, 31
	s_ashr_i32 s1, s10, 31
	s_lshl_b32 s10, s6, 5
	s_mov_b32 s7, exec_lo
	v_cmpx_gt_u32_e32 8, v0
	s_cbranch_execz .LBB245_5
; %bb.4:
	s_load_dwordx2 s[18:19], s[4:5], 0x18
	s_waitcnt lgkmcnt(0)
	s_mul_i32 s20, s12, s28
	v_lshlrev_b32_e32 v5, 4, v0
	s_ashr_i32 s21, s20, 31
	s_lshl_b64 s[20:21], s[20:21], 2
	s_add_u32 s12, s18, s20
	s_addc_u32 s15, s19, s21
	s_ashr_i32 s11, s10, 31
	s_lshl_b64 s[18:19], s[10:11], 2
	s_add_u32 s18, s12, s18
	s_addc_u32 s19, s15, s19
	global_load_dwordx4 v[1:4], v5, s[18:19]
	s_waitcnt vmcnt(0)
	ds_write_b128 v5, v[1:4]
.LBB245_5:
	s_or_b32 exec_lo, exec_lo, s7
	s_add_i32 s7, s29, 31
	s_waitcnt lgkmcnt(0)
	s_lshl_b32 s15, s8, 4
	s_ashr_i32 s11, s7, 31
	s_xor_b32 s0, s0, s1
	s_lshr_b32 s11, s11, 27
	s_mul_i32 s1, s16, s2
	s_add_i32 s7, s7, s11
	s_add_i32 s11, s15, 16
	s_ashr_i32 s12, s7, 5
	s_sub_i32 s1, s17, s1
	s_clause 0x3
	s_load_dwordx4 s[20:23], s[4:5], 0x0
	s_load_dwordx2 s[24:25], s[4:5], 0x10
	s_load_dwordx2 s[30:31], s[4:5], 0x28
	s_load_dword s34, s[4:5], 0x48
	s_min_i32 s11, s11, s12
	s_add_i32 s7, s16, 1
	s_sub_i32 s17, s1, s2
	s_cmp_ge_u32 s1, s2
	v_lshrrev_b32_e32 v109, 5, v0
	s_cselect_b32 s35, s7, s16
	s_cselect_b32 s1, s17, s1
	s_clause 0x1
	s_load_dword s7, s[4:5], 0x98
	s_load_dwordx4 s[16:19], s[4:5], 0x68
	s_add_i32 s37, s35, 1
	s_cmp_ge_u32 s1, s2
	v_add_nc_u32_e32 v33, s15, v109
	v_and_b32_e32 v110, 31, v0
	s_cselect_b32 s1, s37, s35
	v_mov_b32_e32 v112, 0xff7fffff
	s_xor_b32 s1, s1, s0
	v_ashrrev_i32_e32 v34, 31, v33
	s_sub_i32 s1, s1, s0
	v_cmp_gt_i32_e64 s0, s11, v33
	v_lshlrev_b32_e32 v111, 2, v110
	s_waitcnt lgkmcnt(0)
	s_mul_i32 s34, s34, s28
	s_mul_i32 s14, s1, s14
	s_ashr_i32 s35, s34, 31
	s_barrier
	buffer_gl0_inv
	s_and_saveexec_b32 s37, s0
	s_cbranch_execz .LBB245_265
; %bb.6:
	s_load_dwordx2 s[38:39], s[4:5], 0x20
	v_mov_b32_e32 v36, 0
	s_load_dword s4, s[16:17], 0x0
	v_lshlrev_b32_e32 v35, 4, v110
	v_lshlrev_b32_e32 v37, 5, v109
	ds_read_b128 v[1:4], v36
	ds_read_b128 v[5:8], v36 offset:16
	ds_read_b128 v[9:12], v36 offset:32
	;; [unrolled: 1-line block ×7, first 2 shown]
	s_ashr_i32 s1, s14, 31
	v_lshlrev_b64 v[39:40], 2, v[33:34]
	v_add3_u32 v113, s33, v37, v110
	v_lshl_or_b32 v41, v109, 7, v111
	v_cmp_neq_f32_e64 vcc_lo, s36, 0
	v_mov_b32_e32 v112, 0xff7fffff
	v_mov_b32_e32 v115, 0x80
	v_bfrev_b32_e32 v42, 1
	v_add_nc_u32_e32 v114, 0xa0, v41
	v_mov_b32_e32 v116, 0xffff
	v_mov_b32_e32 v44, 0x7f800001
	;; [unrolled: 1-line block ×4, first 2 shown]
	s_waitcnt lgkmcnt(0)
	s_add_u32 s2, s38, s14
	s_addc_u32 s1, s39, s1
	v_add_co_u32 v37, s2, s2, v35
	s_lshl_b64 s[16:17], s[34:35], 2
	s_sub_i32 s5, 1, s29
	v_add_co_ci_u32_e64 v38, null, s1, 0, s2
	s_add_u32 s1, s26, s16
	s_addc_u32 s2, s27, s17
	v_add_co_u32 v39, s1, s1, v39
	v_add_co_ci_u32_e64 v40, null, s2, v40, s1
	v_mov_b32_e32 v119, 24
	v_mov_b32_e32 v120, v33
	s_mov_b32 s17, s13
	s_mov_b32 s16, 0
	;; [unrolled: 1-line block ×3, first 2 shown]
	s_branch .LBB245_11
.LBB245_7:                              ;   in Loop: Header=BB245_11 Depth=1
	s_or_b32 exec_lo, exec_lo, s41
	v_lshlrev_b32_sdwa v43, v119, v121 dst_sel:DWORD dst_unused:UNUSED_PAD src0_sel:DWORD src1_sel:BYTE_3
	v_lshlrev_b32_e32 v35, 20, v35
	v_lshl_add_u32 v41, v41, 23, 0x3c000000
	v_mov_b32_e32 v107, v36
	v_and_b32_e32 v43, 0x80000000, v43
	v_or3_b32 v108, v35, v43, v41
.LBB245_8:                              ;   in Loop: Header=BB245_11 Depth=1
	s_or_b32 exec_lo, exec_lo, s40
.LBB245_9:                              ;   in Loop: Header=BB245_11 Depth=1
	s_or_b32 exec_lo, exec_lo, s39
.LBB245_10:                             ;   in Loop: Header=BB245_11 Depth=1
	s_or_b32 exec_lo, exec_lo, s2
	v_or_b32_e32 v54, v56, v54
	v_or_b32_e32 v53, v55, v53
	;; [unrolled: 1-line block ×5, first 2 shown]
	v_mul_f32_e32 v54, s38, v54
	v_mul_f32_e32 v53, s4, v53
	v_or_b32_e32 v64, v66, v64
	v_or_b32_e32 v63, v65, v63
	;; [unrolled: 1-line block ×5, first 2 shown]
	v_mul_f32_e32 v49, s4, v59
	v_mul_f32_e32 v46, s38, v46
	;; [unrolled: 1-line block ×5, first 2 shown]
	v_or_b32_e32 v72, v74, v72
	v_or_b32_e32 v71, v73, v71
	v_mul_f32_e32 v64, s38, v64
	v_mul_f32_e32 v63, s4, v63
	v_or_b32_e32 v67, v69, v67
	v_mul_f32_e32 v56, s38, v56
	v_mul_f32_e32 v48, s4, v48
	;; [unrolled: 1-line block ×3, first 2 shown]
	v_fmac_f32_e32 v50, v1, v45
	v_fmac_f32_e32 v51, v2, v46
	v_or_b32_e32 v80, v82, v80
	v_or_b32_e32 v79, v81, v79
	v_mul_f32_e32 v72, s38, v72
	v_or_b32_e32 v75, v77, v75
	v_mul_f32_e32 v66, s4, v71
	;; [unrolled: 2-line block ×3, first 2 shown]
	v_mul_f32_e32 v47, s38, v47
	v_mul_f32_e32 v46, v8, v56
	v_fmac_f32_e32 v49, v3, v48
	v_fmac_f32_e32 v50, v9, v63
	;; [unrolled: 1-line block ×3, first 2 shown]
	v_or_b32_e32 v88, v90, v88
	v_or_b32_e32 v87, v89, v87
	;; [unrolled: 1-line block ×4, first 2 shown]
	v_mul_f32_e32 v80, s38, v80
	v_mul_f32_e32 v74, s4, v79
	v_or_b32_e32 v73, v78, v76
	v_mul_f32_e32 v71, s4, v75
	v_mul_f32_e32 v55, s38, v68
	v_fmac_f32_e32 v46, v4, v47
	v_fmac_f32_e32 v49, v11, v60
	;; [unrolled: 1-line block ×4, first 2 shown]
	v_or_b32_e32 v35, v98, v96
	v_or_b32_e32 v41, v97, v95
	;; [unrolled: 1-line block ×3, first 2 shown]
	v_mul_f32_e32 v88, s38, v88
	v_mul_f32_e32 v87, s4, v87
	;; [unrolled: 1-line block ×5, first 2 shown]
	v_fmac_f32_e32 v46, v12, v55
	v_fmac_f32_e32 v49, v15, v71
	;; [unrolled: 1-line block ×4, first 2 shown]
	v_or_b32_e32 v95, v101, v99
	v_mul_f32_e32 v35, s38, v35
	v_mul_f32_e32 v41, s4, v41
	v_or_b32_e32 v89, v94, v92
	v_mul_f32_e32 v82, s4, v91
	v_or_b32_e32 v53, v104, v58
	v_or_b32_e32 v45, v103, v57
	v_fmac_f32_e32 v46, v16, v65
	v_fmac_f32_e32 v49, v19, v81
	;; [unrolled: 1-line block ×4, first 2 shown]
	v_or_b32_e32 v43, v102, v100
	v_mul_f32_e32 v90, s4, v95
	v_mul_f32_e32 v89, s38, v89
	;; [unrolled: 1-line block ×4, first 2 shown]
	v_or_b32_e32 v53, v107, v105
	v_fmac_f32_e32 v46, v20, v79
	v_fmac_f32_e32 v49, v23, v82
	;; [unrolled: 1-line block ×4, first 2 shown]
	v_mul_f32_e32 v43, s38, v43
	v_add_nc_u32_e32 v52, s5, v113
	v_or_b32_e32 v47, v108, v106
	v_mul_f32_e32 v35, s4, v53
	v_fmac_f32_e32 v46, v24, v89
	v_fmac_f32_e32 v49, v27, v90
	;; [unrolled: 1-line block ×4, first 2 shown]
	v_cvt_f32_i32_e32 v41, v52
	v_mul_f32_e32 v45, s38, v47
	v_fmac_f32_e32 v46, v28, v43
	v_fmac_f32_e32 v49, v31, v35
	v_add_f32_e32 v35, v50, v51
	v_mul_f32_e32 v41, s36, v41
	v_cmp_gt_i32_e64 s1, s29, v113
	v_fmac_f32_e32 v46, v32, v45
	v_add_nc_u32_e32 v120, 4, v120
	v_add_f32_e32 v35, v35, v49
	v_cndmask_b32_e32 v41, 0, v41, vcc_lo
	v_add_co_u32 v39, s2, v39, 16
	v_add_nc_u32_e32 v113, 0x80, v113
	v_add_f32_e32 v35, v46, v35
	v_add_co_ci_u32_e64 v40, null, 0, v40, s2
	v_fmac_f32_e32 v41, s3, v35
	v_max_f32_e32 v35, v112, v112
	v_cndmask_b32_e64 v43, 0, v41, s1
	v_max_f32_e32 v35, v35, v41
	ds_write_b32 v114, v43
	v_cndmask_b32_e64 v112, v112, v35, s1
	v_cmp_le_i32_e64 s1, s11, v120
	v_add_nc_u32_e32 v114, 0x200, v114
	s_or_b32 s16, s1, s16
	s_andn2_b32 exec_lo, exec_lo, s16
	s_cbranch_execz .LBB245_264
.LBB245_11:                             ; =>This Inner Loop Header: Depth=1
	global_load_dword v35, v[39:40], off
	v_mov_b32_e32 v47, 0
	v_mov_b32_e32 v45, 0
	v_mov_b32_e32 v48, 0
	v_mov_b32_e32 v46, 0
	s_waitcnt vmcnt(0)
	v_mad_i64_i32 v[57:58], null, v35, s17, v[37:38]
	global_load_dword v53, v[57:58], off
	s_waitcnt vmcnt(0)
	v_cmp_ne_u16_sdwa s1, v53, v36 src0_sel:BYTE_0 src1_sel:DWORD
	s_and_saveexec_b32 s2, s1
	s_cbranch_execz .LBB245_19
; %bb.12:                               ;   in Loop: Header=BB245_11 Depth=1
	v_bfrev_b32_e32 v45, 1
	v_mov_b32_e32 v46, 0
	v_cmp_ne_u16_sdwa s1, v53, v115 src0_sel:BYTE_0 src1_sel:DWORD
	s_and_saveexec_b32 s39, s1
	s_cbranch_execz .LBB245_18
; %bb.13:                               ;   in Loop: Header=BB245_11 Depth=1
	v_mov_b32_e32 v45, 0x7f800001
	v_and_b32_e32 v43, 0x7f, v53
	v_mov_b32_e32 v46, 0
	s_mov_b32 s40, exec_lo
	v_cmpx_ne_u32_e32 0x7f, v43
	s_cbranch_execz .LBB245_17
; %bb.14:                               ;   in Loop: Header=BB245_11 Depth=1
	v_and_b32_e32 v35, 7, v53
	v_lshrrev_b32_e32 v41, 3, v43
	s_mov_b32 s41, exec_lo
	v_cmpx_gt_u32_e32 8, v43
; %bb.15:                               ;   in Loop: Header=BB245_11 Depth=1
	v_ffbh_u32_e32 v41, v35
	v_min_u32_e32 v41, 32, v41
	v_subrev_nc_u32_e32 v43, 28, v41
	v_sub_nc_u32_e32 v41, 29, v41
	v_lshlrev_b64 v[45:46], v43, v[35:36]
	v_and_b32_e32 v35, 7, v45
; %bb.16:                               ;   in Loop: Header=BB245_11 Depth=1
	s_or_b32 exec_lo, exec_lo, s41
	v_lshlrev_b32_e32 v43, 24, v53
	v_lshlrev_b32_e32 v35, 20, v35
	v_lshl_add_u32 v41, v41, 23, 0x3c000000
	v_and_b32_e32 v43, 0x80000000, v43
	v_or3_b32 v35, v35, v43, v41
	v_mov_b32_e32 v46, v36
	v_mov_b32_e32 v45, v35
.LBB245_17:                             ;   in Loop: Header=BB245_11 Depth=1
	s_or_b32 exec_lo, exec_lo, s40
.LBB245_18:                             ;   in Loop: Header=BB245_11 Depth=1
	s_or_b32 exec_lo, exec_lo, s39
.LBB245_19:                             ;   in Loop: Header=BB245_11 Depth=1
	s_or_b32 exec_lo, exec_lo, s2
	v_cmp_ne_u16_sdwa s1, v53, v36 src0_sel:BYTE_1 src1_sel:DWORD
	s_and_saveexec_b32 s2, s1
	s_cbranch_execz .LBB245_27
; %bb.20:                               ;   in Loop: Header=BB245_11 Depth=1
	v_mov_b32_e32 v41, v36
	v_mov_b32_e32 v48, v42
	v_cmp_ne_u16_sdwa s1, v53, v115 src0_sel:BYTE_1 src1_sel:DWORD
	v_mov_b32_e32 v47, v41
	s_and_saveexec_b32 s39, s1
	s_cbranch_execz .LBB245_26
; %bb.21:                               ;   in Loop: Header=BB245_11 Depth=1
	v_and_b32_sdwa v35, v116, v53 dst_sel:DWORD dst_unused:UNUSED_PAD src0_sel:DWORD src1_sel:BYTE_1
	v_mov_b32_e32 v43, v36
	v_mov_b32_e32 v48, v44
	s_mov_b32 s40, exec_lo
	v_and_b32_e32 v49, 0x7f, v35
	v_mov_b32_e32 v47, v43
	v_cmpx_ne_u32_e32 0x7f, v49
	s_cbranch_execz .LBB245_25
; %bb.22:                               ;   in Loop: Header=BB245_11 Depth=1
	v_and_b32_e32 v35, 7, v35
	v_lshrrev_b32_e32 v41, 3, v49
	s_mov_b32 s41, exec_lo
	v_cmpx_gt_u32_e32 8, v49
; %bb.23:                               ;   in Loop: Header=BB245_11 Depth=1
	v_ffbh_u32_e32 v41, v35
	v_min_u32_e32 v41, 32, v41
	v_subrev_nc_u32_e32 v43, 28, v41
	v_sub_nc_u32_e32 v41, 29, v41
	v_lshlrev_b64 v[47:48], v43, v[35:36]
	v_and_b32_e32 v35, 7, v47
; %bb.24:                               ;   in Loop: Header=BB245_11 Depth=1
	s_or_b32 exec_lo, exec_lo, s41
	v_lshlrev_b32_e32 v43, 16, v53
	v_lshlrev_b32_e32 v35, 20, v35
	v_lshl_add_u32 v41, v41, 23, 0x3c000000
	v_mov_b32_e32 v47, v36
	v_and_b32_e32 v43, 0x80000000, v43
	v_or3_b32 v48, v35, v43, v41
.LBB245_25:                             ;   in Loop: Header=BB245_11 Depth=1
	s_or_b32 exec_lo, exec_lo, s40
.LBB245_26:                             ;   in Loop: Header=BB245_11 Depth=1
	s_or_b32 exec_lo, exec_lo, s39
.LBB245_27:                             ;   in Loop: Header=BB245_11 Depth=1
	s_or_b32 exec_lo, exec_lo, s2
	v_mov_b32_e32 v51, 0
	v_mov_b32_e32 v49, 0
	v_and_b32_sdwa v35, v53, v117 dst_sel:DWORD dst_unused:UNUSED_PAD src0_sel:WORD_1 src1_sel:DWORD
	v_mov_b32_e32 v52, 0
	v_mov_b32_e32 v50, 0
	s_mov_b32 s2, exec_lo
	v_cmpx_ne_u16_e32 0, v35
	s_cbranch_execz .LBB245_35
; %bb.28:                               ;   in Loop: Header=BB245_11 Depth=1
	v_bfrev_b32_e32 v49, 1
	v_mov_b32_e32 v50, 0
	s_mov_b32 s39, exec_lo
	v_cmpx_ne_u16_e32 0x80, v35
	s_cbranch_execz .LBB245_34
; %bb.29:                               ;   in Loop: Header=BB245_11 Depth=1
	v_mov_b32_e32 v49, 0x7f800001
	v_bfe_u32 v43, v53, 16, 7
	v_mov_b32_e32 v50, 0
	s_mov_b32 s40, exec_lo
	v_cmpx_ne_u32_e32 0x7f, v43
	s_cbranch_execz .LBB245_33
; %bb.30:                               ;   in Loop: Header=BB245_11 Depth=1
	v_and_b32_sdwa v35, v53, v118 dst_sel:DWORD dst_unused:UNUSED_PAD src0_sel:WORD_1 src1_sel:DWORD
	v_lshrrev_b32_e32 v41, 3, v43
	s_mov_b32 s41, exec_lo
	v_cmpx_gt_u32_e32 8, v43
; %bb.31:                               ;   in Loop: Header=BB245_11 Depth=1
	v_ffbh_u32_e32 v41, v35
	v_min_u32_e32 v41, 32, v41
	v_subrev_nc_u32_e32 v43, 28, v41
	v_sub_nc_u32_e32 v41, 29, v41
	v_lshlrev_b64 v[49:50], v43, v[35:36]
	v_and_b32_e32 v35, 7, v49
; %bb.32:                               ;   in Loop: Header=BB245_11 Depth=1
	s_or_b32 exec_lo, exec_lo, s41
	v_lshlrev_b32_sdwa v43, v119, v53 dst_sel:DWORD dst_unused:UNUSED_PAD src0_sel:DWORD src1_sel:WORD_1
	v_lshlrev_b32_e32 v35, 20, v35
	v_lshl_add_u32 v41, v41, 23, 0x3c000000
	v_and_b32_e32 v43, 0x80000000, v43
	v_or3_b32 v35, v35, v43, v41
	v_mov_b32_e32 v50, v36
	v_mov_b32_e32 v49, v35
.LBB245_33:                             ;   in Loop: Header=BB245_11 Depth=1
	s_or_b32 exec_lo, exec_lo, s40
.LBB245_34:                             ;   in Loop: Header=BB245_11 Depth=1
	s_or_b32 exec_lo, exec_lo, s39
.LBB245_35:                             ;   in Loop: Header=BB245_11 Depth=1
	s_or_b32 exec_lo, exec_lo, s2
	s_mov_b32 s2, exec_lo
	v_cmpx_lt_u32_e32 0xffffff, v53
	s_cbranch_execz .LBB245_43
; %bb.36:                               ;   in Loop: Header=BB245_11 Depth=1
	v_mov_b32_e32 v41, v36
	v_mov_b32_e32 v52, v42
	v_cmp_ne_u32_sdwa s1, v53, v115 src0_sel:BYTE_3 src1_sel:DWORD
	v_mov_b32_e32 v51, v41
	s_and_saveexec_b32 s39, s1
	s_cbranch_execz .LBB245_42
; %bb.37:                               ;   in Loop: Header=BB245_11 Depth=1
	v_mov_b32_e32 v43, v36
	v_mov_b32_e32 v52, v44
	v_bfe_u32 v54, v53, 24, 7
	s_mov_b32 s40, exec_lo
	v_mov_b32_e32 v51, v43
	v_cmpx_ne_u32_e32 0x7f, v54
	s_cbranch_execz .LBB245_41
; %bb.38:                               ;   in Loop: Header=BB245_11 Depth=1
	v_and_b32_sdwa v35, v53, v118 dst_sel:DWORD dst_unused:UNUSED_PAD src0_sel:BYTE_3 src1_sel:DWORD
	v_lshrrev_b32_e32 v41, 3, v54
	s_mov_b32 s41, exec_lo
	v_cmpx_gt_u32_e32 8, v54
; %bb.39:                               ;   in Loop: Header=BB245_11 Depth=1
	v_ffbh_u32_e32 v41, v35
	v_min_u32_e32 v41, 32, v41
	v_subrev_nc_u32_e32 v43, 28, v41
	v_sub_nc_u32_e32 v41, 29, v41
	v_lshlrev_b64 v[51:52], v43, v[35:36]
	v_and_b32_e32 v35, 7, v51
; %bb.40:                               ;   in Loop: Header=BB245_11 Depth=1
	s_or_b32 exec_lo, exec_lo, s41
	v_lshlrev_b32_sdwa v43, v119, v53 dst_sel:DWORD dst_unused:UNUSED_PAD src0_sel:DWORD src1_sel:BYTE_3
	v_lshlrev_b32_e32 v35, 20, v35
	v_lshl_add_u32 v41, v41, 23, 0x3c000000
	v_mov_b32_e32 v51, v36
	v_and_b32_e32 v43, 0x80000000, v43
	v_or3_b32 v52, v35, v43, v41
.LBB245_41:                             ;   in Loop: Header=BB245_11 Depth=1
	s_or_b32 exec_lo, exec_lo, s40
.LBB245_42:                             ;   in Loop: Header=BB245_11 Depth=1
	s_or_b32 exec_lo, exec_lo, s39
.LBB245_43:                             ;   in Loop: Header=BB245_11 Depth=1
	s_or_b32 exec_lo, exec_lo, s2
	global_load_dword v63, v[57:58], off offset:4
	v_mov_b32_e32 v55, 0
	v_mov_b32_e32 v53, 0
	v_mov_b32_e32 v56, 0
	v_mov_b32_e32 v54, 0
	s_waitcnt vmcnt(0)
	v_cmp_ne_u16_sdwa s1, v63, v36 src0_sel:BYTE_0 src1_sel:DWORD
	s_and_saveexec_b32 s2, s1
	s_cbranch_execz .LBB245_51
; %bb.44:                               ;   in Loop: Header=BB245_11 Depth=1
	v_bfrev_b32_e32 v53, 1
	v_mov_b32_e32 v54, 0
	v_cmp_ne_u16_sdwa s1, v63, v115 src0_sel:BYTE_0 src1_sel:DWORD
	s_and_saveexec_b32 s39, s1
	s_cbranch_execz .LBB245_50
; %bb.45:                               ;   in Loop: Header=BB245_11 Depth=1
	v_mov_b32_e32 v53, 0x7f800001
	v_and_b32_e32 v43, 0x7f, v63
	v_mov_b32_e32 v54, 0
	s_mov_b32 s40, exec_lo
	v_cmpx_ne_u32_e32 0x7f, v43
	s_cbranch_execz .LBB245_49
; %bb.46:                               ;   in Loop: Header=BB245_11 Depth=1
	v_and_b32_e32 v35, 7, v63
	v_lshrrev_b32_e32 v41, 3, v43
	s_mov_b32 s41, exec_lo
	v_cmpx_gt_u32_e32 8, v43
; %bb.47:                               ;   in Loop: Header=BB245_11 Depth=1
	v_ffbh_u32_e32 v41, v35
	v_min_u32_e32 v41, 32, v41
	v_subrev_nc_u32_e32 v43, 28, v41
	v_sub_nc_u32_e32 v41, 29, v41
	v_lshlrev_b64 v[53:54], v43, v[35:36]
	v_and_b32_e32 v35, 7, v53
; %bb.48:                               ;   in Loop: Header=BB245_11 Depth=1
	s_or_b32 exec_lo, exec_lo, s41
	v_lshlrev_b32_e32 v43, 24, v63
	v_lshlrev_b32_e32 v35, 20, v35
	v_lshl_add_u32 v41, v41, 23, 0x3c000000
	v_and_b32_e32 v43, 0x80000000, v43
	v_or3_b32 v35, v35, v43, v41
	v_mov_b32_e32 v54, v36
	v_mov_b32_e32 v53, v35
.LBB245_49:                             ;   in Loop: Header=BB245_11 Depth=1
	s_or_b32 exec_lo, exec_lo, s40
.LBB245_50:                             ;   in Loop: Header=BB245_11 Depth=1
	s_or_b32 exec_lo, exec_lo, s39
.LBB245_51:                             ;   in Loop: Header=BB245_11 Depth=1
	s_or_b32 exec_lo, exec_lo, s2
	v_cmp_ne_u16_sdwa s1, v63, v36 src0_sel:BYTE_1 src1_sel:DWORD
	s_and_saveexec_b32 s2, s1
	s_cbranch_execz .LBB245_59
; %bb.52:                               ;   in Loop: Header=BB245_11 Depth=1
	v_mov_b32_e32 v41, v36
	v_mov_b32_e32 v56, v42
	v_cmp_ne_u16_sdwa s1, v63, v115 src0_sel:BYTE_1 src1_sel:DWORD
	v_mov_b32_e32 v55, v41
	s_and_saveexec_b32 s39, s1
	s_cbranch_execz .LBB245_58
; %bb.53:                               ;   in Loop: Header=BB245_11 Depth=1
	v_and_b32_sdwa v35, v116, v63 dst_sel:DWORD dst_unused:UNUSED_PAD src0_sel:DWORD src1_sel:BYTE_1
	v_mov_b32_e32 v43, v36
	v_mov_b32_e32 v56, v44
	s_mov_b32 s40, exec_lo
	v_and_b32_e32 v59, 0x7f, v35
	v_mov_b32_e32 v55, v43
	v_cmpx_ne_u32_e32 0x7f, v59
	s_cbranch_execz .LBB245_57
; %bb.54:                               ;   in Loop: Header=BB245_11 Depth=1
	v_and_b32_e32 v35, 7, v35
	v_lshrrev_b32_e32 v41, 3, v59
	s_mov_b32 s41, exec_lo
	v_cmpx_gt_u32_e32 8, v59
; %bb.55:                               ;   in Loop: Header=BB245_11 Depth=1
	v_ffbh_u32_e32 v41, v35
	v_min_u32_e32 v41, 32, v41
	v_subrev_nc_u32_e32 v43, 28, v41
	v_sub_nc_u32_e32 v41, 29, v41
	v_lshlrev_b64 v[55:56], v43, v[35:36]
	v_and_b32_e32 v35, 7, v55
; %bb.56:                               ;   in Loop: Header=BB245_11 Depth=1
	s_or_b32 exec_lo, exec_lo, s41
	v_lshlrev_b32_e32 v43, 16, v63
	v_lshlrev_b32_e32 v35, 20, v35
	v_lshl_add_u32 v41, v41, 23, 0x3c000000
	v_mov_b32_e32 v55, v36
	v_and_b32_e32 v43, 0x80000000, v43
	v_or3_b32 v56, v35, v43, v41
.LBB245_57:                             ;   in Loop: Header=BB245_11 Depth=1
	s_or_b32 exec_lo, exec_lo, s40
.LBB245_58:                             ;   in Loop: Header=BB245_11 Depth=1
	s_or_b32 exec_lo, exec_lo, s39
.LBB245_59:                             ;   in Loop: Header=BB245_11 Depth=1
	s_or_b32 exec_lo, exec_lo, s2
	v_mov_b32_e32 v61, 0
	v_mov_b32_e32 v59, 0
	v_and_b32_sdwa v35, v63, v117 dst_sel:DWORD dst_unused:UNUSED_PAD src0_sel:WORD_1 src1_sel:DWORD
	v_mov_b32_e32 v62, 0
	v_mov_b32_e32 v60, 0
	s_mov_b32 s2, exec_lo
	v_cmpx_ne_u16_e32 0, v35
	s_cbranch_execz .LBB245_67
; %bb.60:                               ;   in Loop: Header=BB245_11 Depth=1
	v_bfrev_b32_e32 v59, 1
	v_mov_b32_e32 v60, 0
	s_mov_b32 s39, exec_lo
	v_cmpx_ne_u16_e32 0x80, v35
	s_cbranch_execz .LBB245_66
; %bb.61:                               ;   in Loop: Header=BB245_11 Depth=1
	v_mov_b32_e32 v59, 0x7f800001
	v_bfe_u32 v43, v63, 16, 7
	v_mov_b32_e32 v60, 0
	s_mov_b32 s40, exec_lo
	v_cmpx_ne_u32_e32 0x7f, v43
	s_cbranch_execz .LBB245_65
; %bb.62:                               ;   in Loop: Header=BB245_11 Depth=1
	v_and_b32_sdwa v35, v63, v118 dst_sel:DWORD dst_unused:UNUSED_PAD src0_sel:WORD_1 src1_sel:DWORD
	v_lshrrev_b32_e32 v41, 3, v43
	s_mov_b32 s41, exec_lo
	v_cmpx_gt_u32_e32 8, v43
; %bb.63:                               ;   in Loop: Header=BB245_11 Depth=1
	v_ffbh_u32_e32 v41, v35
	v_min_u32_e32 v41, 32, v41
	v_subrev_nc_u32_e32 v43, 28, v41
	v_sub_nc_u32_e32 v41, 29, v41
	v_lshlrev_b64 v[59:60], v43, v[35:36]
	v_and_b32_e32 v35, 7, v59
; %bb.64:                               ;   in Loop: Header=BB245_11 Depth=1
	s_or_b32 exec_lo, exec_lo, s41
	v_lshlrev_b32_sdwa v43, v119, v63 dst_sel:DWORD dst_unused:UNUSED_PAD src0_sel:DWORD src1_sel:WORD_1
	v_lshlrev_b32_e32 v35, 20, v35
	v_lshl_add_u32 v41, v41, 23, 0x3c000000
	v_and_b32_e32 v43, 0x80000000, v43
	v_or3_b32 v35, v35, v43, v41
	v_mov_b32_e32 v60, v36
	v_mov_b32_e32 v59, v35
.LBB245_65:                             ;   in Loop: Header=BB245_11 Depth=1
	s_or_b32 exec_lo, exec_lo, s40
.LBB245_66:                             ;   in Loop: Header=BB245_11 Depth=1
	s_or_b32 exec_lo, exec_lo, s39
.LBB245_67:                             ;   in Loop: Header=BB245_11 Depth=1
	s_or_b32 exec_lo, exec_lo, s2
	s_mov_b32 s2, exec_lo
	v_cmpx_lt_u32_e32 0xffffff, v63
	s_cbranch_execz .LBB245_75
; %bb.68:                               ;   in Loop: Header=BB245_11 Depth=1
	v_mov_b32_e32 v41, v36
	v_mov_b32_e32 v62, v42
	v_cmp_ne_u32_sdwa s1, v63, v115 src0_sel:BYTE_3 src1_sel:DWORD
	v_mov_b32_e32 v61, v41
	s_and_saveexec_b32 s39, s1
	s_cbranch_execz .LBB245_74
; %bb.69:                               ;   in Loop: Header=BB245_11 Depth=1
	v_mov_b32_e32 v43, v36
	v_mov_b32_e32 v62, v44
	v_bfe_u32 v64, v63, 24, 7
	s_mov_b32 s40, exec_lo
	v_mov_b32_e32 v61, v43
	v_cmpx_ne_u32_e32 0x7f, v64
	s_cbranch_execz .LBB245_73
; %bb.70:                               ;   in Loop: Header=BB245_11 Depth=1
	v_and_b32_sdwa v35, v63, v118 dst_sel:DWORD dst_unused:UNUSED_PAD src0_sel:BYTE_3 src1_sel:DWORD
	v_lshrrev_b32_e32 v41, 3, v64
	s_mov_b32 s41, exec_lo
	v_cmpx_gt_u32_e32 8, v64
; %bb.71:                               ;   in Loop: Header=BB245_11 Depth=1
	v_ffbh_u32_e32 v41, v35
	v_min_u32_e32 v41, 32, v41
	v_subrev_nc_u32_e32 v43, 28, v41
	v_sub_nc_u32_e32 v41, 29, v41
	v_lshlrev_b64 v[61:62], v43, v[35:36]
	v_and_b32_e32 v35, 7, v61
; %bb.72:                               ;   in Loop: Header=BB245_11 Depth=1
	s_or_b32 exec_lo, exec_lo, s41
	v_lshlrev_b32_sdwa v43, v119, v63 dst_sel:DWORD dst_unused:UNUSED_PAD src0_sel:DWORD src1_sel:BYTE_3
	v_lshlrev_b32_e32 v35, 20, v35
	v_lshl_add_u32 v41, v41, 23, 0x3c000000
	v_mov_b32_e32 v61, v36
	v_and_b32_e32 v43, 0x80000000, v43
	v_or3_b32 v62, v35, v43, v41
.LBB245_73:                             ;   in Loop: Header=BB245_11 Depth=1
	s_or_b32 exec_lo, exec_lo, s40
.LBB245_74:                             ;   in Loop: Header=BB245_11 Depth=1
	s_or_b32 exec_lo, exec_lo, s39
.LBB245_75:                             ;   in Loop: Header=BB245_11 Depth=1
	s_or_b32 exec_lo, exec_lo, s2
	global_load_dword v71, v[57:58], off offset:8
	v_mov_b32_e32 v65, 0
	v_mov_b32_e32 v63, 0
	;; [unrolled: 1-line block ×4, first 2 shown]
	s_waitcnt vmcnt(0)
	v_cmp_ne_u16_sdwa s1, v71, v36 src0_sel:BYTE_0 src1_sel:DWORD
	s_and_saveexec_b32 s2, s1
	s_cbranch_execz .LBB245_83
; %bb.76:                               ;   in Loop: Header=BB245_11 Depth=1
	v_bfrev_b32_e32 v63, 1
	v_mov_b32_e32 v64, 0
	v_cmp_ne_u16_sdwa s1, v71, v115 src0_sel:BYTE_0 src1_sel:DWORD
	s_and_saveexec_b32 s39, s1
	s_cbranch_execz .LBB245_82
; %bb.77:                               ;   in Loop: Header=BB245_11 Depth=1
	v_mov_b32_e32 v63, 0x7f800001
	v_and_b32_e32 v43, 0x7f, v71
	v_mov_b32_e32 v64, 0
	s_mov_b32 s40, exec_lo
	v_cmpx_ne_u32_e32 0x7f, v43
	s_cbranch_execz .LBB245_81
; %bb.78:                               ;   in Loop: Header=BB245_11 Depth=1
	v_and_b32_e32 v35, 7, v71
	v_lshrrev_b32_e32 v41, 3, v43
	s_mov_b32 s41, exec_lo
	v_cmpx_gt_u32_e32 8, v43
; %bb.79:                               ;   in Loop: Header=BB245_11 Depth=1
	v_ffbh_u32_e32 v41, v35
	v_min_u32_e32 v41, 32, v41
	v_subrev_nc_u32_e32 v43, 28, v41
	v_sub_nc_u32_e32 v41, 29, v41
	v_lshlrev_b64 v[63:64], v43, v[35:36]
	v_and_b32_e32 v35, 7, v63
; %bb.80:                               ;   in Loop: Header=BB245_11 Depth=1
	s_or_b32 exec_lo, exec_lo, s41
	v_lshlrev_b32_e32 v43, 24, v71
	v_lshlrev_b32_e32 v35, 20, v35
	v_lshl_add_u32 v41, v41, 23, 0x3c000000
	v_and_b32_e32 v43, 0x80000000, v43
	v_or3_b32 v35, v35, v43, v41
	v_mov_b32_e32 v64, v36
	v_mov_b32_e32 v63, v35
.LBB245_81:                             ;   in Loop: Header=BB245_11 Depth=1
	s_or_b32 exec_lo, exec_lo, s40
.LBB245_82:                             ;   in Loop: Header=BB245_11 Depth=1
	s_or_b32 exec_lo, exec_lo, s39
.LBB245_83:                             ;   in Loop: Header=BB245_11 Depth=1
	s_or_b32 exec_lo, exec_lo, s2
	v_cmp_ne_u16_sdwa s1, v71, v36 src0_sel:BYTE_1 src1_sel:DWORD
	s_and_saveexec_b32 s2, s1
	s_cbranch_execz .LBB245_91
; %bb.84:                               ;   in Loop: Header=BB245_11 Depth=1
	v_mov_b32_e32 v41, v36
	v_mov_b32_e32 v66, v42
	v_cmp_ne_u16_sdwa s1, v71, v115 src0_sel:BYTE_1 src1_sel:DWORD
	v_mov_b32_e32 v65, v41
	s_and_saveexec_b32 s39, s1
	s_cbranch_execz .LBB245_90
; %bb.85:                               ;   in Loop: Header=BB245_11 Depth=1
	v_and_b32_sdwa v35, v116, v71 dst_sel:DWORD dst_unused:UNUSED_PAD src0_sel:DWORD src1_sel:BYTE_1
	v_mov_b32_e32 v43, v36
	v_mov_b32_e32 v66, v44
	s_mov_b32 s40, exec_lo
	v_and_b32_e32 v67, 0x7f, v35
	v_mov_b32_e32 v65, v43
	v_cmpx_ne_u32_e32 0x7f, v67
	s_cbranch_execz .LBB245_89
; %bb.86:                               ;   in Loop: Header=BB245_11 Depth=1
	v_and_b32_e32 v35, 7, v35
	v_lshrrev_b32_e32 v41, 3, v67
	s_mov_b32 s41, exec_lo
	v_cmpx_gt_u32_e32 8, v67
; %bb.87:                               ;   in Loop: Header=BB245_11 Depth=1
	v_ffbh_u32_e32 v41, v35
	v_min_u32_e32 v41, 32, v41
	v_subrev_nc_u32_e32 v43, 28, v41
	v_sub_nc_u32_e32 v41, 29, v41
	v_lshlrev_b64 v[65:66], v43, v[35:36]
	v_and_b32_e32 v35, 7, v65
; %bb.88:                               ;   in Loop: Header=BB245_11 Depth=1
	s_or_b32 exec_lo, exec_lo, s41
	v_lshlrev_b32_e32 v43, 16, v71
	v_lshlrev_b32_e32 v35, 20, v35
	v_lshl_add_u32 v41, v41, 23, 0x3c000000
	v_mov_b32_e32 v65, v36
	v_and_b32_e32 v43, 0x80000000, v43
	v_or3_b32 v66, v35, v43, v41
.LBB245_89:                             ;   in Loop: Header=BB245_11 Depth=1
	s_or_b32 exec_lo, exec_lo, s40
.LBB245_90:                             ;   in Loop: Header=BB245_11 Depth=1
	s_or_b32 exec_lo, exec_lo, s39
.LBB245_91:                             ;   in Loop: Header=BB245_11 Depth=1
	s_or_b32 exec_lo, exec_lo, s2
	v_mov_b32_e32 v69, 0
	v_mov_b32_e32 v67, 0
	v_and_b32_sdwa v35, v71, v117 dst_sel:DWORD dst_unused:UNUSED_PAD src0_sel:WORD_1 src1_sel:DWORD
	v_mov_b32_e32 v70, 0
	v_mov_b32_e32 v68, 0
	s_mov_b32 s2, exec_lo
	v_cmpx_ne_u16_e32 0, v35
	s_cbranch_execz .LBB245_99
; %bb.92:                               ;   in Loop: Header=BB245_11 Depth=1
	v_bfrev_b32_e32 v67, 1
	v_mov_b32_e32 v68, 0
	s_mov_b32 s39, exec_lo
	v_cmpx_ne_u16_e32 0x80, v35
	s_cbranch_execz .LBB245_98
; %bb.93:                               ;   in Loop: Header=BB245_11 Depth=1
	v_mov_b32_e32 v67, 0x7f800001
	v_bfe_u32 v43, v71, 16, 7
	v_mov_b32_e32 v68, 0
	s_mov_b32 s40, exec_lo
	v_cmpx_ne_u32_e32 0x7f, v43
	s_cbranch_execz .LBB245_97
; %bb.94:                               ;   in Loop: Header=BB245_11 Depth=1
	v_and_b32_sdwa v35, v71, v118 dst_sel:DWORD dst_unused:UNUSED_PAD src0_sel:WORD_1 src1_sel:DWORD
	v_lshrrev_b32_e32 v41, 3, v43
	s_mov_b32 s41, exec_lo
	v_cmpx_gt_u32_e32 8, v43
; %bb.95:                               ;   in Loop: Header=BB245_11 Depth=1
	v_ffbh_u32_e32 v41, v35
	v_min_u32_e32 v41, 32, v41
	v_subrev_nc_u32_e32 v43, 28, v41
	v_sub_nc_u32_e32 v41, 29, v41
	v_lshlrev_b64 v[67:68], v43, v[35:36]
	v_and_b32_e32 v35, 7, v67
; %bb.96:                               ;   in Loop: Header=BB245_11 Depth=1
	s_or_b32 exec_lo, exec_lo, s41
	v_lshlrev_b32_sdwa v43, v119, v71 dst_sel:DWORD dst_unused:UNUSED_PAD src0_sel:DWORD src1_sel:WORD_1
	v_lshlrev_b32_e32 v35, 20, v35
	v_lshl_add_u32 v41, v41, 23, 0x3c000000
	v_and_b32_e32 v43, 0x80000000, v43
	v_or3_b32 v35, v35, v43, v41
	v_mov_b32_e32 v68, v36
	v_mov_b32_e32 v67, v35
.LBB245_97:                             ;   in Loop: Header=BB245_11 Depth=1
	s_or_b32 exec_lo, exec_lo, s40
.LBB245_98:                             ;   in Loop: Header=BB245_11 Depth=1
	s_or_b32 exec_lo, exec_lo, s39
.LBB245_99:                             ;   in Loop: Header=BB245_11 Depth=1
	s_or_b32 exec_lo, exec_lo, s2
	s_mov_b32 s2, exec_lo
	v_cmpx_lt_u32_e32 0xffffff, v71
	s_cbranch_execz .LBB245_107
; %bb.100:                              ;   in Loop: Header=BB245_11 Depth=1
	v_mov_b32_e32 v41, v36
	v_mov_b32_e32 v70, v42
	v_cmp_ne_u32_sdwa s1, v71, v115 src0_sel:BYTE_3 src1_sel:DWORD
	v_mov_b32_e32 v69, v41
	s_and_saveexec_b32 s39, s1
	s_cbranch_execz .LBB245_106
; %bb.101:                              ;   in Loop: Header=BB245_11 Depth=1
	v_mov_b32_e32 v43, v36
	v_mov_b32_e32 v70, v44
	v_bfe_u32 v72, v71, 24, 7
	s_mov_b32 s40, exec_lo
	v_mov_b32_e32 v69, v43
	v_cmpx_ne_u32_e32 0x7f, v72
	s_cbranch_execz .LBB245_105
; %bb.102:                              ;   in Loop: Header=BB245_11 Depth=1
	v_and_b32_sdwa v35, v71, v118 dst_sel:DWORD dst_unused:UNUSED_PAD src0_sel:BYTE_3 src1_sel:DWORD
	v_lshrrev_b32_e32 v41, 3, v72
	s_mov_b32 s41, exec_lo
	v_cmpx_gt_u32_e32 8, v72
; %bb.103:                              ;   in Loop: Header=BB245_11 Depth=1
	v_ffbh_u32_e32 v41, v35
	v_min_u32_e32 v41, 32, v41
	v_subrev_nc_u32_e32 v43, 28, v41
	v_sub_nc_u32_e32 v41, 29, v41
	v_lshlrev_b64 v[69:70], v43, v[35:36]
	v_and_b32_e32 v35, 7, v69
; %bb.104:                              ;   in Loop: Header=BB245_11 Depth=1
	s_or_b32 exec_lo, exec_lo, s41
	v_lshlrev_b32_sdwa v43, v119, v71 dst_sel:DWORD dst_unused:UNUSED_PAD src0_sel:DWORD src1_sel:BYTE_3
	v_lshlrev_b32_e32 v35, 20, v35
	v_lshl_add_u32 v41, v41, 23, 0x3c000000
	v_mov_b32_e32 v69, v36
	v_and_b32_e32 v43, 0x80000000, v43
	v_or3_b32 v70, v35, v43, v41
.LBB245_105:                            ;   in Loop: Header=BB245_11 Depth=1
	s_or_b32 exec_lo, exec_lo, s40
.LBB245_106:                            ;   in Loop: Header=BB245_11 Depth=1
	s_or_b32 exec_lo, exec_lo, s39
.LBB245_107:                            ;   in Loop: Header=BB245_11 Depth=1
	s_or_b32 exec_lo, exec_lo, s2
	global_load_dword v79, v[57:58], off offset:12
	v_mov_b32_e32 v73, 0
	v_mov_b32_e32 v71, 0
	;; [unrolled: 1-line block ×4, first 2 shown]
	s_waitcnt vmcnt(0)
	v_cmp_ne_u16_sdwa s1, v79, v36 src0_sel:BYTE_0 src1_sel:DWORD
	s_and_saveexec_b32 s2, s1
	s_cbranch_execz .LBB245_115
; %bb.108:                              ;   in Loop: Header=BB245_11 Depth=1
	v_bfrev_b32_e32 v71, 1
	v_mov_b32_e32 v72, 0
	v_cmp_ne_u16_sdwa s1, v79, v115 src0_sel:BYTE_0 src1_sel:DWORD
	s_and_saveexec_b32 s39, s1
	s_cbranch_execz .LBB245_114
; %bb.109:                              ;   in Loop: Header=BB245_11 Depth=1
	v_mov_b32_e32 v71, 0x7f800001
	v_and_b32_e32 v43, 0x7f, v79
	v_mov_b32_e32 v72, 0
	s_mov_b32 s40, exec_lo
	v_cmpx_ne_u32_e32 0x7f, v43
	s_cbranch_execz .LBB245_113
; %bb.110:                              ;   in Loop: Header=BB245_11 Depth=1
	v_and_b32_e32 v35, 7, v79
	v_lshrrev_b32_e32 v41, 3, v43
	s_mov_b32 s41, exec_lo
	v_cmpx_gt_u32_e32 8, v43
; %bb.111:                              ;   in Loop: Header=BB245_11 Depth=1
	v_ffbh_u32_e32 v41, v35
	v_min_u32_e32 v41, 32, v41
	v_subrev_nc_u32_e32 v43, 28, v41
	v_sub_nc_u32_e32 v41, 29, v41
	v_lshlrev_b64 v[71:72], v43, v[35:36]
	v_and_b32_e32 v35, 7, v71
; %bb.112:                              ;   in Loop: Header=BB245_11 Depth=1
	s_or_b32 exec_lo, exec_lo, s41
	v_lshlrev_b32_e32 v43, 24, v79
	v_lshlrev_b32_e32 v35, 20, v35
	v_lshl_add_u32 v41, v41, 23, 0x3c000000
	v_and_b32_e32 v43, 0x80000000, v43
	v_or3_b32 v35, v35, v43, v41
	v_mov_b32_e32 v72, v36
	v_mov_b32_e32 v71, v35
.LBB245_113:                            ;   in Loop: Header=BB245_11 Depth=1
	s_or_b32 exec_lo, exec_lo, s40
.LBB245_114:                            ;   in Loop: Header=BB245_11 Depth=1
	s_or_b32 exec_lo, exec_lo, s39
.LBB245_115:                            ;   in Loop: Header=BB245_11 Depth=1
	s_or_b32 exec_lo, exec_lo, s2
	v_cmp_ne_u16_sdwa s1, v79, v36 src0_sel:BYTE_1 src1_sel:DWORD
	s_and_saveexec_b32 s2, s1
	s_cbranch_execz .LBB245_123
; %bb.116:                              ;   in Loop: Header=BB245_11 Depth=1
	v_mov_b32_e32 v41, v36
	v_mov_b32_e32 v74, v42
	v_cmp_ne_u16_sdwa s1, v79, v115 src0_sel:BYTE_1 src1_sel:DWORD
	v_mov_b32_e32 v73, v41
	s_and_saveexec_b32 s39, s1
	s_cbranch_execz .LBB245_122
; %bb.117:                              ;   in Loop: Header=BB245_11 Depth=1
	v_and_b32_sdwa v35, v116, v79 dst_sel:DWORD dst_unused:UNUSED_PAD src0_sel:DWORD src1_sel:BYTE_1
	v_mov_b32_e32 v43, v36
	v_mov_b32_e32 v74, v44
	s_mov_b32 s40, exec_lo
	v_and_b32_e32 v75, 0x7f, v35
	v_mov_b32_e32 v73, v43
	v_cmpx_ne_u32_e32 0x7f, v75
	s_cbranch_execz .LBB245_121
; %bb.118:                              ;   in Loop: Header=BB245_11 Depth=1
	v_and_b32_e32 v35, 7, v35
	v_lshrrev_b32_e32 v41, 3, v75
	s_mov_b32 s41, exec_lo
	v_cmpx_gt_u32_e32 8, v75
; %bb.119:                              ;   in Loop: Header=BB245_11 Depth=1
	v_ffbh_u32_e32 v41, v35
	v_min_u32_e32 v41, 32, v41
	v_subrev_nc_u32_e32 v43, 28, v41
	v_sub_nc_u32_e32 v41, 29, v41
	v_lshlrev_b64 v[73:74], v43, v[35:36]
	v_and_b32_e32 v35, 7, v73
; %bb.120:                              ;   in Loop: Header=BB245_11 Depth=1
	s_or_b32 exec_lo, exec_lo, s41
	v_lshlrev_b32_e32 v43, 16, v79
	v_lshlrev_b32_e32 v35, 20, v35
	v_lshl_add_u32 v41, v41, 23, 0x3c000000
	v_mov_b32_e32 v73, v36
	v_and_b32_e32 v43, 0x80000000, v43
	v_or3_b32 v74, v35, v43, v41
.LBB245_121:                            ;   in Loop: Header=BB245_11 Depth=1
	s_or_b32 exec_lo, exec_lo, s40
.LBB245_122:                            ;   in Loop: Header=BB245_11 Depth=1
	s_or_b32 exec_lo, exec_lo, s39
.LBB245_123:                            ;   in Loop: Header=BB245_11 Depth=1
	s_or_b32 exec_lo, exec_lo, s2
	v_mov_b32_e32 v77, 0
	v_mov_b32_e32 v75, 0
	v_and_b32_sdwa v35, v79, v117 dst_sel:DWORD dst_unused:UNUSED_PAD src0_sel:WORD_1 src1_sel:DWORD
	v_mov_b32_e32 v78, 0
	v_mov_b32_e32 v76, 0
	s_mov_b32 s2, exec_lo
	v_cmpx_ne_u16_e32 0, v35
	s_cbranch_execz .LBB245_131
; %bb.124:                              ;   in Loop: Header=BB245_11 Depth=1
	v_bfrev_b32_e32 v75, 1
	v_mov_b32_e32 v76, 0
	s_mov_b32 s39, exec_lo
	v_cmpx_ne_u16_e32 0x80, v35
	s_cbranch_execz .LBB245_130
; %bb.125:                              ;   in Loop: Header=BB245_11 Depth=1
	v_mov_b32_e32 v75, 0x7f800001
	v_bfe_u32 v43, v79, 16, 7
	v_mov_b32_e32 v76, 0
	s_mov_b32 s40, exec_lo
	v_cmpx_ne_u32_e32 0x7f, v43
	s_cbranch_execz .LBB245_129
; %bb.126:                              ;   in Loop: Header=BB245_11 Depth=1
	v_and_b32_sdwa v35, v79, v118 dst_sel:DWORD dst_unused:UNUSED_PAD src0_sel:WORD_1 src1_sel:DWORD
	v_lshrrev_b32_e32 v41, 3, v43
	s_mov_b32 s41, exec_lo
	v_cmpx_gt_u32_e32 8, v43
; %bb.127:                              ;   in Loop: Header=BB245_11 Depth=1
	v_ffbh_u32_e32 v41, v35
	v_min_u32_e32 v41, 32, v41
	v_subrev_nc_u32_e32 v43, 28, v41
	v_sub_nc_u32_e32 v41, 29, v41
	v_lshlrev_b64 v[75:76], v43, v[35:36]
	v_and_b32_e32 v35, 7, v75
; %bb.128:                              ;   in Loop: Header=BB245_11 Depth=1
	s_or_b32 exec_lo, exec_lo, s41
	v_lshlrev_b32_sdwa v43, v119, v79 dst_sel:DWORD dst_unused:UNUSED_PAD src0_sel:DWORD src1_sel:WORD_1
	v_lshlrev_b32_e32 v35, 20, v35
	v_lshl_add_u32 v41, v41, 23, 0x3c000000
	v_and_b32_e32 v43, 0x80000000, v43
	v_or3_b32 v35, v35, v43, v41
	v_mov_b32_e32 v76, v36
	v_mov_b32_e32 v75, v35
.LBB245_129:                            ;   in Loop: Header=BB245_11 Depth=1
	s_or_b32 exec_lo, exec_lo, s40
.LBB245_130:                            ;   in Loop: Header=BB245_11 Depth=1
	s_or_b32 exec_lo, exec_lo, s39
.LBB245_131:                            ;   in Loop: Header=BB245_11 Depth=1
	s_or_b32 exec_lo, exec_lo, s2
	s_mov_b32 s2, exec_lo
	v_cmpx_lt_u32_e32 0xffffff, v79
	s_cbranch_execz .LBB245_139
; %bb.132:                              ;   in Loop: Header=BB245_11 Depth=1
	v_mov_b32_e32 v41, v36
	v_mov_b32_e32 v78, v42
	v_cmp_ne_u32_sdwa s1, v79, v115 src0_sel:BYTE_3 src1_sel:DWORD
	v_mov_b32_e32 v77, v41
	s_and_saveexec_b32 s39, s1
	s_cbranch_execz .LBB245_138
; %bb.133:                              ;   in Loop: Header=BB245_11 Depth=1
	v_mov_b32_e32 v43, v36
	v_mov_b32_e32 v78, v44
	v_bfe_u32 v80, v79, 24, 7
	s_mov_b32 s40, exec_lo
	v_mov_b32_e32 v77, v43
	v_cmpx_ne_u32_e32 0x7f, v80
	s_cbranch_execz .LBB245_137
; %bb.134:                              ;   in Loop: Header=BB245_11 Depth=1
	v_and_b32_sdwa v35, v79, v118 dst_sel:DWORD dst_unused:UNUSED_PAD src0_sel:BYTE_3 src1_sel:DWORD
	v_lshrrev_b32_e32 v41, 3, v80
	s_mov_b32 s41, exec_lo
	v_cmpx_gt_u32_e32 8, v80
; %bb.135:                              ;   in Loop: Header=BB245_11 Depth=1
	v_ffbh_u32_e32 v41, v35
	v_min_u32_e32 v41, 32, v41
	v_subrev_nc_u32_e32 v43, 28, v41
	v_sub_nc_u32_e32 v41, 29, v41
	v_lshlrev_b64 v[77:78], v43, v[35:36]
	v_and_b32_e32 v35, 7, v77
; %bb.136:                              ;   in Loop: Header=BB245_11 Depth=1
	s_or_b32 exec_lo, exec_lo, s41
	v_lshlrev_b32_sdwa v43, v119, v79 dst_sel:DWORD dst_unused:UNUSED_PAD src0_sel:DWORD src1_sel:BYTE_3
	v_lshlrev_b32_e32 v35, 20, v35
	v_lshl_add_u32 v41, v41, 23, 0x3c000000
	v_mov_b32_e32 v77, v36
	v_and_b32_e32 v43, 0x80000000, v43
	v_or3_b32 v78, v35, v43, v41
.LBB245_137:                            ;   in Loop: Header=BB245_11 Depth=1
	s_or_b32 exec_lo, exec_lo, s40
.LBB245_138:                            ;   in Loop: Header=BB245_11 Depth=1
	s_or_b32 exec_lo, exec_lo, s39
.LBB245_139:                            ;   in Loop: Header=BB245_11 Depth=1
	s_or_b32 exec_lo, exec_lo, s2
	global_load_dword v87, v[57:58], off offset:512
	v_mov_b32_e32 v81, 0
	v_mov_b32_e32 v79, 0
	;; [unrolled: 1-line block ×4, first 2 shown]
	s_waitcnt vmcnt(0)
	v_cmp_ne_u16_sdwa s1, v87, v36 src0_sel:BYTE_0 src1_sel:DWORD
	s_and_saveexec_b32 s2, s1
	s_cbranch_execz .LBB245_147
; %bb.140:                              ;   in Loop: Header=BB245_11 Depth=1
	v_bfrev_b32_e32 v79, 1
	v_mov_b32_e32 v80, 0
	v_cmp_ne_u16_sdwa s1, v87, v115 src0_sel:BYTE_0 src1_sel:DWORD
	s_and_saveexec_b32 s39, s1
	s_cbranch_execz .LBB245_146
; %bb.141:                              ;   in Loop: Header=BB245_11 Depth=1
	v_mov_b32_e32 v79, 0x7f800001
	v_and_b32_e32 v43, 0x7f, v87
	v_mov_b32_e32 v80, 0
	s_mov_b32 s40, exec_lo
	v_cmpx_ne_u32_e32 0x7f, v43
	s_cbranch_execz .LBB245_145
; %bb.142:                              ;   in Loop: Header=BB245_11 Depth=1
	v_and_b32_e32 v35, 7, v87
	v_lshrrev_b32_e32 v41, 3, v43
	s_mov_b32 s41, exec_lo
	v_cmpx_gt_u32_e32 8, v43
; %bb.143:                              ;   in Loop: Header=BB245_11 Depth=1
	v_ffbh_u32_e32 v41, v35
	v_min_u32_e32 v41, 32, v41
	v_subrev_nc_u32_e32 v43, 28, v41
	v_sub_nc_u32_e32 v41, 29, v41
	v_lshlrev_b64 v[79:80], v43, v[35:36]
	v_and_b32_e32 v35, 7, v79
; %bb.144:                              ;   in Loop: Header=BB245_11 Depth=1
	s_or_b32 exec_lo, exec_lo, s41
	v_lshlrev_b32_e32 v43, 24, v87
	v_lshlrev_b32_e32 v35, 20, v35
	v_lshl_add_u32 v41, v41, 23, 0x3c000000
	v_and_b32_e32 v43, 0x80000000, v43
	v_or3_b32 v35, v35, v43, v41
	v_mov_b32_e32 v80, v36
	v_mov_b32_e32 v79, v35
.LBB245_145:                            ;   in Loop: Header=BB245_11 Depth=1
	s_or_b32 exec_lo, exec_lo, s40
.LBB245_146:                            ;   in Loop: Header=BB245_11 Depth=1
	s_or_b32 exec_lo, exec_lo, s39
.LBB245_147:                            ;   in Loop: Header=BB245_11 Depth=1
	s_or_b32 exec_lo, exec_lo, s2
	v_cmp_ne_u16_sdwa s1, v87, v36 src0_sel:BYTE_1 src1_sel:DWORD
	s_and_saveexec_b32 s2, s1
	s_cbranch_execz .LBB245_155
; %bb.148:                              ;   in Loop: Header=BB245_11 Depth=1
	v_mov_b32_e32 v41, v36
	v_mov_b32_e32 v82, v42
	v_cmp_ne_u16_sdwa s1, v87, v115 src0_sel:BYTE_1 src1_sel:DWORD
	v_mov_b32_e32 v81, v41
	s_and_saveexec_b32 s39, s1
	s_cbranch_execz .LBB245_154
; %bb.149:                              ;   in Loop: Header=BB245_11 Depth=1
	v_and_b32_sdwa v35, v116, v87 dst_sel:DWORD dst_unused:UNUSED_PAD src0_sel:DWORD src1_sel:BYTE_1
	v_mov_b32_e32 v43, v36
	v_mov_b32_e32 v82, v44
	s_mov_b32 s40, exec_lo
	v_and_b32_e32 v83, 0x7f, v35
	v_mov_b32_e32 v81, v43
	v_cmpx_ne_u32_e32 0x7f, v83
	s_cbranch_execz .LBB245_153
; %bb.150:                              ;   in Loop: Header=BB245_11 Depth=1
	v_and_b32_e32 v35, 7, v35
	v_lshrrev_b32_e32 v41, 3, v83
	s_mov_b32 s41, exec_lo
	v_cmpx_gt_u32_e32 8, v83
; %bb.151:                              ;   in Loop: Header=BB245_11 Depth=1
	v_ffbh_u32_e32 v41, v35
	v_min_u32_e32 v41, 32, v41
	v_subrev_nc_u32_e32 v43, 28, v41
	v_sub_nc_u32_e32 v41, 29, v41
	v_lshlrev_b64 v[81:82], v43, v[35:36]
	v_and_b32_e32 v35, 7, v81
; %bb.152:                              ;   in Loop: Header=BB245_11 Depth=1
	s_or_b32 exec_lo, exec_lo, s41
	v_lshlrev_b32_e32 v43, 16, v87
	v_lshlrev_b32_e32 v35, 20, v35
	v_lshl_add_u32 v41, v41, 23, 0x3c000000
	v_mov_b32_e32 v81, v36
	v_and_b32_e32 v43, 0x80000000, v43
	v_or3_b32 v82, v35, v43, v41
.LBB245_153:                            ;   in Loop: Header=BB245_11 Depth=1
	s_or_b32 exec_lo, exec_lo, s40
.LBB245_154:                            ;   in Loop: Header=BB245_11 Depth=1
	s_or_b32 exec_lo, exec_lo, s39
.LBB245_155:                            ;   in Loop: Header=BB245_11 Depth=1
	s_or_b32 exec_lo, exec_lo, s2
	v_mov_b32_e32 v85, 0
	v_mov_b32_e32 v83, 0
	v_and_b32_sdwa v35, v87, v117 dst_sel:DWORD dst_unused:UNUSED_PAD src0_sel:WORD_1 src1_sel:DWORD
	v_mov_b32_e32 v86, 0
	v_mov_b32_e32 v84, 0
	s_mov_b32 s2, exec_lo
	v_cmpx_ne_u16_e32 0, v35
	s_cbranch_execz .LBB245_163
; %bb.156:                              ;   in Loop: Header=BB245_11 Depth=1
	v_bfrev_b32_e32 v83, 1
	v_mov_b32_e32 v84, 0
	s_mov_b32 s39, exec_lo
	v_cmpx_ne_u16_e32 0x80, v35
	s_cbranch_execz .LBB245_162
; %bb.157:                              ;   in Loop: Header=BB245_11 Depth=1
	v_mov_b32_e32 v83, 0x7f800001
	v_bfe_u32 v43, v87, 16, 7
	v_mov_b32_e32 v84, 0
	s_mov_b32 s40, exec_lo
	v_cmpx_ne_u32_e32 0x7f, v43
	s_cbranch_execz .LBB245_161
; %bb.158:                              ;   in Loop: Header=BB245_11 Depth=1
	v_and_b32_sdwa v35, v87, v118 dst_sel:DWORD dst_unused:UNUSED_PAD src0_sel:WORD_1 src1_sel:DWORD
	v_lshrrev_b32_e32 v41, 3, v43
	s_mov_b32 s41, exec_lo
	v_cmpx_gt_u32_e32 8, v43
; %bb.159:                              ;   in Loop: Header=BB245_11 Depth=1
	v_ffbh_u32_e32 v41, v35
	v_min_u32_e32 v41, 32, v41
	v_subrev_nc_u32_e32 v43, 28, v41
	v_sub_nc_u32_e32 v41, 29, v41
	v_lshlrev_b64 v[83:84], v43, v[35:36]
	v_and_b32_e32 v35, 7, v83
; %bb.160:                              ;   in Loop: Header=BB245_11 Depth=1
	s_or_b32 exec_lo, exec_lo, s41
	v_lshlrev_b32_sdwa v43, v119, v87 dst_sel:DWORD dst_unused:UNUSED_PAD src0_sel:DWORD src1_sel:WORD_1
	v_lshlrev_b32_e32 v35, 20, v35
	v_lshl_add_u32 v41, v41, 23, 0x3c000000
	v_and_b32_e32 v43, 0x80000000, v43
	v_or3_b32 v35, v35, v43, v41
	v_mov_b32_e32 v84, v36
	v_mov_b32_e32 v83, v35
.LBB245_161:                            ;   in Loop: Header=BB245_11 Depth=1
	s_or_b32 exec_lo, exec_lo, s40
.LBB245_162:                            ;   in Loop: Header=BB245_11 Depth=1
	s_or_b32 exec_lo, exec_lo, s39
.LBB245_163:                            ;   in Loop: Header=BB245_11 Depth=1
	s_or_b32 exec_lo, exec_lo, s2
	s_mov_b32 s2, exec_lo
	v_cmpx_lt_u32_e32 0xffffff, v87
	s_cbranch_execz .LBB245_171
; %bb.164:                              ;   in Loop: Header=BB245_11 Depth=1
	v_mov_b32_e32 v41, v36
	v_mov_b32_e32 v86, v42
	v_cmp_ne_u32_sdwa s1, v87, v115 src0_sel:BYTE_3 src1_sel:DWORD
	v_mov_b32_e32 v85, v41
	s_and_saveexec_b32 s39, s1
	s_cbranch_execz .LBB245_170
; %bb.165:                              ;   in Loop: Header=BB245_11 Depth=1
	v_mov_b32_e32 v43, v36
	v_mov_b32_e32 v86, v44
	v_bfe_u32 v88, v87, 24, 7
	s_mov_b32 s40, exec_lo
	v_mov_b32_e32 v85, v43
	v_cmpx_ne_u32_e32 0x7f, v88
	s_cbranch_execz .LBB245_169
; %bb.166:                              ;   in Loop: Header=BB245_11 Depth=1
	v_and_b32_sdwa v35, v87, v118 dst_sel:DWORD dst_unused:UNUSED_PAD src0_sel:BYTE_3 src1_sel:DWORD
	v_lshrrev_b32_e32 v41, 3, v88
	s_mov_b32 s41, exec_lo
	v_cmpx_gt_u32_e32 8, v88
; %bb.167:                              ;   in Loop: Header=BB245_11 Depth=1
	v_ffbh_u32_e32 v41, v35
	v_min_u32_e32 v41, 32, v41
	v_subrev_nc_u32_e32 v43, 28, v41
	v_sub_nc_u32_e32 v41, 29, v41
	v_lshlrev_b64 v[85:86], v43, v[35:36]
	v_and_b32_e32 v35, 7, v85
; %bb.168:                              ;   in Loop: Header=BB245_11 Depth=1
	s_or_b32 exec_lo, exec_lo, s41
	v_lshlrev_b32_sdwa v43, v119, v87 dst_sel:DWORD dst_unused:UNUSED_PAD src0_sel:DWORD src1_sel:BYTE_3
	v_lshlrev_b32_e32 v35, 20, v35
	v_lshl_add_u32 v41, v41, 23, 0x3c000000
	v_mov_b32_e32 v85, v36
	v_and_b32_e32 v43, 0x80000000, v43
	v_or3_b32 v86, v35, v43, v41
.LBB245_169:                            ;   in Loop: Header=BB245_11 Depth=1
	s_or_b32 exec_lo, exec_lo, s40
.LBB245_170:                            ;   in Loop: Header=BB245_11 Depth=1
	s_or_b32 exec_lo, exec_lo, s39
.LBB245_171:                            ;   in Loop: Header=BB245_11 Depth=1
	s_or_b32 exec_lo, exec_lo, s2
	global_load_dword v95, v[57:58], off offset:516
	v_mov_b32_e32 v89, 0
	v_mov_b32_e32 v87, 0
	;; [unrolled: 1-line block ×4, first 2 shown]
	s_waitcnt vmcnt(0)
	v_cmp_ne_u16_sdwa s1, v95, v36 src0_sel:BYTE_0 src1_sel:DWORD
	s_and_saveexec_b32 s2, s1
	s_cbranch_execz .LBB245_179
; %bb.172:                              ;   in Loop: Header=BB245_11 Depth=1
	v_bfrev_b32_e32 v87, 1
	v_mov_b32_e32 v88, 0
	v_cmp_ne_u16_sdwa s1, v95, v115 src0_sel:BYTE_0 src1_sel:DWORD
	s_and_saveexec_b32 s39, s1
	s_cbranch_execz .LBB245_178
; %bb.173:                              ;   in Loop: Header=BB245_11 Depth=1
	v_mov_b32_e32 v87, 0x7f800001
	v_and_b32_e32 v43, 0x7f, v95
	v_mov_b32_e32 v88, 0
	s_mov_b32 s40, exec_lo
	v_cmpx_ne_u32_e32 0x7f, v43
	s_cbranch_execz .LBB245_177
; %bb.174:                              ;   in Loop: Header=BB245_11 Depth=1
	v_and_b32_e32 v35, 7, v95
	v_lshrrev_b32_e32 v41, 3, v43
	s_mov_b32 s41, exec_lo
	v_cmpx_gt_u32_e32 8, v43
; %bb.175:                              ;   in Loop: Header=BB245_11 Depth=1
	v_ffbh_u32_e32 v41, v35
	v_min_u32_e32 v41, 32, v41
	v_subrev_nc_u32_e32 v43, 28, v41
	v_sub_nc_u32_e32 v41, 29, v41
	v_lshlrev_b64 v[87:88], v43, v[35:36]
	v_and_b32_e32 v35, 7, v87
; %bb.176:                              ;   in Loop: Header=BB245_11 Depth=1
	s_or_b32 exec_lo, exec_lo, s41
	v_lshlrev_b32_e32 v43, 24, v95
	v_lshlrev_b32_e32 v35, 20, v35
	v_lshl_add_u32 v41, v41, 23, 0x3c000000
	v_and_b32_e32 v43, 0x80000000, v43
	v_or3_b32 v35, v35, v43, v41
	v_mov_b32_e32 v88, v36
	v_mov_b32_e32 v87, v35
.LBB245_177:                            ;   in Loop: Header=BB245_11 Depth=1
	s_or_b32 exec_lo, exec_lo, s40
.LBB245_178:                            ;   in Loop: Header=BB245_11 Depth=1
	s_or_b32 exec_lo, exec_lo, s39
.LBB245_179:                            ;   in Loop: Header=BB245_11 Depth=1
	s_or_b32 exec_lo, exec_lo, s2
	v_cmp_ne_u16_sdwa s1, v95, v36 src0_sel:BYTE_1 src1_sel:DWORD
	s_and_saveexec_b32 s2, s1
	s_cbranch_execz .LBB245_187
; %bb.180:                              ;   in Loop: Header=BB245_11 Depth=1
	v_mov_b32_e32 v41, v36
	v_mov_b32_e32 v90, v42
	v_cmp_ne_u16_sdwa s1, v95, v115 src0_sel:BYTE_1 src1_sel:DWORD
	v_mov_b32_e32 v89, v41
	s_and_saveexec_b32 s39, s1
	s_cbranch_execz .LBB245_186
; %bb.181:                              ;   in Loop: Header=BB245_11 Depth=1
	v_and_b32_sdwa v35, v116, v95 dst_sel:DWORD dst_unused:UNUSED_PAD src0_sel:DWORD src1_sel:BYTE_1
	v_mov_b32_e32 v43, v36
	v_mov_b32_e32 v90, v44
	s_mov_b32 s40, exec_lo
	v_and_b32_e32 v91, 0x7f, v35
	v_mov_b32_e32 v89, v43
	v_cmpx_ne_u32_e32 0x7f, v91
	s_cbranch_execz .LBB245_185
; %bb.182:                              ;   in Loop: Header=BB245_11 Depth=1
	v_and_b32_e32 v35, 7, v35
	v_lshrrev_b32_e32 v41, 3, v91
	s_mov_b32 s41, exec_lo
	v_cmpx_gt_u32_e32 8, v91
; %bb.183:                              ;   in Loop: Header=BB245_11 Depth=1
	v_ffbh_u32_e32 v41, v35
	v_min_u32_e32 v41, 32, v41
	v_subrev_nc_u32_e32 v43, 28, v41
	v_sub_nc_u32_e32 v41, 29, v41
	v_lshlrev_b64 v[89:90], v43, v[35:36]
	v_and_b32_e32 v35, 7, v89
; %bb.184:                              ;   in Loop: Header=BB245_11 Depth=1
	s_or_b32 exec_lo, exec_lo, s41
	v_lshlrev_b32_e32 v43, 16, v95
	v_lshlrev_b32_e32 v35, 20, v35
	v_lshl_add_u32 v41, v41, 23, 0x3c000000
	v_mov_b32_e32 v89, v36
	v_and_b32_e32 v43, 0x80000000, v43
	v_or3_b32 v90, v35, v43, v41
.LBB245_185:                            ;   in Loop: Header=BB245_11 Depth=1
	s_or_b32 exec_lo, exec_lo, s40
.LBB245_186:                            ;   in Loop: Header=BB245_11 Depth=1
	s_or_b32 exec_lo, exec_lo, s39
.LBB245_187:                            ;   in Loop: Header=BB245_11 Depth=1
	s_or_b32 exec_lo, exec_lo, s2
	v_mov_b32_e32 v93, 0
	v_mov_b32_e32 v91, 0
	v_and_b32_sdwa v35, v95, v117 dst_sel:DWORD dst_unused:UNUSED_PAD src0_sel:WORD_1 src1_sel:DWORD
	v_mov_b32_e32 v94, 0
	v_mov_b32_e32 v92, 0
	s_mov_b32 s2, exec_lo
	v_cmpx_ne_u16_e32 0, v35
	s_cbranch_execz .LBB245_195
; %bb.188:                              ;   in Loop: Header=BB245_11 Depth=1
	v_bfrev_b32_e32 v91, 1
	v_mov_b32_e32 v92, 0
	s_mov_b32 s39, exec_lo
	v_cmpx_ne_u16_e32 0x80, v35
	s_cbranch_execz .LBB245_194
; %bb.189:                              ;   in Loop: Header=BB245_11 Depth=1
	v_mov_b32_e32 v91, 0x7f800001
	v_bfe_u32 v43, v95, 16, 7
	v_mov_b32_e32 v92, 0
	s_mov_b32 s40, exec_lo
	v_cmpx_ne_u32_e32 0x7f, v43
	s_cbranch_execz .LBB245_193
; %bb.190:                              ;   in Loop: Header=BB245_11 Depth=1
	v_and_b32_sdwa v35, v95, v118 dst_sel:DWORD dst_unused:UNUSED_PAD src0_sel:WORD_1 src1_sel:DWORD
	v_lshrrev_b32_e32 v41, 3, v43
	s_mov_b32 s41, exec_lo
	v_cmpx_gt_u32_e32 8, v43
; %bb.191:                              ;   in Loop: Header=BB245_11 Depth=1
	v_ffbh_u32_e32 v41, v35
	v_min_u32_e32 v41, 32, v41
	v_subrev_nc_u32_e32 v43, 28, v41
	v_sub_nc_u32_e32 v41, 29, v41
	v_lshlrev_b64 v[91:92], v43, v[35:36]
	v_and_b32_e32 v35, 7, v91
; %bb.192:                              ;   in Loop: Header=BB245_11 Depth=1
	s_or_b32 exec_lo, exec_lo, s41
	v_lshlrev_b32_sdwa v43, v119, v95 dst_sel:DWORD dst_unused:UNUSED_PAD src0_sel:DWORD src1_sel:WORD_1
	v_lshlrev_b32_e32 v35, 20, v35
	v_lshl_add_u32 v41, v41, 23, 0x3c000000
	v_and_b32_e32 v43, 0x80000000, v43
	v_or3_b32 v35, v35, v43, v41
	v_mov_b32_e32 v92, v36
	v_mov_b32_e32 v91, v35
.LBB245_193:                            ;   in Loop: Header=BB245_11 Depth=1
	s_or_b32 exec_lo, exec_lo, s40
.LBB245_194:                            ;   in Loop: Header=BB245_11 Depth=1
	s_or_b32 exec_lo, exec_lo, s39
.LBB245_195:                            ;   in Loop: Header=BB245_11 Depth=1
	s_or_b32 exec_lo, exec_lo, s2
	s_mov_b32 s2, exec_lo
	v_cmpx_lt_u32_e32 0xffffff, v95
	s_cbranch_execz .LBB245_203
; %bb.196:                              ;   in Loop: Header=BB245_11 Depth=1
	v_mov_b32_e32 v41, v36
	v_mov_b32_e32 v94, v42
	v_cmp_ne_u32_sdwa s1, v95, v115 src0_sel:BYTE_3 src1_sel:DWORD
	v_mov_b32_e32 v93, v41
	s_and_saveexec_b32 s39, s1
	s_cbranch_execz .LBB245_202
; %bb.197:                              ;   in Loop: Header=BB245_11 Depth=1
	v_mov_b32_e32 v43, v36
	v_mov_b32_e32 v94, v44
	v_bfe_u32 v96, v95, 24, 7
	s_mov_b32 s40, exec_lo
	v_mov_b32_e32 v93, v43
	v_cmpx_ne_u32_e32 0x7f, v96
	s_cbranch_execz .LBB245_201
; %bb.198:                              ;   in Loop: Header=BB245_11 Depth=1
	v_and_b32_sdwa v35, v95, v118 dst_sel:DWORD dst_unused:UNUSED_PAD src0_sel:BYTE_3 src1_sel:DWORD
	v_lshrrev_b32_e32 v41, 3, v96
	s_mov_b32 s41, exec_lo
	v_cmpx_gt_u32_e32 8, v96
; %bb.199:                              ;   in Loop: Header=BB245_11 Depth=1
	v_ffbh_u32_e32 v41, v35
	v_min_u32_e32 v41, 32, v41
	v_subrev_nc_u32_e32 v43, 28, v41
	v_sub_nc_u32_e32 v41, 29, v41
	v_lshlrev_b64 v[93:94], v43, v[35:36]
	v_and_b32_e32 v35, 7, v93
; %bb.200:                              ;   in Loop: Header=BB245_11 Depth=1
	s_or_b32 exec_lo, exec_lo, s41
	v_lshlrev_b32_sdwa v43, v119, v95 dst_sel:DWORD dst_unused:UNUSED_PAD src0_sel:DWORD src1_sel:BYTE_3
	v_lshlrev_b32_e32 v35, 20, v35
	v_lshl_add_u32 v41, v41, 23, 0x3c000000
	v_mov_b32_e32 v93, v36
	v_and_b32_e32 v43, 0x80000000, v43
	v_or3_b32 v94, v35, v43, v41
.LBB245_201:                            ;   in Loop: Header=BB245_11 Depth=1
	s_or_b32 exec_lo, exec_lo, s40
.LBB245_202:                            ;   in Loop: Header=BB245_11 Depth=1
	s_or_b32 exec_lo, exec_lo, s39
.LBB245_203:                            ;   in Loop: Header=BB245_11 Depth=1
	s_or_b32 exec_lo, exec_lo, s2
	global_load_dword v103, v[57:58], off offset:520
	v_mov_b32_e32 v97, 0
	v_mov_b32_e32 v95, 0
	;; [unrolled: 1-line block ×4, first 2 shown]
	s_waitcnt vmcnt(0)
	v_cmp_ne_u16_sdwa s1, v103, v36 src0_sel:BYTE_0 src1_sel:DWORD
	s_and_saveexec_b32 s2, s1
	s_cbranch_execz .LBB245_211
; %bb.204:                              ;   in Loop: Header=BB245_11 Depth=1
	v_bfrev_b32_e32 v95, 1
	v_mov_b32_e32 v96, 0
	v_cmp_ne_u16_sdwa s1, v103, v115 src0_sel:BYTE_0 src1_sel:DWORD
	s_and_saveexec_b32 s39, s1
	s_cbranch_execz .LBB245_210
; %bb.205:                              ;   in Loop: Header=BB245_11 Depth=1
	v_mov_b32_e32 v95, 0x7f800001
	v_and_b32_e32 v43, 0x7f, v103
	v_mov_b32_e32 v96, 0
	s_mov_b32 s40, exec_lo
	v_cmpx_ne_u32_e32 0x7f, v43
	s_cbranch_execz .LBB245_209
; %bb.206:                              ;   in Loop: Header=BB245_11 Depth=1
	v_and_b32_e32 v35, 7, v103
	v_lshrrev_b32_e32 v41, 3, v43
	s_mov_b32 s41, exec_lo
	v_cmpx_gt_u32_e32 8, v43
; %bb.207:                              ;   in Loop: Header=BB245_11 Depth=1
	v_ffbh_u32_e32 v41, v35
	v_min_u32_e32 v41, 32, v41
	v_subrev_nc_u32_e32 v43, 28, v41
	v_sub_nc_u32_e32 v41, 29, v41
	v_lshlrev_b64 v[95:96], v43, v[35:36]
	v_and_b32_e32 v35, 7, v95
; %bb.208:                              ;   in Loop: Header=BB245_11 Depth=1
	s_or_b32 exec_lo, exec_lo, s41
	v_lshlrev_b32_e32 v43, 24, v103
	v_lshlrev_b32_e32 v35, 20, v35
	v_lshl_add_u32 v41, v41, 23, 0x3c000000
	v_and_b32_e32 v43, 0x80000000, v43
	v_or3_b32 v35, v35, v43, v41
	v_mov_b32_e32 v96, v36
	v_mov_b32_e32 v95, v35
.LBB245_209:                            ;   in Loop: Header=BB245_11 Depth=1
	s_or_b32 exec_lo, exec_lo, s40
.LBB245_210:                            ;   in Loop: Header=BB245_11 Depth=1
	s_or_b32 exec_lo, exec_lo, s39
.LBB245_211:                            ;   in Loop: Header=BB245_11 Depth=1
	s_or_b32 exec_lo, exec_lo, s2
	v_cmp_ne_u16_sdwa s1, v103, v36 src0_sel:BYTE_1 src1_sel:DWORD
	s_and_saveexec_b32 s2, s1
	s_cbranch_execz .LBB245_219
; %bb.212:                              ;   in Loop: Header=BB245_11 Depth=1
	v_mov_b32_e32 v41, v36
	v_mov_b32_e32 v98, v42
	v_cmp_ne_u16_sdwa s1, v103, v115 src0_sel:BYTE_1 src1_sel:DWORD
	v_mov_b32_e32 v97, v41
	s_and_saveexec_b32 s39, s1
	s_cbranch_execz .LBB245_218
; %bb.213:                              ;   in Loop: Header=BB245_11 Depth=1
	v_and_b32_sdwa v35, v116, v103 dst_sel:DWORD dst_unused:UNUSED_PAD src0_sel:DWORD src1_sel:BYTE_1
	v_mov_b32_e32 v43, v36
	v_mov_b32_e32 v98, v44
	s_mov_b32 s40, exec_lo
	v_and_b32_e32 v99, 0x7f, v35
	v_mov_b32_e32 v97, v43
	v_cmpx_ne_u32_e32 0x7f, v99
	s_cbranch_execz .LBB245_217
; %bb.214:                              ;   in Loop: Header=BB245_11 Depth=1
	v_and_b32_e32 v35, 7, v35
	v_lshrrev_b32_e32 v41, 3, v99
	s_mov_b32 s41, exec_lo
	v_cmpx_gt_u32_e32 8, v99
; %bb.215:                              ;   in Loop: Header=BB245_11 Depth=1
	v_ffbh_u32_e32 v41, v35
	v_min_u32_e32 v41, 32, v41
	v_subrev_nc_u32_e32 v43, 28, v41
	v_sub_nc_u32_e32 v41, 29, v41
	v_lshlrev_b64 v[97:98], v43, v[35:36]
	v_and_b32_e32 v35, 7, v97
; %bb.216:                              ;   in Loop: Header=BB245_11 Depth=1
	s_or_b32 exec_lo, exec_lo, s41
	v_lshlrev_b32_e32 v43, 16, v103
	v_lshlrev_b32_e32 v35, 20, v35
	v_lshl_add_u32 v41, v41, 23, 0x3c000000
	v_mov_b32_e32 v97, v36
	v_and_b32_e32 v43, 0x80000000, v43
	v_or3_b32 v98, v35, v43, v41
.LBB245_217:                            ;   in Loop: Header=BB245_11 Depth=1
	s_or_b32 exec_lo, exec_lo, s40
.LBB245_218:                            ;   in Loop: Header=BB245_11 Depth=1
	s_or_b32 exec_lo, exec_lo, s39
.LBB245_219:                            ;   in Loop: Header=BB245_11 Depth=1
	s_or_b32 exec_lo, exec_lo, s2
	v_mov_b32_e32 v101, 0
	v_mov_b32_e32 v99, 0
	v_and_b32_sdwa v35, v103, v117 dst_sel:DWORD dst_unused:UNUSED_PAD src0_sel:WORD_1 src1_sel:DWORD
	v_mov_b32_e32 v102, 0
	v_mov_b32_e32 v100, 0
	s_mov_b32 s2, exec_lo
	v_cmpx_ne_u16_e32 0, v35
	s_cbranch_execz .LBB245_227
; %bb.220:                              ;   in Loop: Header=BB245_11 Depth=1
	v_bfrev_b32_e32 v99, 1
	v_mov_b32_e32 v100, 0
	s_mov_b32 s39, exec_lo
	v_cmpx_ne_u16_e32 0x80, v35
	s_cbranch_execz .LBB245_226
; %bb.221:                              ;   in Loop: Header=BB245_11 Depth=1
	v_mov_b32_e32 v99, 0x7f800001
	v_bfe_u32 v43, v103, 16, 7
	v_mov_b32_e32 v100, 0
	s_mov_b32 s40, exec_lo
	v_cmpx_ne_u32_e32 0x7f, v43
	s_cbranch_execz .LBB245_225
; %bb.222:                              ;   in Loop: Header=BB245_11 Depth=1
	v_and_b32_sdwa v35, v103, v118 dst_sel:DWORD dst_unused:UNUSED_PAD src0_sel:WORD_1 src1_sel:DWORD
	v_lshrrev_b32_e32 v41, 3, v43
	s_mov_b32 s41, exec_lo
	v_cmpx_gt_u32_e32 8, v43
; %bb.223:                              ;   in Loop: Header=BB245_11 Depth=1
	v_ffbh_u32_e32 v41, v35
	v_min_u32_e32 v41, 32, v41
	v_subrev_nc_u32_e32 v43, 28, v41
	v_sub_nc_u32_e32 v41, 29, v41
	v_lshlrev_b64 v[99:100], v43, v[35:36]
	v_and_b32_e32 v35, 7, v99
; %bb.224:                              ;   in Loop: Header=BB245_11 Depth=1
	s_or_b32 exec_lo, exec_lo, s41
	v_lshlrev_b32_sdwa v43, v119, v103 dst_sel:DWORD dst_unused:UNUSED_PAD src0_sel:DWORD src1_sel:WORD_1
	v_lshlrev_b32_e32 v35, 20, v35
	v_lshl_add_u32 v41, v41, 23, 0x3c000000
	v_and_b32_e32 v43, 0x80000000, v43
	v_or3_b32 v35, v35, v43, v41
	v_mov_b32_e32 v100, v36
	v_mov_b32_e32 v99, v35
.LBB245_225:                            ;   in Loop: Header=BB245_11 Depth=1
	s_or_b32 exec_lo, exec_lo, s40
.LBB245_226:                            ;   in Loop: Header=BB245_11 Depth=1
	s_or_b32 exec_lo, exec_lo, s39
.LBB245_227:                            ;   in Loop: Header=BB245_11 Depth=1
	s_or_b32 exec_lo, exec_lo, s2
	s_mov_b32 s2, exec_lo
	v_cmpx_lt_u32_e32 0xffffff, v103
	s_cbranch_execz .LBB245_235
; %bb.228:                              ;   in Loop: Header=BB245_11 Depth=1
	v_mov_b32_e32 v41, v36
	v_mov_b32_e32 v102, v42
	v_cmp_ne_u32_sdwa s1, v103, v115 src0_sel:BYTE_3 src1_sel:DWORD
	v_mov_b32_e32 v101, v41
	s_and_saveexec_b32 s39, s1
	s_cbranch_execz .LBB245_234
; %bb.229:                              ;   in Loop: Header=BB245_11 Depth=1
	v_mov_b32_e32 v43, v36
	v_mov_b32_e32 v102, v44
	v_bfe_u32 v104, v103, 24, 7
	s_mov_b32 s40, exec_lo
	v_mov_b32_e32 v101, v43
	v_cmpx_ne_u32_e32 0x7f, v104
	s_cbranch_execz .LBB245_233
; %bb.230:                              ;   in Loop: Header=BB245_11 Depth=1
	v_and_b32_sdwa v35, v103, v118 dst_sel:DWORD dst_unused:UNUSED_PAD src0_sel:BYTE_3 src1_sel:DWORD
	v_lshrrev_b32_e32 v41, 3, v104
	s_mov_b32 s41, exec_lo
	v_cmpx_gt_u32_e32 8, v104
; %bb.231:                              ;   in Loop: Header=BB245_11 Depth=1
	v_ffbh_u32_e32 v41, v35
	v_min_u32_e32 v41, 32, v41
	v_subrev_nc_u32_e32 v43, 28, v41
	v_sub_nc_u32_e32 v41, 29, v41
	v_lshlrev_b64 v[101:102], v43, v[35:36]
	v_and_b32_e32 v35, 7, v101
; %bb.232:                              ;   in Loop: Header=BB245_11 Depth=1
	s_or_b32 exec_lo, exec_lo, s41
	v_lshlrev_b32_sdwa v43, v119, v103 dst_sel:DWORD dst_unused:UNUSED_PAD src0_sel:DWORD src1_sel:BYTE_3
	v_lshlrev_b32_e32 v35, 20, v35
	v_lshl_add_u32 v41, v41, 23, 0x3c000000
	v_mov_b32_e32 v101, v36
	v_and_b32_e32 v43, 0x80000000, v43
	v_or3_b32 v102, v35, v43, v41
.LBB245_233:                            ;   in Loop: Header=BB245_11 Depth=1
	s_or_b32 exec_lo, exec_lo, s40
.LBB245_234:                            ;   in Loop: Header=BB245_11 Depth=1
	s_or_b32 exec_lo, exec_lo, s39
.LBB245_235:                            ;   in Loop: Header=BB245_11 Depth=1
	s_or_b32 exec_lo, exec_lo, s2
	global_load_dword v121, v[57:58], off offset:524
	v_mov_b32_e32 v103, 0
	v_mov_b32_e32 v57, 0
	v_mov_b32_e32 v104, 0
	v_mov_b32_e32 v58, 0
	s_waitcnt vmcnt(0)
	v_cmp_ne_u16_sdwa s1, v121, v36 src0_sel:BYTE_0 src1_sel:DWORD
	s_and_saveexec_b32 s2, s1
	s_cbranch_execz .LBB245_243
; %bb.236:                              ;   in Loop: Header=BB245_11 Depth=1
	v_bfrev_b32_e32 v57, 1
	v_mov_b32_e32 v58, 0
	v_cmp_ne_u16_sdwa s1, v121, v115 src0_sel:BYTE_0 src1_sel:DWORD
	s_and_saveexec_b32 s39, s1
	s_cbranch_execz .LBB245_242
; %bb.237:                              ;   in Loop: Header=BB245_11 Depth=1
	v_mov_b32_e32 v57, 0x7f800001
	v_and_b32_e32 v43, 0x7f, v121
	v_mov_b32_e32 v58, 0
	s_mov_b32 s40, exec_lo
	v_cmpx_ne_u32_e32 0x7f, v43
	s_cbranch_execz .LBB245_241
; %bb.238:                              ;   in Loop: Header=BB245_11 Depth=1
	v_and_b32_e32 v35, 7, v121
	v_lshrrev_b32_e32 v41, 3, v43
	s_mov_b32 s41, exec_lo
	v_cmpx_gt_u32_e32 8, v43
; %bb.239:                              ;   in Loop: Header=BB245_11 Depth=1
	v_ffbh_u32_e32 v41, v35
	v_min_u32_e32 v41, 32, v41
	v_subrev_nc_u32_e32 v43, 28, v41
	v_sub_nc_u32_e32 v41, 29, v41
	v_lshlrev_b64 v[57:58], v43, v[35:36]
	v_and_b32_e32 v35, 7, v57
; %bb.240:                              ;   in Loop: Header=BB245_11 Depth=1
	s_or_b32 exec_lo, exec_lo, s41
	v_lshlrev_b32_e32 v43, 24, v121
	v_lshlrev_b32_e32 v35, 20, v35
	v_lshl_add_u32 v41, v41, 23, 0x3c000000
	v_and_b32_e32 v43, 0x80000000, v43
	v_or3_b32 v35, v35, v43, v41
	v_mov_b32_e32 v58, v36
	v_mov_b32_e32 v57, v35
.LBB245_241:                            ;   in Loop: Header=BB245_11 Depth=1
	s_or_b32 exec_lo, exec_lo, s40
.LBB245_242:                            ;   in Loop: Header=BB245_11 Depth=1
	s_or_b32 exec_lo, exec_lo, s39
.LBB245_243:                            ;   in Loop: Header=BB245_11 Depth=1
	s_or_b32 exec_lo, exec_lo, s2
	v_cmp_ne_u16_sdwa s1, v121, v36 src0_sel:BYTE_1 src1_sel:DWORD
	s_and_saveexec_b32 s2, s1
	s_cbranch_execz .LBB245_251
; %bb.244:                              ;   in Loop: Header=BB245_11 Depth=1
	v_mov_b32_e32 v41, v36
	v_mov_b32_e32 v104, v42
	v_cmp_ne_u16_sdwa s1, v121, v115 src0_sel:BYTE_1 src1_sel:DWORD
	v_mov_b32_e32 v103, v41
	s_and_saveexec_b32 s39, s1
	s_cbranch_execz .LBB245_250
; %bb.245:                              ;   in Loop: Header=BB245_11 Depth=1
	v_and_b32_sdwa v35, v116, v121 dst_sel:DWORD dst_unused:UNUSED_PAD src0_sel:DWORD src1_sel:BYTE_1
	v_mov_b32_e32 v43, v36
	v_mov_b32_e32 v104, v44
	s_mov_b32 s40, exec_lo
	v_and_b32_e32 v105, 0x7f, v35
	v_mov_b32_e32 v103, v43
	v_cmpx_ne_u32_e32 0x7f, v105
	s_cbranch_execz .LBB245_249
; %bb.246:                              ;   in Loop: Header=BB245_11 Depth=1
	v_and_b32_e32 v35, 7, v35
	v_lshrrev_b32_e32 v41, 3, v105
	s_mov_b32 s41, exec_lo
	v_cmpx_gt_u32_e32 8, v105
; %bb.247:                              ;   in Loop: Header=BB245_11 Depth=1
	v_ffbh_u32_e32 v41, v35
	v_min_u32_e32 v41, 32, v41
	v_subrev_nc_u32_e32 v43, 28, v41
	v_sub_nc_u32_e32 v41, 29, v41
	v_lshlrev_b64 v[103:104], v43, v[35:36]
	v_and_b32_e32 v35, 7, v103
; %bb.248:                              ;   in Loop: Header=BB245_11 Depth=1
	s_or_b32 exec_lo, exec_lo, s41
	v_lshlrev_b32_e32 v43, 16, v121
	v_lshlrev_b32_e32 v35, 20, v35
	v_lshl_add_u32 v41, v41, 23, 0x3c000000
	v_mov_b32_e32 v103, v36
	v_and_b32_e32 v43, 0x80000000, v43
	v_or3_b32 v104, v35, v43, v41
.LBB245_249:                            ;   in Loop: Header=BB245_11 Depth=1
	s_or_b32 exec_lo, exec_lo, s40
.LBB245_250:                            ;   in Loop: Header=BB245_11 Depth=1
	s_or_b32 exec_lo, exec_lo, s39
.LBB245_251:                            ;   in Loop: Header=BB245_11 Depth=1
	s_or_b32 exec_lo, exec_lo, s2
	v_mov_b32_e32 v107, 0
	v_mov_b32_e32 v105, 0
	v_and_b32_sdwa v35, v121, v117 dst_sel:DWORD dst_unused:UNUSED_PAD src0_sel:WORD_1 src1_sel:DWORD
	v_mov_b32_e32 v108, 0
	v_mov_b32_e32 v106, 0
	s_mov_b32 s2, exec_lo
	v_cmpx_ne_u16_e32 0, v35
	s_cbranch_execz .LBB245_259
; %bb.252:                              ;   in Loop: Header=BB245_11 Depth=1
	v_bfrev_b32_e32 v105, 1
	v_mov_b32_e32 v106, 0
	s_mov_b32 s39, exec_lo
	v_cmpx_ne_u16_e32 0x80, v35
	s_cbranch_execz .LBB245_258
; %bb.253:                              ;   in Loop: Header=BB245_11 Depth=1
	v_mov_b32_e32 v105, 0x7f800001
	v_bfe_u32 v43, v121, 16, 7
	v_mov_b32_e32 v106, 0
	s_mov_b32 s40, exec_lo
	v_cmpx_ne_u32_e32 0x7f, v43
	s_cbranch_execz .LBB245_257
; %bb.254:                              ;   in Loop: Header=BB245_11 Depth=1
	v_and_b32_sdwa v35, v121, v118 dst_sel:DWORD dst_unused:UNUSED_PAD src0_sel:WORD_1 src1_sel:DWORD
	v_lshrrev_b32_e32 v41, 3, v43
	s_mov_b32 s41, exec_lo
	v_cmpx_gt_u32_e32 8, v43
; %bb.255:                              ;   in Loop: Header=BB245_11 Depth=1
	v_ffbh_u32_e32 v41, v35
	v_min_u32_e32 v41, 32, v41
	v_subrev_nc_u32_e32 v43, 28, v41
	v_sub_nc_u32_e32 v41, 29, v41
	v_lshlrev_b64 v[105:106], v43, v[35:36]
	v_and_b32_e32 v35, 7, v105
; %bb.256:                              ;   in Loop: Header=BB245_11 Depth=1
	s_or_b32 exec_lo, exec_lo, s41
	v_lshlrev_b32_sdwa v43, v119, v121 dst_sel:DWORD dst_unused:UNUSED_PAD src0_sel:DWORD src1_sel:WORD_1
	v_lshlrev_b32_e32 v35, 20, v35
	v_lshl_add_u32 v41, v41, 23, 0x3c000000
	v_and_b32_e32 v43, 0x80000000, v43
	v_or3_b32 v35, v35, v43, v41
	v_mov_b32_e32 v106, v36
	v_mov_b32_e32 v105, v35
.LBB245_257:                            ;   in Loop: Header=BB245_11 Depth=1
	s_or_b32 exec_lo, exec_lo, s40
.LBB245_258:                            ;   in Loop: Header=BB245_11 Depth=1
	s_or_b32 exec_lo, exec_lo, s39
.LBB245_259:                            ;   in Loop: Header=BB245_11 Depth=1
	s_or_b32 exec_lo, exec_lo, s2
	s_mov_b32 s2, exec_lo
	v_cmpx_lt_u32_e32 0xffffff, v121
	s_cbranch_execz .LBB245_10
; %bb.260:                              ;   in Loop: Header=BB245_11 Depth=1
	v_mov_b32_e32 v41, v36
	v_mov_b32_e32 v108, v42
	v_cmp_ne_u32_sdwa s1, v121, v115 src0_sel:BYTE_3 src1_sel:DWORD
	v_mov_b32_e32 v107, v41
	s_and_saveexec_b32 s39, s1
	s_cbranch_execz .LBB245_9
; %bb.261:                              ;   in Loop: Header=BB245_11 Depth=1
	v_mov_b32_e32 v43, v36
	v_mov_b32_e32 v108, v44
	v_bfe_u32 v122, v121, 24, 7
	s_mov_b32 s40, exec_lo
	v_mov_b32_e32 v107, v43
	v_cmpx_ne_u32_e32 0x7f, v122
	s_cbranch_execz .LBB245_8
; %bb.262:                              ;   in Loop: Header=BB245_11 Depth=1
	v_and_b32_sdwa v35, v121, v118 dst_sel:DWORD dst_unused:UNUSED_PAD src0_sel:BYTE_3 src1_sel:DWORD
	v_lshrrev_b32_e32 v41, 3, v122
	s_mov_b32 s41, exec_lo
	v_cmpx_gt_u32_e32 8, v122
	s_cbranch_execz .LBB245_7
; %bb.263:                              ;   in Loop: Header=BB245_11 Depth=1
	v_ffbh_u32_e32 v41, v35
	v_min_u32_e32 v41, 32, v41
	v_subrev_nc_u32_e32 v43, 28, v41
	v_sub_nc_u32_e32 v41, 29, v41
	v_lshlrev_b64 v[107:108], v43, v[35:36]
	v_and_b32_e32 v35, 7, v107
	s_branch .LBB245_7
.LBB245_264:
	s_or_b32 exec_lo, exec_lo, s16
.LBB245_265:
	s_or_b32 exec_lo, exec_lo, s37
	v_mbcnt_lo_u32_b32 v1, -1, 0
	v_max_f32_e32 v5, v112, v112
	v_xor_b32_e32 v2, 16, v1
	v_xor_b32_e32 v4, 8, v1
	v_cmp_gt_i32_e32 vcc_lo, 32, v2
	v_cndmask_b32_e32 v2, v1, v2, vcc_lo
	v_cmp_gt_i32_e32 vcc_lo, 32, v4
	v_lshlrev_b32_e32 v2, 2, v2
	v_cndmask_b32_e32 v4, v1, v4, vcc_lo
	ds_bpermute_b32 v3, v2, v112
	s_waitcnt lgkmcnt(0)
	v_max_f32_e32 v6, v3, v3
	v_lshlrev_b32_e32 v3, 2, v4
	v_max_f32_e32 v4, v5, v6
	v_xor_b32_e32 v6, 4, v1
	ds_bpermute_b32 v5, v3, v4
	v_cmp_gt_i32_e32 vcc_lo, 32, v6
	v_cndmask_b32_e32 v6, v1, v6, vcc_lo
	v_lshlrev_b32_e32 v27, 2, v6
	v_xor_b32_e32 v6, 2, v1
	v_cmp_gt_i32_e32 vcc_lo, 32, v6
	s_waitcnt lgkmcnt(0)
	v_max_f32_e32 v5, v5, v5
	v_cndmask_b32_e32 v6, v1, v6, vcc_lo
	v_max_f32_e32 v4, v4, v5
	v_lshlrev_b32_e32 v26, 2, v6
	v_xor_b32_e32 v6, 1, v1
	ds_bpermute_b32 v5, v27, v4
	v_cmp_gt_i32_e32 vcc_lo, 32, v6
	v_cndmask_b32_e32 v6, v1, v6, vcc_lo
	v_cmp_eq_u32_e32 vcc_lo, 0, v110
	v_lshlrev_b32_e32 v25, 2, v6
	s_waitcnt lgkmcnt(0)
	v_max_f32_e32 v5, v5, v5
	v_max_f32_e32 v4, v4, v5
	ds_bpermute_b32 v5, v26, v4
	s_waitcnt lgkmcnt(0)
	v_max_f32_e32 v5, v5, v5
	v_max_f32_e32 v1, v4, v5
	v_lshlrev_b32_e32 v5, 2, v109
	ds_bpermute_b32 v4, v25, v1
	s_and_saveexec_b32 s1, vcc_lo
	s_cbranch_execz .LBB245_267
; %bb.266:
	s_waitcnt lgkmcnt(0)
	v_max_f32_e32 v4, v4, v4
	v_max_f32_e32 v1, v1, v1
	;; [unrolled: 1-line block ×3, first 2 shown]
	ds_write_b32 v5, v1 offset:128
.LBB245_267:
	s_or_b32 exec_lo, exec_lo, s1
	v_cmp_gt_u32_e64 s1, 4, v110
	v_mov_b32_e32 v1, 0xff7fffff
	s_waitcnt lgkmcnt(0)
	s_barrier
	buffer_gl0_inv
	s_and_saveexec_b32 s2, s1
; %bb.268:
	ds_read_b32 v1, v111 offset:128
; %bb.269:
	s_or_b32 exec_lo, exec_lo, s2
	s_waitcnt lgkmcnt(0)
	ds_bpermute_b32 v4, v26, v1
	v_max_f32_e32 v1, v1, v1
	v_mov_b32_e32 v6, 0
	s_sub_i32 s2, s11, s15
	s_lshl_b32 s2, s2, 5
	s_add_i32 s2, s2, s33
	s_min_i32 s2, s2, s29
	s_sub_i32 s4, s2, s33
	v_cmp_gt_i32_e64 s2, s4, v0
	s_waitcnt lgkmcnt(0)
	v_max_f32_e32 v4, v4, v4
	v_max_f32_e32 v1, v1, v4
	ds_bpermute_b32 v4, v25, v1
	s_waitcnt lgkmcnt(0)
	v_max_f32_e32 v4, v4, v4
	v_max_f32_e32 v1, v1, v4
	v_lshl_add_u32 v4, v0, 2, 0xa0
	ds_bpermute_b32 v1, v6, v1
	s_and_saveexec_b32 s5, s2
	s_cbranch_execz .LBB245_273
; %bb.270:
	v_lshl_add_u32 v7, v0, 2, 0xa0
	v_mov_b32_e32 v6, 0
	v_mov_b32_e32 v8, v0
	s_mov_b32 s15, 0
	.p2align	6
.LBB245_271:                            ; =>This Inner Loop Header: Depth=1
	ds_read_b32 v9, v7
	v_add_nc_u32_e32 v8, 0x80, v8
	v_cmp_le_i32_e64 s3, s4, v8
	s_or_b32 s15, s3, s15
	s_waitcnt lgkmcnt(0)
	v_sub_f32_e32 v9, v9, v1
	v_mul_f32_e32 v9, 0x3fb8aa3b, v9
	v_exp_f32_e32 v9, v9
	ds_write_b32 v7, v9
	v_add_f32_e32 v6, v6, v9
	v_add_nc_u32_e32 v7, 0x200, v7
	s_andn2_b32 exec_lo, exec_lo, s15
	s_cbranch_execnz .LBB245_271
; %bb.272:
	s_or_b32 exec_lo, exec_lo, s15
.LBB245_273:
	s_or_b32 exec_lo, exec_lo, s5
	ds_bpermute_b32 v2, v2, v6
	s_waitcnt lgkmcnt(0)
	v_add_f32_e32 v2, v6, v2
	ds_bpermute_b32 v3, v3, v2
	s_waitcnt lgkmcnt(0)
	v_add_f32_e32 v2, v2, v3
	;; [unrolled: 3-line block ×5, first 2 shown]
	s_and_saveexec_b32 s3, vcc_lo
; %bb.274:
	ds_write_b32 v5, v2 offset:144
; %bb.275:
	s_or_b32 exec_lo, exec_lo, s3
	s_waitcnt lgkmcnt(0)
	s_barrier
	buffer_gl0_inv
	s_and_saveexec_b32 s3, s1
; %bb.276:
	ds_read_b32 v2, v111 offset:144
; %bb.277:
	s_or_b32 exec_lo, exec_lo, s3
	s_waitcnt lgkmcnt(0)
	ds_bpermute_b32 v3, v26, v2
	s_waitcnt lgkmcnt(0)
	v_add_f32_e32 v2, v2, v3
	ds_bpermute_b32 v3, v25, v2
	s_waitcnt lgkmcnt(0)
	v_add_f32_e32 v2, v2, v3
	v_mov_b32_e32 v3, 0
	ds_bpermute_b32 v2, v3, v2
	s_and_saveexec_b32 s1, s2
	s_cbranch_execz .LBB245_280
; %bb.278:
	s_waitcnt lgkmcnt(0)
	v_add_f32_e32 v3, 0x358637bd, v2
	s_mov_b32 s2, 0
	v_div_scale_f32 v5, null, v3, v3, 1.0
	v_div_scale_f32 v8, vcc_lo, 1.0, v3, 1.0
	v_rcp_f32_e32 v6, v5
	v_fma_f32 v7, -v5, v6, 1.0
	v_fmac_f32_e32 v6, v7, v6
	v_mul_f32_e32 v7, v8, v6
	v_fma_f32 v9, -v5, v7, v8
	v_fmac_f32_e32 v7, v9, v6
	v_fma_f32 v5, -v5, v7, v8
	v_div_fmas_f32 v5, v5, v6, v7
	v_div_fixup_f32 v3, v5, v3, 1.0
	v_mov_b32_e32 v5, v0
.LBB245_279:                            ; =>This Inner Loop Header: Depth=1
	ds_read_b32 v6, v4
	v_add_nc_u32_e32 v5, 0x80, v5
	v_cmp_le_i32_e32 vcc_lo, s4, v5
	s_or_b32 s2, vcc_lo, s2
	s_waitcnt lgkmcnt(0)
	v_mul_f32_e32 v6, v3, v6
	ds_write_b32 v4, v6
	v_add_nc_u32_e32 v4, 0x200, v4
	s_andn2_b32 exec_lo, exec_lo, s2
	s_cbranch_execnz .LBB245_279
.LBB245_280:
	s_or_b32 exec_lo, exec_lo, s1
	s_mul_i32 s1, s7, s28
	s_waitcnt lgkmcnt(0)
	s_mul_i32 s2, s1, s9
	s_mov_b32 s1, exec_lo
	s_barrier
	buffer_gl0_inv
	v_cmpx_eq_u32_e32 0, v0
	s_cbranch_execz .LBB245_282
; %bb.281:
	s_ashr_i32 s3, s2, 31
	s_mul_i32 s16, s7, s6
	s_lshl_b64 s[4:5], s[2:3], 2
	v_mov_b32_e32 v3, 0
	s_add_u32 s3, s22, s4
	s_addc_u32 s6, s23, s5
	s_ashr_i32 s17, s16, 31
	s_lshl_b64 s[16:17], s[16:17], 2
	s_add_u32 s3, s3, s16
	s_addc_u32 s6, s6, s17
	s_ashr_i32 s9, s8, 31
	s_lshl_b64 s[22:23], s[8:9], 2
	s_add_u32 s36, s3, s22
	s_addc_u32 s37, s6, s23
	s_add_u32 s3, s20, s4
	s_addc_u32 s4, s21, s5
	s_add_u32 s3, s3, s16
	s_addc_u32 s5, s4, s17
	s_add_u32 s4, s3, s22
	s_addc_u32 s5, s5, s23
	global_store_dword v3, v1, s[36:37]
	global_store_dword v3, v2, s[4:5]
.LBB245_282:
	s_or_b32 exec_lo, exec_lo, s1
	v_mov_b32_e32 v36, 0
	v_and_b32_e32 v28, 7, v0
	v_mov_b32_e32 v38, 0
	v_mov_b32_e32 v37, 0
	;; [unrolled: 1-line block ×7, first 2 shown]
	s_and_saveexec_b32 s1, s0
	s_cbranch_execz .LBB245_558
; %bb.283:
	v_lshlrev_b32_e32 v1, 2, v0
	s_load_dword s3, s[18:19], 0x0
	v_lshl_add_u32 v4, v109, 5, s33
	s_ashr_i32 s0, s14, 31
	s_add_u32 s4, s30, s14
	v_and_b32_e32 v2, 28, v1
	v_and_b32_e32 v1, 0x7c, v1
	v_lshlrev_b32_e32 v3, 4, v28
	s_addc_u32 s0, s31, s0
	s_add_i32 s12, s12, -1
	v_add3_u32 v39, v4, v2, 3
	v_add_co_u32 v7, s4, s4, v1
	v_lshlrev_b64 v[1:2], 2, v[33:34]
	v_add_co_ci_u32_e64 v8, null, s0, 0, s4
	s_lshl_b64 s[4:5], s[34:35], 2
	v_lshl_or_b32 v3, v109, 7, v3
	s_add_u32 s0, s26, s4
	s_addc_u32 s4, s27, s5
	v_add_co_u32 v9, vcc_lo, s0, v1
	v_mov_b32_e32 v6, 0
	v_add_nc_u32_e32 v34, 0xa0, v3
	v_add_co_ci_u32_e64 v10, null, s4, v2, vcc_lo
	v_mov_b32_e32 v40, 0x80
	v_bfrev_b32_e32 v12, 1
	v_mov_b32_e32 v41, 0xffff
	v_mov_b32_e32 v14, 0x7f800001
	;; [unrolled: 1-line block ×13, first 2 shown]
	s_mov_b32 s4, s13
	s_waitcnt lgkmcnt(0)
	s_mov_b32 s6, s3
	s_mov_b32 s5, 0
	s_branch .LBB245_285
.LBB245_284:                            ;   in Loop: Header=BB245_285 Depth=1
	s_or_b32 exec_lo, exec_lo, s0
	s_waitcnt lgkmcnt(0)
	v_mul_f32_e32 v16, v1, v73
	v_mul_f32_e32 v17, v1, v71
	;; [unrolled: 1-line block ×8, first 2 shown]
	v_fmac_f32_e32 v16, v2, v72
	v_fmac_f32_e32 v17, v2, v70
	;; [unrolled: 1-line block ×16, first 2 shown]
	v_add_nc_u32_e32 v33, 4, v33
	v_fmac_f32_e32 v16, v4, v23
	v_fmac_f32_e32 v17, v4, v68
	;; [unrolled: 1-line block ×8, first 2 shown]
	v_cmp_le_i32_e32 vcc_lo, s11, v33
	v_add_co_u32 v9, s0, v9, 16
	v_add_f32_e32 v30, v30, v16
	v_add_f32_e32 v31, v31, v17
	;; [unrolled: 1-line block ×8, first 2 shown]
	v_add_nc_u32_e32 v39, 0x80, v39
	v_add_nc_u32_e32 v34, 0x200, v34
	v_add_co_ci_u32_e64 v10, null, 0, v10, s0
	s_or_b32 s5, vcc_lo, s5
	s_andn2_b32 exec_lo, exec_lo, s5
	s_cbranch_execz .LBB245_557
.LBB245_285:                            ; =>This Inner Loop Header: Depth=1
	global_load_dword v1, v[9:10], off
	v_mov_b32_e32 v19, 0
	v_mov_b32_e32 v17, 0
	;; [unrolled: 1-line block ×4, first 2 shown]
	s_waitcnt vmcnt(0)
	v_mad_i64_i32 v[15:16], null, v1, s4, v[7:8]
	ds_read_b128 v[1:4], v34
	global_load_dword v45, v[15:16], off
	s_waitcnt vmcnt(0)
	v_cmp_ne_u16_sdwa s9, v45, v6 src0_sel:BYTE_0 src1_sel:DWORD
	s_and_saveexec_b32 s0, s9
	s_cbranch_execz .LBB245_293
; %bb.286:                              ;   in Loop: Header=BB245_285 Depth=1
	v_bfrev_b32_e32 v17, 1
	v_mov_b32_e32 v18, 0
	v_cmp_ne_u16_sdwa s13, v45, v40 src0_sel:BYTE_0 src1_sel:DWORD
	s_and_saveexec_b32 s9, s13
	s_cbranch_execz .LBB245_292
; %bb.287:                              ;   in Loop: Header=BB245_285 Depth=1
	v_mov_b32_e32 v17, 0x7f800001
	v_and_b32_e32 v13, 0x7f, v45
	v_mov_b32_e32 v18, 0
	s_mov_b32 s13, exec_lo
	v_cmpx_ne_u32_e32 0x7f, v13
	s_cbranch_execz .LBB245_291
; %bb.288:                              ;   in Loop: Header=BB245_285 Depth=1
	v_and_b32_e32 v5, 7, v45
	v_lshrrev_b32_e32 v11, 3, v13
	s_mov_b32 s14, exec_lo
	v_cmpx_gt_u32_e32 8, v13
; %bb.289:                              ;   in Loop: Header=BB245_285 Depth=1
	v_ffbh_u32_e32 v11, v5
	v_min_u32_e32 v11, 32, v11
	v_subrev_nc_u32_e32 v13, 28, v11
	v_sub_nc_u32_e32 v11, 29, v11
	v_lshlrev_b64 v[17:18], v13, v[5:6]
	v_and_b32_e32 v5, 7, v17
; %bb.290:                              ;   in Loop: Header=BB245_285 Depth=1
	s_or_b32 exec_lo, exec_lo, s14
	v_lshlrev_b32_e32 v13, 24, v45
	v_lshlrev_b32_e32 v5, 20, v5
	v_lshl_add_u32 v11, v11, 23, 0x3c000000
	v_and_b32_e32 v13, 0x80000000, v13
	v_or3_b32 v5, v5, v13, v11
	v_mov_b32_e32 v18, v6
	v_mov_b32_e32 v17, v5
.LBB245_291:                            ;   in Loop: Header=BB245_285 Depth=1
	s_or_b32 exec_lo, exec_lo, s13
.LBB245_292:                            ;   in Loop: Header=BB245_285 Depth=1
	s_or_b32 exec_lo, exec_lo, s9
.LBB245_293:                            ;   in Loop: Header=BB245_285 Depth=1
	s_or_b32 exec_lo, exec_lo, s0
	v_cmp_ne_u16_sdwa s9, v45, v6 src0_sel:BYTE_1 src1_sel:DWORD
	s_and_saveexec_b32 s0, s9
	s_cbranch_execz .LBB245_301
; %bb.294:                              ;   in Loop: Header=BB245_285 Depth=1
	v_mov_b32_e32 v11, v6
	v_mov_b32_e32 v20, v12
	v_cmp_ne_u16_sdwa s13, v45, v40 src0_sel:BYTE_1 src1_sel:DWORD
	v_mov_b32_e32 v19, v11
	s_and_saveexec_b32 s9, s13
	s_cbranch_execz .LBB245_300
; %bb.295:                              ;   in Loop: Header=BB245_285 Depth=1
	v_and_b32_sdwa v5, v41, v45 dst_sel:DWORD dst_unused:UNUSED_PAD src0_sel:DWORD src1_sel:BYTE_1
	v_mov_b32_e32 v13, v6
	v_mov_b32_e32 v20, v14
	s_mov_b32 s13, exec_lo
	v_and_b32_e32 v21, 0x7f, v5
	v_mov_b32_e32 v19, v13
	v_cmpx_ne_u32_e32 0x7f, v21
	s_cbranch_execz .LBB245_299
; %bb.296:                              ;   in Loop: Header=BB245_285 Depth=1
	v_and_b32_e32 v5, 7, v5
	v_lshrrev_b32_e32 v11, 3, v21
	s_mov_b32 s14, exec_lo
	v_cmpx_gt_u32_e32 8, v21
; %bb.297:                              ;   in Loop: Header=BB245_285 Depth=1
	v_ffbh_u32_e32 v11, v5
	v_min_u32_e32 v11, 32, v11
	v_subrev_nc_u32_e32 v13, 28, v11
	v_sub_nc_u32_e32 v11, 29, v11
	v_lshlrev_b64 v[19:20], v13, v[5:6]
	v_and_b32_e32 v5, 7, v19
; %bb.298:                              ;   in Loop: Header=BB245_285 Depth=1
	s_or_b32 exec_lo, exec_lo, s14
	v_lshlrev_b32_e32 v13, 16, v45
	v_lshlrev_b32_e32 v5, 20, v5
	v_lshl_add_u32 v11, v11, 23, 0x3c000000
	v_mov_b32_e32 v19, v6
	v_and_b32_e32 v13, 0x80000000, v13
	v_or3_b32 v20, v5, v13, v11
.LBB245_299:                            ;   in Loop: Header=BB245_285 Depth=1
	s_or_b32 exec_lo, exec_lo, s13
.LBB245_300:                            ;   in Loop: Header=BB245_285 Depth=1
	s_or_b32 exec_lo, exec_lo, s9
.LBB245_301:                            ;   in Loop: Header=BB245_285 Depth=1
	s_or_b32 exec_lo, exec_lo, s0
	v_mov_b32_e32 v23, 0
	v_mov_b32_e32 v21, 0
	v_and_b32_sdwa v5, v45, v42 dst_sel:DWORD dst_unused:UNUSED_PAD src0_sel:WORD_1 src1_sel:DWORD
	v_mov_b32_e32 v24, 0
	v_mov_b32_e32 v22, 0
	s_mov_b32 s0, exec_lo
	v_cmpx_ne_u16_e32 0, v5
	s_cbranch_execz .LBB245_309
; %bb.302:                              ;   in Loop: Header=BB245_285 Depth=1
	v_bfrev_b32_e32 v21, 1
	v_mov_b32_e32 v22, 0
	s_mov_b32 s9, exec_lo
	v_cmpx_ne_u16_e32 0x80, v5
	s_cbranch_execz .LBB245_308
; %bb.303:                              ;   in Loop: Header=BB245_285 Depth=1
	v_mov_b32_e32 v21, 0x7f800001
	v_bfe_u32 v13, v45, 16, 7
	v_mov_b32_e32 v22, 0
	s_mov_b32 s13, exec_lo
	v_cmpx_ne_u32_e32 0x7f, v13
	s_cbranch_execz .LBB245_307
; %bb.304:                              ;   in Loop: Header=BB245_285 Depth=1
	v_and_b32_sdwa v5, v45, v43 dst_sel:DWORD dst_unused:UNUSED_PAD src0_sel:WORD_1 src1_sel:DWORD
	v_lshrrev_b32_e32 v11, 3, v13
	s_mov_b32 s14, exec_lo
	v_cmpx_gt_u32_e32 8, v13
; %bb.305:                              ;   in Loop: Header=BB245_285 Depth=1
	v_ffbh_u32_e32 v11, v5
	v_min_u32_e32 v11, 32, v11
	v_subrev_nc_u32_e32 v13, 28, v11
	v_sub_nc_u32_e32 v11, 29, v11
	v_lshlrev_b64 v[21:22], v13, v[5:6]
	v_and_b32_e32 v5, 7, v21
; %bb.306:                              ;   in Loop: Header=BB245_285 Depth=1
	s_or_b32 exec_lo, exec_lo, s14
	v_lshlrev_b32_sdwa v13, v44, v45 dst_sel:DWORD dst_unused:UNUSED_PAD src0_sel:DWORD src1_sel:WORD_1
	v_lshlrev_b32_e32 v5, 20, v5
	v_lshl_add_u32 v11, v11, 23, 0x3c000000
	v_and_b32_e32 v13, 0x80000000, v13
	v_or3_b32 v5, v5, v13, v11
	v_mov_b32_e32 v22, v6
	v_mov_b32_e32 v21, v5
.LBB245_307:                            ;   in Loop: Header=BB245_285 Depth=1
	s_or_b32 exec_lo, exec_lo, s13
.LBB245_308:                            ;   in Loop: Header=BB245_285 Depth=1
	s_or_b32 exec_lo, exec_lo, s9
.LBB245_309:                            ;   in Loop: Header=BB245_285 Depth=1
	s_or_b32 exec_lo, exec_lo, s0
	s_mov_b32 s0, exec_lo
	v_cmpx_lt_u32_e32 0xffffff, v45
	s_cbranch_execz .LBB245_317
; %bb.310:                              ;   in Loop: Header=BB245_285 Depth=1
	v_mov_b32_e32 v11, v6
	v_mov_b32_e32 v24, v12
	v_cmp_ne_u32_sdwa s13, v45, v40 src0_sel:BYTE_3 src1_sel:DWORD
	v_mov_b32_e32 v23, v11
	s_and_saveexec_b32 s9, s13
	s_cbranch_execz .LBB245_316
; %bb.311:                              ;   in Loop: Header=BB245_285 Depth=1
	v_mov_b32_e32 v13, v6
	v_mov_b32_e32 v24, v14
	v_bfe_u32 v46, v45, 24, 7
	s_mov_b32 s13, exec_lo
	v_mov_b32_e32 v23, v13
	v_cmpx_ne_u32_e32 0x7f, v46
	s_cbranch_execz .LBB245_315
; %bb.312:                              ;   in Loop: Header=BB245_285 Depth=1
	v_and_b32_sdwa v5, v45, v43 dst_sel:DWORD dst_unused:UNUSED_PAD src0_sel:BYTE_3 src1_sel:DWORD
	v_lshrrev_b32_e32 v11, 3, v46
	s_mov_b32 s14, exec_lo
	v_cmpx_gt_u32_e32 8, v46
; %bb.313:                              ;   in Loop: Header=BB245_285 Depth=1
	v_ffbh_u32_e32 v11, v5
	v_min_u32_e32 v11, 32, v11
	v_subrev_nc_u32_e32 v13, 28, v11
	v_sub_nc_u32_e32 v11, 29, v11
	v_lshlrev_b64 v[23:24], v13, v[5:6]
	v_and_b32_e32 v5, 7, v23
; %bb.314:                              ;   in Loop: Header=BB245_285 Depth=1
	s_or_b32 exec_lo, exec_lo, s14
	v_lshlrev_b32_sdwa v13, v44, v45 dst_sel:DWORD dst_unused:UNUSED_PAD src0_sel:DWORD src1_sel:BYTE_3
	v_lshlrev_b32_e32 v5, 20, v5
	v_lshl_add_u32 v11, v11, 23, 0x3c000000
	v_mov_b32_e32 v23, v6
	v_and_b32_e32 v13, 0x80000000, v13
	v_or3_b32 v24, v5, v13, v11
.LBB245_315:                            ;   in Loop: Header=BB245_285 Depth=1
	s_or_b32 exec_lo, exec_lo, s13
.LBB245_316:                            ;   in Loop: Header=BB245_285 Depth=1
	s_or_b32 exec_lo, exec_lo, s9
.LBB245_317:                            ;   in Loop: Header=BB245_285 Depth=1
	s_or_b32 exec_lo, exec_lo, s0
	v_or_b32_e32 v5, v20, v18
	v_or_b32_e32 v11, v19, v17
	;; [unrolled: 1-line block ×4, first 2 shown]
	v_add_nc_u32_e32 v49, -3, v39
	v_cmp_eq_u32_e32 vcc_lo, s12, v33
	v_mul_f32_e32 v47, s6, v5
	v_mul_f32_e32 v48, s3, v11
	;; [unrolled: 1-line block ×4, first 2 shown]
	v_add_nc_u32_e32 v51, -2, v39
	v_add_nc_u32_e32 v50, -1, v39
	s_and_saveexec_b32 s9, vcc_lo
	s_cbranch_execz .LBB245_319
; %bb.318:                              ;   in Loop: Header=BB245_285 Depth=1
	v_cmp_gt_i32_e64 s0, s29, v49
	v_cndmask_b32_e64 v48, 0, v48, s0
	v_cmp_gt_i32_e64 s0, s29, v51
	v_cndmask_b32_e64 v47, 0, v47, s0
	;; [unrolled: 2-line block ×4, first 2 shown]
.LBB245_319:                            ;   in Loop: Header=BB245_285 Depth=1
	s_or_b32 exec_lo, exec_lo, s9
	global_load_dword v52, v[15:16], off offset:128
	v_mov_b32_e32 v19, 0
	v_mov_b32_e32 v17, 0
	;; [unrolled: 1-line block ×4, first 2 shown]
	s_waitcnt vmcnt(0)
	v_cmp_ne_u16_sdwa s0, v52, v6 src0_sel:BYTE_0 src1_sel:DWORD
	s_and_saveexec_b32 s9, s0
	s_cbranch_execz .LBB245_327
; %bb.320:                              ;   in Loop: Header=BB245_285 Depth=1
	v_bfrev_b32_e32 v17, 1
	v_mov_b32_e32 v18, 0
	v_cmp_ne_u16_sdwa s0, v52, v40 src0_sel:BYTE_0 src1_sel:DWORD
	s_and_saveexec_b32 s13, s0
	s_cbranch_execz .LBB245_326
; %bb.321:                              ;   in Loop: Header=BB245_285 Depth=1
	v_mov_b32_e32 v17, 0x7f800001
	v_and_b32_e32 v13, 0x7f, v52
	v_mov_b32_e32 v18, 0
	s_mov_b32 s14, exec_lo
	v_cmpx_ne_u32_e32 0x7f, v13
	s_cbranch_execz .LBB245_325
; %bb.322:                              ;   in Loop: Header=BB245_285 Depth=1
	v_and_b32_e32 v5, 7, v52
	v_lshrrev_b32_e32 v11, 3, v13
	s_mov_b32 s15, exec_lo
	v_cmpx_gt_u32_e32 8, v13
; %bb.323:                              ;   in Loop: Header=BB245_285 Depth=1
	v_ffbh_u32_e32 v11, v5
	v_min_u32_e32 v11, 32, v11
	v_subrev_nc_u32_e32 v13, 28, v11
	v_sub_nc_u32_e32 v11, 29, v11
	v_lshlrev_b64 v[17:18], v13, v[5:6]
	v_and_b32_e32 v5, 7, v17
; %bb.324:                              ;   in Loop: Header=BB245_285 Depth=1
	s_or_b32 exec_lo, exec_lo, s15
	v_lshlrev_b32_e32 v13, 24, v52
	v_lshlrev_b32_e32 v5, 20, v5
	v_lshl_add_u32 v11, v11, 23, 0x3c000000
	v_and_b32_e32 v13, 0x80000000, v13
	v_or3_b32 v5, v5, v13, v11
	v_mov_b32_e32 v18, v6
	v_mov_b32_e32 v17, v5
.LBB245_325:                            ;   in Loop: Header=BB245_285 Depth=1
	s_or_b32 exec_lo, exec_lo, s14
.LBB245_326:                            ;   in Loop: Header=BB245_285 Depth=1
	s_or_b32 exec_lo, exec_lo, s13
.LBB245_327:                            ;   in Loop: Header=BB245_285 Depth=1
	s_or_b32 exec_lo, exec_lo, s9
	v_cmp_ne_u16_sdwa s0, v52, v6 src0_sel:BYTE_1 src1_sel:DWORD
	s_and_saveexec_b32 s9, s0
	s_cbranch_execz .LBB245_335
; %bb.328:                              ;   in Loop: Header=BB245_285 Depth=1
	v_mov_b32_e32 v11, v6
	v_mov_b32_e32 v20, v12
	v_cmp_ne_u16_sdwa s0, v52, v40 src0_sel:BYTE_1 src1_sel:DWORD
	v_mov_b32_e32 v19, v11
	s_and_saveexec_b32 s13, s0
	s_cbranch_execz .LBB245_334
; %bb.329:                              ;   in Loop: Header=BB245_285 Depth=1
	v_and_b32_sdwa v5, v41, v52 dst_sel:DWORD dst_unused:UNUSED_PAD src0_sel:DWORD src1_sel:BYTE_1
	v_mov_b32_e32 v13, v6
	v_mov_b32_e32 v20, v14
	s_mov_b32 s14, exec_lo
	v_and_b32_e32 v21, 0x7f, v5
	v_mov_b32_e32 v19, v13
	v_cmpx_ne_u32_e32 0x7f, v21
	s_cbranch_execz .LBB245_333
; %bb.330:                              ;   in Loop: Header=BB245_285 Depth=1
	v_and_b32_e32 v5, 7, v5
	v_lshrrev_b32_e32 v11, 3, v21
	s_mov_b32 s15, exec_lo
	v_cmpx_gt_u32_e32 8, v21
; %bb.331:                              ;   in Loop: Header=BB245_285 Depth=1
	v_ffbh_u32_e32 v11, v5
	v_min_u32_e32 v11, 32, v11
	v_subrev_nc_u32_e32 v13, 28, v11
	v_sub_nc_u32_e32 v11, 29, v11
	v_lshlrev_b64 v[19:20], v13, v[5:6]
	v_and_b32_e32 v5, 7, v19
; %bb.332:                              ;   in Loop: Header=BB245_285 Depth=1
	s_or_b32 exec_lo, exec_lo, s15
	v_lshlrev_b32_e32 v13, 16, v52
	v_lshlrev_b32_e32 v5, 20, v5
	v_lshl_add_u32 v11, v11, 23, 0x3c000000
	v_mov_b32_e32 v19, v6
	v_and_b32_e32 v13, 0x80000000, v13
	v_or3_b32 v20, v5, v13, v11
.LBB245_333:                            ;   in Loop: Header=BB245_285 Depth=1
	s_or_b32 exec_lo, exec_lo, s14
.LBB245_334:                            ;   in Loop: Header=BB245_285 Depth=1
	s_or_b32 exec_lo, exec_lo, s13
.LBB245_335:                            ;   in Loop: Header=BB245_285 Depth=1
	s_or_b32 exec_lo, exec_lo, s9
	v_mov_b32_e32 v23, 0
	v_mov_b32_e32 v21, 0
	v_and_b32_sdwa v5, v52, v42 dst_sel:DWORD dst_unused:UNUSED_PAD src0_sel:WORD_1 src1_sel:DWORD
	v_mov_b32_e32 v24, 0
	v_mov_b32_e32 v22, 0
	s_mov_b32 s9, exec_lo
	v_cmpx_ne_u16_e32 0, v5
	s_cbranch_execz .LBB245_343
; %bb.336:                              ;   in Loop: Header=BB245_285 Depth=1
	v_bfrev_b32_e32 v21, 1
	v_mov_b32_e32 v22, 0
	s_mov_b32 s13, exec_lo
	v_cmpx_ne_u16_e32 0x80, v5
	s_cbranch_execz .LBB245_342
; %bb.337:                              ;   in Loop: Header=BB245_285 Depth=1
	v_mov_b32_e32 v21, 0x7f800001
	v_bfe_u32 v13, v52, 16, 7
	v_mov_b32_e32 v22, 0
	s_mov_b32 s14, exec_lo
	v_cmpx_ne_u32_e32 0x7f, v13
	s_cbranch_execz .LBB245_341
; %bb.338:                              ;   in Loop: Header=BB245_285 Depth=1
	v_and_b32_sdwa v5, v52, v43 dst_sel:DWORD dst_unused:UNUSED_PAD src0_sel:WORD_1 src1_sel:DWORD
	v_lshrrev_b32_e32 v11, 3, v13
	s_mov_b32 s15, exec_lo
	v_cmpx_gt_u32_e32 8, v13
; %bb.339:                              ;   in Loop: Header=BB245_285 Depth=1
	v_ffbh_u32_e32 v11, v5
	v_min_u32_e32 v11, 32, v11
	v_subrev_nc_u32_e32 v13, 28, v11
	v_sub_nc_u32_e32 v11, 29, v11
	v_lshlrev_b64 v[21:22], v13, v[5:6]
	v_and_b32_e32 v5, 7, v21
; %bb.340:                              ;   in Loop: Header=BB245_285 Depth=1
	s_or_b32 exec_lo, exec_lo, s15
	v_lshlrev_b32_sdwa v13, v44, v52 dst_sel:DWORD dst_unused:UNUSED_PAD src0_sel:DWORD src1_sel:WORD_1
	v_lshlrev_b32_e32 v5, 20, v5
	v_lshl_add_u32 v11, v11, 23, 0x3c000000
	v_and_b32_e32 v13, 0x80000000, v13
	v_or3_b32 v5, v5, v13, v11
	v_mov_b32_e32 v22, v6
	v_mov_b32_e32 v21, v5
.LBB245_341:                            ;   in Loop: Header=BB245_285 Depth=1
	s_or_b32 exec_lo, exec_lo, s14
.LBB245_342:                            ;   in Loop: Header=BB245_285 Depth=1
	s_or_b32 exec_lo, exec_lo, s13
.LBB245_343:                            ;   in Loop: Header=BB245_285 Depth=1
	s_or_b32 exec_lo, exec_lo, s9
	s_mov_b32 s9, exec_lo
	v_cmpx_lt_u32_e32 0xffffff, v52
	s_cbranch_execz .LBB245_351
; %bb.344:                              ;   in Loop: Header=BB245_285 Depth=1
	v_mov_b32_e32 v11, v6
	v_mov_b32_e32 v24, v12
	v_cmp_ne_u32_sdwa s0, v52, v40 src0_sel:BYTE_3 src1_sel:DWORD
	v_mov_b32_e32 v23, v11
	s_and_saveexec_b32 s13, s0
	s_cbranch_execz .LBB245_350
; %bb.345:                              ;   in Loop: Header=BB245_285 Depth=1
	v_mov_b32_e32 v13, v6
	v_mov_b32_e32 v24, v14
	v_bfe_u32 v53, v52, 24, 7
	s_mov_b32 s14, exec_lo
	v_mov_b32_e32 v23, v13
	v_cmpx_ne_u32_e32 0x7f, v53
	s_cbranch_execz .LBB245_349
; %bb.346:                              ;   in Loop: Header=BB245_285 Depth=1
	v_and_b32_sdwa v5, v52, v43 dst_sel:DWORD dst_unused:UNUSED_PAD src0_sel:BYTE_3 src1_sel:DWORD
	v_lshrrev_b32_e32 v11, 3, v53
	s_mov_b32 s15, exec_lo
	v_cmpx_gt_u32_e32 8, v53
; %bb.347:                              ;   in Loop: Header=BB245_285 Depth=1
	v_ffbh_u32_e32 v11, v5
	v_min_u32_e32 v11, 32, v11
	v_subrev_nc_u32_e32 v13, 28, v11
	v_sub_nc_u32_e32 v11, 29, v11
	v_lshlrev_b64 v[23:24], v13, v[5:6]
	v_and_b32_e32 v5, 7, v23
; %bb.348:                              ;   in Loop: Header=BB245_285 Depth=1
	s_or_b32 exec_lo, exec_lo, s15
	v_lshlrev_b32_sdwa v13, v44, v52 dst_sel:DWORD dst_unused:UNUSED_PAD src0_sel:DWORD src1_sel:BYTE_3
	v_lshlrev_b32_e32 v5, 20, v5
	v_lshl_add_u32 v11, v11, 23, 0x3c000000
	v_mov_b32_e32 v23, v6
	v_and_b32_e32 v13, 0x80000000, v13
	v_or3_b32 v24, v5, v13, v11
.LBB245_349:                            ;   in Loop: Header=BB245_285 Depth=1
	s_or_b32 exec_lo, exec_lo, s14
.LBB245_350:                            ;   in Loop: Header=BB245_285 Depth=1
	s_or_b32 exec_lo, exec_lo, s13
.LBB245_351:                            ;   in Loop: Header=BB245_285 Depth=1
	s_or_b32 exec_lo, exec_lo, s9
	v_or_b32_e32 v5, v20, v18
	v_or_b32_e32 v11, v19, v17
	;; [unrolled: 1-line block ×4, first 2 shown]
	v_mul_f32_e32 v54, s6, v5
	v_mul_f32_e32 v55, s3, v11
	;; [unrolled: 1-line block ×4, first 2 shown]
	s_and_saveexec_b32 s9, vcc_lo
	s_cbranch_execz .LBB245_353
; %bb.352:                              ;   in Loop: Header=BB245_285 Depth=1
	v_cmp_gt_i32_e64 s0, s29, v49
	v_cndmask_b32_e64 v55, 0, v55, s0
	v_cmp_gt_i32_e64 s0, s29, v51
	v_cndmask_b32_e64 v54, 0, v54, s0
	;; [unrolled: 2-line block ×4, first 2 shown]
.LBB245_353:                            ;   in Loop: Header=BB245_285 Depth=1
	s_or_b32 exec_lo, exec_lo, s9
	global_load_dword v56, v[15:16], off offset:256
	v_mov_b32_e32 v19, 0
	v_mov_b32_e32 v17, 0
	;; [unrolled: 1-line block ×4, first 2 shown]
	s_waitcnt vmcnt(0)
	v_cmp_ne_u16_sdwa s0, v56, v6 src0_sel:BYTE_0 src1_sel:DWORD
	s_and_saveexec_b32 s9, s0
	s_cbranch_execz .LBB245_361
; %bb.354:                              ;   in Loop: Header=BB245_285 Depth=1
	v_bfrev_b32_e32 v17, 1
	v_mov_b32_e32 v18, 0
	v_cmp_ne_u16_sdwa s0, v56, v40 src0_sel:BYTE_0 src1_sel:DWORD
	s_and_saveexec_b32 s13, s0
	s_cbranch_execz .LBB245_360
; %bb.355:                              ;   in Loop: Header=BB245_285 Depth=1
	v_mov_b32_e32 v17, 0x7f800001
	v_and_b32_e32 v13, 0x7f, v56
	v_mov_b32_e32 v18, 0
	s_mov_b32 s14, exec_lo
	v_cmpx_ne_u32_e32 0x7f, v13
	s_cbranch_execz .LBB245_359
; %bb.356:                              ;   in Loop: Header=BB245_285 Depth=1
	v_and_b32_e32 v5, 7, v56
	v_lshrrev_b32_e32 v11, 3, v13
	s_mov_b32 s15, exec_lo
	v_cmpx_gt_u32_e32 8, v13
; %bb.357:                              ;   in Loop: Header=BB245_285 Depth=1
	v_ffbh_u32_e32 v11, v5
	v_min_u32_e32 v11, 32, v11
	v_subrev_nc_u32_e32 v13, 28, v11
	v_sub_nc_u32_e32 v11, 29, v11
	v_lshlrev_b64 v[17:18], v13, v[5:6]
	v_and_b32_e32 v5, 7, v17
; %bb.358:                              ;   in Loop: Header=BB245_285 Depth=1
	s_or_b32 exec_lo, exec_lo, s15
	v_lshlrev_b32_e32 v13, 24, v56
	v_lshlrev_b32_e32 v5, 20, v5
	v_lshl_add_u32 v11, v11, 23, 0x3c000000
	v_and_b32_e32 v13, 0x80000000, v13
	v_or3_b32 v5, v5, v13, v11
	v_mov_b32_e32 v18, v6
	v_mov_b32_e32 v17, v5
.LBB245_359:                            ;   in Loop: Header=BB245_285 Depth=1
	s_or_b32 exec_lo, exec_lo, s14
.LBB245_360:                            ;   in Loop: Header=BB245_285 Depth=1
	s_or_b32 exec_lo, exec_lo, s13
.LBB245_361:                            ;   in Loop: Header=BB245_285 Depth=1
	s_or_b32 exec_lo, exec_lo, s9
	v_cmp_ne_u16_sdwa s0, v56, v6 src0_sel:BYTE_1 src1_sel:DWORD
	s_and_saveexec_b32 s9, s0
	s_cbranch_execz .LBB245_369
; %bb.362:                              ;   in Loop: Header=BB245_285 Depth=1
	v_mov_b32_e32 v11, v6
	v_mov_b32_e32 v20, v12
	v_cmp_ne_u16_sdwa s0, v56, v40 src0_sel:BYTE_1 src1_sel:DWORD
	v_mov_b32_e32 v19, v11
	s_and_saveexec_b32 s13, s0
	s_cbranch_execz .LBB245_368
; %bb.363:                              ;   in Loop: Header=BB245_285 Depth=1
	v_and_b32_sdwa v5, v41, v56 dst_sel:DWORD dst_unused:UNUSED_PAD src0_sel:DWORD src1_sel:BYTE_1
	v_mov_b32_e32 v13, v6
	v_mov_b32_e32 v20, v14
	s_mov_b32 s14, exec_lo
	v_and_b32_e32 v21, 0x7f, v5
	v_mov_b32_e32 v19, v13
	v_cmpx_ne_u32_e32 0x7f, v21
	s_cbranch_execz .LBB245_367
; %bb.364:                              ;   in Loop: Header=BB245_285 Depth=1
	v_and_b32_e32 v5, 7, v5
	v_lshrrev_b32_e32 v11, 3, v21
	s_mov_b32 s15, exec_lo
	v_cmpx_gt_u32_e32 8, v21
; %bb.365:                              ;   in Loop: Header=BB245_285 Depth=1
	v_ffbh_u32_e32 v11, v5
	v_min_u32_e32 v11, 32, v11
	v_subrev_nc_u32_e32 v13, 28, v11
	v_sub_nc_u32_e32 v11, 29, v11
	v_lshlrev_b64 v[19:20], v13, v[5:6]
	v_and_b32_e32 v5, 7, v19
; %bb.366:                              ;   in Loop: Header=BB245_285 Depth=1
	s_or_b32 exec_lo, exec_lo, s15
	v_lshlrev_b32_e32 v13, 16, v56
	v_lshlrev_b32_e32 v5, 20, v5
	v_lshl_add_u32 v11, v11, 23, 0x3c000000
	v_mov_b32_e32 v19, v6
	v_and_b32_e32 v13, 0x80000000, v13
	v_or3_b32 v20, v5, v13, v11
.LBB245_367:                            ;   in Loop: Header=BB245_285 Depth=1
	s_or_b32 exec_lo, exec_lo, s14
.LBB245_368:                            ;   in Loop: Header=BB245_285 Depth=1
	s_or_b32 exec_lo, exec_lo, s13
.LBB245_369:                            ;   in Loop: Header=BB245_285 Depth=1
	s_or_b32 exec_lo, exec_lo, s9
	v_mov_b32_e32 v23, 0
	v_mov_b32_e32 v21, 0
	v_and_b32_sdwa v5, v56, v42 dst_sel:DWORD dst_unused:UNUSED_PAD src0_sel:WORD_1 src1_sel:DWORD
	v_mov_b32_e32 v24, 0
	v_mov_b32_e32 v22, 0
	s_mov_b32 s9, exec_lo
	v_cmpx_ne_u16_e32 0, v5
	s_cbranch_execz .LBB245_377
; %bb.370:                              ;   in Loop: Header=BB245_285 Depth=1
	v_bfrev_b32_e32 v21, 1
	v_mov_b32_e32 v22, 0
	s_mov_b32 s13, exec_lo
	v_cmpx_ne_u16_e32 0x80, v5
	s_cbranch_execz .LBB245_376
; %bb.371:                              ;   in Loop: Header=BB245_285 Depth=1
	v_mov_b32_e32 v21, 0x7f800001
	v_bfe_u32 v13, v56, 16, 7
	v_mov_b32_e32 v22, 0
	s_mov_b32 s14, exec_lo
	v_cmpx_ne_u32_e32 0x7f, v13
	s_cbranch_execz .LBB245_375
; %bb.372:                              ;   in Loop: Header=BB245_285 Depth=1
	v_and_b32_sdwa v5, v56, v43 dst_sel:DWORD dst_unused:UNUSED_PAD src0_sel:WORD_1 src1_sel:DWORD
	v_lshrrev_b32_e32 v11, 3, v13
	s_mov_b32 s15, exec_lo
	v_cmpx_gt_u32_e32 8, v13
; %bb.373:                              ;   in Loop: Header=BB245_285 Depth=1
	v_ffbh_u32_e32 v11, v5
	v_min_u32_e32 v11, 32, v11
	v_subrev_nc_u32_e32 v13, 28, v11
	v_sub_nc_u32_e32 v11, 29, v11
	v_lshlrev_b64 v[21:22], v13, v[5:6]
	v_and_b32_e32 v5, 7, v21
; %bb.374:                              ;   in Loop: Header=BB245_285 Depth=1
	s_or_b32 exec_lo, exec_lo, s15
	v_lshlrev_b32_sdwa v13, v44, v56 dst_sel:DWORD dst_unused:UNUSED_PAD src0_sel:DWORD src1_sel:WORD_1
	v_lshlrev_b32_e32 v5, 20, v5
	v_lshl_add_u32 v11, v11, 23, 0x3c000000
	v_and_b32_e32 v13, 0x80000000, v13
	v_or3_b32 v5, v5, v13, v11
	v_mov_b32_e32 v22, v6
	v_mov_b32_e32 v21, v5
.LBB245_375:                            ;   in Loop: Header=BB245_285 Depth=1
	s_or_b32 exec_lo, exec_lo, s14
.LBB245_376:                            ;   in Loop: Header=BB245_285 Depth=1
	s_or_b32 exec_lo, exec_lo, s13
.LBB245_377:                            ;   in Loop: Header=BB245_285 Depth=1
	s_or_b32 exec_lo, exec_lo, s9
	s_mov_b32 s9, exec_lo
	v_cmpx_lt_u32_e32 0xffffff, v56
	s_cbranch_execz .LBB245_385
; %bb.378:                              ;   in Loop: Header=BB245_285 Depth=1
	v_mov_b32_e32 v11, v6
	v_mov_b32_e32 v24, v12
	v_cmp_ne_u32_sdwa s0, v56, v40 src0_sel:BYTE_3 src1_sel:DWORD
	v_mov_b32_e32 v23, v11
	s_and_saveexec_b32 s13, s0
	s_cbranch_execz .LBB245_384
; %bb.379:                              ;   in Loop: Header=BB245_285 Depth=1
	v_mov_b32_e32 v13, v6
	v_mov_b32_e32 v24, v14
	v_bfe_u32 v57, v56, 24, 7
	s_mov_b32 s14, exec_lo
	v_mov_b32_e32 v23, v13
	v_cmpx_ne_u32_e32 0x7f, v57
	s_cbranch_execz .LBB245_383
; %bb.380:                              ;   in Loop: Header=BB245_285 Depth=1
	v_and_b32_sdwa v5, v56, v43 dst_sel:DWORD dst_unused:UNUSED_PAD src0_sel:BYTE_3 src1_sel:DWORD
	v_lshrrev_b32_e32 v11, 3, v57
	s_mov_b32 s15, exec_lo
	v_cmpx_gt_u32_e32 8, v57
; %bb.381:                              ;   in Loop: Header=BB245_285 Depth=1
	v_ffbh_u32_e32 v11, v5
	v_min_u32_e32 v11, 32, v11
	v_subrev_nc_u32_e32 v13, 28, v11
	v_sub_nc_u32_e32 v11, 29, v11
	v_lshlrev_b64 v[23:24], v13, v[5:6]
	v_and_b32_e32 v5, 7, v23
; %bb.382:                              ;   in Loop: Header=BB245_285 Depth=1
	s_or_b32 exec_lo, exec_lo, s15
	v_lshlrev_b32_sdwa v13, v44, v56 dst_sel:DWORD dst_unused:UNUSED_PAD src0_sel:DWORD src1_sel:BYTE_3
	v_lshlrev_b32_e32 v5, 20, v5
	v_lshl_add_u32 v11, v11, 23, 0x3c000000
	v_mov_b32_e32 v23, v6
	v_and_b32_e32 v13, 0x80000000, v13
	v_or3_b32 v24, v5, v13, v11
.LBB245_383:                            ;   in Loop: Header=BB245_285 Depth=1
	s_or_b32 exec_lo, exec_lo, s14
.LBB245_384:                            ;   in Loop: Header=BB245_285 Depth=1
	s_or_b32 exec_lo, exec_lo, s13
.LBB245_385:                            ;   in Loop: Header=BB245_285 Depth=1
	s_or_b32 exec_lo, exec_lo, s9
	v_or_b32_e32 v5, v20, v18
	v_or_b32_e32 v11, v19, v17
	;; [unrolled: 1-line block ×4, first 2 shown]
	v_mul_f32_e32 v58, s6, v5
	v_mul_f32_e32 v59, s3, v11
	;; [unrolled: 1-line block ×4, first 2 shown]
	s_and_saveexec_b32 s9, vcc_lo
	s_cbranch_execz .LBB245_387
; %bb.386:                              ;   in Loop: Header=BB245_285 Depth=1
	v_cmp_gt_i32_e64 s0, s29, v49
	v_cndmask_b32_e64 v59, 0, v59, s0
	v_cmp_gt_i32_e64 s0, s29, v51
	v_cndmask_b32_e64 v58, 0, v58, s0
	;; [unrolled: 2-line block ×4, first 2 shown]
.LBB245_387:                            ;   in Loop: Header=BB245_285 Depth=1
	s_or_b32 exec_lo, exec_lo, s9
	global_load_dword v60, v[15:16], off offset:384
	v_mov_b32_e32 v19, 0
	v_mov_b32_e32 v17, 0
	;; [unrolled: 1-line block ×4, first 2 shown]
	s_waitcnt vmcnt(0)
	v_cmp_ne_u16_sdwa s0, v60, v6 src0_sel:BYTE_0 src1_sel:DWORD
	s_and_saveexec_b32 s9, s0
	s_cbranch_execz .LBB245_395
; %bb.388:                              ;   in Loop: Header=BB245_285 Depth=1
	v_bfrev_b32_e32 v17, 1
	v_mov_b32_e32 v18, 0
	v_cmp_ne_u16_sdwa s0, v60, v40 src0_sel:BYTE_0 src1_sel:DWORD
	s_and_saveexec_b32 s13, s0
	s_cbranch_execz .LBB245_394
; %bb.389:                              ;   in Loop: Header=BB245_285 Depth=1
	v_mov_b32_e32 v17, 0x7f800001
	v_and_b32_e32 v13, 0x7f, v60
	v_mov_b32_e32 v18, 0
	s_mov_b32 s14, exec_lo
	v_cmpx_ne_u32_e32 0x7f, v13
	s_cbranch_execz .LBB245_393
; %bb.390:                              ;   in Loop: Header=BB245_285 Depth=1
	v_and_b32_e32 v5, 7, v60
	v_lshrrev_b32_e32 v11, 3, v13
	s_mov_b32 s15, exec_lo
	v_cmpx_gt_u32_e32 8, v13
; %bb.391:                              ;   in Loop: Header=BB245_285 Depth=1
	v_ffbh_u32_e32 v11, v5
	v_min_u32_e32 v11, 32, v11
	v_subrev_nc_u32_e32 v13, 28, v11
	v_sub_nc_u32_e32 v11, 29, v11
	v_lshlrev_b64 v[17:18], v13, v[5:6]
	v_and_b32_e32 v5, 7, v17
; %bb.392:                              ;   in Loop: Header=BB245_285 Depth=1
	s_or_b32 exec_lo, exec_lo, s15
	v_lshlrev_b32_e32 v13, 24, v60
	v_lshlrev_b32_e32 v5, 20, v5
	v_lshl_add_u32 v11, v11, 23, 0x3c000000
	v_and_b32_e32 v13, 0x80000000, v13
	v_or3_b32 v5, v5, v13, v11
	v_mov_b32_e32 v18, v6
	v_mov_b32_e32 v17, v5
.LBB245_393:                            ;   in Loop: Header=BB245_285 Depth=1
	s_or_b32 exec_lo, exec_lo, s14
.LBB245_394:                            ;   in Loop: Header=BB245_285 Depth=1
	s_or_b32 exec_lo, exec_lo, s13
.LBB245_395:                            ;   in Loop: Header=BB245_285 Depth=1
	s_or_b32 exec_lo, exec_lo, s9
	v_cmp_ne_u16_sdwa s0, v60, v6 src0_sel:BYTE_1 src1_sel:DWORD
	s_and_saveexec_b32 s9, s0
	s_cbranch_execz .LBB245_403
; %bb.396:                              ;   in Loop: Header=BB245_285 Depth=1
	v_mov_b32_e32 v11, v6
	v_mov_b32_e32 v20, v12
	v_cmp_ne_u16_sdwa s0, v60, v40 src0_sel:BYTE_1 src1_sel:DWORD
	v_mov_b32_e32 v19, v11
	s_and_saveexec_b32 s13, s0
	s_cbranch_execz .LBB245_402
; %bb.397:                              ;   in Loop: Header=BB245_285 Depth=1
	v_and_b32_sdwa v5, v41, v60 dst_sel:DWORD dst_unused:UNUSED_PAD src0_sel:DWORD src1_sel:BYTE_1
	v_mov_b32_e32 v13, v6
	v_mov_b32_e32 v20, v14
	s_mov_b32 s14, exec_lo
	v_and_b32_e32 v21, 0x7f, v5
	v_mov_b32_e32 v19, v13
	v_cmpx_ne_u32_e32 0x7f, v21
	s_cbranch_execz .LBB245_401
; %bb.398:                              ;   in Loop: Header=BB245_285 Depth=1
	v_and_b32_e32 v5, 7, v5
	v_lshrrev_b32_e32 v11, 3, v21
	s_mov_b32 s15, exec_lo
	v_cmpx_gt_u32_e32 8, v21
; %bb.399:                              ;   in Loop: Header=BB245_285 Depth=1
	v_ffbh_u32_e32 v11, v5
	v_min_u32_e32 v11, 32, v11
	v_subrev_nc_u32_e32 v13, 28, v11
	v_sub_nc_u32_e32 v11, 29, v11
	v_lshlrev_b64 v[19:20], v13, v[5:6]
	v_and_b32_e32 v5, 7, v19
; %bb.400:                              ;   in Loop: Header=BB245_285 Depth=1
	s_or_b32 exec_lo, exec_lo, s15
	v_lshlrev_b32_e32 v13, 16, v60
	v_lshlrev_b32_e32 v5, 20, v5
	v_lshl_add_u32 v11, v11, 23, 0x3c000000
	v_mov_b32_e32 v19, v6
	v_and_b32_e32 v13, 0x80000000, v13
	v_or3_b32 v20, v5, v13, v11
.LBB245_401:                            ;   in Loop: Header=BB245_285 Depth=1
	s_or_b32 exec_lo, exec_lo, s14
.LBB245_402:                            ;   in Loop: Header=BB245_285 Depth=1
	s_or_b32 exec_lo, exec_lo, s13
.LBB245_403:                            ;   in Loop: Header=BB245_285 Depth=1
	s_or_b32 exec_lo, exec_lo, s9
	v_mov_b32_e32 v23, 0
	v_mov_b32_e32 v21, 0
	v_and_b32_sdwa v5, v60, v42 dst_sel:DWORD dst_unused:UNUSED_PAD src0_sel:WORD_1 src1_sel:DWORD
	v_mov_b32_e32 v24, 0
	v_mov_b32_e32 v22, 0
	s_mov_b32 s9, exec_lo
	v_cmpx_ne_u16_e32 0, v5
	s_cbranch_execz .LBB245_411
; %bb.404:                              ;   in Loop: Header=BB245_285 Depth=1
	v_bfrev_b32_e32 v21, 1
	v_mov_b32_e32 v22, 0
	s_mov_b32 s13, exec_lo
	v_cmpx_ne_u16_e32 0x80, v5
	s_cbranch_execz .LBB245_410
; %bb.405:                              ;   in Loop: Header=BB245_285 Depth=1
	v_mov_b32_e32 v21, 0x7f800001
	v_bfe_u32 v13, v60, 16, 7
	v_mov_b32_e32 v22, 0
	s_mov_b32 s14, exec_lo
	v_cmpx_ne_u32_e32 0x7f, v13
	s_cbranch_execz .LBB245_409
; %bb.406:                              ;   in Loop: Header=BB245_285 Depth=1
	v_and_b32_sdwa v5, v60, v43 dst_sel:DWORD dst_unused:UNUSED_PAD src0_sel:WORD_1 src1_sel:DWORD
	v_lshrrev_b32_e32 v11, 3, v13
	s_mov_b32 s15, exec_lo
	v_cmpx_gt_u32_e32 8, v13
; %bb.407:                              ;   in Loop: Header=BB245_285 Depth=1
	v_ffbh_u32_e32 v11, v5
	v_min_u32_e32 v11, 32, v11
	v_subrev_nc_u32_e32 v13, 28, v11
	v_sub_nc_u32_e32 v11, 29, v11
	v_lshlrev_b64 v[21:22], v13, v[5:6]
	v_and_b32_e32 v5, 7, v21
; %bb.408:                              ;   in Loop: Header=BB245_285 Depth=1
	s_or_b32 exec_lo, exec_lo, s15
	v_lshlrev_b32_sdwa v13, v44, v60 dst_sel:DWORD dst_unused:UNUSED_PAD src0_sel:DWORD src1_sel:WORD_1
	v_lshlrev_b32_e32 v5, 20, v5
	v_lshl_add_u32 v11, v11, 23, 0x3c000000
	v_and_b32_e32 v13, 0x80000000, v13
	v_or3_b32 v5, v5, v13, v11
	v_mov_b32_e32 v22, v6
	v_mov_b32_e32 v21, v5
.LBB245_409:                            ;   in Loop: Header=BB245_285 Depth=1
	s_or_b32 exec_lo, exec_lo, s14
.LBB245_410:                            ;   in Loop: Header=BB245_285 Depth=1
	s_or_b32 exec_lo, exec_lo, s13
.LBB245_411:                            ;   in Loop: Header=BB245_285 Depth=1
	s_or_b32 exec_lo, exec_lo, s9
	s_mov_b32 s9, exec_lo
	v_cmpx_lt_u32_e32 0xffffff, v60
	s_cbranch_execz .LBB245_419
; %bb.412:                              ;   in Loop: Header=BB245_285 Depth=1
	v_mov_b32_e32 v11, v6
	v_mov_b32_e32 v24, v12
	v_cmp_ne_u32_sdwa s0, v60, v40 src0_sel:BYTE_3 src1_sel:DWORD
	v_mov_b32_e32 v23, v11
	s_and_saveexec_b32 s13, s0
	s_cbranch_execz .LBB245_418
; %bb.413:                              ;   in Loop: Header=BB245_285 Depth=1
	v_mov_b32_e32 v13, v6
	v_mov_b32_e32 v24, v14
	v_bfe_u32 v61, v60, 24, 7
	s_mov_b32 s14, exec_lo
	v_mov_b32_e32 v23, v13
	v_cmpx_ne_u32_e32 0x7f, v61
	s_cbranch_execz .LBB245_417
; %bb.414:                              ;   in Loop: Header=BB245_285 Depth=1
	v_and_b32_sdwa v5, v60, v43 dst_sel:DWORD dst_unused:UNUSED_PAD src0_sel:BYTE_3 src1_sel:DWORD
	v_lshrrev_b32_e32 v11, 3, v61
	s_mov_b32 s15, exec_lo
	v_cmpx_gt_u32_e32 8, v61
; %bb.415:                              ;   in Loop: Header=BB245_285 Depth=1
	v_ffbh_u32_e32 v11, v5
	v_min_u32_e32 v11, 32, v11
	v_subrev_nc_u32_e32 v13, 28, v11
	v_sub_nc_u32_e32 v11, 29, v11
	v_lshlrev_b64 v[23:24], v13, v[5:6]
	v_and_b32_e32 v5, 7, v23
; %bb.416:                              ;   in Loop: Header=BB245_285 Depth=1
	s_or_b32 exec_lo, exec_lo, s15
	v_lshlrev_b32_sdwa v13, v44, v60 dst_sel:DWORD dst_unused:UNUSED_PAD src0_sel:DWORD src1_sel:BYTE_3
	v_lshlrev_b32_e32 v5, 20, v5
	v_lshl_add_u32 v11, v11, 23, 0x3c000000
	v_mov_b32_e32 v23, v6
	v_and_b32_e32 v13, 0x80000000, v13
	v_or3_b32 v24, v5, v13, v11
.LBB245_417:                            ;   in Loop: Header=BB245_285 Depth=1
	s_or_b32 exec_lo, exec_lo, s14
.LBB245_418:                            ;   in Loop: Header=BB245_285 Depth=1
	s_or_b32 exec_lo, exec_lo, s13
.LBB245_419:                            ;   in Loop: Header=BB245_285 Depth=1
	s_or_b32 exec_lo, exec_lo, s9
	v_or_b32_e32 v5, v20, v18
	v_or_b32_e32 v11, v19, v17
	;; [unrolled: 1-line block ×4, first 2 shown]
	v_mul_f32_e32 v62, s6, v5
	v_mul_f32_e32 v63, s3, v11
	;; [unrolled: 1-line block ×4, first 2 shown]
	s_and_saveexec_b32 s9, vcc_lo
	s_cbranch_execz .LBB245_421
; %bb.420:                              ;   in Loop: Header=BB245_285 Depth=1
	v_cmp_gt_i32_e64 s0, s29, v49
	v_cndmask_b32_e64 v63, 0, v63, s0
	v_cmp_gt_i32_e64 s0, s29, v51
	v_cndmask_b32_e64 v62, 0, v62, s0
	;; [unrolled: 2-line block ×4, first 2 shown]
.LBB245_421:                            ;   in Loop: Header=BB245_285 Depth=1
	s_or_b32 exec_lo, exec_lo, s9
	global_load_dword v64, v[15:16], off offset:512
	v_mov_b32_e32 v19, 0
	v_mov_b32_e32 v17, 0
	;; [unrolled: 1-line block ×4, first 2 shown]
	s_waitcnt vmcnt(0)
	v_cmp_ne_u16_sdwa s0, v64, v6 src0_sel:BYTE_0 src1_sel:DWORD
	s_and_saveexec_b32 s9, s0
	s_cbranch_execz .LBB245_429
; %bb.422:                              ;   in Loop: Header=BB245_285 Depth=1
	v_bfrev_b32_e32 v17, 1
	v_mov_b32_e32 v18, 0
	v_cmp_ne_u16_sdwa s0, v64, v40 src0_sel:BYTE_0 src1_sel:DWORD
	s_and_saveexec_b32 s13, s0
	s_cbranch_execz .LBB245_428
; %bb.423:                              ;   in Loop: Header=BB245_285 Depth=1
	v_mov_b32_e32 v17, 0x7f800001
	v_and_b32_e32 v13, 0x7f, v64
	v_mov_b32_e32 v18, 0
	s_mov_b32 s14, exec_lo
	v_cmpx_ne_u32_e32 0x7f, v13
	s_cbranch_execz .LBB245_427
; %bb.424:                              ;   in Loop: Header=BB245_285 Depth=1
	v_and_b32_e32 v5, 7, v64
	v_lshrrev_b32_e32 v11, 3, v13
	s_mov_b32 s15, exec_lo
	v_cmpx_gt_u32_e32 8, v13
; %bb.425:                              ;   in Loop: Header=BB245_285 Depth=1
	v_ffbh_u32_e32 v11, v5
	v_min_u32_e32 v11, 32, v11
	v_subrev_nc_u32_e32 v13, 28, v11
	v_sub_nc_u32_e32 v11, 29, v11
	v_lshlrev_b64 v[17:18], v13, v[5:6]
	v_and_b32_e32 v5, 7, v17
; %bb.426:                              ;   in Loop: Header=BB245_285 Depth=1
	s_or_b32 exec_lo, exec_lo, s15
	v_lshlrev_b32_e32 v13, 24, v64
	v_lshlrev_b32_e32 v5, 20, v5
	v_lshl_add_u32 v11, v11, 23, 0x3c000000
	v_and_b32_e32 v13, 0x80000000, v13
	v_or3_b32 v5, v5, v13, v11
	v_mov_b32_e32 v18, v6
	v_mov_b32_e32 v17, v5
.LBB245_427:                            ;   in Loop: Header=BB245_285 Depth=1
	s_or_b32 exec_lo, exec_lo, s14
.LBB245_428:                            ;   in Loop: Header=BB245_285 Depth=1
	s_or_b32 exec_lo, exec_lo, s13
.LBB245_429:                            ;   in Loop: Header=BB245_285 Depth=1
	s_or_b32 exec_lo, exec_lo, s9
	v_cmp_ne_u16_sdwa s0, v64, v6 src0_sel:BYTE_1 src1_sel:DWORD
	s_and_saveexec_b32 s9, s0
	s_cbranch_execz .LBB245_437
; %bb.430:                              ;   in Loop: Header=BB245_285 Depth=1
	v_mov_b32_e32 v11, v6
	v_mov_b32_e32 v20, v12
	v_cmp_ne_u16_sdwa s0, v64, v40 src0_sel:BYTE_1 src1_sel:DWORD
	v_mov_b32_e32 v19, v11
	s_and_saveexec_b32 s13, s0
	s_cbranch_execz .LBB245_436
; %bb.431:                              ;   in Loop: Header=BB245_285 Depth=1
	v_and_b32_sdwa v5, v41, v64 dst_sel:DWORD dst_unused:UNUSED_PAD src0_sel:DWORD src1_sel:BYTE_1
	v_mov_b32_e32 v13, v6
	v_mov_b32_e32 v20, v14
	s_mov_b32 s14, exec_lo
	v_and_b32_e32 v21, 0x7f, v5
	v_mov_b32_e32 v19, v13
	v_cmpx_ne_u32_e32 0x7f, v21
	s_cbranch_execz .LBB245_435
; %bb.432:                              ;   in Loop: Header=BB245_285 Depth=1
	v_and_b32_e32 v5, 7, v5
	v_lshrrev_b32_e32 v11, 3, v21
	s_mov_b32 s15, exec_lo
	v_cmpx_gt_u32_e32 8, v21
; %bb.433:                              ;   in Loop: Header=BB245_285 Depth=1
	v_ffbh_u32_e32 v11, v5
	v_min_u32_e32 v11, 32, v11
	v_subrev_nc_u32_e32 v13, 28, v11
	v_sub_nc_u32_e32 v11, 29, v11
	v_lshlrev_b64 v[19:20], v13, v[5:6]
	v_and_b32_e32 v5, 7, v19
; %bb.434:                              ;   in Loop: Header=BB245_285 Depth=1
	s_or_b32 exec_lo, exec_lo, s15
	v_lshlrev_b32_e32 v13, 16, v64
	v_lshlrev_b32_e32 v5, 20, v5
	v_lshl_add_u32 v11, v11, 23, 0x3c000000
	v_mov_b32_e32 v19, v6
	v_and_b32_e32 v13, 0x80000000, v13
	v_or3_b32 v20, v5, v13, v11
.LBB245_435:                            ;   in Loop: Header=BB245_285 Depth=1
	s_or_b32 exec_lo, exec_lo, s14
.LBB245_436:                            ;   in Loop: Header=BB245_285 Depth=1
	s_or_b32 exec_lo, exec_lo, s13
.LBB245_437:                            ;   in Loop: Header=BB245_285 Depth=1
	s_or_b32 exec_lo, exec_lo, s9
	v_mov_b32_e32 v23, 0
	v_mov_b32_e32 v21, 0
	v_and_b32_sdwa v5, v64, v42 dst_sel:DWORD dst_unused:UNUSED_PAD src0_sel:WORD_1 src1_sel:DWORD
	v_mov_b32_e32 v24, 0
	v_mov_b32_e32 v22, 0
	s_mov_b32 s9, exec_lo
	v_cmpx_ne_u16_e32 0, v5
	s_cbranch_execz .LBB245_445
; %bb.438:                              ;   in Loop: Header=BB245_285 Depth=1
	v_bfrev_b32_e32 v21, 1
	v_mov_b32_e32 v22, 0
	s_mov_b32 s13, exec_lo
	v_cmpx_ne_u16_e32 0x80, v5
	s_cbranch_execz .LBB245_444
; %bb.439:                              ;   in Loop: Header=BB245_285 Depth=1
	v_mov_b32_e32 v21, 0x7f800001
	v_bfe_u32 v13, v64, 16, 7
	v_mov_b32_e32 v22, 0
	s_mov_b32 s14, exec_lo
	v_cmpx_ne_u32_e32 0x7f, v13
	s_cbranch_execz .LBB245_443
; %bb.440:                              ;   in Loop: Header=BB245_285 Depth=1
	v_and_b32_sdwa v5, v64, v43 dst_sel:DWORD dst_unused:UNUSED_PAD src0_sel:WORD_1 src1_sel:DWORD
	v_lshrrev_b32_e32 v11, 3, v13
	s_mov_b32 s15, exec_lo
	v_cmpx_gt_u32_e32 8, v13
; %bb.441:                              ;   in Loop: Header=BB245_285 Depth=1
	v_ffbh_u32_e32 v11, v5
	v_min_u32_e32 v11, 32, v11
	v_subrev_nc_u32_e32 v13, 28, v11
	v_sub_nc_u32_e32 v11, 29, v11
	v_lshlrev_b64 v[21:22], v13, v[5:6]
	v_and_b32_e32 v5, 7, v21
; %bb.442:                              ;   in Loop: Header=BB245_285 Depth=1
	s_or_b32 exec_lo, exec_lo, s15
	v_lshlrev_b32_sdwa v13, v44, v64 dst_sel:DWORD dst_unused:UNUSED_PAD src0_sel:DWORD src1_sel:WORD_1
	v_lshlrev_b32_e32 v5, 20, v5
	v_lshl_add_u32 v11, v11, 23, 0x3c000000
	v_and_b32_e32 v13, 0x80000000, v13
	v_or3_b32 v5, v5, v13, v11
	v_mov_b32_e32 v22, v6
	v_mov_b32_e32 v21, v5
.LBB245_443:                            ;   in Loop: Header=BB245_285 Depth=1
	s_or_b32 exec_lo, exec_lo, s14
.LBB245_444:                            ;   in Loop: Header=BB245_285 Depth=1
	s_or_b32 exec_lo, exec_lo, s13
.LBB245_445:                            ;   in Loop: Header=BB245_285 Depth=1
	s_or_b32 exec_lo, exec_lo, s9
	s_mov_b32 s9, exec_lo
	v_cmpx_lt_u32_e32 0xffffff, v64
	s_cbranch_execz .LBB245_453
; %bb.446:                              ;   in Loop: Header=BB245_285 Depth=1
	v_mov_b32_e32 v11, v6
	v_mov_b32_e32 v24, v12
	v_cmp_ne_u32_sdwa s0, v64, v40 src0_sel:BYTE_3 src1_sel:DWORD
	v_mov_b32_e32 v23, v11
	s_and_saveexec_b32 s13, s0
	s_cbranch_execz .LBB245_452
; %bb.447:                              ;   in Loop: Header=BB245_285 Depth=1
	v_mov_b32_e32 v13, v6
	v_mov_b32_e32 v24, v14
	v_bfe_u32 v65, v64, 24, 7
	s_mov_b32 s14, exec_lo
	v_mov_b32_e32 v23, v13
	v_cmpx_ne_u32_e32 0x7f, v65
	s_cbranch_execz .LBB245_451
; %bb.448:                              ;   in Loop: Header=BB245_285 Depth=1
	v_and_b32_sdwa v5, v64, v43 dst_sel:DWORD dst_unused:UNUSED_PAD src0_sel:BYTE_3 src1_sel:DWORD
	v_lshrrev_b32_e32 v11, 3, v65
	s_mov_b32 s15, exec_lo
	v_cmpx_gt_u32_e32 8, v65
; %bb.449:                              ;   in Loop: Header=BB245_285 Depth=1
	v_ffbh_u32_e32 v11, v5
	v_min_u32_e32 v11, 32, v11
	v_subrev_nc_u32_e32 v13, 28, v11
	v_sub_nc_u32_e32 v11, 29, v11
	v_lshlrev_b64 v[23:24], v13, v[5:6]
	v_and_b32_e32 v5, 7, v23
; %bb.450:                              ;   in Loop: Header=BB245_285 Depth=1
	s_or_b32 exec_lo, exec_lo, s15
	v_lshlrev_b32_sdwa v13, v44, v64 dst_sel:DWORD dst_unused:UNUSED_PAD src0_sel:DWORD src1_sel:BYTE_3
	v_lshlrev_b32_e32 v5, 20, v5
	v_lshl_add_u32 v11, v11, 23, 0x3c000000
	v_mov_b32_e32 v23, v6
	v_and_b32_e32 v13, 0x80000000, v13
	v_or3_b32 v24, v5, v13, v11
.LBB245_451:                            ;   in Loop: Header=BB245_285 Depth=1
	s_or_b32 exec_lo, exec_lo, s14
.LBB245_452:                            ;   in Loop: Header=BB245_285 Depth=1
	s_or_b32 exec_lo, exec_lo, s13
.LBB245_453:                            ;   in Loop: Header=BB245_285 Depth=1
	s_or_b32 exec_lo, exec_lo, s9
	v_or_b32_e32 v5, v20, v18
	v_or_b32_e32 v11, v19, v17
	;; [unrolled: 1-line block ×4, first 2 shown]
	v_mul_f32_e32 v66, s6, v5
	v_mul_f32_e32 v67, s3, v11
	;; [unrolled: 1-line block ×4, first 2 shown]
	s_and_saveexec_b32 s9, vcc_lo
	s_cbranch_execz .LBB245_455
; %bb.454:                              ;   in Loop: Header=BB245_285 Depth=1
	v_cmp_gt_i32_e64 s0, s29, v49
	v_cndmask_b32_e64 v67, 0, v67, s0
	v_cmp_gt_i32_e64 s0, s29, v51
	v_cndmask_b32_e64 v66, 0, v66, s0
	;; [unrolled: 2-line block ×4, first 2 shown]
.LBB245_455:                            ;   in Loop: Header=BB245_285 Depth=1
	s_or_b32 exec_lo, exec_lo, s9
	global_load_dword v68, v[15:16], off offset:640
	v_mov_b32_e32 v19, 0
	v_mov_b32_e32 v17, 0
	;; [unrolled: 1-line block ×4, first 2 shown]
	s_waitcnt vmcnt(0)
	v_cmp_ne_u16_sdwa s0, v68, v6 src0_sel:BYTE_0 src1_sel:DWORD
	s_and_saveexec_b32 s9, s0
	s_cbranch_execz .LBB245_463
; %bb.456:                              ;   in Loop: Header=BB245_285 Depth=1
	v_bfrev_b32_e32 v17, 1
	v_mov_b32_e32 v18, 0
	v_cmp_ne_u16_sdwa s0, v68, v40 src0_sel:BYTE_0 src1_sel:DWORD
	s_and_saveexec_b32 s13, s0
	s_cbranch_execz .LBB245_462
; %bb.457:                              ;   in Loop: Header=BB245_285 Depth=1
	v_mov_b32_e32 v17, 0x7f800001
	v_and_b32_e32 v13, 0x7f, v68
	v_mov_b32_e32 v18, 0
	s_mov_b32 s14, exec_lo
	v_cmpx_ne_u32_e32 0x7f, v13
	s_cbranch_execz .LBB245_461
; %bb.458:                              ;   in Loop: Header=BB245_285 Depth=1
	v_and_b32_e32 v5, 7, v68
	v_lshrrev_b32_e32 v11, 3, v13
	s_mov_b32 s15, exec_lo
	v_cmpx_gt_u32_e32 8, v13
; %bb.459:                              ;   in Loop: Header=BB245_285 Depth=1
	v_ffbh_u32_e32 v11, v5
	v_min_u32_e32 v11, 32, v11
	v_subrev_nc_u32_e32 v13, 28, v11
	v_sub_nc_u32_e32 v11, 29, v11
	v_lshlrev_b64 v[17:18], v13, v[5:6]
	v_and_b32_e32 v5, 7, v17
; %bb.460:                              ;   in Loop: Header=BB245_285 Depth=1
	s_or_b32 exec_lo, exec_lo, s15
	v_lshlrev_b32_e32 v13, 24, v68
	v_lshlrev_b32_e32 v5, 20, v5
	v_lshl_add_u32 v11, v11, 23, 0x3c000000
	v_and_b32_e32 v13, 0x80000000, v13
	v_or3_b32 v5, v5, v13, v11
	v_mov_b32_e32 v18, v6
	v_mov_b32_e32 v17, v5
.LBB245_461:                            ;   in Loop: Header=BB245_285 Depth=1
	s_or_b32 exec_lo, exec_lo, s14
.LBB245_462:                            ;   in Loop: Header=BB245_285 Depth=1
	s_or_b32 exec_lo, exec_lo, s13
.LBB245_463:                            ;   in Loop: Header=BB245_285 Depth=1
	s_or_b32 exec_lo, exec_lo, s9
	v_cmp_ne_u16_sdwa s0, v68, v6 src0_sel:BYTE_1 src1_sel:DWORD
	s_and_saveexec_b32 s9, s0
	s_cbranch_execz .LBB245_471
; %bb.464:                              ;   in Loop: Header=BB245_285 Depth=1
	v_mov_b32_e32 v11, v6
	v_mov_b32_e32 v20, v12
	v_cmp_ne_u16_sdwa s0, v68, v40 src0_sel:BYTE_1 src1_sel:DWORD
	v_mov_b32_e32 v19, v11
	s_and_saveexec_b32 s13, s0
	s_cbranch_execz .LBB245_470
; %bb.465:                              ;   in Loop: Header=BB245_285 Depth=1
	v_and_b32_sdwa v5, v41, v68 dst_sel:DWORD dst_unused:UNUSED_PAD src0_sel:DWORD src1_sel:BYTE_1
	v_mov_b32_e32 v13, v6
	v_mov_b32_e32 v20, v14
	s_mov_b32 s14, exec_lo
	v_and_b32_e32 v21, 0x7f, v5
	v_mov_b32_e32 v19, v13
	v_cmpx_ne_u32_e32 0x7f, v21
	s_cbranch_execz .LBB245_469
; %bb.466:                              ;   in Loop: Header=BB245_285 Depth=1
	v_and_b32_e32 v5, 7, v5
	v_lshrrev_b32_e32 v11, 3, v21
	s_mov_b32 s15, exec_lo
	v_cmpx_gt_u32_e32 8, v21
; %bb.467:                              ;   in Loop: Header=BB245_285 Depth=1
	v_ffbh_u32_e32 v11, v5
	v_min_u32_e32 v11, 32, v11
	v_subrev_nc_u32_e32 v13, 28, v11
	v_sub_nc_u32_e32 v11, 29, v11
	v_lshlrev_b64 v[19:20], v13, v[5:6]
	v_and_b32_e32 v5, 7, v19
; %bb.468:                              ;   in Loop: Header=BB245_285 Depth=1
	s_or_b32 exec_lo, exec_lo, s15
	v_lshlrev_b32_e32 v13, 16, v68
	v_lshlrev_b32_e32 v5, 20, v5
	v_lshl_add_u32 v11, v11, 23, 0x3c000000
	v_mov_b32_e32 v19, v6
	v_and_b32_e32 v13, 0x80000000, v13
	v_or3_b32 v20, v5, v13, v11
.LBB245_469:                            ;   in Loop: Header=BB245_285 Depth=1
	s_or_b32 exec_lo, exec_lo, s14
.LBB245_470:                            ;   in Loop: Header=BB245_285 Depth=1
	s_or_b32 exec_lo, exec_lo, s13
.LBB245_471:                            ;   in Loop: Header=BB245_285 Depth=1
	s_or_b32 exec_lo, exec_lo, s9
	v_mov_b32_e32 v23, 0
	v_mov_b32_e32 v21, 0
	v_and_b32_sdwa v5, v68, v42 dst_sel:DWORD dst_unused:UNUSED_PAD src0_sel:WORD_1 src1_sel:DWORD
	v_mov_b32_e32 v24, 0
	v_mov_b32_e32 v22, 0
	s_mov_b32 s9, exec_lo
	v_cmpx_ne_u16_e32 0, v5
	s_cbranch_execz .LBB245_479
; %bb.472:                              ;   in Loop: Header=BB245_285 Depth=1
	v_bfrev_b32_e32 v21, 1
	v_mov_b32_e32 v22, 0
	s_mov_b32 s13, exec_lo
	v_cmpx_ne_u16_e32 0x80, v5
	s_cbranch_execz .LBB245_478
; %bb.473:                              ;   in Loop: Header=BB245_285 Depth=1
	v_mov_b32_e32 v21, 0x7f800001
	v_bfe_u32 v13, v68, 16, 7
	v_mov_b32_e32 v22, 0
	s_mov_b32 s14, exec_lo
	v_cmpx_ne_u32_e32 0x7f, v13
	s_cbranch_execz .LBB245_477
; %bb.474:                              ;   in Loop: Header=BB245_285 Depth=1
	v_and_b32_sdwa v5, v68, v43 dst_sel:DWORD dst_unused:UNUSED_PAD src0_sel:WORD_1 src1_sel:DWORD
	v_lshrrev_b32_e32 v11, 3, v13
	s_mov_b32 s15, exec_lo
	v_cmpx_gt_u32_e32 8, v13
; %bb.475:                              ;   in Loop: Header=BB245_285 Depth=1
	v_ffbh_u32_e32 v11, v5
	v_min_u32_e32 v11, 32, v11
	v_subrev_nc_u32_e32 v13, 28, v11
	v_sub_nc_u32_e32 v11, 29, v11
	v_lshlrev_b64 v[21:22], v13, v[5:6]
	v_and_b32_e32 v5, 7, v21
; %bb.476:                              ;   in Loop: Header=BB245_285 Depth=1
	s_or_b32 exec_lo, exec_lo, s15
	v_lshlrev_b32_sdwa v13, v44, v68 dst_sel:DWORD dst_unused:UNUSED_PAD src0_sel:DWORD src1_sel:WORD_1
	v_lshlrev_b32_e32 v5, 20, v5
	v_lshl_add_u32 v11, v11, 23, 0x3c000000
	v_and_b32_e32 v13, 0x80000000, v13
	v_or3_b32 v5, v5, v13, v11
	v_mov_b32_e32 v22, v6
	v_mov_b32_e32 v21, v5
.LBB245_477:                            ;   in Loop: Header=BB245_285 Depth=1
	s_or_b32 exec_lo, exec_lo, s14
.LBB245_478:                            ;   in Loop: Header=BB245_285 Depth=1
	s_or_b32 exec_lo, exec_lo, s13
.LBB245_479:                            ;   in Loop: Header=BB245_285 Depth=1
	s_or_b32 exec_lo, exec_lo, s9
	s_mov_b32 s9, exec_lo
	v_cmpx_lt_u32_e32 0xffffff, v68
	s_cbranch_execz .LBB245_487
; %bb.480:                              ;   in Loop: Header=BB245_285 Depth=1
	v_mov_b32_e32 v11, v6
	v_mov_b32_e32 v24, v12
	v_cmp_ne_u32_sdwa s0, v68, v40 src0_sel:BYTE_3 src1_sel:DWORD
	v_mov_b32_e32 v23, v11
	s_and_saveexec_b32 s13, s0
	s_cbranch_execz .LBB245_486
; %bb.481:                              ;   in Loop: Header=BB245_285 Depth=1
	v_mov_b32_e32 v13, v6
	v_mov_b32_e32 v24, v14
	v_bfe_u32 v69, v68, 24, 7
	s_mov_b32 s14, exec_lo
	v_mov_b32_e32 v23, v13
	v_cmpx_ne_u32_e32 0x7f, v69
	s_cbranch_execz .LBB245_485
; %bb.482:                              ;   in Loop: Header=BB245_285 Depth=1
	v_and_b32_sdwa v5, v68, v43 dst_sel:DWORD dst_unused:UNUSED_PAD src0_sel:BYTE_3 src1_sel:DWORD
	v_lshrrev_b32_e32 v11, 3, v69
	s_mov_b32 s15, exec_lo
	v_cmpx_gt_u32_e32 8, v69
; %bb.483:                              ;   in Loop: Header=BB245_285 Depth=1
	v_ffbh_u32_e32 v11, v5
	v_min_u32_e32 v11, 32, v11
	v_subrev_nc_u32_e32 v13, 28, v11
	v_sub_nc_u32_e32 v11, 29, v11
	v_lshlrev_b64 v[23:24], v13, v[5:6]
	v_and_b32_e32 v5, 7, v23
; %bb.484:                              ;   in Loop: Header=BB245_285 Depth=1
	s_or_b32 exec_lo, exec_lo, s15
	v_lshlrev_b32_sdwa v13, v44, v68 dst_sel:DWORD dst_unused:UNUSED_PAD src0_sel:DWORD src1_sel:BYTE_3
	v_lshlrev_b32_e32 v5, 20, v5
	v_lshl_add_u32 v11, v11, 23, 0x3c000000
	v_mov_b32_e32 v23, v6
	v_and_b32_e32 v13, 0x80000000, v13
	v_or3_b32 v24, v5, v13, v11
.LBB245_485:                            ;   in Loop: Header=BB245_285 Depth=1
	s_or_b32 exec_lo, exec_lo, s14
.LBB245_486:                            ;   in Loop: Header=BB245_285 Depth=1
	s_or_b32 exec_lo, exec_lo, s13
.LBB245_487:                            ;   in Loop: Header=BB245_285 Depth=1
	s_or_b32 exec_lo, exec_lo, s9
	v_or_b32_e32 v5, v20, v18
	v_or_b32_e32 v11, v19, v17
	;; [unrolled: 1-line block ×4, first 2 shown]
	v_mul_f32_e32 v70, s6, v5
	v_mul_f32_e32 v71, s3, v11
	;; [unrolled: 1-line block ×4, first 2 shown]
	s_and_saveexec_b32 s9, vcc_lo
	s_cbranch_execz .LBB245_489
; %bb.488:                              ;   in Loop: Header=BB245_285 Depth=1
	v_cmp_gt_i32_e64 s0, s29, v49
	v_cndmask_b32_e64 v71, 0, v71, s0
	v_cmp_gt_i32_e64 s0, s29, v51
	v_cndmask_b32_e64 v70, 0, v70, s0
	;; [unrolled: 2-line block ×4, first 2 shown]
.LBB245_489:                            ;   in Loop: Header=BB245_285 Depth=1
	s_or_b32 exec_lo, exec_lo, s9
	global_load_dword v72, v[15:16], off offset:768
	v_mov_b32_e32 v19, 0
	v_mov_b32_e32 v17, 0
	;; [unrolled: 1-line block ×4, first 2 shown]
	s_waitcnt vmcnt(0)
	v_cmp_ne_u16_sdwa s0, v72, v6 src0_sel:BYTE_0 src1_sel:DWORD
	s_and_saveexec_b32 s9, s0
	s_cbranch_execz .LBB245_497
; %bb.490:                              ;   in Loop: Header=BB245_285 Depth=1
	v_bfrev_b32_e32 v17, 1
	v_mov_b32_e32 v18, 0
	v_cmp_ne_u16_sdwa s0, v72, v40 src0_sel:BYTE_0 src1_sel:DWORD
	s_and_saveexec_b32 s13, s0
	s_cbranch_execz .LBB245_496
; %bb.491:                              ;   in Loop: Header=BB245_285 Depth=1
	v_mov_b32_e32 v17, 0x7f800001
	v_and_b32_e32 v13, 0x7f, v72
	v_mov_b32_e32 v18, 0
	s_mov_b32 s14, exec_lo
	v_cmpx_ne_u32_e32 0x7f, v13
	s_cbranch_execz .LBB245_495
; %bb.492:                              ;   in Loop: Header=BB245_285 Depth=1
	v_and_b32_e32 v5, 7, v72
	v_lshrrev_b32_e32 v11, 3, v13
	s_mov_b32 s15, exec_lo
	v_cmpx_gt_u32_e32 8, v13
; %bb.493:                              ;   in Loop: Header=BB245_285 Depth=1
	v_ffbh_u32_e32 v11, v5
	v_min_u32_e32 v11, 32, v11
	v_subrev_nc_u32_e32 v13, 28, v11
	v_sub_nc_u32_e32 v11, 29, v11
	v_lshlrev_b64 v[17:18], v13, v[5:6]
	v_and_b32_e32 v5, 7, v17
; %bb.494:                              ;   in Loop: Header=BB245_285 Depth=1
	s_or_b32 exec_lo, exec_lo, s15
	v_lshlrev_b32_e32 v13, 24, v72
	v_lshlrev_b32_e32 v5, 20, v5
	v_lshl_add_u32 v11, v11, 23, 0x3c000000
	v_and_b32_e32 v13, 0x80000000, v13
	v_or3_b32 v5, v5, v13, v11
	v_mov_b32_e32 v18, v6
	v_mov_b32_e32 v17, v5
.LBB245_495:                            ;   in Loop: Header=BB245_285 Depth=1
	s_or_b32 exec_lo, exec_lo, s14
.LBB245_496:                            ;   in Loop: Header=BB245_285 Depth=1
	s_or_b32 exec_lo, exec_lo, s13
.LBB245_497:                            ;   in Loop: Header=BB245_285 Depth=1
	s_or_b32 exec_lo, exec_lo, s9
	v_cmp_ne_u16_sdwa s0, v72, v6 src0_sel:BYTE_1 src1_sel:DWORD
	s_and_saveexec_b32 s9, s0
	s_cbranch_execz .LBB245_505
; %bb.498:                              ;   in Loop: Header=BB245_285 Depth=1
	v_mov_b32_e32 v11, v6
	v_mov_b32_e32 v20, v12
	v_cmp_ne_u16_sdwa s0, v72, v40 src0_sel:BYTE_1 src1_sel:DWORD
	v_mov_b32_e32 v19, v11
	s_and_saveexec_b32 s13, s0
	s_cbranch_execz .LBB245_504
; %bb.499:                              ;   in Loop: Header=BB245_285 Depth=1
	v_and_b32_sdwa v5, v41, v72 dst_sel:DWORD dst_unused:UNUSED_PAD src0_sel:DWORD src1_sel:BYTE_1
	v_mov_b32_e32 v13, v6
	v_mov_b32_e32 v20, v14
	s_mov_b32 s14, exec_lo
	v_and_b32_e32 v21, 0x7f, v5
	v_mov_b32_e32 v19, v13
	v_cmpx_ne_u32_e32 0x7f, v21
	s_cbranch_execz .LBB245_503
; %bb.500:                              ;   in Loop: Header=BB245_285 Depth=1
	v_and_b32_e32 v5, 7, v5
	v_lshrrev_b32_e32 v11, 3, v21
	s_mov_b32 s15, exec_lo
	v_cmpx_gt_u32_e32 8, v21
; %bb.501:                              ;   in Loop: Header=BB245_285 Depth=1
	v_ffbh_u32_e32 v11, v5
	v_min_u32_e32 v11, 32, v11
	v_subrev_nc_u32_e32 v13, 28, v11
	v_sub_nc_u32_e32 v11, 29, v11
	v_lshlrev_b64 v[19:20], v13, v[5:6]
	v_and_b32_e32 v5, 7, v19
; %bb.502:                              ;   in Loop: Header=BB245_285 Depth=1
	s_or_b32 exec_lo, exec_lo, s15
	v_lshlrev_b32_e32 v13, 16, v72
	v_lshlrev_b32_e32 v5, 20, v5
	v_lshl_add_u32 v11, v11, 23, 0x3c000000
	v_mov_b32_e32 v19, v6
	v_and_b32_e32 v13, 0x80000000, v13
	v_or3_b32 v20, v5, v13, v11
.LBB245_503:                            ;   in Loop: Header=BB245_285 Depth=1
	s_or_b32 exec_lo, exec_lo, s14
.LBB245_504:                            ;   in Loop: Header=BB245_285 Depth=1
	s_or_b32 exec_lo, exec_lo, s13
.LBB245_505:                            ;   in Loop: Header=BB245_285 Depth=1
	s_or_b32 exec_lo, exec_lo, s9
	v_mov_b32_e32 v23, 0
	v_mov_b32_e32 v21, 0
	v_and_b32_sdwa v5, v72, v42 dst_sel:DWORD dst_unused:UNUSED_PAD src0_sel:WORD_1 src1_sel:DWORD
	v_mov_b32_e32 v24, 0
	v_mov_b32_e32 v22, 0
	s_mov_b32 s9, exec_lo
	v_cmpx_ne_u16_e32 0, v5
	s_cbranch_execz .LBB245_513
; %bb.506:                              ;   in Loop: Header=BB245_285 Depth=1
	v_bfrev_b32_e32 v21, 1
	v_mov_b32_e32 v22, 0
	s_mov_b32 s13, exec_lo
	v_cmpx_ne_u16_e32 0x80, v5
	s_cbranch_execz .LBB245_512
; %bb.507:                              ;   in Loop: Header=BB245_285 Depth=1
	v_mov_b32_e32 v21, 0x7f800001
	v_bfe_u32 v13, v72, 16, 7
	v_mov_b32_e32 v22, 0
	s_mov_b32 s14, exec_lo
	v_cmpx_ne_u32_e32 0x7f, v13
	s_cbranch_execz .LBB245_511
; %bb.508:                              ;   in Loop: Header=BB245_285 Depth=1
	v_and_b32_sdwa v5, v72, v43 dst_sel:DWORD dst_unused:UNUSED_PAD src0_sel:WORD_1 src1_sel:DWORD
	v_lshrrev_b32_e32 v11, 3, v13
	s_mov_b32 s15, exec_lo
	v_cmpx_gt_u32_e32 8, v13
; %bb.509:                              ;   in Loop: Header=BB245_285 Depth=1
	v_ffbh_u32_e32 v11, v5
	v_min_u32_e32 v11, 32, v11
	v_subrev_nc_u32_e32 v13, 28, v11
	v_sub_nc_u32_e32 v11, 29, v11
	v_lshlrev_b64 v[21:22], v13, v[5:6]
	v_and_b32_e32 v5, 7, v21
; %bb.510:                              ;   in Loop: Header=BB245_285 Depth=1
	s_or_b32 exec_lo, exec_lo, s15
	v_lshlrev_b32_sdwa v13, v44, v72 dst_sel:DWORD dst_unused:UNUSED_PAD src0_sel:DWORD src1_sel:WORD_1
	v_lshlrev_b32_e32 v5, 20, v5
	v_lshl_add_u32 v11, v11, 23, 0x3c000000
	v_and_b32_e32 v13, 0x80000000, v13
	v_or3_b32 v5, v5, v13, v11
	v_mov_b32_e32 v22, v6
	v_mov_b32_e32 v21, v5
.LBB245_511:                            ;   in Loop: Header=BB245_285 Depth=1
	s_or_b32 exec_lo, exec_lo, s14
.LBB245_512:                            ;   in Loop: Header=BB245_285 Depth=1
	s_or_b32 exec_lo, exec_lo, s13
.LBB245_513:                            ;   in Loop: Header=BB245_285 Depth=1
	s_or_b32 exec_lo, exec_lo, s9
	s_mov_b32 s9, exec_lo
	v_cmpx_lt_u32_e32 0xffffff, v72
	s_cbranch_execz .LBB245_521
; %bb.514:                              ;   in Loop: Header=BB245_285 Depth=1
	v_mov_b32_e32 v11, v6
	v_mov_b32_e32 v24, v12
	v_cmp_ne_u32_sdwa s0, v72, v40 src0_sel:BYTE_3 src1_sel:DWORD
	v_mov_b32_e32 v23, v11
	s_and_saveexec_b32 s13, s0
	s_cbranch_execz .LBB245_520
; %bb.515:                              ;   in Loop: Header=BB245_285 Depth=1
	v_mov_b32_e32 v13, v6
	v_mov_b32_e32 v24, v14
	v_bfe_u32 v73, v72, 24, 7
	s_mov_b32 s14, exec_lo
	v_mov_b32_e32 v23, v13
	v_cmpx_ne_u32_e32 0x7f, v73
	s_cbranch_execz .LBB245_519
; %bb.516:                              ;   in Loop: Header=BB245_285 Depth=1
	v_and_b32_sdwa v5, v72, v43 dst_sel:DWORD dst_unused:UNUSED_PAD src0_sel:BYTE_3 src1_sel:DWORD
	v_lshrrev_b32_e32 v11, 3, v73
	s_mov_b32 s15, exec_lo
	v_cmpx_gt_u32_e32 8, v73
; %bb.517:                              ;   in Loop: Header=BB245_285 Depth=1
	v_ffbh_u32_e32 v11, v5
	v_min_u32_e32 v11, 32, v11
	v_subrev_nc_u32_e32 v13, 28, v11
	v_sub_nc_u32_e32 v11, 29, v11
	v_lshlrev_b64 v[23:24], v13, v[5:6]
	v_and_b32_e32 v5, 7, v23
; %bb.518:                              ;   in Loop: Header=BB245_285 Depth=1
	s_or_b32 exec_lo, exec_lo, s15
	v_lshlrev_b32_sdwa v13, v44, v72 dst_sel:DWORD dst_unused:UNUSED_PAD src0_sel:DWORD src1_sel:BYTE_3
	v_lshlrev_b32_e32 v5, 20, v5
	v_lshl_add_u32 v11, v11, 23, 0x3c000000
	v_mov_b32_e32 v23, v6
	v_and_b32_e32 v13, 0x80000000, v13
	v_or3_b32 v24, v5, v13, v11
.LBB245_519:                            ;   in Loop: Header=BB245_285 Depth=1
	s_or_b32 exec_lo, exec_lo, s14
.LBB245_520:                            ;   in Loop: Header=BB245_285 Depth=1
	s_or_b32 exec_lo, exec_lo, s13
.LBB245_521:                            ;   in Loop: Header=BB245_285 Depth=1
	s_or_b32 exec_lo, exec_lo, s9
	v_or_b32_e32 v5, v20, v18
	v_or_b32_e32 v11, v19, v17
	;; [unrolled: 1-line block ×4, first 2 shown]
	v_mul_f32_e32 v72, s6, v5
	v_mul_f32_e32 v73, s3, v11
	;; [unrolled: 1-line block ×4, first 2 shown]
	s_and_saveexec_b32 s9, vcc_lo
	s_cbranch_execz .LBB245_523
; %bb.522:                              ;   in Loop: Header=BB245_285 Depth=1
	v_cmp_gt_i32_e64 s0, s29, v49
	v_cndmask_b32_e64 v73, 0, v73, s0
	v_cmp_gt_i32_e64 s0, s29, v51
	v_cndmask_b32_e64 v72, 0, v72, s0
	;; [unrolled: 2-line block ×4, first 2 shown]
.LBB245_523:                            ;   in Loop: Header=BB245_285 Depth=1
	s_or_b32 exec_lo, exec_lo, s9
	global_load_dword v74, v[15:16], off offset:896
	v_mov_b32_e32 v17, 0
	v_mov_b32_e32 v15, 0
	;; [unrolled: 1-line block ×4, first 2 shown]
	s_waitcnt vmcnt(0)
	v_cmp_ne_u16_sdwa s0, v74, v6 src0_sel:BYTE_0 src1_sel:DWORD
	s_and_saveexec_b32 s9, s0
	s_cbranch_execz .LBB245_531
; %bb.524:                              ;   in Loop: Header=BB245_285 Depth=1
	v_bfrev_b32_e32 v15, 1
	v_mov_b32_e32 v16, 0
	v_cmp_ne_u16_sdwa s0, v74, v40 src0_sel:BYTE_0 src1_sel:DWORD
	s_and_saveexec_b32 s13, s0
	s_cbranch_execz .LBB245_530
; %bb.525:                              ;   in Loop: Header=BB245_285 Depth=1
	v_mov_b32_e32 v15, 0x7f800001
	v_and_b32_e32 v13, 0x7f, v74
	v_mov_b32_e32 v16, 0
	s_mov_b32 s14, exec_lo
	v_cmpx_ne_u32_e32 0x7f, v13
	s_cbranch_execz .LBB245_529
; %bb.526:                              ;   in Loop: Header=BB245_285 Depth=1
	v_and_b32_e32 v5, 7, v74
	v_lshrrev_b32_e32 v11, 3, v13
	s_mov_b32 s15, exec_lo
	v_cmpx_gt_u32_e32 8, v13
; %bb.527:                              ;   in Loop: Header=BB245_285 Depth=1
	v_ffbh_u32_e32 v11, v5
	v_min_u32_e32 v11, 32, v11
	v_subrev_nc_u32_e32 v13, 28, v11
	v_sub_nc_u32_e32 v11, 29, v11
	v_lshlrev_b64 v[15:16], v13, v[5:6]
	v_and_b32_e32 v5, 7, v15
; %bb.528:                              ;   in Loop: Header=BB245_285 Depth=1
	s_or_b32 exec_lo, exec_lo, s15
	v_lshlrev_b32_e32 v13, 24, v74
	v_lshlrev_b32_e32 v5, 20, v5
	v_lshl_add_u32 v11, v11, 23, 0x3c000000
	v_and_b32_e32 v13, 0x80000000, v13
	v_or3_b32 v5, v5, v13, v11
	v_mov_b32_e32 v16, v6
	v_mov_b32_e32 v15, v5
.LBB245_529:                            ;   in Loop: Header=BB245_285 Depth=1
	s_or_b32 exec_lo, exec_lo, s14
.LBB245_530:                            ;   in Loop: Header=BB245_285 Depth=1
	s_or_b32 exec_lo, exec_lo, s13
.LBB245_531:                            ;   in Loop: Header=BB245_285 Depth=1
	s_or_b32 exec_lo, exec_lo, s9
	v_cmp_ne_u16_sdwa s0, v74, v6 src0_sel:BYTE_1 src1_sel:DWORD
	s_and_saveexec_b32 s9, s0
	s_cbranch_execz .LBB245_539
; %bb.532:                              ;   in Loop: Header=BB245_285 Depth=1
	v_mov_b32_e32 v11, v6
	v_mov_b32_e32 v18, v12
	v_cmp_ne_u16_sdwa s0, v74, v40 src0_sel:BYTE_1 src1_sel:DWORD
	v_mov_b32_e32 v17, v11
	s_and_saveexec_b32 s13, s0
	s_cbranch_execz .LBB245_538
; %bb.533:                              ;   in Loop: Header=BB245_285 Depth=1
	v_and_b32_sdwa v5, v41, v74 dst_sel:DWORD dst_unused:UNUSED_PAD src0_sel:DWORD src1_sel:BYTE_1
	v_mov_b32_e32 v13, v6
	v_mov_b32_e32 v18, v14
	s_mov_b32 s14, exec_lo
	v_and_b32_e32 v19, 0x7f, v5
	v_mov_b32_e32 v17, v13
	v_cmpx_ne_u32_e32 0x7f, v19
	s_cbranch_execz .LBB245_537
; %bb.534:                              ;   in Loop: Header=BB245_285 Depth=1
	v_and_b32_e32 v5, 7, v5
	v_lshrrev_b32_e32 v11, 3, v19
	s_mov_b32 s15, exec_lo
	v_cmpx_gt_u32_e32 8, v19
; %bb.535:                              ;   in Loop: Header=BB245_285 Depth=1
	v_ffbh_u32_e32 v11, v5
	v_min_u32_e32 v11, 32, v11
	v_subrev_nc_u32_e32 v13, 28, v11
	v_sub_nc_u32_e32 v11, 29, v11
	v_lshlrev_b64 v[17:18], v13, v[5:6]
	v_and_b32_e32 v5, 7, v17
; %bb.536:                              ;   in Loop: Header=BB245_285 Depth=1
	s_or_b32 exec_lo, exec_lo, s15
	v_lshlrev_b32_e32 v13, 16, v74
	v_lshlrev_b32_e32 v5, 20, v5
	v_lshl_add_u32 v11, v11, 23, 0x3c000000
	v_mov_b32_e32 v17, v6
	v_and_b32_e32 v13, 0x80000000, v13
	v_or3_b32 v18, v5, v13, v11
.LBB245_537:                            ;   in Loop: Header=BB245_285 Depth=1
	s_or_b32 exec_lo, exec_lo, s14
.LBB245_538:                            ;   in Loop: Header=BB245_285 Depth=1
	s_or_b32 exec_lo, exec_lo, s13
.LBB245_539:                            ;   in Loop: Header=BB245_285 Depth=1
	s_or_b32 exec_lo, exec_lo, s9
	v_mov_b32_e32 v21, 0
	v_mov_b32_e32 v19, 0
	v_and_b32_sdwa v5, v74, v42 dst_sel:DWORD dst_unused:UNUSED_PAD src0_sel:WORD_1 src1_sel:DWORD
	v_mov_b32_e32 v22, 0
	v_mov_b32_e32 v20, 0
	s_mov_b32 s9, exec_lo
	v_cmpx_ne_u16_e32 0, v5
	s_cbranch_execz .LBB245_547
; %bb.540:                              ;   in Loop: Header=BB245_285 Depth=1
	v_bfrev_b32_e32 v19, 1
	v_mov_b32_e32 v20, 0
	s_mov_b32 s13, exec_lo
	v_cmpx_ne_u16_e32 0x80, v5
	s_cbranch_execz .LBB245_546
; %bb.541:                              ;   in Loop: Header=BB245_285 Depth=1
	v_mov_b32_e32 v19, 0x7f800001
	v_bfe_u32 v13, v74, 16, 7
	v_mov_b32_e32 v20, 0
	s_mov_b32 s14, exec_lo
	v_cmpx_ne_u32_e32 0x7f, v13
	s_cbranch_execz .LBB245_545
; %bb.542:                              ;   in Loop: Header=BB245_285 Depth=1
	v_and_b32_sdwa v5, v74, v43 dst_sel:DWORD dst_unused:UNUSED_PAD src0_sel:WORD_1 src1_sel:DWORD
	v_lshrrev_b32_e32 v11, 3, v13
	s_mov_b32 s15, exec_lo
	v_cmpx_gt_u32_e32 8, v13
; %bb.543:                              ;   in Loop: Header=BB245_285 Depth=1
	v_ffbh_u32_e32 v11, v5
	v_min_u32_e32 v11, 32, v11
	v_subrev_nc_u32_e32 v13, 28, v11
	v_sub_nc_u32_e32 v11, 29, v11
	v_lshlrev_b64 v[19:20], v13, v[5:6]
	v_and_b32_e32 v5, 7, v19
; %bb.544:                              ;   in Loop: Header=BB245_285 Depth=1
	s_or_b32 exec_lo, exec_lo, s15
	v_lshlrev_b32_sdwa v13, v44, v74 dst_sel:DWORD dst_unused:UNUSED_PAD src0_sel:DWORD src1_sel:WORD_1
	v_lshlrev_b32_e32 v5, 20, v5
	v_lshl_add_u32 v11, v11, 23, 0x3c000000
	v_and_b32_e32 v13, 0x80000000, v13
	v_or3_b32 v5, v5, v13, v11
	v_mov_b32_e32 v20, v6
	v_mov_b32_e32 v19, v5
.LBB245_545:                            ;   in Loop: Header=BB245_285 Depth=1
	s_or_b32 exec_lo, exec_lo, s14
.LBB245_546:                            ;   in Loop: Header=BB245_285 Depth=1
	s_or_b32 exec_lo, exec_lo, s13
.LBB245_547:                            ;   in Loop: Header=BB245_285 Depth=1
	s_or_b32 exec_lo, exec_lo, s9
	s_mov_b32 s9, exec_lo
	v_cmpx_lt_u32_e32 0xffffff, v74
	s_cbranch_execz .LBB245_555
; %bb.548:                              ;   in Loop: Header=BB245_285 Depth=1
	v_mov_b32_e32 v11, v6
	v_mov_b32_e32 v22, v12
	v_cmp_ne_u32_sdwa s0, v74, v40 src0_sel:BYTE_3 src1_sel:DWORD
	v_mov_b32_e32 v21, v11
	s_and_saveexec_b32 s13, s0
	s_cbranch_execz .LBB245_554
; %bb.549:                              ;   in Loop: Header=BB245_285 Depth=1
	v_mov_b32_e32 v13, v6
	v_mov_b32_e32 v22, v14
	v_bfe_u32 v75, v74, 24, 7
	s_mov_b32 s14, exec_lo
	v_mov_b32_e32 v21, v13
	v_cmpx_ne_u32_e32 0x7f, v75
	s_cbranch_execz .LBB245_553
; %bb.550:                              ;   in Loop: Header=BB245_285 Depth=1
	v_and_b32_sdwa v5, v74, v43 dst_sel:DWORD dst_unused:UNUSED_PAD src0_sel:BYTE_3 src1_sel:DWORD
	v_lshrrev_b32_e32 v11, 3, v75
	s_mov_b32 s15, exec_lo
	v_cmpx_gt_u32_e32 8, v75
; %bb.551:                              ;   in Loop: Header=BB245_285 Depth=1
	v_ffbh_u32_e32 v11, v5
	v_min_u32_e32 v11, 32, v11
	v_subrev_nc_u32_e32 v13, 28, v11
	v_sub_nc_u32_e32 v11, 29, v11
	v_lshlrev_b64 v[21:22], v13, v[5:6]
	v_and_b32_e32 v5, 7, v21
; %bb.552:                              ;   in Loop: Header=BB245_285 Depth=1
	s_or_b32 exec_lo, exec_lo, s15
	v_lshlrev_b32_sdwa v13, v44, v74 dst_sel:DWORD dst_unused:UNUSED_PAD src0_sel:DWORD src1_sel:BYTE_3
	v_lshlrev_b32_e32 v5, 20, v5
	v_lshl_add_u32 v11, v11, 23, 0x3c000000
	v_mov_b32_e32 v21, v6
	v_and_b32_e32 v13, 0x80000000, v13
	v_or3_b32 v22, v5, v13, v11
.LBB245_553:                            ;   in Loop: Header=BB245_285 Depth=1
	s_or_b32 exec_lo, exec_lo, s14
.LBB245_554:                            ;   in Loop: Header=BB245_285 Depth=1
	s_or_b32 exec_lo, exec_lo, s13
.LBB245_555:                            ;   in Loop: Header=BB245_285 Depth=1
	s_or_b32 exec_lo, exec_lo, s9
	v_or_b32_e32 v5, v18, v16
	v_or_b32_e32 v11, v17, v15
	;; [unrolled: 1-line block ×4, first 2 shown]
	v_mul_f32_e32 v13, s6, v5
	v_mul_f32_e32 v15, s3, v11
	;; [unrolled: 1-line block ×4, first 2 shown]
	s_and_saveexec_b32 s0, vcc_lo
	s_cbranch_execz .LBB245_284
; %bb.556:                              ;   in Loop: Header=BB245_285 Depth=1
	v_cmp_gt_i32_e32 vcc_lo, s29, v49
	v_cndmask_b32_e32 v15, 0, v15, vcc_lo
	v_cmp_gt_i32_e32 vcc_lo, s29, v51
	v_cndmask_b32_e32 v13, 0, v13, vcc_lo
	;; [unrolled: 2-line block ×4, first 2 shown]
	s_branch .LBB245_284
.LBB245_557:
	s_or_b32 exec_lo, exec_lo, s5
.LBB245_558:
	s_or_b32 exec_lo, exec_lo, s1
	ds_bpermute_b32 v1, v27, v36
	ds_bpermute_b32 v2, v27, v38
	;; [unrolled: 1-line block ×8, first 2 shown]
	v_and_b32_e32 v19, 0x3c7, v0
	s_mov_b32 s0, exec_lo
	s_waitcnt lgkmcnt(0)
	s_waitcnt_vscnt null, 0x0
	s_barrier
	buffer_gl0_inv
	v_add_f32_e32 v1, v36, v1
	v_add_f32_e32 v2, v38, v2
	;; [unrolled: 1-line block ×8, first 2 shown]
	ds_bpermute_b32 v9, v26, v1
	ds_bpermute_b32 v10, v26, v2
	;; [unrolled: 1-line block ×8, first 2 shown]
	s_waitcnt lgkmcnt(7)
	v_add_f32_e32 v1, v1, v9
	s_waitcnt lgkmcnt(6)
	v_add_f32_e32 v2, v2, v10
	;; [unrolled: 2-line block ×8, first 2 shown]
	ds_bpermute_b32 v11, v25, v1
	ds_bpermute_b32 v12, v25, v2
	;; [unrolled: 1-line block ×8, first 2 shown]
	v_lshrrev_b32_e32 v9, 3, v110
	v_lshl_add_u32 v10, v9, 2, 0xa0
	s_waitcnt lgkmcnt(7)
	v_add_f32_e32 v1, v1, v11
	s_waitcnt lgkmcnt(6)
	v_add_f32_e32 v2, v2, v12
	s_waitcnt lgkmcnt(5)
	v_add_f32_e32 v3, v3, v13
	s_waitcnt lgkmcnt(4)
	v_add_f32_e32 v4, v4, v14
	s_waitcnt lgkmcnt(3)
	v_add_f32_e32 v5, v5, v15
	s_waitcnt lgkmcnt(2)
	v_add_f32_e32 v6, v6, v16
	s_waitcnt lgkmcnt(1)
	v_add_f32_e32 v7, v7, v17
	s_waitcnt lgkmcnt(0)
	v_add_f32_e32 v8, v8, v18
	v_cmpx_eq_u32_e32 64, v19
	s_cbranch_execz .LBB245_560
; %bb.559:
	v_lshl_add_u32 v11, v109, 7, v10
	v_add_nc_u32_e32 v12, 0xffffff00, v11
	v_add_nc_u32_e32 v15, 0xffffff30, v11
	;; [unrolled: 1-line block ×8, first 2 shown]
	ds_write_b32 v12, v1
	ds_write_b32 v13, v2
	;; [unrolled: 1-line block ×8, first 2 shown]
.LBB245_560:
	s_or_b32 exec_lo, exec_lo, s0
	v_and_b32_e32 v11, 0x3e0, v0
	v_lshlrev_b32_e32 v9, 2, v9
	s_mov_b32 s1, exec_lo
	v_cmp_eq_u32_e32 vcc_lo, 0, v28
	s_waitcnt lgkmcnt(0)
	v_lshlrev_b32_e32 v11, 2, v11
	s_barrier
	buffer_gl0_inv
	v_add3_u32 v9, 0xa0, v11, v9
	v_cmpx_gt_u32_e32 64, v0
	s_cbranch_execz .LBB245_571
; %bb.561:
	s_and_saveexec_b32 s0, vcc_lo
	s_cbranch_execnz .LBB245_587
; %bb.562:
	s_or_b32 exec_lo, exec_lo, s0
	s_and_saveexec_b32 s0, vcc_lo
	s_cbranch_execnz .LBB245_588
.LBB245_563:
	s_or_b32 exec_lo, exec_lo, s0
	s_and_saveexec_b32 s0, vcc_lo
	s_cbranch_execnz .LBB245_589
.LBB245_564:
	s_or_b32 exec_lo, exec_lo, s0
	s_and_saveexec_b32 s0, vcc_lo
	s_cbranch_execnz .LBB245_590
.LBB245_565:
	s_or_b32 exec_lo, exec_lo, s0
	s_and_saveexec_b32 s0, vcc_lo
	s_cbranch_execnz .LBB245_591
.LBB245_566:
	s_or_b32 exec_lo, exec_lo, s0
	s_and_saveexec_b32 s0, vcc_lo
	s_cbranch_execnz .LBB245_592
.LBB245_567:
	s_or_b32 exec_lo, exec_lo, s0
	s_and_saveexec_b32 s0, vcc_lo
	s_cbranch_execnz .LBB245_593
.LBB245_568:
	s_or_b32 exec_lo, exec_lo, s0
	s_and_saveexec_b32 s0, vcc_lo
	s_cbranch_execz .LBB245_570
.LBB245_569:
	ds_read_b32 v11, v9 offset:112
	s_waitcnt lgkmcnt(0)
	v_add_f32_e32 v8, v8, v11
.LBB245_570:
	s_or_b32 exec_lo, exec_lo, s0
.LBB245_571:
	s_or_b32 exec_lo, exec_lo, s1
	v_and_b32_e32 v11, 0x3e7, v0
	s_mov_b32 s1, exec_lo
	s_barrier
	buffer_gl0_inv
	v_cmpx_eq_u32_e32 32, v11
	s_cbranch_execz .LBB245_573
; %bb.572:
	ds_write2_b32 v10, v1, v2 offset1:4
	ds_write2_b32 v10, v3, v4 offset0:8 offset1:12
	ds_write2_b32 v10, v5, v6 offset0:16 offset1:20
	;; [unrolled: 1-line block ×3, first 2 shown]
.LBB245_573:
	s_or_b32 exec_lo, exec_lo, s1
	s_mov_b32 s1, exec_lo
	s_waitcnt lgkmcnt(0)
	s_barrier
	buffer_gl0_inv
	v_cmpx_gt_u32_e32 32, v0
	s_cbranch_execz .LBB245_584
; %bb.574:
	s_and_saveexec_b32 s0, vcc_lo
	s_cbranch_execnz .LBB245_594
; %bb.575:
	s_or_b32 exec_lo, exec_lo, s0
	s_and_saveexec_b32 s0, vcc_lo
	s_cbranch_execnz .LBB245_595
.LBB245_576:
	s_or_b32 exec_lo, exec_lo, s0
	s_and_saveexec_b32 s0, vcc_lo
	s_cbranch_execnz .LBB245_596
.LBB245_577:
	s_or_b32 exec_lo, exec_lo, s0
	s_and_saveexec_b32 s0, vcc_lo
	s_cbranch_execnz .LBB245_597
.LBB245_578:
	s_or_b32 exec_lo, exec_lo, s0
	s_and_saveexec_b32 s0, vcc_lo
	s_cbranch_execnz .LBB245_598
.LBB245_579:
	s_or_b32 exec_lo, exec_lo, s0
	s_and_saveexec_b32 s0, vcc_lo
	s_cbranch_execnz .LBB245_599
.LBB245_580:
	s_or_b32 exec_lo, exec_lo, s0
	s_and_saveexec_b32 s0, vcc_lo
	s_cbranch_execnz .LBB245_600
.LBB245_581:
	s_or_b32 exec_lo, exec_lo, s0
	s_and_saveexec_b32 s0, vcc_lo
	s_cbranch_execz .LBB245_583
.LBB245_582:
	ds_read_b32 v9, v9 offset:112
	s_waitcnt lgkmcnt(0)
	v_add_f32_e32 v8, v8, v9
.LBB245_583:
	s_or_b32 exec_lo, exec_lo, s0
.LBB245_584:
	s_or_b32 exec_lo, exec_lo, s1
	s_barrier
	buffer_gl0_inv
	s_mov_b32 s0, exec_lo
	v_cmpx_eq_u32_e32 0, v11
	s_cbranch_execz .LBB245_586
; %bb.585:
	s_lshl_b32 s0, s2, 5
	s_mul_i32 s2, s7, s10
	s_ashr_i32 s1, s0, 31
	v_lshrrev_b32_e32 v0, 1, v0
	s_lshl_b64 s[0:1], s[0:1], 2
	s_add_u32 s4, s24, s0
	s_addc_u32 s5, s25, s1
	s_ashr_i32 s3, s2, 31
	s_lshl_b64 s[0:1], s[2:3], 2
	s_add_u32 s2, s4, s0
	s_addc_u32 s3, s5, s1
	s_lshl_b32 s0, s8, 5
	s_ashr_i32 s1, s0, 31
	s_lshl_b64 s[0:1], s[0:1], 2
	s_add_u32 s0, s2, s0
	s_addc_u32 s1, s3, s1
	global_store_dword v0, v1, s[0:1]
	global_store_dword v0, v2, s[0:1] offset:16
	global_store_dword v0, v3, s[0:1] offset:32
	global_store_dword v0, v4, s[0:1] offset:48
	global_store_dword v0, v5, s[0:1] offset:64
	global_store_dword v0, v6, s[0:1] offset:80
	global_store_dword v0, v7, s[0:1] offset:96
	global_store_dword v0, v8, s[0:1] offset:112
.LBB245_586:
	s_endpgm
.LBB245_587:
	ds_read_b32 v11, v9
	s_waitcnt lgkmcnt(0)
	v_add_f32_e32 v1, v1, v11
	s_or_b32 exec_lo, exec_lo, s0
	s_and_saveexec_b32 s0, vcc_lo
	s_cbranch_execz .LBB245_563
.LBB245_588:
	ds_read_b32 v11, v9 offset:16
	s_waitcnt lgkmcnt(0)
	v_add_f32_e32 v2, v2, v11
	s_or_b32 exec_lo, exec_lo, s0
	s_and_saveexec_b32 s0, vcc_lo
	s_cbranch_execz .LBB245_564
.LBB245_589:
	ds_read_b32 v11, v9 offset:32
	s_waitcnt lgkmcnt(0)
	v_add_f32_e32 v3, v3, v11
	s_or_b32 exec_lo, exec_lo, s0
	s_and_saveexec_b32 s0, vcc_lo
	s_cbranch_execz .LBB245_565
.LBB245_590:
	ds_read_b32 v11, v9 offset:48
	s_waitcnt lgkmcnt(0)
	v_add_f32_e32 v4, v4, v11
	s_or_b32 exec_lo, exec_lo, s0
	s_and_saveexec_b32 s0, vcc_lo
	s_cbranch_execz .LBB245_566
.LBB245_591:
	ds_read_b32 v11, v9 offset:64
	s_waitcnt lgkmcnt(0)
	v_add_f32_e32 v5, v5, v11
	s_or_b32 exec_lo, exec_lo, s0
	s_and_saveexec_b32 s0, vcc_lo
	s_cbranch_execz .LBB245_567
.LBB245_592:
	ds_read_b32 v11, v9 offset:80
	s_waitcnt lgkmcnt(0)
	v_add_f32_e32 v6, v6, v11
	s_or_b32 exec_lo, exec_lo, s0
	s_and_saveexec_b32 s0, vcc_lo
	s_cbranch_execz .LBB245_568
.LBB245_593:
	ds_read_b32 v11, v9 offset:96
	s_waitcnt lgkmcnt(0)
	v_add_f32_e32 v7, v7, v11
	s_or_b32 exec_lo, exec_lo, s0
	s_and_saveexec_b32 s0, vcc_lo
	s_cbranch_execnz .LBB245_569
	s_branch .LBB245_570
.LBB245_594:
	ds_read_b32 v10, v9
	s_waitcnt lgkmcnt(0)
	v_add_f32_e32 v1, v1, v10
	s_or_b32 exec_lo, exec_lo, s0
	s_and_saveexec_b32 s0, vcc_lo
	s_cbranch_execz .LBB245_576
.LBB245_595:
	ds_read_b32 v10, v9 offset:16
	s_waitcnt lgkmcnt(0)
	v_add_f32_e32 v2, v2, v10
	s_or_b32 exec_lo, exec_lo, s0
	s_and_saveexec_b32 s0, vcc_lo
	s_cbranch_execz .LBB245_577
.LBB245_596:
	ds_read_b32 v10, v9 offset:32
	s_waitcnt lgkmcnt(0)
	v_add_f32_e32 v3, v3, v10
	s_or_b32 exec_lo, exec_lo, s0
	s_and_saveexec_b32 s0, vcc_lo
	s_cbranch_execz .LBB245_578
.LBB245_597:
	ds_read_b32 v10, v9 offset:48
	s_waitcnt lgkmcnt(0)
	v_add_f32_e32 v4, v4, v10
	s_or_b32 exec_lo, exec_lo, s0
	s_and_saveexec_b32 s0, vcc_lo
	s_cbranch_execz .LBB245_579
.LBB245_598:
	ds_read_b32 v10, v9 offset:64
	s_waitcnt lgkmcnt(0)
	v_add_f32_e32 v5, v5, v10
	s_or_b32 exec_lo, exec_lo, s0
	s_and_saveexec_b32 s0, vcc_lo
	s_cbranch_execz .LBB245_580
.LBB245_599:
	ds_read_b32 v10, v9 offset:80
	s_waitcnt lgkmcnt(0)
	v_add_f32_e32 v6, v6, v10
	s_or_b32 exec_lo, exec_lo, s0
	s_and_saveexec_b32 s0, vcc_lo
	s_cbranch_execz .LBB245_581
.LBB245_600:
	ds_read_b32 v10, v9 offset:96
	s_waitcnt lgkmcnt(0)
	v_add_f32_e32 v7, v7, v10
	s_or_b32 exec_lo, exec_lo, s0
	s_and_saveexec_b32 s0, vcc_lo
	s_cbranch_execnz .LBB245_582
	s_branch .LBB245_583
	.section	.rodata,"a",@progbits
	.p2align	6, 0x0
	.amdhsa_kernel _ZN4vllm25paged_attention_v2_kernelIfhLi32ELi32ELi128ELNS_18Fp8KVCacheDataTypeE1ELb0ELi512EEEvPfS2_PT_PKS3_PKT0_S9_ifPKiSB_iPKfiiiSD_SD_iiiii
		.amdhsa_group_segment_fixed_size 160
		.amdhsa_private_segment_fixed_size 0
		.amdhsa_kernarg_size 400
		.amdhsa_user_sgpr_count 6
		.amdhsa_user_sgpr_private_segment_buffer 1
		.amdhsa_user_sgpr_dispatch_ptr 0
		.amdhsa_user_sgpr_queue_ptr 0
		.amdhsa_user_sgpr_kernarg_segment_ptr 1
		.amdhsa_user_sgpr_dispatch_id 0
		.amdhsa_user_sgpr_flat_scratch_init 0
		.amdhsa_user_sgpr_private_segment_size 0
		.amdhsa_wavefront_size32 1
		.amdhsa_uses_dynamic_stack 0
		.amdhsa_system_sgpr_private_segment_wavefront_offset 0
		.amdhsa_system_sgpr_workgroup_id_x 1
		.amdhsa_system_sgpr_workgroup_id_y 1
		.amdhsa_system_sgpr_workgroup_id_z 1
		.amdhsa_system_sgpr_workgroup_info 0
		.amdhsa_system_vgpr_workitem_id 0
		.amdhsa_next_free_vgpr 123
		.amdhsa_next_free_sgpr 42
		.amdhsa_reserve_vcc 1
		.amdhsa_reserve_flat_scratch 0
		.amdhsa_float_round_mode_32 0
		.amdhsa_float_round_mode_16_64 0
		.amdhsa_float_denorm_mode_32 3
		.amdhsa_float_denorm_mode_16_64 3
		.amdhsa_dx10_clamp 1
		.amdhsa_ieee_mode 1
		.amdhsa_fp16_overflow 0
		.amdhsa_workgroup_processor_mode 1
		.amdhsa_memory_ordered 1
		.amdhsa_forward_progress 1
		.amdhsa_shared_vgpr_count 0
		.amdhsa_exception_fp_ieee_invalid_op 0
		.amdhsa_exception_fp_denorm_src 0
		.amdhsa_exception_fp_ieee_div_zero 0
		.amdhsa_exception_fp_ieee_overflow 0
		.amdhsa_exception_fp_ieee_underflow 0
		.amdhsa_exception_fp_ieee_inexact 0
		.amdhsa_exception_int_div_zero 0
	.end_amdhsa_kernel
	.section	.text._ZN4vllm25paged_attention_v2_kernelIfhLi32ELi32ELi128ELNS_18Fp8KVCacheDataTypeE1ELb0ELi512EEEvPfS2_PT_PKS3_PKT0_S9_ifPKiSB_iPKfiiiSD_SD_iiiii,"axG",@progbits,_ZN4vllm25paged_attention_v2_kernelIfhLi32ELi32ELi128ELNS_18Fp8KVCacheDataTypeE1ELb0ELi512EEEvPfS2_PT_PKS3_PKT0_S9_ifPKiSB_iPKfiiiSD_SD_iiiii,comdat
.Lfunc_end245:
	.size	_ZN4vllm25paged_attention_v2_kernelIfhLi32ELi32ELi128ELNS_18Fp8KVCacheDataTypeE1ELb0ELi512EEEvPfS2_PT_PKS3_PKT0_S9_ifPKiSB_iPKfiiiSD_SD_iiiii, .Lfunc_end245-_ZN4vllm25paged_attention_v2_kernelIfhLi32ELi32ELi128ELNS_18Fp8KVCacheDataTypeE1ELb0ELi512EEEvPfS2_PT_PKS3_PKT0_S9_ifPKiSB_iPKfiiiSD_SD_iiiii
                                        ; -- End function
	.set _ZN4vllm25paged_attention_v2_kernelIfhLi32ELi32ELi128ELNS_18Fp8KVCacheDataTypeE1ELb0ELi512EEEvPfS2_PT_PKS3_PKT0_S9_ifPKiSB_iPKfiiiSD_SD_iiiii.num_vgpr, 123
	.set _ZN4vllm25paged_attention_v2_kernelIfhLi32ELi32ELi128ELNS_18Fp8KVCacheDataTypeE1ELb0ELi512EEEvPfS2_PT_PKS3_PKT0_S9_ifPKiSB_iPKfiiiSD_SD_iiiii.num_agpr, 0
	.set _ZN4vllm25paged_attention_v2_kernelIfhLi32ELi32ELi128ELNS_18Fp8KVCacheDataTypeE1ELb0ELi512EEEvPfS2_PT_PKS3_PKT0_S9_ifPKiSB_iPKfiiiSD_SD_iiiii.numbered_sgpr, 42
	.set _ZN4vllm25paged_attention_v2_kernelIfhLi32ELi32ELi128ELNS_18Fp8KVCacheDataTypeE1ELb0ELi512EEEvPfS2_PT_PKS3_PKT0_S9_ifPKiSB_iPKfiiiSD_SD_iiiii.num_named_barrier, 0
	.set _ZN4vllm25paged_attention_v2_kernelIfhLi32ELi32ELi128ELNS_18Fp8KVCacheDataTypeE1ELb0ELi512EEEvPfS2_PT_PKS3_PKT0_S9_ifPKiSB_iPKfiiiSD_SD_iiiii.private_seg_size, 0
	.set _ZN4vllm25paged_attention_v2_kernelIfhLi32ELi32ELi128ELNS_18Fp8KVCacheDataTypeE1ELb0ELi512EEEvPfS2_PT_PKS3_PKT0_S9_ifPKiSB_iPKfiiiSD_SD_iiiii.uses_vcc, 1
	.set _ZN4vllm25paged_attention_v2_kernelIfhLi32ELi32ELi128ELNS_18Fp8KVCacheDataTypeE1ELb0ELi512EEEvPfS2_PT_PKS3_PKT0_S9_ifPKiSB_iPKfiiiSD_SD_iiiii.uses_flat_scratch, 0
	.set _ZN4vllm25paged_attention_v2_kernelIfhLi32ELi32ELi128ELNS_18Fp8KVCacheDataTypeE1ELb0ELi512EEEvPfS2_PT_PKS3_PKT0_S9_ifPKiSB_iPKfiiiSD_SD_iiiii.has_dyn_sized_stack, 0
	.set _ZN4vllm25paged_attention_v2_kernelIfhLi32ELi32ELi128ELNS_18Fp8KVCacheDataTypeE1ELb0ELi512EEEvPfS2_PT_PKS3_PKT0_S9_ifPKiSB_iPKfiiiSD_SD_iiiii.has_recursion, 0
	.set _ZN4vllm25paged_attention_v2_kernelIfhLi32ELi32ELi128ELNS_18Fp8KVCacheDataTypeE1ELb0ELi512EEEvPfS2_PT_PKS3_PKT0_S9_ifPKiSB_iPKfiiiSD_SD_iiiii.has_indirect_call, 0
	.section	.AMDGPU.csdata,"",@progbits
; Kernel info:
; codeLenInByte = 17952
; TotalNumSgprs: 44
; NumVgprs: 123
; ScratchSize: 0
; MemoryBound: 0
; FloatMode: 240
; IeeeMode: 1
; LDSByteSize: 160 bytes/workgroup (compile time only)
; SGPRBlocks: 0
; VGPRBlocks: 15
; NumSGPRsForWavesPerEU: 44
; NumVGPRsForWavesPerEU: 123
; Occupancy: 8
; WaveLimiterHint : 1
; COMPUTE_PGM_RSRC2:SCRATCH_EN: 0
; COMPUTE_PGM_RSRC2:USER_SGPR: 6
; COMPUTE_PGM_RSRC2:TRAP_HANDLER: 0
; COMPUTE_PGM_RSRC2:TGID_X_EN: 1
; COMPUTE_PGM_RSRC2:TGID_Y_EN: 1
; COMPUTE_PGM_RSRC2:TGID_Z_EN: 1
; COMPUTE_PGM_RSRC2:TIDIG_COMP_CNT: 0
	.section	.text._ZN4vllm25paged_attention_v2_kernelIfhLi64ELi32ELi128ELNS_18Fp8KVCacheDataTypeE1ELb0ELi512EEEvPfS2_PT_PKS3_PKT0_S9_ifPKiSB_iPKfiiiSD_SD_iiiii,"axG",@progbits,_ZN4vllm25paged_attention_v2_kernelIfhLi64ELi32ELi128ELNS_18Fp8KVCacheDataTypeE1ELb0ELi512EEEvPfS2_PT_PKS3_PKT0_S9_ifPKiSB_iPKfiiiSD_SD_iiiii,comdat
	.protected	_ZN4vllm25paged_attention_v2_kernelIfhLi64ELi32ELi128ELNS_18Fp8KVCacheDataTypeE1ELb0ELi512EEEvPfS2_PT_PKS3_PKT0_S9_ifPKiSB_iPKfiiiSD_SD_iiiii ; -- Begin function _ZN4vllm25paged_attention_v2_kernelIfhLi64ELi32ELi128ELNS_18Fp8KVCacheDataTypeE1ELb0ELi512EEEvPfS2_PT_PKS3_PKT0_S9_ifPKiSB_iPKfiiiSD_SD_iiiii
	.globl	_ZN4vllm25paged_attention_v2_kernelIfhLi64ELi32ELi128ELNS_18Fp8KVCacheDataTypeE1ELb0ELi512EEEvPfS2_PT_PKS3_PKT0_S9_ifPKiSB_iPKfiiiSD_SD_iiiii
	.p2align	8
	.type	_ZN4vllm25paged_attention_v2_kernelIfhLi64ELi32ELi128ELNS_18Fp8KVCacheDataTypeE1ELb0ELi512EEEvPfS2_PT_PKS3_PKT0_S9_ifPKiSB_iPKfiiiSD_SD_iiiii,@function
_ZN4vllm25paged_attention_v2_kernelIfhLi64ELi32ELi128ELNS_18Fp8KVCacheDataTypeE1ELb0ELi512EEEvPfS2_PT_PKS3_PKT0_S9_ifPKiSB_iPKfiiiSD_SD_iiiii: ; @_ZN4vllm25paged_attention_v2_kernelIfhLi64ELi32ELi128ELNS_18Fp8KVCacheDataTypeE1ELb0ELi512EEEvPfS2_PT_PKS3_PKT0_S9_ifPKiSB_iPKfiiiSD_SD_iiiii
; %bb.0:
	s_mov_b64 s[46:47], s[2:3]
	s_mov_b64 s[44:45], s[0:1]
	s_load_dwordx2 s[0:1], s[4:5], 0x40
	s_add_u32 s44, s44, s9
	s_addc_u32 s45, s45, 0
	s_mov_b32 s28, s7
	s_ashr_i32 s29, s7, 31
	s_lshl_b64 s[2:3], s[28:29], 2
	s_waitcnt lgkmcnt(0)
	s_add_u32 s0, s0, s2
	s_addc_u32 s1, s1, s3
	s_lshl_b32 s33, s8, 9
	s_load_dword s29, s[0:1], 0x0
	s_waitcnt lgkmcnt(0)
	s_cmp_ge_i32 s33, s29
	s_cbranch_scc1 .LBB246_1130
; %bb.1:
	s_clause 0x1
	s_load_dword s9, s[4:5], 0x90
	s_load_dwordx2 s[2:3], s[4:5], 0x30
	v_mov_b32_e32 v114, v0
	s_mov_b32 s36, 0
	s_waitcnt lgkmcnt(0)
	s_abs_i32 s10, s9
	s_abs_i32 s0, s2
	s_xor_b32 s2, s9, s2
	v_cvt_f32_u32_e32 v0, s0
	s_sub_i32 s7, 0, s0
	s_ashr_i32 s2, s2, 31
	v_rcp_iflag_f32_e32 v0, v0
	v_mul_f32_e32 v0, 0x4f7ffffe, v0
	v_cvt_u32_f32_e32 v0, v0
	v_readfirstlane_b32 s1, v0
	s_mul_i32 s7, s7, s1
	s_mul_hi_u32 s7, s1, s7
	s_add_i32 s1, s1, s7
	s_mul_hi_u32 s1, s10, s1
	s_mul_i32 s7, s1, s0
	s_sub_i32 s7, s10, s7
	s_add_i32 s10, s1, 1
	s_sub_i32 s11, s7, s0
	s_cmp_ge_u32 s7, s0
	s_cselect_b32 s1, s10, s1
	s_cselect_b32 s7, s11, s7
	s_add_i32 s10, s1, 1
	s_cmp_ge_u32 s7, s0
	s_cselect_b32 s0, s10, s1
	s_abs_i32 s17, s6
	s_xor_b32 s0, s0, s2
	s_sub_i32 s2, s0, s2
	s_load_dwordx2 s[0:1], s[4:5], 0x50
	s_abs_i32 s34, s2
	v_cvt_f32_u32_e32 v0, s34
	s_sub_i32 s10, 0, s34
	v_rcp_iflag_f32_e32 v0, v0
	v_mul_f32_e32 v0, 0x4f7ffffe, v0
	v_cvt_u32_f32_e32 v0, v0
	v_readfirstlane_b32 s7, v0
	s_mul_i32 s10, s10, s7
	s_mul_hi_u32 s10, s7, s10
	s_add_i32 s7, s7, s10
	s_waitcnt lgkmcnt(0)
	s_cmp_eq_u64 s[0:1], 0
	s_mul_hi_u32 s16, s17, s7
	s_cbranch_scc1 .LBB246_3
; %bb.2:
	s_ashr_i32 s7, s6, 31
	s_lshl_b64 s[10:11], s[6:7], 2
	s_add_u32 s0, s0, s10
	s_addc_u32 s1, s1, s11
	s_load_dword s36, s[0:1], 0x0
.LBB246_3:
	s_clause 0x1
	s_load_dwordx2 s[26:27], s[4:5], 0x38
	s_load_dwordx4 s[12:15], s[4:5], 0x58
	s_ashr_i32 s0, s6, 31
	s_ashr_i32 s1, s2, 31
	s_lshl_b32 s10, s6, 6
	s_mov_b32 s2, exec_lo
	v_cmpx_gt_u32_e32 16, v114
	s_cbranch_execz .LBB246_5
; %bb.4:
	s_load_dwordx2 s[18:19], s[4:5], 0x18
	s_waitcnt lgkmcnt(0)
	s_mul_i32 s20, s12, s28
	v_lshlrev_b32_e32 v4, 4, v114
	s_ashr_i32 s21, s20, 31
	s_lshl_b64 s[20:21], s[20:21], 2
	s_add_u32 s7, s18, s20
	s_addc_u32 s12, s19, s21
	s_ashr_i32 s11, s10, 31
	s_lshl_b64 s[18:19], s[10:11], 2
	s_add_u32 s18, s7, s18
	s_addc_u32 s19, s12, s19
	global_load_dwordx4 v[0:3], v4, s[18:19]
	s_waitcnt vmcnt(0)
	ds_write_b128 v4, v[0:3]
.LBB246_5:
	s_or_b32 exec_lo, exec_lo, s2
	s_add_i32 s7, s29, 31
	s_xor_b32 s0, s0, s1
	s_ashr_i32 s2, s7, 31
	s_mul_i32 s1, s16, s34
	s_lshr_b32 s11, s2, 27
	s_lshl_b32 s2, s8, 4
	s_add_i32 s7, s7, s11
	s_add_i32 s11, s2, 16
	s_waitcnt lgkmcnt(0)
	s_ashr_i32 s12, s7, 5
	s_sub_i32 s1, s17, s1
	s_clause 0x3
	s_load_dwordx4 s[20:23], s[4:5], 0x0
	s_load_dwordx2 s[24:25], s[4:5], 0x10
	s_load_dwordx2 s[30:31], s[4:5], 0x28
	s_load_dword s15, s[4:5], 0x48
	s_min_i32 s11, s11, s12
	s_add_i32 s7, s16, 1
	s_sub_i32 s17, s1, s34
	s_cmp_ge_u32 s1, s34
	v_lshrrev_b32_e32 v115, 5, v114
	s_cselect_b32 s35, s7, s16
	s_cselect_b32 s1, s17, s1
	s_clause 0x1
	s_load_dword s7, s[4:5], 0x98
	s_load_dwordx4 s[16:19], s[4:5], 0x68
	s_add_i32 s37, s35, 1
	s_cmp_ge_u32 s1, s34
	v_add_nc_u32_e32 v117, s2, v115
	v_and_b32_e32 v116, 31, v114
	s_cselect_b32 s1, s37, s35
	v_mov_b32_e32 v89, 0xff7fffff
	s_xor_b32 s1, s1, s0
	v_ashrrev_i32_e32 v118, 31, v117
	s_sub_i32 s1, s1, s0
	v_cmp_gt_i32_e64 s0, s11, v117
	v_lshlrev_b32_e32 v9, 2, v116
	s_waitcnt lgkmcnt(0)
	s_mul_i32 s34, s15, s28
	s_mul_i32 s14, s1, s14
	s_ashr_i32 s35, s34, 31
	s_barrier
	buffer_gl0_inv
	s_and_saveexec_b32 s15, s0
	s_cbranch_execz .LBB246_521
; %bb.6:
	v_mov_b32_e32 v68, 0
	buffer_store_dword v114, off, s[44:47], 0 offset:328 ; 4-byte Folded Spill
	s_load_dwordx2 s[38:39], s[4:5], 0x20
	s_load_dword s4, s[16:17], 0x0
	buffer_store_dword v115, off, s[44:47], 0 offset:332 ; 4-byte Folded Spill
	buffer_store_dword v9, off, s[44:47], 0 offset:344 ; 4-byte Folded Spill
	v_lshlrev_b32_e32 v0, 4, v116
	ds_read_b128 v[3:6], v68
	s_ashr_i32 s1, s14, 31
	v_lshlrev_b32_e32 v1, 5, v115
	v_lshl_or_b32 v2, v115, 7, v9
	v_cmp_neq_f32_e64 vcc_lo, s36, 0
	v_mov_b32_e32 v96, v116
	v_mov_b32_e32 v89, 0xff7fffff
	v_add3_u32 v127, s33, v1, v116
	v_add_nc_u32_e32 v90, 0x120, v2
	v_mov_b32_e32 v87, 0x80
	v_bfrev_b32_e32 v84, 1
	v_mov_b32_e32 v58, 0x7f800001
	v_mov_b32_e32 v88, 0xff
	s_waitcnt lgkmcnt(0)
	buffer_store_dword v3, off, s[44:47], 0 offset:64 ; 4-byte Folded Spill
	buffer_store_dword v4, off, s[44:47], 0 offset:68 ; 4-byte Folded Spill
	;; [unrolled: 1-line block ×4, first 2 shown]
	ds_read_b128 v[3:6], v68 offset:16
	s_add_u32 s16, s38, s14
	s_addc_u32 s1, s39, s1
	v_add_co_u32 v0, s16, s16, v0
	v_add_co_ci_u32_e64 v1, null, s1, 0, s16
	s_lshl_b64 s[16:17], s[34:35], 2
	s_sub_i32 s5, 1, s29
	s_add_u32 s1, s26, s16
	s_addc_u32 s16, s27, s17
	s_mov_b32 s17, s13
	s_mov_b32 s37, s4
	s_waitcnt lgkmcnt(0)
	buffer_store_dword v3, off, s[44:47], 0 offset:80 ; 4-byte Folded Spill
	buffer_store_dword v4, off, s[44:47], 0 offset:84 ; 4-byte Folded Spill
	buffer_store_dword v5, off, s[44:47], 0 offset:88 ; 4-byte Folded Spill
	buffer_store_dword v6, off, s[44:47], 0 offset:92 ; 4-byte Folded Spill
	ds_read_b128 v[3:6], v68 offset:32
	s_waitcnt lgkmcnt(0)
	buffer_store_dword v3, off, s[44:47], 0 offset:96 ; 4-byte Folded Spill
	buffer_store_dword v4, off, s[44:47], 0 offset:100 ; 4-byte Folded Spill
	buffer_store_dword v5, off, s[44:47], 0 offset:104 ; 4-byte Folded Spill
	buffer_store_dword v6, off, s[44:47], 0 offset:108 ; 4-byte Folded Spill
	ds_read_b128 v[3:6], v68 offset:48
	;; [unrolled: 6-line block ×6, first 2 shown]
	s_waitcnt lgkmcnt(0)
	buffer_store_dword v3, off, s[44:47], 0 offset:176 ; 4-byte Folded Spill
	buffer_store_dword v4, off, s[44:47], 0 offset:180 ; 4-byte Folded Spill
	;; [unrolled: 1-line block ×6, first 2 shown]
	ds_read_b128 v[2:5], v68 offset:128
	v_lshlrev_b64 v[0:1], 2, v[117:118]
	s_waitcnt lgkmcnt(0)
	buffer_store_dword v2, off, s[44:47], 0 offset:200 ; 4-byte Folded Spill
	buffer_store_dword v3, off, s[44:47], 0 offset:204 ; 4-byte Folded Spill
	;; [unrolled: 1-line block ×4, first 2 shown]
	ds_read_b128 v[2:5], v68 offset:144
	v_add_co_u32 v71, s1, s1, v0
	v_add_co_ci_u32_e64 v72, null, s16, v1, s1
	s_mov_b32 s16, 0
	s_waitcnt lgkmcnt(0)
	buffer_store_dword v2, off, s[44:47], 0 offset:216 ; 4-byte Folded Spill
	buffer_store_dword v3, off, s[44:47], 0 offset:220 ; 4-byte Folded Spill
	buffer_store_dword v4, off, s[44:47], 0 offset:224 ; 4-byte Folded Spill
	buffer_store_dword v5, off, s[44:47], 0 offset:228 ; 4-byte Folded Spill
	ds_read_b128 v[2:5], v68 offset:160
	s_waitcnt lgkmcnt(0)
	buffer_store_dword v2, off, s[44:47], 0 offset:232 ; 4-byte Folded Spill
	buffer_store_dword v3, off, s[44:47], 0 offset:236 ; 4-byte Folded Spill
	buffer_store_dword v4, off, s[44:47], 0 offset:240 ; 4-byte Folded Spill
	buffer_store_dword v5, off, s[44:47], 0 offset:244 ; 4-byte Folded Spill
	ds_read_b128 v[2:5], v68 offset:176
	;; [unrolled: 6-line block ×6, first 2 shown]
	s_waitcnt lgkmcnt(0)
	buffer_store_dword v2, off, s[44:47], 0 offset:312 ; 4-byte Folded Spill
	buffer_store_dword v3, off, s[44:47], 0 offset:316 ; 4-byte Folded Spill
	;; [unrolled: 1-line block ×6, first 2 shown]
	v_mov_b32_e32 v0, v117
	s_branch .LBB246_11
.LBB246_7:                              ;   in Loop: Header=BB246_11 Depth=1
	s_or_b32 exec_lo, exec_lo, s41
	v_mov_b32_e32 v77, 24
	v_lshlrev_b32_e32 v67, 20, v67
	v_lshl_add_u32 v57, v57, 23, 0x3c000000
	v_lshlrev_b32_sdwa v77, v77, v95 dst_sel:DWORD dst_unused:UNUSED_PAD src0_sel:DWORD src1_sel:BYTE_3
	v_and_b32_e32 v77, 0x80000000, v77
	v_or3_b32 v78, v67, v77, v57
	v_mov_b32_e32 v77, v68
.LBB246_8:                              ;   in Loop: Header=BB246_11 Depth=1
	s_or_b32 exec_lo, exec_lo, s40
.LBB246_9:                              ;   in Loop: Header=BB246_11 Depth=1
	s_or_b32 exec_lo, exec_lo, s39
.LBB246_10:                             ;   in Loop: Header=BB246_11 Depth=1
	s_or_b32 exec_lo, exec_lo, s38
	v_or_b32_e32 v2, v2, v70
	v_or_b32_e32 v8, v10, v8
	;; [unrolled: 1-line block ×5, first 2 shown]
	v_mul_f32_e32 v11, s37, v2
	v_or_b32_e32 v2, v3, v5
	v_mul_f32_e32 v7, s37, v8
	v_or_b32_e32 v8, v12, v14
	v_or_b32_e32 v23, v23, v21
	v_mul_f32_e32 v21, s37, v22
	v_mul_f32_e32 v14, s4, v2
	v_or_b32_e32 v2, v121, v119
	v_or_b32_e32 v22, v26, v28
	;; [unrolled: 1-line block ×5, first 2 shown]
	v_mul_f32_e32 v28, s4, v2
	v_or_b32_e32 v2, v123, v125
	v_or_b32_e32 v40, v41, v43
	;; [unrolled: 1-line block ×5, first 2 shown]
	v_mul_f32_e32 v33, s4, v2
	v_or_b32_e32 v2, v113, v111
	v_or_b32_e32 v24, v25, v27
	;; [unrolled: 1-line block ×3, first 2 shown]
	v_mul_f32_e32 v13, s4, v1
	v_or_b32_e32 v1, v4, v6
	v_mul_f32_e32 v41, s4, v2
	v_or_b32_e32 v2, v115, v117
	;; [unrolled: 2-line block ×5, first 2 shown]
	v_or_b32_e32 v39, v39, v37
	v_mul_f32_e32 v37, s37, v38
	v_mul_f32_e32 v26, s37, v1
	v_or_b32_e32 v1, v124, v126
	v_mul_f32_e32 v43, s4, v2
	v_or_b32_e32 v2, v109, v107
	v_or_b32_e32 v38, v42, v44
	;; [unrolled: 1-line block ×3, first 2 shown]
	v_mul_f32_e32 v27, s37, v1
	v_or_b32_e32 v1, v114, v112
	v_mul_f32_e32 v49, s4, v2
	s_clause 0x1
	buffer_load_dword v2, off, s[44:47], 0 offset:56
	buffer_load_dword v3, off, s[44:47], 0 offset:60
	v_or_b32_e32 v56, v75, v59
	v_or_b32_e32 v47, v47, v45
	v_mul_f32_e32 v36, s37, v1
	v_or_b32_e32 v1, v116, v118
	v_mul_f32_e32 v45, s37, v46
	v_or_b32_e32 v46, v50, v52
	v_or_b32_e32 v16, v66, v16
	;; [unrolled: 1-line block ×3, first 2 shown]
	v_mul_f32_e32 v34, s37, v1
	v_or_b32_e32 v1, v106, v104
	v_or_b32_e32 v17, v17, v19
	v_mul_f32_e32 v15, s37, v16
	v_or_b32_e32 v16, v18, v20
	v_or_b32_e32 v57, v64, v62
	;; [unrolled: 3-line block ×4, first 2 shown]
	v_mul_f32_e32 v44, s37, v1
	v_or_b32_e32 v63, v73, v81
	v_mul_f32_e32 v9, s4, v9
	v_mul_f32_e32 v8, s37, v8
	;; [unrolled: 1-line block ×3, first 2 shown]
	v_or_b32_e32 v61, v74, v82
	v_mul_f32_e32 v10, s4, v10
	v_mul_f32_e32 v25, s4, v25
	;; [unrolled: 1-line block ×22, first 2 shown]
	v_cmp_gt_i32_e64 s1, s29, v127
	v_add_nc_u32_e32 v0, 4, v0
	s_waitcnt vmcnt(1)
	v_or_b32_e32 v2, v97, v2
	s_waitcnt vmcnt(0)
	v_or_b32_e32 v1, v98, v3
	v_mul_f32_e32 v51, s4, v2
	v_or_b32_e32 v2, v101, v99
	v_mul_f32_e32 v50, s37, v1
	;; [unrolled: 2-line block ×3, first 2 shown]
	s_clause 0x3
	buffer_load_dword v2, off, s[44:47], 0 offset:32
	buffer_load_dword v3, off, s[44:47], 0 offset:36
	;; [unrolled: 1-line block ×4, first 2 shown]
	v_mul_f32_e32 v52, s37, v1
	s_waitcnt vmcnt(1)
	v_or_b32_e32 v2, v4, v2
	s_waitcnt vmcnt(0)
	v_or_b32_e32 v1, v5, v3
	v_mul_f32_e32 v12, s4, v2
	s_clause 0x1
	buffer_load_dword v2, off, s[44:47], 0 offset:48
	buffer_load_dword v3, off, s[44:47], 0 offset:52
	v_mul_f32_e32 v18, s37, v1
	s_waitcnt vmcnt(1)
	v_or_b32_e32 v2, v91, v2
	s_waitcnt vmcnt(0)
	v_or_b32_e32 v1, v92, v3
	v_mul_f32_e32 v19, s4, v2
	s_clause 0x3
	buffer_load_dword v2, off, s[44:47], 0
	buffer_load_dword v3, off, s[44:47], 0 offset:4
	buffer_load_dword v4, off, s[44:47], 0 offset:8
	;; [unrolled: 1-line block ×3, first 2 shown]
	v_mul_f32_e32 v20, s37, v1
	s_waitcnt vmcnt(1)
	v_or_b32_e32 v2, v4, v2
	s_waitcnt vmcnt(0)
	v_or_b32_e32 v1, v5, v3
	v_mul_f32_e32 v64, s4, v2
	s_clause 0x3
	buffer_load_dword v2, off, s[44:47], 0 offset:16
	buffer_load_dword v3, off, s[44:47], 0 offset:20
	;; [unrolled: 1-line block ×4, first 2 shown]
	v_mul_f32_e32 v60, s37, v1
	s_waitcnt vmcnt(1)
	v_or_b32_e32 v2, v4, v2
	s_waitcnt vmcnt(0)
	v_or_b32_e32 v1, v5, v3
	v_or_b32_e32 v3, v79, v93
	;; [unrolled: 1-line block ×3, first 2 shown]
	v_mul_f32_e32 v66, s4, v2
	v_mul_f32_e32 v65, s37, v1
	;; [unrolled: 1-line block ×3, first 2 shown]
	v_or_b32_e32 v3, v78, v86
	s_clause 0x3
	buffer_load_dword v76, off, s[44:47], 0 offset:80
	buffer_load_dword v77, off, s[44:47], 0 offset:84
	;; [unrolled: 1-line block ×4, first 2 shown]
	v_or_b32_e32 v2, v80, v94
	v_add_nc_u32_e32 v1, s5, v127
	v_mul_f32_e32 v4, s4, v4
	v_mul_f32_e32 v3, s37, v3
	v_add_nc_u32_e32 v127, 0x80, v127
	v_mul_f32_e32 v2, s37, v2
	v_cvt_f32_i32_e32 v1, v1
	v_mul_f32_e32 v1, s36, v1
	v_cndmask_b32_e32 v1, 0, v1, vcc_lo
	s_waitcnt vmcnt(3)
	v_mul_f32_e32 v12, v76, v12
	s_clause 0x3
	buffer_load_dword v73, off, s[44:47], 0 offset:64
	buffer_load_dword v74, off, s[44:47], 0 offset:68
	;; [unrolled: 1-line block ×4, first 2 shown]
	s_waitcnt vmcnt(5)
	v_mul_f32_e32 v19, v78, v19
	s_waitcnt vmcnt(4)
	v_mul_f32_e32 v20, v79, v20
	v_mul_f32_e32 v18, v77, v18
	s_waitcnt vmcnt(3)
	v_fmac_f32_e32 v12, v73, v64
	s_waitcnt vmcnt(2)
	v_fmac_f32_e32 v18, v74, v60
	s_waitcnt vmcnt(1)
	v_fmac_f32_e32 v19, v75, v66
	s_waitcnt vmcnt(0)
	v_fmac_f32_e32 v20, v76, v65
	s_clause 0x3
	buffer_load_dword v64, off, s[44:47], 0 offset:96
	buffer_load_dword v65, off, s[44:47], 0 offset:100
	;; [unrolled: 1-line block ×4, first 2 shown]
	s_waitcnt vmcnt(3)
	v_fmac_f32_e32 v12, v64, v51
	s_waitcnt vmcnt(2)
	v_fmac_f32_e32 v18, v65, v50
	;; [unrolled: 2-line block ×4, first 2 shown]
	s_clause 0x3
	buffer_load_dword v64, off, s[44:47], 0 offset:112
	buffer_load_dword v65, off, s[44:47], 0 offset:116
	;; [unrolled: 1-line block ×4, first 2 shown]
	s_waitcnt vmcnt(3)
	v_fmac_f32_e32 v12, v64, v43
	s_waitcnt vmcnt(2)
	v_fmac_f32_e32 v18, v65, v42
	;; [unrolled: 2-line block ×3, first 2 shown]
	s_clause 0x3
	buffer_load_dword v49, off, s[44:47], 0 offset:128
	buffer_load_dword v50, off, s[44:47], 0 offset:132
	;; [unrolled: 1-line block ×4, first 2 shown]
	s_waitcnt vmcnt(4)
	v_fmac_f32_e32 v20, v67, v44
	s_waitcnt vmcnt(3)
	v_fmac_f32_e32 v12, v49, v41
	s_clause 0x3
	buffer_load_dword v41, off, s[44:47], 0 offset:144
	buffer_load_dword v42, off, s[44:47], 0 offset:148
	;; [unrolled: 1-line block ×4, first 2 shown]
	s_waitcnt vmcnt(5)
	v_fmac_f32_e32 v19, v51, v35
	v_fmac_f32_e32 v18, v50, v36
	s_waitcnt vmcnt(4)
	v_fmac_f32_e32 v20, v52, v34
	s_waitcnt vmcnt(3)
	;; [unrolled: 2-line block ×4, first 2 shown]
	v_fmac_f32_e32 v19, v43, v33
	s_clause 0x3
	buffer_load_dword v33, off, s[44:47], 0 offset:160
	buffer_load_dword v34, off, s[44:47], 0 offset:164
	;; [unrolled: 1-line block ×4, first 2 shown]
	s_waitcnt vmcnt(4)
	v_fmac_f32_e32 v20, v44, v27
	s_waitcnt vmcnt(3)
	v_fmac_f32_e32 v12, v33, v13
	;; [unrolled: 2-line block ×5, first 2 shown]
	s_clause 0x3
	buffer_load_dword v33, off, s[44:47], 0 offset:176
	buffer_load_dword v34, off, s[44:47], 0 offset:180
	buffer_load_dword v35, off, s[44:47], 0 offset:184
	buffer_load_dword v36, off, s[44:47], 0 offset:188
	s_waitcnt vmcnt(3)
	v_fmac_f32_e32 v12, v33, v9
	s_waitcnt vmcnt(2)
	v_fmac_f32_e32 v18, v34, v7
	s_waitcnt vmcnt(1)
	v_fmac_f32_e32 v19, v35, v10
	s_waitcnt vmcnt(0)
	v_fmac_f32_e32 v20, v36, v8
	s_clause 0x3
	buffer_load_dword v6, off, s[44:47], 0 offset:200
	buffer_load_dword v7, off, s[44:47], 0 offset:204
	buffer_load_dword v8, off, s[44:47], 0 offset:208
	buffer_load_dword v9, off, s[44:47], 0 offset:212
	s_waitcnt vmcnt(3)
	v_fmac_f32_e32 v12, v6, v25
	s_waitcnt vmcnt(2)
	v_fmac_f32_e32 v18, v7, v15
	s_waitcnt vmcnt(1)
	v_fmac_f32_e32 v19, v8, v17
	s_waitcnt vmcnt(0)
	v_fmac_f32_e32 v20, v9, v16
	;; [unrolled: 13-line block ×9, first 2 shown]
	v_add_f32_e32 v2, v12, v18
	v_add_f32_e32 v2, v2, v19
	;; [unrolled: 1-line block ×3, first 2 shown]
	v_fmac_f32_e32 v1, s3, v2
	v_cndmask_b32_e64 v2, 0, v1, s1
	ds_write_b32 v90, v2
	v_max_f32_e32 v2, v89, v89
	v_add_nc_u32_e32 v90, 0x200, v90
	v_max_f32_e32 v1, v2, v1
	v_cndmask_b32_e64 v89, v89, v1, s1
	v_add_co_u32 v71, s1, v71, 16
	v_add_co_ci_u32_e64 v72, null, 0, v72, s1
	v_cmp_le_i32_e64 s1, s11, v0
	s_or_b32 s16, s1, s16
	s_andn2_b32 exec_lo, exec_lo, s16
	s_cbranch_execz .LBB246_520
.LBB246_11:                             ; =>This Inner Loop Header: Depth=1
	global_load_dword v1, v[71:72], off
	s_clause 0x1
	buffer_load_dword v2, off, s[44:47], 0 offset:192
	buffer_load_dword v3, off, s[44:47], 0 offset:196
	s_waitcnt vmcnt(0)
	v_mad_i64_i32 v[93:94], null, v1, s17, v[2:3]
	v_mov_b32_e32 v2, 0
	v_mov_b32_e32 v3, 0
	global_load_dword v1, v[93:94], off
	buffer_store_dword v2, off, s[44:47], 0 offset:8 ; 4-byte Folded Spill
	buffer_store_dword v3, off, s[44:47], 0 offset:12 ; 4-byte Folded Spill
	v_mov_b32_e32 v2, 0
	v_mov_b32_e32 v3, 0
	buffer_store_dword v2, off, s[44:47], 0 ; 4-byte Folded Spill
	buffer_store_dword v3, off, s[44:47], 0 offset:4 ; 4-byte Folded Spill
	s_waitcnt vmcnt(0)
	v_cmp_ne_u16_sdwa s1, v1, v68 src0_sel:BYTE_0 src1_sel:DWORD
	s_and_saveexec_b32 s38, s1
	s_cbranch_execz .LBB246_19
; %bb.12:                               ;   in Loop: Header=BB246_11 Depth=1
	v_bfrev_b32_e32 v2, 1
	v_mov_b32_e32 v3, 0
	v_cmp_ne_u16_sdwa s1, v1, v87 src0_sel:BYTE_0 src1_sel:DWORD
	buffer_store_dword v2, off, s[44:47], 0 ; 4-byte Folded Spill
	buffer_store_dword v3, off, s[44:47], 0 offset:4 ; 4-byte Folded Spill
	s_and_saveexec_b32 s39, s1
	s_cbranch_execz .LBB246_18
; %bb.13:                               ;   in Loop: Header=BB246_11 Depth=1
	v_mov_b32_e32 v4, 0x7f800001
	v_and_b32_e32 v3, 0x7f, v1
	v_mov_b32_e32 v5, 0
	s_mov_b32 s40, exec_lo
	buffer_store_dword v4, off, s[44:47], 0 ; 4-byte Folded Spill
	buffer_store_dword v5, off, s[44:47], 0 offset:4 ; 4-byte Folded Spill
	v_cmpx_ne_u32_e32 0x7f, v3
	s_cbranch_execz .LBB246_17
; %bb.14:                               ;   in Loop: Header=BB246_11 Depth=1
	v_and_b32_e32 v67, 7, v1
	v_lshrrev_b32_e32 v2, 3, v3
	s_mov_b32 s41, exec_lo
	v_cmpx_gt_u32_e32 8, v3
; %bb.15:                               ;   in Loop: Header=BB246_11 Depth=1
	v_ffbh_u32_e32 v2, v67
	v_min_u32_e32 v2, 32, v2
	v_subrev_nc_u32_e32 v3, 28, v2
	v_sub_nc_u32_e32 v2, 29, v2
	v_lshlrev_b64 v[3:4], v3, v[67:68]
	v_and_b32_e32 v67, 7, v3
; %bb.16:                               ;   in Loop: Header=BB246_11 Depth=1
	s_or_b32 exec_lo, exec_lo, s41
	v_lshlrev_b32_e32 v3, 24, v1
	v_lshlrev_b32_e32 v4, 20, v67
	v_lshl_add_u32 v2, v2, 23, 0x3c000000
	v_and_b32_e32 v3, 0x80000000, v3
	v_or3_b32 v67, v4, v3, v2
	buffer_store_dword v67, off, s[44:47], 0 ; 4-byte Folded Spill
	buffer_store_dword v68, off, s[44:47], 0 offset:4 ; 4-byte Folded Spill
.LBB246_17:                             ;   in Loop: Header=BB246_11 Depth=1
	s_or_b32 exec_lo, exec_lo, s40
.LBB246_18:                             ;   in Loop: Header=BB246_11 Depth=1
	s_or_b32 exec_lo, exec_lo, s39
.LBB246_19:                             ;   in Loop: Header=BB246_11 Depth=1
	s_or_b32 exec_lo, exec_lo, s38
	v_cmp_ne_u16_sdwa s1, v1, v68 src0_sel:BYTE_1 src1_sel:DWORD
	s_and_saveexec_b32 s38, s1
	s_cbranch_execz .LBB246_27
; %bb.20:                               ;   in Loop: Header=BB246_11 Depth=1
	v_mov_b32_e32 v83, v68
	v_cmp_ne_u16_sdwa s1, v1, v87 src0_sel:BYTE_1 src1_sel:DWORD
	buffer_store_dword v83, off, s[44:47], 0 offset:8 ; 4-byte Folded Spill
	buffer_store_dword v84, off, s[44:47], 0 offset:12 ; 4-byte Folded Spill
	s_and_saveexec_b32 s39, s1
	s_cbranch_execz .LBB246_26
; %bb.21:                               ;   in Loop: Header=BB246_11 Depth=1
	v_mov_b32_e32 v2, 0xffff
	v_mov_b32_e32 v57, v68
	s_mov_b32 s40, exec_lo
	buffer_store_dword v57, off, s[44:47], 0 offset:8 ; 4-byte Folded Spill
	buffer_store_dword v58, off, s[44:47], 0 offset:12 ; 4-byte Folded Spill
	v_and_b32_sdwa v2, v2, v1 dst_sel:DWORD dst_unused:UNUSED_PAD src0_sel:DWORD src1_sel:BYTE_1
	v_and_b32_e32 v3, 0x7f, v2
	v_cmpx_ne_u32_e32 0x7f, v3
	s_cbranch_execz .LBB246_25
; %bb.22:                               ;   in Loop: Header=BB246_11 Depth=1
	v_and_b32_e32 v67, 7, v2
	v_lshrrev_b32_e32 v2, 3, v3
	s_mov_b32 s41, exec_lo
	v_cmpx_gt_u32_e32 8, v3
; %bb.23:                               ;   in Loop: Header=BB246_11 Depth=1
	v_ffbh_u32_e32 v2, v67
	v_min_u32_e32 v2, 32, v2
	v_subrev_nc_u32_e32 v3, 28, v2
	v_sub_nc_u32_e32 v2, 29, v2
	v_lshlrev_b64 v[3:4], v3, v[67:68]
	v_and_b32_e32 v67, 7, v3
; %bb.24:                               ;   in Loop: Header=BB246_11 Depth=1
	s_or_b32 exec_lo, exec_lo, s41
	v_lshlrev_b32_e32 v3, 16, v1
	v_lshlrev_b32_e32 v4, 20, v67
	v_lshl_add_u32 v2, v2, 23, 0x3c000000
	v_and_b32_e32 v3, 0x80000000, v3
	v_or3_b32 v3, v4, v3, v2
	v_mov_b32_e32 v2, v68
	buffer_store_dword v2, off, s[44:47], 0 offset:8 ; 4-byte Folded Spill
	buffer_store_dword v3, off, s[44:47], 0 offset:12 ; 4-byte Folded Spill
.LBB246_25:                             ;   in Loop: Header=BB246_11 Depth=1
	s_or_b32 exec_lo, exec_lo, s40
.LBB246_26:                             ;   in Loop: Header=BB246_11 Depth=1
	s_or_b32 exec_lo, exec_lo, s39
.LBB246_27:                             ;   in Loop: Header=BB246_11 Depth=1
	s_or_b32 exec_lo, exec_lo, s38
	v_mov_b32_e32 v3, 0
	v_mov_b32_e32 v4, 0
	v_and_b32_sdwa v2, v1, v88 dst_sel:DWORD dst_unused:UNUSED_PAD src0_sel:WORD_1 src1_sel:DWORD
	s_mov_b32 s38, exec_lo
	buffer_store_dword v3, off, s[44:47], 0 offset:24 ; 4-byte Folded Spill
	buffer_store_dword v4, off, s[44:47], 0 offset:28 ; 4-byte Folded Spill
	v_mov_b32_e32 v3, 0
	v_mov_b32_e32 v4, 0
	buffer_store_dword v3, off, s[44:47], 0 offset:16 ; 4-byte Folded Spill
	buffer_store_dword v4, off, s[44:47], 0 offset:20 ; 4-byte Folded Spill
	v_cmpx_ne_u16_e32 0, v2
	s_cbranch_execz .LBB246_35
; %bb.28:                               ;   in Loop: Header=BB246_11 Depth=1
	v_bfrev_b32_e32 v3, 1
	v_mov_b32_e32 v4, 0
	s_mov_b32 s39, exec_lo
	buffer_store_dword v3, off, s[44:47], 0 offset:16 ; 4-byte Folded Spill
	buffer_store_dword v4, off, s[44:47], 0 offset:20 ; 4-byte Folded Spill
	v_cmpx_ne_u16_e32 0x80, v2
	s_cbranch_execz .LBB246_34
; %bb.29:                               ;   in Loop: Header=BB246_11 Depth=1
	v_mov_b32_e32 v4, 0x7f800001
	v_bfe_u32 v3, v1, 16, 7
	v_mov_b32_e32 v5, 0
	s_mov_b32 s40, exec_lo
	buffer_store_dword v4, off, s[44:47], 0 offset:16 ; 4-byte Folded Spill
	buffer_store_dword v5, off, s[44:47], 0 offset:20 ; 4-byte Folded Spill
	v_cmpx_ne_u32_e32 0x7f, v3
	s_cbranch_execz .LBB246_33
; %bb.30:                               ;   in Loop: Header=BB246_11 Depth=1
	v_mov_b32_e32 v2, 7
	s_mov_b32 s41, exec_lo
	v_and_b32_sdwa v67, v1, v2 dst_sel:DWORD dst_unused:UNUSED_PAD src0_sel:WORD_1 src1_sel:DWORD
	v_lshrrev_b32_e32 v2, 3, v3
	v_cmpx_gt_u32_e32 8, v3
; %bb.31:                               ;   in Loop: Header=BB246_11 Depth=1
	v_ffbh_u32_e32 v2, v67
	v_min_u32_e32 v2, 32, v2
	v_subrev_nc_u32_e32 v3, 28, v2
	v_sub_nc_u32_e32 v2, 29, v2
	v_lshlrev_b64 v[3:4], v3, v[67:68]
	v_and_b32_e32 v67, 7, v3
; %bb.32:                               ;   in Loop: Header=BB246_11 Depth=1
	s_or_b32 exec_lo, exec_lo, s41
	v_mov_b32_e32 v3, 24
	v_lshlrev_b32_e32 v4, 20, v67
	v_lshl_add_u32 v2, v2, 23, 0x3c000000
	v_lshlrev_b32_sdwa v3, v3, v1 dst_sel:DWORD dst_unused:UNUSED_PAD src0_sel:DWORD src1_sel:WORD_1
	v_and_b32_e32 v3, 0x80000000, v3
	v_or3_b32 v67, v4, v3, v2
	buffer_store_dword v67, off, s[44:47], 0 offset:16 ; 4-byte Folded Spill
	buffer_store_dword v68, off, s[44:47], 0 offset:20 ; 4-byte Folded Spill
.LBB246_33:                             ;   in Loop: Header=BB246_11 Depth=1
	s_or_b32 exec_lo, exec_lo, s40
.LBB246_34:                             ;   in Loop: Header=BB246_11 Depth=1
	s_or_b32 exec_lo, exec_lo, s39
.LBB246_35:                             ;   in Loop: Header=BB246_11 Depth=1
	s_or_b32 exec_lo, exec_lo, s38
	s_mov_b32 s38, exec_lo
	v_cmpx_lt_u32_e32 0xffffff, v1
	s_cbranch_execz .LBB246_43
; %bb.36:                               ;   in Loop: Header=BB246_11 Depth=1
	v_mov_b32_e32 v83, v68
	v_cmp_ne_u32_sdwa s1, v1, v87 src0_sel:BYTE_3 src1_sel:DWORD
	buffer_store_dword v83, off, s[44:47], 0 offset:24 ; 4-byte Folded Spill
	buffer_store_dword v84, off, s[44:47], 0 offset:28 ; 4-byte Folded Spill
	s_and_saveexec_b32 s39, s1
	s_cbranch_execz .LBB246_42
; %bb.37:                               ;   in Loop: Header=BB246_11 Depth=1
	v_bfe_u32 v3, v1, 24, 7
	v_mov_b32_e32 v57, v68
	s_mov_b32 s40, exec_lo
	buffer_store_dword v57, off, s[44:47], 0 offset:24 ; 4-byte Folded Spill
	buffer_store_dword v58, off, s[44:47], 0 offset:28 ; 4-byte Folded Spill
	v_cmpx_ne_u32_e32 0x7f, v3
	s_cbranch_execz .LBB246_41
; %bb.38:                               ;   in Loop: Header=BB246_11 Depth=1
	v_mov_b32_e32 v2, 7
	s_mov_b32 s41, exec_lo
	v_and_b32_sdwa v67, v1, v2 dst_sel:DWORD dst_unused:UNUSED_PAD src0_sel:BYTE_3 src1_sel:DWORD
	v_lshrrev_b32_e32 v2, 3, v3
	v_cmpx_gt_u32_e32 8, v3
; %bb.39:                               ;   in Loop: Header=BB246_11 Depth=1
	v_ffbh_u32_e32 v2, v67
	v_min_u32_e32 v2, 32, v2
	v_subrev_nc_u32_e32 v3, 28, v2
	v_sub_nc_u32_e32 v2, 29, v2
	v_lshlrev_b64 v[3:4], v3, v[67:68]
	v_and_b32_e32 v67, 7, v3
; %bb.40:                               ;   in Loop: Header=BB246_11 Depth=1
	s_or_b32 exec_lo, exec_lo, s41
	v_mov_b32_e32 v3, 24
	v_lshl_add_u32 v2, v2, 23, 0x3c000000
	v_lshlrev_b32_sdwa v1, v3, v1 dst_sel:DWORD dst_unused:UNUSED_PAD src0_sel:DWORD src1_sel:BYTE_3
	v_lshlrev_b32_e32 v3, 20, v67
	v_and_b32_e32 v1, 0x80000000, v1
	v_or3_b32 v2, v3, v1, v2
	v_mov_b32_e32 v1, v68
	buffer_store_dword v1, off, s[44:47], 0 offset:24 ; 4-byte Folded Spill
	buffer_store_dword v2, off, s[44:47], 0 offset:28 ; 4-byte Folded Spill
.LBB246_41:                             ;   in Loop: Header=BB246_11 Depth=1
	s_or_b32 exec_lo, exec_lo, s40
.LBB246_42:                             ;   in Loop: Header=BB246_11 Depth=1
	s_or_b32 exec_lo, exec_lo, s39
.LBB246_43:                             ;   in Loop: Header=BB246_11 Depth=1
	s_or_b32 exec_lo, exec_lo, s38
	global_load_dword v1, v[93:94], off offset:4
	v_mov_b32_e32 v2, 0
	v_mov_b32_e32 v3, 0
	buffer_store_dword v2, off, s[44:47], 0 offset:40 ; 4-byte Folded Spill
	buffer_store_dword v3, off, s[44:47], 0 offset:44 ; 4-byte Folded Spill
	v_mov_b32_e32 v2, 0
	v_mov_b32_e32 v3, 0
	buffer_store_dword v2, off, s[44:47], 0 offset:32 ; 4-byte Folded Spill
	buffer_store_dword v3, off, s[44:47], 0 offset:36 ; 4-byte Folded Spill
	s_waitcnt vmcnt(0)
	v_cmp_ne_u16_sdwa s1, v1, v68 src0_sel:BYTE_0 src1_sel:DWORD
	s_and_saveexec_b32 s38, s1
	s_cbranch_execz .LBB246_51
; %bb.44:                               ;   in Loop: Header=BB246_11 Depth=1
	v_bfrev_b32_e32 v2, 1
	v_mov_b32_e32 v3, 0
	v_cmp_ne_u16_sdwa s1, v1, v87 src0_sel:BYTE_0 src1_sel:DWORD
	buffer_store_dword v2, off, s[44:47], 0 offset:32 ; 4-byte Folded Spill
	buffer_store_dword v3, off, s[44:47], 0 offset:36 ; 4-byte Folded Spill
	s_and_saveexec_b32 s39, s1
	s_cbranch_execz .LBB246_50
; %bb.45:                               ;   in Loop: Header=BB246_11 Depth=1
	v_mov_b32_e32 v4, 0x7f800001
	v_and_b32_e32 v3, 0x7f, v1
	v_mov_b32_e32 v5, 0
	s_mov_b32 s40, exec_lo
	buffer_store_dword v4, off, s[44:47], 0 offset:32 ; 4-byte Folded Spill
	buffer_store_dword v5, off, s[44:47], 0 offset:36 ; 4-byte Folded Spill
	v_cmpx_ne_u32_e32 0x7f, v3
	s_cbranch_execz .LBB246_49
; %bb.46:                               ;   in Loop: Header=BB246_11 Depth=1
	v_and_b32_e32 v67, 7, v1
	v_lshrrev_b32_e32 v2, 3, v3
	s_mov_b32 s41, exec_lo
	v_cmpx_gt_u32_e32 8, v3
; %bb.47:                               ;   in Loop: Header=BB246_11 Depth=1
	v_ffbh_u32_e32 v2, v67
	v_min_u32_e32 v2, 32, v2
	v_subrev_nc_u32_e32 v3, 28, v2
	v_sub_nc_u32_e32 v2, 29, v2
	v_lshlrev_b64 v[3:4], v3, v[67:68]
	v_and_b32_e32 v67, 7, v3
; %bb.48:                               ;   in Loop: Header=BB246_11 Depth=1
	s_or_b32 exec_lo, exec_lo, s41
	v_lshlrev_b32_e32 v3, 24, v1
	v_lshlrev_b32_e32 v4, 20, v67
	v_lshl_add_u32 v2, v2, 23, 0x3c000000
	v_and_b32_e32 v3, 0x80000000, v3
	v_or3_b32 v67, v4, v3, v2
	buffer_store_dword v67, off, s[44:47], 0 offset:32 ; 4-byte Folded Spill
	buffer_store_dword v68, off, s[44:47], 0 offset:36 ; 4-byte Folded Spill
.LBB246_49:                             ;   in Loop: Header=BB246_11 Depth=1
	s_or_b32 exec_lo, exec_lo, s40
.LBB246_50:                             ;   in Loop: Header=BB246_11 Depth=1
	s_or_b32 exec_lo, exec_lo, s39
.LBB246_51:                             ;   in Loop: Header=BB246_11 Depth=1
	s_or_b32 exec_lo, exec_lo, s38
	v_cmp_ne_u16_sdwa s1, v1, v68 src0_sel:BYTE_1 src1_sel:DWORD
	s_and_saveexec_b32 s38, s1
	s_cbranch_execz .LBB246_59
; %bb.52:                               ;   in Loop: Header=BB246_11 Depth=1
	v_mov_b32_e32 v83, v68
	v_cmp_ne_u16_sdwa s1, v1, v87 src0_sel:BYTE_1 src1_sel:DWORD
	buffer_store_dword v83, off, s[44:47], 0 offset:40 ; 4-byte Folded Spill
	buffer_store_dword v84, off, s[44:47], 0 offset:44 ; 4-byte Folded Spill
	s_and_saveexec_b32 s39, s1
	s_cbranch_execz .LBB246_58
; %bb.53:                               ;   in Loop: Header=BB246_11 Depth=1
	v_mov_b32_e32 v2, 0xffff
	v_mov_b32_e32 v57, v68
	s_mov_b32 s40, exec_lo
	buffer_store_dword v57, off, s[44:47], 0 offset:40 ; 4-byte Folded Spill
	buffer_store_dword v58, off, s[44:47], 0 offset:44 ; 4-byte Folded Spill
	v_and_b32_sdwa v2, v2, v1 dst_sel:DWORD dst_unused:UNUSED_PAD src0_sel:DWORD src1_sel:BYTE_1
	v_and_b32_e32 v3, 0x7f, v2
	v_cmpx_ne_u32_e32 0x7f, v3
	s_cbranch_execz .LBB246_57
; %bb.54:                               ;   in Loop: Header=BB246_11 Depth=1
	v_and_b32_e32 v67, 7, v2
	v_lshrrev_b32_e32 v2, 3, v3
	s_mov_b32 s41, exec_lo
	v_cmpx_gt_u32_e32 8, v3
; %bb.55:                               ;   in Loop: Header=BB246_11 Depth=1
	v_ffbh_u32_e32 v2, v67
	v_min_u32_e32 v2, 32, v2
	v_subrev_nc_u32_e32 v3, 28, v2
	v_sub_nc_u32_e32 v2, 29, v2
	v_lshlrev_b64 v[3:4], v3, v[67:68]
	v_and_b32_e32 v67, 7, v3
; %bb.56:                               ;   in Loop: Header=BB246_11 Depth=1
	s_or_b32 exec_lo, exec_lo, s41
	v_lshlrev_b32_e32 v3, 16, v1
	v_lshlrev_b32_e32 v4, 20, v67
	v_lshl_add_u32 v2, v2, 23, 0x3c000000
	v_and_b32_e32 v3, 0x80000000, v3
	v_or3_b32 v3, v4, v3, v2
	v_mov_b32_e32 v2, v68
	buffer_store_dword v2, off, s[44:47], 0 offset:40 ; 4-byte Folded Spill
	buffer_store_dword v3, off, s[44:47], 0 offset:44 ; 4-byte Folded Spill
.LBB246_57:                             ;   in Loop: Header=BB246_11 Depth=1
	s_or_b32 exec_lo, exec_lo, s40
.LBB246_58:                             ;   in Loop: Header=BB246_11 Depth=1
	s_or_b32 exec_lo, exec_lo, s39
.LBB246_59:                             ;   in Loop: Header=BB246_11 Depth=1
	s_or_b32 exec_lo, exec_lo, s38
	v_mov_b32_e32 v91, 0
	v_mov_b32_e32 v3, 0
	v_and_b32_sdwa v2, v1, v88 dst_sel:DWORD dst_unused:UNUSED_PAD src0_sel:WORD_1 src1_sel:DWORD
	v_mov_b32_e32 v92, 0
	v_mov_b32_e32 v4, 0
	s_mov_b32 s38, exec_lo
	buffer_store_dword v3, off, s[44:47], 0 offset:48 ; 4-byte Folded Spill
	buffer_store_dword v4, off, s[44:47], 0 offset:52 ; 4-byte Folded Spill
	v_cmpx_ne_u16_e32 0, v2
	s_cbranch_execz .LBB246_67
; %bb.60:                               ;   in Loop: Header=BB246_11 Depth=1
	v_bfrev_b32_e32 v3, 1
	v_mov_b32_e32 v4, 0
	s_mov_b32 s39, exec_lo
	buffer_store_dword v3, off, s[44:47], 0 offset:48 ; 4-byte Folded Spill
	buffer_store_dword v4, off, s[44:47], 0 offset:52 ; 4-byte Folded Spill
	v_cmpx_ne_u16_e32 0x80, v2
	s_cbranch_execz .LBB246_66
; %bb.61:                               ;   in Loop: Header=BB246_11 Depth=1
	v_mov_b32_e32 v4, 0x7f800001
	v_bfe_u32 v3, v1, 16, 7
	v_mov_b32_e32 v5, 0
	s_mov_b32 s40, exec_lo
	buffer_store_dword v4, off, s[44:47], 0 offset:48 ; 4-byte Folded Spill
	buffer_store_dword v5, off, s[44:47], 0 offset:52 ; 4-byte Folded Spill
	v_cmpx_ne_u32_e32 0x7f, v3
	s_cbranch_execz .LBB246_65
; %bb.62:                               ;   in Loop: Header=BB246_11 Depth=1
	v_mov_b32_e32 v2, 7
	s_mov_b32 s41, exec_lo
	v_and_b32_sdwa v67, v1, v2 dst_sel:DWORD dst_unused:UNUSED_PAD src0_sel:WORD_1 src1_sel:DWORD
	v_lshrrev_b32_e32 v2, 3, v3
	v_cmpx_gt_u32_e32 8, v3
; %bb.63:                               ;   in Loop: Header=BB246_11 Depth=1
	v_ffbh_u32_e32 v2, v67
	v_min_u32_e32 v2, 32, v2
	v_subrev_nc_u32_e32 v3, 28, v2
	v_sub_nc_u32_e32 v2, 29, v2
	v_lshlrev_b64 v[3:4], v3, v[67:68]
	v_and_b32_e32 v67, 7, v3
; %bb.64:                               ;   in Loop: Header=BB246_11 Depth=1
	s_or_b32 exec_lo, exec_lo, s41
	v_mov_b32_e32 v3, 24
	v_lshlrev_b32_e32 v4, 20, v67
	v_lshl_add_u32 v2, v2, 23, 0x3c000000
	v_lshlrev_b32_sdwa v3, v3, v1 dst_sel:DWORD dst_unused:UNUSED_PAD src0_sel:DWORD src1_sel:WORD_1
	v_and_b32_e32 v3, 0x80000000, v3
	v_or3_b32 v67, v4, v3, v2
	buffer_store_dword v67, off, s[44:47], 0 offset:48 ; 4-byte Folded Spill
	buffer_store_dword v68, off, s[44:47], 0 offset:52 ; 4-byte Folded Spill
.LBB246_65:                             ;   in Loop: Header=BB246_11 Depth=1
	s_or_b32 exec_lo, exec_lo, s40
.LBB246_66:                             ;   in Loop: Header=BB246_11 Depth=1
	s_or_b32 exec_lo, exec_lo, s39
.LBB246_67:                             ;   in Loop: Header=BB246_11 Depth=1
	s_or_b32 exec_lo, exec_lo, s38
	s_mov_b32 s38, exec_lo
	v_cmpx_lt_u32_e32 0xffffff, v1
	s_cbranch_execz .LBB246_75
; %bb.68:                               ;   in Loop: Header=BB246_11 Depth=1
	v_mov_b32_e32 v83, v68
	v_mov_b32_e32 v92, v84
	v_cmp_ne_u32_sdwa s1, v1, v87 src0_sel:BYTE_3 src1_sel:DWORD
	v_mov_b32_e32 v91, v83
	s_and_saveexec_b32 s39, s1
	s_cbranch_execz .LBB246_74
; %bb.69:                               ;   in Loop: Header=BB246_11 Depth=1
	v_mov_b32_e32 v57, v68
	v_mov_b32_e32 v92, v58
	v_bfe_u32 v3, v1, 24, 7
	s_mov_b32 s40, exec_lo
	v_mov_b32_e32 v91, v57
	v_cmpx_ne_u32_e32 0x7f, v3
	s_cbranch_execz .LBB246_73
; %bb.70:                               ;   in Loop: Header=BB246_11 Depth=1
	v_mov_b32_e32 v2, 7
	s_mov_b32 s41, exec_lo
	v_and_b32_sdwa v67, v1, v2 dst_sel:DWORD dst_unused:UNUSED_PAD src0_sel:BYTE_3 src1_sel:DWORD
	v_lshrrev_b32_e32 v2, 3, v3
	v_cmpx_gt_u32_e32 8, v3
; %bb.71:                               ;   in Loop: Header=BB246_11 Depth=1
	v_ffbh_u32_e32 v2, v67
	v_min_u32_e32 v2, 32, v2
	v_subrev_nc_u32_e32 v3, 28, v2
	v_sub_nc_u32_e32 v2, 29, v2
	v_lshlrev_b64 v[3:4], v3, v[67:68]
	v_and_b32_e32 v67, 7, v3
; %bb.72:                               ;   in Loop: Header=BB246_11 Depth=1
	s_or_b32 exec_lo, exec_lo, s41
	v_mov_b32_e32 v3, 24
	v_lshl_add_u32 v2, v2, 23, 0x3c000000
	v_mov_b32_e32 v91, v68
	v_lshlrev_b32_sdwa v1, v3, v1 dst_sel:DWORD dst_unused:UNUSED_PAD src0_sel:DWORD src1_sel:BYTE_3
	v_lshlrev_b32_e32 v3, 20, v67
	v_and_b32_e32 v1, 0x80000000, v1
	v_or3_b32 v92, v3, v1, v2
.LBB246_73:                             ;   in Loop: Header=BB246_11 Depth=1
	s_or_b32 exec_lo, exec_lo, s40
.LBB246_74:                             ;   in Loop: Header=BB246_11 Depth=1
	s_or_b32 exec_lo, exec_lo, s39
.LBB246_75:                             ;   in Loop: Header=BB246_11 Depth=1
	s_or_b32 exec_lo, exec_lo, s38
	global_load_dword v1, v[93:94], off offset:8
	v_mov_b32_e32 v97, 0
	v_mov_b32_e32 v2, 0
	;; [unrolled: 1-line block ×4, first 2 shown]
	buffer_store_dword v2, off, s[44:47], 0 offset:56 ; 4-byte Folded Spill
	buffer_store_dword v3, off, s[44:47], 0 offset:60 ; 4-byte Folded Spill
	s_waitcnt vmcnt(0)
	v_cmp_ne_u16_sdwa s1, v1, v68 src0_sel:BYTE_0 src1_sel:DWORD
	s_and_saveexec_b32 s38, s1
	s_cbranch_execz .LBB246_83
; %bb.76:                               ;   in Loop: Header=BB246_11 Depth=1
	v_bfrev_b32_e32 v2, 1
	v_mov_b32_e32 v3, 0
	v_cmp_ne_u16_sdwa s1, v1, v87 src0_sel:BYTE_0 src1_sel:DWORD
	buffer_store_dword v2, off, s[44:47], 0 offset:56 ; 4-byte Folded Spill
	buffer_store_dword v3, off, s[44:47], 0 offset:60 ; 4-byte Folded Spill
	s_and_saveexec_b32 s39, s1
	s_cbranch_execz .LBB246_82
; %bb.77:                               ;   in Loop: Header=BB246_11 Depth=1
	v_mov_b32_e32 v4, 0x7f800001
	v_and_b32_e32 v3, 0x7f, v1
	v_mov_b32_e32 v5, 0
	s_mov_b32 s40, exec_lo
	buffer_store_dword v4, off, s[44:47], 0 offset:56 ; 4-byte Folded Spill
	buffer_store_dword v5, off, s[44:47], 0 offset:60 ; 4-byte Folded Spill
	v_cmpx_ne_u32_e32 0x7f, v3
	s_cbranch_execz .LBB246_81
; %bb.78:                               ;   in Loop: Header=BB246_11 Depth=1
	v_and_b32_e32 v67, 7, v1
	v_lshrrev_b32_e32 v2, 3, v3
	s_mov_b32 s41, exec_lo
	v_cmpx_gt_u32_e32 8, v3
; %bb.79:                               ;   in Loop: Header=BB246_11 Depth=1
	v_ffbh_u32_e32 v2, v67
	v_min_u32_e32 v2, 32, v2
	v_subrev_nc_u32_e32 v3, 28, v2
	v_sub_nc_u32_e32 v2, 29, v2
	v_lshlrev_b64 v[3:4], v3, v[67:68]
	v_and_b32_e32 v67, 7, v3
; %bb.80:                               ;   in Loop: Header=BB246_11 Depth=1
	s_or_b32 exec_lo, exec_lo, s41
	v_lshlrev_b32_e32 v3, 24, v1
	v_lshlrev_b32_e32 v4, 20, v67
	v_lshl_add_u32 v2, v2, 23, 0x3c000000
	v_and_b32_e32 v3, 0x80000000, v3
	v_or3_b32 v67, v4, v3, v2
	buffer_store_dword v67, off, s[44:47], 0 offset:56 ; 4-byte Folded Spill
	buffer_store_dword v68, off, s[44:47], 0 offset:60 ; 4-byte Folded Spill
.LBB246_81:                             ;   in Loop: Header=BB246_11 Depth=1
	s_or_b32 exec_lo, exec_lo, s40
.LBB246_82:                             ;   in Loop: Header=BB246_11 Depth=1
	s_or_b32 exec_lo, exec_lo, s39
.LBB246_83:                             ;   in Loop: Header=BB246_11 Depth=1
	s_or_b32 exec_lo, exec_lo, s38
	v_cmp_ne_u16_sdwa s1, v1, v68 src0_sel:BYTE_1 src1_sel:DWORD
	s_and_saveexec_b32 s38, s1
	s_cbranch_execz .LBB246_91
; %bb.84:                               ;   in Loop: Header=BB246_11 Depth=1
	v_mov_b32_e32 v83, v68
	v_mov_b32_e32 v98, v84
	v_cmp_ne_u16_sdwa s1, v1, v87 src0_sel:BYTE_1 src1_sel:DWORD
	v_mov_b32_e32 v97, v83
	s_and_saveexec_b32 s39, s1
	s_cbranch_execz .LBB246_90
; %bb.85:                               ;   in Loop: Header=BB246_11 Depth=1
	v_mov_b32_e32 v2, 0xffff
	v_mov_b32_e32 v57, v68
	;; [unrolled: 1-line block ×3, first 2 shown]
	s_mov_b32 s40, exec_lo
	v_and_b32_sdwa v2, v2, v1 dst_sel:DWORD dst_unused:UNUSED_PAD src0_sel:DWORD src1_sel:BYTE_1
	v_mov_b32_e32 v97, v57
	v_and_b32_e32 v3, 0x7f, v2
	v_cmpx_ne_u32_e32 0x7f, v3
	s_cbranch_execz .LBB246_89
; %bb.86:                               ;   in Loop: Header=BB246_11 Depth=1
	v_and_b32_e32 v67, 7, v2
	v_lshrrev_b32_e32 v2, 3, v3
	s_mov_b32 s41, exec_lo
	v_cmpx_gt_u32_e32 8, v3
; %bb.87:                               ;   in Loop: Header=BB246_11 Depth=1
	v_ffbh_u32_e32 v2, v67
	v_min_u32_e32 v2, 32, v2
	v_subrev_nc_u32_e32 v3, 28, v2
	v_sub_nc_u32_e32 v2, 29, v2
	v_lshlrev_b64 v[3:4], v3, v[67:68]
	v_and_b32_e32 v67, 7, v3
; %bb.88:                               ;   in Loop: Header=BB246_11 Depth=1
	s_or_b32 exec_lo, exec_lo, s41
	v_lshlrev_b32_e32 v3, 16, v1
	v_lshlrev_b32_e32 v4, 20, v67
	v_lshl_add_u32 v2, v2, 23, 0x3c000000
	v_mov_b32_e32 v97, v68
	v_and_b32_e32 v3, 0x80000000, v3
	v_or3_b32 v98, v4, v3, v2
.LBB246_89:                             ;   in Loop: Header=BB246_11 Depth=1
	s_or_b32 exec_lo, exec_lo, s40
.LBB246_90:                             ;   in Loop: Header=BB246_11 Depth=1
	s_or_b32 exec_lo, exec_lo, s39
.LBB246_91:                             ;   in Loop: Header=BB246_11 Depth=1
	s_or_b32 exec_lo, exec_lo, s38
	v_mov_b32_e32 v101, 0
	v_mov_b32_e32 v99, 0
	v_and_b32_sdwa v2, v1, v88 dst_sel:DWORD dst_unused:UNUSED_PAD src0_sel:WORD_1 src1_sel:DWORD
	v_mov_b32_e32 v102, 0
	v_mov_b32_e32 v100, 0
	s_mov_b32 s38, exec_lo
	v_cmpx_ne_u16_e32 0, v2
	s_cbranch_execz .LBB246_99
; %bb.92:                               ;   in Loop: Header=BB246_11 Depth=1
	v_bfrev_b32_e32 v99, 1
	v_mov_b32_e32 v100, 0
	s_mov_b32 s39, exec_lo
	v_cmpx_ne_u16_e32 0x80, v2
	s_cbranch_execz .LBB246_98
; %bb.93:                               ;   in Loop: Header=BB246_11 Depth=1
	v_mov_b32_e32 v99, 0x7f800001
	v_bfe_u32 v3, v1, 16, 7
	v_mov_b32_e32 v100, 0
	s_mov_b32 s40, exec_lo
	v_cmpx_ne_u32_e32 0x7f, v3
	s_cbranch_execz .LBB246_97
; %bb.94:                               ;   in Loop: Header=BB246_11 Depth=1
	v_mov_b32_e32 v2, 7
	s_mov_b32 s41, exec_lo
	v_and_b32_sdwa v67, v1, v2 dst_sel:DWORD dst_unused:UNUSED_PAD src0_sel:WORD_1 src1_sel:DWORD
	v_lshrrev_b32_e32 v2, 3, v3
	v_cmpx_gt_u32_e32 8, v3
; %bb.95:                               ;   in Loop: Header=BB246_11 Depth=1
	v_ffbh_u32_e32 v2, v67
	v_min_u32_e32 v2, 32, v2
	v_subrev_nc_u32_e32 v3, 28, v2
	v_sub_nc_u32_e32 v2, 29, v2
	v_lshlrev_b64 v[3:4], v3, v[67:68]
	v_and_b32_e32 v67, 7, v3
; %bb.96:                               ;   in Loop: Header=BB246_11 Depth=1
	s_or_b32 exec_lo, exec_lo, s41
	v_mov_b32_e32 v3, 24
	v_lshlrev_b32_e32 v4, 20, v67
	v_lshl_add_u32 v2, v2, 23, 0x3c000000
	v_lshlrev_b32_sdwa v3, v3, v1 dst_sel:DWORD dst_unused:UNUSED_PAD src0_sel:DWORD src1_sel:WORD_1
	v_and_b32_e32 v3, 0x80000000, v3
	v_or3_b32 v67, v4, v3, v2
	v_mov_b32_e32 v100, v68
	v_mov_b32_e32 v99, v67
.LBB246_97:                             ;   in Loop: Header=BB246_11 Depth=1
	s_or_b32 exec_lo, exec_lo, s40
.LBB246_98:                             ;   in Loop: Header=BB246_11 Depth=1
	s_or_b32 exec_lo, exec_lo, s39
.LBB246_99:                             ;   in Loop: Header=BB246_11 Depth=1
	s_or_b32 exec_lo, exec_lo, s38
	s_mov_b32 s38, exec_lo
	v_cmpx_lt_u32_e32 0xffffff, v1
	s_cbranch_execz .LBB246_107
; %bb.100:                              ;   in Loop: Header=BB246_11 Depth=1
	v_mov_b32_e32 v83, v68
	v_mov_b32_e32 v102, v84
	v_cmp_ne_u32_sdwa s1, v1, v87 src0_sel:BYTE_3 src1_sel:DWORD
	v_mov_b32_e32 v101, v83
	s_and_saveexec_b32 s39, s1
	s_cbranch_execz .LBB246_106
; %bb.101:                              ;   in Loop: Header=BB246_11 Depth=1
	v_mov_b32_e32 v57, v68
	v_mov_b32_e32 v102, v58
	v_bfe_u32 v3, v1, 24, 7
	s_mov_b32 s40, exec_lo
	v_mov_b32_e32 v101, v57
	v_cmpx_ne_u32_e32 0x7f, v3
	s_cbranch_execz .LBB246_105
; %bb.102:                              ;   in Loop: Header=BB246_11 Depth=1
	v_mov_b32_e32 v2, 7
	s_mov_b32 s41, exec_lo
	v_and_b32_sdwa v67, v1, v2 dst_sel:DWORD dst_unused:UNUSED_PAD src0_sel:BYTE_3 src1_sel:DWORD
	v_lshrrev_b32_e32 v2, 3, v3
	v_cmpx_gt_u32_e32 8, v3
; %bb.103:                              ;   in Loop: Header=BB246_11 Depth=1
	v_ffbh_u32_e32 v2, v67
	v_min_u32_e32 v2, 32, v2
	v_subrev_nc_u32_e32 v3, 28, v2
	v_sub_nc_u32_e32 v2, 29, v2
	v_lshlrev_b64 v[3:4], v3, v[67:68]
	v_and_b32_e32 v67, 7, v3
; %bb.104:                              ;   in Loop: Header=BB246_11 Depth=1
	s_or_b32 exec_lo, exec_lo, s41
	v_mov_b32_e32 v3, 24
	v_lshl_add_u32 v2, v2, 23, 0x3c000000
	v_mov_b32_e32 v101, v68
	v_lshlrev_b32_sdwa v1, v3, v1 dst_sel:DWORD dst_unused:UNUSED_PAD src0_sel:DWORD src1_sel:BYTE_3
	v_lshlrev_b32_e32 v3, 20, v67
	v_and_b32_e32 v1, 0x80000000, v1
	v_or3_b32 v102, v3, v1, v2
.LBB246_105:                            ;   in Loop: Header=BB246_11 Depth=1
	s_or_b32 exec_lo, exec_lo, s40
.LBB246_106:                            ;   in Loop: Header=BB246_11 Depth=1
	s_or_b32 exec_lo, exec_lo, s39
.LBB246_107:                            ;   in Loop: Header=BB246_11 Depth=1
	s_or_b32 exec_lo, exec_lo, s38
	global_load_dword v1, v[93:94], off offset:12
	v_mov_b32_e32 v105, 0
	v_mov_b32_e32 v103, 0
	;; [unrolled: 1-line block ×4, first 2 shown]
	s_waitcnt vmcnt(0)
	v_cmp_ne_u16_sdwa s1, v1, v68 src0_sel:BYTE_0 src1_sel:DWORD
	s_and_saveexec_b32 s38, s1
	s_cbranch_execz .LBB246_115
; %bb.108:                              ;   in Loop: Header=BB246_11 Depth=1
	v_bfrev_b32_e32 v103, 1
	v_mov_b32_e32 v104, 0
	v_cmp_ne_u16_sdwa s1, v1, v87 src0_sel:BYTE_0 src1_sel:DWORD
	s_and_saveexec_b32 s39, s1
	s_cbranch_execz .LBB246_114
; %bb.109:                              ;   in Loop: Header=BB246_11 Depth=1
	v_mov_b32_e32 v103, 0x7f800001
	v_and_b32_e32 v3, 0x7f, v1
	v_mov_b32_e32 v104, 0
	s_mov_b32 s40, exec_lo
	v_cmpx_ne_u32_e32 0x7f, v3
	s_cbranch_execz .LBB246_113
; %bb.110:                              ;   in Loop: Header=BB246_11 Depth=1
	v_and_b32_e32 v67, 7, v1
	v_lshrrev_b32_e32 v2, 3, v3
	s_mov_b32 s41, exec_lo
	v_cmpx_gt_u32_e32 8, v3
; %bb.111:                              ;   in Loop: Header=BB246_11 Depth=1
	v_ffbh_u32_e32 v2, v67
	v_min_u32_e32 v2, 32, v2
	v_subrev_nc_u32_e32 v3, 28, v2
	v_sub_nc_u32_e32 v2, 29, v2
	v_lshlrev_b64 v[3:4], v3, v[67:68]
	v_and_b32_e32 v67, 7, v3
; %bb.112:                              ;   in Loop: Header=BB246_11 Depth=1
	s_or_b32 exec_lo, exec_lo, s41
	v_lshlrev_b32_e32 v3, 24, v1
	v_lshlrev_b32_e32 v4, 20, v67
	v_lshl_add_u32 v2, v2, 23, 0x3c000000
	v_and_b32_e32 v3, 0x80000000, v3
	v_or3_b32 v67, v4, v3, v2
	v_mov_b32_e32 v104, v68
	v_mov_b32_e32 v103, v67
.LBB246_113:                            ;   in Loop: Header=BB246_11 Depth=1
	s_or_b32 exec_lo, exec_lo, s40
.LBB246_114:                            ;   in Loop: Header=BB246_11 Depth=1
	s_or_b32 exec_lo, exec_lo, s39
.LBB246_115:                            ;   in Loop: Header=BB246_11 Depth=1
	s_or_b32 exec_lo, exec_lo, s38
	v_cmp_ne_u16_sdwa s1, v1, v68 src0_sel:BYTE_1 src1_sel:DWORD
	s_and_saveexec_b32 s38, s1
	s_cbranch_execz .LBB246_123
; %bb.116:                              ;   in Loop: Header=BB246_11 Depth=1
	v_mov_b32_e32 v83, v68
	v_mov_b32_e32 v106, v84
	v_cmp_ne_u16_sdwa s1, v1, v87 src0_sel:BYTE_1 src1_sel:DWORD
	v_mov_b32_e32 v105, v83
	s_and_saveexec_b32 s39, s1
	s_cbranch_execz .LBB246_122
; %bb.117:                              ;   in Loop: Header=BB246_11 Depth=1
	v_mov_b32_e32 v2, 0xffff
	v_mov_b32_e32 v57, v68
	;; [unrolled: 1-line block ×3, first 2 shown]
	s_mov_b32 s40, exec_lo
	v_and_b32_sdwa v2, v2, v1 dst_sel:DWORD dst_unused:UNUSED_PAD src0_sel:DWORD src1_sel:BYTE_1
	v_mov_b32_e32 v105, v57
	v_and_b32_e32 v3, 0x7f, v2
	v_cmpx_ne_u32_e32 0x7f, v3
	s_cbranch_execz .LBB246_121
; %bb.118:                              ;   in Loop: Header=BB246_11 Depth=1
	v_and_b32_e32 v67, 7, v2
	v_lshrrev_b32_e32 v2, 3, v3
	s_mov_b32 s41, exec_lo
	v_cmpx_gt_u32_e32 8, v3
; %bb.119:                              ;   in Loop: Header=BB246_11 Depth=1
	v_ffbh_u32_e32 v2, v67
	v_min_u32_e32 v2, 32, v2
	v_subrev_nc_u32_e32 v3, 28, v2
	v_sub_nc_u32_e32 v2, 29, v2
	v_lshlrev_b64 v[3:4], v3, v[67:68]
	v_and_b32_e32 v67, 7, v3
; %bb.120:                              ;   in Loop: Header=BB246_11 Depth=1
	s_or_b32 exec_lo, exec_lo, s41
	v_lshlrev_b32_e32 v3, 16, v1
	v_lshlrev_b32_e32 v4, 20, v67
	v_lshl_add_u32 v2, v2, 23, 0x3c000000
	v_mov_b32_e32 v105, v68
	v_and_b32_e32 v3, 0x80000000, v3
	v_or3_b32 v106, v4, v3, v2
.LBB246_121:                            ;   in Loop: Header=BB246_11 Depth=1
	s_or_b32 exec_lo, exec_lo, s40
.LBB246_122:                            ;   in Loop: Header=BB246_11 Depth=1
	s_or_b32 exec_lo, exec_lo, s39
.LBB246_123:                            ;   in Loop: Header=BB246_11 Depth=1
	s_or_b32 exec_lo, exec_lo, s38
	v_mov_b32_e32 v109, 0
	v_mov_b32_e32 v107, 0
	v_and_b32_sdwa v2, v1, v88 dst_sel:DWORD dst_unused:UNUSED_PAD src0_sel:WORD_1 src1_sel:DWORD
	v_mov_b32_e32 v110, 0
	v_mov_b32_e32 v108, 0
	s_mov_b32 s38, exec_lo
	v_cmpx_ne_u16_e32 0, v2
	s_cbranch_execz .LBB246_131
; %bb.124:                              ;   in Loop: Header=BB246_11 Depth=1
	v_bfrev_b32_e32 v107, 1
	v_mov_b32_e32 v108, 0
	s_mov_b32 s39, exec_lo
	v_cmpx_ne_u16_e32 0x80, v2
	s_cbranch_execz .LBB246_130
; %bb.125:                              ;   in Loop: Header=BB246_11 Depth=1
	v_mov_b32_e32 v107, 0x7f800001
	v_bfe_u32 v3, v1, 16, 7
	v_mov_b32_e32 v108, 0
	s_mov_b32 s40, exec_lo
	v_cmpx_ne_u32_e32 0x7f, v3
	s_cbranch_execz .LBB246_129
; %bb.126:                              ;   in Loop: Header=BB246_11 Depth=1
	v_mov_b32_e32 v2, 7
	s_mov_b32 s41, exec_lo
	v_and_b32_sdwa v67, v1, v2 dst_sel:DWORD dst_unused:UNUSED_PAD src0_sel:WORD_1 src1_sel:DWORD
	v_lshrrev_b32_e32 v2, 3, v3
	v_cmpx_gt_u32_e32 8, v3
; %bb.127:                              ;   in Loop: Header=BB246_11 Depth=1
	v_ffbh_u32_e32 v2, v67
	v_min_u32_e32 v2, 32, v2
	v_subrev_nc_u32_e32 v3, 28, v2
	v_sub_nc_u32_e32 v2, 29, v2
	v_lshlrev_b64 v[3:4], v3, v[67:68]
	v_and_b32_e32 v67, 7, v3
; %bb.128:                              ;   in Loop: Header=BB246_11 Depth=1
	s_or_b32 exec_lo, exec_lo, s41
	v_mov_b32_e32 v3, 24
	v_lshlrev_b32_e32 v4, 20, v67
	v_lshl_add_u32 v2, v2, 23, 0x3c000000
	v_lshlrev_b32_sdwa v3, v3, v1 dst_sel:DWORD dst_unused:UNUSED_PAD src0_sel:DWORD src1_sel:WORD_1
	v_and_b32_e32 v3, 0x80000000, v3
	v_or3_b32 v67, v4, v3, v2
	v_mov_b32_e32 v108, v68
	v_mov_b32_e32 v107, v67
.LBB246_129:                            ;   in Loop: Header=BB246_11 Depth=1
	s_or_b32 exec_lo, exec_lo, s40
.LBB246_130:                            ;   in Loop: Header=BB246_11 Depth=1
	s_or_b32 exec_lo, exec_lo, s39
.LBB246_131:                            ;   in Loop: Header=BB246_11 Depth=1
	s_or_b32 exec_lo, exec_lo, s38
	s_mov_b32 s38, exec_lo
	v_cmpx_lt_u32_e32 0xffffff, v1
	s_cbranch_execz .LBB246_139
; %bb.132:                              ;   in Loop: Header=BB246_11 Depth=1
	v_mov_b32_e32 v83, v68
	v_mov_b32_e32 v110, v84
	v_cmp_ne_u32_sdwa s1, v1, v87 src0_sel:BYTE_3 src1_sel:DWORD
	v_mov_b32_e32 v109, v83
	s_and_saveexec_b32 s39, s1
	s_cbranch_execz .LBB246_138
; %bb.133:                              ;   in Loop: Header=BB246_11 Depth=1
	v_mov_b32_e32 v57, v68
	v_mov_b32_e32 v110, v58
	v_bfe_u32 v3, v1, 24, 7
	s_mov_b32 s40, exec_lo
	v_mov_b32_e32 v109, v57
	v_cmpx_ne_u32_e32 0x7f, v3
	s_cbranch_execz .LBB246_137
; %bb.134:                              ;   in Loop: Header=BB246_11 Depth=1
	v_mov_b32_e32 v2, 7
	s_mov_b32 s41, exec_lo
	v_and_b32_sdwa v67, v1, v2 dst_sel:DWORD dst_unused:UNUSED_PAD src0_sel:BYTE_3 src1_sel:DWORD
	v_lshrrev_b32_e32 v2, 3, v3
	v_cmpx_gt_u32_e32 8, v3
; %bb.135:                              ;   in Loop: Header=BB246_11 Depth=1
	v_ffbh_u32_e32 v2, v67
	v_min_u32_e32 v2, 32, v2
	v_subrev_nc_u32_e32 v3, 28, v2
	v_sub_nc_u32_e32 v2, 29, v2
	v_lshlrev_b64 v[3:4], v3, v[67:68]
	v_and_b32_e32 v67, 7, v3
; %bb.136:                              ;   in Loop: Header=BB246_11 Depth=1
	s_or_b32 exec_lo, exec_lo, s41
	v_mov_b32_e32 v3, 24
	v_lshl_add_u32 v2, v2, 23, 0x3c000000
	v_mov_b32_e32 v109, v68
	v_lshlrev_b32_sdwa v1, v3, v1 dst_sel:DWORD dst_unused:UNUSED_PAD src0_sel:DWORD src1_sel:BYTE_3
	v_lshlrev_b32_e32 v3, 20, v67
	v_and_b32_e32 v1, 0x80000000, v1
	v_or3_b32 v110, v3, v1, v2
.LBB246_137:                            ;   in Loop: Header=BB246_11 Depth=1
	s_or_b32 exec_lo, exec_lo, s40
.LBB246_138:                            ;   in Loop: Header=BB246_11 Depth=1
	s_or_b32 exec_lo, exec_lo, s39
.LBB246_139:                            ;   in Loop: Header=BB246_11 Depth=1
	s_or_b32 exec_lo, exec_lo, s38
	global_load_dword v1, v[93:94], off offset:512
	v_mov_b32_e32 v113, 0
	v_mov_b32_e32 v111, 0
	v_mov_b32_e32 v114, 0
	v_mov_b32_e32 v112, 0
	s_waitcnt vmcnt(0)
	v_cmp_ne_u16_sdwa s1, v1, v68 src0_sel:BYTE_0 src1_sel:DWORD
	s_and_saveexec_b32 s38, s1
	s_cbranch_execz .LBB246_147
; %bb.140:                              ;   in Loop: Header=BB246_11 Depth=1
	v_bfrev_b32_e32 v111, 1
	v_mov_b32_e32 v112, 0
	v_cmp_ne_u16_sdwa s1, v1, v87 src0_sel:BYTE_0 src1_sel:DWORD
	s_and_saveexec_b32 s39, s1
	s_cbranch_execz .LBB246_146
; %bb.141:                              ;   in Loop: Header=BB246_11 Depth=1
	v_mov_b32_e32 v111, 0x7f800001
	v_and_b32_e32 v3, 0x7f, v1
	v_mov_b32_e32 v112, 0
	s_mov_b32 s40, exec_lo
	v_cmpx_ne_u32_e32 0x7f, v3
	s_cbranch_execz .LBB246_145
; %bb.142:                              ;   in Loop: Header=BB246_11 Depth=1
	v_and_b32_e32 v67, 7, v1
	v_lshrrev_b32_e32 v2, 3, v3
	s_mov_b32 s41, exec_lo
	v_cmpx_gt_u32_e32 8, v3
; %bb.143:                              ;   in Loop: Header=BB246_11 Depth=1
	v_ffbh_u32_e32 v2, v67
	v_min_u32_e32 v2, 32, v2
	v_subrev_nc_u32_e32 v3, 28, v2
	v_sub_nc_u32_e32 v2, 29, v2
	v_lshlrev_b64 v[3:4], v3, v[67:68]
	v_and_b32_e32 v67, 7, v3
; %bb.144:                              ;   in Loop: Header=BB246_11 Depth=1
	s_or_b32 exec_lo, exec_lo, s41
	v_lshlrev_b32_e32 v3, 24, v1
	v_lshlrev_b32_e32 v4, 20, v67
	v_lshl_add_u32 v2, v2, 23, 0x3c000000
	v_and_b32_e32 v3, 0x80000000, v3
	v_or3_b32 v67, v4, v3, v2
	v_mov_b32_e32 v112, v68
	v_mov_b32_e32 v111, v67
.LBB246_145:                            ;   in Loop: Header=BB246_11 Depth=1
	s_or_b32 exec_lo, exec_lo, s40
.LBB246_146:                            ;   in Loop: Header=BB246_11 Depth=1
	s_or_b32 exec_lo, exec_lo, s39
.LBB246_147:                            ;   in Loop: Header=BB246_11 Depth=1
	s_or_b32 exec_lo, exec_lo, s38
	v_cmp_ne_u16_sdwa s1, v1, v68 src0_sel:BYTE_1 src1_sel:DWORD
	s_and_saveexec_b32 s38, s1
	s_cbranch_execz .LBB246_155
; %bb.148:                              ;   in Loop: Header=BB246_11 Depth=1
	v_mov_b32_e32 v83, v68
	v_mov_b32_e32 v114, v84
	v_cmp_ne_u16_sdwa s1, v1, v87 src0_sel:BYTE_1 src1_sel:DWORD
	v_mov_b32_e32 v113, v83
	s_and_saveexec_b32 s39, s1
	s_cbranch_execz .LBB246_154
; %bb.149:                              ;   in Loop: Header=BB246_11 Depth=1
	v_mov_b32_e32 v2, 0xffff
	v_mov_b32_e32 v57, v68
	;; [unrolled: 1-line block ×3, first 2 shown]
	s_mov_b32 s40, exec_lo
	v_and_b32_sdwa v2, v2, v1 dst_sel:DWORD dst_unused:UNUSED_PAD src0_sel:DWORD src1_sel:BYTE_1
	v_mov_b32_e32 v113, v57
	v_and_b32_e32 v3, 0x7f, v2
	v_cmpx_ne_u32_e32 0x7f, v3
	s_cbranch_execz .LBB246_153
; %bb.150:                              ;   in Loop: Header=BB246_11 Depth=1
	v_and_b32_e32 v67, 7, v2
	v_lshrrev_b32_e32 v2, 3, v3
	s_mov_b32 s41, exec_lo
	v_cmpx_gt_u32_e32 8, v3
; %bb.151:                              ;   in Loop: Header=BB246_11 Depth=1
	v_ffbh_u32_e32 v2, v67
	v_min_u32_e32 v2, 32, v2
	v_subrev_nc_u32_e32 v3, 28, v2
	v_sub_nc_u32_e32 v2, 29, v2
	v_lshlrev_b64 v[3:4], v3, v[67:68]
	v_and_b32_e32 v67, 7, v3
; %bb.152:                              ;   in Loop: Header=BB246_11 Depth=1
	s_or_b32 exec_lo, exec_lo, s41
	v_lshlrev_b32_e32 v3, 16, v1
	v_lshlrev_b32_e32 v4, 20, v67
	v_lshl_add_u32 v2, v2, 23, 0x3c000000
	v_mov_b32_e32 v113, v68
	v_and_b32_e32 v3, 0x80000000, v3
	v_or3_b32 v114, v4, v3, v2
.LBB246_153:                            ;   in Loop: Header=BB246_11 Depth=1
	s_or_b32 exec_lo, exec_lo, s40
.LBB246_154:                            ;   in Loop: Header=BB246_11 Depth=1
	s_or_b32 exec_lo, exec_lo, s39
.LBB246_155:                            ;   in Loop: Header=BB246_11 Depth=1
	s_or_b32 exec_lo, exec_lo, s38
	v_mov_b32_e32 v115, 0
	v_mov_b32_e32 v117, 0
	v_and_b32_sdwa v2, v1, v88 dst_sel:DWORD dst_unused:UNUSED_PAD src0_sel:WORD_1 src1_sel:DWORD
	v_mov_b32_e32 v116, 0
	v_mov_b32_e32 v118, 0
	s_mov_b32 s38, exec_lo
	v_cmpx_ne_u16_e32 0, v2
	s_cbranch_execz .LBB246_163
; %bb.156:                              ;   in Loop: Header=BB246_11 Depth=1
	v_bfrev_b32_e32 v117, 1
	v_mov_b32_e32 v118, 0
	s_mov_b32 s39, exec_lo
	v_cmpx_ne_u16_e32 0x80, v2
	s_cbranch_execz .LBB246_162
; %bb.157:                              ;   in Loop: Header=BB246_11 Depth=1
	v_mov_b32_e32 v117, 0x7f800001
	v_bfe_u32 v3, v1, 16, 7
	v_mov_b32_e32 v118, 0
	s_mov_b32 s40, exec_lo
	v_cmpx_ne_u32_e32 0x7f, v3
	s_cbranch_execz .LBB246_161
; %bb.158:                              ;   in Loop: Header=BB246_11 Depth=1
	v_mov_b32_e32 v2, 7
	s_mov_b32 s41, exec_lo
	v_and_b32_sdwa v67, v1, v2 dst_sel:DWORD dst_unused:UNUSED_PAD src0_sel:WORD_1 src1_sel:DWORD
	v_lshrrev_b32_e32 v2, 3, v3
	v_cmpx_gt_u32_e32 8, v3
; %bb.159:                              ;   in Loop: Header=BB246_11 Depth=1
	v_ffbh_u32_e32 v2, v67
	v_min_u32_e32 v2, 32, v2
	v_subrev_nc_u32_e32 v3, 28, v2
	v_sub_nc_u32_e32 v2, 29, v2
	v_lshlrev_b64 v[3:4], v3, v[67:68]
	v_and_b32_e32 v67, 7, v3
; %bb.160:                              ;   in Loop: Header=BB246_11 Depth=1
	s_or_b32 exec_lo, exec_lo, s41
	v_mov_b32_e32 v3, 24
	v_lshlrev_b32_e32 v4, 20, v67
	v_lshl_add_u32 v2, v2, 23, 0x3c000000
	v_lshlrev_b32_sdwa v3, v3, v1 dst_sel:DWORD dst_unused:UNUSED_PAD src0_sel:DWORD src1_sel:WORD_1
	v_and_b32_e32 v3, 0x80000000, v3
	v_or3_b32 v67, v4, v3, v2
	v_mov_b32_e32 v118, v68
	v_mov_b32_e32 v117, v67
.LBB246_161:                            ;   in Loop: Header=BB246_11 Depth=1
	s_or_b32 exec_lo, exec_lo, s40
.LBB246_162:                            ;   in Loop: Header=BB246_11 Depth=1
	s_or_b32 exec_lo, exec_lo, s39
.LBB246_163:                            ;   in Loop: Header=BB246_11 Depth=1
	s_or_b32 exec_lo, exec_lo, s38
	s_mov_b32 s38, exec_lo
	v_cmpx_lt_u32_e32 0xffffff, v1
	s_cbranch_execz .LBB246_171
; %bb.164:                              ;   in Loop: Header=BB246_11 Depth=1
	v_mov_b32_e32 v83, v68
	v_mov_b32_e32 v116, v84
	v_cmp_ne_u32_sdwa s1, v1, v87 src0_sel:BYTE_3 src1_sel:DWORD
	v_mov_b32_e32 v115, v83
	s_and_saveexec_b32 s39, s1
	s_cbranch_execz .LBB246_170
; %bb.165:                              ;   in Loop: Header=BB246_11 Depth=1
	v_mov_b32_e32 v57, v68
	v_mov_b32_e32 v116, v58
	v_bfe_u32 v3, v1, 24, 7
	s_mov_b32 s40, exec_lo
	v_mov_b32_e32 v115, v57
	v_cmpx_ne_u32_e32 0x7f, v3
	s_cbranch_execz .LBB246_169
; %bb.166:                              ;   in Loop: Header=BB246_11 Depth=1
	v_mov_b32_e32 v2, 7
	s_mov_b32 s41, exec_lo
	v_and_b32_sdwa v67, v1, v2 dst_sel:DWORD dst_unused:UNUSED_PAD src0_sel:BYTE_3 src1_sel:DWORD
	v_lshrrev_b32_e32 v2, 3, v3
	v_cmpx_gt_u32_e32 8, v3
; %bb.167:                              ;   in Loop: Header=BB246_11 Depth=1
	v_ffbh_u32_e32 v2, v67
	v_min_u32_e32 v2, 32, v2
	v_subrev_nc_u32_e32 v3, 28, v2
	v_sub_nc_u32_e32 v2, 29, v2
	v_lshlrev_b64 v[3:4], v3, v[67:68]
	v_and_b32_e32 v67, 7, v3
; %bb.168:                              ;   in Loop: Header=BB246_11 Depth=1
	s_or_b32 exec_lo, exec_lo, s41
	v_mov_b32_e32 v3, 24
	v_lshl_add_u32 v2, v2, 23, 0x3c000000
	v_mov_b32_e32 v115, v68
	v_lshlrev_b32_sdwa v1, v3, v1 dst_sel:DWORD dst_unused:UNUSED_PAD src0_sel:DWORD src1_sel:BYTE_3
	v_lshlrev_b32_e32 v3, 20, v67
	v_and_b32_e32 v1, 0x80000000, v1
	v_or3_b32 v116, v3, v1, v2
.LBB246_169:                            ;   in Loop: Header=BB246_11 Depth=1
	s_or_b32 exec_lo, exec_lo, s40
.LBB246_170:                            ;   in Loop: Header=BB246_11 Depth=1
	s_or_b32 exec_lo, exec_lo, s39
.LBB246_171:                            ;   in Loop: Header=BB246_11 Depth=1
	s_or_b32 exec_lo, exec_lo, s38
	global_load_dword v1, v[93:94], off offset:516
	v_mov_b32_e32 v121, 0
	v_mov_b32_e32 v119, 0
	;; [unrolled: 1-line block ×4, first 2 shown]
	s_waitcnt vmcnt(0)
	v_cmp_ne_u16_sdwa s1, v1, v68 src0_sel:BYTE_0 src1_sel:DWORD
	s_and_saveexec_b32 s38, s1
	s_cbranch_execz .LBB246_179
; %bb.172:                              ;   in Loop: Header=BB246_11 Depth=1
	v_bfrev_b32_e32 v119, 1
	v_mov_b32_e32 v120, 0
	v_cmp_ne_u16_sdwa s1, v1, v87 src0_sel:BYTE_0 src1_sel:DWORD
	s_and_saveexec_b32 s39, s1
	s_cbranch_execz .LBB246_178
; %bb.173:                              ;   in Loop: Header=BB246_11 Depth=1
	v_mov_b32_e32 v119, 0x7f800001
	v_and_b32_e32 v3, 0x7f, v1
	v_mov_b32_e32 v120, 0
	s_mov_b32 s40, exec_lo
	v_cmpx_ne_u32_e32 0x7f, v3
	s_cbranch_execz .LBB246_177
; %bb.174:                              ;   in Loop: Header=BB246_11 Depth=1
	v_and_b32_e32 v67, 7, v1
	v_lshrrev_b32_e32 v2, 3, v3
	s_mov_b32 s41, exec_lo
	v_cmpx_gt_u32_e32 8, v3
; %bb.175:                              ;   in Loop: Header=BB246_11 Depth=1
	v_ffbh_u32_e32 v2, v67
	v_min_u32_e32 v2, 32, v2
	v_subrev_nc_u32_e32 v3, 28, v2
	v_sub_nc_u32_e32 v2, 29, v2
	v_lshlrev_b64 v[3:4], v3, v[67:68]
	v_and_b32_e32 v67, 7, v3
; %bb.176:                              ;   in Loop: Header=BB246_11 Depth=1
	s_or_b32 exec_lo, exec_lo, s41
	v_lshlrev_b32_e32 v3, 24, v1
	v_lshlrev_b32_e32 v4, 20, v67
	v_lshl_add_u32 v2, v2, 23, 0x3c000000
	v_and_b32_e32 v3, 0x80000000, v3
	v_or3_b32 v67, v4, v3, v2
	v_mov_b32_e32 v120, v68
	v_mov_b32_e32 v119, v67
.LBB246_177:                            ;   in Loop: Header=BB246_11 Depth=1
	s_or_b32 exec_lo, exec_lo, s40
.LBB246_178:                            ;   in Loop: Header=BB246_11 Depth=1
	s_or_b32 exec_lo, exec_lo, s39
.LBB246_179:                            ;   in Loop: Header=BB246_11 Depth=1
	s_or_b32 exec_lo, exec_lo, s38
	v_cmp_ne_u16_sdwa s1, v1, v68 src0_sel:BYTE_1 src1_sel:DWORD
	s_and_saveexec_b32 s38, s1
	s_cbranch_execz .LBB246_187
; %bb.180:                              ;   in Loop: Header=BB246_11 Depth=1
	v_mov_b32_e32 v83, v68
	v_mov_b32_e32 v122, v84
	v_cmp_ne_u16_sdwa s1, v1, v87 src0_sel:BYTE_1 src1_sel:DWORD
	v_mov_b32_e32 v121, v83
	s_and_saveexec_b32 s39, s1
	s_cbranch_execz .LBB246_186
; %bb.181:                              ;   in Loop: Header=BB246_11 Depth=1
	v_mov_b32_e32 v2, 0xffff
	v_mov_b32_e32 v57, v68
	;; [unrolled: 1-line block ×3, first 2 shown]
	s_mov_b32 s40, exec_lo
	v_and_b32_sdwa v2, v2, v1 dst_sel:DWORD dst_unused:UNUSED_PAD src0_sel:DWORD src1_sel:BYTE_1
	v_mov_b32_e32 v121, v57
	v_and_b32_e32 v3, 0x7f, v2
	v_cmpx_ne_u32_e32 0x7f, v3
	s_cbranch_execz .LBB246_185
; %bb.182:                              ;   in Loop: Header=BB246_11 Depth=1
	v_and_b32_e32 v67, 7, v2
	v_lshrrev_b32_e32 v2, 3, v3
	s_mov_b32 s41, exec_lo
	v_cmpx_gt_u32_e32 8, v3
; %bb.183:                              ;   in Loop: Header=BB246_11 Depth=1
	v_ffbh_u32_e32 v2, v67
	v_min_u32_e32 v2, 32, v2
	v_subrev_nc_u32_e32 v3, 28, v2
	v_sub_nc_u32_e32 v2, 29, v2
	v_lshlrev_b64 v[3:4], v3, v[67:68]
	v_and_b32_e32 v67, 7, v3
; %bb.184:                              ;   in Loop: Header=BB246_11 Depth=1
	s_or_b32 exec_lo, exec_lo, s41
	v_lshlrev_b32_e32 v3, 16, v1
	v_lshlrev_b32_e32 v4, 20, v67
	v_lshl_add_u32 v2, v2, 23, 0x3c000000
	v_mov_b32_e32 v121, v68
	v_and_b32_e32 v3, 0x80000000, v3
	v_or3_b32 v122, v4, v3, v2
.LBB246_185:                            ;   in Loop: Header=BB246_11 Depth=1
	s_or_b32 exec_lo, exec_lo, s40
.LBB246_186:                            ;   in Loop: Header=BB246_11 Depth=1
	s_or_b32 exec_lo, exec_lo, s39
.LBB246_187:                            ;   in Loop: Header=BB246_11 Depth=1
	s_or_b32 exec_lo, exec_lo, s38
	v_mov_b32_e32 v123, 0
	v_mov_b32_e32 v125, 0
	v_and_b32_sdwa v2, v1, v88 dst_sel:DWORD dst_unused:UNUSED_PAD src0_sel:WORD_1 src1_sel:DWORD
	v_mov_b32_e32 v124, 0
	v_mov_b32_e32 v126, 0
	s_mov_b32 s38, exec_lo
	v_cmpx_ne_u16_e32 0, v2
	s_cbranch_execz .LBB246_195
; %bb.188:                              ;   in Loop: Header=BB246_11 Depth=1
	v_bfrev_b32_e32 v125, 1
	v_mov_b32_e32 v126, 0
	s_mov_b32 s39, exec_lo
	v_cmpx_ne_u16_e32 0x80, v2
	s_cbranch_execz .LBB246_194
; %bb.189:                              ;   in Loop: Header=BB246_11 Depth=1
	v_mov_b32_e32 v125, 0x7f800001
	v_bfe_u32 v3, v1, 16, 7
	v_mov_b32_e32 v126, 0
	s_mov_b32 s40, exec_lo
	v_cmpx_ne_u32_e32 0x7f, v3
	s_cbranch_execz .LBB246_193
; %bb.190:                              ;   in Loop: Header=BB246_11 Depth=1
	v_mov_b32_e32 v2, 7
	s_mov_b32 s41, exec_lo
	v_and_b32_sdwa v67, v1, v2 dst_sel:DWORD dst_unused:UNUSED_PAD src0_sel:WORD_1 src1_sel:DWORD
	v_lshrrev_b32_e32 v2, 3, v3
	v_cmpx_gt_u32_e32 8, v3
; %bb.191:                              ;   in Loop: Header=BB246_11 Depth=1
	v_ffbh_u32_e32 v2, v67
	v_min_u32_e32 v2, 32, v2
	v_subrev_nc_u32_e32 v3, 28, v2
	v_sub_nc_u32_e32 v2, 29, v2
	v_lshlrev_b64 v[3:4], v3, v[67:68]
	v_and_b32_e32 v67, 7, v3
; %bb.192:                              ;   in Loop: Header=BB246_11 Depth=1
	s_or_b32 exec_lo, exec_lo, s41
	v_mov_b32_e32 v3, 24
	v_lshlrev_b32_e32 v4, 20, v67
	v_lshl_add_u32 v2, v2, 23, 0x3c000000
	v_lshlrev_b32_sdwa v3, v3, v1 dst_sel:DWORD dst_unused:UNUSED_PAD src0_sel:DWORD src1_sel:WORD_1
	v_and_b32_e32 v3, 0x80000000, v3
	v_or3_b32 v67, v4, v3, v2
	v_mov_b32_e32 v126, v68
	v_mov_b32_e32 v125, v67
.LBB246_193:                            ;   in Loop: Header=BB246_11 Depth=1
	s_or_b32 exec_lo, exec_lo, s40
.LBB246_194:                            ;   in Loop: Header=BB246_11 Depth=1
	s_or_b32 exec_lo, exec_lo, s39
.LBB246_195:                            ;   in Loop: Header=BB246_11 Depth=1
	s_or_b32 exec_lo, exec_lo, s38
	s_mov_b32 s38, exec_lo
	v_cmpx_lt_u32_e32 0xffffff, v1
	s_cbranch_execz .LBB246_203
; %bb.196:                              ;   in Loop: Header=BB246_11 Depth=1
	v_mov_b32_e32 v83, v68
	v_mov_b32_e32 v124, v84
	v_cmp_ne_u32_sdwa s1, v1, v87 src0_sel:BYTE_3 src1_sel:DWORD
	v_mov_b32_e32 v123, v83
	s_and_saveexec_b32 s39, s1
	s_cbranch_execz .LBB246_202
; %bb.197:                              ;   in Loop: Header=BB246_11 Depth=1
	v_mov_b32_e32 v57, v68
	v_mov_b32_e32 v124, v58
	v_bfe_u32 v3, v1, 24, 7
	s_mov_b32 s40, exec_lo
	v_mov_b32_e32 v123, v57
	v_cmpx_ne_u32_e32 0x7f, v3
	s_cbranch_execz .LBB246_201
; %bb.198:                              ;   in Loop: Header=BB246_11 Depth=1
	v_mov_b32_e32 v2, 7
	s_mov_b32 s41, exec_lo
	v_and_b32_sdwa v67, v1, v2 dst_sel:DWORD dst_unused:UNUSED_PAD src0_sel:BYTE_3 src1_sel:DWORD
	v_lshrrev_b32_e32 v2, 3, v3
	v_cmpx_gt_u32_e32 8, v3
; %bb.199:                              ;   in Loop: Header=BB246_11 Depth=1
	v_ffbh_u32_e32 v2, v67
	v_min_u32_e32 v2, 32, v2
	v_subrev_nc_u32_e32 v3, 28, v2
	v_sub_nc_u32_e32 v2, 29, v2
	v_lshlrev_b64 v[3:4], v3, v[67:68]
	v_and_b32_e32 v67, 7, v3
; %bb.200:                              ;   in Loop: Header=BB246_11 Depth=1
	s_or_b32 exec_lo, exec_lo, s41
	v_mov_b32_e32 v3, 24
	v_lshl_add_u32 v2, v2, 23, 0x3c000000
	v_mov_b32_e32 v123, v68
	v_lshlrev_b32_sdwa v1, v3, v1 dst_sel:DWORD dst_unused:UNUSED_PAD src0_sel:DWORD src1_sel:BYTE_3
	v_lshlrev_b32_e32 v3, 20, v67
	v_and_b32_e32 v1, 0x80000000, v1
	v_or3_b32 v124, v3, v1, v2
.LBB246_201:                            ;   in Loop: Header=BB246_11 Depth=1
	s_or_b32 exec_lo, exec_lo, s40
.LBB246_202:                            ;   in Loop: Header=BB246_11 Depth=1
	s_or_b32 exec_lo, exec_lo, s39
.LBB246_203:                            ;   in Loop: Header=BB246_11 Depth=1
	s_or_b32 exec_lo, exec_lo, s38
	global_load_dword v7, v[93:94], off offset:520
	v_mov_b32_e32 v1, 0
	v_mov_b32_e32 v69, 0
	;; [unrolled: 1-line block ×4, first 2 shown]
	s_waitcnt vmcnt(0)
	v_cmp_ne_u16_sdwa s1, v7, v68 src0_sel:BYTE_0 src1_sel:DWORD
	s_and_saveexec_b32 s38, s1
	s_cbranch_execz .LBB246_211
; %bb.204:                              ;   in Loop: Header=BB246_11 Depth=1
	v_bfrev_b32_e32 v69, 1
	v_mov_b32_e32 v70, 0
	v_cmp_ne_u16_sdwa s1, v7, v87 src0_sel:BYTE_0 src1_sel:DWORD
	s_and_saveexec_b32 s39, s1
	s_cbranch_execz .LBB246_210
; %bb.205:                              ;   in Loop: Header=BB246_11 Depth=1
	v_mov_b32_e32 v69, 0x7f800001
	v_and_b32_e32 v4, 0x7f, v7
	v_mov_b32_e32 v70, 0
	s_mov_b32 s40, exec_lo
	v_cmpx_ne_u32_e32 0x7f, v4
	s_cbranch_execz .LBB246_209
; %bb.206:                              ;   in Loop: Header=BB246_11 Depth=1
	v_and_b32_e32 v67, 7, v7
	v_lshrrev_b32_e32 v3, 3, v4
	s_mov_b32 s41, exec_lo
	v_cmpx_gt_u32_e32 8, v4
; %bb.207:                              ;   in Loop: Header=BB246_11 Depth=1
	v_ffbh_u32_e32 v3, v67
	v_min_u32_e32 v3, 32, v3
	v_subrev_nc_u32_e32 v4, 28, v3
	v_sub_nc_u32_e32 v3, 29, v3
	v_lshlrev_b64 v[4:5], v4, v[67:68]
	v_and_b32_e32 v67, 7, v4
; %bb.208:                              ;   in Loop: Header=BB246_11 Depth=1
	s_or_b32 exec_lo, exec_lo, s41
	v_lshlrev_b32_e32 v4, 24, v7
	v_lshlrev_b32_e32 v5, 20, v67
	v_lshl_add_u32 v3, v3, 23, 0x3c000000
	v_and_b32_e32 v4, 0x80000000, v4
	v_or3_b32 v67, v5, v4, v3
	v_mov_b32_e32 v70, v68
	v_mov_b32_e32 v69, v67
.LBB246_209:                            ;   in Loop: Header=BB246_11 Depth=1
	s_or_b32 exec_lo, exec_lo, s40
.LBB246_210:                            ;   in Loop: Header=BB246_11 Depth=1
	s_or_b32 exec_lo, exec_lo, s39
.LBB246_211:                            ;   in Loop: Header=BB246_11 Depth=1
	s_or_b32 exec_lo, exec_lo, s38
	v_cmp_ne_u16_sdwa s1, v7, v68 src0_sel:BYTE_1 src1_sel:DWORD
	s_and_saveexec_b32 s38, s1
	s_cbranch_execz .LBB246_219
; %bb.212:                              ;   in Loop: Header=BB246_11 Depth=1
	v_mov_b32_e32 v83, v68
	v_cmp_ne_u16_sdwa s1, v7, v87 src0_sel:BYTE_1 src1_sel:DWORD
	v_mov_b32_e32 v1, v83
	v_mov_b32_e32 v2, v84
	s_and_saveexec_b32 s39, s1
	s_cbranch_execz .LBB246_218
; %bb.213:                              ;   in Loop: Header=BB246_11 Depth=1
	v_mov_b32_e32 v1, 0xffff
	v_mov_b32_e32 v57, v68
	s_mov_b32 s40, exec_lo
	v_and_b32_sdwa v4, v1, v7 dst_sel:DWORD dst_unused:UNUSED_PAD src0_sel:DWORD src1_sel:BYTE_1
	v_mov_b32_e32 v1, v57
	v_mov_b32_e32 v2, v58
	v_and_b32_e32 v3, 0x7f, v4
	v_cmpx_ne_u32_e32 0x7f, v3
	s_cbranch_execz .LBB246_217
; %bb.214:                              ;   in Loop: Header=BB246_11 Depth=1
	v_and_b32_e32 v67, 7, v4
	v_lshrrev_b32_e32 v1, 3, v3
	s_mov_b32 s41, exec_lo
	v_cmpx_gt_u32_e32 8, v3
; %bb.215:                              ;   in Loop: Header=BB246_11 Depth=1
	v_ffbh_u32_e32 v1, v67
	v_min_u32_e32 v1, 32, v1
	v_subrev_nc_u32_e32 v2, 28, v1
	v_sub_nc_u32_e32 v1, 29, v1
	v_lshlrev_b64 v[2:3], v2, v[67:68]
	v_and_b32_e32 v67, 7, v2
; %bb.216:                              ;   in Loop: Header=BB246_11 Depth=1
	s_or_b32 exec_lo, exec_lo, s41
	v_lshlrev_b32_e32 v2, 16, v7
	v_lshlrev_b32_e32 v3, 20, v67
	v_lshl_add_u32 v1, v1, 23, 0x3c000000
	v_and_b32_e32 v2, 0x80000000, v2
	v_or3_b32 v2, v3, v2, v1
	v_mov_b32_e32 v1, v68
.LBB246_217:                            ;   in Loop: Header=BB246_11 Depth=1
	s_or_b32 exec_lo, exec_lo, s40
.LBB246_218:                            ;   in Loop: Header=BB246_11 Depth=1
	s_or_b32 exec_lo, exec_lo, s39
.LBB246_219:                            ;   in Loop: Header=BB246_11 Depth=1
	s_or_b32 exec_lo, exec_lo, s38
	v_mov_b32_e32 v3, 0
	v_mov_b32_e32 v5, 0
	v_and_b32_sdwa v8, v7, v88 dst_sel:DWORD dst_unused:UNUSED_PAD src0_sel:WORD_1 src1_sel:DWORD
	v_mov_b32_e32 v4, 0
	v_mov_b32_e32 v6, 0
	s_mov_b32 s38, exec_lo
	v_cmpx_ne_u16_e32 0, v8
	s_cbranch_execz .LBB246_227
; %bb.220:                              ;   in Loop: Header=BB246_11 Depth=1
	v_bfrev_b32_e32 v5, 1
	v_mov_b32_e32 v6, 0
	s_mov_b32 s39, exec_lo
	v_cmpx_ne_u16_e32 0x80, v8
	s_cbranch_execz .LBB246_226
; %bb.221:                              ;   in Loop: Header=BB246_11 Depth=1
	v_mov_b32_e32 v5, 0x7f800001
	v_bfe_u32 v8, v7, 16, 7
	v_mov_b32_e32 v6, 0
	s_mov_b32 s40, exec_lo
	v_cmpx_ne_u32_e32 0x7f, v8
	s_cbranch_execz .LBB246_225
; %bb.222:                              ;   in Loop: Header=BB246_11 Depth=1
	v_mov_b32_e32 v5, 7
	s_mov_b32 s41, exec_lo
	v_and_b32_sdwa v67, v7, v5 dst_sel:DWORD dst_unused:UNUSED_PAD src0_sel:WORD_1 src1_sel:DWORD
	v_lshrrev_b32_e32 v5, 3, v8
	v_cmpx_gt_u32_e32 8, v8
; %bb.223:                              ;   in Loop: Header=BB246_11 Depth=1
	v_ffbh_u32_e32 v5, v67
	v_min_u32_e32 v5, 32, v5
	v_subrev_nc_u32_e32 v6, 28, v5
	v_sub_nc_u32_e32 v5, 29, v5
	v_lshlrev_b64 v[8:9], v6, v[67:68]
	v_and_b32_e32 v67, 7, v8
; %bb.224:                              ;   in Loop: Header=BB246_11 Depth=1
	s_or_b32 exec_lo, exec_lo, s41
	v_mov_b32_e32 v6, 24
	v_lshlrev_b32_e32 v8, 20, v67
	v_lshl_add_u32 v5, v5, 23, 0x3c000000
	v_lshlrev_b32_sdwa v6, v6, v7 dst_sel:DWORD dst_unused:UNUSED_PAD src0_sel:DWORD src1_sel:WORD_1
	v_and_b32_e32 v6, 0x80000000, v6
	v_or3_b32 v67, v8, v6, v5
	v_mov_b32_e32 v5, v67
	v_mov_b32_e32 v6, v68
.LBB246_225:                            ;   in Loop: Header=BB246_11 Depth=1
	s_or_b32 exec_lo, exec_lo, s40
.LBB246_226:                            ;   in Loop: Header=BB246_11 Depth=1
	s_or_b32 exec_lo, exec_lo, s39
.LBB246_227:                            ;   in Loop: Header=BB246_11 Depth=1
	s_or_b32 exec_lo, exec_lo, s38
	s_mov_b32 s38, exec_lo
	v_cmpx_lt_u32_e32 0xffffff, v7
	s_cbranch_execz .LBB246_235
; %bb.228:                              ;   in Loop: Header=BB246_11 Depth=1
	v_mov_b32_e32 v83, v68
	v_cmp_ne_u32_sdwa s1, v7, v87 src0_sel:BYTE_3 src1_sel:DWORD
	v_mov_b32_e32 v3, v83
	v_mov_b32_e32 v4, v84
	s_and_saveexec_b32 s39, s1
	s_cbranch_execz .LBB246_234
; %bb.229:                              ;   in Loop: Header=BB246_11 Depth=1
	v_mov_b32_e32 v57, v68
	v_bfe_u32 v8, v7, 24, 7
	s_mov_b32 s40, exec_lo
	v_mov_b32_e32 v3, v57
	v_mov_b32_e32 v4, v58
	v_cmpx_ne_u32_e32 0x7f, v8
	s_cbranch_execz .LBB246_233
; %bb.230:                              ;   in Loop: Header=BB246_11 Depth=1
	v_mov_b32_e32 v3, 7
	s_mov_b32 s41, exec_lo
	v_and_b32_sdwa v67, v7, v3 dst_sel:DWORD dst_unused:UNUSED_PAD src0_sel:BYTE_3 src1_sel:DWORD
	v_lshrrev_b32_e32 v3, 3, v8
	v_cmpx_gt_u32_e32 8, v8
; %bb.231:                              ;   in Loop: Header=BB246_11 Depth=1
	v_ffbh_u32_e32 v3, v67
	v_min_u32_e32 v3, 32, v3
	v_subrev_nc_u32_e32 v4, 28, v3
	v_sub_nc_u32_e32 v3, 29, v3
	v_lshlrev_b64 v[8:9], v4, v[67:68]
	v_and_b32_e32 v67, 7, v8
; %bb.232:                              ;   in Loop: Header=BB246_11 Depth=1
	s_or_b32 exec_lo, exec_lo, s41
	v_mov_b32_e32 v4, 24
	v_lshl_add_u32 v3, v3, 23, 0x3c000000
	v_lshlrev_b32_sdwa v4, v4, v7 dst_sel:DWORD dst_unused:UNUSED_PAD src0_sel:DWORD src1_sel:BYTE_3
	v_lshlrev_b32_e32 v7, 20, v67
	v_and_b32_e32 v4, 0x80000000, v4
	v_or3_b32 v4, v7, v4, v3
	v_mov_b32_e32 v3, v68
.LBB246_233:                            ;   in Loop: Header=BB246_11 Depth=1
	s_or_b32 exec_lo, exec_lo, s40
.LBB246_234:                            ;   in Loop: Header=BB246_11 Depth=1
	s_or_b32 exec_lo, exec_lo, s39
.LBB246_235:                            ;   in Loop: Header=BB246_11 Depth=1
	s_or_b32 exec_lo, exec_lo, s38
	global_load_dword v15, v[93:94], off offset:524
	v_mov_b32_e32 v9, 0
	v_mov_b32_e32 v7, 0
	v_mov_b32_e32 v10, 0
	v_mov_b32_e32 v8, 0
	s_waitcnt vmcnt(0)
	v_cmp_ne_u16_sdwa s1, v15, v68 src0_sel:BYTE_0 src1_sel:DWORD
	s_and_saveexec_b32 s38, s1
	s_cbranch_execz .LBB246_243
; %bb.236:                              ;   in Loop: Header=BB246_11 Depth=1
	v_bfrev_b32_e32 v7, 1
	v_mov_b32_e32 v8, 0
	v_cmp_ne_u16_sdwa s1, v15, v87 src0_sel:BYTE_0 src1_sel:DWORD
	s_and_saveexec_b32 s39, s1
	s_cbranch_execz .LBB246_242
; %bb.237:                              ;   in Loop: Header=BB246_11 Depth=1
	v_mov_b32_e32 v7, 0x7f800001
	v_and_b32_e32 v11, 0x7f, v15
	v_mov_b32_e32 v8, 0
	s_mov_b32 s40, exec_lo
	v_cmpx_ne_u32_e32 0x7f, v11
	s_cbranch_execz .LBB246_241
; %bb.238:                              ;   in Loop: Header=BB246_11 Depth=1
	v_and_b32_e32 v67, 7, v15
	v_lshrrev_b32_e32 v7, 3, v11
	s_mov_b32 s41, exec_lo
	v_cmpx_gt_u32_e32 8, v11
; %bb.239:                              ;   in Loop: Header=BB246_11 Depth=1
	v_ffbh_u32_e32 v7, v67
	v_min_u32_e32 v7, 32, v7
	v_subrev_nc_u32_e32 v8, 28, v7
	v_sub_nc_u32_e32 v7, 29, v7
	v_lshlrev_b64 v[11:12], v8, v[67:68]
	v_and_b32_e32 v67, 7, v11
; %bb.240:                              ;   in Loop: Header=BB246_11 Depth=1
	s_or_b32 exec_lo, exec_lo, s41
	v_lshlrev_b32_e32 v8, 24, v15
	v_lshlrev_b32_e32 v11, 20, v67
	v_lshl_add_u32 v7, v7, 23, 0x3c000000
	v_and_b32_e32 v8, 0x80000000, v8
	v_or3_b32 v67, v11, v8, v7
	v_mov_b32_e32 v7, v67
	v_mov_b32_e32 v8, v68
.LBB246_241:                            ;   in Loop: Header=BB246_11 Depth=1
	s_or_b32 exec_lo, exec_lo, s40
.LBB246_242:                            ;   in Loop: Header=BB246_11 Depth=1
	s_or_b32 exec_lo, exec_lo, s39
.LBB246_243:                            ;   in Loop: Header=BB246_11 Depth=1
	s_or_b32 exec_lo, exec_lo, s38
	v_cmp_ne_u16_sdwa s1, v15, v68 src0_sel:BYTE_1 src1_sel:DWORD
	s_and_saveexec_b32 s38, s1
	s_cbranch_execz .LBB246_251
; %bb.244:                              ;   in Loop: Header=BB246_11 Depth=1
	v_mov_b32_e32 v83, v68
	v_cmp_ne_u16_sdwa s1, v15, v87 src0_sel:BYTE_1 src1_sel:DWORD
	v_mov_b32_e32 v9, v83
	v_mov_b32_e32 v10, v84
	s_and_saveexec_b32 s39, s1
	s_cbranch_execz .LBB246_250
; %bb.245:                              ;   in Loop: Header=BB246_11 Depth=1
	v_mov_b32_e32 v9, 0xffff
	v_mov_b32_e32 v57, v68
	s_mov_b32 s40, exec_lo
	v_and_b32_sdwa v12, v9, v15 dst_sel:DWORD dst_unused:UNUSED_PAD src0_sel:DWORD src1_sel:BYTE_1
	v_mov_b32_e32 v9, v57
	v_mov_b32_e32 v10, v58
	v_and_b32_e32 v11, 0x7f, v12
	v_cmpx_ne_u32_e32 0x7f, v11
	s_cbranch_execz .LBB246_249
; %bb.246:                              ;   in Loop: Header=BB246_11 Depth=1
	v_and_b32_e32 v67, 7, v12
	v_lshrrev_b32_e32 v9, 3, v11
	s_mov_b32 s41, exec_lo
	v_cmpx_gt_u32_e32 8, v11
; %bb.247:                              ;   in Loop: Header=BB246_11 Depth=1
	v_ffbh_u32_e32 v9, v67
	v_min_u32_e32 v9, 32, v9
	v_subrev_nc_u32_e32 v10, 28, v9
	v_sub_nc_u32_e32 v9, 29, v9
	v_lshlrev_b64 v[10:11], v10, v[67:68]
	v_and_b32_e32 v67, 7, v10
; %bb.248:                              ;   in Loop: Header=BB246_11 Depth=1
	s_or_b32 exec_lo, exec_lo, s41
	v_lshlrev_b32_e32 v10, 16, v15
	v_lshlrev_b32_e32 v11, 20, v67
	v_lshl_add_u32 v9, v9, 23, 0x3c000000
	v_and_b32_e32 v10, 0x80000000, v10
	v_or3_b32 v10, v11, v10, v9
	v_mov_b32_e32 v9, v68
.LBB246_249:                            ;   in Loop: Header=BB246_11 Depth=1
	s_or_b32 exec_lo, exec_lo, s40
.LBB246_250:                            ;   in Loop: Header=BB246_11 Depth=1
	s_or_b32 exec_lo, exec_lo, s39
.LBB246_251:                            ;   in Loop: Header=BB246_11 Depth=1
	s_or_b32 exec_lo, exec_lo, s38
	v_mov_b32_e32 v11, 0
	v_mov_b32_e32 v13, 0
	v_and_b32_sdwa v16, v15, v88 dst_sel:DWORD dst_unused:UNUSED_PAD src0_sel:WORD_1 src1_sel:DWORD
	v_mov_b32_e32 v12, 0
	v_mov_b32_e32 v14, 0
	s_mov_b32 s38, exec_lo
	v_cmpx_ne_u16_e32 0, v16
	s_cbranch_execz .LBB246_259
; %bb.252:                              ;   in Loop: Header=BB246_11 Depth=1
	v_bfrev_b32_e32 v13, 1
	v_mov_b32_e32 v14, 0
	s_mov_b32 s39, exec_lo
	v_cmpx_ne_u16_e32 0x80, v16
	s_cbranch_execz .LBB246_258
; %bb.253:                              ;   in Loop: Header=BB246_11 Depth=1
	v_mov_b32_e32 v13, 0x7f800001
	v_bfe_u32 v16, v15, 16, 7
	v_mov_b32_e32 v14, 0
	s_mov_b32 s40, exec_lo
	v_cmpx_ne_u32_e32 0x7f, v16
	s_cbranch_execz .LBB246_257
; %bb.254:                              ;   in Loop: Header=BB246_11 Depth=1
	v_mov_b32_e32 v13, 7
	s_mov_b32 s41, exec_lo
	v_and_b32_sdwa v67, v15, v13 dst_sel:DWORD dst_unused:UNUSED_PAD src0_sel:WORD_1 src1_sel:DWORD
	v_lshrrev_b32_e32 v13, 3, v16
	v_cmpx_gt_u32_e32 8, v16
; %bb.255:                              ;   in Loop: Header=BB246_11 Depth=1
	v_ffbh_u32_e32 v13, v67
	v_min_u32_e32 v13, 32, v13
	v_subrev_nc_u32_e32 v14, 28, v13
	v_sub_nc_u32_e32 v13, 29, v13
	v_lshlrev_b64 v[16:17], v14, v[67:68]
	v_and_b32_e32 v67, 7, v16
; %bb.256:                              ;   in Loop: Header=BB246_11 Depth=1
	s_or_b32 exec_lo, exec_lo, s41
	v_mov_b32_e32 v14, 24
	v_lshlrev_b32_e32 v16, 20, v67
	v_lshl_add_u32 v13, v13, 23, 0x3c000000
	v_lshlrev_b32_sdwa v14, v14, v15 dst_sel:DWORD dst_unused:UNUSED_PAD src0_sel:DWORD src1_sel:WORD_1
	v_and_b32_e32 v14, 0x80000000, v14
	v_or3_b32 v67, v16, v14, v13
	v_mov_b32_e32 v13, v67
	v_mov_b32_e32 v14, v68
.LBB246_257:                            ;   in Loop: Header=BB246_11 Depth=1
	s_or_b32 exec_lo, exec_lo, s40
.LBB246_258:                            ;   in Loop: Header=BB246_11 Depth=1
	s_or_b32 exec_lo, exec_lo, s39
.LBB246_259:                            ;   in Loop: Header=BB246_11 Depth=1
	s_or_b32 exec_lo, exec_lo, s38
	s_mov_b32 s38, exec_lo
	v_cmpx_lt_u32_e32 0xffffff, v15
	s_cbranch_execz .LBB246_267
; %bb.260:                              ;   in Loop: Header=BB246_11 Depth=1
	v_mov_b32_e32 v83, v68
	v_cmp_ne_u32_sdwa s1, v15, v87 src0_sel:BYTE_3 src1_sel:DWORD
	v_mov_b32_e32 v11, v83
	v_mov_b32_e32 v12, v84
	s_and_saveexec_b32 s39, s1
	s_cbranch_execz .LBB246_266
; %bb.261:                              ;   in Loop: Header=BB246_11 Depth=1
	v_mov_b32_e32 v57, v68
	v_bfe_u32 v16, v15, 24, 7
	s_mov_b32 s40, exec_lo
	v_mov_b32_e32 v11, v57
	v_mov_b32_e32 v12, v58
	v_cmpx_ne_u32_e32 0x7f, v16
	s_cbranch_execz .LBB246_265
; %bb.262:                              ;   in Loop: Header=BB246_11 Depth=1
	v_mov_b32_e32 v11, 7
	s_mov_b32 s41, exec_lo
	v_and_b32_sdwa v67, v15, v11 dst_sel:DWORD dst_unused:UNUSED_PAD src0_sel:BYTE_3 src1_sel:DWORD
	v_lshrrev_b32_e32 v11, 3, v16
	v_cmpx_gt_u32_e32 8, v16
; %bb.263:                              ;   in Loop: Header=BB246_11 Depth=1
	v_ffbh_u32_e32 v11, v67
	v_min_u32_e32 v11, 32, v11
	v_subrev_nc_u32_e32 v12, 28, v11
	v_sub_nc_u32_e32 v11, 29, v11
	v_lshlrev_b64 v[16:17], v12, v[67:68]
	v_and_b32_e32 v67, 7, v16
; %bb.264:                              ;   in Loop: Header=BB246_11 Depth=1
	s_or_b32 exec_lo, exec_lo, s41
	v_mov_b32_e32 v12, 24
	v_lshl_add_u32 v11, v11, 23, 0x3c000000
	v_lshlrev_b32_sdwa v12, v12, v15 dst_sel:DWORD dst_unused:UNUSED_PAD src0_sel:DWORD src1_sel:BYTE_3
	v_lshlrev_b32_e32 v15, 20, v67
	v_and_b32_e32 v12, 0x80000000, v12
	v_or3_b32 v12, v15, v12, v11
	v_mov_b32_e32 v11, v68
.LBB246_265:                            ;   in Loop: Header=BB246_11 Depth=1
	s_or_b32 exec_lo, exec_lo, s40
.LBB246_266:                            ;   in Loop: Header=BB246_11 Depth=1
	s_or_b32 exec_lo, exec_lo, s39
.LBB246_267:                            ;   in Loop: Header=BB246_11 Depth=1
	s_or_b32 exec_lo, exec_lo, s38
	global_load_dword v21, v[93:94], off offset:1024
	v_mov_b32_e32 v65, 0
	v_mov_b32_e32 v15, 0
	;; [unrolled: 1-line block ×4, first 2 shown]
	s_waitcnt vmcnt(0)
	v_cmp_ne_u16_sdwa s1, v21, v68 src0_sel:BYTE_0 src1_sel:DWORD
	s_and_saveexec_b32 s38, s1
	s_cbranch_execz .LBB246_275
; %bb.268:                              ;   in Loop: Header=BB246_11 Depth=1
	v_bfrev_b32_e32 v15, 1
	v_mov_b32_e32 v16, 0
	v_cmp_ne_u16_sdwa s1, v21, v87 src0_sel:BYTE_0 src1_sel:DWORD
	s_and_saveexec_b32 s39, s1
	s_cbranch_execz .LBB246_274
; %bb.269:                              ;   in Loop: Header=BB246_11 Depth=1
	v_mov_b32_e32 v15, 0x7f800001
	v_and_b32_e32 v17, 0x7f, v21
	v_mov_b32_e32 v16, 0
	s_mov_b32 s40, exec_lo
	v_cmpx_ne_u32_e32 0x7f, v17
	s_cbranch_execz .LBB246_273
; %bb.270:                              ;   in Loop: Header=BB246_11 Depth=1
	v_and_b32_e32 v67, 7, v21
	v_lshrrev_b32_e32 v15, 3, v17
	s_mov_b32 s41, exec_lo
	v_cmpx_gt_u32_e32 8, v17
; %bb.271:                              ;   in Loop: Header=BB246_11 Depth=1
	v_ffbh_u32_e32 v15, v67
	v_min_u32_e32 v15, 32, v15
	v_subrev_nc_u32_e32 v16, 28, v15
	v_sub_nc_u32_e32 v15, 29, v15
	v_lshlrev_b64 v[16:17], v16, v[67:68]
	v_and_b32_e32 v67, 7, v16
; %bb.272:                              ;   in Loop: Header=BB246_11 Depth=1
	s_or_b32 exec_lo, exec_lo, s41
	v_lshlrev_b32_e32 v16, 24, v21
	v_lshlrev_b32_e32 v17, 20, v67
	v_lshl_add_u32 v15, v15, 23, 0x3c000000
	v_and_b32_e32 v16, 0x80000000, v16
	v_or3_b32 v67, v17, v16, v15
	v_mov_b32_e32 v15, v67
	v_mov_b32_e32 v16, v68
.LBB246_273:                            ;   in Loop: Header=BB246_11 Depth=1
	s_or_b32 exec_lo, exec_lo, s40
.LBB246_274:                            ;   in Loop: Header=BB246_11 Depth=1
	s_or_b32 exec_lo, exec_lo, s39
.LBB246_275:                            ;   in Loop: Header=BB246_11 Depth=1
	s_or_b32 exec_lo, exec_lo, s38
	v_cmp_ne_u16_sdwa s1, v21, v68 src0_sel:BYTE_1 src1_sel:DWORD
	s_and_saveexec_b32 s38, s1
	s_cbranch_execz .LBB246_283
; %bb.276:                              ;   in Loop: Header=BB246_11 Depth=1
	v_mov_b32_e32 v83, v68
	v_cmp_ne_u16_sdwa s1, v21, v87 src0_sel:BYTE_1 src1_sel:DWORD
	v_mov_b32_e32 v65, v83
	v_mov_b32_e32 v66, v84
	s_and_saveexec_b32 s39, s1
	s_cbranch_execz .LBB246_282
; %bb.277:                              ;   in Loop: Header=BB246_11 Depth=1
	v_mov_b32_e32 v17, 0xffff
	v_mov_b32_e32 v57, v68
	;; [unrolled: 1-line block ×3, first 2 shown]
	s_mov_b32 s40, exec_lo
	v_and_b32_sdwa v17, v17, v21 dst_sel:DWORD dst_unused:UNUSED_PAD src0_sel:DWORD src1_sel:BYTE_1
	v_mov_b32_e32 v65, v57
	v_and_b32_e32 v18, 0x7f, v17
	v_cmpx_ne_u32_e32 0x7f, v18
	s_cbranch_execz .LBB246_281
; %bb.278:                              ;   in Loop: Header=BB246_11 Depth=1
	v_and_b32_e32 v67, 7, v17
	v_lshrrev_b32_e32 v17, 3, v18
	s_mov_b32 s41, exec_lo
	v_cmpx_gt_u32_e32 8, v18
; %bb.279:                              ;   in Loop: Header=BB246_11 Depth=1
	v_ffbh_u32_e32 v17, v67
	v_min_u32_e32 v17, 32, v17
	v_subrev_nc_u32_e32 v18, 28, v17
	v_sub_nc_u32_e32 v17, 29, v17
	v_lshlrev_b64 v[18:19], v18, v[67:68]
	v_and_b32_e32 v67, 7, v18
; %bb.280:                              ;   in Loop: Header=BB246_11 Depth=1
	s_or_b32 exec_lo, exec_lo, s41
	v_lshlrev_b32_e32 v18, 16, v21
	v_lshlrev_b32_e32 v19, 20, v67
	v_lshl_add_u32 v17, v17, 23, 0x3c000000
	v_mov_b32_e32 v65, v68
	v_and_b32_e32 v18, 0x80000000, v18
	v_or3_b32 v66, v19, v18, v17
.LBB246_281:                            ;   in Loop: Header=BB246_11 Depth=1
	s_or_b32 exec_lo, exec_lo, s40
.LBB246_282:                            ;   in Loop: Header=BB246_11 Depth=1
	s_or_b32 exec_lo, exec_lo, s39
.LBB246_283:                            ;   in Loop: Header=BB246_11 Depth=1
	s_or_b32 exec_lo, exec_lo, s38
	v_mov_b32_e32 v17, 0
	v_mov_b32_e32 v19, 0
	v_and_b32_sdwa v22, v21, v88 dst_sel:DWORD dst_unused:UNUSED_PAD src0_sel:WORD_1 src1_sel:DWORD
	v_mov_b32_e32 v18, 0
	v_mov_b32_e32 v20, 0
	s_mov_b32 s38, exec_lo
	v_cmpx_ne_u16_e32 0, v22
	s_cbranch_execz .LBB246_291
; %bb.284:                              ;   in Loop: Header=BB246_11 Depth=1
	v_bfrev_b32_e32 v19, 1
	v_mov_b32_e32 v20, 0
	s_mov_b32 s39, exec_lo
	v_cmpx_ne_u16_e32 0x80, v22
	s_cbranch_execz .LBB246_290
; %bb.285:                              ;   in Loop: Header=BB246_11 Depth=1
	v_mov_b32_e32 v19, 0x7f800001
	v_bfe_u32 v22, v21, 16, 7
	v_mov_b32_e32 v20, 0
	s_mov_b32 s40, exec_lo
	v_cmpx_ne_u32_e32 0x7f, v22
	s_cbranch_execz .LBB246_289
; %bb.286:                              ;   in Loop: Header=BB246_11 Depth=1
	v_mov_b32_e32 v19, 7
	s_mov_b32 s41, exec_lo
	v_and_b32_sdwa v67, v21, v19 dst_sel:DWORD dst_unused:UNUSED_PAD src0_sel:WORD_1 src1_sel:DWORD
	v_lshrrev_b32_e32 v19, 3, v22
	v_cmpx_gt_u32_e32 8, v22
; %bb.287:                              ;   in Loop: Header=BB246_11 Depth=1
	v_ffbh_u32_e32 v19, v67
	v_min_u32_e32 v19, 32, v19
	v_subrev_nc_u32_e32 v20, 28, v19
	v_sub_nc_u32_e32 v19, 29, v19
	v_lshlrev_b64 v[22:23], v20, v[67:68]
	v_and_b32_e32 v67, 7, v22
; %bb.288:                              ;   in Loop: Header=BB246_11 Depth=1
	s_or_b32 exec_lo, exec_lo, s41
	v_mov_b32_e32 v20, 24
	v_lshlrev_b32_e32 v22, 20, v67
	v_lshl_add_u32 v19, v19, 23, 0x3c000000
	v_lshlrev_b32_sdwa v20, v20, v21 dst_sel:DWORD dst_unused:UNUSED_PAD src0_sel:DWORD src1_sel:WORD_1
	v_and_b32_e32 v20, 0x80000000, v20
	v_or3_b32 v67, v22, v20, v19
	v_mov_b32_e32 v19, v67
	v_mov_b32_e32 v20, v68
.LBB246_289:                            ;   in Loop: Header=BB246_11 Depth=1
	s_or_b32 exec_lo, exec_lo, s40
.LBB246_290:                            ;   in Loop: Header=BB246_11 Depth=1
	s_or_b32 exec_lo, exec_lo, s39
.LBB246_291:                            ;   in Loop: Header=BB246_11 Depth=1
	s_or_b32 exec_lo, exec_lo, s38
	s_mov_b32 s38, exec_lo
	v_cmpx_lt_u32_e32 0xffffff, v21
	s_cbranch_execz .LBB246_299
; %bb.292:                              ;   in Loop: Header=BB246_11 Depth=1
	v_mov_b32_e32 v83, v68
	v_cmp_ne_u32_sdwa s1, v21, v87 src0_sel:BYTE_3 src1_sel:DWORD
	v_mov_b32_e32 v17, v83
	v_mov_b32_e32 v18, v84
	s_and_saveexec_b32 s39, s1
	s_cbranch_execz .LBB246_298
; %bb.293:                              ;   in Loop: Header=BB246_11 Depth=1
	v_mov_b32_e32 v57, v68
	v_bfe_u32 v22, v21, 24, 7
	s_mov_b32 s40, exec_lo
	v_mov_b32_e32 v17, v57
	v_mov_b32_e32 v18, v58
	v_cmpx_ne_u32_e32 0x7f, v22
	s_cbranch_execz .LBB246_297
; %bb.294:                              ;   in Loop: Header=BB246_11 Depth=1
	v_mov_b32_e32 v17, 7
	s_mov_b32 s41, exec_lo
	v_and_b32_sdwa v67, v21, v17 dst_sel:DWORD dst_unused:UNUSED_PAD src0_sel:BYTE_3 src1_sel:DWORD
	v_lshrrev_b32_e32 v17, 3, v22
	v_cmpx_gt_u32_e32 8, v22
; %bb.295:                              ;   in Loop: Header=BB246_11 Depth=1
	v_ffbh_u32_e32 v17, v67
	v_min_u32_e32 v17, 32, v17
	v_subrev_nc_u32_e32 v18, 28, v17
	v_sub_nc_u32_e32 v17, 29, v17
	v_lshlrev_b64 v[22:23], v18, v[67:68]
	v_and_b32_e32 v67, 7, v22
; %bb.296:                              ;   in Loop: Header=BB246_11 Depth=1
	s_or_b32 exec_lo, exec_lo, s41
	v_mov_b32_e32 v18, 24
	v_lshl_add_u32 v17, v17, 23, 0x3c000000
	v_lshlrev_b32_sdwa v18, v18, v21 dst_sel:DWORD dst_unused:UNUSED_PAD src0_sel:DWORD src1_sel:BYTE_3
	v_lshlrev_b32_e32 v21, 20, v67
	v_and_b32_e32 v18, 0x80000000, v18
	v_or3_b32 v18, v21, v18, v17
	v_mov_b32_e32 v17, v68
.LBB246_297:                            ;   in Loop: Header=BB246_11 Depth=1
	s_or_b32 exec_lo, exec_lo, s40
.LBB246_298:                            ;   in Loop: Header=BB246_11 Depth=1
	s_or_b32 exec_lo, exec_lo, s39
.LBB246_299:                            ;   in Loop: Header=BB246_11 Depth=1
	s_or_b32 exec_lo, exec_lo, s38
	global_load_dword v29, v[93:94], off offset:1028
	v_mov_b32_e32 v23, 0
	v_mov_b32_e32 v21, 0
	v_mov_b32_e32 v24, 0
	v_mov_b32_e32 v22, 0
	s_waitcnt vmcnt(0)
	v_cmp_ne_u16_sdwa s1, v29, v68 src0_sel:BYTE_0 src1_sel:DWORD
	s_and_saveexec_b32 s38, s1
	s_cbranch_execz .LBB246_307
; %bb.300:                              ;   in Loop: Header=BB246_11 Depth=1
	v_bfrev_b32_e32 v21, 1
	v_mov_b32_e32 v22, 0
	v_cmp_ne_u16_sdwa s1, v29, v87 src0_sel:BYTE_0 src1_sel:DWORD
	s_and_saveexec_b32 s39, s1
	s_cbranch_execz .LBB246_306
; %bb.301:                              ;   in Loop: Header=BB246_11 Depth=1
	v_mov_b32_e32 v21, 0x7f800001
	v_and_b32_e32 v25, 0x7f, v29
	v_mov_b32_e32 v22, 0
	s_mov_b32 s40, exec_lo
	v_cmpx_ne_u32_e32 0x7f, v25
	s_cbranch_execz .LBB246_305
; %bb.302:                              ;   in Loop: Header=BB246_11 Depth=1
	v_and_b32_e32 v67, 7, v29
	v_lshrrev_b32_e32 v21, 3, v25
	s_mov_b32 s41, exec_lo
	v_cmpx_gt_u32_e32 8, v25
; %bb.303:                              ;   in Loop: Header=BB246_11 Depth=1
	v_ffbh_u32_e32 v21, v67
	v_min_u32_e32 v21, 32, v21
	v_subrev_nc_u32_e32 v22, 28, v21
	v_sub_nc_u32_e32 v21, 29, v21
	v_lshlrev_b64 v[25:26], v22, v[67:68]
	v_and_b32_e32 v67, 7, v25
; %bb.304:                              ;   in Loop: Header=BB246_11 Depth=1
	s_or_b32 exec_lo, exec_lo, s41
	v_lshlrev_b32_e32 v22, 24, v29
	v_lshlrev_b32_e32 v25, 20, v67
	v_lshl_add_u32 v21, v21, 23, 0x3c000000
	v_and_b32_e32 v22, 0x80000000, v22
	v_or3_b32 v67, v25, v22, v21
	v_mov_b32_e32 v21, v67
	v_mov_b32_e32 v22, v68
.LBB246_305:                            ;   in Loop: Header=BB246_11 Depth=1
	s_or_b32 exec_lo, exec_lo, s40
.LBB246_306:                            ;   in Loop: Header=BB246_11 Depth=1
	s_or_b32 exec_lo, exec_lo, s39
.LBB246_307:                            ;   in Loop: Header=BB246_11 Depth=1
	s_or_b32 exec_lo, exec_lo, s38
	v_cmp_ne_u16_sdwa s1, v29, v68 src0_sel:BYTE_1 src1_sel:DWORD
	s_and_saveexec_b32 s38, s1
	s_cbranch_execz .LBB246_315
; %bb.308:                              ;   in Loop: Header=BB246_11 Depth=1
	v_mov_b32_e32 v83, v68
	v_cmp_ne_u16_sdwa s1, v29, v87 src0_sel:BYTE_1 src1_sel:DWORD
	v_mov_b32_e32 v23, v83
	v_mov_b32_e32 v24, v84
	s_and_saveexec_b32 s39, s1
	s_cbranch_execz .LBB246_314
; %bb.309:                              ;   in Loop: Header=BB246_11 Depth=1
	v_mov_b32_e32 v23, 0xffff
	v_mov_b32_e32 v57, v68
	s_mov_b32 s40, exec_lo
	v_and_b32_sdwa v26, v23, v29 dst_sel:DWORD dst_unused:UNUSED_PAD src0_sel:DWORD src1_sel:BYTE_1
	v_mov_b32_e32 v23, v57
	v_mov_b32_e32 v24, v58
	v_and_b32_e32 v25, 0x7f, v26
	v_cmpx_ne_u32_e32 0x7f, v25
	s_cbranch_execz .LBB246_313
; %bb.310:                              ;   in Loop: Header=BB246_11 Depth=1
	v_and_b32_e32 v67, 7, v26
	v_lshrrev_b32_e32 v23, 3, v25
	s_mov_b32 s41, exec_lo
	v_cmpx_gt_u32_e32 8, v25
; %bb.311:                              ;   in Loop: Header=BB246_11 Depth=1
	v_ffbh_u32_e32 v23, v67
	v_min_u32_e32 v23, 32, v23
	v_subrev_nc_u32_e32 v24, 28, v23
	v_sub_nc_u32_e32 v23, 29, v23
	v_lshlrev_b64 v[24:25], v24, v[67:68]
	v_and_b32_e32 v67, 7, v24
; %bb.312:                              ;   in Loop: Header=BB246_11 Depth=1
	s_or_b32 exec_lo, exec_lo, s41
	v_lshlrev_b32_e32 v24, 16, v29
	v_lshlrev_b32_e32 v25, 20, v67
	v_lshl_add_u32 v23, v23, 23, 0x3c000000
	v_and_b32_e32 v24, 0x80000000, v24
	v_or3_b32 v24, v25, v24, v23
	v_mov_b32_e32 v23, v68
.LBB246_313:                            ;   in Loop: Header=BB246_11 Depth=1
	s_or_b32 exec_lo, exec_lo, s40
.LBB246_314:                            ;   in Loop: Header=BB246_11 Depth=1
	s_or_b32 exec_lo, exec_lo, s39
.LBB246_315:                            ;   in Loop: Header=BB246_11 Depth=1
	s_or_b32 exec_lo, exec_lo, s38
	v_mov_b32_e32 v25, 0
	v_mov_b32_e32 v27, 0
	v_and_b32_sdwa v30, v29, v88 dst_sel:DWORD dst_unused:UNUSED_PAD src0_sel:WORD_1 src1_sel:DWORD
	v_mov_b32_e32 v26, 0
	v_mov_b32_e32 v28, 0
	s_mov_b32 s38, exec_lo
	v_cmpx_ne_u16_e32 0, v30
	s_cbranch_execz .LBB246_323
; %bb.316:                              ;   in Loop: Header=BB246_11 Depth=1
	v_bfrev_b32_e32 v27, 1
	v_mov_b32_e32 v28, 0
	s_mov_b32 s39, exec_lo
	v_cmpx_ne_u16_e32 0x80, v30
	s_cbranch_execz .LBB246_322
; %bb.317:                              ;   in Loop: Header=BB246_11 Depth=1
	v_mov_b32_e32 v27, 0x7f800001
	v_bfe_u32 v30, v29, 16, 7
	v_mov_b32_e32 v28, 0
	s_mov_b32 s40, exec_lo
	v_cmpx_ne_u32_e32 0x7f, v30
	s_cbranch_execz .LBB246_321
; %bb.318:                              ;   in Loop: Header=BB246_11 Depth=1
	v_mov_b32_e32 v27, 7
	s_mov_b32 s41, exec_lo
	v_and_b32_sdwa v67, v29, v27 dst_sel:DWORD dst_unused:UNUSED_PAD src0_sel:WORD_1 src1_sel:DWORD
	v_lshrrev_b32_e32 v27, 3, v30
	v_cmpx_gt_u32_e32 8, v30
; %bb.319:                              ;   in Loop: Header=BB246_11 Depth=1
	v_ffbh_u32_e32 v27, v67
	v_min_u32_e32 v27, 32, v27
	v_subrev_nc_u32_e32 v28, 28, v27
	v_sub_nc_u32_e32 v27, 29, v27
	v_lshlrev_b64 v[30:31], v28, v[67:68]
	v_and_b32_e32 v67, 7, v30
; %bb.320:                              ;   in Loop: Header=BB246_11 Depth=1
	s_or_b32 exec_lo, exec_lo, s41
	v_mov_b32_e32 v28, 24
	v_lshlrev_b32_e32 v30, 20, v67
	v_lshl_add_u32 v27, v27, 23, 0x3c000000
	v_lshlrev_b32_sdwa v28, v28, v29 dst_sel:DWORD dst_unused:UNUSED_PAD src0_sel:DWORD src1_sel:WORD_1
	v_and_b32_e32 v28, 0x80000000, v28
	v_or3_b32 v67, v30, v28, v27
	v_mov_b32_e32 v27, v67
	v_mov_b32_e32 v28, v68
.LBB246_321:                            ;   in Loop: Header=BB246_11 Depth=1
	s_or_b32 exec_lo, exec_lo, s40
.LBB246_322:                            ;   in Loop: Header=BB246_11 Depth=1
	s_or_b32 exec_lo, exec_lo, s39
.LBB246_323:                            ;   in Loop: Header=BB246_11 Depth=1
	s_or_b32 exec_lo, exec_lo, s38
	s_mov_b32 s38, exec_lo
	v_cmpx_lt_u32_e32 0xffffff, v29
	s_cbranch_execz .LBB246_331
; %bb.324:                              ;   in Loop: Header=BB246_11 Depth=1
	v_mov_b32_e32 v83, v68
	v_cmp_ne_u32_sdwa s1, v29, v87 src0_sel:BYTE_3 src1_sel:DWORD
	v_mov_b32_e32 v25, v83
	v_mov_b32_e32 v26, v84
	s_and_saveexec_b32 s39, s1
	s_cbranch_execz .LBB246_330
; %bb.325:                              ;   in Loop: Header=BB246_11 Depth=1
	v_mov_b32_e32 v57, v68
	v_bfe_u32 v30, v29, 24, 7
	s_mov_b32 s40, exec_lo
	v_mov_b32_e32 v25, v57
	v_mov_b32_e32 v26, v58
	v_cmpx_ne_u32_e32 0x7f, v30
	s_cbranch_execz .LBB246_329
; %bb.326:                              ;   in Loop: Header=BB246_11 Depth=1
	v_mov_b32_e32 v25, 7
	s_mov_b32 s41, exec_lo
	v_and_b32_sdwa v67, v29, v25 dst_sel:DWORD dst_unused:UNUSED_PAD src0_sel:BYTE_3 src1_sel:DWORD
	v_lshrrev_b32_e32 v25, 3, v30
	v_cmpx_gt_u32_e32 8, v30
; %bb.327:                              ;   in Loop: Header=BB246_11 Depth=1
	v_ffbh_u32_e32 v25, v67
	v_min_u32_e32 v25, 32, v25
	v_subrev_nc_u32_e32 v26, 28, v25
	v_sub_nc_u32_e32 v25, 29, v25
	v_lshlrev_b64 v[30:31], v26, v[67:68]
	v_and_b32_e32 v67, 7, v30
; %bb.328:                              ;   in Loop: Header=BB246_11 Depth=1
	s_or_b32 exec_lo, exec_lo, s41
	v_mov_b32_e32 v26, 24
	v_lshl_add_u32 v25, v25, 23, 0x3c000000
	v_lshlrev_b32_sdwa v26, v26, v29 dst_sel:DWORD dst_unused:UNUSED_PAD src0_sel:DWORD src1_sel:BYTE_3
	v_lshlrev_b32_e32 v29, 20, v67
	v_and_b32_e32 v26, 0x80000000, v26
	v_or3_b32 v26, v29, v26, v25
	v_mov_b32_e32 v25, v68
.LBB246_329:                            ;   in Loop: Header=BB246_11 Depth=1
	s_or_b32 exec_lo, exec_lo, s40
.LBB246_330:                            ;   in Loop: Header=BB246_11 Depth=1
	s_or_b32 exec_lo, exec_lo, s39
.LBB246_331:                            ;   in Loop: Header=BB246_11 Depth=1
	s_or_b32 exec_lo, exec_lo, s38
	global_load_dword v37, v[93:94], off offset:1032
	v_mov_b32_e32 v31, 0
	v_mov_b32_e32 v29, 0
	;; [unrolled: 1-line block ×4, first 2 shown]
	s_waitcnt vmcnt(0)
	v_cmp_ne_u16_sdwa s1, v37, v68 src0_sel:BYTE_0 src1_sel:DWORD
	s_and_saveexec_b32 s38, s1
	s_cbranch_execz .LBB246_339
; %bb.332:                              ;   in Loop: Header=BB246_11 Depth=1
	v_bfrev_b32_e32 v29, 1
	v_mov_b32_e32 v30, 0
	v_cmp_ne_u16_sdwa s1, v37, v87 src0_sel:BYTE_0 src1_sel:DWORD
	s_and_saveexec_b32 s39, s1
	s_cbranch_execz .LBB246_338
; %bb.333:                              ;   in Loop: Header=BB246_11 Depth=1
	v_mov_b32_e32 v29, 0x7f800001
	v_and_b32_e32 v33, 0x7f, v37
	v_mov_b32_e32 v30, 0
	s_mov_b32 s40, exec_lo
	v_cmpx_ne_u32_e32 0x7f, v33
	s_cbranch_execz .LBB246_337
; %bb.334:                              ;   in Loop: Header=BB246_11 Depth=1
	v_and_b32_e32 v67, 7, v37
	v_lshrrev_b32_e32 v29, 3, v33
	s_mov_b32 s41, exec_lo
	v_cmpx_gt_u32_e32 8, v33
; %bb.335:                              ;   in Loop: Header=BB246_11 Depth=1
	v_ffbh_u32_e32 v29, v67
	v_min_u32_e32 v29, 32, v29
	v_subrev_nc_u32_e32 v30, 28, v29
	v_sub_nc_u32_e32 v29, 29, v29
	v_lshlrev_b64 v[33:34], v30, v[67:68]
	v_and_b32_e32 v67, 7, v33
; %bb.336:                              ;   in Loop: Header=BB246_11 Depth=1
	s_or_b32 exec_lo, exec_lo, s41
	v_lshlrev_b32_e32 v30, 24, v37
	v_lshlrev_b32_e32 v33, 20, v67
	v_lshl_add_u32 v29, v29, 23, 0x3c000000
	v_and_b32_e32 v30, 0x80000000, v30
	v_or3_b32 v67, v33, v30, v29
	v_mov_b32_e32 v29, v67
	v_mov_b32_e32 v30, v68
.LBB246_337:                            ;   in Loop: Header=BB246_11 Depth=1
	s_or_b32 exec_lo, exec_lo, s40
.LBB246_338:                            ;   in Loop: Header=BB246_11 Depth=1
	s_or_b32 exec_lo, exec_lo, s39
.LBB246_339:                            ;   in Loop: Header=BB246_11 Depth=1
	s_or_b32 exec_lo, exec_lo, s38
	v_cmp_ne_u16_sdwa s1, v37, v68 src0_sel:BYTE_1 src1_sel:DWORD
	s_and_saveexec_b32 s38, s1
	s_cbranch_execz .LBB246_347
; %bb.340:                              ;   in Loop: Header=BB246_11 Depth=1
	v_mov_b32_e32 v83, v68
	v_cmp_ne_u16_sdwa s1, v37, v87 src0_sel:BYTE_1 src1_sel:DWORD
	v_mov_b32_e32 v31, v83
	v_mov_b32_e32 v32, v84
	s_and_saveexec_b32 s39, s1
	s_cbranch_execz .LBB246_346
; %bb.341:                              ;   in Loop: Header=BB246_11 Depth=1
	v_mov_b32_e32 v31, 0xffff
	v_mov_b32_e32 v57, v68
	s_mov_b32 s40, exec_lo
	v_and_b32_sdwa v34, v31, v37 dst_sel:DWORD dst_unused:UNUSED_PAD src0_sel:DWORD src1_sel:BYTE_1
	v_mov_b32_e32 v31, v57
	v_mov_b32_e32 v32, v58
	v_and_b32_e32 v33, 0x7f, v34
	v_cmpx_ne_u32_e32 0x7f, v33
	s_cbranch_execz .LBB246_345
; %bb.342:                              ;   in Loop: Header=BB246_11 Depth=1
	v_and_b32_e32 v67, 7, v34
	v_lshrrev_b32_e32 v31, 3, v33
	s_mov_b32 s41, exec_lo
	v_cmpx_gt_u32_e32 8, v33
; %bb.343:                              ;   in Loop: Header=BB246_11 Depth=1
	v_ffbh_u32_e32 v31, v67
	v_min_u32_e32 v31, 32, v31
	v_subrev_nc_u32_e32 v32, 28, v31
	v_sub_nc_u32_e32 v31, 29, v31
	v_lshlrev_b64 v[32:33], v32, v[67:68]
	v_and_b32_e32 v67, 7, v32
; %bb.344:                              ;   in Loop: Header=BB246_11 Depth=1
	s_or_b32 exec_lo, exec_lo, s41
	v_lshlrev_b32_e32 v32, 16, v37
	v_lshlrev_b32_e32 v33, 20, v67
	v_lshl_add_u32 v31, v31, 23, 0x3c000000
	v_and_b32_e32 v32, 0x80000000, v32
	v_or3_b32 v32, v33, v32, v31
	v_mov_b32_e32 v31, v68
.LBB246_345:                            ;   in Loop: Header=BB246_11 Depth=1
	s_or_b32 exec_lo, exec_lo, s40
.LBB246_346:                            ;   in Loop: Header=BB246_11 Depth=1
	s_or_b32 exec_lo, exec_lo, s39
.LBB246_347:                            ;   in Loop: Header=BB246_11 Depth=1
	s_or_b32 exec_lo, exec_lo, s38
	v_mov_b32_e32 v33, 0
	v_mov_b32_e32 v35, 0
	v_and_b32_sdwa v38, v37, v88 dst_sel:DWORD dst_unused:UNUSED_PAD src0_sel:WORD_1 src1_sel:DWORD
	v_mov_b32_e32 v34, 0
	v_mov_b32_e32 v36, 0
	s_mov_b32 s38, exec_lo
	v_cmpx_ne_u16_e32 0, v38
	s_cbranch_execz .LBB246_355
; %bb.348:                              ;   in Loop: Header=BB246_11 Depth=1
	v_bfrev_b32_e32 v35, 1
	v_mov_b32_e32 v36, 0
	s_mov_b32 s39, exec_lo
	v_cmpx_ne_u16_e32 0x80, v38
	s_cbranch_execz .LBB246_354
; %bb.349:                              ;   in Loop: Header=BB246_11 Depth=1
	v_mov_b32_e32 v35, 0x7f800001
	v_bfe_u32 v38, v37, 16, 7
	v_mov_b32_e32 v36, 0
	s_mov_b32 s40, exec_lo
	v_cmpx_ne_u32_e32 0x7f, v38
	s_cbranch_execz .LBB246_353
; %bb.350:                              ;   in Loop: Header=BB246_11 Depth=1
	v_mov_b32_e32 v35, 7
	s_mov_b32 s41, exec_lo
	v_and_b32_sdwa v67, v37, v35 dst_sel:DWORD dst_unused:UNUSED_PAD src0_sel:WORD_1 src1_sel:DWORD
	v_lshrrev_b32_e32 v35, 3, v38
	v_cmpx_gt_u32_e32 8, v38
; %bb.351:                              ;   in Loop: Header=BB246_11 Depth=1
	v_ffbh_u32_e32 v35, v67
	v_min_u32_e32 v35, 32, v35
	v_subrev_nc_u32_e32 v36, 28, v35
	v_sub_nc_u32_e32 v35, 29, v35
	v_lshlrev_b64 v[38:39], v36, v[67:68]
	v_and_b32_e32 v67, 7, v38
; %bb.352:                              ;   in Loop: Header=BB246_11 Depth=1
	s_or_b32 exec_lo, exec_lo, s41
	v_mov_b32_e32 v36, 24
	v_lshlrev_b32_e32 v38, 20, v67
	v_lshl_add_u32 v35, v35, 23, 0x3c000000
	v_lshlrev_b32_sdwa v36, v36, v37 dst_sel:DWORD dst_unused:UNUSED_PAD src0_sel:DWORD src1_sel:WORD_1
	v_and_b32_e32 v36, 0x80000000, v36
	v_or3_b32 v67, v38, v36, v35
	v_mov_b32_e32 v35, v67
	v_mov_b32_e32 v36, v68
.LBB246_353:                            ;   in Loop: Header=BB246_11 Depth=1
	s_or_b32 exec_lo, exec_lo, s40
.LBB246_354:                            ;   in Loop: Header=BB246_11 Depth=1
	s_or_b32 exec_lo, exec_lo, s39
.LBB246_355:                            ;   in Loop: Header=BB246_11 Depth=1
	s_or_b32 exec_lo, exec_lo, s38
	s_mov_b32 s38, exec_lo
	v_cmpx_lt_u32_e32 0xffffff, v37
	s_cbranch_execz .LBB246_363
; %bb.356:                              ;   in Loop: Header=BB246_11 Depth=1
	v_mov_b32_e32 v83, v68
	v_cmp_ne_u32_sdwa s1, v37, v87 src0_sel:BYTE_3 src1_sel:DWORD
	v_mov_b32_e32 v33, v83
	v_mov_b32_e32 v34, v84
	s_and_saveexec_b32 s39, s1
	s_cbranch_execz .LBB246_362
; %bb.357:                              ;   in Loop: Header=BB246_11 Depth=1
	v_mov_b32_e32 v57, v68
	v_bfe_u32 v38, v37, 24, 7
	s_mov_b32 s40, exec_lo
	v_mov_b32_e32 v33, v57
	v_mov_b32_e32 v34, v58
	v_cmpx_ne_u32_e32 0x7f, v38
	s_cbranch_execz .LBB246_361
; %bb.358:                              ;   in Loop: Header=BB246_11 Depth=1
	v_mov_b32_e32 v33, 7
	s_mov_b32 s41, exec_lo
	v_and_b32_sdwa v67, v37, v33 dst_sel:DWORD dst_unused:UNUSED_PAD src0_sel:BYTE_3 src1_sel:DWORD
	v_lshrrev_b32_e32 v33, 3, v38
	v_cmpx_gt_u32_e32 8, v38
; %bb.359:                              ;   in Loop: Header=BB246_11 Depth=1
	v_ffbh_u32_e32 v33, v67
	v_min_u32_e32 v33, 32, v33
	v_subrev_nc_u32_e32 v34, 28, v33
	v_sub_nc_u32_e32 v33, 29, v33
	v_lshlrev_b64 v[38:39], v34, v[67:68]
	v_and_b32_e32 v67, 7, v38
; %bb.360:                              ;   in Loop: Header=BB246_11 Depth=1
	s_or_b32 exec_lo, exec_lo, s41
	v_mov_b32_e32 v34, 24
	v_lshl_add_u32 v33, v33, 23, 0x3c000000
	v_lshlrev_b32_sdwa v34, v34, v37 dst_sel:DWORD dst_unused:UNUSED_PAD src0_sel:DWORD src1_sel:BYTE_3
	v_lshlrev_b32_e32 v37, 20, v67
	v_and_b32_e32 v34, 0x80000000, v34
	v_or3_b32 v34, v37, v34, v33
	v_mov_b32_e32 v33, v68
.LBB246_361:                            ;   in Loop: Header=BB246_11 Depth=1
	s_or_b32 exec_lo, exec_lo, s40
.LBB246_362:                            ;   in Loop: Header=BB246_11 Depth=1
	s_or_b32 exec_lo, exec_lo, s39
.LBB246_363:                            ;   in Loop: Header=BB246_11 Depth=1
	s_or_b32 exec_lo, exec_lo, s38
	global_load_dword v45, v[93:94], off offset:1036
	v_mov_b32_e32 v39, 0
	v_mov_b32_e32 v37, 0
	;; [unrolled: 1-line block ×4, first 2 shown]
	s_waitcnt vmcnt(0)
	v_cmp_ne_u16_sdwa s1, v45, v68 src0_sel:BYTE_0 src1_sel:DWORD
	s_and_saveexec_b32 s38, s1
	s_cbranch_execz .LBB246_371
; %bb.364:                              ;   in Loop: Header=BB246_11 Depth=1
	v_bfrev_b32_e32 v37, 1
	v_mov_b32_e32 v38, 0
	v_cmp_ne_u16_sdwa s1, v45, v87 src0_sel:BYTE_0 src1_sel:DWORD
	s_and_saveexec_b32 s39, s1
	s_cbranch_execz .LBB246_370
; %bb.365:                              ;   in Loop: Header=BB246_11 Depth=1
	v_mov_b32_e32 v37, 0x7f800001
	v_and_b32_e32 v41, 0x7f, v45
	v_mov_b32_e32 v38, 0
	s_mov_b32 s40, exec_lo
	v_cmpx_ne_u32_e32 0x7f, v41
	s_cbranch_execz .LBB246_369
; %bb.366:                              ;   in Loop: Header=BB246_11 Depth=1
	v_and_b32_e32 v67, 7, v45
	v_lshrrev_b32_e32 v37, 3, v41
	s_mov_b32 s41, exec_lo
	v_cmpx_gt_u32_e32 8, v41
; %bb.367:                              ;   in Loop: Header=BB246_11 Depth=1
	v_ffbh_u32_e32 v37, v67
	v_min_u32_e32 v37, 32, v37
	v_subrev_nc_u32_e32 v38, 28, v37
	v_sub_nc_u32_e32 v37, 29, v37
	v_lshlrev_b64 v[41:42], v38, v[67:68]
	v_and_b32_e32 v67, 7, v41
; %bb.368:                              ;   in Loop: Header=BB246_11 Depth=1
	s_or_b32 exec_lo, exec_lo, s41
	v_lshlrev_b32_e32 v38, 24, v45
	v_lshlrev_b32_e32 v41, 20, v67
	v_lshl_add_u32 v37, v37, 23, 0x3c000000
	v_and_b32_e32 v38, 0x80000000, v38
	v_or3_b32 v67, v41, v38, v37
	v_mov_b32_e32 v37, v67
	v_mov_b32_e32 v38, v68
.LBB246_369:                            ;   in Loop: Header=BB246_11 Depth=1
	s_or_b32 exec_lo, exec_lo, s40
.LBB246_370:                            ;   in Loop: Header=BB246_11 Depth=1
	s_or_b32 exec_lo, exec_lo, s39
.LBB246_371:                            ;   in Loop: Header=BB246_11 Depth=1
	s_or_b32 exec_lo, exec_lo, s38
	v_cmp_ne_u16_sdwa s1, v45, v68 src0_sel:BYTE_1 src1_sel:DWORD
	s_and_saveexec_b32 s38, s1
	s_cbranch_execz .LBB246_379
; %bb.372:                              ;   in Loop: Header=BB246_11 Depth=1
	v_mov_b32_e32 v83, v68
	v_cmp_ne_u16_sdwa s1, v45, v87 src0_sel:BYTE_1 src1_sel:DWORD
	v_mov_b32_e32 v39, v83
	v_mov_b32_e32 v40, v84
	s_and_saveexec_b32 s39, s1
	s_cbranch_execz .LBB246_378
; %bb.373:                              ;   in Loop: Header=BB246_11 Depth=1
	v_mov_b32_e32 v39, 0xffff
	v_mov_b32_e32 v57, v68
	s_mov_b32 s40, exec_lo
	v_and_b32_sdwa v42, v39, v45 dst_sel:DWORD dst_unused:UNUSED_PAD src0_sel:DWORD src1_sel:BYTE_1
	v_mov_b32_e32 v39, v57
	v_mov_b32_e32 v40, v58
	v_and_b32_e32 v41, 0x7f, v42
	v_cmpx_ne_u32_e32 0x7f, v41
	s_cbranch_execz .LBB246_377
; %bb.374:                              ;   in Loop: Header=BB246_11 Depth=1
	v_and_b32_e32 v67, 7, v42
	v_lshrrev_b32_e32 v39, 3, v41
	s_mov_b32 s41, exec_lo
	v_cmpx_gt_u32_e32 8, v41
; %bb.375:                              ;   in Loop: Header=BB246_11 Depth=1
	v_ffbh_u32_e32 v39, v67
	v_min_u32_e32 v39, 32, v39
	v_subrev_nc_u32_e32 v40, 28, v39
	v_sub_nc_u32_e32 v39, 29, v39
	v_lshlrev_b64 v[40:41], v40, v[67:68]
	v_and_b32_e32 v67, 7, v40
; %bb.376:                              ;   in Loop: Header=BB246_11 Depth=1
	s_or_b32 exec_lo, exec_lo, s41
	v_lshlrev_b32_e32 v40, 16, v45
	v_lshlrev_b32_e32 v41, 20, v67
	v_lshl_add_u32 v39, v39, 23, 0x3c000000
	v_and_b32_e32 v40, 0x80000000, v40
	v_or3_b32 v40, v41, v40, v39
	v_mov_b32_e32 v39, v68
.LBB246_377:                            ;   in Loop: Header=BB246_11 Depth=1
	s_or_b32 exec_lo, exec_lo, s40
.LBB246_378:                            ;   in Loop: Header=BB246_11 Depth=1
	s_or_b32 exec_lo, exec_lo, s39
.LBB246_379:                            ;   in Loop: Header=BB246_11 Depth=1
	s_or_b32 exec_lo, exec_lo, s38
	v_mov_b32_e32 v41, 0
	v_mov_b32_e32 v43, 0
	v_and_b32_sdwa v46, v45, v88 dst_sel:DWORD dst_unused:UNUSED_PAD src0_sel:WORD_1 src1_sel:DWORD
	v_mov_b32_e32 v42, 0
	v_mov_b32_e32 v44, 0
	s_mov_b32 s38, exec_lo
	v_cmpx_ne_u16_e32 0, v46
	s_cbranch_execz .LBB246_387
; %bb.380:                              ;   in Loop: Header=BB246_11 Depth=1
	v_bfrev_b32_e32 v43, 1
	v_mov_b32_e32 v44, 0
	s_mov_b32 s39, exec_lo
	v_cmpx_ne_u16_e32 0x80, v46
	s_cbranch_execz .LBB246_386
; %bb.381:                              ;   in Loop: Header=BB246_11 Depth=1
	v_mov_b32_e32 v43, 0x7f800001
	v_bfe_u32 v46, v45, 16, 7
	v_mov_b32_e32 v44, 0
	s_mov_b32 s40, exec_lo
	v_cmpx_ne_u32_e32 0x7f, v46
	s_cbranch_execz .LBB246_385
; %bb.382:                              ;   in Loop: Header=BB246_11 Depth=1
	v_mov_b32_e32 v43, 7
	s_mov_b32 s41, exec_lo
	v_and_b32_sdwa v67, v45, v43 dst_sel:DWORD dst_unused:UNUSED_PAD src0_sel:WORD_1 src1_sel:DWORD
	v_lshrrev_b32_e32 v43, 3, v46
	v_cmpx_gt_u32_e32 8, v46
; %bb.383:                              ;   in Loop: Header=BB246_11 Depth=1
	v_ffbh_u32_e32 v43, v67
	v_min_u32_e32 v43, 32, v43
	v_subrev_nc_u32_e32 v44, 28, v43
	v_sub_nc_u32_e32 v43, 29, v43
	v_lshlrev_b64 v[46:47], v44, v[67:68]
	v_and_b32_e32 v67, 7, v46
; %bb.384:                              ;   in Loop: Header=BB246_11 Depth=1
	s_or_b32 exec_lo, exec_lo, s41
	v_mov_b32_e32 v44, 24
	v_lshlrev_b32_e32 v46, 20, v67
	v_lshl_add_u32 v43, v43, 23, 0x3c000000
	v_lshlrev_b32_sdwa v44, v44, v45 dst_sel:DWORD dst_unused:UNUSED_PAD src0_sel:DWORD src1_sel:WORD_1
	v_and_b32_e32 v44, 0x80000000, v44
	v_or3_b32 v67, v46, v44, v43
	v_mov_b32_e32 v43, v67
	v_mov_b32_e32 v44, v68
.LBB246_385:                            ;   in Loop: Header=BB246_11 Depth=1
	s_or_b32 exec_lo, exec_lo, s40
.LBB246_386:                            ;   in Loop: Header=BB246_11 Depth=1
	s_or_b32 exec_lo, exec_lo, s39
.LBB246_387:                            ;   in Loop: Header=BB246_11 Depth=1
	s_or_b32 exec_lo, exec_lo, s38
	s_mov_b32 s38, exec_lo
	v_cmpx_lt_u32_e32 0xffffff, v45
	s_cbranch_execz .LBB246_395
; %bb.388:                              ;   in Loop: Header=BB246_11 Depth=1
	v_mov_b32_e32 v83, v68
	v_cmp_ne_u32_sdwa s1, v45, v87 src0_sel:BYTE_3 src1_sel:DWORD
	v_mov_b32_e32 v41, v83
	v_mov_b32_e32 v42, v84
	s_and_saveexec_b32 s39, s1
	s_cbranch_execz .LBB246_394
; %bb.389:                              ;   in Loop: Header=BB246_11 Depth=1
	v_mov_b32_e32 v57, v68
	v_bfe_u32 v46, v45, 24, 7
	s_mov_b32 s40, exec_lo
	v_mov_b32_e32 v41, v57
	v_mov_b32_e32 v42, v58
	v_cmpx_ne_u32_e32 0x7f, v46
	s_cbranch_execz .LBB246_393
; %bb.390:                              ;   in Loop: Header=BB246_11 Depth=1
	v_mov_b32_e32 v41, 7
	s_mov_b32 s41, exec_lo
	v_and_b32_sdwa v67, v45, v41 dst_sel:DWORD dst_unused:UNUSED_PAD src0_sel:BYTE_3 src1_sel:DWORD
	v_lshrrev_b32_e32 v41, 3, v46
	v_cmpx_gt_u32_e32 8, v46
; %bb.391:                              ;   in Loop: Header=BB246_11 Depth=1
	v_ffbh_u32_e32 v41, v67
	v_min_u32_e32 v41, 32, v41
	v_subrev_nc_u32_e32 v42, 28, v41
	v_sub_nc_u32_e32 v41, 29, v41
	v_lshlrev_b64 v[46:47], v42, v[67:68]
	v_and_b32_e32 v67, 7, v46
; %bb.392:                              ;   in Loop: Header=BB246_11 Depth=1
	s_or_b32 exec_lo, exec_lo, s41
	v_mov_b32_e32 v42, 24
	v_lshl_add_u32 v41, v41, 23, 0x3c000000
	v_lshlrev_b32_sdwa v42, v42, v45 dst_sel:DWORD dst_unused:UNUSED_PAD src0_sel:DWORD src1_sel:BYTE_3
	v_lshlrev_b32_e32 v45, 20, v67
	v_and_b32_e32 v42, 0x80000000, v42
	v_or3_b32 v42, v45, v42, v41
	v_mov_b32_e32 v41, v68
.LBB246_393:                            ;   in Loop: Header=BB246_11 Depth=1
	s_or_b32 exec_lo, exec_lo, s40
.LBB246_394:                            ;   in Loop: Header=BB246_11 Depth=1
	s_or_b32 exec_lo, exec_lo, s39
.LBB246_395:                            ;   in Loop: Header=BB246_11 Depth=1
	s_or_b32 exec_lo, exec_lo, s38
	global_load_dword v53, v[93:94], off offset:1536
	v_mov_b32_e32 v47, 0
	v_mov_b32_e32 v45, 0
	;; [unrolled: 1-line block ×4, first 2 shown]
	s_waitcnt vmcnt(0)
	v_cmp_ne_u16_sdwa s1, v53, v68 src0_sel:BYTE_0 src1_sel:DWORD
	s_and_saveexec_b32 s38, s1
	s_cbranch_execz .LBB246_403
; %bb.396:                              ;   in Loop: Header=BB246_11 Depth=1
	v_bfrev_b32_e32 v45, 1
	v_mov_b32_e32 v46, 0
	v_cmp_ne_u16_sdwa s1, v53, v87 src0_sel:BYTE_0 src1_sel:DWORD
	s_and_saveexec_b32 s39, s1
	s_cbranch_execz .LBB246_402
; %bb.397:                              ;   in Loop: Header=BB246_11 Depth=1
	v_mov_b32_e32 v45, 0x7f800001
	v_and_b32_e32 v49, 0x7f, v53
	v_mov_b32_e32 v46, 0
	s_mov_b32 s40, exec_lo
	v_cmpx_ne_u32_e32 0x7f, v49
	s_cbranch_execz .LBB246_401
; %bb.398:                              ;   in Loop: Header=BB246_11 Depth=1
	v_and_b32_e32 v67, 7, v53
	v_lshrrev_b32_e32 v45, 3, v49
	s_mov_b32 s41, exec_lo
	v_cmpx_gt_u32_e32 8, v49
; %bb.399:                              ;   in Loop: Header=BB246_11 Depth=1
	v_ffbh_u32_e32 v45, v67
	v_min_u32_e32 v45, 32, v45
	v_subrev_nc_u32_e32 v46, 28, v45
	v_sub_nc_u32_e32 v45, 29, v45
	v_lshlrev_b64 v[49:50], v46, v[67:68]
	v_and_b32_e32 v67, 7, v49
; %bb.400:                              ;   in Loop: Header=BB246_11 Depth=1
	s_or_b32 exec_lo, exec_lo, s41
	v_lshlrev_b32_e32 v46, 24, v53
	v_lshlrev_b32_e32 v49, 20, v67
	v_lshl_add_u32 v45, v45, 23, 0x3c000000
	v_and_b32_e32 v46, 0x80000000, v46
	v_or3_b32 v67, v49, v46, v45
	v_mov_b32_e32 v45, v67
	v_mov_b32_e32 v46, v68
.LBB246_401:                            ;   in Loop: Header=BB246_11 Depth=1
	s_or_b32 exec_lo, exec_lo, s40
.LBB246_402:                            ;   in Loop: Header=BB246_11 Depth=1
	s_or_b32 exec_lo, exec_lo, s39
.LBB246_403:                            ;   in Loop: Header=BB246_11 Depth=1
	s_or_b32 exec_lo, exec_lo, s38
	v_cmp_ne_u16_sdwa s1, v53, v68 src0_sel:BYTE_1 src1_sel:DWORD
	s_and_saveexec_b32 s38, s1
	s_cbranch_execz .LBB246_411
; %bb.404:                              ;   in Loop: Header=BB246_11 Depth=1
	v_mov_b32_e32 v83, v68
	v_cmp_ne_u16_sdwa s1, v53, v87 src0_sel:BYTE_1 src1_sel:DWORD
	v_mov_b32_e32 v47, v83
	v_mov_b32_e32 v48, v84
	s_and_saveexec_b32 s39, s1
	s_cbranch_execz .LBB246_410
; %bb.405:                              ;   in Loop: Header=BB246_11 Depth=1
	v_mov_b32_e32 v47, 0xffff
	v_mov_b32_e32 v57, v68
	s_mov_b32 s40, exec_lo
	v_and_b32_sdwa v50, v47, v53 dst_sel:DWORD dst_unused:UNUSED_PAD src0_sel:DWORD src1_sel:BYTE_1
	v_mov_b32_e32 v47, v57
	v_mov_b32_e32 v48, v58
	v_and_b32_e32 v49, 0x7f, v50
	v_cmpx_ne_u32_e32 0x7f, v49
	s_cbranch_execz .LBB246_409
; %bb.406:                              ;   in Loop: Header=BB246_11 Depth=1
	v_and_b32_e32 v67, 7, v50
	v_lshrrev_b32_e32 v47, 3, v49
	s_mov_b32 s41, exec_lo
	v_cmpx_gt_u32_e32 8, v49
; %bb.407:                              ;   in Loop: Header=BB246_11 Depth=1
	v_ffbh_u32_e32 v47, v67
	v_min_u32_e32 v47, 32, v47
	v_subrev_nc_u32_e32 v48, 28, v47
	v_sub_nc_u32_e32 v47, 29, v47
	v_lshlrev_b64 v[48:49], v48, v[67:68]
	v_and_b32_e32 v67, 7, v48
; %bb.408:                              ;   in Loop: Header=BB246_11 Depth=1
	s_or_b32 exec_lo, exec_lo, s41
	v_lshlrev_b32_e32 v48, 16, v53
	v_lshlrev_b32_e32 v49, 20, v67
	v_lshl_add_u32 v47, v47, 23, 0x3c000000
	v_and_b32_e32 v48, 0x80000000, v48
	v_or3_b32 v48, v49, v48, v47
	v_mov_b32_e32 v47, v68
.LBB246_409:                            ;   in Loop: Header=BB246_11 Depth=1
	s_or_b32 exec_lo, exec_lo, s40
.LBB246_410:                            ;   in Loop: Header=BB246_11 Depth=1
	s_or_b32 exec_lo, exec_lo, s39
.LBB246_411:                            ;   in Loop: Header=BB246_11 Depth=1
	s_or_b32 exec_lo, exec_lo, s38
	v_mov_b32_e32 v49, 0
	v_mov_b32_e32 v51, 0
	v_and_b32_sdwa v54, v53, v88 dst_sel:DWORD dst_unused:UNUSED_PAD src0_sel:WORD_1 src1_sel:DWORD
	v_mov_b32_e32 v50, 0
	v_mov_b32_e32 v52, 0
	s_mov_b32 s38, exec_lo
	v_cmpx_ne_u16_e32 0, v54
	s_cbranch_execz .LBB246_419
; %bb.412:                              ;   in Loop: Header=BB246_11 Depth=1
	v_bfrev_b32_e32 v51, 1
	v_mov_b32_e32 v52, 0
	s_mov_b32 s39, exec_lo
	v_cmpx_ne_u16_e32 0x80, v54
	s_cbranch_execz .LBB246_418
; %bb.413:                              ;   in Loop: Header=BB246_11 Depth=1
	v_mov_b32_e32 v51, 0x7f800001
	v_bfe_u32 v54, v53, 16, 7
	v_mov_b32_e32 v52, 0
	s_mov_b32 s40, exec_lo
	v_cmpx_ne_u32_e32 0x7f, v54
	s_cbranch_execz .LBB246_417
; %bb.414:                              ;   in Loop: Header=BB246_11 Depth=1
	v_mov_b32_e32 v51, 7
	s_mov_b32 s41, exec_lo
	v_and_b32_sdwa v67, v53, v51 dst_sel:DWORD dst_unused:UNUSED_PAD src0_sel:WORD_1 src1_sel:DWORD
	v_lshrrev_b32_e32 v51, 3, v54
	v_cmpx_gt_u32_e32 8, v54
; %bb.415:                              ;   in Loop: Header=BB246_11 Depth=1
	v_ffbh_u32_e32 v51, v67
	v_min_u32_e32 v51, 32, v51
	v_subrev_nc_u32_e32 v52, 28, v51
	v_sub_nc_u32_e32 v51, 29, v51
	v_lshlrev_b64 v[54:55], v52, v[67:68]
	v_and_b32_e32 v67, 7, v54
; %bb.416:                              ;   in Loop: Header=BB246_11 Depth=1
	s_or_b32 exec_lo, exec_lo, s41
	v_mov_b32_e32 v52, 24
	v_lshlrev_b32_e32 v54, 20, v67
	v_lshl_add_u32 v51, v51, 23, 0x3c000000
	v_lshlrev_b32_sdwa v52, v52, v53 dst_sel:DWORD dst_unused:UNUSED_PAD src0_sel:DWORD src1_sel:WORD_1
	v_and_b32_e32 v52, 0x80000000, v52
	v_or3_b32 v67, v54, v52, v51
	v_mov_b32_e32 v51, v67
	v_mov_b32_e32 v52, v68
.LBB246_417:                            ;   in Loop: Header=BB246_11 Depth=1
	s_or_b32 exec_lo, exec_lo, s40
.LBB246_418:                            ;   in Loop: Header=BB246_11 Depth=1
	s_or_b32 exec_lo, exec_lo, s39
.LBB246_419:                            ;   in Loop: Header=BB246_11 Depth=1
	s_or_b32 exec_lo, exec_lo, s38
	s_mov_b32 s38, exec_lo
	v_cmpx_lt_u32_e32 0xffffff, v53
	s_cbranch_execz .LBB246_427
; %bb.420:                              ;   in Loop: Header=BB246_11 Depth=1
	v_mov_b32_e32 v83, v68
	v_cmp_ne_u32_sdwa s1, v53, v87 src0_sel:BYTE_3 src1_sel:DWORD
	v_mov_b32_e32 v49, v83
	v_mov_b32_e32 v50, v84
	s_and_saveexec_b32 s39, s1
	s_cbranch_execz .LBB246_426
; %bb.421:                              ;   in Loop: Header=BB246_11 Depth=1
	v_mov_b32_e32 v57, v68
	v_bfe_u32 v54, v53, 24, 7
	s_mov_b32 s40, exec_lo
	v_mov_b32_e32 v49, v57
	v_mov_b32_e32 v50, v58
	v_cmpx_ne_u32_e32 0x7f, v54
	s_cbranch_execz .LBB246_425
; %bb.422:                              ;   in Loop: Header=BB246_11 Depth=1
	v_mov_b32_e32 v49, 7
	s_mov_b32 s41, exec_lo
	v_and_b32_sdwa v67, v53, v49 dst_sel:DWORD dst_unused:UNUSED_PAD src0_sel:BYTE_3 src1_sel:DWORD
	v_lshrrev_b32_e32 v49, 3, v54
	v_cmpx_gt_u32_e32 8, v54
; %bb.423:                              ;   in Loop: Header=BB246_11 Depth=1
	v_ffbh_u32_e32 v49, v67
	v_min_u32_e32 v49, 32, v49
	v_subrev_nc_u32_e32 v50, 28, v49
	v_sub_nc_u32_e32 v49, 29, v49
	v_lshlrev_b64 v[54:55], v50, v[67:68]
	v_and_b32_e32 v67, 7, v54
; %bb.424:                              ;   in Loop: Header=BB246_11 Depth=1
	s_or_b32 exec_lo, exec_lo, s41
	v_mov_b32_e32 v50, 24
	v_lshl_add_u32 v49, v49, 23, 0x3c000000
	v_lshlrev_b32_sdwa v50, v50, v53 dst_sel:DWORD dst_unused:UNUSED_PAD src0_sel:DWORD src1_sel:BYTE_3
	v_lshlrev_b32_e32 v53, 20, v67
	v_and_b32_e32 v50, 0x80000000, v50
	v_or3_b32 v50, v53, v50, v49
	v_mov_b32_e32 v49, v68
.LBB246_425:                            ;   in Loop: Header=BB246_11 Depth=1
	s_or_b32 exec_lo, exec_lo, s40
.LBB246_426:                            ;   in Loop: Header=BB246_11 Depth=1
	s_or_b32 exec_lo, exec_lo, s39
.LBB246_427:                            ;   in Loop: Header=BB246_11 Depth=1
	s_or_b32 exec_lo, exec_lo, s38
	global_load_dword v61, v[93:94], off offset:1540
	v_mov_b32_e32 v55, 0
	v_mov_b32_e32 v53, 0
	;; [unrolled: 1-line block ×4, first 2 shown]
	s_waitcnt vmcnt(0)
	v_cmp_ne_u16_sdwa s1, v61, v68 src0_sel:BYTE_0 src1_sel:DWORD
	s_and_saveexec_b32 s38, s1
	s_cbranch_execz .LBB246_435
; %bb.428:                              ;   in Loop: Header=BB246_11 Depth=1
	v_bfrev_b32_e32 v53, 1
	v_mov_b32_e32 v54, 0
	v_cmp_ne_u16_sdwa s1, v61, v87 src0_sel:BYTE_0 src1_sel:DWORD
	s_and_saveexec_b32 s39, s1
	s_cbranch_execz .LBB246_434
; %bb.429:                              ;   in Loop: Header=BB246_11 Depth=1
	v_mov_b32_e32 v53, 0x7f800001
	v_and_b32_e32 v57, 0x7f, v61
	v_mov_b32_e32 v54, 0
	s_mov_b32 s40, exec_lo
	v_cmpx_ne_u32_e32 0x7f, v57
	s_cbranch_execz .LBB246_433
; %bb.430:                              ;   in Loop: Header=BB246_11 Depth=1
	v_and_b32_e32 v67, 7, v61
	v_lshrrev_b32_e32 v53, 3, v57
	s_mov_b32 s41, exec_lo
	v_cmpx_gt_u32_e32 8, v57
; %bb.431:                              ;   in Loop: Header=BB246_11 Depth=1
	v_ffbh_u32_e32 v53, v67
	v_min_u32_e32 v53, 32, v53
	v_subrev_nc_u32_e32 v54, 28, v53
	v_sub_nc_u32_e32 v53, 29, v53
	v_lshlrev_b64 v[59:60], v54, v[67:68]
	v_and_b32_e32 v67, 7, v59
; %bb.432:                              ;   in Loop: Header=BB246_11 Depth=1
	s_or_b32 exec_lo, exec_lo, s41
	v_lshlrev_b32_e32 v54, 24, v61
	v_lshlrev_b32_e32 v57, 20, v67
	v_lshl_add_u32 v53, v53, 23, 0x3c000000
	v_and_b32_e32 v54, 0x80000000, v54
	v_or3_b32 v67, v57, v54, v53
	v_mov_b32_e32 v53, v67
	v_mov_b32_e32 v54, v68
.LBB246_433:                            ;   in Loop: Header=BB246_11 Depth=1
	s_or_b32 exec_lo, exec_lo, s40
.LBB246_434:                            ;   in Loop: Header=BB246_11 Depth=1
	s_or_b32 exec_lo, exec_lo, s39
.LBB246_435:                            ;   in Loop: Header=BB246_11 Depth=1
	s_or_b32 exec_lo, exec_lo, s38
	v_cmp_ne_u16_sdwa s1, v61, v68 src0_sel:BYTE_1 src1_sel:DWORD
	s_and_saveexec_b32 s38, s1
	s_cbranch_execz .LBB246_443
; %bb.436:                              ;   in Loop: Header=BB246_11 Depth=1
	v_mov_b32_e32 v83, v68
	v_cmp_ne_u16_sdwa s1, v61, v87 src0_sel:BYTE_1 src1_sel:DWORD
	v_mov_b32_e32 v55, v83
	v_mov_b32_e32 v56, v84
	s_and_saveexec_b32 s39, s1
	s_cbranch_execz .LBB246_442
; %bb.437:                              ;   in Loop: Header=BB246_11 Depth=1
	v_mov_b32_e32 v55, 0xffff
	v_mov_b32_e32 v57, v68
	s_mov_b32 s40, exec_lo
	v_and_b32_sdwa v60, v55, v61 dst_sel:DWORD dst_unused:UNUSED_PAD src0_sel:DWORD src1_sel:BYTE_1
	v_mov_b32_e32 v55, v57
	v_mov_b32_e32 v56, v58
	v_and_b32_e32 v59, 0x7f, v60
	v_cmpx_ne_u32_e32 0x7f, v59
	s_cbranch_execz .LBB246_441
; %bb.438:                              ;   in Loop: Header=BB246_11 Depth=1
	v_and_b32_e32 v67, 7, v60
	v_lshrrev_b32_e32 v55, 3, v59
	s_mov_b32 s41, exec_lo
	v_cmpx_gt_u32_e32 8, v59
; %bb.439:                              ;   in Loop: Header=BB246_11 Depth=1
	v_ffbh_u32_e32 v55, v67
	v_min_u32_e32 v55, 32, v55
	v_subrev_nc_u32_e32 v56, 28, v55
	v_sub_nc_u32_e32 v55, 29, v55
	v_lshlrev_b64 v[56:57], v56, v[67:68]
	v_and_b32_e32 v67, 7, v56
; %bb.440:                              ;   in Loop: Header=BB246_11 Depth=1
	s_or_b32 exec_lo, exec_lo, s41
	v_lshlrev_b32_e32 v56, 16, v61
	v_lshlrev_b32_e32 v57, 20, v67
	v_lshl_add_u32 v55, v55, 23, 0x3c000000
	v_and_b32_e32 v56, 0x80000000, v56
	v_or3_b32 v56, v57, v56, v55
	v_mov_b32_e32 v55, v68
.LBB246_441:                            ;   in Loop: Header=BB246_11 Depth=1
	s_or_b32 exec_lo, exec_lo, s40
.LBB246_442:                            ;   in Loop: Header=BB246_11 Depth=1
	s_or_b32 exec_lo, exec_lo, s39
.LBB246_443:                            ;   in Loop: Header=BB246_11 Depth=1
	s_or_b32 exec_lo, exec_lo, s38
	v_mov_b32_e32 v75, 0
	v_mov_b32_e32 v59, 0
	v_and_b32_sdwa v57, v61, v88 dst_sel:DWORD dst_unused:UNUSED_PAD src0_sel:WORD_1 src1_sel:DWORD
	v_mov_b32_e32 v76, 0
	v_mov_b32_e32 v60, 0
	s_mov_b32 s38, exec_lo
	v_cmpx_ne_u16_e32 0, v57
	s_cbranch_execz .LBB246_451
; %bb.444:                              ;   in Loop: Header=BB246_11 Depth=1
	v_bfrev_b32_e32 v59, 1
	v_mov_b32_e32 v60, 0
	s_mov_b32 s39, exec_lo
	v_cmpx_ne_u16_e32 0x80, v57
	s_cbranch_execz .LBB246_450
; %bb.445:                              ;   in Loop: Header=BB246_11 Depth=1
	v_mov_b32_e32 v59, 0x7f800001
	v_bfe_u32 v62, v61, 16, 7
	v_mov_b32_e32 v60, 0
	s_mov_b32 s40, exec_lo
	v_cmpx_ne_u32_e32 0x7f, v62
	s_cbranch_execz .LBB246_449
; %bb.446:                              ;   in Loop: Header=BB246_11 Depth=1
	v_mov_b32_e32 v57, 7
	s_mov_b32 s41, exec_lo
	v_and_b32_sdwa v67, v61, v57 dst_sel:DWORD dst_unused:UNUSED_PAD src0_sel:WORD_1 src1_sel:DWORD
	v_lshrrev_b32_e32 v57, 3, v62
	v_cmpx_gt_u32_e32 8, v62
; %bb.447:                              ;   in Loop: Header=BB246_11 Depth=1
	v_ffbh_u32_e32 v57, v67
	v_min_u32_e32 v57, 32, v57
	v_subrev_nc_u32_e32 v59, 28, v57
	v_sub_nc_u32_e32 v57, 29, v57
	v_lshlrev_b64 v[59:60], v59, v[67:68]
	v_and_b32_e32 v67, 7, v59
; %bb.448:                              ;   in Loop: Header=BB246_11 Depth=1
	s_or_b32 exec_lo, exec_lo, s41
	v_mov_b32_e32 v59, 24
	v_lshlrev_b32_e32 v60, 20, v67
	v_lshl_add_u32 v57, v57, 23, 0x3c000000
	v_lshlrev_b32_sdwa v59, v59, v61 dst_sel:DWORD dst_unused:UNUSED_PAD src0_sel:DWORD src1_sel:WORD_1
	v_and_b32_e32 v59, 0x80000000, v59
	v_or3_b32 v67, v60, v59, v57
	v_mov_b32_e32 v59, v67
	v_mov_b32_e32 v60, v68
.LBB246_449:                            ;   in Loop: Header=BB246_11 Depth=1
	s_or_b32 exec_lo, exec_lo, s40
.LBB246_450:                            ;   in Loop: Header=BB246_11 Depth=1
	s_or_b32 exec_lo, exec_lo, s39
.LBB246_451:                            ;   in Loop: Header=BB246_11 Depth=1
	s_or_b32 exec_lo, exec_lo, s38
	s_mov_b32 s38, exec_lo
	v_cmpx_lt_u32_e32 0xffffff, v61
	s_cbranch_execz .LBB246_459
; %bb.452:                              ;   in Loop: Header=BB246_11 Depth=1
	v_mov_b32_e32 v83, v68
	v_cmp_ne_u32_sdwa s1, v61, v87 src0_sel:BYTE_3 src1_sel:DWORD
	v_mov_b32_e32 v75, v83
	v_mov_b32_e32 v76, v84
	s_and_saveexec_b32 s39, s1
	s_cbranch_execz .LBB246_458
; %bb.453:                              ;   in Loop: Header=BB246_11 Depth=1
	v_mov_b32_e32 v57, v68
	v_mov_b32_e32 v76, v58
	v_bfe_u32 v62, v61, 24, 7
	s_mov_b32 s40, exec_lo
	v_mov_b32_e32 v75, v57
	v_cmpx_ne_u32_e32 0x7f, v62
	s_cbranch_execz .LBB246_457
; %bb.454:                              ;   in Loop: Header=BB246_11 Depth=1
	v_mov_b32_e32 v57, 7
	s_mov_b32 s41, exec_lo
	v_and_b32_sdwa v67, v61, v57 dst_sel:DWORD dst_unused:UNUSED_PAD src0_sel:BYTE_3 src1_sel:DWORD
	v_lshrrev_b32_e32 v57, 3, v62
	v_cmpx_gt_u32_e32 8, v62
; %bb.455:                              ;   in Loop: Header=BB246_11 Depth=1
	v_ffbh_u32_e32 v57, v67
	v_min_u32_e32 v57, 32, v57
	v_subrev_nc_u32_e32 v62, 28, v57
	v_sub_nc_u32_e32 v57, 29, v57
	v_lshlrev_b64 v[62:63], v62, v[67:68]
	v_and_b32_e32 v67, 7, v62
; %bb.456:                              ;   in Loop: Header=BB246_11 Depth=1
	s_or_b32 exec_lo, exec_lo, s41
	v_mov_b32_e32 v62, 24
	v_lshl_add_u32 v57, v57, 23, 0x3c000000
	v_mov_b32_e32 v75, v68
	v_lshlrev_b32_sdwa v61, v62, v61 dst_sel:DWORD dst_unused:UNUSED_PAD src0_sel:DWORD src1_sel:BYTE_3
	v_lshlrev_b32_e32 v62, 20, v67
	v_and_b32_e32 v61, 0x80000000, v61
	v_or3_b32 v76, v62, v61, v57
.LBB246_457:                            ;   in Loop: Header=BB246_11 Depth=1
	s_or_b32 exec_lo, exec_lo, s40
.LBB246_458:                            ;   in Loop: Header=BB246_11 Depth=1
	s_or_b32 exec_lo, exec_lo, s39
.LBB246_459:                            ;   in Loop: Header=BB246_11 Depth=1
	s_or_b32 exec_lo, exec_lo, s38
	global_load_dword v77, v[93:94], off offset:1544
	v_mov_b32_e32 v63, 0
	v_mov_b32_e32 v61, 0
	;; [unrolled: 1-line block ×4, first 2 shown]
	s_waitcnt vmcnt(0)
	v_cmp_ne_u16_sdwa s1, v77, v68 src0_sel:BYTE_0 src1_sel:DWORD
	s_and_saveexec_b32 s38, s1
	s_cbranch_execz .LBB246_467
; %bb.460:                              ;   in Loop: Header=BB246_11 Depth=1
	v_bfrev_b32_e32 v61, 1
	v_mov_b32_e32 v62, 0
	v_cmp_ne_u16_sdwa s1, v77, v87 src0_sel:BYTE_0 src1_sel:DWORD
	s_and_saveexec_b32 s39, s1
	s_cbranch_execz .LBB246_466
; %bb.461:                              ;   in Loop: Header=BB246_11 Depth=1
	v_mov_b32_e32 v61, 0x7f800001
	v_and_b32_e32 v73, 0x7f, v77
	v_mov_b32_e32 v62, 0
	s_mov_b32 s40, exec_lo
	v_cmpx_ne_u32_e32 0x7f, v73
	s_cbranch_execz .LBB246_465
; %bb.462:                              ;   in Loop: Header=BB246_11 Depth=1
	v_and_b32_e32 v67, 7, v77
	v_lshrrev_b32_e32 v57, 3, v73
	s_mov_b32 s41, exec_lo
	v_cmpx_gt_u32_e32 8, v73
; %bb.463:                              ;   in Loop: Header=BB246_11 Depth=1
	v_ffbh_u32_e32 v57, v67
	v_min_u32_e32 v57, 32, v57
	v_subrev_nc_u32_e32 v61, 28, v57
	v_sub_nc_u32_e32 v57, 29, v57
	v_lshlrev_b64 v[61:62], v61, v[67:68]
	v_and_b32_e32 v67, 7, v61
; %bb.464:                              ;   in Loop: Header=BB246_11 Depth=1
	s_or_b32 exec_lo, exec_lo, s41
	v_lshlrev_b32_e32 v61, 24, v77
	v_lshlrev_b32_e32 v62, 20, v67
	v_lshl_add_u32 v57, v57, 23, 0x3c000000
	v_and_b32_e32 v61, 0x80000000, v61
	v_or3_b32 v67, v62, v61, v57
	v_mov_b32_e32 v61, v67
	v_mov_b32_e32 v62, v68
.LBB246_465:                            ;   in Loop: Header=BB246_11 Depth=1
	s_or_b32 exec_lo, exec_lo, s40
.LBB246_466:                            ;   in Loop: Header=BB246_11 Depth=1
	s_or_b32 exec_lo, exec_lo, s39
.LBB246_467:                            ;   in Loop: Header=BB246_11 Depth=1
	s_or_b32 exec_lo, exec_lo, s38
	v_cmp_ne_u16_sdwa s1, v77, v68 src0_sel:BYTE_1 src1_sel:DWORD
	s_and_saveexec_b32 s38, s1
	s_cbranch_execz .LBB246_475
; %bb.468:                              ;   in Loop: Header=BB246_11 Depth=1
	v_mov_b32_e32 v83, v68
	v_cmp_ne_u16_sdwa s1, v77, v87 src0_sel:BYTE_1 src1_sel:DWORD
	v_mov_b32_e32 v63, v83
	v_mov_b32_e32 v64, v84
	s_and_saveexec_b32 s39, s1
	s_cbranch_execz .LBB246_474
; %bb.469:                              ;   in Loop: Header=BB246_11 Depth=1
	v_mov_b32_e32 v57, 0xffff
	s_mov_b32 s40, exec_lo
	v_and_b32_sdwa v67, v57, v77 dst_sel:DWORD dst_unused:UNUSED_PAD src0_sel:DWORD src1_sel:BYTE_1
	v_mov_b32_e32 v57, v68
	v_mov_b32_e32 v64, v58
	v_and_b32_e32 v73, 0x7f, v67
	v_mov_b32_e32 v63, v57
	v_cmpx_ne_u32_e32 0x7f, v73
	s_cbranch_execz .LBB246_473
; %bb.470:                              ;   in Loop: Header=BB246_11 Depth=1
	v_and_b32_e32 v67, 7, v67
	v_lshrrev_b32_e32 v57, 3, v73
	s_mov_b32 s41, exec_lo
	v_cmpx_gt_u32_e32 8, v73
; %bb.471:                              ;   in Loop: Header=BB246_11 Depth=1
	v_ffbh_u32_e32 v57, v67
	v_min_u32_e32 v57, 32, v57
	v_subrev_nc_u32_e32 v63, 28, v57
	v_sub_nc_u32_e32 v57, 29, v57
	v_lshlrev_b64 v[63:64], v63, v[67:68]
	v_and_b32_e32 v67, 7, v63
; %bb.472:                              ;   in Loop: Header=BB246_11 Depth=1
	s_or_b32 exec_lo, exec_lo, s41
	v_lshlrev_b32_e32 v63, 16, v77
	v_lshlrev_b32_e32 v64, 20, v67
	v_lshl_add_u32 v57, v57, 23, 0x3c000000
	v_and_b32_e32 v63, 0x80000000, v63
	v_or3_b32 v64, v64, v63, v57
	v_mov_b32_e32 v63, v68
.LBB246_473:                            ;   in Loop: Header=BB246_11 Depth=1
	s_or_b32 exec_lo, exec_lo, s40
.LBB246_474:                            ;   in Loop: Header=BB246_11 Depth=1
	s_or_b32 exec_lo, exec_lo, s39
.LBB246_475:                            ;   in Loop: Header=BB246_11 Depth=1
	s_or_b32 exec_lo, exec_lo, s38
	v_mov_b32_e32 v73, 0
	v_mov_b32_e32 v81, 0
	v_and_b32_sdwa v57, v77, v88 dst_sel:DWORD dst_unused:UNUSED_PAD src0_sel:WORD_1 src1_sel:DWORD
	v_mov_b32_e32 v74, 0
	v_mov_b32_e32 v82, 0
	s_mov_b32 s38, exec_lo
	v_cmpx_ne_u16_e32 0, v57
	s_cbranch_execz .LBB246_483
; %bb.476:                              ;   in Loop: Header=BB246_11 Depth=1
	v_bfrev_b32_e32 v81, 1
	v_mov_b32_e32 v82, 0
	s_mov_b32 s39, exec_lo
	v_cmpx_ne_u16_e32 0x80, v57
	s_cbranch_execz .LBB246_482
; %bb.477:                              ;   in Loop: Header=BB246_11 Depth=1
	v_mov_b32_e32 v81, 0x7f800001
	v_bfe_u32 v78, v77, 16, 7
	v_mov_b32_e32 v82, 0
	s_mov_b32 s40, exec_lo
	v_cmpx_ne_u32_e32 0x7f, v78
	s_cbranch_execz .LBB246_481
; %bb.478:                              ;   in Loop: Header=BB246_11 Depth=1
	v_mov_b32_e32 v57, 7
	s_mov_b32 s41, exec_lo
	v_and_b32_sdwa v67, v77, v57 dst_sel:DWORD dst_unused:UNUSED_PAD src0_sel:WORD_1 src1_sel:DWORD
	v_lshrrev_b32_e32 v57, 3, v78
	v_cmpx_gt_u32_e32 8, v78
; %bb.479:                              ;   in Loop: Header=BB246_11 Depth=1
	v_ffbh_u32_e32 v57, v67
	v_min_u32_e32 v57, 32, v57
	v_subrev_nc_u32_e32 v78, 28, v57
	v_sub_nc_u32_e32 v57, 29, v57
	v_lshlrev_b64 v[78:79], v78, v[67:68]
	v_and_b32_e32 v67, 7, v78
; %bb.480:                              ;   in Loop: Header=BB246_11 Depth=1
	s_or_b32 exec_lo, exec_lo, s41
	v_mov_b32_e32 v78, 24
	v_lshlrev_b32_e32 v67, 20, v67
	v_lshl_add_u32 v57, v57, 23, 0x3c000000
	v_lshlrev_b32_sdwa v78, v78, v77 dst_sel:DWORD dst_unused:UNUSED_PAD src0_sel:DWORD src1_sel:WORD_1
	v_and_b32_e32 v78, 0x80000000, v78
	v_or3_b32 v67, v67, v78, v57
	v_mov_b32_e32 v82, v68
	v_mov_b32_e32 v81, v67
.LBB246_481:                            ;   in Loop: Header=BB246_11 Depth=1
	s_or_b32 exec_lo, exec_lo, s40
.LBB246_482:                            ;   in Loop: Header=BB246_11 Depth=1
	s_or_b32 exec_lo, exec_lo, s39
.LBB246_483:                            ;   in Loop: Header=BB246_11 Depth=1
	s_or_b32 exec_lo, exec_lo, s38
	s_mov_b32 s38, exec_lo
	v_cmpx_lt_u32_e32 0xffffff, v77
	s_cbranch_execz .LBB246_491
; %bb.484:                              ;   in Loop: Header=BB246_11 Depth=1
	v_mov_b32_e32 v83, v68
	v_cmp_ne_u32_sdwa s1, v77, v87 src0_sel:BYTE_3 src1_sel:DWORD
	v_mov_b32_e32 v73, v83
	v_mov_b32_e32 v74, v84
	s_and_saveexec_b32 s39, s1
	s_cbranch_execz .LBB246_490
; %bb.485:                              ;   in Loop: Header=BB246_11 Depth=1
	v_mov_b32_e32 v57, v68
	v_mov_b32_e32 v74, v58
	v_bfe_u32 v78, v77, 24, 7
	s_mov_b32 s40, exec_lo
	v_mov_b32_e32 v73, v57
	v_cmpx_ne_u32_e32 0x7f, v78
	s_cbranch_execz .LBB246_489
; %bb.486:                              ;   in Loop: Header=BB246_11 Depth=1
	v_mov_b32_e32 v57, 7
	s_mov_b32 s41, exec_lo
	v_and_b32_sdwa v67, v77, v57 dst_sel:DWORD dst_unused:UNUSED_PAD src0_sel:BYTE_3 src1_sel:DWORD
	v_lshrrev_b32_e32 v57, 3, v78
	v_cmpx_gt_u32_e32 8, v78
; %bb.487:                              ;   in Loop: Header=BB246_11 Depth=1
	v_ffbh_u32_e32 v57, v67
	v_min_u32_e32 v57, 32, v57
	v_subrev_nc_u32_e32 v73, 28, v57
	v_sub_nc_u32_e32 v57, 29, v57
	v_lshlrev_b64 v[73:74], v73, v[67:68]
	v_and_b32_e32 v67, 7, v73
; %bb.488:                              ;   in Loop: Header=BB246_11 Depth=1
	s_or_b32 exec_lo, exec_lo, s41
	v_mov_b32_e32 v73, 24
	v_lshlrev_b32_e32 v67, 20, v67
	v_lshl_add_u32 v57, v57, 23, 0x3c000000
	v_lshlrev_b32_sdwa v73, v73, v77 dst_sel:DWORD dst_unused:UNUSED_PAD src0_sel:DWORD src1_sel:BYTE_3
	v_and_b32_e32 v73, 0x80000000, v73
	v_or3_b32 v74, v67, v73, v57
	v_mov_b32_e32 v73, v68
.LBB246_489:                            ;   in Loop: Header=BB246_11 Depth=1
	s_or_b32 exec_lo, exec_lo, s40
.LBB246_490:                            ;   in Loop: Header=BB246_11 Depth=1
	s_or_b32 exec_lo, exec_lo, s39
.LBB246_491:                            ;   in Loop: Header=BB246_11 Depth=1
	s_or_b32 exec_lo, exec_lo, s38
	global_load_dword v95, v[93:94], off offset:1548
	v_mov_b32_e32 v79, 0
	v_mov_b32_e32 v93, 0
	;; [unrolled: 1-line block ×4, first 2 shown]
	s_waitcnt vmcnt(0)
	v_cmp_ne_u16_sdwa s1, v95, v68 src0_sel:BYTE_0 src1_sel:DWORD
	s_and_saveexec_b32 s38, s1
	s_cbranch_execz .LBB246_499
; %bb.492:                              ;   in Loop: Header=BB246_11 Depth=1
	v_bfrev_b32_e32 v93, 1
	v_mov_b32_e32 v94, 0
	v_cmp_ne_u16_sdwa s1, v95, v87 src0_sel:BYTE_0 src1_sel:DWORD
	s_and_saveexec_b32 s39, s1
	s_cbranch_execz .LBB246_498
; %bb.493:                              ;   in Loop: Header=BB246_11 Depth=1
	v_mov_b32_e32 v93, 0x7f800001
	v_and_b32_e32 v77, 0x7f, v95
	v_mov_b32_e32 v94, 0
	s_mov_b32 s40, exec_lo
	v_cmpx_ne_u32_e32 0x7f, v77
	s_cbranch_execz .LBB246_497
; %bb.494:                              ;   in Loop: Header=BB246_11 Depth=1
	v_and_b32_e32 v67, 7, v95
	v_lshrrev_b32_e32 v57, 3, v77
	s_mov_b32 s41, exec_lo
	v_cmpx_gt_u32_e32 8, v77
; %bb.495:                              ;   in Loop: Header=BB246_11 Depth=1
	v_ffbh_u32_e32 v57, v67
	v_min_u32_e32 v57, 32, v57
	v_subrev_nc_u32_e32 v77, 28, v57
	v_sub_nc_u32_e32 v57, 29, v57
	v_lshlrev_b64 v[77:78], v77, v[67:68]
	v_and_b32_e32 v67, 7, v77
; %bb.496:                              ;   in Loop: Header=BB246_11 Depth=1
	s_or_b32 exec_lo, exec_lo, s41
	v_lshlrev_b32_e32 v77, 24, v95
	v_lshlrev_b32_e32 v67, 20, v67
	v_lshl_add_u32 v57, v57, 23, 0x3c000000
	v_and_b32_e32 v77, 0x80000000, v77
	v_or3_b32 v67, v67, v77, v57
	v_mov_b32_e32 v94, v68
	v_mov_b32_e32 v93, v67
.LBB246_497:                            ;   in Loop: Header=BB246_11 Depth=1
	s_or_b32 exec_lo, exec_lo, s40
.LBB246_498:                            ;   in Loop: Header=BB246_11 Depth=1
	s_or_b32 exec_lo, exec_lo, s39
.LBB246_499:                            ;   in Loop: Header=BB246_11 Depth=1
	s_or_b32 exec_lo, exec_lo, s38
	v_cmp_ne_u16_sdwa s1, v95, v68 src0_sel:BYTE_1 src1_sel:DWORD
	s_and_saveexec_b32 s38, s1
	s_cbranch_execz .LBB246_507
; %bb.500:                              ;   in Loop: Header=BB246_11 Depth=1
	v_mov_b32_e32 v83, v68
	v_cmp_ne_u16_sdwa s1, v95, v87 src0_sel:BYTE_1 src1_sel:DWORD
	v_mov_b32_e32 v79, v83
	v_mov_b32_e32 v80, v84
	s_and_saveexec_b32 s39, s1
	s_cbranch_execz .LBB246_506
; %bb.501:                              ;   in Loop: Header=BB246_11 Depth=1
	v_mov_b32_e32 v57, 0xffff
	s_mov_b32 s40, exec_lo
	v_and_b32_sdwa v67, v57, v95 dst_sel:DWORD dst_unused:UNUSED_PAD src0_sel:DWORD src1_sel:BYTE_1
	v_mov_b32_e32 v57, v68
	v_mov_b32_e32 v80, v58
	v_and_b32_e32 v77, 0x7f, v67
	v_mov_b32_e32 v79, v57
	v_cmpx_ne_u32_e32 0x7f, v77
	s_cbranch_execz .LBB246_505
; %bb.502:                              ;   in Loop: Header=BB246_11 Depth=1
	v_and_b32_e32 v67, 7, v67
	v_lshrrev_b32_e32 v57, 3, v77
	s_mov_b32 s41, exec_lo
	v_cmpx_gt_u32_e32 8, v77
; %bb.503:                              ;   in Loop: Header=BB246_11 Depth=1
	v_ffbh_u32_e32 v57, v67
	v_min_u32_e32 v57, 32, v57
	v_subrev_nc_u32_e32 v77, 28, v57
	v_sub_nc_u32_e32 v57, 29, v57
	v_lshlrev_b64 v[77:78], v77, v[67:68]
	v_and_b32_e32 v67, 7, v77
; %bb.504:                              ;   in Loop: Header=BB246_11 Depth=1
	s_or_b32 exec_lo, exec_lo, s41
	v_lshlrev_b32_e32 v77, 16, v95
	v_lshlrev_b32_e32 v67, 20, v67
	v_lshl_add_u32 v57, v57, 23, 0x3c000000
	v_mov_b32_e32 v79, v68
	v_and_b32_e32 v77, 0x80000000, v77
	v_or3_b32 v80, v67, v77, v57
.LBB246_505:                            ;   in Loop: Header=BB246_11 Depth=1
	s_or_b32 exec_lo, exec_lo, s40
.LBB246_506:                            ;   in Loop: Header=BB246_11 Depth=1
	s_or_b32 exec_lo, exec_lo, s39
.LBB246_507:                            ;   in Loop: Header=BB246_11 Depth=1
	s_or_b32 exec_lo, exec_lo, s38
	v_mov_b32_e32 v77, 0
	v_mov_b32_e32 v85, 0
	v_and_b32_sdwa v57, v95, v88 dst_sel:DWORD dst_unused:UNUSED_PAD src0_sel:WORD_1 src1_sel:DWORD
	v_mov_b32_e32 v78, 0
	v_mov_b32_e32 v86, 0
	s_mov_b32 s38, exec_lo
	v_cmpx_ne_u16_e32 0, v57
	s_cbranch_execz .LBB246_515
; %bb.508:                              ;   in Loop: Header=BB246_11 Depth=1
	v_bfrev_b32_e32 v85, 1
	v_mov_b32_e32 v86, 0
	s_mov_b32 s39, exec_lo
	v_cmpx_ne_u16_e32 0x80, v57
	s_cbranch_execz .LBB246_514
; %bb.509:                              ;   in Loop: Header=BB246_11 Depth=1
	v_mov_b32_e32 v85, 0x7f800001
	v_bfe_u32 v83, v95, 16, 7
	v_mov_b32_e32 v86, 0
	s_mov_b32 s40, exec_lo
	v_cmpx_ne_u32_e32 0x7f, v83
	s_cbranch_execz .LBB246_513
; %bb.510:                              ;   in Loop: Header=BB246_11 Depth=1
	v_mov_b32_e32 v57, 7
	s_mov_b32 s41, exec_lo
	v_and_b32_sdwa v67, v95, v57 dst_sel:DWORD dst_unused:UNUSED_PAD src0_sel:WORD_1 src1_sel:DWORD
	v_lshrrev_b32_e32 v57, 3, v83
	v_cmpx_gt_u32_e32 8, v83
; %bb.511:                              ;   in Loop: Header=BB246_11 Depth=1
	v_ffbh_u32_e32 v57, v67
	v_min_u32_e32 v57, 32, v57
	v_subrev_nc_u32_e32 v83, 28, v57
	v_sub_nc_u32_e32 v57, 29, v57
	v_lshlrev_b64 v[85:86], v83, v[67:68]
	v_and_b32_e32 v67, 7, v85
; %bb.512:                              ;   in Loop: Header=BB246_11 Depth=1
	s_or_b32 exec_lo, exec_lo, s41
	v_mov_b32_e32 v83, 24
	v_lshlrev_b32_e32 v67, 20, v67
	v_lshl_add_u32 v57, v57, 23, 0x3c000000
	v_lshlrev_b32_sdwa v83, v83, v95 dst_sel:DWORD dst_unused:UNUSED_PAD src0_sel:DWORD src1_sel:WORD_1
	v_and_b32_e32 v83, 0x80000000, v83
	v_or3_b32 v67, v67, v83, v57
	v_mov_b32_e32 v86, v68
	v_mov_b32_e32 v85, v67
.LBB246_513:                            ;   in Loop: Header=BB246_11 Depth=1
	s_or_b32 exec_lo, exec_lo, s40
.LBB246_514:                            ;   in Loop: Header=BB246_11 Depth=1
	s_or_b32 exec_lo, exec_lo, s39
.LBB246_515:                            ;   in Loop: Header=BB246_11 Depth=1
	s_or_b32 exec_lo, exec_lo, s38
	s_mov_b32 s38, exec_lo
	v_cmpx_lt_u32_e32 0xffffff, v95
	s_cbranch_execz .LBB246_10
; %bb.516:                              ;   in Loop: Header=BB246_11 Depth=1
	v_mov_b32_e32 v83, v68
	v_cmp_ne_u32_sdwa s1, v95, v87 src0_sel:BYTE_3 src1_sel:DWORD
	v_mov_b32_e32 v77, v83
	v_mov_b32_e32 v78, v84
	s_and_saveexec_b32 s39, s1
	s_cbranch_execz .LBB246_9
; %bb.517:                              ;   in Loop: Header=BB246_11 Depth=1
	v_mov_b32_e32 v57, v68
	v_mov_b32_e32 v78, v58
	v_bfe_u32 v83, v95, 24, 7
	s_mov_b32 s40, exec_lo
	v_mov_b32_e32 v77, v57
	v_cmpx_ne_u32_e32 0x7f, v83
	s_cbranch_execz .LBB246_8
; %bb.518:                              ;   in Loop: Header=BB246_11 Depth=1
	v_mov_b32_e32 v57, 7
	s_mov_b32 s41, exec_lo
	v_and_b32_sdwa v67, v95, v57 dst_sel:DWORD dst_unused:UNUSED_PAD src0_sel:BYTE_3 src1_sel:DWORD
	v_lshrrev_b32_e32 v57, 3, v83
	v_cmpx_gt_u32_e32 8, v83
	s_cbranch_execz .LBB246_7
; %bb.519:                              ;   in Loop: Header=BB246_11 Depth=1
	v_ffbh_u32_e32 v57, v67
	v_min_u32_e32 v57, 32, v57
	v_subrev_nc_u32_e32 v77, 28, v57
	v_sub_nc_u32_e32 v57, 29, v57
	v_lshlrev_b64 v[77:78], v77, v[67:68]
	v_and_b32_e32 v67, 7, v77
	s_branch .LBB246_7
.LBB246_520:
	s_or_b32 exec_lo, exec_lo, s16
	s_clause 0x4
	buffer_load_dword v114, off, s[44:47], 0 offset:328
	buffer_load_dword v115, off, s[44:47], 0 offset:332
	;; [unrolled: 1-line block ×5, first 2 shown]
	v_mov_b32_e32 v116, v96
.LBB246_521:
	s_or_b32 exec_lo, exec_lo, s15
	v_mbcnt_lo_u32_b32 v0, -1, 0
	v_max_f32_e32 v4, v89, v89
	v_xor_b32_e32 v1, 16, v0
	v_xor_b32_e32 v3, 8, v0
	v_cmp_gt_i32_e32 vcc_lo, 32, v1
	v_cndmask_b32_e32 v1, v0, v1, vcc_lo
	v_cmp_gt_i32_e32 vcc_lo, 32, v3
	v_lshlrev_b32_e32 v1, 2, v1
	v_cndmask_b32_e32 v3, v0, v3, vcc_lo
	ds_bpermute_b32 v2, v1, v89
	s_waitcnt lgkmcnt(0)
	v_max_f32_e32 v5, v2, v2
	v_lshlrev_b32_e32 v2, 2, v3
	v_max_f32_e32 v3, v4, v5
	v_xor_b32_e32 v5, 4, v0
	ds_bpermute_b32 v4, v2, v3
	v_cmp_gt_i32_e32 vcc_lo, 32, v5
	v_cndmask_b32_e32 v5, v0, v5, vcc_lo
	v_lshlrev_b32_e32 v27, 2, v5
	v_xor_b32_e32 v5, 2, v0
	v_cmp_gt_i32_e32 vcc_lo, 32, v5
	s_waitcnt lgkmcnt(0)
	v_max_f32_e32 v4, v4, v4
	v_cndmask_b32_e32 v5, v0, v5, vcc_lo
	v_max_f32_e32 v3, v3, v4
	v_lshlrev_b32_e32 v26, 2, v5
	v_xor_b32_e32 v5, 1, v0
	ds_bpermute_b32 v4, v27, v3
	v_cmp_gt_i32_e32 vcc_lo, 32, v5
	v_cndmask_b32_e32 v5, v0, v5, vcc_lo
	v_cmp_eq_u32_e32 vcc_lo, 0, v116
	v_lshlrev_b32_e32 v25, 2, v5
	s_waitcnt lgkmcnt(0)
	v_max_f32_e32 v4, v4, v4
	v_max_f32_e32 v3, v3, v4
	ds_bpermute_b32 v4, v26, v3
	s_waitcnt lgkmcnt(0)
	v_max_f32_e32 v4, v4, v4
	v_max_f32_e32 v0, v3, v4
	s_waitcnt vmcnt(3)
	v_lshlrev_b32_e32 v4, 2, v115
	ds_bpermute_b32 v3, v25, v0
	s_and_saveexec_b32 s1, vcc_lo
	s_cbranch_execz .LBB246_523
; %bb.522:
	s_waitcnt lgkmcnt(0)
	v_max_f32_e32 v3, v3, v3
	v_max_f32_e32 v0, v0, v0
	;; [unrolled: 1-line block ×3, first 2 shown]
	ds_write_b32 v4, v0 offset:256
.LBB246_523:
	s_or_b32 exec_lo, exec_lo, s1
	v_cmp_gt_u32_e64 s1, 4, v116
	v_mov_b32_e32 v0, 0xff7fffff
	s_waitcnt vmcnt(0) lgkmcnt(0)
	s_waitcnt_vscnt null, 0x0
	s_barrier
	buffer_gl0_inv
	s_and_saveexec_b32 s3, s1
; %bb.524:
	ds_read_b32 v0, v9 offset:256
; %bb.525:
	s_or_b32 exec_lo, exec_lo, s3
	s_waitcnt lgkmcnt(0)
	ds_bpermute_b32 v3, v26, v0
	v_max_f32_e32 v0, v0, v0
	v_mov_b32_e32 v5, 0
	s_sub_i32 s2, s11, s2
	s_lshl_b32 s2, s2, 5
	s_add_i32 s2, s2, s33
	s_min_i32 s2, s2, s29
	s_sub_i32 s4, s2, s33
	v_cmp_gt_i32_e64 s2, s4, v114
	s_waitcnt lgkmcnt(0)
	v_max_f32_e32 v3, v3, v3
	v_max_f32_e32 v0, v0, v3
	ds_bpermute_b32 v3, v25, v0
	s_waitcnt lgkmcnt(0)
	v_max_f32_e32 v3, v3, v3
	v_max_f32_e32 v0, v0, v3
	v_lshl_add_u32 v3, v114, 2, 0x120
	ds_bpermute_b32 v0, v5, v0
	s_and_saveexec_b32 s5, s2
	s_cbranch_execz .LBB246_529
; %bb.526:
	v_lshl_add_u32 v6, v114, 2, 0x120
	v_mov_b32_e32 v5, 0
	v_mov_b32_e32 v7, v114
	s_mov_b32 s15, 0
	.p2align	6
.LBB246_527:                            ; =>This Inner Loop Header: Depth=1
	ds_read_b32 v8, v6
	v_add_nc_u32_e32 v7, 0x80, v7
	v_cmp_le_i32_e64 s3, s4, v7
	s_or_b32 s15, s3, s15
	s_waitcnt lgkmcnt(0)
	v_sub_f32_e32 v8, v8, v0
	v_mul_f32_e32 v8, 0x3fb8aa3b, v8
	v_exp_f32_e32 v8, v8
	ds_write_b32 v6, v8
	v_add_f32_e32 v5, v5, v8
	v_add_nc_u32_e32 v6, 0x200, v6
	s_andn2_b32 exec_lo, exec_lo, s15
	s_cbranch_execnz .LBB246_527
; %bb.528:
	s_or_b32 exec_lo, exec_lo, s15
.LBB246_529:
	s_or_b32 exec_lo, exec_lo, s5
	ds_bpermute_b32 v1, v1, v5
	s_waitcnt lgkmcnt(0)
	v_add_f32_e32 v1, v5, v1
	ds_bpermute_b32 v2, v2, v1
	s_waitcnt lgkmcnt(0)
	v_add_f32_e32 v1, v1, v2
	;; [unrolled: 3-line block ×5, first 2 shown]
	s_and_saveexec_b32 s3, vcc_lo
; %bb.530:
	ds_write_b32 v4, v1 offset:272
; %bb.531:
	s_or_b32 exec_lo, exec_lo, s3
	s_waitcnt lgkmcnt(0)
	s_barrier
	buffer_gl0_inv
	s_and_saveexec_b32 s3, s1
; %bb.532:
	ds_read_b32 v1, v9 offset:272
; %bb.533:
	s_or_b32 exec_lo, exec_lo, s3
	s_waitcnt lgkmcnt(0)
	ds_bpermute_b32 v2, v26, v1
	s_waitcnt lgkmcnt(0)
	v_add_f32_e32 v1, v1, v2
	ds_bpermute_b32 v2, v25, v1
	s_waitcnt lgkmcnt(0)
	v_add_f32_e32 v1, v1, v2
	v_mov_b32_e32 v2, 0
	ds_bpermute_b32 v1, v2, v1
	s_and_saveexec_b32 s1, s2
	s_cbranch_execz .LBB246_536
; %bb.534:
	s_waitcnt lgkmcnt(0)
	v_add_f32_e32 v2, 0x358637bd, v1
	s_mov_b32 s2, 0
	v_div_scale_f32 v4, null, v2, v2, 1.0
	v_div_scale_f32 v7, vcc_lo, 1.0, v2, 1.0
	v_rcp_f32_e32 v5, v4
	v_fma_f32 v6, -v4, v5, 1.0
	v_fmac_f32_e32 v5, v6, v5
	v_mul_f32_e32 v6, v7, v5
	v_fma_f32 v8, -v4, v6, v7
	v_fmac_f32_e32 v6, v8, v5
	v_fma_f32 v4, -v4, v6, v7
	v_div_fmas_f32 v4, v4, v5, v6
	v_div_fixup_f32 v2, v4, v2, 1.0
	v_mov_b32_e32 v4, v114
.LBB246_535:                            ; =>This Inner Loop Header: Depth=1
	ds_read_b32 v5, v3
	v_add_nc_u32_e32 v4, 0x80, v4
	v_cmp_le_i32_e32 vcc_lo, s4, v4
	s_or_b32 s2, vcc_lo, s2
	s_waitcnt lgkmcnt(0)
	v_mul_f32_e32 v5, v2, v5
	ds_write_b32 v3, v5
	v_add_nc_u32_e32 v3, 0x200, v3
	s_andn2_b32 exec_lo, exec_lo, s2
	s_cbranch_execnz .LBB246_535
.LBB246_536:
	s_or_b32 exec_lo, exec_lo, s1
	s_mul_i32 s1, s7, s28
	s_waitcnt lgkmcnt(0)
	s_mul_i32 s2, s1, s9
	s_mov_b32 s1, exec_lo
	s_barrier
	buffer_gl0_inv
	v_cmpx_eq_u32_e32 0, v114
	s_cbranch_execz .LBB246_538
; %bb.537:
	s_ashr_i32 s3, s2, 31
	s_mul_i32 s16, s7, s6
	s_lshl_b64 s[4:5], s[2:3], 2
	v_mov_b32_e32 v2, 0
	s_add_u32 s3, s22, s4
	s_addc_u32 s6, s23, s5
	s_ashr_i32 s17, s16, 31
	s_lshl_b64 s[16:17], s[16:17], 2
	s_add_u32 s3, s3, s16
	s_addc_u32 s6, s6, s17
	s_ashr_i32 s9, s8, 31
	s_lshl_b64 s[22:23], s[8:9], 2
	s_add_u32 s36, s3, s22
	s_addc_u32 s37, s6, s23
	s_add_u32 s3, s20, s4
	s_addc_u32 s4, s21, s5
	;; [unrolled: 2-line block ×4, first 2 shown]
	global_store_dword v2, v0, s[36:37]
	global_store_dword v2, v1, s[4:5]
.LBB246_538:
	s_or_b32 exec_lo, exec_lo, s1
	v_mov_b32_e32 v42, 0
	v_and_b32_e32 v28, 7, v114
	v_mov_b32_e32 v44, 0
	v_mov_b32_e32 v43, 0
	;; [unrolled: 1-line block ×15, first 2 shown]
	s_and_saveexec_b32 s1, s0
	s_cbranch_execz .LBB246_1086
; %bb.539:
	v_lshlrev_b32_e32 v0, 2, v114
	s_load_dword s3, s[18:19], 0x0
	v_lshl_add_u32 v3, v115, 5, s33
	s_ashr_i32 s0, s14, 31
	s_add_u32 s4, s30, s14
	v_and_b32_e32 v1, 28, v0
	v_and_b32_e32 v0, 0x7c, v0
	v_lshlrev_b32_e32 v2, 4, v28
	s_addc_u32 s0, s31, s0
	s_add_i32 s12, s12, -1
	v_add3_u32 v45, v3, v1, 3
	v_add_co_u32 v7, s4, s4, v0
	v_lshlrev_b64 v[0:1], 2, v[117:118]
	v_add_co_ci_u32_e64 v8, null, s0, 0, s4
	s_lshl_b64 s[4:5], s[34:35], 2
	v_lshl_or_b32 v2, v115, 7, v2
	s_add_u32 s0, s26, s4
	s_addc_u32 s4, s27, s5
	v_add_co_u32 v9, vcc_lo, s0, v0
	v_mov_b32_e32 v6, 0
	v_add_nc_u32_e32 v46, 0x120, v2
	v_add_co_ci_u32_e64 v10, null, s4, v1, vcc_lo
	v_mov_b32_e32 v47, 0x80
	v_bfrev_b32_e32 v12, 1
	v_mov_b32_e32 v48, 0xffff
	v_mov_b32_e32 v14, 0x7f800001
	;; [unrolled: 1-line block ×21, first 2 shown]
	s_mov_b32 s4, s13
	s_waitcnt lgkmcnt(0)
	s_mov_b32 s6, s3
	s_mov_b32 s5, 0
	s_branch .LBB246_541
.LBB246_540:                            ;   in Loop: Header=BB246_541 Depth=1
	s_or_b32 exec_lo, exec_lo, s0
	s_waitcnt lgkmcnt(0)
	v_mul_f32_e32 v16, v1, v111
	v_mul_f32_e32 v17, v1, v109
	;; [unrolled: 1-line block ×5, first 2 shown]
	v_fmac_f32_e32 v16, v2, v110
	v_fmac_f32_e32 v17, v2, v108
	;; [unrolled: 1-line block ×15, first 2 shown]
	v_add_f32_e32 v30, v30, v16
	v_add_f32_e32 v31, v31, v17
	;; [unrolled: 1-line block ×4, first 2 shown]
	v_mul_f32_e32 v16, v1, v89
	v_mul_f32_e32 v17, v1, v85
	;; [unrolled: 1-line block ×5, first 2 shown]
	v_fmac_f32_e32 v16, v2, v88
	v_fmac_f32_e32 v17, v2, v84
	;; [unrolled: 1-line block ×4, first 2 shown]
	v_add_f32_e32 v34, v34, v20
	v_fmac_f32_e32 v16, v3, v87
	v_fmac_f32_e32 v17, v3, v83
	;; [unrolled: 1-line block ×4, first 2 shown]
	v_mul_f32_e32 v20, v1, v73
	v_fmac_f32_e32 v16, v4, v86
	v_fmac_f32_e32 v17, v4, v82
	;; [unrolled: 1-line block ×5, first 2 shown]
	v_add_f32_e32 v36, v36, v16
	v_add_f32_e32 v37, v37, v17
	;; [unrolled: 1-line block ×3, first 2 shown]
	v_mul_f32_e32 v16, v1, v69
	v_add_f32_e32 v39, v39, v19
	v_mul_f32_e32 v17, v1, v65
	v_mul_f32_e32 v18, v1, v61
	;; [unrolled: 1-line block ×4, first 2 shown]
	v_fmac_f32_e32 v20, v2, v72
	v_fmac_f32_e32 v16, v2, v68
	;; [unrolled: 1-line block ×13, first 2 shown]
	v_add_nc_u32_e32 v117, 4, v117
	v_fmac_f32_e32 v21, v4, v90
	v_fmac_f32_e32 v20, v4, v70
	;; [unrolled: 1-line block ×7, first 2 shown]
	v_cmp_le_i32_e32 vcc_lo, s11, v117
	v_add_co_u32 v9, s0, v9, 16
	v_add_f32_e32 v35, v35, v21
	v_add_f32_e32 v40, v40, v20
	;; [unrolled: 1-line block ×7, first 2 shown]
	v_add_nc_u32_e32 v45, 0x80, v45
	v_add_nc_u32_e32 v46, 0x200, v46
	v_add_co_ci_u32_e64 v10, null, 0, v10, s0
	s_or_b32 s5, vcc_lo, s5
	s_andn2_b32 exec_lo, exec_lo, s5
	s_cbranch_execz .LBB246_1085
.LBB246_541:                            ; =>This Inner Loop Header: Depth=1
	global_load_dword v0, v[9:10], off
	ds_read_b128 v[1:4], v46
	v_mov_b32_e32 v19, 0
	v_mov_b32_e32 v17, 0
	;; [unrolled: 1-line block ×4, first 2 shown]
	s_waitcnt vmcnt(0)
	v_mad_i64_i32 v[15:16], null, v0, s4, v[7:8]
	global_load_dword v0, v[15:16], off
	s_waitcnt vmcnt(0)
	v_cmp_ne_u16_sdwa s9, v0, v6 src0_sel:BYTE_0 src1_sel:DWORD
	s_and_saveexec_b32 s0, s9
	s_cbranch_execz .LBB246_549
; %bb.542:                              ;   in Loop: Header=BB246_541 Depth=1
	v_bfrev_b32_e32 v17, 1
	v_mov_b32_e32 v18, 0
	v_cmp_ne_u16_sdwa s13, v0, v47 src0_sel:BYTE_0 src1_sel:DWORD
	s_and_saveexec_b32 s9, s13
	s_cbranch_execz .LBB246_548
; %bb.543:                              ;   in Loop: Header=BB246_541 Depth=1
	v_mov_b32_e32 v17, 0x7f800001
	v_and_b32_e32 v13, 0x7f, v0
	v_mov_b32_e32 v18, 0
	s_mov_b32 s13, exec_lo
	v_cmpx_ne_u32_e32 0x7f, v13
	s_cbranch_execz .LBB246_547
; %bb.544:                              ;   in Loop: Header=BB246_541 Depth=1
	v_and_b32_e32 v5, 7, v0
	v_lshrrev_b32_e32 v11, 3, v13
	s_mov_b32 s14, exec_lo
	v_cmpx_gt_u32_e32 8, v13
; %bb.545:                              ;   in Loop: Header=BB246_541 Depth=1
	v_ffbh_u32_e32 v11, v5
	v_min_u32_e32 v11, 32, v11
	v_subrev_nc_u32_e32 v13, 28, v11
	v_sub_nc_u32_e32 v11, 29, v11
	v_lshlrev_b64 v[17:18], v13, v[5:6]
	v_and_b32_e32 v5, 7, v17
; %bb.546:                              ;   in Loop: Header=BB246_541 Depth=1
	s_or_b32 exec_lo, exec_lo, s14
	v_lshlrev_b32_e32 v13, 24, v0
	v_lshlrev_b32_e32 v5, 20, v5
	v_lshl_add_u32 v11, v11, 23, 0x3c000000
	v_and_b32_e32 v13, 0x80000000, v13
	v_or3_b32 v5, v5, v13, v11
	v_mov_b32_e32 v18, v6
	v_mov_b32_e32 v17, v5
.LBB246_547:                            ;   in Loop: Header=BB246_541 Depth=1
	s_or_b32 exec_lo, exec_lo, s13
.LBB246_548:                            ;   in Loop: Header=BB246_541 Depth=1
	s_or_b32 exec_lo, exec_lo, s9
.LBB246_549:                            ;   in Loop: Header=BB246_541 Depth=1
	s_or_b32 exec_lo, exec_lo, s0
	v_cmp_ne_u16_sdwa s9, v0, v6 src0_sel:BYTE_1 src1_sel:DWORD
	s_and_saveexec_b32 s0, s9
	s_cbranch_execz .LBB246_557
; %bb.550:                              ;   in Loop: Header=BB246_541 Depth=1
	v_mov_b32_e32 v11, v6
	v_mov_b32_e32 v20, v12
	v_cmp_ne_u16_sdwa s13, v0, v47 src0_sel:BYTE_1 src1_sel:DWORD
	v_mov_b32_e32 v19, v11
	s_and_saveexec_b32 s9, s13
	s_cbranch_execz .LBB246_556
; %bb.551:                              ;   in Loop: Header=BB246_541 Depth=1
	v_and_b32_sdwa v5, v48, v0 dst_sel:DWORD dst_unused:UNUSED_PAD src0_sel:DWORD src1_sel:BYTE_1
	v_mov_b32_e32 v13, v6
	v_mov_b32_e32 v20, v14
	s_mov_b32 s13, exec_lo
	v_and_b32_e32 v21, 0x7f, v5
	v_mov_b32_e32 v19, v13
	v_cmpx_ne_u32_e32 0x7f, v21
	s_cbranch_execz .LBB246_555
; %bb.552:                              ;   in Loop: Header=BB246_541 Depth=1
	v_and_b32_e32 v5, 7, v5
	v_lshrrev_b32_e32 v11, 3, v21
	s_mov_b32 s14, exec_lo
	v_cmpx_gt_u32_e32 8, v21
; %bb.553:                              ;   in Loop: Header=BB246_541 Depth=1
	v_ffbh_u32_e32 v11, v5
	v_min_u32_e32 v11, 32, v11
	v_subrev_nc_u32_e32 v13, 28, v11
	v_sub_nc_u32_e32 v11, 29, v11
	v_lshlrev_b64 v[19:20], v13, v[5:6]
	v_and_b32_e32 v5, 7, v19
; %bb.554:                              ;   in Loop: Header=BB246_541 Depth=1
	s_or_b32 exec_lo, exec_lo, s14
	v_lshlrev_b32_e32 v13, 16, v0
	v_lshlrev_b32_e32 v5, 20, v5
	v_lshl_add_u32 v11, v11, 23, 0x3c000000
	v_mov_b32_e32 v19, v6
	v_and_b32_e32 v13, 0x80000000, v13
	v_or3_b32 v20, v5, v13, v11
.LBB246_555:                            ;   in Loop: Header=BB246_541 Depth=1
	s_or_b32 exec_lo, exec_lo, s13
.LBB246_556:                            ;   in Loop: Header=BB246_541 Depth=1
	s_or_b32 exec_lo, exec_lo, s9
.LBB246_557:                            ;   in Loop: Header=BB246_541 Depth=1
	s_or_b32 exec_lo, exec_lo, s0
	v_mov_b32_e32 v23, 0
	v_mov_b32_e32 v21, 0
	v_and_b32_sdwa v5, v0, v49 dst_sel:DWORD dst_unused:UNUSED_PAD src0_sel:WORD_1 src1_sel:DWORD
	v_mov_b32_e32 v24, 0
	v_mov_b32_e32 v22, 0
	s_mov_b32 s0, exec_lo
	v_cmpx_ne_u16_e32 0, v5
	s_cbranch_execz .LBB246_565
; %bb.558:                              ;   in Loop: Header=BB246_541 Depth=1
	v_bfrev_b32_e32 v21, 1
	v_mov_b32_e32 v22, 0
	s_mov_b32 s9, exec_lo
	v_cmpx_ne_u16_e32 0x80, v5
	s_cbranch_execz .LBB246_564
; %bb.559:                              ;   in Loop: Header=BB246_541 Depth=1
	v_mov_b32_e32 v21, 0x7f800001
	v_bfe_u32 v13, v0, 16, 7
	v_mov_b32_e32 v22, 0
	s_mov_b32 s13, exec_lo
	v_cmpx_ne_u32_e32 0x7f, v13
	s_cbranch_execz .LBB246_563
; %bb.560:                              ;   in Loop: Header=BB246_541 Depth=1
	v_and_b32_sdwa v5, v0, v50 dst_sel:DWORD dst_unused:UNUSED_PAD src0_sel:WORD_1 src1_sel:DWORD
	v_lshrrev_b32_e32 v11, 3, v13
	s_mov_b32 s14, exec_lo
	v_cmpx_gt_u32_e32 8, v13
; %bb.561:                              ;   in Loop: Header=BB246_541 Depth=1
	v_ffbh_u32_e32 v11, v5
	v_min_u32_e32 v11, 32, v11
	v_subrev_nc_u32_e32 v13, 28, v11
	v_sub_nc_u32_e32 v11, 29, v11
	v_lshlrev_b64 v[21:22], v13, v[5:6]
	v_and_b32_e32 v5, 7, v21
; %bb.562:                              ;   in Loop: Header=BB246_541 Depth=1
	s_or_b32 exec_lo, exec_lo, s14
	v_lshlrev_b32_sdwa v13, v51, v0 dst_sel:DWORD dst_unused:UNUSED_PAD src0_sel:DWORD src1_sel:WORD_1
	v_lshlrev_b32_e32 v5, 20, v5
	v_lshl_add_u32 v11, v11, 23, 0x3c000000
	v_and_b32_e32 v13, 0x80000000, v13
	v_or3_b32 v5, v5, v13, v11
	v_mov_b32_e32 v22, v6
	v_mov_b32_e32 v21, v5
.LBB246_563:                            ;   in Loop: Header=BB246_541 Depth=1
	s_or_b32 exec_lo, exec_lo, s13
.LBB246_564:                            ;   in Loop: Header=BB246_541 Depth=1
	s_or_b32 exec_lo, exec_lo, s9
.LBB246_565:                            ;   in Loop: Header=BB246_541 Depth=1
	s_or_b32 exec_lo, exec_lo, s0
	s_mov_b32 s0, exec_lo
	v_cmpx_lt_u32_e32 0xffffff, v0
	s_cbranch_execz .LBB246_573
; %bb.566:                              ;   in Loop: Header=BB246_541 Depth=1
	v_mov_b32_e32 v11, v6
	v_mov_b32_e32 v24, v12
	v_cmp_ne_u32_sdwa s13, v0, v47 src0_sel:BYTE_3 src1_sel:DWORD
	v_mov_b32_e32 v23, v11
	s_and_saveexec_b32 s9, s13
	s_cbranch_execz .LBB246_572
; %bb.567:                              ;   in Loop: Header=BB246_541 Depth=1
	v_mov_b32_e32 v13, v6
	v_mov_b32_e32 v24, v14
	v_bfe_u32 v52, v0, 24, 7
	s_mov_b32 s13, exec_lo
	v_mov_b32_e32 v23, v13
	v_cmpx_ne_u32_e32 0x7f, v52
	s_cbranch_execz .LBB246_571
; %bb.568:                              ;   in Loop: Header=BB246_541 Depth=1
	v_and_b32_sdwa v5, v0, v50 dst_sel:DWORD dst_unused:UNUSED_PAD src0_sel:BYTE_3 src1_sel:DWORD
	v_lshrrev_b32_e32 v11, 3, v52
	s_mov_b32 s14, exec_lo
	v_cmpx_gt_u32_e32 8, v52
; %bb.569:                              ;   in Loop: Header=BB246_541 Depth=1
	v_ffbh_u32_e32 v11, v5
	v_min_u32_e32 v11, 32, v11
	v_subrev_nc_u32_e32 v13, 28, v11
	v_sub_nc_u32_e32 v11, 29, v11
	v_lshlrev_b64 v[23:24], v13, v[5:6]
	v_and_b32_e32 v5, 7, v23
; %bb.570:                              ;   in Loop: Header=BB246_541 Depth=1
	s_or_b32 exec_lo, exec_lo, s14
	v_lshlrev_b32_sdwa v0, v51, v0 dst_sel:DWORD dst_unused:UNUSED_PAD src0_sel:DWORD src1_sel:BYTE_3
	v_lshlrev_b32_e32 v5, 20, v5
	v_lshl_add_u32 v11, v11, 23, 0x3c000000
	v_mov_b32_e32 v23, v6
	v_and_b32_e32 v0, 0x80000000, v0
	v_or3_b32 v24, v5, v0, v11
.LBB246_571:                            ;   in Loop: Header=BB246_541 Depth=1
	s_or_b32 exec_lo, exec_lo, s13
.LBB246_572:                            ;   in Loop: Header=BB246_541 Depth=1
	s_or_b32 exec_lo, exec_lo, s9
.LBB246_573:                            ;   in Loop: Header=BB246_541 Depth=1
	s_or_b32 exec_lo, exec_lo, s0
	v_or_b32_e32 v0, v20, v18
	v_or_b32_e32 v5, v19, v17
	;; [unrolled: 1-line block ×4, first 2 shown]
	v_add_nc_u32_e32 v55, -3, v45
	v_cmp_eq_u32_e32 vcc_lo, s12, v117
	v_mul_f32_e32 v53, s6, v0
	v_mul_f32_e32 v54, s3, v5
	;; [unrolled: 1-line block ×4, first 2 shown]
	v_add_nc_u32_e32 v57, -2, v45
	v_add_nc_u32_e32 v56, -1, v45
	s_and_saveexec_b32 s9, vcc_lo
	s_cbranch_execz .LBB246_575
; %bb.574:                              ;   in Loop: Header=BB246_541 Depth=1
	v_cmp_gt_i32_e64 s0, s29, v55
	v_cndmask_b32_e64 v54, 0, v54, s0
	v_cmp_gt_i32_e64 s0, s29, v57
	v_cndmask_b32_e64 v53, 0, v53, s0
	v_cmp_gt_i32_e64 s0, s29, v56
	v_cndmask_b32_e64 v52, 0, v52, s0
	v_cmp_gt_i32_e64 s0, s29, v45
	v_cndmask_b32_e64 v0, 0, v0, s0
.LBB246_575:                            ;   in Loop: Header=BB246_541 Depth=1
	s_or_b32 exec_lo, exec_lo, s9
	global_load_dword v58, v[15:16], off offset:128
	v_mov_b32_e32 v19, 0
	v_mov_b32_e32 v17, 0
	;; [unrolled: 1-line block ×4, first 2 shown]
	s_waitcnt vmcnt(0)
	v_cmp_ne_u16_sdwa s0, v58, v6 src0_sel:BYTE_0 src1_sel:DWORD
	s_and_saveexec_b32 s9, s0
	s_cbranch_execz .LBB246_583
; %bb.576:                              ;   in Loop: Header=BB246_541 Depth=1
	v_bfrev_b32_e32 v17, 1
	v_mov_b32_e32 v18, 0
	v_cmp_ne_u16_sdwa s0, v58, v47 src0_sel:BYTE_0 src1_sel:DWORD
	s_and_saveexec_b32 s13, s0
	s_cbranch_execz .LBB246_582
; %bb.577:                              ;   in Loop: Header=BB246_541 Depth=1
	v_mov_b32_e32 v17, 0x7f800001
	v_and_b32_e32 v13, 0x7f, v58
	v_mov_b32_e32 v18, 0
	s_mov_b32 s14, exec_lo
	v_cmpx_ne_u32_e32 0x7f, v13
	s_cbranch_execz .LBB246_581
; %bb.578:                              ;   in Loop: Header=BB246_541 Depth=1
	v_and_b32_e32 v5, 7, v58
	v_lshrrev_b32_e32 v11, 3, v13
	s_mov_b32 s15, exec_lo
	v_cmpx_gt_u32_e32 8, v13
; %bb.579:                              ;   in Loop: Header=BB246_541 Depth=1
	v_ffbh_u32_e32 v11, v5
	v_min_u32_e32 v11, 32, v11
	v_subrev_nc_u32_e32 v13, 28, v11
	v_sub_nc_u32_e32 v11, 29, v11
	v_lshlrev_b64 v[17:18], v13, v[5:6]
	v_and_b32_e32 v5, 7, v17
; %bb.580:                              ;   in Loop: Header=BB246_541 Depth=1
	s_or_b32 exec_lo, exec_lo, s15
	v_lshlrev_b32_e32 v13, 24, v58
	v_lshlrev_b32_e32 v5, 20, v5
	v_lshl_add_u32 v11, v11, 23, 0x3c000000
	v_and_b32_e32 v13, 0x80000000, v13
	v_or3_b32 v5, v5, v13, v11
	v_mov_b32_e32 v18, v6
	v_mov_b32_e32 v17, v5
.LBB246_581:                            ;   in Loop: Header=BB246_541 Depth=1
	s_or_b32 exec_lo, exec_lo, s14
.LBB246_582:                            ;   in Loop: Header=BB246_541 Depth=1
	s_or_b32 exec_lo, exec_lo, s13
.LBB246_583:                            ;   in Loop: Header=BB246_541 Depth=1
	s_or_b32 exec_lo, exec_lo, s9
	v_cmp_ne_u16_sdwa s0, v58, v6 src0_sel:BYTE_1 src1_sel:DWORD
	s_and_saveexec_b32 s9, s0
	s_cbranch_execz .LBB246_591
; %bb.584:                              ;   in Loop: Header=BB246_541 Depth=1
	v_mov_b32_e32 v11, v6
	v_mov_b32_e32 v20, v12
	v_cmp_ne_u16_sdwa s0, v58, v47 src0_sel:BYTE_1 src1_sel:DWORD
	v_mov_b32_e32 v19, v11
	s_and_saveexec_b32 s13, s0
	s_cbranch_execz .LBB246_590
; %bb.585:                              ;   in Loop: Header=BB246_541 Depth=1
	v_and_b32_sdwa v5, v48, v58 dst_sel:DWORD dst_unused:UNUSED_PAD src0_sel:DWORD src1_sel:BYTE_1
	v_mov_b32_e32 v13, v6
	v_mov_b32_e32 v20, v14
	s_mov_b32 s14, exec_lo
	v_and_b32_e32 v21, 0x7f, v5
	v_mov_b32_e32 v19, v13
	v_cmpx_ne_u32_e32 0x7f, v21
	s_cbranch_execz .LBB246_589
; %bb.586:                              ;   in Loop: Header=BB246_541 Depth=1
	v_and_b32_e32 v5, 7, v5
	v_lshrrev_b32_e32 v11, 3, v21
	s_mov_b32 s15, exec_lo
	v_cmpx_gt_u32_e32 8, v21
; %bb.587:                              ;   in Loop: Header=BB246_541 Depth=1
	v_ffbh_u32_e32 v11, v5
	v_min_u32_e32 v11, 32, v11
	v_subrev_nc_u32_e32 v13, 28, v11
	v_sub_nc_u32_e32 v11, 29, v11
	v_lshlrev_b64 v[19:20], v13, v[5:6]
	v_and_b32_e32 v5, 7, v19
; %bb.588:                              ;   in Loop: Header=BB246_541 Depth=1
	s_or_b32 exec_lo, exec_lo, s15
	v_lshlrev_b32_e32 v13, 16, v58
	v_lshlrev_b32_e32 v5, 20, v5
	v_lshl_add_u32 v11, v11, 23, 0x3c000000
	v_mov_b32_e32 v19, v6
	v_and_b32_e32 v13, 0x80000000, v13
	v_or3_b32 v20, v5, v13, v11
.LBB246_589:                            ;   in Loop: Header=BB246_541 Depth=1
	s_or_b32 exec_lo, exec_lo, s14
.LBB246_590:                            ;   in Loop: Header=BB246_541 Depth=1
	s_or_b32 exec_lo, exec_lo, s13
.LBB246_591:                            ;   in Loop: Header=BB246_541 Depth=1
	s_or_b32 exec_lo, exec_lo, s9
	v_mov_b32_e32 v23, 0
	v_mov_b32_e32 v21, 0
	v_and_b32_sdwa v5, v58, v49 dst_sel:DWORD dst_unused:UNUSED_PAD src0_sel:WORD_1 src1_sel:DWORD
	v_mov_b32_e32 v24, 0
	v_mov_b32_e32 v22, 0
	s_mov_b32 s9, exec_lo
	v_cmpx_ne_u16_e32 0, v5
	s_cbranch_execz .LBB246_599
; %bb.592:                              ;   in Loop: Header=BB246_541 Depth=1
	v_bfrev_b32_e32 v21, 1
	v_mov_b32_e32 v22, 0
	s_mov_b32 s13, exec_lo
	v_cmpx_ne_u16_e32 0x80, v5
	s_cbranch_execz .LBB246_598
; %bb.593:                              ;   in Loop: Header=BB246_541 Depth=1
	v_mov_b32_e32 v21, 0x7f800001
	v_bfe_u32 v13, v58, 16, 7
	v_mov_b32_e32 v22, 0
	s_mov_b32 s14, exec_lo
	v_cmpx_ne_u32_e32 0x7f, v13
	s_cbranch_execz .LBB246_597
; %bb.594:                              ;   in Loop: Header=BB246_541 Depth=1
	v_and_b32_sdwa v5, v58, v50 dst_sel:DWORD dst_unused:UNUSED_PAD src0_sel:WORD_1 src1_sel:DWORD
	v_lshrrev_b32_e32 v11, 3, v13
	s_mov_b32 s15, exec_lo
	v_cmpx_gt_u32_e32 8, v13
; %bb.595:                              ;   in Loop: Header=BB246_541 Depth=1
	v_ffbh_u32_e32 v11, v5
	v_min_u32_e32 v11, 32, v11
	v_subrev_nc_u32_e32 v13, 28, v11
	v_sub_nc_u32_e32 v11, 29, v11
	v_lshlrev_b64 v[21:22], v13, v[5:6]
	v_and_b32_e32 v5, 7, v21
; %bb.596:                              ;   in Loop: Header=BB246_541 Depth=1
	s_or_b32 exec_lo, exec_lo, s15
	v_lshlrev_b32_sdwa v13, v51, v58 dst_sel:DWORD dst_unused:UNUSED_PAD src0_sel:DWORD src1_sel:WORD_1
	v_lshlrev_b32_e32 v5, 20, v5
	v_lshl_add_u32 v11, v11, 23, 0x3c000000
	v_and_b32_e32 v13, 0x80000000, v13
	v_or3_b32 v5, v5, v13, v11
	v_mov_b32_e32 v22, v6
	v_mov_b32_e32 v21, v5
.LBB246_597:                            ;   in Loop: Header=BB246_541 Depth=1
	s_or_b32 exec_lo, exec_lo, s14
.LBB246_598:                            ;   in Loop: Header=BB246_541 Depth=1
	s_or_b32 exec_lo, exec_lo, s13
.LBB246_599:                            ;   in Loop: Header=BB246_541 Depth=1
	s_or_b32 exec_lo, exec_lo, s9
	s_mov_b32 s9, exec_lo
	v_cmpx_lt_u32_e32 0xffffff, v58
	s_cbranch_execz .LBB246_607
; %bb.600:                              ;   in Loop: Header=BB246_541 Depth=1
	v_mov_b32_e32 v11, v6
	v_mov_b32_e32 v24, v12
	v_cmp_ne_u32_sdwa s0, v58, v47 src0_sel:BYTE_3 src1_sel:DWORD
	v_mov_b32_e32 v23, v11
	s_and_saveexec_b32 s13, s0
	s_cbranch_execz .LBB246_606
; %bb.601:                              ;   in Loop: Header=BB246_541 Depth=1
	v_mov_b32_e32 v13, v6
	v_mov_b32_e32 v24, v14
	v_bfe_u32 v59, v58, 24, 7
	s_mov_b32 s14, exec_lo
	v_mov_b32_e32 v23, v13
	v_cmpx_ne_u32_e32 0x7f, v59
	s_cbranch_execz .LBB246_605
; %bb.602:                              ;   in Loop: Header=BB246_541 Depth=1
	v_and_b32_sdwa v5, v58, v50 dst_sel:DWORD dst_unused:UNUSED_PAD src0_sel:BYTE_3 src1_sel:DWORD
	v_lshrrev_b32_e32 v11, 3, v59
	s_mov_b32 s15, exec_lo
	v_cmpx_gt_u32_e32 8, v59
; %bb.603:                              ;   in Loop: Header=BB246_541 Depth=1
	v_ffbh_u32_e32 v11, v5
	v_min_u32_e32 v11, 32, v11
	v_subrev_nc_u32_e32 v13, 28, v11
	v_sub_nc_u32_e32 v11, 29, v11
	v_lshlrev_b64 v[23:24], v13, v[5:6]
	v_and_b32_e32 v5, 7, v23
; %bb.604:                              ;   in Loop: Header=BB246_541 Depth=1
	s_or_b32 exec_lo, exec_lo, s15
	v_lshlrev_b32_sdwa v13, v51, v58 dst_sel:DWORD dst_unused:UNUSED_PAD src0_sel:DWORD src1_sel:BYTE_3
	v_lshlrev_b32_e32 v5, 20, v5
	v_lshl_add_u32 v11, v11, 23, 0x3c000000
	v_mov_b32_e32 v23, v6
	v_and_b32_e32 v13, 0x80000000, v13
	v_or3_b32 v24, v5, v13, v11
.LBB246_605:                            ;   in Loop: Header=BB246_541 Depth=1
	s_or_b32 exec_lo, exec_lo, s14
.LBB246_606:                            ;   in Loop: Header=BB246_541 Depth=1
	s_or_b32 exec_lo, exec_lo, s13
.LBB246_607:                            ;   in Loop: Header=BB246_541 Depth=1
	s_or_b32 exec_lo, exec_lo, s9
	v_or_b32_e32 v5, v20, v18
	v_or_b32_e32 v11, v19, v17
	;; [unrolled: 1-line block ×4, first 2 shown]
	v_mul_f32_e32 v60, s6, v5
	v_mul_f32_e32 v61, s3, v11
	;; [unrolled: 1-line block ×4, first 2 shown]
	s_and_saveexec_b32 s9, vcc_lo
	s_cbranch_execz .LBB246_609
; %bb.608:                              ;   in Loop: Header=BB246_541 Depth=1
	v_cmp_gt_i32_e64 s0, s29, v55
	v_cndmask_b32_e64 v61, 0, v61, s0
	v_cmp_gt_i32_e64 s0, s29, v57
	v_cndmask_b32_e64 v60, 0, v60, s0
	;; [unrolled: 2-line block ×4, first 2 shown]
.LBB246_609:                            ;   in Loop: Header=BB246_541 Depth=1
	s_or_b32 exec_lo, exec_lo, s9
	global_load_dword v62, v[15:16], off offset:256
	v_mov_b32_e32 v19, 0
	v_mov_b32_e32 v17, 0
	v_mov_b32_e32 v20, 0
	v_mov_b32_e32 v18, 0
	s_waitcnt vmcnt(0)
	v_cmp_ne_u16_sdwa s0, v62, v6 src0_sel:BYTE_0 src1_sel:DWORD
	s_and_saveexec_b32 s9, s0
	s_cbranch_execz .LBB246_617
; %bb.610:                              ;   in Loop: Header=BB246_541 Depth=1
	v_bfrev_b32_e32 v17, 1
	v_mov_b32_e32 v18, 0
	v_cmp_ne_u16_sdwa s0, v62, v47 src0_sel:BYTE_0 src1_sel:DWORD
	s_and_saveexec_b32 s13, s0
	s_cbranch_execz .LBB246_616
; %bb.611:                              ;   in Loop: Header=BB246_541 Depth=1
	v_mov_b32_e32 v17, 0x7f800001
	v_and_b32_e32 v13, 0x7f, v62
	v_mov_b32_e32 v18, 0
	s_mov_b32 s14, exec_lo
	v_cmpx_ne_u32_e32 0x7f, v13
	s_cbranch_execz .LBB246_615
; %bb.612:                              ;   in Loop: Header=BB246_541 Depth=1
	v_and_b32_e32 v5, 7, v62
	v_lshrrev_b32_e32 v11, 3, v13
	s_mov_b32 s15, exec_lo
	v_cmpx_gt_u32_e32 8, v13
; %bb.613:                              ;   in Loop: Header=BB246_541 Depth=1
	v_ffbh_u32_e32 v11, v5
	v_min_u32_e32 v11, 32, v11
	v_subrev_nc_u32_e32 v13, 28, v11
	v_sub_nc_u32_e32 v11, 29, v11
	v_lshlrev_b64 v[17:18], v13, v[5:6]
	v_and_b32_e32 v5, 7, v17
; %bb.614:                              ;   in Loop: Header=BB246_541 Depth=1
	s_or_b32 exec_lo, exec_lo, s15
	v_lshlrev_b32_e32 v13, 24, v62
	v_lshlrev_b32_e32 v5, 20, v5
	v_lshl_add_u32 v11, v11, 23, 0x3c000000
	v_and_b32_e32 v13, 0x80000000, v13
	v_or3_b32 v5, v5, v13, v11
	v_mov_b32_e32 v18, v6
	v_mov_b32_e32 v17, v5
.LBB246_615:                            ;   in Loop: Header=BB246_541 Depth=1
	s_or_b32 exec_lo, exec_lo, s14
.LBB246_616:                            ;   in Loop: Header=BB246_541 Depth=1
	s_or_b32 exec_lo, exec_lo, s13
.LBB246_617:                            ;   in Loop: Header=BB246_541 Depth=1
	s_or_b32 exec_lo, exec_lo, s9
	v_cmp_ne_u16_sdwa s0, v62, v6 src0_sel:BYTE_1 src1_sel:DWORD
	s_and_saveexec_b32 s9, s0
	s_cbranch_execz .LBB246_625
; %bb.618:                              ;   in Loop: Header=BB246_541 Depth=1
	v_mov_b32_e32 v11, v6
	v_mov_b32_e32 v20, v12
	v_cmp_ne_u16_sdwa s0, v62, v47 src0_sel:BYTE_1 src1_sel:DWORD
	v_mov_b32_e32 v19, v11
	s_and_saveexec_b32 s13, s0
	s_cbranch_execz .LBB246_624
; %bb.619:                              ;   in Loop: Header=BB246_541 Depth=1
	v_and_b32_sdwa v5, v48, v62 dst_sel:DWORD dst_unused:UNUSED_PAD src0_sel:DWORD src1_sel:BYTE_1
	v_mov_b32_e32 v13, v6
	v_mov_b32_e32 v20, v14
	s_mov_b32 s14, exec_lo
	v_and_b32_e32 v21, 0x7f, v5
	v_mov_b32_e32 v19, v13
	v_cmpx_ne_u32_e32 0x7f, v21
	s_cbranch_execz .LBB246_623
; %bb.620:                              ;   in Loop: Header=BB246_541 Depth=1
	v_and_b32_e32 v5, 7, v5
	v_lshrrev_b32_e32 v11, 3, v21
	s_mov_b32 s15, exec_lo
	v_cmpx_gt_u32_e32 8, v21
; %bb.621:                              ;   in Loop: Header=BB246_541 Depth=1
	v_ffbh_u32_e32 v11, v5
	v_min_u32_e32 v11, 32, v11
	v_subrev_nc_u32_e32 v13, 28, v11
	v_sub_nc_u32_e32 v11, 29, v11
	v_lshlrev_b64 v[19:20], v13, v[5:6]
	v_and_b32_e32 v5, 7, v19
; %bb.622:                              ;   in Loop: Header=BB246_541 Depth=1
	s_or_b32 exec_lo, exec_lo, s15
	v_lshlrev_b32_e32 v13, 16, v62
	v_lshlrev_b32_e32 v5, 20, v5
	v_lshl_add_u32 v11, v11, 23, 0x3c000000
	v_mov_b32_e32 v19, v6
	v_and_b32_e32 v13, 0x80000000, v13
	v_or3_b32 v20, v5, v13, v11
.LBB246_623:                            ;   in Loop: Header=BB246_541 Depth=1
	s_or_b32 exec_lo, exec_lo, s14
.LBB246_624:                            ;   in Loop: Header=BB246_541 Depth=1
	s_or_b32 exec_lo, exec_lo, s13
.LBB246_625:                            ;   in Loop: Header=BB246_541 Depth=1
	s_or_b32 exec_lo, exec_lo, s9
	v_mov_b32_e32 v23, 0
	v_mov_b32_e32 v21, 0
	v_and_b32_sdwa v5, v62, v49 dst_sel:DWORD dst_unused:UNUSED_PAD src0_sel:WORD_1 src1_sel:DWORD
	v_mov_b32_e32 v24, 0
	v_mov_b32_e32 v22, 0
	s_mov_b32 s9, exec_lo
	v_cmpx_ne_u16_e32 0, v5
	s_cbranch_execz .LBB246_633
; %bb.626:                              ;   in Loop: Header=BB246_541 Depth=1
	v_bfrev_b32_e32 v21, 1
	v_mov_b32_e32 v22, 0
	s_mov_b32 s13, exec_lo
	v_cmpx_ne_u16_e32 0x80, v5
	s_cbranch_execz .LBB246_632
; %bb.627:                              ;   in Loop: Header=BB246_541 Depth=1
	v_mov_b32_e32 v21, 0x7f800001
	v_bfe_u32 v13, v62, 16, 7
	v_mov_b32_e32 v22, 0
	s_mov_b32 s14, exec_lo
	v_cmpx_ne_u32_e32 0x7f, v13
	s_cbranch_execz .LBB246_631
; %bb.628:                              ;   in Loop: Header=BB246_541 Depth=1
	v_and_b32_sdwa v5, v62, v50 dst_sel:DWORD dst_unused:UNUSED_PAD src0_sel:WORD_1 src1_sel:DWORD
	v_lshrrev_b32_e32 v11, 3, v13
	s_mov_b32 s15, exec_lo
	v_cmpx_gt_u32_e32 8, v13
; %bb.629:                              ;   in Loop: Header=BB246_541 Depth=1
	v_ffbh_u32_e32 v11, v5
	v_min_u32_e32 v11, 32, v11
	v_subrev_nc_u32_e32 v13, 28, v11
	v_sub_nc_u32_e32 v11, 29, v11
	v_lshlrev_b64 v[21:22], v13, v[5:6]
	v_and_b32_e32 v5, 7, v21
; %bb.630:                              ;   in Loop: Header=BB246_541 Depth=1
	s_or_b32 exec_lo, exec_lo, s15
	v_lshlrev_b32_sdwa v13, v51, v62 dst_sel:DWORD dst_unused:UNUSED_PAD src0_sel:DWORD src1_sel:WORD_1
	v_lshlrev_b32_e32 v5, 20, v5
	v_lshl_add_u32 v11, v11, 23, 0x3c000000
	v_and_b32_e32 v13, 0x80000000, v13
	v_or3_b32 v5, v5, v13, v11
	v_mov_b32_e32 v22, v6
	v_mov_b32_e32 v21, v5
.LBB246_631:                            ;   in Loop: Header=BB246_541 Depth=1
	s_or_b32 exec_lo, exec_lo, s14
.LBB246_632:                            ;   in Loop: Header=BB246_541 Depth=1
	s_or_b32 exec_lo, exec_lo, s13
.LBB246_633:                            ;   in Loop: Header=BB246_541 Depth=1
	s_or_b32 exec_lo, exec_lo, s9
	s_mov_b32 s9, exec_lo
	v_cmpx_lt_u32_e32 0xffffff, v62
	s_cbranch_execz .LBB246_641
; %bb.634:                              ;   in Loop: Header=BB246_541 Depth=1
	v_mov_b32_e32 v11, v6
	v_mov_b32_e32 v24, v12
	v_cmp_ne_u32_sdwa s0, v62, v47 src0_sel:BYTE_3 src1_sel:DWORD
	v_mov_b32_e32 v23, v11
	s_and_saveexec_b32 s13, s0
	s_cbranch_execz .LBB246_640
; %bb.635:                              ;   in Loop: Header=BB246_541 Depth=1
	v_mov_b32_e32 v13, v6
	v_mov_b32_e32 v24, v14
	v_bfe_u32 v63, v62, 24, 7
	s_mov_b32 s14, exec_lo
	v_mov_b32_e32 v23, v13
	v_cmpx_ne_u32_e32 0x7f, v63
	s_cbranch_execz .LBB246_639
; %bb.636:                              ;   in Loop: Header=BB246_541 Depth=1
	v_and_b32_sdwa v5, v62, v50 dst_sel:DWORD dst_unused:UNUSED_PAD src0_sel:BYTE_3 src1_sel:DWORD
	v_lshrrev_b32_e32 v11, 3, v63
	s_mov_b32 s15, exec_lo
	v_cmpx_gt_u32_e32 8, v63
; %bb.637:                              ;   in Loop: Header=BB246_541 Depth=1
	v_ffbh_u32_e32 v11, v5
	v_min_u32_e32 v11, 32, v11
	v_subrev_nc_u32_e32 v13, 28, v11
	v_sub_nc_u32_e32 v11, 29, v11
	v_lshlrev_b64 v[23:24], v13, v[5:6]
	v_and_b32_e32 v5, 7, v23
; %bb.638:                              ;   in Loop: Header=BB246_541 Depth=1
	s_or_b32 exec_lo, exec_lo, s15
	v_lshlrev_b32_sdwa v13, v51, v62 dst_sel:DWORD dst_unused:UNUSED_PAD src0_sel:DWORD src1_sel:BYTE_3
	v_lshlrev_b32_e32 v5, 20, v5
	v_lshl_add_u32 v11, v11, 23, 0x3c000000
	v_mov_b32_e32 v23, v6
	v_and_b32_e32 v13, 0x80000000, v13
	v_or3_b32 v24, v5, v13, v11
.LBB246_639:                            ;   in Loop: Header=BB246_541 Depth=1
	s_or_b32 exec_lo, exec_lo, s14
.LBB246_640:                            ;   in Loop: Header=BB246_541 Depth=1
	s_or_b32 exec_lo, exec_lo, s13
.LBB246_641:                            ;   in Loop: Header=BB246_541 Depth=1
	s_or_b32 exec_lo, exec_lo, s9
	v_or_b32_e32 v5, v20, v18
	v_or_b32_e32 v11, v19, v17
	;; [unrolled: 1-line block ×4, first 2 shown]
	v_mul_f32_e32 v64, s6, v5
	v_mul_f32_e32 v65, s3, v11
	;; [unrolled: 1-line block ×4, first 2 shown]
	s_and_saveexec_b32 s9, vcc_lo
	s_cbranch_execz .LBB246_643
; %bb.642:                              ;   in Loop: Header=BB246_541 Depth=1
	v_cmp_gt_i32_e64 s0, s29, v55
	v_cndmask_b32_e64 v65, 0, v65, s0
	v_cmp_gt_i32_e64 s0, s29, v57
	v_cndmask_b32_e64 v64, 0, v64, s0
	v_cmp_gt_i32_e64 s0, s29, v56
	v_cndmask_b32_e64 v63, 0, v63, s0
	v_cmp_gt_i32_e64 s0, s29, v45
	v_cndmask_b32_e64 v62, 0, v62, s0
.LBB246_643:                            ;   in Loop: Header=BB246_541 Depth=1
	s_or_b32 exec_lo, exec_lo, s9
	global_load_dword v66, v[15:16], off offset:384
	v_mov_b32_e32 v19, 0
	v_mov_b32_e32 v17, 0
	;; [unrolled: 1-line block ×4, first 2 shown]
	s_waitcnt vmcnt(0)
	v_cmp_ne_u16_sdwa s0, v66, v6 src0_sel:BYTE_0 src1_sel:DWORD
	s_and_saveexec_b32 s9, s0
	s_cbranch_execz .LBB246_651
; %bb.644:                              ;   in Loop: Header=BB246_541 Depth=1
	v_bfrev_b32_e32 v17, 1
	v_mov_b32_e32 v18, 0
	v_cmp_ne_u16_sdwa s0, v66, v47 src0_sel:BYTE_0 src1_sel:DWORD
	s_and_saveexec_b32 s13, s0
	s_cbranch_execz .LBB246_650
; %bb.645:                              ;   in Loop: Header=BB246_541 Depth=1
	v_mov_b32_e32 v17, 0x7f800001
	v_and_b32_e32 v13, 0x7f, v66
	v_mov_b32_e32 v18, 0
	s_mov_b32 s14, exec_lo
	v_cmpx_ne_u32_e32 0x7f, v13
	s_cbranch_execz .LBB246_649
; %bb.646:                              ;   in Loop: Header=BB246_541 Depth=1
	v_and_b32_e32 v5, 7, v66
	v_lshrrev_b32_e32 v11, 3, v13
	s_mov_b32 s15, exec_lo
	v_cmpx_gt_u32_e32 8, v13
; %bb.647:                              ;   in Loop: Header=BB246_541 Depth=1
	v_ffbh_u32_e32 v11, v5
	v_min_u32_e32 v11, 32, v11
	v_subrev_nc_u32_e32 v13, 28, v11
	v_sub_nc_u32_e32 v11, 29, v11
	v_lshlrev_b64 v[17:18], v13, v[5:6]
	v_and_b32_e32 v5, 7, v17
; %bb.648:                              ;   in Loop: Header=BB246_541 Depth=1
	s_or_b32 exec_lo, exec_lo, s15
	v_lshlrev_b32_e32 v13, 24, v66
	v_lshlrev_b32_e32 v5, 20, v5
	v_lshl_add_u32 v11, v11, 23, 0x3c000000
	v_and_b32_e32 v13, 0x80000000, v13
	v_or3_b32 v5, v5, v13, v11
	v_mov_b32_e32 v18, v6
	v_mov_b32_e32 v17, v5
.LBB246_649:                            ;   in Loop: Header=BB246_541 Depth=1
	s_or_b32 exec_lo, exec_lo, s14
.LBB246_650:                            ;   in Loop: Header=BB246_541 Depth=1
	s_or_b32 exec_lo, exec_lo, s13
.LBB246_651:                            ;   in Loop: Header=BB246_541 Depth=1
	s_or_b32 exec_lo, exec_lo, s9
	v_cmp_ne_u16_sdwa s0, v66, v6 src0_sel:BYTE_1 src1_sel:DWORD
	s_and_saveexec_b32 s9, s0
	s_cbranch_execz .LBB246_659
; %bb.652:                              ;   in Loop: Header=BB246_541 Depth=1
	v_mov_b32_e32 v11, v6
	v_mov_b32_e32 v20, v12
	v_cmp_ne_u16_sdwa s0, v66, v47 src0_sel:BYTE_1 src1_sel:DWORD
	v_mov_b32_e32 v19, v11
	s_and_saveexec_b32 s13, s0
	s_cbranch_execz .LBB246_658
; %bb.653:                              ;   in Loop: Header=BB246_541 Depth=1
	v_and_b32_sdwa v5, v48, v66 dst_sel:DWORD dst_unused:UNUSED_PAD src0_sel:DWORD src1_sel:BYTE_1
	v_mov_b32_e32 v13, v6
	v_mov_b32_e32 v20, v14
	s_mov_b32 s14, exec_lo
	v_and_b32_e32 v21, 0x7f, v5
	v_mov_b32_e32 v19, v13
	v_cmpx_ne_u32_e32 0x7f, v21
	s_cbranch_execz .LBB246_657
; %bb.654:                              ;   in Loop: Header=BB246_541 Depth=1
	v_and_b32_e32 v5, 7, v5
	v_lshrrev_b32_e32 v11, 3, v21
	s_mov_b32 s15, exec_lo
	v_cmpx_gt_u32_e32 8, v21
; %bb.655:                              ;   in Loop: Header=BB246_541 Depth=1
	v_ffbh_u32_e32 v11, v5
	v_min_u32_e32 v11, 32, v11
	v_subrev_nc_u32_e32 v13, 28, v11
	v_sub_nc_u32_e32 v11, 29, v11
	v_lshlrev_b64 v[19:20], v13, v[5:6]
	v_and_b32_e32 v5, 7, v19
; %bb.656:                              ;   in Loop: Header=BB246_541 Depth=1
	s_or_b32 exec_lo, exec_lo, s15
	v_lshlrev_b32_e32 v13, 16, v66
	v_lshlrev_b32_e32 v5, 20, v5
	v_lshl_add_u32 v11, v11, 23, 0x3c000000
	v_mov_b32_e32 v19, v6
	v_and_b32_e32 v13, 0x80000000, v13
	v_or3_b32 v20, v5, v13, v11
.LBB246_657:                            ;   in Loop: Header=BB246_541 Depth=1
	s_or_b32 exec_lo, exec_lo, s14
.LBB246_658:                            ;   in Loop: Header=BB246_541 Depth=1
	s_or_b32 exec_lo, exec_lo, s13
.LBB246_659:                            ;   in Loop: Header=BB246_541 Depth=1
	s_or_b32 exec_lo, exec_lo, s9
	v_mov_b32_e32 v23, 0
	v_mov_b32_e32 v21, 0
	v_and_b32_sdwa v5, v66, v49 dst_sel:DWORD dst_unused:UNUSED_PAD src0_sel:WORD_1 src1_sel:DWORD
	v_mov_b32_e32 v24, 0
	v_mov_b32_e32 v22, 0
	s_mov_b32 s9, exec_lo
	v_cmpx_ne_u16_e32 0, v5
	s_cbranch_execz .LBB246_667
; %bb.660:                              ;   in Loop: Header=BB246_541 Depth=1
	v_bfrev_b32_e32 v21, 1
	v_mov_b32_e32 v22, 0
	s_mov_b32 s13, exec_lo
	v_cmpx_ne_u16_e32 0x80, v5
	s_cbranch_execz .LBB246_666
; %bb.661:                              ;   in Loop: Header=BB246_541 Depth=1
	v_mov_b32_e32 v21, 0x7f800001
	v_bfe_u32 v13, v66, 16, 7
	v_mov_b32_e32 v22, 0
	s_mov_b32 s14, exec_lo
	v_cmpx_ne_u32_e32 0x7f, v13
	s_cbranch_execz .LBB246_665
; %bb.662:                              ;   in Loop: Header=BB246_541 Depth=1
	v_and_b32_sdwa v5, v66, v50 dst_sel:DWORD dst_unused:UNUSED_PAD src0_sel:WORD_1 src1_sel:DWORD
	v_lshrrev_b32_e32 v11, 3, v13
	s_mov_b32 s15, exec_lo
	v_cmpx_gt_u32_e32 8, v13
; %bb.663:                              ;   in Loop: Header=BB246_541 Depth=1
	v_ffbh_u32_e32 v11, v5
	v_min_u32_e32 v11, 32, v11
	v_subrev_nc_u32_e32 v13, 28, v11
	v_sub_nc_u32_e32 v11, 29, v11
	v_lshlrev_b64 v[21:22], v13, v[5:6]
	v_and_b32_e32 v5, 7, v21
; %bb.664:                              ;   in Loop: Header=BB246_541 Depth=1
	s_or_b32 exec_lo, exec_lo, s15
	v_lshlrev_b32_sdwa v13, v51, v66 dst_sel:DWORD dst_unused:UNUSED_PAD src0_sel:DWORD src1_sel:WORD_1
	v_lshlrev_b32_e32 v5, 20, v5
	v_lshl_add_u32 v11, v11, 23, 0x3c000000
	v_and_b32_e32 v13, 0x80000000, v13
	v_or3_b32 v5, v5, v13, v11
	v_mov_b32_e32 v22, v6
	v_mov_b32_e32 v21, v5
.LBB246_665:                            ;   in Loop: Header=BB246_541 Depth=1
	s_or_b32 exec_lo, exec_lo, s14
.LBB246_666:                            ;   in Loop: Header=BB246_541 Depth=1
	s_or_b32 exec_lo, exec_lo, s13
.LBB246_667:                            ;   in Loop: Header=BB246_541 Depth=1
	s_or_b32 exec_lo, exec_lo, s9
	s_mov_b32 s9, exec_lo
	v_cmpx_lt_u32_e32 0xffffff, v66
	s_cbranch_execz .LBB246_675
; %bb.668:                              ;   in Loop: Header=BB246_541 Depth=1
	v_mov_b32_e32 v11, v6
	v_mov_b32_e32 v24, v12
	v_cmp_ne_u32_sdwa s0, v66, v47 src0_sel:BYTE_3 src1_sel:DWORD
	v_mov_b32_e32 v23, v11
	s_and_saveexec_b32 s13, s0
	s_cbranch_execz .LBB246_674
; %bb.669:                              ;   in Loop: Header=BB246_541 Depth=1
	v_mov_b32_e32 v13, v6
	v_mov_b32_e32 v24, v14
	v_bfe_u32 v67, v66, 24, 7
	s_mov_b32 s14, exec_lo
	v_mov_b32_e32 v23, v13
	v_cmpx_ne_u32_e32 0x7f, v67
	s_cbranch_execz .LBB246_673
; %bb.670:                              ;   in Loop: Header=BB246_541 Depth=1
	v_and_b32_sdwa v5, v66, v50 dst_sel:DWORD dst_unused:UNUSED_PAD src0_sel:BYTE_3 src1_sel:DWORD
	v_lshrrev_b32_e32 v11, 3, v67
	s_mov_b32 s15, exec_lo
	v_cmpx_gt_u32_e32 8, v67
; %bb.671:                              ;   in Loop: Header=BB246_541 Depth=1
	v_ffbh_u32_e32 v11, v5
	v_min_u32_e32 v11, 32, v11
	v_subrev_nc_u32_e32 v13, 28, v11
	v_sub_nc_u32_e32 v11, 29, v11
	v_lshlrev_b64 v[23:24], v13, v[5:6]
	v_and_b32_e32 v5, 7, v23
; %bb.672:                              ;   in Loop: Header=BB246_541 Depth=1
	s_or_b32 exec_lo, exec_lo, s15
	v_lshlrev_b32_sdwa v13, v51, v66 dst_sel:DWORD dst_unused:UNUSED_PAD src0_sel:DWORD src1_sel:BYTE_3
	v_lshlrev_b32_e32 v5, 20, v5
	v_lshl_add_u32 v11, v11, 23, 0x3c000000
	v_mov_b32_e32 v23, v6
	v_and_b32_e32 v13, 0x80000000, v13
	v_or3_b32 v24, v5, v13, v11
.LBB246_673:                            ;   in Loop: Header=BB246_541 Depth=1
	s_or_b32 exec_lo, exec_lo, s14
.LBB246_674:                            ;   in Loop: Header=BB246_541 Depth=1
	s_or_b32 exec_lo, exec_lo, s13
.LBB246_675:                            ;   in Loop: Header=BB246_541 Depth=1
	s_or_b32 exec_lo, exec_lo, s9
	v_or_b32_e32 v5, v20, v18
	v_or_b32_e32 v11, v19, v17
	;; [unrolled: 1-line block ×4, first 2 shown]
	v_mul_f32_e32 v68, s6, v5
	v_mul_f32_e32 v69, s3, v11
	;; [unrolled: 1-line block ×4, first 2 shown]
	s_and_saveexec_b32 s9, vcc_lo
	s_cbranch_execz .LBB246_677
; %bb.676:                              ;   in Loop: Header=BB246_541 Depth=1
	v_cmp_gt_i32_e64 s0, s29, v55
	v_cndmask_b32_e64 v69, 0, v69, s0
	v_cmp_gt_i32_e64 s0, s29, v57
	v_cndmask_b32_e64 v68, 0, v68, s0
	;; [unrolled: 2-line block ×4, first 2 shown]
.LBB246_677:                            ;   in Loop: Header=BB246_541 Depth=1
	s_or_b32 exec_lo, exec_lo, s9
	global_load_dword v70, v[15:16], off offset:512
	v_mov_b32_e32 v19, 0
	v_mov_b32_e32 v17, 0
	;; [unrolled: 1-line block ×4, first 2 shown]
	s_waitcnt vmcnt(0)
	v_cmp_ne_u16_sdwa s0, v70, v6 src0_sel:BYTE_0 src1_sel:DWORD
	s_and_saveexec_b32 s9, s0
	s_cbranch_execz .LBB246_685
; %bb.678:                              ;   in Loop: Header=BB246_541 Depth=1
	v_bfrev_b32_e32 v17, 1
	v_mov_b32_e32 v18, 0
	v_cmp_ne_u16_sdwa s0, v70, v47 src0_sel:BYTE_0 src1_sel:DWORD
	s_and_saveexec_b32 s13, s0
	s_cbranch_execz .LBB246_684
; %bb.679:                              ;   in Loop: Header=BB246_541 Depth=1
	v_mov_b32_e32 v17, 0x7f800001
	v_and_b32_e32 v13, 0x7f, v70
	v_mov_b32_e32 v18, 0
	s_mov_b32 s14, exec_lo
	v_cmpx_ne_u32_e32 0x7f, v13
	s_cbranch_execz .LBB246_683
; %bb.680:                              ;   in Loop: Header=BB246_541 Depth=1
	v_and_b32_e32 v5, 7, v70
	v_lshrrev_b32_e32 v11, 3, v13
	s_mov_b32 s15, exec_lo
	v_cmpx_gt_u32_e32 8, v13
; %bb.681:                              ;   in Loop: Header=BB246_541 Depth=1
	v_ffbh_u32_e32 v11, v5
	v_min_u32_e32 v11, 32, v11
	v_subrev_nc_u32_e32 v13, 28, v11
	v_sub_nc_u32_e32 v11, 29, v11
	v_lshlrev_b64 v[17:18], v13, v[5:6]
	v_and_b32_e32 v5, 7, v17
; %bb.682:                              ;   in Loop: Header=BB246_541 Depth=1
	s_or_b32 exec_lo, exec_lo, s15
	v_lshlrev_b32_e32 v13, 24, v70
	v_lshlrev_b32_e32 v5, 20, v5
	v_lshl_add_u32 v11, v11, 23, 0x3c000000
	v_and_b32_e32 v13, 0x80000000, v13
	v_or3_b32 v5, v5, v13, v11
	v_mov_b32_e32 v18, v6
	v_mov_b32_e32 v17, v5
.LBB246_683:                            ;   in Loop: Header=BB246_541 Depth=1
	s_or_b32 exec_lo, exec_lo, s14
.LBB246_684:                            ;   in Loop: Header=BB246_541 Depth=1
	s_or_b32 exec_lo, exec_lo, s13
.LBB246_685:                            ;   in Loop: Header=BB246_541 Depth=1
	s_or_b32 exec_lo, exec_lo, s9
	v_cmp_ne_u16_sdwa s0, v70, v6 src0_sel:BYTE_1 src1_sel:DWORD
	s_and_saveexec_b32 s9, s0
	s_cbranch_execz .LBB246_693
; %bb.686:                              ;   in Loop: Header=BB246_541 Depth=1
	v_mov_b32_e32 v11, v6
	v_mov_b32_e32 v20, v12
	v_cmp_ne_u16_sdwa s0, v70, v47 src0_sel:BYTE_1 src1_sel:DWORD
	v_mov_b32_e32 v19, v11
	s_and_saveexec_b32 s13, s0
	s_cbranch_execz .LBB246_692
; %bb.687:                              ;   in Loop: Header=BB246_541 Depth=1
	v_and_b32_sdwa v5, v48, v70 dst_sel:DWORD dst_unused:UNUSED_PAD src0_sel:DWORD src1_sel:BYTE_1
	v_mov_b32_e32 v13, v6
	v_mov_b32_e32 v20, v14
	s_mov_b32 s14, exec_lo
	v_and_b32_e32 v21, 0x7f, v5
	v_mov_b32_e32 v19, v13
	v_cmpx_ne_u32_e32 0x7f, v21
	s_cbranch_execz .LBB246_691
; %bb.688:                              ;   in Loop: Header=BB246_541 Depth=1
	v_and_b32_e32 v5, 7, v5
	v_lshrrev_b32_e32 v11, 3, v21
	s_mov_b32 s15, exec_lo
	v_cmpx_gt_u32_e32 8, v21
; %bb.689:                              ;   in Loop: Header=BB246_541 Depth=1
	v_ffbh_u32_e32 v11, v5
	v_min_u32_e32 v11, 32, v11
	v_subrev_nc_u32_e32 v13, 28, v11
	v_sub_nc_u32_e32 v11, 29, v11
	v_lshlrev_b64 v[19:20], v13, v[5:6]
	v_and_b32_e32 v5, 7, v19
; %bb.690:                              ;   in Loop: Header=BB246_541 Depth=1
	s_or_b32 exec_lo, exec_lo, s15
	v_lshlrev_b32_e32 v13, 16, v70
	v_lshlrev_b32_e32 v5, 20, v5
	v_lshl_add_u32 v11, v11, 23, 0x3c000000
	v_mov_b32_e32 v19, v6
	v_and_b32_e32 v13, 0x80000000, v13
	v_or3_b32 v20, v5, v13, v11
.LBB246_691:                            ;   in Loop: Header=BB246_541 Depth=1
	s_or_b32 exec_lo, exec_lo, s14
.LBB246_692:                            ;   in Loop: Header=BB246_541 Depth=1
	s_or_b32 exec_lo, exec_lo, s13
.LBB246_693:                            ;   in Loop: Header=BB246_541 Depth=1
	s_or_b32 exec_lo, exec_lo, s9
	v_mov_b32_e32 v23, 0
	v_mov_b32_e32 v21, 0
	v_and_b32_sdwa v5, v70, v49 dst_sel:DWORD dst_unused:UNUSED_PAD src0_sel:WORD_1 src1_sel:DWORD
	v_mov_b32_e32 v24, 0
	v_mov_b32_e32 v22, 0
	s_mov_b32 s9, exec_lo
	v_cmpx_ne_u16_e32 0, v5
	s_cbranch_execz .LBB246_701
; %bb.694:                              ;   in Loop: Header=BB246_541 Depth=1
	v_bfrev_b32_e32 v21, 1
	v_mov_b32_e32 v22, 0
	s_mov_b32 s13, exec_lo
	v_cmpx_ne_u16_e32 0x80, v5
	s_cbranch_execz .LBB246_700
; %bb.695:                              ;   in Loop: Header=BB246_541 Depth=1
	v_mov_b32_e32 v21, 0x7f800001
	v_bfe_u32 v13, v70, 16, 7
	v_mov_b32_e32 v22, 0
	s_mov_b32 s14, exec_lo
	v_cmpx_ne_u32_e32 0x7f, v13
	s_cbranch_execz .LBB246_699
; %bb.696:                              ;   in Loop: Header=BB246_541 Depth=1
	v_and_b32_sdwa v5, v70, v50 dst_sel:DWORD dst_unused:UNUSED_PAD src0_sel:WORD_1 src1_sel:DWORD
	v_lshrrev_b32_e32 v11, 3, v13
	s_mov_b32 s15, exec_lo
	v_cmpx_gt_u32_e32 8, v13
; %bb.697:                              ;   in Loop: Header=BB246_541 Depth=1
	v_ffbh_u32_e32 v11, v5
	v_min_u32_e32 v11, 32, v11
	v_subrev_nc_u32_e32 v13, 28, v11
	v_sub_nc_u32_e32 v11, 29, v11
	v_lshlrev_b64 v[21:22], v13, v[5:6]
	v_and_b32_e32 v5, 7, v21
; %bb.698:                              ;   in Loop: Header=BB246_541 Depth=1
	s_or_b32 exec_lo, exec_lo, s15
	v_lshlrev_b32_sdwa v13, v51, v70 dst_sel:DWORD dst_unused:UNUSED_PAD src0_sel:DWORD src1_sel:WORD_1
	v_lshlrev_b32_e32 v5, 20, v5
	v_lshl_add_u32 v11, v11, 23, 0x3c000000
	v_and_b32_e32 v13, 0x80000000, v13
	v_or3_b32 v5, v5, v13, v11
	v_mov_b32_e32 v22, v6
	v_mov_b32_e32 v21, v5
.LBB246_699:                            ;   in Loop: Header=BB246_541 Depth=1
	s_or_b32 exec_lo, exec_lo, s14
.LBB246_700:                            ;   in Loop: Header=BB246_541 Depth=1
	s_or_b32 exec_lo, exec_lo, s13
.LBB246_701:                            ;   in Loop: Header=BB246_541 Depth=1
	s_or_b32 exec_lo, exec_lo, s9
	s_mov_b32 s9, exec_lo
	v_cmpx_lt_u32_e32 0xffffff, v70
	s_cbranch_execz .LBB246_709
; %bb.702:                              ;   in Loop: Header=BB246_541 Depth=1
	v_mov_b32_e32 v11, v6
	v_mov_b32_e32 v24, v12
	v_cmp_ne_u32_sdwa s0, v70, v47 src0_sel:BYTE_3 src1_sel:DWORD
	v_mov_b32_e32 v23, v11
	s_and_saveexec_b32 s13, s0
	s_cbranch_execz .LBB246_708
; %bb.703:                              ;   in Loop: Header=BB246_541 Depth=1
	v_mov_b32_e32 v13, v6
	v_mov_b32_e32 v24, v14
	v_bfe_u32 v71, v70, 24, 7
	s_mov_b32 s14, exec_lo
	v_mov_b32_e32 v23, v13
	v_cmpx_ne_u32_e32 0x7f, v71
	s_cbranch_execz .LBB246_707
; %bb.704:                              ;   in Loop: Header=BB246_541 Depth=1
	v_and_b32_sdwa v5, v70, v50 dst_sel:DWORD dst_unused:UNUSED_PAD src0_sel:BYTE_3 src1_sel:DWORD
	v_lshrrev_b32_e32 v11, 3, v71
	s_mov_b32 s15, exec_lo
	v_cmpx_gt_u32_e32 8, v71
; %bb.705:                              ;   in Loop: Header=BB246_541 Depth=1
	v_ffbh_u32_e32 v11, v5
	v_min_u32_e32 v11, 32, v11
	v_subrev_nc_u32_e32 v13, 28, v11
	v_sub_nc_u32_e32 v11, 29, v11
	v_lshlrev_b64 v[23:24], v13, v[5:6]
	v_and_b32_e32 v5, 7, v23
; %bb.706:                              ;   in Loop: Header=BB246_541 Depth=1
	s_or_b32 exec_lo, exec_lo, s15
	v_lshlrev_b32_sdwa v13, v51, v70 dst_sel:DWORD dst_unused:UNUSED_PAD src0_sel:DWORD src1_sel:BYTE_3
	v_lshlrev_b32_e32 v5, 20, v5
	v_lshl_add_u32 v11, v11, 23, 0x3c000000
	v_mov_b32_e32 v23, v6
	v_and_b32_e32 v13, 0x80000000, v13
	v_or3_b32 v24, v5, v13, v11
.LBB246_707:                            ;   in Loop: Header=BB246_541 Depth=1
	s_or_b32 exec_lo, exec_lo, s14
.LBB246_708:                            ;   in Loop: Header=BB246_541 Depth=1
	s_or_b32 exec_lo, exec_lo, s13
.LBB246_709:                            ;   in Loop: Header=BB246_541 Depth=1
	s_or_b32 exec_lo, exec_lo, s9
	v_or_b32_e32 v5, v20, v18
	v_or_b32_e32 v11, v19, v17
	;; [unrolled: 1-line block ×4, first 2 shown]
	v_mul_f32_e32 v72, s6, v5
	v_mul_f32_e32 v73, s3, v11
	v_mul_f32_e32 v71, s3, v13
	v_mul_f32_e32 v70, s6, v17
	s_and_saveexec_b32 s9, vcc_lo
	s_cbranch_execz .LBB246_711
; %bb.710:                              ;   in Loop: Header=BB246_541 Depth=1
	v_cmp_gt_i32_e64 s0, s29, v55
	v_cndmask_b32_e64 v73, 0, v73, s0
	v_cmp_gt_i32_e64 s0, s29, v57
	v_cndmask_b32_e64 v72, 0, v72, s0
	;; [unrolled: 2-line block ×4, first 2 shown]
.LBB246_711:                            ;   in Loop: Header=BB246_541 Depth=1
	s_or_b32 exec_lo, exec_lo, s9
	global_load_dword v74, v[15:16], off offset:640
	v_mov_b32_e32 v19, 0
	v_mov_b32_e32 v17, 0
	;; [unrolled: 1-line block ×4, first 2 shown]
	s_waitcnt vmcnt(0)
	v_cmp_ne_u16_sdwa s0, v74, v6 src0_sel:BYTE_0 src1_sel:DWORD
	s_and_saveexec_b32 s9, s0
	s_cbranch_execz .LBB246_719
; %bb.712:                              ;   in Loop: Header=BB246_541 Depth=1
	v_bfrev_b32_e32 v17, 1
	v_mov_b32_e32 v18, 0
	v_cmp_ne_u16_sdwa s0, v74, v47 src0_sel:BYTE_0 src1_sel:DWORD
	s_and_saveexec_b32 s13, s0
	s_cbranch_execz .LBB246_718
; %bb.713:                              ;   in Loop: Header=BB246_541 Depth=1
	v_mov_b32_e32 v17, 0x7f800001
	v_and_b32_e32 v13, 0x7f, v74
	v_mov_b32_e32 v18, 0
	s_mov_b32 s14, exec_lo
	v_cmpx_ne_u32_e32 0x7f, v13
	s_cbranch_execz .LBB246_717
; %bb.714:                              ;   in Loop: Header=BB246_541 Depth=1
	v_and_b32_e32 v5, 7, v74
	v_lshrrev_b32_e32 v11, 3, v13
	s_mov_b32 s15, exec_lo
	v_cmpx_gt_u32_e32 8, v13
; %bb.715:                              ;   in Loop: Header=BB246_541 Depth=1
	v_ffbh_u32_e32 v11, v5
	v_min_u32_e32 v11, 32, v11
	v_subrev_nc_u32_e32 v13, 28, v11
	v_sub_nc_u32_e32 v11, 29, v11
	v_lshlrev_b64 v[17:18], v13, v[5:6]
	v_and_b32_e32 v5, 7, v17
; %bb.716:                              ;   in Loop: Header=BB246_541 Depth=1
	s_or_b32 exec_lo, exec_lo, s15
	v_lshlrev_b32_e32 v13, 24, v74
	v_lshlrev_b32_e32 v5, 20, v5
	v_lshl_add_u32 v11, v11, 23, 0x3c000000
	v_and_b32_e32 v13, 0x80000000, v13
	v_or3_b32 v5, v5, v13, v11
	v_mov_b32_e32 v18, v6
	v_mov_b32_e32 v17, v5
.LBB246_717:                            ;   in Loop: Header=BB246_541 Depth=1
	s_or_b32 exec_lo, exec_lo, s14
.LBB246_718:                            ;   in Loop: Header=BB246_541 Depth=1
	s_or_b32 exec_lo, exec_lo, s13
.LBB246_719:                            ;   in Loop: Header=BB246_541 Depth=1
	s_or_b32 exec_lo, exec_lo, s9
	v_cmp_ne_u16_sdwa s0, v74, v6 src0_sel:BYTE_1 src1_sel:DWORD
	s_and_saveexec_b32 s9, s0
	s_cbranch_execz .LBB246_727
; %bb.720:                              ;   in Loop: Header=BB246_541 Depth=1
	v_mov_b32_e32 v11, v6
	v_mov_b32_e32 v20, v12
	v_cmp_ne_u16_sdwa s0, v74, v47 src0_sel:BYTE_1 src1_sel:DWORD
	v_mov_b32_e32 v19, v11
	s_and_saveexec_b32 s13, s0
	s_cbranch_execz .LBB246_726
; %bb.721:                              ;   in Loop: Header=BB246_541 Depth=1
	v_and_b32_sdwa v5, v48, v74 dst_sel:DWORD dst_unused:UNUSED_PAD src0_sel:DWORD src1_sel:BYTE_1
	v_mov_b32_e32 v13, v6
	v_mov_b32_e32 v20, v14
	s_mov_b32 s14, exec_lo
	v_and_b32_e32 v21, 0x7f, v5
	v_mov_b32_e32 v19, v13
	v_cmpx_ne_u32_e32 0x7f, v21
	s_cbranch_execz .LBB246_725
; %bb.722:                              ;   in Loop: Header=BB246_541 Depth=1
	v_and_b32_e32 v5, 7, v5
	v_lshrrev_b32_e32 v11, 3, v21
	s_mov_b32 s15, exec_lo
	v_cmpx_gt_u32_e32 8, v21
; %bb.723:                              ;   in Loop: Header=BB246_541 Depth=1
	v_ffbh_u32_e32 v11, v5
	v_min_u32_e32 v11, 32, v11
	v_subrev_nc_u32_e32 v13, 28, v11
	v_sub_nc_u32_e32 v11, 29, v11
	v_lshlrev_b64 v[19:20], v13, v[5:6]
	v_and_b32_e32 v5, 7, v19
; %bb.724:                              ;   in Loop: Header=BB246_541 Depth=1
	s_or_b32 exec_lo, exec_lo, s15
	v_lshlrev_b32_e32 v13, 16, v74
	v_lshlrev_b32_e32 v5, 20, v5
	v_lshl_add_u32 v11, v11, 23, 0x3c000000
	v_mov_b32_e32 v19, v6
	v_and_b32_e32 v13, 0x80000000, v13
	v_or3_b32 v20, v5, v13, v11
.LBB246_725:                            ;   in Loop: Header=BB246_541 Depth=1
	s_or_b32 exec_lo, exec_lo, s14
.LBB246_726:                            ;   in Loop: Header=BB246_541 Depth=1
	s_or_b32 exec_lo, exec_lo, s13
.LBB246_727:                            ;   in Loop: Header=BB246_541 Depth=1
	s_or_b32 exec_lo, exec_lo, s9
	v_mov_b32_e32 v23, 0
	v_mov_b32_e32 v21, 0
	v_and_b32_sdwa v5, v74, v49 dst_sel:DWORD dst_unused:UNUSED_PAD src0_sel:WORD_1 src1_sel:DWORD
	v_mov_b32_e32 v24, 0
	v_mov_b32_e32 v22, 0
	s_mov_b32 s9, exec_lo
	v_cmpx_ne_u16_e32 0, v5
	s_cbranch_execz .LBB246_735
; %bb.728:                              ;   in Loop: Header=BB246_541 Depth=1
	v_bfrev_b32_e32 v21, 1
	v_mov_b32_e32 v22, 0
	s_mov_b32 s13, exec_lo
	v_cmpx_ne_u16_e32 0x80, v5
	s_cbranch_execz .LBB246_734
; %bb.729:                              ;   in Loop: Header=BB246_541 Depth=1
	v_mov_b32_e32 v21, 0x7f800001
	v_bfe_u32 v13, v74, 16, 7
	v_mov_b32_e32 v22, 0
	s_mov_b32 s14, exec_lo
	v_cmpx_ne_u32_e32 0x7f, v13
	s_cbranch_execz .LBB246_733
; %bb.730:                              ;   in Loop: Header=BB246_541 Depth=1
	v_and_b32_sdwa v5, v74, v50 dst_sel:DWORD dst_unused:UNUSED_PAD src0_sel:WORD_1 src1_sel:DWORD
	v_lshrrev_b32_e32 v11, 3, v13
	s_mov_b32 s15, exec_lo
	v_cmpx_gt_u32_e32 8, v13
; %bb.731:                              ;   in Loop: Header=BB246_541 Depth=1
	v_ffbh_u32_e32 v11, v5
	v_min_u32_e32 v11, 32, v11
	v_subrev_nc_u32_e32 v13, 28, v11
	v_sub_nc_u32_e32 v11, 29, v11
	v_lshlrev_b64 v[21:22], v13, v[5:6]
	v_and_b32_e32 v5, 7, v21
; %bb.732:                              ;   in Loop: Header=BB246_541 Depth=1
	s_or_b32 exec_lo, exec_lo, s15
	v_lshlrev_b32_sdwa v13, v51, v74 dst_sel:DWORD dst_unused:UNUSED_PAD src0_sel:DWORD src1_sel:WORD_1
	v_lshlrev_b32_e32 v5, 20, v5
	v_lshl_add_u32 v11, v11, 23, 0x3c000000
	v_and_b32_e32 v13, 0x80000000, v13
	v_or3_b32 v5, v5, v13, v11
	v_mov_b32_e32 v22, v6
	v_mov_b32_e32 v21, v5
.LBB246_733:                            ;   in Loop: Header=BB246_541 Depth=1
	s_or_b32 exec_lo, exec_lo, s14
.LBB246_734:                            ;   in Loop: Header=BB246_541 Depth=1
	s_or_b32 exec_lo, exec_lo, s13
.LBB246_735:                            ;   in Loop: Header=BB246_541 Depth=1
	s_or_b32 exec_lo, exec_lo, s9
	s_mov_b32 s9, exec_lo
	v_cmpx_lt_u32_e32 0xffffff, v74
	s_cbranch_execz .LBB246_743
; %bb.736:                              ;   in Loop: Header=BB246_541 Depth=1
	v_mov_b32_e32 v11, v6
	v_mov_b32_e32 v24, v12
	v_cmp_ne_u32_sdwa s0, v74, v47 src0_sel:BYTE_3 src1_sel:DWORD
	v_mov_b32_e32 v23, v11
	s_and_saveexec_b32 s13, s0
	s_cbranch_execz .LBB246_742
; %bb.737:                              ;   in Loop: Header=BB246_541 Depth=1
	v_mov_b32_e32 v13, v6
	v_mov_b32_e32 v24, v14
	v_bfe_u32 v75, v74, 24, 7
	s_mov_b32 s14, exec_lo
	v_mov_b32_e32 v23, v13
	v_cmpx_ne_u32_e32 0x7f, v75
	s_cbranch_execz .LBB246_741
; %bb.738:                              ;   in Loop: Header=BB246_541 Depth=1
	v_and_b32_sdwa v5, v74, v50 dst_sel:DWORD dst_unused:UNUSED_PAD src0_sel:BYTE_3 src1_sel:DWORD
	v_lshrrev_b32_e32 v11, 3, v75
	s_mov_b32 s15, exec_lo
	v_cmpx_gt_u32_e32 8, v75
; %bb.739:                              ;   in Loop: Header=BB246_541 Depth=1
	v_ffbh_u32_e32 v11, v5
	v_min_u32_e32 v11, 32, v11
	v_subrev_nc_u32_e32 v13, 28, v11
	v_sub_nc_u32_e32 v11, 29, v11
	v_lshlrev_b64 v[23:24], v13, v[5:6]
	v_and_b32_e32 v5, 7, v23
; %bb.740:                              ;   in Loop: Header=BB246_541 Depth=1
	s_or_b32 exec_lo, exec_lo, s15
	v_lshlrev_b32_sdwa v13, v51, v74 dst_sel:DWORD dst_unused:UNUSED_PAD src0_sel:DWORD src1_sel:BYTE_3
	v_lshlrev_b32_e32 v5, 20, v5
	v_lshl_add_u32 v11, v11, 23, 0x3c000000
	v_mov_b32_e32 v23, v6
	v_and_b32_e32 v13, 0x80000000, v13
	v_or3_b32 v24, v5, v13, v11
.LBB246_741:                            ;   in Loop: Header=BB246_541 Depth=1
	s_or_b32 exec_lo, exec_lo, s14
.LBB246_742:                            ;   in Loop: Header=BB246_541 Depth=1
	s_or_b32 exec_lo, exec_lo, s13
.LBB246_743:                            ;   in Loop: Header=BB246_541 Depth=1
	s_or_b32 exec_lo, exec_lo, s9
	v_or_b32_e32 v5, v20, v18
	v_or_b32_e32 v11, v19, v17
	;; [unrolled: 1-line block ×4, first 2 shown]
	v_mul_f32_e32 v76, s6, v5
	v_mul_f32_e32 v77, s3, v11
	;; [unrolled: 1-line block ×4, first 2 shown]
	s_and_saveexec_b32 s9, vcc_lo
	s_cbranch_execz .LBB246_745
; %bb.744:                              ;   in Loop: Header=BB246_541 Depth=1
	v_cmp_gt_i32_e64 s0, s29, v55
	v_cndmask_b32_e64 v77, 0, v77, s0
	v_cmp_gt_i32_e64 s0, s29, v57
	v_cndmask_b32_e64 v76, 0, v76, s0
	;; [unrolled: 2-line block ×4, first 2 shown]
.LBB246_745:                            ;   in Loop: Header=BB246_541 Depth=1
	s_or_b32 exec_lo, exec_lo, s9
	global_load_dword v78, v[15:16], off offset:768
	v_mov_b32_e32 v19, 0
	v_mov_b32_e32 v17, 0
	;; [unrolled: 1-line block ×4, first 2 shown]
	s_waitcnt vmcnt(0)
	v_cmp_ne_u16_sdwa s0, v78, v6 src0_sel:BYTE_0 src1_sel:DWORD
	s_and_saveexec_b32 s9, s0
	s_cbranch_execz .LBB246_753
; %bb.746:                              ;   in Loop: Header=BB246_541 Depth=1
	v_bfrev_b32_e32 v17, 1
	v_mov_b32_e32 v18, 0
	v_cmp_ne_u16_sdwa s0, v78, v47 src0_sel:BYTE_0 src1_sel:DWORD
	s_and_saveexec_b32 s13, s0
	s_cbranch_execz .LBB246_752
; %bb.747:                              ;   in Loop: Header=BB246_541 Depth=1
	v_mov_b32_e32 v17, 0x7f800001
	v_and_b32_e32 v13, 0x7f, v78
	v_mov_b32_e32 v18, 0
	s_mov_b32 s14, exec_lo
	v_cmpx_ne_u32_e32 0x7f, v13
	s_cbranch_execz .LBB246_751
; %bb.748:                              ;   in Loop: Header=BB246_541 Depth=1
	v_and_b32_e32 v5, 7, v78
	v_lshrrev_b32_e32 v11, 3, v13
	s_mov_b32 s15, exec_lo
	v_cmpx_gt_u32_e32 8, v13
; %bb.749:                              ;   in Loop: Header=BB246_541 Depth=1
	v_ffbh_u32_e32 v11, v5
	v_min_u32_e32 v11, 32, v11
	v_subrev_nc_u32_e32 v13, 28, v11
	v_sub_nc_u32_e32 v11, 29, v11
	v_lshlrev_b64 v[17:18], v13, v[5:6]
	v_and_b32_e32 v5, 7, v17
; %bb.750:                              ;   in Loop: Header=BB246_541 Depth=1
	s_or_b32 exec_lo, exec_lo, s15
	v_lshlrev_b32_e32 v13, 24, v78
	v_lshlrev_b32_e32 v5, 20, v5
	v_lshl_add_u32 v11, v11, 23, 0x3c000000
	v_and_b32_e32 v13, 0x80000000, v13
	v_or3_b32 v5, v5, v13, v11
	v_mov_b32_e32 v18, v6
	v_mov_b32_e32 v17, v5
.LBB246_751:                            ;   in Loop: Header=BB246_541 Depth=1
	s_or_b32 exec_lo, exec_lo, s14
.LBB246_752:                            ;   in Loop: Header=BB246_541 Depth=1
	s_or_b32 exec_lo, exec_lo, s13
.LBB246_753:                            ;   in Loop: Header=BB246_541 Depth=1
	s_or_b32 exec_lo, exec_lo, s9
	v_cmp_ne_u16_sdwa s0, v78, v6 src0_sel:BYTE_1 src1_sel:DWORD
	s_and_saveexec_b32 s9, s0
	s_cbranch_execz .LBB246_761
; %bb.754:                              ;   in Loop: Header=BB246_541 Depth=1
	v_mov_b32_e32 v11, v6
	v_mov_b32_e32 v20, v12
	v_cmp_ne_u16_sdwa s0, v78, v47 src0_sel:BYTE_1 src1_sel:DWORD
	v_mov_b32_e32 v19, v11
	s_and_saveexec_b32 s13, s0
	s_cbranch_execz .LBB246_760
; %bb.755:                              ;   in Loop: Header=BB246_541 Depth=1
	v_and_b32_sdwa v5, v48, v78 dst_sel:DWORD dst_unused:UNUSED_PAD src0_sel:DWORD src1_sel:BYTE_1
	v_mov_b32_e32 v13, v6
	v_mov_b32_e32 v20, v14
	s_mov_b32 s14, exec_lo
	v_and_b32_e32 v21, 0x7f, v5
	v_mov_b32_e32 v19, v13
	v_cmpx_ne_u32_e32 0x7f, v21
	s_cbranch_execz .LBB246_759
; %bb.756:                              ;   in Loop: Header=BB246_541 Depth=1
	v_and_b32_e32 v5, 7, v5
	v_lshrrev_b32_e32 v11, 3, v21
	s_mov_b32 s15, exec_lo
	v_cmpx_gt_u32_e32 8, v21
; %bb.757:                              ;   in Loop: Header=BB246_541 Depth=1
	v_ffbh_u32_e32 v11, v5
	v_min_u32_e32 v11, 32, v11
	v_subrev_nc_u32_e32 v13, 28, v11
	v_sub_nc_u32_e32 v11, 29, v11
	v_lshlrev_b64 v[19:20], v13, v[5:6]
	v_and_b32_e32 v5, 7, v19
; %bb.758:                              ;   in Loop: Header=BB246_541 Depth=1
	s_or_b32 exec_lo, exec_lo, s15
	v_lshlrev_b32_e32 v13, 16, v78
	v_lshlrev_b32_e32 v5, 20, v5
	v_lshl_add_u32 v11, v11, 23, 0x3c000000
	v_mov_b32_e32 v19, v6
	v_and_b32_e32 v13, 0x80000000, v13
	v_or3_b32 v20, v5, v13, v11
.LBB246_759:                            ;   in Loop: Header=BB246_541 Depth=1
	s_or_b32 exec_lo, exec_lo, s14
.LBB246_760:                            ;   in Loop: Header=BB246_541 Depth=1
	s_or_b32 exec_lo, exec_lo, s13
.LBB246_761:                            ;   in Loop: Header=BB246_541 Depth=1
	s_or_b32 exec_lo, exec_lo, s9
	v_mov_b32_e32 v23, 0
	v_mov_b32_e32 v21, 0
	v_and_b32_sdwa v5, v78, v49 dst_sel:DWORD dst_unused:UNUSED_PAD src0_sel:WORD_1 src1_sel:DWORD
	v_mov_b32_e32 v24, 0
	v_mov_b32_e32 v22, 0
	s_mov_b32 s9, exec_lo
	v_cmpx_ne_u16_e32 0, v5
	s_cbranch_execz .LBB246_769
; %bb.762:                              ;   in Loop: Header=BB246_541 Depth=1
	v_bfrev_b32_e32 v21, 1
	v_mov_b32_e32 v22, 0
	s_mov_b32 s13, exec_lo
	v_cmpx_ne_u16_e32 0x80, v5
	s_cbranch_execz .LBB246_768
; %bb.763:                              ;   in Loop: Header=BB246_541 Depth=1
	v_mov_b32_e32 v21, 0x7f800001
	v_bfe_u32 v13, v78, 16, 7
	v_mov_b32_e32 v22, 0
	s_mov_b32 s14, exec_lo
	v_cmpx_ne_u32_e32 0x7f, v13
	s_cbranch_execz .LBB246_767
; %bb.764:                              ;   in Loop: Header=BB246_541 Depth=1
	v_and_b32_sdwa v5, v78, v50 dst_sel:DWORD dst_unused:UNUSED_PAD src0_sel:WORD_1 src1_sel:DWORD
	v_lshrrev_b32_e32 v11, 3, v13
	s_mov_b32 s15, exec_lo
	v_cmpx_gt_u32_e32 8, v13
; %bb.765:                              ;   in Loop: Header=BB246_541 Depth=1
	v_ffbh_u32_e32 v11, v5
	v_min_u32_e32 v11, 32, v11
	v_subrev_nc_u32_e32 v13, 28, v11
	v_sub_nc_u32_e32 v11, 29, v11
	v_lshlrev_b64 v[21:22], v13, v[5:6]
	v_and_b32_e32 v5, 7, v21
; %bb.766:                              ;   in Loop: Header=BB246_541 Depth=1
	s_or_b32 exec_lo, exec_lo, s15
	v_lshlrev_b32_sdwa v13, v51, v78 dst_sel:DWORD dst_unused:UNUSED_PAD src0_sel:DWORD src1_sel:WORD_1
	v_lshlrev_b32_e32 v5, 20, v5
	v_lshl_add_u32 v11, v11, 23, 0x3c000000
	v_and_b32_e32 v13, 0x80000000, v13
	v_or3_b32 v5, v5, v13, v11
	v_mov_b32_e32 v22, v6
	v_mov_b32_e32 v21, v5
.LBB246_767:                            ;   in Loop: Header=BB246_541 Depth=1
	s_or_b32 exec_lo, exec_lo, s14
.LBB246_768:                            ;   in Loop: Header=BB246_541 Depth=1
	s_or_b32 exec_lo, exec_lo, s13
.LBB246_769:                            ;   in Loop: Header=BB246_541 Depth=1
	s_or_b32 exec_lo, exec_lo, s9
	s_mov_b32 s9, exec_lo
	v_cmpx_lt_u32_e32 0xffffff, v78
	s_cbranch_execz .LBB246_777
; %bb.770:                              ;   in Loop: Header=BB246_541 Depth=1
	v_mov_b32_e32 v11, v6
	v_mov_b32_e32 v24, v12
	v_cmp_ne_u32_sdwa s0, v78, v47 src0_sel:BYTE_3 src1_sel:DWORD
	v_mov_b32_e32 v23, v11
	s_and_saveexec_b32 s13, s0
	s_cbranch_execz .LBB246_776
; %bb.771:                              ;   in Loop: Header=BB246_541 Depth=1
	v_mov_b32_e32 v13, v6
	v_mov_b32_e32 v24, v14
	v_bfe_u32 v79, v78, 24, 7
	s_mov_b32 s14, exec_lo
	v_mov_b32_e32 v23, v13
	v_cmpx_ne_u32_e32 0x7f, v79
	s_cbranch_execz .LBB246_775
; %bb.772:                              ;   in Loop: Header=BB246_541 Depth=1
	v_and_b32_sdwa v5, v78, v50 dst_sel:DWORD dst_unused:UNUSED_PAD src0_sel:BYTE_3 src1_sel:DWORD
	v_lshrrev_b32_e32 v11, 3, v79
	s_mov_b32 s15, exec_lo
	v_cmpx_gt_u32_e32 8, v79
; %bb.773:                              ;   in Loop: Header=BB246_541 Depth=1
	v_ffbh_u32_e32 v11, v5
	v_min_u32_e32 v11, 32, v11
	v_subrev_nc_u32_e32 v13, 28, v11
	v_sub_nc_u32_e32 v11, 29, v11
	v_lshlrev_b64 v[23:24], v13, v[5:6]
	v_and_b32_e32 v5, 7, v23
; %bb.774:                              ;   in Loop: Header=BB246_541 Depth=1
	s_or_b32 exec_lo, exec_lo, s15
	v_lshlrev_b32_sdwa v13, v51, v78 dst_sel:DWORD dst_unused:UNUSED_PAD src0_sel:DWORD src1_sel:BYTE_3
	v_lshlrev_b32_e32 v5, 20, v5
	v_lshl_add_u32 v11, v11, 23, 0x3c000000
	v_mov_b32_e32 v23, v6
	v_and_b32_e32 v13, 0x80000000, v13
	v_or3_b32 v24, v5, v13, v11
.LBB246_775:                            ;   in Loop: Header=BB246_541 Depth=1
	s_or_b32 exec_lo, exec_lo, s14
.LBB246_776:                            ;   in Loop: Header=BB246_541 Depth=1
	s_or_b32 exec_lo, exec_lo, s13
.LBB246_777:                            ;   in Loop: Header=BB246_541 Depth=1
	s_or_b32 exec_lo, exec_lo, s9
	v_or_b32_e32 v5, v20, v18
	v_or_b32_e32 v11, v19, v17
	;; [unrolled: 1-line block ×4, first 2 shown]
	v_mul_f32_e32 v80, s6, v5
	v_mul_f32_e32 v81, s3, v11
	;; [unrolled: 1-line block ×4, first 2 shown]
	s_and_saveexec_b32 s9, vcc_lo
	s_cbranch_execz .LBB246_779
; %bb.778:                              ;   in Loop: Header=BB246_541 Depth=1
	v_cmp_gt_i32_e64 s0, s29, v55
	v_cndmask_b32_e64 v81, 0, v81, s0
	v_cmp_gt_i32_e64 s0, s29, v57
	v_cndmask_b32_e64 v80, 0, v80, s0
	;; [unrolled: 2-line block ×4, first 2 shown]
.LBB246_779:                            ;   in Loop: Header=BB246_541 Depth=1
	s_or_b32 exec_lo, exec_lo, s9
	global_load_dword v82, v[15:16], off offset:896
	v_mov_b32_e32 v19, 0
	v_mov_b32_e32 v17, 0
	;; [unrolled: 1-line block ×4, first 2 shown]
	s_waitcnt vmcnt(0)
	v_cmp_ne_u16_sdwa s0, v82, v6 src0_sel:BYTE_0 src1_sel:DWORD
	s_and_saveexec_b32 s9, s0
	s_cbranch_execz .LBB246_787
; %bb.780:                              ;   in Loop: Header=BB246_541 Depth=1
	v_bfrev_b32_e32 v17, 1
	v_mov_b32_e32 v18, 0
	v_cmp_ne_u16_sdwa s0, v82, v47 src0_sel:BYTE_0 src1_sel:DWORD
	s_and_saveexec_b32 s13, s0
	s_cbranch_execz .LBB246_786
; %bb.781:                              ;   in Loop: Header=BB246_541 Depth=1
	v_mov_b32_e32 v17, 0x7f800001
	v_and_b32_e32 v13, 0x7f, v82
	v_mov_b32_e32 v18, 0
	s_mov_b32 s14, exec_lo
	v_cmpx_ne_u32_e32 0x7f, v13
	s_cbranch_execz .LBB246_785
; %bb.782:                              ;   in Loop: Header=BB246_541 Depth=1
	v_and_b32_e32 v5, 7, v82
	v_lshrrev_b32_e32 v11, 3, v13
	s_mov_b32 s15, exec_lo
	v_cmpx_gt_u32_e32 8, v13
; %bb.783:                              ;   in Loop: Header=BB246_541 Depth=1
	v_ffbh_u32_e32 v11, v5
	v_min_u32_e32 v11, 32, v11
	v_subrev_nc_u32_e32 v13, 28, v11
	v_sub_nc_u32_e32 v11, 29, v11
	v_lshlrev_b64 v[17:18], v13, v[5:6]
	v_and_b32_e32 v5, 7, v17
; %bb.784:                              ;   in Loop: Header=BB246_541 Depth=1
	s_or_b32 exec_lo, exec_lo, s15
	v_lshlrev_b32_e32 v13, 24, v82
	v_lshlrev_b32_e32 v5, 20, v5
	v_lshl_add_u32 v11, v11, 23, 0x3c000000
	v_and_b32_e32 v13, 0x80000000, v13
	v_or3_b32 v5, v5, v13, v11
	v_mov_b32_e32 v18, v6
	v_mov_b32_e32 v17, v5
.LBB246_785:                            ;   in Loop: Header=BB246_541 Depth=1
	s_or_b32 exec_lo, exec_lo, s14
.LBB246_786:                            ;   in Loop: Header=BB246_541 Depth=1
	s_or_b32 exec_lo, exec_lo, s13
.LBB246_787:                            ;   in Loop: Header=BB246_541 Depth=1
	s_or_b32 exec_lo, exec_lo, s9
	v_cmp_ne_u16_sdwa s0, v82, v6 src0_sel:BYTE_1 src1_sel:DWORD
	s_and_saveexec_b32 s9, s0
	s_cbranch_execz .LBB246_795
; %bb.788:                              ;   in Loop: Header=BB246_541 Depth=1
	v_mov_b32_e32 v11, v6
	v_mov_b32_e32 v20, v12
	v_cmp_ne_u16_sdwa s0, v82, v47 src0_sel:BYTE_1 src1_sel:DWORD
	v_mov_b32_e32 v19, v11
	s_and_saveexec_b32 s13, s0
	s_cbranch_execz .LBB246_794
; %bb.789:                              ;   in Loop: Header=BB246_541 Depth=1
	v_and_b32_sdwa v5, v48, v82 dst_sel:DWORD dst_unused:UNUSED_PAD src0_sel:DWORD src1_sel:BYTE_1
	v_mov_b32_e32 v13, v6
	v_mov_b32_e32 v20, v14
	s_mov_b32 s14, exec_lo
	v_and_b32_e32 v21, 0x7f, v5
	v_mov_b32_e32 v19, v13
	v_cmpx_ne_u32_e32 0x7f, v21
	s_cbranch_execz .LBB246_793
; %bb.790:                              ;   in Loop: Header=BB246_541 Depth=1
	v_and_b32_e32 v5, 7, v5
	v_lshrrev_b32_e32 v11, 3, v21
	s_mov_b32 s15, exec_lo
	v_cmpx_gt_u32_e32 8, v21
; %bb.791:                              ;   in Loop: Header=BB246_541 Depth=1
	v_ffbh_u32_e32 v11, v5
	v_min_u32_e32 v11, 32, v11
	v_subrev_nc_u32_e32 v13, 28, v11
	v_sub_nc_u32_e32 v11, 29, v11
	v_lshlrev_b64 v[19:20], v13, v[5:6]
	v_and_b32_e32 v5, 7, v19
; %bb.792:                              ;   in Loop: Header=BB246_541 Depth=1
	s_or_b32 exec_lo, exec_lo, s15
	v_lshlrev_b32_e32 v13, 16, v82
	v_lshlrev_b32_e32 v5, 20, v5
	v_lshl_add_u32 v11, v11, 23, 0x3c000000
	v_mov_b32_e32 v19, v6
	v_and_b32_e32 v13, 0x80000000, v13
	v_or3_b32 v20, v5, v13, v11
.LBB246_793:                            ;   in Loop: Header=BB246_541 Depth=1
	s_or_b32 exec_lo, exec_lo, s14
.LBB246_794:                            ;   in Loop: Header=BB246_541 Depth=1
	s_or_b32 exec_lo, exec_lo, s13
.LBB246_795:                            ;   in Loop: Header=BB246_541 Depth=1
	s_or_b32 exec_lo, exec_lo, s9
	v_mov_b32_e32 v23, 0
	v_mov_b32_e32 v21, 0
	v_and_b32_sdwa v5, v82, v49 dst_sel:DWORD dst_unused:UNUSED_PAD src0_sel:WORD_1 src1_sel:DWORD
	v_mov_b32_e32 v24, 0
	v_mov_b32_e32 v22, 0
	s_mov_b32 s9, exec_lo
	v_cmpx_ne_u16_e32 0, v5
	s_cbranch_execz .LBB246_803
; %bb.796:                              ;   in Loop: Header=BB246_541 Depth=1
	v_bfrev_b32_e32 v21, 1
	v_mov_b32_e32 v22, 0
	s_mov_b32 s13, exec_lo
	v_cmpx_ne_u16_e32 0x80, v5
	s_cbranch_execz .LBB246_802
; %bb.797:                              ;   in Loop: Header=BB246_541 Depth=1
	v_mov_b32_e32 v21, 0x7f800001
	v_bfe_u32 v13, v82, 16, 7
	v_mov_b32_e32 v22, 0
	s_mov_b32 s14, exec_lo
	v_cmpx_ne_u32_e32 0x7f, v13
	s_cbranch_execz .LBB246_801
; %bb.798:                              ;   in Loop: Header=BB246_541 Depth=1
	v_and_b32_sdwa v5, v82, v50 dst_sel:DWORD dst_unused:UNUSED_PAD src0_sel:WORD_1 src1_sel:DWORD
	v_lshrrev_b32_e32 v11, 3, v13
	s_mov_b32 s15, exec_lo
	v_cmpx_gt_u32_e32 8, v13
; %bb.799:                              ;   in Loop: Header=BB246_541 Depth=1
	v_ffbh_u32_e32 v11, v5
	v_min_u32_e32 v11, 32, v11
	v_subrev_nc_u32_e32 v13, 28, v11
	v_sub_nc_u32_e32 v11, 29, v11
	v_lshlrev_b64 v[21:22], v13, v[5:6]
	v_and_b32_e32 v5, 7, v21
; %bb.800:                              ;   in Loop: Header=BB246_541 Depth=1
	s_or_b32 exec_lo, exec_lo, s15
	v_lshlrev_b32_sdwa v13, v51, v82 dst_sel:DWORD dst_unused:UNUSED_PAD src0_sel:DWORD src1_sel:WORD_1
	v_lshlrev_b32_e32 v5, 20, v5
	v_lshl_add_u32 v11, v11, 23, 0x3c000000
	v_and_b32_e32 v13, 0x80000000, v13
	v_or3_b32 v5, v5, v13, v11
	v_mov_b32_e32 v22, v6
	v_mov_b32_e32 v21, v5
.LBB246_801:                            ;   in Loop: Header=BB246_541 Depth=1
	s_or_b32 exec_lo, exec_lo, s14
.LBB246_802:                            ;   in Loop: Header=BB246_541 Depth=1
	s_or_b32 exec_lo, exec_lo, s13
.LBB246_803:                            ;   in Loop: Header=BB246_541 Depth=1
	s_or_b32 exec_lo, exec_lo, s9
	s_mov_b32 s9, exec_lo
	v_cmpx_lt_u32_e32 0xffffff, v82
	s_cbranch_execz .LBB246_811
; %bb.804:                              ;   in Loop: Header=BB246_541 Depth=1
	v_mov_b32_e32 v11, v6
	v_mov_b32_e32 v24, v12
	v_cmp_ne_u32_sdwa s0, v82, v47 src0_sel:BYTE_3 src1_sel:DWORD
	v_mov_b32_e32 v23, v11
	s_and_saveexec_b32 s13, s0
	s_cbranch_execz .LBB246_810
; %bb.805:                              ;   in Loop: Header=BB246_541 Depth=1
	v_mov_b32_e32 v13, v6
	v_mov_b32_e32 v24, v14
	v_bfe_u32 v83, v82, 24, 7
	s_mov_b32 s14, exec_lo
	v_mov_b32_e32 v23, v13
	v_cmpx_ne_u32_e32 0x7f, v83
	s_cbranch_execz .LBB246_809
; %bb.806:                              ;   in Loop: Header=BB246_541 Depth=1
	v_and_b32_sdwa v5, v82, v50 dst_sel:DWORD dst_unused:UNUSED_PAD src0_sel:BYTE_3 src1_sel:DWORD
	v_lshrrev_b32_e32 v11, 3, v83
	s_mov_b32 s15, exec_lo
	v_cmpx_gt_u32_e32 8, v83
; %bb.807:                              ;   in Loop: Header=BB246_541 Depth=1
	v_ffbh_u32_e32 v11, v5
	v_min_u32_e32 v11, 32, v11
	v_subrev_nc_u32_e32 v13, 28, v11
	v_sub_nc_u32_e32 v11, 29, v11
	v_lshlrev_b64 v[23:24], v13, v[5:6]
	v_and_b32_e32 v5, 7, v23
; %bb.808:                              ;   in Loop: Header=BB246_541 Depth=1
	s_or_b32 exec_lo, exec_lo, s15
	v_lshlrev_b32_sdwa v13, v51, v82 dst_sel:DWORD dst_unused:UNUSED_PAD src0_sel:DWORD src1_sel:BYTE_3
	v_lshlrev_b32_e32 v5, 20, v5
	v_lshl_add_u32 v11, v11, 23, 0x3c000000
	v_mov_b32_e32 v23, v6
	v_and_b32_e32 v13, 0x80000000, v13
	v_or3_b32 v24, v5, v13, v11
.LBB246_809:                            ;   in Loop: Header=BB246_541 Depth=1
	s_or_b32 exec_lo, exec_lo, s14
.LBB246_810:                            ;   in Loop: Header=BB246_541 Depth=1
	s_or_b32 exec_lo, exec_lo, s13
.LBB246_811:                            ;   in Loop: Header=BB246_541 Depth=1
	s_or_b32 exec_lo, exec_lo, s9
	v_or_b32_e32 v5, v20, v18
	v_or_b32_e32 v11, v19, v17
	;; [unrolled: 1-line block ×4, first 2 shown]
	v_mul_f32_e32 v84, s6, v5
	v_mul_f32_e32 v85, s3, v11
	;; [unrolled: 1-line block ×4, first 2 shown]
	s_and_saveexec_b32 s9, vcc_lo
	s_cbranch_execz .LBB246_813
; %bb.812:                              ;   in Loop: Header=BB246_541 Depth=1
	v_cmp_gt_i32_e64 s0, s29, v55
	v_cndmask_b32_e64 v85, 0, v85, s0
	v_cmp_gt_i32_e64 s0, s29, v57
	v_cndmask_b32_e64 v84, 0, v84, s0
	;; [unrolled: 2-line block ×4, first 2 shown]
.LBB246_813:                            ;   in Loop: Header=BB246_541 Depth=1
	s_or_b32 exec_lo, exec_lo, s9
	global_load_dword v86, v[15:16], off offset:1024
	v_mov_b32_e32 v19, 0
	v_mov_b32_e32 v17, 0
	;; [unrolled: 1-line block ×4, first 2 shown]
	s_waitcnt vmcnt(0)
	v_cmp_ne_u16_sdwa s0, v86, v6 src0_sel:BYTE_0 src1_sel:DWORD
	s_and_saveexec_b32 s9, s0
	s_cbranch_execz .LBB246_821
; %bb.814:                              ;   in Loop: Header=BB246_541 Depth=1
	v_bfrev_b32_e32 v17, 1
	v_mov_b32_e32 v18, 0
	v_cmp_ne_u16_sdwa s0, v86, v47 src0_sel:BYTE_0 src1_sel:DWORD
	s_and_saveexec_b32 s13, s0
	s_cbranch_execz .LBB246_820
; %bb.815:                              ;   in Loop: Header=BB246_541 Depth=1
	v_mov_b32_e32 v17, 0x7f800001
	v_and_b32_e32 v13, 0x7f, v86
	v_mov_b32_e32 v18, 0
	s_mov_b32 s14, exec_lo
	v_cmpx_ne_u32_e32 0x7f, v13
	s_cbranch_execz .LBB246_819
; %bb.816:                              ;   in Loop: Header=BB246_541 Depth=1
	v_and_b32_e32 v5, 7, v86
	v_lshrrev_b32_e32 v11, 3, v13
	s_mov_b32 s15, exec_lo
	v_cmpx_gt_u32_e32 8, v13
; %bb.817:                              ;   in Loop: Header=BB246_541 Depth=1
	v_ffbh_u32_e32 v11, v5
	v_min_u32_e32 v11, 32, v11
	v_subrev_nc_u32_e32 v13, 28, v11
	v_sub_nc_u32_e32 v11, 29, v11
	v_lshlrev_b64 v[17:18], v13, v[5:6]
	v_and_b32_e32 v5, 7, v17
; %bb.818:                              ;   in Loop: Header=BB246_541 Depth=1
	s_or_b32 exec_lo, exec_lo, s15
	v_lshlrev_b32_e32 v13, 24, v86
	v_lshlrev_b32_e32 v5, 20, v5
	v_lshl_add_u32 v11, v11, 23, 0x3c000000
	v_and_b32_e32 v13, 0x80000000, v13
	v_or3_b32 v5, v5, v13, v11
	v_mov_b32_e32 v18, v6
	v_mov_b32_e32 v17, v5
.LBB246_819:                            ;   in Loop: Header=BB246_541 Depth=1
	s_or_b32 exec_lo, exec_lo, s14
.LBB246_820:                            ;   in Loop: Header=BB246_541 Depth=1
	s_or_b32 exec_lo, exec_lo, s13
.LBB246_821:                            ;   in Loop: Header=BB246_541 Depth=1
	s_or_b32 exec_lo, exec_lo, s9
	v_cmp_ne_u16_sdwa s0, v86, v6 src0_sel:BYTE_1 src1_sel:DWORD
	s_and_saveexec_b32 s9, s0
	s_cbranch_execz .LBB246_829
; %bb.822:                              ;   in Loop: Header=BB246_541 Depth=1
	v_mov_b32_e32 v11, v6
	v_mov_b32_e32 v20, v12
	v_cmp_ne_u16_sdwa s0, v86, v47 src0_sel:BYTE_1 src1_sel:DWORD
	v_mov_b32_e32 v19, v11
	s_and_saveexec_b32 s13, s0
	s_cbranch_execz .LBB246_828
; %bb.823:                              ;   in Loop: Header=BB246_541 Depth=1
	v_and_b32_sdwa v5, v48, v86 dst_sel:DWORD dst_unused:UNUSED_PAD src0_sel:DWORD src1_sel:BYTE_1
	v_mov_b32_e32 v13, v6
	v_mov_b32_e32 v20, v14
	s_mov_b32 s14, exec_lo
	v_and_b32_e32 v21, 0x7f, v5
	v_mov_b32_e32 v19, v13
	v_cmpx_ne_u32_e32 0x7f, v21
	s_cbranch_execz .LBB246_827
; %bb.824:                              ;   in Loop: Header=BB246_541 Depth=1
	v_and_b32_e32 v5, 7, v5
	v_lshrrev_b32_e32 v11, 3, v21
	s_mov_b32 s15, exec_lo
	v_cmpx_gt_u32_e32 8, v21
; %bb.825:                              ;   in Loop: Header=BB246_541 Depth=1
	v_ffbh_u32_e32 v11, v5
	v_min_u32_e32 v11, 32, v11
	v_subrev_nc_u32_e32 v13, 28, v11
	v_sub_nc_u32_e32 v11, 29, v11
	v_lshlrev_b64 v[19:20], v13, v[5:6]
	v_and_b32_e32 v5, 7, v19
; %bb.826:                              ;   in Loop: Header=BB246_541 Depth=1
	s_or_b32 exec_lo, exec_lo, s15
	v_lshlrev_b32_e32 v13, 16, v86
	v_lshlrev_b32_e32 v5, 20, v5
	v_lshl_add_u32 v11, v11, 23, 0x3c000000
	v_mov_b32_e32 v19, v6
	v_and_b32_e32 v13, 0x80000000, v13
	v_or3_b32 v20, v5, v13, v11
.LBB246_827:                            ;   in Loop: Header=BB246_541 Depth=1
	s_or_b32 exec_lo, exec_lo, s14
.LBB246_828:                            ;   in Loop: Header=BB246_541 Depth=1
	s_or_b32 exec_lo, exec_lo, s13
.LBB246_829:                            ;   in Loop: Header=BB246_541 Depth=1
	s_or_b32 exec_lo, exec_lo, s9
	v_mov_b32_e32 v23, 0
	v_mov_b32_e32 v21, 0
	v_and_b32_sdwa v5, v86, v49 dst_sel:DWORD dst_unused:UNUSED_PAD src0_sel:WORD_1 src1_sel:DWORD
	v_mov_b32_e32 v24, 0
	v_mov_b32_e32 v22, 0
	s_mov_b32 s9, exec_lo
	v_cmpx_ne_u16_e32 0, v5
	s_cbranch_execz .LBB246_837
; %bb.830:                              ;   in Loop: Header=BB246_541 Depth=1
	v_bfrev_b32_e32 v21, 1
	v_mov_b32_e32 v22, 0
	s_mov_b32 s13, exec_lo
	v_cmpx_ne_u16_e32 0x80, v5
	s_cbranch_execz .LBB246_836
; %bb.831:                              ;   in Loop: Header=BB246_541 Depth=1
	v_mov_b32_e32 v21, 0x7f800001
	v_bfe_u32 v13, v86, 16, 7
	v_mov_b32_e32 v22, 0
	s_mov_b32 s14, exec_lo
	v_cmpx_ne_u32_e32 0x7f, v13
	s_cbranch_execz .LBB246_835
; %bb.832:                              ;   in Loop: Header=BB246_541 Depth=1
	v_and_b32_sdwa v5, v86, v50 dst_sel:DWORD dst_unused:UNUSED_PAD src0_sel:WORD_1 src1_sel:DWORD
	v_lshrrev_b32_e32 v11, 3, v13
	s_mov_b32 s15, exec_lo
	v_cmpx_gt_u32_e32 8, v13
; %bb.833:                              ;   in Loop: Header=BB246_541 Depth=1
	v_ffbh_u32_e32 v11, v5
	v_min_u32_e32 v11, 32, v11
	v_subrev_nc_u32_e32 v13, 28, v11
	v_sub_nc_u32_e32 v11, 29, v11
	v_lshlrev_b64 v[21:22], v13, v[5:6]
	v_and_b32_e32 v5, 7, v21
; %bb.834:                              ;   in Loop: Header=BB246_541 Depth=1
	s_or_b32 exec_lo, exec_lo, s15
	v_lshlrev_b32_sdwa v13, v51, v86 dst_sel:DWORD dst_unused:UNUSED_PAD src0_sel:DWORD src1_sel:WORD_1
	v_lshlrev_b32_e32 v5, 20, v5
	v_lshl_add_u32 v11, v11, 23, 0x3c000000
	v_and_b32_e32 v13, 0x80000000, v13
	v_or3_b32 v5, v5, v13, v11
	v_mov_b32_e32 v22, v6
	v_mov_b32_e32 v21, v5
.LBB246_835:                            ;   in Loop: Header=BB246_541 Depth=1
	s_or_b32 exec_lo, exec_lo, s14
.LBB246_836:                            ;   in Loop: Header=BB246_541 Depth=1
	s_or_b32 exec_lo, exec_lo, s13
.LBB246_837:                            ;   in Loop: Header=BB246_541 Depth=1
	s_or_b32 exec_lo, exec_lo, s9
	s_mov_b32 s9, exec_lo
	v_cmpx_lt_u32_e32 0xffffff, v86
	s_cbranch_execz .LBB246_845
; %bb.838:                              ;   in Loop: Header=BB246_541 Depth=1
	v_mov_b32_e32 v11, v6
	v_mov_b32_e32 v24, v12
	v_cmp_ne_u32_sdwa s0, v86, v47 src0_sel:BYTE_3 src1_sel:DWORD
	v_mov_b32_e32 v23, v11
	s_and_saveexec_b32 s13, s0
	s_cbranch_execz .LBB246_844
; %bb.839:                              ;   in Loop: Header=BB246_541 Depth=1
	v_mov_b32_e32 v13, v6
	v_mov_b32_e32 v24, v14
	v_bfe_u32 v87, v86, 24, 7
	s_mov_b32 s14, exec_lo
	v_mov_b32_e32 v23, v13
	v_cmpx_ne_u32_e32 0x7f, v87
	s_cbranch_execz .LBB246_843
; %bb.840:                              ;   in Loop: Header=BB246_541 Depth=1
	v_and_b32_sdwa v5, v86, v50 dst_sel:DWORD dst_unused:UNUSED_PAD src0_sel:BYTE_3 src1_sel:DWORD
	v_lshrrev_b32_e32 v11, 3, v87
	s_mov_b32 s15, exec_lo
	v_cmpx_gt_u32_e32 8, v87
; %bb.841:                              ;   in Loop: Header=BB246_541 Depth=1
	v_ffbh_u32_e32 v11, v5
	v_min_u32_e32 v11, 32, v11
	v_subrev_nc_u32_e32 v13, 28, v11
	v_sub_nc_u32_e32 v11, 29, v11
	v_lshlrev_b64 v[23:24], v13, v[5:6]
	v_and_b32_e32 v5, 7, v23
; %bb.842:                              ;   in Loop: Header=BB246_541 Depth=1
	s_or_b32 exec_lo, exec_lo, s15
	v_lshlrev_b32_sdwa v13, v51, v86 dst_sel:DWORD dst_unused:UNUSED_PAD src0_sel:DWORD src1_sel:BYTE_3
	v_lshlrev_b32_e32 v5, 20, v5
	v_lshl_add_u32 v11, v11, 23, 0x3c000000
	v_mov_b32_e32 v23, v6
	v_and_b32_e32 v13, 0x80000000, v13
	v_or3_b32 v24, v5, v13, v11
.LBB246_843:                            ;   in Loop: Header=BB246_541 Depth=1
	s_or_b32 exec_lo, exec_lo, s14
.LBB246_844:                            ;   in Loop: Header=BB246_541 Depth=1
	s_or_b32 exec_lo, exec_lo, s13
.LBB246_845:                            ;   in Loop: Header=BB246_541 Depth=1
	s_or_b32 exec_lo, exec_lo, s9
	v_or_b32_e32 v5, v20, v18
	v_or_b32_e32 v11, v19, v17
	;; [unrolled: 1-line block ×4, first 2 shown]
	v_mul_f32_e32 v88, s6, v5
	v_mul_f32_e32 v89, s3, v11
	;; [unrolled: 1-line block ×4, first 2 shown]
	s_and_saveexec_b32 s9, vcc_lo
	s_cbranch_execz .LBB246_847
; %bb.846:                              ;   in Loop: Header=BB246_541 Depth=1
	v_cmp_gt_i32_e64 s0, s29, v55
	v_cndmask_b32_e64 v89, 0, v89, s0
	v_cmp_gt_i32_e64 s0, s29, v57
	v_cndmask_b32_e64 v88, 0, v88, s0
	;; [unrolled: 2-line block ×4, first 2 shown]
.LBB246_847:                            ;   in Loop: Header=BB246_541 Depth=1
	s_or_b32 exec_lo, exec_lo, s9
	global_load_dword v90, v[15:16], off offset:1152
	v_mov_b32_e32 v19, 0
	v_mov_b32_e32 v17, 0
	v_mov_b32_e32 v20, 0
	v_mov_b32_e32 v18, 0
	s_waitcnt vmcnt(0)
	v_cmp_ne_u16_sdwa s0, v90, v6 src0_sel:BYTE_0 src1_sel:DWORD
	s_and_saveexec_b32 s9, s0
	s_cbranch_execz .LBB246_855
; %bb.848:                              ;   in Loop: Header=BB246_541 Depth=1
	v_bfrev_b32_e32 v17, 1
	v_mov_b32_e32 v18, 0
	v_cmp_ne_u16_sdwa s0, v90, v47 src0_sel:BYTE_0 src1_sel:DWORD
	s_and_saveexec_b32 s13, s0
	s_cbranch_execz .LBB246_854
; %bb.849:                              ;   in Loop: Header=BB246_541 Depth=1
	v_mov_b32_e32 v17, 0x7f800001
	v_and_b32_e32 v13, 0x7f, v90
	v_mov_b32_e32 v18, 0
	s_mov_b32 s14, exec_lo
	v_cmpx_ne_u32_e32 0x7f, v13
	s_cbranch_execz .LBB246_853
; %bb.850:                              ;   in Loop: Header=BB246_541 Depth=1
	v_and_b32_e32 v5, 7, v90
	v_lshrrev_b32_e32 v11, 3, v13
	s_mov_b32 s15, exec_lo
	v_cmpx_gt_u32_e32 8, v13
; %bb.851:                              ;   in Loop: Header=BB246_541 Depth=1
	v_ffbh_u32_e32 v11, v5
	v_min_u32_e32 v11, 32, v11
	v_subrev_nc_u32_e32 v13, 28, v11
	v_sub_nc_u32_e32 v11, 29, v11
	v_lshlrev_b64 v[17:18], v13, v[5:6]
	v_and_b32_e32 v5, 7, v17
; %bb.852:                              ;   in Loop: Header=BB246_541 Depth=1
	s_or_b32 exec_lo, exec_lo, s15
	v_lshlrev_b32_e32 v13, 24, v90
	v_lshlrev_b32_e32 v5, 20, v5
	v_lshl_add_u32 v11, v11, 23, 0x3c000000
	v_and_b32_e32 v13, 0x80000000, v13
	v_or3_b32 v5, v5, v13, v11
	v_mov_b32_e32 v18, v6
	v_mov_b32_e32 v17, v5
.LBB246_853:                            ;   in Loop: Header=BB246_541 Depth=1
	s_or_b32 exec_lo, exec_lo, s14
.LBB246_854:                            ;   in Loop: Header=BB246_541 Depth=1
	s_or_b32 exec_lo, exec_lo, s13
.LBB246_855:                            ;   in Loop: Header=BB246_541 Depth=1
	s_or_b32 exec_lo, exec_lo, s9
	v_cmp_ne_u16_sdwa s0, v90, v6 src0_sel:BYTE_1 src1_sel:DWORD
	s_and_saveexec_b32 s9, s0
	s_cbranch_execz .LBB246_863
; %bb.856:                              ;   in Loop: Header=BB246_541 Depth=1
	v_mov_b32_e32 v11, v6
	v_mov_b32_e32 v20, v12
	v_cmp_ne_u16_sdwa s0, v90, v47 src0_sel:BYTE_1 src1_sel:DWORD
	v_mov_b32_e32 v19, v11
	s_and_saveexec_b32 s13, s0
	s_cbranch_execz .LBB246_862
; %bb.857:                              ;   in Loop: Header=BB246_541 Depth=1
	v_and_b32_sdwa v5, v48, v90 dst_sel:DWORD dst_unused:UNUSED_PAD src0_sel:DWORD src1_sel:BYTE_1
	v_mov_b32_e32 v13, v6
	v_mov_b32_e32 v20, v14
	s_mov_b32 s14, exec_lo
	v_and_b32_e32 v21, 0x7f, v5
	v_mov_b32_e32 v19, v13
	v_cmpx_ne_u32_e32 0x7f, v21
	s_cbranch_execz .LBB246_861
; %bb.858:                              ;   in Loop: Header=BB246_541 Depth=1
	v_and_b32_e32 v5, 7, v5
	v_lshrrev_b32_e32 v11, 3, v21
	s_mov_b32 s15, exec_lo
	v_cmpx_gt_u32_e32 8, v21
; %bb.859:                              ;   in Loop: Header=BB246_541 Depth=1
	v_ffbh_u32_e32 v11, v5
	v_min_u32_e32 v11, 32, v11
	v_subrev_nc_u32_e32 v13, 28, v11
	v_sub_nc_u32_e32 v11, 29, v11
	v_lshlrev_b64 v[19:20], v13, v[5:6]
	v_and_b32_e32 v5, 7, v19
; %bb.860:                              ;   in Loop: Header=BB246_541 Depth=1
	s_or_b32 exec_lo, exec_lo, s15
	v_lshlrev_b32_e32 v13, 16, v90
	v_lshlrev_b32_e32 v5, 20, v5
	v_lshl_add_u32 v11, v11, 23, 0x3c000000
	v_mov_b32_e32 v19, v6
	v_and_b32_e32 v13, 0x80000000, v13
	v_or3_b32 v20, v5, v13, v11
.LBB246_861:                            ;   in Loop: Header=BB246_541 Depth=1
	s_or_b32 exec_lo, exec_lo, s14
.LBB246_862:                            ;   in Loop: Header=BB246_541 Depth=1
	s_or_b32 exec_lo, exec_lo, s13
.LBB246_863:                            ;   in Loop: Header=BB246_541 Depth=1
	s_or_b32 exec_lo, exec_lo, s9
	v_mov_b32_e32 v23, 0
	v_mov_b32_e32 v21, 0
	v_and_b32_sdwa v5, v90, v49 dst_sel:DWORD dst_unused:UNUSED_PAD src0_sel:WORD_1 src1_sel:DWORD
	v_mov_b32_e32 v24, 0
	v_mov_b32_e32 v22, 0
	s_mov_b32 s9, exec_lo
	v_cmpx_ne_u16_e32 0, v5
	s_cbranch_execz .LBB246_871
; %bb.864:                              ;   in Loop: Header=BB246_541 Depth=1
	v_bfrev_b32_e32 v21, 1
	v_mov_b32_e32 v22, 0
	s_mov_b32 s13, exec_lo
	v_cmpx_ne_u16_e32 0x80, v5
	s_cbranch_execz .LBB246_870
; %bb.865:                              ;   in Loop: Header=BB246_541 Depth=1
	v_mov_b32_e32 v21, 0x7f800001
	v_bfe_u32 v13, v90, 16, 7
	v_mov_b32_e32 v22, 0
	s_mov_b32 s14, exec_lo
	v_cmpx_ne_u32_e32 0x7f, v13
	s_cbranch_execz .LBB246_869
; %bb.866:                              ;   in Loop: Header=BB246_541 Depth=1
	v_and_b32_sdwa v5, v90, v50 dst_sel:DWORD dst_unused:UNUSED_PAD src0_sel:WORD_1 src1_sel:DWORD
	v_lshrrev_b32_e32 v11, 3, v13
	s_mov_b32 s15, exec_lo
	v_cmpx_gt_u32_e32 8, v13
; %bb.867:                              ;   in Loop: Header=BB246_541 Depth=1
	v_ffbh_u32_e32 v11, v5
	v_min_u32_e32 v11, 32, v11
	v_subrev_nc_u32_e32 v13, 28, v11
	v_sub_nc_u32_e32 v11, 29, v11
	v_lshlrev_b64 v[21:22], v13, v[5:6]
	v_and_b32_e32 v5, 7, v21
; %bb.868:                              ;   in Loop: Header=BB246_541 Depth=1
	s_or_b32 exec_lo, exec_lo, s15
	v_lshlrev_b32_sdwa v13, v51, v90 dst_sel:DWORD dst_unused:UNUSED_PAD src0_sel:DWORD src1_sel:WORD_1
	v_lshlrev_b32_e32 v5, 20, v5
	v_lshl_add_u32 v11, v11, 23, 0x3c000000
	v_and_b32_e32 v13, 0x80000000, v13
	v_or3_b32 v5, v5, v13, v11
	v_mov_b32_e32 v22, v6
	v_mov_b32_e32 v21, v5
.LBB246_869:                            ;   in Loop: Header=BB246_541 Depth=1
	s_or_b32 exec_lo, exec_lo, s14
.LBB246_870:                            ;   in Loop: Header=BB246_541 Depth=1
	s_or_b32 exec_lo, exec_lo, s13
.LBB246_871:                            ;   in Loop: Header=BB246_541 Depth=1
	s_or_b32 exec_lo, exec_lo, s9
	s_mov_b32 s9, exec_lo
	v_cmpx_lt_u32_e32 0xffffff, v90
	s_cbranch_execz .LBB246_879
; %bb.872:                              ;   in Loop: Header=BB246_541 Depth=1
	v_mov_b32_e32 v11, v6
	v_mov_b32_e32 v24, v12
	v_cmp_ne_u32_sdwa s0, v90, v47 src0_sel:BYTE_3 src1_sel:DWORD
	v_mov_b32_e32 v23, v11
	s_and_saveexec_b32 s13, s0
	s_cbranch_execz .LBB246_878
; %bb.873:                              ;   in Loop: Header=BB246_541 Depth=1
	v_mov_b32_e32 v13, v6
	v_mov_b32_e32 v24, v14
	v_bfe_u32 v91, v90, 24, 7
	s_mov_b32 s14, exec_lo
	v_mov_b32_e32 v23, v13
	v_cmpx_ne_u32_e32 0x7f, v91
	s_cbranch_execz .LBB246_877
; %bb.874:                              ;   in Loop: Header=BB246_541 Depth=1
	v_and_b32_sdwa v5, v90, v50 dst_sel:DWORD dst_unused:UNUSED_PAD src0_sel:BYTE_3 src1_sel:DWORD
	v_lshrrev_b32_e32 v11, 3, v91
	s_mov_b32 s15, exec_lo
	v_cmpx_gt_u32_e32 8, v91
; %bb.875:                              ;   in Loop: Header=BB246_541 Depth=1
	v_ffbh_u32_e32 v11, v5
	v_min_u32_e32 v11, 32, v11
	v_subrev_nc_u32_e32 v13, 28, v11
	v_sub_nc_u32_e32 v11, 29, v11
	v_lshlrev_b64 v[23:24], v13, v[5:6]
	v_and_b32_e32 v5, 7, v23
; %bb.876:                              ;   in Loop: Header=BB246_541 Depth=1
	s_or_b32 exec_lo, exec_lo, s15
	v_lshlrev_b32_sdwa v13, v51, v90 dst_sel:DWORD dst_unused:UNUSED_PAD src0_sel:DWORD src1_sel:BYTE_3
	v_lshlrev_b32_e32 v5, 20, v5
	v_lshl_add_u32 v11, v11, 23, 0x3c000000
	v_mov_b32_e32 v23, v6
	v_and_b32_e32 v13, 0x80000000, v13
	v_or3_b32 v24, v5, v13, v11
.LBB246_877:                            ;   in Loop: Header=BB246_541 Depth=1
	s_or_b32 exec_lo, exec_lo, s14
.LBB246_878:                            ;   in Loop: Header=BB246_541 Depth=1
	s_or_b32 exec_lo, exec_lo, s13
.LBB246_879:                            ;   in Loop: Header=BB246_541 Depth=1
	s_or_b32 exec_lo, exec_lo, s9
	v_or_b32_e32 v5, v20, v18
	v_or_b32_e32 v11, v19, v17
	;; [unrolled: 1-line block ×4, first 2 shown]
	v_mul_f32_e32 v92, s6, v5
	v_mul_f32_e32 v93, s3, v11
	;; [unrolled: 1-line block ×4, first 2 shown]
	s_and_saveexec_b32 s9, vcc_lo
	s_cbranch_execz .LBB246_881
; %bb.880:                              ;   in Loop: Header=BB246_541 Depth=1
	v_cmp_gt_i32_e64 s0, s29, v55
	v_cndmask_b32_e64 v93, 0, v93, s0
	v_cmp_gt_i32_e64 s0, s29, v57
	v_cndmask_b32_e64 v92, 0, v92, s0
	;; [unrolled: 2-line block ×4, first 2 shown]
.LBB246_881:                            ;   in Loop: Header=BB246_541 Depth=1
	s_or_b32 exec_lo, exec_lo, s9
	global_load_dword v94, v[15:16], off offset:1280
	v_mov_b32_e32 v19, 0
	v_mov_b32_e32 v17, 0
	;; [unrolled: 1-line block ×4, first 2 shown]
	s_waitcnt vmcnt(0)
	v_cmp_ne_u16_sdwa s0, v94, v6 src0_sel:BYTE_0 src1_sel:DWORD
	s_and_saveexec_b32 s9, s0
	s_cbranch_execz .LBB246_889
; %bb.882:                              ;   in Loop: Header=BB246_541 Depth=1
	v_bfrev_b32_e32 v17, 1
	v_mov_b32_e32 v18, 0
	v_cmp_ne_u16_sdwa s0, v94, v47 src0_sel:BYTE_0 src1_sel:DWORD
	s_and_saveexec_b32 s13, s0
	s_cbranch_execz .LBB246_888
; %bb.883:                              ;   in Loop: Header=BB246_541 Depth=1
	v_mov_b32_e32 v17, 0x7f800001
	v_and_b32_e32 v13, 0x7f, v94
	v_mov_b32_e32 v18, 0
	s_mov_b32 s14, exec_lo
	v_cmpx_ne_u32_e32 0x7f, v13
	s_cbranch_execz .LBB246_887
; %bb.884:                              ;   in Loop: Header=BB246_541 Depth=1
	v_and_b32_e32 v5, 7, v94
	v_lshrrev_b32_e32 v11, 3, v13
	s_mov_b32 s15, exec_lo
	v_cmpx_gt_u32_e32 8, v13
; %bb.885:                              ;   in Loop: Header=BB246_541 Depth=1
	v_ffbh_u32_e32 v11, v5
	v_min_u32_e32 v11, 32, v11
	v_subrev_nc_u32_e32 v13, 28, v11
	v_sub_nc_u32_e32 v11, 29, v11
	v_lshlrev_b64 v[17:18], v13, v[5:6]
	v_and_b32_e32 v5, 7, v17
; %bb.886:                              ;   in Loop: Header=BB246_541 Depth=1
	s_or_b32 exec_lo, exec_lo, s15
	v_lshlrev_b32_e32 v13, 24, v94
	v_lshlrev_b32_e32 v5, 20, v5
	v_lshl_add_u32 v11, v11, 23, 0x3c000000
	v_and_b32_e32 v13, 0x80000000, v13
	v_or3_b32 v5, v5, v13, v11
	v_mov_b32_e32 v18, v6
	v_mov_b32_e32 v17, v5
.LBB246_887:                            ;   in Loop: Header=BB246_541 Depth=1
	s_or_b32 exec_lo, exec_lo, s14
.LBB246_888:                            ;   in Loop: Header=BB246_541 Depth=1
	s_or_b32 exec_lo, exec_lo, s13
.LBB246_889:                            ;   in Loop: Header=BB246_541 Depth=1
	s_or_b32 exec_lo, exec_lo, s9
	v_cmp_ne_u16_sdwa s0, v94, v6 src0_sel:BYTE_1 src1_sel:DWORD
	s_and_saveexec_b32 s9, s0
	s_cbranch_execz .LBB246_897
; %bb.890:                              ;   in Loop: Header=BB246_541 Depth=1
	v_mov_b32_e32 v11, v6
	v_mov_b32_e32 v20, v12
	v_cmp_ne_u16_sdwa s0, v94, v47 src0_sel:BYTE_1 src1_sel:DWORD
	v_mov_b32_e32 v19, v11
	s_and_saveexec_b32 s13, s0
	s_cbranch_execz .LBB246_896
; %bb.891:                              ;   in Loop: Header=BB246_541 Depth=1
	v_and_b32_sdwa v5, v48, v94 dst_sel:DWORD dst_unused:UNUSED_PAD src0_sel:DWORD src1_sel:BYTE_1
	v_mov_b32_e32 v13, v6
	v_mov_b32_e32 v20, v14
	s_mov_b32 s14, exec_lo
	v_and_b32_e32 v21, 0x7f, v5
	v_mov_b32_e32 v19, v13
	v_cmpx_ne_u32_e32 0x7f, v21
	s_cbranch_execz .LBB246_895
; %bb.892:                              ;   in Loop: Header=BB246_541 Depth=1
	v_and_b32_e32 v5, 7, v5
	v_lshrrev_b32_e32 v11, 3, v21
	s_mov_b32 s15, exec_lo
	v_cmpx_gt_u32_e32 8, v21
; %bb.893:                              ;   in Loop: Header=BB246_541 Depth=1
	v_ffbh_u32_e32 v11, v5
	v_min_u32_e32 v11, 32, v11
	v_subrev_nc_u32_e32 v13, 28, v11
	v_sub_nc_u32_e32 v11, 29, v11
	v_lshlrev_b64 v[19:20], v13, v[5:6]
	v_and_b32_e32 v5, 7, v19
; %bb.894:                              ;   in Loop: Header=BB246_541 Depth=1
	s_or_b32 exec_lo, exec_lo, s15
	v_lshlrev_b32_e32 v13, 16, v94
	v_lshlrev_b32_e32 v5, 20, v5
	v_lshl_add_u32 v11, v11, 23, 0x3c000000
	v_mov_b32_e32 v19, v6
	v_and_b32_e32 v13, 0x80000000, v13
	v_or3_b32 v20, v5, v13, v11
.LBB246_895:                            ;   in Loop: Header=BB246_541 Depth=1
	s_or_b32 exec_lo, exec_lo, s14
.LBB246_896:                            ;   in Loop: Header=BB246_541 Depth=1
	s_or_b32 exec_lo, exec_lo, s13
.LBB246_897:                            ;   in Loop: Header=BB246_541 Depth=1
	s_or_b32 exec_lo, exec_lo, s9
	v_mov_b32_e32 v23, 0
	v_mov_b32_e32 v21, 0
	v_and_b32_sdwa v5, v94, v49 dst_sel:DWORD dst_unused:UNUSED_PAD src0_sel:WORD_1 src1_sel:DWORD
	v_mov_b32_e32 v24, 0
	v_mov_b32_e32 v22, 0
	s_mov_b32 s9, exec_lo
	v_cmpx_ne_u16_e32 0, v5
	s_cbranch_execz .LBB246_905
; %bb.898:                              ;   in Loop: Header=BB246_541 Depth=1
	v_bfrev_b32_e32 v21, 1
	v_mov_b32_e32 v22, 0
	s_mov_b32 s13, exec_lo
	v_cmpx_ne_u16_e32 0x80, v5
	s_cbranch_execz .LBB246_904
; %bb.899:                              ;   in Loop: Header=BB246_541 Depth=1
	v_mov_b32_e32 v21, 0x7f800001
	v_bfe_u32 v13, v94, 16, 7
	v_mov_b32_e32 v22, 0
	s_mov_b32 s14, exec_lo
	v_cmpx_ne_u32_e32 0x7f, v13
	s_cbranch_execz .LBB246_903
; %bb.900:                              ;   in Loop: Header=BB246_541 Depth=1
	v_and_b32_sdwa v5, v94, v50 dst_sel:DWORD dst_unused:UNUSED_PAD src0_sel:WORD_1 src1_sel:DWORD
	v_lshrrev_b32_e32 v11, 3, v13
	s_mov_b32 s15, exec_lo
	v_cmpx_gt_u32_e32 8, v13
; %bb.901:                              ;   in Loop: Header=BB246_541 Depth=1
	v_ffbh_u32_e32 v11, v5
	v_min_u32_e32 v11, 32, v11
	v_subrev_nc_u32_e32 v13, 28, v11
	v_sub_nc_u32_e32 v11, 29, v11
	v_lshlrev_b64 v[21:22], v13, v[5:6]
	v_and_b32_e32 v5, 7, v21
; %bb.902:                              ;   in Loop: Header=BB246_541 Depth=1
	s_or_b32 exec_lo, exec_lo, s15
	v_lshlrev_b32_sdwa v13, v51, v94 dst_sel:DWORD dst_unused:UNUSED_PAD src0_sel:DWORD src1_sel:WORD_1
	v_lshlrev_b32_e32 v5, 20, v5
	v_lshl_add_u32 v11, v11, 23, 0x3c000000
	v_and_b32_e32 v13, 0x80000000, v13
	v_or3_b32 v5, v5, v13, v11
	v_mov_b32_e32 v22, v6
	v_mov_b32_e32 v21, v5
.LBB246_903:                            ;   in Loop: Header=BB246_541 Depth=1
	s_or_b32 exec_lo, exec_lo, s14
.LBB246_904:                            ;   in Loop: Header=BB246_541 Depth=1
	s_or_b32 exec_lo, exec_lo, s13
.LBB246_905:                            ;   in Loop: Header=BB246_541 Depth=1
	s_or_b32 exec_lo, exec_lo, s9
	s_mov_b32 s9, exec_lo
	v_cmpx_lt_u32_e32 0xffffff, v94
	s_cbranch_execz .LBB246_913
; %bb.906:                              ;   in Loop: Header=BB246_541 Depth=1
	v_mov_b32_e32 v11, v6
	v_mov_b32_e32 v24, v12
	v_cmp_ne_u32_sdwa s0, v94, v47 src0_sel:BYTE_3 src1_sel:DWORD
	v_mov_b32_e32 v23, v11
	s_and_saveexec_b32 s13, s0
	s_cbranch_execz .LBB246_912
; %bb.907:                              ;   in Loop: Header=BB246_541 Depth=1
	v_mov_b32_e32 v13, v6
	v_mov_b32_e32 v24, v14
	v_bfe_u32 v95, v94, 24, 7
	s_mov_b32 s14, exec_lo
	v_mov_b32_e32 v23, v13
	v_cmpx_ne_u32_e32 0x7f, v95
	s_cbranch_execz .LBB246_911
; %bb.908:                              ;   in Loop: Header=BB246_541 Depth=1
	v_and_b32_sdwa v5, v94, v50 dst_sel:DWORD dst_unused:UNUSED_PAD src0_sel:BYTE_3 src1_sel:DWORD
	v_lshrrev_b32_e32 v11, 3, v95
	s_mov_b32 s15, exec_lo
	v_cmpx_gt_u32_e32 8, v95
; %bb.909:                              ;   in Loop: Header=BB246_541 Depth=1
	v_ffbh_u32_e32 v11, v5
	v_min_u32_e32 v11, 32, v11
	v_subrev_nc_u32_e32 v13, 28, v11
	v_sub_nc_u32_e32 v11, 29, v11
	v_lshlrev_b64 v[23:24], v13, v[5:6]
	v_and_b32_e32 v5, 7, v23
; %bb.910:                              ;   in Loop: Header=BB246_541 Depth=1
	s_or_b32 exec_lo, exec_lo, s15
	v_lshlrev_b32_sdwa v13, v51, v94 dst_sel:DWORD dst_unused:UNUSED_PAD src0_sel:DWORD src1_sel:BYTE_3
	v_lshlrev_b32_e32 v5, 20, v5
	v_lshl_add_u32 v11, v11, 23, 0x3c000000
	v_mov_b32_e32 v23, v6
	v_and_b32_e32 v13, 0x80000000, v13
	v_or3_b32 v24, v5, v13, v11
.LBB246_911:                            ;   in Loop: Header=BB246_541 Depth=1
	s_or_b32 exec_lo, exec_lo, s14
.LBB246_912:                            ;   in Loop: Header=BB246_541 Depth=1
	s_or_b32 exec_lo, exec_lo, s13
.LBB246_913:                            ;   in Loop: Header=BB246_541 Depth=1
	s_or_b32 exec_lo, exec_lo, s9
	v_or_b32_e32 v5, v20, v18
	v_or_b32_e32 v11, v19, v17
	;; [unrolled: 1-line block ×4, first 2 shown]
	v_mul_f32_e32 v96, s6, v5
	v_mul_f32_e32 v97, s3, v11
	;; [unrolled: 1-line block ×4, first 2 shown]
	s_and_saveexec_b32 s9, vcc_lo
	s_cbranch_execz .LBB246_915
; %bb.914:                              ;   in Loop: Header=BB246_541 Depth=1
	v_cmp_gt_i32_e64 s0, s29, v55
	v_cndmask_b32_e64 v97, 0, v97, s0
	v_cmp_gt_i32_e64 s0, s29, v57
	v_cndmask_b32_e64 v96, 0, v96, s0
	;; [unrolled: 2-line block ×4, first 2 shown]
.LBB246_915:                            ;   in Loop: Header=BB246_541 Depth=1
	s_or_b32 exec_lo, exec_lo, s9
	global_load_dword v98, v[15:16], off offset:1408
	v_mov_b32_e32 v19, 0
	v_mov_b32_e32 v17, 0
	;; [unrolled: 1-line block ×4, first 2 shown]
	s_waitcnt vmcnt(0)
	v_cmp_ne_u16_sdwa s0, v98, v6 src0_sel:BYTE_0 src1_sel:DWORD
	s_and_saveexec_b32 s9, s0
	s_cbranch_execz .LBB246_923
; %bb.916:                              ;   in Loop: Header=BB246_541 Depth=1
	v_bfrev_b32_e32 v17, 1
	v_mov_b32_e32 v18, 0
	v_cmp_ne_u16_sdwa s0, v98, v47 src0_sel:BYTE_0 src1_sel:DWORD
	s_and_saveexec_b32 s13, s0
	s_cbranch_execz .LBB246_922
; %bb.917:                              ;   in Loop: Header=BB246_541 Depth=1
	v_mov_b32_e32 v17, 0x7f800001
	v_and_b32_e32 v13, 0x7f, v98
	v_mov_b32_e32 v18, 0
	s_mov_b32 s14, exec_lo
	v_cmpx_ne_u32_e32 0x7f, v13
	s_cbranch_execz .LBB246_921
; %bb.918:                              ;   in Loop: Header=BB246_541 Depth=1
	v_and_b32_e32 v5, 7, v98
	v_lshrrev_b32_e32 v11, 3, v13
	s_mov_b32 s15, exec_lo
	v_cmpx_gt_u32_e32 8, v13
; %bb.919:                              ;   in Loop: Header=BB246_541 Depth=1
	v_ffbh_u32_e32 v11, v5
	v_min_u32_e32 v11, 32, v11
	v_subrev_nc_u32_e32 v13, 28, v11
	v_sub_nc_u32_e32 v11, 29, v11
	v_lshlrev_b64 v[17:18], v13, v[5:6]
	v_and_b32_e32 v5, 7, v17
; %bb.920:                              ;   in Loop: Header=BB246_541 Depth=1
	s_or_b32 exec_lo, exec_lo, s15
	v_lshlrev_b32_e32 v13, 24, v98
	v_lshlrev_b32_e32 v5, 20, v5
	v_lshl_add_u32 v11, v11, 23, 0x3c000000
	v_and_b32_e32 v13, 0x80000000, v13
	v_or3_b32 v5, v5, v13, v11
	v_mov_b32_e32 v18, v6
	v_mov_b32_e32 v17, v5
.LBB246_921:                            ;   in Loop: Header=BB246_541 Depth=1
	s_or_b32 exec_lo, exec_lo, s14
.LBB246_922:                            ;   in Loop: Header=BB246_541 Depth=1
	s_or_b32 exec_lo, exec_lo, s13
.LBB246_923:                            ;   in Loop: Header=BB246_541 Depth=1
	s_or_b32 exec_lo, exec_lo, s9
	v_cmp_ne_u16_sdwa s0, v98, v6 src0_sel:BYTE_1 src1_sel:DWORD
	s_and_saveexec_b32 s9, s0
	s_cbranch_execz .LBB246_931
; %bb.924:                              ;   in Loop: Header=BB246_541 Depth=1
	v_mov_b32_e32 v11, v6
	v_mov_b32_e32 v20, v12
	v_cmp_ne_u16_sdwa s0, v98, v47 src0_sel:BYTE_1 src1_sel:DWORD
	v_mov_b32_e32 v19, v11
	s_and_saveexec_b32 s13, s0
	s_cbranch_execz .LBB246_930
; %bb.925:                              ;   in Loop: Header=BB246_541 Depth=1
	v_and_b32_sdwa v5, v48, v98 dst_sel:DWORD dst_unused:UNUSED_PAD src0_sel:DWORD src1_sel:BYTE_1
	v_mov_b32_e32 v13, v6
	v_mov_b32_e32 v20, v14
	s_mov_b32 s14, exec_lo
	v_and_b32_e32 v21, 0x7f, v5
	v_mov_b32_e32 v19, v13
	v_cmpx_ne_u32_e32 0x7f, v21
	s_cbranch_execz .LBB246_929
; %bb.926:                              ;   in Loop: Header=BB246_541 Depth=1
	v_and_b32_e32 v5, 7, v5
	v_lshrrev_b32_e32 v11, 3, v21
	s_mov_b32 s15, exec_lo
	v_cmpx_gt_u32_e32 8, v21
; %bb.927:                              ;   in Loop: Header=BB246_541 Depth=1
	v_ffbh_u32_e32 v11, v5
	v_min_u32_e32 v11, 32, v11
	v_subrev_nc_u32_e32 v13, 28, v11
	v_sub_nc_u32_e32 v11, 29, v11
	v_lshlrev_b64 v[19:20], v13, v[5:6]
	v_and_b32_e32 v5, 7, v19
; %bb.928:                              ;   in Loop: Header=BB246_541 Depth=1
	s_or_b32 exec_lo, exec_lo, s15
	v_lshlrev_b32_e32 v13, 16, v98
	v_lshlrev_b32_e32 v5, 20, v5
	v_lshl_add_u32 v11, v11, 23, 0x3c000000
	v_mov_b32_e32 v19, v6
	v_and_b32_e32 v13, 0x80000000, v13
	v_or3_b32 v20, v5, v13, v11
.LBB246_929:                            ;   in Loop: Header=BB246_541 Depth=1
	s_or_b32 exec_lo, exec_lo, s14
.LBB246_930:                            ;   in Loop: Header=BB246_541 Depth=1
	s_or_b32 exec_lo, exec_lo, s13
.LBB246_931:                            ;   in Loop: Header=BB246_541 Depth=1
	s_or_b32 exec_lo, exec_lo, s9
	v_mov_b32_e32 v23, 0
	v_mov_b32_e32 v21, 0
	v_and_b32_sdwa v5, v98, v49 dst_sel:DWORD dst_unused:UNUSED_PAD src0_sel:WORD_1 src1_sel:DWORD
	v_mov_b32_e32 v24, 0
	v_mov_b32_e32 v22, 0
	s_mov_b32 s9, exec_lo
	v_cmpx_ne_u16_e32 0, v5
	s_cbranch_execz .LBB246_939
; %bb.932:                              ;   in Loop: Header=BB246_541 Depth=1
	v_bfrev_b32_e32 v21, 1
	v_mov_b32_e32 v22, 0
	s_mov_b32 s13, exec_lo
	v_cmpx_ne_u16_e32 0x80, v5
	s_cbranch_execz .LBB246_938
; %bb.933:                              ;   in Loop: Header=BB246_541 Depth=1
	v_mov_b32_e32 v21, 0x7f800001
	v_bfe_u32 v13, v98, 16, 7
	v_mov_b32_e32 v22, 0
	s_mov_b32 s14, exec_lo
	v_cmpx_ne_u32_e32 0x7f, v13
	s_cbranch_execz .LBB246_937
; %bb.934:                              ;   in Loop: Header=BB246_541 Depth=1
	v_and_b32_sdwa v5, v98, v50 dst_sel:DWORD dst_unused:UNUSED_PAD src0_sel:WORD_1 src1_sel:DWORD
	v_lshrrev_b32_e32 v11, 3, v13
	s_mov_b32 s15, exec_lo
	v_cmpx_gt_u32_e32 8, v13
; %bb.935:                              ;   in Loop: Header=BB246_541 Depth=1
	v_ffbh_u32_e32 v11, v5
	v_min_u32_e32 v11, 32, v11
	v_subrev_nc_u32_e32 v13, 28, v11
	v_sub_nc_u32_e32 v11, 29, v11
	v_lshlrev_b64 v[21:22], v13, v[5:6]
	v_and_b32_e32 v5, 7, v21
; %bb.936:                              ;   in Loop: Header=BB246_541 Depth=1
	s_or_b32 exec_lo, exec_lo, s15
	v_lshlrev_b32_sdwa v13, v51, v98 dst_sel:DWORD dst_unused:UNUSED_PAD src0_sel:DWORD src1_sel:WORD_1
	v_lshlrev_b32_e32 v5, 20, v5
	v_lshl_add_u32 v11, v11, 23, 0x3c000000
	v_and_b32_e32 v13, 0x80000000, v13
	v_or3_b32 v5, v5, v13, v11
	v_mov_b32_e32 v22, v6
	v_mov_b32_e32 v21, v5
.LBB246_937:                            ;   in Loop: Header=BB246_541 Depth=1
	s_or_b32 exec_lo, exec_lo, s14
.LBB246_938:                            ;   in Loop: Header=BB246_541 Depth=1
	s_or_b32 exec_lo, exec_lo, s13
.LBB246_939:                            ;   in Loop: Header=BB246_541 Depth=1
	s_or_b32 exec_lo, exec_lo, s9
	s_mov_b32 s9, exec_lo
	v_cmpx_lt_u32_e32 0xffffff, v98
	s_cbranch_execz .LBB246_947
; %bb.940:                              ;   in Loop: Header=BB246_541 Depth=1
	v_mov_b32_e32 v11, v6
	v_mov_b32_e32 v24, v12
	v_cmp_ne_u32_sdwa s0, v98, v47 src0_sel:BYTE_3 src1_sel:DWORD
	v_mov_b32_e32 v23, v11
	s_and_saveexec_b32 s13, s0
	s_cbranch_execz .LBB246_946
; %bb.941:                              ;   in Loop: Header=BB246_541 Depth=1
	v_mov_b32_e32 v13, v6
	v_mov_b32_e32 v24, v14
	v_bfe_u32 v99, v98, 24, 7
	s_mov_b32 s14, exec_lo
	v_mov_b32_e32 v23, v13
	v_cmpx_ne_u32_e32 0x7f, v99
	s_cbranch_execz .LBB246_945
; %bb.942:                              ;   in Loop: Header=BB246_541 Depth=1
	v_and_b32_sdwa v5, v98, v50 dst_sel:DWORD dst_unused:UNUSED_PAD src0_sel:BYTE_3 src1_sel:DWORD
	v_lshrrev_b32_e32 v11, 3, v99
	s_mov_b32 s15, exec_lo
	v_cmpx_gt_u32_e32 8, v99
; %bb.943:                              ;   in Loop: Header=BB246_541 Depth=1
	v_ffbh_u32_e32 v11, v5
	v_min_u32_e32 v11, 32, v11
	v_subrev_nc_u32_e32 v13, 28, v11
	v_sub_nc_u32_e32 v11, 29, v11
	v_lshlrev_b64 v[23:24], v13, v[5:6]
	v_and_b32_e32 v5, 7, v23
; %bb.944:                              ;   in Loop: Header=BB246_541 Depth=1
	s_or_b32 exec_lo, exec_lo, s15
	v_lshlrev_b32_sdwa v13, v51, v98 dst_sel:DWORD dst_unused:UNUSED_PAD src0_sel:DWORD src1_sel:BYTE_3
	v_lshlrev_b32_e32 v5, 20, v5
	v_lshl_add_u32 v11, v11, 23, 0x3c000000
	v_mov_b32_e32 v23, v6
	v_and_b32_e32 v13, 0x80000000, v13
	v_or3_b32 v24, v5, v13, v11
.LBB246_945:                            ;   in Loop: Header=BB246_541 Depth=1
	s_or_b32 exec_lo, exec_lo, s14
.LBB246_946:                            ;   in Loop: Header=BB246_541 Depth=1
	s_or_b32 exec_lo, exec_lo, s13
.LBB246_947:                            ;   in Loop: Header=BB246_541 Depth=1
	s_or_b32 exec_lo, exec_lo, s9
	v_or_b32_e32 v5, v20, v18
	v_or_b32_e32 v11, v19, v17
	;; [unrolled: 1-line block ×4, first 2 shown]
	v_mul_f32_e32 v100, s6, v5
	v_mul_f32_e32 v101, s3, v11
	;; [unrolled: 1-line block ×4, first 2 shown]
	s_and_saveexec_b32 s9, vcc_lo
	s_cbranch_execz .LBB246_949
; %bb.948:                              ;   in Loop: Header=BB246_541 Depth=1
	v_cmp_gt_i32_e64 s0, s29, v55
	v_cndmask_b32_e64 v101, 0, v101, s0
	v_cmp_gt_i32_e64 s0, s29, v57
	v_cndmask_b32_e64 v100, 0, v100, s0
	;; [unrolled: 2-line block ×4, first 2 shown]
.LBB246_949:                            ;   in Loop: Header=BB246_541 Depth=1
	s_or_b32 exec_lo, exec_lo, s9
	global_load_dword v102, v[15:16], off offset:1536
	v_mov_b32_e32 v19, 0
	v_mov_b32_e32 v17, 0
	;; [unrolled: 1-line block ×4, first 2 shown]
	s_waitcnt vmcnt(0)
	v_cmp_ne_u16_sdwa s0, v102, v6 src0_sel:BYTE_0 src1_sel:DWORD
	s_and_saveexec_b32 s9, s0
	s_cbranch_execz .LBB246_957
; %bb.950:                              ;   in Loop: Header=BB246_541 Depth=1
	v_bfrev_b32_e32 v17, 1
	v_mov_b32_e32 v18, 0
	v_cmp_ne_u16_sdwa s0, v102, v47 src0_sel:BYTE_0 src1_sel:DWORD
	s_and_saveexec_b32 s13, s0
	s_cbranch_execz .LBB246_956
; %bb.951:                              ;   in Loop: Header=BB246_541 Depth=1
	v_mov_b32_e32 v17, 0x7f800001
	v_and_b32_e32 v13, 0x7f, v102
	v_mov_b32_e32 v18, 0
	s_mov_b32 s14, exec_lo
	v_cmpx_ne_u32_e32 0x7f, v13
	s_cbranch_execz .LBB246_955
; %bb.952:                              ;   in Loop: Header=BB246_541 Depth=1
	v_and_b32_e32 v5, 7, v102
	v_lshrrev_b32_e32 v11, 3, v13
	s_mov_b32 s15, exec_lo
	v_cmpx_gt_u32_e32 8, v13
; %bb.953:                              ;   in Loop: Header=BB246_541 Depth=1
	v_ffbh_u32_e32 v11, v5
	v_min_u32_e32 v11, 32, v11
	v_subrev_nc_u32_e32 v13, 28, v11
	v_sub_nc_u32_e32 v11, 29, v11
	v_lshlrev_b64 v[17:18], v13, v[5:6]
	v_and_b32_e32 v5, 7, v17
; %bb.954:                              ;   in Loop: Header=BB246_541 Depth=1
	s_or_b32 exec_lo, exec_lo, s15
	v_lshlrev_b32_e32 v13, 24, v102
	v_lshlrev_b32_e32 v5, 20, v5
	v_lshl_add_u32 v11, v11, 23, 0x3c000000
	v_and_b32_e32 v13, 0x80000000, v13
	v_or3_b32 v5, v5, v13, v11
	v_mov_b32_e32 v18, v6
	v_mov_b32_e32 v17, v5
.LBB246_955:                            ;   in Loop: Header=BB246_541 Depth=1
	s_or_b32 exec_lo, exec_lo, s14
.LBB246_956:                            ;   in Loop: Header=BB246_541 Depth=1
	s_or_b32 exec_lo, exec_lo, s13
.LBB246_957:                            ;   in Loop: Header=BB246_541 Depth=1
	s_or_b32 exec_lo, exec_lo, s9
	v_cmp_ne_u16_sdwa s0, v102, v6 src0_sel:BYTE_1 src1_sel:DWORD
	s_and_saveexec_b32 s9, s0
	s_cbranch_execz .LBB246_965
; %bb.958:                              ;   in Loop: Header=BB246_541 Depth=1
	v_mov_b32_e32 v11, v6
	v_mov_b32_e32 v20, v12
	v_cmp_ne_u16_sdwa s0, v102, v47 src0_sel:BYTE_1 src1_sel:DWORD
	v_mov_b32_e32 v19, v11
	s_and_saveexec_b32 s13, s0
	s_cbranch_execz .LBB246_964
; %bb.959:                              ;   in Loop: Header=BB246_541 Depth=1
	v_and_b32_sdwa v5, v48, v102 dst_sel:DWORD dst_unused:UNUSED_PAD src0_sel:DWORD src1_sel:BYTE_1
	v_mov_b32_e32 v13, v6
	v_mov_b32_e32 v20, v14
	s_mov_b32 s14, exec_lo
	v_and_b32_e32 v21, 0x7f, v5
	v_mov_b32_e32 v19, v13
	v_cmpx_ne_u32_e32 0x7f, v21
	s_cbranch_execz .LBB246_963
; %bb.960:                              ;   in Loop: Header=BB246_541 Depth=1
	v_and_b32_e32 v5, 7, v5
	v_lshrrev_b32_e32 v11, 3, v21
	s_mov_b32 s15, exec_lo
	v_cmpx_gt_u32_e32 8, v21
; %bb.961:                              ;   in Loop: Header=BB246_541 Depth=1
	v_ffbh_u32_e32 v11, v5
	v_min_u32_e32 v11, 32, v11
	v_subrev_nc_u32_e32 v13, 28, v11
	v_sub_nc_u32_e32 v11, 29, v11
	v_lshlrev_b64 v[19:20], v13, v[5:6]
	v_and_b32_e32 v5, 7, v19
; %bb.962:                              ;   in Loop: Header=BB246_541 Depth=1
	s_or_b32 exec_lo, exec_lo, s15
	v_lshlrev_b32_e32 v13, 16, v102
	v_lshlrev_b32_e32 v5, 20, v5
	v_lshl_add_u32 v11, v11, 23, 0x3c000000
	v_mov_b32_e32 v19, v6
	v_and_b32_e32 v13, 0x80000000, v13
	v_or3_b32 v20, v5, v13, v11
.LBB246_963:                            ;   in Loop: Header=BB246_541 Depth=1
	s_or_b32 exec_lo, exec_lo, s14
.LBB246_964:                            ;   in Loop: Header=BB246_541 Depth=1
	s_or_b32 exec_lo, exec_lo, s13
.LBB246_965:                            ;   in Loop: Header=BB246_541 Depth=1
	s_or_b32 exec_lo, exec_lo, s9
	v_mov_b32_e32 v23, 0
	v_mov_b32_e32 v21, 0
	v_and_b32_sdwa v5, v102, v49 dst_sel:DWORD dst_unused:UNUSED_PAD src0_sel:WORD_1 src1_sel:DWORD
	v_mov_b32_e32 v24, 0
	v_mov_b32_e32 v22, 0
	s_mov_b32 s9, exec_lo
	v_cmpx_ne_u16_e32 0, v5
	s_cbranch_execz .LBB246_973
; %bb.966:                              ;   in Loop: Header=BB246_541 Depth=1
	v_bfrev_b32_e32 v21, 1
	v_mov_b32_e32 v22, 0
	s_mov_b32 s13, exec_lo
	v_cmpx_ne_u16_e32 0x80, v5
	s_cbranch_execz .LBB246_972
; %bb.967:                              ;   in Loop: Header=BB246_541 Depth=1
	v_mov_b32_e32 v21, 0x7f800001
	v_bfe_u32 v13, v102, 16, 7
	v_mov_b32_e32 v22, 0
	s_mov_b32 s14, exec_lo
	v_cmpx_ne_u32_e32 0x7f, v13
	s_cbranch_execz .LBB246_971
; %bb.968:                              ;   in Loop: Header=BB246_541 Depth=1
	v_and_b32_sdwa v5, v102, v50 dst_sel:DWORD dst_unused:UNUSED_PAD src0_sel:WORD_1 src1_sel:DWORD
	v_lshrrev_b32_e32 v11, 3, v13
	s_mov_b32 s15, exec_lo
	v_cmpx_gt_u32_e32 8, v13
; %bb.969:                              ;   in Loop: Header=BB246_541 Depth=1
	v_ffbh_u32_e32 v11, v5
	v_min_u32_e32 v11, 32, v11
	v_subrev_nc_u32_e32 v13, 28, v11
	v_sub_nc_u32_e32 v11, 29, v11
	v_lshlrev_b64 v[21:22], v13, v[5:6]
	v_and_b32_e32 v5, 7, v21
; %bb.970:                              ;   in Loop: Header=BB246_541 Depth=1
	s_or_b32 exec_lo, exec_lo, s15
	v_lshlrev_b32_sdwa v13, v51, v102 dst_sel:DWORD dst_unused:UNUSED_PAD src0_sel:DWORD src1_sel:WORD_1
	v_lshlrev_b32_e32 v5, 20, v5
	v_lshl_add_u32 v11, v11, 23, 0x3c000000
	v_and_b32_e32 v13, 0x80000000, v13
	v_or3_b32 v5, v5, v13, v11
	v_mov_b32_e32 v22, v6
	v_mov_b32_e32 v21, v5
.LBB246_971:                            ;   in Loop: Header=BB246_541 Depth=1
	s_or_b32 exec_lo, exec_lo, s14
.LBB246_972:                            ;   in Loop: Header=BB246_541 Depth=1
	s_or_b32 exec_lo, exec_lo, s13
.LBB246_973:                            ;   in Loop: Header=BB246_541 Depth=1
	s_or_b32 exec_lo, exec_lo, s9
	s_mov_b32 s9, exec_lo
	v_cmpx_lt_u32_e32 0xffffff, v102
	s_cbranch_execz .LBB246_981
; %bb.974:                              ;   in Loop: Header=BB246_541 Depth=1
	v_mov_b32_e32 v11, v6
	v_mov_b32_e32 v24, v12
	v_cmp_ne_u32_sdwa s0, v102, v47 src0_sel:BYTE_3 src1_sel:DWORD
	v_mov_b32_e32 v23, v11
	s_and_saveexec_b32 s13, s0
	s_cbranch_execz .LBB246_980
; %bb.975:                              ;   in Loop: Header=BB246_541 Depth=1
	v_mov_b32_e32 v13, v6
	v_mov_b32_e32 v24, v14
	v_bfe_u32 v103, v102, 24, 7
	s_mov_b32 s14, exec_lo
	v_mov_b32_e32 v23, v13
	v_cmpx_ne_u32_e32 0x7f, v103
	s_cbranch_execz .LBB246_979
; %bb.976:                              ;   in Loop: Header=BB246_541 Depth=1
	v_and_b32_sdwa v5, v102, v50 dst_sel:DWORD dst_unused:UNUSED_PAD src0_sel:BYTE_3 src1_sel:DWORD
	v_lshrrev_b32_e32 v11, 3, v103
	s_mov_b32 s15, exec_lo
	v_cmpx_gt_u32_e32 8, v103
; %bb.977:                              ;   in Loop: Header=BB246_541 Depth=1
	v_ffbh_u32_e32 v11, v5
	v_min_u32_e32 v11, 32, v11
	v_subrev_nc_u32_e32 v13, 28, v11
	v_sub_nc_u32_e32 v11, 29, v11
	v_lshlrev_b64 v[23:24], v13, v[5:6]
	v_and_b32_e32 v5, 7, v23
; %bb.978:                              ;   in Loop: Header=BB246_541 Depth=1
	s_or_b32 exec_lo, exec_lo, s15
	v_lshlrev_b32_sdwa v13, v51, v102 dst_sel:DWORD dst_unused:UNUSED_PAD src0_sel:DWORD src1_sel:BYTE_3
	v_lshlrev_b32_e32 v5, 20, v5
	v_lshl_add_u32 v11, v11, 23, 0x3c000000
	v_mov_b32_e32 v23, v6
	v_and_b32_e32 v13, 0x80000000, v13
	v_or3_b32 v24, v5, v13, v11
.LBB246_979:                            ;   in Loop: Header=BB246_541 Depth=1
	s_or_b32 exec_lo, exec_lo, s14
.LBB246_980:                            ;   in Loop: Header=BB246_541 Depth=1
	s_or_b32 exec_lo, exec_lo, s13
.LBB246_981:                            ;   in Loop: Header=BB246_541 Depth=1
	s_or_b32 exec_lo, exec_lo, s9
	v_or_b32_e32 v5, v20, v18
	v_or_b32_e32 v11, v19, v17
	;; [unrolled: 1-line block ×4, first 2 shown]
	v_mul_f32_e32 v104, s6, v5
	v_mul_f32_e32 v105, s3, v11
	;; [unrolled: 1-line block ×4, first 2 shown]
	s_and_saveexec_b32 s9, vcc_lo
	s_cbranch_execz .LBB246_983
; %bb.982:                              ;   in Loop: Header=BB246_541 Depth=1
	v_cmp_gt_i32_e64 s0, s29, v55
	v_cndmask_b32_e64 v105, 0, v105, s0
	v_cmp_gt_i32_e64 s0, s29, v57
	v_cndmask_b32_e64 v104, 0, v104, s0
	;; [unrolled: 2-line block ×4, first 2 shown]
.LBB246_983:                            ;   in Loop: Header=BB246_541 Depth=1
	s_or_b32 exec_lo, exec_lo, s9
	global_load_dword v106, v[15:16], off offset:1664
	v_mov_b32_e32 v19, 0
	v_mov_b32_e32 v17, 0
	;; [unrolled: 1-line block ×4, first 2 shown]
	s_waitcnt vmcnt(0)
	v_cmp_ne_u16_sdwa s0, v106, v6 src0_sel:BYTE_0 src1_sel:DWORD
	s_and_saveexec_b32 s9, s0
	s_cbranch_execz .LBB246_991
; %bb.984:                              ;   in Loop: Header=BB246_541 Depth=1
	v_bfrev_b32_e32 v17, 1
	v_mov_b32_e32 v18, 0
	v_cmp_ne_u16_sdwa s0, v106, v47 src0_sel:BYTE_0 src1_sel:DWORD
	s_and_saveexec_b32 s13, s0
	s_cbranch_execz .LBB246_990
; %bb.985:                              ;   in Loop: Header=BB246_541 Depth=1
	v_mov_b32_e32 v17, 0x7f800001
	v_and_b32_e32 v13, 0x7f, v106
	v_mov_b32_e32 v18, 0
	s_mov_b32 s14, exec_lo
	v_cmpx_ne_u32_e32 0x7f, v13
	s_cbranch_execz .LBB246_989
; %bb.986:                              ;   in Loop: Header=BB246_541 Depth=1
	v_and_b32_e32 v5, 7, v106
	v_lshrrev_b32_e32 v11, 3, v13
	s_mov_b32 s15, exec_lo
	v_cmpx_gt_u32_e32 8, v13
; %bb.987:                              ;   in Loop: Header=BB246_541 Depth=1
	v_ffbh_u32_e32 v11, v5
	v_min_u32_e32 v11, 32, v11
	v_subrev_nc_u32_e32 v13, 28, v11
	v_sub_nc_u32_e32 v11, 29, v11
	v_lshlrev_b64 v[17:18], v13, v[5:6]
	v_and_b32_e32 v5, 7, v17
; %bb.988:                              ;   in Loop: Header=BB246_541 Depth=1
	s_or_b32 exec_lo, exec_lo, s15
	v_lshlrev_b32_e32 v13, 24, v106
	v_lshlrev_b32_e32 v5, 20, v5
	v_lshl_add_u32 v11, v11, 23, 0x3c000000
	v_and_b32_e32 v13, 0x80000000, v13
	v_or3_b32 v5, v5, v13, v11
	v_mov_b32_e32 v18, v6
	v_mov_b32_e32 v17, v5
.LBB246_989:                            ;   in Loop: Header=BB246_541 Depth=1
	s_or_b32 exec_lo, exec_lo, s14
.LBB246_990:                            ;   in Loop: Header=BB246_541 Depth=1
	s_or_b32 exec_lo, exec_lo, s13
.LBB246_991:                            ;   in Loop: Header=BB246_541 Depth=1
	s_or_b32 exec_lo, exec_lo, s9
	v_cmp_ne_u16_sdwa s0, v106, v6 src0_sel:BYTE_1 src1_sel:DWORD
	s_and_saveexec_b32 s9, s0
	s_cbranch_execz .LBB246_999
; %bb.992:                              ;   in Loop: Header=BB246_541 Depth=1
	v_mov_b32_e32 v11, v6
	v_mov_b32_e32 v20, v12
	v_cmp_ne_u16_sdwa s0, v106, v47 src0_sel:BYTE_1 src1_sel:DWORD
	v_mov_b32_e32 v19, v11
	s_and_saveexec_b32 s13, s0
	s_cbranch_execz .LBB246_998
; %bb.993:                              ;   in Loop: Header=BB246_541 Depth=1
	v_and_b32_sdwa v5, v48, v106 dst_sel:DWORD dst_unused:UNUSED_PAD src0_sel:DWORD src1_sel:BYTE_1
	v_mov_b32_e32 v13, v6
	v_mov_b32_e32 v20, v14
	s_mov_b32 s14, exec_lo
	v_and_b32_e32 v21, 0x7f, v5
	v_mov_b32_e32 v19, v13
	v_cmpx_ne_u32_e32 0x7f, v21
	s_cbranch_execz .LBB246_997
; %bb.994:                              ;   in Loop: Header=BB246_541 Depth=1
	v_and_b32_e32 v5, 7, v5
	v_lshrrev_b32_e32 v11, 3, v21
	s_mov_b32 s15, exec_lo
	v_cmpx_gt_u32_e32 8, v21
; %bb.995:                              ;   in Loop: Header=BB246_541 Depth=1
	v_ffbh_u32_e32 v11, v5
	v_min_u32_e32 v11, 32, v11
	v_subrev_nc_u32_e32 v13, 28, v11
	v_sub_nc_u32_e32 v11, 29, v11
	v_lshlrev_b64 v[19:20], v13, v[5:6]
	v_and_b32_e32 v5, 7, v19
; %bb.996:                              ;   in Loop: Header=BB246_541 Depth=1
	s_or_b32 exec_lo, exec_lo, s15
	v_lshlrev_b32_e32 v13, 16, v106
	v_lshlrev_b32_e32 v5, 20, v5
	v_lshl_add_u32 v11, v11, 23, 0x3c000000
	v_mov_b32_e32 v19, v6
	v_and_b32_e32 v13, 0x80000000, v13
	v_or3_b32 v20, v5, v13, v11
.LBB246_997:                            ;   in Loop: Header=BB246_541 Depth=1
	s_or_b32 exec_lo, exec_lo, s14
.LBB246_998:                            ;   in Loop: Header=BB246_541 Depth=1
	s_or_b32 exec_lo, exec_lo, s13
.LBB246_999:                            ;   in Loop: Header=BB246_541 Depth=1
	s_or_b32 exec_lo, exec_lo, s9
	v_mov_b32_e32 v23, 0
	v_mov_b32_e32 v21, 0
	v_and_b32_sdwa v5, v106, v49 dst_sel:DWORD dst_unused:UNUSED_PAD src0_sel:WORD_1 src1_sel:DWORD
	v_mov_b32_e32 v24, 0
	v_mov_b32_e32 v22, 0
	s_mov_b32 s9, exec_lo
	v_cmpx_ne_u16_e32 0, v5
	s_cbranch_execz .LBB246_1007
; %bb.1000:                             ;   in Loop: Header=BB246_541 Depth=1
	v_bfrev_b32_e32 v21, 1
	v_mov_b32_e32 v22, 0
	s_mov_b32 s13, exec_lo
	v_cmpx_ne_u16_e32 0x80, v5
	s_cbranch_execz .LBB246_1006
; %bb.1001:                             ;   in Loop: Header=BB246_541 Depth=1
	v_mov_b32_e32 v21, 0x7f800001
	v_bfe_u32 v13, v106, 16, 7
	v_mov_b32_e32 v22, 0
	s_mov_b32 s14, exec_lo
	v_cmpx_ne_u32_e32 0x7f, v13
	s_cbranch_execz .LBB246_1005
; %bb.1002:                             ;   in Loop: Header=BB246_541 Depth=1
	v_and_b32_sdwa v5, v106, v50 dst_sel:DWORD dst_unused:UNUSED_PAD src0_sel:WORD_1 src1_sel:DWORD
	v_lshrrev_b32_e32 v11, 3, v13
	s_mov_b32 s15, exec_lo
	v_cmpx_gt_u32_e32 8, v13
; %bb.1003:                             ;   in Loop: Header=BB246_541 Depth=1
	v_ffbh_u32_e32 v11, v5
	v_min_u32_e32 v11, 32, v11
	v_subrev_nc_u32_e32 v13, 28, v11
	v_sub_nc_u32_e32 v11, 29, v11
	v_lshlrev_b64 v[21:22], v13, v[5:6]
	v_and_b32_e32 v5, 7, v21
; %bb.1004:                             ;   in Loop: Header=BB246_541 Depth=1
	s_or_b32 exec_lo, exec_lo, s15
	v_lshlrev_b32_sdwa v13, v51, v106 dst_sel:DWORD dst_unused:UNUSED_PAD src0_sel:DWORD src1_sel:WORD_1
	v_lshlrev_b32_e32 v5, 20, v5
	v_lshl_add_u32 v11, v11, 23, 0x3c000000
	v_and_b32_e32 v13, 0x80000000, v13
	v_or3_b32 v5, v5, v13, v11
	v_mov_b32_e32 v22, v6
	v_mov_b32_e32 v21, v5
.LBB246_1005:                           ;   in Loop: Header=BB246_541 Depth=1
	s_or_b32 exec_lo, exec_lo, s14
.LBB246_1006:                           ;   in Loop: Header=BB246_541 Depth=1
	s_or_b32 exec_lo, exec_lo, s13
.LBB246_1007:                           ;   in Loop: Header=BB246_541 Depth=1
	s_or_b32 exec_lo, exec_lo, s9
	s_mov_b32 s9, exec_lo
	v_cmpx_lt_u32_e32 0xffffff, v106
	s_cbranch_execz .LBB246_1015
; %bb.1008:                             ;   in Loop: Header=BB246_541 Depth=1
	v_mov_b32_e32 v11, v6
	v_mov_b32_e32 v24, v12
	v_cmp_ne_u32_sdwa s0, v106, v47 src0_sel:BYTE_3 src1_sel:DWORD
	v_mov_b32_e32 v23, v11
	s_and_saveexec_b32 s13, s0
	s_cbranch_execz .LBB246_1014
; %bb.1009:                             ;   in Loop: Header=BB246_541 Depth=1
	v_mov_b32_e32 v13, v6
	v_mov_b32_e32 v24, v14
	v_bfe_u32 v107, v106, 24, 7
	s_mov_b32 s14, exec_lo
	v_mov_b32_e32 v23, v13
	v_cmpx_ne_u32_e32 0x7f, v107
	s_cbranch_execz .LBB246_1013
; %bb.1010:                             ;   in Loop: Header=BB246_541 Depth=1
	v_and_b32_sdwa v5, v106, v50 dst_sel:DWORD dst_unused:UNUSED_PAD src0_sel:BYTE_3 src1_sel:DWORD
	v_lshrrev_b32_e32 v11, 3, v107
	s_mov_b32 s15, exec_lo
	v_cmpx_gt_u32_e32 8, v107
; %bb.1011:                             ;   in Loop: Header=BB246_541 Depth=1
	v_ffbh_u32_e32 v11, v5
	v_min_u32_e32 v11, 32, v11
	v_subrev_nc_u32_e32 v13, 28, v11
	v_sub_nc_u32_e32 v11, 29, v11
	v_lshlrev_b64 v[23:24], v13, v[5:6]
	v_and_b32_e32 v5, 7, v23
; %bb.1012:                             ;   in Loop: Header=BB246_541 Depth=1
	s_or_b32 exec_lo, exec_lo, s15
	v_lshlrev_b32_sdwa v13, v51, v106 dst_sel:DWORD dst_unused:UNUSED_PAD src0_sel:DWORD src1_sel:BYTE_3
	v_lshlrev_b32_e32 v5, 20, v5
	v_lshl_add_u32 v11, v11, 23, 0x3c000000
	v_mov_b32_e32 v23, v6
	v_and_b32_e32 v13, 0x80000000, v13
	v_or3_b32 v24, v5, v13, v11
.LBB246_1013:                           ;   in Loop: Header=BB246_541 Depth=1
	s_or_b32 exec_lo, exec_lo, s14
.LBB246_1014:                           ;   in Loop: Header=BB246_541 Depth=1
	s_or_b32 exec_lo, exec_lo, s13
.LBB246_1015:                           ;   in Loop: Header=BB246_541 Depth=1
	s_or_b32 exec_lo, exec_lo, s9
	v_or_b32_e32 v5, v20, v18
	v_or_b32_e32 v11, v19, v17
	;; [unrolled: 1-line block ×4, first 2 shown]
	v_mul_f32_e32 v108, s6, v5
	v_mul_f32_e32 v109, s3, v11
	;; [unrolled: 1-line block ×4, first 2 shown]
	s_and_saveexec_b32 s9, vcc_lo
	s_cbranch_execz .LBB246_1017
; %bb.1016:                             ;   in Loop: Header=BB246_541 Depth=1
	v_cmp_gt_i32_e64 s0, s29, v55
	v_cndmask_b32_e64 v109, 0, v109, s0
	v_cmp_gt_i32_e64 s0, s29, v57
	v_cndmask_b32_e64 v108, 0, v108, s0
	;; [unrolled: 2-line block ×4, first 2 shown]
.LBB246_1017:                           ;   in Loop: Header=BB246_541 Depth=1
	s_or_b32 exec_lo, exec_lo, s9
	global_load_dword v110, v[15:16], off offset:1792
	v_mov_b32_e32 v19, 0
	v_mov_b32_e32 v17, 0
	;; [unrolled: 1-line block ×4, first 2 shown]
	s_waitcnt vmcnt(0)
	v_cmp_ne_u16_sdwa s0, v110, v6 src0_sel:BYTE_0 src1_sel:DWORD
	s_and_saveexec_b32 s9, s0
	s_cbranch_execz .LBB246_1025
; %bb.1018:                             ;   in Loop: Header=BB246_541 Depth=1
	v_bfrev_b32_e32 v17, 1
	v_mov_b32_e32 v18, 0
	v_cmp_ne_u16_sdwa s0, v110, v47 src0_sel:BYTE_0 src1_sel:DWORD
	s_and_saveexec_b32 s13, s0
	s_cbranch_execz .LBB246_1024
; %bb.1019:                             ;   in Loop: Header=BB246_541 Depth=1
	v_mov_b32_e32 v17, 0x7f800001
	v_and_b32_e32 v13, 0x7f, v110
	v_mov_b32_e32 v18, 0
	s_mov_b32 s14, exec_lo
	v_cmpx_ne_u32_e32 0x7f, v13
	s_cbranch_execz .LBB246_1023
; %bb.1020:                             ;   in Loop: Header=BB246_541 Depth=1
	v_and_b32_e32 v5, 7, v110
	v_lshrrev_b32_e32 v11, 3, v13
	s_mov_b32 s15, exec_lo
	v_cmpx_gt_u32_e32 8, v13
; %bb.1021:                             ;   in Loop: Header=BB246_541 Depth=1
	v_ffbh_u32_e32 v11, v5
	v_min_u32_e32 v11, 32, v11
	v_subrev_nc_u32_e32 v13, 28, v11
	v_sub_nc_u32_e32 v11, 29, v11
	v_lshlrev_b64 v[17:18], v13, v[5:6]
	v_and_b32_e32 v5, 7, v17
; %bb.1022:                             ;   in Loop: Header=BB246_541 Depth=1
	s_or_b32 exec_lo, exec_lo, s15
	v_lshlrev_b32_e32 v13, 24, v110
	v_lshlrev_b32_e32 v5, 20, v5
	v_lshl_add_u32 v11, v11, 23, 0x3c000000
	v_and_b32_e32 v13, 0x80000000, v13
	v_or3_b32 v5, v5, v13, v11
	v_mov_b32_e32 v18, v6
	v_mov_b32_e32 v17, v5
.LBB246_1023:                           ;   in Loop: Header=BB246_541 Depth=1
	s_or_b32 exec_lo, exec_lo, s14
.LBB246_1024:                           ;   in Loop: Header=BB246_541 Depth=1
	s_or_b32 exec_lo, exec_lo, s13
.LBB246_1025:                           ;   in Loop: Header=BB246_541 Depth=1
	s_or_b32 exec_lo, exec_lo, s9
	v_cmp_ne_u16_sdwa s0, v110, v6 src0_sel:BYTE_1 src1_sel:DWORD
	s_and_saveexec_b32 s9, s0
	s_cbranch_execz .LBB246_1033
; %bb.1026:                             ;   in Loop: Header=BB246_541 Depth=1
	v_mov_b32_e32 v11, v6
	v_mov_b32_e32 v20, v12
	v_cmp_ne_u16_sdwa s0, v110, v47 src0_sel:BYTE_1 src1_sel:DWORD
	v_mov_b32_e32 v19, v11
	s_and_saveexec_b32 s13, s0
	s_cbranch_execz .LBB246_1032
; %bb.1027:                             ;   in Loop: Header=BB246_541 Depth=1
	v_and_b32_sdwa v5, v48, v110 dst_sel:DWORD dst_unused:UNUSED_PAD src0_sel:DWORD src1_sel:BYTE_1
	v_mov_b32_e32 v13, v6
	v_mov_b32_e32 v20, v14
	s_mov_b32 s14, exec_lo
	v_and_b32_e32 v21, 0x7f, v5
	v_mov_b32_e32 v19, v13
	v_cmpx_ne_u32_e32 0x7f, v21
	s_cbranch_execz .LBB246_1031
; %bb.1028:                             ;   in Loop: Header=BB246_541 Depth=1
	v_and_b32_e32 v5, 7, v5
	v_lshrrev_b32_e32 v11, 3, v21
	s_mov_b32 s15, exec_lo
	v_cmpx_gt_u32_e32 8, v21
; %bb.1029:                             ;   in Loop: Header=BB246_541 Depth=1
	v_ffbh_u32_e32 v11, v5
	v_min_u32_e32 v11, 32, v11
	v_subrev_nc_u32_e32 v13, 28, v11
	v_sub_nc_u32_e32 v11, 29, v11
	v_lshlrev_b64 v[19:20], v13, v[5:6]
	v_and_b32_e32 v5, 7, v19
; %bb.1030:                             ;   in Loop: Header=BB246_541 Depth=1
	s_or_b32 exec_lo, exec_lo, s15
	v_lshlrev_b32_e32 v13, 16, v110
	v_lshlrev_b32_e32 v5, 20, v5
	v_lshl_add_u32 v11, v11, 23, 0x3c000000
	v_mov_b32_e32 v19, v6
	v_and_b32_e32 v13, 0x80000000, v13
	v_or3_b32 v20, v5, v13, v11
.LBB246_1031:                           ;   in Loop: Header=BB246_541 Depth=1
	s_or_b32 exec_lo, exec_lo, s14
.LBB246_1032:                           ;   in Loop: Header=BB246_541 Depth=1
	s_or_b32 exec_lo, exec_lo, s13
.LBB246_1033:                           ;   in Loop: Header=BB246_541 Depth=1
	s_or_b32 exec_lo, exec_lo, s9
	v_mov_b32_e32 v23, 0
	v_mov_b32_e32 v21, 0
	v_and_b32_sdwa v5, v110, v49 dst_sel:DWORD dst_unused:UNUSED_PAD src0_sel:WORD_1 src1_sel:DWORD
	v_mov_b32_e32 v24, 0
	v_mov_b32_e32 v22, 0
	s_mov_b32 s9, exec_lo
	v_cmpx_ne_u16_e32 0, v5
	s_cbranch_execz .LBB246_1041
; %bb.1034:                             ;   in Loop: Header=BB246_541 Depth=1
	v_bfrev_b32_e32 v21, 1
	v_mov_b32_e32 v22, 0
	s_mov_b32 s13, exec_lo
	v_cmpx_ne_u16_e32 0x80, v5
	s_cbranch_execz .LBB246_1040
; %bb.1035:                             ;   in Loop: Header=BB246_541 Depth=1
	v_mov_b32_e32 v21, 0x7f800001
	v_bfe_u32 v13, v110, 16, 7
	v_mov_b32_e32 v22, 0
	s_mov_b32 s14, exec_lo
	v_cmpx_ne_u32_e32 0x7f, v13
	s_cbranch_execz .LBB246_1039
; %bb.1036:                             ;   in Loop: Header=BB246_541 Depth=1
	v_and_b32_sdwa v5, v110, v50 dst_sel:DWORD dst_unused:UNUSED_PAD src0_sel:WORD_1 src1_sel:DWORD
	v_lshrrev_b32_e32 v11, 3, v13
	s_mov_b32 s15, exec_lo
	v_cmpx_gt_u32_e32 8, v13
; %bb.1037:                             ;   in Loop: Header=BB246_541 Depth=1
	v_ffbh_u32_e32 v11, v5
	v_min_u32_e32 v11, 32, v11
	v_subrev_nc_u32_e32 v13, 28, v11
	v_sub_nc_u32_e32 v11, 29, v11
	v_lshlrev_b64 v[21:22], v13, v[5:6]
	v_and_b32_e32 v5, 7, v21
; %bb.1038:                             ;   in Loop: Header=BB246_541 Depth=1
	s_or_b32 exec_lo, exec_lo, s15
	v_lshlrev_b32_sdwa v13, v51, v110 dst_sel:DWORD dst_unused:UNUSED_PAD src0_sel:DWORD src1_sel:WORD_1
	v_lshlrev_b32_e32 v5, 20, v5
	v_lshl_add_u32 v11, v11, 23, 0x3c000000
	v_and_b32_e32 v13, 0x80000000, v13
	v_or3_b32 v5, v5, v13, v11
	v_mov_b32_e32 v22, v6
	v_mov_b32_e32 v21, v5
.LBB246_1039:                           ;   in Loop: Header=BB246_541 Depth=1
	s_or_b32 exec_lo, exec_lo, s14
.LBB246_1040:                           ;   in Loop: Header=BB246_541 Depth=1
	s_or_b32 exec_lo, exec_lo, s13
.LBB246_1041:                           ;   in Loop: Header=BB246_541 Depth=1
	s_or_b32 exec_lo, exec_lo, s9
	s_mov_b32 s9, exec_lo
	v_cmpx_lt_u32_e32 0xffffff, v110
	s_cbranch_execz .LBB246_1049
; %bb.1042:                             ;   in Loop: Header=BB246_541 Depth=1
	v_mov_b32_e32 v11, v6
	v_mov_b32_e32 v24, v12
	v_cmp_ne_u32_sdwa s0, v110, v47 src0_sel:BYTE_3 src1_sel:DWORD
	v_mov_b32_e32 v23, v11
	s_and_saveexec_b32 s13, s0
	s_cbranch_execz .LBB246_1048
; %bb.1043:                             ;   in Loop: Header=BB246_541 Depth=1
	v_mov_b32_e32 v13, v6
	v_mov_b32_e32 v24, v14
	v_bfe_u32 v111, v110, 24, 7
	s_mov_b32 s14, exec_lo
	v_mov_b32_e32 v23, v13
	v_cmpx_ne_u32_e32 0x7f, v111
	s_cbranch_execz .LBB246_1047
; %bb.1044:                             ;   in Loop: Header=BB246_541 Depth=1
	v_and_b32_sdwa v5, v110, v50 dst_sel:DWORD dst_unused:UNUSED_PAD src0_sel:BYTE_3 src1_sel:DWORD
	v_lshrrev_b32_e32 v11, 3, v111
	s_mov_b32 s15, exec_lo
	v_cmpx_gt_u32_e32 8, v111
; %bb.1045:                             ;   in Loop: Header=BB246_541 Depth=1
	v_ffbh_u32_e32 v11, v5
	v_min_u32_e32 v11, 32, v11
	v_subrev_nc_u32_e32 v13, 28, v11
	v_sub_nc_u32_e32 v11, 29, v11
	v_lshlrev_b64 v[23:24], v13, v[5:6]
	v_and_b32_e32 v5, 7, v23
; %bb.1046:                             ;   in Loop: Header=BB246_541 Depth=1
	s_or_b32 exec_lo, exec_lo, s15
	v_lshlrev_b32_sdwa v13, v51, v110 dst_sel:DWORD dst_unused:UNUSED_PAD src0_sel:DWORD src1_sel:BYTE_3
	v_lshlrev_b32_e32 v5, 20, v5
	v_lshl_add_u32 v11, v11, 23, 0x3c000000
	v_mov_b32_e32 v23, v6
	v_and_b32_e32 v13, 0x80000000, v13
	v_or3_b32 v24, v5, v13, v11
.LBB246_1047:                           ;   in Loop: Header=BB246_541 Depth=1
	s_or_b32 exec_lo, exec_lo, s14
.LBB246_1048:                           ;   in Loop: Header=BB246_541 Depth=1
	s_or_b32 exec_lo, exec_lo, s13
.LBB246_1049:                           ;   in Loop: Header=BB246_541 Depth=1
	s_or_b32 exec_lo, exec_lo, s9
	v_or_b32_e32 v5, v20, v18
	v_or_b32_e32 v11, v19, v17
	;; [unrolled: 1-line block ×4, first 2 shown]
	v_mul_f32_e32 v110, s6, v5
	v_mul_f32_e32 v111, s3, v11
	;; [unrolled: 1-line block ×4, first 2 shown]
	s_and_saveexec_b32 s9, vcc_lo
	s_cbranch_execz .LBB246_1051
; %bb.1050:                             ;   in Loop: Header=BB246_541 Depth=1
	v_cmp_gt_i32_e64 s0, s29, v55
	v_cndmask_b32_e64 v111, 0, v111, s0
	v_cmp_gt_i32_e64 s0, s29, v57
	v_cndmask_b32_e64 v110, 0, v110, s0
	;; [unrolled: 2-line block ×4, first 2 shown]
.LBB246_1051:                           ;   in Loop: Header=BB246_541 Depth=1
	s_or_b32 exec_lo, exec_lo, s9
	global_load_dword v112, v[15:16], off offset:1920
	v_mov_b32_e32 v17, 0
	v_mov_b32_e32 v15, 0
	;; [unrolled: 1-line block ×4, first 2 shown]
	s_waitcnt vmcnt(0)
	v_cmp_ne_u16_sdwa s0, v112, v6 src0_sel:BYTE_0 src1_sel:DWORD
	s_and_saveexec_b32 s9, s0
	s_cbranch_execz .LBB246_1059
; %bb.1052:                             ;   in Loop: Header=BB246_541 Depth=1
	v_bfrev_b32_e32 v15, 1
	v_mov_b32_e32 v16, 0
	v_cmp_ne_u16_sdwa s0, v112, v47 src0_sel:BYTE_0 src1_sel:DWORD
	s_and_saveexec_b32 s13, s0
	s_cbranch_execz .LBB246_1058
; %bb.1053:                             ;   in Loop: Header=BB246_541 Depth=1
	v_mov_b32_e32 v15, 0x7f800001
	v_and_b32_e32 v13, 0x7f, v112
	v_mov_b32_e32 v16, 0
	s_mov_b32 s14, exec_lo
	v_cmpx_ne_u32_e32 0x7f, v13
	s_cbranch_execz .LBB246_1057
; %bb.1054:                             ;   in Loop: Header=BB246_541 Depth=1
	v_and_b32_e32 v5, 7, v112
	v_lshrrev_b32_e32 v11, 3, v13
	s_mov_b32 s15, exec_lo
	v_cmpx_gt_u32_e32 8, v13
; %bb.1055:                             ;   in Loop: Header=BB246_541 Depth=1
	v_ffbh_u32_e32 v11, v5
	v_min_u32_e32 v11, 32, v11
	v_subrev_nc_u32_e32 v13, 28, v11
	v_sub_nc_u32_e32 v11, 29, v11
	v_lshlrev_b64 v[15:16], v13, v[5:6]
	v_and_b32_e32 v5, 7, v15
; %bb.1056:                             ;   in Loop: Header=BB246_541 Depth=1
	s_or_b32 exec_lo, exec_lo, s15
	v_lshlrev_b32_e32 v13, 24, v112
	v_lshlrev_b32_e32 v5, 20, v5
	v_lshl_add_u32 v11, v11, 23, 0x3c000000
	v_and_b32_e32 v13, 0x80000000, v13
	v_or3_b32 v5, v5, v13, v11
	v_mov_b32_e32 v16, v6
	v_mov_b32_e32 v15, v5
.LBB246_1057:                           ;   in Loop: Header=BB246_541 Depth=1
	s_or_b32 exec_lo, exec_lo, s14
.LBB246_1058:                           ;   in Loop: Header=BB246_541 Depth=1
	s_or_b32 exec_lo, exec_lo, s13
.LBB246_1059:                           ;   in Loop: Header=BB246_541 Depth=1
	s_or_b32 exec_lo, exec_lo, s9
	v_cmp_ne_u16_sdwa s0, v112, v6 src0_sel:BYTE_1 src1_sel:DWORD
	s_and_saveexec_b32 s9, s0
	s_cbranch_execz .LBB246_1067
; %bb.1060:                             ;   in Loop: Header=BB246_541 Depth=1
	v_mov_b32_e32 v11, v6
	v_mov_b32_e32 v18, v12
	v_cmp_ne_u16_sdwa s0, v112, v47 src0_sel:BYTE_1 src1_sel:DWORD
	v_mov_b32_e32 v17, v11
	s_and_saveexec_b32 s13, s0
	s_cbranch_execz .LBB246_1066
; %bb.1061:                             ;   in Loop: Header=BB246_541 Depth=1
	v_and_b32_sdwa v5, v48, v112 dst_sel:DWORD dst_unused:UNUSED_PAD src0_sel:DWORD src1_sel:BYTE_1
	v_mov_b32_e32 v13, v6
	v_mov_b32_e32 v18, v14
	s_mov_b32 s14, exec_lo
	v_and_b32_e32 v19, 0x7f, v5
	v_mov_b32_e32 v17, v13
	v_cmpx_ne_u32_e32 0x7f, v19
	s_cbranch_execz .LBB246_1065
; %bb.1062:                             ;   in Loop: Header=BB246_541 Depth=1
	v_and_b32_e32 v5, 7, v5
	v_lshrrev_b32_e32 v11, 3, v19
	s_mov_b32 s15, exec_lo
	v_cmpx_gt_u32_e32 8, v19
; %bb.1063:                             ;   in Loop: Header=BB246_541 Depth=1
	v_ffbh_u32_e32 v11, v5
	v_min_u32_e32 v11, 32, v11
	v_subrev_nc_u32_e32 v13, 28, v11
	v_sub_nc_u32_e32 v11, 29, v11
	v_lshlrev_b64 v[17:18], v13, v[5:6]
	v_and_b32_e32 v5, 7, v17
; %bb.1064:                             ;   in Loop: Header=BB246_541 Depth=1
	s_or_b32 exec_lo, exec_lo, s15
	v_lshlrev_b32_e32 v13, 16, v112
	v_lshlrev_b32_e32 v5, 20, v5
	v_lshl_add_u32 v11, v11, 23, 0x3c000000
	v_mov_b32_e32 v17, v6
	v_and_b32_e32 v13, 0x80000000, v13
	v_or3_b32 v18, v5, v13, v11
.LBB246_1065:                           ;   in Loop: Header=BB246_541 Depth=1
	s_or_b32 exec_lo, exec_lo, s14
.LBB246_1066:                           ;   in Loop: Header=BB246_541 Depth=1
	s_or_b32 exec_lo, exec_lo, s13
.LBB246_1067:                           ;   in Loop: Header=BB246_541 Depth=1
	s_or_b32 exec_lo, exec_lo, s9
	v_mov_b32_e32 v21, 0
	v_mov_b32_e32 v19, 0
	v_and_b32_sdwa v5, v112, v49 dst_sel:DWORD dst_unused:UNUSED_PAD src0_sel:WORD_1 src1_sel:DWORD
	v_mov_b32_e32 v22, 0
	v_mov_b32_e32 v20, 0
	s_mov_b32 s9, exec_lo
	v_cmpx_ne_u16_e32 0, v5
	s_cbranch_execz .LBB246_1075
; %bb.1068:                             ;   in Loop: Header=BB246_541 Depth=1
	v_bfrev_b32_e32 v19, 1
	v_mov_b32_e32 v20, 0
	s_mov_b32 s13, exec_lo
	v_cmpx_ne_u16_e32 0x80, v5
	s_cbranch_execz .LBB246_1074
; %bb.1069:                             ;   in Loop: Header=BB246_541 Depth=1
	v_mov_b32_e32 v19, 0x7f800001
	v_bfe_u32 v13, v112, 16, 7
	v_mov_b32_e32 v20, 0
	s_mov_b32 s14, exec_lo
	v_cmpx_ne_u32_e32 0x7f, v13
	s_cbranch_execz .LBB246_1073
; %bb.1070:                             ;   in Loop: Header=BB246_541 Depth=1
	v_and_b32_sdwa v5, v112, v50 dst_sel:DWORD dst_unused:UNUSED_PAD src0_sel:WORD_1 src1_sel:DWORD
	v_lshrrev_b32_e32 v11, 3, v13
	s_mov_b32 s15, exec_lo
	v_cmpx_gt_u32_e32 8, v13
; %bb.1071:                             ;   in Loop: Header=BB246_541 Depth=1
	v_ffbh_u32_e32 v11, v5
	v_min_u32_e32 v11, 32, v11
	v_subrev_nc_u32_e32 v13, 28, v11
	v_sub_nc_u32_e32 v11, 29, v11
	v_lshlrev_b64 v[19:20], v13, v[5:6]
	v_and_b32_e32 v5, 7, v19
; %bb.1072:                             ;   in Loop: Header=BB246_541 Depth=1
	s_or_b32 exec_lo, exec_lo, s15
	v_lshlrev_b32_sdwa v13, v51, v112 dst_sel:DWORD dst_unused:UNUSED_PAD src0_sel:DWORD src1_sel:WORD_1
	v_lshlrev_b32_e32 v5, 20, v5
	v_lshl_add_u32 v11, v11, 23, 0x3c000000
	v_and_b32_e32 v13, 0x80000000, v13
	v_or3_b32 v5, v5, v13, v11
	v_mov_b32_e32 v20, v6
	v_mov_b32_e32 v19, v5
.LBB246_1073:                           ;   in Loop: Header=BB246_541 Depth=1
	s_or_b32 exec_lo, exec_lo, s14
.LBB246_1074:                           ;   in Loop: Header=BB246_541 Depth=1
	s_or_b32 exec_lo, exec_lo, s13
.LBB246_1075:                           ;   in Loop: Header=BB246_541 Depth=1
	s_or_b32 exec_lo, exec_lo, s9
	s_mov_b32 s9, exec_lo
	v_cmpx_lt_u32_e32 0xffffff, v112
	s_cbranch_execz .LBB246_1083
; %bb.1076:                             ;   in Loop: Header=BB246_541 Depth=1
	v_mov_b32_e32 v11, v6
	v_mov_b32_e32 v22, v12
	v_cmp_ne_u32_sdwa s0, v112, v47 src0_sel:BYTE_3 src1_sel:DWORD
	v_mov_b32_e32 v21, v11
	s_and_saveexec_b32 s13, s0
	s_cbranch_execz .LBB246_1082
; %bb.1077:                             ;   in Loop: Header=BB246_541 Depth=1
	v_mov_b32_e32 v13, v6
	v_mov_b32_e32 v22, v14
	v_bfe_u32 v113, v112, 24, 7
	s_mov_b32 s14, exec_lo
	v_mov_b32_e32 v21, v13
	v_cmpx_ne_u32_e32 0x7f, v113
	s_cbranch_execz .LBB246_1081
; %bb.1078:                             ;   in Loop: Header=BB246_541 Depth=1
	v_and_b32_sdwa v5, v112, v50 dst_sel:DWORD dst_unused:UNUSED_PAD src0_sel:BYTE_3 src1_sel:DWORD
	v_lshrrev_b32_e32 v11, 3, v113
	s_mov_b32 s15, exec_lo
	v_cmpx_gt_u32_e32 8, v113
; %bb.1079:                             ;   in Loop: Header=BB246_541 Depth=1
	v_ffbh_u32_e32 v11, v5
	v_min_u32_e32 v11, 32, v11
	v_subrev_nc_u32_e32 v13, 28, v11
	v_sub_nc_u32_e32 v11, 29, v11
	v_lshlrev_b64 v[21:22], v13, v[5:6]
	v_and_b32_e32 v5, 7, v21
; %bb.1080:                             ;   in Loop: Header=BB246_541 Depth=1
	s_or_b32 exec_lo, exec_lo, s15
	v_lshlrev_b32_sdwa v13, v51, v112 dst_sel:DWORD dst_unused:UNUSED_PAD src0_sel:DWORD src1_sel:BYTE_3
	v_lshlrev_b32_e32 v5, 20, v5
	v_lshl_add_u32 v11, v11, 23, 0x3c000000
	v_mov_b32_e32 v21, v6
	v_and_b32_e32 v13, 0x80000000, v13
	v_or3_b32 v22, v5, v13, v11
.LBB246_1081:                           ;   in Loop: Header=BB246_541 Depth=1
	s_or_b32 exec_lo, exec_lo, s14
.LBB246_1082:                           ;   in Loop: Header=BB246_541 Depth=1
	s_or_b32 exec_lo, exec_lo, s13
.LBB246_1083:                           ;   in Loop: Header=BB246_541 Depth=1
	s_or_b32 exec_lo, exec_lo, s9
	v_or_b32_e32 v5, v18, v16
	v_or_b32_e32 v11, v17, v15
	;; [unrolled: 1-line block ×4, first 2 shown]
	v_mul_f32_e32 v13, s6, v5
	v_mul_f32_e32 v15, s3, v11
	;; [unrolled: 1-line block ×4, first 2 shown]
	s_and_saveexec_b32 s0, vcc_lo
	s_cbranch_execz .LBB246_540
; %bb.1084:                             ;   in Loop: Header=BB246_541 Depth=1
	v_cmp_gt_i32_e32 vcc_lo, s29, v55
	v_cndmask_b32_e32 v15, 0, v15, vcc_lo
	v_cmp_gt_i32_e32 vcc_lo, s29, v57
	v_cndmask_b32_e32 v13, 0, v13, vcc_lo
	;; [unrolled: 2-line block ×4, first 2 shown]
	s_branch .LBB246_540
.LBB246_1085:
	s_or_b32 exec_lo, exec_lo, s5
.LBB246_1086:
	s_or_b32 exec_lo, exec_lo, s1
	ds_bpermute_b32 v0, v27, v42
	ds_bpermute_b32 v4, v27, v40
	ds_bpermute_b32 v5, v27, v39
	ds_bpermute_b32 v9, v27, v35
	ds_bpermute_b32 v1, v27, v44
	ds_bpermute_b32 v2, v27, v43
	ds_bpermute_b32 v3, v27, v41
	ds_bpermute_b32 v6, v27, v38
	ds_bpermute_b32 v7, v27, v37
	ds_bpermute_b32 v8, v27, v36
	ds_bpermute_b32 v10, v27, v34
	ds_bpermute_b32 v11, v27, v33
	ds_bpermute_b32 v12, v27, v32
	ds_bpermute_b32 v13, v27, v31
	ds_bpermute_b32 v14, v27, v30
	ds_bpermute_b32 v15, v27, v29
	s_mov_b32 s0, exec_lo
	s_waitcnt lgkmcnt(0)
	s_waitcnt_vscnt null, 0x0
	s_barrier
	buffer_gl0_inv
	v_add_f32_e32 v0, v42, v0
	v_add_f32_e32 v4, v40, v4
	;; [unrolled: 1-line block ×5, first 2 shown]
	ds_bpermute_b32 v16, v26, v0
	ds_bpermute_b32 v20, v26, v4
	;; [unrolled: 1-line block ×3, first 2 shown]
	v_add_f32_e32 v2, v43, v2
	v_add_f32_e32 v3, v41, v3
	;; [unrolled: 1-line block ×10, first 2 shown]
	ds_bpermute_b32 v27, v26, v9
	v_add_f32_e32 v15, v29, v15
	ds_bpermute_b32 v17, v26, v1
	ds_bpermute_b32 v18, v26, v2
	;; [unrolled: 1-line block ×8, first 2 shown]
	s_waitcnt lgkmcnt(11)
	v_add_f32_e32 v0, v0, v16
	ds_bpermute_b32 v16, v26, v12
	s_waitcnt lgkmcnt(11)
	v_add_f32_e32 v4, v4, v20
	ds_bpermute_b32 v20, v26, v13
	;; [unrolled: 3-line block ×3, first 2 shown]
	ds_bpermute_b32 v26, v26, v15
	ds_bpermute_b32 v29, v25, v5
	s_waitcnt lgkmcnt(13)
	v_add_f32_e32 v9, v9, v27
	s_waitcnt lgkmcnt(12)
	v_add_f32_e32 v1, v1, v17
	;; [unrolled: 2-line block ×9, first 2 shown]
	ds_bpermute_b32 v17, v25, v0
	s_waitcnt lgkmcnt(5)
	v_add_f32_e32 v12, v12, v16
	ds_bpermute_b32 v16, v25, v9
	s_waitcnt lgkmcnt(5)
	v_add_f32_e32 v13, v13, v20
	;; [unrolled: 3-line block ×3, first 2 shown]
	s_waitcnt lgkmcnt(4)
	v_add_f32_e32 v15, v15, v26
	ds_bpermute_b32 v19, v25, v2
	ds_bpermute_b32 v22, v25, v3
	;; [unrolled: 1-line block ×12, first 2 shown]
	s_waitcnt lgkmcnt(15)
	v_add_f32_e32 v5, v5, v29
	s_waitcnt lgkmcnt(14)
	v_add_f32_e32 v0, v0, v17
	;; [unrolled: 2-line block ×3, first 2 shown]
	v_lshrrev_b32_e32 v16, 3, v116
	s_waitcnt lgkmcnt(12)
	v_add_f32_e32 v1, v1, v18
	v_lshlrev_b32_e32 v18, 8, v115
	s_waitcnt lgkmcnt(11)
	v_add_f32_e32 v2, v2, v19
	s_waitcnt lgkmcnt(10)
	v_add_f32_e32 v3, v3, v22
	;; [unrolled: 2-line block ×10, first 2 shown]
	v_and_b32_e32 v19, 0x3c7, v114
	s_waitcnt lgkmcnt(1)
	v_add_f32_e32 v14, v14, v26
	s_waitcnt lgkmcnt(0)
	v_add_f32_e32 v15, v15, v25
	v_lshl_add_u32 v17, v16, 2, 0x120
	v_cmpx_eq_u32_e32 64, v19
	s_cbranch_execz .LBB246_1088
; %bb.1087:
	v_add_nc_u32_e32 v19, v17, v18
	v_add_nc_u32_e32 v20, 0xfffffe00, v19
	;; [unrolled: 1-line block ×7, first 2 shown]
	ds_write_b32 v20, v0
	ds_write_b32 v21, v1
	ds_write_b32 v22, v2
	ds_write_b32 v23, v3
	ds_write_b32 v24, v4
	ds_write_b32 v25, v5
	v_add_nc_u32_e32 v20, 0xfffffe60, v19
	v_add_nc_u32_e32 v21, 0xfffffe70, v19
	;; [unrolled: 1-line block ×5, first 2 shown]
	ds_write_b32 v20, v6
	ds_write_b32 v21, v7
	;; [unrolled: 1-line block ×5, first 2 shown]
	v_add_nc_u32_e32 v20, 0xfffffeb0, v19
	v_add_nc_u32_e32 v21, 0xfffffec0, v19
	;; [unrolled: 1-line block ×5, first 2 shown]
	ds_write_b32 v20, v11
	ds_write_b32 v21, v12
	ds_write_b32 v22, v13
	ds_write_b32 v23, v14
	ds_write_b32 v19, v15
.LBB246_1088:
	s_or_b32 exec_lo, exec_lo, s0
	v_lshlrev_b32_e32 v16, 2, v16
	s_mov_b32 s1, exec_lo
	v_cmp_eq_u32_e32 vcc_lo, 0, v28
	s_waitcnt lgkmcnt(0)
	s_barrier
	v_add3_u32 v16, 0x120, v18, v16
	buffer_gl0_inv
	v_cmpx_gt_u32_e32 64, v114
	s_cbranch_execz .LBB246_1107
; %bb.1089:
	s_and_saveexec_b32 s0, vcc_lo
	s_cbranch_execnz .LBB246_1131
; %bb.1090:
	s_or_b32 exec_lo, exec_lo, s0
	s_and_saveexec_b32 s0, vcc_lo
	s_cbranch_execnz .LBB246_1132
.LBB246_1091:
	s_or_b32 exec_lo, exec_lo, s0
	s_and_saveexec_b32 s0, vcc_lo
	s_cbranch_execnz .LBB246_1133
.LBB246_1092:
	s_or_b32 exec_lo, exec_lo, s0
	s_and_saveexec_b32 s0, vcc_lo
	s_cbranch_execnz .LBB246_1134
.LBB246_1093:
	s_or_b32 exec_lo, exec_lo, s0
	s_and_saveexec_b32 s0, vcc_lo
	s_cbranch_execnz .LBB246_1135
.LBB246_1094:
	s_or_b32 exec_lo, exec_lo, s0
	s_and_saveexec_b32 s0, vcc_lo
	s_cbranch_execnz .LBB246_1136
.LBB246_1095:
	s_or_b32 exec_lo, exec_lo, s0
	s_and_saveexec_b32 s0, vcc_lo
	s_cbranch_execnz .LBB246_1137
.LBB246_1096:
	s_or_b32 exec_lo, exec_lo, s0
	s_and_saveexec_b32 s0, vcc_lo
	s_cbranch_execnz .LBB246_1138
.LBB246_1097:
	s_or_b32 exec_lo, exec_lo, s0
	s_and_saveexec_b32 s0, vcc_lo
	s_cbranch_execnz .LBB246_1139
.LBB246_1098:
	s_or_b32 exec_lo, exec_lo, s0
	s_and_saveexec_b32 s0, vcc_lo
	s_cbranch_execnz .LBB246_1140
.LBB246_1099:
	s_or_b32 exec_lo, exec_lo, s0
	s_and_saveexec_b32 s0, vcc_lo
	s_cbranch_execnz .LBB246_1141
.LBB246_1100:
	s_or_b32 exec_lo, exec_lo, s0
	s_and_saveexec_b32 s0, vcc_lo
	s_cbranch_execnz .LBB246_1142
.LBB246_1101:
	s_or_b32 exec_lo, exec_lo, s0
	s_and_saveexec_b32 s0, vcc_lo
	s_cbranch_execnz .LBB246_1143
.LBB246_1102:
	s_or_b32 exec_lo, exec_lo, s0
	s_and_saveexec_b32 s0, vcc_lo
	s_cbranch_execnz .LBB246_1144
.LBB246_1103:
	s_or_b32 exec_lo, exec_lo, s0
	s_and_saveexec_b32 s0, vcc_lo
	s_cbranch_execnz .LBB246_1145
.LBB246_1104:
	s_or_b32 exec_lo, exec_lo, s0
	s_and_saveexec_b32 s0, vcc_lo
	s_cbranch_execz .LBB246_1106
.LBB246_1105:
	ds_read_b32 v18, v16 offset:240
	s_waitcnt lgkmcnt(0)
	v_add_f32_e32 v15, v15, v18
.LBB246_1106:
	s_or_b32 exec_lo, exec_lo, s0
.LBB246_1107:
	s_or_b32 exec_lo, exec_lo, s1
	v_and_b32_e32 v18, 0x3e7, v114
	s_mov_b32 s1, exec_lo
	s_barrier
	buffer_gl0_inv
	v_cmpx_eq_u32_e32 32, v18
	s_cbranch_execz .LBB246_1109
; %bb.1108:
	ds_write2_b32 v17, v0, v1 offset1:4
	ds_write2_b32 v17, v2, v3 offset0:8 offset1:12
	ds_write2_b32 v17, v4, v5 offset0:16 offset1:20
	;; [unrolled: 1-line block ×7, first 2 shown]
.LBB246_1109:
	s_or_b32 exec_lo, exec_lo, s1
	s_mov_b32 s1, exec_lo
	s_waitcnt lgkmcnt(0)
	s_barrier
	buffer_gl0_inv
	v_cmpx_gt_u32_e32 32, v114
	s_cbranch_execz .LBB246_1128
; %bb.1110:
	s_and_saveexec_b32 s0, vcc_lo
	s_cbranch_execnz .LBB246_1146
; %bb.1111:
	s_or_b32 exec_lo, exec_lo, s0
	s_and_saveexec_b32 s0, vcc_lo
	s_cbranch_execnz .LBB246_1147
.LBB246_1112:
	s_or_b32 exec_lo, exec_lo, s0
	s_and_saveexec_b32 s0, vcc_lo
	s_cbranch_execnz .LBB246_1148
.LBB246_1113:
	s_or_b32 exec_lo, exec_lo, s0
	s_and_saveexec_b32 s0, vcc_lo
	s_cbranch_execnz .LBB246_1149
.LBB246_1114:
	s_or_b32 exec_lo, exec_lo, s0
	s_and_saveexec_b32 s0, vcc_lo
	s_cbranch_execnz .LBB246_1150
.LBB246_1115:
	s_or_b32 exec_lo, exec_lo, s0
	s_and_saveexec_b32 s0, vcc_lo
	s_cbranch_execnz .LBB246_1151
.LBB246_1116:
	s_or_b32 exec_lo, exec_lo, s0
	s_and_saveexec_b32 s0, vcc_lo
	s_cbranch_execnz .LBB246_1152
.LBB246_1117:
	s_or_b32 exec_lo, exec_lo, s0
	s_and_saveexec_b32 s0, vcc_lo
	s_cbranch_execnz .LBB246_1153
.LBB246_1118:
	s_or_b32 exec_lo, exec_lo, s0
	s_and_saveexec_b32 s0, vcc_lo
	s_cbranch_execnz .LBB246_1154
.LBB246_1119:
	s_or_b32 exec_lo, exec_lo, s0
	s_and_saveexec_b32 s0, vcc_lo
	s_cbranch_execnz .LBB246_1155
.LBB246_1120:
	s_or_b32 exec_lo, exec_lo, s0
	s_and_saveexec_b32 s0, vcc_lo
	s_cbranch_execnz .LBB246_1156
.LBB246_1121:
	s_or_b32 exec_lo, exec_lo, s0
	s_and_saveexec_b32 s0, vcc_lo
	s_cbranch_execnz .LBB246_1157
.LBB246_1122:
	s_or_b32 exec_lo, exec_lo, s0
	s_and_saveexec_b32 s0, vcc_lo
	s_cbranch_execnz .LBB246_1158
.LBB246_1123:
	s_or_b32 exec_lo, exec_lo, s0
	s_and_saveexec_b32 s0, vcc_lo
	s_cbranch_execnz .LBB246_1159
.LBB246_1124:
	s_or_b32 exec_lo, exec_lo, s0
	s_and_saveexec_b32 s0, vcc_lo
	s_cbranch_execnz .LBB246_1160
.LBB246_1125:
	s_or_b32 exec_lo, exec_lo, s0
	s_and_saveexec_b32 s0, vcc_lo
	s_cbranch_execz .LBB246_1127
.LBB246_1126:
	ds_read_b32 v16, v16 offset:240
	s_waitcnt lgkmcnt(0)
	v_add_f32_e32 v15, v15, v16
.LBB246_1127:
	s_or_b32 exec_lo, exec_lo, s0
.LBB246_1128:
	s_or_b32 exec_lo, exec_lo, s1
	s_barrier
	buffer_gl0_inv
	s_mov_b32 s0, exec_lo
	v_cmpx_eq_u32_e32 0, v18
	s_cbranch_execz .LBB246_1130
; %bb.1129:
	s_lshl_b32 s0, s2, 6
	s_mul_i32 s2, s7, s10
	s_ashr_i32 s1, s0, 31
	v_lshrrev_b32_e32 v16, 1, v114
	s_lshl_b64 s[0:1], s[0:1], 2
	s_add_u32 s4, s24, s0
	s_addc_u32 s5, s25, s1
	s_ashr_i32 s3, s2, 31
	s_lshl_b64 s[0:1], s[2:3], 2
	s_add_u32 s2, s4, s0
	s_addc_u32 s3, s5, s1
	s_lshl_b32 s0, s8, 6
	s_ashr_i32 s1, s0, 31
	s_lshl_b64 s[0:1], s[0:1], 2
	s_add_u32 s0, s2, s0
	s_addc_u32 s1, s3, s1
	global_store_dword v16, v0, s[0:1]
	global_store_dword v16, v1, s[0:1] offset:16
	global_store_dword v16, v2, s[0:1] offset:32
	global_store_dword v16, v3, s[0:1] offset:48
	global_store_dword v16, v4, s[0:1] offset:64
	global_store_dword v16, v5, s[0:1] offset:80
	global_store_dword v16, v6, s[0:1] offset:96
	global_store_dword v16, v7, s[0:1] offset:112
	global_store_dword v16, v8, s[0:1] offset:128
	global_store_dword v16, v9, s[0:1] offset:144
	global_store_dword v16, v10, s[0:1] offset:160
	global_store_dword v16, v11, s[0:1] offset:176
	global_store_dword v16, v12, s[0:1] offset:192
	global_store_dword v16, v13, s[0:1] offset:208
	global_store_dword v16, v14, s[0:1] offset:224
	global_store_dword v16, v15, s[0:1] offset:240
.LBB246_1130:
	s_endpgm
.LBB246_1131:
	ds_read_b32 v18, v16
	s_waitcnt lgkmcnt(0)
	v_add_f32_e32 v0, v0, v18
	s_or_b32 exec_lo, exec_lo, s0
	s_and_saveexec_b32 s0, vcc_lo
	s_cbranch_execz .LBB246_1091
.LBB246_1132:
	ds_read_b32 v18, v16 offset:16
	s_waitcnt lgkmcnt(0)
	v_add_f32_e32 v1, v1, v18
	s_or_b32 exec_lo, exec_lo, s0
	s_and_saveexec_b32 s0, vcc_lo
	s_cbranch_execz .LBB246_1092
.LBB246_1133:
	ds_read_b32 v18, v16 offset:32
	s_waitcnt lgkmcnt(0)
	v_add_f32_e32 v2, v2, v18
	s_or_b32 exec_lo, exec_lo, s0
	s_and_saveexec_b32 s0, vcc_lo
	s_cbranch_execz .LBB246_1093
.LBB246_1134:
	ds_read_b32 v18, v16 offset:48
	s_waitcnt lgkmcnt(0)
	v_add_f32_e32 v3, v3, v18
	s_or_b32 exec_lo, exec_lo, s0
	s_and_saveexec_b32 s0, vcc_lo
	s_cbranch_execz .LBB246_1094
.LBB246_1135:
	ds_read_b32 v18, v16 offset:64
	s_waitcnt lgkmcnt(0)
	v_add_f32_e32 v4, v4, v18
	s_or_b32 exec_lo, exec_lo, s0
	s_and_saveexec_b32 s0, vcc_lo
	s_cbranch_execz .LBB246_1095
.LBB246_1136:
	ds_read_b32 v18, v16 offset:80
	s_waitcnt lgkmcnt(0)
	v_add_f32_e32 v5, v5, v18
	s_or_b32 exec_lo, exec_lo, s0
	s_and_saveexec_b32 s0, vcc_lo
	s_cbranch_execz .LBB246_1096
.LBB246_1137:
	ds_read_b32 v18, v16 offset:96
	s_waitcnt lgkmcnt(0)
	v_add_f32_e32 v6, v6, v18
	s_or_b32 exec_lo, exec_lo, s0
	s_and_saveexec_b32 s0, vcc_lo
	s_cbranch_execz .LBB246_1097
.LBB246_1138:
	ds_read_b32 v18, v16 offset:112
	s_waitcnt lgkmcnt(0)
	v_add_f32_e32 v7, v7, v18
	s_or_b32 exec_lo, exec_lo, s0
	s_and_saveexec_b32 s0, vcc_lo
	s_cbranch_execz .LBB246_1098
.LBB246_1139:
	ds_read_b32 v18, v16 offset:128
	s_waitcnt lgkmcnt(0)
	v_add_f32_e32 v8, v8, v18
	s_or_b32 exec_lo, exec_lo, s0
	s_and_saveexec_b32 s0, vcc_lo
	s_cbranch_execz .LBB246_1099
.LBB246_1140:
	ds_read_b32 v18, v16 offset:144
	s_waitcnt lgkmcnt(0)
	v_add_f32_e32 v9, v9, v18
	s_or_b32 exec_lo, exec_lo, s0
	s_and_saveexec_b32 s0, vcc_lo
	s_cbranch_execz .LBB246_1100
.LBB246_1141:
	ds_read_b32 v18, v16 offset:160
	s_waitcnt lgkmcnt(0)
	v_add_f32_e32 v10, v10, v18
	s_or_b32 exec_lo, exec_lo, s0
	s_and_saveexec_b32 s0, vcc_lo
	s_cbranch_execz .LBB246_1101
.LBB246_1142:
	ds_read_b32 v18, v16 offset:176
	s_waitcnt lgkmcnt(0)
	v_add_f32_e32 v11, v11, v18
	s_or_b32 exec_lo, exec_lo, s0
	s_and_saveexec_b32 s0, vcc_lo
	s_cbranch_execz .LBB246_1102
.LBB246_1143:
	ds_read_b32 v18, v16 offset:192
	s_waitcnt lgkmcnt(0)
	v_add_f32_e32 v12, v12, v18
	s_or_b32 exec_lo, exec_lo, s0
	s_and_saveexec_b32 s0, vcc_lo
	s_cbranch_execz .LBB246_1103
.LBB246_1144:
	ds_read_b32 v18, v16 offset:208
	s_waitcnt lgkmcnt(0)
	v_add_f32_e32 v13, v13, v18
	s_or_b32 exec_lo, exec_lo, s0
	s_and_saveexec_b32 s0, vcc_lo
	s_cbranch_execz .LBB246_1104
.LBB246_1145:
	ds_read_b32 v18, v16 offset:224
	s_waitcnt lgkmcnt(0)
	v_add_f32_e32 v14, v14, v18
	s_or_b32 exec_lo, exec_lo, s0
	s_and_saveexec_b32 s0, vcc_lo
	s_cbranch_execnz .LBB246_1105
	s_branch .LBB246_1106
.LBB246_1146:
	ds_read_b32 v17, v16
	s_waitcnt lgkmcnt(0)
	v_add_f32_e32 v0, v0, v17
	s_or_b32 exec_lo, exec_lo, s0
	s_and_saveexec_b32 s0, vcc_lo
	s_cbranch_execz .LBB246_1112
.LBB246_1147:
	ds_read_b32 v17, v16 offset:16
	s_waitcnt lgkmcnt(0)
	v_add_f32_e32 v1, v1, v17
	s_or_b32 exec_lo, exec_lo, s0
	s_and_saveexec_b32 s0, vcc_lo
	s_cbranch_execz .LBB246_1113
.LBB246_1148:
	ds_read_b32 v17, v16 offset:32
	s_waitcnt lgkmcnt(0)
	v_add_f32_e32 v2, v2, v17
	s_or_b32 exec_lo, exec_lo, s0
	s_and_saveexec_b32 s0, vcc_lo
	s_cbranch_execz .LBB246_1114
.LBB246_1149:
	ds_read_b32 v17, v16 offset:48
	s_waitcnt lgkmcnt(0)
	v_add_f32_e32 v3, v3, v17
	s_or_b32 exec_lo, exec_lo, s0
	s_and_saveexec_b32 s0, vcc_lo
	s_cbranch_execz .LBB246_1115
.LBB246_1150:
	ds_read_b32 v17, v16 offset:64
	s_waitcnt lgkmcnt(0)
	v_add_f32_e32 v4, v4, v17
	s_or_b32 exec_lo, exec_lo, s0
	s_and_saveexec_b32 s0, vcc_lo
	s_cbranch_execz .LBB246_1116
.LBB246_1151:
	ds_read_b32 v17, v16 offset:80
	s_waitcnt lgkmcnt(0)
	v_add_f32_e32 v5, v5, v17
	s_or_b32 exec_lo, exec_lo, s0
	s_and_saveexec_b32 s0, vcc_lo
	s_cbranch_execz .LBB246_1117
.LBB246_1152:
	ds_read_b32 v17, v16 offset:96
	s_waitcnt lgkmcnt(0)
	v_add_f32_e32 v6, v6, v17
	s_or_b32 exec_lo, exec_lo, s0
	s_and_saveexec_b32 s0, vcc_lo
	s_cbranch_execz .LBB246_1118
.LBB246_1153:
	ds_read_b32 v17, v16 offset:112
	s_waitcnt lgkmcnt(0)
	v_add_f32_e32 v7, v7, v17
	s_or_b32 exec_lo, exec_lo, s0
	s_and_saveexec_b32 s0, vcc_lo
	s_cbranch_execz .LBB246_1119
.LBB246_1154:
	ds_read_b32 v17, v16 offset:128
	s_waitcnt lgkmcnt(0)
	v_add_f32_e32 v8, v8, v17
	s_or_b32 exec_lo, exec_lo, s0
	s_and_saveexec_b32 s0, vcc_lo
	s_cbranch_execz .LBB246_1120
.LBB246_1155:
	ds_read_b32 v17, v16 offset:144
	s_waitcnt lgkmcnt(0)
	v_add_f32_e32 v9, v9, v17
	s_or_b32 exec_lo, exec_lo, s0
	s_and_saveexec_b32 s0, vcc_lo
	s_cbranch_execz .LBB246_1121
.LBB246_1156:
	ds_read_b32 v17, v16 offset:160
	s_waitcnt lgkmcnt(0)
	v_add_f32_e32 v10, v10, v17
	s_or_b32 exec_lo, exec_lo, s0
	s_and_saveexec_b32 s0, vcc_lo
	s_cbranch_execz .LBB246_1122
.LBB246_1157:
	ds_read_b32 v17, v16 offset:176
	s_waitcnt lgkmcnt(0)
	v_add_f32_e32 v11, v11, v17
	s_or_b32 exec_lo, exec_lo, s0
	s_and_saveexec_b32 s0, vcc_lo
	s_cbranch_execz .LBB246_1123
.LBB246_1158:
	ds_read_b32 v17, v16 offset:192
	s_waitcnt lgkmcnt(0)
	v_add_f32_e32 v12, v12, v17
	s_or_b32 exec_lo, exec_lo, s0
	s_and_saveexec_b32 s0, vcc_lo
	s_cbranch_execz .LBB246_1124
.LBB246_1159:
	ds_read_b32 v17, v16 offset:208
	s_waitcnt lgkmcnt(0)
	v_add_f32_e32 v13, v13, v17
	s_or_b32 exec_lo, exec_lo, s0
	s_and_saveexec_b32 s0, vcc_lo
	s_cbranch_execz .LBB246_1125
.LBB246_1160:
	ds_read_b32 v17, v16 offset:224
	s_waitcnt lgkmcnt(0)
	v_add_f32_e32 v14, v14, v17
	s_or_b32 exec_lo, exec_lo, s0
	s_and_saveexec_b32 s0, vcc_lo
	s_cbranch_execnz .LBB246_1126
	s_branch .LBB246_1127
	.section	.rodata,"a",@progbits
	.p2align	6, 0x0
	.amdhsa_kernel _ZN4vllm25paged_attention_v2_kernelIfhLi64ELi32ELi128ELNS_18Fp8KVCacheDataTypeE1ELb0ELi512EEEvPfS2_PT_PKS3_PKT0_S9_ifPKiSB_iPKfiiiSD_SD_iiiii
		.amdhsa_group_segment_fixed_size 288
		.amdhsa_private_segment_fixed_size 352
		.amdhsa_kernarg_size 400
		.amdhsa_user_sgpr_count 6
		.amdhsa_user_sgpr_private_segment_buffer 1
		.amdhsa_user_sgpr_dispatch_ptr 0
		.amdhsa_user_sgpr_queue_ptr 0
		.amdhsa_user_sgpr_kernarg_segment_ptr 1
		.amdhsa_user_sgpr_dispatch_id 0
		.amdhsa_user_sgpr_flat_scratch_init 0
		.amdhsa_user_sgpr_private_segment_size 0
		.amdhsa_wavefront_size32 1
		.amdhsa_uses_dynamic_stack 0
		.amdhsa_system_sgpr_private_segment_wavefront_offset 1
		.amdhsa_system_sgpr_workgroup_id_x 1
		.amdhsa_system_sgpr_workgroup_id_y 1
		.amdhsa_system_sgpr_workgroup_id_z 1
		.amdhsa_system_sgpr_workgroup_info 0
		.amdhsa_system_vgpr_workitem_id 0
		.amdhsa_next_free_vgpr 128
		.amdhsa_next_free_sgpr 48
		.amdhsa_reserve_vcc 1
		.amdhsa_reserve_flat_scratch 0
		.amdhsa_float_round_mode_32 0
		.amdhsa_float_round_mode_16_64 0
		.amdhsa_float_denorm_mode_32 3
		.amdhsa_float_denorm_mode_16_64 3
		.amdhsa_dx10_clamp 1
		.amdhsa_ieee_mode 1
		.amdhsa_fp16_overflow 0
		.amdhsa_workgroup_processor_mode 1
		.amdhsa_memory_ordered 1
		.amdhsa_forward_progress 1
		.amdhsa_shared_vgpr_count 0
		.amdhsa_exception_fp_ieee_invalid_op 0
		.amdhsa_exception_fp_denorm_src 0
		.amdhsa_exception_fp_ieee_div_zero 0
		.amdhsa_exception_fp_ieee_overflow 0
		.amdhsa_exception_fp_ieee_underflow 0
		.amdhsa_exception_fp_ieee_inexact 0
		.amdhsa_exception_int_div_zero 0
	.end_amdhsa_kernel
	.section	.text._ZN4vllm25paged_attention_v2_kernelIfhLi64ELi32ELi128ELNS_18Fp8KVCacheDataTypeE1ELb0ELi512EEEvPfS2_PT_PKS3_PKT0_S9_ifPKiSB_iPKfiiiSD_SD_iiiii,"axG",@progbits,_ZN4vllm25paged_attention_v2_kernelIfhLi64ELi32ELi128ELNS_18Fp8KVCacheDataTypeE1ELb0ELi512EEEvPfS2_PT_PKS3_PKT0_S9_ifPKiSB_iPKfiiiSD_SD_iiiii,comdat
.Lfunc_end246:
	.size	_ZN4vllm25paged_attention_v2_kernelIfhLi64ELi32ELi128ELNS_18Fp8KVCacheDataTypeE1ELb0ELi512EEEvPfS2_PT_PKS3_PKT0_S9_ifPKiSB_iPKfiiiSD_SD_iiiii, .Lfunc_end246-_ZN4vllm25paged_attention_v2_kernelIfhLi64ELi32ELi128ELNS_18Fp8KVCacheDataTypeE1ELb0ELi512EEEvPfS2_PT_PKS3_PKT0_S9_ifPKiSB_iPKfiiiSD_SD_iiiii
                                        ; -- End function
	.set _ZN4vllm25paged_attention_v2_kernelIfhLi64ELi32ELi128ELNS_18Fp8KVCacheDataTypeE1ELb0ELi512EEEvPfS2_PT_PKS3_PKT0_S9_ifPKiSB_iPKfiiiSD_SD_iiiii.num_vgpr, 128
	.set _ZN4vllm25paged_attention_v2_kernelIfhLi64ELi32ELi128ELNS_18Fp8KVCacheDataTypeE1ELb0ELi512EEEvPfS2_PT_PKS3_PKT0_S9_ifPKiSB_iPKfiiiSD_SD_iiiii.num_agpr, 0
	.set _ZN4vllm25paged_attention_v2_kernelIfhLi64ELi32ELi128ELNS_18Fp8KVCacheDataTypeE1ELb0ELi512EEEvPfS2_PT_PKS3_PKT0_S9_ifPKiSB_iPKfiiiSD_SD_iiiii.numbered_sgpr, 48
	.set _ZN4vllm25paged_attention_v2_kernelIfhLi64ELi32ELi128ELNS_18Fp8KVCacheDataTypeE1ELb0ELi512EEEvPfS2_PT_PKS3_PKT0_S9_ifPKiSB_iPKfiiiSD_SD_iiiii.num_named_barrier, 0
	.set _ZN4vllm25paged_attention_v2_kernelIfhLi64ELi32ELi128ELNS_18Fp8KVCacheDataTypeE1ELb0ELi512EEEvPfS2_PT_PKS3_PKT0_S9_ifPKiSB_iPKfiiiSD_SD_iiiii.private_seg_size, 352
	.set _ZN4vllm25paged_attention_v2_kernelIfhLi64ELi32ELi128ELNS_18Fp8KVCacheDataTypeE1ELb0ELi512EEEvPfS2_PT_PKS3_PKT0_S9_ifPKiSB_iPKfiiiSD_SD_iiiii.uses_vcc, 1
	.set _ZN4vllm25paged_attention_v2_kernelIfhLi64ELi32ELi128ELNS_18Fp8KVCacheDataTypeE1ELb0ELi512EEEvPfS2_PT_PKS3_PKT0_S9_ifPKiSB_iPKfiiiSD_SD_iiiii.uses_flat_scratch, 0
	.set _ZN4vllm25paged_attention_v2_kernelIfhLi64ELi32ELi128ELNS_18Fp8KVCacheDataTypeE1ELb0ELi512EEEvPfS2_PT_PKS3_PKT0_S9_ifPKiSB_iPKfiiiSD_SD_iiiii.has_dyn_sized_stack, 0
	.set _ZN4vllm25paged_attention_v2_kernelIfhLi64ELi32ELi128ELNS_18Fp8KVCacheDataTypeE1ELb0ELi512EEEvPfS2_PT_PKS3_PKT0_S9_ifPKiSB_iPKfiiiSD_SD_iiiii.has_recursion, 0
	.set _ZN4vllm25paged_attention_v2_kernelIfhLi64ELi32ELi128ELNS_18Fp8KVCacheDataTypeE1ELb0ELi512EEEvPfS2_PT_PKS3_PKT0_S9_ifPKiSB_iPKfiiiSD_SD_iiiii.has_indirect_call, 0
	.section	.AMDGPU.csdata,"",@progbits
; Kernel info:
; codeLenInByte = 35924
; TotalNumSgprs: 50
; NumVgprs: 128
; ScratchSize: 352
; MemoryBound: 0
; FloatMode: 240
; IeeeMode: 1
; LDSByteSize: 288 bytes/workgroup (compile time only)
; SGPRBlocks: 0
; VGPRBlocks: 15
; NumSGPRsForWavesPerEU: 50
; NumVGPRsForWavesPerEU: 128
; Occupancy: 8
; WaveLimiterHint : 1
; COMPUTE_PGM_RSRC2:SCRATCH_EN: 1
; COMPUTE_PGM_RSRC2:USER_SGPR: 6
; COMPUTE_PGM_RSRC2:TRAP_HANDLER: 0
; COMPUTE_PGM_RSRC2:TGID_X_EN: 1
; COMPUTE_PGM_RSRC2:TGID_Y_EN: 1
; COMPUTE_PGM_RSRC2:TGID_Z_EN: 1
; COMPUTE_PGM_RSRC2:TIDIG_COMP_CNT: 0
	.text
	.p2align	2                               ; -- Begin function _ZN4vllm22paged_attention_kernelIfhLi80ELi32ELi128ELNS_18Fp8KVCacheDataTypeE1ELb0ELi512EEEvPfS2_PT_PKS3_PKT0_S9_ifPKiSB_iPKfiiiSD_SD_iiiii
	.type	_ZN4vllm22paged_attention_kernelIfhLi80ELi32ELi128ELNS_18Fp8KVCacheDataTypeE1ELb0ELi512EEEvPfS2_PT_PKS3_PKT0_S9_ifPKiSB_iPKfiiiSD_SD_iiiii,@function
_ZN4vllm22paged_attention_kernelIfhLi80ELi32ELi128ELNS_18Fp8KVCacheDataTypeE1ELb0ELi512EEEvPfS2_PT_PKS3_PKT0_S9_ifPKiSB_iPKfiiiSD_SD_iiiii: ; @_ZN4vllm22paged_attention_kernelIfhLi80ELi32ELi128ELNS_18Fp8KVCacheDataTypeE1ELb0ELi512EEEvPfS2_PT_PKS3_PKT0_S9_ifPKiSB_iPKfiiiSD_SD_iiiii
; %bb.0:
	s_waitcnt vmcnt(0) expcnt(0) lgkmcnt(0)
	buffer_store_dword v40, off, s[0:3], s32 offset:188 ; 4-byte Folded Spill
	buffer_store_dword v41, off, s[0:3], s32 offset:184 ; 4-byte Folded Spill
	;; [unrolled: 1-line block ×47, first 2 shown]
	buffer_store_dword v127, off, s[0:3], s32 ; 4-byte Folded Spill
	s_mov_b32 s18, s13
	s_ashr_i32 s19, s13, 31
	buffer_store_dword v24, off, s[0:3], s32 offset:408 ; 4-byte Folded Spill
	buffer_store_dword v25, off, s[0:3], s32 offset:412 ; 4-byte Folded Spill
	;; [unrolled: 1-line block ×6, first 2 shown]
	s_lshl_b64 s[4:5], s[18:19], 2
	v_mov_b32_e32 v24, v0
	v_add_co_u32 v0, vcc_lo, v16, s4
	v_mov_b32_e32 v22, v1
	v_add_co_ci_u32_e64 v1, null, s5, v17, vcc_lo
	v_mov_b32_e32 v25, v3
	v_mov_b32_e32 v28, v2
	s_lshl_b32 s20, s14, 9
	flat_load_dword v34, v[0:1]
	s_mov_b32 s19, exec_lo
	s_waitcnt vmcnt(0) lgkmcnt(0)
	v_cmpx_lt_i32_e64 s20, v34
	s_cbranch_execz .LBB247_1404
; %bb.1:
	v_sub_nc_u32_e32 v0, 0, v12
	s_clause 0x1
	s_load_dword s4, s[8:9], 0x10
	s_load_dword s5, s[8:9], 0x0
	s_mov_b32 s16, s15
	v_max_i32_e32 v0, v12, v0
	v_cvt_f32_u32_e32 v1, v0
	v_sub_nc_u32_e32 v2, 0, v0
	v_rcp_iflag_f32_e32 v1, v1
	s_waitcnt lgkmcnt(0)
	s_lshr_b32 s4, s4, 16
	s_cmp_lg_u32 s4, 0
	s_cselect_b32 s4, -1, 0
	v_mul_f32_e32 v1, 0x4f7ffffe, v1
	s_cmp_lg_u32 s4, 0
	s_addc_u32 s15, s5, 0
	s_mov_b32 s5, exec_lo
	v_cvt_u32_f32_e32 v1, v1
	s_abs_i32 s4, s15
	v_mul_lo_u32 v2, v2, v1
	v_mul_hi_u32 v2, v1, v2
	v_add_nc_u32_e32 v1, v1, v2
	v_mul_hi_u32 v1, s4, v1
	v_mul_lo_u32 v2, v1, v0
	v_add_nc_u32_e32 v3, 1, v1
	v_sub_nc_u32_e32 v2, s4, v2
	s_abs_i32 s4, s12
	v_sub_nc_u32_e32 v4, v2, v0
	v_cmp_ge_u32_e32 vcc_lo, v2, v0
	v_cndmask_b32_e32 v1, v1, v3, vcc_lo
	v_cndmask_b32_e32 v2, v2, v4, vcc_lo
	v_xor_b32_e32 v3, s15, v12
	v_add_nc_u32_e32 v4, 1, v1
	v_cmp_ge_u32_e32 vcc_lo, v2, v0
	v_ashrrev_i32_e32 v3, 31, v3
	v_cndmask_b32_e32 v0, v1, v4, vcc_lo
	v_xor_b32_e32 v0, v0, v3
	v_sub_nc_u32_e32 v3, v0, v3
	v_sub_nc_u32_e32 v0, 0, v3
	v_max_i32_e32 v2, v3, v0
	v_cvt_f32_u32_e32 v0, v2
	v_sub_nc_u32_e32 v1, 0, v2
	v_rcp_iflag_f32_e32 v0, v0
	v_mul_f32_e32 v0, 0x4f7ffffe, v0
	v_cvt_u32_f32_e32 v0, v0
	v_mul_lo_u32 v1, v1, v0
	v_mul_hi_u32 v1, v0, v1
	v_add_nc_u32_e32 v0, v0, v1
	v_mad_u64_u32 v[0:1], null, s4, v0, 0
	v_mov_b32_e32 v0, 0
	buffer_store_dword v0, off, s[0:3], s32 offset:420 ; 4-byte Folded Spill
	v_cmpx_ne_u64_e32 0, v[19:20]
	s_cbranch_execz .LBB247_3
; %bb.2:
	s_ashr_i32 s13, s12, 31
	s_lshl_b64 s[6:7], s[12:13], 2
	v_add_co_u32 v4, vcc_lo, v19, s6
	v_add_co_ci_u32_e64 v5, null, s7, v20, vcc_lo
	flat_load_dword v0, v[4:5]
	s_waitcnt vmcnt(0) lgkmcnt(0)
	buffer_store_dword v0, off, s[0:3], s32 offset:420 ; 4-byte Folded Spill
.LBB247_3:
	s_or_b32 exec_lo, exec_lo, s5
	v_and_b32_e32 v12, 0x3ff, v31
	v_ashrrev_i32_e32 v0, 31, v3
	s_ashr_i32 s5, s12, 31
	s_mul_i32 s10, s12, 0x50
	s_mov_b32 s6, exec_lo
	v_cmpx_gt_u32_e32 20, v12
	s_cbranch_execz .LBB247_5
; %bb.4:
	v_mul_lo_u32 v3, v21, s18
	s_ashr_i32 s11, s10, 31
	v_lshlrev_b32_e32 v13, 4, v12
	s_lshl_b64 s[22:23], s[10:11], 2
	v_ashrrev_i32_e32 v4, 31, v3
	v_lshlrev_b64 v[3:4], 2, v[3:4]
	v_add_co_u32 v3, vcc_lo, v6, v3
	v_add_co_ci_u32_e64 v4, null, v7, v4, vcc_lo
	v_add_co_u32 v3, vcc_lo, v3, s22
	v_add_co_ci_u32_e64 v4, null, s23, v4, vcc_lo
	;; [unrolled: 2-line block ×3, first 2 shown]
	flat_load_dwordx4 v[3:6], v[3:4]
	s_waitcnt vmcnt(0) lgkmcnt(0)
	ds_write_b128 v13, v[3:6]
.LBB247_5:
	s_or_b32 exec_lo, exec_lo, s6
	v_mul_lo_u32 v3, v1, v2
	v_add_nc_u32_e32 v4, 1, v1
	v_add_nc_u32_e32 v5, 31, v34
	v_xor_b32_e32 v7, s5, v0
	s_lshl_b32 s6, s14, 4
	v_mul_lo_u32 v0, v18, s18
	s_clause 0x1
	s_load_dword s7, s[8:9], 0x14
	s_load_dword s8, s[8:9], 0x8
	v_mov_b32_e32 v35, 0xff7fffff
	v_sub_nc_u32_e32 v3, s4, v3
	s_add_i32 s4, s6, 16
	v_sub_nc_u32_e32 v6, v3, v2
	v_cmp_ge_u32_e32 vcc_lo, v3, v2
	v_cndmask_b32_e32 v1, v1, v4, vcc_lo
	v_cndmask_b32_e32 v3, v3, v6, vcc_lo
	v_ashrrev_i32_e32 v4, 31, v5
	v_add_nc_u32_e32 v6, 1, v1
	v_cmp_ge_u32_e32 vcc_lo, v3, v2
	v_lshrrev_b32_e32 v4, 27, v4
	v_cndmask_b32_e32 v1, v1, v6, vcc_lo
	v_add_nc_u32_e32 v2, v5, v4
	v_lshrrev_b32_e32 v4, 5, v12
	v_and_b32_e32 v6, 31, v12
	v_xor_b32_e32 v1, v1, v7
	v_ashrrev_i32_e32 v13, 5, v2
	v_add_nc_u32_e32 v2, s6, v4
	buffer_store_dword v4, off, s[0:3], s32 offset:756 ; 4-byte Folded Spill
	v_lshlrev_b32_e32 v21, 2, v6
	v_sub_nc_u32_e32 v3, v1, v7
	v_min_i32_e32 v4, s4, v13
	v_ashrrev_i32_e32 v1, 31, v0
	v_mul_lo_u32 v18, v3, v23
	v_ashrrev_i32_e32 v3, 31, v2
	v_cmp_ge_i32_e64 s4, v2, v4
	buffer_store_dword v2, off, s[0:3], s32 offset:192 ; 4-byte Folded Spill
	buffer_store_dword v3, off, s[0:3], s32 offset:196 ; 4-byte Folded Spill
	;; [unrolled: 1-line block ×3, first 2 shown]
	v_lshlrev_b64 v[16:17], 2, v[0:1]
	v_ashrrev_i32_e32 v20, 31, v18
	s_waitcnt lgkmcnt(0)
	s_waitcnt_vscnt null, 0x0
	s_barrier
	buffer_gl0_inv
	v_cmp_lt_i32_e32 vcc_lo, v2, v4
	s_mov_b32 s9, exec_lo
	s_and_b32 s5, s9, vcc_lo
	buffer_store_dword v6, off, s[0:3], s32 offset:768 ; 4-byte Folded Spill
	buffer_store_dword v12, off, s[0:3], s32 offset:752 ; 4-byte Folded Spill
	s_mov_b32 exec_lo, s5
	s_cbranch_execz .LBB247_649
; %bb.6:
	v_add_co_u32 v0, vcc_lo, v8, v18
	v_lshlrev_b32_e32 v2, 4, v6
	v_add_co_ci_u32_e64 v1, null, v9, v20, vcc_lo
	v_mov_b32_e32 v79, 0
	buffer_store_dword v13, off, s[0:3], s32 offset:820 ; 4-byte Folded Spill
	buffer_store_dword v28, off, s[0:3], s32 offset:808 ; 4-byte Folded Spill
	buffer_store_dword v25, off, s[0:3], s32 offset:804 ; 4-byte Folded Spill
	buffer_store_dword v24, off, s[0:3], s32 offset:800 ; 4-byte Folded Spill
	buffer_store_dword v22, off, s[0:3], s32 offset:796 ; 4-byte Folded Spill
	buffer_store_dword v10, off, s[0:3], s32 offset:792 ; 4-byte Folded Spill
	buffer_store_dword v11, off, s[0:3], s32 offset:788 ; 4-byte Folded Spill
	buffer_store_dword v26, off, s[0:3], s32 offset:780 ; 4-byte Folded Spill
	buffer_store_dword v27, off, s[0:3], s32 offset:784 ; 4-byte Folded Spill
	buffer_store_dword v18, off, s[0:3], s32 offset:824 ; 4-byte Folded Spill
	v_add_co_u32 v0, vcc_lo, v0, v2
	v_add_co_ci_u32_e64 v1, null, 0, v1, vcc_lo
	buffer_store_dword v20, off, s[0:3], s32 offset:828 ; 4-byte Folded Spill
	buffer_store_dword v0, off, s[0:3], s32 offset:424 ; 4-byte Folded Spill
	;; [unrolled: 1-line block ×3, first 2 shown]
	ds_read_b128 v[0:3], v79
	s_ashr_i32 s17, s16, 31
	v_mov_b32_e32 v35, 0xff7fffff
	s_lshl_b64 s[22:23], s[16:17], 2
	s_getpc_b64 s[24:25]
	s_add_u32 s24, s24, llvm.amdgcn.dynlds.offset.table@rel32@lo+4
	s_addc_u32 s25, s25, llvm.amdgcn.dynlds.offset.table@rel32@hi+12
	s_add_u32 s22, s24, s22
	s_addc_u32 s23, s25, s23
	v_mov_b32_e32 v30, 0x80
	v_mov_b32_e32 v31, 0xff
	s_waitcnt lgkmcnt(0)
	buffer_store_dword v0, off, s[0:3], s32 offset:432 ; 4-byte Folded Spill
	buffer_store_dword v1, off, s[0:3], s32 offset:436 ; 4-byte Folded Spill
	;; [unrolled: 1-line block ×4, first 2 shown]
	ds_read_b128 v[0:3], v79 offset:16
	s_waitcnt lgkmcnt(0)
	buffer_store_dword v0, off, s[0:3], s32 offset:448 ; 4-byte Folded Spill
	buffer_store_dword v1, off, s[0:3], s32 offset:452 ; 4-byte Folded Spill
	;; [unrolled: 1-line block ×4, first 2 shown]
	s_load_dword s11, s[22:23], 0x0
	s_clause 0x1
	buffer_load_dword v4, off, s[0:3], s32 offset:192
	buffer_load_dword v5, off, s[0:3], s32 offset:196
	ds_read_b128 v[7:10], v79 offset:32
	s_waitcnt lgkmcnt(0)
	buffer_store_dword v7, off, s[0:3], s32 offset:464 ; 4-byte Folded Spill
	buffer_store_dword v8, off, s[0:3], s32 offset:468 ; 4-byte Folded Spill
	buffer_store_dword v9, off, s[0:3], s32 offset:472 ; 4-byte Folded Spill
	buffer_store_dword v10, off, s[0:3], s32 offset:476 ; 4-byte Folded Spill
	ds_read_b128 v[7:10], v79 offset:48
	s_waitcnt lgkmcnt(0)
	buffer_store_dword v7, off, s[0:3], s32 offset:480 ; 4-byte Folded Spill
	buffer_store_dword v8, off, s[0:3], s32 offset:484 ; 4-byte Folded Spill
	buffer_store_dword v9, off, s[0:3], s32 offset:488 ; 4-byte Folded Spill
	buffer_store_dword v10, off, s[0:3], s32 offset:492 ; 4-byte Folded Spill
	;; [unrolled: 6-line block ×4, first 2 shown]
	buffer_load_dword v2, off, s[0:3], s32 offset:420 ; 4-byte Folded Reload
	s_waitcnt vmcnt(2)
	v_mov_b32_e32 v36, v4
	s_waitcnt vmcnt(1)
	v_lshlrev_b64 v[0:1], 2, v[4:5]
	v_add_co_u32 v0, s5, v16, v0
	buffer_store_dword v16, off, s[0:3], s32 offset:812 ; 4-byte Folded Spill
	buffer_store_dword v17, off, s[0:3], s32 offset:816 ; 4-byte Folded Spill
	buffer_load_dword v3, off, s[0:3], s32 offset:756 ; 4-byte Folded Reload
	ds_read_b128 v[7:10], v79 offset:96
	buffer_store_dword v21, off, s[0:3], s32 offset:832 ; 4-byte Folded Spill
	s_waitcnt lgkmcnt(0)
	buffer_store_dword v7, off, s[0:3], s32 offset:528 ; 4-byte Folded Spill
	buffer_store_dword v8, off, s[0:3], s32 offset:532 ; 4-byte Folded Spill
	buffer_store_dword v9, off, s[0:3], s32 offset:536 ; 4-byte Folded Spill
	buffer_store_dword v10, off, s[0:3], s32 offset:540 ; 4-byte Folded Spill
	ds_read_b128 v[7:10], v79 offset:112
	s_waitcnt lgkmcnt(0)
	buffer_store_dword v7, off, s[0:3], s32 offset:544 ; 4-byte Folded Spill
	buffer_store_dword v8, off, s[0:3], s32 offset:548 ; 4-byte Folded Spill
	buffer_store_dword v9, off, s[0:3], s32 offset:552 ; 4-byte Folded Spill
	buffer_store_dword v10, off, s[0:3], s32 offset:556 ; 4-byte Folded Spill
	ds_read_b128 v[7:10], v79 offset:128
	;; [unrolled: 6-line block ×4, first 2 shown]
	s_waitcnt vmcnt(1)
	v_cmp_neq_f32_e32 vcc_lo, 0, v2
	s_waitcnt lgkmcnt(0)
	buffer_store_dword v7, off, s[0:3], s32 offset:592 ; 4-byte Folded Spill
	buffer_store_dword v8, off, s[0:3], s32 offset:596 ; 4-byte Folded Spill
	buffer_store_dword v9, off, s[0:3], s32 offset:600 ; 4-byte Folded Spill
	buffer_store_dword v10, off, s[0:3], s32 offset:604 ; 4-byte Folded Spill
	ds_read_b128 v[7:10], v79 offset:176
	s_waitcnt lgkmcnt(0)
	buffer_store_dword v7, off, s[0:3], s32 offset:608 ; 4-byte Folded Spill
	buffer_store_dword v8, off, s[0:3], s32 offset:612 ; 4-byte Folded Spill
	buffer_store_dword v9, off, s[0:3], s32 offset:616 ; 4-byte Folded Spill
	buffer_store_dword v10, off, s[0:3], s32 offset:620 ; 4-byte Folded Spill
	ds_read_b128 v[7:10], v79 offset:192
	;; [unrolled: 6-line block ×9, first 2 shown]
	s_waitcnt lgkmcnt(0)
	buffer_store_dword v7, off, s[0:3], s32 offset:736 ; 4-byte Folded Spill
	buffer_store_dword v8, off, s[0:3], s32 offset:740 ; 4-byte Folded Spill
	;; [unrolled: 1-line block ×5, first 2 shown]
	v_bfrev_b32_e32 v9, 1
	v_mov_b32_e32 v7, 0x7f800001
	buffer_store_dword v15, off, s[0:3], s32 offset:772 ; 4-byte Folded Spill
	v_add_co_ci_u32_e64 v1, null, v17, v1, s5
	s_waitcnt vmcnt(0)
	v_lshlrev_b32_e32 v2, 5, v3
	v_lshl_or_b32 v3, v3, 7, v21
	v_add_co_u32 v90, s5, v14, v0
	v_add_co_ci_u32_e64 v91, null, v15, v1, s5
	v_add3_u32 v10, s20, v2, v6
	v_add_nc_u32_e32 v13, s11, v3
	s_mov_b32 s11, 0
	s_branch .LBB247_11
.LBB247_7:                              ;   in Loop: Header=BB247_11 Depth=1
	s_or_b32 exec_lo, exec_lo, s22
	v_mov_b32_e32 v8, 24
	v_lshl_add_u32 v6, v6, 23, 0x3c000000
	v_mov_b32_e32 v88, v79
	v_lshlrev_b32_sdwa v8, v8, v32 dst_sel:DWORD dst_unused:UNUSED_PAD src0_sel:DWORD src1_sel:BYTE_3
	v_lshlrev_b32_e32 v32, 20, v78
	v_and_b32_e32 v8, 0x80000000, v8
	v_or3_b32 v89, v32, v8, v6
.LBB247_8:                              ;   in Loop: Header=BB247_11 Depth=1
	s_or_b32 exec_lo, exec_lo, s21
.LBB247_9:                              ;   in Loop: Header=BB247_11 Depth=1
	s_or_b32 exec_lo, exec_lo, s17
.LBB247_10:                             ;   in Loop: Header=BB247_11 Depth=1
	s_or_b32 exec_lo, exec_lo, s13
	v_or_b32_e32 v21, v25, v21
	v_or_b32_e32 v20, v24, v20
	s_clause 0x1
	buffer_load_dword v24, off, s[0:3], s32 offset:392
	buffer_load_dword v25, off, s[0:3], s32 offset:396
	v_or_b32_e32 v32, v104, v110
	v_or_b32_e32 v6, v15, v23
	;; [unrolled: 1-line block ×5, first 2 shown]
	v_mul_f32_e32 v73, v37, v32
	v_or_b32_e32 v32, v59, v57
	v_or_b32_e32 v8, v14, v22
	;; [unrolled: 1-line block ×3, first 2 shown]
	v_mul_f32_e32 v59, v37, v33
	v_or_b32_e32 v33, v60, v62
	v_mul_f32_e32 v58, v37, v32
	v_or_b32_e32 v32, v61, v63
	;; [unrolled: 2-line block ×5, first 2 shown]
	v_or_b32_e32 v22, v94, v2
	v_mul_f32_e32 v2, v37, v3
	v_mul_f32_e32 v42, v37, v33
	v_or_b32_e32 v33, v44, v46
	v_mul_f32_e32 v40, v37, v32
	v_or_b32_e32 v32, v45, v47
	v_or_b32_e32 v3, v5, v27
	v_or_b32_e32 v5, v77, v19
	v_mul_f32_e32 v43, v37, v33
	v_or_b32_e32 v33, v114, v112
	v_mul_f32_e32 v41, v37, v32
	v_or_b32_e32 v32, v115, v113
	v_or_b32_e32 v18, v76, v18
	v_or_b32_e32 v29, v74, v72
	;; [unrolled: 6-line block ×3, first 2 shown]
	v_mul_f32_e32 v115, v37, v33
	v_or_b32_e32 v33, v98, v96
	v_mul_f32_e32 v113, v37, v32
	v_or_b32_e32 v32, v99, v97
	;; [unrolled: 2-line block ×5, first 2 shown]
	v_mul_f32_e32 v28, v37, v28
	v_mul_f32_e32 v29, v37, v29
	v_mul_f32_e32 v99, v37, v33
	v_or_b32_e32 v33, v82, v80
	v_mul_f32_e32 v97, v37, v32
	v_or_b32_e32 v32, v83, v81
	v_or_b32_e32 v23, v106, v120
	;; [unrolled: 1-line block ×3, first 2 shown]
	v_mul_f32_e32 v82, v37, v33
	v_or_b32_e32 v33, v84, v86
	v_mul_f32_e32 v80, v37, v32
	v_or_b32_e32 v32, v85, v87
	v_or_b32_e32 v4, v4, v26
	v_mul_f32_e32 v26, v37, v23
	v_mul_f32_e32 v83, v37, v33
	v_or_b32_e32 v33, v66, v64
	v_mul_f32_e32 v81, v37, v32
	v_or_b32_e32 v32, v67, v65
	;; [unrolled: 2-line block ×5, first 2 shown]
	v_mul_f32_e32 v68, v37, v21
	v_mul_f32_e32 v69, v37, v20
	v_or_b32_e32 v20, v53, v55
	v_or_b32_e32 v21, v52, v54
	v_mul_f32_e32 v65, v37, v32
	v_mul_f32_e32 v67, v37, v33
	v_or_b32_e32 v19, v122, v0
	v_mul_f32_e32 v52, v37, v20
	v_mul_f32_e32 v53, v37, v21
	;; [unrolled: 1-line block ×3, first 2 shown]
	v_or_b32_e32 v23, v127, v109
	v_mul_f32_e32 v1, v37, v19
	v_or_b32_e32 v19, v107, v121
	v_mul_f32_e32 v5, v37, v5
	v_mul_f32_e32 v18, v37, v18
	;; [unrolled: 1-line block ×10, first 2 shown]
	v_cmp_lt_i32_e64 s5, v10, v34
	v_add_nc_u32_e32 v36, 4, v36
	s_waitcnt vmcnt(1)
	v_or_b32_e32 v21, v38, v24
	s_waitcnt vmcnt(0)
	v_or_b32_e32 v20, v39, v25
	s_clause 0x3
	buffer_load_dword v24, off, s[0:3], s32 offset:360
	buffer_load_dword v25, off, s[0:3], s32 offset:364
	;; [unrolled: 1-line block ×4, first 2 shown]
	v_mul_f32_e32 v54, v37, v21
	v_mul_f32_e32 v38, v37, v20
	v_or_b32_e32 v20, v49, v51
	v_or_b32_e32 v21, v48, v50
	v_mul_f32_e32 v39, v37, v20
	v_mul_f32_e32 v48, v37, v21
	s_waitcnt vmcnt(1)
	v_or_b32_e32 v21, v32, v24
	s_waitcnt vmcnt(0)
	v_or_b32_e32 v20, v33, v25
	s_clause 0x3
	buffer_load_dword v24, off, s[0:3], s32 offset:376
	buffer_load_dword v25, off, s[0:3], s32 offset:380
	buffer_load_dword v32, off, s[0:3], s32 offset:384
	buffer_load_dword v33, off, s[0:3], s32 offset:388
	v_mul_f32_e32 v50, v37, v21
	v_mul_f32_e32 v49, v37, v20
	s_waitcnt vmcnt(1)
	v_or_b32_e32 v21, v24, v32
	s_waitcnt vmcnt(0)
	v_or_b32_e32 v20, v25, v33
	s_clause 0x3
	buffer_load_dword v24, off, s[0:3], s32 offset:328
	buffer_load_dword v25, off, s[0:3], s32 offset:332
	buffer_load_dword v70, off, s[0:3], s32 offset:336
	buffer_load_dword v71, off, s[0:3], s32 offset:340
	;; [unrolled: 11-line block ×9, first 2 shown]
	v_mul_f32_e32 v24, v37, v11
	v_or_b32_e32 v11, v89, v17
	v_mul_f32_e32 v32, v37, v21
	v_mul_f32_e32 v25, v37, v20
	;; [unrolled: 1-line block ×3, first 2 shown]
	s_waitcnt vmcnt(1)
	v_or_b32_e32 v21, v117, v44
	s_waitcnt vmcnt(0)
	v_or_b32_e32 v20, v118, v45
	s_clause 0x3
	buffer_load_dword v44, off, s[0:3], s32 offset:200
	buffer_load_dword v45, off, s[0:3], s32 offset:204
	;; [unrolled: 1-line block ×4, first 2 shown]
	v_mul_f32_e32 v118, v37, v21
	v_mul_f32_e32 v117, v37, v20
	s_waitcnt vmcnt(1)
	v_or_b32_e32 v21, v46, v44
	s_waitcnt vmcnt(0)
	v_or_b32_e32 v20, v47, v45
	s_clause 0x3
	buffer_load_dword v45, off, s[0:3], s32 offset:216
	buffer_load_dword v46, off, s[0:3], s32 offset:220
	buffer_load_dword v60, off, s[0:3], s32 offset:224
	buffer_load_dword v61, off, s[0:3], s32 offset:228
	v_mul_f32_e32 v44, v37, v21
	v_mul_f32_e32 v119, v37, v20
	s_waitcnt vmcnt(1)
	v_or_b32_e32 v21, v45, v60
	s_waitcnt vmcnt(0)
	v_or_b32_e32 v20, v46, v61
	v_mul_f32_e32 v46, v37, v21
	s_clause 0x8
	buffer_load_dword v21, off, s[0:3], s32 offset:420
	buffer_load_dword v74, off, s[0:3], s32 offset:448
	;; [unrolled: 1-line block ×9, first 2 shown]
	v_mul_f32_e32 v45, v37, v20
	v_sub_nc_u32_e32 v20, 1, v34
	v_add_nc_u32_e32 v20, v20, v10
	v_add_nc_u32_e32 v10, 0x80, v10
	v_cvt_f32_i32_e32 v20, v20
	s_waitcnt vmcnt(6)
	v_mul_f32_e32 v17, v75, v25
	v_mul_f32_e32 v20, v21, v20
	;; [unrolled: 1-line block ×3, first 2 shown]
	v_or_b32_e32 v12, v88, v16
	v_mul_f32_e32 v16, v74, v32
	s_waitcnt vmcnt(5)
	v_mul_f32_e32 v25, v76, v118
	s_waitcnt vmcnt(4)
	;; [unrolled: 2-line block ×3, first 2 shown]
	v_fmac_f32_e32 v17, v61, v119
	v_mul_f32_e32 v12, v37, v12
	v_fmac_f32_e32 v16, v60, v44
	s_waitcnt vmcnt(1)
	v_fmac_f32_e32 v25, v62, v46
	s_waitcnt vmcnt(0)
	v_fmac_f32_e32 v32, v63, v45
	s_clause 0x3
	buffer_load_dword v44, off, s[0:3], s32 offset:464
	buffer_load_dword v45, off, s[0:3], s32 offset:468
	;; [unrolled: 1-line block ×4, first 2 shown]
	v_cndmask_b32_e32 v20, 0, v20, vcc_lo
	s_waitcnt vmcnt(3)
	v_fmac_f32_e32 v16, v44, v102
	s_waitcnt vmcnt(2)
	v_fmac_f32_e32 v17, v45, v101
	s_waitcnt vmcnt(1)
	v_fmac_f32_e32 v25, v46, v116
	s_clause 0x3
	buffer_load_dword v116, off, s[0:3], s32 offset:480
	buffer_load_dword v117, off, s[0:3], s32 offset:484
	buffer_load_dword v118, off, s[0:3], s32 offset:488
	buffer_load_dword v119, off, s[0:3], s32 offset:492
	s_waitcnt vmcnt(4)
	v_fmac_f32_e32 v32, v47, v103
	s_waitcnt vmcnt(3)
	v_fmac_f32_e32 v16, v116, v86
	s_waitcnt vmcnt(2)
	v_fmac_f32_e32 v17, v117, v85
	s_waitcnt vmcnt(1)
	v_fmac_f32_e32 v25, v118, v100
	s_clause 0x3
	buffer_load_dword v100, off, s[0:3], s32 offset:496
	buffer_load_dword v101, off, s[0:3], s32 offset:500
	buffer_load_dword v102, off, s[0:3], s32 offset:504
	buffer_load_dword v103, off, s[0:3], s32 offset:508
	s_waitcnt vmcnt(4)
	v_fmac_f32_e32 v32, v119, v87
	s_waitcnt vmcnt(3)
	v_fmac_f32_e32 v16, v100, v71
	s_waitcnt vmcnt(2)
	v_fmac_f32_e32 v17, v101, v55
	s_waitcnt vmcnt(1)
	v_fmac_f32_e32 v25, v102, v84
	s_clause 0x3
	buffer_load_dword v84, off, s[0:3], s32 offset:512
	buffer_load_dword v85, off, s[0:3], s32 offset:516
	buffer_load_dword v86, off, s[0:3], s32 offset:520
	buffer_load_dword v87, off, s[0:3], s32 offset:524
	s_waitcnt vmcnt(4)
	v_fmac_f32_e32 v32, v103, v70
	s_waitcnt vmcnt(3)
	v_fmac_f32_e32 v16, v84, v50
	s_waitcnt vmcnt(2)
	v_fmac_f32_e32 v17, v85, v49
	;; [unrolled: 2-line block ×4, first 2 shown]
	s_clause 0x3
	buffer_load_dword v84, off, s[0:3], s32 offset:528
	buffer_load_dword v85, off, s[0:3], s32 offset:532
	;; [unrolled: 1-line block ×4, first 2 shown]
	s_waitcnt vmcnt(3)
	v_fmac_f32_e32 v16, v84, v54
	s_waitcnt vmcnt(2)
	v_fmac_f32_e32 v17, v85, v38
	;; [unrolled: 2-line block ×3, first 2 shown]
	s_clause 0x3
	buffer_load_dword v48, off, s[0:3], s32 offset:544
	buffer_load_dword v49, off, s[0:3], s32 offset:548
	;; [unrolled: 1-line block ×4, first 2 shown]
	s_waitcnt vmcnt(4)
	v_fmac_f32_e32 v32, v87, v39
	s_waitcnt vmcnt(3)
	v_fmac_f32_e32 v16, v48, v69
	;; [unrolled: 2-line block ×5, first 2 shown]
	s_clause 0x3
	buffer_load_dword v48, off, s[0:3], s32 offset:560
	buffer_load_dword v49, off, s[0:3], s32 offset:564
	buffer_load_dword v50, off, s[0:3], s32 offset:568
	buffer_load_dword v51, off, s[0:3], s32 offset:572
	s_waitcnt vmcnt(3)
	v_fmac_f32_e32 v16, v48, v66
	s_waitcnt vmcnt(2)
	v_fmac_f32_e32 v17, v49, v64
	s_waitcnt vmcnt(1)
	v_fmac_f32_e32 v25, v50, v67
	s_waitcnt vmcnt(0)
	v_fmac_f32_e32 v32, v51, v65
	s_clause 0x3
	buffer_load_dword v48, off, s[0:3], s32 offset:576
	buffer_load_dword v49, off, s[0:3], s32 offset:580
	buffer_load_dword v50, off, s[0:3], s32 offset:584
	buffer_load_dword v51, off, s[0:3], s32 offset:588
	s_waitcnt vmcnt(3)
	v_fmac_f32_e32 v16, v48, v82
	s_waitcnt vmcnt(2)
	v_fmac_f32_e32 v17, v49, v80
	s_waitcnt vmcnt(1)
	v_fmac_f32_e32 v25, v50, v83
	s_waitcnt vmcnt(0)
	v_fmac_f32_e32 v32, v51, v81
	;; [unrolled: 13-line block ×7, first 2 shown]
	s_clause 0x3
	buffer_load_dword v48, off, s[0:3], s32 offset:672
	buffer_load_dword v49, off, s[0:3], s32 offset:676
	;; [unrolled: 1-line block ×4, first 2 shown]
	s_waitcnt vmcnt(3)
	v_fmac_f32_e32 v16, v48, v26
	s_waitcnt vmcnt(2)
	v_fmac_f32_e32 v17, v49, v19
	;; [unrolled: 2-line block ×3, first 2 shown]
	s_clause 0x3
	buffer_load_dword v26, off, s[0:3], s32 offset:688
	buffer_load_dword v27, off, s[0:3], s32 offset:692
	;; [unrolled: 1-line block ×4, first 2 shown]
	s_waitcnt vmcnt(4)
	v_fmac_f32_e32 v32, v51, v23
	s_waitcnt vmcnt(3)
	v_fmac_f32_e32 v16, v26, v18
	s_waitcnt vmcnt(2)
	v_fmac_f32_e32 v17, v27, v5
	s_waitcnt vmcnt(1)
	v_fmac_f32_e32 v25, v28, v1
	s_waitcnt vmcnt(0)
	v_fmac_f32_e32 v32, v29, v0
	s_clause 0x3
	buffer_load_dword v26, off, s[0:3], s32 offset:704
	buffer_load_dword v27, off, s[0:3], s32 offset:708
	;; [unrolled: 1-line block ×4, first 2 shown]
	s_waitcnt vmcnt(3)
	v_fmac_f32_e32 v16, v26, v22
	s_waitcnt vmcnt(2)
	v_fmac_f32_e32 v17, v27, v2
	;; [unrolled: 2-line block ×4, first 2 shown]
	s_clause 0x3
	buffer_load_dword v0, off, s[0:3], s32 offset:720
	buffer_load_dword v1, off, s[0:3], s32 offset:724
	buffer_load_dword v2, off, s[0:3], s32 offset:728
	buffer_load_dword v3, off, s[0:3], s32 offset:732
	s_waitcnt vmcnt(3)
	v_fmac_f32_e32 v16, v0, v14
	s_waitcnt vmcnt(2)
	v_fmac_f32_e32 v17, v1, v6
	;; [unrolled: 2-line block ×4, first 2 shown]
	s_clause 0x3
	buffer_load_dword v0, off, s[0:3], s32 offset:736
	buffer_load_dword v1, off, s[0:3], s32 offset:740
	;; [unrolled: 1-line block ×4, first 2 shown]
	s_waitcnt vmcnt(3)
	v_fmac_f32_e32 v16, v0, v24
	s_waitcnt vmcnt(2)
	v_fmac_f32_e32 v17, v1, v21
	buffer_load_dword v1, off, s[0:3], s32 offset:416 ; 4-byte Folded Reload
	s_waitcnt vmcnt(2)
	v_fmac_f32_e32 v25, v2, v12
	s_waitcnt vmcnt(1)
	v_fmac_f32_e32 v32, v3, v11
	v_add_f32_e32 v0, v16, v17
	v_add_f32_e32 v0, v25, v0
	;; [unrolled: 1-line block ×3, first 2 shown]
	s_waitcnt vmcnt(0)
	v_fmac_f32_e32 v20, v1, v0
	v_cndmask_b32_e64 v0, 0, v20, s5
	ds_write_b32 v13, v0
	v_max_f32_e32 v0, v35, v35
	v_add_nc_u32_e32 v13, 0x200, v13
	v_max_f32_e32 v0, v0, v20
	v_cndmask_b32_e64 v35, v35, v0, s5
	buffer_load_dword v0, off, s[0:3], s32 offset:404 ; 4-byte Folded Reload
	v_add_co_u32 v90, s5, v90, 16
	v_add_co_ci_u32_e64 v91, null, 0, v91, s5
	s_waitcnt vmcnt(0)
	v_cmp_ge_i32_e64 s5, v36, v0
	s_or_b32 s11, s5, s11
	s_andn2_b32 exec_lo, exec_lo, s11
	s_cbranch_execz .LBB247_648
.LBB247_11:                             ; =>This Inner Loop Header: Depth=1
	flat_load_dword v0, v[90:91]
	s_clause 0x2
	buffer_load_dword v1, off, s[0:3], s32 offset:400
	buffer_load_dword v2, off, s[0:3], s32 offset:424
	;; [unrolled: 1-line block ×3, first 2 shown]
	s_waitcnt vmcnt(0) lgkmcnt(0)
	v_mad_i64_i32 v[18:19], null, v0, v1, v[2:3]
	flat_load_dword v0, v[18:19]
	s_clause 0x1
	buffer_load_dword v1, off, s[0:3], s32 offset:408
	buffer_load_dword v2, off, s[0:3], s32 offset:412
	s_waitcnt vmcnt(2) lgkmcnt(0)
	v_cmp_ne_u16_sdwa s5, v0, v79 src0_sel:BYTE_0 src1_sel:DWORD
	s_waitcnt vmcnt(0)
	flat_load_dword v37, v[1:2]
	v_mov_b32_e32 v1, 0
	v_mov_b32_e32 v2, 0
	buffer_store_dword v1, off, s[0:3], s32 offset:208 ; 4-byte Folded Spill
	buffer_store_dword v2, off, s[0:3], s32 offset:212 ; 4-byte Folded Spill
	v_mov_b32_e32 v1, 0
	v_mov_b32_e32 v2, 0
	buffer_store_dword v1, off, s[0:3], s32 offset:200 ; 4-byte Folded Spill
	buffer_store_dword v2, off, s[0:3], s32 offset:204 ; 4-byte Folded Spill
	s_and_saveexec_b32 s13, s5
	s_cbranch_execz .LBB247_19
; %bb.12:                               ;   in Loop: Header=BB247_11 Depth=1
	v_bfrev_b32_e32 v1, 1
	v_mov_b32_e32 v2, 0
	v_cmp_ne_u16_sdwa s5, v0, v30 src0_sel:BYTE_0 src1_sel:DWORD
	buffer_store_dword v1, off, s[0:3], s32 offset:200 ; 4-byte Folded Spill
	buffer_store_dword v2, off, s[0:3], s32 offset:204 ; 4-byte Folded Spill
	s_and_saveexec_b32 s17, s5
	s_cbranch_execz .LBB247_18
; %bb.13:                               ;   in Loop: Header=BB247_11 Depth=1
	v_mov_b32_e32 v3, 0x7f800001
	v_and_b32_e32 v2, 0x7f, v0
	v_mov_b32_e32 v4, 0
	s_mov_b32 s21, exec_lo
	buffer_store_dword v3, off, s[0:3], s32 offset:200 ; 4-byte Folded Spill
	buffer_store_dword v4, off, s[0:3], s32 offset:204 ; 4-byte Folded Spill
	v_cmpx_ne_u32_e32 0x7f, v2
	s_cbranch_execz .LBB247_17
; %bb.14:                               ;   in Loop: Header=BB247_11 Depth=1
	v_and_b32_e32 v78, 7, v0
	v_lshrrev_b32_e32 v1, 3, v2
	s_mov_b32 s22, exec_lo
	v_cmpx_gt_u32_e32 8, v2
; %bb.15:                               ;   in Loop: Header=BB247_11 Depth=1
	v_ffbh_u32_e32 v1, v78
	v_min_u32_e32 v1, 32, v1
	v_subrev_nc_u32_e32 v2, 28, v1
	v_sub_nc_u32_e32 v1, 29, v1
	v_lshlrev_b64 v[2:3], v2, v[78:79]
	v_and_b32_e32 v78, 7, v2
; %bb.16:                               ;   in Loop: Header=BB247_11 Depth=1
	s_or_b32 exec_lo, exec_lo, s22
	v_lshlrev_b32_e32 v2, 24, v0
	v_lshlrev_b32_e32 v3, 20, v78
	v_lshl_add_u32 v1, v1, 23, 0x3c000000
	v_and_b32_e32 v2, 0x80000000, v2
	v_or3_b32 v78, v3, v2, v1
	buffer_store_dword v78, off, s[0:3], s32 offset:200 ; 4-byte Folded Spill
	buffer_store_dword v79, off, s[0:3], s32 offset:204 ; 4-byte Folded Spill
.LBB247_17:                             ;   in Loop: Header=BB247_11 Depth=1
	s_or_b32 exec_lo, exec_lo, s21
.LBB247_18:                             ;   in Loop: Header=BB247_11 Depth=1
	s_or_b32 exec_lo, exec_lo, s17
.LBB247_19:                             ;   in Loop: Header=BB247_11 Depth=1
	s_or_b32 exec_lo, exec_lo, s13
	v_cmp_ne_u16_sdwa s5, v0, v79 src0_sel:BYTE_1 src1_sel:DWORD
	s_and_saveexec_b32 s13, s5
	s_cbranch_execz .LBB247_27
; %bb.20:                               ;   in Loop: Header=BB247_11 Depth=1
	v_mov_b32_e32 v8, v79
	v_cmp_ne_u16_sdwa s5, v0, v30 src0_sel:BYTE_1 src1_sel:DWORD
	buffer_store_dword v8, off, s[0:3], s32 offset:208 ; 4-byte Folded Spill
	buffer_store_dword v9, off, s[0:3], s32 offset:212 ; 4-byte Folded Spill
	s_and_saveexec_b32 s17, s5
	s_cbranch_execz .LBB247_26
; %bb.21:                               ;   in Loop: Header=BB247_11 Depth=1
	v_mov_b32_e32 v1, 0xffff
	v_mov_b32_e32 v6, v79
	s_mov_b32 s21, exec_lo
	buffer_store_dword v6, off, s[0:3], s32 offset:208 ; 4-byte Folded Spill
	buffer_store_dword v7, off, s[0:3], s32 offset:212 ; 4-byte Folded Spill
	v_and_b32_sdwa v1, v1, v0 dst_sel:DWORD dst_unused:UNUSED_PAD src0_sel:DWORD src1_sel:BYTE_1
	v_and_b32_e32 v2, 0x7f, v1
	v_cmpx_ne_u32_e32 0x7f, v2
	s_cbranch_execz .LBB247_25
; %bb.22:                               ;   in Loop: Header=BB247_11 Depth=1
	v_and_b32_e32 v78, 7, v1
	v_lshrrev_b32_e32 v1, 3, v2
	s_mov_b32 s22, exec_lo
	v_cmpx_gt_u32_e32 8, v2
; %bb.23:                               ;   in Loop: Header=BB247_11 Depth=1
	v_ffbh_u32_e32 v1, v78
	v_min_u32_e32 v1, 32, v1
	v_subrev_nc_u32_e32 v2, 28, v1
	v_sub_nc_u32_e32 v1, 29, v1
	v_lshlrev_b64 v[2:3], v2, v[78:79]
	v_and_b32_e32 v78, 7, v2
; %bb.24:                               ;   in Loop: Header=BB247_11 Depth=1
	s_or_b32 exec_lo, exec_lo, s22
	v_lshlrev_b32_e32 v2, 16, v0
	v_lshlrev_b32_e32 v3, 20, v78
	v_lshl_add_u32 v1, v1, 23, 0x3c000000
	v_and_b32_e32 v2, 0x80000000, v2
	v_or3_b32 v2, v3, v2, v1
	v_mov_b32_e32 v1, v79
	buffer_store_dword v1, off, s[0:3], s32 offset:208 ; 4-byte Folded Spill
	buffer_store_dword v2, off, s[0:3], s32 offset:212 ; 4-byte Folded Spill
.LBB247_25:                             ;   in Loop: Header=BB247_11 Depth=1
	s_or_b32 exec_lo, exec_lo, s21
.LBB247_26:                             ;   in Loop: Header=BB247_11 Depth=1
	s_or_b32 exec_lo, exec_lo, s17
.LBB247_27:                             ;   in Loop: Header=BB247_11 Depth=1
	s_or_b32 exec_lo, exec_lo, s13
	v_mov_b32_e32 v2, 0
	v_mov_b32_e32 v3, 0
	v_and_b32_sdwa v1, v0, v31 dst_sel:DWORD dst_unused:UNUSED_PAD src0_sel:WORD_1 src1_sel:DWORD
	s_mov_b32 s13, exec_lo
	buffer_store_dword v2, off, s[0:3], s32 offset:216 ; 4-byte Folded Spill
	buffer_store_dword v3, off, s[0:3], s32 offset:220 ; 4-byte Folded Spill
	v_mov_b32_e32 v2, 0
	v_mov_b32_e32 v3, 0
	buffer_store_dword v2, off, s[0:3], s32 offset:224 ; 4-byte Folded Spill
	buffer_store_dword v3, off, s[0:3], s32 offset:228 ; 4-byte Folded Spill
	v_cmpx_ne_u16_e32 0, v1
	s_cbranch_execz .LBB247_35
; %bb.28:                               ;   in Loop: Header=BB247_11 Depth=1
	v_cmp_ne_u16_e64 s5, 0x80, v1
	v_bfrev_b32_e32 v1, 1
	v_mov_b32_e32 v2, 0
	buffer_store_dword v1, off, s[0:3], s32 offset:224 ; 4-byte Folded Spill
	buffer_store_dword v2, off, s[0:3], s32 offset:228 ; 4-byte Folded Spill
	s_and_saveexec_b32 s17, s5
	s_cbranch_execz .LBB247_34
; %bb.29:                               ;   in Loop: Header=BB247_11 Depth=1
	v_mov_b32_e32 v3, 0x7f800001
	v_bfe_u32 v2, v0, 16, 7
	v_mov_b32_e32 v4, 0
	s_mov_b32 s21, exec_lo
	buffer_store_dword v3, off, s[0:3], s32 offset:224 ; 4-byte Folded Spill
	buffer_store_dword v4, off, s[0:3], s32 offset:228 ; 4-byte Folded Spill
	v_cmpx_ne_u32_e32 0x7f, v2
	s_cbranch_execz .LBB247_33
; %bb.30:                               ;   in Loop: Header=BB247_11 Depth=1
	v_mov_b32_e32 v1, 7
	s_mov_b32 s22, exec_lo
	v_and_b32_sdwa v78, v0, v1 dst_sel:DWORD dst_unused:UNUSED_PAD src0_sel:WORD_1 src1_sel:DWORD
	v_lshrrev_b32_e32 v1, 3, v2
	v_cmpx_gt_u32_e32 8, v2
; %bb.31:                               ;   in Loop: Header=BB247_11 Depth=1
	v_ffbh_u32_e32 v1, v78
	v_min_u32_e32 v1, 32, v1
	v_subrev_nc_u32_e32 v2, 28, v1
	v_sub_nc_u32_e32 v1, 29, v1
	v_lshlrev_b64 v[2:3], v2, v[78:79]
	v_and_b32_e32 v78, 7, v2
; %bb.32:                               ;   in Loop: Header=BB247_11 Depth=1
	s_or_b32 exec_lo, exec_lo, s22
	v_mov_b32_e32 v2, 24
	v_lshlrev_b32_e32 v3, 20, v78
	v_lshl_add_u32 v1, v1, 23, 0x3c000000
	v_lshlrev_b32_sdwa v2, v2, v0 dst_sel:DWORD dst_unused:UNUSED_PAD src0_sel:DWORD src1_sel:WORD_1
	v_and_b32_e32 v2, 0x80000000, v2
	v_or3_b32 v78, v3, v2, v1
	buffer_store_dword v78, off, s[0:3], s32 offset:224 ; 4-byte Folded Spill
	buffer_store_dword v79, off, s[0:3], s32 offset:228 ; 4-byte Folded Spill
.LBB247_33:                             ;   in Loop: Header=BB247_11 Depth=1
	s_or_b32 exec_lo, exec_lo, s21
.LBB247_34:                             ;   in Loop: Header=BB247_11 Depth=1
	s_or_b32 exec_lo, exec_lo, s17
.LBB247_35:                             ;   in Loop: Header=BB247_11 Depth=1
	s_or_b32 exec_lo, exec_lo, s13
	s_mov_b32 s13, exec_lo
	v_cmpx_lt_u32_e32 0xffffff, v0
	s_cbranch_execz .LBB247_43
; %bb.36:                               ;   in Loop: Header=BB247_11 Depth=1
	v_mov_b32_e32 v8, v79
	v_cmp_ne_u32_sdwa s5, v0, v30 src0_sel:BYTE_3 src1_sel:DWORD
	buffer_store_dword v8, off, s[0:3], s32 offset:216 ; 4-byte Folded Spill
	buffer_store_dword v9, off, s[0:3], s32 offset:220 ; 4-byte Folded Spill
	s_and_saveexec_b32 s17, s5
	s_cbranch_execz .LBB247_42
; %bb.37:                               ;   in Loop: Header=BB247_11 Depth=1
	v_bfe_u32 v2, v0, 24, 7
	v_mov_b32_e32 v6, v79
	s_mov_b32 s21, exec_lo
	buffer_store_dword v6, off, s[0:3], s32 offset:216 ; 4-byte Folded Spill
	buffer_store_dword v7, off, s[0:3], s32 offset:220 ; 4-byte Folded Spill
	v_cmpx_ne_u32_e32 0x7f, v2
	s_cbranch_execz .LBB247_41
; %bb.38:                               ;   in Loop: Header=BB247_11 Depth=1
	v_mov_b32_e32 v1, 7
	s_mov_b32 s22, exec_lo
	v_and_b32_sdwa v78, v0, v1 dst_sel:DWORD dst_unused:UNUSED_PAD src0_sel:BYTE_3 src1_sel:DWORD
	v_lshrrev_b32_e32 v1, 3, v2
	v_cmpx_gt_u32_e32 8, v2
; %bb.39:                               ;   in Loop: Header=BB247_11 Depth=1
	v_ffbh_u32_e32 v1, v78
	v_min_u32_e32 v1, 32, v1
	v_subrev_nc_u32_e32 v2, 28, v1
	v_sub_nc_u32_e32 v1, 29, v1
	v_lshlrev_b64 v[2:3], v2, v[78:79]
	v_and_b32_e32 v78, 7, v2
; %bb.40:                               ;   in Loop: Header=BB247_11 Depth=1
	s_or_b32 exec_lo, exec_lo, s22
	v_mov_b32_e32 v2, 24
	v_lshl_add_u32 v1, v1, 23, 0x3c000000
	v_lshlrev_b32_sdwa v0, v2, v0 dst_sel:DWORD dst_unused:UNUSED_PAD src0_sel:DWORD src1_sel:BYTE_3
	v_lshlrev_b32_e32 v2, 20, v78
	v_and_b32_e32 v0, 0x80000000, v0
	v_or3_b32 v1, v2, v0, v1
	v_mov_b32_e32 v0, v79
	buffer_store_dword v0, off, s[0:3], s32 offset:216 ; 4-byte Folded Spill
	buffer_store_dword v1, off, s[0:3], s32 offset:220 ; 4-byte Folded Spill
.LBB247_41:                             ;   in Loop: Header=BB247_11 Depth=1
	s_or_b32 exec_lo, exec_lo, s21
.LBB247_42:                             ;   in Loop: Header=BB247_11 Depth=1
	s_or_b32 exec_lo, exec_lo, s17
.LBB247_43:                             ;   in Loop: Header=BB247_11 Depth=1
	s_or_b32 exec_lo, exec_lo, s13
	flat_load_dword v0, v[18:19] offset:4
	v_mov_b32_e32 v1, 0
	v_mov_b32_e32 v2, 0
	buffer_store_dword v1, off, s[0:3], s32 offset:240 ; 4-byte Folded Spill
	buffer_store_dword v2, off, s[0:3], s32 offset:244 ; 4-byte Folded Spill
	v_mov_b32_e32 v1, 0
	v_mov_b32_e32 v2, 0
	buffer_store_dword v1, off, s[0:3], s32 offset:232 ; 4-byte Folded Spill
	buffer_store_dword v2, off, s[0:3], s32 offset:236 ; 4-byte Folded Spill
	s_waitcnt vmcnt(0) lgkmcnt(0)
	v_cmp_ne_u16_sdwa s5, v0, v79 src0_sel:BYTE_0 src1_sel:DWORD
	s_and_saveexec_b32 s13, s5
	s_cbranch_execz .LBB247_51
; %bb.44:                               ;   in Loop: Header=BB247_11 Depth=1
	v_bfrev_b32_e32 v1, 1
	v_mov_b32_e32 v2, 0
	v_cmp_ne_u16_sdwa s5, v0, v30 src0_sel:BYTE_0 src1_sel:DWORD
	buffer_store_dword v1, off, s[0:3], s32 offset:232 ; 4-byte Folded Spill
	buffer_store_dword v2, off, s[0:3], s32 offset:236 ; 4-byte Folded Spill
	s_and_saveexec_b32 s17, s5
	s_cbranch_execz .LBB247_50
; %bb.45:                               ;   in Loop: Header=BB247_11 Depth=1
	v_mov_b32_e32 v3, 0x7f800001
	v_and_b32_e32 v2, 0x7f, v0
	v_mov_b32_e32 v4, 0
	s_mov_b32 s21, exec_lo
	buffer_store_dword v3, off, s[0:3], s32 offset:232 ; 4-byte Folded Spill
	buffer_store_dword v4, off, s[0:3], s32 offset:236 ; 4-byte Folded Spill
	v_cmpx_ne_u32_e32 0x7f, v2
	s_cbranch_execz .LBB247_49
; %bb.46:                               ;   in Loop: Header=BB247_11 Depth=1
	v_and_b32_e32 v78, 7, v0
	v_lshrrev_b32_e32 v1, 3, v2
	s_mov_b32 s22, exec_lo
	v_cmpx_gt_u32_e32 8, v2
; %bb.47:                               ;   in Loop: Header=BB247_11 Depth=1
	v_ffbh_u32_e32 v1, v78
	v_min_u32_e32 v1, 32, v1
	v_subrev_nc_u32_e32 v2, 28, v1
	v_sub_nc_u32_e32 v1, 29, v1
	v_lshlrev_b64 v[2:3], v2, v[78:79]
	v_and_b32_e32 v78, 7, v2
; %bb.48:                               ;   in Loop: Header=BB247_11 Depth=1
	s_or_b32 exec_lo, exec_lo, s22
	v_lshlrev_b32_e32 v2, 24, v0
	v_lshlrev_b32_e32 v3, 20, v78
	v_lshl_add_u32 v1, v1, 23, 0x3c000000
	v_and_b32_e32 v2, 0x80000000, v2
	v_or3_b32 v78, v3, v2, v1
	buffer_store_dword v78, off, s[0:3], s32 offset:232 ; 4-byte Folded Spill
	buffer_store_dword v79, off, s[0:3], s32 offset:236 ; 4-byte Folded Spill
.LBB247_49:                             ;   in Loop: Header=BB247_11 Depth=1
	s_or_b32 exec_lo, exec_lo, s21
.LBB247_50:                             ;   in Loop: Header=BB247_11 Depth=1
	s_or_b32 exec_lo, exec_lo, s17
.LBB247_51:                             ;   in Loop: Header=BB247_11 Depth=1
	s_or_b32 exec_lo, exec_lo, s13
	v_cmp_ne_u16_sdwa s5, v0, v79 src0_sel:BYTE_1 src1_sel:DWORD
	s_and_saveexec_b32 s13, s5
	s_cbranch_execz .LBB247_59
; %bb.52:                               ;   in Loop: Header=BB247_11 Depth=1
	v_mov_b32_e32 v8, v79
	v_cmp_ne_u16_sdwa s5, v0, v30 src0_sel:BYTE_1 src1_sel:DWORD
	buffer_store_dword v8, off, s[0:3], s32 offset:240 ; 4-byte Folded Spill
	buffer_store_dword v9, off, s[0:3], s32 offset:244 ; 4-byte Folded Spill
	s_and_saveexec_b32 s17, s5
	s_cbranch_execz .LBB247_58
; %bb.53:                               ;   in Loop: Header=BB247_11 Depth=1
	v_mov_b32_e32 v1, 0xffff
	v_mov_b32_e32 v6, v79
	s_mov_b32 s21, exec_lo
	buffer_store_dword v6, off, s[0:3], s32 offset:240 ; 4-byte Folded Spill
	buffer_store_dword v7, off, s[0:3], s32 offset:244 ; 4-byte Folded Spill
	v_and_b32_sdwa v1, v1, v0 dst_sel:DWORD dst_unused:UNUSED_PAD src0_sel:DWORD src1_sel:BYTE_1
	v_and_b32_e32 v2, 0x7f, v1
	v_cmpx_ne_u32_e32 0x7f, v2
	s_cbranch_execz .LBB247_57
; %bb.54:                               ;   in Loop: Header=BB247_11 Depth=1
	v_and_b32_e32 v78, 7, v1
	v_lshrrev_b32_e32 v1, 3, v2
	s_mov_b32 s22, exec_lo
	v_cmpx_gt_u32_e32 8, v2
; %bb.55:                               ;   in Loop: Header=BB247_11 Depth=1
	v_ffbh_u32_e32 v1, v78
	v_min_u32_e32 v1, 32, v1
	v_subrev_nc_u32_e32 v2, 28, v1
	v_sub_nc_u32_e32 v1, 29, v1
	v_lshlrev_b64 v[2:3], v2, v[78:79]
	v_and_b32_e32 v78, 7, v2
; %bb.56:                               ;   in Loop: Header=BB247_11 Depth=1
	s_or_b32 exec_lo, exec_lo, s22
	v_lshlrev_b32_e32 v2, 16, v0
	v_lshlrev_b32_e32 v3, 20, v78
	v_lshl_add_u32 v1, v1, 23, 0x3c000000
	v_and_b32_e32 v2, 0x80000000, v2
	v_or3_b32 v2, v3, v2, v1
	v_mov_b32_e32 v1, v79
	buffer_store_dword v1, off, s[0:3], s32 offset:240 ; 4-byte Folded Spill
	buffer_store_dword v2, off, s[0:3], s32 offset:244 ; 4-byte Folded Spill
.LBB247_57:                             ;   in Loop: Header=BB247_11 Depth=1
	s_or_b32 exec_lo, exec_lo, s21
.LBB247_58:                             ;   in Loop: Header=BB247_11 Depth=1
	s_or_b32 exec_lo, exec_lo, s17
.LBB247_59:                             ;   in Loop: Header=BB247_11 Depth=1
	s_or_b32 exec_lo, exec_lo, s13
	v_mov_b32_e32 v2, 0
	v_mov_b32_e32 v3, 0
	v_and_b32_sdwa v1, v0, v31 dst_sel:DWORD dst_unused:UNUSED_PAD src0_sel:WORD_1 src1_sel:DWORD
	s_mov_b32 s13, exec_lo
	buffer_store_dword v2, off, s[0:3], s32 offset:248 ; 4-byte Folded Spill
	buffer_store_dword v3, off, s[0:3], s32 offset:252 ; 4-byte Folded Spill
	v_mov_b32_e32 v2, 0
	v_mov_b32_e32 v3, 0
	buffer_store_dword v2, off, s[0:3], s32 offset:256 ; 4-byte Folded Spill
	buffer_store_dword v3, off, s[0:3], s32 offset:260 ; 4-byte Folded Spill
	v_cmpx_ne_u16_e32 0, v1
	s_cbranch_execz .LBB247_67
; %bb.60:                               ;   in Loop: Header=BB247_11 Depth=1
	v_cmp_ne_u16_e64 s5, 0x80, v1
	v_bfrev_b32_e32 v1, 1
	v_mov_b32_e32 v2, 0
	buffer_store_dword v1, off, s[0:3], s32 offset:256 ; 4-byte Folded Spill
	buffer_store_dword v2, off, s[0:3], s32 offset:260 ; 4-byte Folded Spill
	s_and_saveexec_b32 s17, s5
	s_cbranch_execz .LBB247_66
; %bb.61:                               ;   in Loop: Header=BB247_11 Depth=1
	v_mov_b32_e32 v3, 0x7f800001
	v_bfe_u32 v2, v0, 16, 7
	v_mov_b32_e32 v4, 0
	s_mov_b32 s21, exec_lo
	buffer_store_dword v3, off, s[0:3], s32 offset:256 ; 4-byte Folded Spill
	buffer_store_dword v4, off, s[0:3], s32 offset:260 ; 4-byte Folded Spill
	v_cmpx_ne_u32_e32 0x7f, v2
	s_cbranch_execz .LBB247_65
; %bb.62:                               ;   in Loop: Header=BB247_11 Depth=1
	v_mov_b32_e32 v1, 7
	s_mov_b32 s22, exec_lo
	v_and_b32_sdwa v78, v0, v1 dst_sel:DWORD dst_unused:UNUSED_PAD src0_sel:WORD_1 src1_sel:DWORD
	v_lshrrev_b32_e32 v1, 3, v2
	v_cmpx_gt_u32_e32 8, v2
; %bb.63:                               ;   in Loop: Header=BB247_11 Depth=1
	v_ffbh_u32_e32 v1, v78
	v_min_u32_e32 v1, 32, v1
	v_subrev_nc_u32_e32 v2, 28, v1
	v_sub_nc_u32_e32 v1, 29, v1
	v_lshlrev_b64 v[2:3], v2, v[78:79]
	v_and_b32_e32 v78, 7, v2
; %bb.64:                               ;   in Loop: Header=BB247_11 Depth=1
	s_or_b32 exec_lo, exec_lo, s22
	v_mov_b32_e32 v2, 24
	v_lshlrev_b32_e32 v3, 20, v78
	v_lshl_add_u32 v1, v1, 23, 0x3c000000
	v_lshlrev_b32_sdwa v2, v2, v0 dst_sel:DWORD dst_unused:UNUSED_PAD src0_sel:DWORD src1_sel:WORD_1
	v_and_b32_e32 v2, 0x80000000, v2
	v_or3_b32 v78, v3, v2, v1
	buffer_store_dword v78, off, s[0:3], s32 offset:256 ; 4-byte Folded Spill
	buffer_store_dword v79, off, s[0:3], s32 offset:260 ; 4-byte Folded Spill
.LBB247_65:                             ;   in Loop: Header=BB247_11 Depth=1
	s_or_b32 exec_lo, exec_lo, s21
.LBB247_66:                             ;   in Loop: Header=BB247_11 Depth=1
	s_or_b32 exec_lo, exec_lo, s17
.LBB247_67:                             ;   in Loop: Header=BB247_11 Depth=1
	s_or_b32 exec_lo, exec_lo, s13
	s_mov_b32 s13, exec_lo
	v_cmpx_lt_u32_e32 0xffffff, v0
	s_cbranch_execz .LBB247_75
; %bb.68:                               ;   in Loop: Header=BB247_11 Depth=1
	v_mov_b32_e32 v8, v79
	v_cmp_ne_u32_sdwa s5, v0, v30 src0_sel:BYTE_3 src1_sel:DWORD
	buffer_store_dword v8, off, s[0:3], s32 offset:248 ; 4-byte Folded Spill
	buffer_store_dword v9, off, s[0:3], s32 offset:252 ; 4-byte Folded Spill
	s_and_saveexec_b32 s17, s5
	s_cbranch_execz .LBB247_74
; %bb.69:                               ;   in Loop: Header=BB247_11 Depth=1
	v_bfe_u32 v2, v0, 24, 7
	v_mov_b32_e32 v6, v79
	s_mov_b32 s21, exec_lo
	buffer_store_dword v6, off, s[0:3], s32 offset:248 ; 4-byte Folded Spill
	buffer_store_dword v7, off, s[0:3], s32 offset:252 ; 4-byte Folded Spill
	v_cmpx_ne_u32_e32 0x7f, v2
	s_cbranch_execz .LBB247_73
; %bb.70:                               ;   in Loop: Header=BB247_11 Depth=1
	v_mov_b32_e32 v1, 7
	s_mov_b32 s22, exec_lo
	v_and_b32_sdwa v78, v0, v1 dst_sel:DWORD dst_unused:UNUSED_PAD src0_sel:BYTE_3 src1_sel:DWORD
	v_lshrrev_b32_e32 v1, 3, v2
	v_cmpx_gt_u32_e32 8, v2
; %bb.71:                               ;   in Loop: Header=BB247_11 Depth=1
	v_ffbh_u32_e32 v1, v78
	v_min_u32_e32 v1, 32, v1
	v_subrev_nc_u32_e32 v2, 28, v1
	v_sub_nc_u32_e32 v1, 29, v1
	v_lshlrev_b64 v[2:3], v2, v[78:79]
	v_and_b32_e32 v78, 7, v2
; %bb.72:                               ;   in Loop: Header=BB247_11 Depth=1
	s_or_b32 exec_lo, exec_lo, s22
	v_mov_b32_e32 v2, 24
	v_lshl_add_u32 v1, v1, 23, 0x3c000000
	v_lshlrev_b32_sdwa v0, v2, v0 dst_sel:DWORD dst_unused:UNUSED_PAD src0_sel:DWORD src1_sel:BYTE_3
	v_lshlrev_b32_e32 v2, 20, v78
	v_and_b32_e32 v0, 0x80000000, v0
	v_or3_b32 v1, v2, v0, v1
	v_mov_b32_e32 v0, v79
	buffer_store_dword v0, off, s[0:3], s32 offset:248 ; 4-byte Folded Spill
	buffer_store_dword v1, off, s[0:3], s32 offset:252 ; 4-byte Folded Spill
.LBB247_73:                             ;   in Loop: Header=BB247_11 Depth=1
	s_or_b32 exec_lo, exec_lo, s21
.LBB247_74:                             ;   in Loop: Header=BB247_11 Depth=1
	s_or_b32 exec_lo, exec_lo, s17
.LBB247_75:                             ;   in Loop: Header=BB247_11 Depth=1
	s_or_b32 exec_lo, exec_lo, s13
	flat_load_dword v0, v[18:19] offset:8
	v_mov_b32_e32 v1, 0
	v_mov_b32_e32 v2, 0
	buffer_store_dword v1, off, s[0:3], s32 offset:272 ; 4-byte Folded Spill
	buffer_store_dword v2, off, s[0:3], s32 offset:276 ; 4-byte Folded Spill
	v_mov_b32_e32 v1, 0
	v_mov_b32_e32 v2, 0
	buffer_store_dword v1, off, s[0:3], s32 offset:264 ; 4-byte Folded Spill
	buffer_store_dword v2, off, s[0:3], s32 offset:268 ; 4-byte Folded Spill
	s_waitcnt vmcnt(0) lgkmcnt(0)
	v_cmp_ne_u16_sdwa s5, v0, v79 src0_sel:BYTE_0 src1_sel:DWORD
	s_and_saveexec_b32 s13, s5
	s_cbranch_execz .LBB247_83
; %bb.76:                               ;   in Loop: Header=BB247_11 Depth=1
	v_bfrev_b32_e32 v1, 1
	v_mov_b32_e32 v2, 0
	v_cmp_ne_u16_sdwa s5, v0, v30 src0_sel:BYTE_0 src1_sel:DWORD
	buffer_store_dword v1, off, s[0:3], s32 offset:264 ; 4-byte Folded Spill
	buffer_store_dword v2, off, s[0:3], s32 offset:268 ; 4-byte Folded Spill
	s_and_saveexec_b32 s17, s5
	s_cbranch_execz .LBB247_82
; %bb.77:                               ;   in Loop: Header=BB247_11 Depth=1
	v_mov_b32_e32 v3, 0x7f800001
	v_and_b32_e32 v2, 0x7f, v0
	v_mov_b32_e32 v4, 0
	s_mov_b32 s21, exec_lo
	buffer_store_dword v3, off, s[0:3], s32 offset:264 ; 4-byte Folded Spill
	buffer_store_dword v4, off, s[0:3], s32 offset:268 ; 4-byte Folded Spill
	v_cmpx_ne_u32_e32 0x7f, v2
	s_cbranch_execz .LBB247_81
; %bb.78:                               ;   in Loop: Header=BB247_11 Depth=1
	v_and_b32_e32 v78, 7, v0
	v_lshrrev_b32_e32 v1, 3, v2
	s_mov_b32 s22, exec_lo
	v_cmpx_gt_u32_e32 8, v2
; %bb.79:                               ;   in Loop: Header=BB247_11 Depth=1
	v_ffbh_u32_e32 v1, v78
	v_min_u32_e32 v1, 32, v1
	v_subrev_nc_u32_e32 v2, 28, v1
	v_sub_nc_u32_e32 v1, 29, v1
	v_lshlrev_b64 v[2:3], v2, v[78:79]
	v_and_b32_e32 v78, 7, v2
; %bb.80:                               ;   in Loop: Header=BB247_11 Depth=1
	s_or_b32 exec_lo, exec_lo, s22
	v_lshlrev_b32_e32 v2, 24, v0
	v_lshlrev_b32_e32 v3, 20, v78
	v_lshl_add_u32 v1, v1, 23, 0x3c000000
	v_and_b32_e32 v2, 0x80000000, v2
	v_or3_b32 v78, v3, v2, v1
	buffer_store_dword v78, off, s[0:3], s32 offset:264 ; 4-byte Folded Spill
	buffer_store_dword v79, off, s[0:3], s32 offset:268 ; 4-byte Folded Spill
.LBB247_81:                             ;   in Loop: Header=BB247_11 Depth=1
	s_or_b32 exec_lo, exec_lo, s21
.LBB247_82:                             ;   in Loop: Header=BB247_11 Depth=1
	s_or_b32 exec_lo, exec_lo, s17
.LBB247_83:                             ;   in Loop: Header=BB247_11 Depth=1
	s_or_b32 exec_lo, exec_lo, s13
	v_cmp_ne_u16_sdwa s5, v0, v79 src0_sel:BYTE_1 src1_sel:DWORD
	s_and_saveexec_b32 s13, s5
	s_cbranch_execz .LBB247_91
; %bb.84:                               ;   in Loop: Header=BB247_11 Depth=1
	v_mov_b32_e32 v8, v79
	v_cmp_ne_u16_sdwa s5, v0, v30 src0_sel:BYTE_1 src1_sel:DWORD
	buffer_store_dword v8, off, s[0:3], s32 offset:272 ; 4-byte Folded Spill
	buffer_store_dword v9, off, s[0:3], s32 offset:276 ; 4-byte Folded Spill
	s_and_saveexec_b32 s17, s5
	s_cbranch_execz .LBB247_90
; %bb.85:                               ;   in Loop: Header=BB247_11 Depth=1
	v_mov_b32_e32 v1, 0xffff
	v_mov_b32_e32 v6, v79
	s_mov_b32 s21, exec_lo
	buffer_store_dword v6, off, s[0:3], s32 offset:272 ; 4-byte Folded Spill
	buffer_store_dword v7, off, s[0:3], s32 offset:276 ; 4-byte Folded Spill
	v_and_b32_sdwa v1, v1, v0 dst_sel:DWORD dst_unused:UNUSED_PAD src0_sel:DWORD src1_sel:BYTE_1
	v_and_b32_e32 v2, 0x7f, v1
	v_cmpx_ne_u32_e32 0x7f, v2
	s_cbranch_execz .LBB247_89
; %bb.86:                               ;   in Loop: Header=BB247_11 Depth=1
	v_and_b32_e32 v78, 7, v1
	v_lshrrev_b32_e32 v1, 3, v2
	s_mov_b32 s22, exec_lo
	v_cmpx_gt_u32_e32 8, v2
; %bb.87:                               ;   in Loop: Header=BB247_11 Depth=1
	v_ffbh_u32_e32 v1, v78
	v_min_u32_e32 v1, 32, v1
	v_subrev_nc_u32_e32 v2, 28, v1
	v_sub_nc_u32_e32 v1, 29, v1
	v_lshlrev_b64 v[2:3], v2, v[78:79]
	v_and_b32_e32 v78, 7, v2
; %bb.88:                               ;   in Loop: Header=BB247_11 Depth=1
	s_or_b32 exec_lo, exec_lo, s22
	v_lshlrev_b32_e32 v2, 16, v0
	v_lshlrev_b32_e32 v3, 20, v78
	v_lshl_add_u32 v1, v1, 23, 0x3c000000
	v_and_b32_e32 v2, 0x80000000, v2
	v_or3_b32 v2, v3, v2, v1
	v_mov_b32_e32 v1, v79
	buffer_store_dword v1, off, s[0:3], s32 offset:272 ; 4-byte Folded Spill
	buffer_store_dword v2, off, s[0:3], s32 offset:276 ; 4-byte Folded Spill
.LBB247_89:                             ;   in Loop: Header=BB247_11 Depth=1
	s_or_b32 exec_lo, exec_lo, s21
.LBB247_90:                             ;   in Loop: Header=BB247_11 Depth=1
	s_or_b32 exec_lo, exec_lo, s17
.LBB247_91:                             ;   in Loop: Header=BB247_11 Depth=1
	s_or_b32 exec_lo, exec_lo, s13
	v_mov_b32_e32 v2, 0
	v_mov_b32_e32 v3, 0
	v_and_b32_sdwa v1, v0, v31 dst_sel:DWORD dst_unused:UNUSED_PAD src0_sel:WORD_1 src1_sel:DWORD
	s_mov_b32 s13, exec_lo
	buffer_store_dword v2, off, s[0:3], s32 offset:280 ; 4-byte Folded Spill
	buffer_store_dword v3, off, s[0:3], s32 offset:284 ; 4-byte Folded Spill
	v_mov_b32_e32 v2, 0
	v_mov_b32_e32 v3, 0
	buffer_store_dword v2, off, s[0:3], s32 offset:288 ; 4-byte Folded Spill
	buffer_store_dword v3, off, s[0:3], s32 offset:292 ; 4-byte Folded Spill
	v_cmpx_ne_u16_e32 0, v1
	s_cbranch_execz .LBB247_99
; %bb.92:                               ;   in Loop: Header=BB247_11 Depth=1
	v_cmp_ne_u16_e64 s5, 0x80, v1
	v_bfrev_b32_e32 v1, 1
	v_mov_b32_e32 v2, 0
	buffer_store_dword v1, off, s[0:3], s32 offset:288 ; 4-byte Folded Spill
	buffer_store_dword v2, off, s[0:3], s32 offset:292 ; 4-byte Folded Spill
	s_and_saveexec_b32 s17, s5
	s_cbranch_execz .LBB247_98
; %bb.93:                               ;   in Loop: Header=BB247_11 Depth=1
	v_mov_b32_e32 v3, 0x7f800001
	v_bfe_u32 v2, v0, 16, 7
	v_mov_b32_e32 v4, 0
	s_mov_b32 s21, exec_lo
	buffer_store_dword v3, off, s[0:3], s32 offset:288 ; 4-byte Folded Spill
	buffer_store_dword v4, off, s[0:3], s32 offset:292 ; 4-byte Folded Spill
	v_cmpx_ne_u32_e32 0x7f, v2
	s_cbranch_execz .LBB247_97
; %bb.94:                               ;   in Loop: Header=BB247_11 Depth=1
	v_mov_b32_e32 v1, 7
	s_mov_b32 s22, exec_lo
	v_and_b32_sdwa v78, v0, v1 dst_sel:DWORD dst_unused:UNUSED_PAD src0_sel:WORD_1 src1_sel:DWORD
	v_lshrrev_b32_e32 v1, 3, v2
	v_cmpx_gt_u32_e32 8, v2
; %bb.95:                               ;   in Loop: Header=BB247_11 Depth=1
	v_ffbh_u32_e32 v1, v78
	v_min_u32_e32 v1, 32, v1
	v_subrev_nc_u32_e32 v2, 28, v1
	v_sub_nc_u32_e32 v1, 29, v1
	v_lshlrev_b64 v[2:3], v2, v[78:79]
	v_and_b32_e32 v78, 7, v2
; %bb.96:                               ;   in Loop: Header=BB247_11 Depth=1
	s_or_b32 exec_lo, exec_lo, s22
	v_mov_b32_e32 v2, 24
	v_lshlrev_b32_e32 v3, 20, v78
	v_lshl_add_u32 v1, v1, 23, 0x3c000000
	v_lshlrev_b32_sdwa v2, v2, v0 dst_sel:DWORD dst_unused:UNUSED_PAD src0_sel:DWORD src1_sel:WORD_1
	v_and_b32_e32 v2, 0x80000000, v2
	v_or3_b32 v78, v3, v2, v1
	buffer_store_dword v78, off, s[0:3], s32 offset:288 ; 4-byte Folded Spill
	buffer_store_dword v79, off, s[0:3], s32 offset:292 ; 4-byte Folded Spill
.LBB247_97:                             ;   in Loop: Header=BB247_11 Depth=1
	s_or_b32 exec_lo, exec_lo, s21
.LBB247_98:                             ;   in Loop: Header=BB247_11 Depth=1
	s_or_b32 exec_lo, exec_lo, s17
.LBB247_99:                             ;   in Loop: Header=BB247_11 Depth=1
	s_or_b32 exec_lo, exec_lo, s13
	s_mov_b32 s13, exec_lo
	v_cmpx_lt_u32_e32 0xffffff, v0
	s_cbranch_execz .LBB247_107
; %bb.100:                              ;   in Loop: Header=BB247_11 Depth=1
	v_mov_b32_e32 v8, v79
	v_cmp_ne_u32_sdwa s5, v0, v30 src0_sel:BYTE_3 src1_sel:DWORD
	buffer_store_dword v8, off, s[0:3], s32 offset:280 ; 4-byte Folded Spill
	buffer_store_dword v9, off, s[0:3], s32 offset:284 ; 4-byte Folded Spill
	s_and_saveexec_b32 s17, s5
	s_cbranch_execz .LBB247_106
; %bb.101:                              ;   in Loop: Header=BB247_11 Depth=1
	v_bfe_u32 v2, v0, 24, 7
	v_mov_b32_e32 v6, v79
	s_mov_b32 s21, exec_lo
	buffer_store_dword v6, off, s[0:3], s32 offset:280 ; 4-byte Folded Spill
	buffer_store_dword v7, off, s[0:3], s32 offset:284 ; 4-byte Folded Spill
	v_cmpx_ne_u32_e32 0x7f, v2
	s_cbranch_execz .LBB247_105
; %bb.102:                              ;   in Loop: Header=BB247_11 Depth=1
	v_mov_b32_e32 v1, 7
	s_mov_b32 s22, exec_lo
	v_and_b32_sdwa v78, v0, v1 dst_sel:DWORD dst_unused:UNUSED_PAD src0_sel:BYTE_3 src1_sel:DWORD
	v_lshrrev_b32_e32 v1, 3, v2
	v_cmpx_gt_u32_e32 8, v2
; %bb.103:                              ;   in Loop: Header=BB247_11 Depth=1
	v_ffbh_u32_e32 v1, v78
	v_min_u32_e32 v1, 32, v1
	v_subrev_nc_u32_e32 v2, 28, v1
	v_sub_nc_u32_e32 v1, 29, v1
	v_lshlrev_b64 v[2:3], v2, v[78:79]
	v_and_b32_e32 v78, 7, v2
; %bb.104:                              ;   in Loop: Header=BB247_11 Depth=1
	s_or_b32 exec_lo, exec_lo, s22
	v_mov_b32_e32 v2, 24
	v_lshl_add_u32 v1, v1, 23, 0x3c000000
	v_lshlrev_b32_sdwa v0, v2, v0 dst_sel:DWORD dst_unused:UNUSED_PAD src0_sel:DWORD src1_sel:BYTE_3
	v_lshlrev_b32_e32 v2, 20, v78
	v_and_b32_e32 v0, 0x80000000, v0
	v_or3_b32 v1, v2, v0, v1
	v_mov_b32_e32 v0, v79
	buffer_store_dword v0, off, s[0:3], s32 offset:280 ; 4-byte Folded Spill
	buffer_store_dword v1, off, s[0:3], s32 offset:284 ; 4-byte Folded Spill
.LBB247_105:                            ;   in Loop: Header=BB247_11 Depth=1
	s_or_b32 exec_lo, exec_lo, s21
.LBB247_106:                            ;   in Loop: Header=BB247_11 Depth=1
	s_or_b32 exec_lo, exec_lo, s17
.LBB247_107:                            ;   in Loop: Header=BB247_11 Depth=1
	s_or_b32 exec_lo, exec_lo, s13
	flat_load_dword v0, v[18:19] offset:12
	v_mov_b32_e32 v1, 0
	v_mov_b32_e32 v2, 0
	buffer_store_dword v1, off, s[0:3], s32 offset:304 ; 4-byte Folded Spill
	buffer_store_dword v2, off, s[0:3], s32 offset:308 ; 4-byte Folded Spill
	v_mov_b32_e32 v1, 0
	v_mov_b32_e32 v2, 0
	buffer_store_dword v1, off, s[0:3], s32 offset:296 ; 4-byte Folded Spill
	buffer_store_dword v2, off, s[0:3], s32 offset:300 ; 4-byte Folded Spill
	s_waitcnt vmcnt(0) lgkmcnt(0)
	v_cmp_ne_u16_sdwa s5, v0, v79 src0_sel:BYTE_0 src1_sel:DWORD
	s_and_saveexec_b32 s13, s5
	s_cbranch_execz .LBB247_115
; %bb.108:                              ;   in Loop: Header=BB247_11 Depth=1
	v_bfrev_b32_e32 v1, 1
	v_mov_b32_e32 v2, 0
	v_cmp_ne_u16_sdwa s5, v0, v30 src0_sel:BYTE_0 src1_sel:DWORD
	buffer_store_dword v1, off, s[0:3], s32 offset:296 ; 4-byte Folded Spill
	buffer_store_dword v2, off, s[0:3], s32 offset:300 ; 4-byte Folded Spill
	s_and_saveexec_b32 s17, s5
	s_cbranch_execz .LBB247_114
; %bb.109:                              ;   in Loop: Header=BB247_11 Depth=1
	v_mov_b32_e32 v3, 0x7f800001
	v_and_b32_e32 v2, 0x7f, v0
	v_mov_b32_e32 v4, 0
	s_mov_b32 s21, exec_lo
	buffer_store_dword v3, off, s[0:3], s32 offset:296 ; 4-byte Folded Spill
	buffer_store_dword v4, off, s[0:3], s32 offset:300 ; 4-byte Folded Spill
	v_cmpx_ne_u32_e32 0x7f, v2
	s_cbranch_execz .LBB247_113
; %bb.110:                              ;   in Loop: Header=BB247_11 Depth=1
	v_and_b32_e32 v78, 7, v0
	v_lshrrev_b32_e32 v1, 3, v2
	s_mov_b32 s22, exec_lo
	v_cmpx_gt_u32_e32 8, v2
; %bb.111:                              ;   in Loop: Header=BB247_11 Depth=1
	v_ffbh_u32_e32 v1, v78
	v_min_u32_e32 v1, 32, v1
	v_subrev_nc_u32_e32 v2, 28, v1
	v_sub_nc_u32_e32 v1, 29, v1
	v_lshlrev_b64 v[2:3], v2, v[78:79]
	v_and_b32_e32 v78, 7, v2
; %bb.112:                              ;   in Loop: Header=BB247_11 Depth=1
	s_or_b32 exec_lo, exec_lo, s22
	v_lshlrev_b32_e32 v2, 24, v0
	v_lshlrev_b32_e32 v3, 20, v78
	v_lshl_add_u32 v1, v1, 23, 0x3c000000
	v_and_b32_e32 v2, 0x80000000, v2
	v_or3_b32 v78, v3, v2, v1
	buffer_store_dword v78, off, s[0:3], s32 offset:296 ; 4-byte Folded Spill
	buffer_store_dword v79, off, s[0:3], s32 offset:300 ; 4-byte Folded Spill
.LBB247_113:                            ;   in Loop: Header=BB247_11 Depth=1
	s_or_b32 exec_lo, exec_lo, s21
.LBB247_114:                            ;   in Loop: Header=BB247_11 Depth=1
	s_or_b32 exec_lo, exec_lo, s17
.LBB247_115:                            ;   in Loop: Header=BB247_11 Depth=1
	s_or_b32 exec_lo, exec_lo, s13
	v_cmp_ne_u16_sdwa s5, v0, v79 src0_sel:BYTE_1 src1_sel:DWORD
	s_and_saveexec_b32 s13, s5
	s_cbranch_execz .LBB247_123
; %bb.116:                              ;   in Loop: Header=BB247_11 Depth=1
	v_mov_b32_e32 v8, v79
	v_cmp_ne_u16_sdwa s5, v0, v30 src0_sel:BYTE_1 src1_sel:DWORD
	buffer_store_dword v8, off, s[0:3], s32 offset:304 ; 4-byte Folded Spill
	buffer_store_dword v9, off, s[0:3], s32 offset:308 ; 4-byte Folded Spill
	s_and_saveexec_b32 s17, s5
	s_cbranch_execz .LBB247_122
; %bb.117:                              ;   in Loop: Header=BB247_11 Depth=1
	v_mov_b32_e32 v1, 0xffff
	v_mov_b32_e32 v6, v79
	s_mov_b32 s21, exec_lo
	buffer_store_dword v6, off, s[0:3], s32 offset:304 ; 4-byte Folded Spill
	buffer_store_dword v7, off, s[0:3], s32 offset:308 ; 4-byte Folded Spill
	v_and_b32_sdwa v1, v1, v0 dst_sel:DWORD dst_unused:UNUSED_PAD src0_sel:DWORD src1_sel:BYTE_1
	v_and_b32_e32 v2, 0x7f, v1
	v_cmpx_ne_u32_e32 0x7f, v2
	s_cbranch_execz .LBB247_121
; %bb.118:                              ;   in Loop: Header=BB247_11 Depth=1
	v_and_b32_e32 v78, 7, v1
	v_lshrrev_b32_e32 v1, 3, v2
	s_mov_b32 s22, exec_lo
	v_cmpx_gt_u32_e32 8, v2
; %bb.119:                              ;   in Loop: Header=BB247_11 Depth=1
	v_ffbh_u32_e32 v1, v78
	v_min_u32_e32 v1, 32, v1
	v_subrev_nc_u32_e32 v2, 28, v1
	v_sub_nc_u32_e32 v1, 29, v1
	v_lshlrev_b64 v[2:3], v2, v[78:79]
	v_and_b32_e32 v78, 7, v2
; %bb.120:                              ;   in Loop: Header=BB247_11 Depth=1
	s_or_b32 exec_lo, exec_lo, s22
	v_lshlrev_b32_e32 v2, 16, v0
	v_lshlrev_b32_e32 v3, 20, v78
	v_lshl_add_u32 v1, v1, 23, 0x3c000000
	v_and_b32_e32 v2, 0x80000000, v2
	v_or3_b32 v2, v3, v2, v1
	v_mov_b32_e32 v1, v79
	buffer_store_dword v1, off, s[0:3], s32 offset:304 ; 4-byte Folded Spill
	buffer_store_dword v2, off, s[0:3], s32 offset:308 ; 4-byte Folded Spill
.LBB247_121:                            ;   in Loop: Header=BB247_11 Depth=1
	s_or_b32 exec_lo, exec_lo, s21
.LBB247_122:                            ;   in Loop: Header=BB247_11 Depth=1
	s_or_b32 exec_lo, exec_lo, s17
.LBB247_123:                            ;   in Loop: Header=BB247_11 Depth=1
	s_or_b32 exec_lo, exec_lo, s13
	v_mov_b32_e32 v2, 0
	v_mov_b32_e32 v3, 0
	v_and_b32_sdwa v1, v0, v31 dst_sel:DWORD dst_unused:UNUSED_PAD src0_sel:WORD_1 src1_sel:DWORD
	s_mov_b32 s13, exec_lo
	buffer_store_dword v2, off, s[0:3], s32 offset:312 ; 4-byte Folded Spill
	buffer_store_dword v3, off, s[0:3], s32 offset:316 ; 4-byte Folded Spill
	v_mov_b32_e32 v2, 0
	v_mov_b32_e32 v3, 0
	buffer_store_dword v2, off, s[0:3], s32 offset:320 ; 4-byte Folded Spill
	buffer_store_dword v3, off, s[0:3], s32 offset:324 ; 4-byte Folded Spill
	v_cmpx_ne_u16_e32 0, v1
	s_cbranch_execz .LBB247_131
; %bb.124:                              ;   in Loop: Header=BB247_11 Depth=1
	v_cmp_ne_u16_e64 s5, 0x80, v1
	v_bfrev_b32_e32 v1, 1
	v_mov_b32_e32 v2, 0
	buffer_store_dword v1, off, s[0:3], s32 offset:320 ; 4-byte Folded Spill
	buffer_store_dword v2, off, s[0:3], s32 offset:324 ; 4-byte Folded Spill
	s_and_saveexec_b32 s17, s5
	s_cbranch_execz .LBB247_130
; %bb.125:                              ;   in Loop: Header=BB247_11 Depth=1
	v_mov_b32_e32 v3, 0x7f800001
	v_bfe_u32 v2, v0, 16, 7
	v_mov_b32_e32 v4, 0
	s_mov_b32 s21, exec_lo
	buffer_store_dword v3, off, s[0:3], s32 offset:320 ; 4-byte Folded Spill
	buffer_store_dword v4, off, s[0:3], s32 offset:324 ; 4-byte Folded Spill
	v_cmpx_ne_u32_e32 0x7f, v2
	s_cbranch_execz .LBB247_129
; %bb.126:                              ;   in Loop: Header=BB247_11 Depth=1
	v_mov_b32_e32 v1, 7
	s_mov_b32 s22, exec_lo
	v_and_b32_sdwa v78, v0, v1 dst_sel:DWORD dst_unused:UNUSED_PAD src0_sel:WORD_1 src1_sel:DWORD
	v_lshrrev_b32_e32 v1, 3, v2
	v_cmpx_gt_u32_e32 8, v2
; %bb.127:                              ;   in Loop: Header=BB247_11 Depth=1
	v_ffbh_u32_e32 v1, v78
	v_min_u32_e32 v1, 32, v1
	v_subrev_nc_u32_e32 v2, 28, v1
	v_sub_nc_u32_e32 v1, 29, v1
	v_lshlrev_b64 v[2:3], v2, v[78:79]
	v_and_b32_e32 v78, 7, v2
; %bb.128:                              ;   in Loop: Header=BB247_11 Depth=1
	s_or_b32 exec_lo, exec_lo, s22
	v_mov_b32_e32 v2, 24
	v_lshlrev_b32_e32 v3, 20, v78
	v_lshl_add_u32 v1, v1, 23, 0x3c000000
	v_lshlrev_b32_sdwa v2, v2, v0 dst_sel:DWORD dst_unused:UNUSED_PAD src0_sel:DWORD src1_sel:WORD_1
	v_and_b32_e32 v2, 0x80000000, v2
	v_or3_b32 v78, v3, v2, v1
	buffer_store_dword v78, off, s[0:3], s32 offset:320 ; 4-byte Folded Spill
	buffer_store_dword v79, off, s[0:3], s32 offset:324 ; 4-byte Folded Spill
.LBB247_129:                            ;   in Loop: Header=BB247_11 Depth=1
	s_or_b32 exec_lo, exec_lo, s21
.LBB247_130:                            ;   in Loop: Header=BB247_11 Depth=1
	s_or_b32 exec_lo, exec_lo, s17
.LBB247_131:                            ;   in Loop: Header=BB247_11 Depth=1
	s_or_b32 exec_lo, exec_lo, s13
	s_mov_b32 s13, exec_lo
	v_cmpx_lt_u32_e32 0xffffff, v0
	s_cbranch_execz .LBB247_139
; %bb.132:                              ;   in Loop: Header=BB247_11 Depth=1
	v_mov_b32_e32 v8, v79
	v_cmp_ne_u32_sdwa s5, v0, v30 src0_sel:BYTE_3 src1_sel:DWORD
	buffer_store_dword v8, off, s[0:3], s32 offset:312 ; 4-byte Folded Spill
	buffer_store_dword v9, off, s[0:3], s32 offset:316 ; 4-byte Folded Spill
	s_and_saveexec_b32 s17, s5
	s_cbranch_execz .LBB247_138
; %bb.133:                              ;   in Loop: Header=BB247_11 Depth=1
	v_bfe_u32 v2, v0, 24, 7
	v_mov_b32_e32 v6, v79
	s_mov_b32 s21, exec_lo
	buffer_store_dword v6, off, s[0:3], s32 offset:312 ; 4-byte Folded Spill
	buffer_store_dword v7, off, s[0:3], s32 offset:316 ; 4-byte Folded Spill
	v_cmpx_ne_u32_e32 0x7f, v2
	s_cbranch_execz .LBB247_137
; %bb.134:                              ;   in Loop: Header=BB247_11 Depth=1
	v_mov_b32_e32 v1, 7
	s_mov_b32 s22, exec_lo
	v_and_b32_sdwa v78, v0, v1 dst_sel:DWORD dst_unused:UNUSED_PAD src0_sel:BYTE_3 src1_sel:DWORD
	v_lshrrev_b32_e32 v1, 3, v2
	v_cmpx_gt_u32_e32 8, v2
; %bb.135:                              ;   in Loop: Header=BB247_11 Depth=1
	v_ffbh_u32_e32 v1, v78
	v_min_u32_e32 v1, 32, v1
	v_subrev_nc_u32_e32 v2, 28, v1
	v_sub_nc_u32_e32 v1, 29, v1
	v_lshlrev_b64 v[2:3], v2, v[78:79]
	v_and_b32_e32 v78, 7, v2
; %bb.136:                              ;   in Loop: Header=BB247_11 Depth=1
	s_or_b32 exec_lo, exec_lo, s22
	v_mov_b32_e32 v2, 24
	v_lshl_add_u32 v1, v1, 23, 0x3c000000
	v_lshlrev_b32_sdwa v0, v2, v0 dst_sel:DWORD dst_unused:UNUSED_PAD src0_sel:DWORD src1_sel:BYTE_3
	v_lshlrev_b32_e32 v2, 20, v78
	v_and_b32_e32 v0, 0x80000000, v0
	v_or3_b32 v1, v2, v0, v1
	v_mov_b32_e32 v0, v79
	buffer_store_dword v0, off, s[0:3], s32 offset:312 ; 4-byte Folded Spill
	buffer_store_dword v1, off, s[0:3], s32 offset:316 ; 4-byte Folded Spill
.LBB247_137:                            ;   in Loop: Header=BB247_11 Depth=1
	s_or_b32 exec_lo, exec_lo, s21
.LBB247_138:                            ;   in Loop: Header=BB247_11 Depth=1
	s_or_b32 exec_lo, exec_lo, s17
.LBB247_139:                            ;   in Loop: Header=BB247_11 Depth=1
	s_or_b32 exec_lo, exec_lo, s13
	flat_load_dword v0, v[18:19] offset:512
	v_mov_b32_e32 v1, 0
	v_mov_b32_e32 v2, 0
	buffer_store_dword v1, off, s[0:3], s32 offset:336 ; 4-byte Folded Spill
	buffer_store_dword v2, off, s[0:3], s32 offset:340 ; 4-byte Folded Spill
	v_mov_b32_e32 v1, 0
	v_mov_b32_e32 v2, 0
	buffer_store_dword v1, off, s[0:3], s32 offset:328 ; 4-byte Folded Spill
	buffer_store_dword v2, off, s[0:3], s32 offset:332 ; 4-byte Folded Spill
	s_waitcnt vmcnt(0) lgkmcnt(0)
	v_cmp_ne_u16_sdwa s5, v0, v79 src0_sel:BYTE_0 src1_sel:DWORD
	s_and_saveexec_b32 s13, s5
	s_cbranch_execz .LBB247_147
; %bb.140:                              ;   in Loop: Header=BB247_11 Depth=1
	v_bfrev_b32_e32 v1, 1
	v_mov_b32_e32 v2, 0
	v_cmp_ne_u16_sdwa s5, v0, v30 src0_sel:BYTE_0 src1_sel:DWORD
	buffer_store_dword v1, off, s[0:3], s32 offset:328 ; 4-byte Folded Spill
	buffer_store_dword v2, off, s[0:3], s32 offset:332 ; 4-byte Folded Spill
	s_and_saveexec_b32 s17, s5
	s_cbranch_execz .LBB247_146
; %bb.141:                              ;   in Loop: Header=BB247_11 Depth=1
	v_mov_b32_e32 v3, 0x7f800001
	v_and_b32_e32 v2, 0x7f, v0
	v_mov_b32_e32 v4, 0
	s_mov_b32 s21, exec_lo
	buffer_store_dword v3, off, s[0:3], s32 offset:328 ; 4-byte Folded Spill
	buffer_store_dword v4, off, s[0:3], s32 offset:332 ; 4-byte Folded Spill
	v_cmpx_ne_u32_e32 0x7f, v2
	s_cbranch_execz .LBB247_145
; %bb.142:                              ;   in Loop: Header=BB247_11 Depth=1
	v_and_b32_e32 v78, 7, v0
	v_lshrrev_b32_e32 v1, 3, v2
	s_mov_b32 s22, exec_lo
	v_cmpx_gt_u32_e32 8, v2
; %bb.143:                              ;   in Loop: Header=BB247_11 Depth=1
	v_ffbh_u32_e32 v1, v78
	v_min_u32_e32 v1, 32, v1
	v_subrev_nc_u32_e32 v2, 28, v1
	v_sub_nc_u32_e32 v1, 29, v1
	v_lshlrev_b64 v[2:3], v2, v[78:79]
	v_and_b32_e32 v78, 7, v2
; %bb.144:                              ;   in Loop: Header=BB247_11 Depth=1
	s_or_b32 exec_lo, exec_lo, s22
	v_lshlrev_b32_e32 v2, 24, v0
	v_lshlrev_b32_e32 v3, 20, v78
	v_lshl_add_u32 v1, v1, 23, 0x3c000000
	v_and_b32_e32 v2, 0x80000000, v2
	v_or3_b32 v78, v3, v2, v1
	buffer_store_dword v78, off, s[0:3], s32 offset:328 ; 4-byte Folded Spill
	buffer_store_dword v79, off, s[0:3], s32 offset:332 ; 4-byte Folded Spill
.LBB247_145:                            ;   in Loop: Header=BB247_11 Depth=1
	s_or_b32 exec_lo, exec_lo, s21
.LBB247_146:                            ;   in Loop: Header=BB247_11 Depth=1
	s_or_b32 exec_lo, exec_lo, s17
.LBB247_147:                            ;   in Loop: Header=BB247_11 Depth=1
	s_or_b32 exec_lo, exec_lo, s13
	v_cmp_ne_u16_sdwa s5, v0, v79 src0_sel:BYTE_1 src1_sel:DWORD
	s_and_saveexec_b32 s13, s5
	s_cbranch_execz .LBB247_155
; %bb.148:                              ;   in Loop: Header=BB247_11 Depth=1
	v_mov_b32_e32 v8, v79
	v_cmp_ne_u16_sdwa s5, v0, v30 src0_sel:BYTE_1 src1_sel:DWORD
	buffer_store_dword v8, off, s[0:3], s32 offset:336 ; 4-byte Folded Spill
	buffer_store_dword v9, off, s[0:3], s32 offset:340 ; 4-byte Folded Spill
	s_and_saveexec_b32 s17, s5
	s_cbranch_execz .LBB247_154
; %bb.149:                              ;   in Loop: Header=BB247_11 Depth=1
	v_mov_b32_e32 v1, 0xffff
	v_mov_b32_e32 v6, v79
	s_mov_b32 s21, exec_lo
	buffer_store_dword v6, off, s[0:3], s32 offset:336 ; 4-byte Folded Spill
	buffer_store_dword v7, off, s[0:3], s32 offset:340 ; 4-byte Folded Spill
	v_and_b32_sdwa v1, v1, v0 dst_sel:DWORD dst_unused:UNUSED_PAD src0_sel:DWORD src1_sel:BYTE_1
	v_and_b32_e32 v2, 0x7f, v1
	v_cmpx_ne_u32_e32 0x7f, v2
	s_cbranch_execz .LBB247_153
; %bb.150:                              ;   in Loop: Header=BB247_11 Depth=1
	v_and_b32_e32 v78, 7, v1
	v_lshrrev_b32_e32 v1, 3, v2
	s_mov_b32 s22, exec_lo
	v_cmpx_gt_u32_e32 8, v2
; %bb.151:                              ;   in Loop: Header=BB247_11 Depth=1
	v_ffbh_u32_e32 v1, v78
	v_min_u32_e32 v1, 32, v1
	v_subrev_nc_u32_e32 v2, 28, v1
	v_sub_nc_u32_e32 v1, 29, v1
	v_lshlrev_b64 v[2:3], v2, v[78:79]
	v_and_b32_e32 v78, 7, v2
; %bb.152:                              ;   in Loop: Header=BB247_11 Depth=1
	s_or_b32 exec_lo, exec_lo, s22
	v_lshlrev_b32_e32 v2, 16, v0
	v_lshlrev_b32_e32 v3, 20, v78
	v_lshl_add_u32 v1, v1, 23, 0x3c000000
	v_and_b32_e32 v2, 0x80000000, v2
	v_or3_b32 v2, v3, v2, v1
	v_mov_b32_e32 v1, v79
	buffer_store_dword v1, off, s[0:3], s32 offset:336 ; 4-byte Folded Spill
	buffer_store_dword v2, off, s[0:3], s32 offset:340 ; 4-byte Folded Spill
.LBB247_153:                            ;   in Loop: Header=BB247_11 Depth=1
	s_or_b32 exec_lo, exec_lo, s21
.LBB247_154:                            ;   in Loop: Header=BB247_11 Depth=1
	s_or_b32 exec_lo, exec_lo, s17
.LBB247_155:                            ;   in Loop: Header=BB247_11 Depth=1
	s_or_b32 exec_lo, exec_lo, s13
	v_mov_b32_e32 v2, 0
	v_mov_b32_e32 v3, 0
	v_and_b32_sdwa v1, v0, v31 dst_sel:DWORD dst_unused:UNUSED_PAD src0_sel:WORD_1 src1_sel:DWORD
	s_mov_b32 s13, exec_lo
	buffer_store_dword v2, off, s[0:3], s32 offset:344 ; 4-byte Folded Spill
	buffer_store_dword v3, off, s[0:3], s32 offset:348 ; 4-byte Folded Spill
	v_mov_b32_e32 v2, 0
	v_mov_b32_e32 v3, 0
	buffer_store_dword v2, off, s[0:3], s32 offset:352 ; 4-byte Folded Spill
	buffer_store_dword v3, off, s[0:3], s32 offset:356 ; 4-byte Folded Spill
	v_cmpx_ne_u16_e32 0, v1
	s_cbranch_execz .LBB247_163
; %bb.156:                              ;   in Loop: Header=BB247_11 Depth=1
	v_cmp_ne_u16_e64 s5, 0x80, v1
	v_bfrev_b32_e32 v1, 1
	v_mov_b32_e32 v2, 0
	buffer_store_dword v1, off, s[0:3], s32 offset:352 ; 4-byte Folded Spill
	buffer_store_dword v2, off, s[0:3], s32 offset:356 ; 4-byte Folded Spill
	s_and_saveexec_b32 s17, s5
	s_cbranch_execz .LBB247_162
; %bb.157:                              ;   in Loop: Header=BB247_11 Depth=1
	v_mov_b32_e32 v3, 0x7f800001
	v_bfe_u32 v2, v0, 16, 7
	v_mov_b32_e32 v4, 0
	s_mov_b32 s21, exec_lo
	buffer_store_dword v3, off, s[0:3], s32 offset:352 ; 4-byte Folded Spill
	buffer_store_dword v4, off, s[0:3], s32 offset:356 ; 4-byte Folded Spill
	v_cmpx_ne_u32_e32 0x7f, v2
	s_cbranch_execz .LBB247_161
; %bb.158:                              ;   in Loop: Header=BB247_11 Depth=1
	v_mov_b32_e32 v1, 7
	s_mov_b32 s22, exec_lo
	v_and_b32_sdwa v78, v0, v1 dst_sel:DWORD dst_unused:UNUSED_PAD src0_sel:WORD_1 src1_sel:DWORD
	v_lshrrev_b32_e32 v1, 3, v2
	v_cmpx_gt_u32_e32 8, v2
; %bb.159:                              ;   in Loop: Header=BB247_11 Depth=1
	v_ffbh_u32_e32 v1, v78
	v_min_u32_e32 v1, 32, v1
	v_subrev_nc_u32_e32 v2, 28, v1
	v_sub_nc_u32_e32 v1, 29, v1
	v_lshlrev_b64 v[2:3], v2, v[78:79]
	v_and_b32_e32 v78, 7, v2
; %bb.160:                              ;   in Loop: Header=BB247_11 Depth=1
	s_or_b32 exec_lo, exec_lo, s22
	v_mov_b32_e32 v2, 24
	v_lshlrev_b32_e32 v3, 20, v78
	v_lshl_add_u32 v1, v1, 23, 0x3c000000
	v_lshlrev_b32_sdwa v2, v2, v0 dst_sel:DWORD dst_unused:UNUSED_PAD src0_sel:DWORD src1_sel:WORD_1
	v_and_b32_e32 v2, 0x80000000, v2
	v_or3_b32 v78, v3, v2, v1
	buffer_store_dword v78, off, s[0:3], s32 offset:352 ; 4-byte Folded Spill
	buffer_store_dword v79, off, s[0:3], s32 offset:356 ; 4-byte Folded Spill
.LBB247_161:                            ;   in Loop: Header=BB247_11 Depth=1
	s_or_b32 exec_lo, exec_lo, s21
.LBB247_162:                            ;   in Loop: Header=BB247_11 Depth=1
	s_or_b32 exec_lo, exec_lo, s17
.LBB247_163:                            ;   in Loop: Header=BB247_11 Depth=1
	s_or_b32 exec_lo, exec_lo, s13
	s_mov_b32 s13, exec_lo
	v_cmpx_lt_u32_e32 0xffffff, v0
	s_cbranch_execz .LBB247_171
; %bb.164:                              ;   in Loop: Header=BB247_11 Depth=1
	v_mov_b32_e32 v8, v79
	v_cmp_ne_u32_sdwa s5, v0, v30 src0_sel:BYTE_3 src1_sel:DWORD
	buffer_store_dword v8, off, s[0:3], s32 offset:344 ; 4-byte Folded Spill
	buffer_store_dword v9, off, s[0:3], s32 offset:348 ; 4-byte Folded Spill
	s_and_saveexec_b32 s17, s5
	s_cbranch_execz .LBB247_170
; %bb.165:                              ;   in Loop: Header=BB247_11 Depth=1
	v_bfe_u32 v2, v0, 24, 7
	v_mov_b32_e32 v6, v79
	s_mov_b32 s21, exec_lo
	buffer_store_dword v6, off, s[0:3], s32 offset:344 ; 4-byte Folded Spill
	buffer_store_dword v7, off, s[0:3], s32 offset:348 ; 4-byte Folded Spill
	v_cmpx_ne_u32_e32 0x7f, v2
	s_cbranch_execz .LBB247_169
; %bb.166:                              ;   in Loop: Header=BB247_11 Depth=1
	v_mov_b32_e32 v1, 7
	s_mov_b32 s22, exec_lo
	v_and_b32_sdwa v78, v0, v1 dst_sel:DWORD dst_unused:UNUSED_PAD src0_sel:BYTE_3 src1_sel:DWORD
	v_lshrrev_b32_e32 v1, 3, v2
	v_cmpx_gt_u32_e32 8, v2
; %bb.167:                              ;   in Loop: Header=BB247_11 Depth=1
	v_ffbh_u32_e32 v1, v78
	v_min_u32_e32 v1, 32, v1
	v_subrev_nc_u32_e32 v2, 28, v1
	v_sub_nc_u32_e32 v1, 29, v1
	v_lshlrev_b64 v[2:3], v2, v[78:79]
	v_and_b32_e32 v78, 7, v2
; %bb.168:                              ;   in Loop: Header=BB247_11 Depth=1
	s_or_b32 exec_lo, exec_lo, s22
	v_mov_b32_e32 v2, 24
	v_lshl_add_u32 v1, v1, 23, 0x3c000000
	v_lshlrev_b32_sdwa v0, v2, v0 dst_sel:DWORD dst_unused:UNUSED_PAD src0_sel:DWORD src1_sel:BYTE_3
	v_lshlrev_b32_e32 v2, 20, v78
	v_and_b32_e32 v0, 0x80000000, v0
	v_or3_b32 v1, v2, v0, v1
	v_mov_b32_e32 v0, v79
	buffer_store_dword v0, off, s[0:3], s32 offset:344 ; 4-byte Folded Spill
	buffer_store_dword v1, off, s[0:3], s32 offset:348 ; 4-byte Folded Spill
.LBB247_169:                            ;   in Loop: Header=BB247_11 Depth=1
	s_or_b32 exec_lo, exec_lo, s21
.LBB247_170:                            ;   in Loop: Header=BB247_11 Depth=1
	s_or_b32 exec_lo, exec_lo, s17
.LBB247_171:                            ;   in Loop: Header=BB247_11 Depth=1
	s_or_b32 exec_lo, exec_lo, s13
	flat_load_dword v0, v[18:19] offset:516
	v_mov_b32_e32 v1, 0
	v_mov_b32_e32 v2, 0
	buffer_store_dword v1, off, s[0:3], s32 offset:368 ; 4-byte Folded Spill
	buffer_store_dword v2, off, s[0:3], s32 offset:372 ; 4-byte Folded Spill
	v_mov_b32_e32 v1, 0
	v_mov_b32_e32 v2, 0
	buffer_store_dword v1, off, s[0:3], s32 offset:360 ; 4-byte Folded Spill
	buffer_store_dword v2, off, s[0:3], s32 offset:364 ; 4-byte Folded Spill
	s_waitcnt vmcnt(0) lgkmcnt(0)
	v_cmp_ne_u16_sdwa s5, v0, v79 src0_sel:BYTE_0 src1_sel:DWORD
	s_and_saveexec_b32 s13, s5
	s_cbranch_execz .LBB247_179
; %bb.172:                              ;   in Loop: Header=BB247_11 Depth=1
	v_bfrev_b32_e32 v1, 1
	v_mov_b32_e32 v2, 0
	v_cmp_ne_u16_sdwa s5, v0, v30 src0_sel:BYTE_0 src1_sel:DWORD
	buffer_store_dword v1, off, s[0:3], s32 offset:360 ; 4-byte Folded Spill
	buffer_store_dword v2, off, s[0:3], s32 offset:364 ; 4-byte Folded Spill
	s_and_saveexec_b32 s17, s5
	s_cbranch_execz .LBB247_178
; %bb.173:                              ;   in Loop: Header=BB247_11 Depth=1
	v_mov_b32_e32 v3, 0x7f800001
	v_and_b32_e32 v2, 0x7f, v0
	v_mov_b32_e32 v4, 0
	s_mov_b32 s21, exec_lo
	buffer_store_dword v3, off, s[0:3], s32 offset:360 ; 4-byte Folded Spill
	buffer_store_dword v4, off, s[0:3], s32 offset:364 ; 4-byte Folded Spill
	v_cmpx_ne_u32_e32 0x7f, v2
	s_cbranch_execz .LBB247_177
; %bb.174:                              ;   in Loop: Header=BB247_11 Depth=1
	v_and_b32_e32 v78, 7, v0
	v_lshrrev_b32_e32 v1, 3, v2
	s_mov_b32 s22, exec_lo
	v_cmpx_gt_u32_e32 8, v2
; %bb.175:                              ;   in Loop: Header=BB247_11 Depth=1
	v_ffbh_u32_e32 v1, v78
	v_min_u32_e32 v1, 32, v1
	v_subrev_nc_u32_e32 v2, 28, v1
	v_sub_nc_u32_e32 v1, 29, v1
	v_lshlrev_b64 v[2:3], v2, v[78:79]
	v_and_b32_e32 v78, 7, v2
; %bb.176:                              ;   in Loop: Header=BB247_11 Depth=1
	s_or_b32 exec_lo, exec_lo, s22
	v_lshlrev_b32_e32 v2, 24, v0
	v_lshlrev_b32_e32 v3, 20, v78
	v_lshl_add_u32 v1, v1, 23, 0x3c000000
	v_and_b32_e32 v2, 0x80000000, v2
	v_or3_b32 v78, v3, v2, v1
	buffer_store_dword v78, off, s[0:3], s32 offset:360 ; 4-byte Folded Spill
	buffer_store_dword v79, off, s[0:3], s32 offset:364 ; 4-byte Folded Spill
.LBB247_177:                            ;   in Loop: Header=BB247_11 Depth=1
	s_or_b32 exec_lo, exec_lo, s21
.LBB247_178:                            ;   in Loop: Header=BB247_11 Depth=1
	s_or_b32 exec_lo, exec_lo, s17
.LBB247_179:                            ;   in Loop: Header=BB247_11 Depth=1
	s_or_b32 exec_lo, exec_lo, s13
	v_cmp_ne_u16_sdwa s5, v0, v79 src0_sel:BYTE_1 src1_sel:DWORD
	s_and_saveexec_b32 s13, s5
	s_cbranch_execz .LBB247_187
; %bb.180:                              ;   in Loop: Header=BB247_11 Depth=1
	v_mov_b32_e32 v8, v79
	v_cmp_ne_u16_sdwa s5, v0, v30 src0_sel:BYTE_1 src1_sel:DWORD
	buffer_store_dword v8, off, s[0:3], s32 offset:368 ; 4-byte Folded Spill
	buffer_store_dword v9, off, s[0:3], s32 offset:372 ; 4-byte Folded Spill
	s_and_saveexec_b32 s17, s5
	s_cbranch_execz .LBB247_186
; %bb.181:                              ;   in Loop: Header=BB247_11 Depth=1
	v_mov_b32_e32 v1, 0xffff
	v_mov_b32_e32 v6, v79
	s_mov_b32 s21, exec_lo
	buffer_store_dword v6, off, s[0:3], s32 offset:368 ; 4-byte Folded Spill
	buffer_store_dword v7, off, s[0:3], s32 offset:372 ; 4-byte Folded Spill
	v_and_b32_sdwa v1, v1, v0 dst_sel:DWORD dst_unused:UNUSED_PAD src0_sel:DWORD src1_sel:BYTE_1
	v_and_b32_e32 v2, 0x7f, v1
	v_cmpx_ne_u32_e32 0x7f, v2
	s_cbranch_execz .LBB247_185
; %bb.182:                              ;   in Loop: Header=BB247_11 Depth=1
	v_and_b32_e32 v78, 7, v1
	v_lshrrev_b32_e32 v1, 3, v2
	s_mov_b32 s22, exec_lo
	v_cmpx_gt_u32_e32 8, v2
; %bb.183:                              ;   in Loop: Header=BB247_11 Depth=1
	v_ffbh_u32_e32 v1, v78
	v_min_u32_e32 v1, 32, v1
	v_subrev_nc_u32_e32 v2, 28, v1
	v_sub_nc_u32_e32 v1, 29, v1
	v_lshlrev_b64 v[2:3], v2, v[78:79]
	v_and_b32_e32 v78, 7, v2
; %bb.184:                              ;   in Loop: Header=BB247_11 Depth=1
	s_or_b32 exec_lo, exec_lo, s22
	v_lshlrev_b32_e32 v2, 16, v0
	v_lshlrev_b32_e32 v3, 20, v78
	v_lshl_add_u32 v1, v1, 23, 0x3c000000
	v_and_b32_e32 v2, 0x80000000, v2
	v_or3_b32 v2, v3, v2, v1
	v_mov_b32_e32 v1, v79
	buffer_store_dword v1, off, s[0:3], s32 offset:368 ; 4-byte Folded Spill
	buffer_store_dword v2, off, s[0:3], s32 offset:372 ; 4-byte Folded Spill
.LBB247_185:                            ;   in Loop: Header=BB247_11 Depth=1
	s_or_b32 exec_lo, exec_lo, s21
.LBB247_186:                            ;   in Loop: Header=BB247_11 Depth=1
	s_or_b32 exec_lo, exec_lo, s17
.LBB247_187:                            ;   in Loop: Header=BB247_11 Depth=1
	s_or_b32 exec_lo, exec_lo, s13
	v_mov_b32_e32 v2, 0
	v_mov_b32_e32 v3, 0
	v_and_b32_sdwa v1, v0, v31 dst_sel:DWORD dst_unused:UNUSED_PAD src0_sel:WORD_1 src1_sel:DWORD
	s_mov_b32 s13, exec_lo
	buffer_store_dword v2, off, s[0:3], s32 offset:376 ; 4-byte Folded Spill
	buffer_store_dword v3, off, s[0:3], s32 offset:380 ; 4-byte Folded Spill
	v_mov_b32_e32 v2, 0
	v_mov_b32_e32 v3, 0
	buffer_store_dword v2, off, s[0:3], s32 offset:384 ; 4-byte Folded Spill
	buffer_store_dword v3, off, s[0:3], s32 offset:388 ; 4-byte Folded Spill
	v_cmpx_ne_u16_e32 0, v1
	s_cbranch_execz .LBB247_195
; %bb.188:                              ;   in Loop: Header=BB247_11 Depth=1
	v_cmp_ne_u16_e64 s5, 0x80, v1
	v_bfrev_b32_e32 v1, 1
	v_mov_b32_e32 v2, 0
	buffer_store_dword v1, off, s[0:3], s32 offset:384 ; 4-byte Folded Spill
	buffer_store_dword v2, off, s[0:3], s32 offset:388 ; 4-byte Folded Spill
	s_and_saveexec_b32 s17, s5
	s_cbranch_execz .LBB247_194
; %bb.189:                              ;   in Loop: Header=BB247_11 Depth=1
	v_mov_b32_e32 v3, 0x7f800001
	v_bfe_u32 v2, v0, 16, 7
	v_mov_b32_e32 v4, 0
	s_mov_b32 s21, exec_lo
	buffer_store_dword v3, off, s[0:3], s32 offset:384 ; 4-byte Folded Spill
	buffer_store_dword v4, off, s[0:3], s32 offset:388 ; 4-byte Folded Spill
	v_cmpx_ne_u32_e32 0x7f, v2
	s_cbranch_execz .LBB247_193
; %bb.190:                              ;   in Loop: Header=BB247_11 Depth=1
	v_mov_b32_e32 v1, 7
	s_mov_b32 s22, exec_lo
	v_and_b32_sdwa v78, v0, v1 dst_sel:DWORD dst_unused:UNUSED_PAD src0_sel:WORD_1 src1_sel:DWORD
	v_lshrrev_b32_e32 v1, 3, v2
	v_cmpx_gt_u32_e32 8, v2
; %bb.191:                              ;   in Loop: Header=BB247_11 Depth=1
	v_ffbh_u32_e32 v1, v78
	v_min_u32_e32 v1, 32, v1
	v_subrev_nc_u32_e32 v2, 28, v1
	v_sub_nc_u32_e32 v1, 29, v1
	v_lshlrev_b64 v[2:3], v2, v[78:79]
	v_and_b32_e32 v78, 7, v2
; %bb.192:                              ;   in Loop: Header=BB247_11 Depth=1
	s_or_b32 exec_lo, exec_lo, s22
	v_mov_b32_e32 v2, 24
	v_lshlrev_b32_e32 v3, 20, v78
	v_lshl_add_u32 v1, v1, 23, 0x3c000000
	v_lshlrev_b32_sdwa v2, v2, v0 dst_sel:DWORD dst_unused:UNUSED_PAD src0_sel:DWORD src1_sel:WORD_1
	v_and_b32_e32 v2, 0x80000000, v2
	v_or3_b32 v78, v3, v2, v1
	buffer_store_dword v78, off, s[0:3], s32 offset:384 ; 4-byte Folded Spill
	buffer_store_dword v79, off, s[0:3], s32 offset:388 ; 4-byte Folded Spill
.LBB247_193:                            ;   in Loop: Header=BB247_11 Depth=1
	s_or_b32 exec_lo, exec_lo, s21
.LBB247_194:                            ;   in Loop: Header=BB247_11 Depth=1
	s_or_b32 exec_lo, exec_lo, s17
.LBB247_195:                            ;   in Loop: Header=BB247_11 Depth=1
	s_or_b32 exec_lo, exec_lo, s13
	s_mov_b32 s13, exec_lo
	v_cmpx_lt_u32_e32 0xffffff, v0
	s_cbranch_execz .LBB247_203
; %bb.196:                              ;   in Loop: Header=BB247_11 Depth=1
	v_mov_b32_e32 v8, v79
	v_cmp_ne_u32_sdwa s5, v0, v30 src0_sel:BYTE_3 src1_sel:DWORD
	buffer_store_dword v8, off, s[0:3], s32 offset:376 ; 4-byte Folded Spill
	buffer_store_dword v9, off, s[0:3], s32 offset:380 ; 4-byte Folded Spill
	s_and_saveexec_b32 s17, s5
	s_cbranch_execz .LBB247_202
; %bb.197:                              ;   in Loop: Header=BB247_11 Depth=1
	v_bfe_u32 v2, v0, 24, 7
	v_mov_b32_e32 v6, v79
	s_mov_b32 s21, exec_lo
	buffer_store_dword v6, off, s[0:3], s32 offset:376 ; 4-byte Folded Spill
	buffer_store_dword v7, off, s[0:3], s32 offset:380 ; 4-byte Folded Spill
	v_cmpx_ne_u32_e32 0x7f, v2
	s_cbranch_execz .LBB247_201
; %bb.198:                              ;   in Loop: Header=BB247_11 Depth=1
	v_mov_b32_e32 v1, 7
	s_mov_b32 s22, exec_lo
	v_and_b32_sdwa v78, v0, v1 dst_sel:DWORD dst_unused:UNUSED_PAD src0_sel:BYTE_3 src1_sel:DWORD
	v_lshrrev_b32_e32 v1, 3, v2
	v_cmpx_gt_u32_e32 8, v2
; %bb.199:                              ;   in Loop: Header=BB247_11 Depth=1
	v_ffbh_u32_e32 v1, v78
	v_min_u32_e32 v1, 32, v1
	v_subrev_nc_u32_e32 v2, 28, v1
	v_sub_nc_u32_e32 v1, 29, v1
	v_lshlrev_b64 v[2:3], v2, v[78:79]
	v_and_b32_e32 v78, 7, v2
; %bb.200:                              ;   in Loop: Header=BB247_11 Depth=1
	s_or_b32 exec_lo, exec_lo, s22
	v_mov_b32_e32 v2, 24
	v_lshl_add_u32 v1, v1, 23, 0x3c000000
	v_lshlrev_b32_sdwa v0, v2, v0 dst_sel:DWORD dst_unused:UNUSED_PAD src0_sel:DWORD src1_sel:BYTE_3
	v_lshlrev_b32_e32 v2, 20, v78
	v_and_b32_e32 v0, 0x80000000, v0
	v_or3_b32 v1, v2, v0, v1
	v_mov_b32_e32 v0, v79
	buffer_store_dword v0, off, s[0:3], s32 offset:376 ; 4-byte Folded Spill
	buffer_store_dword v1, off, s[0:3], s32 offset:380 ; 4-byte Folded Spill
.LBB247_201:                            ;   in Loop: Header=BB247_11 Depth=1
	s_or_b32 exec_lo, exec_lo, s21
.LBB247_202:                            ;   in Loop: Header=BB247_11 Depth=1
	s_or_b32 exec_lo, exec_lo, s17
.LBB247_203:                            ;   in Loop: Header=BB247_11 Depth=1
	s_or_b32 exec_lo, exec_lo, s13
	flat_load_dword v0, v[18:19] offset:520
	v_mov_b32_e32 v38, 0
	v_mov_b32_e32 v1, 0
	;; [unrolled: 1-line block ×4, first 2 shown]
	buffer_store_dword v1, off, s[0:3], s32 offset:392 ; 4-byte Folded Spill
	buffer_store_dword v2, off, s[0:3], s32 offset:396 ; 4-byte Folded Spill
	s_waitcnt vmcnt(0) lgkmcnt(0)
	v_cmp_ne_u16_sdwa s5, v0, v79 src0_sel:BYTE_0 src1_sel:DWORD
	s_and_saveexec_b32 s13, s5
	s_cbranch_execz .LBB247_211
; %bb.204:                              ;   in Loop: Header=BB247_11 Depth=1
	v_bfrev_b32_e32 v1, 1
	v_mov_b32_e32 v2, 0
	v_cmp_ne_u16_sdwa s5, v0, v30 src0_sel:BYTE_0 src1_sel:DWORD
	buffer_store_dword v1, off, s[0:3], s32 offset:392 ; 4-byte Folded Spill
	buffer_store_dword v2, off, s[0:3], s32 offset:396 ; 4-byte Folded Spill
	s_and_saveexec_b32 s17, s5
	s_cbranch_execz .LBB247_210
; %bb.205:                              ;   in Loop: Header=BB247_11 Depth=1
	v_mov_b32_e32 v3, 0x7f800001
	v_and_b32_e32 v2, 0x7f, v0
	v_mov_b32_e32 v4, 0
	s_mov_b32 s21, exec_lo
	buffer_store_dword v3, off, s[0:3], s32 offset:392 ; 4-byte Folded Spill
	buffer_store_dword v4, off, s[0:3], s32 offset:396 ; 4-byte Folded Spill
	v_cmpx_ne_u32_e32 0x7f, v2
	s_cbranch_execz .LBB247_209
; %bb.206:                              ;   in Loop: Header=BB247_11 Depth=1
	v_and_b32_e32 v78, 7, v0
	v_lshrrev_b32_e32 v1, 3, v2
	s_mov_b32 s22, exec_lo
	v_cmpx_gt_u32_e32 8, v2
; %bb.207:                              ;   in Loop: Header=BB247_11 Depth=1
	v_ffbh_u32_e32 v1, v78
	v_min_u32_e32 v1, 32, v1
	v_subrev_nc_u32_e32 v2, 28, v1
	v_sub_nc_u32_e32 v1, 29, v1
	v_lshlrev_b64 v[2:3], v2, v[78:79]
	v_and_b32_e32 v78, 7, v2
; %bb.208:                              ;   in Loop: Header=BB247_11 Depth=1
	s_or_b32 exec_lo, exec_lo, s22
	v_lshlrev_b32_e32 v2, 24, v0
	v_lshlrev_b32_e32 v3, 20, v78
	v_lshl_add_u32 v1, v1, 23, 0x3c000000
	v_and_b32_e32 v2, 0x80000000, v2
	v_or3_b32 v78, v3, v2, v1
	buffer_store_dword v78, off, s[0:3], s32 offset:392 ; 4-byte Folded Spill
	buffer_store_dword v79, off, s[0:3], s32 offset:396 ; 4-byte Folded Spill
.LBB247_209:                            ;   in Loop: Header=BB247_11 Depth=1
	s_or_b32 exec_lo, exec_lo, s21
.LBB247_210:                            ;   in Loop: Header=BB247_11 Depth=1
	s_or_b32 exec_lo, exec_lo, s17
.LBB247_211:                            ;   in Loop: Header=BB247_11 Depth=1
	s_or_b32 exec_lo, exec_lo, s13
	v_cmp_ne_u16_sdwa s5, v0, v79 src0_sel:BYTE_1 src1_sel:DWORD
	s_and_saveexec_b32 s13, s5
	s_cbranch_execz .LBB247_219
; %bb.212:                              ;   in Loop: Header=BB247_11 Depth=1
	v_mov_b32_e32 v8, v79
	v_mov_b32_e32 v39, v9
	v_cmp_ne_u16_sdwa s5, v0, v30 src0_sel:BYTE_1 src1_sel:DWORD
	v_mov_b32_e32 v38, v8
	s_and_saveexec_b32 s17, s5
	s_cbranch_execz .LBB247_218
; %bb.213:                              ;   in Loop: Header=BB247_11 Depth=1
	v_mov_b32_e32 v1, 0xffff
	v_mov_b32_e32 v6, v79
	;; [unrolled: 1-line block ×3, first 2 shown]
	s_mov_b32 s21, exec_lo
	v_and_b32_sdwa v1, v1, v0 dst_sel:DWORD dst_unused:UNUSED_PAD src0_sel:DWORD src1_sel:BYTE_1
	v_mov_b32_e32 v38, v6
	v_and_b32_e32 v2, 0x7f, v1
	v_cmpx_ne_u32_e32 0x7f, v2
	s_cbranch_execz .LBB247_217
; %bb.214:                              ;   in Loop: Header=BB247_11 Depth=1
	v_and_b32_e32 v78, 7, v1
	v_lshrrev_b32_e32 v1, 3, v2
	s_mov_b32 s22, exec_lo
	v_cmpx_gt_u32_e32 8, v2
; %bb.215:                              ;   in Loop: Header=BB247_11 Depth=1
	v_ffbh_u32_e32 v1, v78
	v_min_u32_e32 v1, 32, v1
	v_subrev_nc_u32_e32 v2, 28, v1
	v_sub_nc_u32_e32 v1, 29, v1
	v_lshlrev_b64 v[2:3], v2, v[78:79]
	v_and_b32_e32 v78, 7, v2
; %bb.216:                              ;   in Loop: Header=BB247_11 Depth=1
	s_or_b32 exec_lo, exec_lo, s22
	v_lshlrev_b32_e32 v2, 16, v0
	v_lshlrev_b32_e32 v3, 20, v78
	v_lshl_add_u32 v1, v1, 23, 0x3c000000
	v_mov_b32_e32 v38, v79
	v_and_b32_e32 v2, 0x80000000, v2
	v_or3_b32 v39, v3, v2, v1
.LBB247_217:                            ;   in Loop: Header=BB247_11 Depth=1
	s_or_b32 exec_lo, exec_lo, s21
.LBB247_218:                            ;   in Loop: Header=BB247_11 Depth=1
	s_or_b32 exec_lo, exec_lo, s17
.LBB247_219:                            ;   in Loop: Header=BB247_11 Depth=1
	s_or_b32 exec_lo, exec_lo, s13
	v_mov_b32_e32 v48, 0
	v_mov_b32_e32 v50, 0
	v_and_b32_sdwa v1, v0, v31 dst_sel:DWORD dst_unused:UNUSED_PAD src0_sel:WORD_1 src1_sel:DWORD
	v_mov_b32_e32 v49, 0
	v_mov_b32_e32 v51, 0
	s_mov_b32 s13, exec_lo
	v_cmpx_ne_u16_e32 0, v1
	s_cbranch_execz .LBB247_227
; %bb.220:                              ;   in Loop: Header=BB247_11 Depth=1
	v_bfrev_b32_e32 v50, 1
	v_mov_b32_e32 v51, 0
	s_mov_b32 s17, exec_lo
	v_cmpx_ne_u16_e32 0x80, v1
	s_cbranch_execz .LBB247_226
; %bb.221:                              ;   in Loop: Header=BB247_11 Depth=1
	v_mov_b32_e32 v50, 0x7f800001
	v_bfe_u32 v2, v0, 16, 7
	v_mov_b32_e32 v51, 0
	s_mov_b32 s21, exec_lo
	v_cmpx_ne_u32_e32 0x7f, v2
	s_cbranch_execz .LBB247_225
; %bb.222:                              ;   in Loop: Header=BB247_11 Depth=1
	v_mov_b32_e32 v1, 7
	s_mov_b32 s22, exec_lo
	v_and_b32_sdwa v78, v0, v1 dst_sel:DWORD dst_unused:UNUSED_PAD src0_sel:WORD_1 src1_sel:DWORD
	v_lshrrev_b32_e32 v1, 3, v2
	v_cmpx_gt_u32_e32 8, v2
; %bb.223:                              ;   in Loop: Header=BB247_11 Depth=1
	v_ffbh_u32_e32 v1, v78
	v_min_u32_e32 v1, 32, v1
	v_subrev_nc_u32_e32 v2, 28, v1
	v_sub_nc_u32_e32 v1, 29, v1
	v_lshlrev_b64 v[2:3], v2, v[78:79]
	v_and_b32_e32 v78, 7, v2
; %bb.224:                              ;   in Loop: Header=BB247_11 Depth=1
	s_or_b32 exec_lo, exec_lo, s22
	v_mov_b32_e32 v2, 24
	v_lshlrev_b32_e32 v3, 20, v78
	v_lshl_add_u32 v1, v1, 23, 0x3c000000
	v_lshlrev_b32_sdwa v2, v2, v0 dst_sel:DWORD dst_unused:UNUSED_PAD src0_sel:DWORD src1_sel:WORD_1
	v_and_b32_e32 v2, 0x80000000, v2
	v_or3_b32 v78, v3, v2, v1
	v_mov_b32_e32 v50, v78
	v_mov_b32_e32 v51, v79
.LBB247_225:                            ;   in Loop: Header=BB247_11 Depth=1
	s_or_b32 exec_lo, exec_lo, s21
.LBB247_226:                            ;   in Loop: Header=BB247_11 Depth=1
	s_or_b32 exec_lo, exec_lo, s17
.LBB247_227:                            ;   in Loop: Header=BB247_11 Depth=1
	s_or_b32 exec_lo, exec_lo, s13
	s_mov_b32 s13, exec_lo
	v_cmpx_lt_u32_e32 0xffffff, v0
	s_cbranch_execz .LBB247_235
; %bb.228:                              ;   in Loop: Header=BB247_11 Depth=1
	v_mov_b32_e32 v8, v79
	v_mov_b32_e32 v49, v9
	v_cmp_ne_u32_sdwa s5, v0, v30 src0_sel:BYTE_3 src1_sel:DWORD
	v_mov_b32_e32 v48, v8
	s_and_saveexec_b32 s17, s5
	s_cbranch_execz .LBB247_234
; %bb.229:                              ;   in Loop: Header=BB247_11 Depth=1
	v_mov_b32_e32 v6, v79
	v_mov_b32_e32 v49, v7
	v_bfe_u32 v2, v0, 24, 7
	s_mov_b32 s21, exec_lo
	v_mov_b32_e32 v48, v6
	v_cmpx_ne_u32_e32 0x7f, v2
	s_cbranch_execz .LBB247_233
; %bb.230:                              ;   in Loop: Header=BB247_11 Depth=1
	v_mov_b32_e32 v1, 7
	s_mov_b32 s22, exec_lo
	v_and_b32_sdwa v78, v0, v1 dst_sel:DWORD dst_unused:UNUSED_PAD src0_sel:BYTE_3 src1_sel:DWORD
	v_lshrrev_b32_e32 v1, 3, v2
	v_cmpx_gt_u32_e32 8, v2
; %bb.231:                              ;   in Loop: Header=BB247_11 Depth=1
	v_ffbh_u32_e32 v1, v78
	v_min_u32_e32 v1, 32, v1
	v_subrev_nc_u32_e32 v2, 28, v1
	v_sub_nc_u32_e32 v1, 29, v1
	v_lshlrev_b64 v[2:3], v2, v[78:79]
	v_and_b32_e32 v78, 7, v2
; %bb.232:                              ;   in Loop: Header=BB247_11 Depth=1
	s_or_b32 exec_lo, exec_lo, s22
	v_mov_b32_e32 v2, 24
	v_lshl_add_u32 v1, v1, 23, 0x3c000000
	v_mov_b32_e32 v48, v79
	v_lshlrev_b32_sdwa v0, v2, v0 dst_sel:DWORD dst_unused:UNUSED_PAD src0_sel:DWORD src1_sel:BYTE_3
	v_lshlrev_b32_e32 v2, 20, v78
	v_and_b32_e32 v0, 0x80000000, v0
	v_or3_b32 v49, v2, v0, v1
.LBB247_233:                            ;   in Loop: Header=BB247_11 Depth=1
	s_or_b32 exec_lo, exec_lo, s21
.LBB247_234:                            ;   in Loop: Header=BB247_11 Depth=1
	s_or_b32 exec_lo, exec_lo, s17
.LBB247_235:                            ;   in Loop: Header=BB247_11 Depth=1
	s_or_b32 exec_lo, exec_lo, s13
	flat_load_dword v0, v[18:19] offset:524
	v_mov_b32_e32 v24, 0
	v_mov_b32_e32 v20, 0
	;; [unrolled: 1-line block ×4, first 2 shown]
	s_waitcnt vmcnt(0) lgkmcnt(0)
	v_cmp_ne_u16_sdwa s5, v0, v79 src0_sel:BYTE_0 src1_sel:DWORD
	s_and_saveexec_b32 s13, s5
	s_cbranch_execz .LBB247_243
; %bb.236:                              ;   in Loop: Header=BB247_11 Depth=1
	v_bfrev_b32_e32 v20, 1
	v_mov_b32_e32 v21, 0
	v_cmp_ne_u16_sdwa s5, v0, v30 src0_sel:BYTE_0 src1_sel:DWORD
	s_and_saveexec_b32 s17, s5
	s_cbranch_execz .LBB247_242
; %bb.237:                              ;   in Loop: Header=BB247_11 Depth=1
	v_mov_b32_e32 v20, 0x7f800001
	v_and_b32_e32 v2, 0x7f, v0
	v_mov_b32_e32 v21, 0
	s_mov_b32 s21, exec_lo
	v_cmpx_ne_u32_e32 0x7f, v2
	s_cbranch_execz .LBB247_241
; %bb.238:                              ;   in Loop: Header=BB247_11 Depth=1
	v_and_b32_e32 v78, 7, v0
	v_lshrrev_b32_e32 v1, 3, v2
	s_mov_b32 s22, exec_lo
	v_cmpx_gt_u32_e32 8, v2
; %bb.239:                              ;   in Loop: Header=BB247_11 Depth=1
	v_ffbh_u32_e32 v1, v78
	v_min_u32_e32 v1, 32, v1
	v_subrev_nc_u32_e32 v2, 28, v1
	v_sub_nc_u32_e32 v1, 29, v1
	v_lshlrev_b64 v[2:3], v2, v[78:79]
	v_and_b32_e32 v78, 7, v2
; %bb.240:                              ;   in Loop: Header=BB247_11 Depth=1
	s_or_b32 exec_lo, exec_lo, s22
	v_lshlrev_b32_e32 v2, 24, v0
	v_lshlrev_b32_e32 v3, 20, v78
	v_lshl_add_u32 v1, v1, 23, 0x3c000000
	v_and_b32_e32 v2, 0x80000000, v2
	v_or3_b32 v78, v3, v2, v1
	v_mov_b32_e32 v20, v78
	v_mov_b32_e32 v21, v79
.LBB247_241:                            ;   in Loop: Header=BB247_11 Depth=1
	s_or_b32 exec_lo, exec_lo, s21
.LBB247_242:                            ;   in Loop: Header=BB247_11 Depth=1
	s_or_b32 exec_lo, exec_lo, s17
.LBB247_243:                            ;   in Loop: Header=BB247_11 Depth=1
	s_or_b32 exec_lo, exec_lo, s13
	v_cmp_ne_u16_sdwa s5, v0, v79 src0_sel:BYTE_1 src1_sel:DWORD
	s_and_saveexec_b32 s13, s5
	s_cbranch_execz .LBB247_251
; %bb.244:                              ;   in Loop: Header=BB247_11 Depth=1
	v_mov_b32_e32 v8, v79
	v_mov_b32_e32 v25, v9
	v_cmp_ne_u16_sdwa s5, v0, v30 src0_sel:BYTE_1 src1_sel:DWORD
	v_mov_b32_e32 v24, v8
	s_and_saveexec_b32 s17, s5
	s_cbranch_execz .LBB247_250
; %bb.245:                              ;   in Loop: Header=BB247_11 Depth=1
	v_mov_b32_e32 v1, 0xffff
	v_mov_b32_e32 v6, v79
	;; [unrolled: 1-line block ×3, first 2 shown]
	s_mov_b32 s21, exec_lo
	v_and_b32_sdwa v1, v1, v0 dst_sel:DWORD dst_unused:UNUSED_PAD src0_sel:DWORD src1_sel:BYTE_1
	v_mov_b32_e32 v24, v6
	v_and_b32_e32 v2, 0x7f, v1
	v_cmpx_ne_u32_e32 0x7f, v2
	s_cbranch_execz .LBB247_249
; %bb.246:                              ;   in Loop: Header=BB247_11 Depth=1
	v_and_b32_e32 v78, 7, v1
	v_lshrrev_b32_e32 v1, 3, v2
	s_mov_b32 s22, exec_lo
	v_cmpx_gt_u32_e32 8, v2
; %bb.247:                              ;   in Loop: Header=BB247_11 Depth=1
	v_ffbh_u32_e32 v1, v78
	v_min_u32_e32 v1, 32, v1
	v_subrev_nc_u32_e32 v2, 28, v1
	v_sub_nc_u32_e32 v1, 29, v1
	v_lshlrev_b64 v[2:3], v2, v[78:79]
	v_and_b32_e32 v78, 7, v2
; %bb.248:                              ;   in Loop: Header=BB247_11 Depth=1
	s_or_b32 exec_lo, exec_lo, s22
	v_lshlrev_b32_e32 v2, 16, v0
	v_lshlrev_b32_e32 v3, 20, v78
	v_lshl_add_u32 v1, v1, 23, 0x3c000000
	v_mov_b32_e32 v24, v79
	v_and_b32_e32 v2, 0x80000000, v2
	v_or3_b32 v25, v3, v2, v1
.LBB247_249:                            ;   in Loop: Header=BB247_11 Depth=1
	s_or_b32 exec_lo, exec_lo, s21
.LBB247_250:                            ;   in Loop: Header=BB247_11 Depth=1
	s_or_b32 exec_lo, exec_lo, s17
.LBB247_251:                            ;   in Loop: Header=BB247_11 Depth=1
	s_or_b32 exec_lo, exec_lo, s13
	v_mov_b32_e32 v52, 0
	v_mov_b32_e32 v54, 0
	v_and_b32_sdwa v1, v0, v31 dst_sel:DWORD dst_unused:UNUSED_PAD src0_sel:WORD_1 src1_sel:DWORD
	v_mov_b32_e32 v53, 0
	v_mov_b32_e32 v55, 0
	s_mov_b32 s13, exec_lo
	v_cmpx_ne_u16_e32 0, v1
	s_cbranch_execz .LBB247_259
; %bb.252:                              ;   in Loop: Header=BB247_11 Depth=1
	v_bfrev_b32_e32 v54, 1
	v_mov_b32_e32 v55, 0
	s_mov_b32 s17, exec_lo
	v_cmpx_ne_u16_e32 0x80, v1
	s_cbranch_execz .LBB247_258
; %bb.253:                              ;   in Loop: Header=BB247_11 Depth=1
	v_mov_b32_e32 v54, 0x7f800001
	v_bfe_u32 v2, v0, 16, 7
	v_mov_b32_e32 v55, 0
	s_mov_b32 s21, exec_lo
	v_cmpx_ne_u32_e32 0x7f, v2
	s_cbranch_execz .LBB247_257
; %bb.254:                              ;   in Loop: Header=BB247_11 Depth=1
	v_mov_b32_e32 v1, 7
	s_mov_b32 s22, exec_lo
	v_and_b32_sdwa v78, v0, v1 dst_sel:DWORD dst_unused:UNUSED_PAD src0_sel:WORD_1 src1_sel:DWORD
	v_lshrrev_b32_e32 v1, 3, v2
	v_cmpx_gt_u32_e32 8, v2
; %bb.255:                              ;   in Loop: Header=BB247_11 Depth=1
	v_ffbh_u32_e32 v1, v78
	v_min_u32_e32 v1, 32, v1
	v_subrev_nc_u32_e32 v2, 28, v1
	v_sub_nc_u32_e32 v1, 29, v1
	v_lshlrev_b64 v[2:3], v2, v[78:79]
	v_and_b32_e32 v78, 7, v2
; %bb.256:                              ;   in Loop: Header=BB247_11 Depth=1
	s_or_b32 exec_lo, exec_lo, s22
	v_mov_b32_e32 v2, 24
	v_lshlrev_b32_e32 v3, 20, v78
	v_lshl_add_u32 v1, v1, 23, 0x3c000000
	v_lshlrev_b32_sdwa v2, v2, v0 dst_sel:DWORD dst_unused:UNUSED_PAD src0_sel:DWORD src1_sel:WORD_1
	v_and_b32_e32 v2, 0x80000000, v2
	v_or3_b32 v78, v3, v2, v1
	v_mov_b32_e32 v54, v78
	v_mov_b32_e32 v55, v79
.LBB247_257:                            ;   in Loop: Header=BB247_11 Depth=1
	s_or_b32 exec_lo, exec_lo, s21
.LBB247_258:                            ;   in Loop: Header=BB247_11 Depth=1
	s_or_b32 exec_lo, exec_lo, s17
.LBB247_259:                            ;   in Loop: Header=BB247_11 Depth=1
	s_or_b32 exec_lo, exec_lo, s13
	s_mov_b32 s13, exec_lo
	v_cmpx_lt_u32_e32 0xffffff, v0
	s_cbranch_execz .LBB247_267
; %bb.260:                              ;   in Loop: Header=BB247_11 Depth=1
	v_mov_b32_e32 v8, v79
	v_mov_b32_e32 v53, v9
	v_cmp_ne_u32_sdwa s5, v0, v30 src0_sel:BYTE_3 src1_sel:DWORD
	v_mov_b32_e32 v52, v8
	s_and_saveexec_b32 s17, s5
	s_cbranch_execz .LBB247_266
; %bb.261:                              ;   in Loop: Header=BB247_11 Depth=1
	v_mov_b32_e32 v6, v79
	v_mov_b32_e32 v53, v7
	v_bfe_u32 v2, v0, 24, 7
	s_mov_b32 s21, exec_lo
	v_mov_b32_e32 v52, v6
	v_cmpx_ne_u32_e32 0x7f, v2
	s_cbranch_execz .LBB247_265
; %bb.262:                              ;   in Loop: Header=BB247_11 Depth=1
	v_mov_b32_e32 v1, 7
	s_mov_b32 s22, exec_lo
	v_and_b32_sdwa v78, v0, v1 dst_sel:DWORD dst_unused:UNUSED_PAD src0_sel:BYTE_3 src1_sel:DWORD
	v_lshrrev_b32_e32 v1, 3, v2
	v_cmpx_gt_u32_e32 8, v2
; %bb.263:                              ;   in Loop: Header=BB247_11 Depth=1
	v_ffbh_u32_e32 v1, v78
	v_min_u32_e32 v1, 32, v1
	v_subrev_nc_u32_e32 v2, 28, v1
	v_sub_nc_u32_e32 v1, 29, v1
	v_lshlrev_b64 v[2:3], v2, v[78:79]
	v_and_b32_e32 v78, 7, v2
; %bb.264:                              ;   in Loop: Header=BB247_11 Depth=1
	s_or_b32 exec_lo, exec_lo, s22
	v_mov_b32_e32 v2, 24
	v_lshl_add_u32 v1, v1, 23, 0x3c000000
	v_mov_b32_e32 v52, v79
	v_lshlrev_b32_sdwa v0, v2, v0 dst_sel:DWORD dst_unused:UNUSED_PAD src0_sel:DWORD src1_sel:BYTE_3
	v_lshlrev_b32_e32 v2, 20, v78
	v_and_b32_e32 v0, 0x80000000, v0
	v_or3_b32 v53, v2, v0, v1
.LBB247_265:                            ;   in Loop: Header=BB247_11 Depth=1
	s_or_b32 exec_lo, exec_lo, s21
.LBB247_266:                            ;   in Loop: Header=BB247_11 Depth=1
	s_or_b32 exec_lo, exec_lo, s17
.LBB247_267:                            ;   in Loop: Header=BB247_11 Depth=1
	s_or_b32 exec_lo, exec_lo, s13
	flat_load_dword v0, v[18:19] offset:1024
	v_mov_b32_e32 v66, 0
	v_mov_b32_e32 v64, 0
	;; [unrolled: 1-line block ×4, first 2 shown]
	s_waitcnt vmcnt(0) lgkmcnt(0)
	v_cmp_ne_u16_sdwa s5, v0, v79 src0_sel:BYTE_0 src1_sel:DWORD
	s_and_saveexec_b32 s13, s5
	s_cbranch_execz .LBB247_275
; %bb.268:                              ;   in Loop: Header=BB247_11 Depth=1
	v_bfrev_b32_e32 v64, 1
	v_mov_b32_e32 v65, 0
	v_cmp_ne_u16_sdwa s5, v0, v30 src0_sel:BYTE_0 src1_sel:DWORD
	s_and_saveexec_b32 s17, s5
	s_cbranch_execz .LBB247_274
; %bb.269:                              ;   in Loop: Header=BB247_11 Depth=1
	v_mov_b32_e32 v64, 0x7f800001
	v_and_b32_e32 v2, 0x7f, v0
	v_mov_b32_e32 v65, 0
	s_mov_b32 s21, exec_lo
	v_cmpx_ne_u32_e32 0x7f, v2
	s_cbranch_execz .LBB247_273
; %bb.270:                              ;   in Loop: Header=BB247_11 Depth=1
	v_and_b32_e32 v78, 7, v0
	v_lshrrev_b32_e32 v1, 3, v2
	s_mov_b32 s22, exec_lo
	v_cmpx_gt_u32_e32 8, v2
; %bb.271:                              ;   in Loop: Header=BB247_11 Depth=1
	v_ffbh_u32_e32 v1, v78
	v_min_u32_e32 v1, 32, v1
	v_subrev_nc_u32_e32 v2, 28, v1
	v_sub_nc_u32_e32 v1, 29, v1
	v_lshlrev_b64 v[2:3], v2, v[78:79]
	v_and_b32_e32 v78, 7, v2
; %bb.272:                              ;   in Loop: Header=BB247_11 Depth=1
	s_or_b32 exec_lo, exec_lo, s22
	v_lshlrev_b32_e32 v2, 24, v0
	v_lshlrev_b32_e32 v3, 20, v78
	v_lshl_add_u32 v1, v1, 23, 0x3c000000
	v_and_b32_e32 v2, 0x80000000, v2
	v_or3_b32 v78, v3, v2, v1
	v_mov_b32_e32 v64, v78
	v_mov_b32_e32 v65, v79
.LBB247_273:                            ;   in Loop: Header=BB247_11 Depth=1
	s_or_b32 exec_lo, exec_lo, s21
.LBB247_274:                            ;   in Loop: Header=BB247_11 Depth=1
	s_or_b32 exec_lo, exec_lo, s17
.LBB247_275:                            ;   in Loop: Header=BB247_11 Depth=1
	s_or_b32 exec_lo, exec_lo, s13
	v_cmp_ne_u16_sdwa s5, v0, v79 src0_sel:BYTE_1 src1_sel:DWORD
	s_and_saveexec_b32 s13, s5
	s_cbranch_execz .LBB247_283
; %bb.276:                              ;   in Loop: Header=BB247_11 Depth=1
	v_mov_b32_e32 v8, v79
	v_mov_b32_e32 v67, v9
	v_cmp_ne_u16_sdwa s5, v0, v30 src0_sel:BYTE_1 src1_sel:DWORD
	v_mov_b32_e32 v66, v8
	s_and_saveexec_b32 s17, s5
	s_cbranch_execz .LBB247_282
; %bb.277:                              ;   in Loop: Header=BB247_11 Depth=1
	v_mov_b32_e32 v1, 0xffff
	v_mov_b32_e32 v6, v79
	;; [unrolled: 1-line block ×3, first 2 shown]
	s_mov_b32 s21, exec_lo
	v_and_b32_sdwa v1, v1, v0 dst_sel:DWORD dst_unused:UNUSED_PAD src0_sel:DWORD src1_sel:BYTE_1
	v_mov_b32_e32 v66, v6
	v_and_b32_e32 v2, 0x7f, v1
	v_cmpx_ne_u32_e32 0x7f, v2
	s_cbranch_execz .LBB247_281
; %bb.278:                              ;   in Loop: Header=BB247_11 Depth=1
	v_and_b32_e32 v78, 7, v1
	v_lshrrev_b32_e32 v1, 3, v2
	s_mov_b32 s22, exec_lo
	v_cmpx_gt_u32_e32 8, v2
; %bb.279:                              ;   in Loop: Header=BB247_11 Depth=1
	v_ffbh_u32_e32 v1, v78
	v_min_u32_e32 v1, 32, v1
	v_subrev_nc_u32_e32 v2, 28, v1
	v_sub_nc_u32_e32 v1, 29, v1
	v_lshlrev_b64 v[2:3], v2, v[78:79]
	v_and_b32_e32 v78, 7, v2
; %bb.280:                              ;   in Loop: Header=BB247_11 Depth=1
	s_or_b32 exec_lo, exec_lo, s22
	v_lshlrev_b32_e32 v2, 16, v0
	v_lshlrev_b32_e32 v3, 20, v78
	v_lshl_add_u32 v1, v1, 23, 0x3c000000
	v_mov_b32_e32 v66, v79
	v_and_b32_e32 v2, 0x80000000, v2
	v_or3_b32 v67, v3, v2, v1
.LBB247_281:                            ;   in Loop: Header=BB247_11 Depth=1
	s_or_b32 exec_lo, exec_lo, s21
.LBB247_282:                            ;   in Loop: Header=BB247_11 Depth=1
	s_or_b32 exec_lo, exec_lo, s17
.LBB247_283:                            ;   in Loop: Header=BB247_11 Depth=1
	s_or_b32 exec_lo, exec_lo, s13
	v_mov_b32_e32 v68, 0
	v_mov_b32_e32 v70, 0
	v_and_b32_sdwa v1, v0, v31 dst_sel:DWORD dst_unused:UNUSED_PAD src0_sel:WORD_1 src1_sel:DWORD
	v_mov_b32_e32 v69, 0
	v_mov_b32_e32 v71, 0
	s_mov_b32 s13, exec_lo
	v_cmpx_ne_u16_e32 0, v1
	s_cbranch_execz .LBB247_291
; %bb.284:                              ;   in Loop: Header=BB247_11 Depth=1
	v_bfrev_b32_e32 v70, 1
	v_mov_b32_e32 v71, 0
	s_mov_b32 s17, exec_lo
	v_cmpx_ne_u16_e32 0x80, v1
	s_cbranch_execz .LBB247_290
; %bb.285:                              ;   in Loop: Header=BB247_11 Depth=1
	v_mov_b32_e32 v70, 0x7f800001
	v_bfe_u32 v2, v0, 16, 7
	v_mov_b32_e32 v71, 0
	s_mov_b32 s21, exec_lo
	v_cmpx_ne_u32_e32 0x7f, v2
	s_cbranch_execz .LBB247_289
; %bb.286:                              ;   in Loop: Header=BB247_11 Depth=1
	v_mov_b32_e32 v1, 7
	s_mov_b32 s22, exec_lo
	v_and_b32_sdwa v78, v0, v1 dst_sel:DWORD dst_unused:UNUSED_PAD src0_sel:WORD_1 src1_sel:DWORD
	v_lshrrev_b32_e32 v1, 3, v2
	v_cmpx_gt_u32_e32 8, v2
; %bb.287:                              ;   in Loop: Header=BB247_11 Depth=1
	v_ffbh_u32_e32 v1, v78
	v_min_u32_e32 v1, 32, v1
	v_subrev_nc_u32_e32 v2, 28, v1
	v_sub_nc_u32_e32 v1, 29, v1
	v_lshlrev_b64 v[2:3], v2, v[78:79]
	v_and_b32_e32 v78, 7, v2
; %bb.288:                              ;   in Loop: Header=BB247_11 Depth=1
	s_or_b32 exec_lo, exec_lo, s22
	v_mov_b32_e32 v2, 24
	v_lshlrev_b32_e32 v3, 20, v78
	v_lshl_add_u32 v1, v1, 23, 0x3c000000
	v_lshlrev_b32_sdwa v2, v2, v0 dst_sel:DWORD dst_unused:UNUSED_PAD src0_sel:DWORD src1_sel:WORD_1
	v_and_b32_e32 v2, 0x80000000, v2
	v_or3_b32 v78, v3, v2, v1
	v_mov_b32_e32 v70, v78
	v_mov_b32_e32 v71, v79
.LBB247_289:                            ;   in Loop: Header=BB247_11 Depth=1
	s_or_b32 exec_lo, exec_lo, s21
.LBB247_290:                            ;   in Loop: Header=BB247_11 Depth=1
	s_or_b32 exec_lo, exec_lo, s17
.LBB247_291:                            ;   in Loop: Header=BB247_11 Depth=1
	s_or_b32 exec_lo, exec_lo, s13
	s_mov_b32 s13, exec_lo
	v_cmpx_lt_u32_e32 0xffffff, v0
	s_cbranch_execz .LBB247_299
; %bb.292:                              ;   in Loop: Header=BB247_11 Depth=1
	v_mov_b32_e32 v8, v79
	v_mov_b32_e32 v69, v9
	v_cmp_ne_u32_sdwa s5, v0, v30 src0_sel:BYTE_3 src1_sel:DWORD
	v_mov_b32_e32 v68, v8
	s_and_saveexec_b32 s17, s5
	s_cbranch_execz .LBB247_298
; %bb.293:                              ;   in Loop: Header=BB247_11 Depth=1
	v_mov_b32_e32 v6, v79
	v_mov_b32_e32 v69, v7
	v_bfe_u32 v2, v0, 24, 7
	s_mov_b32 s21, exec_lo
	v_mov_b32_e32 v68, v6
	v_cmpx_ne_u32_e32 0x7f, v2
	s_cbranch_execz .LBB247_297
; %bb.294:                              ;   in Loop: Header=BB247_11 Depth=1
	v_mov_b32_e32 v1, 7
	s_mov_b32 s22, exec_lo
	v_and_b32_sdwa v78, v0, v1 dst_sel:DWORD dst_unused:UNUSED_PAD src0_sel:BYTE_3 src1_sel:DWORD
	v_lshrrev_b32_e32 v1, 3, v2
	v_cmpx_gt_u32_e32 8, v2
; %bb.295:                              ;   in Loop: Header=BB247_11 Depth=1
	v_ffbh_u32_e32 v1, v78
	v_min_u32_e32 v1, 32, v1
	v_subrev_nc_u32_e32 v2, 28, v1
	v_sub_nc_u32_e32 v1, 29, v1
	v_lshlrev_b64 v[2:3], v2, v[78:79]
	v_and_b32_e32 v78, 7, v2
; %bb.296:                              ;   in Loop: Header=BB247_11 Depth=1
	s_or_b32 exec_lo, exec_lo, s22
	v_mov_b32_e32 v2, 24
	v_lshl_add_u32 v1, v1, 23, 0x3c000000
	v_mov_b32_e32 v68, v79
	v_lshlrev_b32_sdwa v0, v2, v0 dst_sel:DWORD dst_unused:UNUSED_PAD src0_sel:DWORD src1_sel:BYTE_3
	v_lshlrev_b32_e32 v2, 20, v78
	v_and_b32_e32 v0, 0x80000000, v0
	v_or3_b32 v69, v2, v0, v1
.LBB247_297:                            ;   in Loop: Header=BB247_11 Depth=1
	s_or_b32 exec_lo, exec_lo, s21
.LBB247_298:                            ;   in Loop: Header=BB247_11 Depth=1
	s_or_b32 exec_lo, exec_lo, s17
.LBB247_299:                            ;   in Loop: Header=BB247_11 Depth=1
	s_or_b32 exec_lo, exec_lo, s13
	flat_load_dword v0, v[18:19] offset:1028
	v_mov_b32_e32 v82, 0
	v_mov_b32_e32 v80, 0
	;; [unrolled: 1-line block ×4, first 2 shown]
	s_waitcnt vmcnt(0) lgkmcnt(0)
	v_cmp_ne_u16_sdwa s5, v0, v79 src0_sel:BYTE_0 src1_sel:DWORD
	s_and_saveexec_b32 s13, s5
	s_cbranch_execz .LBB247_307
; %bb.300:                              ;   in Loop: Header=BB247_11 Depth=1
	v_bfrev_b32_e32 v80, 1
	v_mov_b32_e32 v81, 0
	v_cmp_ne_u16_sdwa s5, v0, v30 src0_sel:BYTE_0 src1_sel:DWORD
	s_and_saveexec_b32 s17, s5
	s_cbranch_execz .LBB247_306
; %bb.301:                              ;   in Loop: Header=BB247_11 Depth=1
	v_mov_b32_e32 v80, 0x7f800001
	v_and_b32_e32 v2, 0x7f, v0
	v_mov_b32_e32 v81, 0
	s_mov_b32 s21, exec_lo
	v_cmpx_ne_u32_e32 0x7f, v2
	s_cbranch_execz .LBB247_305
; %bb.302:                              ;   in Loop: Header=BB247_11 Depth=1
	v_and_b32_e32 v78, 7, v0
	v_lshrrev_b32_e32 v1, 3, v2
	s_mov_b32 s22, exec_lo
	v_cmpx_gt_u32_e32 8, v2
; %bb.303:                              ;   in Loop: Header=BB247_11 Depth=1
	v_ffbh_u32_e32 v1, v78
	v_min_u32_e32 v1, 32, v1
	v_subrev_nc_u32_e32 v2, 28, v1
	v_sub_nc_u32_e32 v1, 29, v1
	v_lshlrev_b64 v[2:3], v2, v[78:79]
	v_and_b32_e32 v78, 7, v2
; %bb.304:                              ;   in Loop: Header=BB247_11 Depth=1
	s_or_b32 exec_lo, exec_lo, s22
	v_lshlrev_b32_e32 v2, 24, v0
	v_lshlrev_b32_e32 v3, 20, v78
	v_lshl_add_u32 v1, v1, 23, 0x3c000000
	v_and_b32_e32 v2, 0x80000000, v2
	v_or3_b32 v78, v3, v2, v1
	v_mov_b32_e32 v81, v79
	v_mov_b32_e32 v80, v78
.LBB247_305:                            ;   in Loop: Header=BB247_11 Depth=1
	s_or_b32 exec_lo, exec_lo, s21
.LBB247_306:                            ;   in Loop: Header=BB247_11 Depth=1
	s_or_b32 exec_lo, exec_lo, s17
.LBB247_307:                            ;   in Loop: Header=BB247_11 Depth=1
	s_or_b32 exec_lo, exec_lo, s13
	v_cmp_ne_u16_sdwa s5, v0, v79 src0_sel:BYTE_1 src1_sel:DWORD
	s_and_saveexec_b32 s13, s5
	s_cbranch_execz .LBB247_315
; %bb.308:                              ;   in Loop: Header=BB247_11 Depth=1
	v_mov_b32_e32 v8, v79
	v_mov_b32_e32 v83, v9
	v_cmp_ne_u16_sdwa s5, v0, v30 src0_sel:BYTE_1 src1_sel:DWORD
	v_mov_b32_e32 v82, v8
	s_and_saveexec_b32 s17, s5
	s_cbranch_execz .LBB247_314
; %bb.309:                              ;   in Loop: Header=BB247_11 Depth=1
	v_mov_b32_e32 v1, 0xffff
	v_mov_b32_e32 v6, v79
	;; [unrolled: 1-line block ×3, first 2 shown]
	s_mov_b32 s21, exec_lo
	v_and_b32_sdwa v1, v1, v0 dst_sel:DWORD dst_unused:UNUSED_PAD src0_sel:DWORD src1_sel:BYTE_1
	v_mov_b32_e32 v82, v6
	v_and_b32_e32 v2, 0x7f, v1
	v_cmpx_ne_u32_e32 0x7f, v2
	s_cbranch_execz .LBB247_313
; %bb.310:                              ;   in Loop: Header=BB247_11 Depth=1
	v_and_b32_e32 v78, 7, v1
	v_lshrrev_b32_e32 v1, 3, v2
	s_mov_b32 s22, exec_lo
	v_cmpx_gt_u32_e32 8, v2
; %bb.311:                              ;   in Loop: Header=BB247_11 Depth=1
	v_ffbh_u32_e32 v1, v78
	v_min_u32_e32 v1, 32, v1
	v_subrev_nc_u32_e32 v2, 28, v1
	v_sub_nc_u32_e32 v1, 29, v1
	v_lshlrev_b64 v[2:3], v2, v[78:79]
	v_and_b32_e32 v78, 7, v2
; %bb.312:                              ;   in Loop: Header=BB247_11 Depth=1
	s_or_b32 exec_lo, exec_lo, s22
	v_lshlrev_b32_e32 v2, 16, v0
	v_lshlrev_b32_e32 v3, 20, v78
	v_lshl_add_u32 v1, v1, 23, 0x3c000000
	v_mov_b32_e32 v82, v79
	v_and_b32_e32 v2, 0x80000000, v2
	v_or3_b32 v83, v3, v2, v1
.LBB247_313:                            ;   in Loop: Header=BB247_11 Depth=1
	s_or_b32 exec_lo, exec_lo, s21
.LBB247_314:                            ;   in Loop: Header=BB247_11 Depth=1
	s_or_b32 exec_lo, exec_lo, s17
.LBB247_315:                            ;   in Loop: Header=BB247_11 Depth=1
	s_or_b32 exec_lo, exec_lo, s13
	v_mov_b32_e32 v84, 0
	v_mov_b32_e32 v86, 0
	v_and_b32_sdwa v1, v0, v31 dst_sel:DWORD dst_unused:UNUSED_PAD src0_sel:WORD_1 src1_sel:DWORD
	v_mov_b32_e32 v85, 0
	v_mov_b32_e32 v87, 0
	s_mov_b32 s13, exec_lo
	v_cmpx_ne_u16_e32 0, v1
	s_cbranch_execz .LBB247_323
; %bb.316:                              ;   in Loop: Header=BB247_11 Depth=1
	v_bfrev_b32_e32 v86, 1
	v_mov_b32_e32 v87, 0
	s_mov_b32 s17, exec_lo
	v_cmpx_ne_u16_e32 0x80, v1
	s_cbranch_execz .LBB247_322
; %bb.317:                              ;   in Loop: Header=BB247_11 Depth=1
	v_mov_b32_e32 v86, 0x7f800001
	v_bfe_u32 v2, v0, 16, 7
	v_mov_b32_e32 v87, 0
	s_mov_b32 s21, exec_lo
	v_cmpx_ne_u32_e32 0x7f, v2
	s_cbranch_execz .LBB247_321
; %bb.318:                              ;   in Loop: Header=BB247_11 Depth=1
	v_mov_b32_e32 v1, 7
	s_mov_b32 s22, exec_lo
	v_and_b32_sdwa v78, v0, v1 dst_sel:DWORD dst_unused:UNUSED_PAD src0_sel:WORD_1 src1_sel:DWORD
	v_lshrrev_b32_e32 v1, 3, v2
	v_cmpx_gt_u32_e32 8, v2
; %bb.319:                              ;   in Loop: Header=BB247_11 Depth=1
	v_ffbh_u32_e32 v1, v78
	v_min_u32_e32 v1, 32, v1
	v_subrev_nc_u32_e32 v2, 28, v1
	v_sub_nc_u32_e32 v1, 29, v1
	v_lshlrev_b64 v[2:3], v2, v[78:79]
	v_and_b32_e32 v78, 7, v2
; %bb.320:                              ;   in Loop: Header=BB247_11 Depth=1
	s_or_b32 exec_lo, exec_lo, s22
	v_mov_b32_e32 v2, 24
	v_lshlrev_b32_e32 v3, 20, v78
	v_lshl_add_u32 v1, v1, 23, 0x3c000000
	v_lshlrev_b32_sdwa v2, v2, v0 dst_sel:DWORD dst_unused:UNUSED_PAD src0_sel:DWORD src1_sel:WORD_1
	v_and_b32_e32 v2, 0x80000000, v2
	v_or3_b32 v78, v3, v2, v1
	v_mov_b32_e32 v87, v79
	v_mov_b32_e32 v86, v78
.LBB247_321:                            ;   in Loop: Header=BB247_11 Depth=1
	s_or_b32 exec_lo, exec_lo, s21
.LBB247_322:                            ;   in Loop: Header=BB247_11 Depth=1
	s_or_b32 exec_lo, exec_lo, s17
.LBB247_323:                            ;   in Loop: Header=BB247_11 Depth=1
	s_or_b32 exec_lo, exec_lo, s13
	s_mov_b32 s13, exec_lo
	v_cmpx_lt_u32_e32 0xffffff, v0
	s_cbranch_execz .LBB247_331
; %bb.324:                              ;   in Loop: Header=BB247_11 Depth=1
	v_mov_b32_e32 v8, v79
	v_mov_b32_e32 v85, v9
	v_cmp_ne_u32_sdwa s5, v0, v30 src0_sel:BYTE_3 src1_sel:DWORD
	v_mov_b32_e32 v84, v8
	s_and_saveexec_b32 s17, s5
	s_cbranch_execz .LBB247_330
; %bb.325:                              ;   in Loop: Header=BB247_11 Depth=1
	v_mov_b32_e32 v6, v79
	v_mov_b32_e32 v85, v7
	v_bfe_u32 v2, v0, 24, 7
	s_mov_b32 s21, exec_lo
	v_mov_b32_e32 v84, v6
	v_cmpx_ne_u32_e32 0x7f, v2
	s_cbranch_execz .LBB247_329
; %bb.326:                              ;   in Loop: Header=BB247_11 Depth=1
	v_mov_b32_e32 v1, 7
	s_mov_b32 s22, exec_lo
	v_and_b32_sdwa v78, v0, v1 dst_sel:DWORD dst_unused:UNUSED_PAD src0_sel:BYTE_3 src1_sel:DWORD
	v_lshrrev_b32_e32 v1, 3, v2
	v_cmpx_gt_u32_e32 8, v2
; %bb.327:                              ;   in Loop: Header=BB247_11 Depth=1
	v_ffbh_u32_e32 v1, v78
	v_min_u32_e32 v1, 32, v1
	v_subrev_nc_u32_e32 v2, 28, v1
	v_sub_nc_u32_e32 v1, 29, v1
	v_lshlrev_b64 v[2:3], v2, v[78:79]
	v_and_b32_e32 v78, 7, v2
; %bb.328:                              ;   in Loop: Header=BB247_11 Depth=1
	s_or_b32 exec_lo, exec_lo, s22
	v_mov_b32_e32 v2, 24
	v_lshl_add_u32 v1, v1, 23, 0x3c000000
	v_mov_b32_e32 v84, v79
	v_lshlrev_b32_sdwa v0, v2, v0 dst_sel:DWORD dst_unused:UNUSED_PAD src0_sel:DWORD src1_sel:BYTE_3
	v_lshlrev_b32_e32 v2, 20, v78
	v_and_b32_e32 v0, 0x80000000, v0
	v_or3_b32 v85, v2, v0, v1
.LBB247_329:                            ;   in Loop: Header=BB247_11 Depth=1
	s_or_b32 exec_lo, exec_lo, s21
.LBB247_330:                            ;   in Loop: Header=BB247_11 Depth=1
	s_or_b32 exec_lo, exec_lo, s17
.LBB247_331:                            ;   in Loop: Header=BB247_11 Depth=1
	s_or_b32 exec_lo, exec_lo, s13
	flat_load_dword v0, v[18:19] offset:1032
	v_mov_b32_e32 v98, 0
	v_mov_b32_e32 v96, 0
	;; [unrolled: 1-line block ×4, first 2 shown]
	s_waitcnt vmcnt(0) lgkmcnt(0)
	v_cmp_ne_u16_sdwa s5, v0, v79 src0_sel:BYTE_0 src1_sel:DWORD
	s_and_saveexec_b32 s13, s5
	s_cbranch_execz .LBB247_339
; %bb.332:                              ;   in Loop: Header=BB247_11 Depth=1
	v_bfrev_b32_e32 v96, 1
	v_mov_b32_e32 v97, 0
	v_cmp_ne_u16_sdwa s5, v0, v30 src0_sel:BYTE_0 src1_sel:DWORD
	s_and_saveexec_b32 s17, s5
	s_cbranch_execz .LBB247_338
; %bb.333:                              ;   in Loop: Header=BB247_11 Depth=1
	v_mov_b32_e32 v96, 0x7f800001
	v_and_b32_e32 v2, 0x7f, v0
	v_mov_b32_e32 v97, 0
	s_mov_b32 s21, exec_lo
	v_cmpx_ne_u32_e32 0x7f, v2
	s_cbranch_execz .LBB247_337
; %bb.334:                              ;   in Loop: Header=BB247_11 Depth=1
	v_and_b32_e32 v78, 7, v0
	v_lshrrev_b32_e32 v1, 3, v2
	s_mov_b32 s22, exec_lo
	v_cmpx_gt_u32_e32 8, v2
; %bb.335:                              ;   in Loop: Header=BB247_11 Depth=1
	v_ffbh_u32_e32 v1, v78
	v_min_u32_e32 v1, 32, v1
	v_subrev_nc_u32_e32 v2, 28, v1
	v_sub_nc_u32_e32 v1, 29, v1
	v_lshlrev_b64 v[2:3], v2, v[78:79]
	v_and_b32_e32 v78, 7, v2
; %bb.336:                              ;   in Loop: Header=BB247_11 Depth=1
	s_or_b32 exec_lo, exec_lo, s22
	v_lshlrev_b32_e32 v2, 24, v0
	v_lshlrev_b32_e32 v3, 20, v78
	v_lshl_add_u32 v1, v1, 23, 0x3c000000
	v_and_b32_e32 v2, 0x80000000, v2
	v_or3_b32 v78, v3, v2, v1
	v_mov_b32_e32 v97, v79
	v_mov_b32_e32 v96, v78
.LBB247_337:                            ;   in Loop: Header=BB247_11 Depth=1
	s_or_b32 exec_lo, exec_lo, s21
.LBB247_338:                            ;   in Loop: Header=BB247_11 Depth=1
	s_or_b32 exec_lo, exec_lo, s17
.LBB247_339:                            ;   in Loop: Header=BB247_11 Depth=1
	s_or_b32 exec_lo, exec_lo, s13
	v_cmp_ne_u16_sdwa s5, v0, v79 src0_sel:BYTE_1 src1_sel:DWORD
	s_and_saveexec_b32 s13, s5
	s_cbranch_execz .LBB247_347
; %bb.340:                              ;   in Loop: Header=BB247_11 Depth=1
	v_mov_b32_e32 v8, v79
	v_mov_b32_e32 v99, v9
	v_cmp_ne_u16_sdwa s5, v0, v30 src0_sel:BYTE_1 src1_sel:DWORD
	v_mov_b32_e32 v98, v8
	s_and_saveexec_b32 s17, s5
	s_cbranch_execz .LBB247_346
; %bb.341:                              ;   in Loop: Header=BB247_11 Depth=1
	v_mov_b32_e32 v1, 0xffff
	v_mov_b32_e32 v6, v79
	;; [unrolled: 1-line block ×3, first 2 shown]
	s_mov_b32 s21, exec_lo
	v_and_b32_sdwa v1, v1, v0 dst_sel:DWORD dst_unused:UNUSED_PAD src0_sel:DWORD src1_sel:BYTE_1
	v_mov_b32_e32 v98, v6
	v_and_b32_e32 v2, 0x7f, v1
	v_cmpx_ne_u32_e32 0x7f, v2
	s_cbranch_execz .LBB247_345
; %bb.342:                              ;   in Loop: Header=BB247_11 Depth=1
	v_and_b32_e32 v78, 7, v1
	v_lshrrev_b32_e32 v1, 3, v2
	s_mov_b32 s22, exec_lo
	v_cmpx_gt_u32_e32 8, v2
; %bb.343:                              ;   in Loop: Header=BB247_11 Depth=1
	v_ffbh_u32_e32 v1, v78
	v_min_u32_e32 v1, 32, v1
	v_subrev_nc_u32_e32 v2, 28, v1
	v_sub_nc_u32_e32 v1, 29, v1
	v_lshlrev_b64 v[2:3], v2, v[78:79]
	v_and_b32_e32 v78, 7, v2
; %bb.344:                              ;   in Loop: Header=BB247_11 Depth=1
	s_or_b32 exec_lo, exec_lo, s22
	v_lshlrev_b32_e32 v2, 16, v0
	v_lshlrev_b32_e32 v3, 20, v78
	v_lshl_add_u32 v1, v1, 23, 0x3c000000
	v_mov_b32_e32 v98, v79
	v_and_b32_e32 v2, 0x80000000, v2
	v_or3_b32 v99, v3, v2, v1
.LBB247_345:                            ;   in Loop: Header=BB247_11 Depth=1
	s_or_b32 exec_lo, exec_lo, s21
.LBB247_346:                            ;   in Loop: Header=BB247_11 Depth=1
	s_or_b32 exec_lo, exec_lo, s17
.LBB247_347:                            ;   in Loop: Header=BB247_11 Depth=1
	s_or_b32 exec_lo, exec_lo, s13
	v_mov_b32_e32 v100, 0
	v_mov_b32_e32 v102, 0
	v_and_b32_sdwa v1, v0, v31 dst_sel:DWORD dst_unused:UNUSED_PAD src0_sel:WORD_1 src1_sel:DWORD
	v_mov_b32_e32 v101, 0
	v_mov_b32_e32 v103, 0
	s_mov_b32 s13, exec_lo
	v_cmpx_ne_u16_e32 0, v1
	s_cbranch_execz .LBB247_355
; %bb.348:                              ;   in Loop: Header=BB247_11 Depth=1
	v_bfrev_b32_e32 v102, 1
	v_mov_b32_e32 v103, 0
	s_mov_b32 s17, exec_lo
	v_cmpx_ne_u16_e32 0x80, v1
	s_cbranch_execz .LBB247_354
; %bb.349:                              ;   in Loop: Header=BB247_11 Depth=1
	v_mov_b32_e32 v102, 0x7f800001
	v_bfe_u32 v2, v0, 16, 7
	v_mov_b32_e32 v103, 0
	s_mov_b32 s21, exec_lo
	v_cmpx_ne_u32_e32 0x7f, v2
	s_cbranch_execz .LBB247_353
; %bb.350:                              ;   in Loop: Header=BB247_11 Depth=1
	v_mov_b32_e32 v1, 7
	s_mov_b32 s22, exec_lo
	v_and_b32_sdwa v78, v0, v1 dst_sel:DWORD dst_unused:UNUSED_PAD src0_sel:WORD_1 src1_sel:DWORD
	v_lshrrev_b32_e32 v1, 3, v2
	v_cmpx_gt_u32_e32 8, v2
; %bb.351:                              ;   in Loop: Header=BB247_11 Depth=1
	v_ffbh_u32_e32 v1, v78
	v_min_u32_e32 v1, 32, v1
	v_subrev_nc_u32_e32 v2, 28, v1
	v_sub_nc_u32_e32 v1, 29, v1
	v_lshlrev_b64 v[2:3], v2, v[78:79]
	v_and_b32_e32 v78, 7, v2
; %bb.352:                              ;   in Loop: Header=BB247_11 Depth=1
	s_or_b32 exec_lo, exec_lo, s22
	v_mov_b32_e32 v2, 24
	v_lshlrev_b32_e32 v3, 20, v78
	v_lshl_add_u32 v1, v1, 23, 0x3c000000
	v_lshlrev_b32_sdwa v2, v2, v0 dst_sel:DWORD dst_unused:UNUSED_PAD src0_sel:DWORD src1_sel:WORD_1
	v_and_b32_e32 v2, 0x80000000, v2
	v_or3_b32 v78, v3, v2, v1
	v_mov_b32_e32 v103, v79
	v_mov_b32_e32 v102, v78
.LBB247_353:                            ;   in Loop: Header=BB247_11 Depth=1
	s_or_b32 exec_lo, exec_lo, s21
.LBB247_354:                            ;   in Loop: Header=BB247_11 Depth=1
	s_or_b32 exec_lo, exec_lo, s17
.LBB247_355:                            ;   in Loop: Header=BB247_11 Depth=1
	s_or_b32 exec_lo, exec_lo, s13
	s_mov_b32 s13, exec_lo
	v_cmpx_lt_u32_e32 0xffffff, v0
	s_cbranch_execz .LBB247_363
; %bb.356:                              ;   in Loop: Header=BB247_11 Depth=1
	v_mov_b32_e32 v8, v79
	v_mov_b32_e32 v101, v9
	v_cmp_ne_u32_sdwa s5, v0, v30 src0_sel:BYTE_3 src1_sel:DWORD
	v_mov_b32_e32 v100, v8
	s_and_saveexec_b32 s17, s5
	s_cbranch_execz .LBB247_362
; %bb.357:                              ;   in Loop: Header=BB247_11 Depth=1
	v_mov_b32_e32 v6, v79
	v_mov_b32_e32 v101, v7
	v_bfe_u32 v2, v0, 24, 7
	s_mov_b32 s21, exec_lo
	v_mov_b32_e32 v100, v6
	v_cmpx_ne_u32_e32 0x7f, v2
	s_cbranch_execz .LBB247_361
; %bb.358:                              ;   in Loop: Header=BB247_11 Depth=1
	v_mov_b32_e32 v1, 7
	s_mov_b32 s22, exec_lo
	v_and_b32_sdwa v78, v0, v1 dst_sel:DWORD dst_unused:UNUSED_PAD src0_sel:BYTE_3 src1_sel:DWORD
	v_lshrrev_b32_e32 v1, 3, v2
	v_cmpx_gt_u32_e32 8, v2
; %bb.359:                              ;   in Loop: Header=BB247_11 Depth=1
	v_ffbh_u32_e32 v1, v78
	v_min_u32_e32 v1, 32, v1
	v_subrev_nc_u32_e32 v2, 28, v1
	v_sub_nc_u32_e32 v1, 29, v1
	v_lshlrev_b64 v[2:3], v2, v[78:79]
	v_and_b32_e32 v78, 7, v2
; %bb.360:                              ;   in Loop: Header=BB247_11 Depth=1
	s_or_b32 exec_lo, exec_lo, s22
	v_mov_b32_e32 v2, 24
	v_lshl_add_u32 v1, v1, 23, 0x3c000000
	v_mov_b32_e32 v100, v79
	v_lshlrev_b32_sdwa v0, v2, v0 dst_sel:DWORD dst_unused:UNUSED_PAD src0_sel:DWORD src1_sel:BYTE_3
	v_lshlrev_b32_e32 v2, 20, v78
	v_and_b32_e32 v0, 0x80000000, v0
	v_or3_b32 v101, v2, v0, v1
.LBB247_361:                            ;   in Loop: Header=BB247_11 Depth=1
	s_or_b32 exec_lo, exec_lo, s21
.LBB247_362:                            ;   in Loop: Header=BB247_11 Depth=1
	s_or_b32 exec_lo, exec_lo, s17
.LBB247_363:                            ;   in Loop: Header=BB247_11 Depth=1
	s_or_b32 exec_lo, exec_lo, s13
	flat_load_dword v0, v[18:19] offset:1036
	v_mov_b32_e32 v114, 0
	v_mov_b32_e32 v112, 0
	;; [unrolled: 1-line block ×4, first 2 shown]
	s_waitcnt vmcnt(0) lgkmcnt(0)
	v_cmp_ne_u16_sdwa s5, v0, v79 src0_sel:BYTE_0 src1_sel:DWORD
	s_and_saveexec_b32 s13, s5
	s_cbranch_execz .LBB247_371
; %bb.364:                              ;   in Loop: Header=BB247_11 Depth=1
	v_bfrev_b32_e32 v112, 1
	v_mov_b32_e32 v113, 0
	v_cmp_ne_u16_sdwa s5, v0, v30 src0_sel:BYTE_0 src1_sel:DWORD
	s_and_saveexec_b32 s17, s5
	s_cbranch_execz .LBB247_370
; %bb.365:                              ;   in Loop: Header=BB247_11 Depth=1
	v_mov_b32_e32 v112, 0x7f800001
	v_and_b32_e32 v2, 0x7f, v0
	v_mov_b32_e32 v113, 0
	s_mov_b32 s21, exec_lo
	v_cmpx_ne_u32_e32 0x7f, v2
	s_cbranch_execz .LBB247_369
; %bb.366:                              ;   in Loop: Header=BB247_11 Depth=1
	v_and_b32_e32 v78, 7, v0
	v_lshrrev_b32_e32 v1, 3, v2
	s_mov_b32 s22, exec_lo
	v_cmpx_gt_u32_e32 8, v2
; %bb.367:                              ;   in Loop: Header=BB247_11 Depth=1
	v_ffbh_u32_e32 v1, v78
	v_min_u32_e32 v1, 32, v1
	v_subrev_nc_u32_e32 v2, 28, v1
	v_sub_nc_u32_e32 v1, 29, v1
	v_lshlrev_b64 v[2:3], v2, v[78:79]
	v_and_b32_e32 v78, 7, v2
; %bb.368:                              ;   in Loop: Header=BB247_11 Depth=1
	s_or_b32 exec_lo, exec_lo, s22
	v_lshlrev_b32_e32 v2, 24, v0
	v_lshlrev_b32_e32 v3, 20, v78
	v_lshl_add_u32 v1, v1, 23, 0x3c000000
	v_and_b32_e32 v2, 0x80000000, v2
	v_or3_b32 v78, v3, v2, v1
	v_mov_b32_e32 v113, v79
	v_mov_b32_e32 v112, v78
.LBB247_369:                            ;   in Loop: Header=BB247_11 Depth=1
	s_or_b32 exec_lo, exec_lo, s21
.LBB247_370:                            ;   in Loop: Header=BB247_11 Depth=1
	s_or_b32 exec_lo, exec_lo, s17
.LBB247_371:                            ;   in Loop: Header=BB247_11 Depth=1
	s_or_b32 exec_lo, exec_lo, s13
	v_cmp_ne_u16_sdwa s5, v0, v79 src0_sel:BYTE_1 src1_sel:DWORD
	s_and_saveexec_b32 s13, s5
	s_cbranch_execz .LBB247_379
; %bb.372:                              ;   in Loop: Header=BB247_11 Depth=1
	v_mov_b32_e32 v8, v79
	v_mov_b32_e32 v115, v9
	v_cmp_ne_u16_sdwa s5, v0, v30 src0_sel:BYTE_1 src1_sel:DWORD
	v_mov_b32_e32 v114, v8
	s_and_saveexec_b32 s17, s5
	s_cbranch_execz .LBB247_378
; %bb.373:                              ;   in Loop: Header=BB247_11 Depth=1
	v_mov_b32_e32 v1, 0xffff
	v_mov_b32_e32 v6, v79
	;; [unrolled: 1-line block ×3, first 2 shown]
	s_mov_b32 s21, exec_lo
	v_and_b32_sdwa v1, v1, v0 dst_sel:DWORD dst_unused:UNUSED_PAD src0_sel:DWORD src1_sel:BYTE_1
	v_mov_b32_e32 v114, v6
	v_and_b32_e32 v2, 0x7f, v1
	v_cmpx_ne_u32_e32 0x7f, v2
	s_cbranch_execz .LBB247_377
; %bb.374:                              ;   in Loop: Header=BB247_11 Depth=1
	v_and_b32_e32 v78, 7, v1
	v_lshrrev_b32_e32 v1, 3, v2
	s_mov_b32 s22, exec_lo
	v_cmpx_gt_u32_e32 8, v2
; %bb.375:                              ;   in Loop: Header=BB247_11 Depth=1
	v_ffbh_u32_e32 v1, v78
	v_min_u32_e32 v1, 32, v1
	v_subrev_nc_u32_e32 v2, 28, v1
	v_sub_nc_u32_e32 v1, 29, v1
	v_lshlrev_b64 v[2:3], v2, v[78:79]
	v_and_b32_e32 v78, 7, v2
; %bb.376:                              ;   in Loop: Header=BB247_11 Depth=1
	s_or_b32 exec_lo, exec_lo, s22
	v_lshlrev_b32_e32 v2, 16, v0
	v_lshlrev_b32_e32 v3, 20, v78
	v_lshl_add_u32 v1, v1, 23, 0x3c000000
	v_mov_b32_e32 v114, v79
	v_and_b32_e32 v2, 0x80000000, v2
	v_or3_b32 v115, v3, v2, v1
.LBB247_377:                            ;   in Loop: Header=BB247_11 Depth=1
	s_or_b32 exec_lo, exec_lo, s21
.LBB247_378:                            ;   in Loop: Header=BB247_11 Depth=1
	s_or_b32 exec_lo, exec_lo, s17
.LBB247_379:                            ;   in Loop: Header=BB247_11 Depth=1
	s_or_b32 exec_lo, exec_lo, s13
	v_mov_b32_e32 v116, 0
	v_mov_b32_e32 v118, 0
	v_and_b32_sdwa v1, v0, v31 dst_sel:DWORD dst_unused:UNUSED_PAD src0_sel:WORD_1 src1_sel:DWORD
	v_mov_b32_e32 v117, 0
	v_mov_b32_e32 v119, 0
	s_mov_b32 s13, exec_lo
	v_cmpx_ne_u16_e32 0, v1
	s_cbranch_execz .LBB247_387
; %bb.380:                              ;   in Loop: Header=BB247_11 Depth=1
	v_bfrev_b32_e32 v118, 1
	v_mov_b32_e32 v119, 0
	s_mov_b32 s17, exec_lo
	v_cmpx_ne_u16_e32 0x80, v1
	s_cbranch_execz .LBB247_386
; %bb.381:                              ;   in Loop: Header=BB247_11 Depth=1
	v_mov_b32_e32 v118, 0x7f800001
	v_bfe_u32 v2, v0, 16, 7
	v_mov_b32_e32 v119, 0
	s_mov_b32 s21, exec_lo
	v_cmpx_ne_u32_e32 0x7f, v2
	s_cbranch_execz .LBB247_385
; %bb.382:                              ;   in Loop: Header=BB247_11 Depth=1
	v_mov_b32_e32 v1, 7
	s_mov_b32 s22, exec_lo
	v_and_b32_sdwa v78, v0, v1 dst_sel:DWORD dst_unused:UNUSED_PAD src0_sel:WORD_1 src1_sel:DWORD
	v_lshrrev_b32_e32 v1, 3, v2
	v_cmpx_gt_u32_e32 8, v2
; %bb.383:                              ;   in Loop: Header=BB247_11 Depth=1
	v_ffbh_u32_e32 v1, v78
	v_min_u32_e32 v1, 32, v1
	v_subrev_nc_u32_e32 v2, 28, v1
	v_sub_nc_u32_e32 v1, 29, v1
	v_lshlrev_b64 v[2:3], v2, v[78:79]
	v_and_b32_e32 v78, 7, v2
; %bb.384:                              ;   in Loop: Header=BB247_11 Depth=1
	s_or_b32 exec_lo, exec_lo, s22
	v_mov_b32_e32 v2, 24
	v_lshlrev_b32_e32 v3, 20, v78
	v_lshl_add_u32 v1, v1, 23, 0x3c000000
	v_lshlrev_b32_sdwa v2, v2, v0 dst_sel:DWORD dst_unused:UNUSED_PAD src0_sel:DWORD src1_sel:WORD_1
	v_and_b32_e32 v2, 0x80000000, v2
	v_or3_b32 v78, v3, v2, v1
	v_mov_b32_e32 v119, v79
	v_mov_b32_e32 v118, v78
.LBB247_385:                            ;   in Loop: Header=BB247_11 Depth=1
	s_or_b32 exec_lo, exec_lo, s21
.LBB247_386:                            ;   in Loop: Header=BB247_11 Depth=1
	s_or_b32 exec_lo, exec_lo, s17
.LBB247_387:                            ;   in Loop: Header=BB247_11 Depth=1
	s_or_b32 exec_lo, exec_lo, s13
	s_mov_b32 s13, exec_lo
	v_cmpx_lt_u32_e32 0xffffff, v0
	s_cbranch_execz .LBB247_395
; %bb.388:                              ;   in Loop: Header=BB247_11 Depth=1
	v_mov_b32_e32 v8, v79
	v_mov_b32_e32 v117, v9
	v_cmp_ne_u32_sdwa s5, v0, v30 src0_sel:BYTE_3 src1_sel:DWORD
	v_mov_b32_e32 v116, v8
	s_and_saveexec_b32 s17, s5
	s_cbranch_execz .LBB247_394
; %bb.389:                              ;   in Loop: Header=BB247_11 Depth=1
	v_mov_b32_e32 v6, v79
	v_mov_b32_e32 v117, v7
	v_bfe_u32 v2, v0, 24, 7
	s_mov_b32 s21, exec_lo
	v_mov_b32_e32 v116, v6
	v_cmpx_ne_u32_e32 0x7f, v2
	s_cbranch_execz .LBB247_393
; %bb.390:                              ;   in Loop: Header=BB247_11 Depth=1
	v_mov_b32_e32 v1, 7
	s_mov_b32 s22, exec_lo
	v_and_b32_sdwa v78, v0, v1 dst_sel:DWORD dst_unused:UNUSED_PAD src0_sel:BYTE_3 src1_sel:DWORD
	v_lshrrev_b32_e32 v1, 3, v2
	v_cmpx_gt_u32_e32 8, v2
; %bb.391:                              ;   in Loop: Header=BB247_11 Depth=1
	v_ffbh_u32_e32 v1, v78
	v_min_u32_e32 v1, 32, v1
	v_subrev_nc_u32_e32 v2, 28, v1
	v_sub_nc_u32_e32 v1, 29, v1
	v_lshlrev_b64 v[2:3], v2, v[78:79]
	v_and_b32_e32 v78, 7, v2
; %bb.392:                              ;   in Loop: Header=BB247_11 Depth=1
	s_or_b32 exec_lo, exec_lo, s22
	v_mov_b32_e32 v2, 24
	v_lshl_add_u32 v1, v1, 23, 0x3c000000
	v_mov_b32_e32 v116, v79
	v_lshlrev_b32_sdwa v0, v2, v0 dst_sel:DWORD dst_unused:UNUSED_PAD src0_sel:DWORD src1_sel:BYTE_3
	v_lshlrev_b32_e32 v2, 20, v78
	v_and_b32_e32 v0, 0x80000000, v0
	v_or3_b32 v117, v2, v0, v1
.LBB247_393:                            ;   in Loop: Header=BB247_11 Depth=1
	s_or_b32 exec_lo, exec_lo, s21
.LBB247_394:                            ;   in Loop: Header=BB247_11 Depth=1
	s_or_b32 exec_lo, exec_lo, s17
.LBB247_395:                            ;   in Loop: Header=BB247_11 Depth=1
	s_or_b32 exec_lo, exec_lo, s13
	flat_load_dword v0, v[18:19] offset:1536
	v_mov_b32_e32 v42, 0
	v_mov_b32_e32 v40, 0
	;; [unrolled: 1-line block ×4, first 2 shown]
	s_waitcnt vmcnt(0) lgkmcnt(0)
	v_cmp_ne_u16_sdwa s5, v0, v79 src0_sel:BYTE_0 src1_sel:DWORD
	s_and_saveexec_b32 s13, s5
	s_cbranch_execz .LBB247_403
; %bb.396:                              ;   in Loop: Header=BB247_11 Depth=1
	v_bfrev_b32_e32 v40, 1
	v_mov_b32_e32 v41, 0
	v_cmp_ne_u16_sdwa s5, v0, v30 src0_sel:BYTE_0 src1_sel:DWORD
	s_and_saveexec_b32 s17, s5
	s_cbranch_execz .LBB247_402
; %bb.397:                              ;   in Loop: Header=BB247_11 Depth=1
	v_mov_b32_e32 v40, 0x7f800001
	v_and_b32_e32 v2, 0x7f, v0
	v_mov_b32_e32 v41, 0
	s_mov_b32 s21, exec_lo
	v_cmpx_ne_u32_e32 0x7f, v2
	s_cbranch_execz .LBB247_401
; %bb.398:                              ;   in Loop: Header=BB247_11 Depth=1
	v_and_b32_e32 v78, 7, v0
	v_lshrrev_b32_e32 v1, 3, v2
	s_mov_b32 s22, exec_lo
	v_cmpx_gt_u32_e32 8, v2
; %bb.399:                              ;   in Loop: Header=BB247_11 Depth=1
	v_ffbh_u32_e32 v1, v78
	v_min_u32_e32 v1, 32, v1
	v_subrev_nc_u32_e32 v2, 28, v1
	v_sub_nc_u32_e32 v1, 29, v1
	v_lshlrev_b64 v[2:3], v2, v[78:79]
	v_and_b32_e32 v78, 7, v2
; %bb.400:                              ;   in Loop: Header=BB247_11 Depth=1
	s_or_b32 exec_lo, exec_lo, s22
	v_lshlrev_b32_e32 v2, 24, v0
	v_lshlrev_b32_e32 v3, 20, v78
	v_lshl_add_u32 v1, v1, 23, 0x3c000000
	v_and_b32_e32 v2, 0x80000000, v2
	v_or3_b32 v78, v3, v2, v1
	v_mov_b32_e32 v40, v78
	v_mov_b32_e32 v41, v79
.LBB247_401:                            ;   in Loop: Header=BB247_11 Depth=1
	s_or_b32 exec_lo, exec_lo, s21
.LBB247_402:                            ;   in Loop: Header=BB247_11 Depth=1
	s_or_b32 exec_lo, exec_lo, s17
.LBB247_403:                            ;   in Loop: Header=BB247_11 Depth=1
	s_or_b32 exec_lo, exec_lo, s13
	v_cmp_ne_u16_sdwa s5, v0, v79 src0_sel:BYTE_1 src1_sel:DWORD
	s_and_saveexec_b32 s13, s5
	s_cbranch_execz .LBB247_411
; %bb.404:                              ;   in Loop: Header=BB247_11 Depth=1
	v_mov_b32_e32 v8, v79
	v_mov_b32_e32 v43, v9
	v_cmp_ne_u16_sdwa s5, v0, v30 src0_sel:BYTE_1 src1_sel:DWORD
	v_mov_b32_e32 v42, v8
	s_and_saveexec_b32 s17, s5
	s_cbranch_execz .LBB247_410
; %bb.405:                              ;   in Loop: Header=BB247_11 Depth=1
	v_mov_b32_e32 v1, 0xffff
	v_mov_b32_e32 v6, v79
	v_mov_b32_e32 v43, v7
	s_mov_b32 s21, exec_lo
	v_and_b32_sdwa v1, v1, v0 dst_sel:DWORD dst_unused:UNUSED_PAD src0_sel:DWORD src1_sel:BYTE_1
	v_mov_b32_e32 v42, v6
	v_and_b32_e32 v2, 0x7f, v1
	v_cmpx_ne_u32_e32 0x7f, v2
	s_cbranch_execz .LBB247_409
; %bb.406:                              ;   in Loop: Header=BB247_11 Depth=1
	v_and_b32_e32 v78, 7, v1
	v_lshrrev_b32_e32 v1, 3, v2
	s_mov_b32 s22, exec_lo
	v_cmpx_gt_u32_e32 8, v2
; %bb.407:                              ;   in Loop: Header=BB247_11 Depth=1
	v_ffbh_u32_e32 v1, v78
	v_min_u32_e32 v1, 32, v1
	v_subrev_nc_u32_e32 v2, 28, v1
	v_sub_nc_u32_e32 v1, 29, v1
	v_lshlrev_b64 v[2:3], v2, v[78:79]
	v_and_b32_e32 v78, 7, v2
; %bb.408:                              ;   in Loop: Header=BB247_11 Depth=1
	s_or_b32 exec_lo, exec_lo, s22
	v_lshlrev_b32_e32 v2, 16, v0
	v_lshlrev_b32_e32 v3, 20, v78
	v_lshl_add_u32 v1, v1, 23, 0x3c000000
	v_mov_b32_e32 v42, v79
	v_and_b32_e32 v2, 0x80000000, v2
	v_or3_b32 v43, v3, v2, v1
.LBB247_409:                            ;   in Loop: Header=BB247_11 Depth=1
	s_or_b32 exec_lo, exec_lo, s21
.LBB247_410:                            ;   in Loop: Header=BB247_11 Depth=1
	s_or_b32 exec_lo, exec_lo, s17
.LBB247_411:                            ;   in Loop: Header=BB247_11 Depth=1
	s_or_b32 exec_lo, exec_lo, s13
	v_mov_b32_e32 v44, 0
	v_mov_b32_e32 v46, 0
	v_and_b32_sdwa v1, v0, v31 dst_sel:DWORD dst_unused:UNUSED_PAD src0_sel:WORD_1 src1_sel:DWORD
	v_mov_b32_e32 v45, 0
	v_mov_b32_e32 v47, 0
	s_mov_b32 s13, exec_lo
	v_cmpx_ne_u16_e32 0, v1
	s_cbranch_execz .LBB247_419
; %bb.412:                              ;   in Loop: Header=BB247_11 Depth=1
	v_bfrev_b32_e32 v46, 1
	v_mov_b32_e32 v47, 0
	s_mov_b32 s17, exec_lo
	v_cmpx_ne_u16_e32 0x80, v1
	s_cbranch_execz .LBB247_418
; %bb.413:                              ;   in Loop: Header=BB247_11 Depth=1
	v_mov_b32_e32 v46, 0x7f800001
	v_bfe_u32 v2, v0, 16, 7
	v_mov_b32_e32 v47, 0
	s_mov_b32 s21, exec_lo
	v_cmpx_ne_u32_e32 0x7f, v2
	s_cbranch_execz .LBB247_417
; %bb.414:                              ;   in Loop: Header=BB247_11 Depth=1
	v_mov_b32_e32 v1, 7
	s_mov_b32 s22, exec_lo
	v_and_b32_sdwa v78, v0, v1 dst_sel:DWORD dst_unused:UNUSED_PAD src0_sel:WORD_1 src1_sel:DWORD
	v_lshrrev_b32_e32 v1, 3, v2
	v_cmpx_gt_u32_e32 8, v2
; %bb.415:                              ;   in Loop: Header=BB247_11 Depth=1
	v_ffbh_u32_e32 v1, v78
	v_min_u32_e32 v1, 32, v1
	v_subrev_nc_u32_e32 v2, 28, v1
	v_sub_nc_u32_e32 v1, 29, v1
	v_lshlrev_b64 v[2:3], v2, v[78:79]
	v_and_b32_e32 v78, 7, v2
; %bb.416:                              ;   in Loop: Header=BB247_11 Depth=1
	s_or_b32 exec_lo, exec_lo, s22
	v_mov_b32_e32 v2, 24
	v_lshlrev_b32_e32 v3, 20, v78
	v_lshl_add_u32 v1, v1, 23, 0x3c000000
	v_lshlrev_b32_sdwa v2, v2, v0 dst_sel:DWORD dst_unused:UNUSED_PAD src0_sel:DWORD src1_sel:WORD_1
	v_and_b32_e32 v2, 0x80000000, v2
	v_or3_b32 v78, v3, v2, v1
	v_mov_b32_e32 v46, v78
	v_mov_b32_e32 v47, v79
.LBB247_417:                            ;   in Loop: Header=BB247_11 Depth=1
	s_or_b32 exec_lo, exec_lo, s21
.LBB247_418:                            ;   in Loop: Header=BB247_11 Depth=1
	s_or_b32 exec_lo, exec_lo, s17
.LBB247_419:                            ;   in Loop: Header=BB247_11 Depth=1
	s_or_b32 exec_lo, exec_lo, s13
	s_mov_b32 s13, exec_lo
	v_cmpx_lt_u32_e32 0xffffff, v0
	s_cbranch_execz .LBB247_427
; %bb.420:                              ;   in Loop: Header=BB247_11 Depth=1
	v_mov_b32_e32 v8, v79
	v_mov_b32_e32 v45, v9
	v_cmp_ne_u32_sdwa s5, v0, v30 src0_sel:BYTE_3 src1_sel:DWORD
	v_mov_b32_e32 v44, v8
	s_and_saveexec_b32 s17, s5
	s_cbranch_execz .LBB247_426
; %bb.421:                              ;   in Loop: Header=BB247_11 Depth=1
	v_mov_b32_e32 v6, v79
	v_mov_b32_e32 v45, v7
	v_bfe_u32 v2, v0, 24, 7
	s_mov_b32 s21, exec_lo
	v_mov_b32_e32 v44, v6
	v_cmpx_ne_u32_e32 0x7f, v2
	s_cbranch_execz .LBB247_425
; %bb.422:                              ;   in Loop: Header=BB247_11 Depth=1
	v_mov_b32_e32 v1, 7
	s_mov_b32 s22, exec_lo
	v_and_b32_sdwa v78, v0, v1 dst_sel:DWORD dst_unused:UNUSED_PAD src0_sel:BYTE_3 src1_sel:DWORD
	v_lshrrev_b32_e32 v1, 3, v2
	v_cmpx_gt_u32_e32 8, v2
; %bb.423:                              ;   in Loop: Header=BB247_11 Depth=1
	v_ffbh_u32_e32 v1, v78
	v_min_u32_e32 v1, 32, v1
	v_subrev_nc_u32_e32 v2, 28, v1
	v_sub_nc_u32_e32 v1, 29, v1
	v_lshlrev_b64 v[2:3], v2, v[78:79]
	v_and_b32_e32 v78, 7, v2
; %bb.424:                              ;   in Loop: Header=BB247_11 Depth=1
	s_or_b32 exec_lo, exec_lo, s22
	v_mov_b32_e32 v2, 24
	v_lshl_add_u32 v1, v1, 23, 0x3c000000
	v_mov_b32_e32 v44, v79
	v_lshlrev_b32_sdwa v0, v2, v0 dst_sel:DWORD dst_unused:UNUSED_PAD src0_sel:DWORD src1_sel:BYTE_3
	v_lshlrev_b32_e32 v2, 20, v78
	v_and_b32_e32 v0, 0x80000000, v0
	v_or3_b32 v45, v2, v0, v1
.LBB247_425:                            ;   in Loop: Header=BB247_11 Depth=1
	s_or_b32 exec_lo, exec_lo, s21
.LBB247_426:                            ;   in Loop: Header=BB247_11 Depth=1
	s_or_b32 exec_lo, exec_lo, s17
.LBB247_427:                            ;   in Loop: Header=BB247_11 Depth=1
	s_or_b32 exec_lo, exec_lo, s13
	flat_load_dword v0, v[18:19] offset:1540
	v_mov_b32_e32 v58, 0
	v_mov_b32_e32 v56, 0
	;; [unrolled: 1-line block ×4, first 2 shown]
	s_waitcnt vmcnt(0) lgkmcnt(0)
	v_cmp_ne_u16_sdwa s5, v0, v79 src0_sel:BYTE_0 src1_sel:DWORD
	s_and_saveexec_b32 s13, s5
	s_cbranch_execz .LBB247_435
; %bb.428:                              ;   in Loop: Header=BB247_11 Depth=1
	v_bfrev_b32_e32 v56, 1
	v_mov_b32_e32 v57, 0
	v_cmp_ne_u16_sdwa s5, v0, v30 src0_sel:BYTE_0 src1_sel:DWORD
	s_and_saveexec_b32 s17, s5
	s_cbranch_execz .LBB247_434
; %bb.429:                              ;   in Loop: Header=BB247_11 Depth=1
	v_mov_b32_e32 v56, 0x7f800001
	v_and_b32_e32 v2, 0x7f, v0
	v_mov_b32_e32 v57, 0
	s_mov_b32 s21, exec_lo
	v_cmpx_ne_u32_e32 0x7f, v2
	s_cbranch_execz .LBB247_433
; %bb.430:                              ;   in Loop: Header=BB247_11 Depth=1
	v_and_b32_e32 v78, 7, v0
	v_lshrrev_b32_e32 v1, 3, v2
	s_mov_b32 s22, exec_lo
	v_cmpx_gt_u32_e32 8, v2
; %bb.431:                              ;   in Loop: Header=BB247_11 Depth=1
	v_ffbh_u32_e32 v1, v78
	v_min_u32_e32 v1, 32, v1
	v_subrev_nc_u32_e32 v2, 28, v1
	v_sub_nc_u32_e32 v1, 29, v1
	v_lshlrev_b64 v[2:3], v2, v[78:79]
	v_and_b32_e32 v78, 7, v2
; %bb.432:                              ;   in Loop: Header=BB247_11 Depth=1
	s_or_b32 exec_lo, exec_lo, s22
	v_lshlrev_b32_e32 v2, 24, v0
	v_lshlrev_b32_e32 v3, 20, v78
	v_lshl_add_u32 v1, v1, 23, 0x3c000000
	v_and_b32_e32 v2, 0x80000000, v2
	v_or3_b32 v78, v3, v2, v1
	v_mov_b32_e32 v56, v78
	v_mov_b32_e32 v57, v79
.LBB247_433:                            ;   in Loop: Header=BB247_11 Depth=1
	s_or_b32 exec_lo, exec_lo, s21
.LBB247_434:                            ;   in Loop: Header=BB247_11 Depth=1
	s_or_b32 exec_lo, exec_lo, s17
.LBB247_435:                            ;   in Loop: Header=BB247_11 Depth=1
	s_or_b32 exec_lo, exec_lo, s13
	v_cmp_ne_u16_sdwa s5, v0, v79 src0_sel:BYTE_1 src1_sel:DWORD
	s_and_saveexec_b32 s13, s5
	s_cbranch_execz .LBB247_443
; %bb.436:                              ;   in Loop: Header=BB247_11 Depth=1
	v_mov_b32_e32 v8, v79
	v_mov_b32_e32 v59, v9
	v_cmp_ne_u16_sdwa s5, v0, v30 src0_sel:BYTE_1 src1_sel:DWORD
	v_mov_b32_e32 v58, v8
	s_and_saveexec_b32 s17, s5
	s_cbranch_execz .LBB247_442
; %bb.437:                              ;   in Loop: Header=BB247_11 Depth=1
	v_mov_b32_e32 v1, 0xffff
	v_mov_b32_e32 v6, v79
	;; [unrolled: 1-line block ×3, first 2 shown]
	s_mov_b32 s21, exec_lo
	v_and_b32_sdwa v1, v1, v0 dst_sel:DWORD dst_unused:UNUSED_PAD src0_sel:DWORD src1_sel:BYTE_1
	v_mov_b32_e32 v58, v6
	v_and_b32_e32 v2, 0x7f, v1
	v_cmpx_ne_u32_e32 0x7f, v2
	s_cbranch_execz .LBB247_441
; %bb.438:                              ;   in Loop: Header=BB247_11 Depth=1
	v_and_b32_e32 v78, 7, v1
	v_lshrrev_b32_e32 v1, 3, v2
	s_mov_b32 s22, exec_lo
	v_cmpx_gt_u32_e32 8, v2
; %bb.439:                              ;   in Loop: Header=BB247_11 Depth=1
	v_ffbh_u32_e32 v1, v78
	v_min_u32_e32 v1, 32, v1
	v_subrev_nc_u32_e32 v2, 28, v1
	v_sub_nc_u32_e32 v1, 29, v1
	v_lshlrev_b64 v[2:3], v2, v[78:79]
	v_and_b32_e32 v78, 7, v2
; %bb.440:                              ;   in Loop: Header=BB247_11 Depth=1
	s_or_b32 exec_lo, exec_lo, s22
	v_lshlrev_b32_e32 v2, 16, v0
	v_lshlrev_b32_e32 v3, 20, v78
	v_lshl_add_u32 v1, v1, 23, 0x3c000000
	v_mov_b32_e32 v58, v79
	v_and_b32_e32 v2, 0x80000000, v2
	v_or3_b32 v59, v3, v2, v1
.LBB247_441:                            ;   in Loop: Header=BB247_11 Depth=1
	s_or_b32 exec_lo, exec_lo, s21
.LBB247_442:                            ;   in Loop: Header=BB247_11 Depth=1
	s_or_b32 exec_lo, exec_lo, s17
.LBB247_443:                            ;   in Loop: Header=BB247_11 Depth=1
	s_or_b32 exec_lo, exec_lo, s13
	v_mov_b32_e32 v60, 0
	v_mov_b32_e32 v62, 0
	v_and_b32_sdwa v1, v0, v31 dst_sel:DWORD dst_unused:UNUSED_PAD src0_sel:WORD_1 src1_sel:DWORD
	v_mov_b32_e32 v61, 0
	v_mov_b32_e32 v63, 0
	s_mov_b32 s13, exec_lo
	v_cmpx_ne_u16_e32 0, v1
	s_cbranch_execz .LBB247_451
; %bb.444:                              ;   in Loop: Header=BB247_11 Depth=1
	v_bfrev_b32_e32 v62, 1
	v_mov_b32_e32 v63, 0
	s_mov_b32 s17, exec_lo
	v_cmpx_ne_u16_e32 0x80, v1
	s_cbranch_execz .LBB247_450
; %bb.445:                              ;   in Loop: Header=BB247_11 Depth=1
	v_mov_b32_e32 v62, 0x7f800001
	v_bfe_u32 v2, v0, 16, 7
	v_mov_b32_e32 v63, 0
	s_mov_b32 s21, exec_lo
	v_cmpx_ne_u32_e32 0x7f, v2
	s_cbranch_execz .LBB247_449
; %bb.446:                              ;   in Loop: Header=BB247_11 Depth=1
	v_mov_b32_e32 v1, 7
	s_mov_b32 s22, exec_lo
	v_and_b32_sdwa v78, v0, v1 dst_sel:DWORD dst_unused:UNUSED_PAD src0_sel:WORD_1 src1_sel:DWORD
	v_lshrrev_b32_e32 v1, 3, v2
	v_cmpx_gt_u32_e32 8, v2
; %bb.447:                              ;   in Loop: Header=BB247_11 Depth=1
	v_ffbh_u32_e32 v1, v78
	v_min_u32_e32 v1, 32, v1
	v_subrev_nc_u32_e32 v2, 28, v1
	v_sub_nc_u32_e32 v1, 29, v1
	v_lshlrev_b64 v[2:3], v2, v[78:79]
	v_and_b32_e32 v78, 7, v2
; %bb.448:                              ;   in Loop: Header=BB247_11 Depth=1
	s_or_b32 exec_lo, exec_lo, s22
	v_mov_b32_e32 v2, 24
	v_lshlrev_b32_e32 v3, 20, v78
	v_lshl_add_u32 v1, v1, 23, 0x3c000000
	v_lshlrev_b32_sdwa v2, v2, v0 dst_sel:DWORD dst_unused:UNUSED_PAD src0_sel:DWORD src1_sel:WORD_1
	v_and_b32_e32 v2, 0x80000000, v2
	v_or3_b32 v78, v3, v2, v1
	v_mov_b32_e32 v62, v78
	v_mov_b32_e32 v63, v79
.LBB247_449:                            ;   in Loop: Header=BB247_11 Depth=1
	s_or_b32 exec_lo, exec_lo, s21
.LBB247_450:                            ;   in Loop: Header=BB247_11 Depth=1
	s_or_b32 exec_lo, exec_lo, s17
.LBB247_451:                            ;   in Loop: Header=BB247_11 Depth=1
	s_or_b32 exec_lo, exec_lo, s13
	s_mov_b32 s13, exec_lo
	v_cmpx_lt_u32_e32 0xffffff, v0
	s_cbranch_execz .LBB247_459
; %bb.452:                              ;   in Loop: Header=BB247_11 Depth=1
	v_mov_b32_e32 v8, v79
	v_mov_b32_e32 v61, v9
	v_cmp_ne_u32_sdwa s5, v0, v30 src0_sel:BYTE_3 src1_sel:DWORD
	v_mov_b32_e32 v60, v8
	s_and_saveexec_b32 s17, s5
	s_cbranch_execz .LBB247_458
; %bb.453:                              ;   in Loop: Header=BB247_11 Depth=1
	v_mov_b32_e32 v6, v79
	v_mov_b32_e32 v61, v7
	v_bfe_u32 v2, v0, 24, 7
	s_mov_b32 s21, exec_lo
	v_mov_b32_e32 v60, v6
	v_cmpx_ne_u32_e32 0x7f, v2
	s_cbranch_execz .LBB247_457
; %bb.454:                              ;   in Loop: Header=BB247_11 Depth=1
	v_mov_b32_e32 v1, 7
	s_mov_b32 s22, exec_lo
	v_and_b32_sdwa v78, v0, v1 dst_sel:DWORD dst_unused:UNUSED_PAD src0_sel:BYTE_3 src1_sel:DWORD
	v_lshrrev_b32_e32 v1, 3, v2
	v_cmpx_gt_u32_e32 8, v2
; %bb.455:                              ;   in Loop: Header=BB247_11 Depth=1
	v_ffbh_u32_e32 v1, v78
	v_min_u32_e32 v1, 32, v1
	v_subrev_nc_u32_e32 v2, 28, v1
	v_sub_nc_u32_e32 v1, 29, v1
	v_lshlrev_b64 v[2:3], v2, v[78:79]
	v_and_b32_e32 v78, 7, v2
; %bb.456:                              ;   in Loop: Header=BB247_11 Depth=1
	s_or_b32 exec_lo, exec_lo, s22
	v_mov_b32_e32 v2, 24
	v_lshl_add_u32 v1, v1, 23, 0x3c000000
	v_mov_b32_e32 v60, v79
	v_lshlrev_b32_sdwa v0, v2, v0 dst_sel:DWORD dst_unused:UNUSED_PAD src0_sel:DWORD src1_sel:BYTE_3
	v_lshlrev_b32_e32 v2, 20, v78
	v_and_b32_e32 v0, 0x80000000, v0
	v_or3_b32 v61, v2, v0, v1
.LBB247_457:                            ;   in Loop: Header=BB247_11 Depth=1
	s_or_b32 exec_lo, exec_lo, s21
.LBB247_458:                            ;   in Loop: Header=BB247_11 Depth=1
	s_or_b32 exec_lo, exec_lo, s17
.LBB247_459:                            ;   in Loop: Header=BB247_11 Depth=1
	s_or_b32 exec_lo, exec_lo, s13
	flat_load_dword v0, v[18:19] offset:1544
	v_mov_b32_e32 v74, 0
	v_mov_b32_e32 v72, 0
	;; [unrolled: 1-line block ×4, first 2 shown]
	s_waitcnt vmcnt(0) lgkmcnt(0)
	v_cmp_ne_u16_sdwa s5, v0, v79 src0_sel:BYTE_0 src1_sel:DWORD
	s_and_saveexec_b32 s13, s5
	s_cbranch_execz .LBB247_467
; %bb.460:                              ;   in Loop: Header=BB247_11 Depth=1
	v_bfrev_b32_e32 v72, 1
	v_mov_b32_e32 v73, 0
	v_cmp_ne_u16_sdwa s5, v0, v30 src0_sel:BYTE_0 src1_sel:DWORD
	s_and_saveexec_b32 s17, s5
	s_cbranch_execz .LBB247_466
; %bb.461:                              ;   in Loop: Header=BB247_11 Depth=1
	v_mov_b32_e32 v72, 0x7f800001
	v_and_b32_e32 v2, 0x7f, v0
	v_mov_b32_e32 v73, 0
	s_mov_b32 s21, exec_lo
	v_cmpx_ne_u32_e32 0x7f, v2
	s_cbranch_execz .LBB247_465
; %bb.462:                              ;   in Loop: Header=BB247_11 Depth=1
	v_and_b32_e32 v78, 7, v0
	v_lshrrev_b32_e32 v1, 3, v2
	s_mov_b32 s22, exec_lo
	v_cmpx_gt_u32_e32 8, v2
; %bb.463:                              ;   in Loop: Header=BB247_11 Depth=1
	v_ffbh_u32_e32 v1, v78
	v_min_u32_e32 v1, 32, v1
	v_subrev_nc_u32_e32 v2, 28, v1
	v_sub_nc_u32_e32 v1, 29, v1
	v_lshlrev_b64 v[2:3], v2, v[78:79]
	v_and_b32_e32 v78, 7, v2
; %bb.464:                              ;   in Loop: Header=BB247_11 Depth=1
	s_or_b32 exec_lo, exec_lo, s22
	v_lshlrev_b32_e32 v2, 24, v0
	v_lshlrev_b32_e32 v3, 20, v78
	v_lshl_add_u32 v1, v1, 23, 0x3c000000
	v_and_b32_e32 v2, 0x80000000, v2
	v_or3_b32 v78, v3, v2, v1
	v_mov_b32_e32 v72, v78
	v_mov_b32_e32 v73, v79
.LBB247_465:                            ;   in Loop: Header=BB247_11 Depth=1
	s_or_b32 exec_lo, exec_lo, s21
.LBB247_466:                            ;   in Loop: Header=BB247_11 Depth=1
	s_or_b32 exec_lo, exec_lo, s17
.LBB247_467:                            ;   in Loop: Header=BB247_11 Depth=1
	s_or_b32 exec_lo, exec_lo, s13
	v_cmp_ne_u16_sdwa s5, v0, v79 src0_sel:BYTE_1 src1_sel:DWORD
	s_and_saveexec_b32 s13, s5
	s_cbranch_execz .LBB247_475
; %bb.468:                              ;   in Loop: Header=BB247_11 Depth=1
	v_mov_b32_e32 v8, v79
	v_mov_b32_e32 v75, v9
	v_cmp_ne_u16_sdwa s5, v0, v30 src0_sel:BYTE_1 src1_sel:DWORD
	v_mov_b32_e32 v74, v8
	s_and_saveexec_b32 s17, s5
	s_cbranch_execz .LBB247_474
; %bb.469:                              ;   in Loop: Header=BB247_11 Depth=1
	v_mov_b32_e32 v1, 0xffff
	v_mov_b32_e32 v6, v79
	;; [unrolled: 1-line block ×3, first 2 shown]
	s_mov_b32 s21, exec_lo
	v_and_b32_sdwa v1, v1, v0 dst_sel:DWORD dst_unused:UNUSED_PAD src0_sel:DWORD src1_sel:BYTE_1
	v_mov_b32_e32 v74, v6
	v_and_b32_e32 v2, 0x7f, v1
	v_cmpx_ne_u32_e32 0x7f, v2
	s_cbranch_execz .LBB247_473
; %bb.470:                              ;   in Loop: Header=BB247_11 Depth=1
	v_and_b32_e32 v78, 7, v1
	v_lshrrev_b32_e32 v1, 3, v2
	s_mov_b32 s22, exec_lo
	v_cmpx_gt_u32_e32 8, v2
; %bb.471:                              ;   in Loop: Header=BB247_11 Depth=1
	v_ffbh_u32_e32 v1, v78
	v_min_u32_e32 v1, 32, v1
	v_subrev_nc_u32_e32 v2, 28, v1
	v_sub_nc_u32_e32 v1, 29, v1
	v_lshlrev_b64 v[2:3], v2, v[78:79]
	v_and_b32_e32 v78, 7, v2
; %bb.472:                              ;   in Loop: Header=BB247_11 Depth=1
	s_or_b32 exec_lo, exec_lo, s22
	v_lshlrev_b32_e32 v2, 16, v0
	v_lshlrev_b32_e32 v3, 20, v78
	v_lshl_add_u32 v1, v1, 23, 0x3c000000
	v_mov_b32_e32 v74, v79
	v_and_b32_e32 v2, 0x80000000, v2
	v_or3_b32 v75, v3, v2, v1
.LBB247_473:                            ;   in Loop: Header=BB247_11 Depth=1
	s_or_b32 exec_lo, exec_lo, s21
.LBB247_474:                            ;   in Loop: Header=BB247_11 Depth=1
	s_or_b32 exec_lo, exec_lo, s17
.LBB247_475:                            ;   in Loop: Header=BB247_11 Depth=1
	s_or_b32 exec_lo, exec_lo, s13
	v_mov_b32_e32 v104, 0
	v_mov_b32_e32 v110, 0
	v_and_b32_sdwa v1, v0, v31 dst_sel:DWORD dst_unused:UNUSED_PAD src0_sel:WORD_1 src1_sel:DWORD
	v_mov_b32_e32 v105, 0
	v_mov_b32_e32 v111, 0
	s_mov_b32 s13, exec_lo
	v_cmpx_ne_u16_e32 0, v1
	s_cbranch_execz .LBB247_483
; %bb.476:                              ;   in Loop: Header=BB247_11 Depth=1
	v_bfrev_b32_e32 v110, 1
	v_mov_b32_e32 v111, 0
	s_mov_b32 s17, exec_lo
	v_cmpx_ne_u16_e32 0x80, v1
	s_cbranch_execz .LBB247_482
; %bb.477:                              ;   in Loop: Header=BB247_11 Depth=1
	v_mov_b32_e32 v110, 0x7f800001
	v_bfe_u32 v2, v0, 16, 7
	v_mov_b32_e32 v111, 0
	s_mov_b32 s21, exec_lo
	v_cmpx_ne_u32_e32 0x7f, v2
	s_cbranch_execz .LBB247_481
; %bb.478:                              ;   in Loop: Header=BB247_11 Depth=1
	v_mov_b32_e32 v1, 7
	s_mov_b32 s22, exec_lo
	v_and_b32_sdwa v78, v0, v1 dst_sel:DWORD dst_unused:UNUSED_PAD src0_sel:WORD_1 src1_sel:DWORD
	v_lshrrev_b32_e32 v1, 3, v2
	v_cmpx_gt_u32_e32 8, v2
; %bb.479:                              ;   in Loop: Header=BB247_11 Depth=1
	v_ffbh_u32_e32 v1, v78
	v_min_u32_e32 v1, 32, v1
	v_subrev_nc_u32_e32 v2, 28, v1
	v_sub_nc_u32_e32 v1, 29, v1
	v_lshlrev_b64 v[2:3], v2, v[78:79]
	v_and_b32_e32 v78, 7, v2
; %bb.480:                              ;   in Loop: Header=BB247_11 Depth=1
	s_or_b32 exec_lo, exec_lo, s22
	v_mov_b32_e32 v2, 24
	v_lshlrev_b32_e32 v3, 20, v78
	v_lshl_add_u32 v1, v1, 23, 0x3c000000
	v_lshlrev_b32_sdwa v2, v2, v0 dst_sel:DWORD dst_unused:UNUSED_PAD src0_sel:DWORD src1_sel:WORD_1
	v_and_b32_e32 v2, 0x80000000, v2
	v_or3_b32 v78, v3, v2, v1
	v_mov_b32_e32 v111, v79
	v_mov_b32_e32 v110, v78
.LBB247_481:                            ;   in Loop: Header=BB247_11 Depth=1
	s_or_b32 exec_lo, exec_lo, s21
.LBB247_482:                            ;   in Loop: Header=BB247_11 Depth=1
	s_or_b32 exec_lo, exec_lo, s17
.LBB247_483:                            ;   in Loop: Header=BB247_11 Depth=1
	s_or_b32 exec_lo, exec_lo, s13
	s_mov_b32 s13, exec_lo
	v_cmpx_lt_u32_e32 0xffffff, v0
	s_cbranch_execz .LBB247_491
; %bb.484:                              ;   in Loop: Header=BB247_11 Depth=1
	v_mov_b32_e32 v8, v79
	v_mov_b32_e32 v105, v9
	v_cmp_ne_u32_sdwa s5, v0, v30 src0_sel:BYTE_3 src1_sel:DWORD
	v_mov_b32_e32 v104, v8
	s_and_saveexec_b32 s17, s5
	s_cbranch_execz .LBB247_490
; %bb.485:                              ;   in Loop: Header=BB247_11 Depth=1
	v_mov_b32_e32 v6, v79
	v_mov_b32_e32 v105, v7
	v_bfe_u32 v2, v0, 24, 7
	s_mov_b32 s21, exec_lo
	v_mov_b32_e32 v104, v6
	v_cmpx_ne_u32_e32 0x7f, v2
	s_cbranch_execz .LBB247_489
; %bb.486:                              ;   in Loop: Header=BB247_11 Depth=1
	v_mov_b32_e32 v1, 7
	s_mov_b32 s22, exec_lo
	v_and_b32_sdwa v78, v0, v1 dst_sel:DWORD dst_unused:UNUSED_PAD src0_sel:BYTE_3 src1_sel:DWORD
	v_lshrrev_b32_e32 v1, 3, v2
	v_cmpx_gt_u32_e32 8, v2
; %bb.487:                              ;   in Loop: Header=BB247_11 Depth=1
	v_ffbh_u32_e32 v1, v78
	v_min_u32_e32 v1, 32, v1
	v_subrev_nc_u32_e32 v2, 28, v1
	v_sub_nc_u32_e32 v1, 29, v1
	v_lshlrev_b64 v[2:3], v2, v[78:79]
	v_and_b32_e32 v78, 7, v2
; %bb.488:                              ;   in Loop: Header=BB247_11 Depth=1
	s_or_b32 exec_lo, exec_lo, s22
	v_mov_b32_e32 v2, 24
	v_lshl_add_u32 v1, v1, 23, 0x3c000000
	v_mov_b32_e32 v104, v79
	v_lshlrev_b32_sdwa v0, v2, v0 dst_sel:DWORD dst_unused:UNUSED_PAD src0_sel:DWORD src1_sel:BYTE_3
	v_lshlrev_b32_e32 v2, 20, v78
	v_and_b32_e32 v0, 0x80000000, v0
	v_or3_b32 v105, v2, v0, v1
.LBB247_489:                            ;   in Loop: Header=BB247_11 Depth=1
	s_or_b32 exec_lo, exec_lo, s21
.LBB247_490:                            ;   in Loop: Header=BB247_11 Depth=1
	s_or_b32 exec_lo, exec_lo, s17
.LBB247_491:                            ;   in Loop: Header=BB247_11 Depth=1
	s_or_b32 exec_lo, exec_lo, s13
	flat_load_dword v0, v[18:19] offset:1548
	v_mov_b32_e32 v106, 0
	v_mov_b32_e32 v120, 0
	v_mov_b32_e32 v107, 0
	v_mov_b32_e32 v121, 0
	s_waitcnt vmcnt(0) lgkmcnt(0)
	v_cmp_ne_u16_sdwa s5, v0, v79 src0_sel:BYTE_0 src1_sel:DWORD
	s_and_saveexec_b32 s13, s5
	s_cbranch_execz .LBB247_499
; %bb.492:                              ;   in Loop: Header=BB247_11 Depth=1
	v_bfrev_b32_e32 v120, 1
	v_mov_b32_e32 v121, 0
	v_cmp_ne_u16_sdwa s5, v0, v30 src0_sel:BYTE_0 src1_sel:DWORD
	s_and_saveexec_b32 s17, s5
	s_cbranch_execz .LBB247_498
; %bb.493:                              ;   in Loop: Header=BB247_11 Depth=1
	v_mov_b32_e32 v120, 0x7f800001
	v_and_b32_e32 v2, 0x7f, v0
	v_mov_b32_e32 v121, 0
	s_mov_b32 s21, exec_lo
	v_cmpx_ne_u32_e32 0x7f, v2
	s_cbranch_execz .LBB247_497
; %bb.494:                              ;   in Loop: Header=BB247_11 Depth=1
	v_and_b32_e32 v78, 7, v0
	v_lshrrev_b32_e32 v1, 3, v2
	s_mov_b32 s22, exec_lo
	v_cmpx_gt_u32_e32 8, v2
; %bb.495:                              ;   in Loop: Header=BB247_11 Depth=1
	v_ffbh_u32_e32 v1, v78
	v_min_u32_e32 v1, 32, v1
	v_subrev_nc_u32_e32 v2, 28, v1
	v_sub_nc_u32_e32 v1, 29, v1
	v_lshlrev_b64 v[2:3], v2, v[78:79]
	v_and_b32_e32 v78, 7, v2
; %bb.496:                              ;   in Loop: Header=BB247_11 Depth=1
	s_or_b32 exec_lo, exec_lo, s22
	v_lshlrev_b32_e32 v2, 24, v0
	v_lshlrev_b32_e32 v3, 20, v78
	v_lshl_add_u32 v1, v1, 23, 0x3c000000
	v_and_b32_e32 v2, 0x80000000, v2
	v_or3_b32 v78, v3, v2, v1
	v_mov_b32_e32 v121, v79
	v_mov_b32_e32 v120, v78
.LBB247_497:                            ;   in Loop: Header=BB247_11 Depth=1
	s_or_b32 exec_lo, exec_lo, s21
.LBB247_498:                            ;   in Loop: Header=BB247_11 Depth=1
	s_or_b32 exec_lo, exec_lo, s17
.LBB247_499:                            ;   in Loop: Header=BB247_11 Depth=1
	s_or_b32 exec_lo, exec_lo, s13
	v_cmp_ne_u16_sdwa s5, v0, v79 src0_sel:BYTE_1 src1_sel:DWORD
	s_and_saveexec_b32 s13, s5
	s_cbranch_execz .LBB247_507
; %bb.500:                              ;   in Loop: Header=BB247_11 Depth=1
	v_mov_b32_e32 v8, v79
	v_mov_b32_e32 v107, v9
	v_cmp_ne_u16_sdwa s5, v0, v30 src0_sel:BYTE_1 src1_sel:DWORD
	v_mov_b32_e32 v106, v8
	s_and_saveexec_b32 s17, s5
	s_cbranch_execz .LBB247_506
; %bb.501:                              ;   in Loop: Header=BB247_11 Depth=1
	v_mov_b32_e32 v1, 0xffff
	v_mov_b32_e32 v6, v79
	;; [unrolled: 1-line block ×3, first 2 shown]
	s_mov_b32 s21, exec_lo
	v_and_b32_sdwa v1, v1, v0 dst_sel:DWORD dst_unused:UNUSED_PAD src0_sel:DWORD src1_sel:BYTE_1
	v_mov_b32_e32 v106, v6
	v_and_b32_e32 v2, 0x7f, v1
	v_cmpx_ne_u32_e32 0x7f, v2
	s_cbranch_execz .LBB247_505
; %bb.502:                              ;   in Loop: Header=BB247_11 Depth=1
	v_and_b32_e32 v78, 7, v1
	v_lshrrev_b32_e32 v1, 3, v2
	s_mov_b32 s22, exec_lo
	v_cmpx_gt_u32_e32 8, v2
; %bb.503:                              ;   in Loop: Header=BB247_11 Depth=1
	v_ffbh_u32_e32 v1, v78
	v_min_u32_e32 v1, 32, v1
	v_subrev_nc_u32_e32 v2, 28, v1
	v_sub_nc_u32_e32 v1, 29, v1
	v_lshlrev_b64 v[2:3], v2, v[78:79]
	v_and_b32_e32 v78, 7, v2
; %bb.504:                              ;   in Loop: Header=BB247_11 Depth=1
	s_or_b32 exec_lo, exec_lo, s22
	v_lshlrev_b32_e32 v2, 16, v0
	v_lshlrev_b32_e32 v3, 20, v78
	v_lshl_add_u32 v1, v1, 23, 0x3c000000
	v_mov_b32_e32 v106, v79
	v_and_b32_e32 v2, 0x80000000, v2
	v_or3_b32 v107, v3, v2, v1
.LBB247_505:                            ;   in Loop: Header=BB247_11 Depth=1
	s_or_b32 exec_lo, exec_lo, s21
.LBB247_506:                            ;   in Loop: Header=BB247_11 Depth=1
	s_or_b32 exec_lo, exec_lo, s17
.LBB247_507:                            ;   in Loop: Header=BB247_11 Depth=1
	s_or_b32 exec_lo, exec_lo, s13
	v_mov_b32_e32 v126, 0
	v_mov_b32_e32 v108, 0
	v_and_b32_sdwa v1, v0, v31 dst_sel:DWORD dst_unused:UNUSED_PAD src0_sel:WORD_1 src1_sel:DWORD
	v_mov_b32_e32 v127, 0
	v_mov_b32_e32 v109, 0
	s_mov_b32 s13, exec_lo
	v_cmpx_ne_u16_e32 0, v1
	s_cbranch_execz .LBB247_515
; %bb.508:                              ;   in Loop: Header=BB247_11 Depth=1
	v_bfrev_b32_e32 v108, 1
	v_mov_b32_e32 v109, 0
	s_mov_b32 s17, exec_lo
	v_cmpx_ne_u16_e32 0x80, v1
	s_cbranch_execz .LBB247_514
; %bb.509:                              ;   in Loop: Header=BB247_11 Depth=1
	v_mov_b32_e32 v108, 0x7f800001
	v_bfe_u32 v2, v0, 16, 7
	v_mov_b32_e32 v109, 0
	s_mov_b32 s21, exec_lo
	v_cmpx_ne_u32_e32 0x7f, v2
	s_cbranch_execz .LBB247_513
; %bb.510:                              ;   in Loop: Header=BB247_11 Depth=1
	v_mov_b32_e32 v1, 7
	s_mov_b32 s22, exec_lo
	v_and_b32_sdwa v78, v0, v1 dst_sel:DWORD dst_unused:UNUSED_PAD src0_sel:WORD_1 src1_sel:DWORD
	v_lshrrev_b32_e32 v1, 3, v2
	v_cmpx_gt_u32_e32 8, v2
; %bb.511:                              ;   in Loop: Header=BB247_11 Depth=1
	v_ffbh_u32_e32 v1, v78
	v_min_u32_e32 v1, 32, v1
	v_subrev_nc_u32_e32 v2, 28, v1
	v_sub_nc_u32_e32 v1, 29, v1
	v_lshlrev_b64 v[2:3], v2, v[78:79]
	v_and_b32_e32 v78, 7, v2
; %bb.512:                              ;   in Loop: Header=BB247_11 Depth=1
	s_or_b32 exec_lo, exec_lo, s22
	v_mov_b32_e32 v2, 24
	v_lshlrev_b32_e32 v3, 20, v78
	v_lshl_add_u32 v1, v1, 23, 0x3c000000
	v_lshlrev_b32_sdwa v2, v2, v0 dst_sel:DWORD dst_unused:UNUSED_PAD src0_sel:DWORD src1_sel:WORD_1
	v_and_b32_e32 v2, 0x80000000, v2
	v_or3_b32 v78, v3, v2, v1
	v_mov_b32_e32 v109, v79
	v_mov_b32_e32 v108, v78
.LBB247_513:                            ;   in Loop: Header=BB247_11 Depth=1
	s_or_b32 exec_lo, exec_lo, s21
.LBB247_514:                            ;   in Loop: Header=BB247_11 Depth=1
	s_or_b32 exec_lo, exec_lo, s17
.LBB247_515:                            ;   in Loop: Header=BB247_11 Depth=1
	s_or_b32 exec_lo, exec_lo, s13
	s_mov_b32 s13, exec_lo
	v_cmpx_lt_u32_e32 0xffffff, v0
	s_cbranch_execz .LBB247_523
; %bb.516:                              ;   in Loop: Header=BB247_11 Depth=1
	v_mov_b32_e32 v8, v79
	v_mov_b32_e32 v127, v9
	v_cmp_ne_u32_sdwa s5, v0, v30 src0_sel:BYTE_3 src1_sel:DWORD
	v_mov_b32_e32 v126, v8
	s_and_saveexec_b32 s17, s5
	s_cbranch_execz .LBB247_522
; %bb.517:                              ;   in Loop: Header=BB247_11 Depth=1
	v_mov_b32_e32 v6, v79
	v_mov_b32_e32 v127, v7
	v_bfe_u32 v2, v0, 24, 7
	s_mov_b32 s21, exec_lo
	v_mov_b32_e32 v126, v6
	v_cmpx_ne_u32_e32 0x7f, v2
	s_cbranch_execz .LBB247_521
; %bb.518:                              ;   in Loop: Header=BB247_11 Depth=1
	v_mov_b32_e32 v1, 7
	s_mov_b32 s22, exec_lo
	v_and_b32_sdwa v78, v0, v1 dst_sel:DWORD dst_unused:UNUSED_PAD src0_sel:BYTE_3 src1_sel:DWORD
	v_lshrrev_b32_e32 v1, 3, v2
	v_cmpx_gt_u32_e32 8, v2
; %bb.519:                              ;   in Loop: Header=BB247_11 Depth=1
	v_ffbh_u32_e32 v1, v78
	v_min_u32_e32 v1, 32, v1
	v_subrev_nc_u32_e32 v2, 28, v1
	v_sub_nc_u32_e32 v1, 29, v1
	v_lshlrev_b64 v[2:3], v2, v[78:79]
	v_and_b32_e32 v78, 7, v2
; %bb.520:                              ;   in Loop: Header=BB247_11 Depth=1
	s_or_b32 exec_lo, exec_lo, s22
	v_mov_b32_e32 v2, 24
	v_lshl_add_u32 v1, v1, 23, 0x3c000000
	v_mov_b32_e32 v126, v79
	v_lshlrev_b32_sdwa v0, v2, v0 dst_sel:DWORD dst_unused:UNUSED_PAD src0_sel:DWORD src1_sel:BYTE_3
	v_lshlrev_b32_e32 v2, 20, v78
	v_and_b32_e32 v0, 0x80000000, v0
	v_or3_b32 v127, v2, v0, v1
.LBB247_521:                            ;   in Loop: Header=BB247_11 Depth=1
	s_or_b32 exec_lo, exec_lo, s21
.LBB247_522:                            ;   in Loop: Header=BB247_11 Depth=1
	s_or_b32 exec_lo, exec_lo, s17
.LBB247_523:                            ;   in Loop: Header=BB247_11 Depth=1
	s_or_b32 exec_lo, exec_lo, s13
	v_add_co_u32 v124, s5, 0x800, v18
	v_add_co_ci_u32_e64 v125, null, 0, v19, s5
	v_mov_b32_e32 v76, 0
	v_mov_b32_e32 v18, 0
	;; [unrolled: 1-line block ×3, first 2 shown]
	flat_load_dword v2, v[124:125]
	v_mov_b32_e32 v19, 0
	s_waitcnt vmcnt(0) lgkmcnt(0)
	v_cmp_ne_u16_sdwa s5, v2, v79 src0_sel:BYTE_0 src1_sel:DWORD
	s_and_saveexec_b32 s13, s5
	s_cbranch_execz .LBB247_531
; %bb.524:                              ;   in Loop: Header=BB247_11 Depth=1
	v_bfrev_b32_e32 v18, 1
	v_mov_b32_e32 v19, 0
	v_cmp_ne_u16_sdwa s5, v2, v30 src0_sel:BYTE_0 src1_sel:DWORD
	s_and_saveexec_b32 s17, s5
	s_cbranch_execz .LBB247_530
; %bb.525:                              ;   in Loop: Header=BB247_11 Depth=1
	v_mov_b32_e32 v18, 0x7f800001
	v_and_b32_e32 v1, 0x7f, v2
	v_mov_b32_e32 v19, 0
	s_mov_b32 s21, exec_lo
	v_cmpx_ne_u32_e32 0x7f, v1
	s_cbranch_execz .LBB247_529
; %bb.526:                              ;   in Loop: Header=BB247_11 Depth=1
	v_and_b32_e32 v78, 7, v2
	v_lshrrev_b32_e32 v0, 3, v1
	s_mov_b32 s22, exec_lo
	v_cmpx_gt_u32_e32 8, v1
; %bb.527:                              ;   in Loop: Header=BB247_11 Depth=1
	v_ffbh_u32_e32 v0, v78
	v_min_u32_e32 v0, 32, v0
	v_subrev_nc_u32_e32 v1, 28, v0
	v_sub_nc_u32_e32 v0, 29, v0
	v_lshlrev_b64 v[3:4], v1, v[78:79]
	v_and_b32_e32 v78, 7, v3
; %bb.528:                              ;   in Loop: Header=BB247_11 Depth=1
	s_or_b32 exec_lo, exec_lo, s22
	v_lshlrev_b32_e32 v1, 24, v2
	v_lshlrev_b32_e32 v3, 20, v78
	v_lshl_add_u32 v0, v0, 23, 0x3c000000
	v_and_b32_e32 v1, 0x80000000, v1
	v_or3_b32 v78, v3, v1, v0
	v_mov_b32_e32 v18, v78
	v_mov_b32_e32 v19, v79
.LBB247_529:                            ;   in Loop: Header=BB247_11 Depth=1
	s_or_b32 exec_lo, exec_lo, s21
.LBB247_530:                            ;   in Loop: Header=BB247_11 Depth=1
	s_or_b32 exec_lo, exec_lo, s17
.LBB247_531:                            ;   in Loop: Header=BB247_11 Depth=1
	s_or_b32 exec_lo, exec_lo, s13
	v_cmp_ne_u16_sdwa s5, v2, v79 src0_sel:BYTE_1 src1_sel:DWORD
	s_and_saveexec_b32 s13, s5
	s_cbranch_execz .LBB247_539
; %bb.532:                              ;   in Loop: Header=BB247_11 Depth=1
	v_mov_b32_e32 v8, v79
	v_mov_b32_e32 v77, v9
	v_cmp_ne_u16_sdwa s5, v2, v30 src0_sel:BYTE_1 src1_sel:DWORD
	v_mov_b32_e32 v76, v8
	s_and_saveexec_b32 s17, s5
	s_cbranch_execz .LBB247_538
; %bb.533:                              ;   in Loop: Header=BB247_11 Depth=1
	v_mov_b32_e32 v0, 0xffff
	v_mov_b32_e32 v6, v79
	;; [unrolled: 1-line block ×3, first 2 shown]
	s_mov_b32 s21, exec_lo
	v_and_b32_sdwa v0, v0, v2 dst_sel:DWORD dst_unused:UNUSED_PAD src0_sel:DWORD src1_sel:BYTE_1
	v_mov_b32_e32 v76, v6
	v_and_b32_e32 v1, 0x7f, v0
	v_cmpx_ne_u32_e32 0x7f, v1
	s_cbranch_execz .LBB247_537
; %bb.534:                              ;   in Loop: Header=BB247_11 Depth=1
	v_and_b32_e32 v78, 7, v0
	v_lshrrev_b32_e32 v0, 3, v1
	s_mov_b32 s22, exec_lo
	v_cmpx_gt_u32_e32 8, v1
; %bb.535:                              ;   in Loop: Header=BB247_11 Depth=1
	v_ffbh_u32_e32 v0, v78
	v_min_u32_e32 v0, 32, v0
	v_subrev_nc_u32_e32 v1, 28, v0
	v_sub_nc_u32_e32 v0, 29, v0
	v_lshlrev_b64 v[3:4], v1, v[78:79]
	v_and_b32_e32 v78, 7, v3
; %bb.536:                              ;   in Loop: Header=BB247_11 Depth=1
	s_or_b32 exec_lo, exec_lo, s22
	v_lshlrev_b32_e32 v1, 16, v2
	v_lshlrev_b32_e32 v3, 20, v78
	v_lshl_add_u32 v0, v0, 23, 0x3c000000
	v_mov_b32_e32 v76, v79
	v_and_b32_e32 v1, 0x80000000, v1
	v_or3_b32 v77, v3, v1, v0
.LBB247_537:                            ;   in Loop: Header=BB247_11 Depth=1
	s_or_b32 exec_lo, exec_lo, s21
.LBB247_538:                            ;   in Loop: Header=BB247_11 Depth=1
	s_or_b32 exec_lo, exec_lo, s17
.LBB247_539:                            ;   in Loop: Header=BB247_11 Depth=1
	s_or_b32 exec_lo, exec_lo, s13
	v_mov_b32_e32 v122, 0
	v_mov_b32_e32 v0, 0
	v_and_b32_sdwa v3, v2, v31 dst_sel:DWORD dst_unused:UNUSED_PAD src0_sel:WORD_1 src1_sel:DWORD
	v_mov_b32_e32 v123, 0
	v_mov_b32_e32 v1, 0
	s_mov_b32 s13, exec_lo
	v_cmpx_ne_u16_e32 0, v3
	s_cbranch_execz .LBB247_547
; %bb.540:                              ;   in Loop: Header=BB247_11 Depth=1
	v_bfrev_b32_e32 v0, 1
	v_mov_b32_e32 v1, 0
	s_mov_b32 s17, exec_lo
	v_cmpx_ne_u16_e32 0x80, v3
	s_cbranch_execz .LBB247_546
; %bb.541:                              ;   in Loop: Header=BB247_11 Depth=1
	v_mov_b32_e32 v0, 0x7f800001
	v_bfe_u32 v3, v2, 16, 7
	v_mov_b32_e32 v1, 0
	s_mov_b32 s21, exec_lo
	v_cmpx_ne_u32_e32 0x7f, v3
	s_cbranch_execz .LBB247_545
; %bb.542:                              ;   in Loop: Header=BB247_11 Depth=1
	v_mov_b32_e32 v0, 7
	s_mov_b32 s22, exec_lo
	v_and_b32_sdwa v78, v2, v0 dst_sel:DWORD dst_unused:UNUSED_PAD src0_sel:WORD_1 src1_sel:DWORD
	v_lshrrev_b32_e32 v0, 3, v3
	v_cmpx_gt_u32_e32 8, v3
; %bb.543:                              ;   in Loop: Header=BB247_11 Depth=1
	v_ffbh_u32_e32 v0, v78
	v_min_u32_e32 v0, 32, v0
	v_subrev_nc_u32_e32 v1, 28, v0
	v_sub_nc_u32_e32 v0, 29, v0
	v_lshlrev_b64 v[3:4], v1, v[78:79]
	v_and_b32_e32 v78, 7, v3
; %bb.544:                              ;   in Loop: Header=BB247_11 Depth=1
	s_or_b32 exec_lo, exec_lo, s22
	v_mov_b32_e32 v1, 24
	v_lshlrev_b32_e32 v3, 20, v78
	v_lshl_add_u32 v0, v0, 23, 0x3c000000
	v_lshlrev_b32_sdwa v1, v1, v2 dst_sel:DWORD dst_unused:UNUSED_PAD src0_sel:DWORD src1_sel:WORD_1
	v_and_b32_e32 v1, 0x80000000, v1
	v_or3_b32 v78, v3, v1, v0
	v_mov_b32_e32 v0, v78
	v_mov_b32_e32 v1, v79
.LBB247_545:                            ;   in Loop: Header=BB247_11 Depth=1
	s_or_b32 exec_lo, exec_lo, s21
.LBB247_546:                            ;   in Loop: Header=BB247_11 Depth=1
	s_or_b32 exec_lo, exec_lo, s17
.LBB247_547:                            ;   in Loop: Header=BB247_11 Depth=1
	s_or_b32 exec_lo, exec_lo, s13
	s_mov_b32 s13, exec_lo
	v_cmpx_lt_u32_e32 0xffffff, v2
	s_cbranch_execz .LBB247_555
; %bb.548:                              ;   in Loop: Header=BB247_11 Depth=1
	v_mov_b32_e32 v8, v79
	v_mov_b32_e32 v123, v9
	v_cmp_ne_u32_sdwa s5, v2, v30 src0_sel:BYTE_3 src1_sel:DWORD
	v_mov_b32_e32 v122, v8
	s_and_saveexec_b32 s17, s5
	s_cbranch_execz .LBB247_554
; %bb.549:                              ;   in Loop: Header=BB247_11 Depth=1
	v_mov_b32_e32 v6, v79
	v_mov_b32_e32 v123, v7
	v_bfe_u32 v4, v2, 24, 7
	s_mov_b32 s21, exec_lo
	v_mov_b32_e32 v122, v6
	v_cmpx_ne_u32_e32 0x7f, v4
	s_cbranch_execz .LBB247_553
; %bb.550:                              ;   in Loop: Header=BB247_11 Depth=1
	v_mov_b32_e32 v3, 7
	s_mov_b32 s22, exec_lo
	v_and_b32_sdwa v78, v2, v3 dst_sel:DWORD dst_unused:UNUSED_PAD src0_sel:BYTE_3 src1_sel:DWORD
	v_lshrrev_b32_e32 v3, 3, v4
	v_cmpx_gt_u32_e32 8, v4
; %bb.551:                              ;   in Loop: Header=BB247_11 Depth=1
	v_ffbh_u32_e32 v3, v78
	v_min_u32_e32 v3, 32, v3
	v_subrev_nc_u32_e32 v4, 28, v3
	v_sub_nc_u32_e32 v3, 29, v3
	v_lshlrev_b64 v[4:5], v4, v[78:79]
	v_and_b32_e32 v78, 7, v4
; %bb.552:                              ;   in Loop: Header=BB247_11 Depth=1
	s_or_b32 exec_lo, exec_lo, s22
	v_mov_b32_e32 v4, 24
	v_lshl_add_u32 v3, v3, 23, 0x3c000000
	v_mov_b32_e32 v122, v79
	v_lshlrev_b32_sdwa v2, v4, v2 dst_sel:DWORD dst_unused:UNUSED_PAD src0_sel:DWORD src1_sel:BYTE_3
	v_lshlrev_b32_e32 v4, 20, v78
	v_and_b32_e32 v2, 0x80000000, v2
	v_or3_b32 v123, v4, v2, v3
.LBB247_553:                            ;   in Loop: Header=BB247_11 Depth=1
	s_or_b32 exec_lo, exec_lo, s21
.LBB247_554:                            ;   in Loop: Header=BB247_11 Depth=1
	s_or_b32 exec_lo, exec_lo, s17
.LBB247_555:                            ;   in Loop: Header=BB247_11 Depth=1
	s_or_b32 exec_lo, exec_lo, s13
	flat_load_dword v11, v[124:125] offset:4
	v_mov_b32_e32 v94, 0
	v_mov_b32_e32 v2, 0
	;; [unrolled: 1-line block ×4, first 2 shown]
	s_waitcnt vmcnt(0) lgkmcnt(0)
	v_cmp_ne_u16_sdwa s5, v11, v79 src0_sel:BYTE_0 src1_sel:DWORD
	s_and_saveexec_b32 s13, s5
	s_cbranch_execz .LBB247_563
; %bb.556:                              ;   in Loop: Header=BB247_11 Depth=1
	v_bfrev_b32_e32 v2, 1
	v_mov_b32_e32 v3, 0
	v_cmp_ne_u16_sdwa s5, v11, v30 src0_sel:BYTE_0 src1_sel:DWORD
	s_and_saveexec_b32 s17, s5
	s_cbranch_execz .LBB247_562
; %bb.557:                              ;   in Loop: Header=BB247_11 Depth=1
	v_mov_b32_e32 v2, 0x7f800001
	v_and_b32_e32 v4, 0x7f, v11
	v_mov_b32_e32 v3, 0
	s_mov_b32 s21, exec_lo
	v_cmpx_ne_u32_e32 0x7f, v4
	s_cbranch_execz .LBB247_561
; %bb.558:                              ;   in Loop: Header=BB247_11 Depth=1
	v_and_b32_e32 v78, 7, v11
	v_lshrrev_b32_e32 v2, 3, v4
	s_mov_b32 s22, exec_lo
	v_cmpx_gt_u32_e32 8, v4
; %bb.559:                              ;   in Loop: Header=BB247_11 Depth=1
	v_ffbh_u32_e32 v2, v78
	v_min_u32_e32 v2, 32, v2
	v_subrev_nc_u32_e32 v3, 28, v2
	v_sub_nc_u32_e32 v2, 29, v2
	v_lshlrev_b64 v[3:4], v3, v[78:79]
	v_and_b32_e32 v78, 7, v3
; %bb.560:                              ;   in Loop: Header=BB247_11 Depth=1
	s_or_b32 exec_lo, exec_lo, s22
	v_lshlrev_b32_e32 v3, 24, v11
	v_lshlrev_b32_e32 v4, 20, v78
	v_lshl_add_u32 v2, v2, 23, 0x3c000000
	v_and_b32_e32 v3, 0x80000000, v3
	v_or3_b32 v78, v4, v3, v2
	v_mov_b32_e32 v2, v78
	v_mov_b32_e32 v3, v79
.LBB247_561:                            ;   in Loop: Header=BB247_11 Depth=1
	s_or_b32 exec_lo, exec_lo, s21
.LBB247_562:                            ;   in Loop: Header=BB247_11 Depth=1
	s_or_b32 exec_lo, exec_lo, s17
.LBB247_563:                            ;   in Loop: Header=BB247_11 Depth=1
	s_or_b32 exec_lo, exec_lo, s13
	v_cmp_ne_u16_sdwa s5, v11, v79 src0_sel:BYTE_1 src1_sel:DWORD
	s_and_saveexec_b32 s13, s5
	s_cbranch_execz .LBB247_571
; %bb.564:                              ;   in Loop: Header=BB247_11 Depth=1
	v_mov_b32_e32 v8, v79
	v_mov_b32_e32 v95, v9
	v_cmp_ne_u16_sdwa s5, v11, v30 src0_sel:BYTE_1 src1_sel:DWORD
	v_mov_b32_e32 v94, v8
	s_and_saveexec_b32 s17, s5
	s_cbranch_execz .LBB247_570
; %bb.565:                              ;   in Loop: Header=BB247_11 Depth=1
	v_mov_b32_e32 v4, 0xffff
	v_mov_b32_e32 v6, v79
	;; [unrolled: 1-line block ×3, first 2 shown]
	s_mov_b32 s21, exec_lo
	v_and_b32_sdwa v4, v4, v11 dst_sel:DWORD dst_unused:UNUSED_PAD src0_sel:DWORD src1_sel:BYTE_1
	v_mov_b32_e32 v94, v6
	v_and_b32_e32 v5, 0x7f, v4
	v_cmpx_ne_u32_e32 0x7f, v5
	s_cbranch_execz .LBB247_569
; %bb.566:                              ;   in Loop: Header=BB247_11 Depth=1
	v_and_b32_e32 v78, 7, v4
	v_lshrrev_b32_e32 v4, 3, v5
	s_mov_b32 s22, exec_lo
	v_cmpx_gt_u32_e32 8, v5
; %bb.567:                              ;   in Loop: Header=BB247_11 Depth=1
	v_ffbh_u32_e32 v4, v78
	v_min_u32_e32 v4, 32, v4
	v_subrev_nc_u32_e32 v5, 28, v4
	v_sub_nc_u32_e32 v4, 29, v4
	v_lshlrev_b64 v[5:6], v5, v[78:79]
	v_and_b32_e32 v78, 7, v5
; %bb.568:                              ;   in Loop: Header=BB247_11 Depth=1
	s_or_b32 exec_lo, exec_lo, s22
	v_lshlrev_b32_e32 v5, 16, v11
	v_lshlrev_b32_e32 v6, 20, v78
	v_lshl_add_u32 v4, v4, 23, 0x3c000000
	v_mov_b32_e32 v94, v79
	v_and_b32_e32 v5, 0x80000000, v5
	v_or3_b32 v95, v6, v5, v4
.LBB247_569:                            ;   in Loop: Header=BB247_11 Depth=1
	s_or_b32 exec_lo, exec_lo, s21
.LBB247_570:                            ;   in Loop: Header=BB247_11 Depth=1
	s_or_b32 exec_lo, exec_lo, s17
.LBB247_571:                            ;   in Loop: Header=BB247_11 Depth=1
	s_or_b32 exec_lo, exec_lo, s13
	v_mov_b32_e32 v4, 0
	v_mov_b32_e32 v26, 0
	v_and_b32_sdwa v6, v11, v31 dst_sel:DWORD dst_unused:UNUSED_PAD src0_sel:WORD_1 src1_sel:DWORD
	v_mov_b32_e32 v5, 0
	v_mov_b32_e32 v27, 0
	s_mov_b32 s13, exec_lo
	v_cmpx_ne_u16_e32 0, v6
	s_cbranch_execz .LBB247_579
; %bb.572:                              ;   in Loop: Header=BB247_11 Depth=1
	v_bfrev_b32_e32 v26, 1
	v_mov_b32_e32 v27, 0
	s_mov_b32 s17, exec_lo
	v_cmpx_ne_u16_e32 0x80, v6
	s_cbranch_execz .LBB247_578
; %bb.573:                              ;   in Loop: Header=BB247_11 Depth=1
	v_mov_b32_e32 v26, 0x7f800001
	v_bfe_u32 v8, v11, 16, 7
	v_mov_b32_e32 v27, 0
	s_mov_b32 s21, exec_lo
	v_cmpx_ne_u32_e32 0x7f, v8
	s_cbranch_execz .LBB247_577
; %bb.574:                              ;   in Loop: Header=BB247_11 Depth=1
	v_mov_b32_e32 v6, 7
	s_mov_b32 s22, exec_lo
	v_and_b32_sdwa v78, v11, v6 dst_sel:DWORD dst_unused:UNUSED_PAD src0_sel:WORD_1 src1_sel:DWORD
	v_lshrrev_b32_e32 v6, 3, v8
	v_cmpx_gt_u32_e32 8, v8
; %bb.575:                              ;   in Loop: Header=BB247_11 Depth=1
	v_ffbh_u32_e32 v6, v78
	v_min_u32_e32 v6, 32, v6
	v_subrev_nc_u32_e32 v8, 28, v6
	v_sub_nc_u32_e32 v6, 29, v6
	v_lshlrev_b64 v[14:15], v8, v[78:79]
	v_and_b32_e32 v78, 7, v14
; %bb.576:                              ;   in Loop: Header=BB247_11 Depth=1
	s_or_b32 exec_lo, exec_lo, s22
	v_mov_b32_e32 v8, 24
	v_lshlrev_b32_e32 v12, 20, v78
	v_lshl_add_u32 v6, v6, 23, 0x3c000000
	v_lshlrev_b32_sdwa v8, v8, v11 dst_sel:DWORD dst_unused:UNUSED_PAD src0_sel:DWORD src1_sel:WORD_1
	v_and_b32_e32 v8, 0x80000000, v8
	v_or3_b32 v78, v12, v8, v6
	v_mov_b32_e32 v26, v78
	v_mov_b32_e32 v27, v79
.LBB247_577:                            ;   in Loop: Header=BB247_11 Depth=1
	s_or_b32 exec_lo, exec_lo, s21
.LBB247_578:                            ;   in Loop: Header=BB247_11 Depth=1
	s_or_b32 exec_lo, exec_lo, s17
.LBB247_579:                            ;   in Loop: Header=BB247_11 Depth=1
	s_or_b32 exec_lo, exec_lo, s13
	s_mov_b32 s13, exec_lo
	v_cmpx_lt_u32_e32 0xffffff, v11
	s_cbranch_execz .LBB247_587
; %bb.580:                              ;   in Loop: Header=BB247_11 Depth=1
	v_mov_b32_e32 v8, v79
	v_cmp_ne_u32_sdwa s5, v11, v30 src0_sel:BYTE_3 src1_sel:DWORD
	v_mov_b32_e32 v4, v8
	v_mov_b32_e32 v5, v9
	s_and_saveexec_b32 s17, s5
	s_cbranch_execz .LBB247_586
; %bb.581:                              ;   in Loop: Header=BB247_11 Depth=1
	v_mov_b32_e32 v6, v79
	v_bfe_u32 v8, v11, 24, 7
	s_mov_b32 s21, exec_lo
	v_mov_b32_e32 v4, v6
	v_mov_b32_e32 v5, v7
	v_cmpx_ne_u32_e32 0x7f, v8
	s_cbranch_execz .LBB247_585
; %bb.582:                              ;   in Loop: Header=BB247_11 Depth=1
	v_mov_b32_e32 v4, 7
	s_mov_b32 s22, exec_lo
	v_and_b32_sdwa v78, v11, v4 dst_sel:DWORD dst_unused:UNUSED_PAD src0_sel:BYTE_3 src1_sel:DWORD
	v_lshrrev_b32_e32 v4, 3, v8
	v_cmpx_gt_u32_e32 8, v8
; %bb.583:                              ;   in Loop: Header=BB247_11 Depth=1
	v_ffbh_u32_e32 v4, v78
	v_min_u32_e32 v4, 32, v4
	v_subrev_nc_u32_e32 v5, 28, v4
	v_sub_nc_u32_e32 v4, 29, v4
	v_lshlrev_b64 v[5:6], v5, v[78:79]
	v_and_b32_e32 v78, 7, v5
; %bb.584:                              ;   in Loop: Header=BB247_11 Depth=1
	s_or_b32 exec_lo, exec_lo, s22
	v_mov_b32_e32 v5, 24
	v_lshlrev_b32_e32 v6, 20, v78
	v_lshl_add_u32 v4, v4, 23, 0x3c000000
	v_lshlrev_b32_sdwa v5, v5, v11 dst_sel:DWORD dst_unused:UNUSED_PAD src0_sel:DWORD src1_sel:BYTE_3
	v_and_b32_e32 v5, 0x80000000, v5
	v_or3_b32 v5, v6, v5, v4
	v_mov_b32_e32 v4, v79
.LBB247_585:                            ;   in Loop: Header=BB247_11 Depth=1
	s_or_b32 exec_lo, exec_lo, s21
.LBB247_586:                            ;   in Loop: Header=BB247_11 Depth=1
	s_or_b32 exec_lo, exec_lo, s17
.LBB247_587:                            ;   in Loop: Header=BB247_11 Depth=1
	s_or_b32 exec_lo, exec_lo, s13
	flat_load_dword v11, v[124:125] offset:8
	v_mov_b32_e32 v14, 0
	v_mov_b32_e32 v22, 0
	;; [unrolled: 1-line block ×4, first 2 shown]
	s_waitcnt vmcnt(0) lgkmcnt(0)
	v_cmp_ne_u16_sdwa s5, v11, v79 src0_sel:BYTE_0 src1_sel:DWORD
	s_and_saveexec_b32 s13, s5
	s_cbranch_execz .LBB247_595
; %bb.588:                              ;   in Loop: Header=BB247_11 Depth=1
	v_bfrev_b32_e32 v22, 1
	v_mov_b32_e32 v23, 0
	v_cmp_ne_u16_sdwa s5, v11, v30 src0_sel:BYTE_0 src1_sel:DWORD
	s_and_saveexec_b32 s17, s5
	s_cbranch_execz .LBB247_594
; %bb.589:                              ;   in Loop: Header=BB247_11 Depth=1
	v_mov_b32_e32 v22, 0x7f800001
	v_and_b32_e32 v8, 0x7f, v11
	v_mov_b32_e32 v23, 0
	s_mov_b32 s21, exec_lo
	v_cmpx_ne_u32_e32 0x7f, v8
	s_cbranch_execz .LBB247_593
; %bb.590:                              ;   in Loop: Header=BB247_11 Depth=1
	v_and_b32_e32 v78, 7, v11
	v_lshrrev_b32_e32 v6, 3, v8
	s_mov_b32 s22, exec_lo
	v_cmpx_gt_u32_e32 8, v8
; %bb.591:                              ;   in Loop: Header=BB247_11 Depth=1
	v_ffbh_u32_e32 v6, v78
	v_min_u32_e32 v6, 32, v6
	v_subrev_nc_u32_e32 v8, 28, v6
	v_sub_nc_u32_e32 v6, 29, v6
	v_lshlrev_b64 v[16:17], v8, v[78:79]
	v_and_b32_e32 v78, 7, v16
; %bb.592:                              ;   in Loop: Header=BB247_11 Depth=1
	s_or_b32 exec_lo, exec_lo, s22
	v_lshlrev_b32_e32 v8, 24, v11
	v_lshlrev_b32_e32 v12, 20, v78
	v_lshl_add_u32 v6, v6, 23, 0x3c000000
	v_and_b32_e32 v8, 0x80000000, v8
	v_or3_b32 v78, v12, v8, v6
	v_mov_b32_e32 v22, v78
	v_mov_b32_e32 v23, v79
.LBB247_593:                            ;   in Loop: Header=BB247_11 Depth=1
	s_or_b32 exec_lo, exec_lo, s21
.LBB247_594:                            ;   in Loop: Header=BB247_11 Depth=1
	s_or_b32 exec_lo, exec_lo, s17
.LBB247_595:                            ;   in Loop: Header=BB247_11 Depth=1
	s_or_b32 exec_lo, exec_lo, s13
	v_cmp_ne_u16_sdwa s5, v11, v79 src0_sel:BYTE_1 src1_sel:DWORD
	s_and_saveexec_b32 s13, s5
	s_cbranch_execz .LBB247_603
; %bb.596:                              ;   in Loop: Header=BB247_11 Depth=1
	v_mov_b32_e32 v8, v79
	v_mov_b32_e32 v15, v9
	v_cmp_ne_u16_sdwa s5, v11, v30 src0_sel:BYTE_1 src1_sel:DWORD
	v_mov_b32_e32 v14, v8
	s_and_saveexec_b32 s17, s5
	s_cbranch_execz .LBB247_602
; %bb.597:                              ;   in Loop: Header=BB247_11 Depth=1
	v_mov_b32_e32 v6, 0xffff
	s_mov_b32 s21, exec_lo
	v_and_b32_sdwa v12, v6, v11 dst_sel:DWORD dst_unused:UNUSED_PAD src0_sel:DWORD src1_sel:BYTE_1
	v_mov_b32_e32 v6, v79
	v_mov_b32_e32 v15, v7
	v_and_b32_e32 v8, 0x7f, v12
	v_mov_b32_e32 v14, v6
	v_cmpx_ne_u32_e32 0x7f, v8
	s_cbranch_execz .LBB247_601
; %bb.598:                              ;   in Loop: Header=BB247_11 Depth=1
	v_and_b32_e32 v78, 7, v12
	v_lshrrev_b32_e32 v6, 3, v8
	s_mov_b32 s22, exec_lo
	v_cmpx_gt_u32_e32 8, v8
; %bb.599:                              ;   in Loop: Header=BB247_11 Depth=1
	v_ffbh_u32_e32 v6, v78
	v_min_u32_e32 v6, 32, v6
	v_subrev_nc_u32_e32 v8, 28, v6
	v_sub_nc_u32_e32 v6, 29, v6
	v_lshlrev_b64 v[14:15], v8, v[78:79]
	v_and_b32_e32 v78, 7, v14
; %bb.600:                              ;   in Loop: Header=BB247_11 Depth=1
	s_or_b32 exec_lo, exec_lo, s22
	v_lshlrev_b32_e32 v8, 16, v11
	v_lshlrev_b32_e32 v12, 20, v78
	v_lshl_add_u32 v6, v6, 23, 0x3c000000
	v_mov_b32_e32 v14, v79
	v_and_b32_e32 v8, 0x80000000, v8
	v_or3_b32 v15, v12, v8, v6
.LBB247_601:                            ;   in Loop: Header=BB247_11 Depth=1
	s_or_b32 exec_lo, exec_lo, s21
.LBB247_602:                            ;   in Loop: Header=BB247_11 Depth=1
	s_or_b32 exec_lo, exec_lo, s17
.LBB247_603:                            ;   in Loop: Header=BB247_11 Depth=1
	s_or_b32 exec_lo, exec_lo, s13
	v_mov_b32_e32 v92, 0
	v_mov_b32_e32 v28, 0
	v_and_b32_sdwa v6, v11, v31 dst_sel:DWORD dst_unused:UNUSED_PAD src0_sel:WORD_1 src1_sel:DWORD
	v_mov_b32_e32 v93, 0
	v_mov_b32_e32 v29, 0
	s_mov_b32 s13, exec_lo
	v_cmpx_ne_u16_e32 0, v6
	s_cbranch_execz .LBB247_611
; %bb.604:                              ;   in Loop: Header=BB247_11 Depth=1
	v_bfrev_b32_e32 v28, 1
	v_mov_b32_e32 v29, 0
	s_mov_b32 s17, exec_lo
	v_cmpx_ne_u16_e32 0x80, v6
	s_cbranch_execz .LBB247_610
; %bb.605:                              ;   in Loop: Header=BB247_11 Depth=1
	v_mov_b32_e32 v28, 0x7f800001
	v_bfe_u32 v8, v11, 16, 7
	v_mov_b32_e32 v29, 0
	s_mov_b32 s21, exec_lo
	v_cmpx_ne_u32_e32 0x7f, v8
	s_cbranch_execz .LBB247_609
; %bb.606:                              ;   in Loop: Header=BB247_11 Depth=1
	v_mov_b32_e32 v6, 7
	s_mov_b32 s22, exec_lo
	v_and_b32_sdwa v78, v11, v6 dst_sel:DWORD dst_unused:UNUSED_PAD src0_sel:WORD_1 src1_sel:DWORD
	v_lshrrev_b32_e32 v6, 3, v8
	v_cmpx_gt_u32_e32 8, v8
; %bb.607:                              ;   in Loop: Header=BB247_11 Depth=1
	v_ffbh_u32_e32 v6, v78
	v_min_u32_e32 v6, 32, v6
	v_subrev_nc_u32_e32 v8, 28, v6
	v_sub_nc_u32_e32 v6, 29, v6
	v_lshlrev_b64 v[16:17], v8, v[78:79]
	v_and_b32_e32 v78, 7, v16
; %bb.608:                              ;   in Loop: Header=BB247_11 Depth=1
	s_or_b32 exec_lo, exec_lo, s22
	v_mov_b32_e32 v8, 24
	v_lshlrev_b32_e32 v12, 20, v78
	v_lshl_add_u32 v6, v6, 23, 0x3c000000
	v_lshlrev_b32_sdwa v8, v8, v11 dst_sel:DWORD dst_unused:UNUSED_PAD src0_sel:DWORD src1_sel:WORD_1
	v_and_b32_e32 v8, 0x80000000, v8
	v_or3_b32 v78, v12, v8, v6
	v_mov_b32_e32 v28, v78
	v_mov_b32_e32 v29, v79
.LBB247_609:                            ;   in Loop: Header=BB247_11 Depth=1
	s_or_b32 exec_lo, exec_lo, s21
.LBB247_610:                            ;   in Loop: Header=BB247_11 Depth=1
	s_or_b32 exec_lo, exec_lo, s17
.LBB247_611:                            ;   in Loop: Header=BB247_11 Depth=1
	s_or_b32 exec_lo, exec_lo, s13
	s_mov_b32 s13, exec_lo
	v_cmpx_lt_u32_e32 0xffffff, v11
	s_cbranch_execz .LBB247_619
; %bb.612:                              ;   in Loop: Header=BB247_11 Depth=1
	v_mov_b32_e32 v8, v79
	v_mov_b32_e32 v93, v9
	v_cmp_ne_u32_sdwa s5, v11, v30 src0_sel:BYTE_3 src1_sel:DWORD
	v_mov_b32_e32 v92, v8
	s_and_saveexec_b32 s17, s5
	s_cbranch_execz .LBB247_618
; %bb.613:                              ;   in Loop: Header=BB247_11 Depth=1
	v_mov_b32_e32 v6, v79
	v_mov_b32_e32 v93, v7
	v_bfe_u32 v8, v11, 24, 7
	s_mov_b32 s21, exec_lo
	v_mov_b32_e32 v92, v6
	v_cmpx_ne_u32_e32 0x7f, v8
	s_cbranch_execz .LBB247_617
; %bb.614:                              ;   in Loop: Header=BB247_11 Depth=1
	v_mov_b32_e32 v6, 7
	s_mov_b32 s22, exec_lo
	v_and_b32_sdwa v78, v11, v6 dst_sel:DWORD dst_unused:UNUSED_PAD src0_sel:BYTE_3 src1_sel:DWORD
	v_lshrrev_b32_e32 v6, 3, v8
	v_cmpx_gt_u32_e32 8, v8
; %bb.615:                              ;   in Loop: Header=BB247_11 Depth=1
	v_ffbh_u32_e32 v6, v78
	v_min_u32_e32 v6, 32, v6
	v_subrev_nc_u32_e32 v8, 28, v6
	v_sub_nc_u32_e32 v6, 29, v6
	v_lshlrev_b64 v[16:17], v8, v[78:79]
	v_and_b32_e32 v78, 7, v16
; %bb.616:                              ;   in Loop: Header=BB247_11 Depth=1
	s_or_b32 exec_lo, exec_lo, s22
	v_mov_b32_e32 v8, 24
	v_lshl_add_u32 v6, v6, 23, 0x3c000000
	v_mov_b32_e32 v92, v79
	v_lshlrev_b32_sdwa v8, v8, v11 dst_sel:DWORD dst_unused:UNUSED_PAD src0_sel:DWORD src1_sel:BYTE_3
	v_lshlrev_b32_e32 v11, 20, v78
	v_and_b32_e32 v8, 0x80000000, v8
	v_or3_b32 v93, v11, v8, v6
.LBB247_617:                            ;   in Loop: Header=BB247_11 Depth=1
	s_or_b32 exec_lo, exec_lo, s21
.LBB247_618:                            ;   in Loop: Header=BB247_11 Depth=1
	s_or_b32 exec_lo, exec_lo, s17
.LBB247_619:                            ;   in Loop: Header=BB247_11 Depth=1
	s_or_b32 exec_lo, exec_lo, s13
	flat_load_dword v32, v[124:125] offset:12
	v_mov_b32_e32 v11, 0
	v_mov_b32_e32 v124, 0
	;; [unrolled: 1-line block ×4, first 2 shown]
	s_waitcnt vmcnt(0) lgkmcnt(0)
	v_cmp_ne_u16_sdwa s5, v32, v79 src0_sel:BYTE_0 src1_sel:DWORD
	s_and_saveexec_b32 s13, s5
	s_cbranch_execz .LBB247_627
; %bb.620:                              ;   in Loop: Header=BB247_11 Depth=1
	v_bfrev_b32_e32 v124, 1
	v_mov_b32_e32 v125, 0
	v_cmp_ne_u16_sdwa s5, v32, v30 src0_sel:BYTE_0 src1_sel:DWORD
	s_and_saveexec_b32 s17, s5
	s_cbranch_execz .LBB247_626
; %bb.621:                              ;   in Loop: Header=BB247_11 Depth=1
	v_mov_b32_e32 v124, 0x7f800001
	v_and_b32_e32 v8, 0x7f, v32
	v_mov_b32_e32 v125, 0
	s_mov_b32 s21, exec_lo
	v_cmpx_ne_u32_e32 0x7f, v8
	s_cbranch_execz .LBB247_625
; %bb.622:                              ;   in Loop: Header=BB247_11 Depth=1
	v_and_b32_e32 v78, 7, v32
	v_lshrrev_b32_e32 v6, 3, v8
	s_mov_b32 s22, exec_lo
	v_cmpx_gt_u32_e32 8, v8
; %bb.623:                              ;   in Loop: Header=BB247_11 Depth=1
	v_ffbh_u32_e32 v6, v78
	v_min_u32_e32 v6, 32, v6
	v_subrev_nc_u32_e32 v8, 28, v6
	v_sub_nc_u32_e32 v6, 29, v6
	v_lshlrev_b64 v[16:17], v8, v[78:79]
	v_and_b32_e32 v78, 7, v16
; %bb.624:                              ;   in Loop: Header=BB247_11 Depth=1
	s_or_b32 exec_lo, exec_lo, s22
	v_lshlrev_b32_e32 v8, 24, v32
	v_lshlrev_b32_e32 v16, 20, v78
	v_lshl_add_u32 v6, v6, 23, 0x3c000000
	v_and_b32_e32 v8, 0x80000000, v8
	v_or3_b32 v78, v16, v8, v6
	v_mov_b32_e32 v125, v79
	v_mov_b32_e32 v124, v78
.LBB247_625:                            ;   in Loop: Header=BB247_11 Depth=1
	s_or_b32 exec_lo, exec_lo, s21
.LBB247_626:                            ;   in Loop: Header=BB247_11 Depth=1
	s_or_b32 exec_lo, exec_lo, s17
.LBB247_627:                            ;   in Loop: Header=BB247_11 Depth=1
	s_or_b32 exec_lo, exec_lo, s13
	v_cmp_ne_u16_sdwa s5, v32, v79 src0_sel:BYTE_1 src1_sel:DWORD
	s_and_saveexec_b32 s13, s5
	s_cbranch_execz .LBB247_635
; %bb.628:                              ;   in Loop: Header=BB247_11 Depth=1
	v_mov_b32_e32 v8, v79
	v_mov_b32_e32 v12, v9
	v_cmp_ne_u16_sdwa s5, v32, v30 src0_sel:BYTE_1 src1_sel:DWORD
	v_mov_b32_e32 v11, v8
	s_and_saveexec_b32 s17, s5
	s_cbranch_execz .LBB247_634
; %bb.629:                              ;   in Loop: Header=BB247_11 Depth=1
	v_mov_b32_e32 v6, 0xffff
	s_mov_b32 s21, exec_lo
	v_and_b32_sdwa v16, v6, v32 dst_sel:DWORD dst_unused:UNUSED_PAD src0_sel:DWORD src1_sel:BYTE_1
	v_mov_b32_e32 v6, v79
	v_mov_b32_e32 v12, v7
	v_and_b32_e32 v8, 0x7f, v16
	v_mov_b32_e32 v11, v6
	v_cmpx_ne_u32_e32 0x7f, v8
	s_cbranch_execz .LBB247_633
; %bb.630:                              ;   in Loop: Header=BB247_11 Depth=1
	v_and_b32_e32 v78, 7, v16
	v_lshrrev_b32_e32 v6, 3, v8
	s_mov_b32 s22, exec_lo
	v_cmpx_gt_u32_e32 8, v8
; %bb.631:                              ;   in Loop: Header=BB247_11 Depth=1
	v_ffbh_u32_e32 v6, v78
	v_min_u32_e32 v6, 32, v6
	v_subrev_nc_u32_e32 v8, 28, v6
	v_sub_nc_u32_e32 v6, 29, v6
	v_lshlrev_b64 v[11:12], v8, v[78:79]
	v_and_b32_e32 v78, 7, v11
; %bb.632:                              ;   in Loop: Header=BB247_11 Depth=1
	s_or_b32 exec_lo, exec_lo, s22
	v_lshlrev_b32_e32 v8, 16, v32
	v_lshlrev_b32_e32 v11, 20, v78
	v_lshl_add_u32 v6, v6, 23, 0x3c000000
	v_and_b32_e32 v8, 0x80000000, v8
	v_or3_b32 v12, v11, v8, v6
	v_mov_b32_e32 v11, v79
.LBB247_633:                            ;   in Loop: Header=BB247_11 Depth=1
	s_or_b32 exec_lo, exec_lo, s21
.LBB247_634:                            ;   in Loop: Header=BB247_11 Depth=1
	s_or_b32 exec_lo, exec_lo, s17
.LBB247_635:                            ;   in Loop: Header=BB247_11 Depth=1
	s_or_b32 exec_lo, exec_lo, s13
	v_mov_b32_e32 v88, 0
	v_mov_b32_e32 v16, 0
	v_and_b32_sdwa v6, v32, v31 dst_sel:DWORD dst_unused:UNUSED_PAD src0_sel:WORD_1 src1_sel:DWORD
	v_mov_b32_e32 v89, 0
	v_mov_b32_e32 v17, 0
	s_mov_b32 s13, exec_lo
	v_cmpx_ne_u16_e32 0, v6
	s_cbranch_execz .LBB247_643
; %bb.636:                              ;   in Loop: Header=BB247_11 Depth=1
	v_bfrev_b32_e32 v16, 1
	v_mov_b32_e32 v17, 0
	s_mov_b32 s17, exec_lo
	v_cmpx_ne_u16_e32 0x80, v6
	s_cbranch_execz .LBB247_642
; %bb.637:                              ;   in Loop: Header=BB247_11 Depth=1
	v_mov_b32_e32 v16, 0x7f800001
	v_bfe_u32 v8, v32, 16, 7
	v_mov_b32_e32 v17, 0
	s_mov_b32 s21, exec_lo
	v_cmpx_ne_u32_e32 0x7f, v8
	s_cbranch_execz .LBB247_641
; %bb.638:                              ;   in Loop: Header=BB247_11 Depth=1
	v_mov_b32_e32 v6, 7
	s_mov_b32 s22, exec_lo
	v_and_b32_sdwa v78, v32, v6 dst_sel:DWORD dst_unused:UNUSED_PAD src0_sel:WORD_1 src1_sel:DWORD
	v_lshrrev_b32_e32 v6, 3, v8
	v_cmpx_gt_u32_e32 8, v8
; %bb.639:                              ;   in Loop: Header=BB247_11 Depth=1
	v_ffbh_u32_e32 v6, v78
	v_min_u32_e32 v6, 32, v6
	v_subrev_nc_u32_e32 v8, 28, v6
	v_sub_nc_u32_e32 v6, 29, v6
	v_lshlrev_b64 v[16:17], v8, v[78:79]
	v_and_b32_e32 v78, 7, v16
; %bb.640:                              ;   in Loop: Header=BB247_11 Depth=1
	s_or_b32 exec_lo, exec_lo, s22
	v_mov_b32_e32 v8, 24
	v_lshlrev_b32_e32 v16, 20, v78
	v_lshl_add_u32 v6, v6, 23, 0x3c000000
	v_lshlrev_b32_sdwa v8, v8, v32 dst_sel:DWORD dst_unused:UNUSED_PAD src0_sel:DWORD src1_sel:WORD_1
	v_and_b32_e32 v8, 0x80000000, v8
	v_or3_b32 v78, v16, v8, v6
	v_mov_b32_e32 v16, v78
	v_mov_b32_e32 v17, v79
.LBB247_641:                            ;   in Loop: Header=BB247_11 Depth=1
	s_or_b32 exec_lo, exec_lo, s21
.LBB247_642:                            ;   in Loop: Header=BB247_11 Depth=1
	s_or_b32 exec_lo, exec_lo, s17
.LBB247_643:                            ;   in Loop: Header=BB247_11 Depth=1
	s_or_b32 exec_lo, exec_lo, s13
	s_mov_b32 s13, exec_lo
	v_cmpx_lt_u32_e32 0xffffff, v32
	s_cbranch_execz .LBB247_10
; %bb.644:                              ;   in Loop: Header=BB247_11 Depth=1
	v_mov_b32_e32 v8, v79
	v_mov_b32_e32 v89, v9
	v_cmp_ne_u32_sdwa s5, v32, v30 src0_sel:BYTE_3 src1_sel:DWORD
	v_mov_b32_e32 v88, v8
	s_and_saveexec_b32 s17, s5
	s_cbranch_execz .LBB247_9
; %bb.645:                              ;   in Loop: Header=BB247_11 Depth=1
	v_mov_b32_e32 v6, v79
	v_mov_b32_e32 v89, v7
	v_bfe_u32 v8, v32, 24, 7
	s_mov_b32 s21, exec_lo
	v_mov_b32_e32 v88, v6
	v_cmpx_ne_u32_e32 0x7f, v8
	s_cbranch_execz .LBB247_8
; %bb.646:                              ;   in Loop: Header=BB247_11 Depth=1
	v_mov_b32_e32 v6, 7
	s_mov_b32 s22, exec_lo
	v_and_b32_sdwa v78, v32, v6 dst_sel:DWORD dst_unused:UNUSED_PAD src0_sel:BYTE_3 src1_sel:DWORD
	v_lshrrev_b32_e32 v6, 3, v8
	v_cmpx_gt_u32_e32 8, v8
	s_cbranch_execz .LBB247_7
; %bb.647:                              ;   in Loop: Header=BB247_11 Depth=1
	v_ffbh_u32_e32 v6, v78
	v_min_u32_e32 v6, 32, v6
	v_subrev_nc_u32_e32 v8, 28, v6
	v_sub_nc_u32_e32 v6, 29, v6
	v_lshlrev_b64 v[88:89], v8, v[78:79]
	v_and_b32_e32 v78, 7, v88
	s_branch .LBB247_7
.LBB247_648:
	s_or_b32 exec_lo, exec_lo, s11
	s_clause 0x11
	buffer_load_dword v12, off, s[0:3], s32 offset:752
	buffer_load_dword v6, off, s[0:3], s32 offset:768
	;; [unrolled: 1-line block ×18, first 2 shown]
.LBB247_649:
	s_or_b32 exec_lo, exec_lo, s9
	v_mbcnt_lo_u32_b32 v0, -1, 0
	v_max_f32_e32 v4, v35, v35
	s_lshr_b32 s9, s7, 16
	v_xor_b32_e32 v1, 16, v0
	v_xor_b32_e32 v3, 8, v0
	;; [unrolled: 1-line block ×3, first 2 shown]
	v_cmp_gt_i32_e32 vcc_lo, 32, v1
	v_cndmask_b32_e32 v1, v0, v1, vcc_lo
	v_cmp_gt_i32_e32 vcc_lo, 32, v3
	v_lshlrev_b32_e32 v2, 2, v1
	v_cndmask_b32_e32 v3, v0, v3, vcc_lo
	v_cmp_gt_i32_e32 vcc_lo, 32, v5
	ds_bpermute_b32 v1, v2, v35
	v_lshlrev_b32_e32 v3, 2, v3
	v_cndmask_b32_e32 v5, v0, v5, vcc_lo
	v_lshlrev_b32_e32 v19, 2, v5
	v_xor_b32_e32 v5, 2, v0
	v_cmp_gt_i32_e32 vcc_lo, 32, v5
	v_cndmask_b32_e32 v5, v0, v5, vcc_lo
	s_waitcnt lgkmcnt(0)
	v_max_f32_e32 v1, v1, v1
	v_lshlrev_b32_e32 v67, 2, v5
	v_xor_b32_e32 v5, 1, v0
	v_max_f32_e32 v1, v4, v1
	v_cmp_gt_i32_e32 vcc_lo, 32, v5
	ds_bpermute_b32 v4, v3, v1
	v_cndmask_b32_e32 v5, v0, v5, vcc_lo
	s_waitcnt vmcnt(16)
	v_cmp_eq_u32_e32 vcc_lo, 0, v6
	v_lshlrev_b32_e32 v66, 2, v5
	s_waitcnt lgkmcnt(0)
	v_max_f32_e32 v4, v4, v4
	v_max_f32_e32 v1, v1, v4
	ds_bpermute_b32 v4, v19, v1
	s_waitcnt lgkmcnt(0)
	v_max_f32_e32 v4, v4, v4
	v_max_f32_e32 v1, v1, v4
	ds_bpermute_b32 v4, v67, v1
	s_waitcnt lgkmcnt(0)
	v_max_f32_e32 v4, v4, v4
	v_max_f32_e32 v0, v1, v4
	buffer_load_dword v4, off, s[0:3], s32 offset:756 ; 4-byte Folded Reload
	ds_bpermute_b32 v1, v66, v0
	s_waitcnt vmcnt(0)
	v_lshlrev_b32_e32 v4, 2, v4
	s_and_saveexec_b32 s5, vcc_lo
	s_cbranch_execz .LBB247_651
; %bb.650:
	s_waitcnt lgkmcnt(0)
	v_max_f32_e32 v1, v1, v1
	v_max_f32_e32 v0, v0, v0
	;; [unrolled: 1-line block ×3, first 2 shown]
	ds_write_b32 v4, v0 offset:320
.LBB247_651:
	s_or_b32 exec_lo, exec_lo, s5
	v_cmp_gt_u32_e64 s5, 4, v6
	v_mov_b32_e32 v0, 0xff7fffff
	s_waitcnt lgkmcnt(0)
	s_waitcnt_vscnt null, 0x0
	s_barrier
	buffer_gl0_inv
	s_and_saveexec_b32 s7, s5
; %bb.652:
	ds_read_b32 v0, v21 offset:320
; %bb.653:
	s_or_b32 exec_lo, exec_lo, s7
	buffer_load_dword v5, off, s[0:3], s32 offset:404 ; 4-byte Folded Reload
	s_waitcnt lgkmcnt(0)
	ds_bpermute_b32 v1, v67, v0
	v_max_f32_e32 v0, v0, v0
	s_waitcnt lgkmcnt(0)
	v_max_f32_e32 v1, v1, v1
	v_max_f32_e32 v0, v0, v1
	ds_bpermute_b32 v1, v66, v0
	s_waitcnt lgkmcnt(0)
	v_max_f32_e32 v1, v1, v1
	v_max_f32_e32 v0, v0, v1
	s_waitcnt vmcnt(0)
	v_subrev_nc_u32_e32 v6, s6, v5
	v_mov_b32_e32 v5, 0
	v_lshl_add_u32 v1, v6, 5, s20
	ds_bpermute_b32 v0, v5, v0
	v_min_i32_e32 v1, v1, v34
	v_subrev_nc_u32_e32 v1, s20, v1
	v_cmp_lt_i32_e64 s6, v12, v1
	s_and_saveexec_b32 s11, s6
	s_cbranch_execz .LBB247_657
; %bb.654:
	s_getpc_b64 s[22:23]
	s_add_u32 s22, s22, llvm.amdgcn.dynlds.offset.table@rel32@lo+4
	s_addc_u32 s23, s23, llvm.amdgcn.dynlds.offset.table@rel32@hi+12
	s_ashr_i32 s17, s16, 31
	v_mov_b32_e32 v5, 0
	s_lshl_b64 s[24:25], s[16:17], 2
	v_mov_b32_e32 v7, v12
	s_add_u32 s22, s22, s24
	s_addc_u32 s23, s23, s25
	s_mov_b32 s13, 0
	s_load_dword s7, s[22:23], 0x0
	s_waitcnt lgkmcnt(0)
	v_lshl_add_u32 v6, v12, 2, s7
	.p2align	6
.LBB247_655:                            ; =>This Inner Loop Header: Depth=1
	ds_read_b32 v8, v6
	v_add_nc_u32_e32 v7, 0x80, v7
	v_cmp_ge_i32_e64 s7, v7, v1
	s_or_b32 s13, s7, s13
	s_waitcnt lgkmcnt(0)
	v_sub_f32_e32 v8, v8, v0
	v_mul_f32_e32 v8, 0x3fb8aa3b, v8
	v_exp_f32_e32 v8, v8
	ds_write_b32 v6, v8
	v_add_f32_e32 v5, v5, v8
	v_add_nc_u32_e32 v6, 0x200, v6
	s_andn2_b32 exec_lo, exec_lo, s13
	s_cbranch_execnz .LBB247_655
; %bb.656:
	s_or_b32 exec_lo, exec_lo, s13
.LBB247_657:
	s_or_b32 exec_lo, exec_lo, s11
	ds_bpermute_b32 v2, v2, v5
	s_waitcnt lgkmcnt(0)
	v_add_f32_e32 v2, v5, v2
	ds_bpermute_b32 v3, v3, v2
	s_waitcnt lgkmcnt(0)
	v_add_f32_e32 v2, v2, v3
	ds_bpermute_b32 v3, v19, v2
	s_waitcnt lgkmcnt(0)
	v_add_f32_e32 v2, v2, v3
	ds_bpermute_b32 v3, v67, v2
	s_waitcnt lgkmcnt(0)
	v_add_f32_e32 v2, v2, v3
	ds_bpermute_b32 v3, v66, v2
	s_waitcnt lgkmcnt(0)
	v_add_f32_e32 v2, v2, v3
	s_and_saveexec_b32 s7, vcc_lo
; %bb.658:
	ds_write_b32 v4, v2 offset:336
; %bb.659:
	s_or_b32 exec_lo, exec_lo, s7
	s_waitcnt lgkmcnt(0)
	s_barrier
	buffer_gl0_inv
	s_and_saveexec_b32 s7, s5
; %bb.660:
	ds_read_b32 v2, v21 offset:336
; %bb.661:
	s_or_b32 exec_lo, exec_lo, s7
	s_waitcnt lgkmcnt(0)
	ds_bpermute_b32 v3, v67, v2
	s_waitcnt lgkmcnt(0)
	v_add_f32_e32 v2, v2, v3
	ds_bpermute_b32 v3, v66, v2
	s_waitcnt lgkmcnt(0)
	v_add_f32_e32 v2, v2, v3
	v_mov_b32_e32 v3, 0
	ds_bpermute_b32 v2, v3, v2
	s_and_saveexec_b32 s5, s6
	s_cbranch_execz .LBB247_664
; %bb.662:
	s_waitcnt lgkmcnt(0)
	v_add_f32_e32 v4, 0x358637bd, v2
	s_getpc_b64 s[6:7]
	s_add_u32 s6, s6, llvm.amdgcn.dynlds.offset.table@rel32@lo+4
	s_addc_u32 s7, s7, llvm.amdgcn.dynlds.offset.table@rel32@hi+12
	s_ashr_i32 s17, s16, 31
	s_lshl_b64 s[22:23], s[16:17], 2
	v_div_scale_f32 v3, null, v4, v4, 1.0
	v_div_scale_f32 v7, vcc_lo, 1.0, v4, 1.0
	s_add_u32 s6, s6, s22
	v_rcp_f32_e32 v5, v3
	s_addc_u32 s7, s7, s23
	s_load_dword s6, s[6:7], 0x0
	v_fma_f32 v6, -v3, v5, 1.0
	v_fmac_f32_e32 v5, v6, v5
	v_mul_f32_e32 v6, v7, v5
	v_fma_f32 v8, -v3, v6, v7
	v_fmac_f32_e32 v6, v8, v5
	v_fma_f32 v3, -v3, v6, v7
	v_div_fmas_f32 v5, v3, v5, v6
	s_waitcnt lgkmcnt(0)
	v_lshl_add_u32 v3, v12, 2, s6
	s_mov_b32 s6, 0
	v_div_fixup_f32 v4, v5, v4, 1.0
	v_mov_b32_e32 v5, v12
.LBB247_663:                            ; =>This Inner Loop Header: Depth=1
	ds_read_b32 v6, v3
	v_add_nc_u32_e32 v5, 0x80, v5
	v_cmp_ge_i32_e32 vcc_lo, v5, v1
	s_or_b32 s6, vcc_lo, s6
	s_waitcnt lgkmcnt(0)
	v_mul_f32_e32 v6, v4, v6
	ds_write_b32 v3, v6
	v_add_nc_u32_e32 v3, 0x200, v3
	s_andn2_b32 exec_lo, exec_lo, s6
	s_cbranch_execnz .LBB247_663
.LBB247_664:
	s_or_b32 exec_lo, exec_lo, s5
	s_and_b32 s5, 0xffff, s9
	s_waitcnt lgkmcnt(0)
	s_cmp_lg_u32 s5, 0
	s_barrier
	s_cselect_b32 s5, -1, 0
	buffer_gl0_inv
	s_cmp_lg_u32 s5, 0
	s_addc_u32 s5, s8, 0
	s_mov_b32 s8, exec_lo
	s_mul_i32 s6, s5, s18
	s_mul_i32 s6, s6, s15
	v_cmpx_eq_u32_e32 0, v12
	s_cbranch_execz .LBB247_666
; %bb.665:
	s_ashr_i32 s7, s6, 31
	s_mul_i32 s12, s5, s12
	s_lshl_b64 s[22:23], s[6:7], 2
	s_ashr_i32 s13, s12, 31
	v_add_co_u32 v1, vcc_lo, v28, s22
	v_add_co_ci_u32_e64 v3, null, s23, v25, vcc_lo
	s_lshl_b64 s[12:13], s[12:13], 2
	s_ashr_i32 s15, s14, 31
	v_add_co_u32 v1, vcc_lo, v1, s12
	v_add_co_ci_u32_e64 v4, null, s13, v3, vcc_lo
	v_add_co_u32 v3, vcc_lo, v24, s22
	v_add_co_ci_u32_e64 v5, null, s23, v22, vcc_lo
	s_lshl_b64 s[22:23], s[14:15], 2
	v_add_co_u32 v6, vcc_lo, v3, s12
	v_add_co_ci_u32_e64 v7, null, s13, v5, vcc_lo
	v_add_co_u32 v3, vcc_lo, v1, s22
	v_add_co_ci_u32_e64 v4, null, s23, v4, vcc_lo
	;; [unrolled: 2-line block ×3, first 2 shown]
	flat_store_dword v[3:4], v0
	flat_store_dword v[5:6], v2
.LBB247_666:
	s_or_b32 exec_lo, exec_lo, s8
	s_and_saveexec_b32 s7, s4
	s_xor_b32 s4, exec_lo, s7
	s_cbranch_execz .LBB247_668
; %bb.667:
                                        ; implicit-def: $vgpr0
	s_ashr_i32 s17, s16, 31
                                        ; kill: killed $vgpr0
                                        ; implicit-def: $vgpr0
                                        ; implicit-def: $vgpr34
                                        ; implicit-def: $vgpr13
                                        ; implicit-def: $vgpr10
                                        ; implicit-def: $vgpr11
                                        ; implicit-def: $vgpr14
                                        ; implicit-def: $vgpr15
                                        ; implicit-def: $vgpr26_vgpr27
                                        ; implicit-def: $vgpr18
                                        ; implicit-def: $vgpr20
                                        ; implicit-def: $vgpr16_vgpr17
	buffer_store_dword v0, off, s[0:3], s32 offset:192 ; 4-byte Folded Spill
	buffer_store_dword v1, off, s[0:3], s32 offset:196 ; 4-byte Folded Spill
                                        ; implicit-def: $vgpr0
                                        ; kill: killed $vgpr0
.LBB247_668:
	s_or_saveexec_b32 s7, s4
	v_mov_b32_e32 v0, s16
	v_mov_b32_e32 v65, 0
	;; [unrolled: 1-line block ×3, first 2 shown]
	v_and_b32_e32 v68, 7, v12
	v_mov_b32_e32 v64, 0
	v_mov_b32_e32 v55, 0
	;; [unrolled: 1-line block ×19, first 2 shown]
	s_xor_b32 exec_lo, exec_lo, s7
	s_cbranch_execz .LBB247_1352
; %bb.669:
	buffer_store_dword v19, off, s[0:3], s32 offset:232 ; 4-byte Folded Spill
	buffer_store_dword v67, off, s[0:3], s32 offset:224 ; 4-byte Folded Spill
	;; [unrolled: 1-line block ×3, first 2 shown]
	buffer_load_dword v0, off, s[0:3], s32 offset:752 ; 4-byte Folded Reload
	flat_load_dword v66, v[26:27]
	v_add_co_u32 v3, vcc_lo, v10, v18
	s_ashr_i32 s17, s16, 31
	s_getpc_b64 s[8:9]
	s_add_u32 s8, s8, llvm.amdgcn.dynlds.offset.table@rel32@lo+4
	s_addc_u32 s9, s9, llvm.amdgcn.dynlds.offset.table@rel32@hi+12
	s_lshl_b64 s[12:13], s[16:17], 2
	v_lshlrev_b32_e32 v6, 4, v68
	s_add_u32 s8, s8, s12
	s_addc_u32 s9, s9, s13
	v_add_co_ci_u32_e64 v4, null, v11, v20, vcc_lo
	v_add_nc_u32_e32 v35, -1, v13
	v_mov_b32_e32 v7, 0
	v_bfrev_b32_e32 v9, 1
	v_mov_b32_e32 v11, 0x7f800001
	v_mov_b32_e32 v70, 0xff
	v_mov_b32_e32 v28, 0
	v_mov_b32_e32 v29, 0
	v_mov_b32_e32 v30, 0
	v_mov_b32_e32 v31, 0
	v_mov_b32_e32 v32, 0
	v_mov_b32_e32 v33, 0
	v_mov_b32_e32 v36, 0
	v_mov_b32_e32 v37, 0
	v_mov_b32_e32 v38, 0
	v_mov_b32_e32 v39, 0
	v_mov_b32_e32 v48, 0
	v_mov_b32_e32 v49, 0
	v_mov_b32_e32 v50, 0
	v_mov_b32_e32 v51, 0
	v_mov_b32_e32 v52, 0
	v_mov_b32_e32 v53, 0
	v_mov_b32_e32 v54, 0
	v_mov_b32_e32 v55, 0
	v_mov_b32_e32 v64, 0
	v_mov_b32_e32 v65, 0
	s_waitcnt vmcnt(1)
	v_lshlrev_b32_e32 v2, 2, v0
	s_clause 0x2
	buffer_load_dword v0, off, s[0:3], s32 offset:192
	buffer_load_dword v1, off, s[0:3], s32 offset:196
	;; [unrolled: 1-line block ×3, first 2 shown]
	s_load_dword s4, s[8:9], 0x0
	buffer_store_dword v68, off, s[0:3], s32 offset:240 ; 4-byte Folded Spill
	v_and_b32_e32 v8, 28, v2
	v_and_b32_e32 v2, 0x7c, v2
	v_mov_b32_e32 v68, 0x80
	s_waitcnt vmcnt(3) lgkmcnt(0)
	v_mov_b32_e32 v83, v66
	s_mov_b32 s8, 0
	s_waitcnt vmcnt(1)
	v_lshlrev_b64 v[0:1], 2, v[0:1]
	s_waitcnt vmcnt(0)
	v_lshl_add_u32 v5, v10, 5, s20
	v_lshl_or_b32 v6, v10, 7, v6
	v_add3_u32 v81, v5, v8, 3
	v_add_co_u32 v0, vcc_lo, v16, v0
	v_add_co_ci_u32_e64 v1, null, v17, v1, vcc_lo
	v_add_co_u32 v2, vcc_lo, v3, v2
	v_add_co_ci_u32_e64 v3, null, 0, v4, vcc_lo
	;; [unrolled: 2-line block ×3, first 2 shown]
	v_add_nc_u32_e32 v82, s4, v6
	buffer_store_dword v2, off, s[0:3], s32 offset:208 ; 4-byte Folded Spill
	buffer_store_dword v3, off, s[0:3], s32 offset:212 ; 4-byte Folded Spill
	s_branch .LBB247_671
.LBB247_670:                            ;   in Loop: Header=BB247_671 Depth=1
	s_or_b32 exec_lo, exec_lo, s4
	v_mul_f32_e32 v10, v1, v25
	v_add_co_u32 v14, vcc_lo, v14, 16
	v_add_co_ci_u32_e64 v15, null, 0, v15, vcc_lo
	v_fmac_f32_e32 v10, v0, v69
	v_add_nc_u32_e32 v81, 0x80, v81
	v_add_nc_u32_e32 v82, 0x200, v82
	v_fmac_f32_e32 v10, v2, v23
	v_fmac_f32_e32 v10, v3, v22
	v_add_f32_e32 v29, v29, v10
	v_mul_f32_e32 v10, v1, v26
	v_fmac_f32_e32 v10, v0, v24
	v_fmac_f32_e32 v10, v2, v13
	;; [unrolled: 1-line block ×3, first 2 shown]
	buffer_load_dword v12, off, s[0:3], s32 offset:200 ; 4-byte Folded Reload
	v_add_f32_e32 v30, v30, v10
	v_mul_f32_e32 v10, v1, v27
	v_fmac_f32_e32 v10, v0, v67
	v_fmac_f32_e32 v10, v2, v127
	v_fmac_f32_e32 v10, v3, v126
	v_add_f32_e32 v31, v31, v10
	v_mul_f32_e32 v10, v1, v124
	v_fmac_f32_e32 v10, v0, v125
	v_fmac_f32_e32 v10, v2, v123
	v_fmac_f32_e32 v10, v3, v122
	;; [unrolled: 5-line block ×16, first 2 shown]
	v_add_f32_e32 v64, v64, v10
	v_mul_f32_e32 v10, v1, v85
	v_mul_f32_e32 v1, v1, v8
	v_fmac_f32_e32 v10, v0, v86
	v_fmac_f32_e32 v1, v0, v6
	;; [unrolled: 1-line block ×4, first 2 shown]
	s_waitcnt vmcnt(0)
	v_fmac_f32_e32 v10, v3, v12
	v_fmac_f32_e32 v1, v3, v4
	v_add_f32_e32 v65, v65, v10
	v_add_f32_e32 v28, v28, v1
	s_clause 0x1
	buffer_load_dword v0, off, s[0:3], s32 offset:192
	buffer_load_dword v1, off, s[0:3], s32 offset:196
	s_waitcnt vmcnt(0)
	v_mov_b32_e32 v1, v0
	v_add_nc_u32_e32 v1, 4, v1
	v_mov_b32_e32 v0, v1
	buffer_store_dword v0, off, s[0:3], s32 offset:192 ; 4-byte Folded Spill
	buffer_store_dword v1, off, s[0:3], s32 offset:196 ; 4-byte Folded Spill
	buffer_load_dword v0, off, s[0:3], s32 offset:404 ; 4-byte Folded Reload
	s_waitcnt vmcnt(0)
	v_cmp_ge_i32_e32 vcc_lo, v1, v0
	s_or_b32 s8, vcc_lo, s8
	s_andn2_b32 exec_lo, exec_lo, s8
	s_cbranch_execz .LBB247_1351
.LBB247_671:                            ; =>This Inner Loop Header: Depth=1
	flat_load_dword v0, v[14:15]
	s_clause 0x2
	buffer_load_dword v1, off, s[0:3], s32 offset:400
	buffer_load_dword v2, off, s[0:3], s32 offset:208
	;; [unrolled: 1-line block ×3, first 2 shown]
	v_mov_b32_e32 v18, 0
	v_mov_b32_e32 v16, 0
	;; [unrolled: 1-line block ×4, first 2 shown]
	s_waitcnt vmcnt(0) lgkmcnt(0)
	v_mad_i64_i32 v[4:5], null, v0, v1, v[2:3]
	ds_read_b128 v[0:3], v82
	flat_load_dword v12, v[4:5]
	s_waitcnt vmcnt(0) lgkmcnt(0)
	v_cmp_ne_u16_sdwa s9, v12, v7 src0_sel:BYTE_0 src1_sel:DWORD
	s_and_saveexec_b32 s4, s9
	s_cbranch_execz .LBB247_679
; %bb.672:                              ;   in Loop: Header=BB247_671 Depth=1
	v_bfrev_b32_e32 v16, 1
	v_mov_b32_e32 v17, 0
	v_cmp_ne_u16_sdwa s11, v12, v68 src0_sel:BYTE_0 src1_sel:DWORD
	s_and_saveexec_b32 s9, s11
	s_cbranch_execz .LBB247_678
; %bb.673:                              ;   in Loop: Header=BB247_671 Depth=1
	v_mov_b32_e32 v16, 0x7f800001
	v_and_b32_e32 v10, 0x7f, v12
	v_mov_b32_e32 v17, 0
	s_mov_b32 s11, exec_lo
	v_cmpx_ne_u32_e32 0x7f, v10
	s_cbranch_execz .LBB247_677
; %bb.674:                              ;   in Loop: Header=BB247_671 Depth=1
	v_and_b32_e32 v6, 7, v12
	v_lshrrev_b32_e32 v8, 3, v10
	s_mov_b32 s12, exec_lo
	v_cmpx_gt_u32_e32 8, v10
; %bb.675:                              ;   in Loop: Header=BB247_671 Depth=1
	v_ffbh_u32_e32 v8, v6
	v_min_u32_e32 v8, 32, v8
	v_subrev_nc_u32_e32 v10, 28, v8
	v_sub_nc_u32_e32 v8, 29, v8
	v_lshlrev_b64 v[16:17], v10, v[6:7]
	v_and_b32_e32 v6, 7, v16
; %bb.676:                              ;   in Loop: Header=BB247_671 Depth=1
	s_or_b32 exec_lo, exec_lo, s12
	v_lshlrev_b32_e32 v10, 24, v12
	v_lshlrev_b32_e32 v6, 20, v6
	v_lshl_add_u32 v8, v8, 23, 0x3c000000
	v_and_b32_e32 v10, 0x80000000, v10
	v_or3_b32 v6, v6, v10, v8
	v_mov_b32_e32 v17, v7
	v_mov_b32_e32 v16, v6
.LBB247_677:                            ;   in Loop: Header=BB247_671 Depth=1
	s_or_b32 exec_lo, exec_lo, s11
.LBB247_678:                            ;   in Loop: Header=BB247_671 Depth=1
	s_or_b32 exec_lo, exec_lo, s9
.LBB247_679:                            ;   in Loop: Header=BB247_671 Depth=1
	s_or_b32 exec_lo, exec_lo, s4
	v_cmp_ne_u16_sdwa s9, v12, v7 src0_sel:BYTE_1 src1_sel:DWORD
	s_and_saveexec_b32 s4, s9
	s_cbranch_execz .LBB247_687
; %bb.680:                              ;   in Loop: Header=BB247_671 Depth=1
	v_mov_b32_e32 v8, v7
	v_mov_b32_e32 v19, v9
	v_cmp_ne_u16_sdwa s11, v12, v68 src0_sel:BYTE_1 src1_sel:DWORD
	v_mov_b32_e32 v18, v8
	s_and_saveexec_b32 s9, s11
	s_cbranch_execz .LBB247_686
; %bb.681:                              ;   in Loop: Header=BB247_671 Depth=1
	v_mov_b32_e32 v6, 0xffff
	v_mov_b32_e32 v10, v7
	;; [unrolled: 1-line block ×3, first 2 shown]
	s_mov_b32 s11, exec_lo
	v_and_b32_sdwa v6, v6, v12 dst_sel:DWORD dst_unused:UNUSED_PAD src0_sel:DWORD src1_sel:BYTE_1
	v_mov_b32_e32 v18, v10
	v_and_b32_e32 v13, 0x7f, v6
	v_cmpx_ne_u32_e32 0x7f, v13
	s_cbranch_execz .LBB247_685
; %bb.682:                              ;   in Loop: Header=BB247_671 Depth=1
	v_and_b32_e32 v6, 7, v6
	v_lshrrev_b32_e32 v8, 3, v13
	s_mov_b32 s12, exec_lo
	v_cmpx_gt_u32_e32 8, v13
; %bb.683:                              ;   in Loop: Header=BB247_671 Depth=1
	v_ffbh_u32_e32 v8, v6
	v_min_u32_e32 v8, 32, v8
	v_subrev_nc_u32_e32 v10, 28, v8
	v_sub_nc_u32_e32 v8, 29, v8
	v_lshlrev_b64 v[18:19], v10, v[6:7]
	v_and_b32_e32 v6, 7, v18
; %bb.684:                              ;   in Loop: Header=BB247_671 Depth=1
	s_or_b32 exec_lo, exec_lo, s12
	v_lshlrev_b32_e32 v10, 16, v12
	v_lshlrev_b32_e32 v6, 20, v6
	v_lshl_add_u32 v8, v8, 23, 0x3c000000
	v_mov_b32_e32 v18, v7
	v_and_b32_e32 v10, 0x80000000, v10
	v_or3_b32 v19, v6, v10, v8
.LBB247_685:                            ;   in Loop: Header=BB247_671 Depth=1
	s_or_b32 exec_lo, exec_lo, s11
.LBB247_686:                            ;   in Loop: Header=BB247_671 Depth=1
	s_or_b32 exec_lo, exec_lo, s9
.LBB247_687:                            ;   in Loop: Header=BB247_671 Depth=1
	s_or_b32 exec_lo, exec_lo, s4
	v_mov_b32_e32 v22, 0
	v_mov_b32_e32 v20, 0
	v_and_b32_sdwa v6, v12, v70 dst_sel:DWORD dst_unused:UNUSED_PAD src0_sel:WORD_1 src1_sel:DWORD
	v_mov_b32_e32 v23, 0
	v_mov_b32_e32 v21, 0
	s_mov_b32 s4, exec_lo
	v_cmpx_ne_u16_e32 0, v6
	s_cbranch_execz .LBB247_695
; %bb.688:                              ;   in Loop: Header=BB247_671 Depth=1
	v_bfrev_b32_e32 v20, 1
	v_mov_b32_e32 v21, 0
	s_mov_b32 s9, exec_lo
	v_cmpx_ne_u16_e32 0x80, v6
	s_cbranch_execz .LBB247_694
; %bb.689:                              ;   in Loop: Header=BB247_671 Depth=1
	v_mov_b32_e32 v20, 0x7f800001
	v_bfe_u32 v10, v12, 16, 7
	v_mov_b32_e32 v21, 0
	s_mov_b32 s11, exec_lo
	v_cmpx_ne_u32_e32 0x7f, v10
	s_cbranch_execz .LBB247_693
; %bb.690:                              ;   in Loop: Header=BB247_671 Depth=1
	v_mov_b32_e32 v6, 7
	v_lshrrev_b32_e32 v8, 3, v10
	s_mov_b32 s12, exec_lo
	v_and_b32_sdwa v6, v12, v6 dst_sel:DWORD dst_unused:UNUSED_PAD src0_sel:WORD_1 src1_sel:DWORD
	v_cmpx_gt_u32_e32 8, v10
; %bb.691:                              ;   in Loop: Header=BB247_671 Depth=1
	v_ffbh_u32_e32 v8, v6
	v_min_u32_e32 v8, 32, v8
	v_subrev_nc_u32_e32 v10, 28, v8
	v_sub_nc_u32_e32 v8, 29, v8
	v_lshlrev_b64 v[20:21], v10, v[6:7]
	v_and_b32_e32 v6, 7, v20
; %bb.692:                              ;   in Loop: Header=BB247_671 Depth=1
	s_or_b32 exec_lo, exec_lo, s12
	v_mov_b32_e32 v10, 24
	v_lshlrev_b32_e32 v6, 20, v6
	v_lshl_add_u32 v8, v8, 23, 0x3c000000
	v_lshlrev_b32_sdwa v10, v10, v12 dst_sel:DWORD dst_unused:UNUSED_PAD src0_sel:DWORD src1_sel:WORD_1
	v_and_b32_e32 v10, 0x80000000, v10
	v_or3_b32 v6, v6, v10, v8
	v_mov_b32_e32 v21, v7
	v_mov_b32_e32 v20, v6
.LBB247_693:                            ;   in Loop: Header=BB247_671 Depth=1
	s_or_b32 exec_lo, exec_lo, s11
.LBB247_694:                            ;   in Loop: Header=BB247_671 Depth=1
	s_or_b32 exec_lo, exec_lo, s9
.LBB247_695:                            ;   in Loop: Header=BB247_671 Depth=1
	s_or_b32 exec_lo, exec_lo, s4
	s_mov_b32 s4, exec_lo
	v_cmpx_lt_u32_e32 0xffffff, v12
	s_cbranch_execz .LBB247_703
; %bb.696:                              ;   in Loop: Header=BB247_671 Depth=1
	v_mov_b32_e32 v8, v7
	v_mov_b32_e32 v23, v9
	v_cmp_ne_u32_sdwa s11, v12, v68 src0_sel:BYTE_3 src1_sel:DWORD
	v_mov_b32_e32 v22, v8
	s_and_saveexec_b32 s9, s11
	s_cbranch_execz .LBB247_702
; %bb.697:                              ;   in Loop: Header=BB247_671 Depth=1
	v_mov_b32_e32 v10, v7
	v_mov_b32_e32 v23, v11
	v_bfe_u32 v13, v12, 24, 7
	s_mov_b32 s11, exec_lo
	v_mov_b32_e32 v22, v10
	v_cmpx_ne_u32_e32 0x7f, v13
	s_cbranch_execz .LBB247_701
; %bb.698:                              ;   in Loop: Header=BB247_671 Depth=1
	v_mov_b32_e32 v6, 7
	v_lshrrev_b32_e32 v8, 3, v13
	s_mov_b32 s12, exec_lo
	v_and_b32_sdwa v6, v12, v6 dst_sel:DWORD dst_unused:UNUSED_PAD src0_sel:BYTE_3 src1_sel:DWORD
	v_cmpx_gt_u32_e32 8, v13
; %bb.699:                              ;   in Loop: Header=BB247_671 Depth=1
	v_ffbh_u32_e32 v8, v6
	v_min_u32_e32 v8, 32, v8
	v_subrev_nc_u32_e32 v10, 28, v8
	v_sub_nc_u32_e32 v8, 29, v8
	v_lshlrev_b64 v[22:23], v10, v[6:7]
	v_and_b32_e32 v6, 7, v22
; %bb.700:                              ;   in Loop: Header=BB247_671 Depth=1
	s_or_b32 exec_lo, exec_lo, s12
	v_mov_b32_e32 v10, 24
	v_lshlrev_b32_e32 v6, 20, v6
	v_lshl_add_u32 v8, v8, 23, 0x3c000000
	v_mov_b32_e32 v22, v7
	v_lshlrev_b32_sdwa v10, v10, v12 dst_sel:DWORD dst_unused:UNUSED_PAD src0_sel:DWORD src1_sel:BYTE_3
	v_and_b32_e32 v10, 0x80000000, v10
	v_or3_b32 v23, v6, v10, v8
.LBB247_701:                            ;   in Loop: Header=BB247_671 Depth=1
	s_or_b32 exec_lo, exec_lo, s11
.LBB247_702:                            ;   in Loop: Header=BB247_671 Depth=1
	s_or_b32 exec_lo, exec_lo, s9
.LBB247_703:                            ;   in Loop: Header=BB247_671 Depth=1
	s_or_b32 exec_lo, exec_lo, s4
	v_or_b32_e32 v6, v19, v17
	v_or_b32_e32 v8, v18, v16
	s_clause 0x1
	buffer_load_dword v16, off, s[0:3], s32 offset:192
	buffer_load_dword v17, off, s[0:3], s32 offset:196
	v_or_b32_e32 v10, v22, v20
	v_or_b32_e32 v12, v23, v21
	v_add_nc_u32_e32 v99, -3, v81
	v_mul_f32_e32 v85, v83, v6
	v_mul_f32_e32 v86, v66, v8
	;; [unrolled: 1-line block ×4, first 2 shown]
	v_add_nc_u32_e32 v101, -2, v81
	v_add_nc_u32_e32 v100, -1, v81
	buffer_store_dword v6, off, s[0:3], s32 offset:200 ; 4-byte Folded Spill
	s_waitcnt vmcnt(1)
	v_cmp_eq_u32_e32 vcc_lo, v35, v16
	s_and_saveexec_b32 s9, vcc_lo
	s_cbranch_execz .LBB247_705
; %bb.704:                              ;   in Loop: Header=BB247_671 Depth=1
	buffer_load_dword v6, off, s[0:3], s32 offset:200 ; 4-byte Folded Reload
	v_cmp_lt_i32_e64 s4, v99, v34
	v_cndmask_b32_e64 v86, 0, v86, s4
	v_cmp_lt_i32_e64 s4, v101, v34
	v_cndmask_b32_e64 v85, 0, v85, s4
	;; [unrolled: 2-line block ×3, first 2 shown]
	v_cmp_lt_i32_e64 s4, v81, v34
	s_waitcnt vmcnt(0)
	v_cndmask_b32_e64 v6, 0, v6, s4
	buffer_store_dword v6, off, s[0:3], s32 offset:200 ; 4-byte Folded Spill
.LBB247_705:                            ;   in Loop: Header=BB247_671 Depth=1
	s_or_b32 exec_lo, exec_lo, s9
	flat_load_dword v12, v[4:5] offset:128
	v_mov_b32_e32 v18, 0
	s_waitcnt vmcnt(1)
	v_mov_b32_e32 v16, 0
	v_mov_b32_e32 v19, 0
	;; [unrolled: 1-line block ×3, first 2 shown]
	s_waitcnt vmcnt(0) lgkmcnt(0)
	v_cmp_ne_u16_sdwa s4, v12, v7 src0_sel:BYTE_0 src1_sel:DWORD
	s_and_saveexec_b32 s9, s4
	s_cbranch_execz .LBB247_713
; %bb.706:                              ;   in Loop: Header=BB247_671 Depth=1
	v_bfrev_b32_e32 v16, 1
	v_mov_b32_e32 v17, 0
	v_cmp_ne_u16_sdwa s4, v12, v68 src0_sel:BYTE_0 src1_sel:DWORD
	s_and_saveexec_b32 s11, s4
	s_cbranch_execz .LBB247_712
; %bb.707:                              ;   in Loop: Header=BB247_671 Depth=1
	v_mov_b32_e32 v16, 0x7f800001
	v_and_b32_e32 v10, 0x7f, v12
	v_mov_b32_e32 v17, 0
	s_mov_b32 s12, exec_lo
	v_cmpx_ne_u32_e32 0x7f, v10
	s_cbranch_execz .LBB247_711
; %bb.708:                              ;   in Loop: Header=BB247_671 Depth=1
	v_and_b32_e32 v6, 7, v12
	v_lshrrev_b32_e32 v8, 3, v10
	s_mov_b32 s13, exec_lo
	v_cmpx_gt_u32_e32 8, v10
; %bb.709:                              ;   in Loop: Header=BB247_671 Depth=1
	v_ffbh_u32_e32 v8, v6
	v_min_u32_e32 v8, 32, v8
	v_subrev_nc_u32_e32 v10, 28, v8
	v_sub_nc_u32_e32 v8, 29, v8
	v_lshlrev_b64 v[16:17], v10, v[6:7]
	v_and_b32_e32 v6, 7, v16
; %bb.710:                              ;   in Loop: Header=BB247_671 Depth=1
	s_or_b32 exec_lo, exec_lo, s13
	v_lshlrev_b32_e32 v10, 24, v12
	v_lshlrev_b32_e32 v6, 20, v6
	v_lshl_add_u32 v8, v8, 23, 0x3c000000
	v_and_b32_e32 v10, 0x80000000, v10
	v_or3_b32 v6, v6, v10, v8
	v_mov_b32_e32 v17, v7
	v_mov_b32_e32 v16, v6
.LBB247_711:                            ;   in Loop: Header=BB247_671 Depth=1
	s_or_b32 exec_lo, exec_lo, s12
.LBB247_712:                            ;   in Loop: Header=BB247_671 Depth=1
	s_or_b32 exec_lo, exec_lo, s11
.LBB247_713:                            ;   in Loop: Header=BB247_671 Depth=1
	s_or_b32 exec_lo, exec_lo, s9
	v_cmp_ne_u16_sdwa s4, v12, v7 src0_sel:BYTE_1 src1_sel:DWORD
	s_and_saveexec_b32 s9, s4
	s_cbranch_execz .LBB247_721
; %bb.714:                              ;   in Loop: Header=BB247_671 Depth=1
	v_mov_b32_e32 v8, v7
	v_mov_b32_e32 v19, v9
	v_cmp_ne_u16_sdwa s4, v12, v68 src0_sel:BYTE_1 src1_sel:DWORD
	v_mov_b32_e32 v18, v8
	s_and_saveexec_b32 s11, s4
	s_cbranch_execz .LBB247_720
; %bb.715:                              ;   in Loop: Header=BB247_671 Depth=1
	v_mov_b32_e32 v6, 0xffff
	v_mov_b32_e32 v10, v7
	;; [unrolled: 1-line block ×3, first 2 shown]
	s_mov_b32 s12, exec_lo
	v_and_b32_sdwa v6, v6, v12 dst_sel:DWORD dst_unused:UNUSED_PAD src0_sel:DWORD src1_sel:BYTE_1
	v_mov_b32_e32 v18, v10
	v_and_b32_e32 v13, 0x7f, v6
	v_cmpx_ne_u32_e32 0x7f, v13
	s_cbranch_execz .LBB247_719
; %bb.716:                              ;   in Loop: Header=BB247_671 Depth=1
	v_and_b32_e32 v6, 7, v6
	v_lshrrev_b32_e32 v8, 3, v13
	s_mov_b32 s13, exec_lo
	v_cmpx_gt_u32_e32 8, v13
; %bb.717:                              ;   in Loop: Header=BB247_671 Depth=1
	v_ffbh_u32_e32 v8, v6
	v_min_u32_e32 v8, 32, v8
	v_subrev_nc_u32_e32 v10, 28, v8
	v_sub_nc_u32_e32 v8, 29, v8
	v_lshlrev_b64 v[18:19], v10, v[6:7]
	v_and_b32_e32 v6, 7, v18
; %bb.718:                              ;   in Loop: Header=BB247_671 Depth=1
	s_or_b32 exec_lo, exec_lo, s13
	v_lshlrev_b32_e32 v10, 16, v12
	v_lshlrev_b32_e32 v6, 20, v6
	v_lshl_add_u32 v8, v8, 23, 0x3c000000
	v_mov_b32_e32 v18, v7
	v_and_b32_e32 v10, 0x80000000, v10
	v_or3_b32 v19, v6, v10, v8
.LBB247_719:                            ;   in Loop: Header=BB247_671 Depth=1
	s_or_b32 exec_lo, exec_lo, s12
.LBB247_720:                            ;   in Loop: Header=BB247_671 Depth=1
	s_or_b32 exec_lo, exec_lo, s11
.LBB247_721:                            ;   in Loop: Header=BB247_671 Depth=1
	s_or_b32 exec_lo, exec_lo, s9
	v_mov_b32_e32 v22, 0
	v_mov_b32_e32 v20, 0
	v_and_b32_sdwa v6, v12, v70 dst_sel:DWORD dst_unused:UNUSED_PAD src0_sel:WORD_1 src1_sel:DWORD
	v_mov_b32_e32 v23, 0
	v_mov_b32_e32 v21, 0
	s_mov_b32 s9, exec_lo
	v_cmpx_ne_u16_e32 0, v6
	s_cbranch_execz .LBB247_729
; %bb.722:                              ;   in Loop: Header=BB247_671 Depth=1
	v_bfrev_b32_e32 v20, 1
	v_mov_b32_e32 v21, 0
	s_mov_b32 s11, exec_lo
	v_cmpx_ne_u16_e32 0x80, v6
	s_cbranch_execz .LBB247_728
; %bb.723:                              ;   in Loop: Header=BB247_671 Depth=1
	v_mov_b32_e32 v20, 0x7f800001
	v_bfe_u32 v10, v12, 16, 7
	v_mov_b32_e32 v21, 0
	s_mov_b32 s12, exec_lo
	v_cmpx_ne_u32_e32 0x7f, v10
	s_cbranch_execz .LBB247_727
; %bb.724:                              ;   in Loop: Header=BB247_671 Depth=1
	v_mov_b32_e32 v6, 7
	v_lshrrev_b32_e32 v8, 3, v10
	s_mov_b32 s13, exec_lo
	v_and_b32_sdwa v6, v12, v6 dst_sel:DWORD dst_unused:UNUSED_PAD src0_sel:WORD_1 src1_sel:DWORD
	v_cmpx_gt_u32_e32 8, v10
; %bb.725:                              ;   in Loop: Header=BB247_671 Depth=1
	v_ffbh_u32_e32 v8, v6
	v_min_u32_e32 v8, 32, v8
	v_subrev_nc_u32_e32 v10, 28, v8
	v_sub_nc_u32_e32 v8, 29, v8
	v_lshlrev_b64 v[20:21], v10, v[6:7]
	v_and_b32_e32 v6, 7, v20
; %bb.726:                              ;   in Loop: Header=BB247_671 Depth=1
	s_or_b32 exec_lo, exec_lo, s13
	v_mov_b32_e32 v10, 24
	v_lshlrev_b32_e32 v6, 20, v6
	v_lshl_add_u32 v8, v8, 23, 0x3c000000
	v_lshlrev_b32_sdwa v10, v10, v12 dst_sel:DWORD dst_unused:UNUSED_PAD src0_sel:DWORD src1_sel:WORD_1
	v_and_b32_e32 v10, 0x80000000, v10
	v_or3_b32 v6, v6, v10, v8
	v_mov_b32_e32 v21, v7
	v_mov_b32_e32 v20, v6
.LBB247_727:                            ;   in Loop: Header=BB247_671 Depth=1
	s_or_b32 exec_lo, exec_lo, s12
.LBB247_728:                            ;   in Loop: Header=BB247_671 Depth=1
	s_or_b32 exec_lo, exec_lo, s11
.LBB247_729:                            ;   in Loop: Header=BB247_671 Depth=1
	s_or_b32 exec_lo, exec_lo, s9
	s_mov_b32 s9, exec_lo
	v_cmpx_lt_u32_e32 0xffffff, v12
	s_cbranch_execz .LBB247_737
; %bb.730:                              ;   in Loop: Header=BB247_671 Depth=1
	v_mov_b32_e32 v8, v7
	v_mov_b32_e32 v23, v9
	v_cmp_ne_u32_sdwa s4, v12, v68 src0_sel:BYTE_3 src1_sel:DWORD
	v_mov_b32_e32 v22, v8
	s_and_saveexec_b32 s11, s4
	s_cbranch_execz .LBB247_736
; %bb.731:                              ;   in Loop: Header=BB247_671 Depth=1
	v_mov_b32_e32 v10, v7
	v_mov_b32_e32 v23, v11
	v_bfe_u32 v13, v12, 24, 7
	s_mov_b32 s12, exec_lo
	v_mov_b32_e32 v22, v10
	v_cmpx_ne_u32_e32 0x7f, v13
	s_cbranch_execz .LBB247_735
; %bb.732:                              ;   in Loop: Header=BB247_671 Depth=1
	v_mov_b32_e32 v6, 7
	v_lshrrev_b32_e32 v8, 3, v13
	s_mov_b32 s13, exec_lo
	v_and_b32_sdwa v6, v12, v6 dst_sel:DWORD dst_unused:UNUSED_PAD src0_sel:BYTE_3 src1_sel:DWORD
	v_cmpx_gt_u32_e32 8, v13
; %bb.733:                              ;   in Loop: Header=BB247_671 Depth=1
	v_ffbh_u32_e32 v8, v6
	v_min_u32_e32 v8, 32, v8
	v_subrev_nc_u32_e32 v10, 28, v8
	v_sub_nc_u32_e32 v8, 29, v8
	v_lshlrev_b64 v[22:23], v10, v[6:7]
	v_and_b32_e32 v6, 7, v22
; %bb.734:                              ;   in Loop: Header=BB247_671 Depth=1
	s_or_b32 exec_lo, exec_lo, s13
	v_mov_b32_e32 v10, 24
	v_lshlrev_b32_e32 v6, 20, v6
	v_lshl_add_u32 v8, v8, 23, 0x3c000000
	v_mov_b32_e32 v22, v7
	v_lshlrev_b32_sdwa v10, v10, v12 dst_sel:DWORD dst_unused:UNUSED_PAD src0_sel:DWORD src1_sel:BYTE_3
	v_and_b32_e32 v10, 0x80000000, v10
	v_or3_b32 v23, v6, v10, v8
.LBB247_735:                            ;   in Loop: Header=BB247_671 Depth=1
	s_or_b32 exec_lo, exec_lo, s12
.LBB247_736:                            ;   in Loop: Header=BB247_671 Depth=1
	s_or_b32 exec_lo, exec_lo, s11
.LBB247_737:                            ;   in Loop: Header=BB247_671 Depth=1
	s_or_b32 exec_lo, exec_lo, s9
	v_or_b32_e32 v6, v19, v17
	v_or_b32_e32 v8, v18, v16
	;; [unrolled: 1-line block ×4, first 2 shown]
	v_mul_f32_e32 v97, v83, v6
	v_mul_f32_e32 v98, v66, v8
	v_mul_f32_e32 v96, v66, v10
	v_mul_f32_e32 v87, v83, v12
	s_and_saveexec_b32 s9, vcc_lo
	s_cbranch_execz .LBB247_739
; %bb.738:                              ;   in Loop: Header=BB247_671 Depth=1
	v_cmp_lt_i32_e64 s4, v99, v34
	v_cndmask_b32_e64 v98, 0, v98, s4
	v_cmp_lt_i32_e64 s4, v101, v34
	v_cndmask_b32_e64 v97, 0, v97, s4
	;; [unrolled: 2-line block ×4, first 2 shown]
.LBB247_739:                            ;   in Loop: Header=BB247_671 Depth=1
	s_or_b32 exec_lo, exec_lo, s9
	flat_load_dword v12, v[4:5] offset:256
	v_mov_b32_e32 v18, 0
	v_mov_b32_e32 v16, 0
	;; [unrolled: 1-line block ×4, first 2 shown]
	s_waitcnt vmcnt(0) lgkmcnt(0)
	v_cmp_ne_u16_sdwa s4, v12, v7 src0_sel:BYTE_0 src1_sel:DWORD
	s_and_saveexec_b32 s9, s4
	s_cbranch_execz .LBB247_747
; %bb.740:                              ;   in Loop: Header=BB247_671 Depth=1
	v_bfrev_b32_e32 v16, 1
	v_mov_b32_e32 v17, 0
	v_cmp_ne_u16_sdwa s4, v12, v68 src0_sel:BYTE_0 src1_sel:DWORD
	s_and_saveexec_b32 s11, s4
	s_cbranch_execz .LBB247_746
; %bb.741:                              ;   in Loop: Header=BB247_671 Depth=1
	v_mov_b32_e32 v16, 0x7f800001
	v_and_b32_e32 v10, 0x7f, v12
	v_mov_b32_e32 v17, 0
	s_mov_b32 s12, exec_lo
	v_cmpx_ne_u32_e32 0x7f, v10
	s_cbranch_execz .LBB247_745
; %bb.742:                              ;   in Loop: Header=BB247_671 Depth=1
	v_and_b32_e32 v6, 7, v12
	v_lshrrev_b32_e32 v8, 3, v10
	s_mov_b32 s13, exec_lo
	v_cmpx_gt_u32_e32 8, v10
; %bb.743:                              ;   in Loop: Header=BB247_671 Depth=1
	v_ffbh_u32_e32 v8, v6
	v_min_u32_e32 v8, 32, v8
	v_subrev_nc_u32_e32 v10, 28, v8
	v_sub_nc_u32_e32 v8, 29, v8
	v_lshlrev_b64 v[16:17], v10, v[6:7]
	v_and_b32_e32 v6, 7, v16
; %bb.744:                              ;   in Loop: Header=BB247_671 Depth=1
	s_or_b32 exec_lo, exec_lo, s13
	v_lshlrev_b32_e32 v10, 24, v12
	v_lshlrev_b32_e32 v6, 20, v6
	v_lshl_add_u32 v8, v8, 23, 0x3c000000
	v_and_b32_e32 v10, 0x80000000, v10
	v_or3_b32 v6, v6, v10, v8
	v_mov_b32_e32 v17, v7
	v_mov_b32_e32 v16, v6
.LBB247_745:                            ;   in Loop: Header=BB247_671 Depth=1
	s_or_b32 exec_lo, exec_lo, s12
.LBB247_746:                            ;   in Loop: Header=BB247_671 Depth=1
	s_or_b32 exec_lo, exec_lo, s11
.LBB247_747:                            ;   in Loop: Header=BB247_671 Depth=1
	s_or_b32 exec_lo, exec_lo, s9
	v_cmp_ne_u16_sdwa s4, v12, v7 src0_sel:BYTE_1 src1_sel:DWORD
	s_and_saveexec_b32 s9, s4
	s_cbranch_execz .LBB247_755
; %bb.748:                              ;   in Loop: Header=BB247_671 Depth=1
	v_mov_b32_e32 v8, v7
	v_mov_b32_e32 v19, v9
	v_cmp_ne_u16_sdwa s4, v12, v68 src0_sel:BYTE_1 src1_sel:DWORD
	v_mov_b32_e32 v18, v8
	s_and_saveexec_b32 s11, s4
	s_cbranch_execz .LBB247_754
; %bb.749:                              ;   in Loop: Header=BB247_671 Depth=1
	v_mov_b32_e32 v6, 0xffff
	v_mov_b32_e32 v10, v7
	;; [unrolled: 1-line block ×3, first 2 shown]
	s_mov_b32 s12, exec_lo
	v_and_b32_sdwa v6, v6, v12 dst_sel:DWORD dst_unused:UNUSED_PAD src0_sel:DWORD src1_sel:BYTE_1
	v_mov_b32_e32 v18, v10
	v_and_b32_e32 v13, 0x7f, v6
	v_cmpx_ne_u32_e32 0x7f, v13
	s_cbranch_execz .LBB247_753
; %bb.750:                              ;   in Loop: Header=BB247_671 Depth=1
	v_and_b32_e32 v6, 7, v6
	v_lshrrev_b32_e32 v8, 3, v13
	s_mov_b32 s13, exec_lo
	v_cmpx_gt_u32_e32 8, v13
; %bb.751:                              ;   in Loop: Header=BB247_671 Depth=1
	v_ffbh_u32_e32 v8, v6
	v_min_u32_e32 v8, 32, v8
	v_subrev_nc_u32_e32 v10, 28, v8
	v_sub_nc_u32_e32 v8, 29, v8
	v_lshlrev_b64 v[18:19], v10, v[6:7]
	v_and_b32_e32 v6, 7, v18
; %bb.752:                              ;   in Loop: Header=BB247_671 Depth=1
	s_or_b32 exec_lo, exec_lo, s13
	v_lshlrev_b32_e32 v10, 16, v12
	v_lshlrev_b32_e32 v6, 20, v6
	v_lshl_add_u32 v8, v8, 23, 0x3c000000
	v_mov_b32_e32 v18, v7
	v_and_b32_e32 v10, 0x80000000, v10
	v_or3_b32 v19, v6, v10, v8
.LBB247_753:                            ;   in Loop: Header=BB247_671 Depth=1
	s_or_b32 exec_lo, exec_lo, s12
.LBB247_754:                            ;   in Loop: Header=BB247_671 Depth=1
	s_or_b32 exec_lo, exec_lo, s11
.LBB247_755:                            ;   in Loop: Header=BB247_671 Depth=1
	s_or_b32 exec_lo, exec_lo, s9
	v_mov_b32_e32 v22, 0
	v_mov_b32_e32 v20, 0
	v_and_b32_sdwa v6, v12, v70 dst_sel:DWORD dst_unused:UNUSED_PAD src0_sel:WORD_1 src1_sel:DWORD
	v_mov_b32_e32 v23, 0
	v_mov_b32_e32 v21, 0
	s_mov_b32 s9, exec_lo
	v_cmpx_ne_u16_e32 0, v6
	s_cbranch_execz .LBB247_763
; %bb.756:                              ;   in Loop: Header=BB247_671 Depth=1
	v_bfrev_b32_e32 v20, 1
	v_mov_b32_e32 v21, 0
	s_mov_b32 s11, exec_lo
	v_cmpx_ne_u16_e32 0x80, v6
	s_cbranch_execz .LBB247_762
; %bb.757:                              ;   in Loop: Header=BB247_671 Depth=1
	v_mov_b32_e32 v20, 0x7f800001
	v_bfe_u32 v10, v12, 16, 7
	v_mov_b32_e32 v21, 0
	s_mov_b32 s12, exec_lo
	v_cmpx_ne_u32_e32 0x7f, v10
	s_cbranch_execz .LBB247_761
; %bb.758:                              ;   in Loop: Header=BB247_671 Depth=1
	v_mov_b32_e32 v6, 7
	v_lshrrev_b32_e32 v8, 3, v10
	s_mov_b32 s13, exec_lo
	v_and_b32_sdwa v6, v12, v6 dst_sel:DWORD dst_unused:UNUSED_PAD src0_sel:WORD_1 src1_sel:DWORD
	v_cmpx_gt_u32_e32 8, v10
; %bb.759:                              ;   in Loop: Header=BB247_671 Depth=1
	v_ffbh_u32_e32 v8, v6
	v_min_u32_e32 v8, 32, v8
	v_subrev_nc_u32_e32 v10, 28, v8
	v_sub_nc_u32_e32 v8, 29, v8
	v_lshlrev_b64 v[20:21], v10, v[6:7]
	v_and_b32_e32 v6, 7, v20
; %bb.760:                              ;   in Loop: Header=BB247_671 Depth=1
	s_or_b32 exec_lo, exec_lo, s13
	v_mov_b32_e32 v10, 24
	v_lshlrev_b32_e32 v6, 20, v6
	v_lshl_add_u32 v8, v8, 23, 0x3c000000
	v_lshlrev_b32_sdwa v10, v10, v12 dst_sel:DWORD dst_unused:UNUSED_PAD src0_sel:DWORD src1_sel:WORD_1
	v_and_b32_e32 v10, 0x80000000, v10
	v_or3_b32 v6, v6, v10, v8
	v_mov_b32_e32 v21, v7
	v_mov_b32_e32 v20, v6
.LBB247_761:                            ;   in Loop: Header=BB247_671 Depth=1
	s_or_b32 exec_lo, exec_lo, s12
.LBB247_762:                            ;   in Loop: Header=BB247_671 Depth=1
	s_or_b32 exec_lo, exec_lo, s11
.LBB247_763:                            ;   in Loop: Header=BB247_671 Depth=1
	s_or_b32 exec_lo, exec_lo, s9
	s_mov_b32 s9, exec_lo
	v_cmpx_lt_u32_e32 0xffffff, v12
	s_cbranch_execz .LBB247_771
; %bb.764:                              ;   in Loop: Header=BB247_671 Depth=1
	v_mov_b32_e32 v8, v7
	v_mov_b32_e32 v23, v9
	v_cmp_ne_u32_sdwa s4, v12, v68 src0_sel:BYTE_3 src1_sel:DWORD
	v_mov_b32_e32 v22, v8
	s_and_saveexec_b32 s11, s4
	s_cbranch_execz .LBB247_770
; %bb.765:                              ;   in Loop: Header=BB247_671 Depth=1
	v_mov_b32_e32 v10, v7
	v_mov_b32_e32 v23, v11
	v_bfe_u32 v13, v12, 24, 7
	s_mov_b32 s12, exec_lo
	v_mov_b32_e32 v22, v10
	v_cmpx_ne_u32_e32 0x7f, v13
	s_cbranch_execz .LBB247_769
; %bb.766:                              ;   in Loop: Header=BB247_671 Depth=1
	v_mov_b32_e32 v6, 7
	v_lshrrev_b32_e32 v8, 3, v13
	s_mov_b32 s13, exec_lo
	v_and_b32_sdwa v6, v12, v6 dst_sel:DWORD dst_unused:UNUSED_PAD src0_sel:BYTE_3 src1_sel:DWORD
	v_cmpx_gt_u32_e32 8, v13
; %bb.767:                              ;   in Loop: Header=BB247_671 Depth=1
	v_ffbh_u32_e32 v8, v6
	v_min_u32_e32 v8, 32, v8
	v_subrev_nc_u32_e32 v10, 28, v8
	v_sub_nc_u32_e32 v8, 29, v8
	v_lshlrev_b64 v[22:23], v10, v[6:7]
	v_and_b32_e32 v6, 7, v22
; %bb.768:                              ;   in Loop: Header=BB247_671 Depth=1
	s_or_b32 exec_lo, exec_lo, s13
	v_mov_b32_e32 v10, 24
	v_lshlrev_b32_e32 v6, 20, v6
	v_lshl_add_u32 v8, v8, 23, 0x3c000000
	v_mov_b32_e32 v22, v7
	v_lshlrev_b32_sdwa v10, v10, v12 dst_sel:DWORD dst_unused:UNUSED_PAD src0_sel:DWORD src1_sel:BYTE_3
	v_and_b32_e32 v10, 0x80000000, v10
	v_or3_b32 v23, v6, v10, v8
.LBB247_769:                            ;   in Loop: Header=BB247_671 Depth=1
	s_or_b32 exec_lo, exec_lo, s12
.LBB247_770:                            ;   in Loop: Header=BB247_671 Depth=1
	s_or_b32 exec_lo, exec_lo, s11
.LBB247_771:                            ;   in Loop: Header=BB247_671 Depth=1
	s_or_b32 exec_lo, exec_lo, s9
	v_or_b32_e32 v6, v19, v17
	v_or_b32_e32 v8, v18, v16
	v_or_b32_e32 v10, v22, v20
	v_or_b32_e32 v12, v23, v21
	v_mul_f32_e32 v112, v83, v6
	v_mul_f32_e32 v113, v66, v8
	;; [unrolled: 1-line block ×4, first 2 shown]
	s_and_saveexec_b32 s9, vcc_lo
	s_cbranch_execz .LBB247_773
; %bb.772:                              ;   in Loop: Header=BB247_671 Depth=1
	v_cmp_lt_i32_e64 s4, v99, v34
	v_cndmask_b32_e64 v113, 0, v113, s4
	v_cmp_lt_i32_e64 s4, v101, v34
	v_cndmask_b32_e64 v112, 0, v112, s4
	;; [unrolled: 2-line block ×4, first 2 shown]
.LBB247_773:                            ;   in Loop: Header=BB247_671 Depth=1
	s_or_b32 exec_lo, exec_lo, s9
	flat_load_dword v12, v[4:5] offset:384
	v_mov_b32_e32 v18, 0
	v_mov_b32_e32 v16, 0
	;; [unrolled: 1-line block ×4, first 2 shown]
	s_waitcnt vmcnt(0) lgkmcnt(0)
	v_cmp_ne_u16_sdwa s4, v12, v7 src0_sel:BYTE_0 src1_sel:DWORD
	s_and_saveexec_b32 s9, s4
	s_cbranch_execz .LBB247_781
; %bb.774:                              ;   in Loop: Header=BB247_671 Depth=1
	v_bfrev_b32_e32 v16, 1
	v_mov_b32_e32 v17, 0
	v_cmp_ne_u16_sdwa s4, v12, v68 src0_sel:BYTE_0 src1_sel:DWORD
	s_and_saveexec_b32 s11, s4
	s_cbranch_execz .LBB247_780
; %bb.775:                              ;   in Loop: Header=BB247_671 Depth=1
	v_mov_b32_e32 v16, 0x7f800001
	v_and_b32_e32 v10, 0x7f, v12
	v_mov_b32_e32 v17, 0
	s_mov_b32 s12, exec_lo
	v_cmpx_ne_u32_e32 0x7f, v10
	s_cbranch_execz .LBB247_779
; %bb.776:                              ;   in Loop: Header=BB247_671 Depth=1
	v_and_b32_e32 v6, 7, v12
	v_lshrrev_b32_e32 v8, 3, v10
	s_mov_b32 s13, exec_lo
	v_cmpx_gt_u32_e32 8, v10
; %bb.777:                              ;   in Loop: Header=BB247_671 Depth=1
	v_ffbh_u32_e32 v8, v6
	v_min_u32_e32 v8, 32, v8
	v_subrev_nc_u32_e32 v10, 28, v8
	v_sub_nc_u32_e32 v8, 29, v8
	v_lshlrev_b64 v[16:17], v10, v[6:7]
	v_and_b32_e32 v6, 7, v16
; %bb.778:                              ;   in Loop: Header=BB247_671 Depth=1
	s_or_b32 exec_lo, exec_lo, s13
	v_lshlrev_b32_e32 v10, 24, v12
	v_lshlrev_b32_e32 v6, 20, v6
	v_lshl_add_u32 v8, v8, 23, 0x3c000000
	v_and_b32_e32 v10, 0x80000000, v10
	v_or3_b32 v6, v6, v10, v8
	v_mov_b32_e32 v17, v7
	v_mov_b32_e32 v16, v6
.LBB247_779:                            ;   in Loop: Header=BB247_671 Depth=1
	s_or_b32 exec_lo, exec_lo, s12
.LBB247_780:                            ;   in Loop: Header=BB247_671 Depth=1
	s_or_b32 exec_lo, exec_lo, s11
.LBB247_781:                            ;   in Loop: Header=BB247_671 Depth=1
	s_or_b32 exec_lo, exec_lo, s9
	v_cmp_ne_u16_sdwa s4, v12, v7 src0_sel:BYTE_1 src1_sel:DWORD
	s_and_saveexec_b32 s9, s4
	s_cbranch_execz .LBB247_789
; %bb.782:                              ;   in Loop: Header=BB247_671 Depth=1
	v_mov_b32_e32 v8, v7
	v_mov_b32_e32 v19, v9
	v_cmp_ne_u16_sdwa s4, v12, v68 src0_sel:BYTE_1 src1_sel:DWORD
	v_mov_b32_e32 v18, v8
	s_and_saveexec_b32 s11, s4
	s_cbranch_execz .LBB247_788
; %bb.783:                              ;   in Loop: Header=BB247_671 Depth=1
	v_mov_b32_e32 v6, 0xffff
	v_mov_b32_e32 v10, v7
	;; [unrolled: 1-line block ×3, first 2 shown]
	s_mov_b32 s12, exec_lo
	v_and_b32_sdwa v6, v6, v12 dst_sel:DWORD dst_unused:UNUSED_PAD src0_sel:DWORD src1_sel:BYTE_1
	v_mov_b32_e32 v18, v10
	v_and_b32_e32 v13, 0x7f, v6
	v_cmpx_ne_u32_e32 0x7f, v13
	s_cbranch_execz .LBB247_787
; %bb.784:                              ;   in Loop: Header=BB247_671 Depth=1
	v_and_b32_e32 v6, 7, v6
	v_lshrrev_b32_e32 v8, 3, v13
	s_mov_b32 s13, exec_lo
	v_cmpx_gt_u32_e32 8, v13
; %bb.785:                              ;   in Loop: Header=BB247_671 Depth=1
	v_ffbh_u32_e32 v8, v6
	v_min_u32_e32 v8, 32, v8
	v_subrev_nc_u32_e32 v10, 28, v8
	v_sub_nc_u32_e32 v8, 29, v8
	v_lshlrev_b64 v[18:19], v10, v[6:7]
	v_and_b32_e32 v6, 7, v18
; %bb.786:                              ;   in Loop: Header=BB247_671 Depth=1
	s_or_b32 exec_lo, exec_lo, s13
	v_lshlrev_b32_e32 v10, 16, v12
	v_lshlrev_b32_e32 v6, 20, v6
	v_lshl_add_u32 v8, v8, 23, 0x3c000000
	v_mov_b32_e32 v18, v7
	v_and_b32_e32 v10, 0x80000000, v10
	v_or3_b32 v19, v6, v10, v8
.LBB247_787:                            ;   in Loop: Header=BB247_671 Depth=1
	s_or_b32 exec_lo, exec_lo, s12
.LBB247_788:                            ;   in Loop: Header=BB247_671 Depth=1
	s_or_b32 exec_lo, exec_lo, s11
.LBB247_789:                            ;   in Loop: Header=BB247_671 Depth=1
	s_or_b32 exec_lo, exec_lo, s9
	v_mov_b32_e32 v22, 0
	v_mov_b32_e32 v20, 0
	v_and_b32_sdwa v6, v12, v70 dst_sel:DWORD dst_unused:UNUSED_PAD src0_sel:WORD_1 src1_sel:DWORD
	v_mov_b32_e32 v23, 0
	v_mov_b32_e32 v21, 0
	s_mov_b32 s9, exec_lo
	v_cmpx_ne_u16_e32 0, v6
	s_cbranch_execz .LBB247_797
; %bb.790:                              ;   in Loop: Header=BB247_671 Depth=1
	v_bfrev_b32_e32 v20, 1
	v_mov_b32_e32 v21, 0
	s_mov_b32 s11, exec_lo
	v_cmpx_ne_u16_e32 0x80, v6
	s_cbranch_execz .LBB247_796
; %bb.791:                              ;   in Loop: Header=BB247_671 Depth=1
	v_mov_b32_e32 v20, 0x7f800001
	v_bfe_u32 v10, v12, 16, 7
	v_mov_b32_e32 v21, 0
	s_mov_b32 s12, exec_lo
	v_cmpx_ne_u32_e32 0x7f, v10
	s_cbranch_execz .LBB247_795
; %bb.792:                              ;   in Loop: Header=BB247_671 Depth=1
	v_mov_b32_e32 v6, 7
	v_lshrrev_b32_e32 v8, 3, v10
	s_mov_b32 s13, exec_lo
	v_and_b32_sdwa v6, v12, v6 dst_sel:DWORD dst_unused:UNUSED_PAD src0_sel:WORD_1 src1_sel:DWORD
	v_cmpx_gt_u32_e32 8, v10
; %bb.793:                              ;   in Loop: Header=BB247_671 Depth=1
	v_ffbh_u32_e32 v8, v6
	v_min_u32_e32 v8, 32, v8
	v_subrev_nc_u32_e32 v10, 28, v8
	v_sub_nc_u32_e32 v8, 29, v8
	v_lshlrev_b64 v[20:21], v10, v[6:7]
	v_and_b32_e32 v6, 7, v20
; %bb.794:                              ;   in Loop: Header=BB247_671 Depth=1
	s_or_b32 exec_lo, exec_lo, s13
	v_mov_b32_e32 v10, 24
	v_lshlrev_b32_e32 v6, 20, v6
	v_lshl_add_u32 v8, v8, 23, 0x3c000000
	v_lshlrev_b32_sdwa v10, v10, v12 dst_sel:DWORD dst_unused:UNUSED_PAD src0_sel:DWORD src1_sel:WORD_1
	v_and_b32_e32 v10, 0x80000000, v10
	v_or3_b32 v6, v6, v10, v8
	v_mov_b32_e32 v21, v7
	v_mov_b32_e32 v20, v6
.LBB247_795:                            ;   in Loop: Header=BB247_671 Depth=1
	s_or_b32 exec_lo, exec_lo, s12
.LBB247_796:                            ;   in Loop: Header=BB247_671 Depth=1
	s_or_b32 exec_lo, exec_lo, s11
.LBB247_797:                            ;   in Loop: Header=BB247_671 Depth=1
	s_or_b32 exec_lo, exec_lo, s9
	s_mov_b32 s9, exec_lo
	v_cmpx_lt_u32_e32 0xffffff, v12
	s_cbranch_execz .LBB247_805
; %bb.798:                              ;   in Loop: Header=BB247_671 Depth=1
	v_mov_b32_e32 v8, v7
	v_mov_b32_e32 v23, v9
	v_cmp_ne_u32_sdwa s4, v12, v68 src0_sel:BYTE_3 src1_sel:DWORD
	v_mov_b32_e32 v22, v8
	s_and_saveexec_b32 s11, s4
	s_cbranch_execz .LBB247_804
; %bb.799:                              ;   in Loop: Header=BB247_671 Depth=1
	v_mov_b32_e32 v10, v7
	v_mov_b32_e32 v23, v11
	v_bfe_u32 v13, v12, 24, 7
	s_mov_b32 s12, exec_lo
	v_mov_b32_e32 v22, v10
	v_cmpx_ne_u32_e32 0x7f, v13
	s_cbranch_execz .LBB247_803
; %bb.800:                              ;   in Loop: Header=BB247_671 Depth=1
	v_mov_b32_e32 v6, 7
	v_lshrrev_b32_e32 v8, 3, v13
	s_mov_b32 s13, exec_lo
	v_and_b32_sdwa v6, v12, v6 dst_sel:DWORD dst_unused:UNUSED_PAD src0_sel:BYTE_3 src1_sel:DWORD
	v_cmpx_gt_u32_e32 8, v13
; %bb.801:                              ;   in Loop: Header=BB247_671 Depth=1
	v_ffbh_u32_e32 v8, v6
	v_min_u32_e32 v8, 32, v8
	v_subrev_nc_u32_e32 v10, 28, v8
	v_sub_nc_u32_e32 v8, 29, v8
	v_lshlrev_b64 v[22:23], v10, v[6:7]
	v_and_b32_e32 v6, 7, v22
; %bb.802:                              ;   in Loop: Header=BB247_671 Depth=1
	s_or_b32 exec_lo, exec_lo, s13
	v_mov_b32_e32 v10, 24
	v_lshlrev_b32_e32 v6, 20, v6
	v_lshl_add_u32 v8, v8, 23, 0x3c000000
	v_mov_b32_e32 v22, v7
	v_lshlrev_b32_sdwa v10, v10, v12 dst_sel:DWORD dst_unused:UNUSED_PAD src0_sel:DWORD src1_sel:BYTE_3
	v_and_b32_e32 v10, 0x80000000, v10
	v_or3_b32 v23, v6, v10, v8
.LBB247_803:                            ;   in Loop: Header=BB247_671 Depth=1
	s_or_b32 exec_lo, exec_lo, s12
.LBB247_804:                            ;   in Loop: Header=BB247_671 Depth=1
	s_or_b32 exec_lo, exec_lo, s11
.LBB247_805:                            ;   in Loop: Header=BB247_671 Depth=1
	s_or_b32 exec_lo, exec_lo, s9
	v_or_b32_e32 v6, v19, v17
	v_or_b32_e32 v8, v18, v16
	v_or_b32_e32 v10, v22, v20
	v_or_b32_e32 v12, v23, v21
	v_mul_f32_e32 v117, v83, v6
	v_mul_f32_e32 v116, v66, v8
	;; [unrolled: 1-line block ×4, first 2 shown]
	s_and_saveexec_b32 s9, vcc_lo
	s_cbranch_execz .LBB247_807
; %bb.806:                              ;   in Loop: Header=BB247_671 Depth=1
	v_cmp_lt_i32_e64 s4, v99, v34
	v_cndmask_b32_e64 v116, 0, v116, s4
	v_cmp_lt_i32_e64 s4, v101, v34
	v_cndmask_b32_e64 v117, 0, v117, s4
	;; [unrolled: 2-line block ×4, first 2 shown]
.LBB247_807:                            ;   in Loop: Header=BB247_671 Depth=1
	s_or_b32 exec_lo, exec_lo, s9
	flat_load_dword v12, v[4:5] offset:512
	v_mov_b32_e32 v18, 0
	v_mov_b32_e32 v16, 0
	;; [unrolled: 1-line block ×4, first 2 shown]
	s_waitcnt vmcnt(0) lgkmcnt(0)
	v_cmp_ne_u16_sdwa s4, v12, v7 src0_sel:BYTE_0 src1_sel:DWORD
	s_and_saveexec_b32 s9, s4
	s_cbranch_execz .LBB247_815
; %bb.808:                              ;   in Loop: Header=BB247_671 Depth=1
	v_bfrev_b32_e32 v16, 1
	v_mov_b32_e32 v17, 0
	v_cmp_ne_u16_sdwa s4, v12, v68 src0_sel:BYTE_0 src1_sel:DWORD
	s_and_saveexec_b32 s11, s4
	s_cbranch_execz .LBB247_814
; %bb.809:                              ;   in Loop: Header=BB247_671 Depth=1
	v_mov_b32_e32 v16, 0x7f800001
	v_and_b32_e32 v10, 0x7f, v12
	v_mov_b32_e32 v17, 0
	s_mov_b32 s12, exec_lo
	v_cmpx_ne_u32_e32 0x7f, v10
	s_cbranch_execz .LBB247_813
; %bb.810:                              ;   in Loop: Header=BB247_671 Depth=1
	v_and_b32_e32 v6, 7, v12
	v_lshrrev_b32_e32 v8, 3, v10
	s_mov_b32 s13, exec_lo
	v_cmpx_gt_u32_e32 8, v10
; %bb.811:                              ;   in Loop: Header=BB247_671 Depth=1
	v_ffbh_u32_e32 v8, v6
	v_min_u32_e32 v8, 32, v8
	v_subrev_nc_u32_e32 v10, 28, v8
	v_sub_nc_u32_e32 v8, 29, v8
	v_lshlrev_b64 v[16:17], v10, v[6:7]
	v_and_b32_e32 v6, 7, v16
; %bb.812:                              ;   in Loop: Header=BB247_671 Depth=1
	s_or_b32 exec_lo, exec_lo, s13
	v_lshlrev_b32_e32 v10, 24, v12
	v_lshlrev_b32_e32 v6, 20, v6
	v_lshl_add_u32 v8, v8, 23, 0x3c000000
	v_and_b32_e32 v10, 0x80000000, v10
	v_or3_b32 v6, v6, v10, v8
	v_mov_b32_e32 v17, v7
	v_mov_b32_e32 v16, v6
.LBB247_813:                            ;   in Loop: Header=BB247_671 Depth=1
	s_or_b32 exec_lo, exec_lo, s12
.LBB247_814:                            ;   in Loop: Header=BB247_671 Depth=1
	s_or_b32 exec_lo, exec_lo, s11
.LBB247_815:                            ;   in Loop: Header=BB247_671 Depth=1
	s_or_b32 exec_lo, exec_lo, s9
	v_cmp_ne_u16_sdwa s4, v12, v7 src0_sel:BYTE_1 src1_sel:DWORD
	s_and_saveexec_b32 s9, s4
	s_cbranch_execz .LBB247_823
; %bb.816:                              ;   in Loop: Header=BB247_671 Depth=1
	v_mov_b32_e32 v8, v7
	v_mov_b32_e32 v19, v9
	v_cmp_ne_u16_sdwa s4, v12, v68 src0_sel:BYTE_1 src1_sel:DWORD
	v_mov_b32_e32 v18, v8
	s_and_saveexec_b32 s11, s4
	s_cbranch_execz .LBB247_822
; %bb.817:                              ;   in Loop: Header=BB247_671 Depth=1
	v_mov_b32_e32 v6, 0xffff
	v_mov_b32_e32 v10, v7
	;; [unrolled: 1-line block ×3, first 2 shown]
	s_mov_b32 s12, exec_lo
	v_and_b32_sdwa v6, v6, v12 dst_sel:DWORD dst_unused:UNUSED_PAD src0_sel:DWORD src1_sel:BYTE_1
	v_mov_b32_e32 v18, v10
	v_and_b32_e32 v13, 0x7f, v6
	v_cmpx_ne_u32_e32 0x7f, v13
	s_cbranch_execz .LBB247_821
; %bb.818:                              ;   in Loop: Header=BB247_671 Depth=1
	v_and_b32_e32 v6, 7, v6
	v_lshrrev_b32_e32 v8, 3, v13
	s_mov_b32 s13, exec_lo
	v_cmpx_gt_u32_e32 8, v13
; %bb.819:                              ;   in Loop: Header=BB247_671 Depth=1
	v_ffbh_u32_e32 v8, v6
	v_min_u32_e32 v8, 32, v8
	v_subrev_nc_u32_e32 v10, 28, v8
	v_sub_nc_u32_e32 v8, 29, v8
	v_lshlrev_b64 v[18:19], v10, v[6:7]
	v_and_b32_e32 v6, 7, v18
; %bb.820:                              ;   in Loop: Header=BB247_671 Depth=1
	s_or_b32 exec_lo, exec_lo, s13
	v_lshlrev_b32_e32 v10, 16, v12
	v_lshlrev_b32_e32 v6, 20, v6
	v_lshl_add_u32 v8, v8, 23, 0x3c000000
	v_mov_b32_e32 v18, v7
	v_and_b32_e32 v10, 0x80000000, v10
	v_or3_b32 v19, v6, v10, v8
.LBB247_821:                            ;   in Loop: Header=BB247_671 Depth=1
	s_or_b32 exec_lo, exec_lo, s12
.LBB247_822:                            ;   in Loop: Header=BB247_671 Depth=1
	s_or_b32 exec_lo, exec_lo, s11
.LBB247_823:                            ;   in Loop: Header=BB247_671 Depth=1
	s_or_b32 exec_lo, exec_lo, s9
	v_mov_b32_e32 v22, 0
	v_mov_b32_e32 v20, 0
	v_and_b32_sdwa v6, v12, v70 dst_sel:DWORD dst_unused:UNUSED_PAD src0_sel:WORD_1 src1_sel:DWORD
	v_mov_b32_e32 v23, 0
	v_mov_b32_e32 v21, 0
	s_mov_b32 s9, exec_lo
	v_cmpx_ne_u16_e32 0, v6
	s_cbranch_execz .LBB247_831
; %bb.824:                              ;   in Loop: Header=BB247_671 Depth=1
	v_bfrev_b32_e32 v20, 1
	v_mov_b32_e32 v21, 0
	s_mov_b32 s11, exec_lo
	v_cmpx_ne_u16_e32 0x80, v6
	s_cbranch_execz .LBB247_830
; %bb.825:                              ;   in Loop: Header=BB247_671 Depth=1
	v_mov_b32_e32 v20, 0x7f800001
	v_bfe_u32 v10, v12, 16, 7
	v_mov_b32_e32 v21, 0
	s_mov_b32 s12, exec_lo
	v_cmpx_ne_u32_e32 0x7f, v10
	s_cbranch_execz .LBB247_829
; %bb.826:                              ;   in Loop: Header=BB247_671 Depth=1
	v_mov_b32_e32 v6, 7
	v_lshrrev_b32_e32 v8, 3, v10
	s_mov_b32 s13, exec_lo
	v_and_b32_sdwa v6, v12, v6 dst_sel:DWORD dst_unused:UNUSED_PAD src0_sel:WORD_1 src1_sel:DWORD
	v_cmpx_gt_u32_e32 8, v10
; %bb.827:                              ;   in Loop: Header=BB247_671 Depth=1
	v_ffbh_u32_e32 v8, v6
	v_min_u32_e32 v8, 32, v8
	v_subrev_nc_u32_e32 v10, 28, v8
	v_sub_nc_u32_e32 v8, 29, v8
	v_lshlrev_b64 v[20:21], v10, v[6:7]
	v_and_b32_e32 v6, 7, v20
; %bb.828:                              ;   in Loop: Header=BB247_671 Depth=1
	s_or_b32 exec_lo, exec_lo, s13
	v_mov_b32_e32 v10, 24
	v_lshlrev_b32_e32 v6, 20, v6
	v_lshl_add_u32 v8, v8, 23, 0x3c000000
	v_lshlrev_b32_sdwa v10, v10, v12 dst_sel:DWORD dst_unused:UNUSED_PAD src0_sel:DWORD src1_sel:WORD_1
	v_and_b32_e32 v10, 0x80000000, v10
	v_or3_b32 v6, v6, v10, v8
	v_mov_b32_e32 v21, v7
	v_mov_b32_e32 v20, v6
.LBB247_829:                            ;   in Loop: Header=BB247_671 Depth=1
	s_or_b32 exec_lo, exec_lo, s12
.LBB247_830:                            ;   in Loop: Header=BB247_671 Depth=1
	s_or_b32 exec_lo, exec_lo, s11
.LBB247_831:                            ;   in Loop: Header=BB247_671 Depth=1
	s_or_b32 exec_lo, exec_lo, s9
	s_mov_b32 s9, exec_lo
	v_cmpx_lt_u32_e32 0xffffff, v12
	s_cbranch_execz .LBB247_839
; %bb.832:                              ;   in Loop: Header=BB247_671 Depth=1
	v_mov_b32_e32 v8, v7
	v_mov_b32_e32 v23, v9
	v_cmp_ne_u32_sdwa s4, v12, v68 src0_sel:BYTE_3 src1_sel:DWORD
	v_mov_b32_e32 v22, v8
	s_and_saveexec_b32 s11, s4
	s_cbranch_execz .LBB247_838
; %bb.833:                              ;   in Loop: Header=BB247_671 Depth=1
	v_mov_b32_e32 v10, v7
	v_mov_b32_e32 v23, v11
	v_bfe_u32 v13, v12, 24, 7
	s_mov_b32 s12, exec_lo
	v_mov_b32_e32 v22, v10
	v_cmpx_ne_u32_e32 0x7f, v13
	s_cbranch_execz .LBB247_837
; %bb.834:                              ;   in Loop: Header=BB247_671 Depth=1
	v_mov_b32_e32 v6, 7
	v_lshrrev_b32_e32 v8, 3, v13
	s_mov_b32 s13, exec_lo
	v_and_b32_sdwa v6, v12, v6 dst_sel:DWORD dst_unused:UNUSED_PAD src0_sel:BYTE_3 src1_sel:DWORD
	v_cmpx_gt_u32_e32 8, v13
; %bb.835:                              ;   in Loop: Header=BB247_671 Depth=1
	v_ffbh_u32_e32 v8, v6
	v_min_u32_e32 v8, 32, v8
	v_subrev_nc_u32_e32 v10, 28, v8
	v_sub_nc_u32_e32 v8, 29, v8
	v_lshlrev_b64 v[22:23], v10, v[6:7]
	v_and_b32_e32 v6, 7, v22
; %bb.836:                              ;   in Loop: Header=BB247_671 Depth=1
	s_or_b32 exec_lo, exec_lo, s13
	v_mov_b32_e32 v10, 24
	v_lshlrev_b32_e32 v6, 20, v6
	v_lshl_add_u32 v8, v8, 23, 0x3c000000
	v_mov_b32_e32 v22, v7
	v_lshlrev_b32_sdwa v10, v10, v12 dst_sel:DWORD dst_unused:UNUSED_PAD src0_sel:DWORD src1_sel:BYTE_3
	v_and_b32_e32 v10, 0x80000000, v10
	v_or3_b32 v23, v6, v10, v8
.LBB247_837:                            ;   in Loop: Header=BB247_671 Depth=1
	s_or_b32 exec_lo, exec_lo, s12
.LBB247_838:                            ;   in Loop: Header=BB247_671 Depth=1
	s_or_b32 exec_lo, exec_lo, s11
.LBB247_839:                            ;   in Loop: Header=BB247_671 Depth=1
	s_or_b32 exec_lo, exec_lo, s9
	v_or_b32_e32 v6, v19, v17
	v_or_b32_e32 v8, v18, v16
	;; [unrolled: 1-line block ×4, first 2 shown]
	v_mul_f32_e32 v41, v83, v6
	v_mul_f32_e32 v40, v66, v8
	v_mul_f32_e32 v119, v66, v10
	v_mul_f32_e32 v118, v83, v12
	s_and_saveexec_b32 s9, vcc_lo
	s_cbranch_execz .LBB247_841
; %bb.840:                              ;   in Loop: Header=BB247_671 Depth=1
	v_cmp_lt_i32_e64 s4, v99, v34
	v_cndmask_b32_e64 v40, 0, v40, s4
	v_cmp_lt_i32_e64 s4, v101, v34
	v_cndmask_b32_e64 v41, 0, v41, s4
	;; [unrolled: 2-line block ×4, first 2 shown]
.LBB247_841:                            ;   in Loop: Header=BB247_671 Depth=1
	s_or_b32 exec_lo, exec_lo, s9
	flat_load_dword v12, v[4:5] offset:640
	v_mov_b32_e32 v18, 0
	v_mov_b32_e32 v16, 0
	;; [unrolled: 1-line block ×4, first 2 shown]
	s_waitcnt vmcnt(0) lgkmcnt(0)
	v_cmp_ne_u16_sdwa s4, v12, v7 src0_sel:BYTE_0 src1_sel:DWORD
	s_and_saveexec_b32 s9, s4
	s_cbranch_execz .LBB247_849
; %bb.842:                              ;   in Loop: Header=BB247_671 Depth=1
	v_bfrev_b32_e32 v16, 1
	v_mov_b32_e32 v17, 0
	v_cmp_ne_u16_sdwa s4, v12, v68 src0_sel:BYTE_0 src1_sel:DWORD
	s_and_saveexec_b32 s11, s4
	s_cbranch_execz .LBB247_848
; %bb.843:                              ;   in Loop: Header=BB247_671 Depth=1
	v_mov_b32_e32 v16, 0x7f800001
	v_and_b32_e32 v10, 0x7f, v12
	v_mov_b32_e32 v17, 0
	s_mov_b32 s12, exec_lo
	v_cmpx_ne_u32_e32 0x7f, v10
	s_cbranch_execz .LBB247_847
; %bb.844:                              ;   in Loop: Header=BB247_671 Depth=1
	v_and_b32_e32 v6, 7, v12
	v_lshrrev_b32_e32 v8, 3, v10
	s_mov_b32 s13, exec_lo
	v_cmpx_gt_u32_e32 8, v10
; %bb.845:                              ;   in Loop: Header=BB247_671 Depth=1
	v_ffbh_u32_e32 v8, v6
	v_min_u32_e32 v8, 32, v8
	v_subrev_nc_u32_e32 v10, 28, v8
	v_sub_nc_u32_e32 v8, 29, v8
	v_lshlrev_b64 v[16:17], v10, v[6:7]
	v_and_b32_e32 v6, 7, v16
; %bb.846:                              ;   in Loop: Header=BB247_671 Depth=1
	s_or_b32 exec_lo, exec_lo, s13
	v_lshlrev_b32_e32 v10, 24, v12
	v_lshlrev_b32_e32 v6, 20, v6
	v_lshl_add_u32 v8, v8, 23, 0x3c000000
	v_and_b32_e32 v10, 0x80000000, v10
	v_or3_b32 v6, v6, v10, v8
	v_mov_b32_e32 v17, v7
	v_mov_b32_e32 v16, v6
.LBB247_847:                            ;   in Loop: Header=BB247_671 Depth=1
	s_or_b32 exec_lo, exec_lo, s12
.LBB247_848:                            ;   in Loop: Header=BB247_671 Depth=1
	s_or_b32 exec_lo, exec_lo, s11
.LBB247_849:                            ;   in Loop: Header=BB247_671 Depth=1
	s_or_b32 exec_lo, exec_lo, s9
	v_cmp_ne_u16_sdwa s4, v12, v7 src0_sel:BYTE_1 src1_sel:DWORD
	s_and_saveexec_b32 s9, s4
	s_cbranch_execz .LBB247_857
; %bb.850:                              ;   in Loop: Header=BB247_671 Depth=1
	v_mov_b32_e32 v8, v7
	v_mov_b32_e32 v19, v9
	v_cmp_ne_u16_sdwa s4, v12, v68 src0_sel:BYTE_1 src1_sel:DWORD
	v_mov_b32_e32 v18, v8
	s_and_saveexec_b32 s11, s4
	s_cbranch_execz .LBB247_856
; %bb.851:                              ;   in Loop: Header=BB247_671 Depth=1
	v_mov_b32_e32 v6, 0xffff
	v_mov_b32_e32 v10, v7
	;; [unrolled: 1-line block ×3, first 2 shown]
	s_mov_b32 s12, exec_lo
	v_and_b32_sdwa v6, v6, v12 dst_sel:DWORD dst_unused:UNUSED_PAD src0_sel:DWORD src1_sel:BYTE_1
	v_mov_b32_e32 v18, v10
	v_and_b32_e32 v13, 0x7f, v6
	v_cmpx_ne_u32_e32 0x7f, v13
	s_cbranch_execz .LBB247_855
; %bb.852:                              ;   in Loop: Header=BB247_671 Depth=1
	v_and_b32_e32 v6, 7, v6
	v_lshrrev_b32_e32 v8, 3, v13
	s_mov_b32 s13, exec_lo
	v_cmpx_gt_u32_e32 8, v13
; %bb.853:                              ;   in Loop: Header=BB247_671 Depth=1
	v_ffbh_u32_e32 v8, v6
	v_min_u32_e32 v8, 32, v8
	v_subrev_nc_u32_e32 v10, 28, v8
	v_sub_nc_u32_e32 v8, 29, v8
	v_lshlrev_b64 v[18:19], v10, v[6:7]
	v_and_b32_e32 v6, 7, v18
; %bb.854:                              ;   in Loop: Header=BB247_671 Depth=1
	s_or_b32 exec_lo, exec_lo, s13
	v_lshlrev_b32_e32 v10, 16, v12
	v_lshlrev_b32_e32 v6, 20, v6
	v_lshl_add_u32 v8, v8, 23, 0x3c000000
	v_mov_b32_e32 v18, v7
	v_and_b32_e32 v10, 0x80000000, v10
	v_or3_b32 v19, v6, v10, v8
.LBB247_855:                            ;   in Loop: Header=BB247_671 Depth=1
	s_or_b32 exec_lo, exec_lo, s12
.LBB247_856:                            ;   in Loop: Header=BB247_671 Depth=1
	s_or_b32 exec_lo, exec_lo, s11
.LBB247_857:                            ;   in Loop: Header=BB247_671 Depth=1
	s_or_b32 exec_lo, exec_lo, s9
	v_mov_b32_e32 v22, 0
	v_mov_b32_e32 v20, 0
	v_and_b32_sdwa v6, v12, v70 dst_sel:DWORD dst_unused:UNUSED_PAD src0_sel:WORD_1 src1_sel:DWORD
	v_mov_b32_e32 v23, 0
	v_mov_b32_e32 v21, 0
	s_mov_b32 s9, exec_lo
	v_cmpx_ne_u16_e32 0, v6
	s_cbranch_execz .LBB247_865
; %bb.858:                              ;   in Loop: Header=BB247_671 Depth=1
	v_bfrev_b32_e32 v20, 1
	v_mov_b32_e32 v21, 0
	s_mov_b32 s11, exec_lo
	v_cmpx_ne_u16_e32 0x80, v6
	s_cbranch_execz .LBB247_864
; %bb.859:                              ;   in Loop: Header=BB247_671 Depth=1
	v_mov_b32_e32 v20, 0x7f800001
	v_bfe_u32 v10, v12, 16, 7
	v_mov_b32_e32 v21, 0
	s_mov_b32 s12, exec_lo
	v_cmpx_ne_u32_e32 0x7f, v10
	s_cbranch_execz .LBB247_863
; %bb.860:                              ;   in Loop: Header=BB247_671 Depth=1
	v_mov_b32_e32 v6, 7
	v_lshrrev_b32_e32 v8, 3, v10
	s_mov_b32 s13, exec_lo
	v_and_b32_sdwa v6, v12, v6 dst_sel:DWORD dst_unused:UNUSED_PAD src0_sel:WORD_1 src1_sel:DWORD
	v_cmpx_gt_u32_e32 8, v10
; %bb.861:                              ;   in Loop: Header=BB247_671 Depth=1
	v_ffbh_u32_e32 v8, v6
	v_min_u32_e32 v8, 32, v8
	v_subrev_nc_u32_e32 v10, 28, v8
	v_sub_nc_u32_e32 v8, 29, v8
	v_lshlrev_b64 v[20:21], v10, v[6:7]
	v_and_b32_e32 v6, 7, v20
; %bb.862:                              ;   in Loop: Header=BB247_671 Depth=1
	s_or_b32 exec_lo, exec_lo, s13
	v_mov_b32_e32 v10, 24
	v_lshlrev_b32_e32 v6, 20, v6
	v_lshl_add_u32 v8, v8, 23, 0x3c000000
	v_lshlrev_b32_sdwa v10, v10, v12 dst_sel:DWORD dst_unused:UNUSED_PAD src0_sel:DWORD src1_sel:WORD_1
	v_and_b32_e32 v10, 0x80000000, v10
	v_or3_b32 v6, v6, v10, v8
	v_mov_b32_e32 v21, v7
	v_mov_b32_e32 v20, v6
.LBB247_863:                            ;   in Loop: Header=BB247_671 Depth=1
	s_or_b32 exec_lo, exec_lo, s12
.LBB247_864:                            ;   in Loop: Header=BB247_671 Depth=1
	s_or_b32 exec_lo, exec_lo, s11
.LBB247_865:                            ;   in Loop: Header=BB247_671 Depth=1
	s_or_b32 exec_lo, exec_lo, s9
	s_mov_b32 s9, exec_lo
	v_cmpx_lt_u32_e32 0xffffff, v12
	s_cbranch_execz .LBB247_873
; %bb.866:                              ;   in Loop: Header=BB247_671 Depth=1
	v_mov_b32_e32 v8, v7
	v_mov_b32_e32 v23, v9
	v_cmp_ne_u32_sdwa s4, v12, v68 src0_sel:BYTE_3 src1_sel:DWORD
	v_mov_b32_e32 v22, v8
	s_and_saveexec_b32 s11, s4
	s_cbranch_execz .LBB247_872
; %bb.867:                              ;   in Loop: Header=BB247_671 Depth=1
	v_mov_b32_e32 v10, v7
	v_mov_b32_e32 v23, v11
	v_bfe_u32 v13, v12, 24, 7
	s_mov_b32 s12, exec_lo
	v_mov_b32_e32 v22, v10
	v_cmpx_ne_u32_e32 0x7f, v13
	s_cbranch_execz .LBB247_871
; %bb.868:                              ;   in Loop: Header=BB247_671 Depth=1
	v_mov_b32_e32 v6, 7
	v_lshrrev_b32_e32 v8, 3, v13
	s_mov_b32 s13, exec_lo
	v_and_b32_sdwa v6, v12, v6 dst_sel:DWORD dst_unused:UNUSED_PAD src0_sel:BYTE_3 src1_sel:DWORD
	v_cmpx_gt_u32_e32 8, v13
; %bb.869:                              ;   in Loop: Header=BB247_671 Depth=1
	v_ffbh_u32_e32 v8, v6
	v_min_u32_e32 v8, 32, v8
	v_subrev_nc_u32_e32 v10, 28, v8
	v_sub_nc_u32_e32 v8, 29, v8
	v_lshlrev_b64 v[22:23], v10, v[6:7]
	v_and_b32_e32 v6, 7, v22
; %bb.870:                              ;   in Loop: Header=BB247_671 Depth=1
	s_or_b32 exec_lo, exec_lo, s13
	v_mov_b32_e32 v10, 24
	v_lshlrev_b32_e32 v6, 20, v6
	v_lshl_add_u32 v8, v8, 23, 0x3c000000
	v_mov_b32_e32 v22, v7
	v_lshlrev_b32_sdwa v10, v10, v12 dst_sel:DWORD dst_unused:UNUSED_PAD src0_sel:DWORD src1_sel:BYTE_3
	v_and_b32_e32 v10, 0x80000000, v10
	v_or3_b32 v23, v6, v10, v8
.LBB247_871:                            ;   in Loop: Header=BB247_671 Depth=1
	s_or_b32 exec_lo, exec_lo, s12
.LBB247_872:                            ;   in Loop: Header=BB247_671 Depth=1
	s_or_b32 exec_lo, exec_lo, s11
.LBB247_873:                            ;   in Loop: Header=BB247_671 Depth=1
	s_or_b32 exec_lo, exec_lo, s9
	v_or_b32_e32 v6, v19, v17
	v_or_b32_e32 v8, v18, v16
	v_or_b32_e32 v10, v22, v20
	v_or_b32_e32 v12, v23, v21
	v_mul_f32_e32 v44, v83, v6
	v_mul_f32_e32 v45, v66, v8
	;; [unrolled: 1-line block ×4, first 2 shown]
	s_and_saveexec_b32 s9, vcc_lo
	s_cbranch_execz .LBB247_875
; %bb.874:                              ;   in Loop: Header=BB247_671 Depth=1
	v_cmp_lt_i32_e64 s4, v99, v34
	v_cndmask_b32_e64 v45, 0, v45, s4
	v_cmp_lt_i32_e64 s4, v101, v34
	v_cndmask_b32_e64 v44, 0, v44, s4
	;; [unrolled: 2-line block ×4, first 2 shown]
.LBB247_875:                            ;   in Loop: Header=BB247_671 Depth=1
	s_or_b32 exec_lo, exec_lo, s9
	flat_load_dword v12, v[4:5] offset:768
	v_mov_b32_e32 v18, 0
	v_mov_b32_e32 v16, 0
	v_mov_b32_e32 v19, 0
	v_mov_b32_e32 v17, 0
	s_waitcnt vmcnt(0) lgkmcnt(0)
	v_cmp_ne_u16_sdwa s4, v12, v7 src0_sel:BYTE_0 src1_sel:DWORD
	s_and_saveexec_b32 s9, s4
	s_cbranch_execz .LBB247_883
; %bb.876:                              ;   in Loop: Header=BB247_671 Depth=1
	v_bfrev_b32_e32 v16, 1
	v_mov_b32_e32 v17, 0
	v_cmp_ne_u16_sdwa s4, v12, v68 src0_sel:BYTE_0 src1_sel:DWORD
	s_and_saveexec_b32 s11, s4
	s_cbranch_execz .LBB247_882
; %bb.877:                              ;   in Loop: Header=BB247_671 Depth=1
	v_mov_b32_e32 v16, 0x7f800001
	v_and_b32_e32 v10, 0x7f, v12
	v_mov_b32_e32 v17, 0
	s_mov_b32 s12, exec_lo
	v_cmpx_ne_u32_e32 0x7f, v10
	s_cbranch_execz .LBB247_881
; %bb.878:                              ;   in Loop: Header=BB247_671 Depth=1
	v_and_b32_e32 v6, 7, v12
	v_lshrrev_b32_e32 v8, 3, v10
	s_mov_b32 s13, exec_lo
	v_cmpx_gt_u32_e32 8, v10
; %bb.879:                              ;   in Loop: Header=BB247_671 Depth=1
	v_ffbh_u32_e32 v8, v6
	v_min_u32_e32 v8, 32, v8
	v_subrev_nc_u32_e32 v10, 28, v8
	v_sub_nc_u32_e32 v8, 29, v8
	v_lshlrev_b64 v[16:17], v10, v[6:7]
	v_and_b32_e32 v6, 7, v16
; %bb.880:                              ;   in Loop: Header=BB247_671 Depth=1
	s_or_b32 exec_lo, exec_lo, s13
	v_lshlrev_b32_e32 v10, 24, v12
	v_lshlrev_b32_e32 v6, 20, v6
	v_lshl_add_u32 v8, v8, 23, 0x3c000000
	v_and_b32_e32 v10, 0x80000000, v10
	v_or3_b32 v6, v6, v10, v8
	v_mov_b32_e32 v17, v7
	v_mov_b32_e32 v16, v6
.LBB247_881:                            ;   in Loop: Header=BB247_671 Depth=1
	s_or_b32 exec_lo, exec_lo, s12
.LBB247_882:                            ;   in Loop: Header=BB247_671 Depth=1
	s_or_b32 exec_lo, exec_lo, s11
.LBB247_883:                            ;   in Loop: Header=BB247_671 Depth=1
	s_or_b32 exec_lo, exec_lo, s9
	v_cmp_ne_u16_sdwa s4, v12, v7 src0_sel:BYTE_1 src1_sel:DWORD
	s_and_saveexec_b32 s9, s4
	s_cbranch_execz .LBB247_891
; %bb.884:                              ;   in Loop: Header=BB247_671 Depth=1
	v_mov_b32_e32 v8, v7
	v_mov_b32_e32 v19, v9
	v_cmp_ne_u16_sdwa s4, v12, v68 src0_sel:BYTE_1 src1_sel:DWORD
	v_mov_b32_e32 v18, v8
	s_and_saveexec_b32 s11, s4
	s_cbranch_execz .LBB247_890
; %bb.885:                              ;   in Loop: Header=BB247_671 Depth=1
	v_mov_b32_e32 v6, 0xffff
	v_mov_b32_e32 v10, v7
	;; [unrolled: 1-line block ×3, first 2 shown]
	s_mov_b32 s12, exec_lo
	v_and_b32_sdwa v6, v6, v12 dst_sel:DWORD dst_unused:UNUSED_PAD src0_sel:DWORD src1_sel:BYTE_1
	v_mov_b32_e32 v18, v10
	v_and_b32_e32 v13, 0x7f, v6
	v_cmpx_ne_u32_e32 0x7f, v13
	s_cbranch_execz .LBB247_889
; %bb.886:                              ;   in Loop: Header=BB247_671 Depth=1
	v_and_b32_e32 v6, 7, v6
	v_lshrrev_b32_e32 v8, 3, v13
	s_mov_b32 s13, exec_lo
	v_cmpx_gt_u32_e32 8, v13
; %bb.887:                              ;   in Loop: Header=BB247_671 Depth=1
	v_ffbh_u32_e32 v8, v6
	v_min_u32_e32 v8, 32, v8
	v_subrev_nc_u32_e32 v10, 28, v8
	v_sub_nc_u32_e32 v8, 29, v8
	v_lshlrev_b64 v[18:19], v10, v[6:7]
	v_and_b32_e32 v6, 7, v18
; %bb.888:                              ;   in Loop: Header=BB247_671 Depth=1
	s_or_b32 exec_lo, exec_lo, s13
	v_lshlrev_b32_e32 v10, 16, v12
	v_lshlrev_b32_e32 v6, 20, v6
	v_lshl_add_u32 v8, v8, 23, 0x3c000000
	v_mov_b32_e32 v18, v7
	v_and_b32_e32 v10, 0x80000000, v10
	v_or3_b32 v19, v6, v10, v8
.LBB247_889:                            ;   in Loop: Header=BB247_671 Depth=1
	s_or_b32 exec_lo, exec_lo, s12
.LBB247_890:                            ;   in Loop: Header=BB247_671 Depth=1
	s_or_b32 exec_lo, exec_lo, s11
.LBB247_891:                            ;   in Loop: Header=BB247_671 Depth=1
	s_or_b32 exec_lo, exec_lo, s9
	v_mov_b32_e32 v22, 0
	v_mov_b32_e32 v20, 0
	v_and_b32_sdwa v6, v12, v70 dst_sel:DWORD dst_unused:UNUSED_PAD src0_sel:WORD_1 src1_sel:DWORD
	v_mov_b32_e32 v23, 0
	v_mov_b32_e32 v21, 0
	s_mov_b32 s9, exec_lo
	v_cmpx_ne_u16_e32 0, v6
	s_cbranch_execz .LBB247_899
; %bb.892:                              ;   in Loop: Header=BB247_671 Depth=1
	v_bfrev_b32_e32 v20, 1
	v_mov_b32_e32 v21, 0
	s_mov_b32 s11, exec_lo
	v_cmpx_ne_u16_e32 0x80, v6
	s_cbranch_execz .LBB247_898
; %bb.893:                              ;   in Loop: Header=BB247_671 Depth=1
	v_mov_b32_e32 v20, 0x7f800001
	v_bfe_u32 v10, v12, 16, 7
	v_mov_b32_e32 v21, 0
	s_mov_b32 s12, exec_lo
	v_cmpx_ne_u32_e32 0x7f, v10
	s_cbranch_execz .LBB247_897
; %bb.894:                              ;   in Loop: Header=BB247_671 Depth=1
	v_mov_b32_e32 v6, 7
	v_lshrrev_b32_e32 v8, 3, v10
	s_mov_b32 s13, exec_lo
	v_and_b32_sdwa v6, v12, v6 dst_sel:DWORD dst_unused:UNUSED_PAD src0_sel:WORD_1 src1_sel:DWORD
	v_cmpx_gt_u32_e32 8, v10
; %bb.895:                              ;   in Loop: Header=BB247_671 Depth=1
	v_ffbh_u32_e32 v8, v6
	v_min_u32_e32 v8, 32, v8
	v_subrev_nc_u32_e32 v10, 28, v8
	v_sub_nc_u32_e32 v8, 29, v8
	v_lshlrev_b64 v[20:21], v10, v[6:7]
	v_and_b32_e32 v6, 7, v20
; %bb.896:                              ;   in Loop: Header=BB247_671 Depth=1
	s_or_b32 exec_lo, exec_lo, s13
	v_mov_b32_e32 v10, 24
	v_lshlrev_b32_e32 v6, 20, v6
	v_lshl_add_u32 v8, v8, 23, 0x3c000000
	v_lshlrev_b32_sdwa v10, v10, v12 dst_sel:DWORD dst_unused:UNUSED_PAD src0_sel:DWORD src1_sel:WORD_1
	v_and_b32_e32 v10, 0x80000000, v10
	v_or3_b32 v6, v6, v10, v8
	v_mov_b32_e32 v21, v7
	v_mov_b32_e32 v20, v6
.LBB247_897:                            ;   in Loop: Header=BB247_671 Depth=1
	s_or_b32 exec_lo, exec_lo, s12
.LBB247_898:                            ;   in Loop: Header=BB247_671 Depth=1
	s_or_b32 exec_lo, exec_lo, s11
.LBB247_899:                            ;   in Loop: Header=BB247_671 Depth=1
	s_or_b32 exec_lo, exec_lo, s9
	s_mov_b32 s9, exec_lo
	v_cmpx_lt_u32_e32 0xffffff, v12
	s_cbranch_execz .LBB247_907
; %bb.900:                              ;   in Loop: Header=BB247_671 Depth=1
	v_mov_b32_e32 v8, v7
	v_mov_b32_e32 v23, v9
	v_cmp_ne_u32_sdwa s4, v12, v68 src0_sel:BYTE_3 src1_sel:DWORD
	v_mov_b32_e32 v22, v8
	s_and_saveexec_b32 s11, s4
	s_cbranch_execz .LBB247_906
; %bb.901:                              ;   in Loop: Header=BB247_671 Depth=1
	v_mov_b32_e32 v10, v7
	v_mov_b32_e32 v23, v11
	v_bfe_u32 v13, v12, 24, 7
	s_mov_b32 s12, exec_lo
	v_mov_b32_e32 v22, v10
	v_cmpx_ne_u32_e32 0x7f, v13
	s_cbranch_execz .LBB247_905
; %bb.902:                              ;   in Loop: Header=BB247_671 Depth=1
	v_mov_b32_e32 v6, 7
	v_lshrrev_b32_e32 v8, 3, v13
	s_mov_b32 s13, exec_lo
	v_and_b32_sdwa v6, v12, v6 dst_sel:DWORD dst_unused:UNUSED_PAD src0_sel:BYTE_3 src1_sel:DWORD
	v_cmpx_gt_u32_e32 8, v13
; %bb.903:                              ;   in Loop: Header=BB247_671 Depth=1
	v_ffbh_u32_e32 v8, v6
	v_min_u32_e32 v8, 32, v8
	v_subrev_nc_u32_e32 v10, 28, v8
	v_sub_nc_u32_e32 v8, 29, v8
	v_lshlrev_b64 v[22:23], v10, v[6:7]
	v_and_b32_e32 v6, 7, v22
; %bb.904:                              ;   in Loop: Header=BB247_671 Depth=1
	s_or_b32 exec_lo, exec_lo, s13
	v_mov_b32_e32 v10, 24
	v_lshlrev_b32_e32 v6, 20, v6
	v_lshl_add_u32 v8, v8, 23, 0x3c000000
	v_mov_b32_e32 v22, v7
	v_lshlrev_b32_sdwa v10, v10, v12 dst_sel:DWORD dst_unused:UNUSED_PAD src0_sel:DWORD src1_sel:BYTE_3
	v_and_b32_e32 v10, 0x80000000, v10
	v_or3_b32 v23, v6, v10, v8
.LBB247_905:                            ;   in Loop: Header=BB247_671 Depth=1
	s_or_b32 exec_lo, exec_lo, s12
.LBB247_906:                            ;   in Loop: Header=BB247_671 Depth=1
	s_or_b32 exec_lo, exec_lo, s11
.LBB247_907:                            ;   in Loop: Header=BB247_671 Depth=1
	s_or_b32 exec_lo, exec_lo, s9
	v_or_b32_e32 v6, v19, v17
	v_or_b32_e32 v8, v18, v16
	;; [unrolled: 1-line block ×4, first 2 shown]
	v_mul_f32_e32 v56, v83, v6
	v_mul_f32_e32 v57, v66, v8
	;; [unrolled: 1-line block ×4, first 2 shown]
	s_and_saveexec_b32 s9, vcc_lo
	s_cbranch_execz .LBB247_909
; %bb.908:                              ;   in Loop: Header=BB247_671 Depth=1
	v_cmp_lt_i32_e64 s4, v99, v34
	v_cndmask_b32_e64 v57, 0, v57, s4
	v_cmp_lt_i32_e64 s4, v101, v34
	v_cndmask_b32_e64 v56, 0, v56, s4
	v_cmp_lt_i32_e64 s4, v100, v34
	v_cndmask_b32_e64 v47, 0, v47, s4
	v_cmp_lt_i32_e64 s4, v81, v34
	v_cndmask_b32_e64 v46, 0, v46, s4
.LBB247_909:                            ;   in Loop: Header=BB247_671 Depth=1
	s_or_b32 exec_lo, exec_lo, s9
	flat_load_dword v12, v[4:5] offset:896
	v_mov_b32_e32 v18, 0
	v_mov_b32_e32 v16, 0
	;; [unrolled: 1-line block ×4, first 2 shown]
	s_waitcnt vmcnt(0) lgkmcnt(0)
	v_cmp_ne_u16_sdwa s4, v12, v7 src0_sel:BYTE_0 src1_sel:DWORD
	s_and_saveexec_b32 s9, s4
	s_cbranch_execz .LBB247_917
; %bb.910:                              ;   in Loop: Header=BB247_671 Depth=1
	v_bfrev_b32_e32 v16, 1
	v_mov_b32_e32 v17, 0
	v_cmp_ne_u16_sdwa s4, v12, v68 src0_sel:BYTE_0 src1_sel:DWORD
	s_and_saveexec_b32 s11, s4
	s_cbranch_execz .LBB247_916
; %bb.911:                              ;   in Loop: Header=BB247_671 Depth=1
	v_mov_b32_e32 v16, 0x7f800001
	v_and_b32_e32 v10, 0x7f, v12
	v_mov_b32_e32 v17, 0
	s_mov_b32 s12, exec_lo
	v_cmpx_ne_u32_e32 0x7f, v10
	s_cbranch_execz .LBB247_915
; %bb.912:                              ;   in Loop: Header=BB247_671 Depth=1
	v_and_b32_e32 v6, 7, v12
	v_lshrrev_b32_e32 v8, 3, v10
	s_mov_b32 s13, exec_lo
	v_cmpx_gt_u32_e32 8, v10
; %bb.913:                              ;   in Loop: Header=BB247_671 Depth=1
	v_ffbh_u32_e32 v8, v6
	v_min_u32_e32 v8, 32, v8
	v_subrev_nc_u32_e32 v10, 28, v8
	v_sub_nc_u32_e32 v8, 29, v8
	v_lshlrev_b64 v[16:17], v10, v[6:7]
	v_and_b32_e32 v6, 7, v16
; %bb.914:                              ;   in Loop: Header=BB247_671 Depth=1
	s_or_b32 exec_lo, exec_lo, s13
	v_lshlrev_b32_e32 v10, 24, v12
	v_lshlrev_b32_e32 v6, 20, v6
	v_lshl_add_u32 v8, v8, 23, 0x3c000000
	v_and_b32_e32 v10, 0x80000000, v10
	v_or3_b32 v6, v6, v10, v8
	v_mov_b32_e32 v17, v7
	v_mov_b32_e32 v16, v6
.LBB247_915:                            ;   in Loop: Header=BB247_671 Depth=1
	s_or_b32 exec_lo, exec_lo, s12
.LBB247_916:                            ;   in Loop: Header=BB247_671 Depth=1
	s_or_b32 exec_lo, exec_lo, s11
.LBB247_917:                            ;   in Loop: Header=BB247_671 Depth=1
	s_or_b32 exec_lo, exec_lo, s9
	v_cmp_ne_u16_sdwa s4, v12, v7 src0_sel:BYTE_1 src1_sel:DWORD
	s_and_saveexec_b32 s9, s4
	s_cbranch_execz .LBB247_925
; %bb.918:                              ;   in Loop: Header=BB247_671 Depth=1
	v_mov_b32_e32 v8, v7
	v_mov_b32_e32 v19, v9
	v_cmp_ne_u16_sdwa s4, v12, v68 src0_sel:BYTE_1 src1_sel:DWORD
	v_mov_b32_e32 v18, v8
	s_and_saveexec_b32 s11, s4
	s_cbranch_execz .LBB247_924
; %bb.919:                              ;   in Loop: Header=BB247_671 Depth=1
	v_mov_b32_e32 v6, 0xffff
	v_mov_b32_e32 v10, v7
	;; [unrolled: 1-line block ×3, first 2 shown]
	s_mov_b32 s12, exec_lo
	v_and_b32_sdwa v6, v6, v12 dst_sel:DWORD dst_unused:UNUSED_PAD src0_sel:DWORD src1_sel:BYTE_1
	v_mov_b32_e32 v18, v10
	v_and_b32_e32 v13, 0x7f, v6
	v_cmpx_ne_u32_e32 0x7f, v13
	s_cbranch_execz .LBB247_923
; %bb.920:                              ;   in Loop: Header=BB247_671 Depth=1
	v_and_b32_e32 v6, 7, v6
	v_lshrrev_b32_e32 v8, 3, v13
	s_mov_b32 s13, exec_lo
	v_cmpx_gt_u32_e32 8, v13
; %bb.921:                              ;   in Loop: Header=BB247_671 Depth=1
	v_ffbh_u32_e32 v8, v6
	v_min_u32_e32 v8, 32, v8
	v_subrev_nc_u32_e32 v10, 28, v8
	v_sub_nc_u32_e32 v8, 29, v8
	v_lshlrev_b64 v[18:19], v10, v[6:7]
	v_and_b32_e32 v6, 7, v18
; %bb.922:                              ;   in Loop: Header=BB247_671 Depth=1
	s_or_b32 exec_lo, exec_lo, s13
	v_lshlrev_b32_e32 v10, 16, v12
	v_lshlrev_b32_e32 v6, 20, v6
	v_lshl_add_u32 v8, v8, 23, 0x3c000000
	v_mov_b32_e32 v18, v7
	v_and_b32_e32 v10, 0x80000000, v10
	v_or3_b32 v19, v6, v10, v8
.LBB247_923:                            ;   in Loop: Header=BB247_671 Depth=1
	s_or_b32 exec_lo, exec_lo, s12
.LBB247_924:                            ;   in Loop: Header=BB247_671 Depth=1
	s_or_b32 exec_lo, exec_lo, s11
.LBB247_925:                            ;   in Loop: Header=BB247_671 Depth=1
	s_or_b32 exec_lo, exec_lo, s9
	v_mov_b32_e32 v22, 0
	v_mov_b32_e32 v20, 0
	v_and_b32_sdwa v6, v12, v70 dst_sel:DWORD dst_unused:UNUSED_PAD src0_sel:WORD_1 src1_sel:DWORD
	v_mov_b32_e32 v23, 0
	v_mov_b32_e32 v21, 0
	s_mov_b32 s9, exec_lo
	v_cmpx_ne_u16_e32 0, v6
	s_cbranch_execz .LBB247_933
; %bb.926:                              ;   in Loop: Header=BB247_671 Depth=1
	v_bfrev_b32_e32 v20, 1
	v_mov_b32_e32 v21, 0
	s_mov_b32 s11, exec_lo
	v_cmpx_ne_u16_e32 0x80, v6
	s_cbranch_execz .LBB247_932
; %bb.927:                              ;   in Loop: Header=BB247_671 Depth=1
	v_mov_b32_e32 v20, 0x7f800001
	v_bfe_u32 v10, v12, 16, 7
	v_mov_b32_e32 v21, 0
	s_mov_b32 s12, exec_lo
	v_cmpx_ne_u32_e32 0x7f, v10
	s_cbranch_execz .LBB247_931
; %bb.928:                              ;   in Loop: Header=BB247_671 Depth=1
	v_mov_b32_e32 v6, 7
	v_lshrrev_b32_e32 v8, 3, v10
	s_mov_b32 s13, exec_lo
	v_and_b32_sdwa v6, v12, v6 dst_sel:DWORD dst_unused:UNUSED_PAD src0_sel:WORD_1 src1_sel:DWORD
	v_cmpx_gt_u32_e32 8, v10
; %bb.929:                              ;   in Loop: Header=BB247_671 Depth=1
	v_ffbh_u32_e32 v8, v6
	v_min_u32_e32 v8, 32, v8
	v_subrev_nc_u32_e32 v10, 28, v8
	v_sub_nc_u32_e32 v8, 29, v8
	v_lshlrev_b64 v[20:21], v10, v[6:7]
	v_and_b32_e32 v6, 7, v20
; %bb.930:                              ;   in Loop: Header=BB247_671 Depth=1
	s_or_b32 exec_lo, exec_lo, s13
	v_mov_b32_e32 v10, 24
	v_lshlrev_b32_e32 v6, 20, v6
	v_lshl_add_u32 v8, v8, 23, 0x3c000000
	v_lshlrev_b32_sdwa v10, v10, v12 dst_sel:DWORD dst_unused:UNUSED_PAD src0_sel:DWORD src1_sel:WORD_1
	v_and_b32_e32 v10, 0x80000000, v10
	v_or3_b32 v6, v6, v10, v8
	v_mov_b32_e32 v21, v7
	v_mov_b32_e32 v20, v6
.LBB247_931:                            ;   in Loop: Header=BB247_671 Depth=1
	s_or_b32 exec_lo, exec_lo, s12
.LBB247_932:                            ;   in Loop: Header=BB247_671 Depth=1
	s_or_b32 exec_lo, exec_lo, s11
.LBB247_933:                            ;   in Loop: Header=BB247_671 Depth=1
	s_or_b32 exec_lo, exec_lo, s9
	s_mov_b32 s9, exec_lo
	v_cmpx_lt_u32_e32 0xffffff, v12
	s_cbranch_execz .LBB247_941
; %bb.934:                              ;   in Loop: Header=BB247_671 Depth=1
	v_mov_b32_e32 v8, v7
	v_mov_b32_e32 v23, v9
	v_cmp_ne_u32_sdwa s4, v12, v68 src0_sel:BYTE_3 src1_sel:DWORD
	v_mov_b32_e32 v22, v8
	s_and_saveexec_b32 s11, s4
	s_cbranch_execz .LBB247_940
; %bb.935:                              ;   in Loop: Header=BB247_671 Depth=1
	v_mov_b32_e32 v10, v7
	v_mov_b32_e32 v23, v11
	v_bfe_u32 v13, v12, 24, 7
	s_mov_b32 s12, exec_lo
	v_mov_b32_e32 v22, v10
	v_cmpx_ne_u32_e32 0x7f, v13
	s_cbranch_execz .LBB247_939
; %bb.936:                              ;   in Loop: Header=BB247_671 Depth=1
	v_mov_b32_e32 v6, 7
	v_lshrrev_b32_e32 v8, 3, v13
	s_mov_b32 s13, exec_lo
	v_and_b32_sdwa v6, v12, v6 dst_sel:DWORD dst_unused:UNUSED_PAD src0_sel:BYTE_3 src1_sel:DWORD
	v_cmpx_gt_u32_e32 8, v13
; %bb.937:                              ;   in Loop: Header=BB247_671 Depth=1
	v_ffbh_u32_e32 v8, v6
	v_min_u32_e32 v8, 32, v8
	v_subrev_nc_u32_e32 v10, 28, v8
	v_sub_nc_u32_e32 v8, 29, v8
	v_lshlrev_b64 v[22:23], v10, v[6:7]
	v_and_b32_e32 v6, 7, v22
; %bb.938:                              ;   in Loop: Header=BB247_671 Depth=1
	s_or_b32 exec_lo, exec_lo, s13
	v_mov_b32_e32 v10, 24
	v_lshlrev_b32_e32 v6, 20, v6
	v_lshl_add_u32 v8, v8, 23, 0x3c000000
	v_mov_b32_e32 v22, v7
	v_lshlrev_b32_sdwa v10, v10, v12 dst_sel:DWORD dst_unused:UNUSED_PAD src0_sel:DWORD src1_sel:BYTE_3
	v_and_b32_e32 v10, 0x80000000, v10
	v_or3_b32 v23, v6, v10, v8
.LBB247_939:                            ;   in Loop: Header=BB247_671 Depth=1
	s_or_b32 exec_lo, exec_lo, s12
.LBB247_940:                            ;   in Loop: Header=BB247_671 Depth=1
	s_or_b32 exec_lo, exec_lo, s11
.LBB247_941:                            ;   in Loop: Header=BB247_671 Depth=1
	s_or_b32 exec_lo, exec_lo, s9
	v_or_b32_e32 v6, v19, v17
	v_or_b32_e32 v8, v18, v16
	;; [unrolled: 1-line block ×4, first 2 shown]
	v_mul_f32_e32 v60, v83, v6
	v_mul_f32_e32 v61, v66, v8
	;; [unrolled: 1-line block ×4, first 2 shown]
	s_and_saveexec_b32 s9, vcc_lo
	s_cbranch_execz .LBB247_943
; %bb.942:                              ;   in Loop: Header=BB247_671 Depth=1
	v_cmp_lt_i32_e64 s4, v99, v34
	v_cndmask_b32_e64 v61, 0, v61, s4
	v_cmp_lt_i32_e64 s4, v101, v34
	v_cndmask_b32_e64 v60, 0, v60, s4
	;; [unrolled: 2-line block ×4, first 2 shown]
.LBB247_943:                            ;   in Loop: Header=BB247_671 Depth=1
	s_or_b32 exec_lo, exec_lo, s9
	flat_load_dword v12, v[4:5] offset:1024
	v_mov_b32_e32 v18, 0
	v_mov_b32_e32 v16, 0
	;; [unrolled: 1-line block ×4, first 2 shown]
	s_waitcnt vmcnt(0) lgkmcnt(0)
	v_cmp_ne_u16_sdwa s4, v12, v7 src0_sel:BYTE_0 src1_sel:DWORD
	s_and_saveexec_b32 s9, s4
	s_cbranch_execz .LBB247_951
; %bb.944:                              ;   in Loop: Header=BB247_671 Depth=1
	v_bfrev_b32_e32 v16, 1
	v_mov_b32_e32 v17, 0
	v_cmp_ne_u16_sdwa s4, v12, v68 src0_sel:BYTE_0 src1_sel:DWORD
	s_and_saveexec_b32 s11, s4
	s_cbranch_execz .LBB247_950
; %bb.945:                              ;   in Loop: Header=BB247_671 Depth=1
	v_mov_b32_e32 v16, 0x7f800001
	v_and_b32_e32 v10, 0x7f, v12
	v_mov_b32_e32 v17, 0
	s_mov_b32 s12, exec_lo
	v_cmpx_ne_u32_e32 0x7f, v10
	s_cbranch_execz .LBB247_949
; %bb.946:                              ;   in Loop: Header=BB247_671 Depth=1
	v_and_b32_e32 v6, 7, v12
	v_lshrrev_b32_e32 v8, 3, v10
	s_mov_b32 s13, exec_lo
	v_cmpx_gt_u32_e32 8, v10
; %bb.947:                              ;   in Loop: Header=BB247_671 Depth=1
	v_ffbh_u32_e32 v8, v6
	v_min_u32_e32 v8, 32, v8
	v_subrev_nc_u32_e32 v10, 28, v8
	v_sub_nc_u32_e32 v8, 29, v8
	v_lshlrev_b64 v[16:17], v10, v[6:7]
	v_and_b32_e32 v6, 7, v16
; %bb.948:                              ;   in Loop: Header=BB247_671 Depth=1
	s_or_b32 exec_lo, exec_lo, s13
	v_lshlrev_b32_e32 v10, 24, v12
	v_lshlrev_b32_e32 v6, 20, v6
	v_lshl_add_u32 v8, v8, 23, 0x3c000000
	v_and_b32_e32 v10, 0x80000000, v10
	v_or3_b32 v6, v6, v10, v8
	v_mov_b32_e32 v17, v7
	v_mov_b32_e32 v16, v6
.LBB247_949:                            ;   in Loop: Header=BB247_671 Depth=1
	s_or_b32 exec_lo, exec_lo, s12
.LBB247_950:                            ;   in Loop: Header=BB247_671 Depth=1
	s_or_b32 exec_lo, exec_lo, s11
.LBB247_951:                            ;   in Loop: Header=BB247_671 Depth=1
	s_or_b32 exec_lo, exec_lo, s9
	v_cmp_ne_u16_sdwa s4, v12, v7 src0_sel:BYTE_1 src1_sel:DWORD
	s_and_saveexec_b32 s9, s4
	s_cbranch_execz .LBB247_959
; %bb.952:                              ;   in Loop: Header=BB247_671 Depth=1
	v_mov_b32_e32 v8, v7
	v_mov_b32_e32 v19, v9
	v_cmp_ne_u16_sdwa s4, v12, v68 src0_sel:BYTE_1 src1_sel:DWORD
	v_mov_b32_e32 v18, v8
	s_and_saveexec_b32 s11, s4
	s_cbranch_execz .LBB247_958
; %bb.953:                              ;   in Loop: Header=BB247_671 Depth=1
	v_mov_b32_e32 v6, 0xffff
	v_mov_b32_e32 v10, v7
	;; [unrolled: 1-line block ×3, first 2 shown]
	s_mov_b32 s12, exec_lo
	v_and_b32_sdwa v6, v6, v12 dst_sel:DWORD dst_unused:UNUSED_PAD src0_sel:DWORD src1_sel:BYTE_1
	v_mov_b32_e32 v18, v10
	v_and_b32_e32 v13, 0x7f, v6
	v_cmpx_ne_u32_e32 0x7f, v13
	s_cbranch_execz .LBB247_957
; %bb.954:                              ;   in Loop: Header=BB247_671 Depth=1
	v_and_b32_e32 v6, 7, v6
	v_lshrrev_b32_e32 v8, 3, v13
	s_mov_b32 s13, exec_lo
	v_cmpx_gt_u32_e32 8, v13
; %bb.955:                              ;   in Loop: Header=BB247_671 Depth=1
	v_ffbh_u32_e32 v8, v6
	v_min_u32_e32 v8, 32, v8
	v_subrev_nc_u32_e32 v10, 28, v8
	v_sub_nc_u32_e32 v8, 29, v8
	v_lshlrev_b64 v[18:19], v10, v[6:7]
	v_and_b32_e32 v6, 7, v18
; %bb.956:                              ;   in Loop: Header=BB247_671 Depth=1
	s_or_b32 exec_lo, exec_lo, s13
	v_lshlrev_b32_e32 v10, 16, v12
	v_lshlrev_b32_e32 v6, 20, v6
	v_lshl_add_u32 v8, v8, 23, 0x3c000000
	v_mov_b32_e32 v18, v7
	v_and_b32_e32 v10, 0x80000000, v10
	v_or3_b32 v19, v6, v10, v8
.LBB247_957:                            ;   in Loop: Header=BB247_671 Depth=1
	s_or_b32 exec_lo, exec_lo, s12
.LBB247_958:                            ;   in Loop: Header=BB247_671 Depth=1
	s_or_b32 exec_lo, exec_lo, s11
.LBB247_959:                            ;   in Loop: Header=BB247_671 Depth=1
	s_or_b32 exec_lo, exec_lo, s9
	v_mov_b32_e32 v22, 0
	v_mov_b32_e32 v20, 0
	v_and_b32_sdwa v6, v12, v70 dst_sel:DWORD dst_unused:UNUSED_PAD src0_sel:WORD_1 src1_sel:DWORD
	v_mov_b32_e32 v23, 0
	v_mov_b32_e32 v21, 0
	s_mov_b32 s9, exec_lo
	v_cmpx_ne_u16_e32 0, v6
	s_cbranch_execz .LBB247_967
; %bb.960:                              ;   in Loop: Header=BB247_671 Depth=1
	v_bfrev_b32_e32 v20, 1
	v_mov_b32_e32 v21, 0
	s_mov_b32 s11, exec_lo
	v_cmpx_ne_u16_e32 0x80, v6
	s_cbranch_execz .LBB247_966
; %bb.961:                              ;   in Loop: Header=BB247_671 Depth=1
	v_mov_b32_e32 v20, 0x7f800001
	v_bfe_u32 v10, v12, 16, 7
	v_mov_b32_e32 v21, 0
	s_mov_b32 s12, exec_lo
	v_cmpx_ne_u32_e32 0x7f, v10
	s_cbranch_execz .LBB247_965
; %bb.962:                              ;   in Loop: Header=BB247_671 Depth=1
	v_mov_b32_e32 v6, 7
	v_lshrrev_b32_e32 v8, 3, v10
	s_mov_b32 s13, exec_lo
	v_and_b32_sdwa v6, v12, v6 dst_sel:DWORD dst_unused:UNUSED_PAD src0_sel:WORD_1 src1_sel:DWORD
	v_cmpx_gt_u32_e32 8, v10
; %bb.963:                              ;   in Loop: Header=BB247_671 Depth=1
	v_ffbh_u32_e32 v8, v6
	v_min_u32_e32 v8, 32, v8
	v_subrev_nc_u32_e32 v10, 28, v8
	v_sub_nc_u32_e32 v8, 29, v8
	v_lshlrev_b64 v[20:21], v10, v[6:7]
	v_and_b32_e32 v6, 7, v20
; %bb.964:                              ;   in Loop: Header=BB247_671 Depth=1
	s_or_b32 exec_lo, exec_lo, s13
	v_mov_b32_e32 v10, 24
	v_lshlrev_b32_e32 v6, 20, v6
	v_lshl_add_u32 v8, v8, 23, 0x3c000000
	v_lshlrev_b32_sdwa v10, v10, v12 dst_sel:DWORD dst_unused:UNUSED_PAD src0_sel:DWORD src1_sel:WORD_1
	v_and_b32_e32 v10, 0x80000000, v10
	v_or3_b32 v6, v6, v10, v8
	v_mov_b32_e32 v21, v7
	v_mov_b32_e32 v20, v6
.LBB247_965:                            ;   in Loop: Header=BB247_671 Depth=1
	s_or_b32 exec_lo, exec_lo, s12
.LBB247_966:                            ;   in Loop: Header=BB247_671 Depth=1
	s_or_b32 exec_lo, exec_lo, s11
.LBB247_967:                            ;   in Loop: Header=BB247_671 Depth=1
	s_or_b32 exec_lo, exec_lo, s9
	s_mov_b32 s9, exec_lo
	v_cmpx_lt_u32_e32 0xffffff, v12
	s_cbranch_execz .LBB247_975
; %bb.968:                              ;   in Loop: Header=BB247_671 Depth=1
	v_mov_b32_e32 v8, v7
	v_mov_b32_e32 v23, v9
	v_cmp_ne_u32_sdwa s4, v12, v68 src0_sel:BYTE_3 src1_sel:DWORD
	v_mov_b32_e32 v22, v8
	s_and_saveexec_b32 s11, s4
	s_cbranch_execz .LBB247_974
; %bb.969:                              ;   in Loop: Header=BB247_671 Depth=1
	v_mov_b32_e32 v10, v7
	v_mov_b32_e32 v23, v11
	v_bfe_u32 v13, v12, 24, 7
	s_mov_b32 s12, exec_lo
	v_mov_b32_e32 v22, v10
	v_cmpx_ne_u32_e32 0x7f, v13
	s_cbranch_execz .LBB247_973
; %bb.970:                              ;   in Loop: Header=BB247_671 Depth=1
	v_mov_b32_e32 v6, 7
	v_lshrrev_b32_e32 v8, 3, v13
	s_mov_b32 s13, exec_lo
	v_and_b32_sdwa v6, v12, v6 dst_sel:DWORD dst_unused:UNUSED_PAD src0_sel:BYTE_3 src1_sel:DWORD
	v_cmpx_gt_u32_e32 8, v13
; %bb.971:                              ;   in Loop: Header=BB247_671 Depth=1
	v_ffbh_u32_e32 v8, v6
	v_min_u32_e32 v8, 32, v8
	v_subrev_nc_u32_e32 v10, 28, v8
	v_sub_nc_u32_e32 v8, 29, v8
	v_lshlrev_b64 v[22:23], v10, v[6:7]
	v_and_b32_e32 v6, 7, v22
; %bb.972:                              ;   in Loop: Header=BB247_671 Depth=1
	s_or_b32 exec_lo, exec_lo, s13
	v_mov_b32_e32 v10, 24
	v_lshlrev_b32_e32 v6, 20, v6
	v_lshl_add_u32 v8, v8, 23, 0x3c000000
	v_mov_b32_e32 v22, v7
	v_lshlrev_b32_sdwa v10, v10, v12 dst_sel:DWORD dst_unused:UNUSED_PAD src0_sel:DWORD src1_sel:BYTE_3
	v_and_b32_e32 v10, 0x80000000, v10
	v_or3_b32 v23, v6, v10, v8
.LBB247_973:                            ;   in Loop: Header=BB247_671 Depth=1
	s_or_b32 exec_lo, exec_lo, s12
.LBB247_974:                            ;   in Loop: Header=BB247_671 Depth=1
	s_or_b32 exec_lo, exec_lo, s11
.LBB247_975:                            ;   in Loop: Header=BB247_671 Depth=1
	s_or_b32 exec_lo, exec_lo, s9
	v_or_b32_e32 v6, v19, v17
	v_or_b32_e32 v8, v18, v16
	;; [unrolled: 1-line block ×4, first 2 shown]
	v_mul_f32_e32 v73, v83, v6
	v_mul_f32_e32 v72, v66, v8
	;; [unrolled: 1-line block ×4, first 2 shown]
	s_and_saveexec_b32 s9, vcc_lo
	s_cbranch_execz .LBB247_977
; %bb.976:                              ;   in Loop: Header=BB247_671 Depth=1
	v_cmp_lt_i32_e64 s4, v99, v34
	v_cndmask_b32_e64 v72, 0, v72, s4
	v_cmp_lt_i32_e64 s4, v101, v34
	v_cndmask_b32_e64 v73, 0, v73, s4
	;; [unrolled: 2-line block ×4, first 2 shown]
.LBB247_977:                            ;   in Loop: Header=BB247_671 Depth=1
	s_or_b32 exec_lo, exec_lo, s9
	flat_load_dword v12, v[4:5] offset:1152
	v_mov_b32_e32 v18, 0
	v_mov_b32_e32 v16, 0
	;; [unrolled: 1-line block ×4, first 2 shown]
	s_waitcnt vmcnt(0) lgkmcnt(0)
	v_cmp_ne_u16_sdwa s4, v12, v7 src0_sel:BYTE_0 src1_sel:DWORD
	s_and_saveexec_b32 s9, s4
	s_cbranch_execz .LBB247_985
; %bb.978:                              ;   in Loop: Header=BB247_671 Depth=1
	v_bfrev_b32_e32 v16, 1
	v_mov_b32_e32 v17, 0
	v_cmp_ne_u16_sdwa s4, v12, v68 src0_sel:BYTE_0 src1_sel:DWORD
	s_and_saveexec_b32 s11, s4
	s_cbranch_execz .LBB247_984
; %bb.979:                              ;   in Loop: Header=BB247_671 Depth=1
	v_mov_b32_e32 v16, 0x7f800001
	v_and_b32_e32 v10, 0x7f, v12
	v_mov_b32_e32 v17, 0
	s_mov_b32 s12, exec_lo
	v_cmpx_ne_u32_e32 0x7f, v10
	s_cbranch_execz .LBB247_983
; %bb.980:                              ;   in Loop: Header=BB247_671 Depth=1
	v_and_b32_e32 v6, 7, v12
	v_lshrrev_b32_e32 v8, 3, v10
	s_mov_b32 s13, exec_lo
	v_cmpx_gt_u32_e32 8, v10
; %bb.981:                              ;   in Loop: Header=BB247_671 Depth=1
	v_ffbh_u32_e32 v8, v6
	v_min_u32_e32 v8, 32, v8
	v_subrev_nc_u32_e32 v10, 28, v8
	v_sub_nc_u32_e32 v8, 29, v8
	v_lshlrev_b64 v[16:17], v10, v[6:7]
	v_and_b32_e32 v6, 7, v16
; %bb.982:                              ;   in Loop: Header=BB247_671 Depth=1
	s_or_b32 exec_lo, exec_lo, s13
	v_lshlrev_b32_e32 v10, 24, v12
	v_lshlrev_b32_e32 v6, 20, v6
	v_lshl_add_u32 v8, v8, 23, 0x3c000000
	v_and_b32_e32 v10, 0x80000000, v10
	v_or3_b32 v6, v6, v10, v8
	v_mov_b32_e32 v17, v7
	v_mov_b32_e32 v16, v6
.LBB247_983:                            ;   in Loop: Header=BB247_671 Depth=1
	s_or_b32 exec_lo, exec_lo, s12
.LBB247_984:                            ;   in Loop: Header=BB247_671 Depth=1
	s_or_b32 exec_lo, exec_lo, s11
.LBB247_985:                            ;   in Loop: Header=BB247_671 Depth=1
	s_or_b32 exec_lo, exec_lo, s9
	v_cmp_ne_u16_sdwa s4, v12, v7 src0_sel:BYTE_1 src1_sel:DWORD
	s_and_saveexec_b32 s9, s4
	s_cbranch_execz .LBB247_993
; %bb.986:                              ;   in Loop: Header=BB247_671 Depth=1
	v_mov_b32_e32 v8, v7
	v_mov_b32_e32 v19, v9
	v_cmp_ne_u16_sdwa s4, v12, v68 src0_sel:BYTE_1 src1_sel:DWORD
	v_mov_b32_e32 v18, v8
	s_and_saveexec_b32 s11, s4
	s_cbranch_execz .LBB247_992
; %bb.987:                              ;   in Loop: Header=BB247_671 Depth=1
	v_mov_b32_e32 v6, 0xffff
	v_mov_b32_e32 v10, v7
	;; [unrolled: 1-line block ×3, first 2 shown]
	s_mov_b32 s12, exec_lo
	v_and_b32_sdwa v6, v6, v12 dst_sel:DWORD dst_unused:UNUSED_PAD src0_sel:DWORD src1_sel:BYTE_1
	v_mov_b32_e32 v18, v10
	v_and_b32_e32 v13, 0x7f, v6
	v_cmpx_ne_u32_e32 0x7f, v13
	s_cbranch_execz .LBB247_991
; %bb.988:                              ;   in Loop: Header=BB247_671 Depth=1
	v_and_b32_e32 v6, 7, v6
	v_lshrrev_b32_e32 v8, 3, v13
	s_mov_b32 s13, exec_lo
	v_cmpx_gt_u32_e32 8, v13
; %bb.989:                              ;   in Loop: Header=BB247_671 Depth=1
	v_ffbh_u32_e32 v8, v6
	v_min_u32_e32 v8, 32, v8
	v_subrev_nc_u32_e32 v10, 28, v8
	v_sub_nc_u32_e32 v8, 29, v8
	v_lshlrev_b64 v[18:19], v10, v[6:7]
	v_and_b32_e32 v6, 7, v18
; %bb.990:                              ;   in Loop: Header=BB247_671 Depth=1
	s_or_b32 exec_lo, exec_lo, s13
	v_lshlrev_b32_e32 v10, 16, v12
	v_lshlrev_b32_e32 v6, 20, v6
	v_lshl_add_u32 v8, v8, 23, 0x3c000000
	v_mov_b32_e32 v18, v7
	v_and_b32_e32 v10, 0x80000000, v10
	v_or3_b32 v19, v6, v10, v8
.LBB247_991:                            ;   in Loop: Header=BB247_671 Depth=1
	s_or_b32 exec_lo, exec_lo, s12
.LBB247_992:                            ;   in Loop: Header=BB247_671 Depth=1
	s_or_b32 exec_lo, exec_lo, s11
.LBB247_993:                            ;   in Loop: Header=BB247_671 Depth=1
	s_or_b32 exec_lo, exec_lo, s9
	v_mov_b32_e32 v22, 0
	v_mov_b32_e32 v20, 0
	v_and_b32_sdwa v6, v12, v70 dst_sel:DWORD dst_unused:UNUSED_PAD src0_sel:WORD_1 src1_sel:DWORD
	v_mov_b32_e32 v23, 0
	v_mov_b32_e32 v21, 0
	s_mov_b32 s9, exec_lo
	v_cmpx_ne_u16_e32 0, v6
	s_cbranch_execz .LBB247_1001
; %bb.994:                              ;   in Loop: Header=BB247_671 Depth=1
	v_bfrev_b32_e32 v20, 1
	v_mov_b32_e32 v21, 0
	s_mov_b32 s11, exec_lo
	v_cmpx_ne_u16_e32 0x80, v6
	s_cbranch_execz .LBB247_1000
; %bb.995:                              ;   in Loop: Header=BB247_671 Depth=1
	v_mov_b32_e32 v20, 0x7f800001
	v_bfe_u32 v10, v12, 16, 7
	v_mov_b32_e32 v21, 0
	s_mov_b32 s12, exec_lo
	v_cmpx_ne_u32_e32 0x7f, v10
	s_cbranch_execz .LBB247_999
; %bb.996:                              ;   in Loop: Header=BB247_671 Depth=1
	v_mov_b32_e32 v6, 7
	v_lshrrev_b32_e32 v8, 3, v10
	s_mov_b32 s13, exec_lo
	v_and_b32_sdwa v6, v12, v6 dst_sel:DWORD dst_unused:UNUSED_PAD src0_sel:WORD_1 src1_sel:DWORD
	v_cmpx_gt_u32_e32 8, v10
; %bb.997:                              ;   in Loop: Header=BB247_671 Depth=1
	v_ffbh_u32_e32 v8, v6
	v_min_u32_e32 v8, 32, v8
	v_subrev_nc_u32_e32 v10, 28, v8
	v_sub_nc_u32_e32 v8, 29, v8
	v_lshlrev_b64 v[20:21], v10, v[6:7]
	v_and_b32_e32 v6, 7, v20
; %bb.998:                              ;   in Loop: Header=BB247_671 Depth=1
	s_or_b32 exec_lo, exec_lo, s13
	v_mov_b32_e32 v10, 24
	v_lshlrev_b32_e32 v6, 20, v6
	v_lshl_add_u32 v8, v8, 23, 0x3c000000
	v_lshlrev_b32_sdwa v10, v10, v12 dst_sel:DWORD dst_unused:UNUSED_PAD src0_sel:DWORD src1_sel:WORD_1
	v_and_b32_e32 v10, 0x80000000, v10
	v_or3_b32 v6, v6, v10, v8
	v_mov_b32_e32 v21, v7
	v_mov_b32_e32 v20, v6
.LBB247_999:                            ;   in Loop: Header=BB247_671 Depth=1
	s_or_b32 exec_lo, exec_lo, s12
.LBB247_1000:                           ;   in Loop: Header=BB247_671 Depth=1
	s_or_b32 exec_lo, exec_lo, s11
.LBB247_1001:                           ;   in Loop: Header=BB247_671 Depth=1
	s_or_b32 exec_lo, exec_lo, s9
	s_mov_b32 s9, exec_lo
	v_cmpx_lt_u32_e32 0xffffff, v12
	s_cbranch_execz .LBB247_1009
; %bb.1002:                             ;   in Loop: Header=BB247_671 Depth=1
	v_mov_b32_e32 v8, v7
	v_mov_b32_e32 v23, v9
	v_cmp_ne_u32_sdwa s4, v12, v68 src0_sel:BYTE_3 src1_sel:DWORD
	v_mov_b32_e32 v22, v8
	s_and_saveexec_b32 s11, s4
	s_cbranch_execz .LBB247_1008
; %bb.1003:                             ;   in Loop: Header=BB247_671 Depth=1
	v_mov_b32_e32 v10, v7
	v_mov_b32_e32 v23, v11
	v_bfe_u32 v13, v12, 24, 7
	s_mov_b32 s12, exec_lo
	v_mov_b32_e32 v22, v10
	v_cmpx_ne_u32_e32 0x7f, v13
	s_cbranch_execz .LBB247_1007
; %bb.1004:                             ;   in Loop: Header=BB247_671 Depth=1
	v_mov_b32_e32 v6, 7
	v_lshrrev_b32_e32 v8, 3, v13
	s_mov_b32 s13, exec_lo
	v_and_b32_sdwa v6, v12, v6 dst_sel:DWORD dst_unused:UNUSED_PAD src0_sel:BYTE_3 src1_sel:DWORD
	v_cmpx_gt_u32_e32 8, v13
; %bb.1005:                             ;   in Loop: Header=BB247_671 Depth=1
	v_ffbh_u32_e32 v8, v6
	v_min_u32_e32 v8, 32, v8
	v_subrev_nc_u32_e32 v10, 28, v8
	v_sub_nc_u32_e32 v8, 29, v8
	v_lshlrev_b64 v[22:23], v10, v[6:7]
	v_and_b32_e32 v6, 7, v22
; %bb.1006:                             ;   in Loop: Header=BB247_671 Depth=1
	s_or_b32 exec_lo, exec_lo, s13
	v_mov_b32_e32 v10, 24
	v_lshlrev_b32_e32 v6, 20, v6
	v_lshl_add_u32 v8, v8, 23, 0x3c000000
	v_mov_b32_e32 v22, v7
	v_lshlrev_b32_sdwa v10, v10, v12 dst_sel:DWORD dst_unused:UNUSED_PAD src0_sel:DWORD src1_sel:BYTE_3
	v_and_b32_e32 v10, 0x80000000, v10
	v_or3_b32 v23, v6, v10, v8
.LBB247_1007:                           ;   in Loop: Header=BB247_671 Depth=1
	s_or_b32 exec_lo, exec_lo, s12
.LBB247_1008:                           ;   in Loop: Header=BB247_671 Depth=1
	s_or_b32 exec_lo, exec_lo, s11
.LBB247_1009:                           ;   in Loop: Header=BB247_671 Depth=1
	s_or_b32 exec_lo, exec_lo, s9
	v_or_b32_e32 v6, v19, v17
	v_or_b32_e32 v8, v18, v16
	;; [unrolled: 1-line block ×4, first 2 shown]
	v_mul_f32_e32 v77, v83, v6
	v_mul_f32_e32 v76, v66, v8
	;; [unrolled: 1-line block ×4, first 2 shown]
	s_and_saveexec_b32 s9, vcc_lo
	s_cbranch_execz .LBB247_1011
; %bb.1010:                             ;   in Loop: Header=BB247_671 Depth=1
	v_cmp_lt_i32_e64 s4, v99, v34
	v_cndmask_b32_e64 v76, 0, v76, s4
	v_cmp_lt_i32_e64 s4, v101, v34
	v_cndmask_b32_e64 v77, 0, v77, s4
	;; [unrolled: 2-line block ×4, first 2 shown]
.LBB247_1011:                           ;   in Loop: Header=BB247_671 Depth=1
	s_or_b32 exec_lo, exec_lo, s9
	flat_load_dword v12, v[4:5] offset:1280
	v_mov_b32_e32 v18, 0
	v_mov_b32_e32 v16, 0
	;; [unrolled: 1-line block ×4, first 2 shown]
	s_waitcnt vmcnt(0) lgkmcnt(0)
	v_cmp_ne_u16_sdwa s4, v12, v7 src0_sel:BYTE_0 src1_sel:DWORD
	s_and_saveexec_b32 s9, s4
	s_cbranch_execz .LBB247_1019
; %bb.1012:                             ;   in Loop: Header=BB247_671 Depth=1
	v_bfrev_b32_e32 v16, 1
	v_mov_b32_e32 v17, 0
	v_cmp_ne_u16_sdwa s4, v12, v68 src0_sel:BYTE_0 src1_sel:DWORD
	s_and_saveexec_b32 s11, s4
	s_cbranch_execz .LBB247_1018
; %bb.1013:                             ;   in Loop: Header=BB247_671 Depth=1
	v_mov_b32_e32 v16, 0x7f800001
	v_and_b32_e32 v10, 0x7f, v12
	v_mov_b32_e32 v17, 0
	s_mov_b32 s12, exec_lo
	v_cmpx_ne_u32_e32 0x7f, v10
	s_cbranch_execz .LBB247_1017
; %bb.1014:                             ;   in Loop: Header=BB247_671 Depth=1
	v_and_b32_e32 v6, 7, v12
	v_lshrrev_b32_e32 v8, 3, v10
	s_mov_b32 s13, exec_lo
	v_cmpx_gt_u32_e32 8, v10
; %bb.1015:                             ;   in Loop: Header=BB247_671 Depth=1
	v_ffbh_u32_e32 v8, v6
	v_min_u32_e32 v8, 32, v8
	v_subrev_nc_u32_e32 v10, 28, v8
	v_sub_nc_u32_e32 v8, 29, v8
	v_lshlrev_b64 v[16:17], v10, v[6:7]
	v_and_b32_e32 v6, 7, v16
; %bb.1016:                             ;   in Loop: Header=BB247_671 Depth=1
	s_or_b32 exec_lo, exec_lo, s13
	v_lshlrev_b32_e32 v10, 24, v12
	v_lshlrev_b32_e32 v6, 20, v6
	v_lshl_add_u32 v8, v8, 23, 0x3c000000
	v_and_b32_e32 v10, 0x80000000, v10
	v_or3_b32 v6, v6, v10, v8
	v_mov_b32_e32 v17, v7
	v_mov_b32_e32 v16, v6
.LBB247_1017:                           ;   in Loop: Header=BB247_671 Depth=1
	s_or_b32 exec_lo, exec_lo, s12
.LBB247_1018:                           ;   in Loop: Header=BB247_671 Depth=1
	s_or_b32 exec_lo, exec_lo, s11
.LBB247_1019:                           ;   in Loop: Header=BB247_671 Depth=1
	s_or_b32 exec_lo, exec_lo, s9
	v_cmp_ne_u16_sdwa s4, v12, v7 src0_sel:BYTE_1 src1_sel:DWORD
	s_and_saveexec_b32 s9, s4
	s_cbranch_execz .LBB247_1027
; %bb.1020:                             ;   in Loop: Header=BB247_671 Depth=1
	v_mov_b32_e32 v8, v7
	v_mov_b32_e32 v19, v9
	v_cmp_ne_u16_sdwa s4, v12, v68 src0_sel:BYTE_1 src1_sel:DWORD
	v_mov_b32_e32 v18, v8
	s_and_saveexec_b32 s11, s4
	s_cbranch_execz .LBB247_1026
; %bb.1021:                             ;   in Loop: Header=BB247_671 Depth=1
	v_mov_b32_e32 v6, 0xffff
	v_mov_b32_e32 v10, v7
	;; [unrolled: 1-line block ×3, first 2 shown]
	s_mov_b32 s12, exec_lo
	v_and_b32_sdwa v6, v6, v12 dst_sel:DWORD dst_unused:UNUSED_PAD src0_sel:DWORD src1_sel:BYTE_1
	v_mov_b32_e32 v18, v10
	v_and_b32_e32 v13, 0x7f, v6
	v_cmpx_ne_u32_e32 0x7f, v13
	s_cbranch_execz .LBB247_1025
; %bb.1022:                             ;   in Loop: Header=BB247_671 Depth=1
	v_and_b32_e32 v6, 7, v6
	v_lshrrev_b32_e32 v8, 3, v13
	s_mov_b32 s13, exec_lo
	v_cmpx_gt_u32_e32 8, v13
; %bb.1023:                             ;   in Loop: Header=BB247_671 Depth=1
	v_ffbh_u32_e32 v8, v6
	v_min_u32_e32 v8, 32, v8
	v_subrev_nc_u32_e32 v10, 28, v8
	v_sub_nc_u32_e32 v8, 29, v8
	v_lshlrev_b64 v[18:19], v10, v[6:7]
	v_and_b32_e32 v6, 7, v18
; %bb.1024:                             ;   in Loop: Header=BB247_671 Depth=1
	s_or_b32 exec_lo, exec_lo, s13
	v_lshlrev_b32_e32 v10, 16, v12
	v_lshlrev_b32_e32 v6, 20, v6
	v_lshl_add_u32 v8, v8, 23, 0x3c000000
	v_mov_b32_e32 v18, v7
	v_and_b32_e32 v10, 0x80000000, v10
	v_or3_b32 v19, v6, v10, v8
.LBB247_1025:                           ;   in Loop: Header=BB247_671 Depth=1
	s_or_b32 exec_lo, exec_lo, s12
.LBB247_1026:                           ;   in Loop: Header=BB247_671 Depth=1
	s_or_b32 exec_lo, exec_lo, s11
.LBB247_1027:                           ;   in Loop: Header=BB247_671 Depth=1
	s_or_b32 exec_lo, exec_lo, s9
	v_mov_b32_e32 v22, 0
	v_mov_b32_e32 v20, 0
	v_and_b32_sdwa v6, v12, v70 dst_sel:DWORD dst_unused:UNUSED_PAD src0_sel:WORD_1 src1_sel:DWORD
	v_mov_b32_e32 v23, 0
	v_mov_b32_e32 v21, 0
	s_mov_b32 s9, exec_lo
	v_cmpx_ne_u16_e32 0, v6
	s_cbranch_execz .LBB247_1035
; %bb.1028:                             ;   in Loop: Header=BB247_671 Depth=1
	v_bfrev_b32_e32 v20, 1
	v_mov_b32_e32 v21, 0
	s_mov_b32 s11, exec_lo
	v_cmpx_ne_u16_e32 0x80, v6
	s_cbranch_execz .LBB247_1034
; %bb.1029:                             ;   in Loop: Header=BB247_671 Depth=1
	v_mov_b32_e32 v20, 0x7f800001
	v_bfe_u32 v10, v12, 16, 7
	v_mov_b32_e32 v21, 0
	s_mov_b32 s12, exec_lo
	v_cmpx_ne_u32_e32 0x7f, v10
	s_cbranch_execz .LBB247_1033
; %bb.1030:                             ;   in Loop: Header=BB247_671 Depth=1
	v_mov_b32_e32 v6, 7
	v_lshrrev_b32_e32 v8, 3, v10
	s_mov_b32 s13, exec_lo
	v_and_b32_sdwa v6, v12, v6 dst_sel:DWORD dst_unused:UNUSED_PAD src0_sel:WORD_1 src1_sel:DWORD
	v_cmpx_gt_u32_e32 8, v10
; %bb.1031:                             ;   in Loop: Header=BB247_671 Depth=1
	v_ffbh_u32_e32 v8, v6
	v_min_u32_e32 v8, 32, v8
	v_subrev_nc_u32_e32 v10, 28, v8
	v_sub_nc_u32_e32 v8, 29, v8
	v_lshlrev_b64 v[20:21], v10, v[6:7]
	v_and_b32_e32 v6, 7, v20
; %bb.1032:                             ;   in Loop: Header=BB247_671 Depth=1
	s_or_b32 exec_lo, exec_lo, s13
	v_mov_b32_e32 v10, 24
	v_lshlrev_b32_e32 v6, 20, v6
	v_lshl_add_u32 v8, v8, 23, 0x3c000000
	v_lshlrev_b32_sdwa v10, v10, v12 dst_sel:DWORD dst_unused:UNUSED_PAD src0_sel:DWORD src1_sel:WORD_1
	v_and_b32_e32 v10, 0x80000000, v10
	v_or3_b32 v6, v6, v10, v8
	v_mov_b32_e32 v21, v7
	v_mov_b32_e32 v20, v6
.LBB247_1033:                           ;   in Loop: Header=BB247_671 Depth=1
	s_or_b32 exec_lo, exec_lo, s12
.LBB247_1034:                           ;   in Loop: Header=BB247_671 Depth=1
	s_or_b32 exec_lo, exec_lo, s11
.LBB247_1035:                           ;   in Loop: Header=BB247_671 Depth=1
	s_or_b32 exec_lo, exec_lo, s9
	s_mov_b32 s9, exec_lo
	v_cmpx_lt_u32_e32 0xffffff, v12
	s_cbranch_execz .LBB247_1043
; %bb.1036:                             ;   in Loop: Header=BB247_671 Depth=1
	v_mov_b32_e32 v8, v7
	v_mov_b32_e32 v23, v9
	v_cmp_ne_u32_sdwa s4, v12, v68 src0_sel:BYTE_3 src1_sel:DWORD
	v_mov_b32_e32 v22, v8
	s_and_saveexec_b32 s11, s4
	s_cbranch_execz .LBB247_1042
; %bb.1037:                             ;   in Loop: Header=BB247_671 Depth=1
	v_mov_b32_e32 v10, v7
	v_mov_b32_e32 v23, v11
	v_bfe_u32 v13, v12, 24, 7
	s_mov_b32 s12, exec_lo
	v_mov_b32_e32 v22, v10
	v_cmpx_ne_u32_e32 0x7f, v13
	s_cbranch_execz .LBB247_1041
; %bb.1038:                             ;   in Loop: Header=BB247_671 Depth=1
	v_mov_b32_e32 v6, 7
	v_lshrrev_b32_e32 v8, 3, v13
	s_mov_b32 s13, exec_lo
	v_and_b32_sdwa v6, v12, v6 dst_sel:DWORD dst_unused:UNUSED_PAD src0_sel:BYTE_3 src1_sel:DWORD
	v_cmpx_gt_u32_e32 8, v13
; %bb.1039:                             ;   in Loop: Header=BB247_671 Depth=1
	v_ffbh_u32_e32 v8, v6
	v_min_u32_e32 v8, 32, v8
	v_subrev_nc_u32_e32 v10, 28, v8
	v_sub_nc_u32_e32 v8, 29, v8
	v_lshlrev_b64 v[22:23], v10, v[6:7]
	v_and_b32_e32 v6, 7, v22
; %bb.1040:                             ;   in Loop: Header=BB247_671 Depth=1
	s_or_b32 exec_lo, exec_lo, s13
	v_mov_b32_e32 v10, 24
	v_lshlrev_b32_e32 v6, 20, v6
	v_lshl_add_u32 v8, v8, 23, 0x3c000000
	v_mov_b32_e32 v22, v7
	v_lshlrev_b32_sdwa v10, v10, v12 dst_sel:DWORD dst_unused:UNUSED_PAD src0_sel:DWORD src1_sel:BYTE_3
	v_and_b32_e32 v10, 0x80000000, v10
	v_or3_b32 v23, v6, v10, v8
.LBB247_1041:                           ;   in Loop: Header=BB247_671 Depth=1
	s_or_b32 exec_lo, exec_lo, s12
.LBB247_1042:                           ;   in Loop: Header=BB247_671 Depth=1
	s_or_b32 exec_lo, exec_lo, s11
.LBB247_1043:                           ;   in Loop: Header=BB247_671 Depth=1
	s_or_b32 exec_lo, exec_lo, s9
	v_or_b32_e32 v6, v19, v17
	v_or_b32_e32 v8, v18, v16
	v_or_b32_e32 v10, v22, v20
	v_or_b32_e32 v12, v23, v21
	v_mul_f32_e32 v88, v83, v6
	v_mul_f32_e32 v89, v66, v8
	;; [unrolled: 1-line block ×4, first 2 shown]
	s_and_saveexec_b32 s9, vcc_lo
	s_cbranch_execz .LBB247_1045
; %bb.1044:                             ;   in Loop: Header=BB247_671 Depth=1
	v_cmp_lt_i32_e64 s4, v99, v34
	v_cndmask_b32_e64 v89, 0, v89, s4
	v_cmp_lt_i32_e64 s4, v101, v34
	v_cndmask_b32_e64 v88, 0, v88, s4
	;; [unrolled: 2-line block ×4, first 2 shown]
.LBB247_1045:                           ;   in Loop: Header=BB247_671 Depth=1
	s_or_b32 exec_lo, exec_lo, s9
	flat_load_dword v12, v[4:5] offset:1408
	v_mov_b32_e32 v18, 0
	v_mov_b32_e32 v16, 0
	;; [unrolled: 1-line block ×4, first 2 shown]
	s_waitcnt vmcnt(0) lgkmcnt(0)
	v_cmp_ne_u16_sdwa s4, v12, v7 src0_sel:BYTE_0 src1_sel:DWORD
	s_and_saveexec_b32 s9, s4
	s_cbranch_execz .LBB247_1053
; %bb.1046:                             ;   in Loop: Header=BB247_671 Depth=1
	v_bfrev_b32_e32 v16, 1
	v_mov_b32_e32 v17, 0
	v_cmp_ne_u16_sdwa s4, v12, v68 src0_sel:BYTE_0 src1_sel:DWORD
	s_and_saveexec_b32 s11, s4
	s_cbranch_execz .LBB247_1052
; %bb.1047:                             ;   in Loop: Header=BB247_671 Depth=1
	v_mov_b32_e32 v16, 0x7f800001
	v_and_b32_e32 v10, 0x7f, v12
	v_mov_b32_e32 v17, 0
	s_mov_b32 s12, exec_lo
	v_cmpx_ne_u32_e32 0x7f, v10
	s_cbranch_execz .LBB247_1051
; %bb.1048:                             ;   in Loop: Header=BB247_671 Depth=1
	v_and_b32_e32 v6, 7, v12
	v_lshrrev_b32_e32 v8, 3, v10
	s_mov_b32 s13, exec_lo
	v_cmpx_gt_u32_e32 8, v10
; %bb.1049:                             ;   in Loop: Header=BB247_671 Depth=1
	v_ffbh_u32_e32 v8, v6
	v_min_u32_e32 v8, 32, v8
	v_subrev_nc_u32_e32 v10, 28, v8
	v_sub_nc_u32_e32 v8, 29, v8
	v_lshlrev_b64 v[16:17], v10, v[6:7]
	v_and_b32_e32 v6, 7, v16
; %bb.1050:                             ;   in Loop: Header=BB247_671 Depth=1
	s_or_b32 exec_lo, exec_lo, s13
	v_lshlrev_b32_e32 v10, 24, v12
	v_lshlrev_b32_e32 v6, 20, v6
	v_lshl_add_u32 v8, v8, 23, 0x3c000000
	v_and_b32_e32 v10, 0x80000000, v10
	v_or3_b32 v6, v6, v10, v8
	v_mov_b32_e32 v17, v7
	v_mov_b32_e32 v16, v6
.LBB247_1051:                           ;   in Loop: Header=BB247_671 Depth=1
	s_or_b32 exec_lo, exec_lo, s12
.LBB247_1052:                           ;   in Loop: Header=BB247_671 Depth=1
	s_or_b32 exec_lo, exec_lo, s11
.LBB247_1053:                           ;   in Loop: Header=BB247_671 Depth=1
	s_or_b32 exec_lo, exec_lo, s9
	v_cmp_ne_u16_sdwa s4, v12, v7 src0_sel:BYTE_1 src1_sel:DWORD
	s_and_saveexec_b32 s9, s4
	s_cbranch_execz .LBB247_1061
; %bb.1054:                             ;   in Loop: Header=BB247_671 Depth=1
	v_mov_b32_e32 v8, v7
	v_mov_b32_e32 v19, v9
	v_cmp_ne_u16_sdwa s4, v12, v68 src0_sel:BYTE_1 src1_sel:DWORD
	v_mov_b32_e32 v18, v8
	s_and_saveexec_b32 s11, s4
	s_cbranch_execz .LBB247_1060
; %bb.1055:                             ;   in Loop: Header=BB247_671 Depth=1
	v_mov_b32_e32 v6, 0xffff
	v_mov_b32_e32 v10, v7
	;; [unrolled: 1-line block ×3, first 2 shown]
	s_mov_b32 s12, exec_lo
	v_and_b32_sdwa v6, v6, v12 dst_sel:DWORD dst_unused:UNUSED_PAD src0_sel:DWORD src1_sel:BYTE_1
	v_mov_b32_e32 v18, v10
	v_and_b32_e32 v13, 0x7f, v6
	v_cmpx_ne_u32_e32 0x7f, v13
	s_cbranch_execz .LBB247_1059
; %bb.1056:                             ;   in Loop: Header=BB247_671 Depth=1
	v_and_b32_e32 v6, 7, v6
	v_lshrrev_b32_e32 v8, 3, v13
	s_mov_b32 s13, exec_lo
	v_cmpx_gt_u32_e32 8, v13
; %bb.1057:                             ;   in Loop: Header=BB247_671 Depth=1
	v_ffbh_u32_e32 v8, v6
	v_min_u32_e32 v8, 32, v8
	v_subrev_nc_u32_e32 v10, 28, v8
	v_sub_nc_u32_e32 v8, 29, v8
	v_lshlrev_b64 v[18:19], v10, v[6:7]
	v_and_b32_e32 v6, 7, v18
; %bb.1058:                             ;   in Loop: Header=BB247_671 Depth=1
	s_or_b32 exec_lo, exec_lo, s13
	v_lshlrev_b32_e32 v10, 16, v12
	v_lshlrev_b32_e32 v6, 20, v6
	v_lshl_add_u32 v8, v8, 23, 0x3c000000
	v_mov_b32_e32 v18, v7
	v_and_b32_e32 v10, 0x80000000, v10
	v_or3_b32 v19, v6, v10, v8
.LBB247_1059:                           ;   in Loop: Header=BB247_671 Depth=1
	s_or_b32 exec_lo, exec_lo, s12
.LBB247_1060:                           ;   in Loop: Header=BB247_671 Depth=1
	s_or_b32 exec_lo, exec_lo, s11
.LBB247_1061:                           ;   in Loop: Header=BB247_671 Depth=1
	s_or_b32 exec_lo, exec_lo, s9
	v_mov_b32_e32 v22, 0
	v_mov_b32_e32 v20, 0
	v_and_b32_sdwa v6, v12, v70 dst_sel:DWORD dst_unused:UNUSED_PAD src0_sel:WORD_1 src1_sel:DWORD
	v_mov_b32_e32 v23, 0
	v_mov_b32_e32 v21, 0
	s_mov_b32 s9, exec_lo
	v_cmpx_ne_u16_e32 0, v6
	s_cbranch_execz .LBB247_1069
; %bb.1062:                             ;   in Loop: Header=BB247_671 Depth=1
	v_bfrev_b32_e32 v20, 1
	v_mov_b32_e32 v21, 0
	s_mov_b32 s11, exec_lo
	v_cmpx_ne_u16_e32 0x80, v6
	s_cbranch_execz .LBB247_1068
; %bb.1063:                             ;   in Loop: Header=BB247_671 Depth=1
	v_mov_b32_e32 v20, 0x7f800001
	v_bfe_u32 v10, v12, 16, 7
	v_mov_b32_e32 v21, 0
	s_mov_b32 s12, exec_lo
	v_cmpx_ne_u32_e32 0x7f, v10
	s_cbranch_execz .LBB247_1067
; %bb.1064:                             ;   in Loop: Header=BB247_671 Depth=1
	v_mov_b32_e32 v6, 7
	v_lshrrev_b32_e32 v8, 3, v10
	s_mov_b32 s13, exec_lo
	v_and_b32_sdwa v6, v12, v6 dst_sel:DWORD dst_unused:UNUSED_PAD src0_sel:WORD_1 src1_sel:DWORD
	v_cmpx_gt_u32_e32 8, v10
; %bb.1065:                             ;   in Loop: Header=BB247_671 Depth=1
	v_ffbh_u32_e32 v8, v6
	v_min_u32_e32 v8, 32, v8
	v_subrev_nc_u32_e32 v10, 28, v8
	v_sub_nc_u32_e32 v8, 29, v8
	v_lshlrev_b64 v[20:21], v10, v[6:7]
	v_and_b32_e32 v6, 7, v20
; %bb.1066:                             ;   in Loop: Header=BB247_671 Depth=1
	s_or_b32 exec_lo, exec_lo, s13
	v_mov_b32_e32 v10, 24
	v_lshlrev_b32_e32 v6, 20, v6
	v_lshl_add_u32 v8, v8, 23, 0x3c000000
	v_lshlrev_b32_sdwa v10, v10, v12 dst_sel:DWORD dst_unused:UNUSED_PAD src0_sel:DWORD src1_sel:WORD_1
	v_and_b32_e32 v10, 0x80000000, v10
	v_or3_b32 v6, v6, v10, v8
	v_mov_b32_e32 v21, v7
	v_mov_b32_e32 v20, v6
.LBB247_1067:                           ;   in Loop: Header=BB247_671 Depth=1
	s_or_b32 exec_lo, exec_lo, s12
.LBB247_1068:                           ;   in Loop: Header=BB247_671 Depth=1
	s_or_b32 exec_lo, exec_lo, s11
.LBB247_1069:                           ;   in Loop: Header=BB247_671 Depth=1
	s_or_b32 exec_lo, exec_lo, s9
	s_mov_b32 s9, exec_lo
	v_cmpx_lt_u32_e32 0xffffff, v12
	s_cbranch_execz .LBB247_1077
; %bb.1070:                             ;   in Loop: Header=BB247_671 Depth=1
	v_mov_b32_e32 v8, v7
	v_mov_b32_e32 v23, v9
	v_cmp_ne_u32_sdwa s4, v12, v68 src0_sel:BYTE_3 src1_sel:DWORD
	v_mov_b32_e32 v22, v8
	s_and_saveexec_b32 s11, s4
	s_cbranch_execz .LBB247_1076
; %bb.1071:                             ;   in Loop: Header=BB247_671 Depth=1
	v_mov_b32_e32 v10, v7
	v_mov_b32_e32 v23, v11
	v_bfe_u32 v13, v12, 24, 7
	s_mov_b32 s12, exec_lo
	v_mov_b32_e32 v22, v10
	v_cmpx_ne_u32_e32 0x7f, v13
	s_cbranch_execz .LBB247_1075
; %bb.1072:                             ;   in Loop: Header=BB247_671 Depth=1
	v_mov_b32_e32 v6, 7
	v_lshrrev_b32_e32 v8, 3, v13
	s_mov_b32 s13, exec_lo
	v_and_b32_sdwa v6, v12, v6 dst_sel:DWORD dst_unused:UNUSED_PAD src0_sel:BYTE_3 src1_sel:DWORD
	v_cmpx_gt_u32_e32 8, v13
; %bb.1073:                             ;   in Loop: Header=BB247_671 Depth=1
	v_ffbh_u32_e32 v8, v6
	v_min_u32_e32 v8, 32, v8
	v_subrev_nc_u32_e32 v10, 28, v8
	v_sub_nc_u32_e32 v8, 29, v8
	v_lshlrev_b64 v[22:23], v10, v[6:7]
	v_and_b32_e32 v6, 7, v22
; %bb.1074:                             ;   in Loop: Header=BB247_671 Depth=1
	s_or_b32 exec_lo, exec_lo, s13
	v_mov_b32_e32 v10, 24
	v_lshlrev_b32_e32 v6, 20, v6
	v_lshl_add_u32 v8, v8, 23, 0x3c000000
	v_mov_b32_e32 v22, v7
	v_lshlrev_b32_sdwa v10, v10, v12 dst_sel:DWORD dst_unused:UNUSED_PAD src0_sel:DWORD src1_sel:BYTE_3
	v_and_b32_e32 v10, 0x80000000, v10
	v_or3_b32 v23, v6, v10, v8
.LBB247_1075:                           ;   in Loop: Header=BB247_671 Depth=1
	s_or_b32 exec_lo, exec_lo, s12
.LBB247_1076:                           ;   in Loop: Header=BB247_671 Depth=1
	s_or_b32 exec_lo, exec_lo, s11
.LBB247_1077:                           ;   in Loop: Header=BB247_671 Depth=1
	s_or_b32 exec_lo, exec_lo, s9
	v_or_b32_e32 v6, v19, v17
	v_or_b32_e32 v8, v18, v16
	;; [unrolled: 1-line block ×4, first 2 shown]
	v_mul_f32_e32 v92, v83, v6
	v_mul_f32_e32 v93, v66, v8
	;; [unrolled: 1-line block ×4, first 2 shown]
	s_and_saveexec_b32 s9, vcc_lo
	s_cbranch_execz .LBB247_1079
; %bb.1078:                             ;   in Loop: Header=BB247_671 Depth=1
	v_cmp_lt_i32_e64 s4, v99, v34
	v_cndmask_b32_e64 v93, 0, v93, s4
	v_cmp_lt_i32_e64 s4, v101, v34
	v_cndmask_b32_e64 v92, 0, v92, s4
	;; [unrolled: 2-line block ×4, first 2 shown]
.LBB247_1079:                           ;   in Loop: Header=BB247_671 Depth=1
	s_or_b32 exec_lo, exec_lo, s9
	flat_load_dword v12, v[4:5] offset:1536
	v_mov_b32_e32 v18, 0
	v_mov_b32_e32 v16, 0
	;; [unrolled: 1-line block ×4, first 2 shown]
	s_waitcnt vmcnt(0) lgkmcnt(0)
	v_cmp_ne_u16_sdwa s4, v12, v7 src0_sel:BYTE_0 src1_sel:DWORD
	s_and_saveexec_b32 s9, s4
	s_cbranch_execz .LBB247_1087
; %bb.1080:                             ;   in Loop: Header=BB247_671 Depth=1
	v_bfrev_b32_e32 v16, 1
	v_mov_b32_e32 v17, 0
	v_cmp_ne_u16_sdwa s4, v12, v68 src0_sel:BYTE_0 src1_sel:DWORD
	s_and_saveexec_b32 s11, s4
	s_cbranch_execz .LBB247_1086
; %bb.1081:                             ;   in Loop: Header=BB247_671 Depth=1
	v_mov_b32_e32 v16, 0x7f800001
	v_and_b32_e32 v10, 0x7f, v12
	v_mov_b32_e32 v17, 0
	s_mov_b32 s12, exec_lo
	v_cmpx_ne_u32_e32 0x7f, v10
	s_cbranch_execz .LBB247_1085
; %bb.1082:                             ;   in Loop: Header=BB247_671 Depth=1
	v_and_b32_e32 v6, 7, v12
	v_lshrrev_b32_e32 v8, 3, v10
	s_mov_b32 s13, exec_lo
	v_cmpx_gt_u32_e32 8, v10
; %bb.1083:                             ;   in Loop: Header=BB247_671 Depth=1
	v_ffbh_u32_e32 v8, v6
	v_min_u32_e32 v8, 32, v8
	v_subrev_nc_u32_e32 v10, 28, v8
	v_sub_nc_u32_e32 v8, 29, v8
	v_lshlrev_b64 v[16:17], v10, v[6:7]
	v_and_b32_e32 v6, 7, v16
; %bb.1084:                             ;   in Loop: Header=BB247_671 Depth=1
	s_or_b32 exec_lo, exec_lo, s13
	v_lshlrev_b32_e32 v10, 24, v12
	v_lshlrev_b32_e32 v6, 20, v6
	v_lshl_add_u32 v8, v8, 23, 0x3c000000
	v_and_b32_e32 v10, 0x80000000, v10
	v_or3_b32 v6, v6, v10, v8
	v_mov_b32_e32 v17, v7
	v_mov_b32_e32 v16, v6
.LBB247_1085:                           ;   in Loop: Header=BB247_671 Depth=1
	s_or_b32 exec_lo, exec_lo, s12
.LBB247_1086:                           ;   in Loop: Header=BB247_671 Depth=1
	s_or_b32 exec_lo, exec_lo, s11
.LBB247_1087:                           ;   in Loop: Header=BB247_671 Depth=1
	s_or_b32 exec_lo, exec_lo, s9
	v_cmp_ne_u16_sdwa s4, v12, v7 src0_sel:BYTE_1 src1_sel:DWORD
	s_and_saveexec_b32 s9, s4
	s_cbranch_execz .LBB247_1095
; %bb.1088:                             ;   in Loop: Header=BB247_671 Depth=1
	v_mov_b32_e32 v8, v7
	v_mov_b32_e32 v19, v9
	v_cmp_ne_u16_sdwa s4, v12, v68 src0_sel:BYTE_1 src1_sel:DWORD
	v_mov_b32_e32 v18, v8
	s_and_saveexec_b32 s11, s4
	s_cbranch_execz .LBB247_1094
; %bb.1089:                             ;   in Loop: Header=BB247_671 Depth=1
	v_mov_b32_e32 v6, 0xffff
	v_mov_b32_e32 v10, v7
	;; [unrolled: 1-line block ×3, first 2 shown]
	s_mov_b32 s12, exec_lo
	v_and_b32_sdwa v6, v6, v12 dst_sel:DWORD dst_unused:UNUSED_PAD src0_sel:DWORD src1_sel:BYTE_1
	v_mov_b32_e32 v18, v10
	v_and_b32_e32 v13, 0x7f, v6
	v_cmpx_ne_u32_e32 0x7f, v13
	s_cbranch_execz .LBB247_1093
; %bb.1090:                             ;   in Loop: Header=BB247_671 Depth=1
	v_and_b32_e32 v6, 7, v6
	v_lshrrev_b32_e32 v8, 3, v13
	s_mov_b32 s13, exec_lo
	v_cmpx_gt_u32_e32 8, v13
; %bb.1091:                             ;   in Loop: Header=BB247_671 Depth=1
	v_ffbh_u32_e32 v8, v6
	v_min_u32_e32 v8, 32, v8
	v_subrev_nc_u32_e32 v10, 28, v8
	v_sub_nc_u32_e32 v8, 29, v8
	v_lshlrev_b64 v[18:19], v10, v[6:7]
	v_and_b32_e32 v6, 7, v18
; %bb.1092:                             ;   in Loop: Header=BB247_671 Depth=1
	s_or_b32 exec_lo, exec_lo, s13
	v_lshlrev_b32_e32 v10, 16, v12
	v_lshlrev_b32_e32 v6, 20, v6
	v_lshl_add_u32 v8, v8, 23, 0x3c000000
	v_mov_b32_e32 v18, v7
	v_and_b32_e32 v10, 0x80000000, v10
	v_or3_b32 v19, v6, v10, v8
.LBB247_1093:                           ;   in Loop: Header=BB247_671 Depth=1
	s_or_b32 exec_lo, exec_lo, s12
.LBB247_1094:                           ;   in Loop: Header=BB247_671 Depth=1
	s_or_b32 exec_lo, exec_lo, s11
.LBB247_1095:                           ;   in Loop: Header=BB247_671 Depth=1
	s_or_b32 exec_lo, exec_lo, s9
	v_mov_b32_e32 v22, 0
	v_mov_b32_e32 v20, 0
	v_and_b32_sdwa v6, v12, v70 dst_sel:DWORD dst_unused:UNUSED_PAD src0_sel:WORD_1 src1_sel:DWORD
	v_mov_b32_e32 v23, 0
	v_mov_b32_e32 v21, 0
	s_mov_b32 s9, exec_lo
	v_cmpx_ne_u16_e32 0, v6
	s_cbranch_execz .LBB247_1103
; %bb.1096:                             ;   in Loop: Header=BB247_671 Depth=1
	v_bfrev_b32_e32 v20, 1
	v_mov_b32_e32 v21, 0
	s_mov_b32 s11, exec_lo
	v_cmpx_ne_u16_e32 0x80, v6
	s_cbranch_execz .LBB247_1102
; %bb.1097:                             ;   in Loop: Header=BB247_671 Depth=1
	v_mov_b32_e32 v20, 0x7f800001
	v_bfe_u32 v10, v12, 16, 7
	v_mov_b32_e32 v21, 0
	s_mov_b32 s12, exec_lo
	v_cmpx_ne_u32_e32 0x7f, v10
	s_cbranch_execz .LBB247_1101
; %bb.1098:                             ;   in Loop: Header=BB247_671 Depth=1
	v_mov_b32_e32 v6, 7
	v_lshrrev_b32_e32 v8, 3, v10
	s_mov_b32 s13, exec_lo
	v_and_b32_sdwa v6, v12, v6 dst_sel:DWORD dst_unused:UNUSED_PAD src0_sel:WORD_1 src1_sel:DWORD
	v_cmpx_gt_u32_e32 8, v10
; %bb.1099:                             ;   in Loop: Header=BB247_671 Depth=1
	v_ffbh_u32_e32 v8, v6
	v_min_u32_e32 v8, 32, v8
	v_subrev_nc_u32_e32 v10, 28, v8
	v_sub_nc_u32_e32 v8, 29, v8
	v_lshlrev_b64 v[20:21], v10, v[6:7]
	v_and_b32_e32 v6, 7, v20
; %bb.1100:                             ;   in Loop: Header=BB247_671 Depth=1
	s_or_b32 exec_lo, exec_lo, s13
	v_mov_b32_e32 v10, 24
	v_lshlrev_b32_e32 v6, 20, v6
	v_lshl_add_u32 v8, v8, 23, 0x3c000000
	v_lshlrev_b32_sdwa v10, v10, v12 dst_sel:DWORD dst_unused:UNUSED_PAD src0_sel:DWORD src1_sel:WORD_1
	v_and_b32_e32 v10, 0x80000000, v10
	v_or3_b32 v6, v6, v10, v8
	v_mov_b32_e32 v21, v7
	v_mov_b32_e32 v20, v6
.LBB247_1101:                           ;   in Loop: Header=BB247_671 Depth=1
	s_or_b32 exec_lo, exec_lo, s12
.LBB247_1102:                           ;   in Loop: Header=BB247_671 Depth=1
	s_or_b32 exec_lo, exec_lo, s11
.LBB247_1103:                           ;   in Loop: Header=BB247_671 Depth=1
	s_or_b32 exec_lo, exec_lo, s9
	s_mov_b32 s9, exec_lo
	v_cmpx_lt_u32_e32 0xffffff, v12
	s_cbranch_execz .LBB247_1111
; %bb.1104:                             ;   in Loop: Header=BB247_671 Depth=1
	v_mov_b32_e32 v8, v7
	v_mov_b32_e32 v23, v9
	v_cmp_ne_u32_sdwa s4, v12, v68 src0_sel:BYTE_3 src1_sel:DWORD
	v_mov_b32_e32 v22, v8
	s_and_saveexec_b32 s11, s4
	s_cbranch_execz .LBB247_1110
; %bb.1105:                             ;   in Loop: Header=BB247_671 Depth=1
	v_mov_b32_e32 v10, v7
	v_mov_b32_e32 v23, v11
	v_bfe_u32 v13, v12, 24, 7
	s_mov_b32 s12, exec_lo
	v_mov_b32_e32 v22, v10
	v_cmpx_ne_u32_e32 0x7f, v13
	s_cbranch_execz .LBB247_1109
; %bb.1106:                             ;   in Loop: Header=BB247_671 Depth=1
	v_mov_b32_e32 v6, 7
	v_lshrrev_b32_e32 v8, 3, v13
	s_mov_b32 s13, exec_lo
	v_and_b32_sdwa v6, v12, v6 dst_sel:DWORD dst_unused:UNUSED_PAD src0_sel:BYTE_3 src1_sel:DWORD
	v_cmpx_gt_u32_e32 8, v13
; %bb.1107:                             ;   in Loop: Header=BB247_671 Depth=1
	v_ffbh_u32_e32 v8, v6
	v_min_u32_e32 v8, 32, v8
	v_subrev_nc_u32_e32 v10, 28, v8
	v_sub_nc_u32_e32 v8, 29, v8
	v_lshlrev_b64 v[22:23], v10, v[6:7]
	v_and_b32_e32 v6, 7, v22
; %bb.1108:                             ;   in Loop: Header=BB247_671 Depth=1
	s_or_b32 exec_lo, exec_lo, s13
	v_mov_b32_e32 v10, 24
	v_lshlrev_b32_e32 v6, 20, v6
	v_lshl_add_u32 v8, v8, 23, 0x3c000000
	v_mov_b32_e32 v22, v7
	v_lshlrev_b32_sdwa v10, v10, v12 dst_sel:DWORD dst_unused:UNUSED_PAD src0_sel:DWORD src1_sel:BYTE_3
	v_and_b32_e32 v10, 0x80000000, v10
	v_or3_b32 v23, v6, v10, v8
.LBB247_1109:                           ;   in Loop: Header=BB247_671 Depth=1
	s_or_b32 exec_lo, exec_lo, s12
.LBB247_1110:                           ;   in Loop: Header=BB247_671 Depth=1
	s_or_b32 exec_lo, exec_lo, s11
.LBB247_1111:                           ;   in Loop: Header=BB247_671 Depth=1
	s_or_b32 exec_lo, exec_lo, s9
	v_or_b32_e32 v6, v19, v17
	v_or_b32_e32 v8, v18, v16
	;; [unrolled: 1-line block ×4, first 2 shown]
	v_mul_f32_e32 v104, v83, v6
	v_mul_f32_e32 v105, v66, v8
	;; [unrolled: 1-line block ×4, first 2 shown]
	s_and_saveexec_b32 s9, vcc_lo
	s_cbranch_execz .LBB247_1113
; %bb.1112:                             ;   in Loop: Header=BB247_671 Depth=1
	v_cmp_lt_i32_e64 s4, v99, v34
	v_cndmask_b32_e64 v105, 0, v105, s4
	v_cmp_lt_i32_e64 s4, v101, v34
	v_cndmask_b32_e64 v104, 0, v104, s4
	;; [unrolled: 2-line block ×4, first 2 shown]
.LBB247_1113:                           ;   in Loop: Header=BB247_671 Depth=1
	s_or_b32 exec_lo, exec_lo, s9
	flat_load_dword v12, v[4:5] offset:1664
	v_mov_b32_e32 v18, 0
	v_mov_b32_e32 v16, 0
	;; [unrolled: 1-line block ×4, first 2 shown]
	s_waitcnt vmcnt(0) lgkmcnt(0)
	v_cmp_ne_u16_sdwa s4, v12, v7 src0_sel:BYTE_0 src1_sel:DWORD
	s_and_saveexec_b32 s9, s4
	s_cbranch_execz .LBB247_1121
; %bb.1114:                             ;   in Loop: Header=BB247_671 Depth=1
	v_bfrev_b32_e32 v16, 1
	v_mov_b32_e32 v17, 0
	v_cmp_ne_u16_sdwa s4, v12, v68 src0_sel:BYTE_0 src1_sel:DWORD
	s_and_saveexec_b32 s11, s4
	s_cbranch_execz .LBB247_1120
; %bb.1115:                             ;   in Loop: Header=BB247_671 Depth=1
	v_mov_b32_e32 v16, 0x7f800001
	v_and_b32_e32 v10, 0x7f, v12
	v_mov_b32_e32 v17, 0
	s_mov_b32 s12, exec_lo
	v_cmpx_ne_u32_e32 0x7f, v10
	s_cbranch_execz .LBB247_1119
; %bb.1116:                             ;   in Loop: Header=BB247_671 Depth=1
	v_and_b32_e32 v6, 7, v12
	v_lshrrev_b32_e32 v8, 3, v10
	s_mov_b32 s13, exec_lo
	v_cmpx_gt_u32_e32 8, v10
; %bb.1117:                             ;   in Loop: Header=BB247_671 Depth=1
	v_ffbh_u32_e32 v8, v6
	v_min_u32_e32 v8, 32, v8
	v_subrev_nc_u32_e32 v10, 28, v8
	v_sub_nc_u32_e32 v8, 29, v8
	v_lshlrev_b64 v[16:17], v10, v[6:7]
	v_and_b32_e32 v6, 7, v16
; %bb.1118:                             ;   in Loop: Header=BB247_671 Depth=1
	s_or_b32 exec_lo, exec_lo, s13
	v_lshlrev_b32_e32 v10, 24, v12
	v_lshlrev_b32_e32 v6, 20, v6
	v_lshl_add_u32 v8, v8, 23, 0x3c000000
	v_and_b32_e32 v10, 0x80000000, v10
	v_or3_b32 v6, v6, v10, v8
	v_mov_b32_e32 v17, v7
	v_mov_b32_e32 v16, v6
.LBB247_1119:                           ;   in Loop: Header=BB247_671 Depth=1
	s_or_b32 exec_lo, exec_lo, s12
.LBB247_1120:                           ;   in Loop: Header=BB247_671 Depth=1
	s_or_b32 exec_lo, exec_lo, s11
.LBB247_1121:                           ;   in Loop: Header=BB247_671 Depth=1
	s_or_b32 exec_lo, exec_lo, s9
	v_cmp_ne_u16_sdwa s4, v12, v7 src0_sel:BYTE_1 src1_sel:DWORD
	s_and_saveexec_b32 s9, s4
	s_cbranch_execz .LBB247_1129
; %bb.1122:                             ;   in Loop: Header=BB247_671 Depth=1
	v_mov_b32_e32 v8, v7
	v_mov_b32_e32 v19, v9
	v_cmp_ne_u16_sdwa s4, v12, v68 src0_sel:BYTE_1 src1_sel:DWORD
	v_mov_b32_e32 v18, v8
	s_and_saveexec_b32 s11, s4
	s_cbranch_execz .LBB247_1128
; %bb.1123:                             ;   in Loop: Header=BB247_671 Depth=1
	v_mov_b32_e32 v6, 0xffff
	v_mov_b32_e32 v10, v7
	;; [unrolled: 1-line block ×3, first 2 shown]
	s_mov_b32 s12, exec_lo
	v_and_b32_sdwa v6, v6, v12 dst_sel:DWORD dst_unused:UNUSED_PAD src0_sel:DWORD src1_sel:BYTE_1
	v_mov_b32_e32 v18, v10
	v_and_b32_e32 v13, 0x7f, v6
	v_cmpx_ne_u32_e32 0x7f, v13
	s_cbranch_execz .LBB247_1127
; %bb.1124:                             ;   in Loop: Header=BB247_671 Depth=1
	v_and_b32_e32 v6, 7, v6
	v_lshrrev_b32_e32 v8, 3, v13
	s_mov_b32 s13, exec_lo
	v_cmpx_gt_u32_e32 8, v13
; %bb.1125:                             ;   in Loop: Header=BB247_671 Depth=1
	v_ffbh_u32_e32 v8, v6
	v_min_u32_e32 v8, 32, v8
	v_subrev_nc_u32_e32 v10, 28, v8
	v_sub_nc_u32_e32 v8, 29, v8
	v_lshlrev_b64 v[18:19], v10, v[6:7]
	v_and_b32_e32 v6, 7, v18
; %bb.1126:                             ;   in Loop: Header=BB247_671 Depth=1
	s_or_b32 exec_lo, exec_lo, s13
	v_lshlrev_b32_e32 v10, 16, v12
	v_lshlrev_b32_e32 v6, 20, v6
	v_lshl_add_u32 v8, v8, 23, 0x3c000000
	v_mov_b32_e32 v18, v7
	v_and_b32_e32 v10, 0x80000000, v10
	v_or3_b32 v19, v6, v10, v8
.LBB247_1127:                           ;   in Loop: Header=BB247_671 Depth=1
	s_or_b32 exec_lo, exec_lo, s12
.LBB247_1128:                           ;   in Loop: Header=BB247_671 Depth=1
	s_or_b32 exec_lo, exec_lo, s11
.LBB247_1129:                           ;   in Loop: Header=BB247_671 Depth=1
	s_or_b32 exec_lo, exec_lo, s9
	v_mov_b32_e32 v22, 0
	v_mov_b32_e32 v20, 0
	v_and_b32_sdwa v6, v12, v70 dst_sel:DWORD dst_unused:UNUSED_PAD src0_sel:WORD_1 src1_sel:DWORD
	v_mov_b32_e32 v23, 0
	v_mov_b32_e32 v21, 0
	s_mov_b32 s9, exec_lo
	v_cmpx_ne_u16_e32 0, v6
	s_cbranch_execz .LBB247_1137
; %bb.1130:                             ;   in Loop: Header=BB247_671 Depth=1
	v_bfrev_b32_e32 v20, 1
	v_mov_b32_e32 v21, 0
	s_mov_b32 s11, exec_lo
	v_cmpx_ne_u16_e32 0x80, v6
	s_cbranch_execz .LBB247_1136
; %bb.1131:                             ;   in Loop: Header=BB247_671 Depth=1
	v_mov_b32_e32 v20, 0x7f800001
	v_bfe_u32 v10, v12, 16, 7
	v_mov_b32_e32 v21, 0
	s_mov_b32 s12, exec_lo
	v_cmpx_ne_u32_e32 0x7f, v10
	s_cbranch_execz .LBB247_1135
; %bb.1132:                             ;   in Loop: Header=BB247_671 Depth=1
	v_mov_b32_e32 v6, 7
	v_lshrrev_b32_e32 v8, 3, v10
	s_mov_b32 s13, exec_lo
	v_and_b32_sdwa v6, v12, v6 dst_sel:DWORD dst_unused:UNUSED_PAD src0_sel:WORD_1 src1_sel:DWORD
	v_cmpx_gt_u32_e32 8, v10
; %bb.1133:                             ;   in Loop: Header=BB247_671 Depth=1
	v_ffbh_u32_e32 v8, v6
	v_min_u32_e32 v8, 32, v8
	v_subrev_nc_u32_e32 v10, 28, v8
	v_sub_nc_u32_e32 v8, 29, v8
	v_lshlrev_b64 v[20:21], v10, v[6:7]
	v_and_b32_e32 v6, 7, v20
; %bb.1134:                             ;   in Loop: Header=BB247_671 Depth=1
	s_or_b32 exec_lo, exec_lo, s13
	v_mov_b32_e32 v10, 24
	v_lshlrev_b32_e32 v6, 20, v6
	v_lshl_add_u32 v8, v8, 23, 0x3c000000
	v_lshlrev_b32_sdwa v10, v10, v12 dst_sel:DWORD dst_unused:UNUSED_PAD src0_sel:DWORD src1_sel:WORD_1
	v_and_b32_e32 v10, 0x80000000, v10
	v_or3_b32 v6, v6, v10, v8
	v_mov_b32_e32 v21, v7
	v_mov_b32_e32 v20, v6
.LBB247_1135:                           ;   in Loop: Header=BB247_671 Depth=1
	s_or_b32 exec_lo, exec_lo, s12
.LBB247_1136:                           ;   in Loop: Header=BB247_671 Depth=1
	s_or_b32 exec_lo, exec_lo, s11
.LBB247_1137:                           ;   in Loop: Header=BB247_671 Depth=1
	s_or_b32 exec_lo, exec_lo, s9
	s_mov_b32 s9, exec_lo
	v_cmpx_lt_u32_e32 0xffffff, v12
	s_cbranch_execz .LBB247_1145
; %bb.1138:                             ;   in Loop: Header=BB247_671 Depth=1
	v_mov_b32_e32 v8, v7
	v_mov_b32_e32 v23, v9
	v_cmp_ne_u32_sdwa s4, v12, v68 src0_sel:BYTE_3 src1_sel:DWORD
	v_mov_b32_e32 v22, v8
	s_and_saveexec_b32 s11, s4
	s_cbranch_execz .LBB247_1144
; %bb.1139:                             ;   in Loop: Header=BB247_671 Depth=1
	v_mov_b32_e32 v10, v7
	v_mov_b32_e32 v23, v11
	v_bfe_u32 v13, v12, 24, 7
	s_mov_b32 s12, exec_lo
	v_mov_b32_e32 v22, v10
	v_cmpx_ne_u32_e32 0x7f, v13
	s_cbranch_execz .LBB247_1143
; %bb.1140:                             ;   in Loop: Header=BB247_671 Depth=1
	v_mov_b32_e32 v6, 7
	v_lshrrev_b32_e32 v8, 3, v13
	s_mov_b32 s13, exec_lo
	v_and_b32_sdwa v6, v12, v6 dst_sel:DWORD dst_unused:UNUSED_PAD src0_sel:BYTE_3 src1_sel:DWORD
	v_cmpx_gt_u32_e32 8, v13
; %bb.1141:                             ;   in Loop: Header=BB247_671 Depth=1
	v_ffbh_u32_e32 v8, v6
	v_min_u32_e32 v8, 32, v8
	v_subrev_nc_u32_e32 v10, 28, v8
	v_sub_nc_u32_e32 v8, 29, v8
	v_lshlrev_b64 v[22:23], v10, v[6:7]
	v_and_b32_e32 v6, 7, v22
; %bb.1142:                             ;   in Loop: Header=BB247_671 Depth=1
	s_or_b32 exec_lo, exec_lo, s13
	v_mov_b32_e32 v10, 24
	v_lshlrev_b32_e32 v6, 20, v6
	v_lshl_add_u32 v8, v8, 23, 0x3c000000
	v_mov_b32_e32 v22, v7
	v_lshlrev_b32_sdwa v10, v10, v12 dst_sel:DWORD dst_unused:UNUSED_PAD src0_sel:DWORD src1_sel:BYTE_3
	v_and_b32_e32 v10, 0x80000000, v10
	v_or3_b32 v23, v6, v10, v8
.LBB247_1143:                           ;   in Loop: Header=BB247_671 Depth=1
	s_or_b32 exec_lo, exec_lo, s12
.LBB247_1144:                           ;   in Loop: Header=BB247_671 Depth=1
	s_or_b32 exec_lo, exec_lo, s11
.LBB247_1145:                           ;   in Loop: Header=BB247_671 Depth=1
	s_or_b32 exec_lo, exec_lo, s9
	v_or_b32_e32 v6, v19, v17
	v_or_b32_e32 v8, v18, v16
	;; [unrolled: 1-line block ×4, first 2 shown]
	v_mul_f32_e32 v109, v83, v6
	v_mul_f32_e32 v108, v66, v8
	;; [unrolled: 1-line block ×4, first 2 shown]
	s_and_saveexec_b32 s9, vcc_lo
	s_cbranch_execz .LBB247_1147
; %bb.1146:                             ;   in Loop: Header=BB247_671 Depth=1
	v_cmp_lt_i32_e64 s4, v99, v34
	v_cndmask_b32_e64 v108, 0, v108, s4
	v_cmp_lt_i32_e64 s4, v101, v34
	v_cndmask_b32_e64 v109, 0, v109, s4
	;; [unrolled: 2-line block ×4, first 2 shown]
.LBB247_1147:                           ;   in Loop: Header=BB247_671 Depth=1
	s_or_b32 exec_lo, exec_lo, s9
	flat_load_dword v12, v[4:5] offset:1792
	v_mov_b32_e32 v18, 0
	v_mov_b32_e32 v16, 0
	;; [unrolled: 1-line block ×4, first 2 shown]
	s_waitcnt vmcnt(0) lgkmcnt(0)
	v_cmp_ne_u16_sdwa s4, v12, v7 src0_sel:BYTE_0 src1_sel:DWORD
	s_and_saveexec_b32 s9, s4
	s_cbranch_execz .LBB247_1155
; %bb.1148:                             ;   in Loop: Header=BB247_671 Depth=1
	v_bfrev_b32_e32 v16, 1
	v_mov_b32_e32 v17, 0
	v_cmp_ne_u16_sdwa s4, v12, v68 src0_sel:BYTE_0 src1_sel:DWORD
	s_and_saveexec_b32 s11, s4
	s_cbranch_execz .LBB247_1154
; %bb.1149:                             ;   in Loop: Header=BB247_671 Depth=1
	v_mov_b32_e32 v16, 0x7f800001
	v_and_b32_e32 v10, 0x7f, v12
	v_mov_b32_e32 v17, 0
	s_mov_b32 s12, exec_lo
	v_cmpx_ne_u32_e32 0x7f, v10
	s_cbranch_execz .LBB247_1153
; %bb.1150:                             ;   in Loop: Header=BB247_671 Depth=1
	v_and_b32_e32 v6, 7, v12
	v_lshrrev_b32_e32 v8, 3, v10
	s_mov_b32 s13, exec_lo
	v_cmpx_gt_u32_e32 8, v10
; %bb.1151:                             ;   in Loop: Header=BB247_671 Depth=1
	v_ffbh_u32_e32 v8, v6
	v_min_u32_e32 v8, 32, v8
	v_subrev_nc_u32_e32 v10, 28, v8
	v_sub_nc_u32_e32 v8, 29, v8
	v_lshlrev_b64 v[16:17], v10, v[6:7]
	v_and_b32_e32 v6, 7, v16
; %bb.1152:                             ;   in Loop: Header=BB247_671 Depth=1
	s_or_b32 exec_lo, exec_lo, s13
	v_lshlrev_b32_e32 v10, 24, v12
	v_lshlrev_b32_e32 v6, 20, v6
	v_lshl_add_u32 v8, v8, 23, 0x3c000000
	v_and_b32_e32 v10, 0x80000000, v10
	v_or3_b32 v6, v6, v10, v8
	v_mov_b32_e32 v17, v7
	v_mov_b32_e32 v16, v6
.LBB247_1153:                           ;   in Loop: Header=BB247_671 Depth=1
	s_or_b32 exec_lo, exec_lo, s12
.LBB247_1154:                           ;   in Loop: Header=BB247_671 Depth=1
	s_or_b32 exec_lo, exec_lo, s11
.LBB247_1155:                           ;   in Loop: Header=BB247_671 Depth=1
	s_or_b32 exec_lo, exec_lo, s9
	v_cmp_ne_u16_sdwa s4, v12, v7 src0_sel:BYTE_1 src1_sel:DWORD
	s_and_saveexec_b32 s9, s4
	s_cbranch_execz .LBB247_1163
; %bb.1156:                             ;   in Loop: Header=BB247_671 Depth=1
	v_mov_b32_e32 v8, v7
	v_mov_b32_e32 v19, v9
	v_cmp_ne_u16_sdwa s4, v12, v68 src0_sel:BYTE_1 src1_sel:DWORD
	v_mov_b32_e32 v18, v8
	s_and_saveexec_b32 s11, s4
	s_cbranch_execz .LBB247_1162
; %bb.1157:                             ;   in Loop: Header=BB247_671 Depth=1
	v_mov_b32_e32 v6, 0xffff
	v_mov_b32_e32 v10, v7
	;; [unrolled: 1-line block ×3, first 2 shown]
	s_mov_b32 s12, exec_lo
	v_and_b32_sdwa v6, v6, v12 dst_sel:DWORD dst_unused:UNUSED_PAD src0_sel:DWORD src1_sel:BYTE_1
	v_mov_b32_e32 v18, v10
	v_and_b32_e32 v13, 0x7f, v6
	v_cmpx_ne_u32_e32 0x7f, v13
	s_cbranch_execz .LBB247_1161
; %bb.1158:                             ;   in Loop: Header=BB247_671 Depth=1
	v_and_b32_e32 v6, 7, v6
	v_lshrrev_b32_e32 v8, 3, v13
	s_mov_b32 s13, exec_lo
	v_cmpx_gt_u32_e32 8, v13
; %bb.1159:                             ;   in Loop: Header=BB247_671 Depth=1
	v_ffbh_u32_e32 v8, v6
	v_min_u32_e32 v8, 32, v8
	v_subrev_nc_u32_e32 v10, 28, v8
	v_sub_nc_u32_e32 v8, 29, v8
	v_lshlrev_b64 v[18:19], v10, v[6:7]
	v_and_b32_e32 v6, 7, v18
; %bb.1160:                             ;   in Loop: Header=BB247_671 Depth=1
	s_or_b32 exec_lo, exec_lo, s13
	v_lshlrev_b32_e32 v10, 16, v12
	v_lshlrev_b32_e32 v6, 20, v6
	v_lshl_add_u32 v8, v8, 23, 0x3c000000
	v_mov_b32_e32 v18, v7
	v_and_b32_e32 v10, 0x80000000, v10
	v_or3_b32 v19, v6, v10, v8
.LBB247_1161:                           ;   in Loop: Header=BB247_671 Depth=1
	s_or_b32 exec_lo, exec_lo, s12
.LBB247_1162:                           ;   in Loop: Header=BB247_671 Depth=1
	s_or_b32 exec_lo, exec_lo, s11
.LBB247_1163:                           ;   in Loop: Header=BB247_671 Depth=1
	s_or_b32 exec_lo, exec_lo, s9
	v_mov_b32_e32 v22, 0
	v_mov_b32_e32 v20, 0
	v_and_b32_sdwa v6, v12, v70 dst_sel:DWORD dst_unused:UNUSED_PAD src0_sel:WORD_1 src1_sel:DWORD
	v_mov_b32_e32 v23, 0
	v_mov_b32_e32 v21, 0
	s_mov_b32 s9, exec_lo
	v_cmpx_ne_u16_e32 0, v6
	s_cbranch_execz .LBB247_1171
; %bb.1164:                             ;   in Loop: Header=BB247_671 Depth=1
	v_bfrev_b32_e32 v20, 1
	v_mov_b32_e32 v21, 0
	s_mov_b32 s11, exec_lo
	v_cmpx_ne_u16_e32 0x80, v6
	s_cbranch_execz .LBB247_1170
; %bb.1165:                             ;   in Loop: Header=BB247_671 Depth=1
	v_mov_b32_e32 v20, 0x7f800001
	v_bfe_u32 v10, v12, 16, 7
	v_mov_b32_e32 v21, 0
	s_mov_b32 s12, exec_lo
	v_cmpx_ne_u32_e32 0x7f, v10
	s_cbranch_execz .LBB247_1169
; %bb.1166:                             ;   in Loop: Header=BB247_671 Depth=1
	v_mov_b32_e32 v6, 7
	v_lshrrev_b32_e32 v8, 3, v10
	s_mov_b32 s13, exec_lo
	v_and_b32_sdwa v6, v12, v6 dst_sel:DWORD dst_unused:UNUSED_PAD src0_sel:WORD_1 src1_sel:DWORD
	v_cmpx_gt_u32_e32 8, v10
; %bb.1167:                             ;   in Loop: Header=BB247_671 Depth=1
	v_ffbh_u32_e32 v8, v6
	v_min_u32_e32 v8, 32, v8
	v_subrev_nc_u32_e32 v10, 28, v8
	v_sub_nc_u32_e32 v8, 29, v8
	v_lshlrev_b64 v[20:21], v10, v[6:7]
	v_and_b32_e32 v6, 7, v20
; %bb.1168:                             ;   in Loop: Header=BB247_671 Depth=1
	s_or_b32 exec_lo, exec_lo, s13
	v_mov_b32_e32 v10, 24
	v_lshlrev_b32_e32 v6, 20, v6
	v_lshl_add_u32 v8, v8, 23, 0x3c000000
	v_lshlrev_b32_sdwa v10, v10, v12 dst_sel:DWORD dst_unused:UNUSED_PAD src0_sel:DWORD src1_sel:WORD_1
	v_and_b32_e32 v10, 0x80000000, v10
	v_or3_b32 v6, v6, v10, v8
	v_mov_b32_e32 v21, v7
	v_mov_b32_e32 v20, v6
.LBB247_1169:                           ;   in Loop: Header=BB247_671 Depth=1
	s_or_b32 exec_lo, exec_lo, s12
.LBB247_1170:                           ;   in Loop: Header=BB247_671 Depth=1
	s_or_b32 exec_lo, exec_lo, s11
.LBB247_1171:                           ;   in Loop: Header=BB247_671 Depth=1
	s_or_b32 exec_lo, exec_lo, s9
	s_mov_b32 s9, exec_lo
	v_cmpx_lt_u32_e32 0xffffff, v12
	s_cbranch_execz .LBB247_1179
; %bb.1172:                             ;   in Loop: Header=BB247_671 Depth=1
	v_mov_b32_e32 v8, v7
	v_mov_b32_e32 v23, v9
	v_cmp_ne_u32_sdwa s4, v12, v68 src0_sel:BYTE_3 src1_sel:DWORD
	v_mov_b32_e32 v22, v8
	s_and_saveexec_b32 s11, s4
	s_cbranch_execz .LBB247_1178
; %bb.1173:                             ;   in Loop: Header=BB247_671 Depth=1
	v_mov_b32_e32 v10, v7
	v_mov_b32_e32 v23, v11
	v_bfe_u32 v13, v12, 24, 7
	s_mov_b32 s12, exec_lo
	v_mov_b32_e32 v22, v10
	v_cmpx_ne_u32_e32 0x7f, v13
	s_cbranch_execz .LBB247_1177
; %bb.1174:                             ;   in Loop: Header=BB247_671 Depth=1
	v_mov_b32_e32 v6, 7
	v_lshrrev_b32_e32 v8, 3, v13
	s_mov_b32 s13, exec_lo
	v_and_b32_sdwa v6, v12, v6 dst_sel:DWORD dst_unused:UNUSED_PAD src0_sel:BYTE_3 src1_sel:DWORD
	v_cmpx_gt_u32_e32 8, v13
; %bb.1175:                             ;   in Loop: Header=BB247_671 Depth=1
	v_ffbh_u32_e32 v8, v6
	v_min_u32_e32 v8, 32, v8
	v_subrev_nc_u32_e32 v10, 28, v8
	v_sub_nc_u32_e32 v8, 29, v8
	v_lshlrev_b64 v[22:23], v10, v[6:7]
	v_and_b32_e32 v6, 7, v22
; %bb.1176:                             ;   in Loop: Header=BB247_671 Depth=1
	s_or_b32 exec_lo, exec_lo, s13
	v_mov_b32_e32 v10, 24
	v_lshlrev_b32_e32 v6, 20, v6
	v_lshl_add_u32 v8, v8, 23, 0x3c000000
	v_mov_b32_e32 v22, v7
	v_lshlrev_b32_sdwa v10, v10, v12 dst_sel:DWORD dst_unused:UNUSED_PAD src0_sel:DWORD src1_sel:BYTE_3
	v_and_b32_e32 v10, 0x80000000, v10
	v_or3_b32 v23, v6, v10, v8
.LBB247_1177:                           ;   in Loop: Header=BB247_671 Depth=1
	s_or_b32 exec_lo, exec_lo, s12
.LBB247_1178:                           ;   in Loop: Header=BB247_671 Depth=1
	s_or_b32 exec_lo, exec_lo, s11
.LBB247_1179:                           ;   in Loop: Header=BB247_671 Depth=1
	s_or_b32 exec_lo, exec_lo, s9
	v_or_b32_e32 v6, v19, v17
	v_or_b32_e32 v8, v18, v16
	;; [unrolled: 1-line block ×4, first 2 shown]
	v_mul_f32_e32 v121, v83, v6
	v_mul_f32_e32 v120, v66, v8
	v_mul_f32_e32 v111, v66, v10
	v_mul_f32_e32 v110, v83, v12
	s_and_saveexec_b32 s9, vcc_lo
	s_cbranch_execz .LBB247_1181
; %bb.1180:                             ;   in Loop: Header=BB247_671 Depth=1
	v_cmp_lt_i32_e64 s4, v99, v34
	v_cndmask_b32_e64 v120, 0, v120, s4
	v_cmp_lt_i32_e64 s4, v101, v34
	v_cndmask_b32_e64 v121, 0, v121, s4
	;; [unrolled: 2-line block ×4, first 2 shown]
.LBB247_1181:                           ;   in Loop: Header=BB247_671 Depth=1
	s_or_b32 exec_lo, exec_lo, s9
	flat_load_dword v12, v[4:5] offset:1920
	v_mov_b32_e32 v18, 0
	v_mov_b32_e32 v16, 0
	;; [unrolled: 1-line block ×4, first 2 shown]
	s_waitcnt vmcnt(0) lgkmcnt(0)
	v_cmp_ne_u16_sdwa s4, v12, v7 src0_sel:BYTE_0 src1_sel:DWORD
	s_and_saveexec_b32 s9, s4
	s_cbranch_execz .LBB247_1189
; %bb.1182:                             ;   in Loop: Header=BB247_671 Depth=1
	v_bfrev_b32_e32 v16, 1
	v_mov_b32_e32 v17, 0
	v_cmp_ne_u16_sdwa s4, v12, v68 src0_sel:BYTE_0 src1_sel:DWORD
	s_and_saveexec_b32 s11, s4
	s_cbranch_execz .LBB247_1188
; %bb.1183:                             ;   in Loop: Header=BB247_671 Depth=1
	v_mov_b32_e32 v16, 0x7f800001
	v_and_b32_e32 v10, 0x7f, v12
	v_mov_b32_e32 v17, 0
	s_mov_b32 s12, exec_lo
	v_cmpx_ne_u32_e32 0x7f, v10
	s_cbranch_execz .LBB247_1187
; %bb.1184:                             ;   in Loop: Header=BB247_671 Depth=1
	v_and_b32_e32 v6, 7, v12
	v_lshrrev_b32_e32 v8, 3, v10
	s_mov_b32 s13, exec_lo
	v_cmpx_gt_u32_e32 8, v10
; %bb.1185:                             ;   in Loop: Header=BB247_671 Depth=1
	v_ffbh_u32_e32 v8, v6
	v_min_u32_e32 v8, 32, v8
	v_subrev_nc_u32_e32 v10, 28, v8
	v_sub_nc_u32_e32 v8, 29, v8
	v_lshlrev_b64 v[16:17], v10, v[6:7]
	v_and_b32_e32 v6, 7, v16
; %bb.1186:                             ;   in Loop: Header=BB247_671 Depth=1
	s_or_b32 exec_lo, exec_lo, s13
	v_lshlrev_b32_e32 v10, 24, v12
	v_lshlrev_b32_e32 v6, 20, v6
	v_lshl_add_u32 v8, v8, 23, 0x3c000000
	v_and_b32_e32 v10, 0x80000000, v10
	v_or3_b32 v6, v6, v10, v8
	v_mov_b32_e32 v17, v7
	v_mov_b32_e32 v16, v6
.LBB247_1187:                           ;   in Loop: Header=BB247_671 Depth=1
	s_or_b32 exec_lo, exec_lo, s12
.LBB247_1188:                           ;   in Loop: Header=BB247_671 Depth=1
	s_or_b32 exec_lo, exec_lo, s11
.LBB247_1189:                           ;   in Loop: Header=BB247_671 Depth=1
	s_or_b32 exec_lo, exec_lo, s9
	v_cmp_ne_u16_sdwa s4, v12, v7 src0_sel:BYTE_1 src1_sel:DWORD
	s_and_saveexec_b32 s9, s4
	s_cbranch_execz .LBB247_1197
; %bb.1190:                             ;   in Loop: Header=BB247_671 Depth=1
	v_mov_b32_e32 v8, v7
	v_mov_b32_e32 v19, v9
	v_cmp_ne_u16_sdwa s4, v12, v68 src0_sel:BYTE_1 src1_sel:DWORD
	v_mov_b32_e32 v18, v8
	s_and_saveexec_b32 s11, s4
	s_cbranch_execz .LBB247_1196
; %bb.1191:                             ;   in Loop: Header=BB247_671 Depth=1
	v_mov_b32_e32 v6, 0xffff
	v_mov_b32_e32 v10, v7
	;; [unrolled: 1-line block ×3, first 2 shown]
	s_mov_b32 s12, exec_lo
	v_and_b32_sdwa v6, v6, v12 dst_sel:DWORD dst_unused:UNUSED_PAD src0_sel:DWORD src1_sel:BYTE_1
	v_mov_b32_e32 v18, v10
	v_and_b32_e32 v13, 0x7f, v6
	v_cmpx_ne_u32_e32 0x7f, v13
	s_cbranch_execz .LBB247_1195
; %bb.1192:                             ;   in Loop: Header=BB247_671 Depth=1
	v_and_b32_e32 v6, 7, v6
	v_lshrrev_b32_e32 v8, 3, v13
	s_mov_b32 s13, exec_lo
	v_cmpx_gt_u32_e32 8, v13
; %bb.1193:                             ;   in Loop: Header=BB247_671 Depth=1
	v_ffbh_u32_e32 v8, v6
	v_min_u32_e32 v8, 32, v8
	v_subrev_nc_u32_e32 v10, 28, v8
	v_sub_nc_u32_e32 v8, 29, v8
	v_lshlrev_b64 v[18:19], v10, v[6:7]
	v_and_b32_e32 v6, 7, v18
; %bb.1194:                             ;   in Loop: Header=BB247_671 Depth=1
	s_or_b32 exec_lo, exec_lo, s13
	v_lshlrev_b32_e32 v10, 16, v12
	v_lshlrev_b32_e32 v6, 20, v6
	v_lshl_add_u32 v8, v8, 23, 0x3c000000
	v_mov_b32_e32 v18, v7
	v_and_b32_e32 v10, 0x80000000, v10
	v_or3_b32 v19, v6, v10, v8
.LBB247_1195:                           ;   in Loop: Header=BB247_671 Depth=1
	s_or_b32 exec_lo, exec_lo, s12
.LBB247_1196:                           ;   in Loop: Header=BB247_671 Depth=1
	s_or_b32 exec_lo, exec_lo, s11
.LBB247_1197:                           ;   in Loop: Header=BB247_671 Depth=1
	s_or_b32 exec_lo, exec_lo, s9
	v_mov_b32_e32 v20, 0
	v_mov_b32_e32 v22, 0
	v_and_b32_sdwa v6, v12, v70 dst_sel:DWORD dst_unused:UNUSED_PAD src0_sel:WORD_1 src1_sel:DWORD
	v_mov_b32_e32 v21, 0
	v_mov_b32_e32 v23, 0
	s_mov_b32 s9, exec_lo
	v_cmpx_ne_u16_e32 0, v6
	s_cbranch_execz .LBB247_1205
; %bb.1198:                             ;   in Loop: Header=BB247_671 Depth=1
	v_bfrev_b32_e32 v22, 1
	v_mov_b32_e32 v23, 0
	s_mov_b32 s11, exec_lo
	v_cmpx_ne_u16_e32 0x80, v6
	s_cbranch_execz .LBB247_1204
; %bb.1199:                             ;   in Loop: Header=BB247_671 Depth=1
	v_mov_b32_e32 v22, 0x7f800001
	v_bfe_u32 v10, v12, 16, 7
	v_mov_b32_e32 v23, 0
	s_mov_b32 s12, exec_lo
	v_cmpx_ne_u32_e32 0x7f, v10
	s_cbranch_execz .LBB247_1203
; %bb.1200:                             ;   in Loop: Header=BB247_671 Depth=1
	v_mov_b32_e32 v6, 7
	v_lshrrev_b32_e32 v8, 3, v10
	s_mov_b32 s13, exec_lo
	v_and_b32_sdwa v6, v12, v6 dst_sel:DWORD dst_unused:UNUSED_PAD src0_sel:WORD_1 src1_sel:DWORD
	v_cmpx_gt_u32_e32 8, v10
; %bb.1201:                             ;   in Loop: Header=BB247_671 Depth=1
	v_ffbh_u32_e32 v8, v6
	v_min_u32_e32 v8, 32, v8
	v_subrev_nc_u32_e32 v10, 28, v8
	v_sub_nc_u32_e32 v8, 29, v8
	v_lshlrev_b64 v[22:23], v10, v[6:7]
	v_and_b32_e32 v6, 7, v22
; %bb.1202:                             ;   in Loop: Header=BB247_671 Depth=1
	s_or_b32 exec_lo, exec_lo, s13
	v_mov_b32_e32 v10, 24
	v_lshlrev_b32_e32 v6, 20, v6
	v_lshl_add_u32 v8, v8, 23, 0x3c000000
	v_lshlrev_b32_sdwa v10, v10, v12 dst_sel:DWORD dst_unused:UNUSED_PAD src0_sel:DWORD src1_sel:WORD_1
	v_and_b32_e32 v10, 0x80000000, v10
	v_or3_b32 v6, v6, v10, v8
	v_mov_b32_e32 v23, v7
	v_mov_b32_e32 v22, v6
.LBB247_1203:                           ;   in Loop: Header=BB247_671 Depth=1
	s_or_b32 exec_lo, exec_lo, s12
.LBB247_1204:                           ;   in Loop: Header=BB247_671 Depth=1
	s_or_b32 exec_lo, exec_lo, s11
.LBB247_1205:                           ;   in Loop: Header=BB247_671 Depth=1
	s_or_b32 exec_lo, exec_lo, s9
	s_mov_b32 s9, exec_lo
	v_cmpx_lt_u32_e32 0xffffff, v12
	s_cbranch_execz .LBB247_1213
; %bb.1206:                             ;   in Loop: Header=BB247_671 Depth=1
	v_mov_b32_e32 v8, v7
	v_mov_b32_e32 v21, v9
	v_cmp_ne_u32_sdwa s4, v12, v68 src0_sel:BYTE_3 src1_sel:DWORD
	v_mov_b32_e32 v20, v8
	s_and_saveexec_b32 s11, s4
	s_cbranch_execz .LBB247_1212
; %bb.1207:                             ;   in Loop: Header=BB247_671 Depth=1
	v_mov_b32_e32 v10, v7
	v_mov_b32_e32 v21, v11
	v_bfe_u32 v13, v12, 24, 7
	s_mov_b32 s12, exec_lo
	v_mov_b32_e32 v20, v10
	v_cmpx_ne_u32_e32 0x7f, v13
	s_cbranch_execz .LBB247_1211
; %bb.1208:                             ;   in Loop: Header=BB247_671 Depth=1
	v_mov_b32_e32 v6, 7
	v_lshrrev_b32_e32 v8, 3, v13
	s_mov_b32 s13, exec_lo
	v_and_b32_sdwa v6, v12, v6 dst_sel:DWORD dst_unused:UNUSED_PAD src0_sel:BYTE_3 src1_sel:DWORD
	v_cmpx_gt_u32_e32 8, v13
; %bb.1209:                             ;   in Loop: Header=BB247_671 Depth=1
	v_ffbh_u32_e32 v8, v6
	v_min_u32_e32 v8, 32, v8
	v_subrev_nc_u32_e32 v10, 28, v8
	v_sub_nc_u32_e32 v8, 29, v8
	v_lshlrev_b64 v[20:21], v10, v[6:7]
	v_and_b32_e32 v6, 7, v20
; %bb.1210:                             ;   in Loop: Header=BB247_671 Depth=1
	s_or_b32 exec_lo, exec_lo, s13
	v_mov_b32_e32 v10, 24
	v_lshlrev_b32_e32 v6, 20, v6
	v_lshl_add_u32 v8, v8, 23, 0x3c000000
	v_mov_b32_e32 v20, v7
	v_lshlrev_b32_sdwa v10, v10, v12 dst_sel:DWORD dst_unused:UNUSED_PAD src0_sel:DWORD src1_sel:BYTE_3
	v_and_b32_e32 v10, 0x80000000, v10
	v_or3_b32 v21, v6, v10, v8
.LBB247_1211:                           ;   in Loop: Header=BB247_671 Depth=1
	s_or_b32 exec_lo, exec_lo, s12
.LBB247_1212:                           ;   in Loop: Header=BB247_671 Depth=1
	s_or_b32 exec_lo, exec_lo, s11
.LBB247_1213:                           ;   in Loop: Header=BB247_671 Depth=1
	s_or_b32 exec_lo, exec_lo, s9
	v_or_b32_e32 v6, v19, v17
	v_or_b32_e32 v8, v18, v16
	;; [unrolled: 1-line block ×4, first 2 shown]
	v_mul_f32_e32 v124, v83, v6
	v_mul_f32_e32 v125, v66, v8
	v_mul_f32_e32 v123, v66, v10
	v_mul_f32_e32 v122, v83, v12
	s_and_saveexec_b32 s9, vcc_lo
	s_cbranch_execz .LBB247_1215
; %bb.1214:                             ;   in Loop: Header=BB247_671 Depth=1
	v_cmp_lt_i32_e64 s4, v99, v34
	v_cndmask_b32_e64 v125, 0, v125, s4
	v_cmp_lt_i32_e64 s4, v101, v34
	v_cndmask_b32_e64 v124, 0, v124, s4
	;; [unrolled: 2-line block ×4, first 2 shown]
.LBB247_1215:                           ;   in Loop: Header=BB247_671 Depth=1
	s_or_b32 exec_lo, exec_lo, s9
	v_add_co_u32 v4, s4, 0x800, v4
	v_add_co_ci_u32_e64 v5, null, 0, v5, s4
	v_mov_b32_e32 v18, 0
	v_mov_b32_e32 v16, 0
	;; [unrolled: 1-line block ×3, first 2 shown]
	flat_load_dword v12, v[4:5]
	v_mov_b32_e32 v17, 0
	s_waitcnt vmcnt(0) lgkmcnt(0)
	v_cmp_ne_u16_sdwa s4, v12, v7 src0_sel:BYTE_0 src1_sel:DWORD
	s_and_saveexec_b32 s9, s4
	s_cbranch_execz .LBB247_1223
; %bb.1216:                             ;   in Loop: Header=BB247_671 Depth=1
	v_bfrev_b32_e32 v16, 1
	v_mov_b32_e32 v17, 0
	v_cmp_ne_u16_sdwa s4, v12, v68 src0_sel:BYTE_0 src1_sel:DWORD
	s_and_saveexec_b32 s11, s4
	s_cbranch_execz .LBB247_1222
; %bb.1217:                             ;   in Loop: Header=BB247_671 Depth=1
	v_mov_b32_e32 v16, 0x7f800001
	v_and_b32_e32 v10, 0x7f, v12
	v_mov_b32_e32 v17, 0
	s_mov_b32 s12, exec_lo
	v_cmpx_ne_u32_e32 0x7f, v10
	s_cbranch_execz .LBB247_1221
; %bb.1218:                             ;   in Loop: Header=BB247_671 Depth=1
	v_and_b32_e32 v6, 7, v12
	v_lshrrev_b32_e32 v8, 3, v10
	s_mov_b32 s13, exec_lo
	v_cmpx_gt_u32_e32 8, v10
; %bb.1219:                             ;   in Loop: Header=BB247_671 Depth=1
	v_ffbh_u32_e32 v8, v6
	v_min_u32_e32 v8, 32, v8
	v_subrev_nc_u32_e32 v10, 28, v8
	v_sub_nc_u32_e32 v8, 29, v8
	v_lshlrev_b64 v[16:17], v10, v[6:7]
	v_and_b32_e32 v6, 7, v16
; %bb.1220:                             ;   in Loop: Header=BB247_671 Depth=1
	s_or_b32 exec_lo, exec_lo, s13
	v_lshlrev_b32_e32 v10, 24, v12
	v_lshlrev_b32_e32 v6, 20, v6
	v_lshl_add_u32 v8, v8, 23, 0x3c000000
	v_and_b32_e32 v10, 0x80000000, v10
	v_or3_b32 v6, v6, v10, v8
	v_mov_b32_e32 v17, v7
	v_mov_b32_e32 v16, v6
.LBB247_1221:                           ;   in Loop: Header=BB247_671 Depth=1
	s_or_b32 exec_lo, exec_lo, s12
.LBB247_1222:                           ;   in Loop: Header=BB247_671 Depth=1
	s_or_b32 exec_lo, exec_lo, s11
.LBB247_1223:                           ;   in Loop: Header=BB247_671 Depth=1
	s_or_b32 exec_lo, exec_lo, s9
	v_cmp_ne_u16_sdwa s4, v12, v7 src0_sel:BYTE_1 src1_sel:DWORD
	s_and_saveexec_b32 s9, s4
	s_cbranch_execz .LBB247_1231
; %bb.1224:                             ;   in Loop: Header=BB247_671 Depth=1
	v_mov_b32_e32 v8, v7
	v_mov_b32_e32 v19, v9
	v_cmp_ne_u16_sdwa s4, v12, v68 src0_sel:BYTE_1 src1_sel:DWORD
	v_mov_b32_e32 v18, v8
	s_and_saveexec_b32 s11, s4
	s_cbranch_execz .LBB247_1230
; %bb.1225:                             ;   in Loop: Header=BB247_671 Depth=1
	v_mov_b32_e32 v6, 0xffff
	v_mov_b32_e32 v10, v7
	;; [unrolled: 1-line block ×3, first 2 shown]
	s_mov_b32 s12, exec_lo
	v_and_b32_sdwa v6, v6, v12 dst_sel:DWORD dst_unused:UNUSED_PAD src0_sel:DWORD src1_sel:BYTE_1
	v_mov_b32_e32 v18, v10
	v_and_b32_e32 v13, 0x7f, v6
	v_cmpx_ne_u32_e32 0x7f, v13
	s_cbranch_execz .LBB247_1229
; %bb.1226:                             ;   in Loop: Header=BB247_671 Depth=1
	v_and_b32_e32 v6, 7, v6
	v_lshrrev_b32_e32 v8, 3, v13
	s_mov_b32 s13, exec_lo
	v_cmpx_gt_u32_e32 8, v13
; %bb.1227:                             ;   in Loop: Header=BB247_671 Depth=1
	v_ffbh_u32_e32 v8, v6
	v_min_u32_e32 v8, 32, v8
	v_subrev_nc_u32_e32 v10, 28, v8
	v_sub_nc_u32_e32 v8, 29, v8
	v_lshlrev_b64 v[18:19], v10, v[6:7]
	v_and_b32_e32 v6, 7, v18
; %bb.1228:                             ;   in Loop: Header=BB247_671 Depth=1
	s_or_b32 exec_lo, exec_lo, s13
	v_lshlrev_b32_e32 v10, 16, v12
	v_lshlrev_b32_e32 v6, 20, v6
	v_lshl_add_u32 v8, v8, 23, 0x3c000000
	v_mov_b32_e32 v18, v7
	v_and_b32_e32 v10, 0x80000000, v10
	v_or3_b32 v19, v6, v10, v8
.LBB247_1229:                           ;   in Loop: Header=BB247_671 Depth=1
	s_or_b32 exec_lo, exec_lo, s12
.LBB247_1230:                           ;   in Loop: Header=BB247_671 Depth=1
	s_or_b32 exec_lo, exec_lo, s11
.LBB247_1231:                           ;   in Loop: Header=BB247_671 Depth=1
	s_or_b32 exec_lo, exec_lo, s9
	v_mov_b32_e32 v20, 0
	v_mov_b32_e32 v22, 0
	v_and_b32_sdwa v6, v12, v70 dst_sel:DWORD dst_unused:UNUSED_PAD src0_sel:WORD_1 src1_sel:DWORD
	v_mov_b32_e32 v21, 0
	v_mov_b32_e32 v23, 0
	s_mov_b32 s9, exec_lo
	v_cmpx_ne_u16_e32 0, v6
	s_cbranch_execz .LBB247_1239
; %bb.1232:                             ;   in Loop: Header=BB247_671 Depth=1
	v_bfrev_b32_e32 v22, 1
	v_mov_b32_e32 v23, 0
	s_mov_b32 s11, exec_lo
	v_cmpx_ne_u16_e32 0x80, v6
	s_cbranch_execz .LBB247_1238
; %bb.1233:                             ;   in Loop: Header=BB247_671 Depth=1
	v_mov_b32_e32 v22, 0x7f800001
	v_bfe_u32 v10, v12, 16, 7
	v_mov_b32_e32 v23, 0
	s_mov_b32 s12, exec_lo
	v_cmpx_ne_u32_e32 0x7f, v10
	s_cbranch_execz .LBB247_1237
; %bb.1234:                             ;   in Loop: Header=BB247_671 Depth=1
	v_mov_b32_e32 v6, 7
	v_lshrrev_b32_e32 v8, 3, v10
	s_mov_b32 s13, exec_lo
	v_and_b32_sdwa v6, v12, v6 dst_sel:DWORD dst_unused:UNUSED_PAD src0_sel:WORD_1 src1_sel:DWORD
	v_cmpx_gt_u32_e32 8, v10
; %bb.1235:                             ;   in Loop: Header=BB247_671 Depth=1
	v_ffbh_u32_e32 v8, v6
	v_min_u32_e32 v8, 32, v8
	v_subrev_nc_u32_e32 v10, 28, v8
	v_sub_nc_u32_e32 v8, 29, v8
	v_lshlrev_b64 v[22:23], v10, v[6:7]
	v_and_b32_e32 v6, 7, v22
; %bb.1236:                             ;   in Loop: Header=BB247_671 Depth=1
	s_or_b32 exec_lo, exec_lo, s13
	v_mov_b32_e32 v10, 24
	v_lshlrev_b32_e32 v6, 20, v6
	v_lshl_add_u32 v8, v8, 23, 0x3c000000
	v_lshlrev_b32_sdwa v10, v10, v12 dst_sel:DWORD dst_unused:UNUSED_PAD src0_sel:DWORD src1_sel:WORD_1
	v_and_b32_e32 v10, 0x80000000, v10
	v_or3_b32 v6, v6, v10, v8
	v_mov_b32_e32 v23, v7
	v_mov_b32_e32 v22, v6
.LBB247_1237:                           ;   in Loop: Header=BB247_671 Depth=1
	s_or_b32 exec_lo, exec_lo, s12
.LBB247_1238:                           ;   in Loop: Header=BB247_671 Depth=1
	s_or_b32 exec_lo, exec_lo, s11
.LBB247_1239:                           ;   in Loop: Header=BB247_671 Depth=1
	s_or_b32 exec_lo, exec_lo, s9
	s_mov_b32 s9, exec_lo
	v_cmpx_lt_u32_e32 0xffffff, v12
	s_cbranch_execz .LBB247_1247
; %bb.1240:                             ;   in Loop: Header=BB247_671 Depth=1
	v_mov_b32_e32 v8, v7
	v_mov_b32_e32 v21, v9
	v_cmp_ne_u32_sdwa s4, v12, v68 src0_sel:BYTE_3 src1_sel:DWORD
	v_mov_b32_e32 v20, v8
	s_and_saveexec_b32 s11, s4
	s_cbranch_execz .LBB247_1246
; %bb.1241:                             ;   in Loop: Header=BB247_671 Depth=1
	v_mov_b32_e32 v10, v7
	v_mov_b32_e32 v21, v11
	v_bfe_u32 v13, v12, 24, 7
	s_mov_b32 s12, exec_lo
	v_mov_b32_e32 v20, v10
	v_cmpx_ne_u32_e32 0x7f, v13
	s_cbranch_execz .LBB247_1245
; %bb.1242:                             ;   in Loop: Header=BB247_671 Depth=1
	v_mov_b32_e32 v6, 7
	v_lshrrev_b32_e32 v8, 3, v13
	s_mov_b32 s13, exec_lo
	v_and_b32_sdwa v6, v12, v6 dst_sel:DWORD dst_unused:UNUSED_PAD src0_sel:BYTE_3 src1_sel:DWORD
	v_cmpx_gt_u32_e32 8, v13
; %bb.1243:                             ;   in Loop: Header=BB247_671 Depth=1
	v_ffbh_u32_e32 v8, v6
	v_min_u32_e32 v8, 32, v8
	v_subrev_nc_u32_e32 v10, 28, v8
	v_sub_nc_u32_e32 v8, 29, v8
	v_lshlrev_b64 v[20:21], v10, v[6:7]
	v_and_b32_e32 v6, 7, v20
; %bb.1244:                             ;   in Loop: Header=BB247_671 Depth=1
	s_or_b32 exec_lo, exec_lo, s13
	v_mov_b32_e32 v10, 24
	v_lshlrev_b32_e32 v6, 20, v6
	v_lshl_add_u32 v8, v8, 23, 0x3c000000
	v_mov_b32_e32 v20, v7
	v_lshlrev_b32_sdwa v10, v10, v12 dst_sel:DWORD dst_unused:UNUSED_PAD src0_sel:DWORD src1_sel:BYTE_3
	v_and_b32_e32 v10, 0x80000000, v10
	v_or3_b32 v21, v6, v10, v8
.LBB247_1245:                           ;   in Loop: Header=BB247_671 Depth=1
	s_or_b32 exec_lo, exec_lo, s12
.LBB247_1246:                           ;   in Loop: Header=BB247_671 Depth=1
	s_or_b32 exec_lo, exec_lo, s11
.LBB247_1247:                           ;   in Loop: Header=BB247_671 Depth=1
	s_or_b32 exec_lo, exec_lo, s9
	v_or_b32_e32 v6, v19, v17
	v_or_b32_e32 v8, v18, v16
	;; [unrolled: 1-line block ×4, first 2 shown]
	v_mul_f32_e32 v27, v83, v6
	v_mul_f32_e32 v67, v66, v8
	;; [unrolled: 1-line block ×4, first 2 shown]
	s_and_saveexec_b32 s9, vcc_lo
	s_cbranch_execz .LBB247_1249
; %bb.1248:                             ;   in Loop: Header=BB247_671 Depth=1
	v_cmp_lt_i32_e64 s4, v99, v34
	v_cndmask_b32_e64 v67, 0, v67, s4
	v_cmp_lt_i32_e64 s4, v101, v34
	v_cndmask_b32_e64 v27, 0, v27, s4
	;; [unrolled: 2-line block ×4, first 2 shown]
.LBB247_1249:                           ;   in Loop: Header=BB247_671 Depth=1
	s_or_b32 exec_lo, exec_lo, s9
	flat_load_dword v12, v[4:5] offset:128
	v_mov_b32_e32 v18, 0
	v_mov_b32_e32 v16, 0
	;; [unrolled: 1-line block ×4, first 2 shown]
	s_waitcnt vmcnt(0) lgkmcnt(0)
	v_cmp_ne_u16_sdwa s4, v12, v7 src0_sel:BYTE_0 src1_sel:DWORD
	s_and_saveexec_b32 s9, s4
	s_cbranch_execz .LBB247_1257
; %bb.1250:                             ;   in Loop: Header=BB247_671 Depth=1
	v_bfrev_b32_e32 v16, 1
	v_mov_b32_e32 v17, 0
	v_cmp_ne_u16_sdwa s4, v12, v68 src0_sel:BYTE_0 src1_sel:DWORD
	s_and_saveexec_b32 s11, s4
	s_cbranch_execz .LBB247_1256
; %bb.1251:                             ;   in Loop: Header=BB247_671 Depth=1
	v_mov_b32_e32 v16, 0x7f800001
	v_and_b32_e32 v10, 0x7f, v12
	v_mov_b32_e32 v17, 0
	s_mov_b32 s12, exec_lo
	v_cmpx_ne_u32_e32 0x7f, v10
	s_cbranch_execz .LBB247_1255
; %bb.1252:                             ;   in Loop: Header=BB247_671 Depth=1
	v_and_b32_e32 v6, 7, v12
	v_lshrrev_b32_e32 v8, 3, v10
	s_mov_b32 s13, exec_lo
	v_cmpx_gt_u32_e32 8, v10
; %bb.1253:                             ;   in Loop: Header=BB247_671 Depth=1
	v_ffbh_u32_e32 v8, v6
	v_min_u32_e32 v8, 32, v8
	v_subrev_nc_u32_e32 v10, 28, v8
	v_sub_nc_u32_e32 v8, 29, v8
	v_lshlrev_b64 v[16:17], v10, v[6:7]
	v_and_b32_e32 v6, 7, v16
; %bb.1254:                             ;   in Loop: Header=BB247_671 Depth=1
	s_or_b32 exec_lo, exec_lo, s13
	v_lshlrev_b32_e32 v10, 24, v12
	v_lshlrev_b32_e32 v6, 20, v6
	v_lshl_add_u32 v8, v8, 23, 0x3c000000
	v_and_b32_e32 v10, 0x80000000, v10
	v_or3_b32 v6, v6, v10, v8
	v_mov_b32_e32 v17, v7
	v_mov_b32_e32 v16, v6
.LBB247_1255:                           ;   in Loop: Header=BB247_671 Depth=1
	s_or_b32 exec_lo, exec_lo, s12
.LBB247_1256:                           ;   in Loop: Header=BB247_671 Depth=1
	s_or_b32 exec_lo, exec_lo, s11
.LBB247_1257:                           ;   in Loop: Header=BB247_671 Depth=1
	s_or_b32 exec_lo, exec_lo, s9
	v_cmp_ne_u16_sdwa s4, v12, v7 src0_sel:BYTE_1 src1_sel:DWORD
	s_and_saveexec_b32 s9, s4
	s_cbranch_execz .LBB247_1265
; %bb.1258:                             ;   in Loop: Header=BB247_671 Depth=1
	v_mov_b32_e32 v8, v7
	v_mov_b32_e32 v19, v9
	v_cmp_ne_u16_sdwa s4, v12, v68 src0_sel:BYTE_1 src1_sel:DWORD
	v_mov_b32_e32 v18, v8
	s_and_saveexec_b32 s11, s4
	s_cbranch_execz .LBB247_1264
; %bb.1259:                             ;   in Loop: Header=BB247_671 Depth=1
	v_mov_b32_e32 v6, 0xffff
	v_mov_b32_e32 v10, v7
	;; [unrolled: 1-line block ×3, first 2 shown]
	s_mov_b32 s12, exec_lo
	v_and_b32_sdwa v6, v6, v12 dst_sel:DWORD dst_unused:UNUSED_PAD src0_sel:DWORD src1_sel:BYTE_1
	v_mov_b32_e32 v18, v10
	v_and_b32_e32 v13, 0x7f, v6
	v_cmpx_ne_u32_e32 0x7f, v13
	s_cbranch_execz .LBB247_1263
; %bb.1260:                             ;   in Loop: Header=BB247_671 Depth=1
	v_and_b32_e32 v6, 7, v6
	v_lshrrev_b32_e32 v8, 3, v13
	s_mov_b32 s13, exec_lo
	v_cmpx_gt_u32_e32 8, v13
; %bb.1261:                             ;   in Loop: Header=BB247_671 Depth=1
	v_ffbh_u32_e32 v8, v6
	v_min_u32_e32 v8, 32, v8
	v_subrev_nc_u32_e32 v10, 28, v8
	v_sub_nc_u32_e32 v8, 29, v8
	v_lshlrev_b64 v[18:19], v10, v[6:7]
	v_and_b32_e32 v6, 7, v18
; %bb.1262:                             ;   in Loop: Header=BB247_671 Depth=1
	s_or_b32 exec_lo, exec_lo, s13
	v_lshlrev_b32_e32 v10, 16, v12
	v_lshlrev_b32_e32 v6, 20, v6
	v_lshl_add_u32 v8, v8, 23, 0x3c000000
	v_mov_b32_e32 v18, v7
	v_and_b32_e32 v10, 0x80000000, v10
	v_or3_b32 v19, v6, v10, v8
.LBB247_1263:                           ;   in Loop: Header=BB247_671 Depth=1
	s_or_b32 exec_lo, exec_lo, s12
.LBB247_1264:                           ;   in Loop: Header=BB247_671 Depth=1
	s_or_b32 exec_lo, exec_lo, s11
.LBB247_1265:                           ;   in Loop: Header=BB247_671 Depth=1
	s_or_b32 exec_lo, exec_lo, s9
	v_mov_b32_e32 v20, 0
	v_mov_b32_e32 v22, 0
	v_and_b32_sdwa v6, v12, v70 dst_sel:DWORD dst_unused:UNUSED_PAD src0_sel:WORD_1 src1_sel:DWORD
	v_mov_b32_e32 v21, 0
	v_mov_b32_e32 v23, 0
	s_mov_b32 s9, exec_lo
	v_cmpx_ne_u16_e32 0, v6
	s_cbranch_execz .LBB247_1273
; %bb.1266:                             ;   in Loop: Header=BB247_671 Depth=1
	v_bfrev_b32_e32 v22, 1
	v_mov_b32_e32 v23, 0
	s_mov_b32 s11, exec_lo
	v_cmpx_ne_u16_e32 0x80, v6
	s_cbranch_execz .LBB247_1272
; %bb.1267:                             ;   in Loop: Header=BB247_671 Depth=1
	v_mov_b32_e32 v22, 0x7f800001
	v_bfe_u32 v10, v12, 16, 7
	v_mov_b32_e32 v23, 0
	s_mov_b32 s12, exec_lo
	v_cmpx_ne_u32_e32 0x7f, v10
	s_cbranch_execz .LBB247_1271
; %bb.1268:                             ;   in Loop: Header=BB247_671 Depth=1
	v_mov_b32_e32 v6, 7
	v_lshrrev_b32_e32 v8, 3, v10
	s_mov_b32 s13, exec_lo
	v_and_b32_sdwa v6, v12, v6 dst_sel:DWORD dst_unused:UNUSED_PAD src0_sel:WORD_1 src1_sel:DWORD
	v_cmpx_gt_u32_e32 8, v10
; %bb.1269:                             ;   in Loop: Header=BB247_671 Depth=1
	v_ffbh_u32_e32 v8, v6
	v_min_u32_e32 v8, 32, v8
	v_subrev_nc_u32_e32 v10, 28, v8
	v_sub_nc_u32_e32 v8, 29, v8
	v_lshlrev_b64 v[22:23], v10, v[6:7]
	v_and_b32_e32 v6, 7, v22
; %bb.1270:                             ;   in Loop: Header=BB247_671 Depth=1
	s_or_b32 exec_lo, exec_lo, s13
	v_mov_b32_e32 v10, 24
	v_lshlrev_b32_e32 v6, 20, v6
	v_lshl_add_u32 v8, v8, 23, 0x3c000000
	v_lshlrev_b32_sdwa v10, v10, v12 dst_sel:DWORD dst_unused:UNUSED_PAD src0_sel:DWORD src1_sel:WORD_1
	v_and_b32_e32 v10, 0x80000000, v10
	v_or3_b32 v6, v6, v10, v8
	v_mov_b32_e32 v23, v7
	v_mov_b32_e32 v22, v6
.LBB247_1271:                           ;   in Loop: Header=BB247_671 Depth=1
	s_or_b32 exec_lo, exec_lo, s12
.LBB247_1272:                           ;   in Loop: Header=BB247_671 Depth=1
	s_or_b32 exec_lo, exec_lo, s11
.LBB247_1273:                           ;   in Loop: Header=BB247_671 Depth=1
	s_or_b32 exec_lo, exec_lo, s9
	s_mov_b32 s9, exec_lo
	v_cmpx_lt_u32_e32 0xffffff, v12
	s_cbranch_execz .LBB247_1281
; %bb.1274:                             ;   in Loop: Header=BB247_671 Depth=1
	v_mov_b32_e32 v8, v7
	v_mov_b32_e32 v21, v9
	v_cmp_ne_u32_sdwa s4, v12, v68 src0_sel:BYTE_3 src1_sel:DWORD
	v_mov_b32_e32 v20, v8
	s_and_saveexec_b32 s11, s4
	s_cbranch_execz .LBB247_1280
; %bb.1275:                             ;   in Loop: Header=BB247_671 Depth=1
	v_mov_b32_e32 v10, v7
	v_mov_b32_e32 v21, v11
	v_bfe_u32 v13, v12, 24, 7
	s_mov_b32 s12, exec_lo
	v_mov_b32_e32 v20, v10
	v_cmpx_ne_u32_e32 0x7f, v13
	s_cbranch_execz .LBB247_1279
; %bb.1276:                             ;   in Loop: Header=BB247_671 Depth=1
	v_mov_b32_e32 v6, 7
	v_lshrrev_b32_e32 v8, 3, v13
	s_mov_b32 s13, exec_lo
	v_and_b32_sdwa v6, v12, v6 dst_sel:DWORD dst_unused:UNUSED_PAD src0_sel:BYTE_3 src1_sel:DWORD
	v_cmpx_gt_u32_e32 8, v13
; %bb.1277:                             ;   in Loop: Header=BB247_671 Depth=1
	v_ffbh_u32_e32 v8, v6
	v_min_u32_e32 v8, 32, v8
	v_subrev_nc_u32_e32 v10, 28, v8
	v_sub_nc_u32_e32 v8, 29, v8
	v_lshlrev_b64 v[20:21], v10, v[6:7]
	v_and_b32_e32 v6, 7, v20
; %bb.1278:                             ;   in Loop: Header=BB247_671 Depth=1
	s_or_b32 exec_lo, exec_lo, s13
	v_mov_b32_e32 v10, 24
	v_lshlrev_b32_e32 v6, 20, v6
	v_lshl_add_u32 v8, v8, 23, 0x3c000000
	v_mov_b32_e32 v20, v7
	v_lshlrev_b32_sdwa v10, v10, v12 dst_sel:DWORD dst_unused:UNUSED_PAD src0_sel:DWORD src1_sel:BYTE_3
	v_and_b32_e32 v10, 0x80000000, v10
	v_or3_b32 v21, v6, v10, v8
.LBB247_1279:                           ;   in Loop: Header=BB247_671 Depth=1
	s_or_b32 exec_lo, exec_lo, s12
.LBB247_1280:                           ;   in Loop: Header=BB247_671 Depth=1
	s_or_b32 exec_lo, exec_lo, s11
.LBB247_1281:                           ;   in Loop: Header=BB247_671 Depth=1
	s_or_b32 exec_lo, exec_lo, s9
	v_or_b32_e32 v6, v19, v17
	v_or_b32_e32 v8, v18, v16
	;; [unrolled: 1-line block ×4, first 2 shown]
	v_mul_f32_e32 v26, v83, v6
	v_mul_f32_e32 v24, v66, v8
	;; [unrolled: 1-line block ×4, first 2 shown]
	s_and_saveexec_b32 s9, vcc_lo
	s_cbranch_execz .LBB247_1283
; %bb.1282:                             ;   in Loop: Header=BB247_671 Depth=1
	v_cmp_lt_i32_e64 s4, v99, v34
	v_cndmask_b32_e64 v24, 0, v24, s4
	v_cmp_lt_i32_e64 s4, v101, v34
	v_cndmask_b32_e64 v26, 0, v26, s4
	;; [unrolled: 2-line block ×4, first 2 shown]
.LBB247_1283:                           ;   in Loop: Header=BB247_671 Depth=1
	s_or_b32 exec_lo, exec_lo, s9
	flat_load_dword v25, v[4:5] offset:256
	v_mov_b32_e32 v18, 0
	v_mov_b32_e32 v16, 0
	;; [unrolled: 1-line block ×4, first 2 shown]
	s_waitcnt vmcnt(0) lgkmcnt(0)
	v_cmp_ne_u16_sdwa s4, v25, v7 src0_sel:BYTE_0 src1_sel:DWORD
	s_and_saveexec_b32 s9, s4
	s_cbranch_execz .LBB247_1291
; %bb.1284:                             ;   in Loop: Header=BB247_671 Depth=1
	v_bfrev_b32_e32 v16, 1
	v_mov_b32_e32 v17, 0
	v_cmp_ne_u16_sdwa s4, v25, v68 src0_sel:BYTE_0 src1_sel:DWORD
	s_and_saveexec_b32 s11, s4
	s_cbranch_execz .LBB247_1290
; %bb.1285:                             ;   in Loop: Header=BB247_671 Depth=1
	v_mov_b32_e32 v16, 0x7f800001
	v_and_b32_e32 v10, 0x7f, v25
	v_mov_b32_e32 v17, 0
	s_mov_b32 s12, exec_lo
	v_cmpx_ne_u32_e32 0x7f, v10
	s_cbranch_execz .LBB247_1289
; %bb.1286:                             ;   in Loop: Header=BB247_671 Depth=1
	v_and_b32_e32 v6, 7, v25
	v_lshrrev_b32_e32 v8, 3, v10
	s_mov_b32 s13, exec_lo
	v_cmpx_gt_u32_e32 8, v10
; %bb.1287:                             ;   in Loop: Header=BB247_671 Depth=1
	v_ffbh_u32_e32 v8, v6
	v_min_u32_e32 v8, 32, v8
	v_subrev_nc_u32_e32 v10, 28, v8
	v_sub_nc_u32_e32 v8, 29, v8
	v_lshlrev_b64 v[16:17], v10, v[6:7]
	v_and_b32_e32 v6, 7, v16
; %bb.1288:                             ;   in Loop: Header=BB247_671 Depth=1
	s_or_b32 exec_lo, exec_lo, s13
	v_lshlrev_b32_e32 v10, 24, v25
	v_lshlrev_b32_e32 v6, 20, v6
	v_lshl_add_u32 v8, v8, 23, 0x3c000000
	v_and_b32_e32 v10, 0x80000000, v10
	v_or3_b32 v6, v6, v10, v8
	v_mov_b32_e32 v17, v7
	v_mov_b32_e32 v16, v6
.LBB247_1289:                           ;   in Loop: Header=BB247_671 Depth=1
	s_or_b32 exec_lo, exec_lo, s12
.LBB247_1290:                           ;   in Loop: Header=BB247_671 Depth=1
	s_or_b32 exec_lo, exec_lo, s11
.LBB247_1291:                           ;   in Loop: Header=BB247_671 Depth=1
	s_or_b32 exec_lo, exec_lo, s9
	v_cmp_ne_u16_sdwa s4, v25, v7 src0_sel:BYTE_1 src1_sel:DWORD
	s_and_saveexec_b32 s9, s4
	s_cbranch_execz .LBB247_1299
; %bb.1292:                             ;   in Loop: Header=BB247_671 Depth=1
	v_mov_b32_e32 v8, v7
	v_mov_b32_e32 v19, v9
	v_cmp_ne_u16_sdwa s4, v25, v68 src0_sel:BYTE_1 src1_sel:DWORD
	v_mov_b32_e32 v18, v8
	s_and_saveexec_b32 s11, s4
	s_cbranch_execz .LBB247_1298
; %bb.1293:                             ;   in Loop: Header=BB247_671 Depth=1
	v_mov_b32_e32 v6, 0xffff
	v_mov_b32_e32 v10, v7
	;; [unrolled: 1-line block ×3, first 2 shown]
	s_mov_b32 s12, exec_lo
	v_and_b32_sdwa v6, v6, v25 dst_sel:DWORD dst_unused:UNUSED_PAD src0_sel:DWORD src1_sel:BYTE_1
	v_mov_b32_e32 v18, v10
	v_and_b32_e32 v20, 0x7f, v6
	v_cmpx_ne_u32_e32 0x7f, v20
	s_cbranch_execz .LBB247_1297
; %bb.1294:                             ;   in Loop: Header=BB247_671 Depth=1
	v_and_b32_e32 v6, 7, v6
	v_lshrrev_b32_e32 v8, 3, v20
	s_mov_b32 s13, exec_lo
	v_cmpx_gt_u32_e32 8, v20
; %bb.1295:                             ;   in Loop: Header=BB247_671 Depth=1
	v_ffbh_u32_e32 v8, v6
	v_min_u32_e32 v8, 32, v8
	v_subrev_nc_u32_e32 v10, 28, v8
	v_sub_nc_u32_e32 v8, 29, v8
	v_lshlrev_b64 v[18:19], v10, v[6:7]
	v_and_b32_e32 v6, 7, v18
; %bb.1296:                             ;   in Loop: Header=BB247_671 Depth=1
	s_or_b32 exec_lo, exec_lo, s13
	v_lshlrev_b32_e32 v10, 16, v25
	v_lshlrev_b32_e32 v6, 20, v6
	v_lshl_add_u32 v8, v8, 23, 0x3c000000
	v_mov_b32_e32 v18, v7
	v_and_b32_e32 v10, 0x80000000, v10
	v_or3_b32 v19, v6, v10, v8
.LBB247_1297:                           ;   in Loop: Header=BB247_671 Depth=1
	s_or_b32 exec_lo, exec_lo, s12
.LBB247_1298:                           ;   in Loop: Header=BB247_671 Depth=1
	s_or_b32 exec_lo, exec_lo, s11
.LBB247_1299:                           ;   in Loop: Header=BB247_671 Depth=1
	s_or_b32 exec_lo, exec_lo, s9
	v_mov_b32_e32 v20, 0
	v_mov_b32_e32 v22, 0
	v_and_b32_sdwa v6, v25, v70 dst_sel:DWORD dst_unused:UNUSED_PAD src0_sel:WORD_1 src1_sel:DWORD
	v_mov_b32_e32 v21, 0
	v_mov_b32_e32 v23, 0
	s_mov_b32 s9, exec_lo
	v_cmpx_ne_u16_e32 0, v6
	s_cbranch_execz .LBB247_1307
; %bb.1300:                             ;   in Loop: Header=BB247_671 Depth=1
	v_bfrev_b32_e32 v22, 1
	v_mov_b32_e32 v23, 0
	s_mov_b32 s11, exec_lo
	v_cmpx_ne_u16_e32 0x80, v6
	s_cbranch_execz .LBB247_1306
; %bb.1301:                             ;   in Loop: Header=BB247_671 Depth=1
	v_mov_b32_e32 v22, 0x7f800001
	v_bfe_u32 v10, v25, 16, 7
	v_mov_b32_e32 v23, 0
	s_mov_b32 s12, exec_lo
	v_cmpx_ne_u32_e32 0x7f, v10
	s_cbranch_execz .LBB247_1305
; %bb.1302:                             ;   in Loop: Header=BB247_671 Depth=1
	v_mov_b32_e32 v6, 7
	v_lshrrev_b32_e32 v8, 3, v10
	s_mov_b32 s13, exec_lo
	v_and_b32_sdwa v6, v25, v6 dst_sel:DWORD dst_unused:UNUSED_PAD src0_sel:WORD_1 src1_sel:DWORD
	v_cmpx_gt_u32_e32 8, v10
; %bb.1303:                             ;   in Loop: Header=BB247_671 Depth=1
	v_ffbh_u32_e32 v8, v6
	v_min_u32_e32 v8, 32, v8
	v_subrev_nc_u32_e32 v10, 28, v8
	v_sub_nc_u32_e32 v8, 29, v8
	v_lshlrev_b64 v[22:23], v10, v[6:7]
	v_and_b32_e32 v6, 7, v22
; %bb.1304:                             ;   in Loop: Header=BB247_671 Depth=1
	s_or_b32 exec_lo, exec_lo, s13
	v_mov_b32_e32 v10, 24
	v_lshlrev_b32_e32 v6, 20, v6
	v_lshl_add_u32 v8, v8, 23, 0x3c000000
	v_lshlrev_b32_sdwa v10, v10, v25 dst_sel:DWORD dst_unused:UNUSED_PAD src0_sel:DWORD src1_sel:WORD_1
	v_and_b32_e32 v10, 0x80000000, v10
	v_or3_b32 v6, v6, v10, v8
	v_mov_b32_e32 v23, v7
	v_mov_b32_e32 v22, v6
.LBB247_1305:                           ;   in Loop: Header=BB247_671 Depth=1
	s_or_b32 exec_lo, exec_lo, s12
.LBB247_1306:                           ;   in Loop: Header=BB247_671 Depth=1
	s_or_b32 exec_lo, exec_lo, s11
.LBB247_1307:                           ;   in Loop: Header=BB247_671 Depth=1
	s_or_b32 exec_lo, exec_lo, s9
	s_mov_b32 s9, exec_lo
	v_cmpx_lt_u32_e32 0xffffff, v25
	s_cbranch_execz .LBB247_1315
; %bb.1308:                             ;   in Loop: Header=BB247_671 Depth=1
	v_mov_b32_e32 v8, v7
	v_mov_b32_e32 v21, v9
	v_cmp_ne_u32_sdwa s4, v25, v68 src0_sel:BYTE_3 src1_sel:DWORD
	v_mov_b32_e32 v20, v8
	s_and_saveexec_b32 s11, s4
	s_cbranch_execz .LBB247_1314
; %bb.1309:                             ;   in Loop: Header=BB247_671 Depth=1
	v_mov_b32_e32 v10, v7
	v_mov_b32_e32 v21, v11
	v_bfe_u32 v69, v25, 24, 7
	s_mov_b32 s12, exec_lo
	v_mov_b32_e32 v20, v10
	v_cmpx_ne_u32_e32 0x7f, v69
	s_cbranch_execz .LBB247_1313
; %bb.1310:                             ;   in Loop: Header=BB247_671 Depth=1
	v_mov_b32_e32 v6, 7
	v_lshrrev_b32_e32 v8, 3, v69
	s_mov_b32 s13, exec_lo
	v_and_b32_sdwa v6, v25, v6 dst_sel:DWORD dst_unused:UNUSED_PAD src0_sel:BYTE_3 src1_sel:DWORD
	v_cmpx_gt_u32_e32 8, v69
; %bb.1311:                             ;   in Loop: Header=BB247_671 Depth=1
	v_ffbh_u32_e32 v8, v6
	v_min_u32_e32 v8, 32, v8
	v_subrev_nc_u32_e32 v10, 28, v8
	v_sub_nc_u32_e32 v8, 29, v8
	v_lshlrev_b64 v[20:21], v10, v[6:7]
	v_and_b32_e32 v6, 7, v20
; %bb.1312:                             ;   in Loop: Header=BB247_671 Depth=1
	s_or_b32 exec_lo, exec_lo, s13
	v_mov_b32_e32 v10, 24
	v_lshlrev_b32_e32 v6, 20, v6
	v_lshl_add_u32 v8, v8, 23, 0x3c000000
	v_mov_b32_e32 v20, v7
	v_lshlrev_b32_sdwa v10, v10, v25 dst_sel:DWORD dst_unused:UNUSED_PAD src0_sel:DWORD src1_sel:BYTE_3
	v_and_b32_e32 v10, 0x80000000, v10
	v_or3_b32 v21, v6, v10, v8
.LBB247_1313:                           ;   in Loop: Header=BB247_671 Depth=1
	s_or_b32 exec_lo, exec_lo, s12
.LBB247_1314:                           ;   in Loop: Header=BB247_671 Depth=1
	s_or_b32 exec_lo, exec_lo, s11
.LBB247_1315:                           ;   in Loop: Header=BB247_671 Depth=1
	s_or_b32 exec_lo, exec_lo, s9
	v_or_b32_e32 v6, v19, v17
	v_or_b32_e32 v8, v18, v16
	;; [unrolled: 1-line block ×4, first 2 shown]
	v_mul_f32_e32 v25, v83, v6
	v_mul_f32_e32 v69, v66, v8
	;; [unrolled: 1-line block ×4, first 2 shown]
	s_and_saveexec_b32 s9, vcc_lo
	s_cbranch_execz .LBB247_1317
; %bb.1316:                             ;   in Loop: Header=BB247_671 Depth=1
	v_cmp_lt_i32_e64 s4, v99, v34
	v_cndmask_b32_e64 v69, 0, v69, s4
	v_cmp_lt_i32_e64 s4, v101, v34
	v_cndmask_b32_e64 v25, 0, v25, s4
	;; [unrolled: 2-line block ×4, first 2 shown]
.LBB247_1317:                           ;   in Loop: Header=BB247_671 Depth=1
	s_or_b32 exec_lo, exec_lo, s9
	flat_load_dword v71, v[4:5] offset:384
	v_mov_b32_e32 v16, 0
	v_mov_b32_e32 v4, 0
	v_mov_b32_e32 v17, 0
	v_mov_b32_e32 v5, 0
	s_waitcnt vmcnt(0) lgkmcnt(0)
	v_cmp_ne_u16_sdwa s4, v71, v7 src0_sel:BYTE_0 src1_sel:DWORD
	s_and_saveexec_b32 s9, s4
	s_cbranch_execz .LBB247_1325
; %bb.1318:                             ;   in Loop: Header=BB247_671 Depth=1
	v_bfrev_b32_e32 v4, 1
	v_mov_b32_e32 v5, 0
	v_cmp_ne_u16_sdwa s4, v71, v68 src0_sel:BYTE_0 src1_sel:DWORD
	s_and_saveexec_b32 s11, s4
	s_cbranch_execz .LBB247_1324
; %bb.1319:                             ;   in Loop: Header=BB247_671 Depth=1
	v_mov_b32_e32 v4, 0x7f800001
	v_and_b32_e32 v8, 0x7f, v71
	v_mov_b32_e32 v5, 0
	s_mov_b32 s12, exec_lo
	v_cmpx_ne_u32_e32 0x7f, v8
	s_cbranch_execz .LBB247_1323
; %bb.1320:                             ;   in Loop: Header=BB247_671 Depth=1
	v_and_b32_e32 v6, 7, v71
	v_lshrrev_b32_e32 v4, 3, v8
	s_mov_b32 s13, exec_lo
	v_cmpx_gt_u32_e32 8, v8
; %bb.1321:                             ;   in Loop: Header=BB247_671 Depth=1
	v_ffbh_u32_e32 v4, v6
	v_min_u32_e32 v4, 32, v4
	v_subrev_nc_u32_e32 v5, 28, v4
	v_sub_nc_u32_e32 v4, 29, v4
	v_lshlrev_b64 v[5:6], v5, v[6:7]
	v_and_b32_e32 v6, 7, v5
; %bb.1322:                             ;   in Loop: Header=BB247_671 Depth=1
	s_or_b32 exec_lo, exec_lo, s13
	v_lshlrev_b32_e32 v5, 24, v71
	v_lshlrev_b32_e32 v6, 20, v6
	v_lshl_add_u32 v4, v4, 23, 0x3c000000
	v_and_b32_e32 v5, 0x80000000, v5
	v_or3_b32 v6, v6, v5, v4
	v_mov_b32_e32 v4, v6
	v_mov_b32_e32 v5, v7
.LBB247_1323:                           ;   in Loop: Header=BB247_671 Depth=1
	s_or_b32 exec_lo, exec_lo, s12
.LBB247_1324:                           ;   in Loop: Header=BB247_671 Depth=1
	s_or_b32 exec_lo, exec_lo, s11
.LBB247_1325:                           ;   in Loop: Header=BB247_671 Depth=1
	s_or_b32 exec_lo, exec_lo, s9
	v_cmp_ne_u16_sdwa s4, v71, v7 src0_sel:BYTE_1 src1_sel:DWORD
	s_and_saveexec_b32 s9, s4
	s_cbranch_execz .LBB247_1333
; %bb.1326:                             ;   in Loop: Header=BB247_671 Depth=1
	v_mov_b32_e32 v8, v7
	v_mov_b32_e32 v17, v9
	v_cmp_ne_u16_sdwa s4, v71, v68 src0_sel:BYTE_1 src1_sel:DWORD
	v_mov_b32_e32 v16, v8
	s_and_saveexec_b32 s11, s4
	s_cbranch_execz .LBB247_1332
; %bb.1327:                             ;   in Loop: Header=BB247_671 Depth=1
	v_mov_b32_e32 v6, 0xffff
	v_mov_b32_e32 v10, v7
	;; [unrolled: 1-line block ×3, first 2 shown]
	s_mov_b32 s12, exec_lo
	v_and_b32_sdwa v6, v6, v71 dst_sel:DWORD dst_unused:UNUSED_PAD src0_sel:DWORD src1_sel:BYTE_1
	v_mov_b32_e32 v16, v10
	v_and_b32_e32 v18, 0x7f, v6
	v_cmpx_ne_u32_e32 0x7f, v18
	s_cbranch_execz .LBB247_1331
; %bb.1328:                             ;   in Loop: Header=BB247_671 Depth=1
	v_and_b32_e32 v6, 7, v6
	v_lshrrev_b32_e32 v8, 3, v18
	s_mov_b32 s13, exec_lo
	v_cmpx_gt_u32_e32 8, v18
; %bb.1329:                             ;   in Loop: Header=BB247_671 Depth=1
	v_ffbh_u32_e32 v8, v6
	v_min_u32_e32 v8, 32, v8
	v_subrev_nc_u32_e32 v10, 28, v8
	v_sub_nc_u32_e32 v8, 29, v8
	v_lshlrev_b64 v[16:17], v10, v[6:7]
	v_and_b32_e32 v6, 7, v16
; %bb.1330:                             ;   in Loop: Header=BB247_671 Depth=1
	s_or_b32 exec_lo, exec_lo, s13
	v_lshlrev_b32_e32 v10, 16, v71
	v_lshlrev_b32_e32 v6, 20, v6
	v_lshl_add_u32 v8, v8, 23, 0x3c000000
	v_mov_b32_e32 v16, v7
	v_and_b32_e32 v10, 0x80000000, v10
	v_or3_b32 v17, v6, v10, v8
.LBB247_1331:                           ;   in Loop: Header=BB247_671 Depth=1
	s_or_b32 exec_lo, exec_lo, s12
.LBB247_1332:                           ;   in Loop: Header=BB247_671 Depth=1
	s_or_b32 exec_lo, exec_lo, s11
.LBB247_1333:                           ;   in Loop: Header=BB247_671 Depth=1
	s_or_b32 exec_lo, exec_lo, s9
	v_mov_b32_e32 v18, 0
	v_mov_b32_e32 v20, 0
	v_and_b32_sdwa v6, v71, v70 dst_sel:DWORD dst_unused:UNUSED_PAD src0_sel:WORD_1 src1_sel:DWORD
	v_mov_b32_e32 v19, 0
	v_mov_b32_e32 v21, 0
	s_mov_b32 s9, exec_lo
	v_cmpx_ne_u16_e32 0, v6
	s_cbranch_execz .LBB247_1341
; %bb.1334:                             ;   in Loop: Header=BB247_671 Depth=1
	v_bfrev_b32_e32 v20, 1
	v_mov_b32_e32 v21, 0
	s_mov_b32 s11, exec_lo
	v_cmpx_ne_u16_e32 0x80, v6
	s_cbranch_execz .LBB247_1340
; %bb.1335:                             ;   in Loop: Header=BB247_671 Depth=1
	v_mov_b32_e32 v20, 0x7f800001
	v_bfe_u32 v10, v71, 16, 7
	v_mov_b32_e32 v21, 0
	s_mov_b32 s12, exec_lo
	v_cmpx_ne_u32_e32 0x7f, v10
	s_cbranch_execz .LBB247_1339
; %bb.1336:                             ;   in Loop: Header=BB247_671 Depth=1
	v_mov_b32_e32 v6, 7
	v_lshrrev_b32_e32 v8, 3, v10
	s_mov_b32 s13, exec_lo
	v_and_b32_sdwa v6, v71, v6 dst_sel:DWORD dst_unused:UNUSED_PAD src0_sel:WORD_1 src1_sel:DWORD
	v_cmpx_gt_u32_e32 8, v10
; %bb.1337:                             ;   in Loop: Header=BB247_671 Depth=1
	v_ffbh_u32_e32 v8, v6
	v_min_u32_e32 v8, 32, v8
	v_subrev_nc_u32_e32 v10, 28, v8
	v_sub_nc_u32_e32 v8, 29, v8
	v_lshlrev_b64 v[20:21], v10, v[6:7]
	v_and_b32_e32 v6, 7, v20
; %bb.1338:                             ;   in Loop: Header=BB247_671 Depth=1
	s_or_b32 exec_lo, exec_lo, s13
	v_mov_b32_e32 v10, 24
	v_lshlrev_b32_e32 v6, 20, v6
	v_lshl_add_u32 v8, v8, 23, 0x3c000000
	v_lshlrev_b32_sdwa v10, v10, v71 dst_sel:DWORD dst_unused:UNUSED_PAD src0_sel:DWORD src1_sel:WORD_1
	v_and_b32_e32 v10, 0x80000000, v10
	v_or3_b32 v6, v6, v10, v8
	v_mov_b32_e32 v21, v7
	v_mov_b32_e32 v20, v6
.LBB247_1339:                           ;   in Loop: Header=BB247_671 Depth=1
	s_or_b32 exec_lo, exec_lo, s12
.LBB247_1340:                           ;   in Loop: Header=BB247_671 Depth=1
	s_or_b32 exec_lo, exec_lo, s11
.LBB247_1341:                           ;   in Loop: Header=BB247_671 Depth=1
	s_or_b32 exec_lo, exec_lo, s9
	s_mov_b32 s9, exec_lo
	v_cmpx_lt_u32_e32 0xffffff, v71
	s_cbranch_execz .LBB247_1349
; %bb.1342:                             ;   in Loop: Header=BB247_671 Depth=1
	v_mov_b32_e32 v8, v7
	v_mov_b32_e32 v19, v9
	v_cmp_ne_u32_sdwa s4, v71, v68 src0_sel:BYTE_3 src1_sel:DWORD
	v_mov_b32_e32 v18, v8
	s_and_saveexec_b32 s11, s4
	s_cbranch_execz .LBB247_1348
; %bb.1343:                             ;   in Loop: Header=BB247_671 Depth=1
	v_mov_b32_e32 v10, v7
	v_mov_b32_e32 v19, v11
	v_bfe_u32 v80, v71, 24, 7
	s_mov_b32 s12, exec_lo
	v_mov_b32_e32 v18, v10
	v_cmpx_ne_u32_e32 0x7f, v80
	s_cbranch_execz .LBB247_1347
; %bb.1344:                             ;   in Loop: Header=BB247_671 Depth=1
	v_mov_b32_e32 v6, 7
	v_lshrrev_b32_e32 v8, 3, v80
	s_mov_b32 s13, exec_lo
	v_and_b32_sdwa v6, v71, v6 dst_sel:DWORD dst_unused:UNUSED_PAD src0_sel:BYTE_3 src1_sel:DWORD
	v_cmpx_gt_u32_e32 8, v80
; %bb.1345:                             ;   in Loop: Header=BB247_671 Depth=1
	v_ffbh_u32_e32 v8, v6
	v_min_u32_e32 v8, 32, v8
	v_subrev_nc_u32_e32 v10, 28, v8
	v_sub_nc_u32_e32 v8, 29, v8
	v_lshlrev_b64 v[18:19], v10, v[6:7]
	v_and_b32_e32 v6, 7, v18
; %bb.1346:                             ;   in Loop: Header=BB247_671 Depth=1
	s_or_b32 exec_lo, exec_lo, s13
	v_mov_b32_e32 v10, 24
	v_lshlrev_b32_e32 v6, 20, v6
	v_lshl_add_u32 v8, v8, 23, 0x3c000000
	v_mov_b32_e32 v18, v7
	v_lshlrev_b32_sdwa v10, v10, v71 dst_sel:DWORD dst_unused:UNUSED_PAD src0_sel:DWORD src1_sel:BYTE_3
	v_and_b32_e32 v10, 0x80000000, v10
	v_or3_b32 v19, v6, v10, v8
.LBB247_1347:                           ;   in Loop: Header=BB247_671 Depth=1
	s_or_b32 exec_lo, exec_lo, s12
.LBB247_1348:                           ;   in Loop: Header=BB247_671 Depth=1
	s_or_b32 exec_lo, exec_lo, s11
.LBB247_1349:                           ;   in Loop: Header=BB247_671 Depth=1
	s_or_b32 exec_lo, exec_lo, s9
	v_or_b32_e32 v5, v17, v5
	v_or_b32_e32 v4, v16, v4
	;; [unrolled: 1-line block ×4, first 2 shown]
	v_mul_f32_e32 v8, v83, v5
	v_mul_f32_e32 v6, v66, v4
	;; [unrolled: 1-line block ×4, first 2 shown]
	s_and_saveexec_b32 s4, vcc_lo
	s_cbranch_execz .LBB247_670
; %bb.1350:                             ;   in Loop: Header=BB247_671 Depth=1
	v_cmp_lt_i32_e32 vcc_lo, v99, v34
	v_cndmask_b32_e32 v6, 0, v6, vcc_lo
	v_cmp_lt_i32_e32 vcc_lo, v101, v34
	v_cndmask_b32_e32 v8, 0, v8, vcc_lo
	;; [unrolled: 2-line block ×4, first 2 shown]
	s_branch .LBB247_670
.LBB247_1351:
	s_or_b32 exec_lo, exec_lo, s8
	s_clause 0x3
	buffer_load_dword v66, off, s[0:3], s32 offset:216
	buffer_load_dword v67, off, s[0:3], s32 offset:224
	;; [unrolled: 1-line block ×4, first 2 shown]
	v_mov_b32_e32 v0, s16
	v_mov_b32_e32 v1, s17
.LBB247_1352:
	s_or_b32 exec_lo, exec_lo, s7
	s_waitcnt vmcnt(0) lgkmcnt(0)
	s_waitcnt_vscnt null, 0x0
	s_barrier
	buffer_gl0_inv
	buffer_load_dword v21, off, s[0:3], s32 offset:768 ; 4-byte Folded Reload
	v_lshlrev_b64 v[0:1], 2, v[0:1]
	s_getpc_b64 s[8:9]
	s_add_u32 s8, s8, llvm.amdgcn.dynlds.offset.table@rel32@lo+4
	s_addc_u32 s9, s9, llvm.amdgcn.dynlds.offset.table@rel32@hi+12
	ds_bpermute_b32 v2, v19, v55
	ds_bpermute_b32 v3, v19, v54
	;; [unrolled: 1-line block ×4, first 2 shown]
	v_add_co_u32 v0, vcc_lo, s8, v0
	v_add_co_ci_u32_e64 v1, null, s9, v1, vcc_lo
	ds_bpermute_b32 v6, v19, v51
	ds_bpermute_b32 v7, v19, v50
	;; [unrolled: 1-line block ×3, first 2 shown]
	global_load_dword v20, v[0:1], off
	ds_bpermute_b32 v0, v19, v65
	ds_bpermute_b32 v1, v19, v64
	;; [unrolled: 1-line block ×13, first 2 shown]
	s_waitcnt lgkmcnt(19)
	v_add_f32_e32 v2, v55, v2
	s_waitcnt lgkmcnt(18)
	v_add_f32_e32 v3, v54, v3
	;; [unrolled: 2-line block ×20, first 2 shown]
	ds_bpermute_b32 v25, v67, v1
	ds_bpermute_b32 v26, v67, v2
	;; [unrolled: 1-line block ×19, first 2 shown]
	s_mov_b32 s4, exec_lo
	s_waitcnt lgkmcnt(18)
	v_add_f32_e32 v1, v1, v25
	s_waitcnt lgkmcnt(17)
	v_add_f32_e32 v2, v2, v26
	;; [unrolled: 2-line block ×19, first 2 shown]
	ds_bpermute_b32 v25, v66, v1
	ds_bpermute_b32 v26, v66, v2
	;; [unrolled: 1-line block ×19, first 2 shown]
	s_waitcnt lgkmcnt(18)
	v_add_f32_e32 v1, v1, v25
	s_waitcnt lgkmcnt(17)
	v_add_f32_e32 v2, v2, v26
	;; [unrolled: 2-line block ×19, first 2 shown]
	s_waitcnt vmcnt(1)
	v_lshrrev_b32_e32 v22, 3, v21
	buffer_load_dword v21, off, s[0:3], s32 offset:756 ; 4-byte Folded Reload
	s_waitcnt vmcnt(0)
	v_mul_u32_u24_e32 v23, 0x140, v21
	buffer_load_dword v21, off, s[0:3], s32 offset:752 ; 4-byte Folded Reload
	s_waitcnt vmcnt(0)
	v_and_b32_e32 v24, 0x3c7, v21
	ds_bpermute_b32 v21, v67, v0
	s_waitcnt lgkmcnt(0)
	v_add_f32_e32 v0, v0, v21
	ds_bpermute_b32 v21, v66, v0
	s_waitcnt lgkmcnt(0)
	v_add_f32_e32 v0, v0, v21
	v_lshl_add_u32 v21, v22, 2, v20
	v_cmpx_eq_u32_e32 64, v24
	s_cbranch_execz .LBB247_1354
; %bb.1353:
	v_add_nc_u32_e32 v24, v21, v23
	v_add_nc_u32_e32 v25, 0xfffffd80, v24
	;; [unrolled: 1-line block ×6, first 2 shown]
	ds_write_b32 v25, v0
	ds_write_b32 v26, v1
	ds_write_b32 v27, v2
	ds_write_b32 v28, v3
	ds_write_b32 v29, v4
	v_add_nc_u32_e32 v25, 0xfffffdd0, v24
	v_add_nc_u32_e32 v26, 0xfffffde0, v24
	v_add_nc_u32_e32 v27, 0xfffffdf0, v24
	v_add_nc_u32_e32 v28, 0xfffffe00, v24
	v_add_nc_u32_e32 v29, 0xfffffe10, v24
	ds_write_b32 v25, v5
	ds_write_b32 v26, v6
	ds_write_b32 v27, v7
	ds_write_b32 v28, v8
	ds_write_b32 v29, v9
	v_add_nc_u32_e32 v25, 0xfffffe20, v24
	v_add_nc_u32_e32 v26, 0xfffffe30, v24
	v_add_nc_u32_e32 v27, 0xfffffe40, v24
	v_add_nc_u32_e32 v28, 0xfffffe50, v24
	v_add_nc_u32_e32 v29, 0xfffffe60, v24
	;; [unrolled: 10-line block ×3, first 2 shown]
	ds_write_b32 v25, v15
	ds_write_b32 v26, v16
	;; [unrolled: 1-line block ×5, first 2 shown]
.LBB247_1354:
	s_or_b32 exec_lo, exec_lo, s4
	v_lshlrev_b32_e32 v22, 2, v22
	s_mov_b32 s7, exec_lo
	v_cmp_eq_u32_e32 vcc_lo, 0, v68
	v_add3_u32 v20, v20, v23, v22
	buffer_load_dword v23, off, s[0:3], s32 offset:752 ; 4-byte Folded Reload
	s_waitcnt vmcnt(0) lgkmcnt(0)
	s_barrier
	buffer_gl0_inv
	v_cmpx_gt_u32_e32 64, v23
	s_cbranch_execz .LBB247_1377
; %bb.1355:
	s_and_saveexec_b32 s4, vcc_lo
	s_cbranch_execnz .LBB247_1405
; %bb.1356:
	s_or_b32 exec_lo, exec_lo, s4
	s_and_saveexec_b32 s4, vcc_lo
	s_cbranch_execnz .LBB247_1406
.LBB247_1357:
	s_or_b32 exec_lo, exec_lo, s4
	s_and_saveexec_b32 s4, vcc_lo
	s_cbranch_execnz .LBB247_1407
.LBB247_1358:
	s_or_b32 exec_lo, exec_lo, s4
	s_and_saveexec_b32 s4, vcc_lo
	s_cbranch_execnz .LBB247_1408
.LBB247_1359:
	s_or_b32 exec_lo, exec_lo, s4
	s_and_saveexec_b32 s4, vcc_lo
	s_cbranch_execnz .LBB247_1409
.LBB247_1360:
	s_or_b32 exec_lo, exec_lo, s4
	s_and_saveexec_b32 s4, vcc_lo
	s_cbranch_execnz .LBB247_1410
.LBB247_1361:
	s_or_b32 exec_lo, exec_lo, s4
	s_and_saveexec_b32 s4, vcc_lo
	s_cbranch_execnz .LBB247_1411
.LBB247_1362:
	s_or_b32 exec_lo, exec_lo, s4
	s_and_saveexec_b32 s4, vcc_lo
	s_cbranch_execnz .LBB247_1412
.LBB247_1363:
	s_or_b32 exec_lo, exec_lo, s4
	s_and_saveexec_b32 s4, vcc_lo
	s_cbranch_execnz .LBB247_1413
.LBB247_1364:
	s_or_b32 exec_lo, exec_lo, s4
	s_and_saveexec_b32 s4, vcc_lo
	s_cbranch_execnz .LBB247_1414
.LBB247_1365:
	s_or_b32 exec_lo, exec_lo, s4
	s_and_saveexec_b32 s4, vcc_lo
	s_cbranch_execnz .LBB247_1415
.LBB247_1366:
	s_or_b32 exec_lo, exec_lo, s4
	s_and_saveexec_b32 s4, vcc_lo
	s_cbranch_execnz .LBB247_1416
.LBB247_1367:
	s_or_b32 exec_lo, exec_lo, s4
	s_and_saveexec_b32 s4, vcc_lo
	s_cbranch_execnz .LBB247_1417
.LBB247_1368:
	s_or_b32 exec_lo, exec_lo, s4
	s_and_saveexec_b32 s4, vcc_lo
	s_cbranch_execnz .LBB247_1418
.LBB247_1369:
	s_or_b32 exec_lo, exec_lo, s4
	s_and_saveexec_b32 s4, vcc_lo
	s_cbranch_execnz .LBB247_1419
.LBB247_1370:
	s_or_b32 exec_lo, exec_lo, s4
	s_and_saveexec_b32 s4, vcc_lo
	s_cbranch_execnz .LBB247_1420
.LBB247_1371:
	s_or_b32 exec_lo, exec_lo, s4
	s_and_saveexec_b32 s4, vcc_lo
	s_cbranch_execnz .LBB247_1421
.LBB247_1372:
	s_or_b32 exec_lo, exec_lo, s4
	s_and_saveexec_b32 s4, vcc_lo
	s_cbranch_execnz .LBB247_1422
.LBB247_1373:
	s_or_b32 exec_lo, exec_lo, s4
	s_and_saveexec_b32 s4, vcc_lo
	s_cbranch_execnz .LBB247_1423
.LBB247_1374:
	s_or_b32 exec_lo, exec_lo, s4
	s_and_saveexec_b32 s4, vcc_lo
	s_cbranch_execz .LBB247_1376
.LBB247_1375:
	ds_read_b32 v22, v20 offset:304
	s_waitcnt lgkmcnt(0)
	v_add_f32_e32 v19, v22, v19
.LBB247_1376:
	s_or_b32 exec_lo, exec_lo, s4
.LBB247_1377:
	s_or_b32 exec_lo, exec_lo, s7
	v_and_b32_e32 v22, 0x3e7, v23
	s_mov_b32 s7, exec_lo
	s_barrier
	buffer_gl0_inv
	v_cmpx_eq_u32_e32 32, v22
	s_cbranch_execz .LBB247_1379
; %bb.1378:
	ds_write2_b32 v21, v0, v1 offset1:4
	ds_write2_b32 v21, v2, v3 offset0:8 offset1:12
	ds_write2_b32 v21, v4, v5 offset0:16 offset1:20
	;; [unrolled: 1-line block ×9, first 2 shown]
.LBB247_1379:
	s_or_b32 exec_lo, exec_lo, s7
	s_mov_b32 s7, exec_lo
	s_waitcnt lgkmcnt(0)
	s_barrier
	buffer_gl0_inv
	v_cmpx_gt_u32_e32 32, v23
	s_cbranch_execz .LBB247_1402
; %bb.1380:
	s_and_saveexec_b32 s4, vcc_lo
	s_cbranch_execnz .LBB247_1424
; %bb.1381:
	s_or_b32 exec_lo, exec_lo, s4
	s_and_saveexec_b32 s4, vcc_lo
	s_cbranch_execnz .LBB247_1425
.LBB247_1382:
	s_or_b32 exec_lo, exec_lo, s4
	s_and_saveexec_b32 s4, vcc_lo
	s_cbranch_execnz .LBB247_1426
.LBB247_1383:
	s_or_b32 exec_lo, exec_lo, s4
	s_and_saveexec_b32 s4, vcc_lo
	s_cbranch_execnz .LBB247_1427
.LBB247_1384:
	s_or_b32 exec_lo, exec_lo, s4
	s_and_saveexec_b32 s4, vcc_lo
	s_cbranch_execnz .LBB247_1428
.LBB247_1385:
	s_or_b32 exec_lo, exec_lo, s4
	s_and_saveexec_b32 s4, vcc_lo
	s_cbranch_execnz .LBB247_1429
.LBB247_1386:
	s_or_b32 exec_lo, exec_lo, s4
	s_and_saveexec_b32 s4, vcc_lo
	s_cbranch_execnz .LBB247_1430
.LBB247_1387:
	s_or_b32 exec_lo, exec_lo, s4
	s_and_saveexec_b32 s4, vcc_lo
	s_cbranch_execnz .LBB247_1431
.LBB247_1388:
	s_or_b32 exec_lo, exec_lo, s4
	s_and_saveexec_b32 s4, vcc_lo
	s_cbranch_execnz .LBB247_1432
.LBB247_1389:
	s_or_b32 exec_lo, exec_lo, s4
	s_and_saveexec_b32 s4, vcc_lo
	s_cbranch_execnz .LBB247_1433
.LBB247_1390:
	s_or_b32 exec_lo, exec_lo, s4
	s_and_saveexec_b32 s4, vcc_lo
	s_cbranch_execnz .LBB247_1434
.LBB247_1391:
	s_or_b32 exec_lo, exec_lo, s4
	s_and_saveexec_b32 s4, vcc_lo
	s_cbranch_execnz .LBB247_1435
.LBB247_1392:
	s_or_b32 exec_lo, exec_lo, s4
	s_and_saveexec_b32 s4, vcc_lo
	s_cbranch_execnz .LBB247_1436
.LBB247_1393:
	s_or_b32 exec_lo, exec_lo, s4
	s_and_saveexec_b32 s4, vcc_lo
	s_cbranch_execnz .LBB247_1437
.LBB247_1394:
	s_or_b32 exec_lo, exec_lo, s4
	s_and_saveexec_b32 s4, vcc_lo
	s_cbranch_execnz .LBB247_1438
.LBB247_1395:
	s_or_b32 exec_lo, exec_lo, s4
	s_and_saveexec_b32 s4, vcc_lo
	s_cbranch_execnz .LBB247_1439
.LBB247_1396:
	s_or_b32 exec_lo, exec_lo, s4
	s_and_saveexec_b32 s4, vcc_lo
	s_cbranch_execnz .LBB247_1440
.LBB247_1397:
	s_or_b32 exec_lo, exec_lo, s4
	s_and_saveexec_b32 s4, vcc_lo
	s_cbranch_execnz .LBB247_1441
.LBB247_1398:
	s_or_b32 exec_lo, exec_lo, s4
	s_and_saveexec_b32 s4, vcc_lo
	s_cbranch_execnz .LBB247_1442
.LBB247_1399:
	s_or_b32 exec_lo, exec_lo, s4
	s_and_saveexec_b32 s4, vcc_lo
	s_cbranch_execz .LBB247_1401
.LBB247_1400:
	ds_read_b32 v20, v20 offset:304
	s_waitcnt lgkmcnt(0)
	v_add_f32_e32 v19, v20, v19
.LBB247_1401:
	s_or_b32 exec_lo, exec_lo, s4
.LBB247_1402:
	s_or_b32 exec_lo, exec_lo, s7
	v_cmp_eq_u32_e32 vcc_lo, 0, v22
	s_barrier
	buffer_gl0_inv
	s_and_b32 exec_lo, exec_lo, vcc_lo
	s_cbranch_execz .LBB247_1404
; %bb.1403:
	s_clause 0x1
	buffer_load_dword v20, off, s[0:3], s32 offset:764
	buffer_load_dword v21, off, s[0:3], s32 offset:760
	s_mulk_i32 s6, 0x50
	s_mul_i32 s4, s10, s5
	s_ashr_i32 s7, s6, 31
	s_ashr_i32 s5, s4, 31
	s_lshl_b64 s[6:7], s[6:7], 2
	s_lshl_b64 s[4:5], s[4:5], 2
	v_lshrrev_b32_e32 v22, 1, v23
	s_waitcnt vmcnt(1)
	v_add_co_u32 v20, vcc_lo, v20, s6
	s_waitcnt vmcnt(0)
	v_add_co_ci_u32_e64 v21, null, s7, v21, vcc_lo
	s_mul_i32 s6, s14, 0x50
	v_add_co_u32 v20, vcc_lo, v20, s4
	s_ashr_i32 s7, s6, 31
	v_add_co_ci_u32_e64 v21, null, s5, v21, vcc_lo
	s_lshl_b64 s[4:5], s[6:7], 2
	v_add_co_u32 v20, vcc_lo, v20, s4
	v_add_co_ci_u32_e64 v21, null, s5, v21, vcc_lo
	v_add_co_u32 v20, vcc_lo, v20, v22
	v_add_co_ci_u32_e64 v21, null, 0, v21, vcc_lo
	flat_store_dword v[20:21], v0
	flat_store_dword v[20:21], v1 offset:16
	flat_store_dword v[20:21], v2 offset:32
	;; [unrolled: 1-line block ×19, first 2 shown]
.LBB247_1404:
	s_or_b32 exec_lo, exec_lo, s19
	s_clause 0x2f
	buffer_load_dword v127, off, s[0:3], s32
	buffer_load_dword v126, off, s[0:3], s32 offset:4
	buffer_load_dword v125, off, s[0:3], s32 offset:8
	;; [unrolled: 1-line block ×47, first 2 shown]
	s_waitcnt vmcnt(0) lgkmcnt(0)
	s_setpc_b64 s[30:31]
.LBB247_1405:
	ds_read_b32 v22, v20
	s_waitcnt lgkmcnt(0)
	v_add_f32_e32 v0, v22, v0
	s_or_b32 exec_lo, exec_lo, s4
	s_and_saveexec_b32 s4, vcc_lo
	s_cbranch_execz .LBB247_1357
.LBB247_1406:
	ds_read_b32 v22, v20 offset:16
	s_waitcnt lgkmcnt(0)
	v_add_f32_e32 v1, v22, v1
	s_or_b32 exec_lo, exec_lo, s4
	s_and_saveexec_b32 s4, vcc_lo
	s_cbranch_execz .LBB247_1358
.LBB247_1407:
	ds_read_b32 v22, v20 offset:32
	s_waitcnt lgkmcnt(0)
	v_add_f32_e32 v2, v22, v2
	s_or_b32 exec_lo, exec_lo, s4
	s_and_saveexec_b32 s4, vcc_lo
	s_cbranch_execz .LBB247_1359
.LBB247_1408:
	ds_read_b32 v22, v20 offset:48
	s_waitcnt lgkmcnt(0)
	v_add_f32_e32 v3, v22, v3
	s_or_b32 exec_lo, exec_lo, s4
	s_and_saveexec_b32 s4, vcc_lo
	s_cbranch_execz .LBB247_1360
.LBB247_1409:
	ds_read_b32 v22, v20 offset:64
	s_waitcnt lgkmcnt(0)
	v_add_f32_e32 v4, v22, v4
	s_or_b32 exec_lo, exec_lo, s4
	s_and_saveexec_b32 s4, vcc_lo
	s_cbranch_execz .LBB247_1361
.LBB247_1410:
	ds_read_b32 v22, v20 offset:80
	s_waitcnt lgkmcnt(0)
	v_add_f32_e32 v5, v22, v5
	s_or_b32 exec_lo, exec_lo, s4
	s_and_saveexec_b32 s4, vcc_lo
	s_cbranch_execz .LBB247_1362
.LBB247_1411:
	ds_read_b32 v22, v20 offset:96
	s_waitcnt lgkmcnt(0)
	v_add_f32_e32 v6, v22, v6
	s_or_b32 exec_lo, exec_lo, s4
	s_and_saveexec_b32 s4, vcc_lo
	s_cbranch_execz .LBB247_1363
.LBB247_1412:
	ds_read_b32 v22, v20 offset:112
	s_waitcnt lgkmcnt(0)
	v_add_f32_e32 v7, v22, v7
	s_or_b32 exec_lo, exec_lo, s4
	s_and_saveexec_b32 s4, vcc_lo
	s_cbranch_execz .LBB247_1364
.LBB247_1413:
	ds_read_b32 v22, v20 offset:128
	s_waitcnt lgkmcnt(0)
	v_add_f32_e32 v8, v22, v8
	s_or_b32 exec_lo, exec_lo, s4
	s_and_saveexec_b32 s4, vcc_lo
	s_cbranch_execz .LBB247_1365
.LBB247_1414:
	ds_read_b32 v22, v20 offset:144
	s_waitcnt lgkmcnt(0)
	v_add_f32_e32 v9, v22, v9
	s_or_b32 exec_lo, exec_lo, s4
	s_and_saveexec_b32 s4, vcc_lo
	s_cbranch_execz .LBB247_1366
.LBB247_1415:
	ds_read_b32 v22, v20 offset:160
	s_waitcnt lgkmcnt(0)
	v_add_f32_e32 v10, v22, v10
	s_or_b32 exec_lo, exec_lo, s4
	s_and_saveexec_b32 s4, vcc_lo
	s_cbranch_execz .LBB247_1367
.LBB247_1416:
	ds_read_b32 v22, v20 offset:176
	s_waitcnt lgkmcnt(0)
	v_add_f32_e32 v11, v22, v11
	s_or_b32 exec_lo, exec_lo, s4
	s_and_saveexec_b32 s4, vcc_lo
	s_cbranch_execz .LBB247_1368
.LBB247_1417:
	ds_read_b32 v22, v20 offset:192
	s_waitcnt lgkmcnt(0)
	v_add_f32_e32 v12, v22, v12
	s_or_b32 exec_lo, exec_lo, s4
	s_and_saveexec_b32 s4, vcc_lo
	s_cbranch_execz .LBB247_1369
.LBB247_1418:
	ds_read_b32 v22, v20 offset:208
	s_waitcnt lgkmcnt(0)
	v_add_f32_e32 v13, v22, v13
	s_or_b32 exec_lo, exec_lo, s4
	s_and_saveexec_b32 s4, vcc_lo
	s_cbranch_execz .LBB247_1370
.LBB247_1419:
	ds_read_b32 v22, v20 offset:224
	s_waitcnt lgkmcnt(0)
	v_add_f32_e32 v14, v22, v14
	s_or_b32 exec_lo, exec_lo, s4
	s_and_saveexec_b32 s4, vcc_lo
	s_cbranch_execz .LBB247_1371
.LBB247_1420:
	ds_read_b32 v22, v20 offset:240
	s_waitcnt lgkmcnt(0)
	v_add_f32_e32 v15, v22, v15
	s_or_b32 exec_lo, exec_lo, s4
	s_and_saveexec_b32 s4, vcc_lo
	s_cbranch_execz .LBB247_1372
.LBB247_1421:
	ds_read_b32 v22, v20 offset:256
	s_waitcnt lgkmcnt(0)
	v_add_f32_e32 v16, v22, v16
	s_or_b32 exec_lo, exec_lo, s4
	s_and_saveexec_b32 s4, vcc_lo
	s_cbranch_execz .LBB247_1373
.LBB247_1422:
	ds_read_b32 v22, v20 offset:272
	s_waitcnt lgkmcnt(0)
	v_add_f32_e32 v17, v22, v17
	s_or_b32 exec_lo, exec_lo, s4
	s_and_saveexec_b32 s4, vcc_lo
	s_cbranch_execz .LBB247_1374
.LBB247_1423:
	ds_read_b32 v22, v20 offset:288
	s_waitcnt lgkmcnt(0)
	v_add_f32_e32 v18, v22, v18
	s_or_b32 exec_lo, exec_lo, s4
	s_and_saveexec_b32 s4, vcc_lo
	s_cbranch_execnz .LBB247_1375
	s_branch .LBB247_1376
.LBB247_1424:
	ds_read_b32 v21, v20
	s_waitcnt lgkmcnt(0)
	v_add_f32_e32 v0, v21, v0
	s_or_b32 exec_lo, exec_lo, s4
	s_and_saveexec_b32 s4, vcc_lo
	s_cbranch_execz .LBB247_1382
.LBB247_1425:
	ds_read_b32 v21, v20 offset:16
	s_waitcnt lgkmcnt(0)
	v_add_f32_e32 v1, v21, v1
	s_or_b32 exec_lo, exec_lo, s4
	s_and_saveexec_b32 s4, vcc_lo
	s_cbranch_execz .LBB247_1383
.LBB247_1426:
	ds_read_b32 v21, v20 offset:32
	s_waitcnt lgkmcnt(0)
	v_add_f32_e32 v2, v21, v2
	s_or_b32 exec_lo, exec_lo, s4
	s_and_saveexec_b32 s4, vcc_lo
	s_cbranch_execz .LBB247_1384
.LBB247_1427:
	ds_read_b32 v21, v20 offset:48
	s_waitcnt lgkmcnt(0)
	v_add_f32_e32 v3, v21, v3
	s_or_b32 exec_lo, exec_lo, s4
	s_and_saveexec_b32 s4, vcc_lo
	s_cbranch_execz .LBB247_1385
.LBB247_1428:
	ds_read_b32 v21, v20 offset:64
	s_waitcnt lgkmcnt(0)
	v_add_f32_e32 v4, v21, v4
	s_or_b32 exec_lo, exec_lo, s4
	s_and_saveexec_b32 s4, vcc_lo
	s_cbranch_execz .LBB247_1386
.LBB247_1429:
	ds_read_b32 v21, v20 offset:80
	s_waitcnt lgkmcnt(0)
	v_add_f32_e32 v5, v21, v5
	s_or_b32 exec_lo, exec_lo, s4
	s_and_saveexec_b32 s4, vcc_lo
	s_cbranch_execz .LBB247_1387
.LBB247_1430:
	ds_read_b32 v21, v20 offset:96
	s_waitcnt lgkmcnt(0)
	v_add_f32_e32 v6, v21, v6
	s_or_b32 exec_lo, exec_lo, s4
	s_and_saveexec_b32 s4, vcc_lo
	s_cbranch_execz .LBB247_1388
.LBB247_1431:
	ds_read_b32 v21, v20 offset:112
	s_waitcnt lgkmcnt(0)
	v_add_f32_e32 v7, v21, v7
	s_or_b32 exec_lo, exec_lo, s4
	s_and_saveexec_b32 s4, vcc_lo
	s_cbranch_execz .LBB247_1389
.LBB247_1432:
	ds_read_b32 v21, v20 offset:128
	s_waitcnt lgkmcnt(0)
	v_add_f32_e32 v8, v21, v8
	s_or_b32 exec_lo, exec_lo, s4
	s_and_saveexec_b32 s4, vcc_lo
	s_cbranch_execz .LBB247_1390
.LBB247_1433:
	ds_read_b32 v21, v20 offset:144
	s_waitcnt lgkmcnt(0)
	v_add_f32_e32 v9, v21, v9
	s_or_b32 exec_lo, exec_lo, s4
	s_and_saveexec_b32 s4, vcc_lo
	s_cbranch_execz .LBB247_1391
.LBB247_1434:
	ds_read_b32 v21, v20 offset:160
	s_waitcnt lgkmcnt(0)
	v_add_f32_e32 v10, v21, v10
	s_or_b32 exec_lo, exec_lo, s4
	s_and_saveexec_b32 s4, vcc_lo
	s_cbranch_execz .LBB247_1392
.LBB247_1435:
	ds_read_b32 v21, v20 offset:176
	s_waitcnt lgkmcnt(0)
	v_add_f32_e32 v11, v21, v11
	s_or_b32 exec_lo, exec_lo, s4
	s_and_saveexec_b32 s4, vcc_lo
	s_cbranch_execz .LBB247_1393
.LBB247_1436:
	ds_read_b32 v21, v20 offset:192
	s_waitcnt lgkmcnt(0)
	v_add_f32_e32 v12, v21, v12
	s_or_b32 exec_lo, exec_lo, s4
	s_and_saveexec_b32 s4, vcc_lo
	s_cbranch_execz .LBB247_1394
.LBB247_1437:
	ds_read_b32 v21, v20 offset:208
	s_waitcnt lgkmcnt(0)
	v_add_f32_e32 v13, v21, v13
	s_or_b32 exec_lo, exec_lo, s4
	s_and_saveexec_b32 s4, vcc_lo
	s_cbranch_execz .LBB247_1395
.LBB247_1438:
	ds_read_b32 v21, v20 offset:224
	s_waitcnt lgkmcnt(0)
	v_add_f32_e32 v14, v21, v14
	s_or_b32 exec_lo, exec_lo, s4
	s_and_saveexec_b32 s4, vcc_lo
	s_cbranch_execz .LBB247_1396
.LBB247_1439:
	ds_read_b32 v21, v20 offset:240
	s_waitcnt lgkmcnt(0)
	v_add_f32_e32 v15, v21, v15
	s_or_b32 exec_lo, exec_lo, s4
	s_and_saveexec_b32 s4, vcc_lo
	s_cbranch_execz .LBB247_1397
.LBB247_1440:
	ds_read_b32 v21, v20 offset:256
	s_waitcnt lgkmcnt(0)
	v_add_f32_e32 v16, v21, v16
	s_or_b32 exec_lo, exec_lo, s4
	s_and_saveexec_b32 s4, vcc_lo
	s_cbranch_execz .LBB247_1398
.LBB247_1441:
	ds_read_b32 v21, v20 offset:272
	s_waitcnt lgkmcnt(0)
	v_add_f32_e32 v17, v21, v17
	s_or_b32 exec_lo, exec_lo, s4
	s_and_saveexec_b32 s4, vcc_lo
	s_cbranch_execz .LBB247_1399
.LBB247_1442:
	ds_read_b32 v21, v20 offset:288
	s_waitcnt lgkmcnt(0)
	v_add_f32_e32 v18, v21, v18
	s_or_b32 exec_lo, exec_lo, s4
	s_and_saveexec_b32 s4, vcc_lo
	s_cbranch_execnz .LBB247_1400
	s_branch .LBB247_1401
.Lfunc_end247:
	.size	_ZN4vllm22paged_attention_kernelIfhLi80ELi32ELi128ELNS_18Fp8KVCacheDataTypeE1ELb0ELi512EEEvPfS2_PT_PKS3_PKT0_S9_ifPKiSB_iPKfiiiSD_SD_iiiii, .Lfunc_end247-_ZN4vllm22paged_attention_kernelIfhLi80ELi32ELi128ELNS_18Fp8KVCacheDataTypeE1ELb0ELi512EEEvPfS2_PT_PKS3_PKT0_S9_ifPKiSB_iPKfiiiSD_SD_iiiii
                                        ; -- End function
	.set .L_ZN4vllm22paged_attention_kernelIfhLi80ELi32ELi128ELNS_18Fp8KVCacheDataTypeE1ELb0ELi512EEEvPfS2_PT_PKS3_PKT0_S9_ifPKiSB_iPKfiiiSD_SD_iiiii.num_vgpr, 128
	.set .L_ZN4vllm22paged_attention_kernelIfhLi80ELi32ELi128ELNS_18Fp8KVCacheDataTypeE1ELb0ELi512EEEvPfS2_PT_PKS3_PKT0_S9_ifPKiSB_iPKfiiiSD_SD_iiiii.num_agpr, 0
	.set .L_ZN4vllm22paged_attention_kernelIfhLi80ELi32ELi128ELNS_18Fp8KVCacheDataTypeE1ELb0ELi512EEEvPfS2_PT_PKS3_PKT0_S9_ifPKiSB_iPKfiiiSD_SD_iiiii.numbered_sgpr, 33
	.set .L_ZN4vllm22paged_attention_kernelIfhLi80ELi32ELi128ELNS_18Fp8KVCacheDataTypeE1ELb0ELi512EEEvPfS2_PT_PKS3_PKT0_S9_ifPKiSB_iPKfiiiSD_SD_iiiii.num_named_barrier, 0
	.set .L_ZN4vllm22paged_attention_kernelIfhLi80ELi32ELi128ELNS_18Fp8KVCacheDataTypeE1ELb0ELi512EEEvPfS2_PT_PKS3_PKT0_S9_ifPKiSB_iPKfiiiSD_SD_iiiii.private_seg_size, 840
	.set .L_ZN4vllm22paged_attention_kernelIfhLi80ELi32ELi128ELNS_18Fp8KVCacheDataTypeE1ELb0ELi512EEEvPfS2_PT_PKS3_PKT0_S9_ifPKiSB_iPKfiiiSD_SD_iiiii.uses_vcc, 1
	.set .L_ZN4vllm22paged_attention_kernelIfhLi80ELi32ELi128ELNS_18Fp8KVCacheDataTypeE1ELb0ELi512EEEvPfS2_PT_PKS3_PKT0_S9_ifPKiSB_iPKfiiiSD_SD_iiiii.uses_flat_scratch, 0
	.set .L_ZN4vllm22paged_attention_kernelIfhLi80ELi32ELi128ELNS_18Fp8KVCacheDataTypeE1ELb0ELi512EEEvPfS2_PT_PKS3_PKT0_S9_ifPKiSB_iPKfiiiSD_SD_iiiii.has_dyn_sized_stack, 0
	.set .L_ZN4vllm22paged_attention_kernelIfhLi80ELi32ELi128ELNS_18Fp8KVCacheDataTypeE1ELb0ELi512EEEvPfS2_PT_PKS3_PKT0_S9_ifPKiSB_iPKfiiiSD_SD_iiiii.has_recursion, 0
	.set .L_ZN4vllm22paged_attention_kernelIfhLi80ELi32ELi128ELNS_18Fp8KVCacheDataTypeE1ELb0ELi512EEEvPfS2_PT_PKS3_PKT0_S9_ifPKiSB_iPKfiiiSD_SD_iiiii.has_indirect_call, 0
	.section	.AMDGPU.csdata,"",@progbits
; Function info:
; codeLenInByte = 47952
; TotalNumSgprs: 35
; NumVgprs: 128
; ScratchSize: 840
; MemoryBound: 0
	.section	.text._ZN4vllm25paged_attention_v2_kernelIfhLi80ELi32ELi128ELNS_18Fp8KVCacheDataTypeE1ELb0ELi512EEEvPfS2_PT_PKS3_PKT0_S9_ifPKiSB_iPKfiiiSD_SD_iiiii,"axG",@progbits,_ZN4vllm25paged_attention_v2_kernelIfhLi80ELi32ELi128ELNS_18Fp8KVCacheDataTypeE1ELb0ELi512EEEvPfS2_PT_PKS3_PKT0_S9_ifPKiSB_iPKfiiiSD_SD_iiiii,comdat
	.protected	_ZN4vllm25paged_attention_v2_kernelIfhLi80ELi32ELi128ELNS_18Fp8KVCacheDataTypeE1ELb0ELi512EEEvPfS2_PT_PKS3_PKT0_S9_ifPKiSB_iPKfiiiSD_SD_iiiii ; -- Begin function _ZN4vllm25paged_attention_v2_kernelIfhLi80ELi32ELi128ELNS_18Fp8KVCacheDataTypeE1ELb0ELi512EEEvPfS2_PT_PKS3_PKT0_S9_ifPKiSB_iPKfiiiSD_SD_iiiii
	.globl	_ZN4vllm25paged_attention_v2_kernelIfhLi80ELi32ELi128ELNS_18Fp8KVCacheDataTypeE1ELb0ELi512EEEvPfS2_PT_PKS3_PKT0_S9_ifPKiSB_iPKfiiiSD_SD_iiiii
	.p2align	8
	.type	_ZN4vllm25paged_attention_v2_kernelIfhLi80ELi32ELi128ELNS_18Fp8KVCacheDataTypeE1ELb0ELi512EEEvPfS2_PT_PKS3_PKT0_S9_ifPKiSB_iPKfiiiSD_SD_iiiii,@function
_ZN4vllm25paged_attention_v2_kernelIfhLi80ELi32ELi128ELNS_18Fp8KVCacheDataTypeE1ELb0ELi512EEEvPfS2_PT_PKS3_PKT0_S9_ifPKiSB_iPKfiiiSD_SD_iiiii: ; @_ZN4vllm25paged_attention_v2_kernelIfhLi80ELi32ELi128ELNS_18Fp8KVCacheDataTypeE1ELb0ELi512EEEvPfS2_PT_PKS3_PKT0_S9_ifPKiSB_iPKfiiiSD_SD_iiiii
; %bb.0:
	s_clause 0x5
	s_load_dwordx8 s[24:31], s[4:5], 0x0
	s_load_dwordx8 s[16:23], s[4:5], 0x20
	s_load_dwordx2 s[10:11], s[4:5], 0x40
	s_load_dwordx2 s[34:35], s[4:5], 0x50
	s_load_dword s13, s[4:5], 0x48
	s_load_dwordx8 s[36:43], s[4:5], 0x58
	s_add_u32 s0, s0, s9
	s_addc_u32 s1, s1, 0
	v_mov_b32_e32 v31, v0
	s_mov_b32 s14, s8
	s_add_u32 s8, s4, 0x90
	s_addc_u32 s9, s5, 0
	s_getpc_b64 s[4:5]
	s_add_u32 s4, s4, _ZN4vllm22paged_attention_kernelIfhLi80ELi32ELi128ELNS_18Fp8KVCacheDataTypeE1ELb0ELi512EEEvPfS2_PT_PKS3_PKT0_S9_ifPKiSB_iPKfiiiSD_SD_iiiii@rel32@lo+4
	s_addc_u32 s5, s5, _ZN4vllm22paged_attention_kernelIfhLi80ELi32ELi128ELNS_18Fp8KVCacheDataTypeE1ELb0ELi512EEEvPfS2_PT_PKS3_PKT0_S9_ifPKiSB_iPKfiiiSD_SD_iiiii@rel32@hi+12
	s_mov_b32 s12, s6
	s_mov_b32 s15, 30
	;; [unrolled: 1-line block ×3, first 2 shown]
	s_waitcnt lgkmcnt(0)
	v_mov_b32_e32 v0, s24
	v_mov_b32_e32 v1, s25
	;; [unrolled: 1-line block ×28, first 2 shown]
	s_mov_b32 s13, s7
	s_swappc_b64 s[30:31], s[4:5]
	s_endpgm
	.section	.rodata,"a",@progbits
	.p2align	6, 0x0
	.amdhsa_kernel _ZN4vllm25paged_attention_v2_kernelIfhLi80ELi32ELi128ELNS_18Fp8KVCacheDataTypeE1ELb0ELi512EEEvPfS2_PT_PKS3_PKT0_S9_ifPKiSB_iPKfiiiSD_SD_iiiii
		.amdhsa_group_segment_fixed_size 352
		.amdhsa_private_segment_fixed_size 840
		.amdhsa_kernarg_size 400
		.amdhsa_user_sgpr_count 6
		.amdhsa_user_sgpr_private_segment_buffer 1
		.amdhsa_user_sgpr_dispatch_ptr 0
		.amdhsa_user_sgpr_queue_ptr 0
		.amdhsa_user_sgpr_kernarg_segment_ptr 1
		.amdhsa_user_sgpr_dispatch_id 0
		.amdhsa_user_sgpr_flat_scratch_init 0
		.amdhsa_user_sgpr_private_segment_size 0
		.amdhsa_wavefront_size32 1
		.amdhsa_uses_dynamic_stack 0
		.amdhsa_system_sgpr_private_segment_wavefront_offset 1
		.amdhsa_system_sgpr_workgroup_id_x 1
		.amdhsa_system_sgpr_workgroup_id_y 1
		.amdhsa_system_sgpr_workgroup_id_z 1
		.amdhsa_system_sgpr_workgroup_info 0
		.amdhsa_system_vgpr_workitem_id 0
		.amdhsa_next_free_vgpr 128
		.amdhsa_next_free_sgpr 44
		.amdhsa_reserve_vcc 1
		.amdhsa_reserve_flat_scratch 0
		.amdhsa_float_round_mode_32 0
		.amdhsa_float_round_mode_16_64 0
		.amdhsa_float_denorm_mode_32 3
		.amdhsa_float_denorm_mode_16_64 3
		.amdhsa_dx10_clamp 1
		.amdhsa_ieee_mode 1
		.amdhsa_fp16_overflow 0
		.amdhsa_workgroup_processor_mode 1
		.amdhsa_memory_ordered 1
		.amdhsa_forward_progress 1
		.amdhsa_shared_vgpr_count 0
		.amdhsa_exception_fp_ieee_invalid_op 0
		.amdhsa_exception_fp_denorm_src 0
		.amdhsa_exception_fp_ieee_div_zero 0
		.amdhsa_exception_fp_ieee_overflow 0
		.amdhsa_exception_fp_ieee_underflow 0
		.amdhsa_exception_fp_ieee_inexact 0
		.amdhsa_exception_int_div_zero 0
	.end_amdhsa_kernel
	.section	.text._ZN4vllm25paged_attention_v2_kernelIfhLi80ELi32ELi128ELNS_18Fp8KVCacheDataTypeE1ELb0ELi512EEEvPfS2_PT_PKS3_PKT0_S9_ifPKiSB_iPKfiiiSD_SD_iiiii,"axG",@progbits,_ZN4vllm25paged_attention_v2_kernelIfhLi80ELi32ELi128ELNS_18Fp8KVCacheDataTypeE1ELb0ELi512EEEvPfS2_PT_PKS3_PKT0_S9_ifPKiSB_iPKfiiiSD_SD_iiiii,comdat
.Lfunc_end248:
	.size	_ZN4vllm25paged_attention_v2_kernelIfhLi80ELi32ELi128ELNS_18Fp8KVCacheDataTypeE1ELb0ELi512EEEvPfS2_PT_PKS3_PKT0_S9_ifPKiSB_iPKfiiiSD_SD_iiiii, .Lfunc_end248-_ZN4vllm25paged_attention_v2_kernelIfhLi80ELi32ELi128ELNS_18Fp8KVCacheDataTypeE1ELb0ELi512EEEvPfS2_PT_PKS3_PKT0_S9_ifPKiSB_iPKfiiiSD_SD_iiiii
                                        ; -- End function
	.set _ZN4vllm25paged_attention_v2_kernelIfhLi80ELi32ELi128ELNS_18Fp8KVCacheDataTypeE1ELb0ELi512EEEvPfS2_PT_PKS3_PKT0_S9_ifPKiSB_iPKfiiiSD_SD_iiiii.num_vgpr, max(32, .L_ZN4vllm22paged_attention_kernelIfhLi80ELi32ELi128ELNS_18Fp8KVCacheDataTypeE1ELb0ELi512EEEvPfS2_PT_PKS3_PKT0_S9_ifPKiSB_iPKfiiiSD_SD_iiiii.num_vgpr)
	.set _ZN4vllm25paged_attention_v2_kernelIfhLi80ELi32ELi128ELNS_18Fp8KVCacheDataTypeE1ELb0ELi512EEEvPfS2_PT_PKS3_PKT0_S9_ifPKiSB_iPKfiiiSD_SD_iiiii.num_agpr, max(0, .L_ZN4vllm22paged_attention_kernelIfhLi80ELi32ELi128ELNS_18Fp8KVCacheDataTypeE1ELb0ELi512EEEvPfS2_PT_PKS3_PKT0_S9_ifPKiSB_iPKfiiiSD_SD_iiiii.num_agpr)
	.set _ZN4vllm25paged_attention_v2_kernelIfhLi80ELi32ELi128ELNS_18Fp8KVCacheDataTypeE1ELb0ELi512EEEvPfS2_PT_PKS3_PKT0_S9_ifPKiSB_iPKfiiiSD_SD_iiiii.numbered_sgpr, max(44, .L_ZN4vllm22paged_attention_kernelIfhLi80ELi32ELi128ELNS_18Fp8KVCacheDataTypeE1ELb0ELi512EEEvPfS2_PT_PKS3_PKT0_S9_ifPKiSB_iPKfiiiSD_SD_iiiii.numbered_sgpr)
	.set _ZN4vllm25paged_attention_v2_kernelIfhLi80ELi32ELi128ELNS_18Fp8KVCacheDataTypeE1ELb0ELi512EEEvPfS2_PT_PKS3_PKT0_S9_ifPKiSB_iPKfiiiSD_SD_iiiii.num_named_barrier, max(0, .L_ZN4vllm22paged_attention_kernelIfhLi80ELi32ELi128ELNS_18Fp8KVCacheDataTypeE1ELb0ELi512EEEvPfS2_PT_PKS3_PKT0_S9_ifPKiSB_iPKfiiiSD_SD_iiiii.num_named_barrier)
	.set _ZN4vllm25paged_attention_v2_kernelIfhLi80ELi32ELi128ELNS_18Fp8KVCacheDataTypeE1ELb0ELi512EEEvPfS2_PT_PKS3_PKT0_S9_ifPKiSB_iPKfiiiSD_SD_iiiii.private_seg_size, 0+max(.L_ZN4vllm22paged_attention_kernelIfhLi80ELi32ELi128ELNS_18Fp8KVCacheDataTypeE1ELb0ELi512EEEvPfS2_PT_PKS3_PKT0_S9_ifPKiSB_iPKfiiiSD_SD_iiiii.private_seg_size)
	.set _ZN4vllm25paged_attention_v2_kernelIfhLi80ELi32ELi128ELNS_18Fp8KVCacheDataTypeE1ELb0ELi512EEEvPfS2_PT_PKS3_PKT0_S9_ifPKiSB_iPKfiiiSD_SD_iiiii.uses_vcc, or(1, .L_ZN4vllm22paged_attention_kernelIfhLi80ELi32ELi128ELNS_18Fp8KVCacheDataTypeE1ELb0ELi512EEEvPfS2_PT_PKS3_PKT0_S9_ifPKiSB_iPKfiiiSD_SD_iiiii.uses_vcc)
	.set _ZN4vllm25paged_attention_v2_kernelIfhLi80ELi32ELi128ELNS_18Fp8KVCacheDataTypeE1ELb0ELi512EEEvPfS2_PT_PKS3_PKT0_S9_ifPKiSB_iPKfiiiSD_SD_iiiii.uses_flat_scratch, or(0, .L_ZN4vllm22paged_attention_kernelIfhLi80ELi32ELi128ELNS_18Fp8KVCacheDataTypeE1ELb0ELi512EEEvPfS2_PT_PKS3_PKT0_S9_ifPKiSB_iPKfiiiSD_SD_iiiii.uses_flat_scratch)
	.set _ZN4vllm25paged_attention_v2_kernelIfhLi80ELi32ELi128ELNS_18Fp8KVCacheDataTypeE1ELb0ELi512EEEvPfS2_PT_PKS3_PKT0_S9_ifPKiSB_iPKfiiiSD_SD_iiiii.has_dyn_sized_stack, or(0, .L_ZN4vllm22paged_attention_kernelIfhLi80ELi32ELi128ELNS_18Fp8KVCacheDataTypeE1ELb0ELi512EEEvPfS2_PT_PKS3_PKT0_S9_ifPKiSB_iPKfiiiSD_SD_iiiii.has_dyn_sized_stack)
	.set _ZN4vllm25paged_attention_v2_kernelIfhLi80ELi32ELi128ELNS_18Fp8KVCacheDataTypeE1ELb0ELi512EEEvPfS2_PT_PKS3_PKT0_S9_ifPKiSB_iPKfiiiSD_SD_iiiii.has_recursion, or(0, .L_ZN4vllm22paged_attention_kernelIfhLi80ELi32ELi128ELNS_18Fp8KVCacheDataTypeE1ELb0ELi512EEEvPfS2_PT_PKS3_PKT0_S9_ifPKiSB_iPKfiiiSD_SD_iiiii.has_recursion)
	.set _ZN4vllm25paged_attention_v2_kernelIfhLi80ELi32ELi128ELNS_18Fp8KVCacheDataTypeE1ELb0ELi512EEEvPfS2_PT_PKS3_PKT0_S9_ifPKiSB_iPKfiiiSD_SD_iiiii.has_indirect_call, or(0, .L_ZN4vllm22paged_attention_kernelIfhLi80ELi32ELi128ELNS_18Fp8KVCacheDataTypeE1ELb0ELi512EEEvPfS2_PT_PKS3_PKT0_S9_ifPKiSB_iPKfiiiSD_SD_iiiii.has_indirect_call)
	.section	.AMDGPU.csdata,"",@progbits
; Kernel info:
; codeLenInByte = 240
; TotalNumSgprs: 46
; NumVgprs: 128
; ScratchSize: 840
; MemoryBound: 0
; FloatMode: 240
; IeeeMode: 1
; LDSByteSize: 352 bytes/workgroup (compile time only)
; SGPRBlocks: 0
; VGPRBlocks: 15
; NumSGPRsForWavesPerEU: 46
; NumVGPRsForWavesPerEU: 128
; Occupancy: 8
; WaveLimiterHint : 1
; COMPUTE_PGM_RSRC2:SCRATCH_EN: 1
; COMPUTE_PGM_RSRC2:USER_SGPR: 6
; COMPUTE_PGM_RSRC2:TRAP_HANDLER: 0
; COMPUTE_PGM_RSRC2:TGID_X_EN: 1
; COMPUTE_PGM_RSRC2:TGID_Y_EN: 1
; COMPUTE_PGM_RSRC2:TGID_Z_EN: 1
; COMPUTE_PGM_RSRC2:TIDIG_COMP_CNT: 0
	.text
	.p2align	2                               ; -- Begin function _ZN4vllm22paged_attention_kernelIfhLi96ELi32ELi128ELNS_18Fp8KVCacheDataTypeE1ELb0ELi512EEEvPfS2_PT_PKS3_PKT0_S9_ifPKiSB_iPKfiiiSD_SD_iiiii
	.type	_ZN4vllm22paged_attention_kernelIfhLi96ELi32ELi128ELNS_18Fp8KVCacheDataTypeE1ELb0ELi512EEEvPfS2_PT_PKS3_PKT0_S9_ifPKiSB_iPKfiiiSD_SD_iiiii,@function
_ZN4vllm22paged_attention_kernelIfhLi96ELi32ELi128ELNS_18Fp8KVCacheDataTypeE1ELb0ELi512EEEvPfS2_PT_PKS3_PKT0_S9_ifPKiSB_iPKfiiiSD_SD_iiiii: ; @_ZN4vllm22paged_attention_kernelIfhLi96ELi32ELi128ELNS_18Fp8KVCacheDataTypeE1ELb0ELi512EEEvPfS2_PT_PKS3_PKT0_S9_ifPKiSB_iPKfiiiSD_SD_iiiii
; %bb.0:
	s_waitcnt vmcnt(0) expcnt(0) lgkmcnt(0)
	buffer_store_dword v40, off, s[0:3], s32 offset:188 ; 4-byte Folded Spill
	buffer_store_dword v41, off, s[0:3], s32 offset:184 ; 4-byte Folded Spill
	;; [unrolled: 1-line block ×47, first 2 shown]
	buffer_store_dword v127, off, s[0:3], s32 ; 4-byte Folded Spill
	s_mov_b32 s18, s13
	s_ashr_i32 s19, s13, 31
	v_mov_b32_e32 v28, v0
	s_lshl_b64 s[4:5], s[18:19], 2
	buffer_store_dword v24, off, s[0:3], s32 offset:552 ; 4-byte Folded Spill
	buffer_store_dword v25, off, s[0:3], s32 offset:556 ; 4-byte Folded Spill
	;; [unrolled: 1-line block ×6, first 2 shown]
	v_add_co_u32 v0, vcc_lo, v16, s4
	v_mov_b32_e32 v22, v1
	v_add_co_ci_u32_e64 v1, null, s5, v17, vcc_lo
	v_mov_b32_e32 v29, v3
	v_mov_b32_e32 v30, v2
	s_lshl_b32 s20, s14, 9
	flat_load_dword v102, v[0:1]
	s_mov_b32 s19, exec_lo
	s_waitcnt vmcnt(0) lgkmcnt(0)
	v_cmpx_lt_i32_e64 s20, v102
	s_cbranch_execz .LBB249_1676
; %bb.1:
	v_sub_nc_u32_e32 v0, 0, v12
	s_clause 0x1
	s_load_dword s4, s[8:9], 0x10
	s_load_dword s5, s[8:9], 0x0
	s_mov_b32 s16, s15
	v_max_i32_e32 v0, v12, v0
	v_cvt_f32_u32_e32 v1, v0
	v_sub_nc_u32_e32 v2, 0, v0
	v_rcp_iflag_f32_e32 v1, v1
	s_waitcnt lgkmcnt(0)
	s_lshr_b32 s4, s4, 16
	s_cmp_lg_u32 s4, 0
	s_cselect_b32 s4, -1, 0
	v_mul_f32_e32 v1, 0x4f7ffffe, v1
	s_cmp_lg_u32 s4, 0
	s_addc_u32 s15, s5, 0
	s_mov_b32 s5, exec_lo
	v_cvt_u32_f32_e32 v1, v1
	s_abs_i32 s4, s15
	v_mul_lo_u32 v2, v2, v1
	v_mul_hi_u32 v2, v1, v2
	v_add_nc_u32_e32 v1, v1, v2
	v_mul_hi_u32 v1, s4, v1
	v_mul_lo_u32 v2, v1, v0
	v_add_nc_u32_e32 v3, 1, v1
	v_sub_nc_u32_e32 v2, s4, v2
	s_abs_i32 s4, s12
	v_sub_nc_u32_e32 v4, v2, v0
	v_cmp_ge_u32_e32 vcc_lo, v2, v0
	v_cndmask_b32_e32 v1, v1, v3, vcc_lo
	v_cndmask_b32_e32 v2, v2, v4, vcc_lo
	v_xor_b32_e32 v3, s15, v12
	v_add_nc_u32_e32 v4, 1, v1
	v_cmp_ge_u32_e32 vcc_lo, v2, v0
	v_ashrrev_i32_e32 v3, 31, v3
	v_cndmask_b32_e32 v0, v1, v4, vcc_lo
	v_xor_b32_e32 v0, v0, v3
	v_sub_nc_u32_e32 v3, v0, v3
	v_sub_nc_u32_e32 v0, 0, v3
	v_max_i32_e32 v2, v3, v0
	v_cvt_f32_u32_e32 v0, v2
	v_sub_nc_u32_e32 v1, 0, v2
	v_rcp_iflag_f32_e32 v0, v0
	v_mul_f32_e32 v0, 0x4f7ffffe, v0
	v_cvt_u32_f32_e32 v0, v0
	v_mul_lo_u32 v1, v1, v0
	v_mul_hi_u32 v1, v0, v1
	v_add_nc_u32_e32 v0, v0, v1
	v_mad_u64_u32 v[0:1], null, s4, v0, 0
	v_mov_b32_e32 v0, 0
	buffer_store_dword v0, off, s[0:3], s32 offset:564 ; 4-byte Folded Spill
	v_cmpx_ne_u64_e32 0, v[19:20]
	s_cbranch_execz .LBB249_3
; %bb.2:
	s_ashr_i32 s13, s12, 31
	s_lshl_b64 s[6:7], s[12:13], 2
	v_add_co_u32 v4, vcc_lo, v19, s6
	v_add_co_ci_u32_e64 v5, null, s7, v20, vcc_lo
	flat_load_dword v0, v[4:5]
	s_waitcnt vmcnt(0) lgkmcnt(0)
	buffer_store_dword v0, off, s[0:3], s32 offset:564 ; 4-byte Folded Spill
.LBB249_3:
	s_or_b32 exec_lo, exec_lo, s5
	v_and_b32_e32 v12, 0x3ff, v31
	v_ashrrev_i32_e32 v0, 31, v3
	s_ashr_i32 s5, s12, 31
	s_mul_i32 s10, s12, 0x60
	s_mov_b32 s6, exec_lo
	v_cmpx_gt_u32_e32 24, v12
	s_cbranch_execz .LBB249_5
; %bb.4:
	v_mul_lo_u32 v3, v21, s18
	s_ashr_i32 s11, s10, 31
	v_lshlrev_b32_e32 v13, 4, v12
	s_lshl_b64 s[22:23], s[10:11], 2
	v_ashrrev_i32_e32 v4, 31, v3
	v_lshlrev_b64 v[3:4], 2, v[3:4]
	v_add_co_u32 v3, vcc_lo, v6, v3
	v_add_co_ci_u32_e64 v4, null, v7, v4, vcc_lo
	v_add_co_u32 v3, vcc_lo, v3, s22
	v_add_co_ci_u32_e64 v4, null, s23, v4, vcc_lo
	;; [unrolled: 2-line block ×3, first 2 shown]
	flat_load_dwordx4 v[3:6], v[3:4]
	s_waitcnt vmcnt(0) lgkmcnt(0)
	ds_write_b128 v13, v[3:6]
.LBB249_5:
	s_or_b32 exec_lo, exec_lo, s6
	v_mul_lo_u32 v3, v1, v2
	v_add_nc_u32_e32 v4, 1, v1
	v_add_nc_u32_e32 v5, 31, v102
	v_xor_b32_e32 v7, s5, v0
	s_clause 0x1
	s_load_dword s7, s[8:9], 0x14
	s_load_dword s8, s[8:9], 0x8
	v_mul_lo_u32 v0, v18, s18
	s_lshl_b32 s6, s14, 4
	buffer_store_dword v12, off, s[0:3], s32 offset:960 ; 4-byte Folded Spill
	v_sub_nc_u32_e32 v3, s4, v3
	s_add_i32 s4, s6, 16
	s_mov_b32 s9, exec_lo
	v_sub_nc_u32_e32 v6, v3, v2
	v_cmp_ge_u32_e32 vcc_lo, v3, v2
	v_cndmask_b32_e32 v1, v1, v4, vcc_lo
	v_cndmask_b32_e32 v3, v3, v6, vcc_lo
	v_ashrrev_i32_e32 v4, 31, v5
	v_add_nc_u32_e32 v6, 1, v1
	v_cmp_ge_u32_e32 vcc_lo, v3, v2
	v_lshrrev_b32_e32 v4, 27, v4
	v_cndmask_b32_e32 v1, v1, v6, vcc_lo
	v_add_nc_u32_e32 v2, v5, v4
	v_lshrrev_b32_e32 v4, 5, v12
	v_xor_b32_e32 v1, v1, v7
	v_ashrrev_i32_e32 v16, 5, v2
	v_add_nc_u32_e32 v24, s6, v4
	v_and_b32_e32 v2, 31, v12
	buffer_store_dword v4, off, s[0:3], s32 offset:968 ; 4-byte Folded Spill
	v_sub_nc_u32_e32 v3, v1, v7
	v_ashrrev_i32_e32 v1, 31, v0
	v_mov_b32_e32 v4, 0xff7fffff
	v_ashrrev_i32_e32 v25, 31, v24
	v_lshlrev_b32_e32 v19, 2, v2
	v_mul_lo_u32 v17, v3, v23
	v_min_i32_e32 v3, s4, v16
	v_lshlrev_b64 v[12:13], 2, v[0:1]
	buffer_store_dword v2, off, s[0:3], s32 offset:964 ; 4-byte Folded Spill
	v_cmp_ge_i32_e64 s4, v24, v3
	buffer_store_dword v3, off, s[0:3], s32 offset:536 ; 4-byte Folded Spill
	v_ashrrev_i32_e32 v18, 31, v17
	s_waitcnt lgkmcnt(0)
	s_waitcnt_vscnt null, 0x0
	s_barrier
	buffer_gl0_inv
	v_cmpx_lt_i32_e64 v24, v3
	s_cbranch_execz .LBB249_777
; %bb.6:
	buffer_store_dword v16, off, s[0:3], s32 offset:1028 ; 4-byte Folded Spill
	buffer_store_dword v30, off, s[0:3], s32 offset:1016 ; 4-byte Folded Spill
	;; [unrolled: 1-line block ×10, first 2 shown]
	buffer_load_dword v3, off, s[0:3], s32 offset:964 ; 4-byte Folded Reload
	v_add_co_u32 v0, vcc_lo, v8, v17
	v_add_co_ci_u32_e64 v1, null, v9, v18, vcc_lo
	v_mov_b32_e32 v111, 0
	buffer_store_dword v18, off, s[0:3], s32 offset:1036 ; 4-byte Folded Spill
	s_ashr_i32 s17, s16, 31
	v_mov_b32_e32 v43, 0x80
	s_lshl_b64 s[22:23], s[16:17], 2
	s_getpc_b64 s[24:25]
	s_add_u32 s24, s24, llvm.amdgcn.dynlds.offset.table@rel32@lo+4
	s_addc_u32 s25, s25, llvm.amdgcn.dynlds.offset.table@rel32@hi+12
	s_add_u32 s22, s24, s22
	s_addc_u32 s23, s25, s23
	v_bfrev_b32_e32 v113, 1
	v_mov_b32_e32 v101, 0x7f800001
	v_mov_b32_e32 v103, 0xff
	s_mov_b32 s11, 0
	s_waitcnt vmcnt(0)
	v_lshlrev_b32_e32 v2, 4, v3
	v_add_co_u32 v0, vcc_lo, v0, v2
	v_add_co_ci_u32_e64 v1, null, 0, v1, vcc_lo
	buffer_store_dword v0, off, s[0:3], s32 offset:568 ; 4-byte Folded Spill
	buffer_store_dword v1, off, s[0:3], s32 offset:572 ; 4-byte Folded Spill
	ds_read_b128 v[4:7], v111
	s_waitcnt lgkmcnt(0)
	buffer_store_dword v4, off, s[0:3], s32 offset:576 ; 4-byte Folded Spill
	buffer_store_dword v5, off, s[0:3], s32 offset:580 ; 4-byte Folded Spill
	buffer_store_dword v6, off, s[0:3], s32 offset:584 ; 4-byte Folded Spill
	buffer_store_dword v7, off, s[0:3], s32 offset:588 ; 4-byte Folded Spill
	ds_read_b128 v[4:7], v111 offset:16
	s_waitcnt lgkmcnt(0)
	buffer_store_dword v4, off, s[0:3], s32 offset:592 ; 4-byte Folded Spill
	buffer_store_dword v5, off, s[0:3], s32 offset:596 ; 4-byte Folded Spill
	buffer_store_dword v6, off, s[0:3], s32 offset:600 ; 4-byte Folded Spill
	buffer_store_dword v7, off, s[0:3], s32 offset:604 ; 4-byte Folded Spill
	ds_read_b128 v[4:7], v111 offset:32
	;; [unrolled: 6-line block ×23, first 2 shown]
	s_waitcnt lgkmcnt(0)
	buffer_store_dword v4, off, s[0:3], s32 offset:944 ; 4-byte Folded Spill
	buffer_store_dword v5, off, s[0:3], s32 offset:948 ; 4-byte Folded Spill
	;; [unrolled: 1-line block ×4, first 2 shown]
	buffer_load_dword v0, off, s[0:3], s32 offset:564 ; 4-byte Folded Reload
	s_load_dword s13, s[22:23], 0x0
	v_mov_b32_e32 v4, 0xff7fffff
	s_waitcnt vmcnt(0)
	v_cmp_neq_f32_e32 vcc_lo, 0, v0
	v_lshlrev_b64 v[0:1], 2, v[24:25]
	v_add_co_u32 v0, s5, v12, v0
	buffer_store_dword v12, off, s[0:3], s32 offset:1020 ; 4-byte Folded Spill
	buffer_store_dword v13, off, s[0:3], s32 offset:1024 ; 4-byte Folded Spill
	;; [unrolled: 1-line block ×5, first 2 shown]
	v_add_co_ci_u32_e64 v1, null, v13, v1, s5
	v_add_co_u32 v122, s5, v14, v0
	v_add_co_ci_u32_e64 v123, null, v15, v1, s5
	buffer_load_dword v1, off, s[0:3], s32 offset:968 ; 4-byte Folded Reload
	buffer_store_dword v24, off, s[0:3], s32 offset:540 ; 4-byte Folded Spill
	buffer_store_dword v25, off, s[0:3], s32 offset:544 ; 4-byte Folded Spill
	v_mov_b32_e32 v42, v24
	s_waitcnt vmcnt(0)
	v_lshlrev_b32_e32 v0, 5, v1
	v_add3_u32 v94, s20, v0, v3
	v_lshl_or_b32 v0, v1, 7, v19
	s_waitcnt lgkmcnt(0)
	v_add_nc_u32_e32 v110, s13, v0
	s_branch .LBB249_11
.LBB249_7:                              ;   in Loop: Header=BB249_11 Depth=1
	s_or_b32 exec_lo, exec_lo, s22
	v_mov_b32_e32 v71, 24
	v_lshlrev_b32_e32 v100, 20, v110
	v_lshl_add_u32 v70, v70, 23, 0x3c000000
	v_lshlrev_b32_sdwa v71, v71, v119 dst_sel:DWORD dst_unused:UNUSED_PAD src0_sel:DWORD src1_sel:BYTE_3
	v_and_b32_e32 v71, 0x80000000, v71
	v_or3_b32 v71, v100, v71, v70
	v_mov_b32_e32 v70, v111
.LBB249_8:                              ;   in Loop: Header=BB249_11 Depth=1
	s_or_b32 exec_lo, exec_lo, s21
.LBB249_9:                              ;   in Loop: Header=BB249_11 Depth=1
	s_or_b32 exec_lo, exec_lo, s17
	s_clause 0x2
	buffer_load_dword v110, off, s[0:3], s32 offset:520
	buffer_load_dword v42, off, s[0:3], s32 offset:524
	;; [unrolled: 1-line block ×3, first 2 shown]
.LBB249_10:                             ;   in Loop: Header=BB249_11 Depth=1
	s_or_b32 exec_lo, exec_lo, s13
	v_or_b32_e32 v31, v51, v31
	v_or_b32_e32 v50, v50, v30
	;; [unrolled: 1-line block ×5, first 2 shown]
	v_mul_f32_e32 v30, v118, v31
	v_or_b32_e32 v31, v37, v65
	s_clause 0x1
	buffer_load_dword v64, off, s[0:3], s32 offset:504
	buffer_load_dword v65, off, s[0:3], s32 offset:508
	v_mul_f32_e32 v8, v118, v9
	v_or_b32_e32 v9, v29, v49
	v_or_b32_e32 v17, v121, v17
	;; [unrolled: 1-line block ×6, first 2 shown]
	v_mul_f32_e32 v16, v118, v17
	v_mul_f32_e32 v17, v118, v29
	v_or_b32_e32 v29, v6, v32
	v_mul_f32_e32 v6, v118, v7
	v_or_b32_e32 v4, v4, v10
	v_or_b32_e32 v10, v24, v20
	;; [unrolled: 1-line block ×3, first 2 shown]
	v_mul_f32_e32 v7, v118, v29
	v_or_b32_e32 v29, v12, v114
	v_mul_f32_e32 v12, v118, v13
	v_or_b32_e32 v13, v23, v15
	v_or_b32_e32 v23, v79, v77
	v_or_b32_e32 v15, v26, v2
	v_mul_f32_e32 v2, v118, v3
	v_or_b32_e32 v3, v5, v11
	v_or_b32_e32 v5, v25, v21
	;; [unrolled: 4-line block ×3, first 2 shown]
	v_mul_f32_e32 v48, v118, v32
	v_mul_f32_e32 v26, v118, v25
	v_or_b32_e32 v32, v72, v74
	v_mul_f32_e32 v25, v118, v23
	v_or_b32_e32 v23, v63, v61
	v_or_b32_e32 v54, v126, v54
	;; [unrolled: 1-line block ×3, first 2 shown]
	v_mul_f32_e32 v49, v118, v32
	v_or_b32_e32 v82, v82, v96
	v_mul_f32_e32 v33, v118, v23
	v_or_b32_e32 v23, v73, v75
	;; [unrolled: 2-line block ×3, first 2 shown]
	v_or_b32_e32 v66, v66, v38
	v_mul_f32_e32 v38, v118, v39
	v_mul_f32_e32 v35, v118, v23
	v_or_b32_e32 v39, v53, v81
	v_or_b32_e32 v52, v52, v80
	;; [unrolled: 1-line block ×8, first 2 shown]
	v_mul_f32_e32 v84, v118, v85
	v_mul_f32_e32 v0, v118, v1
	;; [unrolled: 1-line block ×3, first 2 shown]
	v_or_b32_e32 v11, v41, v93
	v_or_b32_e32 v85, v125, v117
	v_or_b32_e32 v27, v88, v58
	v_or_b32_e32 v14, v22, v14
	v_mul_f32_e32 v21, v118, v20
	v_or_b32_e32 v20, v105, v107
	v_or_b32_e32 v22, v104, v106
	v_or_b32_e32 v19, v69, v19
	v_or_b32_e32 v18, v68, v18
	v_mul_f32_e32 v27, v118, v27
	v_mul_f32_e32 v11, v118, v11
	;; [unrolled: 1-line block ×5, first 2 shown]
	v_or_b32_e32 v18, v71, v99
	v_mul_f32_e32 v5, v118, v5
	v_mul_f32_e32 v10, v118, v10
	;; [unrolled: 1-line block ×17, first 2 shown]
	v_or_b32_e32 v55, v127, v55
	v_mul_f32_e32 v54, v118, v54
	v_mul_f32_e32 v82, v118, v82
	;; [unrolled: 1-line block ×7, first 2 shown]
	s_waitcnt vmcnt(2)
	v_cmp_lt_i32_e64 s5, v94, v102
	v_add_nc_u32_e32 v42, 4, v42
	s_waitcnt vmcnt(1)
	v_or_b32_e32 v32, v46, v64
	s_waitcnt vmcnt(0)
	v_or_b32_e32 v23, v47, v65
	s_clause 0x1
	buffer_load_dword v64, off, s[0:3], s32 offset:512
	buffer_load_dword v65, off, s[0:3], s32 offset:516
	v_mul_f32_e32 v81, v118, v32
	v_mul_f32_e32 v67, v118, v23
	s_waitcnt vmcnt(1)
	v_or_b32_e32 v32, v56, v64
	s_waitcnt vmcnt(0)
	v_or_b32_e32 v23, v57, v65
	s_clause 0x3
	buffer_load_dword v64, off, s[0:3], s32 offset:472
	buffer_load_dword v65, off, s[0:3], s32 offset:476
	buffer_load_dword v96, off, s[0:3], s32 offset:480
	buffer_load_dword v97, off, s[0:3], s32 offset:484
	v_mul_f32_e32 v83, v118, v32
	v_mul_f32_e32 v80, v118, v23
	s_waitcnt vmcnt(1)
	v_or_b32_e32 v32, v96, v64
	s_waitcnt vmcnt(0)
	v_or_b32_e32 v23, v97, v65
	s_clause 0x3
	buffer_load_dword v64, off, s[0:3], s32 offset:488
	buffer_load_dword v65, off, s[0:3], s32 offset:492
	;; [unrolled: 11-line block ×19, first 2 shown]
	v_mul_f32_e32 v64, v118, v32
	v_mul_f32_e32 v65, v118, v23
	s_waitcnt vmcnt(1)
	v_or_b32_e32 v32, v92, v90
	s_waitcnt vmcnt(0)
	v_or_b32_e32 v23, v93, v91
	s_clause 0x3
	buffer_load_dword v92, off, s[0:3], s32 offset:200
	buffer_load_dword v93, off, s[0:3], s32 offset:204
	;; [unrolled: 1-line block ×4, first 2 shown]
	v_mul_f32_e32 v91, v118, v32
	v_mul_f32_e32 v90, v118, v23
	s_waitcnt vmcnt(1)
	v_or_b32_e32 v32, v92, v104
	s_waitcnt vmcnt(0)
	v_or_b32_e32 v23, v93, v105
	v_mul_f32_e32 v93, v118, v32
	buffer_load_dword v32, off, s[0:3], s32 offset:564 ; 4-byte Folded Reload
	v_mul_f32_e32 v92, v118, v23
	v_sub_nc_u32_e32 v23, 1, v102
	s_clause 0x3
	buffer_load_dword v104, off, s[0:3], s32 offset:592
	buffer_load_dword v105, off, s[0:3], s32 offset:596
	;; [unrolled: 1-line block ×4, first 2 shown]
	v_add_nc_u32_e32 v23, v23, v94
	v_add_nc_u32_e32 v94, 0x80, v94
	v_cvt_f32_i32_e32 v23, v23
	s_waitcnt vmcnt(3)
	v_mul_f32_e32 v51, v104, v51
	v_mul_f32_e32 v23, v32, v23
	;; [unrolled: 1-line block ×3, first 2 shown]
	v_or_b32_e32 v19, v70, v98
	s_clause 0x3
	buffer_load_dword v68, off, s[0:3], s32 offset:576
	buffer_load_dword v69, off, s[0:3], s32 offset:580
	buffer_load_dword v70, off, s[0:3], s32 offset:584
	buffer_load_dword v71, off, s[0:3], s32 offset:588
	s_waitcnt vmcnt(6)
	v_mul_f32_e32 v53, v105, v53
	s_waitcnt vmcnt(5)
	v_mul_f32_e32 v64, v106, v64
	;; [unrolled: 2-line block ×3, first 2 shown]
	v_mul_f32_e32 v19, v118, v19
	v_cndmask_b32_e32 v23, 0, v23, vcc_lo
	s_waitcnt vmcnt(3)
	v_fmac_f32_e32 v51, v68, v91
	s_waitcnt vmcnt(2)
	v_fmac_f32_e32 v53, v69, v90
	s_waitcnt vmcnt(1)
	v_fmac_f32_e32 v64, v70, v93
	s_waitcnt vmcnt(0)
	v_fmac_f32_e32 v65, v71, v92
	s_clause 0x3
	buffer_load_dword v68, off, s[0:3], s32 offset:608
	buffer_load_dword v69, off, s[0:3], s32 offset:612
	buffer_load_dword v70, off, s[0:3], s32 offset:616
	buffer_load_dword v71, off, s[0:3], s32 offset:620
	s_waitcnt vmcnt(3)
	v_fmac_f32_e32 v51, v68, v79
	s_waitcnt vmcnt(2)
	v_fmac_f32_e32 v53, v69, v78
	s_waitcnt vmcnt(1)
	v_fmac_f32_e32 v64, v70, v89
	s_waitcnt vmcnt(0)
	v_fmac_f32_e32 v65, v71, v88
	s_clause 0x3
	buffer_load_dword v68, off, s[0:3], s32 offset:624
	buffer_load_dword v69, off, s[0:3], s32 offset:628
	buffer_load_dword v70, off, s[0:3], s32 offset:632
	buffer_load_dword v71, off, s[0:3], s32 offset:636
	;; [unrolled: 13-line block ×9, first 2 shown]
	s_waitcnt vmcnt(3)
	v_fmac_f32_e32 v51, v68, v81
	s_waitcnt vmcnt(2)
	v_fmac_f32_e32 v53, v69, v67
	;; [unrolled: 2-line block ×3, first 2 shown]
	s_clause 0x3
	buffer_load_dword v67, off, s[0:3], s32 offset:752
	buffer_load_dword v68, off, s[0:3], s32 offset:756
	;; [unrolled: 1-line block ×4, first 2 shown]
	s_waitcnt vmcnt(4)
	v_fmac_f32_e32 v65, v71, v80
	s_waitcnt vmcnt(3)
	v_fmac_f32_e32 v51, v67, v48
	;; [unrolled: 2-line block ×5, first 2 shown]
	s_clause 0x3
	buffer_load_dword v67, off, s[0:3], s32 offset:768
	buffer_load_dword v68, off, s[0:3], s32 offset:772
	buffer_load_dword v69, off, s[0:3], s32 offset:776
	buffer_load_dword v70, off, s[0:3], s32 offset:780
	s_waitcnt vmcnt(3)
	v_fmac_f32_e32 v51, v67, v26
	s_waitcnt vmcnt(2)
	v_fmac_f32_e32 v53, v68, v24
	s_waitcnt vmcnt(1)
	v_fmac_f32_e32 v64, v69, v27
	s_waitcnt vmcnt(0)
	v_fmac_f32_e32 v65, v70, v25
	s_clause 0x3
	buffer_load_dword v24, off, s[0:3], s32 offset:784
	buffer_load_dword v25, off, s[0:3], s32 offset:788
	buffer_load_dword v26, off, s[0:3], s32 offset:792
	buffer_load_dword v27, off, s[0:3], s32 offset:796
	s_waitcnt vmcnt(3)
	v_fmac_f32_e32 v51, v24, v21
	s_waitcnt vmcnt(2)
	v_fmac_f32_e32 v53, v25, v11
	s_waitcnt vmcnt(1)
	v_fmac_f32_e32 v64, v26, v22
	s_waitcnt vmcnt(0)
	v_fmac_f32_e32 v65, v27, v20
	;; [unrolled: 13-line block ×11, first 2 shown]
	s_clause 0x4
	buffer_load_dword v0, off, s[0:3], s32 offset:944
	buffer_load_dword v1, off, s[0:3], s32 offset:948
	;; [unrolled: 1-line block ×5, first 2 shown]
	s_waitcnt vmcnt(4)
	v_fmac_f32_e32 v51, v0, v37
	s_waitcnt vmcnt(3)
	v_fmac_f32_e32 v53, v1, v32
	buffer_load_dword v1, off, s[0:3], s32 offset:560 ; 4-byte Folded Reload
	s_waitcnt vmcnt(3)
	v_fmac_f32_e32 v64, v2, v19
	s_waitcnt vmcnt(2)
	v_fmac_f32_e32 v65, v3, v18
	v_add_f32_e32 v0, v51, v53
	v_add_f32_e32 v0, v64, v0
	;; [unrolled: 1-line block ×3, first 2 shown]
	s_waitcnt vmcnt(0)
	v_fmac_f32_e32 v23, v1, v0
	v_cndmask_b32_e64 v0, 0, v23, s5
	ds_write_b32 v110, v0
	v_max_f32_e32 v0, v4, v4
	v_add_nc_u32_e32 v110, 0x200, v110
	v_max_f32_e32 v0, v0, v23
	v_cndmask_b32_e64 v4, v4, v0, s5
	buffer_load_dword v0, off, s[0:3], s32 offset:536 ; 4-byte Folded Reload
	v_add_co_u32 v122, s5, v122, 16
	v_add_co_ci_u32_e64 v123, null, 0, v123, s5
	s_waitcnt vmcnt(0)
	v_cmp_ge_i32_e64 s5, v42, v0
	s_or_b32 s11, s5, s11
	s_andn2_b32 exec_lo, exec_lo, s11
	s_cbranch_execz .LBB249_776
.LBB249_11:                             ; =>This Inner Loop Header: Depth=1
	buffer_store_dword v94, off, s[0:3], s32 offset:528 ; 4-byte Folded Spill
	buffer_store_dword v42, off, s[0:3], s32 offset:524 ; 4-byte Folded Spill
	;; [unrolled: 1-line block ×4, first 2 shown]
	flat_load_dword v0, v[122:123]
	s_clause 0x2
	buffer_load_dword v1, off, s[0:3], s32 offset:532
	buffer_load_dword v2, off, s[0:3], s32 offset:568
	;; [unrolled: 1-line block ×3, first 2 shown]
	v_mov_b32_e32 v90, 0
	v_mov_b32_e32 v91, 0
	s_waitcnt vmcnt(0) lgkmcnt(0)
	v_mad_i64_i32 v[114:115], null, v0, v1, v[2:3]
	flat_load_dword v0, v[114:115]
	s_clause 0x1
	buffer_load_dword v1, off, s[0:3], s32 offset:552
	buffer_load_dword v2, off, s[0:3], s32 offset:556
	s_waitcnt vmcnt(2) lgkmcnt(0)
	v_cmp_ne_u16_sdwa s5, v0, v111 src0_sel:BYTE_0 src1_sel:DWORD
	s_waitcnt vmcnt(0)
	flat_load_dword v118, v[1:2]
	v_mov_b32_e32 v1, 0
	v_mov_b32_e32 v2, 0
	buffer_store_dword v1, off, s[0:3], s32 offset:192 ; 4-byte Folded Spill
	buffer_store_dword v2, off, s[0:3], s32 offset:196 ; 4-byte Folded Spill
	s_and_saveexec_b32 s13, s5
	s_cbranch_execz .LBB249_19
; %bb.12:                               ;   in Loop: Header=BB249_11 Depth=1
	v_bfrev_b32_e32 v90, 1
	v_mov_b32_e32 v91, 0
	v_cmp_ne_u16_sdwa s5, v0, v43 src0_sel:BYTE_0 src1_sel:DWORD
	s_and_saveexec_b32 s17, s5
	s_cbranch_execz .LBB249_18
; %bb.13:                               ;   in Loop: Header=BB249_11 Depth=1
	v_mov_b32_e32 v90, 0x7f800001
	v_and_b32_e32 v2, 0x7f, v0
	v_mov_b32_e32 v91, 0
	s_mov_b32 s21, exec_lo
	v_cmpx_ne_u32_e32 0x7f, v2
	s_cbranch_execz .LBB249_17
; %bb.14:                               ;   in Loop: Header=BB249_11 Depth=1
	v_and_b32_e32 v110, 7, v0
	v_lshrrev_b32_e32 v1, 3, v2
	s_mov_b32 s22, exec_lo
	v_cmpx_gt_u32_e32 8, v2
; %bb.15:                               ;   in Loop: Header=BB249_11 Depth=1
	v_ffbh_u32_e32 v1, v110
	v_min_u32_e32 v1, 32, v1
	v_subrev_nc_u32_e32 v2, 28, v1
	v_sub_nc_u32_e32 v1, 29, v1
	v_lshlrev_b64 v[2:3], v2, v[110:111]
	v_and_b32_e32 v110, 7, v2
; %bb.16:                               ;   in Loop: Header=BB249_11 Depth=1
	s_or_b32 exec_lo, exec_lo, s22
	v_lshlrev_b32_e32 v2, 24, v0
	v_lshlrev_b32_e32 v3, 20, v110
	v_lshl_add_u32 v1, v1, 23, 0x3c000000
	v_and_b32_e32 v2, 0x80000000, v2
	v_or3_b32 v110, v3, v2, v1
	v_mov_b32_e32 v90, v110
	v_mov_b32_e32 v91, v111
.LBB249_17:                             ;   in Loop: Header=BB249_11 Depth=1
	s_or_b32 exec_lo, exec_lo, s21
.LBB249_18:                             ;   in Loop: Header=BB249_11 Depth=1
	s_or_b32 exec_lo, exec_lo, s17
.LBB249_19:                             ;   in Loop: Header=BB249_11 Depth=1
	s_or_b32 exec_lo, exec_lo, s13
	v_cmp_ne_u16_sdwa s5, v0, v111 src0_sel:BYTE_1 src1_sel:DWORD
	s_and_saveexec_b32 s13, s5
	s_cbranch_execz .LBB249_27
; %bb.20:                               ;   in Loop: Header=BB249_11 Depth=1
	v_mov_b32_e32 v112, v111
	v_cmp_ne_u16_sdwa s5, v0, v43 src0_sel:BYTE_1 src1_sel:DWORD
	buffer_store_dword v112, off, s[0:3], s32 offset:192 ; 4-byte Folded Spill
	buffer_store_dword v113, off, s[0:3], s32 offset:196 ; 4-byte Folded Spill
	s_and_saveexec_b32 s17, s5
	s_cbranch_execz .LBB249_26
; %bb.21:                               ;   in Loop: Header=BB249_11 Depth=1
	v_mov_b32_e32 v1, 0xffff
	v_mov_b32_e32 v100, v111
	s_mov_b32 s21, exec_lo
	buffer_store_dword v100, off, s[0:3], s32 offset:192 ; 4-byte Folded Spill
	buffer_store_dword v101, off, s[0:3], s32 offset:196 ; 4-byte Folded Spill
	v_and_b32_sdwa v1, v1, v0 dst_sel:DWORD dst_unused:UNUSED_PAD src0_sel:DWORD src1_sel:BYTE_1
	v_and_b32_e32 v2, 0x7f, v1
	v_cmpx_ne_u32_e32 0x7f, v2
	s_cbranch_execz .LBB249_25
; %bb.22:                               ;   in Loop: Header=BB249_11 Depth=1
	v_and_b32_e32 v110, 7, v1
	v_lshrrev_b32_e32 v1, 3, v2
	s_mov_b32 s22, exec_lo
	v_cmpx_gt_u32_e32 8, v2
; %bb.23:                               ;   in Loop: Header=BB249_11 Depth=1
	v_ffbh_u32_e32 v1, v110
	v_min_u32_e32 v1, 32, v1
	v_subrev_nc_u32_e32 v2, 28, v1
	v_sub_nc_u32_e32 v1, 29, v1
	v_lshlrev_b64 v[2:3], v2, v[110:111]
	v_and_b32_e32 v110, 7, v2
; %bb.24:                               ;   in Loop: Header=BB249_11 Depth=1
	s_or_b32 exec_lo, exec_lo, s22
	v_lshlrev_b32_e32 v2, 16, v0
	v_lshlrev_b32_e32 v3, 20, v110
	v_lshl_add_u32 v1, v1, 23, 0x3c000000
	v_and_b32_e32 v2, 0x80000000, v2
	v_or3_b32 v2, v3, v2, v1
	v_mov_b32_e32 v1, v111
	buffer_store_dword v1, off, s[0:3], s32 offset:192 ; 4-byte Folded Spill
	buffer_store_dword v2, off, s[0:3], s32 offset:196 ; 4-byte Folded Spill
.LBB249_25:                             ;   in Loop: Header=BB249_11 Depth=1
	s_or_b32 exec_lo, exec_lo, s21
.LBB249_26:                             ;   in Loop: Header=BB249_11 Depth=1
	s_or_b32 exec_lo, exec_lo, s17
.LBB249_27:                             ;   in Loop: Header=BB249_11 Depth=1
	s_or_b32 exec_lo, exec_lo, s13
	v_mov_b32_e32 v2, 0
	v_mov_b32_e32 v3, 0
	v_and_b32_sdwa v1, v0, v103 dst_sel:DWORD dst_unused:UNUSED_PAD src0_sel:WORD_1 src1_sel:DWORD
	s_mov_b32 s13, exec_lo
	buffer_store_dword v2, off, s[0:3], s32 offset:200 ; 4-byte Folded Spill
	buffer_store_dword v3, off, s[0:3], s32 offset:204 ; 4-byte Folded Spill
	v_mov_b32_e32 v2, 0
	v_mov_b32_e32 v3, 0
	buffer_store_dword v2, off, s[0:3], s32 offset:208 ; 4-byte Folded Spill
	buffer_store_dword v3, off, s[0:3], s32 offset:212 ; 4-byte Folded Spill
	v_cmpx_ne_u16_e32 0, v1
	s_cbranch_execz .LBB249_35
; %bb.28:                               ;   in Loop: Header=BB249_11 Depth=1
	v_cmp_ne_u16_e64 s5, 0x80, v1
	v_bfrev_b32_e32 v1, 1
	v_mov_b32_e32 v2, 0
	buffer_store_dword v1, off, s[0:3], s32 offset:208 ; 4-byte Folded Spill
	buffer_store_dword v2, off, s[0:3], s32 offset:212 ; 4-byte Folded Spill
	s_and_saveexec_b32 s17, s5
	s_cbranch_execz .LBB249_34
; %bb.29:                               ;   in Loop: Header=BB249_11 Depth=1
	v_mov_b32_e32 v3, 0x7f800001
	v_bfe_u32 v2, v0, 16, 7
	v_mov_b32_e32 v4, 0
	s_mov_b32 s21, exec_lo
	buffer_store_dword v3, off, s[0:3], s32 offset:208 ; 4-byte Folded Spill
	buffer_store_dword v4, off, s[0:3], s32 offset:212 ; 4-byte Folded Spill
	v_cmpx_ne_u32_e32 0x7f, v2
	s_cbranch_execz .LBB249_33
; %bb.30:                               ;   in Loop: Header=BB249_11 Depth=1
	v_mov_b32_e32 v1, 7
	s_mov_b32 s22, exec_lo
	v_and_b32_sdwa v110, v0, v1 dst_sel:DWORD dst_unused:UNUSED_PAD src0_sel:WORD_1 src1_sel:DWORD
	v_lshrrev_b32_e32 v1, 3, v2
	v_cmpx_gt_u32_e32 8, v2
; %bb.31:                               ;   in Loop: Header=BB249_11 Depth=1
	v_ffbh_u32_e32 v1, v110
	v_min_u32_e32 v1, 32, v1
	v_subrev_nc_u32_e32 v2, 28, v1
	v_sub_nc_u32_e32 v1, 29, v1
	v_lshlrev_b64 v[2:3], v2, v[110:111]
	v_and_b32_e32 v110, 7, v2
; %bb.32:                               ;   in Loop: Header=BB249_11 Depth=1
	s_or_b32 exec_lo, exec_lo, s22
	v_mov_b32_e32 v2, 24
	v_lshlrev_b32_e32 v3, 20, v110
	v_lshl_add_u32 v1, v1, 23, 0x3c000000
	v_lshlrev_b32_sdwa v2, v2, v0 dst_sel:DWORD dst_unused:UNUSED_PAD src0_sel:DWORD src1_sel:WORD_1
	v_and_b32_e32 v2, 0x80000000, v2
	v_or3_b32 v110, v3, v2, v1
	buffer_store_dword v110, off, s[0:3], s32 offset:208 ; 4-byte Folded Spill
	buffer_store_dword v111, off, s[0:3], s32 offset:212 ; 4-byte Folded Spill
.LBB249_33:                             ;   in Loop: Header=BB249_11 Depth=1
	s_or_b32 exec_lo, exec_lo, s21
.LBB249_34:                             ;   in Loop: Header=BB249_11 Depth=1
	s_or_b32 exec_lo, exec_lo, s17
.LBB249_35:                             ;   in Loop: Header=BB249_11 Depth=1
	s_or_b32 exec_lo, exec_lo, s13
	s_mov_b32 s13, exec_lo
	v_cmpx_lt_u32_e32 0xffffff, v0
	s_cbranch_execz .LBB249_43
; %bb.36:                               ;   in Loop: Header=BB249_11 Depth=1
	v_mov_b32_e32 v112, v111
	v_cmp_ne_u32_sdwa s5, v0, v43 src0_sel:BYTE_3 src1_sel:DWORD
	buffer_store_dword v112, off, s[0:3], s32 offset:200 ; 4-byte Folded Spill
	buffer_store_dword v113, off, s[0:3], s32 offset:204 ; 4-byte Folded Spill
	s_and_saveexec_b32 s17, s5
	s_cbranch_execz .LBB249_42
; %bb.37:                               ;   in Loop: Header=BB249_11 Depth=1
	v_bfe_u32 v2, v0, 24, 7
	v_mov_b32_e32 v100, v111
	s_mov_b32 s21, exec_lo
	buffer_store_dword v100, off, s[0:3], s32 offset:200 ; 4-byte Folded Spill
	buffer_store_dword v101, off, s[0:3], s32 offset:204 ; 4-byte Folded Spill
	v_cmpx_ne_u32_e32 0x7f, v2
	s_cbranch_execz .LBB249_41
; %bb.38:                               ;   in Loop: Header=BB249_11 Depth=1
	v_mov_b32_e32 v1, 7
	s_mov_b32 s22, exec_lo
	v_and_b32_sdwa v110, v0, v1 dst_sel:DWORD dst_unused:UNUSED_PAD src0_sel:BYTE_3 src1_sel:DWORD
	v_lshrrev_b32_e32 v1, 3, v2
	v_cmpx_gt_u32_e32 8, v2
; %bb.39:                               ;   in Loop: Header=BB249_11 Depth=1
	v_ffbh_u32_e32 v1, v110
	v_min_u32_e32 v1, 32, v1
	v_subrev_nc_u32_e32 v2, 28, v1
	v_sub_nc_u32_e32 v1, 29, v1
	v_lshlrev_b64 v[2:3], v2, v[110:111]
	v_and_b32_e32 v110, 7, v2
; %bb.40:                               ;   in Loop: Header=BB249_11 Depth=1
	s_or_b32 exec_lo, exec_lo, s22
	v_mov_b32_e32 v2, 24
	v_lshl_add_u32 v1, v1, 23, 0x3c000000
	v_lshlrev_b32_sdwa v0, v2, v0 dst_sel:DWORD dst_unused:UNUSED_PAD src0_sel:DWORD src1_sel:BYTE_3
	v_lshlrev_b32_e32 v2, 20, v110
	v_and_b32_e32 v0, 0x80000000, v0
	v_or3_b32 v1, v2, v0, v1
	v_mov_b32_e32 v0, v111
	buffer_store_dword v0, off, s[0:3], s32 offset:200 ; 4-byte Folded Spill
	buffer_store_dword v1, off, s[0:3], s32 offset:204 ; 4-byte Folded Spill
.LBB249_41:                             ;   in Loop: Header=BB249_11 Depth=1
	s_or_b32 exec_lo, exec_lo, s21
.LBB249_42:                             ;   in Loop: Header=BB249_11 Depth=1
	s_or_b32 exec_lo, exec_lo, s17
.LBB249_43:                             ;   in Loop: Header=BB249_11 Depth=1
	s_or_b32 exec_lo, exec_lo, s13
	flat_load_dword v0, v[114:115] offset:4
	v_mov_b32_e32 v1, 0
	v_mov_b32_e32 v2, 0
	buffer_store_dword v1, off, s[0:3], s32 offset:224 ; 4-byte Folded Spill
	buffer_store_dword v2, off, s[0:3], s32 offset:228 ; 4-byte Folded Spill
	v_mov_b32_e32 v1, 0
	v_mov_b32_e32 v2, 0
	buffer_store_dword v1, off, s[0:3], s32 offset:216 ; 4-byte Folded Spill
	buffer_store_dword v2, off, s[0:3], s32 offset:220 ; 4-byte Folded Spill
	s_waitcnt vmcnt(0) lgkmcnt(0)
	v_cmp_ne_u16_sdwa s5, v0, v111 src0_sel:BYTE_0 src1_sel:DWORD
	s_and_saveexec_b32 s13, s5
	s_cbranch_execz .LBB249_51
; %bb.44:                               ;   in Loop: Header=BB249_11 Depth=1
	v_bfrev_b32_e32 v1, 1
	v_mov_b32_e32 v2, 0
	v_cmp_ne_u16_sdwa s5, v0, v43 src0_sel:BYTE_0 src1_sel:DWORD
	buffer_store_dword v1, off, s[0:3], s32 offset:216 ; 4-byte Folded Spill
	buffer_store_dword v2, off, s[0:3], s32 offset:220 ; 4-byte Folded Spill
	s_and_saveexec_b32 s17, s5
	s_cbranch_execz .LBB249_50
; %bb.45:                               ;   in Loop: Header=BB249_11 Depth=1
	v_mov_b32_e32 v3, 0x7f800001
	v_and_b32_e32 v2, 0x7f, v0
	v_mov_b32_e32 v4, 0
	s_mov_b32 s21, exec_lo
	buffer_store_dword v3, off, s[0:3], s32 offset:216 ; 4-byte Folded Spill
	buffer_store_dword v4, off, s[0:3], s32 offset:220 ; 4-byte Folded Spill
	v_cmpx_ne_u32_e32 0x7f, v2
	s_cbranch_execz .LBB249_49
; %bb.46:                               ;   in Loop: Header=BB249_11 Depth=1
	v_and_b32_e32 v110, 7, v0
	v_lshrrev_b32_e32 v1, 3, v2
	s_mov_b32 s22, exec_lo
	v_cmpx_gt_u32_e32 8, v2
; %bb.47:                               ;   in Loop: Header=BB249_11 Depth=1
	v_ffbh_u32_e32 v1, v110
	v_min_u32_e32 v1, 32, v1
	v_subrev_nc_u32_e32 v2, 28, v1
	v_sub_nc_u32_e32 v1, 29, v1
	v_lshlrev_b64 v[2:3], v2, v[110:111]
	v_and_b32_e32 v110, 7, v2
; %bb.48:                               ;   in Loop: Header=BB249_11 Depth=1
	s_or_b32 exec_lo, exec_lo, s22
	v_lshlrev_b32_e32 v2, 24, v0
	v_lshlrev_b32_e32 v3, 20, v110
	v_lshl_add_u32 v1, v1, 23, 0x3c000000
	v_and_b32_e32 v2, 0x80000000, v2
	v_or3_b32 v110, v3, v2, v1
	buffer_store_dword v110, off, s[0:3], s32 offset:216 ; 4-byte Folded Spill
	buffer_store_dword v111, off, s[0:3], s32 offset:220 ; 4-byte Folded Spill
.LBB249_49:                             ;   in Loop: Header=BB249_11 Depth=1
	s_or_b32 exec_lo, exec_lo, s21
.LBB249_50:                             ;   in Loop: Header=BB249_11 Depth=1
	s_or_b32 exec_lo, exec_lo, s17
.LBB249_51:                             ;   in Loop: Header=BB249_11 Depth=1
	s_or_b32 exec_lo, exec_lo, s13
	v_cmp_ne_u16_sdwa s5, v0, v111 src0_sel:BYTE_1 src1_sel:DWORD
	s_and_saveexec_b32 s13, s5
	s_cbranch_execz .LBB249_59
; %bb.52:                               ;   in Loop: Header=BB249_11 Depth=1
	v_mov_b32_e32 v112, v111
	v_cmp_ne_u16_sdwa s5, v0, v43 src0_sel:BYTE_1 src1_sel:DWORD
	buffer_store_dword v112, off, s[0:3], s32 offset:224 ; 4-byte Folded Spill
	buffer_store_dword v113, off, s[0:3], s32 offset:228 ; 4-byte Folded Spill
	s_and_saveexec_b32 s17, s5
	s_cbranch_execz .LBB249_58
; %bb.53:                               ;   in Loop: Header=BB249_11 Depth=1
	v_mov_b32_e32 v1, 0xffff
	v_mov_b32_e32 v100, v111
	s_mov_b32 s21, exec_lo
	buffer_store_dword v100, off, s[0:3], s32 offset:224 ; 4-byte Folded Spill
	buffer_store_dword v101, off, s[0:3], s32 offset:228 ; 4-byte Folded Spill
	v_and_b32_sdwa v1, v1, v0 dst_sel:DWORD dst_unused:UNUSED_PAD src0_sel:DWORD src1_sel:BYTE_1
	v_and_b32_e32 v2, 0x7f, v1
	v_cmpx_ne_u32_e32 0x7f, v2
	s_cbranch_execz .LBB249_57
; %bb.54:                               ;   in Loop: Header=BB249_11 Depth=1
	v_and_b32_e32 v110, 7, v1
	v_lshrrev_b32_e32 v1, 3, v2
	s_mov_b32 s22, exec_lo
	v_cmpx_gt_u32_e32 8, v2
; %bb.55:                               ;   in Loop: Header=BB249_11 Depth=1
	v_ffbh_u32_e32 v1, v110
	v_min_u32_e32 v1, 32, v1
	v_subrev_nc_u32_e32 v2, 28, v1
	v_sub_nc_u32_e32 v1, 29, v1
	v_lshlrev_b64 v[2:3], v2, v[110:111]
	v_and_b32_e32 v110, 7, v2
; %bb.56:                               ;   in Loop: Header=BB249_11 Depth=1
	s_or_b32 exec_lo, exec_lo, s22
	v_lshlrev_b32_e32 v2, 16, v0
	v_lshlrev_b32_e32 v3, 20, v110
	v_lshl_add_u32 v1, v1, 23, 0x3c000000
	v_and_b32_e32 v2, 0x80000000, v2
	v_or3_b32 v2, v3, v2, v1
	v_mov_b32_e32 v1, v111
	buffer_store_dword v1, off, s[0:3], s32 offset:224 ; 4-byte Folded Spill
	buffer_store_dword v2, off, s[0:3], s32 offset:228 ; 4-byte Folded Spill
.LBB249_57:                             ;   in Loop: Header=BB249_11 Depth=1
	s_or_b32 exec_lo, exec_lo, s21
.LBB249_58:                             ;   in Loop: Header=BB249_11 Depth=1
	s_or_b32 exec_lo, exec_lo, s17
.LBB249_59:                             ;   in Loop: Header=BB249_11 Depth=1
	s_or_b32 exec_lo, exec_lo, s13
	v_mov_b32_e32 v2, 0
	v_mov_b32_e32 v3, 0
	v_and_b32_sdwa v1, v0, v103 dst_sel:DWORD dst_unused:UNUSED_PAD src0_sel:WORD_1 src1_sel:DWORD
	s_mov_b32 s13, exec_lo
	buffer_store_dword v2, off, s[0:3], s32 offset:232 ; 4-byte Folded Spill
	buffer_store_dword v3, off, s[0:3], s32 offset:236 ; 4-byte Folded Spill
	v_mov_b32_e32 v2, 0
	v_mov_b32_e32 v3, 0
	buffer_store_dword v2, off, s[0:3], s32 offset:240 ; 4-byte Folded Spill
	buffer_store_dword v3, off, s[0:3], s32 offset:244 ; 4-byte Folded Spill
	v_cmpx_ne_u16_e32 0, v1
	s_cbranch_execz .LBB249_67
; %bb.60:                               ;   in Loop: Header=BB249_11 Depth=1
	v_cmp_ne_u16_e64 s5, 0x80, v1
	v_bfrev_b32_e32 v1, 1
	v_mov_b32_e32 v2, 0
	buffer_store_dword v1, off, s[0:3], s32 offset:240 ; 4-byte Folded Spill
	buffer_store_dword v2, off, s[0:3], s32 offset:244 ; 4-byte Folded Spill
	s_and_saveexec_b32 s17, s5
	s_cbranch_execz .LBB249_66
; %bb.61:                               ;   in Loop: Header=BB249_11 Depth=1
	v_mov_b32_e32 v3, 0x7f800001
	v_bfe_u32 v2, v0, 16, 7
	v_mov_b32_e32 v4, 0
	s_mov_b32 s21, exec_lo
	buffer_store_dword v3, off, s[0:3], s32 offset:240 ; 4-byte Folded Spill
	buffer_store_dword v4, off, s[0:3], s32 offset:244 ; 4-byte Folded Spill
	v_cmpx_ne_u32_e32 0x7f, v2
	s_cbranch_execz .LBB249_65
; %bb.62:                               ;   in Loop: Header=BB249_11 Depth=1
	v_mov_b32_e32 v1, 7
	s_mov_b32 s22, exec_lo
	v_and_b32_sdwa v110, v0, v1 dst_sel:DWORD dst_unused:UNUSED_PAD src0_sel:WORD_1 src1_sel:DWORD
	v_lshrrev_b32_e32 v1, 3, v2
	v_cmpx_gt_u32_e32 8, v2
; %bb.63:                               ;   in Loop: Header=BB249_11 Depth=1
	v_ffbh_u32_e32 v1, v110
	v_min_u32_e32 v1, 32, v1
	v_subrev_nc_u32_e32 v2, 28, v1
	v_sub_nc_u32_e32 v1, 29, v1
	v_lshlrev_b64 v[2:3], v2, v[110:111]
	v_and_b32_e32 v110, 7, v2
; %bb.64:                               ;   in Loop: Header=BB249_11 Depth=1
	s_or_b32 exec_lo, exec_lo, s22
	v_mov_b32_e32 v2, 24
	v_lshlrev_b32_e32 v3, 20, v110
	v_lshl_add_u32 v1, v1, 23, 0x3c000000
	v_lshlrev_b32_sdwa v2, v2, v0 dst_sel:DWORD dst_unused:UNUSED_PAD src0_sel:DWORD src1_sel:WORD_1
	v_and_b32_e32 v2, 0x80000000, v2
	v_or3_b32 v110, v3, v2, v1
	buffer_store_dword v110, off, s[0:3], s32 offset:240 ; 4-byte Folded Spill
	buffer_store_dword v111, off, s[0:3], s32 offset:244 ; 4-byte Folded Spill
.LBB249_65:                             ;   in Loop: Header=BB249_11 Depth=1
	s_or_b32 exec_lo, exec_lo, s21
.LBB249_66:                             ;   in Loop: Header=BB249_11 Depth=1
	s_or_b32 exec_lo, exec_lo, s17
.LBB249_67:                             ;   in Loop: Header=BB249_11 Depth=1
	s_or_b32 exec_lo, exec_lo, s13
	s_mov_b32 s13, exec_lo
	v_cmpx_lt_u32_e32 0xffffff, v0
	s_cbranch_execz .LBB249_75
; %bb.68:                               ;   in Loop: Header=BB249_11 Depth=1
	v_mov_b32_e32 v112, v111
	v_cmp_ne_u32_sdwa s5, v0, v43 src0_sel:BYTE_3 src1_sel:DWORD
	buffer_store_dword v112, off, s[0:3], s32 offset:232 ; 4-byte Folded Spill
	buffer_store_dword v113, off, s[0:3], s32 offset:236 ; 4-byte Folded Spill
	s_and_saveexec_b32 s17, s5
	s_cbranch_execz .LBB249_74
; %bb.69:                               ;   in Loop: Header=BB249_11 Depth=1
	v_bfe_u32 v2, v0, 24, 7
	v_mov_b32_e32 v100, v111
	s_mov_b32 s21, exec_lo
	buffer_store_dword v100, off, s[0:3], s32 offset:232 ; 4-byte Folded Spill
	buffer_store_dword v101, off, s[0:3], s32 offset:236 ; 4-byte Folded Spill
	v_cmpx_ne_u32_e32 0x7f, v2
	s_cbranch_execz .LBB249_73
; %bb.70:                               ;   in Loop: Header=BB249_11 Depth=1
	v_mov_b32_e32 v1, 7
	s_mov_b32 s22, exec_lo
	v_and_b32_sdwa v110, v0, v1 dst_sel:DWORD dst_unused:UNUSED_PAD src0_sel:BYTE_3 src1_sel:DWORD
	v_lshrrev_b32_e32 v1, 3, v2
	v_cmpx_gt_u32_e32 8, v2
; %bb.71:                               ;   in Loop: Header=BB249_11 Depth=1
	v_ffbh_u32_e32 v1, v110
	v_min_u32_e32 v1, 32, v1
	v_subrev_nc_u32_e32 v2, 28, v1
	v_sub_nc_u32_e32 v1, 29, v1
	v_lshlrev_b64 v[2:3], v2, v[110:111]
	v_and_b32_e32 v110, 7, v2
; %bb.72:                               ;   in Loop: Header=BB249_11 Depth=1
	s_or_b32 exec_lo, exec_lo, s22
	v_mov_b32_e32 v2, 24
	v_lshl_add_u32 v1, v1, 23, 0x3c000000
	v_lshlrev_b32_sdwa v0, v2, v0 dst_sel:DWORD dst_unused:UNUSED_PAD src0_sel:DWORD src1_sel:BYTE_3
	v_lshlrev_b32_e32 v2, 20, v110
	v_and_b32_e32 v0, 0x80000000, v0
	v_or3_b32 v1, v2, v0, v1
	v_mov_b32_e32 v0, v111
	buffer_store_dword v0, off, s[0:3], s32 offset:232 ; 4-byte Folded Spill
	buffer_store_dword v1, off, s[0:3], s32 offset:236 ; 4-byte Folded Spill
.LBB249_73:                             ;   in Loop: Header=BB249_11 Depth=1
	s_or_b32 exec_lo, exec_lo, s21
.LBB249_74:                             ;   in Loop: Header=BB249_11 Depth=1
	s_or_b32 exec_lo, exec_lo, s17
.LBB249_75:                             ;   in Loop: Header=BB249_11 Depth=1
	s_or_b32 exec_lo, exec_lo, s13
	flat_load_dword v0, v[114:115] offset:8
	v_mov_b32_e32 v1, 0
	v_mov_b32_e32 v2, 0
	buffer_store_dword v1, off, s[0:3], s32 offset:256 ; 4-byte Folded Spill
	buffer_store_dword v2, off, s[0:3], s32 offset:260 ; 4-byte Folded Spill
	v_mov_b32_e32 v1, 0
	v_mov_b32_e32 v2, 0
	buffer_store_dword v1, off, s[0:3], s32 offset:248 ; 4-byte Folded Spill
	buffer_store_dword v2, off, s[0:3], s32 offset:252 ; 4-byte Folded Spill
	s_waitcnt vmcnt(0) lgkmcnt(0)
	v_cmp_ne_u16_sdwa s5, v0, v111 src0_sel:BYTE_0 src1_sel:DWORD
	s_and_saveexec_b32 s13, s5
	s_cbranch_execz .LBB249_83
; %bb.76:                               ;   in Loop: Header=BB249_11 Depth=1
	v_bfrev_b32_e32 v1, 1
	v_mov_b32_e32 v2, 0
	v_cmp_ne_u16_sdwa s5, v0, v43 src0_sel:BYTE_0 src1_sel:DWORD
	buffer_store_dword v1, off, s[0:3], s32 offset:248 ; 4-byte Folded Spill
	buffer_store_dword v2, off, s[0:3], s32 offset:252 ; 4-byte Folded Spill
	s_and_saveexec_b32 s17, s5
	s_cbranch_execz .LBB249_82
; %bb.77:                               ;   in Loop: Header=BB249_11 Depth=1
	v_mov_b32_e32 v3, 0x7f800001
	v_and_b32_e32 v2, 0x7f, v0
	v_mov_b32_e32 v4, 0
	s_mov_b32 s21, exec_lo
	buffer_store_dword v3, off, s[0:3], s32 offset:248 ; 4-byte Folded Spill
	buffer_store_dword v4, off, s[0:3], s32 offset:252 ; 4-byte Folded Spill
	v_cmpx_ne_u32_e32 0x7f, v2
	s_cbranch_execz .LBB249_81
; %bb.78:                               ;   in Loop: Header=BB249_11 Depth=1
	v_and_b32_e32 v110, 7, v0
	v_lshrrev_b32_e32 v1, 3, v2
	s_mov_b32 s22, exec_lo
	v_cmpx_gt_u32_e32 8, v2
; %bb.79:                               ;   in Loop: Header=BB249_11 Depth=1
	v_ffbh_u32_e32 v1, v110
	v_min_u32_e32 v1, 32, v1
	v_subrev_nc_u32_e32 v2, 28, v1
	v_sub_nc_u32_e32 v1, 29, v1
	v_lshlrev_b64 v[2:3], v2, v[110:111]
	v_and_b32_e32 v110, 7, v2
; %bb.80:                               ;   in Loop: Header=BB249_11 Depth=1
	s_or_b32 exec_lo, exec_lo, s22
	v_lshlrev_b32_e32 v2, 24, v0
	v_lshlrev_b32_e32 v3, 20, v110
	v_lshl_add_u32 v1, v1, 23, 0x3c000000
	v_and_b32_e32 v2, 0x80000000, v2
	v_or3_b32 v110, v3, v2, v1
	buffer_store_dword v110, off, s[0:3], s32 offset:248 ; 4-byte Folded Spill
	buffer_store_dword v111, off, s[0:3], s32 offset:252 ; 4-byte Folded Spill
.LBB249_81:                             ;   in Loop: Header=BB249_11 Depth=1
	s_or_b32 exec_lo, exec_lo, s21
.LBB249_82:                             ;   in Loop: Header=BB249_11 Depth=1
	s_or_b32 exec_lo, exec_lo, s17
.LBB249_83:                             ;   in Loop: Header=BB249_11 Depth=1
	s_or_b32 exec_lo, exec_lo, s13
	v_cmp_ne_u16_sdwa s5, v0, v111 src0_sel:BYTE_1 src1_sel:DWORD
	s_and_saveexec_b32 s13, s5
	s_cbranch_execz .LBB249_91
; %bb.84:                               ;   in Loop: Header=BB249_11 Depth=1
	v_mov_b32_e32 v112, v111
	v_cmp_ne_u16_sdwa s5, v0, v43 src0_sel:BYTE_1 src1_sel:DWORD
	buffer_store_dword v112, off, s[0:3], s32 offset:256 ; 4-byte Folded Spill
	buffer_store_dword v113, off, s[0:3], s32 offset:260 ; 4-byte Folded Spill
	s_and_saveexec_b32 s17, s5
	s_cbranch_execz .LBB249_90
; %bb.85:                               ;   in Loop: Header=BB249_11 Depth=1
	v_mov_b32_e32 v1, 0xffff
	v_mov_b32_e32 v100, v111
	s_mov_b32 s21, exec_lo
	buffer_store_dword v100, off, s[0:3], s32 offset:256 ; 4-byte Folded Spill
	buffer_store_dword v101, off, s[0:3], s32 offset:260 ; 4-byte Folded Spill
	v_and_b32_sdwa v1, v1, v0 dst_sel:DWORD dst_unused:UNUSED_PAD src0_sel:DWORD src1_sel:BYTE_1
	v_and_b32_e32 v2, 0x7f, v1
	v_cmpx_ne_u32_e32 0x7f, v2
	s_cbranch_execz .LBB249_89
; %bb.86:                               ;   in Loop: Header=BB249_11 Depth=1
	v_and_b32_e32 v110, 7, v1
	v_lshrrev_b32_e32 v1, 3, v2
	s_mov_b32 s22, exec_lo
	v_cmpx_gt_u32_e32 8, v2
; %bb.87:                               ;   in Loop: Header=BB249_11 Depth=1
	v_ffbh_u32_e32 v1, v110
	v_min_u32_e32 v1, 32, v1
	v_subrev_nc_u32_e32 v2, 28, v1
	v_sub_nc_u32_e32 v1, 29, v1
	v_lshlrev_b64 v[2:3], v2, v[110:111]
	v_and_b32_e32 v110, 7, v2
; %bb.88:                               ;   in Loop: Header=BB249_11 Depth=1
	s_or_b32 exec_lo, exec_lo, s22
	v_lshlrev_b32_e32 v2, 16, v0
	v_lshlrev_b32_e32 v3, 20, v110
	v_lshl_add_u32 v1, v1, 23, 0x3c000000
	v_and_b32_e32 v2, 0x80000000, v2
	v_or3_b32 v2, v3, v2, v1
	v_mov_b32_e32 v1, v111
	buffer_store_dword v1, off, s[0:3], s32 offset:256 ; 4-byte Folded Spill
	buffer_store_dword v2, off, s[0:3], s32 offset:260 ; 4-byte Folded Spill
.LBB249_89:                             ;   in Loop: Header=BB249_11 Depth=1
	s_or_b32 exec_lo, exec_lo, s21
.LBB249_90:                             ;   in Loop: Header=BB249_11 Depth=1
	s_or_b32 exec_lo, exec_lo, s17
.LBB249_91:                             ;   in Loop: Header=BB249_11 Depth=1
	s_or_b32 exec_lo, exec_lo, s13
	v_mov_b32_e32 v2, 0
	v_mov_b32_e32 v3, 0
	v_and_b32_sdwa v1, v0, v103 dst_sel:DWORD dst_unused:UNUSED_PAD src0_sel:WORD_1 src1_sel:DWORD
	s_mov_b32 s13, exec_lo
	buffer_store_dword v2, off, s[0:3], s32 offset:264 ; 4-byte Folded Spill
	buffer_store_dword v3, off, s[0:3], s32 offset:268 ; 4-byte Folded Spill
	v_mov_b32_e32 v2, 0
	v_mov_b32_e32 v3, 0
	buffer_store_dword v2, off, s[0:3], s32 offset:272 ; 4-byte Folded Spill
	buffer_store_dword v3, off, s[0:3], s32 offset:276 ; 4-byte Folded Spill
	v_cmpx_ne_u16_e32 0, v1
	s_cbranch_execz .LBB249_99
; %bb.92:                               ;   in Loop: Header=BB249_11 Depth=1
	v_cmp_ne_u16_e64 s5, 0x80, v1
	v_bfrev_b32_e32 v1, 1
	v_mov_b32_e32 v2, 0
	buffer_store_dword v1, off, s[0:3], s32 offset:272 ; 4-byte Folded Spill
	buffer_store_dword v2, off, s[0:3], s32 offset:276 ; 4-byte Folded Spill
	s_and_saveexec_b32 s17, s5
	s_cbranch_execz .LBB249_98
; %bb.93:                               ;   in Loop: Header=BB249_11 Depth=1
	v_mov_b32_e32 v3, 0x7f800001
	v_bfe_u32 v2, v0, 16, 7
	v_mov_b32_e32 v4, 0
	s_mov_b32 s21, exec_lo
	buffer_store_dword v3, off, s[0:3], s32 offset:272 ; 4-byte Folded Spill
	buffer_store_dword v4, off, s[0:3], s32 offset:276 ; 4-byte Folded Spill
	v_cmpx_ne_u32_e32 0x7f, v2
	s_cbranch_execz .LBB249_97
; %bb.94:                               ;   in Loop: Header=BB249_11 Depth=1
	v_mov_b32_e32 v1, 7
	s_mov_b32 s22, exec_lo
	v_and_b32_sdwa v110, v0, v1 dst_sel:DWORD dst_unused:UNUSED_PAD src0_sel:WORD_1 src1_sel:DWORD
	v_lshrrev_b32_e32 v1, 3, v2
	v_cmpx_gt_u32_e32 8, v2
; %bb.95:                               ;   in Loop: Header=BB249_11 Depth=1
	v_ffbh_u32_e32 v1, v110
	v_min_u32_e32 v1, 32, v1
	v_subrev_nc_u32_e32 v2, 28, v1
	v_sub_nc_u32_e32 v1, 29, v1
	v_lshlrev_b64 v[2:3], v2, v[110:111]
	v_and_b32_e32 v110, 7, v2
; %bb.96:                               ;   in Loop: Header=BB249_11 Depth=1
	s_or_b32 exec_lo, exec_lo, s22
	v_mov_b32_e32 v2, 24
	v_lshlrev_b32_e32 v3, 20, v110
	v_lshl_add_u32 v1, v1, 23, 0x3c000000
	v_lshlrev_b32_sdwa v2, v2, v0 dst_sel:DWORD dst_unused:UNUSED_PAD src0_sel:DWORD src1_sel:WORD_1
	v_and_b32_e32 v2, 0x80000000, v2
	v_or3_b32 v110, v3, v2, v1
	buffer_store_dword v110, off, s[0:3], s32 offset:272 ; 4-byte Folded Spill
	buffer_store_dword v111, off, s[0:3], s32 offset:276 ; 4-byte Folded Spill
.LBB249_97:                             ;   in Loop: Header=BB249_11 Depth=1
	s_or_b32 exec_lo, exec_lo, s21
.LBB249_98:                             ;   in Loop: Header=BB249_11 Depth=1
	s_or_b32 exec_lo, exec_lo, s17
.LBB249_99:                             ;   in Loop: Header=BB249_11 Depth=1
	s_or_b32 exec_lo, exec_lo, s13
	s_mov_b32 s13, exec_lo
	v_cmpx_lt_u32_e32 0xffffff, v0
	s_cbranch_execz .LBB249_107
; %bb.100:                              ;   in Loop: Header=BB249_11 Depth=1
	v_mov_b32_e32 v112, v111
	v_cmp_ne_u32_sdwa s5, v0, v43 src0_sel:BYTE_3 src1_sel:DWORD
	buffer_store_dword v112, off, s[0:3], s32 offset:264 ; 4-byte Folded Spill
	buffer_store_dword v113, off, s[0:3], s32 offset:268 ; 4-byte Folded Spill
	s_and_saveexec_b32 s17, s5
	s_cbranch_execz .LBB249_106
; %bb.101:                              ;   in Loop: Header=BB249_11 Depth=1
	v_bfe_u32 v2, v0, 24, 7
	v_mov_b32_e32 v100, v111
	s_mov_b32 s21, exec_lo
	buffer_store_dword v100, off, s[0:3], s32 offset:264 ; 4-byte Folded Spill
	buffer_store_dword v101, off, s[0:3], s32 offset:268 ; 4-byte Folded Spill
	v_cmpx_ne_u32_e32 0x7f, v2
	s_cbranch_execz .LBB249_105
; %bb.102:                              ;   in Loop: Header=BB249_11 Depth=1
	v_mov_b32_e32 v1, 7
	s_mov_b32 s22, exec_lo
	v_and_b32_sdwa v110, v0, v1 dst_sel:DWORD dst_unused:UNUSED_PAD src0_sel:BYTE_3 src1_sel:DWORD
	v_lshrrev_b32_e32 v1, 3, v2
	v_cmpx_gt_u32_e32 8, v2
; %bb.103:                              ;   in Loop: Header=BB249_11 Depth=1
	v_ffbh_u32_e32 v1, v110
	v_min_u32_e32 v1, 32, v1
	v_subrev_nc_u32_e32 v2, 28, v1
	v_sub_nc_u32_e32 v1, 29, v1
	v_lshlrev_b64 v[2:3], v2, v[110:111]
	v_and_b32_e32 v110, 7, v2
; %bb.104:                              ;   in Loop: Header=BB249_11 Depth=1
	s_or_b32 exec_lo, exec_lo, s22
	v_mov_b32_e32 v2, 24
	v_lshl_add_u32 v1, v1, 23, 0x3c000000
	v_lshlrev_b32_sdwa v0, v2, v0 dst_sel:DWORD dst_unused:UNUSED_PAD src0_sel:DWORD src1_sel:BYTE_3
	v_lshlrev_b32_e32 v2, 20, v110
	v_and_b32_e32 v0, 0x80000000, v0
	v_or3_b32 v1, v2, v0, v1
	v_mov_b32_e32 v0, v111
	buffer_store_dword v0, off, s[0:3], s32 offset:264 ; 4-byte Folded Spill
	buffer_store_dword v1, off, s[0:3], s32 offset:268 ; 4-byte Folded Spill
.LBB249_105:                            ;   in Loop: Header=BB249_11 Depth=1
	s_or_b32 exec_lo, exec_lo, s21
.LBB249_106:                            ;   in Loop: Header=BB249_11 Depth=1
	s_or_b32 exec_lo, exec_lo, s17
.LBB249_107:                            ;   in Loop: Header=BB249_11 Depth=1
	s_or_b32 exec_lo, exec_lo, s13
	flat_load_dword v0, v[114:115] offset:12
	v_mov_b32_e32 v1, 0
	v_mov_b32_e32 v2, 0
	buffer_store_dword v1, off, s[0:3], s32 offset:288 ; 4-byte Folded Spill
	buffer_store_dword v2, off, s[0:3], s32 offset:292 ; 4-byte Folded Spill
	v_mov_b32_e32 v1, 0
	v_mov_b32_e32 v2, 0
	buffer_store_dword v1, off, s[0:3], s32 offset:280 ; 4-byte Folded Spill
	buffer_store_dword v2, off, s[0:3], s32 offset:284 ; 4-byte Folded Spill
	s_waitcnt vmcnt(0) lgkmcnt(0)
	v_cmp_ne_u16_sdwa s5, v0, v111 src0_sel:BYTE_0 src1_sel:DWORD
	s_and_saveexec_b32 s13, s5
	s_cbranch_execz .LBB249_115
; %bb.108:                              ;   in Loop: Header=BB249_11 Depth=1
	v_bfrev_b32_e32 v1, 1
	v_mov_b32_e32 v2, 0
	v_cmp_ne_u16_sdwa s5, v0, v43 src0_sel:BYTE_0 src1_sel:DWORD
	buffer_store_dword v1, off, s[0:3], s32 offset:280 ; 4-byte Folded Spill
	buffer_store_dword v2, off, s[0:3], s32 offset:284 ; 4-byte Folded Spill
	s_and_saveexec_b32 s17, s5
	s_cbranch_execz .LBB249_114
; %bb.109:                              ;   in Loop: Header=BB249_11 Depth=1
	v_mov_b32_e32 v3, 0x7f800001
	v_and_b32_e32 v2, 0x7f, v0
	v_mov_b32_e32 v4, 0
	s_mov_b32 s21, exec_lo
	buffer_store_dword v3, off, s[0:3], s32 offset:280 ; 4-byte Folded Spill
	buffer_store_dword v4, off, s[0:3], s32 offset:284 ; 4-byte Folded Spill
	v_cmpx_ne_u32_e32 0x7f, v2
	s_cbranch_execz .LBB249_113
; %bb.110:                              ;   in Loop: Header=BB249_11 Depth=1
	v_and_b32_e32 v110, 7, v0
	v_lshrrev_b32_e32 v1, 3, v2
	s_mov_b32 s22, exec_lo
	v_cmpx_gt_u32_e32 8, v2
; %bb.111:                              ;   in Loop: Header=BB249_11 Depth=1
	v_ffbh_u32_e32 v1, v110
	v_min_u32_e32 v1, 32, v1
	v_subrev_nc_u32_e32 v2, 28, v1
	v_sub_nc_u32_e32 v1, 29, v1
	v_lshlrev_b64 v[2:3], v2, v[110:111]
	v_and_b32_e32 v110, 7, v2
; %bb.112:                              ;   in Loop: Header=BB249_11 Depth=1
	s_or_b32 exec_lo, exec_lo, s22
	v_lshlrev_b32_e32 v2, 24, v0
	v_lshlrev_b32_e32 v3, 20, v110
	v_lshl_add_u32 v1, v1, 23, 0x3c000000
	v_and_b32_e32 v2, 0x80000000, v2
	v_or3_b32 v110, v3, v2, v1
	buffer_store_dword v110, off, s[0:3], s32 offset:280 ; 4-byte Folded Spill
	buffer_store_dword v111, off, s[0:3], s32 offset:284 ; 4-byte Folded Spill
.LBB249_113:                            ;   in Loop: Header=BB249_11 Depth=1
	s_or_b32 exec_lo, exec_lo, s21
.LBB249_114:                            ;   in Loop: Header=BB249_11 Depth=1
	s_or_b32 exec_lo, exec_lo, s17
.LBB249_115:                            ;   in Loop: Header=BB249_11 Depth=1
	s_or_b32 exec_lo, exec_lo, s13
	v_cmp_ne_u16_sdwa s5, v0, v111 src0_sel:BYTE_1 src1_sel:DWORD
	s_and_saveexec_b32 s13, s5
	s_cbranch_execz .LBB249_123
; %bb.116:                              ;   in Loop: Header=BB249_11 Depth=1
	v_mov_b32_e32 v112, v111
	v_cmp_ne_u16_sdwa s5, v0, v43 src0_sel:BYTE_1 src1_sel:DWORD
	buffer_store_dword v112, off, s[0:3], s32 offset:288 ; 4-byte Folded Spill
	buffer_store_dword v113, off, s[0:3], s32 offset:292 ; 4-byte Folded Spill
	s_and_saveexec_b32 s17, s5
	s_cbranch_execz .LBB249_122
; %bb.117:                              ;   in Loop: Header=BB249_11 Depth=1
	v_mov_b32_e32 v1, 0xffff
	v_mov_b32_e32 v100, v111
	s_mov_b32 s21, exec_lo
	buffer_store_dword v100, off, s[0:3], s32 offset:288 ; 4-byte Folded Spill
	buffer_store_dword v101, off, s[0:3], s32 offset:292 ; 4-byte Folded Spill
	v_and_b32_sdwa v1, v1, v0 dst_sel:DWORD dst_unused:UNUSED_PAD src0_sel:DWORD src1_sel:BYTE_1
	v_and_b32_e32 v2, 0x7f, v1
	v_cmpx_ne_u32_e32 0x7f, v2
	s_cbranch_execz .LBB249_121
; %bb.118:                              ;   in Loop: Header=BB249_11 Depth=1
	v_and_b32_e32 v110, 7, v1
	v_lshrrev_b32_e32 v1, 3, v2
	s_mov_b32 s22, exec_lo
	v_cmpx_gt_u32_e32 8, v2
; %bb.119:                              ;   in Loop: Header=BB249_11 Depth=1
	v_ffbh_u32_e32 v1, v110
	v_min_u32_e32 v1, 32, v1
	v_subrev_nc_u32_e32 v2, 28, v1
	v_sub_nc_u32_e32 v1, 29, v1
	v_lshlrev_b64 v[2:3], v2, v[110:111]
	v_and_b32_e32 v110, 7, v2
; %bb.120:                              ;   in Loop: Header=BB249_11 Depth=1
	s_or_b32 exec_lo, exec_lo, s22
	v_lshlrev_b32_e32 v2, 16, v0
	v_lshlrev_b32_e32 v3, 20, v110
	v_lshl_add_u32 v1, v1, 23, 0x3c000000
	v_and_b32_e32 v2, 0x80000000, v2
	v_or3_b32 v2, v3, v2, v1
	v_mov_b32_e32 v1, v111
	buffer_store_dword v1, off, s[0:3], s32 offset:288 ; 4-byte Folded Spill
	buffer_store_dword v2, off, s[0:3], s32 offset:292 ; 4-byte Folded Spill
.LBB249_121:                            ;   in Loop: Header=BB249_11 Depth=1
	s_or_b32 exec_lo, exec_lo, s21
.LBB249_122:                            ;   in Loop: Header=BB249_11 Depth=1
	s_or_b32 exec_lo, exec_lo, s17
.LBB249_123:                            ;   in Loop: Header=BB249_11 Depth=1
	s_or_b32 exec_lo, exec_lo, s13
	v_mov_b32_e32 v2, 0
	v_mov_b32_e32 v3, 0
	v_and_b32_sdwa v1, v0, v103 dst_sel:DWORD dst_unused:UNUSED_PAD src0_sel:WORD_1 src1_sel:DWORD
	s_mov_b32 s13, exec_lo
	buffer_store_dword v2, off, s[0:3], s32 offset:296 ; 4-byte Folded Spill
	buffer_store_dword v3, off, s[0:3], s32 offset:300 ; 4-byte Folded Spill
	v_mov_b32_e32 v2, 0
	v_mov_b32_e32 v3, 0
	buffer_store_dword v2, off, s[0:3], s32 offset:304 ; 4-byte Folded Spill
	buffer_store_dword v3, off, s[0:3], s32 offset:308 ; 4-byte Folded Spill
	v_cmpx_ne_u16_e32 0, v1
	s_cbranch_execz .LBB249_131
; %bb.124:                              ;   in Loop: Header=BB249_11 Depth=1
	v_cmp_ne_u16_e64 s5, 0x80, v1
	v_bfrev_b32_e32 v1, 1
	v_mov_b32_e32 v2, 0
	buffer_store_dword v1, off, s[0:3], s32 offset:304 ; 4-byte Folded Spill
	buffer_store_dword v2, off, s[0:3], s32 offset:308 ; 4-byte Folded Spill
	s_and_saveexec_b32 s17, s5
	s_cbranch_execz .LBB249_130
; %bb.125:                              ;   in Loop: Header=BB249_11 Depth=1
	v_mov_b32_e32 v3, 0x7f800001
	v_bfe_u32 v2, v0, 16, 7
	v_mov_b32_e32 v4, 0
	s_mov_b32 s21, exec_lo
	buffer_store_dword v3, off, s[0:3], s32 offset:304 ; 4-byte Folded Spill
	buffer_store_dword v4, off, s[0:3], s32 offset:308 ; 4-byte Folded Spill
	v_cmpx_ne_u32_e32 0x7f, v2
	s_cbranch_execz .LBB249_129
; %bb.126:                              ;   in Loop: Header=BB249_11 Depth=1
	v_mov_b32_e32 v1, 7
	s_mov_b32 s22, exec_lo
	v_and_b32_sdwa v110, v0, v1 dst_sel:DWORD dst_unused:UNUSED_PAD src0_sel:WORD_1 src1_sel:DWORD
	v_lshrrev_b32_e32 v1, 3, v2
	v_cmpx_gt_u32_e32 8, v2
; %bb.127:                              ;   in Loop: Header=BB249_11 Depth=1
	v_ffbh_u32_e32 v1, v110
	v_min_u32_e32 v1, 32, v1
	v_subrev_nc_u32_e32 v2, 28, v1
	v_sub_nc_u32_e32 v1, 29, v1
	v_lshlrev_b64 v[2:3], v2, v[110:111]
	v_and_b32_e32 v110, 7, v2
; %bb.128:                              ;   in Loop: Header=BB249_11 Depth=1
	s_or_b32 exec_lo, exec_lo, s22
	v_mov_b32_e32 v2, 24
	v_lshlrev_b32_e32 v3, 20, v110
	v_lshl_add_u32 v1, v1, 23, 0x3c000000
	v_lshlrev_b32_sdwa v2, v2, v0 dst_sel:DWORD dst_unused:UNUSED_PAD src0_sel:DWORD src1_sel:WORD_1
	v_and_b32_e32 v2, 0x80000000, v2
	v_or3_b32 v110, v3, v2, v1
	buffer_store_dword v110, off, s[0:3], s32 offset:304 ; 4-byte Folded Spill
	buffer_store_dword v111, off, s[0:3], s32 offset:308 ; 4-byte Folded Spill
.LBB249_129:                            ;   in Loop: Header=BB249_11 Depth=1
	s_or_b32 exec_lo, exec_lo, s21
.LBB249_130:                            ;   in Loop: Header=BB249_11 Depth=1
	s_or_b32 exec_lo, exec_lo, s17
.LBB249_131:                            ;   in Loop: Header=BB249_11 Depth=1
	s_or_b32 exec_lo, exec_lo, s13
	s_mov_b32 s13, exec_lo
	v_cmpx_lt_u32_e32 0xffffff, v0
	s_cbranch_execz .LBB249_139
; %bb.132:                              ;   in Loop: Header=BB249_11 Depth=1
	v_mov_b32_e32 v112, v111
	v_cmp_ne_u32_sdwa s5, v0, v43 src0_sel:BYTE_3 src1_sel:DWORD
	buffer_store_dword v112, off, s[0:3], s32 offset:296 ; 4-byte Folded Spill
	buffer_store_dword v113, off, s[0:3], s32 offset:300 ; 4-byte Folded Spill
	s_and_saveexec_b32 s17, s5
	s_cbranch_execz .LBB249_138
; %bb.133:                              ;   in Loop: Header=BB249_11 Depth=1
	v_bfe_u32 v2, v0, 24, 7
	v_mov_b32_e32 v100, v111
	s_mov_b32 s21, exec_lo
	buffer_store_dword v100, off, s[0:3], s32 offset:296 ; 4-byte Folded Spill
	buffer_store_dword v101, off, s[0:3], s32 offset:300 ; 4-byte Folded Spill
	v_cmpx_ne_u32_e32 0x7f, v2
	s_cbranch_execz .LBB249_137
; %bb.134:                              ;   in Loop: Header=BB249_11 Depth=1
	v_mov_b32_e32 v1, 7
	s_mov_b32 s22, exec_lo
	v_and_b32_sdwa v110, v0, v1 dst_sel:DWORD dst_unused:UNUSED_PAD src0_sel:BYTE_3 src1_sel:DWORD
	v_lshrrev_b32_e32 v1, 3, v2
	v_cmpx_gt_u32_e32 8, v2
; %bb.135:                              ;   in Loop: Header=BB249_11 Depth=1
	v_ffbh_u32_e32 v1, v110
	v_min_u32_e32 v1, 32, v1
	v_subrev_nc_u32_e32 v2, 28, v1
	v_sub_nc_u32_e32 v1, 29, v1
	v_lshlrev_b64 v[2:3], v2, v[110:111]
	v_and_b32_e32 v110, 7, v2
; %bb.136:                              ;   in Loop: Header=BB249_11 Depth=1
	s_or_b32 exec_lo, exec_lo, s22
	v_mov_b32_e32 v2, 24
	v_lshl_add_u32 v1, v1, 23, 0x3c000000
	v_lshlrev_b32_sdwa v0, v2, v0 dst_sel:DWORD dst_unused:UNUSED_PAD src0_sel:DWORD src1_sel:BYTE_3
	v_lshlrev_b32_e32 v2, 20, v110
	v_and_b32_e32 v0, 0x80000000, v0
	v_or3_b32 v1, v2, v0, v1
	v_mov_b32_e32 v0, v111
	buffer_store_dword v0, off, s[0:3], s32 offset:296 ; 4-byte Folded Spill
	buffer_store_dword v1, off, s[0:3], s32 offset:300 ; 4-byte Folded Spill
.LBB249_137:                            ;   in Loop: Header=BB249_11 Depth=1
	s_or_b32 exec_lo, exec_lo, s21
.LBB249_138:                            ;   in Loop: Header=BB249_11 Depth=1
	s_or_b32 exec_lo, exec_lo, s17
.LBB249_139:                            ;   in Loop: Header=BB249_11 Depth=1
	s_or_b32 exec_lo, exec_lo, s13
	flat_load_dword v0, v[114:115] offset:512
	v_mov_b32_e32 v1, 0
	v_mov_b32_e32 v2, 0
	buffer_store_dword v1, off, s[0:3], s32 offset:320 ; 4-byte Folded Spill
	buffer_store_dword v2, off, s[0:3], s32 offset:324 ; 4-byte Folded Spill
	v_mov_b32_e32 v1, 0
	v_mov_b32_e32 v2, 0
	buffer_store_dword v1, off, s[0:3], s32 offset:312 ; 4-byte Folded Spill
	buffer_store_dword v2, off, s[0:3], s32 offset:316 ; 4-byte Folded Spill
	s_waitcnt vmcnt(0) lgkmcnt(0)
	v_cmp_ne_u16_sdwa s5, v0, v111 src0_sel:BYTE_0 src1_sel:DWORD
	s_and_saveexec_b32 s13, s5
	s_cbranch_execz .LBB249_147
; %bb.140:                              ;   in Loop: Header=BB249_11 Depth=1
	v_bfrev_b32_e32 v1, 1
	v_mov_b32_e32 v2, 0
	v_cmp_ne_u16_sdwa s5, v0, v43 src0_sel:BYTE_0 src1_sel:DWORD
	buffer_store_dword v1, off, s[0:3], s32 offset:312 ; 4-byte Folded Spill
	buffer_store_dword v2, off, s[0:3], s32 offset:316 ; 4-byte Folded Spill
	s_and_saveexec_b32 s17, s5
	s_cbranch_execz .LBB249_146
; %bb.141:                              ;   in Loop: Header=BB249_11 Depth=1
	v_mov_b32_e32 v3, 0x7f800001
	v_and_b32_e32 v2, 0x7f, v0
	v_mov_b32_e32 v4, 0
	s_mov_b32 s21, exec_lo
	buffer_store_dword v3, off, s[0:3], s32 offset:312 ; 4-byte Folded Spill
	buffer_store_dword v4, off, s[0:3], s32 offset:316 ; 4-byte Folded Spill
	v_cmpx_ne_u32_e32 0x7f, v2
	s_cbranch_execz .LBB249_145
; %bb.142:                              ;   in Loop: Header=BB249_11 Depth=1
	v_and_b32_e32 v110, 7, v0
	v_lshrrev_b32_e32 v1, 3, v2
	s_mov_b32 s22, exec_lo
	v_cmpx_gt_u32_e32 8, v2
; %bb.143:                              ;   in Loop: Header=BB249_11 Depth=1
	v_ffbh_u32_e32 v1, v110
	v_min_u32_e32 v1, 32, v1
	v_subrev_nc_u32_e32 v2, 28, v1
	v_sub_nc_u32_e32 v1, 29, v1
	v_lshlrev_b64 v[2:3], v2, v[110:111]
	v_and_b32_e32 v110, 7, v2
; %bb.144:                              ;   in Loop: Header=BB249_11 Depth=1
	s_or_b32 exec_lo, exec_lo, s22
	v_lshlrev_b32_e32 v2, 24, v0
	v_lshlrev_b32_e32 v3, 20, v110
	v_lshl_add_u32 v1, v1, 23, 0x3c000000
	v_and_b32_e32 v2, 0x80000000, v2
	v_or3_b32 v110, v3, v2, v1
	buffer_store_dword v110, off, s[0:3], s32 offset:312 ; 4-byte Folded Spill
	buffer_store_dword v111, off, s[0:3], s32 offset:316 ; 4-byte Folded Spill
.LBB249_145:                            ;   in Loop: Header=BB249_11 Depth=1
	s_or_b32 exec_lo, exec_lo, s21
.LBB249_146:                            ;   in Loop: Header=BB249_11 Depth=1
	s_or_b32 exec_lo, exec_lo, s17
.LBB249_147:                            ;   in Loop: Header=BB249_11 Depth=1
	s_or_b32 exec_lo, exec_lo, s13
	v_cmp_ne_u16_sdwa s5, v0, v111 src0_sel:BYTE_1 src1_sel:DWORD
	s_and_saveexec_b32 s13, s5
	s_cbranch_execz .LBB249_155
; %bb.148:                              ;   in Loop: Header=BB249_11 Depth=1
	v_mov_b32_e32 v112, v111
	v_cmp_ne_u16_sdwa s5, v0, v43 src0_sel:BYTE_1 src1_sel:DWORD
	buffer_store_dword v112, off, s[0:3], s32 offset:320 ; 4-byte Folded Spill
	buffer_store_dword v113, off, s[0:3], s32 offset:324 ; 4-byte Folded Spill
	s_and_saveexec_b32 s17, s5
	s_cbranch_execz .LBB249_154
; %bb.149:                              ;   in Loop: Header=BB249_11 Depth=1
	v_mov_b32_e32 v1, 0xffff
	v_mov_b32_e32 v100, v111
	s_mov_b32 s21, exec_lo
	buffer_store_dword v100, off, s[0:3], s32 offset:320 ; 4-byte Folded Spill
	buffer_store_dword v101, off, s[0:3], s32 offset:324 ; 4-byte Folded Spill
	v_and_b32_sdwa v1, v1, v0 dst_sel:DWORD dst_unused:UNUSED_PAD src0_sel:DWORD src1_sel:BYTE_1
	v_and_b32_e32 v2, 0x7f, v1
	v_cmpx_ne_u32_e32 0x7f, v2
	s_cbranch_execz .LBB249_153
; %bb.150:                              ;   in Loop: Header=BB249_11 Depth=1
	v_and_b32_e32 v110, 7, v1
	v_lshrrev_b32_e32 v1, 3, v2
	s_mov_b32 s22, exec_lo
	v_cmpx_gt_u32_e32 8, v2
; %bb.151:                              ;   in Loop: Header=BB249_11 Depth=1
	v_ffbh_u32_e32 v1, v110
	v_min_u32_e32 v1, 32, v1
	v_subrev_nc_u32_e32 v2, 28, v1
	v_sub_nc_u32_e32 v1, 29, v1
	v_lshlrev_b64 v[2:3], v2, v[110:111]
	v_and_b32_e32 v110, 7, v2
; %bb.152:                              ;   in Loop: Header=BB249_11 Depth=1
	s_or_b32 exec_lo, exec_lo, s22
	v_lshlrev_b32_e32 v2, 16, v0
	v_lshlrev_b32_e32 v3, 20, v110
	v_lshl_add_u32 v1, v1, 23, 0x3c000000
	v_and_b32_e32 v2, 0x80000000, v2
	v_or3_b32 v2, v3, v2, v1
	v_mov_b32_e32 v1, v111
	buffer_store_dword v1, off, s[0:3], s32 offset:320 ; 4-byte Folded Spill
	buffer_store_dword v2, off, s[0:3], s32 offset:324 ; 4-byte Folded Spill
.LBB249_153:                            ;   in Loop: Header=BB249_11 Depth=1
	s_or_b32 exec_lo, exec_lo, s21
.LBB249_154:                            ;   in Loop: Header=BB249_11 Depth=1
	s_or_b32 exec_lo, exec_lo, s17
.LBB249_155:                            ;   in Loop: Header=BB249_11 Depth=1
	s_or_b32 exec_lo, exec_lo, s13
	v_mov_b32_e32 v2, 0
	v_mov_b32_e32 v3, 0
	v_and_b32_sdwa v1, v0, v103 dst_sel:DWORD dst_unused:UNUSED_PAD src0_sel:WORD_1 src1_sel:DWORD
	s_mov_b32 s13, exec_lo
	buffer_store_dword v2, off, s[0:3], s32 offset:328 ; 4-byte Folded Spill
	buffer_store_dword v3, off, s[0:3], s32 offset:332 ; 4-byte Folded Spill
	v_mov_b32_e32 v2, 0
	v_mov_b32_e32 v3, 0
	buffer_store_dword v2, off, s[0:3], s32 offset:336 ; 4-byte Folded Spill
	buffer_store_dword v3, off, s[0:3], s32 offset:340 ; 4-byte Folded Spill
	v_cmpx_ne_u16_e32 0, v1
	s_cbranch_execz .LBB249_163
; %bb.156:                              ;   in Loop: Header=BB249_11 Depth=1
	v_cmp_ne_u16_e64 s5, 0x80, v1
	v_bfrev_b32_e32 v1, 1
	v_mov_b32_e32 v2, 0
	buffer_store_dword v1, off, s[0:3], s32 offset:336 ; 4-byte Folded Spill
	buffer_store_dword v2, off, s[0:3], s32 offset:340 ; 4-byte Folded Spill
	s_and_saveexec_b32 s17, s5
	s_cbranch_execz .LBB249_162
; %bb.157:                              ;   in Loop: Header=BB249_11 Depth=1
	v_mov_b32_e32 v3, 0x7f800001
	v_bfe_u32 v2, v0, 16, 7
	v_mov_b32_e32 v4, 0
	s_mov_b32 s21, exec_lo
	buffer_store_dword v3, off, s[0:3], s32 offset:336 ; 4-byte Folded Spill
	buffer_store_dword v4, off, s[0:3], s32 offset:340 ; 4-byte Folded Spill
	v_cmpx_ne_u32_e32 0x7f, v2
	s_cbranch_execz .LBB249_161
; %bb.158:                              ;   in Loop: Header=BB249_11 Depth=1
	v_mov_b32_e32 v1, 7
	s_mov_b32 s22, exec_lo
	v_and_b32_sdwa v110, v0, v1 dst_sel:DWORD dst_unused:UNUSED_PAD src0_sel:WORD_1 src1_sel:DWORD
	v_lshrrev_b32_e32 v1, 3, v2
	v_cmpx_gt_u32_e32 8, v2
; %bb.159:                              ;   in Loop: Header=BB249_11 Depth=1
	v_ffbh_u32_e32 v1, v110
	v_min_u32_e32 v1, 32, v1
	v_subrev_nc_u32_e32 v2, 28, v1
	v_sub_nc_u32_e32 v1, 29, v1
	v_lshlrev_b64 v[2:3], v2, v[110:111]
	v_and_b32_e32 v110, 7, v2
; %bb.160:                              ;   in Loop: Header=BB249_11 Depth=1
	s_or_b32 exec_lo, exec_lo, s22
	v_mov_b32_e32 v2, 24
	v_lshlrev_b32_e32 v3, 20, v110
	v_lshl_add_u32 v1, v1, 23, 0x3c000000
	v_lshlrev_b32_sdwa v2, v2, v0 dst_sel:DWORD dst_unused:UNUSED_PAD src0_sel:DWORD src1_sel:WORD_1
	v_and_b32_e32 v2, 0x80000000, v2
	v_or3_b32 v110, v3, v2, v1
	buffer_store_dword v110, off, s[0:3], s32 offset:336 ; 4-byte Folded Spill
	buffer_store_dword v111, off, s[0:3], s32 offset:340 ; 4-byte Folded Spill
.LBB249_161:                            ;   in Loop: Header=BB249_11 Depth=1
	s_or_b32 exec_lo, exec_lo, s21
.LBB249_162:                            ;   in Loop: Header=BB249_11 Depth=1
	s_or_b32 exec_lo, exec_lo, s17
.LBB249_163:                            ;   in Loop: Header=BB249_11 Depth=1
	s_or_b32 exec_lo, exec_lo, s13
	s_mov_b32 s13, exec_lo
	v_cmpx_lt_u32_e32 0xffffff, v0
	s_cbranch_execz .LBB249_171
; %bb.164:                              ;   in Loop: Header=BB249_11 Depth=1
	v_mov_b32_e32 v112, v111
	v_cmp_ne_u32_sdwa s5, v0, v43 src0_sel:BYTE_3 src1_sel:DWORD
	buffer_store_dword v112, off, s[0:3], s32 offset:328 ; 4-byte Folded Spill
	buffer_store_dword v113, off, s[0:3], s32 offset:332 ; 4-byte Folded Spill
	s_and_saveexec_b32 s17, s5
	s_cbranch_execz .LBB249_170
; %bb.165:                              ;   in Loop: Header=BB249_11 Depth=1
	v_bfe_u32 v2, v0, 24, 7
	v_mov_b32_e32 v100, v111
	s_mov_b32 s21, exec_lo
	buffer_store_dword v100, off, s[0:3], s32 offset:328 ; 4-byte Folded Spill
	buffer_store_dword v101, off, s[0:3], s32 offset:332 ; 4-byte Folded Spill
	v_cmpx_ne_u32_e32 0x7f, v2
	s_cbranch_execz .LBB249_169
; %bb.166:                              ;   in Loop: Header=BB249_11 Depth=1
	v_mov_b32_e32 v1, 7
	s_mov_b32 s22, exec_lo
	v_and_b32_sdwa v110, v0, v1 dst_sel:DWORD dst_unused:UNUSED_PAD src0_sel:BYTE_3 src1_sel:DWORD
	v_lshrrev_b32_e32 v1, 3, v2
	v_cmpx_gt_u32_e32 8, v2
; %bb.167:                              ;   in Loop: Header=BB249_11 Depth=1
	v_ffbh_u32_e32 v1, v110
	v_min_u32_e32 v1, 32, v1
	v_subrev_nc_u32_e32 v2, 28, v1
	v_sub_nc_u32_e32 v1, 29, v1
	v_lshlrev_b64 v[2:3], v2, v[110:111]
	v_and_b32_e32 v110, 7, v2
; %bb.168:                              ;   in Loop: Header=BB249_11 Depth=1
	s_or_b32 exec_lo, exec_lo, s22
	v_mov_b32_e32 v2, 24
	v_lshl_add_u32 v1, v1, 23, 0x3c000000
	v_lshlrev_b32_sdwa v0, v2, v0 dst_sel:DWORD dst_unused:UNUSED_PAD src0_sel:DWORD src1_sel:BYTE_3
	v_lshlrev_b32_e32 v2, 20, v110
	v_and_b32_e32 v0, 0x80000000, v0
	v_or3_b32 v1, v2, v0, v1
	v_mov_b32_e32 v0, v111
	buffer_store_dword v0, off, s[0:3], s32 offset:328 ; 4-byte Folded Spill
	buffer_store_dword v1, off, s[0:3], s32 offset:332 ; 4-byte Folded Spill
.LBB249_169:                            ;   in Loop: Header=BB249_11 Depth=1
	s_or_b32 exec_lo, exec_lo, s21
.LBB249_170:                            ;   in Loop: Header=BB249_11 Depth=1
	s_or_b32 exec_lo, exec_lo, s17
.LBB249_171:                            ;   in Loop: Header=BB249_11 Depth=1
	s_or_b32 exec_lo, exec_lo, s13
	flat_load_dword v0, v[114:115] offset:516
	v_mov_b32_e32 v1, 0
	v_mov_b32_e32 v2, 0
	buffer_store_dword v1, off, s[0:3], s32 offset:352 ; 4-byte Folded Spill
	buffer_store_dword v2, off, s[0:3], s32 offset:356 ; 4-byte Folded Spill
	v_mov_b32_e32 v1, 0
	v_mov_b32_e32 v2, 0
	buffer_store_dword v1, off, s[0:3], s32 offset:344 ; 4-byte Folded Spill
	buffer_store_dword v2, off, s[0:3], s32 offset:348 ; 4-byte Folded Spill
	s_waitcnt vmcnt(0) lgkmcnt(0)
	v_cmp_ne_u16_sdwa s5, v0, v111 src0_sel:BYTE_0 src1_sel:DWORD
	s_and_saveexec_b32 s13, s5
	s_cbranch_execz .LBB249_179
; %bb.172:                              ;   in Loop: Header=BB249_11 Depth=1
	v_bfrev_b32_e32 v1, 1
	v_mov_b32_e32 v2, 0
	v_cmp_ne_u16_sdwa s5, v0, v43 src0_sel:BYTE_0 src1_sel:DWORD
	buffer_store_dword v1, off, s[0:3], s32 offset:344 ; 4-byte Folded Spill
	buffer_store_dword v2, off, s[0:3], s32 offset:348 ; 4-byte Folded Spill
	s_and_saveexec_b32 s17, s5
	s_cbranch_execz .LBB249_178
; %bb.173:                              ;   in Loop: Header=BB249_11 Depth=1
	v_mov_b32_e32 v3, 0x7f800001
	v_and_b32_e32 v2, 0x7f, v0
	v_mov_b32_e32 v4, 0
	s_mov_b32 s21, exec_lo
	buffer_store_dword v3, off, s[0:3], s32 offset:344 ; 4-byte Folded Spill
	buffer_store_dword v4, off, s[0:3], s32 offset:348 ; 4-byte Folded Spill
	v_cmpx_ne_u32_e32 0x7f, v2
	s_cbranch_execz .LBB249_177
; %bb.174:                              ;   in Loop: Header=BB249_11 Depth=1
	v_and_b32_e32 v110, 7, v0
	v_lshrrev_b32_e32 v1, 3, v2
	s_mov_b32 s22, exec_lo
	v_cmpx_gt_u32_e32 8, v2
; %bb.175:                              ;   in Loop: Header=BB249_11 Depth=1
	v_ffbh_u32_e32 v1, v110
	v_min_u32_e32 v1, 32, v1
	v_subrev_nc_u32_e32 v2, 28, v1
	v_sub_nc_u32_e32 v1, 29, v1
	v_lshlrev_b64 v[2:3], v2, v[110:111]
	v_and_b32_e32 v110, 7, v2
; %bb.176:                              ;   in Loop: Header=BB249_11 Depth=1
	s_or_b32 exec_lo, exec_lo, s22
	v_lshlrev_b32_e32 v2, 24, v0
	v_lshlrev_b32_e32 v3, 20, v110
	v_lshl_add_u32 v1, v1, 23, 0x3c000000
	v_and_b32_e32 v2, 0x80000000, v2
	v_or3_b32 v110, v3, v2, v1
	buffer_store_dword v110, off, s[0:3], s32 offset:344 ; 4-byte Folded Spill
	buffer_store_dword v111, off, s[0:3], s32 offset:348 ; 4-byte Folded Spill
.LBB249_177:                            ;   in Loop: Header=BB249_11 Depth=1
	s_or_b32 exec_lo, exec_lo, s21
.LBB249_178:                            ;   in Loop: Header=BB249_11 Depth=1
	s_or_b32 exec_lo, exec_lo, s17
.LBB249_179:                            ;   in Loop: Header=BB249_11 Depth=1
	s_or_b32 exec_lo, exec_lo, s13
	v_cmp_ne_u16_sdwa s5, v0, v111 src0_sel:BYTE_1 src1_sel:DWORD
	s_and_saveexec_b32 s13, s5
	s_cbranch_execz .LBB249_187
; %bb.180:                              ;   in Loop: Header=BB249_11 Depth=1
	v_mov_b32_e32 v112, v111
	v_cmp_ne_u16_sdwa s5, v0, v43 src0_sel:BYTE_1 src1_sel:DWORD
	buffer_store_dword v112, off, s[0:3], s32 offset:352 ; 4-byte Folded Spill
	buffer_store_dword v113, off, s[0:3], s32 offset:356 ; 4-byte Folded Spill
	s_and_saveexec_b32 s17, s5
	s_cbranch_execz .LBB249_186
; %bb.181:                              ;   in Loop: Header=BB249_11 Depth=1
	v_mov_b32_e32 v1, 0xffff
	v_mov_b32_e32 v100, v111
	s_mov_b32 s21, exec_lo
	buffer_store_dword v100, off, s[0:3], s32 offset:352 ; 4-byte Folded Spill
	buffer_store_dword v101, off, s[0:3], s32 offset:356 ; 4-byte Folded Spill
	v_and_b32_sdwa v1, v1, v0 dst_sel:DWORD dst_unused:UNUSED_PAD src0_sel:DWORD src1_sel:BYTE_1
	v_and_b32_e32 v2, 0x7f, v1
	v_cmpx_ne_u32_e32 0x7f, v2
	s_cbranch_execz .LBB249_185
; %bb.182:                              ;   in Loop: Header=BB249_11 Depth=1
	v_and_b32_e32 v110, 7, v1
	v_lshrrev_b32_e32 v1, 3, v2
	s_mov_b32 s22, exec_lo
	v_cmpx_gt_u32_e32 8, v2
; %bb.183:                              ;   in Loop: Header=BB249_11 Depth=1
	v_ffbh_u32_e32 v1, v110
	v_min_u32_e32 v1, 32, v1
	v_subrev_nc_u32_e32 v2, 28, v1
	v_sub_nc_u32_e32 v1, 29, v1
	v_lshlrev_b64 v[2:3], v2, v[110:111]
	v_and_b32_e32 v110, 7, v2
; %bb.184:                              ;   in Loop: Header=BB249_11 Depth=1
	s_or_b32 exec_lo, exec_lo, s22
	v_lshlrev_b32_e32 v2, 16, v0
	v_lshlrev_b32_e32 v3, 20, v110
	v_lshl_add_u32 v1, v1, 23, 0x3c000000
	v_and_b32_e32 v2, 0x80000000, v2
	v_or3_b32 v2, v3, v2, v1
	v_mov_b32_e32 v1, v111
	buffer_store_dword v1, off, s[0:3], s32 offset:352 ; 4-byte Folded Spill
	buffer_store_dword v2, off, s[0:3], s32 offset:356 ; 4-byte Folded Spill
.LBB249_185:                            ;   in Loop: Header=BB249_11 Depth=1
	s_or_b32 exec_lo, exec_lo, s21
.LBB249_186:                            ;   in Loop: Header=BB249_11 Depth=1
	s_or_b32 exec_lo, exec_lo, s17
.LBB249_187:                            ;   in Loop: Header=BB249_11 Depth=1
	s_or_b32 exec_lo, exec_lo, s13
	v_mov_b32_e32 v2, 0
	v_mov_b32_e32 v3, 0
	v_and_b32_sdwa v1, v0, v103 dst_sel:DWORD dst_unused:UNUSED_PAD src0_sel:WORD_1 src1_sel:DWORD
	s_mov_b32 s13, exec_lo
	buffer_store_dword v2, off, s[0:3], s32 offset:360 ; 4-byte Folded Spill
	buffer_store_dword v3, off, s[0:3], s32 offset:364 ; 4-byte Folded Spill
	v_mov_b32_e32 v2, 0
	v_mov_b32_e32 v3, 0
	buffer_store_dword v2, off, s[0:3], s32 offset:368 ; 4-byte Folded Spill
	buffer_store_dword v3, off, s[0:3], s32 offset:372 ; 4-byte Folded Spill
	v_cmpx_ne_u16_e32 0, v1
	s_cbranch_execz .LBB249_195
; %bb.188:                              ;   in Loop: Header=BB249_11 Depth=1
	v_cmp_ne_u16_e64 s5, 0x80, v1
	v_bfrev_b32_e32 v1, 1
	v_mov_b32_e32 v2, 0
	buffer_store_dword v1, off, s[0:3], s32 offset:368 ; 4-byte Folded Spill
	buffer_store_dword v2, off, s[0:3], s32 offset:372 ; 4-byte Folded Spill
	s_and_saveexec_b32 s17, s5
	s_cbranch_execz .LBB249_194
; %bb.189:                              ;   in Loop: Header=BB249_11 Depth=1
	v_mov_b32_e32 v3, 0x7f800001
	v_bfe_u32 v2, v0, 16, 7
	v_mov_b32_e32 v4, 0
	s_mov_b32 s21, exec_lo
	buffer_store_dword v3, off, s[0:3], s32 offset:368 ; 4-byte Folded Spill
	buffer_store_dword v4, off, s[0:3], s32 offset:372 ; 4-byte Folded Spill
	v_cmpx_ne_u32_e32 0x7f, v2
	s_cbranch_execz .LBB249_193
; %bb.190:                              ;   in Loop: Header=BB249_11 Depth=1
	v_mov_b32_e32 v1, 7
	s_mov_b32 s22, exec_lo
	v_and_b32_sdwa v110, v0, v1 dst_sel:DWORD dst_unused:UNUSED_PAD src0_sel:WORD_1 src1_sel:DWORD
	v_lshrrev_b32_e32 v1, 3, v2
	v_cmpx_gt_u32_e32 8, v2
; %bb.191:                              ;   in Loop: Header=BB249_11 Depth=1
	v_ffbh_u32_e32 v1, v110
	v_min_u32_e32 v1, 32, v1
	v_subrev_nc_u32_e32 v2, 28, v1
	v_sub_nc_u32_e32 v1, 29, v1
	v_lshlrev_b64 v[2:3], v2, v[110:111]
	v_and_b32_e32 v110, 7, v2
; %bb.192:                              ;   in Loop: Header=BB249_11 Depth=1
	s_or_b32 exec_lo, exec_lo, s22
	v_mov_b32_e32 v2, 24
	v_lshlrev_b32_e32 v3, 20, v110
	v_lshl_add_u32 v1, v1, 23, 0x3c000000
	v_lshlrev_b32_sdwa v2, v2, v0 dst_sel:DWORD dst_unused:UNUSED_PAD src0_sel:DWORD src1_sel:WORD_1
	v_and_b32_e32 v2, 0x80000000, v2
	v_or3_b32 v110, v3, v2, v1
	buffer_store_dword v110, off, s[0:3], s32 offset:368 ; 4-byte Folded Spill
	buffer_store_dword v111, off, s[0:3], s32 offset:372 ; 4-byte Folded Spill
.LBB249_193:                            ;   in Loop: Header=BB249_11 Depth=1
	s_or_b32 exec_lo, exec_lo, s21
.LBB249_194:                            ;   in Loop: Header=BB249_11 Depth=1
	s_or_b32 exec_lo, exec_lo, s17
.LBB249_195:                            ;   in Loop: Header=BB249_11 Depth=1
	s_or_b32 exec_lo, exec_lo, s13
	s_mov_b32 s13, exec_lo
	v_cmpx_lt_u32_e32 0xffffff, v0
	s_cbranch_execz .LBB249_203
; %bb.196:                              ;   in Loop: Header=BB249_11 Depth=1
	v_mov_b32_e32 v112, v111
	v_cmp_ne_u32_sdwa s5, v0, v43 src0_sel:BYTE_3 src1_sel:DWORD
	buffer_store_dword v112, off, s[0:3], s32 offset:360 ; 4-byte Folded Spill
	buffer_store_dword v113, off, s[0:3], s32 offset:364 ; 4-byte Folded Spill
	s_and_saveexec_b32 s17, s5
	s_cbranch_execz .LBB249_202
; %bb.197:                              ;   in Loop: Header=BB249_11 Depth=1
	v_bfe_u32 v2, v0, 24, 7
	v_mov_b32_e32 v100, v111
	s_mov_b32 s21, exec_lo
	buffer_store_dword v100, off, s[0:3], s32 offset:360 ; 4-byte Folded Spill
	buffer_store_dword v101, off, s[0:3], s32 offset:364 ; 4-byte Folded Spill
	v_cmpx_ne_u32_e32 0x7f, v2
	s_cbranch_execz .LBB249_201
; %bb.198:                              ;   in Loop: Header=BB249_11 Depth=1
	v_mov_b32_e32 v1, 7
	s_mov_b32 s22, exec_lo
	v_and_b32_sdwa v110, v0, v1 dst_sel:DWORD dst_unused:UNUSED_PAD src0_sel:BYTE_3 src1_sel:DWORD
	v_lshrrev_b32_e32 v1, 3, v2
	v_cmpx_gt_u32_e32 8, v2
; %bb.199:                              ;   in Loop: Header=BB249_11 Depth=1
	v_ffbh_u32_e32 v1, v110
	v_min_u32_e32 v1, 32, v1
	v_subrev_nc_u32_e32 v2, 28, v1
	v_sub_nc_u32_e32 v1, 29, v1
	v_lshlrev_b64 v[2:3], v2, v[110:111]
	v_and_b32_e32 v110, 7, v2
; %bb.200:                              ;   in Loop: Header=BB249_11 Depth=1
	s_or_b32 exec_lo, exec_lo, s22
	v_mov_b32_e32 v2, 24
	v_lshl_add_u32 v1, v1, 23, 0x3c000000
	v_lshlrev_b32_sdwa v0, v2, v0 dst_sel:DWORD dst_unused:UNUSED_PAD src0_sel:DWORD src1_sel:BYTE_3
	v_lshlrev_b32_e32 v2, 20, v110
	v_and_b32_e32 v0, 0x80000000, v0
	v_or3_b32 v1, v2, v0, v1
	v_mov_b32_e32 v0, v111
	buffer_store_dword v0, off, s[0:3], s32 offset:360 ; 4-byte Folded Spill
	buffer_store_dword v1, off, s[0:3], s32 offset:364 ; 4-byte Folded Spill
.LBB249_201:                            ;   in Loop: Header=BB249_11 Depth=1
	s_or_b32 exec_lo, exec_lo, s21
.LBB249_202:                            ;   in Loop: Header=BB249_11 Depth=1
	s_or_b32 exec_lo, exec_lo, s17
.LBB249_203:                            ;   in Loop: Header=BB249_11 Depth=1
	s_or_b32 exec_lo, exec_lo, s13
	flat_load_dword v0, v[114:115] offset:520
	v_mov_b32_e32 v1, 0
	v_mov_b32_e32 v2, 0
	buffer_store_dword v1, off, s[0:3], s32 offset:384 ; 4-byte Folded Spill
	buffer_store_dword v2, off, s[0:3], s32 offset:388 ; 4-byte Folded Spill
	v_mov_b32_e32 v1, 0
	v_mov_b32_e32 v2, 0
	buffer_store_dword v1, off, s[0:3], s32 offset:376 ; 4-byte Folded Spill
	buffer_store_dword v2, off, s[0:3], s32 offset:380 ; 4-byte Folded Spill
	s_waitcnt vmcnt(0) lgkmcnt(0)
	v_cmp_ne_u16_sdwa s5, v0, v111 src0_sel:BYTE_0 src1_sel:DWORD
	s_and_saveexec_b32 s13, s5
	s_cbranch_execz .LBB249_211
; %bb.204:                              ;   in Loop: Header=BB249_11 Depth=1
	v_bfrev_b32_e32 v1, 1
	v_mov_b32_e32 v2, 0
	v_cmp_ne_u16_sdwa s5, v0, v43 src0_sel:BYTE_0 src1_sel:DWORD
	buffer_store_dword v1, off, s[0:3], s32 offset:376 ; 4-byte Folded Spill
	buffer_store_dword v2, off, s[0:3], s32 offset:380 ; 4-byte Folded Spill
	s_and_saveexec_b32 s17, s5
	s_cbranch_execz .LBB249_210
; %bb.205:                              ;   in Loop: Header=BB249_11 Depth=1
	v_mov_b32_e32 v3, 0x7f800001
	v_and_b32_e32 v2, 0x7f, v0
	v_mov_b32_e32 v4, 0
	s_mov_b32 s21, exec_lo
	buffer_store_dword v3, off, s[0:3], s32 offset:376 ; 4-byte Folded Spill
	buffer_store_dword v4, off, s[0:3], s32 offset:380 ; 4-byte Folded Spill
	v_cmpx_ne_u32_e32 0x7f, v2
	s_cbranch_execz .LBB249_209
; %bb.206:                              ;   in Loop: Header=BB249_11 Depth=1
	v_and_b32_e32 v110, 7, v0
	v_lshrrev_b32_e32 v1, 3, v2
	s_mov_b32 s22, exec_lo
	v_cmpx_gt_u32_e32 8, v2
; %bb.207:                              ;   in Loop: Header=BB249_11 Depth=1
	v_ffbh_u32_e32 v1, v110
	v_min_u32_e32 v1, 32, v1
	v_subrev_nc_u32_e32 v2, 28, v1
	v_sub_nc_u32_e32 v1, 29, v1
	v_lshlrev_b64 v[2:3], v2, v[110:111]
	v_and_b32_e32 v110, 7, v2
; %bb.208:                              ;   in Loop: Header=BB249_11 Depth=1
	s_or_b32 exec_lo, exec_lo, s22
	v_lshlrev_b32_e32 v2, 24, v0
	v_lshlrev_b32_e32 v3, 20, v110
	v_lshl_add_u32 v1, v1, 23, 0x3c000000
	v_and_b32_e32 v2, 0x80000000, v2
	v_or3_b32 v110, v3, v2, v1
	buffer_store_dword v110, off, s[0:3], s32 offset:376 ; 4-byte Folded Spill
	buffer_store_dword v111, off, s[0:3], s32 offset:380 ; 4-byte Folded Spill
.LBB249_209:                            ;   in Loop: Header=BB249_11 Depth=1
	s_or_b32 exec_lo, exec_lo, s21
.LBB249_210:                            ;   in Loop: Header=BB249_11 Depth=1
	s_or_b32 exec_lo, exec_lo, s17
.LBB249_211:                            ;   in Loop: Header=BB249_11 Depth=1
	s_or_b32 exec_lo, exec_lo, s13
	v_cmp_ne_u16_sdwa s5, v0, v111 src0_sel:BYTE_1 src1_sel:DWORD
	s_and_saveexec_b32 s13, s5
	s_cbranch_execz .LBB249_219
; %bb.212:                              ;   in Loop: Header=BB249_11 Depth=1
	v_mov_b32_e32 v112, v111
	v_cmp_ne_u16_sdwa s5, v0, v43 src0_sel:BYTE_1 src1_sel:DWORD
	buffer_store_dword v112, off, s[0:3], s32 offset:384 ; 4-byte Folded Spill
	buffer_store_dword v113, off, s[0:3], s32 offset:388 ; 4-byte Folded Spill
	s_and_saveexec_b32 s17, s5
	s_cbranch_execz .LBB249_218
; %bb.213:                              ;   in Loop: Header=BB249_11 Depth=1
	v_mov_b32_e32 v1, 0xffff
	v_mov_b32_e32 v100, v111
	s_mov_b32 s21, exec_lo
	buffer_store_dword v100, off, s[0:3], s32 offset:384 ; 4-byte Folded Spill
	buffer_store_dword v101, off, s[0:3], s32 offset:388 ; 4-byte Folded Spill
	v_and_b32_sdwa v1, v1, v0 dst_sel:DWORD dst_unused:UNUSED_PAD src0_sel:DWORD src1_sel:BYTE_1
	v_and_b32_e32 v2, 0x7f, v1
	v_cmpx_ne_u32_e32 0x7f, v2
	s_cbranch_execz .LBB249_217
; %bb.214:                              ;   in Loop: Header=BB249_11 Depth=1
	v_and_b32_e32 v110, 7, v1
	v_lshrrev_b32_e32 v1, 3, v2
	s_mov_b32 s22, exec_lo
	v_cmpx_gt_u32_e32 8, v2
; %bb.215:                              ;   in Loop: Header=BB249_11 Depth=1
	v_ffbh_u32_e32 v1, v110
	v_min_u32_e32 v1, 32, v1
	v_subrev_nc_u32_e32 v2, 28, v1
	v_sub_nc_u32_e32 v1, 29, v1
	v_lshlrev_b64 v[2:3], v2, v[110:111]
	v_and_b32_e32 v110, 7, v2
; %bb.216:                              ;   in Loop: Header=BB249_11 Depth=1
	s_or_b32 exec_lo, exec_lo, s22
	v_lshlrev_b32_e32 v2, 16, v0
	v_lshlrev_b32_e32 v3, 20, v110
	v_lshl_add_u32 v1, v1, 23, 0x3c000000
	v_and_b32_e32 v2, 0x80000000, v2
	v_or3_b32 v2, v3, v2, v1
	v_mov_b32_e32 v1, v111
	buffer_store_dword v1, off, s[0:3], s32 offset:384 ; 4-byte Folded Spill
	buffer_store_dword v2, off, s[0:3], s32 offset:388 ; 4-byte Folded Spill
.LBB249_217:                            ;   in Loop: Header=BB249_11 Depth=1
	s_or_b32 exec_lo, exec_lo, s21
.LBB249_218:                            ;   in Loop: Header=BB249_11 Depth=1
	s_or_b32 exec_lo, exec_lo, s17
.LBB249_219:                            ;   in Loop: Header=BB249_11 Depth=1
	s_or_b32 exec_lo, exec_lo, s13
	v_mov_b32_e32 v2, 0
	v_mov_b32_e32 v3, 0
	v_and_b32_sdwa v1, v0, v103 dst_sel:DWORD dst_unused:UNUSED_PAD src0_sel:WORD_1 src1_sel:DWORD
	s_mov_b32 s13, exec_lo
	buffer_store_dword v2, off, s[0:3], s32 offset:392 ; 4-byte Folded Spill
	buffer_store_dword v3, off, s[0:3], s32 offset:396 ; 4-byte Folded Spill
	v_mov_b32_e32 v2, 0
	v_mov_b32_e32 v3, 0
	buffer_store_dword v2, off, s[0:3], s32 offset:400 ; 4-byte Folded Spill
	buffer_store_dword v3, off, s[0:3], s32 offset:404 ; 4-byte Folded Spill
	v_cmpx_ne_u16_e32 0, v1
	s_cbranch_execz .LBB249_227
; %bb.220:                              ;   in Loop: Header=BB249_11 Depth=1
	v_cmp_ne_u16_e64 s5, 0x80, v1
	v_bfrev_b32_e32 v1, 1
	v_mov_b32_e32 v2, 0
	buffer_store_dword v1, off, s[0:3], s32 offset:400 ; 4-byte Folded Spill
	buffer_store_dword v2, off, s[0:3], s32 offset:404 ; 4-byte Folded Spill
	s_and_saveexec_b32 s17, s5
	s_cbranch_execz .LBB249_226
; %bb.221:                              ;   in Loop: Header=BB249_11 Depth=1
	v_mov_b32_e32 v3, 0x7f800001
	v_bfe_u32 v2, v0, 16, 7
	v_mov_b32_e32 v4, 0
	s_mov_b32 s21, exec_lo
	buffer_store_dword v3, off, s[0:3], s32 offset:400 ; 4-byte Folded Spill
	buffer_store_dword v4, off, s[0:3], s32 offset:404 ; 4-byte Folded Spill
	v_cmpx_ne_u32_e32 0x7f, v2
	s_cbranch_execz .LBB249_225
; %bb.222:                              ;   in Loop: Header=BB249_11 Depth=1
	v_mov_b32_e32 v1, 7
	s_mov_b32 s22, exec_lo
	v_and_b32_sdwa v110, v0, v1 dst_sel:DWORD dst_unused:UNUSED_PAD src0_sel:WORD_1 src1_sel:DWORD
	v_lshrrev_b32_e32 v1, 3, v2
	v_cmpx_gt_u32_e32 8, v2
; %bb.223:                              ;   in Loop: Header=BB249_11 Depth=1
	v_ffbh_u32_e32 v1, v110
	v_min_u32_e32 v1, 32, v1
	v_subrev_nc_u32_e32 v2, 28, v1
	v_sub_nc_u32_e32 v1, 29, v1
	v_lshlrev_b64 v[2:3], v2, v[110:111]
	v_and_b32_e32 v110, 7, v2
; %bb.224:                              ;   in Loop: Header=BB249_11 Depth=1
	s_or_b32 exec_lo, exec_lo, s22
	v_mov_b32_e32 v2, 24
	v_lshlrev_b32_e32 v3, 20, v110
	v_lshl_add_u32 v1, v1, 23, 0x3c000000
	v_lshlrev_b32_sdwa v2, v2, v0 dst_sel:DWORD dst_unused:UNUSED_PAD src0_sel:DWORD src1_sel:WORD_1
	v_and_b32_e32 v2, 0x80000000, v2
	v_or3_b32 v110, v3, v2, v1
	buffer_store_dword v110, off, s[0:3], s32 offset:400 ; 4-byte Folded Spill
	buffer_store_dword v111, off, s[0:3], s32 offset:404 ; 4-byte Folded Spill
.LBB249_225:                            ;   in Loop: Header=BB249_11 Depth=1
	s_or_b32 exec_lo, exec_lo, s21
.LBB249_226:                            ;   in Loop: Header=BB249_11 Depth=1
	s_or_b32 exec_lo, exec_lo, s17
.LBB249_227:                            ;   in Loop: Header=BB249_11 Depth=1
	s_or_b32 exec_lo, exec_lo, s13
	s_mov_b32 s13, exec_lo
	v_cmpx_lt_u32_e32 0xffffff, v0
	s_cbranch_execz .LBB249_235
; %bb.228:                              ;   in Loop: Header=BB249_11 Depth=1
	v_mov_b32_e32 v112, v111
	v_cmp_ne_u32_sdwa s5, v0, v43 src0_sel:BYTE_3 src1_sel:DWORD
	buffer_store_dword v112, off, s[0:3], s32 offset:392 ; 4-byte Folded Spill
	buffer_store_dword v113, off, s[0:3], s32 offset:396 ; 4-byte Folded Spill
	s_and_saveexec_b32 s17, s5
	s_cbranch_execz .LBB249_234
; %bb.229:                              ;   in Loop: Header=BB249_11 Depth=1
	v_bfe_u32 v2, v0, 24, 7
	v_mov_b32_e32 v100, v111
	s_mov_b32 s21, exec_lo
	buffer_store_dword v100, off, s[0:3], s32 offset:392 ; 4-byte Folded Spill
	buffer_store_dword v101, off, s[0:3], s32 offset:396 ; 4-byte Folded Spill
	v_cmpx_ne_u32_e32 0x7f, v2
	s_cbranch_execz .LBB249_233
; %bb.230:                              ;   in Loop: Header=BB249_11 Depth=1
	v_mov_b32_e32 v1, 7
	s_mov_b32 s22, exec_lo
	v_and_b32_sdwa v110, v0, v1 dst_sel:DWORD dst_unused:UNUSED_PAD src0_sel:BYTE_3 src1_sel:DWORD
	v_lshrrev_b32_e32 v1, 3, v2
	v_cmpx_gt_u32_e32 8, v2
; %bb.231:                              ;   in Loop: Header=BB249_11 Depth=1
	v_ffbh_u32_e32 v1, v110
	v_min_u32_e32 v1, 32, v1
	v_subrev_nc_u32_e32 v2, 28, v1
	v_sub_nc_u32_e32 v1, 29, v1
	v_lshlrev_b64 v[2:3], v2, v[110:111]
	v_and_b32_e32 v110, 7, v2
; %bb.232:                              ;   in Loop: Header=BB249_11 Depth=1
	s_or_b32 exec_lo, exec_lo, s22
	v_mov_b32_e32 v2, 24
	v_lshl_add_u32 v1, v1, 23, 0x3c000000
	v_lshlrev_b32_sdwa v0, v2, v0 dst_sel:DWORD dst_unused:UNUSED_PAD src0_sel:DWORD src1_sel:BYTE_3
	v_lshlrev_b32_e32 v2, 20, v110
	v_and_b32_e32 v0, 0x80000000, v0
	v_or3_b32 v1, v2, v0, v1
	v_mov_b32_e32 v0, v111
	buffer_store_dword v0, off, s[0:3], s32 offset:392 ; 4-byte Folded Spill
	buffer_store_dword v1, off, s[0:3], s32 offset:396 ; 4-byte Folded Spill
.LBB249_233:                            ;   in Loop: Header=BB249_11 Depth=1
	s_or_b32 exec_lo, exec_lo, s21
.LBB249_234:                            ;   in Loop: Header=BB249_11 Depth=1
	s_or_b32 exec_lo, exec_lo, s17
.LBB249_235:                            ;   in Loop: Header=BB249_11 Depth=1
	s_or_b32 exec_lo, exec_lo, s13
	flat_load_dword v0, v[114:115] offset:524
	v_mov_b32_e32 v1, 0
	v_mov_b32_e32 v2, 0
	buffer_store_dword v1, off, s[0:3], s32 offset:416 ; 4-byte Folded Spill
	buffer_store_dword v2, off, s[0:3], s32 offset:420 ; 4-byte Folded Spill
	v_mov_b32_e32 v1, 0
	v_mov_b32_e32 v2, 0
	buffer_store_dword v1, off, s[0:3], s32 offset:408 ; 4-byte Folded Spill
	buffer_store_dword v2, off, s[0:3], s32 offset:412 ; 4-byte Folded Spill
	s_waitcnt vmcnt(0) lgkmcnt(0)
	v_cmp_ne_u16_sdwa s5, v0, v111 src0_sel:BYTE_0 src1_sel:DWORD
	s_and_saveexec_b32 s13, s5
	s_cbranch_execz .LBB249_243
; %bb.236:                              ;   in Loop: Header=BB249_11 Depth=1
	v_bfrev_b32_e32 v1, 1
	v_mov_b32_e32 v2, 0
	v_cmp_ne_u16_sdwa s5, v0, v43 src0_sel:BYTE_0 src1_sel:DWORD
	buffer_store_dword v1, off, s[0:3], s32 offset:408 ; 4-byte Folded Spill
	buffer_store_dword v2, off, s[0:3], s32 offset:412 ; 4-byte Folded Spill
	s_and_saveexec_b32 s17, s5
	s_cbranch_execz .LBB249_242
; %bb.237:                              ;   in Loop: Header=BB249_11 Depth=1
	v_mov_b32_e32 v3, 0x7f800001
	v_and_b32_e32 v2, 0x7f, v0
	v_mov_b32_e32 v4, 0
	s_mov_b32 s21, exec_lo
	buffer_store_dword v3, off, s[0:3], s32 offset:408 ; 4-byte Folded Spill
	buffer_store_dword v4, off, s[0:3], s32 offset:412 ; 4-byte Folded Spill
	v_cmpx_ne_u32_e32 0x7f, v2
	s_cbranch_execz .LBB249_241
; %bb.238:                              ;   in Loop: Header=BB249_11 Depth=1
	v_and_b32_e32 v110, 7, v0
	v_lshrrev_b32_e32 v1, 3, v2
	s_mov_b32 s22, exec_lo
	v_cmpx_gt_u32_e32 8, v2
; %bb.239:                              ;   in Loop: Header=BB249_11 Depth=1
	v_ffbh_u32_e32 v1, v110
	v_min_u32_e32 v1, 32, v1
	v_subrev_nc_u32_e32 v2, 28, v1
	v_sub_nc_u32_e32 v1, 29, v1
	v_lshlrev_b64 v[2:3], v2, v[110:111]
	v_and_b32_e32 v110, 7, v2
; %bb.240:                              ;   in Loop: Header=BB249_11 Depth=1
	s_or_b32 exec_lo, exec_lo, s22
	v_lshlrev_b32_e32 v2, 24, v0
	v_lshlrev_b32_e32 v3, 20, v110
	v_lshl_add_u32 v1, v1, 23, 0x3c000000
	v_and_b32_e32 v2, 0x80000000, v2
	v_or3_b32 v110, v3, v2, v1
	buffer_store_dword v110, off, s[0:3], s32 offset:408 ; 4-byte Folded Spill
	buffer_store_dword v111, off, s[0:3], s32 offset:412 ; 4-byte Folded Spill
.LBB249_241:                            ;   in Loop: Header=BB249_11 Depth=1
	s_or_b32 exec_lo, exec_lo, s21
.LBB249_242:                            ;   in Loop: Header=BB249_11 Depth=1
	s_or_b32 exec_lo, exec_lo, s17
.LBB249_243:                            ;   in Loop: Header=BB249_11 Depth=1
	s_or_b32 exec_lo, exec_lo, s13
	v_cmp_ne_u16_sdwa s5, v0, v111 src0_sel:BYTE_1 src1_sel:DWORD
	s_and_saveexec_b32 s13, s5
	s_cbranch_execz .LBB249_251
; %bb.244:                              ;   in Loop: Header=BB249_11 Depth=1
	v_mov_b32_e32 v112, v111
	v_cmp_ne_u16_sdwa s5, v0, v43 src0_sel:BYTE_1 src1_sel:DWORD
	buffer_store_dword v112, off, s[0:3], s32 offset:416 ; 4-byte Folded Spill
	buffer_store_dword v113, off, s[0:3], s32 offset:420 ; 4-byte Folded Spill
	s_and_saveexec_b32 s17, s5
	s_cbranch_execz .LBB249_250
; %bb.245:                              ;   in Loop: Header=BB249_11 Depth=1
	v_mov_b32_e32 v1, 0xffff
	v_mov_b32_e32 v100, v111
	s_mov_b32 s21, exec_lo
	buffer_store_dword v100, off, s[0:3], s32 offset:416 ; 4-byte Folded Spill
	buffer_store_dword v101, off, s[0:3], s32 offset:420 ; 4-byte Folded Spill
	v_and_b32_sdwa v1, v1, v0 dst_sel:DWORD dst_unused:UNUSED_PAD src0_sel:DWORD src1_sel:BYTE_1
	v_and_b32_e32 v2, 0x7f, v1
	v_cmpx_ne_u32_e32 0x7f, v2
	s_cbranch_execz .LBB249_249
; %bb.246:                              ;   in Loop: Header=BB249_11 Depth=1
	v_and_b32_e32 v110, 7, v1
	v_lshrrev_b32_e32 v1, 3, v2
	s_mov_b32 s22, exec_lo
	v_cmpx_gt_u32_e32 8, v2
; %bb.247:                              ;   in Loop: Header=BB249_11 Depth=1
	v_ffbh_u32_e32 v1, v110
	v_min_u32_e32 v1, 32, v1
	v_subrev_nc_u32_e32 v2, 28, v1
	v_sub_nc_u32_e32 v1, 29, v1
	v_lshlrev_b64 v[2:3], v2, v[110:111]
	v_and_b32_e32 v110, 7, v2
; %bb.248:                              ;   in Loop: Header=BB249_11 Depth=1
	s_or_b32 exec_lo, exec_lo, s22
	v_lshlrev_b32_e32 v2, 16, v0
	v_lshlrev_b32_e32 v3, 20, v110
	v_lshl_add_u32 v1, v1, 23, 0x3c000000
	v_and_b32_e32 v2, 0x80000000, v2
	v_or3_b32 v2, v3, v2, v1
	v_mov_b32_e32 v1, v111
	buffer_store_dword v1, off, s[0:3], s32 offset:416 ; 4-byte Folded Spill
	buffer_store_dword v2, off, s[0:3], s32 offset:420 ; 4-byte Folded Spill
.LBB249_249:                            ;   in Loop: Header=BB249_11 Depth=1
	s_or_b32 exec_lo, exec_lo, s21
.LBB249_250:                            ;   in Loop: Header=BB249_11 Depth=1
	s_or_b32 exec_lo, exec_lo, s17
.LBB249_251:                            ;   in Loop: Header=BB249_11 Depth=1
	s_or_b32 exec_lo, exec_lo, s13
	v_mov_b32_e32 v2, 0
	v_mov_b32_e32 v3, 0
	v_and_b32_sdwa v1, v0, v103 dst_sel:DWORD dst_unused:UNUSED_PAD src0_sel:WORD_1 src1_sel:DWORD
	s_mov_b32 s13, exec_lo
	buffer_store_dword v2, off, s[0:3], s32 offset:424 ; 4-byte Folded Spill
	buffer_store_dword v3, off, s[0:3], s32 offset:428 ; 4-byte Folded Spill
	v_mov_b32_e32 v2, 0
	v_mov_b32_e32 v3, 0
	buffer_store_dword v2, off, s[0:3], s32 offset:432 ; 4-byte Folded Spill
	buffer_store_dword v3, off, s[0:3], s32 offset:436 ; 4-byte Folded Spill
	v_cmpx_ne_u16_e32 0, v1
	s_cbranch_execz .LBB249_259
; %bb.252:                              ;   in Loop: Header=BB249_11 Depth=1
	v_cmp_ne_u16_e64 s5, 0x80, v1
	v_bfrev_b32_e32 v1, 1
	v_mov_b32_e32 v2, 0
	buffer_store_dword v1, off, s[0:3], s32 offset:432 ; 4-byte Folded Spill
	buffer_store_dword v2, off, s[0:3], s32 offset:436 ; 4-byte Folded Spill
	s_and_saveexec_b32 s17, s5
	s_cbranch_execz .LBB249_258
; %bb.253:                              ;   in Loop: Header=BB249_11 Depth=1
	v_mov_b32_e32 v3, 0x7f800001
	v_bfe_u32 v2, v0, 16, 7
	v_mov_b32_e32 v4, 0
	s_mov_b32 s21, exec_lo
	buffer_store_dword v3, off, s[0:3], s32 offset:432 ; 4-byte Folded Spill
	buffer_store_dword v4, off, s[0:3], s32 offset:436 ; 4-byte Folded Spill
	v_cmpx_ne_u32_e32 0x7f, v2
	s_cbranch_execz .LBB249_257
; %bb.254:                              ;   in Loop: Header=BB249_11 Depth=1
	v_mov_b32_e32 v1, 7
	s_mov_b32 s22, exec_lo
	v_and_b32_sdwa v110, v0, v1 dst_sel:DWORD dst_unused:UNUSED_PAD src0_sel:WORD_1 src1_sel:DWORD
	v_lshrrev_b32_e32 v1, 3, v2
	v_cmpx_gt_u32_e32 8, v2
; %bb.255:                              ;   in Loop: Header=BB249_11 Depth=1
	v_ffbh_u32_e32 v1, v110
	v_min_u32_e32 v1, 32, v1
	v_subrev_nc_u32_e32 v2, 28, v1
	v_sub_nc_u32_e32 v1, 29, v1
	v_lshlrev_b64 v[2:3], v2, v[110:111]
	v_and_b32_e32 v110, 7, v2
; %bb.256:                              ;   in Loop: Header=BB249_11 Depth=1
	s_or_b32 exec_lo, exec_lo, s22
	v_mov_b32_e32 v2, 24
	v_lshlrev_b32_e32 v3, 20, v110
	v_lshl_add_u32 v1, v1, 23, 0x3c000000
	v_lshlrev_b32_sdwa v2, v2, v0 dst_sel:DWORD dst_unused:UNUSED_PAD src0_sel:DWORD src1_sel:WORD_1
	v_and_b32_e32 v2, 0x80000000, v2
	v_or3_b32 v110, v3, v2, v1
	buffer_store_dword v110, off, s[0:3], s32 offset:432 ; 4-byte Folded Spill
	buffer_store_dword v111, off, s[0:3], s32 offset:436 ; 4-byte Folded Spill
.LBB249_257:                            ;   in Loop: Header=BB249_11 Depth=1
	s_or_b32 exec_lo, exec_lo, s21
.LBB249_258:                            ;   in Loop: Header=BB249_11 Depth=1
	s_or_b32 exec_lo, exec_lo, s17
.LBB249_259:                            ;   in Loop: Header=BB249_11 Depth=1
	s_or_b32 exec_lo, exec_lo, s13
	s_mov_b32 s13, exec_lo
	v_cmpx_lt_u32_e32 0xffffff, v0
	s_cbranch_execz .LBB249_267
; %bb.260:                              ;   in Loop: Header=BB249_11 Depth=1
	v_mov_b32_e32 v112, v111
	v_cmp_ne_u32_sdwa s5, v0, v43 src0_sel:BYTE_3 src1_sel:DWORD
	buffer_store_dword v112, off, s[0:3], s32 offset:424 ; 4-byte Folded Spill
	buffer_store_dword v113, off, s[0:3], s32 offset:428 ; 4-byte Folded Spill
	s_and_saveexec_b32 s17, s5
	s_cbranch_execz .LBB249_266
; %bb.261:                              ;   in Loop: Header=BB249_11 Depth=1
	v_bfe_u32 v2, v0, 24, 7
	v_mov_b32_e32 v100, v111
	s_mov_b32 s21, exec_lo
	buffer_store_dword v100, off, s[0:3], s32 offset:424 ; 4-byte Folded Spill
	buffer_store_dword v101, off, s[0:3], s32 offset:428 ; 4-byte Folded Spill
	v_cmpx_ne_u32_e32 0x7f, v2
	s_cbranch_execz .LBB249_265
; %bb.262:                              ;   in Loop: Header=BB249_11 Depth=1
	v_mov_b32_e32 v1, 7
	s_mov_b32 s22, exec_lo
	v_and_b32_sdwa v110, v0, v1 dst_sel:DWORD dst_unused:UNUSED_PAD src0_sel:BYTE_3 src1_sel:DWORD
	v_lshrrev_b32_e32 v1, 3, v2
	v_cmpx_gt_u32_e32 8, v2
; %bb.263:                              ;   in Loop: Header=BB249_11 Depth=1
	v_ffbh_u32_e32 v1, v110
	v_min_u32_e32 v1, 32, v1
	v_subrev_nc_u32_e32 v2, 28, v1
	v_sub_nc_u32_e32 v1, 29, v1
	v_lshlrev_b64 v[2:3], v2, v[110:111]
	v_and_b32_e32 v110, 7, v2
; %bb.264:                              ;   in Loop: Header=BB249_11 Depth=1
	s_or_b32 exec_lo, exec_lo, s22
	v_mov_b32_e32 v2, 24
	v_lshl_add_u32 v1, v1, 23, 0x3c000000
	v_lshlrev_b32_sdwa v0, v2, v0 dst_sel:DWORD dst_unused:UNUSED_PAD src0_sel:DWORD src1_sel:BYTE_3
	v_lshlrev_b32_e32 v2, 20, v110
	v_and_b32_e32 v0, 0x80000000, v0
	v_or3_b32 v1, v2, v0, v1
	v_mov_b32_e32 v0, v111
	buffer_store_dword v0, off, s[0:3], s32 offset:424 ; 4-byte Folded Spill
	buffer_store_dword v1, off, s[0:3], s32 offset:428 ; 4-byte Folded Spill
.LBB249_265:                            ;   in Loop: Header=BB249_11 Depth=1
	s_or_b32 exec_lo, exec_lo, s21
.LBB249_266:                            ;   in Loop: Header=BB249_11 Depth=1
	s_or_b32 exec_lo, exec_lo, s17
.LBB249_267:                            ;   in Loop: Header=BB249_11 Depth=1
	s_or_b32 exec_lo, exec_lo, s13
	flat_load_dword v0, v[114:115] offset:1024
	v_mov_b32_e32 v1, 0
	v_mov_b32_e32 v2, 0
	buffer_store_dword v1, off, s[0:3], s32 offset:448 ; 4-byte Folded Spill
	buffer_store_dword v2, off, s[0:3], s32 offset:452 ; 4-byte Folded Spill
	v_mov_b32_e32 v1, 0
	v_mov_b32_e32 v2, 0
	buffer_store_dword v1, off, s[0:3], s32 offset:440 ; 4-byte Folded Spill
	buffer_store_dword v2, off, s[0:3], s32 offset:444 ; 4-byte Folded Spill
	s_waitcnt vmcnt(0) lgkmcnt(0)
	v_cmp_ne_u16_sdwa s5, v0, v111 src0_sel:BYTE_0 src1_sel:DWORD
	s_and_saveexec_b32 s13, s5
	s_cbranch_execz .LBB249_275
; %bb.268:                              ;   in Loop: Header=BB249_11 Depth=1
	v_bfrev_b32_e32 v1, 1
	v_mov_b32_e32 v2, 0
	v_cmp_ne_u16_sdwa s5, v0, v43 src0_sel:BYTE_0 src1_sel:DWORD
	buffer_store_dword v1, off, s[0:3], s32 offset:440 ; 4-byte Folded Spill
	buffer_store_dword v2, off, s[0:3], s32 offset:444 ; 4-byte Folded Spill
	s_and_saveexec_b32 s17, s5
	s_cbranch_execz .LBB249_274
; %bb.269:                              ;   in Loop: Header=BB249_11 Depth=1
	v_mov_b32_e32 v3, 0x7f800001
	v_and_b32_e32 v2, 0x7f, v0
	v_mov_b32_e32 v4, 0
	s_mov_b32 s21, exec_lo
	buffer_store_dword v3, off, s[0:3], s32 offset:440 ; 4-byte Folded Spill
	buffer_store_dword v4, off, s[0:3], s32 offset:444 ; 4-byte Folded Spill
	v_cmpx_ne_u32_e32 0x7f, v2
	s_cbranch_execz .LBB249_273
; %bb.270:                              ;   in Loop: Header=BB249_11 Depth=1
	v_and_b32_e32 v110, 7, v0
	v_lshrrev_b32_e32 v1, 3, v2
	s_mov_b32 s22, exec_lo
	v_cmpx_gt_u32_e32 8, v2
; %bb.271:                              ;   in Loop: Header=BB249_11 Depth=1
	v_ffbh_u32_e32 v1, v110
	v_min_u32_e32 v1, 32, v1
	v_subrev_nc_u32_e32 v2, 28, v1
	v_sub_nc_u32_e32 v1, 29, v1
	v_lshlrev_b64 v[2:3], v2, v[110:111]
	v_and_b32_e32 v110, 7, v2
; %bb.272:                              ;   in Loop: Header=BB249_11 Depth=1
	s_or_b32 exec_lo, exec_lo, s22
	v_lshlrev_b32_e32 v2, 24, v0
	v_lshlrev_b32_e32 v3, 20, v110
	v_lshl_add_u32 v1, v1, 23, 0x3c000000
	v_and_b32_e32 v2, 0x80000000, v2
	v_or3_b32 v110, v3, v2, v1
	buffer_store_dword v110, off, s[0:3], s32 offset:440 ; 4-byte Folded Spill
	buffer_store_dword v111, off, s[0:3], s32 offset:444 ; 4-byte Folded Spill
.LBB249_273:                            ;   in Loop: Header=BB249_11 Depth=1
	s_or_b32 exec_lo, exec_lo, s21
.LBB249_274:                            ;   in Loop: Header=BB249_11 Depth=1
	s_or_b32 exec_lo, exec_lo, s17
.LBB249_275:                            ;   in Loop: Header=BB249_11 Depth=1
	s_or_b32 exec_lo, exec_lo, s13
	v_cmp_ne_u16_sdwa s5, v0, v111 src0_sel:BYTE_1 src1_sel:DWORD
	s_and_saveexec_b32 s13, s5
	s_cbranch_execz .LBB249_283
; %bb.276:                              ;   in Loop: Header=BB249_11 Depth=1
	v_mov_b32_e32 v112, v111
	v_cmp_ne_u16_sdwa s5, v0, v43 src0_sel:BYTE_1 src1_sel:DWORD
	buffer_store_dword v112, off, s[0:3], s32 offset:448 ; 4-byte Folded Spill
	buffer_store_dword v113, off, s[0:3], s32 offset:452 ; 4-byte Folded Spill
	s_and_saveexec_b32 s17, s5
	s_cbranch_execz .LBB249_282
; %bb.277:                              ;   in Loop: Header=BB249_11 Depth=1
	v_mov_b32_e32 v1, 0xffff
	v_mov_b32_e32 v100, v111
	s_mov_b32 s21, exec_lo
	buffer_store_dword v100, off, s[0:3], s32 offset:448 ; 4-byte Folded Spill
	buffer_store_dword v101, off, s[0:3], s32 offset:452 ; 4-byte Folded Spill
	v_and_b32_sdwa v1, v1, v0 dst_sel:DWORD dst_unused:UNUSED_PAD src0_sel:DWORD src1_sel:BYTE_1
	v_and_b32_e32 v2, 0x7f, v1
	v_cmpx_ne_u32_e32 0x7f, v2
	s_cbranch_execz .LBB249_281
; %bb.278:                              ;   in Loop: Header=BB249_11 Depth=1
	v_and_b32_e32 v110, 7, v1
	v_lshrrev_b32_e32 v1, 3, v2
	s_mov_b32 s22, exec_lo
	v_cmpx_gt_u32_e32 8, v2
; %bb.279:                              ;   in Loop: Header=BB249_11 Depth=1
	v_ffbh_u32_e32 v1, v110
	v_min_u32_e32 v1, 32, v1
	v_subrev_nc_u32_e32 v2, 28, v1
	v_sub_nc_u32_e32 v1, 29, v1
	v_lshlrev_b64 v[2:3], v2, v[110:111]
	v_and_b32_e32 v110, 7, v2
; %bb.280:                              ;   in Loop: Header=BB249_11 Depth=1
	s_or_b32 exec_lo, exec_lo, s22
	v_lshlrev_b32_e32 v2, 16, v0
	v_lshlrev_b32_e32 v3, 20, v110
	v_lshl_add_u32 v1, v1, 23, 0x3c000000
	v_and_b32_e32 v2, 0x80000000, v2
	v_or3_b32 v2, v3, v2, v1
	v_mov_b32_e32 v1, v111
	buffer_store_dword v1, off, s[0:3], s32 offset:448 ; 4-byte Folded Spill
	buffer_store_dword v2, off, s[0:3], s32 offset:452 ; 4-byte Folded Spill
.LBB249_281:                            ;   in Loop: Header=BB249_11 Depth=1
	s_or_b32 exec_lo, exec_lo, s21
.LBB249_282:                            ;   in Loop: Header=BB249_11 Depth=1
	s_or_b32 exec_lo, exec_lo, s17
.LBB249_283:                            ;   in Loop: Header=BB249_11 Depth=1
	s_or_b32 exec_lo, exec_lo, s13
	v_mov_b32_e32 v2, 0
	v_mov_b32_e32 v3, 0
	v_and_b32_sdwa v1, v0, v103 dst_sel:DWORD dst_unused:UNUSED_PAD src0_sel:WORD_1 src1_sel:DWORD
	s_mov_b32 s13, exec_lo
	buffer_store_dword v2, off, s[0:3], s32 offset:456 ; 4-byte Folded Spill
	buffer_store_dword v3, off, s[0:3], s32 offset:460 ; 4-byte Folded Spill
	v_mov_b32_e32 v2, 0
	v_mov_b32_e32 v3, 0
	buffer_store_dword v2, off, s[0:3], s32 offset:464 ; 4-byte Folded Spill
	buffer_store_dword v3, off, s[0:3], s32 offset:468 ; 4-byte Folded Spill
	v_cmpx_ne_u16_e32 0, v1
	s_cbranch_execz .LBB249_291
; %bb.284:                              ;   in Loop: Header=BB249_11 Depth=1
	v_cmp_ne_u16_e64 s5, 0x80, v1
	v_bfrev_b32_e32 v1, 1
	v_mov_b32_e32 v2, 0
	buffer_store_dword v1, off, s[0:3], s32 offset:464 ; 4-byte Folded Spill
	buffer_store_dword v2, off, s[0:3], s32 offset:468 ; 4-byte Folded Spill
	s_and_saveexec_b32 s17, s5
	s_cbranch_execz .LBB249_290
; %bb.285:                              ;   in Loop: Header=BB249_11 Depth=1
	v_mov_b32_e32 v3, 0x7f800001
	v_bfe_u32 v2, v0, 16, 7
	v_mov_b32_e32 v4, 0
	s_mov_b32 s21, exec_lo
	buffer_store_dword v3, off, s[0:3], s32 offset:464 ; 4-byte Folded Spill
	buffer_store_dword v4, off, s[0:3], s32 offset:468 ; 4-byte Folded Spill
	v_cmpx_ne_u32_e32 0x7f, v2
	s_cbranch_execz .LBB249_289
; %bb.286:                              ;   in Loop: Header=BB249_11 Depth=1
	v_mov_b32_e32 v1, 7
	s_mov_b32 s22, exec_lo
	v_and_b32_sdwa v110, v0, v1 dst_sel:DWORD dst_unused:UNUSED_PAD src0_sel:WORD_1 src1_sel:DWORD
	v_lshrrev_b32_e32 v1, 3, v2
	v_cmpx_gt_u32_e32 8, v2
; %bb.287:                              ;   in Loop: Header=BB249_11 Depth=1
	v_ffbh_u32_e32 v1, v110
	v_min_u32_e32 v1, 32, v1
	v_subrev_nc_u32_e32 v2, 28, v1
	v_sub_nc_u32_e32 v1, 29, v1
	v_lshlrev_b64 v[2:3], v2, v[110:111]
	v_and_b32_e32 v110, 7, v2
; %bb.288:                              ;   in Loop: Header=BB249_11 Depth=1
	s_or_b32 exec_lo, exec_lo, s22
	v_mov_b32_e32 v2, 24
	v_lshlrev_b32_e32 v3, 20, v110
	v_lshl_add_u32 v1, v1, 23, 0x3c000000
	v_lshlrev_b32_sdwa v2, v2, v0 dst_sel:DWORD dst_unused:UNUSED_PAD src0_sel:DWORD src1_sel:WORD_1
	v_and_b32_e32 v2, 0x80000000, v2
	v_or3_b32 v110, v3, v2, v1
	buffer_store_dword v110, off, s[0:3], s32 offset:464 ; 4-byte Folded Spill
	buffer_store_dword v111, off, s[0:3], s32 offset:468 ; 4-byte Folded Spill
.LBB249_289:                            ;   in Loop: Header=BB249_11 Depth=1
	s_or_b32 exec_lo, exec_lo, s21
.LBB249_290:                            ;   in Loop: Header=BB249_11 Depth=1
	s_or_b32 exec_lo, exec_lo, s17
.LBB249_291:                            ;   in Loop: Header=BB249_11 Depth=1
	s_or_b32 exec_lo, exec_lo, s13
	s_mov_b32 s13, exec_lo
	v_cmpx_lt_u32_e32 0xffffff, v0
	s_cbranch_execz .LBB249_299
; %bb.292:                              ;   in Loop: Header=BB249_11 Depth=1
	v_mov_b32_e32 v112, v111
	v_cmp_ne_u32_sdwa s5, v0, v43 src0_sel:BYTE_3 src1_sel:DWORD
	buffer_store_dword v112, off, s[0:3], s32 offset:456 ; 4-byte Folded Spill
	buffer_store_dword v113, off, s[0:3], s32 offset:460 ; 4-byte Folded Spill
	s_and_saveexec_b32 s17, s5
	s_cbranch_execz .LBB249_298
; %bb.293:                              ;   in Loop: Header=BB249_11 Depth=1
	v_bfe_u32 v2, v0, 24, 7
	v_mov_b32_e32 v100, v111
	s_mov_b32 s21, exec_lo
	buffer_store_dword v100, off, s[0:3], s32 offset:456 ; 4-byte Folded Spill
	buffer_store_dword v101, off, s[0:3], s32 offset:460 ; 4-byte Folded Spill
	v_cmpx_ne_u32_e32 0x7f, v2
	s_cbranch_execz .LBB249_297
; %bb.294:                              ;   in Loop: Header=BB249_11 Depth=1
	v_mov_b32_e32 v1, 7
	s_mov_b32 s22, exec_lo
	v_and_b32_sdwa v110, v0, v1 dst_sel:DWORD dst_unused:UNUSED_PAD src0_sel:BYTE_3 src1_sel:DWORD
	v_lshrrev_b32_e32 v1, 3, v2
	v_cmpx_gt_u32_e32 8, v2
; %bb.295:                              ;   in Loop: Header=BB249_11 Depth=1
	v_ffbh_u32_e32 v1, v110
	v_min_u32_e32 v1, 32, v1
	v_subrev_nc_u32_e32 v2, 28, v1
	v_sub_nc_u32_e32 v1, 29, v1
	v_lshlrev_b64 v[2:3], v2, v[110:111]
	v_and_b32_e32 v110, 7, v2
; %bb.296:                              ;   in Loop: Header=BB249_11 Depth=1
	s_or_b32 exec_lo, exec_lo, s22
	v_mov_b32_e32 v2, 24
	v_lshl_add_u32 v1, v1, 23, 0x3c000000
	v_lshlrev_b32_sdwa v0, v2, v0 dst_sel:DWORD dst_unused:UNUSED_PAD src0_sel:DWORD src1_sel:BYTE_3
	v_lshlrev_b32_e32 v2, 20, v110
	v_and_b32_e32 v0, 0x80000000, v0
	v_or3_b32 v1, v2, v0, v1
	v_mov_b32_e32 v0, v111
	buffer_store_dword v0, off, s[0:3], s32 offset:456 ; 4-byte Folded Spill
	buffer_store_dword v1, off, s[0:3], s32 offset:460 ; 4-byte Folded Spill
.LBB249_297:                            ;   in Loop: Header=BB249_11 Depth=1
	s_or_b32 exec_lo, exec_lo, s21
.LBB249_298:                            ;   in Loop: Header=BB249_11 Depth=1
	s_or_b32 exec_lo, exec_lo, s17
.LBB249_299:                            ;   in Loop: Header=BB249_11 Depth=1
	s_or_b32 exec_lo, exec_lo, s13
	flat_load_dword v0, v[114:115] offset:1028
	v_mov_b32_e32 v1, 0
	v_mov_b32_e32 v2, 0
	buffer_store_dword v1, off, s[0:3], s32 offset:480 ; 4-byte Folded Spill
	buffer_store_dword v2, off, s[0:3], s32 offset:484 ; 4-byte Folded Spill
	v_mov_b32_e32 v1, 0
	v_mov_b32_e32 v2, 0
	buffer_store_dword v1, off, s[0:3], s32 offset:472 ; 4-byte Folded Spill
	buffer_store_dword v2, off, s[0:3], s32 offset:476 ; 4-byte Folded Spill
	s_waitcnt vmcnt(0) lgkmcnt(0)
	v_cmp_ne_u16_sdwa s5, v0, v111 src0_sel:BYTE_0 src1_sel:DWORD
	s_and_saveexec_b32 s13, s5
	s_cbranch_execz .LBB249_307
; %bb.300:                              ;   in Loop: Header=BB249_11 Depth=1
	v_bfrev_b32_e32 v1, 1
	v_mov_b32_e32 v2, 0
	v_cmp_ne_u16_sdwa s5, v0, v43 src0_sel:BYTE_0 src1_sel:DWORD
	buffer_store_dword v1, off, s[0:3], s32 offset:472 ; 4-byte Folded Spill
	buffer_store_dword v2, off, s[0:3], s32 offset:476 ; 4-byte Folded Spill
	s_and_saveexec_b32 s17, s5
	s_cbranch_execz .LBB249_306
; %bb.301:                              ;   in Loop: Header=BB249_11 Depth=1
	v_mov_b32_e32 v3, 0x7f800001
	v_and_b32_e32 v2, 0x7f, v0
	v_mov_b32_e32 v4, 0
	s_mov_b32 s21, exec_lo
	buffer_store_dword v3, off, s[0:3], s32 offset:472 ; 4-byte Folded Spill
	buffer_store_dword v4, off, s[0:3], s32 offset:476 ; 4-byte Folded Spill
	v_cmpx_ne_u32_e32 0x7f, v2
	s_cbranch_execz .LBB249_305
; %bb.302:                              ;   in Loop: Header=BB249_11 Depth=1
	v_and_b32_e32 v110, 7, v0
	v_lshrrev_b32_e32 v1, 3, v2
	s_mov_b32 s22, exec_lo
	v_cmpx_gt_u32_e32 8, v2
; %bb.303:                              ;   in Loop: Header=BB249_11 Depth=1
	v_ffbh_u32_e32 v1, v110
	v_min_u32_e32 v1, 32, v1
	v_subrev_nc_u32_e32 v2, 28, v1
	v_sub_nc_u32_e32 v1, 29, v1
	v_lshlrev_b64 v[2:3], v2, v[110:111]
	v_and_b32_e32 v110, 7, v2
; %bb.304:                              ;   in Loop: Header=BB249_11 Depth=1
	s_or_b32 exec_lo, exec_lo, s22
	v_lshlrev_b32_e32 v2, 24, v0
	v_lshlrev_b32_e32 v3, 20, v110
	v_lshl_add_u32 v1, v1, 23, 0x3c000000
	v_and_b32_e32 v2, 0x80000000, v2
	v_or3_b32 v110, v3, v2, v1
	buffer_store_dword v110, off, s[0:3], s32 offset:472 ; 4-byte Folded Spill
	buffer_store_dword v111, off, s[0:3], s32 offset:476 ; 4-byte Folded Spill
.LBB249_305:                            ;   in Loop: Header=BB249_11 Depth=1
	s_or_b32 exec_lo, exec_lo, s21
.LBB249_306:                            ;   in Loop: Header=BB249_11 Depth=1
	s_or_b32 exec_lo, exec_lo, s17
.LBB249_307:                            ;   in Loop: Header=BB249_11 Depth=1
	s_or_b32 exec_lo, exec_lo, s13
	v_cmp_ne_u16_sdwa s5, v0, v111 src0_sel:BYTE_1 src1_sel:DWORD
	s_and_saveexec_b32 s13, s5
	s_cbranch_execz .LBB249_315
; %bb.308:                              ;   in Loop: Header=BB249_11 Depth=1
	v_mov_b32_e32 v112, v111
	v_cmp_ne_u16_sdwa s5, v0, v43 src0_sel:BYTE_1 src1_sel:DWORD
	buffer_store_dword v112, off, s[0:3], s32 offset:480 ; 4-byte Folded Spill
	buffer_store_dword v113, off, s[0:3], s32 offset:484 ; 4-byte Folded Spill
	s_and_saveexec_b32 s17, s5
	s_cbranch_execz .LBB249_314
; %bb.309:                              ;   in Loop: Header=BB249_11 Depth=1
	v_mov_b32_e32 v1, 0xffff
	v_mov_b32_e32 v100, v111
	s_mov_b32 s21, exec_lo
	buffer_store_dword v100, off, s[0:3], s32 offset:480 ; 4-byte Folded Spill
	buffer_store_dword v101, off, s[0:3], s32 offset:484 ; 4-byte Folded Spill
	v_and_b32_sdwa v1, v1, v0 dst_sel:DWORD dst_unused:UNUSED_PAD src0_sel:DWORD src1_sel:BYTE_1
	v_and_b32_e32 v2, 0x7f, v1
	v_cmpx_ne_u32_e32 0x7f, v2
	s_cbranch_execz .LBB249_313
; %bb.310:                              ;   in Loop: Header=BB249_11 Depth=1
	v_and_b32_e32 v110, 7, v1
	v_lshrrev_b32_e32 v1, 3, v2
	s_mov_b32 s22, exec_lo
	v_cmpx_gt_u32_e32 8, v2
; %bb.311:                              ;   in Loop: Header=BB249_11 Depth=1
	v_ffbh_u32_e32 v1, v110
	v_min_u32_e32 v1, 32, v1
	v_subrev_nc_u32_e32 v2, 28, v1
	v_sub_nc_u32_e32 v1, 29, v1
	v_lshlrev_b64 v[2:3], v2, v[110:111]
	v_and_b32_e32 v110, 7, v2
; %bb.312:                              ;   in Loop: Header=BB249_11 Depth=1
	s_or_b32 exec_lo, exec_lo, s22
	v_lshlrev_b32_e32 v2, 16, v0
	v_lshlrev_b32_e32 v3, 20, v110
	v_lshl_add_u32 v1, v1, 23, 0x3c000000
	v_and_b32_e32 v2, 0x80000000, v2
	v_or3_b32 v2, v3, v2, v1
	v_mov_b32_e32 v1, v111
	buffer_store_dword v1, off, s[0:3], s32 offset:480 ; 4-byte Folded Spill
	buffer_store_dword v2, off, s[0:3], s32 offset:484 ; 4-byte Folded Spill
.LBB249_313:                            ;   in Loop: Header=BB249_11 Depth=1
	s_or_b32 exec_lo, exec_lo, s21
.LBB249_314:                            ;   in Loop: Header=BB249_11 Depth=1
	s_or_b32 exec_lo, exec_lo, s17
.LBB249_315:                            ;   in Loop: Header=BB249_11 Depth=1
	s_or_b32 exec_lo, exec_lo, s13
	v_mov_b32_e32 v2, 0
	v_mov_b32_e32 v3, 0
	v_and_b32_sdwa v1, v0, v103 dst_sel:DWORD dst_unused:UNUSED_PAD src0_sel:WORD_1 src1_sel:DWORD
	s_mov_b32 s13, exec_lo
	buffer_store_dword v2, off, s[0:3], s32 offset:488 ; 4-byte Folded Spill
	buffer_store_dword v3, off, s[0:3], s32 offset:492 ; 4-byte Folded Spill
	v_mov_b32_e32 v2, 0
	v_mov_b32_e32 v3, 0
	buffer_store_dword v2, off, s[0:3], s32 offset:496 ; 4-byte Folded Spill
	buffer_store_dword v3, off, s[0:3], s32 offset:500 ; 4-byte Folded Spill
	v_cmpx_ne_u16_e32 0, v1
	s_cbranch_execz .LBB249_323
; %bb.316:                              ;   in Loop: Header=BB249_11 Depth=1
	v_cmp_ne_u16_e64 s5, 0x80, v1
	v_bfrev_b32_e32 v1, 1
	v_mov_b32_e32 v2, 0
	buffer_store_dword v1, off, s[0:3], s32 offset:496 ; 4-byte Folded Spill
	buffer_store_dword v2, off, s[0:3], s32 offset:500 ; 4-byte Folded Spill
	s_and_saveexec_b32 s17, s5
	s_cbranch_execz .LBB249_322
; %bb.317:                              ;   in Loop: Header=BB249_11 Depth=1
	v_mov_b32_e32 v3, 0x7f800001
	v_bfe_u32 v2, v0, 16, 7
	v_mov_b32_e32 v4, 0
	s_mov_b32 s21, exec_lo
	buffer_store_dword v3, off, s[0:3], s32 offset:496 ; 4-byte Folded Spill
	buffer_store_dword v4, off, s[0:3], s32 offset:500 ; 4-byte Folded Spill
	v_cmpx_ne_u32_e32 0x7f, v2
	s_cbranch_execz .LBB249_321
; %bb.318:                              ;   in Loop: Header=BB249_11 Depth=1
	v_mov_b32_e32 v1, 7
	s_mov_b32 s22, exec_lo
	v_and_b32_sdwa v110, v0, v1 dst_sel:DWORD dst_unused:UNUSED_PAD src0_sel:WORD_1 src1_sel:DWORD
	v_lshrrev_b32_e32 v1, 3, v2
	v_cmpx_gt_u32_e32 8, v2
; %bb.319:                              ;   in Loop: Header=BB249_11 Depth=1
	v_ffbh_u32_e32 v1, v110
	v_min_u32_e32 v1, 32, v1
	v_subrev_nc_u32_e32 v2, 28, v1
	v_sub_nc_u32_e32 v1, 29, v1
	v_lshlrev_b64 v[2:3], v2, v[110:111]
	v_and_b32_e32 v110, 7, v2
; %bb.320:                              ;   in Loop: Header=BB249_11 Depth=1
	s_or_b32 exec_lo, exec_lo, s22
	v_mov_b32_e32 v2, 24
	v_lshlrev_b32_e32 v3, 20, v110
	v_lshl_add_u32 v1, v1, 23, 0x3c000000
	v_lshlrev_b32_sdwa v2, v2, v0 dst_sel:DWORD dst_unused:UNUSED_PAD src0_sel:DWORD src1_sel:WORD_1
	v_and_b32_e32 v2, 0x80000000, v2
	v_or3_b32 v110, v3, v2, v1
	buffer_store_dword v110, off, s[0:3], s32 offset:496 ; 4-byte Folded Spill
	buffer_store_dword v111, off, s[0:3], s32 offset:500 ; 4-byte Folded Spill
.LBB249_321:                            ;   in Loop: Header=BB249_11 Depth=1
	s_or_b32 exec_lo, exec_lo, s21
.LBB249_322:                            ;   in Loop: Header=BB249_11 Depth=1
	s_or_b32 exec_lo, exec_lo, s17
.LBB249_323:                            ;   in Loop: Header=BB249_11 Depth=1
	s_or_b32 exec_lo, exec_lo, s13
	s_mov_b32 s13, exec_lo
	v_cmpx_lt_u32_e32 0xffffff, v0
	s_cbranch_execz .LBB249_331
; %bb.324:                              ;   in Loop: Header=BB249_11 Depth=1
	v_mov_b32_e32 v112, v111
	v_cmp_ne_u32_sdwa s5, v0, v43 src0_sel:BYTE_3 src1_sel:DWORD
	buffer_store_dword v112, off, s[0:3], s32 offset:488 ; 4-byte Folded Spill
	buffer_store_dword v113, off, s[0:3], s32 offset:492 ; 4-byte Folded Spill
	s_and_saveexec_b32 s17, s5
	s_cbranch_execz .LBB249_330
; %bb.325:                              ;   in Loop: Header=BB249_11 Depth=1
	v_bfe_u32 v2, v0, 24, 7
	v_mov_b32_e32 v100, v111
	s_mov_b32 s21, exec_lo
	buffer_store_dword v100, off, s[0:3], s32 offset:488 ; 4-byte Folded Spill
	buffer_store_dword v101, off, s[0:3], s32 offset:492 ; 4-byte Folded Spill
	v_cmpx_ne_u32_e32 0x7f, v2
	s_cbranch_execz .LBB249_329
; %bb.326:                              ;   in Loop: Header=BB249_11 Depth=1
	v_mov_b32_e32 v1, 7
	s_mov_b32 s22, exec_lo
	v_and_b32_sdwa v110, v0, v1 dst_sel:DWORD dst_unused:UNUSED_PAD src0_sel:BYTE_3 src1_sel:DWORD
	v_lshrrev_b32_e32 v1, 3, v2
	v_cmpx_gt_u32_e32 8, v2
; %bb.327:                              ;   in Loop: Header=BB249_11 Depth=1
	v_ffbh_u32_e32 v1, v110
	v_min_u32_e32 v1, 32, v1
	v_subrev_nc_u32_e32 v2, 28, v1
	v_sub_nc_u32_e32 v1, 29, v1
	v_lshlrev_b64 v[2:3], v2, v[110:111]
	v_and_b32_e32 v110, 7, v2
; %bb.328:                              ;   in Loop: Header=BB249_11 Depth=1
	s_or_b32 exec_lo, exec_lo, s22
	v_mov_b32_e32 v2, 24
	v_lshl_add_u32 v1, v1, 23, 0x3c000000
	v_lshlrev_b32_sdwa v0, v2, v0 dst_sel:DWORD dst_unused:UNUSED_PAD src0_sel:DWORD src1_sel:BYTE_3
	v_lshlrev_b32_e32 v2, 20, v110
	v_and_b32_e32 v0, 0x80000000, v0
	v_or3_b32 v1, v2, v0, v1
	v_mov_b32_e32 v0, v111
	buffer_store_dword v0, off, s[0:3], s32 offset:488 ; 4-byte Folded Spill
	buffer_store_dword v1, off, s[0:3], s32 offset:492 ; 4-byte Folded Spill
.LBB249_329:                            ;   in Loop: Header=BB249_11 Depth=1
	s_or_b32 exec_lo, exec_lo, s21
.LBB249_330:                            ;   in Loop: Header=BB249_11 Depth=1
	s_or_b32 exec_lo, exec_lo, s17
.LBB249_331:                            ;   in Loop: Header=BB249_11 Depth=1
	s_or_b32 exec_lo, exec_lo, s13
	flat_load_dword v0, v[114:115] offset:1032
	v_mov_b32_e32 v46, 0
	v_mov_b32_e32 v1, 0
	;; [unrolled: 1-line block ×4, first 2 shown]
	buffer_store_dword v1, off, s[0:3], s32 offset:504 ; 4-byte Folded Spill
	buffer_store_dword v2, off, s[0:3], s32 offset:508 ; 4-byte Folded Spill
	s_waitcnt vmcnt(0) lgkmcnt(0)
	v_cmp_ne_u16_sdwa s5, v0, v111 src0_sel:BYTE_0 src1_sel:DWORD
	s_and_saveexec_b32 s13, s5
	s_cbranch_execz .LBB249_339
; %bb.332:                              ;   in Loop: Header=BB249_11 Depth=1
	v_bfrev_b32_e32 v1, 1
	v_mov_b32_e32 v2, 0
	v_cmp_ne_u16_sdwa s5, v0, v43 src0_sel:BYTE_0 src1_sel:DWORD
	buffer_store_dword v1, off, s[0:3], s32 offset:504 ; 4-byte Folded Spill
	buffer_store_dword v2, off, s[0:3], s32 offset:508 ; 4-byte Folded Spill
	s_and_saveexec_b32 s17, s5
	s_cbranch_execz .LBB249_338
; %bb.333:                              ;   in Loop: Header=BB249_11 Depth=1
	v_mov_b32_e32 v3, 0x7f800001
	v_and_b32_e32 v2, 0x7f, v0
	v_mov_b32_e32 v4, 0
	s_mov_b32 s21, exec_lo
	buffer_store_dword v3, off, s[0:3], s32 offset:504 ; 4-byte Folded Spill
	buffer_store_dword v4, off, s[0:3], s32 offset:508 ; 4-byte Folded Spill
	v_cmpx_ne_u32_e32 0x7f, v2
	s_cbranch_execz .LBB249_337
; %bb.334:                              ;   in Loop: Header=BB249_11 Depth=1
	v_and_b32_e32 v110, 7, v0
	v_lshrrev_b32_e32 v1, 3, v2
	s_mov_b32 s22, exec_lo
	v_cmpx_gt_u32_e32 8, v2
; %bb.335:                              ;   in Loop: Header=BB249_11 Depth=1
	v_ffbh_u32_e32 v1, v110
	v_min_u32_e32 v1, 32, v1
	v_subrev_nc_u32_e32 v2, 28, v1
	v_sub_nc_u32_e32 v1, 29, v1
	v_lshlrev_b64 v[2:3], v2, v[110:111]
	v_and_b32_e32 v110, 7, v2
; %bb.336:                              ;   in Loop: Header=BB249_11 Depth=1
	s_or_b32 exec_lo, exec_lo, s22
	v_lshlrev_b32_e32 v2, 24, v0
	v_lshlrev_b32_e32 v3, 20, v110
	v_lshl_add_u32 v1, v1, 23, 0x3c000000
	v_and_b32_e32 v2, 0x80000000, v2
	v_or3_b32 v110, v3, v2, v1
	buffer_store_dword v110, off, s[0:3], s32 offset:504 ; 4-byte Folded Spill
	buffer_store_dword v111, off, s[0:3], s32 offset:508 ; 4-byte Folded Spill
.LBB249_337:                            ;   in Loop: Header=BB249_11 Depth=1
	s_or_b32 exec_lo, exec_lo, s21
.LBB249_338:                            ;   in Loop: Header=BB249_11 Depth=1
	s_or_b32 exec_lo, exec_lo, s17
.LBB249_339:                            ;   in Loop: Header=BB249_11 Depth=1
	s_or_b32 exec_lo, exec_lo, s13
	v_cmp_ne_u16_sdwa s5, v0, v111 src0_sel:BYTE_1 src1_sel:DWORD
	s_and_saveexec_b32 s13, s5
	s_cbranch_execz .LBB249_347
; %bb.340:                              ;   in Loop: Header=BB249_11 Depth=1
	v_mov_b32_e32 v112, v111
	v_cmp_ne_u16_sdwa s5, v0, v43 src0_sel:BYTE_1 src1_sel:DWORD
	v_mov_b32_e32 v46, v112
	v_mov_b32_e32 v47, v113
	s_and_saveexec_b32 s17, s5
	s_cbranch_execz .LBB249_346
; %bb.341:                              ;   in Loop: Header=BB249_11 Depth=1
	v_mov_b32_e32 v1, 0xffff
	v_mov_b32_e32 v100, v111
	s_mov_b32 s21, exec_lo
	v_and_b32_sdwa v1, v1, v0 dst_sel:DWORD dst_unused:UNUSED_PAD src0_sel:DWORD src1_sel:BYTE_1
	v_mov_b32_e32 v46, v100
	v_mov_b32_e32 v47, v101
	v_and_b32_e32 v2, 0x7f, v1
	v_cmpx_ne_u32_e32 0x7f, v2
	s_cbranch_execz .LBB249_345
; %bb.342:                              ;   in Loop: Header=BB249_11 Depth=1
	v_and_b32_e32 v110, 7, v1
	v_lshrrev_b32_e32 v1, 3, v2
	s_mov_b32 s22, exec_lo
	v_cmpx_gt_u32_e32 8, v2
; %bb.343:                              ;   in Loop: Header=BB249_11 Depth=1
	v_ffbh_u32_e32 v1, v110
	v_min_u32_e32 v1, 32, v1
	v_subrev_nc_u32_e32 v2, 28, v1
	v_sub_nc_u32_e32 v1, 29, v1
	v_lshlrev_b64 v[2:3], v2, v[110:111]
	v_and_b32_e32 v110, 7, v2
; %bb.344:                              ;   in Loop: Header=BB249_11 Depth=1
	s_or_b32 exec_lo, exec_lo, s22
	v_lshlrev_b32_e32 v2, 16, v0
	v_lshlrev_b32_e32 v3, 20, v110
	v_lshl_add_u32 v1, v1, 23, 0x3c000000
	v_mov_b32_e32 v46, v111
	v_and_b32_e32 v2, 0x80000000, v2
	v_or3_b32 v47, v3, v2, v1
.LBB249_345:                            ;   in Loop: Header=BB249_11 Depth=1
	s_or_b32 exec_lo, exec_lo, s21
.LBB249_346:                            ;   in Loop: Header=BB249_11 Depth=1
	s_or_b32 exec_lo, exec_lo, s17
.LBB249_347:                            ;   in Loop: Header=BB249_11 Depth=1
	s_or_b32 exec_lo, exec_lo, s13
	v_mov_b32_e32 v56, 0
	v_mov_b32_e32 v2, 0
	v_and_b32_sdwa v1, v0, v103 dst_sel:DWORD dst_unused:UNUSED_PAD src0_sel:WORD_1 src1_sel:DWORD
	v_mov_b32_e32 v57, 0
	v_mov_b32_e32 v3, 0
	s_mov_b32 s13, exec_lo
	buffer_store_dword v2, off, s[0:3], s32 offset:512 ; 4-byte Folded Spill
	buffer_store_dword v3, off, s[0:3], s32 offset:516 ; 4-byte Folded Spill
	v_cmpx_ne_u16_e32 0, v1
	s_cbranch_execz .LBB249_355
; %bb.348:                              ;   in Loop: Header=BB249_11 Depth=1
	v_cmp_ne_u16_e64 s5, 0x80, v1
	v_bfrev_b32_e32 v1, 1
	v_mov_b32_e32 v2, 0
	buffer_store_dword v1, off, s[0:3], s32 offset:512 ; 4-byte Folded Spill
	buffer_store_dword v2, off, s[0:3], s32 offset:516 ; 4-byte Folded Spill
	s_and_saveexec_b32 s17, s5
	s_cbranch_execz .LBB249_354
; %bb.349:                              ;   in Loop: Header=BB249_11 Depth=1
	v_mov_b32_e32 v3, 0x7f800001
	v_bfe_u32 v2, v0, 16, 7
	v_mov_b32_e32 v4, 0
	s_mov_b32 s21, exec_lo
	buffer_store_dword v3, off, s[0:3], s32 offset:512 ; 4-byte Folded Spill
	buffer_store_dword v4, off, s[0:3], s32 offset:516 ; 4-byte Folded Spill
	v_cmpx_ne_u32_e32 0x7f, v2
	s_cbranch_execz .LBB249_353
; %bb.350:                              ;   in Loop: Header=BB249_11 Depth=1
	v_mov_b32_e32 v1, 7
	s_mov_b32 s22, exec_lo
	v_and_b32_sdwa v110, v0, v1 dst_sel:DWORD dst_unused:UNUSED_PAD src0_sel:WORD_1 src1_sel:DWORD
	v_lshrrev_b32_e32 v1, 3, v2
	v_cmpx_gt_u32_e32 8, v2
; %bb.351:                              ;   in Loop: Header=BB249_11 Depth=1
	v_ffbh_u32_e32 v1, v110
	v_min_u32_e32 v1, 32, v1
	v_subrev_nc_u32_e32 v2, 28, v1
	v_sub_nc_u32_e32 v1, 29, v1
	v_lshlrev_b64 v[2:3], v2, v[110:111]
	v_and_b32_e32 v110, 7, v2
; %bb.352:                              ;   in Loop: Header=BB249_11 Depth=1
	s_or_b32 exec_lo, exec_lo, s22
	v_mov_b32_e32 v2, 24
	v_lshlrev_b32_e32 v3, 20, v110
	v_lshl_add_u32 v1, v1, 23, 0x3c000000
	v_lshlrev_b32_sdwa v2, v2, v0 dst_sel:DWORD dst_unused:UNUSED_PAD src0_sel:DWORD src1_sel:WORD_1
	v_and_b32_e32 v2, 0x80000000, v2
	v_or3_b32 v110, v3, v2, v1
	buffer_store_dword v110, off, s[0:3], s32 offset:512 ; 4-byte Folded Spill
	buffer_store_dword v111, off, s[0:3], s32 offset:516 ; 4-byte Folded Spill
.LBB249_353:                            ;   in Loop: Header=BB249_11 Depth=1
	s_or_b32 exec_lo, exec_lo, s21
.LBB249_354:                            ;   in Loop: Header=BB249_11 Depth=1
	s_or_b32 exec_lo, exec_lo, s17
.LBB249_355:                            ;   in Loop: Header=BB249_11 Depth=1
	s_or_b32 exec_lo, exec_lo, s13
	s_mov_b32 s13, exec_lo
	v_cmpx_lt_u32_e32 0xffffff, v0
	s_cbranch_execz .LBB249_363
; %bb.356:                              ;   in Loop: Header=BB249_11 Depth=1
	v_mov_b32_e32 v112, v111
	v_cmp_ne_u32_sdwa s5, v0, v43 src0_sel:BYTE_3 src1_sel:DWORD
	v_mov_b32_e32 v56, v112
	v_mov_b32_e32 v57, v113
	s_and_saveexec_b32 s17, s5
	s_cbranch_execz .LBB249_362
; %bb.357:                              ;   in Loop: Header=BB249_11 Depth=1
	v_mov_b32_e32 v100, v111
	v_bfe_u32 v2, v0, 24, 7
	s_mov_b32 s21, exec_lo
	v_mov_b32_e32 v56, v100
	v_mov_b32_e32 v57, v101
	v_cmpx_ne_u32_e32 0x7f, v2
	s_cbranch_execz .LBB249_361
; %bb.358:                              ;   in Loop: Header=BB249_11 Depth=1
	v_mov_b32_e32 v1, 7
	s_mov_b32 s22, exec_lo
	v_and_b32_sdwa v110, v0, v1 dst_sel:DWORD dst_unused:UNUSED_PAD src0_sel:BYTE_3 src1_sel:DWORD
	v_lshrrev_b32_e32 v1, 3, v2
	v_cmpx_gt_u32_e32 8, v2
; %bb.359:                              ;   in Loop: Header=BB249_11 Depth=1
	v_ffbh_u32_e32 v1, v110
	v_min_u32_e32 v1, 32, v1
	v_subrev_nc_u32_e32 v2, 28, v1
	v_sub_nc_u32_e32 v1, 29, v1
	v_lshlrev_b64 v[2:3], v2, v[110:111]
	v_and_b32_e32 v110, 7, v2
; %bb.360:                              ;   in Loop: Header=BB249_11 Depth=1
	s_or_b32 exec_lo, exec_lo, s22
	v_mov_b32_e32 v2, 24
	v_lshl_add_u32 v1, v1, 23, 0x3c000000
	v_mov_b32_e32 v56, v111
	v_lshlrev_b32_sdwa v0, v2, v0 dst_sel:DWORD dst_unused:UNUSED_PAD src0_sel:DWORD src1_sel:BYTE_3
	v_lshlrev_b32_e32 v2, 20, v110
	v_and_b32_e32 v0, 0x80000000, v0
	v_or3_b32 v57, v2, v0, v1
.LBB249_361:                            ;   in Loop: Header=BB249_11 Depth=1
	s_or_b32 exec_lo, exec_lo, s21
.LBB249_362:                            ;   in Loop: Header=BB249_11 Depth=1
	s_or_b32 exec_lo, exec_lo, s17
.LBB249_363:                            ;   in Loop: Header=BB249_11 Depth=1
	s_or_b32 exec_lo, exec_lo, s13
	flat_load_dword v0, v[114:115] offset:1036
	v_mov_b32_e32 v62, 0
	v_mov_b32_e32 v60, 0
	;; [unrolled: 1-line block ×4, first 2 shown]
	s_waitcnt vmcnt(0) lgkmcnt(0)
	v_cmp_ne_u16_sdwa s5, v0, v111 src0_sel:BYTE_0 src1_sel:DWORD
	s_and_saveexec_b32 s13, s5
	s_cbranch_execz .LBB249_371
; %bb.364:                              ;   in Loop: Header=BB249_11 Depth=1
	v_bfrev_b32_e32 v60, 1
	v_mov_b32_e32 v61, 0
	v_cmp_ne_u16_sdwa s5, v0, v43 src0_sel:BYTE_0 src1_sel:DWORD
	s_and_saveexec_b32 s17, s5
	s_cbranch_execz .LBB249_370
; %bb.365:                              ;   in Loop: Header=BB249_11 Depth=1
	v_mov_b32_e32 v60, 0x7f800001
	v_and_b32_e32 v2, 0x7f, v0
	v_mov_b32_e32 v61, 0
	s_mov_b32 s21, exec_lo
	v_cmpx_ne_u32_e32 0x7f, v2
	s_cbranch_execz .LBB249_369
; %bb.366:                              ;   in Loop: Header=BB249_11 Depth=1
	v_and_b32_e32 v110, 7, v0
	v_lshrrev_b32_e32 v1, 3, v2
	s_mov_b32 s22, exec_lo
	v_cmpx_gt_u32_e32 8, v2
; %bb.367:                              ;   in Loop: Header=BB249_11 Depth=1
	v_ffbh_u32_e32 v1, v110
	v_min_u32_e32 v1, 32, v1
	v_subrev_nc_u32_e32 v2, 28, v1
	v_sub_nc_u32_e32 v1, 29, v1
	v_lshlrev_b64 v[2:3], v2, v[110:111]
	v_and_b32_e32 v110, 7, v2
; %bb.368:                              ;   in Loop: Header=BB249_11 Depth=1
	s_or_b32 exec_lo, exec_lo, s22
	v_lshlrev_b32_e32 v2, 24, v0
	v_lshlrev_b32_e32 v3, 20, v110
	v_lshl_add_u32 v1, v1, 23, 0x3c000000
	v_and_b32_e32 v2, 0x80000000, v2
	v_or3_b32 v110, v3, v2, v1
	v_mov_b32_e32 v60, v110
	v_mov_b32_e32 v61, v111
.LBB249_369:                            ;   in Loop: Header=BB249_11 Depth=1
	s_or_b32 exec_lo, exec_lo, s21
.LBB249_370:                            ;   in Loop: Header=BB249_11 Depth=1
	s_or_b32 exec_lo, exec_lo, s17
.LBB249_371:                            ;   in Loop: Header=BB249_11 Depth=1
	s_or_b32 exec_lo, exec_lo, s13
	v_cmp_ne_u16_sdwa s5, v0, v111 src0_sel:BYTE_1 src1_sel:DWORD
	s_and_saveexec_b32 s13, s5
	s_cbranch_execz .LBB249_379
; %bb.372:                              ;   in Loop: Header=BB249_11 Depth=1
	v_mov_b32_e32 v112, v111
	v_cmp_ne_u16_sdwa s5, v0, v43 src0_sel:BYTE_1 src1_sel:DWORD
	v_mov_b32_e32 v62, v112
	v_mov_b32_e32 v63, v113
	s_and_saveexec_b32 s17, s5
	s_cbranch_execz .LBB249_378
; %bb.373:                              ;   in Loop: Header=BB249_11 Depth=1
	v_mov_b32_e32 v1, 0xffff
	v_mov_b32_e32 v100, v111
	s_mov_b32 s21, exec_lo
	v_and_b32_sdwa v1, v1, v0 dst_sel:DWORD dst_unused:UNUSED_PAD src0_sel:DWORD src1_sel:BYTE_1
	v_mov_b32_e32 v62, v100
	v_mov_b32_e32 v63, v101
	v_and_b32_e32 v2, 0x7f, v1
	v_cmpx_ne_u32_e32 0x7f, v2
	s_cbranch_execz .LBB249_377
; %bb.374:                              ;   in Loop: Header=BB249_11 Depth=1
	v_and_b32_e32 v110, 7, v1
	v_lshrrev_b32_e32 v1, 3, v2
	s_mov_b32 s22, exec_lo
	v_cmpx_gt_u32_e32 8, v2
; %bb.375:                              ;   in Loop: Header=BB249_11 Depth=1
	v_ffbh_u32_e32 v1, v110
	v_min_u32_e32 v1, 32, v1
	v_subrev_nc_u32_e32 v2, 28, v1
	v_sub_nc_u32_e32 v1, 29, v1
	v_lshlrev_b64 v[2:3], v2, v[110:111]
	v_and_b32_e32 v110, 7, v2
; %bb.376:                              ;   in Loop: Header=BB249_11 Depth=1
	s_or_b32 exec_lo, exec_lo, s22
	v_lshlrev_b32_e32 v2, 16, v0
	v_lshlrev_b32_e32 v3, 20, v110
	v_lshl_add_u32 v1, v1, 23, 0x3c000000
	v_mov_b32_e32 v62, v111
	v_and_b32_e32 v2, 0x80000000, v2
	v_or3_b32 v63, v3, v2, v1
.LBB249_377:                            ;   in Loop: Header=BB249_11 Depth=1
	s_or_b32 exec_lo, exec_lo, s21
.LBB249_378:                            ;   in Loop: Header=BB249_11 Depth=1
	s_or_b32 exec_lo, exec_lo, s17
.LBB249_379:                            ;   in Loop: Header=BB249_11 Depth=1
	s_or_b32 exec_lo, exec_lo, s13
	v_mov_b32_e32 v72, 0
	v_mov_b32_e32 v74, 0
	v_and_b32_sdwa v1, v0, v103 dst_sel:DWORD dst_unused:UNUSED_PAD src0_sel:WORD_1 src1_sel:DWORD
	v_mov_b32_e32 v73, 0
	v_mov_b32_e32 v75, 0
	s_mov_b32 s13, exec_lo
	v_cmpx_ne_u16_e32 0, v1
	s_cbranch_execz .LBB249_387
; %bb.380:                              ;   in Loop: Header=BB249_11 Depth=1
	v_bfrev_b32_e32 v74, 1
	v_mov_b32_e32 v75, 0
	s_mov_b32 s17, exec_lo
	v_cmpx_ne_u16_e32 0x80, v1
	s_cbranch_execz .LBB249_386
; %bb.381:                              ;   in Loop: Header=BB249_11 Depth=1
	v_mov_b32_e32 v74, 0x7f800001
	v_bfe_u32 v2, v0, 16, 7
	v_mov_b32_e32 v75, 0
	s_mov_b32 s21, exec_lo
	v_cmpx_ne_u32_e32 0x7f, v2
	s_cbranch_execz .LBB249_385
; %bb.382:                              ;   in Loop: Header=BB249_11 Depth=1
	v_mov_b32_e32 v1, 7
	s_mov_b32 s22, exec_lo
	v_and_b32_sdwa v110, v0, v1 dst_sel:DWORD dst_unused:UNUSED_PAD src0_sel:WORD_1 src1_sel:DWORD
	v_lshrrev_b32_e32 v1, 3, v2
	v_cmpx_gt_u32_e32 8, v2
; %bb.383:                              ;   in Loop: Header=BB249_11 Depth=1
	v_ffbh_u32_e32 v1, v110
	v_min_u32_e32 v1, 32, v1
	v_subrev_nc_u32_e32 v2, 28, v1
	v_sub_nc_u32_e32 v1, 29, v1
	v_lshlrev_b64 v[2:3], v2, v[110:111]
	v_and_b32_e32 v110, 7, v2
; %bb.384:                              ;   in Loop: Header=BB249_11 Depth=1
	s_or_b32 exec_lo, exec_lo, s22
	v_mov_b32_e32 v2, 24
	v_lshlrev_b32_e32 v3, 20, v110
	v_lshl_add_u32 v1, v1, 23, 0x3c000000
	v_lshlrev_b32_sdwa v2, v2, v0 dst_sel:DWORD dst_unused:UNUSED_PAD src0_sel:DWORD src1_sel:WORD_1
	v_and_b32_e32 v2, 0x80000000, v2
	v_or3_b32 v110, v3, v2, v1
	v_mov_b32_e32 v74, v110
	v_mov_b32_e32 v75, v111
.LBB249_385:                            ;   in Loop: Header=BB249_11 Depth=1
	s_or_b32 exec_lo, exec_lo, s21
.LBB249_386:                            ;   in Loop: Header=BB249_11 Depth=1
	s_or_b32 exec_lo, exec_lo, s17
.LBB249_387:                            ;   in Loop: Header=BB249_11 Depth=1
	s_or_b32 exec_lo, exec_lo, s13
	s_mov_b32 s13, exec_lo
	v_cmpx_lt_u32_e32 0xffffff, v0
	s_cbranch_execz .LBB249_395
; %bb.388:                              ;   in Loop: Header=BB249_11 Depth=1
	v_mov_b32_e32 v112, v111
	v_cmp_ne_u32_sdwa s5, v0, v43 src0_sel:BYTE_3 src1_sel:DWORD
	v_mov_b32_e32 v72, v112
	v_mov_b32_e32 v73, v113
	s_and_saveexec_b32 s17, s5
	s_cbranch_execz .LBB249_394
; %bb.389:                              ;   in Loop: Header=BB249_11 Depth=1
	v_mov_b32_e32 v100, v111
	v_bfe_u32 v2, v0, 24, 7
	s_mov_b32 s21, exec_lo
	v_mov_b32_e32 v72, v100
	v_mov_b32_e32 v73, v101
	v_cmpx_ne_u32_e32 0x7f, v2
	s_cbranch_execz .LBB249_393
; %bb.390:                              ;   in Loop: Header=BB249_11 Depth=1
	v_mov_b32_e32 v1, 7
	s_mov_b32 s22, exec_lo
	v_and_b32_sdwa v110, v0, v1 dst_sel:DWORD dst_unused:UNUSED_PAD src0_sel:BYTE_3 src1_sel:DWORD
	v_lshrrev_b32_e32 v1, 3, v2
	v_cmpx_gt_u32_e32 8, v2
; %bb.391:                              ;   in Loop: Header=BB249_11 Depth=1
	v_ffbh_u32_e32 v1, v110
	v_min_u32_e32 v1, 32, v1
	v_subrev_nc_u32_e32 v2, 28, v1
	v_sub_nc_u32_e32 v1, 29, v1
	v_lshlrev_b64 v[2:3], v2, v[110:111]
	v_and_b32_e32 v110, 7, v2
; %bb.392:                              ;   in Loop: Header=BB249_11 Depth=1
	s_or_b32 exec_lo, exec_lo, s22
	v_mov_b32_e32 v2, 24
	v_lshl_add_u32 v1, v1, 23, 0x3c000000
	v_mov_b32_e32 v72, v111
	v_lshlrev_b32_sdwa v0, v2, v0 dst_sel:DWORD dst_unused:UNUSED_PAD src0_sel:DWORD src1_sel:BYTE_3
	v_lshlrev_b32_e32 v2, 20, v110
	v_and_b32_e32 v0, 0x80000000, v0
	v_or3_b32 v73, v2, v0, v1
.LBB249_393:                            ;   in Loop: Header=BB249_11 Depth=1
	s_or_b32 exec_lo, exec_lo, s21
.LBB249_394:                            ;   in Loop: Header=BB249_11 Depth=1
	s_or_b32 exec_lo, exec_lo, s17
.LBB249_395:                            ;   in Loop: Header=BB249_11 Depth=1
	s_or_b32 exec_lo, exec_lo, s13
	flat_load_dword v0, v[114:115] offset:1536
	v_mov_b32_e32 v78, 0
	v_mov_b32_e32 v76, 0
	;; [unrolled: 1-line block ×4, first 2 shown]
	s_waitcnt vmcnt(0) lgkmcnt(0)
	v_cmp_ne_u16_sdwa s5, v0, v111 src0_sel:BYTE_0 src1_sel:DWORD
	s_and_saveexec_b32 s13, s5
	s_cbranch_execz .LBB249_403
; %bb.396:                              ;   in Loop: Header=BB249_11 Depth=1
	v_bfrev_b32_e32 v76, 1
	v_mov_b32_e32 v77, 0
	v_cmp_ne_u16_sdwa s5, v0, v43 src0_sel:BYTE_0 src1_sel:DWORD
	s_and_saveexec_b32 s17, s5
	s_cbranch_execz .LBB249_402
; %bb.397:                              ;   in Loop: Header=BB249_11 Depth=1
	v_mov_b32_e32 v76, 0x7f800001
	v_and_b32_e32 v2, 0x7f, v0
	v_mov_b32_e32 v77, 0
	s_mov_b32 s21, exec_lo
	v_cmpx_ne_u32_e32 0x7f, v2
	s_cbranch_execz .LBB249_401
; %bb.398:                              ;   in Loop: Header=BB249_11 Depth=1
	v_and_b32_e32 v110, 7, v0
	v_lshrrev_b32_e32 v1, 3, v2
	s_mov_b32 s22, exec_lo
	v_cmpx_gt_u32_e32 8, v2
; %bb.399:                              ;   in Loop: Header=BB249_11 Depth=1
	v_ffbh_u32_e32 v1, v110
	v_min_u32_e32 v1, 32, v1
	v_subrev_nc_u32_e32 v2, 28, v1
	v_sub_nc_u32_e32 v1, 29, v1
	v_lshlrev_b64 v[2:3], v2, v[110:111]
	v_and_b32_e32 v110, 7, v2
; %bb.400:                              ;   in Loop: Header=BB249_11 Depth=1
	s_or_b32 exec_lo, exec_lo, s22
	v_lshlrev_b32_e32 v2, 24, v0
	v_lshlrev_b32_e32 v3, 20, v110
	v_lshl_add_u32 v1, v1, 23, 0x3c000000
	v_and_b32_e32 v2, 0x80000000, v2
	v_or3_b32 v110, v3, v2, v1
	v_mov_b32_e32 v76, v110
	v_mov_b32_e32 v77, v111
.LBB249_401:                            ;   in Loop: Header=BB249_11 Depth=1
	s_or_b32 exec_lo, exec_lo, s21
.LBB249_402:                            ;   in Loop: Header=BB249_11 Depth=1
	s_or_b32 exec_lo, exec_lo, s17
.LBB249_403:                            ;   in Loop: Header=BB249_11 Depth=1
	s_or_b32 exec_lo, exec_lo, s13
	v_cmp_ne_u16_sdwa s5, v0, v111 src0_sel:BYTE_1 src1_sel:DWORD
	s_and_saveexec_b32 s13, s5
	s_cbranch_execz .LBB249_411
; %bb.404:                              ;   in Loop: Header=BB249_11 Depth=1
	v_mov_b32_e32 v112, v111
	v_cmp_ne_u16_sdwa s5, v0, v43 src0_sel:BYTE_1 src1_sel:DWORD
	v_mov_b32_e32 v78, v112
	v_mov_b32_e32 v79, v113
	s_and_saveexec_b32 s17, s5
	s_cbranch_execz .LBB249_410
; %bb.405:                              ;   in Loop: Header=BB249_11 Depth=1
	v_mov_b32_e32 v1, 0xffff
	v_mov_b32_e32 v100, v111
	s_mov_b32 s21, exec_lo
	v_and_b32_sdwa v1, v1, v0 dst_sel:DWORD dst_unused:UNUSED_PAD src0_sel:DWORD src1_sel:BYTE_1
	v_mov_b32_e32 v78, v100
	v_mov_b32_e32 v79, v101
	v_and_b32_e32 v2, 0x7f, v1
	v_cmpx_ne_u32_e32 0x7f, v2
	s_cbranch_execz .LBB249_409
; %bb.406:                              ;   in Loop: Header=BB249_11 Depth=1
	v_and_b32_e32 v110, 7, v1
	v_lshrrev_b32_e32 v1, 3, v2
	s_mov_b32 s22, exec_lo
	v_cmpx_gt_u32_e32 8, v2
; %bb.407:                              ;   in Loop: Header=BB249_11 Depth=1
	v_ffbh_u32_e32 v1, v110
	v_min_u32_e32 v1, 32, v1
	v_subrev_nc_u32_e32 v2, 28, v1
	v_sub_nc_u32_e32 v1, 29, v1
	v_lshlrev_b64 v[2:3], v2, v[110:111]
	v_and_b32_e32 v110, 7, v2
; %bb.408:                              ;   in Loop: Header=BB249_11 Depth=1
	s_or_b32 exec_lo, exec_lo, s22
	v_lshlrev_b32_e32 v2, 16, v0
	v_lshlrev_b32_e32 v3, 20, v110
	v_lshl_add_u32 v1, v1, 23, 0x3c000000
	v_mov_b32_e32 v78, v111
	v_and_b32_e32 v2, 0x80000000, v2
	v_or3_b32 v79, v3, v2, v1
.LBB249_409:                            ;   in Loop: Header=BB249_11 Depth=1
	s_or_b32 exec_lo, exec_lo, s21
.LBB249_410:                            ;   in Loop: Header=BB249_11 Depth=1
	s_or_b32 exec_lo, exec_lo, s17
.LBB249_411:                            ;   in Loop: Header=BB249_11 Depth=1
	s_or_b32 exec_lo, exec_lo, s13
	v_mov_b32_e32 v88, 0
	v_mov_b32_e32 v58, 0
	v_and_b32_sdwa v1, v0, v103 dst_sel:DWORD dst_unused:UNUSED_PAD src0_sel:WORD_1 src1_sel:DWORD
	v_mov_b32_e32 v89, 0
	v_mov_b32_e32 v59, 0
	s_mov_b32 s13, exec_lo
	v_cmpx_ne_u16_e32 0, v1
	s_cbranch_execz .LBB249_419
; %bb.412:                              ;   in Loop: Header=BB249_11 Depth=1
	v_bfrev_b32_e32 v58, 1
	v_mov_b32_e32 v59, 0
	s_mov_b32 s17, exec_lo
	v_cmpx_ne_u16_e32 0x80, v1
	s_cbranch_execz .LBB249_418
; %bb.413:                              ;   in Loop: Header=BB249_11 Depth=1
	v_mov_b32_e32 v58, 0x7f800001
	v_bfe_u32 v2, v0, 16, 7
	v_mov_b32_e32 v59, 0
	s_mov_b32 s21, exec_lo
	v_cmpx_ne_u32_e32 0x7f, v2
	s_cbranch_execz .LBB249_417
; %bb.414:                              ;   in Loop: Header=BB249_11 Depth=1
	v_mov_b32_e32 v1, 7
	s_mov_b32 s22, exec_lo
	v_and_b32_sdwa v110, v0, v1 dst_sel:DWORD dst_unused:UNUSED_PAD src0_sel:WORD_1 src1_sel:DWORD
	v_lshrrev_b32_e32 v1, 3, v2
	v_cmpx_gt_u32_e32 8, v2
; %bb.415:                              ;   in Loop: Header=BB249_11 Depth=1
	v_ffbh_u32_e32 v1, v110
	v_min_u32_e32 v1, 32, v1
	v_subrev_nc_u32_e32 v2, 28, v1
	v_sub_nc_u32_e32 v1, 29, v1
	v_lshlrev_b64 v[2:3], v2, v[110:111]
	v_and_b32_e32 v110, 7, v2
; %bb.416:                              ;   in Loop: Header=BB249_11 Depth=1
	s_or_b32 exec_lo, exec_lo, s22
	v_mov_b32_e32 v2, 24
	v_lshlrev_b32_e32 v3, 20, v110
	v_lshl_add_u32 v1, v1, 23, 0x3c000000
	v_lshlrev_b32_sdwa v2, v2, v0 dst_sel:DWORD dst_unused:UNUSED_PAD src0_sel:DWORD src1_sel:WORD_1
	v_and_b32_e32 v2, 0x80000000, v2
	v_or3_b32 v110, v3, v2, v1
	v_mov_b32_e32 v58, v110
	v_mov_b32_e32 v59, v111
.LBB249_417:                            ;   in Loop: Header=BB249_11 Depth=1
	s_or_b32 exec_lo, exec_lo, s21
.LBB249_418:                            ;   in Loop: Header=BB249_11 Depth=1
	s_or_b32 exec_lo, exec_lo, s17
.LBB249_419:                            ;   in Loop: Header=BB249_11 Depth=1
	s_or_b32 exec_lo, exec_lo, s13
	s_mov_b32 s13, exec_lo
	v_cmpx_lt_u32_e32 0xffffff, v0
	s_cbranch_execz .LBB249_427
; %bb.420:                              ;   in Loop: Header=BB249_11 Depth=1
	v_mov_b32_e32 v112, v111
	v_cmp_ne_u32_sdwa s5, v0, v43 src0_sel:BYTE_3 src1_sel:DWORD
	v_mov_b32_e32 v88, v112
	v_mov_b32_e32 v89, v113
	s_and_saveexec_b32 s17, s5
	s_cbranch_execz .LBB249_426
; %bb.421:                              ;   in Loop: Header=BB249_11 Depth=1
	v_mov_b32_e32 v100, v111
	v_bfe_u32 v2, v0, 24, 7
	s_mov_b32 s21, exec_lo
	v_mov_b32_e32 v88, v100
	v_mov_b32_e32 v89, v101
	v_cmpx_ne_u32_e32 0x7f, v2
	s_cbranch_execz .LBB249_425
; %bb.422:                              ;   in Loop: Header=BB249_11 Depth=1
	v_mov_b32_e32 v1, 7
	s_mov_b32 s22, exec_lo
	v_and_b32_sdwa v110, v0, v1 dst_sel:DWORD dst_unused:UNUSED_PAD src0_sel:BYTE_3 src1_sel:DWORD
	v_lshrrev_b32_e32 v1, 3, v2
	v_cmpx_gt_u32_e32 8, v2
; %bb.423:                              ;   in Loop: Header=BB249_11 Depth=1
	v_ffbh_u32_e32 v1, v110
	v_min_u32_e32 v1, 32, v1
	v_subrev_nc_u32_e32 v2, 28, v1
	v_sub_nc_u32_e32 v1, 29, v1
	v_lshlrev_b64 v[2:3], v2, v[110:111]
	v_and_b32_e32 v110, 7, v2
; %bb.424:                              ;   in Loop: Header=BB249_11 Depth=1
	s_or_b32 exec_lo, exec_lo, s22
	v_mov_b32_e32 v2, 24
	v_lshl_add_u32 v1, v1, 23, 0x3c000000
	v_mov_b32_e32 v88, v111
	v_lshlrev_b32_sdwa v0, v2, v0 dst_sel:DWORD dst_unused:UNUSED_PAD src0_sel:DWORD src1_sel:BYTE_3
	v_lshlrev_b32_e32 v2, 20, v110
	v_and_b32_e32 v0, 0x80000000, v0
	v_or3_b32 v89, v2, v0, v1
.LBB249_425:                            ;   in Loop: Header=BB249_11 Depth=1
	s_or_b32 exec_lo, exec_lo, s21
.LBB249_426:                            ;   in Loop: Header=BB249_11 Depth=1
	s_or_b32 exec_lo, exec_lo, s17
.LBB249_427:                            ;   in Loop: Header=BB249_11 Depth=1
	s_or_b32 exec_lo, exec_lo, s13
	flat_load_dword v0, v[114:115] offset:1540
	v_mov_b32_e32 v40, 0
	v_mov_b32_e32 v92, 0
	;; [unrolled: 1-line block ×4, first 2 shown]
	s_waitcnt vmcnt(0) lgkmcnt(0)
	v_cmp_ne_u16_sdwa s5, v0, v111 src0_sel:BYTE_0 src1_sel:DWORD
	s_and_saveexec_b32 s13, s5
	s_cbranch_execz .LBB249_435
; %bb.428:                              ;   in Loop: Header=BB249_11 Depth=1
	v_bfrev_b32_e32 v92, 1
	v_mov_b32_e32 v93, 0
	v_cmp_ne_u16_sdwa s5, v0, v43 src0_sel:BYTE_0 src1_sel:DWORD
	s_and_saveexec_b32 s17, s5
	s_cbranch_execz .LBB249_434
; %bb.429:                              ;   in Loop: Header=BB249_11 Depth=1
	v_mov_b32_e32 v92, 0x7f800001
	v_and_b32_e32 v2, 0x7f, v0
	v_mov_b32_e32 v93, 0
	s_mov_b32 s21, exec_lo
	v_cmpx_ne_u32_e32 0x7f, v2
	s_cbranch_execz .LBB249_433
; %bb.430:                              ;   in Loop: Header=BB249_11 Depth=1
	v_and_b32_e32 v110, 7, v0
	v_lshrrev_b32_e32 v1, 3, v2
	s_mov_b32 s22, exec_lo
	v_cmpx_gt_u32_e32 8, v2
; %bb.431:                              ;   in Loop: Header=BB249_11 Depth=1
	v_ffbh_u32_e32 v1, v110
	v_min_u32_e32 v1, 32, v1
	v_subrev_nc_u32_e32 v2, 28, v1
	v_sub_nc_u32_e32 v1, 29, v1
	v_lshlrev_b64 v[2:3], v2, v[110:111]
	v_and_b32_e32 v110, 7, v2
; %bb.432:                              ;   in Loop: Header=BB249_11 Depth=1
	s_or_b32 exec_lo, exec_lo, s22
	v_lshlrev_b32_e32 v2, 24, v0
	v_lshlrev_b32_e32 v3, 20, v110
	v_lshl_add_u32 v1, v1, 23, 0x3c000000
	v_and_b32_e32 v2, 0x80000000, v2
	v_or3_b32 v110, v3, v2, v1
	v_mov_b32_e32 v92, v110
	v_mov_b32_e32 v93, v111
.LBB249_433:                            ;   in Loop: Header=BB249_11 Depth=1
	s_or_b32 exec_lo, exec_lo, s21
.LBB249_434:                            ;   in Loop: Header=BB249_11 Depth=1
	s_or_b32 exec_lo, exec_lo, s17
.LBB249_435:                            ;   in Loop: Header=BB249_11 Depth=1
	s_or_b32 exec_lo, exec_lo, s13
	v_cmp_ne_u16_sdwa s5, v0, v111 src0_sel:BYTE_1 src1_sel:DWORD
	s_and_saveexec_b32 s13, s5
	s_cbranch_execz .LBB249_443
; %bb.436:                              ;   in Loop: Header=BB249_11 Depth=1
	v_mov_b32_e32 v112, v111
	v_cmp_ne_u16_sdwa s5, v0, v43 src0_sel:BYTE_1 src1_sel:DWORD
	v_mov_b32_e32 v40, v112
	v_mov_b32_e32 v41, v113
	s_and_saveexec_b32 s17, s5
	s_cbranch_execz .LBB249_442
; %bb.437:                              ;   in Loop: Header=BB249_11 Depth=1
	v_mov_b32_e32 v1, 0xffff
	v_mov_b32_e32 v100, v111
	s_mov_b32 s21, exec_lo
	v_and_b32_sdwa v1, v1, v0 dst_sel:DWORD dst_unused:UNUSED_PAD src0_sel:DWORD src1_sel:BYTE_1
	v_mov_b32_e32 v40, v100
	v_mov_b32_e32 v41, v101
	v_and_b32_e32 v2, 0x7f, v1
	v_cmpx_ne_u32_e32 0x7f, v2
	s_cbranch_execz .LBB249_441
; %bb.438:                              ;   in Loop: Header=BB249_11 Depth=1
	v_and_b32_e32 v110, 7, v1
	v_lshrrev_b32_e32 v1, 3, v2
	s_mov_b32 s22, exec_lo
	v_cmpx_gt_u32_e32 8, v2
; %bb.439:                              ;   in Loop: Header=BB249_11 Depth=1
	v_ffbh_u32_e32 v1, v110
	v_min_u32_e32 v1, 32, v1
	v_subrev_nc_u32_e32 v2, 28, v1
	v_sub_nc_u32_e32 v1, 29, v1
	v_lshlrev_b64 v[2:3], v2, v[110:111]
	v_and_b32_e32 v110, 7, v2
; %bb.440:                              ;   in Loop: Header=BB249_11 Depth=1
	s_or_b32 exec_lo, exec_lo, s22
	v_lshlrev_b32_e32 v2, 16, v0
	v_lshlrev_b32_e32 v3, 20, v110
	v_lshl_add_u32 v1, v1, 23, 0x3c000000
	v_mov_b32_e32 v40, v111
	v_and_b32_e32 v2, 0x80000000, v2
	v_or3_b32 v41, v3, v2, v1
.LBB249_441:                            ;   in Loop: Header=BB249_11 Depth=1
	s_or_b32 exec_lo, exec_lo, s21
.LBB249_442:                            ;   in Loop: Header=BB249_11 Depth=1
	s_or_b32 exec_lo, exec_lo, s17
.LBB249_443:                            ;   in Loop: Header=BB249_11 Depth=1
	s_or_b32 exec_lo, exec_lo, s13
	v_mov_b32_e32 v104, 0
	v_mov_b32_e32 v106, 0
	v_and_b32_sdwa v1, v0, v103 dst_sel:DWORD dst_unused:UNUSED_PAD src0_sel:WORD_1 src1_sel:DWORD
	v_mov_b32_e32 v105, 0
	v_mov_b32_e32 v107, 0
	s_mov_b32 s13, exec_lo
	v_cmpx_ne_u16_e32 0, v1
	s_cbranch_execz .LBB249_451
; %bb.444:                              ;   in Loop: Header=BB249_11 Depth=1
	v_bfrev_b32_e32 v106, 1
	v_mov_b32_e32 v107, 0
	s_mov_b32 s17, exec_lo
	v_cmpx_ne_u16_e32 0x80, v1
	s_cbranch_execz .LBB249_450
; %bb.445:                              ;   in Loop: Header=BB249_11 Depth=1
	v_mov_b32_e32 v106, 0x7f800001
	v_bfe_u32 v2, v0, 16, 7
	v_mov_b32_e32 v107, 0
	s_mov_b32 s21, exec_lo
	v_cmpx_ne_u32_e32 0x7f, v2
	s_cbranch_execz .LBB249_449
; %bb.446:                              ;   in Loop: Header=BB249_11 Depth=1
	v_mov_b32_e32 v1, 7
	s_mov_b32 s22, exec_lo
	v_and_b32_sdwa v110, v0, v1 dst_sel:DWORD dst_unused:UNUSED_PAD src0_sel:WORD_1 src1_sel:DWORD
	v_lshrrev_b32_e32 v1, 3, v2
	v_cmpx_gt_u32_e32 8, v2
; %bb.447:                              ;   in Loop: Header=BB249_11 Depth=1
	v_ffbh_u32_e32 v1, v110
	v_min_u32_e32 v1, 32, v1
	v_subrev_nc_u32_e32 v2, 28, v1
	v_sub_nc_u32_e32 v1, 29, v1
	v_lshlrev_b64 v[2:3], v2, v[110:111]
	v_and_b32_e32 v110, 7, v2
; %bb.448:                              ;   in Loop: Header=BB249_11 Depth=1
	s_or_b32 exec_lo, exec_lo, s22
	v_mov_b32_e32 v2, 24
	v_lshlrev_b32_e32 v3, 20, v110
	v_lshl_add_u32 v1, v1, 23, 0x3c000000
	v_lshlrev_b32_sdwa v2, v2, v0 dst_sel:DWORD dst_unused:UNUSED_PAD src0_sel:DWORD src1_sel:WORD_1
	v_and_b32_e32 v2, 0x80000000, v2
	v_or3_b32 v110, v3, v2, v1
	v_mov_b32_e32 v106, v110
	v_mov_b32_e32 v107, v111
.LBB249_449:                            ;   in Loop: Header=BB249_11 Depth=1
	s_or_b32 exec_lo, exec_lo, s21
.LBB249_450:                            ;   in Loop: Header=BB249_11 Depth=1
	s_or_b32 exec_lo, exec_lo, s17
.LBB249_451:                            ;   in Loop: Header=BB249_11 Depth=1
	s_or_b32 exec_lo, exec_lo, s13
	s_mov_b32 s13, exec_lo
	v_cmpx_lt_u32_e32 0xffffff, v0
	s_cbranch_execz .LBB249_459
; %bb.452:                              ;   in Loop: Header=BB249_11 Depth=1
	v_mov_b32_e32 v112, v111
	v_cmp_ne_u32_sdwa s5, v0, v43 src0_sel:BYTE_3 src1_sel:DWORD
	v_mov_b32_e32 v104, v112
	v_mov_b32_e32 v105, v113
	s_and_saveexec_b32 s17, s5
	s_cbranch_execz .LBB249_458
; %bb.453:                              ;   in Loop: Header=BB249_11 Depth=1
	v_mov_b32_e32 v100, v111
	v_mov_b32_e32 v105, v101
	v_bfe_u32 v2, v0, 24, 7
	s_mov_b32 s21, exec_lo
	v_mov_b32_e32 v104, v100
	v_cmpx_ne_u32_e32 0x7f, v2
	s_cbranch_execz .LBB249_457
; %bb.454:                              ;   in Loop: Header=BB249_11 Depth=1
	v_mov_b32_e32 v1, 7
	s_mov_b32 s22, exec_lo
	v_and_b32_sdwa v110, v0, v1 dst_sel:DWORD dst_unused:UNUSED_PAD src0_sel:BYTE_3 src1_sel:DWORD
	v_lshrrev_b32_e32 v1, 3, v2
	v_cmpx_gt_u32_e32 8, v2
; %bb.455:                              ;   in Loop: Header=BB249_11 Depth=1
	v_ffbh_u32_e32 v1, v110
	v_min_u32_e32 v1, 32, v1
	v_subrev_nc_u32_e32 v2, 28, v1
	v_sub_nc_u32_e32 v1, 29, v1
	v_lshlrev_b64 v[2:3], v2, v[110:111]
	v_and_b32_e32 v110, 7, v2
; %bb.456:                              ;   in Loop: Header=BB249_11 Depth=1
	s_or_b32 exec_lo, exec_lo, s22
	v_mov_b32_e32 v2, 24
	v_lshl_add_u32 v1, v1, 23, 0x3c000000
	v_mov_b32_e32 v104, v111
	v_lshlrev_b32_sdwa v0, v2, v0 dst_sel:DWORD dst_unused:UNUSED_PAD src0_sel:DWORD src1_sel:BYTE_3
	v_lshlrev_b32_e32 v2, 20, v110
	v_and_b32_e32 v0, 0x80000000, v0
	v_or3_b32 v105, v2, v0, v1
.LBB249_457:                            ;   in Loop: Header=BB249_11 Depth=1
	s_or_b32 exec_lo, exec_lo, s21
.LBB249_458:                            ;   in Loop: Header=BB249_11 Depth=1
	s_or_b32 exec_lo, exec_lo, s17
.LBB249_459:                            ;   in Loop: Header=BB249_11 Depth=1
	s_or_b32 exec_lo, exec_lo, s13
	flat_load_dword v2, v[114:115] offset:1544
	v_mov_b32_e32 v24, 0
	v_mov_b32_e32 v20, 0
	;; [unrolled: 1-line block ×4, first 2 shown]
	s_waitcnt vmcnt(0) lgkmcnt(0)
	v_cmp_ne_u16_sdwa s5, v2, v111 src0_sel:BYTE_0 src1_sel:DWORD
	s_and_saveexec_b32 s13, s5
	s_cbranch_execz .LBB249_467
; %bb.460:                              ;   in Loop: Header=BB249_11 Depth=1
	v_bfrev_b32_e32 v20, 1
	v_mov_b32_e32 v21, 0
	v_cmp_ne_u16_sdwa s5, v2, v43 src0_sel:BYTE_0 src1_sel:DWORD
	s_and_saveexec_b32 s17, s5
	s_cbranch_execz .LBB249_466
; %bb.461:                              ;   in Loop: Header=BB249_11 Depth=1
	v_mov_b32_e32 v20, 0x7f800001
	v_and_b32_e32 v1, 0x7f, v2
	v_mov_b32_e32 v21, 0
	s_mov_b32 s21, exec_lo
	v_cmpx_ne_u32_e32 0x7f, v1
	s_cbranch_execz .LBB249_465
; %bb.462:                              ;   in Loop: Header=BB249_11 Depth=1
	v_and_b32_e32 v110, 7, v2
	v_lshrrev_b32_e32 v0, 3, v1
	s_mov_b32 s22, exec_lo
	v_cmpx_gt_u32_e32 8, v1
; %bb.463:                              ;   in Loop: Header=BB249_11 Depth=1
	v_ffbh_u32_e32 v0, v110
	v_min_u32_e32 v0, 32, v0
	v_subrev_nc_u32_e32 v1, 28, v0
	v_sub_nc_u32_e32 v0, 29, v0
	v_lshlrev_b64 v[3:4], v1, v[110:111]
	v_and_b32_e32 v110, 7, v3
; %bb.464:                              ;   in Loop: Header=BB249_11 Depth=1
	s_or_b32 exec_lo, exec_lo, s22
	v_lshlrev_b32_e32 v1, 24, v2
	v_lshlrev_b32_e32 v3, 20, v110
	v_lshl_add_u32 v0, v0, 23, 0x3c000000
	v_and_b32_e32 v1, 0x80000000, v1
	v_or3_b32 v110, v3, v1, v0
	v_mov_b32_e32 v20, v110
	v_mov_b32_e32 v21, v111
.LBB249_465:                            ;   in Loop: Header=BB249_11 Depth=1
	s_or_b32 exec_lo, exec_lo, s21
.LBB249_466:                            ;   in Loop: Header=BB249_11 Depth=1
	s_or_b32 exec_lo, exec_lo, s17
.LBB249_467:                            ;   in Loop: Header=BB249_11 Depth=1
	s_or_b32 exec_lo, exec_lo, s13
	v_cmp_ne_u16_sdwa s5, v2, v111 src0_sel:BYTE_1 src1_sel:DWORD
	s_and_saveexec_b32 s13, s5
	s_cbranch_execz .LBB249_475
; %bb.468:                              ;   in Loop: Header=BB249_11 Depth=1
	v_mov_b32_e32 v112, v111
	v_cmp_ne_u16_sdwa s5, v2, v43 src0_sel:BYTE_1 src1_sel:DWORD
	v_mov_b32_e32 v24, v112
	v_mov_b32_e32 v25, v113
	s_and_saveexec_b32 s17, s5
	s_cbranch_execz .LBB249_474
; %bb.469:                              ;   in Loop: Header=BB249_11 Depth=1
	v_mov_b32_e32 v0, 0xffff
	v_mov_b32_e32 v100, v111
	s_mov_b32 s21, exec_lo
	v_and_b32_sdwa v0, v0, v2 dst_sel:DWORD dst_unused:UNUSED_PAD src0_sel:DWORD src1_sel:BYTE_1
	v_mov_b32_e32 v24, v100
	v_mov_b32_e32 v25, v101
	v_and_b32_e32 v1, 0x7f, v0
	v_cmpx_ne_u32_e32 0x7f, v1
	s_cbranch_execz .LBB249_473
; %bb.470:                              ;   in Loop: Header=BB249_11 Depth=1
	v_and_b32_e32 v110, 7, v0
	v_lshrrev_b32_e32 v0, 3, v1
	s_mov_b32 s22, exec_lo
	v_cmpx_gt_u32_e32 8, v1
; %bb.471:                              ;   in Loop: Header=BB249_11 Depth=1
	v_ffbh_u32_e32 v0, v110
	v_min_u32_e32 v0, 32, v0
	v_subrev_nc_u32_e32 v1, 28, v0
	v_sub_nc_u32_e32 v0, 29, v0
	v_lshlrev_b64 v[3:4], v1, v[110:111]
	v_and_b32_e32 v110, 7, v3
; %bb.472:                              ;   in Loop: Header=BB249_11 Depth=1
	s_or_b32 exec_lo, exec_lo, s22
	v_lshlrev_b32_e32 v1, 16, v2
	v_lshlrev_b32_e32 v3, 20, v110
	v_lshl_add_u32 v0, v0, 23, 0x3c000000
	v_mov_b32_e32 v24, v111
	v_and_b32_e32 v1, 0x80000000, v1
	v_or3_b32 v25, v3, v1, v0
.LBB249_473:                            ;   in Loop: Header=BB249_11 Depth=1
	s_or_b32 exec_lo, exec_lo, s21
.LBB249_474:                            ;   in Loop: Header=BB249_11 Depth=1
	s_or_b32 exec_lo, exec_lo, s17
.LBB249_475:                            ;   in Loop: Header=BB249_11 Depth=1
	s_or_b32 exec_lo, exec_lo, s13
	v_mov_b32_e32 v108, 0
	v_mov_b32_e32 v0, 0
	v_and_b32_sdwa v3, v2, v103 dst_sel:DWORD dst_unused:UNUSED_PAD src0_sel:WORD_1 src1_sel:DWORD
	v_mov_b32_e32 v109, 0
	v_mov_b32_e32 v1, 0
	s_mov_b32 s13, exec_lo
	v_cmpx_ne_u16_e32 0, v3
	s_cbranch_execz .LBB249_483
; %bb.476:                              ;   in Loop: Header=BB249_11 Depth=1
	v_bfrev_b32_e32 v0, 1
	v_mov_b32_e32 v1, 0
	s_mov_b32 s17, exec_lo
	v_cmpx_ne_u16_e32 0x80, v3
	s_cbranch_execz .LBB249_482
; %bb.477:                              ;   in Loop: Header=BB249_11 Depth=1
	v_mov_b32_e32 v0, 0x7f800001
	v_bfe_u32 v3, v2, 16, 7
	v_mov_b32_e32 v1, 0
	s_mov_b32 s21, exec_lo
	v_cmpx_ne_u32_e32 0x7f, v3
	s_cbranch_execz .LBB249_481
; %bb.478:                              ;   in Loop: Header=BB249_11 Depth=1
	v_mov_b32_e32 v0, 7
	s_mov_b32 s22, exec_lo
	v_and_b32_sdwa v110, v2, v0 dst_sel:DWORD dst_unused:UNUSED_PAD src0_sel:WORD_1 src1_sel:DWORD
	v_lshrrev_b32_e32 v0, 3, v3
	v_cmpx_gt_u32_e32 8, v3
; %bb.479:                              ;   in Loop: Header=BB249_11 Depth=1
	v_ffbh_u32_e32 v0, v110
	v_min_u32_e32 v0, 32, v0
	v_subrev_nc_u32_e32 v1, 28, v0
	v_sub_nc_u32_e32 v0, 29, v0
	v_lshlrev_b64 v[3:4], v1, v[110:111]
	v_and_b32_e32 v110, 7, v3
; %bb.480:                              ;   in Loop: Header=BB249_11 Depth=1
	s_or_b32 exec_lo, exec_lo, s22
	v_mov_b32_e32 v1, 24
	v_lshlrev_b32_e32 v3, 20, v110
	v_lshl_add_u32 v0, v0, 23, 0x3c000000
	v_lshlrev_b32_sdwa v1, v1, v2 dst_sel:DWORD dst_unused:UNUSED_PAD src0_sel:DWORD src1_sel:WORD_1
	v_and_b32_e32 v1, 0x80000000, v1
	v_or3_b32 v110, v3, v1, v0
	v_mov_b32_e32 v0, v110
	v_mov_b32_e32 v1, v111
.LBB249_481:                            ;   in Loop: Header=BB249_11 Depth=1
	s_or_b32 exec_lo, exec_lo, s21
.LBB249_482:                            ;   in Loop: Header=BB249_11 Depth=1
	s_or_b32 exec_lo, exec_lo, s17
.LBB249_483:                            ;   in Loop: Header=BB249_11 Depth=1
	s_or_b32 exec_lo, exec_lo, s13
	s_mov_b32 s13, exec_lo
	v_cmpx_lt_u32_e32 0xffffff, v2
	s_cbranch_execz .LBB249_491
; %bb.484:                              ;   in Loop: Header=BB249_11 Depth=1
	v_mov_b32_e32 v112, v111
	v_cmp_ne_u32_sdwa s5, v2, v43 src0_sel:BYTE_3 src1_sel:DWORD
	v_mov_b32_e32 v108, v112
	v_mov_b32_e32 v109, v113
	s_and_saveexec_b32 s17, s5
	s_cbranch_execz .LBB249_490
; %bb.485:                              ;   in Loop: Header=BB249_11 Depth=1
	v_mov_b32_e32 v100, v111
	v_mov_b32_e32 v109, v101
	v_bfe_u32 v4, v2, 24, 7
	s_mov_b32 s21, exec_lo
	v_mov_b32_e32 v108, v100
	v_cmpx_ne_u32_e32 0x7f, v4
	s_cbranch_execz .LBB249_489
; %bb.486:                              ;   in Loop: Header=BB249_11 Depth=1
	v_mov_b32_e32 v3, 7
	s_mov_b32 s22, exec_lo
	v_and_b32_sdwa v110, v2, v3 dst_sel:DWORD dst_unused:UNUSED_PAD src0_sel:BYTE_3 src1_sel:DWORD
	v_lshrrev_b32_e32 v3, 3, v4
	v_cmpx_gt_u32_e32 8, v4
; %bb.487:                              ;   in Loop: Header=BB249_11 Depth=1
	v_ffbh_u32_e32 v3, v110
	v_min_u32_e32 v3, 32, v3
	v_subrev_nc_u32_e32 v4, 28, v3
	v_sub_nc_u32_e32 v3, 29, v3
	v_lshlrev_b64 v[4:5], v4, v[110:111]
	v_and_b32_e32 v110, 7, v4
; %bb.488:                              ;   in Loop: Header=BB249_11 Depth=1
	s_or_b32 exec_lo, exec_lo, s22
	v_mov_b32_e32 v4, 24
	v_lshl_add_u32 v3, v3, 23, 0x3c000000
	v_mov_b32_e32 v108, v111
	v_lshlrev_b32_sdwa v2, v4, v2 dst_sel:DWORD dst_unused:UNUSED_PAD src0_sel:DWORD src1_sel:BYTE_3
	v_lshlrev_b32_e32 v4, 20, v110
	v_and_b32_e32 v2, 0x80000000, v2
	v_or3_b32 v109, v4, v2, v3
.LBB249_489:                            ;   in Loop: Header=BB249_11 Depth=1
	s_or_b32 exec_lo, exec_lo, s21
.LBB249_490:                            ;   in Loop: Header=BB249_11 Depth=1
	s_or_b32 exec_lo, exec_lo, s17
.LBB249_491:                            ;   in Loop: Header=BB249_11 Depth=1
	s_or_b32 exec_lo, exec_lo, s13
	flat_load_dword v6, v[114:115] offset:1548
	v_mov_b32_e32 v26, 0
	v_mov_b32_e32 v2, 0
	;; [unrolled: 1-line block ×4, first 2 shown]
	s_waitcnt vmcnt(0) lgkmcnt(0)
	v_cmp_ne_u16_sdwa s5, v6, v111 src0_sel:BYTE_0 src1_sel:DWORD
	s_and_saveexec_b32 s13, s5
	s_cbranch_execz .LBB249_499
; %bb.492:                              ;   in Loop: Header=BB249_11 Depth=1
	v_bfrev_b32_e32 v2, 1
	v_mov_b32_e32 v3, 0
	v_cmp_ne_u16_sdwa s5, v6, v43 src0_sel:BYTE_0 src1_sel:DWORD
	s_and_saveexec_b32 s17, s5
	s_cbranch_execz .LBB249_498
; %bb.493:                              ;   in Loop: Header=BB249_11 Depth=1
	v_mov_b32_e32 v2, 0x7f800001
	v_and_b32_e32 v4, 0x7f, v6
	v_mov_b32_e32 v3, 0
	s_mov_b32 s21, exec_lo
	v_cmpx_ne_u32_e32 0x7f, v4
	s_cbranch_execz .LBB249_497
; %bb.494:                              ;   in Loop: Header=BB249_11 Depth=1
	v_and_b32_e32 v110, 7, v6
	v_lshrrev_b32_e32 v2, 3, v4
	s_mov_b32 s22, exec_lo
	v_cmpx_gt_u32_e32 8, v4
; %bb.495:                              ;   in Loop: Header=BB249_11 Depth=1
	v_ffbh_u32_e32 v2, v110
	v_min_u32_e32 v2, 32, v2
	v_subrev_nc_u32_e32 v3, 28, v2
	v_sub_nc_u32_e32 v2, 29, v2
	v_lshlrev_b64 v[3:4], v3, v[110:111]
	v_and_b32_e32 v110, 7, v3
; %bb.496:                              ;   in Loop: Header=BB249_11 Depth=1
	s_or_b32 exec_lo, exec_lo, s22
	v_lshlrev_b32_e32 v3, 24, v6
	v_lshlrev_b32_e32 v4, 20, v110
	v_lshl_add_u32 v2, v2, 23, 0x3c000000
	v_and_b32_e32 v3, 0x80000000, v3
	v_or3_b32 v110, v4, v3, v2
	v_mov_b32_e32 v2, v110
	v_mov_b32_e32 v3, v111
.LBB249_497:                            ;   in Loop: Header=BB249_11 Depth=1
	s_or_b32 exec_lo, exec_lo, s21
.LBB249_498:                            ;   in Loop: Header=BB249_11 Depth=1
	s_or_b32 exec_lo, exec_lo, s17
.LBB249_499:                            ;   in Loop: Header=BB249_11 Depth=1
	s_or_b32 exec_lo, exec_lo, s13
	v_cmp_ne_u16_sdwa s5, v6, v111 src0_sel:BYTE_1 src1_sel:DWORD
	s_and_saveexec_b32 s13, s5
	s_cbranch_execz .LBB249_507
; %bb.500:                              ;   in Loop: Header=BB249_11 Depth=1
	v_mov_b32_e32 v112, v111
	v_cmp_ne_u16_sdwa s5, v6, v43 src0_sel:BYTE_1 src1_sel:DWORD
	v_mov_b32_e32 v26, v112
	v_mov_b32_e32 v27, v113
	s_and_saveexec_b32 s17, s5
	s_cbranch_execz .LBB249_506
; %bb.501:                              ;   in Loop: Header=BB249_11 Depth=1
	v_mov_b32_e32 v4, 0xffff
	v_mov_b32_e32 v100, v111
	s_mov_b32 s21, exec_lo
	v_and_b32_sdwa v4, v4, v6 dst_sel:DWORD dst_unused:UNUSED_PAD src0_sel:DWORD src1_sel:BYTE_1
	v_mov_b32_e32 v26, v100
	v_mov_b32_e32 v27, v101
	v_and_b32_e32 v5, 0x7f, v4
	v_cmpx_ne_u32_e32 0x7f, v5
	s_cbranch_execz .LBB249_505
; %bb.502:                              ;   in Loop: Header=BB249_11 Depth=1
	v_and_b32_e32 v110, 7, v4
	v_lshrrev_b32_e32 v4, 3, v5
	s_mov_b32 s22, exec_lo
	v_cmpx_gt_u32_e32 8, v5
; %bb.503:                              ;   in Loop: Header=BB249_11 Depth=1
	v_ffbh_u32_e32 v4, v110
	v_min_u32_e32 v4, 32, v4
	v_subrev_nc_u32_e32 v5, 28, v4
	v_sub_nc_u32_e32 v4, 29, v4
	v_lshlrev_b64 v[7:8], v5, v[110:111]
	v_and_b32_e32 v110, 7, v7
; %bb.504:                              ;   in Loop: Header=BB249_11 Depth=1
	s_or_b32 exec_lo, exec_lo, s22
	v_lshlrev_b32_e32 v5, 16, v6
	v_lshlrev_b32_e32 v7, 20, v110
	v_lshl_add_u32 v4, v4, 23, 0x3c000000
	v_mov_b32_e32 v26, v111
	v_and_b32_e32 v5, 0x80000000, v5
	v_or3_b32 v27, v7, v5, v4
.LBB249_505:                            ;   in Loop: Header=BB249_11 Depth=1
	s_or_b32 exec_lo, exec_lo, s21
.LBB249_506:                            ;   in Loop: Header=BB249_11 Depth=1
	s_or_b32 exec_lo, exec_lo, s17
.LBB249_507:                            ;   in Loop: Header=BB249_11 Depth=1
	s_or_b32 exec_lo, exec_lo, s13
	v_mov_b32_e32 v4, 0
	v_mov_b32_e32 v10, 0
	v_and_b32_sdwa v7, v6, v103 dst_sel:DWORD dst_unused:UNUSED_PAD src0_sel:WORD_1 src1_sel:DWORD
	v_mov_b32_e32 v5, 0
	v_mov_b32_e32 v11, 0
	s_mov_b32 s13, exec_lo
	v_cmpx_ne_u16_e32 0, v7
	s_cbranch_execz .LBB249_515
; %bb.508:                              ;   in Loop: Header=BB249_11 Depth=1
	v_bfrev_b32_e32 v10, 1
	v_mov_b32_e32 v11, 0
	s_mov_b32 s17, exec_lo
	v_cmpx_ne_u16_e32 0x80, v7
	s_cbranch_execz .LBB249_514
; %bb.509:                              ;   in Loop: Header=BB249_11 Depth=1
	v_mov_b32_e32 v10, 0x7f800001
	v_bfe_u32 v8, v6, 16, 7
	v_mov_b32_e32 v11, 0
	s_mov_b32 s21, exec_lo
	v_cmpx_ne_u32_e32 0x7f, v8
	s_cbranch_execz .LBB249_513
; %bb.510:                              ;   in Loop: Header=BB249_11 Depth=1
	v_mov_b32_e32 v7, 7
	s_mov_b32 s22, exec_lo
	v_and_b32_sdwa v110, v6, v7 dst_sel:DWORD dst_unused:UNUSED_PAD src0_sel:WORD_1 src1_sel:DWORD
	v_lshrrev_b32_e32 v7, 3, v8
	v_cmpx_gt_u32_e32 8, v8
; %bb.511:                              ;   in Loop: Header=BB249_11 Depth=1
	v_ffbh_u32_e32 v7, v110
	v_min_u32_e32 v7, 32, v7
	v_subrev_nc_u32_e32 v8, 28, v7
	v_sub_nc_u32_e32 v7, 29, v7
	v_lshlrev_b64 v[8:9], v8, v[110:111]
	v_and_b32_e32 v110, 7, v8
; %bb.512:                              ;   in Loop: Header=BB249_11 Depth=1
	s_or_b32 exec_lo, exec_lo, s22
	v_mov_b32_e32 v8, 24
	v_lshlrev_b32_e32 v9, 20, v110
	v_lshl_add_u32 v7, v7, 23, 0x3c000000
	v_lshlrev_b32_sdwa v8, v8, v6 dst_sel:DWORD dst_unused:UNUSED_PAD src0_sel:DWORD src1_sel:WORD_1
	v_and_b32_e32 v8, 0x80000000, v8
	v_or3_b32 v110, v9, v8, v7
	v_mov_b32_e32 v10, v110
	v_mov_b32_e32 v11, v111
.LBB249_513:                            ;   in Loop: Header=BB249_11 Depth=1
	s_or_b32 exec_lo, exec_lo, s21
.LBB249_514:                            ;   in Loop: Header=BB249_11 Depth=1
	s_or_b32 exec_lo, exec_lo, s17
.LBB249_515:                            ;   in Loop: Header=BB249_11 Depth=1
	s_or_b32 exec_lo, exec_lo, s13
	s_mov_b32 s13, exec_lo
	v_cmpx_lt_u32_e32 0xffffff, v6
	s_cbranch_execz .LBB249_523
; %bb.516:                              ;   in Loop: Header=BB249_11 Depth=1
	v_mov_b32_e32 v112, v111
	v_cmp_ne_u32_sdwa s5, v6, v43 src0_sel:BYTE_3 src1_sel:DWORD
	v_mov_b32_e32 v4, v112
	v_mov_b32_e32 v5, v113
	s_and_saveexec_b32 s17, s5
	s_cbranch_execz .LBB249_522
; %bb.517:                              ;   in Loop: Header=BB249_11 Depth=1
	v_mov_b32_e32 v100, v111
	v_bfe_u32 v7, v6, 24, 7
	s_mov_b32 s21, exec_lo
	v_mov_b32_e32 v4, v100
	v_mov_b32_e32 v5, v101
	v_cmpx_ne_u32_e32 0x7f, v7
	s_cbranch_execz .LBB249_521
; %bb.518:                              ;   in Loop: Header=BB249_11 Depth=1
	v_mov_b32_e32 v4, 7
	s_mov_b32 s22, exec_lo
	v_and_b32_sdwa v110, v6, v4 dst_sel:DWORD dst_unused:UNUSED_PAD src0_sel:BYTE_3 src1_sel:DWORD
	v_lshrrev_b32_e32 v4, 3, v7
	v_cmpx_gt_u32_e32 8, v7
; %bb.519:                              ;   in Loop: Header=BB249_11 Depth=1
	v_ffbh_u32_e32 v4, v110
	v_min_u32_e32 v4, 32, v4
	v_subrev_nc_u32_e32 v5, 28, v4
	v_sub_nc_u32_e32 v4, 29, v4
	v_lshlrev_b64 v[7:8], v5, v[110:111]
	v_and_b32_e32 v110, 7, v7
; %bb.520:                              ;   in Loop: Header=BB249_11 Depth=1
	s_or_b32 exec_lo, exec_lo, s22
	v_mov_b32_e32 v5, 24
	v_lshl_add_u32 v4, v4, 23, 0x3c000000
	v_lshlrev_b32_sdwa v5, v5, v6 dst_sel:DWORD dst_unused:UNUSED_PAD src0_sel:DWORD src1_sel:BYTE_3
	v_lshlrev_b32_e32 v6, 20, v110
	v_and_b32_e32 v5, 0x80000000, v5
	v_or3_b32 v5, v6, v5, v4
	v_mov_b32_e32 v4, v111
.LBB249_521:                            ;   in Loop: Header=BB249_11 Depth=1
	s_or_b32 exec_lo, exec_lo, s21
.LBB249_522:                            ;   in Loop: Header=BB249_11 Depth=1
	s_or_b32 exec_lo, exec_lo, s17
.LBB249_523:                            ;   in Loop: Header=BB249_11 Depth=1
	s_or_b32 exec_lo, exec_lo, s13
	v_add_co_u32 v18, s5, 0x800, v114
	v_add_co_ci_u32_e64 v19, null, 0, v115, s5
	v_mov_b32_e32 v12, 0
	v_mov_b32_e32 v114, 0
	;; [unrolled: 1-line block ×3, first 2 shown]
	flat_load_dword v6, v[18:19]
	v_mov_b32_e32 v115, 0
	s_waitcnt vmcnt(0) lgkmcnt(0)
	v_cmp_ne_u16_sdwa s5, v6, v111 src0_sel:BYTE_0 src1_sel:DWORD
	s_and_saveexec_b32 s13, s5
	s_cbranch_execz .LBB249_531
; %bb.524:                              ;   in Loop: Header=BB249_11 Depth=1
	v_bfrev_b32_e32 v114, 1
	v_mov_b32_e32 v115, 0
	v_cmp_ne_u16_sdwa s5, v6, v43 src0_sel:BYTE_0 src1_sel:DWORD
	s_and_saveexec_b32 s17, s5
	s_cbranch_execz .LBB249_530
; %bb.525:                              ;   in Loop: Header=BB249_11 Depth=1
	v_mov_b32_e32 v114, 0x7f800001
	v_and_b32_e32 v8, 0x7f, v6
	v_mov_b32_e32 v115, 0
	s_mov_b32 s21, exec_lo
	v_cmpx_ne_u32_e32 0x7f, v8
	s_cbranch_execz .LBB249_529
; %bb.526:                              ;   in Loop: Header=BB249_11 Depth=1
	v_and_b32_e32 v110, 7, v6
	v_lshrrev_b32_e32 v7, 3, v8
	s_mov_b32 s22, exec_lo
	v_cmpx_gt_u32_e32 8, v8
; %bb.527:                              ;   in Loop: Header=BB249_11 Depth=1
	v_ffbh_u32_e32 v7, v110
	v_min_u32_e32 v7, 32, v7
	v_subrev_nc_u32_e32 v8, 28, v7
	v_sub_nc_u32_e32 v7, 29, v7
	v_lshlrev_b64 v[8:9], v8, v[110:111]
	v_and_b32_e32 v110, 7, v8
; %bb.528:                              ;   in Loop: Header=BB249_11 Depth=1
	s_or_b32 exec_lo, exec_lo, s22
	v_lshlrev_b32_e32 v8, 24, v6
	v_lshlrev_b32_e32 v9, 20, v110
	v_lshl_add_u32 v7, v7, 23, 0x3c000000
	v_and_b32_e32 v8, 0x80000000, v8
	v_or3_b32 v110, v9, v8, v7
	v_mov_b32_e32 v115, v111
	v_mov_b32_e32 v114, v110
.LBB249_529:                            ;   in Loop: Header=BB249_11 Depth=1
	s_or_b32 exec_lo, exec_lo, s21
.LBB249_530:                            ;   in Loop: Header=BB249_11 Depth=1
	s_or_b32 exec_lo, exec_lo, s17
.LBB249_531:                            ;   in Loop: Header=BB249_11 Depth=1
	s_or_b32 exec_lo, exec_lo, s13
	v_cmp_ne_u16_sdwa s5, v6, v111 src0_sel:BYTE_1 src1_sel:DWORD
	s_and_saveexec_b32 s13, s5
	s_cbranch_execz .LBB249_539
; %bb.532:                              ;   in Loop: Header=BB249_11 Depth=1
	v_mov_b32_e32 v112, v111
	v_cmp_ne_u16_sdwa s5, v6, v43 src0_sel:BYTE_1 src1_sel:DWORD
	v_mov_b32_e32 v12, v112
	v_mov_b32_e32 v13, v113
	s_and_saveexec_b32 s17, s5
	s_cbranch_execz .LBB249_538
; %bb.533:                              ;   in Loop: Header=BB249_11 Depth=1
	v_mov_b32_e32 v7, 0xffff
	v_mov_b32_e32 v100, v111
	s_mov_b32 s21, exec_lo
	v_and_b32_sdwa v7, v7, v6 dst_sel:DWORD dst_unused:UNUSED_PAD src0_sel:DWORD src1_sel:BYTE_1
	v_mov_b32_e32 v12, v100
	v_mov_b32_e32 v13, v101
	v_and_b32_e32 v8, 0x7f, v7
	v_cmpx_ne_u32_e32 0x7f, v8
	s_cbranch_execz .LBB249_537
; %bb.534:                              ;   in Loop: Header=BB249_11 Depth=1
	v_and_b32_e32 v110, 7, v7
	v_lshrrev_b32_e32 v7, 3, v8
	s_mov_b32 s22, exec_lo
	v_cmpx_gt_u32_e32 8, v8
; %bb.535:                              ;   in Loop: Header=BB249_11 Depth=1
	v_ffbh_u32_e32 v7, v110
	v_min_u32_e32 v7, 32, v7
	v_subrev_nc_u32_e32 v8, 28, v7
	v_sub_nc_u32_e32 v7, 29, v7
	v_lshlrev_b64 v[8:9], v8, v[110:111]
	v_and_b32_e32 v110, 7, v8
; %bb.536:                              ;   in Loop: Header=BB249_11 Depth=1
	s_or_b32 exec_lo, exec_lo, s22
	v_lshlrev_b32_e32 v8, 16, v6
	v_lshlrev_b32_e32 v9, 20, v110
	v_lshl_add_u32 v7, v7, 23, 0x3c000000
	v_mov_b32_e32 v12, v111
	v_and_b32_e32 v8, 0x80000000, v8
	v_or3_b32 v13, v9, v8, v7
.LBB249_537:                            ;   in Loop: Header=BB249_11 Depth=1
	s_or_b32 exec_lo, exec_lo, s21
.LBB249_538:                            ;   in Loop: Header=BB249_11 Depth=1
	s_or_b32 exec_lo, exec_lo, s17
.LBB249_539:                            ;   in Loop: Header=BB249_11 Depth=1
	s_or_b32 exec_lo, exec_lo, s13
	v_mov_b32_e32 v22, 0
	v_mov_b32_e32 v14, 0
	v_and_b32_sdwa v7, v6, v103 dst_sel:DWORD dst_unused:UNUSED_PAD src0_sel:WORD_1 src1_sel:DWORD
	v_mov_b32_e32 v23, 0
	v_mov_b32_e32 v15, 0
	s_mov_b32 s13, exec_lo
	v_cmpx_ne_u16_e32 0, v7
	s_cbranch_execz .LBB249_547
; %bb.540:                              ;   in Loop: Header=BB249_11 Depth=1
	v_bfrev_b32_e32 v14, 1
	v_mov_b32_e32 v15, 0
	s_mov_b32 s17, exec_lo
	v_cmpx_ne_u16_e32 0x80, v7
	s_cbranch_execz .LBB249_546
; %bb.541:                              ;   in Loop: Header=BB249_11 Depth=1
	v_mov_b32_e32 v14, 0x7f800001
	v_bfe_u32 v8, v6, 16, 7
	v_mov_b32_e32 v15, 0
	s_mov_b32 s21, exec_lo
	v_cmpx_ne_u32_e32 0x7f, v8
	s_cbranch_execz .LBB249_545
; %bb.542:                              ;   in Loop: Header=BB249_11 Depth=1
	v_mov_b32_e32 v7, 7
	s_mov_b32 s22, exec_lo
	v_and_b32_sdwa v110, v6, v7 dst_sel:DWORD dst_unused:UNUSED_PAD src0_sel:WORD_1 src1_sel:DWORD
	v_lshrrev_b32_e32 v7, 3, v8
	v_cmpx_gt_u32_e32 8, v8
; %bb.543:                              ;   in Loop: Header=BB249_11 Depth=1
	v_ffbh_u32_e32 v7, v110
	v_min_u32_e32 v7, 32, v7
	v_subrev_nc_u32_e32 v8, 28, v7
	v_sub_nc_u32_e32 v7, 29, v7
	v_lshlrev_b64 v[8:9], v8, v[110:111]
	v_and_b32_e32 v110, 7, v8
; %bb.544:                              ;   in Loop: Header=BB249_11 Depth=1
	s_or_b32 exec_lo, exec_lo, s22
	v_mov_b32_e32 v8, 24
	v_lshlrev_b32_e32 v9, 20, v110
	v_lshl_add_u32 v7, v7, 23, 0x3c000000
	v_lshlrev_b32_sdwa v8, v8, v6 dst_sel:DWORD dst_unused:UNUSED_PAD src0_sel:DWORD src1_sel:WORD_1
	v_and_b32_e32 v8, 0x80000000, v8
	v_or3_b32 v110, v9, v8, v7
	v_mov_b32_e32 v14, v110
	v_mov_b32_e32 v15, v111
.LBB249_545:                            ;   in Loop: Header=BB249_11 Depth=1
	s_or_b32 exec_lo, exec_lo, s21
.LBB249_546:                            ;   in Loop: Header=BB249_11 Depth=1
	s_or_b32 exec_lo, exec_lo, s17
.LBB249_547:                            ;   in Loop: Header=BB249_11 Depth=1
	s_or_b32 exec_lo, exec_lo, s13
	s_mov_b32 s13, exec_lo
	v_cmpx_lt_u32_e32 0xffffff, v6
	s_cbranch_execz .LBB249_555
; %bb.548:                              ;   in Loop: Header=BB249_11 Depth=1
	v_mov_b32_e32 v112, v111
	v_cmp_ne_u32_sdwa s5, v6, v43 src0_sel:BYTE_3 src1_sel:DWORD
	v_mov_b32_e32 v22, v112
	v_mov_b32_e32 v23, v113
	s_and_saveexec_b32 s17, s5
	s_cbranch_execz .LBB249_554
; %bb.549:                              ;   in Loop: Header=BB249_11 Depth=1
	v_mov_b32_e32 v100, v111
	v_bfe_u32 v8, v6, 24, 7
	s_mov_b32 s21, exec_lo
	v_mov_b32_e32 v22, v100
	v_mov_b32_e32 v23, v101
	v_cmpx_ne_u32_e32 0x7f, v8
	s_cbranch_execz .LBB249_553
; %bb.550:                              ;   in Loop: Header=BB249_11 Depth=1
	v_mov_b32_e32 v7, 7
	s_mov_b32 s22, exec_lo
	v_and_b32_sdwa v110, v6, v7 dst_sel:DWORD dst_unused:UNUSED_PAD src0_sel:BYTE_3 src1_sel:DWORD
	v_lshrrev_b32_e32 v7, 3, v8
	v_cmpx_gt_u32_e32 8, v8
; %bb.551:                              ;   in Loop: Header=BB249_11 Depth=1
	v_ffbh_u32_e32 v7, v110
	v_min_u32_e32 v7, 32, v7
	v_subrev_nc_u32_e32 v8, 28, v7
	v_sub_nc_u32_e32 v7, 29, v7
	v_lshlrev_b64 v[8:9], v8, v[110:111]
	v_and_b32_e32 v110, 7, v8
; %bb.552:                              ;   in Loop: Header=BB249_11 Depth=1
	s_or_b32 exec_lo, exec_lo, s22
	v_mov_b32_e32 v8, 24
	v_lshl_add_u32 v7, v7, 23, 0x3c000000
	v_mov_b32_e32 v22, v111
	v_lshlrev_b32_sdwa v6, v8, v6 dst_sel:DWORD dst_unused:UNUSED_PAD src0_sel:DWORD src1_sel:BYTE_3
	v_lshlrev_b32_e32 v8, 20, v110
	v_and_b32_e32 v6, 0x80000000, v6
	v_or3_b32 v23, v8, v6, v7
.LBB249_553:                            ;   in Loop: Header=BB249_11 Depth=1
	s_or_b32 exec_lo, exec_lo, s21
.LBB249_554:                            ;   in Loop: Header=BB249_11 Depth=1
	s_or_b32 exec_lo, exec_lo, s17
.LBB249_555:                            ;   in Loop: Header=BB249_11 Depth=1
	s_or_b32 exec_lo, exec_lo, s13
	flat_load_dword v8, v[18:19] offset:4
	v_mov_b32_e32 v120, 0
	v_mov_b32_e32 v16, 0
	;; [unrolled: 1-line block ×4, first 2 shown]
	s_waitcnt vmcnt(0) lgkmcnt(0)
	v_cmp_ne_u16_sdwa s5, v8, v111 src0_sel:BYTE_0 src1_sel:DWORD
	s_and_saveexec_b32 s13, s5
	s_cbranch_execz .LBB249_563
; %bb.556:                              ;   in Loop: Header=BB249_11 Depth=1
	v_bfrev_b32_e32 v16, 1
	v_mov_b32_e32 v17, 0
	v_cmp_ne_u16_sdwa s5, v8, v43 src0_sel:BYTE_0 src1_sel:DWORD
	s_and_saveexec_b32 s17, s5
	s_cbranch_execz .LBB249_562
; %bb.557:                              ;   in Loop: Header=BB249_11 Depth=1
	v_mov_b32_e32 v16, 0x7f800001
	v_and_b32_e32 v7, 0x7f, v8
	v_mov_b32_e32 v17, 0
	s_mov_b32 s21, exec_lo
	v_cmpx_ne_u32_e32 0x7f, v7
	s_cbranch_execz .LBB249_561
; %bb.558:                              ;   in Loop: Header=BB249_11 Depth=1
	v_and_b32_e32 v110, 7, v8
	v_lshrrev_b32_e32 v6, 3, v7
	s_mov_b32 s22, exec_lo
	v_cmpx_gt_u32_e32 8, v7
; %bb.559:                              ;   in Loop: Header=BB249_11 Depth=1
	v_ffbh_u32_e32 v6, v110
	v_min_u32_e32 v6, 32, v6
	v_subrev_nc_u32_e32 v7, 28, v6
	v_sub_nc_u32_e32 v6, 29, v6
	v_lshlrev_b64 v[16:17], v7, v[110:111]
	v_and_b32_e32 v110, 7, v16
; %bb.560:                              ;   in Loop: Header=BB249_11 Depth=1
	s_or_b32 exec_lo, exec_lo, s22
	v_lshlrev_b32_e32 v7, 24, v8
	v_lshlrev_b32_e32 v9, 20, v110
	v_lshl_add_u32 v6, v6, 23, 0x3c000000
	v_and_b32_e32 v7, 0x80000000, v7
	v_or3_b32 v110, v9, v7, v6
	v_mov_b32_e32 v16, v110
	v_mov_b32_e32 v17, v111
.LBB249_561:                            ;   in Loop: Header=BB249_11 Depth=1
	s_or_b32 exec_lo, exec_lo, s21
.LBB249_562:                            ;   in Loop: Header=BB249_11 Depth=1
	s_or_b32 exec_lo, exec_lo, s17
.LBB249_563:                            ;   in Loop: Header=BB249_11 Depth=1
	s_or_b32 exec_lo, exec_lo, s13
	v_cmp_ne_u16_sdwa s5, v8, v111 src0_sel:BYTE_1 src1_sel:DWORD
	s_and_saveexec_b32 s13, s5
	s_cbranch_execz .LBB249_571
; %bb.564:                              ;   in Loop: Header=BB249_11 Depth=1
	v_mov_b32_e32 v112, v111
	v_mov_b32_e32 v121, v113
	v_cmp_ne_u16_sdwa s5, v8, v43 src0_sel:BYTE_1 src1_sel:DWORD
	v_mov_b32_e32 v120, v112
	s_and_saveexec_b32 s17, s5
	s_cbranch_execz .LBB249_570
; %bb.565:                              ;   in Loop: Header=BB249_11 Depth=1
	v_mov_b32_e32 v6, 0xffff
	v_mov_b32_e32 v100, v111
	;; [unrolled: 1-line block ×3, first 2 shown]
	s_mov_b32 s21, exec_lo
	v_and_b32_sdwa v6, v6, v8 dst_sel:DWORD dst_unused:UNUSED_PAD src0_sel:DWORD src1_sel:BYTE_1
	v_mov_b32_e32 v120, v100
	v_and_b32_e32 v7, 0x7f, v6
	v_cmpx_ne_u32_e32 0x7f, v7
	s_cbranch_execz .LBB249_569
; %bb.566:                              ;   in Loop: Header=BB249_11 Depth=1
	v_and_b32_e32 v110, 7, v6
	v_lshrrev_b32_e32 v6, 3, v7
	s_mov_b32 s22, exec_lo
	v_cmpx_gt_u32_e32 8, v7
; %bb.567:                              ;   in Loop: Header=BB249_11 Depth=1
	v_ffbh_u32_e32 v6, v110
	v_min_u32_e32 v6, 32, v6
	v_subrev_nc_u32_e32 v7, 28, v6
	v_sub_nc_u32_e32 v6, 29, v6
	v_lshlrev_b64 v[28:29], v7, v[110:111]
	v_and_b32_e32 v110, 7, v28
; %bb.568:                              ;   in Loop: Header=BB249_11 Depth=1
	s_or_b32 exec_lo, exec_lo, s22
	v_lshlrev_b32_e32 v7, 16, v8
	v_lshlrev_b32_e32 v9, 20, v110
	v_lshl_add_u32 v6, v6, 23, 0x3c000000
	v_mov_b32_e32 v120, v111
	v_and_b32_e32 v7, 0x80000000, v7
	v_or3_b32 v121, v9, v7, v6
.LBB249_569:                            ;   in Loop: Header=BB249_11 Depth=1
	s_or_b32 exec_lo, exec_lo, s21
.LBB249_570:                            ;   in Loop: Header=BB249_11 Depth=1
	s_or_b32 exec_lo, exec_lo, s17
.LBB249_571:                            ;   in Loop: Header=BB249_11 Depth=1
	s_or_b32 exec_lo, exec_lo, s13
	v_mov_b32_e32 v6, 0
	v_mov_b32_e32 v32, 0
	v_and_b32_sdwa v9, v8, v103 dst_sel:DWORD dst_unused:UNUSED_PAD src0_sel:WORD_1 src1_sel:DWORD
	v_mov_b32_e32 v7, 0
	v_mov_b32_e32 v33, 0
	s_mov_b32 s13, exec_lo
	v_cmpx_ne_u16_e32 0, v9
	s_cbranch_execz .LBB249_579
; %bb.572:                              ;   in Loop: Header=BB249_11 Depth=1
	v_bfrev_b32_e32 v32, 1
	v_mov_b32_e32 v33, 0
	s_mov_b32 s17, exec_lo
	v_cmpx_ne_u16_e32 0x80, v9
	s_cbranch_execz .LBB249_578
; %bb.573:                              ;   in Loop: Header=BB249_11 Depth=1
	v_mov_b32_e32 v32, 0x7f800001
	v_bfe_u32 v28, v8, 16, 7
	v_mov_b32_e32 v33, 0
	s_mov_b32 s21, exec_lo
	v_cmpx_ne_u32_e32 0x7f, v28
	s_cbranch_execz .LBB249_577
; %bb.574:                              ;   in Loop: Header=BB249_11 Depth=1
	v_mov_b32_e32 v9, 7
	s_mov_b32 s22, exec_lo
	v_and_b32_sdwa v110, v8, v9 dst_sel:DWORD dst_unused:UNUSED_PAD src0_sel:WORD_1 src1_sel:DWORD
	v_lshrrev_b32_e32 v9, 3, v28
	v_cmpx_gt_u32_e32 8, v28
; %bb.575:                              ;   in Loop: Header=BB249_11 Depth=1
	v_ffbh_u32_e32 v9, v110
	v_min_u32_e32 v9, 32, v9
	v_subrev_nc_u32_e32 v28, 28, v9
	v_sub_nc_u32_e32 v9, 29, v9
	v_lshlrev_b64 v[28:29], v28, v[110:111]
	v_and_b32_e32 v110, 7, v28
; %bb.576:                              ;   in Loop: Header=BB249_11 Depth=1
	s_or_b32 exec_lo, exec_lo, s22
	v_mov_b32_e32 v28, 24
	v_lshlrev_b32_e32 v29, 20, v110
	v_lshl_add_u32 v9, v9, 23, 0x3c000000
	v_lshlrev_b32_sdwa v28, v28, v8 dst_sel:DWORD dst_unused:UNUSED_PAD src0_sel:DWORD src1_sel:WORD_1
	v_and_b32_e32 v28, 0x80000000, v28
	v_or3_b32 v110, v29, v28, v9
	v_mov_b32_e32 v32, v110
	v_mov_b32_e32 v33, v111
.LBB249_577:                            ;   in Loop: Header=BB249_11 Depth=1
	s_or_b32 exec_lo, exec_lo, s21
.LBB249_578:                            ;   in Loop: Header=BB249_11 Depth=1
	s_or_b32 exec_lo, exec_lo, s17
.LBB249_579:                            ;   in Loop: Header=BB249_11 Depth=1
	s_or_b32 exec_lo, exec_lo, s13
	s_mov_b32 s13, exec_lo
	v_cmpx_lt_u32_e32 0xffffff, v8
	s_cbranch_execz .LBB249_587
; %bb.580:                              ;   in Loop: Header=BB249_11 Depth=1
	v_mov_b32_e32 v112, v111
	v_cmp_ne_u32_sdwa s5, v8, v43 src0_sel:BYTE_3 src1_sel:DWORD
	v_mov_b32_e32 v6, v112
	v_mov_b32_e32 v7, v113
	s_and_saveexec_b32 s17, s5
	s_cbranch_execz .LBB249_586
; %bb.581:                              ;   in Loop: Header=BB249_11 Depth=1
	v_mov_b32_e32 v100, v111
	v_bfe_u32 v9, v8, 24, 7
	s_mov_b32 s21, exec_lo
	v_mov_b32_e32 v6, v100
	v_mov_b32_e32 v7, v101
	v_cmpx_ne_u32_e32 0x7f, v9
	s_cbranch_execz .LBB249_585
; %bb.582:                              ;   in Loop: Header=BB249_11 Depth=1
	v_mov_b32_e32 v6, 7
	s_mov_b32 s22, exec_lo
	v_and_b32_sdwa v110, v8, v6 dst_sel:DWORD dst_unused:UNUSED_PAD src0_sel:BYTE_3 src1_sel:DWORD
	v_lshrrev_b32_e32 v6, 3, v9
	v_cmpx_gt_u32_e32 8, v9
; %bb.583:                              ;   in Loop: Header=BB249_11 Depth=1
	v_ffbh_u32_e32 v6, v110
	v_min_u32_e32 v6, 32, v6
	v_subrev_nc_u32_e32 v7, 28, v6
	v_sub_nc_u32_e32 v6, 29, v6
	v_lshlrev_b64 v[28:29], v7, v[110:111]
	v_and_b32_e32 v110, 7, v28
; %bb.584:                              ;   in Loop: Header=BB249_11 Depth=1
	s_or_b32 exec_lo, exec_lo, s22
	v_mov_b32_e32 v7, 24
	v_lshl_add_u32 v6, v6, 23, 0x3c000000
	v_lshlrev_b32_sdwa v7, v7, v8 dst_sel:DWORD dst_unused:UNUSED_PAD src0_sel:DWORD src1_sel:BYTE_3
	v_lshlrev_b32_e32 v8, 20, v110
	v_and_b32_e32 v7, 0x80000000, v7
	v_or3_b32 v7, v8, v7, v6
	v_mov_b32_e32 v6, v111
.LBB249_585:                            ;   in Loop: Header=BB249_11 Depth=1
	s_or_b32 exec_lo, exec_lo, s21
.LBB249_586:                            ;   in Loop: Header=BB249_11 Depth=1
	s_or_b32 exec_lo, exec_lo, s17
.LBB249_587:                            ;   in Loop: Header=BB249_11 Depth=1
	s_or_b32 exec_lo, exec_lo, s13
	flat_load_dword v30, v[18:19] offset:8
	v_mov_b32_e32 v34, 0
	v_mov_b32_e32 v8, 0
	;; [unrolled: 1-line block ×4, first 2 shown]
	s_waitcnt vmcnt(0) lgkmcnt(0)
	v_cmp_ne_u16_sdwa s5, v30, v111 src0_sel:BYTE_0 src1_sel:DWORD
	s_and_saveexec_b32 s13, s5
	s_cbranch_execz .LBB249_595
; %bb.588:                              ;   in Loop: Header=BB249_11 Depth=1
	v_bfrev_b32_e32 v8, 1
	v_mov_b32_e32 v9, 0
	v_cmp_ne_u16_sdwa s5, v30, v43 src0_sel:BYTE_0 src1_sel:DWORD
	s_and_saveexec_b32 s17, s5
	s_cbranch_execz .LBB249_594
; %bb.589:                              ;   in Loop: Header=BB249_11 Depth=1
	v_mov_b32_e32 v8, 0x7f800001
	v_and_b32_e32 v28, 0x7f, v30
	v_mov_b32_e32 v9, 0
	s_mov_b32 s21, exec_lo
	v_cmpx_ne_u32_e32 0x7f, v28
	s_cbranch_execz .LBB249_593
; %bb.590:                              ;   in Loop: Header=BB249_11 Depth=1
	v_and_b32_e32 v110, 7, v30
	v_lshrrev_b32_e32 v8, 3, v28
	s_mov_b32 s22, exec_lo
	v_cmpx_gt_u32_e32 8, v28
; %bb.591:                              ;   in Loop: Header=BB249_11 Depth=1
	v_ffbh_u32_e32 v8, v110
	v_min_u32_e32 v8, 32, v8
	v_subrev_nc_u32_e32 v9, 28, v8
	v_sub_nc_u32_e32 v8, 29, v8
	v_lshlrev_b64 v[28:29], v9, v[110:111]
	v_and_b32_e32 v110, 7, v28
; %bb.592:                              ;   in Loop: Header=BB249_11 Depth=1
	s_or_b32 exec_lo, exec_lo, s22
	v_lshlrev_b32_e32 v9, 24, v30
	v_lshlrev_b32_e32 v28, 20, v110
	v_lshl_add_u32 v8, v8, 23, 0x3c000000
	v_and_b32_e32 v9, 0x80000000, v9
	v_or3_b32 v110, v28, v9, v8
	v_mov_b32_e32 v8, v110
	v_mov_b32_e32 v9, v111
.LBB249_593:                            ;   in Loop: Header=BB249_11 Depth=1
	s_or_b32 exec_lo, exec_lo, s21
.LBB249_594:                            ;   in Loop: Header=BB249_11 Depth=1
	s_or_b32 exec_lo, exec_lo, s17
.LBB249_595:                            ;   in Loop: Header=BB249_11 Depth=1
	s_or_b32 exec_lo, exec_lo, s13
	v_cmp_ne_u16_sdwa s5, v30, v111 src0_sel:BYTE_1 src1_sel:DWORD
	s_and_saveexec_b32 s13, s5
	s_cbranch_execz .LBB249_603
; %bb.596:                              ;   in Loop: Header=BB249_11 Depth=1
	v_mov_b32_e32 v112, v111
	v_cmp_ne_u16_sdwa s5, v30, v43 src0_sel:BYTE_1 src1_sel:DWORD
	v_mov_b32_e32 v34, v112
	v_mov_b32_e32 v35, v113
	s_and_saveexec_b32 s17, s5
	s_cbranch_execz .LBB249_602
; %bb.597:                              ;   in Loop: Header=BB249_11 Depth=1
	v_mov_b32_e32 v28, 0xffff
	v_mov_b32_e32 v100, v111
	s_mov_b32 s21, exec_lo
	v_and_b32_sdwa v28, v28, v30 dst_sel:DWORD dst_unused:UNUSED_PAD src0_sel:DWORD src1_sel:BYTE_1
	v_mov_b32_e32 v34, v100
	v_mov_b32_e32 v35, v101
	v_and_b32_e32 v29, 0x7f, v28
	v_cmpx_ne_u32_e32 0x7f, v29
	s_cbranch_execz .LBB249_601
; %bb.598:                              ;   in Loop: Header=BB249_11 Depth=1
	v_and_b32_e32 v110, 7, v28
	v_lshrrev_b32_e32 v28, 3, v29
	s_mov_b32 s22, exec_lo
	v_cmpx_gt_u32_e32 8, v29
; %bb.599:                              ;   in Loop: Header=BB249_11 Depth=1
	v_ffbh_u32_e32 v28, v110
	v_min_u32_e32 v28, 32, v28
	v_subrev_nc_u32_e32 v29, 28, v28
	v_sub_nc_u32_e32 v28, 29, v28
	v_lshlrev_b64 v[34:35], v29, v[110:111]
	v_and_b32_e32 v110, 7, v34
; %bb.600:                              ;   in Loop: Header=BB249_11 Depth=1
	s_or_b32 exec_lo, exec_lo, s22
	v_lshlrev_b32_e32 v29, 16, v30
	v_lshlrev_b32_e32 v31, 20, v110
	v_lshl_add_u32 v28, v28, 23, 0x3c000000
	v_mov_b32_e32 v34, v111
	v_and_b32_e32 v29, 0x80000000, v29
	v_or3_b32 v35, v31, v29, v28
.LBB249_601:                            ;   in Loop: Header=BB249_11 Depth=1
	s_or_b32 exec_lo, exec_lo, s21
.LBB249_602:                            ;   in Loop: Header=BB249_11 Depth=1
	s_or_b32 exec_lo, exec_lo, s17
.LBB249_603:                            ;   in Loop: Header=BB249_11 Depth=1
	s_or_b32 exec_lo, exec_lo, s13
	v_mov_b32_e32 v28, 0
	v_mov_b32_e32 v48, 0
	v_and_b32_sdwa v31, v30, v103 dst_sel:DWORD dst_unused:UNUSED_PAD src0_sel:WORD_1 src1_sel:DWORD
	v_mov_b32_e32 v29, 0
	v_mov_b32_e32 v49, 0
	s_mov_b32 s13, exec_lo
	v_cmpx_ne_u16_e32 0, v31
	s_cbranch_execz .LBB249_611
; %bb.604:                              ;   in Loop: Header=BB249_11 Depth=1
	v_bfrev_b32_e32 v48, 1
	v_mov_b32_e32 v49, 0
	s_mov_b32 s17, exec_lo
	v_cmpx_ne_u16_e32 0x80, v31
	s_cbranch_execz .LBB249_610
; %bb.605:                              ;   in Loop: Header=BB249_11 Depth=1
	v_mov_b32_e32 v48, 0x7f800001
	v_bfe_u32 v36, v30, 16, 7
	v_mov_b32_e32 v49, 0
	s_mov_b32 s21, exec_lo
	v_cmpx_ne_u32_e32 0x7f, v36
	s_cbranch_execz .LBB249_609
; %bb.606:                              ;   in Loop: Header=BB249_11 Depth=1
	v_mov_b32_e32 v31, 7
	s_mov_b32 s22, exec_lo
	v_and_b32_sdwa v110, v30, v31 dst_sel:DWORD dst_unused:UNUSED_PAD src0_sel:WORD_1 src1_sel:DWORD
	v_lshrrev_b32_e32 v31, 3, v36
	v_cmpx_gt_u32_e32 8, v36
; %bb.607:                              ;   in Loop: Header=BB249_11 Depth=1
	v_ffbh_u32_e32 v31, v110
	v_min_u32_e32 v31, 32, v31
	v_subrev_nc_u32_e32 v36, 28, v31
	v_sub_nc_u32_e32 v31, 29, v31
	v_lshlrev_b64 v[36:37], v36, v[110:111]
	v_and_b32_e32 v110, 7, v36
; %bb.608:                              ;   in Loop: Header=BB249_11 Depth=1
	s_or_b32 exec_lo, exec_lo, s22
	v_mov_b32_e32 v36, 24
	v_lshlrev_b32_e32 v37, 20, v110
	v_lshl_add_u32 v31, v31, 23, 0x3c000000
	v_lshlrev_b32_sdwa v36, v36, v30 dst_sel:DWORD dst_unused:UNUSED_PAD src0_sel:DWORD src1_sel:WORD_1
	v_and_b32_e32 v36, 0x80000000, v36
	v_or3_b32 v110, v37, v36, v31
	v_mov_b32_e32 v48, v110
	v_mov_b32_e32 v49, v111
.LBB249_609:                            ;   in Loop: Header=BB249_11 Depth=1
	s_or_b32 exec_lo, exec_lo, s21
.LBB249_610:                            ;   in Loop: Header=BB249_11 Depth=1
	s_or_b32 exec_lo, exec_lo, s17
.LBB249_611:                            ;   in Loop: Header=BB249_11 Depth=1
	s_or_b32 exec_lo, exec_lo, s13
	s_mov_b32 s13, exec_lo
	v_cmpx_lt_u32_e32 0xffffff, v30
	s_cbranch_execz .LBB249_619
; %bb.612:                              ;   in Loop: Header=BB249_11 Depth=1
	v_mov_b32_e32 v112, v111
	v_cmp_ne_u32_sdwa s5, v30, v43 src0_sel:BYTE_3 src1_sel:DWORD
	v_mov_b32_e32 v28, v112
	v_mov_b32_e32 v29, v113
	s_and_saveexec_b32 s17, s5
	s_cbranch_execz .LBB249_618
; %bb.613:                              ;   in Loop: Header=BB249_11 Depth=1
	v_mov_b32_e32 v100, v111
	v_bfe_u32 v31, v30, 24, 7
	s_mov_b32 s21, exec_lo
	v_mov_b32_e32 v28, v100
	v_mov_b32_e32 v29, v101
	v_cmpx_ne_u32_e32 0x7f, v31
	s_cbranch_execz .LBB249_617
; %bb.614:                              ;   in Loop: Header=BB249_11 Depth=1
	v_mov_b32_e32 v28, 7
	s_mov_b32 s22, exec_lo
	v_and_b32_sdwa v110, v30, v28 dst_sel:DWORD dst_unused:UNUSED_PAD src0_sel:BYTE_3 src1_sel:DWORD
	v_lshrrev_b32_e32 v28, 3, v31
	v_cmpx_gt_u32_e32 8, v31
; %bb.615:                              ;   in Loop: Header=BB249_11 Depth=1
	v_ffbh_u32_e32 v28, v110
	v_min_u32_e32 v28, 32, v28
	v_subrev_nc_u32_e32 v29, 28, v28
	v_sub_nc_u32_e32 v28, 29, v28
	v_lshlrev_b64 v[36:37], v29, v[110:111]
	v_and_b32_e32 v110, 7, v36
; %bb.616:                              ;   in Loop: Header=BB249_11 Depth=1
	s_or_b32 exec_lo, exec_lo, s22
	v_mov_b32_e32 v29, 24
	v_lshl_add_u32 v28, v28, 23, 0x3c000000
	v_lshlrev_b32_sdwa v29, v29, v30 dst_sel:DWORD dst_unused:UNUSED_PAD src0_sel:DWORD src1_sel:BYTE_3
	v_lshlrev_b32_e32 v30, 20, v110
	v_and_b32_e32 v29, 0x80000000, v29
	v_or3_b32 v29, v30, v29, v28
	v_mov_b32_e32 v28, v111
.LBB249_617:                            ;   in Loop: Header=BB249_11 Depth=1
	s_or_b32 exec_lo, exec_lo, s21
.LBB249_618:                            ;   in Loop: Header=BB249_11 Depth=1
	s_or_b32 exec_lo, exec_lo, s17
.LBB249_619:                            ;   in Loop: Header=BB249_11 Depth=1
	s_or_b32 exec_lo, exec_lo, s13
	flat_load_dword v38, v[18:19] offset:12
	v_mov_b32_e32 v50, 0
	v_mov_b32_e32 v30, 0
	;; [unrolled: 1-line block ×4, first 2 shown]
	s_waitcnt vmcnt(0) lgkmcnt(0)
	v_cmp_ne_u16_sdwa s5, v38, v111 src0_sel:BYTE_0 src1_sel:DWORD
	s_and_saveexec_b32 s13, s5
	s_cbranch_execz .LBB249_627
; %bb.620:                              ;   in Loop: Header=BB249_11 Depth=1
	v_bfrev_b32_e32 v30, 1
	v_mov_b32_e32 v31, 0
	v_cmp_ne_u16_sdwa s5, v38, v43 src0_sel:BYTE_0 src1_sel:DWORD
	s_and_saveexec_b32 s17, s5
	s_cbranch_execz .LBB249_626
; %bb.621:                              ;   in Loop: Header=BB249_11 Depth=1
	v_mov_b32_e32 v30, 0x7f800001
	v_and_b32_e32 v36, 0x7f, v38
	v_mov_b32_e32 v31, 0
	s_mov_b32 s21, exec_lo
	v_cmpx_ne_u32_e32 0x7f, v36
	s_cbranch_execz .LBB249_625
; %bb.622:                              ;   in Loop: Header=BB249_11 Depth=1
	v_and_b32_e32 v110, 7, v38
	v_lshrrev_b32_e32 v30, 3, v36
	s_mov_b32 s22, exec_lo
	v_cmpx_gt_u32_e32 8, v36
; %bb.623:                              ;   in Loop: Header=BB249_11 Depth=1
	v_ffbh_u32_e32 v30, v110
	v_min_u32_e32 v30, 32, v30
	v_subrev_nc_u32_e32 v31, 28, v30
	v_sub_nc_u32_e32 v30, 29, v30
	v_lshlrev_b64 v[36:37], v31, v[110:111]
	v_and_b32_e32 v110, 7, v36
; %bb.624:                              ;   in Loop: Header=BB249_11 Depth=1
	s_or_b32 exec_lo, exec_lo, s22
	v_lshlrev_b32_e32 v31, 24, v38
	v_lshlrev_b32_e32 v36, 20, v110
	v_lshl_add_u32 v30, v30, 23, 0x3c000000
	v_and_b32_e32 v31, 0x80000000, v31
	v_or3_b32 v110, v36, v31, v30
	v_mov_b32_e32 v30, v110
	v_mov_b32_e32 v31, v111
.LBB249_625:                            ;   in Loop: Header=BB249_11 Depth=1
	s_or_b32 exec_lo, exec_lo, s21
.LBB249_626:                            ;   in Loop: Header=BB249_11 Depth=1
	s_or_b32 exec_lo, exec_lo, s17
.LBB249_627:                            ;   in Loop: Header=BB249_11 Depth=1
	s_or_b32 exec_lo, exec_lo, s13
	v_cmp_ne_u16_sdwa s5, v38, v111 src0_sel:BYTE_1 src1_sel:DWORD
	s_and_saveexec_b32 s13, s5
	s_cbranch_execz .LBB249_635
; %bb.628:                              ;   in Loop: Header=BB249_11 Depth=1
	v_mov_b32_e32 v112, v111
	v_cmp_ne_u16_sdwa s5, v38, v43 src0_sel:BYTE_1 src1_sel:DWORD
	v_mov_b32_e32 v50, v112
	v_mov_b32_e32 v51, v113
	s_and_saveexec_b32 s17, s5
	s_cbranch_execz .LBB249_634
; %bb.629:                              ;   in Loop: Header=BB249_11 Depth=1
	v_mov_b32_e32 v36, 0xffff
	v_mov_b32_e32 v100, v111
	s_mov_b32 s21, exec_lo
	v_and_b32_sdwa v36, v36, v38 dst_sel:DWORD dst_unused:UNUSED_PAD src0_sel:DWORD src1_sel:BYTE_1
	v_mov_b32_e32 v50, v100
	v_mov_b32_e32 v51, v101
	v_and_b32_e32 v37, 0x7f, v36
	v_cmpx_ne_u32_e32 0x7f, v37
	s_cbranch_execz .LBB249_633
; %bb.630:                              ;   in Loop: Header=BB249_11 Depth=1
	v_and_b32_e32 v110, 7, v36
	v_lshrrev_b32_e32 v36, 3, v37
	s_mov_b32 s22, exec_lo
	v_cmpx_gt_u32_e32 8, v37
; %bb.631:                              ;   in Loop: Header=BB249_11 Depth=1
	v_ffbh_u32_e32 v36, v110
	v_min_u32_e32 v36, 32, v36
	v_subrev_nc_u32_e32 v37, 28, v36
	v_sub_nc_u32_e32 v36, 29, v36
	v_lshlrev_b64 v[50:51], v37, v[110:111]
	v_and_b32_e32 v110, 7, v50
; %bb.632:                              ;   in Loop: Header=BB249_11 Depth=1
	s_or_b32 exec_lo, exec_lo, s22
	v_lshlrev_b32_e32 v37, 16, v38
	v_lshlrev_b32_e32 v39, 20, v110
	v_lshl_add_u32 v36, v36, 23, 0x3c000000
	v_mov_b32_e32 v50, v111
	v_and_b32_e32 v37, 0x80000000, v37
	v_or3_b32 v51, v39, v37, v36
.LBB249_633:                            ;   in Loop: Header=BB249_11 Depth=1
	s_or_b32 exec_lo, exec_lo, s21
.LBB249_634:                            ;   in Loop: Header=BB249_11 Depth=1
	s_or_b32 exec_lo, exec_lo, s17
.LBB249_635:                            ;   in Loop: Header=BB249_11 Depth=1
	s_or_b32 exec_lo, exec_lo, s13
	v_mov_b32_e32 v36, 0
	v_mov_b32_e32 v64, 0
	v_and_b32_sdwa v39, v38, v103 dst_sel:DWORD dst_unused:UNUSED_PAD src0_sel:WORD_1 src1_sel:DWORD
	v_mov_b32_e32 v37, 0
	v_mov_b32_e32 v65, 0
	s_mov_b32 s13, exec_lo
	v_cmpx_ne_u16_e32 0, v39
	s_cbranch_execz .LBB249_643
; %bb.636:                              ;   in Loop: Header=BB249_11 Depth=1
	v_bfrev_b32_e32 v64, 1
	v_mov_b32_e32 v65, 0
	s_mov_b32 s17, exec_lo
	v_cmpx_ne_u16_e32 0x80, v39
	s_cbranch_execz .LBB249_642
; %bb.637:                              ;   in Loop: Header=BB249_11 Depth=1
	v_mov_b32_e32 v64, 0x7f800001
	v_bfe_u32 v52, v38, 16, 7
	v_mov_b32_e32 v65, 0
	s_mov_b32 s21, exec_lo
	v_cmpx_ne_u32_e32 0x7f, v52
	s_cbranch_execz .LBB249_641
; %bb.638:                              ;   in Loop: Header=BB249_11 Depth=1
	v_mov_b32_e32 v39, 7
	s_mov_b32 s22, exec_lo
	v_and_b32_sdwa v110, v38, v39 dst_sel:DWORD dst_unused:UNUSED_PAD src0_sel:WORD_1 src1_sel:DWORD
	v_lshrrev_b32_e32 v39, 3, v52
	v_cmpx_gt_u32_e32 8, v52
; %bb.639:                              ;   in Loop: Header=BB249_11 Depth=1
	v_ffbh_u32_e32 v39, v110
	v_min_u32_e32 v39, 32, v39
	v_subrev_nc_u32_e32 v52, 28, v39
	v_sub_nc_u32_e32 v39, 29, v39
	v_lshlrev_b64 v[52:53], v52, v[110:111]
	v_and_b32_e32 v110, 7, v52
; %bb.640:                              ;   in Loop: Header=BB249_11 Depth=1
	s_or_b32 exec_lo, exec_lo, s22
	v_mov_b32_e32 v52, 24
	v_lshlrev_b32_e32 v53, 20, v110
	v_lshl_add_u32 v39, v39, 23, 0x3c000000
	v_lshlrev_b32_sdwa v52, v52, v38 dst_sel:DWORD dst_unused:UNUSED_PAD src0_sel:DWORD src1_sel:WORD_1
	v_and_b32_e32 v52, 0x80000000, v52
	v_or3_b32 v110, v53, v52, v39
	v_mov_b32_e32 v64, v110
	v_mov_b32_e32 v65, v111
.LBB249_641:                            ;   in Loop: Header=BB249_11 Depth=1
	s_or_b32 exec_lo, exec_lo, s21
.LBB249_642:                            ;   in Loop: Header=BB249_11 Depth=1
	s_or_b32 exec_lo, exec_lo, s17
.LBB249_643:                            ;   in Loop: Header=BB249_11 Depth=1
	s_or_b32 exec_lo, exec_lo, s13
	s_mov_b32 s13, exec_lo
	v_cmpx_lt_u32_e32 0xffffff, v38
	s_cbranch_execz .LBB249_651
; %bb.644:                              ;   in Loop: Header=BB249_11 Depth=1
	v_mov_b32_e32 v112, v111
	v_cmp_ne_u32_sdwa s5, v38, v43 src0_sel:BYTE_3 src1_sel:DWORD
	v_mov_b32_e32 v36, v112
	v_mov_b32_e32 v37, v113
	s_and_saveexec_b32 s17, s5
	s_cbranch_execz .LBB249_650
; %bb.645:                              ;   in Loop: Header=BB249_11 Depth=1
	v_mov_b32_e32 v100, v111
	v_bfe_u32 v39, v38, 24, 7
	s_mov_b32 s21, exec_lo
	v_mov_b32_e32 v36, v100
	v_mov_b32_e32 v37, v101
	v_cmpx_ne_u32_e32 0x7f, v39
	s_cbranch_execz .LBB249_649
; %bb.646:                              ;   in Loop: Header=BB249_11 Depth=1
	v_mov_b32_e32 v36, 7
	s_mov_b32 s22, exec_lo
	v_and_b32_sdwa v110, v38, v36 dst_sel:DWORD dst_unused:UNUSED_PAD src0_sel:BYTE_3 src1_sel:DWORD
	v_lshrrev_b32_e32 v36, 3, v39
	v_cmpx_gt_u32_e32 8, v39
; %bb.647:                              ;   in Loop: Header=BB249_11 Depth=1
	v_ffbh_u32_e32 v36, v110
	v_min_u32_e32 v36, 32, v36
	v_subrev_nc_u32_e32 v37, 28, v36
	v_sub_nc_u32_e32 v36, 29, v36
	v_lshlrev_b64 v[52:53], v37, v[110:111]
	v_and_b32_e32 v110, 7, v52
; %bb.648:                              ;   in Loop: Header=BB249_11 Depth=1
	s_or_b32 exec_lo, exec_lo, s22
	v_mov_b32_e32 v37, 24
	v_lshl_add_u32 v36, v36, 23, 0x3c000000
	v_lshlrev_b32_sdwa v37, v37, v38 dst_sel:DWORD dst_unused:UNUSED_PAD src0_sel:DWORD src1_sel:BYTE_3
	v_lshlrev_b32_e32 v38, 20, v110
	v_and_b32_e32 v37, 0x80000000, v37
	v_or3_b32 v37, v38, v37, v36
	v_mov_b32_e32 v36, v111
.LBB249_649:                            ;   in Loop: Header=BB249_11 Depth=1
	s_or_b32 exec_lo, exec_lo, s21
.LBB249_650:                            ;   in Loop: Header=BB249_11 Depth=1
	s_or_b32 exec_lo, exec_lo, s17
.LBB249_651:                            ;   in Loop: Header=BB249_11 Depth=1
	s_or_b32 exec_lo, exec_lo, s13
	flat_load_dword v54, v[18:19] offset:512
	v_mov_b32_e32 v66, 0
	v_mov_b32_e32 v38, 0
	;; [unrolled: 1-line block ×4, first 2 shown]
	s_waitcnt vmcnt(0) lgkmcnt(0)
	v_cmp_ne_u16_sdwa s5, v54, v111 src0_sel:BYTE_0 src1_sel:DWORD
	s_and_saveexec_b32 s13, s5
	s_cbranch_execz .LBB249_659
; %bb.652:                              ;   in Loop: Header=BB249_11 Depth=1
	v_bfrev_b32_e32 v38, 1
	v_mov_b32_e32 v39, 0
	v_cmp_ne_u16_sdwa s5, v54, v43 src0_sel:BYTE_0 src1_sel:DWORD
	s_and_saveexec_b32 s17, s5
	s_cbranch_execz .LBB249_658
; %bb.653:                              ;   in Loop: Header=BB249_11 Depth=1
	v_mov_b32_e32 v38, 0x7f800001
	v_and_b32_e32 v52, 0x7f, v54
	v_mov_b32_e32 v39, 0
	s_mov_b32 s21, exec_lo
	v_cmpx_ne_u32_e32 0x7f, v52
	s_cbranch_execz .LBB249_657
; %bb.654:                              ;   in Loop: Header=BB249_11 Depth=1
	v_and_b32_e32 v110, 7, v54
	v_lshrrev_b32_e32 v38, 3, v52
	s_mov_b32 s22, exec_lo
	v_cmpx_gt_u32_e32 8, v52
; %bb.655:                              ;   in Loop: Header=BB249_11 Depth=1
	v_ffbh_u32_e32 v38, v110
	v_min_u32_e32 v38, 32, v38
	v_subrev_nc_u32_e32 v39, 28, v38
	v_sub_nc_u32_e32 v38, 29, v38
	v_lshlrev_b64 v[52:53], v39, v[110:111]
	v_and_b32_e32 v110, 7, v52
; %bb.656:                              ;   in Loop: Header=BB249_11 Depth=1
	s_or_b32 exec_lo, exec_lo, s22
	v_lshlrev_b32_e32 v39, 24, v54
	v_lshlrev_b32_e32 v52, 20, v110
	v_lshl_add_u32 v38, v38, 23, 0x3c000000
	v_and_b32_e32 v39, 0x80000000, v39
	v_or3_b32 v110, v52, v39, v38
	v_mov_b32_e32 v38, v110
	v_mov_b32_e32 v39, v111
.LBB249_657:                            ;   in Loop: Header=BB249_11 Depth=1
	s_or_b32 exec_lo, exec_lo, s21
.LBB249_658:                            ;   in Loop: Header=BB249_11 Depth=1
	s_or_b32 exec_lo, exec_lo, s17
.LBB249_659:                            ;   in Loop: Header=BB249_11 Depth=1
	s_or_b32 exec_lo, exec_lo, s13
	v_cmp_ne_u16_sdwa s5, v54, v111 src0_sel:BYTE_1 src1_sel:DWORD
	s_and_saveexec_b32 s13, s5
	s_cbranch_execz .LBB249_667
; %bb.660:                              ;   in Loop: Header=BB249_11 Depth=1
	v_mov_b32_e32 v112, v111
	v_cmp_ne_u16_sdwa s5, v54, v43 src0_sel:BYTE_1 src1_sel:DWORD
	v_mov_b32_e32 v66, v112
	v_mov_b32_e32 v67, v113
	s_and_saveexec_b32 s17, s5
	s_cbranch_execz .LBB249_666
; %bb.661:                              ;   in Loop: Header=BB249_11 Depth=1
	v_mov_b32_e32 v52, 0xffff
	v_mov_b32_e32 v100, v111
	s_mov_b32 s21, exec_lo
	v_and_b32_sdwa v52, v52, v54 dst_sel:DWORD dst_unused:UNUSED_PAD src0_sel:DWORD src1_sel:BYTE_1
	v_mov_b32_e32 v66, v100
	v_mov_b32_e32 v67, v101
	v_and_b32_e32 v53, 0x7f, v52
	v_cmpx_ne_u32_e32 0x7f, v53
	s_cbranch_execz .LBB249_665
; %bb.662:                              ;   in Loop: Header=BB249_11 Depth=1
	v_and_b32_e32 v110, 7, v52
	v_lshrrev_b32_e32 v52, 3, v53
	s_mov_b32 s22, exec_lo
	v_cmpx_gt_u32_e32 8, v53
; %bb.663:                              ;   in Loop: Header=BB249_11 Depth=1
	v_ffbh_u32_e32 v52, v110
	v_min_u32_e32 v52, 32, v52
	v_subrev_nc_u32_e32 v53, 28, v52
	v_sub_nc_u32_e32 v52, 29, v52
	v_lshlrev_b64 v[66:67], v53, v[110:111]
	v_and_b32_e32 v110, 7, v66
; %bb.664:                              ;   in Loop: Header=BB249_11 Depth=1
	s_or_b32 exec_lo, exec_lo, s22
	v_lshlrev_b32_e32 v53, 16, v54
	v_lshlrev_b32_e32 v55, 20, v110
	v_lshl_add_u32 v52, v52, 23, 0x3c000000
	v_mov_b32_e32 v66, v111
	v_and_b32_e32 v53, 0x80000000, v53
	v_or3_b32 v67, v55, v53, v52
.LBB249_665:                            ;   in Loop: Header=BB249_11 Depth=1
	s_or_b32 exec_lo, exec_lo, s21
.LBB249_666:                            ;   in Loop: Header=BB249_11 Depth=1
	s_or_b32 exec_lo, exec_lo, s17
.LBB249_667:                            ;   in Loop: Header=BB249_11 Depth=1
	s_or_b32 exec_lo, exec_lo, s13
	v_mov_b32_e32 v52, 0
	v_mov_b32_e32 v80, 0
	v_and_b32_sdwa v55, v54, v103 dst_sel:DWORD dst_unused:UNUSED_PAD src0_sel:WORD_1 src1_sel:DWORD
	v_mov_b32_e32 v53, 0
	v_mov_b32_e32 v81, 0
	s_mov_b32 s13, exec_lo
	v_cmpx_ne_u16_e32 0, v55
	s_cbranch_execz .LBB249_675
; %bb.668:                              ;   in Loop: Header=BB249_11 Depth=1
	v_bfrev_b32_e32 v80, 1
	v_mov_b32_e32 v81, 0
	s_mov_b32 s17, exec_lo
	v_cmpx_ne_u16_e32 0x80, v55
	s_cbranch_execz .LBB249_674
; %bb.669:                              ;   in Loop: Header=BB249_11 Depth=1
	v_mov_b32_e32 v80, 0x7f800001
	v_bfe_u32 v68, v54, 16, 7
	v_mov_b32_e32 v81, 0
	s_mov_b32 s21, exec_lo
	v_cmpx_ne_u32_e32 0x7f, v68
	s_cbranch_execz .LBB249_673
; %bb.670:                              ;   in Loop: Header=BB249_11 Depth=1
	v_mov_b32_e32 v55, 7
	s_mov_b32 s22, exec_lo
	v_and_b32_sdwa v110, v54, v55 dst_sel:DWORD dst_unused:UNUSED_PAD src0_sel:WORD_1 src1_sel:DWORD
	v_lshrrev_b32_e32 v55, 3, v68
	v_cmpx_gt_u32_e32 8, v68
; %bb.671:                              ;   in Loop: Header=BB249_11 Depth=1
	v_ffbh_u32_e32 v55, v110
	v_min_u32_e32 v55, 32, v55
	v_subrev_nc_u32_e32 v68, 28, v55
	v_sub_nc_u32_e32 v55, 29, v55
	v_lshlrev_b64 v[68:69], v68, v[110:111]
	v_and_b32_e32 v110, 7, v68
; %bb.672:                              ;   in Loop: Header=BB249_11 Depth=1
	s_or_b32 exec_lo, exec_lo, s22
	v_mov_b32_e32 v68, 24
	v_lshlrev_b32_e32 v69, 20, v110
	v_lshl_add_u32 v55, v55, 23, 0x3c000000
	v_lshlrev_b32_sdwa v68, v68, v54 dst_sel:DWORD dst_unused:UNUSED_PAD src0_sel:DWORD src1_sel:WORD_1
	v_and_b32_e32 v68, 0x80000000, v68
	v_or3_b32 v110, v69, v68, v55
	v_mov_b32_e32 v80, v110
	v_mov_b32_e32 v81, v111
.LBB249_673:                            ;   in Loop: Header=BB249_11 Depth=1
	s_or_b32 exec_lo, exec_lo, s21
.LBB249_674:                            ;   in Loop: Header=BB249_11 Depth=1
	s_or_b32 exec_lo, exec_lo, s17
.LBB249_675:                            ;   in Loop: Header=BB249_11 Depth=1
	s_or_b32 exec_lo, exec_lo, s13
	s_mov_b32 s13, exec_lo
	v_cmpx_lt_u32_e32 0xffffff, v54
	s_cbranch_execz .LBB249_683
; %bb.676:                              ;   in Loop: Header=BB249_11 Depth=1
	v_mov_b32_e32 v112, v111
	v_cmp_ne_u32_sdwa s5, v54, v43 src0_sel:BYTE_3 src1_sel:DWORD
	v_mov_b32_e32 v52, v112
	v_mov_b32_e32 v53, v113
	s_and_saveexec_b32 s17, s5
	s_cbranch_execz .LBB249_682
; %bb.677:                              ;   in Loop: Header=BB249_11 Depth=1
	v_mov_b32_e32 v100, v111
	v_bfe_u32 v55, v54, 24, 7
	s_mov_b32 s21, exec_lo
	v_mov_b32_e32 v52, v100
	v_mov_b32_e32 v53, v101
	v_cmpx_ne_u32_e32 0x7f, v55
	s_cbranch_execz .LBB249_681
; %bb.678:                              ;   in Loop: Header=BB249_11 Depth=1
	v_mov_b32_e32 v52, 7
	s_mov_b32 s22, exec_lo
	v_and_b32_sdwa v110, v54, v52 dst_sel:DWORD dst_unused:UNUSED_PAD src0_sel:BYTE_3 src1_sel:DWORD
	v_lshrrev_b32_e32 v52, 3, v55
	v_cmpx_gt_u32_e32 8, v55
; %bb.679:                              ;   in Loop: Header=BB249_11 Depth=1
	v_ffbh_u32_e32 v52, v110
	v_min_u32_e32 v52, 32, v52
	v_subrev_nc_u32_e32 v53, 28, v52
	v_sub_nc_u32_e32 v52, 29, v52
	v_lshlrev_b64 v[68:69], v53, v[110:111]
	v_and_b32_e32 v110, 7, v68
; %bb.680:                              ;   in Loop: Header=BB249_11 Depth=1
	s_or_b32 exec_lo, exec_lo, s22
	v_mov_b32_e32 v53, 24
	v_lshl_add_u32 v52, v52, 23, 0x3c000000
	v_lshlrev_b32_sdwa v53, v53, v54 dst_sel:DWORD dst_unused:UNUSED_PAD src0_sel:DWORD src1_sel:BYTE_3
	v_lshlrev_b32_e32 v54, 20, v110
	v_and_b32_e32 v53, 0x80000000, v53
	v_or3_b32 v53, v54, v53, v52
	v_mov_b32_e32 v52, v111
.LBB249_681:                            ;   in Loop: Header=BB249_11 Depth=1
	s_or_b32 exec_lo, exec_lo, s21
.LBB249_682:                            ;   in Loop: Header=BB249_11 Depth=1
	s_or_b32 exec_lo, exec_lo, s17
.LBB249_683:                            ;   in Loop: Header=BB249_11 Depth=1
	s_or_b32 exec_lo, exec_lo, s13
	flat_load_dword v68, v[18:19] offset:516
	v_mov_b32_e32 v126, 0
	v_mov_b32_e32 v54, 0
	;; [unrolled: 1-line block ×4, first 2 shown]
	s_waitcnt vmcnt(0) lgkmcnt(0)
	v_cmp_ne_u16_sdwa s5, v68, v111 src0_sel:BYTE_0 src1_sel:DWORD
	s_and_saveexec_b32 s13, s5
	s_cbranch_execz .LBB249_691
; %bb.684:                              ;   in Loop: Header=BB249_11 Depth=1
	v_bfrev_b32_e32 v54, 1
	v_mov_b32_e32 v55, 0
	v_cmp_ne_u16_sdwa s5, v68, v43 src0_sel:BYTE_0 src1_sel:DWORD
	s_and_saveexec_b32 s17, s5
	s_cbranch_execz .LBB249_690
; %bb.685:                              ;   in Loop: Header=BB249_11 Depth=1
	v_mov_b32_e32 v54, 0x7f800001
	v_and_b32_e32 v69, 0x7f, v68
	v_mov_b32_e32 v55, 0
	s_mov_b32 s21, exec_lo
	v_cmpx_ne_u32_e32 0x7f, v69
	s_cbranch_execz .LBB249_689
; %bb.686:                              ;   in Loop: Header=BB249_11 Depth=1
	v_and_b32_e32 v110, 7, v68
	v_lshrrev_b32_e32 v54, 3, v69
	s_mov_b32 s22, exec_lo
	v_cmpx_gt_u32_e32 8, v69
; %bb.687:                              ;   in Loop: Header=BB249_11 Depth=1
	v_ffbh_u32_e32 v54, v110
	v_min_u32_e32 v54, 32, v54
	v_subrev_nc_u32_e32 v55, 28, v54
	v_sub_nc_u32_e32 v54, 29, v54
	v_lshlrev_b64 v[69:70], v55, v[110:111]
	v_and_b32_e32 v110, 7, v69
; %bb.688:                              ;   in Loop: Header=BB249_11 Depth=1
	s_or_b32 exec_lo, exec_lo, s22
	v_lshlrev_b32_e32 v55, 24, v68
	v_lshlrev_b32_e32 v69, 20, v110
	v_lshl_add_u32 v54, v54, 23, 0x3c000000
	v_and_b32_e32 v55, 0x80000000, v55
	v_or3_b32 v110, v69, v55, v54
	v_mov_b32_e32 v54, v110
	v_mov_b32_e32 v55, v111
.LBB249_689:                            ;   in Loop: Header=BB249_11 Depth=1
	s_or_b32 exec_lo, exec_lo, s21
.LBB249_690:                            ;   in Loop: Header=BB249_11 Depth=1
	s_or_b32 exec_lo, exec_lo, s17
.LBB249_691:                            ;   in Loop: Header=BB249_11 Depth=1
	s_or_b32 exec_lo, exec_lo, s13
	v_cmp_ne_u16_sdwa s5, v68, v111 src0_sel:BYTE_1 src1_sel:DWORD
	s_and_saveexec_b32 s13, s5
	s_cbranch_execz .LBB249_699
; %bb.692:                              ;   in Loop: Header=BB249_11 Depth=1
	v_mov_b32_e32 v112, v111
	v_mov_b32_e32 v127, v113
	v_cmp_ne_u16_sdwa s5, v68, v43 src0_sel:BYTE_1 src1_sel:DWORD
	v_mov_b32_e32 v126, v112
	s_and_saveexec_b32 s17, s5
	s_cbranch_execz .LBB249_698
; %bb.693:                              ;   in Loop: Header=BB249_11 Depth=1
	v_mov_b32_e32 v69, 0xffff
	v_mov_b32_e32 v100, v111
	;; [unrolled: 1-line block ×3, first 2 shown]
	s_mov_b32 s21, exec_lo
	v_and_b32_sdwa v69, v69, v68 dst_sel:DWORD dst_unused:UNUSED_PAD src0_sel:DWORD src1_sel:BYTE_1
	v_mov_b32_e32 v126, v100
	v_and_b32_e32 v70, 0x7f, v69
	v_cmpx_ne_u32_e32 0x7f, v70
	s_cbranch_execz .LBB249_697
; %bb.694:                              ;   in Loop: Header=BB249_11 Depth=1
	v_and_b32_e32 v110, 7, v69
	v_lshrrev_b32_e32 v69, 3, v70
	s_mov_b32 s22, exec_lo
	v_cmpx_gt_u32_e32 8, v70
; %bb.695:                              ;   in Loop: Header=BB249_11 Depth=1
	v_ffbh_u32_e32 v69, v110
	v_min_u32_e32 v69, 32, v69
	v_subrev_nc_u32_e32 v70, 28, v69
	v_sub_nc_u32_e32 v69, 29, v69
	v_lshlrev_b64 v[70:71], v70, v[110:111]
	v_and_b32_e32 v110, 7, v70
; %bb.696:                              ;   in Loop: Header=BB249_11 Depth=1
	s_or_b32 exec_lo, exec_lo, s22
	v_lshlrev_b32_e32 v70, 16, v68
	v_lshlrev_b32_e32 v71, 20, v110
	v_lshl_add_u32 v69, v69, 23, 0x3c000000
	v_mov_b32_e32 v126, v111
	v_and_b32_e32 v70, 0x80000000, v70
	v_or3_b32 v127, v71, v70, v69
.LBB249_697:                            ;   in Loop: Header=BB249_11 Depth=1
	s_or_b32 exec_lo, exec_lo, s21
.LBB249_698:                            ;   in Loop: Header=BB249_11 Depth=1
	s_or_b32 exec_lo, exec_lo, s17
.LBB249_699:                            ;   in Loop: Header=BB249_11 Depth=1
	s_or_b32 exec_lo, exec_lo, s13
	v_mov_b32_e32 v82, 0
	v_mov_b32_e32 v96, 0
	v_and_b32_sdwa v69, v68, v103 dst_sel:DWORD dst_unused:UNUSED_PAD src0_sel:WORD_1 src1_sel:DWORD
	v_mov_b32_e32 v83, 0
	v_mov_b32_e32 v97, 0
	s_mov_b32 s13, exec_lo
	v_cmpx_ne_u16_e32 0, v69
	s_cbranch_execz .LBB249_707
; %bb.700:                              ;   in Loop: Header=BB249_11 Depth=1
	v_bfrev_b32_e32 v96, 1
	v_mov_b32_e32 v97, 0
	s_mov_b32 s17, exec_lo
	v_cmpx_ne_u16_e32 0x80, v69
	s_cbranch_execz .LBB249_706
; %bb.701:                              ;   in Loop: Header=BB249_11 Depth=1
	v_mov_b32_e32 v96, 0x7f800001
	v_bfe_u32 v70, v68, 16, 7
	v_mov_b32_e32 v97, 0
	s_mov_b32 s21, exec_lo
	v_cmpx_ne_u32_e32 0x7f, v70
	s_cbranch_execz .LBB249_705
; %bb.702:                              ;   in Loop: Header=BB249_11 Depth=1
	v_mov_b32_e32 v69, 7
	s_mov_b32 s22, exec_lo
	v_and_b32_sdwa v110, v68, v69 dst_sel:DWORD dst_unused:UNUSED_PAD src0_sel:WORD_1 src1_sel:DWORD
	v_lshrrev_b32_e32 v69, 3, v70
	v_cmpx_gt_u32_e32 8, v70
; %bb.703:                              ;   in Loop: Header=BB249_11 Depth=1
	v_ffbh_u32_e32 v69, v110
	v_min_u32_e32 v69, 32, v69
	v_subrev_nc_u32_e32 v70, 28, v69
	v_sub_nc_u32_e32 v69, 29, v69
	v_lshlrev_b64 v[70:71], v70, v[110:111]
	v_and_b32_e32 v110, 7, v70
; %bb.704:                              ;   in Loop: Header=BB249_11 Depth=1
	s_or_b32 exec_lo, exec_lo, s22
	v_mov_b32_e32 v70, 24
	v_lshlrev_b32_e32 v71, 20, v110
	v_lshl_add_u32 v69, v69, 23, 0x3c000000
	v_lshlrev_b32_sdwa v70, v70, v68 dst_sel:DWORD dst_unused:UNUSED_PAD src0_sel:DWORD src1_sel:WORD_1
	v_and_b32_e32 v70, 0x80000000, v70
	v_or3_b32 v110, v71, v70, v69
	v_mov_b32_e32 v96, v110
	v_mov_b32_e32 v97, v111
.LBB249_705:                            ;   in Loop: Header=BB249_11 Depth=1
	s_or_b32 exec_lo, exec_lo, s21
.LBB249_706:                            ;   in Loop: Header=BB249_11 Depth=1
	s_or_b32 exec_lo, exec_lo, s17
.LBB249_707:                            ;   in Loop: Header=BB249_11 Depth=1
	s_or_b32 exec_lo, exec_lo, s13
	s_mov_b32 s13, exec_lo
	v_cmpx_lt_u32_e32 0xffffff, v68
	s_cbranch_execz .LBB249_715
; %bb.708:                              ;   in Loop: Header=BB249_11 Depth=1
	v_mov_b32_e32 v112, v111
	v_cmp_ne_u32_sdwa s5, v68, v43 src0_sel:BYTE_3 src1_sel:DWORD
	v_mov_b32_e32 v82, v112
	v_mov_b32_e32 v83, v113
	s_and_saveexec_b32 s17, s5
	s_cbranch_execz .LBB249_714
; %bb.709:                              ;   in Loop: Header=BB249_11 Depth=1
	v_mov_b32_e32 v100, v111
	v_bfe_u32 v70, v68, 24, 7
	s_mov_b32 s21, exec_lo
	v_mov_b32_e32 v82, v100
	v_mov_b32_e32 v83, v101
	v_cmpx_ne_u32_e32 0x7f, v70
	s_cbranch_execz .LBB249_713
; %bb.710:                              ;   in Loop: Header=BB249_11 Depth=1
	v_mov_b32_e32 v69, 7
	s_mov_b32 s22, exec_lo
	v_and_b32_sdwa v110, v68, v69 dst_sel:DWORD dst_unused:UNUSED_PAD src0_sel:BYTE_3 src1_sel:DWORD
	v_lshrrev_b32_e32 v69, 3, v70
	v_cmpx_gt_u32_e32 8, v70
; %bb.711:                              ;   in Loop: Header=BB249_11 Depth=1
	v_ffbh_u32_e32 v69, v110
	v_min_u32_e32 v69, 32, v69
	v_subrev_nc_u32_e32 v70, 28, v69
	v_sub_nc_u32_e32 v69, 29, v69
	v_lshlrev_b64 v[70:71], v70, v[110:111]
	v_and_b32_e32 v110, 7, v70
; %bb.712:                              ;   in Loop: Header=BB249_11 Depth=1
	s_or_b32 exec_lo, exec_lo, s22
	v_mov_b32_e32 v70, 24
	v_lshl_add_u32 v69, v69, 23, 0x3c000000
	v_mov_b32_e32 v82, v111
	v_lshlrev_b32_sdwa v68, v70, v68 dst_sel:DWORD dst_unused:UNUSED_PAD src0_sel:DWORD src1_sel:BYTE_3
	v_lshlrev_b32_e32 v70, 20, v110
	v_and_b32_e32 v68, 0x80000000, v68
	v_or3_b32 v83, v70, v68, v69
.LBB249_713:                            ;   in Loop: Header=BB249_11 Depth=1
	s_or_b32 exec_lo, exec_lo, s21
.LBB249_714:                            ;   in Loop: Header=BB249_11 Depth=1
	s_or_b32 exec_lo, exec_lo, s17
.LBB249_715:                            ;   in Loop: Header=BB249_11 Depth=1
	s_or_b32 exec_lo, exec_lo, s13
	flat_load_dword v68, v[18:19] offset:520
	v_mov_b32_e32 v84, 0
	v_mov_b32_e32 v86, 0
	;; [unrolled: 1-line block ×4, first 2 shown]
	s_waitcnt vmcnt(0) lgkmcnt(0)
	v_cmp_ne_u16_sdwa s5, v68, v111 src0_sel:BYTE_0 src1_sel:DWORD
	s_and_saveexec_b32 s13, s5
	s_cbranch_execz .LBB249_723
; %bb.716:                              ;   in Loop: Header=BB249_11 Depth=1
	v_bfrev_b32_e32 v86, 1
	v_mov_b32_e32 v87, 0
	v_cmp_ne_u16_sdwa s5, v68, v43 src0_sel:BYTE_0 src1_sel:DWORD
	s_and_saveexec_b32 s17, s5
	s_cbranch_execz .LBB249_722
; %bb.717:                              ;   in Loop: Header=BB249_11 Depth=1
	v_mov_b32_e32 v86, 0x7f800001
	v_and_b32_e32 v70, 0x7f, v68
	v_mov_b32_e32 v87, 0
	s_mov_b32 s21, exec_lo
	v_cmpx_ne_u32_e32 0x7f, v70
	s_cbranch_execz .LBB249_721
; %bb.718:                              ;   in Loop: Header=BB249_11 Depth=1
	v_and_b32_e32 v110, 7, v68
	v_lshrrev_b32_e32 v69, 3, v70
	s_mov_b32 s22, exec_lo
	v_cmpx_gt_u32_e32 8, v70
; %bb.719:                              ;   in Loop: Header=BB249_11 Depth=1
	v_ffbh_u32_e32 v69, v110
	v_min_u32_e32 v69, 32, v69
	v_subrev_nc_u32_e32 v70, 28, v69
	v_sub_nc_u32_e32 v69, 29, v69
	v_lshlrev_b64 v[70:71], v70, v[110:111]
	v_and_b32_e32 v110, 7, v70
; %bb.720:                              ;   in Loop: Header=BB249_11 Depth=1
	s_or_b32 exec_lo, exec_lo, s22
	v_lshlrev_b32_e32 v70, 24, v68
	v_lshlrev_b32_e32 v71, 20, v110
	v_lshl_add_u32 v69, v69, 23, 0x3c000000
	v_and_b32_e32 v70, 0x80000000, v70
	v_or3_b32 v110, v71, v70, v69
	v_mov_b32_e32 v86, v110
	v_mov_b32_e32 v87, v111
.LBB249_721:                            ;   in Loop: Header=BB249_11 Depth=1
	s_or_b32 exec_lo, exec_lo, s21
.LBB249_722:                            ;   in Loop: Header=BB249_11 Depth=1
	s_or_b32 exec_lo, exec_lo, s17
.LBB249_723:                            ;   in Loop: Header=BB249_11 Depth=1
	s_or_b32 exec_lo, exec_lo, s13
	v_cmp_ne_u16_sdwa s5, v68, v111 src0_sel:BYTE_1 src1_sel:DWORD
	s_and_saveexec_b32 s13, s5
	s_cbranch_execz .LBB249_731
; %bb.724:                              ;   in Loop: Header=BB249_11 Depth=1
	v_mov_b32_e32 v112, v111
	v_cmp_ne_u16_sdwa s5, v68, v43 src0_sel:BYTE_1 src1_sel:DWORD
	v_mov_b32_e32 v84, v112
	v_mov_b32_e32 v85, v113
	s_and_saveexec_b32 s17, s5
	s_cbranch_execz .LBB249_730
; %bb.725:                              ;   in Loop: Header=BB249_11 Depth=1
	v_mov_b32_e32 v69, 0xffff
	v_mov_b32_e32 v100, v111
	s_mov_b32 s21, exec_lo
	v_and_b32_sdwa v69, v69, v68 dst_sel:DWORD dst_unused:UNUSED_PAD src0_sel:DWORD src1_sel:BYTE_1
	v_mov_b32_e32 v84, v100
	v_mov_b32_e32 v85, v101
	v_and_b32_e32 v70, 0x7f, v69
	v_cmpx_ne_u32_e32 0x7f, v70
	s_cbranch_execz .LBB249_729
; %bb.726:                              ;   in Loop: Header=BB249_11 Depth=1
	v_and_b32_e32 v110, 7, v69
	v_lshrrev_b32_e32 v69, 3, v70
	s_mov_b32 s22, exec_lo
	v_cmpx_gt_u32_e32 8, v70
; %bb.727:                              ;   in Loop: Header=BB249_11 Depth=1
	v_ffbh_u32_e32 v69, v110
	v_min_u32_e32 v69, 32, v69
	v_subrev_nc_u32_e32 v70, 28, v69
	v_sub_nc_u32_e32 v69, 29, v69
	v_lshlrev_b64 v[70:71], v70, v[110:111]
	v_and_b32_e32 v110, 7, v70
; %bb.728:                              ;   in Loop: Header=BB249_11 Depth=1
	s_or_b32 exec_lo, exec_lo, s22
	v_lshlrev_b32_e32 v70, 16, v68
	v_lshlrev_b32_e32 v71, 20, v110
	v_lshl_add_u32 v69, v69, 23, 0x3c000000
	v_mov_b32_e32 v84, v111
	v_and_b32_e32 v70, 0x80000000, v70
	v_or3_b32 v85, v71, v70, v69
.LBB249_729:                            ;   in Loop: Header=BB249_11 Depth=1
	s_or_b32 exec_lo, exec_lo, s21
.LBB249_730:                            ;   in Loop: Header=BB249_11 Depth=1
	s_or_b32 exec_lo, exec_lo, s17
.LBB249_731:                            ;   in Loop: Header=BB249_11 Depth=1
	s_or_b32 exec_lo, exec_lo, s13
	v_mov_b32_e32 v124, 0
	v_mov_b32_e32 v116, 0
	v_and_b32_sdwa v69, v68, v103 dst_sel:DWORD dst_unused:UNUSED_PAD src0_sel:WORD_1 src1_sel:DWORD
	v_mov_b32_e32 v125, 0
	v_mov_b32_e32 v117, 0
	s_mov_b32 s13, exec_lo
	v_cmpx_ne_u16_e32 0, v69
	s_cbranch_execz .LBB249_739
; %bb.732:                              ;   in Loop: Header=BB249_11 Depth=1
	v_bfrev_b32_e32 v116, 1
	v_mov_b32_e32 v117, 0
	s_mov_b32 s17, exec_lo
	v_cmpx_ne_u16_e32 0x80, v69
	s_cbranch_execz .LBB249_738
; %bb.733:                              ;   in Loop: Header=BB249_11 Depth=1
	v_mov_b32_e32 v116, 0x7f800001
	v_bfe_u32 v70, v68, 16, 7
	v_mov_b32_e32 v117, 0
	s_mov_b32 s21, exec_lo
	v_cmpx_ne_u32_e32 0x7f, v70
	s_cbranch_execz .LBB249_737
; %bb.734:                              ;   in Loop: Header=BB249_11 Depth=1
	v_mov_b32_e32 v69, 7
	s_mov_b32 s22, exec_lo
	v_and_b32_sdwa v110, v68, v69 dst_sel:DWORD dst_unused:UNUSED_PAD src0_sel:WORD_1 src1_sel:DWORD
	v_lshrrev_b32_e32 v69, 3, v70
	v_cmpx_gt_u32_e32 8, v70
; %bb.735:                              ;   in Loop: Header=BB249_11 Depth=1
	v_ffbh_u32_e32 v69, v110
	v_min_u32_e32 v69, 32, v69
	v_subrev_nc_u32_e32 v70, 28, v69
	v_sub_nc_u32_e32 v69, 29, v69
	v_lshlrev_b64 v[70:71], v70, v[110:111]
	v_and_b32_e32 v110, 7, v70
; %bb.736:                              ;   in Loop: Header=BB249_11 Depth=1
	s_or_b32 exec_lo, exec_lo, s22
	v_mov_b32_e32 v70, 24
	v_lshlrev_b32_e32 v71, 20, v110
	v_lshl_add_u32 v69, v69, 23, 0x3c000000
	v_lshlrev_b32_sdwa v70, v70, v68 dst_sel:DWORD dst_unused:UNUSED_PAD src0_sel:DWORD src1_sel:WORD_1
	v_and_b32_e32 v70, 0x80000000, v70
	v_or3_b32 v110, v71, v70, v69
	v_mov_b32_e32 v117, v111
	v_mov_b32_e32 v116, v110
.LBB249_737:                            ;   in Loop: Header=BB249_11 Depth=1
	s_or_b32 exec_lo, exec_lo, s21
.LBB249_738:                            ;   in Loop: Header=BB249_11 Depth=1
	s_or_b32 exec_lo, exec_lo, s17
.LBB249_739:                            ;   in Loop: Header=BB249_11 Depth=1
	s_or_b32 exec_lo, exec_lo, s13
	s_mov_b32 s13, exec_lo
	v_cmpx_lt_u32_e32 0xffffff, v68
	s_cbranch_execz .LBB249_747
; %bb.740:                              ;   in Loop: Header=BB249_11 Depth=1
	v_mov_b32_e32 v112, v111
	v_mov_b32_e32 v125, v113
	v_cmp_ne_u32_sdwa s5, v68, v43 src0_sel:BYTE_3 src1_sel:DWORD
	v_mov_b32_e32 v124, v112
	s_and_saveexec_b32 s17, s5
	s_cbranch_execz .LBB249_746
; %bb.741:                              ;   in Loop: Header=BB249_11 Depth=1
	v_mov_b32_e32 v100, v111
	v_mov_b32_e32 v125, v101
	v_bfe_u32 v70, v68, 24, 7
	s_mov_b32 s21, exec_lo
	v_mov_b32_e32 v124, v100
	v_cmpx_ne_u32_e32 0x7f, v70
	s_cbranch_execz .LBB249_745
; %bb.742:                              ;   in Loop: Header=BB249_11 Depth=1
	v_mov_b32_e32 v69, 7
	s_mov_b32 s22, exec_lo
	v_and_b32_sdwa v110, v68, v69 dst_sel:DWORD dst_unused:UNUSED_PAD src0_sel:BYTE_3 src1_sel:DWORD
	v_lshrrev_b32_e32 v69, 3, v70
	v_cmpx_gt_u32_e32 8, v70
; %bb.743:                              ;   in Loop: Header=BB249_11 Depth=1
	v_ffbh_u32_e32 v69, v110
	v_min_u32_e32 v69, 32, v69
	v_subrev_nc_u32_e32 v70, 28, v69
	v_sub_nc_u32_e32 v69, 29, v69
	v_lshlrev_b64 v[70:71], v70, v[110:111]
	v_and_b32_e32 v110, 7, v70
; %bb.744:                              ;   in Loop: Header=BB249_11 Depth=1
	s_or_b32 exec_lo, exec_lo, s22
	v_mov_b32_e32 v70, 24
	v_lshl_add_u32 v69, v69, 23, 0x3c000000
	v_mov_b32_e32 v124, v111
	v_lshlrev_b32_sdwa v68, v70, v68 dst_sel:DWORD dst_unused:UNUSED_PAD src0_sel:DWORD src1_sel:BYTE_3
	v_lshlrev_b32_e32 v70, 20, v110
	v_and_b32_e32 v68, 0x80000000, v68
	v_or3_b32 v125, v70, v68, v69
.LBB249_745:                            ;   in Loop: Header=BB249_11 Depth=1
	s_or_b32 exec_lo, exec_lo, s21
.LBB249_746:                            ;   in Loop: Header=BB249_11 Depth=1
	s_or_b32 exec_lo, exec_lo, s17
.LBB249_747:                            ;   in Loop: Header=BB249_11 Depth=1
	s_or_b32 exec_lo, exec_lo, s13
	flat_load_dword v119, v[18:19] offset:524
	v_mov_b32_e32 v68, 0
	v_mov_b32_e32 v18, 0
	;; [unrolled: 1-line block ×4, first 2 shown]
	s_waitcnt vmcnt(0) lgkmcnt(0)
	v_cmp_ne_u16_sdwa s5, v119, v111 src0_sel:BYTE_0 src1_sel:DWORD
	s_and_saveexec_b32 s13, s5
	s_cbranch_execz .LBB249_755
; %bb.748:                              ;   in Loop: Header=BB249_11 Depth=1
	v_bfrev_b32_e32 v18, 1
	v_mov_b32_e32 v19, 0
	v_cmp_ne_u16_sdwa s5, v119, v43 src0_sel:BYTE_0 src1_sel:DWORD
	s_and_saveexec_b32 s17, s5
	s_cbranch_execz .LBB249_754
; %bb.749:                              ;   in Loop: Header=BB249_11 Depth=1
	v_mov_b32_e32 v18, 0x7f800001
	v_and_b32_e32 v70, 0x7f, v119
	v_mov_b32_e32 v19, 0
	s_mov_b32 s21, exec_lo
	v_cmpx_ne_u32_e32 0x7f, v70
	s_cbranch_execz .LBB249_753
; %bb.750:                              ;   in Loop: Header=BB249_11 Depth=1
	v_and_b32_e32 v110, 7, v119
	v_lshrrev_b32_e32 v18, 3, v70
	s_mov_b32 s22, exec_lo
	v_cmpx_gt_u32_e32 8, v70
; %bb.751:                              ;   in Loop: Header=BB249_11 Depth=1
	v_ffbh_u32_e32 v18, v110
	v_min_u32_e32 v18, 32, v18
	v_subrev_nc_u32_e32 v19, 28, v18
	v_sub_nc_u32_e32 v18, 29, v18
	v_lshlrev_b64 v[70:71], v19, v[110:111]
	v_and_b32_e32 v110, 7, v70
; %bb.752:                              ;   in Loop: Header=BB249_11 Depth=1
	s_or_b32 exec_lo, exec_lo, s22
	v_lshlrev_b32_e32 v19, 24, v119
	v_lshlrev_b32_e32 v70, 20, v110
	v_lshl_add_u32 v18, v18, 23, 0x3c000000
	v_and_b32_e32 v19, 0x80000000, v19
	v_or3_b32 v110, v70, v19, v18
	v_mov_b32_e32 v18, v110
	v_mov_b32_e32 v19, v111
.LBB249_753:                            ;   in Loop: Header=BB249_11 Depth=1
	s_or_b32 exec_lo, exec_lo, s21
.LBB249_754:                            ;   in Loop: Header=BB249_11 Depth=1
	s_or_b32 exec_lo, exec_lo, s17
.LBB249_755:                            ;   in Loop: Header=BB249_11 Depth=1
	s_or_b32 exec_lo, exec_lo, s13
	v_cmp_ne_u16_sdwa s5, v119, v111 src0_sel:BYTE_1 src1_sel:DWORD
	s_and_saveexec_b32 s13, s5
	s_cbranch_execz .LBB249_763
; %bb.756:                              ;   in Loop: Header=BB249_11 Depth=1
	v_mov_b32_e32 v112, v111
	v_cmp_ne_u16_sdwa s5, v119, v43 src0_sel:BYTE_1 src1_sel:DWORD
	v_mov_b32_e32 v68, v112
	v_mov_b32_e32 v69, v113
	s_and_saveexec_b32 s17, s5
	s_cbranch_execz .LBB249_762
; %bb.757:                              ;   in Loop: Header=BB249_11 Depth=1
	v_mov_b32_e32 v68, 0xffff
	v_mov_b32_e32 v100, v111
	s_mov_b32 s21, exec_lo
	v_and_b32_sdwa v71, v68, v119 dst_sel:DWORD dst_unused:UNUSED_PAD src0_sel:DWORD src1_sel:BYTE_1
	v_mov_b32_e32 v68, v100
	v_mov_b32_e32 v69, v101
	v_and_b32_e32 v70, 0x7f, v71
	v_cmpx_ne_u32_e32 0x7f, v70
	s_cbranch_execz .LBB249_761
; %bb.758:                              ;   in Loop: Header=BB249_11 Depth=1
	v_and_b32_e32 v110, 7, v71
	v_lshrrev_b32_e32 v68, 3, v70
	s_mov_b32 s22, exec_lo
	v_cmpx_gt_u32_e32 8, v70
; %bb.759:                              ;   in Loop: Header=BB249_11 Depth=1
	v_ffbh_u32_e32 v68, v110
	v_min_u32_e32 v68, 32, v68
	v_subrev_nc_u32_e32 v69, 28, v68
	v_sub_nc_u32_e32 v68, 29, v68
	v_lshlrev_b64 v[69:70], v69, v[110:111]
	v_and_b32_e32 v110, 7, v69
; %bb.760:                              ;   in Loop: Header=BB249_11 Depth=1
	s_or_b32 exec_lo, exec_lo, s22
	v_lshlrev_b32_e32 v69, 16, v119
	v_lshlrev_b32_e32 v70, 20, v110
	v_lshl_add_u32 v68, v68, 23, 0x3c000000
	v_and_b32_e32 v69, 0x80000000, v69
	v_or3_b32 v69, v70, v69, v68
	v_mov_b32_e32 v68, v111
.LBB249_761:                            ;   in Loop: Header=BB249_11 Depth=1
	s_or_b32 exec_lo, exec_lo, s21
.LBB249_762:                            ;   in Loop: Header=BB249_11 Depth=1
	s_or_b32 exec_lo, exec_lo, s17
.LBB249_763:                            ;   in Loop: Header=BB249_11 Depth=1
	s_or_b32 exec_lo, exec_lo, s13
	v_mov_b32_e32 v70, 0
	v_mov_b32_e32 v98, 0
	v_and_b32_sdwa v100, v119, v103 dst_sel:DWORD dst_unused:UNUSED_PAD src0_sel:WORD_1 src1_sel:DWORD
	v_mov_b32_e32 v71, 0
	v_mov_b32_e32 v99, 0
	s_mov_b32 s13, exec_lo
	v_cmpx_ne_u16_e32 0, v100
	s_cbranch_execz .LBB249_771
; %bb.764:                              ;   in Loop: Header=BB249_11 Depth=1
	v_bfrev_b32_e32 v98, 1
	v_mov_b32_e32 v99, 0
	s_mov_b32 s17, exec_lo
	v_cmpx_ne_u16_e32 0x80, v100
	s_cbranch_execz .LBB249_770
; %bb.765:                              ;   in Loop: Header=BB249_11 Depth=1
	v_mov_b32_e32 v98, 0x7f800001
	v_bfe_u32 v100, v119, 16, 7
	v_mov_b32_e32 v99, 0
	s_mov_b32 s21, exec_lo
	v_cmpx_ne_u32_e32 0x7f, v100
	s_cbranch_execz .LBB249_769
; %bb.766:                              ;   in Loop: Header=BB249_11 Depth=1
	v_mov_b32_e32 v98, 7
	s_mov_b32 s22, exec_lo
	v_and_b32_sdwa v110, v119, v98 dst_sel:DWORD dst_unused:UNUSED_PAD src0_sel:WORD_1 src1_sel:DWORD
	v_lshrrev_b32_e32 v98, 3, v100
	v_cmpx_gt_u32_e32 8, v100
; %bb.767:                              ;   in Loop: Header=BB249_11 Depth=1
	v_ffbh_u32_e32 v98, v110
	v_min_u32_e32 v98, 32, v98
	v_subrev_nc_u32_e32 v99, 28, v98
	v_sub_nc_u32_e32 v98, 29, v98
	v_lshlrev_b64 v[99:100], v99, v[110:111]
	v_and_b32_e32 v110, 7, v99
; %bb.768:                              ;   in Loop: Header=BB249_11 Depth=1
	s_or_b32 exec_lo, exec_lo, s22
	v_mov_b32_e32 v99, 24
	v_lshlrev_b32_e32 v100, 20, v110
	v_lshl_add_u32 v98, v98, 23, 0x3c000000
	v_lshlrev_b32_sdwa v99, v99, v119 dst_sel:DWORD dst_unused:UNUSED_PAD src0_sel:DWORD src1_sel:WORD_1
	v_and_b32_e32 v99, 0x80000000, v99
	v_or3_b32 v110, v100, v99, v98
	v_mov_b32_e32 v98, v110
	v_mov_b32_e32 v99, v111
.LBB249_769:                            ;   in Loop: Header=BB249_11 Depth=1
	s_or_b32 exec_lo, exec_lo, s21
.LBB249_770:                            ;   in Loop: Header=BB249_11 Depth=1
	s_or_b32 exec_lo, exec_lo, s17
.LBB249_771:                            ;   in Loop: Header=BB249_11 Depth=1
	s_or_b32 exec_lo, exec_lo, s13
	v_cmp_lt_u32_e64 s5, 0xffffff, v119
	s_mov_b32 s13, exec_lo
	s_clause 0x2
	buffer_load_dword v110, off, s[0:3], s32 offset:520
	buffer_load_dword v42, off, s[0:3], s32 offset:524
	;; [unrolled: 1-line block ×3, first 2 shown]
	s_and_b32 s5, s13, s5
	s_mov_b32 exec_lo, s5
	s_cbranch_execz .LBB249_10
; %bb.772:                              ;   in Loop: Header=BB249_11 Depth=1
	v_mov_b32_e32 v112, v111
	v_cmp_ne_u32_sdwa s5, v119, v43 src0_sel:BYTE_3 src1_sel:DWORD
	v_mov_b32_e32 v70, v112
	v_mov_b32_e32 v71, v113
	s_and_saveexec_b32 s17, s5
	s_cbranch_execz .LBB249_9
; %bb.773:                              ;   in Loop: Header=BB249_11 Depth=1
	v_mov_b32_e32 v100, v111
	v_bfe_u32 v112, v119, 24, 7
	s_mov_b32 s21, exec_lo
	v_mov_b32_e32 v70, v100
	v_mov_b32_e32 v71, v101
	v_cmpx_ne_u32_e32 0x7f, v112
	s_cbranch_execz .LBB249_8
; %bb.774:                              ;   in Loop: Header=BB249_11 Depth=1
	v_mov_b32_e32 v70, 7
	s_mov_b32 s22, exec_lo
	s_waitcnt vmcnt(2)
	v_and_b32_sdwa v110, v119, v70 dst_sel:DWORD dst_unused:UNUSED_PAD src0_sel:BYTE_3 src1_sel:DWORD
	v_lshrrev_b32_e32 v70, 3, v112
	v_cmpx_gt_u32_e32 8, v112
	s_cbranch_execz .LBB249_7
; %bb.775:                              ;   in Loop: Header=BB249_11 Depth=1
	v_ffbh_u32_e32 v70, v110
	v_min_u32_e32 v70, 32, v70
	v_subrev_nc_u32_e32 v71, 28, v70
	v_sub_nc_u32_e32 v70, 29, v70
	v_lshlrev_b64 v[44:45], v71, v[110:111]
	v_and_b32_e32 v110, 7, v44
	s_branch .LBB249_7
.LBB249_776:
	s_or_b32 exec_lo, exec_lo, s11
	s_clause 0x11
	buffer_load_dword v24, off, s[0:3], s32 offset:540
	buffer_load_dword v25, off, s[0:3], s32 offset:544
	;; [unrolled: 1-line block ×18, first 2 shown]
.LBB249_777:
	s_or_b32 exec_lo, exec_lo, s9
	v_mbcnt_lo_u32_b32 v0, -1, 0
	s_lshr_b32 s9, s7, 16
	v_xor_b32_e32 v1, 16, v0
	v_xor_b32_e32 v3, 8, v0
	v_xor_b32_e32 v5, 4, v0
	v_cmp_gt_i32_e32 vcc_lo, 32, v1
	v_cndmask_b32_e32 v1, v0, v1, vcc_lo
	v_cmp_gt_i32_e32 vcc_lo, 32, v3
	v_lshlrev_b32_e32 v2, 2, v1
	v_cndmask_b32_e32 v3, v0, v3, vcc_lo
	v_cmp_gt_i32_e32 vcc_lo, 32, v5
	ds_bpermute_b32 v1, v2, v4
	v_max_f32_e32 v4, v4, v4
	v_lshlrev_b32_e32 v3, 2, v3
	v_cndmask_b32_e32 v5, v0, v5, vcc_lo
	v_lshlrev_b32_e32 v23, 2, v5
	v_xor_b32_e32 v5, 2, v0
	v_cmp_gt_i32_e32 vcc_lo, 32, v5
	v_cndmask_b32_e32 v5, v0, v5, vcc_lo
	s_waitcnt lgkmcnt(0)
	v_max_f32_e32 v1, v1, v1
	v_lshlrev_b32_e32 v71, 2, v5
	v_max_f32_e32 v1, v4, v1
	v_xor_b32_e32 v5, 1, v0
	ds_bpermute_b32 v4, v3, v1
	v_cmp_gt_i32_e32 vcc_lo, 32, v5
	v_cndmask_b32_e32 v5, v0, v5, vcc_lo
	v_lshlrev_b32_e32 v70, 2, v5
	s_waitcnt lgkmcnt(0)
	v_max_f32_e32 v4, v4, v4
	v_max_f32_e32 v1, v1, v4
	ds_bpermute_b32 v4, v23, v1
	s_waitcnt lgkmcnt(0)
	v_max_f32_e32 v4, v4, v4
	v_max_f32_e32 v1, v1, v4
	ds_bpermute_b32 v4, v71, v1
	s_waitcnt lgkmcnt(0)
	v_max_f32_e32 v4, v4, v4
	v_max_f32_e32 v0, v1, v4
	buffer_load_dword v4, off, s[0:3], s32 offset:964 ; 4-byte Folded Reload
	ds_bpermute_b32 v1, v70, v0
	s_waitcnt vmcnt(0)
	v_cmp_eq_u32_e32 vcc_lo, 0, v4
	buffer_load_dword v4, off, s[0:3], s32 offset:968 ; 4-byte Folded Reload
	s_waitcnt vmcnt(0)
	v_lshlrev_b32_e32 v4, 2, v4
	s_and_saveexec_b32 s5, vcc_lo
	s_cbranch_execz .LBB249_779
; %bb.778:
	s_waitcnt lgkmcnt(0)
	v_max_f32_e32 v1, v1, v1
	v_max_f32_e32 v0, v0, v0
	;; [unrolled: 1-line block ×3, first 2 shown]
	ds_write_b32 v4, v0 offset:384
.LBB249_779:
	s_or_b32 exec_lo, exec_lo, s5
	buffer_load_dword v0, off, s[0:3], s32 offset:964 ; 4-byte Folded Reload
	s_waitcnt vmcnt(0) lgkmcnt(0)
	s_waitcnt_vscnt null, 0x0
	s_barrier
	buffer_gl0_inv
	v_cmp_gt_u32_e64 s5, 4, v0
	v_mov_b32_e32 v0, 0xff7fffff
	s_and_saveexec_b32 s7, s5
; %bb.780:
	ds_read_b32 v0, v19 offset:384
; %bb.781:
	s_or_b32 exec_lo, exec_lo, s7
	buffer_load_dword v5, off, s[0:3], s32 offset:536 ; 4-byte Folded Reload
	s_waitcnt lgkmcnt(0)
	ds_bpermute_b32 v1, v71, v0
	v_max_f32_e32 v0, v0, v0
	s_waitcnt lgkmcnt(0)
	v_max_f32_e32 v1, v1, v1
	v_max_f32_e32 v0, v0, v1
	ds_bpermute_b32 v1, v70, v0
	s_waitcnt lgkmcnt(0)
	v_max_f32_e32 v1, v1, v1
	v_max_f32_e32 v0, v0, v1
	s_waitcnt vmcnt(0)
	v_subrev_nc_u32_e32 v6, s6, v5
	v_mov_b32_e32 v5, 0
	v_lshl_add_u32 v1, v6, 5, s20
	buffer_load_dword v6, off, s[0:3], s32 offset:960 ; 4-byte Folded Reload
	ds_bpermute_b32 v0, v5, v0
	v_min_i32_e32 v1, v1, v102
	v_subrev_nc_u32_e32 v1, s20, v1
	s_waitcnt vmcnt(0)
	v_cmp_lt_i32_e64 s6, v6, v1
	s_and_saveexec_b32 s11, s6
	s_cbranch_execz .LBB249_785
; %bb.782:
	buffer_load_dword v7, off, s[0:3], s32 offset:960 ; 4-byte Folded Reload
	s_getpc_b64 s[22:23]
	s_add_u32 s22, s22, llvm.amdgcn.dynlds.offset.table@rel32@lo+4
	s_addc_u32 s23, s23, llvm.amdgcn.dynlds.offset.table@rel32@hi+12
	s_ashr_i32 s17, s16, 31
	v_mov_b32_e32 v5, 0
	s_lshl_b64 s[24:25], s[16:17], 2
	s_mov_b32 s13, 0
	s_add_u32 s22, s22, s24
	s_addc_u32 s23, s23, s25
	s_load_dword s7, s[22:23], 0x0
	s_waitcnt vmcnt(0) lgkmcnt(0)
	v_lshl_add_u32 v6, v7, 2, s7
	.p2align	6
.LBB249_783:                            ; =>This Inner Loop Header: Depth=1
	ds_read_b32 v8, v6
	v_add_nc_u32_e32 v7, 0x80, v7
	v_cmp_ge_i32_e64 s7, v7, v1
	s_or_b32 s13, s7, s13
	s_waitcnt lgkmcnt(0)
	v_sub_f32_e32 v8, v8, v0
	v_mul_f32_e32 v8, 0x3fb8aa3b, v8
	v_exp_f32_e32 v8, v8
	ds_write_b32 v6, v8
	v_add_f32_e32 v5, v5, v8
	v_add_nc_u32_e32 v6, 0x200, v6
	s_andn2_b32 exec_lo, exec_lo, s13
	s_cbranch_execnz .LBB249_783
; %bb.784:
	s_or_b32 exec_lo, exec_lo, s13
.LBB249_785:
	s_or_b32 exec_lo, exec_lo, s11
	ds_bpermute_b32 v2, v2, v5
	s_waitcnt lgkmcnt(0)
	v_add_f32_e32 v2, v5, v2
	ds_bpermute_b32 v3, v3, v2
	s_waitcnt lgkmcnt(0)
	v_add_f32_e32 v2, v2, v3
	;; [unrolled: 3-line block ×5, first 2 shown]
	s_and_saveexec_b32 s7, vcc_lo
; %bb.786:
	ds_write_b32 v4, v2 offset:400
; %bb.787:
	s_or_b32 exec_lo, exec_lo, s7
	s_waitcnt lgkmcnt(0)
	s_barrier
	buffer_gl0_inv
	s_and_saveexec_b32 s7, s5
; %bb.788:
	ds_read_b32 v2, v19 offset:400
; %bb.789:
	s_or_b32 exec_lo, exec_lo, s7
	s_waitcnt lgkmcnt(0)
	ds_bpermute_b32 v3, v71, v2
	s_waitcnt lgkmcnt(0)
	v_add_f32_e32 v2, v2, v3
	ds_bpermute_b32 v3, v70, v2
	s_waitcnt lgkmcnt(0)
	v_add_f32_e32 v2, v2, v3
	v_mov_b32_e32 v3, 0
	ds_bpermute_b32 v2, v3, v2
	s_and_saveexec_b32 s5, s6
	s_cbranch_execz .LBB249_792
; %bb.790:
	s_waitcnt lgkmcnt(0)
	v_add_f32_e32 v4, 0x358637bd, v2
	s_getpc_b64 s[6:7]
	s_add_u32 s6, s6, llvm.amdgcn.dynlds.offset.table@rel32@lo+4
	s_addc_u32 s7, s7, llvm.amdgcn.dynlds.offset.table@rel32@hi+12
	s_ashr_i32 s17, s16, 31
	s_lshl_b64 s[22:23], s[16:17], 2
	v_div_scale_f32 v3, null, v4, v4, 1.0
	v_div_scale_f32 v7, vcc_lo, 1.0, v4, 1.0
	s_add_u32 s6, s6, s22
	v_rcp_f32_e32 v5, v3
	s_addc_u32 s7, s7, s23
	s_load_dword s6, s[6:7], 0x0
	v_fma_f32 v6, -v3, v5, 1.0
	v_fmac_f32_e32 v5, v6, v5
	v_mul_f32_e32 v6, v7, v5
	v_fma_f32 v8, -v3, v6, v7
	v_fmac_f32_e32 v6, v8, v5
	v_fma_f32 v3, -v3, v6, v7
	v_div_fmas_f32 v5, v3, v5, v6
	buffer_load_dword v6, off, s[0:3], s32 offset:960 ; 4-byte Folded Reload
	v_div_fixup_f32 v4, v5, v4, 1.0
	s_waitcnt vmcnt(0) lgkmcnt(0)
	v_lshl_add_u32 v3, v6, 2, s6
	v_mov_b32_e32 v5, v6
	s_mov_b32 s6, 0
.LBB249_791:                            ; =>This Inner Loop Header: Depth=1
	ds_read_b32 v6, v3
	v_add_nc_u32_e32 v5, 0x80, v5
	v_cmp_ge_i32_e32 vcc_lo, v5, v1
	s_or_b32 s6, vcc_lo, s6
	s_waitcnt lgkmcnt(0)
	v_mul_f32_e32 v6, v4, v6
	ds_write_b32 v3, v6
	v_add_nc_u32_e32 v3, 0x200, v3
	s_andn2_b32 exec_lo, exec_lo, s6
	s_cbranch_execnz .LBB249_791
.LBB249_792:
	s_or_b32 exec_lo, exec_lo, s5
	s_waitcnt lgkmcnt(0)
	buffer_load_dword v1, off, s[0:3], s32 offset:960 ; 4-byte Folded Reload
	s_and_b32 s5, 0xffff, s9
	s_barrier
	s_cmp_lg_u32 s5, 0
	s_waitcnt vmcnt(0)
	buffer_gl0_inv
	s_cselect_b32 s5, -1, 0
	s_cmp_lg_u32 s5, 0
	s_addc_u32 s5, s8, 0
	s_mov_b32 s8, exec_lo
	s_mul_i32 s6, s5, s18
	s_mul_i32 s6, s6, s15
	v_cmpx_eq_u32_e32 0, v1
	s_cbranch_execz .LBB249_794
; %bb.793:
	s_ashr_i32 s7, s6, 31
	s_mul_i32 s12, s5, s12
	s_lshl_b64 s[22:23], s[6:7], 2
	s_ashr_i32 s13, s12, 31
	v_add_co_u32 v1, vcc_lo, v30, s22
	v_add_co_ci_u32_e64 v3, null, s23, v29, vcc_lo
	s_lshl_b64 s[12:13], s[12:13], 2
	s_ashr_i32 s15, s14, 31
	v_add_co_u32 v1, vcc_lo, v1, s12
	v_add_co_ci_u32_e64 v4, null, s13, v3, vcc_lo
	v_add_co_u32 v3, vcc_lo, v28, s22
	v_add_co_ci_u32_e64 v5, null, s23, v22, vcc_lo
	s_lshl_b64 s[22:23], s[14:15], 2
	v_add_co_u32 v6, vcc_lo, v3, s12
	v_add_co_ci_u32_e64 v7, null, s13, v5, vcc_lo
	v_add_co_u32 v3, vcc_lo, v1, s22
	v_add_co_ci_u32_e64 v4, null, s23, v4, vcc_lo
	;; [unrolled: 2-line block ×3, first 2 shown]
	flat_store_dword v[3:4], v0
	flat_store_dword v[5:6], v2
.LBB249_794:
	s_or_b32 exec_lo, exec_lo, s8
	s_and_saveexec_b32 s7, s4
	s_xor_b32 s4, exec_lo, s7
; %bb.795:
	s_ashr_i32 s17, s16, 31
                                        ; implicit-def: $vgpr0
                                        ; implicit-def: $vgpr102
                                        ; implicit-def: $vgpr16
                                        ; kill: killed $vgpr0
                                        ; implicit-def: $vgpr24
                                        ; implicit-def: $vgpr10
                                        ; implicit-def: $vgpr11
                                        ; implicit-def: $vgpr14
                                        ; implicit-def: $vgpr15
                                        ; implicit-def: $vgpr0
                                        ; kill: killed $vgpr0
                                        ; implicit-def: $vgpr26_vgpr27
                                        ; implicit-def: $vgpr17
                                        ; implicit-def: $vgpr18
                                        ; implicit-def: $vgpr12_vgpr13
; %bb.796:
	s_or_saveexec_b32 s7, s4
	buffer_load_dword v2, off, s[0:3], s32 offset:960 ; 4-byte Folded Reload
	v_mov_b32_e32 v0, s16
	v_mov_b32_e32 v67, 0
	;; [unrolled: 1-line block ×26, first 2 shown]
	s_waitcnt vmcnt(0)
	v_and_b32_e32 v80, 7, v2
	s_xor_b32 exec_lo, exec_lo, s7
	s_cbranch_execz .LBB249_1616
; %bb.797:
	buffer_store_dword v23, off, s[0:3], s32 offset:384 ; 4-byte Folded Spill
	buffer_store_dword v71, off, s[0:3], s32 offset:376 ; 4-byte Folded Spill
	;; [unrolled: 1-line block ×3, first 2 shown]
	buffer_load_dword v0, off, s[0:3], s32 offset:960 ; 4-byte Folded Reload
	v_add_co_u32 v3, vcc_lo, v10, v17
	buffer_load_dword v10, off, s[0:3], s32 offset:968 ; 4-byte Folded Reload
	flat_load_dword v68, v[26:27]
	s_ashr_i32 s17, s16, 31
	s_getpc_b64 s[8:9]
	s_add_u32 s8, s8, llvm.amdgcn.dynlds.offset.table@rel32@lo+4
	s_addc_u32 s9, s9, llvm.amdgcn.dynlds.offset.table@rel32@hi+12
	s_lshl_b64 s[12:13], s[16:17], 2
	v_lshlrev_b32_e32 v6, 4, v80
	s_add_u32 s8, s8, s12
	s_addc_u32 s9, s9, s13
	v_add_co_ci_u32_e64 v4, null, v11, v18, vcc_lo
	s_load_dword s4, s[8:9], 0x0
	v_add_nc_u32_e32 v46, -1, v16
	v_mov_b32_e32 v7, 0
	buffer_store_dword v80, off, s[0:3], s32 offset:392 ; 4-byte Folded Spill
	v_mov_b32_e32 v70, 0x80
	v_bfrev_b32_e32 v9, 1
	v_mov_b32_e32 v11, 0x7f800001
	v_mov_b32_e32 v80, 0xff
	;; [unrolled: 1-line block ×26, first 2 shown]
	s_mov_b32 s8, 0
	s_waitcnt vmcnt(2)
	v_lshlrev_b32_e32 v2, 2, v0
	v_lshlrev_b64 v[0:1], 2, v[24:25]
	s_waitcnt vmcnt(1)
	v_lshl_add_u32 v5, v10, 5, s20
	v_lshl_or_b32 v6, v10, 7, v6
	v_and_b32_e32 v8, 28, v2
	v_and_b32_e32 v2, 0x7c, v2
	v_add_co_u32 v0, vcc_lo, v12, v0
	v_add_co_ci_u32_e64 v1, null, v13, v1, vcc_lo
	v_add_co_u32 v2, vcc_lo, v3, v2
	v_add_co_ci_u32_e64 v3, null, 0, v4, vcc_lo
	v_add_co_u32 v14, vcc_lo, v14, v0
	v_add3_u32 v83, v5, v8, 3
	v_add_co_ci_u32_e64 v15, null, v15, v1, vcc_lo
	s_waitcnt lgkmcnt(0)
	v_add_nc_u32_e32 v84, s4, v6
	s_waitcnt vmcnt(0)
	v_mov_b32_e32 v85, v68
	buffer_store_dword v2, off, s[0:3], s32 offset:360 ; 4-byte Folded Spill
	buffer_store_dword v3, off, s[0:3], s32 offset:364 ; 4-byte Folded Spill
	s_branch .LBB249_799
.LBB249_798:                            ;   in Loop: Header=BB249_799 Depth=1
	s_or_b32 exec_lo, exec_lo, s4
	v_mul_f32_e32 v10, v1, v43
	v_add_co_u32 v14, vcc_lo, v14, 16
	v_add_co_ci_u32_e64 v15, null, 0, v15, vcc_lo
	v_fmac_f32_e32 v10, v0, v42
	v_add_nc_u32_e32 v83, 0x80, v83
	v_add_nc_u32_e32 v84, 0x200, v84
	v_fmac_f32_e32 v10, v2, v23
	v_fmac_f32_e32 v10, v3, v22
	v_add_f32_e32 v29, v29, v10
	v_mul_f32_e32 v10, v1, v41
	v_fmac_f32_e32 v10, v0, v40
	v_fmac_f32_e32 v10, v2, v119
	v_fmac_f32_e32 v10, v3, v118
	v_add_f32_e32 v30, v30, v10
	v_mul_f32_e32 v10, v1, v117
	v_fmac_f32_e32 v10, v0, v116
	;; [unrolled: 5-line block ×6, first 2 shown]
	v_fmac_f32_e32 v10, v2, v13
	v_fmac_f32_e32 v10, v3, v12
	buffer_load_dword v12, off, s[0:3], s32 offset:352 ; 4-byte Folded Reload
	v_add_f32_e32 v35, v35, v10
	v_mul_f32_e32 v10, v1, v27
	v_fmac_f32_e32 v10, v0, v69
	v_fmac_f32_e32 v10, v2, v127
	v_fmac_f32_e32 v10, v3, v126
	v_add_f32_e32 v36, v36, v10
	v_mul_f32_e32 v10, v1, v125
	v_fmac_f32_e32 v10, v0, v124
	v_fmac_f32_e32 v10, v2, v123
	v_fmac_f32_e32 v10, v3, v122
	;; [unrolled: 5-line block ×10, first 2 shown]
	v_add_f32_e32 v53, v53, v10
	v_mul_f32_e32 v10, v1, v56
	v_fmac_f32_e32 v10, v0, v57
	v_fmac_f32_e32 v10, v2, v47
	s_waitcnt vmcnt(0)
	v_fmac_f32_e32 v10, v3, v12
	buffer_load_dword v12, off, s[0:3], s32 offset:336 ; 4-byte Folded Reload
	v_add_f32_e32 v54, v54, v10
	buffer_load_dword v10, off, s[0:3], s32 offset:344 ; 4-byte Folded Reload
	s_waitcnt vmcnt(0)
	v_mul_f32_e32 v10, v1, v10
	v_fmac_f32_e32 v10, v0, v12
	buffer_load_dword v12, off, s[0:3], s32 offset:328 ; 4-byte Folded Reload
	s_waitcnt vmcnt(0)
	v_fmac_f32_e32 v10, v2, v12
	buffer_load_dword v12, off, s[0:3], s32 offset:320 ; 4-byte Folded Reload
	s_waitcnt vmcnt(0)
	v_fmac_f32_e32 v10, v3, v12
	buffer_load_dword v12, off, s[0:3], s32 offset:304 ; 4-byte Folded Reload
	v_add_f32_e32 v55, v55, v10
	buffer_load_dword v10, off, s[0:3], s32 offset:312 ; 4-byte Folded Reload
	s_waitcnt vmcnt(0)
	v_mul_f32_e32 v10, v1, v10
	v_fmac_f32_e32 v10, v0, v12
	buffer_load_dword v12, off, s[0:3], s32 offset:296 ; 4-byte Folded Reload
	s_waitcnt vmcnt(0)
	v_fmac_f32_e32 v10, v2, v12
	buffer_load_dword v12, off, s[0:3], s32 offset:288 ; 4-byte Folded Reload
	;; [unrolled: 12-line block ×4, first 2 shown]
	s_waitcnt vmcnt(0)
	v_fmac_f32_e32 v10, v3, v12
	buffer_load_dword v12, off, s[0:3], s32 offset:216 ; 4-byte Folded Reload
	v_add_f32_e32 v66, v66, v10
	buffer_load_dword v10, off, s[0:3], s32 offset:208 ; 4-byte Folded Reload
	s_waitcnt vmcnt(0)
	v_mul_f32_e32 v10, v1, v10
	v_mul_f32_e32 v1, v1, v8
	v_fmac_f32_e32 v10, v0, v12
	buffer_load_dword v12, off, s[0:3], s32 offset:200 ; 4-byte Folded Reload
	v_fmac_f32_e32 v1, v0, v6
	v_fmac_f32_e32 v1, v2, v5
	;; [unrolled: 1-line block ×3, first 2 shown]
	v_add_f32_e32 v28, v28, v1
	s_waitcnt vmcnt(0)
	v_fmac_f32_e32 v10, v2, v12
	s_clause 0x3
	buffer_load_dword v12, off, s[0:3], s32 offset:192
	buffer_load_dword v24, off, s[0:3], s32 offset:540
	;; [unrolled: 1-line block ×4, first 2 shown]
	s_waitcnt vmcnt(2)
	v_add_nc_u32_e32 v24, 4, v24
	v_fmac_f32_e32 v10, v3, v12
	s_waitcnt vmcnt(0)
	v_cmp_ge_i32_e32 vcc_lo, v24, v0
	v_add_f32_e32 v67, v67, v10
	s_or_b32 s8, vcc_lo, s8
	s_andn2_b32 exec_lo, exec_lo, s8
	s_cbranch_execz .LBB249_1615
.LBB249_799:                            ; =>This Inner Loop Header: Depth=1
	flat_load_dword v0, v[14:15]
	s_clause 0x2
	buffer_load_dword v1, off, s[0:3], s32 offset:532
	buffer_load_dword v2, off, s[0:3], s32 offset:360
	;; [unrolled: 1-line block ×3, first 2 shown]
	v_mov_b32_e32 v18, 0
	v_mov_b32_e32 v16, 0
	;; [unrolled: 1-line block ×4, first 2 shown]
	s_waitcnt vmcnt(0) lgkmcnt(0)
	v_mad_i64_i32 v[4:5], null, v0, v1, v[2:3]
	ds_read_b128 v[0:3], v84
	flat_load_dword v12, v[4:5]
	s_waitcnt vmcnt(0) lgkmcnt(0)
	v_cmp_ne_u16_sdwa s9, v12, v7 src0_sel:BYTE_0 src1_sel:DWORD
	s_and_saveexec_b32 s4, s9
	s_cbranch_execz .LBB249_807
; %bb.800:                              ;   in Loop: Header=BB249_799 Depth=1
	v_bfrev_b32_e32 v16, 1
	v_mov_b32_e32 v17, 0
	v_cmp_ne_u16_sdwa s11, v12, v70 src0_sel:BYTE_0 src1_sel:DWORD
	s_and_saveexec_b32 s9, s11
	s_cbranch_execz .LBB249_806
; %bb.801:                              ;   in Loop: Header=BB249_799 Depth=1
	v_mov_b32_e32 v16, 0x7f800001
	v_and_b32_e32 v10, 0x7f, v12
	v_mov_b32_e32 v17, 0
	s_mov_b32 s11, exec_lo
	v_cmpx_ne_u32_e32 0x7f, v10
	s_cbranch_execz .LBB249_805
; %bb.802:                              ;   in Loop: Header=BB249_799 Depth=1
	v_and_b32_e32 v6, 7, v12
	v_lshrrev_b32_e32 v8, 3, v10
	s_mov_b32 s12, exec_lo
	v_cmpx_gt_u32_e32 8, v10
; %bb.803:                              ;   in Loop: Header=BB249_799 Depth=1
	v_ffbh_u32_e32 v8, v6
	v_min_u32_e32 v8, 32, v8
	v_subrev_nc_u32_e32 v10, 28, v8
	v_sub_nc_u32_e32 v8, 29, v8
	v_lshlrev_b64 v[16:17], v10, v[6:7]
	v_and_b32_e32 v6, 7, v16
; %bb.804:                              ;   in Loop: Header=BB249_799 Depth=1
	s_or_b32 exec_lo, exec_lo, s12
	v_lshlrev_b32_e32 v10, 24, v12
	v_lshlrev_b32_e32 v6, 20, v6
	v_lshl_add_u32 v8, v8, 23, 0x3c000000
	v_and_b32_e32 v10, 0x80000000, v10
	v_or3_b32 v6, v6, v10, v8
	v_mov_b32_e32 v17, v7
	v_mov_b32_e32 v16, v6
.LBB249_805:                            ;   in Loop: Header=BB249_799 Depth=1
	s_or_b32 exec_lo, exec_lo, s11
.LBB249_806:                            ;   in Loop: Header=BB249_799 Depth=1
	s_or_b32 exec_lo, exec_lo, s9
.LBB249_807:                            ;   in Loop: Header=BB249_799 Depth=1
	s_or_b32 exec_lo, exec_lo, s4
	v_cmp_ne_u16_sdwa s9, v12, v7 src0_sel:BYTE_1 src1_sel:DWORD
	s_and_saveexec_b32 s4, s9
	s_cbranch_execz .LBB249_815
; %bb.808:                              ;   in Loop: Header=BB249_799 Depth=1
	v_mov_b32_e32 v8, v7
	v_mov_b32_e32 v19, v9
	v_cmp_ne_u16_sdwa s11, v12, v70 src0_sel:BYTE_1 src1_sel:DWORD
	v_mov_b32_e32 v18, v8
	s_and_saveexec_b32 s9, s11
	s_cbranch_execz .LBB249_814
; %bb.809:                              ;   in Loop: Header=BB249_799 Depth=1
	v_mov_b32_e32 v6, 0xffff
	v_mov_b32_e32 v10, v7
	;; [unrolled: 1-line block ×3, first 2 shown]
	s_mov_b32 s11, exec_lo
	v_and_b32_sdwa v6, v6, v12 dst_sel:DWORD dst_unused:UNUSED_PAD src0_sel:DWORD src1_sel:BYTE_1
	v_mov_b32_e32 v18, v10
	v_and_b32_e32 v13, 0x7f, v6
	v_cmpx_ne_u32_e32 0x7f, v13
	s_cbranch_execz .LBB249_813
; %bb.810:                              ;   in Loop: Header=BB249_799 Depth=1
	v_and_b32_e32 v6, 7, v6
	v_lshrrev_b32_e32 v8, 3, v13
	s_mov_b32 s12, exec_lo
	v_cmpx_gt_u32_e32 8, v13
; %bb.811:                              ;   in Loop: Header=BB249_799 Depth=1
	v_ffbh_u32_e32 v8, v6
	v_min_u32_e32 v8, 32, v8
	v_subrev_nc_u32_e32 v10, 28, v8
	v_sub_nc_u32_e32 v8, 29, v8
	v_lshlrev_b64 v[18:19], v10, v[6:7]
	v_and_b32_e32 v6, 7, v18
; %bb.812:                              ;   in Loop: Header=BB249_799 Depth=1
	s_or_b32 exec_lo, exec_lo, s12
	v_lshlrev_b32_e32 v10, 16, v12
	v_lshlrev_b32_e32 v6, 20, v6
	v_lshl_add_u32 v8, v8, 23, 0x3c000000
	v_mov_b32_e32 v18, v7
	v_and_b32_e32 v10, 0x80000000, v10
	v_or3_b32 v19, v6, v10, v8
.LBB249_813:                            ;   in Loop: Header=BB249_799 Depth=1
	s_or_b32 exec_lo, exec_lo, s11
.LBB249_814:                            ;   in Loop: Header=BB249_799 Depth=1
	s_or_b32 exec_lo, exec_lo, s9
.LBB249_815:                            ;   in Loop: Header=BB249_799 Depth=1
	s_or_b32 exec_lo, exec_lo, s4
	v_mov_b32_e32 v22, 0
	v_mov_b32_e32 v20, 0
	v_and_b32_sdwa v6, v12, v80 dst_sel:DWORD dst_unused:UNUSED_PAD src0_sel:WORD_1 src1_sel:DWORD
	v_mov_b32_e32 v23, 0
	v_mov_b32_e32 v21, 0
	s_mov_b32 s4, exec_lo
	v_cmpx_ne_u16_e32 0, v6
	s_cbranch_execz .LBB249_823
; %bb.816:                              ;   in Loop: Header=BB249_799 Depth=1
	v_bfrev_b32_e32 v20, 1
	v_mov_b32_e32 v21, 0
	s_mov_b32 s9, exec_lo
	v_cmpx_ne_u16_e32 0x80, v6
	s_cbranch_execz .LBB249_822
; %bb.817:                              ;   in Loop: Header=BB249_799 Depth=1
	v_mov_b32_e32 v20, 0x7f800001
	v_bfe_u32 v10, v12, 16, 7
	v_mov_b32_e32 v21, 0
	s_mov_b32 s11, exec_lo
	v_cmpx_ne_u32_e32 0x7f, v10
	s_cbranch_execz .LBB249_821
; %bb.818:                              ;   in Loop: Header=BB249_799 Depth=1
	v_mov_b32_e32 v6, 7
	v_lshrrev_b32_e32 v8, 3, v10
	s_mov_b32 s12, exec_lo
	v_and_b32_sdwa v6, v12, v6 dst_sel:DWORD dst_unused:UNUSED_PAD src0_sel:WORD_1 src1_sel:DWORD
	v_cmpx_gt_u32_e32 8, v10
; %bb.819:                              ;   in Loop: Header=BB249_799 Depth=1
	v_ffbh_u32_e32 v8, v6
	v_min_u32_e32 v8, 32, v8
	v_subrev_nc_u32_e32 v10, 28, v8
	v_sub_nc_u32_e32 v8, 29, v8
	v_lshlrev_b64 v[20:21], v10, v[6:7]
	v_and_b32_e32 v6, 7, v20
; %bb.820:                              ;   in Loop: Header=BB249_799 Depth=1
	s_or_b32 exec_lo, exec_lo, s12
	v_mov_b32_e32 v10, 24
	v_lshlrev_b32_e32 v6, 20, v6
	v_lshl_add_u32 v8, v8, 23, 0x3c000000
	v_lshlrev_b32_sdwa v10, v10, v12 dst_sel:DWORD dst_unused:UNUSED_PAD src0_sel:DWORD src1_sel:WORD_1
	v_and_b32_e32 v10, 0x80000000, v10
	v_or3_b32 v6, v6, v10, v8
	v_mov_b32_e32 v21, v7
	v_mov_b32_e32 v20, v6
.LBB249_821:                            ;   in Loop: Header=BB249_799 Depth=1
	s_or_b32 exec_lo, exec_lo, s11
.LBB249_822:                            ;   in Loop: Header=BB249_799 Depth=1
	s_or_b32 exec_lo, exec_lo, s9
.LBB249_823:                            ;   in Loop: Header=BB249_799 Depth=1
	s_or_b32 exec_lo, exec_lo, s4
	s_mov_b32 s4, exec_lo
	v_cmpx_lt_u32_e32 0xffffff, v12
	s_cbranch_execz .LBB249_831
; %bb.824:                              ;   in Loop: Header=BB249_799 Depth=1
	v_mov_b32_e32 v8, v7
	v_mov_b32_e32 v23, v9
	v_cmp_ne_u32_sdwa s11, v12, v70 src0_sel:BYTE_3 src1_sel:DWORD
	v_mov_b32_e32 v22, v8
	s_and_saveexec_b32 s9, s11
	s_cbranch_execz .LBB249_830
; %bb.825:                              ;   in Loop: Header=BB249_799 Depth=1
	v_mov_b32_e32 v10, v7
	v_mov_b32_e32 v23, v11
	v_bfe_u32 v13, v12, 24, 7
	s_mov_b32 s11, exec_lo
	v_mov_b32_e32 v22, v10
	v_cmpx_ne_u32_e32 0x7f, v13
	s_cbranch_execz .LBB249_829
; %bb.826:                              ;   in Loop: Header=BB249_799 Depth=1
	v_mov_b32_e32 v6, 7
	v_lshrrev_b32_e32 v8, 3, v13
	s_mov_b32 s12, exec_lo
	v_and_b32_sdwa v6, v12, v6 dst_sel:DWORD dst_unused:UNUSED_PAD src0_sel:BYTE_3 src1_sel:DWORD
	v_cmpx_gt_u32_e32 8, v13
; %bb.827:                              ;   in Loop: Header=BB249_799 Depth=1
	v_ffbh_u32_e32 v8, v6
	v_min_u32_e32 v8, 32, v8
	v_subrev_nc_u32_e32 v10, 28, v8
	v_sub_nc_u32_e32 v8, 29, v8
	v_lshlrev_b64 v[22:23], v10, v[6:7]
	v_and_b32_e32 v6, 7, v22
; %bb.828:                              ;   in Loop: Header=BB249_799 Depth=1
	s_or_b32 exec_lo, exec_lo, s12
	v_mov_b32_e32 v10, 24
	v_lshlrev_b32_e32 v6, 20, v6
	v_lshl_add_u32 v8, v8, 23, 0x3c000000
	v_mov_b32_e32 v22, v7
	v_lshlrev_b32_sdwa v10, v10, v12 dst_sel:DWORD dst_unused:UNUSED_PAD src0_sel:DWORD src1_sel:BYTE_3
	v_and_b32_e32 v10, 0x80000000, v10
	v_or3_b32 v23, v6, v10, v8
.LBB249_829:                            ;   in Loop: Header=BB249_799 Depth=1
	s_or_b32 exec_lo, exec_lo, s11
.LBB249_830:                            ;   in Loop: Header=BB249_799 Depth=1
	s_or_b32 exec_lo, exec_lo, s9
.LBB249_831:                            ;   in Loop: Header=BB249_799 Depth=1
	s_or_b32 exec_lo, exec_lo, s4
	v_or_b32_e32 v6, v19, v17
	v_or_b32_e32 v8, v18, v16
	v_mov_b32_e32 v13, v24
	v_or_b32_e32 v10, v22, v20
	v_or_b32_e32 v12, v23, v21
	v_mul_f32_e32 v6, v85, v6
	buffer_store_dword v13, off, s[0:3], s32 offset:540 ; 4-byte Folded Spill
	buffer_store_dword v14, off, s[0:3], s32 offset:544 ; 4-byte Folded Spill
	v_add_nc_u32_e32 v103, -3, v83
	v_cmp_eq_u32_e32 vcc_lo, v46, v24
	buffer_store_dword v6, off, s[0:3], s32 offset:208 ; 4-byte Folded Spill
	v_mul_f32_e32 v6, v68, v8
	v_add_nc_u32_e32 v113, -2, v83
	v_add_nc_u32_e32 v112, -1, v83
	buffer_store_dword v6, off, s[0:3], s32 offset:216 ; 4-byte Folded Spill
	v_mul_f32_e32 v6, v68, v10
	buffer_store_dword v6, off, s[0:3], s32 offset:200 ; 4-byte Folded Spill
	v_mul_f32_e32 v6, v85, v12
	buffer_store_dword v6, off, s[0:3], s32 offset:192 ; 4-byte Folded Spill
	s_and_saveexec_b32 s9, vcc_lo
	s_cbranch_execz .LBB249_833
; %bb.832:                              ;   in Loop: Header=BB249_799 Depth=1
	buffer_load_dword v6, off, s[0:3], s32 offset:216 ; 4-byte Folded Reload
	v_cmp_lt_i32_e64 s4, v103, v102
	s_waitcnt vmcnt(0)
	v_cndmask_b32_e64 v6, 0, v6, s4
	v_cmp_lt_i32_e64 s4, v113, v102
	buffer_store_dword v6, off, s[0:3], s32 offset:216 ; 4-byte Folded Spill
	buffer_load_dword v6, off, s[0:3], s32 offset:208 ; 4-byte Folded Reload
	s_waitcnt vmcnt(0)
	v_cndmask_b32_e64 v6, 0, v6, s4
	v_cmp_lt_i32_e64 s4, v112, v102
	buffer_store_dword v6, off, s[0:3], s32 offset:208 ; 4-byte Folded Spill
	buffer_load_dword v6, off, s[0:3], s32 offset:200 ; 4-byte Folded Reload
	;; [unrolled: 5-line block ×3, first 2 shown]
	s_waitcnt vmcnt(0)
	v_cndmask_b32_e64 v6, 0, v6, s4
	buffer_store_dword v6, off, s[0:3], s32 offset:192 ; 4-byte Folded Spill
.LBB249_833:                            ;   in Loop: Header=BB249_799 Depth=1
	s_or_b32 exec_lo, exec_lo, s9
	flat_load_dword v12, v[4:5] offset:128
	v_mov_b32_e32 v18, 0
	v_mov_b32_e32 v16, 0
	;; [unrolled: 1-line block ×4, first 2 shown]
	s_waitcnt vmcnt(0) lgkmcnt(0)
	v_cmp_ne_u16_sdwa s4, v12, v7 src0_sel:BYTE_0 src1_sel:DWORD
	s_and_saveexec_b32 s9, s4
	s_cbranch_execz .LBB249_841
; %bb.834:                              ;   in Loop: Header=BB249_799 Depth=1
	v_bfrev_b32_e32 v16, 1
	v_mov_b32_e32 v17, 0
	v_cmp_ne_u16_sdwa s4, v12, v70 src0_sel:BYTE_0 src1_sel:DWORD
	s_and_saveexec_b32 s11, s4
	s_cbranch_execz .LBB249_840
; %bb.835:                              ;   in Loop: Header=BB249_799 Depth=1
	v_mov_b32_e32 v16, 0x7f800001
	v_and_b32_e32 v10, 0x7f, v12
	v_mov_b32_e32 v17, 0
	s_mov_b32 s12, exec_lo
	v_cmpx_ne_u32_e32 0x7f, v10
	s_cbranch_execz .LBB249_839
; %bb.836:                              ;   in Loop: Header=BB249_799 Depth=1
	v_and_b32_e32 v6, 7, v12
	v_lshrrev_b32_e32 v8, 3, v10
	s_mov_b32 s13, exec_lo
	v_cmpx_gt_u32_e32 8, v10
; %bb.837:                              ;   in Loop: Header=BB249_799 Depth=1
	v_ffbh_u32_e32 v8, v6
	v_min_u32_e32 v8, 32, v8
	v_subrev_nc_u32_e32 v10, 28, v8
	v_sub_nc_u32_e32 v8, 29, v8
	v_lshlrev_b64 v[16:17], v10, v[6:7]
	v_and_b32_e32 v6, 7, v16
; %bb.838:                              ;   in Loop: Header=BB249_799 Depth=1
	s_or_b32 exec_lo, exec_lo, s13
	v_lshlrev_b32_e32 v10, 24, v12
	v_lshlrev_b32_e32 v6, 20, v6
	v_lshl_add_u32 v8, v8, 23, 0x3c000000
	v_and_b32_e32 v10, 0x80000000, v10
	v_or3_b32 v6, v6, v10, v8
	v_mov_b32_e32 v17, v7
	v_mov_b32_e32 v16, v6
.LBB249_839:                            ;   in Loop: Header=BB249_799 Depth=1
	s_or_b32 exec_lo, exec_lo, s12
.LBB249_840:                            ;   in Loop: Header=BB249_799 Depth=1
	s_or_b32 exec_lo, exec_lo, s11
.LBB249_841:                            ;   in Loop: Header=BB249_799 Depth=1
	s_or_b32 exec_lo, exec_lo, s9
	v_cmp_ne_u16_sdwa s4, v12, v7 src0_sel:BYTE_1 src1_sel:DWORD
	s_and_saveexec_b32 s9, s4
	s_cbranch_execz .LBB249_849
; %bb.842:                              ;   in Loop: Header=BB249_799 Depth=1
	v_mov_b32_e32 v8, v7
	v_mov_b32_e32 v19, v9
	v_cmp_ne_u16_sdwa s4, v12, v70 src0_sel:BYTE_1 src1_sel:DWORD
	v_mov_b32_e32 v18, v8
	s_and_saveexec_b32 s11, s4
	s_cbranch_execz .LBB249_848
; %bb.843:                              ;   in Loop: Header=BB249_799 Depth=1
	v_mov_b32_e32 v6, 0xffff
	v_mov_b32_e32 v10, v7
	;; [unrolled: 1-line block ×3, first 2 shown]
	s_mov_b32 s12, exec_lo
	v_and_b32_sdwa v6, v6, v12 dst_sel:DWORD dst_unused:UNUSED_PAD src0_sel:DWORD src1_sel:BYTE_1
	v_mov_b32_e32 v18, v10
	v_and_b32_e32 v13, 0x7f, v6
	v_cmpx_ne_u32_e32 0x7f, v13
	s_cbranch_execz .LBB249_847
; %bb.844:                              ;   in Loop: Header=BB249_799 Depth=1
	v_and_b32_e32 v6, 7, v6
	v_lshrrev_b32_e32 v8, 3, v13
	s_mov_b32 s13, exec_lo
	v_cmpx_gt_u32_e32 8, v13
; %bb.845:                              ;   in Loop: Header=BB249_799 Depth=1
	v_ffbh_u32_e32 v8, v6
	v_min_u32_e32 v8, 32, v8
	v_subrev_nc_u32_e32 v10, 28, v8
	v_sub_nc_u32_e32 v8, 29, v8
	v_lshlrev_b64 v[18:19], v10, v[6:7]
	v_and_b32_e32 v6, 7, v18
; %bb.846:                              ;   in Loop: Header=BB249_799 Depth=1
	s_or_b32 exec_lo, exec_lo, s13
	v_lshlrev_b32_e32 v10, 16, v12
	v_lshlrev_b32_e32 v6, 20, v6
	v_lshl_add_u32 v8, v8, 23, 0x3c000000
	v_mov_b32_e32 v18, v7
	v_and_b32_e32 v10, 0x80000000, v10
	v_or3_b32 v19, v6, v10, v8
.LBB249_847:                            ;   in Loop: Header=BB249_799 Depth=1
	s_or_b32 exec_lo, exec_lo, s12
.LBB249_848:                            ;   in Loop: Header=BB249_799 Depth=1
	s_or_b32 exec_lo, exec_lo, s11
.LBB249_849:                            ;   in Loop: Header=BB249_799 Depth=1
	s_or_b32 exec_lo, exec_lo, s9
	v_mov_b32_e32 v22, 0
	v_mov_b32_e32 v20, 0
	v_and_b32_sdwa v6, v12, v80 dst_sel:DWORD dst_unused:UNUSED_PAD src0_sel:WORD_1 src1_sel:DWORD
	v_mov_b32_e32 v23, 0
	v_mov_b32_e32 v21, 0
	s_mov_b32 s9, exec_lo
	v_cmpx_ne_u16_e32 0, v6
	s_cbranch_execz .LBB249_857
; %bb.850:                              ;   in Loop: Header=BB249_799 Depth=1
	v_bfrev_b32_e32 v20, 1
	v_mov_b32_e32 v21, 0
	s_mov_b32 s11, exec_lo
	v_cmpx_ne_u16_e32 0x80, v6
	s_cbranch_execz .LBB249_856
; %bb.851:                              ;   in Loop: Header=BB249_799 Depth=1
	v_mov_b32_e32 v20, 0x7f800001
	v_bfe_u32 v10, v12, 16, 7
	v_mov_b32_e32 v21, 0
	s_mov_b32 s12, exec_lo
	v_cmpx_ne_u32_e32 0x7f, v10
	s_cbranch_execz .LBB249_855
; %bb.852:                              ;   in Loop: Header=BB249_799 Depth=1
	v_mov_b32_e32 v6, 7
	v_lshrrev_b32_e32 v8, 3, v10
	s_mov_b32 s13, exec_lo
	v_and_b32_sdwa v6, v12, v6 dst_sel:DWORD dst_unused:UNUSED_PAD src0_sel:WORD_1 src1_sel:DWORD
	v_cmpx_gt_u32_e32 8, v10
; %bb.853:                              ;   in Loop: Header=BB249_799 Depth=1
	v_ffbh_u32_e32 v8, v6
	v_min_u32_e32 v8, 32, v8
	v_subrev_nc_u32_e32 v10, 28, v8
	v_sub_nc_u32_e32 v8, 29, v8
	v_lshlrev_b64 v[20:21], v10, v[6:7]
	v_and_b32_e32 v6, 7, v20
; %bb.854:                              ;   in Loop: Header=BB249_799 Depth=1
	s_or_b32 exec_lo, exec_lo, s13
	v_mov_b32_e32 v10, 24
	v_lshlrev_b32_e32 v6, 20, v6
	v_lshl_add_u32 v8, v8, 23, 0x3c000000
	v_lshlrev_b32_sdwa v10, v10, v12 dst_sel:DWORD dst_unused:UNUSED_PAD src0_sel:DWORD src1_sel:WORD_1
	v_and_b32_e32 v10, 0x80000000, v10
	v_or3_b32 v6, v6, v10, v8
	v_mov_b32_e32 v21, v7
	v_mov_b32_e32 v20, v6
.LBB249_855:                            ;   in Loop: Header=BB249_799 Depth=1
	s_or_b32 exec_lo, exec_lo, s12
.LBB249_856:                            ;   in Loop: Header=BB249_799 Depth=1
	s_or_b32 exec_lo, exec_lo, s11
.LBB249_857:                            ;   in Loop: Header=BB249_799 Depth=1
	s_or_b32 exec_lo, exec_lo, s9
	s_mov_b32 s9, exec_lo
	v_cmpx_lt_u32_e32 0xffffff, v12
	s_cbranch_execz .LBB249_865
; %bb.858:                              ;   in Loop: Header=BB249_799 Depth=1
	v_mov_b32_e32 v8, v7
	v_mov_b32_e32 v23, v9
	v_cmp_ne_u32_sdwa s4, v12, v70 src0_sel:BYTE_3 src1_sel:DWORD
	v_mov_b32_e32 v22, v8
	s_and_saveexec_b32 s11, s4
	s_cbranch_execz .LBB249_864
; %bb.859:                              ;   in Loop: Header=BB249_799 Depth=1
	v_mov_b32_e32 v10, v7
	v_mov_b32_e32 v23, v11
	v_bfe_u32 v13, v12, 24, 7
	s_mov_b32 s12, exec_lo
	v_mov_b32_e32 v22, v10
	v_cmpx_ne_u32_e32 0x7f, v13
	s_cbranch_execz .LBB249_863
; %bb.860:                              ;   in Loop: Header=BB249_799 Depth=1
	v_mov_b32_e32 v6, 7
	v_lshrrev_b32_e32 v8, 3, v13
	s_mov_b32 s13, exec_lo
	v_and_b32_sdwa v6, v12, v6 dst_sel:DWORD dst_unused:UNUSED_PAD src0_sel:BYTE_3 src1_sel:DWORD
	v_cmpx_gt_u32_e32 8, v13
; %bb.861:                              ;   in Loop: Header=BB249_799 Depth=1
	v_ffbh_u32_e32 v8, v6
	v_min_u32_e32 v8, 32, v8
	v_subrev_nc_u32_e32 v10, 28, v8
	v_sub_nc_u32_e32 v8, 29, v8
	v_lshlrev_b64 v[22:23], v10, v[6:7]
	v_and_b32_e32 v6, 7, v22
; %bb.862:                              ;   in Loop: Header=BB249_799 Depth=1
	s_or_b32 exec_lo, exec_lo, s13
	v_mov_b32_e32 v10, 24
	v_lshlrev_b32_e32 v6, 20, v6
	v_lshl_add_u32 v8, v8, 23, 0x3c000000
	v_mov_b32_e32 v22, v7
	v_lshlrev_b32_sdwa v10, v10, v12 dst_sel:DWORD dst_unused:UNUSED_PAD src0_sel:DWORD src1_sel:BYTE_3
	v_and_b32_e32 v10, 0x80000000, v10
	v_or3_b32 v23, v6, v10, v8
.LBB249_863:                            ;   in Loop: Header=BB249_799 Depth=1
	s_or_b32 exec_lo, exec_lo, s12
.LBB249_864:                            ;   in Loop: Header=BB249_799 Depth=1
	s_or_b32 exec_lo, exec_lo, s11
.LBB249_865:                            ;   in Loop: Header=BB249_799 Depth=1
	s_or_b32 exec_lo, exec_lo, s9
	v_or_b32_e32 v6, v19, v17
	v_or_b32_e32 v8, v18, v16
	;; [unrolled: 1-line block ×4, first 2 shown]
	v_mul_f32_e32 v6, v85, v6
	buffer_store_dword v6, off, s[0:3], s32 offset:240 ; 4-byte Folded Spill
	v_mul_f32_e32 v6, v68, v8
	buffer_store_dword v6, off, s[0:3], s32 offset:248 ; 4-byte Folded Spill
	;; [unrolled: 2-line block ×4, first 2 shown]
	s_and_saveexec_b32 s9, vcc_lo
	s_cbranch_execz .LBB249_867
; %bb.866:                              ;   in Loop: Header=BB249_799 Depth=1
	buffer_load_dword v6, off, s[0:3], s32 offset:248 ; 4-byte Folded Reload
	v_cmp_lt_i32_e64 s4, v103, v102
	s_waitcnt vmcnt(0)
	v_cndmask_b32_e64 v6, 0, v6, s4
	v_cmp_lt_i32_e64 s4, v113, v102
	buffer_store_dword v6, off, s[0:3], s32 offset:248 ; 4-byte Folded Spill
	buffer_load_dword v6, off, s[0:3], s32 offset:240 ; 4-byte Folded Reload
	s_waitcnt vmcnt(0)
	v_cndmask_b32_e64 v6, 0, v6, s4
	v_cmp_lt_i32_e64 s4, v112, v102
	buffer_store_dword v6, off, s[0:3], s32 offset:240 ; 4-byte Folded Spill
	buffer_load_dword v6, off, s[0:3], s32 offset:232 ; 4-byte Folded Reload
	;; [unrolled: 5-line block ×3, first 2 shown]
	s_waitcnt vmcnt(0)
	v_cndmask_b32_e64 v6, 0, v6, s4
	buffer_store_dword v6, off, s[0:3], s32 offset:224 ; 4-byte Folded Spill
.LBB249_867:                            ;   in Loop: Header=BB249_799 Depth=1
	s_or_b32 exec_lo, exec_lo, s9
	flat_load_dword v12, v[4:5] offset:256
	v_mov_b32_e32 v18, 0
	v_mov_b32_e32 v16, 0
	;; [unrolled: 1-line block ×4, first 2 shown]
	s_waitcnt vmcnt(0) lgkmcnt(0)
	v_cmp_ne_u16_sdwa s4, v12, v7 src0_sel:BYTE_0 src1_sel:DWORD
	s_and_saveexec_b32 s9, s4
	s_cbranch_execz .LBB249_875
; %bb.868:                              ;   in Loop: Header=BB249_799 Depth=1
	v_bfrev_b32_e32 v16, 1
	v_mov_b32_e32 v17, 0
	v_cmp_ne_u16_sdwa s4, v12, v70 src0_sel:BYTE_0 src1_sel:DWORD
	s_and_saveexec_b32 s11, s4
	s_cbranch_execz .LBB249_874
; %bb.869:                              ;   in Loop: Header=BB249_799 Depth=1
	v_mov_b32_e32 v16, 0x7f800001
	v_and_b32_e32 v10, 0x7f, v12
	v_mov_b32_e32 v17, 0
	s_mov_b32 s12, exec_lo
	v_cmpx_ne_u32_e32 0x7f, v10
	s_cbranch_execz .LBB249_873
; %bb.870:                              ;   in Loop: Header=BB249_799 Depth=1
	v_and_b32_e32 v6, 7, v12
	v_lshrrev_b32_e32 v8, 3, v10
	s_mov_b32 s13, exec_lo
	v_cmpx_gt_u32_e32 8, v10
; %bb.871:                              ;   in Loop: Header=BB249_799 Depth=1
	v_ffbh_u32_e32 v8, v6
	v_min_u32_e32 v8, 32, v8
	v_subrev_nc_u32_e32 v10, 28, v8
	v_sub_nc_u32_e32 v8, 29, v8
	v_lshlrev_b64 v[16:17], v10, v[6:7]
	v_and_b32_e32 v6, 7, v16
; %bb.872:                              ;   in Loop: Header=BB249_799 Depth=1
	s_or_b32 exec_lo, exec_lo, s13
	v_lshlrev_b32_e32 v10, 24, v12
	v_lshlrev_b32_e32 v6, 20, v6
	v_lshl_add_u32 v8, v8, 23, 0x3c000000
	v_and_b32_e32 v10, 0x80000000, v10
	v_or3_b32 v6, v6, v10, v8
	v_mov_b32_e32 v17, v7
	v_mov_b32_e32 v16, v6
.LBB249_873:                            ;   in Loop: Header=BB249_799 Depth=1
	s_or_b32 exec_lo, exec_lo, s12
.LBB249_874:                            ;   in Loop: Header=BB249_799 Depth=1
	s_or_b32 exec_lo, exec_lo, s11
.LBB249_875:                            ;   in Loop: Header=BB249_799 Depth=1
	s_or_b32 exec_lo, exec_lo, s9
	v_cmp_ne_u16_sdwa s4, v12, v7 src0_sel:BYTE_1 src1_sel:DWORD
	s_and_saveexec_b32 s9, s4
	s_cbranch_execz .LBB249_883
; %bb.876:                              ;   in Loop: Header=BB249_799 Depth=1
	v_mov_b32_e32 v8, v7
	v_mov_b32_e32 v19, v9
	v_cmp_ne_u16_sdwa s4, v12, v70 src0_sel:BYTE_1 src1_sel:DWORD
	v_mov_b32_e32 v18, v8
	s_and_saveexec_b32 s11, s4
	s_cbranch_execz .LBB249_882
; %bb.877:                              ;   in Loop: Header=BB249_799 Depth=1
	v_mov_b32_e32 v6, 0xffff
	v_mov_b32_e32 v10, v7
	;; [unrolled: 1-line block ×3, first 2 shown]
	s_mov_b32 s12, exec_lo
	v_and_b32_sdwa v6, v6, v12 dst_sel:DWORD dst_unused:UNUSED_PAD src0_sel:DWORD src1_sel:BYTE_1
	v_mov_b32_e32 v18, v10
	v_and_b32_e32 v13, 0x7f, v6
	v_cmpx_ne_u32_e32 0x7f, v13
	s_cbranch_execz .LBB249_881
; %bb.878:                              ;   in Loop: Header=BB249_799 Depth=1
	v_and_b32_e32 v6, 7, v6
	v_lshrrev_b32_e32 v8, 3, v13
	s_mov_b32 s13, exec_lo
	v_cmpx_gt_u32_e32 8, v13
; %bb.879:                              ;   in Loop: Header=BB249_799 Depth=1
	v_ffbh_u32_e32 v8, v6
	v_min_u32_e32 v8, 32, v8
	v_subrev_nc_u32_e32 v10, 28, v8
	v_sub_nc_u32_e32 v8, 29, v8
	v_lshlrev_b64 v[18:19], v10, v[6:7]
	v_and_b32_e32 v6, 7, v18
; %bb.880:                              ;   in Loop: Header=BB249_799 Depth=1
	s_or_b32 exec_lo, exec_lo, s13
	v_lshlrev_b32_e32 v10, 16, v12
	v_lshlrev_b32_e32 v6, 20, v6
	v_lshl_add_u32 v8, v8, 23, 0x3c000000
	v_mov_b32_e32 v18, v7
	v_and_b32_e32 v10, 0x80000000, v10
	v_or3_b32 v19, v6, v10, v8
.LBB249_881:                            ;   in Loop: Header=BB249_799 Depth=1
	s_or_b32 exec_lo, exec_lo, s12
.LBB249_882:                            ;   in Loop: Header=BB249_799 Depth=1
	s_or_b32 exec_lo, exec_lo, s11
.LBB249_883:                            ;   in Loop: Header=BB249_799 Depth=1
	s_or_b32 exec_lo, exec_lo, s9
	v_mov_b32_e32 v22, 0
	v_mov_b32_e32 v20, 0
	v_and_b32_sdwa v6, v12, v80 dst_sel:DWORD dst_unused:UNUSED_PAD src0_sel:WORD_1 src1_sel:DWORD
	v_mov_b32_e32 v23, 0
	v_mov_b32_e32 v21, 0
	s_mov_b32 s9, exec_lo
	v_cmpx_ne_u16_e32 0, v6
	s_cbranch_execz .LBB249_891
; %bb.884:                              ;   in Loop: Header=BB249_799 Depth=1
	v_bfrev_b32_e32 v20, 1
	v_mov_b32_e32 v21, 0
	s_mov_b32 s11, exec_lo
	v_cmpx_ne_u16_e32 0x80, v6
	s_cbranch_execz .LBB249_890
; %bb.885:                              ;   in Loop: Header=BB249_799 Depth=1
	v_mov_b32_e32 v20, 0x7f800001
	v_bfe_u32 v10, v12, 16, 7
	v_mov_b32_e32 v21, 0
	s_mov_b32 s12, exec_lo
	v_cmpx_ne_u32_e32 0x7f, v10
	s_cbranch_execz .LBB249_889
; %bb.886:                              ;   in Loop: Header=BB249_799 Depth=1
	v_mov_b32_e32 v6, 7
	v_lshrrev_b32_e32 v8, 3, v10
	s_mov_b32 s13, exec_lo
	v_and_b32_sdwa v6, v12, v6 dst_sel:DWORD dst_unused:UNUSED_PAD src0_sel:WORD_1 src1_sel:DWORD
	v_cmpx_gt_u32_e32 8, v10
; %bb.887:                              ;   in Loop: Header=BB249_799 Depth=1
	v_ffbh_u32_e32 v8, v6
	v_min_u32_e32 v8, 32, v8
	v_subrev_nc_u32_e32 v10, 28, v8
	v_sub_nc_u32_e32 v8, 29, v8
	v_lshlrev_b64 v[20:21], v10, v[6:7]
	v_and_b32_e32 v6, 7, v20
; %bb.888:                              ;   in Loop: Header=BB249_799 Depth=1
	s_or_b32 exec_lo, exec_lo, s13
	v_mov_b32_e32 v10, 24
	v_lshlrev_b32_e32 v6, 20, v6
	v_lshl_add_u32 v8, v8, 23, 0x3c000000
	v_lshlrev_b32_sdwa v10, v10, v12 dst_sel:DWORD dst_unused:UNUSED_PAD src0_sel:DWORD src1_sel:WORD_1
	v_and_b32_e32 v10, 0x80000000, v10
	v_or3_b32 v6, v6, v10, v8
	v_mov_b32_e32 v21, v7
	v_mov_b32_e32 v20, v6
.LBB249_889:                            ;   in Loop: Header=BB249_799 Depth=1
	s_or_b32 exec_lo, exec_lo, s12
.LBB249_890:                            ;   in Loop: Header=BB249_799 Depth=1
	s_or_b32 exec_lo, exec_lo, s11
.LBB249_891:                            ;   in Loop: Header=BB249_799 Depth=1
	s_or_b32 exec_lo, exec_lo, s9
	s_mov_b32 s9, exec_lo
	v_cmpx_lt_u32_e32 0xffffff, v12
	s_cbranch_execz .LBB249_899
; %bb.892:                              ;   in Loop: Header=BB249_799 Depth=1
	v_mov_b32_e32 v8, v7
	v_mov_b32_e32 v23, v9
	v_cmp_ne_u32_sdwa s4, v12, v70 src0_sel:BYTE_3 src1_sel:DWORD
	v_mov_b32_e32 v22, v8
	s_and_saveexec_b32 s11, s4
	s_cbranch_execz .LBB249_898
; %bb.893:                              ;   in Loop: Header=BB249_799 Depth=1
	v_mov_b32_e32 v10, v7
	v_mov_b32_e32 v23, v11
	v_bfe_u32 v13, v12, 24, 7
	s_mov_b32 s12, exec_lo
	v_mov_b32_e32 v22, v10
	v_cmpx_ne_u32_e32 0x7f, v13
	s_cbranch_execz .LBB249_897
; %bb.894:                              ;   in Loop: Header=BB249_799 Depth=1
	v_mov_b32_e32 v6, 7
	v_lshrrev_b32_e32 v8, 3, v13
	s_mov_b32 s13, exec_lo
	v_and_b32_sdwa v6, v12, v6 dst_sel:DWORD dst_unused:UNUSED_PAD src0_sel:BYTE_3 src1_sel:DWORD
	v_cmpx_gt_u32_e32 8, v13
; %bb.895:                              ;   in Loop: Header=BB249_799 Depth=1
	v_ffbh_u32_e32 v8, v6
	v_min_u32_e32 v8, 32, v8
	v_subrev_nc_u32_e32 v10, 28, v8
	v_sub_nc_u32_e32 v8, 29, v8
	v_lshlrev_b64 v[22:23], v10, v[6:7]
	v_and_b32_e32 v6, 7, v22
; %bb.896:                              ;   in Loop: Header=BB249_799 Depth=1
	s_or_b32 exec_lo, exec_lo, s13
	v_mov_b32_e32 v10, 24
	v_lshlrev_b32_e32 v6, 20, v6
	v_lshl_add_u32 v8, v8, 23, 0x3c000000
	v_mov_b32_e32 v22, v7
	v_lshlrev_b32_sdwa v10, v10, v12 dst_sel:DWORD dst_unused:UNUSED_PAD src0_sel:DWORD src1_sel:BYTE_3
	v_and_b32_e32 v10, 0x80000000, v10
	v_or3_b32 v23, v6, v10, v8
.LBB249_897:                            ;   in Loop: Header=BB249_799 Depth=1
	s_or_b32 exec_lo, exec_lo, s12
.LBB249_898:                            ;   in Loop: Header=BB249_799 Depth=1
	s_or_b32 exec_lo, exec_lo, s11
.LBB249_899:                            ;   in Loop: Header=BB249_799 Depth=1
	s_or_b32 exec_lo, exec_lo, s9
	v_or_b32_e32 v6, v19, v17
	v_or_b32_e32 v8, v18, v16
	;; [unrolled: 1-line block ×4, first 2 shown]
	v_mul_f32_e32 v6, v85, v6
	buffer_store_dword v6, off, s[0:3], s32 offset:272 ; 4-byte Folded Spill
	v_mul_f32_e32 v6, v68, v8
	buffer_store_dword v6, off, s[0:3], s32 offset:280 ; 4-byte Folded Spill
	;; [unrolled: 2-line block ×4, first 2 shown]
	s_and_saveexec_b32 s9, vcc_lo
	s_cbranch_execz .LBB249_901
; %bb.900:                              ;   in Loop: Header=BB249_799 Depth=1
	buffer_load_dword v6, off, s[0:3], s32 offset:280 ; 4-byte Folded Reload
	v_cmp_lt_i32_e64 s4, v103, v102
	s_waitcnt vmcnt(0)
	v_cndmask_b32_e64 v6, 0, v6, s4
	v_cmp_lt_i32_e64 s4, v113, v102
	buffer_store_dword v6, off, s[0:3], s32 offset:280 ; 4-byte Folded Spill
	buffer_load_dword v6, off, s[0:3], s32 offset:272 ; 4-byte Folded Reload
	s_waitcnt vmcnt(0)
	v_cndmask_b32_e64 v6, 0, v6, s4
	v_cmp_lt_i32_e64 s4, v112, v102
	buffer_store_dword v6, off, s[0:3], s32 offset:272 ; 4-byte Folded Spill
	buffer_load_dword v6, off, s[0:3], s32 offset:264 ; 4-byte Folded Reload
	;; [unrolled: 5-line block ×3, first 2 shown]
	s_waitcnt vmcnt(0)
	v_cndmask_b32_e64 v6, 0, v6, s4
	buffer_store_dword v6, off, s[0:3], s32 offset:256 ; 4-byte Folded Spill
.LBB249_901:                            ;   in Loop: Header=BB249_799 Depth=1
	s_or_b32 exec_lo, exec_lo, s9
	flat_load_dword v12, v[4:5] offset:384
	v_mov_b32_e32 v18, 0
	v_mov_b32_e32 v16, 0
	;; [unrolled: 1-line block ×4, first 2 shown]
	s_waitcnt vmcnt(0) lgkmcnt(0)
	v_cmp_ne_u16_sdwa s4, v12, v7 src0_sel:BYTE_0 src1_sel:DWORD
	s_and_saveexec_b32 s9, s4
	s_cbranch_execz .LBB249_909
; %bb.902:                              ;   in Loop: Header=BB249_799 Depth=1
	v_bfrev_b32_e32 v16, 1
	v_mov_b32_e32 v17, 0
	v_cmp_ne_u16_sdwa s4, v12, v70 src0_sel:BYTE_0 src1_sel:DWORD
	s_and_saveexec_b32 s11, s4
	s_cbranch_execz .LBB249_908
; %bb.903:                              ;   in Loop: Header=BB249_799 Depth=1
	v_mov_b32_e32 v16, 0x7f800001
	v_and_b32_e32 v10, 0x7f, v12
	v_mov_b32_e32 v17, 0
	s_mov_b32 s12, exec_lo
	v_cmpx_ne_u32_e32 0x7f, v10
	s_cbranch_execz .LBB249_907
; %bb.904:                              ;   in Loop: Header=BB249_799 Depth=1
	v_and_b32_e32 v6, 7, v12
	v_lshrrev_b32_e32 v8, 3, v10
	s_mov_b32 s13, exec_lo
	v_cmpx_gt_u32_e32 8, v10
; %bb.905:                              ;   in Loop: Header=BB249_799 Depth=1
	v_ffbh_u32_e32 v8, v6
	v_min_u32_e32 v8, 32, v8
	v_subrev_nc_u32_e32 v10, 28, v8
	v_sub_nc_u32_e32 v8, 29, v8
	v_lshlrev_b64 v[16:17], v10, v[6:7]
	v_and_b32_e32 v6, 7, v16
; %bb.906:                              ;   in Loop: Header=BB249_799 Depth=1
	s_or_b32 exec_lo, exec_lo, s13
	v_lshlrev_b32_e32 v10, 24, v12
	v_lshlrev_b32_e32 v6, 20, v6
	v_lshl_add_u32 v8, v8, 23, 0x3c000000
	v_and_b32_e32 v10, 0x80000000, v10
	v_or3_b32 v6, v6, v10, v8
	v_mov_b32_e32 v17, v7
	v_mov_b32_e32 v16, v6
.LBB249_907:                            ;   in Loop: Header=BB249_799 Depth=1
	s_or_b32 exec_lo, exec_lo, s12
.LBB249_908:                            ;   in Loop: Header=BB249_799 Depth=1
	s_or_b32 exec_lo, exec_lo, s11
.LBB249_909:                            ;   in Loop: Header=BB249_799 Depth=1
	s_or_b32 exec_lo, exec_lo, s9
	v_cmp_ne_u16_sdwa s4, v12, v7 src0_sel:BYTE_1 src1_sel:DWORD
	s_and_saveexec_b32 s9, s4
	s_cbranch_execz .LBB249_917
; %bb.910:                              ;   in Loop: Header=BB249_799 Depth=1
	v_mov_b32_e32 v8, v7
	v_mov_b32_e32 v19, v9
	v_cmp_ne_u16_sdwa s4, v12, v70 src0_sel:BYTE_1 src1_sel:DWORD
	v_mov_b32_e32 v18, v8
	s_and_saveexec_b32 s11, s4
	s_cbranch_execz .LBB249_916
; %bb.911:                              ;   in Loop: Header=BB249_799 Depth=1
	v_mov_b32_e32 v6, 0xffff
	v_mov_b32_e32 v10, v7
	;; [unrolled: 1-line block ×3, first 2 shown]
	s_mov_b32 s12, exec_lo
	v_and_b32_sdwa v6, v6, v12 dst_sel:DWORD dst_unused:UNUSED_PAD src0_sel:DWORD src1_sel:BYTE_1
	v_mov_b32_e32 v18, v10
	v_and_b32_e32 v13, 0x7f, v6
	v_cmpx_ne_u32_e32 0x7f, v13
	s_cbranch_execz .LBB249_915
; %bb.912:                              ;   in Loop: Header=BB249_799 Depth=1
	v_and_b32_e32 v6, 7, v6
	v_lshrrev_b32_e32 v8, 3, v13
	s_mov_b32 s13, exec_lo
	v_cmpx_gt_u32_e32 8, v13
; %bb.913:                              ;   in Loop: Header=BB249_799 Depth=1
	v_ffbh_u32_e32 v8, v6
	v_min_u32_e32 v8, 32, v8
	v_subrev_nc_u32_e32 v10, 28, v8
	v_sub_nc_u32_e32 v8, 29, v8
	v_lshlrev_b64 v[18:19], v10, v[6:7]
	v_and_b32_e32 v6, 7, v18
; %bb.914:                              ;   in Loop: Header=BB249_799 Depth=1
	s_or_b32 exec_lo, exec_lo, s13
	v_lshlrev_b32_e32 v10, 16, v12
	v_lshlrev_b32_e32 v6, 20, v6
	v_lshl_add_u32 v8, v8, 23, 0x3c000000
	v_mov_b32_e32 v18, v7
	v_and_b32_e32 v10, 0x80000000, v10
	v_or3_b32 v19, v6, v10, v8
.LBB249_915:                            ;   in Loop: Header=BB249_799 Depth=1
	s_or_b32 exec_lo, exec_lo, s12
.LBB249_916:                            ;   in Loop: Header=BB249_799 Depth=1
	s_or_b32 exec_lo, exec_lo, s11
.LBB249_917:                            ;   in Loop: Header=BB249_799 Depth=1
	s_or_b32 exec_lo, exec_lo, s9
	v_mov_b32_e32 v22, 0
	v_mov_b32_e32 v20, 0
	v_and_b32_sdwa v6, v12, v80 dst_sel:DWORD dst_unused:UNUSED_PAD src0_sel:WORD_1 src1_sel:DWORD
	v_mov_b32_e32 v23, 0
	v_mov_b32_e32 v21, 0
	s_mov_b32 s9, exec_lo
	v_cmpx_ne_u16_e32 0, v6
	s_cbranch_execz .LBB249_925
; %bb.918:                              ;   in Loop: Header=BB249_799 Depth=1
	v_bfrev_b32_e32 v20, 1
	v_mov_b32_e32 v21, 0
	s_mov_b32 s11, exec_lo
	v_cmpx_ne_u16_e32 0x80, v6
	s_cbranch_execz .LBB249_924
; %bb.919:                              ;   in Loop: Header=BB249_799 Depth=1
	v_mov_b32_e32 v20, 0x7f800001
	v_bfe_u32 v10, v12, 16, 7
	v_mov_b32_e32 v21, 0
	s_mov_b32 s12, exec_lo
	v_cmpx_ne_u32_e32 0x7f, v10
	s_cbranch_execz .LBB249_923
; %bb.920:                              ;   in Loop: Header=BB249_799 Depth=1
	v_mov_b32_e32 v6, 7
	v_lshrrev_b32_e32 v8, 3, v10
	s_mov_b32 s13, exec_lo
	v_and_b32_sdwa v6, v12, v6 dst_sel:DWORD dst_unused:UNUSED_PAD src0_sel:WORD_1 src1_sel:DWORD
	v_cmpx_gt_u32_e32 8, v10
; %bb.921:                              ;   in Loop: Header=BB249_799 Depth=1
	v_ffbh_u32_e32 v8, v6
	v_min_u32_e32 v8, 32, v8
	v_subrev_nc_u32_e32 v10, 28, v8
	v_sub_nc_u32_e32 v8, 29, v8
	v_lshlrev_b64 v[20:21], v10, v[6:7]
	v_and_b32_e32 v6, 7, v20
; %bb.922:                              ;   in Loop: Header=BB249_799 Depth=1
	s_or_b32 exec_lo, exec_lo, s13
	v_mov_b32_e32 v10, 24
	v_lshlrev_b32_e32 v6, 20, v6
	v_lshl_add_u32 v8, v8, 23, 0x3c000000
	v_lshlrev_b32_sdwa v10, v10, v12 dst_sel:DWORD dst_unused:UNUSED_PAD src0_sel:DWORD src1_sel:WORD_1
	v_and_b32_e32 v10, 0x80000000, v10
	v_or3_b32 v6, v6, v10, v8
	v_mov_b32_e32 v21, v7
	v_mov_b32_e32 v20, v6
.LBB249_923:                            ;   in Loop: Header=BB249_799 Depth=1
	s_or_b32 exec_lo, exec_lo, s12
.LBB249_924:                            ;   in Loop: Header=BB249_799 Depth=1
	s_or_b32 exec_lo, exec_lo, s11
.LBB249_925:                            ;   in Loop: Header=BB249_799 Depth=1
	s_or_b32 exec_lo, exec_lo, s9
	s_mov_b32 s9, exec_lo
	v_cmpx_lt_u32_e32 0xffffff, v12
	s_cbranch_execz .LBB249_933
; %bb.926:                              ;   in Loop: Header=BB249_799 Depth=1
	v_mov_b32_e32 v8, v7
	v_mov_b32_e32 v23, v9
	v_cmp_ne_u32_sdwa s4, v12, v70 src0_sel:BYTE_3 src1_sel:DWORD
	v_mov_b32_e32 v22, v8
	s_and_saveexec_b32 s11, s4
	s_cbranch_execz .LBB249_932
; %bb.927:                              ;   in Loop: Header=BB249_799 Depth=1
	v_mov_b32_e32 v10, v7
	v_mov_b32_e32 v23, v11
	v_bfe_u32 v13, v12, 24, 7
	s_mov_b32 s12, exec_lo
	v_mov_b32_e32 v22, v10
	v_cmpx_ne_u32_e32 0x7f, v13
	s_cbranch_execz .LBB249_931
; %bb.928:                              ;   in Loop: Header=BB249_799 Depth=1
	v_mov_b32_e32 v6, 7
	v_lshrrev_b32_e32 v8, 3, v13
	s_mov_b32 s13, exec_lo
	v_and_b32_sdwa v6, v12, v6 dst_sel:DWORD dst_unused:UNUSED_PAD src0_sel:BYTE_3 src1_sel:DWORD
	v_cmpx_gt_u32_e32 8, v13
; %bb.929:                              ;   in Loop: Header=BB249_799 Depth=1
	v_ffbh_u32_e32 v8, v6
	v_min_u32_e32 v8, 32, v8
	v_subrev_nc_u32_e32 v10, 28, v8
	v_sub_nc_u32_e32 v8, 29, v8
	v_lshlrev_b64 v[22:23], v10, v[6:7]
	v_and_b32_e32 v6, 7, v22
; %bb.930:                              ;   in Loop: Header=BB249_799 Depth=1
	s_or_b32 exec_lo, exec_lo, s13
	v_mov_b32_e32 v10, 24
	v_lshlrev_b32_e32 v6, 20, v6
	v_lshl_add_u32 v8, v8, 23, 0x3c000000
	v_mov_b32_e32 v22, v7
	v_lshlrev_b32_sdwa v10, v10, v12 dst_sel:DWORD dst_unused:UNUSED_PAD src0_sel:DWORD src1_sel:BYTE_3
	v_and_b32_e32 v10, 0x80000000, v10
	v_or3_b32 v23, v6, v10, v8
.LBB249_931:                            ;   in Loop: Header=BB249_799 Depth=1
	s_or_b32 exec_lo, exec_lo, s12
.LBB249_932:                            ;   in Loop: Header=BB249_799 Depth=1
	s_or_b32 exec_lo, exec_lo, s11
.LBB249_933:                            ;   in Loop: Header=BB249_799 Depth=1
	s_or_b32 exec_lo, exec_lo, s9
	v_or_b32_e32 v6, v19, v17
	v_or_b32_e32 v8, v18, v16
	;; [unrolled: 1-line block ×4, first 2 shown]
	v_mul_f32_e32 v6, v85, v6
	buffer_store_dword v6, off, s[0:3], s32 offset:312 ; 4-byte Folded Spill
	v_mul_f32_e32 v6, v68, v8
	buffer_store_dword v6, off, s[0:3], s32 offset:304 ; 4-byte Folded Spill
	;; [unrolled: 2-line block ×4, first 2 shown]
	s_and_saveexec_b32 s9, vcc_lo
	s_cbranch_execz .LBB249_935
; %bb.934:                              ;   in Loop: Header=BB249_799 Depth=1
	buffer_load_dword v6, off, s[0:3], s32 offset:304 ; 4-byte Folded Reload
	v_cmp_lt_i32_e64 s4, v103, v102
	s_waitcnt vmcnt(0)
	v_cndmask_b32_e64 v6, 0, v6, s4
	v_cmp_lt_i32_e64 s4, v113, v102
	buffer_store_dword v6, off, s[0:3], s32 offset:304 ; 4-byte Folded Spill
	buffer_load_dword v6, off, s[0:3], s32 offset:312 ; 4-byte Folded Reload
	s_waitcnt vmcnt(0)
	v_cndmask_b32_e64 v6, 0, v6, s4
	v_cmp_lt_i32_e64 s4, v112, v102
	buffer_store_dword v6, off, s[0:3], s32 offset:312 ; 4-byte Folded Spill
	buffer_load_dword v6, off, s[0:3], s32 offset:296 ; 4-byte Folded Reload
	;; [unrolled: 5-line block ×3, first 2 shown]
	s_waitcnt vmcnt(0)
	v_cndmask_b32_e64 v6, 0, v6, s4
	buffer_store_dword v6, off, s[0:3], s32 offset:288 ; 4-byte Folded Spill
.LBB249_935:                            ;   in Loop: Header=BB249_799 Depth=1
	s_or_b32 exec_lo, exec_lo, s9
	flat_load_dword v12, v[4:5] offset:512
	v_mov_b32_e32 v18, 0
	v_mov_b32_e32 v16, 0
	;; [unrolled: 1-line block ×4, first 2 shown]
	s_waitcnt vmcnt(0) lgkmcnt(0)
	v_cmp_ne_u16_sdwa s4, v12, v7 src0_sel:BYTE_0 src1_sel:DWORD
	s_and_saveexec_b32 s9, s4
	s_cbranch_execz .LBB249_943
; %bb.936:                              ;   in Loop: Header=BB249_799 Depth=1
	v_bfrev_b32_e32 v16, 1
	v_mov_b32_e32 v17, 0
	v_cmp_ne_u16_sdwa s4, v12, v70 src0_sel:BYTE_0 src1_sel:DWORD
	s_and_saveexec_b32 s11, s4
	s_cbranch_execz .LBB249_942
; %bb.937:                              ;   in Loop: Header=BB249_799 Depth=1
	v_mov_b32_e32 v16, 0x7f800001
	v_and_b32_e32 v10, 0x7f, v12
	v_mov_b32_e32 v17, 0
	s_mov_b32 s12, exec_lo
	v_cmpx_ne_u32_e32 0x7f, v10
	s_cbranch_execz .LBB249_941
; %bb.938:                              ;   in Loop: Header=BB249_799 Depth=1
	v_and_b32_e32 v6, 7, v12
	v_lshrrev_b32_e32 v8, 3, v10
	s_mov_b32 s13, exec_lo
	v_cmpx_gt_u32_e32 8, v10
; %bb.939:                              ;   in Loop: Header=BB249_799 Depth=1
	v_ffbh_u32_e32 v8, v6
	v_min_u32_e32 v8, 32, v8
	v_subrev_nc_u32_e32 v10, 28, v8
	v_sub_nc_u32_e32 v8, 29, v8
	v_lshlrev_b64 v[16:17], v10, v[6:7]
	v_and_b32_e32 v6, 7, v16
; %bb.940:                              ;   in Loop: Header=BB249_799 Depth=1
	s_or_b32 exec_lo, exec_lo, s13
	v_lshlrev_b32_e32 v10, 24, v12
	v_lshlrev_b32_e32 v6, 20, v6
	v_lshl_add_u32 v8, v8, 23, 0x3c000000
	v_and_b32_e32 v10, 0x80000000, v10
	v_or3_b32 v6, v6, v10, v8
	v_mov_b32_e32 v17, v7
	v_mov_b32_e32 v16, v6
.LBB249_941:                            ;   in Loop: Header=BB249_799 Depth=1
	s_or_b32 exec_lo, exec_lo, s12
.LBB249_942:                            ;   in Loop: Header=BB249_799 Depth=1
	s_or_b32 exec_lo, exec_lo, s11
.LBB249_943:                            ;   in Loop: Header=BB249_799 Depth=1
	s_or_b32 exec_lo, exec_lo, s9
	v_cmp_ne_u16_sdwa s4, v12, v7 src0_sel:BYTE_1 src1_sel:DWORD
	s_and_saveexec_b32 s9, s4
	s_cbranch_execz .LBB249_951
; %bb.944:                              ;   in Loop: Header=BB249_799 Depth=1
	v_mov_b32_e32 v8, v7
	v_mov_b32_e32 v19, v9
	v_cmp_ne_u16_sdwa s4, v12, v70 src0_sel:BYTE_1 src1_sel:DWORD
	v_mov_b32_e32 v18, v8
	s_and_saveexec_b32 s11, s4
	s_cbranch_execz .LBB249_950
; %bb.945:                              ;   in Loop: Header=BB249_799 Depth=1
	v_mov_b32_e32 v6, 0xffff
	v_mov_b32_e32 v10, v7
	;; [unrolled: 1-line block ×3, first 2 shown]
	s_mov_b32 s12, exec_lo
	v_and_b32_sdwa v6, v6, v12 dst_sel:DWORD dst_unused:UNUSED_PAD src0_sel:DWORD src1_sel:BYTE_1
	v_mov_b32_e32 v18, v10
	v_and_b32_e32 v13, 0x7f, v6
	v_cmpx_ne_u32_e32 0x7f, v13
	s_cbranch_execz .LBB249_949
; %bb.946:                              ;   in Loop: Header=BB249_799 Depth=1
	v_and_b32_e32 v6, 7, v6
	v_lshrrev_b32_e32 v8, 3, v13
	s_mov_b32 s13, exec_lo
	v_cmpx_gt_u32_e32 8, v13
; %bb.947:                              ;   in Loop: Header=BB249_799 Depth=1
	v_ffbh_u32_e32 v8, v6
	v_min_u32_e32 v8, 32, v8
	v_subrev_nc_u32_e32 v10, 28, v8
	v_sub_nc_u32_e32 v8, 29, v8
	v_lshlrev_b64 v[18:19], v10, v[6:7]
	v_and_b32_e32 v6, 7, v18
; %bb.948:                              ;   in Loop: Header=BB249_799 Depth=1
	s_or_b32 exec_lo, exec_lo, s13
	v_lshlrev_b32_e32 v10, 16, v12
	v_lshlrev_b32_e32 v6, 20, v6
	v_lshl_add_u32 v8, v8, 23, 0x3c000000
	v_mov_b32_e32 v18, v7
	v_and_b32_e32 v10, 0x80000000, v10
	v_or3_b32 v19, v6, v10, v8
.LBB249_949:                            ;   in Loop: Header=BB249_799 Depth=1
	s_or_b32 exec_lo, exec_lo, s12
.LBB249_950:                            ;   in Loop: Header=BB249_799 Depth=1
	s_or_b32 exec_lo, exec_lo, s11
.LBB249_951:                            ;   in Loop: Header=BB249_799 Depth=1
	s_or_b32 exec_lo, exec_lo, s9
	v_mov_b32_e32 v22, 0
	v_mov_b32_e32 v20, 0
	v_and_b32_sdwa v6, v12, v80 dst_sel:DWORD dst_unused:UNUSED_PAD src0_sel:WORD_1 src1_sel:DWORD
	v_mov_b32_e32 v23, 0
	v_mov_b32_e32 v21, 0
	s_mov_b32 s9, exec_lo
	v_cmpx_ne_u16_e32 0, v6
	s_cbranch_execz .LBB249_959
; %bb.952:                              ;   in Loop: Header=BB249_799 Depth=1
	v_bfrev_b32_e32 v20, 1
	v_mov_b32_e32 v21, 0
	s_mov_b32 s11, exec_lo
	v_cmpx_ne_u16_e32 0x80, v6
	s_cbranch_execz .LBB249_958
; %bb.953:                              ;   in Loop: Header=BB249_799 Depth=1
	v_mov_b32_e32 v20, 0x7f800001
	v_bfe_u32 v10, v12, 16, 7
	v_mov_b32_e32 v21, 0
	s_mov_b32 s12, exec_lo
	v_cmpx_ne_u32_e32 0x7f, v10
	s_cbranch_execz .LBB249_957
; %bb.954:                              ;   in Loop: Header=BB249_799 Depth=1
	v_mov_b32_e32 v6, 7
	v_lshrrev_b32_e32 v8, 3, v10
	s_mov_b32 s13, exec_lo
	v_and_b32_sdwa v6, v12, v6 dst_sel:DWORD dst_unused:UNUSED_PAD src0_sel:WORD_1 src1_sel:DWORD
	v_cmpx_gt_u32_e32 8, v10
; %bb.955:                              ;   in Loop: Header=BB249_799 Depth=1
	v_ffbh_u32_e32 v8, v6
	v_min_u32_e32 v8, 32, v8
	v_subrev_nc_u32_e32 v10, 28, v8
	v_sub_nc_u32_e32 v8, 29, v8
	v_lshlrev_b64 v[20:21], v10, v[6:7]
	v_and_b32_e32 v6, 7, v20
; %bb.956:                              ;   in Loop: Header=BB249_799 Depth=1
	s_or_b32 exec_lo, exec_lo, s13
	v_mov_b32_e32 v10, 24
	v_lshlrev_b32_e32 v6, 20, v6
	v_lshl_add_u32 v8, v8, 23, 0x3c000000
	v_lshlrev_b32_sdwa v10, v10, v12 dst_sel:DWORD dst_unused:UNUSED_PAD src0_sel:DWORD src1_sel:WORD_1
	v_and_b32_e32 v10, 0x80000000, v10
	v_or3_b32 v6, v6, v10, v8
	v_mov_b32_e32 v21, v7
	v_mov_b32_e32 v20, v6
.LBB249_957:                            ;   in Loop: Header=BB249_799 Depth=1
	s_or_b32 exec_lo, exec_lo, s12
.LBB249_958:                            ;   in Loop: Header=BB249_799 Depth=1
	s_or_b32 exec_lo, exec_lo, s11
.LBB249_959:                            ;   in Loop: Header=BB249_799 Depth=1
	s_or_b32 exec_lo, exec_lo, s9
	s_mov_b32 s9, exec_lo
	v_cmpx_lt_u32_e32 0xffffff, v12
	s_cbranch_execz .LBB249_967
; %bb.960:                              ;   in Loop: Header=BB249_799 Depth=1
	v_mov_b32_e32 v8, v7
	v_mov_b32_e32 v23, v9
	v_cmp_ne_u32_sdwa s4, v12, v70 src0_sel:BYTE_3 src1_sel:DWORD
	v_mov_b32_e32 v22, v8
	s_and_saveexec_b32 s11, s4
	s_cbranch_execz .LBB249_966
; %bb.961:                              ;   in Loop: Header=BB249_799 Depth=1
	v_mov_b32_e32 v10, v7
	v_mov_b32_e32 v23, v11
	v_bfe_u32 v13, v12, 24, 7
	s_mov_b32 s12, exec_lo
	v_mov_b32_e32 v22, v10
	v_cmpx_ne_u32_e32 0x7f, v13
	s_cbranch_execz .LBB249_965
; %bb.962:                              ;   in Loop: Header=BB249_799 Depth=1
	v_mov_b32_e32 v6, 7
	v_lshrrev_b32_e32 v8, 3, v13
	s_mov_b32 s13, exec_lo
	v_and_b32_sdwa v6, v12, v6 dst_sel:DWORD dst_unused:UNUSED_PAD src0_sel:BYTE_3 src1_sel:DWORD
	v_cmpx_gt_u32_e32 8, v13
; %bb.963:                              ;   in Loop: Header=BB249_799 Depth=1
	v_ffbh_u32_e32 v8, v6
	v_min_u32_e32 v8, 32, v8
	v_subrev_nc_u32_e32 v10, 28, v8
	v_sub_nc_u32_e32 v8, 29, v8
	v_lshlrev_b64 v[22:23], v10, v[6:7]
	v_and_b32_e32 v6, 7, v22
; %bb.964:                              ;   in Loop: Header=BB249_799 Depth=1
	s_or_b32 exec_lo, exec_lo, s13
	v_mov_b32_e32 v10, 24
	v_lshlrev_b32_e32 v6, 20, v6
	v_lshl_add_u32 v8, v8, 23, 0x3c000000
	v_mov_b32_e32 v22, v7
	v_lshlrev_b32_sdwa v10, v10, v12 dst_sel:DWORD dst_unused:UNUSED_PAD src0_sel:DWORD src1_sel:BYTE_3
	v_and_b32_e32 v10, 0x80000000, v10
	v_or3_b32 v23, v6, v10, v8
.LBB249_965:                            ;   in Loop: Header=BB249_799 Depth=1
	s_or_b32 exec_lo, exec_lo, s12
.LBB249_966:                            ;   in Loop: Header=BB249_799 Depth=1
	s_or_b32 exec_lo, exec_lo, s11
.LBB249_967:                            ;   in Loop: Header=BB249_799 Depth=1
	s_or_b32 exec_lo, exec_lo, s9
	v_or_b32_e32 v6, v19, v17
	v_or_b32_e32 v8, v18, v16
	;; [unrolled: 1-line block ×4, first 2 shown]
	v_mul_f32_e32 v6, v85, v6
	buffer_store_dword v6, off, s[0:3], s32 offset:344 ; 4-byte Folded Spill
	v_mul_f32_e32 v6, v68, v8
	buffer_store_dword v6, off, s[0:3], s32 offset:336 ; 4-byte Folded Spill
	;; [unrolled: 2-line block ×4, first 2 shown]
	s_and_saveexec_b32 s9, vcc_lo
	s_cbranch_execz .LBB249_969
; %bb.968:                              ;   in Loop: Header=BB249_799 Depth=1
	buffer_load_dword v6, off, s[0:3], s32 offset:336 ; 4-byte Folded Reload
	v_cmp_lt_i32_e64 s4, v103, v102
	s_waitcnt vmcnt(0)
	v_cndmask_b32_e64 v6, 0, v6, s4
	v_cmp_lt_i32_e64 s4, v113, v102
	buffer_store_dword v6, off, s[0:3], s32 offset:336 ; 4-byte Folded Spill
	buffer_load_dword v6, off, s[0:3], s32 offset:344 ; 4-byte Folded Reload
	s_waitcnt vmcnt(0)
	v_cndmask_b32_e64 v6, 0, v6, s4
	v_cmp_lt_i32_e64 s4, v112, v102
	buffer_store_dword v6, off, s[0:3], s32 offset:344 ; 4-byte Folded Spill
	buffer_load_dword v6, off, s[0:3], s32 offset:328 ; 4-byte Folded Reload
	;; [unrolled: 5-line block ×3, first 2 shown]
	s_waitcnt vmcnt(0)
	v_cndmask_b32_e64 v6, 0, v6, s4
	buffer_store_dword v6, off, s[0:3], s32 offset:320 ; 4-byte Folded Spill
.LBB249_969:                            ;   in Loop: Header=BB249_799 Depth=1
	s_or_b32 exec_lo, exec_lo, s9
	flat_load_dword v12, v[4:5] offset:640
	v_mov_b32_e32 v18, 0
	v_mov_b32_e32 v16, 0
	;; [unrolled: 1-line block ×4, first 2 shown]
	s_waitcnt vmcnt(0) lgkmcnt(0)
	v_cmp_ne_u16_sdwa s4, v12, v7 src0_sel:BYTE_0 src1_sel:DWORD
	s_and_saveexec_b32 s9, s4
	s_cbranch_execz .LBB249_977
; %bb.970:                              ;   in Loop: Header=BB249_799 Depth=1
	v_bfrev_b32_e32 v16, 1
	v_mov_b32_e32 v17, 0
	v_cmp_ne_u16_sdwa s4, v12, v70 src0_sel:BYTE_0 src1_sel:DWORD
	s_and_saveexec_b32 s11, s4
	s_cbranch_execz .LBB249_976
; %bb.971:                              ;   in Loop: Header=BB249_799 Depth=1
	v_mov_b32_e32 v16, 0x7f800001
	v_and_b32_e32 v10, 0x7f, v12
	v_mov_b32_e32 v17, 0
	s_mov_b32 s12, exec_lo
	v_cmpx_ne_u32_e32 0x7f, v10
	s_cbranch_execz .LBB249_975
; %bb.972:                              ;   in Loop: Header=BB249_799 Depth=1
	v_and_b32_e32 v6, 7, v12
	v_lshrrev_b32_e32 v8, 3, v10
	s_mov_b32 s13, exec_lo
	v_cmpx_gt_u32_e32 8, v10
; %bb.973:                              ;   in Loop: Header=BB249_799 Depth=1
	v_ffbh_u32_e32 v8, v6
	v_min_u32_e32 v8, 32, v8
	v_subrev_nc_u32_e32 v10, 28, v8
	v_sub_nc_u32_e32 v8, 29, v8
	v_lshlrev_b64 v[16:17], v10, v[6:7]
	v_and_b32_e32 v6, 7, v16
; %bb.974:                              ;   in Loop: Header=BB249_799 Depth=1
	s_or_b32 exec_lo, exec_lo, s13
	v_lshlrev_b32_e32 v10, 24, v12
	v_lshlrev_b32_e32 v6, 20, v6
	v_lshl_add_u32 v8, v8, 23, 0x3c000000
	v_and_b32_e32 v10, 0x80000000, v10
	v_or3_b32 v6, v6, v10, v8
	v_mov_b32_e32 v17, v7
	v_mov_b32_e32 v16, v6
.LBB249_975:                            ;   in Loop: Header=BB249_799 Depth=1
	s_or_b32 exec_lo, exec_lo, s12
.LBB249_976:                            ;   in Loop: Header=BB249_799 Depth=1
	s_or_b32 exec_lo, exec_lo, s11
.LBB249_977:                            ;   in Loop: Header=BB249_799 Depth=1
	s_or_b32 exec_lo, exec_lo, s9
	v_cmp_ne_u16_sdwa s4, v12, v7 src0_sel:BYTE_1 src1_sel:DWORD
	s_and_saveexec_b32 s9, s4
	s_cbranch_execz .LBB249_985
; %bb.978:                              ;   in Loop: Header=BB249_799 Depth=1
	v_mov_b32_e32 v8, v7
	v_mov_b32_e32 v19, v9
	v_cmp_ne_u16_sdwa s4, v12, v70 src0_sel:BYTE_1 src1_sel:DWORD
	v_mov_b32_e32 v18, v8
	s_and_saveexec_b32 s11, s4
	s_cbranch_execz .LBB249_984
; %bb.979:                              ;   in Loop: Header=BB249_799 Depth=1
	v_mov_b32_e32 v6, 0xffff
	v_mov_b32_e32 v10, v7
	;; [unrolled: 1-line block ×3, first 2 shown]
	s_mov_b32 s12, exec_lo
	v_and_b32_sdwa v6, v6, v12 dst_sel:DWORD dst_unused:UNUSED_PAD src0_sel:DWORD src1_sel:BYTE_1
	v_mov_b32_e32 v18, v10
	v_and_b32_e32 v13, 0x7f, v6
	v_cmpx_ne_u32_e32 0x7f, v13
	s_cbranch_execz .LBB249_983
; %bb.980:                              ;   in Loop: Header=BB249_799 Depth=1
	v_and_b32_e32 v6, 7, v6
	v_lshrrev_b32_e32 v8, 3, v13
	s_mov_b32 s13, exec_lo
	v_cmpx_gt_u32_e32 8, v13
; %bb.981:                              ;   in Loop: Header=BB249_799 Depth=1
	v_ffbh_u32_e32 v8, v6
	v_min_u32_e32 v8, 32, v8
	v_subrev_nc_u32_e32 v10, 28, v8
	v_sub_nc_u32_e32 v8, 29, v8
	v_lshlrev_b64 v[18:19], v10, v[6:7]
	v_and_b32_e32 v6, 7, v18
; %bb.982:                              ;   in Loop: Header=BB249_799 Depth=1
	s_or_b32 exec_lo, exec_lo, s13
	v_lshlrev_b32_e32 v10, 16, v12
	v_lshlrev_b32_e32 v6, 20, v6
	v_lshl_add_u32 v8, v8, 23, 0x3c000000
	v_mov_b32_e32 v18, v7
	v_and_b32_e32 v10, 0x80000000, v10
	v_or3_b32 v19, v6, v10, v8
.LBB249_983:                            ;   in Loop: Header=BB249_799 Depth=1
	s_or_b32 exec_lo, exec_lo, s12
.LBB249_984:                            ;   in Loop: Header=BB249_799 Depth=1
	s_or_b32 exec_lo, exec_lo, s11
.LBB249_985:                            ;   in Loop: Header=BB249_799 Depth=1
	s_or_b32 exec_lo, exec_lo, s9
	v_mov_b32_e32 v22, 0
	v_mov_b32_e32 v20, 0
	v_and_b32_sdwa v6, v12, v80 dst_sel:DWORD dst_unused:UNUSED_PAD src0_sel:WORD_1 src1_sel:DWORD
	v_mov_b32_e32 v23, 0
	v_mov_b32_e32 v21, 0
	s_mov_b32 s9, exec_lo
	v_cmpx_ne_u16_e32 0, v6
	s_cbranch_execz .LBB249_993
; %bb.986:                              ;   in Loop: Header=BB249_799 Depth=1
	v_bfrev_b32_e32 v20, 1
	v_mov_b32_e32 v21, 0
	s_mov_b32 s11, exec_lo
	v_cmpx_ne_u16_e32 0x80, v6
	s_cbranch_execz .LBB249_992
; %bb.987:                              ;   in Loop: Header=BB249_799 Depth=1
	v_mov_b32_e32 v20, 0x7f800001
	v_bfe_u32 v10, v12, 16, 7
	v_mov_b32_e32 v21, 0
	s_mov_b32 s12, exec_lo
	v_cmpx_ne_u32_e32 0x7f, v10
	s_cbranch_execz .LBB249_991
; %bb.988:                              ;   in Loop: Header=BB249_799 Depth=1
	v_mov_b32_e32 v6, 7
	v_lshrrev_b32_e32 v8, 3, v10
	s_mov_b32 s13, exec_lo
	v_and_b32_sdwa v6, v12, v6 dst_sel:DWORD dst_unused:UNUSED_PAD src0_sel:WORD_1 src1_sel:DWORD
	v_cmpx_gt_u32_e32 8, v10
; %bb.989:                              ;   in Loop: Header=BB249_799 Depth=1
	v_ffbh_u32_e32 v8, v6
	v_min_u32_e32 v8, 32, v8
	v_subrev_nc_u32_e32 v10, 28, v8
	v_sub_nc_u32_e32 v8, 29, v8
	v_lshlrev_b64 v[20:21], v10, v[6:7]
	v_and_b32_e32 v6, 7, v20
; %bb.990:                              ;   in Loop: Header=BB249_799 Depth=1
	s_or_b32 exec_lo, exec_lo, s13
	v_mov_b32_e32 v10, 24
	v_lshlrev_b32_e32 v6, 20, v6
	v_lshl_add_u32 v8, v8, 23, 0x3c000000
	v_lshlrev_b32_sdwa v10, v10, v12 dst_sel:DWORD dst_unused:UNUSED_PAD src0_sel:DWORD src1_sel:WORD_1
	v_and_b32_e32 v10, 0x80000000, v10
	v_or3_b32 v6, v6, v10, v8
	v_mov_b32_e32 v21, v7
	v_mov_b32_e32 v20, v6
.LBB249_991:                            ;   in Loop: Header=BB249_799 Depth=1
	s_or_b32 exec_lo, exec_lo, s12
.LBB249_992:                            ;   in Loop: Header=BB249_799 Depth=1
	s_or_b32 exec_lo, exec_lo, s11
.LBB249_993:                            ;   in Loop: Header=BB249_799 Depth=1
	s_or_b32 exec_lo, exec_lo, s9
	s_mov_b32 s9, exec_lo
	v_cmpx_lt_u32_e32 0xffffff, v12
	s_cbranch_execz .LBB249_1001
; %bb.994:                              ;   in Loop: Header=BB249_799 Depth=1
	v_mov_b32_e32 v8, v7
	v_mov_b32_e32 v23, v9
	v_cmp_ne_u32_sdwa s4, v12, v70 src0_sel:BYTE_3 src1_sel:DWORD
	v_mov_b32_e32 v22, v8
	s_and_saveexec_b32 s11, s4
	s_cbranch_execz .LBB249_1000
; %bb.995:                              ;   in Loop: Header=BB249_799 Depth=1
	v_mov_b32_e32 v10, v7
	v_mov_b32_e32 v23, v11
	v_bfe_u32 v13, v12, 24, 7
	s_mov_b32 s12, exec_lo
	v_mov_b32_e32 v22, v10
	v_cmpx_ne_u32_e32 0x7f, v13
	s_cbranch_execz .LBB249_999
; %bb.996:                              ;   in Loop: Header=BB249_799 Depth=1
	v_mov_b32_e32 v6, 7
	v_lshrrev_b32_e32 v8, 3, v13
	s_mov_b32 s13, exec_lo
	v_and_b32_sdwa v6, v12, v6 dst_sel:DWORD dst_unused:UNUSED_PAD src0_sel:BYTE_3 src1_sel:DWORD
	v_cmpx_gt_u32_e32 8, v13
; %bb.997:                              ;   in Loop: Header=BB249_799 Depth=1
	v_ffbh_u32_e32 v8, v6
	v_min_u32_e32 v8, 32, v8
	v_subrev_nc_u32_e32 v10, 28, v8
	v_sub_nc_u32_e32 v8, 29, v8
	v_lshlrev_b64 v[22:23], v10, v[6:7]
	v_and_b32_e32 v6, 7, v22
; %bb.998:                              ;   in Loop: Header=BB249_799 Depth=1
	s_or_b32 exec_lo, exec_lo, s13
	v_mov_b32_e32 v10, 24
	v_lshlrev_b32_e32 v6, 20, v6
	v_lshl_add_u32 v8, v8, 23, 0x3c000000
	v_mov_b32_e32 v22, v7
	v_lshlrev_b32_sdwa v10, v10, v12 dst_sel:DWORD dst_unused:UNUSED_PAD src0_sel:DWORD src1_sel:BYTE_3
	v_and_b32_e32 v10, 0x80000000, v10
	v_or3_b32 v23, v6, v10, v8
.LBB249_999:                            ;   in Loop: Header=BB249_799 Depth=1
	s_or_b32 exec_lo, exec_lo, s12
.LBB249_1000:                           ;   in Loop: Header=BB249_799 Depth=1
	s_or_b32 exec_lo, exec_lo, s11
.LBB249_1001:                           ;   in Loop: Header=BB249_799 Depth=1
	s_or_b32 exec_lo, exec_lo, s9
	v_or_b32_e32 v6, v19, v17
	v_or_b32_e32 v8, v18, v16
	;; [unrolled: 1-line block ×4, first 2 shown]
	v_mul_f32_e32 v56, v85, v6
	v_mul_f32_e32 v57, v68, v8
	;; [unrolled: 1-line block ×4, first 2 shown]
	buffer_store_dword v6, off, s[0:3], s32 offset:352 ; 4-byte Folded Spill
	s_and_saveexec_b32 s9, vcc_lo
	s_cbranch_execz .LBB249_1003
; %bb.1002:                             ;   in Loop: Header=BB249_799 Depth=1
	buffer_load_dword v6, off, s[0:3], s32 offset:352 ; 4-byte Folded Reload
	v_cmp_lt_i32_e64 s4, v103, v102
	v_cndmask_b32_e64 v57, 0, v57, s4
	v_cmp_lt_i32_e64 s4, v113, v102
	v_cndmask_b32_e64 v56, 0, v56, s4
	;; [unrolled: 2-line block ×3, first 2 shown]
	v_cmp_lt_i32_e64 s4, v83, v102
	s_waitcnt vmcnt(0)
	v_cndmask_b32_e64 v6, 0, v6, s4
	buffer_store_dword v6, off, s[0:3], s32 offset:352 ; 4-byte Folded Spill
.LBB249_1003:                           ;   in Loop: Header=BB249_799 Depth=1
	s_or_b32 exec_lo, exec_lo, s9
	flat_load_dword v12, v[4:5] offset:768
	v_mov_b32_e32 v18, 0
	v_mov_b32_e32 v16, 0
	;; [unrolled: 1-line block ×4, first 2 shown]
	s_waitcnt vmcnt(0) lgkmcnt(0)
	v_cmp_ne_u16_sdwa s4, v12, v7 src0_sel:BYTE_0 src1_sel:DWORD
	s_and_saveexec_b32 s9, s4
	s_cbranch_execz .LBB249_1011
; %bb.1004:                             ;   in Loop: Header=BB249_799 Depth=1
	v_bfrev_b32_e32 v16, 1
	v_mov_b32_e32 v17, 0
	v_cmp_ne_u16_sdwa s4, v12, v70 src0_sel:BYTE_0 src1_sel:DWORD
	s_and_saveexec_b32 s11, s4
	s_cbranch_execz .LBB249_1010
; %bb.1005:                             ;   in Loop: Header=BB249_799 Depth=1
	v_mov_b32_e32 v16, 0x7f800001
	v_and_b32_e32 v10, 0x7f, v12
	v_mov_b32_e32 v17, 0
	s_mov_b32 s12, exec_lo
	v_cmpx_ne_u32_e32 0x7f, v10
	s_cbranch_execz .LBB249_1009
; %bb.1006:                             ;   in Loop: Header=BB249_799 Depth=1
	v_and_b32_e32 v6, 7, v12
	v_lshrrev_b32_e32 v8, 3, v10
	s_mov_b32 s13, exec_lo
	v_cmpx_gt_u32_e32 8, v10
; %bb.1007:                             ;   in Loop: Header=BB249_799 Depth=1
	v_ffbh_u32_e32 v8, v6
	v_min_u32_e32 v8, 32, v8
	v_subrev_nc_u32_e32 v10, 28, v8
	v_sub_nc_u32_e32 v8, 29, v8
	v_lshlrev_b64 v[16:17], v10, v[6:7]
	v_and_b32_e32 v6, 7, v16
; %bb.1008:                             ;   in Loop: Header=BB249_799 Depth=1
	s_or_b32 exec_lo, exec_lo, s13
	v_lshlrev_b32_e32 v10, 24, v12
	v_lshlrev_b32_e32 v6, 20, v6
	v_lshl_add_u32 v8, v8, 23, 0x3c000000
	v_and_b32_e32 v10, 0x80000000, v10
	v_or3_b32 v6, v6, v10, v8
	v_mov_b32_e32 v17, v7
	v_mov_b32_e32 v16, v6
.LBB249_1009:                           ;   in Loop: Header=BB249_799 Depth=1
	s_or_b32 exec_lo, exec_lo, s12
.LBB249_1010:                           ;   in Loop: Header=BB249_799 Depth=1
	s_or_b32 exec_lo, exec_lo, s11
.LBB249_1011:                           ;   in Loop: Header=BB249_799 Depth=1
	s_or_b32 exec_lo, exec_lo, s9
	v_cmp_ne_u16_sdwa s4, v12, v7 src0_sel:BYTE_1 src1_sel:DWORD
	s_and_saveexec_b32 s9, s4
	s_cbranch_execz .LBB249_1019
; %bb.1012:                             ;   in Loop: Header=BB249_799 Depth=1
	v_mov_b32_e32 v8, v7
	v_mov_b32_e32 v19, v9
	v_cmp_ne_u16_sdwa s4, v12, v70 src0_sel:BYTE_1 src1_sel:DWORD
	v_mov_b32_e32 v18, v8
	s_and_saveexec_b32 s11, s4
	s_cbranch_execz .LBB249_1018
; %bb.1013:                             ;   in Loop: Header=BB249_799 Depth=1
	v_mov_b32_e32 v6, 0xffff
	v_mov_b32_e32 v10, v7
	;; [unrolled: 1-line block ×3, first 2 shown]
	s_mov_b32 s12, exec_lo
	v_and_b32_sdwa v6, v6, v12 dst_sel:DWORD dst_unused:UNUSED_PAD src0_sel:DWORD src1_sel:BYTE_1
	v_mov_b32_e32 v18, v10
	v_and_b32_e32 v13, 0x7f, v6
	v_cmpx_ne_u32_e32 0x7f, v13
	s_cbranch_execz .LBB249_1017
; %bb.1014:                             ;   in Loop: Header=BB249_799 Depth=1
	v_and_b32_e32 v6, 7, v6
	v_lshrrev_b32_e32 v8, 3, v13
	s_mov_b32 s13, exec_lo
	v_cmpx_gt_u32_e32 8, v13
; %bb.1015:                             ;   in Loop: Header=BB249_799 Depth=1
	v_ffbh_u32_e32 v8, v6
	v_min_u32_e32 v8, 32, v8
	v_subrev_nc_u32_e32 v10, 28, v8
	v_sub_nc_u32_e32 v8, 29, v8
	v_lshlrev_b64 v[18:19], v10, v[6:7]
	v_and_b32_e32 v6, 7, v18
; %bb.1016:                             ;   in Loop: Header=BB249_799 Depth=1
	s_or_b32 exec_lo, exec_lo, s13
	v_lshlrev_b32_e32 v10, 16, v12
	v_lshlrev_b32_e32 v6, 20, v6
	v_lshl_add_u32 v8, v8, 23, 0x3c000000
	v_mov_b32_e32 v18, v7
	v_and_b32_e32 v10, 0x80000000, v10
	v_or3_b32 v19, v6, v10, v8
.LBB249_1017:                           ;   in Loop: Header=BB249_799 Depth=1
	s_or_b32 exec_lo, exec_lo, s12
.LBB249_1018:                           ;   in Loop: Header=BB249_799 Depth=1
	s_or_b32 exec_lo, exec_lo, s11
.LBB249_1019:                           ;   in Loop: Header=BB249_799 Depth=1
	s_or_b32 exec_lo, exec_lo, s9
	v_mov_b32_e32 v22, 0
	v_mov_b32_e32 v20, 0
	v_and_b32_sdwa v6, v12, v80 dst_sel:DWORD dst_unused:UNUSED_PAD src0_sel:WORD_1 src1_sel:DWORD
	v_mov_b32_e32 v23, 0
	v_mov_b32_e32 v21, 0
	s_mov_b32 s9, exec_lo
	v_cmpx_ne_u16_e32 0, v6
	s_cbranch_execz .LBB249_1027
; %bb.1020:                             ;   in Loop: Header=BB249_799 Depth=1
	v_bfrev_b32_e32 v20, 1
	v_mov_b32_e32 v21, 0
	s_mov_b32 s11, exec_lo
	v_cmpx_ne_u16_e32 0x80, v6
	s_cbranch_execz .LBB249_1026
; %bb.1021:                             ;   in Loop: Header=BB249_799 Depth=1
	v_mov_b32_e32 v20, 0x7f800001
	v_bfe_u32 v10, v12, 16, 7
	v_mov_b32_e32 v21, 0
	s_mov_b32 s12, exec_lo
	v_cmpx_ne_u32_e32 0x7f, v10
	s_cbranch_execz .LBB249_1025
; %bb.1022:                             ;   in Loop: Header=BB249_799 Depth=1
	v_mov_b32_e32 v6, 7
	v_lshrrev_b32_e32 v8, 3, v10
	s_mov_b32 s13, exec_lo
	v_and_b32_sdwa v6, v12, v6 dst_sel:DWORD dst_unused:UNUSED_PAD src0_sel:WORD_1 src1_sel:DWORD
	v_cmpx_gt_u32_e32 8, v10
; %bb.1023:                             ;   in Loop: Header=BB249_799 Depth=1
	v_ffbh_u32_e32 v8, v6
	v_min_u32_e32 v8, 32, v8
	v_subrev_nc_u32_e32 v10, 28, v8
	v_sub_nc_u32_e32 v8, 29, v8
	v_lshlrev_b64 v[20:21], v10, v[6:7]
	v_and_b32_e32 v6, 7, v20
; %bb.1024:                             ;   in Loop: Header=BB249_799 Depth=1
	s_or_b32 exec_lo, exec_lo, s13
	v_mov_b32_e32 v10, 24
	v_lshlrev_b32_e32 v6, 20, v6
	v_lshl_add_u32 v8, v8, 23, 0x3c000000
	v_lshlrev_b32_sdwa v10, v10, v12 dst_sel:DWORD dst_unused:UNUSED_PAD src0_sel:DWORD src1_sel:WORD_1
	v_and_b32_e32 v10, 0x80000000, v10
	v_or3_b32 v6, v6, v10, v8
	v_mov_b32_e32 v21, v7
	v_mov_b32_e32 v20, v6
.LBB249_1025:                           ;   in Loop: Header=BB249_799 Depth=1
	s_or_b32 exec_lo, exec_lo, s12
.LBB249_1026:                           ;   in Loop: Header=BB249_799 Depth=1
	s_or_b32 exec_lo, exec_lo, s11
.LBB249_1027:                           ;   in Loop: Header=BB249_799 Depth=1
	s_or_b32 exec_lo, exec_lo, s9
	s_mov_b32 s9, exec_lo
	v_cmpx_lt_u32_e32 0xffffff, v12
	s_cbranch_execz .LBB249_1035
; %bb.1028:                             ;   in Loop: Header=BB249_799 Depth=1
	v_mov_b32_e32 v8, v7
	v_mov_b32_e32 v23, v9
	v_cmp_ne_u32_sdwa s4, v12, v70 src0_sel:BYTE_3 src1_sel:DWORD
	v_mov_b32_e32 v22, v8
	s_and_saveexec_b32 s11, s4
	s_cbranch_execz .LBB249_1034
; %bb.1029:                             ;   in Loop: Header=BB249_799 Depth=1
	v_mov_b32_e32 v10, v7
	v_mov_b32_e32 v23, v11
	v_bfe_u32 v13, v12, 24, 7
	s_mov_b32 s12, exec_lo
	v_mov_b32_e32 v22, v10
	v_cmpx_ne_u32_e32 0x7f, v13
	s_cbranch_execz .LBB249_1033
; %bb.1030:                             ;   in Loop: Header=BB249_799 Depth=1
	v_mov_b32_e32 v6, 7
	v_lshrrev_b32_e32 v8, 3, v13
	s_mov_b32 s13, exec_lo
	v_and_b32_sdwa v6, v12, v6 dst_sel:DWORD dst_unused:UNUSED_PAD src0_sel:BYTE_3 src1_sel:DWORD
	v_cmpx_gt_u32_e32 8, v13
; %bb.1031:                             ;   in Loop: Header=BB249_799 Depth=1
	v_ffbh_u32_e32 v8, v6
	v_min_u32_e32 v8, 32, v8
	v_subrev_nc_u32_e32 v10, 28, v8
	v_sub_nc_u32_e32 v8, 29, v8
	v_lshlrev_b64 v[22:23], v10, v[6:7]
	v_and_b32_e32 v6, 7, v22
; %bb.1032:                             ;   in Loop: Header=BB249_799 Depth=1
	s_or_b32 exec_lo, exec_lo, s13
	v_mov_b32_e32 v10, 24
	v_lshlrev_b32_e32 v6, 20, v6
	v_lshl_add_u32 v8, v8, 23, 0x3c000000
	v_mov_b32_e32 v22, v7
	v_lshlrev_b32_sdwa v10, v10, v12 dst_sel:DWORD dst_unused:UNUSED_PAD src0_sel:DWORD src1_sel:BYTE_3
	v_and_b32_e32 v10, 0x80000000, v10
	v_or3_b32 v23, v6, v10, v8
.LBB249_1033:                           ;   in Loop: Header=BB249_799 Depth=1
	s_or_b32 exec_lo, exec_lo, s12
.LBB249_1034:                           ;   in Loop: Header=BB249_799 Depth=1
	s_or_b32 exec_lo, exec_lo, s11
.LBB249_1035:                           ;   in Loop: Header=BB249_799 Depth=1
	s_or_b32 exec_lo, exec_lo, s9
	v_or_b32_e32 v6, v19, v17
	v_or_b32_e32 v8, v18, v16
	v_or_b32_e32 v10, v22, v20
	v_or_b32_e32 v12, v23, v21
	v_mul_f32_e32 v60, v85, v6
	v_mul_f32_e32 v61, v68, v8
	;; [unrolled: 1-line block ×4, first 2 shown]
	s_and_saveexec_b32 s9, vcc_lo
	s_cbranch_execz .LBB249_1037
; %bb.1036:                             ;   in Loop: Header=BB249_799 Depth=1
	v_cmp_lt_i32_e64 s4, v103, v102
	v_cndmask_b32_e64 v61, 0, v61, s4
	v_cmp_lt_i32_e64 s4, v113, v102
	v_cndmask_b32_e64 v60, 0, v60, s4
	;; [unrolled: 2-line block ×4, first 2 shown]
.LBB249_1037:                           ;   in Loop: Header=BB249_799 Depth=1
	s_or_b32 exec_lo, exec_lo, s9
	flat_load_dword v12, v[4:5] offset:896
	v_mov_b32_e32 v18, 0
	v_mov_b32_e32 v16, 0
	;; [unrolled: 1-line block ×4, first 2 shown]
	s_waitcnt vmcnt(0) lgkmcnt(0)
	v_cmp_ne_u16_sdwa s4, v12, v7 src0_sel:BYTE_0 src1_sel:DWORD
	s_and_saveexec_b32 s9, s4
	s_cbranch_execz .LBB249_1045
; %bb.1038:                             ;   in Loop: Header=BB249_799 Depth=1
	v_bfrev_b32_e32 v16, 1
	v_mov_b32_e32 v17, 0
	v_cmp_ne_u16_sdwa s4, v12, v70 src0_sel:BYTE_0 src1_sel:DWORD
	s_and_saveexec_b32 s11, s4
	s_cbranch_execz .LBB249_1044
; %bb.1039:                             ;   in Loop: Header=BB249_799 Depth=1
	v_mov_b32_e32 v16, 0x7f800001
	v_and_b32_e32 v10, 0x7f, v12
	v_mov_b32_e32 v17, 0
	s_mov_b32 s12, exec_lo
	v_cmpx_ne_u32_e32 0x7f, v10
	s_cbranch_execz .LBB249_1043
; %bb.1040:                             ;   in Loop: Header=BB249_799 Depth=1
	v_and_b32_e32 v6, 7, v12
	v_lshrrev_b32_e32 v8, 3, v10
	s_mov_b32 s13, exec_lo
	v_cmpx_gt_u32_e32 8, v10
; %bb.1041:                             ;   in Loop: Header=BB249_799 Depth=1
	v_ffbh_u32_e32 v8, v6
	v_min_u32_e32 v8, 32, v8
	v_subrev_nc_u32_e32 v10, 28, v8
	v_sub_nc_u32_e32 v8, 29, v8
	v_lshlrev_b64 v[16:17], v10, v[6:7]
	v_and_b32_e32 v6, 7, v16
; %bb.1042:                             ;   in Loop: Header=BB249_799 Depth=1
	s_or_b32 exec_lo, exec_lo, s13
	v_lshlrev_b32_e32 v10, 24, v12
	v_lshlrev_b32_e32 v6, 20, v6
	v_lshl_add_u32 v8, v8, 23, 0x3c000000
	v_and_b32_e32 v10, 0x80000000, v10
	v_or3_b32 v6, v6, v10, v8
	v_mov_b32_e32 v17, v7
	v_mov_b32_e32 v16, v6
.LBB249_1043:                           ;   in Loop: Header=BB249_799 Depth=1
	s_or_b32 exec_lo, exec_lo, s12
.LBB249_1044:                           ;   in Loop: Header=BB249_799 Depth=1
	s_or_b32 exec_lo, exec_lo, s11
.LBB249_1045:                           ;   in Loop: Header=BB249_799 Depth=1
	s_or_b32 exec_lo, exec_lo, s9
	v_cmp_ne_u16_sdwa s4, v12, v7 src0_sel:BYTE_1 src1_sel:DWORD
	s_and_saveexec_b32 s9, s4
	s_cbranch_execz .LBB249_1053
; %bb.1046:                             ;   in Loop: Header=BB249_799 Depth=1
	v_mov_b32_e32 v8, v7
	v_mov_b32_e32 v19, v9
	v_cmp_ne_u16_sdwa s4, v12, v70 src0_sel:BYTE_1 src1_sel:DWORD
	v_mov_b32_e32 v18, v8
	s_and_saveexec_b32 s11, s4
	s_cbranch_execz .LBB249_1052
; %bb.1047:                             ;   in Loop: Header=BB249_799 Depth=1
	v_mov_b32_e32 v6, 0xffff
	v_mov_b32_e32 v10, v7
	v_mov_b32_e32 v19, v11
	s_mov_b32 s12, exec_lo
	v_and_b32_sdwa v6, v6, v12 dst_sel:DWORD dst_unused:UNUSED_PAD src0_sel:DWORD src1_sel:BYTE_1
	v_mov_b32_e32 v18, v10
	v_and_b32_e32 v13, 0x7f, v6
	v_cmpx_ne_u32_e32 0x7f, v13
	s_cbranch_execz .LBB249_1051
; %bb.1048:                             ;   in Loop: Header=BB249_799 Depth=1
	v_and_b32_e32 v6, 7, v6
	v_lshrrev_b32_e32 v8, 3, v13
	s_mov_b32 s13, exec_lo
	v_cmpx_gt_u32_e32 8, v13
; %bb.1049:                             ;   in Loop: Header=BB249_799 Depth=1
	v_ffbh_u32_e32 v8, v6
	v_min_u32_e32 v8, 32, v8
	v_subrev_nc_u32_e32 v10, 28, v8
	v_sub_nc_u32_e32 v8, 29, v8
	v_lshlrev_b64 v[18:19], v10, v[6:7]
	v_and_b32_e32 v6, 7, v18
; %bb.1050:                             ;   in Loop: Header=BB249_799 Depth=1
	s_or_b32 exec_lo, exec_lo, s13
	v_lshlrev_b32_e32 v10, 16, v12
	v_lshlrev_b32_e32 v6, 20, v6
	v_lshl_add_u32 v8, v8, 23, 0x3c000000
	v_mov_b32_e32 v18, v7
	v_and_b32_e32 v10, 0x80000000, v10
	v_or3_b32 v19, v6, v10, v8
.LBB249_1051:                           ;   in Loop: Header=BB249_799 Depth=1
	s_or_b32 exec_lo, exec_lo, s12
.LBB249_1052:                           ;   in Loop: Header=BB249_799 Depth=1
	s_or_b32 exec_lo, exec_lo, s11
.LBB249_1053:                           ;   in Loop: Header=BB249_799 Depth=1
	s_or_b32 exec_lo, exec_lo, s9
	v_mov_b32_e32 v22, 0
	v_mov_b32_e32 v20, 0
	v_and_b32_sdwa v6, v12, v80 dst_sel:DWORD dst_unused:UNUSED_PAD src0_sel:WORD_1 src1_sel:DWORD
	v_mov_b32_e32 v23, 0
	v_mov_b32_e32 v21, 0
	s_mov_b32 s9, exec_lo
	v_cmpx_ne_u16_e32 0, v6
	s_cbranch_execz .LBB249_1061
; %bb.1054:                             ;   in Loop: Header=BB249_799 Depth=1
	v_bfrev_b32_e32 v20, 1
	v_mov_b32_e32 v21, 0
	s_mov_b32 s11, exec_lo
	v_cmpx_ne_u16_e32 0x80, v6
	s_cbranch_execz .LBB249_1060
; %bb.1055:                             ;   in Loop: Header=BB249_799 Depth=1
	v_mov_b32_e32 v20, 0x7f800001
	v_bfe_u32 v10, v12, 16, 7
	v_mov_b32_e32 v21, 0
	s_mov_b32 s12, exec_lo
	v_cmpx_ne_u32_e32 0x7f, v10
	s_cbranch_execz .LBB249_1059
; %bb.1056:                             ;   in Loop: Header=BB249_799 Depth=1
	v_mov_b32_e32 v6, 7
	v_lshrrev_b32_e32 v8, 3, v10
	s_mov_b32 s13, exec_lo
	v_and_b32_sdwa v6, v12, v6 dst_sel:DWORD dst_unused:UNUSED_PAD src0_sel:WORD_1 src1_sel:DWORD
	v_cmpx_gt_u32_e32 8, v10
; %bb.1057:                             ;   in Loop: Header=BB249_799 Depth=1
	v_ffbh_u32_e32 v8, v6
	v_min_u32_e32 v8, 32, v8
	v_subrev_nc_u32_e32 v10, 28, v8
	v_sub_nc_u32_e32 v8, 29, v8
	v_lshlrev_b64 v[20:21], v10, v[6:7]
	v_and_b32_e32 v6, 7, v20
; %bb.1058:                             ;   in Loop: Header=BB249_799 Depth=1
	s_or_b32 exec_lo, exec_lo, s13
	v_mov_b32_e32 v10, 24
	v_lshlrev_b32_e32 v6, 20, v6
	v_lshl_add_u32 v8, v8, 23, 0x3c000000
	v_lshlrev_b32_sdwa v10, v10, v12 dst_sel:DWORD dst_unused:UNUSED_PAD src0_sel:DWORD src1_sel:WORD_1
	v_and_b32_e32 v10, 0x80000000, v10
	v_or3_b32 v6, v6, v10, v8
	v_mov_b32_e32 v21, v7
	v_mov_b32_e32 v20, v6
.LBB249_1059:                           ;   in Loop: Header=BB249_799 Depth=1
	s_or_b32 exec_lo, exec_lo, s12
.LBB249_1060:                           ;   in Loop: Header=BB249_799 Depth=1
	s_or_b32 exec_lo, exec_lo, s11
.LBB249_1061:                           ;   in Loop: Header=BB249_799 Depth=1
	s_or_b32 exec_lo, exec_lo, s9
	s_mov_b32 s9, exec_lo
	v_cmpx_lt_u32_e32 0xffffff, v12
	s_cbranch_execz .LBB249_1069
; %bb.1062:                             ;   in Loop: Header=BB249_799 Depth=1
	v_mov_b32_e32 v8, v7
	v_mov_b32_e32 v23, v9
	v_cmp_ne_u32_sdwa s4, v12, v70 src0_sel:BYTE_3 src1_sel:DWORD
	v_mov_b32_e32 v22, v8
	s_and_saveexec_b32 s11, s4
	s_cbranch_execz .LBB249_1068
; %bb.1063:                             ;   in Loop: Header=BB249_799 Depth=1
	v_mov_b32_e32 v10, v7
	v_mov_b32_e32 v23, v11
	v_bfe_u32 v13, v12, 24, 7
	s_mov_b32 s12, exec_lo
	v_mov_b32_e32 v22, v10
	v_cmpx_ne_u32_e32 0x7f, v13
	s_cbranch_execz .LBB249_1067
; %bb.1064:                             ;   in Loop: Header=BB249_799 Depth=1
	v_mov_b32_e32 v6, 7
	v_lshrrev_b32_e32 v8, 3, v13
	s_mov_b32 s13, exec_lo
	v_and_b32_sdwa v6, v12, v6 dst_sel:DWORD dst_unused:UNUSED_PAD src0_sel:BYTE_3 src1_sel:DWORD
	v_cmpx_gt_u32_e32 8, v13
; %bb.1065:                             ;   in Loop: Header=BB249_799 Depth=1
	v_ffbh_u32_e32 v8, v6
	v_min_u32_e32 v8, 32, v8
	v_subrev_nc_u32_e32 v10, 28, v8
	v_sub_nc_u32_e32 v8, 29, v8
	v_lshlrev_b64 v[22:23], v10, v[6:7]
	v_and_b32_e32 v6, 7, v22
; %bb.1066:                             ;   in Loop: Header=BB249_799 Depth=1
	s_or_b32 exec_lo, exec_lo, s13
	v_mov_b32_e32 v10, 24
	v_lshlrev_b32_e32 v6, 20, v6
	v_lshl_add_u32 v8, v8, 23, 0x3c000000
	v_mov_b32_e32 v22, v7
	v_lshlrev_b32_sdwa v10, v10, v12 dst_sel:DWORD dst_unused:UNUSED_PAD src0_sel:DWORD src1_sel:BYTE_3
	v_and_b32_e32 v10, 0x80000000, v10
	v_or3_b32 v23, v6, v10, v8
.LBB249_1067:                           ;   in Loop: Header=BB249_799 Depth=1
	s_or_b32 exec_lo, exec_lo, s12
.LBB249_1068:                           ;   in Loop: Header=BB249_799 Depth=1
	s_or_b32 exec_lo, exec_lo, s11
.LBB249_1069:                           ;   in Loop: Header=BB249_799 Depth=1
	s_or_b32 exec_lo, exec_lo, s9
	v_or_b32_e32 v6, v19, v17
	v_or_b32_e32 v8, v18, v16
	;; [unrolled: 1-line block ×4, first 2 shown]
	v_mul_f32_e32 v72, v85, v6
	v_mul_f32_e32 v73, v68, v8
	;; [unrolled: 1-line block ×4, first 2 shown]
	s_and_saveexec_b32 s9, vcc_lo
	s_cbranch_execz .LBB249_1071
; %bb.1070:                             ;   in Loop: Header=BB249_799 Depth=1
	v_cmp_lt_i32_e64 s4, v103, v102
	v_cndmask_b32_e64 v73, 0, v73, s4
	v_cmp_lt_i32_e64 s4, v113, v102
	v_cndmask_b32_e64 v72, 0, v72, s4
	;; [unrolled: 2-line block ×4, first 2 shown]
.LBB249_1071:                           ;   in Loop: Header=BB249_799 Depth=1
	s_or_b32 exec_lo, exec_lo, s9
	flat_load_dword v12, v[4:5] offset:1024
	v_mov_b32_e32 v18, 0
	v_mov_b32_e32 v16, 0
	v_mov_b32_e32 v19, 0
	v_mov_b32_e32 v17, 0
	s_waitcnt vmcnt(0) lgkmcnt(0)
	v_cmp_ne_u16_sdwa s4, v12, v7 src0_sel:BYTE_0 src1_sel:DWORD
	s_and_saveexec_b32 s9, s4
	s_cbranch_execz .LBB249_1079
; %bb.1072:                             ;   in Loop: Header=BB249_799 Depth=1
	v_bfrev_b32_e32 v16, 1
	v_mov_b32_e32 v17, 0
	v_cmp_ne_u16_sdwa s4, v12, v70 src0_sel:BYTE_0 src1_sel:DWORD
	s_and_saveexec_b32 s11, s4
	s_cbranch_execz .LBB249_1078
; %bb.1073:                             ;   in Loop: Header=BB249_799 Depth=1
	v_mov_b32_e32 v16, 0x7f800001
	v_and_b32_e32 v10, 0x7f, v12
	v_mov_b32_e32 v17, 0
	s_mov_b32 s12, exec_lo
	v_cmpx_ne_u32_e32 0x7f, v10
	s_cbranch_execz .LBB249_1077
; %bb.1074:                             ;   in Loop: Header=BB249_799 Depth=1
	v_and_b32_e32 v6, 7, v12
	v_lshrrev_b32_e32 v8, 3, v10
	s_mov_b32 s13, exec_lo
	v_cmpx_gt_u32_e32 8, v10
; %bb.1075:                             ;   in Loop: Header=BB249_799 Depth=1
	v_ffbh_u32_e32 v8, v6
	v_min_u32_e32 v8, 32, v8
	v_subrev_nc_u32_e32 v10, 28, v8
	v_sub_nc_u32_e32 v8, 29, v8
	v_lshlrev_b64 v[16:17], v10, v[6:7]
	v_and_b32_e32 v6, 7, v16
; %bb.1076:                             ;   in Loop: Header=BB249_799 Depth=1
	s_or_b32 exec_lo, exec_lo, s13
	v_lshlrev_b32_e32 v10, 24, v12
	v_lshlrev_b32_e32 v6, 20, v6
	v_lshl_add_u32 v8, v8, 23, 0x3c000000
	v_and_b32_e32 v10, 0x80000000, v10
	v_or3_b32 v6, v6, v10, v8
	v_mov_b32_e32 v17, v7
	v_mov_b32_e32 v16, v6
.LBB249_1077:                           ;   in Loop: Header=BB249_799 Depth=1
	s_or_b32 exec_lo, exec_lo, s12
.LBB249_1078:                           ;   in Loop: Header=BB249_799 Depth=1
	s_or_b32 exec_lo, exec_lo, s11
.LBB249_1079:                           ;   in Loop: Header=BB249_799 Depth=1
	s_or_b32 exec_lo, exec_lo, s9
	v_cmp_ne_u16_sdwa s4, v12, v7 src0_sel:BYTE_1 src1_sel:DWORD
	s_and_saveexec_b32 s9, s4
	s_cbranch_execz .LBB249_1087
; %bb.1080:                             ;   in Loop: Header=BB249_799 Depth=1
	v_mov_b32_e32 v8, v7
	v_mov_b32_e32 v19, v9
	v_cmp_ne_u16_sdwa s4, v12, v70 src0_sel:BYTE_1 src1_sel:DWORD
	v_mov_b32_e32 v18, v8
	s_and_saveexec_b32 s11, s4
	s_cbranch_execz .LBB249_1086
; %bb.1081:                             ;   in Loop: Header=BB249_799 Depth=1
	v_mov_b32_e32 v6, 0xffff
	v_mov_b32_e32 v10, v7
	;; [unrolled: 1-line block ×3, first 2 shown]
	s_mov_b32 s12, exec_lo
	v_and_b32_sdwa v6, v6, v12 dst_sel:DWORD dst_unused:UNUSED_PAD src0_sel:DWORD src1_sel:BYTE_1
	v_mov_b32_e32 v18, v10
	v_and_b32_e32 v13, 0x7f, v6
	v_cmpx_ne_u32_e32 0x7f, v13
	s_cbranch_execz .LBB249_1085
; %bb.1082:                             ;   in Loop: Header=BB249_799 Depth=1
	v_and_b32_e32 v6, 7, v6
	v_lshrrev_b32_e32 v8, 3, v13
	s_mov_b32 s13, exec_lo
	v_cmpx_gt_u32_e32 8, v13
; %bb.1083:                             ;   in Loop: Header=BB249_799 Depth=1
	v_ffbh_u32_e32 v8, v6
	v_min_u32_e32 v8, 32, v8
	v_subrev_nc_u32_e32 v10, 28, v8
	v_sub_nc_u32_e32 v8, 29, v8
	v_lshlrev_b64 v[18:19], v10, v[6:7]
	v_and_b32_e32 v6, 7, v18
; %bb.1084:                             ;   in Loop: Header=BB249_799 Depth=1
	s_or_b32 exec_lo, exec_lo, s13
	v_lshlrev_b32_e32 v10, 16, v12
	v_lshlrev_b32_e32 v6, 20, v6
	v_lshl_add_u32 v8, v8, 23, 0x3c000000
	v_mov_b32_e32 v18, v7
	v_and_b32_e32 v10, 0x80000000, v10
	v_or3_b32 v19, v6, v10, v8
.LBB249_1085:                           ;   in Loop: Header=BB249_799 Depth=1
	s_or_b32 exec_lo, exec_lo, s12
.LBB249_1086:                           ;   in Loop: Header=BB249_799 Depth=1
	s_or_b32 exec_lo, exec_lo, s11
.LBB249_1087:                           ;   in Loop: Header=BB249_799 Depth=1
	s_or_b32 exec_lo, exec_lo, s9
	v_mov_b32_e32 v22, 0
	v_mov_b32_e32 v20, 0
	v_and_b32_sdwa v6, v12, v80 dst_sel:DWORD dst_unused:UNUSED_PAD src0_sel:WORD_1 src1_sel:DWORD
	v_mov_b32_e32 v23, 0
	v_mov_b32_e32 v21, 0
	s_mov_b32 s9, exec_lo
	v_cmpx_ne_u16_e32 0, v6
	s_cbranch_execz .LBB249_1095
; %bb.1088:                             ;   in Loop: Header=BB249_799 Depth=1
	v_bfrev_b32_e32 v20, 1
	v_mov_b32_e32 v21, 0
	s_mov_b32 s11, exec_lo
	v_cmpx_ne_u16_e32 0x80, v6
	s_cbranch_execz .LBB249_1094
; %bb.1089:                             ;   in Loop: Header=BB249_799 Depth=1
	v_mov_b32_e32 v20, 0x7f800001
	v_bfe_u32 v10, v12, 16, 7
	v_mov_b32_e32 v21, 0
	s_mov_b32 s12, exec_lo
	v_cmpx_ne_u32_e32 0x7f, v10
	s_cbranch_execz .LBB249_1093
; %bb.1090:                             ;   in Loop: Header=BB249_799 Depth=1
	v_mov_b32_e32 v6, 7
	v_lshrrev_b32_e32 v8, 3, v10
	s_mov_b32 s13, exec_lo
	v_and_b32_sdwa v6, v12, v6 dst_sel:DWORD dst_unused:UNUSED_PAD src0_sel:WORD_1 src1_sel:DWORD
	v_cmpx_gt_u32_e32 8, v10
; %bb.1091:                             ;   in Loop: Header=BB249_799 Depth=1
	v_ffbh_u32_e32 v8, v6
	v_min_u32_e32 v8, 32, v8
	v_subrev_nc_u32_e32 v10, 28, v8
	v_sub_nc_u32_e32 v8, 29, v8
	v_lshlrev_b64 v[20:21], v10, v[6:7]
	v_and_b32_e32 v6, 7, v20
; %bb.1092:                             ;   in Loop: Header=BB249_799 Depth=1
	s_or_b32 exec_lo, exec_lo, s13
	v_mov_b32_e32 v10, 24
	v_lshlrev_b32_e32 v6, 20, v6
	v_lshl_add_u32 v8, v8, 23, 0x3c000000
	v_lshlrev_b32_sdwa v10, v10, v12 dst_sel:DWORD dst_unused:UNUSED_PAD src0_sel:DWORD src1_sel:WORD_1
	v_and_b32_e32 v10, 0x80000000, v10
	v_or3_b32 v6, v6, v10, v8
	v_mov_b32_e32 v21, v7
	v_mov_b32_e32 v20, v6
.LBB249_1093:                           ;   in Loop: Header=BB249_799 Depth=1
	s_or_b32 exec_lo, exec_lo, s12
.LBB249_1094:                           ;   in Loop: Header=BB249_799 Depth=1
	s_or_b32 exec_lo, exec_lo, s11
.LBB249_1095:                           ;   in Loop: Header=BB249_799 Depth=1
	s_or_b32 exec_lo, exec_lo, s9
	s_mov_b32 s9, exec_lo
	v_cmpx_lt_u32_e32 0xffffff, v12
	s_cbranch_execz .LBB249_1103
; %bb.1096:                             ;   in Loop: Header=BB249_799 Depth=1
	v_mov_b32_e32 v8, v7
	v_mov_b32_e32 v23, v9
	v_cmp_ne_u32_sdwa s4, v12, v70 src0_sel:BYTE_3 src1_sel:DWORD
	v_mov_b32_e32 v22, v8
	s_and_saveexec_b32 s11, s4
	s_cbranch_execz .LBB249_1102
; %bb.1097:                             ;   in Loop: Header=BB249_799 Depth=1
	v_mov_b32_e32 v10, v7
	v_mov_b32_e32 v23, v11
	v_bfe_u32 v13, v12, 24, 7
	s_mov_b32 s12, exec_lo
	v_mov_b32_e32 v22, v10
	v_cmpx_ne_u32_e32 0x7f, v13
	s_cbranch_execz .LBB249_1101
; %bb.1098:                             ;   in Loop: Header=BB249_799 Depth=1
	v_mov_b32_e32 v6, 7
	v_lshrrev_b32_e32 v8, 3, v13
	s_mov_b32 s13, exec_lo
	v_and_b32_sdwa v6, v12, v6 dst_sel:DWORD dst_unused:UNUSED_PAD src0_sel:BYTE_3 src1_sel:DWORD
	v_cmpx_gt_u32_e32 8, v13
; %bb.1099:                             ;   in Loop: Header=BB249_799 Depth=1
	v_ffbh_u32_e32 v8, v6
	v_min_u32_e32 v8, 32, v8
	v_subrev_nc_u32_e32 v10, 28, v8
	v_sub_nc_u32_e32 v8, 29, v8
	v_lshlrev_b64 v[22:23], v10, v[6:7]
	v_and_b32_e32 v6, 7, v22
; %bb.1100:                             ;   in Loop: Header=BB249_799 Depth=1
	s_or_b32 exec_lo, exec_lo, s13
	v_mov_b32_e32 v10, 24
	v_lshlrev_b32_e32 v6, 20, v6
	v_lshl_add_u32 v8, v8, 23, 0x3c000000
	v_mov_b32_e32 v22, v7
	v_lshlrev_b32_sdwa v10, v10, v12 dst_sel:DWORD dst_unused:UNUSED_PAD src0_sel:DWORD src1_sel:BYTE_3
	v_and_b32_e32 v10, 0x80000000, v10
	v_or3_b32 v23, v6, v10, v8
.LBB249_1101:                           ;   in Loop: Header=BB249_799 Depth=1
	s_or_b32 exec_lo, exec_lo, s12
.LBB249_1102:                           ;   in Loop: Header=BB249_799 Depth=1
	s_or_b32 exec_lo, exec_lo, s11
.LBB249_1103:                           ;   in Loop: Header=BB249_799 Depth=1
	s_or_b32 exec_lo, exec_lo, s9
	v_or_b32_e32 v6, v19, v17
	v_or_b32_e32 v8, v18, v16
	;; [unrolled: 1-line block ×4, first 2 shown]
	v_mul_f32_e32 v77, v85, v6
	v_mul_f32_e32 v76, v68, v8
	v_mul_f32_e32 v75, v68, v10
	v_mul_f32_e32 v74, v85, v12
	s_and_saveexec_b32 s9, vcc_lo
	s_cbranch_execz .LBB249_1105
; %bb.1104:                             ;   in Loop: Header=BB249_799 Depth=1
	v_cmp_lt_i32_e64 s4, v103, v102
	v_cndmask_b32_e64 v76, 0, v76, s4
	v_cmp_lt_i32_e64 s4, v113, v102
	v_cndmask_b32_e64 v77, 0, v77, s4
	;; [unrolled: 2-line block ×4, first 2 shown]
.LBB249_1105:                           ;   in Loop: Header=BB249_799 Depth=1
	s_or_b32 exec_lo, exec_lo, s9
	flat_load_dword v12, v[4:5] offset:1152
	v_mov_b32_e32 v18, 0
	v_mov_b32_e32 v16, 0
	;; [unrolled: 1-line block ×4, first 2 shown]
	s_waitcnt vmcnt(0) lgkmcnt(0)
	v_cmp_ne_u16_sdwa s4, v12, v7 src0_sel:BYTE_0 src1_sel:DWORD
	s_and_saveexec_b32 s9, s4
	s_cbranch_execz .LBB249_1113
; %bb.1106:                             ;   in Loop: Header=BB249_799 Depth=1
	v_bfrev_b32_e32 v16, 1
	v_mov_b32_e32 v17, 0
	v_cmp_ne_u16_sdwa s4, v12, v70 src0_sel:BYTE_0 src1_sel:DWORD
	s_and_saveexec_b32 s11, s4
	s_cbranch_execz .LBB249_1112
; %bb.1107:                             ;   in Loop: Header=BB249_799 Depth=1
	v_mov_b32_e32 v16, 0x7f800001
	v_and_b32_e32 v10, 0x7f, v12
	v_mov_b32_e32 v17, 0
	s_mov_b32 s12, exec_lo
	v_cmpx_ne_u32_e32 0x7f, v10
	s_cbranch_execz .LBB249_1111
; %bb.1108:                             ;   in Loop: Header=BB249_799 Depth=1
	v_and_b32_e32 v6, 7, v12
	v_lshrrev_b32_e32 v8, 3, v10
	s_mov_b32 s13, exec_lo
	v_cmpx_gt_u32_e32 8, v10
; %bb.1109:                             ;   in Loop: Header=BB249_799 Depth=1
	v_ffbh_u32_e32 v8, v6
	v_min_u32_e32 v8, 32, v8
	v_subrev_nc_u32_e32 v10, 28, v8
	v_sub_nc_u32_e32 v8, 29, v8
	v_lshlrev_b64 v[16:17], v10, v[6:7]
	v_and_b32_e32 v6, 7, v16
; %bb.1110:                             ;   in Loop: Header=BB249_799 Depth=1
	s_or_b32 exec_lo, exec_lo, s13
	v_lshlrev_b32_e32 v10, 24, v12
	v_lshlrev_b32_e32 v6, 20, v6
	v_lshl_add_u32 v8, v8, 23, 0x3c000000
	v_and_b32_e32 v10, 0x80000000, v10
	v_or3_b32 v6, v6, v10, v8
	v_mov_b32_e32 v17, v7
	v_mov_b32_e32 v16, v6
.LBB249_1111:                           ;   in Loop: Header=BB249_799 Depth=1
	s_or_b32 exec_lo, exec_lo, s12
.LBB249_1112:                           ;   in Loop: Header=BB249_799 Depth=1
	s_or_b32 exec_lo, exec_lo, s11
.LBB249_1113:                           ;   in Loop: Header=BB249_799 Depth=1
	s_or_b32 exec_lo, exec_lo, s9
	v_cmp_ne_u16_sdwa s4, v12, v7 src0_sel:BYTE_1 src1_sel:DWORD
	s_and_saveexec_b32 s9, s4
	s_cbranch_execz .LBB249_1121
; %bb.1114:                             ;   in Loop: Header=BB249_799 Depth=1
	v_mov_b32_e32 v8, v7
	v_mov_b32_e32 v19, v9
	v_cmp_ne_u16_sdwa s4, v12, v70 src0_sel:BYTE_1 src1_sel:DWORD
	v_mov_b32_e32 v18, v8
	s_and_saveexec_b32 s11, s4
	s_cbranch_execz .LBB249_1120
; %bb.1115:                             ;   in Loop: Header=BB249_799 Depth=1
	v_mov_b32_e32 v6, 0xffff
	v_mov_b32_e32 v10, v7
	;; [unrolled: 1-line block ×3, first 2 shown]
	s_mov_b32 s12, exec_lo
	v_and_b32_sdwa v6, v6, v12 dst_sel:DWORD dst_unused:UNUSED_PAD src0_sel:DWORD src1_sel:BYTE_1
	v_mov_b32_e32 v18, v10
	v_and_b32_e32 v13, 0x7f, v6
	v_cmpx_ne_u32_e32 0x7f, v13
	s_cbranch_execz .LBB249_1119
; %bb.1116:                             ;   in Loop: Header=BB249_799 Depth=1
	v_and_b32_e32 v6, 7, v6
	v_lshrrev_b32_e32 v8, 3, v13
	s_mov_b32 s13, exec_lo
	v_cmpx_gt_u32_e32 8, v13
; %bb.1117:                             ;   in Loop: Header=BB249_799 Depth=1
	v_ffbh_u32_e32 v8, v6
	v_min_u32_e32 v8, 32, v8
	v_subrev_nc_u32_e32 v10, 28, v8
	v_sub_nc_u32_e32 v8, 29, v8
	v_lshlrev_b64 v[18:19], v10, v[6:7]
	v_and_b32_e32 v6, 7, v18
; %bb.1118:                             ;   in Loop: Header=BB249_799 Depth=1
	s_or_b32 exec_lo, exec_lo, s13
	v_lshlrev_b32_e32 v10, 16, v12
	v_lshlrev_b32_e32 v6, 20, v6
	v_lshl_add_u32 v8, v8, 23, 0x3c000000
	v_mov_b32_e32 v18, v7
	v_and_b32_e32 v10, 0x80000000, v10
	v_or3_b32 v19, v6, v10, v8
.LBB249_1119:                           ;   in Loop: Header=BB249_799 Depth=1
	s_or_b32 exec_lo, exec_lo, s12
.LBB249_1120:                           ;   in Loop: Header=BB249_799 Depth=1
	s_or_b32 exec_lo, exec_lo, s11
.LBB249_1121:                           ;   in Loop: Header=BB249_799 Depth=1
	s_or_b32 exec_lo, exec_lo, s9
	v_mov_b32_e32 v22, 0
	v_mov_b32_e32 v20, 0
	v_and_b32_sdwa v6, v12, v80 dst_sel:DWORD dst_unused:UNUSED_PAD src0_sel:WORD_1 src1_sel:DWORD
	v_mov_b32_e32 v23, 0
	v_mov_b32_e32 v21, 0
	s_mov_b32 s9, exec_lo
	v_cmpx_ne_u16_e32 0, v6
	s_cbranch_execz .LBB249_1129
; %bb.1122:                             ;   in Loop: Header=BB249_799 Depth=1
	v_bfrev_b32_e32 v20, 1
	v_mov_b32_e32 v21, 0
	s_mov_b32 s11, exec_lo
	v_cmpx_ne_u16_e32 0x80, v6
	s_cbranch_execz .LBB249_1128
; %bb.1123:                             ;   in Loop: Header=BB249_799 Depth=1
	v_mov_b32_e32 v20, 0x7f800001
	v_bfe_u32 v10, v12, 16, 7
	v_mov_b32_e32 v21, 0
	s_mov_b32 s12, exec_lo
	v_cmpx_ne_u32_e32 0x7f, v10
	s_cbranch_execz .LBB249_1127
; %bb.1124:                             ;   in Loop: Header=BB249_799 Depth=1
	v_mov_b32_e32 v6, 7
	v_lshrrev_b32_e32 v8, 3, v10
	s_mov_b32 s13, exec_lo
	v_and_b32_sdwa v6, v12, v6 dst_sel:DWORD dst_unused:UNUSED_PAD src0_sel:WORD_1 src1_sel:DWORD
	v_cmpx_gt_u32_e32 8, v10
; %bb.1125:                             ;   in Loop: Header=BB249_799 Depth=1
	v_ffbh_u32_e32 v8, v6
	v_min_u32_e32 v8, 32, v8
	v_subrev_nc_u32_e32 v10, 28, v8
	v_sub_nc_u32_e32 v8, 29, v8
	v_lshlrev_b64 v[20:21], v10, v[6:7]
	v_and_b32_e32 v6, 7, v20
; %bb.1126:                             ;   in Loop: Header=BB249_799 Depth=1
	s_or_b32 exec_lo, exec_lo, s13
	v_mov_b32_e32 v10, 24
	v_lshlrev_b32_e32 v6, 20, v6
	v_lshl_add_u32 v8, v8, 23, 0x3c000000
	v_lshlrev_b32_sdwa v10, v10, v12 dst_sel:DWORD dst_unused:UNUSED_PAD src0_sel:DWORD src1_sel:WORD_1
	v_and_b32_e32 v10, 0x80000000, v10
	v_or3_b32 v6, v6, v10, v8
	v_mov_b32_e32 v21, v7
	v_mov_b32_e32 v20, v6
.LBB249_1127:                           ;   in Loop: Header=BB249_799 Depth=1
	s_or_b32 exec_lo, exec_lo, s12
.LBB249_1128:                           ;   in Loop: Header=BB249_799 Depth=1
	s_or_b32 exec_lo, exec_lo, s11
.LBB249_1129:                           ;   in Loop: Header=BB249_799 Depth=1
	s_or_b32 exec_lo, exec_lo, s9
	s_mov_b32 s9, exec_lo
	v_cmpx_lt_u32_e32 0xffffff, v12
	s_cbranch_execz .LBB249_1137
; %bb.1130:                             ;   in Loop: Header=BB249_799 Depth=1
	v_mov_b32_e32 v8, v7
	v_mov_b32_e32 v23, v9
	v_cmp_ne_u32_sdwa s4, v12, v70 src0_sel:BYTE_3 src1_sel:DWORD
	v_mov_b32_e32 v22, v8
	s_and_saveexec_b32 s11, s4
	s_cbranch_execz .LBB249_1136
; %bb.1131:                             ;   in Loop: Header=BB249_799 Depth=1
	v_mov_b32_e32 v10, v7
	v_mov_b32_e32 v23, v11
	v_bfe_u32 v13, v12, 24, 7
	s_mov_b32 s12, exec_lo
	v_mov_b32_e32 v22, v10
	v_cmpx_ne_u32_e32 0x7f, v13
	s_cbranch_execz .LBB249_1135
; %bb.1132:                             ;   in Loop: Header=BB249_799 Depth=1
	v_mov_b32_e32 v6, 7
	v_lshrrev_b32_e32 v8, 3, v13
	s_mov_b32 s13, exec_lo
	v_and_b32_sdwa v6, v12, v6 dst_sel:DWORD dst_unused:UNUSED_PAD src0_sel:BYTE_3 src1_sel:DWORD
	v_cmpx_gt_u32_e32 8, v13
; %bb.1133:                             ;   in Loop: Header=BB249_799 Depth=1
	v_ffbh_u32_e32 v8, v6
	v_min_u32_e32 v8, 32, v8
	v_subrev_nc_u32_e32 v10, 28, v8
	v_sub_nc_u32_e32 v8, 29, v8
	v_lshlrev_b64 v[22:23], v10, v[6:7]
	v_and_b32_e32 v6, 7, v22
; %bb.1134:                             ;   in Loop: Header=BB249_799 Depth=1
	s_or_b32 exec_lo, exec_lo, s13
	v_mov_b32_e32 v10, 24
	v_lshlrev_b32_e32 v6, 20, v6
	v_lshl_add_u32 v8, v8, 23, 0x3c000000
	v_mov_b32_e32 v22, v7
	v_lshlrev_b32_sdwa v10, v10, v12 dst_sel:DWORD dst_unused:UNUSED_PAD src0_sel:DWORD src1_sel:BYTE_3
	v_and_b32_e32 v10, 0x80000000, v10
	v_or3_b32 v23, v6, v10, v8
.LBB249_1135:                           ;   in Loop: Header=BB249_799 Depth=1
	s_or_b32 exec_lo, exec_lo, s12
.LBB249_1136:                           ;   in Loop: Header=BB249_799 Depth=1
	s_or_b32 exec_lo, exec_lo, s11
.LBB249_1137:                           ;   in Loop: Header=BB249_799 Depth=1
	s_or_b32 exec_lo, exec_lo, s9
	v_or_b32_e32 v6, v19, v17
	v_or_b32_e32 v8, v18, v16
	;; [unrolled: 1-line block ×4, first 2 shown]
	v_mul_f32_e32 v89, v85, v6
	v_mul_f32_e32 v88, v68, v8
	;; [unrolled: 1-line block ×4, first 2 shown]
	s_and_saveexec_b32 s9, vcc_lo
	s_cbranch_execz .LBB249_1139
; %bb.1138:                             ;   in Loop: Header=BB249_799 Depth=1
	v_cmp_lt_i32_e64 s4, v103, v102
	v_cndmask_b32_e64 v88, 0, v88, s4
	v_cmp_lt_i32_e64 s4, v113, v102
	v_cndmask_b32_e64 v89, 0, v89, s4
	;; [unrolled: 2-line block ×4, first 2 shown]
.LBB249_1139:                           ;   in Loop: Header=BB249_799 Depth=1
	s_or_b32 exec_lo, exec_lo, s9
	flat_load_dword v12, v[4:5] offset:1280
	v_mov_b32_e32 v18, 0
	v_mov_b32_e32 v16, 0
	v_mov_b32_e32 v19, 0
	v_mov_b32_e32 v17, 0
	s_waitcnt vmcnt(0) lgkmcnt(0)
	v_cmp_ne_u16_sdwa s4, v12, v7 src0_sel:BYTE_0 src1_sel:DWORD
	s_and_saveexec_b32 s9, s4
	s_cbranch_execz .LBB249_1147
; %bb.1140:                             ;   in Loop: Header=BB249_799 Depth=1
	v_bfrev_b32_e32 v16, 1
	v_mov_b32_e32 v17, 0
	v_cmp_ne_u16_sdwa s4, v12, v70 src0_sel:BYTE_0 src1_sel:DWORD
	s_and_saveexec_b32 s11, s4
	s_cbranch_execz .LBB249_1146
; %bb.1141:                             ;   in Loop: Header=BB249_799 Depth=1
	v_mov_b32_e32 v16, 0x7f800001
	v_and_b32_e32 v10, 0x7f, v12
	v_mov_b32_e32 v17, 0
	s_mov_b32 s12, exec_lo
	v_cmpx_ne_u32_e32 0x7f, v10
	s_cbranch_execz .LBB249_1145
; %bb.1142:                             ;   in Loop: Header=BB249_799 Depth=1
	v_and_b32_e32 v6, 7, v12
	v_lshrrev_b32_e32 v8, 3, v10
	s_mov_b32 s13, exec_lo
	v_cmpx_gt_u32_e32 8, v10
; %bb.1143:                             ;   in Loop: Header=BB249_799 Depth=1
	v_ffbh_u32_e32 v8, v6
	v_min_u32_e32 v8, 32, v8
	v_subrev_nc_u32_e32 v10, 28, v8
	v_sub_nc_u32_e32 v8, 29, v8
	v_lshlrev_b64 v[16:17], v10, v[6:7]
	v_and_b32_e32 v6, 7, v16
; %bb.1144:                             ;   in Loop: Header=BB249_799 Depth=1
	s_or_b32 exec_lo, exec_lo, s13
	v_lshlrev_b32_e32 v10, 24, v12
	v_lshlrev_b32_e32 v6, 20, v6
	v_lshl_add_u32 v8, v8, 23, 0x3c000000
	v_and_b32_e32 v10, 0x80000000, v10
	v_or3_b32 v6, v6, v10, v8
	v_mov_b32_e32 v17, v7
	v_mov_b32_e32 v16, v6
.LBB249_1145:                           ;   in Loop: Header=BB249_799 Depth=1
	s_or_b32 exec_lo, exec_lo, s12
.LBB249_1146:                           ;   in Loop: Header=BB249_799 Depth=1
	s_or_b32 exec_lo, exec_lo, s11
.LBB249_1147:                           ;   in Loop: Header=BB249_799 Depth=1
	s_or_b32 exec_lo, exec_lo, s9
	v_cmp_ne_u16_sdwa s4, v12, v7 src0_sel:BYTE_1 src1_sel:DWORD
	s_and_saveexec_b32 s9, s4
	s_cbranch_execz .LBB249_1155
; %bb.1148:                             ;   in Loop: Header=BB249_799 Depth=1
	v_mov_b32_e32 v8, v7
	v_mov_b32_e32 v19, v9
	v_cmp_ne_u16_sdwa s4, v12, v70 src0_sel:BYTE_1 src1_sel:DWORD
	v_mov_b32_e32 v18, v8
	s_and_saveexec_b32 s11, s4
	s_cbranch_execz .LBB249_1154
; %bb.1149:                             ;   in Loop: Header=BB249_799 Depth=1
	v_mov_b32_e32 v6, 0xffff
	v_mov_b32_e32 v10, v7
	;; [unrolled: 1-line block ×3, first 2 shown]
	s_mov_b32 s12, exec_lo
	v_and_b32_sdwa v6, v6, v12 dst_sel:DWORD dst_unused:UNUSED_PAD src0_sel:DWORD src1_sel:BYTE_1
	v_mov_b32_e32 v18, v10
	v_and_b32_e32 v13, 0x7f, v6
	v_cmpx_ne_u32_e32 0x7f, v13
	s_cbranch_execz .LBB249_1153
; %bb.1150:                             ;   in Loop: Header=BB249_799 Depth=1
	v_and_b32_e32 v6, 7, v6
	v_lshrrev_b32_e32 v8, 3, v13
	s_mov_b32 s13, exec_lo
	v_cmpx_gt_u32_e32 8, v13
; %bb.1151:                             ;   in Loop: Header=BB249_799 Depth=1
	v_ffbh_u32_e32 v8, v6
	v_min_u32_e32 v8, 32, v8
	v_subrev_nc_u32_e32 v10, 28, v8
	v_sub_nc_u32_e32 v8, 29, v8
	v_lshlrev_b64 v[18:19], v10, v[6:7]
	v_and_b32_e32 v6, 7, v18
; %bb.1152:                             ;   in Loop: Header=BB249_799 Depth=1
	s_or_b32 exec_lo, exec_lo, s13
	v_lshlrev_b32_e32 v10, 16, v12
	v_lshlrev_b32_e32 v6, 20, v6
	v_lshl_add_u32 v8, v8, 23, 0x3c000000
	v_mov_b32_e32 v18, v7
	v_and_b32_e32 v10, 0x80000000, v10
	v_or3_b32 v19, v6, v10, v8
.LBB249_1153:                           ;   in Loop: Header=BB249_799 Depth=1
	s_or_b32 exec_lo, exec_lo, s12
.LBB249_1154:                           ;   in Loop: Header=BB249_799 Depth=1
	s_or_b32 exec_lo, exec_lo, s11
.LBB249_1155:                           ;   in Loop: Header=BB249_799 Depth=1
	s_or_b32 exec_lo, exec_lo, s9
	v_mov_b32_e32 v22, 0
	v_mov_b32_e32 v20, 0
	v_and_b32_sdwa v6, v12, v80 dst_sel:DWORD dst_unused:UNUSED_PAD src0_sel:WORD_1 src1_sel:DWORD
	v_mov_b32_e32 v23, 0
	v_mov_b32_e32 v21, 0
	s_mov_b32 s9, exec_lo
	v_cmpx_ne_u16_e32 0, v6
	s_cbranch_execz .LBB249_1163
; %bb.1156:                             ;   in Loop: Header=BB249_799 Depth=1
	v_bfrev_b32_e32 v20, 1
	v_mov_b32_e32 v21, 0
	s_mov_b32 s11, exec_lo
	v_cmpx_ne_u16_e32 0x80, v6
	s_cbranch_execz .LBB249_1162
; %bb.1157:                             ;   in Loop: Header=BB249_799 Depth=1
	v_mov_b32_e32 v20, 0x7f800001
	v_bfe_u32 v10, v12, 16, 7
	v_mov_b32_e32 v21, 0
	s_mov_b32 s12, exec_lo
	v_cmpx_ne_u32_e32 0x7f, v10
	s_cbranch_execz .LBB249_1161
; %bb.1158:                             ;   in Loop: Header=BB249_799 Depth=1
	v_mov_b32_e32 v6, 7
	v_lshrrev_b32_e32 v8, 3, v10
	s_mov_b32 s13, exec_lo
	v_and_b32_sdwa v6, v12, v6 dst_sel:DWORD dst_unused:UNUSED_PAD src0_sel:WORD_1 src1_sel:DWORD
	v_cmpx_gt_u32_e32 8, v10
; %bb.1159:                             ;   in Loop: Header=BB249_799 Depth=1
	v_ffbh_u32_e32 v8, v6
	v_min_u32_e32 v8, 32, v8
	v_subrev_nc_u32_e32 v10, 28, v8
	v_sub_nc_u32_e32 v8, 29, v8
	v_lshlrev_b64 v[20:21], v10, v[6:7]
	v_and_b32_e32 v6, 7, v20
; %bb.1160:                             ;   in Loop: Header=BB249_799 Depth=1
	s_or_b32 exec_lo, exec_lo, s13
	v_mov_b32_e32 v10, 24
	v_lshlrev_b32_e32 v6, 20, v6
	v_lshl_add_u32 v8, v8, 23, 0x3c000000
	v_lshlrev_b32_sdwa v10, v10, v12 dst_sel:DWORD dst_unused:UNUSED_PAD src0_sel:DWORD src1_sel:WORD_1
	v_and_b32_e32 v10, 0x80000000, v10
	v_or3_b32 v6, v6, v10, v8
	v_mov_b32_e32 v21, v7
	v_mov_b32_e32 v20, v6
.LBB249_1161:                           ;   in Loop: Header=BB249_799 Depth=1
	s_or_b32 exec_lo, exec_lo, s12
.LBB249_1162:                           ;   in Loop: Header=BB249_799 Depth=1
	s_or_b32 exec_lo, exec_lo, s11
.LBB249_1163:                           ;   in Loop: Header=BB249_799 Depth=1
	s_or_b32 exec_lo, exec_lo, s9
	s_mov_b32 s9, exec_lo
	v_cmpx_lt_u32_e32 0xffffff, v12
	s_cbranch_execz .LBB249_1171
; %bb.1164:                             ;   in Loop: Header=BB249_799 Depth=1
	v_mov_b32_e32 v8, v7
	v_mov_b32_e32 v23, v9
	v_cmp_ne_u32_sdwa s4, v12, v70 src0_sel:BYTE_3 src1_sel:DWORD
	v_mov_b32_e32 v22, v8
	s_and_saveexec_b32 s11, s4
	s_cbranch_execz .LBB249_1170
; %bb.1165:                             ;   in Loop: Header=BB249_799 Depth=1
	v_mov_b32_e32 v10, v7
	v_mov_b32_e32 v23, v11
	v_bfe_u32 v13, v12, 24, 7
	s_mov_b32 s12, exec_lo
	v_mov_b32_e32 v22, v10
	v_cmpx_ne_u32_e32 0x7f, v13
	s_cbranch_execz .LBB249_1169
; %bb.1166:                             ;   in Loop: Header=BB249_799 Depth=1
	v_mov_b32_e32 v6, 7
	v_lshrrev_b32_e32 v8, 3, v13
	s_mov_b32 s13, exec_lo
	v_and_b32_sdwa v6, v12, v6 dst_sel:DWORD dst_unused:UNUSED_PAD src0_sel:BYTE_3 src1_sel:DWORD
	v_cmpx_gt_u32_e32 8, v13
; %bb.1167:                             ;   in Loop: Header=BB249_799 Depth=1
	v_ffbh_u32_e32 v8, v6
	v_min_u32_e32 v8, 32, v8
	v_subrev_nc_u32_e32 v10, 28, v8
	v_sub_nc_u32_e32 v8, 29, v8
	v_lshlrev_b64 v[22:23], v10, v[6:7]
	v_and_b32_e32 v6, 7, v22
; %bb.1168:                             ;   in Loop: Header=BB249_799 Depth=1
	s_or_b32 exec_lo, exec_lo, s13
	v_mov_b32_e32 v10, 24
	v_lshlrev_b32_e32 v6, 20, v6
	v_lshl_add_u32 v8, v8, 23, 0x3c000000
	v_mov_b32_e32 v22, v7
	v_lshlrev_b32_sdwa v10, v10, v12 dst_sel:DWORD dst_unused:UNUSED_PAD src0_sel:DWORD src1_sel:BYTE_3
	v_and_b32_e32 v10, 0x80000000, v10
	v_or3_b32 v23, v6, v10, v8
.LBB249_1169:                           ;   in Loop: Header=BB249_799 Depth=1
	s_or_b32 exec_lo, exec_lo, s12
.LBB249_1170:                           ;   in Loop: Header=BB249_799 Depth=1
	s_or_b32 exec_lo, exec_lo, s11
.LBB249_1171:                           ;   in Loop: Header=BB249_799 Depth=1
	s_or_b32 exec_lo, exec_lo, s9
	v_or_b32_e32 v6, v19, v17
	v_or_b32_e32 v8, v18, v16
	;; [unrolled: 1-line block ×4, first 2 shown]
	v_mul_f32_e32 v92, v85, v6
	v_mul_f32_e32 v93, v68, v8
	;; [unrolled: 1-line block ×4, first 2 shown]
	s_and_saveexec_b32 s9, vcc_lo
	s_cbranch_execz .LBB249_1173
; %bb.1172:                             ;   in Loop: Header=BB249_799 Depth=1
	v_cmp_lt_i32_e64 s4, v103, v102
	v_cndmask_b32_e64 v93, 0, v93, s4
	v_cmp_lt_i32_e64 s4, v113, v102
	v_cndmask_b32_e64 v92, 0, v92, s4
	;; [unrolled: 2-line block ×4, first 2 shown]
.LBB249_1173:                           ;   in Loop: Header=BB249_799 Depth=1
	s_or_b32 exec_lo, exec_lo, s9
	flat_load_dword v12, v[4:5] offset:1408
	v_mov_b32_e32 v18, 0
	v_mov_b32_e32 v16, 0
	;; [unrolled: 1-line block ×4, first 2 shown]
	s_waitcnt vmcnt(0) lgkmcnt(0)
	v_cmp_ne_u16_sdwa s4, v12, v7 src0_sel:BYTE_0 src1_sel:DWORD
	s_and_saveexec_b32 s9, s4
	s_cbranch_execz .LBB249_1181
; %bb.1174:                             ;   in Loop: Header=BB249_799 Depth=1
	v_bfrev_b32_e32 v16, 1
	v_mov_b32_e32 v17, 0
	v_cmp_ne_u16_sdwa s4, v12, v70 src0_sel:BYTE_0 src1_sel:DWORD
	s_and_saveexec_b32 s11, s4
	s_cbranch_execz .LBB249_1180
; %bb.1175:                             ;   in Loop: Header=BB249_799 Depth=1
	v_mov_b32_e32 v16, 0x7f800001
	v_and_b32_e32 v10, 0x7f, v12
	v_mov_b32_e32 v17, 0
	s_mov_b32 s12, exec_lo
	v_cmpx_ne_u32_e32 0x7f, v10
	s_cbranch_execz .LBB249_1179
; %bb.1176:                             ;   in Loop: Header=BB249_799 Depth=1
	v_and_b32_e32 v6, 7, v12
	v_lshrrev_b32_e32 v8, 3, v10
	s_mov_b32 s13, exec_lo
	v_cmpx_gt_u32_e32 8, v10
; %bb.1177:                             ;   in Loop: Header=BB249_799 Depth=1
	v_ffbh_u32_e32 v8, v6
	v_min_u32_e32 v8, 32, v8
	v_subrev_nc_u32_e32 v10, 28, v8
	v_sub_nc_u32_e32 v8, 29, v8
	v_lshlrev_b64 v[16:17], v10, v[6:7]
	v_and_b32_e32 v6, 7, v16
; %bb.1178:                             ;   in Loop: Header=BB249_799 Depth=1
	s_or_b32 exec_lo, exec_lo, s13
	v_lshlrev_b32_e32 v10, 24, v12
	v_lshlrev_b32_e32 v6, 20, v6
	v_lshl_add_u32 v8, v8, 23, 0x3c000000
	v_and_b32_e32 v10, 0x80000000, v10
	v_or3_b32 v6, v6, v10, v8
	v_mov_b32_e32 v17, v7
	v_mov_b32_e32 v16, v6
.LBB249_1179:                           ;   in Loop: Header=BB249_799 Depth=1
	s_or_b32 exec_lo, exec_lo, s12
.LBB249_1180:                           ;   in Loop: Header=BB249_799 Depth=1
	s_or_b32 exec_lo, exec_lo, s11
.LBB249_1181:                           ;   in Loop: Header=BB249_799 Depth=1
	s_or_b32 exec_lo, exec_lo, s9
	v_cmp_ne_u16_sdwa s4, v12, v7 src0_sel:BYTE_1 src1_sel:DWORD
	s_and_saveexec_b32 s9, s4
	s_cbranch_execz .LBB249_1189
; %bb.1182:                             ;   in Loop: Header=BB249_799 Depth=1
	v_mov_b32_e32 v8, v7
	v_mov_b32_e32 v19, v9
	v_cmp_ne_u16_sdwa s4, v12, v70 src0_sel:BYTE_1 src1_sel:DWORD
	v_mov_b32_e32 v18, v8
	s_and_saveexec_b32 s11, s4
	s_cbranch_execz .LBB249_1188
; %bb.1183:                             ;   in Loop: Header=BB249_799 Depth=1
	v_mov_b32_e32 v6, 0xffff
	v_mov_b32_e32 v10, v7
	;; [unrolled: 1-line block ×3, first 2 shown]
	s_mov_b32 s12, exec_lo
	v_and_b32_sdwa v6, v6, v12 dst_sel:DWORD dst_unused:UNUSED_PAD src0_sel:DWORD src1_sel:BYTE_1
	v_mov_b32_e32 v18, v10
	v_and_b32_e32 v13, 0x7f, v6
	v_cmpx_ne_u32_e32 0x7f, v13
	s_cbranch_execz .LBB249_1187
; %bb.1184:                             ;   in Loop: Header=BB249_799 Depth=1
	v_and_b32_e32 v6, 7, v6
	v_lshrrev_b32_e32 v8, 3, v13
	s_mov_b32 s13, exec_lo
	v_cmpx_gt_u32_e32 8, v13
; %bb.1185:                             ;   in Loop: Header=BB249_799 Depth=1
	v_ffbh_u32_e32 v8, v6
	v_min_u32_e32 v8, 32, v8
	v_subrev_nc_u32_e32 v10, 28, v8
	v_sub_nc_u32_e32 v8, 29, v8
	v_lshlrev_b64 v[18:19], v10, v[6:7]
	v_and_b32_e32 v6, 7, v18
; %bb.1186:                             ;   in Loop: Header=BB249_799 Depth=1
	s_or_b32 exec_lo, exec_lo, s13
	v_lshlrev_b32_e32 v10, 16, v12
	v_lshlrev_b32_e32 v6, 20, v6
	v_lshl_add_u32 v8, v8, 23, 0x3c000000
	v_mov_b32_e32 v18, v7
	v_and_b32_e32 v10, 0x80000000, v10
	v_or3_b32 v19, v6, v10, v8
.LBB249_1187:                           ;   in Loop: Header=BB249_799 Depth=1
	s_or_b32 exec_lo, exec_lo, s12
.LBB249_1188:                           ;   in Loop: Header=BB249_799 Depth=1
	s_or_b32 exec_lo, exec_lo, s11
.LBB249_1189:                           ;   in Loop: Header=BB249_799 Depth=1
	s_or_b32 exec_lo, exec_lo, s9
	v_mov_b32_e32 v22, 0
	v_mov_b32_e32 v20, 0
	v_and_b32_sdwa v6, v12, v80 dst_sel:DWORD dst_unused:UNUSED_PAD src0_sel:WORD_1 src1_sel:DWORD
	v_mov_b32_e32 v23, 0
	v_mov_b32_e32 v21, 0
	s_mov_b32 s9, exec_lo
	v_cmpx_ne_u16_e32 0, v6
	s_cbranch_execz .LBB249_1197
; %bb.1190:                             ;   in Loop: Header=BB249_799 Depth=1
	v_bfrev_b32_e32 v20, 1
	v_mov_b32_e32 v21, 0
	s_mov_b32 s11, exec_lo
	v_cmpx_ne_u16_e32 0x80, v6
	s_cbranch_execz .LBB249_1196
; %bb.1191:                             ;   in Loop: Header=BB249_799 Depth=1
	v_mov_b32_e32 v20, 0x7f800001
	v_bfe_u32 v10, v12, 16, 7
	v_mov_b32_e32 v21, 0
	s_mov_b32 s12, exec_lo
	v_cmpx_ne_u32_e32 0x7f, v10
	s_cbranch_execz .LBB249_1195
; %bb.1192:                             ;   in Loop: Header=BB249_799 Depth=1
	v_mov_b32_e32 v6, 7
	v_lshrrev_b32_e32 v8, 3, v10
	s_mov_b32 s13, exec_lo
	v_and_b32_sdwa v6, v12, v6 dst_sel:DWORD dst_unused:UNUSED_PAD src0_sel:WORD_1 src1_sel:DWORD
	v_cmpx_gt_u32_e32 8, v10
; %bb.1193:                             ;   in Loop: Header=BB249_799 Depth=1
	v_ffbh_u32_e32 v8, v6
	v_min_u32_e32 v8, 32, v8
	v_subrev_nc_u32_e32 v10, 28, v8
	v_sub_nc_u32_e32 v8, 29, v8
	v_lshlrev_b64 v[20:21], v10, v[6:7]
	v_and_b32_e32 v6, 7, v20
; %bb.1194:                             ;   in Loop: Header=BB249_799 Depth=1
	s_or_b32 exec_lo, exec_lo, s13
	v_mov_b32_e32 v10, 24
	v_lshlrev_b32_e32 v6, 20, v6
	v_lshl_add_u32 v8, v8, 23, 0x3c000000
	v_lshlrev_b32_sdwa v10, v10, v12 dst_sel:DWORD dst_unused:UNUSED_PAD src0_sel:DWORD src1_sel:WORD_1
	v_and_b32_e32 v10, 0x80000000, v10
	v_or3_b32 v6, v6, v10, v8
	v_mov_b32_e32 v21, v7
	v_mov_b32_e32 v20, v6
.LBB249_1195:                           ;   in Loop: Header=BB249_799 Depth=1
	s_or_b32 exec_lo, exec_lo, s12
.LBB249_1196:                           ;   in Loop: Header=BB249_799 Depth=1
	s_or_b32 exec_lo, exec_lo, s11
.LBB249_1197:                           ;   in Loop: Header=BB249_799 Depth=1
	s_or_b32 exec_lo, exec_lo, s9
	s_mov_b32 s9, exec_lo
	v_cmpx_lt_u32_e32 0xffffff, v12
	s_cbranch_execz .LBB249_1205
; %bb.1198:                             ;   in Loop: Header=BB249_799 Depth=1
	v_mov_b32_e32 v8, v7
	v_mov_b32_e32 v23, v9
	v_cmp_ne_u32_sdwa s4, v12, v70 src0_sel:BYTE_3 src1_sel:DWORD
	v_mov_b32_e32 v22, v8
	s_and_saveexec_b32 s11, s4
	s_cbranch_execz .LBB249_1204
; %bb.1199:                             ;   in Loop: Header=BB249_799 Depth=1
	v_mov_b32_e32 v10, v7
	v_mov_b32_e32 v23, v11
	v_bfe_u32 v13, v12, 24, 7
	s_mov_b32 s12, exec_lo
	v_mov_b32_e32 v22, v10
	v_cmpx_ne_u32_e32 0x7f, v13
	s_cbranch_execz .LBB249_1203
; %bb.1200:                             ;   in Loop: Header=BB249_799 Depth=1
	v_mov_b32_e32 v6, 7
	v_lshrrev_b32_e32 v8, 3, v13
	s_mov_b32 s13, exec_lo
	v_and_b32_sdwa v6, v12, v6 dst_sel:DWORD dst_unused:UNUSED_PAD src0_sel:BYTE_3 src1_sel:DWORD
	v_cmpx_gt_u32_e32 8, v13
; %bb.1201:                             ;   in Loop: Header=BB249_799 Depth=1
	v_ffbh_u32_e32 v8, v6
	v_min_u32_e32 v8, 32, v8
	v_subrev_nc_u32_e32 v10, 28, v8
	v_sub_nc_u32_e32 v8, 29, v8
	v_lshlrev_b64 v[22:23], v10, v[6:7]
	v_and_b32_e32 v6, 7, v22
; %bb.1202:                             ;   in Loop: Header=BB249_799 Depth=1
	s_or_b32 exec_lo, exec_lo, s13
	v_mov_b32_e32 v10, 24
	v_lshlrev_b32_e32 v6, 20, v6
	v_lshl_add_u32 v8, v8, 23, 0x3c000000
	v_mov_b32_e32 v22, v7
	v_lshlrev_b32_sdwa v10, v10, v12 dst_sel:DWORD dst_unused:UNUSED_PAD src0_sel:DWORD src1_sel:BYTE_3
	v_and_b32_e32 v10, 0x80000000, v10
	v_or3_b32 v23, v6, v10, v8
.LBB249_1203:                           ;   in Loop: Header=BB249_799 Depth=1
	s_or_b32 exec_lo, exec_lo, s12
.LBB249_1204:                           ;   in Loop: Header=BB249_799 Depth=1
	s_or_b32 exec_lo, exec_lo, s11
.LBB249_1205:                           ;   in Loop: Header=BB249_799 Depth=1
	s_or_b32 exec_lo, exec_lo, s9
	v_or_b32_e32 v6, v19, v17
	v_or_b32_e32 v8, v18, v16
	;; [unrolled: 1-line block ×4, first 2 shown]
	v_mul_f32_e32 v104, v85, v6
	v_mul_f32_e32 v105, v68, v8
	;; [unrolled: 1-line block ×4, first 2 shown]
	s_and_saveexec_b32 s9, vcc_lo
	s_cbranch_execz .LBB249_1207
; %bb.1206:                             ;   in Loop: Header=BB249_799 Depth=1
	v_cmp_lt_i32_e64 s4, v103, v102
	v_cndmask_b32_e64 v105, 0, v105, s4
	v_cmp_lt_i32_e64 s4, v113, v102
	v_cndmask_b32_e64 v104, 0, v104, s4
	;; [unrolled: 2-line block ×4, first 2 shown]
.LBB249_1207:                           ;   in Loop: Header=BB249_799 Depth=1
	s_or_b32 exec_lo, exec_lo, s9
	flat_load_dword v12, v[4:5] offset:1536
	v_mov_b32_e32 v18, 0
	v_mov_b32_e32 v16, 0
	;; [unrolled: 1-line block ×4, first 2 shown]
	s_waitcnt vmcnt(0) lgkmcnt(0)
	v_cmp_ne_u16_sdwa s4, v12, v7 src0_sel:BYTE_0 src1_sel:DWORD
	s_and_saveexec_b32 s9, s4
	s_cbranch_execz .LBB249_1215
; %bb.1208:                             ;   in Loop: Header=BB249_799 Depth=1
	v_bfrev_b32_e32 v16, 1
	v_mov_b32_e32 v17, 0
	v_cmp_ne_u16_sdwa s4, v12, v70 src0_sel:BYTE_0 src1_sel:DWORD
	s_and_saveexec_b32 s11, s4
	s_cbranch_execz .LBB249_1214
; %bb.1209:                             ;   in Loop: Header=BB249_799 Depth=1
	v_mov_b32_e32 v16, 0x7f800001
	v_and_b32_e32 v10, 0x7f, v12
	v_mov_b32_e32 v17, 0
	s_mov_b32 s12, exec_lo
	v_cmpx_ne_u32_e32 0x7f, v10
	s_cbranch_execz .LBB249_1213
; %bb.1210:                             ;   in Loop: Header=BB249_799 Depth=1
	v_and_b32_e32 v6, 7, v12
	v_lshrrev_b32_e32 v8, 3, v10
	s_mov_b32 s13, exec_lo
	v_cmpx_gt_u32_e32 8, v10
; %bb.1211:                             ;   in Loop: Header=BB249_799 Depth=1
	v_ffbh_u32_e32 v8, v6
	v_min_u32_e32 v8, 32, v8
	v_subrev_nc_u32_e32 v10, 28, v8
	v_sub_nc_u32_e32 v8, 29, v8
	v_lshlrev_b64 v[16:17], v10, v[6:7]
	v_and_b32_e32 v6, 7, v16
; %bb.1212:                             ;   in Loop: Header=BB249_799 Depth=1
	s_or_b32 exec_lo, exec_lo, s13
	v_lshlrev_b32_e32 v10, 24, v12
	v_lshlrev_b32_e32 v6, 20, v6
	v_lshl_add_u32 v8, v8, 23, 0x3c000000
	v_and_b32_e32 v10, 0x80000000, v10
	v_or3_b32 v6, v6, v10, v8
	v_mov_b32_e32 v17, v7
	v_mov_b32_e32 v16, v6
.LBB249_1213:                           ;   in Loop: Header=BB249_799 Depth=1
	s_or_b32 exec_lo, exec_lo, s12
.LBB249_1214:                           ;   in Loop: Header=BB249_799 Depth=1
	s_or_b32 exec_lo, exec_lo, s11
.LBB249_1215:                           ;   in Loop: Header=BB249_799 Depth=1
	s_or_b32 exec_lo, exec_lo, s9
	v_cmp_ne_u16_sdwa s4, v12, v7 src0_sel:BYTE_1 src1_sel:DWORD
	s_and_saveexec_b32 s9, s4
	s_cbranch_execz .LBB249_1223
; %bb.1216:                             ;   in Loop: Header=BB249_799 Depth=1
	v_mov_b32_e32 v8, v7
	v_mov_b32_e32 v19, v9
	v_cmp_ne_u16_sdwa s4, v12, v70 src0_sel:BYTE_1 src1_sel:DWORD
	v_mov_b32_e32 v18, v8
	s_and_saveexec_b32 s11, s4
	s_cbranch_execz .LBB249_1222
; %bb.1217:                             ;   in Loop: Header=BB249_799 Depth=1
	v_mov_b32_e32 v6, 0xffff
	v_mov_b32_e32 v10, v7
	;; [unrolled: 1-line block ×3, first 2 shown]
	s_mov_b32 s12, exec_lo
	v_and_b32_sdwa v6, v6, v12 dst_sel:DWORD dst_unused:UNUSED_PAD src0_sel:DWORD src1_sel:BYTE_1
	v_mov_b32_e32 v18, v10
	v_and_b32_e32 v13, 0x7f, v6
	v_cmpx_ne_u32_e32 0x7f, v13
	s_cbranch_execz .LBB249_1221
; %bb.1218:                             ;   in Loop: Header=BB249_799 Depth=1
	v_and_b32_e32 v6, 7, v6
	v_lshrrev_b32_e32 v8, 3, v13
	s_mov_b32 s13, exec_lo
	v_cmpx_gt_u32_e32 8, v13
; %bb.1219:                             ;   in Loop: Header=BB249_799 Depth=1
	v_ffbh_u32_e32 v8, v6
	v_min_u32_e32 v8, 32, v8
	v_subrev_nc_u32_e32 v10, 28, v8
	v_sub_nc_u32_e32 v8, 29, v8
	v_lshlrev_b64 v[18:19], v10, v[6:7]
	v_and_b32_e32 v6, 7, v18
; %bb.1220:                             ;   in Loop: Header=BB249_799 Depth=1
	s_or_b32 exec_lo, exec_lo, s13
	v_lshlrev_b32_e32 v10, 16, v12
	v_lshlrev_b32_e32 v6, 20, v6
	v_lshl_add_u32 v8, v8, 23, 0x3c000000
	v_mov_b32_e32 v18, v7
	v_and_b32_e32 v10, 0x80000000, v10
	v_or3_b32 v19, v6, v10, v8
.LBB249_1221:                           ;   in Loop: Header=BB249_799 Depth=1
	s_or_b32 exec_lo, exec_lo, s12
.LBB249_1222:                           ;   in Loop: Header=BB249_799 Depth=1
	s_or_b32 exec_lo, exec_lo, s11
.LBB249_1223:                           ;   in Loop: Header=BB249_799 Depth=1
	s_or_b32 exec_lo, exec_lo, s9
	v_mov_b32_e32 v22, 0
	v_mov_b32_e32 v20, 0
	v_and_b32_sdwa v6, v12, v80 dst_sel:DWORD dst_unused:UNUSED_PAD src0_sel:WORD_1 src1_sel:DWORD
	v_mov_b32_e32 v23, 0
	v_mov_b32_e32 v21, 0
	s_mov_b32 s9, exec_lo
	v_cmpx_ne_u16_e32 0, v6
	s_cbranch_execz .LBB249_1231
; %bb.1224:                             ;   in Loop: Header=BB249_799 Depth=1
	v_bfrev_b32_e32 v20, 1
	v_mov_b32_e32 v21, 0
	s_mov_b32 s11, exec_lo
	v_cmpx_ne_u16_e32 0x80, v6
	s_cbranch_execz .LBB249_1230
; %bb.1225:                             ;   in Loop: Header=BB249_799 Depth=1
	v_mov_b32_e32 v20, 0x7f800001
	v_bfe_u32 v10, v12, 16, 7
	v_mov_b32_e32 v21, 0
	s_mov_b32 s12, exec_lo
	v_cmpx_ne_u32_e32 0x7f, v10
	s_cbranch_execz .LBB249_1229
; %bb.1226:                             ;   in Loop: Header=BB249_799 Depth=1
	v_mov_b32_e32 v6, 7
	v_lshrrev_b32_e32 v8, 3, v10
	s_mov_b32 s13, exec_lo
	v_and_b32_sdwa v6, v12, v6 dst_sel:DWORD dst_unused:UNUSED_PAD src0_sel:WORD_1 src1_sel:DWORD
	v_cmpx_gt_u32_e32 8, v10
; %bb.1227:                             ;   in Loop: Header=BB249_799 Depth=1
	v_ffbh_u32_e32 v8, v6
	v_min_u32_e32 v8, 32, v8
	v_subrev_nc_u32_e32 v10, 28, v8
	v_sub_nc_u32_e32 v8, 29, v8
	v_lshlrev_b64 v[20:21], v10, v[6:7]
	v_and_b32_e32 v6, 7, v20
; %bb.1228:                             ;   in Loop: Header=BB249_799 Depth=1
	s_or_b32 exec_lo, exec_lo, s13
	v_mov_b32_e32 v10, 24
	v_lshlrev_b32_e32 v6, 20, v6
	v_lshl_add_u32 v8, v8, 23, 0x3c000000
	v_lshlrev_b32_sdwa v10, v10, v12 dst_sel:DWORD dst_unused:UNUSED_PAD src0_sel:DWORD src1_sel:WORD_1
	v_and_b32_e32 v10, 0x80000000, v10
	v_or3_b32 v6, v6, v10, v8
	v_mov_b32_e32 v21, v7
	v_mov_b32_e32 v20, v6
.LBB249_1229:                           ;   in Loop: Header=BB249_799 Depth=1
	s_or_b32 exec_lo, exec_lo, s12
.LBB249_1230:                           ;   in Loop: Header=BB249_799 Depth=1
	s_or_b32 exec_lo, exec_lo, s11
.LBB249_1231:                           ;   in Loop: Header=BB249_799 Depth=1
	s_or_b32 exec_lo, exec_lo, s9
	s_mov_b32 s9, exec_lo
	v_cmpx_lt_u32_e32 0xffffff, v12
	s_cbranch_execz .LBB249_1239
; %bb.1232:                             ;   in Loop: Header=BB249_799 Depth=1
	v_mov_b32_e32 v8, v7
	v_mov_b32_e32 v23, v9
	v_cmp_ne_u32_sdwa s4, v12, v70 src0_sel:BYTE_3 src1_sel:DWORD
	v_mov_b32_e32 v22, v8
	s_and_saveexec_b32 s11, s4
	s_cbranch_execz .LBB249_1238
; %bb.1233:                             ;   in Loop: Header=BB249_799 Depth=1
	v_mov_b32_e32 v10, v7
	v_mov_b32_e32 v23, v11
	v_bfe_u32 v13, v12, 24, 7
	s_mov_b32 s12, exec_lo
	v_mov_b32_e32 v22, v10
	v_cmpx_ne_u32_e32 0x7f, v13
	s_cbranch_execz .LBB249_1237
; %bb.1234:                             ;   in Loop: Header=BB249_799 Depth=1
	v_mov_b32_e32 v6, 7
	v_lshrrev_b32_e32 v8, 3, v13
	s_mov_b32 s13, exec_lo
	v_and_b32_sdwa v6, v12, v6 dst_sel:DWORD dst_unused:UNUSED_PAD src0_sel:BYTE_3 src1_sel:DWORD
	v_cmpx_gt_u32_e32 8, v13
; %bb.1235:                             ;   in Loop: Header=BB249_799 Depth=1
	v_ffbh_u32_e32 v8, v6
	v_min_u32_e32 v8, 32, v8
	v_subrev_nc_u32_e32 v10, 28, v8
	v_sub_nc_u32_e32 v8, 29, v8
	v_lshlrev_b64 v[22:23], v10, v[6:7]
	v_and_b32_e32 v6, 7, v22
; %bb.1236:                             ;   in Loop: Header=BB249_799 Depth=1
	s_or_b32 exec_lo, exec_lo, s13
	v_mov_b32_e32 v10, 24
	v_lshlrev_b32_e32 v6, 20, v6
	v_lshl_add_u32 v8, v8, 23, 0x3c000000
	v_mov_b32_e32 v22, v7
	v_lshlrev_b32_sdwa v10, v10, v12 dst_sel:DWORD dst_unused:UNUSED_PAD src0_sel:DWORD src1_sel:BYTE_3
	v_and_b32_e32 v10, 0x80000000, v10
	v_or3_b32 v23, v6, v10, v8
.LBB249_1237:                           ;   in Loop: Header=BB249_799 Depth=1
	s_or_b32 exec_lo, exec_lo, s12
.LBB249_1238:                           ;   in Loop: Header=BB249_799 Depth=1
	s_or_b32 exec_lo, exec_lo, s11
.LBB249_1239:                           ;   in Loop: Header=BB249_799 Depth=1
	s_or_b32 exec_lo, exec_lo, s9
	v_or_b32_e32 v6, v19, v17
	v_or_b32_e32 v8, v18, v16
	;; [unrolled: 1-line block ×4, first 2 shown]
	v_mul_f32_e32 v108, v85, v6
	v_mul_f32_e32 v109, v68, v8
	;; [unrolled: 1-line block ×4, first 2 shown]
	s_and_saveexec_b32 s9, vcc_lo
	s_cbranch_execz .LBB249_1241
; %bb.1240:                             ;   in Loop: Header=BB249_799 Depth=1
	v_cmp_lt_i32_e64 s4, v103, v102
	v_cndmask_b32_e64 v109, 0, v109, s4
	v_cmp_lt_i32_e64 s4, v113, v102
	v_cndmask_b32_e64 v108, 0, v108, s4
	;; [unrolled: 2-line block ×4, first 2 shown]
.LBB249_1241:                           ;   in Loop: Header=BB249_799 Depth=1
	s_or_b32 exec_lo, exec_lo, s9
	flat_load_dword v12, v[4:5] offset:1664
	v_mov_b32_e32 v18, 0
	v_mov_b32_e32 v16, 0
	;; [unrolled: 1-line block ×4, first 2 shown]
	s_waitcnt vmcnt(0) lgkmcnt(0)
	v_cmp_ne_u16_sdwa s4, v12, v7 src0_sel:BYTE_0 src1_sel:DWORD
	s_and_saveexec_b32 s9, s4
	s_cbranch_execz .LBB249_1249
; %bb.1242:                             ;   in Loop: Header=BB249_799 Depth=1
	v_bfrev_b32_e32 v16, 1
	v_mov_b32_e32 v17, 0
	v_cmp_ne_u16_sdwa s4, v12, v70 src0_sel:BYTE_0 src1_sel:DWORD
	s_and_saveexec_b32 s11, s4
	s_cbranch_execz .LBB249_1248
; %bb.1243:                             ;   in Loop: Header=BB249_799 Depth=1
	v_mov_b32_e32 v16, 0x7f800001
	v_and_b32_e32 v10, 0x7f, v12
	v_mov_b32_e32 v17, 0
	s_mov_b32 s12, exec_lo
	v_cmpx_ne_u32_e32 0x7f, v10
	s_cbranch_execz .LBB249_1247
; %bb.1244:                             ;   in Loop: Header=BB249_799 Depth=1
	v_and_b32_e32 v6, 7, v12
	v_lshrrev_b32_e32 v8, 3, v10
	s_mov_b32 s13, exec_lo
	v_cmpx_gt_u32_e32 8, v10
; %bb.1245:                             ;   in Loop: Header=BB249_799 Depth=1
	v_ffbh_u32_e32 v8, v6
	v_min_u32_e32 v8, 32, v8
	v_subrev_nc_u32_e32 v10, 28, v8
	v_sub_nc_u32_e32 v8, 29, v8
	v_lshlrev_b64 v[16:17], v10, v[6:7]
	v_and_b32_e32 v6, 7, v16
; %bb.1246:                             ;   in Loop: Header=BB249_799 Depth=1
	s_or_b32 exec_lo, exec_lo, s13
	v_lshlrev_b32_e32 v10, 24, v12
	v_lshlrev_b32_e32 v6, 20, v6
	v_lshl_add_u32 v8, v8, 23, 0x3c000000
	v_and_b32_e32 v10, 0x80000000, v10
	v_or3_b32 v6, v6, v10, v8
	v_mov_b32_e32 v17, v7
	v_mov_b32_e32 v16, v6
.LBB249_1247:                           ;   in Loop: Header=BB249_799 Depth=1
	s_or_b32 exec_lo, exec_lo, s12
.LBB249_1248:                           ;   in Loop: Header=BB249_799 Depth=1
	s_or_b32 exec_lo, exec_lo, s11
.LBB249_1249:                           ;   in Loop: Header=BB249_799 Depth=1
	s_or_b32 exec_lo, exec_lo, s9
	v_cmp_ne_u16_sdwa s4, v12, v7 src0_sel:BYTE_1 src1_sel:DWORD
	s_and_saveexec_b32 s9, s4
	s_cbranch_execz .LBB249_1257
; %bb.1250:                             ;   in Loop: Header=BB249_799 Depth=1
	v_mov_b32_e32 v8, v7
	v_mov_b32_e32 v19, v9
	v_cmp_ne_u16_sdwa s4, v12, v70 src0_sel:BYTE_1 src1_sel:DWORD
	v_mov_b32_e32 v18, v8
	s_and_saveexec_b32 s11, s4
	s_cbranch_execz .LBB249_1256
; %bb.1251:                             ;   in Loop: Header=BB249_799 Depth=1
	v_mov_b32_e32 v6, 0xffff
	v_mov_b32_e32 v10, v7
	;; [unrolled: 1-line block ×3, first 2 shown]
	s_mov_b32 s12, exec_lo
	v_and_b32_sdwa v6, v6, v12 dst_sel:DWORD dst_unused:UNUSED_PAD src0_sel:DWORD src1_sel:BYTE_1
	v_mov_b32_e32 v18, v10
	v_and_b32_e32 v13, 0x7f, v6
	v_cmpx_ne_u32_e32 0x7f, v13
	s_cbranch_execz .LBB249_1255
; %bb.1252:                             ;   in Loop: Header=BB249_799 Depth=1
	v_and_b32_e32 v6, 7, v6
	v_lshrrev_b32_e32 v8, 3, v13
	s_mov_b32 s13, exec_lo
	v_cmpx_gt_u32_e32 8, v13
; %bb.1253:                             ;   in Loop: Header=BB249_799 Depth=1
	v_ffbh_u32_e32 v8, v6
	v_min_u32_e32 v8, 32, v8
	v_subrev_nc_u32_e32 v10, 28, v8
	v_sub_nc_u32_e32 v8, 29, v8
	v_lshlrev_b64 v[18:19], v10, v[6:7]
	v_and_b32_e32 v6, 7, v18
; %bb.1254:                             ;   in Loop: Header=BB249_799 Depth=1
	s_or_b32 exec_lo, exec_lo, s13
	v_lshlrev_b32_e32 v10, 16, v12
	v_lshlrev_b32_e32 v6, 20, v6
	v_lshl_add_u32 v8, v8, 23, 0x3c000000
	v_mov_b32_e32 v18, v7
	v_and_b32_e32 v10, 0x80000000, v10
	v_or3_b32 v19, v6, v10, v8
.LBB249_1255:                           ;   in Loop: Header=BB249_799 Depth=1
	s_or_b32 exec_lo, exec_lo, s12
.LBB249_1256:                           ;   in Loop: Header=BB249_799 Depth=1
	s_or_b32 exec_lo, exec_lo, s11
.LBB249_1257:                           ;   in Loop: Header=BB249_799 Depth=1
	s_or_b32 exec_lo, exec_lo, s9
	v_mov_b32_e32 v22, 0
	v_mov_b32_e32 v20, 0
	v_and_b32_sdwa v6, v12, v80 dst_sel:DWORD dst_unused:UNUSED_PAD src0_sel:WORD_1 src1_sel:DWORD
	v_mov_b32_e32 v23, 0
	v_mov_b32_e32 v21, 0
	s_mov_b32 s9, exec_lo
	v_cmpx_ne_u16_e32 0, v6
	s_cbranch_execz .LBB249_1265
; %bb.1258:                             ;   in Loop: Header=BB249_799 Depth=1
	v_bfrev_b32_e32 v20, 1
	v_mov_b32_e32 v21, 0
	s_mov_b32 s11, exec_lo
	v_cmpx_ne_u16_e32 0x80, v6
	s_cbranch_execz .LBB249_1264
; %bb.1259:                             ;   in Loop: Header=BB249_799 Depth=1
	v_mov_b32_e32 v20, 0x7f800001
	v_bfe_u32 v10, v12, 16, 7
	v_mov_b32_e32 v21, 0
	s_mov_b32 s12, exec_lo
	v_cmpx_ne_u32_e32 0x7f, v10
	s_cbranch_execz .LBB249_1263
; %bb.1260:                             ;   in Loop: Header=BB249_799 Depth=1
	v_mov_b32_e32 v6, 7
	v_lshrrev_b32_e32 v8, 3, v10
	s_mov_b32 s13, exec_lo
	v_and_b32_sdwa v6, v12, v6 dst_sel:DWORD dst_unused:UNUSED_PAD src0_sel:WORD_1 src1_sel:DWORD
	v_cmpx_gt_u32_e32 8, v10
; %bb.1261:                             ;   in Loop: Header=BB249_799 Depth=1
	v_ffbh_u32_e32 v8, v6
	v_min_u32_e32 v8, 32, v8
	v_subrev_nc_u32_e32 v10, 28, v8
	v_sub_nc_u32_e32 v8, 29, v8
	v_lshlrev_b64 v[20:21], v10, v[6:7]
	v_and_b32_e32 v6, 7, v20
; %bb.1262:                             ;   in Loop: Header=BB249_799 Depth=1
	s_or_b32 exec_lo, exec_lo, s13
	v_mov_b32_e32 v10, 24
	v_lshlrev_b32_e32 v6, 20, v6
	v_lshl_add_u32 v8, v8, 23, 0x3c000000
	v_lshlrev_b32_sdwa v10, v10, v12 dst_sel:DWORD dst_unused:UNUSED_PAD src0_sel:DWORD src1_sel:WORD_1
	v_and_b32_e32 v10, 0x80000000, v10
	v_or3_b32 v6, v6, v10, v8
	v_mov_b32_e32 v21, v7
	v_mov_b32_e32 v20, v6
.LBB249_1263:                           ;   in Loop: Header=BB249_799 Depth=1
	s_or_b32 exec_lo, exec_lo, s12
.LBB249_1264:                           ;   in Loop: Header=BB249_799 Depth=1
	s_or_b32 exec_lo, exec_lo, s11
.LBB249_1265:                           ;   in Loop: Header=BB249_799 Depth=1
	s_or_b32 exec_lo, exec_lo, s9
	s_mov_b32 s9, exec_lo
	v_cmpx_lt_u32_e32 0xffffff, v12
	s_cbranch_execz .LBB249_1273
; %bb.1266:                             ;   in Loop: Header=BB249_799 Depth=1
	v_mov_b32_e32 v8, v7
	v_mov_b32_e32 v23, v9
	v_cmp_ne_u32_sdwa s4, v12, v70 src0_sel:BYTE_3 src1_sel:DWORD
	v_mov_b32_e32 v22, v8
	s_and_saveexec_b32 s11, s4
	s_cbranch_execz .LBB249_1272
; %bb.1267:                             ;   in Loop: Header=BB249_799 Depth=1
	v_mov_b32_e32 v10, v7
	v_mov_b32_e32 v23, v11
	v_bfe_u32 v13, v12, 24, 7
	s_mov_b32 s12, exec_lo
	v_mov_b32_e32 v22, v10
	v_cmpx_ne_u32_e32 0x7f, v13
	s_cbranch_execz .LBB249_1271
; %bb.1268:                             ;   in Loop: Header=BB249_799 Depth=1
	v_mov_b32_e32 v6, 7
	v_lshrrev_b32_e32 v8, 3, v13
	s_mov_b32 s13, exec_lo
	v_and_b32_sdwa v6, v12, v6 dst_sel:DWORD dst_unused:UNUSED_PAD src0_sel:BYTE_3 src1_sel:DWORD
	v_cmpx_gt_u32_e32 8, v13
; %bb.1269:                             ;   in Loop: Header=BB249_799 Depth=1
	v_ffbh_u32_e32 v8, v6
	v_min_u32_e32 v8, 32, v8
	v_subrev_nc_u32_e32 v10, 28, v8
	v_sub_nc_u32_e32 v8, 29, v8
	v_lshlrev_b64 v[22:23], v10, v[6:7]
	v_and_b32_e32 v6, 7, v22
; %bb.1270:                             ;   in Loop: Header=BB249_799 Depth=1
	s_or_b32 exec_lo, exec_lo, s13
	v_mov_b32_e32 v10, 24
	v_lshlrev_b32_e32 v6, 20, v6
	v_lshl_add_u32 v8, v8, 23, 0x3c000000
	v_mov_b32_e32 v22, v7
	v_lshlrev_b32_sdwa v10, v10, v12 dst_sel:DWORD dst_unused:UNUSED_PAD src0_sel:DWORD src1_sel:BYTE_3
	v_and_b32_e32 v10, 0x80000000, v10
	v_or3_b32 v23, v6, v10, v8
.LBB249_1271:                           ;   in Loop: Header=BB249_799 Depth=1
	s_or_b32 exec_lo, exec_lo, s12
.LBB249_1272:                           ;   in Loop: Header=BB249_799 Depth=1
	s_or_b32 exec_lo, exec_lo, s11
.LBB249_1273:                           ;   in Loop: Header=BB249_799 Depth=1
	s_or_b32 exec_lo, exec_lo, s9
	v_or_b32_e32 v6, v19, v17
	v_or_b32_e32 v8, v18, v16
	;; [unrolled: 1-line block ×4, first 2 shown]
	v_mul_f32_e32 v121, v85, v6
	v_mul_f32_e32 v120, v68, v8
	;; [unrolled: 1-line block ×4, first 2 shown]
	s_and_saveexec_b32 s9, vcc_lo
	s_cbranch_execz .LBB249_1275
; %bb.1274:                             ;   in Loop: Header=BB249_799 Depth=1
	v_cmp_lt_i32_e64 s4, v103, v102
	v_cndmask_b32_e64 v120, 0, v120, s4
	v_cmp_lt_i32_e64 s4, v113, v102
	v_cndmask_b32_e64 v121, 0, v121, s4
	;; [unrolled: 2-line block ×4, first 2 shown]
.LBB249_1275:                           ;   in Loop: Header=BB249_799 Depth=1
	s_or_b32 exec_lo, exec_lo, s9
	flat_load_dword v12, v[4:5] offset:1792
	v_mov_b32_e32 v18, 0
	v_mov_b32_e32 v16, 0
	v_mov_b32_e32 v19, 0
	v_mov_b32_e32 v17, 0
	s_waitcnt vmcnt(0) lgkmcnt(0)
	v_cmp_ne_u16_sdwa s4, v12, v7 src0_sel:BYTE_0 src1_sel:DWORD
	s_and_saveexec_b32 s9, s4
	s_cbranch_execz .LBB249_1283
; %bb.1276:                             ;   in Loop: Header=BB249_799 Depth=1
	v_bfrev_b32_e32 v16, 1
	v_mov_b32_e32 v17, 0
	v_cmp_ne_u16_sdwa s4, v12, v70 src0_sel:BYTE_0 src1_sel:DWORD
	s_and_saveexec_b32 s11, s4
	s_cbranch_execz .LBB249_1282
; %bb.1277:                             ;   in Loop: Header=BB249_799 Depth=1
	v_mov_b32_e32 v16, 0x7f800001
	v_and_b32_e32 v10, 0x7f, v12
	v_mov_b32_e32 v17, 0
	s_mov_b32 s12, exec_lo
	v_cmpx_ne_u32_e32 0x7f, v10
	s_cbranch_execz .LBB249_1281
; %bb.1278:                             ;   in Loop: Header=BB249_799 Depth=1
	v_and_b32_e32 v6, 7, v12
	v_lshrrev_b32_e32 v8, 3, v10
	s_mov_b32 s13, exec_lo
	v_cmpx_gt_u32_e32 8, v10
; %bb.1279:                             ;   in Loop: Header=BB249_799 Depth=1
	v_ffbh_u32_e32 v8, v6
	v_min_u32_e32 v8, 32, v8
	v_subrev_nc_u32_e32 v10, 28, v8
	v_sub_nc_u32_e32 v8, 29, v8
	v_lshlrev_b64 v[16:17], v10, v[6:7]
	v_and_b32_e32 v6, 7, v16
; %bb.1280:                             ;   in Loop: Header=BB249_799 Depth=1
	s_or_b32 exec_lo, exec_lo, s13
	v_lshlrev_b32_e32 v10, 24, v12
	v_lshlrev_b32_e32 v6, 20, v6
	v_lshl_add_u32 v8, v8, 23, 0x3c000000
	v_and_b32_e32 v10, 0x80000000, v10
	v_or3_b32 v6, v6, v10, v8
	v_mov_b32_e32 v17, v7
	v_mov_b32_e32 v16, v6
.LBB249_1281:                           ;   in Loop: Header=BB249_799 Depth=1
	s_or_b32 exec_lo, exec_lo, s12
.LBB249_1282:                           ;   in Loop: Header=BB249_799 Depth=1
	s_or_b32 exec_lo, exec_lo, s11
.LBB249_1283:                           ;   in Loop: Header=BB249_799 Depth=1
	s_or_b32 exec_lo, exec_lo, s9
	v_cmp_ne_u16_sdwa s4, v12, v7 src0_sel:BYTE_1 src1_sel:DWORD
	s_and_saveexec_b32 s9, s4
	s_cbranch_execz .LBB249_1291
; %bb.1284:                             ;   in Loop: Header=BB249_799 Depth=1
	v_mov_b32_e32 v8, v7
	v_mov_b32_e32 v19, v9
	v_cmp_ne_u16_sdwa s4, v12, v70 src0_sel:BYTE_1 src1_sel:DWORD
	v_mov_b32_e32 v18, v8
	s_and_saveexec_b32 s11, s4
	s_cbranch_execz .LBB249_1290
; %bb.1285:                             ;   in Loop: Header=BB249_799 Depth=1
	v_mov_b32_e32 v6, 0xffff
	v_mov_b32_e32 v10, v7
	;; [unrolled: 1-line block ×3, first 2 shown]
	s_mov_b32 s12, exec_lo
	v_and_b32_sdwa v6, v6, v12 dst_sel:DWORD dst_unused:UNUSED_PAD src0_sel:DWORD src1_sel:BYTE_1
	v_mov_b32_e32 v18, v10
	v_and_b32_e32 v13, 0x7f, v6
	v_cmpx_ne_u32_e32 0x7f, v13
	s_cbranch_execz .LBB249_1289
; %bb.1286:                             ;   in Loop: Header=BB249_799 Depth=1
	v_and_b32_e32 v6, 7, v6
	v_lshrrev_b32_e32 v8, 3, v13
	s_mov_b32 s13, exec_lo
	v_cmpx_gt_u32_e32 8, v13
; %bb.1287:                             ;   in Loop: Header=BB249_799 Depth=1
	v_ffbh_u32_e32 v8, v6
	v_min_u32_e32 v8, 32, v8
	v_subrev_nc_u32_e32 v10, 28, v8
	v_sub_nc_u32_e32 v8, 29, v8
	v_lshlrev_b64 v[18:19], v10, v[6:7]
	v_and_b32_e32 v6, 7, v18
; %bb.1288:                             ;   in Loop: Header=BB249_799 Depth=1
	s_or_b32 exec_lo, exec_lo, s13
	v_lshlrev_b32_e32 v10, 16, v12
	v_lshlrev_b32_e32 v6, 20, v6
	v_lshl_add_u32 v8, v8, 23, 0x3c000000
	v_mov_b32_e32 v18, v7
	v_and_b32_e32 v10, 0x80000000, v10
	v_or3_b32 v19, v6, v10, v8
.LBB249_1289:                           ;   in Loop: Header=BB249_799 Depth=1
	s_or_b32 exec_lo, exec_lo, s12
.LBB249_1290:                           ;   in Loop: Header=BB249_799 Depth=1
	s_or_b32 exec_lo, exec_lo, s11
.LBB249_1291:                           ;   in Loop: Header=BB249_799 Depth=1
	s_or_b32 exec_lo, exec_lo, s9
	v_mov_b32_e32 v20, 0
	v_mov_b32_e32 v22, 0
	v_and_b32_sdwa v6, v12, v80 dst_sel:DWORD dst_unused:UNUSED_PAD src0_sel:WORD_1 src1_sel:DWORD
	v_mov_b32_e32 v21, 0
	v_mov_b32_e32 v23, 0
	s_mov_b32 s9, exec_lo
	v_cmpx_ne_u16_e32 0, v6
	s_cbranch_execz .LBB249_1299
; %bb.1292:                             ;   in Loop: Header=BB249_799 Depth=1
	v_bfrev_b32_e32 v22, 1
	v_mov_b32_e32 v23, 0
	s_mov_b32 s11, exec_lo
	v_cmpx_ne_u16_e32 0x80, v6
	s_cbranch_execz .LBB249_1298
; %bb.1293:                             ;   in Loop: Header=BB249_799 Depth=1
	v_mov_b32_e32 v22, 0x7f800001
	v_bfe_u32 v10, v12, 16, 7
	v_mov_b32_e32 v23, 0
	s_mov_b32 s12, exec_lo
	v_cmpx_ne_u32_e32 0x7f, v10
	s_cbranch_execz .LBB249_1297
; %bb.1294:                             ;   in Loop: Header=BB249_799 Depth=1
	v_mov_b32_e32 v6, 7
	v_lshrrev_b32_e32 v8, 3, v10
	s_mov_b32 s13, exec_lo
	v_and_b32_sdwa v6, v12, v6 dst_sel:DWORD dst_unused:UNUSED_PAD src0_sel:WORD_1 src1_sel:DWORD
	v_cmpx_gt_u32_e32 8, v10
; %bb.1295:                             ;   in Loop: Header=BB249_799 Depth=1
	v_ffbh_u32_e32 v8, v6
	v_min_u32_e32 v8, 32, v8
	v_subrev_nc_u32_e32 v10, 28, v8
	v_sub_nc_u32_e32 v8, 29, v8
	v_lshlrev_b64 v[22:23], v10, v[6:7]
	v_and_b32_e32 v6, 7, v22
; %bb.1296:                             ;   in Loop: Header=BB249_799 Depth=1
	s_or_b32 exec_lo, exec_lo, s13
	v_mov_b32_e32 v10, 24
	v_lshlrev_b32_e32 v6, 20, v6
	v_lshl_add_u32 v8, v8, 23, 0x3c000000
	v_lshlrev_b32_sdwa v10, v10, v12 dst_sel:DWORD dst_unused:UNUSED_PAD src0_sel:DWORD src1_sel:WORD_1
	v_and_b32_e32 v10, 0x80000000, v10
	v_or3_b32 v6, v6, v10, v8
	v_mov_b32_e32 v23, v7
	v_mov_b32_e32 v22, v6
.LBB249_1297:                           ;   in Loop: Header=BB249_799 Depth=1
	s_or_b32 exec_lo, exec_lo, s12
.LBB249_1298:                           ;   in Loop: Header=BB249_799 Depth=1
	s_or_b32 exec_lo, exec_lo, s11
.LBB249_1299:                           ;   in Loop: Header=BB249_799 Depth=1
	s_or_b32 exec_lo, exec_lo, s9
	s_mov_b32 s9, exec_lo
	v_cmpx_lt_u32_e32 0xffffff, v12
	s_cbranch_execz .LBB249_1307
; %bb.1300:                             ;   in Loop: Header=BB249_799 Depth=1
	v_mov_b32_e32 v8, v7
	v_mov_b32_e32 v21, v9
	v_cmp_ne_u32_sdwa s4, v12, v70 src0_sel:BYTE_3 src1_sel:DWORD
	v_mov_b32_e32 v20, v8
	s_and_saveexec_b32 s11, s4
	s_cbranch_execz .LBB249_1306
; %bb.1301:                             ;   in Loop: Header=BB249_799 Depth=1
	v_mov_b32_e32 v10, v7
	v_mov_b32_e32 v21, v11
	v_bfe_u32 v13, v12, 24, 7
	s_mov_b32 s12, exec_lo
	v_mov_b32_e32 v20, v10
	v_cmpx_ne_u32_e32 0x7f, v13
	s_cbranch_execz .LBB249_1305
; %bb.1302:                             ;   in Loop: Header=BB249_799 Depth=1
	v_mov_b32_e32 v6, 7
	v_lshrrev_b32_e32 v8, 3, v13
	s_mov_b32 s13, exec_lo
	v_and_b32_sdwa v6, v12, v6 dst_sel:DWORD dst_unused:UNUSED_PAD src0_sel:BYTE_3 src1_sel:DWORD
	v_cmpx_gt_u32_e32 8, v13
; %bb.1303:                             ;   in Loop: Header=BB249_799 Depth=1
	v_ffbh_u32_e32 v8, v6
	v_min_u32_e32 v8, 32, v8
	v_subrev_nc_u32_e32 v10, 28, v8
	v_sub_nc_u32_e32 v8, 29, v8
	v_lshlrev_b64 v[20:21], v10, v[6:7]
	v_and_b32_e32 v6, 7, v20
; %bb.1304:                             ;   in Loop: Header=BB249_799 Depth=1
	s_or_b32 exec_lo, exec_lo, s13
	v_mov_b32_e32 v10, 24
	v_lshlrev_b32_e32 v6, 20, v6
	v_lshl_add_u32 v8, v8, 23, 0x3c000000
	v_mov_b32_e32 v20, v7
	v_lshlrev_b32_sdwa v10, v10, v12 dst_sel:DWORD dst_unused:UNUSED_PAD src0_sel:DWORD src1_sel:BYTE_3
	v_and_b32_e32 v10, 0x80000000, v10
	v_or3_b32 v21, v6, v10, v8
.LBB249_1305:                           ;   in Loop: Header=BB249_799 Depth=1
	s_or_b32 exec_lo, exec_lo, s12
.LBB249_1306:                           ;   in Loop: Header=BB249_799 Depth=1
	s_or_b32 exec_lo, exec_lo, s11
.LBB249_1307:                           ;   in Loop: Header=BB249_799 Depth=1
	s_or_b32 exec_lo, exec_lo, s9
	v_or_b32_e32 v6, v19, v17
	v_or_b32_e32 v8, v18, v16
	;; [unrolled: 1-line block ×4, first 2 shown]
	v_mul_f32_e32 v125, v85, v6
	v_mul_f32_e32 v124, v68, v8
	;; [unrolled: 1-line block ×4, first 2 shown]
	s_and_saveexec_b32 s9, vcc_lo
	s_cbranch_execz .LBB249_1309
; %bb.1308:                             ;   in Loop: Header=BB249_799 Depth=1
	v_cmp_lt_i32_e64 s4, v103, v102
	v_cndmask_b32_e64 v124, 0, v124, s4
	v_cmp_lt_i32_e64 s4, v113, v102
	v_cndmask_b32_e64 v125, 0, v125, s4
	;; [unrolled: 2-line block ×4, first 2 shown]
.LBB249_1309:                           ;   in Loop: Header=BB249_799 Depth=1
	s_or_b32 exec_lo, exec_lo, s9
	flat_load_dword v12, v[4:5] offset:1920
	v_mov_b32_e32 v18, 0
	v_mov_b32_e32 v16, 0
	;; [unrolled: 1-line block ×4, first 2 shown]
	s_waitcnt vmcnt(0) lgkmcnt(0)
	v_cmp_ne_u16_sdwa s4, v12, v7 src0_sel:BYTE_0 src1_sel:DWORD
	s_and_saveexec_b32 s9, s4
	s_cbranch_execz .LBB249_1317
; %bb.1310:                             ;   in Loop: Header=BB249_799 Depth=1
	v_bfrev_b32_e32 v16, 1
	v_mov_b32_e32 v17, 0
	v_cmp_ne_u16_sdwa s4, v12, v70 src0_sel:BYTE_0 src1_sel:DWORD
	s_and_saveexec_b32 s11, s4
	s_cbranch_execz .LBB249_1316
; %bb.1311:                             ;   in Loop: Header=BB249_799 Depth=1
	v_mov_b32_e32 v16, 0x7f800001
	v_and_b32_e32 v10, 0x7f, v12
	v_mov_b32_e32 v17, 0
	s_mov_b32 s12, exec_lo
	v_cmpx_ne_u32_e32 0x7f, v10
	s_cbranch_execz .LBB249_1315
; %bb.1312:                             ;   in Loop: Header=BB249_799 Depth=1
	v_and_b32_e32 v6, 7, v12
	v_lshrrev_b32_e32 v8, 3, v10
	s_mov_b32 s13, exec_lo
	v_cmpx_gt_u32_e32 8, v10
; %bb.1313:                             ;   in Loop: Header=BB249_799 Depth=1
	v_ffbh_u32_e32 v8, v6
	v_min_u32_e32 v8, 32, v8
	v_subrev_nc_u32_e32 v10, 28, v8
	v_sub_nc_u32_e32 v8, 29, v8
	v_lshlrev_b64 v[16:17], v10, v[6:7]
	v_and_b32_e32 v6, 7, v16
; %bb.1314:                             ;   in Loop: Header=BB249_799 Depth=1
	s_or_b32 exec_lo, exec_lo, s13
	v_lshlrev_b32_e32 v10, 24, v12
	v_lshlrev_b32_e32 v6, 20, v6
	v_lshl_add_u32 v8, v8, 23, 0x3c000000
	v_and_b32_e32 v10, 0x80000000, v10
	v_or3_b32 v6, v6, v10, v8
	v_mov_b32_e32 v17, v7
	v_mov_b32_e32 v16, v6
.LBB249_1315:                           ;   in Loop: Header=BB249_799 Depth=1
	s_or_b32 exec_lo, exec_lo, s12
.LBB249_1316:                           ;   in Loop: Header=BB249_799 Depth=1
	s_or_b32 exec_lo, exec_lo, s11
.LBB249_1317:                           ;   in Loop: Header=BB249_799 Depth=1
	s_or_b32 exec_lo, exec_lo, s9
	v_cmp_ne_u16_sdwa s4, v12, v7 src0_sel:BYTE_1 src1_sel:DWORD
	s_and_saveexec_b32 s9, s4
	s_cbranch_execz .LBB249_1325
; %bb.1318:                             ;   in Loop: Header=BB249_799 Depth=1
	v_mov_b32_e32 v8, v7
	v_mov_b32_e32 v19, v9
	v_cmp_ne_u16_sdwa s4, v12, v70 src0_sel:BYTE_1 src1_sel:DWORD
	v_mov_b32_e32 v18, v8
	s_and_saveexec_b32 s11, s4
	s_cbranch_execz .LBB249_1324
; %bb.1319:                             ;   in Loop: Header=BB249_799 Depth=1
	v_mov_b32_e32 v6, 0xffff
	v_mov_b32_e32 v10, v7
	;; [unrolled: 1-line block ×3, first 2 shown]
	s_mov_b32 s12, exec_lo
	v_and_b32_sdwa v6, v6, v12 dst_sel:DWORD dst_unused:UNUSED_PAD src0_sel:DWORD src1_sel:BYTE_1
	v_mov_b32_e32 v18, v10
	v_and_b32_e32 v13, 0x7f, v6
	v_cmpx_ne_u32_e32 0x7f, v13
	s_cbranch_execz .LBB249_1323
; %bb.1320:                             ;   in Loop: Header=BB249_799 Depth=1
	v_and_b32_e32 v6, 7, v6
	v_lshrrev_b32_e32 v8, 3, v13
	s_mov_b32 s13, exec_lo
	v_cmpx_gt_u32_e32 8, v13
; %bb.1321:                             ;   in Loop: Header=BB249_799 Depth=1
	v_ffbh_u32_e32 v8, v6
	v_min_u32_e32 v8, 32, v8
	v_subrev_nc_u32_e32 v10, 28, v8
	v_sub_nc_u32_e32 v8, 29, v8
	v_lshlrev_b64 v[18:19], v10, v[6:7]
	v_and_b32_e32 v6, 7, v18
; %bb.1322:                             ;   in Loop: Header=BB249_799 Depth=1
	s_or_b32 exec_lo, exec_lo, s13
	v_lshlrev_b32_e32 v10, 16, v12
	v_lshlrev_b32_e32 v6, 20, v6
	v_lshl_add_u32 v8, v8, 23, 0x3c000000
	v_mov_b32_e32 v18, v7
	v_and_b32_e32 v10, 0x80000000, v10
	v_or3_b32 v19, v6, v10, v8
.LBB249_1323:                           ;   in Loop: Header=BB249_799 Depth=1
	s_or_b32 exec_lo, exec_lo, s12
.LBB249_1324:                           ;   in Loop: Header=BB249_799 Depth=1
	s_or_b32 exec_lo, exec_lo, s11
.LBB249_1325:                           ;   in Loop: Header=BB249_799 Depth=1
	s_or_b32 exec_lo, exec_lo, s9
	v_mov_b32_e32 v20, 0
	v_mov_b32_e32 v22, 0
	v_and_b32_sdwa v6, v12, v80 dst_sel:DWORD dst_unused:UNUSED_PAD src0_sel:WORD_1 src1_sel:DWORD
	v_mov_b32_e32 v21, 0
	v_mov_b32_e32 v23, 0
	s_mov_b32 s9, exec_lo
	v_cmpx_ne_u16_e32 0, v6
	s_cbranch_execz .LBB249_1333
; %bb.1326:                             ;   in Loop: Header=BB249_799 Depth=1
	v_bfrev_b32_e32 v22, 1
	v_mov_b32_e32 v23, 0
	s_mov_b32 s11, exec_lo
	v_cmpx_ne_u16_e32 0x80, v6
	s_cbranch_execz .LBB249_1332
; %bb.1327:                             ;   in Loop: Header=BB249_799 Depth=1
	v_mov_b32_e32 v22, 0x7f800001
	v_bfe_u32 v10, v12, 16, 7
	v_mov_b32_e32 v23, 0
	s_mov_b32 s12, exec_lo
	v_cmpx_ne_u32_e32 0x7f, v10
	s_cbranch_execz .LBB249_1331
; %bb.1328:                             ;   in Loop: Header=BB249_799 Depth=1
	v_mov_b32_e32 v6, 7
	v_lshrrev_b32_e32 v8, 3, v10
	s_mov_b32 s13, exec_lo
	v_and_b32_sdwa v6, v12, v6 dst_sel:DWORD dst_unused:UNUSED_PAD src0_sel:WORD_1 src1_sel:DWORD
	v_cmpx_gt_u32_e32 8, v10
; %bb.1329:                             ;   in Loop: Header=BB249_799 Depth=1
	v_ffbh_u32_e32 v8, v6
	v_min_u32_e32 v8, 32, v8
	v_subrev_nc_u32_e32 v10, 28, v8
	v_sub_nc_u32_e32 v8, 29, v8
	v_lshlrev_b64 v[22:23], v10, v[6:7]
	v_and_b32_e32 v6, 7, v22
; %bb.1330:                             ;   in Loop: Header=BB249_799 Depth=1
	s_or_b32 exec_lo, exec_lo, s13
	v_mov_b32_e32 v10, 24
	v_lshlrev_b32_e32 v6, 20, v6
	v_lshl_add_u32 v8, v8, 23, 0x3c000000
	v_lshlrev_b32_sdwa v10, v10, v12 dst_sel:DWORD dst_unused:UNUSED_PAD src0_sel:DWORD src1_sel:WORD_1
	v_and_b32_e32 v10, 0x80000000, v10
	v_or3_b32 v6, v6, v10, v8
	v_mov_b32_e32 v23, v7
	v_mov_b32_e32 v22, v6
.LBB249_1331:                           ;   in Loop: Header=BB249_799 Depth=1
	s_or_b32 exec_lo, exec_lo, s12
.LBB249_1332:                           ;   in Loop: Header=BB249_799 Depth=1
	s_or_b32 exec_lo, exec_lo, s11
.LBB249_1333:                           ;   in Loop: Header=BB249_799 Depth=1
	s_or_b32 exec_lo, exec_lo, s9
	s_mov_b32 s9, exec_lo
	v_cmpx_lt_u32_e32 0xffffff, v12
	s_cbranch_execz .LBB249_1341
; %bb.1334:                             ;   in Loop: Header=BB249_799 Depth=1
	v_mov_b32_e32 v8, v7
	v_mov_b32_e32 v21, v9
	v_cmp_ne_u32_sdwa s4, v12, v70 src0_sel:BYTE_3 src1_sel:DWORD
	v_mov_b32_e32 v20, v8
	s_and_saveexec_b32 s11, s4
	s_cbranch_execz .LBB249_1340
; %bb.1335:                             ;   in Loop: Header=BB249_799 Depth=1
	v_mov_b32_e32 v10, v7
	v_mov_b32_e32 v21, v11
	v_bfe_u32 v13, v12, 24, 7
	s_mov_b32 s12, exec_lo
	v_mov_b32_e32 v20, v10
	v_cmpx_ne_u32_e32 0x7f, v13
	s_cbranch_execz .LBB249_1339
; %bb.1336:                             ;   in Loop: Header=BB249_799 Depth=1
	v_mov_b32_e32 v6, 7
	v_lshrrev_b32_e32 v8, 3, v13
	s_mov_b32 s13, exec_lo
	v_and_b32_sdwa v6, v12, v6 dst_sel:DWORD dst_unused:UNUSED_PAD src0_sel:BYTE_3 src1_sel:DWORD
	v_cmpx_gt_u32_e32 8, v13
; %bb.1337:                             ;   in Loop: Header=BB249_799 Depth=1
	v_ffbh_u32_e32 v8, v6
	v_min_u32_e32 v8, 32, v8
	v_subrev_nc_u32_e32 v10, 28, v8
	v_sub_nc_u32_e32 v8, 29, v8
	v_lshlrev_b64 v[20:21], v10, v[6:7]
	v_and_b32_e32 v6, 7, v20
; %bb.1338:                             ;   in Loop: Header=BB249_799 Depth=1
	s_or_b32 exec_lo, exec_lo, s13
	v_mov_b32_e32 v10, 24
	v_lshlrev_b32_e32 v6, 20, v6
	v_lshl_add_u32 v8, v8, 23, 0x3c000000
	v_mov_b32_e32 v20, v7
	v_lshlrev_b32_sdwa v10, v10, v12 dst_sel:DWORD dst_unused:UNUSED_PAD src0_sel:DWORD src1_sel:BYTE_3
	v_and_b32_e32 v10, 0x80000000, v10
	v_or3_b32 v21, v6, v10, v8
.LBB249_1339:                           ;   in Loop: Header=BB249_799 Depth=1
	s_or_b32 exec_lo, exec_lo, s12
.LBB249_1340:                           ;   in Loop: Header=BB249_799 Depth=1
	s_or_b32 exec_lo, exec_lo, s11
.LBB249_1341:                           ;   in Loop: Header=BB249_799 Depth=1
	s_or_b32 exec_lo, exec_lo, s9
	v_or_b32_e32 v6, v19, v17
	v_or_b32_e32 v8, v18, v16
	v_or_b32_e32 v10, v20, v22
	v_or_b32_e32 v12, v21, v23
	v_mul_f32_e32 v27, v85, v6
	v_mul_f32_e32 v69, v68, v8
	;; [unrolled: 1-line block ×4, first 2 shown]
	s_and_saveexec_b32 s9, vcc_lo
	s_cbranch_execz .LBB249_1343
; %bb.1342:                             ;   in Loop: Header=BB249_799 Depth=1
	v_cmp_lt_i32_e64 s4, v103, v102
	v_cndmask_b32_e64 v69, 0, v69, s4
	v_cmp_lt_i32_e64 s4, v113, v102
	v_cndmask_b32_e64 v27, 0, v27, s4
	;; [unrolled: 2-line block ×4, first 2 shown]
.LBB249_1343:                           ;   in Loop: Header=BB249_799 Depth=1
	s_or_b32 exec_lo, exec_lo, s9
	v_add_co_u32 v4, s4, 0x800, v4
	v_add_co_ci_u32_e64 v5, null, 0, v5, s4
	v_mov_b32_e32 v18, 0
	v_mov_b32_e32 v16, 0
	;; [unrolled: 1-line block ×3, first 2 shown]
	flat_load_dword v12, v[4:5]
	v_mov_b32_e32 v17, 0
	s_waitcnt vmcnt(0) lgkmcnt(0)
	v_cmp_ne_u16_sdwa s4, v12, v7 src0_sel:BYTE_0 src1_sel:DWORD
	s_and_saveexec_b32 s9, s4
	s_cbranch_execz .LBB249_1351
; %bb.1344:                             ;   in Loop: Header=BB249_799 Depth=1
	v_bfrev_b32_e32 v16, 1
	v_mov_b32_e32 v17, 0
	v_cmp_ne_u16_sdwa s4, v12, v70 src0_sel:BYTE_0 src1_sel:DWORD
	s_and_saveexec_b32 s11, s4
	s_cbranch_execz .LBB249_1350
; %bb.1345:                             ;   in Loop: Header=BB249_799 Depth=1
	v_mov_b32_e32 v16, 0x7f800001
	v_and_b32_e32 v10, 0x7f, v12
	v_mov_b32_e32 v17, 0
	s_mov_b32 s12, exec_lo
	v_cmpx_ne_u32_e32 0x7f, v10
	s_cbranch_execz .LBB249_1349
; %bb.1346:                             ;   in Loop: Header=BB249_799 Depth=1
	v_and_b32_e32 v6, 7, v12
	v_lshrrev_b32_e32 v8, 3, v10
	s_mov_b32 s13, exec_lo
	v_cmpx_gt_u32_e32 8, v10
; %bb.1347:                             ;   in Loop: Header=BB249_799 Depth=1
	v_ffbh_u32_e32 v8, v6
	v_min_u32_e32 v8, 32, v8
	v_subrev_nc_u32_e32 v10, 28, v8
	v_sub_nc_u32_e32 v8, 29, v8
	v_lshlrev_b64 v[16:17], v10, v[6:7]
	v_and_b32_e32 v6, 7, v16
; %bb.1348:                             ;   in Loop: Header=BB249_799 Depth=1
	s_or_b32 exec_lo, exec_lo, s13
	v_lshlrev_b32_e32 v10, 24, v12
	v_lshlrev_b32_e32 v6, 20, v6
	v_lshl_add_u32 v8, v8, 23, 0x3c000000
	v_and_b32_e32 v10, 0x80000000, v10
	v_or3_b32 v6, v6, v10, v8
	v_mov_b32_e32 v17, v7
	v_mov_b32_e32 v16, v6
.LBB249_1349:                           ;   in Loop: Header=BB249_799 Depth=1
	s_or_b32 exec_lo, exec_lo, s12
.LBB249_1350:                           ;   in Loop: Header=BB249_799 Depth=1
	s_or_b32 exec_lo, exec_lo, s11
.LBB249_1351:                           ;   in Loop: Header=BB249_799 Depth=1
	s_or_b32 exec_lo, exec_lo, s9
	v_cmp_ne_u16_sdwa s4, v12, v7 src0_sel:BYTE_1 src1_sel:DWORD
	s_and_saveexec_b32 s9, s4
	s_cbranch_execz .LBB249_1359
; %bb.1352:                             ;   in Loop: Header=BB249_799 Depth=1
	v_mov_b32_e32 v8, v7
	v_mov_b32_e32 v19, v9
	v_cmp_ne_u16_sdwa s4, v12, v70 src0_sel:BYTE_1 src1_sel:DWORD
	v_mov_b32_e32 v18, v8
	s_and_saveexec_b32 s11, s4
	s_cbranch_execz .LBB249_1358
; %bb.1353:                             ;   in Loop: Header=BB249_799 Depth=1
	v_mov_b32_e32 v6, 0xffff
	v_mov_b32_e32 v10, v7
	;; [unrolled: 1-line block ×3, first 2 shown]
	s_mov_b32 s12, exec_lo
	v_and_b32_sdwa v6, v6, v12 dst_sel:DWORD dst_unused:UNUSED_PAD src0_sel:DWORD src1_sel:BYTE_1
	v_mov_b32_e32 v18, v10
	v_and_b32_e32 v13, 0x7f, v6
	v_cmpx_ne_u32_e32 0x7f, v13
	s_cbranch_execz .LBB249_1357
; %bb.1354:                             ;   in Loop: Header=BB249_799 Depth=1
	v_and_b32_e32 v6, 7, v6
	v_lshrrev_b32_e32 v8, 3, v13
	s_mov_b32 s13, exec_lo
	v_cmpx_gt_u32_e32 8, v13
; %bb.1355:                             ;   in Loop: Header=BB249_799 Depth=1
	v_ffbh_u32_e32 v8, v6
	v_min_u32_e32 v8, 32, v8
	v_subrev_nc_u32_e32 v10, 28, v8
	v_sub_nc_u32_e32 v8, 29, v8
	v_lshlrev_b64 v[18:19], v10, v[6:7]
	v_and_b32_e32 v6, 7, v18
; %bb.1356:                             ;   in Loop: Header=BB249_799 Depth=1
	s_or_b32 exec_lo, exec_lo, s13
	v_lshlrev_b32_e32 v10, 16, v12
	v_lshlrev_b32_e32 v6, 20, v6
	v_lshl_add_u32 v8, v8, 23, 0x3c000000
	v_mov_b32_e32 v18, v7
	v_and_b32_e32 v10, 0x80000000, v10
	v_or3_b32 v19, v6, v10, v8
.LBB249_1357:                           ;   in Loop: Header=BB249_799 Depth=1
	s_or_b32 exec_lo, exec_lo, s12
.LBB249_1358:                           ;   in Loop: Header=BB249_799 Depth=1
	s_or_b32 exec_lo, exec_lo, s11
.LBB249_1359:                           ;   in Loop: Header=BB249_799 Depth=1
	s_or_b32 exec_lo, exec_lo, s9
	v_mov_b32_e32 v20, 0
	v_mov_b32_e32 v22, 0
	v_and_b32_sdwa v6, v12, v80 dst_sel:DWORD dst_unused:UNUSED_PAD src0_sel:WORD_1 src1_sel:DWORD
	v_mov_b32_e32 v21, 0
	v_mov_b32_e32 v23, 0
	s_mov_b32 s9, exec_lo
	v_cmpx_ne_u16_e32 0, v6
	s_cbranch_execz .LBB249_1367
; %bb.1360:                             ;   in Loop: Header=BB249_799 Depth=1
	v_bfrev_b32_e32 v22, 1
	v_mov_b32_e32 v23, 0
	s_mov_b32 s11, exec_lo
	v_cmpx_ne_u16_e32 0x80, v6
	s_cbranch_execz .LBB249_1366
; %bb.1361:                             ;   in Loop: Header=BB249_799 Depth=1
	v_mov_b32_e32 v22, 0x7f800001
	v_bfe_u32 v10, v12, 16, 7
	v_mov_b32_e32 v23, 0
	s_mov_b32 s12, exec_lo
	v_cmpx_ne_u32_e32 0x7f, v10
	s_cbranch_execz .LBB249_1365
; %bb.1362:                             ;   in Loop: Header=BB249_799 Depth=1
	v_mov_b32_e32 v6, 7
	v_lshrrev_b32_e32 v8, 3, v10
	s_mov_b32 s13, exec_lo
	v_and_b32_sdwa v6, v12, v6 dst_sel:DWORD dst_unused:UNUSED_PAD src0_sel:WORD_1 src1_sel:DWORD
	v_cmpx_gt_u32_e32 8, v10
; %bb.1363:                             ;   in Loop: Header=BB249_799 Depth=1
	v_ffbh_u32_e32 v8, v6
	v_min_u32_e32 v8, 32, v8
	v_subrev_nc_u32_e32 v10, 28, v8
	v_sub_nc_u32_e32 v8, 29, v8
	v_lshlrev_b64 v[22:23], v10, v[6:7]
	v_and_b32_e32 v6, 7, v22
; %bb.1364:                             ;   in Loop: Header=BB249_799 Depth=1
	s_or_b32 exec_lo, exec_lo, s13
	v_mov_b32_e32 v10, 24
	v_lshlrev_b32_e32 v6, 20, v6
	v_lshl_add_u32 v8, v8, 23, 0x3c000000
	v_lshlrev_b32_sdwa v10, v10, v12 dst_sel:DWORD dst_unused:UNUSED_PAD src0_sel:DWORD src1_sel:WORD_1
	v_and_b32_e32 v10, 0x80000000, v10
	v_or3_b32 v6, v6, v10, v8
	v_mov_b32_e32 v23, v7
	v_mov_b32_e32 v22, v6
.LBB249_1365:                           ;   in Loop: Header=BB249_799 Depth=1
	s_or_b32 exec_lo, exec_lo, s12
.LBB249_1366:                           ;   in Loop: Header=BB249_799 Depth=1
	s_or_b32 exec_lo, exec_lo, s11
.LBB249_1367:                           ;   in Loop: Header=BB249_799 Depth=1
	s_or_b32 exec_lo, exec_lo, s9
	s_mov_b32 s9, exec_lo
	v_cmpx_lt_u32_e32 0xffffff, v12
	s_cbranch_execz .LBB249_1375
; %bb.1368:                             ;   in Loop: Header=BB249_799 Depth=1
	v_mov_b32_e32 v8, v7
	v_mov_b32_e32 v21, v9
	v_cmp_ne_u32_sdwa s4, v12, v70 src0_sel:BYTE_3 src1_sel:DWORD
	v_mov_b32_e32 v20, v8
	s_and_saveexec_b32 s11, s4
	s_cbranch_execz .LBB249_1374
; %bb.1369:                             ;   in Loop: Header=BB249_799 Depth=1
	v_mov_b32_e32 v10, v7
	v_mov_b32_e32 v21, v11
	v_bfe_u32 v13, v12, 24, 7
	s_mov_b32 s12, exec_lo
	v_mov_b32_e32 v20, v10
	v_cmpx_ne_u32_e32 0x7f, v13
	s_cbranch_execz .LBB249_1373
; %bb.1370:                             ;   in Loop: Header=BB249_799 Depth=1
	v_mov_b32_e32 v6, 7
	v_lshrrev_b32_e32 v8, 3, v13
	s_mov_b32 s13, exec_lo
	v_and_b32_sdwa v6, v12, v6 dst_sel:DWORD dst_unused:UNUSED_PAD src0_sel:BYTE_3 src1_sel:DWORD
	v_cmpx_gt_u32_e32 8, v13
; %bb.1371:                             ;   in Loop: Header=BB249_799 Depth=1
	v_ffbh_u32_e32 v8, v6
	v_min_u32_e32 v8, 32, v8
	v_subrev_nc_u32_e32 v10, 28, v8
	v_sub_nc_u32_e32 v8, 29, v8
	v_lshlrev_b64 v[20:21], v10, v[6:7]
	v_and_b32_e32 v6, 7, v20
; %bb.1372:                             ;   in Loop: Header=BB249_799 Depth=1
	s_or_b32 exec_lo, exec_lo, s13
	v_mov_b32_e32 v10, 24
	v_lshlrev_b32_e32 v6, 20, v6
	v_lshl_add_u32 v8, v8, 23, 0x3c000000
	v_mov_b32_e32 v20, v7
	v_lshlrev_b32_sdwa v10, v10, v12 dst_sel:DWORD dst_unused:UNUSED_PAD src0_sel:DWORD src1_sel:BYTE_3
	v_and_b32_e32 v10, 0x80000000, v10
	v_or3_b32 v21, v6, v10, v8
.LBB249_1373:                           ;   in Loop: Header=BB249_799 Depth=1
	s_or_b32 exec_lo, exec_lo, s12
.LBB249_1374:                           ;   in Loop: Header=BB249_799 Depth=1
	s_or_b32 exec_lo, exec_lo, s11
.LBB249_1375:                           ;   in Loop: Header=BB249_799 Depth=1
	s_or_b32 exec_lo, exec_lo, s9
	v_or_b32_e32 v6, v19, v17
	v_or_b32_e32 v8, v18, v16
	;; [unrolled: 1-line block ×4, first 2 shown]
	v_mul_f32_e32 v26, v85, v6
	v_mul_f32_e32 v24, v68, v8
	;; [unrolled: 1-line block ×4, first 2 shown]
	s_and_saveexec_b32 s9, vcc_lo
	s_cbranch_execz .LBB249_1377
; %bb.1376:                             ;   in Loop: Header=BB249_799 Depth=1
	v_cmp_lt_i32_e64 s4, v103, v102
	v_cndmask_b32_e64 v24, 0, v24, s4
	v_cmp_lt_i32_e64 s4, v113, v102
	v_cndmask_b32_e64 v26, 0, v26, s4
	;; [unrolled: 2-line block ×4, first 2 shown]
.LBB249_1377:                           ;   in Loop: Header=BB249_799 Depth=1
	s_or_b32 exec_lo, exec_lo, s9
	flat_load_dword v25, v[4:5] offset:128
	v_mov_b32_e32 v18, 0
	v_mov_b32_e32 v16, 0
	;; [unrolled: 1-line block ×4, first 2 shown]
	s_waitcnt vmcnt(0) lgkmcnt(0)
	v_cmp_ne_u16_sdwa s4, v25, v7 src0_sel:BYTE_0 src1_sel:DWORD
	s_and_saveexec_b32 s9, s4
	s_cbranch_execz .LBB249_1385
; %bb.1378:                             ;   in Loop: Header=BB249_799 Depth=1
	v_bfrev_b32_e32 v16, 1
	v_mov_b32_e32 v17, 0
	v_cmp_ne_u16_sdwa s4, v25, v70 src0_sel:BYTE_0 src1_sel:DWORD
	s_and_saveexec_b32 s11, s4
	s_cbranch_execz .LBB249_1384
; %bb.1379:                             ;   in Loop: Header=BB249_799 Depth=1
	v_mov_b32_e32 v16, 0x7f800001
	v_and_b32_e32 v10, 0x7f, v25
	v_mov_b32_e32 v17, 0
	s_mov_b32 s12, exec_lo
	v_cmpx_ne_u32_e32 0x7f, v10
	s_cbranch_execz .LBB249_1383
; %bb.1380:                             ;   in Loop: Header=BB249_799 Depth=1
	v_and_b32_e32 v6, 7, v25
	v_lshrrev_b32_e32 v8, 3, v10
	s_mov_b32 s13, exec_lo
	v_cmpx_gt_u32_e32 8, v10
; %bb.1381:                             ;   in Loop: Header=BB249_799 Depth=1
	v_ffbh_u32_e32 v8, v6
	v_min_u32_e32 v8, 32, v8
	v_subrev_nc_u32_e32 v10, 28, v8
	v_sub_nc_u32_e32 v8, 29, v8
	v_lshlrev_b64 v[16:17], v10, v[6:7]
	v_and_b32_e32 v6, 7, v16
; %bb.1382:                             ;   in Loop: Header=BB249_799 Depth=1
	s_or_b32 exec_lo, exec_lo, s13
	v_lshlrev_b32_e32 v10, 24, v25
	v_lshlrev_b32_e32 v6, 20, v6
	v_lshl_add_u32 v8, v8, 23, 0x3c000000
	v_and_b32_e32 v10, 0x80000000, v10
	v_or3_b32 v6, v6, v10, v8
	v_mov_b32_e32 v17, v7
	v_mov_b32_e32 v16, v6
.LBB249_1383:                           ;   in Loop: Header=BB249_799 Depth=1
	s_or_b32 exec_lo, exec_lo, s12
.LBB249_1384:                           ;   in Loop: Header=BB249_799 Depth=1
	s_or_b32 exec_lo, exec_lo, s11
.LBB249_1385:                           ;   in Loop: Header=BB249_799 Depth=1
	s_or_b32 exec_lo, exec_lo, s9
	v_cmp_ne_u16_sdwa s4, v25, v7 src0_sel:BYTE_1 src1_sel:DWORD
	s_and_saveexec_b32 s9, s4
	s_cbranch_execz .LBB249_1393
; %bb.1386:                             ;   in Loop: Header=BB249_799 Depth=1
	v_mov_b32_e32 v8, v7
	v_mov_b32_e32 v19, v9
	v_cmp_ne_u16_sdwa s4, v25, v70 src0_sel:BYTE_1 src1_sel:DWORD
	v_mov_b32_e32 v18, v8
	s_and_saveexec_b32 s11, s4
	s_cbranch_execz .LBB249_1392
; %bb.1387:                             ;   in Loop: Header=BB249_799 Depth=1
	v_mov_b32_e32 v6, 0xffff
	v_mov_b32_e32 v10, v7
	;; [unrolled: 1-line block ×3, first 2 shown]
	s_mov_b32 s12, exec_lo
	v_and_b32_sdwa v6, v6, v25 dst_sel:DWORD dst_unused:UNUSED_PAD src0_sel:DWORD src1_sel:BYTE_1
	v_mov_b32_e32 v18, v10
	v_and_b32_e32 v20, 0x7f, v6
	v_cmpx_ne_u32_e32 0x7f, v20
	s_cbranch_execz .LBB249_1391
; %bb.1388:                             ;   in Loop: Header=BB249_799 Depth=1
	v_and_b32_e32 v6, 7, v6
	v_lshrrev_b32_e32 v8, 3, v20
	s_mov_b32 s13, exec_lo
	v_cmpx_gt_u32_e32 8, v20
; %bb.1389:                             ;   in Loop: Header=BB249_799 Depth=1
	v_ffbh_u32_e32 v8, v6
	v_min_u32_e32 v8, 32, v8
	v_subrev_nc_u32_e32 v10, 28, v8
	v_sub_nc_u32_e32 v8, 29, v8
	v_lshlrev_b64 v[18:19], v10, v[6:7]
	v_and_b32_e32 v6, 7, v18
; %bb.1390:                             ;   in Loop: Header=BB249_799 Depth=1
	s_or_b32 exec_lo, exec_lo, s13
	v_lshlrev_b32_e32 v10, 16, v25
	v_lshlrev_b32_e32 v6, 20, v6
	v_lshl_add_u32 v8, v8, 23, 0x3c000000
	v_mov_b32_e32 v18, v7
	v_and_b32_e32 v10, 0x80000000, v10
	v_or3_b32 v19, v6, v10, v8
.LBB249_1391:                           ;   in Loop: Header=BB249_799 Depth=1
	s_or_b32 exec_lo, exec_lo, s12
.LBB249_1392:                           ;   in Loop: Header=BB249_799 Depth=1
	s_or_b32 exec_lo, exec_lo, s11
.LBB249_1393:                           ;   in Loop: Header=BB249_799 Depth=1
	s_or_b32 exec_lo, exec_lo, s9
	v_mov_b32_e32 v20, 0
	v_mov_b32_e32 v22, 0
	v_and_b32_sdwa v6, v25, v80 dst_sel:DWORD dst_unused:UNUSED_PAD src0_sel:WORD_1 src1_sel:DWORD
	v_mov_b32_e32 v21, 0
	v_mov_b32_e32 v23, 0
	s_mov_b32 s9, exec_lo
	v_cmpx_ne_u16_e32 0, v6
	s_cbranch_execz .LBB249_1401
; %bb.1394:                             ;   in Loop: Header=BB249_799 Depth=1
	v_bfrev_b32_e32 v22, 1
	v_mov_b32_e32 v23, 0
	s_mov_b32 s11, exec_lo
	v_cmpx_ne_u16_e32 0x80, v6
	s_cbranch_execz .LBB249_1400
; %bb.1395:                             ;   in Loop: Header=BB249_799 Depth=1
	v_mov_b32_e32 v22, 0x7f800001
	v_bfe_u32 v10, v25, 16, 7
	v_mov_b32_e32 v23, 0
	s_mov_b32 s12, exec_lo
	v_cmpx_ne_u32_e32 0x7f, v10
	s_cbranch_execz .LBB249_1399
; %bb.1396:                             ;   in Loop: Header=BB249_799 Depth=1
	v_mov_b32_e32 v6, 7
	v_lshrrev_b32_e32 v8, 3, v10
	s_mov_b32 s13, exec_lo
	v_and_b32_sdwa v6, v25, v6 dst_sel:DWORD dst_unused:UNUSED_PAD src0_sel:WORD_1 src1_sel:DWORD
	v_cmpx_gt_u32_e32 8, v10
; %bb.1397:                             ;   in Loop: Header=BB249_799 Depth=1
	v_ffbh_u32_e32 v8, v6
	v_min_u32_e32 v8, 32, v8
	v_subrev_nc_u32_e32 v10, 28, v8
	v_sub_nc_u32_e32 v8, 29, v8
	v_lshlrev_b64 v[22:23], v10, v[6:7]
	v_and_b32_e32 v6, 7, v22
; %bb.1398:                             ;   in Loop: Header=BB249_799 Depth=1
	s_or_b32 exec_lo, exec_lo, s13
	v_mov_b32_e32 v10, 24
	v_lshlrev_b32_e32 v6, 20, v6
	v_lshl_add_u32 v8, v8, 23, 0x3c000000
	v_lshlrev_b32_sdwa v10, v10, v25 dst_sel:DWORD dst_unused:UNUSED_PAD src0_sel:DWORD src1_sel:WORD_1
	v_and_b32_e32 v10, 0x80000000, v10
	v_or3_b32 v6, v6, v10, v8
	v_mov_b32_e32 v23, v7
	v_mov_b32_e32 v22, v6
.LBB249_1399:                           ;   in Loop: Header=BB249_799 Depth=1
	s_or_b32 exec_lo, exec_lo, s12
.LBB249_1400:                           ;   in Loop: Header=BB249_799 Depth=1
	s_or_b32 exec_lo, exec_lo, s11
.LBB249_1401:                           ;   in Loop: Header=BB249_799 Depth=1
	s_or_b32 exec_lo, exec_lo, s9
	s_mov_b32 s9, exec_lo
	v_cmpx_lt_u32_e32 0xffffff, v25
	s_cbranch_execz .LBB249_1409
; %bb.1402:                             ;   in Loop: Header=BB249_799 Depth=1
	v_mov_b32_e32 v8, v7
	v_mov_b32_e32 v21, v9
	v_cmp_ne_u32_sdwa s4, v25, v70 src0_sel:BYTE_3 src1_sel:DWORD
	v_mov_b32_e32 v20, v8
	s_and_saveexec_b32 s11, s4
	s_cbranch_execz .LBB249_1408
; %bb.1403:                             ;   in Loop: Header=BB249_799 Depth=1
	v_mov_b32_e32 v10, v7
	v_mov_b32_e32 v21, v11
	v_bfe_u32 v71, v25, 24, 7
	s_mov_b32 s12, exec_lo
	v_mov_b32_e32 v20, v10
	v_cmpx_ne_u32_e32 0x7f, v71
	s_cbranch_execz .LBB249_1407
; %bb.1404:                             ;   in Loop: Header=BB249_799 Depth=1
	v_mov_b32_e32 v6, 7
	v_lshrrev_b32_e32 v8, 3, v71
	s_mov_b32 s13, exec_lo
	v_and_b32_sdwa v6, v25, v6 dst_sel:DWORD dst_unused:UNUSED_PAD src0_sel:BYTE_3 src1_sel:DWORD
	v_cmpx_gt_u32_e32 8, v71
; %bb.1405:                             ;   in Loop: Header=BB249_799 Depth=1
	v_ffbh_u32_e32 v8, v6
	v_min_u32_e32 v8, 32, v8
	v_subrev_nc_u32_e32 v10, 28, v8
	v_sub_nc_u32_e32 v8, 29, v8
	v_lshlrev_b64 v[20:21], v10, v[6:7]
	v_and_b32_e32 v6, 7, v20
; %bb.1406:                             ;   in Loop: Header=BB249_799 Depth=1
	s_or_b32 exec_lo, exec_lo, s13
	v_mov_b32_e32 v10, 24
	v_lshlrev_b32_e32 v6, 20, v6
	v_lshl_add_u32 v8, v8, 23, 0x3c000000
	v_mov_b32_e32 v20, v7
	v_lshlrev_b32_sdwa v10, v10, v25 dst_sel:DWORD dst_unused:UNUSED_PAD src0_sel:DWORD src1_sel:BYTE_3
	v_and_b32_e32 v10, 0x80000000, v10
	v_or3_b32 v21, v6, v10, v8
.LBB249_1407:                           ;   in Loop: Header=BB249_799 Depth=1
	s_or_b32 exec_lo, exec_lo, s12
.LBB249_1408:                           ;   in Loop: Header=BB249_799 Depth=1
	s_or_b32 exec_lo, exec_lo, s11
.LBB249_1409:                           ;   in Loop: Header=BB249_799 Depth=1
	s_or_b32 exec_lo, exec_lo, s9
	v_or_b32_e32 v6, v19, v17
	v_or_b32_e32 v8, v18, v16
	;; [unrolled: 1-line block ×4, first 2 shown]
	v_mul_f32_e32 v81, v85, v6
	v_mul_f32_e32 v82, v68, v8
	v_mul_f32_e32 v71, v68, v10
	v_mul_f32_e32 v25, v85, v16
	s_and_saveexec_b32 s9, vcc_lo
	s_cbranch_execz .LBB249_1411
; %bb.1410:                             ;   in Loop: Header=BB249_799 Depth=1
	v_cmp_lt_i32_e64 s4, v103, v102
	v_cndmask_b32_e64 v82, 0, v82, s4
	v_cmp_lt_i32_e64 s4, v113, v102
	v_cndmask_b32_e64 v81, 0, v81, s4
	;; [unrolled: 2-line block ×4, first 2 shown]
.LBB249_1411:                           ;   in Loop: Header=BB249_799 Depth=1
	s_or_b32 exec_lo, exec_lo, s9
	flat_load_dword v86, v[4:5] offset:256
	v_mov_b32_e32 v18, 0
	v_mov_b32_e32 v16, 0
	;; [unrolled: 1-line block ×4, first 2 shown]
	s_waitcnt vmcnt(0) lgkmcnt(0)
	v_cmp_ne_u16_sdwa s4, v86, v7 src0_sel:BYTE_0 src1_sel:DWORD
	s_and_saveexec_b32 s9, s4
	s_cbranch_execz .LBB249_1419
; %bb.1412:                             ;   in Loop: Header=BB249_799 Depth=1
	v_bfrev_b32_e32 v16, 1
	v_mov_b32_e32 v17, 0
	v_cmp_ne_u16_sdwa s4, v86, v70 src0_sel:BYTE_0 src1_sel:DWORD
	s_and_saveexec_b32 s11, s4
	s_cbranch_execz .LBB249_1418
; %bb.1413:                             ;   in Loop: Header=BB249_799 Depth=1
	v_mov_b32_e32 v16, 0x7f800001
	v_and_b32_e32 v10, 0x7f, v86
	v_mov_b32_e32 v17, 0
	s_mov_b32 s12, exec_lo
	v_cmpx_ne_u32_e32 0x7f, v10
	s_cbranch_execz .LBB249_1417
; %bb.1414:                             ;   in Loop: Header=BB249_799 Depth=1
	v_and_b32_e32 v6, 7, v86
	v_lshrrev_b32_e32 v8, 3, v10
	s_mov_b32 s13, exec_lo
	v_cmpx_gt_u32_e32 8, v10
; %bb.1415:                             ;   in Loop: Header=BB249_799 Depth=1
	v_ffbh_u32_e32 v8, v6
	v_min_u32_e32 v8, 32, v8
	v_subrev_nc_u32_e32 v10, 28, v8
	v_sub_nc_u32_e32 v8, 29, v8
	v_lshlrev_b64 v[16:17], v10, v[6:7]
	v_and_b32_e32 v6, 7, v16
; %bb.1416:                             ;   in Loop: Header=BB249_799 Depth=1
	s_or_b32 exec_lo, exec_lo, s13
	v_lshlrev_b32_e32 v10, 24, v86
	v_lshlrev_b32_e32 v6, 20, v6
	v_lshl_add_u32 v8, v8, 23, 0x3c000000
	v_and_b32_e32 v10, 0x80000000, v10
	v_or3_b32 v6, v6, v10, v8
	v_mov_b32_e32 v17, v7
	v_mov_b32_e32 v16, v6
.LBB249_1417:                           ;   in Loop: Header=BB249_799 Depth=1
	s_or_b32 exec_lo, exec_lo, s12
.LBB249_1418:                           ;   in Loop: Header=BB249_799 Depth=1
	s_or_b32 exec_lo, exec_lo, s11
.LBB249_1419:                           ;   in Loop: Header=BB249_799 Depth=1
	s_or_b32 exec_lo, exec_lo, s9
	v_cmp_ne_u16_sdwa s4, v86, v7 src0_sel:BYTE_1 src1_sel:DWORD
	s_and_saveexec_b32 s9, s4
	s_cbranch_execz .LBB249_1427
; %bb.1420:                             ;   in Loop: Header=BB249_799 Depth=1
	v_mov_b32_e32 v8, v7
	v_mov_b32_e32 v19, v9
	v_cmp_ne_u16_sdwa s4, v86, v70 src0_sel:BYTE_1 src1_sel:DWORD
	v_mov_b32_e32 v18, v8
	s_and_saveexec_b32 s11, s4
	s_cbranch_execz .LBB249_1426
; %bb.1421:                             ;   in Loop: Header=BB249_799 Depth=1
	v_mov_b32_e32 v6, 0xffff
	v_mov_b32_e32 v10, v7
	;; [unrolled: 1-line block ×3, first 2 shown]
	s_mov_b32 s12, exec_lo
	v_and_b32_sdwa v6, v6, v86 dst_sel:DWORD dst_unused:UNUSED_PAD src0_sel:DWORD src1_sel:BYTE_1
	v_mov_b32_e32 v18, v10
	v_and_b32_e32 v20, 0x7f, v6
	v_cmpx_ne_u32_e32 0x7f, v20
	s_cbranch_execz .LBB249_1425
; %bb.1422:                             ;   in Loop: Header=BB249_799 Depth=1
	v_and_b32_e32 v6, 7, v6
	v_lshrrev_b32_e32 v8, 3, v20
	s_mov_b32 s13, exec_lo
	v_cmpx_gt_u32_e32 8, v20
; %bb.1423:                             ;   in Loop: Header=BB249_799 Depth=1
	v_ffbh_u32_e32 v8, v6
	v_min_u32_e32 v8, 32, v8
	v_subrev_nc_u32_e32 v10, 28, v8
	v_sub_nc_u32_e32 v8, 29, v8
	v_lshlrev_b64 v[18:19], v10, v[6:7]
	v_and_b32_e32 v6, 7, v18
; %bb.1424:                             ;   in Loop: Header=BB249_799 Depth=1
	s_or_b32 exec_lo, exec_lo, s13
	v_lshlrev_b32_e32 v10, 16, v86
	v_lshlrev_b32_e32 v6, 20, v6
	v_lshl_add_u32 v8, v8, 23, 0x3c000000
	v_mov_b32_e32 v18, v7
	v_and_b32_e32 v10, 0x80000000, v10
	v_or3_b32 v19, v6, v10, v8
.LBB249_1425:                           ;   in Loop: Header=BB249_799 Depth=1
	s_or_b32 exec_lo, exec_lo, s12
.LBB249_1426:                           ;   in Loop: Header=BB249_799 Depth=1
	s_or_b32 exec_lo, exec_lo, s11
.LBB249_1427:                           ;   in Loop: Header=BB249_799 Depth=1
	s_or_b32 exec_lo, exec_lo, s9
	v_mov_b32_e32 v20, 0
	v_mov_b32_e32 v22, 0
	v_and_b32_sdwa v6, v86, v80 dst_sel:DWORD dst_unused:UNUSED_PAD src0_sel:WORD_1 src1_sel:DWORD
	v_mov_b32_e32 v21, 0
	v_mov_b32_e32 v23, 0
	s_mov_b32 s9, exec_lo
	v_cmpx_ne_u16_e32 0, v6
	s_cbranch_execz .LBB249_1435
; %bb.1428:                             ;   in Loop: Header=BB249_799 Depth=1
	v_bfrev_b32_e32 v22, 1
	v_mov_b32_e32 v23, 0
	s_mov_b32 s11, exec_lo
	v_cmpx_ne_u16_e32 0x80, v6
	s_cbranch_execz .LBB249_1434
; %bb.1429:                             ;   in Loop: Header=BB249_799 Depth=1
	v_mov_b32_e32 v22, 0x7f800001
	v_bfe_u32 v10, v86, 16, 7
	v_mov_b32_e32 v23, 0
	s_mov_b32 s12, exec_lo
	v_cmpx_ne_u32_e32 0x7f, v10
	s_cbranch_execz .LBB249_1433
; %bb.1430:                             ;   in Loop: Header=BB249_799 Depth=1
	v_mov_b32_e32 v6, 7
	v_lshrrev_b32_e32 v8, 3, v10
	s_mov_b32 s13, exec_lo
	v_and_b32_sdwa v6, v86, v6 dst_sel:DWORD dst_unused:UNUSED_PAD src0_sel:WORD_1 src1_sel:DWORD
	v_cmpx_gt_u32_e32 8, v10
; %bb.1431:                             ;   in Loop: Header=BB249_799 Depth=1
	v_ffbh_u32_e32 v8, v6
	v_min_u32_e32 v8, 32, v8
	v_subrev_nc_u32_e32 v10, 28, v8
	v_sub_nc_u32_e32 v8, 29, v8
	v_lshlrev_b64 v[22:23], v10, v[6:7]
	v_and_b32_e32 v6, 7, v22
; %bb.1432:                             ;   in Loop: Header=BB249_799 Depth=1
	s_or_b32 exec_lo, exec_lo, s13
	v_mov_b32_e32 v10, 24
	v_lshlrev_b32_e32 v6, 20, v6
	v_lshl_add_u32 v8, v8, 23, 0x3c000000
	v_lshlrev_b32_sdwa v10, v10, v86 dst_sel:DWORD dst_unused:UNUSED_PAD src0_sel:DWORD src1_sel:WORD_1
	v_and_b32_e32 v10, 0x80000000, v10
	v_or3_b32 v6, v6, v10, v8
	v_mov_b32_e32 v23, v7
	v_mov_b32_e32 v22, v6
.LBB249_1433:                           ;   in Loop: Header=BB249_799 Depth=1
	s_or_b32 exec_lo, exec_lo, s12
.LBB249_1434:                           ;   in Loop: Header=BB249_799 Depth=1
	s_or_b32 exec_lo, exec_lo, s11
.LBB249_1435:                           ;   in Loop: Header=BB249_799 Depth=1
	s_or_b32 exec_lo, exec_lo, s9
	s_mov_b32 s9, exec_lo
	v_cmpx_lt_u32_e32 0xffffff, v86
	s_cbranch_execz .LBB249_1443
; %bb.1436:                             ;   in Loop: Header=BB249_799 Depth=1
	v_mov_b32_e32 v8, v7
	v_mov_b32_e32 v21, v9
	v_cmp_ne_u32_sdwa s4, v86, v70 src0_sel:BYTE_3 src1_sel:DWORD
	v_mov_b32_e32 v20, v8
	s_and_saveexec_b32 s11, s4
	s_cbranch_execz .LBB249_1442
; %bb.1437:                             ;   in Loop: Header=BB249_799 Depth=1
	v_mov_b32_e32 v10, v7
	v_mov_b32_e32 v21, v11
	v_bfe_u32 v87, v86, 24, 7
	s_mov_b32 s12, exec_lo
	v_mov_b32_e32 v20, v10
	v_cmpx_ne_u32_e32 0x7f, v87
	s_cbranch_execz .LBB249_1441
; %bb.1438:                             ;   in Loop: Header=BB249_799 Depth=1
	v_mov_b32_e32 v6, 7
	v_lshrrev_b32_e32 v8, 3, v87
	s_mov_b32 s13, exec_lo
	v_and_b32_sdwa v6, v86, v6 dst_sel:DWORD dst_unused:UNUSED_PAD src0_sel:BYTE_3 src1_sel:DWORD
	v_cmpx_gt_u32_e32 8, v87
; %bb.1439:                             ;   in Loop: Header=BB249_799 Depth=1
	v_ffbh_u32_e32 v8, v6
	v_min_u32_e32 v8, 32, v8
	v_subrev_nc_u32_e32 v10, 28, v8
	v_sub_nc_u32_e32 v8, 29, v8
	v_lshlrev_b64 v[20:21], v10, v[6:7]
	v_and_b32_e32 v6, 7, v20
; %bb.1440:                             ;   in Loop: Header=BB249_799 Depth=1
	s_or_b32 exec_lo, exec_lo, s13
	v_mov_b32_e32 v10, 24
	v_lshlrev_b32_e32 v6, 20, v6
	v_lshl_add_u32 v8, v8, 23, 0x3c000000
	v_mov_b32_e32 v20, v7
	v_lshlrev_b32_sdwa v10, v10, v86 dst_sel:DWORD dst_unused:UNUSED_PAD src0_sel:DWORD src1_sel:BYTE_3
	v_and_b32_e32 v10, 0x80000000, v10
	v_or3_b32 v21, v6, v10, v8
.LBB249_1441:                           ;   in Loop: Header=BB249_799 Depth=1
	s_or_b32 exec_lo, exec_lo, s12
.LBB249_1442:                           ;   in Loop: Header=BB249_799 Depth=1
	s_or_b32 exec_lo, exec_lo, s11
.LBB249_1443:                           ;   in Loop: Header=BB249_799 Depth=1
	s_or_b32 exec_lo, exec_lo, s9
	v_or_b32_e32 v6, v19, v17
	v_or_b32_e32 v8, v18, v16
	;; [unrolled: 1-line block ×4, first 2 shown]
	v_mul_f32_e32 v97, v85, v6
	v_mul_f32_e32 v96, v68, v8
	;; [unrolled: 1-line block ×4, first 2 shown]
	s_and_saveexec_b32 s9, vcc_lo
	s_cbranch_execz .LBB249_1445
; %bb.1444:                             ;   in Loop: Header=BB249_799 Depth=1
	v_cmp_lt_i32_e64 s4, v103, v102
	v_cndmask_b32_e64 v96, 0, v96, s4
	v_cmp_lt_i32_e64 s4, v113, v102
	v_cndmask_b32_e64 v97, 0, v97, s4
	;; [unrolled: 2-line block ×4, first 2 shown]
.LBB249_1445:                           ;   in Loop: Header=BB249_799 Depth=1
	s_or_b32 exec_lo, exec_lo, s9
	flat_load_dword v98, v[4:5] offset:384
	v_mov_b32_e32 v18, 0
	v_mov_b32_e32 v16, 0
	;; [unrolled: 1-line block ×4, first 2 shown]
	s_waitcnt vmcnt(0) lgkmcnt(0)
	v_cmp_ne_u16_sdwa s4, v98, v7 src0_sel:BYTE_0 src1_sel:DWORD
	s_and_saveexec_b32 s9, s4
	s_cbranch_execz .LBB249_1453
; %bb.1446:                             ;   in Loop: Header=BB249_799 Depth=1
	v_bfrev_b32_e32 v16, 1
	v_mov_b32_e32 v17, 0
	v_cmp_ne_u16_sdwa s4, v98, v70 src0_sel:BYTE_0 src1_sel:DWORD
	s_and_saveexec_b32 s11, s4
	s_cbranch_execz .LBB249_1452
; %bb.1447:                             ;   in Loop: Header=BB249_799 Depth=1
	v_mov_b32_e32 v16, 0x7f800001
	v_and_b32_e32 v10, 0x7f, v98
	v_mov_b32_e32 v17, 0
	s_mov_b32 s12, exec_lo
	v_cmpx_ne_u32_e32 0x7f, v10
	s_cbranch_execz .LBB249_1451
; %bb.1448:                             ;   in Loop: Header=BB249_799 Depth=1
	v_and_b32_e32 v6, 7, v98
	v_lshrrev_b32_e32 v8, 3, v10
	s_mov_b32 s13, exec_lo
	v_cmpx_gt_u32_e32 8, v10
; %bb.1449:                             ;   in Loop: Header=BB249_799 Depth=1
	v_ffbh_u32_e32 v8, v6
	v_min_u32_e32 v8, 32, v8
	v_subrev_nc_u32_e32 v10, 28, v8
	v_sub_nc_u32_e32 v8, 29, v8
	v_lshlrev_b64 v[16:17], v10, v[6:7]
	v_and_b32_e32 v6, 7, v16
; %bb.1450:                             ;   in Loop: Header=BB249_799 Depth=1
	s_or_b32 exec_lo, exec_lo, s13
	v_lshlrev_b32_e32 v10, 24, v98
	v_lshlrev_b32_e32 v6, 20, v6
	v_lshl_add_u32 v8, v8, 23, 0x3c000000
	v_and_b32_e32 v10, 0x80000000, v10
	v_or3_b32 v6, v6, v10, v8
	v_mov_b32_e32 v17, v7
	v_mov_b32_e32 v16, v6
.LBB249_1451:                           ;   in Loop: Header=BB249_799 Depth=1
	s_or_b32 exec_lo, exec_lo, s12
.LBB249_1452:                           ;   in Loop: Header=BB249_799 Depth=1
	s_or_b32 exec_lo, exec_lo, s11
.LBB249_1453:                           ;   in Loop: Header=BB249_799 Depth=1
	s_or_b32 exec_lo, exec_lo, s9
	v_cmp_ne_u16_sdwa s4, v98, v7 src0_sel:BYTE_1 src1_sel:DWORD
	s_and_saveexec_b32 s9, s4
	s_cbranch_execz .LBB249_1461
; %bb.1454:                             ;   in Loop: Header=BB249_799 Depth=1
	v_mov_b32_e32 v8, v7
	v_mov_b32_e32 v19, v9
	v_cmp_ne_u16_sdwa s4, v98, v70 src0_sel:BYTE_1 src1_sel:DWORD
	v_mov_b32_e32 v18, v8
	s_and_saveexec_b32 s11, s4
	s_cbranch_execz .LBB249_1460
; %bb.1455:                             ;   in Loop: Header=BB249_799 Depth=1
	v_mov_b32_e32 v6, 0xffff
	v_mov_b32_e32 v10, v7
	;; [unrolled: 1-line block ×3, first 2 shown]
	s_mov_b32 s12, exec_lo
	v_and_b32_sdwa v6, v6, v98 dst_sel:DWORD dst_unused:UNUSED_PAD src0_sel:DWORD src1_sel:BYTE_1
	v_mov_b32_e32 v18, v10
	v_and_b32_e32 v20, 0x7f, v6
	v_cmpx_ne_u32_e32 0x7f, v20
	s_cbranch_execz .LBB249_1459
; %bb.1456:                             ;   in Loop: Header=BB249_799 Depth=1
	v_and_b32_e32 v6, 7, v6
	v_lshrrev_b32_e32 v8, 3, v20
	s_mov_b32 s13, exec_lo
	v_cmpx_gt_u32_e32 8, v20
; %bb.1457:                             ;   in Loop: Header=BB249_799 Depth=1
	v_ffbh_u32_e32 v8, v6
	v_min_u32_e32 v8, 32, v8
	v_subrev_nc_u32_e32 v10, 28, v8
	v_sub_nc_u32_e32 v8, 29, v8
	v_lshlrev_b64 v[18:19], v10, v[6:7]
	v_and_b32_e32 v6, 7, v18
; %bb.1458:                             ;   in Loop: Header=BB249_799 Depth=1
	s_or_b32 exec_lo, exec_lo, s13
	v_lshlrev_b32_e32 v10, 16, v98
	v_lshlrev_b32_e32 v6, 20, v6
	v_lshl_add_u32 v8, v8, 23, 0x3c000000
	v_mov_b32_e32 v18, v7
	v_and_b32_e32 v10, 0x80000000, v10
	v_or3_b32 v19, v6, v10, v8
.LBB249_1459:                           ;   in Loop: Header=BB249_799 Depth=1
	s_or_b32 exec_lo, exec_lo, s12
.LBB249_1460:                           ;   in Loop: Header=BB249_799 Depth=1
	s_or_b32 exec_lo, exec_lo, s11
.LBB249_1461:                           ;   in Loop: Header=BB249_799 Depth=1
	s_or_b32 exec_lo, exec_lo, s9
	v_mov_b32_e32 v20, 0
	v_mov_b32_e32 v22, 0
	v_and_b32_sdwa v6, v98, v80 dst_sel:DWORD dst_unused:UNUSED_PAD src0_sel:WORD_1 src1_sel:DWORD
	v_mov_b32_e32 v21, 0
	v_mov_b32_e32 v23, 0
	s_mov_b32 s9, exec_lo
	v_cmpx_ne_u16_e32 0, v6
	s_cbranch_execz .LBB249_1469
; %bb.1462:                             ;   in Loop: Header=BB249_799 Depth=1
	v_bfrev_b32_e32 v22, 1
	v_mov_b32_e32 v23, 0
	s_mov_b32 s11, exec_lo
	v_cmpx_ne_u16_e32 0x80, v6
	s_cbranch_execz .LBB249_1468
; %bb.1463:                             ;   in Loop: Header=BB249_799 Depth=1
	v_mov_b32_e32 v22, 0x7f800001
	v_bfe_u32 v10, v98, 16, 7
	v_mov_b32_e32 v23, 0
	s_mov_b32 s12, exec_lo
	v_cmpx_ne_u32_e32 0x7f, v10
	s_cbranch_execz .LBB249_1467
; %bb.1464:                             ;   in Loop: Header=BB249_799 Depth=1
	v_mov_b32_e32 v6, 7
	v_lshrrev_b32_e32 v8, 3, v10
	s_mov_b32 s13, exec_lo
	v_and_b32_sdwa v6, v98, v6 dst_sel:DWORD dst_unused:UNUSED_PAD src0_sel:WORD_1 src1_sel:DWORD
	v_cmpx_gt_u32_e32 8, v10
; %bb.1465:                             ;   in Loop: Header=BB249_799 Depth=1
	v_ffbh_u32_e32 v8, v6
	v_min_u32_e32 v8, 32, v8
	v_subrev_nc_u32_e32 v10, 28, v8
	v_sub_nc_u32_e32 v8, 29, v8
	v_lshlrev_b64 v[22:23], v10, v[6:7]
	v_and_b32_e32 v6, 7, v22
; %bb.1466:                             ;   in Loop: Header=BB249_799 Depth=1
	s_or_b32 exec_lo, exec_lo, s13
	v_mov_b32_e32 v10, 24
	v_lshlrev_b32_e32 v6, 20, v6
	v_lshl_add_u32 v8, v8, 23, 0x3c000000
	v_lshlrev_b32_sdwa v10, v10, v98 dst_sel:DWORD dst_unused:UNUSED_PAD src0_sel:DWORD src1_sel:WORD_1
	v_and_b32_e32 v10, 0x80000000, v10
	v_or3_b32 v6, v6, v10, v8
	v_mov_b32_e32 v23, v7
	v_mov_b32_e32 v22, v6
.LBB249_1467:                           ;   in Loop: Header=BB249_799 Depth=1
	s_or_b32 exec_lo, exec_lo, s12
.LBB249_1468:                           ;   in Loop: Header=BB249_799 Depth=1
	s_or_b32 exec_lo, exec_lo, s11
.LBB249_1469:                           ;   in Loop: Header=BB249_799 Depth=1
	s_or_b32 exec_lo, exec_lo, s9
	s_mov_b32 s9, exec_lo
	v_cmpx_lt_u32_e32 0xffffff, v98
	s_cbranch_execz .LBB249_1477
; %bb.1470:                             ;   in Loop: Header=BB249_799 Depth=1
	v_mov_b32_e32 v8, v7
	v_mov_b32_e32 v21, v9
	v_cmp_ne_u32_sdwa s4, v98, v70 src0_sel:BYTE_3 src1_sel:DWORD
	v_mov_b32_e32 v20, v8
	s_and_saveexec_b32 s11, s4
	s_cbranch_execz .LBB249_1476
; %bb.1471:                             ;   in Loop: Header=BB249_799 Depth=1
	v_mov_b32_e32 v10, v7
	v_mov_b32_e32 v21, v11
	v_bfe_u32 v99, v98, 24, 7
	s_mov_b32 s12, exec_lo
	v_mov_b32_e32 v20, v10
	v_cmpx_ne_u32_e32 0x7f, v99
	s_cbranch_execz .LBB249_1475
; %bb.1472:                             ;   in Loop: Header=BB249_799 Depth=1
	v_mov_b32_e32 v6, 7
	v_lshrrev_b32_e32 v8, 3, v99
	s_mov_b32 s13, exec_lo
	v_and_b32_sdwa v6, v98, v6 dst_sel:DWORD dst_unused:UNUSED_PAD src0_sel:BYTE_3 src1_sel:DWORD
	v_cmpx_gt_u32_e32 8, v99
; %bb.1473:                             ;   in Loop: Header=BB249_799 Depth=1
	v_ffbh_u32_e32 v8, v6
	v_min_u32_e32 v8, 32, v8
	v_subrev_nc_u32_e32 v10, 28, v8
	v_sub_nc_u32_e32 v8, 29, v8
	v_lshlrev_b64 v[20:21], v10, v[6:7]
	v_and_b32_e32 v6, 7, v20
; %bb.1474:                             ;   in Loop: Header=BB249_799 Depth=1
	s_or_b32 exec_lo, exec_lo, s13
	v_mov_b32_e32 v10, 24
	v_lshlrev_b32_e32 v6, 20, v6
	v_lshl_add_u32 v8, v8, 23, 0x3c000000
	v_mov_b32_e32 v20, v7
	v_lshlrev_b32_sdwa v10, v10, v98 dst_sel:DWORD dst_unused:UNUSED_PAD src0_sel:DWORD src1_sel:BYTE_3
	v_and_b32_e32 v10, 0x80000000, v10
	v_or3_b32 v21, v6, v10, v8
.LBB249_1475:                           ;   in Loop: Header=BB249_799 Depth=1
	s_or_b32 exec_lo, exec_lo, s12
.LBB249_1476:                           ;   in Loop: Header=BB249_799 Depth=1
	s_or_b32 exec_lo, exec_lo, s11
.LBB249_1477:                           ;   in Loop: Header=BB249_799 Depth=1
	s_or_b32 exec_lo, exec_lo, s9
	v_or_b32_e32 v6, v19, v17
	v_or_b32_e32 v8, v18, v16
	;; [unrolled: 1-line block ×4, first 2 shown]
	v_mul_f32_e32 v101, v85, v6
	v_mul_f32_e32 v100, v68, v8
	;; [unrolled: 1-line block ×4, first 2 shown]
	s_and_saveexec_b32 s9, vcc_lo
	s_cbranch_execz .LBB249_1479
; %bb.1478:                             ;   in Loop: Header=BB249_799 Depth=1
	v_cmp_lt_i32_e64 s4, v103, v102
	v_cndmask_b32_e64 v100, 0, v100, s4
	v_cmp_lt_i32_e64 s4, v113, v102
	v_cndmask_b32_e64 v101, 0, v101, s4
	v_cmp_lt_i32_e64 s4, v112, v102
	v_cndmask_b32_e64 v99, 0, v99, s4
	v_cmp_lt_i32_e64 s4, v83, v102
	v_cndmask_b32_e64 v98, 0, v98, s4
.LBB249_1479:                           ;   in Loop: Header=BB249_799 Depth=1
	s_or_b32 exec_lo, exec_lo, s9
	flat_load_dword v114, v[4:5] offset:512
	v_mov_b32_e32 v18, 0
	v_mov_b32_e32 v16, 0
	;; [unrolled: 1-line block ×4, first 2 shown]
	s_waitcnt vmcnt(0) lgkmcnt(0)
	v_cmp_ne_u16_sdwa s4, v114, v7 src0_sel:BYTE_0 src1_sel:DWORD
	s_and_saveexec_b32 s9, s4
	s_cbranch_execz .LBB249_1487
; %bb.1480:                             ;   in Loop: Header=BB249_799 Depth=1
	v_bfrev_b32_e32 v16, 1
	v_mov_b32_e32 v17, 0
	v_cmp_ne_u16_sdwa s4, v114, v70 src0_sel:BYTE_0 src1_sel:DWORD
	s_and_saveexec_b32 s11, s4
	s_cbranch_execz .LBB249_1486
; %bb.1481:                             ;   in Loop: Header=BB249_799 Depth=1
	v_mov_b32_e32 v16, 0x7f800001
	v_and_b32_e32 v10, 0x7f, v114
	v_mov_b32_e32 v17, 0
	s_mov_b32 s12, exec_lo
	v_cmpx_ne_u32_e32 0x7f, v10
	s_cbranch_execz .LBB249_1485
; %bb.1482:                             ;   in Loop: Header=BB249_799 Depth=1
	v_and_b32_e32 v6, 7, v114
	v_lshrrev_b32_e32 v8, 3, v10
	s_mov_b32 s13, exec_lo
	v_cmpx_gt_u32_e32 8, v10
; %bb.1483:                             ;   in Loop: Header=BB249_799 Depth=1
	v_ffbh_u32_e32 v8, v6
	v_min_u32_e32 v8, 32, v8
	v_subrev_nc_u32_e32 v10, 28, v8
	v_sub_nc_u32_e32 v8, 29, v8
	v_lshlrev_b64 v[16:17], v10, v[6:7]
	v_and_b32_e32 v6, 7, v16
; %bb.1484:                             ;   in Loop: Header=BB249_799 Depth=1
	s_or_b32 exec_lo, exec_lo, s13
	v_lshlrev_b32_e32 v10, 24, v114
	v_lshlrev_b32_e32 v6, 20, v6
	v_lshl_add_u32 v8, v8, 23, 0x3c000000
	v_and_b32_e32 v10, 0x80000000, v10
	v_or3_b32 v6, v6, v10, v8
	v_mov_b32_e32 v17, v7
	v_mov_b32_e32 v16, v6
.LBB249_1485:                           ;   in Loop: Header=BB249_799 Depth=1
	s_or_b32 exec_lo, exec_lo, s12
.LBB249_1486:                           ;   in Loop: Header=BB249_799 Depth=1
	s_or_b32 exec_lo, exec_lo, s11
.LBB249_1487:                           ;   in Loop: Header=BB249_799 Depth=1
	s_or_b32 exec_lo, exec_lo, s9
	v_cmp_ne_u16_sdwa s4, v114, v7 src0_sel:BYTE_1 src1_sel:DWORD
	s_and_saveexec_b32 s9, s4
	s_cbranch_execz .LBB249_1495
; %bb.1488:                             ;   in Loop: Header=BB249_799 Depth=1
	v_mov_b32_e32 v8, v7
	v_mov_b32_e32 v19, v9
	v_cmp_ne_u16_sdwa s4, v114, v70 src0_sel:BYTE_1 src1_sel:DWORD
	v_mov_b32_e32 v18, v8
	s_and_saveexec_b32 s11, s4
	s_cbranch_execz .LBB249_1494
; %bb.1489:                             ;   in Loop: Header=BB249_799 Depth=1
	v_mov_b32_e32 v6, 0xffff
	v_mov_b32_e32 v10, v7
	;; [unrolled: 1-line block ×3, first 2 shown]
	s_mov_b32 s12, exec_lo
	v_and_b32_sdwa v6, v6, v114 dst_sel:DWORD dst_unused:UNUSED_PAD src0_sel:DWORD src1_sel:BYTE_1
	v_mov_b32_e32 v18, v10
	v_and_b32_e32 v20, 0x7f, v6
	v_cmpx_ne_u32_e32 0x7f, v20
	s_cbranch_execz .LBB249_1493
; %bb.1490:                             ;   in Loop: Header=BB249_799 Depth=1
	v_and_b32_e32 v6, 7, v6
	v_lshrrev_b32_e32 v8, 3, v20
	s_mov_b32 s13, exec_lo
	v_cmpx_gt_u32_e32 8, v20
; %bb.1491:                             ;   in Loop: Header=BB249_799 Depth=1
	v_ffbh_u32_e32 v8, v6
	v_min_u32_e32 v8, 32, v8
	v_subrev_nc_u32_e32 v10, 28, v8
	v_sub_nc_u32_e32 v8, 29, v8
	v_lshlrev_b64 v[18:19], v10, v[6:7]
	v_and_b32_e32 v6, 7, v18
; %bb.1492:                             ;   in Loop: Header=BB249_799 Depth=1
	s_or_b32 exec_lo, exec_lo, s13
	v_lshlrev_b32_e32 v10, 16, v114
	v_lshlrev_b32_e32 v6, 20, v6
	v_lshl_add_u32 v8, v8, 23, 0x3c000000
	v_mov_b32_e32 v18, v7
	v_and_b32_e32 v10, 0x80000000, v10
	v_or3_b32 v19, v6, v10, v8
.LBB249_1493:                           ;   in Loop: Header=BB249_799 Depth=1
	s_or_b32 exec_lo, exec_lo, s12
.LBB249_1494:                           ;   in Loop: Header=BB249_799 Depth=1
	s_or_b32 exec_lo, exec_lo, s11
.LBB249_1495:                           ;   in Loop: Header=BB249_799 Depth=1
	s_or_b32 exec_lo, exec_lo, s9
	v_mov_b32_e32 v20, 0
	v_mov_b32_e32 v22, 0
	v_and_b32_sdwa v6, v114, v80 dst_sel:DWORD dst_unused:UNUSED_PAD src0_sel:WORD_1 src1_sel:DWORD
	v_mov_b32_e32 v21, 0
	v_mov_b32_e32 v23, 0
	s_mov_b32 s9, exec_lo
	v_cmpx_ne_u16_e32 0, v6
	s_cbranch_execz .LBB249_1503
; %bb.1496:                             ;   in Loop: Header=BB249_799 Depth=1
	v_bfrev_b32_e32 v22, 1
	v_mov_b32_e32 v23, 0
	s_mov_b32 s11, exec_lo
	v_cmpx_ne_u16_e32 0x80, v6
	s_cbranch_execz .LBB249_1502
; %bb.1497:                             ;   in Loop: Header=BB249_799 Depth=1
	v_mov_b32_e32 v22, 0x7f800001
	v_bfe_u32 v10, v114, 16, 7
	v_mov_b32_e32 v23, 0
	s_mov_b32 s12, exec_lo
	v_cmpx_ne_u32_e32 0x7f, v10
	s_cbranch_execz .LBB249_1501
; %bb.1498:                             ;   in Loop: Header=BB249_799 Depth=1
	v_mov_b32_e32 v6, 7
	v_lshrrev_b32_e32 v8, 3, v10
	s_mov_b32 s13, exec_lo
	v_and_b32_sdwa v6, v114, v6 dst_sel:DWORD dst_unused:UNUSED_PAD src0_sel:WORD_1 src1_sel:DWORD
	v_cmpx_gt_u32_e32 8, v10
; %bb.1499:                             ;   in Loop: Header=BB249_799 Depth=1
	v_ffbh_u32_e32 v8, v6
	v_min_u32_e32 v8, 32, v8
	v_subrev_nc_u32_e32 v10, 28, v8
	v_sub_nc_u32_e32 v8, 29, v8
	v_lshlrev_b64 v[22:23], v10, v[6:7]
	v_and_b32_e32 v6, 7, v22
; %bb.1500:                             ;   in Loop: Header=BB249_799 Depth=1
	s_or_b32 exec_lo, exec_lo, s13
	v_mov_b32_e32 v10, 24
	v_lshlrev_b32_e32 v6, 20, v6
	v_lshl_add_u32 v8, v8, 23, 0x3c000000
	v_lshlrev_b32_sdwa v10, v10, v114 dst_sel:DWORD dst_unused:UNUSED_PAD src0_sel:DWORD src1_sel:WORD_1
	v_and_b32_e32 v10, 0x80000000, v10
	v_or3_b32 v6, v6, v10, v8
	v_mov_b32_e32 v23, v7
	v_mov_b32_e32 v22, v6
.LBB249_1501:                           ;   in Loop: Header=BB249_799 Depth=1
	s_or_b32 exec_lo, exec_lo, s12
.LBB249_1502:                           ;   in Loop: Header=BB249_799 Depth=1
	s_or_b32 exec_lo, exec_lo, s11
.LBB249_1503:                           ;   in Loop: Header=BB249_799 Depth=1
	s_or_b32 exec_lo, exec_lo, s9
	s_mov_b32 s9, exec_lo
	v_cmpx_lt_u32_e32 0xffffff, v114
	s_cbranch_execz .LBB249_1511
; %bb.1504:                             ;   in Loop: Header=BB249_799 Depth=1
	v_mov_b32_e32 v8, v7
	v_mov_b32_e32 v21, v9
	v_cmp_ne_u32_sdwa s4, v114, v70 src0_sel:BYTE_3 src1_sel:DWORD
	v_mov_b32_e32 v20, v8
	s_and_saveexec_b32 s11, s4
	s_cbranch_execz .LBB249_1510
; %bb.1505:                             ;   in Loop: Header=BB249_799 Depth=1
	v_mov_b32_e32 v10, v7
	v_mov_b32_e32 v21, v11
	v_bfe_u32 v115, v114, 24, 7
	s_mov_b32 s12, exec_lo
	v_mov_b32_e32 v20, v10
	v_cmpx_ne_u32_e32 0x7f, v115
	s_cbranch_execz .LBB249_1509
; %bb.1506:                             ;   in Loop: Header=BB249_799 Depth=1
	v_mov_b32_e32 v6, 7
	v_lshrrev_b32_e32 v8, 3, v115
	s_mov_b32 s13, exec_lo
	v_and_b32_sdwa v6, v114, v6 dst_sel:DWORD dst_unused:UNUSED_PAD src0_sel:BYTE_3 src1_sel:DWORD
	v_cmpx_gt_u32_e32 8, v115
; %bb.1507:                             ;   in Loop: Header=BB249_799 Depth=1
	v_ffbh_u32_e32 v8, v6
	v_min_u32_e32 v8, 32, v8
	v_subrev_nc_u32_e32 v10, 28, v8
	v_sub_nc_u32_e32 v8, 29, v8
	v_lshlrev_b64 v[20:21], v10, v[6:7]
	v_and_b32_e32 v6, 7, v20
; %bb.1508:                             ;   in Loop: Header=BB249_799 Depth=1
	s_or_b32 exec_lo, exec_lo, s13
	v_mov_b32_e32 v10, 24
	v_lshlrev_b32_e32 v6, 20, v6
	v_lshl_add_u32 v8, v8, 23, 0x3c000000
	v_mov_b32_e32 v20, v7
	v_lshlrev_b32_sdwa v10, v10, v114 dst_sel:DWORD dst_unused:UNUSED_PAD src0_sel:DWORD src1_sel:BYTE_3
	v_and_b32_e32 v10, 0x80000000, v10
	v_or3_b32 v21, v6, v10, v8
.LBB249_1509:                           ;   in Loop: Header=BB249_799 Depth=1
	s_or_b32 exec_lo, exec_lo, s12
.LBB249_1510:                           ;   in Loop: Header=BB249_799 Depth=1
	s_or_b32 exec_lo, exec_lo, s11
.LBB249_1511:                           ;   in Loop: Header=BB249_799 Depth=1
	s_or_b32 exec_lo, exec_lo, s9
	v_or_b32_e32 v6, v19, v17
	v_or_b32_e32 v8, v18, v16
	;; [unrolled: 1-line block ×4, first 2 shown]
	v_mul_f32_e32 v117, v85, v6
	v_mul_f32_e32 v116, v68, v8
	;; [unrolled: 1-line block ×4, first 2 shown]
	s_and_saveexec_b32 s9, vcc_lo
	s_cbranch_execz .LBB249_1513
; %bb.1512:                             ;   in Loop: Header=BB249_799 Depth=1
	v_cmp_lt_i32_e64 s4, v103, v102
	v_cndmask_b32_e64 v116, 0, v116, s4
	v_cmp_lt_i32_e64 s4, v113, v102
	v_cndmask_b32_e64 v117, 0, v117, s4
	;; [unrolled: 2-line block ×4, first 2 shown]
.LBB249_1513:                           ;   in Loop: Header=BB249_799 Depth=1
	s_or_b32 exec_lo, exec_lo, s9
	flat_load_dword v118, v[4:5] offset:640
	v_mov_b32_e32 v18, 0
	v_mov_b32_e32 v16, 0
	;; [unrolled: 1-line block ×4, first 2 shown]
	s_waitcnt vmcnt(0) lgkmcnt(0)
	v_cmp_ne_u16_sdwa s4, v118, v7 src0_sel:BYTE_0 src1_sel:DWORD
	s_and_saveexec_b32 s9, s4
	s_cbranch_execz .LBB249_1521
; %bb.1514:                             ;   in Loop: Header=BB249_799 Depth=1
	v_bfrev_b32_e32 v16, 1
	v_mov_b32_e32 v17, 0
	v_cmp_ne_u16_sdwa s4, v118, v70 src0_sel:BYTE_0 src1_sel:DWORD
	s_and_saveexec_b32 s11, s4
	s_cbranch_execz .LBB249_1520
; %bb.1515:                             ;   in Loop: Header=BB249_799 Depth=1
	v_mov_b32_e32 v16, 0x7f800001
	v_and_b32_e32 v10, 0x7f, v118
	v_mov_b32_e32 v17, 0
	s_mov_b32 s12, exec_lo
	v_cmpx_ne_u32_e32 0x7f, v10
	s_cbranch_execz .LBB249_1519
; %bb.1516:                             ;   in Loop: Header=BB249_799 Depth=1
	v_and_b32_e32 v6, 7, v118
	v_lshrrev_b32_e32 v8, 3, v10
	s_mov_b32 s13, exec_lo
	v_cmpx_gt_u32_e32 8, v10
; %bb.1517:                             ;   in Loop: Header=BB249_799 Depth=1
	v_ffbh_u32_e32 v8, v6
	v_min_u32_e32 v8, 32, v8
	v_subrev_nc_u32_e32 v10, 28, v8
	v_sub_nc_u32_e32 v8, 29, v8
	v_lshlrev_b64 v[16:17], v10, v[6:7]
	v_and_b32_e32 v6, 7, v16
; %bb.1518:                             ;   in Loop: Header=BB249_799 Depth=1
	s_or_b32 exec_lo, exec_lo, s13
	v_lshlrev_b32_e32 v10, 24, v118
	v_lshlrev_b32_e32 v6, 20, v6
	v_lshl_add_u32 v8, v8, 23, 0x3c000000
	v_and_b32_e32 v10, 0x80000000, v10
	v_or3_b32 v6, v6, v10, v8
	v_mov_b32_e32 v17, v7
	v_mov_b32_e32 v16, v6
.LBB249_1519:                           ;   in Loop: Header=BB249_799 Depth=1
	s_or_b32 exec_lo, exec_lo, s12
.LBB249_1520:                           ;   in Loop: Header=BB249_799 Depth=1
	s_or_b32 exec_lo, exec_lo, s11
.LBB249_1521:                           ;   in Loop: Header=BB249_799 Depth=1
	s_or_b32 exec_lo, exec_lo, s9
	v_cmp_ne_u16_sdwa s4, v118, v7 src0_sel:BYTE_1 src1_sel:DWORD
	s_and_saveexec_b32 s9, s4
	s_cbranch_execz .LBB249_1529
; %bb.1522:                             ;   in Loop: Header=BB249_799 Depth=1
	v_mov_b32_e32 v8, v7
	v_mov_b32_e32 v19, v9
	v_cmp_ne_u16_sdwa s4, v118, v70 src0_sel:BYTE_1 src1_sel:DWORD
	v_mov_b32_e32 v18, v8
	s_and_saveexec_b32 s11, s4
	s_cbranch_execz .LBB249_1528
; %bb.1523:                             ;   in Loop: Header=BB249_799 Depth=1
	v_mov_b32_e32 v6, 0xffff
	v_mov_b32_e32 v10, v7
	;; [unrolled: 1-line block ×3, first 2 shown]
	s_mov_b32 s12, exec_lo
	v_and_b32_sdwa v6, v6, v118 dst_sel:DWORD dst_unused:UNUSED_PAD src0_sel:DWORD src1_sel:BYTE_1
	v_mov_b32_e32 v18, v10
	v_and_b32_e32 v20, 0x7f, v6
	v_cmpx_ne_u32_e32 0x7f, v20
	s_cbranch_execz .LBB249_1527
; %bb.1524:                             ;   in Loop: Header=BB249_799 Depth=1
	v_and_b32_e32 v6, 7, v6
	v_lshrrev_b32_e32 v8, 3, v20
	s_mov_b32 s13, exec_lo
	v_cmpx_gt_u32_e32 8, v20
; %bb.1525:                             ;   in Loop: Header=BB249_799 Depth=1
	v_ffbh_u32_e32 v8, v6
	v_min_u32_e32 v8, 32, v8
	v_subrev_nc_u32_e32 v10, 28, v8
	v_sub_nc_u32_e32 v8, 29, v8
	v_lshlrev_b64 v[18:19], v10, v[6:7]
	v_and_b32_e32 v6, 7, v18
; %bb.1526:                             ;   in Loop: Header=BB249_799 Depth=1
	s_or_b32 exec_lo, exec_lo, s13
	v_lshlrev_b32_e32 v10, 16, v118
	v_lshlrev_b32_e32 v6, 20, v6
	v_lshl_add_u32 v8, v8, 23, 0x3c000000
	v_mov_b32_e32 v18, v7
	v_and_b32_e32 v10, 0x80000000, v10
	v_or3_b32 v19, v6, v10, v8
.LBB249_1527:                           ;   in Loop: Header=BB249_799 Depth=1
	s_or_b32 exec_lo, exec_lo, s12
.LBB249_1528:                           ;   in Loop: Header=BB249_799 Depth=1
	s_or_b32 exec_lo, exec_lo, s11
.LBB249_1529:                           ;   in Loop: Header=BB249_799 Depth=1
	s_or_b32 exec_lo, exec_lo, s9
	v_mov_b32_e32 v20, 0
	v_mov_b32_e32 v22, 0
	v_and_b32_sdwa v6, v118, v80 dst_sel:DWORD dst_unused:UNUSED_PAD src0_sel:WORD_1 src1_sel:DWORD
	v_mov_b32_e32 v21, 0
	v_mov_b32_e32 v23, 0
	s_mov_b32 s9, exec_lo
	v_cmpx_ne_u16_e32 0, v6
	s_cbranch_execz .LBB249_1537
; %bb.1530:                             ;   in Loop: Header=BB249_799 Depth=1
	v_bfrev_b32_e32 v22, 1
	v_mov_b32_e32 v23, 0
	s_mov_b32 s11, exec_lo
	v_cmpx_ne_u16_e32 0x80, v6
	s_cbranch_execz .LBB249_1536
; %bb.1531:                             ;   in Loop: Header=BB249_799 Depth=1
	v_mov_b32_e32 v22, 0x7f800001
	v_bfe_u32 v10, v118, 16, 7
	v_mov_b32_e32 v23, 0
	s_mov_b32 s12, exec_lo
	v_cmpx_ne_u32_e32 0x7f, v10
	s_cbranch_execz .LBB249_1535
; %bb.1532:                             ;   in Loop: Header=BB249_799 Depth=1
	v_mov_b32_e32 v6, 7
	v_lshrrev_b32_e32 v8, 3, v10
	s_mov_b32 s13, exec_lo
	v_and_b32_sdwa v6, v118, v6 dst_sel:DWORD dst_unused:UNUSED_PAD src0_sel:WORD_1 src1_sel:DWORD
	v_cmpx_gt_u32_e32 8, v10
; %bb.1533:                             ;   in Loop: Header=BB249_799 Depth=1
	v_ffbh_u32_e32 v8, v6
	v_min_u32_e32 v8, 32, v8
	v_subrev_nc_u32_e32 v10, 28, v8
	v_sub_nc_u32_e32 v8, 29, v8
	v_lshlrev_b64 v[22:23], v10, v[6:7]
	v_and_b32_e32 v6, 7, v22
; %bb.1534:                             ;   in Loop: Header=BB249_799 Depth=1
	s_or_b32 exec_lo, exec_lo, s13
	v_mov_b32_e32 v10, 24
	v_lshlrev_b32_e32 v6, 20, v6
	v_lshl_add_u32 v8, v8, 23, 0x3c000000
	v_lshlrev_b32_sdwa v10, v10, v118 dst_sel:DWORD dst_unused:UNUSED_PAD src0_sel:DWORD src1_sel:WORD_1
	v_and_b32_e32 v10, 0x80000000, v10
	v_or3_b32 v6, v6, v10, v8
	v_mov_b32_e32 v23, v7
	v_mov_b32_e32 v22, v6
.LBB249_1535:                           ;   in Loop: Header=BB249_799 Depth=1
	s_or_b32 exec_lo, exec_lo, s12
.LBB249_1536:                           ;   in Loop: Header=BB249_799 Depth=1
	s_or_b32 exec_lo, exec_lo, s11
.LBB249_1537:                           ;   in Loop: Header=BB249_799 Depth=1
	s_or_b32 exec_lo, exec_lo, s9
	s_mov_b32 s9, exec_lo
	v_cmpx_lt_u32_e32 0xffffff, v118
	s_cbranch_execz .LBB249_1545
; %bb.1538:                             ;   in Loop: Header=BB249_799 Depth=1
	v_mov_b32_e32 v8, v7
	v_mov_b32_e32 v21, v9
	v_cmp_ne_u32_sdwa s4, v118, v70 src0_sel:BYTE_3 src1_sel:DWORD
	v_mov_b32_e32 v20, v8
	s_and_saveexec_b32 s11, s4
	s_cbranch_execz .LBB249_1544
; %bb.1539:                             ;   in Loop: Header=BB249_799 Depth=1
	v_mov_b32_e32 v10, v7
	v_mov_b32_e32 v21, v11
	v_bfe_u32 v119, v118, 24, 7
	s_mov_b32 s12, exec_lo
	v_mov_b32_e32 v20, v10
	v_cmpx_ne_u32_e32 0x7f, v119
	s_cbranch_execz .LBB249_1543
; %bb.1540:                             ;   in Loop: Header=BB249_799 Depth=1
	v_mov_b32_e32 v6, 7
	v_lshrrev_b32_e32 v8, 3, v119
	s_mov_b32 s13, exec_lo
	v_and_b32_sdwa v6, v118, v6 dst_sel:DWORD dst_unused:UNUSED_PAD src0_sel:BYTE_3 src1_sel:DWORD
	v_cmpx_gt_u32_e32 8, v119
; %bb.1541:                             ;   in Loop: Header=BB249_799 Depth=1
	v_ffbh_u32_e32 v8, v6
	v_min_u32_e32 v8, 32, v8
	v_subrev_nc_u32_e32 v10, 28, v8
	v_sub_nc_u32_e32 v8, 29, v8
	v_lshlrev_b64 v[20:21], v10, v[6:7]
	v_and_b32_e32 v6, 7, v20
; %bb.1542:                             ;   in Loop: Header=BB249_799 Depth=1
	s_or_b32 exec_lo, exec_lo, s13
	v_mov_b32_e32 v10, 24
	v_lshlrev_b32_e32 v6, 20, v6
	v_lshl_add_u32 v8, v8, 23, 0x3c000000
	v_mov_b32_e32 v20, v7
	v_lshlrev_b32_sdwa v10, v10, v118 dst_sel:DWORD dst_unused:UNUSED_PAD src0_sel:DWORD src1_sel:BYTE_3
	v_and_b32_e32 v10, 0x80000000, v10
	v_or3_b32 v21, v6, v10, v8
.LBB249_1543:                           ;   in Loop: Header=BB249_799 Depth=1
	s_or_b32 exec_lo, exec_lo, s12
.LBB249_1544:                           ;   in Loop: Header=BB249_799 Depth=1
	s_or_b32 exec_lo, exec_lo, s11
.LBB249_1545:                           ;   in Loop: Header=BB249_799 Depth=1
	s_or_b32 exec_lo, exec_lo, s9
	v_or_b32_e32 v6, v19, v17
	v_or_b32_e32 v8, v18, v16
	v_or_b32_e32 v10, v20, v22
	v_or_b32_e32 v16, v21, v23
	v_mul_f32_e32 v41, v85, v6
	v_mul_f32_e32 v40, v68, v8
	;; [unrolled: 1-line block ×4, first 2 shown]
	s_and_saveexec_b32 s9, vcc_lo
	s_cbranch_execz .LBB249_1547
; %bb.1546:                             ;   in Loop: Header=BB249_799 Depth=1
	v_cmp_lt_i32_e64 s4, v103, v102
	v_cndmask_b32_e64 v40, 0, v40, s4
	v_cmp_lt_i32_e64 s4, v113, v102
	v_cndmask_b32_e64 v41, 0, v41, s4
	;; [unrolled: 2-line block ×4, first 2 shown]
.LBB249_1547:                           ;   in Loop: Header=BB249_799 Depth=1
	s_or_b32 exec_lo, exec_lo, s9
	flat_load_dword v42, v[4:5] offset:768
	v_mov_b32_e32 v18, 0
	v_mov_b32_e32 v16, 0
	v_mov_b32_e32 v19, 0
	v_mov_b32_e32 v17, 0
	s_waitcnt vmcnt(0) lgkmcnt(0)
	v_cmp_ne_u16_sdwa s4, v42, v7 src0_sel:BYTE_0 src1_sel:DWORD
	s_and_saveexec_b32 s9, s4
	s_cbranch_execz .LBB249_1555
; %bb.1548:                             ;   in Loop: Header=BB249_799 Depth=1
	v_bfrev_b32_e32 v16, 1
	v_mov_b32_e32 v17, 0
	v_cmp_ne_u16_sdwa s4, v42, v70 src0_sel:BYTE_0 src1_sel:DWORD
	s_and_saveexec_b32 s11, s4
	s_cbranch_execz .LBB249_1554
; %bb.1549:                             ;   in Loop: Header=BB249_799 Depth=1
	v_mov_b32_e32 v16, 0x7f800001
	v_and_b32_e32 v10, 0x7f, v42
	v_mov_b32_e32 v17, 0
	s_mov_b32 s12, exec_lo
	v_cmpx_ne_u32_e32 0x7f, v10
	s_cbranch_execz .LBB249_1553
; %bb.1550:                             ;   in Loop: Header=BB249_799 Depth=1
	v_and_b32_e32 v6, 7, v42
	v_lshrrev_b32_e32 v8, 3, v10
	s_mov_b32 s13, exec_lo
	v_cmpx_gt_u32_e32 8, v10
; %bb.1551:                             ;   in Loop: Header=BB249_799 Depth=1
	v_ffbh_u32_e32 v8, v6
	v_min_u32_e32 v8, 32, v8
	v_subrev_nc_u32_e32 v10, 28, v8
	v_sub_nc_u32_e32 v8, 29, v8
	v_lshlrev_b64 v[16:17], v10, v[6:7]
	v_and_b32_e32 v6, 7, v16
; %bb.1552:                             ;   in Loop: Header=BB249_799 Depth=1
	s_or_b32 exec_lo, exec_lo, s13
	v_lshlrev_b32_e32 v10, 24, v42
	v_lshlrev_b32_e32 v6, 20, v6
	v_lshl_add_u32 v8, v8, 23, 0x3c000000
	v_and_b32_e32 v10, 0x80000000, v10
	v_or3_b32 v6, v6, v10, v8
	v_mov_b32_e32 v17, v7
	v_mov_b32_e32 v16, v6
.LBB249_1553:                           ;   in Loop: Header=BB249_799 Depth=1
	s_or_b32 exec_lo, exec_lo, s12
.LBB249_1554:                           ;   in Loop: Header=BB249_799 Depth=1
	s_or_b32 exec_lo, exec_lo, s11
.LBB249_1555:                           ;   in Loop: Header=BB249_799 Depth=1
	s_or_b32 exec_lo, exec_lo, s9
	v_cmp_ne_u16_sdwa s4, v42, v7 src0_sel:BYTE_1 src1_sel:DWORD
	s_and_saveexec_b32 s9, s4
	s_cbranch_execz .LBB249_1563
; %bb.1556:                             ;   in Loop: Header=BB249_799 Depth=1
	v_mov_b32_e32 v8, v7
	v_mov_b32_e32 v19, v9
	v_cmp_ne_u16_sdwa s4, v42, v70 src0_sel:BYTE_1 src1_sel:DWORD
	v_mov_b32_e32 v18, v8
	s_and_saveexec_b32 s11, s4
	s_cbranch_execz .LBB249_1562
; %bb.1557:                             ;   in Loop: Header=BB249_799 Depth=1
	v_mov_b32_e32 v6, 0xffff
	v_mov_b32_e32 v10, v7
	;; [unrolled: 1-line block ×3, first 2 shown]
	s_mov_b32 s12, exec_lo
	v_and_b32_sdwa v6, v6, v42 dst_sel:DWORD dst_unused:UNUSED_PAD src0_sel:DWORD src1_sel:BYTE_1
	v_mov_b32_e32 v18, v10
	v_and_b32_e32 v20, 0x7f, v6
	v_cmpx_ne_u32_e32 0x7f, v20
	s_cbranch_execz .LBB249_1561
; %bb.1558:                             ;   in Loop: Header=BB249_799 Depth=1
	v_and_b32_e32 v6, 7, v6
	v_lshrrev_b32_e32 v8, 3, v20
	s_mov_b32 s13, exec_lo
	v_cmpx_gt_u32_e32 8, v20
; %bb.1559:                             ;   in Loop: Header=BB249_799 Depth=1
	v_ffbh_u32_e32 v8, v6
	v_min_u32_e32 v8, 32, v8
	v_subrev_nc_u32_e32 v10, 28, v8
	v_sub_nc_u32_e32 v8, 29, v8
	v_lshlrev_b64 v[18:19], v10, v[6:7]
	v_and_b32_e32 v6, 7, v18
; %bb.1560:                             ;   in Loop: Header=BB249_799 Depth=1
	s_or_b32 exec_lo, exec_lo, s13
	v_lshlrev_b32_e32 v10, 16, v42
	v_lshlrev_b32_e32 v6, 20, v6
	v_lshl_add_u32 v8, v8, 23, 0x3c000000
	v_mov_b32_e32 v18, v7
	v_and_b32_e32 v10, 0x80000000, v10
	v_or3_b32 v19, v6, v10, v8
.LBB249_1561:                           ;   in Loop: Header=BB249_799 Depth=1
	s_or_b32 exec_lo, exec_lo, s12
.LBB249_1562:                           ;   in Loop: Header=BB249_799 Depth=1
	s_or_b32 exec_lo, exec_lo, s11
.LBB249_1563:                           ;   in Loop: Header=BB249_799 Depth=1
	s_or_b32 exec_lo, exec_lo, s9
	v_mov_b32_e32 v20, 0
	v_mov_b32_e32 v22, 0
	v_and_b32_sdwa v6, v42, v80 dst_sel:DWORD dst_unused:UNUSED_PAD src0_sel:WORD_1 src1_sel:DWORD
	v_mov_b32_e32 v21, 0
	v_mov_b32_e32 v23, 0
	s_mov_b32 s9, exec_lo
	v_cmpx_ne_u16_e32 0, v6
	s_cbranch_execz .LBB249_1571
; %bb.1564:                             ;   in Loop: Header=BB249_799 Depth=1
	v_bfrev_b32_e32 v22, 1
	v_mov_b32_e32 v23, 0
	s_mov_b32 s11, exec_lo
	v_cmpx_ne_u16_e32 0x80, v6
	s_cbranch_execz .LBB249_1570
; %bb.1565:                             ;   in Loop: Header=BB249_799 Depth=1
	v_mov_b32_e32 v22, 0x7f800001
	v_bfe_u32 v10, v42, 16, 7
	v_mov_b32_e32 v23, 0
	s_mov_b32 s12, exec_lo
	v_cmpx_ne_u32_e32 0x7f, v10
	s_cbranch_execz .LBB249_1569
; %bb.1566:                             ;   in Loop: Header=BB249_799 Depth=1
	v_mov_b32_e32 v6, 7
	v_lshrrev_b32_e32 v8, 3, v10
	s_mov_b32 s13, exec_lo
	v_and_b32_sdwa v6, v42, v6 dst_sel:DWORD dst_unused:UNUSED_PAD src0_sel:WORD_1 src1_sel:DWORD
	v_cmpx_gt_u32_e32 8, v10
; %bb.1567:                             ;   in Loop: Header=BB249_799 Depth=1
	v_ffbh_u32_e32 v8, v6
	v_min_u32_e32 v8, 32, v8
	v_subrev_nc_u32_e32 v10, 28, v8
	v_sub_nc_u32_e32 v8, 29, v8
	v_lshlrev_b64 v[22:23], v10, v[6:7]
	v_and_b32_e32 v6, 7, v22
; %bb.1568:                             ;   in Loop: Header=BB249_799 Depth=1
	s_or_b32 exec_lo, exec_lo, s13
	v_mov_b32_e32 v10, 24
	v_lshlrev_b32_e32 v6, 20, v6
	v_lshl_add_u32 v8, v8, 23, 0x3c000000
	v_lshlrev_b32_sdwa v10, v10, v42 dst_sel:DWORD dst_unused:UNUSED_PAD src0_sel:DWORD src1_sel:WORD_1
	v_and_b32_e32 v10, 0x80000000, v10
	v_or3_b32 v6, v6, v10, v8
	v_mov_b32_e32 v23, v7
	v_mov_b32_e32 v22, v6
.LBB249_1569:                           ;   in Loop: Header=BB249_799 Depth=1
	s_or_b32 exec_lo, exec_lo, s12
.LBB249_1570:                           ;   in Loop: Header=BB249_799 Depth=1
	s_or_b32 exec_lo, exec_lo, s11
.LBB249_1571:                           ;   in Loop: Header=BB249_799 Depth=1
	s_or_b32 exec_lo, exec_lo, s9
	s_mov_b32 s9, exec_lo
	v_cmpx_lt_u32_e32 0xffffff, v42
	s_cbranch_execz .LBB249_1579
; %bb.1572:                             ;   in Loop: Header=BB249_799 Depth=1
	v_mov_b32_e32 v8, v7
	v_mov_b32_e32 v21, v9
	v_cmp_ne_u32_sdwa s4, v42, v70 src0_sel:BYTE_3 src1_sel:DWORD
	v_mov_b32_e32 v20, v8
	s_and_saveexec_b32 s11, s4
	s_cbranch_execz .LBB249_1578
; %bb.1573:                             ;   in Loop: Header=BB249_799 Depth=1
	v_mov_b32_e32 v10, v7
	v_mov_b32_e32 v21, v11
	v_bfe_u32 v43, v42, 24, 7
	s_mov_b32 s12, exec_lo
	v_mov_b32_e32 v20, v10
	v_cmpx_ne_u32_e32 0x7f, v43
	s_cbranch_execz .LBB249_1577
; %bb.1574:                             ;   in Loop: Header=BB249_799 Depth=1
	v_mov_b32_e32 v6, 7
	v_lshrrev_b32_e32 v8, 3, v43
	s_mov_b32 s13, exec_lo
	v_and_b32_sdwa v6, v42, v6 dst_sel:DWORD dst_unused:UNUSED_PAD src0_sel:BYTE_3 src1_sel:DWORD
	v_cmpx_gt_u32_e32 8, v43
; %bb.1575:                             ;   in Loop: Header=BB249_799 Depth=1
	v_ffbh_u32_e32 v8, v6
	v_min_u32_e32 v8, 32, v8
	v_subrev_nc_u32_e32 v10, 28, v8
	v_sub_nc_u32_e32 v8, 29, v8
	v_lshlrev_b64 v[20:21], v10, v[6:7]
	v_and_b32_e32 v6, 7, v20
; %bb.1576:                             ;   in Loop: Header=BB249_799 Depth=1
	s_or_b32 exec_lo, exec_lo, s13
	v_mov_b32_e32 v10, 24
	v_lshlrev_b32_e32 v6, 20, v6
	v_lshl_add_u32 v8, v8, 23, 0x3c000000
	v_mov_b32_e32 v20, v7
	v_lshlrev_b32_sdwa v10, v10, v42 dst_sel:DWORD dst_unused:UNUSED_PAD src0_sel:DWORD src1_sel:BYTE_3
	v_and_b32_e32 v10, 0x80000000, v10
	v_or3_b32 v21, v6, v10, v8
.LBB249_1577:                           ;   in Loop: Header=BB249_799 Depth=1
	s_or_b32 exec_lo, exec_lo, s12
.LBB249_1578:                           ;   in Loop: Header=BB249_799 Depth=1
	s_or_b32 exec_lo, exec_lo, s11
.LBB249_1579:                           ;   in Loop: Header=BB249_799 Depth=1
	s_or_b32 exec_lo, exec_lo, s9
	v_or_b32_e32 v6, v19, v17
	v_or_b32_e32 v8, v18, v16
	;; [unrolled: 1-line block ×4, first 2 shown]
	v_mul_f32_e32 v43, v85, v6
	v_mul_f32_e32 v42, v68, v8
	;; [unrolled: 1-line block ×4, first 2 shown]
	s_and_saveexec_b32 s9, vcc_lo
	s_cbranch_execz .LBB249_1581
; %bb.1580:                             ;   in Loop: Header=BB249_799 Depth=1
	v_cmp_lt_i32_e64 s4, v103, v102
	v_cndmask_b32_e64 v42, 0, v42, s4
	v_cmp_lt_i32_e64 s4, v113, v102
	v_cndmask_b32_e64 v43, 0, v43, s4
	;; [unrolled: 2-line block ×4, first 2 shown]
.LBB249_1581:                           ;   in Loop: Header=BB249_799 Depth=1
	s_or_b32 exec_lo, exec_lo, s9
	flat_load_dword v44, v[4:5] offset:896
	v_mov_b32_e32 v16, 0
	v_mov_b32_e32 v4, 0
	;; [unrolled: 1-line block ×4, first 2 shown]
	s_waitcnt vmcnt(0) lgkmcnt(0)
	v_cmp_ne_u16_sdwa s4, v44, v7 src0_sel:BYTE_0 src1_sel:DWORD
	s_and_saveexec_b32 s9, s4
	s_cbranch_execz .LBB249_1589
; %bb.1582:                             ;   in Loop: Header=BB249_799 Depth=1
	v_bfrev_b32_e32 v4, 1
	v_mov_b32_e32 v5, 0
	v_cmp_ne_u16_sdwa s4, v44, v70 src0_sel:BYTE_0 src1_sel:DWORD
	s_and_saveexec_b32 s11, s4
	s_cbranch_execz .LBB249_1588
; %bb.1583:                             ;   in Loop: Header=BB249_799 Depth=1
	v_mov_b32_e32 v4, 0x7f800001
	v_and_b32_e32 v8, 0x7f, v44
	v_mov_b32_e32 v5, 0
	s_mov_b32 s12, exec_lo
	v_cmpx_ne_u32_e32 0x7f, v8
	s_cbranch_execz .LBB249_1587
; %bb.1584:                             ;   in Loop: Header=BB249_799 Depth=1
	v_and_b32_e32 v6, 7, v44
	v_lshrrev_b32_e32 v4, 3, v8
	s_mov_b32 s13, exec_lo
	v_cmpx_gt_u32_e32 8, v8
; %bb.1585:                             ;   in Loop: Header=BB249_799 Depth=1
	v_ffbh_u32_e32 v4, v6
	v_min_u32_e32 v4, 32, v4
	v_subrev_nc_u32_e32 v5, 28, v4
	v_sub_nc_u32_e32 v4, 29, v4
	v_lshlrev_b64 v[5:6], v5, v[6:7]
	v_and_b32_e32 v6, 7, v5
; %bb.1586:                             ;   in Loop: Header=BB249_799 Depth=1
	s_or_b32 exec_lo, exec_lo, s13
	v_lshlrev_b32_e32 v5, 24, v44
	v_lshlrev_b32_e32 v6, 20, v6
	v_lshl_add_u32 v4, v4, 23, 0x3c000000
	v_and_b32_e32 v5, 0x80000000, v5
	v_or3_b32 v6, v6, v5, v4
	v_mov_b32_e32 v4, v6
	v_mov_b32_e32 v5, v7
.LBB249_1587:                           ;   in Loop: Header=BB249_799 Depth=1
	s_or_b32 exec_lo, exec_lo, s12
.LBB249_1588:                           ;   in Loop: Header=BB249_799 Depth=1
	s_or_b32 exec_lo, exec_lo, s11
.LBB249_1589:                           ;   in Loop: Header=BB249_799 Depth=1
	s_or_b32 exec_lo, exec_lo, s9
	v_cmp_ne_u16_sdwa s4, v44, v7 src0_sel:BYTE_1 src1_sel:DWORD
	s_and_saveexec_b32 s9, s4
	s_cbranch_execz .LBB249_1597
; %bb.1590:                             ;   in Loop: Header=BB249_799 Depth=1
	v_mov_b32_e32 v8, v7
	v_mov_b32_e32 v17, v9
	v_cmp_ne_u16_sdwa s4, v44, v70 src0_sel:BYTE_1 src1_sel:DWORD
	v_mov_b32_e32 v16, v8
	s_and_saveexec_b32 s11, s4
	s_cbranch_execz .LBB249_1596
; %bb.1591:                             ;   in Loop: Header=BB249_799 Depth=1
	v_mov_b32_e32 v6, 0xffff
	v_mov_b32_e32 v10, v7
	;; [unrolled: 1-line block ×3, first 2 shown]
	s_mov_b32 s12, exec_lo
	v_and_b32_sdwa v6, v6, v44 dst_sel:DWORD dst_unused:UNUSED_PAD src0_sel:DWORD src1_sel:BYTE_1
	v_mov_b32_e32 v16, v10
	v_and_b32_e32 v18, 0x7f, v6
	v_cmpx_ne_u32_e32 0x7f, v18
	s_cbranch_execz .LBB249_1595
; %bb.1592:                             ;   in Loop: Header=BB249_799 Depth=1
	v_and_b32_e32 v6, 7, v6
	v_lshrrev_b32_e32 v8, 3, v18
	s_mov_b32 s13, exec_lo
	v_cmpx_gt_u32_e32 8, v18
; %bb.1593:                             ;   in Loop: Header=BB249_799 Depth=1
	v_ffbh_u32_e32 v8, v6
	v_min_u32_e32 v8, 32, v8
	v_subrev_nc_u32_e32 v10, 28, v8
	v_sub_nc_u32_e32 v8, 29, v8
	v_lshlrev_b64 v[16:17], v10, v[6:7]
	v_and_b32_e32 v6, 7, v16
; %bb.1594:                             ;   in Loop: Header=BB249_799 Depth=1
	s_or_b32 exec_lo, exec_lo, s13
	v_lshlrev_b32_e32 v10, 16, v44
	v_lshlrev_b32_e32 v6, 20, v6
	v_lshl_add_u32 v8, v8, 23, 0x3c000000
	v_mov_b32_e32 v16, v7
	v_and_b32_e32 v10, 0x80000000, v10
	v_or3_b32 v17, v6, v10, v8
.LBB249_1595:                           ;   in Loop: Header=BB249_799 Depth=1
	s_or_b32 exec_lo, exec_lo, s12
.LBB249_1596:                           ;   in Loop: Header=BB249_799 Depth=1
	s_or_b32 exec_lo, exec_lo, s11
.LBB249_1597:                           ;   in Loop: Header=BB249_799 Depth=1
	s_or_b32 exec_lo, exec_lo, s9
	v_mov_b32_e32 v18, 0
	v_mov_b32_e32 v20, 0
	v_and_b32_sdwa v6, v44, v80 dst_sel:DWORD dst_unused:UNUSED_PAD src0_sel:WORD_1 src1_sel:DWORD
	v_mov_b32_e32 v19, 0
	v_mov_b32_e32 v21, 0
	s_mov_b32 s9, exec_lo
	v_cmpx_ne_u16_e32 0, v6
	s_cbranch_execz .LBB249_1605
; %bb.1598:                             ;   in Loop: Header=BB249_799 Depth=1
	v_bfrev_b32_e32 v20, 1
	v_mov_b32_e32 v21, 0
	s_mov_b32 s11, exec_lo
	v_cmpx_ne_u16_e32 0x80, v6
	s_cbranch_execz .LBB249_1604
; %bb.1599:                             ;   in Loop: Header=BB249_799 Depth=1
	v_mov_b32_e32 v20, 0x7f800001
	v_bfe_u32 v10, v44, 16, 7
	v_mov_b32_e32 v21, 0
	s_mov_b32 s12, exec_lo
	v_cmpx_ne_u32_e32 0x7f, v10
	s_cbranch_execz .LBB249_1603
; %bb.1600:                             ;   in Loop: Header=BB249_799 Depth=1
	v_mov_b32_e32 v6, 7
	v_lshrrev_b32_e32 v8, 3, v10
	s_mov_b32 s13, exec_lo
	v_and_b32_sdwa v6, v44, v6 dst_sel:DWORD dst_unused:UNUSED_PAD src0_sel:WORD_1 src1_sel:DWORD
	v_cmpx_gt_u32_e32 8, v10
; %bb.1601:                             ;   in Loop: Header=BB249_799 Depth=1
	v_ffbh_u32_e32 v8, v6
	v_min_u32_e32 v8, 32, v8
	v_subrev_nc_u32_e32 v10, 28, v8
	v_sub_nc_u32_e32 v8, 29, v8
	v_lshlrev_b64 v[20:21], v10, v[6:7]
	v_and_b32_e32 v6, 7, v20
; %bb.1602:                             ;   in Loop: Header=BB249_799 Depth=1
	s_or_b32 exec_lo, exec_lo, s13
	v_mov_b32_e32 v10, 24
	v_lshlrev_b32_e32 v6, 20, v6
	v_lshl_add_u32 v8, v8, 23, 0x3c000000
	v_lshlrev_b32_sdwa v10, v10, v44 dst_sel:DWORD dst_unused:UNUSED_PAD src0_sel:DWORD src1_sel:WORD_1
	v_and_b32_e32 v10, 0x80000000, v10
	v_or3_b32 v6, v6, v10, v8
	v_mov_b32_e32 v21, v7
	v_mov_b32_e32 v20, v6
.LBB249_1603:                           ;   in Loop: Header=BB249_799 Depth=1
	s_or_b32 exec_lo, exec_lo, s12
.LBB249_1604:                           ;   in Loop: Header=BB249_799 Depth=1
	s_or_b32 exec_lo, exec_lo, s11
.LBB249_1605:                           ;   in Loop: Header=BB249_799 Depth=1
	s_or_b32 exec_lo, exec_lo, s9
	s_mov_b32 s9, exec_lo
	v_cmpx_lt_u32_e32 0xffffff, v44
	s_cbranch_execz .LBB249_1613
; %bb.1606:                             ;   in Loop: Header=BB249_799 Depth=1
	v_mov_b32_e32 v8, v7
	v_mov_b32_e32 v19, v9
	v_cmp_ne_u32_sdwa s4, v44, v70 src0_sel:BYTE_3 src1_sel:DWORD
	v_mov_b32_e32 v18, v8
	s_and_saveexec_b32 s11, s4
	s_cbranch_execz .LBB249_1612
; %bb.1607:                             ;   in Loop: Header=BB249_799 Depth=1
	v_mov_b32_e32 v10, v7
	v_mov_b32_e32 v19, v11
	v_bfe_u32 v45, v44, 24, 7
	s_mov_b32 s12, exec_lo
	v_mov_b32_e32 v18, v10
	v_cmpx_ne_u32_e32 0x7f, v45
	s_cbranch_execz .LBB249_1611
; %bb.1608:                             ;   in Loop: Header=BB249_799 Depth=1
	v_mov_b32_e32 v6, 7
	v_lshrrev_b32_e32 v8, 3, v45
	s_mov_b32 s13, exec_lo
	v_and_b32_sdwa v6, v44, v6 dst_sel:DWORD dst_unused:UNUSED_PAD src0_sel:BYTE_3 src1_sel:DWORD
	v_cmpx_gt_u32_e32 8, v45
; %bb.1609:                             ;   in Loop: Header=BB249_799 Depth=1
	v_ffbh_u32_e32 v8, v6
	v_min_u32_e32 v8, 32, v8
	v_subrev_nc_u32_e32 v10, 28, v8
	v_sub_nc_u32_e32 v8, 29, v8
	v_lshlrev_b64 v[18:19], v10, v[6:7]
	v_and_b32_e32 v6, 7, v18
; %bb.1610:                             ;   in Loop: Header=BB249_799 Depth=1
	s_or_b32 exec_lo, exec_lo, s13
	v_mov_b32_e32 v10, 24
	v_lshlrev_b32_e32 v6, 20, v6
	v_lshl_add_u32 v8, v8, 23, 0x3c000000
	v_mov_b32_e32 v18, v7
	v_lshlrev_b32_sdwa v10, v10, v44 dst_sel:DWORD dst_unused:UNUSED_PAD src0_sel:DWORD src1_sel:BYTE_3
	v_and_b32_e32 v10, 0x80000000, v10
	v_or3_b32 v19, v6, v10, v8
.LBB249_1611:                           ;   in Loop: Header=BB249_799 Depth=1
	s_or_b32 exec_lo, exec_lo, s12
.LBB249_1612:                           ;   in Loop: Header=BB249_799 Depth=1
	s_or_b32 exec_lo, exec_lo, s11
.LBB249_1613:                           ;   in Loop: Header=BB249_799 Depth=1
	s_or_b32 exec_lo, exec_lo, s9
	v_or_b32_e32 v5, v17, v5
	v_or_b32_e32 v4, v16, v4
	;; [unrolled: 1-line block ×4, first 2 shown]
	v_mul_f32_e32 v8, v85, v5
	v_mul_f32_e32 v6, v68, v4
	;; [unrolled: 1-line block ×4, first 2 shown]
	s_and_saveexec_b32 s4, vcc_lo
	s_cbranch_execz .LBB249_798
; %bb.1614:                             ;   in Loop: Header=BB249_799 Depth=1
	v_cmp_lt_i32_e32 vcc_lo, v103, v102
	v_cndmask_b32_e32 v6, 0, v6, vcc_lo
	v_cmp_lt_i32_e32 vcc_lo, v113, v102
	v_cndmask_b32_e32 v8, 0, v8, vcc_lo
	;; [unrolled: 2-line block ×4, first 2 shown]
	s_branch .LBB249_798
.LBB249_1615:
	s_or_b32 exec_lo, exec_lo, s8
	s_clause 0x3
	buffer_load_dword v70, off, s[0:3], s32 offset:368
	buffer_load_dword v71, off, s[0:3], s32 offset:376
	;; [unrolled: 1-line block ×4, first 2 shown]
	v_mov_b32_e32 v0, s16
	v_mov_b32_e32 v1, s17
.LBB249_1616:
	s_or_b32 exec_lo, exec_lo, s7
	s_waitcnt vmcnt(0) lgkmcnt(0)
	s_waitcnt_vscnt null, 0x0
	s_barrier
	buffer_gl0_inv
	s_clause 0x1
	buffer_load_dword v25, off, s[0:3], s32 offset:964
	buffer_load_dword v69, off, s[0:3], s32 offset:960
	v_lshlrev_b64 v[0:1], 2, v[0:1]
	s_getpc_b64 s[8:9]
	s_add_u32 s8, s8, llvm.amdgcn.dynlds.offset.table@rel32@lo+4
	s_addc_u32 s9, s9, llvm.amdgcn.dynlds.offset.table@rel32@hi+12
	ds_bpermute_b32 v2, v23, v65
	ds_bpermute_b32 v3, v23, v64
	;; [unrolled: 1-line block ×4, first 2 shown]
	v_add_co_u32 v0, vcc_lo, s8, v0
	v_add_co_ci_u32_e64 v1, null, s9, v1, vcc_lo
	ds_bpermute_b32 v6, v23, v53
	ds_bpermute_b32 v7, v23, v52
	;; [unrolled: 1-line block ×3, first 2 shown]
	global_load_dword v24, v[0:1], off
	ds_bpermute_b32 v0, v23, v67
	ds_bpermute_b32 v1, v23, v66
	;; [unrolled: 1-line block ×17, first 2 shown]
	s_waitcnt lgkmcnt(23)
	v_add_f32_e32 v2, v65, v2
	s_waitcnt lgkmcnt(22)
	v_add_f32_e32 v3, v64, v3
	;; [unrolled: 2-line block ×5, first 2 shown]
	v_add_f32_e32 v5, v54, v5
	v_add_f32_e32 v6, v53, v6
	;; [unrolled: 1-line block ×4, first 2 shown]
	s_waitcnt lgkmcnt(14)
	v_add_f32_e32 v9, v50, v9
	s_waitcnt lgkmcnt(13)
	v_add_f32_e32 v10, v49, v10
	s_waitcnt lgkmcnt(12)
	v_add_f32_e32 v11, v48, v11
	s_waitcnt lgkmcnt(11)
	v_add_f32_e32 v12, v39, v12
	s_waitcnt lgkmcnt(10)
	v_add_f32_e32 v13, v38, v13
	s_waitcnt lgkmcnt(9)
	v_add_f32_e32 v14, v37, v14
	s_waitcnt lgkmcnt(8)
	v_add_f32_e32 v15, v36, v15
	s_waitcnt lgkmcnt(7)
	v_add_f32_e32 v16, v35, v16
	s_waitcnt lgkmcnt(6)
	v_add_f32_e32 v17, v34, v17
	s_waitcnt lgkmcnt(5)
	v_add_f32_e32 v18, v33, v18
	s_waitcnt lgkmcnt(4)
	v_add_f32_e32 v19, v32, v19
	s_waitcnt lgkmcnt(3)
	v_add_f32_e32 v20, v31, v20
	s_waitcnt lgkmcnt(2)
	v_add_f32_e32 v21, v30, v21
	s_waitcnt lgkmcnt(1)
	v_add_f32_e32 v22, v29, v22
	s_waitcnt lgkmcnt(0)
	v_add_f32_e32 v23, v28, v23
	ds_bpermute_b32 v28, v71, v1
	ds_bpermute_b32 v29, v71, v2
	;; [unrolled: 1-line block ×23, first 2 shown]
	s_waitcnt lgkmcnt(22)
	v_add_f32_e32 v1, v1, v28
	s_waitcnt lgkmcnt(21)
	v_add_f32_e32 v2, v2, v29
	s_waitcnt lgkmcnt(20)
	v_add_f32_e32 v3, v3, v30
	s_waitcnt lgkmcnt(19)
	v_add_f32_e32 v4, v4, v31
	s_waitcnt lgkmcnt(18)
	v_add_f32_e32 v5, v5, v32
	s_waitcnt lgkmcnt(17)
	v_add_f32_e32 v6, v6, v33
	s_waitcnt lgkmcnt(16)
	v_add_f32_e32 v7, v7, v34
	s_waitcnt lgkmcnt(15)
	v_add_f32_e32 v8, v8, v35
	s_waitcnt lgkmcnt(14)
	v_add_f32_e32 v9, v9, v36
	s_waitcnt lgkmcnt(13)
	v_add_f32_e32 v10, v10, v37
	s_waitcnt lgkmcnt(12)
	v_add_f32_e32 v11, v11, v38
	s_waitcnt lgkmcnt(11)
	v_add_f32_e32 v12, v12, v39
	s_waitcnt lgkmcnt(10)
	v_add_f32_e32 v13, v13, v48
	s_waitcnt lgkmcnt(9)
	v_add_f32_e32 v14, v14, v49
	s_waitcnt lgkmcnt(8)
	v_add_f32_e32 v15, v15, v50
	s_waitcnt lgkmcnt(7)
	v_add_f32_e32 v16, v16, v51
	s_waitcnt lgkmcnt(6)
	v_add_f32_e32 v17, v17, v52
	s_waitcnt lgkmcnt(5)
	v_add_f32_e32 v18, v18, v53
	s_waitcnt lgkmcnt(4)
	v_add_f32_e32 v19, v19, v54
	s_waitcnt lgkmcnt(3)
	v_add_f32_e32 v20, v20, v55
	s_waitcnt lgkmcnt(2)
	v_add_f32_e32 v21, v21, v64
	s_waitcnt lgkmcnt(1)
	v_add_f32_e32 v22, v22, v65
	s_waitcnt lgkmcnt(0)
	v_add_f32_e32 v23, v23, v66
	ds_bpermute_b32 v28, v70, v1
	ds_bpermute_b32 v29, v70, v2
	;; [unrolled: 1-line block ×23, first 2 shown]
	s_waitcnt lgkmcnt(22)
	v_add_f32_e32 v1, v1, v28
	s_waitcnt lgkmcnt(21)
	v_add_f32_e32 v2, v2, v29
	s_waitcnt lgkmcnt(20)
	v_add_f32_e32 v3, v3, v30
	s_waitcnt lgkmcnt(19)
	v_add_f32_e32 v4, v4, v31
	s_waitcnt lgkmcnt(18)
	v_add_f32_e32 v5, v5, v32
	s_waitcnt lgkmcnt(17)
	v_add_f32_e32 v6, v6, v33
	s_waitcnt lgkmcnt(16)
	v_add_f32_e32 v7, v7, v34
	s_waitcnt lgkmcnt(15)
	v_add_f32_e32 v8, v8, v35
	s_waitcnt lgkmcnt(14)
	v_add_f32_e32 v9, v9, v36
	s_waitcnt lgkmcnt(13)
	v_add_f32_e32 v10, v10, v37
	s_waitcnt lgkmcnt(12)
	v_add_f32_e32 v11, v11, v38
	s_waitcnt lgkmcnt(11)
	v_add_f32_e32 v12, v12, v39
	s_waitcnt lgkmcnt(10)
	v_add_f32_e32 v13, v13, v48
	s_waitcnt lgkmcnt(9)
	v_add_f32_e32 v14, v14, v49
	s_waitcnt lgkmcnt(8)
	v_add_f32_e32 v15, v15, v50
	s_waitcnt lgkmcnt(7)
	v_add_f32_e32 v16, v16, v51
	s_waitcnt lgkmcnt(6)
	v_add_f32_e32 v17, v17, v52
	s_waitcnt lgkmcnt(5)
	v_add_f32_e32 v18, v18, v53
	s_waitcnt lgkmcnt(4)
	v_add_f32_e32 v19, v19, v54
	s_waitcnt lgkmcnt(3)
	v_add_f32_e32 v20, v20, v55
	s_waitcnt lgkmcnt(2)
	v_add_f32_e32 v21, v21, v64
	s_waitcnt lgkmcnt(1)
	v_add_f32_e32 v22, v22, v65
	s_waitcnt lgkmcnt(0)
	v_add_f32_e32 v23, v23, v66
	s_mov_b32 s4, exec_lo
	s_waitcnt vmcnt(2)
	v_lshrrev_b32_e32 v26, 3, v25
	buffer_load_dword v25, off, s[0:3], s32 offset:968 ; 4-byte Folded Reload
	s_waitcnt vmcnt(2)
	v_and_b32_e32 v68, 0x3c7, v69
	s_waitcnt vmcnt(0)
	v_mul_u32_u24_e32 v27, 0x180, v25
	ds_bpermute_b32 v25, v71, v0
	s_waitcnt lgkmcnt(0)
	v_add_f32_e32 v0, v0, v25
	ds_bpermute_b32 v25, v70, v0
	s_waitcnt lgkmcnt(0)
	v_add_f32_e32 v0, v0, v25
	v_lshl_add_u32 v25, v26, 2, v24
	v_cmpx_eq_u32_e32 64, v68
	s_cbranch_execz .LBB249_1618
; %bb.1617:
	v_add_nc_u32_e32 v28, v25, v27
	v_add_nc_u32_e32 v29, 0xfffffd00, v28
	;; [unrolled: 1-line block ×7, first 2 shown]
	ds_write_b32 v29, v0
	ds_write_b32 v30, v1
	;; [unrolled: 1-line block ×4, first 2 shown]
	v_add_nc_u32_e32 v29, 0xfffffd60, v28
	v_add_nc_u32_e32 v30, 0xfffffd70, v28
	v_add_nc_u32_e32 v31, 0xfffffd80, v28
	ds_write_b32 v33, v4
	ds_write_b32 v34, v5
	ds_write_b32 v29, v6
	ds_write_b32 v30, v7
	ds_write_b32 v31, v8
	v_add_nc_u32_e32 v29, 0xfffffd90, v28
	v_add_nc_u32_e32 v30, 0xfffffda0, v28
	v_add_nc_u32_e32 v31, 0xfffffdb0, v28
	v_add_nc_u32_e32 v32, 0xfffffdc0, v28
	v_add_nc_u32_e32 v33, 0xfffffdd0, v28
	ds_write_b32 v29, v9
	ds_write_b32 v30, v10
	ds_write_b32 v31, v11
	ds_write_b32 v32, v12
	ds_write_b32 v33, v13
	v_add_nc_u32_e32 v29, 0xfffffde0, v28
	v_add_nc_u32_e32 v30, 0xfffffdf0, v28
	;; [unrolled: 10-line block ×3, first 2 shown]
	v_add_nc_u32_e32 v31, 0xfffffe50, v28
	v_add_nc_u32_e32 v32, 0xfffffe60, v28
	;; [unrolled: 1-line block ×3, first 2 shown]
	ds_write_b32 v29, v19
	ds_write_b32 v30, v20
	;; [unrolled: 1-line block ×5, first 2 shown]
.LBB249_1618:
	s_or_b32 exec_lo, exec_lo, s4
	v_lshlrev_b32_e32 v26, 2, v26
	s_mov_b32 s7, exec_lo
	v_cmp_eq_u32_e32 vcc_lo, 0, v80
	s_waitcnt lgkmcnt(0)
	s_barrier
	v_add3_u32 v24, v24, v27, v26
	buffer_gl0_inv
	v_cmpx_gt_u32_e32 64, v69
	s_cbranch_execz .LBB249_1645
; %bb.1619:
	s_and_saveexec_b32 s4, vcc_lo
	s_cbranch_execnz .LBB249_1677
; %bb.1620:
	s_or_b32 exec_lo, exec_lo, s4
	s_and_saveexec_b32 s4, vcc_lo
	s_cbranch_execnz .LBB249_1678
.LBB249_1621:
	s_or_b32 exec_lo, exec_lo, s4
	s_and_saveexec_b32 s4, vcc_lo
	s_cbranch_execnz .LBB249_1679
.LBB249_1622:
	s_or_b32 exec_lo, exec_lo, s4
	s_and_saveexec_b32 s4, vcc_lo
	s_cbranch_execnz .LBB249_1680
.LBB249_1623:
	s_or_b32 exec_lo, exec_lo, s4
	s_and_saveexec_b32 s4, vcc_lo
	s_cbranch_execnz .LBB249_1681
.LBB249_1624:
	s_or_b32 exec_lo, exec_lo, s4
	s_and_saveexec_b32 s4, vcc_lo
	s_cbranch_execnz .LBB249_1682
.LBB249_1625:
	s_or_b32 exec_lo, exec_lo, s4
	s_and_saveexec_b32 s4, vcc_lo
	s_cbranch_execnz .LBB249_1683
.LBB249_1626:
	s_or_b32 exec_lo, exec_lo, s4
	s_and_saveexec_b32 s4, vcc_lo
	s_cbranch_execnz .LBB249_1684
.LBB249_1627:
	s_or_b32 exec_lo, exec_lo, s4
	s_and_saveexec_b32 s4, vcc_lo
	s_cbranch_execnz .LBB249_1685
.LBB249_1628:
	s_or_b32 exec_lo, exec_lo, s4
	s_and_saveexec_b32 s4, vcc_lo
	s_cbranch_execnz .LBB249_1686
.LBB249_1629:
	s_or_b32 exec_lo, exec_lo, s4
	s_and_saveexec_b32 s4, vcc_lo
	s_cbranch_execnz .LBB249_1687
.LBB249_1630:
	s_or_b32 exec_lo, exec_lo, s4
	s_and_saveexec_b32 s4, vcc_lo
	s_cbranch_execnz .LBB249_1688
.LBB249_1631:
	s_or_b32 exec_lo, exec_lo, s4
	s_and_saveexec_b32 s4, vcc_lo
	s_cbranch_execnz .LBB249_1689
.LBB249_1632:
	s_or_b32 exec_lo, exec_lo, s4
	s_and_saveexec_b32 s4, vcc_lo
	s_cbranch_execnz .LBB249_1690
.LBB249_1633:
	s_or_b32 exec_lo, exec_lo, s4
	s_and_saveexec_b32 s4, vcc_lo
	s_cbranch_execnz .LBB249_1691
.LBB249_1634:
	s_or_b32 exec_lo, exec_lo, s4
	s_and_saveexec_b32 s4, vcc_lo
	s_cbranch_execnz .LBB249_1692
.LBB249_1635:
	s_or_b32 exec_lo, exec_lo, s4
	s_and_saveexec_b32 s4, vcc_lo
	s_cbranch_execnz .LBB249_1693
.LBB249_1636:
	s_or_b32 exec_lo, exec_lo, s4
	s_and_saveexec_b32 s4, vcc_lo
	s_cbranch_execnz .LBB249_1694
.LBB249_1637:
	s_or_b32 exec_lo, exec_lo, s4
	s_and_saveexec_b32 s4, vcc_lo
	s_cbranch_execnz .LBB249_1695
.LBB249_1638:
	s_or_b32 exec_lo, exec_lo, s4
	s_and_saveexec_b32 s4, vcc_lo
	s_cbranch_execnz .LBB249_1696
.LBB249_1639:
	s_or_b32 exec_lo, exec_lo, s4
	s_and_saveexec_b32 s4, vcc_lo
	s_cbranch_execnz .LBB249_1697
.LBB249_1640:
	s_or_b32 exec_lo, exec_lo, s4
	s_and_saveexec_b32 s4, vcc_lo
	s_cbranch_execnz .LBB249_1698
.LBB249_1641:
	s_or_b32 exec_lo, exec_lo, s4
	s_and_saveexec_b32 s4, vcc_lo
	s_cbranch_execnz .LBB249_1699
.LBB249_1642:
	s_or_b32 exec_lo, exec_lo, s4
	s_and_saveexec_b32 s4, vcc_lo
	s_cbranch_execz .LBB249_1644
.LBB249_1643:
	ds_read_b32 v26, v24 offset:368
	s_waitcnt lgkmcnt(0)
	v_add_f32_e32 v23, v26, v23
.LBB249_1644:
	s_or_b32 exec_lo, exec_lo, s4
.LBB249_1645:
	s_or_b32 exec_lo, exec_lo, s7
	v_and_b32_e32 v26, 0x3e7, v69
	s_mov_b32 s7, exec_lo
	s_barrier
	buffer_gl0_inv
	v_cmpx_eq_u32_e32 32, v26
	s_cbranch_execz .LBB249_1647
; %bb.1646:
	ds_write2_b32 v25, v0, v1 offset1:4
	ds_write2_b32 v25, v2, v3 offset0:8 offset1:12
	ds_write2_b32 v25, v4, v5 offset0:16 offset1:20
	;; [unrolled: 1-line block ×11, first 2 shown]
.LBB249_1647:
	s_or_b32 exec_lo, exec_lo, s7
	s_mov_b32 s7, exec_lo
	s_waitcnt lgkmcnt(0)
	s_barrier
	buffer_gl0_inv
	v_cmpx_gt_u32_e32 32, v69
	s_cbranch_execz .LBB249_1674
; %bb.1648:
	s_and_saveexec_b32 s4, vcc_lo
	s_cbranch_execnz .LBB249_1700
; %bb.1649:
	s_or_b32 exec_lo, exec_lo, s4
	s_and_saveexec_b32 s4, vcc_lo
	s_cbranch_execnz .LBB249_1701
.LBB249_1650:
	s_or_b32 exec_lo, exec_lo, s4
	s_and_saveexec_b32 s4, vcc_lo
	s_cbranch_execnz .LBB249_1702
.LBB249_1651:
	s_or_b32 exec_lo, exec_lo, s4
	s_and_saveexec_b32 s4, vcc_lo
	s_cbranch_execnz .LBB249_1703
.LBB249_1652:
	s_or_b32 exec_lo, exec_lo, s4
	s_and_saveexec_b32 s4, vcc_lo
	s_cbranch_execnz .LBB249_1704
.LBB249_1653:
	s_or_b32 exec_lo, exec_lo, s4
	s_and_saveexec_b32 s4, vcc_lo
	s_cbranch_execnz .LBB249_1705
.LBB249_1654:
	s_or_b32 exec_lo, exec_lo, s4
	s_and_saveexec_b32 s4, vcc_lo
	s_cbranch_execnz .LBB249_1706
.LBB249_1655:
	s_or_b32 exec_lo, exec_lo, s4
	s_and_saveexec_b32 s4, vcc_lo
	s_cbranch_execnz .LBB249_1707
.LBB249_1656:
	s_or_b32 exec_lo, exec_lo, s4
	s_and_saveexec_b32 s4, vcc_lo
	s_cbranch_execnz .LBB249_1708
.LBB249_1657:
	s_or_b32 exec_lo, exec_lo, s4
	s_and_saveexec_b32 s4, vcc_lo
	s_cbranch_execnz .LBB249_1709
.LBB249_1658:
	s_or_b32 exec_lo, exec_lo, s4
	s_and_saveexec_b32 s4, vcc_lo
	s_cbranch_execnz .LBB249_1710
.LBB249_1659:
	s_or_b32 exec_lo, exec_lo, s4
	s_and_saveexec_b32 s4, vcc_lo
	s_cbranch_execnz .LBB249_1711
.LBB249_1660:
	s_or_b32 exec_lo, exec_lo, s4
	s_and_saveexec_b32 s4, vcc_lo
	s_cbranch_execnz .LBB249_1712
.LBB249_1661:
	s_or_b32 exec_lo, exec_lo, s4
	s_and_saveexec_b32 s4, vcc_lo
	s_cbranch_execnz .LBB249_1713
.LBB249_1662:
	s_or_b32 exec_lo, exec_lo, s4
	s_and_saveexec_b32 s4, vcc_lo
	s_cbranch_execnz .LBB249_1714
.LBB249_1663:
	s_or_b32 exec_lo, exec_lo, s4
	s_and_saveexec_b32 s4, vcc_lo
	s_cbranch_execnz .LBB249_1715
.LBB249_1664:
	s_or_b32 exec_lo, exec_lo, s4
	s_and_saveexec_b32 s4, vcc_lo
	s_cbranch_execnz .LBB249_1716
.LBB249_1665:
	s_or_b32 exec_lo, exec_lo, s4
	s_and_saveexec_b32 s4, vcc_lo
	s_cbranch_execnz .LBB249_1717
.LBB249_1666:
	s_or_b32 exec_lo, exec_lo, s4
	s_and_saveexec_b32 s4, vcc_lo
	s_cbranch_execnz .LBB249_1718
.LBB249_1667:
	s_or_b32 exec_lo, exec_lo, s4
	s_and_saveexec_b32 s4, vcc_lo
	s_cbranch_execnz .LBB249_1719
.LBB249_1668:
	s_or_b32 exec_lo, exec_lo, s4
	s_and_saveexec_b32 s4, vcc_lo
	s_cbranch_execnz .LBB249_1720
.LBB249_1669:
	s_or_b32 exec_lo, exec_lo, s4
	s_and_saveexec_b32 s4, vcc_lo
	s_cbranch_execnz .LBB249_1721
.LBB249_1670:
	s_or_b32 exec_lo, exec_lo, s4
	s_and_saveexec_b32 s4, vcc_lo
	s_cbranch_execnz .LBB249_1722
.LBB249_1671:
	s_or_b32 exec_lo, exec_lo, s4
	s_and_saveexec_b32 s4, vcc_lo
	s_cbranch_execz .LBB249_1673
.LBB249_1672:
	ds_read_b32 v24, v24 offset:368
	s_waitcnt lgkmcnt(0)
	v_add_f32_e32 v23, v24, v23
.LBB249_1673:
	s_or_b32 exec_lo, exec_lo, s4
.LBB249_1674:
	s_or_b32 exec_lo, exec_lo, s7
	v_cmp_eq_u32_e32 vcc_lo, 0, v26
	s_barrier
	buffer_gl0_inv
	s_and_b32 exec_lo, exec_lo, vcc_lo
	s_cbranch_execz .LBB249_1676
; %bb.1675:
	s_clause 0x1
	buffer_load_dword v24, off, s[0:3], s32 offset:976
	buffer_load_dword v25, off, s[0:3], s32 offset:972
	s_mulk_i32 s6, 0x60
	s_mul_i32 s4, s10, s5
	s_ashr_i32 s7, s6, 31
	s_ashr_i32 s5, s4, 31
	s_lshl_b64 s[6:7], s[6:7], 2
	s_lshl_b64 s[4:5], s[4:5], 2
	v_lshrrev_b32_e32 v26, 1, v69
	s_waitcnt vmcnt(1)
	v_add_co_u32 v24, vcc_lo, v24, s6
	s_waitcnt vmcnt(0)
	v_add_co_ci_u32_e64 v25, null, s7, v25, vcc_lo
	s_mul_i32 s6, s14, 0x60
	v_add_co_u32 v24, vcc_lo, v24, s4
	s_ashr_i32 s7, s6, 31
	v_add_co_ci_u32_e64 v25, null, s5, v25, vcc_lo
	s_lshl_b64 s[4:5], s[6:7], 2
	v_add_co_u32 v24, vcc_lo, v24, s4
	v_add_co_ci_u32_e64 v25, null, s5, v25, vcc_lo
	v_add_co_u32 v24, vcc_lo, v24, v26
	v_add_co_ci_u32_e64 v25, null, 0, v25, vcc_lo
	flat_store_dword v[24:25], v0
	flat_store_dword v[24:25], v1 offset:16
	flat_store_dword v[24:25], v2 offset:32
	flat_store_dword v[24:25], v3 offset:48
	flat_store_dword v[24:25], v4 offset:64
	flat_store_dword v[24:25], v5 offset:80
	flat_store_dword v[24:25], v6 offset:96
	flat_store_dword v[24:25], v7 offset:112
	flat_store_dword v[24:25], v8 offset:128
	flat_store_dword v[24:25], v9 offset:144
	flat_store_dword v[24:25], v10 offset:160
	flat_store_dword v[24:25], v11 offset:176
	flat_store_dword v[24:25], v12 offset:192
	flat_store_dword v[24:25], v13 offset:208
	flat_store_dword v[24:25], v14 offset:224
	flat_store_dword v[24:25], v15 offset:240
	flat_store_dword v[24:25], v16 offset:256
	flat_store_dword v[24:25], v17 offset:272
	flat_store_dword v[24:25], v18 offset:288
	flat_store_dword v[24:25], v19 offset:304
	flat_store_dword v[24:25], v20 offset:320
	flat_store_dword v[24:25], v21 offset:336
	flat_store_dword v[24:25], v22 offset:352
	flat_store_dword v[24:25], v23 offset:368
.LBB249_1676:
	s_or_b32 exec_lo, exec_lo, s19
	s_clause 0x2f
	buffer_load_dword v127, off, s[0:3], s32
	buffer_load_dword v126, off, s[0:3], s32 offset:4
	buffer_load_dword v125, off, s[0:3], s32 offset:8
	;; [unrolled: 1-line block ×47, first 2 shown]
	s_waitcnt vmcnt(0) lgkmcnt(0)
	s_setpc_b64 s[30:31]
.LBB249_1677:
	ds_read_b32 v26, v24
	s_waitcnt lgkmcnt(0)
	v_add_f32_e32 v0, v26, v0
	s_or_b32 exec_lo, exec_lo, s4
	s_and_saveexec_b32 s4, vcc_lo
	s_cbranch_execz .LBB249_1621
.LBB249_1678:
	ds_read_b32 v26, v24 offset:16
	s_waitcnt lgkmcnt(0)
	v_add_f32_e32 v1, v26, v1
	s_or_b32 exec_lo, exec_lo, s4
	s_and_saveexec_b32 s4, vcc_lo
	s_cbranch_execz .LBB249_1622
.LBB249_1679:
	ds_read_b32 v26, v24 offset:32
	s_waitcnt lgkmcnt(0)
	v_add_f32_e32 v2, v26, v2
	s_or_b32 exec_lo, exec_lo, s4
	s_and_saveexec_b32 s4, vcc_lo
	s_cbranch_execz .LBB249_1623
.LBB249_1680:
	ds_read_b32 v26, v24 offset:48
	s_waitcnt lgkmcnt(0)
	v_add_f32_e32 v3, v26, v3
	s_or_b32 exec_lo, exec_lo, s4
	s_and_saveexec_b32 s4, vcc_lo
	s_cbranch_execz .LBB249_1624
.LBB249_1681:
	ds_read_b32 v26, v24 offset:64
	s_waitcnt lgkmcnt(0)
	v_add_f32_e32 v4, v26, v4
	s_or_b32 exec_lo, exec_lo, s4
	s_and_saveexec_b32 s4, vcc_lo
	s_cbranch_execz .LBB249_1625
.LBB249_1682:
	ds_read_b32 v26, v24 offset:80
	s_waitcnt lgkmcnt(0)
	v_add_f32_e32 v5, v26, v5
	s_or_b32 exec_lo, exec_lo, s4
	s_and_saveexec_b32 s4, vcc_lo
	s_cbranch_execz .LBB249_1626
.LBB249_1683:
	ds_read_b32 v26, v24 offset:96
	s_waitcnt lgkmcnt(0)
	v_add_f32_e32 v6, v26, v6
	s_or_b32 exec_lo, exec_lo, s4
	s_and_saveexec_b32 s4, vcc_lo
	s_cbranch_execz .LBB249_1627
.LBB249_1684:
	ds_read_b32 v26, v24 offset:112
	s_waitcnt lgkmcnt(0)
	v_add_f32_e32 v7, v26, v7
	s_or_b32 exec_lo, exec_lo, s4
	s_and_saveexec_b32 s4, vcc_lo
	s_cbranch_execz .LBB249_1628
.LBB249_1685:
	ds_read_b32 v26, v24 offset:128
	s_waitcnt lgkmcnt(0)
	v_add_f32_e32 v8, v26, v8
	s_or_b32 exec_lo, exec_lo, s4
	s_and_saveexec_b32 s4, vcc_lo
	s_cbranch_execz .LBB249_1629
.LBB249_1686:
	ds_read_b32 v26, v24 offset:144
	s_waitcnt lgkmcnt(0)
	v_add_f32_e32 v9, v26, v9
	s_or_b32 exec_lo, exec_lo, s4
	s_and_saveexec_b32 s4, vcc_lo
	s_cbranch_execz .LBB249_1630
.LBB249_1687:
	ds_read_b32 v26, v24 offset:160
	s_waitcnt lgkmcnt(0)
	v_add_f32_e32 v10, v26, v10
	s_or_b32 exec_lo, exec_lo, s4
	s_and_saveexec_b32 s4, vcc_lo
	s_cbranch_execz .LBB249_1631
.LBB249_1688:
	ds_read_b32 v26, v24 offset:176
	s_waitcnt lgkmcnt(0)
	v_add_f32_e32 v11, v26, v11
	s_or_b32 exec_lo, exec_lo, s4
	s_and_saveexec_b32 s4, vcc_lo
	s_cbranch_execz .LBB249_1632
.LBB249_1689:
	ds_read_b32 v26, v24 offset:192
	s_waitcnt lgkmcnt(0)
	v_add_f32_e32 v12, v26, v12
	s_or_b32 exec_lo, exec_lo, s4
	s_and_saveexec_b32 s4, vcc_lo
	s_cbranch_execz .LBB249_1633
.LBB249_1690:
	ds_read_b32 v26, v24 offset:208
	s_waitcnt lgkmcnt(0)
	v_add_f32_e32 v13, v26, v13
	s_or_b32 exec_lo, exec_lo, s4
	s_and_saveexec_b32 s4, vcc_lo
	s_cbranch_execz .LBB249_1634
.LBB249_1691:
	ds_read_b32 v26, v24 offset:224
	s_waitcnt lgkmcnt(0)
	v_add_f32_e32 v14, v26, v14
	s_or_b32 exec_lo, exec_lo, s4
	s_and_saveexec_b32 s4, vcc_lo
	s_cbranch_execz .LBB249_1635
.LBB249_1692:
	ds_read_b32 v26, v24 offset:240
	s_waitcnt lgkmcnt(0)
	v_add_f32_e32 v15, v26, v15
	s_or_b32 exec_lo, exec_lo, s4
	s_and_saveexec_b32 s4, vcc_lo
	s_cbranch_execz .LBB249_1636
.LBB249_1693:
	ds_read_b32 v26, v24 offset:256
	s_waitcnt lgkmcnt(0)
	v_add_f32_e32 v16, v26, v16
	s_or_b32 exec_lo, exec_lo, s4
	s_and_saveexec_b32 s4, vcc_lo
	s_cbranch_execz .LBB249_1637
.LBB249_1694:
	ds_read_b32 v26, v24 offset:272
	s_waitcnt lgkmcnt(0)
	v_add_f32_e32 v17, v26, v17
	s_or_b32 exec_lo, exec_lo, s4
	s_and_saveexec_b32 s4, vcc_lo
	s_cbranch_execz .LBB249_1638
.LBB249_1695:
	ds_read_b32 v26, v24 offset:288
	s_waitcnt lgkmcnt(0)
	v_add_f32_e32 v18, v26, v18
	s_or_b32 exec_lo, exec_lo, s4
	s_and_saveexec_b32 s4, vcc_lo
	s_cbranch_execz .LBB249_1639
.LBB249_1696:
	ds_read_b32 v26, v24 offset:304
	s_waitcnt lgkmcnt(0)
	v_add_f32_e32 v19, v26, v19
	s_or_b32 exec_lo, exec_lo, s4
	s_and_saveexec_b32 s4, vcc_lo
	s_cbranch_execz .LBB249_1640
.LBB249_1697:
	ds_read_b32 v26, v24 offset:320
	s_waitcnt lgkmcnt(0)
	v_add_f32_e32 v20, v26, v20
	s_or_b32 exec_lo, exec_lo, s4
	s_and_saveexec_b32 s4, vcc_lo
	s_cbranch_execz .LBB249_1641
.LBB249_1698:
	ds_read_b32 v26, v24 offset:336
	s_waitcnt lgkmcnt(0)
	v_add_f32_e32 v21, v26, v21
	s_or_b32 exec_lo, exec_lo, s4
	s_and_saveexec_b32 s4, vcc_lo
	s_cbranch_execz .LBB249_1642
.LBB249_1699:
	ds_read_b32 v26, v24 offset:352
	s_waitcnt lgkmcnt(0)
	v_add_f32_e32 v22, v26, v22
	s_or_b32 exec_lo, exec_lo, s4
	s_and_saveexec_b32 s4, vcc_lo
	s_cbranch_execnz .LBB249_1643
	s_branch .LBB249_1644
.LBB249_1700:
	ds_read_b32 v25, v24
	s_waitcnt lgkmcnt(0)
	v_add_f32_e32 v0, v25, v0
	s_or_b32 exec_lo, exec_lo, s4
	s_and_saveexec_b32 s4, vcc_lo
	s_cbranch_execz .LBB249_1650
.LBB249_1701:
	ds_read_b32 v25, v24 offset:16
	s_waitcnt lgkmcnt(0)
	v_add_f32_e32 v1, v25, v1
	s_or_b32 exec_lo, exec_lo, s4
	s_and_saveexec_b32 s4, vcc_lo
	s_cbranch_execz .LBB249_1651
.LBB249_1702:
	ds_read_b32 v25, v24 offset:32
	s_waitcnt lgkmcnt(0)
	v_add_f32_e32 v2, v25, v2
	s_or_b32 exec_lo, exec_lo, s4
	s_and_saveexec_b32 s4, vcc_lo
	s_cbranch_execz .LBB249_1652
.LBB249_1703:
	ds_read_b32 v25, v24 offset:48
	s_waitcnt lgkmcnt(0)
	v_add_f32_e32 v3, v25, v3
	s_or_b32 exec_lo, exec_lo, s4
	s_and_saveexec_b32 s4, vcc_lo
	s_cbranch_execz .LBB249_1653
.LBB249_1704:
	ds_read_b32 v25, v24 offset:64
	s_waitcnt lgkmcnt(0)
	v_add_f32_e32 v4, v25, v4
	s_or_b32 exec_lo, exec_lo, s4
	s_and_saveexec_b32 s4, vcc_lo
	s_cbranch_execz .LBB249_1654
.LBB249_1705:
	ds_read_b32 v25, v24 offset:80
	s_waitcnt lgkmcnt(0)
	v_add_f32_e32 v5, v25, v5
	s_or_b32 exec_lo, exec_lo, s4
	s_and_saveexec_b32 s4, vcc_lo
	s_cbranch_execz .LBB249_1655
.LBB249_1706:
	ds_read_b32 v25, v24 offset:96
	s_waitcnt lgkmcnt(0)
	v_add_f32_e32 v6, v25, v6
	s_or_b32 exec_lo, exec_lo, s4
	s_and_saveexec_b32 s4, vcc_lo
	s_cbranch_execz .LBB249_1656
.LBB249_1707:
	ds_read_b32 v25, v24 offset:112
	s_waitcnt lgkmcnt(0)
	v_add_f32_e32 v7, v25, v7
	s_or_b32 exec_lo, exec_lo, s4
	s_and_saveexec_b32 s4, vcc_lo
	s_cbranch_execz .LBB249_1657
.LBB249_1708:
	ds_read_b32 v25, v24 offset:128
	s_waitcnt lgkmcnt(0)
	v_add_f32_e32 v8, v25, v8
	s_or_b32 exec_lo, exec_lo, s4
	s_and_saveexec_b32 s4, vcc_lo
	s_cbranch_execz .LBB249_1658
.LBB249_1709:
	ds_read_b32 v25, v24 offset:144
	s_waitcnt lgkmcnt(0)
	v_add_f32_e32 v9, v25, v9
	s_or_b32 exec_lo, exec_lo, s4
	s_and_saveexec_b32 s4, vcc_lo
	s_cbranch_execz .LBB249_1659
.LBB249_1710:
	ds_read_b32 v25, v24 offset:160
	s_waitcnt lgkmcnt(0)
	v_add_f32_e32 v10, v25, v10
	s_or_b32 exec_lo, exec_lo, s4
	s_and_saveexec_b32 s4, vcc_lo
	s_cbranch_execz .LBB249_1660
.LBB249_1711:
	ds_read_b32 v25, v24 offset:176
	s_waitcnt lgkmcnt(0)
	v_add_f32_e32 v11, v25, v11
	s_or_b32 exec_lo, exec_lo, s4
	s_and_saveexec_b32 s4, vcc_lo
	s_cbranch_execz .LBB249_1661
.LBB249_1712:
	ds_read_b32 v25, v24 offset:192
	s_waitcnt lgkmcnt(0)
	v_add_f32_e32 v12, v25, v12
	s_or_b32 exec_lo, exec_lo, s4
	s_and_saveexec_b32 s4, vcc_lo
	s_cbranch_execz .LBB249_1662
.LBB249_1713:
	ds_read_b32 v25, v24 offset:208
	s_waitcnt lgkmcnt(0)
	v_add_f32_e32 v13, v25, v13
	s_or_b32 exec_lo, exec_lo, s4
	s_and_saveexec_b32 s4, vcc_lo
	s_cbranch_execz .LBB249_1663
.LBB249_1714:
	ds_read_b32 v25, v24 offset:224
	s_waitcnt lgkmcnt(0)
	v_add_f32_e32 v14, v25, v14
	s_or_b32 exec_lo, exec_lo, s4
	s_and_saveexec_b32 s4, vcc_lo
	s_cbranch_execz .LBB249_1664
.LBB249_1715:
	ds_read_b32 v25, v24 offset:240
	s_waitcnt lgkmcnt(0)
	v_add_f32_e32 v15, v25, v15
	s_or_b32 exec_lo, exec_lo, s4
	s_and_saveexec_b32 s4, vcc_lo
	s_cbranch_execz .LBB249_1665
.LBB249_1716:
	ds_read_b32 v25, v24 offset:256
	s_waitcnt lgkmcnt(0)
	v_add_f32_e32 v16, v25, v16
	s_or_b32 exec_lo, exec_lo, s4
	s_and_saveexec_b32 s4, vcc_lo
	s_cbranch_execz .LBB249_1666
.LBB249_1717:
	ds_read_b32 v25, v24 offset:272
	s_waitcnt lgkmcnt(0)
	v_add_f32_e32 v17, v25, v17
	s_or_b32 exec_lo, exec_lo, s4
	s_and_saveexec_b32 s4, vcc_lo
	s_cbranch_execz .LBB249_1667
.LBB249_1718:
	ds_read_b32 v25, v24 offset:288
	s_waitcnt lgkmcnt(0)
	v_add_f32_e32 v18, v25, v18
	s_or_b32 exec_lo, exec_lo, s4
	s_and_saveexec_b32 s4, vcc_lo
	s_cbranch_execz .LBB249_1668
.LBB249_1719:
	ds_read_b32 v25, v24 offset:304
	s_waitcnt lgkmcnt(0)
	v_add_f32_e32 v19, v25, v19
	s_or_b32 exec_lo, exec_lo, s4
	s_and_saveexec_b32 s4, vcc_lo
	s_cbranch_execz .LBB249_1669
.LBB249_1720:
	ds_read_b32 v25, v24 offset:320
	s_waitcnt lgkmcnt(0)
	v_add_f32_e32 v20, v25, v20
	s_or_b32 exec_lo, exec_lo, s4
	s_and_saveexec_b32 s4, vcc_lo
	s_cbranch_execz .LBB249_1670
.LBB249_1721:
	ds_read_b32 v25, v24 offset:336
	s_waitcnt lgkmcnt(0)
	v_add_f32_e32 v21, v25, v21
	s_or_b32 exec_lo, exec_lo, s4
	s_and_saveexec_b32 s4, vcc_lo
	s_cbranch_execz .LBB249_1671
.LBB249_1722:
	ds_read_b32 v25, v24 offset:352
	s_waitcnt lgkmcnt(0)
	v_add_f32_e32 v22, v25, v22
	s_or_b32 exec_lo, exec_lo, s4
	s_and_saveexec_b32 s4, vcc_lo
	s_cbranch_execnz .LBB249_1672
	s_branch .LBB249_1673
.Lfunc_end249:
	.size	_ZN4vllm22paged_attention_kernelIfhLi96ELi32ELi128ELNS_18Fp8KVCacheDataTypeE1ELb0ELi512EEEvPfS2_PT_PKS3_PKT0_S9_ifPKiSB_iPKfiiiSD_SD_iiiii, .Lfunc_end249-_ZN4vllm22paged_attention_kernelIfhLi96ELi32ELi128ELNS_18Fp8KVCacheDataTypeE1ELb0ELi512EEEvPfS2_PT_PKS3_PKT0_S9_ifPKiSB_iPKfiiiSD_SD_iiiii
                                        ; -- End function
	.set .L_ZN4vllm22paged_attention_kernelIfhLi96ELi32ELi128ELNS_18Fp8KVCacheDataTypeE1ELb0ELi512EEEvPfS2_PT_PKS3_PKT0_S9_ifPKiSB_iPKfiiiSD_SD_iiiii.num_vgpr, 128
	.set .L_ZN4vllm22paged_attention_kernelIfhLi96ELi32ELi128ELNS_18Fp8KVCacheDataTypeE1ELb0ELi512EEEvPfS2_PT_PKS3_PKT0_S9_ifPKiSB_iPKfiiiSD_SD_iiiii.num_agpr, 0
	.set .L_ZN4vllm22paged_attention_kernelIfhLi96ELi32ELi128ELNS_18Fp8KVCacheDataTypeE1ELb0ELi512EEEvPfS2_PT_PKS3_PKT0_S9_ifPKiSB_iPKfiiiSD_SD_iiiii.numbered_sgpr, 33
	.set .L_ZN4vllm22paged_attention_kernelIfhLi96ELi32ELi128ELNS_18Fp8KVCacheDataTypeE1ELb0ELi512EEEvPfS2_PT_PKS3_PKT0_S9_ifPKiSB_iPKfiiiSD_SD_iiiii.num_named_barrier, 0
	.set .L_ZN4vllm22paged_attention_kernelIfhLi96ELi32ELi128ELNS_18Fp8KVCacheDataTypeE1ELb0ELi512EEEvPfS2_PT_PKS3_PKT0_S9_ifPKiSB_iPKfiiiSD_SD_iiiii.private_seg_size, 1048
	.set .L_ZN4vllm22paged_attention_kernelIfhLi96ELi32ELi128ELNS_18Fp8KVCacheDataTypeE1ELb0ELi512EEEvPfS2_PT_PKS3_PKT0_S9_ifPKiSB_iPKfiiiSD_SD_iiiii.uses_vcc, 1
	.set .L_ZN4vllm22paged_attention_kernelIfhLi96ELi32ELi128ELNS_18Fp8KVCacheDataTypeE1ELb0ELi512EEEvPfS2_PT_PKS3_PKT0_S9_ifPKiSB_iPKfiiiSD_SD_iiiii.uses_flat_scratch, 0
	.set .L_ZN4vllm22paged_attention_kernelIfhLi96ELi32ELi128ELNS_18Fp8KVCacheDataTypeE1ELb0ELi512EEEvPfS2_PT_PKS3_PKT0_S9_ifPKiSB_iPKfiiiSD_SD_iiiii.has_dyn_sized_stack, 0
	.set .L_ZN4vllm22paged_attention_kernelIfhLi96ELi32ELi128ELNS_18Fp8KVCacheDataTypeE1ELb0ELi512EEEvPfS2_PT_PKS3_PKT0_S9_ifPKiSB_iPKfiiiSD_SD_iiiii.has_recursion, 0
	.set .L_ZN4vllm22paged_attention_kernelIfhLi96ELi32ELi128ELNS_18Fp8KVCacheDataTypeE1ELb0ELi512EEEvPfS2_PT_PKS3_PKT0_S9_ifPKiSB_iPKfiiiSD_SD_iiiii.has_indirect_call, 0
	.section	.AMDGPU.csdata,"",@progbits
; Function info:
; codeLenInByte = 58284
; TotalNumSgprs: 35
; NumVgprs: 128
; ScratchSize: 1048
; MemoryBound: 0
	.section	.text._ZN4vllm25paged_attention_v2_kernelIfhLi96ELi32ELi128ELNS_18Fp8KVCacheDataTypeE1ELb0ELi512EEEvPfS2_PT_PKS3_PKT0_S9_ifPKiSB_iPKfiiiSD_SD_iiiii,"axG",@progbits,_ZN4vllm25paged_attention_v2_kernelIfhLi96ELi32ELi128ELNS_18Fp8KVCacheDataTypeE1ELb0ELi512EEEvPfS2_PT_PKS3_PKT0_S9_ifPKiSB_iPKfiiiSD_SD_iiiii,comdat
	.protected	_ZN4vllm25paged_attention_v2_kernelIfhLi96ELi32ELi128ELNS_18Fp8KVCacheDataTypeE1ELb0ELi512EEEvPfS2_PT_PKS3_PKT0_S9_ifPKiSB_iPKfiiiSD_SD_iiiii ; -- Begin function _ZN4vllm25paged_attention_v2_kernelIfhLi96ELi32ELi128ELNS_18Fp8KVCacheDataTypeE1ELb0ELi512EEEvPfS2_PT_PKS3_PKT0_S9_ifPKiSB_iPKfiiiSD_SD_iiiii
	.globl	_ZN4vllm25paged_attention_v2_kernelIfhLi96ELi32ELi128ELNS_18Fp8KVCacheDataTypeE1ELb0ELi512EEEvPfS2_PT_PKS3_PKT0_S9_ifPKiSB_iPKfiiiSD_SD_iiiii
	.p2align	8
	.type	_ZN4vllm25paged_attention_v2_kernelIfhLi96ELi32ELi128ELNS_18Fp8KVCacheDataTypeE1ELb0ELi512EEEvPfS2_PT_PKS3_PKT0_S9_ifPKiSB_iPKfiiiSD_SD_iiiii,@function
_ZN4vllm25paged_attention_v2_kernelIfhLi96ELi32ELi128ELNS_18Fp8KVCacheDataTypeE1ELb0ELi512EEEvPfS2_PT_PKS3_PKT0_S9_ifPKiSB_iPKfiiiSD_SD_iiiii: ; @_ZN4vllm25paged_attention_v2_kernelIfhLi96ELi32ELi128ELNS_18Fp8KVCacheDataTypeE1ELb0ELi512EEEvPfS2_PT_PKS3_PKT0_S9_ifPKiSB_iPKfiiiSD_SD_iiiii
; %bb.0:
	s_clause 0x5
	s_load_dwordx8 s[24:31], s[4:5], 0x0
	s_load_dwordx8 s[16:23], s[4:5], 0x20
	s_load_dwordx2 s[10:11], s[4:5], 0x40
	s_load_dwordx2 s[34:35], s[4:5], 0x50
	s_load_dword s13, s[4:5], 0x48
	s_load_dwordx8 s[36:43], s[4:5], 0x58
	s_add_u32 s0, s0, s9
	s_addc_u32 s1, s1, 0
	v_mov_b32_e32 v31, v0
	s_mov_b32 s14, s8
	s_add_u32 s8, s4, 0x90
	s_addc_u32 s9, s5, 0
	s_getpc_b64 s[4:5]
	s_add_u32 s4, s4, _ZN4vllm22paged_attention_kernelIfhLi96ELi32ELi128ELNS_18Fp8KVCacheDataTypeE1ELb0ELi512EEEvPfS2_PT_PKS3_PKT0_S9_ifPKiSB_iPKfiiiSD_SD_iiiii@rel32@lo+4
	s_addc_u32 s5, s5, _ZN4vllm22paged_attention_kernelIfhLi96ELi32ELi128ELNS_18Fp8KVCacheDataTypeE1ELb0ELi512EEEvPfS2_PT_PKS3_PKT0_S9_ifPKiSB_iPKfiiiSD_SD_iiiii@rel32@hi+12
	s_mov_b32 s12, s6
	s_mov_b32 s15, 32
	;; [unrolled: 1-line block ×3, first 2 shown]
	s_waitcnt lgkmcnt(0)
	v_mov_b32_e32 v0, s24
	v_mov_b32_e32 v1, s25
	;; [unrolled: 1-line block ×28, first 2 shown]
	s_mov_b32 s13, s7
	s_swappc_b64 s[30:31], s[4:5]
	s_endpgm
	.section	.rodata,"a",@progbits
	.p2align	6, 0x0
	.amdhsa_kernel _ZN4vllm25paged_attention_v2_kernelIfhLi96ELi32ELi128ELNS_18Fp8KVCacheDataTypeE1ELb0ELi512EEEvPfS2_PT_PKS3_PKT0_S9_ifPKiSB_iPKfiiiSD_SD_iiiii
		.amdhsa_group_segment_fixed_size 416
		.amdhsa_private_segment_fixed_size 1048
		.amdhsa_kernarg_size 400
		.amdhsa_user_sgpr_count 6
		.amdhsa_user_sgpr_private_segment_buffer 1
		.amdhsa_user_sgpr_dispatch_ptr 0
		.amdhsa_user_sgpr_queue_ptr 0
		.amdhsa_user_sgpr_kernarg_segment_ptr 1
		.amdhsa_user_sgpr_dispatch_id 0
		.amdhsa_user_sgpr_flat_scratch_init 0
		.amdhsa_user_sgpr_private_segment_size 0
		.amdhsa_wavefront_size32 1
		.amdhsa_uses_dynamic_stack 0
		.amdhsa_system_sgpr_private_segment_wavefront_offset 1
		.amdhsa_system_sgpr_workgroup_id_x 1
		.amdhsa_system_sgpr_workgroup_id_y 1
		.amdhsa_system_sgpr_workgroup_id_z 1
		.amdhsa_system_sgpr_workgroup_info 0
		.amdhsa_system_vgpr_workitem_id 0
		.amdhsa_next_free_vgpr 128
		.amdhsa_next_free_sgpr 44
		.amdhsa_reserve_vcc 1
		.amdhsa_reserve_flat_scratch 0
		.amdhsa_float_round_mode_32 0
		.amdhsa_float_round_mode_16_64 0
		.amdhsa_float_denorm_mode_32 3
		.amdhsa_float_denorm_mode_16_64 3
		.amdhsa_dx10_clamp 1
		.amdhsa_ieee_mode 1
		.amdhsa_fp16_overflow 0
		.amdhsa_workgroup_processor_mode 1
		.amdhsa_memory_ordered 1
		.amdhsa_forward_progress 1
		.amdhsa_shared_vgpr_count 0
		.amdhsa_exception_fp_ieee_invalid_op 0
		.amdhsa_exception_fp_denorm_src 0
		.amdhsa_exception_fp_ieee_div_zero 0
		.amdhsa_exception_fp_ieee_overflow 0
		.amdhsa_exception_fp_ieee_underflow 0
		.amdhsa_exception_fp_ieee_inexact 0
		.amdhsa_exception_int_div_zero 0
	.end_amdhsa_kernel
	.section	.text._ZN4vllm25paged_attention_v2_kernelIfhLi96ELi32ELi128ELNS_18Fp8KVCacheDataTypeE1ELb0ELi512EEEvPfS2_PT_PKS3_PKT0_S9_ifPKiSB_iPKfiiiSD_SD_iiiii,"axG",@progbits,_ZN4vllm25paged_attention_v2_kernelIfhLi96ELi32ELi128ELNS_18Fp8KVCacheDataTypeE1ELb0ELi512EEEvPfS2_PT_PKS3_PKT0_S9_ifPKiSB_iPKfiiiSD_SD_iiiii,comdat
.Lfunc_end250:
	.size	_ZN4vllm25paged_attention_v2_kernelIfhLi96ELi32ELi128ELNS_18Fp8KVCacheDataTypeE1ELb0ELi512EEEvPfS2_PT_PKS3_PKT0_S9_ifPKiSB_iPKfiiiSD_SD_iiiii, .Lfunc_end250-_ZN4vllm25paged_attention_v2_kernelIfhLi96ELi32ELi128ELNS_18Fp8KVCacheDataTypeE1ELb0ELi512EEEvPfS2_PT_PKS3_PKT0_S9_ifPKiSB_iPKfiiiSD_SD_iiiii
                                        ; -- End function
	.set _ZN4vllm25paged_attention_v2_kernelIfhLi96ELi32ELi128ELNS_18Fp8KVCacheDataTypeE1ELb0ELi512EEEvPfS2_PT_PKS3_PKT0_S9_ifPKiSB_iPKfiiiSD_SD_iiiii.num_vgpr, max(32, .L_ZN4vllm22paged_attention_kernelIfhLi96ELi32ELi128ELNS_18Fp8KVCacheDataTypeE1ELb0ELi512EEEvPfS2_PT_PKS3_PKT0_S9_ifPKiSB_iPKfiiiSD_SD_iiiii.num_vgpr)
	.set _ZN4vllm25paged_attention_v2_kernelIfhLi96ELi32ELi128ELNS_18Fp8KVCacheDataTypeE1ELb0ELi512EEEvPfS2_PT_PKS3_PKT0_S9_ifPKiSB_iPKfiiiSD_SD_iiiii.num_agpr, max(0, .L_ZN4vllm22paged_attention_kernelIfhLi96ELi32ELi128ELNS_18Fp8KVCacheDataTypeE1ELb0ELi512EEEvPfS2_PT_PKS3_PKT0_S9_ifPKiSB_iPKfiiiSD_SD_iiiii.num_agpr)
	.set _ZN4vllm25paged_attention_v2_kernelIfhLi96ELi32ELi128ELNS_18Fp8KVCacheDataTypeE1ELb0ELi512EEEvPfS2_PT_PKS3_PKT0_S9_ifPKiSB_iPKfiiiSD_SD_iiiii.numbered_sgpr, max(44, .L_ZN4vllm22paged_attention_kernelIfhLi96ELi32ELi128ELNS_18Fp8KVCacheDataTypeE1ELb0ELi512EEEvPfS2_PT_PKS3_PKT0_S9_ifPKiSB_iPKfiiiSD_SD_iiiii.numbered_sgpr)
	.set _ZN4vllm25paged_attention_v2_kernelIfhLi96ELi32ELi128ELNS_18Fp8KVCacheDataTypeE1ELb0ELi512EEEvPfS2_PT_PKS3_PKT0_S9_ifPKiSB_iPKfiiiSD_SD_iiiii.num_named_barrier, max(0, .L_ZN4vllm22paged_attention_kernelIfhLi96ELi32ELi128ELNS_18Fp8KVCacheDataTypeE1ELb0ELi512EEEvPfS2_PT_PKS3_PKT0_S9_ifPKiSB_iPKfiiiSD_SD_iiiii.num_named_barrier)
	.set _ZN4vllm25paged_attention_v2_kernelIfhLi96ELi32ELi128ELNS_18Fp8KVCacheDataTypeE1ELb0ELi512EEEvPfS2_PT_PKS3_PKT0_S9_ifPKiSB_iPKfiiiSD_SD_iiiii.private_seg_size, 0+max(.L_ZN4vllm22paged_attention_kernelIfhLi96ELi32ELi128ELNS_18Fp8KVCacheDataTypeE1ELb0ELi512EEEvPfS2_PT_PKS3_PKT0_S9_ifPKiSB_iPKfiiiSD_SD_iiiii.private_seg_size)
	.set _ZN4vllm25paged_attention_v2_kernelIfhLi96ELi32ELi128ELNS_18Fp8KVCacheDataTypeE1ELb0ELi512EEEvPfS2_PT_PKS3_PKT0_S9_ifPKiSB_iPKfiiiSD_SD_iiiii.uses_vcc, or(1, .L_ZN4vllm22paged_attention_kernelIfhLi96ELi32ELi128ELNS_18Fp8KVCacheDataTypeE1ELb0ELi512EEEvPfS2_PT_PKS3_PKT0_S9_ifPKiSB_iPKfiiiSD_SD_iiiii.uses_vcc)
	.set _ZN4vllm25paged_attention_v2_kernelIfhLi96ELi32ELi128ELNS_18Fp8KVCacheDataTypeE1ELb0ELi512EEEvPfS2_PT_PKS3_PKT0_S9_ifPKiSB_iPKfiiiSD_SD_iiiii.uses_flat_scratch, or(0, .L_ZN4vllm22paged_attention_kernelIfhLi96ELi32ELi128ELNS_18Fp8KVCacheDataTypeE1ELb0ELi512EEEvPfS2_PT_PKS3_PKT0_S9_ifPKiSB_iPKfiiiSD_SD_iiiii.uses_flat_scratch)
	.set _ZN4vllm25paged_attention_v2_kernelIfhLi96ELi32ELi128ELNS_18Fp8KVCacheDataTypeE1ELb0ELi512EEEvPfS2_PT_PKS3_PKT0_S9_ifPKiSB_iPKfiiiSD_SD_iiiii.has_dyn_sized_stack, or(0, .L_ZN4vllm22paged_attention_kernelIfhLi96ELi32ELi128ELNS_18Fp8KVCacheDataTypeE1ELb0ELi512EEEvPfS2_PT_PKS3_PKT0_S9_ifPKiSB_iPKfiiiSD_SD_iiiii.has_dyn_sized_stack)
	.set _ZN4vllm25paged_attention_v2_kernelIfhLi96ELi32ELi128ELNS_18Fp8KVCacheDataTypeE1ELb0ELi512EEEvPfS2_PT_PKS3_PKT0_S9_ifPKiSB_iPKfiiiSD_SD_iiiii.has_recursion, or(0, .L_ZN4vllm22paged_attention_kernelIfhLi96ELi32ELi128ELNS_18Fp8KVCacheDataTypeE1ELb0ELi512EEEvPfS2_PT_PKS3_PKT0_S9_ifPKiSB_iPKfiiiSD_SD_iiiii.has_recursion)
	.set _ZN4vllm25paged_attention_v2_kernelIfhLi96ELi32ELi128ELNS_18Fp8KVCacheDataTypeE1ELb0ELi512EEEvPfS2_PT_PKS3_PKT0_S9_ifPKiSB_iPKfiiiSD_SD_iiiii.has_indirect_call, or(0, .L_ZN4vllm22paged_attention_kernelIfhLi96ELi32ELi128ELNS_18Fp8KVCacheDataTypeE1ELb0ELi512EEEvPfS2_PT_PKS3_PKT0_S9_ifPKiSB_iPKfiiiSD_SD_iiiii.has_indirect_call)
	.section	.AMDGPU.csdata,"",@progbits
; Kernel info:
; codeLenInByte = 240
; TotalNumSgprs: 46
; NumVgprs: 128
; ScratchSize: 1048
; MemoryBound: 0
; FloatMode: 240
; IeeeMode: 1
; LDSByteSize: 416 bytes/workgroup (compile time only)
; SGPRBlocks: 0
; VGPRBlocks: 15
; NumSGPRsForWavesPerEU: 46
; NumVGPRsForWavesPerEU: 128
; Occupancy: 8
; WaveLimiterHint : 1
; COMPUTE_PGM_RSRC2:SCRATCH_EN: 1
; COMPUTE_PGM_RSRC2:USER_SGPR: 6
; COMPUTE_PGM_RSRC2:TRAP_HANDLER: 0
; COMPUTE_PGM_RSRC2:TGID_X_EN: 1
; COMPUTE_PGM_RSRC2:TGID_Y_EN: 1
; COMPUTE_PGM_RSRC2:TGID_Z_EN: 1
; COMPUTE_PGM_RSRC2:TIDIG_COMP_CNT: 0
	.text
	.p2align	2                               ; -- Begin function _ZN4vllm22paged_attention_kernelIfhLi112ELi32ELi128ELNS_18Fp8KVCacheDataTypeE1ELb0ELi512EEEvPfS2_PT_PKS3_PKT0_S9_ifPKiSB_iPKfiiiSD_SD_iiiii
	.type	_ZN4vllm22paged_attention_kernelIfhLi112ELi32ELi128ELNS_18Fp8KVCacheDataTypeE1ELb0ELi512EEEvPfS2_PT_PKS3_PKT0_S9_ifPKiSB_iPKfiiiSD_SD_iiiii,@function
_ZN4vllm22paged_attention_kernelIfhLi112ELi32ELi128ELNS_18Fp8KVCacheDataTypeE1ELb0ELi512EEEvPfS2_PT_PKS3_PKT0_S9_ifPKiSB_iPKfiiiSD_SD_iiiii: ; @_ZN4vllm22paged_attention_kernelIfhLi112ELi32ELi128ELNS_18Fp8KVCacheDataTypeE1ELb0ELi512EEEvPfS2_PT_PKS3_PKT0_S9_ifPKiSB_iPKfiiiSD_SD_iiiii
; %bb.0:
	s_waitcnt vmcnt(0) expcnt(0) lgkmcnt(0)
	buffer_store_dword v40, off, s[0:3], s32 offset:188 ; 4-byte Folded Spill
	buffer_store_dword v41, off, s[0:3], s32 offset:184 ; 4-byte Folded Spill
	;; [unrolled: 1-line block ×47, first 2 shown]
	buffer_store_dword v127, off, s[0:3], s32 ; 4-byte Folded Spill
	s_mov_b32 s18, s13
	s_ashr_i32 s19, s13, 31
	buffer_store_dword v24, off, s[0:3], s32 offset:692 ; 4-byte Folded Spill
	buffer_store_dword v25, off, s[0:3], s32 offset:696 ; 4-byte Folded Spill
	;; [unrolled: 1-line block ×6, first 2 shown]
	s_lshl_b64 s[4:5], s[18:19], 2
	v_mov_b32_e32 v24, v0
	v_add_co_u32 v0, vcc_lo, v16, s4
	v_mov_b32_e32 v22, v1
	v_add_co_ci_u32_e64 v1, null, s5, v17, vcc_lo
	v_mov_b32_e32 v25, v3
	v_mov_b32_e32 v28, v2
	s_lshl_b32 s20, s14, 9
	flat_load_dword v99, v[0:1]
	s_mov_b32 s19, exec_lo
	s_waitcnt vmcnt(0) lgkmcnt(0)
	v_cmpx_lt_i32_e64 s20, v99
	s_cbranch_execz .LBB251_1948
; %bb.1:
	v_sub_nc_u32_e32 v0, 0, v12
	s_clause 0x1
	s_load_dword s4, s[8:9], 0x10
	s_load_dword s5, s[8:9], 0x0
	s_mov_b32 s16, s15
	v_max_i32_e32 v0, v12, v0
	v_cvt_f32_u32_e32 v1, v0
	v_sub_nc_u32_e32 v2, 0, v0
	v_rcp_iflag_f32_e32 v1, v1
	s_waitcnt lgkmcnt(0)
	s_lshr_b32 s4, s4, 16
	s_cmp_lg_u32 s4, 0
	s_cselect_b32 s4, -1, 0
	v_mul_f32_e32 v1, 0x4f7ffffe, v1
	s_cmp_lg_u32 s4, 0
	s_addc_u32 s15, s5, 0
	s_mov_b32 s5, exec_lo
	v_cvt_u32_f32_e32 v1, v1
	s_abs_i32 s4, s15
	v_mul_lo_u32 v2, v2, v1
	v_mul_hi_u32 v2, v1, v2
	v_add_nc_u32_e32 v1, v1, v2
	v_mul_hi_u32 v1, s4, v1
	v_mul_lo_u32 v2, v1, v0
	v_add_nc_u32_e32 v3, 1, v1
	v_sub_nc_u32_e32 v2, s4, v2
	s_abs_i32 s4, s12
	v_sub_nc_u32_e32 v4, v2, v0
	v_cmp_ge_u32_e32 vcc_lo, v2, v0
	v_cndmask_b32_e32 v1, v1, v3, vcc_lo
	v_cndmask_b32_e32 v2, v2, v4, vcc_lo
	v_xor_b32_e32 v3, s15, v12
	v_add_nc_u32_e32 v4, 1, v1
	v_cmp_ge_u32_e32 vcc_lo, v2, v0
	v_ashrrev_i32_e32 v3, 31, v3
	v_cndmask_b32_e32 v0, v1, v4, vcc_lo
	v_xor_b32_e32 v0, v0, v3
	v_sub_nc_u32_e32 v3, v0, v3
	v_sub_nc_u32_e32 v0, 0, v3
	v_max_i32_e32 v2, v3, v0
	v_cvt_f32_u32_e32 v0, v2
	v_sub_nc_u32_e32 v1, 0, v2
	v_rcp_iflag_f32_e32 v0, v0
	v_mul_f32_e32 v0, 0x4f7ffffe, v0
	v_cvt_u32_f32_e32 v0, v0
	v_mul_lo_u32 v1, v1, v0
	v_mul_hi_u32 v1, v0, v1
	v_add_nc_u32_e32 v0, v0, v1
	v_mad_u64_u32 v[0:1], null, s4, v0, 0
	v_mov_b32_e32 v0, 0
	buffer_store_dword v0, off, s[0:3], s32 offset:704 ; 4-byte Folded Spill
	v_cmpx_ne_u64_e32 0, v[19:20]
	s_cbranch_execz .LBB251_3
; %bb.2:
	s_ashr_i32 s13, s12, 31
	s_lshl_b64 s[6:7], s[12:13], 2
	v_add_co_u32 v4, vcc_lo, v19, s6
	v_add_co_ci_u32_e64 v5, null, s7, v20, vcc_lo
	flat_load_dword v0, v[4:5]
	s_waitcnt vmcnt(0) lgkmcnt(0)
	buffer_store_dword v0, off, s[0:3], s32 offset:704 ; 4-byte Folded Spill
.LBB251_3:
	s_or_b32 exec_lo, exec_lo, s5
	v_and_b32_e32 v12, 0x3ff, v31
	v_ashrrev_i32_e32 v0, 31, v3
	s_ashr_i32 s5, s12, 31
	s_mul_i32 s10, s12, 0x70
	s_mov_b32 s6, exec_lo
	v_cmpx_gt_u32_e32 28, v12
	s_cbranch_execz .LBB251_5
; %bb.4:
	v_mul_lo_u32 v3, v21, s18
	s_ashr_i32 s11, s10, 31
	v_lshlrev_b32_e32 v13, 4, v12
	s_lshl_b64 s[22:23], s[10:11], 2
	v_ashrrev_i32_e32 v4, 31, v3
	v_lshlrev_b64 v[3:4], 2, v[3:4]
	v_add_co_u32 v3, vcc_lo, v6, v3
	v_add_co_ci_u32_e64 v4, null, v7, v4, vcc_lo
	v_add_co_u32 v3, vcc_lo, v3, s22
	v_add_co_ci_u32_e64 v4, null, s23, v4, vcc_lo
	;; [unrolled: 2-line block ×3, first 2 shown]
	flat_load_dwordx4 v[3:6], v[3:4]
	s_waitcnt vmcnt(0) lgkmcnt(0)
	ds_write_b128 v13, v[3:6]
.LBB251_5:
	s_or_b32 exec_lo, exec_lo, s6
	v_mul_lo_u32 v3, v1, v2
	v_add_nc_u32_e32 v4, 1, v1
	v_add_nc_u32_e32 v5, 31, v99
	v_xor_b32_e32 v7, s5, v0
	s_lshl_b32 s6, s14, 4
	v_mul_lo_u32 v0, v18, s18
	s_clause 0x1
	s_load_dword s7, s[8:9], 0x14
	s_load_dword s8, s[8:9], 0x8
	v_sub_nc_u32_e32 v3, s4, v3
	s_add_i32 s4, s6, 16
	v_sub_nc_u32_e32 v6, v3, v2
	v_cmp_ge_u32_e32 vcc_lo, v3, v2
	v_cndmask_b32_e32 v1, v1, v4, vcc_lo
	v_cndmask_b32_e32 v3, v3, v6, vcc_lo
	v_ashrrev_i32_e32 v4, 31, v5
	v_add_nc_u32_e32 v6, 1, v1
	v_cmp_ge_u32_e32 vcc_lo, v3, v2
	v_lshrrev_b32_e32 v4, 27, v4
	v_cndmask_b32_e32 v1, v1, v6, vcc_lo
	v_add_nc_u32_e32 v2, v5, v4
	v_lshrrev_b32_e32 v4, 5, v12
	v_and_b32_e32 v6, 31, v12
	v_mov_b32_e32 v5, 0xff7fffff
	v_xor_b32_e32 v1, v1, v7
	v_ashrrev_i32_e32 v13, 5, v2
	v_add_nc_u32_e32 v2, s6, v4
	buffer_store_dword v4, off, s[0:3], s32 offset:1168 ; 4-byte Folded Spill
	v_lshlrev_b32_e32 v20, 2, v6
	v_sub_nc_u32_e32 v3, v1, v7
	v_min_i32_e32 v4, s4, v13
	v_ashrrev_i32_e32 v1, 31, v0
	v_mul_lo_u32 v18, v3, v23
	v_ashrrev_i32_e32 v3, 31, v2
	v_cmp_ge_i32_e64 s4, v2, v4
	buffer_store_dword v2, off, s[0:3], s32 offset:192 ; 4-byte Folded Spill
	buffer_store_dword v3, off, s[0:3], s32 offset:196 ; 4-byte Folded Spill
	;; [unrolled: 1-line block ×3, first 2 shown]
	v_lshlrev_b64 v[16:17], 2, v[0:1]
	v_ashrrev_i32_e32 v19, 31, v18
	s_waitcnt lgkmcnt(0)
	s_waitcnt_vscnt null, 0x0
	s_barrier
	buffer_gl0_inv
	v_cmp_lt_i32_e32 vcc_lo, v2, v4
	s_mov_b32 s9, exec_lo
	s_and_b32 s5, s9, vcc_lo
	buffer_store_dword v12, off, s[0:3], s32 offset:1164 ; 4-byte Folded Spill
	buffer_store_dword v6, off, s[0:3], s32 offset:1180 ; 4-byte Folded Spill
	s_mov_b32 exec_lo, s5
	s_cbranch_execz .LBB251_905
; %bb.6:
	v_add_co_u32 v0, vcc_lo, v8, v18
	v_lshlrev_b32_e32 v2, 4, v6
	v_add_co_ci_u32_e64 v1, null, v9, v19, vcc_lo
	v_mov_b32_e32 v12, 0
	buffer_store_dword v13, off, s[0:3], s32 offset:1232 ; 4-byte Folded Spill
	buffer_store_dword v28, off, s[0:3], s32 offset:1220 ; 4-byte Folded Spill
	;; [unrolled: 1-line block ×10, first 2 shown]
	v_add_co_u32 v0, vcc_lo, v0, v2
	v_add_co_ci_u32_e64 v1, null, 0, v1, vcc_lo
	buffer_store_dword v19, off, s[0:3], s32 offset:1240 ; 4-byte Folded Spill
	buffer_store_dword v0, off, s[0:3], s32 offset:708 ; 4-byte Folded Spill
	;; [unrolled: 1-line block ×3, first 2 shown]
	ds_read_b128 v[0:3], v12
	s_ashr_i32 s17, s16, 31
	v_mov_b32_e32 v5, 0xff7fffff
	s_lshl_b64 s[22:23], s[16:17], 2
	s_getpc_b64 s[24:25]
	s_add_u32 s24, s24, llvm.amdgcn.dynlds.offset.table@rel32@lo+4
	s_addc_u32 s25, s25, llvm.amdgcn.dynlds.offset.table@rel32@hi+12
	s_add_u32 s22, s24, s22
	s_addc_u32 s23, s25, s23
	v_bfrev_b32_e32 v109, 1
	v_mov_b32_e32 v107, 0x7f800001
	s_mov_b32 s11, 0
	s_waitcnt lgkmcnt(0)
	buffer_store_dword v0, off, s[0:3], s32 offset:716 ; 4-byte Folded Spill
	buffer_store_dword v1, off, s[0:3], s32 offset:720 ; 4-byte Folded Spill
	buffer_store_dword v2, off, s[0:3], s32 offset:724 ; 4-byte Folded Spill
	buffer_store_dword v3, off, s[0:3], s32 offset:728 ; 4-byte Folded Spill
	ds_read_b128 v[0:3], v12 offset:16
	s_waitcnt lgkmcnt(0)
	buffer_store_dword v0, off, s[0:3], s32 offset:732 ; 4-byte Folded Spill
	buffer_store_dword v1, off, s[0:3], s32 offset:736 ; 4-byte Folded Spill
	buffer_store_dword v2, off, s[0:3], s32 offset:740 ; 4-byte Folded Spill
	buffer_store_dword v3, off, s[0:3], s32 offset:744 ; 4-byte Folded Spill
	ds_read_b128 v[0:3], v12 offset:32
	;; [unrolled: 6-line block ×24, first 2 shown]
	s_waitcnt lgkmcnt(0)
	buffer_store_dword v0, off, s[0:3], s32 offset:1100 ; 4-byte Folded Spill
	buffer_store_dword v1, off, s[0:3], s32 offset:1104 ; 4-byte Folded Spill
	;; [unrolled: 1-line block ×4, first 2 shown]
	buffer_load_dword v0, off, s[0:3], s32 offset:704 ; 4-byte Folded Reload
	s_waitcnt vmcnt(0)
	v_cmp_neq_f32_e32 vcc_lo, 0, v0
	ds_read_b128 v[0:3], v12 offset:400
	s_waitcnt lgkmcnt(0)
	buffer_store_dword v0, off, s[0:3], s32 offset:1116 ; 4-byte Folded Spill
	buffer_store_dword v1, off, s[0:3], s32 offset:1120 ; 4-byte Folded Spill
	buffer_store_dword v2, off, s[0:3], s32 offset:1124 ; 4-byte Folded Spill
	buffer_store_dword v3, off, s[0:3], s32 offset:1128 ; 4-byte Folded Spill
	ds_read_b128 v[0:3], v12 offset:416
	s_waitcnt lgkmcnt(0)
	buffer_store_dword v0, off, s[0:3], s32 offset:1132 ; 4-byte Folded Spill
	buffer_store_dword v1, off, s[0:3], s32 offset:1136 ; 4-byte Folded Spill
	buffer_store_dword v2, off, s[0:3], s32 offset:1140 ; 4-byte Folded Spill
	buffer_store_dword v3, off, s[0:3], s32 offset:1144 ; 4-byte Folded Spill
	;; [unrolled: 6-line block ×3, first 2 shown]
	s_load_dword s13, s[22:23], 0x0
	s_clause 0x1
	buffer_load_dword v3, off, s[0:3], s32 offset:192
	buffer_load_dword v4, off, s[0:3], s32 offset:196
	s_waitcnt vmcnt(1)
	v_mov_b32_e32 v11, v3
	s_waitcnt vmcnt(0)
	v_lshlrev_b64 v[0:1], 2, v[3:4]
	v_add_co_u32 v0, s5, v16, v0
	buffer_store_dword v16, off, s[0:3], s32 offset:1224 ; 4-byte Folded Spill
	buffer_store_dword v17, off, s[0:3], s32 offset:1228 ; 4-byte Folded Spill
	;; [unrolled: 1-line block ×5, first 2 shown]
	v_add_co_ci_u32_e64 v1, null, v17, v1, s5
	v_add_co_u32 v7, s5, v14, v0
	buffer_load_dword v0, off, s[0:3], s32 offset:1168 ; 4-byte Folded Reload
	v_add_co_ci_u32_e64 v8, null, v15, v1, s5
	s_waitcnt vmcnt(0)
	v_lshlrev_b32_e32 v2, 5, v0
	v_add3_u32 v10, s20, v2, v6
	v_lshl_or_b32 v2, v0, 7, v20
	v_mov_b32_e32 v6, 0x80
	s_waitcnt lgkmcnt(0)
	v_add_nc_u32_e32 v98, s13, v2
	s_branch .LBB251_11
.LBB251_7:                              ;   in Loop: Header=BB251_11 Depth=1
	s_or_b32 exec_lo, exec_lo, s22
	v_mov_b32_e32 v8, 24
	v_lshlrev_b32_e32 v9, 20, v11
	v_lshl_add_u32 v11, v94, 23, 0x3c000000
	v_mov_b32_e32 v94, v12
	v_lshlrev_b32_sdwa v8, v8, v124 dst_sel:DWORD dst_unused:UNUSED_PAD src0_sel:DWORD src1_sel:BYTE_3
	v_and_b32_e32 v8, 0x80000000, v8
	v_or3_b32 v95, v9, v8, v11
.LBB251_8:                              ;   in Loop: Header=BB251_11 Depth=1
	s_or_b32 exec_lo, exec_lo, s21
.LBB251_9:                              ;   in Loop: Header=BB251_11 Depth=1
	s_or_b32 exec_lo, exec_lo, s17
	buffer_load_dword v11, off, s[0:3], s32 offset:648 ; 4-byte Folded Reload
	v_mov_b32_e32 v10, v13
	v_mov_b32_e32 v98, v125
.LBB251_10:                             ;   in Loop: Header=BB251_11 Depth=1
	s_or_b32 exec_lo, exec_lo, s13
	v_or_b32_e32 v8, v91, v111
	v_or_b32_e32 v9, v90, v110
	;; [unrolled: 1-line block ×5, first 2 shown]
	v_mul_f32_e32 v8, v7, v8
	v_cmp_lt_i32_e64 s5, v10, v99
	s_waitcnt vmcnt(0)
	v_add_nc_u32_e32 v11, 4, v11
	v_mul_f32_e32 v5, v7, v5
	buffer_store_dword v8, off, s[0:3], s32 offset:672 ; 4-byte Folded Spill
	v_mul_f32_e32 v8, v7, v9
	v_or_b32_e32 v9, v14, v88
	buffer_store_dword v8, off, s[0:3], s32 offset:680 ; 4-byte Folded Spill
	v_or_b32_e32 v8, v2, v122
	v_mul_f32_e32 v2, v7, v3
	v_mul_f32_e32 v88, v7, v9
	v_or_b32_e32 v9, v76, v104
	buffer_store_dword v2, off, s[0:3], s32 offset:676 ; 4-byte Folded Spill
	v_mul_f32_e32 v2, v7, v8
	v_or_b32_e32 v8, v15, v89
	v_mul_f32_e32 v76, v7, v9
	v_or_b32_e32 v9, v58, v72
	buffer_store_dword v2, off, s[0:3], s32 offset:684 ; 4-byte Folded Spill
	v_mul_f32_e32 v90, v7, v8
	v_or_b32_e32 v8, v77, v105
	v_mul_f32_e32 v72, v7, v9
	v_or_b32_e32 v9, v78, v60
	;; [unrolled: 2-line block ×4, first 2 shown]
	buffer_store_dword v2, off, s[0:3], s32 offset:688 ; 4-byte Folded Spill
	v_mul_f32_e32 v58, v7, v8
	v_or_b32_e32 v8, v79, v61
	v_mul_f32_e32 v56, v7, v9
	v_or_b32_e32 v9, v62, v44
	;; [unrolled: 2-line block ×11, first 2 shown]
	s_clause 0x1
	buffer_load_dword v0, off, s[0:3], s32 offset:640
	buffer_load_dword v1, off, s[0:3], s32 offset:644
	v_mul_f32_e32 v100, v7, v9
	v_or_b32_e32 v9, v82, v96
	v_mul_f32_e32 v15, v7, v8
	v_or_b32_e32 v8, v119, v101
	;; [unrolled: 2-line block ×25, first 2 shown]
	v_mul_f32_e32 v20, v7, v9
	v_mul_f32_e32 v21, v7, v4
	v_mul_f32_e32 v17, v7, v8
	s_waitcnt vmcnt(1)
	v_or_b32_e32 v9, v26, v0
	s_waitcnt vmcnt(0)
	v_or_b32_e32 v8, v27, v1
	s_clause 0x3
	buffer_load_dword v0, off, s[0:3], s32 offset:616
	buffer_load_dword v1, off, s[0:3], s32 offset:620
	;; [unrolled: 1-line block ×4, first 2 shown]
	v_mul_f32_e32 v9, v7, v9
	v_mul_f32_e32 v8, v7, v8
	s_waitcnt vmcnt(1)
	v_or_b32_e32 v25, v2, v0
	s_waitcnt vmcnt(0)
	v_or_b32_e32 v4, v3, v1
	s_clause 0x1
	buffer_load_dword v0, off, s[0:3], s32 offset:632
	buffer_load_dword v1, off, s[0:3], s32 offset:636
	v_mul_f32_e32 v26, v7, v25
	v_mul_f32_e32 v24, v7, v4
	s_waitcnt vmcnt(1)
	v_or_b32_e32 v27, v126, v0
	s_waitcnt vmcnt(0)
	v_or_b32_e32 v4, v127, v1
	s_clause 0x3
	buffer_load_dword v0, off, s[0:3], s32 offset:584
	buffer_load_dword v1, off, s[0:3], s32 offset:588
	buffer_load_dword v2, off, s[0:3], s32 offset:592
	buffer_load_dword v3, off, s[0:3], s32 offset:596
	v_mul_f32_e32 v27, v7, v27
	v_mul_f32_e32 v25, v7, v4
	s_waitcnt vmcnt(1)
	v_or_b32_e32 v31, v2, v0
	s_waitcnt vmcnt(0)
	v_or_b32_e32 v4, v3, v1
	s_clause 0x3
	buffer_load_dword v0, off, s[0:3], s32 offset:600
	buffer_load_dword v1, off, s[0:3], s32 offset:604
	;; [unrolled: 11-line block ×26, first 2 shown]
	buffer_load_dword v2, off, s[0:3], s32 offset:224
	buffer_load_dword v3, off, s[0:3], s32 offset:228
	v_mul_f32_e32 v126, v7, v31
	v_mul_f32_e32 v125, v7, v4
	s_waitcnt vmcnt(1)
	v_or_b32_e32 v31, v0, v2
	s_waitcnt vmcnt(0)
	v_or_b32_e32 v4, v1, v3
	v_sub_nc_u32_e32 v1, 1, v99
	v_mul_f32_e32 v13, v7, v31
	v_mul_f32_e32 v127, v7, v4
	buffer_load_dword v4, off, s[0:3], s32 offset:704 ; 4-byte Folded Reload
	v_add_nc_u32_e32 v1, v1, v10
	v_or_b32_e32 v31, v74, v36
	v_or_b32_e32 v36, v94, v92
	v_add_nc_u32_e32 v10, 0x80, v10
	v_cvt_f32_i32_e32 v1, v1
	v_mul_f32_e32 v33, v7, v31
	s_waitcnt vmcnt(0)
	v_mul_f32_e32 v1, v4, v1
	v_cndmask_b32_e32 v4, 0, v1, vcc_lo
	v_or_b32_e32 v1, v75, v37
	v_mul_f32_e32 v32, v7, v1
	v_or_b32_e32 v1, v95, v93
	v_mul_f32_e32 v31, v7, v1
	s_clause 0x7
	buffer_load_dword v0, off, s[0:3], s32 offset:732
	buffer_load_dword v1, off, s[0:3], s32 offset:736
	;; [unrolled: 1-line block ×8, first 2 shown]
	v_mul_f32_e32 v7, v7, v36
	s_waitcnt vmcnt(7)
	v_mul_f32_e32 v35, v0, v35
	s_waitcnt vmcnt(6)
	;; [unrolled: 2-line block ×4, first 2 shown]
	v_mul_f32_e32 v53, v3, v123
	s_clause 0x3
	buffer_load_dword v0, off, s[0:3], s32 offset:748
	buffer_load_dword v1, off, s[0:3], s32 offset:752
	;; [unrolled: 1-line block ×4, first 2 shown]
	s_waitcnt vmcnt(7)
	v_fmac_f32_e32 v35, v92, v126
	s_waitcnt vmcnt(6)
	v_fmac_f32_e32 v36, v93, v125
	;; [unrolled: 2-line block ×8, first 2 shown]
	s_clause 0x3
	buffer_load_dword v0, off, s[0:3], s32 offset:764
	buffer_load_dword v1, off, s[0:3], s32 offset:768
	buffer_load_dword v2, off, s[0:3], s32 offset:772
	buffer_load_dword v3, off, s[0:3], s32 offset:776
	s_waitcnt vmcnt(3)
	v_fmac_f32_e32 v35, v0, v106
	s_waitcnt vmcnt(2)
	v_fmac_f32_e32 v36, v1, v105
	s_waitcnt vmcnt(1)
	v_fmac_f32_e32 v37, v2, v110
	s_waitcnt vmcnt(0)
	v_fmac_f32_e32 v53, v3, v108
	s_clause 0x3
	buffer_load_dword v0, off, s[0:3], s32 offset:780
	buffer_load_dword v1, off, s[0:3], s32 offset:784
	buffer_load_dword v2, off, s[0:3], s32 offset:788
	buffer_load_dword v3, off, s[0:3], s32 offset:792
	s_waitcnt vmcnt(3)
	v_fmac_f32_e32 v35, v0, v91
	s_waitcnt vmcnt(2)
	v_fmac_f32_e32 v36, v1, v79
	s_waitcnt vmcnt(1)
	v_fmac_f32_e32 v37, v2, v104
	s_waitcnt vmcnt(0)
	v_fmac_f32_e32 v53, v3, v89
	;; [unrolled: 13-line block ×22, first 2 shown]
	s_clause 0x3
	buffer_load_dword v0, off, s[0:3], s32 offset:1116
	buffer_load_dword v1, off, s[0:3], s32 offset:1120
	;; [unrolled: 1-line block ×4, first 2 shown]
	s_waitcnt vmcnt(3)
	v_fmac_f32_e32 v35, v0, v88
	buffer_load_dword v0, off, s[0:3], s32 offset:688 ; 4-byte Folded Reload
	s_waitcnt vmcnt(3)
	v_fmac_f32_e32 v36, v1, v90
	s_waitcnt vmcnt(2)
	v_fmac_f32_e32 v37, v2, v76
	;; [unrolled: 2-line block ×3, first 2 shown]
	s_clause 0x4
	buffer_load_dword v0, off, s[0:3], s32 offset:1132
	buffer_load_dword v1, off, s[0:3], s32 offset:1136
	;; [unrolled: 1-line block ×5, first 2 shown]
	s_waitcnt vmcnt(0)
	v_fmac_f32_e32 v35, v0, v5
	buffer_load_dword v0, off, s[0:3], s32 offset:672 ; 4-byte Folded Reload
	s_waitcnt vmcnt(0)
	v_fmac_f32_e32 v36, v1, v0
	buffer_load_dword v0, off, s[0:3], s32 offset:684 ; 4-byte Folded Reload
	;; [unrolled: 3-line block ×3, first 2 shown]
	s_waitcnt vmcnt(0)
	v_fmac_f32_e32 v53, v3, v0
	s_clause 0x4
	buffer_load_dword v0, off, s[0:3], s32 offset:1148
	buffer_load_dword v1, off, s[0:3], s32 offset:1152
	;; [unrolled: 1-line block ×5, first 2 shown]
	s_waitcnt vmcnt(4)
	v_fmac_f32_e32 v35, v0, v33
	s_waitcnt vmcnt(3)
	v_fmac_f32_e32 v36, v1, v32
	buffer_load_dword v1, off, s[0:3], s32 offset:700 ; 4-byte Folded Reload
	s_waitcnt vmcnt(3)
	v_fmac_f32_e32 v37, v2, v7
	s_waitcnt vmcnt(2)
	v_fmac_f32_e32 v53, v3, v31
	v_add_f32_e32 v0, v35, v36
	v_add_f32_e32 v0, v37, v0
	;; [unrolled: 1-line block ×3, first 2 shown]
	s_waitcnt vmcnt(0)
	v_fmac_f32_e32 v4, v1, v0
	v_cndmask_b32_e64 v0, 0, v4, s5
	ds_write_b32 v98, v0
	v_max_f32_e32 v0, v5, v5
	s_clause 0x1
	buffer_load_dword v7, off, s[0:3], s32 offset:664
	buffer_load_dword v8, off, s[0:3], s32 offset:668
	v_add_nc_u32_e32 v98, 0x200, v98
	v_max_f32_e32 v0, v0, v4
	v_cndmask_b32_e64 v5, v5, v0, s5
	buffer_load_dword v0, off, s[0:3], s32 offset:656 ; 4-byte Folded Reload
	s_waitcnt vmcnt(2)
	v_add_co_u32 v7, s5, v7, 16
	s_waitcnt vmcnt(1)
	v_add_co_ci_u32_e64 v8, null, 0, v8, s5
	s_waitcnt vmcnt(0)
	v_cmp_ge_i32_e64 s5, v11, v0
	s_or_b32 s11, s5, s11
	s_andn2_b32 exec_lo, exec_lo, s11
	s_cbranch_execz .LBB251_904
.LBB251_11:                             ; =>This Inner Loop Header: Depth=1
	buffer_store_dword v11, off, s[0:3], s32 offset:648 ; 4-byte Folded Spill
	buffer_store_dword v5, off, s[0:3], s32 offset:660 ; 4-byte Folded Spill
	;; [unrolled: 1-line block ×4, first 2 shown]
	v_mov_b32_e32 v125, v98
	v_mov_b32_e32 v13, v10
	flat_load_dword v2, v[7:8]
	s_clause 0x2
	buffer_load_dword v0, off, s[0:3], s32 offset:652
	buffer_load_dword v3, off, s[0:3], s32 offset:708
	;; [unrolled: 1-line block ×3, first 2 shown]
	s_waitcnt vmcnt(0) lgkmcnt(0)
	v_mad_i64_i32 v[120:121], null, v2, v0, v[3:4]
	flat_load_dword v2, v[120:121]
	s_clause 0x1
	buffer_load_dword v0, off, s[0:3], s32 offset:692
	buffer_load_dword v1, off, s[0:3], s32 offset:696
	s_waitcnt vmcnt(2) lgkmcnt(0)
	v_cmp_ne_u16_sdwa s5, v2, v12 src0_sel:BYTE_0 src1_sel:DWORD
	s_waitcnt vmcnt(0)
	flat_load_dword v7, v[0:1]
	v_mov_b32_e32 v0, 0
	v_mov_b32_e32 v1, 0
	buffer_store_dword v0, off, s[0:3], s32 offset:208 ; 4-byte Folded Spill
	buffer_store_dword v1, off, s[0:3], s32 offset:212 ; 4-byte Folded Spill
	v_mov_b32_e32 v0, 0
	v_mov_b32_e32 v1, 0
	buffer_store_dword v0, off, s[0:3], s32 offset:200 ; 4-byte Folded Spill
	buffer_store_dword v1, off, s[0:3], s32 offset:204 ; 4-byte Folded Spill
	s_and_saveexec_b32 s13, s5
	s_cbranch_execz .LBB251_19
; %bb.12:                               ;   in Loop: Header=BB251_11 Depth=1
	v_bfrev_b32_e32 v0, 1
	v_mov_b32_e32 v1, 0
	v_cmp_ne_u16_sdwa s5, v2, v6 src0_sel:BYTE_0 src1_sel:DWORD
	buffer_store_dword v0, off, s[0:3], s32 offset:200 ; 4-byte Folded Spill
	buffer_store_dword v1, off, s[0:3], s32 offset:204 ; 4-byte Folded Spill
	s_and_saveexec_b32 s17, s5
	s_cbranch_execz .LBB251_18
; %bb.13:                               ;   in Loop: Header=BB251_11 Depth=1
	v_mov_b32_e32 v0, 0x7f800001
	v_and_b32_e32 v4, 0x7f, v2
	v_mov_b32_e32 v1, 0
	s_mov_b32 s21, exec_lo
	buffer_store_dword v0, off, s[0:3], s32 offset:200 ; 4-byte Folded Spill
	buffer_store_dword v1, off, s[0:3], s32 offset:204 ; 4-byte Folded Spill
	v_cmpx_ne_u32_e32 0x7f, v4
	s_cbranch_execz .LBB251_17
; %bb.14:                               ;   in Loop: Header=BB251_11 Depth=1
	v_and_b32_e32 v11, 7, v2
	v_lshrrev_b32_e32 v3, 3, v4
	s_mov_b32 s22, exec_lo
	v_cmpx_gt_u32_e32 8, v4
; %bb.15:                               ;   in Loop: Header=BB251_11 Depth=1
	v_ffbh_u32_e32 v3, v11
	v_min_u32_e32 v3, 32, v3
	v_subrev_nc_u32_e32 v4, 28, v3
	v_sub_nc_u32_e32 v3, 29, v3
	v_lshlrev_b64 v[4:5], v4, v[11:12]
	v_and_b32_e32 v11, 7, v4
; %bb.16:                               ;   in Loop: Header=BB251_11 Depth=1
	s_or_b32 exec_lo, exec_lo, s22
	v_lshlrev_b32_e32 v4, 24, v2
	v_lshlrev_b32_e32 v5, 20, v11
	v_lshl_add_u32 v3, v3, 23, 0x3c000000
	v_and_b32_e32 v4, 0x80000000, v4
	v_or3_b32 v11, v5, v4, v3
	buffer_store_dword v11, off, s[0:3], s32 offset:200 ; 4-byte Folded Spill
	buffer_store_dword v12, off, s[0:3], s32 offset:204 ; 4-byte Folded Spill
.LBB251_17:                             ;   in Loop: Header=BB251_11 Depth=1
	s_or_b32 exec_lo, exec_lo, s21
.LBB251_18:                             ;   in Loop: Header=BB251_11 Depth=1
	s_or_b32 exec_lo, exec_lo, s17
.LBB251_19:                             ;   in Loop: Header=BB251_11 Depth=1
	s_or_b32 exec_lo, exec_lo, s13
	v_cmp_ne_u16_sdwa s5, v2, v12 src0_sel:BYTE_1 src1_sel:DWORD
	s_and_saveexec_b32 s13, s5
	s_cbranch_execz .LBB251_27
; %bb.20:                               ;   in Loop: Header=BB251_11 Depth=1
	v_mov_b32_e32 v108, v12
	v_cmp_ne_u16_sdwa s5, v2, v6 src0_sel:BYTE_1 src1_sel:DWORD
	buffer_store_dword v108, off, s[0:3], s32 offset:208 ; 4-byte Folded Spill
	buffer_store_dword v109, off, s[0:3], s32 offset:212 ; 4-byte Folded Spill
	s_and_saveexec_b32 s17, s5
	s_cbranch_execz .LBB251_26
; %bb.21:                               ;   in Loop: Header=BB251_11 Depth=1
	v_mov_b32_e32 v0, 0xffff
	v_mov_b32_e32 v106, v12
	s_mov_b32 s21, exec_lo
	buffer_store_dword v106, off, s[0:3], s32 offset:208 ; 4-byte Folded Spill
	buffer_store_dword v107, off, s[0:3], s32 offset:212 ; 4-byte Folded Spill
	v_and_b32_sdwa v3, v0, v2 dst_sel:DWORD dst_unused:UNUSED_PAD src0_sel:DWORD src1_sel:BYTE_1
	v_and_b32_e32 v4, 0x7f, v3
	v_cmpx_ne_u32_e32 0x7f, v4
	s_cbranch_execz .LBB251_25
; %bb.22:                               ;   in Loop: Header=BB251_11 Depth=1
	v_and_b32_e32 v11, 7, v3
	v_lshrrev_b32_e32 v3, 3, v4
	s_mov_b32 s22, exec_lo
	v_cmpx_gt_u32_e32 8, v4
; %bb.23:                               ;   in Loop: Header=BB251_11 Depth=1
	v_ffbh_u32_e32 v3, v11
	v_min_u32_e32 v3, 32, v3
	v_subrev_nc_u32_e32 v4, 28, v3
	v_sub_nc_u32_e32 v3, 29, v3
	v_lshlrev_b64 v[4:5], v4, v[11:12]
	v_and_b32_e32 v11, 7, v4
; %bb.24:                               ;   in Loop: Header=BB251_11 Depth=1
	s_or_b32 exec_lo, exec_lo, s22
	v_lshlrev_b32_e32 v4, 16, v2
	v_lshlrev_b32_e32 v5, 20, v11
	v_lshl_add_u32 v3, v3, 23, 0x3c000000
	v_mov_b32_e32 v0, v12
	v_and_b32_e32 v4, 0x80000000, v4
	v_or3_b32 v1, v5, v4, v3
	buffer_store_dword v0, off, s[0:3], s32 offset:208 ; 4-byte Folded Spill
	buffer_store_dword v1, off, s[0:3], s32 offset:212 ; 4-byte Folded Spill
.LBB251_25:                             ;   in Loop: Header=BB251_11 Depth=1
	s_or_b32 exec_lo, exec_lo, s21
.LBB251_26:                             ;   in Loop: Header=BB251_11 Depth=1
	s_or_b32 exec_lo, exec_lo, s17
.LBB251_27:                             ;   in Loop: Header=BB251_11 Depth=1
	s_or_b32 exec_lo, exec_lo, s13
	v_mov_b32_e32 v0, 0xff
	s_mov_b32 s13, exec_lo
	v_and_b32_sdwa v3, v2, v0 dst_sel:DWORD dst_unused:UNUSED_PAD src0_sel:WORD_1 src1_sel:DWORD
	v_mov_b32_e32 v0, 0
	v_mov_b32_e32 v1, 0
	buffer_store_dword v0, off, s[0:3], s32 offset:216 ; 4-byte Folded Spill
	buffer_store_dword v1, off, s[0:3], s32 offset:220 ; 4-byte Folded Spill
	v_mov_b32_e32 v0, 0
	v_mov_b32_e32 v1, 0
	buffer_store_dword v0, off, s[0:3], s32 offset:224 ; 4-byte Folded Spill
	buffer_store_dword v1, off, s[0:3], s32 offset:228 ; 4-byte Folded Spill
	v_cmpx_ne_u16_e32 0, v3
	s_cbranch_execz .LBB251_35
; %bb.28:                               ;   in Loop: Header=BB251_11 Depth=1
	v_bfrev_b32_e32 v0, 1
	v_mov_b32_e32 v1, 0
	s_mov_b32 s17, exec_lo
	buffer_store_dword v0, off, s[0:3], s32 offset:224 ; 4-byte Folded Spill
	buffer_store_dword v1, off, s[0:3], s32 offset:228 ; 4-byte Folded Spill
	v_cmpx_ne_u16_e32 0x80, v3
	s_cbranch_execz .LBB251_34
; %bb.29:                               ;   in Loop: Header=BB251_11 Depth=1
	v_mov_b32_e32 v0, 0x7f800001
	v_bfe_u32 v4, v2, 16, 7
	v_mov_b32_e32 v1, 0
	s_mov_b32 s21, exec_lo
	buffer_store_dword v0, off, s[0:3], s32 offset:224 ; 4-byte Folded Spill
	buffer_store_dword v1, off, s[0:3], s32 offset:228 ; 4-byte Folded Spill
	v_cmpx_ne_u32_e32 0x7f, v4
	s_cbranch_execz .LBB251_33
; %bb.30:                               ;   in Loop: Header=BB251_11 Depth=1
	v_mov_b32_e32 v0, 7
	v_lshrrev_b32_e32 v3, 3, v4
	s_mov_b32 s22, exec_lo
	v_and_b32_sdwa v11, v2, v0 dst_sel:DWORD dst_unused:UNUSED_PAD src0_sel:WORD_1 src1_sel:DWORD
	v_cmpx_gt_u32_e32 8, v4
; %bb.31:                               ;   in Loop: Header=BB251_11 Depth=1
	v_ffbh_u32_e32 v3, v11
	v_min_u32_e32 v3, 32, v3
	v_subrev_nc_u32_e32 v4, 28, v3
	v_sub_nc_u32_e32 v3, 29, v3
	v_lshlrev_b64 v[4:5], v4, v[11:12]
	v_and_b32_e32 v11, 7, v4
; %bb.32:                               ;   in Loop: Header=BB251_11 Depth=1
	s_or_b32 exec_lo, exec_lo, s22
	v_mov_b32_e32 v0, 24
	v_lshlrev_b32_e32 v5, 20, v11
	v_lshl_add_u32 v3, v3, 23, 0x3c000000
	v_lshlrev_b32_sdwa v4, v0, v2 dst_sel:DWORD dst_unused:UNUSED_PAD src0_sel:DWORD src1_sel:WORD_1
	v_and_b32_e32 v4, 0x80000000, v4
	v_or3_b32 v11, v5, v4, v3
	buffer_store_dword v11, off, s[0:3], s32 offset:224 ; 4-byte Folded Spill
	buffer_store_dword v12, off, s[0:3], s32 offset:228 ; 4-byte Folded Spill
.LBB251_33:                             ;   in Loop: Header=BB251_11 Depth=1
	s_or_b32 exec_lo, exec_lo, s21
.LBB251_34:                             ;   in Loop: Header=BB251_11 Depth=1
	s_or_b32 exec_lo, exec_lo, s17
.LBB251_35:                             ;   in Loop: Header=BB251_11 Depth=1
	s_or_b32 exec_lo, exec_lo, s13
	s_mov_b32 s13, exec_lo
	v_cmpx_lt_u32_e32 0xffffff, v2
	s_cbranch_execz .LBB251_43
; %bb.36:                               ;   in Loop: Header=BB251_11 Depth=1
	v_mov_b32_e32 v108, v12
	v_cmp_ne_u32_sdwa s5, v2, v6 src0_sel:BYTE_3 src1_sel:DWORD
	buffer_store_dword v108, off, s[0:3], s32 offset:216 ; 4-byte Folded Spill
	buffer_store_dword v109, off, s[0:3], s32 offset:220 ; 4-byte Folded Spill
	s_and_saveexec_b32 s17, s5
	s_cbranch_execz .LBB251_42
; %bb.37:                               ;   in Loop: Header=BB251_11 Depth=1
	v_bfe_u32 v4, v2, 24, 7
	v_mov_b32_e32 v106, v12
	s_mov_b32 s21, exec_lo
	buffer_store_dword v106, off, s[0:3], s32 offset:216 ; 4-byte Folded Spill
	buffer_store_dword v107, off, s[0:3], s32 offset:220 ; 4-byte Folded Spill
	v_cmpx_ne_u32_e32 0x7f, v4
	s_cbranch_execz .LBB251_41
; %bb.38:                               ;   in Loop: Header=BB251_11 Depth=1
	v_mov_b32_e32 v0, 7
	v_lshrrev_b32_e32 v3, 3, v4
	s_mov_b32 s22, exec_lo
	v_and_b32_sdwa v11, v2, v0 dst_sel:DWORD dst_unused:UNUSED_PAD src0_sel:BYTE_3 src1_sel:DWORD
	v_cmpx_gt_u32_e32 8, v4
; %bb.39:                               ;   in Loop: Header=BB251_11 Depth=1
	v_ffbh_u32_e32 v3, v11
	v_min_u32_e32 v3, 32, v3
	v_subrev_nc_u32_e32 v4, 28, v3
	v_sub_nc_u32_e32 v3, 29, v3
	v_lshlrev_b64 v[4:5], v4, v[11:12]
	v_and_b32_e32 v11, 7, v4
; %bb.40:                               ;   in Loop: Header=BB251_11 Depth=1
	s_or_b32 exec_lo, exec_lo, s22
	v_mov_b32_e32 v0, 24
	v_lshlrev_b32_e32 v4, 20, v11
	v_lshl_add_u32 v3, v3, 23, 0x3c000000
	v_lshlrev_b32_sdwa v2, v0, v2 dst_sel:DWORD dst_unused:UNUSED_PAD src0_sel:DWORD src1_sel:BYTE_3
	v_mov_b32_e32 v0, v12
	v_and_b32_e32 v2, 0x80000000, v2
	v_or3_b32 v1, v4, v2, v3
	buffer_store_dword v0, off, s[0:3], s32 offset:216 ; 4-byte Folded Spill
	buffer_store_dword v1, off, s[0:3], s32 offset:220 ; 4-byte Folded Spill
.LBB251_41:                             ;   in Loop: Header=BB251_11 Depth=1
	s_or_b32 exec_lo, exec_lo, s21
.LBB251_42:                             ;   in Loop: Header=BB251_11 Depth=1
	s_or_b32 exec_lo, exec_lo, s17
.LBB251_43:                             ;   in Loop: Header=BB251_11 Depth=1
	s_or_b32 exec_lo, exec_lo, s13
	flat_load_dword v2, v[120:121] offset:4
	v_mov_b32_e32 v0, 0
	v_mov_b32_e32 v1, 0
	buffer_store_dword v0, off, s[0:3], s32 offset:240 ; 4-byte Folded Spill
	buffer_store_dword v1, off, s[0:3], s32 offset:244 ; 4-byte Folded Spill
	v_mov_b32_e32 v0, 0
	v_mov_b32_e32 v1, 0
	buffer_store_dword v0, off, s[0:3], s32 offset:232 ; 4-byte Folded Spill
	buffer_store_dword v1, off, s[0:3], s32 offset:236 ; 4-byte Folded Spill
	s_waitcnt vmcnt(0) lgkmcnt(0)
	v_cmp_ne_u16_sdwa s5, v2, v12 src0_sel:BYTE_0 src1_sel:DWORD
	s_and_saveexec_b32 s13, s5
	s_cbranch_execz .LBB251_51
; %bb.44:                               ;   in Loop: Header=BB251_11 Depth=1
	v_bfrev_b32_e32 v0, 1
	v_mov_b32_e32 v1, 0
	v_cmp_ne_u16_sdwa s5, v2, v6 src0_sel:BYTE_0 src1_sel:DWORD
	buffer_store_dword v0, off, s[0:3], s32 offset:232 ; 4-byte Folded Spill
	buffer_store_dword v1, off, s[0:3], s32 offset:236 ; 4-byte Folded Spill
	s_and_saveexec_b32 s17, s5
	s_cbranch_execz .LBB251_50
; %bb.45:                               ;   in Loop: Header=BB251_11 Depth=1
	v_mov_b32_e32 v0, 0x7f800001
	v_and_b32_e32 v4, 0x7f, v2
	v_mov_b32_e32 v1, 0
	s_mov_b32 s21, exec_lo
	buffer_store_dword v0, off, s[0:3], s32 offset:232 ; 4-byte Folded Spill
	buffer_store_dword v1, off, s[0:3], s32 offset:236 ; 4-byte Folded Spill
	v_cmpx_ne_u32_e32 0x7f, v4
	s_cbranch_execz .LBB251_49
; %bb.46:                               ;   in Loop: Header=BB251_11 Depth=1
	v_and_b32_e32 v11, 7, v2
	v_lshrrev_b32_e32 v3, 3, v4
	s_mov_b32 s22, exec_lo
	v_cmpx_gt_u32_e32 8, v4
; %bb.47:                               ;   in Loop: Header=BB251_11 Depth=1
	v_ffbh_u32_e32 v3, v11
	v_min_u32_e32 v3, 32, v3
	v_subrev_nc_u32_e32 v4, 28, v3
	v_sub_nc_u32_e32 v3, 29, v3
	v_lshlrev_b64 v[4:5], v4, v[11:12]
	v_and_b32_e32 v11, 7, v4
; %bb.48:                               ;   in Loop: Header=BB251_11 Depth=1
	s_or_b32 exec_lo, exec_lo, s22
	v_lshlrev_b32_e32 v4, 24, v2
	v_lshlrev_b32_e32 v5, 20, v11
	v_lshl_add_u32 v3, v3, 23, 0x3c000000
	v_and_b32_e32 v4, 0x80000000, v4
	v_or3_b32 v11, v5, v4, v3
	buffer_store_dword v11, off, s[0:3], s32 offset:232 ; 4-byte Folded Spill
	buffer_store_dword v12, off, s[0:3], s32 offset:236 ; 4-byte Folded Spill
.LBB251_49:                             ;   in Loop: Header=BB251_11 Depth=1
	s_or_b32 exec_lo, exec_lo, s21
.LBB251_50:                             ;   in Loop: Header=BB251_11 Depth=1
	s_or_b32 exec_lo, exec_lo, s17
.LBB251_51:                             ;   in Loop: Header=BB251_11 Depth=1
	s_or_b32 exec_lo, exec_lo, s13
	v_cmp_ne_u16_sdwa s5, v2, v12 src0_sel:BYTE_1 src1_sel:DWORD
	s_and_saveexec_b32 s13, s5
	s_cbranch_execz .LBB251_59
; %bb.52:                               ;   in Loop: Header=BB251_11 Depth=1
	v_mov_b32_e32 v108, v12
	v_cmp_ne_u16_sdwa s5, v2, v6 src0_sel:BYTE_1 src1_sel:DWORD
	buffer_store_dword v108, off, s[0:3], s32 offset:240 ; 4-byte Folded Spill
	buffer_store_dword v109, off, s[0:3], s32 offset:244 ; 4-byte Folded Spill
	s_and_saveexec_b32 s17, s5
	s_cbranch_execz .LBB251_58
; %bb.53:                               ;   in Loop: Header=BB251_11 Depth=1
	v_mov_b32_e32 v0, 0xffff
	v_mov_b32_e32 v106, v12
	s_mov_b32 s21, exec_lo
	buffer_store_dword v106, off, s[0:3], s32 offset:240 ; 4-byte Folded Spill
	buffer_store_dword v107, off, s[0:3], s32 offset:244 ; 4-byte Folded Spill
	v_and_b32_sdwa v3, v0, v2 dst_sel:DWORD dst_unused:UNUSED_PAD src0_sel:DWORD src1_sel:BYTE_1
	v_and_b32_e32 v4, 0x7f, v3
	v_cmpx_ne_u32_e32 0x7f, v4
	s_cbranch_execz .LBB251_57
; %bb.54:                               ;   in Loop: Header=BB251_11 Depth=1
	v_and_b32_e32 v11, 7, v3
	v_lshrrev_b32_e32 v3, 3, v4
	s_mov_b32 s22, exec_lo
	v_cmpx_gt_u32_e32 8, v4
; %bb.55:                               ;   in Loop: Header=BB251_11 Depth=1
	v_ffbh_u32_e32 v3, v11
	v_min_u32_e32 v3, 32, v3
	v_subrev_nc_u32_e32 v4, 28, v3
	v_sub_nc_u32_e32 v3, 29, v3
	v_lshlrev_b64 v[4:5], v4, v[11:12]
	v_and_b32_e32 v11, 7, v4
; %bb.56:                               ;   in Loop: Header=BB251_11 Depth=1
	s_or_b32 exec_lo, exec_lo, s22
	v_lshlrev_b32_e32 v4, 16, v2
	v_lshlrev_b32_e32 v5, 20, v11
	v_lshl_add_u32 v3, v3, 23, 0x3c000000
	v_mov_b32_e32 v0, v12
	v_and_b32_e32 v4, 0x80000000, v4
	v_or3_b32 v1, v5, v4, v3
	buffer_store_dword v0, off, s[0:3], s32 offset:240 ; 4-byte Folded Spill
	buffer_store_dword v1, off, s[0:3], s32 offset:244 ; 4-byte Folded Spill
.LBB251_57:                             ;   in Loop: Header=BB251_11 Depth=1
	s_or_b32 exec_lo, exec_lo, s21
.LBB251_58:                             ;   in Loop: Header=BB251_11 Depth=1
	s_or_b32 exec_lo, exec_lo, s17
.LBB251_59:                             ;   in Loop: Header=BB251_11 Depth=1
	s_or_b32 exec_lo, exec_lo, s13
	v_mov_b32_e32 v0, 0xff
	s_mov_b32 s13, exec_lo
	v_and_b32_sdwa v3, v2, v0 dst_sel:DWORD dst_unused:UNUSED_PAD src0_sel:WORD_1 src1_sel:DWORD
	v_mov_b32_e32 v0, 0
	v_mov_b32_e32 v1, 0
	buffer_store_dword v0, off, s[0:3], s32 offset:248 ; 4-byte Folded Spill
	buffer_store_dword v1, off, s[0:3], s32 offset:252 ; 4-byte Folded Spill
	v_mov_b32_e32 v0, 0
	v_mov_b32_e32 v1, 0
	buffer_store_dword v0, off, s[0:3], s32 offset:256 ; 4-byte Folded Spill
	buffer_store_dword v1, off, s[0:3], s32 offset:260 ; 4-byte Folded Spill
	v_cmpx_ne_u16_e32 0, v3
	s_cbranch_execz .LBB251_67
; %bb.60:                               ;   in Loop: Header=BB251_11 Depth=1
	v_bfrev_b32_e32 v0, 1
	v_mov_b32_e32 v1, 0
	s_mov_b32 s17, exec_lo
	buffer_store_dword v0, off, s[0:3], s32 offset:256 ; 4-byte Folded Spill
	buffer_store_dword v1, off, s[0:3], s32 offset:260 ; 4-byte Folded Spill
	v_cmpx_ne_u16_e32 0x80, v3
	s_cbranch_execz .LBB251_66
; %bb.61:                               ;   in Loop: Header=BB251_11 Depth=1
	v_mov_b32_e32 v0, 0x7f800001
	v_bfe_u32 v4, v2, 16, 7
	v_mov_b32_e32 v1, 0
	s_mov_b32 s21, exec_lo
	buffer_store_dword v0, off, s[0:3], s32 offset:256 ; 4-byte Folded Spill
	buffer_store_dword v1, off, s[0:3], s32 offset:260 ; 4-byte Folded Spill
	v_cmpx_ne_u32_e32 0x7f, v4
	s_cbranch_execz .LBB251_65
; %bb.62:                               ;   in Loop: Header=BB251_11 Depth=1
	v_mov_b32_e32 v0, 7
	v_lshrrev_b32_e32 v3, 3, v4
	s_mov_b32 s22, exec_lo
	v_and_b32_sdwa v11, v2, v0 dst_sel:DWORD dst_unused:UNUSED_PAD src0_sel:WORD_1 src1_sel:DWORD
	v_cmpx_gt_u32_e32 8, v4
; %bb.63:                               ;   in Loop: Header=BB251_11 Depth=1
	v_ffbh_u32_e32 v3, v11
	v_min_u32_e32 v3, 32, v3
	v_subrev_nc_u32_e32 v4, 28, v3
	v_sub_nc_u32_e32 v3, 29, v3
	v_lshlrev_b64 v[4:5], v4, v[11:12]
	v_and_b32_e32 v11, 7, v4
; %bb.64:                               ;   in Loop: Header=BB251_11 Depth=1
	s_or_b32 exec_lo, exec_lo, s22
	v_mov_b32_e32 v0, 24
	v_lshlrev_b32_e32 v5, 20, v11
	v_lshl_add_u32 v3, v3, 23, 0x3c000000
	v_lshlrev_b32_sdwa v4, v0, v2 dst_sel:DWORD dst_unused:UNUSED_PAD src0_sel:DWORD src1_sel:WORD_1
	v_and_b32_e32 v4, 0x80000000, v4
	v_or3_b32 v11, v5, v4, v3
	buffer_store_dword v11, off, s[0:3], s32 offset:256 ; 4-byte Folded Spill
	buffer_store_dword v12, off, s[0:3], s32 offset:260 ; 4-byte Folded Spill
.LBB251_65:                             ;   in Loop: Header=BB251_11 Depth=1
	s_or_b32 exec_lo, exec_lo, s21
.LBB251_66:                             ;   in Loop: Header=BB251_11 Depth=1
	s_or_b32 exec_lo, exec_lo, s17
.LBB251_67:                             ;   in Loop: Header=BB251_11 Depth=1
	s_or_b32 exec_lo, exec_lo, s13
	s_mov_b32 s13, exec_lo
	v_cmpx_lt_u32_e32 0xffffff, v2
	s_cbranch_execz .LBB251_75
; %bb.68:                               ;   in Loop: Header=BB251_11 Depth=1
	v_mov_b32_e32 v108, v12
	v_cmp_ne_u32_sdwa s5, v2, v6 src0_sel:BYTE_3 src1_sel:DWORD
	buffer_store_dword v108, off, s[0:3], s32 offset:248 ; 4-byte Folded Spill
	buffer_store_dword v109, off, s[0:3], s32 offset:252 ; 4-byte Folded Spill
	s_and_saveexec_b32 s17, s5
	s_cbranch_execz .LBB251_74
; %bb.69:                               ;   in Loop: Header=BB251_11 Depth=1
	v_bfe_u32 v4, v2, 24, 7
	v_mov_b32_e32 v106, v12
	s_mov_b32 s21, exec_lo
	buffer_store_dword v106, off, s[0:3], s32 offset:248 ; 4-byte Folded Spill
	buffer_store_dword v107, off, s[0:3], s32 offset:252 ; 4-byte Folded Spill
	v_cmpx_ne_u32_e32 0x7f, v4
	s_cbranch_execz .LBB251_73
; %bb.70:                               ;   in Loop: Header=BB251_11 Depth=1
	v_mov_b32_e32 v0, 7
	v_lshrrev_b32_e32 v3, 3, v4
	s_mov_b32 s22, exec_lo
	v_and_b32_sdwa v11, v2, v0 dst_sel:DWORD dst_unused:UNUSED_PAD src0_sel:BYTE_3 src1_sel:DWORD
	v_cmpx_gt_u32_e32 8, v4
; %bb.71:                               ;   in Loop: Header=BB251_11 Depth=1
	v_ffbh_u32_e32 v3, v11
	v_min_u32_e32 v3, 32, v3
	v_subrev_nc_u32_e32 v4, 28, v3
	v_sub_nc_u32_e32 v3, 29, v3
	v_lshlrev_b64 v[4:5], v4, v[11:12]
	v_and_b32_e32 v11, 7, v4
; %bb.72:                               ;   in Loop: Header=BB251_11 Depth=1
	s_or_b32 exec_lo, exec_lo, s22
	v_mov_b32_e32 v0, 24
	v_lshlrev_b32_e32 v4, 20, v11
	v_lshl_add_u32 v3, v3, 23, 0x3c000000
	v_lshlrev_b32_sdwa v2, v0, v2 dst_sel:DWORD dst_unused:UNUSED_PAD src0_sel:DWORD src1_sel:BYTE_3
	v_mov_b32_e32 v0, v12
	v_and_b32_e32 v2, 0x80000000, v2
	v_or3_b32 v1, v4, v2, v3
	buffer_store_dword v0, off, s[0:3], s32 offset:248 ; 4-byte Folded Spill
	buffer_store_dword v1, off, s[0:3], s32 offset:252 ; 4-byte Folded Spill
.LBB251_73:                             ;   in Loop: Header=BB251_11 Depth=1
	s_or_b32 exec_lo, exec_lo, s21
.LBB251_74:                             ;   in Loop: Header=BB251_11 Depth=1
	s_or_b32 exec_lo, exec_lo, s17
.LBB251_75:                             ;   in Loop: Header=BB251_11 Depth=1
	s_or_b32 exec_lo, exec_lo, s13
	flat_load_dword v2, v[120:121] offset:8
	v_mov_b32_e32 v0, 0
	v_mov_b32_e32 v1, 0
	buffer_store_dword v0, off, s[0:3], s32 offset:272 ; 4-byte Folded Spill
	buffer_store_dword v1, off, s[0:3], s32 offset:276 ; 4-byte Folded Spill
	v_mov_b32_e32 v0, 0
	v_mov_b32_e32 v1, 0
	buffer_store_dword v0, off, s[0:3], s32 offset:264 ; 4-byte Folded Spill
	buffer_store_dword v1, off, s[0:3], s32 offset:268 ; 4-byte Folded Spill
	s_waitcnt vmcnt(0) lgkmcnt(0)
	v_cmp_ne_u16_sdwa s5, v2, v12 src0_sel:BYTE_0 src1_sel:DWORD
	s_and_saveexec_b32 s13, s5
	s_cbranch_execz .LBB251_83
; %bb.76:                               ;   in Loop: Header=BB251_11 Depth=1
	v_bfrev_b32_e32 v0, 1
	v_mov_b32_e32 v1, 0
	v_cmp_ne_u16_sdwa s5, v2, v6 src0_sel:BYTE_0 src1_sel:DWORD
	buffer_store_dword v0, off, s[0:3], s32 offset:264 ; 4-byte Folded Spill
	buffer_store_dword v1, off, s[0:3], s32 offset:268 ; 4-byte Folded Spill
	s_and_saveexec_b32 s17, s5
	s_cbranch_execz .LBB251_82
; %bb.77:                               ;   in Loop: Header=BB251_11 Depth=1
	v_mov_b32_e32 v0, 0x7f800001
	v_and_b32_e32 v4, 0x7f, v2
	v_mov_b32_e32 v1, 0
	s_mov_b32 s21, exec_lo
	buffer_store_dword v0, off, s[0:3], s32 offset:264 ; 4-byte Folded Spill
	buffer_store_dword v1, off, s[0:3], s32 offset:268 ; 4-byte Folded Spill
	v_cmpx_ne_u32_e32 0x7f, v4
	s_cbranch_execz .LBB251_81
; %bb.78:                               ;   in Loop: Header=BB251_11 Depth=1
	v_and_b32_e32 v11, 7, v2
	v_lshrrev_b32_e32 v3, 3, v4
	s_mov_b32 s22, exec_lo
	v_cmpx_gt_u32_e32 8, v4
; %bb.79:                               ;   in Loop: Header=BB251_11 Depth=1
	v_ffbh_u32_e32 v3, v11
	v_min_u32_e32 v3, 32, v3
	v_subrev_nc_u32_e32 v4, 28, v3
	v_sub_nc_u32_e32 v3, 29, v3
	v_lshlrev_b64 v[4:5], v4, v[11:12]
	v_and_b32_e32 v11, 7, v4
; %bb.80:                               ;   in Loop: Header=BB251_11 Depth=1
	s_or_b32 exec_lo, exec_lo, s22
	v_lshlrev_b32_e32 v4, 24, v2
	v_lshlrev_b32_e32 v5, 20, v11
	v_lshl_add_u32 v3, v3, 23, 0x3c000000
	v_and_b32_e32 v4, 0x80000000, v4
	v_or3_b32 v11, v5, v4, v3
	buffer_store_dword v11, off, s[0:3], s32 offset:264 ; 4-byte Folded Spill
	buffer_store_dword v12, off, s[0:3], s32 offset:268 ; 4-byte Folded Spill
.LBB251_81:                             ;   in Loop: Header=BB251_11 Depth=1
	s_or_b32 exec_lo, exec_lo, s21
.LBB251_82:                             ;   in Loop: Header=BB251_11 Depth=1
	s_or_b32 exec_lo, exec_lo, s17
.LBB251_83:                             ;   in Loop: Header=BB251_11 Depth=1
	s_or_b32 exec_lo, exec_lo, s13
	v_cmp_ne_u16_sdwa s5, v2, v12 src0_sel:BYTE_1 src1_sel:DWORD
	s_and_saveexec_b32 s13, s5
	s_cbranch_execz .LBB251_91
; %bb.84:                               ;   in Loop: Header=BB251_11 Depth=1
	v_mov_b32_e32 v108, v12
	v_cmp_ne_u16_sdwa s5, v2, v6 src0_sel:BYTE_1 src1_sel:DWORD
	buffer_store_dword v108, off, s[0:3], s32 offset:272 ; 4-byte Folded Spill
	buffer_store_dword v109, off, s[0:3], s32 offset:276 ; 4-byte Folded Spill
	s_and_saveexec_b32 s17, s5
	s_cbranch_execz .LBB251_90
; %bb.85:                               ;   in Loop: Header=BB251_11 Depth=1
	v_mov_b32_e32 v0, 0xffff
	v_mov_b32_e32 v106, v12
	s_mov_b32 s21, exec_lo
	buffer_store_dword v106, off, s[0:3], s32 offset:272 ; 4-byte Folded Spill
	buffer_store_dword v107, off, s[0:3], s32 offset:276 ; 4-byte Folded Spill
	v_and_b32_sdwa v3, v0, v2 dst_sel:DWORD dst_unused:UNUSED_PAD src0_sel:DWORD src1_sel:BYTE_1
	v_and_b32_e32 v4, 0x7f, v3
	v_cmpx_ne_u32_e32 0x7f, v4
	s_cbranch_execz .LBB251_89
; %bb.86:                               ;   in Loop: Header=BB251_11 Depth=1
	v_and_b32_e32 v11, 7, v3
	v_lshrrev_b32_e32 v3, 3, v4
	s_mov_b32 s22, exec_lo
	v_cmpx_gt_u32_e32 8, v4
; %bb.87:                               ;   in Loop: Header=BB251_11 Depth=1
	v_ffbh_u32_e32 v3, v11
	v_min_u32_e32 v3, 32, v3
	v_subrev_nc_u32_e32 v4, 28, v3
	v_sub_nc_u32_e32 v3, 29, v3
	v_lshlrev_b64 v[4:5], v4, v[11:12]
	v_and_b32_e32 v11, 7, v4
; %bb.88:                               ;   in Loop: Header=BB251_11 Depth=1
	s_or_b32 exec_lo, exec_lo, s22
	v_lshlrev_b32_e32 v4, 16, v2
	v_lshlrev_b32_e32 v5, 20, v11
	v_lshl_add_u32 v3, v3, 23, 0x3c000000
	v_mov_b32_e32 v0, v12
	v_and_b32_e32 v4, 0x80000000, v4
	v_or3_b32 v1, v5, v4, v3
	buffer_store_dword v0, off, s[0:3], s32 offset:272 ; 4-byte Folded Spill
	buffer_store_dword v1, off, s[0:3], s32 offset:276 ; 4-byte Folded Spill
.LBB251_89:                             ;   in Loop: Header=BB251_11 Depth=1
	s_or_b32 exec_lo, exec_lo, s21
.LBB251_90:                             ;   in Loop: Header=BB251_11 Depth=1
	s_or_b32 exec_lo, exec_lo, s17
.LBB251_91:                             ;   in Loop: Header=BB251_11 Depth=1
	s_or_b32 exec_lo, exec_lo, s13
	v_mov_b32_e32 v0, 0xff
	s_mov_b32 s13, exec_lo
	v_and_b32_sdwa v3, v2, v0 dst_sel:DWORD dst_unused:UNUSED_PAD src0_sel:WORD_1 src1_sel:DWORD
	v_mov_b32_e32 v0, 0
	v_mov_b32_e32 v1, 0
	buffer_store_dword v0, off, s[0:3], s32 offset:280 ; 4-byte Folded Spill
	buffer_store_dword v1, off, s[0:3], s32 offset:284 ; 4-byte Folded Spill
	v_mov_b32_e32 v0, 0
	v_mov_b32_e32 v1, 0
	buffer_store_dword v0, off, s[0:3], s32 offset:288 ; 4-byte Folded Spill
	buffer_store_dword v1, off, s[0:3], s32 offset:292 ; 4-byte Folded Spill
	v_cmpx_ne_u16_e32 0, v3
	s_cbranch_execz .LBB251_99
; %bb.92:                               ;   in Loop: Header=BB251_11 Depth=1
	v_bfrev_b32_e32 v0, 1
	v_mov_b32_e32 v1, 0
	s_mov_b32 s17, exec_lo
	buffer_store_dword v0, off, s[0:3], s32 offset:288 ; 4-byte Folded Spill
	buffer_store_dword v1, off, s[0:3], s32 offset:292 ; 4-byte Folded Spill
	v_cmpx_ne_u16_e32 0x80, v3
	s_cbranch_execz .LBB251_98
; %bb.93:                               ;   in Loop: Header=BB251_11 Depth=1
	v_mov_b32_e32 v0, 0x7f800001
	v_bfe_u32 v4, v2, 16, 7
	v_mov_b32_e32 v1, 0
	s_mov_b32 s21, exec_lo
	buffer_store_dword v0, off, s[0:3], s32 offset:288 ; 4-byte Folded Spill
	buffer_store_dword v1, off, s[0:3], s32 offset:292 ; 4-byte Folded Spill
	v_cmpx_ne_u32_e32 0x7f, v4
	s_cbranch_execz .LBB251_97
; %bb.94:                               ;   in Loop: Header=BB251_11 Depth=1
	v_mov_b32_e32 v0, 7
	v_lshrrev_b32_e32 v3, 3, v4
	s_mov_b32 s22, exec_lo
	v_and_b32_sdwa v11, v2, v0 dst_sel:DWORD dst_unused:UNUSED_PAD src0_sel:WORD_1 src1_sel:DWORD
	v_cmpx_gt_u32_e32 8, v4
; %bb.95:                               ;   in Loop: Header=BB251_11 Depth=1
	v_ffbh_u32_e32 v3, v11
	v_min_u32_e32 v3, 32, v3
	v_subrev_nc_u32_e32 v4, 28, v3
	v_sub_nc_u32_e32 v3, 29, v3
	v_lshlrev_b64 v[4:5], v4, v[11:12]
	v_and_b32_e32 v11, 7, v4
; %bb.96:                               ;   in Loop: Header=BB251_11 Depth=1
	s_or_b32 exec_lo, exec_lo, s22
	v_mov_b32_e32 v0, 24
	v_lshlrev_b32_e32 v5, 20, v11
	v_lshl_add_u32 v3, v3, 23, 0x3c000000
	v_lshlrev_b32_sdwa v4, v0, v2 dst_sel:DWORD dst_unused:UNUSED_PAD src0_sel:DWORD src1_sel:WORD_1
	v_and_b32_e32 v4, 0x80000000, v4
	v_or3_b32 v11, v5, v4, v3
	buffer_store_dword v11, off, s[0:3], s32 offset:288 ; 4-byte Folded Spill
	buffer_store_dword v12, off, s[0:3], s32 offset:292 ; 4-byte Folded Spill
.LBB251_97:                             ;   in Loop: Header=BB251_11 Depth=1
	s_or_b32 exec_lo, exec_lo, s21
.LBB251_98:                             ;   in Loop: Header=BB251_11 Depth=1
	s_or_b32 exec_lo, exec_lo, s17
.LBB251_99:                             ;   in Loop: Header=BB251_11 Depth=1
	s_or_b32 exec_lo, exec_lo, s13
	s_mov_b32 s13, exec_lo
	v_cmpx_lt_u32_e32 0xffffff, v2
	s_cbranch_execz .LBB251_107
; %bb.100:                              ;   in Loop: Header=BB251_11 Depth=1
	v_mov_b32_e32 v108, v12
	v_cmp_ne_u32_sdwa s5, v2, v6 src0_sel:BYTE_3 src1_sel:DWORD
	buffer_store_dword v108, off, s[0:3], s32 offset:280 ; 4-byte Folded Spill
	buffer_store_dword v109, off, s[0:3], s32 offset:284 ; 4-byte Folded Spill
	s_and_saveexec_b32 s17, s5
	s_cbranch_execz .LBB251_106
; %bb.101:                              ;   in Loop: Header=BB251_11 Depth=1
	v_bfe_u32 v4, v2, 24, 7
	v_mov_b32_e32 v106, v12
	s_mov_b32 s21, exec_lo
	buffer_store_dword v106, off, s[0:3], s32 offset:280 ; 4-byte Folded Spill
	buffer_store_dword v107, off, s[0:3], s32 offset:284 ; 4-byte Folded Spill
	v_cmpx_ne_u32_e32 0x7f, v4
	s_cbranch_execz .LBB251_105
; %bb.102:                              ;   in Loop: Header=BB251_11 Depth=1
	v_mov_b32_e32 v0, 7
	v_lshrrev_b32_e32 v3, 3, v4
	s_mov_b32 s22, exec_lo
	v_and_b32_sdwa v11, v2, v0 dst_sel:DWORD dst_unused:UNUSED_PAD src0_sel:BYTE_3 src1_sel:DWORD
	v_cmpx_gt_u32_e32 8, v4
; %bb.103:                              ;   in Loop: Header=BB251_11 Depth=1
	v_ffbh_u32_e32 v3, v11
	v_min_u32_e32 v3, 32, v3
	v_subrev_nc_u32_e32 v4, 28, v3
	v_sub_nc_u32_e32 v3, 29, v3
	v_lshlrev_b64 v[4:5], v4, v[11:12]
	v_and_b32_e32 v11, 7, v4
; %bb.104:                              ;   in Loop: Header=BB251_11 Depth=1
	s_or_b32 exec_lo, exec_lo, s22
	v_mov_b32_e32 v0, 24
	v_lshlrev_b32_e32 v4, 20, v11
	v_lshl_add_u32 v3, v3, 23, 0x3c000000
	v_lshlrev_b32_sdwa v2, v0, v2 dst_sel:DWORD dst_unused:UNUSED_PAD src0_sel:DWORD src1_sel:BYTE_3
	v_mov_b32_e32 v0, v12
	v_and_b32_e32 v2, 0x80000000, v2
	v_or3_b32 v1, v4, v2, v3
	buffer_store_dword v0, off, s[0:3], s32 offset:280 ; 4-byte Folded Spill
	buffer_store_dword v1, off, s[0:3], s32 offset:284 ; 4-byte Folded Spill
.LBB251_105:                            ;   in Loop: Header=BB251_11 Depth=1
	s_or_b32 exec_lo, exec_lo, s21
.LBB251_106:                            ;   in Loop: Header=BB251_11 Depth=1
	s_or_b32 exec_lo, exec_lo, s17
.LBB251_107:                            ;   in Loop: Header=BB251_11 Depth=1
	s_or_b32 exec_lo, exec_lo, s13
	flat_load_dword v2, v[120:121] offset:12
	v_mov_b32_e32 v0, 0
	v_mov_b32_e32 v1, 0
	buffer_store_dword v0, off, s[0:3], s32 offset:304 ; 4-byte Folded Spill
	buffer_store_dword v1, off, s[0:3], s32 offset:308 ; 4-byte Folded Spill
	v_mov_b32_e32 v0, 0
	v_mov_b32_e32 v1, 0
	buffer_store_dword v0, off, s[0:3], s32 offset:296 ; 4-byte Folded Spill
	buffer_store_dword v1, off, s[0:3], s32 offset:300 ; 4-byte Folded Spill
	s_waitcnt vmcnt(0) lgkmcnt(0)
	v_cmp_ne_u16_sdwa s5, v2, v12 src0_sel:BYTE_0 src1_sel:DWORD
	s_and_saveexec_b32 s13, s5
	s_cbranch_execz .LBB251_115
; %bb.108:                              ;   in Loop: Header=BB251_11 Depth=1
	v_bfrev_b32_e32 v0, 1
	v_mov_b32_e32 v1, 0
	v_cmp_ne_u16_sdwa s5, v2, v6 src0_sel:BYTE_0 src1_sel:DWORD
	buffer_store_dword v0, off, s[0:3], s32 offset:296 ; 4-byte Folded Spill
	buffer_store_dword v1, off, s[0:3], s32 offset:300 ; 4-byte Folded Spill
	s_and_saveexec_b32 s17, s5
	s_cbranch_execz .LBB251_114
; %bb.109:                              ;   in Loop: Header=BB251_11 Depth=1
	v_mov_b32_e32 v0, 0x7f800001
	v_and_b32_e32 v4, 0x7f, v2
	v_mov_b32_e32 v1, 0
	s_mov_b32 s21, exec_lo
	buffer_store_dword v0, off, s[0:3], s32 offset:296 ; 4-byte Folded Spill
	buffer_store_dword v1, off, s[0:3], s32 offset:300 ; 4-byte Folded Spill
	v_cmpx_ne_u32_e32 0x7f, v4
	s_cbranch_execz .LBB251_113
; %bb.110:                              ;   in Loop: Header=BB251_11 Depth=1
	v_and_b32_e32 v11, 7, v2
	v_lshrrev_b32_e32 v3, 3, v4
	s_mov_b32 s22, exec_lo
	v_cmpx_gt_u32_e32 8, v4
; %bb.111:                              ;   in Loop: Header=BB251_11 Depth=1
	v_ffbh_u32_e32 v3, v11
	v_min_u32_e32 v3, 32, v3
	v_subrev_nc_u32_e32 v4, 28, v3
	v_sub_nc_u32_e32 v3, 29, v3
	v_lshlrev_b64 v[4:5], v4, v[11:12]
	v_and_b32_e32 v11, 7, v4
; %bb.112:                              ;   in Loop: Header=BB251_11 Depth=1
	s_or_b32 exec_lo, exec_lo, s22
	v_lshlrev_b32_e32 v4, 24, v2
	v_lshlrev_b32_e32 v5, 20, v11
	v_lshl_add_u32 v3, v3, 23, 0x3c000000
	v_and_b32_e32 v4, 0x80000000, v4
	v_or3_b32 v11, v5, v4, v3
	buffer_store_dword v11, off, s[0:3], s32 offset:296 ; 4-byte Folded Spill
	buffer_store_dword v12, off, s[0:3], s32 offset:300 ; 4-byte Folded Spill
.LBB251_113:                            ;   in Loop: Header=BB251_11 Depth=1
	s_or_b32 exec_lo, exec_lo, s21
.LBB251_114:                            ;   in Loop: Header=BB251_11 Depth=1
	s_or_b32 exec_lo, exec_lo, s17
.LBB251_115:                            ;   in Loop: Header=BB251_11 Depth=1
	s_or_b32 exec_lo, exec_lo, s13
	v_cmp_ne_u16_sdwa s5, v2, v12 src0_sel:BYTE_1 src1_sel:DWORD
	s_and_saveexec_b32 s13, s5
	s_cbranch_execz .LBB251_123
; %bb.116:                              ;   in Loop: Header=BB251_11 Depth=1
	v_mov_b32_e32 v108, v12
	v_cmp_ne_u16_sdwa s5, v2, v6 src0_sel:BYTE_1 src1_sel:DWORD
	buffer_store_dword v108, off, s[0:3], s32 offset:304 ; 4-byte Folded Spill
	buffer_store_dword v109, off, s[0:3], s32 offset:308 ; 4-byte Folded Spill
	s_and_saveexec_b32 s17, s5
	s_cbranch_execz .LBB251_122
; %bb.117:                              ;   in Loop: Header=BB251_11 Depth=1
	v_mov_b32_e32 v0, 0xffff
	v_mov_b32_e32 v106, v12
	s_mov_b32 s21, exec_lo
	buffer_store_dword v106, off, s[0:3], s32 offset:304 ; 4-byte Folded Spill
	buffer_store_dword v107, off, s[0:3], s32 offset:308 ; 4-byte Folded Spill
	v_and_b32_sdwa v3, v0, v2 dst_sel:DWORD dst_unused:UNUSED_PAD src0_sel:DWORD src1_sel:BYTE_1
	v_and_b32_e32 v4, 0x7f, v3
	v_cmpx_ne_u32_e32 0x7f, v4
	s_cbranch_execz .LBB251_121
; %bb.118:                              ;   in Loop: Header=BB251_11 Depth=1
	v_and_b32_e32 v11, 7, v3
	v_lshrrev_b32_e32 v3, 3, v4
	s_mov_b32 s22, exec_lo
	v_cmpx_gt_u32_e32 8, v4
; %bb.119:                              ;   in Loop: Header=BB251_11 Depth=1
	v_ffbh_u32_e32 v3, v11
	v_min_u32_e32 v3, 32, v3
	v_subrev_nc_u32_e32 v4, 28, v3
	v_sub_nc_u32_e32 v3, 29, v3
	v_lshlrev_b64 v[4:5], v4, v[11:12]
	v_and_b32_e32 v11, 7, v4
; %bb.120:                              ;   in Loop: Header=BB251_11 Depth=1
	s_or_b32 exec_lo, exec_lo, s22
	v_lshlrev_b32_e32 v4, 16, v2
	v_lshlrev_b32_e32 v5, 20, v11
	v_lshl_add_u32 v3, v3, 23, 0x3c000000
	v_mov_b32_e32 v0, v12
	v_and_b32_e32 v4, 0x80000000, v4
	v_or3_b32 v1, v5, v4, v3
	buffer_store_dword v0, off, s[0:3], s32 offset:304 ; 4-byte Folded Spill
	buffer_store_dword v1, off, s[0:3], s32 offset:308 ; 4-byte Folded Spill
.LBB251_121:                            ;   in Loop: Header=BB251_11 Depth=1
	s_or_b32 exec_lo, exec_lo, s21
.LBB251_122:                            ;   in Loop: Header=BB251_11 Depth=1
	s_or_b32 exec_lo, exec_lo, s17
.LBB251_123:                            ;   in Loop: Header=BB251_11 Depth=1
	s_or_b32 exec_lo, exec_lo, s13
	v_mov_b32_e32 v0, 0xff
	s_mov_b32 s13, exec_lo
	v_and_b32_sdwa v3, v2, v0 dst_sel:DWORD dst_unused:UNUSED_PAD src0_sel:WORD_1 src1_sel:DWORD
	v_mov_b32_e32 v0, 0
	v_mov_b32_e32 v1, 0
	buffer_store_dword v0, off, s[0:3], s32 offset:312 ; 4-byte Folded Spill
	buffer_store_dword v1, off, s[0:3], s32 offset:316 ; 4-byte Folded Spill
	v_mov_b32_e32 v0, 0
	v_mov_b32_e32 v1, 0
	buffer_store_dword v0, off, s[0:3], s32 offset:320 ; 4-byte Folded Spill
	buffer_store_dword v1, off, s[0:3], s32 offset:324 ; 4-byte Folded Spill
	v_cmpx_ne_u16_e32 0, v3
	s_cbranch_execz .LBB251_131
; %bb.124:                              ;   in Loop: Header=BB251_11 Depth=1
	v_bfrev_b32_e32 v0, 1
	v_mov_b32_e32 v1, 0
	s_mov_b32 s17, exec_lo
	buffer_store_dword v0, off, s[0:3], s32 offset:320 ; 4-byte Folded Spill
	buffer_store_dword v1, off, s[0:3], s32 offset:324 ; 4-byte Folded Spill
	v_cmpx_ne_u16_e32 0x80, v3
	s_cbranch_execz .LBB251_130
; %bb.125:                              ;   in Loop: Header=BB251_11 Depth=1
	v_mov_b32_e32 v0, 0x7f800001
	v_bfe_u32 v4, v2, 16, 7
	v_mov_b32_e32 v1, 0
	s_mov_b32 s21, exec_lo
	buffer_store_dword v0, off, s[0:3], s32 offset:320 ; 4-byte Folded Spill
	buffer_store_dword v1, off, s[0:3], s32 offset:324 ; 4-byte Folded Spill
	v_cmpx_ne_u32_e32 0x7f, v4
	s_cbranch_execz .LBB251_129
; %bb.126:                              ;   in Loop: Header=BB251_11 Depth=1
	v_mov_b32_e32 v0, 7
	v_lshrrev_b32_e32 v3, 3, v4
	s_mov_b32 s22, exec_lo
	v_and_b32_sdwa v11, v2, v0 dst_sel:DWORD dst_unused:UNUSED_PAD src0_sel:WORD_1 src1_sel:DWORD
	v_cmpx_gt_u32_e32 8, v4
; %bb.127:                              ;   in Loop: Header=BB251_11 Depth=1
	v_ffbh_u32_e32 v3, v11
	v_min_u32_e32 v3, 32, v3
	v_subrev_nc_u32_e32 v4, 28, v3
	v_sub_nc_u32_e32 v3, 29, v3
	v_lshlrev_b64 v[4:5], v4, v[11:12]
	v_and_b32_e32 v11, 7, v4
; %bb.128:                              ;   in Loop: Header=BB251_11 Depth=1
	s_or_b32 exec_lo, exec_lo, s22
	v_mov_b32_e32 v0, 24
	v_lshlrev_b32_e32 v5, 20, v11
	v_lshl_add_u32 v3, v3, 23, 0x3c000000
	v_lshlrev_b32_sdwa v4, v0, v2 dst_sel:DWORD dst_unused:UNUSED_PAD src0_sel:DWORD src1_sel:WORD_1
	v_and_b32_e32 v4, 0x80000000, v4
	v_or3_b32 v11, v5, v4, v3
	buffer_store_dword v11, off, s[0:3], s32 offset:320 ; 4-byte Folded Spill
	buffer_store_dword v12, off, s[0:3], s32 offset:324 ; 4-byte Folded Spill
.LBB251_129:                            ;   in Loop: Header=BB251_11 Depth=1
	s_or_b32 exec_lo, exec_lo, s21
.LBB251_130:                            ;   in Loop: Header=BB251_11 Depth=1
	s_or_b32 exec_lo, exec_lo, s17
.LBB251_131:                            ;   in Loop: Header=BB251_11 Depth=1
	s_or_b32 exec_lo, exec_lo, s13
	s_mov_b32 s13, exec_lo
	v_cmpx_lt_u32_e32 0xffffff, v2
	s_cbranch_execz .LBB251_139
; %bb.132:                              ;   in Loop: Header=BB251_11 Depth=1
	v_mov_b32_e32 v108, v12
	v_cmp_ne_u32_sdwa s5, v2, v6 src0_sel:BYTE_3 src1_sel:DWORD
	buffer_store_dword v108, off, s[0:3], s32 offset:312 ; 4-byte Folded Spill
	buffer_store_dword v109, off, s[0:3], s32 offset:316 ; 4-byte Folded Spill
	s_and_saveexec_b32 s17, s5
	s_cbranch_execz .LBB251_138
; %bb.133:                              ;   in Loop: Header=BB251_11 Depth=1
	v_bfe_u32 v4, v2, 24, 7
	v_mov_b32_e32 v106, v12
	s_mov_b32 s21, exec_lo
	buffer_store_dword v106, off, s[0:3], s32 offset:312 ; 4-byte Folded Spill
	buffer_store_dword v107, off, s[0:3], s32 offset:316 ; 4-byte Folded Spill
	v_cmpx_ne_u32_e32 0x7f, v4
	s_cbranch_execz .LBB251_137
; %bb.134:                              ;   in Loop: Header=BB251_11 Depth=1
	v_mov_b32_e32 v0, 7
	v_lshrrev_b32_e32 v3, 3, v4
	s_mov_b32 s22, exec_lo
	v_and_b32_sdwa v11, v2, v0 dst_sel:DWORD dst_unused:UNUSED_PAD src0_sel:BYTE_3 src1_sel:DWORD
	v_cmpx_gt_u32_e32 8, v4
; %bb.135:                              ;   in Loop: Header=BB251_11 Depth=1
	v_ffbh_u32_e32 v3, v11
	v_min_u32_e32 v3, 32, v3
	v_subrev_nc_u32_e32 v4, 28, v3
	v_sub_nc_u32_e32 v3, 29, v3
	v_lshlrev_b64 v[4:5], v4, v[11:12]
	v_and_b32_e32 v11, 7, v4
; %bb.136:                              ;   in Loop: Header=BB251_11 Depth=1
	s_or_b32 exec_lo, exec_lo, s22
	v_mov_b32_e32 v0, 24
	v_lshlrev_b32_e32 v4, 20, v11
	v_lshl_add_u32 v3, v3, 23, 0x3c000000
	v_lshlrev_b32_sdwa v2, v0, v2 dst_sel:DWORD dst_unused:UNUSED_PAD src0_sel:DWORD src1_sel:BYTE_3
	v_mov_b32_e32 v0, v12
	v_and_b32_e32 v2, 0x80000000, v2
	v_or3_b32 v1, v4, v2, v3
	buffer_store_dword v0, off, s[0:3], s32 offset:312 ; 4-byte Folded Spill
	buffer_store_dword v1, off, s[0:3], s32 offset:316 ; 4-byte Folded Spill
.LBB251_137:                            ;   in Loop: Header=BB251_11 Depth=1
	s_or_b32 exec_lo, exec_lo, s21
.LBB251_138:                            ;   in Loop: Header=BB251_11 Depth=1
	s_or_b32 exec_lo, exec_lo, s17
.LBB251_139:                            ;   in Loop: Header=BB251_11 Depth=1
	s_or_b32 exec_lo, exec_lo, s13
	flat_load_dword v2, v[120:121] offset:512
	v_mov_b32_e32 v0, 0
	v_mov_b32_e32 v1, 0
	buffer_store_dword v0, off, s[0:3], s32 offset:336 ; 4-byte Folded Spill
	buffer_store_dword v1, off, s[0:3], s32 offset:340 ; 4-byte Folded Spill
	v_mov_b32_e32 v0, 0
	v_mov_b32_e32 v1, 0
	buffer_store_dword v0, off, s[0:3], s32 offset:328 ; 4-byte Folded Spill
	buffer_store_dword v1, off, s[0:3], s32 offset:332 ; 4-byte Folded Spill
	s_waitcnt vmcnt(0) lgkmcnt(0)
	v_cmp_ne_u16_sdwa s5, v2, v12 src0_sel:BYTE_0 src1_sel:DWORD
	s_and_saveexec_b32 s13, s5
	s_cbranch_execz .LBB251_147
; %bb.140:                              ;   in Loop: Header=BB251_11 Depth=1
	v_bfrev_b32_e32 v0, 1
	v_mov_b32_e32 v1, 0
	v_cmp_ne_u16_sdwa s5, v2, v6 src0_sel:BYTE_0 src1_sel:DWORD
	buffer_store_dword v0, off, s[0:3], s32 offset:328 ; 4-byte Folded Spill
	buffer_store_dword v1, off, s[0:3], s32 offset:332 ; 4-byte Folded Spill
	s_and_saveexec_b32 s17, s5
	s_cbranch_execz .LBB251_146
; %bb.141:                              ;   in Loop: Header=BB251_11 Depth=1
	v_mov_b32_e32 v0, 0x7f800001
	v_and_b32_e32 v4, 0x7f, v2
	v_mov_b32_e32 v1, 0
	s_mov_b32 s21, exec_lo
	buffer_store_dword v0, off, s[0:3], s32 offset:328 ; 4-byte Folded Spill
	buffer_store_dword v1, off, s[0:3], s32 offset:332 ; 4-byte Folded Spill
	v_cmpx_ne_u32_e32 0x7f, v4
	s_cbranch_execz .LBB251_145
; %bb.142:                              ;   in Loop: Header=BB251_11 Depth=1
	v_and_b32_e32 v11, 7, v2
	v_lshrrev_b32_e32 v3, 3, v4
	s_mov_b32 s22, exec_lo
	v_cmpx_gt_u32_e32 8, v4
; %bb.143:                              ;   in Loop: Header=BB251_11 Depth=1
	v_ffbh_u32_e32 v3, v11
	v_min_u32_e32 v3, 32, v3
	v_subrev_nc_u32_e32 v4, 28, v3
	v_sub_nc_u32_e32 v3, 29, v3
	v_lshlrev_b64 v[4:5], v4, v[11:12]
	v_and_b32_e32 v11, 7, v4
; %bb.144:                              ;   in Loop: Header=BB251_11 Depth=1
	s_or_b32 exec_lo, exec_lo, s22
	v_lshlrev_b32_e32 v4, 24, v2
	v_lshlrev_b32_e32 v5, 20, v11
	v_lshl_add_u32 v3, v3, 23, 0x3c000000
	v_and_b32_e32 v4, 0x80000000, v4
	v_or3_b32 v11, v5, v4, v3
	buffer_store_dword v11, off, s[0:3], s32 offset:328 ; 4-byte Folded Spill
	buffer_store_dword v12, off, s[0:3], s32 offset:332 ; 4-byte Folded Spill
.LBB251_145:                            ;   in Loop: Header=BB251_11 Depth=1
	s_or_b32 exec_lo, exec_lo, s21
.LBB251_146:                            ;   in Loop: Header=BB251_11 Depth=1
	s_or_b32 exec_lo, exec_lo, s17
.LBB251_147:                            ;   in Loop: Header=BB251_11 Depth=1
	s_or_b32 exec_lo, exec_lo, s13
	v_cmp_ne_u16_sdwa s5, v2, v12 src0_sel:BYTE_1 src1_sel:DWORD
	s_and_saveexec_b32 s13, s5
	s_cbranch_execz .LBB251_155
; %bb.148:                              ;   in Loop: Header=BB251_11 Depth=1
	v_mov_b32_e32 v108, v12
	v_cmp_ne_u16_sdwa s5, v2, v6 src0_sel:BYTE_1 src1_sel:DWORD
	buffer_store_dword v108, off, s[0:3], s32 offset:336 ; 4-byte Folded Spill
	buffer_store_dword v109, off, s[0:3], s32 offset:340 ; 4-byte Folded Spill
	s_and_saveexec_b32 s17, s5
	s_cbranch_execz .LBB251_154
; %bb.149:                              ;   in Loop: Header=BB251_11 Depth=1
	v_mov_b32_e32 v0, 0xffff
	v_mov_b32_e32 v106, v12
	s_mov_b32 s21, exec_lo
	buffer_store_dword v106, off, s[0:3], s32 offset:336 ; 4-byte Folded Spill
	buffer_store_dword v107, off, s[0:3], s32 offset:340 ; 4-byte Folded Spill
	v_and_b32_sdwa v3, v0, v2 dst_sel:DWORD dst_unused:UNUSED_PAD src0_sel:DWORD src1_sel:BYTE_1
	v_and_b32_e32 v4, 0x7f, v3
	v_cmpx_ne_u32_e32 0x7f, v4
	s_cbranch_execz .LBB251_153
; %bb.150:                              ;   in Loop: Header=BB251_11 Depth=1
	v_and_b32_e32 v11, 7, v3
	v_lshrrev_b32_e32 v3, 3, v4
	s_mov_b32 s22, exec_lo
	v_cmpx_gt_u32_e32 8, v4
; %bb.151:                              ;   in Loop: Header=BB251_11 Depth=1
	v_ffbh_u32_e32 v3, v11
	v_min_u32_e32 v3, 32, v3
	v_subrev_nc_u32_e32 v4, 28, v3
	v_sub_nc_u32_e32 v3, 29, v3
	v_lshlrev_b64 v[4:5], v4, v[11:12]
	v_and_b32_e32 v11, 7, v4
; %bb.152:                              ;   in Loop: Header=BB251_11 Depth=1
	s_or_b32 exec_lo, exec_lo, s22
	v_lshlrev_b32_e32 v4, 16, v2
	v_lshlrev_b32_e32 v5, 20, v11
	v_lshl_add_u32 v3, v3, 23, 0x3c000000
	v_mov_b32_e32 v0, v12
	v_and_b32_e32 v4, 0x80000000, v4
	v_or3_b32 v1, v5, v4, v3
	buffer_store_dword v0, off, s[0:3], s32 offset:336 ; 4-byte Folded Spill
	buffer_store_dword v1, off, s[0:3], s32 offset:340 ; 4-byte Folded Spill
.LBB251_153:                            ;   in Loop: Header=BB251_11 Depth=1
	s_or_b32 exec_lo, exec_lo, s21
.LBB251_154:                            ;   in Loop: Header=BB251_11 Depth=1
	s_or_b32 exec_lo, exec_lo, s17
.LBB251_155:                            ;   in Loop: Header=BB251_11 Depth=1
	s_or_b32 exec_lo, exec_lo, s13
	v_mov_b32_e32 v0, 0xff
	s_mov_b32 s13, exec_lo
	v_and_b32_sdwa v3, v2, v0 dst_sel:DWORD dst_unused:UNUSED_PAD src0_sel:WORD_1 src1_sel:DWORD
	v_mov_b32_e32 v0, 0
	v_mov_b32_e32 v1, 0
	buffer_store_dword v0, off, s[0:3], s32 offset:344 ; 4-byte Folded Spill
	buffer_store_dword v1, off, s[0:3], s32 offset:348 ; 4-byte Folded Spill
	v_mov_b32_e32 v0, 0
	v_mov_b32_e32 v1, 0
	buffer_store_dword v0, off, s[0:3], s32 offset:352 ; 4-byte Folded Spill
	buffer_store_dword v1, off, s[0:3], s32 offset:356 ; 4-byte Folded Spill
	v_cmpx_ne_u16_e32 0, v3
	s_cbranch_execz .LBB251_163
; %bb.156:                              ;   in Loop: Header=BB251_11 Depth=1
	v_bfrev_b32_e32 v0, 1
	v_mov_b32_e32 v1, 0
	s_mov_b32 s17, exec_lo
	buffer_store_dword v0, off, s[0:3], s32 offset:352 ; 4-byte Folded Spill
	buffer_store_dword v1, off, s[0:3], s32 offset:356 ; 4-byte Folded Spill
	v_cmpx_ne_u16_e32 0x80, v3
	s_cbranch_execz .LBB251_162
; %bb.157:                              ;   in Loop: Header=BB251_11 Depth=1
	v_mov_b32_e32 v0, 0x7f800001
	v_bfe_u32 v4, v2, 16, 7
	v_mov_b32_e32 v1, 0
	s_mov_b32 s21, exec_lo
	buffer_store_dword v0, off, s[0:3], s32 offset:352 ; 4-byte Folded Spill
	buffer_store_dword v1, off, s[0:3], s32 offset:356 ; 4-byte Folded Spill
	v_cmpx_ne_u32_e32 0x7f, v4
	s_cbranch_execz .LBB251_161
; %bb.158:                              ;   in Loop: Header=BB251_11 Depth=1
	v_mov_b32_e32 v0, 7
	v_lshrrev_b32_e32 v3, 3, v4
	s_mov_b32 s22, exec_lo
	v_and_b32_sdwa v11, v2, v0 dst_sel:DWORD dst_unused:UNUSED_PAD src0_sel:WORD_1 src1_sel:DWORD
	v_cmpx_gt_u32_e32 8, v4
; %bb.159:                              ;   in Loop: Header=BB251_11 Depth=1
	v_ffbh_u32_e32 v3, v11
	v_min_u32_e32 v3, 32, v3
	v_subrev_nc_u32_e32 v4, 28, v3
	v_sub_nc_u32_e32 v3, 29, v3
	v_lshlrev_b64 v[4:5], v4, v[11:12]
	v_and_b32_e32 v11, 7, v4
; %bb.160:                              ;   in Loop: Header=BB251_11 Depth=1
	s_or_b32 exec_lo, exec_lo, s22
	v_mov_b32_e32 v0, 24
	v_lshlrev_b32_e32 v5, 20, v11
	v_lshl_add_u32 v3, v3, 23, 0x3c000000
	v_lshlrev_b32_sdwa v4, v0, v2 dst_sel:DWORD dst_unused:UNUSED_PAD src0_sel:DWORD src1_sel:WORD_1
	v_and_b32_e32 v4, 0x80000000, v4
	v_or3_b32 v11, v5, v4, v3
	buffer_store_dword v11, off, s[0:3], s32 offset:352 ; 4-byte Folded Spill
	buffer_store_dword v12, off, s[0:3], s32 offset:356 ; 4-byte Folded Spill
.LBB251_161:                            ;   in Loop: Header=BB251_11 Depth=1
	s_or_b32 exec_lo, exec_lo, s21
.LBB251_162:                            ;   in Loop: Header=BB251_11 Depth=1
	s_or_b32 exec_lo, exec_lo, s17
.LBB251_163:                            ;   in Loop: Header=BB251_11 Depth=1
	s_or_b32 exec_lo, exec_lo, s13
	s_mov_b32 s13, exec_lo
	v_cmpx_lt_u32_e32 0xffffff, v2
	s_cbranch_execz .LBB251_171
; %bb.164:                              ;   in Loop: Header=BB251_11 Depth=1
	v_mov_b32_e32 v108, v12
	v_cmp_ne_u32_sdwa s5, v2, v6 src0_sel:BYTE_3 src1_sel:DWORD
	buffer_store_dword v108, off, s[0:3], s32 offset:344 ; 4-byte Folded Spill
	buffer_store_dword v109, off, s[0:3], s32 offset:348 ; 4-byte Folded Spill
	s_and_saveexec_b32 s17, s5
	s_cbranch_execz .LBB251_170
; %bb.165:                              ;   in Loop: Header=BB251_11 Depth=1
	v_bfe_u32 v4, v2, 24, 7
	v_mov_b32_e32 v106, v12
	s_mov_b32 s21, exec_lo
	buffer_store_dword v106, off, s[0:3], s32 offset:344 ; 4-byte Folded Spill
	buffer_store_dword v107, off, s[0:3], s32 offset:348 ; 4-byte Folded Spill
	v_cmpx_ne_u32_e32 0x7f, v4
	s_cbranch_execz .LBB251_169
; %bb.166:                              ;   in Loop: Header=BB251_11 Depth=1
	v_mov_b32_e32 v0, 7
	v_lshrrev_b32_e32 v3, 3, v4
	s_mov_b32 s22, exec_lo
	v_and_b32_sdwa v11, v2, v0 dst_sel:DWORD dst_unused:UNUSED_PAD src0_sel:BYTE_3 src1_sel:DWORD
	v_cmpx_gt_u32_e32 8, v4
; %bb.167:                              ;   in Loop: Header=BB251_11 Depth=1
	v_ffbh_u32_e32 v3, v11
	v_min_u32_e32 v3, 32, v3
	v_subrev_nc_u32_e32 v4, 28, v3
	v_sub_nc_u32_e32 v3, 29, v3
	v_lshlrev_b64 v[4:5], v4, v[11:12]
	v_and_b32_e32 v11, 7, v4
; %bb.168:                              ;   in Loop: Header=BB251_11 Depth=1
	s_or_b32 exec_lo, exec_lo, s22
	v_mov_b32_e32 v0, 24
	v_lshlrev_b32_e32 v4, 20, v11
	v_lshl_add_u32 v3, v3, 23, 0x3c000000
	v_lshlrev_b32_sdwa v2, v0, v2 dst_sel:DWORD dst_unused:UNUSED_PAD src0_sel:DWORD src1_sel:BYTE_3
	v_mov_b32_e32 v0, v12
	v_and_b32_e32 v2, 0x80000000, v2
	v_or3_b32 v1, v4, v2, v3
	buffer_store_dword v0, off, s[0:3], s32 offset:344 ; 4-byte Folded Spill
	buffer_store_dword v1, off, s[0:3], s32 offset:348 ; 4-byte Folded Spill
.LBB251_169:                            ;   in Loop: Header=BB251_11 Depth=1
	s_or_b32 exec_lo, exec_lo, s21
.LBB251_170:                            ;   in Loop: Header=BB251_11 Depth=1
	s_or_b32 exec_lo, exec_lo, s17
.LBB251_171:                            ;   in Loop: Header=BB251_11 Depth=1
	s_or_b32 exec_lo, exec_lo, s13
	flat_load_dword v2, v[120:121] offset:516
	v_mov_b32_e32 v0, 0
	v_mov_b32_e32 v1, 0
	buffer_store_dword v0, off, s[0:3], s32 offset:368 ; 4-byte Folded Spill
	buffer_store_dword v1, off, s[0:3], s32 offset:372 ; 4-byte Folded Spill
	v_mov_b32_e32 v0, 0
	v_mov_b32_e32 v1, 0
	buffer_store_dword v0, off, s[0:3], s32 offset:360 ; 4-byte Folded Spill
	buffer_store_dword v1, off, s[0:3], s32 offset:364 ; 4-byte Folded Spill
	s_waitcnt vmcnt(0) lgkmcnt(0)
	v_cmp_ne_u16_sdwa s5, v2, v12 src0_sel:BYTE_0 src1_sel:DWORD
	s_and_saveexec_b32 s13, s5
	s_cbranch_execz .LBB251_179
; %bb.172:                              ;   in Loop: Header=BB251_11 Depth=1
	v_bfrev_b32_e32 v0, 1
	v_mov_b32_e32 v1, 0
	v_cmp_ne_u16_sdwa s5, v2, v6 src0_sel:BYTE_0 src1_sel:DWORD
	buffer_store_dword v0, off, s[0:3], s32 offset:360 ; 4-byte Folded Spill
	buffer_store_dword v1, off, s[0:3], s32 offset:364 ; 4-byte Folded Spill
	s_and_saveexec_b32 s17, s5
	s_cbranch_execz .LBB251_178
; %bb.173:                              ;   in Loop: Header=BB251_11 Depth=1
	v_mov_b32_e32 v0, 0x7f800001
	v_and_b32_e32 v4, 0x7f, v2
	v_mov_b32_e32 v1, 0
	s_mov_b32 s21, exec_lo
	buffer_store_dword v0, off, s[0:3], s32 offset:360 ; 4-byte Folded Spill
	buffer_store_dword v1, off, s[0:3], s32 offset:364 ; 4-byte Folded Spill
	v_cmpx_ne_u32_e32 0x7f, v4
	s_cbranch_execz .LBB251_177
; %bb.174:                              ;   in Loop: Header=BB251_11 Depth=1
	v_and_b32_e32 v11, 7, v2
	v_lshrrev_b32_e32 v3, 3, v4
	s_mov_b32 s22, exec_lo
	v_cmpx_gt_u32_e32 8, v4
; %bb.175:                              ;   in Loop: Header=BB251_11 Depth=1
	v_ffbh_u32_e32 v3, v11
	v_min_u32_e32 v3, 32, v3
	v_subrev_nc_u32_e32 v4, 28, v3
	v_sub_nc_u32_e32 v3, 29, v3
	v_lshlrev_b64 v[4:5], v4, v[11:12]
	v_and_b32_e32 v11, 7, v4
; %bb.176:                              ;   in Loop: Header=BB251_11 Depth=1
	s_or_b32 exec_lo, exec_lo, s22
	v_lshlrev_b32_e32 v4, 24, v2
	v_lshlrev_b32_e32 v5, 20, v11
	v_lshl_add_u32 v3, v3, 23, 0x3c000000
	v_and_b32_e32 v4, 0x80000000, v4
	v_or3_b32 v11, v5, v4, v3
	buffer_store_dword v11, off, s[0:3], s32 offset:360 ; 4-byte Folded Spill
	buffer_store_dword v12, off, s[0:3], s32 offset:364 ; 4-byte Folded Spill
.LBB251_177:                            ;   in Loop: Header=BB251_11 Depth=1
	s_or_b32 exec_lo, exec_lo, s21
.LBB251_178:                            ;   in Loop: Header=BB251_11 Depth=1
	s_or_b32 exec_lo, exec_lo, s17
.LBB251_179:                            ;   in Loop: Header=BB251_11 Depth=1
	s_or_b32 exec_lo, exec_lo, s13
	v_cmp_ne_u16_sdwa s5, v2, v12 src0_sel:BYTE_1 src1_sel:DWORD
	s_and_saveexec_b32 s13, s5
	s_cbranch_execz .LBB251_187
; %bb.180:                              ;   in Loop: Header=BB251_11 Depth=1
	v_mov_b32_e32 v108, v12
	v_cmp_ne_u16_sdwa s5, v2, v6 src0_sel:BYTE_1 src1_sel:DWORD
	buffer_store_dword v108, off, s[0:3], s32 offset:368 ; 4-byte Folded Spill
	buffer_store_dword v109, off, s[0:3], s32 offset:372 ; 4-byte Folded Spill
	s_and_saveexec_b32 s17, s5
	s_cbranch_execz .LBB251_186
; %bb.181:                              ;   in Loop: Header=BB251_11 Depth=1
	v_mov_b32_e32 v0, 0xffff
	v_mov_b32_e32 v106, v12
	s_mov_b32 s21, exec_lo
	buffer_store_dword v106, off, s[0:3], s32 offset:368 ; 4-byte Folded Spill
	buffer_store_dword v107, off, s[0:3], s32 offset:372 ; 4-byte Folded Spill
	v_and_b32_sdwa v3, v0, v2 dst_sel:DWORD dst_unused:UNUSED_PAD src0_sel:DWORD src1_sel:BYTE_1
	v_and_b32_e32 v4, 0x7f, v3
	v_cmpx_ne_u32_e32 0x7f, v4
	s_cbranch_execz .LBB251_185
; %bb.182:                              ;   in Loop: Header=BB251_11 Depth=1
	v_and_b32_e32 v11, 7, v3
	v_lshrrev_b32_e32 v3, 3, v4
	s_mov_b32 s22, exec_lo
	v_cmpx_gt_u32_e32 8, v4
; %bb.183:                              ;   in Loop: Header=BB251_11 Depth=1
	v_ffbh_u32_e32 v3, v11
	v_min_u32_e32 v3, 32, v3
	v_subrev_nc_u32_e32 v4, 28, v3
	v_sub_nc_u32_e32 v3, 29, v3
	v_lshlrev_b64 v[4:5], v4, v[11:12]
	v_and_b32_e32 v11, 7, v4
; %bb.184:                              ;   in Loop: Header=BB251_11 Depth=1
	s_or_b32 exec_lo, exec_lo, s22
	v_lshlrev_b32_e32 v4, 16, v2
	v_lshlrev_b32_e32 v5, 20, v11
	v_lshl_add_u32 v3, v3, 23, 0x3c000000
	v_mov_b32_e32 v0, v12
	v_and_b32_e32 v4, 0x80000000, v4
	v_or3_b32 v1, v5, v4, v3
	buffer_store_dword v0, off, s[0:3], s32 offset:368 ; 4-byte Folded Spill
	buffer_store_dword v1, off, s[0:3], s32 offset:372 ; 4-byte Folded Spill
.LBB251_185:                            ;   in Loop: Header=BB251_11 Depth=1
	s_or_b32 exec_lo, exec_lo, s21
.LBB251_186:                            ;   in Loop: Header=BB251_11 Depth=1
	s_or_b32 exec_lo, exec_lo, s17
.LBB251_187:                            ;   in Loop: Header=BB251_11 Depth=1
	s_or_b32 exec_lo, exec_lo, s13
	v_mov_b32_e32 v0, 0xff
	s_mov_b32 s13, exec_lo
	v_and_b32_sdwa v3, v2, v0 dst_sel:DWORD dst_unused:UNUSED_PAD src0_sel:WORD_1 src1_sel:DWORD
	v_mov_b32_e32 v0, 0
	v_mov_b32_e32 v1, 0
	buffer_store_dword v0, off, s[0:3], s32 offset:376 ; 4-byte Folded Spill
	buffer_store_dword v1, off, s[0:3], s32 offset:380 ; 4-byte Folded Spill
	v_mov_b32_e32 v0, 0
	v_mov_b32_e32 v1, 0
	buffer_store_dword v0, off, s[0:3], s32 offset:384 ; 4-byte Folded Spill
	buffer_store_dword v1, off, s[0:3], s32 offset:388 ; 4-byte Folded Spill
	v_cmpx_ne_u16_e32 0, v3
	s_cbranch_execz .LBB251_195
; %bb.188:                              ;   in Loop: Header=BB251_11 Depth=1
	v_bfrev_b32_e32 v0, 1
	v_mov_b32_e32 v1, 0
	s_mov_b32 s17, exec_lo
	buffer_store_dword v0, off, s[0:3], s32 offset:384 ; 4-byte Folded Spill
	buffer_store_dword v1, off, s[0:3], s32 offset:388 ; 4-byte Folded Spill
	v_cmpx_ne_u16_e32 0x80, v3
	s_cbranch_execz .LBB251_194
; %bb.189:                              ;   in Loop: Header=BB251_11 Depth=1
	v_mov_b32_e32 v0, 0x7f800001
	v_bfe_u32 v4, v2, 16, 7
	v_mov_b32_e32 v1, 0
	s_mov_b32 s21, exec_lo
	buffer_store_dword v0, off, s[0:3], s32 offset:384 ; 4-byte Folded Spill
	buffer_store_dword v1, off, s[0:3], s32 offset:388 ; 4-byte Folded Spill
	v_cmpx_ne_u32_e32 0x7f, v4
	s_cbranch_execz .LBB251_193
; %bb.190:                              ;   in Loop: Header=BB251_11 Depth=1
	v_mov_b32_e32 v0, 7
	v_lshrrev_b32_e32 v3, 3, v4
	s_mov_b32 s22, exec_lo
	v_and_b32_sdwa v11, v2, v0 dst_sel:DWORD dst_unused:UNUSED_PAD src0_sel:WORD_1 src1_sel:DWORD
	v_cmpx_gt_u32_e32 8, v4
; %bb.191:                              ;   in Loop: Header=BB251_11 Depth=1
	v_ffbh_u32_e32 v3, v11
	v_min_u32_e32 v3, 32, v3
	v_subrev_nc_u32_e32 v4, 28, v3
	v_sub_nc_u32_e32 v3, 29, v3
	v_lshlrev_b64 v[4:5], v4, v[11:12]
	v_and_b32_e32 v11, 7, v4
; %bb.192:                              ;   in Loop: Header=BB251_11 Depth=1
	s_or_b32 exec_lo, exec_lo, s22
	v_mov_b32_e32 v0, 24
	v_lshlrev_b32_e32 v5, 20, v11
	v_lshl_add_u32 v3, v3, 23, 0x3c000000
	v_lshlrev_b32_sdwa v4, v0, v2 dst_sel:DWORD dst_unused:UNUSED_PAD src0_sel:DWORD src1_sel:WORD_1
	v_and_b32_e32 v4, 0x80000000, v4
	v_or3_b32 v11, v5, v4, v3
	buffer_store_dword v11, off, s[0:3], s32 offset:384 ; 4-byte Folded Spill
	buffer_store_dword v12, off, s[0:3], s32 offset:388 ; 4-byte Folded Spill
.LBB251_193:                            ;   in Loop: Header=BB251_11 Depth=1
	s_or_b32 exec_lo, exec_lo, s21
.LBB251_194:                            ;   in Loop: Header=BB251_11 Depth=1
	s_or_b32 exec_lo, exec_lo, s17
.LBB251_195:                            ;   in Loop: Header=BB251_11 Depth=1
	s_or_b32 exec_lo, exec_lo, s13
	s_mov_b32 s13, exec_lo
	v_cmpx_lt_u32_e32 0xffffff, v2
	s_cbranch_execz .LBB251_203
; %bb.196:                              ;   in Loop: Header=BB251_11 Depth=1
	v_mov_b32_e32 v108, v12
	v_cmp_ne_u32_sdwa s5, v2, v6 src0_sel:BYTE_3 src1_sel:DWORD
	buffer_store_dword v108, off, s[0:3], s32 offset:376 ; 4-byte Folded Spill
	buffer_store_dword v109, off, s[0:3], s32 offset:380 ; 4-byte Folded Spill
	s_and_saveexec_b32 s17, s5
	s_cbranch_execz .LBB251_202
; %bb.197:                              ;   in Loop: Header=BB251_11 Depth=1
	v_bfe_u32 v4, v2, 24, 7
	v_mov_b32_e32 v106, v12
	s_mov_b32 s21, exec_lo
	buffer_store_dword v106, off, s[0:3], s32 offset:376 ; 4-byte Folded Spill
	buffer_store_dword v107, off, s[0:3], s32 offset:380 ; 4-byte Folded Spill
	v_cmpx_ne_u32_e32 0x7f, v4
	s_cbranch_execz .LBB251_201
; %bb.198:                              ;   in Loop: Header=BB251_11 Depth=1
	v_mov_b32_e32 v0, 7
	v_lshrrev_b32_e32 v3, 3, v4
	s_mov_b32 s22, exec_lo
	v_and_b32_sdwa v11, v2, v0 dst_sel:DWORD dst_unused:UNUSED_PAD src0_sel:BYTE_3 src1_sel:DWORD
	v_cmpx_gt_u32_e32 8, v4
; %bb.199:                              ;   in Loop: Header=BB251_11 Depth=1
	v_ffbh_u32_e32 v3, v11
	v_min_u32_e32 v3, 32, v3
	v_subrev_nc_u32_e32 v4, 28, v3
	v_sub_nc_u32_e32 v3, 29, v3
	v_lshlrev_b64 v[4:5], v4, v[11:12]
	v_and_b32_e32 v11, 7, v4
; %bb.200:                              ;   in Loop: Header=BB251_11 Depth=1
	s_or_b32 exec_lo, exec_lo, s22
	v_mov_b32_e32 v0, 24
	v_lshlrev_b32_e32 v4, 20, v11
	v_lshl_add_u32 v3, v3, 23, 0x3c000000
	v_lshlrev_b32_sdwa v2, v0, v2 dst_sel:DWORD dst_unused:UNUSED_PAD src0_sel:DWORD src1_sel:BYTE_3
	v_mov_b32_e32 v0, v12
	v_and_b32_e32 v2, 0x80000000, v2
	v_or3_b32 v1, v4, v2, v3
	buffer_store_dword v0, off, s[0:3], s32 offset:376 ; 4-byte Folded Spill
	buffer_store_dword v1, off, s[0:3], s32 offset:380 ; 4-byte Folded Spill
.LBB251_201:                            ;   in Loop: Header=BB251_11 Depth=1
	s_or_b32 exec_lo, exec_lo, s21
.LBB251_202:                            ;   in Loop: Header=BB251_11 Depth=1
	s_or_b32 exec_lo, exec_lo, s17
.LBB251_203:                            ;   in Loop: Header=BB251_11 Depth=1
	s_or_b32 exec_lo, exec_lo, s13
	flat_load_dword v2, v[120:121] offset:520
	v_mov_b32_e32 v0, 0
	v_mov_b32_e32 v1, 0
	buffer_store_dword v0, off, s[0:3], s32 offset:400 ; 4-byte Folded Spill
	buffer_store_dword v1, off, s[0:3], s32 offset:404 ; 4-byte Folded Spill
	v_mov_b32_e32 v0, 0
	v_mov_b32_e32 v1, 0
	buffer_store_dword v0, off, s[0:3], s32 offset:392 ; 4-byte Folded Spill
	buffer_store_dword v1, off, s[0:3], s32 offset:396 ; 4-byte Folded Spill
	s_waitcnt vmcnt(0) lgkmcnt(0)
	v_cmp_ne_u16_sdwa s5, v2, v12 src0_sel:BYTE_0 src1_sel:DWORD
	s_and_saveexec_b32 s13, s5
	s_cbranch_execz .LBB251_211
; %bb.204:                              ;   in Loop: Header=BB251_11 Depth=1
	v_bfrev_b32_e32 v0, 1
	v_mov_b32_e32 v1, 0
	v_cmp_ne_u16_sdwa s5, v2, v6 src0_sel:BYTE_0 src1_sel:DWORD
	buffer_store_dword v0, off, s[0:3], s32 offset:392 ; 4-byte Folded Spill
	buffer_store_dword v1, off, s[0:3], s32 offset:396 ; 4-byte Folded Spill
	s_and_saveexec_b32 s17, s5
	s_cbranch_execz .LBB251_210
; %bb.205:                              ;   in Loop: Header=BB251_11 Depth=1
	v_mov_b32_e32 v0, 0x7f800001
	v_and_b32_e32 v4, 0x7f, v2
	v_mov_b32_e32 v1, 0
	s_mov_b32 s21, exec_lo
	buffer_store_dword v0, off, s[0:3], s32 offset:392 ; 4-byte Folded Spill
	buffer_store_dword v1, off, s[0:3], s32 offset:396 ; 4-byte Folded Spill
	v_cmpx_ne_u32_e32 0x7f, v4
	s_cbranch_execz .LBB251_209
; %bb.206:                              ;   in Loop: Header=BB251_11 Depth=1
	v_and_b32_e32 v11, 7, v2
	v_lshrrev_b32_e32 v3, 3, v4
	s_mov_b32 s22, exec_lo
	v_cmpx_gt_u32_e32 8, v4
; %bb.207:                              ;   in Loop: Header=BB251_11 Depth=1
	v_ffbh_u32_e32 v3, v11
	v_min_u32_e32 v3, 32, v3
	v_subrev_nc_u32_e32 v4, 28, v3
	v_sub_nc_u32_e32 v3, 29, v3
	v_lshlrev_b64 v[4:5], v4, v[11:12]
	v_and_b32_e32 v11, 7, v4
; %bb.208:                              ;   in Loop: Header=BB251_11 Depth=1
	s_or_b32 exec_lo, exec_lo, s22
	v_lshlrev_b32_e32 v4, 24, v2
	v_lshlrev_b32_e32 v5, 20, v11
	v_lshl_add_u32 v3, v3, 23, 0x3c000000
	v_and_b32_e32 v4, 0x80000000, v4
	v_or3_b32 v11, v5, v4, v3
	buffer_store_dword v11, off, s[0:3], s32 offset:392 ; 4-byte Folded Spill
	buffer_store_dword v12, off, s[0:3], s32 offset:396 ; 4-byte Folded Spill
.LBB251_209:                            ;   in Loop: Header=BB251_11 Depth=1
	s_or_b32 exec_lo, exec_lo, s21
.LBB251_210:                            ;   in Loop: Header=BB251_11 Depth=1
	s_or_b32 exec_lo, exec_lo, s17
.LBB251_211:                            ;   in Loop: Header=BB251_11 Depth=1
	s_or_b32 exec_lo, exec_lo, s13
	v_cmp_ne_u16_sdwa s5, v2, v12 src0_sel:BYTE_1 src1_sel:DWORD
	s_and_saveexec_b32 s13, s5
	s_cbranch_execz .LBB251_219
; %bb.212:                              ;   in Loop: Header=BB251_11 Depth=1
	v_mov_b32_e32 v108, v12
	v_cmp_ne_u16_sdwa s5, v2, v6 src0_sel:BYTE_1 src1_sel:DWORD
	buffer_store_dword v108, off, s[0:3], s32 offset:400 ; 4-byte Folded Spill
	buffer_store_dword v109, off, s[0:3], s32 offset:404 ; 4-byte Folded Spill
	s_and_saveexec_b32 s17, s5
	s_cbranch_execz .LBB251_218
; %bb.213:                              ;   in Loop: Header=BB251_11 Depth=1
	v_mov_b32_e32 v0, 0xffff
	v_mov_b32_e32 v106, v12
	s_mov_b32 s21, exec_lo
	buffer_store_dword v106, off, s[0:3], s32 offset:400 ; 4-byte Folded Spill
	buffer_store_dword v107, off, s[0:3], s32 offset:404 ; 4-byte Folded Spill
	v_and_b32_sdwa v3, v0, v2 dst_sel:DWORD dst_unused:UNUSED_PAD src0_sel:DWORD src1_sel:BYTE_1
	v_and_b32_e32 v4, 0x7f, v3
	v_cmpx_ne_u32_e32 0x7f, v4
	s_cbranch_execz .LBB251_217
; %bb.214:                              ;   in Loop: Header=BB251_11 Depth=1
	v_and_b32_e32 v11, 7, v3
	v_lshrrev_b32_e32 v3, 3, v4
	s_mov_b32 s22, exec_lo
	v_cmpx_gt_u32_e32 8, v4
; %bb.215:                              ;   in Loop: Header=BB251_11 Depth=1
	v_ffbh_u32_e32 v3, v11
	v_min_u32_e32 v3, 32, v3
	v_subrev_nc_u32_e32 v4, 28, v3
	v_sub_nc_u32_e32 v3, 29, v3
	v_lshlrev_b64 v[4:5], v4, v[11:12]
	v_and_b32_e32 v11, 7, v4
; %bb.216:                              ;   in Loop: Header=BB251_11 Depth=1
	s_or_b32 exec_lo, exec_lo, s22
	v_lshlrev_b32_e32 v4, 16, v2
	v_lshlrev_b32_e32 v5, 20, v11
	v_lshl_add_u32 v3, v3, 23, 0x3c000000
	v_mov_b32_e32 v0, v12
	v_and_b32_e32 v4, 0x80000000, v4
	v_or3_b32 v1, v5, v4, v3
	buffer_store_dword v0, off, s[0:3], s32 offset:400 ; 4-byte Folded Spill
	buffer_store_dword v1, off, s[0:3], s32 offset:404 ; 4-byte Folded Spill
.LBB251_217:                            ;   in Loop: Header=BB251_11 Depth=1
	s_or_b32 exec_lo, exec_lo, s21
.LBB251_218:                            ;   in Loop: Header=BB251_11 Depth=1
	s_or_b32 exec_lo, exec_lo, s17
.LBB251_219:                            ;   in Loop: Header=BB251_11 Depth=1
	s_or_b32 exec_lo, exec_lo, s13
	v_mov_b32_e32 v0, 0xff
	s_mov_b32 s13, exec_lo
	v_and_b32_sdwa v3, v2, v0 dst_sel:DWORD dst_unused:UNUSED_PAD src0_sel:WORD_1 src1_sel:DWORD
	v_mov_b32_e32 v0, 0
	v_mov_b32_e32 v1, 0
	buffer_store_dword v0, off, s[0:3], s32 offset:408 ; 4-byte Folded Spill
	buffer_store_dword v1, off, s[0:3], s32 offset:412 ; 4-byte Folded Spill
	v_mov_b32_e32 v0, 0
	v_mov_b32_e32 v1, 0
	buffer_store_dword v0, off, s[0:3], s32 offset:416 ; 4-byte Folded Spill
	buffer_store_dword v1, off, s[0:3], s32 offset:420 ; 4-byte Folded Spill
	v_cmpx_ne_u16_e32 0, v3
	s_cbranch_execz .LBB251_227
; %bb.220:                              ;   in Loop: Header=BB251_11 Depth=1
	v_bfrev_b32_e32 v0, 1
	v_mov_b32_e32 v1, 0
	s_mov_b32 s17, exec_lo
	buffer_store_dword v0, off, s[0:3], s32 offset:416 ; 4-byte Folded Spill
	buffer_store_dword v1, off, s[0:3], s32 offset:420 ; 4-byte Folded Spill
	v_cmpx_ne_u16_e32 0x80, v3
	s_cbranch_execz .LBB251_226
; %bb.221:                              ;   in Loop: Header=BB251_11 Depth=1
	v_mov_b32_e32 v0, 0x7f800001
	v_bfe_u32 v4, v2, 16, 7
	v_mov_b32_e32 v1, 0
	s_mov_b32 s21, exec_lo
	buffer_store_dword v0, off, s[0:3], s32 offset:416 ; 4-byte Folded Spill
	buffer_store_dword v1, off, s[0:3], s32 offset:420 ; 4-byte Folded Spill
	v_cmpx_ne_u32_e32 0x7f, v4
	s_cbranch_execz .LBB251_225
; %bb.222:                              ;   in Loop: Header=BB251_11 Depth=1
	v_mov_b32_e32 v0, 7
	v_lshrrev_b32_e32 v3, 3, v4
	s_mov_b32 s22, exec_lo
	v_and_b32_sdwa v11, v2, v0 dst_sel:DWORD dst_unused:UNUSED_PAD src0_sel:WORD_1 src1_sel:DWORD
	v_cmpx_gt_u32_e32 8, v4
; %bb.223:                              ;   in Loop: Header=BB251_11 Depth=1
	v_ffbh_u32_e32 v3, v11
	v_min_u32_e32 v3, 32, v3
	v_subrev_nc_u32_e32 v4, 28, v3
	v_sub_nc_u32_e32 v3, 29, v3
	v_lshlrev_b64 v[4:5], v4, v[11:12]
	v_and_b32_e32 v11, 7, v4
; %bb.224:                              ;   in Loop: Header=BB251_11 Depth=1
	s_or_b32 exec_lo, exec_lo, s22
	v_mov_b32_e32 v0, 24
	v_lshlrev_b32_e32 v5, 20, v11
	v_lshl_add_u32 v3, v3, 23, 0x3c000000
	v_lshlrev_b32_sdwa v4, v0, v2 dst_sel:DWORD dst_unused:UNUSED_PAD src0_sel:DWORD src1_sel:WORD_1
	v_and_b32_e32 v4, 0x80000000, v4
	v_or3_b32 v11, v5, v4, v3
	buffer_store_dword v11, off, s[0:3], s32 offset:416 ; 4-byte Folded Spill
	buffer_store_dword v12, off, s[0:3], s32 offset:420 ; 4-byte Folded Spill
.LBB251_225:                            ;   in Loop: Header=BB251_11 Depth=1
	s_or_b32 exec_lo, exec_lo, s21
.LBB251_226:                            ;   in Loop: Header=BB251_11 Depth=1
	s_or_b32 exec_lo, exec_lo, s17
.LBB251_227:                            ;   in Loop: Header=BB251_11 Depth=1
	s_or_b32 exec_lo, exec_lo, s13
	s_mov_b32 s13, exec_lo
	v_cmpx_lt_u32_e32 0xffffff, v2
	s_cbranch_execz .LBB251_235
; %bb.228:                              ;   in Loop: Header=BB251_11 Depth=1
	v_mov_b32_e32 v108, v12
	v_cmp_ne_u32_sdwa s5, v2, v6 src0_sel:BYTE_3 src1_sel:DWORD
	buffer_store_dword v108, off, s[0:3], s32 offset:408 ; 4-byte Folded Spill
	buffer_store_dword v109, off, s[0:3], s32 offset:412 ; 4-byte Folded Spill
	s_and_saveexec_b32 s17, s5
	s_cbranch_execz .LBB251_234
; %bb.229:                              ;   in Loop: Header=BB251_11 Depth=1
	v_bfe_u32 v4, v2, 24, 7
	v_mov_b32_e32 v106, v12
	s_mov_b32 s21, exec_lo
	buffer_store_dword v106, off, s[0:3], s32 offset:408 ; 4-byte Folded Spill
	buffer_store_dword v107, off, s[0:3], s32 offset:412 ; 4-byte Folded Spill
	v_cmpx_ne_u32_e32 0x7f, v4
	s_cbranch_execz .LBB251_233
; %bb.230:                              ;   in Loop: Header=BB251_11 Depth=1
	v_mov_b32_e32 v0, 7
	v_lshrrev_b32_e32 v3, 3, v4
	s_mov_b32 s22, exec_lo
	v_and_b32_sdwa v11, v2, v0 dst_sel:DWORD dst_unused:UNUSED_PAD src0_sel:BYTE_3 src1_sel:DWORD
	v_cmpx_gt_u32_e32 8, v4
; %bb.231:                              ;   in Loop: Header=BB251_11 Depth=1
	v_ffbh_u32_e32 v3, v11
	v_min_u32_e32 v3, 32, v3
	v_subrev_nc_u32_e32 v4, 28, v3
	v_sub_nc_u32_e32 v3, 29, v3
	v_lshlrev_b64 v[4:5], v4, v[11:12]
	v_and_b32_e32 v11, 7, v4
; %bb.232:                              ;   in Loop: Header=BB251_11 Depth=1
	s_or_b32 exec_lo, exec_lo, s22
	v_mov_b32_e32 v0, 24
	v_lshlrev_b32_e32 v4, 20, v11
	v_lshl_add_u32 v3, v3, 23, 0x3c000000
	v_lshlrev_b32_sdwa v2, v0, v2 dst_sel:DWORD dst_unused:UNUSED_PAD src0_sel:DWORD src1_sel:BYTE_3
	v_mov_b32_e32 v0, v12
	v_and_b32_e32 v2, 0x80000000, v2
	v_or3_b32 v1, v4, v2, v3
	buffer_store_dword v0, off, s[0:3], s32 offset:408 ; 4-byte Folded Spill
	buffer_store_dword v1, off, s[0:3], s32 offset:412 ; 4-byte Folded Spill
.LBB251_233:                            ;   in Loop: Header=BB251_11 Depth=1
	s_or_b32 exec_lo, exec_lo, s21
.LBB251_234:                            ;   in Loop: Header=BB251_11 Depth=1
	s_or_b32 exec_lo, exec_lo, s17
.LBB251_235:                            ;   in Loop: Header=BB251_11 Depth=1
	s_or_b32 exec_lo, exec_lo, s13
	flat_load_dword v2, v[120:121] offset:524
	v_mov_b32_e32 v0, 0
	v_mov_b32_e32 v1, 0
	buffer_store_dword v0, off, s[0:3], s32 offset:432 ; 4-byte Folded Spill
	buffer_store_dword v1, off, s[0:3], s32 offset:436 ; 4-byte Folded Spill
	v_mov_b32_e32 v0, 0
	v_mov_b32_e32 v1, 0
	buffer_store_dword v0, off, s[0:3], s32 offset:424 ; 4-byte Folded Spill
	buffer_store_dword v1, off, s[0:3], s32 offset:428 ; 4-byte Folded Spill
	s_waitcnt vmcnt(0) lgkmcnt(0)
	v_cmp_ne_u16_sdwa s5, v2, v12 src0_sel:BYTE_0 src1_sel:DWORD
	s_and_saveexec_b32 s13, s5
	s_cbranch_execz .LBB251_243
; %bb.236:                              ;   in Loop: Header=BB251_11 Depth=1
	v_bfrev_b32_e32 v0, 1
	v_mov_b32_e32 v1, 0
	v_cmp_ne_u16_sdwa s5, v2, v6 src0_sel:BYTE_0 src1_sel:DWORD
	buffer_store_dword v0, off, s[0:3], s32 offset:424 ; 4-byte Folded Spill
	buffer_store_dword v1, off, s[0:3], s32 offset:428 ; 4-byte Folded Spill
	s_and_saveexec_b32 s17, s5
	s_cbranch_execz .LBB251_242
; %bb.237:                              ;   in Loop: Header=BB251_11 Depth=1
	v_mov_b32_e32 v0, 0x7f800001
	v_and_b32_e32 v4, 0x7f, v2
	v_mov_b32_e32 v1, 0
	s_mov_b32 s21, exec_lo
	buffer_store_dword v0, off, s[0:3], s32 offset:424 ; 4-byte Folded Spill
	buffer_store_dword v1, off, s[0:3], s32 offset:428 ; 4-byte Folded Spill
	v_cmpx_ne_u32_e32 0x7f, v4
	s_cbranch_execz .LBB251_241
; %bb.238:                              ;   in Loop: Header=BB251_11 Depth=1
	v_and_b32_e32 v11, 7, v2
	v_lshrrev_b32_e32 v3, 3, v4
	s_mov_b32 s22, exec_lo
	v_cmpx_gt_u32_e32 8, v4
; %bb.239:                              ;   in Loop: Header=BB251_11 Depth=1
	v_ffbh_u32_e32 v3, v11
	v_min_u32_e32 v3, 32, v3
	v_subrev_nc_u32_e32 v4, 28, v3
	v_sub_nc_u32_e32 v3, 29, v3
	v_lshlrev_b64 v[4:5], v4, v[11:12]
	v_and_b32_e32 v11, 7, v4
; %bb.240:                              ;   in Loop: Header=BB251_11 Depth=1
	s_or_b32 exec_lo, exec_lo, s22
	v_lshlrev_b32_e32 v4, 24, v2
	v_lshlrev_b32_e32 v5, 20, v11
	v_lshl_add_u32 v3, v3, 23, 0x3c000000
	v_and_b32_e32 v4, 0x80000000, v4
	v_or3_b32 v11, v5, v4, v3
	buffer_store_dword v11, off, s[0:3], s32 offset:424 ; 4-byte Folded Spill
	buffer_store_dword v12, off, s[0:3], s32 offset:428 ; 4-byte Folded Spill
.LBB251_241:                            ;   in Loop: Header=BB251_11 Depth=1
	s_or_b32 exec_lo, exec_lo, s21
.LBB251_242:                            ;   in Loop: Header=BB251_11 Depth=1
	s_or_b32 exec_lo, exec_lo, s17
.LBB251_243:                            ;   in Loop: Header=BB251_11 Depth=1
	s_or_b32 exec_lo, exec_lo, s13
	v_cmp_ne_u16_sdwa s5, v2, v12 src0_sel:BYTE_1 src1_sel:DWORD
	s_and_saveexec_b32 s13, s5
	s_cbranch_execz .LBB251_251
; %bb.244:                              ;   in Loop: Header=BB251_11 Depth=1
	v_mov_b32_e32 v108, v12
	v_cmp_ne_u16_sdwa s5, v2, v6 src0_sel:BYTE_1 src1_sel:DWORD
	buffer_store_dword v108, off, s[0:3], s32 offset:432 ; 4-byte Folded Spill
	buffer_store_dword v109, off, s[0:3], s32 offset:436 ; 4-byte Folded Spill
	s_and_saveexec_b32 s17, s5
	s_cbranch_execz .LBB251_250
; %bb.245:                              ;   in Loop: Header=BB251_11 Depth=1
	v_mov_b32_e32 v0, 0xffff
	v_mov_b32_e32 v106, v12
	s_mov_b32 s21, exec_lo
	buffer_store_dword v106, off, s[0:3], s32 offset:432 ; 4-byte Folded Spill
	buffer_store_dword v107, off, s[0:3], s32 offset:436 ; 4-byte Folded Spill
	v_and_b32_sdwa v3, v0, v2 dst_sel:DWORD dst_unused:UNUSED_PAD src0_sel:DWORD src1_sel:BYTE_1
	v_and_b32_e32 v4, 0x7f, v3
	v_cmpx_ne_u32_e32 0x7f, v4
	s_cbranch_execz .LBB251_249
; %bb.246:                              ;   in Loop: Header=BB251_11 Depth=1
	v_and_b32_e32 v11, 7, v3
	v_lshrrev_b32_e32 v3, 3, v4
	s_mov_b32 s22, exec_lo
	v_cmpx_gt_u32_e32 8, v4
; %bb.247:                              ;   in Loop: Header=BB251_11 Depth=1
	v_ffbh_u32_e32 v3, v11
	v_min_u32_e32 v3, 32, v3
	v_subrev_nc_u32_e32 v4, 28, v3
	v_sub_nc_u32_e32 v3, 29, v3
	v_lshlrev_b64 v[4:5], v4, v[11:12]
	v_and_b32_e32 v11, 7, v4
; %bb.248:                              ;   in Loop: Header=BB251_11 Depth=1
	s_or_b32 exec_lo, exec_lo, s22
	v_lshlrev_b32_e32 v4, 16, v2
	v_lshlrev_b32_e32 v5, 20, v11
	v_lshl_add_u32 v3, v3, 23, 0x3c000000
	v_mov_b32_e32 v0, v12
	v_and_b32_e32 v4, 0x80000000, v4
	v_or3_b32 v1, v5, v4, v3
	buffer_store_dword v0, off, s[0:3], s32 offset:432 ; 4-byte Folded Spill
	buffer_store_dword v1, off, s[0:3], s32 offset:436 ; 4-byte Folded Spill
.LBB251_249:                            ;   in Loop: Header=BB251_11 Depth=1
	s_or_b32 exec_lo, exec_lo, s21
.LBB251_250:                            ;   in Loop: Header=BB251_11 Depth=1
	s_or_b32 exec_lo, exec_lo, s17
.LBB251_251:                            ;   in Loop: Header=BB251_11 Depth=1
	s_or_b32 exec_lo, exec_lo, s13
	v_mov_b32_e32 v0, 0xff
	s_mov_b32 s13, exec_lo
	v_and_b32_sdwa v3, v2, v0 dst_sel:DWORD dst_unused:UNUSED_PAD src0_sel:WORD_1 src1_sel:DWORD
	v_mov_b32_e32 v0, 0
	v_mov_b32_e32 v1, 0
	buffer_store_dword v0, off, s[0:3], s32 offset:440 ; 4-byte Folded Spill
	buffer_store_dword v1, off, s[0:3], s32 offset:444 ; 4-byte Folded Spill
	v_mov_b32_e32 v0, 0
	v_mov_b32_e32 v1, 0
	buffer_store_dword v0, off, s[0:3], s32 offset:448 ; 4-byte Folded Spill
	buffer_store_dword v1, off, s[0:3], s32 offset:452 ; 4-byte Folded Spill
	v_cmpx_ne_u16_e32 0, v3
	s_cbranch_execz .LBB251_259
; %bb.252:                              ;   in Loop: Header=BB251_11 Depth=1
	v_bfrev_b32_e32 v0, 1
	v_mov_b32_e32 v1, 0
	s_mov_b32 s17, exec_lo
	buffer_store_dword v0, off, s[0:3], s32 offset:448 ; 4-byte Folded Spill
	buffer_store_dword v1, off, s[0:3], s32 offset:452 ; 4-byte Folded Spill
	v_cmpx_ne_u16_e32 0x80, v3
	s_cbranch_execz .LBB251_258
; %bb.253:                              ;   in Loop: Header=BB251_11 Depth=1
	v_mov_b32_e32 v0, 0x7f800001
	v_bfe_u32 v4, v2, 16, 7
	v_mov_b32_e32 v1, 0
	s_mov_b32 s21, exec_lo
	buffer_store_dword v0, off, s[0:3], s32 offset:448 ; 4-byte Folded Spill
	buffer_store_dword v1, off, s[0:3], s32 offset:452 ; 4-byte Folded Spill
	v_cmpx_ne_u32_e32 0x7f, v4
	s_cbranch_execz .LBB251_257
; %bb.254:                              ;   in Loop: Header=BB251_11 Depth=1
	v_mov_b32_e32 v0, 7
	v_lshrrev_b32_e32 v3, 3, v4
	s_mov_b32 s22, exec_lo
	v_and_b32_sdwa v11, v2, v0 dst_sel:DWORD dst_unused:UNUSED_PAD src0_sel:WORD_1 src1_sel:DWORD
	v_cmpx_gt_u32_e32 8, v4
; %bb.255:                              ;   in Loop: Header=BB251_11 Depth=1
	v_ffbh_u32_e32 v3, v11
	v_min_u32_e32 v3, 32, v3
	v_subrev_nc_u32_e32 v4, 28, v3
	v_sub_nc_u32_e32 v3, 29, v3
	v_lshlrev_b64 v[4:5], v4, v[11:12]
	v_and_b32_e32 v11, 7, v4
; %bb.256:                              ;   in Loop: Header=BB251_11 Depth=1
	s_or_b32 exec_lo, exec_lo, s22
	v_mov_b32_e32 v0, 24
	v_lshlrev_b32_e32 v5, 20, v11
	v_lshl_add_u32 v3, v3, 23, 0x3c000000
	v_lshlrev_b32_sdwa v4, v0, v2 dst_sel:DWORD dst_unused:UNUSED_PAD src0_sel:DWORD src1_sel:WORD_1
	v_and_b32_e32 v4, 0x80000000, v4
	v_or3_b32 v11, v5, v4, v3
	buffer_store_dword v11, off, s[0:3], s32 offset:448 ; 4-byte Folded Spill
	buffer_store_dword v12, off, s[0:3], s32 offset:452 ; 4-byte Folded Spill
.LBB251_257:                            ;   in Loop: Header=BB251_11 Depth=1
	s_or_b32 exec_lo, exec_lo, s21
.LBB251_258:                            ;   in Loop: Header=BB251_11 Depth=1
	s_or_b32 exec_lo, exec_lo, s17
.LBB251_259:                            ;   in Loop: Header=BB251_11 Depth=1
	s_or_b32 exec_lo, exec_lo, s13
	s_mov_b32 s13, exec_lo
	v_cmpx_lt_u32_e32 0xffffff, v2
	s_cbranch_execz .LBB251_267
; %bb.260:                              ;   in Loop: Header=BB251_11 Depth=1
	v_mov_b32_e32 v108, v12
	v_cmp_ne_u32_sdwa s5, v2, v6 src0_sel:BYTE_3 src1_sel:DWORD
	buffer_store_dword v108, off, s[0:3], s32 offset:440 ; 4-byte Folded Spill
	buffer_store_dword v109, off, s[0:3], s32 offset:444 ; 4-byte Folded Spill
	s_and_saveexec_b32 s17, s5
	s_cbranch_execz .LBB251_266
; %bb.261:                              ;   in Loop: Header=BB251_11 Depth=1
	v_bfe_u32 v4, v2, 24, 7
	v_mov_b32_e32 v106, v12
	s_mov_b32 s21, exec_lo
	buffer_store_dword v106, off, s[0:3], s32 offset:440 ; 4-byte Folded Spill
	buffer_store_dword v107, off, s[0:3], s32 offset:444 ; 4-byte Folded Spill
	v_cmpx_ne_u32_e32 0x7f, v4
	s_cbranch_execz .LBB251_265
; %bb.262:                              ;   in Loop: Header=BB251_11 Depth=1
	v_mov_b32_e32 v0, 7
	v_lshrrev_b32_e32 v3, 3, v4
	s_mov_b32 s22, exec_lo
	v_and_b32_sdwa v11, v2, v0 dst_sel:DWORD dst_unused:UNUSED_PAD src0_sel:BYTE_3 src1_sel:DWORD
	v_cmpx_gt_u32_e32 8, v4
; %bb.263:                              ;   in Loop: Header=BB251_11 Depth=1
	v_ffbh_u32_e32 v3, v11
	v_min_u32_e32 v3, 32, v3
	v_subrev_nc_u32_e32 v4, 28, v3
	v_sub_nc_u32_e32 v3, 29, v3
	v_lshlrev_b64 v[4:5], v4, v[11:12]
	v_and_b32_e32 v11, 7, v4
; %bb.264:                              ;   in Loop: Header=BB251_11 Depth=1
	s_or_b32 exec_lo, exec_lo, s22
	v_mov_b32_e32 v0, 24
	v_lshlrev_b32_e32 v4, 20, v11
	v_lshl_add_u32 v3, v3, 23, 0x3c000000
	v_lshlrev_b32_sdwa v2, v0, v2 dst_sel:DWORD dst_unused:UNUSED_PAD src0_sel:DWORD src1_sel:BYTE_3
	v_mov_b32_e32 v0, v12
	v_and_b32_e32 v2, 0x80000000, v2
	v_or3_b32 v1, v4, v2, v3
	buffer_store_dword v0, off, s[0:3], s32 offset:440 ; 4-byte Folded Spill
	buffer_store_dword v1, off, s[0:3], s32 offset:444 ; 4-byte Folded Spill
.LBB251_265:                            ;   in Loop: Header=BB251_11 Depth=1
	s_or_b32 exec_lo, exec_lo, s21
.LBB251_266:                            ;   in Loop: Header=BB251_11 Depth=1
	s_or_b32 exec_lo, exec_lo, s17
.LBB251_267:                            ;   in Loop: Header=BB251_11 Depth=1
	s_or_b32 exec_lo, exec_lo, s13
	flat_load_dword v2, v[120:121] offset:1024
	v_mov_b32_e32 v0, 0
	v_mov_b32_e32 v1, 0
	buffer_store_dword v0, off, s[0:3], s32 offset:464 ; 4-byte Folded Spill
	buffer_store_dword v1, off, s[0:3], s32 offset:468 ; 4-byte Folded Spill
	v_mov_b32_e32 v0, 0
	v_mov_b32_e32 v1, 0
	buffer_store_dword v0, off, s[0:3], s32 offset:456 ; 4-byte Folded Spill
	buffer_store_dword v1, off, s[0:3], s32 offset:460 ; 4-byte Folded Spill
	s_waitcnt vmcnt(0) lgkmcnt(0)
	v_cmp_ne_u16_sdwa s5, v2, v12 src0_sel:BYTE_0 src1_sel:DWORD
	s_and_saveexec_b32 s13, s5
	s_cbranch_execz .LBB251_275
; %bb.268:                              ;   in Loop: Header=BB251_11 Depth=1
	v_bfrev_b32_e32 v0, 1
	v_mov_b32_e32 v1, 0
	v_cmp_ne_u16_sdwa s5, v2, v6 src0_sel:BYTE_0 src1_sel:DWORD
	buffer_store_dword v0, off, s[0:3], s32 offset:456 ; 4-byte Folded Spill
	buffer_store_dword v1, off, s[0:3], s32 offset:460 ; 4-byte Folded Spill
	s_and_saveexec_b32 s17, s5
	s_cbranch_execz .LBB251_274
; %bb.269:                              ;   in Loop: Header=BB251_11 Depth=1
	v_mov_b32_e32 v0, 0x7f800001
	v_and_b32_e32 v4, 0x7f, v2
	v_mov_b32_e32 v1, 0
	s_mov_b32 s21, exec_lo
	buffer_store_dword v0, off, s[0:3], s32 offset:456 ; 4-byte Folded Spill
	buffer_store_dword v1, off, s[0:3], s32 offset:460 ; 4-byte Folded Spill
	v_cmpx_ne_u32_e32 0x7f, v4
	s_cbranch_execz .LBB251_273
; %bb.270:                              ;   in Loop: Header=BB251_11 Depth=1
	v_and_b32_e32 v11, 7, v2
	v_lshrrev_b32_e32 v3, 3, v4
	s_mov_b32 s22, exec_lo
	v_cmpx_gt_u32_e32 8, v4
; %bb.271:                              ;   in Loop: Header=BB251_11 Depth=1
	v_ffbh_u32_e32 v3, v11
	v_min_u32_e32 v3, 32, v3
	v_subrev_nc_u32_e32 v4, 28, v3
	v_sub_nc_u32_e32 v3, 29, v3
	v_lshlrev_b64 v[4:5], v4, v[11:12]
	v_and_b32_e32 v11, 7, v4
; %bb.272:                              ;   in Loop: Header=BB251_11 Depth=1
	s_or_b32 exec_lo, exec_lo, s22
	v_lshlrev_b32_e32 v4, 24, v2
	v_lshlrev_b32_e32 v5, 20, v11
	v_lshl_add_u32 v3, v3, 23, 0x3c000000
	v_and_b32_e32 v4, 0x80000000, v4
	v_or3_b32 v11, v5, v4, v3
	buffer_store_dword v11, off, s[0:3], s32 offset:456 ; 4-byte Folded Spill
	buffer_store_dword v12, off, s[0:3], s32 offset:460 ; 4-byte Folded Spill
.LBB251_273:                            ;   in Loop: Header=BB251_11 Depth=1
	s_or_b32 exec_lo, exec_lo, s21
.LBB251_274:                            ;   in Loop: Header=BB251_11 Depth=1
	s_or_b32 exec_lo, exec_lo, s17
.LBB251_275:                            ;   in Loop: Header=BB251_11 Depth=1
	s_or_b32 exec_lo, exec_lo, s13
	v_cmp_ne_u16_sdwa s5, v2, v12 src0_sel:BYTE_1 src1_sel:DWORD
	s_and_saveexec_b32 s13, s5
	s_cbranch_execz .LBB251_283
; %bb.276:                              ;   in Loop: Header=BB251_11 Depth=1
	v_mov_b32_e32 v108, v12
	v_cmp_ne_u16_sdwa s5, v2, v6 src0_sel:BYTE_1 src1_sel:DWORD
	buffer_store_dword v108, off, s[0:3], s32 offset:464 ; 4-byte Folded Spill
	buffer_store_dword v109, off, s[0:3], s32 offset:468 ; 4-byte Folded Spill
	s_and_saveexec_b32 s17, s5
	s_cbranch_execz .LBB251_282
; %bb.277:                              ;   in Loop: Header=BB251_11 Depth=1
	v_mov_b32_e32 v0, 0xffff
	v_mov_b32_e32 v106, v12
	s_mov_b32 s21, exec_lo
	buffer_store_dword v106, off, s[0:3], s32 offset:464 ; 4-byte Folded Spill
	buffer_store_dword v107, off, s[0:3], s32 offset:468 ; 4-byte Folded Spill
	v_and_b32_sdwa v3, v0, v2 dst_sel:DWORD dst_unused:UNUSED_PAD src0_sel:DWORD src1_sel:BYTE_1
	v_and_b32_e32 v4, 0x7f, v3
	v_cmpx_ne_u32_e32 0x7f, v4
	s_cbranch_execz .LBB251_281
; %bb.278:                              ;   in Loop: Header=BB251_11 Depth=1
	v_and_b32_e32 v11, 7, v3
	v_lshrrev_b32_e32 v3, 3, v4
	s_mov_b32 s22, exec_lo
	v_cmpx_gt_u32_e32 8, v4
; %bb.279:                              ;   in Loop: Header=BB251_11 Depth=1
	v_ffbh_u32_e32 v3, v11
	v_min_u32_e32 v3, 32, v3
	v_subrev_nc_u32_e32 v4, 28, v3
	v_sub_nc_u32_e32 v3, 29, v3
	v_lshlrev_b64 v[4:5], v4, v[11:12]
	v_and_b32_e32 v11, 7, v4
; %bb.280:                              ;   in Loop: Header=BB251_11 Depth=1
	s_or_b32 exec_lo, exec_lo, s22
	v_lshlrev_b32_e32 v4, 16, v2
	v_lshlrev_b32_e32 v5, 20, v11
	v_lshl_add_u32 v3, v3, 23, 0x3c000000
	v_mov_b32_e32 v0, v12
	v_and_b32_e32 v4, 0x80000000, v4
	v_or3_b32 v1, v5, v4, v3
	buffer_store_dword v0, off, s[0:3], s32 offset:464 ; 4-byte Folded Spill
	buffer_store_dword v1, off, s[0:3], s32 offset:468 ; 4-byte Folded Spill
.LBB251_281:                            ;   in Loop: Header=BB251_11 Depth=1
	s_or_b32 exec_lo, exec_lo, s21
.LBB251_282:                            ;   in Loop: Header=BB251_11 Depth=1
	s_or_b32 exec_lo, exec_lo, s17
.LBB251_283:                            ;   in Loop: Header=BB251_11 Depth=1
	s_or_b32 exec_lo, exec_lo, s13
	v_mov_b32_e32 v0, 0xff
	s_mov_b32 s13, exec_lo
	v_and_b32_sdwa v3, v2, v0 dst_sel:DWORD dst_unused:UNUSED_PAD src0_sel:WORD_1 src1_sel:DWORD
	v_mov_b32_e32 v0, 0
	v_mov_b32_e32 v1, 0
	buffer_store_dword v0, off, s[0:3], s32 offset:472 ; 4-byte Folded Spill
	buffer_store_dword v1, off, s[0:3], s32 offset:476 ; 4-byte Folded Spill
	v_mov_b32_e32 v0, 0
	v_mov_b32_e32 v1, 0
	buffer_store_dword v0, off, s[0:3], s32 offset:480 ; 4-byte Folded Spill
	buffer_store_dword v1, off, s[0:3], s32 offset:484 ; 4-byte Folded Spill
	v_cmpx_ne_u16_e32 0, v3
	s_cbranch_execz .LBB251_291
; %bb.284:                              ;   in Loop: Header=BB251_11 Depth=1
	v_bfrev_b32_e32 v0, 1
	v_mov_b32_e32 v1, 0
	s_mov_b32 s17, exec_lo
	buffer_store_dword v0, off, s[0:3], s32 offset:480 ; 4-byte Folded Spill
	buffer_store_dword v1, off, s[0:3], s32 offset:484 ; 4-byte Folded Spill
	v_cmpx_ne_u16_e32 0x80, v3
	s_cbranch_execz .LBB251_290
; %bb.285:                              ;   in Loop: Header=BB251_11 Depth=1
	v_mov_b32_e32 v0, 0x7f800001
	v_bfe_u32 v4, v2, 16, 7
	v_mov_b32_e32 v1, 0
	s_mov_b32 s21, exec_lo
	buffer_store_dword v0, off, s[0:3], s32 offset:480 ; 4-byte Folded Spill
	buffer_store_dword v1, off, s[0:3], s32 offset:484 ; 4-byte Folded Spill
	v_cmpx_ne_u32_e32 0x7f, v4
	s_cbranch_execz .LBB251_289
; %bb.286:                              ;   in Loop: Header=BB251_11 Depth=1
	v_mov_b32_e32 v0, 7
	v_lshrrev_b32_e32 v3, 3, v4
	s_mov_b32 s22, exec_lo
	v_and_b32_sdwa v11, v2, v0 dst_sel:DWORD dst_unused:UNUSED_PAD src0_sel:WORD_1 src1_sel:DWORD
	v_cmpx_gt_u32_e32 8, v4
; %bb.287:                              ;   in Loop: Header=BB251_11 Depth=1
	v_ffbh_u32_e32 v3, v11
	v_min_u32_e32 v3, 32, v3
	v_subrev_nc_u32_e32 v4, 28, v3
	v_sub_nc_u32_e32 v3, 29, v3
	v_lshlrev_b64 v[4:5], v4, v[11:12]
	v_and_b32_e32 v11, 7, v4
; %bb.288:                              ;   in Loop: Header=BB251_11 Depth=1
	s_or_b32 exec_lo, exec_lo, s22
	v_mov_b32_e32 v0, 24
	v_lshlrev_b32_e32 v5, 20, v11
	v_lshl_add_u32 v3, v3, 23, 0x3c000000
	v_lshlrev_b32_sdwa v4, v0, v2 dst_sel:DWORD dst_unused:UNUSED_PAD src0_sel:DWORD src1_sel:WORD_1
	v_and_b32_e32 v4, 0x80000000, v4
	v_or3_b32 v11, v5, v4, v3
	buffer_store_dword v11, off, s[0:3], s32 offset:480 ; 4-byte Folded Spill
	buffer_store_dword v12, off, s[0:3], s32 offset:484 ; 4-byte Folded Spill
.LBB251_289:                            ;   in Loop: Header=BB251_11 Depth=1
	s_or_b32 exec_lo, exec_lo, s21
.LBB251_290:                            ;   in Loop: Header=BB251_11 Depth=1
	s_or_b32 exec_lo, exec_lo, s17
.LBB251_291:                            ;   in Loop: Header=BB251_11 Depth=1
	s_or_b32 exec_lo, exec_lo, s13
	s_mov_b32 s13, exec_lo
	v_cmpx_lt_u32_e32 0xffffff, v2
	s_cbranch_execz .LBB251_299
; %bb.292:                              ;   in Loop: Header=BB251_11 Depth=1
	v_mov_b32_e32 v108, v12
	v_cmp_ne_u32_sdwa s5, v2, v6 src0_sel:BYTE_3 src1_sel:DWORD
	buffer_store_dword v108, off, s[0:3], s32 offset:472 ; 4-byte Folded Spill
	buffer_store_dword v109, off, s[0:3], s32 offset:476 ; 4-byte Folded Spill
	s_and_saveexec_b32 s17, s5
	s_cbranch_execz .LBB251_298
; %bb.293:                              ;   in Loop: Header=BB251_11 Depth=1
	v_bfe_u32 v4, v2, 24, 7
	v_mov_b32_e32 v106, v12
	s_mov_b32 s21, exec_lo
	buffer_store_dword v106, off, s[0:3], s32 offset:472 ; 4-byte Folded Spill
	buffer_store_dword v107, off, s[0:3], s32 offset:476 ; 4-byte Folded Spill
	v_cmpx_ne_u32_e32 0x7f, v4
	s_cbranch_execz .LBB251_297
; %bb.294:                              ;   in Loop: Header=BB251_11 Depth=1
	v_mov_b32_e32 v0, 7
	v_lshrrev_b32_e32 v3, 3, v4
	s_mov_b32 s22, exec_lo
	v_and_b32_sdwa v11, v2, v0 dst_sel:DWORD dst_unused:UNUSED_PAD src0_sel:BYTE_3 src1_sel:DWORD
	v_cmpx_gt_u32_e32 8, v4
; %bb.295:                              ;   in Loop: Header=BB251_11 Depth=1
	v_ffbh_u32_e32 v3, v11
	v_min_u32_e32 v3, 32, v3
	v_subrev_nc_u32_e32 v4, 28, v3
	v_sub_nc_u32_e32 v3, 29, v3
	v_lshlrev_b64 v[4:5], v4, v[11:12]
	v_and_b32_e32 v11, 7, v4
; %bb.296:                              ;   in Loop: Header=BB251_11 Depth=1
	s_or_b32 exec_lo, exec_lo, s22
	v_mov_b32_e32 v0, 24
	v_lshlrev_b32_e32 v4, 20, v11
	v_lshl_add_u32 v3, v3, 23, 0x3c000000
	v_lshlrev_b32_sdwa v2, v0, v2 dst_sel:DWORD dst_unused:UNUSED_PAD src0_sel:DWORD src1_sel:BYTE_3
	v_mov_b32_e32 v0, v12
	v_and_b32_e32 v2, 0x80000000, v2
	v_or3_b32 v1, v4, v2, v3
	buffer_store_dword v0, off, s[0:3], s32 offset:472 ; 4-byte Folded Spill
	buffer_store_dword v1, off, s[0:3], s32 offset:476 ; 4-byte Folded Spill
.LBB251_297:                            ;   in Loop: Header=BB251_11 Depth=1
	s_or_b32 exec_lo, exec_lo, s21
.LBB251_298:                            ;   in Loop: Header=BB251_11 Depth=1
	s_or_b32 exec_lo, exec_lo, s17
.LBB251_299:                            ;   in Loop: Header=BB251_11 Depth=1
	s_or_b32 exec_lo, exec_lo, s13
	flat_load_dword v2, v[120:121] offset:1028
	v_mov_b32_e32 v0, 0
	v_mov_b32_e32 v1, 0
	buffer_store_dword v0, off, s[0:3], s32 offset:496 ; 4-byte Folded Spill
	buffer_store_dword v1, off, s[0:3], s32 offset:500 ; 4-byte Folded Spill
	v_mov_b32_e32 v0, 0
	v_mov_b32_e32 v1, 0
	buffer_store_dword v0, off, s[0:3], s32 offset:488 ; 4-byte Folded Spill
	buffer_store_dword v1, off, s[0:3], s32 offset:492 ; 4-byte Folded Spill
	s_waitcnt vmcnt(0) lgkmcnt(0)
	v_cmp_ne_u16_sdwa s5, v2, v12 src0_sel:BYTE_0 src1_sel:DWORD
	s_and_saveexec_b32 s13, s5
	s_cbranch_execz .LBB251_307
; %bb.300:                              ;   in Loop: Header=BB251_11 Depth=1
	v_bfrev_b32_e32 v0, 1
	v_mov_b32_e32 v1, 0
	v_cmp_ne_u16_sdwa s5, v2, v6 src0_sel:BYTE_0 src1_sel:DWORD
	buffer_store_dword v0, off, s[0:3], s32 offset:488 ; 4-byte Folded Spill
	buffer_store_dword v1, off, s[0:3], s32 offset:492 ; 4-byte Folded Spill
	s_and_saveexec_b32 s17, s5
	s_cbranch_execz .LBB251_306
; %bb.301:                              ;   in Loop: Header=BB251_11 Depth=1
	v_mov_b32_e32 v0, 0x7f800001
	v_and_b32_e32 v4, 0x7f, v2
	v_mov_b32_e32 v1, 0
	s_mov_b32 s21, exec_lo
	buffer_store_dword v0, off, s[0:3], s32 offset:488 ; 4-byte Folded Spill
	buffer_store_dword v1, off, s[0:3], s32 offset:492 ; 4-byte Folded Spill
	v_cmpx_ne_u32_e32 0x7f, v4
	s_cbranch_execz .LBB251_305
; %bb.302:                              ;   in Loop: Header=BB251_11 Depth=1
	v_and_b32_e32 v11, 7, v2
	v_lshrrev_b32_e32 v3, 3, v4
	s_mov_b32 s22, exec_lo
	v_cmpx_gt_u32_e32 8, v4
; %bb.303:                              ;   in Loop: Header=BB251_11 Depth=1
	v_ffbh_u32_e32 v3, v11
	v_min_u32_e32 v3, 32, v3
	v_subrev_nc_u32_e32 v4, 28, v3
	v_sub_nc_u32_e32 v3, 29, v3
	v_lshlrev_b64 v[4:5], v4, v[11:12]
	v_and_b32_e32 v11, 7, v4
; %bb.304:                              ;   in Loop: Header=BB251_11 Depth=1
	s_or_b32 exec_lo, exec_lo, s22
	v_lshlrev_b32_e32 v4, 24, v2
	v_lshlrev_b32_e32 v5, 20, v11
	v_lshl_add_u32 v3, v3, 23, 0x3c000000
	v_and_b32_e32 v4, 0x80000000, v4
	v_or3_b32 v11, v5, v4, v3
	buffer_store_dword v11, off, s[0:3], s32 offset:488 ; 4-byte Folded Spill
	buffer_store_dword v12, off, s[0:3], s32 offset:492 ; 4-byte Folded Spill
.LBB251_305:                            ;   in Loop: Header=BB251_11 Depth=1
	s_or_b32 exec_lo, exec_lo, s21
.LBB251_306:                            ;   in Loop: Header=BB251_11 Depth=1
	s_or_b32 exec_lo, exec_lo, s17
.LBB251_307:                            ;   in Loop: Header=BB251_11 Depth=1
	s_or_b32 exec_lo, exec_lo, s13
	v_cmp_ne_u16_sdwa s5, v2, v12 src0_sel:BYTE_1 src1_sel:DWORD
	s_and_saveexec_b32 s13, s5
	s_cbranch_execz .LBB251_315
; %bb.308:                              ;   in Loop: Header=BB251_11 Depth=1
	v_mov_b32_e32 v108, v12
	v_cmp_ne_u16_sdwa s5, v2, v6 src0_sel:BYTE_1 src1_sel:DWORD
	buffer_store_dword v108, off, s[0:3], s32 offset:496 ; 4-byte Folded Spill
	buffer_store_dword v109, off, s[0:3], s32 offset:500 ; 4-byte Folded Spill
	s_and_saveexec_b32 s17, s5
	s_cbranch_execz .LBB251_314
; %bb.309:                              ;   in Loop: Header=BB251_11 Depth=1
	v_mov_b32_e32 v0, 0xffff
	v_mov_b32_e32 v106, v12
	s_mov_b32 s21, exec_lo
	buffer_store_dword v106, off, s[0:3], s32 offset:496 ; 4-byte Folded Spill
	buffer_store_dword v107, off, s[0:3], s32 offset:500 ; 4-byte Folded Spill
	v_and_b32_sdwa v3, v0, v2 dst_sel:DWORD dst_unused:UNUSED_PAD src0_sel:DWORD src1_sel:BYTE_1
	v_and_b32_e32 v4, 0x7f, v3
	v_cmpx_ne_u32_e32 0x7f, v4
	s_cbranch_execz .LBB251_313
; %bb.310:                              ;   in Loop: Header=BB251_11 Depth=1
	v_and_b32_e32 v11, 7, v3
	v_lshrrev_b32_e32 v3, 3, v4
	s_mov_b32 s22, exec_lo
	v_cmpx_gt_u32_e32 8, v4
; %bb.311:                              ;   in Loop: Header=BB251_11 Depth=1
	v_ffbh_u32_e32 v3, v11
	v_min_u32_e32 v3, 32, v3
	v_subrev_nc_u32_e32 v4, 28, v3
	v_sub_nc_u32_e32 v3, 29, v3
	v_lshlrev_b64 v[4:5], v4, v[11:12]
	v_and_b32_e32 v11, 7, v4
; %bb.312:                              ;   in Loop: Header=BB251_11 Depth=1
	s_or_b32 exec_lo, exec_lo, s22
	v_lshlrev_b32_e32 v4, 16, v2
	v_lshlrev_b32_e32 v5, 20, v11
	v_lshl_add_u32 v3, v3, 23, 0x3c000000
	v_mov_b32_e32 v0, v12
	v_and_b32_e32 v4, 0x80000000, v4
	v_or3_b32 v1, v5, v4, v3
	buffer_store_dword v0, off, s[0:3], s32 offset:496 ; 4-byte Folded Spill
	buffer_store_dword v1, off, s[0:3], s32 offset:500 ; 4-byte Folded Spill
.LBB251_313:                            ;   in Loop: Header=BB251_11 Depth=1
	s_or_b32 exec_lo, exec_lo, s21
.LBB251_314:                            ;   in Loop: Header=BB251_11 Depth=1
	s_or_b32 exec_lo, exec_lo, s17
.LBB251_315:                            ;   in Loop: Header=BB251_11 Depth=1
	s_or_b32 exec_lo, exec_lo, s13
	v_mov_b32_e32 v0, 0xff
	s_mov_b32 s13, exec_lo
	v_and_b32_sdwa v3, v2, v0 dst_sel:DWORD dst_unused:UNUSED_PAD src0_sel:WORD_1 src1_sel:DWORD
	v_mov_b32_e32 v0, 0
	v_mov_b32_e32 v1, 0
	buffer_store_dword v0, off, s[0:3], s32 offset:504 ; 4-byte Folded Spill
	buffer_store_dword v1, off, s[0:3], s32 offset:508 ; 4-byte Folded Spill
	v_mov_b32_e32 v0, 0
	v_mov_b32_e32 v1, 0
	buffer_store_dword v0, off, s[0:3], s32 offset:512 ; 4-byte Folded Spill
	buffer_store_dword v1, off, s[0:3], s32 offset:516 ; 4-byte Folded Spill
	v_cmpx_ne_u16_e32 0, v3
	s_cbranch_execz .LBB251_323
; %bb.316:                              ;   in Loop: Header=BB251_11 Depth=1
	v_bfrev_b32_e32 v0, 1
	v_mov_b32_e32 v1, 0
	s_mov_b32 s17, exec_lo
	buffer_store_dword v0, off, s[0:3], s32 offset:512 ; 4-byte Folded Spill
	buffer_store_dword v1, off, s[0:3], s32 offset:516 ; 4-byte Folded Spill
	v_cmpx_ne_u16_e32 0x80, v3
	s_cbranch_execz .LBB251_322
; %bb.317:                              ;   in Loop: Header=BB251_11 Depth=1
	v_mov_b32_e32 v0, 0x7f800001
	v_bfe_u32 v4, v2, 16, 7
	v_mov_b32_e32 v1, 0
	s_mov_b32 s21, exec_lo
	buffer_store_dword v0, off, s[0:3], s32 offset:512 ; 4-byte Folded Spill
	buffer_store_dword v1, off, s[0:3], s32 offset:516 ; 4-byte Folded Spill
	v_cmpx_ne_u32_e32 0x7f, v4
	s_cbranch_execz .LBB251_321
; %bb.318:                              ;   in Loop: Header=BB251_11 Depth=1
	v_mov_b32_e32 v0, 7
	v_lshrrev_b32_e32 v3, 3, v4
	s_mov_b32 s22, exec_lo
	v_and_b32_sdwa v11, v2, v0 dst_sel:DWORD dst_unused:UNUSED_PAD src0_sel:WORD_1 src1_sel:DWORD
	v_cmpx_gt_u32_e32 8, v4
; %bb.319:                              ;   in Loop: Header=BB251_11 Depth=1
	v_ffbh_u32_e32 v3, v11
	v_min_u32_e32 v3, 32, v3
	v_subrev_nc_u32_e32 v4, 28, v3
	v_sub_nc_u32_e32 v3, 29, v3
	v_lshlrev_b64 v[4:5], v4, v[11:12]
	v_and_b32_e32 v11, 7, v4
; %bb.320:                              ;   in Loop: Header=BB251_11 Depth=1
	s_or_b32 exec_lo, exec_lo, s22
	v_mov_b32_e32 v0, 24
	v_lshlrev_b32_e32 v5, 20, v11
	v_lshl_add_u32 v3, v3, 23, 0x3c000000
	v_lshlrev_b32_sdwa v4, v0, v2 dst_sel:DWORD dst_unused:UNUSED_PAD src0_sel:DWORD src1_sel:WORD_1
	v_and_b32_e32 v4, 0x80000000, v4
	v_or3_b32 v11, v5, v4, v3
	buffer_store_dword v11, off, s[0:3], s32 offset:512 ; 4-byte Folded Spill
	buffer_store_dword v12, off, s[0:3], s32 offset:516 ; 4-byte Folded Spill
.LBB251_321:                            ;   in Loop: Header=BB251_11 Depth=1
	s_or_b32 exec_lo, exec_lo, s21
.LBB251_322:                            ;   in Loop: Header=BB251_11 Depth=1
	s_or_b32 exec_lo, exec_lo, s17
.LBB251_323:                            ;   in Loop: Header=BB251_11 Depth=1
	s_or_b32 exec_lo, exec_lo, s13
	s_mov_b32 s13, exec_lo
	v_cmpx_lt_u32_e32 0xffffff, v2
	s_cbranch_execz .LBB251_331
; %bb.324:                              ;   in Loop: Header=BB251_11 Depth=1
	v_mov_b32_e32 v108, v12
	v_cmp_ne_u32_sdwa s5, v2, v6 src0_sel:BYTE_3 src1_sel:DWORD
	buffer_store_dword v108, off, s[0:3], s32 offset:504 ; 4-byte Folded Spill
	buffer_store_dword v109, off, s[0:3], s32 offset:508 ; 4-byte Folded Spill
	s_and_saveexec_b32 s17, s5
	s_cbranch_execz .LBB251_330
; %bb.325:                              ;   in Loop: Header=BB251_11 Depth=1
	v_bfe_u32 v4, v2, 24, 7
	v_mov_b32_e32 v106, v12
	s_mov_b32 s21, exec_lo
	buffer_store_dword v106, off, s[0:3], s32 offset:504 ; 4-byte Folded Spill
	buffer_store_dword v107, off, s[0:3], s32 offset:508 ; 4-byte Folded Spill
	v_cmpx_ne_u32_e32 0x7f, v4
	s_cbranch_execz .LBB251_329
; %bb.326:                              ;   in Loop: Header=BB251_11 Depth=1
	v_mov_b32_e32 v0, 7
	v_lshrrev_b32_e32 v3, 3, v4
	s_mov_b32 s22, exec_lo
	v_and_b32_sdwa v11, v2, v0 dst_sel:DWORD dst_unused:UNUSED_PAD src0_sel:BYTE_3 src1_sel:DWORD
	v_cmpx_gt_u32_e32 8, v4
; %bb.327:                              ;   in Loop: Header=BB251_11 Depth=1
	v_ffbh_u32_e32 v3, v11
	v_min_u32_e32 v3, 32, v3
	v_subrev_nc_u32_e32 v4, 28, v3
	v_sub_nc_u32_e32 v3, 29, v3
	v_lshlrev_b64 v[4:5], v4, v[11:12]
	v_and_b32_e32 v11, 7, v4
; %bb.328:                              ;   in Loop: Header=BB251_11 Depth=1
	s_or_b32 exec_lo, exec_lo, s22
	v_mov_b32_e32 v0, 24
	v_lshlrev_b32_e32 v4, 20, v11
	v_lshl_add_u32 v3, v3, 23, 0x3c000000
	v_lshlrev_b32_sdwa v2, v0, v2 dst_sel:DWORD dst_unused:UNUSED_PAD src0_sel:DWORD src1_sel:BYTE_3
	v_mov_b32_e32 v0, v12
	v_and_b32_e32 v2, 0x80000000, v2
	v_or3_b32 v1, v4, v2, v3
	buffer_store_dword v0, off, s[0:3], s32 offset:504 ; 4-byte Folded Spill
	buffer_store_dword v1, off, s[0:3], s32 offset:508 ; 4-byte Folded Spill
.LBB251_329:                            ;   in Loop: Header=BB251_11 Depth=1
	s_or_b32 exec_lo, exec_lo, s21
.LBB251_330:                            ;   in Loop: Header=BB251_11 Depth=1
	s_or_b32 exec_lo, exec_lo, s17
.LBB251_331:                            ;   in Loop: Header=BB251_11 Depth=1
	s_or_b32 exec_lo, exec_lo, s13
	flat_load_dword v2, v[120:121] offset:1032
	v_mov_b32_e32 v0, 0
	v_mov_b32_e32 v1, 0
	buffer_store_dword v0, off, s[0:3], s32 offset:528 ; 4-byte Folded Spill
	buffer_store_dword v1, off, s[0:3], s32 offset:532 ; 4-byte Folded Spill
	v_mov_b32_e32 v0, 0
	v_mov_b32_e32 v1, 0
	buffer_store_dword v0, off, s[0:3], s32 offset:520 ; 4-byte Folded Spill
	buffer_store_dword v1, off, s[0:3], s32 offset:524 ; 4-byte Folded Spill
	s_waitcnt vmcnt(0) lgkmcnt(0)
	v_cmp_ne_u16_sdwa s5, v2, v12 src0_sel:BYTE_0 src1_sel:DWORD
	s_and_saveexec_b32 s13, s5
	s_cbranch_execz .LBB251_339
; %bb.332:                              ;   in Loop: Header=BB251_11 Depth=1
	v_bfrev_b32_e32 v0, 1
	v_mov_b32_e32 v1, 0
	v_cmp_ne_u16_sdwa s5, v2, v6 src0_sel:BYTE_0 src1_sel:DWORD
	buffer_store_dword v0, off, s[0:3], s32 offset:520 ; 4-byte Folded Spill
	buffer_store_dword v1, off, s[0:3], s32 offset:524 ; 4-byte Folded Spill
	s_and_saveexec_b32 s17, s5
	s_cbranch_execz .LBB251_338
; %bb.333:                              ;   in Loop: Header=BB251_11 Depth=1
	v_mov_b32_e32 v0, 0x7f800001
	v_and_b32_e32 v4, 0x7f, v2
	v_mov_b32_e32 v1, 0
	s_mov_b32 s21, exec_lo
	buffer_store_dword v0, off, s[0:3], s32 offset:520 ; 4-byte Folded Spill
	buffer_store_dword v1, off, s[0:3], s32 offset:524 ; 4-byte Folded Spill
	v_cmpx_ne_u32_e32 0x7f, v4
	s_cbranch_execz .LBB251_337
; %bb.334:                              ;   in Loop: Header=BB251_11 Depth=1
	v_and_b32_e32 v11, 7, v2
	v_lshrrev_b32_e32 v3, 3, v4
	s_mov_b32 s22, exec_lo
	v_cmpx_gt_u32_e32 8, v4
; %bb.335:                              ;   in Loop: Header=BB251_11 Depth=1
	v_ffbh_u32_e32 v3, v11
	v_min_u32_e32 v3, 32, v3
	v_subrev_nc_u32_e32 v4, 28, v3
	v_sub_nc_u32_e32 v3, 29, v3
	v_lshlrev_b64 v[4:5], v4, v[11:12]
	v_and_b32_e32 v11, 7, v4
; %bb.336:                              ;   in Loop: Header=BB251_11 Depth=1
	s_or_b32 exec_lo, exec_lo, s22
	v_lshlrev_b32_e32 v4, 24, v2
	v_lshlrev_b32_e32 v5, 20, v11
	v_lshl_add_u32 v3, v3, 23, 0x3c000000
	v_and_b32_e32 v4, 0x80000000, v4
	v_or3_b32 v11, v5, v4, v3
	buffer_store_dword v11, off, s[0:3], s32 offset:520 ; 4-byte Folded Spill
	buffer_store_dword v12, off, s[0:3], s32 offset:524 ; 4-byte Folded Spill
.LBB251_337:                            ;   in Loop: Header=BB251_11 Depth=1
	s_or_b32 exec_lo, exec_lo, s21
.LBB251_338:                            ;   in Loop: Header=BB251_11 Depth=1
	s_or_b32 exec_lo, exec_lo, s17
.LBB251_339:                            ;   in Loop: Header=BB251_11 Depth=1
	s_or_b32 exec_lo, exec_lo, s13
	v_cmp_ne_u16_sdwa s5, v2, v12 src0_sel:BYTE_1 src1_sel:DWORD
	s_and_saveexec_b32 s13, s5
	s_cbranch_execz .LBB251_347
; %bb.340:                              ;   in Loop: Header=BB251_11 Depth=1
	v_mov_b32_e32 v108, v12
	v_cmp_ne_u16_sdwa s5, v2, v6 src0_sel:BYTE_1 src1_sel:DWORD
	buffer_store_dword v108, off, s[0:3], s32 offset:528 ; 4-byte Folded Spill
	buffer_store_dword v109, off, s[0:3], s32 offset:532 ; 4-byte Folded Spill
	s_and_saveexec_b32 s17, s5
	s_cbranch_execz .LBB251_346
; %bb.341:                              ;   in Loop: Header=BB251_11 Depth=1
	v_mov_b32_e32 v0, 0xffff
	v_mov_b32_e32 v106, v12
	s_mov_b32 s21, exec_lo
	buffer_store_dword v106, off, s[0:3], s32 offset:528 ; 4-byte Folded Spill
	buffer_store_dword v107, off, s[0:3], s32 offset:532 ; 4-byte Folded Spill
	v_and_b32_sdwa v3, v0, v2 dst_sel:DWORD dst_unused:UNUSED_PAD src0_sel:DWORD src1_sel:BYTE_1
	v_and_b32_e32 v4, 0x7f, v3
	v_cmpx_ne_u32_e32 0x7f, v4
	s_cbranch_execz .LBB251_345
; %bb.342:                              ;   in Loop: Header=BB251_11 Depth=1
	v_and_b32_e32 v11, 7, v3
	v_lshrrev_b32_e32 v3, 3, v4
	s_mov_b32 s22, exec_lo
	v_cmpx_gt_u32_e32 8, v4
; %bb.343:                              ;   in Loop: Header=BB251_11 Depth=1
	v_ffbh_u32_e32 v3, v11
	v_min_u32_e32 v3, 32, v3
	v_subrev_nc_u32_e32 v4, 28, v3
	v_sub_nc_u32_e32 v3, 29, v3
	v_lshlrev_b64 v[4:5], v4, v[11:12]
	v_and_b32_e32 v11, 7, v4
; %bb.344:                              ;   in Loop: Header=BB251_11 Depth=1
	s_or_b32 exec_lo, exec_lo, s22
	v_lshlrev_b32_e32 v4, 16, v2
	v_lshlrev_b32_e32 v5, 20, v11
	v_lshl_add_u32 v3, v3, 23, 0x3c000000
	v_mov_b32_e32 v0, v12
	v_and_b32_e32 v4, 0x80000000, v4
	v_or3_b32 v1, v5, v4, v3
	buffer_store_dword v0, off, s[0:3], s32 offset:528 ; 4-byte Folded Spill
	buffer_store_dword v1, off, s[0:3], s32 offset:532 ; 4-byte Folded Spill
.LBB251_345:                            ;   in Loop: Header=BB251_11 Depth=1
	s_or_b32 exec_lo, exec_lo, s21
.LBB251_346:                            ;   in Loop: Header=BB251_11 Depth=1
	s_or_b32 exec_lo, exec_lo, s17
.LBB251_347:                            ;   in Loop: Header=BB251_11 Depth=1
	s_or_b32 exec_lo, exec_lo, s13
	v_mov_b32_e32 v0, 0xff
	s_mov_b32 s13, exec_lo
	v_and_b32_sdwa v3, v2, v0 dst_sel:DWORD dst_unused:UNUSED_PAD src0_sel:WORD_1 src1_sel:DWORD
	v_mov_b32_e32 v0, 0
	v_mov_b32_e32 v1, 0
	buffer_store_dword v0, off, s[0:3], s32 offset:536 ; 4-byte Folded Spill
	buffer_store_dword v1, off, s[0:3], s32 offset:540 ; 4-byte Folded Spill
	v_mov_b32_e32 v0, 0
	v_mov_b32_e32 v1, 0
	buffer_store_dword v0, off, s[0:3], s32 offset:544 ; 4-byte Folded Spill
	buffer_store_dword v1, off, s[0:3], s32 offset:548 ; 4-byte Folded Spill
	v_cmpx_ne_u16_e32 0, v3
	s_cbranch_execz .LBB251_355
; %bb.348:                              ;   in Loop: Header=BB251_11 Depth=1
	v_bfrev_b32_e32 v0, 1
	v_mov_b32_e32 v1, 0
	s_mov_b32 s17, exec_lo
	buffer_store_dword v0, off, s[0:3], s32 offset:544 ; 4-byte Folded Spill
	buffer_store_dword v1, off, s[0:3], s32 offset:548 ; 4-byte Folded Spill
	v_cmpx_ne_u16_e32 0x80, v3
	s_cbranch_execz .LBB251_354
; %bb.349:                              ;   in Loop: Header=BB251_11 Depth=1
	v_mov_b32_e32 v0, 0x7f800001
	v_bfe_u32 v4, v2, 16, 7
	v_mov_b32_e32 v1, 0
	s_mov_b32 s21, exec_lo
	buffer_store_dword v0, off, s[0:3], s32 offset:544 ; 4-byte Folded Spill
	buffer_store_dword v1, off, s[0:3], s32 offset:548 ; 4-byte Folded Spill
	v_cmpx_ne_u32_e32 0x7f, v4
	s_cbranch_execz .LBB251_353
; %bb.350:                              ;   in Loop: Header=BB251_11 Depth=1
	v_mov_b32_e32 v0, 7
	v_lshrrev_b32_e32 v3, 3, v4
	s_mov_b32 s22, exec_lo
	v_and_b32_sdwa v11, v2, v0 dst_sel:DWORD dst_unused:UNUSED_PAD src0_sel:WORD_1 src1_sel:DWORD
	v_cmpx_gt_u32_e32 8, v4
; %bb.351:                              ;   in Loop: Header=BB251_11 Depth=1
	v_ffbh_u32_e32 v3, v11
	v_min_u32_e32 v3, 32, v3
	v_subrev_nc_u32_e32 v4, 28, v3
	v_sub_nc_u32_e32 v3, 29, v3
	v_lshlrev_b64 v[4:5], v4, v[11:12]
	v_and_b32_e32 v11, 7, v4
; %bb.352:                              ;   in Loop: Header=BB251_11 Depth=1
	s_or_b32 exec_lo, exec_lo, s22
	v_mov_b32_e32 v0, 24
	v_lshlrev_b32_e32 v5, 20, v11
	v_lshl_add_u32 v3, v3, 23, 0x3c000000
	v_lshlrev_b32_sdwa v4, v0, v2 dst_sel:DWORD dst_unused:UNUSED_PAD src0_sel:DWORD src1_sel:WORD_1
	v_and_b32_e32 v4, 0x80000000, v4
	v_or3_b32 v11, v5, v4, v3
	buffer_store_dword v11, off, s[0:3], s32 offset:544 ; 4-byte Folded Spill
	buffer_store_dword v12, off, s[0:3], s32 offset:548 ; 4-byte Folded Spill
.LBB251_353:                            ;   in Loop: Header=BB251_11 Depth=1
	s_or_b32 exec_lo, exec_lo, s21
.LBB251_354:                            ;   in Loop: Header=BB251_11 Depth=1
	s_or_b32 exec_lo, exec_lo, s17
.LBB251_355:                            ;   in Loop: Header=BB251_11 Depth=1
	s_or_b32 exec_lo, exec_lo, s13
	s_mov_b32 s13, exec_lo
	v_cmpx_lt_u32_e32 0xffffff, v2
	s_cbranch_execz .LBB251_363
; %bb.356:                              ;   in Loop: Header=BB251_11 Depth=1
	v_mov_b32_e32 v108, v12
	v_cmp_ne_u32_sdwa s5, v2, v6 src0_sel:BYTE_3 src1_sel:DWORD
	buffer_store_dword v108, off, s[0:3], s32 offset:536 ; 4-byte Folded Spill
	buffer_store_dword v109, off, s[0:3], s32 offset:540 ; 4-byte Folded Spill
	s_and_saveexec_b32 s17, s5
	s_cbranch_execz .LBB251_362
; %bb.357:                              ;   in Loop: Header=BB251_11 Depth=1
	v_bfe_u32 v4, v2, 24, 7
	v_mov_b32_e32 v106, v12
	s_mov_b32 s21, exec_lo
	buffer_store_dword v106, off, s[0:3], s32 offset:536 ; 4-byte Folded Spill
	buffer_store_dword v107, off, s[0:3], s32 offset:540 ; 4-byte Folded Spill
	v_cmpx_ne_u32_e32 0x7f, v4
	s_cbranch_execz .LBB251_361
; %bb.358:                              ;   in Loop: Header=BB251_11 Depth=1
	v_mov_b32_e32 v0, 7
	v_lshrrev_b32_e32 v3, 3, v4
	s_mov_b32 s22, exec_lo
	v_and_b32_sdwa v11, v2, v0 dst_sel:DWORD dst_unused:UNUSED_PAD src0_sel:BYTE_3 src1_sel:DWORD
	v_cmpx_gt_u32_e32 8, v4
; %bb.359:                              ;   in Loop: Header=BB251_11 Depth=1
	v_ffbh_u32_e32 v3, v11
	v_min_u32_e32 v3, 32, v3
	v_subrev_nc_u32_e32 v4, 28, v3
	v_sub_nc_u32_e32 v3, 29, v3
	v_lshlrev_b64 v[4:5], v4, v[11:12]
	v_and_b32_e32 v11, 7, v4
; %bb.360:                              ;   in Loop: Header=BB251_11 Depth=1
	s_or_b32 exec_lo, exec_lo, s22
	v_mov_b32_e32 v0, 24
	v_lshlrev_b32_e32 v4, 20, v11
	v_lshl_add_u32 v3, v3, 23, 0x3c000000
	v_lshlrev_b32_sdwa v2, v0, v2 dst_sel:DWORD dst_unused:UNUSED_PAD src0_sel:DWORD src1_sel:BYTE_3
	v_mov_b32_e32 v0, v12
	v_and_b32_e32 v2, 0x80000000, v2
	v_or3_b32 v1, v4, v2, v3
	buffer_store_dword v0, off, s[0:3], s32 offset:536 ; 4-byte Folded Spill
	buffer_store_dword v1, off, s[0:3], s32 offset:540 ; 4-byte Folded Spill
.LBB251_361:                            ;   in Loop: Header=BB251_11 Depth=1
	s_or_b32 exec_lo, exec_lo, s21
.LBB251_362:                            ;   in Loop: Header=BB251_11 Depth=1
	s_or_b32 exec_lo, exec_lo, s17
.LBB251_363:                            ;   in Loop: Header=BB251_11 Depth=1
	s_or_b32 exec_lo, exec_lo, s13
	flat_load_dword v2, v[120:121] offset:1036
	v_mov_b32_e32 v0, 0
	v_mov_b32_e32 v1, 0
	buffer_store_dword v0, off, s[0:3], s32 offset:560 ; 4-byte Folded Spill
	buffer_store_dword v1, off, s[0:3], s32 offset:564 ; 4-byte Folded Spill
	v_mov_b32_e32 v0, 0
	v_mov_b32_e32 v1, 0
	buffer_store_dword v0, off, s[0:3], s32 offset:552 ; 4-byte Folded Spill
	buffer_store_dword v1, off, s[0:3], s32 offset:556 ; 4-byte Folded Spill
	s_waitcnt vmcnt(0) lgkmcnt(0)
	v_cmp_ne_u16_sdwa s5, v2, v12 src0_sel:BYTE_0 src1_sel:DWORD
	s_and_saveexec_b32 s13, s5
	s_cbranch_execz .LBB251_371
; %bb.364:                              ;   in Loop: Header=BB251_11 Depth=1
	v_bfrev_b32_e32 v0, 1
	v_mov_b32_e32 v1, 0
	v_cmp_ne_u16_sdwa s5, v2, v6 src0_sel:BYTE_0 src1_sel:DWORD
	buffer_store_dword v0, off, s[0:3], s32 offset:552 ; 4-byte Folded Spill
	buffer_store_dword v1, off, s[0:3], s32 offset:556 ; 4-byte Folded Spill
	s_and_saveexec_b32 s17, s5
	s_cbranch_execz .LBB251_370
; %bb.365:                              ;   in Loop: Header=BB251_11 Depth=1
	v_mov_b32_e32 v0, 0x7f800001
	v_and_b32_e32 v4, 0x7f, v2
	v_mov_b32_e32 v1, 0
	s_mov_b32 s21, exec_lo
	buffer_store_dword v0, off, s[0:3], s32 offset:552 ; 4-byte Folded Spill
	buffer_store_dword v1, off, s[0:3], s32 offset:556 ; 4-byte Folded Spill
	v_cmpx_ne_u32_e32 0x7f, v4
	s_cbranch_execz .LBB251_369
; %bb.366:                              ;   in Loop: Header=BB251_11 Depth=1
	v_and_b32_e32 v11, 7, v2
	v_lshrrev_b32_e32 v3, 3, v4
	s_mov_b32 s22, exec_lo
	v_cmpx_gt_u32_e32 8, v4
; %bb.367:                              ;   in Loop: Header=BB251_11 Depth=1
	v_ffbh_u32_e32 v3, v11
	v_min_u32_e32 v3, 32, v3
	v_subrev_nc_u32_e32 v4, 28, v3
	v_sub_nc_u32_e32 v3, 29, v3
	v_lshlrev_b64 v[4:5], v4, v[11:12]
	v_and_b32_e32 v11, 7, v4
; %bb.368:                              ;   in Loop: Header=BB251_11 Depth=1
	s_or_b32 exec_lo, exec_lo, s22
	v_lshlrev_b32_e32 v4, 24, v2
	v_lshlrev_b32_e32 v5, 20, v11
	v_lshl_add_u32 v3, v3, 23, 0x3c000000
	v_and_b32_e32 v4, 0x80000000, v4
	v_or3_b32 v11, v5, v4, v3
	buffer_store_dword v11, off, s[0:3], s32 offset:552 ; 4-byte Folded Spill
	buffer_store_dword v12, off, s[0:3], s32 offset:556 ; 4-byte Folded Spill
.LBB251_369:                            ;   in Loop: Header=BB251_11 Depth=1
	s_or_b32 exec_lo, exec_lo, s21
.LBB251_370:                            ;   in Loop: Header=BB251_11 Depth=1
	s_or_b32 exec_lo, exec_lo, s17
.LBB251_371:                            ;   in Loop: Header=BB251_11 Depth=1
	s_or_b32 exec_lo, exec_lo, s13
	v_cmp_ne_u16_sdwa s5, v2, v12 src0_sel:BYTE_1 src1_sel:DWORD
	s_and_saveexec_b32 s13, s5
	s_cbranch_execz .LBB251_379
; %bb.372:                              ;   in Loop: Header=BB251_11 Depth=1
	v_mov_b32_e32 v108, v12
	v_cmp_ne_u16_sdwa s5, v2, v6 src0_sel:BYTE_1 src1_sel:DWORD
	buffer_store_dword v108, off, s[0:3], s32 offset:560 ; 4-byte Folded Spill
	buffer_store_dword v109, off, s[0:3], s32 offset:564 ; 4-byte Folded Spill
	s_and_saveexec_b32 s17, s5
	s_cbranch_execz .LBB251_378
; %bb.373:                              ;   in Loop: Header=BB251_11 Depth=1
	v_mov_b32_e32 v0, 0xffff
	v_mov_b32_e32 v106, v12
	s_mov_b32 s21, exec_lo
	buffer_store_dword v106, off, s[0:3], s32 offset:560 ; 4-byte Folded Spill
	buffer_store_dword v107, off, s[0:3], s32 offset:564 ; 4-byte Folded Spill
	v_and_b32_sdwa v3, v0, v2 dst_sel:DWORD dst_unused:UNUSED_PAD src0_sel:DWORD src1_sel:BYTE_1
	v_and_b32_e32 v4, 0x7f, v3
	v_cmpx_ne_u32_e32 0x7f, v4
	s_cbranch_execz .LBB251_377
; %bb.374:                              ;   in Loop: Header=BB251_11 Depth=1
	v_and_b32_e32 v11, 7, v3
	v_lshrrev_b32_e32 v3, 3, v4
	s_mov_b32 s22, exec_lo
	v_cmpx_gt_u32_e32 8, v4
; %bb.375:                              ;   in Loop: Header=BB251_11 Depth=1
	v_ffbh_u32_e32 v3, v11
	v_min_u32_e32 v3, 32, v3
	v_subrev_nc_u32_e32 v4, 28, v3
	v_sub_nc_u32_e32 v3, 29, v3
	v_lshlrev_b64 v[4:5], v4, v[11:12]
	v_and_b32_e32 v11, 7, v4
; %bb.376:                              ;   in Loop: Header=BB251_11 Depth=1
	s_or_b32 exec_lo, exec_lo, s22
	v_lshlrev_b32_e32 v4, 16, v2
	v_lshlrev_b32_e32 v5, 20, v11
	v_lshl_add_u32 v3, v3, 23, 0x3c000000
	v_mov_b32_e32 v0, v12
	v_and_b32_e32 v4, 0x80000000, v4
	v_or3_b32 v1, v5, v4, v3
	buffer_store_dword v0, off, s[0:3], s32 offset:560 ; 4-byte Folded Spill
	buffer_store_dword v1, off, s[0:3], s32 offset:564 ; 4-byte Folded Spill
.LBB251_377:                            ;   in Loop: Header=BB251_11 Depth=1
	s_or_b32 exec_lo, exec_lo, s21
.LBB251_378:                            ;   in Loop: Header=BB251_11 Depth=1
	s_or_b32 exec_lo, exec_lo, s17
.LBB251_379:                            ;   in Loop: Header=BB251_11 Depth=1
	s_or_b32 exec_lo, exec_lo, s13
	v_mov_b32_e32 v0, 0xff
	s_mov_b32 s13, exec_lo
	v_and_b32_sdwa v3, v2, v0 dst_sel:DWORD dst_unused:UNUSED_PAD src0_sel:WORD_1 src1_sel:DWORD
	v_mov_b32_e32 v0, 0
	v_mov_b32_e32 v1, 0
	buffer_store_dword v0, off, s[0:3], s32 offset:568 ; 4-byte Folded Spill
	buffer_store_dword v1, off, s[0:3], s32 offset:572 ; 4-byte Folded Spill
	v_mov_b32_e32 v0, 0
	v_mov_b32_e32 v1, 0
	buffer_store_dword v0, off, s[0:3], s32 offset:576 ; 4-byte Folded Spill
	buffer_store_dword v1, off, s[0:3], s32 offset:580 ; 4-byte Folded Spill
	v_cmpx_ne_u16_e32 0, v3
	s_cbranch_execz .LBB251_387
; %bb.380:                              ;   in Loop: Header=BB251_11 Depth=1
	v_bfrev_b32_e32 v0, 1
	v_mov_b32_e32 v1, 0
	s_mov_b32 s17, exec_lo
	buffer_store_dword v0, off, s[0:3], s32 offset:576 ; 4-byte Folded Spill
	buffer_store_dword v1, off, s[0:3], s32 offset:580 ; 4-byte Folded Spill
	v_cmpx_ne_u16_e32 0x80, v3
	s_cbranch_execz .LBB251_386
; %bb.381:                              ;   in Loop: Header=BB251_11 Depth=1
	v_mov_b32_e32 v0, 0x7f800001
	v_bfe_u32 v4, v2, 16, 7
	v_mov_b32_e32 v1, 0
	s_mov_b32 s21, exec_lo
	buffer_store_dword v0, off, s[0:3], s32 offset:576 ; 4-byte Folded Spill
	buffer_store_dword v1, off, s[0:3], s32 offset:580 ; 4-byte Folded Spill
	v_cmpx_ne_u32_e32 0x7f, v4
	s_cbranch_execz .LBB251_385
; %bb.382:                              ;   in Loop: Header=BB251_11 Depth=1
	v_mov_b32_e32 v0, 7
	v_lshrrev_b32_e32 v3, 3, v4
	s_mov_b32 s22, exec_lo
	v_and_b32_sdwa v11, v2, v0 dst_sel:DWORD dst_unused:UNUSED_PAD src0_sel:WORD_1 src1_sel:DWORD
	v_cmpx_gt_u32_e32 8, v4
; %bb.383:                              ;   in Loop: Header=BB251_11 Depth=1
	v_ffbh_u32_e32 v3, v11
	v_min_u32_e32 v3, 32, v3
	v_subrev_nc_u32_e32 v4, 28, v3
	v_sub_nc_u32_e32 v3, 29, v3
	v_lshlrev_b64 v[4:5], v4, v[11:12]
	v_and_b32_e32 v11, 7, v4
; %bb.384:                              ;   in Loop: Header=BB251_11 Depth=1
	s_or_b32 exec_lo, exec_lo, s22
	v_mov_b32_e32 v0, 24
	v_lshlrev_b32_e32 v5, 20, v11
	v_lshl_add_u32 v3, v3, 23, 0x3c000000
	v_lshlrev_b32_sdwa v4, v0, v2 dst_sel:DWORD dst_unused:UNUSED_PAD src0_sel:DWORD src1_sel:WORD_1
	v_and_b32_e32 v4, 0x80000000, v4
	v_or3_b32 v11, v5, v4, v3
	buffer_store_dword v11, off, s[0:3], s32 offset:576 ; 4-byte Folded Spill
	buffer_store_dword v12, off, s[0:3], s32 offset:580 ; 4-byte Folded Spill
.LBB251_385:                            ;   in Loop: Header=BB251_11 Depth=1
	s_or_b32 exec_lo, exec_lo, s21
.LBB251_386:                            ;   in Loop: Header=BB251_11 Depth=1
	s_or_b32 exec_lo, exec_lo, s17
.LBB251_387:                            ;   in Loop: Header=BB251_11 Depth=1
	s_or_b32 exec_lo, exec_lo, s13
	s_mov_b32 s13, exec_lo
	v_cmpx_lt_u32_e32 0xffffff, v2
	s_cbranch_execz .LBB251_395
; %bb.388:                              ;   in Loop: Header=BB251_11 Depth=1
	v_mov_b32_e32 v108, v12
	v_cmp_ne_u32_sdwa s5, v2, v6 src0_sel:BYTE_3 src1_sel:DWORD
	buffer_store_dword v108, off, s[0:3], s32 offset:568 ; 4-byte Folded Spill
	buffer_store_dword v109, off, s[0:3], s32 offset:572 ; 4-byte Folded Spill
	s_and_saveexec_b32 s17, s5
	s_cbranch_execz .LBB251_394
; %bb.389:                              ;   in Loop: Header=BB251_11 Depth=1
	v_bfe_u32 v4, v2, 24, 7
	v_mov_b32_e32 v106, v12
	s_mov_b32 s21, exec_lo
	buffer_store_dword v106, off, s[0:3], s32 offset:568 ; 4-byte Folded Spill
	buffer_store_dword v107, off, s[0:3], s32 offset:572 ; 4-byte Folded Spill
	v_cmpx_ne_u32_e32 0x7f, v4
	s_cbranch_execz .LBB251_393
; %bb.390:                              ;   in Loop: Header=BB251_11 Depth=1
	v_mov_b32_e32 v0, 7
	v_lshrrev_b32_e32 v3, 3, v4
	s_mov_b32 s22, exec_lo
	v_and_b32_sdwa v11, v2, v0 dst_sel:DWORD dst_unused:UNUSED_PAD src0_sel:BYTE_3 src1_sel:DWORD
	v_cmpx_gt_u32_e32 8, v4
; %bb.391:                              ;   in Loop: Header=BB251_11 Depth=1
	v_ffbh_u32_e32 v3, v11
	v_min_u32_e32 v3, 32, v3
	v_subrev_nc_u32_e32 v4, 28, v3
	v_sub_nc_u32_e32 v3, 29, v3
	v_lshlrev_b64 v[4:5], v4, v[11:12]
	v_and_b32_e32 v11, 7, v4
; %bb.392:                              ;   in Loop: Header=BB251_11 Depth=1
	s_or_b32 exec_lo, exec_lo, s22
	v_mov_b32_e32 v0, 24
	v_lshlrev_b32_e32 v4, 20, v11
	v_lshl_add_u32 v3, v3, 23, 0x3c000000
	v_lshlrev_b32_sdwa v2, v0, v2 dst_sel:DWORD dst_unused:UNUSED_PAD src0_sel:DWORD src1_sel:BYTE_3
	v_mov_b32_e32 v0, v12
	v_and_b32_e32 v2, 0x80000000, v2
	v_or3_b32 v1, v4, v2, v3
	buffer_store_dword v0, off, s[0:3], s32 offset:568 ; 4-byte Folded Spill
	buffer_store_dword v1, off, s[0:3], s32 offset:572 ; 4-byte Folded Spill
.LBB251_393:                            ;   in Loop: Header=BB251_11 Depth=1
	s_or_b32 exec_lo, exec_lo, s21
.LBB251_394:                            ;   in Loop: Header=BB251_11 Depth=1
	s_or_b32 exec_lo, exec_lo, s17
.LBB251_395:                            ;   in Loop: Header=BB251_11 Depth=1
	s_or_b32 exec_lo, exec_lo, s13
	flat_load_dword v2, v[120:121] offset:1536
	v_mov_b32_e32 v0, 0
	v_mov_b32_e32 v1, 0
	buffer_store_dword v0, off, s[0:3], s32 offset:592 ; 4-byte Folded Spill
	buffer_store_dword v1, off, s[0:3], s32 offset:596 ; 4-byte Folded Spill
	v_mov_b32_e32 v0, 0
	v_mov_b32_e32 v1, 0
	buffer_store_dword v0, off, s[0:3], s32 offset:584 ; 4-byte Folded Spill
	buffer_store_dword v1, off, s[0:3], s32 offset:588 ; 4-byte Folded Spill
	s_waitcnt vmcnt(0) lgkmcnt(0)
	v_cmp_ne_u16_sdwa s5, v2, v12 src0_sel:BYTE_0 src1_sel:DWORD
	s_and_saveexec_b32 s13, s5
	s_cbranch_execz .LBB251_403
; %bb.396:                              ;   in Loop: Header=BB251_11 Depth=1
	v_bfrev_b32_e32 v0, 1
	v_mov_b32_e32 v1, 0
	v_cmp_ne_u16_sdwa s5, v2, v6 src0_sel:BYTE_0 src1_sel:DWORD
	buffer_store_dword v0, off, s[0:3], s32 offset:584 ; 4-byte Folded Spill
	buffer_store_dword v1, off, s[0:3], s32 offset:588 ; 4-byte Folded Spill
	s_and_saveexec_b32 s17, s5
	s_cbranch_execz .LBB251_402
; %bb.397:                              ;   in Loop: Header=BB251_11 Depth=1
	v_mov_b32_e32 v0, 0x7f800001
	v_and_b32_e32 v4, 0x7f, v2
	v_mov_b32_e32 v1, 0
	s_mov_b32 s21, exec_lo
	buffer_store_dword v0, off, s[0:3], s32 offset:584 ; 4-byte Folded Spill
	buffer_store_dword v1, off, s[0:3], s32 offset:588 ; 4-byte Folded Spill
	v_cmpx_ne_u32_e32 0x7f, v4
	s_cbranch_execz .LBB251_401
; %bb.398:                              ;   in Loop: Header=BB251_11 Depth=1
	v_and_b32_e32 v11, 7, v2
	v_lshrrev_b32_e32 v3, 3, v4
	s_mov_b32 s22, exec_lo
	v_cmpx_gt_u32_e32 8, v4
; %bb.399:                              ;   in Loop: Header=BB251_11 Depth=1
	v_ffbh_u32_e32 v3, v11
	v_min_u32_e32 v3, 32, v3
	v_subrev_nc_u32_e32 v4, 28, v3
	v_sub_nc_u32_e32 v3, 29, v3
	v_lshlrev_b64 v[4:5], v4, v[11:12]
	v_and_b32_e32 v11, 7, v4
; %bb.400:                              ;   in Loop: Header=BB251_11 Depth=1
	s_or_b32 exec_lo, exec_lo, s22
	v_lshlrev_b32_e32 v4, 24, v2
	v_lshlrev_b32_e32 v5, 20, v11
	v_lshl_add_u32 v3, v3, 23, 0x3c000000
	v_and_b32_e32 v4, 0x80000000, v4
	v_or3_b32 v11, v5, v4, v3
	buffer_store_dword v11, off, s[0:3], s32 offset:584 ; 4-byte Folded Spill
	buffer_store_dword v12, off, s[0:3], s32 offset:588 ; 4-byte Folded Spill
.LBB251_401:                            ;   in Loop: Header=BB251_11 Depth=1
	s_or_b32 exec_lo, exec_lo, s21
.LBB251_402:                            ;   in Loop: Header=BB251_11 Depth=1
	s_or_b32 exec_lo, exec_lo, s17
.LBB251_403:                            ;   in Loop: Header=BB251_11 Depth=1
	s_or_b32 exec_lo, exec_lo, s13
	v_cmp_ne_u16_sdwa s5, v2, v12 src0_sel:BYTE_1 src1_sel:DWORD
	s_and_saveexec_b32 s13, s5
	s_cbranch_execz .LBB251_411
; %bb.404:                              ;   in Loop: Header=BB251_11 Depth=1
	v_mov_b32_e32 v108, v12
	v_cmp_ne_u16_sdwa s5, v2, v6 src0_sel:BYTE_1 src1_sel:DWORD
	buffer_store_dword v108, off, s[0:3], s32 offset:592 ; 4-byte Folded Spill
	buffer_store_dword v109, off, s[0:3], s32 offset:596 ; 4-byte Folded Spill
	s_and_saveexec_b32 s17, s5
	s_cbranch_execz .LBB251_410
; %bb.405:                              ;   in Loop: Header=BB251_11 Depth=1
	v_mov_b32_e32 v0, 0xffff
	v_mov_b32_e32 v106, v12
	s_mov_b32 s21, exec_lo
	buffer_store_dword v106, off, s[0:3], s32 offset:592 ; 4-byte Folded Spill
	buffer_store_dword v107, off, s[0:3], s32 offset:596 ; 4-byte Folded Spill
	v_and_b32_sdwa v3, v0, v2 dst_sel:DWORD dst_unused:UNUSED_PAD src0_sel:DWORD src1_sel:BYTE_1
	v_and_b32_e32 v4, 0x7f, v3
	v_cmpx_ne_u32_e32 0x7f, v4
	s_cbranch_execz .LBB251_409
; %bb.406:                              ;   in Loop: Header=BB251_11 Depth=1
	v_and_b32_e32 v11, 7, v3
	v_lshrrev_b32_e32 v3, 3, v4
	s_mov_b32 s22, exec_lo
	v_cmpx_gt_u32_e32 8, v4
; %bb.407:                              ;   in Loop: Header=BB251_11 Depth=1
	v_ffbh_u32_e32 v3, v11
	v_min_u32_e32 v3, 32, v3
	v_subrev_nc_u32_e32 v4, 28, v3
	v_sub_nc_u32_e32 v3, 29, v3
	v_lshlrev_b64 v[4:5], v4, v[11:12]
	v_and_b32_e32 v11, 7, v4
; %bb.408:                              ;   in Loop: Header=BB251_11 Depth=1
	s_or_b32 exec_lo, exec_lo, s22
	v_lshlrev_b32_e32 v4, 16, v2
	v_lshlrev_b32_e32 v5, 20, v11
	v_lshl_add_u32 v3, v3, 23, 0x3c000000
	v_mov_b32_e32 v0, v12
	v_and_b32_e32 v4, 0x80000000, v4
	v_or3_b32 v1, v5, v4, v3
	buffer_store_dword v0, off, s[0:3], s32 offset:592 ; 4-byte Folded Spill
	buffer_store_dword v1, off, s[0:3], s32 offset:596 ; 4-byte Folded Spill
.LBB251_409:                            ;   in Loop: Header=BB251_11 Depth=1
	s_or_b32 exec_lo, exec_lo, s21
.LBB251_410:                            ;   in Loop: Header=BB251_11 Depth=1
	s_or_b32 exec_lo, exec_lo, s17
.LBB251_411:                            ;   in Loop: Header=BB251_11 Depth=1
	s_or_b32 exec_lo, exec_lo, s13
	v_mov_b32_e32 v0, 0xff
	s_mov_b32 s13, exec_lo
	v_and_b32_sdwa v3, v2, v0 dst_sel:DWORD dst_unused:UNUSED_PAD src0_sel:WORD_1 src1_sel:DWORD
	v_mov_b32_e32 v0, 0
	v_mov_b32_e32 v1, 0
	buffer_store_dword v0, off, s[0:3], s32 offset:600 ; 4-byte Folded Spill
	buffer_store_dword v1, off, s[0:3], s32 offset:604 ; 4-byte Folded Spill
	v_mov_b32_e32 v0, 0
	v_mov_b32_e32 v1, 0
	buffer_store_dword v0, off, s[0:3], s32 offset:608 ; 4-byte Folded Spill
	buffer_store_dword v1, off, s[0:3], s32 offset:612 ; 4-byte Folded Spill
	v_cmpx_ne_u16_e32 0, v3
	s_cbranch_execz .LBB251_419
; %bb.412:                              ;   in Loop: Header=BB251_11 Depth=1
	v_bfrev_b32_e32 v0, 1
	v_mov_b32_e32 v1, 0
	s_mov_b32 s17, exec_lo
	buffer_store_dword v0, off, s[0:3], s32 offset:608 ; 4-byte Folded Spill
	buffer_store_dword v1, off, s[0:3], s32 offset:612 ; 4-byte Folded Spill
	v_cmpx_ne_u16_e32 0x80, v3
	s_cbranch_execz .LBB251_418
; %bb.413:                              ;   in Loop: Header=BB251_11 Depth=1
	v_mov_b32_e32 v0, 0x7f800001
	v_bfe_u32 v4, v2, 16, 7
	v_mov_b32_e32 v1, 0
	s_mov_b32 s21, exec_lo
	buffer_store_dword v0, off, s[0:3], s32 offset:608 ; 4-byte Folded Spill
	buffer_store_dword v1, off, s[0:3], s32 offset:612 ; 4-byte Folded Spill
	v_cmpx_ne_u32_e32 0x7f, v4
	s_cbranch_execz .LBB251_417
; %bb.414:                              ;   in Loop: Header=BB251_11 Depth=1
	v_mov_b32_e32 v0, 7
	v_lshrrev_b32_e32 v3, 3, v4
	s_mov_b32 s22, exec_lo
	v_and_b32_sdwa v11, v2, v0 dst_sel:DWORD dst_unused:UNUSED_PAD src0_sel:WORD_1 src1_sel:DWORD
	v_cmpx_gt_u32_e32 8, v4
; %bb.415:                              ;   in Loop: Header=BB251_11 Depth=1
	v_ffbh_u32_e32 v3, v11
	v_min_u32_e32 v3, 32, v3
	v_subrev_nc_u32_e32 v4, 28, v3
	v_sub_nc_u32_e32 v3, 29, v3
	v_lshlrev_b64 v[4:5], v4, v[11:12]
	v_and_b32_e32 v11, 7, v4
; %bb.416:                              ;   in Loop: Header=BB251_11 Depth=1
	s_or_b32 exec_lo, exec_lo, s22
	v_mov_b32_e32 v0, 24
	v_lshlrev_b32_e32 v5, 20, v11
	v_lshl_add_u32 v3, v3, 23, 0x3c000000
	v_lshlrev_b32_sdwa v4, v0, v2 dst_sel:DWORD dst_unused:UNUSED_PAD src0_sel:DWORD src1_sel:WORD_1
	v_and_b32_e32 v4, 0x80000000, v4
	v_or3_b32 v11, v5, v4, v3
	buffer_store_dword v11, off, s[0:3], s32 offset:608 ; 4-byte Folded Spill
	buffer_store_dword v12, off, s[0:3], s32 offset:612 ; 4-byte Folded Spill
.LBB251_417:                            ;   in Loop: Header=BB251_11 Depth=1
	s_or_b32 exec_lo, exec_lo, s21
.LBB251_418:                            ;   in Loop: Header=BB251_11 Depth=1
	s_or_b32 exec_lo, exec_lo, s17
.LBB251_419:                            ;   in Loop: Header=BB251_11 Depth=1
	s_or_b32 exec_lo, exec_lo, s13
	s_mov_b32 s13, exec_lo
	v_cmpx_lt_u32_e32 0xffffff, v2
	s_cbranch_execz .LBB251_427
; %bb.420:                              ;   in Loop: Header=BB251_11 Depth=1
	v_mov_b32_e32 v108, v12
	v_cmp_ne_u32_sdwa s5, v2, v6 src0_sel:BYTE_3 src1_sel:DWORD
	buffer_store_dword v108, off, s[0:3], s32 offset:600 ; 4-byte Folded Spill
	buffer_store_dword v109, off, s[0:3], s32 offset:604 ; 4-byte Folded Spill
	s_and_saveexec_b32 s17, s5
	s_cbranch_execz .LBB251_426
; %bb.421:                              ;   in Loop: Header=BB251_11 Depth=1
	v_bfe_u32 v4, v2, 24, 7
	v_mov_b32_e32 v106, v12
	s_mov_b32 s21, exec_lo
	buffer_store_dword v106, off, s[0:3], s32 offset:600 ; 4-byte Folded Spill
	buffer_store_dword v107, off, s[0:3], s32 offset:604 ; 4-byte Folded Spill
	v_cmpx_ne_u32_e32 0x7f, v4
	s_cbranch_execz .LBB251_425
; %bb.422:                              ;   in Loop: Header=BB251_11 Depth=1
	v_mov_b32_e32 v0, 7
	v_lshrrev_b32_e32 v3, 3, v4
	s_mov_b32 s22, exec_lo
	v_and_b32_sdwa v11, v2, v0 dst_sel:DWORD dst_unused:UNUSED_PAD src0_sel:BYTE_3 src1_sel:DWORD
	v_cmpx_gt_u32_e32 8, v4
; %bb.423:                              ;   in Loop: Header=BB251_11 Depth=1
	v_ffbh_u32_e32 v3, v11
	v_min_u32_e32 v3, 32, v3
	v_subrev_nc_u32_e32 v4, 28, v3
	v_sub_nc_u32_e32 v3, 29, v3
	v_lshlrev_b64 v[4:5], v4, v[11:12]
	v_and_b32_e32 v11, 7, v4
; %bb.424:                              ;   in Loop: Header=BB251_11 Depth=1
	s_or_b32 exec_lo, exec_lo, s22
	v_mov_b32_e32 v0, 24
	v_lshlrev_b32_e32 v4, 20, v11
	v_lshl_add_u32 v3, v3, 23, 0x3c000000
	v_lshlrev_b32_sdwa v2, v0, v2 dst_sel:DWORD dst_unused:UNUSED_PAD src0_sel:DWORD src1_sel:BYTE_3
	v_mov_b32_e32 v0, v12
	v_and_b32_e32 v2, 0x80000000, v2
	v_or3_b32 v1, v4, v2, v3
	buffer_store_dword v0, off, s[0:3], s32 offset:600 ; 4-byte Folded Spill
	buffer_store_dword v1, off, s[0:3], s32 offset:604 ; 4-byte Folded Spill
.LBB251_425:                            ;   in Loop: Header=BB251_11 Depth=1
	s_or_b32 exec_lo, exec_lo, s21
.LBB251_426:                            ;   in Loop: Header=BB251_11 Depth=1
	s_or_b32 exec_lo, exec_lo, s17
.LBB251_427:                            ;   in Loop: Header=BB251_11 Depth=1
	s_or_b32 exec_lo, exec_lo, s13
	flat_load_dword v2, v[120:121] offset:1540
	v_mov_b32_e32 v0, 0
	v_mov_b32_e32 v1, 0
	buffer_store_dword v0, off, s[0:3], s32 offset:624 ; 4-byte Folded Spill
	buffer_store_dword v1, off, s[0:3], s32 offset:628 ; 4-byte Folded Spill
	v_mov_b32_e32 v0, 0
	v_mov_b32_e32 v1, 0
	buffer_store_dword v0, off, s[0:3], s32 offset:616 ; 4-byte Folded Spill
	buffer_store_dword v1, off, s[0:3], s32 offset:620 ; 4-byte Folded Spill
	s_waitcnt vmcnt(0) lgkmcnt(0)
	v_cmp_ne_u16_sdwa s5, v2, v12 src0_sel:BYTE_0 src1_sel:DWORD
	s_and_saveexec_b32 s13, s5
	s_cbranch_execz .LBB251_435
; %bb.428:                              ;   in Loop: Header=BB251_11 Depth=1
	v_bfrev_b32_e32 v0, 1
	v_mov_b32_e32 v1, 0
	v_cmp_ne_u16_sdwa s5, v2, v6 src0_sel:BYTE_0 src1_sel:DWORD
	buffer_store_dword v0, off, s[0:3], s32 offset:616 ; 4-byte Folded Spill
	buffer_store_dword v1, off, s[0:3], s32 offset:620 ; 4-byte Folded Spill
	s_and_saveexec_b32 s17, s5
	s_cbranch_execz .LBB251_434
; %bb.429:                              ;   in Loop: Header=BB251_11 Depth=1
	v_mov_b32_e32 v0, 0x7f800001
	v_and_b32_e32 v4, 0x7f, v2
	v_mov_b32_e32 v1, 0
	s_mov_b32 s21, exec_lo
	buffer_store_dword v0, off, s[0:3], s32 offset:616 ; 4-byte Folded Spill
	buffer_store_dword v1, off, s[0:3], s32 offset:620 ; 4-byte Folded Spill
	v_cmpx_ne_u32_e32 0x7f, v4
	s_cbranch_execz .LBB251_433
; %bb.430:                              ;   in Loop: Header=BB251_11 Depth=1
	v_and_b32_e32 v11, 7, v2
	v_lshrrev_b32_e32 v3, 3, v4
	s_mov_b32 s22, exec_lo
	v_cmpx_gt_u32_e32 8, v4
; %bb.431:                              ;   in Loop: Header=BB251_11 Depth=1
	v_ffbh_u32_e32 v3, v11
	v_min_u32_e32 v3, 32, v3
	v_subrev_nc_u32_e32 v4, 28, v3
	v_sub_nc_u32_e32 v3, 29, v3
	v_lshlrev_b64 v[4:5], v4, v[11:12]
	v_and_b32_e32 v11, 7, v4
; %bb.432:                              ;   in Loop: Header=BB251_11 Depth=1
	s_or_b32 exec_lo, exec_lo, s22
	v_lshlrev_b32_e32 v4, 24, v2
	v_lshlrev_b32_e32 v5, 20, v11
	v_lshl_add_u32 v3, v3, 23, 0x3c000000
	v_and_b32_e32 v4, 0x80000000, v4
	v_or3_b32 v11, v5, v4, v3
	buffer_store_dword v11, off, s[0:3], s32 offset:616 ; 4-byte Folded Spill
	buffer_store_dword v12, off, s[0:3], s32 offset:620 ; 4-byte Folded Spill
.LBB251_433:                            ;   in Loop: Header=BB251_11 Depth=1
	s_or_b32 exec_lo, exec_lo, s21
.LBB251_434:                            ;   in Loop: Header=BB251_11 Depth=1
	s_or_b32 exec_lo, exec_lo, s17
.LBB251_435:                            ;   in Loop: Header=BB251_11 Depth=1
	s_or_b32 exec_lo, exec_lo, s13
	v_cmp_ne_u16_sdwa s5, v2, v12 src0_sel:BYTE_1 src1_sel:DWORD
	s_and_saveexec_b32 s13, s5
	s_cbranch_execz .LBB251_443
; %bb.436:                              ;   in Loop: Header=BB251_11 Depth=1
	v_mov_b32_e32 v108, v12
	v_cmp_ne_u16_sdwa s5, v2, v6 src0_sel:BYTE_1 src1_sel:DWORD
	buffer_store_dword v108, off, s[0:3], s32 offset:624 ; 4-byte Folded Spill
	buffer_store_dword v109, off, s[0:3], s32 offset:628 ; 4-byte Folded Spill
	s_and_saveexec_b32 s17, s5
	s_cbranch_execz .LBB251_442
; %bb.437:                              ;   in Loop: Header=BB251_11 Depth=1
	v_mov_b32_e32 v0, 0xffff
	v_mov_b32_e32 v106, v12
	s_mov_b32 s21, exec_lo
	buffer_store_dword v106, off, s[0:3], s32 offset:624 ; 4-byte Folded Spill
	buffer_store_dword v107, off, s[0:3], s32 offset:628 ; 4-byte Folded Spill
	v_and_b32_sdwa v3, v0, v2 dst_sel:DWORD dst_unused:UNUSED_PAD src0_sel:DWORD src1_sel:BYTE_1
	v_and_b32_e32 v4, 0x7f, v3
	v_cmpx_ne_u32_e32 0x7f, v4
	s_cbranch_execz .LBB251_441
; %bb.438:                              ;   in Loop: Header=BB251_11 Depth=1
	v_and_b32_e32 v11, 7, v3
	v_lshrrev_b32_e32 v3, 3, v4
	s_mov_b32 s22, exec_lo
	v_cmpx_gt_u32_e32 8, v4
; %bb.439:                              ;   in Loop: Header=BB251_11 Depth=1
	v_ffbh_u32_e32 v3, v11
	v_min_u32_e32 v3, 32, v3
	v_subrev_nc_u32_e32 v4, 28, v3
	v_sub_nc_u32_e32 v3, 29, v3
	v_lshlrev_b64 v[4:5], v4, v[11:12]
	v_and_b32_e32 v11, 7, v4
; %bb.440:                              ;   in Loop: Header=BB251_11 Depth=1
	s_or_b32 exec_lo, exec_lo, s22
	v_lshlrev_b32_e32 v4, 16, v2
	v_lshlrev_b32_e32 v5, 20, v11
	v_lshl_add_u32 v3, v3, 23, 0x3c000000
	v_mov_b32_e32 v0, v12
	v_and_b32_e32 v4, 0x80000000, v4
	v_or3_b32 v1, v5, v4, v3
	buffer_store_dword v0, off, s[0:3], s32 offset:624 ; 4-byte Folded Spill
	buffer_store_dword v1, off, s[0:3], s32 offset:628 ; 4-byte Folded Spill
.LBB251_441:                            ;   in Loop: Header=BB251_11 Depth=1
	s_or_b32 exec_lo, exec_lo, s21
.LBB251_442:                            ;   in Loop: Header=BB251_11 Depth=1
	s_or_b32 exec_lo, exec_lo, s17
.LBB251_443:                            ;   in Loop: Header=BB251_11 Depth=1
	s_or_b32 exec_lo, exec_lo, s13
	v_mov_b32_e32 v0, 0xff
	v_mov_b32_e32 v126, 0
	;; [unrolled: 1-line block ×3, first 2 shown]
	s_mov_b32 s13, exec_lo
	v_and_b32_sdwa v3, v2, v0 dst_sel:DWORD dst_unused:UNUSED_PAD src0_sel:WORD_1 src1_sel:DWORD
	v_mov_b32_e32 v0, 0
	v_mov_b32_e32 v1, 0
	buffer_store_dword v0, off, s[0:3], s32 offset:632 ; 4-byte Folded Spill
	buffer_store_dword v1, off, s[0:3], s32 offset:636 ; 4-byte Folded Spill
	v_cmpx_ne_u16_e32 0, v3
	s_cbranch_execz .LBB251_451
; %bb.444:                              ;   in Loop: Header=BB251_11 Depth=1
	v_bfrev_b32_e32 v0, 1
	v_mov_b32_e32 v1, 0
	s_mov_b32 s17, exec_lo
	buffer_store_dword v0, off, s[0:3], s32 offset:632 ; 4-byte Folded Spill
	buffer_store_dword v1, off, s[0:3], s32 offset:636 ; 4-byte Folded Spill
	v_cmpx_ne_u16_e32 0x80, v3
	s_cbranch_execz .LBB251_450
; %bb.445:                              ;   in Loop: Header=BB251_11 Depth=1
	v_mov_b32_e32 v0, 0x7f800001
	v_bfe_u32 v4, v2, 16, 7
	v_mov_b32_e32 v1, 0
	s_mov_b32 s21, exec_lo
	buffer_store_dword v0, off, s[0:3], s32 offset:632 ; 4-byte Folded Spill
	buffer_store_dword v1, off, s[0:3], s32 offset:636 ; 4-byte Folded Spill
	v_cmpx_ne_u32_e32 0x7f, v4
	s_cbranch_execz .LBB251_449
; %bb.446:                              ;   in Loop: Header=BB251_11 Depth=1
	v_mov_b32_e32 v0, 7
	v_lshrrev_b32_e32 v3, 3, v4
	s_mov_b32 s22, exec_lo
	v_and_b32_sdwa v11, v2, v0 dst_sel:DWORD dst_unused:UNUSED_PAD src0_sel:WORD_1 src1_sel:DWORD
	v_cmpx_gt_u32_e32 8, v4
; %bb.447:                              ;   in Loop: Header=BB251_11 Depth=1
	v_ffbh_u32_e32 v3, v11
	v_min_u32_e32 v3, 32, v3
	v_subrev_nc_u32_e32 v4, 28, v3
	v_sub_nc_u32_e32 v3, 29, v3
	v_lshlrev_b64 v[4:5], v4, v[11:12]
	v_and_b32_e32 v11, 7, v4
; %bb.448:                              ;   in Loop: Header=BB251_11 Depth=1
	s_or_b32 exec_lo, exec_lo, s22
	v_mov_b32_e32 v0, 24
	v_lshlrev_b32_e32 v5, 20, v11
	v_lshl_add_u32 v3, v3, 23, 0x3c000000
	v_lshlrev_b32_sdwa v4, v0, v2 dst_sel:DWORD dst_unused:UNUSED_PAD src0_sel:DWORD src1_sel:WORD_1
	v_and_b32_e32 v4, 0x80000000, v4
	v_or3_b32 v11, v5, v4, v3
	buffer_store_dword v11, off, s[0:3], s32 offset:632 ; 4-byte Folded Spill
	buffer_store_dword v12, off, s[0:3], s32 offset:636 ; 4-byte Folded Spill
.LBB251_449:                            ;   in Loop: Header=BB251_11 Depth=1
	s_or_b32 exec_lo, exec_lo, s21
.LBB251_450:                            ;   in Loop: Header=BB251_11 Depth=1
	s_or_b32 exec_lo, exec_lo, s17
.LBB251_451:                            ;   in Loop: Header=BB251_11 Depth=1
	s_or_b32 exec_lo, exec_lo, s13
	s_mov_b32 s13, exec_lo
	v_cmpx_lt_u32_e32 0xffffff, v2
	s_cbranch_execz .LBB251_459
; %bb.452:                              ;   in Loop: Header=BB251_11 Depth=1
	v_mov_b32_e32 v108, v12
	v_mov_b32_e32 v127, v109
	v_cmp_ne_u32_sdwa s5, v2, v6 src0_sel:BYTE_3 src1_sel:DWORD
	v_mov_b32_e32 v126, v108
	s_and_saveexec_b32 s17, s5
	s_cbranch_execz .LBB251_458
; %bb.453:                              ;   in Loop: Header=BB251_11 Depth=1
	v_mov_b32_e32 v106, v12
	v_mov_b32_e32 v127, v107
	v_bfe_u32 v4, v2, 24, 7
	s_mov_b32 s21, exec_lo
	v_mov_b32_e32 v126, v106
	v_cmpx_ne_u32_e32 0x7f, v4
	s_cbranch_execz .LBB251_457
; %bb.454:                              ;   in Loop: Header=BB251_11 Depth=1
	v_mov_b32_e32 v0, 7
	v_lshrrev_b32_e32 v3, 3, v4
	s_mov_b32 s22, exec_lo
	v_and_b32_sdwa v11, v2, v0 dst_sel:DWORD dst_unused:UNUSED_PAD src0_sel:BYTE_3 src1_sel:DWORD
	v_cmpx_gt_u32_e32 8, v4
; %bb.455:                              ;   in Loop: Header=BB251_11 Depth=1
	v_ffbh_u32_e32 v3, v11
	v_min_u32_e32 v3, 32, v3
	v_subrev_nc_u32_e32 v4, 28, v3
	v_sub_nc_u32_e32 v3, 29, v3
	v_lshlrev_b64 v[4:5], v4, v[11:12]
	v_and_b32_e32 v11, 7, v4
; %bb.456:                              ;   in Loop: Header=BB251_11 Depth=1
	s_or_b32 exec_lo, exec_lo, s22
	v_mov_b32_e32 v0, 24
	v_lshlrev_b32_e32 v4, 20, v11
	v_lshl_add_u32 v3, v3, 23, 0x3c000000
	v_mov_b32_e32 v126, v12
	v_lshlrev_b32_sdwa v2, v0, v2 dst_sel:DWORD dst_unused:UNUSED_PAD src0_sel:DWORD src1_sel:BYTE_3
	v_and_b32_e32 v2, 0x80000000, v2
	v_or3_b32 v127, v4, v2, v3
.LBB251_457:                            ;   in Loop: Header=BB251_11 Depth=1
	s_or_b32 exec_lo, exec_lo, s21
.LBB251_458:                            ;   in Loop: Header=BB251_11 Depth=1
	s_or_b32 exec_lo, exec_lo, s17
.LBB251_459:                            ;   in Loop: Header=BB251_11 Depth=1
	s_or_b32 exec_lo, exec_lo, s13
	flat_load_dword v2, v[120:121] offset:1544
	v_mov_b32_e32 v26, 0
	v_mov_b32_e32 v0, 0
	;; [unrolled: 1-line block ×4, first 2 shown]
	buffer_store_dword v0, off, s[0:3], s32 offset:640 ; 4-byte Folded Spill
	buffer_store_dword v1, off, s[0:3], s32 offset:644 ; 4-byte Folded Spill
	s_waitcnt vmcnt(0) lgkmcnt(0)
	v_cmp_ne_u16_sdwa s5, v2, v12 src0_sel:BYTE_0 src1_sel:DWORD
	s_and_saveexec_b32 s13, s5
	s_cbranch_execz .LBB251_467
; %bb.460:                              ;   in Loop: Header=BB251_11 Depth=1
	v_bfrev_b32_e32 v0, 1
	v_mov_b32_e32 v1, 0
	v_cmp_ne_u16_sdwa s5, v2, v6 src0_sel:BYTE_0 src1_sel:DWORD
	buffer_store_dword v0, off, s[0:3], s32 offset:640 ; 4-byte Folded Spill
	buffer_store_dword v1, off, s[0:3], s32 offset:644 ; 4-byte Folded Spill
	s_and_saveexec_b32 s17, s5
	s_cbranch_execz .LBB251_466
; %bb.461:                              ;   in Loop: Header=BB251_11 Depth=1
	v_mov_b32_e32 v0, 0x7f800001
	v_and_b32_e32 v4, 0x7f, v2
	v_mov_b32_e32 v1, 0
	s_mov_b32 s21, exec_lo
	buffer_store_dword v0, off, s[0:3], s32 offset:640 ; 4-byte Folded Spill
	buffer_store_dword v1, off, s[0:3], s32 offset:644 ; 4-byte Folded Spill
	v_cmpx_ne_u32_e32 0x7f, v4
	s_cbranch_execz .LBB251_465
; %bb.462:                              ;   in Loop: Header=BB251_11 Depth=1
	v_and_b32_e32 v11, 7, v2
	v_lshrrev_b32_e32 v3, 3, v4
	s_mov_b32 s22, exec_lo
	v_cmpx_gt_u32_e32 8, v4
; %bb.463:                              ;   in Loop: Header=BB251_11 Depth=1
	v_ffbh_u32_e32 v3, v11
	v_min_u32_e32 v3, 32, v3
	v_subrev_nc_u32_e32 v4, 28, v3
	v_sub_nc_u32_e32 v3, 29, v3
	v_lshlrev_b64 v[4:5], v4, v[11:12]
	v_and_b32_e32 v11, 7, v4
; %bb.464:                              ;   in Loop: Header=BB251_11 Depth=1
	s_or_b32 exec_lo, exec_lo, s22
	v_lshlrev_b32_e32 v4, 24, v2
	v_lshlrev_b32_e32 v5, 20, v11
	v_lshl_add_u32 v3, v3, 23, 0x3c000000
	v_and_b32_e32 v4, 0x80000000, v4
	v_or3_b32 v11, v5, v4, v3
	buffer_store_dword v11, off, s[0:3], s32 offset:640 ; 4-byte Folded Spill
	buffer_store_dword v12, off, s[0:3], s32 offset:644 ; 4-byte Folded Spill
.LBB251_465:                            ;   in Loop: Header=BB251_11 Depth=1
	s_or_b32 exec_lo, exec_lo, s21
.LBB251_466:                            ;   in Loop: Header=BB251_11 Depth=1
	s_or_b32 exec_lo, exec_lo, s17
.LBB251_467:                            ;   in Loop: Header=BB251_11 Depth=1
	s_or_b32 exec_lo, exec_lo, s13
	v_cmp_ne_u16_sdwa s5, v2, v12 src0_sel:BYTE_1 src1_sel:DWORD
	s_and_saveexec_b32 s13, s5
	s_cbranch_execz .LBB251_475
; %bb.468:                              ;   in Loop: Header=BB251_11 Depth=1
	v_mov_b32_e32 v108, v12
	v_cmp_ne_u16_sdwa s5, v2, v6 src0_sel:BYTE_1 src1_sel:DWORD
	v_mov_b32_e32 v26, v108
	v_mov_b32_e32 v27, v109
	s_and_saveexec_b32 s17, s5
	s_cbranch_execz .LBB251_474
; %bb.469:                              ;   in Loop: Header=BB251_11 Depth=1
	v_mov_b32_e32 v0, 0xffff
	v_mov_b32_e32 v106, v12
	s_mov_b32 s21, exec_lo
	v_and_b32_sdwa v3, v0, v2 dst_sel:DWORD dst_unused:UNUSED_PAD src0_sel:DWORD src1_sel:BYTE_1
	v_mov_b32_e32 v26, v106
	v_mov_b32_e32 v27, v107
	v_and_b32_e32 v4, 0x7f, v3
	v_cmpx_ne_u32_e32 0x7f, v4
	s_cbranch_execz .LBB251_473
; %bb.470:                              ;   in Loop: Header=BB251_11 Depth=1
	v_and_b32_e32 v11, 7, v3
	v_lshrrev_b32_e32 v3, 3, v4
	s_mov_b32 s22, exec_lo
	v_cmpx_gt_u32_e32 8, v4
; %bb.471:                              ;   in Loop: Header=BB251_11 Depth=1
	v_ffbh_u32_e32 v3, v11
	v_min_u32_e32 v3, 32, v3
	v_subrev_nc_u32_e32 v4, 28, v3
	v_sub_nc_u32_e32 v3, 29, v3
	v_lshlrev_b64 v[4:5], v4, v[11:12]
	v_and_b32_e32 v11, 7, v4
; %bb.472:                              ;   in Loop: Header=BB251_11 Depth=1
	s_or_b32 exec_lo, exec_lo, s22
	v_lshlrev_b32_e32 v4, 16, v2
	v_lshlrev_b32_e32 v5, 20, v11
	v_lshl_add_u32 v3, v3, 23, 0x3c000000
	v_mov_b32_e32 v26, v12
	v_and_b32_e32 v4, 0x80000000, v4
	v_or3_b32 v27, v5, v4, v3
.LBB251_473:                            ;   in Loop: Header=BB251_11 Depth=1
	s_or_b32 exec_lo, exec_lo, s21
.LBB251_474:                            ;   in Loop: Header=BB251_11 Depth=1
	s_or_b32 exec_lo, exec_lo, s17
.LBB251_475:                            ;   in Loop: Header=BB251_11 Depth=1
	s_or_b32 exec_lo, exec_lo, s13
	v_mov_b32_e32 v0, 0xff
	v_mov_b32_e32 v4, 0
	v_mov_b32_e32 v24, 0
	v_mov_b32_e32 v5, 0
	v_mov_b32_e32 v25, 0
	v_and_b32_sdwa v3, v2, v0 dst_sel:DWORD dst_unused:UNUSED_PAD src0_sel:WORD_1 src1_sel:DWORD
	s_mov_b32 s13, exec_lo
	v_cmpx_ne_u16_e32 0, v3
	s_cbranch_execz .LBB251_483
; %bb.476:                              ;   in Loop: Header=BB251_11 Depth=1
	v_bfrev_b32_e32 v24, 1
	v_mov_b32_e32 v25, 0
	s_mov_b32 s17, exec_lo
	v_cmpx_ne_u16_e32 0x80, v3
	s_cbranch_execz .LBB251_482
; %bb.477:                              ;   in Loop: Header=BB251_11 Depth=1
	v_mov_b32_e32 v24, 0x7f800001
	v_bfe_u32 v14, v2, 16, 7
	v_mov_b32_e32 v25, 0
	s_mov_b32 s21, exec_lo
	v_cmpx_ne_u32_e32 0x7f, v14
	s_cbranch_execz .LBB251_481
; %bb.478:                              ;   in Loop: Header=BB251_11 Depth=1
	v_mov_b32_e32 v0, 7
	v_lshrrev_b32_e32 v3, 3, v14
	s_mov_b32 s22, exec_lo
	v_and_b32_sdwa v11, v2, v0 dst_sel:DWORD dst_unused:UNUSED_PAD src0_sel:WORD_1 src1_sel:DWORD
	v_cmpx_gt_u32_e32 8, v14
; %bb.479:                              ;   in Loop: Header=BB251_11 Depth=1
	v_ffbh_u32_e32 v3, v11
	v_min_u32_e32 v3, 32, v3
	v_subrev_nc_u32_e32 v8, 28, v3
	v_sub_nc_u32_e32 v3, 29, v3
	v_lshlrev_b64 v[14:15], v8, v[11:12]
	v_and_b32_e32 v11, 7, v14
; %bb.480:                              ;   in Loop: Header=BB251_11 Depth=1
	s_or_b32 exec_lo, exec_lo, s22
	v_mov_b32_e32 v0, 24
	v_lshlrev_b32_e32 v9, 20, v11
	v_lshl_add_u32 v3, v3, 23, 0x3c000000
	v_lshlrev_b32_sdwa v8, v0, v2 dst_sel:DWORD dst_unused:UNUSED_PAD src0_sel:DWORD src1_sel:WORD_1
	v_and_b32_e32 v8, 0x80000000, v8
	v_or3_b32 v11, v9, v8, v3
	v_mov_b32_e32 v25, v12
	v_mov_b32_e32 v24, v11
.LBB251_481:                            ;   in Loop: Header=BB251_11 Depth=1
	s_or_b32 exec_lo, exec_lo, s21
.LBB251_482:                            ;   in Loop: Header=BB251_11 Depth=1
	s_or_b32 exec_lo, exec_lo, s17
.LBB251_483:                            ;   in Loop: Header=BB251_11 Depth=1
	s_or_b32 exec_lo, exec_lo, s13
	s_mov_b32 s13, exec_lo
	v_cmpx_lt_u32_e32 0xffffff, v2
	s_cbranch_execz .LBB251_491
; %bb.484:                              ;   in Loop: Header=BB251_11 Depth=1
	v_mov_b32_e32 v108, v12
	v_cmp_ne_u32_sdwa s5, v2, v6 src0_sel:BYTE_3 src1_sel:DWORD
	v_mov_b32_e32 v4, v108
	v_mov_b32_e32 v5, v109
	s_and_saveexec_b32 s17, s5
	s_cbranch_execz .LBB251_490
; %bb.485:                              ;   in Loop: Header=BB251_11 Depth=1
	v_mov_b32_e32 v106, v12
	v_bfe_u32 v14, v2, 24, 7
	s_mov_b32 s21, exec_lo
	v_mov_b32_e32 v4, v106
	v_mov_b32_e32 v5, v107
	v_cmpx_ne_u32_e32 0x7f, v14
	s_cbranch_execz .LBB251_489
; %bb.486:                              ;   in Loop: Header=BB251_11 Depth=1
	v_mov_b32_e32 v0, 7
	v_lshrrev_b32_e32 v3, 3, v14
	s_mov_b32 s22, exec_lo
	v_and_b32_sdwa v11, v2, v0 dst_sel:DWORD dst_unused:UNUSED_PAD src0_sel:BYTE_3 src1_sel:DWORD
	v_cmpx_gt_u32_e32 8, v14
; %bb.487:                              ;   in Loop: Header=BB251_11 Depth=1
	v_ffbh_u32_e32 v3, v11
	v_min_u32_e32 v3, 32, v3
	v_subrev_nc_u32_e32 v4, 28, v3
	v_sub_nc_u32_e32 v3, 29, v3
	v_lshlrev_b64 v[4:5], v4, v[11:12]
	v_and_b32_e32 v11, 7, v4
; %bb.488:                              ;   in Loop: Header=BB251_11 Depth=1
	s_or_b32 exec_lo, exec_lo, s22
	v_mov_b32_e32 v0, 24
	v_lshlrev_b32_e32 v4, 20, v11
	v_lshl_add_u32 v3, v3, 23, 0x3c000000
	v_lshlrev_b32_sdwa v2, v0, v2 dst_sel:DWORD dst_unused:UNUSED_PAD src0_sel:DWORD src1_sel:BYTE_3
	v_and_b32_e32 v2, 0x80000000, v2
	v_or3_b32 v5, v4, v2, v3
	v_mov_b32_e32 v4, v12
.LBB251_489:                            ;   in Loop: Header=BB251_11 Depth=1
	s_or_b32 exec_lo, exec_lo, s21
.LBB251_490:                            ;   in Loop: Header=BB251_11 Depth=1
	s_or_b32 exec_lo, exec_lo, s17
.LBB251_491:                            ;   in Loop: Header=BB251_11 Depth=1
	s_or_b32 exec_lo, exec_lo, s13
	flat_load_dword v2, v[120:121] offset:1548
	v_mov_b32_e32 v30, 0
	v_mov_b32_e32 v16, 0
	;; [unrolled: 1-line block ×4, first 2 shown]
	s_waitcnt vmcnt(0) lgkmcnt(0)
	v_cmp_ne_u16_sdwa s5, v2, v12 src0_sel:BYTE_0 src1_sel:DWORD
	s_and_saveexec_b32 s13, s5
	s_cbranch_execz .LBB251_499
; %bb.492:                              ;   in Loop: Header=BB251_11 Depth=1
	v_bfrev_b32_e32 v16, 1
	v_mov_b32_e32 v17, 0
	v_cmp_ne_u16_sdwa s5, v2, v6 src0_sel:BYTE_0 src1_sel:DWORD
	s_and_saveexec_b32 s17, s5
	s_cbranch_execz .LBB251_498
; %bb.493:                              ;   in Loop: Header=BB251_11 Depth=1
	v_mov_b32_e32 v16, 0x7f800001
	v_and_b32_e32 v14, 0x7f, v2
	v_mov_b32_e32 v17, 0
	s_mov_b32 s21, exec_lo
	v_cmpx_ne_u32_e32 0x7f, v14
	s_cbranch_execz .LBB251_497
; %bb.494:                              ;   in Loop: Header=BB251_11 Depth=1
	v_and_b32_e32 v11, 7, v2
	v_lshrrev_b32_e32 v3, 3, v14
	s_mov_b32 s22, exec_lo
	v_cmpx_gt_u32_e32 8, v14
; %bb.495:                              ;   in Loop: Header=BB251_11 Depth=1
	v_ffbh_u32_e32 v3, v11
	v_min_u32_e32 v3, 32, v3
	v_subrev_nc_u32_e32 v8, 28, v3
	v_sub_nc_u32_e32 v3, 29, v3
	v_lshlrev_b64 v[14:15], v8, v[11:12]
	v_and_b32_e32 v11, 7, v14
; %bb.496:                              ;   in Loop: Header=BB251_11 Depth=1
	s_or_b32 exec_lo, exec_lo, s22
	v_lshlrev_b32_e32 v8, 24, v2
	v_lshlrev_b32_e32 v9, 20, v11
	v_lshl_add_u32 v3, v3, 23, 0x3c000000
	v_and_b32_e32 v8, 0x80000000, v8
	v_or3_b32 v11, v9, v8, v3
	v_mov_b32_e32 v17, v12
	v_mov_b32_e32 v16, v11
.LBB251_497:                            ;   in Loop: Header=BB251_11 Depth=1
	s_or_b32 exec_lo, exec_lo, s21
.LBB251_498:                            ;   in Loop: Header=BB251_11 Depth=1
	s_or_b32 exec_lo, exec_lo, s17
.LBB251_499:                            ;   in Loop: Header=BB251_11 Depth=1
	s_or_b32 exec_lo, exec_lo, s13
	v_cmp_ne_u16_sdwa s5, v2, v12 src0_sel:BYTE_1 src1_sel:DWORD
	s_and_saveexec_b32 s13, s5
	s_cbranch_execz .LBB251_507
; %bb.500:                              ;   in Loop: Header=BB251_11 Depth=1
	v_mov_b32_e32 v108, v12
	v_cmp_ne_u16_sdwa s5, v2, v6 src0_sel:BYTE_1 src1_sel:DWORD
	v_mov_b32_e32 v30, v108
	v_mov_b32_e32 v31, v109
	s_and_saveexec_b32 s17, s5
	s_cbranch_execz .LBB251_506
; %bb.501:                              ;   in Loop: Header=BB251_11 Depth=1
	v_mov_b32_e32 v0, 0xffff
	v_mov_b32_e32 v106, v12
	s_mov_b32 s21, exec_lo
	v_and_b32_sdwa v3, v0, v2 dst_sel:DWORD dst_unused:UNUSED_PAD src0_sel:DWORD src1_sel:BYTE_1
	v_mov_b32_e32 v30, v106
	v_mov_b32_e32 v31, v107
	v_and_b32_e32 v14, 0x7f, v3
	v_cmpx_ne_u32_e32 0x7f, v14
	s_cbranch_execz .LBB251_505
; %bb.502:                              ;   in Loop: Header=BB251_11 Depth=1
	v_and_b32_e32 v11, 7, v3
	v_lshrrev_b32_e32 v3, 3, v14
	s_mov_b32 s22, exec_lo
	v_cmpx_gt_u32_e32 8, v14
; %bb.503:                              ;   in Loop: Header=BB251_11 Depth=1
	v_ffbh_u32_e32 v3, v11
	v_min_u32_e32 v3, 32, v3
	v_subrev_nc_u32_e32 v8, 28, v3
	v_sub_nc_u32_e32 v3, 29, v3
	v_lshlrev_b64 v[14:15], v8, v[11:12]
	v_and_b32_e32 v11, 7, v14
; %bb.504:                              ;   in Loop: Header=BB251_11 Depth=1
	s_or_b32 exec_lo, exec_lo, s22
	v_lshlrev_b32_e32 v8, 16, v2
	v_lshlrev_b32_e32 v9, 20, v11
	v_lshl_add_u32 v3, v3, 23, 0x3c000000
	v_mov_b32_e32 v30, v12
	v_and_b32_e32 v8, 0x80000000, v8
	v_or3_b32 v31, v9, v8, v3
.LBB251_505:                            ;   in Loop: Header=BB251_11 Depth=1
	s_or_b32 exec_lo, exec_lo, s21
.LBB251_506:                            ;   in Loop: Header=BB251_11 Depth=1
	s_or_b32 exec_lo, exec_lo, s17
.LBB251_507:                            ;   in Loop: Header=BB251_11 Depth=1
	s_or_b32 exec_lo, exec_lo, s13
	v_mov_b32_e32 v0, 0xff
	v_mov_b32_e32 v20, 0
	v_mov_b32_e32 v32, 0
	v_mov_b32_e32 v21, 0
	v_mov_b32_e32 v33, 0
	v_and_b32_sdwa v3, v2, v0 dst_sel:DWORD dst_unused:UNUSED_PAD src0_sel:WORD_1 src1_sel:DWORD
	s_mov_b32 s13, exec_lo
	v_cmpx_ne_u16_e32 0, v3
	s_cbranch_execz .LBB251_515
; %bb.508:                              ;   in Loop: Header=BB251_11 Depth=1
	v_bfrev_b32_e32 v32, 1
	v_mov_b32_e32 v33, 0
	s_mov_b32 s17, exec_lo
	v_cmpx_ne_u16_e32 0x80, v3
	s_cbranch_execz .LBB251_514
; %bb.509:                              ;   in Loop: Header=BB251_11 Depth=1
	v_mov_b32_e32 v32, 0x7f800001
	v_bfe_u32 v14, v2, 16, 7
	v_mov_b32_e32 v33, 0
	s_mov_b32 s21, exec_lo
	v_cmpx_ne_u32_e32 0x7f, v14
	s_cbranch_execz .LBB251_513
; %bb.510:                              ;   in Loop: Header=BB251_11 Depth=1
	v_mov_b32_e32 v0, 7
	v_lshrrev_b32_e32 v3, 3, v14
	s_mov_b32 s22, exec_lo
	v_and_b32_sdwa v11, v2, v0 dst_sel:DWORD dst_unused:UNUSED_PAD src0_sel:WORD_1 src1_sel:DWORD
	v_cmpx_gt_u32_e32 8, v14
; %bb.511:                              ;   in Loop: Header=BB251_11 Depth=1
	v_ffbh_u32_e32 v3, v11
	v_min_u32_e32 v3, 32, v3
	v_subrev_nc_u32_e32 v8, 28, v3
	v_sub_nc_u32_e32 v3, 29, v3
	v_lshlrev_b64 v[14:15], v8, v[11:12]
	v_and_b32_e32 v11, 7, v14
; %bb.512:                              ;   in Loop: Header=BB251_11 Depth=1
	s_or_b32 exec_lo, exec_lo, s22
	v_mov_b32_e32 v0, 24
	v_lshlrev_b32_e32 v9, 20, v11
	v_lshl_add_u32 v3, v3, 23, 0x3c000000
	v_lshlrev_b32_sdwa v8, v0, v2 dst_sel:DWORD dst_unused:UNUSED_PAD src0_sel:DWORD src1_sel:WORD_1
	v_and_b32_e32 v8, 0x80000000, v8
	v_or3_b32 v11, v9, v8, v3
	v_mov_b32_e32 v33, v12
	v_mov_b32_e32 v32, v11
.LBB251_513:                            ;   in Loop: Header=BB251_11 Depth=1
	s_or_b32 exec_lo, exec_lo, s21
.LBB251_514:                            ;   in Loop: Header=BB251_11 Depth=1
	s_or_b32 exec_lo, exec_lo, s17
.LBB251_515:                            ;   in Loop: Header=BB251_11 Depth=1
	s_or_b32 exec_lo, exec_lo, s13
	s_mov_b32 s13, exec_lo
	v_cmpx_lt_u32_e32 0xffffff, v2
	s_cbranch_execz .LBB251_523
; %bb.516:                              ;   in Loop: Header=BB251_11 Depth=1
	v_mov_b32_e32 v108, v12
	v_cmp_ne_u32_sdwa s5, v2, v6 src0_sel:BYTE_3 src1_sel:DWORD
	v_mov_b32_e32 v20, v108
	v_mov_b32_e32 v21, v109
	s_and_saveexec_b32 s17, s5
	s_cbranch_execz .LBB251_522
; %bb.517:                              ;   in Loop: Header=BB251_11 Depth=1
	v_mov_b32_e32 v106, v12
	v_bfe_u32 v14, v2, 24, 7
	s_mov_b32 s21, exec_lo
	v_mov_b32_e32 v20, v106
	v_mov_b32_e32 v21, v107
	v_cmpx_ne_u32_e32 0x7f, v14
	s_cbranch_execz .LBB251_521
; %bb.518:                              ;   in Loop: Header=BB251_11 Depth=1
	v_mov_b32_e32 v0, 7
	v_lshrrev_b32_e32 v3, 3, v14
	s_mov_b32 s22, exec_lo
	v_and_b32_sdwa v11, v2, v0 dst_sel:DWORD dst_unused:UNUSED_PAD src0_sel:BYTE_3 src1_sel:DWORD
	v_cmpx_gt_u32_e32 8, v14
; %bb.519:                              ;   in Loop: Header=BB251_11 Depth=1
	v_ffbh_u32_e32 v3, v11
	v_min_u32_e32 v3, 32, v3
	v_subrev_nc_u32_e32 v8, 28, v3
	v_sub_nc_u32_e32 v3, 29, v3
	v_lshlrev_b64 v[14:15], v8, v[11:12]
	v_and_b32_e32 v11, 7, v14
; %bb.520:                              ;   in Loop: Header=BB251_11 Depth=1
	s_or_b32 exec_lo, exec_lo, s22
	v_mov_b32_e32 v0, 24
	v_lshlrev_b32_e32 v8, 20, v11
	v_lshl_add_u32 v3, v3, 23, 0x3c000000
	v_mov_b32_e32 v20, v12
	v_lshlrev_b32_sdwa v2, v0, v2 dst_sel:DWORD dst_unused:UNUSED_PAD src0_sel:DWORD src1_sel:BYTE_3
	v_and_b32_e32 v2, 0x80000000, v2
	v_or3_b32 v21, v8, v2, v3
.LBB251_521:                            ;   in Loop: Header=BB251_11 Depth=1
	s_or_b32 exec_lo, exec_lo, s21
.LBB251_522:                            ;   in Loop: Header=BB251_11 Depth=1
	s_or_b32 exec_lo, exec_lo, s17
.LBB251_523:                            ;   in Loop: Header=BB251_11 Depth=1
	s_or_b32 exec_lo, exec_lo, s13
	v_add_co_u32 v36, s5, 0x800, v120
	v_add_co_ci_u32_e64 v37, null, 0, v121, s5
	v_mov_b32_e32 v22, 0
	v_mov_b32_e32 v120, 0
	v_mov_b32_e32 v23, 0
	flat_load_dword v2, v[36:37]
	v_mov_b32_e32 v121, 0
	s_waitcnt vmcnt(0) lgkmcnt(0)
	v_cmp_ne_u16_sdwa s5, v2, v12 src0_sel:BYTE_0 src1_sel:DWORD
	s_and_saveexec_b32 s13, s5
	s_cbranch_execz .LBB251_531
; %bb.524:                              ;   in Loop: Header=BB251_11 Depth=1
	v_bfrev_b32_e32 v120, 1
	v_mov_b32_e32 v121, 0
	v_cmp_ne_u16_sdwa s5, v2, v6 src0_sel:BYTE_0 src1_sel:DWORD
	s_and_saveexec_b32 s17, s5
	s_cbranch_execz .LBB251_530
; %bb.525:                              ;   in Loop: Header=BB251_11 Depth=1
	v_mov_b32_e32 v120, 0x7f800001
	v_and_b32_e32 v14, 0x7f, v2
	v_mov_b32_e32 v121, 0
	s_mov_b32 s21, exec_lo
	v_cmpx_ne_u32_e32 0x7f, v14
	s_cbranch_execz .LBB251_529
; %bb.526:                              ;   in Loop: Header=BB251_11 Depth=1
	v_and_b32_e32 v11, 7, v2
	v_lshrrev_b32_e32 v3, 3, v14
	s_mov_b32 s22, exec_lo
	v_cmpx_gt_u32_e32 8, v14
; %bb.527:                              ;   in Loop: Header=BB251_11 Depth=1
	v_ffbh_u32_e32 v3, v11
	v_min_u32_e32 v3, 32, v3
	v_subrev_nc_u32_e32 v8, 28, v3
	v_sub_nc_u32_e32 v3, 29, v3
	v_lshlrev_b64 v[14:15], v8, v[11:12]
	v_and_b32_e32 v11, 7, v14
; %bb.528:                              ;   in Loop: Header=BB251_11 Depth=1
	s_or_b32 exec_lo, exec_lo, s22
	v_lshlrev_b32_e32 v8, 24, v2
	v_lshlrev_b32_e32 v9, 20, v11
	v_lshl_add_u32 v3, v3, 23, 0x3c000000
	v_and_b32_e32 v8, 0x80000000, v8
	v_or3_b32 v11, v9, v8, v3
	v_mov_b32_e32 v121, v12
	v_mov_b32_e32 v120, v11
.LBB251_529:                            ;   in Loop: Header=BB251_11 Depth=1
	s_or_b32 exec_lo, exec_lo, s21
.LBB251_530:                            ;   in Loop: Header=BB251_11 Depth=1
	s_or_b32 exec_lo, exec_lo, s17
.LBB251_531:                            ;   in Loop: Header=BB251_11 Depth=1
	s_or_b32 exec_lo, exec_lo, s13
	v_cmp_ne_u16_sdwa s5, v2, v12 src0_sel:BYTE_1 src1_sel:DWORD
	s_and_saveexec_b32 s13, s5
	s_cbranch_execz .LBB251_539
; %bb.532:                              ;   in Loop: Header=BB251_11 Depth=1
	v_mov_b32_e32 v108, v12
	v_cmp_ne_u16_sdwa s5, v2, v6 src0_sel:BYTE_1 src1_sel:DWORD
	v_mov_b32_e32 v22, v108
	v_mov_b32_e32 v23, v109
	s_and_saveexec_b32 s17, s5
	s_cbranch_execz .LBB251_538
; %bb.533:                              ;   in Loop: Header=BB251_11 Depth=1
	v_mov_b32_e32 v0, 0xffff
	v_mov_b32_e32 v106, v12
	s_mov_b32 s21, exec_lo
	v_and_b32_sdwa v3, v0, v2 dst_sel:DWORD dst_unused:UNUSED_PAD src0_sel:DWORD src1_sel:BYTE_1
	v_mov_b32_e32 v22, v106
	v_mov_b32_e32 v23, v107
	v_and_b32_e32 v14, 0x7f, v3
	v_cmpx_ne_u32_e32 0x7f, v14
	s_cbranch_execz .LBB251_537
; %bb.534:                              ;   in Loop: Header=BB251_11 Depth=1
	v_and_b32_e32 v11, 7, v3
	v_lshrrev_b32_e32 v3, 3, v14
	s_mov_b32 s22, exec_lo
	v_cmpx_gt_u32_e32 8, v14
; %bb.535:                              ;   in Loop: Header=BB251_11 Depth=1
	v_ffbh_u32_e32 v3, v11
	v_min_u32_e32 v3, 32, v3
	v_subrev_nc_u32_e32 v8, 28, v3
	v_sub_nc_u32_e32 v3, 29, v3
	v_lshlrev_b64 v[14:15], v8, v[11:12]
	v_and_b32_e32 v11, 7, v14
; %bb.536:                              ;   in Loop: Header=BB251_11 Depth=1
	s_or_b32 exec_lo, exec_lo, s22
	v_lshlrev_b32_e32 v8, 16, v2
	v_lshlrev_b32_e32 v9, 20, v11
	v_lshl_add_u32 v3, v3, 23, 0x3c000000
	v_mov_b32_e32 v22, v12
	v_and_b32_e32 v8, 0x80000000, v8
	v_or3_b32 v23, v9, v8, v3
.LBB251_537:                            ;   in Loop: Header=BB251_11 Depth=1
	s_or_b32 exec_lo, exec_lo, s21
.LBB251_538:                            ;   in Loop: Header=BB251_11 Depth=1
	s_or_b32 exec_lo, exec_lo, s17
.LBB251_539:                            ;   in Loop: Header=BB251_11 Depth=1
	s_or_b32 exec_lo, exec_lo, s13
	v_mov_b32_e32 v0, 0xff
	v_mov_b32_e32 v38, 0
	;; [unrolled: 1-line block ×5, first 2 shown]
	v_and_b32_sdwa v3, v2, v0 dst_sel:DWORD dst_unused:UNUSED_PAD src0_sel:WORD_1 src1_sel:DWORD
	s_mov_b32 s13, exec_lo
	v_cmpx_ne_u16_e32 0, v3
	s_cbranch_execz .LBB251_547
; %bb.540:                              ;   in Loop: Header=BB251_11 Depth=1
	v_bfrev_b32_e32 v18, 1
	v_mov_b32_e32 v19, 0
	s_mov_b32 s17, exec_lo
	v_cmpx_ne_u16_e32 0x80, v3
	s_cbranch_execz .LBB251_546
; %bb.541:                              ;   in Loop: Header=BB251_11 Depth=1
	v_mov_b32_e32 v18, 0x7f800001
	v_bfe_u32 v14, v2, 16, 7
	v_mov_b32_e32 v19, 0
	s_mov_b32 s21, exec_lo
	v_cmpx_ne_u32_e32 0x7f, v14
	s_cbranch_execz .LBB251_545
; %bb.542:                              ;   in Loop: Header=BB251_11 Depth=1
	v_mov_b32_e32 v0, 7
	v_lshrrev_b32_e32 v3, 3, v14
	s_mov_b32 s22, exec_lo
	v_and_b32_sdwa v11, v2, v0 dst_sel:DWORD dst_unused:UNUSED_PAD src0_sel:WORD_1 src1_sel:DWORD
	v_cmpx_gt_u32_e32 8, v14
; %bb.543:                              ;   in Loop: Header=BB251_11 Depth=1
	v_ffbh_u32_e32 v3, v11
	v_min_u32_e32 v3, 32, v3
	v_subrev_nc_u32_e32 v8, 28, v3
	v_sub_nc_u32_e32 v3, 29, v3
	v_lshlrev_b64 v[14:15], v8, v[11:12]
	v_and_b32_e32 v11, 7, v14
; %bb.544:                              ;   in Loop: Header=BB251_11 Depth=1
	s_or_b32 exec_lo, exec_lo, s22
	v_mov_b32_e32 v0, 24
	v_lshlrev_b32_e32 v9, 20, v11
	v_lshl_add_u32 v3, v3, 23, 0x3c000000
	v_lshlrev_b32_sdwa v8, v0, v2 dst_sel:DWORD dst_unused:UNUSED_PAD src0_sel:DWORD src1_sel:WORD_1
	v_and_b32_e32 v8, 0x80000000, v8
	v_or3_b32 v11, v9, v8, v3
	v_mov_b32_e32 v19, v12
	v_mov_b32_e32 v18, v11
.LBB251_545:                            ;   in Loop: Header=BB251_11 Depth=1
	s_or_b32 exec_lo, exec_lo, s21
.LBB251_546:                            ;   in Loop: Header=BB251_11 Depth=1
	s_or_b32 exec_lo, exec_lo, s17
.LBB251_547:                            ;   in Loop: Header=BB251_11 Depth=1
	s_or_b32 exec_lo, exec_lo, s13
	s_mov_b32 s13, exec_lo
	v_cmpx_lt_u32_e32 0xffffff, v2
	s_cbranch_execz .LBB251_555
; %bb.548:                              ;   in Loop: Header=BB251_11 Depth=1
	v_mov_b32_e32 v108, v12
	v_cmp_ne_u32_sdwa s5, v2, v6 src0_sel:BYTE_3 src1_sel:DWORD
	v_mov_b32_e32 v38, v108
	v_mov_b32_e32 v39, v109
	s_and_saveexec_b32 s17, s5
	s_cbranch_execz .LBB251_554
; %bb.549:                              ;   in Loop: Header=BB251_11 Depth=1
	v_mov_b32_e32 v106, v12
	v_bfe_u32 v14, v2, 24, 7
	s_mov_b32 s21, exec_lo
	v_mov_b32_e32 v38, v106
	v_mov_b32_e32 v39, v107
	v_cmpx_ne_u32_e32 0x7f, v14
	s_cbranch_execz .LBB251_553
; %bb.550:                              ;   in Loop: Header=BB251_11 Depth=1
	v_mov_b32_e32 v0, 7
	v_lshrrev_b32_e32 v3, 3, v14
	s_mov_b32 s22, exec_lo
	v_and_b32_sdwa v11, v2, v0 dst_sel:DWORD dst_unused:UNUSED_PAD src0_sel:BYTE_3 src1_sel:DWORD
	v_cmpx_gt_u32_e32 8, v14
; %bb.551:                              ;   in Loop: Header=BB251_11 Depth=1
	v_ffbh_u32_e32 v3, v11
	v_min_u32_e32 v3, 32, v3
	v_subrev_nc_u32_e32 v8, 28, v3
	v_sub_nc_u32_e32 v3, 29, v3
	v_lshlrev_b64 v[14:15], v8, v[11:12]
	v_and_b32_e32 v11, 7, v14
; %bb.552:                              ;   in Loop: Header=BB251_11 Depth=1
	s_or_b32 exec_lo, exec_lo, s22
	v_mov_b32_e32 v0, 24
	v_lshlrev_b32_e32 v8, 20, v11
	v_lshl_add_u32 v3, v3, 23, 0x3c000000
	v_mov_b32_e32 v38, v12
	v_lshlrev_b32_sdwa v2, v0, v2 dst_sel:DWORD dst_unused:UNUSED_PAD src0_sel:DWORD src1_sel:BYTE_3
	v_and_b32_e32 v2, 0x80000000, v2
	v_or3_b32 v39, v8, v2, v3
.LBB251_553:                            ;   in Loop: Header=BB251_11 Depth=1
	s_or_b32 exec_lo, exec_lo, s21
.LBB251_554:                            ;   in Loop: Header=BB251_11 Depth=1
	s_or_b32 exec_lo, exec_lo, s17
.LBB251_555:                            ;   in Loop: Header=BB251_11 Depth=1
	s_or_b32 exec_lo, exec_lo, s13
	flat_load_dword v2, v[36:37] offset:4
	v_mov_b32_e32 v28, 0
	v_mov_b32_e32 v48, 0
	;; [unrolled: 1-line block ×4, first 2 shown]
	s_waitcnt vmcnt(0) lgkmcnt(0)
	v_cmp_ne_u16_sdwa s5, v2, v12 src0_sel:BYTE_0 src1_sel:DWORD
	s_and_saveexec_b32 s13, s5
	s_cbranch_execz .LBB251_563
; %bb.556:                              ;   in Loop: Header=BB251_11 Depth=1
	v_bfrev_b32_e32 v48, 1
	v_mov_b32_e32 v49, 0
	v_cmp_ne_u16_sdwa s5, v2, v6 src0_sel:BYTE_0 src1_sel:DWORD
	s_and_saveexec_b32 s17, s5
	s_cbranch_execz .LBB251_562
; %bb.557:                              ;   in Loop: Header=BB251_11 Depth=1
	v_mov_b32_e32 v48, 0x7f800001
	v_and_b32_e32 v14, 0x7f, v2
	v_mov_b32_e32 v49, 0
	s_mov_b32 s21, exec_lo
	v_cmpx_ne_u32_e32 0x7f, v14
	s_cbranch_execz .LBB251_561
; %bb.558:                              ;   in Loop: Header=BB251_11 Depth=1
	v_and_b32_e32 v11, 7, v2
	v_lshrrev_b32_e32 v3, 3, v14
	s_mov_b32 s22, exec_lo
	v_cmpx_gt_u32_e32 8, v14
; %bb.559:                              ;   in Loop: Header=BB251_11 Depth=1
	v_ffbh_u32_e32 v3, v11
	v_min_u32_e32 v3, 32, v3
	v_subrev_nc_u32_e32 v8, 28, v3
	v_sub_nc_u32_e32 v3, 29, v3
	v_lshlrev_b64 v[14:15], v8, v[11:12]
	v_and_b32_e32 v11, 7, v14
; %bb.560:                              ;   in Loop: Header=BB251_11 Depth=1
	s_or_b32 exec_lo, exec_lo, s22
	v_lshlrev_b32_e32 v8, 24, v2
	v_lshlrev_b32_e32 v9, 20, v11
	v_lshl_add_u32 v3, v3, 23, 0x3c000000
	v_and_b32_e32 v8, 0x80000000, v8
	v_or3_b32 v11, v9, v8, v3
	v_mov_b32_e32 v49, v12
	v_mov_b32_e32 v48, v11
.LBB251_561:                            ;   in Loop: Header=BB251_11 Depth=1
	s_or_b32 exec_lo, exec_lo, s21
.LBB251_562:                            ;   in Loop: Header=BB251_11 Depth=1
	s_or_b32 exec_lo, exec_lo, s17
.LBB251_563:                            ;   in Loop: Header=BB251_11 Depth=1
	s_or_b32 exec_lo, exec_lo, s13
	v_cmp_ne_u16_sdwa s5, v2, v12 src0_sel:BYTE_1 src1_sel:DWORD
	s_and_saveexec_b32 s13, s5
	s_cbranch_execz .LBB251_571
; %bb.564:                              ;   in Loop: Header=BB251_11 Depth=1
	v_mov_b32_e32 v108, v12
	v_cmp_ne_u16_sdwa s5, v2, v6 src0_sel:BYTE_1 src1_sel:DWORD
	v_mov_b32_e32 v28, v108
	v_mov_b32_e32 v29, v109
	s_and_saveexec_b32 s17, s5
	s_cbranch_execz .LBB251_570
; %bb.565:                              ;   in Loop: Header=BB251_11 Depth=1
	v_mov_b32_e32 v0, 0xffff
	v_mov_b32_e32 v106, v12
	s_mov_b32 s21, exec_lo
	v_and_b32_sdwa v3, v0, v2 dst_sel:DWORD dst_unused:UNUSED_PAD src0_sel:DWORD src1_sel:BYTE_1
	v_mov_b32_e32 v28, v106
	v_mov_b32_e32 v29, v107
	v_and_b32_e32 v14, 0x7f, v3
	v_cmpx_ne_u32_e32 0x7f, v14
	s_cbranch_execz .LBB251_569
; %bb.566:                              ;   in Loop: Header=BB251_11 Depth=1
	v_and_b32_e32 v11, 7, v3
	v_lshrrev_b32_e32 v3, 3, v14
	s_mov_b32 s22, exec_lo
	v_cmpx_gt_u32_e32 8, v14
; %bb.567:                              ;   in Loop: Header=BB251_11 Depth=1
	v_ffbh_u32_e32 v3, v11
	v_min_u32_e32 v3, 32, v3
	v_subrev_nc_u32_e32 v8, 28, v3
	v_sub_nc_u32_e32 v3, 29, v3
	v_lshlrev_b64 v[14:15], v8, v[11:12]
	v_and_b32_e32 v11, 7, v14
; %bb.568:                              ;   in Loop: Header=BB251_11 Depth=1
	s_or_b32 exec_lo, exec_lo, s22
	v_lshlrev_b32_e32 v8, 16, v2
	v_lshlrev_b32_e32 v9, 20, v11
	v_lshl_add_u32 v3, v3, 23, 0x3c000000
	v_mov_b32_e32 v28, v12
	v_and_b32_e32 v8, 0x80000000, v8
	v_or3_b32 v29, v9, v8, v3
.LBB251_569:                            ;   in Loop: Header=BB251_11 Depth=1
	s_or_b32 exec_lo, exec_lo, s21
.LBB251_570:                            ;   in Loop: Header=BB251_11 Depth=1
	s_or_b32 exec_lo, exec_lo, s17
.LBB251_571:                            ;   in Loop: Header=BB251_11 Depth=1
	s_or_b32 exec_lo, exec_lo, s13
	v_mov_b32_e32 v0, 0xff
	v_mov_b32_e32 v54, 0
	v_mov_b32_e32 v34, 0
	v_mov_b32_e32 v55, 0
	v_mov_b32_e32 v35, 0
	v_and_b32_sdwa v3, v2, v0 dst_sel:DWORD dst_unused:UNUSED_PAD src0_sel:WORD_1 src1_sel:DWORD
	s_mov_b32 s13, exec_lo
	v_cmpx_ne_u16_e32 0, v3
	s_cbranch_execz .LBB251_579
; %bb.572:                              ;   in Loop: Header=BB251_11 Depth=1
	v_bfrev_b32_e32 v34, 1
	v_mov_b32_e32 v35, 0
	s_mov_b32 s17, exec_lo
	v_cmpx_ne_u16_e32 0x80, v3
	s_cbranch_execz .LBB251_578
; %bb.573:                              ;   in Loop: Header=BB251_11 Depth=1
	v_mov_b32_e32 v34, 0x7f800001
	v_bfe_u32 v14, v2, 16, 7
	v_mov_b32_e32 v35, 0
	s_mov_b32 s21, exec_lo
	v_cmpx_ne_u32_e32 0x7f, v14
	s_cbranch_execz .LBB251_577
; %bb.574:                              ;   in Loop: Header=BB251_11 Depth=1
	v_mov_b32_e32 v0, 7
	v_lshrrev_b32_e32 v3, 3, v14
	s_mov_b32 s22, exec_lo
	v_and_b32_sdwa v11, v2, v0 dst_sel:DWORD dst_unused:UNUSED_PAD src0_sel:WORD_1 src1_sel:DWORD
	v_cmpx_gt_u32_e32 8, v14
; %bb.575:                              ;   in Loop: Header=BB251_11 Depth=1
	v_ffbh_u32_e32 v3, v11
	v_min_u32_e32 v3, 32, v3
	v_subrev_nc_u32_e32 v8, 28, v3
	v_sub_nc_u32_e32 v3, 29, v3
	v_lshlrev_b64 v[14:15], v8, v[11:12]
	v_and_b32_e32 v11, 7, v14
; %bb.576:                              ;   in Loop: Header=BB251_11 Depth=1
	s_or_b32 exec_lo, exec_lo, s22
	v_mov_b32_e32 v0, 24
	v_lshlrev_b32_e32 v9, 20, v11
	v_lshl_add_u32 v3, v3, 23, 0x3c000000
	v_lshlrev_b32_sdwa v8, v0, v2 dst_sel:DWORD dst_unused:UNUSED_PAD src0_sel:DWORD src1_sel:WORD_1
	v_and_b32_e32 v8, 0x80000000, v8
	v_or3_b32 v11, v9, v8, v3
	v_mov_b32_e32 v35, v12
	v_mov_b32_e32 v34, v11
.LBB251_577:                            ;   in Loop: Header=BB251_11 Depth=1
	s_or_b32 exec_lo, exec_lo, s21
.LBB251_578:                            ;   in Loop: Header=BB251_11 Depth=1
	s_or_b32 exec_lo, exec_lo, s17
.LBB251_579:                            ;   in Loop: Header=BB251_11 Depth=1
	s_or_b32 exec_lo, exec_lo, s13
	s_mov_b32 s13, exec_lo
	v_cmpx_lt_u32_e32 0xffffff, v2
	s_cbranch_execz .LBB251_587
; %bb.580:                              ;   in Loop: Header=BB251_11 Depth=1
	v_mov_b32_e32 v108, v12
	v_cmp_ne_u32_sdwa s5, v2, v6 src0_sel:BYTE_3 src1_sel:DWORD
	v_mov_b32_e32 v54, v108
	v_mov_b32_e32 v55, v109
	s_and_saveexec_b32 s17, s5
	s_cbranch_execz .LBB251_586
; %bb.581:                              ;   in Loop: Header=BB251_11 Depth=1
	v_mov_b32_e32 v106, v12
	v_bfe_u32 v14, v2, 24, 7
	s_mov_b32 s21, exec_lo
	v_mov_b32_e32 v54, v106
	v_mov_b32_e32 v55, v107
	v_cmpx_ne_u32_e32 0x7f, v14
	s_cbranch_execz .LBB251_585
; %bb.582:                              ;   in Loop: Header=BB251_11 Depth=1
	v_mov_b32_e32 v0, 7
	v_lshrrev_b32_e32 v3, 3, v14
	s_mov_b32 s22, exec_lo
	v_and_b32_sdwa v11, v2, v0 dst_sel:DWORD dst_unused:UNUSED_PAD src0_sel:BYTE_3 src1_sel:DWORD
	v_cmpx_gt_u32_e32 8, v14
; %bb.583:                              ;   in Loop: Header=BB251_11 Depth=1
	v_ffbh_u32_e32 v3, v11
	v_min_u32_e32 v3, 32, v3
	v_subrev_nc_u32_e32 v8, 28, v3
	v_sub_nc_u32_e32 v3, 29, v3
	v_lshlrev_b64 v[14:15], v8, v[11:12]
	v_and_b32_e32 v11, 7, v14
; %bb.584:                              ;   in Loop: Header=BB251_11 Depth=1
	s_or_b32 exec_lo, exec_lo, s22
	v_mov_b32_e32 v0, 24
	v_lshlrev_b32_e32 v8, 20, v11
	v_lshl_add_u32 v3, v3, 23, 0x3c000000
	v_mov_b32_e32 v54, v12
	v_lshlrev_b32_sdwa v2, v0, v2 dst_sel:DWORD dst_unused:UNUSED_PAD src0_sel:DWORD src1_sel:BYTE_3
	v_and_b32_e32 v2, 0x80000000, v2
	v_or3_b32 v55, v8, v2, v3
.LBB251_585:                            ;   in Loop: Header=BB251_11 Depth=1
	s_or_b32 exec_lo, exec_lo, s21
.LBB251_586:                            ;   in Loop: Header=BB251_11 Depth=1
	s_or_b32 exec_lo, exec_lo, s17
.LBB251_587:                            ;   in Loop: Header=BB251_11 Depth=1
	s_or_b32 exec_lo, exec_lo, s13
	flat_load_dword v2, v[36:37] offset:8
	v_mov_b32_e32 v70, 0
	v_mov_b32_e32 v64, 0
	;; [unrolled: 1-line block ×4, first 2 shown]
	s_waitcnt vmcnt(0) lgkmcnt(0)
	v_cmp_ne_u16_sdwa s5, v2, v12 src0_sel:BYTE_0 src1_sel:DWORD
	s_and_saveexec_b32 s13, s5
	s_cbranch_execz .LBB251_595
; %bb.588:                              ;   in Loop: Header=BB251_11 Depth=1
	v_bfrev_b32_e32 v64, 1
	v_mov_b32_e32 v65, 0
	v_cmp_ne_u16_sdwa s5, v2, v6 src0_sel:BYTE_0 src1_sel:DWORD
	s_and_saveexec_b32 s17, s5
	s_cbranch_execz .LBB251_594
; %bb.589:                              ;   in Loop: Header=BB251_11 Depth=1
	v_mov_b32_e32 v64, 0x7f800001
	v_and_b32_e32 v14, 0x7f, v2
	v_mov_b32_e32 v65, 0
	s_mov_b32 s21, exec_lo
	v_cmpx_ne_u32_e32 0x7f, v14
	s_cbranch_execz .LBB251_593
; %bb.590:                              ;   in Loop: Header=BB251_11 Depth=1
	v_and_b32_e32 v11, 7, v2
	v_lshrrev_b32_e32 v3, 3, v14
	s_mov_b32 s22, exec_lo
	v_cmpx_gt_u32_e32 8, v14
; %bb.591:                              ;   in Loop: Header=BB251_11 Depth=1
	v_ffbh_u32_e32 v3, v11
	v_min_u32_e32 v3, 32, v3
	v_subrev_nc_u32_e32 v8, 28, v3
	v_sub_nc_u32_e32 v3, 29, v3
	v_lshlrev_b64 v[14:15], v8, v[11:12]
	v_and_b32_e32 v11, 7, v14
; %bb.592:                              ;   in Loop: Header=BB251_11 Depth=1
	s_or_b32 exec_lo, exec_lo, s22
	v_lshlrev_b32_e32 v8, 24, v2
	v_lshlrev_b32_e32 v9, 20, v11
	v_lshl_add_u32 v3, v3, 23, 0x3c000000
	v_and_b32_e32 v8, 0x80000000, v8
	v_or3_b32 v11, v9, v8, v3
	v_mov_b32_e32 v65, v12
	v_mov_b32_e32 v64, v11
.LBB251_593:                            ;   in Loop: Header=BB251_11 Depth=1
	s_or_b32 exec_lo, exec_lo, s21
.LBB251_594:                            ;   in Loop: Header=BB251_11 Depth=1
	s_or_b32 exec_lo, exec_lo, s17
.LBB251_595:                            ;   in Loop: Header=BB251_11 Depth=1
	s_or_b32 exec_lo, exec_lo, s13
	v_cmp_ne_u16_sdwa s5, v2, v12 src0_sel:BYTE_1 src1_sel:DWORD
	s_and_saveexec_b32 s13, s5
	s_cbranch_execz .LBB251_603
; %bb.596:                              ;   in Loop: Header=BB251_11 Depth=1
	v_mov_b32_e32 v108, v12
	v_cmp_ne_u16_sdwa s5, v2, v6 src0_sel:BYTE_1 src1_sel:DWORD
	v_mov_b32_e32 v70, v108
	v_mov_b32_e32 v71, v109
	s_and_saveexec_b32 s17, s5
	s_cbranch_execz .LBB251_602
; %bb.597:                              ;   in Loop: Header=BB251_11 Depth=1
	v_mov_b32_e32 v0, 0xffff
	v_mov_b32_e32 v106, v12
	s_mov_b32 s21, exec_lo
	v_and_b32_sdwa v3, v0, v2 dst_sel:DWORD dst_unused:UNUSED_PAD src0_sel:DWORD src1_sel:BYTE_1
	v_mov_b32_e32 v70, v106
	v_mov_b32_e32 v71, v107
	v_and_b32_e32 v14, 0x7f, v3
	v_cmpx_ne_u32_e32 0x7f, v14
	s_cbranch_execz .LBB251_601
; %bb.598:                              ;   in Loop: Header=BB251_11 Depth=1
	v_and_b32_e32 v11, 7, v3
	v_lshrrev_b32_e32 v3, 3, v14
	s_mov_b32 s22, exec_lo
	v_cmpx_gt_u32_e32 8, v14
; %bb.599:                              ;   in Loop: Header=BB251_11 Depth=1
	v_ffbh_u32_e32 v3, v11
	v_min_u32_e32 v3, 32, v3
	v_subrev_nc_u32_e32 v8, 28, v3
	v_sub_nc_u32_e32 v3, 29, v3
	v_lshlrev_b64 v[14:15], v8, v[11:12]
	v_and_b32_e32 v11, 7, v14
; %bb.600:                              ;   in Loop: Header=BB251_11 Depth=1
	s_or_b32 exec_lo, exec_lo, s22
	v_lshlrev_b32_e32 v8, 16, v2
	v_lshlrev_b32_e32 v9, 20, v11
	v_lshl_add_u32 v3, v3, 23, 0x3c000000
	v_mov_b32_e32 v70, v12
	v_and_b32_e32 v8, 0x80000000, v8
	v_or3_b32 v71, v9, v8, v3
.LBB251_601:                            ;   in Loop: Header=BB251_11 Depth=1
	s_or_b32 exec_lo, exec_lo, s21
.LBB251_602:                            ;   in Loop: Header=BB251_11 Depth=1
	s_or_b32 exec_lo, exec_lo, s17
.LBB251_603:                            ;   in Loop: Header=BB251_11 Depth=1
	s_or_b32 exec_lo, exec_lo, s13
	v_mov_b32_e32 v0, 0xff
	v_mov_b32_e32 v50, 0
	;; [unrolled: 1-line block ×5, first 2 shown]
	v_and_b32_sdwa v3, v2, v0 dst_sel:DWORD dst_unused:UNUSED_PAD src0_sel:WORD_1 src1_sel:DWORD
	s_mov_b32 s13, exec_lo
	v_cmpx_ne_u16_e32 0, v3
	s_cbranch_execz .LBB251_611
; %bb.604:                              ;   in Loop: Header=BB251_11 Depth=1
	v_bfrev_b32_e32 v52, 1
	v_mov_b32_e32 v53, 0
	s_mov_b32 s17, exec_lo
	v_cmpx_ne_u16_e32 0x80, v3
	s_cbranch_execz .LBB251_610
; %bb.605:                              ;   in Loop: Header=BB251_11 Depth=1
	v_mov_b32_e32 v52, 0x7f800001
	v_bfe_u32 v14, v2, 16, 7
	v_mov_b32_e32 v53, 0
	s_mov_b32 s21, exec_lo
	v_cmpx_ne_u32_e32 0x7f, v14
	s_cbranch_execz .LBB251_609
; %bb.606:                              ;   in Loop: Header=BB251_11 Depth=1
	v_mov_b32_e32 v0, 7
	v_lshrrev_b32_e32 v3, 3, v14
	s_mov_b32 s22, exec_lo
	v_and_b32_sdwa v11, v2, v0 dst_sel:DWORD dst_unused:UNUSED_PAD src0_sel:WORD_1 src1_sel:DWORD
	v_cmpx_gt_u32_e32 8, v14
; %bb.607:                              ;   in Loop: Header=BB251_11 Depth=1
	v_ffbh_u32_e32 v3, v11
	v_min_u32_e32 v3, 32, v3
	v_subrev_nc_u32_e32 v8, 28, v3
	v_sub_nc_u32_e32 v3, 29, v3
	v_lshlrev_b64 v[14:15], v8, v[11:12]
	v_and_b32_e32 v11, 7, v14
; %bb.608:                              ;   in Loop: Header=BB251_11 Depth=1
	s_or_b32 exec_lo, exec_lo, s22
	v_mov_b32_e32 v0, 24
	v_lshlrev_b32_e32 v9, 20, v11
	v_lshl_add_u32 v3, v3, 23, 0x3c000000
	v_lshlrev_b32_sdwa v8, v0, v2 dst_sel:DWORD dst_unused:UNUSED_PAD src0_sel:DWORD src1_sel:WORD_1
	v_and_b32_e32 v8, 0x80000000, v8
	v_or3_b32 v11, v9, v8, v3
	v_mov_b32_e32 v53, v12
	v_mov_b32_e32 v52, v11
.LBB251_609:                            ;   in Loop: Header=BB251_11 Depth=1
	s_or_b32 exec_lo, exec_lo, s21
.LBB251_610:                            ;   in Loop: Header=BB251_11 Depth=1
	s_or_b32 exec_lo, exec_lo, s17
.LBB251_611:                            ;   in Loop: Header=BB251_11 Depth=1
	s_or_b32 exec_lo, exec_lo, s13
	s_mov_b32 s13, exec_lo
	v_cmpx_lt_u32_e32 0xffffff, v2
	s_cbranch_execz .LBB251_619
; %bb.612:                              ;   in Loop: Header=BB251_11 Depth=1
	v_mov_b32_e32 v108, v12
	v_cmp_ne_u32_sdwa s5, v2, v6 src0_sel:BYTE_3 src1_sel:DWORD
	v_mov_b32_e32 v50, v108
	v_mov_b32_e32 v51, v109
	s_and_saveexec_b32 s17, s5
	s_cbranch_execz .LBB251_618
; %bb.613:                              ;   in Loop: Header=BB251_11 Depth=1
	v_mov_b32_e32 v106, v12
	v_bfe_u32 v14, v2, 24, 7
	s_mov_b32 s21, exec_lo
	v_mov_b32_e32 v50, v106
	v_mov_b32_e32 v51, v107
	v_cmpx_ne_u32_e32 0x7f, v14
	s_cbranch_execz .LBB251_617
; %bb.614:                              ;   in Loop: Header=BB251_11 Depth=1
	v_mov_b32_e32 v0, 7
	v_lshrrev_b32_e32 v3, 3, v14
	s_mov_b32 s22, exec_lo
	v_and_b32_sdwa v11, v2, v0 dst_sel:DWORD dst_unused:UNUSED_PAD src0_sel:BYTE_3 src1_sel:DWORD
	v_cmpx_gt_u32_e32 8, v14
; %bb.615:                              ;   in Loop: Header=BB251_11 Depth=1
	v_ffbh_u32_e32 v3, v11
	v_min_u32_e32 v3, 32, v3
	v_subrev_nc_u32_e32 v8, 28, v3
	v_sub_nc_u32_e32 v3, 29, v3
	v_lshlrev_b64 v[14:15], v8, v[11:12]
	v_and_b32_e32 v11, 7, v14
; %bb.616:                              ;   in Loop: Header=BB251_11 Depth=1
	s_or_b32 exec_lo, exec_lo, s22
	v_mov_b32_e32 v0, 24
	v_lshlrev_b32_e32 v8, 20, v11
	v_lshl_add_u32 v3, v3, 23, 0x3c000000
	v_mov_b32_e32 v50, v12
	v_lshlrev_b32_sdwa v2, v0, v2 dst_sel:DWORD dst_unused:UNUSED_PAD src0_sel:DWORD src1_sel:BYTE_3
	v_and_b32_e32 v2, 0x80000000, v2
	v_or3_b32 v51, v8, v2, v3
.LBB251_617:                            ;   in Loop: Header=BB251_11 Depth=1
	s_or_b32 exec_lo, exec_lo, s21
.LBB251_618:                            ;   in Loop: Header=BB251_11 Depth=1
	s_or_b32 exec_lo, exec_lo, s17
.LBB251_619:                            ;   in Loop: Header=BB251_11 Depth=1
	s_or_b32 exec_lo, exec_lo, s13
	flat_load_dword v2, v[36:37] offset:12
	v_mov_b32_e32 v86, 0
	v_mov_b32_e32 v80, 0
	;; [unrolled: 1-line block ×4, first 2 shown]
	s_waitcnt vmcnt(0) lgkmcnt(0)
	v_cmp_ne_u16_sdwa s5, v2, v12 src0_sel:BYTE_0 src1_sel:DWORD
	s_and_saveexec_b32 s13, s5
	s_cbranch_execz .LBB251_627
; %bb.620:                              ;   in Loop: Header=BB251_11 Depth=1
	v_bfrev_b32_e32 v80, 1
	v_mov_b32_e32 v81, 0
	v_cmp_ne_u16_sdwa s5, v2, v6 src0_sel:BYTE_0 src1_sel:DWORD
	s_and_saveexec_b32 s17, s5
	s_cbranch_execz .LBB251_626
; %bb.621:                              ;   in Loop: Header=BB251_11 Depth=1
	v_mov_b32_e32 v80, 0x7f800001
	v_and_b32_e32 v14, 0x7f, v2
	v_mov_b32_e32 v81, 0
	s_mov_b32 s21, exec_lo
	v_cmpx_ne_u32_e32 0x7f, v14
	s_cbranch_execz .LBB251_625
; %bb.622:                              ;   in Loop: Header=BB251_11 Depth=1
	v_and_b32_e32 v11, 7, v2
	v_lshrrev_b32_e32 v3, 3, v14
	s_mov_b32 s22, exec_lo
	v_cmpx_gt_u32_e32 8, v14
; %bb.623:                              ;   in Loop: Header=BB251_11 Depth=1
	v_ffbh_u32_e32 v3, v11
	v_min_u32_e32 v3, 32, v3
	v_subrev_nc_u32_e32 v8, 28, v3
	v_sub_nc_u32_e32 v3, 29, v3
	v_lshlrev_b64 v[14:15], v8, v[11:12]
	v_and_b32_e32 v11, 7, v14
; %bb.624:                              ;   in Loop: Header=BB251_11 Depth=1
	s_or_b32 exec_lo, exec_lo, s22
	v_lshlrev_b32_e32 v8, 24, v2
	v_lshlrev_b32_e32 v9, 20, v11
	v_lshl_add_u32 v3, v3, 23, 0x3c000000
	v_and_b32_e32 v8, 0x80000000, v8
	v_or3_b32 v11, v9, v8, v3
	v_mov_b32_e32 v81, v12
	v_mov_b32_e32 v80, v11
.LBB251_625:                            ;   in Loop: Header=BB251_11 Depth=1
	s_or_b32 exec_lo, exec_lo, s21
.LBB251_626:                            ;   in Loop: Header=BB251_11 Depth=1
	s_or_b32 exec_lo, exec_lo, s17
.LBB251_627:                            ;   in Loop: Header=BB251_11 Depth=1
	s_or_b32 exec_lo, exec_lo, s13
	v_cmp_ne_u16_sdwa s5, v2, v12 src0_sel:BYTE_1 src1_sel:DWORD
	s_and_saveexec_b32 s13, s5
	s_cbranch_execz .LBB251_635
; %bb.628:                              ;   in Loop: Header=BB251_11 Depth=1
	v_mov_b32_e32 v108, v12
	v_cmp_ne_u16_sdwa s5, v2, v6 src0_sel:BYTE_1 src1_sel:DWORD
	v_mov_b32_e32 v86, v108
	v_mov_b32_e32 v87, v109
	s_and_saveexec_b32 s17, s5
	s_cbranch_execz .LBB251_634
; %bb.629:                              ;   in Loop: Header=BB251_11 Depth=1
	v_mov_b32_e32 v0, 0xffff
	v_mov_b32_e32 v106, v12
	s_mov_b32 s21, exec_lo
	v_and_b32_sdwa v3, v0, v2 dst_sel:DWORD dst_unused:UNUSED_PAD src0_sel:DWORD src1_sel:BYTE_1
	v_mov_b32_e32 v86, v106
	v_mov_b32_e32 v87, v107
	v_and_b32_e32 v14, 0x7f, v3
	v_cmpx_ne_u32_e32 0x7f, v14
	s_cbranch_execz .LBB251_633
; %bb.630:                              ;   in Loop: Header=BB251_11 Depth=1
	v_and_b32_e32 v11, 7, v3
	v_lshrrev_b32_e32 v3, 3, v14
	s_mov_b32 s22, exec_lo
	v_cmpx_gt_u32_e32 8, v14
; %bb.631:                              ;   in Loop: Header=BB251_11 Depth=1
	v_ffbh_u32_e32 v3, v11
	v_min_u32_e32 v3, 32, v3
	v_subrev_nc_u32_e32 v8, 28, v3
	v_sub_nc_u32_e32 v3, 29, v3
	v_lshlrev_b64 v[14:15], v8, v[11:12]
	v_and_b32_e32 v11, 7, v14
; %bb.632:                              ;   in Loop: Header=BB251_11 Depth=1
	s_or_b32 exec_lo, exec_lo, s22
	v_lshlrev_b32_e32 v8, 16, v2
	v_lshlrev_b32_e32 v9, 20, v11
	v_lshl_add_u32 v3, v3, 23, 0x3c000000
	v_mov_b32_e32 v86, v12
	v_and_b32_e32 v8, 0x80000000, v8
	v_or3_b32 v87, v9, v8, v3
.LBB251_633:                            ;   in Loop: Header=BB251_11 Depth=1
	s_or_b32 exec_lo, exec_lo, s21
.LBB251_634:                            ;   in Loop: Header=BB251_11 Depth=1
	s_or_b32 exec_lo, exec_lo, s17
.LBB251_635:                            ;   in Loop: Header=BB251_11 Depth=1
	s_or_b32 exec_lo, exec_lo, s13
	v_mov_b32_e32 v0, 0xff
	v_mov_b32_e32 v66, 0
	v_mov_b32_e32 v68, 0
	v_mov_b32_e32 v67, 0
	v_mov_b32_e32 v69, 0
	v_and_b32_sdwa v3, v2, v0 dst_sel:DWORD dst_unused:UNUSED_PAD src0_sel:WORD_1 src1_sel:DWORD
	s_mov_b32 s13, exec_lo
	v_cmpx_ne_u16_e32 0, v3
	s_cbranch_execz .LBB251_643
; %bb.636:                              ;   in Loop: Header=BB251_11 Depth=1
	v_bfrev_b32_e32 v68, 1
	v_mov_b32_e32 v69, 0
	s_mov_b32 s17, exec_lo
	v_cmpx_ne_u16_e32 0x80, v3
	s_cbranch_execz .LBB251_642
; %bb.637:                              ;   in Loop: Header=BB251_11 Depth=1
	v_mov_b32_e32 v68, 0x7f800001
	v_bfe_u32 v14, v2, 16, 7
	v_mov_b32_e32 v69, 0
	s_mov_b32 s21, exec_lo
	v_cmpx_ne_u32_e32 0x7f, v14
	s_cbranch_execz .LBB251_641
; %bb.638:                              ;   in Loop: Header=BB251_11 Depth=1
	v_mov_b32_e32 v0, 7
	v_lshrrev_b32_e32 v3, 3, v14
	s_mov_b32 s22, exec_lo
	v_and_b32_sdwa v11, v2, v0 dst_sel:DWORD dst_unused:UNUSED_PAD src0_sel:WORD_1 src1_sel:DWORD
	v_cmpx_gt_u32_e32 8, v14
; %bb.639:                              ;   in Loop: Header=BB251_11 Depth=1
	v_ffbh_u32_e32 v3, v11
	v_min_u32_e32 v3, 32, v3
	v_subrev_nc_u32_e32 v8, 28, v3
	v_sub_nc_u32_e32 v3, 29, v3
	v_lshlrev_b64 v[14:15], v8, v[11:12]
	v_and_b32_e32 v11, 7, v14
; %bb.640:                              ;   in Loop: Header=BB251_11 Depth=1
	s_or_b32 exec_lo, exec_lo, s22
	v_mov_b32_e32 v0, 24
	v_lshlrev_b32_e32 v9, 20, v11
	v_lshl_add_u32 v3, v3, 23, 0x3c000000
	v_lshlrev_b32_sdwa v8, v0, v2 dst_sel:DWORD dst_unused:UNUSED_PAD src0_sel:DWORD src1_sel:WORD_1
	v_and_b32_e32 v8, 0x80000000, v8
	v_or3_b32 v11, v9, v8, v3
	v_mov_b32_e32 v69, v12
	v_mov_b32_e32 v68, v11
.LBB251_641:                            ;   in Loop: Header=BB251_11 Depth=1
	s_or_b32 exec_lo, exec_lo, s21
.LBB251_642:                            ;   in Loop: Header=BB251_11 Depth=1
	s_or_b32 exec_lo, exec_lo, s17
.LBB251_643:                            ;   in Loop: Header=BB251_11 Depth=1
	s_or_b32 exec_lo, exec_lo, s13
	s_mov_b32 s13, exec_lo
	v_cmpx_lt_u32_e32 0xffffff, v2
	s_cbranch_execz .LBB251_651
; %bb.644:                              ;   in Loop: Header=BB251_11 Depth=1
	v_mov_b32_e32 v108, v12
	v_cmp_ne_u32_sdwa s5, v2, v6 src0_sel:BYTE_3 src1_sel:DWORD
	v_mov_b32_e32 v66, v108
	v_mov_b32_e32 v67, v109
	s_and_saveexec_b32 s17, s5
	s_cbranch_execz .LBB251_650
; %bb.645:                              ;   in Loop: Header=BB251_11 Depth=1
	v_mov_b32_e32 v106, v12
	v_bfe_u32 v14, v2, 24, 7
	s_mov_b32 s21, exec_lo
	v_mov_b32_e32 v66, v106
	v_mov_b32_e32 v67, v107
	v_cmpx_ne_u32_e32 0x7f, v14
	s_cbranch_execz .LBB251_649
; %bb.646:                              ;   in Loop: Header=BB251_11 Depth=1
	v_mov_b32_e32 v0, 7
	v_lshrrev_b32_e32 v3, 3, v14
	s_mov_b32 s22, exec_lo
	v_and_b32_sdwa v11, v2, v0 dst_sel:DWORD dst_unused:UNUSED_PAD src0_sel:BYTE_3 src1_sel:DWORD
	v_cmpx_gt_u32_e32 8, v14
; %bb.647:                              ;   in Loop: Header=BB251_11 Depth=1
	v_ffbh_u32_e32 v3, v11
	v_min_u32_e32 v3, 32, v3
	v_subrev_nc_u32_e32 v8, 28, v3
	v_sub_nc_u32_e32 v3, 29, v3
	v_lshlrev_b64 v[14:15], v8, v[11:12]
	v_and_b32_e32 v11, 7, v14
; %bb.648:                              ;   in Loop: Header=BB251_11 Depth=1
	s_or_b32 exec_lo, exec_lo, s22
	v_mov_b32_e32 v0, 24
	v_lshlrev_b32_e32 v8, 20, v11
	v_lshl_add_u32 v3, v3, 23, 0x3c000000
	v_mov_b32_e32 v66, v12
	v_lshlrev_b32_sdwa v2, v0, v2 dst_sel:DWORD dst_unused:UNUSED_PAD src0_sel:DWORD src1_sel:BYTE_3
	v_and_b32_e32 v2, 0x80000000, v2
	v_or3_b32 v67, v8, v2, v3
.LBB251_649:                            ;   in Loop: Header=BB251_11 Depth=1
	s_or_b32 exec_lo, exec_lo, s21
.LBB251_650:                            ;   in Loop: Header=BB251_11 Depth=1
	s_or_b32 exec_lo, exec_lo, s17
.LBB251_651:                            ;   in Loop: Header=BB251_11 Depth=1
	s_or_b32 exec_lo, exec_lo, s13
	flat_load_dword v2, v[36:37] offset:512
	v_mov_b32_e32 v82, 0
	v_mov_b32_e32 v96, 0
	;; [unrolled: 1-line block ×4, first 2 shown]
	s_waitcnt vmcnt(0) lgkmcnt(0)
	v_cmp_ne_u16_sdwa s5, v2, v12 src0_sel:BYTE_0 src1_sel:DWORD
	s_and_saveexec_b32 s13, s5
	s_cbranch_execz .LBB251_659
; %bb.652:                              ;   in Loop: Header=BB251_11 Depth=1
	v_bfrev_b32_e32 v96, 1
	v_mov_b32_e32 v97, 0
	v_cmp_ne_u16_sdwa s5, v2, v6 src0_sel:BYTE_0 src1_sel:DWORD
	s_and_saveexec_b32 s17, s5
	s_cbranch_execz .LBB251_658
; %bb.653:                              ;   in Loop: Header=BB251_11 Depth=1
	v_mov_b32_e32 v96, 0x7f800001
	v_and_b32_e32 v14, 0x7f, v2
	v_mov_b32_e32 v97, 0
	s_mov_b32 s21, exec_lo
	v_cmpx_ne_u32_e32 0x7f, v14
	s_cbranch_execz .LBB251_657
; %bb.654:                              ;   in Loop: Header=BB251_11 Depth=1
	v_and_b32_e32 v11, 7, v2
	v_lshrrev_b32_e32 v3, 3, v14
	s_mov_b32 s22, exec_lo
	v_cmpx_gt_u32_e32 8, v14
; %bb.655:                              ;   in Loop: Header=BB251_11 Depth=1
	v_ffbh_u32_e32 v3, v11
	v_min_u32_e32 v3, 32, v3
	v_subrev_nc_u32_e32 v8, 28, v3
	v_sub_nc_u32_e32 v3, 29, v3
	v_lshlrev_b64 v[14:15], v8, v[11:12]
	v_and_b32_e32 v11, 7, v14
; %bb.656:                              ;   in Loop: Header=BB251_11 Depth=1
	s_or_b32 exec_lo, exec_lo, s22
	v_lshlrev_b32_e32 v8, 24, v2
	v_lshlrev_b32_e32 v9, 20, v11
	v_lshl_add_u32 v3, v3, 23, 0x3c000000
	v_and_b32_e32 v8, 0x80000000, v8
	v_or3_b32 v11, v9, v8, v3
	v_mov_b32_e32 v97, v12
	v_mov_b32_e32 v96, v11
.LBB251_657:                            ;   in Loop: Header=BB251_11 Depth=1
	s_or_b32 exec_lo, exec_lo, s21
.LBB251_658:                            ;   in Loop: Header=BB251_11 Depth=1
	s_or_b32 exec_lo, exec_lo, s17
.LBB251_659:                            ;   in Loop: Header=BB251_11 Depth=1
	s_or_b32 exec_lo, exec_lo, s13
	v_cmp_ne_u16_sdwa s5, v2, v12 src0_sel:BYTE_1 src1_sel:DWORD
	s_and_saveexec_b32 s13, s5
	s_cbranch_execz .LBB251_667
; %bb.660:                              ;   in Loop: Header=BB251_11 Depth=1
	v_mov_b32_e32 v108, v12
	v_cmp_ne_u16_sdwa s5, v2, v6 src0_sel:BYTE_1 src1_sel:DWORD
	v_mov_b32_e32 v82, v108
	v_mov_b32_e32 v83, v109
	s_and_saveexec_b32 s17, s5
	s_cbranch_execz .LBB251_666
; %bb.661:                              ;   in Loop: Header=BB251_11 Depth=1
	v_mov_b32_e32 v0, 0xffff
	v_mov_b32_e32 v106, v12
	s_mov_b32 s21, exec_lo
	v_and_b32_sdwa v3, v0, v2 dst_sel:DWORD dst_unused:UNUSED_PAD src0_sel:DWORD src1_sel:BYTE_1
	v_mov_b32_e32 v82, v106
	v_mov_b32_e32 v83, v107
	v_and_b32_e32 v14, 0x7f, v3
	v_cmpx_ne_u32_e32 0x7f, v14
	s_cbranch_execz .LBB251_665
; %bb.662:                              ;   in Loop: Header=BB251_11 Depth=1
	v_and_b32_e32 v11, 7, v3
	v_lshrrev_b32_e32 v3, 3, v14
	s_mov_b32 s22, exec_lo
	v_cmpx_gt_u32_e32 8, v14
; %bb.663:                              ;   in Loop: Header=BB251_11 Depth=1
	v_ffbh_u32_e32 v3, v11
	v_min_u32_e32 v3, 32, v3
	v_subrev_nc_u32_e32 v8, 28, v3
	v_sub_nc_u32_e32 v3, 29, v3
	v_lshlrev_b64 v[14:15], v8, v[11:12]
	v_and_b32_e32 v11, 7, v14
; %bb.664:                              ;   in Loop: Header=BB251_11 Depth=1
	s_or_b32 exec_lo, exec_lo, s22
	v_lshlrev_b32_e32 v8, 16, v2
	v_lshlrev_b32_e32 v9, 20, v11
	v_lshl_add_u32 v3, v3, 23, 0x3c000000
	v_mov_b32_e32 v82, v12
	v_and_b32_e32 v8, 0x80000000, v8
	v_or3_b32 v83, v9, v8, v3
.LBB251_665:                            ;   in Loop: Header=BB251_11 Depth=1
	s_or_b32 exec_lo, exec_lo, s21
.LBB251_666:                            ;   in Loop: Header=BB251_11 Depth=1
	s_or_b32 exec_lo, exec_lo, s17
.LBB251_667:                            ;   in Loop: Header=BB251_11 Depth=1
	s_or_b32 exec_lo, exec_lo, s13
	v_mov_b32_e32 v0, 0xff
	v_mov_b32_e32 v102, 0
	v_mov_b32_e32 v84, 0
	v_mov_b32_e32 v103, 0
	v_mov_b32_e32 v85, 0
	v_and_b32_sdwa v3, v2, v0 dst_sel:DWORD dst_unused:UNUSED_PAD src0_sel:WORD_1 src1_sel:DWORD
	s_mov_b32 s13, exec_lo
	v_cmpx_ne_u16_e32 0, v3
	s_cbranch_execz .LBB251_675
; %bb.668:                              ;   in Loop: Header=BB251_11 Depth=1
	v_bfrev_b32_e32 v84, 1
	v_mov_b32_e32 v85, 0
	s_mov_b32 s17, exec_lo
	v_cmpx_ne_u16_e32 0x80, v3
	s_cbranch_execz .LBB251_674
; %bb.669:                              ;   in Loop: Header=BB251_11 Depth=1
	v_mov_b32_e32 v84, 0x7f800001
	v_bfe_u32 v14, v2, 16, 7
	v_mov_b32_e32 v85, 0
	s_mov_b32 s21, exec_lo
	v_cmpx_ne_u32_e32 0x7f, v14
	s_cbranch_execz .LBB251_673
; %bb.670:                              ;   in Loop: Header=BB251_11 Depth=1
	v_mov_b32_e32 v0, 7
	v_lshrrev_b32_e32 v3, 3, v14
	s_mov_b32 s22, exec_lo
	v_and_b32_sdwa v11, v2, v0 dst_sel:DWORD dst_unused:UNUSED_PAD src0_sel:WORD_1 src1_sel:DWORD
	v_cmpx_gt_u32_e32 8, v14
; %bb.671:                              ;   in Loop: Header=BB251_11 Depth=1
	v_ffbh_u32_e32 v3, v11
	v_min_u32_e32 v3, 32, v3
	v_subrev_nc_u32_e32 v8, 28, v3
	v_sub_nc_u32_e32 v3, 29, v3
	v_lshlrev_b64 v[14:15], v8, v[11:12]
	v_and_b32_e32 v11, 7, v14
; %bb.672:                              ;   in Loop: Header=BB251_11 Depth=1
	s_or_b32 exec_lo, exec_lo, s22
	v_mov_b32_e32 v0, 24
	v_lshlrev_b32_e32 v9, 20, v11
	v_lshl_add_u32 v3, v3, 23, 0x3c000000
	v_lshlrev_b32_sdwa v8, v0, v2 dst_sel:DWORD dst_unused:UNUSED_PAD src0_sel:DWORD src1_sel:WORD_1
	v_and_b32_e32 v8, 0x80000000, v8
	v_or3_b32 v11, v9, v8, v3
	v_mov_b32_e32 v85, v12
	v_mov_b32_e32 v84, v11
.LBB251_673:                            ;   in Loop: Header=BB251_11 Depth=1
	s_or_b32 exec_lo, exec_lo, s21
.LBB251_674:                            ;   in Loop: Header=BB251_11 Depth=1
	s_or_b32 exec_lo, exec_lo, s17
.LBB251_675:                            ;   in Loop: Header=BB251_11 Depth=1
	s_or_b32 exec_lo, exec_lo, s13
	s_mov_b32 s13, exec_lo
	v_cmpx_lt_u32_e32 0xffffff, v2
	s_cbranch_execz .LBB251_683
; %bb.676:                              ;   in Loop: Header=BB251_11 Depth=1
	v_mov_b32_e32 v108, v12
	v_cmp_ne_u32_sdwa s5, v2, v6 src0_sel:BYTE_3 src1_sel:DWORD
	v_mov_b32_e32 v102, v108
	v_mov_b32_e32 v103, v109
	s_and_saveexec_b32 s17, s5
	s_cbranch_execz .LBB251_682
; %bb.677:                              ;   in Loop: Header=BB251_11 Depth=1
	v_mov_b32_e32 v106, v12
	v_bfe_u32 v14, v2, 24, 7
	s_mov_b32 s21, exec_lo
	v_mov_b32_e32 v102, v106
	v_mov_b32_e32 v103, v107
	v_cmpx_ne_u32_e32 0x7f, v14
	s_cbranch_execz .LBB251_681
; %bb.678:                              ;   in Loop: Header=BB251_11 Depth=1
	v_mov_b32_e32 v0, 7
	v_lshrrev_b32_e32 v3, 3, v14
	s_mov_b32 s22, exec_lo
	v_and_b32_sdwa v11, v2, v0 dst_sel:DWORD dst_unused:UNUSED_PAD src0_sel:BYTE_3 src1_sel:DWORD
	v_cmpx_gt_u32_e32 8, v14
; %bb.679:                              ;   in Loop: Header=BB251_11 Depth=1
	v_ffbh_u32_e32 v3, v11
	v_min_u32_e32 v3, 32, v3
	v_subrev_nc_u32_e32 v8, 28, v3
	v_sub_nc_u32_e32 v3, 29, v3
	v_lshlrev_b64 v[14:15], v8, v[11:12]
	v_and_b32_e32 v11, 7, v14
; %bb.680:                              ;   in Loop: Header=BB251_11 Depth=1
	s_or_b32 exec_lo, exec_lo, s22
	v_mov_b32_e32 v0, 24
	v_lshlrev_b32_e32 v8, 20, v11
	v_lshl_add_u32 v3, v3, 23, 0x3c000000
	v_mov_b32_e32 v102, v12
	v_lshlrev_b32_sdwa v2, v0, v2 dst_sel:DWORD dst_unused:UNUSED_PAD src0_sel:DWORD src1_sel:BYTE_3
	v_and_b32_e32 v2, 0x80000000, v2
	v_or3_b32 v103, v8, v2, v3
.LBB251_681:                            ;   in Loop: Header=BB251_11 Depth=1
	s_or_b32 exec_lo, exec_lo, s21
.LBB251_682:                            ;   in Loop: Header=BB251_11 Depth=1
	s_or_b32 exec_lo, exec_lo, s17
.LBB251_683:                            ;   in Loop: Header=BB251_11 Depth=1
	s_or_b32 exec_lo, exec_lo, s13
	flat_load_dword v2, v[36:37] offset:516
	v_mov_b32_e32 v0, 0
	v_mov_b32_e32 v112, 0
	;; [unrolled: 1-line block ×4, first 2 shown]
	s_waitcnt vmcnt(0) lgkmcnt(0)
	v_cmp_ne_u16_sdwa s5, v2, v12 src0_sel:BYTE_0 src1_sel:DWORD
	s_and_saveexec_b32 s13, s5
	s_cbranch_execz .LBB251_691
; %bb.684:                              ;   in Loop: Header=BB251_11 Depth=1
	v_bfrev_b32_e32 v112, 1
	v_mov_b32_e32 v113, 0
	v_cmp_ne_u16_sdwa s5, v2, v6 src0_sel:BYTE_0 src1_sel:DWORD
	s_and_saveexec_b32 s17, s5
	s_cbranch_execz .LBB251_690
; %bb.685:                              ;   in Loop: Header=BB251_11 Depth=1
	v_mov_b32_e32 v112, 0x7f800001
	v_and_b32_e32 v14, 0x7f, v2
	v_mov_b32_e32 v113, 0
	s_mov_b32 s21, exec_lo
	v_cmpx_ne_u32_e32 0x7f, v14
	s_cbranch_execz .LBB251_689
; %bb.686:                              ;   in Loop: Header=BB251_11 Depth=1
	v_and_b32_e32 v11, 7, v2
	v_lshrrev_b32_e32 v3, 3, v14
	s_mov_b32 s22, exec_lo
	v_cmpx_gt_u32_e32 8, v14
; %bb.687:                              ;   in Loop: Header=BB251_11 Depth=1
	v_ffbh_u32_e32 v3, v11
	v_min_u32_e32 v3, 32, v3
	v_subrev_nc_u32_e32 v8, 28, v3
	v_sub_nc_u32_e32 v3, 29, v3
	v_lshlrev_b64 v[14:15], v8, v[11:12]
	v_and_b32_e32 v11, 7, v14
; %bb.688:                              ;   in Loop: Header=BB251_11 Depth=1
	s_or_b32 exec_lo, exec_lo, s22
	v_lshlrev_b32_e32 v8, 24, v2
	v_lshlrev_b32_e32 v9, 20, v11
	v_lshl_add_u32 v3, v3, 23, 0x3c000000
	v_and_b32_e32 v8, 0x80000000, v8
	v_or3_b32 v11, v9, v8, v3
	v_mov_b32_e32 v113, v12
	v_mov_b32_e32 v112, v11
.LBB251_689:                            ;   in Loop: Header=BB251_11 Depth=1
	s_or_b32 exec_lo, exec_lo, s21
.LBB251_690:                            ;   in Loop: Header=BB251_11 Depth=1
	s_or_b32 exec_lo, exec_lo, s17
.LBB251_691:                            ;   in Loop: Header=BB251_11 Depth=1
	s_or_b32 exec_lo, exec_lo, s13
	v_cmp_ne_u16_sdwa s5, v2, v12 src0_sel:BYTE_1 src1_sel:DWORD
	s_and_saveexec_b32 s13, s5
	s_cbranch_execz .LBB251_699
; %bb.692:                              ;   in Loop: Header=BB251_11 Depth=1
	v_mov_b32_e32 v108, v12
	v_cmp_ne_u16_sdwa s5, v2, v6 src0_sel:BYTE_1 src1_sel:DWORD
	v_mov_b32_e32 v0, v108
	v_mov_b32_e32 v1, v109
	s_and_saveexec_b32 s17, s5
	s_cbranch_execz .LBB251_698
; %bb.693:                              ;   in Loop: Header=BB251_11 Depth=1
	v_mov_b32_e32 v0, 0xffff
	v_mov_b32_e32 v106, v12
	s_mov_b32 s21, exec_lo
	v_and_b32_sdwa v3, v0, v2 dst_sel:DWORD dst_unused:UNUSED_PAD src0_sel:DWORD src1_sel:BYTE_1
	v_mov_b32_e32 v0, v106
	v_mov_b32_e32 v1, v107
	v_and_b32_e32 v14, 0x7f, v3
	v_cmpx_ne_u32_e32 0x7f, v14
	s_cbranch_execz .LBB251_697
; %bb.694:                              ;   in Loop: Header=BB251_11 Depth=1
	v_and_b32_e32 v11, 7, v3
	v_lshrrev_b32_e32 v3, 3, v14
	s_mov_b32 s22, exec_lo
	v_cmpx_gt_u32_e32 8, v14
; %bb.695:                              ;   in Loop: Header=BB251_11 Depth=1
	v_ffbh_u32_e32 v3, v11
	v_min_u32_e32 v3, 32, v3
	v_subrev_nc_u32_e32 v8, 28, v3
	v_sub_nc_u32_e32 v3, 29, v3
	v_lshlrev_b64 v[14:15], v8, v[11:12]
	v_and_b32_e32 v11, 7, v14
; %bb.696:                              ;   in Loop: Header=BB251_11 Depth=1
	s_or_b32 exec_lo, exec_lo, s22
	v_lshlrev_b32_e32 v8, 16, v2
	v_lshlrev_b32_e32 v9, 20, v11
	v_lshl_add_u32 v3, v3, 23, 0x3c000000
	v_mov_b32_e32 v0, v12
	v_and_b32_e32 v8, 0x80000000, v8
	v_or3_b32 v1, v9, v8, v3
.LBB251_697:                            ;   in Loop: Header=BB251_11 Depth=1
	s_or_b32 exec_lo, exec_lo, s21
.LBB251_698:                            ;   in Loop: Header=BB251_11 Depth=1
	s_or_b32 exec_lo, exec_lo, s17
.LBB251_699:                            ;   in Loop: Header=BB251_11 Depth=1
	s_or_b32 exec_lo, exec_lo, s13
	v_mov_b32_e32 v3, 0xff
	v_mov_b32_e32 v118, 0
	;; [unrolled: 1-line block ×5, first 2 shown]
	v_and_b32_sdwa v3, v2, v3 dst_sel:DWORD dst_unused:UNUSED_PAD src0_sel:WORD_1 src1_sel:DWORD
	s_mov_b32 s13, exec_lo
	v_cmpx_ne_u16_e32 0, v3
	s_cbranch_execz .LBB251_707
; %bb.700:                              ;   in Loop: Header=BB251_11 Depth=1
	v_bfrev_b32_e32 v100, 1
	v_mov_b32_e32 v101, 0
	s_mov_b32 s17, exec_lo
	v_cmpx_ne_u16_e32 0x80, v3
	s_cbranch_execz .LBB251_706
; %bb.701:                              ;   in Loop: Header=BB251_11 Depth=1
	v_mov_b32_e32 v100, 0x7f800001
	v_bfe_u32 v14, v2, 16, 7
	v_mov_b32_e32 v101, 0
	s_mov_b32 s21, exec_lo
	v_cmpx_ne_u32_e32 0x7f, v14
	s_cbranch_execz .LBB251_705
; %bb.702:                              ;   in Loop: Header=BB251_11 Depth=1
	v_mov_b32_e32 v3, 7
	s_mov_b32 s22, exec_lo
	v_and_b32_sdwa v11, v2, v3 dst_sel:DWORD dst_unused:UNUSED_PAD src0_sel:WORD_1 src1_sel:DWORD
	v_lshrrev_b32_e32 v3, 3, v14
	v_cmpx_gt_u32_e32 8, v14
; %bb.703:                              ;   in Loop: Header=BB251_11 Depth=1
	v_ffbh_u32_e32 v3, v11
	v_min_u32_e32 v3, 32, v3
	v_subrev_nc_u32_e32 v8, 28, v3
	v_sub_nc_u32_e32 v3, 29, v3
	v_lshlrev_b64 v[14:15], v8, v[11:12]
	v_and_b32_e32 v11, 7, v14
; %bb.704:                              ;   in Loop: Header=BB251_11 Depth=1
	s_or_b32 exec_lo, exec_lo, s22
	v_mov_b32_e32 v8, 24
	v_lshlrev_b32_e32 v9, 20, v11
	v_lshl_add_u32 v3, v3, 23, 0x3c000000
	v_lshlrev_b32_sdwa v8, v8, v2 dst_sel:DWORD dst_unused:UNUSED_PAD src0_sel:DWORD src1_sel:WORD_1
	v_and_b32_e32 v8, 0x80000000, v8
	v_or3_b32 v11, v9, v8, v3
	v_mov_b32_e32 v101, v12
	v_mov_b32_e32 v100, v11
.LBB251_705:                            ;   in Loop: Header=BB251_11 Depth=1
	s_or_b32 exec_lo, exec_lo, s21
.LBB251_706:                            ;   in Loop: Header=BB251_11 Depth=1
	s_or_b32 exec_lo, exec_lo, s17
.LBB251_707:                            ;   in Loop: Header=BB251_11 Depth=1
	s_or_b32 exec_lo, exec_lo, s13
	s_mov_b32 s13, exec_lo
	v_cmpx_lt_u32_e32 0xffffff, v2
	s_cbranch_execz .LBB251_715
; %bb.708:                              ;   in Loop: Header=BB251_11 Depth=1
	v_mov_b32_e32 v108, v12
	v_mov_b32_e32 v119, v109
	v_cmp_ne_u32_sdwa s5, v2, v6 src0_sel:BYTE_3 src1_sel:DWORD
	v_mov_b32_e32 v118, v108
	s_and_saveexec_b32 s17, s5
	s_cbranch_execz .LBB251_714
; %bb.709:                              ;   in Loop: Header=BB251_11 Depth=1
	v_mov_b32_e32 v106, v12
	v_mov_b32_e32 v119, v107
	v_bfe_u32 v14, v2, 24, 7
	s_mov_b32 s21, exec_lo
	v_mov_b32_e32 v118, v106
	v_cmpx_ne_u32_e32 0x7f, v14
	s_cbranch_execz .LBB251_713
; %bb.710:                              ;   in Loop: Header=BB251_11 Depth=1
	v_mov_b32_e32 v3, 7
	s_mov_b32 s22, exec_lo
	v_and_b32_sdwa v11, v2, v3 dst_sel:DWORD dst_unused:UNUSED_PAD src0_sel:BYTE_3 src1_sel:DWORD
	v_lshrrev_b32_e32 v3, 3, v14
	v_cmpx_gt_u32_e32 8, v14
; %bb.711:                              ;   in Loop: Header=BB251_11 Depth=1
	v_ffbh_u32_e32 v3, v11
	v_min_u32_e32 v3, 32, v3
	v_subrev_nc_u32_e32 v8, 28, v3
	v_sub_nc_u32_e32 v3, 29, v3
	v_lshlrev_b64 v[14:15], v8, v[11:12]
	v_and_b32_e32 v11, 7, v14
; %bb.712:                              ;   in Loop: Header=BB251_11 Depth=1
	s_or_b32 exec_lo, exec_lo, s22
	v_mov_b32_e32 v8, 24
	v_lshl_add_u32 v3, v3, 23, 0x3c000000
	v_mov_b32_e32 v118, v12
	v_lshlrev_b32_sdwa v2, v8, v2 dst_sel:DWORD dst_unused:UNUSED_PAD src0_sel:DWORD src1_sel:BYTE_3
	v_lshlrev_b32_e32 v8, 20, v11
	v_and_b32_e32 v2, 0x80000000, v2
	v_or3_b32 v119, v8, v2, v3
.LBB251_713:                            ;   in Loop: Header=BB251_11 Depth=1
	s_or_b32 exec_lo, exec_lo, s21
.LBB251_714:                            ;   in Loop: Header=BB251_11 Depth=1
	s_or_b32 exec_lo, exec_lo, s17
.LBB251_715:                            ;   in Loop: Header=BB251_11 Depth=1
	s_or_b32 exec_lo, exec_lo, s13
	flat_load_dword v2, v[36:37] offset:520
	v_mov_b32_e32 v114, 0
	v_mov_b32_e32 v40, 0
	;; [unrolled: 1-line block ×4, first 2 shown]
	s_waitcnt vmcnt(0) lgkmcnt(0)
	v_cmp_ne_u16_sdwa s5, v2, v12 src0_sel:BYTE_0 src1_sel:DWORD
	s_and_saveexec_b32 s13, s5
	s_cbranch_execz .LBB251_723
; %bb.716:                              ;   in Loop: Header=BB251_11 Depth=1
	v_bfrev_b32_e32 v40, 1
	v_mov_b32_e32 v41, 0
	v_cmp_ne_u16_sdwa s5, v2, v6 src0_sel:BYTE_0 src1_sel:DWORD
	s_and_saveexec_b32 s17, s5
	s_cbranch_execz .LBB251_722
; %bb.717:                              ;   in Loop: Header=BB251_11 Depth=1
	v_mov_b32_e32 v40, 0x7f800001
	v_and_b32_e32 v14, 0x7f, v2
	v_mov_b32_e32 v41, 0
	s_mov_b32 s21, exec_lo
	v_cmpx_ne_u32_e32 0x7f, v14
	s_cbranch_execz .LBB251_721
; %bb.718:                              ;   in Loop: Header=BB251_11 Depth=1
	v_and_b32_e32 v11, 7, v2
	v_lshrrev_b32_e32 v3, 3, v14
	s_mov_b32 s22, exec_lo
	v_cmpx_gt_u32_e32 8, v14
; %bb.719:                              ;   in Loop: Header=BB251_11 Depth=1
	v_ffbh_u32_e32 v3, v11
	v_min_u32_e32 v3, 32, v3
	v_subrev_nc_u32_e32 v8, 28, v3
	v_sub_nc_u32_e32 v3, 29, v3
	v_lshlrev_b64 v[14:15], v8, v[11:12]
	v_and_b32_e32 v11, 7, v14
; %bb.720:                              ;   in Loop: Header=BB251_11 Depth=1
	s_or_b32 exec_lo, exec_lo, s22
	v_lshlrev_b32_e32 v8, 24, v2
	v_lshlrev_b32_e32 v9, 20, v11
	v_lshl_add_u32 v3, v3, 23, 0x3c000000
	v_and_b32_e32 v8, 0x80000000, v8
	v_or3_b32 v11, v9, v8, v3
	v_mov_b32_e32 v41, v12
	v_mov_b32_e32 v40, v11
.LBB251_721:                            ;   in Loop: Header=BB251_11 Depth=1
	s_or_b32 exec_lo, exec_lo, s21
.LBB251_722:                            ;   in Loop: Header=BB251_11 Depth=1
	s_or_b32 exec_lo, exec_lo, s17
.LBB251_723:                            ;   in Loop: Header=BB251_11 Depth=1
	s_or_b32 exec_lo, exec_lo, s13
	v_cmp_ne_u16_sdwa s5, v2, v12 src0_sel:BYTE_1 src1_sel:DWORD
	s_and_saveexec_b32 s13, s5
	s_cbranch_execz .LBB251_731
; %bb.724:                              ;   in Loop: Header=BB251_11 Depth=1
	v_mov_b32_e32 v108, v12
	v_mov_b32_e32 v115, v109
	v_cmp_ne_u16_sdwa s5, v2, v6 src0_sel:BYTE_1 src1_sel:DWORD
	v_mov_b32_e32 v114, v108
	s_and_saveexec_b32 s17, s5
	s_cbranch_execz .LBB251_730
; %bb.725:                              ;   in Loop: Header=BB251_11 Depth=1
	v_mov_b32_e32 v3, 0xffff
	v_mov_b32_e32 v106, v12
	;; [unrolled: 1-line block ×3, first 2 shown]
	s_mov_b32 s21, exec_lo
	v_and_b32_sdwa v3, v3, v2 dst_sel:DWORD dst_unused:UNUSED_PAD src0_sel:DWORD src1_sel:BYTE_1
	v_mov_b32_e32 v114, v106
	v_and_b32_e32 v14, 0x7f, v3
	v_cmpx_ne_u32_e32 0x7f, v14
	s_cbranch_execz .LBB251_729
; %bb.726:                              ;   in Loop: Header=BB251_11 Depth=1
	v_and_b32_e32 v11, 7, v3
	v_lshrrev_b32_e32 v3, 3, v14
	s_mov_b32 s22, exec_lo
	v_cmpx_gt_u32_e32 8, v14
; %bb.727:                              ;   in Loop: Header=BB251_11 Depth=1
	v_ffbh_u32_e32 v3, v11
	v_min_u32_e32 v3, 32, v3
	v_subrev_nc_u32_e32 v8, 28, v3
	v_sub_nc_u32_e32 v3, 29, v3
	v_lshlrev_b64 v[14:15], v8, v[11:12]
	v_and_b32_e32 v11, 7, v14
; %bb.728:                              ;   in Loop: Header=BB251_11 Depth=1
	s_or_b32 exec_lo, exec_lo, s22
	v_lshlrev_b32_e32 v8, 16, v2
	v_lshlrev_b32_e32 v9, 20, v11
	v_lshl_add_u32 v3, v3, 23, 0x3c000000
	v_mov_b32_e32 v114, v12
	v_and_b32_e32 v8, 0x80000000, v8
	v_or3_b32 v115, v9, v8, v3
.LBB251_729:                            ;   in Loop: Header=BB251_11 Depth=1
	s_or_b32 exec_lo, exec_lo, s21
.LBB251_730:                            ;   in Loop: Header=BB251_11 Depth=1
	s_or_b32 exec_lo, exec_lo, s17
.LBB251_731:                            ;   in Loop: Header=BB251_11 Depth=1
	s_or_b32 exec_lo, exec_lo, s13
	v_mov_b32_e32 v3, 0xff
	v_mov_b32_e32 v46, 0
	;; [unrolled: 1-line block ×5, first 2 shown]
	v_and_b32_sdwa v3, v2, v3 dst_sel:DWORD dst_unused:UNUSED_PAD src0_sel:WORD_1 src1_sel:DWORD
	s_mov_b32 s13, exec_lo
	v_cmpx_ne_u16_e32 0, v3
	s_cbranch_execz .LBB251_739
; %bb.732:                              ;   in Loop: Header=BB251_11 Depth=1
	v_bfrev_b32_e32 v116, 1
	v_mov_b32_e32 v117, 0
	s_mov_b32 s17, exec_lo
	v_cmpx_ne_u16_e32 0x80, v3
	s_cbranch_execz .LBB251_738
; %bb.733:                              ;   in Loop: Header=BB251_11 Depth=1
	v_mov_b32_e32 v116, 0x7f800001
	v_bfe_u32 v14, v2, 16, 7
	v_mov_b32_e32 v117, 0
	s_mov_b32 s21, exec_lo
	v_cmpx_ne_u32_e32 0x7f, v14
	s_cbranch_execz .LBB251_737
; %bb.734:                              ;   in Loop: Header=BB251_11 Depth=1
	v_mov_b32_e32 v3, 7
	s_mov_b32 s22, exec_lo
	v_and_b32_sdwa v11, v2, v3 dst_sel:DWORD dst_unused:UNUSED_PAD src0_sel:WORD_1 src1_sel:DWORD
	v_lshrrev_b32_e32 v3, 3, v14
	v_cmpx_gt_u32_e32 8, v14
; %bb.735:                              ;   in Loop: Header=BB251_11 Depth=1
	v_ffbh_u32_e32 v3, v11
	v_min_u32_e32 v3, 32, v3
	v_subrev_nc_u32_e32 v8, 28, v3
	v_sub_nc_u32_e32 v3, 29, v3
	v_lshlrev_b64 v[14:15], v8, v[11:12]
	v_and_b32_e32 v11, 7, v14
; %bb.736:                              ;   in Loop: Header=BB251_11 Depth=1
	s_or_b32 exec_lo, exec_lo, s22
	v_mov_b32_e32 v8, 24
	v_lshlrev_b32_e32 v9, 20, v11
	v_lshl_add_u32 v3, v3, 23, 0x3c000000
	v_lshlrev_b32_sdwa v8, v8, v2 dst_sel:DWORD dst_unused:UNUSED_PAD src0_sel:DWORD src1_sel:WORD_1
	v_and_b32_e32 v8, 0x80000000, v8
	v_or3_b32 v11, v9, v8, v3
	v_mov_b32_e32 v117, v12
	v_mov_b32_e32 v116, v11
.LBB251_737:                            ;   in Loop: Header=BB251_11 Depth=1
	s_or_b32 exec_lo, exec_lo, s21
.LBB251_738:                            ;   in Loop: Header=BB251_11 Depth=1
	s_or_b32 exec_lo, exec_lo, s17
.LBB251_739:                            ;   in Loop: Header=BB251_11 Depth=1
	s_or_b32 exec_lo, exec_lo, s13
	s_mov_b32 s13, exec_lo
	v_cmpx_lt_u32_e32 0xffffff, v2
	s_cbranch_execz .LBB251_747
; %bb.740:                              ;   in Loop: Header=BB251_11 Depth=1
	v_mov_b32_e32 v108, v12
	v_cmp_ne_u32_sdwa s5, v2, v6 src0_sel:BYTE_3 src1_sel:DWORD
	v_mov_b32_e32 v46, v108
	v_mov_b32_e32 v47, v109
	s_and_saveexec_b32 s17, s5
	s_cbranch_execz .LBB251_746
; %bb.741:                              ;   in Loop: Header=BB251_11 Depth=1
	v_mov_b32_e32 v106, v12
	v_bfe_u32 v14, v2, 24, 7
	s_mov_b32 s21, exec_lo
	v_mov_b32_e32 v46, v106
	v_mov_b32_e32 v47, v107
	v_cmpx_ne_u32_e32 0x7f, v14
	s_cbranch_execz .LBB251_745
; %bb.742:                              ;   in Loop: Header=BB251_11 Depth=1
	v_mov_b32_e32 v3, 7
	s_mov_b32 s22, exec_lo
	v_and_b32_sdwa v11, v2, v3 dst_sel:DWORD dst_unused:UNUSED_PAD src0_sel:BYTE_3 src1_sel:DWORD
	v_lshrrev_b32_e32 v3, 3, v14
	v_cmpx_gt_u32_e32 8, v14
; %bb.743:                              ;   in Loop: Header=BB251_11 Depth=1
	v_ffbh_u32_e32 v3, v11
	v_min_u32_e32 v3, 32, v3
	v_subrev_nc_u32_e32 v8, 28, v3
	v_sub_nc_u32_e32 v3, 29, v3
	v_lshlrev_b64 v[14:15], v8, v[11:12]
	v_and_b32_e32 v11, 7, v14
; %bb.744:                              ;   in Loop: Header=BB251_11 Depth=1
	s_or_b32 exec_lo, exec_lo, s22
	v_mov_b32_e32 v8, 24
	v_lshl_add_u32 v3, v3, 23, 0x3c000000
	v_mov_b32_e32 v46, v12
	v_lshlrev_b32_sdwa v2, v8, v2 dst_sel:DWORD dst_unused:UNUSED_PAD src0_sel:DWORD src1_sel:BYTE_3
	v_lshlrev_b32_e32 v8, 20, v11
	v_and_b32_e32 v2, 0x80000000, v2
	v_or3_b32 v47, v8, v2, v3
.LBB251_745:                            ;   in Loop: Header=BB251_11 Depth=1
	s_or_b32 exec_lo, exec_lo, s21
.LBB251_746:                            ;   in Loop: Header=BB251_11 Depth=1
	s_or_b32 exec_lo, exec_lo, s17
.LBB251_747:                            ;   in Loop: Header=BB251_11 Depth=1
	s_or_b32 exec_lo, exec_lo, s13
	flat_load_dword v2, v[36:37] offset:524
	v_mov_b32_e32 v42, 0
	v_mov_b32_e32 v56, 0
	;; [unrolled: 1-line block ×4, first 2 shown]
	s_waitcnt vmcnt(0) lgkmcnt(0)
	v_cmp_ne_u16_sdwa s5, v2, v12 src0_sel:BYTE_0 src1_sel:DWORD
	s_and_saveexec_b32 s13, s5
	s_cbranch_execz .LBB251_755
; %bb.748:                              ;   in Loop: Header=BB251_11 Depth=1
	v_bfrev_b32_e32 v56, 1
	v_mov_b32_e32 v57, 0
	v_cmp_ne_u16_sdwa s5, v2, v6 src0_sel:BYTE_0 src1_sel:DWORD
	s_and_saveexec_b32 s17, s5
	s_cbranch_execz .LBB251_754
; %bb.749:                              ;   in Loop: Header=BB251_11 Depth=1
	v_mov_b32_e32 v56, 0x7f800001
	v_and_b32_e32 v14, 0x7f, v2
	v_mov_b32_e32 v57, 0
	s_mov_b32 s21, exec_lo
	v_cmpx_ne_u32_e32 0x7f, v14
	s_cbranch_execz .LBB251_753
; %bb.750:                              ;   in Loop: Header=BB251_11 Depth=1
	v_and_b32_e32 v11, 7, v2
	v_lshrrev_b32_e32 v3, 3, v14
	s_mov_b32 s22, exec_lo
	v_cmpx_gt_u32_e32 8, v14
; %bb.751:                              ;   in Loop: Header=BB251_11 Depth=1
	v_ffbh_u32_e32 v3, v11
	v_min_u32_e32 v3, 32, v3
	v_subrev_nc_u32_e32 v8, 28, v3
	v_sub_nc_u32_e32 v3, 29, v3
	v_lshlrev_b64 v[14:15], v8, v[11:12]
	v_and_b32_e32 v11, 7, v14
; %bb.752:                              ;   in Loop: Header=BB251_11 Depth=1
	s_or_b32 exec_lo, exec_lo, s22
	v_lshlrev_b32_e32 v8, 24, v2
	v_lshlrev_b32_e32 v9, 20, v11
	v_lshl_add_u32 v3, v3, 23, 0x3c000000
	v_and_b32_e32 v8, 0x80000000, v8
	v_or3_b32 v11, v9, v8, v3
	v_mov_b32_e32 v57, v12
	v_mov_b32_e32 v56, v11
.LBB251_753:                            ;   in Loop: Header=BB251_11 Depth=1
	s_or_b32 exec_lo, exec_lo, s21
.LBB251_754:                            ;   in Loop: Header=BB251_11 Depth=1
	s_or_b32 exec_lo, exec_lo, s17
.LBB251_755:                            ;   in Loop: Header=BB251_11 Depth=1
	s_or_b32 exec_lo, exec_lo, s13
	v_cmp_ne_u16_sdwa s5, v2, v12 src0_sel:BYTE_1 src1_sel:DWORD
	s_and_saveexec_b32 s13, s5
	s_cbranch_execz .LBB251_763
; %bb.756:                              ;   in Loop: Header=BB251_11 Depth=1
	v_mov_b32_e32 v108, v12
	v_cmp_ne_u16_sdwa s5, v2, v6 src0_sel:BYTE_1 src1_sel:DWORD
	v_mov_b32_e32 v42, v108
	v_mov_b32_e32 v43, v109
	s_and_saveexec_b32 s17, s5
	s_cbranch_execz .LBB251_762
; %bb.757:                              ;   in Loop: Header=BB251_11 Depth=1
	v_mov_b32_e32 v3, 0xffff
	v_mov_b32_e32 v106, v12
	s_mov_b32 s21, exec_lo
	v_and_b32_sdwa v3, v3, v2 dst_sel:DWORD dst_unused:UNUSED_PAD src0_sel:DWORD src1_sel:BYTE_1
	v_mov_b32_e32 v42, v106
	v_mov_b32_e32 v43, v107
	v_and_b32_e32 v14, 0x7f, v3
	v_cmpx_ne_u32_e32 0x7f, v14
	s_cbranch_execz .LBB251_761
; %bb.758:                              ;   in Loop: Header=BB251_11 Depth=1
	v_and_b32_e32 v11, 7, v3
	v_lshrrev_b32_e32 v3, 3, v14
	s_mov_b32 s22, exec_lo
	v_cmpx_gt_u32_e32 8, v14
; %bb.759:                              ;   in Loop: Header=BB251_11 Depth=1
	v_ffbh_u32_e32 v3, v11
	v_min_u32_e32 v3, 32, v3
	v_subrev_nc_u32_e32 v8, 28, v3
	v_sub_nc_u32_e32 v3, 29, v3
	v_lshlrev_b64 v[14:15], v8, v[11:12]
	v_and_b32_e32 v11, 7, v14
; %bb.760:                              ;   in Loop: Header=BB251_11 Depth=1
	s_or_b32 exec_lo, exec_lo, s22
	v_lshlrev_b32_e32 v8, 16, v2
	v_lshlrev_b32_e32 v9, 20, v11
	v_lshl_add_u32 v3, v3, 23, 0x3c000000
	v_mov_b32_e32 v42, v12
	v_and_b32_e32 v8, 0x80000000, v8
	v_or3_b32 v43, v9, v8, v3
.LBB251_761:                            ;   in Loop: Header=BB251_11 Depth=1
	s_or_b32 exec_lo, exec_lo, s21
.LBB251_762:                            ;   in Loop: Header=BB251_11 Depth=1
	s_or_b32 exec_lo, exec_lo, s17
.LBB251_763:                            ;   in Loop: Header=BB251_11 Depth=1
	s_or_b32 exec_lo, exec_lo, s13
	v_mov_b32_e32 v3, 0xff
	v_mov_b32_e32 v62, 0
	;; [unrolled: 1-line block ×5, first 2 shown]
	v_and_b32_sdwa v3, v2, v3 dst_sel:DWORD dst_unused:UNUSED_PAD src0_sel:WORD_1 src1_sel:DWORD
	s_mov_b32 s13, exec_lo
	v_cmpx_ne_u16_e32 0, v3
	s_cbranch_execz .LBB251_771
; %bb.764:                              ;   in Loop: Header=BB251_11 Depth=1
	v_bfrev_b32_e32 v44, 1
	v_mov_b32_e32 v45, 0
	s_mov_b32 s17, exec_lo
	v_cmpx_ne_u16_e32 0x80, v3
	s_cbranch_execz .LBB251_770
; %bb.765:                              ;   in Loop: Header=BB251_11 Depth=1
	v_mov_b32_e32 v44, 0x7f800001
	v_bfe_u32 v14, v2, 16, 7
	v_mov_b32_e32 v45, 0
	s_mov_b32 s21, exec_lo
	v_cmpx_ne_u32_e32 0x7f, v14
	s_cbranch_execz .LBB251_769
; %bb.766:                              ;   in Loop: Header=BB251_11 Depth=1
	v_mov_b32_e32 v3, 7
	s_mov_b32 s22, exec_lo
	v_and_b32_sdwa v11, v2, v3 dst_sel:DWORD dst_unused:UNUSED_PAD src0_sel:WORD_1 src1_sel:DWORD
	v_lshrrev_b32_e32 v3, 3, v14
	v_cmpx_gt_u32_e32 8, v14
; %bb.767:                              ;   in Loop: Header=BB251_11 Depth=1
	v_ffbh_u32_e32 v3, v11
	v_min_u32_e32 v3, 32, v3
	v_subrev_nc_u32_e32 v8, 28, v3
	v_sub_nc_u32_e32 v3, 29, v3
	v_lshlrev_b64 v[14:15], v8, v[11:12]
	v_and_b32_e32 v11, 7, v14
; %bb.768:                              ;   in Loop: Header=BB251_11 Depth=1
	s_or_b32 exec_lo, exec_lo, s22
	v_mov_b32_e32 v8, 24
	v_lshlrev_b32_e32 v9, 20, v11
	v_lshl_add_u32 v3, v3, 23, 0x3c000000
	v_lshlrev_b32_sdwa v8, v8, v2 dst_sel:DWORD dst_unused:UNUSED_PAD src0_sel:DWORD src1_sel:WORD_1
	v_and_b32_e32 v8, 0x80000000, v8
	v_or3_b32 v11, v9, v8, v3
	v_mov_b32_e32 v45, v12
	v_mov_b32_e32 v44, v11
.LBB251_769:                            ;   in Loop: Header=BB251_11 Depth=1
	s_or_b32 exec_lo, exec_lo, s21
.LBB251_770:                            ;   in Loop: Header=BB251_11 Depth=1
	s_or_b32 exec_lo, exec_lo, s17
.LBB251_771:                            ;   in Loop: Header=BB251_11 Depth=1
	s_or_b32 exec_lo, exec_lo, s13
	s_mov_b32 s13, exec_lo
	v_cmpx_lt_u32_e32 0xffffff, v2
	s_cbranch_execz .LBB251_779
; %bb.772:                              ;   in Loop: Header=BB251_11 Depth=1
	v_mov_b32_e32 v108, v12
	v_cmp_ne_u32_sdwa s5, v2, v6 src0_sel:BYTE_3 src1_sel:DWORD
	v_mov_b32_e32 v62, v108
	v_mov_b32_e32 v63, v109
	s_and_saveexec_b32 s17, s5
	s_cbranch_execz .LBB251_778
; %bb.773:                              ;   in Loop: Header=BB251_11 Depth=1
	v_mov_b32_e32 v106, v12
	v_bfe_u32 v14, v2, 24, 7
	s_mov_b32 s21, exec_lo
	v_mov_b32_e32 v62, v106
	v_mov_b32_e32 v63, v107
	v_cmpx_ne_u32_e32 0x7f, v14
	s_cbranch_execz .LBB251_777
; %bb.774:                              ;   in Loop: Header=BB251_11 Depth=1
	v_mov_b32_e32 v3, 7
	s_mov_b32 s22, exec_lo
	v_and_b32_sdwa v11, v2, v3 dst_sel:DWORD dst_unused:UNUSED_PAD src0_sel:BYTE_3 src1_sel:DWORD
	v_lshrrev_b32_e32 v3, 3, v14
	v_cmpx_gt_u32_e32 8, v14
; %bb.775:                              ;   in Loop: Header=BB251_11 Depth=1
	v_ffbh_u32_e32 v3, v11
	v_min_u32_e32 v3, 32, v3
	v_subrev_nc_u32_e32 v8, 28, v3
	v_sub_nc_u32_e32 v3, 29, v3
	v_lshlrev_b64 v[14:15], v8, v[11:12]
	v_and_b32_e32 v11, 7, v14
; %bb.776:                              ;   in Loop: Header=BB251_11 Depth=1
	s_or_b32 exec_lo, exec_lo, s22
	v_mov_b32_e32 v8, 24
	v_lshl_add_u32 v3, v3, 23, 0x3c000000
	v_mov_b32_e32 v62, v12
	v_lshlrev_b32_sdwa v2, v8, v2 dst_sel:DWORD dst_unused:UNUSED_PAD src0_sel:DWORD src1_sel:BYTE_3
	v_lshlrev_b32_e32 v8, 20, v11
	v_and_b32_e32 v2, 0x80000000, v2
	v_or3_b32 v63, v8, v2, v3
.LBB251_777:                            ;   in Loop: Header=BB251_11 Depth=1
	s_or_b32 exec_lo, exec_lo, s21
.LBB251_778:                            ;   in Loop: Header=BB251_11 Depth=1
	s_or_b32 exec_lo, exec_lo, s17
.LBB251_779:                            ;   in Loop: Header=BB251_11 Depth=1
	s_or_b32 exec_lo, exec_lo, s13
	flat_load_dword v2, v[36:37] offset:1024
	v_mov_b32_e32 v58, 0
	v_mov_b32_e32 v72, 0
	;; [unrolled: 1-line block ×4, first 2 shown]
	s_waitcnt vmcnt(0) lgkmcnt(0)
	v_cmp_ne_u16_sdwa s5, v2, v12 src0_sel:BYTE_0 src1_sel:DWORD
	s_and_saveexec_b32 s13, s5
	s_cbranch_execz .LBB251_787
; %bb.780:                              ;   in Loop: Header=BB251_11 Depth=1
	v_bfrev_b32_e32 v72, 1
	v_mov_b32_e32 v73, 0
	v_cmp_ne_u16_sdwa s5, v2, v6 src0_sel:BYTE_0 src1_sel:DWORD
	s_and_saveexec_b32 s17, s5
	s_cbranch_execz .LBB251_786
; %bb.781:                              ;   in Loop: Header=BB251_11 Depth=1
	v_mov_b32_e32 v72, 0x7f800001
	v_and_b32_e32 v14, 0x7f, v2
	v_mov_b32_e32 v73, 0
	s_mov_b32 s21, exec_lo
	v_cmpx_ne_u32_e32 0x7f, v14
	s_cbranch_execz .LBB251_785
; %bb.782:                              ;   in Loop: Header=BB251_11 Depth=1
	v_and_b32_e32 v11, 7, v2
	v_lshrrev_b32_e32 v3, 3, v14
	s_mov_b32 s22, exec_lo
	v_cmpx_gt_u32_e32 8, v14
; %bb.783:                              ;   in Loop: Header=BB251_11 Depth=1
	v_ffbh_u32_e32 v3, v11
	v_min_u32_e32 v3, 32, v3
	v_subrev_nc_u32_e32 v8, 28, v3
	v_sub_nc_u32_e32 v3, 29, v3
	v_lshlrev_b64 v[14:15], v8, v[11:12]
	v_and_b32_e32 v11, 7, v14
; %bb.784:                              ;   in Loop: Header=BB251_11 Depth=1
	s_or_b32 exec_lo, exec_lo, s22
	v_lshlrev_b32_e32 v8, 24, v2
	v_lshlrev_b32_e32 v9, 20, v11
	v_lshl_add_u32 v3, v3, 23, 0x3c000000
	v_and_b32_e32 v8, 0x80000000, v8
	v_or3_b32 v11, v9, v8, v3
	v_mov_b32_e32 v73, v12
	v_mov_b32_e32 v72, v11
.LBB251_785:                            ;   in Loop: Header=BB251_11 Depth=1
	s_or_b32 exec_lo, exec_lo, s21
.LBB251_786:                            ;   in Loop: Header=BB251_11 Depth=1
	s_or_b32 exec_lo, exec_lo, s17
.LBB251_787:                            ;   in Loop: Header=BB251_11 Depth=1
	s_or_b32 exec_lo, exec_lo, s13
	v_cmp_ne_u16_sdwa s5, v2, v12 src0_sel:BYTE_1 src1_sel:DWORD
	s_and_saveexec_b32 s13, s5
	s_cbranch_execz .LBB251_795
; %bb.788:                              ;   in Loop: Header=BB251_11 Depth=1
	v_mov_b32_e32 v108, v12
	v_cmp_ne_u16_sdwa s5, v2, v6 src0_sel:BYTE_1 src1_sel:DWORD
	v_mov_b32_e32 v58, v108
	v_mov_b32_e32 v59, v109
	s_and_saveexec_b32 s17, s5
	s_cbranch_execz .LBB251_794
; %bb.789:                              ;   in Loop: Header=BB251_11 Depth=1
	v_mov_b32_e32 v3, 0xffff
	v_mov_b32_e32 v106, v12
	s_mov_b32 s21, exec_lo
	v_and_b32_sdwa v3, v3, v2 dst_sel:DWORD dst_unused:UNUSED_PAD src0_sel:DWORD src1_sel:BYTE_1
	v_mov_b32_e32 v58, v106
	v_mov_b32_e32 v59, v107
	v_and_b32_e32 v14, 0x7f, v3
	v_cmpx_ne_u32_e32 0x7f, v14
	s_cbranch_execz .LBB251_793
; %bb.790:                              ;   in Loop: Header=BB251_11 Depth=1
	v_and_b32_e32 v11, 7, v3
	v_lshrrev_b32_e32 v3, 3, v14
	s_mov_b32 s22, exec_lo
	v_cmpx_gt_u32_e32 8, v14
; %bb.791:                              ;   in Loop: Header=BB251_11 Depth=1
	v_ffbh_u32_e32 v3, v11
	v_min_u32_e32 v3, 32, v3
	v_subrev_nc_u32_e32 v8, 28, v3
	v_sub_nc_u32_e32 v3, 29, v3
	v_lshlrev_b64 v[14:15], v8, v[11:12]
	v_and_b32_e32 v11, 7, v14
; %bb.792:                              ;   in Loop: Header=BB251_11 Depth=1
	s_or_b32 exec_lo, exec_lo, s22
	v_lshlrev_b32_e32 v8, 16, v2
	v_lshlrev_b32_e32 v9, 20, v11
	v_lshl_add_u32 v3, v3, 23, 0x3c000000
	v_mov_b32_e32 v58, v12
	v_and_b32_e32 v8, 0x80000000, v8
	v_or3_b32 v59, v9, v8, v3
.LBB251_793:                            ;   in Loop: Header=BB251_11 Depth=1
	s_or_b32 exec_lo, exec_lo, s21
.LBB251_794:                            ;   in Loop: Header=BB251_11 Depth=1
	s_or_b32 exec_lo, exec_lo, s17
.LBB251_795:                            ;   in Loop: Header=BB251_11 Depth=1
	s_or_b32 exec_lo, exec_lo, s13
	v_mov_b32_e32 v3, 0xff
	v_mov_b32_e32 v78, 0
	;; [unrolled: 1-line block ×5, first 2 shown]
	v_and_b32_sdwa v3, v2, v3 dst_sel:DWORD dst_unused:UNUSED_PAD src0_sel:WORD_1 src1_sel:DWORD
	s_mov_b32 s13, exec_lo
	v_cmpx_ne_u16_e32 0, v3
	s_cbranch_execz .LBB251_803
; %bb.796:                              ;   in Loop: Header=BB251_11 Depth=1
	v_bfrev_b32_e32 v60, 1
	v_mov_b32_e32 v61, 0
	s_mov_b32 s17, exec_lo
	v_cmpx_ne_u16_e32 0x80, v3
	s_cbranch_execz .LBB251_802
; %bb.797:                              ;   in Loop: Header=BB251_11 Depth=1
	v_mov_b32_e32 v60, 0x7f800001
	v_bfe_u32 v14, v2, 16, 7
	v_mov_b32_e32 v61, 0
	s_mov_b32 s21, exec_lo
	v_cmpx_ne_u32_e32 0x7f, v14
	s_cbranch_execz .LBB251_801
; %bb.798:                              ;   in Loop: Header=BB251_11 Depth=1
	v_mov_b32_e32 v3, 7
	s_mov_b32 s22, exec_lo
	v_and_b32_sdwa v11, v2, v3 dst_sel:DWORD dst_unused:UNUSED_PAD src0_sel:WORD_1 src1_sel:DWORD
	v_lshrrev_b32_e32 v3, 3, v14
	v_cmpx_gt_u32_e32 8, v14
; %bb.799:                              ;   in Loop: Header=BB251_11 Depth=1
	v_ffbh_u32_e32 v3, v11
	v_min_u32_e32 v3, 32, v3
	v_subrev_nc_u32_e32 v8, 28, v3
	v_sub_nc_u32_e32 v3, 29, v3
	v_lshlrev_b64 v[14:15], v8, v[11:12]
	v_and_b32_e32 v11, 7, v14
; %bb.800:                              ;   in Loop: Header=BB251_11 Depth=1
	s_or_b32 exec_lo, exec_lo, s22
	v_mov_b32_e32 v8, 24
	v_lshlrev_b32_e32 v9, 20, v11
	v_lshl_add_u32 v3, v3, 23, 0x3c000000
	v_lshlrev_b32_sdwa v8, v8, v2 dst_sel:DWORD dst_unused:UNUSED_PAD src0_sel:DWORD src1_sel:WORD_1
	v_and_b32_e32 v8, 0x80000000, v8
	v_or3_b32 v11, v9, v8, v3
	v_mov_b32_e32 v61, v12
	v_mov_b32_e32 v60, v11
.LBB251_801:                            ;   in Loop: Header=BB251_11 Depth=1
	s_or_b32 exec_lo, exec_lo, s21
.LBB251_802:                            ;   in Loop: Header=BB251_11 Depth=1
	s_or_b32 exec_lo, exec_lo, s17
.LBB251_803:                            ;   in Loop: Header=BB251_11 Depth=1
	s_or_b32 exec_lo, exec_lo, s13
	s_mov_b32 s13, exec_lo
	v_cmpx_lt_u32_e32 0xffffff, v2
	s_cbranch_execz .LBB251_811
; %bb.804:                              ;   in Loop: Header=BB251_11 Depth=1
	v_mov_b32_e32 v108, v12
	v_cmp_ne_u32_sdwa s5, v2, v6 src0_sel:BYTE_3 src1_sel:DWORD
	v_mov_b32_e32 v78, v108
	v_mov_b32_e32 v79, v109
	s_and_saveexec_b32 s17, s5
	s_cbranch_execz .LBB251_810
; %bb.805:                              ;   in Loop: Header=BB251_11 Depth=1
	v_mov_b32_e32 v106, v12
	v_bfe_u32 v14, v2, 24, 7
	s_mov_b32 s21, exec_lo
	v_mov_b32_e32 v78, v106
	v_mov_b32_e32 v79, v107
	v_cmpx_ne_u32_e32 0x7f, v14
	s_cbranch_execz .LBB251_809
; %bb.806:                              ;   in Loop: Header=BB251_11 Depth=1
	v_mov_b32_e32 v3, 7
	s_mov_b32 s22, exec_lo
	v_and_b32_sdwa v11, v2, v3 dst_sel:DWORD dst_unused:UNUSED_PAD src0_sel:BYTE_3 src1_sel:DWORD
	v_lshrrev_b32_e32 v3, 3, v14
	v_cmpx_gt_u32_e32 8, v14
; %bb.807:                              ;   in Loop: Header=BB251_11 Depth=1
	v_ffbh_u32_e32 v3, v11
	v_min_u32_e32 v3, 32, v3
	v_subrev_nc_u32_e32 v8, 28, v3
	v_sub_nc_u32_e32 v3, 29, v3
	v_lshlrev_b64 v[14:15], v8, v[11:12]
	v_and_b32_e32 v11, 7, v14
; %bb.808:                              ;   in Loop: Header=BB251_11 Depth=1
	s_or_b32 exec_lo, exec_lo, s22
	v_mov_b32_e32 v8, 24
	v_lshl_add_u32 v3, v3, 23, 0x3c000000
	v_mov_b32_e32 v78, v12
	v_lshlrev_b32_sdwa v2, v8, v2 dst_sel:DWORD dst_unused:UNUSED_PAD src0_sel:DWORD src1_sel:BYTE_3
	v_lshlrev_b32_e32 v8, 20, v11
	v_and_b32_e32 v2, 0x80000000, v2
	v_or3_b32 v79, v8, v2, v3
.LBB251_809:                            ;   in Loop: Header=BB251_11 Depth=1
	s_or_b32 exec_lo, exec_lo, s21
.LBB251_810:                            ;   in Loop: Header=BB251_11 Depth=1
	s_or_b32 exec_lo, exec_lo, s17
.LBB251_811:                            ;   in Loop: Header=BB251_11 Depth=1
	s_or_b32 exec_lo, exec_lo, s13
	flat_load_dword v2, v[36:37] offset:1028
	v_mov_b32_e32 v14, 0
	v_mov_b32_e32 v88, 0
	;; [unrolled: 1-line block ×4, first 2 shown]
	s_waitcnt vmcnt(0) lgkmcnt(0)
	v_cmp_ne_u16_sdwa s5, v2, v12 src0_sel:BYTE_0 src1_sel:DWORD
	s_and_saveexec_b32 s13, s5
	s_cbranch_execz .LBB251_819
; %bb.812:                              ;   in Loop: Header=BB251_11 Depth=1
	v_bfrev_b32_e32 v88, 1
	v_mov_b32_e32 v89, 0
	v_cmp_ne_u16_sdwa s5, v2, v6 src0_sel:BYTE_0 src1_sel:DWORD
	s_and_saveexec_b32 s17, s5
	s_cbranch_execz .LBB251_818
; %bb.813:                              ;   in Loop: Header=BB251_11 Depth=1
	v_mov_b32_e32 v88, 0x7f800001
	v_and_b32_e32 v74, 0x7f, v2
	v_mov_b32_e32 v89, 0
	s_mov_b32 s21, exec_lo
	v_cmpx_ne_u32_e32 0x7f, v74
	s_cbranch_execz .LBB251_817
; %bb.814:                              ;   in Loop: Header=BB251_11 Depth=1
	v_and_b32_e32 v11, 7, v2
	v_lshrrev_b32_e32 v3, 3, v74
	s_mov_b32 s22, exec_lo
	v_cmpx_gt_u32_e32 8, v74
; %bb.815:                              ;   in Loop: Header=BB251_11 Depth=1
	v_ffbh_u32_e32 v3, v11
	v_min_u32_e32 v3, 32, v3
	v_subrev_nc_u32_e32 v8, 28, v3
	v_sub_nc_u32_e32 v3, 29, v3
	v_lshlrev_b64 v[74:75], v8, v[11:12]
	v_and_b32_e32 v11, 7, v74
; %bb.816:                              ;   in Loop: Header=BB251_11 Depth=1
	s_or_b32 exec_lo, exec_lo, s22
	v_lshlrev_b32_e32 v8, 24, v2
	v_lshlrev_b32_e32 v9, 20, v11
	v_lshl_add_u32 v3, v3, 23, 0x3c000000
	v_and_b32_e32 v8, 0x80000000, v8
	v_or3_b32 v11, v9, v8, v3
	v_mov_b32_e32 v89, v12
	v_mov_b32_e32 v88, v11
.LBB251_817:                            ;   in Loop: Header=BB251_11 Depth=1
	s_or_b32 exec_lo, exec_lo, s21
.LBB251_818:                            ;   in Loop: Header=BB251_11 Depth=1
	s_or_b32 exec_lo, exec_lo, s17
.LBB251_819:                            ;   in Loop: Header=BB251_11 Depth=1
	s_or_b32 exec_lo, exec_lo, s13
	v_cmp_ne_u16_sdwa s5, v2, v12 src0_sel:BYTE_1 src1_sel:DWORD
	s_and_saveexec_b32 s13, s5
	s_cbranch_execz .LBB251_827
; %bb.820:                              ;   in Loop: Header=BB251_11 Depth=1
	v_mov_b32_e32 v108, v12
	v_cmp_ne_u16_sdwa s5, v2, v6 src0_sel:BYTE_1 src1_sel:DWORD
	v_mov_b32_e32 v14, v108
	v_mov_b32_e32 v15, v109
	s_and_saveexec_b32 s17, s5
	s_cbranch_execz .LBB251_826
; %bb.821:                              ;   in Loop: Header=BB251_11 Depth=1
	v_mov_b32_e32 v3, 0xffff
	v_mov_b32_e32 v106, v12
	s_mov_b32 s21, exec_lo
	v_and_b32_sdwa v3, v3, v2 dst_sel:DWORD dst_unused:UNUSED_PAD src0_sel:DWORD src1_sel:BYTE_1
	v_mov_b32_e32 v14, v106
	v_mov_b32_e32 v15, v107
	v_and_b32_e32 v74, 0x7f, v3
	v_cmpx_ne_u32_e32 0x7f, v74
	s_cbranch_execz .LBB251_825
; %bb.822:                              ;   in Loop: Header=BB251_11 Depth=1
	v_and_b32_e32 v11, 7, v3
	v_lshrrev_b32_e32 v3, 3, v74
	s_mov_b32 s22, exec_lo
	v_cmpx_gt_u32_e32 8, v74
; %bb.823:                              ;   in Loop: Header=BB251_11 Depth=1
	v_ffbh_u32_e32 v3, v11
	v_min_u32_e32 v3, 32, v3
	v_subrev_nc_u32_e32 v8, 28, v3
	v_sub_nc_u32_e32 v3, 29, v3
	v_lshlrev_b64 v[14:15], v8, v[11:12]
	v_and_b32_e32 v11, 7, v14
; %bb.824:                              ;   in Loop: Header=BB251_11 Depth=1
	s_or_b32 exec_lo, exec_lo, s22
	v_lshlrev_b32_e32 v8, 16, v2
	v_lshlrev_b32_e32 v9, 20, v11
	v_lshl_add_u32 v3, v3, 23, 0x3c000000
	v_mov_b32_e32 v14, v12
	v_and_b32_e32 v8, 0x80000000, v8
	v_or3_b32 v15, v9, v8, v3
.LBB251_825:                            ;   in Loop: Header=BB251_11 Depth=1
	s_or_b32 exec_lo, exec_lo, s21
.LBB251_826:                            ;   in Loop: Header=BB251_11 Depth=1
	s_or_b32 exec_lo, exec_lo, s17
.LBB251_827:                            ;   in Loop: Header=BB251_11 Depth=1
	s_or_b32 exec_lo, exec_lo, s13
	v_mov_b32_e32 v3, 0xff
	v_mov_b32_e32 v76, 0
	;; [unrolled: 1-line block ×5, first 2 shown]
	v_and_b32_sdwa v3, v2, v3 dst_sel:DWORD dst_unused:UNUSED_PAD src0_sel:WORD_1 src1_sel:DWORD
	s_mov_b32 s13, exec_lo
	v_cmpx_ne_u16_e32 0, v3
	s_cbranch_execz .LBB251_835
; %bb.828:                              ;   in Loop: Header=BB251_11 Depth=1
	v_bfrev_b32_e32 v104, 1
	v_mov_b32_e32 v105, 0
	s_mov_b32 s17, exec_lo
	v_cmpx_ne_u16_e32 0x80, v3
	s_cbranch_execz .LBB251_834
; %bb.829:                              ;   in Loop: Header=BB251_11 Depth=1
	v_mov_b32_e32 v104, 0x7f800001
	v_bfe_u32 v74, v2, 16, 7
	v_mov_b32_e32 v105, 0
	s_mov_b32 s21, exec_lo
	v_cmpx_ne_u32_e32 0x7f, v74
	s_cbranch_execz .LBB251_833
; %bb.830:                              ;   in Loop: Header=BB251_11 Depth=1
	v_mov_b32_e32 v3, 7
	s_mov_b32 s22, exec_lo
	v_and_b32_sdwa v11, v2, v3 dst_sel:DWORD dst_unused:UNUSED_PAD src0_sel:WORD_1 src1_sel:DWORD
	v_lshrrev_b32_e32 v3, 3, v74
	v_cmpx_gt_u32_e32 8, v74
; %bb.831:                              ;   in Loop: Header=BB251_11 Depth=1
	v_ffbh_u32_e32 v3, v11
	v_min_u32_e32 v3, 32, v3
	v_subrev_nc_u32_e32 v8, 28, v3
	v_sub_nc_u32_e32 v3, 29, v3
	v_lshlrev_b64 v[74:75], v8, v[11:12]
	v_and_b32_e32 v11, 7, v74
; %bb.832:                              ;   in Loop: Header=BB251_11 Depth=1
	s_or_b32 exec_lo, exec_lo, s22
	v_mov_b32_e32 v8, 24
	v_lshlrev_b32_e32 v9, 20, v11
	v_lshl_add_u32 v3, v3, 23, 0x3c000000
	v_lshlrev_b32_sdwa v8, v8, v2 dst_sel:DWORD dst_unused:UNUSED_PAD src0_sel:DWORD src1_sel:WORD_1
	v_and_b32_e32 v8, 0x80000000, v8
	v_or3_b32 v11, v9, v8, v3
	v_mov_b32_e32 v105, v12
	v_mov_b32_e32 v104, v11
.LBB251_833:                            ;   in Loop: Header=BB251_11 Depth=1
	s_or_b32 exec_lo, exec_lo, s21
.LBB251_834:                            ;   in Loop: Header=BB251_11 Depth=1
	s_or_b32 exec_lo, exec_lo, s17
.LBB251_835:                            ;   in Loop: Header=BB251_11 Depth=1
	s_or_b32 exec_lo, exec_lo, s13
	s_mov_b32 s13, exec_lo
	v_cmpx_lt_u32_e32 0xffffff, v2
	s_cbranch_execz .LBB251_843
; %bb.836:                              ;   in Loop: Header=BB251_11 Depth=1
	v_mov_b32_e32 v108, v12
	v_cmp_ne_u32_sdwa s5, v2, v6 src0_sel:BYTE_3 src1_sel:DWORD
	v_mov_b32_e32 v76, v108
	v_mov_b32_e32 v77, v109
	s_and_saveexec_b32 s17, s5
	s_cbranch_execz .LBB251_842
; %bb.837:                              ;   in Loop: Header=BB251_11 Depth=1
	v_mov_b32_e32 v106, v12
	v_bfe_u32 v74, v2, 24, 7
	s_mov_b32 s21, exec_lo
	v_mov_b32_e32 v76, v106
	v_mov_b32_e32 v77, v107
	v_cmpx_ne_u32_e32 0x7f, v74
	s_cbranch_execz .LBB251_841
; %bb.838:                              ;   in Loop: Header=BB251_11 Depth=1
	v_mov_b32_e32 v3, 7
	s_mov_b32 s22, exec_lo
	v_and_b32_sdwa v11, v2, v3 dst_sel:DWORD dst_unused:UNUSED_PAD src0_sel:BYTE_3 src1_sel:DWORD
	v_lshrrev_b32_e32 v3, 3, v74
	v_cmpx_gt_u32_e32 8, v74
; %bb.839:                              ;   in Loop: Header=BB251_11 Depth=1
	v_ffbh_u32_e32 v3, v11
	v_min_u32_e32 v3, 32, v3
	v_subrev_nc_u32_e32 v8, 28, v3
	v_sub_nc_u32_e32 v3, 29, v3
	v_lshlrev_b64 v[74:75], v8, v[11:12]
	v_and_b32_e32 v11, 7, v74
; %bb.840:                              ;   in Loop: Header=BB251_11 Depth=1
	s_or_b32 exec_lo, exec_lo, s22
	v_mov_b32_e32 v8, 24
	v_lshl_add_u32 v3, v3, 23, 0x3c000000
	v_mov_b32_e32 v76, v12
	v_lshlrev_b32_sdwa v2, v8, v2 dst_sel:DWORD dst_unused:UNUSED_PAD src0_sel:DWORD src1_sel:BYTE_3
	v_lshlrev_b32_e32 v8, 20, v11
	v_and_b32_e32 v2, 0x80000000, v2
	v_or3_b32 v77, v8, v2, v3
.LBB251_841:                            ;   in Loop: Header=BB251_11 Depth=1
	s_or_b32 exec_lo, exec_lo, s21
.LBB251_842:                            ;   in Loop: Header=BB251_11 Depth=1
	s_or_b32 exec_lo, exec_lo, s17
.LBB251_843:                            ;   in Loop: Header=BB251_11 Depth=1
	s_or_b32 exec_lo, exec_lo, s13
	flat_load_dword v74, v[36:37] offset:1032
	v_mov_b32_e32 v90, 0
	v_mov_b32_e32 v110, 0
	;; [unrolled: 1-line block ×4, first 2 shown]
	s_waitcnt vmcnt(0) lgkmcnt(0)
	v_cmp_ne_u16_sdwa s5, v74, v12 src0_sel:BYTE_0 src1_sel:DWORD
	s_and_saveexec_b32 s13, s5
	s_cbranch_execz .LBB251_851
; %bb.844:                              ;   in Loop: Header=BB251_11 Depth=1
	v_bfrev_b32_e32 v110, 1
	v_mov_b32_e32 v111, 0
	v_cmp_ne_u16_sdwa s5, v74, v6 src0_sel:BYTE_0 src1_sel:DWORD
	s_and_saveexec_b32 s17, s5
	s_cbranch_execz .LBB251_850
; %bb.845:                              ;   in Loop: Header=BB251_11 Depth=1
	v_mov_b32_e32 v110, 0x7f800001
	v_and_b32_e32 v3, 0x7f, v74
	v_mov_b32_e32 v111, 0
	s_mov_b32 s21, exec_lo
	v_cmpx_ne_u32_e32 0x7f, v3
	s_cbranch_execz .LBB251_849
; %bb.846:                              ;   in Loop: Header=BB251_11 Depth=1
	v_and_b32_e32 v11, 7, v74
	v_lshrrev_b32_e32 v2, 3, v3
	s_mov_b32 s22, exec_lo
	v_cmpx_gt_u32_e32 8, v3
; %bb.847:                              ;   in Loop: Header=BB251_11 Depth=1
	v_ffbh_u32_e32 v2, v11
	v_min_u32_e32 v2, 32, v2
	v_subrev_nc_u32_e32 v3, 28, v2
	v_sub_nc_u32_e32 v2, 29, v2
	v_lshlrev_b64 v[92:93], v3, v[11:12]
	v_and_b32_e32 v11, 7, v92
; %bb.848:                              ;   in Loop: Header=BB251_11 Depth=1
	s_or_b32 exec_lo, exec_lo, s22
	v_lshlrev_b32_e32 v3, 24, v74
	v_lshlrev_b32_e32 v8, 20, v11
	v_lshl_add_u32 v2, v2, 23, 0x3c000000
	v_and_b32_e32 v3, 0x80000000, v3
	v_or3_b32 v11, v8, v3, v2
	v_mov_b32_e32 v111, v12
	v_mov_b32_e32 v110, v11
.LBB251_849:                            ;   in Loop: Header=BB251_11 Depth=1
	s_or_b32 exec_lo, exec_lo, s21
.LBB251_850:                            ;   in Loop: Header=BB251_11 Depth=1
	s_or_b32 exec_lo, exec_lo, s17
.LBB251_851:                            ;   in Loop: Header=BB251_11 Depth=1
	s_or_b32 exec_lo, exec_lo, s13
	v_cmp_ne_u16_sdwa s5, v74, v12 src0_sel:BYTE_1 src1_sel:DWORD
	s_and_saveexec_b32 s13, s5
	s_cbranch_execz .LBB251_859
; %bb.852:                              ;   in Loop: Header=BB251_11 Depth=1
	v_mov_b32_e32 v108, v12
	v_cmp_ne_u16_sdwa s5, v74, v6 src0_sel:BYTE_1 src1_sel:DWORD
	v_mov_b32_e32 v90, v108
	v_mov_b32_e32 v91, v109
	s_and_saveexec_b32 s17, s5
	s_cbranch_execz .LBB251_858
; %bb.853:                              ;   in Loop: Header=BB251_11 Depth=1
	v_mov_b32_e32 v2, 0xffff
	v_mov_b32_e32 v106, v12
	s_mov_b32 s21, exec_lo
	v_and_b32_sdwa v2, v2, v74 dst_sel:DWORD dst_unused:UNUSED_PAD src0_sel:DWORD src1_sel:BYTE_1
	v_mov_b32_e32 v90, v106
	v_mov_b32_e32 v91, v107
	v_and_b32_e32 v3, 0x7f, v2
	v_cmpx_ne_u32_e32 0x7f, v3
	s_cbranch_execz .LBB251_857
; %bb.854:                              ;   in Loop: Header=BB251_11 Depth=1
	v_and_b32_e32 v11, 7, v2
	v_lshrrev_b32_e32 v2, 3, v3
	s_mov_b32 s22, exec_lo
	v_cmpx_gt_u32_e32 8, v3
; %bb.855:                              ;   in Loop: Header=BB251_11 Depth=1
	v_ffbh_u32_e32 v2, v11
	v_min_u32_e32 v2, 32, v2
	v_subrev_nc_u32_e32 v3, 28, v2
	v_sub_nc_u32_e32 v2, 29, v2
	v_lshlrev_b64 v[90:91], v3, v[11:12]
	v_and_b32_e32 v11, 7, v90
; %bb.856:                              ;   in Loop: Header=BB251_11 Depth=1
	s_or_b32 exec_lo, exec_lo, s22
	v_lshlrev_b32_e32 v3, 16, v74
	v_lshlrev_b32_e32 v8, 20, v11
	v_lshl_add_u32 v2, v2, 23, 0x3c000000
	v_mov_b32_e32 v90, v12
	v_and_b32_e32 v3, 0x80000000, v3
	v_or3_b32 v91, v8, v3, v2
.LBB251_857:                            ;   in Loop: Header=BB251_11 Depth=1
	s_or_b32 exec_lo, exec_lo, s21
.LBB251_858:                            ;   in Loop: Header=BB251_11 Depth=1
	s_or_b32 exec_lo, exec_lo, s17
.LBB251_859:                            ;   in Loop: Header=BB251_11 Depth=1
	s_or_b32 exec_lo, exec_lo, s13
	v_mov_b32_e32 v2, 0xff
	v_mov_b32_e32 v122, 0
	;; [unrolled: 1-line block ×3, first 2 shown]
	s_mov_b32 s13, exec_lo
	v_and_b32_sdwa v11, v74, v2 dst_sel:DWORD dst_unused:UNUSED_PAD src0_sel:WORD_1 src1_sel:DWORD
	v_mov_b32_e32 v2, 0
	v_mov_b32_e32 v3, 0
	v_cmpx_ne_u16_e32 0, v11
	s_cbranch_execz .LBB251_867
; %bb.860:                              ;   in Loop: Header=BB251_11 Depth=1
	v_bfrev_b32_e32 v122, 1
	v_mov_b32_e32 v123, 0
	s_mov_b32 s17, exec_lo
	v_cmpx_ne_u16_e32 0x80, v11
	s_cbranch_execz .LBB251_866
; %bb.861:                              ;   in Loop: Header=BB251_11 Depth=1
	v_mov_b32_e32 v122, 0x7f800001
	v_bfe_u32 v92, v74, 16, 7
	v_mov_b32_e32 v123, 0
	s_mov_b32 s21, exec_lo
	v_cmpx_ne_u32_e32 0x7f, v92
	s_cbranch_execz .LBB251_865
; %bb.862:                              ;   in Loop: Header=BB251_11 Depth=1
	v_mov_b32_e32 v8, 7
	v_lshrrev_b32_e32 v75, 3, v92
	s_mov_b32 s22, exec_lo
	v_and_b32_sdwa v11, v74, v8 dst_sel:DWORD dst_unused:UNUSED_PAD src0_sel:WORD_1 src1_sel:DWORD
	v_cmpx_gt_u32_e32 8, v92
; %bb.863:                              ;   in Loop: Header=BB251_11 Depth=1
	v_ffbh_u32_e32 v8, v11
	v_min_u32_e32 v8, 32, v8
	v_subrev_nc_u32_e32 v9, 28, v8
	v_sub_nc_u32_e32 v75, 29, v8
	v_lshlrev_b64 v[92:93], v9, v[11:12]
	v_and_b32_e32 v11, 7, v92
; %bb.864:                              ;   in Loop: Header=BB251_11 Depth=1
	s_or_b32 exec_lo, exec_lo, s22
	v_mov_b32_e32 v8, 24
	v_lshlrev_b32_e32 v9, 20, v11
	v_lshl_add_u32 v11, v75, 23, 0x3c000000
	v_lshlrev_b32_sdwa v8, v8, v74 dst_sel:DWORD dst_unused:UNUSED_PAD src0_sel:DWORD src1_sel:WORD_1
	v_and_b32_e32 v8, 0x80000000, v8
	v_or3_b32 v11, v9, v8, v11
	v_mov_b32_e32 v123, v12
	v_mov_b32_e32 v122, v11
.LBB251_865:                            ;   in Loop: Header=BB251_11 Depth=1
	s_or_b32 exec_lo, exec_lo, s21
.LBB251_866:                            ;   in Loop: Header=BB251_11 Depth=1
	s_or_b32 exec_lo, exec_lo, s17
.LBB251_867:                            ;   in Loop: Header=BB251_11 Depth=1
	s_or_b32 exec_lo, exec_lo, s13
	s_mov_b32 s13, exec_lo
	v_cmpx_lt_u32_e32 0xffffff, v74
	s_cbranch_execz .LBB251_875
; %bb.868:                              ;   in Loop: Header=BB251_11 Depth=1
	v_mov_b32_e32 v108, v12
	v_cmp_ne_u32_sdwa s5, v74, v6 src0_sel:BYTE_3 src1_sel:DWORD
	v_mov_b32_e32 v2, v108
	v_mov_b32_e32 v3, v109
	s_and_saveexec_b32 s17, s5
	s_cbranch_execz .LBB251_874
; %bb.869:                              ;   in Loop: Header=BB251_11 Depth=1
	v_mov_b32_e32 v106, v12
	v_bfe_u32 v75, v74, 24, 7
	s_mov_b32 s21, exec_lo
	v_mov_b32_e32 v2, v106
	v_mov_b32_e32 v3, v107
	v_cmpx_ne_u32_e32 0x7f, v75
	s_cbranch_execz .LBB251_873
; %bb.870:                              ;   in Loop: Header=BB251_11 Depth=1
	v_mov_b32_e32 v2, 7
	s_mov_b32 s22, exec_lo
	v_and_b32_sdwa v11, v74, v2 dst_sel:DWORD dst_unused:UNUSED_PAD src0_sel:BYTE_3 src1_sel:DWORD
	v_lshrrev_b32_e32 v2, 3, v75
	v_cmpx_gt_u32_e32 8, v75
; %bb.871:                              ;   in Loop: Header=BB251_11 Depth=1
	v_ffbh_u32_e32 v2, v11
	v_min_u32_e32 v2, 32, v2
	v_subrev_nc_u32_e32 v3, 28, v2
	v_sub_nc_u32_e32 v2, 29, v2
	v_lshlrev_b64 v[92:93], v3, v[11:12]
	v_and_b32_e32 v11, 7, v92
; %bb.872:                              ;   in Loop: Header=BB251_11 Depth=1
	s_or_b32 exec_lo, exec_lo, s22
	v_mov_b32_e32 v3, 24
	v_lshlrev_b32_e32 v8, 20, v11
	v_lshl_add_u32 v2, v2, 23, 0x3c000000
	v_lshlrev_b32_sdwa v3, v3, v74 dst_sel:DWORD dst_unused:UNUSED_PAD src0_sel:DWORD src1_sel:BYTE_3
	v_and_b32_e32 v3, 0x80000000, v3
	v_or3_b32 v3, v8, v3, v2
	v_mov_b32_e32 v2, v12
.LBB251_873:                            ;   in Loop: Header=BB251_11 Depth=1
	s_or_b32 exec_lo, exec_lo, s21
.LBB251_874:                            ;   in Loop: Header=BB251_11 Depth=1
	s_or_b32 exec_lo, exec_lo, s17
.LBB251_875:                            ;   in Loop: Header=BB251_11 Depth=1
	s_or_b32 exec_lo, exec_lo, s13
	flat_load_dword v124, v[36:37] offset:1036
	v_mov_b32_e32 v74, 0
	v_mov_b32_e32 v36, 0
	;; [unrolled: 1-line block ×4, first 2 shown]
	s_waitcnt vmcnt(0) lgkmcnt(0)
	v_cmp_ne_u16_sdwa s5, v124, v12 src0_sel:BYTE_0 src1_sel:DWORD
	s_and_saveexec_b32 s13, s5
	s_cbranch_execz .LBB251_883
; %bb.876:                              ;   in Loop: Header=BB251_11 Depth=1
	v_bfrev_b32_e32 v36, 1
	v_mov_b32_e32 v37, 0
	v_cmp_ne_u16_sdwa s5, v124, v6 src0_sel:BYTE_0 src1_sel:DWORD
	s_and_saveexec_b32 s17, s5
	s_cbranch_execz .LBB251_882
; %bb.877:                              ;   in Loop: Header=BB251_11 Depth=1
	v_mov_b32_e32 v36, 0x7f800001
	v_and_b32_e32 v92, 0x7f, v124
	v_mov_b32_e32 v37, 0
	s_mov_b32 s21, exec_lo
	v_cmpx_ne_u32_e32 0x7f, v92
	s_cbranch_execz .LBB251_881
; %bb.878:                              ;   in Loop: Header=BB251_11 Depth=1
	v_and_b32_e32 v11, 7, v124
	v_lshrrev_b32_e32 v36, 3, v92
	s_mov_b32 s22, exec_lo
	v_cmpx_gt_u32_e32 8, v92
; %bb.879:                              ;   in Loop: Header=BB251_11 Depth=1
	v_ffbh_u32_e32 v8, v11
	v_min_u32_e32 v8, 32, v8
	v_subrev_nc_u32_e32 v9, 28, v8
	v_sub_nc_u32_e32 v36, 29, v8
	v_lshlrev_b64 v[92:93], v9, v[11:12]
	v_and_b32_e32 v11, 7, v92
; %bb.880:                              ;   in Loop: Header=BB251_11 Depth=1
	s_or_b32 exec_lo, exec_lo, s22
	v_lshlrev_b32_e32 v8, 24, v124
	v_lshlrev_b32_e32 v9, 20, v11
	v_lshl_add_u32 v11, v36, 23, 0x3c000000
	v_and_b32_e32 v8, 0x80000000, v8
	v_or3_b32 v11, v9, v8, v11
	v_mov_b32_e32 v37, v12
	v_mov_b32_e32 v36, v11
.LBB251_881:                            ;   in Loop: Header=BB251_11 Depth=1
	s_or_b32 exec_lo, exec_lo, s21
.LBB251_882:                            ;   in Loop: Header=BB251_11 Depth=1
	s_or_b32 exec_lo, exec_lo, s17
.LBB251_883:                            ;   in Loop: Header=BB251_11 Depth=1
	s_or_b32 exec_lo, exec_lo, s13
	v_cmp_ne_u16_sdwa s5, v124, v12 src0_sel:BYTE_1 src1_sel:DWORD
	s_and_saveexec_b32 s13, s5
	s_cbranch_execz .LBB251_891
; %bb.884:                              ;   in Loop: Header=BB251_11 Depth=1
	v_mov_b32_e32 v108, v12
	v_cmp_ne_u16_sdwa s5, v124, v6 src0_sel:BYTE_1 src1_sel:DWORD
	v_mov_b32_e32 v74, v108
	v_mov_b32_e32 v75, v109
	s_and_saveexec_b32 s17, s5
	s_cbranch_execz .LBB251_890
; %bb.885:                              ;   in Loop: Header=BB251_11 Depth=1
	v_mov_b32_e32 v8, 0xffff
	v_mov_b32_e32 v106, v12
	s_mov_b32 s21, exec_lo
	v_and_b32_sdwa v11, v8, v124 dst_sel:DWORD dst_unused:UNUSED_PAD src0_sel:DWORD src1_sel:BYTE_1
	v_mov_b32_e32 v74, v106
	v_mov_b32_e32 v75, v107
	v_and_b32_e32 v92, 0x7f, v11
	v_cmpx_ne_u32_e32 0x7f, v92
	s_cbranch_execz .LBB251_889
; %bb.886:                              ;   in Loop: Header=BB251_11 Depth=1
	v_and_b32_e32 v11, 7, v11
	v_lshrrev_b32_e32 v74, 3, v92
	s_mov_b32 s22, exec_lo
	v_cmpx_gt_u32_e32 8, v92
; %bb.887:                              ;   in Loop: Header=BB251_11 Depth=1
	v_ffbh_u32_e32 v8, v11
	v_min_u32_e32 v8, 32, v8
	v_subrev_nc_u32_e32 v9, 28, v8
	v_sub_nc_u32_e32 v74, 29, v8
	v_lshlrev_b64 v[92:93], v9, v[11:12]
	v_and_b32_e32 v11, 7, v92
; %bb.888:                              ;   in Loop: Header=BB251_11 Depth=1
	s_or_b32 exec_lo, exec_lo, s22
	v_lshlrev_b32_e32 v8, 16, v124
	v_lshlrev_b32_e32 v9, 20, v11
	v_lshl_add_u32 v11, v74, 23, 0x3c000000
	v_mov_b32_e32 v74, v12
	v_and_b32_e32 v8, 0x80000000, v8
	v_or3_b32 v75, v9, v8, v11
.LBB251_889:                            ;   in Loop: Header=BB251_11 Depth=1
	s_or_b32 exec_lo, exec_lo, s21
.LBB251_890:                            ;   in Loop: Header=BB251_11 Depth=1
	s_or_b32 exec_lo, exec_lo, s17
.LBB251_891:                            ;   in Loop: Header=BB251_11 Depth=1
	s_or_b32 exec_lo, exec_lo, s13
	v_mov_b32_e32 v8, 0xff
	v_mov_b32_e32 v94, 0
	;; [unrolled: 1-line block ×5, first 2 shown]
	v_and_b32_sdwa v11, v124, v8 dst_sel:DWORD dst_unused:UNUSED_PAD src0_sel:WORD_1 src1_sel:DWORD
	s_mov_b32 s13, exec_lo
	v_cmpx_ne_u16_e32 0, v11
	s_cbranch_execz .LBB251_899
; %bb.892:                              ;   in Loop: Header=BB251_11 Depth=1
	v_bfrev_b32_e32 v92, 1
	v_mov_b32_e32 v93, 0
	s_mov_b32 s17, exec_lo
	v_cmpx_ne_u16_e32 0x80, v11
	s_cbranch_execz .LBB251_898
; %bb.893:                              ;   in Loop: Header=BB251_11 Depth=1
	v_mov_b32_e32 v92, 0x7f800001
	v_bfe_u32 v106, v124, 16, 7
	v_mov_b32_e32 v93, 0
	s_mov_b32 s21, exec_lo
	v_cmpx_ne_u32_e32 0x7f, v106
	s_cbranch_execz .LBB251_897
; %bb.894:                              ;   in Loop: Header=BB251_11 Depth=1
	v_mov_b32_e32 v8, 7
	v_lshrrev_b32_e32 v92, 3, v106
	s_mov_b32 s22, exec_lo
	v_and_b32_sdwa v11, v124, v8 dst_sel:DWORD dst_unused:UNUSED_PAD src0_sel:WORD_1 src1_sel:DWORD
	v_cmpx_gt_u32_e32 8, v106
; %bb.895:                              ;   in Loop: Header=BB251_11 Depth=1
	v_ffbh_u32_e32 v8, v11
	v_min_u32_e32 v92, 32, v8
	v_subrev_nc_u32_e32 v8, 28, v92
	v_sub_nc_u32_e32 v92, 29, v92
	v_lshlrev_b64 v[8:9], v8, v[11:12]
	v_and_b32_e32 v11, 7, v8
; %bb.896:                              ;   in Loop: Header=BB251_11 Depth=1
	s_or_b32 exec_lo, exec_lo, s22
	v_mov_b32_e32 v8, 24
	v_lshlrev_b32_e32 v9, 20, v11
	v_lshl_add_u32 v11, v92, 23, 0x3c000000
	v_lshlrev_b32_sdwa v8, v8, v124 dst_sel:DWORD dst_unused:UNUSED_PAD src0_sel:DWORD src1_sel:WORD_1
	v_and_b32_e32 v8, 0x80000000, v8
	v_or3_b32 v11, v9, v8, v11
	v_mov_b32_e32 v93, v12
	v_mov_b32_e32 v92, v11
.LBB251_897:                            ;   in Loop: Header=BB251_11 Depth=1
	s_or_b32 exec_lo, exec_lo, s21
.LBB251_898:                            ;   in Loop: Header=BB251_11 Depth=1
	s_or_b32 exec_lo, exec_lo, s17
.LBB251_899:                            ;   in Loop: Header=BB251_11 Depth=1
	s_or_b32 exec_lo, exec_lo, s13
	v_cmp_lt_u32_e64 s5, 0xffffff, v124
	s_mov_b32 s13, exec_lo
	buffer_load_dword v11, off, s[0:3], s32 offset:648 ; 4-byte Folded Reload
	v_mov_b32_e32 v10, v13
	v_mov_b32_e32 v98, v125
	s_and_b32 s5, s13, s5
	s_mov_b32 exec_lo, s5
	s_cbranch_execz .LBB251_10
; %bb.900:                              ;   in Loop: Header=BB251_11 Depth=1
	v_mov_b32_e32 v108, v12
	v_cmp_ne_u32_sdwa s5, v124, v6 src0_sel:BYTE_3 src1_sel:DWORD
	v_mov_b32_e32 v94, v108
	v_mov_b32_e32 v95, v109
	s_and_saveexec_b32 s17, s5
	s_cbranch_execz .LBB251_9
; %bb.901:                              ;   in Loop: Header=BB251_11 Depth=1
	v_mov_b32_e32 v106, v12
	v_bfe_u32 v108, v124, 24, 7
	s_mov_b32 s21, exec_lo
	v_mov_b32_e32 v94, v106
	v_mov_b32_e32 v95, v107
	v_cmpx_ne_u32_e32 0x7f, v108
	s_cbranch_execz .LBB251_8
; %bb.902:                              ;   in Loop: Header=BB251_11 Depth=1
	v_mov_b32_e32 v8, 7
	v_lshrrev_b32_e32 v94, 3, v108
	s_mov_b32 s22, exec_lo
	s_waitcnt vmcnt(0)
	v_and_b32_sdwa v11, v124, v8 dst_sel:DWORD dst_unused:UNUSED_PAD src0_sel:BYTE_3 src1_sel:DWORD
	v_cmpx_gt_u32_e32 8, v108
	s_cbranch_execz .LBB251_7
; %bb.903:                              ;   in Loop: Header=BB251_11 Depth=1
	v_ffbh_u32_e32 v8, v11
	v_min_u32_e32 v94, 32, v8
	v_subrev_nc_u32_e32 v8, 28, v94
	v_sub_nc_u32_e32 v94, 29, v94
	v_lshlrev_b64 v[8:9], v8, v[11:12]
	v_and_b32_e32 v11, 7, v8
	s_branch .LBB251_7
.LBB251_904:
	s_or_b32 exec_lo, exec_lo, s11
	s_clause 0x11
	buffer_load_dword v12, off, s[0:3], s32 offset:1164
	buffer_load_dword v6, off, s[0:3], s32 offset:1180
	buffer_load_dword v15, off, s[0:3], s32 offset:1184
	buffer_load_dword v14, off, s[0:3], s32 offset:1188
	buffer_load_dword v26, off, s[0:3], s32 offset:1192
	buffer_load_dword v27, off, s[0:3], s32 offset:1196
	buffer_load_dword v11, off, s[0:3], s32 offset:1200
	buffer_load_dword v10, off, s[0:3], s32 offset:1204
	buffer_load_dword v22, off, s[0:3], s32 offset:1208
	buffer_load_dword v24, off, s[0:3], s32 offset:1212
	buffer_load_dword v25, off, s[0:3], s32 offset:1216
	buffer_load_dword v28, off, s[0:3], s32 offset:1220
	buffer_load_dword v16, off, s[0:3], s32 offset:1224
	buffer_load_dword v17, off, s[0:3], s32 offset:1228
	buffer_load_dword v13, off, s[0:3], s32 offset:1232
	buffer_load_dword v18, off, s[0:3], s32 offset:1236
	buffer_load_dword v19, off, s[0:3], s32 offset:1240
	buffer_load_dword v20, off, s[0:3], s32 offset:1244
.LBB251_905:
	s_or_b32 exec_lo, exec_lo, s9
	v_mbcnt_lo_u32_b32 v0, -1, 0
	v_max_f32_e32 v4, v5, v5
	s_lshr_b32 s9, s7, 16
	v_xor_b32_e32 v1, 16, v0
	v_xor_b32_e32 v3, 8, v0
	v_cmp_gt_i32_e32 vcc_lo, 32, v1
	v_cndmask_b32_e32 v1, v0, v1, vcc_lo
	v_cmp_gt_i32_e32 vcc_lo, 32, v3
	v_lshlrev_b32_e32 v2, 2, v1
	v_cndmask_b32_e32 v3, v0, v3, vcc_lo
	ds_bpermute_b32 v1, v2, v5
	v_lshlrev_b32_e32 v3, 2, v3
	v_xor_b32_e32 v5, 4, v0
	v_cmp_gt_i32_e32 vcc_lo, 32, v5
	v_cndmask_b32_e32 v5, v0, v5, vcc_lo
	v_lshlrev_b32_e32 v81, 2, v5
	v_xor_b32_e32 v5, 2, v0
	s_waitcnt lgkmcnt(0)
	v_max_f32_e32 v1, v1, v1
	v_cmp_gt_i32_e32 vcc_lo, 32, v5
	v_max_f32_e32 v1, v4, v1
	v_cndmask_b32_e32 v5, v0, v5, vcc_lo
	ds_bpermute_b32 v4, v3, v1
	v_lshlrev_b32_e32 v85, 2, v5
	v_xor_b32_e32 v5, 1, v0
	v_cmp_gt_i32_e32 vcc_lo, 32, v5
	v_cndmask_b32_e32 v5, v0, v5, vcc_lo
	s_waitcnt vmcnt(16)
	v_cmp_eq_u32_e32 vcc_lo, 0, v6
	v_lshlrev_b32_e32 v84, 2, v5
	s_waitcnt lgkmcnt(0)
	v_max_f32_e32 v4, v4, v4
	v_max_f32_e32 v1, v1, v4
	ds_bpermute_b32 v4, v81, v1
	s_waitcnt lgkmcnt(0)
	v_max_f32_e32 v4, v4, v4
	v_max_f32_e32 v1, v1, v4
	ds_bpermute_b32 v4, v85, v1
	s_waitcnt lgkmcnt(0)
	v_max_f32_e32 v4, v4, v4
	v_max_f32_e32 v0, v1, v4
	buffer_load_dword v4, off, s[0:3], s32 offset:1168 ; 4-byte Folded Reload
	ds_bpermute_b32 v1, v84, v0
	s_waitcnt vmcnt(0)
	v_lshlrev_b32_e32 v4, 2, v4
	s_and_saveexec_b32 s5, vcc_lo
	s_cbranch_execz .LBB251_907
; %bb.906:
	s_waitcnt lgkmcnt(0)
	v_max_f32_e32 v1, v1, v1
	v_max_f32_e32 v0, v0, v0
	;; [unrolled: 1-line block ×3, first 2 shown]
	ds_write_b32 v4, v0 offset:448
.LBB251_907:
	s_or_b32 exec_lo, exec_lo, s5
	v_cmp_gt_u32_e64 s5, 4, v6
	v_mov_b32_e32 v0, 0xff7fffff
	s_waitcnt lgkmcnt(0)
	s_waitcnt_vscnt null, 0x0
	s_barrier
	buffer_gl0_inv
	s_and_saveexec_b32 s7, s5
; %bb.908:
	ds_read_b32 v0, v20 offset:448
; %bb.909:
	s_or_b32 exec_lo, exec_lo, s7
	buffer_load_dword v5, off, s[0:3], s32 offset:656 ; 4-byte Folded Reload
	s_waitcnt lgkmcnt(0)
	ds_bpermute_b32 v1, v85, v0
	v_max_f32_e32 v0, v0, v0
	s_waitcnt lgkmcnt(0)
	v_max_f32_e32 v1, v1, v1
	v_max_f32_e32 v0, v0, v1
	ds_bpermute_b32 v1, v84, v0
	s_waitcnt lgkmcnt(0)
	v_max_f32_e32 v1, v1, v1
	v_max_f32_e32 v0, v0, v1
	s_waitcnt vmcnt(0)
	v_subrev_nc_u32_e32 v6, s6, v5
	v_mov_b32_e32 v5, 0
	v_lshl_add_u32 v1, v6, 5, s20
	ds_bpermute_b32 v0, v5, v0
	v_min_i32_e32 v1, v1, v99
	v_subrev_nc_u32_e32 v1, s20, v1
	v_cmp_lt_i32_e64 s6, v12, v1
	s_and_saveexec_b32 s11, s6
	s_cbranch_execz .LBB251_913
; %bb.910:
	s_getpc_b64 s[22:23]
	s_add_u32 s22, s22, llvm.amdgcn.dynlds.offset.table@rel32@lo+4
	s_addc_u32 s23, s23, llvm.amdgcn.dynlds.offset.table@rel32@hi+12
	s_ashr_i32 s17, s16, 31
	v_mov_b32_e32 v5, 0
	s_lshl_b64 s[24:25], s[16:17], 2
	v_mov_b32_e32 v7, v12
	s_add_u32 s22, s22, s24
	s_addc_u32 s23, s23, s25
	s_mov_b32 s13, 0
	s_load_dword s7, s[22:23], 0x0
	s_waitcnt lgkmcnt(0)
	v_lshl_add_u32 v6, v12, 2, s7
	.p2align	6
.LBB251_911:                            ; =>This Inner Loop Header: Depth=1
	ds_read_b32 v8, v6
	v_add_nc_u32_e32 v7, 0x80, v7
	v_cmp_ge_i32_e64 s7, v7, v1
	s_or_b32 s13, s7, s13
	s_waitcnt lgkmcnt(0)
	v_sub_f32_e32 v8, v8, v0
	v_mul_f32_e32 v8, 0x3fb8aa3b, v8
	v_exp_f32_e32 v8, v8
	ds_write_b32 v6, v8
	v_add_f32_e32 v5, v5, v8
	v_add_nc_u32_e32 v6, 0x200, v6
	s_andn2_b32 exec_lo, exec_lo, s13
	s_cbranch_execnz .LBB251_911
; %bb.912:
	s_or_b32 exec_lo, exec_lo, s13
.LBB251_913:
	s_or_b32 exec_lo, exec_lo, s11
	ds_bpermute_b32 v2, v2, v5
	s_waitcnt lgkmcnt(0)
	v_add_f32_e32 v2, v5, v2
	ds_bpermute_b32 v3, v3, v2
	s_waitcnt lgkmcnt(0)
	v_add_f32_e32 v2, v2, v3
	;; [unrolled: 3-line block ×5, first 2 shown]
	s_and_saveexec_b32 s7, vcc_lo
; %bb.914:
	ds_write_b32 v4, v2 offset:464
; %bb.915:
	s_or_b32 exec_lo, exec_lo, s7
	s_waitcnt lgkmcnt(0)
	s_barrier
	buffer_gl0_inv
	s_and_saveexec_b32 s7, s5
; %bb.916:
	ds_read_b32 v2, v20 offset:464
; %bb.917:
	s_or_b32 exec_lo, exec_lo, s7
	s_waitcnt lgkmcnt(0)
	ds_bpermute_b32 v3, v85, v2
	s_waitcnt lgkmcnt(0)
	v_add_f32_e32 v2, v2, v3
	ds_bpermute_b32 v3, v84, v2
	s_waitcnt lgkmcnt(0)
	v_add_f32_e32 v2, v2, v3
	v_mov_b32_e32 v3, 0
	ds_bpermute_b32 v2, v3, v2
	s_and_saveexec_b32 s5, s6
	s_cbranch_execz .LBB251_920
; %bb.918:
	s_waitcnt lgkmcnt(0)
	v_add_f32_e32 v4, 0x358637bd, v2
	s_getpc_b64 s[6:7]
	s_add_u32 s6, s6, llvm.amdgcn.dynlds.offset.table@rel32@lo+4
	s_addc_u32 s7, s7, llvm.amdgcn.dynlds.offset.table@rel32@hi+12
	s_ashr_i32 s17, s16, 31
	s_lshl_b64 s[22:23], s[16:17], 2
	v_div_scale_f32 v3, null, v4, v4, 1.0
	v_div_scale_f32 v7, vcc_lo, 1.0, v4, 1.0
	s_add_u32 s6, s6, s22
	v_rcp_f32_e32 v5, v3
	s_addc_u32 s7, s7, s23
	s_load_dword s6, s[6:7], 0x0
	v_fma_f32 v6, -v3, v5, 1.0
	v_fmac_f32_e32 v5, v6, v5
	v_mul_f32_e32 v6, v7, v5
	v_fma_f32 v8, -v3, v6, v7
	v_fmac_f32_e32 v6, v8, v5
	v_fma_f32 v3, -v3, v6, v7
	v_div_fmas_f32 v5, v3, v5, v6
	s_waitcnt lgkmcnt(0)
	v_lshl_add_u32 v3, v12, 2, s6
	s_mov_b32 s6, 0
	v_div_fixup_f32 v4, v5, v4, 1.0
	v_mov_b32_e32 v5, v12
.LBB251_919:                            ; =>This Inner Loop Header: Depth=1
	ds_read_b32 v6, v3
	v_add_nc_u32_e32 v5, 0x80, v5
	v_cmp_ge_i32_e32 vcc_lo, v5, v1
	s_or_b32 s6, vcc_lo, s6
	s_waitcnt lgkmcnt(0)
	v_mul_f32_e32 v6, v4, v6
	ds_write_b32 v3, v6
	v_add_nc_u32_e32 v3, 0x200, v3
	s_andn2_b32 exec_lo, exec_lo, s6
	s_cbranch_execnz .LBB251_919
.LBB251_920:
	s_or_b32 exec_lo, exec_lo, s5
	s_and_b32 s5, 0xffff, s9
	s_waitcnt lgkmcnt(0)
	s_cmp_lg_u32 s5, 0
	s_barrier
	s_cselect_b32 s5, -1, 0
	buffer_gl0_inv
	s_cmp_lg_u32 s5, 0
	s_addc_u32 s5, s8, 0
	s_mov_b32 s8, exec_lo
	s_mul_i32 s6, s5, s18
	s_mul_i32 s6, s6, s15
	v_cmpx_eq_u32_e32 0, v12
	s_cbranch_execz .LBB251_922
; %bb.921:
	s_ashr_i32 s7, s6, 31
	s_mul_i32 s12, s5, s12
	s_lshl_b64 s[22:23], s[6:7], 2
	s_ashr_i32 s13, s12, 31
	v_add_co_u32 v1, vcc_lo, v28, s22
	v_add_co_ci_u32_e64 v3, null, s23, v25, vcc_lo
	s_lshl_b64 s[12:13], s[12:13], 2
	s_ashr_i32 s15, s14, 31
	v_add_co_u32 v1, vcc_lo, v1, s12
	v_add_co_ci_u32_e64 v4, null, s13, v3, vcc_lo
	v_add_co_u32 v3, vcc_lo, v24, s22
	v_add_co_ci_u32_e64 v5, null, s23, v22, vcc_lo
	s_lshl_b64 s[22:23], s[14:15], 2
	v_add_co_u32 v6, vcc_lo, v3, s12
	v_add_co_ci_u32_e64 v7, null, s13, v5, vcc_lo
	v_add_co_u32 v3, vcc_lo, v1, s22
	v_add_co_ci_u32_e64 v4, null, s23, v4, vcc_lo
	v_add_co_u32 v5, vcc_lo, v6, s22
	v_add_co_ci_u32_e64 v6, null, s23, v7, vcc_lo
	flat_store_dword v[3:4], v0
	flat_store_dword v[5:6], v2
.LBB251_922:
	s_or_b32 exec_lo, exec_lo, s8
	s_and_saveexec_b32 s7, s4
	s_xor_b32 s4, exec_lo, s7
	s_cbranch_execz .LBB251_924
; %bb.923:
                                        ; implicit-def: $vgpr0
	s_ashr_i32 s17, s16, 31
                                        ; kill: killed $vgpr0
                                        ; implicit-def: $vgpr0
                                        ; implicit-def: $vgpr99
                                        ; implicit-def: $vgpr13
                                        ; implicit-def: $vgpr10
                                        ; implicit-def: $vgpr11
                                        ; implicit-def: $vgpr14
                                        ; implicit-def: $vgpr15
                                        ; implicit-def: $vgpr26_vgpr27
                                        ; implicit-def: $vgpr18
                                        ; implicit-def: $vgpr19
                                        ; implicit-def: $vgpr16_vgpr17
	buffer_store_dword v0, off, s[0:3], s32 offset:192 ; 4-byte Folded Spill
	buffer_store_dword v1, off, s[0:3], s32 offset:196 ; 4-byte Folded Spill
                                        ; implicit-def: $vgpr0
                                        ; kill: killed $vgpr0
.LBB251_924:
	s_or_saveexec_b32 s7, s4
	v_mov_b32_e32 v0, s16
	v_mov_b32_e32 v80, 0
	v_mov_b32_e32 v1, s17
	v_and_b32_e32 v86, 7, v12
	v_mov_b32_e32 v71, 0
	v_mov_b32_e32 v70, 0
	;; [unrolled: 1-line block ×27, first 2 shown]
	s_xor_b32 exec_lo, exec_lo, s7
	s_cbranch_execz .LBB251_1880
; %bb.925:
	buffer_store_dword v81, off, s[0:3], s32 offset:552 ; 4-byte Folded Spill
	buffer_store_dword v85, off, s[0:3], s32 offset:544 ; 4-byte Folded Spill
	;; [unrolled: 1-line block ×3, first 2 shown]
	flat_load_dword v81, v[26:27]
	s_clause 0x1
	buffer_load_dword v0, off, s[0:3], s32 offset:192
	buffer_load_dword v1, off, s[0:3], s32 offset:196
	v_add_co_u32 v3, vcc_lo, v10, v18
	v_add_co_ci_u32_e64 v4, null, v11, v19, vcc_lo
	buffer_load_dword v11, off, s[0:3], s32 offset:1168 ; 4-byte Folded Reload
	s_ashr_i32 s17, s16, 31
	s_getpc_b64 s[8:9]
	s_add_u32 s8, s8, llvm.amdgcn.dynlds.offset.table@rel32@lo+4
	s_addc_u32 s9, s9, llvm.amdgcn.dynlds.offset.table@rel32@hi+12
	s_lshl_b64 s[12:13], s[16:17], 2
	v_lshlrev_b32_e32 v2, 2, v12
	s_add_u32 s8, s8, s12
	s_addc_u32 s9, s9, s13
	v_lshlrev_b32_e32 v6, 4, v86
	s_load_dword s4, s[8:9], 0x0
	v_and_b32_e32 v8, 28, v2
	v_and_b32_e32 v2, 0x7c, v2
	v_add_nc_u32_e32 v94, -1, v13
	v_mov_b32_e32 v7, 0
	v_mov_b32_e32 v83, 0x80
	v_bfrev_b32_e32 v9, 1
	v_mov_b32_e32 v13, 0x7f800001
	v_mov_b32_e32 v85, 0xff
	;; [unrolled: 1-line block ×30, first 2 shown]
	s_mov_b32 s8, 0
	buffer_store_dword v86, off, s[0:3], s32 offset:560 ; 4-byte Folded Spill
	s_waitcnt vmcnt(3) lgkmcnt(0)
	v_mov_b32_e32 v98, v81
	s_waitcnt vmcnt(1)
	v_lshlrev_b64 v[0:1], 2, v[0:1]
	s_waitcnt vmcnt(0)
	v_lshl_add_u32 v5, v11, 5, s20
	v_add_co_u32 v0, vcc_lo, v16, v0
	v_lshl_or_b32 v6, v11, 7, v6
	v_add_co_ci_u32_e64 v1, null, v17, v1, vcc_lo
	v_add_co_u32 v2, vcc_lo, v3, v2
	v_add_co_ci_u32_e64 v3, null, 0, v4, vcc_lo
	v_add_co_u32 v14, vcc_lo, v14, v0
	v_add3_u32 v96, v5, v8, 3
	v_add_co_ci_u32_e64 v15, null, v15, v1, vcc_lo
	v_add_nc_u32_e32 v97, s4, v6
	buffer_store_dword v2, off, s[0:3], s32 offset:528 ; 4-byte Folded Spill
	buffer_store_dword v3, off, s[0:3], s32 offset:532 ; 4-byte Folded Spill
	s_branch .LBB251_927
.LBB251_926:                            ;   in Loop: Header=BB251_927 Depth=1
	s_or_b32 exec_lo, exec_lo, s4
	v_mul_f32_e32 v12, v1, v91
	v_add_co_u32 v14, vcc_lo, v14, 16
	v_add_co_ci_u32_e64 v15, null, 0, v15, vcc_lo
	v_fmac_f32_e32 v12, v0, v90
	v_add_nc_u32_e32 v96, 0x80, v96
	v_add_nc_u32_e32 v97, 0x200, v97
	v_fmac_f32_e32 v12, v2, v23
	v_fmac_f32_e32 v12, v3, v22
	v_add_f32_e32 v30, v30, v12
	v_mul_f32_e32 v12, v1, v89
	v_fmac_f32_e32 v12, v0, v88
	v_fmac_f32_e32 v12, v2, v79
	v_fmac_f32_e32 v12, v3, v78
	v_add_f32_e32 v31, v31, v12
	v_mul_f32_e32 v12, v1, v77
	v_fmac_f32_e32 v12, v0, v76
	;; [unrolled: 5-line block ×10, first 2 shown]
	v_fmac_f32_e32 v12, v2, v10
	buffer_load_dword v10, off, s[0:3], s32 offset:520 ; 4-byte Folded Reload
	v_fmac_f32_e32 v12, v3, v26
	v_add_f32_e32 v48, v48, v12
	v_mul_f32_e32 v12, v1, v27
	v_fmac_f32_e32 v12, v0, v11
	v_mul_f32_e32 v11, v1, v82
	v_fmac_f32_e32 v12, v2, v25
	v_fmac_f32_e32 v11, v0, v28
	;; [unrolled: 1-line block ×4, first 2 shown]
	v_add_f32_e32 v49, v49, v12
	v_fmac_f32_e32 v11, v3, v126
	v_add_f32_e32 v50, v50, v11
	v_mul_f32_e32 v11, v1, v125
	v_fmac_f32_e32 v11, v0, v124
	v_fmac_f32_e32 v11, v2, v123
	v_fmac_f32_e32 v11, v3, v122
	v_add_f32_e32 v51, v51, v11
	v_mul_f32_e32 v11, v1, v120
	v_fmac_f32_e32 v11, v0, v121
	v_fmac_f32_e32 v11, v2, v111
	;; [unrolled: 5-line block ×4, first 2 shown]
	s_waitcnt vmcnt(0)
	v_fmac_f32_e32 v11, v3, v10
	buffer_load_dword v10, off, s[0:3], s32 offset:512 ; 4-byte Folded Reload
	v_add_f32_e32 v54, v54, v11
	s_waitcnt vmcnt(0)
	v_mul_f32_e32 v11, v1, v10
	buffer_load_dword v10, off, s[0:3], s32 offset:504 ; 4-byte Folded Reload
	s_waitcnt vmcnt(0)
	v_fmac_f32_e32 v11, v0, v10
	buffer_load_dword v10, off, s[0:3], s32 offset:496 ; 4-byte Folded Reload
	s_waitcnt vmcnt(0)
	v_fmac_f32_e32 v11, v2, v10
	buffer_load_dword v10, off, s[0:3], s32 offset:488 ; 4-byte Folded Reload
	s_waitcnt vmcnt(0)
	v_fmac_f32_e32 v11, v3, v10
	buffer_load_dword v10, off, s[0:3], s32 offset:480 ; 4-byte Folded Reload
	v_add_f32_e32 v55, v55, v11
	s_waitcnt vmcnt(0)
	v_mul_f32_e32 v11, v1, v10
	buffer_load_dword v10, off, s[0:3], s32 offset:472 ; 4-byte Folded Reload
	s_waitcnt vmcnt(0)
	v_fmac_f32_e32 v11, v0, v10
	buffer_load_dword v10, off, s[0:3], s32 offset:464 ; 4-byte Folded Reload
	s_waitcnt vmcnt(0)
	v_fmac_f32_e32 v11, v2, v10
	buffer_load_dword v10, off, s[0:3], s32 offset:456 ; 4-byte Folded Reload
	;; [unrolled: 13-line block ×9, first 2 shown]
	s_waitcnt vmcnt(0)
	v_fmac_f32_e32 v11, v3, v10
	buffer_load_dword v10, off, s[0:3], s32 offset:216 ; 4-byte Folded Reload
	v_add_f32_e32 v71, v71, v11
	s_waitcnt vmcnt(0)
	v_mul_f32_e32 v11, v1, v10
	buffer_load_dword v10, off, s[0:3], s32 offset:224 ; 4-byte Folded Reload
	v_mul_f32_e32 v1, v1, v8
	v_fmac_f32_e32 v1, v0, v6
	v_fmac_f32_e32 v1, v2, v5
	;; [unrolled: 1-line block ×3, first 2 shown]
	v_add_f32_e32 v29, v29, v1
	s_waitcnt vmcnt(0)
	v_fmac_f32_e32 v11, v0, v10
	buffer_load_dword v10, off, s[0:3], s32 offset:208 ; 4-byte Folded Reload
	s_waitcnt vmcnt(0)
	v_fmac_f32_e32 v11, v2, v10
	s_clause 0x2
	buffer_load_dword v10, off, s[0:3], s32 offset:200
	buffer_load_dword v0, off, s[0:3], s32 offset:192
	;; [unrolled: 1-line block ×3, first 2 shown]
	s_waitcnt vmcnt(0)
	v_mov_b32_e32 v1, v0
	v_fmac_f32_e32 v11, v3, v10
	v_add_nc_u32_e32 v1, 4, v1
	v_add_f32_e32 v80, v80, v11
	v_mov_b32_e32 v0, v1
	buffer_store_dword v0, off, s[0:3], s32 offset:192 ; 4-byte Folded Spill
	buffer_store_dword v1, off, s[0:3], s32 offset:196 ; 4-byte Folded Spill
	buffer_load_dword v0, off, s[0:3], s32 offset:656 ; 4-byte Folded Reload
	s_waitcnt vmcnt(0)
	v_cmp_ge_i32_e32 vcc_lo, v1, v0
	s_or_b32 s8, vcc_lo, s8
	s_andn2_b32 exec_lo, exec_lo, s8
	s_cbranch_execz .LBB251_1879
.LBB251_927:                            ; =>This Inner Loop Header: Depth=1
	flat_load_dword v0, v[14:15]
	s_clause 0x2
	buffer_load_dword v1, off, s[0:3], s32 offset:652
	buffer_load_dword v2, off, s[0:3], s32 offset:528
	;; [unrolled: 1-line block ×3, first 2 shown]
	v_mov_b32_e32 v18, 0
	v_mov_b32_e32 v16, 0
	v_mov_b32_e32 v19, 0
	v_mov_b32_e32 v17, 0
	s_waitcnt vmcnt(0) lgkmcnt(0)
	v_mad_i64_i32 v[4:5], null, v0, v1, v[2:3]
	ds_read_b128 v[0:3], v97
	flat_load_dword v11, v[4:5]
	s_waitcnt vmcnt(0) lgkmcnt(0)
	v_cmp_ne_u16_sdwa s9, v11, v7 src0_sel:BYTE_0 src1_sel:DWORD
	s_and_saveexec_b32 s4, s9
	s_cbranch_execz .LBB251_935
; %bb.928:                              ;   in Loop: Header=BB251_927 Depth=1
	v_bfrev_b32_e32 v16, 1
	v_mov_b32_e32 v17, 0
	v_cmp_ne_u16_sdwa s11, v11, v83 src0_sel:BYTE_0 src1_sel:DWORD
	s_and_saveexec_b32 s9, s11
	s_cbranch_execz .LBB251_934
; %bb.929:                              ;   in Loop: Header=BB251_927 Depth=1
	v_mov_b32_e32 v16, 0x7f800001
	v_and_b32_e32 v12, 0x7f, v11
	v_mov_b32_e32 v17, 0
	s_mov_b32 s11, exec_lo
	v_cmpx_ne_u32_e32 0x7f, v12
	s_cbranch_execz .LBB251_933
; %bb.930:                              ;   in Loop: Header=BB251_927 Depth=1
	v_and_b32_e32 v6, 7, v11
	v_lshrrev_b32_e32 v8, 3, v12
	s_mov_b32 s12, exec_lo
	v_cmpx_gt_u32_e32 8, v12
; %bb.931:                              ;   in Loop: Header=BB251_927 Depth=1
	v_ffbh_u32_e32 v8, v6
	v_min_u32_e32 v8, 32, v8
	v_subrev_nc_u32_e32 v12, 28, v8
	v_sub_nc_u32_e32 v8, 29, v8
	v_lshlrev_b64 v[16:17], v12, v[6:7]
	v_and_b32_e32 v6, 7, v16
; %bb.932:                              ;   in Loop: Header=BB251_927 Depth=1
	s_or_b32 exec_lo, exec_lo, s12
	v_lshlrev_b32_e32 v12, 24, v11
	v_lshlrev_b32_e32 v6, 20, v6
	v_lshl_add_u32 v8, v8, 23, 0x3c000000
	v_and_b32_e32 v12, 0x80000000, v12
	v_or3_b32 v6, v6, v12, v8
	v_mov_b32_e32 v17, v7
	v_mov_b32_e32 v16, v6
.LBB251_933:                            ;   in Loop: Header=BB251_927 Depth=1
	s_or_b32 exec_lo, exec_lo, s11
.LBB251_934:                            ;   in Loop: Header=BB251_927 Depth=1
	s_or_b32 exec_lo, exec_lo, s9
.LBB251_935:                            ;   in Loop: Header=BB251_927 Depth=1
	s_or_b32 exec_lo, exec_lo, s4
	v_cmp_ne_u16_sdwa s9, v11, v7 src0_sel:BYTE_1 src1_sel:DWORD
	s_and_saveexec_b32 s4, s9
	s_cbranch_execz .LBB251_943
; %bb.936:                              ;   in Loop: Header=BB251_927 Depth=1
	v_mov_b32_e32 v8, v7
	v_mov_b32_e32 v19, v9
	v_cmp_ne_u16_sdwa s11, v11, v83 src0_sel:BYTE_1 src1_sel:DWORD
	v_mov_b32_e32 v18, v8
	s_and_saveexec_b32 s9, s11
	s_cbranch_execz .LBB251_942
; %bb.937:                              ;   in Loop: Header=BB251_927 Depth=1
	v_mov_b32_e32 v6, 0xffff
	v_mov_b32_e32 v12, v7
	;; [unrolled: 1-line block ×3, first 2 shown]
	s_mov_b32 s11, exec_lo
	v_and_b32_sdwa v6, v6, v11 dst_sel:DWORD dst_unused:UNUSED_PAD src0_sel:DWORD src1_sel:BYTE_1
	v_mov_b32_e32 v18, v12
	v_and_b32_e32 v20, 0x7f, v6
	v_cmpx_ne_u32_e32 0x7f, v20
	s_cbranch_execz .LBB251_941
; %bb.938:                              ;   in Loop: Header=BB251_927 Depth=1
	v_and_b32_e32 v6, 7, v6
	v_lshrrev_b32_e32 v8, 3, v20
	s_mov_b32 s12, exec_lo
	v_cmpx_gt_u32_e32 8, v20
; %bb.939:                              ;   in Loop: Header=BB251_927 Depth=1
	v_ffbh_u32_e32 v8, v6
	v_min_u32_e32 v8, 32, v8
	v_subrev_nc_u32_e32 v12, 28, v8
	v_sub_nc_u32_e32 v8, 29, v8
	v_lshlrev_b64 v[18:19], v12, v[6:7]
	v_and_b32_e32 v6, 7, v18
; %bb.940:                              ;   in Loop: Header=BB251_927 Depth=1
	s_or_b32 exec_lo, exec_lo, s12
	v_lshlrev_b32_e32 v12, 16, v11
	v_lshlrev_b32_e32 v6, 20, v6
	v_lshl_add_u32 v8, v8, 23, 0x3c000000
	v_mov_b32_e32 v18, v7
	v_and_b32_e32 v12, 0x80000000, v12
	v_or3_b32 v19, v6, v12, v8
.LBB251_941:                            ;   in Loop: Header=BB251_927 Depth=1
	s_or_b32 exec_lo, exec_lo, s11
.LBB251_942:                            ;   in Loop: Header=BB251_927 Depth=1
	s_or_b32 exec_lo, exec_lo, s9
.LBB251_943:                            ;   in Loop: Header=BB251_927 Depth=1
	s_or_b32 exec_lo, exec_lo, s4
	v_mov_b32_e32 v22, 0
	v_mov_b32_e32 v20, 0
	v_and_b32_sdwa v6, v11, v85 dst_sel:DWORD dst_unused:UNUSED_PAD src0_sel:WORD_1 src1_sel:DWORD
	v_mov_b32_e32 v23, 0
	v_mov_b32_e32 v21, 0
	s_mov_b32 s4, exec_lo
	v_cmpx_ne_u16_e32 0, v6
	s_cbranch_execz .LBB251_951
; %bb.944:                              ;   in Loop: Header=BB251_927 Depth=1
	v_bfrev_b32_e32 v20, 1
	v_mov_b32_e32 v21, 0
	s_mov_b32 s9, exec_lo
	v_cmpx_ne_u16_e32 0x80, v6
	s_cbranch_execz .LBB251_950
; %bb.945:                              ;   in Loop: Header=BB251_927 Depth=1
	v_mov_b32_e32 v20, 0x7f800001
	v_bfe_u32 v12, v11, 16, 7
	v_mov_b32_e32 v21, 0
	s_mov_b32 s11, exec_lo
	v_cmpx_ne_u32_e32 0x7f, v12
	s_cbranch_execz .LBB251_949
; %bb.946:                              ;   in Loop: Header=BB251_927 Depth=1
	v_mov_b32_e32 v6, 7
	v_lshrrev_b32_e32 v8, 3, v12
	s_mov_b32 s12, exec_lo
	v_and_b32_sdwa v6, v11, v6 dst_sel:DWORD dst_unused:UNUSED_PAD src0_sel:WORD_1 src1_sel:DWORD
	v_cmpx_gt_u32_e32 8, v12
; %bb.947:                              ;   in Loop: Header=BB251_927 Depth=1
	v_ffbh_u32_e32 v8, v6
	v_min_u32_e32 v8, 32, v8
	v_subrev_nc_u32_e32 v12, 28, v8
	v_sub_nc_u32_e32 v8, 29, v8
	v_lshlrev_b64 v[20:21], v12, v[6:7]
	v_and_b32_e32 v6, 7, v20
; %bb.948:                              ;   in Loop: Header=BB251_927 Depth=1
	s_or_b32 exec_lo, exec_lo, s12
	v_mov_b32_e32 v10, 24
	v_lshlrev_b32_e32 v6, 20, v6
	v_lshl_add_u32 v8, v8, 23, 0x3c000000
	v_lshlrev_b32_sdwa v12, v10, v11 dst_sel:DWORD dst_unused:UNUSED_PAD src0_sel:DWORD src1_sel:WORD_1
	v_and_b32_e32 v12, 0x80000000, v12
	v_or3_b32 v6, v6, v12, v8
	v_mov_b32_e32 v21, v7
	v_mov_b32_e32 v20, v6
.LBB251_949:                            ;   in Loop: Header=BB251_927 Depth=1
	s_or_b32 exec_lo, exec_lo, s11
.LBB251_950:                            ;   in Loop: Header=BB251_927 Depth=1
	s_or_b32 exec_lo, exec_lo, s9
.LBB251_951:                            ;   in Loop: Header=BB251_927 Depth=1
	s_or_b32 exec_lo, exec_lo, s4
	s_mov_b32 s4, exec_lo
	v_cmpx_lt_u32_e32 0xffffff, v11
	s_cbranch_execz .LBB251_959
; %bb.952:                              ;   in Loop: Header=BB251_927 Depth=1
	v_mov_b32_e32 v8, v7
	v_mov_b32_e32 v23, v9
	v_cmp_ne_u32_sdwa s11, v11, v83 src0_sel:BYTE_3 src1_sel:DWORD
	v_mov_b32_e32 v22, v8
	s_and_saveexec_b32 s9, s11
	s_cbranch_execz .LBB251_958
; %bb.953:                              ;   in Loop: Header=BB251_927 Depth=1
	v_mov_b32_e32 v12, v7
	v_mov_b32_e32 v23, v13
	v_bfe_u32 v24, v11, 24, 7
	s_mov_b32 s11, exec_lo
	v_mov_b32_e32 v22, v12
	v_cmpx_ne_u32_e32 0x7f, v24
	s_cbranch_execz .LBB251_957
; %bb.954:                              ;   in Loop: Header=BB251_927 Depth=1
	v_mov_b32_e32 v6, 7
	v_lshrrev_b32_e32 v8, 3, v24
	s_mov_b32 s12, exec_lo
	v_and_b32_sdwa v6, v11, v6 dst_sel:DWORD dst_unused:UNUSED_PAD src0_sel:BYTE_3 src1_sel:DWORD
	v_cmpx_gt_u32_e32 8, v24
; %bb.955:                              ;   in Loop: Header=BB251_927 Depth=1
	v_ffbh_u32_e32 v8, v6
	v_min_u32_e32 v8, 32, v8
	v_subrev_nc_u32_e32 v12, 28, v8
	v_sub_nc_u32_e32 v8, 29, v8
	v_lshlrev_b64 v[22:23], v12, v[6:7]
	v_and_b32_e32 v6, 7, v22
; %bb.956:                              ;   in Loop: Header=BB251_927 Depth=1
	s_or_b32 exec_lo, exec_lo, s12
	v_mov_b32_e32 v10, 24
	v_lshlrev_b32_e32 v6, 20, v6
	v_lshl_add_u32 v8, v8, 23, 0x3c000000
	v_mov_b32_e32 v22, v7
	v_lshlrev_b32_sdwa v11, v10, v11 dst_sel:DWORD dst_unused:UNUSED_PAD src0_sel:DWORD src1_sel:BYTE_3
	v_and_b32_e32 v11, 0x80000000, v11
	v_or3_b32 v23, v6, v11, v8
.LBB251_957:                            ;   in Loop: Header=BB251_927 Depth=1
	s_or_b32 exec_lo, exec_lo, s11
.LBB251_958:                            ;   in Loop: Header=BB251_927 Depth=1
	s_or_b32 exec_lo, exec_lo, s9
.LBB251_959:                            ;   in Loop: Header=BB251_927 Depth=1
	s_or_b32 exec_lo, exec_lo, s4
	v_or_b32_e32 v6, v19, v17
	v_or_b32_e32 v8, v18, v16
	s_clause 0x1
	buffer_load_dword v16, off, s[0:3], s32 offset:192
	buffer_load_dword v17, off, s[0:3], s32 offset:196
	v_or_b32_e32 v11, v22, v20
	v_or_b32_e32 v12, v23, v21
	v_mul_f32_e32 v6, v98, v6
	v_add_nc_u32_e32 v115, -3, v96
	v_add_nc_u32_e32 v117, -2, v96
	;; [unrolled: 1-line block ×3, first 2 shown]
	buffer_store_dword v6, off, s[0:3], s32 offset:216 ; 4-byte Folded Spill
	v_mul_f32_e32 v6, v81, v8
	buffer_store_dword v6, off, s[0:3], s32 offset:224 ; 4-byte Folded Spill
	v_mul_f32_e32 v6, v81, v11
	;; [unrolled: 2-line block ×3, first 2 shown]
	buffer_store_dword v6, off, s[0:3], s32 offset:200 ; 4-byte Folded Spill
	s_waitcnt vmcnt(1)
	v_cmp_eq_u32_e32 vcc_lo, v94, v16
	s_and_saveexec_b32 s9, vcc_lo
	s_cbranch_execz .LBB251_961
; %bb.960:                              ;   in Loop: Header=BB251_927 Depth=1
	buffer_load_dword v6, off, s[0:3], s32 offset:224 ; 4-byte Folded Reload
	v_cmp_lt_i32_e64 s4, v115, v99
	s_waitcnt vmcnt(0)
	v_cndmask_b32_e64 v6, 0, v6, s4
	v_cmp_lt_i32_e64 s4, v117, v99
	buffer_store_dword v6, off, s[0:3], s32 offset:224 ; 4-byte Folded Spill
	buffer_load_dword v6, off, s[0:3], s32 offset:216 ; 4-byte Folded Reload
	s_waitcnt vmcnt(0)
	v_cndmask_b32_e64 v6, 0, v6, s4
	v_cmp_lt_i32_e64 s4, v116, v99
	buffer_store_dword v6, off, s[0:3], s32 offset:216 ; 4-byte Folded Spill
	buffer_load_dword v6, off, s[0:3], s32 offset:208 ; 4-byte Folded Reload
	;; [unrolled: 5-line block ×3, first 2 shown]
	s_waitcnt vmcnt(0)
	v_cndmask_b32_e64 v6, 0, v6, s4
	buffer_store_dword v6, off, s[0:3], s32 offset:200 ; 4-byte Folded Spill
.LBB251_961:                            ;   in Loop: Header=BB251_927 Depth=1
	s_or_b32 exec_lo, exec_lo, s9
	flat_load_dword v11, v[4:5] offset:128
	v_mov_b32_e32 v18, 0
	s_waitcnt vmcnt(1)
	v_mov_b32_e32 v16, 0
	v_mov_b32_e32 v19, 0
	;; [unrolled: 1-line block ×3, first 2 shown]
	s_waitcnt vmcnt(0) lgkmcnt(0)
	v_cmp_ne_u16_sdwa s4, v11, v7 src0_sel:BYTE_0 src1_sel:DWORD
	s_and_saveexec_b32 s9, s4
	s_cbranch_execz .LBB251_969
; %bb.962:                              ;   in Loop: Header=BB251_927 Depth=1
	v_bfrev_b32_e32 v16, 1
	v_mov_b32_e32 v17, 0
	v_cmp_ne_u16_sdwa s4, v11, v83 src0_sel:BYTE_0 src1_sel:DWORD
	s_and_saveexec_b32 s11, s4
	s_cbranch_execz .LBB251_968
; %bb.963:                              ;   in Loop: Header=BB251_927 Depth=1
	v_mov_b32_e32 v16, 0x7f800001
	v_and_b32_e32 v12, 0x7f, v11
	v_mov_b32_e32 v17, 0
	s_mov_b32 s12, exec_lo
	v_cmpx_ne_u32_e32 0x7f, v12
	s_cbranch_execz .LBB251_967
; %bb.964:                              ;   in Loop: Header=BB251_927 Depth=1
	v_and_b32_e32 v6, 7, v11
	v_lshrrev_b32_e32 v8, 3, v12
	s_mov_b32 s13, exec_lo
	v_cmpx_gt_u32_e32 8, v12
; %bb.965:                              ;   in Loop: Header=BB251_927 Depth=1
	v_ffbh_u32_e32 v8, v6
	v_min_u32_e32 v8, 32, v8
	v_subrev_nc_u32_e32 v12, 28, v8
	v_sub_nc_u32_e32 v8, 29, v8
	v_lshlrev_b64 v[16:17], v12, v[6:7]
	v_and_b32_e32 v6, 7, v16
; %bb.966:                              ;   in Loop: Header=BB251_927 Depth=1
	s_or_b32 exec_lo, exec_lo, s13
	v_lshlrev_b32_e32 v12, 24, v11
	v_lshlrev_b32_e32 v6, 20, v6
	v_lshl_add_u32 v8, v8, 23, 0x3c000000
	v_and_b32_e32 v12, 0x80000000, v12
	v_or3_b32 v6, v6, v12, v8
	v_mov_b32_e32 v17, v7
	v_mov_b32_e32 v16, v6
.LBB251_967:                            ;   in Loop: Header=BB251_927 Depth=1
	s_or_b32 exec_lo, exec_lo, s12
.LBB251_968:                            ;   in Loop: Header=BB251_927 Depth=1
	s_or_b32 exec_lo, exec_lo, s11
.LBB251_969:                            ;   in Loop: Header=BB251_927 Depth=1
	s_or_b32 exec_lo, exec_lo, s9
	v_cmp_ne_u16_sdwa s4, v11, v7 src0_sel:BYTE_1 src1_sel:DWORD
	s_and_saveexec_b32 s9, s4
	s_cbranch_execz .LBB251_977
; %bb.970:                              ;   in Loop: Header=BB251_927 Depth=1
	v_mov_b32_e32 v8, v7
	v_mov_b32_e32 v19, v9
	v_cmp_ne_u16_sdwa s4, v11, v83 src0_sel:BYTE_1 src1_sel:DWORD
	v_mov_b32_e32 v18, v8
	s_and_saveexec_b32 s11, s4
	s_cbranch_execz .LBB251_976
; %bb.971:                              ;   in Loop: Header=BB251_927 Depth=1
	v_mov_b32_e32 v6, 0xffff
	v_mov_b32_e32 v12, v7
	v_mov_b32_e32 v19, v13
	s_mov_b32 s12, exec_lo
	v_and_b32_sdwa v6, v6, v11 dst_sel:DWORD dst_unused:UNUSED_PAD src0_sel:DWORD src1_sel:BYTE_1
	v_mov_b32_e32 v18, v12
	v_and_b32_e32 v20, 0x7f, v6
	v_cmpx_ne_u32_e32 0x7f, v20
	s_cbranch_execz .LBB251_975
; %bb.972:                              ;   in Loop: Header=BB251_927 Depth=1
	v_and_b32_e32 v6, 7, v6
	v_lshrrev_b32_e32 v8, 3, v20
	s_mov_b32 s13, exec_lo
	v_cmpx_gt_u32_e32 8, v20
; %bb.973:                              ;   in Loop: Header=BB251_927 Depth=1
	v_ffbh_u32_e32 v8, v6
	v_min_u32_e32 v8, 32, v8
	v_subrev_nc_u32_e32 v12, 28, v8
	v_sub_nc_u32_e32 v8, 29, v8
	v_lshlrev_b64 v[18:19], v12, v[6:7]
	v_and_b32_e32 v6, 7, v18
; %bb.974:                              ;   in Loop: Header=BB251_927 Depth=1
	s_or_b32 exec_lo, exec_lo, s13
	v_lshlrev_b32_e32 v12, 16, v11
	v_lshlrev_b32_e32 v6, 20, v6
	v_lshl_add_u32 v8, v8, 23, 0x3c000000
	v_mov_b32_e32 v18, v7
	v_and_b32_e32 v12, 0x80000000, v12
	v_or3_b32 v19, v6, v12, v8
.LBB251_975:                            ;   in Loop: Header=BB251_927 Depth=1
	s_or_b32 exec_lo, exec_lo, s12
.LBB251_976:                            ;   in Loop: Header=BB251_927 Depth=1
	s_or_b32 exec_lo, exec_lo, s11
.LBB251_977:                            ;   in Loop: Header=BB251_927 Depth=1
	s_or_b32 exec_lo, exec_lo, s9
	v_mov_b32_e32 v22, 0
	v_mov_b32_e32 v20, 0
	v_and_b32_sdwa v6, v11, v85 dst_sel:DWORD dst_unused:UNUSED_PAD src0_sel:WORD_1 src1_sel:DWORD
	v_mov_b32_e32 v23, 0
	v_mov_b32_e32 v21, 0
	s_mov_b32 s9, exec_lo
	v_cmpx_ne_u16_e32 0, v6
	s_cbranch_execz .LBB251_985
; %bb.978:                              ;   in Loop: Header=BB251_927 Depth=1
	v_bfrev_b32_e32 v20, 1
	v_mov_b32_e32 v21, 0
	s_mov_b32 s11, exec_lo
	v_cmpx_ne_u16_e32 0x80, v6
	s_cbranch_execz .LBB251_984
; %bb.979:                              ;   in Loop: Header=BB251_927 Depth=1
	v_mov_b32_e32 v20, 0x7f800001
	v_bfe_u32 v12, v11, 16, 7
	v_mov_b32_e32 v21, 0
	s_mov_b32 s12, exec_lo
	v_cmpx_ne_u32_e32 0x7f, v12
	s_cbranch_execz .LBB251_983
; %bb.980:                              ;   in Loop: Header=BB251_927 Depth=1
	v_mov_b32_e32 v6, 7
	v_lshrrev_b32_e32 v8, 3, v12
	s_mov_b32 s13, exec_lo
	v_and_b32_sdwa v6, v11, v6 dst_sel:DWORD dst_unused:UNUSED_PAD src0_sel:WORD_1 src1_sel:DWORD
	v_cmpx_gt_u32_e32 8, v12
; %bb.981:                              ;   in Loop: Header=BB251_927 Depth=1
	v_ffbh_u32_e32 v8, v6
	v_min_u32_e32 v8, 32, v8
	v_subrev_nc_u32_e32 v12, 28, v8
	v_sub_nc_u32_e32 v8, 29, v8
	v_lshlrev_b64 v[20:21], v12, v[6:7]
	v_and_b32_e32 v6, 7, v20
; %bb.982:                              ;   in Loop: Header=BB251_927 Depth=1
	s_or_b32 exec_lo, exec_lo, s13
	v_mov_b32_e32 v10, 24
	v_lshlrev_b32_e32 v6, 20, v6
	v_lshl_add_u32 v8, v8, 23, 0x3c000000
	v_lshlrev_b32_sdwa v12, v10, v11 dst_sel:DWORD dst_unused:UNUSED_PAD src0_sel:DWORD src1_sel:WORD_1
	v_and_b32_e32 v12, 0x80000000, v12
	v_or3_b32 v6, v6, v12, v8
	v_mov_b32_e32 v21, v7
	v_mov_b32_e32 v20, v6
.LBB251_983:                            ;   in Loop: Header=BB251_927 Depth=1
	s_or_b32 exec_lo, exec_lo, s12
.LBB251_984:                            ;   in Loop: Header=BB251_927 Depth=1
	s_or_b32 exec_lo, exec_lo, s11
.LBB251_985:                            ;   in Loop: Header=BB251_927 Depth=1
	s_or_b32 exec_lo, exec_lo, s9
	s_mov_b32 s9, exec_lo
	v_cmpx_lt_u32_e32 0xffffff, v11
	s_cbranch_execz .LBB251_993
; %bb.986:                              ;   in Loop: Header=BB251_927 Depth=1
	v_mov_b32_e32 v8, v7
	v_mov_b32_e32 v23, v9
	v_cmp_ne_u32_sdwa s4, v11, v83 src0_sel:BYTE_3 src1_sel:DWORD
	v_mov_b32_e32 v22, v8
	s_and_saveexec_b32 s11, s4
	s_cbranch_execz .LBB251_992
; %bb.987:                              ;   in Loop: Header=BB251_927 Depth=1
	v_mov_b32_e32 v12, v7
	v_mov_b32_e32 v23, v13
	v_bfe_u32 v24, v11, 24, 7
	s_mov_b32 s12, exec_lo
	v_mov_b32_e32 v22, v12
	v_cmpx_ne_u32_e32 0x7f, v24
	s_cbranch_execz .LBB251_991
; %bb.988:                              ;   in Loop: Header=BB251_927 Depth=1
	v_mov_b32_e32 v6, 7
	v_lshrrev_b32_e32 v8, 3, v24
	s_mov_b32 s13, exec_lo
	v_and_b32_sdwa v6, v11, v6 dst_sel:DWORD dst_unused:UNUSED_PAD src0_sel:BYTE_3 src1_sel:DWORD
	v_cmpx_gt_u32_e32 8, v24
; %bb.989:                              ;   in Loop: Header=BB251_927 Depth=1
	v_ffbh_u32_e32 v8, v6
	v_min_u32_e32 v8, 32, v8
	v_subrev_nc_u32_e32 v12, 28, v8
	v_sub_nc_u32_e32 v8, 29, v8
	v_lshlrev_b64 v[22:23], v12, v[6:7]
	v_and_b32_e32 v6, 7, v22
; %bb.990:                              ;   in Loop: Header=BB251_927 Depth=1
	s_or_b32 exec_lo, exec_lo, s13
	v_mov_b32_e32 v10, 24
	v_lshlrev_b32_e32 v6, 20, v6
	v_lshl_add_u32 v8, v8, 23, 0x3c000000
	v_mov_b32_e32 v22, v7
	v_lshlrev_b32_sdwa v11, v10, v11 dst_sel:DWORD dst_unused:UNUSED_PAD src0_sel:DWORD src1_sel:BYTE_3
	v_and_b32_e32 v11, 0x80000000, v11
	v_or3_b32 v23, v6, v11, v8
.LBB251_991:                            ;   in Loop: Header=BB251_927 Depth=1
	s_or_b32 exec_lo, exec_lo, s12
.LBB251_992:                            ;   in Loop: Header=BB251_927 Depth=1
	s_or_b32 exec_lo, exec_lo, s11
.LBB251_993:                            ;   in Loop: Header=BB251_927 Depth=1
	s_or_b32 exec_lo, exec_lo, s9
	v_or_b32_e32 v6, v19, v17
	v_or_b32_e32 v8, v18, v16
	;; [unrolled: 1-line block ×4, first 2 shown]
	v_mul_f32_e32 v6, v98, v6
	buffer_store_dword v6, off, s[0:3], s32 offset:248 ; 4-byte Folded Spill
	v_mul_f32_e32 v6, v81, v8
	buffer_store_dword v6, off, s[0:3], s32 offset:256 ; 4-byte Folded Spill
	;; [unrolled: 2-line block ×4, first 2 shown]
	s_and_saveexec_b32 s9, vcc_lo
	s_cbranch_execz .LBB251_995
; %bb.994:                              ;   in Loop: Header=BB251_927 Depth=1
	buffer_load_dword v6, off, s[0:3], s32 offset:256 ; 4-byte Folded Reload
	v_cmp_lt_i32_e64 s4, v115, v99
	s_waitcnt vmcnt(0)
	v_cndmask_b32_e64 v6, 0, v6, s4
	v_cmp_lt_i32_e64 s4, v117, v99
	buffer_store_dword v6, off, s[0:3], s32 offset:256 ; 4-byte Folded Spill
	buffer_load_dword v6, off, s[0:3], s32 offset:248 ; 4-byte Folded Reload
	s_waitcnt vmcnt(0)
	v_cndmask_b32_e64 v6, 0, v6, s4
	v_cmp_lt_i32_e64 s4, v116, v99
	buffer_store_dword v6, off, s[0:3], s32 offset:248 ; 4-byte Folded Spill
	buffer_load_dword v6, off, s[0:3], s32 offset:240 ; 4-byte Folded Reload
	;; [unrolled: 5-line block ×3, first 2 shown]
	s_waitcnt vmcnt(0)
	v_cndmask_b32_e64 v6, 0, v6, s4
	buffer_store_dword v6, off, s[0:3], s32 offset:232 ; 4-byte Folded Spill
.LBB251_995:                            ;   in Loop: Header=BB251_927 Depth=1
	s_or_b32 exec_lo, exec_lo, s9
	flat_load_dword v11, v[4:5] offset:256
	v_mov_b32_e32 v18, 0
	v_mov_b32_e32 v16, 0
	;; [unrolled: 1-line block ×4, first 2 shown]
	s_waitcnt vmcnt(0) lgkmcnt(0)
	v_cmp_ne_u16_sdwa s4, v11, v7 src0_sel:BYTE_0 src1_sel:DWORD
	s_and_saveexec_b32 s9, s4
	s_cbranch_execz .LBB251_1003
; %bb.996:                              ;   in Loop: Header=BB251_927 Depth=1
	v_bfrev_b32_e32 v16, 1
	v_mov_b32_e32 v17, 0
	v_cmp_ne_u16_sdwa s4, v11, v83 src0_sel:BYTE_0 src1_sel:DWORD
	s_and_saveexec_b32 s11, s4
	s_cbranch_execz .LBB251_1002
; %bb.997:                              ;   in Loop: Header=BB251_927 Depth=1
	v_mov_b32_e32 v16, 0x7f800001
	v_and_b32_e32 v12, 0x7f, v11
	v_mov_b32_e32 v17, 0
	s_mov_b32 s12, exec_lo
	v_cmpx_ne_u32_e32 0x7f, v12
	s_cbranch_execz .LBB251_1001
; %bb.998:                              ;   in Loop: Header=BB251_927 Depth=1
	v_and_b32_e32 v6, 7, v11
	v_lshrrev_b32_e32 v8, 3, v12
	s_mov_b32 s13, exec_lo
	v_cmpx_gt_u32_e32 8, v12
; %bb.999:                              ;   in Loop: Header=BB251_927 Depth=1
	v_ffbh_u32_e32 v8, v6
	v_min_u32_e32 v8, 32, v8
	v_subrev_nc_u32_e32 v12, 28, v8
	v_sub_nc_u32_e32 v8, 29, v8
	v_lshlrev_b64 v[16:17], v12, v[6:7]
	v_and_b32_e32 v6, 7, v16
; %bb.1000:                             ;   in Loop: Header=BB251_927 Depth=1
	s_or_b32 exec_lo, exec_lo, s13
	v_lshlrev_b32_e32 v12, 24, v11
	v_lshlrev_b32_e32 v6, 20, v6
	v_lshl_add_u32 v8, v8, 23, 0x3c000000
	v_and_b32_e32 v12, 0x80000000, v12
	v_or3_b32 v6, v6, v12, v8
	v_mov_b32_e32 v17, v7
	v_mov_b32_e32 v16, v6
.LBB251_1001:                           ;   in Loop: Header=BB251_927 Depth=1
	s_or_b32 exec_lo, exec_lo, s12
.LBB251_1002:                           ;   in Loop: Header=BB251_927 Depth=1
	s_or_b32 exec_lo, exec_lo, s11
.LBB251_1003:                           ;   in Loop: Header=BB251_927 Depth=1
	s_or_b32 exec_lo, exec_lo, s9
	v_cmp_ne_u16_sdwa s4, v11, v7 src0_sel:BYTE_1 src1_sel:DWORD
	s_and_saveexec_b32 s9, s4
	s_cbranch_execz .LBB251_1011
; %bb.1004:                             ;   in Loop: Header=BB251_927 Depth=1
	v_mov_b32_e32 v8, v7
	v_mov_b32_e32 v19, v9
	v_cmp_ne_u16_sdwa s4, v11, v83 src0_sel:BYTE_1 src1_sel:DWORD
	v_mov_b32_e32 v18, v8
	s_and_saveexec_b32 s11, s4
	s_cbranch_execz .LBB251_1010
; %bb.1005:                             ;   in Loop: Header=BB251_927 Depth=1
	v_mov_b32_e32 v6, 0xffff
	v_mov_b32_e32 v12, v7
	;; [unrolled: 1-line block ×3, first 2 shown]
	s_mov_b32 s12, exec_lo
	v_and_b32_sdwa v6, v6, v11 dst_sel:DWORD dst_unused:UNUSED_PAD src0_sel:DWORD src1_sel:BYTE_1
	v_mov_b32_e32 v18, v12
	v_and_b32_e32 v20, 0x7f, v6
	v_cmpx_ne_u32_e32 0x7f, v20
	s_cbranch_execz .LBB251_1009
; %bb.1006:                             ;   in Loop: Header=BB251_927 Depth=1
	v_and_b32_e32 v6, 7, v6
	v_lshrrev_b32_e32 v8, 3, v20
	s_mov_b32 s13, exec_lo
	v_cmpx_gt_u32_e32 8, v20
; %bb.1007:                             ;   in Loop: Header=BB251_927 Depth=1
	v_ffbh_u32_e32 v8, v6
	v_min_u32_e32 v8, 32, v8
	v_subrev_nc_u32_e32 v12, 28, v8
	v_sub_nc_u32_e32 v8, 29, v8
	v_lshlrev_b64 v[18:19], v12, v[6:7]
	v_and_b32_e32 v6, 7, v18
; %bb.1008:                             ;   in Loop: Header=BB251_927 Depth=1
	s_or_b32 exec_lo, exec_lo, s13
	v_lshlrev_b32_e32 v12, 16, v11
	v_lshlrev_b32_e32 v6, 20, v6
	v_lshl_add_u32 v8, v8, 23, 0x3c000000
	v_mov_b32_e32 v18, v7
	v_and_b32_e32 v12, 0x80000000, v12
	v_or3_b32 v19, v6, v12, v8
.LBB251_1009:                           ;   in Loop: Header=BB251_927 Depth=1
	s_or_b32 exec_lo, exec_lo, s12
.LBB251_1010:                           ;   in Loop: Header=BB251_927 Depth=1
	s_or_b32 exec_lo, exec_lo, s11
.LBB251_1011:                           ;   in Loop: Header=BB251_927 Depth=1
	s_or_b32 exec_lo, exec_lo, s9
	v_mov_b32_e32 v22, 0
	v_mov_b32_e32 v20, 0
	v_and_b32_sdwa v6, v11, v85 dst_sel:DWORD dst_unused:UNUSED_PAD src0_sel:WORD_1 src1_sel:DWORD
	v_mov_b32_e32 v23, 0
	v_mov_b32_e32 v21, 0
	s_mov_b32 s9, exec_lo
	v_cmpx_ne_u16_e32 0, v6
	s_cbranch_execz .LBB251_1019
; %bb.1012:                             ;   in Loop: Header=BB251_927 Depth=1
	v_bfrev_b32_e32 v20, 1
	v_mov_b32_e32 v21, 0
	s_mov_b32 s11, exec_lo
	v_cmpx_ne_u16_e32 0x80, v6
	s_cbranch_execz .LBB251_1018
; %bb.1013:                             ;   in Loop: Header=BB251_927 Depth=1
	v_mov_b32_e32 v20, 0x7f800001
	v_bfe_u32 v12, v11, 16, 7
	v_mov_b32_e32 v21, 0
	s_mov_b32 s12, exec_lo
	v_cmpx_ne_u32_e32 0x7f, v12
	s_cbranch_execz .LBB251_1017
; %bb.1014:                             ;   in Loop: Header=BB251_927 Depth=1
	v_mov_b32_e32 v6, 7
	v_lshrrev_b32_e32 v8, 3, v12
	s_mov_b32 s13, exec_lo
	v_and_b32_sdwa v6, v11, v6 dst_sel:DWORD dst_unused:UNUSED_PAD src0_sel:WORD_1 src1_sel:DWORD
	v_cmpx_gt_u32_e32 8, v12
; %bb.1015:                             ;   in Loop: Header=BB251_927 Depth=1
	v_ffbh_u32_e32 v8, v6
	v_min_u32_e32 v8, 32, v8
	v_subrev_nc_u32_e32 v12, 28, v8
	v_sub_nc_u32_e32 v8, 29, v8
	v_lshlrev_b64 v[20:21], v12, v[6:7]
	v_and_b32_e32 v6, 7, v20
; %bb.1016:                             ;   in Loop: Header=BB251_927 Depth=1
	s_or_b32 exec_lo, exec_lo, s13
	v_mov_b32_e32 v10, 24
	v_lshlrev_b32_e32 v6, 20, v6
	v_lshl_add_u32 v8, v8, 23, 0x3c000000
	v_lshlrev_b32_sdwa v12, v10, v11 dst_sel:DWORD dst_unused:UNUSED_PAD src0_sel:DWORD src1_sel:WORD_1
	v_and_b32_e32 v12, 0x80000000, v12
	v_or3_b32 v6, v6, v12, v8
	v_mov_b32_e32 v21, v7
	v_mov_b32_e32 v20, v6
.LBB251_1017:                           ;   in Loop: Header=BB251_927 Depth=1
	s_or_b32 exec_lo, exec_lo, s12
.LBB251_1018:                           ;   in Loop: Header=BB251_927 Depth=1
	s_or_b32 exec_lo, exec_lo, s11
.LBB251_1019:                           ;   in Loop: Header=BB251_927 Depth=1
	s_or_b32 exec_lo, exec_lo, s9
	s_mov_b32 s9, exec_lo
	v_cmpx_lt_u32_e32 0xffffff, v11
	s_cbranch_execz .LBB251_1027
; %bb.1020:                             ;   in Loop: Header=BB251_927 Depth=1
	v_mov_b32_e32 v8, v7
	v_mov_b32_e32 v23, v9
	v_cmp_ne_u32_sdwa s4, v11, v83 src0_sel:BYTE_3 src1_sel:DWORD
	v_mov_b32_e32 v22, v8
	s_and_saveexec_b32 s11, s4
	s_cbranch_execz .LBB251_1026
; %bb.1021:                             ;   in Loop: Header=BB251_927 Depth=1
	v_mov_b32_e32 v12, v7
	v_mov_b32_e32 v23, v13
	v_bfe_u32 v24, v11, 24, 7
	s_mov_b32 s12, exec_lo
	v_mov_b32_e32 v22, v12
	v_cmpx_ne_u32_e32 0x7f, v24
	s_cbranch_execz .LBB251_1025
; %bb.1022:                             ;   in Loop: Header=BB251_927 Depth=1
	v_mov_b32_e32 v6, 7
	v_lshrrev_b32_e32 v8, 3, v24
	s_mov_b32 s13, exec_lo
	v_and_b32_sdwa v6, v11, v6 dst_sel:DWORD dst_unused:UNUSED_PAD src0_sel:BYTE_3 src1_sel:DWORD
	v_cmpx_gt_u32_e32 8, v24
; %bb.1023:                             ;   in Loop: Header=BB251_927 Depth=1
	v_ffbh_u32_e32 v8, v6
	v_min_u32_e32 v8, 32, v8
	v_subrev_nc_u32_e32 v12, 28, v8
	v_sub_nc_u32_e32 v8, 29, v8
	v_lshlrev_b64 v[22:23], v12, v[6:7]
	v_and_b32_e32 v6, 7, v22
; %bb.1024:                             ;   in Loop: Header=BB251_927 Depth=1
	s_or_b32 exec_lo, exec_lo, s13
	v_mov_b32_e32 v10, 24
	v_lshlrev_b32_e32 v6, 20, v6
	v_lshl_add_u32 v8, v8, 23, 0x3c000000
	v_mov_b32_e32 v22, v7
	v_lshlrev_b32_sdwa v11, v10, v11 dst_sel:DWORD dst_unused:UNUSED_PAD src0_sel:DWORD src1_sel:BYTE_3
	v_and_b32_e32 v11, 0x80000000, v11
	v_or3_b32 v23, v6, v11, v8
.LBB251_1025:                           ;   in Loop: Header=BB251_927 Depth=1
	s_or_b32 exec_lo, exec_lo, s12
.LBB251_1026:                           ;   in Loop: Header=BB251_927 Depth=1
	s_or_b32 exec_lo, exec_lo, s11
.LBB251_1027:                           ;   in Loop: Header=BB251_927 Depth=1
	s_or_b32 exec_lo, exec_lo, s9
	v_or_b32_e32 v6, v19, v17
	v_or_b32_e32 v8, v18, v16
	;; [unrolled: 1-line block ×4, first 2 shown]
	v_mul_f32_e32 v6, v98, v6
	buffer_store_dword v6, off, s[0:3], s32 offset:280 ; 4-byte Folded Spill
	v_mul_f32_e32 v6, v81, v8
	buffer_store_dword v6, off, s[0:3], s32 offset:288 ; 4-byte Folded Spill
	;; [unrolled: 2-line block ×4, first 2 shown]
	s_and_saveexec_b32 s9, vcc_lo
	s_cbranch_execz .LBB251_1029
; %bb.1028:                             ;   in Loop: Header=BB251_927 Depth=1
	buffer_load_dword v6, off, s[0:3], s32 offset:288 ; 4-byte Folded Reload
	v_cmp_lt_i32_e64 s4, v115, v99
	s_waitcnt vmcnt(0)
	v_cndmask_b32_e64 v6, 0, v6, s4
	v_cmp_lt_i32_e64 s4, v117, v99
	buffer_store_dword v6, off, s[0:3], s32 offset:288 ; 4-byte Folded Spill
	buffer_load_dword v6, off, s[0:3], s32 offset:280 ; 4-byte Folded Reload
	s_waitcnt vmcnt(0)
	v_cndmask_b32_e64 v6, 0, v6, s4
	v_cmp_lt_i32_e64 s4, v116, v99
	buffer_store_dword v6, off, s[0:3], s32 offset:280 ; 4-byte Folded Spill
	buffer_load_dword v6, off, s[0:3], s32 offset:272 ; 4-byte Folded Reload
	;; [unrolled: 5-line block ×3, first 2 shown]
	s_waitcnt vmcnt(0)
	v_cndmask_b32_e64 v6, 0, v6, s4
	buffer_store_dword v6, off, s[0:3], s32 offset:264 ; 4-byte Folded Spill
.LBB251_1029:                           ;   in Loop: Header=BB251_927 Depth=1
	s_or_b32 exec_lo, exec_lo, s9
	flat_load_dword v11, v[4:5] offset:384
	v_mov_b32_e32 v18, 0
	v_mov_b32_e32 v16, 0
	;; [unrolled: 1-line block ×4, first 2 shown]
	s_waitcnt vmcnt(0) lgkmcnt(0)
	v_cmp_ne_u16_sdwa s4, v11, v7 src0_sel:BYTE_0 src1_sel:DWORD
	s_and_saveexec_b32 s9, s4
	s_cbranch_execz .LBB251_1037
; %bb.1030:                             ;   in Loop: Header=BB251_927 Depth=1
	v_bfrev_b32_e32 v16, 1
	v_mov_b32_e32 v17, 0
	v_cmp_ne_u16_sdwa s4, v11, v83 src0_sel:BYTE_0 src1_sel:DWORD
	s_and_saveexec_b32 s11, s4
	s_cbranch_execz .LBB251_1036
; %bb.1031:                             ;   in Loop: Header=BB251_927 Depth=1
	v_mov_b32_e32 v16, 0x7f800001
	v_and_b32_e32 v12, 0x7f, v11
	v_mov_b32_e32 v17, 0
	s_mov_b32 s12, exec_lo
	v_cmpx_ne_u32_e32 0x7f, v12
	s_cbranch_execz .LBB251_1035
; %bb.1032:                             ;   in Loop: Header=BB251_927 Depth=1
	v_and_b32_e32 v6, 7, v11
	v_lshrrev_b32_e32 v8, 3, v12
	s_mov_b32 s13, exec_lo
	v_cmpx_gt_u32_e32 8, v12
; %bb.1033:                             ;   in Loop: Header=BB251_927 Depth=1
	v_ffbh_u32_e32 v8, v6
	v_min_u32_e32 v8, 32, v8
	v_subrev_nc_u32_e32 v12, 28, v8
	v_sub_nc_u32_e32 v8, 29, v8
	v_lshlrev_b64 v[16:17], v12, v[6:7]
	v_and_b32_e32 v6, 7, v16
; %bb.1034:                             ;   in Loop: Header=BB251_927 Depth=1
	s_or_b32 exec_lo, exec_lo, s13
	v_lshlrev_b32_e32 v12, 24, v11
	v_lshlrev_b32_e32 v6, 20, v6
	v_lshl_add_u32 v8, v8, 23, 0x3c000000
	v_and_b32_e32 v12, 0x80000000, v12
	v_or3_b32 v6, v6, v12, v8
	v_mov_b32_e32 v17, v7
	v_mov_b32_e32 v16, v6
.LBB251_1035:                           ;   in Loop: Header=BB251_927 Depth=1
	s_or_b32 exec_lo, exec_lo, s12
.LBB251_1036:                           ;   in Loop: Header=BB251_927 Depth=1
	s_or_b32 exec_lo, exec_lo, s11
.LBB251_1037:                           ;   in Loop: Header=BB251_927 Depth=1
	s_or_b32 exec_lo, exec_lo, s9
	v_cmp_ne_u16_sdwa s4, v11, v7 src0_sel:BYTE_1 src1_sel:DWORD
	s_and_saveexec_b32 s9, s4
	s_cbranch_execz .LBB251_1045
; %bb.1038:                             ;   in Loop: Header=BB251_927 Depth=1
	v_mov_b32_e32 v8, v7
	v_mov_b32_e32 v19, v9
	v_cmp_ne_u16_sdwa s4, v11, v83 src0_sel:BYTE_1 src1_sel:DWORD
	v_mov_b32_e32 v18, v8
	s_and_saveexec_b32 s11, s4
	s_cbranch_execz .LBB251_1044
; %bb.1039:                             ;   in Loop: Header=BB251_927 Depth=1
	v_mov_b32_e32 v6, 0xffff
	v_mov_b32_e32 v12, v7
	;; [unrolled: 1-line block ×3, first 2 shown]
	s_mov_b32 s12, exec_lo
	v_and_b32_sdwa v6, v6, v11 dst_sel:DWORD dst_unused:UNUSED_PAD src0_sel:DWORD src1_sel:BYTE_1
	v_mov_b32_e32 v18, v12
	v_and_b32_e32 v20, 0x7f, v6
	v_cmpx_ne_u32_e32 0x7f, v20
	s_cbranch_execz .LBB251_1043
; %bb.1040:                             ;   in Loop: Header=BB251_927 Depth=1
	v_and_b32_e32 v6, 7, v6
	v_lshrrev_b32_e32 v8, 3, v20
	s_mov_b32 s13, exec_lo
	v_cmpx_gt_u32_e32 8, v20
; %bb.1041:                             ;   in Loop: Header=BB251_927 Depth=1
	v_ffbh_u32_e32 v8, v6
	v_min_u32_e32 v8, 32, v8
	v_subrev_nc_u32_e32 v12, 28, v8
	v_sub_nc_u32_e32 v8, 29, v8
	v_lshlrev_b64 v[18:19], v12, v[6:7]
	v_and_b32_e32 v6, 7, v18
; %bb.1042:                             ;   in Loop: Header=BB251_927 Depth=1
	s_or_b32 exec_lo, exec_lo, s13
	v_lshlrev_b32_e32 v12, 16, v11
	v_lshlrev_b32_e32 v6, 20, v6
	v_lshl_add_u32 v8, v8, 23, 0x3c000000
	v_mov_b32_e32 v18, v7
	v_and_b32_e32 v12, 0x80000000, v12
	v_or3_b32 v19, v6, v12, v8
.LBB251_1043:                           ;   in Loop: Header=BB251_927 Depth=1
	s_or_b32 exec_lo, exec_lo, s12
.LBB251_1044:                           ;   in Loop: Header=BB251_927 Depth=1
	s_or_b32 exec_lo, exec_lo, s11
.LBB251_1045:                           ;   in Loop: Header=BB251_927 Depth=1
	s_or_b32 exec_lo, exec_lo, s9
	v_mov_b32_e32 v22, 0
	v_mov_b32_e32 v20, 0
	v_and_b32_sdwa v6, v11, v85 dst_sel:DWORD dst_unused:UNUSED_PAD src0_sel:WORD_1 src1_sel:DWORD
	v_mov_b32_e32 v23, 0
	v_mov_b32_e32 v21, 0
	s_mov_b32 s9, exec_lo
	v_cmpx_ne_u16_e32 0, v6
	s_cbranch_execz .LBB251_1053
; %bb.1046:                             ;   in Loop: Header=BB251_927 Depth=1
	v_bfrev_b32_e32 v20, 1
	v_mov_b32_e32 v21, 0
	s_mov_b32 s11, exec_lo
	v_cmpx_ne_u16_e32 0x80, v6
	s_cbranch_execz .LBB251_1052
; %bb.1047:                             ;   in Loop: Header=BB251_927 Depth=1
	v_mov_b32_e32 v20, 0x7f800001
	v_bfe_u32 v12, v11, 16, 7
	v_mov_b32_e32 v21, 0
	s_mov_b32 s12, exec_lo
	v_cmpx_ne_u32_e32 0x7f, v12
	s_cbranch_execz .LBB251_1051
; %bb.1048:                             ;   in Loop: Header=BB251_927 Depth=1
	v_mov_b32_e32 v6, 7
	v_lshrrev_b32_e32 v8, 3, v12
	s_mov_b32 s13, exec_lo
	v_and_b32_sdwa v6, v11, v6 dst_sel:DWORD dst_unused:UNUSED_PAD src0_sel:WORD_1 src1_sel:DWORD
	v_cmpx_gt_u32_e32 8, v12
; %bb.1049:                             ;   in Loop: Header=BB251_927 Depth=1
	v_ffbh_u32_e32 v8, v6
	v_min_u32_e32 v8, 32, v8
	v_subrev_nc_u32_e32 v12, 28, v8
	v_sub_nc_u32_e32 v8, 29, v8
	v_lshlrev_b64 v[20:21], v12, v[6:7]
	v_and_b32_e32 v6, 7, v20
; %bb.1050:                             ;   in Loop: Header=BB251_927 Depth=1
	s_or_b32 exec_lo, exec_lo, s13
	v_mov_b32_e32 v10, 24
	v_lshlrev_b32_e32 v6, 20, v6
	v_lshl_add_u32 v8, v8, 23, 0x3c000000
	v_lshlrev_b32_sdwa v12, v10, v11 dst_sel:DWORD dst_unused:UNUSED_PAD src0_sel:DWORD src1_sel:WORD_1
	v_and_b32_e32 v12, 0x80000000, v12
	v_or3_b32 v6, v6, v12, v8
	v_mov_b32_e32 v21, v7
	v_mov_b32_e32 v20, v6
.LBB251_1051:                           ;   in Loop: Header=BB251_927 Depth=1
	s_or_b32 exec_lo, exec_lo, s12
.LBB251_1052:                           ;   in Loop: Header=BB251_927 Depth=1
	s_or_b32 exec_lo, exec_lo, s11
.LBB251_1053:                           ;   in Loop: Header=BB251_927 Depth=1
	s_or_b32 exec_lo, exec_lo, s9
	s_mov_b32 s9, exec_lo
	v_cmpx_lt_u32_e32 0xffffff, v11
	s_cbranch_execz .LBB251_1061
; %bb.1054:                             ;   in Loop: Header=BB251_927 Depth=1
	v_mov_b32_e32 v8, v7
	v_mov_b32_e32 v23, v9
	v_cmp_ne_u32_sdwa s4, v11, v83 src0_sel:BYTE_3 src1_sel:DWORD
	v_mov_b32_e32 v22, v8
	s_and_saveexec_b32 s11, s4
	s_cbranch_execz .LBB251_1060
; %bb.1055:                             ;   in Loop: Header=BB251_927 Depth=1
	v_mov_b32_e32 v12, v7
	v_mov_b32_e32 v23, v13
	v_bfe_u32 v24, v11, 24, 7
	s_mov_b32 s12, exec_lo
	v_mov_b32_e32 v22, v12
	v_cmpx_ne_u32_e32 0x7f, v24
	s_cbranch_execz .LBB251_1059
; %bb.1056:                             ;   in Loop: Header=BB251_927 Depth=1
	v_mov_b32_e32 v6, 7
	v_lshrrev_b32_e32 v8, 3, v24
	s_mov_b32 s13, exec_lo
	v_and_b32_sdwa v6, v11, v6 dst_sel:DWORD dst_unused:UNUSED_PAD src0_sel:BYTE_3 src1_sel:DWORD
	v_cmpx_gt_u32_e32 8, v24
; %bb.1057:                             ;   in Loop: Header=BB251_927 Depth=1
	v_ffbh_u32_e32 v8, v6
	v_min_u32_e32 v8, 32, v8
	v_subrev_nc_u32_e32 v12, 28, v8
	v_sub_nc_u32_e32 v8, 29, v8
	v_lshlrev_b64 v[22:23], v12, v[6:7]
	v_and_b32_e32 v6, 7, v22
; %bb.1058:                             ;   in Loop: Header=BB251_927 Depth=1
	s_or_b32 exec_lo, exec_lo, s13
	v_mov_b32_e32 v10, 24
	v_lshlrev_b32_e32 v6, 20, v6
	v_lshl_add_u32 v8, v8, 23, 0x3c000000
	v_mov_b32_e32 v22, v7
	v_lshlrev_b32_sdwa v11, v10, v11 dst_sel:DWORD dst_unused:UNUSED_PAD src0_sel:DWORD src1_sel:BYTE_3
	v_and_b32_e32 v11, 0x80000000, v11
	v_or3_b32 v23, v6, v11, v8
.LBB251_1059:                           ;   in Loop: Header=BB251_927 Depth=1
	s_or_b32 exec_lo, exec_lo, s12
.LBB251_1060:                           ;   in Loop: Header=BB251_927 Depth=1
	s_or_b32 exec_lo, exec_lo, s11
.LBB251_1061:                           ;   in Loop: Header=BB251_927 Depth=1
	s_or_b32 exec_lo, exec_lo, s9
	v_or_b32_e32 v6, v19, v17
	v_or_b32_e32 v8, v18, v16
	;; [unrolled: 1-line block ×4, first 2 shown]
	v_mul_f32_e32 v6, v98, v6
	buffer_store_dword v6, off, s[0:3], s32 offset:320 ; 4-byte Folded Spill
	v_mul_f32_e32 v6, v81, v8
	buffer_store_dword v6, off, s[0:3], s32 offset:312 ; 4-byte Folded Spill
	;; [unrolled: 2-line block ×4, first 2 shown]
	s_and_saveexec_b32 s9, vcc_lo
	s_cbranch_execz .LBB251_1063
; %bb.1062:                             ;   in Loop: Header=BB251_927 Depth=1
	buffer_load_dword v6, off, s[0:3], s32 offset:312 ; 4-byte Folded Reload
	v_cmp_lt_i32_e64 s4, v115, v99
	s_waitcnt vmcnt(0)
	v_cndmask_b32_e64 v6, 0, v6, s4
	v_cmp_lt_i32_e64 s4, v117, v99
	buffer_store_dword v6, off, s[0:3], s32 offset:312 ; 4-byte Folded Spill
	buffer_load_dword v6, off, s[0:3], s32 offset:320 ; 4-byte Folded Reload
	s_waitcnt vmcnt(0)
	v_cndmask_b32_e64 v6, 0, v6, s4
	v_cmp_lt_i32_e64 s4, v116, v99
	buffer_store_dword v6, off, s[0:3], s32 offset:320 ; 4-byte Folded Spill
	buffer_load_dword v6, off, s[0:3], s32 offset:304 ; 4-byte Folded Reload
	;; [unrolled: 5-line block ×3, first 2 shown]
	s_waitcnt vmcnt(0)
	v_cndmask_b32_e64 v6, 0, v6, s4
	buffer_store_dword v6, off, s[0:3], s32 offset:296 ; 4-byte Folded Spill
.LBB251_1063:                           ;   in Loop: Header=BB251_927 Depth=1
	s_or_b32 exec_lo, exec_lo, s9
	flat_load_dword v11, v[4:5] offset:512
	v_mov_b32_e32 v18, 0
	v_mov_b32_e32 v16, 0
	;; [unrolled: 1-line block ×4, first 2 shown]
	s_waitcnt vmcnt(0) lgkmcnt(0)
	v_cmp_ne_u16_sdwa s4, v11, v7 src0_sel:BYTE_0 src1_sel:DWORD
	s_and_saveexec_b32 s9, s4
	s_cbranch_execz .LBB251_1071
; %bb.1064:                             ;   in Loop: Header=BB251_927 Depth=1
	v_bfrev_b32_e32 v16, 1
	v_mov_b32_e32 v17, 0
	v_cmp_ne_u16_sdwa s4, v11, v83 src0_sel:BYTE_0 src1_sel:DWORD
	s_and_saveexec_b32 s11, s4
	s_cbranch_execz .LBB251_1070
; %bb.1065:                             ;   in Loop: Header=BB251_927 Depth=1
	v_mov_b32_e32 v16, 0x7f800001
	v_and_b32_e32 v12, 0x7f, v11
	v_mov_b32_e32 v17, 0
	s_mov_b32 s12, exec_lo
	v_cmpx_ne_u32_e32 0x7f, v12
	s_cbranch_execz .LBB251_1069
; %bb.1066:                             ;   in Loop: Header=BB251_927 Depth=1
	v_and_b32_e32 v6, 7, v11
	v_lshrrev_b32_e32 v8, 3, v12
	s_mov_b32 s13, exec_lo
	v_cmpx_gt_u32_e32 8, v12
; %bb.1067:                             ;   in Loop: Header=BB251_927 Depth=1
	v_ffbh_u32_e32 v8, v6
	v_min_u32_e32 v8, 32, v8
	v_subrev_nc_u32_e32 v12, 28, v8
	v_sub_nc_u32_e32 v8, 29, v8
	v_lshlrev_b64 v[16:17], v12, v[6:7]
	v_and_b32_e32 v6, 7, v16
; %bb.1068:                             ;   in Loop: Header=BB251_927 Depth=1
	s_or_b32 exec_lo, exec_lo, s13
	v_lshlrev_b32_e32 v12, 24, v11
	v_lshlrev_b32_e32 v6, 20, v6
	v_lshl_add_u32 v8, v8, 23, 0x3c000000
	v_and_b32_e32 v12, 0x80000000, v12
	v_or3_b32 v6, v6, v12, v8
	v_mov_b32_e32 v17, v7
	v_mov_b32_e32 v16, v6
.LBB251_1069:                           ;   in Loop: Header=BB251_927 Depth=1
	s_or_b32 exec_lo, exec_lo, s12
.LBB251_1070:                           ;   in Loop: Header=BB251_927 Depth=1
	s_or_b32 exec_lo, exec_lo, s11
.LBB251_1071:                           ;   in Loop: Header=BB251_927 Depth=1
	s_or_b32 exec_lo, exec_lo, s9
	v_cmp_ne_u16_sdwa s4, v11, v7 src0_sel:BYTE_1 src1_sel:DWORD
	s_and_saveexec_b32 s9, s4
	s_cbranch_execz .LBB251_1079
; %bb.1072:                             ;   in Loop: Header=BB251_927 Depth=1
	v_mov_b32_e32 v8, v7
	v_mov_b32_e32 v19, v9
	v_cmp_ne_u16_sdwa s4, v11, v83 src0_sel:BYTE_1 src1_sel:DWORD
	v_mov_b32_e32 v18, v8
	s_and_saveexec_b32 s11, s4
	s_cbranch_execz .LBB251_1078
; %bb.1073:                             ;   in Loop: Header=BB251_927 Depth=1
	v_mov_b32_e32 v6, 0xffff
	v_mov_b32_e32 v12, v7
	;; [unrolled: 1-line block ×3, first 2 shown]
	s_mov_b32 s12, exec_lo
	v_and_b32_sdwa v6, v6, v11 dst_sel:DWORD dst_unused:UNUSED_PAD src0_sel:DWORD src1_sel:BYTE_1
	v_mov_b32_e32 v18, v12
	v_and_b32_e32 v20, 0x7f, v6
	v_cmpx_ne_u32_e32 0x7f, v20
	s_cbranch_execz .LBB251_1077
; %bb.1074:                             ;   in Loop: Header=BB251_927 Depth=1
	v_and_b32_e32 v6, 7, v6
	v_lshrrev_b32_e32 v8, 3, v20
	s_mov_b32 s13, exec_lo
	v_cmpx_gt_u32_e32 8, v20
; %bb.1075:                             ;   in Loop: Header=BB251_927 Depth=1
	v_ffbh_u32_e32 v8, v6
	v_min_u32_e32 v8, 32, v8
	v_subrev_nc_u32_e32 v12, 28, v8
	v_sub_nc_u32_e32 v8, 29, v8
	v_lshlrev_b64 v[18:19], v12, v[6:7]
	v_and_b32_e32 v6, 7, v18
; %bb.1076:                             ;   in Loop: Header=BB251_927 Depth=1
	s_or_b32 exec_lo, exec_lo, s13
	v_lshlrev_b32_e32 v12, 16, v11
	v_lshlrev_b32_e32 v6, 20, v6
	v_lshl_add_u32 v8, v8, 23, 0x3c000000
	v_mov_b32_e32 v18, v7
	v_and_b32_e32 v12, 0x80000000, v12
	v_or3_b32 v19, v6, v12, v8
.LBB251_1077:                           ;   in Loop: Header=BB251_927 Depth=1
	s_or_b32 exec_lo, exec_lo, s12
.LBB251_1078:                           ;   in Loop: Header=BB251_927 Depth=1
	s_or_b32 exec_lo, exec_lo, s11
.LBB251_1079:                           ;   in Loop: Header=BB251_927 Depth=1
	s_or_b32 exec_lo, exec_lo, s9
	v_mov_b32_e32 v22, 0
	v_mov_b32_e32 v20, 0
	v_and_b32_sdwa v6, v11, v85 dst_sel:DWORD dst_unused:UNUSED_PAD src0_sel:WORD_1 src1_sel:DWORD
	v_mov_b32_e32 v23, 0
	v_mov_b32_e32 v21, 0
	s_mov_b32 s9, exec_lo
	v_cmpx_ne_u16_e32 0, v6
	s_cbranch_execz .LBB251_1087
; %bb.1080:                             ;   in Loop: Header=BB251_927 Depth=1
	v_bfrev_b32_e32 v20, 1
	v_mov_b32_e32 v21, 0
	s_mov_b32 s11, exec_lo
	v_cmpx_ne_u16_e32 0x80, v6
	s_cbranch_execz .LBB251_1086
; %bb.1081:                             ;   in Loop: Header=BB251_927 Depth=1
	v_mov_b32_e32 v20, 0x7f800001
	v_bfe_u32 v12, v11, 16, 7
	v_mov_b32_e32 v21, 0
	s_mov_b32 s12, exec_lo
	v_cmpx_ne_u32_e32 0x7f, v12
	s_cbranch_execz .LBB251_1085
; %bb.1082:                             ;   in Loop: Header=BB251_927 Depth=1
	v_mov_b32_e32 v6, 7
	v_lshrrev_b32_e32 v8, 3, v12
	s_mov_b32 s13, exec_lo
	v_and_b32_sdwa v6, v11, v6 dst_sel:DWORD dst_unused:UNUSED_PAD src0_sel:WORD_1 src1_sel:DWORD
	v_cmpx_gt_u32_e32 8, v12
; %bb.1083:                             ;   in Loop: Header=BB251_927 Depth=1
	v_ffbh_u32_e32 v8, v6
	v_min_u32_e32 v8, 32, v8
	v_subrev_nc_u32_e32 v12, 28, v8
	v_sub_nc_u32_e32 v8, 29, v8
	v_lshlrev_b64 v[20:21], v12, v[6:7]
	v_and_b32_e32 v6, 7, v20
; %bb.1084:                             ;   in Loop: Header=BB251_927 Depth=1
	s_or_b32 exec_lo, exec_lo, s13
	v_mov_b32_e32 v10, 24
	v_lshlrev_b32_e32 v6, 20, v6
	v_lshl_add_u32 v8, v8, 23, 0x3c000000
	v_lshlrev_b32_sdwa v12, v10, v11 dst_sel:DWORD dst_unused:UNUSED_PAD src0_sel:DWORD src1_sel:WORD_1
	v_and_b32_e32 v12, 0x80000000, v12
	v_or3_b32 v6, v6, v12, v8
	v_mov_b32_e32 v21, v7
	v_mov_b32_e32 v20, v6
.LBB251_1085:                           ;   in Loop: Header=BB251_927 Depth=1
	s_or_b32 exec_lo, exec_lo, s12
.LBB251_1086:                           ;   in Loop: Header=BB251_927 Depth=1
	s_or_b32 exec_lo, exec_lo, s11
.LBB251_1087:                           ;   in Loop: Header=BB251_927 Depth=1
	s_or_b32 exec_lo, exec_lo, s9
	s_mov_b32 s9, exec_lo
	v_cmpx_lt_u32_e32 0xffffff, v11
	s_cbranch_execz .LBB251_1095
; %bb.1088:                             ;   in Loop: Header=BB251_927 Depth=1
	v_mov_b32_e32 v8, v7
	v_mov_b32_e32 v23, v9
	v_cmp_ne_u32_sdwa s4, v11, v83 src0_sel:BYTE_3 src1_sel:DWORD
	v_mov_b32_e32 v22, v8
	s_and_saveexec_b32 s11, s4
	s_cbranch_execz .LBB251_1094
; %bb.1089:                             ;   in Loop: Header=BB251_927 Depth=1
	v_mov_b32_e32 v12, v7
	v_mov_b32_e32 v23, v13
	v_bfe_u32 v24, v11, 24, 7
	s_mov_b32 s12, exec_lo
	v_mov_b32_e32 v22, v12
	v_cmpx_ne_u32_e32 0x7f, v24
	s_cbranch_execz .LBB251_1093
; %bb.1090:                             ;   in Loop: Header=BB251_927 Depth=1
	v_mov_b32_e32 v6, 7
	v_lshrrev_b32_e32 v8, 3, v24
	s_mov_b32 s13, exec_lo
	v_and_b32_sdwa v6, v11, v6 dst_sel:DWORD dst_unused:UNUSED_PAD src0_sel:BYTE_3 src1_sel:DWORD
	v_cmpx_gt_u32_e32 8, v24
; %bb.1091:                             ;   in Loop: Header=BB251_927 Depth=1
	v_ffbh_u32_e32 v8, v6
	v_min_u32_e32 v8, 32, v8
	v_subrev_nc_u32_e32 v12, 28, v8
	v_sub_nc_u32_e32 v8, 29, v8
	v_lshlrev_b64 v[22:23], v12, v[6:7]
	v_and_b32_e32 v6, 7, v22
; %bb.1092:                             ;   in Loop: Header=BB251_927 Depth=1
	s_or_b32 exec_lo, exec_lo, s13
	v_mov_b32_e32 v10, 24
	v_lshlrev_b32_e32 v6, 20, v6
	v_lshl_add_u32 v8, v8, 23, 0x3c000000
	v_mov_b32_e32 v22, v7
	v_lshlrev_b32_sdwa v11, v10, v11 dst_sel:DWORD dst_unused:UNUSED_PAD src0_sel:DWORD src1_sel:BYTE_3
	v_and_b32_e32 v11, 0x80000000, v11
	v_or3_b32 v23, v6, v11, v8
.LBB251_1093:                           ;   in Loop: Header=BB251_927 Depth=1
	s_or_b32 exec_lo, exec_lo, s12
.LBB251_1094:                           ;   in Loop: Header=BB251_927 Depth=1
	s_or_b32 exec_lo, exec_lo, s11
.LBB251_1095:                           ;   in Loop: Header=BB251_927 Depth=1
	s_or_b32 exec_lo, exec_lo, s9
	v_or_b32_e32 v6, v19, v17
	v_or_b32_e32 v8, v18, v16
	;; [unrolled: 1-line block ×4, first 2 shown]
	v_mul_f32_e32 v6, v98, v6
	buffer_store_dword v6, off, s[0:3], s32 offset:352 ; 4-byte Folded Spill
	v_mul_f32_e32 v6, v81, v8
	buffer_store_dword v6, off, s[0:3], s32 offset:344 ; 4-byte Folded Spill
	;; [unrolled: 2-line block ×4, first 2 shown]
	s_and_saveexec_b32 s9, vcc_lo
	s_cbranch_execz .LBB251_1097
; %bb.1096:                             ;   in Loop: Header=BB251_927 Depth=1
	buffer_load_dword v6, off, s[0:3], s32 offset:344 ; 4-byte Folded Reload
	v_cmp_lt_i32_e64 s4, v115, v99
	s_waitcnt vmcnt(0)
	v_cndmask_b32_e64 v6, 0, v6, s4
	v_cmp_lt_i32_e64 s4, v117, v99
	buffer_store_dword v6, off, s[0:3], s32 offset:344 ; 4-byte Folded Spill
	buffer_load_dword v6, off, s[0:3], s32 offset:352 ; 4-byte Folded Reload
	s_waitcnt vmcnt(0)
	v_cndmask_b32_e64 v6, 0, v6, s4
	v_cmp_lt_i32_e64 s4, v116, v99
	buffer_store_dword v6, off, s[0:3], s32 offset:352 ; 4-byte Folded Spill
	buffer_load_dword v6, off, s[0:3], s32 offset:336 ; 4-byte Folded Reload
	;; [unrolled: 5-line block ×3, first 2 shown]
	s_waitcnt vmcnt(0)
	v_cndmask_b32_e64 v6, 0, v6, s4
	buffer_store_dword v6, off, s[0:3], s32 offset:328 ; 4-byte Folded Spill
.LBB251_1097:                           ;   in Loop: Header=BB251_927 Depth=1
	s_or_b32 exec_lo, exec_lo, s9
	flat_load_dword v11, v[4:5] offset:640
	v_mov_b32_e32 v18, 0
	v_mov_b32_e32 v16, 0
	;; [unrolled: 1-line block ×4, first 2 shown]
	s_waitcnt vmcnt(0) lgkmcnt(0)
	v_cmp_ne_u16_sdwa s4, v11, v7 src0_sel:BYTE_0 src1_sel:DWORD
	s_and_saveexec_b32 s9, s4
	s_cbranch_execz .LBB251_1105
; %bb.1098:                             ;   in Loop: Header=BB251_927 Depth=1
	v_bfrev_b32_e32 v16, 1
	v_mov_b32_e32 v17, 0
	v_cmp_ne_u16_sdwa s4, v11, v83 src0_sel:BYTE_0 src1_sel:DWORD
	s_and_saveexec_b32 s11, s4
	s_cbranch_execz .LBB251_1104
; %bb.1099:                             ;   in Loop: Header=BB251_927 Depth=1
	v_mov_b32_e32 v16, 0x7f800001
	v_and_b32_e32 v12, 0x7f, v11
	v_mov_b32_e32 v17, 0
	s_mov_b32 s12, exec_lo
	v_cmpx_ne_u32_e32 0x7f, v12
	s_cbranch_execz .LBB251_1103
; %bb.1100:                             ;   in Loop: Header=BB251_927 Depth=1
	v_and_b32_e32 v6, 7, v11
	v_lshrrev_b32_e32 v8, 3, v12
	s_mov_b32 s13, exec_lo
	v_cmpx_gt_u32_e32 8, v12
; %bb.1101:                             ;   in Loop: Header=BB251_927 Depth=1
	v_ffbh_u32_e32 v8, v6
	v_min_u32_e32 v8, 32, v8
	v_subrev_nc_u32_e32 v12, 28, v8
	v_sub_nc_u32_e32 v8, 29, v8
	v_lshlrev_b64 v[16:17], v12, v[6:7]
	v_and_b32_e32 v6, 7, v16
; %bb.1102:                             ;   in Loop: Header=BB251_927 Depth=1
	s_or_b32 exec_lo, exec_lo, s13
	v_lshlrev_b32_e32 v12, 24, v11
	v_lshlrev_b32_e32 v6, 20, v6
	v_lshl_add_u32 v8, v8, 23, 0x3c000000
	v_and_b32_e32 v12, 0x80000000, v12
	v_or3_b32 v6, v6, v12, v8
	v_mov_b32_e32 v17, v7
	v_mov_b32_e32 v16, v6
.LBB251_1103:                           ;   in Loop: Header=BB251_927 Depth=1
	s_or_b32 exec_lo, exec_lo, s12
.LBB251_1104:                           ;   in Loop: Header=BB251_927 Depth=1
	s_or_b32 exec_lo, exec_lo, s11
.LBB251_1105:                           ;   in Loop: Header=BB251_927 Depth=1
	s_or_b32 exec_lo, exec_lo, s9
	v_cmp_ne_u16_sdwa s4, v11, v7 src0_sel:BYTE_1 src1_sel:DWORD
	s_and_saveexec_b32 s9, s4
	s_cbranch_execz .LBB251_1113
; %bb.1106:                             ;   in Loop: Header=BB251_927 Depth=1
	v_mov_b32_e32 v8, v7
	v_mov_b32_e32 v19, v9
	v_cmp_ne_u16_sdwa s4, v11, v83 src0_sel:BYTE_1 src1_sel:DWORD
	v_mov_b32_e32 v18, v8
	s_and_saveexec_b32 s11, s4
	s_cbranch_execz .LBB251_1112
; %bb.1107:                             ;   in Loop: Header=BB251_927 Depth=1
	v_mov_b32_e32 v6, 0xffff
	v_mov_b32_e32 v12, v7
	v_mov_b32_e32 v19, v13
	s_mov_b32 s12, exec_lo
	v_and_b32_sdwa v6, v6, v11 dst_sel:DWORD dst_unused:UNUSED_PAD src0_sel:DWORD src1_sel:BYTE_1
	v_mov_b32_e32 v18, v12
	v_and_b32_e32 v20, 0x7f, v6
	v_cmpx_ne_u32_e32 0x7f, v20
	s_cbranch_execz .LBB251_1111
; %bb.1108:                             ;   in Loop: Header=BB251_927 Depth=1
	v_and_b32_e32 v6, 7, v6
	v_lshrrev_b32_e32 v8, 3, v20
	s_mov_b32 s13, exec_lo
	v_cmpx_gt_u32_e32 8, v20
; %bb.1109:                             ;   in Loop: Header=BB251_927 Depth=1
	v_ffbh_u32_e32 v8, v6
	v_min_u32_e32 v8, 32, v8
	v_subrev_nc_u32_e32 v12, 28, v8
	v_sub_nc_u32_e32 v8, 29, v8
	v_lshlrev_b64 v[18:19], v12, v[6:7]
	v_and_b32_e32 v6, 7, v18
; %bb.1110:                             ;   in Loop: Header=BB251_927 Depth=1
	s_or_b32 exec_lo, exec_lo, s13
	v_lshlrev_b32_e32 v12, 16, v11
	v_lshlrev_b32_e32 v6, 20, v6
	v_lshl_add_u32 v8, v8, 23, 0x3c000000
	v_mov_b32_e32 v18, v7
	v_and_b32_e32 v12, 0x80000000, v12
	v_or3_b32 v19, v6, v12, v8
.LBB251_1111:                           ;   in Loop: Header=BB251_927 Depth=1
	s_or_b32 exec_lo, exec_lo, s12
.LBB251_1112:                           ;   in Loop: Header=BB251_927 Depth=1
	s_or_b32 exec_lo, exec_lo, s11
.LBB251_1113:                           ;   in Loop: Header=BB251_927 Depth=1
	s_or_b32 exec_lo, exec_lo, s9
	v_mov_b32_e32 v22, 0
	v_mov_b32_e32 v20, 0
	v_and_b32_sdwa v6, v11, v85 dst_sel:DWORD dst_unused:UNUSED_PAD src0_sel:WORD_1 src1_sel:DWORD
	v_mov_b32_e32 v23, 0
	v_mov_b32_e32 v21, 0
	s_mov_b32 s9, exec_lo
	v_cmpx_ne_u16_e32 0, v6
	s_cbranch_execz .LBB251_1121
; %bb.1114:                             ;   in Loop: Header=BB251_927 Depth=1
	v_bfrev_b32_e32 v20, 1
	v_mov_b32_e32 v21, 0
	s_mov_b32 s11, exec_lo
	v_cmpx_ne_u16_e32 0x80, v6
	s_cbranch_execz .LBB251_1120
; %bb.1115:                             ;   in Loop: Header=BB251_927 Depth=1
	v_mov_b32_e32 v20, 0x7f800001
	v_bfe_u32 v12, v11, 16, 7
	v_mov_b32_e32 v21, 0
	s_mov_b32 s12, exec_lo
	v_cmpx_ne_u32_e32 0x7f, v12
	s_cbranch_execz .LBB251_1119
; %bb.1116:                             ;   in Loop: Header=BB251_927 Depth=1
	v_mov_b32_e32 v6, 7
	v_lshrrev_b32_e32 v8, 3, v12
	s_mov_b32 s13, exec_lo
	v_and_b32_sdwa v6, v11, v6 dst_sel:DWORD dst_unused:UNUSED_PAD src0_sel:WORD_1 src1_sel:DWORD
	v_cmpx_gt_u32_e32 8, v12
; %bb.1117:                             ;   in Loop: Header=BB251_927 Depth=1
	v_ffbh_u32_e32 v8, v6
	v_min_u32_e32 v8, 32, v8
	v_subrev_nc_u32_e32 v12, 28, v8
	v_sub_nc_u32_e32 v8, 29, v8
	v_lshlrev_b64 v[20:21], v12, v[6:7]
	v_and_b32_e32 v6, 7, v20
; %bb.1118:                             ;   in Loop: Header=BB251_927 Depth=1
	s_or_b32 exec_lo, exec_lo, s13
	v_mov_b32_e32 v10, 24
	v_lshlrev_b32_e32 v6, 20, v6
	v_lshl_add_u32 v8, v8, 23, 0x3c000000
	v_lshlrev_b32_sdwa v12, v10, v11 dst_sel:DWORD dst_unused:UNUSED_PAD src0_sel:DWORD src1_sel:WORD_1
	v_and_b32_e32 v12, 0x80000000, v12
	v_or3_b32 v6, v6, v12, v8
	v_mov_b32_e32 v21, v7
	v_mov_b32_e32 v20, v6
.LBB251_1119:                           ;   in Loop: Header=BB251_927 Depth=1
	s_or_b32 exec_lo, exec_lo, s12
.LBB251_1120:                           ;   in Loop: Header=BB251_927 Depth=1
	s_or_b32 exec_lo, exec_lo, s11
.LBB251_1121:                           ;   in Loop: Header=BB251_927 Depth=1
	s_or_b32 exec_lo, exec_lo, s9
	s_mov_b32 s9, exec_lo
	v_cmpx_lt_u32_e32 0xffffff, v11
	s_cbranch_execz .LBB251_1129
; %bb.1122:                             ;   in Loop: Header=BB251_927 Depth=1
	v_mov_b32_e32 v8, v7
	v_mov_b32_e32 v23, v9
	v_cmp_ne_u32_sdwa s4, v11, v83 src0_sel:BYTE_3 src1_sel:DWORD
	v_mov_b32_e32 v22, v8
	s_and_saveexec_b32 s11, s4
	s_cbranch_execz .LBB251_1128
; %bb.1123:                             ;   in Loop: Header=BB251_927 Depth=1
	v_mov_b32_e32 v12, v7
	v_mov_b32_e32 v23, v13
	v_bfe_u32 v24, v11, 24, 7
	s_mov_b32 s12, exec_lo
	v_mov_b32_e32 v22, v12
	v_cmpx_ne_u32_e32 0x7f, v24
	s_cbranch_execz .LBB251_1127
; %bb.1124:                             ;   in Loop: Header=BB251_927 Depth=1
	v_mov_b32_e32 v6, 7
	v_lshrrev_b32_e32 v8, 3, v24
	s_mov_b32 s13, exec_lo
	v_and_b32_sdwa v6, v11, v6 dst_sel:DWORD dst_unused:UNUSED_PAD src0_sel:BYTE_3 src1_sel:DWORD
	v_cmpx_gt_u32_e32 8, v24
; %bb.1125:                             ;   in Loop: Header=BB251_927 Depth=1
	v_ffbh_u32_e32 v8, v6
	v_min_u32_e32 v8, 32, v8
	v_subrev_nc_u32_e32 v12, 28, v8
	v_sub_nc_u32_e32 v8, 29, v8
	v_lshlrev_b64 v[22:23], v12, v[6:7]
	v_and_b32_e32 v6, 7, v22
; %bb.1126:                             ;   in Loop: Header=BB251_927 Depth=1
	s_or_b32 exec_lo, exec_lo, s13
	v_mov_b32_e32 v10, 24
	v_lshlrev_b32_e32 v6, 20, v6
	v_lshl_add_u32 v8, v8, 23, 0x3c000000
	v_mov_b32_e32 v22, v7
	v_lshlrev_b32_sdwa v11, v10, v11 dst_sel:DWORD dst_unused:UNUSED_PAD src0_sel:DWORD src1_sel:BYTE_3
	v_and_b32_e32 v11, 0x80000000, v11
	v_or3_b32 v23, v6, v11, v8
.LBB251_1127:                           ;   in Loop: Header=BB251_927 Depth=1
	s_or_b32 exec_lo, exec_lo, s12
.LBB251_1128:                           ;   in Loop: Header=BB251_927 Depth=1
	s_or_b32 exec_lo, exec_lo, s11
.LBB251_1129:                           ;   in Loop: Header=BB251_927 Depth=1
	s_or_b32 exec_lo, exec_lo, s9
	v_or_b32_e32 v6, v19, v17
	v_or_b32_e32 v8, v18, v16
	v_or_b32_e32 v11, v22, v20
	v_or_b32_e32 v12, v23, v21
	v_mul_f32_e32 v6, v98, v6
	buffer_store_dword v6, off, s[0:3], s32 offset:376 ; 4-byte Folded Spill
	v_mul_f32_e32 v6, v81, v8
	buffer_store_dword v6, off, s[0:3], s32 offset:384 ; 4-byte Folded Spill
	;; [unrolled: 2-line block ×4, first 2 shown]
	s_and_saveexec_b32 s9, vcc_lo
	s_cbranch_execz .LBB251_1131
; %bb.1130:                             ;   in Loop: Header=BB251_927 Depth=1
	buffer_load_dword v6, off, s[0:3], s32 offset:384 ; 4-byte Folded Reload
	v_cmp_lt_i32_e64 s4, v115, v99
	s_waitcnt vmcnt(0)
	v_cndmask_b32_e64 v6, 0, v6, s4
	v_cmp_lt_i32_e64 s4, v117, v99
	buffer_store_dword v6, off, s[0:3], s32 offset:384 ; 4-byte Folded Spill
	buffer_load_dword v6, off, s[0:3], s32 offset:376 ; 4-byte Folded Reload
	s_waitcnt vmcnt(0)
	v_cndmask_b32_e64 v6, 0, v6, s4
	v_cmp_lt_i32_e64 s4, v116, v99
	buffer_store_dword v6, off, s[0:3], s32 offset:376 ; 4-byte Folded Spill
	buffer_load_dword v6, off, s[0:3], s32 offset:368 ; 4-byte Folded Reload
	;; [unrolled: 5-line block ×3, first 2 shown]
	s_waitcnt vmcnt(0)
	v_cndmask_b32_e64 v6, 0, v6, s4
	buffer_store_dword v6, off, s[0:3], s32 offset:360 ; 4-byte Folded Spill
.LBB251_1131:                           ;   in Loop: Header=BB251_927 Depth=1
	s_or_b32 exec_lo, exec_lo, s9
	flat_load_dword v11, v[4:5] offset:768
	v_mov_b32_e32 v18, 0
	v_mov_b32_e32 v16, 0
	;; [unrolled: 1-line block ×4, first 2 shown]
	s_waitcnt vmcnt(0) lgkmcnt(0)
	v_cmp_ne_u16_sdwa s4, v11, v7 src0_sel:BYTE_0 src1_sel:DWORD
	s_and_saveexec_b32 s9, s4
	s_cbranch_execz .LBB251_1139
; %bb.1132:                             ;   in Loop: Header=BB251_927 Depth=1
	v_bfrev_b32_e32 v16, 1
	v_mov_b32_e32 v17, 0
	v_cmp_ne_u16_sdwa s4, v11, v83 src0_sel:BYTE_0 src1_sel:DWORD
	s_and_saveexec_b32 s11, s4
	s_cbranch_execz .LBB251_1138
; %bb.1133:                             ;   in Loop: Header=BB251_927 Depth=1
	v_mov_b32_e32 v16, 0x7f800001
	v_and_b32_e32 v12, 0x7f, v11
	v_mov_b32_e32 v17, 0
	s_mov_b32 s12, exec_lo
	v_cmpx_ne_u32_e32 0x7f, v12
	s_cbranch_execz .LBB251_1137
; %bb.1134:                             ;   in Loop: Header=BB251_927 Depth=1
	v_and_b32_e32 v6, 7, v11
	v_lshrrev_b32_e32 v8, 3, v12
	s_mov_b32 s13, exec_lo
	v_cmpx_gt_u32_e32 8, v12
; %bb.1135:                             ;   in Loop: Header=BB251_927 Depth=1
	v_ffbh_u32_e32 v8, v6
	v_min_u32_e32 v8, 32, v8
	v_subrev_nc_u32_e32 v12, 28, v8
	v_sub_nc_u32_e32 v8, 29, v8
	v_lshlrev_b64 v[16:17], v12, v[6:7]
	v_and_b32_e32 v6, 7, v16
; %bb.1136:                             ;   in Loop: Header=BB251_927 Depth=1
	s_or_b32 exec_lo, exec_lo, s13
	v_lshlrev_b32_e32 v12, 24, v11
	v_lshlrev_b32_e32 v6, 20, v6
	v_lshl_add_u32 v8, v8, 23, 0x3c000000
	v_and_b32_e32 v12, 0x80000000, v12
	v_or3_b32 v6, v6, v12, v8
	v_mov_b32_e32 v17, v7
	v_mov_b32_e32 v16, v6
.LBB251_1137:                           ;   in Loop: Header=BB251_927 Depth=1
	s_or_b32 exec_lo, exec_lo, s12
.LBB251_1138:                           ;   in Loop: Header=BB251_927 Depth=1
	s_or_b32 exec_lo, exec_lo, s11
.LBB251_1139:                           ;   in Loop: Header=BB251_927 Depth=1
	s_or_b32 exec_lo, exec_lo, s9
	v_cmp_ne_u16_sdwa s4, v11, v7 src0_sel:BYTE_1 src1_sel:DWORD
	s_and_saveexec_b32 s9, s4
	s_cbranch_execz .LBB251_1147
; %bb.1140:                             ;   in Loop: Header=BB251_927 Depth=1
	v_mov_b32_e32 v8, v7
	v_mov_b32_e32 v19, v9
	v_cmp_ne_u16_sdwa s4, v11, v83 src0_sel:BYTE_1 src1_sel:DWORD
	v_mov_b32_e32 v18, v8
	s_and_saveexec_b32 s11, s4
	s_cbranch_execz .LBB251_1146
; %bb.1141:                             ;   in Loop: Header=BB251_927 Depth=1
	v_mov_b32_e32 v6, 0xffff
	v_mov_b32_e32 v12, v7
	;; [unrolled: 1-line block ×3, first 2 shown]
	s_mov_b32 s12, exec_lo
	v_and_b32_sdwa v6, v6, v11 dst_sel:DWORD dst_unused:UNUSED_PAD src0_sel:DWORD src1_sel:BYTE_1
	v_mov_b32_e32 v18, v12
	v_and_b32_e32 v20, 0x7f, v6
	v_cmpx_ne_u32_e32 0x7f, v20
	s_cbranch_execz .LBB251_1145
; %bb.1142:                             ;   in Loop: Header=BB251_927 Depth=1
	v_and_b32_e32 v6, 7, v6
	v_lshrrev_b32_e32 v8, 3, v20
	s_mov_b32 s13, exec_lo
	v_cmpx_gt_u32_e32 8, v20
; %bb.1143:                             ;   in Loop: Header=BB251_927 Depth=1
	v_ffbh_u32_e32 v8, v6
	v_min_u32_e32 v8, 32, v8
	v_subrev_nc_u32_e32 v12, 28, v8
	v_sub_nc_u32_e32 v8, 29, v8
	v_lshlrev_b64 v[18:19], v12, v[6:7]
	v_and_b32_e32 v6, 7, v18
; %bb.1144:                             ;   in Loop: Header=BB251_927 Depth=1
	s_or_b32 exec_lo, exec_lo, s13
	v_lshlrev_b32_e32 v12, 16, v11
	v_lshlrev_b32_e32 v6, 20, v6
	v_lshl_add_u32 v8, v8, 23, 0x3c000000
	v_mov_b32_e32 v18, v7
	v_and_b32_e32 v12, 0x80000000, v12
	v_or3_b32 v19, v6, v12, v8
.LBB251_1145:                           ;   in Loop: Header=BB251_927 Depth=1
	s_or_b32 exec_lo, exec_lo, s12
.LBB251_1146:                           ;   in Loop: Header=BB251_927 Depth=1
	s_or_b32 exec_lo, exec_lo, s11
.LBB251_1147:                           ;   in Loop: Header=BB251_927 Depth=1
	s_or_b32 exec_lo, exec_lo, s9
	v_mov_b32_e32 v22, 0
	v_mov_b32_e32 v20, 0
	v_and_b32_sdwa v6, v11, v85 dst_sel:DWORD dst_unused:UNUSED_PAD src0_sel:WORD_1 src1_sel:DWORD
	v_mov_b32_e32 v23, 0
	v_mov_b32_e32 v21, 0
	s_mov_b32 s9, exec_lo
	v_cmpx_ne_u16_e32 0, v6
	s_cbranch_execz .LBB251_1155
; %bb.1148:                             ;   in Loop: Header=BB251_927 Depth=1
	v_bfrev_b32_e32 v20, 1
	v_mov_b32_e32 v21, 0
	s_mov_b32 s11, exec_lo
	v_cmpx_ne_u16_e32 0x80, v6
	s_cbranch_execz .LBB251_1154
; %bb.1149:                             ;   in Loop: Header=BB251_927 Depth=1
	v_mov_b32_e32 v20, 0x7f800001
	v_bfe_u32 v12, v11, 16, 7
	v_mov_b32_e32 v21, 0
	s_mov_b32 s12, exec_lo
	v_cmpx_ne_u32_e32 0x7f, v12
	s_cbranch_execz .LBB251_1153
; %bb.1150:                             ;   in Loop: Header=BB251_927 Depth=1
	v_mov_b32_e32 v6, 7
	v_lshrrev_b32_e32 v8, 3, v12
	s_mov_b32 s13, exec_lo
	v_and_b32_sdwa v6, v11, v6 dst_sel:DWORD dst_unused:UNUSED_PAD src0_sel:WORD_1 src1_sel:DWORD
	v_cmpx_gt_u32_e32 8, v12
; %bb.1151:                             ;   in Loop: Header=BB251_927 Depth=1
	v_ffbh_u32_e32 v8, v6
	v_min_u32_e32 v8, 32, v8
	v_subrev_nc_u32_e32 v12, 28, v8
	v_sub_nc_u32_e32 v8, 29, v8
	v_lshlrev_b64 v[20:21], v12, v[6:7]
	v_and_b32_e32 v6, 7, v20
; %bb.1152:                             ;   in Loop: Header=BB251_927 Depth=1
	s_or_b32 exec_lo, exec_lo, s13
	v_mov_b32_e32 v10, 24
	v_lshlrev_b32_e32 v6, 20, v6
	v_lshl_add_u32 v8, v8, 23, 0x3c000000
	v_lshlrev_b32_sdwa v12, v10, v11 dst_sel:DWORD dst_unused:UNUSED_PAD src0_sel:DWORD src1_sel:WORD_1
	v_and_b32_e32 v12, 0x80000000, v12
	v_or3_b32 v6, v6, v12, v8
	v_mov_b32_e32 v21, v7
	v_mov_b32_e32 v20, v6
.LBB251_1153:                           ;   in Loop: Header=BB251_927 Depth=1
	s_or_b32 exec_lo, exec_lo, s12
.LBB251_1154:                           ;   in Loop: Header=BB251_927 Depth=1
	s_or_b32 exec_lo, exec_lo, s11
.LBB251_1155:                           ;   in Loop: Header=BB251_927 Depth=1
	s_or_b32 exec_lo, exec_lo, s9
	s_mov_b32 s9, exec_lo
	v_cmpx_lt_u32_e32 0xffffff, v11
	s_cbranch_execz .LBB251_1163
; %bb.1156:                             ;   in Loop: Header=BB251_927 Depth=1
	v_mov_b32_e32 v8, v7
	v_mov_b32_e32 v23, v9
	v_cmp_ne_u32_sdwa s4, v11, v83 src0_sel:BYTE_3 src1_sel:DWORD
	v_mov_b32_e32 v22, v8
	s_and_saveexec_b32 s11, s4
	s_cbranch_execz .LBB251_1162
; %bb.1157:                             ;   in Loop: Header=BB251_927 Depth=1
	v_mov_b32_e32 v12, v7
	v_mov_b32_e32 v23, v13
	v_bfe_u32 v24, v11, 24, 7
	s_mov_b32 s12, exec_lo
	v_mov_b32_e32 v22, v12
	v_cmpx_ne_u32_e32 0x7f, v24
	s_cbranch_execz .LBB251_1161
; %bb.1158:                             ;   in Loop: Header=BB251_927 Depth=1
	v_mov_b32_e32 v6, 7
	v_lshrrev_b32_e32 v8, 3, v24
	s_mov_b32 s13, exec_lo
	v_and_b32_sdwa v6, v11, v6 dst_sel:DWORD dst_unused:UNUSED_PAD src0_sel:BYTE_3 src1_sel:DWORD
	v_cmpx_gt_u32_e32 8, v24
; %bb.1159:                             ;   in Loop: Header=BB251_927 Depth=1
	v_ffbh_u32_e32 v8, v6
	v_min_u32_e32 v8, 32, v8
	v_subrev_nc_u32_e32 v12, 28, v8
	v_sub_nc_u32_e32 v8, 29, v8
	v_lshlrev_b64 v[22:23], v12, v[6:7]
	v_and_b32_e32 v6, 7, v22
; %bb.1160:                             ;   in Loop: Header=BB251_927 Depth=1
	s_or_b32 exec_lo, exec_lo, s13
	v_mov_b32_e32 v10, 24
	v_lshlrev_b32_e32 v6, 20, v6
	v_lshl_add_u32 v8, v8, 23, 0x3c000000
	v_mov_b32_e32 v22, v7
	v_lshlrev_b32_sdwa v11, v10, v11 dst_sel:DWORD dst_unused:UNUSED_PAD src0_sel:DWORD src1_sel:BYTE_3
	v_and_b32_e32 v11, 0x80000000, v11
	v_or3_b32 v23, v6, v11, v8
.LBB251_1161:                           ;   in Loop: Header=BB251_927 Depth=1
	s_or_b32 exec_lo, exec_lo, s12
.LBB251_1162:                           ;   in Loop: Header=BB251_927 Depth=1
	s_or_b32 exec_lo, exec_lo, s11
.LBB251_1163:                           ;   in Loop: Header=BB251_927 Depth=1
	s_or_b32 exec_lo, exec_lo, s9
	v_or_b32_e32 v6, v19, v17
	v_or_b32_e32 v8, v18, v16
	;; [unrolled: 1-line block ×4, first 2 shown]
	v_mul_f32_e32 v6, v98, v6
	buffer_store_dword v6, off, s[0:3], s32 offset:408 ; 4-byte Folded Spill
	v_mul_f32_e32 v6, v81, v8
	buffer_store_dword v6, off, s[0:3], s32 offset:416 ; 4-byte Folded Spill
	;; [unrolled: 2-line block ×4, first 2 shown]
	s_and_saveexec_b32 s9, vcc_lo
	s_cbranch_execz .LBB251_1165
; %bb.1164:                             ;   in Loop: Header=BB251_927 Depth=1
	buffer_load_dword v6, off, s[0:3], s32 offset:416 ; 4-byte Folded Reload
	v_cmp_lt_i32_e64 s4, v115, v99
	s_waitcnt vmcnt(0)
	v_cndmask_b32_e64 v6, 0, v6, s4
	v_cmp_lt_i32_e64 s4, v117, v99
	buffer_store_dword v6, off, s[0:3], s32 offset:416 ; 4-byte Folded Spill
	buffer_load_dword v6, off, s[0:3], s32 offset:408 ; 4-byte Folded Reload
	s_waitcnt vmcnt(0)
	v_cndmask_b32_e64 v6, 0, v6, s4
	v_cmp_lt_i32_e64 s4, v116, v99
	buffer_store_dword v6, off, s[0:3], s32 offset:408 ; 4-byte Folded Spill
	buffer_load_dword v6, off, s[0:3], s32 offset:400 ; 4-byte Folded Reload
	;; [unrolled: 5-line block ×3, first 2 shown]
	s_waitcnt vmcnt(0)
	v_cndmask_b32_e64 v6, 0, v6, s4
	buffer_store_dword v6, off, s[0:3], s32 offset:392 ; 4-byte Folded Spill
.LBB251_1165:                           ;   in Loop: Header=BB251_927 Depth=1
	s_or_b32 exec_lo, exec_lo, s9
	flat_load_dword v11, v[4:5] offset:896
	v_mov_b32_e32 v18, 0
	v_mov_b32_e32 v16, 0
	;; [unrolled: 1-line block ×4, first 2 shown]
	s_waitcnt vmcnt(0) lgkmcnt(0)
	v_cmp_ne_u16_sdwa s4, v11, v7 src0_sel:BYTE_0 src1_sel:DWORD
	s_and_saveexec_b32 s9, s4
	s_cbranch_execz .LBB251_1173
; %bb.1166:                             ;   in Loop: Header=BB251_927 Depth=1
	v_bfrev_b32_e32 v16, 1
	v_mov_b32_e32 v17, 0
	v_cmp_ne_u16_sdwa s4, v11, v83 src0_sel:BYTE_0 src1_sel:DWORD
	s_and_saveexec_b32 s11, s4
	s_cbranch_execz .LBB251_1172
; %bb.1167:                             ;   in Loop: Header=BB251_927 Depth=1
	v_mov_b32_e32 v16, 0x7f800001
	v_and_b32_e32 v12, 0x7f, v11
	v_mov_b32_e32 v17, 0
	s_mov_b32 s12, exec_lo
	v_cmpx_ne_u32_e32 0x7f, v12
	s_cbranch_execz .LBB251_1171
; %bb.1168:                             ;   in Loop: Header=BB251_927 Depth=1
	v_and_b32_e32 v6, 7, v11
	v_lshrrev_b32_e32 v8, 3, v12
	s_mov_b32 s13, exec_lo
	v_cmpx_gt_u32_e32 8, v12
; %bb.1169:                             ;   in Loop: Header=BB251_927 Depth=1
	v_ffbh_u32_e32 v8, v6
	v_min_u32_e32 v8, 32, v8
	v_subrev_nc_u32_e32 v12, 28, v8
	v_sub_nc_u32_e32 v8, 29, v8
	v_lshlrev_b64 v[16:17], v12, v[6:7]
	v_and_b32_e32 v6, 7, v16
; %bb.1170:                             ;   in Loop: Header=BB251_927 Depth=1
	s_or_b32 exec_lo, exec_lo, s13
	v_lshlrev_b32_e32 v12, 24, v11
	v_lshlrev_b32_e32 v6, 20, v6
	v_lshl_add_u32 v8, v8, 23, 0x3c000000
	v_and_b32_e32 v12, 0x80000000, v12
	v_or3_b32 v6, v6, v12, v8
	v_mov_b32_e32 v17, v7
	v_mov_b32_e32 v16, v6
.LBB251_1171:                           ;   in Loop: Header=BB251_927 Depth=1
	s_or_b32 exec_lo, exec_lo, s12
.LBB251_1172:                           ;   in Loop: Header=BB251_927 Depth=1
	s_or_b32 exec_lo, exec_lo, s11
.LBB251_1173:                           ;   in Loop: Header=BB251_927 Depth=1
	s_or_b32 exec_lo, exec_lo, s9
	v_cmp_ne_u16_sdwa s4, v11, v7 src0_sel:BYTE_1 src1_sel:DWORD
	s_and_saveexec_b32 s9, s4
	s_cbranch_execz .LBB251_1181
; %bb.1174:                             ;   in Loop: Header=BB251_927 Depth=1
	v_mov_b32_e32 v8, v7
	v_mov_b32_e32 v19, v9
	v_cmp_ne_u16_sdwa s4, v11, v83 src0_sel:BYTE_1 src1_sel:DWORD
	v_mov_b32_e32 v18, v8
	s_and_saveexec_b32 s11, s4
	s_cbranch_execz .LBB251_1180
; %bb.1175:                             ;   in Loop: Header=BB251_927 Depth=1
	v_mov_b32_e32 v6, 0xffff
	v_mov_b32_e32 v12, v7
	;; [unrolled: 1-line block ×3, first 2 shown]
	s_mov_b32 s12, exec_lo
	v_and_b32_sdwa v6, v6, v11 dst_sel:DWORD dst_unused:UNUSED_PAD src0_sel:DWORD src1_sel:BYTE_1
	v_mov_b32_e32 v18, v12
	v_and_b32_e32 v20, 0x7f, v6
	v_cmpx_ne_u32_e32 0x7f, v20
	s_cbranch_execz .LBB251_1179
; %bb.1176:                             ;   in Loop: Header=BB251_927 Depth=1
	v_and_b32_e32 v6, 7, v6
	v_lshrrev_b32_e32 v8, 3, v20
	s_mov_b32 s13, exec_lo
	v_cmpx_gt_u32_e32 8, v20
; %bb.1177:                             ;   in Loop: Header=BB251_927 Depth=1
	v_ffbh_u32_e32 v8, v6
	v_min_u32_e32 v8, 32, v8
	v_subrev_nc_u32_e32 v12, 28, v8
	v_sub_nc_u32_e32 v8, 29, v8
	v_lshlrev_b64 v[18:19], v12, v[6:7]
	v_and_b32_e32 v6, 7, v18
; %bb.1178:                             ;   in Loop: Header=BB251_927 Depth=1
	s_or_b32 exec_lo, exec_lo, s13
	v_lshlrev_b32_e32 v12, 16, v11
	v_lshlrev_b32_e32 v6, 20, v6
	v_lshl_add_u32 v8, v8, 23, 0x3c000000
	v_mov_b32_e32 v18, v7
	v_and_b32_e32 v12, 0x80000000, v12
	v_or3_b32 v19, v6, v12, v8
.LBB251_1179:                           ;   in Loop: Header=BB251_927 Depth=1
	s_or_b32 exec_lo, exec_lo, s12
.LBB251_1180:                           ;   in Loop: Header=BB251_927 Depth=1
	s_or_b32 exec_lo, exec_lo, s11
.LBB251_1181:                           ;   in Loop: Header=BB251_927 Depth=1
	s_or_b32 exec_lo, exec_lo, s9
	v_mov_b32_e32 v22, 0
	v_mov_b32_e32 v20, 0
	v_and_b32_sdwa v6, v11, v85 dst_sel:DWORD dst_unused:UNUSED_PAD src0_sel:WORD_1 src1_sel:DWORD
	v_mov_b32_e32 v23, 0
	v_mov_b32_e32 v21, 0
	s_mov_b32 s9, exec_lo
	v_cmpx_ne_u16_e32 0, v6
	s_cbranch_execz .LBB251_1189
; %bb.1182:                             ;   in Loop: Header=BB251_927 Depth=1
	v_bfrev_b32_e32 v20, 1
	v_mov_b32_e32 v21, 0
	s_mov_b32 s11, exec_lo
	v_cmpx_ne_u16_e32 0x80, v6
	s_cbranch_execz .LBB251_1188
; %bb.1183:                             ;   in Loop: Header=BB251_927 Depth=1
	v_mov_b32_e32 v20, 0x7f800001
	v_bfe_u32 v12, v11, 16, 7
	v_mov_b32_e32 v21, 0
	s_mov_b32 s12, exec_lo
	v_cmpx_ne_u32_e32 0x7f, v12
	s_cbranch_execz .LBB251_1187
; %bb.1184:                             ;   in Loop: Header=BB251_927 Depth=1
	v_mov_b32_e32 v6, 7
	v_lshrrev_b32_e32 v8, 3, v12
	s_mov_b32 s13, exec_lo
	v_and_b32_sdwa v6, v11, v6 dst_sel:DWORD dst_unused:UNUSED_PAD src0_sel:WORD_1 src1_sel:DWORD
	v_cmpx_gt_u32_e32 8, v12
; %bb.1185:                             ;   in Loop: Header=BB251_927 Depth=1
	v_ffbh_u32_e32 v8, v6
	v_min_u32_e32 v8, 32, v8
	v_subrev_nc_u32_e32 v12, 28, v8
	v_sub_nc_u32_e32 v8, 29, v8
	v_lshlrev_b64 v[20:21], v12, v[6:7]
	v_and_b32_e32 v6, 7, v20
; %bb.1186:                             ;   in Loop: Header=BB251_927 Depth=1
	s_or_b32 exec_lo, exec_lo, s13
	v_mov_b32_e32 v10, 24
	v_lshlrev_b32_e32 v6, 20, v6
	v_lshl_add_u32 v8, v8, 23, 0x3c000000
	v_lshlrev_b32_sdwa v12, v10, v11 dst_sel:DWORD dst_unused:UNUSED_PAD src0_sel:DWORD src1_sel:WORD_1
	v_and_b32_e32 v12, 0x80000000, v12
	v_or3_b32 v6, v6, v12, v8
	v_mov_b32_e32 v21, v7
	v_mov_b32_e32 v20, v6
.LBB251_1187:                           ;   in Loop: Header=BB251_927 Depth=1
	s_or_b32 exec_lo, exec_lo, s12
.LBB251_1188:                           ;   in Loop: Header=BB251_927 Depth=1
	s_or_b32 exec_lo, exec_lo, s11
.LBB251_1189:                           ;   in Loop: Header=BB251_927 Depth=1
	s_or_b32 exec_lo, exec_lo, s9
	s_mov_b32 s9, exec_lo
	v_cmpx_lt_u32_e32 0xffffff, v11
	s_cbranch_execz .LBB251_1197
; %bb.1190:                             ;   in Loop: Header=BB251_927 Depth=1
	v_mov_b32_e32 v8, v7
	v_mov_b32_e32 v23, v9
	v_cmp_ne_u32_sdwa s4, v11, v83 src0_sel:BYTE_3 src1_sel:DWORD
	v_mov_b32_e32 v22, v8
	s_and_saveexec_b32 s11, s4
	s_cbranch_execz .LBB251_1196
; %bb.1191:                             ;   in Loop: Header=BB251_927 Depth=1
	v_mov_b32_e32 v12, v7
	v_mov_b32_e32 v23, v13
	v_bfe_u32 v24, v11, 24, 7
	s_mov_b32 s12, exec_lo
	v_mov_b32_e32 v22, v12
	v_cmpx_ne_u32_e32 0x7f, v24
	s_cbranch_execz .LBB251_1195
; %bb.1192:                             ;   in Loop: Header=BB251_927 Depth=1
	v_mov_b32_e32 v6, 7
	v_lshrrev_b32_e32 v8, 3, v24
	s_mov_b32 s13, exec_lo
	v_and_b32_sdwa v6, v11, v6 dst_sel:DWORD dst_unused:UNUSED_PAD src0_sel:BYTE_3 src1_sel:DWORD
	v_cmpx_gt_u32_e32 8, v24
; %bb.1193:                             ;   in Loop: Header=BB251_927 Depth=1
	v_ffbh_u32_e32 v8, v6
	v_min_u32_e32 v8, 32, v8
	v_subrev_nc_u32_e32 v12, 28, v8
	v_sub_nc_u32_e32 v8, 29, v8
	v_lshlrev_b64 v[22:23], v12, v[6:7]
	v_and_b32_e32 v6, 7, v22
; %bb.1194:                             ;   in Loop: Header=BB251_927 Depth=1
	s_or_b32 exec_lo, exec_lo, s13
	v_mov_b32_e32 v10, 24
	v_lshlrev_b32_e32 v6, 20, v6
	v_lshl_add_u32 v8, v8, 23, 0x3c000000
	v_mov_b32_e32 v22, v7
	v_lshlrev_b32_sdwa v11, v10, v11 dst_sel:DWORD dst_unused:UNUSED_PAD src0_sel:DWORD src1_sel:BYTE_3
	v_and_b32_e32 v11, 0x80000000, v11
	v_or3_b32 v23, v6, v11, v8
.LBB251_1195:                           ;   in Loop: Header=BB251_927 Depth=1
	s_or_b32 exec_lo, exec_lo, s12
.LBB251_1196:                           ;   in Loop: Header=BB251_927 Depth=1
	s_or_b32 exec_lo, exec_lo, s11
.LBB251_1197:                           ;   in Loop: Header=BB251_927 Depth=1
	s_or_b32 exec_lo, exec_lo, s9
	v_or_b32_e32 v6, v19, v17
	v_or_b32_e32 v8, v18, v16
	;; [unrolled: 1-line block ×4, first 2 shown]
	v_mul_f32_e32 v6, v98, v6
	buffer_store_dword v6, off, s[0:3], s32 offset:440 ; 4-byte Folded Spill
	v_mul_f32_e32 v6, v81, v8
	buffer_store_dword v6, off, s[0:3], s32 offset:448 ; 4-byte Folded Spill
	;; [unrolled: 2-line block ×4, first 2 shown]
	s_and_saveexec_b32 s9, vcc_lo
	s_cbranch_execz .LBB251_1199
; %bb.1198:                             ;   in Loop: Header=BB251_927 Depth=1
	buffer_load_dword v6, off, s[0:3], s32 offset:448 ; 4-byte Folded Reload
	v_cmp_lt_i32_e64 s4, v115, v99
	s_waitcnt vmcnt(0)
	v_cndmask_b32_e64 v6, 0, v6, s4
	v_cmp_lt_i32_e64 s4, v117, v99
	buffer_store_dword v6, off, s[0:3], s32 offset:448 ; 4-byte Folded Spill
	buffer_load_dword v6, off, s[0:3], s32 offset:440 ; 4-byte Folded Reload
	s_waitcnt vmcnt(0)
	v_cndmask_b32_e64 v6, 0, v6, s4
	v_cmp_lt_i32_e64 s4, v116, v99
	buffer_store_dword v6, off, s[0:3], s32 offset:440 ; 4-byte Folded Spill
	buffer_load_dword v6, off, s[0:3], s32 offset:432 ; 4-byte Folded Reload
	;; [unrolled: 5-line block ×3, first 2 shown]
	s_waitcnt vmcnt(0)
	v_cndmask_b32_e64 v6, 0, v6, s4
	buffer_store_dword v6, off, s[0:3], s32 offset:424 ; 4-byte Folded Spill
.LBB251_1199:                           ;   in Loop: Header=BB251_927 Depth=1
	s_or_b32 exec_lo, exec_lo, s9
	flat_load_dword v11, v[4:5] offset:1024
	v_mov_b32_e32 v18, 0
	v_mov_b32_e32 v16, 0
	;; [unrolled: 1-line block ×4, first 2 shown]
	s_waitcnt vmcnt(0) lgkmcnt(0)
	v_cmp_ne_u16_sdwa s4, v11, v7 src0_sel:BYTE_0 src1_sel:DWORD
	s_and_saveexec_b32 s9, s4
	s_cbranch_execz .LBB251_1207
; %bb.1200:                             ;   in Loop: Header=BB251_927 Depth=1
	v_bfrev_b32_e32 v16, 1
	v_mov_b32_e32 v17, 0
	v_cmp_ne_u16_sdwa s4, v11, v83 src0_sel:BYTE_0 src1_sel:DWORD
	s_and_saveexec_b32 s11, s4
	s_cbranch_execz .LBB251_1206
; %bb.1201:                             ;   in Loop: Header=BB251_927 Depth=1
	v_mov_b32_e32 v16, 0x7f800001
	v_and_b32_e32 v12, 0x7f, v11
	v_mov_b32_e32 v17, 0
	s_mov_b32 s12, exec_lo
	v_cmpx_ne_u32_e32 0x7f, v12
	s_cbranch_execz .LBB251_1205
; %bb.1202:                             ;   in Loop: Header=BB251_927 Depth=1
	v_and_b32_e32 v6, 7, v11
	v_lshrrev_b32_e32 v8, 3, v12
	s_mov_b32 s13, exec_lo
	v_cmpx_gt_u32_e32 8, v12
; %bb.1203:                             ;   in Loop: Header=BB251_927 Depth=1
	v_ffbh_u32_e32 v8, v6
	v_min_u32_e32 v8, 32, v8
	v_subrev_nc_u32_e32 v12, 28, v8
	v_sub_nc_u32_e32 v8, 29, v8
	v_lshlrev_b64 v[16:17], v12, v[6:7]
	v_and_b32_e32 v6, 7, v16
; %bb.1204:                             ;   in Loop: Header=BB251_927 Depth=1
	s_or_b32 exec_lo, exec_lo, s13
	v_lshlrev_b32_e32 v12, 24, v11
	v_lshlrev_b32_e32 v6, 20, v6
	v_lshl_add_u32 v8, v8, 23, 0x3c000000
	v_and_b32_e32 v12, 0x80000000, v12
	v_or3_b32 v6, v6, v12, v8
	v_mov_b32_e32 v17, v7
	v_mov_b32_e32 v16, v6
.LBB251_1205:                           ;   in Loop: Header=BB251_927 Depth=1
	s_or_b32 exec_lo, exec_lo, s12
.LBB251_1206:                           ;   in Loop: Header=BB251_927 Depth=1
	s_or_b32 exec_lo, exec_lo, s11
.LBB251_1207:                           ;   in Loop: Header=BB251_927 Depth=1
	s_or_b32 exec_lo, exec_lo, s9
	v_cmp_ne_u16_sdwa s4, v11, v7 src0_sel:BYTE_1 src1_sel:DWORD
	s_and_saveexec_b32 s9, s4
	s_cbranch_execz .LBB251_1215
; %bb.1208:                             ;   in Loop: Header=BB251_927 Depth=1
	v_mov_b32_e32 v8, v7
	v_mov_b32_e32 v19, v9
	v_cmp_ne_u16_sdwa s4, v11, v83 src0_sel:BYTE_1 src1_sel:DWORD
	v_mov_b32_e32 v18, v8
	s_and_saveexec_b32 s11, s4
	s_cbranch_execz .LBB251_1214
; %bb.1209:                             ;   in Loop: Header=BB251_927 Depth=1
	v_mov_b32_e32 v6, 0xffff
	v_mov_b32_e32 v12, v7
	v_mov_b32_e32 v19, v13
	s_mov_b32 s12, exec_lo
	v_and_b32_sdwa v6, v6, v11 dst_sel:DWORD dst_unused:UNUSED_PAD src0_sel:DWORD src1_sel:BYTE_1
	v_mov_b32_e32 v18, v12
	v_and_b32_e32 v20, 0x7f, v6
	v_cmpx_ne_u32_e32 0x7f, v20
	s_cbranch_execz .LBB251_1213
; %bb.1210:                             ;   in Loop: Header=BB251_927 Depth=1
	v_and_b32_e32 v6, 7, v6
	v_lshrrev_b32_e32 v8, 3, v20
	s_mov_b32 s13, exec_lo
	v_cmpx_gt_u32_e32 8, v20
; %bb.1211:                             ;   in Loop: Header=BB251_927 Depth=1
	v_ffbh_u32_e32 v8, v6
	v_min_u32_e32 v8, 32, v8
	v_subrev_nc_u32_e32 v12, 28, v8
	v_sub_nc_u32_e32 v8, 29, v8
	v_lshlrev_b64 v[18:19], v12, v[6:7]
	v_and_b32_e32 v6, 7, v18
; %bb.1212:                             ;   in Loop: Header=BB251_927 Depth=1
	s_or_b32 exec_lo, exec_lo, s13
	v_lshlrev_b32_e32 v12, 16, v11
	v_lshlrev_b32_e32 v6, 20, v6
	v_lshl_add_u32 v8, v8, 23, 0x3c000000
	v_mov_b32_e32 v18, v7
	v_and_b32_e32 v12, 0x80000000, v12
	v_or3_b32 v19, v6, v12, v8
.LBB251_1213:                           ;   in Loop: Header=BB251_927 Depth=1
	s_or_b32 exec_lo, exec_lo, s12
.LBB251_1214:                           ;   in Loop: Header=BB251_927 Depth=1
	s_or_b32 exec_lo, exec_lo, s11
.LBB251_1215:                           ;   in Loop: Header=BB251_927 Depth=1
	s_or_b32 exec_lo, exec_lo, s9
	v_mov_b32_e32 v22, 0
	v_mov_b32_e32 v20, 0
	v_and_b32_sdwa v6, v11, v85 dst_sel:DWORD dst_unused:UNUSED_PAD src0_sel:WORD_1 src1_sel:DWORD
	v_mov_b32_e32 v23, 0
	v_mov_b32_e32 v21, 0
	s_mov_b32 s9, exec_lo
	v_cmpx_ne_u16_e32 0, v6
	s_cbranch_execz .LBB251_1223
; %bb.1216:                             ;   in Loop: Header=BB251_927 Depth=1
	v_bfrev_b32_e32 v20, 1
	v_mov_b32_e32 v21, 0
	s_mov_b32 s11, exec_lo
	v_cmpx_ne_u16_e32 0x80, v6
	s_cbranch_execz .LBB251_1222
; %bb.1217:                             ;   in Loop: Header=BB251_927 Depth=1
	v_mov_b32_e32 v20, 0x7f800001
	v_bfe_u32 v12, v11, 16, 7
	v_mov_b32_e32 v21, 0
	s_mov_b32 s12, exec_lo
	v_cmpx_ne_u32_e32 0x7f, v12
	s_cbranch_execz .LBB251_1221
; %bb.1218:                             ;   in Loop: Header=BB251_927 Depth=1
	v_mov_b32_e32 v6, 7
	v_lshrrev_b32_e32 v8, 3, v12
	s_mov_b32 s13, exec_lo
	v_and_b32_sdwa v6, v11, v6 dst_sel:DWORD dst_unused:UNUSED_PAD src0_sel:WORD_1 src1_sel:DWORD
	v_cmpx_gt_u32_e32 8, v12
; %bb.1219:                             ;   in Loop: Header=BB251_927 Depth=1
	v_ffbh_u32_e32 v8, v6
	v_min_u32_e32 v8, 32, v8
	v_subrev_nc_u32_e32 v12, 28, v8
	v_sub_nc_u32_e32 v8, 29, v8
	v_lshlrev_b64 v[20:21], v12, v[6:7]
	v_and_b32_e32 v6, 7, v20
; %bb.1220:                             ;   in Loop: Header=BB251_927 Depth=1
	s_or_b32 exec_lo, exec_lo, s13
	v_mov_b32_e32 v10, 24
	v_lshlrev_b32_e32 v6, 20, v6
	v_lshl_add_u32 v8, v8, 23, 0x3c000000
	v_lshlrev_b32_sdwa v12, v10, v11 dst_sel:DWORD dst_unused:UNUSED_PAD src0_sel:DWORD src1_sel:WORD_1
	v_and_b32_e32 v12, 0x80000000, v12
	v_or3_b32 v6, v6, v12, v8
	v_mov_b32_e32 v21, v7
	v_mov_b32_e32 v20, v6
.LBB251_1221:                           ;   in Loop: Header=BB251_927 Depth=1
	s_or_b32 exec_lo, exec_lo, s12
.LBB251_1222:                           ;   in Loop: Header=BB251_927 Depth=1
	s_or_b32 exec_lo, exec_lo, s11
.LBB251_1223:                           ;   in Loop: Header=BB251_927 Depth=1
	s_or_b32 exec_lo, exec_lo, s9
	s_mov_b32 s9, exec_lo
	v_cmpx_lt_u32_e32 0xffffff, v11
	s_cbranch_execz .LBB251_1231
; %bb.1224:                             ;   in Loop: Header=BB251_927 Depth=1
	v_mov_b32_e32 v8, v7
	v_mov_b32_e32 v23, v9
	v_cmp_ne_u32_sdwa s4, v11, v83 src0_sel:BYTE_3 src1_sel:DWORD
	v_mov_b32_e32 v22, v8
	s_and_saveexec_b32 s11, s4
	s_cbranch_execz .LBB251_1230
; %bb.1225:                             ;   in Loop: Header=BB251_927 Depth=1
	v_mov_b32_e32 v12, v7
	v_mov_b32_e32 v23, v13
	v_bfe_u32 v24, v11, 24, 7
	s_mov_b32 s12, exec_lo
	v_mov_b32_e32 v22, v12
	v_cmpx_ne_u32_e32 0x7f, v24
	s_cbranch_execz .LBB251_1229
; %bb.1226:                             ;   in Loop: Header=BB251_927 Depth=1
	v_mov_b32_e32 v6, 7
	v_lshrrev_b32_e32 v8, 3, v24
	s_mov_b32 s13, exec_lo
	v_and_b32_sdwa v6, v11, v6 dst_sel:DWORD dst_unused:UNUSED_PAD src0_sel:BYTE_3 src1_sel:DWORD
	v_cmpx_gt_u32_e32 8, v24
; %bb.1227:                             ;   in Loop: Header=BB251_927 Depth=1
	v_ffbh_u32_e32 v8, v6
	v_min_u32_e32 v8, 32, v8
	v_subrev_nc_u32_e32 v12, 28, v8
	v_sub_nc_u32_e32 v8, 29, v8
	v_lshlrev_b64 v[22:23], v12, v[6:7]
	v_and_b32_e32 v6, 7, v22
; %bb.1228:                             ;   in Loop: Header=BB251_927 Depth=1
	s_or_b32 exec_lo, exec_lo, s13
	v_mov_b32_e32 v10, 24
	v_lshlrev_b32_e32 v6, 20, v6
	v_lshl_add_u32 v8, v8, 23, 0x3c000000
	v_mov_b32_e32 v22, v7
	v_lshlrev_b32_sdwa v11, v10, v11 dst_sel:DWORD dst_unused:UNUSED_PAD src0_sel:DWORD src1_sel:BYTE_3
	v_and_b32_e32 v11, 0x80000000, v11
	v_or3_b32 v23, v6, v11, v8
.LBB251_1229:                           ;   in Loop: Header=BB251_927 Depth=1
	s_or_b32 exec_lo, exec_lo, s12
.LBB251_1230:                           ;   in Loop: Header=BB251_927 Depth=1
	s_or_b32 exec_lo, exec_lo, s11
.LBB251_1231:                           ;   in Loop: Header=BB251_927 Depth=1
	s_or_b32 exec_lo, exec_lo, s9
	v_or_b32_e32 v6, v19, v17
	v_or_b32_e32 v8, v18, v16
	;; [unrolled: 1-line block ×4, first 2 shown]
	v_mul_f32_e32 v6, v98, v6
	buffer_store_dword v6, off, s[0:3], s32 offset:480 ; 4-byte Folded Spill
	v_mul_f32_e32 v6, v81, v8
	buffer_store_dword v6, off, s[0:3], s32 offset:472 ; 4-byte Folded Spill
	;; [unrolled: 2-line block ×4, first 2 shown]
	s_and_saveexec_b32 s9, vcc_lo
	s_cbranch_execz .LBB251_1233
; %bb.1232:                             ;   in Loop: Header=BB251_927 Depth=1
	buffer_load_dword v6, off, s[0:3], s32 offset:472 ; 4-byte Folded Reload
	v_cmp_lt_i32_e64 s4, v115, v99
	s_waitcnt vmcnt(0)
	v_cndmask_b32_e64 v6, 0, v6, s4
	v_cmp_lt_i32_e64 s4, v117, v99
	buffer_store_dword v6, off, s[0:3], s32 offset:472 ; 4-byte Folded Spill
	buffer_load_dword v6, off, s[0:3], s32 offset:480 ; 4-byte Folded Reload
	s_waitcnt vmcnt(0)
	v_cndmask_b32_e64 v6, 0, v6, s4
	v_cmp_lt_i32_e64 s4, v116, v99
	buffer_store_dword v6, off, s[0:3], s32 offset:480 ; 4-byte Folded Spill
	buffer_load_dword v6, off, s[0:3], s32 offset:464 ; 4-byte Folded Reload
	;; [unrolled: 5-line block ×3, first 2 shown]
	s_waitcnt vmcnt(0)
	v_cndmask_b32_e64 v6, 0, v6, s4
	buffer_store_dword v6, off, s[0:3], s32 offset:456 ; 4-byte Folded Spill
.LBB251_1233:                           ;   in Loop: Header=BB251_927 Depth=1
	s_or_b32 exec_lo, exec_lo, s9
	flat_load_dword v11, v[4:5] offset:1152
	v_mov_b32_e32 v18, 0
	v_mov_b32_e32 v16, 0
	;; [unrolled: 1-line block ×4, first 2 shown]
	s_waitcnt vmcnt(0) lgkmcnt(0)
	v_cmp_ne_u16_sdwa s4, v11, v7 src0_sel:BYTE_0 src1_sel:DWORD
	s_and_saveexec_b32 s9, s4
	s_cbranch_execz .LBB251_1241
; %bb.1234:                             ;   in Loop: Header=BB251_927 Depth=1
	v_bfrev_b32_e32 v16, 1
	v_mov_b32_e32 v17, 0
	v_cmp_ne_u16_sdwa s4, v11, v83 src0_sel:BYTE_0 src1_sel:DWORD
	s_and_saveexec_b32 s11, s4
	s_cbranch_execz .LBB251_1240
; %bb.1235:                             ;   in Loop: Header=BB251_927 Depth=1
	v_mov_b32_e32 v16, 0x7f800001
	v_and_b32_e32 v12, 0x7f, v11
	v_mov_b32_e32 v17, 0
	s_mov_b32 s12, exec_lo
	v_cmpx_ne_u32_e32 0x7f, v12
	s_cbranch_execz .LBB251_1239
; %bb.1236:                             ;   in Loop: Header=BB251_927 Depth=1
	v_and_b32_e32 v6, 7, v11
	v_lshrrev_b32_e32 v8, 3, v12
	s_mov_b32 s13, exec_lo
	v_cmpx_gt_u32_e32 8, v12
; %bb.1237:                             ;   in Loop: Header=BB251_927 Depth=1
	v_ffbh_u32_e32 v8, v6
	v_min_u32_e32 v8, 32, v8
	v_subrev_nc_u32_e32 v12, 28, v8
	v_sub_nc_u32_e32 v8, 29, v8
	v_lshlrev_b64 v[16:17], v12, v[6:7]
	v_and_b32_e32 v6, 7, v16
; %bb.1238:                             ;   in Loop: Header=BB251_927 Depth=1
	s_or_b32 exec_lo, exec_lo, s13
	v_lshlrev_b32_e32 v12, 24, v11
	v_lshlrev_b32_e32 v6, 20, v6
	v_lshl_add_u32 v8, v8, 23, 0x3c000000
	v_and_b32_e32 v12, 0x80000000, v12
	v_or3_b32 v6, v6, v12, v8
	v_mov_b32_e32 v17, v7
	v_mov_b32_e32 v16, v6
.LBB251_1239:                           ;   in Loop: Header=BB251_927 Depth=1
	s_or_b32 exec_lo, exec_lo, s12
.LBB251_1240:                           ;   in Loop: Header=BB251_927 Depth=1
	s_or_b32 exec_lo, exec_lo, s11
.LBB251_1241:                           ;   in Loop: Header=BB251_927 Depth=1
	s_or_b32 exec_lo, exec_lo, s9
	v_cmp_ne_u16_sdwa s4, v11, v7 src0_sel:BYTE_1 src1_sel:DWORD
	s_and_saveexec_b32 s9, s4
	s_cbranch_execz .LBB251_1249
; %bb.1242:                             ;   in Loop: Header=BB251_927 Depth=1
	v_mov_b32_e32 v8, v7
	v_mov_b32_e32 v19, v9
	v_cmp_ne_u16_sdwa s4, v11, v83 src0_sel:BYTE_1 src1_sel:DWORD
	v_mov_b32_e32 v18, v8
	s_and_saveexec_b32 s11, s4
	s_cbranch_execz .LBB251_1248
; %bb.1243:                             ;   in Loop: Header=BB251_927 Depth=1
	v_mov_b32_e32 v6, 0xffff
	v_mov_b32_e32 v12, v7
	;; [unrolled: 1-line block ×3, first 2 shown]
	s_mov_b32 s12, exec_lo
	v_and_b32_sdwa v6, v6, v11 dst_sel:DWORD dst_unused:UNUSED_PAD src0_sel:DWORD src1_sel:BYTE_1
	v_mov_b32_e32 v18, v12
	v_and_b32_e32 v20, 0x7f, v6
	v_cmpx_ne_u32_e32 0x7f, v20
	s_cbranch_execz .LBB251_1247
; %bb.1244:                             ;   in Loop: Header=BB251_927 Depth=1
	v_and_b32_e32 v6, 7, v6
	v_lshrrev_b32_e32 v8, 3, v20
	s_mov_b32 s13, exec_lo
	v_cmpx_gt_u32_e32 8, v20
; %bb.1245:                             ;   in Loop: Header=BB251_927 Depth=1
	v_ffbh_u32_e32 v8, v6
	v_min_u32_e32 v8, 32, v8
	v_subrev_nc_u32_e32 v12, 28, v8
	v_sub_nc_u32_e32 v8, 29, v8
	v_lshlrev_b64 v[18:19], v12, v[6:7]
	v_and_b32_e32 v6, 7, v18
; %bb.1246:                             ;   in Loop: Header=BB251_927 Depth=1
	s_or_b32 exec_lo, exec_lo, s13
	v_lshlrev_b32_e32 v12, 16, v11
	v_lshlrev_b32_e32 v6, 20, v6
	v_lshl_add_u32 v8, v8, 23, 0x3c000000
	v_mov_b32_e32 v18, v7
	v_and_b32_e32 v12, 0x80000000, v12
	v_or3_b32 v19, v6, v12, v8
.LBB251_1247:                           ;   in Loop: Header=BB251_927 Depth=1
	s_or_b32 exec_lo, exec_lo, s12
.LBB251_1248:                           ;   in Loop: Header=BB251_927 Depth=1
	s_or_b32 exec_lo, exec_lo, s11
.LBB251_1249:                           ;   in Loop: Header=BB251_927 Depth=1
	s_or_b32 exec_lo, exec_lo, s9
	v_mov_b32_e32 v22, 0
	v_mov_b32_e32 v20, 0
	v_and_b32_sdwa v6, v11, v85 dst_sel:DWORD dst_unused:UNUSED_PAD src0_sel:WORD_1 src1_sel:DWORD
	v_mov_b32_e32 v23, 0
	v_mov_b32_e32 v21, 0
	s_mov_b32 s9, exec_lo
	v_cmpx_ne_u16_e32 0, v6
	s_cbranch_execz .LBB251_1257
; %bb.1250:                             ;   in Loop: Header=BB251_927 Depth=1
	v_bfrev_b32_e32 v20, 1
	v_mov_b32_e32 v21, 0
	s_mov_b32 s11, exec_lo
	v_cmpx_ne_u16_e32 0x80, v6
	s_cbranch_execz .LBB251_1256
; %bb.1251:                             ;   in Loop: Header=BB251_927 Depth=1
	v_mov_b32_e32 v20, 0x7f800001
	v_bfe_u32 v12, v11, 16, 7
	v_mov_b32_e32 v21, 0
	s_mov_b32 s12, exec_lo
	v_cmpx_ne_u32_e32 0x7f, v12
	s_cbranch_execz .LBB251_1255
; %bb.1252:                             ;   in Loop: Header=BB251_927 Depth=1
	v_mov_b32_e32 v6, 7
	v_lshrrev_b32_e32 v8, 3, v12
	s_mov_b32 s13, exec_lo
	v_and_b32_sdwa v6, v11, v6 dst_sel:DWORD dst_unused:UNUSED_PAD src0_sel:WORD_1 src1_sel:DWORD
	v_cmpx_gt_u32_e32 8, v12
; %bb.1253:                             ;   in Loop: Header=BB251_927 Depth=1
	v_ffbh_u32_e32 v8, v6
	v_min_u32_e32 v8, 32, v8
	v_subrev_nc_u32_e32 v12, 28, v8
	v_sub_nc_u32_e32 v8, 29, v8
	v_lshlrev_b64 v[20:21], v12, v[6:7]
	v_and_b32_e32 v6, 7, v20
; %bb.1254:                             ;   in Loop: Header=BB251_927 Depth=1
	s_or_b32 exec_lo, exec_lo, s13
	v_mov_b32_e32 v10, 24
	v_lshlrev_b32_e32 v6, 20, v6
	v_lshl_add_u32 v8, v8, 23, 0x3c000000
	v_lshlrev_b32_sdwa v12, v10, v11 dst_sel:DWORD dst_unused:UNUSED_PAD src0_sel:DWORD src1_sel:WORD_1
	v_and_b32_e32 v12, 0x80000000, v12
	v_or3_b32 v6, v6, v12, v8
	v_mov_b32_e32 v21, v7
	v_mov_b32_e32 v20, v6
.LBB251_1255:                           ;   in Loop: Header=BB251_927 Depth=1
	s_or_b32 exec_lo, exec_lo, s12
.LBB251_1256:                           ;   in Loop: Header=BB251_927 Depth=1
	s_or_b32 exec_lo, exec_lo, s11
.LBB251_1257:                           ;   in Loop: Header=BB251_927 Depth=1
	s_or_b32 exec_lo, exec_lo, s9
	s_mov_b32 s9, exec_lo
	v_cmpx_lt_u32_e32 0xffffff, v11
	s_cbranch_execz .LBB251_1265
; %bb.1258:                             ;   in Loop: Header=BB251_927 Depth=1
	v_mov_b32_e32 v8, v7
	v_mov_b32_e32 v23, v9
	v_cmp_ne_u32_sdwa s4, v11, v83 src0_sel:BYTE_3 src1_sel:DWORD
	v_mov_b32_e32 v22, v8
	s_and_saveexec_b32 s11, s4
	s_cbranch_execz .LBB251_1264
; %bb.1259:                             ;   in Loop: Header=BB251_927 Depth=1
	v_mov_b32_e32 v12, v7
	v_mov_b32_e32 v23, v13
	v_bfe_u32 v24, v11, 24, 7
	s_mov_b32 s12, exec_lo
	v_mov_b32_e32 v22, v12
	v_cmpx_ne_u32_e32 0x7f, v24
	s_cbranch_execz .LBB251_1263
; %bb.1260:                             ;   in Loop: Header=BB251_927 Depth=1
	v_mov_b32_e32 v6, 7
	v_lshrrev_b32_e32 v8, 3, v24
	s_mov_b32 s13, exec_lo
	v_and_b32_sdwa v6, v11, v6 dst_sel:DWORD dst_unused:UNUSED_PAD src0_sel:BYTE_3 src1_sel:DWORD
	v_cmpx_gt_u32_e32 8, v24
; %bb.1261:                             ;   in Loop: Header=BB251_927 Depth=1
	v_ffbh_u32_e32 v8, v6
	v_min_u32_e32 v8, 32, v8
	v_subrev_nc_u32_e32 v12, 28, v8
	v_sub_nc_u32_e32 v8, 29, v8
	v_lshlrev_b64 v[22:23], v12, v[6:7]
	v_and_b32_e32 v6, 7, v22
; %bb.1262:                             ;   in Loop: Header=BB251_927 Depth=1
	s_or_b32 exec_lo, exec_lo, s13
	v_mov_b32_e32 v10, 24
	v_lshlrev_b32_e32 v6, 20, v6
	v_lshl_add_u32 v8, v8, 23, 0x3c000000
	v_mov_b32_e32 v22, v7
	v_lshlrev_b32_sdwa v11, v10, v11 dst_sel:DWORD dst_unused:UNUSED_PAD src0_sel:DWORD src1_sel:BYTE_3
	v_and_b32_e32 v11, 0x80000000, v11
	v_or3_b32 v23, v6, v11, v8
.LBB251_1263:                           ;   in Loop: Header=BB251_927 Depth=1
	s_or_b32 exec_lo, exec_lo, s12
.LBB251_1264:                           ;   in Loop: Header=BB251_927 Depth=1
	s_or_b32 exec_lo, exec_lo, s11
.LBB251_1265:                           ;   in Loop: Header=BB251_927 Depth=1
	s_or_b32 exec_lo, exec_lo, s9
	v_or_b32_e32 v6, v19, v17
	v_or_b32_e32 v8, v18, v16
	;; [unrolled: 1-line block ×4, first 2 shown]
	v_mul_f32_e32 v6, v98, v6
	buffer_store_dword v6, off, s[0:3], s32 offset:512 ; 4-byte Folded Spill
	v_mul_f32_e32 v6, v81, v8
	buffer_store_dword v6, off, s[0:3], s32 offset:504 ; 4-byte Folded Spill
	;; [unrolled: 2-line block ×4, first 2 shown]
	s_and_saveexec_b32 s9, vcc_lo
	s_cbranch_execz .LBB251_1267
; %bb.1266:                             ;   in Loop: Header=BB251_927 Depth=1
	buffer_load_dword v6, off, s[0:3], s32 offset:504 ; 4-byte Folded Reload
	v_cmp_lt_i32_e64 s4, v115, v99
	s_waitcnt vmcnt(0)
	v_cndmask_b32_e64 v6, 0, v6, s4
	v_cmp_lt_i32_e64 s4, v117, v99
	buffer_store_dword v6, off, s[0:3], s32 offset:504 ; 4-byte Folded Spill
	buffer_load_dword v6, off, s[0:3], s32 offset:512 ; 4-byte Folded Reload
	s_waitcnt vmcnt(0)
	v_cndmask_b32_e64 v6, 0, v6, s4
	v_cmp_lt_i32_e64 s4, v116, v99
	buffer_store_dword v6, off, s[0:3], s32 offset:512 ; 4-byte Folded Spill
	buffer_load_dword v6, off, s[0:3], s32 offset:496 ; 4-byte Folded Reload
	;; [unrolled: 5-line block ×3, first 2 shown]
	s_waitcnt vmcnt(0)
	v_cndmask_b32_e64 v6, 0, v6, s4
	buffer_store_dword v6, off, s[0:3], s32 offset:488 ; 4-byte Folded Spill
.LBB251_1267:                           ;   in Loop: Header=BB251_927 Depth=1
	s_or_b32 exec_lo, exec_lo, s9
	flat_load_dword v11, v[4:5] offset:1280
	v_mov_b32_e32 v18, 0
	v_mov_b32_e32 v16, 0
	;; [unrolled: 1-line block ×4, first 2 shown]
	s_waitcnt vmcnt(0) lgkmcnt(0)
	v_cmp_ne_u16_sdwa s4, v11, v7 src0_sel:BYTE_0 src1_sel:DWORD
	s_and_saveexec_b32 s9, s4
	s_cbranch_execz .LBB251_1275
; %bb.1268:                             ;   in Loop: Header=BB251_927 Depth=1
	v_bfrev_b32_e32 v16, 1
	v_mov_b32_e32 v17, 0
	v_cmp_ne_u16_sdwa s4, v11, v83 src0_sel:BYTE_0 src1_sel:DWORD
	s_and_saveexec_b32 s11, s4
	s_cbranch_execz .LBB251_1274
; %bb.1269:                             ;   in Loop: Header=BB251_927 Depth=1
	v_mov_b32_e32 v16, 0x7f800001
	v_and_b32_e32 v12, 0x7f, v11
	v_mov_b32_e32 v17, 0
	s_mov_b32 s12, exec_lo
	v_cmpx_ne_u32_e32 0x7f, v12
	s_cbranch_execz .LBB251_1273
; %bb.1270:                             ;   in Loop: Header=BB251_927 Depth=1
	v_and_b32_e32 v6, 7, v11
	v_lshrrev_b32_e32 v8, 3, v12
	s_mov_b32 s13, exec_lo
	v_cmpx_gt_u32_e32 8, v12
; %bb.1271:                             ;   in Loop: Header=BB251_927 Depth=1
	v_ffbh_u32_e32 v8, v6
	v_min_u32_e32 v8, 32, v8
	v_subrev_nc_u32_e32 v12, 28, v8
	v_sub_nc_u32_e32 v8, 29, v8
	v_lshlrev_b64 v[16:17], v12, v[6:7]
	v_and_b32_e32 v6, 7, v16
; %bb.1272:                             ;   in Loop: Header=BB251_927 Depth=1
	s_or_b32 exec_lo, exec_lo, s13
	v_lshlrev_b32_e32 v12, 24, v11
	v_lshlrev_b32_e32 v6, 20, v6
	v_lshl_add_u32 v8, v8, 23, 0x3c000000
	v_and_b32_e32 v12, 0x80000000, v12
	v_or3_b32 v6, v6, v12, v8
	v_mov_b32_e32 v17, v7
	v_mov_b32_e32 v16, v6
.LBB251_1273:                           ;   in Loop: Header=BB251_927 Depth=1
	s_or_b32 exec_lo, exec_lo, s12
.LBB251_1274:                           ;   in Loop: Header=BB251_927 Depth=1
	s_or_b32 exec_lo, exec_lo, s11
.LBB251_1275:                           ;   in Loop: Header=BB251_927 Depth=1
	s_or_b32 exec_lo, exec_lo, s9
	v_cmp_ne_u16_sdwa s4, v11, v7 src0_sel:BYTE_1 src1_sel:DWORD
	s_and_saveexec_b32 s9, s4
	s_cbranch_execz .LBB251_1283
; %bb.1276:                             ;   in Loop: Header=BB251_927 Depth=1
	v_mov_b32_e32 v8, v7
	v_mov_b32_e32 v19, v9
	v_cmp_ne_u16_sdwa s4, v11, v83 src0_sel:BYTE_1 src1_sel:DWORD
	v_mov_b32_e32 v18, v8
	s_and_saveexec_b32 s11, s4
	s_cbranch_execz .LBB251_1282
; %bb.1277:                             ;   in Loop: Header=BB251_927 Depth=1
	v_mov_b32_e32 v6, 0xffff
	v_mov_b32_e32 v12, v7
	;; [unrolled: 1-line block ×3, first 2 shown]
	s_mov_b32 s12, exec_lo
	v_and_b32_sdwa v6, v6, v11 dst_sel:DWORD dst_unused:UNUSED_PAD src0_sel:DWORD src1_sel:BYTE_1
	v_mov_b32_e32 v18, v12
	v_and_b32_e32 v20, 0x7f, v6
	v_cmpx_ne_u32_e32 0x7f, v20
	s_cbranch_execz .LBB251_1281
; %bb.1278:                             ;   in Loop: Header=BB251_927 Depth=1
	v_and_b32_e32 v6, 7, v6
	v_lshrrev_b32_e32 v8, 3, v20
	s_mov_b32 s13, exec_lo
	v_cmpx_gt_u32_e32 8, v20
; %bb.1279:                             ;   in Loop: Header=BB251_927 Depth=1
	v_ffbh_u32_e32 v8, v6
	v_min_u32_e32 v8, 32, v8
	v_subrev_nc_u32_e32 v12, 28, v8
	v_sub_nc_u32_e32 v8, 29, v8
	v_lshlrev_b64 v[18:19], v12, v[6:7]
	v_and_b32_e32 v6, 7, v18
; %bb.1280:                             ;   in Loop: Header=BB251_927 Depth=1
	s_or_b32 exec_lo, exec_lo, s13
	v_lshlrev_b32_e32 v12, 16, v11
	v_lshlrev_b32_e32 v6, 20, v6
	v_lshl_add_u32 v8, v8, 23, 0x3c000000
	v_mov_b32_e32 v18, v7
	v_and_b32_e32 v12, 0x80000000, v12
	v_or3_b32 v19, v6, v12, v8
.LBB251_1281:                           ;   in Loop: Header=BB251_927 Depth=1
	s_or_b32 exec_lo, exec_lo, s12
.LBB251_1282:                           ;   in Loop: Header=BB251_927 Depth=1
	s_or_b32 exec_lo, exec_lo, s11
.LBB251_1283:                           ;   in Loop: Header=BB251_927 Depth=1
	s_or_b32 exec_lo, exec_lo, s9
	v_mov_b32_e32 v22, 0
	v_mov_b32_e32 v20, 0
	v_and_b32_sdwa v6, v11, v85 dst_sel:DWORD dst_unused:UNUSED_PAD src0_sel:WORD_1 src1_sel:DWORD
	v_mov_b32_e32 v23, 0
	v_mov_b32_e32 v21, 0
	s_mov_b32 s9, exec_lo
	v_cmpx_ne_u16_e32 0, v6
	s_cbranch_execz .LBB251_1291
; %bb.1284:                             ;   in Loop: Header=BB251_927 Depth=1
	v_bfrev_b32_e32 v20, 1
	v_mov_b32_e32 v21, 0
	s_mov_b32 s11, exec_lo
	v_cmpx_ne_u16_e32 0x80, v6
	s_cbranch_execz .LBB251_1290
; %bb.1285:                             ;   in Loop: Header=BB251_927 Depth=1
	v_mov_b32_e32 v20, 0x7f800001
	v_bfe_u32 v12, v11, 16, 7
	v_mov_b32_e32 v21, 0
	s_mov_b32 s12, exec_lo
	v_cmpx_ne_u32_e32 0x7f, v12
	s_cbranch_execz .LBB251_1289
; %bb.1286:                             ;   in Loop: Header=BB251_927 Depth=1
	v_mov_b32_e32 v6, 7
	v_lshrrev_b32_e32 v8, 3, v12
	s_mov_b32 s13, exec_lo
	v_and_b32_sdwa v6, v11, v6 dst_sel:DWORD dst_unused:UNUSED_PAD src0_sel:WORD_1 src1_sel:DWORD
	v_cmpx_gt_u32_e32 8, v12
; %bb.1287:                             ;   in Loop: Header=BB251_927 Depth=1
	v_ffbh_u32_e32 v8, v6
	v_min_u32_e32 v8, 32, v8
	v_subrev_nc_u32_e32 v12, 28, v8
	v_sub_nc_u32_e32 v8, 29, v8
	v_lshlrev_b64 v[20:21], v12, v[6:7]
	v_and_b32_e32 v6, 7, v20
; %bb.1288:                             ;   in Loop: Header=BB251_927 Depth=1
	s_or_b32 exec_lo, exec_lo, s13
	v_mov_b32_e32 v10, 24
	v_lshlrev_b32_e32 v6, 20, v6
	v_lshl_add_u32 v8, v8, 23, 0x3c000000
	v_lshlrev_b32_sdwa v12, v10, v11 dst_sel:DWORD dst_unused:UNUSED_PAD src0_sel:DWORD src1_sel:WORD_1
	v_and_b32_e32 v12, 0x80000000, v12
	v_or3_b32 v6, v6, v12, v8
	v_mov_b32_e32 v21, v7
	v_mov_b32_e32 v20, v6
.LBB251_1289:                           ;   in Loop: Header=BB251_927 Depth=1
	s_or_b32 exec_lo, exec_lo, s12
.LBB251_1290:                           ;   in Loop: Header=BB251_927 Depth=1
	s_or_b32 exec_lo, exec_lo, s11
.LBB251_1291:                           ;   in Loop: Header=BB251_927 Depth=1
	s_or_b32 exec_lo, exec_lo, s9
	s_mov_b32 s9, exec_lo
	v_cmpx_lt_u32_e32 0xffffff, v11
	s_cbranch_execz .LBB251_1299
; %bb.1292:                             ;   in Loop: Header=BB251_927 Depth=1
	v_mov_b32_e32 v8, v7
	v_mov_b32_e32 v23, v9
	v_cmp_ne_u32_sdwa s4, v11, v83 src0_sel:BYTE_3 src1_sel:DWORD
	v_mov_b32_e32 v22, v8
	s_and_saveexec_b32 s11, s4
	s_cbranch_execz .LBB251_1298
; %bb.1293:                             ;   in Loop: Header=BB251_927 Depth=1
	v_mov_b32_e32 v12, v7
	v_mov_b32_e32 v23, v13
	v_bfe_u32 v24, v11, 24, 7
	s_mov_b32 s12, exec_lo
	v_mov_b32_e32 v22, v12
	v_cmpx_ne_u32_e32 0x7f, v24
	s_cbranch_execz .LBB251_1297
; %bb.1294:                             ;   in Loop: Header=BB251_927 Depth=1
	v_mov_b32_e32 v6, 7
	v_lshrrev_b32_e32 v8, 3, v24
	s_mov_b32 s13, exec_lo
	v_and_b32_sdwa v6, v11, v6 dst_sel:DWORD dst_unused:UNUSED_PAD src0_sel:BYTE_3 src1_sel:DWORD
	v_cmpx_gt_u32_e32 8, v24
; %bb.1295:                             ;   in Loop: Header=BB251_927 Depth=1
	v_ffbh_u32_e32 v8, v6
	v_min_u32_e32 v8, 32, v8
	v_subrev_nc_u32_e32 v12, 28, v8
	v_sub_nc_u32_e32 v8, 29, v8
	v_lshlrev_b64 v[22:23], v12, v[6:7]
	v_and_b32_e32 v6, 7, v22
; %bb.1296:                             ;   in Loop: Header=BB251_927 Depth=1
	s_or_b32 exec_lo, exec_lo, s13
	v_mov_b32_e32 v10, 24
	v_lshlrev_b32_e32 v6, 20, v6
	v_lshl_add_u32 v8, v8, 23, 0x3c000000
	v_mov_b32_e32 v22, v7
	v_lshlrev_b32_sdwa v11, v10, v11 dst_sel:DWORD dst_unused:UNUSED_PAD src0_sel:DWORD src1_sel:BYTE_3
	v_and_b32_e32 v11, 0x80000000, v11
	v_or3_b32 v23, v6, v11, v8
.LBB251_1297:                           ;   in Loop: Header=BB251_927 Depth=1
	s_or_b32 exec_lo, exec_lo, s12
.LBB251_1298:                           ;   in Loop: Header=BB251_927 Depth=1
	s_or_b32 exec_lo, exec_lo, s11
.LBB251_1299:                           ;   in Loop: Header=BB251_927 Depth=1
	s_or_b32 exec_lo, exec_lo, s9
	v_or_b32_e32 v6, v19, v17
	v_or_b32_e32 v8, v18, v16
	;; [unrolled: 1-line block ×4, first 2 shown]
	v_mul_f32_e32 v104, v98, v6
	v_mul_f32_e32 v105, v81, v8
	;; [unrolled: 1-line block ×4, first 2 shown]
	buffer_store_dword v6, off, s[0:3], s32 offset:520 ; 4-byte Folded Spill
	s_and_saveexec_b32 s9, vcc_lo
	s_cbranch_execz .LBB251_1301
; %bb.1300:                             ;   in Loop: Header=BB251_927 Depth=1
	buffer_load_dword v6, off, s[0:3], s32 offset:520 ; 4-byte Folded Reload
	v_cmp_lt_i32_e64 s4, v115, v99
	v_cndmask_b32_e64 v105, 0, v105, s4
	v_cmp_lt_i32_e64 s4, v117, v99
	v_cndmask_b32_e64 v104, 0, v104, s4
	;; [unrolled: 2-line block ×3, first 2 shown]
	v_cmp_lt_i32_e64 s4, v96, v99
	s_waitcnt vmcnt(0)
	v_cndmask_b32_e64 v6, 0, v6, s4
	buffer_store_dword v6, off, s[0:3], s32 offset:520 ; 4-byte Folded Spill
.LBB251_1301:                           ;   in Loop: Header=BB251_927 Depth=1
	s_or_b32 exec_lo, exec_lo, s9
	flat_load_dword v11, v[4:5] offset:1408
	v_mov_b32_e32 v18, 0
	v_mov_b32_e32 v16, 0
	;; [unrolled: 1-line block ×4, first 2 shown]
	s_waitcnt vmcnt(0) lgkmcnt(0)
	v_cmp_ne_u16_sdwa s4, v11, v7 src0_sel:BYTE_0 src1_sel:DWORD
	s_and_saveexec_b32 s9, s4
	s_cbranch_execz .LBB251_1309
; %bb.1302:                             ;   in Loop: Header=BB251_927 Depth=1
	v_bfrev_b32_e32 v16, 1
	v_mov_b32_e32 v17, 0
	v_cmp_ne_u16_sdwa s4, v11, v83 src0_sel:BYTE_0 src1_sel:DWORD
	s_and_saveexec_b32 s11, s4
	s_cbranch_execz .LBB251_1308
; %bb.1303:                             ;   in Loop: Header=BB251_927 Depth=1
	v_mov_b32_e32 v16, 0x7f800001
	v_and_b32_e32 v12, 0x7f, v11
	v_mov_b32_e32 v17, 0
	s_mov_b32 s12, exec_lo
	v_cmpx_ne_u32_e32 0x7f, v12
	s_cbranch_execz .LBB251_1307
; %bb.1304:                             ;   in Loop: Header=BB251_927 Depth=1
	v_and_b32_e32 v6, 7, v11
	v_lshrrev_b32_e32 v8, 3, v12
	s_mov_b32 s13, exec_lo
	v_cmpx_gt_u32_e32 8, v12
; %bb.1305:                             ;   in Loop: Header=BB251_927 Depth=1
	v_ffbh_u32_e32 v8, v6
	v_min_u32_e32 v8, 32, v8
	v_subrev_nc_u32_e32 v12, 28, v8
	v_sub_nc_u32_e32 v8, 29, v8
	v_lshlrev_b64 v[16:17], v12, v[6:7]
	v_and_b32_e32 v6, 7, v16
; %bb.1306:                             ;   in Loop: Header=BB251_927 Depth=1
	s_or_b32 exec_lo, exec_lo, s13
	v_lshlrev_b32_e32 v12, 24, v11
	v_lshlrev_b32_e32 v6, 20, v6
	v_lshl_add_u32 v8, v8, 23, 0x3c000000
	v_and_b32_e32 v12, 0x80000000, v12
	v_or3_b32 v6, v6, v12, v8
	v_mov_b32_e32 v17, v7
	v_mov_b32_e32 v16, v6
.LBB251_1307:                           ;   in Loop: Header=BB251_927 Depth=1
	s_or_b32 exec_lo, exec_lo, s12
.LBB251_1308:                           ;   in Loop: Header=BB251_927 Depth=1
	s_or_b32 exec_lo, exec_lo, s11
.LBB251_1309:                           ;   in Loop: Header=BB251_927 Depth=1
	s_or_b32 exec_lo, exec_lo, s9
	v_cmp_ne_u16_sdwa s4, v11, v7 src0_sel:BYTE_1 src1_sel:DWORD
	s_and_saveexec_b32 s9, s4
	s_cbranch_execz .LBB251_1317
; %bb.1310:                             ;   in Loop: Header=BB251_927 Depth=1
	v_mov_b32_e32 v8, v7
	v_mov_b32_e32 v19, v9
	v_cmp_ne_u16_sdwa s4, v11, v83 src0_sel:BYTE_1 src1_sel:DWORD
	v_mov_b32_e32 v18, v8
	s_and_saveexec_b32 s11, s4
	s_cbranch_execz .LBB251_1316
; %bb.1311:                             ;   in Loop: Header=BB251_927 Depth=1
	v_mov_b32_e32 v6, 0xffff
	v_mov_b32_e32 v12, v7
	;; [unrolled: 1-line block ×3, first 2 shown]
	s_mov_b32 s12, exec_lo
	v_and_b32_sdwa v6, v6, v11 dst_sel:DWORD dst_unused:UNUSED_PAD src0_sel:DWORD src1_sel:BYTE_1
	v_mov_b32_e32 v18, v12
	v_and_b32_e32 v20, 0x7f, v6
	v_cmpx_ne_u32_e32 0x7f, v20
	s_cbranch_execz .LBB251_1315
; %bb.1312:                             ;   in Loop: Header=BB251_927 Depth=1
	v_and_b32_e32 v6, 7, v6
	v_lshrrev_b32_e32 v8, 3, v20
	s_mov_b32 s13, exec_lo
	v_cmpx_gt_u32_e32 8, v20
; %bb.1313:                             ;   in Loop: Header=BB251_927 Depth=1
	v_ffbh_u32_e32 v8, v6
	v_min_u32_e32 v8, 32, v8
	v_subrev_nc_u32_e32 v12, 28, v8
	v_sub_nc_u32_e32 v8, 29, v8
	v_lshlrev_b64 v[18:19], v12, v[6:7]
	v_and_b32_e32 v6, 7, v18
; %bb.1314:                             ;   in Loop: Header=BB251_927 Depth=1
	s_or_b32 exec_lo, exec_lo, s13
	v_lshlrev_b32_e32 v12, 16, v11
	v_lshlrev_b32_e32 v6, 20, v6
	v_lshl_add_u32 v8, v8, 23, 0x3c000000
	v_mov_b32_e32 v18, v7
	v_and_b32_e32 v12, 0x80000000, v12
	v_or3_b32 v19, v6, v12, v8
.LBB251_1315:                           ;   in Loop: Header=BB251_927 Depth=1
	s_or_b32 exec_lo, exec_lo, s12
.LBB251_1316:                           ;   in Loop: Header=BB251_927 Depth=1
	s_or_b32 exec_lo, exec_lo, s11
.LBB251_1317:                           ;   in Loop: Header=BB251_927 Depth=1
	s_or_b32 exec_lo, exec_lo, s9
	v_mov_b32_e32 v22, 0
	v_mov_b32_e32 v20, 0
	v_and_b32_sdwa v6, v11, v85 dst_sel:DWORD dst_unused:UNUSED_PAD src0_sel:WORD_1 src1_sel:DWORD
	v_mov_b32_e32 v23, 0
	v_mov_b32_e32 v21, 0
	s_mov_b32 s9, exec_lo
	v_cmpx_ne_u16_e32 0, v6
	s_cbranch_execz .LBB251_1325
; %bb.1318:                             ;   in Loop: Header=BB251_927 Depth=1
	v_bfrev_b32_e32 v20, 1
	v_mov_b32_e32 v21, 0
	s_mov_b32 s11, exec_lo
	v_cmpx_ne_u16_e32 0x80, v6
	s_cbranch_execz .LBB251_1324
; %bb.1319:                             ;   in Loop: Header=BB251_927 Depth=1
	v_mov_b32_e32 v20, 0x7f800001
	v_bfe_u32 v12, v11, 16, 7
	v_mov_b32_e32 v21, 0
	s_mov_b32 s12, exec_lo
	v_cmpx_ne_u32_e32 0x7f, v12
	s_cbranch_execz .LBB251_1323
; %bb.1320:                             ;   in Loop: Header=BB251_927 Depth=1
	v_mov_b32_e32 v6, 7
	v_lshrrev_b32_e32 v8, 3, v12
	s_mov_b32 s13, exec_lo
	v_and_b32_sdwa v6, v11, v6 dst_sel:DWORD dst_unused:UNUSED_PAD src0_sel:WORD_1 src1_sel:DWORD
	v_cmpx_gt_u32_e32 8, v12
; %bb.1321:                             ;   in Loop: Header=BB251_927 Depth=1
	v_ffbh_u32_e32 v8, v6
	v_min_u32_e32 v8, 32, v8
	v_subrev_nc_u32_e32 v12, 28, v8
	v_sub_nc_u32_e32 v8, 29, v8
	v_lshlrev_b64 v[20:21], v12, v[6:7]
	v_and_b32_e32 v6, 7, v20
; %bb.1322:                             ;   in Loop: Header=BB251_927 Depth=1
	s_or_b32 exec_lo, exec_lo, s13
	v_mov_b32_e32 v10, 24
	v_lshlrev_b32_e32 v6, 20, v6
	v_lshl_add_u32 v8, v8, 23, 0x3c000000
	v_lshlrev_b32_sdwa v12, v10, v11 dst_sel:DWORD dst_unused:UNUSED_PAD src0_sel:DWORD src1_sel:WORD_1
	v_and_b32_e32 v12, 0x80000000, v12
	v_or3_b32 v6, v6, v12, v8
	v_mov_b32_e32 v21, v7
	v_mov_b32_e32 v20, v6
.LBB251_1323:                           ;   in Loop: Header=BB251_927 Depth=1
	s_or_b32 exec_lo, exec_lo, s12
.LBB251_1324:                           ;   in Loop: Header=BB251_927 Depth=1
	s_or_b32 exec_lo, exec_lo, s11
.LBB251_1325:                           ;   in Loop: Header=BB251_927 Depth=1
	s_or_b32 exec_lo, exec_lo, s9
	s_mov_b32 s9, exec_lo
	v_cmpx_lt_u32_e32 0xffffff, v11
	s_cbranch_execz .LBB251_1333
; %bb.1326:                             ;   in Loop: Header=BB251_927 Depth=1
	v_mov_b32_e32 v8, v7
	v_mov_b32_e32 v23, v9
	v_cmp_ne_u32_sdwa s4, v11, v83 src0_sel:BYTE_3 src1_sel:DWORD
	v_mov_b32_e32 v22, v8
	s_and_saveexec_b32 s11, s4
	s_cbranch_execz .LBB251_1332
; %bb.1327:                             ;   in Loop: Header=BB251_927 Depth=1
	v_mov_b32_e32 v12, v7
	v_mov_b32_e32 v23, v13
	v_bfe_u32 v24, v11, 24, 7
	s_mov_b32 s12, exec_lo
	v_mov_b32_e32 v22, v12
	v_cmpx_ne_u32_e32 0x7f, v24
	s_cbranch_execz .LBB251_1331
; %bb.1328:                             ;   in Loop: Header=BB251_927 Depth=1
	v_mov_b32_e32 v6, 7
	v_lshrrev_b32_e32 v8, 3, v24
	s_mov_b32 s13, exec_lo
	v_and_b32_sdwa v6, v11, v6 dst_sel:DWORD dst_unused:UNUSED_PAD src0_sel:BYTE_3 src1_sel:DWORD
	v_cmpx_gt_u32_e32 8, v24
; %bb.1329:                             ;   in Loop: Header=BB251_927 Depth=1
	v_ffbh_u32_e32 v8, v6
	v_min_u32_e32 v8, 32, v8
	v_subrev_nc_u32_e32 v12, 28, v8
	v_sub_nc_u32_e32 v8, 29, v8
	v_lshlrev_b64 v[22:23], v12, v[6:7]
	v_and_b32_e32 v6, 7, v22
; %bb.1330:                             ;   in Loop: Header=BB251_927 Depth=1
	s_or_b32 exec_lo, exec_lo, s13
	v_mov_b32_e32 v10, 24
	v_lshlrev_b32_e32 v6, 20, v6
	v_lshl_add_u32 v8, v8, 23, 0x3c000000
	v_mov_b32_e32 v22, v7
	v_lshlrev_b32_sdwa v11, v10, v11 dst_sel:DWORD dst_unused:UNUSED_PAD src0_sel:DWORD src1_sel:BYTE_3
	v_and_b32_e32 v11, 0x80000000, v11
	v_or3_b32 v23, v6, v11, v8
.LBB251_1331:                           ;   in Loop: Header=BB251_927 Depth=1
	s_or_b32 exec_lo, exec_lo, s12
.LBB251_1332:                           ;   in Loop: Header=BB251_927 Depth=1
	s_or_b32 exec_lo, exec_lo, s11
.LBB251_1333:                           ;   in Loop: Header=BB251_927 Depth=1
	s_or_b32 exec_lo, exec_lo, s9
	v_or_b32_e32 v6, v19, v17
	v_or_b32_e32 v8, v18, v16
	;; [unrolled: 1-line block ×4, first 2 shown]
	v_mul_f32_e32 v108, v98, v6
	v_mul_f32_e32 v109, v81, v8
	v_mul_f32_e32 v107, v81, v11
	v_mul_f32_e32 v106, v98, v12
	s_and_saveexec_b32 s9, vcc_lo
	s_cbranch_execz .LBB251_1335
; %bb.1334:                             ;   in Loop: Header=BB251_927 Depth=1
	v_cmp_lt_i32_e64 s4, v115, v99
	v_cndmask_b32_e64 v109, 0, v109, s4
	v_cmp_lt_i32_e64 s4, v117, v99
	v_cndmask_b32_e64 v108, 0, v108, s4
	;; [unrolled: 2-line block ×4, first 2 shown]
.LBB251_1335:                           ;   in Loop: Header=BB251_927 Depth=1
	s_or_b32 exec_lo, exec_lo, s9
	flat_load_dword v11, v[4:5] offset:1536
	v_mov_b32_e32 v18, 0
	v_mov_b32_e32 v16, 0
	v_mov_b32_e32 v19, 0
	v_mov_b32_e32 v17, 0
	s_waitcnt vmcnt(0) lgkmcnt(0)
	v_cmp_ne_u16_sdwa s4, v11, v7 src0_sel:BYTE_0 src1_sel:DWORD
	s_and_saveexec_b32 s9, s4
	s_cbranch_execz .LBB251_1343
; %bb.1336:                             ;   in Loop: Header=BB251_927 Depth=1
	v_bfrev_b32_e32 v16, 1
	v_mov_b32_e32 v17, 0
	v_cmp_ne_u16_sdwa s4, v11, v83 src0_sel:BYTE_0 src1_sel:DWORD
	s_and_saveexec_b32 s11, s4
	s_cbranch_execz .LBB251_1342
; %bb.1337:                             ;   in Loop: Header=BB251_927 Depth=1
	v_mov_b32_e32 v16, 0x7f800001
	v_and_b32_e32 v12, 0x7f, v11
	v_mov_b32_e32 v17, 0
	s_mov_b32 s12, exec_lo
	v_cmpx_ne_u32_e32 0x7f, v12
	s_cbranch_execz .LBB251_1341
; %bb.1338:                             ;   in Loop: Header=BB251_927 Depth=1
	v_and_b32_e32 v6, 7, v11
	v_lshrrev_b32_e32 v8, 3, v12
	s_mov_b32 s13, exec_lo
	v_cmpx_gt_u32_e32 8, v12
; %bb.1339:                             ;   in Loop: Header=BB251_927 Depth=1
	v_ffbh_u32_e32 v8, v6
	v_min_u32_e32 v8, 32, v8
	v_subrev_nc_u32_e32 v12, 28, v8
	v_sub_nc_u32_e32 v8, 29, v8
	v_lshlrev_b64 v[16:17], v12, v[6:7]
	v_and_b32_e32 v6, 7, v16
; %bb.1340:                             ;   in Loop: Header=BB251_927 Depth=1
	s_or_b32 exec_lo, exec_lo, s13
	v_lshlrev_b32_e32 v12, 24, v11
	v_lshlrev_b32_e32 v6, 20, v6
	v_lshl_add_u32 v8, v8, 23, 0x3c000000
	v_and_b32_e32 v12, 0x80000000, v12
	v_or3_b32 v6, v6, v12, v8
	v_mov_b32_e32 v17, v7
	v_mov_b32_e32 v16, v6
.LBB251_1341:                           ;   in Loop: Header=BB251_927 Depth=1
	s_or_b32 exec_lo, exec_lo, s12
.LBB251_1342:                           ;   in Loop: Header=BB251_927 Depth=1
	s_or_b32 exec_lo, exec_lo, s11
.LBB251_1343:                           ;   in Loop: Header=BB251_927 Depth=1
	s_or_b32 exec_lo, exec_lo, s9
	v_cmp_ne_u16_sdwa s4, v11, v7 src0_sel:BYTE_1 src1_sel:DWORD
	s_and_saveexec_b32 s9, s4
	s_cbranch_execz .LBB251_1351
; %bb.1344:                             ;   in Loop: Header=BB251_927 Depth=1
	v_mov_b32_e32 v8, v7
	v_mov_b32_e32 v19, v9
	v_cmp_ne_u16_sdwa s4, v11, v83 src0_sel:BYTE_1 src1_sel:DWORD
	v_mov_b32_e32 v18, v8
	s_and_saveexec_b32 s11, s4
	s_cbranch_execz .LBB251_1350
; %bb.1345:                             ;   in Loop: Header=BB251_927 Depth=1
	v_mov_b32_e32 v6, 0xffff
	v_mov_b32_e32 v12, v7
	;; [unrolled: 1-line block ×3, first 2 shown]
	s_mov_b32 s12, exec_lo
	v_and_b32_sdwa v6, v6, v11 dst_sel:DWORD dst_unused:UNUSED_PAD src0_sel:DWORD src1_sel:BYTE_1
	v_mov_b32_e32 v18, v12
	v_and_b32_e32 v20, 0x7f, v6
	v_cmpx_ne_u32_e32 0x7f, v20
	s_cbranch_execz .LBB251_1349
; %bb.1346:                             ;   in Loop: Header=BB251_927 Depth=1
	v_and_b32_e32 v6, 7, v6
	v_lshrrev_b32_e32 v8, 3, v20
	s_mov_b32 s13, exec_lo
	v_cmpx_gt_u32_e32 8, v20
; %bb.1347:                             ;   in Loop: Header=BB251_927 Depth=1
	v_ffbh_u32_e32 v8, v6
	v_min_u32_e32 v8, 32, v8
	v_subrev_nc_u32_e32 v12, 28, v8
	v_sub_nc_u32_e32 v8, 29, v8
	v_lshlrev_b64 v[18:19], v12, v[6:7]
	v_and_b32_e32 v6, 7, v18
; %bb.1348:                             ;   in Loop: Header=BB251_927 Depth=1
	s_or_b32 exec_lo, exec_lo, s13
	v_lshlrev_b32_e32 v12, 16, v11
	v_lshlrev_b32_e32 v6, 20, v6
	v_lshl_add_u32 v8, v8, 23, 0x3c000000
	v_mov_b32_e32 v18, v7
	v_and_b32_e32 v12, 0x80000000, v12
	v_or3_b32 v19, v6, v12, v8
.LBB251_1349:                           ;   in Loop: Header=BB251_927 Depth=1
	s_or_b32 exec_lo, exec_lo, s12
.LBB251_1350:                           ;   in Loop: Header=BB251_927 Depth=1
	s_or_b32 exec_lo, exec_lo, s11
.LBB251_1351:                           ;   in Loop: Header=BB251_927 Depth=1
	s_or_b32 exec_lo, exec_lo, s9
	v_mov_b32_e32 v22, 0
	v_mov_b32_e32 v20, 0
	v_and_b32_sdwa v6, v11, v85 dst_sel:DWORD dst_unused:UNUSED_PAD src0_sel:WORD_1 src1_sel:DWORD
	v_mov_b32_e32 v23, 0
	v_mov_b32_e32 v21, 0
	s_mov_b32 s9, exec_lo
	v_cmpx_ne_u16_e32 0, v6
	s_cbranch_execz .LBB251_1359
; %bb.1352:                             ;   in Loop: Header=BB251_927 Depth=1
	v_bfrev_b32_e32 v20, 1
	v_mov_b32_e32 v21, 0
	s_mov_b32 s11, exec_lo
	v_cmpx_ne_u16_e32 0x80, v6
	s_cbranch_execz .LBB251_1358
; %bb.1353:                             ;   in Loop: Header=BB251_927 Depth=1
	v_mov_b32_e32 v20, 0x7f800001
	v_bfe_u32 v12, v11, 16, 7
	v_mov_b32_e32 v21, 0
	s_mov_b32 s12, exec_lo
	v_cmpx_ne_u32_e32 0x7f, v12
	s_cbranch_execz .LBB251_1357
; %bb.1354:                             ;   in Loop: Header=BB251_927 Depth=1
	v_mov_b32_e32 v6, 7
	v_lshrrev_b32_e32 v8, 3, v12
	s_mov_b32 s13, exec_lo
	v_and_b32_sdwa v6, v11, v6 dst_sel:DWORD dst_unused:UNUSED_PAD src0_sel:WORD_1 src1_sel:DWORD
	v_cmpx_gt_u32_e32 8, v12
; %bb.1355:                             ;   in Loop: Header=BB251_927 Depth=1
	v_ffbh_u32_e32 v8, v6
	v_min_u32_e32 v8, 32, v8
	v_subrev_nc_u32_e32 v12, 28, v8
	v_sub_nc_u32_e32 v8, 29, v8
	v_lshlrev_b64 v[20:21], v12, v[6:7]
	v_and_b32_e32 v6, 7, v20
; %bb.1356:                             ;   in Loop: Header=BB251_927 Depth=1
	s_or_b32 exec_lo, exec_lo, s13
	v_mov_b32_e32 v10, 24
	v_lshlrev_b32_e32 v6, 20, v6
	v_lshl_add_u32 v8, v8, 23, 0x3c000000
	v_lshlrev_b32_sdwa v12, v10, v11 dst_sel:DWORD dst_unused:UNUSED_PAD src0_sel:DWORD src1_sel:WORD_1
	v_and_b32_e32 v12, 0x80000000, v12
	v_or3_b32 v6, v6, v12, v8
	v_mov_b32_e32 v21, v7
	v_mov_b32_e32 v20, v6
.LBB251_1357:                           ;   in Loop: Header=BB251_927 Depth=1
	s_or_b32 exec_lo, exec_lo, s12
.LBB251_1358:                           ;   in Loop: Header=BB251_927 Depth=1
	s_or_b32 exec_lo, exec_lo, s11
.LBB251_1359:                           ;   in Loop: Header=BB251_927 Depth=1
	s_or_b32 exec_lo, exec_lo, s9
	s_mov_b32 s9, exec_lo
	v_cmpx_lt_u32_e32 0xffffff, v11
	s_cbranch_execz .LBB251_1367
; %bb.1360:                             ;   in Loop: Header=BB251_927 Depth=1
	v_mov_b32_e32 v8, v7
	v_mov_b32_e32 v23, v9
	v_cmp_ne_u32_sdwa s4, v11, v83 src0_sel:BYTE_3 src1_sel:DWORD
	v_mov_b32_e32 v22, v8
	s_and_saveexec_b32 s11, s4
	s_cbranch_execz .LBB251_1366
; %bb.1361:                             ;   in Loop: Header=BB251_927 Depth=1
	v_mov_b32_e32 v12, v7
	v_mov_b32_e32 v23, v13
	v_bfe_u32 v24, v11, 24, 7
	s_mov_b32 s12, exec_lo
	v_mov_b32_e32 v22, v12
	v_cmpx_ne_u32_e32 0x7f, v24
	s_cbranch_execz .LBB251_1365
; %bb.1362:                             ;   in Loop: Header=BB251_927 Depth=1
	v_mov_b32_e32 v6, 7
	v_lshrrev_b32_e32 v8, 3, v24
	s_mov_b32 s13, exec_lo
	v_and_b32_sdwa v6, v11, v6 dst_sel:DWORD dst_unused:UNUSED_PAD src0_sel:BYTE_3 src1_sel:DWORD
	v_cmpx_gt_u32_e32 8, v24
; %bb.1363:                             ;   in Loop: Header=BB251_927 Depth=1
	v_ffbh_u32_e32 v8, v6
	v_min_u32_e32 v8, 32, v8
	v_subrev_nc_u32_e32 v12, 28, v8
	v_sub_nc_u32_e32 v8, 29, v8
	v_lshlrev_b64 v[22:23], v12, v[6:7]
	v_and_b32_e32 v6, 7, v22
; %bb.1364:                             ;   in Loop: Header=BB251_927 Depth=1
	s_or_b32 exec_lo, exec_lo, s13
	v_mov_b32_e32 v10, 24
	v_lshlrev_b32_e32 v6, 20, v6
	v_lshl_add_u32 v8, v8, 23, 0x3c000000
	v_mov_b32_e32 v22, v7
	v_lshlrev_b32_sdwa v11, v10, v11 dst_sel:DWORD dst_unused:UNUSED_PAD src0_sel:DWORD src1_sel:BYTE_3
	v_and_b32_e32 v11, 0x80000000, v11
	v_or3_b32 v23, v6, v11, v8
.LBB251_1365:                           ;   in Loop: Header=BB251_927 Depth=1
	s_or_b32 exec_lo, exec_lo, s12
.LBB251_1366:                           ;   in Loop: Header=BB251_927 Depth=1
	s_or_b32 exec_lo, exec_lo, s11
.LBB251_1367:                           ;   in Loop: Header=BB251_927 Depth=1
	s_or_b32 exec_lo, exec_lo, s9
	v_or_b32_e32 v6, v19, v17
	v_or_b32_e32 v8, v18, v16
	v_or_b32_e32 v11, v22, v20
	v_or_b32_e32 v12, v23, v21
	v_mul_f32_e32 v120, v98, v6
	v_mul_f32_e32 v121, v81, v8
	;; [unrolled: 1-line block ×4, first 2 shown]
	s_and_saveexec_b32 s9, vcc_lo
	s_cbranch_execz .LBB251_1369
; %bb.1368:                             ;   in Loop: Header=BB251_927 Depth=1
	v_cmp_lt_i32_e64 s4, v115, v99
	v_cndmask_b32_e64 v121, 0, v121, s4
	v_cmp_lt_i32_e64 s4, v117, v99
	v_cndmask_b32_e64 v120, 0, v120, s4
	;; [unrolled: 2-line block ×4, first 2 shown]
.LBB251_1369:                           ;   in Loop: Header=BB251_927 Depth=1
	s_or_b32 exec_lo, exec_lo, s9
	flat_load_dword v11, v[4:5] offset:1664
	v_mov_b32_e32 v18, 0
	v_mov_b32_e32 v16, 0
	;; [unrolled: 1-line block ×4, first 2 shown]
	s_waitcnt vmcnt(0) lgkmcnt(0)
	v_cmp_ne_u16_sdwa s4, v11, v7 src0_sel:BYTE_0 src1_sel:DWORD
	s_and_saveexec_b32 s9, s4
	s_cbranch_execz .LBB251_1377
; %bb.1370:                             ;   in Loop: Header=BB251_927 Depth=1
	v_bfrev_b32_e32 v16, 1
	v_mov_b32_e32 v17, 0
	v_cmp_ne_u16_sdwa s4, v11, v83 src0_sel:BYTE_0 src1_sel:DWORD
	s_and_saveexec_b32 s11, s4
	s_cbranch_execz .LBB251_1376
; %bb.1371:                             ;   in Loop: Header=BB251_927 Depth=1
	v_mov_b32_e32 v16, 0x7f800001
	v_and_b32_e32 v12, 0x7f, v11
	v_mov_b32_e32 v17, 0
	s_mov_b32 s12, exec_lo
	v_cmpx_ne_u32_e32 0x7f, v12
	s_cbranch_execz .LBB251_1375
; %bb.1372:                             ;   in Loop: Header=BB251_927 Depth=1
	v_and_b32_e32 v6, 7, v11
	v_lshrrev_b32_e32 v8, 3, v12
	s_mov_b32 s13, exec_lo
	v_cmpx_gt_u32_e32 8, v12
; %bb.1373:                             ;   in Loop: Header=BB251_927 Depth=1
	v_ffbh_u32_e32 v8, v6
	v_min_u32_e32 v8, 32, v8
	v_subrev_nc_u32_e32 v12, 28, v8
	v_sub_nc_u32_e32 v8, 29, v8
	v_lshlrev_b64 v[16:17], v12, v[6:7]
	v_and_b32_e32 v6, 7, v16
; %bb.1374:                             ;   in Loop: Header=BB251_927 Depth=1
	s_or_b32 exec_lo, exec_lo, s13
	v_lshlrev_b32_e32 v12, 24, v11
	v_lshlrev_b32_e32 v6, 20, v6
	v_lshl_add_u32 v8, v8, 23, 0x3c000000
	v_and_b32_e32 v12, 0x80000000, v12
	v_or3_b32 v6, v6, v12, v8
	v_mov_b32_e32 v17, v7
	v_mov_b32_e32 v16, v6
.LBB251_1375:                           ;   in Loop: Header=BB251_927 Depth=1
	s_or_b32 exec_lo, exec_lo, s12
.LBB251_1376:                           ;   in Loop: Header=BB251_927 Depth=1
	s_or_b32 exec_lo, exec_lo, s11
.LBB251_1377:                           ;   in Loop: Header=BB251_927 Depth=1
	s_or_b32 exec_lo, exec_lo, s9
	v_cmp_ne_u16_sdwa s4, v11, v7 src0_sel:BYTE_1 src1_sel:DWORD
	s_and_saveexec_b32 s9, s4
	s_cbranch_execz .LBB251_1385
; %bb.1378:                             ;   in Loop: Header=BB251_927 Depth=1
	v_mov_b32_e32 v8, v7
	v_mov_b32_e32 v19, v9
	v_cmp_ne_u16_sdwa s4, v11, v83 src0_sel:BYTE_1 src1_sel:DWORD
	v_mov_b32_e32 v18, v8
	s_and_saveexec_b32 s11, s4
	s_cbranch_execz .LBB251_1384
; %bb.1379:                             ;   in Loop: Header=BB251_927 Depth=1
	v_mov_b32_e32 v6, 0xffff
	v_mov_b32_e32 v12, v7
	;; [unrolled: 1-line block ×3, first 2 shown]
	s_mov_b32 s12, exec_lo
	v_and_b32_sdwa v6, v6, v11 dst_sel:DWORD dst_unused:UNUSED_PAD src0_sel:DWORD src1_sel:BYTE_1
	v_mov_b32_e32 v18, v12
	v_and_b32_e32 v20, 0x7f, v6
	v_cmpx_ne_u32_e32 0x7f, v20
	s_cbranch_execz .LBB251_1383
; %bb.1380:                             ;   in Loop: Header=BB251_927 Depth=1
	v_and_b32_e32 v6, 7, v6
	v_lshrrev_b32_e32 v8, 3, v20
	s_mov_b32 s13, exec_lo
	v_cmpx_gt_u32_e32 8, v20
; %bb.1381:                             ;   in Loop: Header=BB251_927 Depth=1
	v_ffbh_u32_e32 v8, v6
	v_min_u32_e32 v8, 32, v8
	v_subrev_nc_u32_e32 v12, 28, v8
	v_sub_nc_u32_e32 v8, 29, v8
	v_lshlrev_b64 v[18:19], v12, v[6:7]
	v_and_b32_e32 v6, 7, v18
; %bb.1382:                             ;   in Loop: Header=BB251_927 Depth=1
	s_or_b32 exec_lo, exec_lo, s13
	v_lshlrev_b32_e32 v12, 16, v11
	v_lshlrev_b32_e32 v6, 20, v6
	v_lshl_add_u32 v8, v8, 23, 0x3c000000
	v_mov_b32_e32 v18, v7
	v_and_b32_e32 v12, 0x80000000, v12
	v_or3_b32 v19, v6, v12, v8
.LBB251_1383:                           ;   in Loop: Header=BB251_927 Depth=1
	s_or_b32 exec_lo, exec_lo, s12
.LBB251_1384:                           ;   in Loop: Header=BB251_927 Depth=1
	s_or_b32 exec_lo, exec_lo, s11
.LBB251_1385:                           ;   in Loop: Header=BB251_927 Depth=1
	s_or_b32 exec_lo, exec_lo, s9
	v_mov_b32_e32 v20, 0
	v_mov_b32_e32 v22, 0
	v_and_b32_sdwa v6, v11, v85 dst_sel:DWORD dst_unused:UNUSED_PAD src0_sel:WORD_1 src1_sel:DWORD
	v_mov_b32_e32 v21, 0
	v_mov_b32_e32 v23, 0
	s_mov_b32 s9, exec_lo
	v_cmpx_ne_u16_e32 0, v6
	s_cbranch_execz .LBB251_1393
; %bb.1386:                             ;   in Loop: Header=BB251_927 Depth=1
	v_bfrev_b32_e32 v22, 1
	v_mov_b32_e32 v23, 0
	s_mov_b32 s11, exec_lo
	v_cmpx_ne_u16_e32 0x80, v6
	s_cbranch_execz .LBB251_1392
; %bb.1387:                             ;   in Loop: Header=BB251_927 Depth=1
	v_mov_b32_e32 v22, 0x7f800001
	v_bfe_u32 v12, v11, 16, 7
	v_mov_b32_e32 v23, 0
	s_mov_b32 s12, exec_lo
	v_cmpx_ne_u32_e32 0x7f, v12
	s_cbranch_execz .LBB251_1391
; %bb.1388:                             ;   in Loop: Header=BB251_927 Depth=1
	v_mov_b32_e32 v6, 7
	v_lshrrev_b32_e32 v8, 3, v12
	s_mov_b32 s13, exec_lo
	v_and_b32_sdwa v6, v11, v6 dst_sel:DWORD dst_unused:UNUSED_PAD src0_sel:WORD_1 src1_sel:DWORD
	v_cmpx_gt_u32_e32 8, v12
; %bb.1389:                             ;   in Loop: Header=BB251_927 Depth=1
	v_ffbh_u32_e32 v8, v6
	v_min_u32_e32 v8, 32, v8
	v_subrev_nc_u32_e32 v12, 28, v8
	v_sub_nc_u32_e32 v8, 29, v8
	v_lshlrev_b64 v[22:23], v12, v[6:7]
	v_and_b32_e32 v6, 7, v22
; %bb.1390:                             ;   in Loop: Header=BB251_927 Depth=1
	s_or_b32 exec_lo, exec_lo, s13
	v_mov_b32_e32 v10, 24
	v_lshlrev_b32_e32 v6, 20, v6
	v_lshl_add_u32 v8, v8, 23, 0x3c000000
	v_lshlrev_b32_sdwa v12, v10, v11 dst_sel:DWORD dst_unused:UNUSED_PAD src0_sel:DWORD src1_sel:WORD_1
	v_and_b32_e32 v12, 0x80000000, v12
	v_or3_b32 v6, v6, v12, v8
	v_mov_b32_e32 v23, v7
	v_mov_b32_e32 v22, v6
.LBB251_1391:                           ;   in Loop: Header=BB251_927 Depth=1
	s_or_b32 exec_lo, exec_lo, s12
.LBB251_1392:                           ;   in Loop: Header=BB251_927 Depth=1
	s_or_b32 exec_lo, exec_lo, s11
.LBB251_1393:                           ;   in Loop: Header=BB251_927 Depth=1
	s_or_b32 exec_lo, exec_lo, s9
	s_mov_b32 s9, exec_lo
	v_cmpx_lt_u32_e32 0xffffff, v11
	s_cbranch_execz .LBB251_1401
; %bb.1394:                             ;   in Loop: Header=BB251_927 Depth=1
	v_mov_b32_e32 v8, v7
	v_mov_b32_e32 v21, v9
	v_cmp_ne_u32_sdwa s4, v11, v83 src0_sel:BYTE_3 src1_sel:DWORD
	v_mov_b32_e32 v20, v8
	s_and_saveexec_b32 s11, s4
	s_cbranch_execz .LBB251_1400
; %bb.1395:                             ;   in Loop: Header=BB251_927 Depth=1
	v_mov_b32_e32 v12, v7
	v_mov_b32_e32 v21, v13
	v_bfe_u32 v24, v11, 24, 7
	s_mov_b32 s12, exec_lo
	v_mov_b32_e32 v20, v12
	v_cmpx_ne_u32_e32 0x7f, v24
	s_cbranch_execz .LBB251_1399
; %bb.1396:                             ;   in Loop: Header=BB251_927 Depth=1
	v_mov_b32_e32 v6, 7
	v_lshrrev_b32_e32 v8, 3, v24
	s_mov_b32 s13, exec_lo
	v_and_b32_sdwa v6, v11, v6 dst_sel:DWORD dst_unused:UNUSED_PAD src0_sel:BYTE_3 src1_sel:DWORD
	v_cmpx_gt_u32_e32 8, v24
; %bb.1397:                             ;   in Loop: Header=BB251_927 Depth=1
	v_ffbh_u32_e32 v8, v6
	v_min_u32_e32 v8, 32, v8
	v_subrev_nc_u32_e32 v12, 28, v8
	v_sub_nc_u32_e32 v8, 29, v8
	v_lshlrev_b64 v[20:21], v12, v[6:7]
	v_and_b32_e32 v6, 7, v20
; %bb.1398:                             ;   in Loop: Header=BB251_927 Depth=1
	s_or_b32 exec_lo, exec_lo, s13
	v_mov_b32_e32 v10, 24
	v_lshlrev_b32_e32 v6, 20, v6
	v_lshl_add_u32 v8, v8, 23, 0x3c000000
	v_mov_b32_e32 v20, v7
	v_lshlrev_b32_sdwa v11, v10, v11 dst_sel:DWORD dst_unused:UNUSED_PAD src0_sel:DWORD src1_sel:BYTE_3
	v_and_b32_e32 v11, 0x80000000, v11
	v_or3_b32 v21, v6, v11, v8
.LBB251_1399:                           ;   in Loop: Header=BB251_927 Depth=1
	s_or_b32 exec_lo, exec_lo, s12
.LBB251_1400:                           ;   in Loop: Header=BB251_927 Depth=1
	s_or_b32 exec_lo, exec_lo, s11
.LBB251_1401:                           ;   in Loop: Header=BB251_927 Depth=1
	s_or_b32 exec_lo, exec_lo, s9
	v_or_b32_e32 v6, v19, v17
	v_or_b32_e32 v8, v18, v16
	;; [unrolled: 1-line block ×4, first 2 shown]
	v_mul_f32_e32 v125, v98, v6
	v_mul_f32_e32 v124, v81, v8
	v_mul_f32_e32 v123, v81, v11
	v_mul_f32_e32 v122, v98, v12
	s_and_saveexec_b32 s9, vcc_lo
	s_cbranch_execz .LBB251_1403
; %bb.1402:                             ;   in Loop: Header=BB251_927 Depth=1
	v_cmp_lt_i32_e64 s4, v115, v99
	v_cndmask_b32_e64 v124, 0, v124, s4
	v_cmp_lt_i32_e64 s4, v117, v99
	v_cndmask_b32_e64 v125, 0, v125, s4
	;; [unrolled: 2-line block ×4, first 2 shown]
.LBB251_1403:                           ;   in Loop: Header=BB251_927 Depth=1
	s_or_b32 exec_lo, exec_lo, s9
	flat_load_dword v11, v[4:5] offset:1792
	v_mov_b32_e32 v18, 0
	v_mov_b32_e32 v16, 0
	;; [unrolled: 1-line block ×4, first 2 shown]
	s_waitcnt vmcnt(0) lgkmcnt(0)
	v_cmp_ne_u16_sdwa s4, v11, v7 src0_sel:BYTE_0 src1_sel:DWORD
	s_and_saveexec_b32 s9, s4
	s_cbranch_execz .LBB251_1411
; %bb.1404:                             ;   in Loop: Header=BB251_927 Depth=1
	v_bfrev_b32_e32 v16, 1
	v_mov_b32_e32 v17, 0
	v_cmp_ne_u16_sdwa s4, v11, v83 src0_sel:BYTE_0 src1_sel:DWORD
	s_and_saveexec_b32 s11, s4
	s_cbranch_execz .LBB251_1410
; %bb.1405:                             ;   in Loop: Header=BB251_927 Depth=1
	v_mov_b32_e32 v16, 0x7f800001
	v_and_b32_e32 v12, 0x7f, v11
	v_mov_b32_e32 v17, 0
	s_mov_b32 s12, exec_lo
	v_cmpx_ne_u32_e32 0x7f, v12
	s_cbranch_execz .LBB251_1409
; %bb.1406:                             ;   in Loop: Header=BB251_927 Depth=1
	v_and_b32_e32 v6, 7, v11
	v_lshrrev_b32_e32 v8, 3, v12
	s_mov_b32 s13, exec_lo
	v_cmpx_gt_u32_e32 8, v12
; %bb.1407:                             ;   in Loop: Header=BB251_927 Depth=1
	v_ffbh_u32_e32 v8, v6
	v_min_u32_e32 v8, 32, v8
	v_subrev_nc_u32_e32 v12, 28, v8
	v_sub_nc_u32_e32 v8, 29, v8
	v_lshlrev_b64 v[16:17], v12, v[6:7]
	v_and_b32_e32 v6, 7, v16
; %bb.1408:                             ;   in Loop: Header=BB251_927 Depth=1
	s_or_b32 exec_lo, exec_lo, s13
	v_lshlrev_b32_e32 v12, 24, v11
	v_lshlrev_b32_e32 v6, 20, v6
	v_lshl_add_u32 v8, v8, 23, 0x3c000000
	v_and_b32_e32 v12, 0x80000000, v12
	v_or3_b32 v6, v6, v12, v8
	v_mov_b32_e32 v17, v7
	v_mov_b32_e32 v16, v6
.LBB251_1409:                           ;   in Loop: Header=BB251_927 Depth=1
	s_or_b32 exec_lo, exec_lo, s12
.LBB251_1410:                           ;   in Loop: Header=BB251_927 Depth=1
	s_or_b32 exec_lo, exec_lo, s11
.LBB251_1411:                           ;   in Loop: Header=BB251_927 Depth=1
	s_or_b32 exec_lo, exec_lo, s9
	v_cmp_ne_u16_sdwa s4, v11, v7 src0_sel:BYTE_1 src1_sel:DWORD
	s_and_saveexec_b32 s9, s4
	s_cbranch_execz .LBB251_1419
; %bb.1412:                             ;   in Loop: Header=BB251_927 Depth=1
	v_mov_b32_e32 v8, v7
	v_mov_b32_e32 v19, v9
	v_cmp_ne_u16_sdwa s4, v11, v83 src0_sel:BYTE_1 src1_sel:DWORD
	v_mov_b32_e32 v18, v8
	s_and_saveexec_b32 s11, s4
	s_cbranch_execz .LBB251_1418
; %bb.1413:                             ;   in Loop: Header=BB251_927 Depth=1
	v_mov_b32_e32 v6, 0xffff
	v_mov_b32_e32 v12, v7
	;; [unrolled: 1-line block ×3, first 2 shown]
	s_mov_b32 s12, exec_lo
	v_and_b32_sdwa v6, v6, v11 dst_sel:DWORD dst_unused:UNUSED_PAD src0_sel:DWORD src1_sel:BYTE_1
	v_mov_b32_e32 v18, v12
	v_and_b32_e32 v20, 0x7f, v6
	v_cmpx_ne_u32_e32 0x7f, v20
	s_cbranch_execz .LBB251_1417
; %bb.1414:                             ;   in Loop: Header=BB251_927 Depth=1
	v_and_b32_e32 v6, 7, v6
	v_lshrrev_b32_e32 v8, 3, v20
	s_mov_b32 s13, exec_lo
	v_cmpx_gt_u32_e32 8, v20
; %bb.1415:                             ;   in Loop: Header=BB251_927 Depth=1
	v_ffbh_u32_e32 v8, v6
	v_min_u32_e32 v8, 32, v8
	v_subrev_nc_u32_e32 v12, 28, v8
	v_sub_nc_u32_e32 v8, 29, v8
	v_lshlrev_b64 v[18:19], v12, v[6:7]
	v_and_b32_e32 v6, 7, v18
; %bb.1416:                             ;   in Loop: Header=BB251_927 Depth=1
	s_or_b32 exec_lo, exec_lo, s13
	v_lshlrev_b32_e32 v12, 16, v11
	v_lshlrev_b32_e32 v6, 20, v6
	v_lshl_add_u32 v8, v8, 23, 0x3c000000
	v_mov_b32_e32 v18, v7
	v_and_b32_e32 v12, 0x80000000, v12
	v_or3_b32 v19, v6, v12, v8
.LBB251_1417:                           ;   in Loop: Header=BB251_927 Depth=1
	s_or_b32 exec_lo, exec_lo, s12
.LBB251_1418:                           ;   in Loop: Header=BB251_927 Depth=1
	s_or_b32 exec_lo, exec_lo, s11
.LBB251_1419:                           ;   in Loop: Header=BB251_927 Depth=1
	s_or_b32 exec_lo, exec_lo, s9
	v_mov_b32_e32 v20, 0
	v_mov_b32_e32 v22, 0
	v_and_b32_sdwa v6, v11, v85 dst_sel:DWORD dst_unused:UNUSED_PAD src0_sel:WORD_1 src1_sel:DWORD
	v_mov_b32_e32 v21, 0
	v_mov_b32_e32 v23, 0
	s_mov_b32 s9, exec_lo
	v_cmpx_ne_u16_e32 0, v6
	s_cbranch_execz .LBB251_1427
; %bb.1420:                             ;   in Loop: Header=BB251_927 Depth=1
	v_bfrev_b32_e32 v22, 1
	v_mov_b32_e32 v23, 0
	s_mov_b32 s11, exec_lo
	v_cmpx_ne_u16_e32 0x80, v6
	s_cbranch_execz .LBB251_1426
; %bb.1421:                             ;   in Loop: Header=BB251_927 Depth=1
	v_mov_b32_e32 v22, 0x7f800001
	v_bfe_u32 v12, v11, 16, 7
	v_mov_b32_e32 v23, 0
	s_mov_b32 s12, exec_lo
	v_cmpx_ne_u32_e32 0x7f, v12
	s_cbranch_execz .LBB251_1425
; %bb.1422:                             ;   in Loop: Header=BB251_927 Depth=1
	v_mov_b32_e32 v6, 7
	v_lshrrev_b32_e32 v8, 3, v12
	s_mov_b32 s13, exec_lo
	v_and_b32_sdwa v6, v11, v6 dst_sel:DWORD dst_unused:UNUSED_PAD src0_sel:WORD_1 src1_sel:DWORD
	v_cmpx_gt_u32_e32 8, v12
; %bb.1423:                             ;   in Loop: Header=BB251_927 Depth=1
	v_ffbh_u32_e32 v8, v6
	v_min_u32_e32 v8, 32, v8
	v_subrev_nc_u32_e32 v12, 28, v8
	v_sub_nc_u32_e32 v8, 29, v8
	v_lshlrev_b64 v[22:23], v12, v[6:7]
	v_and_b32_e32 v6, 7, v22
; %bb.1424:                             ;   in Loop: Header=BB251_927 Depth=1
	s_or_b32 exec_lo, exec_lo, s13
	v_mov_b32_e32 v10, 24
	v_lshlrev_b32_e32 v6, 20, v6
	v_lshl_add_u32 v8, v8, 23, 0x3c000000
	v_lshlrev_b32_sdwa v12, v10, v11 dst_sel:DWORD dst_unused:UNUSED_PAD src0_sel:DWORD src1_sel:WORD_1
	v_and_b32_e32 v12, 0x80000000, v12
	v_or3_b32 v6, v6, v12, v8
	v_mov_b32_e32 v23, v7
	v_mov_b32_e32 v22, v6
.LBB251_1425:                           ;   in Loop: Header=BB251_927 Depth=1
	s_or_b32 exec_lo, exec_lo, s12
.LBB251_1426:                           ;   in Loop: Header=BB251_927 Depth=1
	s_or_b32 exec_lo, exec_lo, s11
.LBB251_1427:                           ;   in Loop: Header=BB251_927 Depth=1
	s_or_b32 exec_lo, exec_lo, s9
	s_mov_b32 s9, exec_lo
	v_cmpx_lt_u32_e32 0xffffff, v11
	s_cbranch_execz .LBB251_1435
; %bb.1428:                             ;   in Loop: Header=BB251_927 Depth=1
	v_mov_b32_e32 v8, v7
	v_mov_b32_e32 v21, v9
	v_cmp_ne_u32_sdwa s4, v11, v83 src0_sel:BYTE_3 src1_sel:DWORD
	v_mov_b32_e32 v20, v8
	s_and_saveexec_b32 s11, s4
	s_cbranch_execz .LBB251_1434
; %bb.1429:                             ;   in Loop: Header=BB251_927 Depth=1
	v_mov_b32_e32 v12, v7
	v_mov_b32_e32 v21, v13
	v_bfe_u32 v24, v11, 24, 7
	s_mov_b32 s12, exec_lo
	v_mov_b32_e32 v20, v12
	v_cmpx_ne_u32_e32 0x7f, v24
	s_cbranch_execz .LBB251_1433
; %bb.1430:                             ;   in Loop: Header=BB251_927 Depth=1
	v_mov_b32_e32 v6, 7
	v_lshrrev_b32_e32 v8, 3, v24
	s_mov_b32 s13, exec_lo
	v_and_b32_sdwa v6, v11, v6 dst_sel:DWORD dst_unused:UNUSED_PAD src0_sel:BYTE_3 src1_sel:DWORD
	v_cmpx_gt_u32_e32 8, v24
; %bb.1431:                             ;   in Loop: Header=BB251_927 Depth=1
	v_ffbh_u32_e32 v8, v6
	v_min_u32_e32 v8, 32, v8
	v_subrev_nc_u32_e32 v12, 28, v8
	v_sub_nc_u32_e32 v8, 29, v8
	v_lshlrev_b64 v[20:21], v12, v[6:7]
	v_and_b32_e32 v6, 7, v20
; %bb.1432:                             ;   in Loop: Header=BB251_927 Depth=1
	s_or_b32 exec_lo, exec_lo, s13
	v_mov_b32_e32 v10, 24
	v_lshlrev_b32_e32 v6, 20, v6
	v_lshl_add_u32 v8, v8, 23, 0x3c000000
	v_mov_b32_e32 v20, v7
	v_lshlrev_b32_sdwa v11, v10, v11 dst_sel:DWORD dst_unused:UNUSED_PAD src0_sel:DWORD src1_sel:BYTE_3
	v_and_b32_e32 v11, 0x80000000, v11
	v_or3_b32 v21, v6, v11, v8
.LBB251_1433:                           ;   in Loop: Header=BB251_927 Depth=1
	s_or_b32 exec_lo, exec_lo, s12
.LBB251_1434:                           ;   in Loop: Header=BB251_927 Depth=1
	s_or_b32 exec_lo, exec_lo, s11
.LBB251_1435:                           ;   in Loop: Header=BB251_927 Depth=1
	s_or_b32 exec_lo, exec_lo, s9
	v_or_b32_e32 v6, v19, v17
	v_or_b32_e32 v8, v18, v16
	;; [unrolled: 1-line block ×4, first 2 shown]
	v_mul_f32_e32 v82, v98, v6
	v_mul_f32_e32 v28, v81, v8
	;; [unrolled: 1-line block ×4, first 2 shown]
	s_and_saveexec_b32 s9, vcc_lo
	s_cbranch_execz .LBB251_1437
; %bb.1436:                             ;   in Loop: Header=BB251_927 Depth=1
	v_cmp_lt_i32_e64 s4, v115, v99
	v_cndmask_b32_e64 v28, 0, v28, s4
	v_cmp_lt_i32_e64 s4, v117, v99
	v_cndmask_b32_e64 v82, 0, v82, s4
	;; [unrolled: 2-line block ×4, first 2 shown]
.LBB251_1437:                           ;   in Loop: Header=BB251_927 Depth=1
	s_or_b32 exec_lo, exec_lo, s9
	flat_load_dword v11, v[4:5] offset:1920
	v_mov_b32_e32 v18, 0
	v_mov_b32_e32 v16, 0
	;; [unrolled: 1-line block ×4, first 2 shown]
	s_waitcnt vmcnt(0) lgkmcnt(0)
	v_cmp_ne_u16_sdwa s4, v11, v7 src0_sel:BYTE_0 src1_sel:DWORD
	s_and_saveexec_b32 s9, s4
	s_cbranch_execz .LBB251_1445
; %bb.1438:                             ;   in Loop: Header=BB251_927 Depth=1
	v_bfrev_b32_e32 v16, 1
	v_mov_b32_e32 v17, 0
	v_cmp_ne_u16_sdwa s4, v11, v83 src0_sel:BYTE_0 src1_sel:DWORD
	s_and_saveexec_b32 s11, s4
	s_cbranch_execz .LBB251_1444
; %bb.1439:                             ;   in Loop: Header=BB251_927 Depth=1
	v_mov_b32_e32 v16, 0x7f800001
	v_and_b32_e32 v12, 0x7f, v11
	v_mov_b32_e32 v17, 0
	s_mov_b32 s12, exec_lo
	v_cmpx_ne_u32_e32 0x7f, v12
	s_cbranch_execz .LBB251_1443
; %bb.1440:                             ;   in Loop: Header=BB251_927 Depth=1
	v_and_b32_e32 v6, 7, v11
	v_lshrrev_b32_e32 v8, 3, v12
	s_mov_b32 s13, exec_lo
	v_cmpx_gt_u32_e32 8, v12
; %bb.1441:                             ;   in Loop: Header=BB251_927 Depth=1
	v_ffbh_u32_e32 v8, v6
	v_min_u32_e32 v8, 32, v8
	v_subrev_nc_u32_e32 v12, 28, v8
	v_sub_nc_u32_e32 v8, 29, v8
	v_lshlrev_b64 v[16:17], v12, v[6:7]
	v_and_b32_e32 v6, 7, v16
; %bb.1442:                             ;   in Loop: Header=BB251_927 Depth=1
	s_or_b32 exec_lo, exec_lo, s13
	v_lshlrev_b32_e32 v12, 24, v11
	v_lshlrev_b32_e32 v6, 20, v6
	v_lshl_add_u32 v8, v8, 23, 0x3c000000
	v_and_b32_e32 v12, 0x80000000, v12
	v_or3_b32 v6, v6, v12, v8
	v_mov_b32_e32 v17, v7
	v_mov_b32_e32 v16, v6
.LBB251_1443:                           ;   in Loop: Header=BB251_927 Depth=1
	s_or_b32 exec_lo, exec_lo, s12
.LBB251_1444:                           ;   in Loop: Header=BB251_927 Depth=1
	s_or_b32 exec_lo, exec_lo, s11
.LBB251_1445:                           ;   in Loop: Header=BB251_927 Depth=1
	s_or_b32 exec_lo, exec_lo, s9
	v_cmp_ne_u16_sdwa s4, v11, v7 src0_sel:BYTE_1 src1_sel:DWORD
	s_and_saveexec_b32 s9, s4
	s_cbranch_execz .LBB251_1453
; %bb.1446:                             ;   in Loop: Header=BB251_927 Depth=1
	v_mov_b32_e32 v8, v7
	v_mov_b32_e32 v19, v9
	v_cmp_ne_u16_sdwa s4, v11, v83 src0_sel:BYTE_1 src1_sel:DWORD
	v_mov_b32_e32 v18, v8
	s_and_saveexec_b32 s11, s4
	s_cbranch_execz .LBB251_1452
; %bb.1447:                             ;   in Loop: Header=BB251_927 Depth=1
	v_mov_b32_e32 v6, 0xffff
	v_mov_b32_e32 v12, v7
	;; [unrolled: 1-line block ×3, first 2 shown]
	s_mov_b32 s12, exec_lo
	v_and_b32_sdwa v6, v6, v11 dst_sel:DWORD dst_unused:UNUSED_PAD src0_sel:DWORD src1_sel:BYTE_1
	v_mov_b32_e32 v18, v12
	v_and_b32_e32 v20, 0x7f, v6
	v_cmpx_ne_u32_e32 0x7f, v20
	s_cbranch_execz .LBB251_1451
; %bb.1448:                             ;   in Loop: Header=BB251_927 Depth=1
	v_and_b32_e32 v6, 7, v6
	v_lshrrev_b32_e32 v8, 3, v20
	s_mov_b32 s13, exec_lo
	v_cmpx_gt_u32_e32 8, v20
; %bb.1449:                             ;   in Loop: Header=BB251_927 Depth=1
	v_ffbh_u32_e32 v8, v6
	v_min_u32_e32 v8, 32, v8
	v_subrev_nc_u32_e32 v12, 28, v8
	v_sub_nc_u32_e32 v8, 29, v8
	v_lshlrev_b64 v[18:19], v12, v[6:7]
	v_and_b32_e32 v6, 7, v18
; %bb.1450:                             ;   in Loop: Header=BB251_927 Depth=1
	s_or_b32 exec_lo, exec_lo, s13
	v_lshlrev_b32_e32 v12, 16, v11
	v_lshlrev_b32_e32 v6, 20, v6
	v_lshl_add_u32 v8, v8, 23, 0x3c000000
	v_mov_b32_e32 v18, v7
	v_and_b32_e32 v12, 0x80000000, v12
	v_or3_b32 v19, v6, v12, v8
.LBB251_1451:                           ;   in Loop: Header=BB251_927 Depth=1
	s_or_b32 exec_lo, exec_lo, s12
.LBB251_1452:                           ;   in Loop: Header=BB251_927 Depth=1
	s_or_b32 exec_lo, exec_lo, s11
.LBB251_1453:                           ;   in Loop: Header=BB251_927 Depth=1
	s_or_b32 exec_lo, exec_lo, s9
	v_mov_b32_e32 v20, 0
	v_mov_b32_e32 v22, 0
	v_and_b32_sdwa v6, v11, v85 dst_sel:DWORD dst_unused:UNUSED_PAD src0_sel:WORD_1 src1_sel:DWORD
	v_mov_b32_e32 v21, 0
	v_mov_b32_e32 v23, 0
	s_mov_b32 s9, exec_lo
	v_cmpx_ne_u16_e32 0, v6
	s_cbranch_execz .LBB251_1461
; %bb.1454:                             ;   in Loop: Header=BB251_927 Depth=1
	v_bfrev_b32_e32 v22, 1
	v_mov_b32_e32 v23, 0
	s_mov_b32 s11, exec_lo
	v_cmpx_ne_u16_e32 0x80, v6
	s_cbranch_execz .LBB251_1460
; %bb.1455:                             ;   in Loop: Header=BB251_927 Depth=1
	v_mov_b32_e32 v22, 0x7f800001
	v_bfe_u32 v12, v11, 16, 7
	v_mov_b32_e32 v23, 0
	s_mov_b32 s12, exec_lo
	v_cmpx_ne_u32_e32 0x7f, v12
	s_cbranch_execz .LBB251_1459
; %bb.1456:                             ;   in Loop: Header=BB251_927 Depth=1
	v_mov_b32_e32 v6, 7
	v_lshrrev_b32_e32 v8, 3, v12
	s_mov_b32 s13, exec_lo
	v_and_b32_sdwa v6, v11, v6 dst_sel:DWORD dst_unused:UNUSED_PAD src0_sel:WORD_1 src1_sel:DWORD
	v_cmpx_gt_u32_e32 8, v12
; %bb.1457:                             ;   in Loop: Header=BB251_927 Depth=1
	v_ffbh_u32_e32 v8, v6
	v_min_u32_e32 v8, 32, v8
	v_subrev_nc_u32_e32 v12, 28, v8
	v_sub_nc_u32_e32 v8, 29, v8
	v_lshlrev_b64 v[22:23], v12, v[6:7]
	v_and_b32_e32 v6, 7, v22
; %bb.1458:                             ;   in Loop: Header=BB251_927 Depth=1
	s_or_b32 exec_lo, exec_lo, s13
	v_mov_b32_e32 v10, 24
	v_lshlrev_b32_e32 v6, 20, v6
	v_lshl_add_u32 v8, v8, 23, 0x3c000000
	v_lshlrev_b32_sdwa v12, v10, v11 dst_sel:DWORD dst_unused:UNUSED_PAD src0_sel:DWORD src1_sel:WORD_1
	v_and_b32_e32 v12, 0x80000000, v12
	v_or3_b32 v6, v6, v12, v8
	v_mov_b32_e32 v23, v7
	v_mov_b32_e32 v22, v6
.LBB251_1459:                           ;   in Loop: Header=BB251_927 Depth=1
	s_or_b32 exec_lo, exec_lo, s12
.LBB251_1460:                           ;   in Loop: Header=BB251_927 Depth=1
	s_or_b32 exec_lo, exec_lo, s11
.LBB251_1461:                           ;   in Loop: Header=BB251_927 Depth=1
	s_or_b32 exec_lo, exec_lo, s9
	s_mov_b32 s9, exec_lo
	v_cmpx_lt_u32_e32 0xffffff, v11
	s_cbranch_execz .LBB251_1469
; %bb.1462:                             ;   in Loop: Header=BB251_927 Depth=1
	v_mov_b32_e32 v8, v7
	v_mov_b32_e32 v21, v9
	v_cmp_ne_u32_sdwa s4, v11, v83 src0_sel:BYTE_3 src1_sel:DWORD
	v_mov_b32_e32 v20, v8
	s_and_saveexec_b32 s11, s4
	s_cbranch_execz .LBB251_1468
; %bb.1463:                             ;   in Loop: Header=BB251_927 Depth=1
	v_mov_b32_e32 v12, v7
	v_mov_b32_e32 v21, v13
	v_bfe_u32 v24, v11, 24, 7
	s_mov_b32 s12, exec_lo
	v_mov_b32_e32 v20, v12
	v_cmpx_ne_u32_e32 0x7f, v24
	s_cbranch_execz .LBB251_1467
; %bb.1464:                             ;   in Loop: Header=BB251_927 Depth=1
	v_mov_b32_e32 v6, 7
	v_lshrrev_b32_e32 v8, 3, v24
	s_mov_b32 s13, exec_lo
	v_and_b32_sdwa v6, v11, v6 dst_sel:DWORD dst_unused:UNUSED_PAD src0_sel:BYTE_3 src1_sel:DWORD
	v_cmpx_gt_u32_e32 8, v24
; %bb.1465:                             ;   in Loop: Header=BB251_927 Depth=1
	v_ffbh_u32_e32 v8, v6
	v_min_u32_e32 v8, 32, v8
	v_subrev_nc_u32_e32 v12, 28, v8
	v_sub_nc_u32_e32 v8, 29, v8
	v_lshlrev_b64 v[20:21], v12, v[6:7]
	v_and_b32_e32 v6, 7, v20
; %bb.1466:                             ;   in Loop: Header=BB251_927 Depth=1
	s_or_b32 exec_lo, exec_lo, s13
	v_mov_b32_e32 v10, 24
	v_lshlrev_b32_e32 v6, 20, v6
	v_lshl_add_u32 v8, v8, 23, 0x3c000000
	v_mov_b32_e32 v20, v7
	v_lshlrev_b32_sdwa v11, v10, v11 dst_sel:DWORD dst_unused:UNUSED_PAD src0_sel:DWORD src1_sel:BYTE_3
	v_and_b32_e32 v11, 0x80000000, v11
	v_or3_b32 v21, v6, v11, v8
.LBB251_1467:                           ;   in Loop: Header=BB251_927 Depth=1
	s_or_b32 exec_lo, exec_lo, s12
.LBB251_1468:                           ;   in Loop: Header=BB251_927 Depth=1
	s_or_b32 exec_lo, exec_lo, s11
.LBB251_1469:                           ;   in Loop: Header=BB251_927 Depth=1
	s_or_b32 exec_lo, exec_lo, s9
	v_or_b32_e32 v6, v19, v17
	v_or_b32_e32 v8, v18, v16
	;; [unrolled: 1-line block ×4, first 2 shown]
	v_mul_f32_e32 v27, v98, v6
	v_mul_f32_e32 v11, v81, v8
	;; [unrolled: 1-line block ×4, first 2 shown]
	s_and_saveexec_b32 s9, vcc_lo
	s_cbranch_execz .LBB251_1471
; %bb.1470:                             ;   in Loop: Header=BB251_927 Depth=1
	v_cmp_lt_i32_e64 s4, v115, v99
	v_cndmask_b32_e64 v11, 0, v11, s4
	v_cmp_lt_i32_e64 s4, v117, v99
	v_cndmask_b32_e64 v27, 0, v27, s4
	;; [unrolled: 2-line block ×4, first 2 shown]
.LBB251_1471:                           ;   in Loop: Header=BB251_927 Depth=1
	s_or_b32 exec_lo, exec_lo, s9
	v_add_co_u32 v4, s4, 0x800, v4
	v_add_co_ci_u32_e64 v5, null, 0, v5, s4
	v_mov_b32_e32 v18, 0
	v_mov_b32_e32 v16, 0
	;; [unrolled: 1-line block ×3, first 2 shown]
	flat_load_dword v26, v[4:5]
	v_mov_b32_e32 v17, 0
	s_waitcnt vmcnt(0) lgkmcnt(0)
	v_cmp_ne_u16_sdwa s4, v26, v7 src0_sel:BYTE_0 src1_sel:DWORD
	s_and_saveexec_b32 s9, s4
	s_cbranch_execz .LBB251_1479
; %bb.1472:                             ;   in Loop: Header=BB251_927 Depth=1
	v_bfrev_b32_e32 v16, 1
	v_mov_b32_e32 v17, 0
	v_cmp_ne_u16_sdwa s4, v26, v83 src0_sel:BYTE_0 src1_sel:DWORD
	s_and_saveexec_b32 s11, s4
	s_cbranch_execz .LBB251_1478
; %bb.1473:                             ;   in Loop: Header=BB251_927 Depth=1
	v_mov_b32_e32 v16, 0x7f800001
	v_and_b32_e32 v12, 0x7f, v26
	v_mov_b32_e32 v17, 0
	s_mov_b32 s12, exec_lo
	v_cmpx_ne_u32_e32 0x7f, v12
	s_cbranch_execz .LBB251_1477
; %bb.1474:                             ;   in Loop: Header=BB251_927 Depth=1
	v_and_b32_e32 v6, 7, v26
	v_lshrrev_b32_e32 v8, 3, v12
	s_mov_b32 s13, exec_lo
	v_cmpx_gt_u32_e32 8, v12
; %bb.1475:                             ;   in Loop: Header=BB251_927 Depth=1
	v_ffbh_u32_e32 v8, v6
	v_min_u32_e32 v8, 32, v8
	v_subrev_nc_u32_e32 v12, 28, v8
	v_sub_nc_u32_e32 v8, 29, v8
	v_lshlrev_b64 v[16:17], v12, v[6:7]
	v_and_b32_e32 v6, 7, v16
; %bb.1476:                             ;   in Loop: Header=BB251_927 Depth=1
	s_or_b32 exec_lo, exec_lo, s13
	v_lshlrev_b32_e32 v12, 24, v26
	v_lshlrev_b32_e32 v6, 20, v6
	v_lshl_add_u32 v8, v8, 23, 0x3c000000
	v_and_b32_e32 v12, 0x80000000, v12
	v_or3_b32 v6, v6, v12, v8
	v_mov_b32_e32 v17, v7
	v_mov_b32_e32 v16, v6
.LBB251_1477:                           ;   in Loop: Header=BB251_927 Depth=1
	s_or_b32 exec_lo, exec_lo, s12
.LBB251_1478:                           ;   in Loop: Header=BB251_927 Depth=1
	s_or_b32 exec_lo, exec_lo, s11
.LBB251_1479:                           ;   in Loop: Header=BB251_927 Depth=1
	s_or_b32 exec_lo, exec_lo, s9
	v_cmp_ne_u16_sdwa s4, v26, v7 src0_sel:BYTE_1 src1_sel:DWORD
	s_and_saveexec_b32 s9, s4
	s_cbranch_execz .LBB251_1487
; %bb.1480:                             ;   in Loop: Header=BB251_927 Depth=1
	v_mov_b32_e32 v8, v7
	v_mov_b32_e32 v19, v9
	v_cmp_ne_u16_sdwa s4, v26, v83 src0_sel:BYTE_1 src1_sel:DWORD
	v_mov_b32_e32 v18, v8
	s_and_saveexec_b32 s11, s4
	s_cbranch_execz .LBB251_1486
; %bb.1481:                             ;   in Loop: Header=BB251_927 Depth=1
	v_mov_b32_e32 v6, 0xffff
	v_mov_b32_e32 v12, v7
	;; [unrolled: 1-line block ×3, first 2 shown]
	s_mov_b32 s12, exec_lo
	v_and_b32_sdwa v6, v6, v26 dst_sel:DWORD dst_unused:UNUSED_PAD src0_sel:DWORD src1_sel:BYTE_1
	v_mov_b32_e32 v18, v12
	v_and_b32_e32 v20, 0x7f, v6
	v_cmpx_ne_u32_e32 0x7f, v20
	s_cbranch_execz .LBB251_1485
; %bb.1482:                             ;   in Loop: Header=BB251_927 Depth=1
	v_and_b32_e32 v6, 7, v6
	v_lshrrev_b32_e32 v8, 3, v20
	s_mov_b32 s13, exec_lo
	v_cmpx_gt_u32_e32 8, v20
; %bb.1483:                             ;   in Loop: Header=BB251_927 Depth=1
	v_ffbh_u32_e32 v8, v6
	v_min_u32_e32 v8, 32, v8
	v_subrev_nc_u32_e32 v12, 28, v8
	v_sub_nc_u32_e32 v8, 29, v8
	v_lshlrev_b64 v[18:19], v12, v[6:7]
	v_and_b32_e32 v6, 7, v18
; %bb.1484:                             ;   in Loop: Header=BB251_927 Depth=1
	s_or_b32 exec_lo, exec_lo, s13
	v_lshlrev_b32_e32 v12, 16, v26
	v_lshlrev_b32_e32 v6, 20, v6
	v_lshl_add_u32 v8, v8, 23, 0x3c000000
	v_mov_b32_e32 v18, v7
	v_and_b32_e32 v12, 0x80000000, v12
	v_or3_b32 v19, v6, v12, v8
.LBB251_1485:                           ;   in Loop: Header=BB251_927 Depth=1
	s_or_b32 exec_lo, exec_lo, s12
.LBB251_1486:                           ;   in Loop: Header=BB251_927 Depth=1
	s_or_b32 exec_lo, exec_lo, s11
.LBB251_1487:                           ;   in Loop: Header=BB251_927 Depth=1
	s_or_b32 exec_lo, exec_lo, s9
	v_mov_b32_e32 v20, 0
	v_mov_b32_e32 v22, 0
	v_and_b32_sdwa v6, v26, v85 dst_sel:DWORD dst_unused:UNUSED_PAD src0_sel:WORD_1 src1_sel:DWORD
	v_mov_b32_e32 v21, 0
	v_mov_b32_e32 v23, 0
	s_mov_b32 s9, exec_lo
	v_cmpx_ne_u16_e32 0, v6
	s_cbranch_execz .LBB251_1495
; %bb.1488:                             ;   in Loop: Header=BB251_927 Depth=1
	v_bfrev_b32_e32 v22, 1
	v_mov_b32_e32 v23, 0
	s_mov_b32 s11, exec_lo
	v_cmpx_ne_u16_e32 0x80, v6
	s_cbranch_execz .LBB251_1494
; %bb.1489:                             ;   in Loop: Header=BB251_927 Depth=1
	v_mov_b32_e32 v22, 0x7f800001
	v_bfe_u32 v12, v26, 16, 7
	v_mov_b32_e32 v23, 0
	s_mov_b32 s12, exec_lo
	v_cmpx_ne_u32_e32 0x7f, v12
	s_cbranch_execz .LBB251_1493
; %bb.1490:                             ;   in Loop: Header=BB251_927 Depth=1
	v_mov_b32_e32 v6, 7
	v_lshrrev_b32_e32 v8, 3, v12
	s_mov_b32 s13, exec_lo
	v_and_b32_sdwa v6, v26, v6 dst_sel:DWORD dst_unused:UNUSED_PAD src0_sel:WORD_1 src1_sel:DWORD
	v_cmpx_gt_u32_e32 8, v12
; %bb.1491:                             ;   in Loop: Header=BB251_927 Depth=1
	v_ffbh_u32_e32 v8, v6
	v_min_u32_e32 v8, 32, v8
	v_subrev_nc_u32_e32 v12, 28, v8
	v_sub_nc_u32_e32 v8, 29, v8
	v_lshlrev_b64 v[22:23], v12, v[6:7]
	v_and_b32_e32 v6, 7, v22
; %bb.1492:                             ;   in Loop: Header=BB251_927 Depth=1
	s_or_b32 exec_lo, exec_lo, s13
	v_mov_b32_e32 v10, 24
	v_lshlrev_b32_e32 v6, 20, v6
	v_lshl_add_u32 v8, v8, 23, 0x3c000000
	v_lshlrev_b32_sdwa v12, v10, v26 dst_sel:DWORD dst_unused:UNUSED_PAD src0_sel:DWORD src1_sel:WORD_1
	v_and_b32_e32 v12, 0x80000000, v12
	v_or3_b32 v6, v6, v12, v8
	v_mov_b32_e32 v23, v7
	v_mov_b32_e32 v22, v6
.LBB251_1493:                           ;   in Loop: Header=BB251_927 Depth=1
	s_or_b32 exec_lo, exec_lo, s12
.LBB251_1494:                           ;   in Loop: Header=BB251_927 Depth=1
	s_or_b32 exec_lo, exec_lo, s11
.LBB251_1495:                           ;   in Loop: Header=BB251_927 Depth=1
	s_or_b32 exec_lo, exec_lo, s9
	s_mov_b32 s9, exec_lo
	v_cmpx_lt_u32_e32 0xffffff, v26
	s_cbranch_execz .LBB251_1503
; %bb.1496:                             ;   in Loop: Header=BB251_927 Depth=1
	v_mov_b32_e32 v8, v7
	v_mov_b32_e32 v21, v9
	v_cmp_ne_u32_sdwa s4, v26, v83 src0_sel:BYTE_3 src1_sel:DWORD
	v_mov_b32_e32 v20, v8
	s_and_saveexec_b32 s11, s4
	s_cbranch_execz .LBB251_1502
; %bb.1497:                             ;   in Loop: Header=BB251_927 Depth=1
	v_mov_b32_e32 v12, v7
	v_mov_b32_e32 v21, v13
	v_bfe_u32 v84, v26, 24, 7
	s_mov_b32 s12, exec_lo
	v_mov_b32_e32 v20, v12
	v_cmpx_ne_u32_e32 0x7f, v84
	s_cbranch_execz .LBB251_1501
; %bb.1498:                             ;   in Loop: Header=BB251_927 Depth=1
	v_mov_b32_e32 v6, 7
	v_lshrrev_b32_e32 v8, 3, v84
	s_mov_b32 s13, exec_lo
	v_and_b32_sdwa v6, v26, v6 dst_sel:DWORD dst_unused:UNUSED_PAD src0_sel:BYTE_3 src1_sel:DWORD
	v_cmpx_gt_u32_e32 8, v84
; %bb.1499:                             ;   in Loop: Header=BB251_927 Depth=1
	v_ffbh_u32_e32 v8, v6
	v_min_u32_e32 v8, 32, v8
	v_subrev_nc_u32_e32 v12, 28, v8
	v_sub_nc_u32_e32 v8, 29, v8
	v_lshlrev_b64 v[20:21], v12, v[6:7]
	v_and_b32_e32 v6, 7, v20
; %bb.1500:                             ;   in Loop: Header=BB251_927 Depth=1
	s_or_b32 exec_lo, exec_lo, s13
	v_mov_b32_e32 v10, 24
	v_lshlrev_b32_e32 v6, 20, v6
	v_lshl_add_u32 v8, v8, 23, 0x3c000000
	v_mov_b32_e32 v20, v7
	v_lshlrev_b32_sdwa v12, v10, v26 dst_sel:DWORD dst_unused:UNUSED_PAD src0_sel:DWORD src1_sel:BYTE_3
	v_and_b32_e32 v12, 0x80000000, v12
	v_or3_b32 v21, v6, v12, v8
.LBB251_1501:                           ;   in Loop: Header=BB251_927 Depth=1
	s_or_b32 exec_lo, exec_lo, s12
.LBB251_1502:                           ;   in Loop: Header=BB251_927 Depth=1
	s_or_b32 exec_lo, exec_lo, s11
.LBB251_1503:                           ;   in Loop: Header=BB251_927 Depth=1
	s_or_b32 exec_lo, exec_lo, s9
	v_or_b32_e32 v6, v19, v17
	v_or_b32_e32 v8, v18, v16
	;; [unrolled: 1-line block ×4, first 2 shown]
	v_mul_f32_e32 v100, v98, v6
	v_mul_f32_e32 v101, v81, v8
	;; [unrolled: 1-line block ×4, first 2 shown]
	s_and_saveexec_b32 s9, vcc_lo
	s_cbranch_execz .LBB251_1505
; %bb.1504:                             ;   in Loop: Header=BB251_927 Depth=1
	v_cmp_lt_i32_e64 s4, v115, v99
	v_cndmask_b32_e64 v101, 0, v101, s4
	v_cmp_lt_i32_e64 s4, v117, v99
	v_cndmask_b32_e64 v100, 0, v100, s4
	;; [unrolled: 2-line block ×4, first 2 shown]
.LBB251_1505:                           ;   in Loop: Header=BB251_927 Depth=1
	s_or_b32 exec_lo, exec_lo, s9
	flat_load_dword v84, v[4:5] offset:128
	v_mov_b32_e32 v18, 0
	v_mov_b32_e32 v16, 0
	;; [unrolled: 1-line block ×4, first 2 shown]
	s_waitcnt vmcnt(0) lgkmcnt(0)
	v_cmp_ne_u16_sdwa s4, v84, v7 src0_sel:BYTE_0 src1_sel:DWORD
	s_and_saveexec_b32 s9, s4
	s_cbranch_execz .LBB251_1513
; %bb.1506:                             ;   in Loop: Header=BB251_927 Depth=1
	v_bfrev_b32_e32 v16, 1
	v_mov_b32_e32 v17, 0
	v_cmp_ne_u16_sdwa s4, v84, v83 src0_sel:BYTE_0 src1_sel:DWORD
	s_and_saveexec_b32 s11, s4
	s_cbranch_execz .LBB251_1512
; %bb.1507:                             ;   in Loop: Header=BB251_927 Depth=1
	v_mov_b32_e32 v16, 0x7f800001
	v_and_b32_e32 v12, 0x7f, v84
	v_mov_b32_e32 v17, 0
	s_mov_b32 s12, exec_lo
	v_cmpx_ne_u32_e32 0x7f, v12
	s_cbranch_execz .LBB251_1511
; %bb.1508:                             ;   in Loop: Header=BB251_927 Depth=1
	v_and_b32_e32 v6, 7, v84
	v_lshrrev_b32_e32 v8, 3, v12
	s_mov_b32 s13, exec_lo
	v_cmpx_gt_u32_e32 8, v12
; %bb.1509:                             ;   in Loop: Header=BB251_927 Depth=1
	v_ffbh_u32_e32 v8, v6
	v_min_u32_e32 v8, 32, v8
	v_subrev_nc_u32_e32 v12, 28, v8
	v_sub_nc_u32_e32 v8, 29, v8
	v_lshlrev_b64 v[16:17], v12, v[6:7]
	v_and_b32_e32 v6, 7, v16
; %bb.1510:                             ;   in Loop: Header=BB251_927 Depth=1
	s_or_b32 exec_lo, exec_lo, s13
	v_lshlrev_b32_e32 v12, 24, v84
	v_lshlrev_b32_e32 v6, 20, v6
	v_lshl_add_u32 v8, v8, 23, 0x3c000000
	v_and_b32_e32 v12, 0x80000000, v12
	v_or3_b32 v6, v6, v12, v8
	v_mov_b32_e32 v17, v7
	v_mov_b32_e32 v16, v6
.LBB251_1511:                           ;   in Loop: Header=BB251_927 Depth=1
	s_or_b32 exec_lo, exec_lo, s12
.LBB251_1512:                           ;   in Loop: Header=BB251_927 Depth=1
	s_or_b32 exec_lo, exec_lo, s11
.LBB251_1513:                           ;   in Loop: Header=BB251_927 Depth=1
	s_or_b32 exec_lo, exec_lo, s9
	v_cmp_ne_u16_sdwa s4, v84, v7 src0_sel:BYTE_1 src1_sel:DWORD
	s_and_saveexec_b32 s9, s4
	s_cbranch_execz .LBB251_1521
; %bb.1514:                             ;   in Loop: Header=BB251_927 Depth=1
	v_mov_b32_e32 v8, v7
	v_mov_b32_e32 v19, v9
	v_cmp_ne_u16_sdwa s4, v84, v83 src0_sel:BYTE_1 src1_sel:DWORD
	v_mov_b32_e32 v18, v8
	s_and_saveexec_b32 s11, s4
	s_cbranch_execz .LBB251_1520
; %bb.1515:                             ;   in Loop: Header=BB251_927 Depth=1
	v_mov_b32_e32 v6, 0xffff
	v_mov_b32_e32 v12, v7
	;; [unrolled: 1-line block ×3, first 2 shown]
	s_mov_b32 s12, exec_lo
	v_and_b32_sdwa v6, v6, v84 dst_sel:DWORD dst_unused:UNUSED_PAD src0_sel:DWORD src1_sel:BYTE_1
	v_mov_b32_e32 v18, v12
	v_and_b32_e32 v20, 0x7f, v6
	v_cmpx_ne_u32_e32 0x7f, v20
	s_cbranch_execz .LBB251_1519
; %bb.1516:                             ;   in Loop: Header=BB251_927 Depth=1
	v_and_b32_e32 v6, 7, v6
	v_lshrrev_b32_e32 v8, 3, v20
	s_mov_b32 s13, exec_lo
	v_cmpx_gt_u32_e32 8, v20
; %bb.1517:                             ;   in Loop: Header=BB251_927 Depth=1
	v_ffbh_u32_e32 v8, v6
	v_min_u32_e32 v8, 32, v8
	v_subrev_nc_u32_e32 v12, 28, v8
	v_sub_nc_u32_e32 v8, 29, v8
	v_lshlrev_b64 v[18:19], v12, v[6:7]
	v_and_b32_e32 v6, 7, v18
; %bb.1518:                             ;   in Loop: Header=BB251_927 Depth=1
	s_or_b32 exec_lo, exec_lo, s13
	v_lshlrev_b32_e32 v12, 16, v84
	v_lshlrev_b32_e32 v6, 20, v6
	v_lshl_add_u32 v8, v8, 23, 0x3c000000
	v_mov_b32_e32 v18, v7
	v_and_b32_e32 v12, 0x80000000, v12
	v_or3_b32 v19, v6, v12, v8
.LBB251_1519:                           ;   in Loop: Header=BB251_927 Depth=1
	s_or_b32 exec_lo, exec_lo, s12
.LBB251_1520:                           ;   in Loop: Header=BB251_927 Depth=1
	s_or_b32 exec_lo, exec_lo, s11
.LBB251_1521:                           ;   in Loop: Header=BB251_927 Depth=1
	s_or_b32 exec_lo, exec_lo, s9
	v_mov_b32_e32 v20, 0
	v_mov_b32_e32 v22, 0
	v_and_b32_sdwa v6, v84, v85 dst_sel:DWORD dst_unused:UNUSED_PAD src0_sel:WORD_1 src1_sel:DWORD
	v_mov_b32_e32 v21, 0
	v_mov_b32_e32 v23, 0
	s_mov_b32 s9, exec_lo
	v_cmpx_ne_u16_e32 0, v6
	s_cbranch_execz .LBB251_1529
; %bb.1522:                             ;   in Loop: Header=BB251_927 Depth=1
	v_bfrev_b32_e32 v22, 1
	v_mov_b32_e32 v23, 0
	s_mov_b32 s11, exec_lo
	v_cmpx_ne_u16_e32 0x80, v6
	s_cbranch_execz .LBB251_1528
; %bb.1523:                             ;   in Loop: Header=BB251_927 Depth=1
	v_mov_b32_e32 v22, 0x7f800001
	v_bfe_u32 v12, v84, 16, 7
	v_mov_b32_e32 v23, 0
	s_mov_b32 s12, exec_lo
	v_cmpx_ne_u32_e32 0x7f, v12
	s_cbranch_execz .LBB251_1527
; %bb.1524:                             ;   in Loop: Header=BB251_927 Depth=1
	v_mov_b32_e32 v6, 7
	v_lshrrev_b32_e32 v8, 3, v12
	s_mov_b32 s13, exec_lo
	v_and_b32_sdwa v6, v84, v6 dst_sel:DWORD dst_unused:UNUSED_PAD src0_sel:WORD_1 src1_sel:DWORD
	v_cmpx_gt_u32_e32 8, v12
; %bb.1525:                             ;   in Loop: Header=BB251_927 Depth=1
	v_ffbh_u32_e32 v8, v6
	v_min_u32_e32 v8, 32, v8
	v_subrev_nc_u32_e32 v12, 28, v8
	v_sub_nc_u32_e32 v8, 29, v8
	v_lshlrev_b64 v[22:23], v12, v[6:7]
	v_and_b32_e32 v6, 7, v22
; %bb.1526:                             ;   in Loop: Header=BB251_927 Depth=1
	s_or_b32 exec_lo, exec_lo, s13
	v_mov_b32_e32 v12, 24
	v_lshlrev_b32_e32 v6, 20, v6
	v_lshl_add_u32 v8, v8, 23, 0x3c000000
	v_lshlrev_b32_sdwa v12, v12, v84 dst_sel:DWORD dst_unused:UNUSED_PAD src0_sel:DWORD src1_sel:WORD_1
	v_and_b32_e32 v12, 0x80000000, v12
	v_or3_b32 v6, v6, v12, v8
	v_mov_b32_e32 v23, v7
	v_mov_b32_e32 v22, v6
.LBB251_1527:                           ;   in Loop: Header=BB251_927 Depth=1
	s_or_b32 exec_lo, exec_lo, s12
.LBB251_1528:                           ;   in Loop: Header=BB251_927 Depth=1
	s_or_b32 exec_lo, exec_lo, s11
.LBB251_1529:                           ;   in Loop: Header=BB251_927 Depth=1
	s_or_b32 exec_lo, exec_lo, s9
	s_mov_b32 s9, exec_lo
	v_cmpx_lt_u32_e32 0xffffff, v84
	s_cbranch_execz .LBB251_1537
; %bb.1530:                             ;   in Loop: Header=BB251_927 Depth=1
	v_mov_b32_e32 v8, v7
	v_mov_b32_e32 v21, v9
	v_cmp_ne_u32_sdwa s4, v84, v83 src0_sel:BYTE_3 src1_sel:DWORD
	v_mov_b32_e32 v20, v8
	s_and_saveexec_b32 s11, s4
	s_cbranch_execz .LBB251_1536
; %bb.1531:                             ;   in Loop: Header=BB251_927 Depth=1
	v_mov_b32_e32 v12, v7
	v_mov_b32_e32 v21, v13
	v_bfe_u32 v86, v84, 24, 7
	s_mov_b32 s12, exec_lo
	v_mov_b32_e32 v20, v12
	v_cmpx_ne_u32_e32 0x7f, v86
	s_cbranch_execz .LBB251_1535
; %bb.1532:                             ;   in Loop: Header=BB251_927 Depth=1
	v_mov_b32_e32 v6, 7
	v_lshrrev_b32_e32 v8, 3, v86
	s_mov_b32 s13, exec_lo
	v_and_b32_sdwa v6, v84, v6 dst_sel:DWORD dst_unused:UNUSED_PAD src0_sel:BYTE_3 src1_sel:DWORD
	v_cmpx_gt_u32_e32 8, v86
; %bb.1533:                             ;   in Loop: Header=BB251_927 Depth=1
	v_ffbh_u32_e32 v8, v6
	v_min_u32_e32 v8, 32, v8
	v_subrev_nc_u32_e32 v12, 28, v8
	v_sub_nc_u32_e32 v8, 29, v8
	v_lshlrev_b64 v[20:21], v12, v[6:7]
	v_and_b32_e32 v6, 7, v20
; %bb.1534:                             ;   in Loop: Header=BB251_927 Depth=1
	s_or_b32 exec_lo, exec_lo, s13
	v_mov_b32_e32 v12, 24
	v_lshlrev_b32_e32 v6, 20, v6
	v_lshl_add_u32 v8, v8, 23, 0x3c000000
	v_mov_b32_e32 v20, v7
	v_lshlrev_b32_sdwa v12, v12, v84 dst_sel:DWORD dst_unused:UNUSED_PAD src0_sel:DWORD src1_sel:BYTE_3
	v_and_b32_e32 v12, 0x80000000, v12
	v_or3_b32 v21, v6, v12, v8
.LBB251_1535:                           ;   in Loop: Header=BB251_927 Depth=1
	s_or_b32 exec_lo, exec_lo, s12
.LBB251_1536:                           ;   in Loop: Header=BB251_927 Depth=1
	s_or_b32 exec_lo, exec_lo, s11
.LBB251_1537:                           ;   in Loop: Header=BB251_927 Depth=1
	s_or_b32 exec_lo, exec_lo, s9
	v_or_b32_e32 v6, v19, v17
	v_or_b32_e32 v8, v18, v16
	;; [unrolled: 1-line block ×4, first 2 shown]
	v_mul_f32_e32 v112, v98, v6
	v_mul_f32_e32 v113, v81, v8
	;; [unrolled: 1-line block ×4, first 2 shown]
	s_and_saveexec_b32 s9, vcc_lo
	s_cbranch_execz .LBB251_1539
; %bb.1538:                             ;   in Loop: Header=BB251_927 Depth=1
	v_cmp_lt_i32_e64 s4, v115, v99
	v_cndmask_b32_e64 v113, 0, v113, s4
	v_cmp_lt_i32_e64 s4, v117, v99
	v_cndmask_b32_e64 v112, 0, v112, s4
	;; [unrolled: 2-line block ×4, first 2 shown]
.LBB251_1539:                           ;   in Loop: Header=BB251_927 Depth=1
	s_or_b32 exec_lo, exec_lo, s9
	flat_load_dword v84, v[4:5] offset:256
	v_mov_b32_e32 v18, 0
	v_mov_b32_e32 v16, 0
	;; [unrolled: 1-line block ×4, first 2 shown]
	s_waitcnt vmcnt(0) lgkmcnt(0)
	v_cmp_ne_u16_sdwa s4, v84, v7 src0_sel:BYTE_0 src1_sel:DWORD
	s_and_saveexec_b32 s9, s4
	s_cbranch_execz .LBB251_1547
; %bb.1540:                             ;   in Loop: Header=BB251_927 Depth=1
	v_bfrev_b32_e32 v16, 1
	v_mov_b32_e32 v17, 0
	v_cmp_ne_u16_sdwa s4, v84, v83 src0_sel:BYTE_0 src1_sel:DWORD
	s_and_saveexec_b32 s11, s4
	s_cbranch_execz .LBB251_1546
; %bb.1541:                             ;   in Loop: Header=BB251_927 Depth=1
	v_mov_b32_e32 v16, 0x7f800001
	v_and_b32_e32 v12, 0x7f, v84
	v_mov_b32_e32 v17, 0
	s_mov_b32 s12, exec_lo
	v_cmpx_ne_u32_e32 0x7f, v12
	s_cbranch_execz .LBB251_1545
; %bb.1542:                             ;   in Loop: Header=BB251_927 Depth=1
	v_and_b32_e32 v6, 7, v84
	v_lshrrev_b32_e32 v8, 3, v12
	s_mov_b32 s13, exec_lo
	v_cmpx_gt_u32_e32 8, v12
; %bb.1543:                             ;   in Loop: Header=BB251_927 Depth=1
	v_ffbh_u32_e32 v8, v6
	v_min_u32_e32 v8, 32, v8
	v_subrev_nc_u32_e32 v12, 28, v8
	v_sub_nc_u32_e32 v8, 29, v8
	v_lshlrev_b64 v[16:17], v12, v[6:7]
	v_and_b32_e32 v6, 7, v16
; %bb.1544:                             ;   in Loop: Header=BB251_927 Depth=1
	s_or_b32 exec_lo, exec_lo, s13
	v_lshlrev_b32_e32 v12, 24, v84
	v_lshlrev_b32_e32 v6, 20, v6
	v_lshl_add_u32 v8, v8, 23, 0x3c000000
	v_and_b32_e32 v12, 0x80000000, v12
	v_or3_b32 v6, v6, v12, v8
	v_mov_b32_e32 v17, v7
	v_mov_b32_e32 v16, v6
.LBB251_1545:                           ;   in Loop: Header=BB251_927 Depth=1
	s_or_b32 exec_lo, exec_lo, s12
.LBB251_1546:                           ;   in Loop: Header=BB251_927 Depth=1
	s_or_b32 exec_lo, exec_lo, s11
.LBB251_1547:                           ;   in Loop: Header=BB251_927 Depth=1
	s_or_b32 exec_lo, exec_lo, s9
	v_cmp_ne_u16_sdwa s4, v84, v7 src0_sel:BYTE_1 src1_sel:DWORD
	s_and_saveexec_b32 s9, s4
	s_cbranch_execz .LBB251_1555
; %bb.1548:                             ;   in Loop: Header=BB251_927 Depth=1
	v_mov_b32_e32 v8, v7
	v_mov_b32_e32 v19, v9
	v_cmp_ne_u16_sdwa s4, v84, v83 src0_sel:BYTE_1 src1_sel:DWORD
	v_mov_b32_e32 v18, v8
	s_and_saveexec_b32 s11, s4
	s_cbranch_execz .LBB251_1554
; %bb.1549:                             ;   in Loop: Header=BB251_927 Depth=1
	v_mov_b32_e32 v6, 0xffff
	v_mov_b32_e32 v12, v7
	;; [unrolled: 1-line block ×3, first 2 shown]
	s_mov_b32 s12, exec_lo
	v_and_b32_sdwa v6, v6, v84 dst_sel:DWORD dst_unused:UNUSED_PAD src0_sel:DWORD src1_sel:BYTE_1
	v_mov_b32_e32 v18, v12
	v_and_b32_e32 v20, 0x7f, v6
	v_cmpx_ne_u32_e32 0x7f, v20
	s_cbranch_execz .LBB251_1553
; %bb.1550:                             ;   in Loop: Header=BB251_927 Depth=1
	v_and_b32_e32 v6, 7, v6
	v_lshrrev_b32_e32 v8, 3, v20
	s_mov_b32 s13, exec_lo
	v_cmpx_gt_u32_e32 8, v20
; %bb.1551:                             ;   in Loop: Header=BB251_927 Depth=1
	v_ffbh_u32_e32 v8, v6
	v_min_u32_e32 v8, 32, v8
	v_subrev_nc_u32_e32 v12, 28, v8
	v_sub_nc_u32_e32 v8, 29, v8
	v_lshlrev_b64 v[18:19], v12, v[6:7]
	v_and_b32_e32 v6, 7, v18
; %bb.1552:                             ;   in Loop: Header=BB251_927 Depth=1
	s_or_b32 exec_lo, exec_lo, s13
	v_lshlrev_b32_e32 v12, 16, v84
	v_lshlrev_b32_e32 v6, 20, v6
	v_lshl_add_u32 v8, v8, 23, 0x3c000000
	v_mov_b32_e32 v18, v7
	v_and_b32_e32 v12, 0x80000000, v12
	v_or3_b32 v19, v6, v12, v8
.LBB251_1553:                           ;   in Loop: Header=BB251_927 Depth=1
	s_or_b32 exec_lo, exec_lo, s12
.LBB251_1554:                           ;   in Loop: Header=BB251_927 Depth=1
	s_or_b32 exec_lo, exec_lo, s11
.LBB251_1555:                           ;   in Loop: Header=BB251_927 Depth=1
	s_or_b32 exec_lo, exec_lo, s9
	v_mov_b32_e32 v20, 0
	v_mov_b32_e32 v22, 0
	v_and_b32_sdwa v6, v84, v85 dst_sel:DWORD dst_unused:UNUSED_PAD src0_sel:WORD_1 src1_sel:DWORD
	v_mov_b32_e32 v21, 0
	v_mov_b32_e32 v23, 0
	s_mov_b32 s9, exec_lo
	v_cmpx_ne_u16_e32 0, v6
	s_cbranch_execz .LBB251_1563
; %bb.1556:                             ;   in Loop: Header=BB251_927 Depth=1
	v_bfrev_b32_e32 v22, 1
	v_mov_b32_e32 v23, 0
	s_mov_b32 s11, exec_lo
	v_cmpx_ne_u16_e32 0x80, v6
	s_cbranch_execz .LBB251_1562
; %bb.1557:                             ;   in Loop: Header=BB251_927 Depth=1
	v_mov_b32_e32 v22, 0x7f800001
	v_bfe_u32 v12, v84, 16, 7
	v_mov_b32_e32 v23, 0
	s_mov_b32 s12, exec_lo
	v_cmpx_ne_u32_e32 0x7f, v12
	s_cbranch_execz .LBB251_1561
; %bb.1558:                             ;   in Loop: Header=BB251_927 Depth=1
	v_mov_b32_e32 v6, 7
	v_lshrrev_b32_e32 v8, 3, v12
	s_mov_b32 s13, exec_lo
	v_and_b32_sdwa v6, v84, v6 dst_sel:DWORD dst_unused:UNUSED_PAD src0_sel:WORD_1 src1_sel:DWORD
	v_cmpx_gt_u32_e32 8, v12
; %bb.1559:                             ;   in Loop: Header=BB251_927 Depth=1
	v_ffbh_u32_e32 v8, v6
	v_min_u32_e32 v8, 32, v8
	v_subrev_nc_u32_e32 v12, 28, v8
	v_sub_nc_u32_e32 v8, 29, v8
	v_lshlrev_b64 v[22:23], v12, v[6:7]
	v_and_b32_e32 v6, 7, v22
; %bb.1560:                             ;   in Loop: Header=BB251_927 Depth=1
	s_or_b32 exec_lo, exec_lo, s13
	v_mov_b32_e32 v12, 24
	v_lshlrev_b32_e32 v6, 20, v6
	v_lshl_add_u32 v8, v8, 23, 0x3c000000
	v_lshlrev_b32_sdwa v12, v12, v84 dst_sel:DWORD dst_unused:UNUSED_PAD src0_sel:DWORD src1_sel:WORD_1
	v_and_b32_e32 v12, 0x80000000, v12
	v_or3_b32 v6, v6, v12, v8
	v_mov_b32_e32 v23, v7
	v_mov_b32_e32 v22, v6
.LBB251_1561:                           ;   in Loop: Header=BB251_927 Depth=1
	s_or_b32 exec_lo, exec_lo, s12
.LBB251_1562:                           ;   in Loop: Header=BB251_927 Depth=1
	s_or_b32 exec_lo, exec_lo, s11
.LBB251_1563:                           ;   in Loop: Header=BB251_927 Depth=1
	s_or_b32 exec_lo, exec_lo, s9
	s_mov_b32 s9, exec_lo
	v_cmpx_lt_u32_e32 0xffffff, v84
	s_cbranch_execz .LBB251_1571
; %bb.1564:                             ;   in Loop: Header=BB251_927 Depth=1
	v_mov_b32_e32 v8, v7
	v_mov_b32_e32 v21, v9
	v_cmp_ne_u32_sdwa s4, v84, v83 src0_sel:BYTE_3 src1_sel:DWORD
	v_mov_b32_e32 v20, v8
	s_and_saveexec_b32 s11, s4
	s_cbranch_execz .LBB251_1570
; %bb.1565:                             ;   in Loop: Header=BB251_927 Depth=1
	v_mov_b32_e32 v12, v7
	v_mov_b32_e32 v21, v13
	v_bfe_u32 v86, v84, 24, 7
	s_mov_b32 s12, exec_lo
	v_mov_b32_e32 v20, v12
	v_cmpx_ne_u32_e32 0x7f, v86
	s_cbranch_execz .LBB251_1569
; %bb.1566:                             ;   in Loop: Header=BB251_927 Depth=1
	v_mov_b32_e32 v6, 7
	v_lshrrev_b32_e32 v8, 3, v86
	s_mov_b32 s13, exec_lo
	v_and_b32_sdwa v6, v84, v6 dst_sel:DWORD dst_unused:UNUSED_PAD src0_sel:BYTE_3 src1_sel:DWORD
	v_cmpx_gt_u32_e32 8, v86
; %bb.1567:                             ;   in Loop: Header=BB251_927 Depth=1
	v_ffbh_u32_e32 v8, v6
	v_min_u32_e32 v8, 32, v8
	v_subrev_nc_u32_e32 v12, 28, v8
	v_sub_nc_u32_e32 v8, 29, v8
	v_lshlrev_b64 v[20:21], v12, v[6:7]
	v_and_b32_e32 v6, 7, v20
; %bb.1568:                             ;   in Loop: Header=BB251_927 Depth=1
	s_or_b32 exec_lo, exec_lo, s13
	v_mov_b32_e32 v12, 24
	v_lshlrev_b32_e32 v6, 20, v6
	v_lshl_add_u32 v8, v8, 23, 0x3c000000
	v_mov_b32_e32 v20, v7
	v_lshlrev_b32_sdwa v12, v12, v84 dst_sel:DWORD dst_unused:UNUSED_PAD src0_sel:DWORD src1_sel:BYTE_3
	v_and_b32_e32 v12, 0x80000000, v12
	v_or3_b32 v21, v6, v12, v8
.LBB251_1569:                           ;   in Loop: Header=BB251_927 Depth=1
	s_or_b32 exec_lo, exec_lo, s12
.LBB251_1570:                           ;   in Loop: Header=BB251_927 Depth=1
	s_or_b32 exec_lo, exec_lo, s11
.LBB251_1571:                           ;   in Loop: Header=BB251_927 Depth=1
	s_or_b32 exec_lo, exec_lo, s9
	v_or_b32_e32 v6, v19, v17
	v_or_b32_e32 v8, v18, v16
	;; [unrolled: 1-line block ×4, first 2 shown]
	v_mul_f32_e32 v40, v98, v6
	v_mul_f32_e32 v119, v81, v8
	;; [unrolled: 1-line block ×4, first 2 shown]
	s_and_saveexec_b32 s9, vcc_lo
	s_cbranch_execz .LBB251_1573
; %bb.1572:                             ;   in Loop: Header=BB251_927 Depth=1
	v_cmp_lt_i32_e64 s4, v115, v99
	v_cndmask_b32_e64 v119, 0, v119, s4
	v_cmp_lt_i32_e64 s4, v117, v99
	v_cndmask_b32_e64 v40, 0, v40, s4
	;; [unrolled: 2-line block ×4, first 2 shown]
.LBB251_1573:                           ;   in Loop: Header=BB251_927 Depth=1
	s_or_b32 exec_lo, exec_lo, s9
	flat_load_dword v84, v[4:5] offset:384
	v_mov_b32_e32 v18, 0
	v_mov_b32_e32 v16, 0
	;; [unrolled: 1-line block ×4, first 2 shown]
	s_waitcnt vmcnt(0) lgkmcnt(0)
	v_cmp_ne_u16_sdwa s4, v84, v7 src0_sel:BYTE_0 src1_sel:DWORD
	s_and_saveexec_b32 s9, s4
	s_cbranch_execz .LBB251_1581
; %bb.1574:                             ;   in Loop: Header=BB251_927 Depth=1
	v_bfrev_b32_e32 v16, 1
	v_mov_b32_e32 v17, 0
	v_cmp_ne_u16_sdwa s4, v84, v83 src0_sel:BYTE_0 src1_sel:DWORD
	s_and_saveexec_b32 s11, s4
	s_cbranch_execz .LBB251_1580
; %bb.1575:                             ;   in Loop: Header=BB251_927 Depth=1
	v_mov_b32_e32 v16, 0x7f800001
	v_and_b32_e32 v12, 0x7f, v84
	v_mov_b32_e32 v17, 0
	s_mov_b32 s12, exec_lo
	v_cmpx_ne_u32_e32 0x7f, v12
	s_cbranch_execz .LBB251_1579
; %bb.1576:                             ;   in Loop: Header=BB251_927 Depth=1
	v_and_b32_e32 v6, 7, v84
	v_lshrrev_b32_e32 v8, 3, v12
	s_mov_b32 s13, exec_lo
	v_cmpx_gt_u32_e32 8, v12
; %bb.1577:                             ;   in Loop: Header=BB251_927 Depth=1
	v_ffbh_u32_e32 v8, v6
	v_min_u32_e32 v8, 32, v8
	v_subrev_nc_u32_e32 v12, 28, v8
	v_sub_nc_u32_e32 v8, 29, v8
	v_lshlrev_b64 v[16:17], v12, v[6:7]
	v_and_b32_e32 v6, 7, v16
; %bb.1578:                             ;   in Loop: Header=BB251_927 Depth=1
	s_or_b32 exec_lo, exec_lo, s13
	v_lshlrev_b32_e32 v12, 24, v84
	v_lshlrev_b32_e32 v6, 20, v6
	v_lshl_add_u32 v8, v8, 23, 0x3c000000
	v_and_b32_e32 v12, 0x80000000, v12
	v_or3_b32 v6, v6, v12, v8
	v_mov_b32_e32 v17, v7
	v_mov_b32_e32 v16, v6
.LBB251_1579:                           ;   in Loop: Header=BB251_927 Depth=1
	s_or_b32 exec_lo, exec_lo, s12
.LBB251_1580:                           ;   in Loop: Header=BB251_927 Depth=1
	s_or_b32 exec_lo, exec_lo, s11
.LBB251_1581:                           ;   in Loop: Header=BB251_927 Depth=1
	s_or_b32 exec_lo, exec_lo, s9
	v_cmp_ne_u16_sdwa s4, v84, v7 src0_sel:BYTE_1 src1_sel:DWORD
	s_and_saveexec_b32 s9, s4
	s_cbranch_execz .LBB251_1589
; %bb.1582:                             ;   in Loop: Header=BB251_927 Depth=1
	v_mov_b32_e32 v8, v7
	v_mov_b32_e32 v19, v9
	v_cmp_ne_u16_sdwa s4, v84, v83 src0_sel:BYTE_1 src1_sel:DWORD
	v_mov_b32_e32 v18, v8
	s_and_saveexec_b32 s11, s4
	s_cbranch_execz .LBB251_1588
; %bb.1583:                             ;   in Loop: Header=BB251_927 Depth=1
	v_mov_b32_e32 v6, 0xffff
	v_mov_b32_e32 v12, v7
	;; [unrolled: 1-line block ×3, first 2 shown]
	s_mov_b32 s12, exec_lo
	v_and_b32_sdwa v6, v6, v84 dst_sel:DWORD dst_unused:UNUSED_PAD src0_sel:DWORD src1_sel:BYTE_1
	v_mov_b32_e32 v18, v12
	v_and_b32_e32 v20, 0x7f, v6
	v_cmpx_ne_u32_e32 0x7f, v20
	s_cbranch_execz .LBB251_1587
; %bb.1584:                             ;   in Loop: Header=BB251_927 Depth=1
	v_and_b32_e32 v6, 7, v6
	v_lshrrev_b32_e32 v8, 3, v20
	s_mov_b32 s13, exec_lo
	v_cmpx_gt_u32_e32 8, v20
; %bb.1585:                             ;   in Loop: Header=BB251_927 Depth=1
	v_ffbh_u32_e32 v8, v6
	v_min_u32_e32 v8, 32, v8
	v_subrev_nc_u32_e32 v12, 28, v8
	v_sub_nc_u32_e32 v8, 29, v8
	v_lshlrev_b64 v[18:19], v12, v[6:7]
	v_and_b32_e32 v6, 7, v18
; %bb.1586:                             ;   in Loop: Header=BB251_927 Depth=1
	s_or_b32 exec_lo, exec_lo, s13
	v_lshlrev_b32_e32 v12, 16, v84
	v_lshlrev_b32_e32 v6, 20, v6
	v_lshl_add_u32 v8, v8, 23, 0x3c000000
	v_mov_b32_e32 v18, v7
	v_and_b32_e32 v12, 0x80000000, v12
	v_or3_b32 v19, v6, v12, v8
.LBB251_1587:                           ;   in Loop: Header=BB251_927 Depth=1
	s_or_b32 exec_lo, exec_lo, s12
.LBB251_1588:                           ;   in Loop: Header=BB251_927 Depth=1
	s_or_b32 exec_lo, exec_lo, s11
.LBB251_1589:                           ;   in Loop: Header=BB251_927 Depth=1
	s_or_b32 exec_lo, exec_lo, s9
	v_mov_b32_e32 v20, 0
	v_mov_b32_e32 v22, 0
	v_and_b32_sdwa v6, v84, v85 dst_sel:DWORD dst_unused:UNUSED_PAD src0_sel:WORD_1 src1_sel:DWORD
	v_mov_b32_e32 v21, 0
	v_mov_b32_e32 v23, 0
	s_mov_b32 s9, exec_lo
	v_cmpx_ne_u16_e32 0, v6
	s_cbranch_execz .LBB251_1597
; %bb.1590:                             ;   in Loop: Header=BB251_927 Depth=1
	v_bfrev_b32_e32 v22, 1
	v_mov_b32_e32 v23, 0
	s_mov_b32 s11, exec_lo
	v_cmpx_ne_u16_e32 0x80, v6
	s_cbranch_execz .LBB251_1596
; %bb.1591:                             ;   in Loop: Header=BB251_927 Depth=1
	v_mov_b32_e32 v22, 0x7f800001
	v_bfe_u32 v12, v84, 16, 7
	v_mov_b32_e32 v23, 0
	s_mov_b32 s12, exec_lo
	v_cmpx_ne_u32_e32 0x7f, v12
	s_cbranch_execz .LBB251_1595
; %bb.1592:                             ;   in Loop: Header=BB251_927 Depth=1
	v_mov_b32_e32 v6, 7
	v_lshrrev_b32_e32 v8, 3, v12
	s_mov_b32 s13, exec_lo
	v_and_b32_sdwa v6, v84, v6 dst_sel:DWORD dst_unused:UNUSED_PAD src0_sel:WORD_1 src1_sel:DWORD
	v_cmpx_gt_u32_e32 8, v12
; %bb.1593:                             ;   in Loop: Header=BB251_927 Depth=1
	v_ffbh_u32_e32 v8, v6
	v_min_u32_e32 v8, 32, v8
	v_subrev_nc_u32_e32 v12, 28, v8
	v_sub_nc_u32_e32 v8, 29, v8
	v_lshlrev_b64 v[22:23], v12, v[6:7]
	v_and_b32_e32 v6, 7, v22
; %bb.1594:                             ;   in Loop: Header=BB251_927 Depth=1
	s_or_b32 exec_lo, exec_lo, s13
	v_mov_b32_e32 v12, 24
	v_lshlrev_b32_e32 v6, 20, v6
	v_lshl_add_u32 v8, v8, 23, 0x3c000000
	v_lshlrev_b32_sdwa v12, v12, v84 dst_sel:DWORD dst_unused:UNUSED_PAD src0_sel:DWORD src1_sel:WORD_1
	v_and_b32_e32 v12, 0x80000000, v12
	v_or3_b32 v6, v6, v12, v8
	v_mov_b32_e32 v23, v7
	v_mov_b32_e32 v22, v6
.LBB251_1595:                           ;   in Loop: Header=BB251_927 Depth=1
	s_or_b32 exec_lo, exec_lo, s12
.LBB251_1596:                           ;   in Loop: Header=BB251_927 Depth=1
	s_or_b32 exec_lo, exec_lo, s11
.LBB251_1597:                           ;   in Loop: Header=BB251_927 Depth=1
	s_or_b32 exec_lo, exec_lo, s9
	s_mov_b32 s9, exec_lo
	v_cmpx_lt_u32_e32 0xffffff, v84
	s_cbranch_execz .LBB251_1605
; %bb.1598:                             ;   in Loop: Header=BB251_927 Depth=1
	v_mov_b32_e32 v8, v7
	v_mov_b32_e32 v21, v9
	v_cmp_ne_u32_sdwa s4, v84, v83 src0_sel:BYTE_3 src1_sel:DWORD
	v_mov_b32_e32 v20, v8
	s_and_saveexec_b32 s11, s4
	s_cbranch_execz .LBB251_1604
; %bb.1599:                             ;   in Loop: Header=BB251_927 Depth=1
	v_mov_b32_e32 v12, v7
	v_mov_b32_e32 v21, v13
	v_bfe_u32 v86, v84, 24, 7
	s_mov_b32 s12, exec_lo
	v_mov_b32_e32 v20, v12
	v_cmpx_ne_u32_e32 0x7f, v86
	s_cbranch_execz .LBB251_1603
; %bb.1600:                             ;   in Loop: Header=BB251_927 Depth=1
	v_mov_b32_e32 v6, 7
	v_lshrrev_b32_e32 v8, 3, v86
	s_mov_b32 s13, exec_lo
	v_and_b32_sdwa v6, v84, v6 dst_sel:DWORD dst_unused:UNUSED_PAD src0_sel:BYTE_3 src1_sel:DWORD
	v_cmpx_gt_u32_e32 8, v86
; %bb.1601:                             ;   in Loop: Header=BB251_927 Depth=1
	v_ffbh_u32_e32 v8, v6
	v_min_u32_e32 v8, 32, v8
	v_subrev_nc_u32_e32 v12, 28, v8
	v_sub_nc_u32_e32 v8, 29, v8
	v_lshlrev_b64 v[20:21], v12, v[6:7]
	v_and_b32_e32 v6, 7, v20
; %bb.1602:                             ;   in Loop: Header=BB251_927 Depth=1
	s_or_b32 exec_lo, exec_lo, s13
	v_mov_b32_e32 v12, 24
	v_lshlrev_b32_e32 v6, 20, v6
	v_lshl_add_u32 v8, v8, 23, 0x3c000000
	v_mov_b32_e32 v20, v7
	v_lshlrev_b32_sdwa v12, v12, v84 dst_sel:DWORD dst_unused:UNUSED_PAD src0_sel:DWORD src1_sel:BYTE_3
	v_and_b32_e32 v12, 0x80000000, v12
	v_or3_b32 v21, v6, v12, v8
.LBB251_1603:                           ;   in Loop: Header=BB251_927 Depth=1
	s_or_b32 exec_lo, exec_lo, s12
.LBB251_1604:                           ;   in Loop: Header=BB251_927 Depth=1
	s_or_b32 exec_lo, exec_lo, s11
.LBB251_1605:                           ;   in Loop: Header=BB251_927 Depth=1
	s_or_b32 exec_lo, exec_lo, s9
	v_or_b32_e32 v6, v19, v17
	v_or_b32_e32 v8, v18, v16
	;; [unrolled: 1-line block ×4, first 2 shown]
	v_mul_f32_e32 v87, v98, v6
	v_mul_f32_e32 v86, v81, v8
	;; [unrolled: 1-line block ×4, first 2 shown]
	s_and_saveexec_b32 s9, vcc_lo
	s_cbranch_execz .LBB251_1607
; %bb.1606:                             ;   in Loop: Header=BB251_927 Depth=1
	v_cmp_lt_i32_e64 s4, v115, v99
	v_cndmask_b32_e64 v86, 0, v86, s4
	v_cmp_lt_i32_e64 s4, v117, v99
	v_cndmask_b32_e64 v87, 0, v87, s4
	;; [unrolled: 2-line block ×4, first 2 shown]
.LBB251_1607:                           ;   in Loop: Header=BB251_927 Depth=1
	s_or_b32 exec_lo, exec_lo, s9
	flat_load_dword v42, v[4:5] offset:512
	v_mov_b32_e32 v18, 0
	v_mov_b32_e32 v16, 0
	v_mov_b32_e32 v19, 0
	v_mov_b32_e32 v17, 0
	s_waitcnt vmcnt(0) lgkmcnt(0)
	v_cmp_ne_u16_sdwa s4, v42, v7 src0_sel:BYTE_0 src1_sel:DWORD
	s_and_saveexec_b32 s9, s4
	s_cbranch_execz .LBB251_1615
; %bb.1608:                             ;   in Loop: Header=BB251_927 Depth=1
	v_bfrev_b32_e32 v16, 1
	v_mov_b32_e32 v17, 0
	v_cmp_ne_u16_sdwa s4, v42, v83 src0_sel:BYTE_0 src1_sel:DWORD
	s_and_saveexec_b32 s11, s4
	s_cbranch_execz .LBB251_1614
; %bb.1609:                             ;   in Loop: Header=BB251_927 Depth=1
	v_mov_b32_e32 v16, 0x7f800001
	v_and_b32_e32 v12, 0x7f, v42
	v_mov_b32_e32 v17, 0
	s_mov_b32 s12, exec_lo
	v_cmpx_ne_u32_e32 0x7f, v12
	s_cbranch_execz .LBB251_1613
; %bb.1610:                             ;   in Loop: Header=BB251_927 Depth=1
	v_and_b32_e32 v6, 7, v42
	v_lshrrev_b32_e32 v8, 3, v12
	s_mov_b32 s13, exec_lo
	v_cmpx_gt_u32_e32 8, v12
; %bb.1611:                             ;   in Loop: Header=BB251_927 Depth=1
	v_ffbh_u32_e32 v8, v6
	v_min_u32_e32 v8, 32, v8
	v_subrev_nc_u32_e32 v12, 28, v8
	v_sub_nc_u32_e32 v8, 29, v8
	v_lshlrev_b64 v[16:17], v12, v[6:7]
	v_and_b32_e32 v6, 7, v16
; %bb.1612:                             ;   in Loop: Header=BB251_927 Depth=1
	s_or_b32 exec_lo, exec_lo, s13
	v_lshlrev_b32_e32 v12, 24, v42
	v_lshlrev_b32_e32 v6, 20, v6
	v_lshl_add_u32 v8, v8, 23, 0x3c000000
	v_and_b32_e32 v12, 0x80000000, v12
	v_or3_b32 v6, v6, v12, v8
	v_mov_b32_e32 v17, v7
	v_mov_b32_e32 v16, v6
.LBB251_1613:                           ;   in Loop: Header=BB251_927 Depth=1
	s_or_b32 exec_lo, exec_lo, s12
.LBB251_1614:                           ;   in Loop: Header=BB251_927 Depth=1
	s_or_b32 exec_lo, exec_lo, s11
.LBB251_1615:                           ;   in Loop: Header=BB251_927 Depth=1
	s_or_b32 exec_lo, exec_lo, s9
	v_cmp_ne_u16_sdwa s4, v42, v7 src0_sel:BYTE_1 src1_sel:DWORD
	s_and_saveexec_b32 s9, s4
	s_cbranch_execz .LBB251_1623
; %bb.1616:                             ;   in Loop: Header=BB251_927 Depth=1
	v_mov_b32_e32 v8, v7
	v_mov_b32_e32 v19, v9
	v_cmp_ne_u16_sdwa s4, v42, v83 src0_sel:BYTE_1 src1_sel:DWORD
	v_mov_b32_e32 v18, v8
	s_and_saveexec_b32 s11, s4
	s_cbranch_execz .LBB251_1622
; %bb.1617:                             ;   in Loop: Header=BB251_927 Depth=1
	v_mov_b32_e32 v6, 0xffff
	v_mov_b32_e32 v12, v7
	;; [unrolled: 1-line block ×3, first 2 shown]
	s_mov_b32 s12, exec_lo
	v_and_b32_sdwa v6, v6, v42 dst_sel:DWORD dst_unused:UNUSED_PAD src0_sel:DWORD src1_sel:BYTE_1
	v_mov_b32_e32 v18, v12
	v_and_b32_e32 v20, 0x7f, v6
	v_cmpx_ne_u32_e32 0x7f, v20
	s_cbranch_execz .LBB251_1621
; %bb.1618:                             ;   in Loop: Header=BB251_927 Depth=1
	v_and_b32_e32 v6, 7, v6
	v_lshrrev_b32_e32 v8, 3, v20
	s_mov_b32 s13, exec_lo
	v_cmpx_gt_u32_e32 8, v20
; %bb.1619:                             ;   in Loop: Header=BB251_927 Depth=1
	v_ffbh_u32_e32 v8, v6
	v_min_u32_e32 v8, 32, v8
	v_subrev_nc_u32_e32 v12, 28, v8
	v_sub_nc_u32_e32 v8, 29, v8
	v_lshlrev_b64 v[18:19], v12, v[6:7]
	v_and_b32_e32 v6, 7, v18
; %bb.1620:                             ;   in Loop: Header=BB251_927 Depth=1
	s_or_b32 exec_lo, exec_lo, s13
	v_lshlrev_b32_e32 v12, 16, v42
	v_lshlrev_b32_e32 v6, 20, v6
	v_lshl_add_u32 v8, v8, 23, 0x3c000000
	v_mov_b32_e32 v18, v7
	v_and_b32_e32 v12, 0x80000000, v12
	v_or3_b32 v19, v6, v12, v8
.LBB251_1621:                           ;   in Loop: Header=BB251_927 Depth=1
	s_or_b32 exec_lo, exec_lo, s12
.LBB251_1622:                           ;   in Loop: Header=BB251_927 Depth=1
	s_or_b32 exec_lo, exec_lo, s11
.LBB251_1623:                           ;   in Loop: Header=BB251_927 Depth=1
	s_or_b32 exec_lo, exec_lo, s9
	v_mov_b32_e32 v20, 0
	v_mov_b32_e32 v22, 0
	v_and_b32_sdwa v6, v42, v85 dst_sel:DWORD dst_unused:UNUSED_PAD src0_sel:WORD_1 src1_sel:DWORD
	v_mov_b32_e32 v21, 0
	v_mov_b32_e32 v23, 0
	s_mov_b32 s9, exec_lo
	v_cmpx_ne_u16_e32 0, v6
	s_cbranch_execz .LBB251_1631
; %bb.1624:                             ;   in Loop: Header=BB251_927 Depth=1
	v_bfrev_b32_e32 v22, 1
	v_mov_b32_e32 v23, 0
	s_mov_b32 s11, exec_lo
	v_cmpx_ne_u16_e32 0x80, v6
	s_cbranch_execz .LBB251_1630
; %bb.1625:                             ;   in Loop: Header=BB251_927 Depth=1
	v_mov_b32_e32 v22, 0x7f800001
	v_bfe_u32 v12, v42, 16, 7
	v_mov_b32_e32 v23, 0
	s_mov_b32 s12, exec_lo
	v_cmpx_ne_u32_e32 0x7f, v12
	s_cbranch_execz .LBB251_1629
; %bb.1626:                             ;   in Loop: Header=BB251_927 Depth=1
	v_mov_b32_e32 v6, 7
	v_lshrrev_b32_e32 v8, 3, v12
	s_mov_b32 s13, exec_lo
	v_and_b32_sdwa v6, v42, v6 dst_sel:DWORD dst_unused:UNUSED_PAD src0_sel:WORD_1 src1_sel:DWORD
	v_cmpx_gt_u32_e32 8, v12
; %bb.1627:                             ;   in Loop: Header=BB251_927 Depth=1
	v_ffbh_u32_e32 v8, v6
	v_min_u32_e32 v8, 32, v8
	v_subrev_nc_u32_e32 v12, 28, v8
	v_sub_nc_u32_e32 v8, 29, v8
	v_lshlrev_b64 v[22:23], v12, v[6:7]
	v_and_b32_e32 v6, 7, v22
; %bb.1628:                             ;   in Loop: Header=BB251_927 Depth=1
	s_or_b32 exec_lo, exec_lo, s13
	v_mov_b32_e32 v12, 24
	v_lshlrev_b32_e32 v6, 20, v6
	v_lshl_add_u32 v8, v8, 23, 0x3c000000
	v_lshlrev_b32_sdwa v12, v12, v42 dst_sel:DWORD dst_unused:UNUSED_PAD src0_sel:DWORD src1_sel:WORD_1
	v_and_b32_e32 v12, 0x80000000, v12
	v_or3_b32 v6, v6, v12, v8
	v_mov_b32_e32 v23, v7
	v_mov_b32_e32 v22, v6
.LBB251_1629:                           ;   in Loop: Header=BB251_927 Depth=1
	s_or_b32 exec_lo, exec_lo, s12
.LBB251_1630:                           ;   in Loop: Header=BB251_927 Depth=1
	s_or_b32 exec_lo, exec_lo, s11
.LBB251_1631:                           ;   in Loop: Header=BB251_927 Depth=1
	s_or_b32 exec_lo, exec_lo, s9
	s_mov_b32 s9, exec_lo
	v_cmpx_lt_u32_e32 0xffffff, v42
	s_cbranch_execz .LBB251_1639
; %bb.1632:                             ;   in Loop: Header=BB251_927 Depth=1
	v_mov_b32_e32 v8, v7
	v_mov_b32_e32 v21, v9
	v_cmp_ne_u32_sdwa s4, v42, v83 src0_sel:BYTE_3 src1_sel:DWORD
	v_mov_b32_e32 v20, v8
	s_and_saveexec_b32 s11, s4
	s_cbranch_execz .LBB251_1638
; %bb.1633:                             ;   in Loop: Header=BB251_927 Depth=1
	v_mov_b32_e32 v12, v7
	v_mov_b32_e32 v21, v13
	v_bfe_u32 v43, v42, 24, 7
	s_mov_b32 s12, exec_lo
	v_mov_b32_e32 v20, v12
	v_cmpx_ne_u32_e32 0x7f, v43
	s_cbranch_execz .LBB251_1637
; %bb.1634:                             ;   in Loop: Header=BB251_927 Depth=1
	v_mov_b32_e32 v6, 7
	v_lshrrev_b32_e32 v8, 3, v43
	s_mov_b32 s13, exec_lo
	v_and_b32_sdwa v6, v42, v6 dst_sel:DWORD dst_unused:UNUSED_PAD src0_sel:BYTE_3 src1_sel:DWORD
	v_cmpx_gt_u32_e32 8, v43
; %bb.1635:                             ;   in Loop: Header=BB251_927 Depth=1
	v_ffbh_u32_e32 v8, v6
	v_min_u32_e32 v8, 32, v8
	v_subrev_nc_u32_e32 v12, 28, v8
	v_sub_nc_u32_e32 v8, 29, v8
	v_lshlrev_b64 v[20:21], v12, v[6:7]
	v_and_b32_e32 v6, 7, v20
; %bb.1636:                             ;   in Loop: Header=BB251_927 Depth=1
	s_or_b32 exec_lo, exec_lo, s13
	v_mov_b32_e32 v12, 24
	v_lshlrev_b32_e32 v6, 20, v6
	v_lshl_add_u32 v8, v8, 23, 0x3c000000
	v_mov_b32_e32 v20, v7
	v_lshlrev_b32_sdwa v12, v12, v42 dst_sel:DWORD dst_unused:UNUSED_PAD src0_sel:DWORD src1_sel:BYTE_3
	v_and_b32_e32 v12, 0x80000000, v12
	v_or3_b32 v21, v6, v12, v8
.LBB251_1637:                           ;   in Loop: Header=BB251_927 Depth=1
	s_or_b32 exec_lo, exec_lo, s12
.LBB251_1638:                           ;   in Loop: Header=BB251_927 Depth=1
	s_or_b32 exec_lo, exec_lo, s11
.LBB251_1639:                           ;   in Loop: Header=BB251_927 Depth=1
	s_or_b32 exec_lo, exec_lo, s9
	v_or_b32_e32 v6, v19, v17
	v_or_b32_e32 v8, v18, v16
	;; [unrolled: 1-line block ×4, first 2 shown]
	v_mul_f32_e32 v45, v98, v6
	v_mul_f32_e32 v44, v81, v8
	;; [unrolled: 1-line block ×4, first 2 shown]
	s_and_saveexec_b32 s9, vcc_lo
	s_cbranch_execz .LBB251_1641
; %bb.1640:                             ;   in Loop: Header=BB251_927 Depth=1
	v_cmp_lt_i32_e64 s4, v115, v99
	v_cndmask_b32_e64 v44, 0, v44, s4
	v_cmp_lt_i32_e64 s4, v117, v99
	v_cndmask_b32_e64 v45, 0, v45, s4
	;; [unrolled: 2-line block ×4, first 2 shown]
.LBB251_1641:                           ;   in Loop: Header=BB251_927 Depth=1
	s_or_b32 exec_lo, exec_lo, s9
	flat_load_dword v46, v[4:5] offset:640
	v_mov_b32_e32 v18, 0
	v_mov_b32_e32 v16, 0
	;; [unrolled: 1-line block ×4, first 2 shown]
	s_waitcnt vmcnt(0) lgkmcnt(0)
	v_cmp_ne_u16_sdwa s4, v46, v7 src0_sel:BYTE_0 src1_sel:DWORD
	s_and_saveexec_b32 s9, s4
	s_cbranch_execz .LBB251_1649
; %bb.1642:                             ;   in Loop: Header=BB251_927 Depth=1
	v_bfrev_b32_e32 v16, 1
	v_mov_b32_e32 v17, 0
	v_cmp_ne_u16_sdwa s4, v46, v83 src0_sel:BYTE_0 src1_sel:DWORD
	s_and_saveexec_b32 s11, s4
	s_cbranch_execz .LBB251_1648
; %bb.1643:                             ;   in Loop: Header=BB251_927 Depth=1
	v_mov_b32_e32 v16, 0x7f800001
	v_and_b32_e32 v12, 0x7f, v46
	v_mov_b32_e32 v17, 0
	s_mov_b32 s12, exec_lo
	v_cmpx_ne_u32_e32 0x7f, v12
	s_cbranch_execz .LBB251_1647
; %bb.1644:                             ;   in Loop: Header=BB251_927 Depth=1
	v_and_b32_e32 v6, 7, v46
	v_lshrrev_b32_e32 v8, 3, v12
	s_mov_b32 s13, exec_lo
	v_cmpx_gt_u32_e32 8, v12
; %bb.1645:                             ;   in Loop: Header=BB251_927 Depth=1
	v_ffbh_u32_e32 v8, v6
	v_min_u32_e32 v8, 32, v8
	v_subrev_nc_u32_e32 v12, 28, v8
	v_sub_nc_u32_e32 v8, 29, v8
	v_lshlrev_b64 v[16:17], v12, v[6:7]
	v_and_b32_e32 v6, 7, v16
; %bb.1646:                             ;   in Loop: Header=BB251_927 Depth=1
	s_or_b32 exec_lo, exec_lo, s13
	v_lshlrev_b32_e32 v12, 24, v46
	v_lshlrev_b32_e32 v6, 20, v6
	v_lshl_add_u32 v8, v8, 23, 0x3c000000
	v_and_b32_e32 v12, 0x80000000, v12
	v_or3_b32 v6, v6, v12, v8
	v_mov_b32_e32 v17, v7
	v_mov_b32_e32 v16, v6
.LBB251_1647:                           ;   in Loop: Header=BB251_927 Depth=1
	s_or_b32 exec_lo, exec_lo, s12
.LBB251_1648:                           ;   in Loop: Header=BB251_927 Depth=1
	s_or_b32 exec_lo, exec_lo, s11
.LBB251_1649:                           ;   in Loop: Header=BB251_927 Depth=1
	s_or_b32 exec_lo, exec_lo, s9
	v_cmp_ne_u16_sdwa s4, v46, v7 src0_sel:BYTE_1 src1_sel:DWORD
	s_and_saveexec_b32 s9, s4
	s_cbranch_execz .LBB251_1657
; %bb.1650:                             ;   in Loop: Header=BB251_927 Depth=1
	v_mov_b32_e32 v8, v7
	v_mov_b32_e32 v19, v9
	v_cmp_ne_u16_sdwa s4, v46, v83 src0_sel:BYTE_1 src1_sel:DWORD
	v_mov_b32_e32 v18, v8
	s_and_saveexec_b32 s11, s4
	s_cbranch_execz .LBB251_1656
; %bb.1651:                             ;   in Loop: Header=BB251_927 Depth=1
	v_mov_b32_e32 v6, 0xffff
	v_mov_b32_e32 v12, v7
	;; [unrolled: 1-line block ×3, first 2 shown]
	s_mov_b32 s12, exec_lo
	v_and_b32_sdwa v6, v6, v46 dst_sel:DWORD dst_unused:UNUSED_PAD src0_sel:DWORD src1_sel:BYTE_1
	v_mov_b32_e32 v18, v12
	v_and_b32_e32 v20, 0x7f, v6
	v_cmpx_ne_u32_e32 0x7f, v20
	s_cbranch_execz .LBB251_1655
; %bb.1652:                             ;   in Loop: Header=BB251_927 Depth=1
	v_and_b32_e32 v6, 7, v6
	v_lshrrev_b32_e32 v8, 3, v20
	s_mov_b32 s13, exec_lo
	v_cmpx_gt_u32_e32 8, v20
; %bb.1653:                             ;   in Loop: Header=BB251_927 Depth=1
	v_ffbh_u32_e32 v8, v6
	v_min_u32_e32 v8, 32, v8
	v_subrev_nc_u32_e32 v12, 28, v8
	v_sub_nc_u32_e32 v8, 29, v8
	v_lshlrev_b64 v[18:19], v12, v[6:7]
	v_and_b32_e32 v6, 7, v18
; %bb.1654:                             ;   in Loop: Header=BB251_927 Depth=1
	s_or_b32 exec_lo, exec_lo, s13
	v_lshlrev_b32_e32 v12, 16, v46
	v_lshlrev_b32_e32 v6, 20, v6
	v_lshl_add_u32 v8, v8, 23, 0x3c000000
	v_mov_b32_e32 v18, v7
	v_and_b32_e32 v12, 0x80000000, v12
	v_or3_b32 v19, v6, v12, v8
.LBB251_1655:                           ;   in Loop: Header=BB251_927 Depth=1
	s_or_b32 exec_lo, exec_lo, s12
.LBB251_1656:                           ;   in Loop: Header=BB251_927 Depth=1
	s_or_b32 exec_lo, exec_lo, s11
.LBB251_1657:                           ;   in Loop: Header=BB251_927 Depth=1
	s_or_b32 exec_lo, exec_lo, s9
	v_mov_b32_e32 v20, 0
	v_mov_b32_e32 v22, 0
	v_and_b32_sdwa v6, v46, v85 dst_sel:DWORD dst_unused:UNUSED_PAD src0_sel:WORD_1 src1_sel:DWORD
	v_mov_b32_e32 v21, 0
	v_mov_b32_e32 v23, 0
	s_mov_b32 s9, exec_lo
	v_cmpx_ne_u16_e32 0, v6
	s_cbranch_execz .LBB251_1665
; %bb.1658:                             ;   in Loop: Header=BB251_927 Depth=1
	v_bfrev_b32_e32 v22, 1
	v_mov_b32_e32 v23, 0
	s_mov_b32 s11, exec_lo
	v_cmpx_ne_u16_e32 0x80, v6
	s_cbranch_execz .LBB251_1664
; %bb.1659:                             ;   in Loop: Header=BB251_927 Depth=1
	v_mov_b32_e32 v22, 0x7f800001
	v_bfe_u32 v12, v46, 16, 7
	v_mov_b32_e32 v23, 0
	s_mov_b32 s12, exec_lo
	v_cmpx_ne_u32_e32 0x7f, v12
	s_cbranch_execz .LBB251_1663
; %bb.1660:                             ;   in Loop: Header=BB251_927 Depth=1
	v_mov_b32_e32 v6, 7
	v_lshrrev_b32_e32 v8, 3, v12
	s_mov_b32 s13, exec_lo
	v_and_b32_sdwa v6, v46, v6 dst_sel:DWORD dst_unused:UNUSED_PAD src0_sel:WORD_1 src1_sel:DWORD
	v_cmpx_gt_u32_e32 8, v12
; %bb.1661:                             ;   in Loop: Header=BB251_927 Depth=1
	v_ffbh_u32_e32 v8, v6
	v_min_u32_e32 v8, 32, v8
	v_subrev_nc_u32_e32 v12, 28, v8
	v_sub_nc_u32_e32 v8, 29, v8
	v_lshlrev_b64 v[22:23], v12, v[6:7]
	v_and_b32_e32 v6, 7, v22
; %bb.1662:                             ;   in Loop: Header=BB251_927 Depth=1
	s_or_b32 exec_lo, exec_lo, s13
	v_mov_b32_e32 v12, 24
	v_lshlrev_b32_e32 v6, 20, v6
	v_lshl_add_u32 v8, v8, 23, 0x3c000000
	v_lshlrev_b32_sdwa v12, v12, v46 dst_sel:DWORD dst_unused:UNUSED_PAD src0_sel:DWORD src1_sel:WORD_1
	v_and_b32_e32 v12, 0x80000000, v12
	v_or3_b32 v6, v6, v12, v8
	v_mov_b32_e32 v23, v7
	v_mov_b32_e32 v22, v6
.LBB251_1663:                           ;   in Loop: Header=BB251_927 Depth=1
	s_or_b32 exec_lo, exec_lo, s12
.LBB251_1664:                           ;   in Loop: Header=BB251_927 Depth=1
	s_or_b32 exec_lo, exec_lo, s11
.LBB251_1665:                           ;   in Loop: Header=BB251_927 Depth=1
	s_or_b32 exec_lo, exec_lo, s9
	s_mov_b32 s9, exec_lo
	v_cmpx_lt_u32_e32 0xffffff, v46
	s_cbranch_execz .LBB251_1673
; %bb.1666:                             ;   in Loop: Header=BB251_927 Depth=1
	v_mov_b32_e32 v8, v7
	v_mov_b32_e32 v21, v9
	v_cmp_ne_u32_sdwa s4, v46, v83 src0_sel:BYTE_3 src1_sel:DWORD
	v_mov_b32_e32 v20, v8
	s_and_saveexec_b32 s11, s4
	s_cbranch_execz .LBB251_1672
; %bb.1667:                             ;   in Loop: Header=BB251_927 Depth=1
	v_mov_b32_e32 v12, v7
	v_mov_b32_e32 v21, v13
	v_bfe_u32 v47, v46, 24, 7
	s_mov_b32 s12, exec_lo
	v_mov_b32_e32 v20, v12
	v_cmpx_ne_u32_e32 0x7f, v47
	s_cbranch_execz .LBB251_1671
; %bb.1668:                             ;   in Loop: Header=BB251_927 Depth=1
	v_mov_b32_e32 v6, 7
	v_lshrrev_b32_e32 v8, 3, v47
	s_mov_b32 s13, exec_lo
	v_and_b32_sdwa v6, v46, v6 dst_sel:DWORD dst_unused:UNUSED_PAD src0_sel:BYTE_3 src1_sel:DWORD
	v_cmpx_gt_u32_e32 8, v47
; %bb.1669:                             ;   in Loop: Header=BB251_927 Depth=1
	v_ffbh_u32_e32 v8, v6
	v_min_u32_e32 v8, 32, v8
	v_subrev_nc_u32_e32 v12, 28, v8
	v_sub_nc_u32_e32 v8, 29, v8
	v_lshlrev_b64 v[20:21], v12, v[6:7]
	v_and_b32_e32 v6, 7, v20
; %bb.1670:                             ;   in Loop: Header=BB251_927 Depth=1
	s_or_b32 exec_lo, exec_lo, s13
	v_mov_b32_e32 v12, 24
	v_lshlrev_b32_e32 v6, 20, v6
	v_lshl_add_u32 v8, v8, 23, 0x3c000000
	v_mov_b32_e32 v20, v7
	v_lshlrev_b32_sdwa v12, v12, v46 dst_sel:DWORD dst_unused:UNUSED_PAD src0_sel:DWORD src1_sel:BYTE_3
	v_and_b32_e32 v12, 0x80000000, v12
	v_or3_b32 v21, v6, v12, v8
.LBB251_1671:                           ;   in Loop: Header=BB251_927 Depth=1
	s_or_b32 exec_lo, exec_lo, s12
.LBB251_1672:                           ;   in Loop: Header=BB251_927 Depth=1
	s_or_b32 exec_lo, exec_lo, s11
.LBB251_1673:                           ;   in Loop: Header=BB251_927 Depth=1
	s_or_b32 exec_lo, exec_lo, s9
	v_or_b32_e32 v6, v19, v17
	v_or_b32_e32 v8, v18, v16
	;; [unrolled: 1-line block ×4, first 2 shown]
	v_mul_f32_e32 v57, v98, v6
	v_mul_f32_e32 v56, v81, v8
	v_mul_f32_e32 v47, v81, v12
	v_mul_f32_e32 v46, v98, v16
	s_and_saveexec_b32 s9, vcc_lo
	s_cbranch_execz .LBB251_1675
; %bb.1674:                             ;   in Loop: Header=BB251_927 Depth=1
	v_cmp_lt_i32_e64 s4, v115, v99
	v_cndmask_b32_e64 v56, 0, v56, s4
	v_cmp_lt_i32_e64 s4, v117, v99
	v_cndmask_b32_e64 v57, 0, v57, s4
	;; [unrolled: 2-line block ×4, first 2 shown]
.LBB251_1675:                           ;   in Loop: Header=BB251_927 Depth=1
	s_or_b32 exec_lo, exec_lo, s9
	flat_load_dword v58, v[4:5] offset:768
	v_mov_b32_e32 v18, 0
	v_mov_b32_e32 v16, 0
	;; [unrolled: 1-line block ×4, first 2 shown]
	s_waitcnt vmcnt(0) lgkmcnt(0)
	v_cmp_ne_u16_sdwa s4, v58, v7 src0_sel:BYTE_0 src1_sel:DWORD
	s_and_saveexec_b32 s9, s4
	s_cbranch_execz .LBB251_1683
; %bb.1676:                             ;   in Loop: Header=BB251_927 Depth=1
	v_bfrev_b32_e32 v16, 1
	v_mov_b32_e32 v17, 0
	v_cmp_ne_u16_sdwa s4, v58, v83 src0_sel:BYTE_0 src1_sel:DWORD
	s_and_saveexec_b32 s11, s4
	s_cbranch_execz .LBB251_1682
; %bb.1677:                             ;   in Loop: Header=BB251_927 Depth=1
	v_mov_b32_e32 v16, 0x7f800001
	v_and_b32_e32 v12, 0x7f, v58
	v_mov_b32_e32 v17, 0
	s_mov_b32 s12, exec_lo
	v_cmpx_ne_u32_e32 0x7f, v12
	s_cbranch_execz .LBB251_1681
; %bb.1678:                             ;   in Loop: Header=BB251_927 Depth=1
	v_and_b32_e32 v6, 7, v58
	v_lshrrev_b32_e32 v8, 3, v12
	s_mov_b32 s13, exec_lo
	v_cmpx_gt_u32_e32 8, v12
; %bb.1679:                             ;   in Loop: Header=BB251_927 Depth=1
	v_ffbh_u32_e32 v8, v6
	v_min_u32_e32 v8, 32, v8
	v_subrev_nc_u32_e32 v12, 28, v8
	v_sub_nc_u32_e32 v8, 29, v8
	v_lshlrev_b64 v[16:17], v12, v[6:7]
	v_and_b32_e32 v6, 7, v16
; %bb.1680:                             ;   in Loop: Header=BB251_927 Depth=1
	s_or_b32 exec_lo, exec_lo, s13
	v_lshlrev_b32_e32 v12, 24, v58
	v_lshlrev_b32_e32 v6, 20, v6
	v_lshl_add_u32 v8, v8, 23, 0x3c000000
	v_and_b32_e32 v12, 0x80000000, v12
	v_or3_b32 v6, v6, v12, v8
	v_mov_b32_e32 v17, v7
	v_mov_b32_e32 v16, v6
.LBB251_1681:                           ;   in Loop: Header=BB251_927 Depth=1
	s_or_b32 exec_lo, exec_lo, s12
.LBB251_1682:                           ;   in Loop: Header=BB251_927 Depth=1
	s_or_b32 exec_lo, exec_lo, s11
.LBB251_1683:                           ;   in Loop: Header=BB251_927 Depth=1
	s_or_b32 exec_lo, exec_lo, s9
	v_cmp_ne_u16_sdwa s4, v58, v7 src0_sel:BYTE_1 src1_sel:DWORD
	s_and_saveexec_b32 s9, s4
	s_cbranch_execz .LBB251_1691
; %bb.1684:                             ;   in Loop: Header=BB251_927 Depth=1
	v_mov_b32_e32 v8, v7
	v_mov_b32_e32 v19, v9
	v_cmp_ne_u16_sdwa s4, v58, v83 src0_sel:BYTE_1 src1_sel:DWORD
	v_mov_b32_e32 v18, v8
	s_and_saveexec_b32 s11, s4
	s_cbranch_execz .LBB251_1690
; %bb.1685:                             ;   in Loop: Header=BB251_927 Depth=1
	v_mov_b32_e32 v6, 0xffff
	v_mov_b32_e32 v12, v7
	;; [unrolled: 1-line block ×3, first 2 shown]
	s_mov_b32 s12, exec_lo
	v_and_b32_sdwa v6, v6, v58 dst_sel:DWORD dst_unused:UNUSED_PAD src0_sel:DWORD src1_sel:BYTE_1
	v_mov_b32_e32 v18, v12
	v_and_b32_e32 v20, 0x7f, v6
	v_cmpx_ne_u32_e32 0x7f, v20
	s_cbranch_execz .LBB251_1689
; %bb.1686:                             ;   in Loop: Header=BB251_927 Depth=1
	v_and_b32_e32 v6, 7, v6
	v_lshrrev_b32_e32 v8, 3, v20
	s_mov_b32 s13, exec_lo
	v_cmpx_gt_u32_e32 8, v20
; %bb.1687:                             ;   in Loop: Header=BB251_927 Depth=1
	v_ffbh_u32_e32 v8, v6
	v_min_u32_e32 v8, 32, v8
	v_subrev_nc_u32_e32 v12, 28, v8
	v_sub_nc_u32_e32 v8, 29, v8
	v_lshlrev_b64 v[18:19], v12, v[6:7]
	v_and_b32_e32 v6, 7, v18
; %bb.1688:                             ;   in Loop: Header=BB251_927 Depth=1
	s_or_b32 exec_lo, exec_lo, s13
	v_lshlrev_b32_e32 v12, 16, v58
	v_lshlrev_b32_e32 v6, 20, v6
	v_lshl_add_u32 v8, v8, 23, 0x3c000000
	v_mov_b32_e32 v18, v7
	v_and_b32_e32 v12, 0x80000000, v12
	v_or3_b32 v19, v6, v12, v8
.LBB251_1689:                           ;   in Loop: Header=BB251_927 Depth=1
	s_or_b32 exec_lo, exec_lo, s12
.LBB251_1690:                           ;   in Loop: Header=BB251_927 Depth=1
	s_or_b32 exec_lo, exec_lo, s11
.LBB251_1691:                           ;   in Loop: Header=BB251_927 Depth=1
	s_or_b32 exec_lo, exec_lo, s9
	v_mov_b32_e32 v20, 0
	v_mov_b32_e32 v22, 0
	v_and_b32_sdwa v6, v58, v85 dst_sel:DWORD dst_unused:UNUSED_PAD src0_sel:WORD_1 src1_sel:DWORD
	v_mov_b32_e32 v21, 0
	v_mov_b32_e32 v23, 0
	s_mov_b32 s9, exec_lo
	v_cmpx_ne_u16_e32 0, v6
	s_cbranch_execz .LBB251_1699
; %bb.1692:                             ;   in Loop: Header=BB251_927 Depth=1
	v_bfrev_b32_e32 v22, 1
	v_mov_b32_e32 v23, 0
	s_mov_b32 s11, exec_lo
	v_cmpx_ne_u16_e32 0x80, v6
	s_cbranch_execz .LBB251_1698
; %bb.1693:                             ;   in Loop: Header=BB251_927 Depth=1
	v_mov_b32_e32 v22, 0x7f800001
	v_bfe_u32 v12, v58, 16, 7
	v_mov_b32_e32 v23, 0
	s_mov_b32 s12, exec_lo
	v_cmpx_ne_u32_e32 0x7f, v12
	s_cbranch_execz .LBB251_1697
; %bb.1694:                             ;   in Loop: Header=BB251_927 Depth=1
	v_mov_b32_e32 v6, 7
	v_lshrrev_b32_e32 v8, 3, v12
	s_mov_b32 s13, exec_lo
	v_and_b32_sdwa v6, v58, v6 dst_sel:DWORD dst_unused:UNUSED_PAD src0_sel:WORD_1 src1_sel:DWORD
	v_cmpx_gt_u32_e32 8, v12
; %bb.1695:                             ;   in Loop: Header=BB251_927 Depth=1
	v_ffbh_u32_e32 v8, v6
	v_min_u32_e32 v8, 32, v8
	v_subrev_nc_u32_e32 v12, 28, v8
	v_sub_nc_u32_e32 v8, 29, v8
	v_lshlrev_b64 v[22:23], v12, v[6:7]
	v_and_b32_e32 v6, 7, v22
; %bb.1696:                             ;   in Loop: Header=BB251_927 Depth=1
	s_or_b32 exec_lo, exec_lo, s13
	v_mov_b32_e32 v12, 24
	v_lshlrev_b32_e32 v6, 20, v6
	v_lshl_add_u32 v8, v8, 23, 0x3c000000
	v_lshlrev_b32_sdwa v12, v12, v58 dst_sel:DWORD dst_unused:UNUSED_PAD src0_sel:DWORD src1_sel:WORD_1
	v_and_b32_e32 v12, 0x80000000, v12
	v_or3_b32 v6, v6, v12, v8
	v_mov_b32_e32 v23, v7
	v_mov_b32_e32 v22, v6
.LBB251_1697:                           ;   in Loop: Header=BB251_927 Depth=1
	s_or_b32 exec_lo, exec_lo, s12
.LBB251_1698:                           ;   in Loop: Header=BB251_927 Depth=1
	s_or_b32 exec_lo, exec_lo, s11
.LBB251_1699:                           ;   in Loop: Header=BB251_927 Depth=1
	s_or_b32 exec_lo, exec_lo, s9
	s_mov_b32 s9, exec_lo
	v_cmpx_lt_u32_e32 0xffffff, v58
	s_cbranch_execz .LBB251_1707
; %bb.1700:                             ;   in Loop: Header=BB251_927 Depth=1
	v_mov_b32_e32 v8, v7
	v_mov_b32_e32 v21, v9
	v_cmp_ne_u32_sdwa s4, v58, v83 src0_sel:BYTE_3 src1_sel:DWORD
	v_mov_b32_e32 v20, v8
	s_and_saveexec_b32 s11, s4
	s_cbranch_execz .LBB251_1706
; %bb.1701:                             ;   in Loop: Header=BB251_927 Depth=1
	v_mov_b32_e32 v12, v7
	v_mov_b32_e32 v21, v13
	v_bfe_u32 v59, v58, 24, 7
	s_mov_b32 s12, exec_lo
	v_mov_b32_e32 v20, v12
	v_cmpx_ne_u32_e32 0x7f, v59
	s_cbranch_execz .LBB251_1705
; %bb.1702:                             ;   in Loop: Header=BB251_927 Depth=1
	v_mov_b32_e32 v6, 7
	v_lshrrev_b32_e32 v8, 3, v59
	s_mov_b32 s13, exec_lo
	v_and_b32_sdwa v6, v58, v6 dst_sel:DWORD dst_unused:UNUSED_PAD src0_sel:BYTE_3 src1_sel:DWORD
	v_cmpx_gt_u32_e32 8, v59
; %bb.1703:                             ;   in Loop: Header=BB251_927 Depth=1
	v_ffbh_u32_e32 v8, v6
	v_min_u32_e32 v8, 32, v8
	v_subrev_nc_u32_e32 v12, 28, v8
	v_sub_nc_u32_e32 v8, 29, v8
	v_lshlrev_b64 v[20:21], v12, v[6:7]
	v_and_b32_e32 v6, 7, v20
; %bb.1704:                             ;   in Loop: Header=BB251_927 Depth=1
	s_or_b32 exec_lo, exec_lo, s13
	v_mov_b32_e32 v12, 24
	v_lshlrev_b32_e32 v6, 20, v6
	v_lshl_add_u32 v8, v8, 23, 0x3c000000
	v_mov_b32_e32 v20, v7
	v_lshlrev_b32_sdwa v12, v12, v58 dst_sel:DWORD dst_unused:UNUSED_PAD src0_sel:DWORD src1_sel:BYTE_3
	v_and_b32_e32 v12, 0x80000000, v12
	v_or3_b32 v21, v6, v12, v8
.LBB251_1705:                           ;   in Loop: Header=BB251_927 Depth=1
	s_or_b32 exec_lo, exec_lo, s12
.LBB251_1706:                           ;   in Loop: Header=BB251_927 Depth=1
	s_or_b32 exec_lo, exec_lo, s11
.LBB251_1707:                           ;   in Loop: Header=BB251_927 Depth=1
	s_or_b32 exec_lo, exec_lo, s9
	v_or_b32_e32 v6, v19, v17
	v_or_b32_e32 v8, v18, v16
	;; [unrolled: 1-line block ×4, first 2 shown]
	v_mul_f32_e32 v61, v98, v6
	v_mul_f32_e32 v60, v81, v8
	;; [unrolled: 1-line block ×4, first 2 shown]
	s_and_saveexec_b32 s9, vcc_lo
	s_cbranch_execz .LBB251_1709
; %bb.1708:                             ;   in Loop: Header=BB251_927 Depth=1
	v_cmp_lt_i32_e64 s4, v115, v99
	v_cndmask_b32_e64 v60, 0, v60, s4
	v_cmp_lt_i32_e64 s4, v117, v99
	v_cndmask_b32_e64 v61, 0, v61, s4
	;; [unrolled: 2-line block ×4, first 2 shown]
.LBB251_1709:                           ;   in Loop: Header=BB251_927 Depth=1
	s_or_b32 exec_lo, exec_lo, s9
	flat_load_dword v62, v[4:5] offset:896
	v_mov_b32_e32 v18, 0
	v_mov_b32_e32 v16, 0
	;; [unrolled: 1-line block ×4, first 2 shown]
	s_waitcnt vmcnt(0) lgkmcnt(0)
	v_cmp_ne_u16_sdwa s4, v62, v7 src0_sel:BYTE_0 src1_sel:DWORD
	s_and_saveexec_b32 s9, s4
	s_cbranch_execz .LBB251_1717
; %bb.1710:                             ;   in Loop: Header=BB251_927 Depth=1
	v_bfrev_b32_e32 v16, 1
	v_mov_b32_e32 v17, 0
	v_cmp_ne_u16_sdwa s4, v62, v83 src0_sel:BYTE_0 src1_sel:DWORD
	s_and_saveexec_b32 s11, s4
	s_cbranch_execz .LBB251_1716
; %bb.1711:                             ;   in Loop: Header=BB251_927 Depth=1
	v_mov_b32_e32 v16, 0x7f800001
	v_and_b32_e32 v12, 0x7f, v62
	v_mov_b32_e32 v17, 0
	s_mov_b32 s12, exec_lo
	v_cmpx_ne_u32_e32 0x7f, v12
	s_cbranch_execz .LBB251_1715
; %bb.1712:                             ;   in Loop: Header=BB251_927 Depth=1
	v_and_b32_e32 v6, 7, v62
	v_lshrrev_b32_e32 v8, 3, v12
	s_mov_b32 s13, exec_lo
	v_cmpx_gt_u32_e32 8, v12
; %bb.1713:                             ;   in Loop: Header=BB251_927 Depth=1
	v_ffbh_u32_e32 v8, v6
	v_min_u32_e32 v8, 32, v8
	v_subrev_nc_u32_e32 v12, 28, v8
	v_sub_nc_u32_e32 v8, 29, v8
	v_lshlrev_b64 v[16:17], v12, v[6:7]
	v_and_b32_e32 v6, 7, v16
; %bb.1714:                             ;   in Loop: Header=BB251_927 Depth=1
	s_or_b32 exec_lo, exec_lo, s13
	v_lshlrev_b32_e32 v12, 24, v62
	v_lshlrev_b32_e32 v6, 20, v6
	v_lshl_add_u32 v8, v8, 23, 0x3c000000
	v_and_b32_e32 v12, 0x80000000, v12
	v_or3_b32 v6, v6, v12, v8
	v_mov_b32_e32 v17, v7
	v_mov_b32_e32 v16, v6
.LBB251_1715:                           ;   in Loop: Header=BB251_927 Depth=1
	s_or_b32 exec_lo, exec_lo, s12
.LBB251_1716:                           ;   in Loop: Header=BB251_927 Depth=1
	s_or_b32 exec_lo, exec_lo, s11
.LBB251_1717:                           ;   in Loop: Header=BB251_927 Depth=1
	s_or_b32 exec_lo, exec_lo, s9
	v_cmp_ne_u16_sdwa s4, v62, v7 src0_sel:BYTE_1 src1_sel:DWORD
	s_and_saveexec_b32 s9, s4
	s_cbranch_execz .LBB251_1725
; %bb.1718:                             ;   in Loop: Header=BB251_927 Depth=1
	v_mov_b32_e32 v8, v7
	v_mov_b32_e32 v19, v9
	v_cmp_ne_u16_sdwa s4, v62, v83 src0_sel:BYTE_1 src1_sel:DWORD
	v_mov_b32_e32 v18, v8
	s_and_saveexec_b32 s11, s4
	s_cbranch_execz .LBB251_1724
; %bb.1719:                             ;   in Loop: Header=BB251_927 Depth=1
	v_mov_b32_e32 v6, 0xffff
	v_mov_b32_e32 v12, v7
	;; [unrolled: 1-line block ×3, first 2 shown]
	s_mov_b32 s12, exec_lo
	v_and_b32_sdwa v6, v6, v62 dst_sel:DWORD dst_unused:UNUSED_PAD src0_sel:DWORD src1_sel:BYTE_1
	v_mov_b32_e32 v18, v12
	v_and_b32_e32 v20, 0x7f, v6
	v_cmpx_ne_u32_e32 0x7f, v20
	s_cbranch_execz .LBB251_1723
; %bb.1720:                             ;   in Loop: Header=BB251_927 Depth=1
	v_and_b32_e32 v6, 7, v6
	v_lshrrev_b32_e32 v8, 3, v20
	s_mov_b32 s13, exec_lo
	v_cmpx_gt_u32_e32 8, v20
; %bb.1721:                             ;   in Loop: Header=BB251_927 Depth=1
	v_ffbh_u32_e32 v8, v6
	v_min_u32_e32 v8, 32, v8
	v_subrev_nc_u32_e32 v12, 28, v8
	v_sub_nc_u32_e32 v8, 29, v8
	v_lshlrev_b64 v[18:19], v12, v[6:7]
	v_and_b32_e32 v6, 7, v18
; %bb.1722:                             ;   in Loop: Header=BB251_927 Depth=1
	s_or_b32 exec_lo, exec_lo, s13
	v_lshlrev_b32_e32 v12, 16, v62
	v_lshlrev_b32_e32 v6, 20, v6
	v_lshl_add_u32 v8, v8, 23, 0x3c000000
	v_mov_b32_e32 v18, v7
	v_and_b32_e32 v12, 0x80000000, v12
	v_or3_b32 v19, v6, v12, v8
.LBB251_1723:                           ;   in Loop: Header=BB251_927 Depth=1
	s_or_b32 exec_lo, exec_lo, s12
.LBB251_1724:                           ;   in Loop: Header=BB251_927 Depth=1
	s_or_b32 exec_lo, exec_lo, s11
.LBB251_1725:                           ;   in Loop: Header=BB251_927 Depth=1
	s_or_b32 exec_lo, exec_lo, s9
	v_mov_b32_e32 v20, 0
	v_mov_b32_e32 v22, 0
	v_and_b32_sdwa v6, v62, v85 dst_sel:DWORD dst_unused:UNUSED_PAD src0_sel:WORD_1 src1_sel:DWORD
	v_mov_b32_e32 v21, 0
	v_mov_b32_e32 v23, 0
	s_mov_b32 s9, exec_lo
	v_cmpx_ne_u16_e32 0, v6
	s_cbranch_execz .LBB251_1733
; %bb.1726:                             ;   in Loop: Header=BB251_927 Depth=1
	v_bfrev_b32_e32 v22, 1
	v_mov_b32_e32 v23, 0
	s_mov_b32 s11, exec_lo
	v_cmpx_ne_u16_e32 0x80, v6
	s_cbranch_execz .LBB251_1732
; %bb.1727:                             ;   in Loop: Header=BB251_927 Depth=1
	v_mov_b32_e32 v22, 0x7f800001
	v_bfe_u32 v12, v62, 16, 7
	v_mov_b32_e32 v23, 0
	s_mov_b32 s12, exec_lo
	v_cmpx_ne_u32_e32 0x7f, v12
	s_cbranch_execz .LBB251_1731
; %bb.1728:                             ;   in Loop: Header=BB251_927 Depth=1
	v_mov_b32_e32 v6, 7
	v_lshrrev_b32_e32 v8, 3, v12
	s_mov_b32 s13, exec_lo
	v_and_b32_sdwa v6, v62, v6 dst_sel:DWORD dst_unused:UNUSED_PAD src0_sel:WORD_1 src1_sel:DWORD
	v_cmpx_gt_u32_e32 8, v12
; %bb.1729:                             ;   in Loop: Header=BB251_927 Depth=1
	v_ffbh_u32_e32 v8, v6
	v_min_u32_e32 v8, 32, v8
	v_subrev_nc_u32_e32 v12, 28, v8
	v_sub_nc_u32_e32 v8, 29, v8
	v_lshlrev_b64 v[22:23], v12, v[6:7]
	v_and_b32_e32 v6, 7, v22
; %bb.1730:                             ;   in Loop: Header=BB251_927 Depth=1
	s_or_b32 exec_lo, exec_lo, s13
	v_mov_b32_e32 v12, 24
	v_lshlrev_b32_e32 v6, 20, v6
	v_lshl_add_u32 v8, v8, 23, 0x3c000000
	v_lshlrev_b32_sdwa v12, v12, v62 dst_sel:DWORD dst_unused:UNUSED_PAD src0_sel:DWORD src1_sel:WORD_1
	v_and_b32_e32 v12, 0x80000000, v12
	v_or3_b32 v6, v6, v12, v8
	v_mov_b32_e32 v23, v7
	v_mov_b32_e32 v22, v6
.LBB251_1731:                           ;   in Loop: Header=BB251_927 Depth=1
	s_or_b32 exec_lo, exec_lo, s12
.LBB251_1732:                           ;   in Loop: Header=BB251_927 Depth=1
	s_or_b32 exec_lo, exec_lo, s11
.LBB251_1733:                           ;   in Loop: Header=BB251_927 Depth=1
	s_or_b32 exec_lo, exec_lo, s9
	s_mov_b32 s9, exec_lo
	v_cmpx_lt_u32_e32 0xffffff, v62
	s_cbranch_execz .LBB251_1741
; %bb.1734:                             ;   in Loop: Header=BB251_927 Depth=1
	v_mov_b32_e32 v8, v7
	v_mov_b32_e32 v21, v9
	v_cmp_ne_u32_sdwa s4, v62, v83 src0_sel:BYTE_3 src1_sel:DWORD
	v_mov_b32_e32 v20, v8
	s_and_saveexec_b32 s11, s4
	s_cbranch_execz .LBB251_1740
; %bb.1735:                             ;   in Loop: Header=BB251_927 Depth=1
	v_mov_b32_e32 v12, v7
	v_mov_b32_e32 v21, v13
	v_bfe_u32 v63, v62, 24, 7
	s_mov_b32 s12, exec_lo
	v_mov_b32_e32 v20, v12
	v_cmpx_ne_u32_e32 0x7f, v63
	s_cbranch_execz .LBB251_1739
; %bb.1736:                             ;   in Loop: Header=BB251_927 Depth=1
	v_mov_b32_e32 v6, 7
	v_lshrrev_b32_e32 v8, 3, v63
	s_mov_b32 s13, exec_lo
	v_and_b32_sdwa v6, v62, v6 dst_sel:DWORD dst_unused:UNUSED_PAD src0_sel:BYTE_3 src1_sel:DWORD
	v_cmpx_gt_u32_e32 8, v63
; %bb.1737:                             ;   in Loop: Header=BB251_927 Depth=1
	v_ffbh_u32_e32 v8, v6
	v_min_u32_e32 v8, 32, v8
	v_subrev_nc_u32_e32 v12, 28, v8
	v_sub_nc_u32_e32 v8, 29, v8
	v_lshlrev_b64 v[20:21], v12, v[6:7]
	v_and_b32_e32 v6, 7, v20
; %bb.1738:                             ;   in Loop: Header=BB251_927 Depth=1
	s_or_b32 exec_lo, exec_lo, s13
	v_mov_b32_e32 v12, 24
	v_lshlrev_b32_e32 v6, 20, v6
	v_lshl_add_u32 v8, v8, 23, 0x3c000000
	v_mov_b32_e32 v20, v7
	v_lshlrev_b32_sdwa v12, v12, v62 dst_sel:DWORD dst_unused:UNUSED_PAD src0_sel:DWORD src1_sel:BYTE_3
	v_and_b32_e32 v12, 0x80000000, v12
	v_or3_b32 v21, v6, v12, v8
.LBB251_1739:                           ;   in Loop: Header=BB251_927 Depth=1
	s_or_b32 exec_lo, exec_lo, s12
.LBB251_1740:                           ;   in Loop: Header=BB251_927 Depth=1
	s_or_b32 exec_lo, exec_lo, s11
.LBB251_1741:                           ;   in Loop: Header=BB251_927 Depth=1
	s_or_b32 exec_lo, exec_lo, s9
	v_or_b32_e32 v6, v19, v17
	v_or_b32_e32 v8, v18, v16
	;; [unrolled: 1-line block ×4, first 2 shown]
	v_mul_f32_e32 v73, v98, v6
	v_mul_f32_e32 v72, v81, v8
	;; [unrolled: 1-line block ×4, first 2 shown]
	s_and_saveexec_b32 s9, vcc_lo
	s_cbranch_execz .LBB251_1743
; %bb.1742:                             ;   in Loop: Header=BB251_927 Depth=1
	v_cmp_lt_i32_e64 s4, v115, v99
	v_cndmask_b32_e64 v72, 0, v72, s4
	v_cmp_lt_i32_e64 s4, v117, v99
	v_cndmask_b32_e64 v73, 0, v73, s4
	;; [unrolled: 2-line block ×4, first 2 shown]
.LBB251_1743:                           ;   in Loop: Header=BB251_927 Depth=1
	s_or_b32 exec_lo, exec_lo, s9
	flat_load_dword v74, v[4:5] offset:1024
	v_mov_b32_e32 v18, 0
	v_mov_b32_e32 v16, 0
	;; [unrolled: 1-line block ×4, first 2 shown]
	s_waitcnt vmcnt(0) lgkmcnt(0)
	v_cmp_ne_u16_sdwa s4, v74, v7 src0_sel:BYTE_0 src1_sel:DWORD
	s_and_saveexec_b32 s9, s4
	s_cbranch_execz .LBB251_1751
; %bb.1744:                             ;   in Loop: Header=BB251_927 Depth=1
	v_bfrev_b32_e32 v16, 1
	v_mov_b32_e32 v17, 0
	v_cmp_ne_u16_sdwa s4, v74, v83 src0_sel:BYTE_0 src1_sel:DWORD
	s_and_saveexec_b32 s11, s4
	s_cbranch_execz .LBB251_1750
; %bb.1745:                             ;   in Loop: Header=BB251_927 Depth=1
	v_mov_b32_e32 v16, 0x7f800001
	v_and_b32_e32 v12, 0x7f, v74
	v_mov_b32_e32 v17, 0
	s_mov_b32 s12, exec_lo
	v_cmpx_ne_u32_e32 0x7f, v12
	s_cbranch_execz .LBB251_1749
; %bb.1746:                             ;   in Loop: Header=BB251_927 Depth=1
	v_and_b32_e32 v6, 7, v74
	v_lshrrev_b32_e32 v8, 3, v12
	s_mov_b32 s13, exec_lo
	v_cmpx_gt_u32_e32 8, v12
; %bb.1747:                             ;   in Loop: Header=BB251_927 Depth=1
	v_ffbh_u32_e32 v8, v6
	v_min_u32_e32 v8, 32, v8
	v_subrev_nc_u32_e32 v12, 28, v8
	v_sub_nc_u32_e32 v8, 29, v8
	v_lshlrev_b64 v[16:17], v12, v[6:7]
	v_and_b32_e32 v6, 7, v16
; %bb.1748:                             ;   in Loop: Header=BB251_927 Depth=1
	s_or_b32 exec_lo, exec_lo, s13
	v_lshlrev_b32_e32 v12, 24, v74
	v_lshlrev_b32_e32 v6, 20, v6
	v_lshl_add_u32 v8, v8, 23, 0x3c000000
	v_and_b32_e32 v12, 0x80000000, v12
	v_or3_b32 v6, v6, v12, v8
	v_mov_b32_e32 v17, v7
	v_mov_b32_e32 v16, v6
.LBB251_1749:                           ;   in Loop: Header=BB251_927 Depth=1
	s_or_b32 exec_lo, exec_lo, s12
.LBB251_1750:                           ;   in Loop: Header=BB251_927 Depth=1
	s_or_b32 exec_lo, exec_lo, s11
.LBB251_1751:                           ;   in Loop: Header=BB251_927 Depth=1
	s_or_b32 exec_lo, exec_lo, s9
	v_cmp_ne_u16_sdwa s4, v74, v7 src0_sel:BYTE_1 src1_sel:DWORD
	s_and_saveexec_b32 s9, s4
	s_cbranch_execz .LBB251_1759
; %bb.1752:                             ;   in Loop: Header=BB251_927 Depth=1
	v_mov_b32_e32 v8, v7
	v_mov_b32_e32 v19, v9
	v_cmp_ne_u16_sdwa s4, v74, v83 src0_sel:BYTE_1 src1_sel:DWORD
	v_mov_b32_e32 v18, v8
	s_and_saveexec_b32 s11, s4
	s_cbranch_execz .LBB251_1758
; %bb.1753:                             ;   in Loop: Header=BB251_927 Depth=1
	v_mov_b32_e32 v6, 0xffff
	v_mov_b32_e32 v12, v7
	v_mov_b32_e32 v19, v13
	s_mov_b32 s12, exec_lo
	v_and_b32_sdwa v6, v6, v74 dst_sel:DWORD dst_unused:UNUSED_PAD src0_sel:DWORD src1_sel:BYTE_1
	v_mov_b32_e32 v18, v12
	v_and_b32_e32 v20, 0x7f, v6
	v_cmpx_ne_u32_e32 0x7f, v20
	s_cbranch_execz .LBB251_1757
; %bb.1754:                             ;   in Loop: Header=BB251_927 Depth=1
	v_and_b32_e32 v6, 7, v6
	v_lshrrev_b32_e32 v8, 3, v20
	s_mov_b32 s13, exec_lo
	v_cmpx_gt_u32_e32 8, v20
; %bb.1755:                             ;   in Loop: Header=BB251_927 Depth=1
	v_ffbh_u32_e32 v8, v6
	v_min_u32_e32 v8, 32, v8
	v_subrev_nc_u32_e32 v12, 28, v8
	v_sub_nc_u32_e32 v8, 29, v8
	v_lshlrev_b64 v[18:19], v12, v[6:7]
	v_and_b32_e32 v6, 7, v18
; %bb.1756:                             ;   in Loop: Header=BB251_927 Depth=1
	s_or_b32 exec_lo, exec_lo, s13
	v_lshlrev_b32_e32 v12, 16, v74
	v_lshlrev_b32_e32 v6, 20, v6
	v_lshl_add_u32 v8, v8, 23, 0x3c000000
	v_mov_b32_e32 v18, v7
	v_and_b32_e32 v12, 0x80000000, v12
	v_or3_b32 v19, v6, v12, v8
.LBB251_1757:                           ;   in Loop: Header=BB251_927 Depth=1
	s_or_b32 exec_lo, exec_lo, s12
.LBB251_1758:                           ;   in Loop: Header=BB251_927 Depth=1
	s_or_b32 exec_lo, exec_lo, s11
.LBB251_1759:                           ;   in Loop: Header=BB251_927 Depth=1
	s_or_b32 exec_lo, exec_lo, s9
	v_mov_b32_e32 v20, 0
	v_mov_b32_e32 v22, 0
	v_and_b32_sdwa v6, v74, v85 dst_sel:DWORD dst_unused:UNUSED_PAD src0_sel:WORD_1 src1_sel:DWORD
	v_mov_b32_e32 v21, 0
	v_mov_b32_e32 v23, 0
	s_mov_b32 s9, exec_lo
	v_cmpx_ne_u16_e32 0, v6
	s_cbranch_execz .LBB251_1767
; %bb.1760:                             ;   in Loop: Header=BB251_927 Depth=1
	v_bfrev_b32_e32 v22, 1
	v_mov_b32_e32 v23, 0
	s_mov_b32 s11, exec_lo
	v_cmpx_ne_u16_e32 0x80, v6
	s_cbranch_execz .LBB251_1766
; %bb.1761:                             ;   in Loop: Header=BB251_927 Depth=1
	v_mov_b32_e32 v22, 0x7f800001
	v_bfe_u32 v12, v74, 16, 7
	v_mov_b32_e32 v23, 0
	s_mov_b32 s12, exec_lo
	v_cmpx_ne_u32_e32 0x7f, v12
	s_cbranch_execz .LBB251_1765
; %bb.1762:                             ;   in Loop: Header=BB251_927 Depth=1
	v_mov_b32_e32 v6, 7
	v_lshrrev_b32_e32 v8, 3, v12
	s_mov_b32 s13, exec_lo
	v_and_b32_sdwa v6, v74, v6 dst_sel:DWORD dst_unused:UNUSED_PAD src0_sel:WORD_1 src1_sel:DWORD
	v_cmpx_gt_u32_e32 8, v12
; %bb.1763:                             ;   in Loop: Header=BB251_927 Depth=1
	v_ffbh_u32_e32 v8, v6
	v_min_u32_e32 v8, 32, v8
	v_subrev_nc_u32_e32 v12, 28, v8
	v_sub_nc_u32_e32 v8, 29, v8
	v_lshlrev_b64 v[22:23], v12, v[6:7]
	v_and_b32_e32 v6, 7, v22
; %bb.1764:                             ;   in Loop: Header=BB251_927 Depth=1
	s_or_b32 exec_lo, exec_lo, s13
	v_mov_b32_e32 v12, 24
	v_lshlrev_b32_e32 v6, 20, v6
	v_lshl_add_u32 v8, v8, 23, 0x3c000000
	v_lshlrev_b32_sdwa v12, v12, v74 dst_sel:DWORD dst_unused:UNUSED_PAD src0_sel:DWORD src1_sel:WORD_1
	v_and_b32_e32 v12, 0x80000000, v12
	v_or3_b32 v6, v6, v12, v8
	v_mov_b32_e32 v23, v7
	v_mov_b32_e32 v22, v6
.LBB251_1765:                           ;   in Loop: Header=BB251_927 Depth=1
	s_or_b32 exec_lo, exec_lo, s12
.LBB251_1766:                           ;   in Loop: Header=BB251_927 Depth=1
	s_or_b32 exec_lo, exec_lo, s11
.LBB251_1767:                           ;   in Loop: Header=BB251_927 Depth=1
	s_or_b32 exec_lo, exec_lo, s9
	s_mov_b32 s9, exec_lo
	v_cmpx_lt_u32_e32 0xffffff, v74
	s_cbranch_execz .LBB251_1775
; %bb.1768:                             ;   in Loop: Header=BB251_927 Depth=1
	v_mov_b32_e32 v8, v7
	v_mov_b32_e32 v21, v9
	v_cmp_ne_u32_sdwa s4, v74, v83 src0_sel:BYTE_3 src1_sel:DWORD
	v_mov_b32_e32 v20, v8
	s_and_saveexec_b32 s11, s4
	s_cbranch_execz .LBB251_1774
; %bb.1769:                             ;   in Loop: Header=BB251_927 Depth=1
	v_mov_b32_e32 v12, v7
	v_mov_b32_e32 v21, v13
	v_bfe_u32 v75, v74, 24, 7
	s_mov_b32 s12, exec_lo
	v_mov_b32_e32 v20, v12
	v_cmpx_ne_u32_e32 0x7f, v75
	s_cbranch_execz .LBB251_1773
; %bb.1770:                             ;   in Loop: Header=BB251_927 Depth=1
	v_mov_b32_e32 v6, 7
	v_lshrrev_b32_e32 v8, 3, v75
	s_mov_b32 s13, exec_lo
	v_and_b32_sdwa v6, v74, v6 dst_sel:DWORD dst_unused:UNUSED_PAD src0_sel:BYTE_3 src1_sel:DWORD
	v_cmpx_gt_u32_e32 8, v75
; %bb.1771:                             ;   in Loop: Header=BB251_927 Depth=1
	v_ffbh_u32_e32 v8, v6
	v_min_u32_e32 v8, 32, v8
	v_subrev_nc_u32_e32 v12, 28, v8
	v_sub_nc_u32_e32 v8, 29, v8
	v_lshlrev_b64 v[20:21], v12, v[6:7]
	v_and_b32_e32 v6, 7, v20
; %bb.1772:                             ;   in Loop: Header=BB251_927 Depth=1
	s_or_b32 exec_lo, exec_lo, s13
	v_mov_b32_e32 v12, 24
	v_lshlrev_b32_e32 v6, 20, v6
	v_lshl_add_u32 v8, v8, 23, 0x3c000000
	v_mov_b32_e32 v20, v7
	v_lshlrev_b32_sdwa v12, v12, v74 dst_sel:DWORD dst_unused:UNUSED_PAD src0_sel:DWORD src1_sel:BYTE_3
	v_and_b32_e32 v12, 0x80000000, v12
	v_or3_b32 v21, v6, v12, v8
.LBB251_1773:                           ;   in Loop: Header=BB251_927 Depth=1
	s_or_b32 exec_lo, exec_lo, s12
.LBB251_1774:                           ;   in Loop: Header=BB251_927 Depth=1
	s_or_b32 exec_lo, exec_lo, s11
.LBB251_1775:                           ;   in Loop: Header=BB251_927 Depth=1
	s_or_b32 exec_lo, exec_lo, s9
	v_or_b32_e32 v6, v19, v17
	v_or_b32_e32 v8, v18, v16
	;; [unrolled: 1-line block ×4, first 2 shown]
	v_mul_f32_e32 v77, v98, v6
	v_mul_f32_e32 v76, v81, v8
	;; [unrolled: 1-line block ×4, first 2 shown]
	s_and_saveexec_b32 s9, vcc_lo
	s_cbranch_execz .LBB251_1777
; %bb.1776:                             ;   in Loop: Header=BB251_927 Depth=1
	v_cmp_lt_i32_e64 s4, v115, v99
	v_cndmask_b32_e64 v76, 0, v76, s4
	v_cmp_lt_i32_e64 s4, v117, v99
	v_cndmask_b32_e64 v77, 0, v77, s4
	;; [unrolled: 2-line block ×4, first 2 shown]
.LBB251_1777:                           ;   in Loop: Header=BB251_927 Depth=1
	s_or_b32 exec_lo, exec_lo, s9
	flat_load_dword v78, v[4:5] offset:1152
	v_mov_b32_e32 v18, 0
	v_mov_b32_e32 v16, 0
	;; [unrolled: 1-line block ×4, first 2 shown]
	s_waitcnt vmcnt(0) lgkmcnt(0)
	v_cmp_ne_u16_sdwa s4, v78, v7 src0_sel:BYTE_0 src1_sel:DWORD
	s_and_saveexec_b32 s9, s4
	s_cbranch_execz .LBB251_1785
; %bb.1778:                             ;   in Loop: Header=BB251_927 Depth=1
	v_bfrev_b32_e32 v16, 1
	v_mov_b32_e32 v17, 0
	v_cmp_ne_u16_sdwa s4, v78, v83 src0_sel:BYTE_0 src1_sel:DWORD
	s_and_saveexec_b32 s11, s4
	s_cbranch_execz .LBB251_1784
; %bb.1779:                             ;   in Loop: Header=BB251_927 Depth=1
	v_mov_b32_e32 v16, 0x7f800001
	v_and_b32_e32 v12, 0x7f, v78
	v_mov_b32_e32 v17, 0
	s_mov_b32 s12, exec_lo
	v_cmpx_ne_u32_e32 0x7f, v12
	s_cbranch_execz .LBB251_1783
; %bb.1780:                             ;   in Loop: Header=BB251_927 Depth=1
	v_and_b32_e32 v6, 7, v78
	v_lshrrev_b32_e32 v8, 3, v12
	s_mov_b32 s13, exec_lo
	v_cmpx_gt_u32_e32 8, v12
; %bb.1781:                             ;   in Loop: Header=BB251_927 Depth=1
	v_ffbh_u32_e32 v8, v6
	v_min_u32_e32 v8, 32, v8
	v_subrev_nc_u32_e32 v12, 28, v8
	v_sub_nc_u32_e32 v8, 29, v8
	v_lshlrev_b64 v[16:17], v12, v[6:7]
	v_and_b32_e32 v6, 7, v16
; %bb.1782:                             ;   in Loop: Header=BB251_927 Depth=1
	s_or_b32 exec_lo, exec_lo, s13
	v_lshlrev_b32_e32 v12, 24, v78
	v_lshlrev_b32_e32 v6, 20, v6
	v_lshl_add_u32 v8, v8, 23, 0x3c000000
	v_and_b32_e32 v12, 0x80000000, v12
	v_or3_b32 v6, v6, v12, v8
	v_mov_b32_e32 v17, v7
	v_mov_b32_e32 v16, v6
.LBB251_1783:                           ;   in Loop: Header=BB251_927 Depth=1
	s_or_b32 exec_lo, exec_lo, s12
.LBB251_1784:                           ;   in Loop: Header=BB251_927 Depth=1
	s_or_b32 exec_lo, exec_lo, s11
.LBB251_1785:                           ;   in Loop: Header=BB251_927 Depth=1
	s_or_b32 exec_lo, exec_lo, s9
	v_cmp_ne_u16_sdwa s4, v78, v7 src0_sel:BYTE_1 src1_sel:DWORD
	s_and_saveexec_b32 s9, s4
	s_cbranch_execz .LBB251_1793
; %bb.1786:                             ;   in Loop: Header=BB251_927 Depth=1
	v_mov_b32_e32 v8, v7
	v_mov_b32_e32 v19, v9
	v_cmp_ne_u16_sdwa s4, v78, v83 src0_sel:BYTE_1 src1_sel:DWORD
	v_mov_b32_e32 v18, v8
	s_and_saveexec_b32 s11, s4
	s_cbranch_execz .LBB251_1792
; %bb.1787:                             ;   in Loop: Header=BB251_927 Depth=1
	v_mov_b32_e32 v6, 0xffff
	v_mov_b32_e32 v12, v7
	;; [unrolled: 1-line block ×3, first 2 shown]
	s_mov_b32 s12, exec_lo
	v_and_b32_sdwa v6, v6, v78 dst_sel:DWORD dst_unused:UNUSED_PAD src0_sel:DWORD src1_sel:BYTE_1
	v_mov_b32_e32 v18, v12
	v_and_b32_e32 v20, 0x7f, v6
	v_cmpx_ne_u32_e32 0x7f, v20
	s_cbranch_execz .LBB251_1791
; %bb.1788:                             ;   in Loop: Header=BB251_927 Depth=1
	v_and_b32_e32 v6, 7, v6
	v_lshrrev_b32_e32 v8, 3, v20
	s_mov_b32 s13, exec_lo
	v_cmpx_gt_u32_e32 8, v20
; %bb.1789:                             ;   in Loop: Header=BB251_927 Depth=1
	v_ffbh_u32_e32 v8, v6
	v_min_u32_e32 v8, 32, v8
	v_subrev_nc_u32_e32 v12, 28, v8
	v_sub_nc_u32_e32 v8, 29, v8
	v_lshlrev_b64 v[18:19], v12, v[6:7]
	v_and_b32_e32 v6, 7, v18
; %bb.1790:                             ;   in Loop: Header=BB251_927 Depth=1
	s_or_b32 exec_lo, exec_lo, s13
	v_lshlrev_b32_e32 v12, 16, v78
	v_lshlrev_b32_e32 v6, 20, v6
	v_lshl_add_u32 v8, v8, 23, 0x3c000000
	v_mov_b32_e32 v18, v7
	v_and_b32_e32 v12, 0x80000000, v12
	v_or3_b32 v19, v6, v12, v8
.LBB251_1791:                           ;   in Loop: Header=BB251_927 Depth=1
	s_or_b32 exec_lo, exec_lo, s12
.LBB251_1792:                           ;   in Loop: Header=BB251_927 Depth=1
	s_or_b32 exec_lo, exec_lo, s11
.LBB251_1793:                           ;   in Loop: Header=BB251_927 Depth=1
	s_or_b32 exec_lo, exec_lo, s9
	v_mov_b32_e32 v20, 0
	v_mov_b32_e32 v22, 0
	v_and_b32_sdwa v6, v78, v85 dst_sel:DWORD dst_unused:UNUSED_PAD src0_sel:WORD_1 src1_sel:DWORD
	v_mov_b32_e32 v21, 0
	v_mov_b32_e32 v23, 0
	s_mov_b32 s9, exec_lo
	v_cmpx_ne_u16_e32 0, v6
	s_cbranch_execz .LBB251_1801
; %bb.1794:                             ;   in Loop: Header=BB251_927 Depth=1
	v_bfrev_b32_e32 v22, 1
	v_mov_b32_e32 v23, 0
	s_mov_b32 s11, exec_lo
	v_cmpx_ne_u16_e32 0x80, v6
	s_cbranch_execz .LBB251_1800
; %bb.1795:                             ;   in Loop: Header=BB251_927 Depth=1
	v_mov_b32_e32 v22, 0x7f800001
	v_bfe_u32 v12, v78, 16, 7
	v_mov_b32_e32 v23, 0
	s_mov_b32 s12, exec_lo
	v_cmpx_ne_u32_e32 0x7f, v12
	s_cbranch_execz .LBB251_1799
; %bb.1796:                             ;   in Loop: Header=BB251_927 Depth=1
	v_mov_b32_e32 v6, 7
	v_lshrrev_b32_e32 v8, 3, v12
	s_mov_b32 s13, exec_lo
	v_and_b32_sdwa v6, v78, v6 dst_sel:DWORD dst_unused:UNUSED_PAD src0_sel:WORD_1 src1_sel:DWORD
	v_cmpx_gt_u32_e32 8, v12
; %bb.1797:                             ;   in Loop: Header=BB251_927 Depth=1
	v_ffbh_u32_e32 v8, v6
	v_min_u32_e32 v8, 32, v8
	v_subrev_nc_u32_e32 v12, 28, v8
	v_sub_nc_u32_e32 v8, 29, v8
	v_lshlrev_b64 v[22:23], v12, v[6:7]
	v_and_b32_e32 v6, 7, v22
; %bb.1798:                             ;   in Loop: Header=BB251_927 Depth=1
	s_or_b32 exec_lo, exec_lo, s13
	v_mov_b32_e32 v12, 24
	v_lshlrev_b32_e32 v6, 20, v6
	v_lshl_add_u32 v8, v8, 23, 0x3c000000
	v_lshlrev_b32_sdwa v12, v12, v78 dst_sel:DWORD dst_unused:UNUSED_PAD src0_sel:DWORD src1_sel:WORD_1
	v_and_b32_e32 v12, 0x80000000, v12
	v_or3_b32 v6, v6, v12, v8
	v_mov_b32_e32 v23, v7
	v_mov_b32_e32 v22, v6
.LBB251_1799:                           ;   in Loop: Header=BB251_927 Depth=1
	s_or_b32 exec_lo, exec_lo, s12
.LBB251_1800:                           ;   in Loop: Header=BB251_927 Depth=1
	s_or_b32 exec_lo, exec_lo, s11
.LBB251_1801:                           ;   in Loop: Header=BB251_927 Depth=1
	s_or_b32 exec_lo, exec_lo, s9
	s_mov_b32 s9, exec_lo
	v_cmpx_lt_u32_e32 0xffffff, v78
	s_cbranch_execz .LBB251_1809
; %bb.1802:                             ;   in Loop: Header=BB251_927 Depth=1
	v_mov_b32_e32 v8, v7
	v_mov_b32_e32 v21, v9
	v_cmp_ne_u32_sdwa s4, v78, v83 src0_sel:BYTE_3 src1_sel:DWORD
	v_mov_b32_e32 v20, v8
	s_and_saveexec_b32 s11, s4
	s_cbranch_execz .LBB251_1808
; %bb.1803:                             ;   in Loop: Header=BB251_927 Depth=1
	v_mov_b32_e32 v12, v7
	v_mov_b32_e32 v21, v13
	v_bfe_u32 v79, v78, 24, 7
	s_mov_b32 s12, exec_lo
	v_mov_b32_e32 v20, v12
	v_cmpx_ne_u32_e32 0x7f, v79
	s_cbranch_execz .LBB251_1807
; %bb.1804:                             ;   in Loop: Header=BB251_927 Depth=1
	v_mov_b32_e32 v6, 7
	v_lshrrev_b32_e32 v8, 3, v79
	s_mov_b32 s13, exec_lo
	v_and_b32_sdwa v6, v78, v6 dst_sel:DWORD dst_unused:UNUSED_PAD src0_sel:BYTE_3 src1_sel:DWORD
	v_cmpx_gt_u32_e32 8, v79
; %bb.1805:                             ;   in Loop: Header=BB251_927 Depth=1
	v_ffbh_u32_e32 v8, v6
	v_min_u32_e32 v8, 32, v8
	v_subrev_nc_u32_e32 v12, 28, v8
	v_sub_nc_u32_e32 v8, 29, v8
	v_lshlrev_b64 v[20:21], v12, v[6:7]
	v_and_b32_e32 v6, 7, v20
; %bb.1806:                             ;   in Loop: Header=BB251_927 Depth=1
	s_or_b32 exec_lo, exec_lo, s13
	v_mov_b32_e32 v12, 24
	v_lshlrev_b32_e32 v6, 20, v6
	v_lshl_add_u32 v8, v8, 23, 0x3c000000
	v_mov_b32_e32 v20, v7
	v_lshlrev_b32_sdwa v12, v12, v78 dst_sel:DWORD dst_unused:UNUSED_PAD src0_sel:DWORD src1_sel:BYTE_3
	v_and_b32_e32 v12, 0x80000000, v12
	v_or3_b32 v21, v6, v12, v8
.LBB251_1807:                           ;   in Loop: Header=BB251_927 Depth=1
	s_or_b32 exec_lo, exec_lo, s12
.LBB251_1808:                           ;   in Loop: Header=BB251_927 Depth=1
	s_or_b32 exec_lo, exec_lo, s11
.LBB251_1809:                           ;   in Loop: Header=BB251_927 Depth=1
	s_or_b32 exec_lo, exec_lo, s9
	v_or_b32_e32 v6, v19, v17
	v_or_b32_e32 v8, v18, v16
	;; [unrolled: 1-line block ×4, first 2 shown]
	v_mul_f32_e32 v89, v98, v6
	v_mul_f32_e32 v88, v81, v8
	v_mul_f32_e32 v79, v81, v12
	v_mul_f32_e32 v78, v98, v16
	s_and_saveexec_b32 s9, vcc_lo
	s_cbranch_execz .LBB251_1811
; %bb.1810:                             ;   in Loop: Header=BB251_927 Depth=1
	v_cmp_lt_i32_e64 s4, v115, v99
	v_cndmask_b32_e64 v88, 0, v88, s4
	v_cmp_lt_i32_e64 s4, v117, v99
	v_cndmask_b32_e64 v89, 0, v89, s4
	;; [unrolled: 2-line block ×4, first 2 shown]
.LBB251_1811:                           ;   in Loop: Header=BB251_927 Depth=1
	s_or_b32 exec_lo, exec_lo, s9
	flat_load_dword v90, v[4:5] offset:1280
	v_mov_b32_e32 v18, 0
	v_mov_b32_e32 v16, 0
	;; [unrolled: 1-line block ×4, first 2 shown]
	s_waitcnt vmcnt(0) lgkmcnt(0)
	v_cmp_ne_u16_sdwa s4, v90, v7 src0_sel:BYTE_0 src1_sel:DWORD
	s_and_saveexec_b32 s9, s4
	s_cbranch_execz .LBB251_1819
; %bb.1812:                             ;   in Loop: Header=BB251_927 Depth=1
	v_bfrev_b32_e32 v16, 1
	v_mov_b32_e32 v17, 0
	v_cmp_ne_u16_sdwa s4, v90, v83 src0_sel:BYTE_0 src1_sel:DWORD
	s_and_saveexec_b32 s11, s4
	s_cbranch_execz .LBB251_1818
; %bb.1813:                             ;   in Loop: Header=BB251_927 Depth=1
	v_mov_b32_e32 v16, 0x7f800001
	v_and_b32_e32 v12, 0x7f, v90
	v_mov_b32_e32 v17, 0
	s_mov_b32 s12, exec_lo
	v_cmpx_ne_u32_e32 0x7f, v12
	s_cbranch_execz .LBB251_1817
; %bb.1814:                             ;   in Loop: Header=BB251_927 Depth=1
	v_and_b32_e32 v6, 7, v90
	v_lshrrev_b32_e32 v8, 3, v12
	s_mov_b32 s13, exec_lo
	v_cmpx_gt_u32_e32 8, v12
; %bb.1815:                             ;   in Loop: Header=BB251_927 Depth=1
	v_ffbh_u32_e32 v8, v6
	v_min_u32_e32 v8, 32, v8
	v_subrev_nc_u32_e32 v12, 28, v8
	v_sub_nc_u32_e32 v8, 29, v8
	v_lshlrev_b64 v[16:17], v12, v[6:7]
	v_and_b32_e32 v6, 7, v16
; %bb.1816:                             ;   in Loop: Header=BB251_927 Depth=1
	s_or_b32 exec_lo, exec_lo, s13
	v_lshlrev_b32_e32 v12, 24, v90
	v_lshlrev_b32_e32 v6, 20, v6
	v_lshl_add_u32 v8, v8, 23, 0x3c000000
	v_and_b32_e32 v12, 0x80000000, v12
	v_or3_b32 v6, v6, v12, v8
	v_mov_b32_e32 v17, v7
	v_mov_b32_e32 v16, v6
.LBB251_1817:                           ;   in Loop: Header=BB251_927 Depth=1
	s_or_b32 exec_lo, exec_lo, s12
.LBB251_1818:                           ;   in Loop: Header=BB251_927 Depth=1
	s_or_b32 exec_lo, exec_lo, s11
.LBB251_1819:                           ;   in Loop: Header=BB251_927 Depth=1
	s_or_b32 exec_lo, exec_lo, s9
	v_cmp_ne_u16_sdwa s4, v90, v7 src0_sel:BYTE_1 src1_sel:DWORD
	s_and_saveexec_b32 s9, s4
	s_cbranch_execz .LBB251_1827
; %bb.1820:                             ;   in Loop: Header=BB251_927 Depth=1
	v_mov_b32_e32 v8, v7
	v_mov_b32_e32 v19, v9
	v_cmp_ne_u16_sdwa s4, v90, v83 src0_sel:BYTE_1 src1_sel:DWORD
	v_mov_b32_e32 v18, v8
	s_and_saveexec_b32 s11, s4
	s_cbranch_execz .LBB251_1826
; %bb.1821:                             ;   in Loop: Header=BB251_927 Depth=1
	v_mov_b32_e32 v6, 0xffff
	v_mov_b32_e32 v12, v7
	;; [unrolled: 1-line block ×3, first 2 shown]
	s_mov_b32 s12, exec_lo
	v_and_b32_sdwa v6, v6, v90 dst_sel:DWORD dst_unused:UNUSED_PAD src0_sel:DWORD src1_sel:BYTE_1
	v_mov_b32_e32 v18, v12
	v_and_b32_e32 v20, 0x7f, v6
	v_cmpx_ne_u32_e32 0x7f, v20
	s_cbranch_execz .LBB251_1825
; %bb.1822:                             ;   in Loop: Header=BB251_927 Depth=1
	v_and_b32_e32 v6, 7, v6
	v_lshrrev_b32_e32 v8, 3, v20
	s_mov_b32 s13, exec_lo
	v_cmpx_gt_u32_e32 8, v20
; %bb.1823:                             ;   in Loop: Header=BB251_927 Depth=1
	v_ffbh_u32_e32 v8, v6
	v_min_u32_e32 v8, 32, v8
	v_subrev_nc_u32_e32 v12, 28, v8
	v_sub_nc_u32_e32 v8, 29, v8
	v_lshlrev_b64 v[18:19], v12, v[6:7]
	v_and_b32_e32 v6, 7, v18
; %bb.1824:                             ;   in Loop: Header=BB251_927 Depth=1
	s_or_b32 exec_lo, exec_lo, s13
	v_lshlrev_b32_e32 v12, 16, v90
	v_lshlrev_b32_e32 v6, 20, v6
	v_lshl_add_u32 v8, v8, 23, 0x3c000000
	v_mov_b32_e32 v18, v7
	v_and_b32_e32 v12, 0x80000000, v12
	v_or3_b32 v19, v6, v12, v8
.LBB251_1825:                           ;   in Loop: Header=BB251_927 Depth=1
	s_or_b32 exec_lo, exec_lo, s12
.LBB251_1826:                           ;   in Loop: Header=BB251_927 Depth=1
	s_or_b32 exec_lo, exec_lo, s11
.LBB251_1827:                           ;   in Loop: Header=BB251_927 Depth=1
	s_or_b32 exec_lo, exec_lo, s9
	v_mov_b32_e32 v20, 0
	v_mov_b32_e32 v22, 0
	v_and_b32_sdwa v6, v90, v85 dst_sel:DWORD dst_unused:UNUSED_PAD src0_sel:WORD_1 src1_sel:DWORD
	v_mov_b32_e32 v21, 0
	v_mov_b32_e32 v23, 0
	s_mov_b32 s9, exec_lo
	v_cmpx_ne_u16_e32 0, v6
	s_cbranch_execz .LBB251_1835
; %bb.1828:                             ;   in Loop: Header=BB251_927 Depth=1
	v_bfrev_b32_e32 v22, 1
	v_mov_b32_e32 v23, 0
	s_mov_b32 s11, exec_lo
	v_cmpx_ne_u16_e32 0x80, v6
	s_cbranch_execz .LBB251_1834
; %bb.1829:                             ;   in Loop: Header=BB251_927 Depth=1
	v_mov_b32_e32 v22, 0x7f800001
	v_bfe_u32 v12, v90, 16, 7
	v_mov_b32_e32 v23, 0
	s_mov_b32 s12, exec_lo
	v_cmpx_ne_u32_e32 0x7f, v12
	s_cbranch_execz .LBB251_1833
; %bb.1830:                             ;   in Loop: Header=BB251_927 Depth=1
	v_mov_b32_e32 v6, 7
	v_lshrrev_b32_e32 v8, 3, v12
	s_mov_b32 s13, exec_lo
	v_and_b32_sdwa v6, v90, v6 dst_sel:DWORD dst_unused:UNUSED_PAD src0_sel:WORD_1 src1_sel:DWORD
	v_cmpx_gt_u32_e32 8, v12
; %bb.1831:                             ;   in Loop: Header=BB251_927 Depth=1
	v_ffbh_u32_e32 v8, v6
	v_min_u32_e32 v8, 32, v8
	v_subrev_nc_u32_e32 v12, 28, v8
	v_sub_nc_u32_e32 v8, 29, v8
	v_lshlrev_b64 v[22:23], v12, v[6:7]
	v_and_b32_e32 v6, 7, v22
; %bb.1832:                             ;   in Loop: Header=BB251_927 Depth=1
	s_or_b32 exec_lo, exec_lo, s13
	v_mov_b32_e32 v12, 24
	v_lshlrev_b32_e32 v6, 20, v6
	v_lshl_add_u32 v8, v8, 23, 0x3c000000
	v_lshlrev_b32_sdwa v12, v12, v90 dst_sel:DWORD dst_unused:UNUSED_PAD src0_sel:DWORD src1_sel:WORD_1
	v_and_b32_e32 v12, 0x80000000, v12
	v_or3_b32 v6, v6, v12, v8
	v_mov_b32_e32 v23, v7
	v_mov_b32_e32 v22, v6
.LBB251_1833:                           ;   in Loop: Header=BB251_927 Depth=1
	s_or_b32 exec_lo, exec_lo, s12
.LBB251_1834:                           ;   in Loop: Header=BB251_927 Depth=1
	s_or_b32 exec_lo, exec_lo, s11
.LBB251_1835:                           ;   in Loop: Header=BB251_927 Depth=1
	s_or_b32 exec_lo, exec_lo, s9
	s_mov_b32 s9, exec_lo
	v_cmpx_lt_u32_e32 0xffffff, v90
	s_cbranch_execz .LBB251_1843
; %bb.1836:                             ;   in Loop: Header=BB251_927 Depth=1
	v_mov_b32_e32 v8, v7
	v_mov_b32_e32 v21, v9
	v_cmp_ne_u32_sdwa s4, v90, v83 src0_sel:BYTE_3 src1_sel:DWORD
	v_mov_b32_e32 v20, v8
	s_and_saveexec_b32 s11, s4
	s_cbranch_execz .LBB251_1842
; %bb.1837:                             ;   in Loop: Header=BB251_927 Depth=1
	v_mov_b32_e32 v12, v7
	v_mov_b32_e32 v21, v13
	v_bfe_u32 v91, v90, 24, 7
	s_mov_b32 s12, exec_lo
	v_mov_b32_e32 v20, v12
	v_cmpx_ne_u32_e32 0x7f, v91
	s_cbranch_execz .LBB251_1841
; %bb.1838:                             ;   in Loop: Header=BB251_927 Depth=1
	v_mov_b32_e32 v6, 7
	v_lshrrev_b32_e32 v8, 3, v91
	s_mov_b32 s13, exec_lo
	v_and_b32_sdwa v6, v90, v6 dst_sel:DWORD dst_unused:UNUSED_PAD src0_sel:BYTE_3 src1_sel:DWORD
	v_cmpx_gt_u32_e32 8, v91
; %bb.1839:                             ;   in Loop: Header=BB251_927 Depth=1
	v_ffbh_u32_e32 v8, v6
	v_min_u32_e32 v8, 32, v8
	v_subrev_nc_u32_e32 v12, 28, v8
	v_sub_nc_u32_e32 v8, 29, v8
	v_lshlrev_b64 v[20:21], v12, v[6:7]
	v_and_b32_e32 v6, 7, v20
; %bb.1840:                             ;   in Loop: Header=BB251_927 Depth=1
	s_or_b32 exec_lo, exec_lo, s13
	v_mov_b32_e32 v12, 24
	v_lshlrev_b32_e32 v6, 20, v6
	v_lshl_add_u32 v8, v8, 23, 0x3c000000
	v_mov_b32_e32 v20, v7
	v_lshlrev_b32_sdwa v12, v12, v90 dst_sel:DWORD dst_unused:UNUSED_PAD src0_sel:DWORD src1_sel:BYTE_3
	v_and_b32_e32 v12, 0x80000000, v12
	v_or3_b32 v21, v6, v12, v8
.LBB251_1841:                           ;   in Loop: Header=BB251_927 Depth=1
	s_or_b32 exec_lo, exec_lo, s12
.LBB251_1842:                           ;   in Loop: Header=BB251_927 Depth=1
	s_or_b32 exec_lo, exec_lo, s11
.LBB251_1843:                           ;   in Loop: Header=BB251_927 Depth=1
	s_or_b32 exec_lo, exec_lo, s9
	v_or_b32_e32 v6, v19, v17
	v_or_b32_e32 v8, v18, v16
	;; [unrolled: 1-line block ×4, first 2 shown]
	v_mul_f32_e32 v91, v98, v6
	v_mul_f32_e32 v90, v81, v8
	;; [unrolled: 1-line block ×4, first 2 shown]
	s_and_saveexec_b32 s9, vcc_lo
	s_cbranch_execz .LBB251_1845
; %bb.1844:                             ;   in Loop: Header=BB251_927 Depth=1
	v_cmp_lt_i32_e64 s4, v115, v99
	v_cndmask_b32_e64 v90, 0, v90, s4
	v_cmp_lt_i32_e64 s4, v117, v99
	v_cndmask_b32_e64 v91, 0, v91, s4
	;; [unrolled: 2-line block ×4, first 2 shown]
.LBB251_1845:                           ;   in Loop: Header=BB251_927 Depth=1
	s_or_b32 exec_lo, exec_lo, s9
	flat_load_dword v92, v[4:5] offset:1408
	v_mov_b32_e32 v16, 0
	v_mov_b32_e32 v4, 0
	;; [unrolled: 1-line block ×4, first 2 shown]
	s_waitcnt vmcnt(0) lgkmcnt(0)
	v_cmp_ne_u16_sdwa s4, v92, v7 src0_sel:BYTE_0 src1_sel:DWORD
	s_and_saveexec_b32 s9, s4
	s_cbranch_execz .LBB251_1853
; %bb.1846:                             ;   in Loop: Header=BB251_927 Depth=1
	v_bfrev_b32_e32 v4, 1
	v_mov_b32_e32 v5, 0
	v_cmp_ne_u16_sdwa s4, v92, v83 src0_sel:BYTE_0 src1_sel:DWORD
	s_and_saveexec_b32 s11, s4
	s_cbranch_execz .LBB251_1852
; %bb.1847:                             ;   in Loop: Header=BB251_927 Depth=1
	v_mov_b32_e32 v4, 0x7f800001
	v_and_b32_e32 v8, 0x7f, v92
	v_mov_b32_e32 v5, 0
	s_mov_b32 s12, exec_lo
	v_cmpx_ne_u32_e32 0x7f, v8
	s_cbranch_execz .LBB251_1851
; %bb.1848:                             ;   in Loop: Header=BB251_927 Depth=1
	v_and_b32_e32 v6, 7, v92
	v_lshrrev_b32_e32 v4, 3, v8
	s_mov_b32 s13, exec_lo
	v_cmpx_gt_u32_e32 8, v8
; %bb.1849:                             ;   in Loop: Header=BB251_927 Depth=1
	v_ffbh_u32_e32 v4, v6
	v_min_u32_e32 v4, 32, v4
	v_subrev_nc_u32_e32 v5, 28, v4
	v_sub_nc_u32_e32 v4, 29, v4
	v_lshlrev_b64 v[5:6], v5, v[6:7]
	v_and_b32_e32 v6, 7, v5
; %bb.1850:                             ;   in Loop: Header=BB251_927 Depth=1
	s_or_b32 exec_lo, exec_lo, s13
	v_lshlrev_b32_e32 v5, 24, v92
	v_lshlrev_b32_e32 v6, 20, v6
	v_lshl_add_u32 v4, v4, 23, 0x3c000000
	v_and_b32_e32 v5, 0x80000000, v5
	v_or3_b32 v6, v6, v5, v4
	v_mov_b32_e32 v4, v6
	v_mov_b32_e32 v5, v7
.LBB251_1851:                           ;   in Loop: Header=BB251_927 Depth=1
	s_or_b32 exec_lo, exec_lo, s12
.LBB251_1852:                           ;   in Loop: Header=BB251_927 Depth=1
	s_or_b32 exec_lo, exec_lo, s11
.LBB251_1853:                           ;   in Loop: Header=BB251_927 Depth=1
	s_or_b32 exec_lo, exec_lo, s9
	v_cmp_ne_u16_sdwa s4, v92, v7 src0_sel:BYTE_1 src1_sel:DWORD
	s_and_saveexec_b32 s9, s4
	s_cbranch_execz .LBB251_1861
; %bb.1854:                             ;   in Loop: Header=BB251_927 Depth=1
	v_mov_b32_e32 v8, v7
	v_mov_b32_e32 v17, v9
	v_cmp_ne_u16_sdwa s4, v92, v83 src0_sel:BYTE_1 src1_sel:DWORD
	v_mov_b32_e32 v16, v8
	s_and_saveexec_b32 s11, s4
	s_cbranch_execz .LBB251_1860
; %bb.1855:                             ;   in Loop: Header=BB251_927 Depth=1
	v_mov_b32_e32 v6, 0xffff
	v_mov_b32_e32 v12, v7
	;; [unrolled: 1-line block ×3, first 2 shown]
	s_mov_b32 s12, exec_lo
	v_and_b32_sdwa v6, v6, v92 dst_sel:DWORD dst_unused:UNUSED_PAD src0_sel:DWORD src1_sel:BYTE_1
	v_mov_b32_e32 v16, v12
	v_and_b32_e32 v18, 0x7f, v6
	v_cmpx_ne_u32_e32 0x7f, v18
	s_cbranch_execz .LBB251_1859
; %bb.1856:                             ;   in Loop: Header=BB251_927 Depth=1
	v_and_b32_e32 v6, 7, v6
	v_lshrrev_b32_e32 v8, 3, v18
	s_mov_b32 s13, exec_lo
	v_cmpx_gt_u32_e32 8, v18
; %bb.1857:                             ;   in Loop: Header=BB251_927 Depth=1
	v_ffbh_u32_e32 v8, v6
	v_min_u32_e32 v8, 32, v8
	v_subrev_nc_u32_e32 v12, 28, v8
	v_sub_nc_u32_e32 v8, 29, v8
	v_lshlrev_b64 v[16:17], v12, v[6:7]
	v_and_b32_e32 v6, 7, v16
; %bb.1858:                             ;   in Loop: Header=BB251_927 Depth=1
	s_or_b32 exec_lo, exec_lo, s13
	v_lshlrev_b32_e32 v12, 16, v92
	v_lshlrev_b32_e32 v6, 20, v6
	v_lshl_add_u32 v8, v8, 23, 0x3c000000
	v_mov_b32_e32 v16, v7
	v_and_b32_e32 v12, 0x80000000, v12
	v_or3_b32 v17, v6, v12, v8
.LBB251_1859:                           ;   in Loop: Header=BB251_927 Depth=1
	s_or_b32 exec_lo, exec_lo, s12
.LBB251_1860:                           ;   in Loop: Header=BB251_927 Depth=1
	s_or_b32 exec_lo, exec_lo, s11
.LBB251_1861:                           ;   in Loop: Header=BB251_927 Depth=1
	s_or_b32 exec_lo, exec_lo, s9
	v_mov_b32_e32 v18, 0
	v_mov_b32_e32 v20, 0
	v_and_b32_sdwa v6, v92, v85 dst_sel:DWORD dst_unused:UNUSED_PAD src0_sel:WORD_1 src1_sel:DWORD
	v_mov_b32_e32 v19, 0
	v_mov_b32_e32 v21, 0
	s_mov_b32 s9, exec_lo
	v_cmpx_ne_u16_e32 0, v6
	s_cbranch_execz .LBB251_1869
; %bb.1862:                             ;   in Loop: Header=BB251_927 Depth=1
	v_bfrev_b32_e32 v20, 1
	v_mov_b32_e32 v21, 0
	s_mov_b32 s11, exec_lo
	v_cmpx_ne_u16_e32 0x80, v6
	s_cbranch_execz .LBB251_1868
; %bb.1863:                             ;   in Loop: Header=BB251_927 Depth=1
	v_mov_b32_e32 v20, 0x7f800001
	v_bfe_u32 v12, v92, 16, 7
	v_mov_b32_e32 v21, 0
	s_mov_b32 s12, exec_lo
	v_cmpx_ne_u32_e32 0x7f, v12
	s_cbranch_execz .LBB251_1867
; %bb.1864:                             ;   in Loop: Header=BB251_927 Depth=1
	v_mov_b32_e32 v6, 7
	v_lshrrev_b32_e32 v8, 3, v12
	s_mov_b32 s13, exec_lo
	v_and_b32_sdwa v6, v92, v6 dst_sel:DWORD dst_unused:UNUSED_PAD src0_sel:WORD_1 src1_sel:DWORD
	v_cmpx_gt_u32_e32 8, v12
; %bb.1865:                             ;   in Loop: Header=BB251_927 Depth=1
	v_ffbh_u32_e32 v8, v6
	v_min_u32_e32 v8, 32, v8
	v_subrev_nc_u32_e32 v12, 28, v8
	v_sub_nc_u32_e32 v8, 29, v8
	v_lshlrev_b64 v[20:21], v12, v[6:7]
	v_and_b32_e32 v6, 7, v20
; %bb.1866:                             ;   in Loop: Header=BB251_927 Depth=1
	s_or_b32 exec_lo, exec_lo, s13
	v_mov_b32_e32 v12, 24
	v_lshlrev_b32_e32 v6, 20, v6
	v_lshl_add_u32 v8, v8, 23, 0x3c000000
	v_lshlrev_b32_sdwa v12, v12, v92 dst_sel:DWORD dst_unused:UNUSED_PAD src0_sel:DWORD src1_sel:WORD_1
	v_and_b32_e32 v12, 0x80000000, v12
	v_or3_b32 v6, v6, v12, v8
	v_mov_b32_e32 v21, v7
	v_mov_b32_e32 v20, v6
.LBB251_1867:                           ;   in Loop: Header=BB251_927 Depth=1
	s_or_b32 exec_lo, exec_lo, s12
.LBB251_1868:                           ;   in Loop: Header=BB251_927 Depth=1
	s_or_b32 exec_lo, exec_lo, s11
.LBB251_1869:                           ;   in Loop: Header=BB251_927 Depth=1
	s_or_b32 exec_lo, exec_lo, s9
	s_mov_b32 s9, exec_lo
	v_cmpx_lt_u32_e32 0xffffff, v92
	s_cbranch_execz .LBB251_1877
; %bb.1870:                             ;   in Loop: Header=BB251_927 Depth=1
	v_mov_b32_e32 v8, v7
	v_mov_b32_e32 v19, v9
	v_cmp_ne_u32_sdwa s4, v92, v83 src0_sel:BYTE_3 src1_sel:DWORD
	v_mov_b32_e32 v18, v8
	s_and_saveexec_b32 s11, s4
	s_cbranch_execz .LBB251_1876
; %bb.1871:                             ;   in Loop: Header=BB251_927 Depth=1
	v_mov_b32_e32 v12, v7
	v_mov_b32_e32 v19, v13
	v_bfe_u32 v93, v92, 24, 7
	s_mov_b32 s12, exec_lo
	v_mov_b32_e32 v18, v12
	v_cmpx_ne_u32_e32 0x7f, v93
	s_cbranch_execz .LBB251_1875
; %bb.1872:                             ;   in Loop: Header=BB251_927 Depth=1
	v_mov_b32_e32 v6, 7
	v_lshrrev_b32_e32 v8, 3, v93
	s_mov_b32 s13, exec_lo
	v_and_b32_sdwa v6, v92, v6 dst_sel:DWORD dst_unused:UNUSED_PAD src0_sel:BYTE_3 src1_sel:DWORD
	v_cmpx_gt_u32_e32 8, v93
; %bb.1873:                             ;   in Loop: Header=BB251_927 Depth=1
	v_ffbh_u32_e32 v8, v6
	v_min_u32_e32 v8, 32, v8
	v_subrev_nc_u32_e32 v12, 28, v8
	v_sub_nc_u32_e32 v8, 29, v8
	v_lshlrev_b64 v[18:19], v12, v[6:7]
	v_and_b32_e32 v6, 7, v18
; %bb.1874:                             ;   in Loop: Header=BB251_927 Depth=1
	s_or_b32 exec_lo, exec_lo, s13
	v_mov_b32_e32 v12, 24
	v_lshlrev_b32_e32 v6, 20, v6
	v_lshl_add_u32 v8, v8, 23, 0x3c000000
	v_mov_b32_e32 v18, v7
	v_lshlrev_b32_sdwa v12, v12, v92 dst_sel:DWORD dst_unused:UNUSED_PAD src0_sel:DWORD src1_sel:BYTE_3
	v_and_b32_e32 v12, 0x80000000, v12
	v_or3_b32 v19, v6, v12, v8
.LBB251_1875:                           ;   in Loop: Header=BB251_927 Depth=1
	s_or_b32 exec_lo, exec_lo, s12
.LBB251_1876:                           ;   in Loop: Header=BB251_927 Depth=1
	s_or_b32 exec_lo, exec_lo, s11
.LBB251_1877:                           ;   in Loop: Header=BB251_927 Depth=1
	s_or_b32 exec_lo, exec_lo, s9
	v_or_b32_e32 v5, v17, v5
	v_or_b32_e32 v4, v16, v4
	;; [unrolled: 1-line block ×4, first 2 shown]
	v_mul_f32_e32 v8, v98, v5
	v_mul_f32_e32 v6, v81, v4
	;; [unrolled: 1-line block ×4, first 2 shown]
	s_and_saveexec_b32 s4, vcc_lo
	s_cbranch_execz .LBB251_926
; %bb.1878:                             ;   in Loop: Header=BB251_927 Depth=1
	v_cmp_lt_i32_e32 vcc_lo, v115, v99
	v_cndmask_b32_e32 v6, 0, v6, vcc_lo
	v_cmp_lt_i32_e32 vcc_lo, v117, v99
	v_cndmask_b32_e32 v8, 0, v8, vcc_lo
	;; [unrolled: 2-line block ×4, first 2 shown]
	s_branch .LBB251_926
.LBB251_1879:
	s_or_b32 exec_lo, exec_lo, s8
	s_clause 0x3
	buffer_load_dword v84, off, s[0:3], s32 offset:536
	buffer_load_dword v85, off, s[0:3], s32 offset:544
	;; [unrolled: 1-line block ×4, first 2 shown]
	v_mov_b32_e32 v0, s16
	v_mov_b32_e32 v1, s17
.LBB251_1880:
	s_or_b32 exec_lo, exec_lo, s7
	v_lshlrev_b64 v[0:1], 2, v[0:1]
	s_getpc_b64 s[8:9]
	s_add_u32 s8, s8, llvm.amdgcn.dynlds.offset.table@rel32@lo+4
	s_addc_u32 s9, s9, llvm.amdgcn.dynlds.offset.table@rel32@hi+12
	s_waitcnt vmcnt(0) lgkmcnt(0)
	s_waitcnt_vscnt null, 0x0
	s_barrier
	buffer_gl0_inv
	ds_bpermute_b32 v2, v81, v70
	v_add_co_u32 v0, vcc_lo, s8, v0
	v_add_co_ci_u32_e64 v1, null, s9, v1, vcc_lo
	ds_bpermute_b32 v3, v81, v69
	ds_bpermute_b32 v4, v81, v68
	;; [unrolled: 1-line block ×3, first 2 shown]
	global_load_dword v28, v[0:1], off
	ds_bpermute_b32 v0, v81, v80
	ds_bpermute_b32 v1, v81, v71
	ds_bpermute_b32 v6, v81, v66
	ds_bpermute_b32 v7, v81, v65
	ds_bpermute_b32 v8, v81, v64
	ds_bpermute_b32 v9, v81, v55
	ds_bpermute_b32 v10, v81, v54
	ds_bpermute_b32 v11, v81, v53
	ds_bpermute_b32 v12, v81, v52
	ds_bpermute_b32 v13, v81, v51
	ds_bpermute_b32 v14, v81, v50
	ds_bpermute_b32 v15, v81, v49
	ds_bpermute_b32 v16, v81, v48
	ds_bpermute_b32 v17, v81, v39
	ds_bpermute_b32 v18, v81, v38
	ds_bpermute_b32 v19, v81, v37
	ds_bpermute_b32 v20, v81, v36
	ds_bpermute_b32 v21, v81, v35
	ds_bpermute_b32 v22, v81, v34
	ds_bpermute_b32 v23, v81, v33
	ds_bpermute_b32 v24, v81, v32
	ds_bpermute_b32 v25, v81, v31
	ds_bpermute_b32 v26, v81, v30
	ds_bpermute_b32 v27, v81, v29
	s_clause 0x2
	buffer_load_dword v81, off, s[0:3], s32 offset:1180
	buffer_load_dword v82, off, s[0:3], s32 offset:1168
	;; [unrolled: 1-line block ×3, first 2 shown]
	s_waitcnt lgkmcnt(23)
	v_add_f32_e32 v0, v80, v0
	s_waitcnt lgkmcnt(22)
	v_add_f32_e32 v1, v71, v1
	v_add_f32_e32 v2, v70, v2
	;; [unrolled: 1-line block ×5, first 2 shown]
	s_waitcnt lgkmcnt(21)
	v_add_f32_e32 v6, v66, v6
	s_waitcnt lgkmcnt(20)
	v_add_f32_e32 v7, v65, v7
	;; [unrolled: 2-line block ×22, first 2 shown]
	ds_bpermute_b32 v29, v85, v0
	ds_bpermute_b32 v30, v85, v1
	;; [unrolled: 1-line block ×28, first 2 shown]
	s_waitcnt lgkmcnt(27)
	v_add_f32_e32 v0, v0, v29
	s_waitcnt lgkmcnt(26)
	v_add_f32_e32 v1, v1, v30
	;; [unrolled: 2-line block ×28, first 2 shown]
	ds_bpermute_b32 v29, v84, v0
	ds_bpermute_b32 v30, v84, v1
	;; [unrolled: 1-line block ×28, first 2 shown]
	s_waitcnt lgkmcnt(27)
	v_add_f32_e32 v0, v0, v29
	s_waitcnt lgkmcnt(26)
	v_add_f32_e32 v1, v1, v30
	;; [unrolled: 2-line block ×28, first 2 shown]
	s_mov_b32 s4, exec_lo
	s_waitcnt vmcnt(2)
	v_lshrrev_b32_e32 v81, 3, v81
	s_waitcnt vmcnt(1)
	v_mul_u32_u24_e32 v82, 0x1c0, v82
	s_waitcnt vmcnt(0)
	v_and_b32_e32 v83, 0x3c7, v83
	v_lshl_add_u32 v29, v81, 2, v28
	v_cmpx_eq_u32_e32 64, v83
	s_cbranch_execz .LBB251_1882
; %bb.1881:
	v_add_nc_u32_e32 v30, v29, v82
	v_add_nc_u32_e32 v31, 0xfffffc80, v30
	;; [unrolled: 1-line block ×8, first 2 shown]
	ds_write_b32 v31, v0
	ds_write_b32 v32, v1
	ds_write_b32 v33, v2
	v_add_nc_u32_e32 v31, 0xfffffcf0, v30
	ds_write_b32 v34, v3
	ds_write_b32 v35, v4
	ds_write_b32 v36, v5
	ds_write_b32 v37, v6
	ds_write_b32 v31, v7
	v_add_nc_u32_e32 v31, 0xfffffd00, v30
	v_add_nc_u32_e32 v32, 0xfffffd10, v30
	v_add_nc_u32_e32 v33, 0xfffffd20, v30
	v_add_nc_u32_e32 v34, 0xfffffd30, v30
	v_add_nc_u32_e32 v35, 0xfffffd40, v30
	ds_write_b32 v31, v8
	ds_write_b32 v32, v9
	ds_write_b32 v33, v10
	ds_write_b32 v34, v11
	ds_write_b32 v35, v12
	v_add_nc_u32_e32 v31, 0xfffffd50, v30
	v_add_nc_u32_e32 v32, 0xfffffd60, v30
	v_add_nc_u32_e32 v33, 0xfffffd70, v30
	v_add_nc_u32_e32 v34, 0xfffffd80, v30
	;; [unrolled: 10-line block ×4, first 2 shown]
	v_add_nc_u32_e32 v30, 0xfffffe30, v30
	ds_write_b32 v31, v23
	ds_write_b32 v32, v24
	;; [unrolled: 1-line block ×5, first 2 shown]
.LBB251_1882:
	s_or_b32 exec_lo, exec_lo, s4
	v_lshlrev_b32_e32 v30, 2, v81
	s_mov_b32 s7, exec_lo
	v_cmp_eq_u32_e32 vcc_lo, 0, v86
	v_add3_u32 v28, v28, v82, v30
	buffer_load_dword v30, off, s[0:3], s32 offset:1164 ; 4-byte Folded Reload
	s_waitcnt vmcnt(0) lgkmcnt(0)
	s_barrier
	buffer_gl0_inv
	v_cmpx_gt_u32_e32 64, v30
	s_cbranch_execz .LBB251_1913
; %bb.1883:
	s_and_saveexec_b32 s4, vcc_lo
	s_cbranch_execnz .LBB251_1949
; %bb.1884:
	s_or_b32 exec_lo, exec_lo, s4
	s_and_saveexec_b32 s4, vcc_lo
	s_cbranch_execnz .LBB251_1950
.LBB251_1885:
	s_or_b32 exec_lo, exec_lo, s4
	s_and_saveexec_b32 s4, vcc_lo
	s_cbranch_execnz .LBB251_1951
.LBB251_1886:
	s_or_b32 exec_lo, exec_lo, s4
	s_and_saveexec_b32 s4, vcc_lo
	s_cbranch_execnz .LBB251_1952
.LBB251_1887:
	s_or_b32 exec_lo, exec_lo, s4
	s_and_saveexec_b32 s4, vcc_lo
	s_cbranch_execnz .LBB251_1953
.LBB251_1888:
	s_or_b32 exec_lo, exec_lo, s4
	s_and_saveexec_b32 s4, vcc_lo
	s_cbranch_execnz .LBB251_1954
.LBB251_1889:
	s_or_b32 exec_lo, exec_lo, s4
	s_and_saveexec_b32 s4, vcc_lo
	s_cbranch_execnz .LBB251_1955
.LBB251_1890:
	s_or_b32 exec_lo, exec_lo, s4
	s_and_saveexec_b32 s4, vcc_lo
	s_cbranch_execnz .LBB251_1956
.LBB251_1891:
	s_or_b32 exec_lo, exec_lo, s4
	s_and_saveexec_b32 s4, vcc_lo
	s_cbranch_execnz .LBB251_1957
.LBB251_1892:
	s_or_b32 exec_lo, exec_lo, s4
	s_and_saveexec_b32 s4, vcc_lo
	s_cbranch_execnz .LBB251_1958
.LBB251_1893:
	s_or_b32 exec_lo, exec_lo, s4
	s_and_saveexec_b32 s4, vcc_lo
	s_cbranch_execnz .LBB251_1959
.LBB251_1894:
	s_or_b32 exec_lo, exec_lo, s4
	s_and_saveexec_b32 s4, vcc_lo
	s_cbranch_execnz .LBB251_1960
.LBB251_1895:
	s_or_b32 exec_lo, exec_lo, s4
	s_and_saveexec_b32 s4, vcc_lo
	s_cbranch_execnz .LBB251_1961
.LBB251_1896:
	s_or_b32 exec_lo, exec_lo, s4
	s_and_saveexec_b32 s4, vcc_lo
	s_cbranch_execnz .LBB251_1962
.LBB251_1897:
	s_or_b32 exec_lo, exec_lo, s4
	s_and_saveexec_b32 s4, vcc_lo
	s_cbranch_execnz .LBB251_1963
.LBB251_1898:
	s_or_b32 exec_lo, exec_lo, s4
	s_and_saveexec_b32 s4, vcc_lo
	s_cbranch_execnz .LBB251_1964
.LBB251_1899:
	s_or_b32 exec_lo, exec_lo, s4
	s_and_saveexec_b32 s4, vcc_lo
	s_cbranch_execnz .LBB251_1965
.LBB251_1900:
	s_or_b32 exec_lo, exec_lo, s4
	s_and_saveexec_b32 s4, vcc_lo
	s_cbranch_execnz .LBB251_1966
.LBB251_1901:
	s_or_b32 exec_lo, exec_lo, s4
	s_and_saveexec_b32 s4, vcc_lo
	s_cbranch_execnz .LBB251_1967
.LBB251_1902:
	s_or_b32 exec_lo, exec_lo, s4
	s_and_saveexec_b32 s4, vcc_lo
	s_cbranch_execnz .LBB251_1968
.LBB251_1903:
	s_or_b32 exec_lo, exec_lo, s4
	s_and_saveexec_b32 s4, vcc_lo
	s_cbranch_execnz .LBB251_1969
.LBB251_1904:
	s_or_b32 exec_lo, exec_lo, s4
	s_and_saveexec_b32 s4, vcc_lo
	s_cbranch_execnz .LBB251_1970
.LBB251_1905:
	s_or_b32 exec_lo, exec_lo, s4
	s_and_saveexec_b32 s4, vcc_lo
	s_cbranch_execnz .LBB251_1971
.LBB251_1906:
	s_or_b32 exec_lo, exec_lo, s4
	s_and_saveexec_b32 s4, vcc_lo
	s_cbranch_execnz .LBB251_1972
.LBB251_1907:
	s_or_b32 exec_lo, exec_lo, s4
	s_and_saveexec_b32 s4, vcc_lo
	s_cbranch_execnz .LBB251_1973
.LBB251_1908:
	s_or_b32 exec_lo, exec_lo, s4
	s_and_saveexec_b32 s4, vcc_lo
	s_cbranch_execnz .LBB251_1974
.LBB251_1909:
	s_or_b32 exec_lo, exec_lo, s4
	s_and_saveexec_b32 s4, vcc_lo
	s_cbranch_execnz .LBB251_1975
.LBB251_1910:
	s_or_b32 exec_lo, exec_lo, s4
	s_and_saveexec_b32 s4, vcc_lo
	s_cbranch_execz .LBB251_1912
.LBB251_1911:
	ds_read_b32 v30, v28 offset:432
	s_waitcnt lgkmcnt(0)
	v_add_f32_e32 v27, v30, v27
.LBB251_1912:
	s_or_b32 exec_lo, exec_lo, s4
.LBB251_1913:
	s_or_b32 exec_lo, exec_lo, s7
	buffer_load_dword v30, off, s[0:3], s32 offset:1164 ; 4-byte Folded Reload
	s_mov_b32 s7, exec_lo
	s_waitcnt vmcnt(0)
	s_barrier
	buffer_gl0_inv
	v_and_b32_e32 v30, 0x3e7, v30
	v_cmpx_eq_u32_e32 32, v30
	s_cbranch_execz .LBB251_1915
; %bb.1914:
	ds_write2_b32 v29, v0, v1 offset1:4
	ds_write2_b32 v29, v2, v3 offset0:8 offset1:12
	ds_write2_b32 v29, v4, v5 offset0:16 offset1:20
	;; [unrolled: 1-line block ×13, first 2 shown]
.LBB251_1915:
	s_or_b32 exec_lo, exec_lo, s7
	buffer_load_dword v29, off, s[0:3], s32 offset:1164 ; 4-byte Folded Reload
	s_mov_b32 s7, exec_lo
	s_waitcnt vmcnt(0) lgkmcnt(0)
	s_barrier
	buffer_gl0_inv
	v_cmpx_gt_u32_e32 32, v29
	s_cbranch_execz .LBB251_1946
; %bb.1916:
	s_and_saveexec_b32 s4, vcc_lo
	s_cbranch_execnz .LBB251_1976
; %bb.1917:
	s_or_b32 exec_lo, exec_lo, s4
	s_and_saveexec_b32 s4, vcc_lo
	s_cbranch_execnz .LBB251_1977
.LBB251_1918:
	s_or_b32 exec_lo, exec_lo, s4
	s_and_saveexec_b32 s4, vcc_lo
	s_cbranch_execnz .LBB251_1978
.LBB251_1919:
	s_or_b32 exec_lo, exec_lo, s4
	s_and_saveexec_b32 s4, vcc_lo
	s_cbranch_execnz .LBB251_1979
.LBB251_1920:
	s_or_b32 exec_lo, exec_lo, s4
	s_and_saveexec_b32 s4, vcc_lo
	s_cbranch_execnz .LBB251_1980
.LBB251_1921:
	s_or_b32 exec_lo, exec_lo, s4
	s_and_saveexec_b32 s4, vcc_lo
	s_cbranch_execnz .LBB251_1981
.LBB251_1922:
	s_or_b32 exec_lo, exec_lo, s4
	s_and_saveexec_b32 s4, vcc_lo
	s_cbranch_execnz .LBB251_1982
.LBB251_1923:
	s_or_b32 exec_lo, exec_lo, s4
	s_and_saveexec_b32 s4, vcc_lo
	s_cbranch_execnz .LBB251_1983
.LBB251_1924:
	s_or_b32 exec_lo, exec_lo, s4
	s_and_saveexec_b32 s4, vcc_lo
	s_cbranch_execnz .LBB251_1984
.LBB251_1925:
	s_or_b32 exec_lo, exec_lo, s4
	s_and_saveexec_b32 s4, vcc_lo
	s_cbranch_execnz .LBB251_1985
.LBB251_1926:
	s_or_b32 exec_lo, exec_lo, s4
	s_and_saveexec_b32 s4, vcc_lo
	s_cbranch_execnz .LBB251_1986
.LBB251_1927:
	s_or_b32 exec_lo, exec_lo, s4
	s_and_saveexec_b32 s4, vcc_lo
	s_cbranch_execnz .LBB251_1987
.LBB251_1928:
	s_or_b32 exec_lo, exec_lo, s4
	s_and_saveexec_b32 s4, vcc_lo
	s_cbranch_execnz .LBB251_1988
.LBB251_1929:
	s_or_b32 exec_lo, exec_lo, s4
	s_and_saveexec_b32 s4, vcc_lo
	s_cbranch_execnz .LBB251_1989
.LBB251_1930:
	s_or_b32 exec_lo, exec_lo, s4
	s_and_saveexec_b32 s4, vcc_lo
	s_cbranch_execnz .LBB251_1990
.LBB251_1931:
	s_or_b32 exec_lo, exec_lo, s4
	s_and_saveexec_b32 s4, vcc_lo
	s_cbranch_execnz .LBB251_1991
.LBB251_1932:
	s_or_b32 exec_lo, exec_lo, s4
	s_and_saveexec_b32 s4, vcc_lo
	s_cbranch_execnz .LBB251_1992
.LBB251_1933:
	s_or_b32 exec_lo, exec_lo, s4
	s_and_saveexec_b32 s4, vcc_lo
	s_cbranch_execnz .LBB251_1993
.LBB251_1934:
	s_or_b32 exec_lo, exec_lo, s4
	s_and_saveexec_b32 s4, vcc_lo
	s_cbranch_execnz .LBB251_1994
.LBB251_1935:
	s_or_b32 exec_lo, exec_lo, s4
	s_and_saveexec_b32 s4, vcc_lo
	s_cbranch_execnz .LBB251_1995
.LBB251_1936:
	s_or_b32 exec_lo, exec_lo, s4
	s_and_saveexec_b32 s4, vcc_lo
	s_cbranch_execnz .LBB251_1996
.LBB251_1937:
	s_or_b32 exec_lo, exec_lo, s4
	s_and_saveexec_b32 s4, vcc_lo
	s_cbranch_execnz .LBB251_1997
.LBB251_1938:
	s_or_b32 exec_lo, exec_lo, s4
	s_and_saveexec_b32 s4, vcc_lo
	s_cbranch_execnz .LBB251_1998
.LBB251_1939:
	s_or_b32 exec_lo, exec_lo, s4
	s_and_saveexec_b32 s4, vcc_lo
	s_cbranch_execnz .LBB251_1999
.LBB251_1940:
	s_or_b32 exec_lo, exec_lo, s4
	s_and_saveexec_b32 s4, vcc_lo
	s_cbranch_execnz .LBB251_2000
.LBB251_1941:
	s_or_b32 exec_lo, exec_lo, s4
	s_and_saveexec_b32 s4, vcc_lo
	s_cbranch_execnz .LBB251_2001
.LBB251_1942:
	s_or_b32 exec_lo, exec_lo, s4
	s_and_saveexec_b32 s4, vcc_lo
	s_cbranch_execnz .LBB251_2002
.LBB251_1943:
	s_or_b32 exec_lo, exec_lo, s4
	s_and_saveexec_b32 s4, vcc_lo
	s_cbranch_execz .LBB251_1945
.LBB251_1944:
	ds_read_b32 v28, v28 offset:432
	s_waitcnt lgkmcnt(0)
	v_add_f32_e32 v27, v28, v27
.LBB251_1945:
	s_or_b32 exec_lo, exec_lo, s4
.LBB251_1946:
	s_or_b32 exec_lo, exec_lo, s7
	v_cmp_eq_u32_e32 vcc_lo, 0, v30
	s_barrier
	buffer_gl0_inv
	s_and_b32 exec_lo, exec_lo, vcc_lo
	s_cbranch_execz .LBB251_1948
; %bb.1947:
	s_clause 0x2
	buffer_load_dword v28, off, s[0:3], s32 offset:1176
	buffer_load_dword v29, off, s[0:3], s32 offset:1172
	;; [unrolled: 1-line block ×3, first 2 shown]
	s_mulk_i32 s6, 0x70
	s_mul_i32 s4, s10, s5
	s_ashr_i32 s7, s6, 31
	s_ashr_i32 s5, s4, 31
	s_lshl_b64 s[6:7], s[6:7], 2
	s_lshl_b64 s[4:5], s[4:5], 2
	s_waitcnt vmcnt(2)
	v_add_co_u32 v28, vcc_lo, v28, s6
	s_waitcnt vmcnt(1)
	v_add_co_ci_u32_e64 v29, null, s7, v29, vcc_lo
	s_mul_i32 s6, s14, 0x70
	v_add_co_u32 v28, vcc_lo, v28, s4
	s_ashr_i32 s7, s6, 31
	v_add_co_ci_u32_e64 v29, null, s5, v29, vcc_lo
	s_lshl_b64 s[4:5], s[6:7], 2
	s_waitcnt vmcnt(0)
	v_lshrrev_b32_e32 v30, 1, v30
	v_add_co_u32 v28, vcc_lo, v28, s4
	v_add_co_ci_u32_e64 v29, null, s5, v29, vcc_lo
	v_add_co_u32 v28, vcc_lo, v28, v30
	v_add_co_ci_u32_e64 v29, null, 0, v29, vcc_lo
	flat_store_dword v[28:29], v0
	flat_store_dword v[28:29], v1 offset:16
	flat_store_dword v[28:29], v2 offset:32
	;; [unrolled: 1-line block ×27, first 2 shown]
.LBB251_1948:
	s_or_b32 exec_lo, exec_lo, s19
	s_clause 0x2f
	buffer_load_dword v127, off, s[0:3], s32
	buffer_load_dword v126, off, s[0:3], s32 offset:4
	buffer_load_dword v125, off, s[0:3], s32 offset:8
	buffer_load_dword v124, off, s[0:3], s32 offset:12
	buffer_load_dword v123, off, s[0:3], s32 offset:16
	buffer_load_dword v122, off, s[0:3], s32 offset:20
	buffer_load_dword v121, off, s[0:3], s32 offset:24
	buffer_load_dword v120, off, s[0:3], s32 offset:28
	buffer_load_dword v111, off, s[0:3], s32 offset:32
	buffer_load_dword v110, off, s[0:3], s32 offset:36
	buffer_load_dword v109, off, s[0:3], s32 offset:40
	buffer_load_dword v108, off, s[0:3], s32 offset:44
	buffer_load_dword v107, off, s[0:3], s32 offset:48
	buffer_load_dword v106, off, s[0:3], s32 offset:52
	buffer_load_dword v105, off, s[0:3], s32 offset:56
	buffer_load_dword v104, off, s[0:3], s32 offset:60
	buffer_load_dword v95, off, s[0:3], s32 offset:64
	buffer_load_dword v94, off, s[0:3], s32 offset:68
	buffer_load_dword v93, off, s[0:3], s32 offset:72
	buffer_load_dword v92, off, s[0:3], s32 offset:76
	buffer_load_dword v91, off, s[0:3], s32 offset:80
	buffer_load_dword v90, off, s[0:3], s32 offset:84
	buffer_load_dword v89, off, s[0:3], s32 offset:88
	buffer_load_dword v88, off, s[0:3], s32 offset:92
	buffer_load_dword v79, off, s[0:3], s32 offset:96
	buffer_load_dword v78, off, s[0:3], s32 offset:100
	buffer_load_dword v77, off, s[0:3], s32 offset:104
	buffer_load_dword v76, off, s[0:3], s32 offset:108
	buffer_load_dword v75, off, s[0:3], s32 offset:112
	buffer_load_dword v74, off, s[0:3], s32 offset:116
	buffer_load_dword v73, off, s[0:3], s32 offset:120
	buffer_load_dword v72, off, s[0:3], s32 offset:124
	buffer_load_dword v63, off, s[0:3], s32 offset:128
	buffer_load_dword v62, off, s[0:3], s32 offset:132
	buffer_load_dword v61, off, s[0:3], s32 offset:136
	buffer_load_dword v60, off, s[0:3], s32 offset:140
	buffer_load_dword v59, off, s[0:3], s32 offset:144
	buffer_load_dword v58, off, s[0:3], s32 offset:148
	buffer_load_dword v57, off, s[0:3], s32 offset:152
	buffer_load_dword v56, off, s[0:3], s32 offset:156
	buffer_load_dword v47, off, s[0:3], s32 offset:160
	buffer_load_dword v46, off, s[0:3], s32 offset:164
	buffer_load_dword v45, off, s[0:3], s32 offset:168
	buffer_load_dword v44, off, s[0:3], s32 offset:172
	buffer_load_dword v43, off, s[0:3], s32 offset:176
	buffer_load_dword v42, off, s[0:3], s32 offset:180
	buffer_load_dword v41, off, s[0:3], s32 offset:184
	buffer_load_dword v40, off, s[0:3], s32 offset:188
	s_waitcnt vmcnt(0) lgkmcnt(0)
	s_setpc_b64 s[30:31]
.LBB251_1949:
	ds_read_b32 v30, v28
	s_waitcnt lgkmcnt(0)
	v_add_f32_e32 v0, v30, v0
	s_or_b32 exec_lo, exec_lo, s4
	s_and_saveexec_b32 s4, vcc_lo
	s_cbranch_execz .LBB251_1885
.LBB251_1950:
	ds_read_b32 v30, v28 offset:16
	s_waitcnt lgkmcnt(0)
	v_add_f32_e32 v1, v30, v1
	s_or_b32 exec_lo, exec_lo, s4
	s_and_saveexec_b32 s4, vcc_lo
	s_cbranch_execz .LBB251_1886
.LBB251_1951:
	ds_read_b32 v30, v28 offset:32
	s_waitcnt lgkmcnt(0)
	v_add_f32_e32 v2, v30, v2
	s_or_b32 exec_lo, exec_lo, s4
	s_and_saveexec_b32 s4, vcc_lo
	s_cbranch_execz .LBB251_1887
.LBB251_1952:
	ds_read_b32 v30, v28 offset:48
	s_waitcnt lgkmcnt(0)
	v_add_f32_e32 v3, v30, v3
	s_or_b32 exec_lo, exec_lo, s4
	s_and_saveexec_b32 s4, vcc_lo
	s_cbranch_execz .LBB251_1888
.LBB251_1953:
	ds_read_b32 v30, v28 offset:64
	s_waitcnt lgkmcnt(0)
	v_add_f32_e32 v4, v30, v4
	s_or_b32 exec_lo, exec_lo, s4
	s_and_saveexec_b32 s4, vcc_lo
	s_cbranch_execz .LBB251_1889
.LBB251_1954:
	ds_read_b32 v30, v28 offset:80
	s_waitcnt lgkmcnt(0)
	v_add_f32_e32 v5, v30, v5
	s_or_b32 exec_lo, exec_lo, s4
	s_and_saveexec_b32 s4, vcc_lo
	s_cbranch_execz .LBB251_1890
.LBB251_1955:
	ds_read_b32 v30, v28 offset:96
	s_waitcnt lgkmcnt(0)
	v_add_f32_e32 v6, v30, v6
	s_or_b32 exec_lo, exec_lo, s4
	s_and_saveexec_b32 s4, vcc_lo
	s_cbranch_execz .LBB251_1891
.LBB251_1956:
	ds_read_b32 v30, v28 offset:112
	s_waitcnt lgkmcnt(0)
	v_add_f32_e32 v7, v30, v7
	s_or_b32 exec_lo, exec_lo, s4
	s_and_saveexec_b32 s4, vcc_lo
	s_cbranch_execz .LBB251_1892
.LBB251_1957:
	ds_read_b32 v30, v28 offset:128
	s_waitcnt lgkmcnt(0)
	v_add_f32_e32 v8, v30, v8
	s_or_b32 exec_lo, exec_lo, s4
	s_and_saveexec_b32 s4, vcc_lo
	s_cbranch_execz .LBB251_1893
.LBB251_1958:
	ds_read_b32 v30, v28 offset:144
	s_waitcnt lgkmcnt(0)
	v_add_f32_e32 v9, v30, v9
	s_or_b32 exec_lo, exec_lo, s4
	s_and_saveexec_b32 s4, vcc_lo
	s_cbranch_execz .LBB251_1894
.LBB251_1959:
	ds_read_b32 v30, v28 offset:160
	s_waitcnt lgkmcnt(0)
	v_add_f32_e32 v10, v30, v10
	s_or_b32 exec_lo, exec_lo, s4
	s_and_saveexec_b32 s4, vcc_lo
	s_cbranch_execz .LBB251_1895
.LBB251_1960:
	ds_read_b32 v30, v28 offset:176
	s_waitcnt lgkmcnt(0)
	v_add_f32_e32 v11, v30, v11
	s_or_b32 exec_lo, exec_lo, s4
	s_and_saveexec_b32 s4, vcc_lo
	s_cbranch_execz .LBB251_1896
.LBB251_1961:
	ds_read_b32 v30, v28 offset:192
	s_waitcnt lgkmcnt(0)
	v_add_f32_e32 v12, v30, v12
	s_or_b32 exec_lo, exec_lo, s4
	s_and_saveexec_b32 s4, vcc_lo
	s_cbranch_execz .LBB251_1897
.LBB251_1962:
	ds_read_b32 v30, v28 offset:208
	s_waitcnt lgkmcnt(0)
	v_add_f32_e32 v13, v30, v13
	s_or_b32 exec_lo, exec_lo, s4
	s_and_saveexec_b32 s4, vcc_lo
	s_cbranch_execz .LBB251_1898
.LBB251_1963:
	ds_read_b32 v30, v28 offset:224
	s_waitcnt lgkmcnt(0)
	v_add_f32_e32 v14, v30, v14
	s_or_b32 exec_lo, exec_lo, s4
	s_and_saveexec_b32 s4, vcc_lo
	s_cbranch_execz .LBB251_1899
.LBB251_1964:
	ds_read_b32 v30, v28 offset:240
	s_waitcnt lgkmcnt(0)
	v_add_f32_e32 v15, v30, v15
	s_or_b32 exec_lo, exec_lo, s4
	s_and_saveexec_b32 s4, vcc_lo
	s_cbranch_execz .LBB251_1900
.LBB251_1965:
	ds_read_b32 v30, v28 offset:256
	s_waitcnt lgkmcnt(0)
	v_add_f32_e32 v16, v30, v16
	s_or_b32 exec_lo, exec_lo, s4
	s_and_saveexec_b32 s4, vcc_lo
	s_cbranch_execz .LBB251_1901
.LBB251_1966:
	ds_read_b32 v30, v28 offset:272
	s_waitcnt lgkmcnt(0)
	v_add_f32_e32 v17, v30, v17
	s_or_b32 exec_lo, exec_lo, s4
	s_and_saveexec_b32 s4, vcc_lo
	s_cbranch_execz .LBB251_1902
.LBB251_1967:
	ds_read_b32 v30, v28 offset:288
	s_waitcnt lgkmcnt(0)
	v_add_f32_e32 v18, v30, v18
	s_or_b32 exec_lo, exec_lo, s4
	s_and_saveexec_b32 s4, vcc_lo
	s_cbranch_execz .LBB251_1903
.LBB251_1968:
	ds_read_b32 v30, v28 offset:304
	s_waitcnt lgkmcnt(0)
	v_add_f32_e32 v19, v30, v19
	s_or_b32 exec_lo, exec_lo, s4
	s_and_saveexec_b32 s4, vcc_lo
	s_cbranch_execz .LBB251_1904
.LBB251_1969:
	ds_read_b32 v30, v28 offset:320
	s_waitcnt lgkmcnt(0)
	v_add_f32_e32 v20, v30, v20
	s_or_b32 exec_lo, exec_lo, s4
	s_and_saveexec_b32 s4, vcc_lo
	s_cbranch_execz .LBB251_1905
.LBB251_1970:
	ds_read_b32 v30, v28 offset:336
	s_waitcnt lgkmcnt(0)
	v_add_f32_e32 v21, v30, v21
	s_or_b32 exec_lo, exec_lo, s4
	s_and_saveexec_b32 s4, vcc_lo
	s_cbranch_execz .LBB251_1906
.LBB251_1971:
	ds_read_b32 v30, v28 offset:352
	s_waitcnt lgkmcnt(0)
	v_add_f32_e32 v22, v30, v22
	s_or_b32 exec_lo, exec_lo, s4
	s_and_saveexec_b32 s4, vcc_lo
	s_cbranch_execz .LBB251_1907
.LBB251_1972:
	ds_read_b32 v30, v28 offset:368
	s_waitcnt lgkmcnt(0)
	v_add_f32_e32 v23, v30, v23
	s_or_b32 exec_lo, exec_lo, s4
	s_and_saveexec_b32 s4, vcc_lo
	s_cbranch_execz .LBB251_1908
.LBB251_1973:
	ds_read_b32 v30, v28 offset:384
	s_waitcnt lgkmcnt(0)
	v_add_f32_e32 v24, v30, v24
	s_or_b32 exec_lo, exec_lo, s4
	s_and_saveexec_b32 s4, vcc_lo
	s_cbranch_execz .LBB251_1909
.LBB251_1974:
	ds_read_b32 v30, v28 offset:400
	s_waitcnt lgkmcnt(0)
	v_add_f32_e32 v25, v30, v25
	s_or_b32 exec_lo, exec_lo, s4
	s_and_saveexec_b32 s4, vcc_lo
	s_cbranch_execz .LBB251_1910
.LBB251_1975:
	ds_read_b32 v30, v28 offset:416
	s_waitcnt lgkmcnt(0)
	v_add_f32_e32 v26, v30, v26
	s_or_b32 exec_lo, exec_lo, s4
	s_and_saveexec_b32 s4, vcc_lo
	s_cbranch_execnz .LBB251_1911
	s_branch .LBB251_1912
.LBB251_1976:
	ds_read_b32 v29, v28
	s_waitcnt lgkmcnt(0)
	v_add_f32_e32 v0, v29, v0
	s_or_b32 exec_lo, exec_lo, s4
	s_and_saveexec_b32 s4, vcc_lo
	s_cbranch_execz .LBB251_1918
.LBB251_1977:
	ds_read_b32 v29, v28 offset:16
	s_waitcnt lgkmcnt(0)
	v_add_f32_e32 v1, v29, v1
	s_or_b32 exec_lo, exec_lo, s4
	s_and_saveexec_b32 s4, vcc_lo
	s_cbranch_execz .LBB251_1919
.LBB251_1978:
	ds_read_b32 v29, v28 offset:32
	s_waitcnt lgkmcnt(0)
	v_add_f32_e32 v2, v29, v2
	s_or_b32 exec_lo, exec_lo, s4
	s_and_saveexec_b32 s4, vcc_lo
	s_cbranch_execz .LBB251_1920
.LBB251_1979:
	ds_read_b32 v29, v28 offset:48
	s_waitcnt lgkmcnt(0)
	v_add_f32_e32 v3, v29, v3
	s_or_b32 exec_lo, exec_lo, s4
	s_and_saveexec_b32 s4, vcc_lo
	s_cbranch_execz .LBB251_1921
.LBB251_1980:
	ds_read_b32 v29, v28 offset:64
	s_waitcnt lgkmcnt(0)
	v_add_f32_e32 v4, v29, v4
	s_or_b32 exec_lo, exec_lo, s4
	s_and_saveexec_b32 s4, vcc_lo
	s_cbranch_execz .LBB251_1922
.LBB251_1981:
	ds_read_b32 v29, v28 offset:80
	s_waitcnt lgkmcnt(0)
	v_add_f32_e32 v5, v29, v5
	s_or_b32 exec_lo, exec_lo, s4
	s_and_saveexec_b32 s4, vcc_lo
	s_cbranch_execz .LBB251_1923
.LBB251_1982:
	ds_read_b32 v29, v28 offset:96
	s_waitcnt lgkmcnt(0)
	v_add_f32_e32 v6, v29, v6
	s_or_b32 exec_lo, exec_lo, s4
	s_and_saveexec_b32 s4, vcc_lo
	s_cbranch_execz .LBB251_1924
.LBB251_1983:
	ds_read_b32 v29, v28 offset:112
	s_waitcnt lgkmcnt(0)
	v_add_f32_e32 v7, v29, v7
	s_or_b32 exec_lo, exec_lo, s4
	s_and_saveexec_b32 s4, vcc_lo
	s_cbranch_execz .LBB251_1925
.LBB251_1984:
	ds_read_b32 v29, v28 offset:128
	s_waitcnt lgkmcnt(0)
	v_add_f32_e32 v8, v29, v8
	s_or_b32 exec_lo, exec_lo, s4
	s_and_saveexec_b32 s4, vcc_lo
	s_cbranch_execz .LBB251_1926
.LBB251_1985:
	ds_read_b32 v29, v28 offset:144
	s_waitcnt lgkmcnt(0)
	v_add_f32_e32 v9, v29, v9
	s_or_b32 exec_lo, exec_lo, s4
	s_and_saveexec_b32 s4, vcc_lo
	s_cbranch_execz .LBB251_1927
.LBB251_1986:
	ds_read_b32 v29, v28 offset:160
	s_waitcnt lgkmcnt(0)
	v_add_f32_e32 v10, v29, v10
	s_or_b32 exec_lo, exec_lo, s4
	s_and_saveexec_b32 s4, vcc_lo
	s_cbranch_execz .LBB251_1928
.LBB251_1987:
	ds_read_b32 v29, v28 offset:176
	s_waitcnt lgkmcnt(0)
	v_add_f32_e32 v11, v29, v11
	s_or_b32 exec_lo, exec_lo, s4
	s_and_saveexec_b32 s4, vcc_lo
	s_cbranch_execz .LBB251_1929
.LBB251_1988:
	ds_read_b32 v29, v28 offset:192
	s_waitcnt lgkmcnt(0)
	v_add_f32_e32 v12, v29, v12
	s_or_b32 exec_lo, exec_lo, s4
	s_and_saveexec_b32 s4, vcc_lo
	s_cbranch_execz .LBB251_1930
.LBB251_1989:
	ds_read_b32 v29, v28 offset:208
	s_waitcnt lgkmcnt(0)
	v_add_f32_e32 v13, v29, v13
	s_or_b32 exec_lo, exec_lo, s4
	s_and_saveexec_b32 s4, vcc_lo
	s_cbranch_execz .LBB251_1931
.LBB251_1990:
	ds_read_b32 v29, v28 offset:224
	s_waitcnt lgkmcnt(0)
	v_add_f32_e32 v14, v29, v14
	s_or_b32 exec_lo, exec_lo, s4
	s_and_saveexec_b32 s4, vcc_lo
	s_cbranch_execz .LBB251_1932
.LBB251_1991:
	ds_read_b32 v29, v28 offset:240
	s_waitcnt lgkmcnt(0)
	v_add_f32_e32 v15, v29, v15
	s_or_b32 exec_lo, exec_lo, s4
	s_and_saveexec_b32 s4, vcc_lo
	s_cbranch_execz .LBB251_1933
.LBB251_1992:
	ds_read_b32 v29, v28 offset:256
	s_waitcnt lgkmcnt(0)
	v_add_f32_e32 v16, v29, v16
	s_or_b32 exec_lo, exec_lo, s4
	s_and_saveexec_b32 s4, vcc_lo
	s_cbranch_execz .LBB251_1934
.LBB251_1993:
	ds_read_b32 v29, v28 offset:272
	s_waitcnt lgkmcnt(0)
	v_add_f32_e32 v17, v29, v17
	s_or_b32 exec_lo, exec_lo, s4
	s_and_saveexec_b32 s4, vcc_lo
	s_cbranch_execz .LBB251_1935
.LBB251_1994:
	ds_read_b32 v29, v28 offset:288
	s_waitcnt lgkmcnt(0)
	v_add_f32_e32 v18, v29, v18
	s_or_b32 exec_lo, exec_lo, s4
	s_and_saveexec_b32 s4, vcc_lo
	s_cbranch_execz .LBB251_1936
.LBB251_1995:
	ds_read_b32 v29, v28 offset:304
	s_waitcnt lgkmcnt(0)
	v_add_f32_e32 v19, v29, v19
	s_or_b32 exec_lo, exec_lo, s4
	s_and_saveexec_b32 s4, vcc_lo
	s_cbranch_execz .LBB251_1937
.LBB251_1996:
	ds_read_b32 v29, v28 offset:320
	s_waitcnt lgkmcnt(0)
	v_add_f32_e32 v20, v29, v20
	s_or_b32 exec_lo, exec_lo, s4
	s_and_saveexec_b32 s4, vcc_lo
	s_cbranch_execz .LBB251_1938
.LBB251_1997:
	ds_read_b32 v29, v28 offset:336
	s_waitcnt lgkmcnt(0)
	v_add_f32_e32 v21, v29, v21
	s_or_b32 exec_lo, exec_lo, s4
	s_and_saveexec_b32 s4, vcc_lo
	s_cbranch_execz .LBB251_1939
.LBB251_1998:
	ds_read_b32 v29, v28 offset:352
	s_waitcnt lgkmcnt(0)
	v_add_f32_e32 v22, v29, v22
	s_or_b32 exec_lo, exec_lo, s4
	s_and_saveexec_b32 s4, vcc_lo
	s_cbranch_execz .LBB251_1940
.LBB251_1999:
	ds_read_b32 v29, v28 offset:368
	s_waitcnt lgkmcnt(0)
	v_add_f32_e32 v23, v29, v23
	s_or_b32 exec_lo, exec_lo, s4
	s_and_saveexec_b32 s4, vcc_lo
	s_cbranch_execz .LBB251_1941
.LBB251_2000:
	ds_read_b32 v29, v28 offset:384
	s_waitcnt lgkmcnt(0)
	v_add_f32_e32 v24, v29, v24
	s_or_b32 exec_lo, exec_lo, s4
	s_and_saveexec_b32 s4, vcc_lo
	s_cbranch_execz .LBB251_1942
.LBB251_2001:
	ds_read_b32 v29, v28 offset:400
	s_waitcnt lgkmcnt(0)
	v_add_f32_e32 v25, v29, v25
	s_or_b32 exec_lo, exec_lo, s4
	s_and_saveexec_b32 s4, vcc_lo
	s_cbranch_execz .LBB251_1943
.LBB251_2002:
	ds_read_b32 v29, v28 offset:416
	s_waitcnt lgkmcnt(0)
	v_add_f32_e32 v26, v29, v26
	s_or_b32 exec_lo, exec_lo, s4
	s_and_saveexec_b32 s4, vcc_lo
	s_cbranch_execnz .LBB251_1944
	s_branch .LBB251_1945
.Lfunc_end251:
	.size	_ZN4vllm22paged_attention_kernelIfhLi112ELi32ELi128ELNS_18Fp8KVCacheDataTypeE1ELb0ELi512EEEvPfS2_PT_PKS3_PKT0_S9_ifPKiSB_iPKfiiiSD_SD_iiiii, .Lfunc_end251-_ZN4vllm22paged_attention_kernelIfhLi112ELi32ELi128ELNS_18Fp8KVCacheDataTypeE1ELb0ELi512EEEvPfS2_PT_PKS3_PKT0_S9_ifPKiSB_iPKfiiiSD_SD_iiiii
                                        ; -- End function
	.set .L_ZN4vllm22paged_attention_kernelIfhLi112ELi32ELi128ELNS_18Fp8KVCacheDataTypeE1ELb0ELi512EEEvPfS2_PT_PKS3_PKT0_S9_ifPKiSB_iPKfiiiSD_SD_iiiii.num_vgpr, 128
	.set .L_ZN4vllm22paged_attention_kernelIfhLi112ELi32ELi128ELNS_18Fp8KVCacheDataTypeE1ELb0ELi512EEEvPfS2_PT_PKS3_PKT0_S9_ifPKiSB_iPKfiiiSD_SD_iiiii.num_agpr, 0
	.set .L_ZN4vllm22paged_attention_kernelIfhLi112ELi32ELi128ELNS_18Fp8KVCacheDataTypeE1ELb0ELi512EEEvPfS2_PT_PKS3_PKT0_S9_ifPKiSB_iPKfiiiSD_SD_iiiii.numbered_sgpr, 33
	.set .L_ZN4vllm22paged_attention_kernelIfhLi112ELi32ELi128ELNS_18Fp8KVCacheDataTypeE1ELb0ELi512EEEvPfS2_PT_PKS3_PKT0_S9_ifPKiSB_iPKfiiiSD_SD_iiiii.num_named_barrier, 0
	.set .L_ZN4vllm22paged_attention_kernelIfhLi112ELi32ELi128ELNS_18Fp8KVCacheDataTypeE1ELb0ELi512EEEvPfS2_PT_PKS3_PKT0_S9_ifPKiSB_iPKfiiiSD_SD_iiiii.private_seg_size, 1252
	.set .L_ZN4vllm22paged_attention_kernelIfhLi112ELi32ELi128ELNS_18Fp8KVCacheDataTypeE1ELb0ELi512EEEvPfS2_PT_PKS3_PKT0_S9_ifPKiSB_iPKfiiiSD_SD_iiiii.uses_vcc, 1
	.set .L_ZN4vllm22paged_attention_kernelIfhLi112ELi32ELi128ELNS_18Fp8KVCacheDataTypeE1ELb0ELi512EEEvPfS2_PT_PKS3_PKT0_S9_ifPKiSB_iPKfiiiSD_SD_iiiii.uses_flat_scratch, 0
	.set .L_ZN4vllm22paged_attention_kernelIfhLi112ELi32ELi128ELNS_18Fp8KVCacheDataTypeE1ELb0ELi512EEEvPfS2_PT_PKS3_PKT0_S9_ifPKiSB_iPKfiiiSD_SD_iiiii.has_dyn_sized_stack, 0
	.set .L_ZN4vllm22paged_attention_kernelIfhLi112ELi32ELi128ELNS_18Fp8KVCacheDataTypeE1ELb0ELi512EEEvPfS2_PT_PKS3_PKT0_S9_ifPKiSB_iPKfiiiSD_SD_iiiii.has_recursion, 0
	.set .L_ZN4vllm22paged_attention_kernelIfhLi112ELi32ELi128ELNS_18Fp8KVCacheDataTypeE1ELb0ELi512EEEvPfS2_PT_PKS3_PKT0_S9_ifPKiSB_iPKfiiiSD_SD_iiiii.has_indirect_call, 0
	.section	.AMDGPU.csdata,"",@progbits
; Function info:
; codeLenInByte = 68852
; TotalNumSgprs: 35
; NumVgprs: 128
; ScratchSize: 1252
; MemoryBound: 0
	.section	.text._ZN4vllm25paged_attention_v2_kernelIfhLi112ELi32ELi128ELNS_18Fp8KVCacheDataTypeE1ELb0ELi512EEEvPfS2_PT_PKS3_PKT0_S9_ifPKiSB_iPKfiiiSD_SD_iiiii,"axG",@progbits,_ZN4vllm25paged_attention_v2_kernelIfhLi112ELi32ELi128ELNS_18Fp8KVCacheDataTypeE1ELb0ELi512EEEvPfS2_PT_PKS3_PKT0_S9_ifPKiSB_iPKfiiiSD_SD_iiiii,comdat
	.protected	_ZN4vllm25paged_attention_v2_kernelIfhLi112ELi32ELi128ELNS_18Fp8KVCacheDataTypeE1ELb0ELi512EEEvPfS2_PT_PKS3_PKT0_S9_ifPKiSB_iPKfiiiSD_SD_iiiii ; -- Begin function _ZN4vllm25paged_attention_v2_kernelIfhLi112ELi32ELi128ELNS_18Fp8KVCacheDataTypeE1ELb0ELi512EEEvPfS2_PT_PKS3_PKT0_S9_ifPKiSB_iPKfiiiSD_SD_iiiii
	.globl	_ZN4vllm25paged_attention_v2_kernelIfhLi112ELi32ELi128ELNS_18Fp8KVCacheDataTypeE1ELb0ELi512EEEvPfS2_PT_PKS3_PKT0_S9_ifPKiSB_iPKfiiiSD_SD_iiiii
	.p2align	8
	.type	_ZN4vllm25paged_attention_v2_kernelIfhLi112ELi32ELi128ELNS_18Fp8KVCacheDataTypeE1ELb0ELi512EEEvPfS2_PT_PKS3_PKT0_S9_ifPKiSB_iPKfiiiSD_SD_iiiii,@function
_ZN4vllm25paged_attention_v2_kernelIfhLi112ELi32ELi128ELNS_18Fp8KVCacheDataTypeE1ELb0ELi512EEEvPfS2_PT_PKS3_PKT0_S9_ifPKiSB_iPKfiiiSD_SD_iiiii: ; @_ZN4vllm25paged_attention_v2_kernelIfhLi112ELi32ELi128ELNS_18Fp8KVCacheDataTypeE1ELb0ELi512EEEvPfS2_PT_PKS3_PKT0_S9_ifPKiSB_iPKfiiiSD_SD_iiiii
; %bb.0:
	s_clause 0x5
	s_load_dwordx8 s[24:31], s[4:5], 0x0
	s_load_dwordx8 s[16:23], s[4:5], 0x20
	s_load_dwordx2 s[10:11], s[4:5], 0x40
	s_load_dwordx2 s[34:35], s[4:5], 0x50
	s_load_dword s13, s[4:5], 0x48
	s_load_dwordx8 s[36:43], s[4:5], 0x58
	s_add_u32 s0, s0, s9
	s_addc_u32 s1, s1, 0
	v_mov_b32_e32 v31, v0
	s_mov_b32 s14, s8
	s_add_u32 s8, s4, 0x90
	s_addc_u32 s9, s5, 0
	s_getpc_b64 s[4:5]
	s_add_u32 s4, s4, _ZN4vllm22paged_attention_kernelIfhLi112ELi32ELi128ELNS_18Fp8KVCacheDataTypeE1ELb0ELi512EEEvPfS2_PT_PKS3_PKT0_S9_ifPKiSB_iPKfiiiSD_SD_iiiii@rel32@lo+4
	s_addc_u32 s5, s5, _ZN4vllm22paged_attention_kernelIfhLi112ELi32ELi128ELNS_18Fp8KVCacheDataTypeE1ELb0ELi512EEEvPfS2_PT_PKS3_PKT0_S9_ifPKiSB_iPKfiiiSD_SD_iiiii@rel32@hi+12
	s_mov_b32 s12, s6
	s_mov_b32 s15, 16
	;; [unrolled: 1-line block ×3, first 2 shown]
	s_waitcnt lgkmcnt(0)
	v_mov_b32_e32 v0, s24
	v_mov_b32_e32 v1, s25
	;; [unrolled: 1-line block ×28, first 2 shown]
	s_mov_b32 s13, s7
	s_swappc_b64 s[30:31], s[4:5]
	s_endpgm
	.section	.rodata,"a",@progbits
	.p2align	6, 0x0
	.amdhsa_kernel _ZN4vllm25paged_attention_v2_kernelIfhLi112ELi32ELi128ELNS_18Fp8KVCacheDataTypeE1ELb0ELi512EEEvPfS2_PT_PKS3_PKT0_S9_ifPKiSB_iPKfiiiSD_SD_iiiii
		.amdhsa_group_segment_fixed_size 480
		.amdhsa_private_segment_fixed_size 1252
		.amdhsa_kernarg_size 400
		.amdhsa_user_sgpr_count 6
		.amdhsa_user_sgpr_private_segment_buffer 1
		.amdhsa_user_sgpr_dispatch_ptr 0
		.amdhsa_user_sgpr_queue_ptr 0
		.amdhsa_user_sgpr_kernarg_segment_ptr 1
		.amdhsa_user_sgpr_dispatch_id 0
		.amdhsa_user_sgpr_flat_scratch_init 0
		.amdhsa_user_sgpr_private_segment_size 0
		.amdhsa_wavefront_size32 1
		.amdhsa_uses_dynamic_stack 0
		.amdhsa_system_sgpr_private_segment_wavefront_offset 1
		.amdhsa_system_sgpr_workgroup_id_x 1
		.amdhsa_system_sgpr_workgroup_id_y 1
		.amdhsa_system_sgpr_workgroup_id_z 1
		.amdhsa_system_sgpr_workgroup_info 0
		.amdhsa_system_vgpr_workitem_id 0
		.amdhsa_next_free_vgpr 128
		.amdhsa_next_free_sgpr 44
		.amdhsa_reserve_vcc 1
		.amdhsa_reserve_flat_scratch 0
		.amdhsa_float_round_mode_32 0
		.amdhsa_float_round_mode_16_64 0
		.amdhsa_float_denorm_mode_32 3
		.amdhsa_float_denorm_mode_16_64 3
		.amdhsa_dx10_clamp 1
		.amdhsa_ieee_mode 1
		.amdhsa_fp16_overflow 0
		.amdhsa_workgroup_processor_mode 1
		.amdhsa_memory_ordered 1
		.amdhsa_forward_progress 1
		.amdhsa_shared_vgpr_count 0
		.amdhsa_exception_fp_ieee_invalid_op 0
		.amdhsa_exception_fp_denorm_src 0
		.amdhsa_exception_fp_ieee_div_zero 0
		.amdhsa_exception_fp_ieee_overflow 0
		.amdhsa_exception_fp_ieee_underflow 0
		.amdhsa_exception_fp_ieee_inexact 0
		.amdhsa_exception_int_div_zero 0
	.end_amdhsa_kernel
	.section	.text._ZN4vllm25paged_attention_v2_kernelIfhLi112ELi32ELi128ELNS_18Fp8KVCacheDataTypeE1ELb0ELi512EEEvPfS2_PT_PKS3_PKT0_S9_ifPKiSB_iPKfiiiSD_SD_iiiii,"axG",@progbits,_ZN4vllm25paged_attention_v2_kernelIfhLi112ELi32ELi128ELNS_18Fp8KVCacheDataTypeE1ELb0ELi512EEEvPfS2_PT_PKS3_PKT0_S9_ifPKiSB_iPKfiiiSD_SD_iiiii,comdat
.Lfunc_end252:
	.size	_ZN4vllm25paged_attention_v2_kernelIfhLi112ELi32ELi128ELNS_18Fp8KVCacheDataTypeE1ELb0ELi512EEEvPfS2_PT_PKS3_PKT0_S9_ifPKiSB_iPKfiiiSD_SD_iiiii, .Lfunc_end252-_ZN4vllm25paged_attention_v2_kernelIfhLi112ELi32ELi128ELNS_18Fp8KVCacheDataTypeE1ELb0ELi512EEEvPfS2_PT_PKS3_PKT0_S9_ifPKiSB_iPKfiiiSD_SD_iiiii
                                        ; -- End function
	.set _ZN4vllm25paged_attention_v2_kernelIfhLi112ELi32ELi128ELNS_18Fp8KVCacheDataTypeE1ELb0ELi512EEEvPfS2_PT_PKS3_PKT0_S9_ifPKiSB_iPKfiiiSD_SD_iiiii.num_vgpr, max(32, .L_ZN4vllm22paged_attention_kernelIfhLi112ELi32ELi128ELNS_18Fp8KVCacheDataTypeE1ELb0ELi512EEEvPfS2_PT_PKS3_PKT0_S9_ifPKiSB_iPKfiiiSD_SD_iiiii.num_vgpr)
	.set _ZN4vllm25paged_attention_v2_kernelIfhLi112ELi32ELi128ELNS_18Fp8KVCacheDataTypeE1ELb0ELi512EEEvPfS2_PT_PKS3_PKT0_S9_ifPKiSB_iPKfiiiSD_SD_iiiii.num_agpr, max(0, .L_ZN4vllm22paged_attention_kernelIfhLi112ELi32ELi128ELNS_18Fp8KVCacheDataTypeE1ELb0ELi512EEEvPfS2_PT_PKS3_PKT0_S9_ifPKiSB_iPKfiiiSD_SD_iiiii.num_agpr)
	.set _ZN4vllm25paged_attention_v2_kernelIfhLi112ELi32ELi128ELNS_18Fp8KVCacheDataTypeE1ELb0ELi512EEEvPfS2_PT_PKS3_PKT0_S9_ifPKiSB_iPKfiiiSD_SD_iiiii.numbered_sgpr, max(44, .L_ZN4vllm22paged_attention_kernelIfhLi112ELi32ELi128ELNS_18Fp8KVCacheDataTypeE1ELb0ELi512EEEvPfS2_PT_PKS3_PKT0_S9_ifPKiSB_iPKfiiiSD_SD_iiiii.numbered_sgpr)
	.set _ZN4vllm25paged_attention_v2_kernelIfhLi112ELi32ELi128ELNS_18Fp8KVCacheDataTypeE1ELb0ELi512EEEvPfS2_PT_PKS3_PKT0_S9_ifPKiSB_iPKfiiiSD_SD_iiiii.num_named_barrier, max(0, .L_ZN4vllm22paged_attention_kernelIfhLi112ELi32ELi128ELNS_18Fp8KVCacheDataTypeE1ELb0ELi512EEEvPfS2_PT_PKS3_PKT0_S9_ifPKiSB_iPKfiiiSD_SD_iiiii.num_named_barrier)
	.set _ZN4vllm25paged_attention_v2_kernelIfhLi112ELi32ELi128ELNS_18Fp8KVCacheDataTypeE1ELb0ELi512EEEvPfS2_PT_PKS3_PKT0_S9_ifPKiSB_iPKfiiiSD_SD_iiiii.private_seg_size, 0+max(.L_ZN4vllm22paged_attention_kernelIfhLi112ELi32ELi128ELNS_18Fp8KVCacheDataTypeE1ELb0ELi512EEEvPfS2_PT_PKS3_PKT0_S9_ifPKiSB_iPKfiiiSD_SD_iiiii.private_seg_size)
	.set _ZN4vllm25paged_attention_v2_kernelIfhLi112ELi32ELi128ELNS_18Fp8KVCacheDataTypeE1ELb0ELi512EEEvPfS2_PT_PKS3_PKT0_S9_ifPKiSB_iPKfiiiSD_SD_iiiii.uses_vcc, or(1, .L_ZN4vllm22paged_attention_kernelIfhLi112ELi32ELi128ELNS_18Fp8KVCacheDataTypeE1ELb0ELi512EEEvPfS2_PT_PKS3_PKT0_S9_ifPKiSB_iPKfiiiSD_SD_iiiii.uses_vcc)
	.set _ZN4vllm25paged_attention_v2_kernelIfhLi112ELi32ELi128ELNS_18Fp8KVCacheDataTypeE1ELb0ELi512EEEvPfS2_PT_PKS3_PKT0_S9_ifPKiSB_iPKfiiiSD_SD_iiiii.uses_flat_scratch, or(0, .L_ZN4vllm22paged_attention_kernelIfhLi112ELi32ELi128ELNS_18Fp8KVCacheDataTypeE1ELb0ELi512EEEvPfS2_PT_PKS3_PKT0_S9_ifPKiSB_iPKfiiiSD_SD_iiiii.uses_flat_scratch)
	.set _ZN4vllm25paged_attention_v2_kernelIfhLi112ELi32ELi128ELNS_18Fp8KVCacheDataTypeE1ELb0ELi512EEEvPfS2_PT_PKS3_PKT0_S9_ifPKiSB_iPKfiiiSD_SD_iiiii.has_dyn_sized_stack, or(0, .L_ZN4vllm22paged_attention_kernelIfhLi112ELi32ELi128ELNS_18Fp8KVCacheDataTypeE1ELb0ELi512EEEvPfS2_PT_PKS3_PKT0_S9_ifPKiSB_iPKfiiiSD_SD_iiiii.has_dyn_sized_stack)
	.set _ZN4vllm25paged_attention_v2_kernelIfhLi112ELi32ELi128ELNS_18Fp8KVCacheDataTypeE1ELb0ELi512EEEvPfS2_PT_PKS3_PKT0_S9_ifPKiSB_iPKfiiiSD_SD_iiiii.has_recursion, or(0, .L_ZN4vllm22paged_attention_kernelIfhLi112ELi32ELi128ELNS_18Fp8KVCacheDataTypeE1ELb0ELi512EEEvPfS2_PT_PKS3_PKT0_S9_ifPKiSB_iPKfiiiSD_SD_iiiii.has_recursion)
	.set _ZN4vllm25paged_attention_v2_kernelIfhLi112ELi32ELi128ELNS_18Fp8KVCacheDataTypeE1ELb0ELi512EEEvPfS2_PT_PKS3_PKT0_S9_ifPKiSB_iPKfiiiSD_SD_iiiii.has_indirect_call, or(0, .L_ZN4vllm22paged_attention_kernelIfhLi112ELi32ELi128ELNS_18Fp8KVCacheDataTypeE1ELb0ELi512EEEvPfS2_PT_PKS3_PKT0_S9_ifPKiSB_iPKfiiiSD_SD_iiiii.has_indirect_call)
	.section	.AMDGPU.csdata,"",@progbits
; Kernel info:
; codeLenInByte = 240
; TotalNumSgprs: 46
; NumVgprs: 128
; ScratchSize: 1252
; MemoryBound: 0
; FloatMode: 240
; IeeeMode: 1
; LDSByteSize: 480 bytes/workgroup (compile time only)
; SGPRBlocks: 0
; VGPRBlocks: 15
; NumSGPRsForWavesPerEU: 46
; NumVGPRsForWavesPerEU: 128
; Occupancy: 8
; WaveLimiterHint : 1
; COMPUTE_PGM_RSRC2:SCRATCH_EN: 1
; COMPUTE_PGM_RSRC2:USER_SGPR: 6
; COMPUTE_PGM_RSRC2:TRAP_HANDLER: 0
; COMPUTE_PGM_RSRC2:TGID_X_EN: 1
; COMPUTE_PGM_RSRC2:TGID_Y_EN: 1
; COMPUTE_PGM_RSRC2:TGID_Z_EN: 1
; COMPUTE_PGM_RSRC2:TIDIG_COMP_CNT: 0
	.text
	.p2align	2                               ; -- Begin function _ZN4vllm22paged_attention_kernelIfhLi120ELi32ELi128ELNS_18Fp8KVCacheDataTypeE1ELb0ELi512EEEvPfS2_PT_PKS3_PKT0_S9_ifPKiSB_iPKfiiiSD_SD_iiiii
	.type	_ZN4vllm22paged_attention_kernelIfhLi120ELi32ELi128ELNS_18Fp8KVCacheDataTypeE1ELb0ELi512EEEvPfS2_PT_PKS3_PKT0_S9_ifPKiSB_iPKfiiiSD_SD_iiiii,@function
_ZN4vllm22paged_attention_kernelIfhLi120ELi32ELi128ELNS_18Fp8KVCacheDataTypeE1ELb0ELi512EEEvPfS2_PT_PKS3_PKT0_S9_ifPKiSB_iPKfiiiSD_SD_iiiii: ; @_ZN4vllm22paged_attention_kernelIfhLi120ELi32ELi128ELNS_18Fp8KVCacheDataTypeE1ELb0ELi512EEEvPfS2_PT_PKS3_PKT0_S9_ifPKiSB_iPKfiiiSD_SD_iiiii
; %bb.0:
	s_waitcnt vmcnt(0) expcnt(0) lgkmcnt(0)
	buffer_store_dword v40, off, s[0:3], s32 offset:188 ; 4-byte Folded Spill
	buffer_store_dword v41, off, s[0:3], s32 offset:184 ; 4-byte Folded Spill
	buffer_store_dword v42, off, s[0:3], s32 offset:180 ; 4-byte Folded Spill
	buffer_store_dword v43, off, s[0:3], s32 offset:176 ; 4-byte Folded Spill
	buffer_store_dword v44, off, s[0:3], s32 offset:172 ; 4-byte Folded Spill
	buffer_store_dword v45, off, s[0:3], s32 offset:168 ; 4-byte Folded Spill
	buffer_store_dword v46, off, s[0:3], s32 offset:164 ; 4-byte Folded Spill
	buffer_store_dword v47, off, s[0:3], s32 offset:160 ; 4-byte Folded Spill
	buffer_store_dword v56, off, s[0:3], s32 offset:156 ; 4-byte Folded Spill
	buffer_store_dword v57, off, s[0:3], s32 offset:152 ; 4-byte Folded Spill
	buffer_store_dword v58, off, s[0:3], s32 offset:148 ; 4-byte Folded Spill
	buffer_store_dword v59, off, s[0:3], s32 offset:144 ; 4-byte Folded Spill
	buffer_store_dword v60, off, s[0:3], s32 offset:140 ; 4-byte Folded Spill
	buffer_store_dword v61, off, s[0:3], s32 offset:136 ; 4-byte Folded Spill
	buffer_store_dword v62, off, s[0:3], s32 offset:132 ; 4-byte Folded Spill
	buffer_store_dword v63, off, s[0:3], s32 offset:128 ; 4-byte Folded Spill
	buffer_store_dword v72, off, s[0:3], s32 offset:124 ; 4-byte Folded Spill
	buffer_store_dword v73, off, s[0:3], s32 offset:120 ; 4-byte Folded Spill
	buffer_store_dword v74, off, s[0:3], s32 offset:116 ; 4-byte Folded Spill
	buffer_store_dword v75, off, s[0:3], s32 offset:112 ; 4-byte Folded Spill
	buffer_store_dword v76, off, s[0:3], s32 offset:108 ; 4-byte Folded Spill
	buffer_store_dword v77, off, s[0:3], s32 offset:104 ; 4-byte Folded Spill
	buffer_store_dword v78, off, s[0:3], s32 offset:100 ; 4-byte Folded Spill
	buffer_store_dword v79, off, s[0:3], s32 offset:96 ; 4-byte Folded Spill
	buffer_store_dword v88, off, s[0:3], s32 offset:92 ; 4-byte Folded Spill
	buffer_store_dword v89, off, s[0:3], s32 offset:88 ; 4-byte Folded Spill
	buffer_store_dword v90, off, s[0:3], s32 offset:84 ; 4-byte Folded Spill
	buffer_store_dword v91, off, s[0:3], s32 offset:80 ; 4-byte Folded Spill
	buffer_store_dword v92, off, s[0:3], s32 offset:76 ; 4-byte Folded Spill
	buffer_store_dword v93, off, s[0:3], s32 offset:72 ; 4-byte Folded Spill
	buffer_store_dword v94, off, s[0:3], s32 offset:68 ; 4-byte Folded Spill
	buffer_store_dword v95, off, s[0:3], s32 offset:64 ; 4-byte Folded Spill
	buffer_store_dword v104, off, s[0:3], s32 offset:60 ; 4-byte Folded Spill
	buffer_store_dword v105, off, s[0:3], s32 offset:56 ; 4-byte Folded Spill
	buffer_store_dword v106, off, s[0:3], s32 offset:52 ; 4-byte Folded Spill
	buffer_store_dword v107, off, s[0:3], s32 offset:48 ; 4-byte Folded Spill
	buffer_store_dword v108, off, s[0:3], s32 offset:44 ; 4-byte Folded Spill
	buffer_store_dword v109, off, s[0:3], s32 offset:40 ; 4-byte Folded Spill
	buffer_store_dword v110, off, s[0:3], s32 offset:36 ; 4-byte Folded Spill
	buffer_store_dword v111, off, s[0:3], s32 offset:32 ; 4-byte Folded Spill
	buffer_store_dword v120, off, s[0:3], s32 offset:28 ; 4-byte Folded Spill
	buffer_store_dword v121, off, s[0:3], s32 offset:24 ; 4-byte Folded Spill
	buffer_store_dword v122, off, s[0:3], s32 offset:20 ; 4-byte Folded Spill
	buffer_store_dword v123, off, s[0:3], s32 offset:16 ; 4-byte Folded Spill
	buffer_store_dword v124, off, s[0:3], s32 offset:12 ; 4-byte Folded Spill
	buffer_store_dword v125, off, s[0:3], s32 offset:8 ; 4-byte Folded Spill
	buffer_store_dword v126, off, s[0:3], s32 offset:4 ; 4-byte Folded Spill
	buffer_store_dword v127, off, s[0:3], s32 ; 4-byte Folded Spill
	s_mov_b32 s18, s13
	s_ashr_i32 s19, s13, 31
	buffer_store_dword v24, off, s[0:3], s32 offset:800 ; 4-byte Folded Spill
	buffer_store_dword v25, off, s[0:3], s32 offset:804 ; 4-byte Folded Spill
	;; [unrolled: 1-line block ×6, first 2 shown]
	s_lshl_b64 s[4:5], s[18:19], 2
	v_mov_b32_e32 v24, v0
	v_add_co_u32 v0, vcc_lo, v16, s4
	v_mov_b32_e32 v22, v1
	v_add_co_ci_u32_e64 v1, null, s5, v17, vcc_lo
	v_mov_b32_e32 v25, v3
	v_mov_b32_e32 v28, v2
	s_lshl_b32 s20, s14, 9
	flat_load_dword v32, v[0:1]
	s_mov_b32 s19, exec_lo
	s_waitcnt vmcnt(0) lgkmcnt(0)
	v_cmpx_lt_i32_e64 s20, v32
	s_cbranch_execz .LBB253_2084
; %bb.1:
	v_sub_nc_u32_e32 v0, 0, v12
	s_clause 0x1
	s_load_dword s4, s[8:9], 0x10
	s_load_dword s5, s[8:9], 0x0
	s_mov_b32 s16, s15
	v_max_i32_e32 v0, v12, v0
	v_cvt_f32_u32_e32 v1, v0
	v_sub_nc_u32_e32 v2, 0, v0
	v_rcp_iflag_f32_e32 v1, v1
	s_waitcnt lgkmcnt(0)
	s_lshr_b32 s4, s4, 16
	s_cmp_lg_u32 s4, 0
	s_cselect_b32 s4, -1, 0
	v_mul_f32_e32 v1, 0x4f7ffffe, v1
	s_cmp_lg_u32 s4, 0
	s_addc_u32 s15, s5, 0
	s_mov_b32 s5, exec_lo
	v_cvt_u32_f32_e32 v1, v1
	s_abs_i32 s4, s15
	v_mul_lo_u32 v2, v2, v1
	v_mul_hi_u32 v2, v1, v2
	v_add_nc_u32_e32 v1, v1, v2
	v_mul_hi_u32 v1, s4, v1
	v_mul_lo_u32 v2, v1, v0
	v_add_nc_u32_e32 v3, 1, v1
	v_sub_nc_u32_e32 v2, s4, v2
	s_abs_i32 s4, s12
	v_sub_nc_u32_e32 v4, v2, v0
	v_cmp_ge_u32_e32 vcc_lo, v2, v0
	v_cndmask_b32_e32 v1, v1, v3, vcc_lo
	v_cndmask_b32_e32 v2, v2, v4, vcc_lo
	v_xor_b32_e32 v3, s15, v12
	v_add_nc_u32_e32 v4, 1, v1
	v_cmp_ge_u32_e32 vcc_lo, v2, v0
	v_ashrrev_i32_e32 v3, 31, v3
	v_cndmask_b32_e32 v0, v1, v4, vcc_lo
	v_xor_b32_e32 v0, v0, v3
	v_sub_nc_u32_e32 v3, v0, v3
	v_sub_nc_u32_e32 v0, 0, v3
	v_max_i32_e32 v2, v3, v0
	v_cvt_f32_u32_e32 v0, v2
	v_sub_nc_u32_e32 v1, 0, v2
	v_rcp_iflag_f32_e32 v0, v0
	v_mul_f32_e32 v0, 0x4f7ffffe, v0
	v_cvt_u32_f32_e32 v0, v0
	v_mul_lo_u32 v1, v1, v0
	v_mul_hi_u32 v1, v0, v1
	v_add_nc_u32_e32 v0, v0, v1
	v_mad_u64_u32 v[0:1], null, s4, v0, 0
	v_mov_b32_e32 v0, 0
	buffer_store_dword v0, off, s[0:3], s32 offset:812 ; 4-byte Folded Spill
	v_cmpx_ne_u64_e32 0, v[19:20]
	s_cbranch_execz .LBB253_3
; %bb.2:
	s_ashr_i32 s13, s12, 31
	s_lshl_b64 s[6:7], s[12:13], 2
	v_add_co_u32 v4, vcc_lo, v19, s6
	v_add_co_ci_u32_e64 v5, null, s7, v20, vcc_lo
	flat_load_dword v0, v[4:5]
	s_waitcnt vmcnt(0) lgkmcnt(0)
	buffer_store_dword v0, off, s[0:3], s32 offset:812 ; 4-byte Folded Spill
.LBB253_3:
	s_or_b32 exec_lo, exec_lo, s5
	v_and_b32_e32 v12, 0x3ff, v31
	v_ashrrev_i32_e32 v0, 31, v3
	s_ashr_i32 s5, s12, 31
	s_mul_i32 s10, s12, 0x78
	s_mov_b32 s6, exec_lo
	v_cmpx_gt_u32_e32 30, v12
	s_cbranch_execz .LBB253_5
; %bb.4:
	v_mul_lo_u32 v3, v21, s18
	s_ashr_i32 s11, s10, 31
	v_lshlrev_b32_e32 v13, 4, v12
	s_lshl_b64 s[22:23], s[10:11], 2
	v_ashrrev_i32_e32 v4, 31, v3
	v_lshlrev_b64 v[3:4], 2, v[3:4]
	v_add_co_u32 v3, vcc_lo, v6, v3
	v_add_co_ci_u32_e64 v4, null, v7, v4, vcc_lo
	v_add_co_u32 v3, vcc_lo, v3, s22
	v_add_co_ci_u32_e64 v4, null, s23, v4, vcc_lo
	;; [unrolled: 2-line block ×3, first 2 shown]
	flat_load_dwordx4 v[3:6], v[3:4]
	s_waitcnt vmcnt(0) lgkmcnt(0)
	ds_write_b128 v13, v[3:6]
.LBB253_5:
	s_or_b32 exec_lo, exec_lo, s6
	v_mul_lo_u32 v3, v1, v2
	v_add_nc_u32_e32 v4, 1, v1
	v_add_nc_u32_e32 v5, 31, v32
	v_xor_b32_e32 v7, s5, v0
	s_lshl_b32 s6, s14, 4
	s_clause 0x1
	s_load_dword s7, s[8:9], 0x14
	s_load_dword s8, s[8:9], 0x8
	buffer_store_dword v12, off, s[0:3], s32 offset:1304 ; 4-byte Folded Spill
	v_mul_lo_u32 v0, v18, s18
	v_sub_nc_u32_e32 v3, s4, v3
	s_add_i32 s4, s6, 16
	v_sub_nc_u32_e32 v6, v3, v2
	v_cmp_ge_u32_e32 vcc_lo, v3, v2
	v_cndmask_b32_e32 v1, v1, v4, vcc_lo
	v_cndmask_b32_e32 v3, v3, v6, vcc_lo
	v_ashrrev_i32_e32 v4, 31, v5
	v_add_nc_u32_e32 v6, 1, v1
	v_cmp_ge_u32_e32 vcc_lo, v3, v2
	v_lshrrev_b32_e32 v4, 27, v4
	v_cndmask_b32_e32 v1, v1, v6, vcc_lo
	v_add_nc_u32_e32 v2, v5, v4
	v_lshrrev_b32_e32 v4, 5, v12
	v_and_b32_e32 v6, 31, v12
	v_mov_b32_e32 v5, 0xff7fffff
	v_xor_b32_e32 v1, v1, v7
	v_ashrrev_i32_e32 v16, 5, v2
	v_add_nc_u32_e32 v2, s6, v4
	buffer_store_dword v4, off, s[0:3], s32 offset:1308 ; 4-byte Folded Spill
	v_lshlrev_b32_e32 v19, 2, v6
	v_sub_nc_u32_e32 v3, v1, v7
	v_min_i32_e32 v4, s4, v16
	v_ashrrev_i32_e32 v1, 31, v0
	v_mul_lo_u32 v17, v3, v23
	v_ashrrev_i32_e32 v3, 31, v2
	v_cmp_ge_i32_e64 s4, v2, v4
	buffer_store_dword v2, off, s[0:3], s32 offset:192 ; 4-byte Folded Spill
	buffer_store_dword v3, off, s[0:3], s32 offset:196 ; 4-byte Folded Spill
	;; [unrolled: 1-line block ×3, first 2 shown]
	v_lshlrev_b64 v[12:13], 2, v[0:1]
	v_ashrrev_i32_e32 v18, 31, v17
	s_waitcnt lgkmcnt(0)
	s_waitcnt_vscnt null, 0x0
	s_barrier
	buffer_gl0_inv
	v_cmp_lt_i32_e32 vcc_lo, v2, v4
	s_mov_b32 s9, exec_lo
	s_and_b32 s5, s9, vcc_lo
	buffer_store_dword v6, off, s[0:3], s32 offset:1320 ; 4-byte Folded Spill
	s_mov_b32 exec_lo, s5
	s_cbranch_execz .LBB253_969
; %bb.6:
	v_add_co_u32 v0, vcc_lo, v8, v17
	v_lshlrev_b32_e32 v2, 4, v6
	v_add_co_ci_u32_e64 v1, null, v9, v18, vcc_lo
	buffer_store_dword v16, off, s[0:3], s32 offset:1372 ; 4-byte Folded Spill
	buffer_store_dword v28, off, s[0:3], s32 offset:1360 ; 4-byte Folded Spill
	buffer_store_dword v25, off, s[0:3], s32 offset:1356 ; 4-byte Folded Spill
	buffer_store_dword v24, off, s[0:3], s32 offset:1352 ; 4-byte Folded Spill
	buffer_store_dword v22, off, s[0:3], s32 offset:1348 ; 4-byte Folded Spill
	buffer_store_dword v10, off, s[0:3], s32 offset:1344 ; 4-byte Folded Spill
	buffer_store_dword v11, off, s[0:3], s32 offset:1340 ; 4-byte Folded Spill
	buffer_store_dword v26, off, s[0:3], s32 offset:1332 ; 4-byte Folded Spill
	buffer_store_dword v27, off, s[0:3], s32 offset:1336 ; 4-byte Folded Spill
	buffer_store_dword v17, off, s[0:3], s32 offset:1376 ; 4-byte Folded Spill
	v_mov_b32_e32 v17, 0
	v_add_co_u32 v0, vcc_lo, v0, v2
	v_add_co_ci_u32_e64 v1, null, 0, v1, vcc_lo
	buffer_store_dword v18, off, s[0:3], s32 offset:1380 ; 4-byte Folded Spill
	buffer_store_dword v0, off, s[0:3], s32 offset:816 ; 4-byte Folded Spill
	;; [unrolled: 1-line block ×3, first 2 shown]
	ds_read_b128 v[0:3], v17
	s_ashr_i32 s17, s16, 31
	v_mov_b32_e32 v5, 0xff7fffff
	s_lshl_b64 s[22:23], s[16:17], 2
	s_getpc_b64 s[24:25]
	s_add_u32 s24, s24, llvm.amdgcn.dynlds.offset.table@rel32@lo+4
	s_addc_u32 s25, s25, llvm.amdgcn.dynlds.offset.table@rel32@hi+12
	s_add_u32 s22, s24, s22
	s_addc_u32 s23, s25, s23
	v_mov_b32_e32 v45, 0x80
	v_bfrev_b32_e32 v65, 1
	v_mov_b32_e32 v11, 0x7f800001
	s_mov_b32 s11, 0
	s_waitcnt lgkmcnt(0)
	buffer_store_dword v0, off, s[0:3], s32 offset:824 ; 4-byte Folded Spill
	buffer_store_dword v1, off, s[0:3], s32 offset:828 ; 4-byte Folded Spill
	buffer_store_dword v2, off, s[0:3], s32 offset:832 ; 4-byte Folded Spill
	buffer_store_dword v3, off, s[0:3], s32 offset:836 ; 4-byte Folded Spill
	ds_read_b128 v[0:3], v17 offset:16
	s_waitcnt lgkmcnt(0)
	buffer_store_dword v0, off, s[0:3], s32 offset:840 ; 4-byte Folded Spill
	buffer_store_dword v1, off, s[0:3], s32 offset:844 ; 4-byte Folded Spill
	buffer_store_dword v2, off, s[0:3], s32 offset:848 ; 4-byte Folded Spill
	buffer_store_dword v3, off, s[0:3], s32 offset:852 ; 4-byte Folded Spill
	ds_read_b128 v[0:3], v17 offset:32
	;; [unrolled: 6-line block ×24, first 2 shown]
	s_waitcnt lgkmcnt(0)
	buffer_store_dword v0, off, s[0:3], s32 offset:1208 ; 4-byte Folded Spill
	buffer_store_dword v1, off, s[0:3], s32 offset:1212 ; 4-byte Folded Spill
	;; [unrolled: 1-line block ×4, first 2 shown]
	buffer_load_dword v0, off, s[0:3], s32 offset:812 ; 4-byte Folded Reload
	s_waitcnt vmcnt(0)
	v_cmp_neq_f32_e32 vcc_lo, 0, v0
	ds_read_b128 v[0:3], v17 offset:400
	s_waitcnt lgkmcnt(0)
	buffer_store_dword v0, off, s[0:3], s32 offset:1224 ; 4-byte Folded Spill
	buffer_store_dword v1, off, s[0:3], s32 offset:1228 ; 4-byte Folded Spill
	buffer_store_dword v2, off, s[0:3], s32 offset:1232 ; 4-byte Folded Spill
	buffer_store_dword v3, off, s[0:3], s32 offset:1236 ; 4-byte Folded Spill
	ds_read_b128 v[0:3], v17 offset:416
	s_waitcnt lgkmcnt(0)
	buffer_store_dword v0, off, s[0:3], s32 offset:1240 ; 4-byte Folded Spill
	buffer_store_dword v1, off, s[0:3], s32 offset:1244 ; 4-byte Folded Spill
	buffer_store_dword v2, off, s[0:3], s32 offset:1248 ; 4-byte Folded Spill
	buffer_store_dword v3, off, s[0:3], s32 offset:1252 ; 4-byte Folded Spill
	;; [unrolled: 6-line block ×5, first 2 shown]
	s_load_dword s13, s[22:23], 0x0
	s_clause 0x1
	buffer_load_dword v2, off, s[0:3], s32 offset:192
	buffer_load_dword v3, off, s[0:3], s32 offset:196
	s_waitcnt vmcnt(1)
	v_mov_b32_e32 v116, v2
	s_waitcnt vmcnt(0)
	v_lshlrev_b64 v[0:1], 2, v[2:3]
	v_add_co_u32 v0, s5, v12, v0
	buffer_store_dword v12, off, s[0:3], s32 offset:1364 ; 4-byte Folded Spill
	buffer_store_dword v13, off, s[0:3], s32 offset:1368 ; 4-byte Folded Spill
	buffer_store_dword v15, off, s[0:3], s32 offset:1324 ; 4-byte Folded Spill
	buffer_store_dword v14, off, s[0:3], s32 offset:1328 ; 4-byte Folded Spill
	buffer_store_dword v19, off, s[0:3], s32 offset:1384 ; 4-byte Folded Spill
	v_add_co_ci_u32_e64 v1, null, v13, v1, s5
	v_add_co_u32 v3, s5, v14, v0
	v_add_co_ci_u32_e64 v4, null, v15, v1, s5
	buffer_load_dword v1, off, s[0:3], s32 offset:1308 ; 4-byte Folded Reload
	s_waitcnt vmcnt(0)
	v_lshlrev_b32_e32 v0, 5, v1
	v_add3_u32 v15, s20, v0, v6
	v_lshl_or_b32 v0, v1, 7, v19
	s_waitcnt lgkmcnt(0)
	v_add_nc_u32_e32 v72, s13, v0
	s_branch .LBB253_11
.LBB253_7:                              ;   in Loop: Header=BB253_11 Depth=1
	s_or_b32 exec_lo, exec_lo, s22
	v_mov_b32_e32 v5, 24
	v_lshlrev_b32_e32 v7, 20, v16
	v_lshl_add_u32 v4, v4, 23, 0x3c000000
	v_lshlrev_b32_sdwa v6, v5, v12 dst_sel:DWORD dst_unused:UNUSED_PAD src0_sel:DWORD src1_sel:BYTE_3
	v_and_b32_e32 v6, 0x80000000, v6
	v_or3_b32 v7, v7, v6, v4
	v_mov_b32_e32 v6, v17
.LBB253_8:                              ;   in Loop: Header=BB253_11 Depth=1
	s_or_b32 exec_lo, exec_lo, s21
.LBB253_9:                              ;   in Loop: Header=BB253_11 Depth=1
	s_or_b32 exec_lo, exec_lo, s17
	v_mov_b32_e32 v15, v18
	v_mov_b32_e32 v72, v33
	;; [unrolled: 1-line block ×3, first 2 shown]
.LBB253_10:                             ;   in Loop: Header=BB253_11 Depth=1
	s_or_b32 exec_lo, exec_lo, s13
	v_or_b32_e32 v1, v1, v31
	v_or_b32_e32 v12, v0, v30
	;; [unrolled: 1-line block ×5, first 2 shown]
	v_mul_f32_e32 v0, v19, v1
	v_or_b32_e32 v10, v22, v20
	v_or_b32_e32 v3, v3, v51
	;; [unrolled: 1-line block ×3, first 2 shown]
	v_mul_f32_e32 v4, v19, v4
	buffer_store_dword v0, off, s[0:3], s32 offset:760 ; 4-byte Folded Spill
	v_mul_f32_e32 v0, v19, v12
	v_or_b32_e32 v12, v123, v109
	v_mul_f32_e32 v50, v19, v3
	buffer_store_dword v4, off, s[0:3], s32 offset:756 ; 4-byte Folded Spill
	v_mul_f32_e32 v4, v19, v10
	buffer_store_dword v0, off, s[0:3], s32 offset:768 ; 4-byte Folded Spill
	v_mul_f32_e32 v0, v19, v12
	v_or_b32_e32 v12, v124, v8
	v_mul_f32_e32 v51, v19, v2
	buffer_store_dword v4, off, s[0:3], s32 offset:764 ; 4-byte Folded Spill
	v_or_b32_e32 v2, v7, v25
	buffer_store_dword v0, off, s[0:3], s32 offset:772 ; 4-byte Folded Spill
	v_mul_f32_e32 v0, v19, v13
	v_or_b32_e32 v13, v120, v92
	v_or_b32_e32 v3, v6, v24
	v_cmp_lt_i32_e64 s5, v15, v32
	v_add_nc_u32_e32 v116, 4, v116
	buffer_store_dword v0, off, s[0:3], s32 offset:780 ; 4-byte Folded Spill
	v_mul_f32_e32 v0, v19, v9
	v_mul_f32_e32 v25, v19, v3
	buffer_store_dword v0, off, s[0:3], s32 offset:776 ; 4-byte Folded Spill
	v_mul_f32_e32 v0, v19, v12
	v_or_b32_e32 v12, v121, v93
	buffer_store_dword v0, off, s[0:3], s32 offset:784 ; 4-byte Folded Spill
	v_mul_f32_e32 v0, v19, v12
	v_or_b32_e32 v12, v107, v127
	;; [unrolled: 3-line block ×3, first 2 shown]
	buffer_store_dword v0, off, s[0:3], s32 offset:796 ; 4-byte Folded Spill
	v_mul_f32_e32 v0, v19, v12
	v_mul_f32_e32 v30, v19, v13
	v_or_b32_e32 v12, v105, v77
	v_or_b32_e32 v13, v104, v76
	buffer_store_dword v0, off, s[0:3], s32 offset:792 ; 4-byte Folded Spill
	s_clause 0x3
	buffer_load_dword v0, off, s[0:3], s32 offset:712
	buffer_load_dword v1, off, s[0:3], s32 offset:716
	;; [unrolled: 1-line block ×4, first 2 shown]
	v_mul_f32_e32 v31, v19, v12
	v_mul_f32_e32 v77, v19, v13
	v_or_b32_e32 v12, v91, v111
	v_or_b32_e32 v13, v90, v110
	v_mul_f32_e32 v76, v19, v12
	v_mul_f32_e32 v90, v19, v13
	v_or_b32_e32 v12, v89, v61
	v_or_b32_e32 v13, v88, v60
	;; [unrolled: 4-line block ×17, first 2 shown]
	v_mul_f32_e32 v35, v19, v12
	v_mul_f32_e32 v36, v19, v13
	s_waitcnt vmcnt(1)
	v_or_b32_e32 v13, v4, v0
	s_waitcnt vmcnt(0)
	v_or_b32_e32 v12, v5, v1
	s_clause 0x1
	buffer_load_dword v0, off, s[0:3], s32 offset:728
	buffer_load_dword v1, off, s[0:3], s32 offset:732
	v_mul_f32_e32 v37, v19, v13
	v_mul_f32_e32 v14, v19, v12
	s_waitcnt vmcnt(1)
	v_or_b32_e32 v13, v28, v0
	s_waitcnt vmcnt(0)
	v_or_b32_e32 v12, v29, v1
	s_clause 0x3
	buffer_load_dword v0, off, s[0:3], s32 offset:680
	buffer_load_dword v1, off, s[0:3], s32 offset:684
	buffer_load_dword v4, off, s[0:3], s32 offset:688
	buffer_load_dword v5, off, s[0:3], s32 offset:692
	v_mul_f32_e32 v28, v19, v13
	v_mul_f32_e32 v16, v19, v12
	s_waitcnt vmcnt(1)
	v_or_b32_e32 v29, v4, v0
	s_waitcnt vmcnt(0)
	v_or_b32_e32 v12, v5, v1
	s_clause 0x3
	buffer_load_dword v0, off, s[0:3], s32 offset:696
	buffer_load_dword v1, off, s[0:3], s32 offset:700
	;; [unrolled: 11-line block ×32, first 2 shown]
	buffer_load_dword v4, off, s[0:3], s32 offset:224
	buffer_load_dword v5, off, s[0:3], s32 offset:228
	;; [unrolled: 1-line block ×3, first 2 shown]
	v_mul_f32_e32 v18, v19, v18
	v_mul_f32_e32 v9, v19, v12
	s_waitcnt vmcnt(2)
	v_or_b32_e32 v33, v0, v4
	s_waitcnt vmcnt(1)
	v_or_b32_e32 v12, v1, v5
	s_clause 0x3
	buffer_load_dword v4, off, s[0:3], s32 offset:840
	buffer_load_dword v5, off, s[0:3], s32 offset:844
	;; [unrolled: 1-line block ×4, first 2 shown]
	v_mul_f32_e32 v33, v19, v33
	v_mul_f32_e32 v44, v19, v12
	v_sub_nc_u32_e32 v12, 1, v32
	v_add_nc_u32_e32 v12, v12, v15
	v_add_nc_u32_e32 v15, 0x80, v15
	v_cvt_f32_i32_e32 v12, v12
	s_waitcnt vmcnt(4)
	v_mul_f32_e32 v12, v10, v12
	v_mul_f32_e32 v10, v19, v2
	s_clause 0x3
	buffer_load_dword v0, off, s[0:3], s32 offset:824
	buffer_load_dword v1, off, s[0:3], s32 offset:828
	;; [unrolled: 1-line block ×4, first 2 shown]
	v_cndmask_b32_e32 v12, 0, v12, vcc_lo
	s_waitcnt vmcnt(7)
	v_mul_f32_e32 v126, v4, v126
	s_waitcnt vmcnt(5)
	v_mul_f32_e32 v19, v6, v26
	;; [unrolled: 2-line block ×3, first 2 shown]
	s_waitcnt vmcnt(3)
	v_fmac_f32_e32 v126, v0, v18
	v_mul_f32_e32 v0, v5, v127
	s_waitcnt vmcnt(1)
	v_fmac_f32_e32 v19, v2, v33
	s_waitcnt vmcnt(0)
	v_fmac_f32_e32 v24, v3, v44
	v_fmac_f32_e32 v0, v1, v9
	s_clause 0x3
	buffer_load_dword v1, off, s[0:3], s32 offset:856
	buffer_load_dword v2, off, s[0:3], s32 offset:860
	buffer_load_dword v3, off, s[0:3], s32 offset:864
	buffer_load_dword v4, off, s[0:3], s32 offset:868
	s_waitcnt vmcnt(3)
	v_fmac_f32_e32 v126, v1, v122
	s_waitcnt vmcnt(2)
	v_fmac_f32_e32 v0, v2, v123
	s_waitcnt vmcnt(1)
	v_fmac_f32_e32 v19, v3, v124
	s_waitcnt vmcnt(0)
	v_fmac_f32_e32 v24, v4, v125
	s_clause 0x3
	buffer_load_dword v1, off, s[0:3], s32 offset:872
	buffer_load_dword v2, off, s[0:3], s32 offset:876
	buffer_load_dword v3, off, s[0:3], s32 offset:880
	buffer_load_dword v4, off, s[0:3], s32 offset:884
	s_waitcnt vmcnt(3)
	v_fmac_f32_e32 v126, v1, v110
	s_waitcnt vmcnt(2)
	v_fmac_f32_e32 v0, v2, v111
	s_waitcnt vmcnt(1)
	v_fmac_f32_e32 v19, v3, v120
	s_waitcnt vmcnt(0)
	;; [unrolled: 13-line block ×24, first 2 shown]
	v_fmac_f32_e32 v24, v4, v76
	s_clause 0x4
	buffer_load_dword v1, off, s[0:3], s32 offset:1240
	buffer_load_dword v2, off, s[0:3], s32 offset:1244
	;; [unrolled: 1-line block ×5, first 2 shown]
	s_waitcnt vmcnt(2)
	v_fmac_f32_e32 v19, v3, v30
	s_waitcnt vmcnt(0)
	v_fmac_f32_e32 v126, v1, v5
	buffer_load_dword v1, off, s[0:3], s32 offset:788 ; 4-byte Folded Reload
	s_waitcnt vmcnt(0)
	v_fmac_f32_e32 v0, v2, v1
	buffer_load_dword v1, off, s[0:3], s32 offset:792 ; 4-byte Folded Reload
	s_waitcnt vmcnt(0)
	v_fmac_f32_e32 v24, v4, v1
	s_clause 0x4
	buffer_load_dword v1, off, s[0:3], s32 offset:1256
	buffer_load_dword v2, off, s[0:3], s32 offset:1260
	buffer_load_dword v3, off, s[0:3], s32 offset:1264
	buffer_load_dword v4, off, s[0:3], s32 offset:1268
	buffer_load_dword v5, off, s[0:3], s32 offset:780
	s_waitcnt vmcnt(0)
	v_fmac_f32_e32 v126, v1, v5
	buffer_load_dword v1, off, s[0:3], s32 offset:772 ; 4-byte Folded Reload
	s_waitcnt vmcnt(0)
	v_fmac_f32_e32 v0, v2, v1
	buffer_load_dword v1, off, s[0:3], s32 offset:784 ; 4-byte Folded Reload
	s_waitcnt vmcnt(0)
	v_fmac_f32_e32 v19, v3, v1
	buffer_load_dword v1, off, s[0:3], s32 offset:776 ; 4-byte Folded Reload
	s_waitcnt vmcnt(0)
	v_fmac_f32_e32 v24, v4, v1
	s_clause 0x4
	buffer_load_dword v1, off, s[0:3], s32 offset:1272
	buffer_load_dword v2, off, s[0:3], s32 offset:1276
	buffer_load_dword v3, off, s[0:3], s32 offset:1280
	buffer_load_dword v4, off, s[0:3], s32 offset:1284
	buffer_load_dword v5, off, s[0:3], s32 offset:764
	s_waitcnt vmcnt(0)
	v_fmac_f32_e32 v126, v1, v5
	buffer_load_dword v1, off, s[0:3], s32 offset:756 ; 4-byte Folded Reload
	;; [unrolled: 17-line block ×3, first 2 shown]
	s_waitcnt vmcnt(4)
	v_fmac_f32_e32 v0, v2, v50
	s_waitcnt vmcnt(3)
	v_fmac_f32_e32 v19, v3, v25
	;; [unrolled: 2-line block ×3, first 2 shown]
	v_add_f32_e32 v0, v126, v0
	v_add_f32_e32 v0, v19, v0
	;; [unrolled: 1-line block ×3, first 2 shown]
	s_waitcnt vmcnt(0)
	v_fmac_f32_e32 v12, v1, v0
	v_cndmask_b32_e64 v0, 0, v12, s5
	ds_write_b32 v72, v0
	v_max_f32_e32 v0, v5, v5
	s_clause 0x1
	buffer_load_dword v3, off, s[0:3], s32 offset:748
	buffer_load_dword v4, off, s[0:3], s32 offset:752
	v_add_nc_u32_e32 v72, 0x200, v72
	v_max_f32_e32 v0, v0, v12
	v_cndmask_b32_e64 v5, v5, v0, s5
	buffer_load_dword v0, off, s[0:3], s32 offset:740 ; 4-byte Folded Reload
	s_waitcnt vmcnt(2)
	v_add_co_u32 v3, s5, v3, 16
	s_waitcnt vmcnt(1)
	v_add_co_ci_u32_e64 v4, null, 0, v4, s5
	s_waitcnt vmcnt(0)
	v_cmp_ge_i32_e64 s5, v116, v0
	s_or_b32 s11, s5, s11
	s_andn2_b32 exec_lo, exec_lo, s11
	s_cbranch_execz .LBB253_968
.LBB253_11:                             ; =>This Inner Loop Header: Depth=1
	buffer_store_dword v3, off, s[0:3], s32 offset:748 ; 4-byte Folded Spill
	buffer_store_dword v4, off, s[0:3], s32 offset:752 ; 4-byte Folded Spill
	v_mov_b32_e32 v44, v116
	v_mov_b32_e32 v33, v72
	;; [unrolled: 1-line block ×3, first 2 shown]
	flat_load_dword v0, v[3:4]
	s_clause 0x2
	buffer_load_dword v1, off, s[0:3], s32 offset:736
	buffer_load_dword v2, off, s[0:3], s32 offset:816
	;; [unrolled: 1-line block ×3, first 2 shown]
	s_waitcnt vmcnt(0) lgkmcnt(0)
	v_mad_i64_i32 v[6:7], null, v0, v1, v[2:3]
	flat_load_dword v0, v[6:7]
	s_clause 0x1
	buffer_load_dword v1, off, s[0:3], s32 offset:800
	buffer_load_dword v2, off, s[0:3], s32 offset:804
	s_waitcnt vmcnt(2) lgkmcnt(0)
	v_cmp_ne_u16_sdwa s5, v0, v17 src0_sel:BYTE_0 src1_sel:DWORD
	s_waitcnt vmcnt(0)
	flat_load_dword v19, v[1:2]
	v_mov_b32_e32 v1, 0
	v_mov_b32_e32 v2, 0
	buffer_store_dword v1, off, s[0:3], s32 offset:208 ; 4-byte Folded Spill
	buffer_store_dword v2, off, s[0:3], s32 offset:212 ; 4-byte Folded Spill
	v_mov_b32_e32 v1, 0
	v_mov_b32_e32 v2, 0
	buffer_store_dword v1, off, s[0:3], s32 offset:200 ; 4-byte Folded Spill
	buffer_store_dword v2, off, s[0:3], s32 offset:204 ; 4-byte Folded Spill
	s_and_saveexec_b32 s13, s5
	s_cbranch_execz .LBB253_19
; %bb.12:                               ;   in Loop: Header=BB253_11 Depth=1
	v_bfrev_b32_e32 v1, 1
	v_mov_b32_e32 v2, 0
	v_cmp_ne_u16_sdwa s5, v0, v45 src0_sel:BYTE_0 src1_sel:DWORD
	buffer_store_dword v1, off, s[0:3], s32 offset:200 ; 4-byte Folded Spill
	buffer_store_dword v2, off, s[0:3], s32 offset:204 ; 4-byte Folded Spill
	s_and_saveexec_b32 s17, s5
	s_cbranch_execz .LBB253_18
; %bb.13:                               ;   in Loop: Header=BB253_11 Depth=1
	v_mov_b32_e32 v3, 0x7f800001
	v_and_b32_e32 v2, 0x7f, v0
	v_mov_b32_e32 v4, 0
	s_mov_b32 s21, exec_lo
	buffer_store_dword v3, off, s[0:3], s32 offset:200 ; 4-byte Folded Spill
	buffer_store_dword v4, off, s[0:3], s32 offset:204 ; 4-byte Folded Spill
	v_cmpx_ne_u32_e32 0x7f, v2
	s_cbranch_execz .LBB253_17
; %bb.14:                               ;   in Loop: Header=BB253_11 Depth=1
	v_and_b32_e32 v16, 7, v0
	v_lshrrev_b32_e32 v1, 3, v2
	s_mov_b32 s22, exec_lo
	v_cmpx_gt_u32_e32 8, v2
; %bb.15:                               ;   in Loop: Header=BB253_11 Depth=1
	v_ffbh_u32_e32 v1, v16
	v_min_u32_e32 v1, 32, v1
	v_subrev_nc_u32_e32 v2, 28, v1
	v_sub_nc_u32_e32 v1, 29, v1
	v_lshlrev_b64 v[2:3], v2, v[16:17]
	v_and_b32_e32 v16, 7, v2
; %bb.16:                               ;   in Loop: Header=BB253_11 Depth=1
	s_or_b32 exec_lo, exec_lo, s22
	v_lshlrev_b32_e32 v2, 24, v0
	v_lshlrev_b32_e32 v3, 20, v16
	v_lshl_add_u32 v1, v1, 23, 0x3c000000
	v_and_b32_e32 v2, 0x80000000, v2
	v_or3_b32 v16, v3, v2, v1
	buffer_store_dword v16, off, s[0:3], s32 offset:200 ; 4-byte Folded Spill
	buffer_store_dword v17, off, s[0:3], s32 offset:204 ; 4-byte Folded Spill
.LBB253_17:                             ;   in Loop: Header=BB253_11 Depth=1
	s_or_b32 exec_lo, exec_lo, s21
.LBB253_18:                             ;   in Loop: Header=BB253_11 Depth=1
	s_or_b32 exec_lo, exec_lo, s17
.LBB253_19:                             ;   in Loop: Header=BB253_11 Depth=1
	s_or_b32 exec_lo, exec_lo, s13
	v_cmp_ne_u16_sdwa s5, v0, v17 src0_sel:BYTE_1 src1_sel:DWORD
	s_and_saveexec_b32 s13, s5
	s_cbranch_execz .LBB253_27
; %bb.20:                               ;   in Loop: Header=BB253_11 Depth=1
	v_mov_b32_e32 v64, v17
	v_cmp_ne_u16_sdwa s5, v0, v45 src0_sel:BYTE_1 src1_sel:DWORD
	buffer_store_dword v64, off, s[0:3], s32 offset:208 ; 4-byte Folded Spill
	buffer_store_dword v65, off, s[0:3], s32 offset:212 ; 4-byte Folded Spill
	s_and_saveexec_b32 s17, s5
	s_cbranch_execz .LBB253_26
; %bb.21:                               ;   in Loop: Header=BB253_11 Depth=1
	v_mov_b32_e32 v1, 0xffff
	v_mov_b32_e32 v10, v17
	s_mov_b32 s21, exec_lo
	buffer_store_dword v10, off, s[0:3], s32 offset:208 ; 4-byte Folded Spill
	buffer_store_dword v11, off, s[0:3], s32 offset:212 ; 4-byte Folded Spill
	v_and_b32_sdwa v1, v1, v0 dst_sel:DWORD dst_unused:UNUSED_PAD src0_sel:DWORD src1_sel:BYTE_1
	v_and_b32_e32 v2, 0x7f, v1
	v_cmpx_ne_u32_e32 0x7f, v2
	s_cbranch_execz .LBB253_25
; %bb.22:                               ;   in Loop: Header=BB253_11 Depth=1
	v_and_b32_e32 v16, 7, v1
	v_lshrrev_b32_e32 v1, 3, v2
	s_mov_b32 s22, exec_lo
	v_cmpx_gt_u32_e32 8, v2
; %bb.23:                               ;   in Loop: Header=BB253_11 Depth=1
	v_ffbh_u32_e32 v1, v16
	v_min_u32_e32 v1, 32, v1
	v_subrev_nc_u32_e32 v2, 28, v1
	v_sub_nc_u32_e32 v1, 29, v1
	v_lshlrev_b64 v[2:3], v2, v[16:17]
	v_and_b32_e32 v16, 7, v2
; %bb.24:                               ;   in Loop: Header=BB253_11 Depth=1
	s_or_b32 exec_lo, exec_lo, s22
	v_lshlrev_b32_e32 v2, 16, v0
	v_lshlrev_b32_e32 v3, 20, v16
	v_lshl_add_u32 v1, v1, 23, 0x3c000000
	v_and_b32_e32 v2, 0x80000000, v2
	v_or3_b32 v2, v3, v2, v1
	v_mov_b32_e32 v1, v17
	buffer_store_dword v1, off, s[0:3], s32 offset:208 ; 4-byte Folded Spill
	buffer_store_dword v2, off, s[0:3], s32 offset:212 ; 4-byte Folded Spill
.LBB253_25:                             ;   in Loop: Header=BB253_11 Depth=1
	s_or_b32 exec_lo, exec_lo, s21
.LBB253_26:                             ;   in Loop: Header=BB253_11 Depth=1
	s_or_b32 exec_lo, exec_lo, s17
.LBB253_27:                             ;   in Loop: Header=BB253_11 Depth=1
	s_or_b32 exec_lo, exec_lo, s13
	v_mov_b32_e32 v2, 0
	v_mov_b32_e32 v3, 0
	;; [unrolled: 1-line block ×3, first 2 shown]
	s_mov_b32 s13, exec_lo
	buffer_store_dword v2, off, s[0:3], s32 offset:216 ; 4-byte Folded Spill
	buffer_store_dword v3, off, s[0:3], s32 offset:220 ; 4-byte Folded Spill
	v_mov_b32_e32 v2, 0
	v_and_b32_sdwa v1, v0, v1 dst_sel:DWORD dst_unused:UNUSED_PAD src0_sel:WORD_1 src1_sel:DWORD
	v_mov_b32_e32 v3, 0
	buffer_store_dword v2, off, s[0:3], s32 offset:224 ; 4-byte Folded Spill
	buffer_store_dword v3, off, s[0:3], s32 offset:228 ; 4-byte Folded Spill
	v_cmpx_ne_u16_e32 0, v1
	s_cbranch_execz .LBB253_35
; %bb.28:                               ;   in Loop: Header=BB253_11 Depth=1
	v_cmp_ne_u16_e64 s5, 0x80, v1
	v_bfrev_b32_e32 v1, 1
	v_mov_b32_e32 v2, 0
	buffer_store_dword v1, off, s[0:3], s32 offset:224 ; 4-byte Folded Spill
	buffer_store_dword v2, off, s[0:3], s32 offset:228 ; 4-byte Folded Spill
	s_and_saveexec_b32 s17, s5
	s_cbranch_execz .LBB253_34
; %bb.29:                               ;   in Loop: Header=BB253_11 Depth=1
	v_mov_b32_e32 v3, 0x7f800001
	v_bfe_u32 v2, v0, 16, 7
	v_mov_b32_e32 v4, 0
	s_mov_b32 s21, exec_lo
	buffer_store_dword v3, off, s[0:3], s32 offset:224 ; 4-byte Folded Spill
	buffer_store_dword v4, off, s[0:3], s32 offset:228 ; 4-byte Folded Spill
	v_cmpx_ne_u32_e32 0x7f, v2
	s_cbranch_execz .LBB253_33
; %bb.30:                               ;   in Loop: Header=BB253_11 Depth=1
	v_mov_b32_e32 v1, 7
	s_mov_b32 s22, exec_lo
	v_and_b32_sdwa v16, v0, v1 dst_sel:DWORD dst_unused:UNUSED_PAD src0_sel:WORD_1 src1_sel:DWORD
	v_lshrrev_b32_e32 v1, 3, v2
	v_cmpx_gt_u32_e32 8, v2
; %bb.31:                               ;   in Loop: Header=BB253_11 Depth=1
	v_ffbh_u32_e32 v1, v16
	v_min_u32_e32 v1, 32, v1
	v_subrev_nc_u32_e32 v2, 28, v1
	v_sub_nc_u32_e32 v1, 29, v1
	v_lshlrev_b64 v[2:3], v2, v[16:17]
	v_and_b32_e32 v16, 7, v2
; %bb.32:                               ;   in Loop: Header=BB253_11 Depth=1
	s_or_b32 exec_lo, exec_lo, s22
	v_mov_b32_e32 v2, 24
	v_lshlrev_b32_e32 v3, 20, v16
	v_lshl_add_u32 v1, v1, 23, 0x3c000000
	v_lshlrev_b32_sdwa v2, v2, v0 dst_sel:DWORD dst_unused:UNUSED_PAD src0_sel:DWORD src1_sel:WORD_1
	v_and_b32_e32 v2, 0x80000000, v2
	v_or3_b32 v16, v3, v2, v1
	buffer_store_dword v16, off, s[0:3], s32 offset:224 ; 4-byte Folded Spill
	buffer_store_dword v17, off, s[0:3], s32 offset:228 ; 4-byte Folded Spill
.LBB253_33:                             ;   in Loop: Header=BB253_11 Depth=1
	s_or_b32 exec_lo, exec_lo, s21
.LBB253_34:                             ;   in Loop: Header=BB253_11 Depth=1
	s_or_b32 exec_lo, exec_lo, s17
.LBB253_35:                             ;   in Loop: Header=BB253_11 Depth=1
	s_or_b32 exec_lo, exec_lo, s13
	s_mov_b32 s13, exec_lo
	v_cmpx_lt_u32_e32 0xffffff, v0
	s_cbranch_execz .LBB253_43
; %bb.36:                               ;   in Loop: Header=BB253_11 Depth=1
	v_mov_b32_e32 v64, v17
	v_cmp_ne_u32_sdwa s5, v0, v45 src0_sel:BYTE_3 src1_sel:DWORD
	buffer_store_dword v64, off, s[0:3], s32 offset:216 ; 4-byte Folded Spill
	buffer_store_dword v65, off, s[0:3], s32 offset:220 ; 4-byte Folded Spill
	s_and_saveexec_b32 s17, s5
	s_cbranch_execz .LBB253_42
; %bb.37:                               ;   in Loop: Header=BB253_11 Depth=1
	v_bfe_u32 v2, v0, 24, 7
	v_mov_b32_e32 v10, v17
	s_mov_b32 s21, exec_lo
	buffer_store_dword v10, off, s[0:3], s32 offset:216 ; 4-byte Folded Spill
	buffer_store_dword v11, off, s[0:3], s32 offset:220 ; 4-byte Folded Spill
	v_cmpx_ne_u32_e32 0x7f, v2
	s_cbranch_execz .LBB253_41
; %bb.38:                               ;   in Loop: Header=BB253_11 Depth=1
	v_mov_b32_e32 v1, 7
	s_mov_b32 s22, exec_lo
	v_and_b32_sdwa v16, v0, v1 dst_sel:DWORD dst_unused:UNUSED_PAD src0_sel:BYTE_3 src1_sel:DWORD
	v_lshrrev_b32_e32 v1, 3, v2
	v_cmpx_gt_u32_e32 8, v2
; %bb.39:                               ;   in Loop: Header=BB253_11 Depth=1
	v_ffbh_u32_e32 v1, v16
	v_min_u32_e32 v1, 32, v1
	v_subrev_nc_u32_e32 v2, 28, v1
	v_sub_nc_u32_e32 v1, 29, v1
	v_lshlrev_b64 v[2:3], v2, v[16:17]
	v_and_b32_e32 v16, 7, v2
; %bb.40:                               ;   in Loop: Header=BB253_11 Depth=1
	s_or_b32 exec_lo, exec_lo, s22
	v_mov_b32_e32 v2, 24
	v_lshl_add_u32 v1, v1, 23, 0x3c000000
	v_lshlrev_b32_sdwa v0, v2, v0 dst_sel:DWORD dst_unused:UNUSED_PAD src0_sel:DWORD src1_sel:BYTE_3
	v_lshlrev_b32_e32 v2, 20, v16
	v_and_b32_e32 v0, 0x80000000, v0
	v_or3_b32 v1, v2, v0, v1
	v_mov_b32_e32 v0, v17
	buffer_store_dword v0, off, s[0:3], s32 offset:216 ; 4-byte Folded Spill
	buffer_store_dword v1, off, s[0:3], s32 offset:220 ; 4-byte Folded Spill
.LBB253_41:                             ;   in Loop: Header=BB253_11 Depth=1
	s_or_b32 exec_lo, exec_lo, s21
.LBB253_42:                             ;   in Loop: Header=BB253_11 Depth=1
	s_or_b32 exec_lo, exec_lo, s17
.LBB253_43:                             ;   in Loop: Header=BB253_11 Depth=1
	s_or_b32 exec_lo, exec_lo, s13
	flat_load_dword v0, v[6:7] offset:4
	v_mov_b32_e32 v1, 0
	v_mov_b32_e32 v2, 0
	buffer_store_dword v1, off, s[0:3], s32 offset:240 ; 4-byte Folded Spill
	buffer_store_dword v2, off, s[0:3], s32 offset:244 ; 4-byte Folded Spill
	v_mov_b32_e32 v1, 0
	v_mov_b32_e32 v2, 0
	buffer_store_dword v1, off, s[0:3], s32 offset:232 ; 4-byte Folded Spill
	buffer_store_dword v2, off, s[0:3], s32 offset:236 ; 4-byte Folded Spill
	s_waitcnt vmcnt(0) lgkmcnt(0)
	v_cmp_ne_u16_sdwa s5, v0, v17 src0_sel:BYTE_0 src1_sel:DWORD
	s_and_saveexec_b32 s13, s5
	s_cbranch_execz .LBB253_51
; %bb.44:                               ;   in Loop: Header=BB253_11 Depth=1
	v_bfrev_b32_e32 v1, 1
	v_mov_b32_e32 v2, 0
	v_cmp_ne_u16_sdwa s5, v0, v45 src0_sel:BYTE_0 src1_sel:DWORD
	buffer_store_dword v1, off, s[0:3], s32 offset:232 ; 4-byte Folded Spill
	buffer_store_dword v2, off, s[0:3], s32 offset:236 ; 4-byte Folded Spill
	s_and_saveexec_b32 s17, s5
	s_cbranch_execz .LBB253_50
; %bb.45:                               ;   in Loop: Header=BB253_11 Depth=1
	v_mov_b32_e32 v3, 0x7f800001
	v_and_b32_e32 v2, 0x7f, v0
	v_mov_b32_e32 v4, 0
	s_mov_b32 s21, exec_lo
	buffer_store_dword v3, off, s[0:3], s32 offset:232 ; 4-byte Folded Spill
	buffer_store_dword v4, off, s[0:3], s32 offset:236 ; 4-byte Folded Spill
	v_cmpx_ne_u32_e32 0x7f, v2
	s_cbranch_execz .LBB253_49
; %bb.46:                               ;   in Loop: Header=BB253_11 Depth=1
	v_and_b32_e32 v16, 7, v0
	v_lshrrev_b32_e32 v1, 3, v2
	s_mov_b32 s22, exec_lo
	v_cmpx_gt_u32_e32 8, v2
; %bb.47:                               ;   in Loop: Header=BB253_11 Depth=1
	v_ffbh_u32_e32 v1, v16
	v_min_u32_e32 v1, 32, v1
	v_subrev_nc_u32_e32 v2, 28, v1
	v_sub_nc_u32_e32 v1, 29, v1
	v_lshlrev_b64 v[2:3], v2, v[16:17]
	v_and_b32_e32 v16, 7, v2
; %bb.48:                               ;   in Loop: Header=BB253_11 Depth=1
	s_or_b32 exec_lo, exec_lo, s22
	v_lshlrev_b32_e32 v2, 24, v0
	v_lshlrev_b32_e32 v3, 20, v16
	v_lshl_add_u32 v1, v1, 23, 0x3c000000
	v_and_b32_e32 v2, 0x80000000, v2
	v_or3_b32 v16, v3, v2, v1
	buffer_store_dword v16, off, s[0:3], s32 offset:232 ; 4-byte Folded Spill
	buffer_store_dword v17, off, s[0:3], s32 offset:236 ; 4-byte Folded Spill
.LBB253_49:                             ;   in Loop: Header=BB253_11 Depth=1
	s_or_b32 exec_lo, exec_lo, s21
.LBB253_50:                             ;   in Loop: Header=BB253_11 Depth=1
	s_or_b32 exec_lo, exec_lo, s17
.LBB253_51:                             ;   in Loop: Header=BB253_11 Depth=1
	s_or_b32 exec_lo, exec_lo, s13
	v_cmp_ne_u16_sdwa s5, v0, v17 src0_sel:BYTE_1 src1_sel:DWORD
	s_and_saveexec_b32 s13, s5
	s_cbranch_execz .LBB253_59
; %bb.52:                               ;   in Loop: Header=BB253_11 Depth=1
	v_mov_b32_e32 v64, v17
	v_cmp_ne_u16_sdwa s5, v0, v45 src0_sel:BYTE_1 src1_sel:DWORD
	buffer_store_dword v64, off, s[0:3], s32 offset:240 ; 4-byte Folded Spill
	buffer_store_dword v65, off, s[0:3], s32 offset:244 ; 4-byte Folded Spill
	s_and_saveexec_b32 s17, s5
	s_cbranch_execz .LBB253_58
; %bb.53:                               ;   in Loop: Header=BB253_11 Depth=1
	v_mov_b32_e32 v1, 0xffff
	v_mov_b32_e32 v10, v17
	s_mov_b32 s21, exec_lo
	buffer_store_dword v10, off, s[0:3], s32 offset:240 ; 4-byte Folded Spill
	buffer_store_dword v11, off, s[0:3], s32 offset:244 ; 4-byte Folded Spill
	v_and_b32_sdwa v1, v1, v0 dst_sel:DWORD dst_unused:UNUSED_PAD src0_sel:DWORD src1_sel:BYTE_1
	v_and_b32_e32 v2, 0x7f, v1
	v_cmpx_ne_u32_e32 0x7f, v2
	s_cbranch_execz .LBB253_57
; %bb.54:                               ;   in Loop: Header=BB253_11 Depth=1
	v_and_b32_e32 v16, 7, v1
	v_lshrrev_b32_e32 v1, 3, v2
	s_mov_b32 s22, exec_lo
	v_cmpx_gt_u32_e32 8, v2
; %bb.55:                               ;   in Loop: Header=BB253_11 Depth=1
	v_ffbh_u32_e32 v1, v16
	v_min_u32_e32 v1, 32, v1
	v_subrev_nc_u32_e32 v2, 28, v1
	v_sub_nc_u32_e32 v1, 29, v1
	v_lshlrev_b64 v[2:3], v2, v[16:17]
	v_and_b32_e32 v16, 7, v2
; %bb.56:                               ;   in Loop: Header=BB253_11 Depth=1
	s_or_b32 exec_lo, exec_lo, s22
	v_lshlrev_b32_e32 v2, 16, v0
	v_lshlrev_b32_e32 v3, 20, v16
	v_lshl_add_u32 v1, v1, 23, 0x3c000000
	v_and_b32_e32 v2, 0x80000000, v2
	v_or3_b32 v2, v3, v2, v1
	v_mov_b32_e32 v1, v17
	buffer_store_dword v1, off, s[0:3], s32 offset:240 ; 4-byte Folded Spill
	buffer_store_dword v2, off, s[0:3], s32 offset:244 ; 4-byte Folded Spill
.LBB253_57:                             ;   in Loop: Header=BB253_11 Depth=1
	s_or_b32 exec_lo, exec_lo, s21
.LBB253_58:                             ;   in Loop: Header=BB253_11 Depth=1
	s_or_b32 exec_lo, exec_lo, s17
.LBB253_59:                             ;   in Loop: Header=BB253_11 Depth=1
	s_or_b32 exec_lo, exec_lo, s13
	v_mov_b32_e32 v2, 0
	v_mov_b32_e32 v3, 0
	;; [unrolled: 1-line block ×3, first 2 shown]
	s_mov_b32 s13, exec_lo
	buffer_store_dword v2, off, s[0:3], s32 offset:248 ; 4-byte Folded Spill
	buffer_store_dword v3, off, s[0:3], s32 offset:252 ; 4-byte Folded Spill
	v_mov_b32_e32 v2, 0
	v_and_b32_sdwa v1, v0, v1 dst_sel:DWORD dst_unused:UNUSED_PAD src0_sel:WORD_1 src1_sel:DWORD
	v_mov_b32_e32 v3, 0
	buffer_store_dword v2, off, s[0:3], s32 offset:256 ; 4-byte Folded Spill
	buffer_store_dword v3, off, s[0:3], s32 offset:260 ; 4-byte Folded Spill
	v_cmpx_ne_u16_e32 0, v1
	s_cbranch_execz .LBB253_67
; %bb.60:                               ;   in Loop: Header=BB253_11 Depth=1
	v_cmp_ne_u16_e64 s5, 0x80, v1
	v_bfrev_b32_e32 v1, 1
	v_mov_b32_e32 v2, 0
	buffer_store_dword v1, off, s[0:3], s32 offset:256 ; 4-byte Folded Spill
	buffer_store_dword v2, off, s[0:3], s32 offset:260 ; 4-byte Folded Spill
	s_and_saveexec_b32 s17, s5
	s_cbranch_execz .LBB253_66
; %bb.61:                               ;   in Loop: Header=BB253_11 Depth=1
	v_mov_b32_e32 v3, 0x7f800001
	v_bfe_u32 v2, v0, 16, 7
	v_mov_b32_e32 v4, 0
	s_mov_b32 s21, exec_lo
	buffer_store_dword v3, off, s[0:3], s32 offset:256 ; 4-byte Folded Spill
	buffer_store_dword v4, off, s[0:3], s32 offset:260 ; 4-byte Folded Spill
	v_cmpx_ne_u32_e32 0x7f, v2
	s_cbranch_execz .LBB253_65
; %bb.62:                               ;   in Loop: Header=BB253_11 Depth=1
	v_mov_b32_e32 v1, 7
	s_mov_b32 s22, exec_lo
	v_and_b32_sdwa v16, v0, v1 dst_sel:DWORD dst_unused:UNUSED_PAD src0_sel:WORD_1 src1_sel:DWORD
	v_lshrrev_b32_e32 v1, 3, v2
	v_cmpx_gt_u32_e32 8, v2
; %bb.63:                               ;   in Loop: Header=BB253_11 Depth=1
	v_ffbh_u32_e32 v1, v16
	v_min_u32_e32 v1, 32, v1
	v_subrev_nc_u32_e32 v2, 28, v1
	v_sub_nc_u32_e32 v1, 29, v1
	v_lshlrev_b64 v[2:3], v2, v[16:17]
	v_and_b32_e32 v16, 7, v2
; %bb.64:                               ;   in Loop: Header=BB253_11 Depth=1
	s_or_b32 exec_lo, exec_lo, s22
	v_mov_b32_e32 v2, 24
	v_lshlrev_b32_e32 v3, 20, v16
	v_lshl_add_u32 v1, v1, 23, 0x3c000000
	v_lshlrev_b32_sdwa v2, v2, v0 dst_sel:DWORD dst_unused:UNUSED_PAD src0_sel:DWORD src1_sel:WORD_1
	v_and_b32_e32 v2, 0x80000000, v2
	v_or3_b32 v16, v3, v2, v1
	buffer_store_dword v16, off, s[0:3], s32 offset:256 ; 4-byte Folded Spill
	buffer_store_dword v17, off, s[0:3], s32 offset:260 ; 4-byte Folded Spill
.LBB253_65:                             ;   in Loop: Header=BB253_11 Depth=1
	s_or_b32 exec_lo, exec_lo, s21
.LBB253_66:                             ;   in Loop: Header=BB253_11 Depth=1
	s_or_b32 exec_lo, exec_lo, s17
.LBB253_67:                             ;   in Loop: Header=BB253_11 Depth=1
	s_or_b32 exec_lo, exec_lo, s13
	s_mov_b32 s13, exec_lo
	v_cmpx_lt_u32_e32 0xffffff, v0
	s_cbranch_execz .LBB253_75
; %bb.68:                               ;   in Loop: Header=BB253_11 Depth=1
	v_mov_b32_e32 v64, v17
	v_cmp_ne_u32_sdwa s5, v0, v45 src0_sel:BYTE_3 src1_sel:DWORD
	buffer_store_dword v64, off, s[0:3], s32 offset:248 ; 4-byte Folded Spill
	buffer_store_dword v65, off, s[0:3], s32 offset:252 ; 4-byte Folded Spill
	s_and_saveexec_b32 s17, s5
	s_cbranch_execz .LBB253_74
; %bb.69:                               ;   in Loop: Header=BB253_11 Depth=1
	v_bfe_u32 v2, v0, 24, 7
	v_mov_b32_e32 v10, v17
	s_mov_b32 s21, exec_lo
	buffer_store_dword v10, off, s[0:3], s32 offset:248 ; 4-byte Folded Spill
	buffer_store_dword v11, off, s[0:3], s32 offset:252 ; 4-byte Folded Spill
	v_cmpx_ne_u32_e32 0x7f, v2
	s_cbranch_execz .LBB253_73
; %bb.70:                               ;   in Loop: Header=BB253_11 Depth=1
	v_mov_b32_e32 v1, 7
	s_mov_b32 s22, exec_lo
	v_and_b32_sdwa v16, v0, v1 dst_sel:DWORD dst_unused:UNUSED_PAD src0_sel:BYTE_3 src1_sel:DWORD
	v_lshrrev_b32_e32 v1, 3, v2
	v_cmpx_gt_u32_e32 8, v2
; %bb.71:                               ;   in Loop: Header=BB253_11 Depth=1
	v_ffbh_u32_e32 v1, v16
	v_min_u32_e32 v1, 32, v1
	v_subrev_nc_u32_e32 v2, 28, v1
	v_sub_nc_u32_e32 v1, 29, v1
	v_lshlrev_b64 v[2:3], v2, v[16:17]
	v_and_b32_e32 v16, 7, v2
; %bb.72:                               ;   in Loop: Header=BB253_11 Depth=1
	s_or_b32 exec_lo, exec_lo, s22
	v_mov_b32_e32 v2, 24
	v_lshl_add_u32 v1, v1, 23, 0x3c000000
	v_lshlrev_b32_sdwa v0, v2, v0 dst_sel:DWORD dst_unused:UNUSED_PAD src0_sel:DWORD src1_sel:BYTE_3
	v_lshlrev_b32_e32 v2, 20, v16
	v_and_b32_e32 v0, 0x80000000, v0
	v_or3_b32 v1, v2, v0, v1
	v_mov_b32_e32 v0, v17
	buffer_store_dword v0, off, s[0:3], s32 offset:248 ; 4-byte Folded Spill
	buffer_store_dword v1, off, s[0:3], s32 offset:252 ; 4-byte Folded Spill
.LBB253_73:                             ;   in Loop: Header=BB253_11 Depth=1
	s_or_b32 exec_lo, exec_lo, s21
.LBB253_74:                             ;   in Loop: Header=BB253_11 Depth=1
	s_or_b32 exec_lo, exec_lo, s17
.LBB253_75:                             ;   in Loop: Header=BB253_11 Depth=1
	s_or_b32 exec_lo, exec_lo, s13
	flat_load_dword v0, v[6:7] offset:8
	v_mov_b32_e32 v1, 0
	v_mov_b32_e32 v2, 0
	buffer_store_dword v1, off, s[0:3], s32 offset:272 ; 4-byte Folded Spill
	buffer_store_dword v2, off, s[0:3], s32 offset:276 ; 4-byte Folded Spill
	v_mov_b32_e32 v1, 0
	v_mov_b32_e32 v2, 0
	buffer_store_dword v1, off, s[0:3], s32 offset:264 ; 4-byte Folded Spill
	buffer_store_dword v2, off, s[0:3], s32 offset:268 ; 4-byte Folded Spill
	s_waitcnt vmcnt(0) lgkmcnt(0)
	v_cmp_ne_u16_sdwa s5, v0, v17 src0_sel:BYTE_0 src1_sel:DWORD
	s_and_saveexec_b32 s13, s5
	s_cbranch_execz .LBB253_83
; %bb.76:                               ;   in Loop: Header=BB253_11 Depth=1
	v_bfrev_b32_e32 v1, 1
	v_mov_b32_e32 v2, 0
	v_cmp_ne_u16_sdwa s5, v0, v45 src0_sel:BYTE_0 src1_sel:DWORD
	buffer_store_dword v1, off, s[0:3], s32 offset:264 ; 4-byte Folded Spill
	buffer_store_dword v2, off, s[0:3], s32 offset:268 ; 4-byte Folded Spill
	s_and_saveexec_b32 s17, s5
	s_cbranch_execz .LBB253_82
; %bb.77:                               ;   in Loop: Header=BB253_11 Depth=1
	v_mov_b32_e32 v3, 0x7f800001
	v_and_b32_e32 v2, 0x7f, v0
	v_mov_b32_e32 v4, 0
	s_mov_b32 s21, exec_lo
	buffer_store_dword v3, off, s[0:3], s32 offset:264 ; 4-byte Folded Spill
	buffer_store_dword v4, off, s[0:3], s32 offset:268 ; 4-byte Folded Spill
	v_cmpx_ne_u32_e32 0x7f, v2
	s_cbranch_execz .LBB253_81
; %bb.78:                               ;   in Loop: Header=BB253_11 Depth=1
	v_and_b32_e32 v16, 7, v0
	v_lshrrev_b32_e32 v1, 3, v2
	s_mov_b32 s22, exec_lo
	v_cmpx_gt_u32_e32 8, v2
; %bb.79:                               ;   in Loop: Header=BB253_11 Depth=1
	v_ffbh_u32_e32 v1, v16
	v_min_u32_e32 v1, 32, v1
	v_subrev_nc_u32_e32 v2, 28, v1
	v_sub_nc_u32_e32 v1, 29, v1
	v_lshlrev_b64 v[2:3], v2, v[16:17]
	v_and_b32_e32 v16, 7, v2
; %bb.80:                               ;   in Loop: Header=BB253_11 Depth=1
	s_or_b32 exec_lo, exec_lo, s22
	v_lshlrev_b32_e32 v2, 24, v0
	v_lshlrev_b32_e32 v3, 20, v16
	v_lshl_add_u32 v1, v1, 23, 0x3c000000
	v_and_b32_e32 v2, 0x80000000, v2
	v_or3_b32 v16, v3, v2, v1
	buffer_store_dword v16, off, s[0:3], s32 offset:264 ; 4-byte Folded Spill
	buffer_store_dword v17, off, s[0:3], s32 offset:268 ; 4-byte Folded Spill
.LBB253_81:                             ;   in Loop: Header=BB253_11 Depth=1
	s_or_b32 exec_lo, exec_lo, s21
.LBB253_82:                             ;   in Loop: Header=BB253_11 Depth=1
	s_or_b32 exec_lo, exec_lo, s17
.LBB253_83:                             ;   in Loop: Header=BB253_11 Depth=1
	s_or_b32 exec_lo, exec_lo, s13
	v_cmp_ne_u16_sdwa s5, v0, v17 src0_sel:BYTE_1 src1_sel:DWORD
	s_and_saveexec_b32 s13, s5
	s_cbranch_execz .LBB253_91
; %bb.84:                               ;   in Loop: Header=BB253_11 Depth=1
	v_mov_b32_e32 v64, v17
	v_cmp_ne_u16_sdwa s5, v0, v45 src0_sel:BYTE_1 src1_sel:DWORD
	buffer_store_dword v64, off, s[0:3], s32 offset:272 ; 4-byte Folded Spill
	buffer_store_dword v65, off, s[0:3], s32 offset:276 ; 4-byte Folded Spill
	s_and_saveexec_b32 s17, s5
	s_cbranch_execz .LBB253_90
; %bb.85:                               ;   in Loop: Header=BB253_11 Depth=1
	v_mov_b32_e32 v1, 0xffff
	v_mov_b32_e32 v10, v17
	s_mov_b32 s21, exec_lo
	buffer_store_dword v10, off, s[0:3], s32 offset:272 ; 4-byte Folded Spill
	buffer_store_dword v11, off, s[0:3], s32 offset:276 ; 4-byte Folded Spill
	v_and_b32_sdwa v1, v1, v0 dst_sel:DWORD dst_unused:UNUSED_PAD src0_sel:DWORD src1_sel:BYTE_1
	v_and_b32_e32 v2, 0x7f, v1
	v_cmpx_ne_u32_e32 0x7f, v2
	s_cbranch_execz .LBB253_89
; %bb.86:                               ;   in Loop: Header=BB253_11 Depth=1
	v_and_b32_e32 v16, 7, v1
	v_lshrrev_b32_e32 v1, 3, v2
	s_mov_b32 s22, exec_lo
	v_cmpx_gt_u32_e32 8, v2
; %bb.87:                               ;   in Loop: Header=BB253_11 Depth=1
	v_ffbh_u32_e32 v1, v16
	v_min_u32_e32 v1, 32, v1
	v_subrev_nc_u32_e32 v2, 28, v1
	v_sub_nc_u32_e32 v1, 29, v1
	v_lshlrev_b64 v[2:3], v2, v[16:17]
	v_and_b32_e32 v16, 7, v2
; %bb.88:                               ;   in Loop: Header=BB253_11 Depth=1
	s_or_b32 exec_lo, exec_lo, s22
	v_lshlrev_b32_e32 v2, 16, v0
	v_lshlrev_b32_e32 v3, 20, v16
	v_lshl_add_u32 v1, v1, 23, 0x3c000000
	v_and_b32_e32 v2, 0x80000000, v2
	v_or3_b32 v2, v3, v2, v1
	v_mov_b32_e32 v1, v17
	buffer_store_dword v1, off, s[0:3], s32 offset:272 ; 4-byte Folded Spill
	buffer_store_dword v2, off, s[0:3], s32 offset:276 ; 4-byte Folded Spill
.LBB253_89:                             ;   in Loop: Header=BB253_11 Depth=1
	s_or_b32 exec_lo, exec_lo, s21
.LBB253_90:                             ;   in Loop: Header=BB253_11 Depth=1
	s_or_b32 exec_lo, exec_lo, s17
.LBB253_91:                             ;   in Loop: Header=BB253_11 Depth=1
	s_or_b32 exec_lo, exec_lo, s13
	v_mov_b32_e32 v2, 0
	v_mov_b32_e32 v3, 0
	;; [unrolled: 1-line block ×3, first 2 shown]
	s_mov_b32 s13, exec_lo
	buffer_store_dword v2, off, s[0:3], s32 offset:280 ; 4-byte Folded Spill
	buffer_store_dword v3, off, s[0:3], s32 offset:284 ; 4-byte Folded Spill
	v_mov_b32_e32 v2, 0
	v_and_b32_sdwa v1, v0, v1 dst_sel:DWORD dst_unused:UNUSED_PAD src0_sel:WORD_1 src1_sel:DWORD
	v_mov_b32_e32 v3, 0
	buffer_store_dword v2, off, s[0:3], s32 offset:288 ; 4-byte Folded Spill
	buffer_store_dword v3, off, s[0:3], s32 offset:292 ; 4-byte Folded Spill
	v_cmpx_ne_u16_e32 0, v1
	s_cbranch_execz .LBB253_99
; %bb.92:                               ;   in Loop: Header=BB253_11 Depth=1
	v_cmp_ne_u16_e64 s5, 0x80, v1
	v_bfrev_b32_e32 v1, 1
	v_mov_b32_e32 v2, 0
	buffer_store_dword v1, off, s[0:3], s32 offset:288 ; 4-byte Folded Spill
	buffer_store_dword v2, off, s[0:3], s32 offset:292 ; 4-byte Folded Spill
	s_and_saveexec_b32 s17, s5
	s_cbranch_execz .LBB253_98
; %bb.93:                               ;   in Loop: Header=BB253_11 Depth=1
	v_mov_b32_e32 v3, 0x7f800001
	v_bfe_u32 v2, v0, 16, 7
	v_mov_b32_e32 v4, 0
	s_mov_b32 s21, exec_lo
	buffer_store_dword v3, off, s[0:3], s32 offset:288 ; 4-byte Folded Spill
	buffer_store_dword v4, off, s[0:3], s32 offset:292 ; 4-byte Folded Spill
	v_cmpx_ne_u32_e32 0x7f, v2
	s_cbranch_execz .LBB253_97
; %bb.94:                               ;   in Loop: Header=BB253_11 Depth=1
	v_mov_b32_e32 v1, 7
	s_mov_b32 s22, exec_lo
	v_and_b32_sdwa v16, v0, v1 dst_sel:DWORD dst_unused:UNUSED_PAD src0_sel:WORD_1 src1_sel:DWORD
	v_lshrrev_b32_e32 v1, 3, v2
	v_cmpx_gt_u32_e32 8, v2
; %bb.95:                               ;   in Loop: Header=BB253_11 Depth=1
	v_ffbh_u32_e32 v1, v16
	v_min_u32_e32 v1, 32, v1
	v_subrev_nc_u32_e32 v2, 28, v1
	v_sub_nc_u32_e32 v1, 29, v1
	v_lshlrev_b64 v[2:3], v2, v[16:17]
	v_and_b32_e32 v16, 7, v2
; %bb.96:                               ;   in Loop: Header=BB253_11 Depth=1
	s_or_b32 exec_lo, exec_lo, s22
	v_mov_b32_e32 v2, 24
	v_lshlrev_b32_e32 v3, 20, v16
	v_lshl_add_u32 v1, v1, 23, 0x3c000000
	v_lshlrev_b32_sdwa v2, v2, v0 dst_sel:DWORD dst_unused:UNUSED_PAD src0_sel:DWORD src1_sel:WORD_1
	v_and_b32_e32 v2, 0x80000000, v2
	v_or3_b32 v16, v3, v2, v1
	buffer_store_dword v16, off, s[0:3], s32 offset:288 ; 4-byte Folded Spill
	buffer_store_dword v17, off, s[0:3], s32 offset:292 ; 4-byte Folded Spill
.LBB253_97:                             ;   in Loop: Header=BB253_11 Depth=1
	s_or_b32 exec_lo, exec_lo, s21
.LBB253_98:                             ;   in Loop: Header=BB253_11 Depth=1
	s_or_b32 exec_lo, exec_lo, s17
.LBB253_99:                             ;   in Loop: Header=BB253_11 Depth=1
	s_or_b32 exec_lo, exec_lo, s13
	s_mov_b32 s13, exec_lo
	v_cmpx_lt_u32_e32 0xffffff, v0
	s_cbranch_execz .LBB253_107
; %bb.100:                              ;   in Loop: Header=BB253_11 Depth=1
	v_mov_b32_e32 v64, v17
	v_cmp_ne_u32_sdwa s5, v0, v45 src0_sel:BYTE_3 src1_sel:DWORD
	buffer_store_dword v64, off, s[0:3], s32 offset:280 ; 4-byte Folded Spill
	buffer_store_dword v65, off, s[0:3], s32 offset:284 ; 4-byte Folded Spill
	s_and_saveexec_b32 s17, s5
	s_cbranch_execz .LBB253_106
; %bb.101:                              ;   in Loop: Header=BB253_11 Depth=1
	v_bfe_u32 v2, v0, 24, 7
	v_mov_b32_e32 v10, v17
	s_mov_b32 s21, exec_lo
	buffer_store_dword v10, off, s[0:3], s32 offset:280 ; 4-byte Folded Spill
	buffer_store_dword v11, off, s[0:3], s32 offset:284 ; 4-byte Folded Spill
	v_cmpx_ne_u32_e32 0x7f, v2
	s_cbranch_execz .LBB253_105
; %bb.102:                              ;   in Loop: Header=BB253_11 Depth=1
	v_mov_b32_e32 v1, 7
	s_mov_b32 s22, exec_lo
	v_and_b32_sdwa v16, v0, v1 dst_sel:DWORD dst_unused:UNUSED_PAD src0_sel:BYTE_3 src1_sel:DWORD
	v_lshrrev_b32_e32 v1, 3, v2
	v_cmpx_gt_u32_e32 8, v2
; %bb.103:                              ;   in Loop: Header=BB253_11 Depth=1
	v_ffbh_u32_e32 v1, v16
	v_min_u32_e32 v1, 32, v1
	v_subrev_nc_u32_e32 v2, 28, v1
	v_sub_nc_u32_e32 v1, 29, v1
	v_lshlrev_b64 v[2:3], v2, v[16:17]
	v_and_b32_e32 v16, 7, v2
; %bb.104:                              ;   in Loop: Header=BB253_11 Depth=1
	s_or_b32 exec_lo, exec_lo, s22
	v_mov_b32_e32 v2, 24
	v_lshl_add_u32 v1, v1, 23, 0x3c000000
	v_lshlrev_b32_sdwa v0, v2, v0 dst_sel:DWORD dst_unused:UNUSED_PAD src0_sel:DWORD src1_sel:BYTE_3
	v_lshlrev_b32_e32 v2, 20, v16
	v_and_b32_e32 v0, 0x80000000, v0
	v_or3_b32 v1, v2, v0, v1
	v_mov_b32_e32 v0, v17
	buffer_store_dword v0, off, s[0:3], s32 offset:280 ; 4-byte Folded Spill
	buffer_store_dword v1, off, s[0:3], s32 offset:284 ; 4-byte Folded Spill
.LBB253_105:                            ;   in Loop: Header=BB253_11 Depth=1
	s_or_b32 exec_lo, exec_lo, s21
.LBB253_106:                            ;   in Loop: Header=BB253_11 Depth=1
	s_or_b32 exec_lo, exec_lo, s17
.LBB253_107:                            ;   in Loop: Header=BB253_11 Depth=1
	s_or_b32 exec_lo, exec_lo, s13
	flat_load_dword v0, v[6:7] offset:12
	v_mov_b32_e32 v1, 0
	v_mov_b32_e32 v2, 0
	buffer_store_dword v1, off, s[0:3], s32 offset:304 ; 4-byte Folded Spill
	buffer_store_dword v2, off, s[0:3], s32 offset:308 ; 4-byte Folded Spill
	v_mov_b32_e32 v1, 0
	v_mov_b32_e32 v2, 0
	buffer_store_dword v1, off, s[0:3], s32 offset:296 ; 4-byte Folded Spill
	buffer_store_dword v2, off, s[0:3], s32 offset:300 ; 4-byte Folded Spill
	s_waitcnt vmcnt(0) lgkmcnt(0)
	v_cmp_ne_u16_sdwa s5, v0, v17 src0_sel:BYTE_0 src1_sel:DWORD
	s_and_saveexec_b32 s13, s5
	s_cbranch_execz .LBB253_115
; %bb.108:                              ;   in Loop: Header=BB253_11 Depth=1
	v_bfrev_b32_e32 v1, 1
	v_mov_b32_e32 v2, 0
	v_cmp_ne_u16_sdwa s5, v0, v45 src0_sel:BYTE_0 src1_sel:DWORD
	buffer_store_dword v1, off, s[0:3], s32 offset:296 ; 4-byte Folded Spill
	buffer_store_dword v2, off, s[0:3], s32 offset:300 ; 4-byte Folded Spill
	s_and_saveexec_b32 s17, s5
	s_cbranch_execz .LBB253_114
; %bb.109:                              ;   in Loop: Header=BB253_11 Depth=1
	v_mov_b32_e32 v3, 0x7f800001
	v_and_b32_e32 v2, 0x7f, v0
	v_mov_b32_e32 v4, 0
	s_mov_b32 s21, exec_lo
	buffer_store_dword v3, off, s[0:3], s32 offset:296 ; 4-byte Folded Spill
	buffer_store_dword v4, off, s[0:3], s32 offset:300 ; 4-byte Folded Spill
	v_cmpx_ne_u32_e32 0x7f, v2
	s_cbranch_execz .LBB253_113
; %bb.110:                              ;   in Loop: Header=BB253_11 Depth=1
	v_and_b32_e32 v16, 7, v0
	v_lshrrev_b32_e32 v1, 3, v2
	s_mov_b32 s22, exec_lo
	v_cmpx_gt_u32_e32 8, v2
; %bb.111:                              ;   in Loop: Header=BB253_11 Depth=1
	v_ffbh_u32_e32 v1, v16
	v_min_u32_e32 v1, 32, v1
	v_subrev_nc_u32_e32 v2, 28, v1
	v_sub_nc_u32_e32 v1, 29, v1
	v_lshlrev_b64 v[2:3], v2, v[16:17]
	v_and_b32_e32 v16, 7, v2
; %bb.112:                              ;   in Loop: Header=BB253_11 Depth=1
	s_or_b32 exec_lo, exec_lo, s22
	v_lshlrev_b32_e32 v2, 24, v0
	v_lshlrev_b32_e32 v3, 20, v16
	v_lshl_add_u32 v1, v1, 23, 0x3c000000
	v_and_b32_e32 v2, 0x80000000, v2
	v_or3_b32 v16, v3, v2, v1
	buffer_store_dword v16, off, s[0:3], s32 offset:296 ; 4-byte Folded Spill
	buffer_store_dword v17, off, s[0:3], s32 offset:300 ; 4-byte Folded Spill
.LBB253_113:                            ;   in Loop: Header=BB253_11 Depth=1
	s_or_b32 exec_lo, exec_lo, s21
.LBB253_114:                            ;   in Loop: Header=BB253_11 Depth=1
	s_or_b32 exec_lo, exec_lo, s17
.LBB253_115:                            ;   in Loop: Header=BB253_11 Depth=1
	s_or_b32 exec_lo, exec_lo, s13
	v_cmp_ne_u16_sdwa s5, v0, v17 src0_sel:BYTE_1 src1_sel:DWORD
	s_and_saveexec_b32 s13, s5
	s_cbranch_execz .LBB253_123
; %bb.116:                              ;   in Loop: Header=BB253_11 Depth=1
	v_mov_b32_e32 v64, v17
	v_cmp_ne_u16_sdwa s5, v0, v45 src0_sel:BYTE_1 src1_sel:DWORD
	buffer_store_dword v64, off, s[0:3], s32 offset:304 ; 4-byte Folded Spill
	buffer_store_dword v65, off, s[0:3], s32 offset:308 ; 4-byte Folded Spill
	s_and_saveexec_b32 s17, s5
	s_cbranch_execz .LBB253_122
; %bb.117:                              ;   in Loop: Header=BB253_11 Depth=1
	v_mov_b32_e32 v1, 0xffff
	v_mov_b32_e32 v10, v17
	s_mov_b32 s21, exec_lo
	buffer_store_dword v10, off, s[0:3], s32 offset:304 ; 4-byte Folded Spill
	buffer_store_dword v11, off, s[0:3], s32 offset:308 ; 4-byte Folded Spill
	v_and_b32_sdwa v1, v1, v0 dst_sel:DWORD dst_unused:UNUSED_PAD src0_sel:DWORD src1_sel:BYTE_1
	v_and_b32_e32 v2, 0x7f, v1
	v_cmpx_ne_u32_e32 0x7f, v2
	s_cbranch_execz .LBB253_121
; %bb.118:                              ;   in Loop: Header=BB253_11 Depth=1
	v_and_b32_e32 v16, 7, v1
	v_lshrrev_b32_e32 v1, 3, v2
	s_mov_b32 s22, exec_lo
	v_cmpx_gt_u32_e32 8, v2
; %bb.119:                              ;   in Loop: Header=BB253_11 Depth=1
	v_ffbh_u32_e32 v1, v16
	v_min_u32_e32 v1, 32, v1
	v_subrev_nc_u32_e32 v2, 28, v1
	v_sub_nc_u32_e32 v1, 29, v1
	v_lshlrev_b64 v[2:3], v2, v[16:17]
	v_and_b32_e32 v16, 7, v2
; %bb.120:                              ;   in Loop: Header=BB253_11 Depth=1
	s_or_b32 exec_lo, exec_lo, s22
	v_lshlrev_b32_e32 v2, 16, v0
	v_lshlrev_b32_e32 v3, 20, v16
	v_lshl_add_u32 v1, v1, 23, 0x3c000000
	v_and_b32_e32 v2, 0x80000000, v2
	v_or3_b32 v2, v3, v2, v1
	v_mov_b32_e32 v1, v17
	buffer_store_dword v1, off, s[0:3], s32 offset:304 ; 4-byte Folded Spill
	buffer_store_dword v2, off, s[0:3], s32 offset:308 ; 4-byte Folded Spill
.LBB253_121:                            ;   in Loop: Header=BB253_11 Depth=1
	s_or_b32 exec_lo, exec_lo, s21
.LBB253_122:                            ;   in Loop: Header=BB253_11 Depth=1
	s_or_b32 exec_lo, exec_lo, s17
.LBB253_123:                            ;   in Loop: Header=BB253_11 Depth=1
	s_or_b32 exec_lo, exec_lo, s13
	v_mov_b32_e32 v2, 0
	v_mov_b32_e32 v3, 0
	;; [unrolled: 1-line block ×3, first 2 shown]
	s_mov_b32 s13, exec_lo
	buffer_store_dword v2, off, s[0:3], s32 offset:312 ; 4-byte Folded Spill
	buffer_store_dword v3, off, s[0:3], s32 offset:316 ; 4-byte Folded Spill
	v_mov_b32_e32 v2, 0
	v_and_b32_sdwa v1, v0, v1 dst_sel:DWORD dst_unused:UNUSED_PAD src0_sel:WORD_1 src1_sel:DWORD
	v_mov_b32_e32 v3, 0
	buffer_store_dword v2, off, s[0:3], s32 offset:320 ; 4-byte Folded Spill
	buffer_store_dword v3, off, s[0:3], s32 offset:324 ; 4-byte Folded Spill
	v_cmpx_ne_u16_e32 0, v1
	s_cbranch_execz .LBB253_131
; %bb.124:                              ;   in Loop: Header=BB253_11 Depth=1
	v_cmp_ne_u16_e64 s5, 0x80, v1
	v_bfrev_b32_e32 v1, 1
	v_mov_b32_e32 v2, 0
	buffer_store_dword v1, off, s[0:3], s32 offset:320 ; 4-byte Folded Spill
	buffer_store_dword v2, off, s[0:3], s32 offset:324 ; 4-byte Folded Spill
	s_and_saveexec_b32 s17, s5
	s_cbranch_execz .LBB253_130
; %bb.125:                              ;   in Loop: Header=BB253_11 Depth=1
	v_mov_b32_e32 v3, 0x7f800001
	v_bfe_u32 v2, v0, 16, 7
	v_mov_b32_e32 v4, 0
	s_mov_b32 s21, exec_lo
	buffer_store_dword v3, off, s[0:3], s32 offset:320 ; 4-byte Folded Spill
	buffer_store_dword v4, off, s[0:3], s32 offset:324 ; 4-byte Folded Spill
	v_cmpx_ne_u32_e32 0x7f, v2
	s_cbranch_execz .LBB253_129
; %bb.126:                              ;   in Loop: Header=BB253_11 Depth=1
	v_mov_b32_e32 v1, 7
	s_mov_b32 s22, exec_lo
	v_and_b32_sdwa v16, v0, v1 dst_sel:DWORD dst_unused:UNUSED_PAD src0_sel:WORD_1 src1_sel:DWORD
	v_lshrrev_b32_e32 v1, 3, v2
	v_cmpx_gt_u32_e32 8, v2
; %bb.127:                              ;   in Loop: Header=BB253_11 Depth=1
	v_ffbh_u32_e32 v1, v16
	v_min_u32_e32 v1, 32, v1
	v_subrev_nc_u32_e32 v2, 28, v1
	v_sub_nc_u32_e32 v1, 29, v1
	v_lshlrev_b64 v[2:3], v2, v[16:17]
	v_and_b32_e32 v16, 7, v2
; %bb.128:                              ;   in Loop: Header=BB253_11 Depth=1
	s_or_b32 exec_lo, exec_lo, s22
	v_mov_b32_e32 v2, 24
	v_lshlrev_b32_e32 v3, 20, v16
	v_lshl_add_u32 v1, v1, 23, 0x3c000000
	v_lshlrev_b32_sdwa v2, v2, v0 dst_sel:DWORD dst_unused:UNUSED_PAD src0_sel:DWORD src1_sel:WORD_1
	v_and_b32_e32 v2, 0x80000000, v2
	v_or3_b32 v16, v3, v2, v1
	buffer_store_dword v16, off, s[0:3], s32 offset:320 ; 4-byte Folded Spill
	buffer_store_dword v17, off, s[0:3], s32 offset:324 ; 4-byte Folded Spill
.LBB253_129:                            ;   in Loop: Header=BB253_11 Depth=1
	s_or_b32 exec_lo, exec_lo, s21
.LBB253_130:                            ;   in Loop: Header=BB253_11 Depth=1
	s_or_b32 exec_lo, exec_lo, s17
.LBB253_131:                            ;   in Loop: Header=BB253_11 Depth=1
	s_or_b32 exec_lo, exec_lo, s13
	s_mov_b32 s13, exec_lo
	v_cmpx_lt_u32_e32 0xffffff, v0
	s_cbranch_execz .LBB253_139
; %bb.132:                              ;   in Loop: Header=BB253_11 Depth=1
	v_mov_b32_e32 v64, v17
	v_cmp_ne_u32_sdwa s5, v0, v45 src0_sel:BYTE_3 src1_sel:DWORD
	buffer_store_dword v64, off, s[0:3], s32 offset:312 ; 4-byte Folded Spill
	buffer_store_dword v65, off, s[0:3], s32 offset:316 ; 4-byte Folded Spill
	s_and_saveexec_b32 s17, s5
	s_cbranch_execz .LBB253_138
; %bb.133:                              ;   in Loop: Header=BB253_11 Depth=1
	v_bfe_u32 v2, v0, 24, 7
	v_mov_b32_e32 v10, v17
	s_mov_b32 s21, exec_lo
	buffer_store_dword v10, off, s[0:3], s32 offset:312 ; 4-byte Folded Spill
	buffer_store_dword v11, off, s[0:3], s32 offset:316 ; 4-byte Folded Spill
	v_cmpx_ne_u32_e32 0x7f, v2
	s_cbranch_execz .LBB253_137
; %bb.134:                              ;   in Loop: Header=BB253_11 Depth=1
	v_mov_b32_e32 v1, 7
	s_mov_b32 s22, exec_lo
	v_and_b32_sdwa v16, v0, v1 dst_sel:DWORD dst_unused:UNUSED_PAD src0_sel:BYTE_3 src1_sel:DWORD
	v_lshrrev_b32_e32 v1, 3, v2
	v_cmpx_gt_u32_e32 8, v2
; %bb.135:                              ;   in Loop: Header=BB253_11 Depth=1
	v_ffbh_u32_e32 v1, v16
	v_min_u32_e32 v1, 32, v1
	v_subrev_nc_u32_e32 v2, 28, v1
	v_sub_nc_u32_e32 v1, 29, v1
	v_lshlrev_b64 v[2:3], v2, v[16:17]
	v_and_b32_e32 v16, 7, v2
; %bb.136:                              ;   in Loop: Header=BB253_11 Depth=1
	s_or_b32 exec_lo, exec_lo, s22
	v_mov_b32_e32 v2, 24
	v_lshl_add_u32 v1, v1, 23, 0x3c000000
	v_lshlrev_b32_sdwa v0, v2, v0 dst_sel:DWORD dst_unused:UNUSED_PAD src0_sel:DWORD src1_sel:BYTE_3
	v_lshlrev_b32_e32 v2, 20, v16
	v_and_b32_e32 v0, 0x80000000, v0
	v_or3_b32 v1, v2, v0, v1
	v_mov_b32_e32 v0, v17
	buffer_store_dword v0, off, s[0:3], s32 offset:312 ; 4-byte Folded Spill
	buffer_store_dword v1, off, s[0:3], s32 offset:316 ; 4-byte Folded Spill
.LBB253_137:                            ;   in Loop: Header=BB253_11 Depth=1
	s_or_b32 exec_lo, exec_lo, s21
.LBB253_138:                            ;   in Loop: Header=BB253_11 Depth=1
	s_or_b32 exec_lo, exec_lo, s17
.LBB253_139:                            ;   in Loop: Header=BB253_11 Depth=1
	s_or_b32 exec_lo, exec_lo, s13
	flat_load_dword v0, v[6:7] offset:512
	v_mov_b32_e32 v1, 0
	v_mov_b32_e32 v2, 0
	buffer_store_dword v1, off, s[0:3], s32 offset:336 ; 4-byte Folded Spill
	buffer_store_dword v2, off, s[0:3], s32 offset:340 ; 4-byte Folded Spill
	v_mov_b32_e32 v1, 0
	v_mov_b32_e32 v2, 0
	buffer_store_dword v1, off, s[0:3], s32 offset:328 ; 4-byte Folded Spill
	buffer_store_dword v2, off, s[0:3], s32 offset:332 ; 4-byte Folded Spill
	s_waitcnt vmcnt(0) lgkmcnt(0)
	v_cmp_ne_u16_sdwa s5, v0, v17 src0_sel:BYTE_0 src1_sel:DWORD
	s_and_saveexec_b32 s13, s5
	s_cbranch_execz .LBB253_147
; %bb.140:                              ;   in Loop: Header=BB253_11 Depth=1
	v_bfrev_b32_e32 v1, 1
	v_mov_b32_e32 v2, 0
	v_cmp_ne_u16_sdwa s5, v0, v45 src0_sel:BYTE_0 src1_sel:DWORD
	buffer_store_dword v1, off, s[0:3], s32 offset:328 ; 4-byte Folded Spill
	buffer_store_dword v2, off, s[0:3], s32 offset:332 ; 4-byte Folded Spill
	s_and_saveexec_b32 s17, s5
	s_cbranch_execz .LBB253_146
; %bb.141:                              ;   in Loop: Header=BB253_11 Depth=1
	v_mov_b32_e32 v3, 0x7f800001
	v_and_b32_e32 v2, 0x7f, v0
	v_mov_b32_e32 v4, 0
	s_mov_b32 s21, exec_lo
	buffer_store_dword v3, off, s[0:3], s32 offset:328 ; 4-byte Folded Spill
	buffer_store_dword v4, off, s[0:3], s32 offset:332 ; 4-byte Folded Spill
	v_cmpx_ne_u32_e32 0x7f, v2
	s_cbranch_execz .LBB253_145
; %bb.142:                              ;   in Loop: Header=BB253_11 Depth=1
	v_and_b32_e32 v16, 7, v0
	v_lshrrev_b32_e32 v1, 3, v2
	s_mov_b32 s22, exec_lo
	v_cmpx_gt_u32_e32 8, v2
; %bb.143:                              ;   in Loop: Header=BB253_11 Depth=1
	v_ffbh_u32_e32 v1, v16
	v_min_u32_e32 v1, 32, v1
	v_subrev_nc_u32_e32 v2, 28, v1
	v_sub_nc_u32_e32 v1, 29, v1
	v_lshlrev_b64 v[2:3], v2, v[16:17]
	v_and_b32_e32 v16, 7, v2
; %bb.144:                              ;   in Loop: Header=BB253_11 Depth=1
	s_or_b32 exec_lo, exec_lo, s22
	v_lshlrev_b32_e32 v2, 24, v0
	v_lshlrev_b32_e32 v3, 20, v16
	v_lshl_add_u32 v1, v1, 23, 0x3c000000
	v_and_b32_e32 v2, 0x80000000, v2
	v_or3_b32 v16, v3, v2, v1
	buffer_store_dword v16, off, s[0:3], s32 offset:328 ; 4-byte Folded Spill
	buffer_store_dword v17, off, s[0:3], s32 offset:332 ; 4-byte Folded Spill
.LBB253_145:                            ;   in Loop: Header=BB253_11 Depth=1
	s_or_b32 exec_lo, exec_lo, s21
.LBB253_146:                            ;   in Loop: Header=BB253_11 Depth=1
	s_or_b32 exec_lo, exec_lo, s17
.LBB253_147:                            ;   in Loop: Header=BB253_11 Depth=1
	s_or_b32 exec_lo, exec_lo, s13
	v_cmp_ne_u16_sdwa s5, v0, v17 src0_sel:BYTE_1 src1_sel:DWORD
	s_and_saveexec_b32 s13, s5
	s_cbranch_execz .LBB253_155
; %bb.148:                              ;   in Loop: Header=BB253_11 Depth=1
	v_mov_b32_e32 v64, v17
	v_cmp_ne_u16_sdwa s5, v0, v45 src0_sel:BYTE_1 src1_sel:DWORD
	buffer_store_dword v64, off, s[0:3], s32 offset:336 ; 4-byte Folded Spill
	buffer_store_dword v65, off, s[0:3], s32 offset:340 ; 4-byte Folded Spill
	s_and_saveexec_b32 s17, s5
	s_cbranch_execz .LBB253_154
; %bb.149:                              ;   in Loop: Header=BB253_11 Depth=1
	v_mov_b32_e32 v1, 0xffff
	v_mov_b32_e32 v10, v17
	s_mov_b32 s21, exec_lo
	buffer_store_dword v10, off, s[0:3], s32 offset:336 ; 4-byte Folded Spill
	buffer_store_dword v11, off, s[0:3], s32 offset:340 ; 4-byte Folded Spill
	v_and_b32_sdwa v1, v1, v0 dst_sel:DWORD dst_unused:UNUSED_PAD src0_sel:DWORD src1_sel:BYTE_1
	v_and_b32_e32 v2, 0x7f, v1
	v_cmpx_ne_u32_e32 0x7f, v2
	s_cbranch_execz .LBB253_153
; %bb.150:                              ;   in Loop: Header=BB253_11 Depth=1
	v_and_b32_e32 v16, 7, v1
	v_lshrrev_b32_e32 v1, 3, v2
	s_mov_b32 s22, exec_lo
	v_cmpx_gt_u32_e32 8, v2
; %bb.151:                              ;   in Loop: Header=BB253_11 Depth=1
	v_ffbh_u32_e32 v1, v16
	v_min_u32_e32 v1, 32, v1
	v_subrev_nc_u32_e32 v2, 28, v1
	v_sub_nc_u32_e32 v1, 29, v1
	v_lshlrev_b64 v[2:3], v2, v[16:17]
	v_and_b32_e32 v16, 7, v2
; %bb.152:                              ;   in Loop: Header=BB253_11 Depth=1
	s_or_b32 exec_lo, exec_lo, s22
	v_lshlrev_b32_e32 v2, 16, v0
	v_lshlrev_b32_e32 v3, 20, v16
	v_lshl_add_u32 v1, v1, 23, 0x3c000000
	v_and_b32_e32 v2, 0x80000000, v2
	v_or3_b32 v2, v3, v2, v1
	v_mov_b32_e32 v1, v17
	buffer_store_dword v1, off, s[0:3], s32 offset:336 ; 4-byte Folded Spill
	buffer_store_dword v2, off, s[0:3], s32 offset:340 ; 4-byte Folded Spill
.LBB253_153:                            ;   in Loop: Header=BB253_11 Depth=1
	s_or_b32 exec_lo, exec_lo, s21
.LBB253_154:                            ;   in Loop: Header=BB253_11 Depth=1
	s_or_b32 exec_lo, exec_lo, s17
.LBB253_155:                            ;   in Loop: Header=BB253_11 Depth=1
	s_or_b32 exec_lo, exec_lo, s13
	v_mov_b32_e32 v2, 0
	v_mov_b32_e32 v3, 0
	;; [unrolled: 1-line block ×3, first 2 shown]
	s_mov_b32 s13, exec_lo
	buffer_store_dword v2, off, s[0:3], s32 offset:344 ; 4-byte Folded Spill
	buffer_store_dword v3, off, s[0:3], s32 offset:348 ; 4-byte Folded Spill
	v_mov_b32_e32 v2, 0
	v_and_b32_sdwa v1, v0, v1 dst_sel:DWORD dst_unused:UNUSED_PAD src0_sel:WORD_1 src1_sel:DWORD
	v_mov_b32_e32 v3, 0
	buffer_store_dword v2, off, s[0:3], s32 offset:352 ; 4-byte Folded Spill
	buffer_store_dword v3, off, s[0:3], s32 offset:356 ; 4-byte Folded Spill
	v_cmpx_ne_u16_e32 0, v1
	s_cbranch_execz .LBB253_163
; %bb.156:                              ;   in Loop: Header=BB253_11 Depth=1
	v_cmp_ne_u16_e64 s5, 0x80, v1
	v_bfrev_b32_e32 v1, 1
	v_mov_b32_e32 v2, 0
	buffer_store_dword v1, off, s[0:3], s32 offset:352 ; 4-byte Folded Spill
	buffer_store_dword v2, off, s[0:3], s32 offset:356 ; 4-byte Folded Spill
	s_and_saveexec_b32 s17, s5
	s_cbranch_execz .LBB253_162
; %bb.157:                              ;   in Loop: Header=BB253_11 Depth=1
	v_mov_b32_e32 v3, 0x7f800001
	v_bfe_u32 v2, v0, 16, 7
	v_mov_b32_e32 v4, 0
	s_mov_b32 s21, exec_lo
	buffer_store_dword v3, off, s[0:3], s32 offset:352 ; 4-byte Folded Spill
	buffer_store_dword v4, off, s[0:3], s32 offset:356 ; 4-byte Folded Spill
	v_cmpx_ne_u32_e32 0x7f, v2
	s_cbranch_execz .LBB253_161
; %bb.158:                              ;   in Loop: Header=BB253_11 Depth=1
	v_mov_b32_e32 v1, 7
	s_mov_b32 s22, exec_lo
	v_and_b32_sdwa v16, v0, v1 dst_sel:DWORD dst_unused:UNUSED_PAD src0_sel:WORD_1 src1_sel:DWORD
	v_lshrrev_b32_e32 v1, 3, v2
	v_cmpx_gt_u32_e32 8, v2
; %bb.159:                              ;   in Loop: Header=BB253_11 Depth=1
	v_ffbh_u32_e32 v1, v16
	v_min_u32_e32 v1, 32, v1
	v_subrev_nc_u32_e32 v2, 28, v1
	v_sub_nc_u32_e32 v1, 29, v1
	v_lshlrev_b64 v[2:3], v2, v[16:17]
	v_and_b32_e32 v16, 7, v2
; %bb.160:                              ;   in Loop: Header=BB253_11 Depth=1
	s_or_b32 exec_lo, exec_lo, s22
	v_mov_b32_e32 v2, 24
	v_lshlrev_b32_e32 v3, 20, v16
	v_lshl_add_u32 v1, v1, 23, 0x3c000000
	v_lshlrev_b32_sdwa v2, v2, v0 dst_sel:DWORD dst_unused:UNUSED_PAD src0_sel:DWORD src1_sel:WORD_1
	v_and_b32_e32 v2, 0x80000000, v2
	v_or3_b32 v16, v3, v2, v1
	buffer_store_dword v16, off, s[0:3], s32 offset:352 ; 4-byte Folded Spill
	buffer_store_dword v17, off, s[0:3], s32 offset:356 ; 4-byte Folded Spill
.LBB253_161:                            ;   in Loop: Header=BB253_11 Depth=1
	s_or_b32 exec_lo, exec_lo, s21
.LBB253_162:                            ;   in Loop: Header=BB253_11 Depth=1
	s_or_b32 exec_lo, exec_lo, s17
.LBB253_163:                            ;   in Loop: Header=BB253_11 Depth=1
	s_or_b32 exec_lo, exec_lo, s13
	s_mov_b32 s13, exec_lo
	v_cmpx_lt_u32_e32 0xffffff, v0
	s_cbranch_execz .LBB253_171
; %bb.164:                              ;   in Loop: Header=BB253_11 Depth=1
	v_mov_b32_e32 v64, v17
	v_cmp_ne_u32_sdwa s5, v0, v45 src0_sel:BYTE_3 src1_sel:DWORD
	buffer_store_dword v64, off, s[0:3], s32 offset:344 ; 4-byte Folded Spill
	buffer_store_dword v65, off, s[0:3], s32 offset:348 ; 4-byte Folded Spill
	s_and_saveexec_b32 s17, s5
	s_cbranch_execz .LBB253_170
; %bb.165:                              ;   in Loop: Header=BB253_11 Depth=1
	v_bfe_u32 v2, v0, 24, 7
	v_mov_b32_e32 v10, v17
	s_mov_b32 s21, exec_lo
	buffer_store_dword v10, off, s[0:3], s32 offset:344 ; 4-byte Folded Spill
	buffer_store_dword v11, off, s[0:3], s32 offset:348 ; 4-byte Folded Spill
	v_cmpx_ne_u32_e32 0x7f, v2
	s_cbranch_execz .LBB253_169
; %bb.166:                              ;   in Loop: Header=BB253_11 Depth=1
	v_mov_b32_e32 v1, 7
	s_mov_b32 s22, exec_lo
	v_and_b32_sdwa v16, v0, v1 dst_sel:DWORD dst_unused:UNUSED_PAD src0_sel:BYTE_3 src1_sel:DWORD
	v_lshrrev_b32_e32 v1, 3, v2
	v_cmpx_gt_u32_e32 8, v2
; %bb.167:                              ;   in Loop: Header=BB253_11 Depth=1
	v_ffbh_u32_e32 v1, v16
	v_min_u32_e32 v1, 32, v1
	v_subrev_nc_u32_e32 v2, 28, v1
	v_sub_nc_u32_e32 v1, 29, v1
	v_lshlrev_b64 v[2:3], v2, v[16:17]
	v_and_b32_e32 v16, 7, v2
; %bb.168:                              ;   in Loop: Header=BB253_11 Depth=1
	s_or_b32 exec_lo, exec_lo, s22
	v_mov_b32_e32 v2, 24
	v_lshl_add_u32 v1, v1, 23, 0x3c000000
	v_lshlrev_b32_sdwa v0, v2, v0 dst_sel:DWORD dst_unused:UNUSED_PAD src0_sel:DWORD src1_sel:BYTE_3
	v_lshlrev_b32_e32 v2, 20, v16
	v_and_b32_e32 v0, 0x80000000, v0
	v_or3_b32 v1, v2, v0, v1
	v_mov_b32_e32 v0, v17
	buffer_store_dword v0, off, s[0:3], s32 offset:344 ; 4-byte Folded Spill
	buffer_store_dword v1, off, s[0:3], s32 offset:348 ; 4-byte Folded Spill
.LBB253_169:                            ;   in Loop: Header=BB253_11 Depth=1
	s_or_b32 exec_lo, exec_lo, s21
.LBB253_170:                            ;   in Loop: Header=BB253_11 Depth=1
	s_or_b32 exec_lo, exec_lo, s17
.LBB253_171:                            ;   in Loop: Header=BB253_11 Depth=1
	s_or_b32 exec_lo, exec_lo, s13
	flat_load_dword v0, v[6:7] offset:516
	v_mov_b32_e32 v1, 0
	v_mov_b32_e32 v2, 0
	buffer_store_dword v1, off, s[0:3], s32 offset:368 ; 4-byte Folded Spill
	buffer_store_dword v2, off, s[0:3], s32 offset:372 ; 4-byte Folded Spill
	v_mov_b32_e32 v1, 0
	v_mov_b32_e32 v2, 0
	buffer_store_dword v1, off, s[0:3], s32 offset:360 ; 4-byte Folded Spill
	buffer_store_dword v2, off, s[0:3], s32 offset:364 ; 4-byte Folded Spill
	s_waitcnt vmcnt(0) lgkmcnt(0)
	v_cmp_ne_u16_sdwa s5, v0, v17 src0_sel:BYTE_0 src1_sel:DWORD
	s_and_saveexec_b32 s13, s5
	s_cbranch_execz .LBB253_179
; %bb.172:                              ;   in Loop: Header=BB253_11 Depth=1
	v_bfrev_b32_e32 v1, 1
	v_mov_b32_e32 v2, 0
	v_cmp_ne_u16_sdwa s5, v0, v45 src0_sel:BYTE_0 src1_sel:DWORD
	buffer_store_dword v1, off, s[0:3], s32 offset:360 ; 4-byte Folded Spill
	buffer_store_dword v2, off, s[0:3], s32 offset:364 ; 4-byte Folded Spill
	s_and_saveexec_b32 s17, s5
	s_cbranch_execz .LBB253_178
; %bb.173:                              ;   in Loop: Header=BB253_11 Depth=1
	v_mov_b32_e32 v3, 0x7f800001
	v_and_b32_e32 v2, 0x7f, v0
	v_mov_b32_e32 v4, 0
	s_mov_b32 s21, exec_lo
	buffer_store_dword v3, off, s[0:3], s32 offset:360 ; 4-byte Folded Spill
	buffer_store_dword v4, off, s[0:3], s32 offset:364 ; 4-byte Folded Spill
	v_cmpx_ne_u32_e32 0x7f, v2
	s_cbranch_execz .LBB253_177
; %bb.174:                              ;   in Loop: Header=BB253_11 Depth=1
	v_and_b32_e32 v16, 7, v0
	v_lshrrev_b32_e32 v1, 3, v2
	s_mov_b32 s22, exec_lo
	v_cmpx_gt_u32_e32 8, v2
; %bb.175:                              ;   in Loop: Header=BB253_11 Depth=1
	v_ffbh_u32_e32 v1, v16
	v_min_u32_e32 v1, 32, v1
	v_subrev_nc_u32_e32 v2, 28, v1
	v_sub_nc_u32_e32 v1, 29, v1
	v_lshlrev_b64 v[2:3], v2, v[16:17]
	v_and_b32_e32 v16, 7, v2
; %bb.176:                              ;   in Loop: Header=BB253_11 Depth=1
	s_or_b32 exec_lo, exec_lo, s22
	v_lshlrev_b32_e32 v2, 24, v0
	v_lshlrev_b32_e32 v3, 20, v16
	v_lshl_add_u32 v1, v1, 23, 0x3c000000
	v_and_b32_e32 v2, 0x80000000, v2
	v_or3_b32 v16, v3, v2, v1
	buffer_store_dword v16, off, s[0:3], s32 offset:360 ; 4-byte Folded Spill
	buffer_store_dword v17, off, s[0:3], s32 offset:364 ; 4-byte Folded Spill
.LBB253_177:                            ;   in Loop: Header=BB253_11 Depth=1
	s_or_b32 exec_lo, exec_lo, s21
.LBB253_178:                            ;   in Loop: Header=BB253_11 Depth=1
	s_or_b32 exec_lo, exec_lo, s17
.LBB253_179:                            ;   in Loop: Header=BB253_11 Depth=1
	s_or_b32 exec_lo, exec_lo, s13
	v_cmp_ne_u16_sdwa s5, v0, v17 src0_sel:BYTE_1 src1_sel:DWORD
	s_and_saveexec_b32 s13, s5
	s_cbranch_execz .LBB253_187
; %bb.180:                              ;   in Loop: Header=BB253_11 Depth=1
	v_mov_b32_e32 v64, v17
	v_cmp_ne_u16_sdwa s5, v0, v45 src0_sel:BYTE_1 src1_sel:DWORD
	buffer_store_dword v64, off, s[0:3], s32 offset:368 ; 4-byte Folded Spill
	buffer_store_dword v65, off, s[0:3], s32 offset:372 ; 4-byte Folded Spill
	s_and_saveexec_b32 s17, s5
	s_cbranch_execz .LBB253_186
; %bb.181:                              ;   in Loop: Header=BB253_11 Depth=1
	v_mov_b32_e32 v1, 0xffff
	v_mov_b32_e32 v10, v17
	s_mov_b32 s21, exec_lo
	buffer_store_dword v10, off, s[0:3], s32 offset:368 ; 4-byte Folded Spill
	buffer_store_dword v11, off, s[0:3], s32 offset:372 ; 4-byte Folded Spill
	v_and_b32_sdwa v1, v1, v0 dst_sel:DWORD dst_unused:UNUSED_PAD src0_sel:DWORD src1_sel:BYTE_1
	v_and_b32_e32 v2, 0x7f, v1
	v_cmpx_ne_u32_e32 0x7f, v2
	s_cbranch_execz .LBB253_185
; %bb.182:                              ;   in Loop: Header=BB253_11 Depth=1
	v_and_b32_e32 v16, 7, v1
	v_lshrrev_b32_e32 v1, 3, v2
	s_mov_b32 s22, exec_lo
	v_cmpx_gt_u32_e32 8, v2
; %bb.183:                              ;   in Loop: Header=BB253_11 Depth=1
	v_ffbh_u32_e32 v1, v16
	v_min_u32_e32 v1, 32, v1
	v_subrev_nc_u32_e32 v2, 28, v1
	v_sub_nc_u32_e32 v1, 29, v1
	v_lshlrev_b64 v[2:3], v2, v[16:17]
	v_and_b32_e32 v16, 7, v2
; %bb.184:                              ;   in Loop: Header=BB253_11 Depth=1
	s_or_b32 exec_lo, exec_lo, s22
	v_lshlrev_b32_e32 v2, 16, v0
	v_lshlrev_b32_e32 v3, 20, v16
	v_lshl_add_u32 v1, v1, 23, 0x3c000000
	v_and_b32_e32 v2, 0x80000000, v2
	v_or3_b32 v2, v3, v2, v1
	v_mov_b32_e32 v1, v17
	buffer_store_dword v1, off, s[0:3], s32 offset:368 ; 4-byte Folded Spill
	buffer_store_dword v2, off, s[0:3], s32 offset:372 ; 4-byte Folded Spill
.LBB253_185:                            ;   in Loop: Header=BB253_11 Depth=1
	s_or_b32 exec_lo, exec_lo, s21
.LBB253_186:                            ;   in Loop: Header=BB253_11 Depth=1
	s_or_b32 exec_lo, exec_lo, s17
.LBB253_187:                            ;   in Loop: Header=BB253_11 Depth=1
	s_or_b32 exec_lo, exec_lo, s13
	v_mov_b32_e32 v2, 0
	v_mov_b32_e32 v3, 0
	;; [unrolled: 1-line block ×3, first 2 shown]
	s_mov_b32 s13, exec_lo
	buffer_store_dword v2, off, s[0:3], s32 offset:376 ; 4-byte Folded Spill
	buffer_store_dword v3, off, s[0:3], s32 offset:380 ; 4-byte Folded Spill
	v_mov_b32_e32 v2, 0
	v_and_b32_sdwa v1, v0, v1 dst_sel:DWORD dst_unused:UNUSED_PAD src0_sel:WORD_1 src1_sel:DWORD
	v_mov_b32_e32 v3, 0
	buffer_store_dword v2, off, s[0:3], s32 offset:384 ; 4-byte Folded Spill
	buffer_store_dword v3, off, s[0:3], s32 offset:388 ; 4-byte Folded Spill
	v_cmpx_ne_u16_e32 0, v1
	s_cbranch_execz .LBB253_195
; %bb.188:                              ;   in Loop: Header=BB253_11 Depth=1
	v_cmp_ne_u16_e64 s5, 0x80, v1
	v_bfrev_b32_e32 v1, 1
	v_mov_b32_e32 v2, 0
	buffer_store_dword v1, off, s[0:3], s32 offset:384 ; 4-byte Folded Spill
	buffer_store_dword v2, off, s[0:3], s32 offset:388 ; 4-byte Folded Spill
	s_and_saveexec_b32 s17, s5
	s_cbranch_execz .LBB253_194
; %bb.189:                              ;   in Loop: Header=BB253_11 Depth=1
	v_mov_b32_e32 v3, 0x7f800001
	v_bfe_u32 v2, v0, 16, 7
	v_mov_b32_e32 v4, 0
	s_mov_b32 s21, exec_lo
	buffer_store_dword v3, off, s[0:3], s32 offset:384 ; 4-byte Folded Spill
	buffer_store_dword v4, off, s[0:3], s32 offset:388 ; 4-byte Folded Spill
	v_cmpx_ne_u32_e32 0x7f, v2
	s_cbranch_execz .LBB253_193
; %bb.190:                              ;   in Loop: Header=BB253_11 Depth=1
	v_mov_b32_e32 v1, 7
	s_mov_b32 s22, exec_lo
	v_and_b32_sdwa v16, v0, v1 dst_sel:DWORD dst_unused:UNUSED_PAD src0_sel:WORD_1 src1_sel:DWORD
	v_lshrrev_b32_e32 v1, 3, v2
	v_cmpx_gt_u32_e32 8, v2
; %bb.191:                              ;   in Loop: Header=BB253_11 Depth=1
	v_ffbh_u32_e32 v1, v16
	v_min_u32_e32 v1, 32, v1
	v_subrev_nc_u32_e32 v2, 28, v1
	v_sub_nc_u32_e32 v1, 29, v1
	v_lshlrev_b64 v[2:3], v2, v[16:17]
	v_and_b32_e32 v16, 7, v2
; %bb.192:                              ;   in Loop: Header=BB253_11 Depth=1
	s_or_b32 exec_lo, exec_lo, s22
	v_mov_b32_e32 v2, 24
	v_lshlrev_b32_e32 v3, 20, v16
	v_lshl_add_u32 v1, v1, 23, 0x3c000000
	v_lshlrev_b32_sdwa v2, v2, v0 dst_sel:DWORD dst_unused:UNUSED_PAD src0_sel:DWORD src1_sel:WORD_1
	v_and_b32_e32 v2, 0x80000000, v2
	v_or3_b32 v16, v3, v2, v1
	buffer_store_dword v16, off, s[0:3], s32 offset:384 ; 4-byte Folded Spill
	buffer_store_dword v17, off, s[0:3], s32 offset:388 ; 4-byte Folded Spill
.LBB253_193:                            ;   in Loop: Header=BB253_11 Depth=1
	s_or_b32 exec_lo, exec_lo, s21
.LBB253_194:                            ;   in Loop: Header=BB253_11 Depth=1
	s_or_b32 exec_lo, exec_lo, s17
.LBB253_195:                            ;   in Loop: Header=BB253_11 Depth=1
	s_or_b32 exec_lo, exec_lo, s13
	s_mov_b32 s13, exec_lo
	v_cmpx_lt_u32_e32 0xffffff, v0
	s_cbranch_execz .LBB253_203
; %bb.196:                              ;   in Loop: Header=BB253_11 Depth=1
	v_mov_b32_e32 v64, v17
	v_cmp_ne_u32_sdwa s5, v0, v45 src0_sel:BYTE_3 src1_sel:DWORD
	buffer_store_dword v64, off, s[0:3], s32 offset:376 ; 4-byte Folded Spill
	buffer_store_dword v65, off, s[0:3], s32 offset:380 ; 4-byte Folded Spill
	s_and_saveexec_b32 s17, s5
	s_cbranch_execz .LBB253_202
; %bb.197:                              ;   in Loop: Header=BB253_11 Depth=1
	v_bfe_u32 v2, v0, 24, 7
	v_mov_b32_e32 v10, v17
	s_mov_b32 s21, exec_lo
	buffer_store_dword v10, off, s[0:3], s32 offset:376 ; 4-byte Folded Spill
	buffer_store_dword v11, off, s[0:3], s32 offset:380 ; 4-byte Folded Spill
	v_cmpx_ne_u32_e32 0x7f, v2
	s_cbranch_execz .LBB253_201
; %bb.198:                              ;   in Loop: Header=BB253_11 Depth=1
	v_mov_b32_e32 v1, 7
	s_mov_b32 s22, exec_lo
	v_and_b32_sdwa v16, v0, v1 dst_sel:DWORD dst_unused:UNUSED_PAD src0_sel:BYTE_3 src1_sel:DWORD
	v_lshrrev_b32_e32 v1, 3, v2
	v_cmpx_gt_u32_e32 8, v2
; %bb.199:                              ;   in Loop: Header=BB253_11 Depth=1
	v_ffbh_u32_e32 v1, v16
	v_min_u32_e32 v1, 32, v1
	v_subrev_nc_u32_e32 v2, 28, v1
	v_sub_nc_u32_e32 v1, 29, v1
	v_lshlrev_b64 v[2:3], v2, v[16:17]
	v_and_b32_e32 v16, 7, v2
; %bb.200:                              ;   in Loop: Header=BB253_11 Depth=1
	s_or_b32 exec_lo, exec_lo, s22
	v_mov_b32_e32 v2, 24
	v_lshl_add_u32 v1, v1, 23, 0x3c000000
	v_lshlrev_b32_sdwa v0, v2, v0 dst_sel:DWORD dst_unused:UNUSED_PAD src0_sel:DWORD src1_sel:BYTE_3
	v_lshlrev_b32_e32 v2, 20, v16
	v_and_b32_e32 v0, 0x80000000, v0
	v_or3_b32 v1, v2, v0, v1
	v_mov_b32_e32 v0, v17
	buffer_store_dword v0, off, s[0:3], s32 offset:376 ; 4-byte Folded Spill
	buffer_store_dword v1, off, s[0:3], s32 offset:380 ; 4-byte Folded Spill
.LBB253_201:                            ;   in Loop: Header=BB253_11 Depth=1
	s_or_b32 exec_lo, exec_lo, s21
.LBB253_202:                            ;   in Loop: Header=BB253_11 Depth=1
	s_or_b32 exec_lo, exec_lo, s17
.LBB253_203:                            ;   in Loop: Header=BB253_11 Depth=1
	s_or_b32 exec_lo, exec_lo, s13
	flat_load_dword v0, v[6:7] offset:520
	v_mov_b32_e32 v1, 0
	v_mov_b32_e32 v2, 0
	buffer_store_dword v1, off, s[0:3], s32 offset:400 ; 4-byte Folded Spill
	buffer_store_dword v2, off, s[0:3], s32 offset:404 ; 4-byte Folded Spill
	v_mov_b32_e32 v1, 0
	v_mov_b32_e32 v2, 0
	buffer_store_dword v1, off, s[0:3], s32 offset:392 ; 4-byte Folded Spill
	buffer_store_dword v2, off, s[0:3], s32 offset:396 ; 4-byte Folded Spill
	s_waitcnt vmcnt(0) lgkmcnt(0)
	v_cmp_ne_u16_sdwa s5, v0, v17 src0_sel:BYTE_0 src1_sel:DWORD
	s_and_saveexec_b32 s13, s5
	s_cbranch_execz .LBB253_211
; %bb.204:                              ;   in Loop: Header=BB253_11 Depth=1
	v_bfrev_b32_e32 v1, 1
	v_mov_b32_e32 v2, 0
	v_cmp_ne_u16_sdwa s5, v0, v45 src0_sel:BYTE_0 src1_sel:DWORD
	buffer_store_dword v1, off, s[0:3], s32 offset:392 ; 4-byte Folded Spill
	buffer_store_dword v2, off, s[0:3], s32 offset:396 ; 4-byte Folded Spill
	s_and_saveexec_b32 s17, s5
	s_cbranch_execz .LBB253_210
; %bb.205:                              ;   in Loop: Header=BB253_11 Depth=1
	v_mov_b32_e32 v3, 0x7f800001
	v_and_b32_e32 v2, 0x7f, v0
	v_mov_b32_e32 v4, 0
	s_mov_b32 s21, exec_lo
	buffer_store_dword v3, off, s[0:3], s32 offset:392 ; 4-byte Folded Spill
	buffer_store_dword v4, off, s[0:3], s32 offset:396 ; 4-byte Folded Spill
	v_cmpx_ne_u32_e32 0x7f, v2
	s_cbranch_execz .LBB253_209
; %bb.206:                              ;   in Loop: Header=BB253_11 Depth=1
	v_and_b32_e32 v16, 7, v0
	v_lshrrev_b32_e32 v1, 3, v2
	s_mov_b32 s22, exec_lo
	v_cmpx_gt_u32_e32 8, v2
; %bb.207:                              ;   in Loop: Header=BB253_11 Depth=1
	v_ffbh_u32_e32 v1, v16
	v_min_u32_e32 v1, 32, v1
	v_subrev_nc_u32_e32 v2, 28, v1
	v_sub_nc_u32_e32 v1, 29, v1
	v_lshlrev_b64 v[2:3], v2, v[16:17]
	v_and_b32_e32 v16, 7, v2
; %bb.208:                              ;   in Loop: Header=BB253_11 Depth=1
	s_or_b32 exec_lo, exec_lo, s22
	v_lshlrev_b32_e32 v2, 24, v0
	v_lshlrev_b32_e32 v3, 20, v16
	v_lshl_add_u32 v1, v1, 23, 0x3c000000
	v_and_b32_e32 v2, 0x80000000, v2
	v_or3_b32 v16, v3, v2, v1
	buffer_store_dword v16, off, s[0:3], s32 offset:392 ; 4-byte Folded Spill
	buffer_store_dword v17, off, s[0:3], s32 offset:396 ; 4-byte Folded Spill
.LBB253_209:                            ;   in Loop: Header=BB253_11 Depth=1
	s_or_b32 exec_lo, exec_lo, s21
.LBB253_210:                            ;   in Loop: Header=BB253_11 Depth=1
	s_or_b32 exec_lo, exec_lo, s17
.LBB253_211:                            ;   in Loop: Header=BB253_11 Depth=1
	s_or_b32 exec_lo, exec_lo, s13
	v_cmp_ne_u16_sdwa s5, v0, v17 src0_sel:BYTE_1 src1_sel:DWORD
	s_and_saveexec_b32 s13, s5
	s_cbranch_execz .LBB253_219
; %bb.212:                              ;   in Loop: Header=BB253_11 Depth=1
	v_mov_b32_e32 v64, v17
	v_cmp_ne_u16_sdwa s5, v0, v45 src0_sel:BYTE_1 src1_sel:DWORD
	buffer_store_dword v64, off, s[0:3], s32 offset:400 ; 4-byte Folded Spill
	buffer_store_dword v65, off, s[0:3], s32 offset:404 ; 4-byte Folded Spill
	s_and_saveexec_b32 s17, s5
	s_cbranch_execz .LBB253_218
; %bb.213:                              ;   in Loop: Header=BB253_11 Depth=1
	v_mov_b32_e32 v1, 0xffff
	v_mov_b32_e32 v10, v17
	s_mov_b32 s21, exec_lo
	buffer_store_dword v10, off, s[0:3], s32 offset:400 ; 4-byte Folded Spill
	buffer_store_dword v11, off, s[0:3], s32 offset:404 ; 4-byte Folded Spill
	v_and_b32_sdwa v1, v1, v0 dst_sel:DWORD dst_unused:UNUSED_PAD src0_sel:DWORD src1_sel:BYTE_1
	v_and_b32_e32 v2, 0x7f, v1
	v_cmpx_ne_u32_e32 0x7f, v2
	s_cbranch_execz .LBB253_217
; %bb.214:                              ;   in Loop: Header=BB253_11 Depth=1
	v_and_b32_e32 v16, 7, v1
	v_lshrrev_b32_e32 v1, 3, v2
	s_mov_b32 s22, exec_lo
	v_cmpx_gt_u32_e32 8, v2
; %bb.215:                              ;   in Loop: Header=BB253_11 Depth=1
	v_ffbh_u32_e32 v1, v16
	v_min_u32_e32 v1, 32, v1
	v_subrev_nc_u32_e32 v2, 28, v1
	v_sub_nc_u32_e32 v1, 29, v1
	v_lshlrev_b64 v[2:3], v2, v[16:17]
	v_and_b32_e32 v16, 7, v2
; %bb.216:                              ;   in Loop: Header=BB253_11 Depth=1
	s_or_b32 exec_lo, exec_lo, s22
	v_lshlrev_b32_e32 v2, 16, v0
	v_lshlrev_b32_e32 v3, 20, v16
	v_lshl_add_u32 v1, v1, 23, 0x3c000000
	v_and_b32_e32 v2, 0x80000000, v2
	v_or3_b32 v2, v3, v2, v1
	v_mov_b32_e32 v1, v17
	buffer_store_dword v1, off, s[0:3], s32 offset:400 ; 4-byte Folded Spill
	buffer_store_dword v2, off, s[0:3], s32 offset:404 ; 4-byte Folded Spill
.LBB253_217:                            ;   in Loop: Header=BB253_11 Depth=1
	s_or_b32 exec_lo, exec_lo, s21
.LBB253_218:                            ;   in Loop: Header=BB253_11 Depth=1
	s_or_b32 exec_lo, exec_lo, s17
.LBB253_219:                            ;   in Loop: Header=BB253_11 Depth=1
	s_or_b32 exec_lo, exec_lo, s13
	v_mov_b32_e32 v2, 0
	v_mov_b32_e32 v3, 0
	v_mov_b32_e32 v1, 0xff
	s_mov_b32 s13, exec_lo
	buffer_store_dword v2, off, s[0:3], s32 offset:408 ; 4-byte Folded Spill
	buffer_store_dword v3, off, s[0:3], s32 offset:412 ; 4-byte Folded Spill
	v_mov_b32_e32 v2, 0
	v_and_b32_sdwa v1, v0, v1 dst_sel:DWORD dst_unused:UNUSED_PAD src0_sel:WORD_1 src1_sel:DWORD
	v_mov_b32_e32 v3, 0
	buffer_store_dword v2, off, s[0:3], s32 offset:416 ; 4-byte Folded Spill
	buffer_store_dword v3, off, s[0:3], s32 offset:420 ; 4-byte Folded Spill
	v_cmpx_ne_u16_e32 0, v1
	s_cbranch_execz .LBB253_227
; %bb.220:                              ;   in Loop: Header=BB253_11 Depth=1
	v_cmp_ne_u16_e64 s5, 0x80, v1
	v_bfrev_b32_e32 v1, 1
	v_mov_b32_e32 v2, 0
	buffer_store_dword v1, off, s[0:3], s32 offset:416 ; 4-byte Folded Spill
	buffer_store_dword v2, off, s[0:3], s32 offset:420 ; 4-byte Folded Spill
	s_and_saveexec_b32 s17, s5
	s_cbranch_execz .LBB253_226
; %bb.221:                              ;   in Loop: Header=BB253_11 Depth=1
	v_mov_b32_e32 v3, 0x7f800001
	v_bfe_u32 v2, v0, 16, 7
	v_mov_b32_e32 v4, 0
	s_mov_b32 s21, exec_lo
	buffer_store_dword v3, off, s[0:3], s32 offset:416 ; 4-byte Folded Spill
	buffer_store_dword v4, off, s[0:3], s32 offset:420 ; 4-byte Folded Spill
	v_cmpx_ne_u32_e32 0x7f, v2
	s_cbranch_execz .LBB253_225
; %bb.222:                              ;   in Loop: Header=BB253_11 Depth=1
	v_mov_b32_e32 v1, 7
	s_mov_b32 s22, exec_lo
	v_and_b32_sdwa v16, v0, v1 dst_sel:DWORD dst_unused:UNUSED_PAD src0_sel:WORD_1 src1_sel:DWORD
	v_lshrrev_b32_e32 v1, 3, v2
	v_cmpx_gt_u32_e32 8, v2
; %bb.223:                              ;   in Loop: Header=BB253_11 Depth=1
	v_ffbh_u32_e32 v1, v16
	v_min_u32_e32 v1, 32, v1
	v_subrev_nc_u32_e32 v2, 28, v1
	v_sub_nc_u32_e32 v1, 29, v1
	v_lshlrev_b64 v[2:3], v2, v[16:17]
	v_and_b32_e32 v16, 7, v2
; %bb.224:                              ;   in Loop: Header=BB253_11 Depth=1
	s_or_b32 exec_lo, exec_lo, s22
	v_mov_b32_e32 v2, 24
	v_lshlrev_b32_e32 v3, 20, v16
	v_lshl_add_u32 v1, v1, 23, 0x3c000000
	v_lshlrev_b32_sdwa v2, v2, v0 dst_sel:DWORD dst_unused:UNUSED_PAD src0_sel:DWORD src1_sel:WORD_1
	v_and_b32_e32 v2, 0x80000000, v2
	v_or3_b32 v16, v3, v2, v1
	buffer_store_dword v16, off, s[0:3], s32 offset:416 ; 4-byte Folded Spill
	buffer_store_dword v17, off, s[0:3], s32 offset:420 ; 4-byte Folded Spill
.LBB253_225:                            ;   in Loop: Header=BB253_11 Depth=1
	s_or_b32 exec_lo, exec_lo, s21
.LBB253_226:                            ;   in Loop: Header=BB253_11 Depth=1
	s_or_b32 exec_lo, exec_lo, s17
.LBB253_227:                            ;   in Loop: Header=BB253_11 Depth=1
	s_or_b32 exec_lo, exec_lo, s13
	s_mov_b32 s13, exec_lo
	v_cmpx_lt_u32_e32 0xffffff, v0
	s_cbranch_execz .LBB253_235
; %bb.228:                              ;   in Loop: Header=BB253_11 Depth=1
	v_mov_b32_e32 v64, v17
	v_cmp_ne_u32_sdwa s5, v0, v45 src0_sel:BYTE_3 src1_sel:DWORD
	buffer_store_dword v64, off, s[0:3], s32 offset:408 ; 4-byte Folded Spill
	buffer_store_dword v65, off, s[0:3], s32 offset:412 ; 4-byte Folded Spill
	s_and_saveexec_b32 s17, s5
	s_cbranch_execz .LBB253_234
; %bb.229:                              ;   in Loop: Header=BB253_11 Depth=1
	v_bfe_u32 v2, v0, 24, 7
	v_mov_b32_e32 v10, v17
	s_mov_b32 s21, exec_lo
	buffer_store_dword v10, off, s[0:3], s32 offset:408 ; 4-byte Folded Spill
	buffer_store_dword v11, off, s[0:3], s32 offset:412 ; 4-byte Folded Spill
	v_cmpx_ne_u32_e32 0x7f, v2
	s_cbranch_execz .LBB253_233
; %bb.230:                              ;   in Loop: Header=BB253_11 Depth=1
	v_mov_b32_e32 v1, 7
	s_mov_b32 s22, exec_lo
	v_and_b32_sdwa v16, v0, v1 dst_sel:DWORD dst_unused:UNUSED_PAD src0_sel:BYTE_3 src1_sel:DWORD
	v_lshrrev_b32_e32 v1, 3, v2
	v_cmpx_gt_u32_e32 8, v2
; %bb.231:                              ;   in Loop: Header=BB253_11 Depth=1
	v_ffbh_u32_e32 v1, v16
	v_min_u32_e32 v1, 32, v1
	v_subrev_nc_u32_e32 v2, 28, v1
	v_sub_nc_u32_e32 v1, 29, v1
	v_lshlrev_b64 v[2:3], v2, v[16:17]
	v_and_b32_e32 v16, 7, v2
; %bb.232:                              ;   in Loop: Header=BB253_11 Depth=1
	s_or_b32 exec_lo, exec_lo, s22
	v_mov_b32_e32 v2, 24
	v_lshl_add_u32 v1, v1, 23, 0x3c000000
	v_lshlrev_b32_sdwa v0, v2, v0 dst_sel:DWORD dst_unused:UNUSED_PAD src0_sel:DWORD src1_sel:BYTE_3
	v_lshlrev_b32_e32 v2, 20, v16
	v_and_b32_e32 v0, 0x80000000, v0
	v_or3_b32 v1, v2, v0, v1
	v_mov_b32_e32 v0, v17
	buffer_store_dword v0, off, s[0:3], s32 offset:408 ; 4-byte Folded Spill
	buffer_store_dword v1, off, s[0:3], s32 offset:412 ; 4-byte Folded Spill
.LBB253_233:                            ;   in Loop: Header=BB253_11 Depth=1
	s_or_b32 exec_lo, exec_lo, s21
.LBB253_234:                            ;   in Loop: Header=BB253_11 Depth=1
	s_or_b32 exec_lo, exec_lo, s17
.LBB253_235:                            ;   in Loop: Header=BB253_11 Depth=1
	s_or_b32 exec_lo, exec_lo, s13
	flat_load_dword v0, v[6:7] offset:524
	v_mov_b32_e32 v1, 0
	v_mov_b32_e32 v2, 0
	buffer_store_dword v1, off, s[0:3], s32 offset:432 ; 4-byte Folded Spill
	buffer_store_dword v2, off, s[0:3], s32 offset:436 ; 4-byte Folded Spill
	v_mov_b32_e32 v1, 0
	v_mov_b32_e32 v2, 0
	buffer_store_dword v1, off, s[0:3], s32 offset:424 ; 4-byte Folded Spill
	buffer_store_dword v2, off, s[0:3], s32 offset:428 ; 4-byte Folded Spill
	s_waitcnt vmcnt(0) lgkmcnt(0)
	v_cmp_ne_u16_sdwa s5, v0, v17 src0_sel:BYTE_0 src1_sel:DWORD
	s_and_saveexec_b32 s13, s5
	s_cbranch_execz .LBB253_243
; %bb.236:                              ;   in Loop: Header=BB253_11 Depth=1
	v_bfrev_b32_e32 v1, 1
	v_mov_b32_e32 v2, 0
	v_cmp_ne_u16_sdwa s5, v0, v45 src0_sel:BYTE_0 src1_sel:DWORD
	buffer_store_dword v1, off, s[0:3], s32 offset:424 ; 4-byte Folded Spill
	buffer_store_dword v2, off, s[0:3], s32 offset:428 ; 4-byte Folded Spill
	s_and_saveexec_b32 s17, s5
	s_cbranch_execz .LBB253_242
; %bb.237:                              ;   in Loop: Header=BB253_11 Depth=1
	v_mov_b32_e32 v3, 0x7f800001
	v_and_b32_e32 v2, 0x7f, v0
	v_mov_b32_e32 v4, 0
	s_mov_b32 s21, exec_lo
	buffer_store_dword v3, off, s[0:3], s32 offset:424 ; 4-byte Folded Spill
	buffer_store_dword v4, off, s[0:3], s32 offset:428 ; 4-byte Folded Spill
	v_cmpx_ne_u32_e32 0x7f, v2
	s_cbranch_execz .LBB253_241
; %bb.238:                              ;   in Loop: Header=BB253_11 Depth=1
	v_and_b32_e32 v16, 7, v0
	v_lshrrev_b32_e32 v1, 3, v2
	s_mov_b32 s22, exec_lo
	v_cmpx_gt_u32_e32 8, v2
; %bb.239:                              ;   in Loop: Header=BB253_11 Depth=1
	v_ffbh_u32_e32 v1, v16
	v_min_u32_e32 v1, 32, v1
	v_subrev_nc_u32_e32 v2, 28, v1
	v_sub_nc_u32_e32 v1, 29, v1
	v_lshlrev_b64 v[2:3], v2, v[16:17]
	v_and_b32_e32 v16, 7, v2
; %bb.240:                              ;   in Loop: Header=BB253_11 Depth=1
	s_or_b32 exec_lo, exec_lo, s22
	v_lshlrev_b32_e32 v2, 24, v0
	v_lshlrev_b32_e32 v3, 20, v16
	v_lshl_add_u32 v1, v1, 23, 0x3c000000
	v_and_b32_e32 v2, 0x80000000, v2
	v_or3_b32 v16, v3, v2, v1
	buffer_store_dword v16, off, s[0:3], s32 offset:424 ; 4-byte Folded Spill
	buffer_store_dword v17, off, s[0:3], s32 offset:428 ; 4-byte Folded Spill
.LBB253_241:                            ;   in Loop: Header=BB253_11 Depth=1
	s_or_b32 exec_lo, exec_lo, s21
.LBB253_242:                            ;   in Loop: Header=BB253_11 Depth=1
	s_or_b32 exec_lo, exec_lo, s17
.LBB253_243:                            ;   in Loop: Header=BB253_11 Depth=1
	s_or_b32 exec_lo, exec_lo, s13
	v_cmp_ne_u16_sdwa s5, v0, v17 src0_sel:BYTE_1 src1_sel:DWORD
	s_and_saveexec_b32 s13, s5
	s_cbranch_execz .LBB253_251
; %bb.244:                              ;   in Loop: Header=BB253_11 Depth=1
	v_mov_b32_e32 v64, v17
	v_cmp_ne_u16_sdwa s5, v0, v45 src0_sel:BYTE_1 src1_sel:DWORD
	buffer_store_dword v64, off, s[0:3], s32 offset:432 ; 4-byte Folded Spill
	buffer_store_dword v65, off, s[0:3], s32 offset:436 ; 4-byte Folded Spill
	s_and_saveexec_b32 s17, s5
	s_cbranch_execz .LBB253_250
; %bb.245:                              ;   in Loop: Header=BB253_11 Depth=1
	v_mov_b32_e32 v1, 0xffff
	v_mov_b32_e32 v10, v17
	s_mov_b32 s21, exec_lo
	buffer_store_dword v10, off, s[0:3], s32 offset:432 ; 4-byte Folded Spill
	buffer_store_dword v11, off, s[0:3], s32 offset:436 ; 4-byte Folded Spill
	v_and_b32_sdwa v1, v1, v0 dst_sel:DWORD dst_unused:UNUSED_PAD src0_sel:DWORD src1_sel:BYTE_1
	v_and_b32_e32 v2, 0x7f, v1
	v_cmpx_ne_u32_e32 0x7f, v2
	s_cbranch_execz .LBB253_249
; %bb.246:                              ;   in Loop: Header=BB253_11 Depth=1
	v_and_b32_e32 v16, 7, v1
	v_lshrrev_b32_e32 v1, 3, v2
	s_mov_b32 s22, exec_lo
	v_cmpx_gt_u32_e32 8, v2
; %bb.247:                              ;   in Loop: Header=BB253_11 Depth=1
	v_ffbh_u32_e32 v1, v16
	v_min_u32_e32 v1, 32, v1
	v_subrev_nc_u32_e32 v2, 28, v1
	v_sub_nc_u32_e32 v1, 29, v1
	v_lshlrev_b64 v[2:3], v2, v[16:17]
	v_and_b32_e32 v16, 7, v2
; %bb.248:                              ;   in Loop: Header=BB253_11 Depth=1
	s_or_b32 exec_lo, exec_lo, s22
	v_lshlrev_b32_e32 v2, 16, v0
	v_lshlrev_b32_e32 v3, 20, v16
	v_lshl_add_u32 v1, v1, 23, 0x3c000000
	v_and_b32_e32 v2, 0x80000000, v2
	v_or3_b32 v2, v3, v2, v1
	v_mov_b32_e32 v1, v17
	buffer_store_dword v1, off, s[0:3], s32 offset:432 ; 4-byte Folded Spill
	buffer_store_dword v2, off, s[0:3], s32 offset:436 ; 4-byte Folded Spill
.LBB253_249:                            ;   in Loop: Header=BB253_11 Depth=1
	s_or_b32 exec_lo, exec_lo, s21
.LBB253_250:                            ;   in Loop: Header=BB253_11 Depth=1
	s_or_b32 exec_lo, exec_lo, s17
.LBB253_251:                            ;   in Loop: Header=BB253_11 Depth=1
	s_or_b32 exec_lo, exec_lo, s13
	v_mov_b32_e32 v2, 0
	v_mov_b32_e32 v3, 0
	;; [unrolled: 1-line block ×3, first 2 shown]
	s_mov_b32 s13, exec_lo
	buffer_store_dword v2, off, s[0:3], s32 offset:440 ; 4-byte Folded Spill
	buffer_store_dword v3, off, s[0:3], s32 offset:444 ; 4-byte Folded Spill
	v_mov_b32_e32 v2, 0
	v_and_b32_sdwa v1, v0, v1 dst_sel:DWORD dst_unused:UNUSED_PAD src0_sel:WORD_1 src1_sel:DWORD
	v_mov_b32_e32 v3, 0
	buffer_store_dword v2, off, s[0:3], s32 offset:448 ; 4-byte Folded Spill
	buffer_store_dword v3, off, s[0:3], s32 offset:452 ; 4-byte Folded Spill
	v_cmpx_ne_u16_e32 0, v1
	s_cbranch_execz .LBB253_259
; %bb.252:                              ;   in Loop: Header=BB253_11 Depth=1
	v_cmp_ne_u16_e64 s5, 0x80, v1
	v_bfrev_b32_e32 v1, 1
	v_mov_b32_e32 v2, 0
	buffer_store_dword v1, off, s[0:3], s32 offset:448 ; 4-byte Folded Spill
	buffer_store_dword v2, off, s[0:3], s32 offset:452 ; 4-byte Folded Spill
	s_and_saveexec_b32 s17, s5
	s_cbranch_execz .LBB253_258
; %bb.253:                              ;   in Loop: Header=BB253_11 Depth=1
	v_mov_b32_e32 v3, 0x7f800001
	v_bfe_u32 v2, v0, 16, 7
	v_mov_b32_e32 v4, 0
	s_mov_b32 s21, exec_lo
	buffer_store_dword v3, off, s[0:3], s32 offset:448 ; 4-byte Folded Spill
	buffer_store_dword v4, off, s[0:3], s32 offset:452 ; 4-byte Folded Spill
	v_cmpx_ne_u32_e32 0x7f, v2
	s_cbranch_execz .LBB253_257
; %bb.254:                              ;   in Loop: Header=BB253_11 Depth=1
	v_mov_b32_e32 v1, 7
	s_mov_b32 s22, exec_lo
	v_and_b32_sdwa v16, v0, v1 dst_sel:DWORD dst_unused:UNUSED_PAD src0_sel:WORD_1 src1_sel:DWORD
	v_lshrrev_b32_e32 v1, 3, v2
	v_cmpx_gt_u32_e32 8, v2
; %bb.255:                              ;   in Loop: Header=BB253_11 Depth=1
	v_ffbh_u32_e32 v1, v16
	v_min_u32_e32 v1, 32, v1
	v_subrev_nc_u32_e32 v2, 28, v1
	v_sub_nc_u32_e32 v1, 29, v1
	v_lshlrev_b64 v[2:3], v2, v[16:17]
	v_and_b32_e32 v16, 7, v2
; %bb.256:                              ;   in Loop: Header=BB253_11 Depth=1
	s_or_b32 exec_lo, exec_lo, s22
	v_mov_b32_e32 v2, 24
	v_lshlrev_b32_e32 v3, 20, v16
	v_lshl_add_u32 v1, v1, 23, 0x3c000000
	v_lshlrev_b32_sdwa v2, v2, v0 dst_sel:DWORD dst_unused:UNUSED_PAD src0_sel:DWORD src1_sel:WORD_1
	v_and_b32_e32 v2, 0x80000000, v2
	v_or3_b32 v16, v3, v2, v1
	buffer_store_dword v16, off, s[0:3], s32 offset:448 ; 4-byte Folded Spill
	buffer_store_dword v17, off, s[0:3], s32 offset:452 ; 4-byte Folded Spill
.LBB253_257:                            ;   in Loop: Header=BB253_11 Depth=1
	s_or_b32 exec_lo, exec_lo, s21
.LBB253_258:                            ;   in Loop: Header=BB253_11 Depth=1
	s_or_b32 exec_lo, exec_lo, s17
.LBB253_259:                            ;   in Loop: Header=BB253_11 Depth=1
	s_or_b32 exec_lo, exec_lo, s13
	s_mov_b32 s13, exec_lo
	v_cmpx_lt_u32_e32 0xffffff, v0
	s_cbranch_execz .LBB253_267
; %bb.260:                              ;   in Loop: Header=BB253_11 Depth=1
	v_mov_b32_e32 v64, v17
	v_cmp_ne_u32_sdwa s5, v0, v45 src0_sel:BYTE_3 src1_sel:DWORD
	buffer_store_dword v64, off, s[0:3], s32 offset:440 ; 4-byte Folded Spill
	buffer_store_dword v65, off, s[0:3], s32 offset:444 ; 4-byte Folded Spill
	s_and_saveexec_b32 s17, s5
	s_cbranch_execz .LBB253_266
; %bb.261:                              ;   in Loop: Header=BB253_11 Depth=1
	v_bfe_u32 v2, v0, 24, 7
	v_mov_b32_e32 v10, v17
	s_mov_b32 s21, exec_lo
	buffer_store_dword v10, off, s[0:3], s32 offset:440 ; 4-byte Folded Spill
	buffer_store_dword v11, off, s[0:3], s32 offset:444 ; 4-byte Folded Spill
	v_cmpx_ne_u32_e32 0x7f, v2
	s_cbranch_execz .LBB253_265
; %bb.262:                              ;   in Loop: Header=BB253_11 Depth=1
	v_mov_b32_e32 v1, 7
	s_mov_b32 s22, exec_lo
	v_and_b32_sdwa v16, v0, v1 dst_sel:DWORD dst_unused:UNUSED_PAD src0_sel:BYTE_3 src1_sel:DWORD
	v_lshrrev_b32_e32 v1, 3, v2
	v_cmpx_gt_u32_e32 8, v2
; %bb.263:                              ;   in Loop: Header=BB253_11 Depth=1
	v_ffbh_u32_e32 v1, v16
	v_min_u32_e32 v1, 32, v1
	v_subrev_nc_u32_e32 v2, 28, v1
	v_sub_nc_u32_e32 v1, 29, v1
	v_lshlrev_b64 v[2:3], v2, v[16:17]
	v_and_b32_e32 v16, 7, v2
; %bb.264:                              ;   in Loop: Header=BB253_11 Depth=1
	s_or_b32 exec_lo, exec_lo, s22
	v_mov_b32_e32 v2, 24
	v_lshl_add_u32 v1, v1, 23, 0x3c000000
	v_lshlrev_b32_sdwa v0, v2, v0 dst_sel:DWORD dst_unused:UNUSED_PAD src0_sel:DWORD src1_sel:BYTE_3
	v_lshlrev_b32_e32 v2, 20, v16
	v_and_b32_e32 v0, 0x80000000, v0
	v_or3_b32 v1, v2, v0, v1
	v_mov_b32_e32 v0, v17
	buffer_store_dword v0, off, s[0:3], s32 offset:440 ; 4-byte Folded Spill
	buffer_store_dword v1, off, s[0:3], s32 offset:444 ; 4-byte Folded Spill
.LBB253_265:                            ;   in Loop: Header=BB253_11 Depth=1
	s_or_b32 exec_lo, exec_lo, s21
.LBB253_266:                            ;   in Loop: Header=BB253_11 Depth=1
	s_or_b32 exec_lo, exec_lo, s17
.LBB253_267:                            ;   in Loop: Header=BB253_11 Depth=1
	s_or_b32 exec_lo, exec_lo, s13
	flat_load_dword v0, v[6:7] offset:1024
	v_mov_b32_e32 v1, 0
	v_mov_b32_e32 v2, 0
	buffer_store_dword v1, off, s[0:3], s32 offset:464 ; 4-byte Folded Spill
	buffer_store_dword v2, off, s[0:3], s32 offset:468 ; 4-byte Folded Spill
	v_mov_b32_e32 v1, 0
	v_mov_b32_e32 v2, 0
	buffer_store_dword v1, off, s[0:3], s32 offset:456 ; 4-byte Folded Spill
	buffer_store_dword v2, off, s[0:3], s32 offset:460 ; 4-byte Folded Spill
	s_waitcnt vmcnt(0) lgkmcnt(0)
	v_cmp_ne_u16_sdwa s5, v0, v17 src0_sel:BYTE_0 src1_sel:DWORD
	s_and_saveexec_b32 s13, s5
	s_cbranch_execz .LBB253_275
; %bb.268:                              ;   in Loop: Header=BB253_11 Depth=1
	v_bfrev_b32_e32 v1, 1
	v_mov_b32_e32 v2, 0
	v_cmp_ne_u16_sdwa s5, v0, v45 src0_sel:BYTE_0 src1_sel:DWORD
	buffer_store_dword v1, off, s[0:3], s32 offset:456 ; 4-byte Folded Spill
	buffer_store_dword v2, off, s[0:3], s32 offset:460 ; 4-byte Folded Spill
	s_and_saveexec_b32 s17, s5
	s_cbranch_execz .LBB253_274
; %bb.269:                              ;   in Loop: Header=BB253_11 Depth=1
	v_mov_b32_e32 v3, 0x7f800001
	v_and_b32_e32 v2, 0x7f, v0
	v_mov_b32_e32 v4, 0
	s_mov_b32 s21, exec_lo
	buffer_store_dword v3, off, s[0:3], s32 offset:456 ; 4-byte Folded Spill
	buffer_store_dword v4, off, s[0:3], s32 offset:460 ; 4-byte Folded Spill
	v_cmpx_ne_u32_e32 0x7f, v2
	s_cbranch_execz .LBB253_273
; %bb.270:                              ;   in Loop: Header=BB253_11 Depth=1
	v_and_b32_e32 v16, 7, v0
	v_lshrrev_b32_e32 v1, 3, v2
	s_mov_b32 s22, exec_lo
	v_cmpx_gt_u32_e32 8, v2
; %bb.271:                              ;   in Loop: Header=BB253_11 Depth=1
	v_ffbh_u32_e32 v1, v16
	v_min_u32_e32 v1, 32, v1
	v_subrev_nc_u32_e32 v2, 28, v1
	v_sub_nc_u32_e32 v1, 29, v1
	v_lshlrev_b64 v[2:3], v2, v[16:17]
	v_and_b32_e32 v16, 7, v2
; %bb.272:                              ;   in Loop: Header=BB253_11 Depth=1
	s_or_b32 exec_lo, exec_lo, s22
	v_lshlrev_b32_e32 v2, 24, v0
	v_lshlrev_b32_e32 v3, 20, v16
	v_lshl_add_u32 v1, v1, 23, 0x3c000000
	v_and_b32_e32 v2, 0x80000000, v2
	v_or3_b32 v16, v3, v2, v1
	buffer_store_dword v16, off, s[0:3], s32 offset:456 ; 4-byte Folded Spill
	buffer_store_dword v17, off, s[0:3], s32 offset:460 ; 4-byte Folded Spill
.LBB253_273:                            ;   in Loop: Header=BB253_11 Depth=1
	s_or_b32 exec_lo, exec_lo, s21
.LBB253_274:                            ;   in Loop: Header=BB253_11 Depth=1
	s_or_b32 exec_lo, exec_lo, s17
.LBB253_275:                            ;   in Loop: Header=BB253_11 Depth=1
	s_or_b32 exec_lo, exec_lo, s13
	v_cmp_ne_u16_sdwa s5, v0, v17 src0_sel:BYTE_1 src1_sel:DWORD
	s_and_saveexec_b32 s13, s5
	s_cbranch_execz .LBB253_283
; %bb.276:                              ;   in Loop: Header=BB253_11 Depth=1
	v_mov_b32_e32 v64, v17
	v_cmp_ne_u16_sdwa s5, v0, v45 src0_sel:BYTE_1 src1_sel:DWORD
	buffer_store_dword v64, off, s[0:3], s32 offset:464 ; 4-byte Folded Spill
	buffer_store_dword v65, off, s[0:3], s32 offset:468 ; 4-byte Folded Spill
	s_and_saveexec_b32 s17, s5
	s_cbranch_execz .LBB253_282
; %bb.277:                              ;   in Loop: Header=BB253_11 Depth=1
	v_mov_b32_e32 v1, 0xffff
	v_mov_b32_e32 v10, v17
	s_mov_b32 s21, exec_lo
	buffer_store_dword v10, off, s[0:3], s32 offset:464 ; 4-byte Folded Spill
	buffer_store_dword v11, off, s[0:3], s32 offset:468 ; 4-byte Folded Spill
	v_and_b32_sdwa v1, v1, v0 dst_sel:DWORD dst_unused:UNUSED_PAD src0_sel:DWORD src1_sel:BYTE_1
	v_and_b32_e32 v2, 0x7f, v1
	v_cmpx_ne_u32_e32 0x7f, v2
	s_cbranch_execz .LBB253_281
; %bb.278:                              ;   in Loop: Header=BB253_11 Depth=1
	v_and_b32_e32 v16, 7, v1
	v_lshrrev_b32_e32 v1, 3, v2
	s_mov_b32 s22, exec_lo
	v_cmpx_gt_u32_e32 8, v2
; %bb.279:                              ;   in Loop: Header=BB253_11 Depth=1
	v_ffbh_u32_e32 v1, v16
	v_min_u32_e32 v1, 32, v1
	v_subrev_nc_u32_e32 v2, 28, v1
	v_sub_nc_u32_e32 v1, 29, v1
	v_lshlrev_b64 v[2:3], v2, v[16:17]
	v_and_b32_e32 v16, 7, v2
; %bb.280:                              ;   in Loop: Header=BB253_11 Depth=1
	s_or_b32 exec_lo, exec_lo, s22
	v_lshlrev_b32_e32 v2, 16, v0
	v_lshlrev_b32_e32 v3, 20, v16
	v_lshl_add_u32 v1, v1, 23, 0x3c000000
	v_and_b32_e32 v2, 0x80000000, v2
	v_or3_b32 v2, v3, v2, v1
	v_mov_b32_e32 v1, v17
	buffer_store_dword v1, off, s[0:3], s32 offset:464 ; 4-byte Folded Spill
	buffer_store_dword v2, off, s[0:3], s32 offset:468 ; 4-byte Folded Spill
.LBB253_281:                            ;   in Loop: Header=BB253_11 Depth=1
	s_or_b32 exec_lo, exec_lo, s21
.LBB253_282:                            ;   in Loop: Header=BB253_11 Depth=1
	s_or_b32 exec_lo, exec_lo, s17
.LBB253_283:                            ;   in Loop: Header=BB253_11 Depth=1
	s_or_b32 exec_lo, exec_lo, s13
	v_mov_b32_e32 v2, 0
	v_mov_b32_e32 v3, 0
	;; [unrolled: 1-line block ×3, first 2 shown]
	s_mov_b32 s13, exec_lo
	buffer_store_dword v2, off, s[0:3], s32 offset:472 ; 4-byte Folded Spill
	buffer_store_dword v3, off, s[0:3], s32 offset:476 ; 4-byte Folded Spill
	v_mov_b32_e32 v2, 0
	v_and_b32_sdwa v1, v0, v1 dst_sel:DWORD dst_unused:UNUSED_PAD src0_sel:WORD_1 src1_sel:DWORD
	v_mov_b32_e32 v3, 0
	buffer_store_dword v2, off, s[0:3], s32 offset:480 ; 4-byte Folded Spill
	buffer_store_dword v3, off, s[0:3], s32 offset:484 ; 4-byte Folded Spill
	v_cmpx_ne_u16_e32 0, v1
	s_cbranch_execz .LBB253_291
; %bb.284:                              ;   in Loop: Header=BB253_11 Depth=1
	v_cmp_ne_u16_e64 s5, 0x80, v1
	v_bfrev_b32_e32 v1, 1
	v_mov_b32_e32 v2, 0
	buffer_store_dword v1, off, s[0:3], s32 offset:480 ; 4-byte Folded Spill
	buffer_store_dword v2, off, s[0:3], s32 offset:484 ; 4-byte Folded Spill
	s_and_saveexec_b32 s17, s5
	s_cbranch_execz .LBB253_290
; %bb.285:                              ;   in Loop: Header=BB253_11 Depth=1
	v_mov_b32_e32 v3, 0x7f800001
	v_bfe_u32 v2, v0, 16, 7
	v_mov_b32_e32 v4, 0
	s_mov_b32 s21, exec_lo
	buffer_store_dword v3, off, s[0:3], s32 offset:480 ; 4-byte Folded Spill
	buffer_store_dword v4, off, s[0:3], s32 offset:484 ; 4-byte Folded Spill
	v_cmpx_ne_u32_e32 0x7f, v2
	s_cbranch_execz .LBB253_289
; %bb.286:                              ;   in Loop: Header=BB253_11 Depth=1
	v_mov_b32_e32 v1, 7
	s_mov_b32 s22, exec_lo
	v_and_b32_sdwa v16, v0, v1 dst_sel:DWORD dst_unused:UNUSED_PAD src0_sel:WORD_1 src1_sel:DWORD
	v_lshrrev_b32_e32 v1, 3, v2
	v_cmpx_gt_u32_e32 8, v2
; %bb.287:                              ;   in Loop: Header=BB253_11 Depth=1
	v_ffbh_u32_e32 v1, v16
	v_min_u32_e32 v1, 32, v1
	v_subrev_nc_u32_e32 v2, 28, v1
	v_sub_nc_u32_e32 v1, 29, v1
	v_lshlrev_b64 v[2:3], v2, v[16:17]
	v_and_b32_e32 v16, 7, v2
; %bb.288:                              ;   in Loop: Header=BB253_11 Depth=1
	s_or_b32 exec_lo, exec_lo, s22
	v_mov_b32_e32 v2, 24
	v_lshlrev_b32_e32 v3, 20, v16
	v_lshl_add_u32 v1, v1, 23, 0x3c000000
	v_lshlrev_b32_sdwa v2, v2, v0 dst_sel:DWORD dst_unused:UNUSED_PAD src0_sel:DWORD src1_sel:WORD_1
	v_and_b32_e32 v2, 0x80000000, v2
	v_or3_b32 v16, v3, v2, v1
	buffer_store_dword v16, off, s[0:3], s32 offset:480 ; 4-byte Folded Spill
	buffer_store_dword v17, off, s[0:3], s32 offset:484 ; 4-byte Folded Spill
.LBB253_289:                            ;   in Loop: Header=BB253_11 Depth=1
	s_or_b32 exec_lo, exec_lo, s21
.LBB253_290:                            ;   in Loop: Header=BB253_11 Depth=1
	s_or_b32 exec_lo, exec_lo, s17
.LBB253_291:                            ;   in Loop: Header=BB253_11 Depth=1
	s_or_b32 exec_lo, exec_lo, s13
	s_mov_b32 s13, exec_lo
	v_cmpx_lt_u32_e32 0xffffff, v0
	s_cbranch_execz .LBB253_299
; %bb.292:                              ;   in Loop: Header=BB253_11 Depth=1
	v_mov_b32_e32 v64, v17
	v_cmp_ne_u32_sdwa s5, v0, v45 src0_sel:BYTE_3 src1_sel:DWORD
	buffer_store_dword v64, off, s[0:3], s32 offset:472 ; 4-byte Folded Spill
	buffer_store_dword v65, off, s[0:3], s32 offset:476 ; 4-byte Folded Spill
	s_and_saveexec_b32 s17, s5
	s_cbranch_execz .LBB253_298
; %bb.293:                              ;   in Loop: Header=BB253_11 Depth=1
	v_bfe_u32 v2, v0, 24, 7
	v_mov_b32_e32 v10, v17
	s_mov_b32 s21, exec_lo
	buffer_store_dword v10, off, s[0:3], s32 offset:472 ; 4-byte Folded Spill
	buffer_store_dword v11, off, s[0:3], s32 offset:476 ; 4-byte Folded Spill
	v_cmpx_ne_u32_e32 0x7f, v2
	s_cbranch_execz .LBB253_297
; %bb.294:                              ;   in Loop: Header=BB253_11 Depth=1
	v_mov_b32_e32 v1, 7
	s_mov_b32 s22, exec_lo
	v_and_b32_sdwa v16, v0, v1 dst_sel:DWORD dst_unused:UNUSED_PAD src0_sel:BYTE_3 src1_sel:DWORD
	v_lshrrev_b32_e32 v1, 3, v2
	v_cmpx_gt_u32_e32 8, v2
; %bb.295:                              ;   in Loop: Header=BB253_11 Depth=1
	v_ffbh_u32_e32 v1, v16
	v_min_u32_e32 v1, 32, v1
	v_subrev_nc_u32_e32 v2, 28, v1
	v_sub_nc_u32_e32 v1, 29, v1
	v_lshlrev_b64 v[2:3], v2, v[16:17]
	v_and_b32_e32 v16, 7, v2
; %bb.296:                              ;   in Loop: Header=BB253_11 Depth=1
	s_or_b32 exec_lo, exec_lo, s22
	v_mov_b32_e32 v2, 24
	v_lshl_add_u32 v1, v1, 23, 0x3c000000
	v_lshlrev_b32_sdwa v0, v2, v0 dst_sel:DWORD dst_unused:UNUSED_PAD src0_sel:DWORD src1_sel:BYTE_3
	v_lshlrev_b32_e32 v2, 20, v16
	v_and_b32_e32 v0, 0x80000000, v0
	v_or3_b32 v1, v2, v0, v1
	v_mov_b32_e32 v0, v17
	buffer_store_dword v0, off, s[0:3], s32 offset:472 ; 4-byte Folded Spill
	buffer_store_dword v1, off, s[0:3], s32 offset:476 ; 4-byte Folded Spill
.LBB253_297:                            ;   in Loop: Header=BB253_11 Depth=1
	s_or_b32 exec_lo, exec_lo, s21
.LBB253_298:                            ;   in Loop: Header=BB253_11 Depth=1
	s_or_b32 exec_lo, exec_lo, s17
.LBB253_299:                            ;   in Loop: Header=BB253_11 Depth=1
	s_or_b32 exec_lo, exec_lo, s13
	flat_load_dword v0, v[6:7] offset:1028
	v_mov_b32_e32 v1, 0
	v_mov_b32_e32 v2, 0
	buffer_store_dword v1, off, s[0:3], s32 offset:496 ; 4-byte Folded Spill
	buffer_store_dword v2, off, s[0:3], s32 offset:500 ; 4-byte Folded Spill
	v_mov_b32_e32 v1, 0
	v_mov_b32_e32 v2, 0
	buffer_store_dword v1, off, s[0:3], s32 offset:488 ; 4-byte Folded Spill
	buffer_store_dword v2, off, s[0:3], s32 offset:492 ; 4-byte Folded Spill
	s_waitcnt vmcnt(0) lgkmcnt(0)
	v_cmp_ne_u16_sdwa s5, v0, v17 src0_sel:BYTE_0 src1_sel:DWORD
	s_and_saveexec_b32 s13, s5
	s_cbranch_execz .LBB253_307
; %bb.300:                              ;   in Loop: Header=BB253_11 Depth=1
	v_bfrev_b32_e32 v1, 1
	v_mov_b32_e32 v2, 0
	v_cmp_ne_u16_sdwa s5, v0, v45 src0_sel:BYTE_0 src1_sel:DWORD
	buffer_store_dword v1, off, s[0:3], s32 offset:488 ; 4-byte Folded Spill
	buffer_store_dword v2, off, s[0:3], s32 offset:492 ; 4-byte Folded Spill
	s_and_saveexec_b32 s17, s5
	s_cbranch_execz .LBB253_306
; %bb.301:                              ;   in Loop: Header=BB253_11 Depth=1
	v_mov_b32_e32 v3, 0x7f800001
	v_and_b32_e32 v2, 0x7f, v0
	v_mov_b32_e32 v4, 0
	s_mov_b32 s21, exec_lo
	buffer_store_dword v3, off, s[0:3], s32 offset:488 ; 4-byte Folded Spill
	buffer_store_dword v4, off, s[0:3], s32 offset:492 ; 4-byte Folded Spill
	v_cmpx_ne_u32_e32 0x7f, v2
	s_cbranch_execz .LBB253_305
; %bb.302:                              ;   in Loop: Header=BB253_11 Depth=1
	v_and_b32_e32 v16, 7, v0
	v_lshrrev_b32_e32 v1, 3, v2
	s_mov_b32 s22, exec_lo
	v_cmpx_gt_u32_e32 8, v2
; %bb.303:                              ;   in Loop: Header=BB253_11 Depth=1
	v_ffbh_u32_e32 v1, v16
	v_min_u32_e32 v1, 32, v1
	v_subrev_nc_u32_e32 v2, 28, v1
	v_sub_nc_u32_e32 v1, 29, v1
	v_lshlrev_b64 v[2:3], v2, v[16:17]
	v_and_b32_e32 v16, 7, v2
; %bb.304:                              ;   in Loop: Header=BB253_11 Depth=1
	s_or_b32 exec_lo, exec_lo, s22
	v_lshlrev_b32_e32 v2, 24, v0
	v_lshlrev_b32_e32 v3, 20, v16
	v_lshl_add_u32 v1, v1, 23, 0x3c000000
	v_and_b32_e32 v2, 0x80000000, v2
	v_or3_b32 v16, v3, v2, v1
	buffer_store_dword v16, off, s[0:3], s32 offset:488 ; 4-byte Folded Spill
	buffer_store_dword v17, off, s[0:3], s32 offset:492 ; 4-byte Folded Spill
.LBB253_305:                            ;   in Loop: Header=BB253_11 Depth=1
	s_or_b32 exec_lo, exec_lo, s21
.LBB253_306:                            ;   in Loop: Header=BB253_11 Depth=1
	s_or_b32 exec_lo, exec_lo, s17
.LBB253_307:                            ;   in Loop: Header=BB253_11 Depth=1
	s_or_b32 exec_lo, exec_lo, s13
	v_cmp_ne_u16_sdwa s5, v0, v17 src0_sel:BYTE_1 src1_sel:DWORD
	s_and_saveexec_b32 s13, s5
	s_cbranch_execz .LBB253_315
; %bb.308:                              ;   in Loop: Header=BB253_11 Depth=1
	v_mov_b32_e32 v64, v17
	v_cmp_ne_u16_sdwa s5, v0, v45 src0_sel:BYTE_1 src1_sel:DWORD
	buffer_store_dword v64, off, s[0:3], s32 offset:496 ; 4-byte Folded Spill
	buffer_store_dword v65, off, s[0:3], s32 offset:500 ; 4-byte Folded Spill
	s_and_saveexec_b32 s17, s5
	s_cbranch_execz .LBB253_314
; %bb.309:                              ;   in Loop: Header=BB253_11 Depth=1
	v_mov_b32_e32 v1, 0xffff
	v_mov_b32_e32 v10, v17
	s_mov_b32 s21, exec_lo
	buffer_store_dword v10, off, s[0:3], s32 offset:496 ; 4-byte Folded Spill
	buffer_store_dword v11, off, s[0:3], s32 offset:500 ; 4-byte Folded Spill
	v_and_b32_sdwa v1, v1, v0 dst_sel:DWORD dst_unused:UNUSED_PAD src0_sel:DWORD src1_sel:BYTE_1
	v_and_b32_e32 v2, 0x7f, v1
	v_cmpx_ne_u32_e32 0x7f, v2
	s_cbranch_execz .LBB253_313
; %bb.310:                              ;   in Loop: Header=BB253_11 Depth=1
	v_and_b32_e32 v16, 7, v1
	v_lshrrev_b32_e32 v1, 3, v2
	s_mov_b32 s22, exec_lo
	v_cmpx_gt_u32_e32 8, v2
; %bb.311:                              ;   in Loop: Header=BB253_11 Depth=1
	v_ffbh_u32_e32 v1, v16
	v_min_u32_e32 v1, 32, v1
	v_subrev_nc_u32_e32 v2, 28, v1
	v_sub_nc_u32_e32 v1, 29, v1
	v_lshlrev_b64 v[2:3], v2, v[16:17]
	v_and_b32_e32 v16, 7, v2
; %bb.312:                              ;   in Loop: Header=BB253_11 Depth=1
	s_or_b32 exec_lo, exec_lo, s22
	v_lshlrev_b32_e32 v2, 16, v0
	v_lshlrev_b32_e32 v3, 20, v16
	v_lshl_add_u32 v1, v1, 23, 0x3c000000
	v_and_b32_e32 v2, 0x80000000, v2
	v_or3_b32 v2, v3, v2, v1
	v_mov_b32_e32 v1, v17
	buffer_store_dword v1, off, s[0:3], s32 offset:496 ; 4-byte Folded Spill
	buffer_store_dword v2, off, s[0:3], s32 offset:500 ; 4-byte Folded Spill
.LBB253_313:                            ;   in Loop: Header=BB253_11 Depth=1
	s_or_b32 exec_lo, exec_lo, s21
.LBB253_314:                            ;   in Loop: Header=BB253_11 Depth=1
	s_or_b32 exec_lo, exec_lo, s17
.LBB253_315:                            ;   in Loop: Header=BB253_11 Depth=1
	s_or_b32 exec_lo, exec_lo, s13
	v_mov_b32_e32 v2, 0
	v_mov_b32_e32 v3, 0
	;; [unrolled: 1-line block ×3, first 2 shown]
	s_mov_b32 s13, exec_lo
	buffer_store_dword v2, off, s[0:3], s32 offset:504 ; 4-byte Folded Spill
	buffer_store_dword v3, off, s[0:3], s32 offset:508 ; 4-byte Folded Spill
	v_mov_b32_e32 v2, 0
	v_and_b32_sdwa v1, v0, v1 dst_sel:DWORD dst_unused:UNUSED_PAD src0_sel:WORD_1 src1_sel:DWORD
	v_mov_b32_e32 v3, 0
	buffer_store_dword v2, off, s[0:3], s32 offset:512 ; 4-byte Folded Spill
	buffer_store_dword v3, off, s[0:3], s32 offset:516 ; 4-byte Folded Spill
	v_cmpx_ne_u16_e32 0, v1
	s_cbranch_execz .LBB253_323
; %bb.316:                              ;   in Loop: Header=BB253_11 Depth=1
	v_cmp_ne_u16_e64 s5, 0x80, v1
	v_bfrev_b32_e32 v1, 1
	v_mov_b32_e32 v2, 0
	buffer_store_dword v1, off, s[0:3], s32 offset:512 ; 4-byte Folded Spill
	buffer_store_dword v2, off, s[0:3], s32 offset:516 ; 4-byte Folded Spill
	s_and_saveexec_b32 s17, s5
	s_cbranch_execz .LBB253_322
; %bb.317:                              ;   in Loop: Header=BB253_11 Depth=1
	v_mov_b32_e32 v3, 0x7f800001
	v_bfe_u32 v2, v0, 16, 7
	v_mov_b32_e32 v4, 0
	s_mov_b32 s21, exec_lo
	buffer_store_dword v3, off, s[0:3], s32 offset:512 ; 4-byte Folded Spill
	buffer_store_dword v4, off, s[0:3], s32 offset:516 ; 4-byte Folded Spill
	v_cmpx_ne_u32_e32 0x7f, v2
	s_cbranch_execz .LBB253_321
; %bb.318:                              ;   in Loop: Header=BB253_11 Depth=1
	v_mov_b32_e32 v1, 7
	s_mov_b32 s22, exec_lo
	v_and_b32_sdwa v16, v0, v1 dst_sel:DWORD dst_unused:UNUSED_PAD src0_sel:WORD_1 src1_sel:DWORD
	v_lshrrev_b32_e32 v1, 3, v2
	v_cmpx_gt_u32_e32 8, v2
; %bb.319:                              ;   in Loop: Header=BB253_11 Depth=1
	v_ffbh_u32_e32 v1, v16
	v_min_u32_e32 v1, 32, v1
	v_subrev_nc_u32_e32 v2, 28, v1
	v_sub_nc_u32_e32 v1, 29, v1
	v_lshlrev_b64 v[2:3], v2, v[16:17]
	v_and_b32_e32 v16, 7, v2
; %bb.320:                              ;   in Loop: Header=BB253_11 Depth=1
	s_or_b32 exec_lo, exec_lo, s22
	v_mov_b32_e32 v2, 24
	v_lshlrev_b32_e32 v3, 20, v16
	v_lshl_add_u32 v1, v1, 23, 0x3c000000
	v_lshlrev_b32_sdwa v2, v2, v0 dst_sel:DWORD dst_unused:UNUSED_PAD src0_sel:DWORD src1_sel:WORD_1
	v_and_b32_e32 v2, 0x80000000, v2
	v_or3_b32 v16, v3, v2, v1
	buffer_store_dword v16, off, s[0:3], s32 offset:512 ; 4-byte Folded Spill
	buffer_store_dword v17, off, s[0:3], s32 offset:516 ; 4-byte Folded Spill
.LBB253_321:                            ;   in Loop: Header=BB253_11 Depth=1
	s_or_b32 exec_lo, exec_lo, s21
.LBB253_322:                            ;   in Loop: Header=BB253_11 Depth=1
	s_or_b32 exec_lo, exec_lo, s17
.LBB253_323:                            ;   in Loop: Header=BB253_11 Depth=1
	s_or_b32 exec_lo, exec_lo, s13
	s_mov_b32 s13, exec_lo
	v_cmpx_lt_u32_e32 0xffffff, v0
	s_cbranch_execz .LBB253_331
; %bb.324:                              ;   in Loop: Header=BB253_11 Depth=1
	v_mov_b32_e32 v64, v17
	v_cmp_ne_u32_sdwa s5, v0, v45 src0_sel:BYTE_3 src1_sel:DWORD
	buffer_store_dword v64, off, s[0:3], s32 offset:504 ; 4-byte Folded Spill
	buffer_store_dword v65, off, s[0:3], s32 offset:508 ; 4-byte Folded Spill
	s_and_saveexec_b32 s17, s5
	s_cbranch_execz .LBB253_330
; %bb.325:                              ;   in Loop: Header=BB253_11 Depth=1
	v_bfe_u32 v2, v0, 24, 7
	v_mov_b32_e32 v10, v17
	s_mov_b32 s21, exec_lo
	buffer_store_dword v10, off, s[0:3], s32 offset:504 ; 4-byte Folded Spill
	buffer_store_dword v11, off, s[0:3], s32 offset:508 ; 4-byte Folded Spill
	v_cmpx_ne_u32_e32 0x7f, v2
	s_cbranch_execz .LBB253_329
; %bb.326:                              ;   in Loop: Header=BB253_11 Depth=1
	v_mov_b32_e32 v1, 7
	s_mov_b32 s22, exec_lo
	v_and_b32_sdwa v16, v0, v1 dst_sel:DWORD dst_unused:UNUSED_PAD src0_sel:BYTE_3 src1_sel:DWORD
	v_lshrrev_b32_e32 v1, 3, v2
	v_cmpx_gt_u32_e32 8, v2
; %bb.327:                              ;   in Loop: Header=BB253_11 Depth=1
	v_ffbh_u32_e32 v1, v16
	v_min_u32_e32 v1, 32, v1
	v_subrev_nc_u32_e32 v2, 28, v1
	v_sub_nc_u32_e32 v1, 29, v1
	v_lshlrev_b64 v[2:3], v2, v[16:17]
	v_and_b32_e32 v16, 7, v2
; %bb.328:                              ;   in Loop: Header=BB253_11 Depth=1
	s_or_b32 exec_lo, exec_lo, s22
	v_mov_b32_e32 v2, 24
	v_lshl_add_u32 v1, v1, 23, 0x3c000000
	v_lshlrev_b32_sdwa v0, v2, v0 dst_sel:DWORD dst_unused:UNUSED_PAD src0_sel:DWORD src1_sel:BYTE_3
	v_lshlrev_b32_e32 v2, 20, v16
	v_and_b32_e32 v0, 0x80000000, v0
	v_or3_b32 v1, v2, v0, v1
	v_mov_b32_e32 v0, v17
	buffer_store_dword v0, off, s[0:3], s32 offset:504 ; 4-byte Folded Spill
	buffer_store_dword v1, off, s[0:3], s32 offset:508 ; 4-byte Folded Spill
.LBB253_329:                            ;   in Loop: Header=BB253_11 Depth=1
	s_or_b32 exec_lo, exec_lo, s21
.LBB253_330:                            ;   in Loop: Header=BB253_11 Depth=1
	s_or_b32 exec_lo, exec_lo, s17
.LBB253_331:                            ;   in Loop: Header=BB253_11 Depth=1
	s_or_b32 exec_lo, exec_lo, s13
	flat_load_dword v0, v[6:7] offset:1032
	v_mov_b32_e32 v1, 0
	v_mov_b32_e32 v2, 0
	buffer_store_dword v1, off, s[0:3], s32 offset:528 ; 4-byte Folded Spill
	buffer_store_dword v2, off, s[0:3], s32 offset:532 ; 4-byte Folded Spill
	v_mov_b32_e32 v1, 0
	v_mov_b32_e32 v2, 0
	buffer_store_dword v1, off, s[0:3], s32 offset:520 ; 4-byte Folded Spill
	buffer_store_dword v2, off, s[0:3], s32 offset:524 ; 4-byte Folded Spill
	s_waitcnt vmcnt(0) lgkmcnt(0)
	v_cmp_ne_u16_sdwa s5, v0, v17 src0_sel:BYTE_0 src1_sel:DWORD
	s_and_saveexec_b32 s13, s5
	s_cbranch_execz .LBB253_339
; %bb.332:                              ;   in Loop: Header=BB253_11 Depth=1
	v_bfrev_b32_e32 v1, 1
	v_mov_b32_e32 v2, 0
	v_cmp_ne_u16_sdwa s5, v0, v45 src0_sel:BYTE_0 src1_sel:DWORD
	buffer_store_dword v1, off, s[0:3], s32 offset:520 ; 4-byte Folded Spill
	buffer_store_dword v2, off, s[0:3], s32 offset:524 ; 4-byte Folded Spill
	s_and_saveexec_b32 s17, s5
	s_cbranch_execz .LBB253_338
; %bb.333:                              ;   in Loop: Header=BB253_11 Depth=1
	v_mov_b32_e32 v3, 0x7f800001
	v_and_b32_e32 v2, 0x7f, v0
	v_mov_b32_e32 v4, 0
	s_mov_b32 s21, exec_lo
	buffer_store_dword v3, off, s[0:3], s32 offset:520 ; 4-byte Folded Spill
	buffer_store_dword v4, off, s[0:3], s32 offset:524 ; 4-byte Folded Spill
	v_cmpx_ne_u32_e32 0x7f, v2
	s_cbranch_execz .LBB253_337
; %bb.334:                              ;   in Loop: Header=BB253_11 Depth=1
	v_and_b32_e32 v16, 7, v0
	v_lshrrev_b32_e32 v1, 3, v2
	s_mov_b32 s22, exec_lo
	v_cmpx_gt_u32_e32 8, v2
; %bb.335:                              ;   in Loop: Header=BB253_11 Depth=1
	v_ffbh_u32_e32 v1, v16
	v_min_u32_e32 v1, 32, v1
	v_subrev_nc_u32_e32 v2, 28, v1
	v_sub_nc_u32_e32 v1, 29, v1
	v_lshlrev_b64 v[2:3], v2, v[16:17]
	v_and_b32_e32 v16, 7, v2
; %bb.336:                              ;   in Loop: Header=BB253_11 Depth=1
	s_or_b32 exec_lo, exec_lo, s22
	v_lshlrev_b32_e32 v2, 24, v0
	v_lshlrev_b32_e32 v3, 20, v16
	v_lshl_add_u32 v1, v1, 23, 0x3c000000
	v_and_b32_e32 v2, 0x80000000, v2
	v_or3_b32 v16, v3, v2, v1
	buffer_store_dword v16, off, s[0:3], s32 offset:520 ; 4-byte Folded Spill
	buffer_store_dword v17, off, s[0:3], s32 offset:524 ; 4-byte Folded Spill
.LBB253_337:                            ;   in Loop: Header=BB253_11 Depth=1
	s_or_b32 exec_lo, exec_lo, s21
.LBB253_338:                            ;   in Loop: Header=BB253_11 Depth=1
	s_or_b32 exec_lo, exec_lo, s17
.LBB253_339:                            ;   in Loop: Header=BB253_11 Depth=1
	s_or_b32 exec_lo, exec_lo, s13
	v_cmp_ne_u16_sdwa s5, v0, v17 src0_sel:BYTE_1 src1_sel:DWORD
	s_and_saveexec_b32 s13, s5
	s_cbranch_execz .LBB253_347
; %bb.340:                              ;   in Loop: Header=BB253_11 Depth=1
	v_mov_b32_e32 v64, v17
	v_cmp_ne_u16_sdwa s5, v0, v45 src0_sel:BYTE_1 src1_sel:DWORD
	buffer_store_dword v64, off, s[0:3], s32 offset:528 ; 4-byte Folded Spill
	buffer_store_dword v65, off, s[0:3], s32 offset:532 ; 4-byte Folded Spill
	s_and_saveexec_b32 s17, s5
	s_cbranch_execz .LBB253_346
; %bb.341:                              ;   in Loop: Header=BB253_11 Depth=1
	v_mov_b32_e32 v1, 0xffff
	v_mov_b32_e32 v10, v17
	s_mov_b32 s21, exec_lo
	buffer_store_dword v10, off, s[0:3], s32 offset:528 ; 4-byte Folded Spill
	buffer_store_dword v11, off, s[0:3], s32 offset:532 ; 4-byte Folded Spill
	v_and_b32_sdwa v1, v1, v0 dst_sel:DWORD dst_unused:UNUSED_PAD src0_sel:DWORD src1_sel:BYTE_1
	v_and_b32_e32 v2, 0x7f, v1
	v_cmpx_ne_u32_e32 0x7f, v2
	s_cbranch_execz .LBB253_345
; %bb.342:                              ;   in Loop: Header=BB253_11 Depth=1
	v_and_b32_e32 v16, 7, v1
	v_lshrrev_b32_e32 v1, 3, v2
	s_mov_b32 s22, exec_lo
	v_cmpx_gt_u32_e32 8, v2
; %bb.343:                              ;   in Loop: Header=BB253_11 Depth=1
	v_ffbh_u32_e32 v1, v16
	v_min_u32_e32 v1, 32, v1
	v_subrev_nc_u32_e32 v2, 28, v1
	v_sub_nc_u32_e32 v1, 29, v1
	v_lshlrev_b64 v[2:3], v2, v[16:17]
	v_and_b32_e32 v16, 7, v2
; %bb.344:                              ;   in Loop: Header=BB253_11 Depth=1
	s_or_b32 exec_lo, exec_lo, s22
	v_lshlrev_b32_e32 v2, 16, v0
	v_lshlrev_b32_e32 v3, 20, v16
	v_lshl_add_u32 v1, v1, 23, 0x3c000000
	v_and_b32_e32 v2, 0x80000000, v2
	v_or3_b32 v2, v3, v2, v1
	v_mov_b32_e32 v1, v17
	buffer_store_dword v1, off, s[0:3], s32 offset:528 ; 4-byte Folded Spill
	buffer_store_dword v2, off, s[0:3], s32 offset:532 ; 4-byte Folded Spill
.LBB253_345:                            ;   in Loop: Header=BB253_11 Depth=1
	s_or_b32 exec_lo, exec_lo, s21
.LBB253_346:                            ;   in Loop: Header=BB253_11 Depth=1
	s_or_b32 exec_lo, exec_lo, s17
.LBB253_347:                            ;   in Loop: Header=BB253_11 Depth=1
	s_or_b32 exec_lo, exec_lo, s13
	v_mov_b32_e32 v2, 0
	v_mov_b32_e32 v3, 0
	;; [unrolled: 1-line block ×3, first 2 shown]
	s_mov_b32 s13, exec_lo
	buffer_store_dword v2, off, s[0:3], s32 offset:536 ; 4-byte Folded Spill
	buffer_store_dword v3, off, s[0:3], s32 offset:540 ; 4-byte Folded Spill
	v_mov_b32_e32 v2, 0
	v_and_b32_sdwa v1, v0, v1 dst_sel:DWORD dst_unused:UNUSED_PAD src0_sel:WORD_1 src1_sel:DWORD
	v_mov_b32_e32 v3, 0
	buffer_store_dword v2, off, s[0:3], s32 offset:544 ; 4-byte Folded Spill
	buffer_store_dword v3, off, s[0:3], s32 offset:548 ; 4-byte Folded Spill
	v_cmpx_ne_u16_e32 0, v1
	s_cbranch_execz .LBB253_355
; %bb.348:                              ;   in Loop: Header=BB253_11 Depth=1
	v_cmp_ne_u16_e64 s5, 0x80, v1
	v_bfrev_b32_e32 v1, 1
	v_mov_b32_e32 v2, 0
	buffer_store_dword v1, off, s[0:3], s32 offset:544 ; 4-byte Folded Spill
	buffer_store_dword v2, off, s[0:3], s32 offset:548 ; 4-byte Folded Spill
	s_and_saveexec_b32 s17, s5
	s_cbranch_execz .LBB253_354
; %bb.349:                              ;   in Loop: Header=BB253_11 Depth=1
	v_mov_b32_e32 v3, 0x7f800001
	v_bfe_u32 v2, v0, 16, 7
	v_mov_b32_e32 v4, 0
	s_mov_b32 s21, exec_lo
	buffer_store_dword v3, off, s[0:3], s32 offset:544 ; 4-byte Folded Spill
	buffer_store_dword v4, off, s[0:3], s32 offset:548 ; 4-byte Folded Spill
	v_cmpx_ne_u32_e32 0x7f, v2
	s_cbranch_execz .LBB253_353
; %bb.350:                              ;   in Loop: Header=BB253_11 Depth=1
	v_mov_b32_e32 v1, 7
	s_mov_b32 s22, exec_lo
	v_and_b32_sdwa v16, v0, v1 dst_sel:DWORD dst_unused:UNUSED_PAD src0_sel:WORD_1 src1_sel:DWORD
	v_lshrrev_b32_e32 v1, 3, v2
	v_cmpx_gt_u32_e32 8, v2
; %bb.351:                              ;   in Loop: Header=BB253_11 Depth=1
	v_ffbh_u32_e32 v1, v16
	v_min_u32_e32 v1, 32, v1
	v_subrev_nc_u32_e32 v2, 28, v1
	v_sub_nc_u32_e32 v1, 29, v1
	v_lshlrev_b64 v[2:3], v2, v[16:17]
	v_and_b32_e32 v16, 7, v2
; %bb.352:                              ;   in Loop: Header=BB253_11 Depth=1
	s_or_b32 exec_lo, exec_lo, s22
	v_mov_b32_e32 v2, 24
	v_lshlrev_b32_e32 v3, 20, v16
	v_lshl_add_u32 v1, v1, 23, 0x3c000000
	v_lshlrev_b32_sdwa v2, v2, v0 dst_sel:DWORD dst_unused:UNUSED_PAD src0_sel:DWORD src1_sel:WORD_1
	v_and_b32_e32 v2, 0x80000000, v2
	v_or3_b32 v16, v3, v2, v1
	buffer_store_dword v16, off, s[0:3], s32 offset:544 ; 4-byte Folded Spill
	buffer_store_dword v17, off, s[0:3], s32 offset:548 ; 4-byte Folded Spill
.LBB253_353:                            ;   in Loop: Header=BB253_11 Depth=1
	s_or_b32 exec_lo, exec_lo, s21
.LBB253_354:                            ;   in Loop: Header=BB253_11 Depth=1
	s_or_b32 exec_lo, exec_lo, s17
.LBB253_355:                            ;   in Loop: Header=BB253_11 Depth=1
	s_or_b32 exec_lo, exec_lo, s13
	s_mov_b32 s13, exec_lo
	v_cmpx_lt_u32_e32 0xffffff, v0
	s_cbranch_execz .LBB253_363
; %bb.356:                              ;   in Loop: Header=BB253_11 Depth=1
	v_mov_b32_e32 v64, v17
	v_cmp_ne_u32_sdwa s5, v0, v45 src0_sel:BYTE_3 src1_sel:DWORD
	buffer_store_dword v64, off, s[0:3], s32 offset:536 ; 4-byte Folded Spill
	buffer_store_dword v65, off, s[0:3], s32 offset:540 ; 4-byte Folded Spill
	s_and_saveexec_b32 s17, s5
	s_cbranch_execz .LBB253_362
; %bb.357:                              ;   in Loop: Header=BB253_11 Depth=1
	v_bfe_u32 v2, v0, 24, 7
	v_mov_b32_e32 v10, v17
	s_mov_b32 s21, exec_lo
	buffer_store_dword v10, off, s[0:3], s32 offset:536 ; 4-byte Folded Spill
	buffer_store_dword v11, off, s[0:3], s32 offset:540 ; 4-byte Folded Spill
	v_cmpx_ne_u32_e32 0x7f, v2
	s_cbranch_execz .LBB253_361
; %bb.358:                              ;   in Loop: Header=BB253_11 Depth=1
	v_mov_b32_e32 v1, 7
	s_mov_b32 s22, exec_lo
	v_and_b32_sdwa v16, v0, v1 dst_sel:DWORD dst_unused:UNUSED_PAD src0_sel:BYTE_3 src1_sel:DWORD
	v_lshrrev_b32_e32 v1, 3, v2
	v_cmpx_gt_u32_e32 8, v2
; %bb.359:                              ;   in Loop: Header=BB253_11 Depth=1
	v_ffbh_u32_e32 v1, v16
	v_min_u32_e32 v1, 32, v1
	v_subrev_nc_u32_e32 v2, 28, v1
	v_sub_nc_u32_e32 v1, 29, v1
	v_lshlrev_b64 v[2:3], v2, v[16:17]
	v_and_b32_e32 v16, 7, v2
; %bb.360:                              ;   in Loop: Header=BB253_11 Depth=1
	s_or_b32 exec_lo, exec_lo, s22
	v_mov_b32_e32 v2, 24
	v_lshl_add_u32 v1, v1, 23, 0x3c000000
	v_lshlrev_b32_sdwa v0, v2, v0 dst_sel:DWORD dst_unused:UNUSED_PAD src0_sel:DWORD src1_sel:BYTE_3
	v_lshlrev_b32_e32 v2, 20, v16
	v_and_b32_e32 v0, 0x80000000, v0
	v_or3_b32 v1, v2, v0, v1
	v_mov_b32_e32 v0, v17
	buffer_store_dword v0, off, s[0:3], s32 offset:536 ; 4-byte Folded Spill
	buffer_store_dword v1, off, s[0:3], s32 offset:540 ; 4-byte Folded Spill
.LBB253_361:                            ;   in Loop: Header=BB253_11 Depth=1
	s_or_b32 exec_lo, exec_lo, s21
.LBB253_362:                            ;   in Loop: Header=BB253_11 Depth=1
	s_or_b32 exec_lo, exec_lo, s17
.LBB253_363:                            ;   in Loop: Header=BB253_11 Depth=1
	s_or_b32 exec_lo, exec_lo, s13
	flat_load_dword v0, v[6:7] offset:1036
	v_mov_b32_e32 v1, 0
	v_mov_b32_e32 v2, 0
	buffer_store_dword v1, off, s[0:3], s32 offset:560 ; 4-byte Folded Spill
	buffer_store_dword v2, off, s[0:3], s32 offset:564 ; 4-byte Folded Spill
	v_mov_b32_e32 v1, 0
	v_mov_b32_e32 v2, 0
	buffer_store_dword v1, off, s[0:3], s32 offset:552 ; 4-byte Folded Spill
	buffer_store_dword v2, off, s[0:3], s32 offset:556 ; 4-byte Folded Spill
	s_waitcnt vmcnt(0) lgkmcnt(0)
	v_cmp_ne_u16_sdwa s5, v0, v17 src0_sel:BYTE_0 src1_sel:DWORD
	s_and_saveexec_b32 s13, s5
	s_cbranch_execz .LBB253_371
; %bb.364:                              ;   in Loop: Header=BB253_11 Depth=1
	v_bfrev_b32_e32 v1, 1
	v_mov_b32_e32 v2, 0
	v_cmp_ne_u16_sdwa s5, v0, v45 src0_sel:BYTE_0 src1_sel:DWORD
	buffer_store_dword v1, off, s[0:3], s32 offset:552 ; 4-byte Folded Spill
	buffer_store_dword v2, off, s[0:3], s32 offset:556 ; 4-byte Folded Spill
	s_and_saveexec_b32 s17, s5
	s_cbranch_execz .LBB253_370
; %bb.365:                              ;   in Loop: Header=BB253_11 Depth=1
	v_mov_b32_e32 v3, 0x7f800001
	v_and_b32_e32 v2, 0x7f, v0
	v_mov_b32_e32 v4, 0
	s_mov_b32 s21, exec_lo
	buffer_store_dword v3, off, s[0:3], s32 offset:552 ; 4-byte Folded Spill
	buffer_store_dword v4, off, s[0:3], s32 offset:556 ; 4-byte Folded Spill
	v_cmpx_ne_u32_e32 0x7f, v2
	s_cbranch_execz .LBB253_369
; %bb.366:                              ;   in Loop: Header=BB253_11 Depth=1
	v_and_b32_e32 v16, 7, v0
	v_lshrrev_b32_e32 v1, 3, v2
	s_mov_b32 s22, exec_lo
	v_cmpx_gt_u32_e32 8, v2
; %bb.367:                              ;   in Loop: Header=BB253_11 Depth=1
	v_ffbh_u32_e32 v1, v16
	v_min_u32_e32 v1, 32, v1
	v_subrev_nc_u32_e32 v2, 28, v1
	v_sub_nc_u32_e32 v1, 29, v1
	v_lshlrev_b64 v[2:3], v2, v[16:17]
	v_and_b32_e32 v16, 7, v2
; %bb.368:                              ;   in Loop: Header=BB253_11 Depth=1
	s_or_b32 exec_lo, exec_lo, s22
	v_lshlrev_b32_e32 v2, 24, v0
	v_lshlrev_b32_e32 v3, 20, v16
	v_lshl_add_u32 v1, v1, 23, 0x3c000000
	v_and_b32_e32 v2, 0x80000000, v2
	v_or3_b32 v16, v3, v2, v1
	buffer_store_dword v16, off, s[0:3], s32 offset:552 ; 4-byte Folded Spill
	buffer_store_dword v17, off, s[0:3], s32 offset:556 ; 4-byte Folded Spill
.LBB253_369:                            ;   in Loop: Header=BB253_11 Depth=1
	s_or_b32 exec_lo, exec_lo, s21
.LBB253_370:                            ;   in Loop: Header=BB253_11 Depth=1
	s_or_b32 exec_lo, exec_lo, s17
.LBB253_371:                            ;   in Loop: Header=BB253_11 Depth=1
	s_or_b32 exec_lo, exec_lo, s13
	v_cmp_ne_u16_sdwa s5, v0, v17 src0_sel:BYTE_1 src1_sel:DWORD
	s_and_saveexec_b32 s13, s5
	s_cbranch_execz .LBB253_379
; %bb.372:                              ;   in Loop: Header=BB253_11 Depth=1
	v_mov_b32_e32 v64, v17
	v_cmp_ne_u16_sdwa s5, v0, v45 src0_sel:BYTE_1 src1_sel:DWORD
	buffer_store_dword v64, off, s[0:3], s32 offset:560 ; 4-byte Folded Spill
	buffer_store_dword v65, off, s[0:3], s32 offset:564 ; 4-byte Folded Spill
	s_and_saveexec_b32 s17, s5
	s_cbranch_execz .LBB253_378
; %bb.373:                              ;   in Loop: Header=BB253_11 Depth=1
	v_mov_b32_e32 v1, 0xffff
	v_mov_b32_e32 v10, v17
	s_mov_b32 s21, exec_lo
	buffer_store_dword v10, off, s[0:3], s32 offset:560 ; 4-byte Folded Spill
	buffer_store_dword v11, off, s[0:3], s32 offset:564 ; 4-byte Folded Spill
	v_and_b32_sdwa v1, v1, v0 dst_sel:DWORD dst_unused:UNUSED_PAD src0_sel:DWORD src1_sel:BYTE_1
	v_and_b32_e32 v2, 0x7f, v1
	v_cmpx_ne_u32_e32 0x7f, v2
	s_cbranch_execz .LBB253_377
; %bb.374:                              ;   in Loop: Header=BB253_11 Depth=1
	v_and_b32_e32 v16, 7, v1
	v_lshrrev_b32_e32 v1, 3, v2
	s_mov_b32 s22, exec_lo
	v_cmpx_gt_u32_e32 8, v2
; %bb.375:                              ;   in Loop: Header=BB253_11 Depth=1
	v_ffbh_u32_e32 v1, v16
	v_min_u32_e32 v1, 32, v1
	v_subrev_nc_u32_e32 v2, 28, v1
	v_sub_nc_u32_e32 v1, 29, v1
	v_lshlrev_b64 v[2:3], v2, v[16:17]
	v_and_b32_e32 v16, 7, v2
; %bb.376:                              ;   in Loop: Header=BB253_11 Depth=1
	s_or_b32 exec_lo, exec_lo, s22
	v_lshlrev_b32_e32 v2, 16, v0
	v_lshlrev_b32_e32 v3, 20, v16
	v_lshl_add_u32 v1, v1, 23, 0x3c000000
	v_and_b32_e32 v2, 0x80000000, v2
	v_or3_b32 v2, v3, v2, v1
	v_mov_b32_e32 v1, v17
	buffer_store_dword v1, off, s[0:3], s32 offset:560 ; 4-byte Folded Spill
	buffer_store_dword v2, off, s[0:3], s32 offset:564 ; 4-byte Folded Spill
.LBB253_377:                            ;   in Loop: Header=BB253_11 Depth=1
	s_or_b32 exec_lo, exec_lo, s21
.LBB253_378:                            ;   in Loop: Header=BB253_11 Depth=1
	s_or_b32 exec_lo, exec_lo, s17
.LBB253_379:                            ;   in Loop: Header=BB253_11 Depth=1
	s_or_b32 exec_lo, exec_lo, s13
	v_mov_b32_e32 v2, 0
	v_mov_b32_e32 v3, 0
	;; [unrolled: 1-line block ×3, first 2 shown]
	s_mov_b32 s13, exec_lo
	buffer_store_dword v2, off, s[0:3], s32 offset:568 ; 4-byte Folded Spill
	buffer_store_dword v3, off, s[0:3], s32 offset:572 ; 4-byte Folded Spill
	v_mov_b32_e32 v2, 0
	v_and_b32_sdwa v1, v0, v1 dst_sel:DWORD dst_unused:UNUSED_PAD src0_sel:WORD_1 src1_sel:DWORD
	v_mov_b32_e32 v3, 0
	buffer_store_dword v2, off, s[0:3], s32 offset:576 ; 4-byte Folded Spill
	buffer_store_dword v3, off, s[0:3], s32 offset:580 ; 4-byte Folded Spill
	v_cmpx_ne_u16_e32 0, v1
	s_cbranch_execz .LBB253_387
; %bb.380:                              ;   in Loop: Header=BB253_11 Depth=1
	v_cmp_ne_u16_e64 s5, 0x80, v1
	v_bfrev_b32_e32 v1, 1
	v_mov_b32_e32 v2, 0
	buffer_store_dword v1, off, s[0:3], s32 offset:576 ; 4-byte Folded Spill
	buffer_store_dword v2, off, s[0:3], s32 offset:580 ; 4-byte Folded Spill
	s_and_saveexec_b32 s17, s5
	s_cbranch_execz .LBB253_386
; %bb.381:                              ;   in Loop: Header=BB253_11 Depth=1
	v_mov_b32_e32 v3, 0x7f800001
	v_bfe_u32 v2, v0, 16, 7
	v_mov_b32_e32 v4, 0
	s_mov_b32 s21, exec_lo
	buffer_store_dword v3, off, s[0:3], s32 offset:576 ; 4-byte Folded Spill
	buffer_store_dword v4, off, s[0:3], s32 offset:580 ; 4-byte Folded Spill
	v_cmpx_ne_u32_e32 0x7f, v2
	s_cbranch_execz .LBB253_385
; %bb.382:                              ;   in Loop: Header=BB253_11 Depth=1
	v_mov_b32_e32 v1, 7
	s_mov_b32 s22, exec_lo
	v_and_b32_sdwa v16, v0, v1 dst_sel:DWORD dst_unused:UNUSED_PAD src0_sel:WORD_1 src1_sel:DWORD
	v_lshrrev_b32_e32 v1, 3, v2
	v_cmpx_gt_u32_e32 8, v2
; %bb.383:                              ;   in Loop: Header=BB253_11 Depth=1
	v_ffbh_u32_e32 v1, v16
	v_min_u32_e32 v1, 32, v1
	v_subrev_nc_u32_e32 v2, 28, v1
	v_sub_nc_u32_e32 v1, 29, v1
	v_lshlrev_b64 v[2:3], v2, v[16:17]
	v_and_b32_e32 v16, 7, v2
; %bb.384:                              ;   in Loop: Header=BB253_11 Depth=1
	s_or_b32 exec_lo, exec_lo, s22
	v_mov_b32_e32 v2, 24
	v_lshlrev_b32_e32 v3, 20, v16
	v_lshl_add_u32 v1, v1, 23, 0x3c000000
	v_lshlrev_b32_sdwa v2, v2, v0 dst_sel:DWORD dst_unused:UNUSED_PAD src0_sel:DWORD src1_sel:WORD_1
	v_and_b32_e32 v2, 0x80000000, v2
	v_or3_b32 v16, v3, v2, v1
	buffer_store_dword v16, off, s[0:3], s32 offset:576 ; 4-byte Folded Spill
	buffer_store_dword v17, off, s[0:3], s32 offset:580 ; 4-byte Folded Spill
.LBB253_385:                            ;   in Loop: Header=BB253_11 Depth=1
	s_or_b32 exec_lo, exec_lo, s21
.LBB253_386:                            ;   in Loop: Header=BB253_11 Depth=1
	s_or_b32 exec_lo, exec_lo, s17
.LBB253_387:                            ;   in Loop: Header=BB253_11 Depth=1
	s_or_b32 exec_lo, exec_lo, s13
	s_mov_b32 s13, exec_lo
	v_cmpx_lt_u32_e32 0xffffff, v0
	s_cbranch_execz .LBB253_395
; %bb.388:                              ;   in Loop: Header=BB253_11 Depth=1
	v_mov_b32_e32 v64, v17
	v_cmp_ne_u32_sdwa s5, v0, v45 src0_sel:BYTE_3 src1_sel:DWORD
	buffer_store_dword v64, off, s[0:3], s32 offset:568 ; 4-byte Folded Spill
	buffer_store_dword v65, off, s[0:3], s32 offset:572 ; 4-byte Folded Spill
	s_and_saveexec_b32 s17, s5
	s_cbranch_execz .LBB253_394
; %bb.389:                              ;   in Loop: Header=BB253_11 Depth=1
	v_bfe_u32 v2, v0, 24, 7
	v_mov_b32_e32 v10, v17
	s_mov_b32 s21, exec_lo
	buffer_store_dword v10, off, s[0:3], s32 offset:568 ; 4-byte Folded Spill
	buffer_store_dword v11, off, s[0:3], s32 offset:572 ; 4-byte Folded Spill
	v_cmpx_ne_u32_e32 0x7f, v2
	s_cbranch_execz .LBB253_393
; %bb.390:                              ;   in Loop: Header=BB253_11 Depth=1
	v_mov_b32_e32 v1, 7
	s_mov_b32 s22, exec_lo
	v_and_b32_sdwa v16, v0, v1 dst_sel:DWORD dst_unused:UNUSED_PAD src0_sel:BYTE_3 src1_sel:DWORD
	v_lshrrev_b32_e32 v1, 3, v2
	v_cmpx_gt_u32_e32 8, v2
; %bb.391:                              ;   in Loop: Header=BB253_11 Depth=1
	v_ffbh_u32_e32 v1, v16
	v_min_u32_e32 v1, 32, v1
	v_subrev_nc_u32_e32 v2, 28, v1
	v_sub_nc_u32_e32 v1, 29, v1
	v_lshlrev_b64 v[2:3], v2, v[16:17]
	v_and_b32_e32 v16, 7, v2
; %bb.392:                              ;   in Loop: Header=BB253_11 Depth=1
	s_or_b32 exec_lo, exec_lo, s22
	v_mov_b32_e32 v2, 24
	v_lshl_add_u32 v1, v1, 23, 0x3c000000
	v_lshlrev_b32_sdwa v0, v2, v0 dst_sel:DWORD dst_unused:UNUSED_PAD src0_sel:DWORD src1_sel:BYTE_3
	v_lshlrev_b32_e32 v2, 20, v16
	v_and_b32_e32 v0, 0x80000000, v0
	v_or3_b32 v1, v2, v0, v1
	v_mov_b32_e32 v0, v17
	buffer_store_dword v0, off, s[0:3], s32 offset:568 ; 4-byte Folded Spill
	buffer_store_dword v1, off, s[0:3], s32 offset:572 ; 4-byte Folded Spill
.LBB253_393:                            ;   in Loop: Header=BB253_11 Depth=1
	s_or_b32 exec_lo, exec_lo, s21
.LBB253_394:                            ;   in Loop: Header=BB253_11 Depth=1
	s_or_b32 exec_lo, exec_lo, s17
.LBB253_395:                            ;   in Loop: Header=BB253_11 Depth=1
	s_or_b32 exec_lo, exec_lo, s13
	flat_load_dword v0, v[6:7] offset:1536
	v_mov_b32_e32 v1, 0
	v_mov_b32_e32 v2, 0
	buffer_store_dword v1, off, s[0:3], s32 offset:592 ; 4-byte Folded Spill
	buffer_store_dword v2, off, s[0:3], s32 offset:596 ; 4-byte Folded Spill
	v_mov_b32_e32 v1, 0
	v_mov_b32_e32 v2, 0
	buffer_store_dword v1, off, s[0:3], s32 offset:584 ; 4-byte Folded Spill
	buffer_store_dword v2, off, s[0:3], s32 offset:588 ; 4-byte Folded Spill
	s_waitcnt vmcnt(0) lgkmcnt(0)
	v_cmp_ne_u16_sdwa s5, v0, v17 src0_sel:BYTE_0 src1_sel:DWORD
	s_and_saveexec_b32 s13, s5
	s_cbranch_execz .LBB253_403
; %bb.396:                              ;   in Loop: Header=BB253_11 Depth=1
	v_bfrev_b32_e32 v1, 1
	v_mov_b32_e32 v2, 0
	v_cmp_ne_u16_sdwa s5, v0, v45 src0_sel:BYTE_0 src1_sel:DWORD
	buffer_store_dword v1, off, s[0:3], s32 offset:584 ; 4-byte Folded Spill
	buffer_store_dword v2, off, s[0:3], s32 offset:588 ; 4-byte Folded Spill
	s_and_saveexec_b32 s17, s5
	s_cbranch_execz .LBB253_402
; %bb.397:                              ;   in Loop: Header=BB253_11 Depth=1
	v_mov_b32_e32 v3, 0x7f800001
	v_and_b32_e32 v2, 0x7f, v0
	v_mov_b32_e32 v4, 0
	s_mov_b32 s21, exec_lo
	buffer_store_dword v3, off, s[0:3], s32 offset:584 ; 4-byte Folded Spill
	buffer_store_dword v4, off, s[0:3], s32 offset:588 ; 4-byte Folded Spill
	v_cmpx_ne_u32_e32 0x7f, v2
	s_cbranch_execz .LBB253_401
; %bb.398:                              ;   in Loop: Header=BB253_11 Depth=1
	v_and_b32_e32 v16, 7, v0
	v_lshrrev_b32_e32 v1, 3, v2
	s_mov_b32 s22, exec_lo
	v_cmpx_gt_u32_e32 8, v2
; %bb.399:                              ;   in Loop: Header=BB253_11 Depth=1
	v_ffbh_u32_e32 v1, v16
	v_min_u32_e32 v1, 32, v1
	v_subrev_nc_u32_e32 v2, 28, v1
	v_sub_nc_u32_e32 v1, 29, v1
	v_lshlrev_b64 v[2:3], v2, v[16:17]
	v_and_b32_e32 v16, 7, v2
; %bb.400:                              ;   in Loop: Header=BB253_11 Depth=1
	s_or_b32 exec_lo, exec_lo, s22
	v_lshlrev_b32_e32 v2, 24, v0
	v_lshlrev_b32_e32 v3, 20, v16
	v_lshl_add_u32 v1, v1, 23, 0x3c000000
	v_and_b32_e32 v2, 0x80000000, v2
	v_or3_b32 v16, v3, v2, v1
	buffer_store_dword v16, off, s[0:3], s32 offset:584 ; 4-byte Folded Spill
	buffer_store_dword v17, off, s[0:3], s32 offset:588 ; 4-byte Folded Spill
.LBB253_401:                            ;   in Loop: Header=BB253_11 Depth=1
	s_or_b32 exec_lo, exec_lo, s21
.LBB253_402:                            ;   in Loop: Header=BB253_11 Depth=1
	s_or_b32 exec_lo, exec_lo, s17
.LBB253_403:                            ;   in Loop: Header=BB253_11 Depth=1
	s_or_b32 exec_lo, exec_lo, s13
	v_cmp_ne_u16_sdwa s5, v0, v17 src0_sel:BYTE_1 src1_sel:DWORD
	s_and_saveexec_b32 s13, s5
	s_cbranch_execz .LBB253_411
; %bb.404:                              ;   in Loop: Header=BB253_11 Depth=1
	v_mov_b32_e32 v64, v17
	v_cmp_ne_u16_sdwa s5, v0, v45 src0_sel:BYTE_1 src1_sel:DWORD
	buffer_store_dword v64, off, s[0:3], s32 offset:592 ; 4-byte Folded Spill
	buffer_store_dword v65, off, s[0:3], s32 offset:596 ; 4-byte Folded Spill
	s_and_saveexec_b32 s17, s5
	s_cbranch_execz .LBB253_410
; %bb.405:                              ;   in Loop: Header=BB253_11 Depth=1
	v_mov_b32_e32 v1, 0xffff
	v_mov_b32_e32 v10, v17
	s_mov_b32 s21, exec_lo
	buffer_store_dword v10, off, s[0:3], s32 offset:592 ; 4-byte Folded Spill
	buffer_store_dword v11, off, s[0:3], s32 offset:596 ; 4-byte Folded Spill
	v_and_b32_sdwa v1, v1, v0 dst_sel:DWORD dst_unused:UNUSED_PAD src0_sel:DWORD src1_sel:BYTE_1
	v_and_b32_e32 v2, 0x7f, v1
	v_cmpx_ne_u32_e32 0x7f, v2
	s_cbranch_execz .LBB253_409
; %bb.406:                              ;   in Loop: Header=BB253_11 Depth=1
	v_and_b32_e32 v16, 7, v1
	v_lshrrev_b32_e32 v1, 3, v2
	s_mov_b32 s22, exec_lo
	v_cmpx_gt_u32_e32 8, v2
; %bb.407:                              ;   in Loop: Header=BB253_11 Depth=1
	v_ffbh_u32_e32 v1, v16
	v_min_u32_e32 v1, 32, v1
	v_subrev_nc_u32_e32 v2, 28, v1
	v_sub_nc_u32_e32 v1, 29, v1
	v_lshlrev_b64 v[2:3], v2, v[16:17]
	v_and_b32_e32 v16, 7, v2
; %bb.408:                              ;   in Loop: Header=BB253_11 Depth=1
	s_or_b32 exec_lo, exec_lo, s22
	v_lshlrev_b32_e32 v2, 16, v0
	v_lshlrev_b32_e32 v3, 20, v16
	v_lshl_add_u32 v1, v1, 23, 0x3c000000
	v_and_b32_e32 v2, 0x80000000, v2
	v_or3_b32 v2, v3, v2, v1
	v_mov_b32_e32 v1, v17
	buffer_store_dword v1, off, s[0:3], s32 offset:592 ; 4-byte Folded Spill
	buffer_store_dword v2, off, s[0:3], s32 offset:596 ; 4-byte Folded Spill
.LBB253_409:                            ;   in Loop: Header=BB253_11 Depth=1
	s_or_b32 exec_lo, exec_lo, s21
.LBB253_410:                            ;   in Loop: Header=BB253_11 Depth=1
	s_or_b32 exec_lo, exec_lo, s17
.LBB253_411:                            ;   in Loop: Header=BB253_11 Depth=1
	s_or_b32 exec_lo, exec_lo, s13
	v_mov_b32_e32 v2, 0
	v_mov_b32_e32 v3, 0
	;; [unrolled: 1-line block ×3, first 2 shown]
	s_mov_b32 s13, exec_lo
	buffer_store_dword v2, off, s[0:3], s32 offset:600 ; 4-byte Folded Spill
	buffer_store_dword v3, off, s[0:3], s32 offset:604 ; 4-byte Folded Spill
	v_mov_b32_e32 v2, 0
	v_and_b32_sdwa v1, v0, v1 dst_sel:DWORD dst_unused:UNUSED_PAD src0_sel:WORD_1 src1_sel:DWORD
	v_mov_b32_e32 v3, 0
	buffer_store_dword v2, off, s[0:3], s32 offset:608 ; 4-byte Folded Spill
	buffer_store_dword v3, off, s[0:3], s32 offset:612 ; 4-byte Folded Spill
	v_cmpx_ne_u16_e32 0, v1
	s_cbranch_execz .LBB253_419
; %bb.412:                              ;   in Loop: Header=BB253_11 Depth=1
	v_cmp_ne_u16_e64 s5, 0x80, v1
	v_bfrev_b32_e32 v1, 1
	v_mov_b32_e32 v2, 0
	buffer_store_dword v1, off, s[0:3], s32 offset:608 ; 4-byte Folded Spill
	buffer_store_dword v2, off, s[0:3], s32 offset:612 ; 4-byte Folded Spill
	s_and_saveexec_b32 s17, s5
	s_cbranch_execz .LBB253_418
; %bb.413:                              ;   in Loop: Header=BB253_11 Depth=1
	v_mov_b32_e32 v3, 0x7f800001
	v_bfe_u32 v2, v0, 16, 7
	v_mov_b32_e32 v4, 0
	s_mov_b32 s21, exec_lo
	buffer_store_dword v3, off, s[0:3], s32 offset:608 ; 4-byte Folded Spill
	buffer_store_dword v4, off, s[0:3], s32 offset:612 ; 4-byte Folded Spill
	v_cmpx_ne_u32_e32 0x7f, v2
	s_cbranch_execz .LBB253_417
; %bb.414:                              ;   in Loop: Header=BB253_11 Depth=1
	v_mov_b32_e32 v1, 7
	s_mov_b32 s22, exec_lo
	v_and_b32_sdwa v16, v0, v1 dst_sel:DWORD dst_unused:UNUSED_PAD src0_sel:WORD_1 src1_sel:DWORD
	v_lshrrev_b32_e32 v1, 3, v2
	v_cmpx_gt_u32_e32 8, v2
; %bb.415:                              ;   in Loop: Header=BB253_11 Depth=1
	v_ffbh_u32_e32 v1, v16
	v_min_u32_e32 v1, 32, v1
	v_subrev_nc_u32_e32 v2, 28, v1
	v_sub_nc_u32_e32 v1, 29, v1
	v_lshlrev_b64 v[2:3], v2, v[16:17]
	v_and_b32_e32 v16, 7, v2
; %bb.416:                              ;   in Loop: Header=BB253_11 Depth=1
	s_or_b32 exec_lo, exec_lo, s22
	v_mov_b32_e32 v2, 24
	v_lshlrev_b32_e32 v3, 20, v16
	v_lshl_add_u32 v1, v1, 23, 0x3c000000
	v_lshlrev_b32_sdwa v2, v2, v0 dst_sel:DWORD dst_unused:UNUSED_PAD src0_sel:DWORD src1_sel:WORD_1
	v_and_b32_e32 v2, 0x80000000, v2
	v_or3_b32 v16, v3, v2, v1
	buffer_store_dword v16, off, s[0:3], s32 offset:608 ; 4-byte Folded Spill
	buffer_store_dword v17, off, s[0:3], s32 offset:612 ; 4-byte Folded Spill
.LBB253_417:                            ;   in Loop: Header=BB253_11 Depth=1
	s_or_b32 exec_lo, exec_lo, s21
.LBB253_418:                            ;   in Loop: Header=BB253_11 Depth=1
	s_or_b32 exec_lo, exec_lo, s17
.LBB253_419:                            ;   in Loop: Header=BB253_11 Depth=1
	s_or_b32 exec_lo, exec_lo, s13
	s_mov_b32 s13, exec_lo
	v_cmpx_lt_u32_e32 0xffffff, v0
	s_cbranch_execz .LBB253_427
; %bb.420:                              ;   in Loop: Header=BB253_11 Depth=1
	v_mov_b32_e32 v64, v17
	v_cmp_ne_u32_sdwa s5, v0, v45 src0_sel:BYTE_3 src1_sel:DWORD
	buffer_store_dword v64, off, s[0:3], s32 offset:600 ; 4-byte Folded Spill
	buffer_store_dword v65, off, s[0:3], s32 offset:604 ; 4-byte Folded Spill
	s_and_saveexec_b32 s17, s5
	s_cbranch_execz .LBB253_426
; %bb.421:                              ;   in Loop: Header=BB253_11 Depth=1
	v_bfe_u32 v2, v0, 24, 7
	v_mov_b32_e32 v10, v17
	s_mov_b32 s21, exec_lo
	buffer_store_dword v10, off, s[0:3], s32 offset:600 ; 4-byte Folded Spill
	buffer_store_dword v11, off, s[0:3], s32 offset:604 ; 4-byte Folded Spill
	v_cmpx_ne_u32_e32 0x7f, v2
	s_cbranch_execz .LBB253_425
; %bb.422:                              ;   in Loop: Header=BB253_11 Depth=1
	v_mov_b32_e32 v1, 7
	s_mov_b32 s22, exec_lo
	v_and_b32_sdwa v16, v0, v1 dst_sel:DWORD dst_unused:UNUSED_PAD src0_sel:BYTE_3 src1_sel:DWORD
	v_lshrrev_b32_e32 v1, 3, v2
	v_cmpx_gt_u32_e32 8, v2
; %bb.423:                              ;   in Loop: Header=BB253_11 Depth=1
	v_ffbh_u32_e32 v1, v16
	v_min_u32_e32 v1, 32, v1
	v_subrev_nc_u32_e32 v2, 28, v1
	v_sub_nc_u32_e32 v1, 29, v1
	v_lshlrev_b64 v[2:3], v2, v[16:17]
	v_and_b32_e32 v16, 7, v2
; %bb.424:                              ;   in Loop: Header=BB253_11 Depth=1
	s_or_b32 exec_lo, exec_lo, s22
	v_mov_b32_e32 v2, 24
	v_lshl_add_u32 v1, v1, 23, 0x3c000000
	v_lshlrev_b32_sdwa v0, v2, v0 dst_sel:DWORD dst_unused:UNUSED_PAD src0_sel:DWORD src1_sel:BYTE_3
	v_lshlrev_b32_e32 v2, 20, v16
	v_and_b32_e32 v0, 0x80000000, v0
	v_or3_b32 v1, v2, v0, v1
	v_mov_b32_e32 v0, v17
	buffer_store_dword v0, off, s[0:3], s32 offset:600 ; 4-byte Folded Spill
	buffer_store_dword v1, off, s[0:3], s32 offset:604 ; 4-byte Folded Spill
.LBB253_425:                            ;   in Loop: Header=BB253_11 Depth=1
	s_or_b32 exec_lo, exec_lo, s21
.LBB253_426:                            ;   in Loop: Header=BB253_11 Depth=1
	s_or_b32 exec_lo, exec_lo, s17
.LBB253_427:                            ;   in Loop: Header=BB253_11 Depth=1
	s_or_b32 exec_lo, exec_lo, s13
	flat_load_dword v0, v[6:7] offset:1540
	v_mov_b32_e32 v1, 0
	v_mov_b32_e32 v2, 0
	buffer_store_dword v1, off, s[0:3], s32 offset:624 ; 4-byte Folded Spill
	buffer_store_dword v2, off, s[0:3], s32 offset:628 ; 4-byte Folded Spill
	v_mov_b32_e32 v1, 0
	v_mov_b32_e32 v2, 0
	buffer_store_dword v1, off, s[0:3], s32 offset:616 ; 4-byte Folded Spill
	buffer_store_dword v2, off, s[0:3], s32 offset:620 ; 4-byte Folded Spill
	s_waitcnt vmcnt(0) lgkmcnt(0)
	v_cmp_ne_u16_sdwa s5, v0, v17 src0_sel:BYTE_0 src1_sel:DWORD
	s_and_saveexec_b32 s13, s5
	s_cbranch_execz .LBB253_435
; %bb.428:                              ;   in Loop: Header=BB253_11 Depth=1
	v_bfrev_b32_e32 v1, 1
	v_mov_b32_e32 v2, 0
	v_cmp_ne_u16_sdwa s5, v0, v45 src0_sel:BYTE_0 src1_sel:DWORD
	buffer_store_dword v1, off, s[0:3], s32 offset:616 ; 4-byte Folded Spill
	buffer_store_dword v2, off, s[0:3], s32 offset:620 ; 4-byte Folded Spill
	s_and_saveexec_b32 s17, s5
	s_cbranch_execz .LBB253_434
; %bb.429:                              ;   in Loop: Header=BB253_11 Depth=1
	v_mov_b32_e32 v3, 0x7f800001
	v_and_b32_e32 v2, 0x7f, v0
	v_mov_b32_e32 v4, 0
	s_mov_b32 s21, exec_lo
	buffer_store_dword v3, off, s[0:3], s32 offset:616 ; 4-byte Folded Spill
	buffer_store_dword v4, off, s[0:3], s32 offset:620 ; 4-byte Folded Spill
	v_cmpx_ne_u32_e32 0x7f, v2
	s_cbranch_execz .LBB253_433
; %bb.430:                              ;   in Loop: Header=BB253_11 Depth=1
	v_and_b32_e32 v16, 7, v0
	v_lshrrev_b32_e32 v1, 3, v2
	s_mov_b32 s22, exec_lo
	v_cmpx_gt_u32_e32 8, v2
; %bb.431:                              ;   in Loop: Header=BB253_11 Depth=1
	v_ffbh_u32_e32 v1, v16
	v_min_u32_e32 v1, 32, v1
	v_subrev_nc_u32_e32 v2, 28, v1
	v_sub_nc_u32_e32 v1, 29, v1
	v_lshlrev_b64 v[2:3], v2, v[16:17]
	v_and_b32_e32 v16, 7, v2
; %bb.432:                              ;   in Loop: Header=BB253_11 Depth=1
	s_or_b32 exec_lo, exec_lo, s22
	v_lshlrev_b32_e32 v2, 24, v0
	v_lshlrev_b32_e32 v3, 20, v16
	v_lshl_add_u32 v1, v1, 23, 0x3c000000
	v_and_b32_e32 v2, 0x80000000, v2
	v_or3_b32 v16, v3, v2, v1
	buffer_store_dword v16, off, s[0:3], s32 offset:616 ; 4-byte Folded Spill
	buffer_store_dword v17, off, s[0:3], s32 offset:620 ; 4-byte Folded Spill
.LBB253_433:                            ;   in Loop: Header=BB253_11 Depth=1
	s_or_b32 exec_lo, exec_lo, s21
.LBB253_434:                            ;   in Loop: Header=BB253_11 Depth=1
	s_or_b32 exec_lo, exec_lo, s17
.LBB253_435:                            ;   in Loop: Header=BB253_11 Depth=1
	s_or_b32 exec_lo, exec_lo, s13
	v_cmp_ne_u16_sdwa s5, v0, v17 src0_sel:BYTE_1 src1_sel:DWORD
	s_and_saveexec_b32 s13, s5
	s_cbranch_execz .LBB253_443
; %bb.436:                              ;   in Loop: Header=BB253_11 Depth=1
	v_mov_b32_e32 v64, v17
	v_cmp_ne_u16_sdwa s5, v0, v45 src0_sel:BYTE_1 src1_sel:DWORD
	buffer_store_dword v64, off, s[0:3], s32 offset:624 ; 4-byte Folded Spill
	buffer_store_dword v65, off, s[0:3], s32 offset:628 ; 4-byte Folded Spill
	s_and_saveexec_b32 s17, s5
	s_cbranch_execz .LBB253_442
; %bb.437:                              ;   in Loop: Header=BB253_11 Depth=1
	v_mov_b32_e32 v1, 0xffff
	v_mov_b32_e32 v10, v17
	s_mov_b32 s21, exec_lo
	buffer_store_dword v10, off, s[0:3], s32 offset:624 ; 4-byte Folded Spill
	buffer_store_dword v11, off, s[0:3], s32 offset:628 ; 4-byte Folded Spill
	v_and_b32_sdwa v1, v1, v0 dst_sel:DWORD dst_unused:UNUSED_PAD src0_sel:DWORD src1_sel:BYTE_1
	v_and_b32_e32 v2, 0x7f, v1
	v_cmpx_ne_u32_e32 0x7f, v2
	s_cbranch_execz .LBB253_441
; %bb.438:                              ;   in Loop: Header=BB253_11 Depth=1
	v_and_b32_e32 v16, 7, v1
	v_lshrrev_b32_e32 v1, 3, v2
	s_mov_b32 s22, exec_lo
	v_cmpx_gt_u32_e32 8, v2
; %bb.439:                              ;   in Loop: Header=BB253_11 Depth=1
	v_ffbh_u32_e32 v1, v16
	v_min_u32_e32 v1, 32, v1
	v_subrev_nc_u32_e32 v2, 28, v1
	v_sub_nc_u32_e32 v1, 29, v1
	v_lshlrev_b64 v[2:3], v2, v[16:17]
	v_and_b32_e32 v16, 7, v2
; %bb.440:                              ;   in Loop: Header=BB253_11 Depth=1
	s_or_b32 exec_lo, exec_lo, s22
	v_lshlrev_b32_e32 v2, 16, v0
	v_lshlrev_b32_e32 v3, 20, v16
	v_lshl_add_u32 v1, v1, 23, 0x3c000000
	v_and_b32_e32 v2, 0x80000000, v2
	v_or3_b32 v2, v3, v2, v1
	v_mov_b32_e32 v1, v17
	buffer_store_dword v1, off, s[0:3], s32 offset:624 ; 4-byte Folded Spill
	buffer_store_dword v2, off, s[0:3], s32 offset:628 ; 4-byte Folded Spill
.LBB253_441:                            ;   in Loop: Header=BB253_11 Depth=1
	s_or_b32 exec_lo, exec_lo, s21
.LBB253_442:                            ;   in Loop: Header=BB253_11 Depth=1
	s_or_b32 exec_lo, exec_lo, s17
.LBB253_443:                            ;   in Loop: Header=BB253_11 Depth=1
	s_or_b32 exec_lo, exec_lo, s13
	v_mov_b32_e32 v2, 0
	v_mov_b32_e32 v3, 0
	;; [unrolled: 1-line block ×3, first 2 shown]
	s_mov_b32 s13, exec_lo
	buffer_store_dword v2, off, s[0:3], s32 offset:632 ; 4-byte Folded Spill
	buffer_store_dword v3, off, s[0:3], s32 offset:636 ; 4-byte Folded Spill
	v_mov_b32_e32 v2, 0
	v_and_b32_sdwa v1, v0, v1 dst_sel:DWORD dst_unused:UNUSED_PAD src0_sel:WORD_1 src1_sel:DWORD
	v_mov_b32_e32 v3, 0
	buffer_store_dword v2, off, s[0:3], s32 offset:640 ; 4-byte Folded Spill
	buffer_store_dword v3, off, s[0:3], s32 offset:644 ; 4-byte Folded Spill
	v_cmpx_ne_u16_e32 0, v1
	s_cbranch_execz .LBB253_451
; %bb.444:                              ;   in Loop: Header=BB253_11 Depth=1
	v_cmp_ne_u16_e64 s5, 0x80, v1
	v_bfrev_b32_e32 v1, 1
	v_mov_b32_e32 v2, 0
	buffer_store_dword v1, off, s[0:3], s32 offset:640 ; 4-byte Folded Spill
	buffer_store_dword v2, off, s[0:3], s32 offset:644 ; 4-byte Folded Spill
	s_and_saveexec_b32 s17, s5
	s_cbranch_execz .LBB253_450
; %bb.445:                              ;   in Loop: Header=BB253_11 Depth=1
	v_mov_b32_e32 v3, 0x7f800001
	v_bfe_u32 v2, v0, 16, 7
	v_mov_b32_e32 v4, 0
	s_mov_b32 s21, exec_lo
	buffer_store_dword v3, off, s[0:3], s32 offset:640 ; 4-byte Folded Spill
	buffer_store_dword v4, off, s[0:3], s32 offset:644 ; 4-byte Folded Spill
	v_cmpx_ne_u32_e32 0x7f, v2
	s_cbranch_execz .LBB253_449
; %bb.446:                              ;   in Loop: Header=BB253_11 Depth=1
	v_mov_b32_e32 v1, 7
	s_mov_b32 s22, exec_lo
	v_and_b32_sdwa v16, v0, v1 dst_sel:DWORD dst_unused:UNUSED_PAD src0_sel:WORD_1 src1_sel:DWORD
	v_lshrrev_b32_e32 v1, 3, v2
	v_cmpx_gt_u32_e32 8, v2
; %bb.447:                              ;   in Loop: Header=BB253_11 Depth=1
	v_ffbh_u32_e32 v1, v16
	v_min_u32_e32 v1, 32, v1
	v_subrev_nc_u32_e32 v2, 28, v1
	v_sub_nc_u32_e32 v1, 29, v1
	v_lshlrev_b64 v[2:3], v2, v[16:17]
	v_and_b32_e32 v16, 7, v2
; %bb.448:                              ;   in Loop: Header=BB253_11 Depth=1
	s_or_b32 exec_lo, exec_lo, s22
	v_mov_b32_e32 v2, 24
	v_lshlrev_b32_e32 v3, 20, v16
	v_lshl_add_u32 v1, v1, 23, 0x3c000000
	v_lshlrev_b32_sdwa v2, v2, v0 dst_sel:DWORD dst_unused:UNUSED_PAD src0_sel:DWORD src1_sel:WORD_1
	v_and_b32_e32 v2, 0x80000000, v2
	v_or3_b32 v16, v3, v2, v1
	buffer_store_dword v16, off, s[0:3], s32 offset:640 ; 4-byte Folded Spill
	buffer_store_dword v17, off, s[0:3], s32 offset:644 ; 4-byte Folded Spill
.LBB253_449:                            ;   in Loop: Header=BB253_11 Depth=1
	s_or_b32 exec_lo, exec_lo, s21
.LBB253_450:                            ;   in Loop: Header=BB253_11 Depth=1
	s_or_b32 exec_lo, exec_lo, s17
.LBB253_451:                            ;   in Loop: Header=BB253_11 Depth=1
	s_or_b32 exec_lo, exec_lo, s13
	s_mov_b32 s13, exec_lo
	v_cmpx_lt_u32_e32 0xffffff, v0
	s_cbranch_execz .LBB253_459
; %bb.452:                              ;   in Loop: Header=BB253_11 Depth=1
	v_mov_b32_e32 v64, v17
	v_cmp_ne_u32_sdwa s5, v0, v45 src0_sel:BYTE_3 src1_sel:DWORD
	buffer_store_dword v64, off, s[0:3], s32 offset:632 ; 4-byte Folded Spill
	buffer_store_dword v65, off, s[0:3], s32 offset:636 ; 4-byte Folded Spill
	s_and_saveexec_b32 s17, s5
	s_cbranch_execz .LBB253_458
; %bb.453:                              ;   in Loop: Header=BB253_11 Depth=1
	v_bfe_u32 v2, v0, 24, 7
	v_mov_b32_e32 v10, v17
	s_mov_b32 s21, exec_lo
	buffer_store_dword v10, off, s[0:3], s32 offset:632 ; 4-byte Folded Spill
	buffer_store_dword v11, off, s[0:3], s32 offset:636 ; 4-byte Folded Spill
	v_cmpx_ne_u32_e32 0x7f, v2
	s_cbranch_execz .LBB253_457
; %bb.454:                              ;   in Loop: Header=BB253_11 Depth=1
	v_mov_b32_e32 v1, 7
	s_mov_b32 s22, exec_lo
	v_and_b32_sdwa v16, v0, v1 dst_sel:DWORD dst_unused:UNUSED_PAD src0_sel:BYTE_3 src1_sel:DWORD
	v_lshrrev_b32_e32 v1, 3, v2
	v_cmpx_gt_u32_e32 8, v2
; %bb.455:                              ;   in Loop: Header=BB253_11 Depth=1
	v_ffbh_u32_e32 v1, v16
	v_min_u32_e32 v1, 32, v1
	v_subrev_nc_u32_e32 v2, 28, v1
	v_sub_nc_u32_e32 v1, 29, v1
	v_lshlrev_b64 v[2:3], v2, v[16:17]
	v_and_b32_e32 v16, 7, v2
; %bb.456:                              ;   in Loop: Header=BB253_11 Depth=1
	s_or_b32 exec_lo, exec_lo, s22
	v_mov_b32_e32 v2, 24
	v_lshl_add_u32 v1, v1, 23, 0x3c000000
	v_lshlrev_b32_sdwa v0, v2, v0 dst_sel:DWORD dst_unused:UNUSED_PAD src0_sel:DWORD src1_sel:BYTE_3
	v_lshlrev_b32_e32 v2, 20, v16
	v_and_b32_e32 v0, 0x80000000, v0
	v_or3_b32 v1, v2, v0, v1
	v_mov_b32_e32 v0, v17
	buffer_store_dword v0, off, s[0:3], s32 offset:632 ; 4-byte Folded Spill
	buffer_store_dword v1, off, s[0:3], s32 offset:636 ; 4-byte Folded Spill
.LBB253_457:                            ;   in Loop: Header=BB253_11 Depth=1
	s_or_b32 exec_lo, exec_lo, s21
.LBB253_458:                            ;   in Loop: Header=BB253_11 Depth=1
	s_or_b32 exec_lo, exec_lo, s17
.LBB253_459:                            ;   in Loop: Header=BB253_11 Depth=1
	s_or_b32 exec_lo, exec_lo, s13
	flat_load_dword v0, v[6:7] offset:1544
	v_mov_b32_e32 v1, 0
	v_mov_b32_e32 v2, 0
	buffer_store_dword v1, off, s[0:3], s32 offset:656 ; 4-byte Folded Spill
	buffer_store_dword v2, off, s[0:3], s32 offset:660 ; 4-byte Folded Spill
	v_mov_b32_e32 v1, 0
	v_mov_b32_e32 v2, 0
	buffer_store_dword v1, off, s[0:3], s32 offset:648 ; 4-byte Folded Spill
	buffer_store_dword v2, off, s[0:3], s32 offset:652 ; 4-byte Folded Spill
	s_waitcnt vmcnt(0) lgkmcnt(0)
	v_cmp_ne_u16_sdwa s5, v0, v17 src0_sel:BYTE_0 src1_sel:DWORD
	s_and_saveexec_b32 s13, s5
	s_cbranch_execz .LBB253_467
; %bb.460:                              ;   in Loop: Header=BB253_11 Depth=1
	v_bfrev_b32_e32 v1, 1
	v_mov_b32_e32 v2, 0
	v_cmp_ne_u16_sdwa s5, v0, v45 src0_sel:BYTE_0 src1_sel:DWORD
	buffer_store_dword v1, off, s[0:3], s32 offset:648 ; 4-byte Folded Spill
	buffer_store_dword v2, off, s[0:3], s32 offset:652 ; 4-byte Folded Spill
	s_and_saveexec_b32 s17, s5
	s_cbranch_execz .LBB253_466
; %bb.461:                              ;   in Loop: Header=BB253_11 Depth=1
	v_mov_b32_e32 v3, 0x7f800001
	v_and_b32_e32 v2, 0x7f, v0
	v_mov_b32_e32 v4, 0
	s_mov_b32 s21, exec_lo
	buffer_store_dword v3, off, s[0:3], s32 offset:648 ; 4-byte Folded Spill
	buffer_store_dword v4, off, s[0:3], s32 offset:652 ; 4-byte Folded Spill
	v_cmpx_ne_u32_e32 0x7f, v2
	s_cbranch_execz .LBB253_465
; %bb.462:                              ;   in Loop: Header=BB253_11 Depth=1
	v_and_b32_e32 v16, 7, v0
	v_lshrrev_b32_e32 v1, 3, v2
	s_mov_b32 s22, exec_lo
	v_cmpx_gt_u32_e32 8, v2
; %bb.463:                              ;   in Loop: Header=BB253_11 Depth=1
	v_ffbh_u32_e32 v1, v16
	v_min_u32_e32 v1, 32, v1
	v_subrev_nc_u32_e32 v2, 28, v1
	v_sub_nc_u32_e32 v1, 29, v1
	v_lshlrev_b64 v[2:3], v2, v[16:17]
	v_and_b32_e32 v16, 7, v2
; %bb.464:                              ;   in Loop: Header=BB253_11 Depth=1
	s_or_b32 exec_lo, exec_lo, s22
	v_lshlrev_b32_e32 v2, 24, v0
	v_lshlrev_b32_e32 v3, 20, v16
	v_lshl_add_u32 v1, v1, 23, 0x3c000000
	v_and_b32_e32 v2, 0x80000000, v2
	v_or3_b32 v16, v3, v2, v1
	buffer_store_dword v16, off, s[0:3], s32 offset:648 ; 4-byte Folded Spill
	buffer_store_dword v17, off, s[0:3], s32 offset:652 ; 4-byte Folded Spill
.LBB253_465:                            ;   in Loop: Header=BB253_11 Depth=1
	s_or_b32 exec_lo, exec_lo, s21
.LBB253_466:                            ;   in Loop: Header=BB253_11 Depth=1
	s_or_b32 exec_lo, exec_lo, s17
.LBB253_467:                            ;   in Loop: Header=BB253_11 Depth=1
	s_or_b32 exec_lo, exec_lo, s13
	v_cmp_ne_u16_sdwa s5, v0, v17 src0_sel:BYTE_1 src1_sel:DWORD
	s_and_saveexec_b32 s13, s5
	s_cbranch_execz .LBB253_475
; %bb.468:                              ;   in Loop: Header=BB253_11 Depth=1
	v_mov_b32_e32 v64, v17
	v_cmp_ne_u16_sdwa s5, v0, v45 src0_sel:BYTE_1 src1_sel:DWORD
	buffer_store_dword v64, off, s[0:3], s32 offset:656 ; 4-byte Folded Spill
	buffer_store_dword v65, off, s[0:3], s32 offset:660 ; 4-byte Folded Spill
	s_and_saveexec_b32 s17, s5
	s_cbranch_execz .LBB253_474
; %bb.469:                              ;   in Loop: Header=BB253_11 Depth=1
	v_mov_b32_e32 v1, 0xffff
	v_mov_b32_e32 v10, v17
	s_mov_b32 s21, exec_lo
	buffer_store_dword v10, off, s[0:3], s32 offset:656 ; 4-byte Folded Spill
	buffer_store_dword v11, off, s[0:3], s32 offset:660 ; 4-byte Folded Spill
	v_and_b32_sdwa v1, v1, v0 dst_sel:DWORD dst_unused:UNUSED_PAD src0_sel:DWORD src1_sel:BYTE_1
	v_and_b32_e32 v2, 0x7f, v1
	v_cmpx_ne_u32_e32 0x7f, v2
	s_cbranch_execz .LBB253_473
; %bb.470:                              ;   in Loop: Header=BB253_11 Depth=1
	v_and_b32_e32 v16, 7, v1
	v_lshrrev_b32_e32 v1, 3, v2
	s_mov_b32 s22, exec_lo
	v_cmpx_gt_u32_e32 8, v2
; %bb.471:                              ;   in Loop: Header=BB253_11 Depth=1
	v_ffbh_u32_e32 v1, v16
	v_min_u32_e32 v1, 32, v1
	v_subrev_nc_u32_e32 v2, 28, v1
	v_sub_nc_u32_e32 v1, 29, v1
	v_lshlrev_b64 v[2:3], v2, v[16:17]
	v_and_b32_e32 v16, 7, v2
; %bb.472:                              ;   in Loop: Header=BB253_11 Depth=1
	s_or_b32 exec_lo, exec_lo, s22
	v_lshlrev_b32_e32 v2, 16, v0
	v_lshlrev_b32_e32 v3, 20, v16
	v_lshl_add_u32 v1, v1, 23, 0x3c000000
	v_and_b32_e32 v2, 0x80000000, v2
	v_or3_b32 v2, v3, v2, v1
	v_mov_b32_e32 v1, v17
	buffer_store_dword v1, off, s[0:3], s32 offset:656 ; 4-byte Folded Spill
	buffer_store_dword v2, off, s[0:3], s32 offset:660 ; 4-byte Folded Spill
.LBB253_473:                            ;   in Loop: Header=BB253_11 Depth=1
	s_or_b32 exec_lo, exec_lo, s21
.LBB253_474:                            ;   in Loop: Header=BB253_11 Depth=1
	s_or_b32 exec_lo, exec_lo, s17
.LBB253_475:                            ;   in Loop: Header=BB253_11 Depth=1
	s_or_b32 exec_lo, exec_lo, s13
	v_mov_b32_e32 v2, 0
	v_mov_b32_e32 v3, 0
	;; [unrolled: 1-line block ×3, first 2 shown]
	s_mov_b32 s13, exec_lo
	buffer_store_dword v2, off, s[0:3], s32 offset:664 ; 4-byte Folded Spill
	buffer_store_dword v3, off, s[0:3], s32 offset:668 ; 4-byte Folded Spill
	v_mov_b32_e32 v2, 0
	v_and_b32_sdwa v1, v0, v1 dst_sel:DWORD dst_unused:UNUSED_PAD src0_sel:WORD_1 src1_sel:DWORD
	v_mov_b32_e32 v3, 0
	buffer_store_dword v2, off, s[0:3], s32 offset:672 ; 4-byte Folded Spill
	buffer_store_dword v3, off, s[0:3], s32 offset:676 ; 4-byte Folded Spill
	v_cmpx_ne_u16_e32 0, v1
	s_cbranch_execz .LBB253_483
; %bb.476:                              ;   in Loop: Header=BB253_11 Depth=1
	v_cmp_ne_u16_e64 s5, 0x80, v1
	v_bfrev_b32_e32 v1, 1
	v_mov_b32_e32 v2, 0
	buffer_store_dword v1, off, s[0:3], s32 offset:672 ; 4-byte Folded Spill
	buffer_store_dword v2, off, s[0:3], s32 offset:676 ; 4-byte Folded Spill
	s_and_saveexec_b32 s17, s5
	s_cbranch_execz .LBB253_482
; %bb.477:                              ;   in Loop: Header=BB253_11 Depth=1
	v_mov_b32_e32 v3, 0x7f800001
	v_bfe_u32 v2, v0, 16, 7
	v_mov_b32_e32 v4, 0
	s_mov_b32 s21, exec_lo
	buffer_store_dword v3, off, s[0:3], s32 offset:672 ; 4-byte Folded Spill
	buffer_store_dword v4, off, s[0:3], s32 offset:676 ; 4-byte Folded Spill
	v_cmpx_ne_u32_e32 0x7f, v2
	s_cbranch_execz .LBB253_481
; %bb.478:                              ;   in Loop: Header=BB253_11 Depth=1
	v_mov_b32_e32 v1, 7
	s_mov_b32 s22, exec_lo
	v_and_b32_sdwa v16, v0, v1 dst_sel:DWORD dst_unused:UNUSED_PAD src0_sel:WORD_1 src1_sel:DWORD
	v_lshrrev_b32_e32 v1, 3, v2
	v_cmpx_gt_u32_e32 8, v2
; %bb.479:                              ;   in Loop: Header=BB253_11 Depth=1
	v_ffbh_u32_e32 v1, v16
	v_min_u32_e32 v1, 32, v1
	v_subrev_nc_u32_e32 v2, 28, v1
	v_sub_nc_u32_e32 v1, 29, v1
	v_lshlrev_b64 v[2:3], v2, v[16:17]
	v_and_b32_e32 v16, 7, v2
; %bb.480:                              ;   in Loop: Header=BB253_11 Depth=1
	s_or_b32 exec_lo, exec_lo, s22
	v_mov_b32_e32 v2, 24
	v_lshlrev_b32_e32 v3, 20, v16
	v_lshl_add_u32 v1, v1, 23, 0x3c000000
	v_lshlrev_b32_sdwa v2, v2, v0 dst_sel:DWORD dst_unused:UNUSED_PAD src0_sel:DWORD src1_sel:WORD_1
	v_and_b32_e32 v2, 0x80000000, v2
	v_or3_b32 v16, v3, v2, v1
	buffer_store_dword v16, off, s[0:3], s32 offset:672 ; 4-byte Folded Spill
	buffer_store_dword v17, off, s[0:3], s32 offset:676 ; 4-byte Folded Spill
.LBB253_481:                            ;   in Loop: Header=BB253_11 Depth=1
	s_or_b32 exec_lo, exec_lo, s21
.LBB253_482:                            ;   in Loop: Header=BB253_11 Depth=1
	s_or_b32 exec_lo, exec_lo, s17
.LBB253_483:                            ;   in Loop: Header=BB253_11 Depth=1
	s_or_b32 exec_lo, exec_lo, s13
	s_mov_b32 s13, exec_lo
	v_cmpx_lt_u32_e32 0xffffff, v0
	s_cbranch_execz .LBB253_491
; %bb.484:                              ;   in Loop: Header=BB253_11 Depth=1
	v_mov_b32_e32 v64, v17
	v_cmp_ne_u32_sdwa s5, v0, v45 src0_sel:BYTE_3 src1_sel:DWORD
	buffer_store_dword v64, off, s[0:3], s32 offset:664 ; 4-byte Folded Spill
	buffer_store_dword v65, off, s[0:3], s32 offset:668 ; 4-byte Folded Spill
	s_and_saveexec_b32 s17, s5
	s_cbranch_execz .LBB253_490
; %bb.485:                              ;   in Loop: Header=BB253_11 Depth=1
	v_bfe_u32 v2, v0, 24, 7
	v_mov_b32_e32 v10, v17
	s_mov_b32 s21, exec_lo
	buffer_store_dword v10, off, s[0:3], s32 offset:664 ; 4-byte Folded Spill
	buffer_store_dword v11, off, s[0:3], s32 offset:668 ; 4-byte Folded Spill
	v_cmpx_ne_u32_e32 0x7f, v2
	s_cbranch_execz .LBB253_489
; %bb.486:                              ;   in Loop: Header=BB253_11 Depth=1
	v_mov_b32_e32 v1, 7
	s_mov_b32 s22, exec_lo
	v_and_b32_sdwa v16, v0, v1 dst_sel:DWORD dst_unused:UNUSED_PAD src0_sel:BYTE_3 src1_sel:DWORD
	v_lshrrev_b32_e32 v1, 3, v2
	v_cmpx_gt_u32_e32 8, v2
; %bb.487:                              ;   in Loop: Header=BB253_11 Depth=1
	v_ffbh_u32_e32 v1, v16
	v_min_u32_e32 v1, 32, v1
	v_subrev_nc_u32_e32 v2, 28, v1
	v_sub_nc_u32_e32 v1, 29, v1
	v_lshlrev_b64 v[2:3], v2, v[16:17]
	v_and_b32_e32 v16, 7, v2
; %bb.488:                              ;   in Loop: Header=BB253_11 Depth=1
	s_or_b32 exec_lo, exec_lo, s22
	v_mov_b32_e32 v2, 24
	v_lshl_add_u32 v1, v1, 23, 0x3c000000
	v_lshlrev_b32_sdwa v0, v2, v0 dst_sel:DWORD dst_unused:UNUSED_PAD src0_sel:DWORD src1_sel:BYTE_3
	v_lshlrev_b32_e32 v2, 20, v16
	v_and_b32_e32 v0, 0x80000000, v0
	v_or3_b32 v1, v2, v0, v1
	v_mov_b32_e32 v0, v17
	buffer_store_dword v0, off, s[0:3], s32 offset:664 ; 4-byte Folded Spill
	buffer_store_dword v1, off, s[0:3], s32 offset:668 ; 4-byte Folded Spill
.LBB253_489:                            ;   in Loop: Header=BB253_11 Depth=1
	s_or_b32 exec_lo, exec_lo, s21
.LBB253_490:                            ;   in Loop: Header=BB253_11 Depth=1
	s_or_b32 exec_lo, exec_lo, s17
.LBB253_491:                            ;   in Loop: Header=BB253_11 Depth=1
	s_or_b32 exec_lo, exec_lo, s13
	flat_load_dword v0, v[6:7] offset:1548
	v_mov_b32_e32 v1, 0
	v_mov_b32_e32 v2, 0
	buffer_store_dword v1, off, s[0:3], s32 offset:688 ; 4-byte Folded Spill
	buffer_store_dword v2, off, s[0:3], s32 offset:692 ; 4-byte Folded Spill
	v_mov_b32_e32 v1, 0
	v_mov_b32_e32 v2, 0
	buffer_store_dword v1, off, s[0:3], s32 offset:680 ; 4-byte Folded Spill
	buffer_store_dword v2, off, s[0:3], s32 offset:684 ; 4-byte Folded Spill
	s_waitcnt vmcnt(0) lgkmcnt(0)
	v_cmp_ne_u16_sdwa s5, v0, v17 src0_sel:BYTE_0 src1_sel:DWORD
	s_and_saveexec_b32 s13, s5
	s_cbranch_execz .LBB253_499
; %bb.492:                              ;   in Loop: Header=BB253_11 Depth=1
	v_bfrev_b32_e32 v1, 1
	v_mov_b32_e32 v2, 0
	v_cmp_ne_u16_sdwa s5, v0, v45 src0_sel:BYTE_0 src1_sel:DWORD
	buffer_store_dword v1, off, s[0:3], s32 offset:680 ; 4-byte Folded Spill
	buffer_store_dword v2, off, s[0:3], s32 offset:684 ; 4-byte Folded Spill
	s_and_saveexec_b32 s17, s5
	s_cbranch_execz .LBB253_498
; %bb.493:                              ;   in Loop: Header=BB253_11 Depth=1
	v_mov_b32_e32 v3, 0x7f800001
	v_and_b32_e32 v2, 0x7f, v0
	v_mov_b32_e32 v4, 0
	s_mov_b32 s21, exec_lo
	buffer_store_dword v3, off, s[0:3], s32 offset:680 ; 4-byte Folded Spill
	buffer_store_dword v4, off, s[0:3], s32 offset:684 ; 4-byte Folded Spill
	v_cmpx_ne_u32_e32 0x7f, v2
	s_cbranch_execz .LBB253_497
; %bb.494:                              ;   in Loop: Header=BB253_11 Depth=1
	v_and_b32_e32 v16, 7, v0
	v_lshrrev_b32_e32 v1, 3, v2
	s_mov_b32 s22, exec_lo
	v_cmpx_gt_u32_e32 8, v2
; %bb.495:                              ;   in Loop: Header=BB253_11 Depth=1
	v_ffbh_u32_e32 v1, v16
	v_min_u32_e32 v1, 32, v1
	v_subrev_nc_u32_e32 v2, 28, v1
	v_sub_nc_u32_e32 v1, 29, v1
	v_lshlrev_b64 v[2:3], v2, v[16:17]
	v_and_b32_e32 v16, 7, v2
; %bb.496:                              ;   in Loop: Header=BB253_11 Depth=1
	s_or_b32 exec_lo, exec_lo, s22
	v_lshlrev_b32_e32 v2, 24, v0
	v_lshlrev_b32_e32 v3, 20, v16
	v_lshl_add_u32 v1, v1, 23, 0x3c000000
	v_and_b32_e32 v2, 0x80000000, v2
	v_or3_b32 v16, v3, v2, v1
	buffer_store_dword v16, off, s[0:3], s32 offset:680 ; 4-byte Folded Spill
	buffer_store_dword v17, off, s[0:3], s32 offset:684 ; 4-byte Folded Spill
.LBB253_497:                            ;   in Loop: Header=BB253_11 Depth=1
	s_or_b32 exec_lo, exec_lo, s21
.LBB253_498:                            ;   in Loop: Header=BB253_11 Depth=1
	s_or_b32 exec_lo, exec_lo, s17
.LBB253_499:                            ;   in Loop: Header=BB253_11 Depth=1
	s_or_b32 exec_lo, exec_lo, s13
	v_cmp_ne_u16_sdwa s5, v0, v17 src0_sel:BYTE_1 src1_sel:DWORD
	s_and_saveexec_b32 s13, s5
	s_cbranch_execz .LBB253_507
; %bb.500:                              ;   in Loop: Header=BB253_11 Depth=1
	v_mov_b32_e32 v64, v17
	v_cmp_ne_u16_sdwa s5, v0, v45 src0_sel:BYTE_1 src1_sel:DWORD
	buffer_store_dword v64, off, s[0:3], s32 offset:688 ; 4-byte Folded Spill
	buffer_store_dword v65, off, s[0:3], s32 offset:692 ; 4-byte Folded Spill
	s_and_saveexec_b32 s17, s5
	s_cbranch_execz .LBB253_506
; %bb.501:                              ;   in Loop: Header=BB253_11 Depth=1
	v_mov_b32_e32 v1, 0xffff
	v_mov_b32_e32 v10, v17
	s_mov_b32 s21, exec_lo
	buffer_store_dword v10, off, s[0:3], s32 offset:688 ; 4-byte Folded Spill
	buffer_store_dword v11, off, s[0:3], s32 offset:692 ; 4-byte Folded Spill
	v_and_b32_sdwa v1, v1, v0 dst_sel:DWORD dst_unused:UNUSED_PAD src0_sel:DWORD src1_sel:BYTE_1
	v_and_b32_e32 v2, 0x7f, v1
	v_cmpx_ne_u32_e32 0x7f, v2
	s_cbranch_execz .LBB253_505
; %bb.502:                              ;   in Loop: Header=BB253_11 Depth=1
	v_and_b32_e32 v16, 7, v1
	v_lshrrev_b32_e32 v1, 3, v2
	s_mov_b32 s22, exec_lo
	v_cmpx_gt_u32_e32 8, v2
; %bb.503:                              ;   in Loop: Header=BB253_11 Depth=1
	v_ffbh_u32_e32 v1, v16
	v_min_u32_e32 v1, 32, v1
	v_subrev_nc_u32_e32 v2, 28, v1
	v_sub_nc_u32_e32 v1, 29, v1
	v_lshlrev_b64 v[2:3], v2, v[16:17]
	v_and_b32_e32 v16, 7, v2
; %bb.504:                              ;   in Loop: Header=BB253_11 Depth=1
	s_or_b32 exec_lo, exec_lo, s22
	v_lshlrev_b32_e32 v2, 16, v0
	v_lshlrev_b32_e32 v3, 20, v16
	v_lshl_add_u32 v1, v1, 23, 0x3c000000
	v_and_b32_e32 v2, 0x80000000, v2
	v_or3_b32 v2, v3, v2, v1
	v_mov_b32_e32 v1, v17
	buffer_store_dword v1, off, s[0:3], s32 offset:688 ; 4-byte Folded Spill
	buffer_store_dword v2, off, s[0:3], s32 offset:692 ; 4-byte Folded Spill
.LBB253_505:                            ;   in Loop: Header=BB253_11 Depth=1
	s_or_b32 exec_lo, exec_lo, s21
.LBB253_506:                            ;   in Loop: Header=BB253_11 Depth=1
	s_or_b32 exec_lo, exec_lo, s17
.LBB253_507:                            ;   in Loop: Header=BB253_11 Depth=1
	s_or_b32 exec_lo, exec_lo, s13
	v_mov_b32_e32 v2, 0
	v_mov_b32_e32 v3, 0
	;; [unrolled: 1-line block ×3, first 2 shown]
	s_mov_b32 s13, exec_lo
	buffer_store_dword v2, off, s[0:3], s32 offset:696 ; 4-byte Folded Spill
	buffer_store_dword v3, off, s[0:3], s32 offset:700 ; 4-byte Folded Spill
	v_mov_b32_e32 v2, 0
	v_and_b32_sdwa v1, v0, v1 dst_sel:DWORD dst_unused:UNUSED_PAD src0_sel:WORD_1 src1_sel:DWORD
	v_mov_b32_e32 v3, 0
	buffer_store_dword v2, off, s[0:3], s32 offset:704 ; 4-byte Folded Spill
	buffer_store_dword v3, off, s[0:3], s32 offset:708 ; 4-byte Folded Spill
	v_cmpx_ne_u16_e32 0, v1
	s_cbranch_execz .LBB253_515
; %bb.508:                              ;   in Loop: Header=BB253_11 Depth=1
	v_cmp_ne_u16_e64 s5, 0x80, v1
	v_bfrev_b32_e32 v1, 1
	v_mov_b32_e32 v2, 0
	buffer_store_dword v1, off, s[0:3], s32 offset:704 ; 4-byte Folded Spill
	buffer_store_dword v2, off, s[0:3], s32 offset:708 ; 4-byte Folded Spill
	s_and_saveexec_b32 s17, s5
	s_cbranch_execz .LBB253_514
; %bb.509:                              ;   in Loop: Header=BB253_11 Depth=1
	v_mov_b32_e32 v3, 0x7f800001
	v_bfe_u32 v2, v0, 16, 7
	v_mov_b32_e32 v4, 0
	s_mov_b32 s21, exec_lo
	buffer_store_dword v3, off, s[0:3], s32 offset:704 ; 4-byte Folded Spill
	buffer_store_dword v4, off, s[0:3], s32 offset:708 ; 4-byte Folded Spill
	v_cmpx_ne_u32_e32 0x7f, v2
	s_cbranch_execz .LBB253_513
; %bb.510:                              ;   in Loop: Header=BB253_11 Depth=1
	v_mov_b32_e32 v1, 7
	s_mov_b32 s22, exec_lo
	v_and_b32_sdwa v16, v0, v1 dst_sel:DWORD dst_unused:UNUSED_PAD src0_sel:WORD_1 src1_sel:DWORD
	v_lshrrev_b32_e32 v1, 3, v2
	v_cmpx_gt_u32_e32 8, v2
; %bb.511:                              ;   in Loop: Header=BB253_11 Depth=1
	v_ffbh_u32_e32 v1, v16
	v_min_u32_e32 v1, 32, v1
	v_subrev_nc_u32_e32 v2, 28, v1
	v_sub_nc_u32_e32 v1, 29, v1
	v_lshlrev_b64 v[2:3], v2, v[16:17]
	v_and_b32_e32 v16, 7, v2
; %bb.512:                              ;   in Loop: Header=BB253_11 Depth=1
	s_or_b32 exec_lo, exec_lo, s22
	v_mov_b32_e32 v2, 24
	v_lshlrev_b32_e32 v3, 20, v16
	v_lshl_add_u32 v1, v1, 23, 0x3c000000
	v_lshlrev_b32_sdwa v2, v2, v0 dst_sel:DWORD dst_unused:UNUSED_PAD src0_sel:DWORD src1_sel:WORD_1
	v_and_b32_e32 v2, 0x80000000, v2
	v_or3_b32 v16, v3, v2, v1
	buffer_store_dword v16, off, s[0:3], s32 offset:704 ; 4-byte Folded Spill
	buffer_store_dword v17, off, s[0:3], s32 offset:708 ; 4-byte Folded Spill
.LBB253_513:                            ;   in Loop: Header=BB253_11 Depth=1
	s_or_b32 exec_lo, exec_lo, s21
.LBB253_514:                            ;   in Loop: Header=BB253_11 Depth=1
	s_or_b32 exec_lo, exec_lo, s17
.LBB253_515:                            ;   in Loop: Header=BB253_11 Depth=1
	s_or_b32 exec_lo, exec_lo, s13
	s_mov_b32 s13, exec_lo
	v_cmpx_lt_u32_e32 0xffffff, v0
	s_cbranch_execz .LBB253_523
; %bb.516:                              ;   in Loop: Header=BB253_11 Depth=1
	v_mov_b32_e32 v64, v17
	v_cmp_ne_u32_sdwa s5, v0, v45 src0_sel:BYTE_3 src1_sel:DWORD
	buffer_store_dword v64, off, s[0:3], s32 offset:696 ; 4-byte Folded Spill
	buffer_store_dword v65, off, s[0:3], s32 offset:700 ; 4-byte Folded Spill
	s_and_saveexec_b32 s17, s5
	s_cbranch_execz .LBB253_522
; %bb.517:                              ;   in Loop: Header=BB253_11 Depth=1
	v_bfe_u32 v2, v0, 24, 7
	v_mov_b32_e32 v10, v17
	s_mov_b32 s21, exec_lo
	buffer_store_dword v10, off, s[0:3], s32 offset:696 ; 4-byte Folded Spill
	buffer_store_dword v11, off, s[0:3], s32 offset:700 ; 4-byte Folded Spill
	v_cmpx_ne_u32_e32 0x7f, v2
	s_cbranch_execz .LBB253_521
; %bb.518:                              ;   in Loop: Header=BB253_11 Depth=1
	v_mov_b32_e32 v1, 7
	s_mov_b32 s22, exec_lo
	v_and_b32_sdwa v16, v0, v1 dst_sel:DWORD dst_unused:UNUSED_PAD src0_sel:BYTE_3 src1_sel:DWORD
	v_lshrrev_b32_e32 v1, 3, v2
	v_cmpx_gt_u32_e32 8, v2
; %bb.519:                              ;   in Loop: Header=BB253_11 Depth=1
	v_ffbh_u32_e32 v1, v16
	v_min_u32_e32 v1, 32, v1
	v_subrev_nc_u32_e32 v2, 28, v1
	v_sub_nc_u32_e32 v1, 29, v1
	v_lshlrev_b64 v[2:3], v2, v[16:17]
	v_and_b32_e32 v16, 7, v2
; %bb.520:                              ;   in Loop: Header=BB253_11 Depth=1
	s_or_b32 exec_lo, exec_lo, s22
	v_mov_b32_e32 v2, 24
	v_lshl_add_u32 v1, v1, 23, 0x3c000000
	v_lshlrev_b32_sdwa v0, v2, v0 dst_sel:DWORD dst_unused:UNUSED_PAD src0_sel:DWORD src1_sel:BYTE_3
	v_lshlrev_b32_e32 v2, 20, v16
	v_and_b32_e32 v0, 0x80000000, v0
	v_or3_b32 v1, v2, v0, v1
	v_mov_b32_e32 v0, v17
	buffer_store_dword v0, off, s[0:3], s32 offset:696 ; 4-byte Folded Spill
	buffer_store_dword v1, off, s[0:3], s32 offset:700 ; 4-byte Folded Spill
.LBB253_521:                            ;   in Loop: Header=BB253_11 Depth=1
	s_or_b32 exec_lo, exec_lo, s21
.LBB253_522:                            ;   in Loop: Header=BB253_11 Depth=1
	s_or_b32 exec_lo, exec_lo, s17
.LBB253_523:                            ;   in Loop: Header=BB253_11 Depth=1
	s_or_b32 exec_lo, exec_lo, s13
	v_add_co_u32 v50, s5, 0x800, v6
	v_add_co_ci_u32_e64 v51, null, 0, v7, s5
	v_mov_b32_e32 v1, 0
	v_mov_b32_e32 v2, 0
	flat_load_dword v0, v[50:51]
	buffer_store_dword v1, off, s[0:3], s32 offset:720 ; 4-byte Folded Spill
	buffer_store_dword v2, off, s[0:3], s32 offset:724 ; 4-byte Folded Spill
	v_mov_b32_e32 v1, 0
	v_mov_b32_e32 v2, 0
	buffer_store_dword v1, off, s[0:3], s32 offset:712 ; 4-byte Folded Spill
	buffer_store_dword v2, off, s[0:3], s32 offset:716 ; 4-byte Folded Spill
	s_waitcnt vmcnt(0) lgkmcnt(0)
	v_cmp_ne_u16_sdwa s5, v0, v17 src0_sel:BYTE_0 src1_sel:DWORD
	s_and_saveexec_b32 s13, s5
	s_cbranch_execz .LBB253_531
; %bb.524:                              ;   in Loop: Header=BB253_11 Depth=1
	v_bfrev_b32_e32 v1, 1
	v_mov_b32_e32 v2, 0
	v_cmp_ne_u16_sdwa s5, v0, v45 src0_sel:BYTE_0 src1_sel:DWORD
	buffer_store_dword v1, off, s[0:3], s32 offset:712 ; 4-byte Folded Spill
	buffer_store_dword v2, off, s[0:3], s32 offset:716 ; 4-byte Folded Spill
	s_and_saveexec_b32 s17, s5
	s_cbranch_execz .LBB253_530
; %bb.525:                              ;   in Loop: Header=BB253_11 Depth=1
	v_mov_b32_e32 v3, 0x7f800001
	v_and_b32_e32 v2, 0x7f, v0
	v_mov_b32_e32 v4, 0
	s_mov_b32 s21, exec_lo
	buffer_store_dword v3, off, s[0:3], s32 offset:712 ; 4-byte Folded Spill
	buffer_store_dword v4, off, s[0:3], s32 offset:716 ; 4-byte Folded Spill
	v_cmpx_ne_u32_e32 0x7f, v2
	s_cbranch_execz .LBB253_529
; %bb.526:                              ;   in Loop: Header=BB253_11 Depth=1
	v_and_b32_e32 v16, 7, v0
	v_lshrrev_b32_e32 v1, 3, v2
	s_mov_b32 s22, exec_lo
	v_cmpx_gt_u32_e32 8, v2
; %bb.527:                              ;   in Loop: Header=BB253_11 Depth=1
	v_ffbh_u32_e32 v1, v16
	v_min_u32_e32 v1, 32, v1
	v_subrev_nc_u32_e32 v2, 28, v1
	v_sub_nc_u32_e32 v1, 29, v1
	v_lshlrev_b64 v[2:3], v2, v[16:17]
	v_and_b32_e32 v16, 7, v2
; %bb.528:                              ;   in Loop: Header=BB253_11 Depth=1
	s_or_b32 exec_lo, exec_lo, s22
	v_lshlrev_b32_e32 v2, 24, v0
	v_lshlrev_b32_e32 v3, 20, v16
	v_lshl_add_u32 v1, v1, 23, 0x3c000000
	v_and_b32_e32 v2, 0x80000000, v2
	v_or3_b32 v16, v3, v2, v1
	buffer_store_dword v16, off, s[0:3], s32 offset:712 ; 4-byte Folded Spill
	buffer_store_dword v17, off, s[0:3], s32 offset:716 ; 4-byte Folded Spill
.LBB253_529:                            ;   in Loop: Header=BB253_11 Depth=1
	s_or_b32 exec_lo, exec_lo, s21
.LBB253_530:                            ;   in Loop: Header=BB253_11 Depth=1
	s_or_b32 exec_lo, exec_lo, s17
.LBB253_531:                            ;   in Loop: Header=BB253_11 Depth=1
	s_or_b32 exec_lo, exec_lo, s13
	v_cmp_ne_u16_sdwa s5, v0, v17 src0_sel:BYTE_1 src1_sel:DWORD
	s_and_saveexec_b32 s13, s5
	s_cbranch_execz .LBB253_539
; %bb.532:                              ;   in Loop: Header=BB253_11 Depth=1
	v_mov_b32_e32 v64, v17
	v_cmp_ne_u16_sdwa s5, v0, v45 src0_sel:BYTE_1 src1_sel:DWORD
	buffer_store_dword v64, off, s[0:3], s32 offset:720 ; 4-byte Folded Spill
	buffer_store_dword v65, off, s[0:3], s32 offset:724 ; 4-byte Folded Spill
	s_and_saveexec_b32 s17, s5
	s_cbranch_execz .LBB253_538
; %bb.533:                              ;   in Loop: Header=BB253_11 Depth=1
	v_mov_b32_e32 v1, 0xffff
	v_mov_b32_e32 v10, v17
	s_mov_b32 s21, exec_lo
	buffer_store_dword v10, off, s[0:3], s32 offset:720 ; 4-byte Folded Spill
	buffer_store_dword v11, off, s[0:3], s32 offset:724 ; 4-byte Folded Spill
	v_and_b32_sdwa v1, v1, v0 dst_sel:DWORD dst_unused:UNUSED_PAD src0_sel:DWORD src1_sel:BYTE_1
	v_and_b32_e32 v2, 0x7f, v1
	v_cmpx_ne_u32_e32 0x7f, v2
	s_cbranch_execz .LBB253_537
; %bb.534:                              ;   in Loop: Header=BB253_11 Depth=1
	v_and_b32_e32 v16, 7, v1
	v_lshrrev_b32_e32 v1, 3, v2
	s_mov_b32 s22, exec_lo
	v_cmpx_gt_u32_e32 8, v2
; %bb.535:                              ;   in Loop: Header=BB253_11 Depth=1
	v_ffbh_u32_e32 v1, v16
	v_min_u32_e32 v1, 32, v1
	v_subrev_nc_u32_e32 v2, 28, v1
	v_sub_nc_u32_e32 v1, 29, v1
	v_lshlrev_b64 v[2:3], v2, v[16:17]
	v_and_b32_e32 v16, 7, v2
; %bb.536:                              ;   in Loop: Header=BB253_11 Depth=1
	s_or_b32 exec_lo, exec_lo, s22
	v_lshlrev_b32_e32 v2, 16, v0
	v_lshlrev_b32_e32 v3, 20, v16
	v_lshl_add_u32 v1, v1, 23, 0x3c000000
	v_and_b32_e32 v2, 0x80000000, v2
	v_or3_b32 v2, v3, v2, v1
	v_mov_b32_e32 v1, v17
	buffer_store_dword v1, off, s[0:3], s32 offset:720 ; 4-byte Folded Spill
	buffer_store_dword v2, off, s[0:3], s32 offset:724 ; 4-byte Folded Spill
.LBB253_537:                            ;   in Loop: Header=BB253_11 Depth=1
	s_or_b32 exec_lo, exec_lo, s21
.LBB253_538:                            ;   in Loop: Header=BB253_11 Depth=1
	s_or_b32 exec_lo, exec_lo, s17
.LBB253_539:                            ;   in Loop: Header=BB253_11 Depth=1
	s_or_b32 exec_lo, exec_lo, s13
	v_mov_b32_e32 v1, 0xff
	v_mov_b32_e32 v28, 0
	v_mov_b32_e32 v2, 0
	v_mov_b32_e32 v29, 0
	v_mov_b32_e32 v3, 0
	v_and_b32_sdwa v1, v0, v1 dst_sel:DWORD dst_unused:UNUSED_PAD src0_sel:WORD_1 src1_sel:DWORD
	s_mov_b32 s13, exec_lo
	buffer_store_dword v2, off, s[0:3], s32 offset:728 ; 4-byte Folded Spill
	buffer_store_dword v3, off, s[0:3], s32 offset:732 ; 4-byte Folded Spill
	v_cmpx_ne_u16_e32 0, v1
	s_cbranch_execz .LBB253_547
; %bb.540:                              ;   in Loop: Header=BB253_11 Depth=1
	v_cmp_ne_u16_e64 s5, 0x80, v1
	v_bfrev_b32_e32 v1, 1
	v_mov_b32_e32 v2, 0
	buffer_store_dword v1, off, s[0:3], s32 offset:728 ; 4-byte Folded Spill
	buffer_store_dword v2, off, s[0:3], s32 offset:732 ; 4-byte Folded Spill
	s_and_saveexec_b32 s17, s5
	s_cbranch_execz .LBB253_546
; %bb.541:                              ;   in Loop: Header=BB253_11 Depth=1
	v_mov_b32_e32 v3, 0x7f800001
	v_bfe_u32 v2, v0, 16, 7
	v_mov_b32_e32 v4, 0
	s_mov_b32 s21, exec_lo
	buffer_store_dword v3, off, s[0:3], s32 offset:728 ; 4-byte Folded Spill
	buffer_store_dword v4, off, s[0:3], s32 offset:732 ; 4-byte Folded Spill
	v_cmpx_ne_u32_e32 0x7f, v2
	s_cbranch_execz .LBB253_545
; %bb.542:                              ;   in Loop: Header=BB253_11 Depth=1
	v_mov_b32_e32 v1, 7
	s_mov_b32 s22, exec_lo
	v_and_b32_sdwa v16, v0, v1 dst_sel:DWORD dst_unused:UNUSED_PAD src0_sel:WORD_1 src1_sel:DWORD
	v_lshrrev_b32_e32 v1, 3, v2
	v_cmpx_gt_u32_e32 8, v2
; %bb.543:                              ;   in Loop: Header=BB253_11 Depth=1
	v_ffbh_u32_e32 v1, v16
	v_min_u32_e32 v1, 32, v1
	v_subrev_nc_u32_e32 v2, 28, v1
	v_sub_nc_u32_e32 v1, 29, v1
	v_lshlrev_b64 v[2:3], v2, v[16:17]
	v_and_b32_e32 v16, 7, v2
; %bb.544:                              ;   in Loop: Header=BB253_11 Depth=1
	s_or_b32 exec_lo, exec_lo, s22
	v_mov_b32_e32 v2, 24
	v_lshlrev_b32_e32 v3, 20, v16
	v_lshl_add_u32 v1, v1, 23, 0x3c000000
	v_lshlrev_b32_sdwa v2, v2, v0 dst_sel:DWORD dst_unused:UNUSED_PAD src0_sel:DWORD src1_sel:WORD_1
	v_and_b32_e32 v2, 0x80000000, v2
	v_or3_b32 v16, v3, v2, v1
	buffer_store_dword v16, off, s[0:3], s32 offset:728 ; 4-byte Folded Spill
	buffer_store_dword v17, off, s[0:3], s32 offset:732 ; 4-byte Folded Spill
.LBB253_545:                            ;   in Loop: Header=BB253_11 Depth=1
	s_or_b32 exec_lo, exec_lo, s21
.LBB253_546:                            ;   in Loop: Header=BB253_11 Depth=1
	s_or_b32 exec_lo, exec_lo, s17
.LBB253_547:                            ;   in Loop: Header=BB253_11 Depth=1
	s_or_b32 exec_lo, exec_lo, s13
	s_mov_b32 s13, exec_lo
	v_cmpx_lt_u32_e32 0xffffff, v0
	s_cbranch_execz .LBB253_555
; %bb.548:                              ;   in Loop: Header=BB253_11 Depth=1
	v_mov_b32_e32 v64, v17
	v_cmp_ne_u32_sdwa s5, v0, v45 src0_sel:BYTE_3 src1_sel:DWORD
	v_mov_b32_e32 v28, v64
	v_mov_b32_e32 v29, v65
	s_and_saveexec_b32 s17, s5
	s_cbranch_execz .LBB253_554
; %bb.549:                              ;   in Loop: Header=BB253_11 Depth=1
	v_mov_b32_e32 v10, v17
	v_mov_b32_e32 v29, v11
	v_bfe_u32 v2, v0, 24, 7
	s_mov_b32 s21, exec_lo
	v_mov_b32_e32 v28, v10
	v_cmpx_ne_u32_e32 0x7f, v2
	s_cbranch_execz .LBB253_553
; %bb.550:                              ;   in Loop: Header=BB253_11 Depth=1
	v_mov_b32_e32 v1, 7
	s_mov_b32 s22, exec_lo
	v_and_b32_sdwa v16, v0, v1 dst_sel:DWORD dst_unused:UNUSED_PAD src0_sel:BYTE_3 src1_sel:DWORD
	v_lshrrev_b32_e32 v1, 3, v2
	v_cmpx_gt_u32_e32 8, v2
; %bb.551:                              ;   in Loop: Header=BB253_11 Depth=1
	v_ffbh_u32_e32 v1, v16
	v_min_u32_e32 v1, 32, v1
	v_subrev_nc_u32_e32 v2, 28, v1
	v_sub_nc_u32_e32 v1, 29, v1
	v_lshlrev_b64 v[2:3], v2, v[16:17]
	v_and_b32_e32 v16, 7, v2
; %bb.552:                              ;   in Loop: Header=BB253_11 Depth=1
	s_or_b32 exec_lo, exec_lo, s22
	v_mov_b32_e32 v2, 24
	v_lshl_add_u32 v1, v1, 23, 0x3c000000
	v_mov_b32_e32 v28, v17
	v_lshlrev_b32_sdwa v0, v2, v0 dst_sel:DWORD dst_unused:UNUSED_PAD src0_sel:DWORD src1_sel:BYTE_3
	v_lshlrev_b32_e32 v2, 20, v16
	v_and_b32_e32 v0, 0x80000000, v0
	v_or3_b32 v29, v2, v0, v1
.LBB253_553:                            ;   in Loop: Header=BB253_11 Depth=1
	s_or_b32 exec_lo, exec_lo, s21
.LBB253_554:                            ;   in Loop: Header=BB253_11 Depth=1
	s_or_b32 exec_lo, exec_lo, s17
.LBB253_555:                            ;   in Loop: Header=BB253_11 Depth=1
	s_or_b32 exec_lo, exec_lo, s13
	flat_load_dword v0, v[50:51] offset:4
	v_mov_b32_e32 v38, 0
	v_mov_b32_e32 v34, 0
	v_mov_b32_e32 v39, 0
	v_mov_b32_e32 v35, 0
	s_waitcnt vmcnt(0) lgkmcnt(0)
	v_cmp_ne_u16_sdwa s5, v0, v17 src0_sel:BYTE_0 src1_sel:DWORD
	s_and_saveexec_b32 s13, s5
	s_cbranch_execz .LBB253_563
; %bb.556:                              ;   in Loop: Header=BB253_11 Depth=1
	v_bfrev_b32_e32 v34, 1
	v_mov_b32_e32 v35, 0
	v_cmp_ne_u16_sdwa s5, v0, v45 src0_sel:BYTE_0 src1_sel:DWORD
	s_and_saveexec_b32 s17, s5
	s_cbranch_execz .LBB253_562
; %bb.557:                              ;   in Loop: Header=BB253_11 Depth=1
	v_mov_b32_e32 v34, 0x7f800001
	v_and_b32_e32 v2, 0x7f, v0
	v_mov_b32_e32 v35, 0
	s_mov_b32 s21, exec_lo
	v_cmpx_ne_u32_e32 0x7f, v2
	s_cbranch_execz .LBB253_561
; %bb.558:                              ;   in Loop: Header=BB253_11 Depth=1
	v_and_b32_e32 v16, 7, v0
	v_lshrrev_b32_e32 v1, 3, v2
	s_mov_b32 s22, exec_lo
	v_cmpx_gt_u32_e32 8, v2
; %bb.559:                              ;   in Loop: Header=BB253_11 Depth=1
	v_ffbh_u32_e32 v1, v16
	v_min_u32_e32 v1, 32, v1
	v_subrev_nc_u32_e32 v2, 28, v1
	v_sub_nc_u32_e32 v1, 29, v1
	v_lshlrev_b64 v[2:3], v2, v[16:17]
	v_and_b32_e32 v16, 7, v2
; %bb.560:                              ;   in Loop: Header=BB253_11 Depth=1
	s_or_b32 exec_lo, exec_lo, s22
	v_lshlrev_b32_e32 v2, 24, v0
	v_lshlrev_b32_e32 v3, 20, v16
	v_lshl_add_u32 v1, v1, 23, 0x3c000000
	v_and_b32_e32 v2, 0x80000000, v2
	v_or3_b32 v16, v3, v2, v1
	v_mov_b32_e32 v35, v17
	v_mov_b32_e32 v34, v16
.LBB253_561:                            ;   in Loop: Header=BB253_11 Depth=1
	s_or_b32 exec_lo, exec_lo, s21
.LBB253_562:                            ;   in Loop: Header=BB253_11 Depth=1
	s_or_b32 exec_lo, exec_lo, s17
.LBB253_563:                            ;   in Loop: Header=BB253_11 Depth=1
	s_or_b32 exec_lo, exec_lo, s13
	v_cmp_ne_u16_sdwa s5, v0, v17 src0_sel:BYTE_1 src1_sel:DWORD
	s_and_saveexec_b32 s13, s5
	s_cbranch_execz .LBB253_571
; %bb.564:                              ;   in Loop: Header=BB253_11 Depth=1
	v_mov_b32_e32 v64, v17
	v_cmp_ne_u16_sdwa s5, v0, v45 src0_sel:BYTE_1 src1_sel:DWORD
	v_mov_b32_e32 v38, v64
	v_mov_b32_e32 v39, v65
	s_and_saveexec_b32 s17, s5
	s_cbranch_execz .LBB253_570
; %bb.565:                              ;   in Loop: Header=BB253_11 Depth=1
	v_mov_b32_e32 v1, 0xffff
	v_mov_b32_e32 v10, v17
	;; [unrolled: 1-line block ×3, first 2 shown]
	s_mov_b32 s21, exec_lo
	v_and_b32_sdwa v1, v1, v0 dst_sel:DWORD dst_unused:UNUSED_PAD src0_sel:DWORD src1_sel:BYTE_1
	v_mov_b32_e32 v38, v10
	v_and_b32_e32 v2, 0x7f, v1
	v_cmpx_ne_u32_e32 0x7f, v2
	s_cbranch_execz .LBB253_569
; %bb.566:                              ;   in Loop: Header=BB253_11 Depth=1
	v_and_b32_e32 v16, 7, v1
	v_lshrrev_b32_e32 v1, 3, v2
	s_mov_b32 s22, exec_lo
	v_cmpx_gt_u32_e32 8, v2
; %bb.567:                              ;   in Loop: Header=BB253_11 Depth=1
	v_ffbh_u32_e32 v1, v16
	v_min_u32_e32 v1, 32, v1
	v_subrev_nc_u32_e32 v2, 28, v1
	v_sub_nc_u32_e32 v1, 29, v1
	v_lshlrev_b64 v[2:3], v2, v[16:17]
	v_and_b32_e32 v16, 7, v2
; %bb.568:                              ;   in Loop: Header=BB253_11 Depth=1
	s_or_b32 exec_lo, exec_lo, s22
	v_lshlrev_b32_e32 v2, 16, v0
	v_lshlrev_b32_e32 v3, 20, v16
	v_lshl_add_u32 v1, v1, 23, 0x3c000000
	v_mov_b32_e32 v38, v17
	v_and_b32_e32 v2, 0x80000000, v2
	v_or3_b32 v39, v3, v2, v1
.LBB253_569:                            ;   in Loop: Header=BB253_11 Depth=1
	s_or_b32 exec_lo, exec_lo, s21
.LBB253_570:                            ;   in Loop: Header=BB253_11 Depth=1
	s_or_b32 exec_lo, exec_lo, s17
.LBB253_571:                            ;   in Loop: Header=BB253_11 Depth=1
	s_or_b32 exec_lo, exec_lo, s13
	v_mov_b32_e32 v1, 0xff
	v_mov_b32_e32 v36, 0
	;; [unrolled: 1-line block ×5, first 2 shown]
	v_and_b32_sdwa v1, v0, v1 dst_sel:DWORD dst_unused:UNUSED_PAD src0_sel:WORD_1 src1_sel:DWORD
	s_mov_b32 s13, exec_lo
	v_cmpx_ne_u16_e32 0, v1
	s_cbranch_execz .LBB253_579
; %bb.572:                              ;   in Loop: Header=BB253_11 Depth=1
	v_bfrev_b32_e32 v70, 1
	v_mov_b32_e32 v71, 0
	s_mov_b32 s17, exec_lo
	v_cmpx_ne_u16_e32 0x80, v1
	s_cbranch_execz .LBB253_578
; %bb.573:                              ;   in Loop: Header=BB253_11 Depth=1
	v_mov_b32_e32 v70, 0x7f800001
	v_bfe_u32 v2, v0, 16, 7
	v_mov_b32_e32 v71, 0
	s_mov_b32 s21, exec_lo
	v_cmpx_ne_u32_e32 0x7f, v2
	s_cbranch_execz .LBB253_577
; %bb.574:                              ;   in Loop: Header=BB253_11 Depth=1
	v_mov_b32_e32 v1, 7
	s_mov_b32 s22, exec_lo
	v_and_b32_sdwa v16, v0, v1 dst_sel:DWORD dst_unused:UNUSED_PAD src0_sel:WORD_1 src1_sel:DWORD
	v_lshrrev_b32_e32 v1, 3, v2
	v_cmpx_gt_u32_e32 8, v2
; %bb.575:                              ;   in Loop: Header=BB253_11 Depth=1
	v_ffbh_u32_e32 v1, v16
	v_min_u32_e32 v1, 32, v1
	v_subrev_nc_u32_e32 v2, 28, v1
	v_sub_nc_u32_e32 v1, 29, v1
	v_lshlrev_b64 v[2:3], v2, v[16:17]
	v_and_b32_e32 v16, 7, v2
; %bb.576:                              ;   in Loop: Header=BB253_11 Depth=1
	s_or_b32 exec_lo, exec_lo, s22
	v_mov_b32_e32 v2, 24
	v_lshlrev_b32_e32 v3, 20, v16
	v_lshl_add_u32 v1, v1, 23, 0x3c000000
	v_lshlrev_b32_sdwa v2, v2, v0 dst_sel:DWORD dst_unused:UNUSED_PAD src0_sel:DWORD src1_sel:WORD_1
	v_and_b32_e32 v2, 0x80000000, v2
	v_or3_b32 v16, v3, v2, v1
	v_mov_b32_e32 v71, v17
	v_mov_b32_e32 v70, v16
.LBB253_577:                            ;   in Loop: Header=BB253_11 Depth=1
	s_or_b32 exec_lo, exec_lo, s21
.LBB253_578:                            ;   in Loop: Header=BB253_11 Depth=1
	s_or_b32 exec_lo, exec_lo, s17
.LBB253_579:                            ;   in Loop: Header=BB253_11 Depth=1
	s_or_b32 exec_lo, exec_lo, s13
	s_mov_b32 s13, exec_lo
	v_cmpx_lt_u32_e32 0xffffff, v0
	s_cbranch_execz .LBB253_587
; %bb.580:                              ;   in Loop: Header=BB253_11 Depth=1
	v_mov_b32_e32 v64, v17
	v_cmp_ne_u32_sdwa s5, v0, v45 src0_sel:BYTE_3 src1_sel:DWORD
	v_mov_b32_e32 v36, v64
	v_mov_b32_e32 v37, v65
	s_and_saveexec_b32 s17, s5
	s_cbranch_execz .LBB253_586
; %bb.581:                              ;   in Loop: Header=BB253_11 Depth=1
	v_mov_b32_e32 v10, v17
	v_mov_b32_e32 v37, v11
	v_bfe_u32 v2, v0, 24, 7
	s_mov_b32 s21, exec_lo
	v_mov_b32_e32 v36, v10
	v_cmpx_ne_u32_e32 0x7f, v2
	s_cbranch_execz .LBB253_585
; %bb.582:                              ;   in Loop: Header=BB253_11 Depth=1
	v_mov_b32_e32 v1, 7
	s_mov_b32 s22, exec_lo
	v_and_b32_sdwa v16, v0, v1 dst_sel:DWORD dst_unused:UNUSED_PAD src0_sel:BYTE_3 src1_sel:DWORD
	v_lshrrev_b32_e32 v1, 3, v2
	v_cmpx_gt_u32_e32 8, v2
; %bb.583:                              ;   in Loop: Header=BB253_11 Depth=1
	v_ffbh_u32_e32 v1, v16
	v_min_u32_e32 v1, 32, v1
	v_subrev_nc_u32_e32 v2, 28, v1
	v_sub_nc_u32_e32 v1, 29, v1
	v_lshlrev_b64 v[2:3], v2, v[16:17]
	v_and_b32_e32 v16, 7, v2
; %bb.584:                              ;   in Loop: Header=BB253_11 Depth=1
	s_or_b32 exec_lo, exec_lo, s22
	v_mov_b32_e32 v2, 24
	v_lshl_add_u32 v1, v1, 23, 0x3c000000
	v_mov_b32_e32 v36, v17
	v_lshlrev_b32_sdwa v0, v2, v0 dst_sel:DWORD dst_unused:UNUSED_PAD src0_sel:DWORD src1_sel:BYTE_3
	v_lshlrev_b32_e32 v2, 20, v16
	v_and_b32_e32 v0, 0x80000000, v0
	v_or3_b32 v37, v2, v0, v1
.LBB253_585:                            ;   in Loop: Header=BB253_11 Depth=1
	s_or_b32 exec_lo, exec_lo, s21
.LBB253_586:                            ;   in Loop: Header=BB253_11 Depth=1
	s_or_b32 exec_lo, exec_lo, s17
.LBB253_587:                            ;   in Loop: Header=BB253_11 Depth=1
	s_or_b32 exec_lo, exec_lo, s13
	flat_load_dword v0, v[50:51] offset:8
	v_mov_b32_e32 v52, 0
	v_mov_b32_e32 v80, 0
	;; [unrolled: 1-line block ×4, first 2 shown]
	s_waitcnt vmcnt(0) lgkmcnt(0)
	v_cmp_ne_u16_sdwa s5, v0, v17 src0_sel:BYTE_0 src1_sel:DWORD
	s_and_saveexec_b32 s13, s5
	s_cbranch_execz .LBB253_595
; %bb.588:                              ;   in Loop: Header=BB253_11 Depth=1
	v_bfrev_b32_e32 v80, 1
	v_mov_b32_e32 v81, 0
	v_cmp_ne_u16_sdwa s5, v0, v45 src0_sel:BYTE_0 src1_sel:DWORD
	s_and_saveexec_b32 s17, s5
	s_cbranch_execz .LBB253_594
; %bb.589:                              ;   in Loop: Header=BB253_11 Depth=1
	v_mov_b32_e32 v80, 0x7f800001
	v_and_b32_e32 v2, 0x7f, v0
	v_mov_b32_e32 v81, 0
	s_mov_b32 s21, exec_lo
	v_cmpx_ne_u32_e32 0x7f, v2
	s_cbranch_execz .LBB253_593
; %bb.590:                              ;   in Loop: Header=BB253_11 Depth=1
	v_and_b32_e32 v16, 7, v0
	v_lshrrev_b32_e32 v1, 3, v2
	s_mov_b32 s22, exec_lo
	v_cmpx_gt_u32_e32 8, v2
; %bb.591:                              ;   in Loop: Header=BB253_11 Depth=1
	v_ffbh_u32_e32 v1, v16
	v_min_u32_e32 v1, 32, v1
	v_subrev_nc_u32_e32 v2, 28, v1
	v_sub_nc_u32_e32 v1, 29, v1
	v_lshlrev_b64 v[2:3], v2, v[16:17]
	v_and_b32_e32 v16, 7, v2
; %bb.592:                              ;   in Loop: Header=BB253_11 Depth=1
	s_or_b32 exec_lo, exec_lo, s22
	v_lshlrev_b32_e32 v2, 24, v0
	v_lshlrev_b32_e32 v3, 20, v16
	v_lshl_add_u32 v1, v1, 23, 0x3c000000
	v_and_b32_e32 v2, 0x80000000, v2
	v_or3_b32 v16, v3, v2, v1
	v_mov_b32_e32 v81, v17
	v_mov_b32_e32 v80, v16
.LBB253_593:                            ;   in Loop: Header=BB253_11 Depth=1
	s_or_b32 exec_lo, exec_lo, s21
.LBB253_594:                            ;   in Loop: Header=BB253_11 Depth=1
	s_or_b32 exec_lo, exec_lo, s17
.LBB253_595:                            ;   in Loop: Header=BB253_11 Depth=1
	s_or_b32 exec_lo, exec_lo, s13
	v_cmp_ne_u16_sdwa s5, v0, v17 src0_sel:BYTE_1 src1_sel:DWORD
	s_and_saveexec_b32 s13, s5
	s_cbranch_execz .LBB253_603
; %bb.596:                              ;   in Loop: Header=BB253_11 Depth=1
	v_mov_b32_e32 v64, v17
	v_cmp_ne_u16_sdwa s5, v0, v45 src0_sel:BYTE_1 src1_sel:DWORD
	v_mov_b32_e32 v52, v64
	v_mov_b32_e32 v53, v65
	s_and_saveexec_b32 s17, s5
	s_cbranch_execz .LBB253_602
; %bb.597:                              ;   in Loop: Header=BB253_11 Depth=1
	v_mov_b32_e32 v1, 0xffff
	v_mov_b32_e32 v10, v17
	v_mov_b32_e32 v53, v11
	s_mov_b32 s21, exec_lo
	v_and_b32_sdwa v1, v1, v0 dst_sel:DWORD dst_unused:UNUSED_PAD src0_sel:DWORD src1_sel:BYTE_1
	v_mov_b32_e32 v52, v10
	v_and_b32_e32 v2, 0x7f, v1
	v_cmpx_ne_u32_e32 0x7f, v2
	s_cbranch_execz .LBB253_601
; %bb.598:                              ;   in Loop: Header=BB253_11 Depth=1
	v_and_b32_e32 v16, 7, v1
	v_lshrrev_b32_e32 v1, 3, v2
	s_mov_b32 s22, exec_lo
	v_cmpx_gt_u32_e32 8, v2
; %bb.599:                              ;   in Loop: Header=BB253_11 Depth=1
	v_ffbh_u32_e32 v1, v16
	v_min_u32_e32 v1, 32, v1
	v_subrev_nc_u32_e32 v2, 28, v1
	v_sub_nc_u32_e32 v1, 29, v1
	v_lshlrev_b64 v[2:3], v2, v[16:17]
	v_and_b32_e32 v16, 7, v2
; %bb.600:                              ;   in Loop: Header=BB253_11 Depth=1
	s_or_b32 exec_lo, exec_lo, s22
	v_lshlrev_b32_e32 v2, 16, v0
	v_lshlrev_b32_e32 v3, 20, v16
	v_lshl_add_u32 v1, v1, 23, 0x3c000000
	v_mov_b32_e32 v52, v17
	v_and_b32_e32 v2, 0x80000000, v2
	v_or3_b32 v53, v3, v2, v1
.LBB253_601:                            ;   in Loop: Header=BB253_11 Depth=1
	s_or_b32 exec_lo, exec_lo, s21
.LBB253_602:                            ;   in Loop: Header=BB253_11 Depth=1
	s_or_b32 exec_lo, exec_lo, s17
.LBB253_603:                            ;   in Loop: Header=BB253_11 Depth=1
	s_or_b32 exec_lo, exec_lo, s13
	v_mov_b32_e32 v1, 0xff
	v_mov_b32_e32 v86, 0
	;; [unrolled: 1-line block ×5, first 2 shown]
	v_and_b32_sdwa v1, v0, v1 dst_sel:DWORD dst_unused:UNUSED_PAD src0_sel:WORD_1 src1_sel:DWORD
	s_mov_b32 s13, exec_lo
	v_cmpx_ne_u16_e32 0, v1
	s_cbranch_execz .LBB253_611
; %bb.604:                              ;   in Loop: Header=BB253_11 Depth=1
	v_bfrev_b32_e32 v66, 1
	v_mov_b32_e32 v67, 0
	s_mov_b32 s17, exec_lo
	v_cmpx_ne_u16_e32 0x80, v1
	s_cbranch_execz .LBB253_610
; %bb.605:                              ;   in Loop: Header=BB253_11 Depth=1
	v_mov_b32_e32 v66, 0x7f800001
	v_bfe_u32 v2, v0, 16, 7
	v_mov_b32_e32 v67, 0
	s_mov_b32 s21, exec_lo
	v_cmpx_ne_u32_e32 0x7f, v2
	s_cbranch_execz .LBB253_609
; %bb.606:                              ;   in Loop: Header=BB253_11 Depth=1
	v_mov_b32_e32 v1, 7
	s_mov_b32 s22, exec_lo
	v_and_b32_sdwa v16, v0, v1 dst_sel:DWORD dst_unused:UNUSED_PAD src0_sel:WORD_1 src1_sel:DWORD
	v_lshrrev_b32_e32 v1, 3, v2
	v_cmpx_gt_u32_e32 8, v2
; %bb.607:                              ;   in Loop: Header=BB253_11 Depth=1
	v_ffbh_u32_e32 v1, v16
	v_min_u32_e32 v1, 32, v1
	v_subrev_nc_u32_e32 v2, 28, v1
	v_sub_nc_u32_e32 v1, 29, v1
	v_lshlrev_b64 v[2:3], v2, v[16:17]
	v_and_b32_e32 v16, 7, v2
; %bb.608:                              ;   in Loop: Header=BB253_11 Depth=1
	s_or_b32 exec_lo, exec_lo, s22
	v_mov_b32_e32 v2, 24
	v_lshlrev_b32_e32 v3, 20, v16
	v_lshl_add_u32 v1, v1, 23, 0x3c000000
	v_lshlrev_b32_sdwa v2, v2, v0 dst_sel:DWORD dst_unused:UNUSED_PAD src0_sel:DWORD src1_sel:WORD_1
	v_and_b32_e32 v2, 0x80000000, v2
	v_or3_b32 v16, v3, v2, v1
	v_mov_b32_e32 v67, v17
	v_mov_b32_e32 v66, v16
.LBB253_609:                            ;   in Loop: Header=BB253_11 Depth=1
	s_or_b32 exec_lo, exec_lo, s21
.LBB253_610:                            ;   in Loop: Header=BB253_11 Depth=1
	s_or_b32 exec_lo, exec_lo, s17
.LBB253_611:                            ;   in Loop: Header=BB253_11 Depth=1
	s_or_b32 exec_lo, exec_lo, s13
	s_mov_b32 s13, exec_lo
	v_cmpx_lt_u32_e32 0xffffff, v0
	s_cbranch_execz .LBB253_619
; %bb.612:                              ;   in Loop: Header=BB253_11 Depth=1
	v_mov_b32_e32 v64, v17
	v_mov_b32_e32 v87, v65
	v_cmp_ne_u32_sdwa s5, v0, v45 src0_sel:BYTE_3 src1_sel:DWORD
	v_mov_b32_e32 v86, v64
	s_and_saveexec_b32 s17, s5
	s_cbranch_execz .LBB253_618
; %bb.613:                              ;   in Loop: Header=BB253_11 Depth=1
	v_mov_b32_e32 v10, v17
	v_mov_b32_e32 v87, v11
	v_bfe_u32 v2, v0, 24, 7
	s_mov_b32 s21, exec_lo
	v_mov_b32_e32 v86, v10
	v_cmpx_ne_u32_e32 0x7f, v2
	s_cbranch_execz .LBB253_617
; %bb.614:                              ;   in Loop: Header=BB253_11 Depth=1
	v_mov_b32_e32 v1, 7
	s_mov_b32 s22, exec_lo
	v_and_b32_sdwa v16, v0, v1 dst_sel:DWORD dst_unused:UNUSED_PAD src0_sel:BYTE_3 src1_sel:DWORD
	v_lshrrev_b32_e32 v1, 3, v2
	v_cmpx_gt_u32_e32 8, v2
; %bb.615:                              ;   in Loop: Header=BB253_11 Depth=1
	v_ffbh_u32_e32 v1, v16
	v_min_u32_e32 v1, 32, v1
	v_subrev_nc_u32_e32 v2, 28, v1
	v_sub_nc_u32_e32 v1, 29, v1
	v_lshlrev_b64 v[2:3], v2, v[16:17]
	v_and_b32_e32 v16, 7, v2
; %bb.616:                              ;   in Loop: Header=BB253_11 Depth=1
	s_or_b32 exec_lo, exec_lo, s22
	v_mov_b32_e32 v2, 24
	v_lshl_add_u32 v1, v1, 23, 0x3c000000
	v_mov_b32_e32 v86, v17
	v_lshlrev_b32_sdwa v0, v2, v0 dst_sel:DWORD dst_unused:UNUSED_PAD src0_sel:DWORD src1_sel:BYTE_3
	v_lshlrev_b32_e32 v2, 20, v16
	v_and_b32_e32 v0, 0x80000000, v0
	v_or3_b32 v87, v2, v0, v1
.LBB253_617:                            ;   in Loop: Header=BB253_11 Depth=1
	s_or_b32 exec_lo, exec_lo, s21
.LBB253_618:                            ;   in Loop: Header=BB253_11 Depth=1
	s_or_b32 exec_lo, exec_lo, s17
.LBB253_619:                            ;   in Loop: Header=BB253_11 Depth=1
	s_or_b32 exec_lo, exec_lo, s13
	flat_load_dword v0, v[50:51] offset:12
	v_mov_b32_e32 v68, 0
	v_mov_b32_e32 v96, 0
	;; [unrolled: 1-line block ×4, first 2 shown]
	s_waitcnt vmcnt(0) lgkmcnt(0)
	v_cmp_ne_u16_sdwa s5, v0, v17 src0_sel:BYTE_0 src1_sel:DWORD
	s_and_saveexec_b32 s13, s5
	s_cbranch_execz .LBB253_627
; %bb.620:                              ;   in Loop: Header=BB253_11 Depth=1
	v_bfrev_b32_e32 v96, 1
	v_mov_b32_e32 v97, 0
	v_cmp_ne_u16_sdwa s5, v0, v45 src0_sel:BYTE_0 src1_sel:DWORD
	s_and_saveexec_b32 s17, s5
	s_cbranch_execz .LBB253_626
; %bb.621:                              ;   in Loop: Header=BB253_11 Depth=1
	v_mov_b32_e32 v96, 0x7f800001
	v_and_b32_e32 v2, 0x7f, v0
	v_mov_b32_e32 v97, 0
	s_mov_b32 s21, exec_lo
	v_cmpx_ne_u32_e32 0x7f, v2
	s_cbranch_execz .LBB253_625
; %bb.622:                              ;   in Loop: Header=BB253_11 Depth=1
	v_and_b32_e32 v16, 7, v0
	v_lshrrev_b32_e32 v1, 3, v2
	s_mov_b32 s22, exec_lo
	v_cmpx_gt_u32_e32 8, v2
; %bb.623:                              ;   in Loop: Header=BB253_11 Depth=1
	v_ffbh_u32_e32 v1, v16
	v_min_u32_e32 v1, 32, v1
	v_subrev_nc_u32_e32 v2, 28, v1
	v_sub_nc_u32_e32 v1, 29, v1
	v_lshlrev_b64 v[2:3], v2, v[16:17]
	v_and_b32_e32 v16, 7, v2
; %bb.624:                              ;   in Loop: Header=BB253_11 Depth=1
	s_or_b32 exec_lo, exec_lo, s22
	v_lshlrev_b32_e32 v2, 24, v0
	v_lshlrev_b32_e32 v3, 20, v16
	v_lshl_add_u32 v1, v1, 23, 0x3c000000
	v_and_b32_e32 v2, 0x80000000, v2
	v_or3_b32 v16, v3, v2, v1
	v_mov_b32_e32 v97, v17
	v_mov_b32_e32 v96, v16
.LBB253_625:                            ;   in Loop: Header=BB253_11 Depth=1
	s_or_b32 exec_lo, exec_lo, s21
.LBB253_626:                            ;   in Loop: Header=BB253_11 Depth=1
	s_or_b32 exec_lo, exec_lo, s17
.LBB253_627:                            ;   in Loop: Header=BB253_11 Depth=1
	s_or_b32 exec_lo, exec_lo, s13
	v_cmp_ne_u16_sdwa s5, v0, v17 src0_sel:BYTE_1 src1_sel:DWORD
	s_and_saveexec_b32 s13, s5
	s_cbranch_execz .LBB253_635
; %bb.628:                              ;   in Loop: Header=BB253_11 Depth=1
	v_mov_b32_e32 v64, v17
	v_mov_b32_e32 v69, v65
	v_cmp_ne_u16_sdwa s5, v0, v45 src0_sel:BYTE_1 src1_sel:DWORD
	v_mov_b32_e32 v68, v64
	s_and_saveexec_b32 s17, s5
	s_cbranch_execz .LBB253_634
; %bb.629:                              ;   in Loop: Header=BB253_11 Depth=1
	v_mov_b32_e32 v1, 0xffff
	v_mov_b32_e32 v10, v17
	;; [unrolled: 1-line block ×3, first 2 shown]
	s_mov_b32 s21, exec_lo
	v_and_b32_sdwa v1, v1, v0 dst_sel:DWORD dst_unused:UNUSED_PAD src0_sel:DWORD src1_sel:BYTE_1
	v_mov_b32_e32 v68, v10
	v_and_b32_e32 v2, 0x7f, v1
	v_cmpx_ne_u32_e32 0x7f, v2
	s_cbranch_execz .LBB253_633
; %bb.630:                              ;   in Loop: Header=BB253_11 Depth=1
	v_and_b32_e32 v16, 7, v1
	v_lshrrev_b32_e32 v1, 3, v2
	s_mov_b32 s22, exec_lo
	v_cmpx_gt_u32_e32 8, v2
; %bb.631:                              ;   in Loop: Header=BB253_11 Depth=1
	v_ffbh_u32_e32 v1, v16
	v_min_u32_e32 v1, 32, v1
	v_subrev_nc_u32_e32 v2, 28, v1
	v_sub_nc_u32_e32 v1, 29, v1
	v_lshlrev_b64 v[2:3], v2, v[16:17]
	v_and_b32_e32 v16, 7, v2
; %bb.632:                              ;   in Loop: Header=BB253_11 Depth=1
	s_or_b32 exec_lo, exec_lo, s22
	v_lshlrev_b32_e32 v2, 16, v0
	v_lshlrev_b32_e32 v3, 20, v16
	v_lshl_add_u32 v1, v1, 23, 0x3c000000
	v_mov_b32_e32 v68, v17
	v_and_b32_e32 v2, 0x80000000, v2
	v_or3_b32 v69, v3, v2, v1
.LBB253_633:                            ;   in Loop: Header=BB253_11 Depth=1
	s_or_b32 exec_lo, exec_lo, s21
.LBB253_634:                            ;   in Loop: Header=BB253_11 Depth=1
	s_or_b32 exec_lo, exec_lo, s17
.LBB253_635:                            ;   in Loop: Header=BB253_11 Depth=1
	s_or_b32 exec_lo, exec_lo, s13
	v_mov_b32_e32 v1, 0xff
	v_mov_b32_e32 v102, 0
	;; [unrolled: 1-line block ×5, first 2 shown]
	v_and_b32_sdwa v1, v0, v1 dst_sel:DWORD dst_unused:UNUSED_PAD src0_sel:WORD_1 src1_sel:DWORD
	s_mov_b32 s13, exec_lo
	v_cmpx_ne_u16_e32 0, v1
	s_cbranch_execz .LBB253_643
; %bb.636:                              ;   in Loop: Header=BB253_11 Depth=1
	v_bfrev_b32_e32 v82, 1
	v_mov_b32_e32 v83, 0
	s_mov_b32 s17, exec_lo
	v_cmpx_ne_u16_e32 0x80, v1
	s_cbranch_execz .LBB253_642
; %bb.637:                              ;   in Loop: Header=BB253_11 Depth=1
	v_mov_b32_e32 v82, 0x7f800001
	v_bfe_u32 v2, v0, 16, 7
	v_mov_b32_e32 v83, 0
	s_mov_b32 s21, exec_lo
	v_cmpx_ne_u32_e32 0x7f, v2
	s_cbranch_execz .LBB253_641
; %bb.638:                              ;   in Loop: Header=BB253_11 Depth=1
	v_mov_b32_e32 v1, 7
	s_mov_b32 s22, exec_lo
	v_and_b32_sdwa v16, v0, v1 dst_sel:DWORD dst_unused:UNUSED_PAD src0_sel:WORD_1 src1_sel:DWORD
	v_lshrrev_b32_e32 v1, 3, v2
	v_cmpx_gt_u32_e32 8, v2
; %bb.639:                              ;   in Loop: Header=BB253_11 Depth=1
	v_ffbh_u32_e32 v1, v16
	v_min_u32_e32 v1, 32, v1
	v_subrev_nc_u32_e32 v2, 28, v1
	v_sub_nc_u32_e32 v1, 29, v1
	v_lshlrev_b64 v[2:3], v2, v[16:17]
	v_and_b32_e32 v16, 7, v2
; %bb.640:                              ;   in Loop: Header=BB253_11 Depth=1
	s_or_b32 exec_lo, exec_lo, s22
	v_mov_b32_e32 v2, 24
	v_lshlrev_b32_e32 v3, 20, v16
	v_lshl_add_u32 v1, v1, 23, 0x3c000000
	v_lshlrev_b32_sdwa v2, v2, v0 dst_sel:DWORD dst_unused:UNUSED_PAD src0_sel:DWORD src1_sel:WORD_1
	v_and_b32_e32 v2, 0x80000000, v2
	v_or3_b32 v16, v3, v2, v1
	v_mov_b32_e32 v83, v17
	v_mov_b32_e32 v82, v16
.LBB253_641:                            ;   in Loop: Header=BB253_11 Depth=1
	s_or_b32 exec_lo, exec_lo, s21
.LBB253_642:                            ;   in Loop: Header=BB253_11 Depth=1
	s_or_b32 exec_lo, exec_lo, s17
.LBB253_643:                            ;   in Loop: Header=BB253_11 Depth=1
	s_or_b32 exec_lo, exec_lo, s13
	s_mov_b32 s13, exec_lo
	v_cmpx_lt_u32_e32 0xffffff, v0
	s_cbranch_execz .LBB253_651
; %bb.644:                              ;   in Loop: Header=BB253_11 Depth=1
	v_mov_b32_e32 v64, v17
	v_mov_b32_e32 v103, v65
	v_cmp_ne_u32_sdwa s5, v0, v45 src0_sel:BYTE_3 src1_sel:DWORD
	v_mov_b32_e32 v102, v64
	s_and_saveexec_b32 s17, s5
	s_cbranch_execz .LBB253_650
; %bb.645:                              ;   in Loop: Header=BB253_11 Depth=1
	v_mov_b32_e32 v10, v17
	v_mov_b32_e32 v103, v11
	v_bfe_u32 v2, v0, 24, 7
	s_mov_b32 s21, exec_lo
	v_mov_b32_e32 v102, v10
	v_cmpx_ne_u32_e32 0x7f, v2
	s_cbranch_execz .LBB253_649
; %bb.646:                              ;   in Loop: Header=BB253_11 Depth=1
	v_mov_b32_e32 v1, 7
	s_mov_b32 s22, exec_lo
	v_and_b32_sdwa v16, v0, v1 dst_sel:DWORD dst_unused:UNUSED_PAD src0_sel:BYTE_3 src1_sel:DWORD
	v_lshrrev_b32_e32 v1, 3, v2
	v_cmpx_gt_u32_e32 8, v2
; %bb.647:                              ;   in Loop: Header=BB253_11 Depth=1
	v_ffbh_u32_e32 v1, v16
	v_min_u32_e32 v1, 32, v1
	v_subrev_nc_u32_e32 v2, 28, v1
	v_sub_nc_u32_e32 v1, 29, v1
	v_lshlrev_b64 v[2:3], v2, v[16:17]
	v_and_b32_e32 v16, 7, v2
; %bb.648:                              ;   in Loop: Header=BB253_11 Depth=1
	s_or_b32 exec_lo, exec_lo, s22
	v_mov_b32_e32 v2, 24
	v_lshl_add_u32 v1, v1, 23, 0x3c000000
	v_mov_b32_e32 v102, v17
	v_lshlrev_b32_sdwa v0, v2, v0 dst_sel:DWORD dst_unused:UNUSED_PAD src0_sel:DWORD src1_sel:BYTE_3
	v_lshlrev_b32_e32 v2, 20, v16
	v_and_b32_e32 v0, 0x80000000, v0
	v_or3_b32 v103, v2, v0, v1
.LBB253_649:                            ;   in Loop: Header=BB253_11 Depth=1
	s_or_b32 exec_lo, exec_lo, s21
.LBB253_650:                            ;   in Loop: Header=BB253_11 Depth=1
	s_or_b32 exec_lo, exec_lo, s17
.LBB253_651:                            ;   in Loop: Header=BB253_11 Depth=1
	s_or_b32 exec_lo, exec_lo, s13
	flat_load_dword v0, v[50:51] offset:512
	v_mov_b32_e32 v112, 0
	v_mov_b32_e32 v84, 0
	;; [unrolled: 1-line block ×4, first 2 shown]
	s_waitcnt vmcnt(0) lgkmcnt(0)
	v_cmp_ne_u16_sdwa s5, v0, v17 src0_sel:BYTE_0 src1_sel:DWORD
	s_and_saveexec_b32 s13, s5
	s_cbranch_execz .LBB253_659
; %bb.652:                              ;   in Loop: Header=BB253_11 Depth=1
	v_bfrev_b32_e32 v84, 1
	v_mov_b32_e32 v85, 0
	v_cmp_ne_u16_sdwa s5, v0, v45 src0_sel:BYTE_0 src1_sel:DWORD
	s_and_saveexec_b32 s17, s5
	s_cbranch_execz .LBB253_658
; %bb.653:                              ;   in Loop: Header=BB253_11 Depth=1
	v_mov_b32_e32 v84, 0x7f800001
	v_and_b32_e32 v2, 0x7f, v0
	v_mov_b32_e32 v85, 0
	s_mov_b32 s21, exec_lo
	v_cmpx_ne_u32_e32 0x7f, v2
	s_cbranch_execz .LBB253_657
; %bb.654:                              ;   in Loop: Header=BB253_11 Depth=1
	v_and_b32_e32 v16, 7, v0
	v_lshrrev_b32_e32 v1, 3, v2
	s_mov_b32 s22, exec_lo
	v_cmpx_gt_u32_e32 8, v2
; %bb.655:                              ;   in Loop: Header=BB253_11 Depth=1
	v_ffbh_u32_e32 v1, v16
	v_min_u32_e32 v1, 32, v1
	v_subrev_nc_u32_e32 v2, 28, v1
	v_sub_nc_u32_e32 v1, 29, v1
	v_lshlrev_b64 v[2:3], v2, v[16:17]
	v_and_b32_e32 v16, 7, v2
; %bb.656:                              ;   in Loop: Header=BB253_11 Depth=1
	s_or_b32 exec_lo, exec_lo, s22
	v_lshlrev_b32_e32 v2, 24, v0
	v_lshlrev_b32_e32 v3, 20, v16
	v_lshl_add_u32 v1, v1, 23, 0x3c000000
	v_and_b32_e32 v2, 0x80000000, v2
	v_or3_b32 v16, v3, v2, v1
	v_mov_b32_e32 v85, v17
	v_mov_b32_e32 v84, v16
.LBB253_657:                            ;   in Loop: Header=BB253_11 Depth=1
	s_or_b32 exec_lo, exec_lo, s21
.LBB253_658:                            ;   in Loop: Header=BB253_11 Depth=1
	s_or_b32 exec_lo, exec_lo, s17
.LBB253_659:                            ;   in Loop: Header=BB253_11 Depth=1
	s_or_b32 exec_lo, exec_lo, s13
	v_cmp_ne_u16_sdwa s5, v0, v17 src0_sel:BYTE_1 src1_sel:DWORD
	s_and_saveexec_b32 s13, s5
	s_cbranch_execz .LBB253_667
; %bb.660:                              ;   in Loop: Header=BB253_11 Depth=1
	v_mov_b32_e32 v64, v17
	v_mov_b32_e32 v113, v65
	v_cmp_ne_u16_sdwa s5, v0, v45 src0_sel:BYTE_1 src1_sel:DWORD
	v_mov_b32_e32 v112, v64
	s_and_saveexec_b32 s17, s5
	s_cbranch_execz .LBB253_666
; %bb.661:                              ;   in Loop: Header=BB253_11 Depth=1
	v_mov_b32_e32 v1, 0xffff
	v_mov_b32_e32 v10, v17
	;; [unrolled: 1-line block ×3, first 2 shown]
	s_mov_b32 s21, exec_lo
	v_and_b32_sdwa v1, v1, v0 dst_sel:DWORD dst_unused:UNUSED_PAD src0_sel:DWORD src1_sel:BYTE_1
	v_mov_b32_e32 v112, v10
	v_and_b32_e32 v2, 0x7f, v1
	v_cmpx_ne_u32_e32 0x7f, v2
	s_cbranch_execz .LBB253_665
; %bb.662:                              ;   in Loop: Header=BB253_11 Depth=1
	v_and_b32_e32 v16, 7, v1
	v_lshrrev_b32_e32 v1, 3, v2
	s_mov_b32 s22, exec_lo
	v_cmpx_gt_u32_e32 8, v2
; %bb.663:                              ;   in Loop: Header=BB253_11 Depth=1
	v_ffbh_u32_e32 v1, v16
	v_min_u32_e32 v1, 32, v1
	v_subrev_nc_u32_e32 v2, 28, v1
	v_sub_nc_u32_e32 v1, 29, v1
	v_lshlrev_b64 v[2:3], v2, v[16:17]
	v_and_b32_e32 v16, 7, v2
; %bb.664:                              ;   in Loop: Header=BB253_11 Depth=1
	s_or_b32 exec_lo, exec_lo, s22
	v_lshlrev_b32_e32 v2, 16, v0
	v_lshlrev_b32_e32 v3, 20, v16
	v_lshl_add_u32 v1, v1, 23, 0x3c000000
	v_mov_b32_e32 v112, v17
	v_and_b32_e32 v2, 0x80000000, v2
	v_or3_b32 v113, v3, v2, v1
.LBB253_665:                            ;   in Loop: Header=BB253_11 Depth=1
	s_or_b32 exec_lo, exec_lo, s21
.LBB253_666:                            ;   in Loop: Header=BB253_11 Depth=1
	s_or_b32 exec_lo, exec_lo, s17
.LBB253_667:                            ;   in Loop: Header=BB253_11 Depth=1
	s_or_b32 exec_lo, exec_lo, s13
	v_mov_b32_e32 v1, 0xff
	v_mov_b32_e32 v118, 0
	;; [unrolled: 1-line block ×5, first 2 shown]
	v_and_b32_sdwa v1, v0, v1 dst_sel:DWORD dst_unused:UNUSED_PAD src0_sel:WORD_1 src1_sel:DWORD
	s_mov_b32 s13, exec_lo
	v_cmpx_ne_u16_e32 0, v1
	s_cbranch_execz .LBB253_675
; %bb.668:                              ;   in Loop: Header=BB253_11 Depth=1
	v_bfrev_b32_e32 v98, 1
	v_mov_b32_e32 v99, 0
	s_mov_b32 s17, exec_lo
	v_cmpx_ne_u16_e32 0x80, v1
	s_cbranch_execz .LBB253_674
; %bb.669:                              ;   in Loop: Header=BB253_11 Depth=1
	v_mov_b32_e32 v98, 0x7f800001
	v_bfe_u32 v2, v0, 16, 7
	v_mov_b32_e32 v99, 0
	s_mov_b32 s21, exec_lo
	v_cmpx_ne_u32_e32 0x7f, v2
	s_cbranch_execz .LBB253_673
; %bb.670:                              ;   in Loop: Header=BB253_11 Depth=1
	v_mov_b32_e32 v1, 7
	s_mov_b32 s22, exec_lo
	v_and_b32_sdwa v16, v0, v1 dst_sel:DWORD dst_unused:UNUSED_PAD src0_sel:WORD_1 src1_sel:DWORD
	v_lshrrev_b32_e32 v1, 3, v2
	v_cmpx_gt_u32_e32 8, v2
; %bb.671:                              ;   in Loop: Header=BB253_11 Depth=1
	v_ffbh_u32_e32 v1, v16
	v_min_u32_e32 v1, 32, v1
	v_subrev_nc_u32_e32 v2, 28, v1
	v_sub_nc_u32_e32 v1, 29, v1
	v_lshlrev_b64 v[2:3], v2, v[16:17]
	v_and_b32_e32 v16, 7, v2
; %bb.672:                              ;   in Loop: Header=BB253_11 Depth=1
	s_or_b32 exec_lo, exec_lo, s22
	v_mov_b32_e32 v2, 24
	v_lshlrev_b32_e32 v3, 20, v16
	v_lshl_add_u32 v1, v1, 23, 0x3c000000
	v_lshlrev_b32_sdwa v2, v2, v0 dst_sel:DWORD dst_unused:UNUSED_PAD src0_sel:DWORD src1_sel:WORD_1
	v_and_b32_e32 v2, 0x80000000, v2
	v_or3_b32 v16, v3, v2, v1
	v_mov_b32_e32 v99, v17
	v_mov_b32_e32 v98, v16
.LBB253_673:                            ;   in Loop: Header=BB253_11 Depth=1
	s_or_b32 exec_lo, exec_lo, s21
.LBB253_674:                            ;   in Loop: Header=BB253_11 Depth=1
	s_or_b32 exec_lo, exec_lo, s17
.LBB253_675:                            ;   in Loop: Header=BB253_11 Depth=1
	s_or_b32 exec_lo, exec_lo, s13
	s_mov_b32 s13, exec_lo
	v_cmpx_lt_u32_e32 0xffffff, v0
	s_cbranch_execz .LBB253_683
; %bb.676:                              ;   in Loop: Header=BB253_11 Depth=1
	v_mov_b32_e32 v64, v17
	v_mov_b32_e32 v119, v65
	v_cmp_ne_u32_sdwa s5, v0, v45 src0_sel:BYTE_3 src1_sel:DWORD
	v_mov_b32_e32 v118, v64
	s_and_saveexec_b32 s17, s5
	s_cbranch_execz .LBB253_682
; %bb.677:                              ;   in Loop: Header=BB253_11 Depth=1
	v_mov_b32_e32 v10, v17
	v_mov_b32_e32 v119, v11
	v_bfe_u32 v2, v0, 24, 7
	s_mov_b32 s21, exec_lo
	v_mov_b32_e32 v118, v10
	v_cmpx_ne_u32_e32 0x7f, v2
	s_cbranch_execz .LBB253_681
; %bb.678:                              ;   in Loop: Header=BB253_11 Depth=1
	v_mov_b32_e32 v1, 7
	s_mov_b32 s22, exec_lo
	v_and_b32_sdwa v16, v0, v1 dst_sel:DWORD dst_unused:UNUSED_PAD src0_sel:BYTE_3 src1_sel:DWORD
	v_lshrrev_b32_e32 v1, 3, v2
	v_cmpx_gt_u32_e32 8, v2
; %bb.679:                              ;   in Loop: Header=BB253_11 Depth=1
	v_ffbh_u32_e32 v1, v16
	v_min_u32_e32 v1, 32, v1
	v_subrev_nc_u32_e32 v2, 28, v1
	v_sub_nc_u32_e32 v1, 29, v1
	v_lshlrev_b64 v[2:3], v2, v[16:17]
	v_and_b32_e32 v16, 7, v2
; %bb.680:                              ;   in Loop: Header=BB253_11 Depth=1
	s_or_b32 exec_lo, exec_lo, s22
	v_mov_b32_e32 v2, 24
	v_lshl_add_u32 v1, v1, 23, 0x3c000000
	v_mov_b32_e32 v118, v17
	v_lshlrev_b32_sdwa v0, v2, v0 dst_sel:DWORD dst_unused:UNUSED_PAD src0_sel:DWORD src1_sel:BYTE_3
	v_lshlrev_b32_e32 v2, 20, v16
	v_and_b32_e32 v0, 0x80000000, v0
	v_or3_b32 v119, v2, v0, v1
.LBB253_681:                            ;   in Loop: Header=BB253_11 Depth=1
	s_or_b32 exec_lo, exec_lo, s21
.LBB253_682:                            ;   in Loop: Header=BB253_11 Depth=1
	s_or_b32 exec_lo, exec_lo, s17
.LBB253_683:                            ;   in Loop: Header=BB253_11 Depth=1
	s_or_b32 exec_lo, exec_lo, s13
	flat_load_dword v0, v[50:51] offset:516
	v_mov_b32_e32 v40, 0
	v_mov_b32_e32 v100, 0
	;; [unrolled: 1-line block ×4, first 2 shown]
	s_waitcnt vmcnt(0) lgkmcnt(0)
	v_cmp_ne_u16_sdwa s5, v0, v17 src0_sel:BYTE_0 src1_sel:DWORD
	s_and_saveexec_b32 s13, s5
	s_cbranch_execz .LBB253_691
; %bb.684:                              ;   in Loop: Header=BB253_11 Depth=1
	v_bfrev_b32_e32 v100, 1
	v_mov_b32_e32 v101, 0
	v_cmp_ne_u16_sdwa s5, v0, v45 src0_sel:BYTE_0 src1_sel:DWORD
	s_and_saveexec_b32 s17, s5
	s_cbranch_execz .LBB253_690
; %bb.685:                              ;   in Loop: Header=BB253_11 Depth=1
	v_mov_b32_e32 v100, 0x7f800001
	v_and_b32_e32 v2, 0x7f, v0
	v_mov_b32_e32 v101, 0
	s_mov_b32 s21, exec_lo
	v_cmpx_ne_u32_e32 0x7f, v2
	s_cbranch_execz .LBB253_689
; %bb.686:                              ;   in Loop: Header=BB253_11 Depth=1
	v_and_b32_e32 v16, 7, v0
	v_lshrrev_b32_e32 v1, 3, v2
	s_mov_b32 s22, exec_lo
	v_cmpx_gt_u32_e32 8, v2
; %bb.687:                              ;   in Loop: Header=BB253_11 Depth=1
	v_ffbh_u32_e32 v1, v16
	v_min_u32_e32 v1, 32, v1
	v_subrev_nc_u32_e32 v2, 28, v1
	v_sub_nc_u32_e32 v1, 29, v1
	v_lshlrev_b64 v[2:3], v2, v[16:17]
	v_and_b32_e32 v16, 7, v2
; %bb.688:                              ;   in Loop: Header=BB253_11 Depth=1
	s_or_b32 exec_lo, exec_lo, s22
	v_lshlrev_b32_e32 v2, 24, v0
	v_lshlrev_b32_e32 v3, 20, v16
	v_lshl_add_u32 v1, v1, 23, 0x3c000000
	v_and_b32_e32 v2, 0x80000000, v2
	v_or3_b32 v16, v3, v2, v1
	v_mov_b32_e32 v101, v17
	v_mov_b32_e32 v100, v16
.LBB253_689:                            ;   in Loop: Header=BB253_11 Depth=1
	s_or_b32 exec_lo, exec_lo, s21
.LBB253_690:                            ;   in Loop: Header=BB253_11 Depth=1
	s_or_b32 exec_lo, exec_lo, s17
.LBB253_691:                            ;   in Loop: Header=BB253_11 Depth=1
	s_or_b32 exec_lo, exec_lo, s13
	v_cmp_ne_u16_sdwa s5, v0, v17 src0_sel:BYTE_1 src1_sel:DWORD
	s_and_saveexec_b32 s13, s5
	s_cbranch_execz .LBB253_699
; %bb.692:                              ;   in Loop: Header=BB253_11 Depth=1
	v_mov_b32_e32 v64, v17
	v_cmp_ne_u16_sdwa s5, v0, v45 src0_sel:BYTE_1 src1_sel:DWORD
	v_mov_b32_e32 v40, v64
	v_mov_b32_e32 v41, v65
	s_and_saveexec_b32 s17, s5
	s_cbranch_execz .LBB253_698
; %bb.693:                              ;   in Loop: Header=BB253_11 Depth=1
	v_mov_b32_e32 v1, 0xffff
	v_mov_b32_e32 v10, v17
	;; [unrolled: 1-line block ×3, first 2 shown]
	s_mov_b32 s21, exec_lo
	v_and_b32_sdwa v1, v1, v0 dst_sel:DWORD dst_unused:UNUSED_PAD src0_sel:DWORD src1_sel:BYTE_1
	v_mov_b32_e32 v40, v10
	v_and_b32_e32 v2, 0x7f, v1
	v_cmpx_ne_u32_e32 0x7f, v2
	s_cbranch_execz .LBB253_697
; %bb.694:                              ;   in Loop: Header=BB253_11 Depth=1
	v_and_b32_e32 v16, 7, v1
	v_lshrrev_b32_e32 v1, 3, v2
	s_mov_b32 s22, exec_lo
	v_cmpx_gt_u32_e32 8, v2
; %bb.695:                              ;   in Loop: Header=BB253_11 Depth=1
	v_ffbh_u32_e32 v1, v16
	v_min_u32_e32 v1, 32, v1
	v_subrev_nc_u32_e32 v2, 28, v1
	v_sub_nc_u32_e32 v1, 29, v1
	v_lshlrev_b64 v[2:3], v2, v[16:17]
	v_and_b32_e32 v16, 7, v2
; %bb.696:                              ;   in Loop: Header=BB253_11 Depth=1
	s_or_b32 exec_lo, exec_lo, s22
	v_lshlrev_b32_e32 v2, 16, v0
	v_lshlrev_b32_e32 v3, 20, v16
	v_lshl_add_u32 v1, v1, 23, 0x3c000000
	v_mov_b32_e32 v40, v17
	v_and_b32_e32 v2, 0x80000000, v2
	v_or3_b32 v41, v3, v2, v1
.LBB253_697:                            ;   in Loop: Header=BB253_11 Depth=1
	s_or_b32 exec_lo, exec_lo, s21
.LBB253_698:                            ;   in Loop: Header=BB253_11 Depth=1
	s_or_b32 exec_lo, exec_lo, s17
.LBB253_699:                            ;   in Loop: Header=BB253_11 Depth=1
	s_or_b32 exec_lo, exec_lo, s13
	v_mov_b32_e32 v1, 0xff
	v_mov_b32_e32 v46, 0
	v_mov_b32_e32 v114, 0
	v_mov_b32_e32 v47, 0
	v_mov_b32_e32 v115, 0
	v_and_b32_sdwa v1, v0, v1 dst_sel:DWORD dst_unused:UNUSED_PAD src0_sel:WORD_1 src1_sel:DWORD
	s_mov_b32 s13, exec_lo
	v_cmpx_ne_u16_e32 0, v1
	s_cbranch_execz .LBB253_707
; %bb.700:                              ;   in Loop: Header=BB253_11 Depth=1
	v_bfrev_b32_e32 v114, 1
	v_mov_b32_e32 v115, 0
	s_mov_b32 s17, exec_lo
	v_cmpx_ne_u16_e32 0x80, v1
	s_cbranch_execz .LBB253_706
; %bb.701:                              ;   in Loop: Header=BB253_11 Depth=1
	v_mov_b32_e32 v114, 0x7f800001
	v_bfe_u32 v2, v0, 16, 7
	v_mov_b32_e32 v115, 0
	s_mov_b32 s21, exec_lo
	v_cmpx_ne_u32_e32 0x7f, v2
	s_cbranch_execz .LBB253_705
; %bb.702:                              ;   in Loop: Header=BB253_11 Depth=1
	v_mov_b32_e32 v1, 7
	s_mov_b32 s22, exec_lo
	v_and_b32_sdwa v16, v0, v1 dst_sel:DWORD dst_unused:UNUSED_PAD src0_sel:WORD_1 src1_sel:DWORD
	v_lshrrev_b32_e32 v1, 3, v2
	v_cmpx_gt_u32_e32 8, v2
; %bb.703:                              ;   in Loop: Header=BB253_11 Depth=1
	v_ffbh_u32_e32 v1, v16
	v_min_u32_e32 v1, 32, v1
	v_subrev_nc_u32_e32 v2, 28, v1
	v_sub_nc_u32_e32 v1, 29, v1
	v_lshlrev_b64 v[2:3], v2, v[16:17]
	v_and_b32_e32 v16, 7, v2
; %bb.704:                              ;   in Loop: Header=BB253_11 Depth=1
	s_or_b32 exec_lo, exec_lo, s22
	v_mov_b32_e32 v2, 24
	v_lshlrev_b32_e32 v3, 20, v16
	v_lshl_add_u32 v1, v1, 23, 0x3c000000
	v_lshlrev_b32_sdwa v2, v2, v0 dst_sel:DWORD dst_unused:UNUSED_PAD src0_sel:DWORD src1_sel:WORD_1
	v_and_b32_e32 v2, 0x80000000, v2
	v_or3_b32 v16, v3, v2, v1
	v_mov_b32_e32 v115, v17
	v_mov_b32_e32 v114, v16
.LBB253_705:                            ;   in Loop: Header=BB253_11 Depth=1
	s_or_b32 exec_lo, exec_lo, s21
.LBB253_706:                            ;   in Loop: Header=BB253_11 Depth=1
	s_or_b32 exec_lo, exec_lo, s17
.LBB253_707:                            ;   in Loop: Header=BB253_11 Depth=1
	s_or_b32 exec_lo, exec_lo, s13
	s_mov_b32 s13, exec_lo
	v_cmpx_lt_u32_e32 0xffffff, v0
	s_cbranch_execz .LBB253_715
; %bb.708:                              ;   in Loop: Header=BB253_11 Depth=1
	v_mov_b32_e32 v64, v17
	v_cmp_ne_u32_sdwa s5, v0, v45 src0_sel:BYTE_3 src1_sel:DWORD
	v_mov_b32_e32 v46, v64
	v_mov_b32_e32 v47, v65
	s_and_saveexec_b32 s17, s5
	s_cbranch_execz .LBB253_714
; %bb.709:                              ;   in Loop: Header=BB253_11 Depth=1
	v_mov_b32_e32 v10, v17
	v_mov_b32_e32 v47, v11
	v_bfe_u32 v2, v0, 24, 7
	s_mov_b32 s21, exec_lo
	v_mov_b32_e32 v46, v10
	v_cmpx_ne_u32_e32 0x7f, v2
	s_cbranch_execz .LBB253_713
; %bb.710:                              ;   in Loop: Header=BB253_11 Depth=1
	v_mov_b32_e32 v1, 7
	s_mov_b32 s22, exec_lo
	v_and_b32_sdwa v16, v0, v1 dst_sel:DWORD dst_unused:UNUSED_PAD src0_sel:BYTE_3 src1_sel:DWORD
	v_lshrrev_b32_e32 v1, 3, v2
	v_cmpx_gt_u32_e32 8, v2
; %bb.711:                              ;   in Loop: Header=BB253_11 Depth=1
	v_ffbh_u32_e32 v1, v16
	v_min_u32_e32 v1, 32, v1
	v_subrev_nc_u32_e32 v2, 28, v1
	v_sub_nc_u32_e32 v1, 29, v1
	v_lshlrev_b64 v[2:3], v2, v[16:17]
	v_and_b32_e32 v16, 7, v2
; %bb.712:                              ;   in Loop: Header=BB253_11 Depth=1
	s_or_b32 exec_lo, exec_lo, s22
	v_mov_b32_e32 v2, 24
	v_lshl_add_u32 v1, v1, 23, 0x3c000000
	v_mov_b32_e32 v46, v17
	v_lshlrev_b32_sdwa v0, v2, v0 dst_sel:DWORD dst_unused:UNUSED_PAD src0_sel:DWORD src1_sel:BYTE_3
	v_lshlrev_b32_e32 v2, 20, v16
	v_and_b32_e32 v0, 0x80000000, v0
	v_or3_b32 v47, v2, v0, v1
.LBB253_713:                            ;   in Loop: Header=BB253_11 Depth=1
	s_or_b32 exec_lo, exec_lo, s21
.LBB253_714:                            ;   in Loop: Header=BB253_11 Depth=1
	s_or_b32 exec_lo, exec_lo, s17
.LBB253_715:                            ;   in Loop: Header=BB253_11 Depth=1
	s_or_b32 exec_lo, exec_lo, s13
	flat_load_dword v0, v[50:51] offset:520
	v_mov_b32_e32 v56, 0
	v_mov_b32_e32 v48, 0
	v_mov_b32_e32 v57, 0
	v_mov_b32_e32 v49, 0
	s_waitcnt vmcnt(0) lgkmcnt(0)
	v_cmp_ne_u16_sdwa s5, v0, v17 src0_sel:BYTE_0 src1_sel:DWORD
	s_and_saveexec_b32 s13, s5
	s_cbranch_execz .LBB253_723
; %bb.716:                              ;   in Loop: Header=BB253_11 Depth=1
	v_bfrev_b32_e32 v48, 1
	v_mov_b32_e32 v49, 0
	v_cmp_ne_u16_sdwa s5, v0, v45 src0_sel:BYTE_0 src1_sel:DWORD
	s_and_saveexec_b32 s17, s5
	s_cbranch_execz .LBB253_722
; %bb.717:                              ;   in Loop: Header=BB253_11 Depth=1
	v_mov_b32_e32 v48, 0x7f800001
	v_and_b32_e32 v2, 0x7f, v0
	v_mov_b32_e32 v49, 0
	s_mov_b32 s21, exec_lo
	v_cmpx_ne_u32_e32 0x7f, v2
	s_cbranch_execz .LBB253_721
; %bb.718:                              ;   in Loop: Header=BB253_11 Depth=1
	v_and_b32_e32 v16, 7, v0
	v_lshrrev_b32_e32 v1, 3, v2
	s_mov_b32 s22, exec_lo
	v_cmpx_gt_u32_e32 8, v2
; %bb.719:                              ;   in Loop: Header=BB253_11 Depth=1
	v_ffbh_u32_e32 v1, v16
	v_min_u32_e32 v1, 32, v1
	v_subrev_nc_u32_e32 v2, 28, v1
	v_sub_nc_u32_e32 v1, 29, v1
	v_lshlrev_b64 v[2:3], v2, v[16:17]
	v_and_b32_e32 v16, 7, v2
; %bb.720:                              ;   in Loop: Header=BB253_11 Depth=1
	s_or_b32 exec_lo, exec_lo, s22
	v_lshlrev_b32_e32 v2, 24, v0
	v_lshlrev_b32_e32 v3, 20, v16
	v_lshl_add_u32 v1, v1, 23, 0x3c000000
	v_and_b32_e32 v2, 0x80000000, v2
	v_or3_b32 v16, v3, v2, v1
	v_mov_b32_e32 v49, v17
	v_mov_b32_e32 v48, v16
.LBB253_721:                            ;   in Loop: Header=BB253_11 Depth=1
	s_or_b32 exec_lo, exec_lo, s21
.LBB253_722:                            ;   in Loop: Header=BB253_11 Depth=1
	s_or_b32 exec_lo, exec_lo, s17
.LBB253_723:                            ;   in Loop: Header=BB253_11 Depth=1
	s_or_b32 exec_lo, exec_lo, s13
	v_cmp_ne_u16_sdwa s5, v0, v17 src0_sel:BYTE_1 src1_sel:DWORD
	s_and_saveexec_b32 s13, s5
	s_cbranch_execz .LBB253_731
; %bb.724:                              ;   in Loop: Header=BB253_11 Depth=1
	v_mov_b32_e32 v64, v17
	v_cmp_ne_u16_sdwa s5, v0, v45 src0_sel:BYTE_1 src1_sel:DWORD
	v_mov_b32_e32 v56, v64
	v_mov_b32_e32 v57, v65
	s_and_saveexec_b32 s17, s5
	s_cbranch_execz .LBB253_730
; %bb.725:                              ;   in Loop: Header=BB253_11 Depth=1
	v_mov_b32_e32 v1, 0xffff
	v_mov_b32_e32 v10, v17
	;; [unrolled: 1-line block ×3, first 2 shown]
	s_mov_b32 s21, exec_lo
	v_and_b32_sdwa v1, v1, v0 dst_sel:DWORD dst_unused:UNUSED_PAD src0_sel:DWORD src1_sel:BYTE_1
	v_mov_b32_e32 v56, v10
	v_and_b32_e32 v2, 0x7f, v1
	v_cmpx_ne_u32_e32 0x7f, v2
	s_cbranch_execz .LBB253_729
; %bb.726:                              ;   in Loop: Header=BB253_11 Depth=1
	v_and_b32_e32 v16, 7, v1
	v_lshrrev_b32_e32 v1, 3, v2
	s_mov_b32 s22, exec_lo
	v_cmpx_gt_u32_e32 8, v2
; %bb.727:                              ;   in Loop: Header=BB253_11 Depth=1
	v_ffbh_u32_e32 v1, v16
	v_min_u32_e32 v1, 32, v1
	v_subrev_nc_u32_e32 v2, 28, v1
	v_sub_nc_u32_e32 v1, 29, v1
	v_lshlrev_b64 v[2:3], v2, v[16:17]
	v_and_b32_e32 v16, 7, v2
; %bb.728:                              ;   in Loop: Header=BB253_11 Depth=1
	s_or_b32 exec_lo, exec_lo, s22
	v_lshlrev_b32_e32 v2, 16, v0
	v_lshlrev_b32_e32 v3, 20, v16
	v_lshl_add_u32 v1, v1, 23, 0x3c000000
	v_mov_b32_e32 v56, v17
	v_and_b32_e32 v2, 0x80000000, v2
	v_or3_b32 v57, v3, v2, v1
.LBB253_729:                            ;   in Loop: Header=BB253_11 Depth=1
	s_or_b32 exec_lo, exec_lo, s21
.LBB253_730:                            ;   in Loop: Header=BB253_11 Depth=1
	s_or_b32 exec_lo, exec_lo, s17
.LBB253_731:                            ;   in Loop: Header=BB253_11 Depth=1
	s_or_b32 exec_lo, exec_lo, s13
	v_mov_b32_e32 v1, 0xff
	v_mov_b32_e32 v42, 0
	;; [unrolled: 1-line block ×5, first 2 shown]
	v_and_b32_sdwa v1, v0, v1 dst_sel:DWORD dst_unused:UNUSED_PAD src0_sel:WORD_1 src1_sel:DWORD
	s_mov_b32 s13, exec_lo
	v_cmpx_ne_u16_e32 0, v1
	s_cbranch_execz .LBB253_739
; %bb.732:                              ;   in Loop: Header=BB253_11 Depth=1
	v_bfrev_b32_e32 v62, 1
	v_mov_b32_e32 v63, 0
	s_mov_b32 s17, exec_lo
	v_cmpx_ne_u16_e32 0x80, v1
	s_cbranch_execz .LBB253_738
; %bb.733:                              ;   in Loop: Header=BB253_11 Depth=1
	v_mov_b32_e32 v62, 0x7f800001
	v_bfe_u32 v2, v0, 16, 7
	v_mov_b32_e32 v63, 0
	s_mov_b32 s21, exec_lo
	v_cmpx_ne_u32_e32 0x7f, v2
	s_cbranch_execz .LBB253_737
; %bb.734:                              ;   in Loop: Header=BB253_11 Depth=1
	v_mov_b32_e32 v1, 7
	s_mov_b32 s22, exec_lo
	v_and_b32_sdwa v16, v0, v1 dst_sel:DWORD dst_unused:UNUSED_PAD src0_sel:WORD_1 src1_sel:DWORD
	v_lshrrev_b32_e32 v1, 3, v2
	v_cmpx_gt_u32_e32 8, v2
; %bb.735:                              ;   in Loop: Header=BB253_11 Depth=1
	v_ffbh_u32_e32 v1, v16
	v_min_u32_e32 v1, 32, v1
	v_subrev_nc_u32_e32 v2, 28, v1
	v_sub_nc_u32_e32 v1, 29, v1
	v_lshlrev_b64 v[2:3], v2, v[16:17]
	v_and_b32_e32 v16, 7, v2
; %bb.736:                              ;   in Loop: Header=BB253_11 Depth=1
	s_or_b32 exec_lo, exec_lo, s22
	v_mov_b32_e32 v2, 24
	v_lshlrev_b32_e32 v3, 20, v16
	v_lshl_add_u32 v1, v1, 23, 0x3c000000
	v_lshlrev_b32_sdwa v2, v2, v0 dst_sel:DWORD dst_unused:UNUSED_PAD src0_sel:DWORD src1_sel:WORD_1
	v_and_b32_e32 v2, 0x80000000, v2
	v_or3_b32 v16, v3, v2, v1
	v_mov_b32_e32 v63, v17
	v_mov_b32_e32 v62, v16
.LBB253_737:                            ;   in Loop: Header=BB253_11 Depth=1
	s_or_b32 exec_lo, exec_lo, s21
.LBB253_738:                            ;   in Loop: Header=BB253_11 Depth=1
	s_or_b32 exec_lo, exec_lo, s17
.LBB253_739:                            ;   in Loop: Header=BB253_11 Depth=1
	s_or_b32 exec_lo, exec_lo, s13
	s_mov_b32 s13, exec_lo
	v_cmpx_lt_u32_e32 0xffffff, v0
	s_cbranch_execz .LBB253_747
; %bb.740:                              ;   in Loop: Header=BB253_11 Depth=1
	v_mov_b32_e32 v64, v17
	v_cmp_ne_u32_sdwa s5, v0, v45 src0_sel:BYTE_3 src1_sel:DWORD
	v_mov_b32_e32 v42, v64
	v_mov_b32_e32 v43, v65
	s_and_saveexec_b32 s17, s5
	s_cbranch_execz .LBB253_746
; %bb.741:                              ;   in Loop: Header=BB253_11 Depth=1
	v_mov_b32_e32 v10, v17
	v_mov_b32_e32 v43, v11
	v_bfe_u32 v2, v0, 24, 7
	s_mov_b32 s21, exec_lo
	v_mov_b32_e32 v42, v10
	v_cmpx_ne_u32_e32 0x7f, v2
	s_cbranch_execz .LBB253_745
; %bb.742:                              ;   in Loop: Header=BB253_11 Depth=1
	v_mov_b32_e32 v1, 7
	s_mov_b32 s22, exec_lo
	v_and_b32_sdwa v16, v0, v1 dst_sel:DWORD dst_unused:UNUSED_PAD src0_sel:BYTE_3 src1_sel:DWORD
	v_lshrrev_b32_e32 v1, 3, v2
	v_cmpx_gt_u32_e32 8, v2
; %bb.743:                              ;   in Loop: Header=BB253_11 Depth=1
	v_ffbh_u32_e32 v1, v16
	v_min_u32_e32 v1, 32, v1
	v_subrev_nc_u32_e32 v2, 28, v1
	v_sub_nc_u32_e32 v1, 29, v1
	v_lshlrev_b64 v[2:3], v2, v[16:17]
	v_and_b32_e32 v16, 7, v2
; %bb.744:                              ;   in Loop: Header=BB253_11 Depth=1
	s_or_b32 exec_lo, exec_lo, s22
	v_mov_b32_e32 v2, 24
	v_lshl_add_u32 v1, v1, 23, 0x3c000000
	v_mov_b32_e32 v42, v17
	v_lshlrev_b32_sdwa v0, v2, v0 dst_sel:DWORD dst_unused:UNUSED_PAD src0_sel:DWORD src1_sel:BYTE_3
	v_lshlrev_b32_e32 v2, 20, v16
	v_and_b32_e32 v0, 0x80000000, v0
	v_or3_b32 v43, v2, v0, v1
.LBB253_745:                            ;   in Loop: Header=BB253_11 Depth=1
	s_or_b32 exec_lo, exec_lo, s21
.LBB253_746:                            ;   in Loop: Header=BB253_11 Depth=1
	s_or_b32 exec_lo, exec_lo, s17
.LBB253_747:                            ;   in Loop: Header=BB253_11 Depth=1
	s_or_b32 exec_lo, exec_lo, s13
	flat_load_dword v0, v[50:51] offset:524
	v_mov_b32_e32 v54, 0
	v_mov_b32_e32 v26, 0
	;; [unrolled: 1-line block ×4, first 2 shown]
	s_waitcnt vmcnt(0) lgkmcnt(0)
	v_cmp_ne_u16_sdwa s5, v0, v17 src0_sel:BYTE_0 src1_sel:DWORD
	s_and_saveexec_b32 s13, s5
	s_cbranch_execz .LBB253_755
; %bb.748:                              ;   in Loop: Header=BB253_11 Depth=1
	v_bfrev_b32_e32 v26, 1
	v_mov_b32_e32 v27, 0
	v_cmp_ne_u16_sdwa s5, v0, v45 src0_sel:BYTE_0 src1_sel:DWORD
	s_and_saveexec_b32 s17, s5
	s_cbranch_execz .LBB253_754
; %bb.749:                              ;   in Loop: Header=BB253_11 Depth=1
	v_mov_b32_e32 v26, 0x7f800001
	v_and_b32_e32 v2, 0x7f, v0
	v_mov_b32_e32 v27, 0
	s_mov_b32 s21, exec_lo
	v_cmpx_ne_u32_e32 0x7f, v2
	s_cbranch_execz .LBB253_753
; %bb.750:                              ;   in Loop: Header=BB253_11 Depth=1
	v_and_b32_e32 v16, 7, v0
	v_lshrrev_b32_e32 v1, 3, v2
	s_mov_b32 s22, exec_lo
	v_cmpx_gt_u32_e32 8, v2
; %bb.751:                              ;   in Loop: Header=BB253_11 Depth=1
	v_ffbh_u32_e32 v1, v16
	v_min_u32_e32 v1, 32, v1
	v_subrev_nc_u32_e32 v2, 28, v1
	v_sub_nc_u32_e32 v1, 29, v1
	v_lshlrev_b64 v[2:3], v2, v[16:17]
	v_and_b32_e32 v16, 7, v2
; %bb.752:                              ;   in Loop: Header=BB253_11 Depth=1
	s_or_b32 exec_lo, exec_lo, s22
	v_lshlrev_b32_e32 v2, 24, v0
	v_lshlrev_b32_e32 v3, 20, v16
	v_lshl_add_u32 v1, v1, 23, 0x3c000000
	v_and_b32_e32 v2, 0x80000000, v2
	v_or3_b32 v16, v3, v2, v1
	v_mov_b32_e32 v27, v17
	v_mov_b32_e32 v26, v16
.LBB253_753:                            ;   in Loop: Header=BB253_11 Depth=1
	s_or_b32 exec_lo, exec_lo, s21
.LBB253_754:                            ;   in Loop: Header=BB253_11 Depth=1
	s_or_b32 exec_lo, exec_lo, s17
.LBB253_755:                            ;   in Loop: Header=BB253_11 Depth=1
	s_or_b32 exec_lo, exec_lo, s13
	v_cmp_ne_u16_sdwa s5, v0, v17 src0_sel:BYTE_1 src1_sel:DWORD
	s_and_saveexec_b32 s13, s5
	s_cbranch_execz .LBB253_763
; %bb.756:                              ;   in Loop: Header=BB253_11 Depth=1
	v_mov_b32_e32 v64, v17
	v_cmp_ne_u16_sdwa s5, v0, v45 src0_sel:BYTE_1 src1_sel:DWORD
	v_mov_b32_e32 v54, v64
	v_mov_b32_e32 v55, v65
	s_and_saveexec_b32 s17, s5
	s_cbranch_execz .LBB253_762
; %bb.757:                              ;   in Loop: Header=BB253_11 Depth=1
	v_mov_b32_e32 v1, 0xffff
	v_mov_b32_e32 v10, v17
	;; [unrolled: 1-line block ×3, first 2 shown]
	s_mov_b32 s21, exec_lo
	v_and_b32_sdwa v1, v1, v0 dst_sel:DWORD dst_unused:UNUSED_PAD src0_sel:DWORD src1_sel:BYTE_1
	v_mov_b32_e32 v54, v10
	v_and_b32_e32 v2, 0x7f, v1
	v_cmpx_ne_u32_e32 0x7f, v2
	s_cbranch_execz .LBB253_761
; %bb.758:                              ;   in Loop: Header=BB253_11 Depth=1
	v_and_b32_e32 v16, 7, v1
	v_lshrrev_b32_e32 v1, 3, v2
	s_mov_b32 s22, exec_lo
	v_cmpx_gt_u32_e32 8, v2
; %bb.759:                              ;   in Loop: Header=BB253_11 Depth=1
	v_ffbh_u32_e32 v1, v16
	v_min_u32_e32 v1, 32, v1
	v_subrev_nc_u32_e32 v2, 28, v1
	v_sub_nc_u32_e32 v1, 29, v1
	v_lshlrev_b64 v[2:3], v2, v[16:17]
	v_and_b32_e32 v16, 7, v2
; %bb.760:                              ;   in Loop: Header=BB253_11 Depth=1
	s_or_b32 exec_lo, exec_lo, s22
	v_lshlrev_b32_e32 v2, 16, v0
	v_lshlrev_b32_e32 v3, 20, v16
	v_lshl_add_u32 v1, v1, 23, 0x3c000000
	v_mov_b32_e32 v54, v17
	v_and_b32_e32 v2, 0x80000000, v2
	v_or3_b32 v55, v3, v2, v1
.LBB253_761:                            ;   in Loop: Header=BB253_11 Depth=1
	s_or_b32 exec_lo, exec_lo, s21
.LBB253_762:                            ;   in Loop: Header=BB253_11 Depth=1
	s_or_b32 exec_lo, exec_lo, s17
.LBB253_763:                            ;   in Loop: Header=BB253_11 Depth=1
	s_or_b32 exec_lo, exec_lo, s13
	v_mov_b32_e32 v1, 0xff
	v_mov_b32_e32 v58, 0
	;; [unrolled: 1-line block ×5, first 2 shown]
	v_and_b32_sdwa v1, v0, v1 dst_sel:DWORD dst_unused:UNUSED_PAD src0_sel:WORD_1 src1_sel:DWORD
	s_mov_b32 s13, exec_lo
	v_cmpx_ne_u16_e32 0, v1
	s_cbranch_execz .LBB253_771
; %bb.764:                              ;   in Loop: Header=BB253_11 Depth=1
	v_bfrev_b32_e32 v78, 1
	v_mov_b32_e32 v79, 0
	s_mov_b32 s17, exec_lo
	v_cmpx_ne_u16_e32 0x80, v1
	s_cbranch_execz .LBB253_770
; %bb.765:                              ;   in Loop: Header=BB253_11 Depth=1
	v_mov_b32_e32 v78, 0x7f800001
	v_bfe_u32 v2, v0, 16, 7
	v_mov_b32_e32 v79, 0
	s_mov_b32 s21, exec_lo
	v_cmpx_ne_u32_e32 0x7f, v2
	s_cbranch_execz .LBB253_769
; %bb.766:                              ;   in Loop: Header=BB253_11 Depth=1
	v_mov_b32_e32 v1, 7
	s_mov_b32 s22, exec_lo
	v_and_b32_sdwa v16, v0, v1 dst_sel:DWORD dst_unused:UNUSED_PAD src0_sel:WORD_1 src1_sel:DWORD
	v_lshrrev_b32_e32 v1, 3, v2
	v_cmpx_gt_u32_e32 8, v2
; %bb.767:                              ;   in Loop: Header=BB253_11 Depth=1
	v_ffbh_u32_e32 v1, v16
	v_min_u32_e32 v1, 32, v1
	v_subrev_nc_u32_e32 v2, 28, v1
	v_sub_nc_u32_e32 v1, 29, v1
	v_lshlrev_b64 v[2:3], v2, v[16:17]
	v_and_b32_e32 v16, 7, v2
; %bb.768:                              ;   in Loop: Header=BB253_11 Depth=1
	s_or_b32 exec_lo, exec_lo, s22
	v_mov_b32_e32 v2, 24
	v_lshlrev_b32_e32 v3, 20, v16
	v_lshl_add_u32 v1, v1, 23, 0x3c000000
	v_lshlrev_b32_sdwa v2, v2, v0 dst_sel:DWORD dst_unused:UNUSED_PAD src0_sel:DWORD src1_sel:WORD_1
	v_and_b32_e32 v2, 0x80000000, v2
	v_or3_b32 v16, v3, v2, v1
	v_mov_b32_e32 v79, v17
	v_mov_b32_e32 v78, v16
.LBB253_769:                            ;   in Loop: Header=BB253_11 Depth=1
	s_or_b32 exec_lo, exec_lo, s21
.LBB253_770:                            ;   in Loop: Header=BB253_11 Depth=1
	s_or_b32 exec_lo, exec_lo, s17
.LBB253_771:                            ;   in Loop: Header=BB253_11 Depth=1
	s_or_b32 exec_lo, exec_lo, s13
	s_mov_b32 s13, exec_lo
	v_cmpx_lt_u32_e32 0xffffff, v0
	s_cbranch_execz .LBB253_779
; %bb.772:                              ;   in Loop: Header=BB253_11 Depth=1
	v_mov_b32_e32 v64, v17
	v_cmp_ne_u32_sdwa s5, v0, v45 src0_sel:BYTE_3 src1_sel:DWORD
	v_mov_b32_e32 v58, v64
	v_mov_b32_e32 v59, v65
	s_and_saveexec_b32 s17, s5
	s_cbranch_execz .LBB253_778
; %bb.773:                              ;   in Loop: Header=BB253_11 Depth=1
	v_mov_b32_e32 v10, v17
	v_mov_b32_e32 v59, v11
	v_bfe_u32 v2, v0, 24, 7
	s_mov_b32 s21, exec_lo
	v_mov_b32_e32 v58, v10
	v_cmpx_ne_u32_e32 0x7f, v2
	s_cbranch_execz .LBB253_777
; %bb.774:                              ;   in Loop: Header=BB253_11 Depth=1
	v_mov_b32_e32 v1, 7
	s_mov_b32 s22, exec_lo
	v_and_b32_sdwa v16, v0, v1 dst_sel:DWORD dst_unused:UNUSED_PAD src0_sel:BYTE_3 src1_sel:DWORD
	v_lshrrev_b32_e32 v1, 3, v2
	v_cmpx_gt_u32_e32 8, v2
; %bb.775:                              ;   in Loop: Header=BB253_11 Depth=1
	v_ffbh_u32_e32 v1, v16
	v_min_u32_e32 v1, 32, v1
	v_subrev_nc_u32_e32 v2, 28, v1
	v_sub_nc_u32_e32 v1, 29, v1
	v_lshlrev_b64 v[2:3], v2, v[16:17]
	v_and_b32_e32 v16, 7, v2
; %bb.776:                              ;   in Loop: Header=BB253_11 Depth=1
	s_or_b32 exec_lo, exec_lo, s22
	v_mov_b32_e32 v2, 24
	v_lshl_add_u32 v1, v1, 23, 0x3c000000
	v_mov_b32_e32 v58, v17
	v_lshlrev_b32_sdwa v0, v2, v0 dst_sel:DWORD dst_unused:UNUSED_PAD src0_sel:DWORD src1_sel:BYTE_3
	v_lshlrev_b32_e32 v2, 20, v16
	v_and_b32_e32 v0, 0x80000000, v0
	v_or3_b32 v59, v2, v0, v1
.LBB253_777:                            ;   in Loop: Header=BB253_11 Depth=1
	s_or_b32 exec_lo, exec_lo, s21
.LBB253_778:                            ;   in Loop: Header=BB253_11 Depth=1
	s_or_b32 exec_lo, exec_lo, s17
.LBB253_779:                            ;   in Loop: Header=BB253_11 Depth=1
	s_or_b32 exec_lo, exec_lo, s13
	flat_load_dword v0, v[50:51] offset:1024
	v_mov_b32_e32 v88, 0
	v_mov_b32_e32 v60, 0
	;; [unrolled: 1-line block ×4, first 2 shown]
	s_waitcnt vmcnt(0) lgkmcnt(0)
	v_cmp_ne_u16_sdwa s5, v0, v17 src0_sel:BYTE_0 src1_sel:DWORD
	s_and_saveexec_b32 s13, s5
	s_cbranch_execz .LBB253_787
; %bb.780:                              ;   in Loop: Header=BB253_11 Depth=1
	v_bfrev_b32_e32 v60, 1
	v_mov_b32_e32 v61, 0
	v_cmp_ne_u16_sdwa s5, v0, v45 src0_sel:BYTE_0 src1_sel:DWORD
	s_and_saveexec_b32 s17, s5
	s_cbranch_execz .LBB253_786
; %bb.781:                              ;   in Loop: Header=BB253_11 Depth=1
	v_mov_b32_e32 v60, 0x7f800001
	v_and_b32_e32 v2, 0x7f, v0
	v_mov_b32_e32 v61, 0
	s_mov_b32 s21, exec_lo
	v_cmpx_ne_u32_e32 0x7f, v2
	s_cbranch_execz .LBB253_785
; %bb.782:                              ;   in Loop: Header=BB253_11 Depth=1
	v_and_b32_e32 v16, 7, v0
	v_lshrrev_b32_e32 v1, 3, v2
	s_mov_b32 s22, exec_lo
	v_cmpx_gt_u32_e32 8, v2
; %bb.783:                              ;   in Loop: Header=BB253_11 Depth=1
	v_ffbh_u32_e32 v1, v16
	v_min_u32_e32 v1, 32, v1
	v_subrev_nc_u32_e32 v2, 28, v1
	v_sub_nc_u32_e32 v1, 29, v1
	v_lshlrev_b64 v[2:3], v2, v[16:17]
	v_and_b32_e32 v16, 7, v2
; %bb.784:                              ;   in Loop: Header=BB253_11 Depth=1
	s_or_b32 exec_lo, exec_lo, s22
	v_lshlrev_b32_e32 v2, 24, v0
	v_lshlrev_b32_e32 v3, 20, v16
	v_lshl_add_u32 v1, v1, 23, 0x3c000000
	v_and_b32_e32 v2, 0x80000000, v2
	v_or3_b32 v16, v3, v2, v1
	v_mov_b32_e32 v61, v17
	v_mov_b32_e32 v60, v16
.LBB253_785:                            ;   in Loop: Header=BB253_11 Depth=1
	s_or_b32 exec_lo, exec_lo, s21
.LBB253_786:                            ;   in Loop: Header=BB253_11 Depth=1
	s_or_b32 exec_lo, exec_lo, s17
.LBB253_787:                            ;   in Loop: Header=BB253_11 Depth=1
	s_or_b32 exec_lo, exec_lo, s13
	v_cmp_ne_u16_sdwa s5, v0, v17 src0_sel:BYTE_1 src1_sel:DWORD
	s_and_saveexec_b32 s13, s5
	s_cbranch_execz .LBB253_795
; %bb.788:                              ;   in Loop: Header=BB253_11 Depth=1
	v_mov_b32_e32 v64, v17
	v_mov_b32_e32 v89, v65
	v_cmp_ne_u16_sdwa s5, v0, v45 src0_sel:BYTE_1 src1_sel:DWORD
	v_mov_b32_e32 v88, v64
	s_and_saveexec_b32 s17, s5
	s_cbranch_execz .LBB253_794
; %bb.789:                              ;   in Loop: Header=BB253_11 Depth=1
	v_mov_b32_e32 v1, 0xffff
	v_mov_b32_e32 v10, v17
	v_mov_b32_e32 v89, v11
	s_mov_b32 s21, exec_lo
	v_and_b32_sdwa v1, v1, v0 dst_sel:DWORD dst_unused:UNUSED_PAD src0_sel:DWORD src1_sel:BYTE_1
	v_mov_b32_e32 v88, v10
	v_and_b32_e32 v2, 0x7f, v1
	v_cmpx_ne_u32_e32 0x7f, v2
	s_cbranch_execz .LBB253_793
; %bb.790:                              ;   in Loop: Header=BB253_11 Depth=1
	v_and_b32_e32 v16, 7, v1
	v_lshrrev_b32_e32 v1, 3, v2
	s_mov_b32 s22, exec_lo
	v_cmpx_gt_u32_e32 8, v2
; %bb.791:                              ;   in Loop: Header=BB253_11 Depth=1
	v_ffbh_u32_e32 v1, v16
	v_min_u32_e32 v1, 32, v1
	v_subrev_nc_u32_e32 v2, 28, v1
	v_sub_nc_u32_e32 v1, 29, v1
	v_lshlrev_b64 v[2:3], v2, v[16:17]
	v_and_b32_e32 v16, 7, v2
; %bb.792:                              ;   in Loop: Header=BB253_11 Depth=1
	s_or_b32 exec_lo, exec_lo, s22
	v_lshlrev_b32_e32 v2, 16, v0
	v_lshlrev_b32_e32 v3, 20, v16
	v_lshl_add_u32 v1, v1, 23, 0x3c000000
	v_mov_b32_e32 v88, v17
	v_and_b32_e32 v2, 0x80000000, v2
	v_or3_b32 v89, v3, v2, v1
.LBB253_793:                            ;   in Loop: Header=BB253_11 Depth=1
	s_or_b32 exec_lo, exec_lo, s21
.LBB253_794:                            ;   in Loop: Header=BB253_11 Depth=1
	s_or_b32 exec_lo, exec_lo, s17
.LBB253_795:                            ;   in Loop: Header=BB253_11 Depth=1
	s_or_b32 exec_lo, exec_lo, s13
	v_mov_b32_e32 v1, 0xff
	v_mov_b32_e32 v74, 0
	;; [unrolled: 1-line block ×5, first 2 shown]
	v_and_b32_sdwa v1, v0, v1 dst_sel:DWORD dst_unused:UNUSED_PAD src0_sel:WORD_1 src1_sel:DWORD
	s_mov_b32 s13, exec_lo
	v_cmpx_ne_u16_e32 0, v1
	s_cbranch_execz .LBB253_803
; %bb.796:                              ;   in Loop: Header=BB253_11 Depth=1
	v_bfrev_b32_e32 v94, 1
	v_mov_b32_e32 v95, 0
	s_mov_b32 s17, exec_lo
	v_cmpx_ne_u16_e32 0x80, v1
	s_cbranch_execz .LBB253_802
; %bb.797:                              ;   in Loop: Header=BB253_11 Depth=1
	v_mov_b32_e32 v94, 0x7f800001
	v_bfe_u32 v2, v0, 16, 7
	v_mov_b32_e32 v95, 0
	s_mov_b32 s21, exec_lo
	v_cmpx_ne_u32_e32 0x7f, v2
	s_cbranch_execz .LBB253_801
; %bb.798:                              ;   in Loop: Header=BB253_11 Depth=1
	v_mov_b32_e32 v1, 7
	s_mov_b32 s22, exec_lo
	v_and_b32_sdwa v16, v0, v1 dst_sel:DWORD dst_unused:UNUSED_PAD src0_sel:WORD_1 src1_sel:DWORD
	v_lshrrev_b32_e32 v1, 3, v2
	v_cmpx_gt_u32_e32 8, v2
; %bb.799:                              ;   in Loop: Header=BB253_11 Depth=1
	v_ffbh_u32_e32 v1, v16
	v_min_u32_e32 v1, 32, v1
	v_subrev_nc_u32_e32 v2, 28, v1
	v_sub_nc_u32_e32 v1, 29, v1
	v_lshlrev_b64 v[2:3], v2, v[16:17]
	v_and_b32_e32 v16, 7, v2
; %bb.800:                              ;   in Loop: Header=BB253_11 Depth=1
	s_or_b32 exec_lo, exec_lo, s22
	v_mov_b32_e32 v2, 24
	v_lshlrev_b32_e32 v3, 20, v16
	v_lshl_add_u32 v1, v1, 23, 0x3c000000
	v_lshlrev_b32_sdwa v2, v2, v0 dst_sel:DWORD dst_unused:UNUSED_PAD src0_sel:DWORD src1_sel:WORD_1
	v_and_b32_e32 v2, 0x80000000, v2
	v_or3_b32 v16, v3, v2, v1
	v_mov_b32_e32 v95, v17
	v_mov_b32_e32 v94, v16
.LBB253_801:                            ;   in Loop: Header=BB253_11 Depth=1
	s_or_b32 exec_lo, exec_lo, s21
.LBB253_802:                            ;   in Loop: Header=BB253_11 Depth=1
	s_or_b32 exec_lo, exec_lo, s17
.LBB253_803:                            ;   in Loop: Header=BB253_11 Depth=1
	s_or_b32 exec_lo, exec_lo, s13
	s_mov_b32 s13, exec_lo
	v_cmpx_lt_u32_e32 0xffffff, v0
	s_cbranch_execz .LBB253_811
; %bb.804:                              ;   in Loop: Header=BB253_11 Depth=1
	v_mov_b32_e32 v64, v17
	v_mov_b32_e32 v75, v65
	v_cmp_ne_u32_sdwa s5, v0, v45 src0_sel:BYTE_3 src1_sel:DWORD
	v_mov_b32_e32 v74, v64
	s_and_saveexec_b32 s17, s5
	s_cbranch_execz .LBB253_810
; %bb.805:                              ;   in Loop: Header=BB253_11 Depth=1
	v_mov_b32_e32 v10, v17
	v_mov_b32_e32 v75, v11
	v_bfe_u32 v2, v0, 24, 7
	s_mov_b32 s21, exec_lo
	v_mov_b32_e32 v74, v10
	v_cmpx_ne_u32_e32 0x7f, v2
	s_cbranch_execz .LBB253_809
; %bb.806:                              ;   in Loop: Header=BB253_11 Depth=1
	v_mov_b32_e32 v1, 7
	s_mov_b32 s22, exec_lo
	v_and_b32_sdwa v16, v0, v1 dst_sel:DWORD dst_unused:UNUSED_PAD src0_sel:BYTE_3 src1_sel:DWORD
	v_lshrrev_b32_e32 v1, 3, v2
	v_cmpx_gt_u32_e32 8, v2
; %bb.807:                              ;   in Loop: Header=BB253_11 Depth=1
	v_ffbh_u32_e32 v1, v16
	v_min_u32_e32 v1, 32, v1
	v_subrev_nc_u32_e32 v2, 28, v1
	v_sub_nc_u32_e32 v1, 29, v1
	v_lshlrev_b64 v[2:3], v2, v[16:17]
	v_and_b32_e32 v16, 7, v2
; %bb.808:                              ;   in Loop: Header=BB253_11 Depth=1
	s_or_b32 exec_lo, exec_lo, s22
	v_mov_b32_e32 v2, 24
	v_lshl_add_u32 v1, v1, 23, 0x3c000000
	v_mov_b32_e32 v74, v17
	v_lshlrev_b32_sdwa v0, v2, v0 dst_sel:DWORD dst_unused:UNUSED_PAD src0_sel:DWORD src1_sel:BYTE_3
	v_lshlrev_b32_e32 v2, 20, v16
	v_and_b32_e32 v0, 0x80000000, v0
	v_or3_b32 v75, v2, v0, v1
.LBB253_809:                            ;   in Loop: Header=BB253_11 Depth=1
	s_or_b32 exec_lo, exec_lo, s21
.LBB253_810:                            ;   in Loop: Header=BB253_11 Depth=1
	s_or_b32 exec_lo, exec_lo, s17
.LBB253_811:                            ;   in Loop: Header=BB253_11 Depth=1
	s_or_b32 exec_lo, exec_lo, s13
	flat_load_dword v0, v[50:51] offset:1028
	v_mov_b32_e32 v104, 0
	v_mov_b32_e32 v76, 0
	;; [unrolled: 1-line block ×4, first 2 shown]
	s_waitcnt vmcnt(0) lgkmcnt(0)
	v_cmp_ne_u16_sdwa s5, v0, v17 src0_sel:BYTE_0 src1_sel:DWORD
	s_and_saveexec_b32 s13, s5
	s_cbranch_execz .LBB253_819
; %bb.812:                              ;   in Loop: Header=BB253_11 Depth=1
	v_bfrev_b32_e32 v76, 1
	v_mov_b32_e32 v77, 0
	v_cmp_ne_u16_sdwa s5, v0, v45 src0_sel:BYTE_0 src1_sel:DWORD
	s_and_saveexec_b32 s17, s5
	s_cbranch_execz .LBB253_818
; %bb.813:                              ;   in Loop: Header=BB253_11 Depth=1
	v_mov_b32_e32 v76, 0x7f800001
	v_and_b32_e32 v2, 0x7f, v0
	v_mov_b32_e32 v77, 0
	s_mov_b32 s21, exec_lo
	v_cmpx_ne_u32_e32 0x7f, v2
	s_cbranch_execz .LBB253_817
; %bb.814:                              ;   in Loop: Header=BB253_11 Depth=1
	v_and_b32_e32 v16, 7, v0
	v_lshrrev_b32_e32 v1, 3, v2
	s_mov_b32 s22, exec_lo
	v_cmpx_gt_u32_e32 8, v2
; %bb.815:                              ;   in Loop: Header=BB253_11 Depth=1
	v_ffbh_u32_e32 v1, v16
	v_min_u32_e32 v1, 32, v1
	v_subrev_nc_u32_e32 v2, 28, v1
	v_sub_nc_u32_e32 v1, 29, v1
	v_lshlrev_b64 v[2:3], v2, v[16:17]
	v_and_b32_e32 v16, 7, v2
; %bb.816:                              ;   in Loop: Header=BB253_11 Depth=1
	s_or_b32 exec_lo, exec_lo, s22
	v_lshlrev_b32_e32 v2, 24, v0
	v_lshlrev_b32_e32 v3, 20, v16
	v_lshl_add_u32 v1, v1, 23, 0x3c000000
	v_and_b32_e32 v2, 0x80000000, v2
	v_or3_b32 v16, v3, v2, v1
	v_mov_b32_e32 v77, v17
	v_mov_b32_e32 v76, v16
.LBB253_817:                            ;   in Loop: Header=BB253_11 Depth=1
	s_or_b32 exec_lo, exec_lo, s21
.LBB253_818:                            ;   in Loop: Header=BB253_11 Depth=1
	s_or_b32 exec_lo, exec_lo, s17
.LBB253_819:                            ;   in Loop: Header=BB253_11 Depth=1
	s_or_b32 exec_lo, exec_lo, s13
	v_cmp_ne_u16_sdwa s5, v0, v17 src0_sel:BYTE_1 src1_sel:DWORD
	s_and_saveexec_b32 s13, s5
	s_cbranch_execz .LBB253_827
; %bb.820:                              ;   in Loop: Header=BB253_11 Depth=1
	v_mov_b32_e32 v64, v17
	v_mov_b32_e32 v105, v65
	v_cmp_ne_u16_sdwa s5, v0, v45 src0_sel:BYTE_1 src1_sel:DWORD
	v_mov_b32_e32 v104, v64
	s_and_saveexec_b32 s17, s5
	s_cbranch_execz .LBB253_826
; %bb.821:                              ;   in Loop: Header=BB253_11 Depth=1
	v_mov_b32_e32 v1, 0xffff
	v_mov_b32_e32 v10, v17
	;; [unrolled: 1-line block ×3, first 2 shown]
	s_mov_b32 s21, exec_lo
	v_and_b32_sdwa v1, v1, v0 dst_sel:DWORD dst_unused:UNUSED_PAD src0_sel:DWORD src1_sel:BYTE_1
	v_mov_b32_e32 v104, v10
	v_and_b32_e32 v2, 0x7f, v1
	v_cmpx_ne_u32_e32 0x7f, v2
	s_cbranch_execz .LBB253_825
; %bb.822:                              ;   in Loop: Header=BB253_11 Depth=1
	v_and_b32_e32 v16, 7, v1
	v_lshrrev_b32_e32 v1, 3, v2
	s_mov_b32 s22, exec_lo
	v_cmpx_gt_u32_e32 8, v2
; %bb.823:                              ;   in Loop: Header=BB253_11 Depth=1
	v_ffbh_u32_e32 v1, v16
	v_min_u32_e32 v1, 32, v1
	v_subrev_nc_u32_e32 v2, 28, v1
	v_sub_nc_u32_e32 v1, 29, v1
	v_lshlrev_b64 v[2:3], v2, v[16:17]
	v_and_b32_e32 v16, 7, v2
; %bb.824:                              ;   in Loop: Header=BB253_11 Depth=1
	s_or_b32 exec_lo, exec_lo, s22
	v_lshlrev_b32_e32 v2, 16, v0
	v_lshlrev_b32_e32 v3, 20, v16
	v_lshl_add_u32 v1, v1, 23, 0x3c000000
	v_mov_b32_e32 v104, v17
	v_and_b32_e32 v2, 0x80000000, v2
	v_or3_b32 v105, v3, v2, v1
.LBB253_825:                            ;   in Loop: Header=BB253_11 Depth=1
	s_or_b32 exec_lo, exec_lo, s21
.LBB253_826:                            ;   in Loop: Header=BB253_11 Depth=1
	s_or_b32 exec_lo, exec_lo, s17
.LBB253_827:                            ;   in Loop: Header=BB253_11 Depth=1
	s_or_b32 exec_lo, exec_lo, s13
	v_mov_b32_e32 v1, 0xff
	v_mov_b32_e32 v90, 0
	;; [unrolled: 1-line block ×5, first 2 shown]
	v_and_b32_sdwa v1, v0, v1 dst_sel:DWORD dst_unused:UNUSED_PAD src0_sel:WORD_1 src1_sel:DWORD
	s_mov_b32 s13, exec_lo
	v_cmpx_ne_u16_e32 0, v1
	s_cbranch_execz .LBB253_835
; %bb.828:                              ;   in Loop: Header=BB253_11 Depth=1
	v_bfrev_b32_e32 v110, 1
	v_mov_b32_e32 v111, 0
	s_mov_b32 s17, exec_lo
	v_cmpx_ne_u16_e32 0x80, v1
	s_cbranch_execz .LBB253_834
; %bb.829:                              ;   in Loop: Header=BB253_11 Depth=1
	v_mov_b32_e32 v110, 0x7f800001
	v_bfe_u32 v2, v0, 16, 7
	v_mov_b32_e32 v111, 0
	s_mov_b32 s21, exec_lo
	v_cmpx_ne_u32_e32 0x7f, v2
	s_cbranch_execz .LBB253_833
; %bb.830:                              ;   in Loop: Header=BB253_11 Depth=1
	v_mov_b32_e32 v1, 7
	s_mov_b32 s22, exec_lo
	v_and_b32_sdwa v16, v0, v1 dst_sel:DWORD dst_unused:UNUSED_PAD src0_sel:WORD_1 src1_sel:DWORD
	v_lshrrev_b32_e32 v1, 3, v2
	v_cmpx_gt_u32_e32 8, v2
; %bb.831:                              ;   in Loop: Header=BB253_11 Depth=1
	v_ffbh_u32_e32 v1, v16
	v_min_u32_e32 v1, 32, v1
	v_subrev_nc_u32_e32 v2, 28, v1
	v_sub_nc_u32_e32 v1, 29, v1
	v_lshlrev_b64 v[2:3], v2, v[16:17]
	v_and_b32_e32 v16, 7, v2
; %bb.832:                              ;   in Loop: Header=BB253_11 Depth=1
	s_or_b32 exec_lo, exec_lo, s22
	v_mov_b32_e32 v2, 24
	v_lshlrev_b32_e32 v3, 20, v16
	v_lshl_add_u32 v1, v1, 23, 0x3c000000
	v_lshlrev_b32_sdwa v2, v2, v0 dst_sel:DWORD dst_unused:UNUSED_PAD src0_sel:DWORD src1_sel:WORD_1
	v_and_b32_e32 v2, 0x80000000, v2
	v_or3_b32 v16, v3, v2, v1
	v_mov_b32_e32 v111, v17
	v_mov_b32_e32 v110, v16
.LBB253_833:                            ;   in Loop: Header=BB253_11 Depth=1
	s_or_b32 exec_lo, exec_lo, s21
.LBB253_834:                            ;   in Loop: Header=BB253_11 Depth=1
	s_or_b32 exec_lo, exec_lo, s17
.LBB253_835:                            ;   in Loop: Header=BB253_11 Depth=1
	s_or_b32 exec_lo, exec_lo, s13
	s_mov_b32 s13, exec_lo
	v_cmpx_lt_u32_e32 0xffffff, v0
	s_cbranch_execz .LBB253_843
; %bb.836:                              ;   in Loop: Header=BB253_11 Depth=1
	v_mov_b32_e32 v64, v17
	v_mov_b32_e32 v91, v65
	v_cmp_ne_u32_sdwa s5, v0, v45 src0_sel:BYTE_3 src1_sel:DWORD
	v_mov_b32_e32 v90, v64
	s_and_saveexec_b32 s17, s5
	s_cbranch_execz .LBB253_842
; %bb.837:                              ;   in Loop: Header=BB253_11 Depth=1
	v_mov_b32_e32 v10, v17
	v_mov_b32_e32 v91, v11
	v_bfe_u32 v2, v0, 24, 7
	s_mov_b32 s21, exec_lo
	v_mov_b32_e32 v90, v10
	v_cmpx_ne_u32_e32 0x7f, v2
	s_cbranch_execz .LBB253_841
; %bb.838:                              ;   in Loop: Header=BB253_11 Depth=1
	v_mov_b32_e32 v1, 7
	s_mov_b32 s22, exec_lo
	v_and_b32_sdwa v16, v0, v1 dst_sel:DWORD dst_unused:UNUSED_PAD src0_sel:BYTE_3 src1_sel:DWORD
	v_lshrrev_b32_e32 v1, 3, v2
	v_cmpx_gt_u32_e32 8, v2
; %bb.839:                              ;   in Loop: Header=BB253_11 Depth=1
	v_ffbh_u32_e32 v1, v16
	v_min_u32_e32 v1, 32, v1
	v_subrev_nc_u32_e32 v2, 28, v1
	v_sub_nc_u32_e32 v1, 29, v1
	v_lshlrev_b64 v[2:3], v2, v[16:17]
	v_and_b32_e32 v16, 7, v2
; %bb.840:                              ;   in Loop: Header=BB253_11 Depth=1
	s_or_b32 exec_lo, exec_lo, s22
	v_mov_b32_e32 v2, 24
	v_lshl_add_u32 v1, v1, 23, 0x3c000000
	v_mov_b32_e32 v90, v17
	v_lshlrev_b32_sdwa v0, v2, v0 dst_sel:DWORD dst_unused:UNUSED_PAD src0_sel:DWORD src1_sel:BYTE_3
	v_lshlrev_b32_e32 v2, 20, v16
	v_and_b32_e32 v0, 0x80000000, v0
	v_or3_b32 v91, v2, v0, v1
.LBB253_841:                            ;   in Loop: Header=BB253_11 Depth=1
	s_or_b32 exec_lo, exec_lo, s21
.LBB253_842:                            ;   in Loop: Header=BB253_11 Depth=1
	s_or_b32 exec_lo, exec_lo, s17
.LBB253_843:                            ;   in Loop: Header=BB253_11 Depth=1
	s_or_b32 exec_lo, exec_lo, s13
	flat_load_dword v0, v[50:51] offset:1032
	v_mov_b32_e32 v120, 0
	v_mov_b32_e32 v92, 0
	;; [unrolled: 1-line block ×4, first 2 shown]
	s_waitcnt vmcnt(0) lgkmcnt(0)
	v_cmp_ne_u16_sdwa s5, v0, v17 src0_sel:BYTE_0 src1_sel:DWORD
	s_and_saveexec_b32 s13, s5
	s_cbranch_execz .LBB253_851
; %bb.844:                              ;   in Loop: Header=BB253_11 Depth=1
	v_bfrev_b32_e32 v92, 1
	v_mov_b32_e32 v93, 0
	v_cmp_ne_u16_sdwa s5, v0, v45 src0_sel:BYTE_0 src1_sel:DWORD
	s_and_saveexec_b32 s17, s5
	s_cbranch_execz .LBB253_850
; %bb.845:                              ;   in Loop: Header=BB253_11 Depth=1
	v_mov_b32_e32 v92, 0x7f800001
	v_and_b32_e32 v2, 0x7f, v0
	v_mov_b32_e32 v93, 0
	s_mov_b32 s21, exec_lo
	v_cmpx_ne_u32_e32 0x7f, v2
	s_cbranch_execz .LBB253_849
; %bb.846:                              ;   in Loop: Header=BB253_11 Depth=1
	v_and_b32_e32 v16, 7, v0
	v_lshrrev_b32_e32 v1, 3, v2
	s_mov_b32 s22, exec_lo
	v_cmpx_gt_u32_e32 8, v2
; %bb.847:                              ;   in Loop: Header=BB253_11 Depth=1
	v_ffbh_u32_e32 v1, v16
	v_min_u32_e32 v1, 32, v1
	v_subrev_nc_u32_e32 v2, 28, v1
	v_sub_nc_u32_e32 v1, 29, v1
	v_lshlrev_b64 v[2:3], v2, v[16:17]
	v_and_b32_e32 v16, 7, v2
; %bb.848:                              ;   in Loop: Header=BB253_11 Depth=1
	s_or_b32 exec_lo, exec_lo, s22
	v_lshlrev_b32_e32 v2, 24, v0
	v_lshlrev_b32_e32 v3, 20, v16
	v_lshl_add_u32 v1, v1, 23, 0x3c000000
	v_and_b32_e32 v2, 0x80000000, v2
	v_or3_b32 v16, v3, v2, v1
	v_mov_b32_e32 v93, v17
	v_mov_b32_e32 v92, v16
.LBB253_849:                            ;   in Loop: Header=BB253_11 Depth=1
	s_or_b32 exec_lo, exec_lo, s21
.LBB253_850:                            ;   in Loop: Header=BB253_11 Depth=1
	s_or_b32 exec_lo, exec_lo, s17
.LBB253_851:                            ;   in Loop: Header=BB253_11 Depth=1
	s_or_b32 exec_lo, exec_lo, s13
	v_cmp_ne_u16_sdwa s5, v0, v17 src0_sel:BYTE_1 src1_sel:DWORD
	s_and_saveexec_b32 s13, s5
	s_cbranch_execz .LBB253_859
; %bb.852:                              ;   in Loop: Header=BB253_11 Depth=1
	v_mov_b32_e32 v64, v17
	v_mov_b32_e32 v121, v65
	v_cmp_ne_u16_sdwa s5, v0, v45 src0_sel:BYTE_1 src1_sel:DWORD
	v_mov_b32_e32 v120, v64
	s_and_saveexec_b32 s17, s5
	s_cbranch_execz .LBB253_858
; %bb.853:                              ;   in Loop: Header=BB253_11 Depth=1
	v_mov_b32_e32 v1, 0xffff
	v_mov_b32_e32 v10, v17
	;; [unrolled: 1-line block ×3, first 2 shown]
	s_mov_b32 s21, exec_lo
	v_and_b32_sdwa v1, v1, v0 dst_sel:DWORD dst_unused:UNUSED_PAD src0_sel:DWORD src1_sel:BYTE_1
	v_mov_b32_e32 v120, v10
	v_and_b32_e32 v2, 0x7f, v1
	v_cmpx_ne_u32_e32 0x7f, v2
	s_cbranch_execz .LBB253_857
; %bb.854:                              ;   in Loop: Header=BB253_11 Depth=1
	v_and_b32_e32 v16, 7, v1
	v_lshrrev_b32_e32 v1, 3, v2
	s_mov_b32 s22, exec_lo
	v_cmpx_gt_u32_e32 8, v2
; %bb.855:                              ;   in Loop: Header=BB253_11 Depth=1
	v_ffbh_u32_e32 v1, v16
	v_min_u32_e32 v1, 32, v1
	v_subrev_nc_u32_e32 v2, 28, v1
	v_sub_nc_u32_e32 v1, 29, v1
	v_lshlrev_b64 v[2:3], v2, v[16:17]
	v_and_b32_e32 v16, 7, v2
; %bb.856:                              ;   in Loop: Header=BB253_11 Depth=1
	s_or_b32 exec_lo, exec_lo, s22
	v_lshlrev_b32_e32 v2, 16, v0
	v_lshlrev_b32_e32 v3, 20, v16
	v_lshl_add_u32 v1, v1, 23, 0x3c000000
	v_mov_b32_e32 v120, v17
	v_and_b32_e32 v2, 0x80000000, v2
	v_or3_b32 v121, v3, v2, v1
.LBB253_857:                            ;   in Loop: Header=BB253_11 Depth=1
	s_or_b32 exec_lo, exec_lo, s21
.LBB253_858:                            ;   in Loop: Header=BB253_11 Depth=1
	s_or_b32 exec_lo, exec_lo, s17
.LBB253_859:                            ;   in Loop: Header=BB253_11 Depth=1
	s_or_b32 exec_lo, exec_lo, s13
	v_mov_b32_e32 v1, 0xff
	v_mov_b32_e32 v106, 0
	;; [unrolled: 1-line block ×5, first 2 shown]
	v_and_b32_sdwa v1, v0, v1 dst_sel:DWORD dst_unused:UNUSED_PAD src0_sel:WORD_1 src1_sel:DWORD
	s_mov_b32 s13, exec_lo
	v_cmpx_ne_u16_e32 0, v1
	s_cbranch_execz .LBB253_867
; %bb.860:                              ;   in Loop: Header=BB253_11 Depth=1
	v_bfrev_b32_e32 v126, 1
	v_mov_b32_e32 v127, 0
	s_mov_b32 s17, exec_lo
	v_cmpx_ne_u16_e32 0x80, v1
	s_cbranch_execz .LBB253_866
; %bb.861:                              ;   in Loop: Header=BB253_11 Depth=1
	v_mov_b32_e32 v126, 0x7f800001
	v_bfe_u32 v2, v0, 16, 7
	v_mov_b32_e32 v127, 0
	s_mov_b32 s21, exec_lo
	v_cmpx_ne_u32_e32 0x7f, v2
	s_cbranch_execz .LBB253_865
; %bb.862:                              ;   in Loop: Header=BB253_11 Depth=1
	v_mov_b32_e32 v1, 7
	s_mov_b32 s22, exec_lo
	v_and_b32_sdwa v16, v0, v1 dst_sel:DWORD dst_unused:UNUSED_PAD src0_sel:WORD_1 src1_sel:DWORD
	v_lshrrev_b32_e32 v1, 3, v2
	v_cmpx_gt_u32_e32 8, v2
; %bb.863:                              ;   in Loop: Header=BB253_11 Depth=1
	v_ffbh_u32_e32 v1, v16
	v_min_u32_e32 v1, 32, v1
	v_subrev_nc_u32_e32 v2, 28, v1
	v_sub_nc_u32_e32 v1, 29, v1
	v_lshlrev_b64 v[2:3], v2, v[16:17]
	v_and_b32_e32 v16, 7, v2
; %bb.864:                              ;   in Loop: Header=BB253_11 Depth=1
	s_or_b32 exec_lo, exec_lo, s22
	v_mov_b32_e32 v2, 24
	v_lshlrev_b32_e32 v3, 20, v16
	v_lshl_add_u32 v1, v1, 23, 0x3c000000
	v_lshlrev_b32_sdwa v2, v2, v0 dst_sel:DWORD dst_unused:UNUSED_PAD src0_sel:DWORD src1_sel:WORD_1
	v_and_b32_e32 v2, 0x80000000, v2
	v_or3_b32 v16, v3, v2, v1
	v_mov_b32_e32 v127, v17
	v_mov_b32_e32 v126, v16
.LBB253_865:                            ;   in Loop: Header=BB253_11 Depth=1
	s_or_b32 exec_lo, exec_lo, s21
.LBB253_866:                            ;   in Loop: Header=BB253_11 Depth=1
	s_or_b32 exec_lo, exec_lo, s17
.LBB253_867:                            ;   in Loop: Header=BB253_11 Depth=1
	s_or_b32 exec_lo, exec_lo, s13
	s_mov_b32 s13, exec_lo
	v_cmpx_lt_u32_e32 0xffffff, v0
	s_cbranch_execz .LBB253_875
; %bb.868:                              ;   in Loop: Header=BB253_11 Depth=1
	v_mov_b32_e32 v64, v17
	v_mov_b32_e32 v107, v65
	v_cmp_ne_u32_sdwa s5, v0, v45 src0_sel:BYTE_3 src1_sel:DWORD
	v_mov_b32_e32 v106, v64
	s_and_saveexec_b32 s17, s5
	s_cbranch_execz .LBB253_874
; %bb.869:                              ;   in Loop: Header=BB253_11 Depth=1
	v_mov_b32_e32 v10, v17
	v_mov_b32_e32 v107, v11
	v_bfe_u32 v2, v0, 24, 7
	s_mov_b32 s21, exec_lo
	v_mov_b32_e32 v106, v10
	v_cmpx_ne_u32_e32 0x7f, v2
	s_cbranch_execz .LBB253_873
; %bb.870:                              ;   in Loop: Header=BB253_11 Depth=1
	v_mov_b32_e32 v1, 7
	s_mov_b32 s22, exec_lo
	v_and_b32_sdwa v16, v0, v1 dst_sel:DWORD dst_unused:UNUSED_PAD src0_sel:BYTE_3 src1_sel:DWORD
	v_lshrrev_b32_e32 v1, 3, v2
	v_cmpx_gt_u32_e32 8, v2
; %bb.871:                              ;   in Loop: Header=BB253_11 Depth=1
	v_ffbh_u32_e32 v1, v16
	v_min_u32_e32 v1, 32, v1
	v_subrev_nc_u32_e32 v2, 28, v1
	v_sub_nc_u32_e32 v1, 29, v1
	v_lshlrev_b64 v[2:3], v2, v[16:17]
	v_and_b32_e32 v16, 7, v2
; %bb.872:                              ;   in Loop: Header=BB253_11 Depth=1
	s_or_b32 exec_lo, exec_lo, s22
	v_mov_b32_e32 v2, 24
	v_lshl_add_u32 v1, v1, 23, 0x3c000000
	v_mov_b32_e32 v106, v17
	v_lshlrev_b32_sdwa v0, v2, v0 dst_sel:DWORD dst_unused:UNUSED_PAD src0_sel:DWORD src1_sel:BYTE_3
	v_lshlrev_b32_e32 v2, 20, v16
	v_and_b32_e32 v0, 0x80000000, v0
	v_or3_b32 v107, v2, v0, v1
.LBB253_873:                            ;   in Loop: Header=BB253_11 Depth=1
	s_or_b32 exec_lo, exec_lo, s21
.LBB253_874:                            ;   in Loop: Header=BB253_11 Depth=1
	s_or_b32 exec_lo, exec_lo, s17
.LBB253_875:                            ;   in Loop: Header=BB253_11 Depth=1
	s_or_b32 exec_lo, exec_lo, s13
	flat_load_dword v0, v[50:51] offset:1036
	v_mov_b32_e32 v122, 0
	v_mov_b32_e32 v108, 0
	;; [unrolled: 1-line block ×4, first 2 shown]
	s_waitcnt vmcnt(0) lgkmcnt(0)
	v_cmp_ne_u16_sdwa s5, v0, v17 src0_sel:BYTE_0 src1_sel:DWORD
	s_and_saveexec_b32 s13, s5
	s_cbranch_execz .LBB253_883
; %bb.876:                              ;   in Loop: Header=BB253_11 Depth=1
	v_bfrev_b32_e32 v108, 1
	v_mov_b32_e32 v109, 0
	v_cmp_ne_u16_sdwa s5, v0, v45 src0_sel:BYTE_0 src1_sel:DWORD
	s_and_saveexec_b32 s17, s5
	s_cbranch_execz .LBB253_882
; %bb.877:                              ;   in Loop: Header=BB253_11 Depth=1
	v_mov_b32_e32 v108, 0x7f800001
	v_and_b32_e32 v2, 0x7f, v0
	v_mov_b32_e32 v109, 0
	s_mov_b32 s21, exec_lo
	v_cmpx_ne_u32_e32 0x7f, v2
	s_cbranch_execz .LBB253_881
; %bb.878:                              ;   in Loop: Header=BB253_11 Depth=1
	v_and_b32_e32 v16, 7, v0
	v_lshrrev_b32_e32 v1, 3, v2
	s_mov_b32 s22, exec_lo
	v_cmpx_gt_u32_e32 8, v2
; %bb.879:                              ;   in Loop: Header=BB253_11 Depth=1
	v_ffbh_u32_e32 v1, v16
	v_min_u32_e32 v1, 32, v1
	v_subrev_nc_u32_e32 v2, 28, v1
	v_sub_nc_u32_e32 v1, 29, v1
	v_lshlrev_b64 v[2:3], v2, v[16:17]
	v_and_b32_e32 v16, 7, v2
; %bb.880:                              ;   in Loop: Header=BB253_11 Depth=1
	s_or_b32 exec_lo, exec_lo, s22
	v_lshlrev_b32_e32 v2, 24, v0
	v_lshlrev_b32_e32 v3, 20, v16
	v_lshl_add_u32 v1, v1, 23, 0x3c000000
	v_and_b32_e32 v2, 0x80000000, v2
	v_or3_b32 v16, v3, v2, v1
	v_mov_b32_e32 v109, v17
	v_mov_b32_e32 v108, v16
.LBB253_881:                            ;   in Loop: Header=BB253_11 Depth=1
	s_or_b32 exec_lo, exec_lo, s21
.LBB253_882:                            ;   in Loop: Header=BB253_11 Depth=1
	s_or_b32 exec_lo, exec_lo, s17
.LBB253_883:                            ;   in Loop: Header=BB253_11 Depth=1
	s_or_b32 exec_lo, exec_lo, s13
	v_cmp_ne_u16_sdwa s5, v0, v17 src0_sel:BYTE_1 src1_sel:DWORD
	s_and_saveexec_b32 s13, s5
	s_cbranch_execz .LBB253_891
; %bb.884:                              ;   in Loop: Header=BB253_11 Depth=1
	v_mov_b32_e32 v64, v17
	v_mov_b32_e32 v123, v65
	v_cmp_ne_u16_sdwa s5, v0, v45 src0_sel:BYTE_1 src1_sel:DWORD
	v_mov_b32_e32 v122, v64
	s_and_saveexec_b32 s17, s5
	s_cbranch_execz .LBB253_890
; %bb.885:                              ;   in Loop: Header=BB253_11 Depth=1
	v_mov_b32_e32 v1, 0xffff
	v_mov_b32_e32 v10, v17
	;; [unrolled: 1-line block ×3, first 2 shown]
	s_mov_b32 s21, exec_lo
	v_and_b32_sdwa v1, v1, v0 dst_sel:DWORD dst_unused:UNUSED_PAD src0_sel:DWORD src1_sel:BYTE_1
	v_mov_b32_e32 v122, v10
	v_and_b32_e32 v2, 0x7f, v1
	v_cmpx_ne_u32_e32 0x7f, v2
	s_cbranch_execz .LBB253_889
; %bb.886:                              ;   in Loop: Header=BB253_11 Depth=1
	v_and_b32_e32 v16, 7, v1
	v_lshrrev_b32_e32 v1, 3, v2
	s_mov_b32 s22, exec_lo
	v_cmpx_gt_u32_e32 8, v2
; %bb.887:                              ;   in Loop: Header=BB253_11 Depth=1
	v_ffbh_u32_e32 v1, v16
	v_min_u32_e32 v1, 32, v1
	v_subrev_nc_u32_e32 v2, 28, v1
	v_sub_nc_u32_e32 v1, 29, v1
	v_lshlrev_b64 v[2:3], v2, v[16:17]
	v_and_b32_e32 v16, 7, v2
; %bb.888:                              ;   in Loop: Header=BB253_11 Depth=1
	s_or_b32 exec_lo, exec_lo, s22
	v_lshlrev_b32_e32 v2, 16, v0
	v_lshlrev_b32_e32 v3, 20, v16
	v_lshl_add_u32 v1, v1, 23, 0x3c000000
	v_mov_b32_e32 v122, v17
	v_and_b32_e32 v2, 0x80000000, v2
	v_or3_b32 v123, v3, v2, v1
.LBB253_889:                            ;   in Loop: Header=BB253_11 Depth=1
	s_or_b32 exec_lo, exec_lo, s21
.LBB253_890:                            ;   in Loop: Header=BB253_11 Depth=1
	s_or_b32 exec_lo, exec_lo, s17
.LBB253_891:                            ;   in Loop: Header=BB253_11 Depth=1
	s_or_b32 exec_lo, exec_lo, s13
	v_mov_b32_e32 v1, 0xff
	v_mov_b32_e32 v124, 0
	;; [unrolled: 1-line block ×5, first 2 shown]
	v_and_b32_sdwa v1, v0, v1 dst_sel:DWORD dst_unused:UNUSED_PAD src0_sel:WORD_1 src1_sel:DWORD
	s_mov_b32 s13, exec_lo
	v_cmpx_ne_u16_e32 0, v1
	s_cbranch_execz .LBB253_899
; %bb.892:                              ;   in Loop: Header=BB253_11 Depth=1
	v_bfrev_b32_e32 v8, 1
	v_mov_b32_e32 v9, 0
	s_mov_b32 s17, exec_lo
	v_cmpx_ne_u16_e32 0x80, v1
	s_cbranch_execz .LBB253_898
; %bb.893:                              ;   in Loop: Header=BB253_11 Depth=1
	v_mov_b32_e32 v8, 0x7f800001
	v_bfe_u32 v2, v0, 16, 7
	v_mov_b32_e32 v9, 0
	s_mov_b32 s21, exec_lo
	v_cmpx_ne_u32_e32 0x7f, v2
	s_cbranch_execz .LBB253_897
; %bb.894:                              ;   in Loop: Header=BB253_11 Depth=1
	v_mov_b32_e32 v1, 7
	s_mov_b32 s22, exec_lo
	v_and_b32_sdwa v16, v0, v1 dst_sel:DWORD dst_unused:UNUSED_PAD src0_sel:WORD_1 src1_sel:DWORD
	v_lshrrev_b32_e32 v1, 3, v2
	v_cmpx_gt_u32_e32 8, v2
; %bb.895:                              ;   in Loop: Header=BB253_11 Depth=1
	v_ffbh_u32_e32 v1, v16
	v_min_u32_e32 v1, 32, v1
	v_subrev_nc_u32_e32 v2, 28, v1
	v_sub_nc_u32_e32 v1, 29, v1
	v_lshlrev_b64 v[2:3], v2, v[16:17]
	v_and_b32_e32 v16, 7, v2
; %bb.896:                              ;   in Loop: Header=BB253_11 Depth=1
	s_or_b32 exec_lo, exec_lo, s22
	v_mov_b32_e32 v2, 24
	v_lshlrev_b32_e32 v3, 20, v16
	v_lshl_add_u32 v1, v1, 23, 0x3c000000
	v_lshlrev_b32_sdwa v2, v2, v0 dst_sel:DWORD dst_unused:UNUSED_PAD src0_sel:DWORD src1_sel:WORD_1
	v_and_b32_e32 v2, 0x80000000, v2
	v_or3_b32 v16, v3, v2, v1
	v_mov_b32_e32 v8, v16
	v_mov_b32_e32 v9, v17
.LBB253_897:                            ;   in Loop: Header=BB253_11 Depth=1
	s_or_b32 exec_lo, exec_lo, s21
.LBB253_898:                            ;   in Loop: Header=BB253_11 Depth=1
	s_or_b32 exec_lo, exec_lo, s17
.LBB253_899:                            ;   in Loop: Header=BB253_11 Depth=1
	s_or_b32 exec_lo, exec_lo, s13
	s_mov_b32 s13, exec_lo
	v_cmpx_lt_u32_e32 0xffffff, v0
	s_cbranch_execz .LBB253_907
; %bb.900:                              ;   in Loop: Header=BB253_11 Depth=1
	v_mov_b32_e32 v64, v17
	v_mov_b32_e32 v125, v65
	v_cmp_ne_u32_sdwa s5, v0, v45 src0_sel:BYTE_3 src1_sel:DWORD
	v_mov_b32_e32 v124, v64
	s_and_saveexec_b32 s17, s5
	s_cbranch_execz .LBB253_906
; %bb.901:                              ;   in Loop: Header=BB253_11 Depth=1
	v_mov_b32_e32 v10, v17
	v_mov_b32_e32 v125, v11
	v_bfe_u32 v2, v0, 24, 7
	s_mov_b32 s21, exec_lo
	v_mov_b32_e32 v124, v10
	v_cmpx_ne_u32_e32 0x7f, v2
	s_cbranch_execz .LBB253_905
; %bb.902:                              ;   in Loop: Header=BB253_11 Depth=1
	v_mov_b32_e32 v1, 7
	s_mov_b32 s22, exec_lo
	v_and_b32_sdwa v16, v0, v1 dst_sel:DWORD dst_unused:UNUSED_PAD src0_sel:BYTE_3 src1_sel:DWORD
	v_lshrrev_b32_e32 v1, 3, v2
	v_cmpx_gt_u32_e32 8, v2
; %bb.903:                              ;   in Loop: Header=BB253_11 Depth=1
	v_ffbh_u32_e32 v1, v16
	v_min_u32_e32 v1, 32, v1
	v_subrev_nc_u32_e32 v2, 28, v1
	v_sub_nc_u32_e32 v1, 29, v1
	v_lshlrev_b64 v[2:3], v2, v[16:17]
	v_and_b32_e32 v16, 7, v2
; %bb.904:                              ;   in Loop: Header=BB253_11 Depth=1
	s_or_b32 exec_lo, exec_lo, s22
	v_mov_b32_e32 v2, 24
	v_lshl_add_u32 v1, v1, 23, 0x3c000000
	v_mov_b32_e32 v124, v17
	v_lshlrev_b32_sdwa v0, v2, v0 dst_sel:DWORD dst_unused:UNUSED_PAD src0_sel:DWORD src1_sel:BYTE_3
	v_lshlrev_b32_e32 v2, 20, v16
	v_and_b32_e32 v0, 0x80000000, v0
	v_or3_b32 v125, v2, v0, v1
.LBB253_905:                            ;   in Loop: Header=BB253_11 Depth=1
	s_or_b32 exec_lo, exec_lo, s21
.LBB253_906:                            ;   in Loop: Header=BB253_11 Depth=1
	s_or_b32 exec_lo, exec_lo, s17
.LBB253_907:                            ;   in Loop: Header=BB253_11 Depth=1
	s_or_b32 exec_lo, exec_lo, s13
	flat_load_dword v2, v[50:51] offset:1536
	v_mov_b32_e32 v22, 0
	v_mov_b32_e32 v20, 0
	;; [unrolled: 1-line block ×4, first 2 shown]
	s_waitcnt vmcnt(0) lgkmcnt(0)
	v_cmp_ne_u16_sdwa s5, v2, v17 src0_sel:BYTE_0 src1_sel:DWORD
	s_and_saveexec_b32 s13, s5
	s_cbranch_execz .LBB253_915
; %bb.908:                              ;   in Loop: Header=BB253_11 Depth=1
	v_bfrev_b32_e32 v20, 1
	v_mov_b32_e32 v21, 0
	v_cmp_ne_u16_sdwa s5, v2, v45 src0_sel:BYTE_0 src1_sel:DWORD
	s_and_saveexec_b32 s17, s5
	s_cbranch_execz .LBB253_914
; %bb.909:                              ;   in Loop: Header=BB253_11 Depth=1
	v_mov_b32_e32 v20, 0x7f800001
	v_and_b32_e32 v1, 0x7f, v2
	v_mov_b32_e32 v21, 0
	s_mov_b32 s21, exec_lo
	v_cmpx_ne_u32_e32 0x7f, v1
	s_cbranch_execz .LBB253_913
; %bb.910:                              ;   in Loop: Header=BB253_11 Depth=1
	v_and_b32_e32 v16, 7, v2
	v_lshrrev_b32_e32 v0, 3, v1
	s_mov_b32 s22, exec_lo
	v_cmpx_gt_u32_e32 8, v1
; %bb.911:                              ;   in Loop: Header=BB253_11 Depth=1
	v_ffbh_u32_e32 v0, v16
	v_min_u32_e32 v0, 32, v0
	v_subrev_nc_u32_e32 v1, 28, v0
	v_sub_nc_u32_e32 v0, 29, v0
	v_lshlrev_b64 v[3:4], v1, v[16:17]
	v_and_b32_e32 v16, 7, v3
; %bb.912:                              ;   in Loop: Header=BB253_11 Depth=1
	s_or_b32 exec_lo, exec_lo, s22
	v_lshlrev_b32_e32 v1, 24, v2
	v_lshlrev_b32_e32 v3, 20, v16
	v_lshl_add_u32 v0, v0, 23, 0x3c000000
	v_and_b32_e32 v1, 0x80000000, v1
	v_or3_b32 v16, v3, v1, v0
	v_mov_b32_e32 v21, v17
	v_mov_b32_e32 v20, v16
.LBB253_913:                            ;   in Loop: Header=BB253_11 Depth=1
	s_or_b32 exec_lo, exec_lo, s21
.LBB253_914:                            ;   in Loop: Header=BB253_11 Depth=1
	s_or_b32 exec_lo, exec_lo, s17
.LBB253_915:                            ;   in Loop: Header=BB253_11 Depth=1
	s_or_b32 exec_lo, exec_lo, s13
	v_cmp_ne_u16_sdwa s5, v2, v17 src0_sel:BYTE_1 src1_sel:DWORD
	s_and_saveexec_b32 s13, s5
	s_cbranch_execz .LBB253_923
; %bb.916:                              ;   in Loop: Header=BB253_11 Depth=1
	v_mov_b32_e32 v64, v17
	v_cmp_ne_u16_sdwa s5, v2, v45 src0_sel:BYTE_1 src1_sel:DWORD
	v_mov_b32_e32 v22, v64
	v_mov_b32_e32 v23, v65
	s_and_saveexec_b32 s17, s5
	s_cbranch_execz .LBB253_922
; %bb.917:                              ;   in Loop: Header=BB253_11 Depth=1
	v_mov_b32_e32 v0, 0xffff
	v_mov_b32_e32 v10, v17
	;; [unrolled: 1-line block ×3, first 2 shown]
	s_mov_b32 s21, exec_lo
	v_and_b32_sdwa v0, v0, v2 dst_sel:DWORD dst_unused:UNUSED_PAD src0_sel:DWORD src1_sel:BYTE_1
	v_mov_b32_e32 v22, v10
	v_and_b32_e32 v1, 0x7f, v0
	v_cmpx_ne_u32_e32 0x7f, v1
	s_cbranch_execz .LBB253_921
; %bb.918:                              ;   in Loop: Header=BB253_11 Depth=1
	v_and_b32_e32 v16, 7, v0
	v_lshrrev_b32_e32 v0, 3, v1
	s_mov_b32 s22, exec_lo
	v_cmpx_gt_u32_e32 8, v1
; %bb.919:                              ;   in Loop: Header=BB253_11 Depth=1
	v_ffbh_u32_e32 v0, v16
	v_min_u32_e32 v0, 32, v0
	v_subrev_nc_u32_e32 v1, 28, v0
	v_sub_nc_u32_e32 v0, 29, v0
	v_lshlrev_b64 v[3:4], v1, v[16:17]
	v_and_b32_e32 v16, 7, v3
; %bb.920:                              ;   in Loop: Header=BB253_11 Depth=1
	s_or_b32 exec_lo, exec_lo, s22
	v_lshlrev_b32_e32 v1, 16, v2
	v_lshlrev_b32_e32 v3, 20, v16
	v_lshl_add_u32 v0, v0, 23, 0x3c000000
	v_mov_b32_e32 v22, v17
	v_and_b32_e32 v1, 0x80000000, v1
	v_or3_b32 v23, v3, v1, v0
.LBB253_921:                            ;   in Loop: Header=BB253_11 Depth=1
	s_or_b32 exec_lo, exec_lo, s21
.LBB253_922:                            ;   in Loop: Header=BB253_11 Depth=1
	s_or_b32 exec_lo, exec_lo, s17
.LBB253_923:                            ;   in Loop: Header=BB253_11 Depth=1
	s_or_b32 exec_lo, exec_lo, s13
	v_mov_b32_e32 v0, 0xff
	v_mov_b32_e32 v30, 0
	;; [unrolled: 1-line block ×3, first 2 shown]
	s_mov_b32 s13, exec_lo
	v_and_b32_sdwa v3, v2, v0 dst_sel:DWORD dst_unused:UNUSED_PAD src0_sel:WORD_1 src1_sel:DWORD
	v_mov_b32_e32 v0, 0
	v_mov_b32_e32 v1, 0
	v_cmpx_ne_u16_e32 0, v3
	s_cbranch_execz .LBB253_931
; %bb.924:                              ;   in Loop: Header=BB253_11 Depth=1
	v_bfrev_b32_e32 v30, 1
	v_mov_b32_e32 v31, 0
	s_mov_b32 s17, exec_lo
	v_cmpx_ne_u16_e32 0x80, v3
	s_cbranch_execz .LBB253_930
; %bb.925:                              ;   in Loop: Header=BB253_11 Depth=1
	v_mov_b32_e32 v30, 0x7f800001
	v_bfe_u32 v4, v2, 16, 7
	v_mov_b32_e32 v31, 0
	s_mov_b32 s21, exec_lo
	v_cmpx_ne_u32_e32 0x7f, v4
	s_cbranch_execz .LBB253_929
; %bb.926:                              ;   in Loop: Header=BB253_11 Depth=1
	v_mov_b32_e32 v3, 7
	s_mov_b32 s22, exec_lo
	v_and_b32_sdwa v16, v2, v3 dst_sel:DWORD dst_unused:UNUSED_PAD src0_sel:WORD_1 src1_sel:DWORD
	v_lshrrev_b32_e32 v3, 3, v4
	v_cmpx_gt_u32_e32 8, v4
; %bb.927:                              ;   in Loop: Header=BB253_11 Depth=1
	v_ffbh_u32_e32 v3, v16
	v_min_u32_e32 v3, 32, v3
	v_subrev_nc_u32_e32 v4, 28, v3
	v_sub_nc_u32_e32 v3, 29, v3
	v_lshlrev_b64 v[6:7], v4, v[16:17]
	v_and_b32_e32 v16, 7, v6
; %bb.928:                              ;   in Loop: Header=BB253_11 Depth=1
	s_or_b32 exec_lo, exec_lo, s22
	v_mov_b32_e32 v4, 24
	v_lshlrev_b32_e32 v6, 20, v16
	v_lshl_add_u32 v3, v3, 23, 0x3c000000
	v_lshlrev_b32_sdwa v4, v4, v2 dst_sel:DWORD dst_unused:UNUSED_PAD src0_sel:DWORD src1_sel:WORD_1
	v_and_b32_e32 v4, 0x80000000, v4
	v_or3_b32 v16, v6, v4, v3
	v_mov_b32_e32 v31, v17
	v_mov_b32_e32 v30, v16
.LBB253_929:                            ;   in Loop: Header=BB253_11 Depth=1
	s_or_b32 exec_lo, exec_lo, s21
.LBB253_930:                            ;   in Loop: Header=BB253_11 Depth=1
	s_or_b32 exec_lo, exec_lo, s17
.LBB253_931:                            ;   in Loop: Header=BB253_11 Depth=1
	s_or_b32 exec_lo, exec_lo, s13
	s_mov_b32 s13, exec_lo
	v_cmpx_lt_u32_e32 0xffffff, v2
	s_cbranch_execz .LBB253_939
; %bb.932:                              ;   in Loop: Header=BB253_11 Depth=1
	v_mov_b32_e32 v64, v17
	v_cmp_ne_u32_sdwa s5, v2, v45 src0_sel:BYTE_3 src1_sel:DWORD
	v_mov_b32_e32 v0, v64
	v_mov_b32_e32 v1, v65
	s_and_saveexec_b32 s17, s5
	s_cbranch_execz .LBB253_938
; %bb.933:                              ;   in Loop: Header=BB253_11 Depth=1
	v_mov_b32_e32 v10, v17
	v_bfe_u32 v3, v2, 24, 7
	s_mov_b32 s21, exec_lo
	v_mov_b32_e32 v0, v10
	v_mov_b32_e32 v1, v11
	v_cmpx_ne_u32_e32 0x7f, v3
	s_cbranch_execz .LBB253_937
; %bb.934:                              ;   in Loop: Header=BB253_11 Depth=1
	v_mov_b32_e32 v0, 7
	s_mov_b32 s22, exec_lo
	v_and_b32_sdwa v16, v2, v0 dst_sel:DWORD dst_unused:UNUSED_PAD src0_sel:BYTE_3 src1_sel:DWORD
	v_lshrrev_b32_e32 v0, 3, v3
	v_cmpx_gt_u32_e32 8, v3
; %bb.935:                              ;   in Loop: Header=BB253_11 Depth=1
	v_ffbh_u32_e32 v0, v16
	v_min_u32_e32 v0, 32, v0
	v_subrev_nc_u32_e32 v1, 28, v0
	v_sub_nc_u32_e32 v0, 29, v0
	v_lshlrev_b64 v[3:4], v1, v[16:17]
	v_and_b32_e32 v16, 7, v3
; %bb.936:                              ;   in Loop: Header=BB253_11 Depth=1
	s_or_b32 exec_lo, exec_lo, s22
	v_mov_b32_e32 v1, 24
	v_lshl_add_u32 v0, v0, 23, 0x3c000000
	v_lshlrev_b32_sdwa v1, v1, v2 dst_sel:DWORD dst_unused:UNUSED_PAD src0_sel:DWORD src1_sel:BYTE_3
	v_lshlrev_b32_e32 v2, 20, v16
	v_and_b32_e32 v1, 0x80000000, v1
	v_or3_b32 v1, v2, v1, v0
	v_mov_b32_e32 v0, v17
.LBB253_937:                            ;   in Loop: Header=BB253_11 Depth=1
	s_or_b32 exec_lo, exec_lo, s21
.LBB253_938:                            ;   in Loop: Header=BB253_11 Depth=1
	s_or_b32 exec_lo, exec_lo, s17
.LBB253_939:                            ;   in Loop: Header=BB253_11 Depth=1
	s_or_b32 exec_lo, exec_lo, s13
	flat_load_dword v12, v[50:51] offset:1540
	v_mov_b32_e32 v2, 0
	v_mov_b32_e32 v50, 0
	;; [unrolled: 1-line block ×4, first 2 shown]
	s_waitcnt vmcnt(0) lgkmcnt(0)
	v_cmp_ne_u16_sdwa s5, v12, v17 src0_sel:BYTE_0 src1_sel:DWORD
	s_and_saveexec_b32 s13, s5
	s_cbranch_execz .LBB253_947
; %bb.940:                              ;   in Loop: Header=BB253_11 Depth=1
	v_bfrev_b32_e32 v50, 1
	v_mov_b32_e32 v51, 0
	v_cmp_ne_u16_sdwa s5, v12, v45 src0_sel:BYTE_0 src1_sel:DWORD
	s_and_saveexec_b32 s17, s5
	s_cbranch_execz .LBB253_946
; %bb.941:                              ;   in Loop: Header=BB253_11 Depth=1
	v_mov_b32_e32 v50, 0x7f800001
	v_and_b32_e32 v6, 0x7f, v12
	v_mov_b32_e32 v51, 0
	s_mov_b32 s21, exec_lo
	v_cmpx_ne_u32_e32 0x7f, v6
	s_cbranch_execz .LBB253_945
; %bb.942:                              ;   in Loop: Header=BB253_11 Depth=1
	v_and_b32_e32 v16, 7, v12
	v_lshrrev_b32_e32 v4, 3, v6
	s_mov_b32 s22, exec_lo
	v_cmpx_gt_u32_e32 8, v6
; %bb.943:                              ;   in Loop: Header=BB253_11 Depth=1
	v_ffbh_u32_e32 v4, v16
	v_min_u32_e32 v4, 32, v4
	v_subrev_nc_u32_e32 v6, 28, v4
	v_sub_nc_u32_e32 v4, 29, v4
	v_lshlrev_b64 v[6:7], v6, v[16:17]
	v_and_b32_e32 v16, 7, v6
; %bb.944:                              ;   in Loop: Header=BB253_11 Depth=1
	s_or_b32 exec_lo, exec_lo, s22
	v_lshlrev_b32_e32 v6, 24, v12
	v_lshlrev_b32_e32 v7, 20, v16
	v_lshl_add_u32 v4, v4, 23, 0x3c000000
	v_and_b32_e32 v6, 0x80000000, v6
	v_or3_b32 v16, v7, v6, v4
	v_mov_b32_e32 v51, v17
	v_mov_b32_e32 v50, v16
.LBB253_945:                            ;   in Loop: Header=BB253_11 Depth=1
	s_or_b32 exec_lo, exec_lo, s21
.LBB253_946:                            ;   in Loop: Header=BB253_11 Depth=1
	s_or_b32 exec_lo, exec_lo, s17
.LBB253_947:                            ;   in Loop: Header=BB253_11 Depth=1
	s_or_b32 exec_lo, exec_lo, s13
	v_cmp_ne_u16_sdwa s5, v12, v17 src0_sel:BYTE_1 src1_sel:DWORD
	s_and_saveexec_b32 s13, s5
	s_cbranch_execz .LBB253_955
; %bb.948:                              ;   in Loop: Header=BB253_11 Depth=1
	v_mov_b32_e32 v64, v17
	v_cmp_ne_u16_sdwa s5, v12, v45 src0_sel:BYTE_1 src1_sel:DWORD
	v_mov_b32_e32 v2, v64
	v_mov_b32_e32 v3, v65
	s_and_saveexec_b32 s17, s5
	s_cbranch_execz .LBB253_954
; %bb.949:                              ;   in Loop: Header=BB253_11 Depth=1
	v_mov_b32_e32 v2, 0xffff
	v_mov_b32_e32 v10, v17
	s_mov_b32 s21, exec_lo
	v_and_b32_sdwa v6, v2, v12 dst_sel:DWORD dst_unused:UNUSED_PAD src0_sel:DWORD src1_sel:BYTE_1
	v_mov_b32_e32 v2, v10
	v_mov_b32_e32 v3, v11
	v_and_b32_e32 v4, 0x7f, v6
	v_cmpx_ne_u32_e32 0x7f, v4
	s_cbranch_execz .LBB253_953
; %bb.950:                              ;   in Loop: Header=BB253_11 Depth=1
	v_and_b32_e32 v16, 7, v6
	v_lshrrev_b32_e32 v2, 3, v4
	s_mov_b32 s22, exec_lo
	v_cmpx_gt_u32_e32 8, v4
; %bb.951:                              ;   in Loop: Header=BB253_11 Depth=1
	v_ffbh_u32_e32 v2, v16
	v_min_u32_e32 v2, 32, v2
	v_subrev_nc_u32_e32 v3, 28, v2
	v_sub_nc_u32_e32 v2, 29, v2
	v_lshlrev_b64 v[3:4], v3, v[16:17]
	v_and_b32_e32 v16, 7, v3
; %bb.952:                              ;   in Loop: Header=BB253_11 Depth=1
	s_or_b32 exec_lo, exec_lo, s22
	v_lshlrev_b32_e32 v3, 16, v12
	v_lshlrev_b32_e32 v4, 20, v16
	v_lshl_add_u32 v2, v2, 23, 0x3c000000
	v_and_b32_e32 v3, 0x80000000, v3
	v_or3_b32 v3, v4, v3, v2
	v_mov_b32_e32 v2, v17
.LBB253_953:                            ;   in Loop: Header=BB253_11 Depth=1
	s_or_b32 exec_lo, exec_lo, s21
.LBB253_954:                            ;   in Loop: Header=BB253_11 Depth=1
	s_or_b32 exec_lo, exec_lo, s17
.LBB253_955:                            ;   in Loop: Header=BB253_11 Depth=1
	s_or_b32 exec_lo, exec_lo, s13
	v_mov_b32_e32 v4, 0xff
	v_mov_b32_e32 v6, 0
	v_mov_b32_e32 v24, 0
	v_mov_b32_e32 v7, 0
	v_mov_b32_e32 v25, 0
	v_and_b32_sdwa v4, v12, v4 dst_sel:DWORD dst_unused:UNUSED_PAD src0_sel:WORD_1 src1_sel:DWORD
	s_mov_b32 s13, exec_lo
	v_cmpx_ne_u16_e32 0, v4
	s_cbranch_execz .LBB253_963
; %bb.956:                              ;   in Loop: Header=BB253_11 Depth=1
	v_bfrev_b32_e32 v24, 1
	v_mov_b32_e32 v25, 0
	s_mov_b32 s17, exec_lo
	v_cmpx_ne_u16_e32 0x80, v4
	s_cbranch_execz .LBB253_962
; %bb.957:                              ;   in Loop: Header=BB253_11 Depth=1
	v_mov_b32_e32 v24, 0x7f800001
	v_bfe_u32 v10, v12, 16, 7
	v_mov_b32_e32 v25, 0
	s_mov_b32 s21, exec_lo
	v_cmpx_ne_u32_e32 0x7f, v10
	s_cbranch_execz .LBB253_961
; %bb.958:                              ;   in Loop: Header=BB253_11 Depth=1
	v_mov_b32_e32 v4, 7
	s_mov_b32 s22, exec_lo
	v_and_b32_sdwa v16, v12, v4 dst_sel:DWORD dst_unused:UNUSED_PAD src0_sel:WORD_1 src1_sel:DWORD
	v_lshrrev_b32_e32 v4, 3, v10
	v_cmpx_gt_u32_e32 8, v10
; %bb.959:                              ;   in Loop: Header=BB253_11 Depth=1
	v_ffbh_u32_e32 v4, v16
	v_min_u32_e32 v4, 32, v4
	v_subrev_nc_u32_e32 v10, 28, v4
	v_sub_nc_u32_e32 v4, 29, v4
	v_lshlrev_b64 v[13:14], v10, v[16:17]
	v_and_b32_e32 v16, 7, v13
; %bb.960:                              ;   in Loop: Header=BB253_11 Depth=1
	s_or_b32 exec_lo, exec_lo, s22
	v_mov_b32_e32 v10, 24
	v_lshlrev_b32_e32 v13, 20, v16
	v_lshl_add_u32 v4, v4, 23, 0x3c000000
	v_lshlrev_b32_sdwa v10, v10, v12 dst_sel:DWORD dst_unused:UNUSED_PAD src0_sel:DWORD src1_sel:WORD_1
	v_and_b32_e32 v10, 0x80000000, v10
	v_or3_b32 v16, v13, v10, v4
	v_mov_b32_e32 v25, v17
	v_mov_b32_e32 v24, v16
.LBB253_961:                            ;   in Loop: Header=BB253_11 Depth=1
	s_or_b32 exec_lo, exec_lo, s21
.LBB253_962:                            ;   in Loop: Header=BB253_11 Depth=1
	s_or_b32 exec_lo, exec_lo, s17
.LBB253_963:                            ;   in Loop: Header=BB253_11 Depth=1
	s_or_b32 exec_lo, exec_lo, s13
	buffer_store_dword v5, off, s[0:3], s32 offset:744 ; 4-byte Folded Spill
	v_cmp_lt_u32_e64 s5, 0xffffff, v12
	s_mov_b32 s13, exec_lo
	v_mov_b32_e32 v15, v18
	v_mov_b32_e32 v72, v33
	v_mov_b32_e32 v116, v44
	s_and_b32 s5, s13, s5
	s_mov_b32 exec_lo, s5
	s_cbranch_execz .LBB253_10
; %bb.964:                              ;   in Loop: Header=BB253_11 Depth=1
	v_mov_b32_e32 v64, v17
	v_cmp_ne_u32_sdwa s5, v12, v45 src0_sel:BYTE_3 src1_sel:DWORD
	v_mov_b32_e32 v6, v64
	v_mov_b32_e32 v7, v65
	s_and_saveexec_b32 s17, s5
	s_cbranch_execz .LBB253_9
; %bb.965:                              ;   in Loop: Header=BB253_11 Depth=1
	v_mov_b32_e32 v10, v17
	v_bfe_u32 v13, v12, 24, 7
	s_mov_b32 s21, exec_lo
	v_mov_b32_e32 v6, v10
	v_mov_b32_e32 v7, v11
	v_cmpx_ne_u32_e32 0x7f, v13
	s_cbranch_execz .LBB253_8
; %bb.966:                              ;   in Loop: Header=BB253_11 Depth=1
	v_mov_b32_e32 v4, 7
	s_mov_b32 s22, exec_lo
	v_and_b32_sdwa v16, v12, v4 dst_sel:DWORD dst_unused:UNUSED_PAD src0_sel:BYTE_3 src1_sel:DWORD
	v_lshrrev_b32_e32 v4, 3, v13
	v_cmpx_gt_u32_e32 8, v13
	s_cbranch_execz .LBB253_7
; %bb.967:                              ;   in Loop: Header=BB253_11 Depth=1
	v_ffbh_u32_e32 v4, v16
	v_min_u32_e32 v4, 32, v4
	v_subrev_nc_u32_e32 v6, 28, v4
	v_sub_nc_u32_e32 v4, 29, v4
	v_lshlrev_b64 v[6:7], v6, v[16:17]
	v_and_b32_e32 v16, 7, v6
	s_branch .LBB253_7
.LBB253_968:
	s_or_b32 exec_lo, exec_lo, s11
	s_clause 0x10
	buffer_load_dword v6, off, s[0:3], s32 offset:1320
	buffer_load_dword v15, off, s[0:3], s32 offset:1324
	;; [unrolled: 1-line block ×17, first 2 shown]
.LBB253_969:
	s_or_b32 exec_lo, exec_lo, s9
	v_mbcnt_lo_u32_b32 v0, -1, 0
	v_max_f32_e32 v4, v5, v5
	s_lshr_b32 s9, s7, 16
	v_xor_b32_e32 v1, 16, v0
	v_xor_b32_e32 v3, 8, v0
	v_cmp_gt_i32_e32 vcc_lo, 32, v1
	v_cndmask_b32_e32 v1, v0, v1, vcc_lo
	v_cmp_gt_i32_e32 vcc_lo, 32, v3
	v_lshlrev_b32_e32 v2, 2, v1
	v_cndmask_b32_e32 v3, v0, v3, vcc_lo
	ds_bpermute_b32 v1, v2, v5
	v_lshlrev_b32_e32 v3, 2, v3
	v_xor_b32_e32 v5, 4, v0
	v_cmp_gt_i32_e32 vcc_lo, 32, v5
	v_cndmask_b32_e32 v5, v0, v5, vcc_lo
	v_lshlrev_b32_e32 v33, 2, v5
	v_xor_b32_e32 v5, 2, v0
	s_waitcnt lgkmcnt(0)
	v_max_f32_e32 v1, v1, v1
	v_cmp_gt_i32_e32 vcc_lo, 32, v5
	v_max_f32_e32 v1, v4, v1
	v_cndmask_b32_e32 v5, v0, v5, vcc_lo
	ds_bpermute_b32 v4, v3, v1
	v_lshlrev_b32_e32 v97, 2, v5
	v_xor_b32_e32 v5, 1, v0
	v_cmp_gt_i32_e32 vcc_lo, 32, v5
	v_cndmask_b32_e32 v5, v0, v5, vcc_lo
	s_waitcnt vmcnt(16)
	v_cmp_eq_u32_e32 vcc_lo, 0, v6
	v_lshlrev_b32_e32 v96, 2, v5
	s_waitcnt lgkmcnt(0)
	v_max_f32_e32 v4, v4, v4
	v_max_f32_e32 v1, v1, v4
	ds_bpermute_b32 v4, v33, v1
	s_waitcnt lgkmcnt(0)
	v_max_f32_e32 v4, v4, v4
	v_max_f32_e32 v1, v1, v4
	ds_bpermute_b32 v4, v97, v1
	s_waitcnt lgkmcnt(0)
	v_max_f32_e32 v4, v4, v4
	v_max_f32_e32 v0, v1, v4
	buffer_load_dword v4, off, s[0:3], s32 offset:1308 ; 4-byte Folded Reload
	ds_bpermute_b32 v1, v96, v0
	s_waitcnt vmcnt(0)
	v_lshlrev_b32_e32 v4, 2, v4
	s_mov_b32 s5, exec_lo
	buffer_load_dword v9, off, s[0:3], s32 offset:1304 ; 4-byte Folded Reload
	s_and_b32 s7, s5, vcc_lo
	s_mov_b32 exec_lo, s7
	s_cbranch_execz .LBB253_971
; %bb.970:
	s_waitcnt lgkmcnt(0)
	v_max_f32_e32 v1, v1, v1
	v_max_f32_e32 v0, v0, v0
	;; [unrolled: 1-line block ×3, first 2 shown]
	ds_write_b32 v4, v0 offset:480
.LBB253_971:
	s_or_b32 exec_lo, exec_lo, s5
	v_cmp_gt_u32_e64 s5, 4, v6
	v_mov_b32_e32 v0, 0xff7fffff
	s_waitcnt vmcnt(0) lgkmcnt(0)
	s_waitcnt_vscnt null, 0x0
	s_barrier
	buffer_gl0_inv
	s_and_saveexec_b32 s7, s5
; %bb.972:
	ds_read_b32 v0, v19 offset:480
; %bb.973:
	s_or_b32 exec_lo, exec_lo, s7
	buffer_load_dword v5, off, s[0:3], s32 offset:740 ; 4-byte Folded Reload
	s_waitcnt lgkmcnt(0)
	ds_bpermute_b32 v1, v97, v0
	v_max_f32_e32 v0, v0, v0
	s_waitcnt lgkmcnt(0)
	v_max_f32_e32 v1, v1, v1
	v_max_f32_e32 v0, v0, v1
	ds_bpermute_b32 v1, v96, v0
	s_waitcnt lgkmcnt(0)
	v_max_f32_e32 v1, v1, v1
	v_max_f32_e32 v0, v0, v1
	s_waitcnt vmcnt(0)
	v_subrev_nc_u32_e32 v6, s6, v5
	v_mov_b32_e32 v5, 0
	v_lshl_add_u32 v1, v6, 5, s20
	ds_bpermute_b32 v0, v5, v0
	v_min_i32_e32 v1, v1, v32
	v_subrev_nc_u32_e32 v1, s20, v1
	v_cmp_lt_i32_e64 s6, v9, v1
	s_and_saveexec_b32 s11, s6
	s_cbranch_execz .LBB253_977
; %bb.974:
	s_getpc_b64 s[22:23]
	s_add_u32 s22, s22, llvm.amdgcn.dynlds.offset.table@rel32@lo+4
	s_addc_u32 s23, s23, llvm.amdgcn.dynlds.offset.table@rel32@hi+12
	s_ashr_i32 s17, s16, 31
	v_mov_b32_e32 v5, 0
	s_lshl_b64 s[24:25], s[16:17], 2
	v_mov_b32_e32 v7, v9
	s_add_u32 s22, s22, s24
	s_addc_u32 s23, s23, s25
	s_mov_b32 s13, 0
	s_load_dword s7, s[22:23], 0x0
	s_waitcnt lgkmcnt(0)
	v_lshl_add_u32 v6, v9, 2, s7
	.p2align	6
.LBB253_975:                            ; =>This Inner Loop Header: Depth=1
	ds_read_b32 v8, v6
	v_add_nc_u32_e32 v7, 0x80, v7
	v_cmp_ge_i32_e64 s7, v7, v1
	s_or_b32 s13, s7, s13
	s_waitcnt lgkmcnt(0)
	v_sub_f32_e32 v8, v8, v0
	v_mul_f32_e32 v8, 0x3fb8aa3b, v8
	v_exp_f32_e32 v8, v8
	ds_write_b32 v6, v8
	v_add_f32_e32 v5, v5, v8
	v_add_nc_u32_e32 v6, 0x200, v6
	s_andn2_b32 exec_lo, exec_lo, s13
	s_cbranch_execnz .LBB253_975
; %bb.976:
	s_or_b32 exec_lo, exec_lo, s13
.LBB253_977:
	s_or_b32 exec_lo, exec_lo, s11
	ds_bpermute_b32 v2, v2, v5
	s_waitcnt lgkmcnt(0)
	v_add_f32_e32 v2, v5, v2
	ds_bpermute_b32 v3, v3, v2
	s_waitcnt lgkmcnt(0)
	v_add_f32_e32 v2, v2, v3
	ds_bpermute_b32 v3, v33, v2
	s_waitcnt lgkmcnt(0)
	v_add_f32_e32 v2, v2, v3
	ds_bpermute_b32 v3, v97, v2
	s_waitcnt lgkmcnt(0)
	v_add_f32_e32 v2, v2, v3
	ds_bpermute_b32 v3, v96, v2
	s_waitcnt lgkmcnt(0)
	v_add_f32_e32 v2, v2, v3
	s_and_saveexec_b32 s7, vcc_lo
; %bb.978:
	ds_write_b32 v4, v2 offset:496
; %bb.979:
	s_or_b32 exec_lo, exec_lo, s7
	s_waitcnt lgkmcnt(0)
	s_barrier
	buffer_gl0_inv
	s_and_saveexec_b32 s7, s5
; %bb.980:
	ds_read_b32 v2, v19 offset:496
; %bb.981:
	s_or_b32 exec_lo, exec_lo, s7
	s_waitcnt lgkmcnt(0)
	ds_bpermute_b32 v3, v97, v2
	s_waitcnt lgkmcnt(0)
	v_add_f32_e32 v2, v2, v3
	ds_bpermute_b32 v3, v96, v2
	s_waitcnt lgkmcnt(0)
	v_add_f32_e32 v2, v2, v3
	v_mov_b32_e32 v3, 0
	ds_bpermute_b32 v2, v3, v2
	s_and_saveexec_b32 s5, s6
	s_cbranch_execz .LBB253_984
; %bb.982:
	s_waitcnt lgkmcnt(0)
	v_add_f32_e32 v4, 0x358637bd, v2
	s_getpc_b64 s[6:7]
	s_add_u32 s6, s6, llvm.amdgcn.dynlds.offset.table@rel32@lo+4
	s_addc_u32 s7, s7, llvm.amdgcn.dynlds.offset.table@rel32@hi+12
	s_ashr_i32 s17, s16, 31
	s_lshl_b64 s[22:23], s[16:17], 2
	v_div_scale_f32 v3, null, v4, v4, 1.0
	v_div_scale_f32 v7, vcc_lo, 1.0, v4, 1.0
	s_add_u32 s6, s6, s22
	v_rcp_f32_e32 v5, v3
	s_addc_u32 s7, s7, s23
	s_load_dword s6, s[6:7], 0x0
	v_fma_f32 v6, -v3, v5, 1.0
	v_fmac_f32_e32 v5, v6, v5
	v_mul_f32_e32 v6, v7, v5
	v_fma_f32 v8, -v3, v6, v7
	v_fmac_f32_e32 v6, v8, v5
	v_fma_f32 v3, -v3, v6, v7
	v_div_fmas_f32 v5, v3, v5, v6
	s_waitcnt lgkmcnt(0)
	v_lshl_add_u32 v3, v9, 2, s6
	s_mov_b32 s6, 0
	v_div_fixup_f32 v4, v5, v4, 1.0
	v_mov_b32_e32 v5, v9
.LBB253_983:                            ; =>This Inner Loop Header: Depth=1
	ds_read_b32 v6, v3
	v_add_nc_u32_e32 v5, 0x80, v5
	v_cmp_ge_i32_e32 vcc_lo, v5, v1
	s_or_b32 s6, vcc_lo, s6
	s_waitcnt lgkmcnt(0)
	v_mul_f32_e32 v6, v4, v6
	ds_write_b32 v3, v6
	v_add_nc_u32_e32 v3, 0x200, v3
	s_andn2_b32 exec_lo, exec_lo, s6
	s_cbranch_execnz .LBB253_983
.LBB253_984:
	s_or_b32 exec_lo, exec_lo, s5
	s_and_b32 s5, 0xffff, s9
	s_waitcnt lgkmcnt(0)
	s_cmp_lg_u32 s5, 0
	s_barrier
	s_cselect_b32 s5, -1, 0
	buffer_gl0_inv
	s_cmp_lg_u32 s5, 0
	s_addc_u32 s5, s8, 0
	s_mov_b32 s8, exec_lo
	s_mul_i32 s6, s5, s18
	s_mul_i32 s6, s6, s15
	v_cmpx_eq_u32_e32 0, v9
	s_cbranch_execz .LBB253_986
; %bb.985:
	s_ashr_i32 s7, s6, 31
	s_mul_i32 s12, s5, s12
	s_lshl_b64 s[22:23], s[6:7], 2
	s_ashr_i32 s13, s12, 31
	v_add_co_u32 v1, vcc_lo, v28, s22
	v_add_co_ci_u32_e64 v3, null, s23, v25, vcc_lo
	s_lshl_b64 s[12:13], s[12:13], 2
	s_ashr_i32 s15, s14, 31
	v_add_co_u32 v1, vcc_lo, v1, s12
	v_add_co_ci_u32_e64 v4, null, s13, v3, vcc_lo
	v_add_co_u32 v3, vcc_lo, v24, s22
	v_add_co_ci_u32_e64 v5, null, s23, v22, vcc_lo
	s_lshl_b64 s[22:23], s[14:15], 2
	v_add_co_u32 v6, vcc_lo, v3, s12
	v_add_co_ci_u32_e64 v7, null, s13, v5, vcc_lo
	v_add_co_u32 v3, vcc_lo, v1, s22
	v_add_co_ci_u32_e64 v4, null, s23, v4, vcc_lo
	;; [unrolled: 2-line block ×3, first 2 shown]
	flat_store_dword v[3:4], v0
	flat_store_dword v[5:6], v2
.LBB253_986:
	s_or_b32 exec_lo, exec_lo, s8
	s_and_saveexec_b32 s7, s4
	s_xor_b32 s4, exec_lo, s7
	s_cbranch_execz .LBB253_988
; %bb.987:
                                        ; implicit-def: $vgpr0
	s_ashr_i32 s17, s16, 31
                                        ; kill: killed $vgpr0
                                        ; implicit-def: $vgpr0
                                        ; implicit-def: $vgpr32
                                        ; implicit-def: $vgpr16
                                        ; implicit-def: $vgpr10
                                        ; implicit-def: $vgpr11
                                        ; implicit-def: $vgpr14
                                        ; implicit-def: $vgpr15
                                        ; implicit-def: $vgpr26_vgpr27
                                        ; implicit-def: $vgpr17
                                        ; implicit-def: $vgpr18
                                        ; implicit-def: $vgpr12_vgpr13
	buffer_store_dword v0, off, s[0:3], s32 offset:192 ; 4-byte Folded Spill
	buffer_store_dword v1, off, s[0:3], s32 offset:196 ; 4-byte Folded Spill
                                        ; implicit-def: $vgpr0
                                        ; kill: killed $vgpr0
.LBB253_988:
	s_or_saveexec_b32 s7, s4
	v_mov_b32_e32 v0, s16
	v_mov_b32_e32 v83, 0
	;; [unrolled: 1-line block ×3, first 2 shown]
	v_and_b32_e32 v98, 7, v9
	v_mov_b32_e32 v82, 0
	v_mov_b32_e32 v81, 0
	;; [unrolled: 1-line block ×29, first 2 shown]
	s_xor_b32 exec_lo, exec_lo, s7
	s_cbranch_execz .LBB253_2012
; %bb.989:
	buffer_store_dword v33, off, s[0:3], s32 offset:632 ; 4-byte Folded Spill
	buffer_store_dword v97, off, s[0:3], s32 offset:624 ; 4-byte Folded Spill
	;; [unrolled: 1-line block ×3, first 2 shown]
	flat_load_dword v84, v[26:27]
	s_clause 0x1
	buffer_load_dword v0, off, s[0:3], s32 offset:192
	buffer_load_dword v1, off, s[0:3], s32 offset:196
	v_add_co_u32 v3, vcc_lo, v10, v17
	v_add_co_ci_u32_e64 v4, null, v11, v18, vcc_lo
	buffer_load_dword v11, off, s[0:3], s32 offset:1308 ; 4-byte Folded Reload
	s_ashr_i32 s17, s16, 31
	s_getpc_b64 s[8:9]
	s_add_u32 s8, s8, llvm.amdgcn.dynlds.offset.table@rel32@lo+4
	s_addc_u32 s9, s9, llvm.amdgcn.dynlds.offset.table@rel32@hi+12
	s_lshl_b64 s[12:13], s[16:17], 2
	v_lshlrev_b32_e32 v2, 2, v9
	s_add_u32 s8, s8, s12
	s_addc_u32 s9, s9, s13
	v_lshlrev_b32_e32 v7, 4, v98
	s_load_dword s4, s[8:9], 0x0
	v_and_b32_e32 v9, 28, v2
	v_and_b32_e32 v2, 0x7c, v2
	v_add_nc_u32_e32 v122, -1, v16
	v_mov_b32_e32 v6, 0
	v_mov_b32_e32 v86, 0x80
	v_bfrev_b32_e32 v8, 1
	v_mov_b32_e32 v10, 0x7f800001
	v_mov_b32_e32 v96, 0xff
	;; [unrolled: 1-line block ×32, first 2 shown]
	s_mov_b32 s8, 0
	buffer_store_dword v98, off, s[0:3], s32 offset:640 ; 4-byte Folded Spill
	s_waitcnt vmcnt(3) lgkmcnt(0)
	v_mov_b32_e32 v100, v84
	s_waitcnt vmcnt(1)
	v_lshlrev_b64 v[0:1], 2, v[0:1]
	s_waitcnt vmcnt(0)
	v_lshl_add_u32 v5, v11, 5, s20
	v_add_co_u32 v0, vcc_lo, v12, v0
	v_lshl_or_b32 v7, v11, 7, v7
	v_add_co_ci_u32_e64 v1, null, v13, v1, vcc_lo
	v_add_co_u32 v2, vcc_lo, v3, v2
	v_add_co_ci_u32_e64 v3, null, 0, v4, vcc_lo
	v_add_co_u32 v13, vcc_lo, v14, v0
	v_add3_u32 v33, v5, v9, 3
	v_add_co_ci_u32_e64 v14, null, v15, v1, vcc_lo
	v_add_nc_u32_e32 v99, s4, v7
	buffer_store_dword v2, off, s[0:3], s32 offset:608 ; 4-byte Folded Spill
	buffer_store_dword v3, off, s[0:3], s32 offset:612 ; 4-byte Folded Spill
	s_branch .LBB253_991
.LBB253_990:                            ;   in Loop: Header=BB253_991 Depth=1
	s_or_b32 exec_lo, exec_lo, s4
	v_mul_f32_e32 v16, v1, v111
	v_add_co_u32 v13, vcc_lo, v13, 16
	v_add_co_ci_u32_e64 v14, null, 0, v14, vcc_lo
	v_fmac_f32_e32 v16, v0, v110
	v_add_nc_u32_e32 v33, 0x80, v33
	v_add_nc_u32_e32 v99, 0x200, v99
	v_fmac_f32_e32 v16, v2, v24
	v_fmac_f32_e32 v16, v3, v23
	v_add_f32_e32 v29, v29, v16
	v_mul_f32_e32 v16, v1, v109
	v_fmac_f32_e32 v16, v0, v108
	v_fmac_f32_e32 v16, v2, v107
	v_fmac_f32_e32 v16, v3, v106
	v_add_f32_e32 v30, v30, v16
	v_mul_f32_e32 v16, v1, v105
	v_fmac_f32_e32 v16, v0, v104
	;; [unrolled: 5-line block ×13, first 2 shown]
	v_fmac_f32_e32 v16, v2, v4
	v_mul_f32_e32 v4, v1, v12
	v_fmac_f32_e32 v16, v3, v26
	v_fmac_f32_e32 v4, v0, v11
	buffer_load_dword v11, off, s[0:3], s32 offset:592 ; 4-byte Folded Reload
	v_add_f32_e32 v52, v52, v16
	v_fmac_f32_e32 v4, v2, v85
	v_fmac_f32_e32 v4, v3, v27
	v_add_f32_e32 v53, v53, v4
	v_mul_f32_e32 v4, v1, v127
	v_fmac_f32_e32 v4, v0, v126
	v_fmac_f32_e32 v4, v2, v125
	v_fmac_f32_e32 v4, v3, v124
	v_add_f32_e32 v54, v54, v4
	buffer_load_dword v4, off, s[0:3], s32 offset:600 ; 4-byte Folded Reload
	s_waitcnt vmcnt(0)
	v_mul_f32_e32 v4, v1, v4
	v_fmac_f32_e32 v4, v0, v123
	v_fmac_f32_e32 v4, v2, v11
	buffer_load_dword v11, off, s[0:3], s32 offset:584 ; 4-byte Folded Reload
	s_waitcnt vmcnt(0)
	v_fmac_f32_e32 v4, v3, v11
	buffer_load_dword v11, off, s[0:3], s32 offset:576 ; 4-byte Folded Reload
	v_add_f32_e32 v55, v55, v4
	buffer_load_dword v4, off, s[0:3], s32 offset:568 ; 4-byte Folded Reload
	s_waitcnt vmcnt(0)
	v_mul_f32_e32 v4, v1, v4
	v_fmac_f32_e32 v4, v0, v11
	buffer_load_dword v11, off, s[0:3], s32 offset:560 ; 4-byte Folded Reload
	s_waitcnt vmcnt(0)
	v_fmac_f32_e32 v4, v2, v11
	buffer_load_dword v11, off, s[0:3], s32 offset:552 ; 4-byte Folded Reload
	s_waitcnt vmcnt(0)
	v_fmac_f32_e32 v4, v3, v11
	buffer_load_dword v11, off, s[0:3], s32 offset:544 ; 4-byte Folded Reload
	v_add_f32_e32 v64, v64, v4
	buffer_load_dword v4, off, s[0:3], s32 offset:536 ; 4-byte Folded Reload
	s_waitcnt vmcnt(0)
	v_mul_f32_e32 v4, v1, v4
	v_fmac_f32_e32 v4, v0, v11
	buffer_load_dword v11, off, s[0:3], s32 offset:528 ; 4-byte Folded Reload
	s_waitcnt vmcnt(0)
	;; [unrolled: 12-line block ×11, first 2 shown]
	v_fmac_f32_e32 v4, v2, v11
	buffer_load_dword v11, off, s[0:3], s32 offset:232 ; 4-byte Folded Reload
	s_waitcnt vmcnt(0)
	v_fmac_f32_e32 v4, v3, v11
	buffer_load_dword v11, off, s[0:3], s32 offset:224 ; 4-byte Folded Reload
	v_add_f32_e32 v82, v82, v4
	buffer_load_dword v4, off, s[0:3], s32 offset:216 ; 4-byte Folded Reload
	s_waitcnt vmcnt(0)
	v_mul_f32_e32 v4, v1, v4
	v_mul_f32_e32 v1, v1, v15
	v_fmac_f32_e32 v4, v0, v11
	buffer_load_dword v11, off, s[0:3], s32 offset:208 ; 4-byte Folded Reload
	v_fmac_f32_e32 v1, v0, v9
	v_fmac_f32_e32 v1, v2, v7
	;; [unrolled: 1-line block ×3, first 2 shown]
	v_add_f32_e32 v28, v28, v1
	s_waitcnt vmcnt(0)
	v_fmac_f32_e32 v4, v2, v11
	s_clause 0x2
	buffer_load_dword v11, off, s[0:3], s32 offset:200
	buffer_load_dword v0, off, s[0:3], s32 offset:192
	;; [unrolled: 1-line block ×3, first 2 shown]
	s_waitcnt vmcnt(0)
	v_mov_b32_e32 v1, v0
	v_fmac_f32_e32 v4, v3, v11
	v_add_nc_u32_e32 v1, 4, v1
	v_add_f32_e32 v83, v83, v4
	v_mov_b32_e32 v0, v1
	buffer_store_dword v0, off, s[0:3], s32 offset:192 ; 4-byte Folded Spill
	buffer_store_dword v1, off, s[0:3], s32 offset:196 ; 4-byte Folded Spill
	buffer_load_dword v0, off, s[0:3], s32 offset:740 ; 4-byte Folded Reload
	s_waitcnt vmcnt(0)
	v_cmp_ge_i32_e32 vcc_lo, v1, v0
	s_or_b32 s8, vcc_lo, s8
	s_andn2_b32 exec_lo, exec_lo, s8
	s_cbranch_execz .LBB253_2011
.LBB253_991:                            ; =>This Inner Loop Header: Depth=1
	flat_load_dword v0, v[13:14]
	s_clause 0x2
	buffer_load_dword v1, off, s[0:3], s32 offset:736
	buffer_load_dword v2, off, s[0:3], s32 offset:608
	;; [unrolled: 1-line block ×3, first 2 shown]
	v_mov_b32_e32 v19, 0
	v_mov_b32_e32 v17, 0
	;; [unrolled: 1-line block ×4, first 2 shown]
	s_waitcnt vmcnt(0) lgkmcnt(0)
	v_mad_i64_i32 v[15:16], null, v0, v1, v[2:3]
	ds_read_b128 v[0:3], v99
	flat_load_dword v4, v[15:16]
	s_waitcnt vmcnt(0) lgkmcnt(0)
	v_cmp_ne_u16_sdwa s9, v4, v6 src0_sel:BYTE_0 src1_sel:DWORD
	s_and_saveexec_b32 s4, s9
	s_cbranch_execz .LBB253_999
; %bb.992:                              ;   in Loop: Header=BB253_991 Depth=1
	v_bfrev_b32_e32 v17, 1
	v_mov_b32_e32 v18, 0
	v_cmp_ne_u16_sdwa s11, v4, v86 src0_sel:BYTE_0 src1_sel:DWORD
	s_and_saveexec_b32 s9, s11
	s_cbranch_execz .LBB253_998
; %bb.993:                              ;   in Loop: Header=BB253_991 Depth=1
	v_mov_b32_e32 v17, 0x7f800001
	v_and_b32_e32 v9, 0x7f, v4
	v_mov_b32_e32 v18, 0
	s_mov_b32 s11, exec_lo
	v_cmpx_ne_u32_e32 0x7f, v9
	s_cbranch_execz .LBB253_997
; %bb.994:                              ;   in Loop: Header=BB253_991 Depth=1
	v_and_b32_e32 v5, 7, v4
	v_lshrrev_b32_e32 v7, 3, v9
	s_mov_b32 s12, exec_lo
	v_cmpx_gt_u32_e32 8, v9
; %bb.995:                              ;   in Loop: Header=BB253_991 Depth=1
	v_ffbh_u32_e32 v7, v5
	v_min_u32_e32 v7, 32, v7
	v_subrev_nc_u32_e32 v9, 28, v7
	v_sub_nc_u32_e32 v7, 29, v7
	v_lshlrev_b64 v[11:12], v9, v[5:6]
	v_and_b32_e32 v5, 7, v11
; %bb.996:                              ;   in Loop: Header=BB253_991 Depth=1
	s_or_b32 exec_lo, exec_lo, s12
	v_lshlrev_b32_e32 v9, 24, v4
	v_lshlrev_b32_e32 v5, 20, v5
	v_lshl_add_u32 v7, v7, 23, 0x3c000000
	v_and_b32_e32 v9, 0x80000000, v9
	v_or3_b32 v5, v5, v9, v7
	v_mov_b32_e32 v18, v6
	v_mov_b32_e32 v17, v5
.LBB253_997:                            ;   in Loop: Header=BB253_991 Depth=1
	s_or_b32 exec_lo, exec_lo, s11
.LBB253_998:                            ;   in Loop: Header=BB253_991 Depth=1
	s_or_b32 exec_lo, exec_lo, s9
.LBB253_999:                            ;   in Loop: Header=BB253_991 Depth=1
	s_or_b32 exec_lo, exec_lo, s4
	v_cmp_ne_u16_sdwa s9, v4, v6 src0_sel:BYTE_1 src1_sel:DWORD
	s_and_saveexec_b32 s4, s9
	s_cbranch_execz .LBB253_1007
; %bb.1000:                             ;   in Loop: Header=BB253_991 Depth=1
	v_mov_b32_e32 v7, v6
	v_mov_b32_e32 v20, v8
	v_cmp_ne_u16_sdwa s11, v4, v86 src0_sel:BYTE_1 src1_sel:DWORD
	v_mov_b32_e32 v19, v7
	s_and_saveexec_b32 s9, s11
	s_cbranch_execz .LBB253_1006
; %bb.1001:                             ;   in Loop: Header=BB253_991 Depth=1
	v_mov_b32_e32 v5, 0xffff
	v_mov_b32_e32 v9, v6
	;; [unrolled: 1-line block ×3, first 2 shown]
	s_mov_b32 s11, exec_lo
	v_and_b32_sdwa v5, v5, v4 dst_sel:DWORD dst_unused:UNUSED_PAD src0_sel:DWORD src1_sel:BYTE_1
	v_mov_b32_e32 v19, v9
	v_and_b32_e32 v11, 0x7f, v5
	v_cmpx_ne_u32_e32 0x7f, v11
	s_cbranch_execz .LBB253_1005
; %bb.1002:                             ;   in Loop: Header=BB253_991 Depth=1
	v_and_b32_e32 v5, 7, v5
	v_lshrrev_b32_e32 v7, 3, v11
	s_mov_b32 s12, exec_lo
	v_cmpx_gt_u32_e32 8, v11
; %bb.1003:                             ;   in Loop: Header=BB253_991 Depth=1
	v_ffbh_u32_e32 v7, v5
	v_min_u32_e32 v7, 32, v7
	v_subrev_nc_u32_e32 v9, 28, v7
	v_sub_nc_u32_e32 v7, 29, v7
	v_lshlrev_b64 v[11:12], v9, v[5:6]
	v_and_b32_e32 v5, 7, v11
; %bb.1004:                             ;   in Loop: Header=BB253_991 Depth=1
	s_or_b32 exec_lo, exec_lo, s12
	v_lshlrev_b32_e32 v9, 16, v4
	v_lshlrev_b32_e32 v5, 20, v5
	v_lshl_add_u32 v7, v7, 23, 0x3c000000
	v_mov_b32_e32 v19, v6
	v_and_b32_e32 v9, 0x80000000, v9
	v_or3_b32 v20, v5, v9, v7
.LBB253_1005:                           ;   in Loop: Header=BB253_991 Depth=1
	s_or_b32 exec_lo, exec_lo, s11
.LBB253_1006:                           ;   in Loop: Header=BB253_991 Depth=1
	s_or_b32 exec_lo, exec_lo, s9
.LBB253_1007:                           ;   in Loop: Header=BB253_991 Depth=1
	s_or_b32 exec_lo, exec_lo, s4
	v_mov_b32_e32 v23, 0
	v_mov_b32_e32 v21, 0
	v_and_b32_sdwa v5, v4, v96 dst_sel:DWORD dst_unused:UNUSED_PAD src0_sel:WORD_1 src1_sel:DWORD
	v_mov_b32_e32 v24, 0
	v_mov_b32_e32 v22, 0
	s_mov_b32 s4, exec_lo
	v_cmpx_ne_u16_e32 0, v5
	s_cbranch_execz .LBB253_1015
; %bb.1008:                             ;   in Loop: Header=BB253_991 Depth=1
	v_bfrev_b32_e32 v21, 1
	v_mov_b32_e32 v22, 0
	s_mov_b32 s9, exec_lo
	v_cmpx_ne_u16_e32 0x80, v5
	s_cbranch_execz .LBB253_1014
; %bb.1009:                             ;   in Loop: Header=BB253_991 Depth=1
	v_mov_b32_e32 v21, 0x7f800001
	v_bfe_u32 v9, v4, 16, 7
	v_mov_b32_e32 v22, 0
	s_mov_b32 s11, exec_lo
	v_cmpx_ne_u32_e32 0x7f, v9
	s_cbranch_execz .LBB253_1013
; %bb.1010:                             ;   in Loop: Header=BB253_991 Depth=1
	v_mov_b32_e32 v5, 7
	v_lshrrev_b32_e32 v7, 3, v9
	s_mov_b32 s12, exec_lo
	v_and_b32_sdwa v5, v4, v5 dst_sel:DWORD dst_unused:UNUSED_PAD src0_sel:WORD_1 src1_sel:DWORD
	v_cmpx_gt_u32_e32 8, v9
; %bb.1011:                             ;   in Loop: Header=BB253_991 Depth=1
	v_ffbh_u32_e32 v7, v5
	v_min_u32_e32 v7, 32, v7
	v_subrev_nc_u32_e32 v9, 28, v7
	v_sub_nc_u32_e32 v7, 29, v7
	v_lshlrev_b64 v[11:12], v9, v[5:6]
	v_and_b32_e32 v5, 7, v11
; %bb.1012:                             ;   in Loop: Header=BB253_991 Depth=1
	s_or_b32 exec_lo, exec_lo, s12
	v_mov_b32_e32 v9, 24
	v_lshlrev_b32_e32 v5, 20, v5
	v_lshl_add_u32 v7, v7, 23, 0x3c000000
	v_lshlrev_b32_sdwa v9, v9, v4 dst_sel:DWORD dst_unused:UNUSED_PAD src0_sel:DWORD src1_sel:WORD_1
	v_and_b32_e32 v9, 0x80000000, v9
	v_or3_b32 v5, v5, v9, v7
	v_mov_b32_e32 v22, v6
	v_mov_b32_e32 v21, v5
.LBB253_1013:                           ;   in Loop: Header=BB253_991 Depth=1
	s_or_b32 exec_lo, exec_lo, s11
.LBB253_1014:                           ;   in Loop: Header=BB253_991 Depth=1
	s_or_b32 exec_lo, exec_lo, s9
.LBB253_1015:                           ;   in Loop: Header=BB253_991 Depth=1
	s_or_b32 exec_lo, exec_lo, s4
	s_mov_b32 s4, exec_lo
	v_cmpx_lt_u32_e32 0xffffff, v4
	s_cbranch_execz .LBB253_1023
; %bb.1016:                             ;   in Loop: Header=BB253_991 Depth=1
	v_mov_b32_e32 v7, v6
	v_mov_b32_e32 v24, v8
	v_cmp_ne_u32_sdwa s11, v4, v86 src0_sel:BYTE_3 src1_sel:DWORD
	v_mov_b32_e32 v23, v7
	s_and_saveexec_b32 s9, s11
	s_cbranch_execz .LBB253_1022
; %bb.1017:                             ;   in Loop: Header=BB253_991 Depth=1
	v_mov_b32_e32 v9, v6
	v_mov_b32_e32 v24, v10
	v_bfe_u32 v11, v4, 24, 7
	s_mov_b32 s11, exec_lo
	v_mov_b32_e32 v23, v9
	v_cmpx_ne_u32_e32 0x7f, v11
	s_cbranch_execz .LBB253_1021
; %bb.1018:                             ;   in Loop: Header=BB253_991 Depth=1
	v_mov_b32_e32 v5, 7
	v_lshrrev_b32_e32 v7, 3, v11
	s_mov_b32 s12, exec_lo
	v_and_b32_sdwa v5, v4, v5 dst_sel:DWORD dst_unused:UNUSED_PAD src0_sel:BYTE_3 src1_sel:DWORD
	v_cmpx_gt_u32_e32 8, v11
; %bb.1019:                             ;   in Loop: Header=BB253_991 Depth=1
	v_ffbh_u32_e32 v7, v5
	v_min_u32_e32 v7, 32, v7
	v_subrev_nc_u32_e32 v9, 28, v7
	v_sub_nc_u32_e32 v7, 29, v7
	v_lshlrev_b64 v[11:12], v9, v[5:6]
	v_and_b32_e32 v5, 7, v11
; %bb.1020:                             ;   in Loop: Header=BB253_991 Depth=1
	s_or_b32 exec_lo, exec_lo, s12
	v_mov_b32_e32 v9, 24
	v_lshlrev_b32_e32 v5, 20, v5
	v_lshl_add_u32 v7, v7, 23, 0x3c000000
	v_mov_b32_e32 v23, v6
	v_lshlrev_b32_sdwa v4, v9, v4 dst_sel:DWORD dst_unused:UNUSED_PAD src0_sel:DWORD src1_sel:BYTE_3
	v_and_b32_e32 v4, 0x80000000, v4
	v_or3_b32 v24, v5, v4, v7
.LBB253_1021:                           ;   in Loop: Header=BB253_991 Depth=1
	s_or_b32 exec_lo, exec_lo, s11
.LBB253_1022:                           ;   in Loop: Header=BB253_991 Depth=1
	s_or_b32 exec_lo, exec_lo, s9
.LBB253_1023:                           ;   in Loop: Header=BB253_991 Depth=1
	s_or_b32 exec_lo, exec_lo, s4
	s_clause 0x1
	buffer_load_dword v11, off, s[0:3], s32 offset:192
	buffer_load_dword v12, off, s[0:3], s32 offset:196
	v_or_b32_e32 v4, v20, v18
	v_or_b32_e32 v5, v19, v17
	v_or_b32_e32 v7, v23, v21
	v_or_b32_e32 v9, v24, v22
	v_add_nc_u32_e32 v117, -3, v33
	v_mul_f32_e32 v4, v100, v4
	v_add_nc_u32_e32 v119, -2, v33
	v_add_nc_u32_e32 v118, -1, v33
	buffer_store_dword v4, off, s[0:3], s32 offset:216 ; 4-byte Folded Spill
	v_mul_f32_e32 v4, v84, v5
	buffer_store_dword v4, off, s[0:3], s32 offset:224 ; 4-byte Folded Spill
	v_mul_f32_e32 v4, v84, v7
	;; [unrolled: 2-line block ×3, first 2 shown]
	buffer_store_dword v4, off, s[0:3], s32 offset:200 ; 4-byte Folded Spill
	s_waitcnt vmcnt(1)
	v_cmp_eq_u32_e32 vcc_lo, v122, v11
	s_and_saveexec_b32 s9, vcc_lo
	s_cbranch_execz .LBB253_1025
; %bb.1024:                             ;   in Loop: Header=BB253_991 Depth=1
	buffer_load_dword v4, off, s[0:3], s32 offset:224 ; 4-byte Folded Reload
	v_cmp_lt_i32_e64 s4, v117, v32
	s_waitcnt vmcnt(0)
	v_cndmask_b32_e64 v4, 0, v4, s4
	v_cmp_lt_i32_e64 s4, v119, v32
	buffer_store_dword v4, off, s[0:3], s32 offset:224 ; 4-byte Folded Spill
	buffer_load_dword v4, off, s[0:3], s32 offset:216 ; 4-byte Folded Reload
	s_waitcnt vmcnt(0)
	v_cndmask_b32_e64 v4, 0, v4, s4
	v_cmp_lt_i32_e64 s4, v118, v32
	buffer_store_dword v4, off, s[0:3], s32 offset:216 ; 4-byte Folded Spill
	buffer_load_dword v4, off, s[0:3], s32 offset:208 ; 4-byte Folded Reload
	;; [unrolled: 5-line block ×3, first 2 shown]
	s_waitcnt vmcnt(0)
	v_cndmask_b32_e64 v4, 0, v4, s4
	buffer_store_dword v4, off, s[0:3], s32 offset:200 ; 4-byte Folded Spill
.LBB253_1025:                           ;   in Loop: Header=BB253_991 Depth=1
	s_or_b32 exec_lo, exec_lo, s9
	flat_load_dword v4, v[15:16] offset:128
	v_mov_b32_e32 v19, 0
	v_mov_b32_e32 v17, 0
	v_mov_b32_e32 v20, 0
	v_mov_b32_e32 v18, 0
	s_waitcnt vmcnt(0) lgkmcnt(0)
	v_cmp_ne_u16_sdwa s4, v4, v6 src0_sel:BYTE_0 src1_sel:DWORD
	s_and_saveexec_b32 s9, s4
	s_cbranch_execz .LBB253_1033
; %bb.1026:                             ;   in Loop: Header=BB253_991 Depth=1
	v_bfrev_b32_e32 v17, 1
	v_mov_b32_e32 v18, 0
	v_cmp_ne_u16_sdwa s4, v4, v86 src0_sel:BYTE_0 src1_sel:DWORD
	s_and_saveexec_b32 s11, s4
	s_cbranch_execz .LBB253_1032
; %bb.1027:                             ;   in Loop: Header=BB253_991 Depth=1
	v_mov_b32_e32 v17, 0x7f800001
	v_and_b32_e32 v9, 0x7f, v4
	v_mov_b32_e32 v18, 0
	s_mov_b32 s12, exec_lo
	v_cmpx_ne_u32_e32 0x7f, v9
	s_cbranch_execz .LBB253_1031
; %bb.1028:                             ;   in Loop: Header=BB253_991 Depth=1
	v_and_b32_e32 v5, 7, v4
	v_lshrrev_b32_e32 v7, 3, v9
	s_mov_b32 s13, exec_lo
	v_cmpx_gt_u32_e32 8, v9
; %bb.1029:                             ;   in Loop: Header=BB253_991 Depth=1
	v_ffbh_u32_e32 v7, v5
	v_min_u32_e32 v7, 32, v7
	v_subrev_nc_u32_e32 v9, 28, v7
	v_sub_nc_u32_e32 v7, 29, v7
	v_lshlrev_b64 v[11:12], v9, v[5:6]
	v_and_b32_e32 v5, 7, v11
; %bb.1030:                             ;   in Loop: Header=BB253_991 Depth=1
	s_or_b32 exec_lo, exec_lo, s13
	v_lshlrev_b32_e32 v9, 24, v4
	v_lshlrev_b32_e32 v5, 20, v5
	v_lshl_add_u32 v7, v7, 23, 0x3c000000
	v_and_b32_e32 v9, 0x80000000, v9
	v_or3_b32 v5, v5, v9, v7
	v_mov_b32_e32 v18, v6
	v_mov_b32_e32 v17, v5
.LBB253_1031:                           ;   in Loop: Header=BB253_991 Depth=1
	s_or_b32 exec_lo, exec_lo, s12
.LBB253_1032:                           ;   in Loop: Header=BB253_991 Depth=1
	s_or_b32 exec_lo, exec_lo, s11
.LBB253_1033:                           ;   in Loop: Header=BB253_991 Depth=1
	s_or_b32 exec_lo, exec_lo, s9
	v_cmp_ne_u16_sdwa s4, v4, v6 src0_sel:BYTE_1 src1_sel:DWORD
	s_and_saveexec_b32 s9, s4
	s_cbranch_execz .LBB253_1041
; %bb.1034:                             ;   in Loop: Header=BB253_991 Depth=1
	v_mov_b32_e32 v7, v6
	v_mov_b32_e32 v20, v8
	v_cmp_ne_u16_sdwa s4, v4, v86 src0_sel:BYTE_1 src1_sel:DWORD
	v_mov_b32_e32 v19, v7
	s_and_saveexec_b32 s11, s4
	s_cbranch_execz .LBB253_1040
; %bb.1035:                             ;   in Loop: Header=BB253_991 Depth=1
	v_mov_b32_e32 v5, 0xffff
	v_mov_b32_e32 v9, v6
	v_mov_b32_e32 v20, v10
	s_mov_b32 s12, exec_lo
	v_and_b32_sdwa v5, v5, v4 dst_sel:DWORD dst_unused:UNUSED_PAD src0_sel:DWORD src1_sel:BYTE_1
	v_mov_b32_e32 v19, v9
	v_and_b32_e32 v11, 0x7f, v5
	v_cmpx_ne_u32_e32 0x7f, v11
	s_cbranch_execz .LBB253_1039
; %bb.1036:                             ;   in Loop: Header=BB253_991 Depth=1
	v_and_b32_e32 v5, 7, v5
	v_lshrrev_b32_e32 v7, 3, v11
	s_mov_b32 s13, exec_lo
	v_cmpx_gt_u32_e32 8, v11
; %bb.1037:                             ;   in Loop: Header=BB253_991 Depth=1
	v_ffbh_u32_e32 v7, v5
	v_min_u32_e32 v7, 32, v7
	v_subrev_nc_u32_e32 v9, 28, v7
	v_sub_nc_u32_e32 v7, 29, v7
	v_lshlrev_b64 v[11:12], v9, v[5:6]
	v_and_b32_e32 v5, 7, v11
; %bb.1038:                             ;   in Loop: Header=BB253_991 Depth=1
	s_or_b32 exec_lo, exec_lo, s13
	v_lshlrev_b32_e32 v9, 16, v4
	v_lshlrev_b32_e32 v5, 20, v5
	v_lshl_add_u32 v7, v7, 23, 0x3c000000
	v_mov_b32_e32 v19, v6
	v_and_b32_e32 v9, 0x80000000, v9
	v_or3_b32 v20, v5, v9, v7
.LBB253_1039:                           ;   in Loop: Header=BB253_991 Depth=1
	s_or_b32 exec_lo, exec_lo, s12
.LBB253_1040:                           ;   in Loop: Header=BB253_991 Depth=1
	s_or_b32 exec_lo, exec_lo, s11
.LBB253_1041:                           ;   in Loop: Header=BB253_991 Depth=1
	s_or_b32 exec_lo, exec_lo, s9
	v_mov_b32_e32 v23, 0
	v_mov_b32_e32 v21, 0
	v_and_b32_sdwa v5, v4, v96 dst_sel:DWORD dst_unused:UNUSED_PAD src0_sel:WORD_1 src1_sel:DWORD
	v_mov_b32_e32 v24, 0
	v_mov_b32_e32 v22, 0
	s_mov_b32 s9, exec_lo
	v_cmpx_ne_u16_e32 0, v5
	s_cbranch_execz .LBB253_1049
; %bb.1042:                             ;   in Loop: Header=BB253_991 Depth=1
	v_bfrev_b32_e32 v21, 1
	v_mov_b32_e32 v22, 0
	s_mov_b32 s11, exec_lo
	v_cmpx_ne_u16_e32 0x80, v5
	s_cbranch_execz .LBB253_1048
; %bb.1043:                             ;   in Loop: Header=BB253_991 Depth=1
	v_mov_b32_e32 v21, 0x7f800001
	v_bfe_u32 v9, v4, 16, 7
	v_mov_b32_e32 v22, 0
	s_mov_b32 s12, exec_lo
	v_cmpx_ne_u32_e32 0x7f, v9
	s_cbranch_execz .LBB253_1047
; %bb.1044:                             ;   in Loop: Header=BB253_991 Depth=1
	v_mov_b32_e32 v5, 7
	v_lshrrev_b32_e32 v7, 3, v9
	s_mov_b32 s13, exec_lo
	v_and_b32_sdwa v5, v4, v5 dst_sel:DWORD dst_unused:UNUSED_PAD src0_sel:WORD_1 src1_sel:DWORD
	v_cmpx_gt_u32_e32 8, v9
; %bb.1045:                             ;   in Loop: Header=BB253_991 Depth=1
	v_ffbh_u32_e32 v7, v5
	v_min_u32_e32 v7, 32, v7
	v_subrev_nc_u32_e32 v9, 28, v7
	v_sub_nc_u32_e32 v7, 29, v7
	v_lshlrev_b64 v[11:12], v9, v[5:6]
	v_and_b32_e32 v5, 7, v11
; %bb.1046:                             ;   in Loop: Header=BB253_991 Depth=1
	s_or_b32 exec_lo, exec_lo, s13
	v_mov_b32_e32 v9, 24
	v_lshlrev_b32_e32 v5, 20, v5
	v_lshl_add_u32 v7, v7, 23, 0x3c000000
	v_lshlrev_b32_sdwa v9, v9, v4 dst_sel:DWORD dst_unused:UNUSED_PAD src0_sel:DWORD src1_sel:WORD_1
	v_and_b32_e32 v9, 0x80000000, v9
	v_or3_b32 v5, v5, v9, v7
	v_mov_b32_e32 v22, v6
	v_mov_b32_e32 v21, v5
.LBB253_1047:                           ;   in Loop: Header=BB253_991 Depth=1
	s_or_b32 exec_lo, exec_lo, s12
.LBB253_1048:                           ;   in Loop: Header=BB253_991 Depth=1
	s_or_b32 exec_lo, exec_lo, s11
.LBB253_1049:                           ;   in Loop: Header=BB253_991 Depth=1
	s_or_b32 exec_lo, exec_lo, s9
	s_mov_b32 s9, exec_lo
	v_cmpx_lt_u32_e32 0xffffff, v4
	s_cbranch_execz .LBB253_1057
; %bb.1050:                             ;   in Loop: Header=BB253_991 Depth=1
	v_mov_b32_e32 v7, v6
	v_mov_b32_e32 v24, v8
	v_cmp_ne_u32_sdwa s4, v4, v86 src0_sel:BYTE_3 src1_sel:DWORD
	v_mov_b32_e32 v23, v7
	s_and_saveexec_b32 s11, s4
	s_cbranch_execz .LBB253_1056
; %bb.1051:                             ;   in Loop: Header=BB253_991 Depth=1
	v_mov_b32_e32 v9, v6
	v_mov_b32_e32 v24, v10
	v_bfe_u32 v11, v4, 24, 7
	s_mov_b32 s12, exec_lo
	v_mov_b32_e32 v23, v9
	v_cmpx_ne_u32_e32 0x7f, v11
	s_cbranch_execz .LBB253_1055
; %bb.1052:                             ;   in Loop: Header=BB253_991 Depth=1
	v_mov_b32_e32 v5, 7
	v_lshrrev_b32_e32 v7, 3, v11
	s_mov_b32 s13, exec_lo
	v_and_b32_sdwa v5, v4, v5 dst_sel:DWORD dst_unused:UNUSED_PAD src0_sel:BYTE_3 src1_sel:DWORD
	v_cmpx_gt_u32_e32 8, v11
; %bb.1053:                             ;   in Loop: Header=BB253_991 Depth=1
	v_ffbh_u32_e32 v7, v5
	v_min_u32_e32 v7, 32, v7
	v_subrev_nc_u32_e32 v9, 28, v7
	v_sub_nc_u32_e32 v7, 29, v7
	v_lshlrev_b64 v[11:12], v9, v[5:6]
	v_and_b32_e32 v5, 7, v11
; %bb.1054:                             ;   in Loop: Header=BB253_991 Depth=1
	s_or_b32 exec_lo, exec_lo, s13
	v_mov_b32_e32 v9, 24
	v_lshlrev_b32_e32 v5, 20, v5
	v_lshl_add_u32 v7, v7, 23, 0x3c000000
	v_mov_b32_e32 v23, v6
	v_lshlrev_b32_sdwa v4, v9, v4 dst_sel:DWORD dst_unused:UNUSED_PAD src0_sel:DWORD src1_sel:BYTE_3
	v_and_b32_e32 v4, 0x80000000, v4
	v_or3_b32 v24, v5, v4, v7
.LBB253_1055:                           ;   in Loop: Header=BB253_991 Depth=1
	s_or_b32 exec_lo, exec_lo, s12
.LBB253_1056:                           ;   in Loop: Header=BB253_991 Depth=1
	s_or_b32 exec_lo, exec_lo, s11
.LBB253_1057:                           ;   in Loop: Header=BB253_991 Depth=1
	s_or_b32 exec_lo, exec_lo, s9
	v_or_b32_e32 v4, v20, v18
	v_or_b32_e32 v5, v19, v17
	;; [unrolled: 1-line block ×4, first 2 shown]
	v_mul_f32_e32 v4, v100, v4
	buffer_store_dword v4, off, s[0:3], s32 offset:248 ; 4-byte Folded Spill
	v_mul_f32_e32 v4, v84, v5
	buffer_store_dword v4, off, s[0:3], s32 offset:256 ; 4-byte Folded Spill
	;; [unrolled: 2-line block ×4, first 2 shown]
	s_and_saveexec_b32 s9, vcc_lo
	s_cbranch_execz .LBB253_1059
; %bb.1058:                             ;   in Loop: Header=BB253_991 Depth=1
	buffer_load_dword v4, off, s[0:3], s32 offset:256 ; 4-byte Folded Reload
	v_cmp_lt_i32_e64 s4, v117, v32
	s_waitcnt vmcnt(0)
	v_cndmask_b32_e64 v4, 0, v4, s4
	v_cmp_lt_i32_e64 s4, v119, v32
	buffer_store_dword v4, off, s[0:3], s32 offset:256 ; 4-byte Folded Spill
	buffer_load_dword v4, off, s[0:3], s32 offset:248 ; 4-byte Folded Reload
	s_waitcnt vmcnt(0)
	v_cndmask_b32_e64 v4, 0, v4, s4
	v_cmp_lt_i32_e64 s4, v118, v32
	buffer_store_dword v4, off, s[0:3], s32 offset:248 ; 4-byte Folded Spill
	buffer_load_dword v4, off, s[0:3], s32 offset:240 ; 4-byte Folded Reload
	;; [unrolled: 5-line block ×3, first 2 shown]
	s_waitcnt vmcnt(0)
	v_cndmask_b32_e64 v4, 0, v4, s4
	buffer_store_dword v4, off, s[0:3], s32 offset:232 ; 4-byte Folded Spill
.LBB253_1059:                           ;   in Loop: Header=BB253_991 Depth=1
	s_or_b32 exec_lo, exec_lo, s9
	flat_load_dword v4, v[15:16] offset:256
	v_mov_b32_e32 v19, 0
	v_mov_b32_e32 v17, 0
	;; [unrolled: 1-line block ×4, first 2 shown]
	s_waitcnt vmcnt(0) lgkmcnt(0)
	v_cmp_ne_u16_sdwa s4, v4, v6 src0_sel:BYTE_0 src1_sel:DWORD
	s_and_saveexec_b32 s9, s4
	s_cbranch_execz .LBB253_1067
; %bb.1060:                             ;   in Loop: Header=BB253_991 Depth=1
	v_bfrev_b32_e32 v17, 1
	v_mov_b32_e32 v18, 0
	v_cmp_ne_u16_sdwa s4, v4, v86 src0_sel:BYTE_0 src1_sel:DWORD
	s_and_saveexec_b32 s11, s4
	s_cbranch_execz .LBB253_1066
; %bb.1061:                             ;   in Loop: Header=BB253_991 Depth=1
	v_mov_b32_e32 v17, 0x7f800001
	v_and_b32_e32 v9, 0x7f, v4
	v_mov_b32_e32 v18, 0
	s_mov_b32 s12, exec_lo
	v_cmpx_ne_u32_e32 0x7f, v9
	s_cbranch_execz .LBB253_1065
; %bb.1062:                             ;   in Loop: Header=BB253_991 Depth=1
	v_and_b32_e32 v5, 7, v4
	v_lshrrev_b32_e32 v7, 3, v9
	s_mov_b32 s13, exec_lo
	v_cmpx_gt_u32_e32 8, v9
; %bb.1063:                             ;   in Loop: Header=BB253_991 Depth=1
	v_ffbh_u32_e32 v7, v5
	v_min_u32_e32 v7, 32, v7
	v_subrev_nc_u32_e32 v9, 28, v7
	v_sub_nc_u32_e32 v7, 29, v7
	v_lshlrev_b64 v[11:12], v9, v[5:6]
	v_and_b32_e32 v5, 7, v11
; %bb.1064:                             ;   in Loop: Header=BB253_991 Depth=1
	s_or_b32 exec_lo, exec_lo, s13
	v_lshlrev_b32_e32 v9, 24, v4
	v_lshlrev_b32_e32 v5, 20, v5
	v_lshl_add_u32 v7, v7, 23, 0x3c000000
	v_and_b32_e32 v9, 0x80000000, v9
	v_or3_b32 v5, v5, v9, v7
	v_mov_b32_e32 v18, v6
	v_mov_b32_e32 v17, v5
.LBB253_1065:                           ;   in Loop: Header=BB253_991 Depth=1
	s_or_b32 exec_lo, exec_lo, s12
.LBB253_1066:                           ;   in Loop: Header=BB253_991 Depth=1
	s_or_b32 exec_lo, exec_lo, s11
.LBB253_1067:                           ;   in Loop: Header=BB253_991 Depth=1
	s_or_b32 exec_lo, exec_lo, s9
	v_cmp_ne_u16_sdwa s4, v4, v6 src0_sel:BYTE_1 src1_sel:DWORD
	s_and_saveexec_b32 s9, s4
	s_cbranch_execz .LBB253_1075
; %bb.1068:                             ;   in Loop: Header=BB253_991 Depth=1
	v_mov_b32_e32 v7, v6
	v_mov_b32_e32 v20, v8
	v_cmp_ne_u16_sdwa s4, v4, v86 src0_sel:BYTE_1 src1_sel:DWORD
	v_mov_b32_e32 v19, v7
	s_and_saveexec_b32 s11, s4
	s_cbranch_execz .LBB253_1074
; %bb.1069:                             ;   in Loop: Header=BB253_991 Depth=1
	v_mov_b32_e32 v5, 0xffff
	v_mov_b32_e32 v9, v6
	;; [unrolled: 1-line block ×3, first 2 shown]
	s_mov_b32 s12, exec_lo
	v_and_b32_sdwa v5, v5, v4 dst_sel:DWORD dst_unused:UNUSED_PAD src0_sel:DWORD src1_sel:BYTE_1
	v_mov_b32_e32 v19, v9
	v_and_b32_e32 v11, 0x7f, v5
	v_cmpx_ne_u32_e32 0x7f, v11
	s_cbranch_execz .LBB253_1073
; %bb.1070:                             ;   in Loop: Header=BB253_991 Depth=1
	v_and_b32_e32 v5, 7, v5
	v_lshrrev_b32_e32 v7, 3, v11
	s_mov_b32 s13, exec_lo
	v_cmpx_gt_u32_e32 8, v11
; %bb.1071:                             ;   in Loop: Header=BB253_991 Depth=1
	v_ffbh_u32_e32 v7, v5
	v_min_u32_e32 v7, 32, v7
	v_subrev_nc_u32_e32 v9, 28, v7
	v_sub_nc_u32_e32 v7, 29, v7
	v_lshlrev_b64 v[11:12], v9, v[5:6]
	v_and_b32_e32 v5, 7, v11
; %bb.1072:                             ;   in Loop: Header=BB253_991 Depth=1
	s_or_b32 exec_lo, exec_lo, s13
	v_lshlrev_b32_e32 v9, 16, v4
	v_lshlrev_b32_e32 v5, 20, v5
	v_lshl_add_u32 v7, v7, 23, 0x3c000000
	v_mov_b32_e32 v19, v6
	v_and_b32_e32 v9, 0x80000000, v9
	v_or3_b32 v20, v5, v9, v7
.LBB253_1073:                           ;   in Loop: Header=BB253_991 Depth=1
	s_or_b32 exec_lo, exec_lo, s12
.LBB253_1074:                           ;   in Loop: Header=BB253_991 Depth=1
	s_or_b32 exec_lo, exec_lo, s11
.LBB253_1075:                           ;   in Loop: Header=BB253_991 Depth=1
	s_or_b32 exec_lo, exec_lo, s9
	v_mov_b32_e32 v23, 0
	v_mov_b32_e32 v21, 0
	v_and_b32_sdwa v5, v4, v96 dst_sel:DWORD dst_unused:UNUSED_PAD src0_sel:WORD_1 src1_sel:DWORD
	v_mov_b32_e32 v24, 0
	v_mov_b32_e32 v22, 0
	s_mov_b32 s9, exec_lo
	v_cmpx_ne_u16_e32 0, v5
	s_cbranch_execz .LBB253_1083
; %bb.1076:                             ;   in Loop: Header=BB253_991 Depth=1
	v_bfrev_b32_e32 v21, 1
	v_mov_b32_e32 v22, 0
	s_mov_b32 s11, exec_lo
	v_cmpx_ne_u16_e32 0x80, v5
	s_cbranch_execz .LBB253_1082
; %bb.1077:                             ;   in Loop: Header=BB253_991 Depth=1
	v_mov_b32_e32 v21, 0x7f800001
	v_bfe_u32 v9, v4, 16, 7
	v_mov_b32_e32 v22, 0
	s_mov_b32 s12, exec_lo
	v_cmpx_ne_u32_e32 0x7f, v9
	s_cbranch_execz .LBB253_1081
; %bb.1078:                             ;   in Loop: Header=BB253_991 Depth=1
	v_mov_b32_e32 v5, 7
	v_lshrrev_b32_e32 v7, 3, v9
	s_mov_b32 s13, exec_lo
	v_and_b32_sdwa v5, v4, v5 dst_sel:DWORD dst_unused:UNUSED_PAD src0_sel:WORD_1 src1_sel:DWORD
	v_cmpx_gt_u32_e32 8, v9
; %bb.1079:                             ;   in Loop: Header=BB253_991 Depth=1
	v_ffbh_u32_e32 v7, v5
	v_min_u32_e32 v7, 32, v7
	v_subrev_nc_u32_e32 v9, 28, v7
	v_sub_nc_u32_e32 v7, 29, v7
	v_lshlrev_b64 v[11:12], v9, v[5:6]
	v_and_b32_e32 v5, 7, v11
; %bb.1080:                             ;   in Loop: Header=BB253_991 Depth=1
	s_or_b32 exec_lo, exec_lo, s13
	v_mov_b32_e32 v9, 24
	v_lshlrev_b32_e32 v5, 20, v5
	v_lshl_add_u32 v7, v7, 23, 0x3c000000
	v_lshlrev_b32_sdwa v9, v9, v4 dst_sel:DWORD dst_unused:UNUSED_PAD src0_sel:DWORD src1_sel:WORD_1
	v_and_b32_e32 v9, 0x80000000, v9
	v_or3_b32 v5, v5, v9, v7
	v_mov_b32_e32 v22, v6
	v_mov_b32_e32 v21, v5
.LBB253_1081:                           ;   in Loop: Header=BB253_991 Depth=1
	s_or_b32 exec_lo, exec_lo, s12
.LBB253_1082:                           ;   in Loop: Header=BB253_991 Depth=1
	s_or_b32 exec_lo, exec_lo, s11
.LBB253_1083:                           ;   in Loop: Header=BB253_991 Depth=1
	s_or_b32 exec_lo, exec_lo, s9
	s_mov_b32 s9, exec_lo
	v_cmpx_lt_u32_e32 0xffffff, v4
	s_cbranch_execz .LBB253_1091
; %bb.1084:                             ;   in Loop: Header=BB253_991 Depth=1
	v_mov_b32_e32 v7, v6
	v_mov_b32_e32 v24, v8
	v_cmp_ne_u32_sdwa s4, v4, v86 src0_sel:BYTE_3 src1_sel:DWORD
	v_mov_b32_e32 v23, v7
	s_and_saveexec_b32 s11, s4
	s_cbranch_execz .LBB253_1090
; %bb.1085:                             ;   in Loop: Header=BB253_991 Depth=1
	v_mov_b32_e32 v9, v6
	v_mov_b32_e32 v24, v10
	v_bfe_u32 v11, v4, 24, 7
	s_mov_b32 s12, exec_lo
	v_mov_b32_e32 v23, v9
	v_cmpx_ne_u32_e32 0x7f, v11
	s_cbranch_execz .LBB253_1089
; %bb.1086:                             ;   in Loop: Header=BB253_991 Depth=1
	v_mov_b32_e32 v5, 7
	v_lshrrev_b32_e32 v7, 3, v11
	s_mov_b32 s13, exec_lo
	v_and_b32_sdwa v5, v4, v5 dst_sel:DWORD dst_unused:UNUSED_PAD src0_sel:BYTE_3 src1_sel:DWORD
	v_cmpx_gt_u32_e32 8, v11
; %bb.1087:                             ;   in Loop: Header=BB253_991 Depth=1
	v_ffbh_u32_e32 v7, v5
	v_min_u32_e32 v7, 32, v7
	v_subrev_nc_u32_e32 v9, 28, v7
	v_sub_nc_u32_e32 v7, 29, v7
	v_lshlrev_b64 v[11:12], v9, v[5:6]
	v_and_b32_e32 v5, 7, v11
; %bb.1088:                             ;   in Loop: Header=BB253_991 Depth=1
	s_or_b32 exec_lo, exec_lo, s13
	v_mov_b32_e32 v9, 24
	v_lshlrev_b32_e32 v5, 20, v5
	v_lshl_add_u32 v7, v7, 23, 0x3c000000
	v_mov_b32_e32 v23, v6
	v_lshlrev_b32_sdwa v4, v9, v4 dst_sel:DWORD dst_unused:UNUSED_PAD src0_sel:DWORD src1_sel:BYTE_3
	v_and_b32_e32 v4, 0x80000000, v4
	v_or3_b32 v24, v5, v4, v7
.LBB253_1089:                           ;   in Loop: Header=BB253_991 Depth=1
	s_or_b32 exec_lo, exec_lo, s12
.LBB253_1090:                           ;   in Loop: Header=BB253_991 Depth=1
	s_or_b32 exec_lo, exec_lo, s11
.LBB253_1091:                           ;   in Loop: Header=BB253_991 Depth=1
	s_or_b32 exec_lo, exec_lo, s9
	v_or_b32_e32 v4, v20, v18
	v_or_b32_e32 v5, v19, v17
	;; [unrolled: 1-line block ×4, first 2 shown]
	v_mul_f32_e32 v4, v100, v4
	buffer_store_dword v4, off, s[0:3], s32 offset:280 ; 4-byte Folded Spill
	v_mul_f32_e32 v4, v84, v5
	buffer_store_dword v4, off, s[0:3], s32 offset:288 ; 4-byte Folded Spill
	;; [unrolled: 2-line block ×4, first 2 shown]
	s_and_saveexec_b32 s9, vcc_lo
	s_cbranch_execz .LBB253_1093
; %bb.1092:                             ;   in Loop: Header=BB253_991 Depth=1
	buffer_load_dword v4, off, s[0:3], s32 offset:288 ; 4-byte Folded Reload
	v_cmp_lt_i32_e64 s4, v117, v32
	s_waitcnt vmcnt(0)
	v_cndmask_b32_e64 v4, 0, v4, s4
	v_cmp_lt_i32_e64 s4, v119, v32
	buffer_store_dword v4, off, s[0:3], s32 offset:288 ; 4-byte Folded Spill
	buffer_load_dword v4, off, s[0:3], s32 offset:280 ; 4-byte Folded Reload
	s_waitcnt vmcnt(0)
	v_cndmask_b32_e64 v4, 0, v4, s4
	v_cmp_lt_i32_e64 s4, v118, v32
	buffer_store_dword v4, off, s[0:3], s32 offset:280 ; 4-byte Folded Spill
	buffer_load_dword v4, off, s[0:3], s32 offset:272 ; 4-byte Folded Reload
	;; [unrolled: 5-line block ×3, first 2 shown]
	s_waitcnt vmcnt(0)
	v_cndmask_b32_e64 v4, 0, v4, s4
	buffer_store_dword v4, off, s[0:3], s32 offset:264 ; 4-byte Folded Spill
.LBB253_1093:                           ;   in Loop: Header=BB253_991 Depth=1
	s_or_b32 exec_lo, exec_lo, s9
	flat_load_dword v4, v[15:16] offset:384
	v_mov_b32_e32 v19, 0
	v_mov_b32_e32 v17, 0
	;; [unrolled: 1-line block ×4, first 2 shown]
	s_waitcnt vmcnt(0) lgkmcnt(0)
	v_cmp_ne_u16_sdwa s4, v4, v6 src0_sel:BYTE_0 src1_sel:DWORD
	s_and_saveexec_b32 s9, s4
	s_cbranch_execz .LBB253_1101
; %bb.1094:                             ;   in Loop: Header=BB253_991 Depth=1
	v_bfrev_b32_e32 v17, 1
	v_mov_b32_e32 v18, 0
	v_cmp_ne_u16_sdwa s4, v4, v86 src0_sel:BYTE_0 src1_sel:DWORD
	s_and_saveexec_b32 s11, s4
	s_cbranch_execz .LBB253_1100
; %bb.1095:                             ;   in Loop: Header=BB253_991 Depth=1
	v_mov_b32_e32 v17, 0x7f800001
	v_and_b32_e32 v9, 0x7f, v4
	v_mov_b32_e32 v18, 0
	s_mov_b32 s12, exec_lo
	v_cmpx_ne_u32_e32 0x7f, v9
	s_cbranch_execz .LBB253_1099
; %bb.1096:                             ;   in Loop: Header=BB253_991 Depth=1
	v_and_b32_e32 v5, 7, v4
	v_lshrrev_b32_e32 v7, 3, v9
	s_mov_b32 s13, exec_lo
	v_cmpx_gt_u32_e32 8, v9
; %bb.1097:                             ;   in Loop: Header=BB253_991 Depth=1
	v_ffbh_u32_e32 v7, v5
	v_min_u32_e32 v7, 32, v7
	v_subrev_nc_u32_e32 v9, 28, v7
	v_sub_nc_u32_e32 v7, 29, v7
	v_lshlrev_b64 v[11:12], v9, v[5:6]
	v_and_b32_e32 v5, 7, v11
; %bb.1098:                             ;   in Loop: Header=BB253_991 Depth=1
	s_or_b32 exec_lo, exec_lo, s13
	v_lshlrev_b32_e32 v9, 24, v4
	v_lshlrev_b32_e32 v5, 20, v5
	v_lshl_add_u32 v7, v7, 23, 0x3c000000
	v_and_b32_e32 v9, 0x80000000, v9
	v_or3_b32 v5, v5, v9, v7
	v_mov_b32_e32 v18, v6
	v_mov_b32_e32 v17, v5
.LBB253_1099:                           ;   in Loop: Header=BB253_991 Depth=1
	s_or_b32 exec_lo, exec_lo, s12
.LBB253_1100:                           ;   in Loop: Header=BB253_991 Depth=1
	s_or_b32 exec_lo, exec_lo, s11
.LBB253_1101:                           ;   in Loop: Header=BB253_991 Depth=1
	s_or_b32 exec_lo, exec_lo, s9
	v_cmp_ne_u16_sdwa s4, v4, v6 src0_sel:BYTE_1 src1_sel:DWORD
	s_and_saveexec_b32 s9, s4
	s_cbranch_execz .LBB253_1109
; %bb.1102:                             ;   in Loop: Header=BB253_991 Depth=1
	v_mov_b32_e32 v7, v6
	v_mov_b32_e32 v20, v8
	v_cmp_ne_u16_sdwa s4, v4, v86 src0_sel:BYTE_1 src1_sel:DWORD
	v_mov_b32_e32 v19, v7
	s_and_saveexec_b32 s11, s4
	s_cbranch_execz .LBB253_1108
; %bb.1103:                             ;   in Loop: Header=BB253_991 Depth=1
	v_mov_b32_e32 v5, 0xffff
	v_mov_b32_e32 v9, v6
	;; [unrolled: 1-line block ×3, first 2 shown]
	s_mov_b32 s12, exec_lo
	v_and_b32_sdwa v5, v5, v4 dst_sel:DWORD dst_unused:UNUSED_PAD src0_sel:DWORD src1_sel:BYTE_1
	v_mov_b32_e32 v19, v9
	v_and_b32_e32 v11, 0x7f, v5
	v_cmpx_ne_u32_e32 0x7f, v11
	s_cbranch_execz .LBB253_1107
; %bb.1104:                             ;   in Loop: Header=BB253_991 Depth=1
	v_and_b32_e32 v5, 7, v5
	v_lshrrev_b32_e32 v7, 3, v11
	s_mov_b32 s13, exec_lo
	v_cmpx_gt_u32_e32 8, v11
; %bb.1105:                             ;   in Loop: Header=BB253_991 Depth=1
	v_ffbh_u32_e32 v7, v5
	v_min_u32_e32 v7, 32, v7
	v_subrev_nc_u32_e32 v9, 28, v7
	v_sub_nc_u32_e32 v7, 29, v7
	v_lshlrev_b64 v[11:12], v9, v[5:6]
	v_and_b32_e32 v5, 7, v11
; %bb.1106:                             ;   in Loop: Header=BB253_991 Depth=1
	s_or_b32 exec_lo, exec_lo, s13
	v_lshlrev_b32_e32 v9, 16, v4
	v_lshlrev_b32_e32 v5, 20, v5
	v_lshl_add_u32 v7, v7, 23, 0x3c000000
	v_mov_b32_e32 v19, v6
	v_and_b32_e32 v9, 0x80000000, v9
	v_or3_b32 v20, v5, v9, v7
.LBB253_1107:                           ;   in Loop: Header=BB253_991 Depth=1
	s_or_b32 exec_lo, exec_lo, s12
.LBB253_1108:                           ;   in Loop: Header=BB253_991 Depth=1
	s_or_b32 exec_lo, exec_lo, s11
.LBB253_1109:                           ;   in Loop: Header=BB253_991 Depth=1
	s_or_b32 exec_lo, exec_lo, s9
	v_mov_b32_e32 v23, 0
	v_mov_b32_e32 v21, 0
	v_and_b32_sdwa v5, v4, v96 dst_sel:DWORD dst_unused:UNUSED_PAD src0_sel:WORD_1 src1_sel:DWORD
	v_mov_b32_e32 v24, 0
	v_mov_b32_e32 v22, 0
	s_mov_b32 s9, exec_lo
	v_cmpx_ne_u16_e32 0, v5
	s_cbranch_execz .LBB253_1117
; %bb.1110:                             ;   in Loop: Header=BB253_991 Depth=1
	v_bfrev_b32_e32 v21, 1
	v_mov_b32_e32 v22, 0
	s_mov_b32 s11, exec_lo
	v_cmpx_ne_u16_e32 0x80, v5
	s_cbranch_execz .LBB253_1116
; %bb.1111:                             ;   in Loop: Header=BB253_991 Depth=1
	v_mov_b32_e32 v21, 0x7f800001
	v_bfe_u32 v9, v4, 16, 7
	v_mov_b32_e32 v22, 0
	s_mov_b32 s12, exec_lo
	v_cmpx_ne_u32_e32 0x7f, v9
	s_cbranch_execz .LBB253_1115
; %bb.1112:                             ;   in Loop: Header=BB253_991 Depth=1
	v_mov_b32_e32 v5, 7
	v_lshrrev_b32_e32 v7, 3, v9
	s_mov_b32 s13, exec_lo
	v_and_b32_sdwa v5, v4, v5 dst_sel:DWORD dst_unused:UNUSED_PAD src0_sel:WORD_1 src1_sel:DWORD
	v_cmpx_gt_u32_e32 8, v9
; %bb.1113:                             ;   in Loop: Header=BB253_991 Depth=1
	v_ffbh_u32_e32 v7, v5
	v_min_u32_e32 v7, 32, v7
	v_subrev_nc_u32_e32 v9, 28, v7
	v_sub_nc_u32_e32 v7, 29, v7
	v_lshlrev_b64 v[11:12], v9, v[5:6]
	v_and_b32_e32 v5, 7, v11
; %bb.1114:                             ;   in Loop: Header=BB253_991 Depth=1
	s_or_b32 exec_lo, exec_lo, s13
	v_mov_b32_e32 v9, 24
	v_lshlrev_b32_e32 v5, 20, v5
	v_lshl_add_u32 v7, v7, 23, 0x3c000000
	v_lshlrev_b32_sdwa v9, v9, v4 dst_sel:DWORD dst_unused:UNUSED_PAD src0_sel:DWORD src1_sel:WORD_1
	v_and_b32_e32 v9, 0x80000000, v9
	v_or3_b32 v5, v5, v9, v7
	v_mov_b32_e32 v22, v6
	v_mov_b32_e32 v21, v5
.LBB253_1115:                           ;   in Loop: Header=BB253_991 Depth=1
	s_or_b32 exec_lo, exec_lo, s12
.LBB253_1116:                           ;   in Loop: Header=BB253_991 Depth=1
	s_or_b32 exec_lo, exec_lo, s11
.LBB253_1117:                           ;   in Loop: Header=BB253_991 Depth=1
	s_or_b32 exec_lo, exec_lo, s9
	s_mov_b32 s9, exec_lo
	v_cmpx_lt_u32_e32 0xffffff, v4
	s_cbranch_execz .LBB253_1125
; %bb.1118:                             ;   in Loop: Header=BB253_991 Depth=1
	v_mov_b32_e32 v7, v6
	v_mov_b32_e32 v24, v8
	v_cmp_ne_u32_sdwa s4, v4, v86 src0_sel:BYTE_3 src1_sel:DWORD
	v_mov_b32_e32 v23, v7
	s_and_saveexec_b32 s11, s4
	s_cbranch_execz .LBB253_1124
; %bb.1119:                             ;   in Loop: Header=BB253_991 Depth=1
	v_mov_b32_e32 v9, v6
	v_mov_b32_e32 v24, v10
	v_bfe_u32 v11, v4, 24, 7
	s_mov_b32 s12, exec_lo
	v_mov_b32_e32 v23, v9
	v_cmpx_ne_u32_e32 0x7f, v11
	s_cbranch_execz .LBB253_1123
; %bb.1120:                             ;   in Loop: Header=BB253_991 Depth=1
	v_mov_b32_e32 v5, 7
	v_lshrrev_b32_e32 v7, 3, v11
	s_mov_b32 s13, exec_lo
	v_and_b32_sdwa v5, v4, v5 dst_sel:DWORD dst_unused:UNUSED_PAD src0_sel:BYTE_3 src1_sel:DWORD
	v_cmpx_gt_u32_e32 8, v11
; %bb.1121:                             ;   in Loop: Header=BB253_991 Depth=1
	v_ffbh_u32_e32 v7, v5
	v_min_u32_e32 v7, 32, v7
	v_subrev_nc_u32_e32 v9, 28, v7
	v_sub_nc_u32_e32 v7, 29, v7
	v_lshlrev_b64 v[11:12], v9, v[5:6]
	v_and_b32_e32 v5, 7, v11
; %bb.1122:                             ;   in Loop: Header=BB253_991 Depth=1
	s_or_b32 exec_lo, exec_lo, s13
	v_mov_b32_e32 v9, 24
	v_lshlrev_b32_e32 v5, 20, v5
	v_lshl_add_u32 v7, v7, 23, 0x3c000000
	v_mov_b32_e32 v23, v6
	v_lshlrev_b32_sdwa v4, v9, v4 dst_sel:DWORD dst_unused:UNUSED_PAD src0_sel:DWORD src1_sel:BYTE_3
	v_and_b32_e32 v4, 0x80000000, v4
	v_or3_b32 v24, v5, v4, v7
.LBB253_1123:                           ;   in Loop: Header=BB253_991 Depth=1
	s_or_b32 exec_lo, exec_lo, s12
.LBB253_1124:                           ;   in Loop: Header=BB253_991 Depth=1
	s_or_b32 exec_lo, exec_lo, s11
.LBB253_1125:                           ;   in Loop: Header=BB253_991 Depth=1
	s_or_b32 exec_lo, exec_lo, s9
	v_or_b32_e32 v4, v20, v18
	v_or_b32_e32 v5, v19, v17
	;; [unrolled: 1-line block ×4, first 2 shown]
	v_mul_f32_e32 v4, v100, v4
	buffer_store_dword v4, off, s[0:3], s32 offset:320 ; 4-byte Folded Spill
	v_mul_f32_e32 v4, v84, v5
	buffer_store_dword v4, off, s[0:3], s32 offset:312 ; 4-byte Folded Spill
	;; [unrolled: 2-line block ×4, first 2 shown]
	s_and_saveexec_b32 s9, vcc_lo
	s_cbranch_execz .LBB253_1127
; %bb.1126:                             ;   in Loop: Header=BB253_991 Depth=1
	buffer_load_dword v4, off, s[0:3], s32 offset:312 ; 4-byte Folded Reload
	v_cmp_lt_i32_e64 s4, v117, v32
	s_waitcnt vmcnt(0)
	v_cndmask_b32_e64 v4, 0, v4, s4
	v_cmp_lt_i32_e64 s4, v119, v32
	buffer_store_dword v4, off, s[0:3], s32 offset:312 ; 4-byte Folded Spill
	buffer_load_dword v4, off, s[0:3], s32 offset:320 ; 4-byte Folded Reload
	s_waitcnt vmcnt(0)
	v_cndmask_b32_e64 v4, 0, v4, s4
	v_cmp_lt_i32_e64 s4, v118, v32
	buffer_store_dword v4, off, s[0:3], s32 offset:320 ; 4-byte Folded Spill
	buffer_load_dword v4, off, s[0:3], s32 offset:304 ; 4-byte Folded Reload
	;; [unrolled: 5-line block ×3, first 2 shown]
	s_waitcnt vmcnt(0)
	v_cndmask_b32_e64 v4, 0, v4, s4
	buffer_store_dword v4, off, s[0:3], s32 offset:296 ; 4-byte Folded Spill
.LBB253_1127:                           ;   in Loop: Header=BB253_991 Depth=1
	s_or_b32 exec_lo, exec_lo, s9
	flat_load_dword v4, v[15:16] offset:512
	v_mov_b32_e32 v19, 0
	v_mov_b32_e32 v17, 0
	;; [unrolled: 1-line block ×4, first 2 shown]
	s_waitcnt vmcnt(0) lgkmcnt(0)
	v_cmp_ne_u16_sdwa s4, v4, v6 src0_sel:BYTE_0 src1_sel:DWORD
	s_and_saveexec_b32 s9, s4
	s_cbranch_execz .LBB253_1135
; %bb.1128:                             ;   in Loop: Header=BB253_991 Depth=1
	v_bfrev_b32_e32 v17, 1
	v_mov_b32_e32 v18, 0
	v_cmp_ne_u16_sdwa s4, v4, v86 src0_sel:BYTE_0 src1_sel:DWORD
	s_and_saveexec_b32 s11, s4
	s_cbranch_execz .LBB253_1134
; %bb.1129:                             ;   in Loop: Header=BB253_991 Depth=1
	v_mov_b32_e32 v17, 0x7f800001
	v_and_b32_e32 v9, 0x7f, v4
	v_mov_b32_e32 v18, 0
	s_mov_b32 s12, exec_lo
	v_cmpx_ne_u32_e32 0x7f, v9
	s_cbranch_execz .LBB253_1133
; %bb.1130:                             ;   in Loop: Header=BB253_991 Depth=1
	v_and_b32_e32 v5, 7, v4
	v_lshrrev_b32_e32 v7, 3, v9
	s_mov_b32 s13, exec_lo
	v_cmpx_gt_u32_e32 8, v9
; %bb.1131:                             ;   in Loop: Header=BB253_991 Depth=1
	v_ffbh_u32_e32 v7, v5
	v_min_u32_e32 v7, 32, v7
	v_subrev_nc_u32_e32 v9, 28, v7
	v_sub_nc_u32_e32 v7, 29, v7
	v_lshlrev_b64 v[11:12], v9, v[5:6]
	v_and_b32_e32 v5, 7, v11
; %bb.1132:                             ;   in Loop: Header=BB253_991 Depth=1
	s_or_b32 exec_lo, exec_lo, s13
	v_lshlrev_b32_e32 v9, 24, v4
	v_lshlrev_b32_e32 v5, 20, v5
	v_lshl_add_u32 v7, v7, 23, 0x3c000000
	v_and_b32_e32 v9, 0x80000000, v9
	v_or3_b32 v5, v5, v9, v7
	v_mov_b32_e32 v18, v6
	v_mov_b32_e32 v17, v5
.LBB253_1133:                           ;   in Loop: Header=BB253_991 Depth=1
	s_or_b32 exec_lo, exec_lo, s12
.LBB253_1134:                           ;   in Loop: Header=BB253_991 Depth=1
	s_or_b32 exec_lo, exec_lo, s11
.LBB253_1135:                           ;   in Loop: Header=BB253_991 Depth=1
	s_or_b32 exec_lo, exec_lo, s9
	v_cmp_ne_u16_sdwa s4, v4, v6 src0_sel:BYTE_1 src1_sel:DWORD
	s_and_saveexec_b32 s9, s4
	s_cbranch_execz .LBB253_1143
; %bb.1136:                             ;   in Loop: Header=BB253_991 Depth=1
	v_mov_b32_e32 v7, v6
	v_mov_b32_e32 v20, v8
	v_cmp_ne_u16_sdwa s4, v4, v86 src0_sel:BYTE_1 src1_sel:DWORD
	v_mov_b32_e32 v19, v7
	s_and_saveexec_b32 s11, s4
	s_cbranch_execz .LBB253_1142
; %bb.1137:                             ;   in Loop: Header=BB253_991 Depth=1
	v_mov_b32_e32 v5, 0xffff
	v_mov_b32_e32 v9, v6
	;; [unrolled: 1-line block ×3, first 2 shown]
	s_mov_b32 s12, exec_lo
	v_and_b32_sdwa v5, v5, v4 dst_sel:DWORD dst_unused:UNUSED_PAD src0_sel:DWORD src1_sel:BYTE_1
	v_mov_b32_e32 v19, v9
	v_and_b32_e32 v11, 0x7f, v5
	v_cmpx_ne_u32_e32 0x7f, v11
	s_cbranch_execz .LBB253_1141
; %bb.1138:                             ;   in Loop: Header=BB253_991 Depth=1
	v_and_b32_e32 v5, 7, v5
	v_lshrrev_b32_e32 v7, 3, v11
	s_mov_b32 s13, exec_lo
	v_cmpx_gt_u32_e32 8, v11
; %bb.1139:                             ;   in Loop: Header=BB253_991 Depth=1
	v_ffbh_u32_e32 v7, v5
	v_min_u32_e32 v7, 32, v7
	v_subrev_nc_u32_e32 v9, 28, v7
	v_sub_nc_u32_e32 v7, 29, v7
	v_lshlrev_b64 v[11:12], v9, v[5:6]
	v_and_b32_e32 v5, 7, v11
; %bb.1140:                             ;   in Loop: Header=BB253_991 Depth=1
	s_or_b32 exec_lo, exec_lo, s13
	v_lshlrev_b32_e32 v9, 16, v4
	v_lshlrev_b32_e32 v5, 20, v5
	v_lshl_add_u32 v7, v7, 23, 0x3c000000
	v_mov_b32_e32 v19, v6
	v_and_b32_e32 v9, 0x80000000, v9
	v_or3_b32 v20, v5, v9, v7
.LBB253_1141:                           ;   in Loop: Header=BB253_991 Depth=1
	s_or_b32 exec_lo, exec_lo, s12
.LBB253_1142:                           ;   in Loop: Header=BB253_991 Depth=1
	s_or_b32 exec_lo, exec_lo, s11
.LBB253_1143:                           ;   in Loop: Header=BB253_991 Depth=1
	s_or_b32 exec_lo, exec_lo, s9
	v_mov_b32_e32 v23, 0
	v_mov_b32_e32 v21, 0
	v_and_b32_sdwa v5, v4, v96 dst_sel:DWORD dst_unused:UNUSED_PAD src0_sel:WORD_1 src1_sel:DWORD
	v_mov_b32_e32 v24, 0
	v_mov_b32_e32 v22, 0
	s_mov_b32 s9, exec_lo
	v_cmpx_ne_u16_e32 0, v5
	s_cbranch_execz .LBB253_1151
; %bb.1144:                             ;   in Loop: Header=BB253_991 Depth=1
	v_bfrev_b32_e32 v21, 1
	v_mov_b32_e32 v22, 0
	s_mov_b32 s11, exec_lo
	v_cmpx_ne_u16_e32 0x80, v5
	s_cbranch_execz .LBB253_1150
; %bb.1145:                             ;   in Loop: Header=BB253_991 Depth=1
	v_mov_b32_e32 v21, 0x7f800001
	v_bfe_u32 v9, v4, 16, 7
	v_mov_b32_e32 v22, 0
	s_mov_b32 s12, exec_lo
	v_cmpx_ne_u32_e32 0x7f, v9
	s_cbranch_execz .LBB253_1149
; %bb.1146:                             ;   in Loop: Header=BB253_991 Depth=1
	v_mov_b32_e32 v5, 7
	v_lshrrev_b32_e32 v7, 3, v9
	s_mov_b32 s13, exec_lo
	v_and_b32_sdwa v5, v4, v5 dst_sel:DWORD dst_unused:UNUSED_PAD src0_sel:WORD_1 src1_sel:DWORD
	v_cmpx_gt_u32_e32 8, v9
; %bb.1147:                             ;   in Loop: Header=BB253_991 Depth=1
	v_ffbh_u32_e32 v7, v5
	v_min_u32_e32 v7, 32, v7
	v_subrev_nc_u32_e32 v9, 28, v7
	v_sub_nc_u32_e32 v7, 29, v7
	v_lshlrev_b64 v[11:12], v9, v[5:6]
	v_and_b32_e32 v5, 7, v11
; %bb.1148:                             ;   in Loop: Header=BB253_991 Depth=1
	s_or_b32 exec_lo, exec_lo, s13
	v_mov_b32_e32 v9, 24
	v_lshlrev_b32_e32 v5, 20, v5
	v_lshl_add_u32 v7, v7, 23, 0x3c000000
	v_lshlrev_b32_sdwa v9, v9, v4 dst_sel:DWORD dst_unused:UNUSED_PAD src0_sel:DWORD src1_sel:WORD_1
	v_and_b32_e32 v9, 0x80000000, v9
	v_or3_b32 v5, v5, v9, v7
	v_mov_b32_e32 v22, v6
	v_mov_b32_e32 v21, v5
.LBB253_1149:                           ;   in Loop: Header=BB253_991 Depth=1
	s_or_b32 exec_lo, exec_lo, s12
.LBB253_1150:                           ;   in Loop: Header=BB253_991 Depth=1
	s_or_b32 exec_lo, exec_lo, s11
.LBB253_1151:                           ;   in Loop: Header=BB253_991 Depth=1
	s_or_b32 exec_lo, exec_lo, s9
	s_mov_b32 s9, exec_lo
	v_cmpx_lt_u32_e32 0xffffff, v4
	s_cbranch_execz .LBB253_1159
; %bb.1152:                             ;   in Loop: Header=BB253_991 Depth=1
	v_mov_b32_e32 v7, v6
	v_mov_b32_e32 v24, v8
	v_cmp_ne_u32_sdwa s4, v4, v86 src0_sel:BYTE_3 src1_sel:DWORD
	v_mov_b32_e32 v23, v7
	s_and_saveexec_b32 s11, s4
	s_cbranch_execz .LBB253_1158
; %bb.1153:                             ;   in Loop: Header=BB253_991 Depth=1
	v_mov_b32_e32 v9, v6
	v_mov_b32_e32 v24, v10
	v_bfe_u32 v11, v4, 24, 7
	s_mov_b32 s12, exec_lo
	v_mov_b32_e32 v23, v9
	v_cmpx_ne_u32_e32 0x7f, v11
	s_cbranch_execz .LBB253_1157
; %bb.1154:                             ;   in Loop: Header=BB253_991 Depth=1
	v_mov_b32_e32 v5, 7
	v_lshrrev_b32_e32 v7, 3, v11
	s_mov_b32 s13, exec_lo
	v_and_b32_sdwa v5, v4, v5 dst_sel:DWORD dst_unused:UNUSED_PAD src0_sel:BYTE_3 src1_sel:DWORD
	v_cmpx_gt_u32_e32 8, v11
; %bb.1155:                             ;   in Loop: Header=BB253_991 Depth=1
	v_ffbh_u32_e32 v7, v5
	v_min_u32_e32 v7, 32, v7
	v_subrev_nc_u32_e32 v9, 28, v7
	v_sub_nc_u32_e32 v7, 29, v7
	v_lshlrev_b64 v[11:12], v9, v[5:6]
	v_and_b32_e32 v5, 7, v11
; %bb.1156:                             ;   in Loop: Header=BB253_991 Depth=1
	s_or_b32 exec_lo, exec_lo, s13
	v_mov_b32_e32 v9, 24
	v_lshlrev_b32_e32 v5, 20, v5
	v_lshl_add_u32 v7, v7, 23, 0x3c000000
	v_mov_b32_e32 v23, v6
	v_lshlrev_b32_sdwa v4, v9, v4 dst_sel:DWORD dst_unused:UNUSED_PAD src0_sel:DWORD src1_sel:BYTE_3
	v_and_b32_e32 v4, 0x80000000, v4
	v_or3_b32 v24, v5, v4, v7
.LBB253_1157:                           ;   in Loop: Header=BB253_991 Depth=1
	s_or_b32 exec_lo, exec_lo, s12
.LBB253_1158:                           ;   in Loop: Header=BB253_991 Depth=1
	s_or_b32 exec_lo, exec_lo, s11
.LBB253_1159:                           ;   in Loop: Header=BB253_991 Depth=1
	s_or_b32 exec_lo, exec_lo, s9
	v_or_b32_e32 v4, v20, v18
	v_or_b32_e32 v5, v19, v17
	;; [unrolled: 1-line block ×4, first 2 shown]
	v_mul_f32_e32 v4, v100, v4
	buffer_store_dword v4, off, s[0:3], s32 offset:352 ; 4-byte Folded Spill
	v_mul_f32_e32 v4, v84, v5
	buffer_store_dword v4, off, s[0:3], s32 offset:344 ; 4-byte Folded Spill
	;; [unrolled: 2-line block ×4, first 2 shown]
	s_and_saveexec_b32 s9, vcc_lo
	s_cbranch_execz .LBB253_1161
; %bb.1160:                             ;   in Loop: Header=BB253_991 Depth=1
	buffer_load_dword v4, off, s[0:3], s32 offset:344 ; 4-byte Folded Reload
	v_cmp_lt_i32_e64 s4, v117, v32
	s_waitcnt vmcnt(0)
	v_cndmask_b32_e64 v4, 0, v4, s4
	v_cmp_lt_i32_e64 s4, v119, v32
	buffer_store_dword v4, off, s[0:3], s32 offset:344 ; 4-byte Folded Spill
	buffer_load_dword v4, off, s[0:3], s32 offset:352 ; 4-byte Folded Reload
	s_waitcnt vmcnt(0)
	v_cndmask_b32_e64 v4, 0, v4, s4
	v_cmp_lt_i32_e64 s4, v118, v32
	buffer_store_dword v4, off, s[0:3], s32 offset:352 ; 4-byte Folded Spill
	buffer_load_dword v4, off, s[0:3], s32 offset:336 ; 4-byte Folded Reload
	;; [unrolled: 5-line block ×3, first 2 shown]
	s_waitcnt vmcnt(0)
	v_cndmask_b32_e64 v4, 0, v4, s4
	buffer_store_dword v4, off, s[0:3], s32 offset:328 ; 4-byte Folded Spill
.LBB253_1161:                           ;   in Loop: Header=BB253_991 Depth=1
	s_or_b32 exec_lo, exec_lo, s9
	flat_load_dword v4, v[15:16] offset:640
	v_mov_b32_e32 v19, 0
	v_mov_b32_e32 v17, 0
	;; [unrolled: 1-line block ×4, first 2 shown]
	s_waitcnt vmcnt(0) lgkmcnt(0)
	v_cmp_ne_u16_sdwa s4, v4, v6 src0_sel:BYTE_0 src1_sel:DWORD
	s_and_saveexec_b32 s9, s4
	s_cbranch_execz .LBB253_1169
; %bb.1162:                             ;   in Loop: Header=BB253_991 Depth=1
	v_bfrev_b32_e32 v17, 1
	v_mov_b32_e32 v18, 0
	v_cmp_ne_u16_sdwa s4, v4, v86 src0_sel:BYTE_0 src1_sel:DWORD
	s_and_saveexec_b32 s11, s4
	s_cbranch_execz .LBB253_1168
; %bb.1163:                             ;   in Loop: Header=BB253_991 Depth=1
	v_mov_b32_e32 v17, 0x7f800001
	v_and_b32_e32 v9, 0x7f, v4
	v_mov_b32_e32 v18, 0
	s_mov_b32 s12, exec_lo
	v_cmpx_ne_u32_e32 0x7f, v9
	s_cbranch_execz .LBB253_1167
; %bb.1164:                             ;   in Loop: Header=BB253_991 Depth=1
	v_and_b32_e32 v5, 7, v4
	v_lshrrev_b32_e32 v7, 3, v9
	s_mov_b32 s13, exec_lo
	v_cmpx_gt_u32_e32 8, v9
; %bb.1165:                             ;   in Loop: Header=BB253_991 Depth=1
	v_ffbh_u32_e32 v7, v5
	v_min_u32_e32 v7, 32, v7
	v_subrev_nc_u32_e32 v9, 28, v7
	v_sub_nc_u32_e32 v7, 29, v7
	v_lshlrev_b64 v[11:12], v9, v[5:6]
	v_and_b32_e32 v5, 7, v11
; %bb.1166:                             ;   in Loop: Header=BB253_991 Depth=1
	s_or_b32 exec_lo, exec_lo, s13
	v_lshlrev_b32_e32 v9, 24, v4
	v_lshlrev_b32_e32 v5, 20, v5
	v_lshl_add_u32 v7, v7, 23, 0x3c000000
	v_and_b32_e32 v9, 0x80000000, v9
	v_or3_b32 v5, v5, v9, v7
	v_mov_b32_e32 v18, v6
	v_mov_b32_e32 v17, v5
.LBB253_1167:                           ;   in Loop: Header=BB253_991 Depth=1
	s_or_b32 exec_lo, exec_lo, s12
.LBB253_1168:                           ;   in Loop: Header=BB253_991 Depth=1
	s_or_b32 exec_lo, exec_lo, s11
.LBB253_1169:                           ;   in Loop: Header=BB253_991 Depth=1
	s_or_b32 exec_lo, exec_lo, s9
	v_cmp_ne_u16_sdwa s4, v4, v6 src0_sel:BYTE_1 src1_sel:DWORD
	s_and_saveexec_b32 s9, s4
	s_cbranch_execz .LBB253_1177
; %bb.1170:                             ;   in Loop: Header=BB253_991 Depth=1
	v_mov_b32_e32 v7, v6
	v_mov_b32_e32 v20, v8
	v_cmp_ne_u16_sdwa s4, v4, v86 src0_sel:BYTE_1 src1_sel:DWORD
	v_mov_b32_e32 v19, v7
	s_and_saveexec_b32 s11, s4
	s_cbranch_execz .LBB253_1176
; %bb.1171:                             ;   in Loop: Header=BB253_991 Depth=1
	v_mov_b32_e32 v5, 0xffff
	v_mov_b32_e32 v9, v6
	;; [unrolled: 1-line block ×3, first 2 shown]
	s_mov_b32 s12, exec_lo
	v_and_b32_sdwa v5, v5, v4 dst_sel:DWORD dst_unused:UNUSED_PAD src0_sel:DWORD src1_sel:BYTE_1
	v_mov_b32_e32 v19, v9
	v_and_b32_e32 v11, 0x7f, v5
	v_cmpx_ne_u32_e32 0x7f, v11
	s_cbranch_execz .LBB253_1175
; %bb.1172:                             ;   in Loop: Header=BB253_991 Depth=1
	v_and_b32_e32 v5, 7, v5
	v_lshrrev_b32_e32 v7, 3, v11
	s_mov_b32 s13, exec_lo
	v_cmpx_gt_u32_e32 8, v11
; %bb.1173:                             ;   in Loop: Header=BB253_991 Depth=1
	v_ffbh_u32_e32 v7, v5
	v_min_u32_e32 v7, 32, v7
	v_subrev_nc_u32_e32 v9, 28, v7
	v_sub_nc_u32_e32 v7, 29, v7
	v_lshlrev_b64 v[11:12], v9, v[5:6]
	v_and_b32_e32 v5, 7, v11
; %bb.1174:                             ;   in Loop: Header=BB253_991 Depth=1
	s_or_b32 exec_lo, exec_lo, s13
	v_lshlrev_b32_e32 v9, 16, v4
	v_lshlrev_b32_e32 v5, 20, v5
	v_lshl_add_u32 v7, v7, 23, 0x3c000000
	v_mov_b32_e32 v19, v6
	v_and_b32_e32 v9, 0x80000000, v9
	v_or3_b32 v20, v5, v9, v7
.LBB253_1175:                           ;   in Loop: Header=BB253_991 Depth=1
	s_or_b32 exec_lo, exec_lo, s12
.LBB253_1176:                           ;   in Loop: Header=BB253_991 Depth=1
	s_or_b32 exec_lo, exec_lo, s11
.LBB253_1177:                           ;   in Loop: Header=BB253_991 Depth=1
	s_or_b32 exec_lo, exec_lo, s9
	v_mov_b32_e32 v23, 0
	v_mov_b32_e32 v21, 0
	v_and_b32_sdwa v5, v4, v96 dst_sel:DWORD dst_unused:UNUSED_PAD src0_sel:WORD_1 src1_sel:DWORD
	v_mov_b32_e32 v24, 0
	v_mov_b32_e32 v22, 0
	s_mov_b32 s9, exec_lo
	v_cmpx_ne_u16_e32 0, v5
	s_cbranch_execz .LBB253_1185
; %bb.1178:                             ;   in Loop: Header=BB253_991 Depth=1
	v_bfrev_b32_e32 v21, 1
	v_mov_b32_e32 v22, 0
	s_mov_b32 s11, exec_lo
	v_cmpx_ne_u16_e32 0x80, v5
	s_cbranch_execz .LBB253_1184
; %bb.1179:                             ;   in Loop: Header=BB253_991 Depth=1
	v_mov_b32_e32 v21, 0x7f800001
	v_bfe_u32 v9, v4, 16, 7
	v_mov_b32_e32 v22, 0
	s_mov_b32 s12, exec_lo
	v_cmpx_ne_u32_e32 0x7f, v9
	s_cbranch_execz .LBB253_1183
; %bb.1180:                             ;   in Loop: Header=BB253_991 Depth=1
	v_mov_b32_e32 v5, 7
	v_lshrrev_b32_e32 v7, 3, v9
	s_mov_b32 s13, exec_lo
	v_and_b32_sdwa v5, v4, v5 dst_sel:DWORD dst_unused:UNUSED_PAD src0_sel:WORD_1 src1_sel:DWORD
	v_cmpx_gt_u32_e32 8, v9
; %bb.1181:                             ;   in Loop: Header=BB253_991 Depth=1
	v_ffbh_u32_e32 v7, v5
	v_min_u32_e32 v7, 32, v7
	v_subrev_nc_u32_e32 v9, 28, v7
	v_sub_nc_u32_e32 v7, 29, v7
	v_lshlrev_b64 v[11:12], v9, v[5:6]
	v_and_b32_e32 v5, 7, v11
; %bb.1182:                             ;   in Loop: Header=BB253_991 Depth=1
	s_or_b32 exec_lo, exec_lo, s13
	v_mov_b32_e32 v9, 24
	v_lshlrev_b32_e32 v5, 20, v5
	v_lshl_add_u32 v7, v7, 23, 0x3c000000
	v_lshlrev_b32_sdwa v9, v9, v4 dst_sel:DWORD dst_unused:UNUSED_PAD src0_sel:DWORD src1_sel:WORD_1
	v_and_b32_e32 v9, 0x80000000, v9
	v_or3_b32 v5, v5, v9, v7
	v_mov_b32_e32 v22, v6
	v_mov_b32_e32 v21, v5
.LBB253_1183:                           ;   in Loop: Header=BB253_991 Depth=1
	s_or_b32 exec_lo, exec_lo, s12
.LBB253_1184:                           ;   in Loop: Header=BB253_991 Depth=1
	s_or_b32 exec_lo, exec_lo, s11
.LBB253_1185:                           ;   in Loop: Header=BB253_991 Depth=1
	s_or_b32 exec_lo, exec_lo, s9
	s_mov_b32 s9, exec_lo
	v_cmpx_lt_u32_e32 0xffffff, v4
	s_cbranch_execz .LBB253_1193
; %bb.1186:                             ;   in Loop: Header=BB253_991 Depth=1
	v_mov_b32_e32 v7, v6
	v_mov_b32_e32 v24, v8
	v_cmp_ne_u32_sdwa s4, v4, v86 src0_sel:BYTE_3 src1_sel:DWORD
	v_mov_b32_e32 v23, v7
	s_and_saveexec_b32 s11, s4
	s_cbranch_execz .LBB253_1192
; %bb.1187:                             ;   in Loop: Header=BB253_991 Depth=1
	v_mov_b32_e32 v9, v6
	v_mov_b32_e32 v24, v10
	v_bfe_u32 v11, v4, 24, 7
	s_mov_b32 s12, exec_lo
	v_mov_b32_e32 v23, v9
	v_cmpx_ne_u32_e32 0x7f, v11
	s_cbranch_execz .LBB253_1191
; %bb.1188:                             ;   in Loop: Header=BB253_991 Depth=1
	v_mov_b32_e32 v5, 7
	v_lshrrev_b32_e32 v7, 3, v11
	s_mov_b32 s13, exec_lo
	v_and_b32_sdwa v5, v4, v5 dst_sel:DWORD dst_unused:UNUSED_PAD src0_sel:BYTE_3 src1_sel:DWORD
	v_cmpx_gt_u32_e32 8, v11
; %bb.1189:                             ;   in Loop: Header=BB253_991 Depth=1
	v_ffbh_u32_e32 v7, v5
	v_min_u32_e32 v7, 32, v7
	v_subrev_nc_u32_e32 v9, 28, v7
	v_sub_nc_u32_e32 v7, 29, v7
	v_lshlrev_b64 v[11:12], v9, v[5:6]
	v_and_b32_e32 v5, 7, v11
; %bb.1190:                             ;   in Loop: Header=BB253_991 Depth=1
	s_or_b32 exec_lo, exec_lo, s13
	v_mov_b32_e32 v9, 24
	v_lshlrev_b32_e32 v5, 20, v5
	v_lshl_add_u32 v7, v7, 23, 0x3c000000
	v_mov_b32_e32 v23, v6
	v_lshlrev_b32_sdwa v4, v9, v4 dst_sel:DWORD dst_unused:UNUSED_PAD src0_sel:DWORD src1_sel:BYTE_3
	v_and_b32_e32 v4, 0x80000000, v4
	v_or3_b32 v24, v5, v4, v7
.LBB253_1191:                           ;   in Loop: Header=BB253_991 Depth=1
	s_or_b32 exec_lo, exec_lo, s12
.LBB253_1192:                           ;   in Loop: Header=BB253_991 Depth=1
	s_or_b32 exec_lo, exec_lo, s11
.LBB253_1193:                           ;   in Loop: Header=BB253_991 Depth=1
	s_or_b32 exec_lo, exec_lo, s9
	v_or_b32_e32 v4, v20, v18
	v_or_b32_e32 v5, v19, v17
	;; [unrolled: 1-line block ×4, first 2 shown]
	v_mul_f32_e32 v4, v100, v4
	buffer_store_dword v4, off, s[0:3], s32 offset:376 ; 4-byte Folded Spill
	v_mul_f32_e32 v4, v84, v5
	buffer_store_dword v4, off, s[0:3], s32 offset:384 ; 4-byte Folded Spill
	v_mul_f32_e32 v4, v84, v7
	buffer_store_dword v4, off, s[0:3], s32 offset:368 ; 4-byte Folded Spill
	v_mul_f32_e32 v4, v100, v9
	buffer_store_dword v4, off, s[0:3], s32 offset:360 ; 4-byte Folded Spill
	s_and_saveexec_b32 s9, vcc_lo
	s_cbranch_execz .LBB253_1195
; %bb.1194:                             ;   in Loop: Header=BB253_991 Depth=1
	buffer_load_dword v4, off, s[0:3], s32 offset:384 ; 4-byte Folded Reload
	v_cmp_lt_i32_e64 s4, v117, v32
	s_waitcnt vmcnt(0)
	v_cndmask_b32_e64 v4, 0, v4, s4
	v_cmp_lt_i32_e64 s4, v119, v32
	buffer_store_dword v4, off, s[0:3], s32 offset:384 ; 4-byte Folded Spill
	buffer_load_dword v4, off, s[0:3], s32 offset:376 ; 4-byte Folded Reload
	s_waitcnt vmcnt(0)
	v_cndmask_b32_e64 v4, 0, v4, s4
	v_cmp_lt_i32_e64 s4, v118, v32
	buffer_store_dword v4, off, s[0:3], s32 offset:376 ; 4-byte Folded Spill
	buffer_load_dword v4, off, s[0:3], s32 offset:368 ; 4-byte Folded Reload
	;; [unrolled: 5-line block ×3, first 2 shown]
	s_waitcnt vmcnt(0)
	v_cndmask_b32_e64 v4, 0, v4, s4
	buffer_store_dword v4, off, s[0:3], s32 offset:360 ; 4-byte Folded Spill
.LBB253_1195:                           ;   in Loop: Header=BB253_991 Depth=1
	s_or_b32 exec_lo, exec_lo, s9
	flat_load_dword v4, v[15:16] offset:768
	v_mov_b32_e32 v19, 0
	v_mov_b32_e32 v17, 0
	;; [unrolled: 1-line block ×4, first 2 shown]
	s_waitcnt vmcnt(0) lgkmcnt(0)
	v_cmp_ne_u16_sdwa s4, v4, v6 src0_sel:BYTE_0 src1_sel:DWORD
	s_and_saveexec_b32 s9, s4
	s_cbranch_execz .LBB253_1203
; %bb.1196:                             ;   in Loop: Header=BB253_991 Depth=1
	v_bfrev_b32_e32 v17, 1
	v_mov_b32_e32 v18, 0
	v_cmp_ne_u16_sdwa s4, v4, v86 src0_sel:BYTE_0 src1_sel:DWORD
	s_and_saveexec_b32 s11, s4
	s_cbranch_execz .LBB253_1202
; %bb.1197:                             ;   in Loop: Header=BB253_991 Depth=1
	v_mov_b32_e32 v17, 0x7f800001
	v_and_b32_e32 v9, 0x7f, v4
	v_mov_b32_e32 v18, 0
	s_mov_b32 s12, exec_lo
	v_cmpx_ne_u32_e32 0x7f, v9
	s_cbranch_execz .LBB253_1201
; %bb.1198:                             ;   in Loop: Header=BB253_991 Depth=1
	v_and_b32_e32 v5, 7, v4
	v_lshrrev_b32_e32 v7, 3, v9
	s_mov_b32 s13, exec_lo
	v_cmpx_gt_u32_e32 8, v9
; %bb.1199:                             ;   in Loop: Header=BB253_991 Depth=1
	v_ffbh_u32_e32 v7, v5
	v_min_u32_e32 v7, 32, v7
	v_subrev_nc_u32_e32 v9, 28, v7
	v_sub_nc_u32_e32 v7, 29, v7
	v_lshlrev_b64 v[11:12], v9, v[5:6]
	v_and_b32_e32 v5, 7, v11
; %bb.1200:                             ;   in Loop: Header=BB253_991 Depth=1
	s_or_b32 exec_lo, exec_lo, s13
	v_lshlrev_b32_e32 v9, 24, v4
	v_lshlrev_b32_e32 v5, 20, v5
	v_lshl_add_u32 v7, v7, 23, 0x3c000000
	v_and_b32_e32 v9, 0x80000000, v9
	v_or3_b32 v5, v5, v9, v7
	v_mov_b32_e32 v18, v6
	v_mov_b32_e32 v17, v5
.LBB253_1201:                           ;   in Loop: Header=BB253_991 Depth=1
	s_or_b32 exec_lo, exec_lo, s12
.LBB253_1202:                           ;   in Loop: Header=BB253_991 Depth=1
	s_or_b32 exec_lo, exec_lo, s11
.LBB253_1203:                           ;   in Loop: Header=BB253_991 Depth=1
	s_or_b32 exec_lo, exec_lo, s9
	v_cmp_ne_u16_sdwa s4, v4, v6 src0_sel:BYTE_1 src1_sel:DWORD
	s_and_saveexec_b32 s9, s4
	s_cbranch_execz .LBB253_1211
; %bb.1204:                             ;   in Loop: Header=BB253_991 Depth=1
	v_mov_b32_e32 v7, v6
	v_mov_b32_e32 v20, v8
	v_cmp_ne_u16_sdwa s4, v4, v86 src0_sel:BYTE_1 src1_sel:DWORD
	v_mov_b32_e32 v19, v7
	s_and_saveexec_b32 s11, s4
	s_cbranch_execz .LBB253_1210
; %bb.1205:                             ;   in Loop: Header=BB253_991 Depth=1
	v_mov_b32_e32 v5, 0xffff
	v_mov_b32_e32 v9, v6
	;; [unrolled: 1-line block ×3, first 2 shown]
	s_mov_b32 s12, exec_lo
	v_and_b32_sdwa v5, v5, v4 dst_sel:DWORD dst_unused:UNUSED_PAD src0_sel:DWORD src1_sel:BYTE_1
	v_mov_b32_e32 v19, v9
	v_and_b32_e32 v11, 0x7f, v5
	v_cmpx_ne_u32_e32 0x7f, v11
	s_cbranch_execz .LBB253_1209
; %bb.1206:                             ;   in Loop: Header=BB253_991 Depth=1
	v_and_b32_e32 v5, 7, v5
	v_lshrrev_b32_e32 v7, 3, v11
	s_mov_b32 s13, exec_lo
	v_cmpx_gt_u32_e32 8, v11
; %bb.1207:                             ;   in Loop: Header=BB253_991 Depth=1
	v_ffbh_u32_e32 v7, v5
	v_min_u32_e32 v7, 32, v7
	v_subrev_nc_u32_e32 v9, 28, v7
	v_sub_nc_u32_e32 v7, 29, v7
	v_lshlrev_b64 v[11:12], v9, v[5:6]
	v_and_b32_e32 v5, 7, v11
; %bb.1208:                             ;   in Loop: Header=BB253_991 Depth=1
	s_or_b32 exec_lo, exec_lo, s13
	v_lshlrev_b32_e32 v9, 16, v4
	v_lshlrev_b32_e32 v5, 20, v5
	v_lshl_add_u32 v7, v7, 23, 0x3c000000
	v_mov_b32_e32 v19, v6
	v_and_b32_e32 v9, 0x80000000, v9
	v_or3_b32 v20, v5, v9, v7
.LBB253_1209:                           ;   in Loop: Header=BB253_991 Depth=1
	s_or_b32 exec_lo, exec_lo, s12
.LBB253_1210:                           ;   in Loop: Header=BB253_991 Depth=1
	s_or_b32 exec_lo, exec_lo, s11
.LBB253_1211:                           ;   in Loop: Header=BB253_991 Depth=1
	s_or_b32 exec_lo, exec_lo, s9
	v_mov_b32_e32 v23, 0
	v_mov_b32_e32 v21, 0
	v_and_b32_sdwa v5, v4, v96 dst_sel:DWORD dst_unused:UNUSED_PAD src0_sel:WORD_1 src1_sel:DWORD
	v_mov_b32_e32 v24, 0
	v_mov_b32_e32 v22, 0
	s_mov_b32 s9, exec_lo
	v_cmpx_ne_u16_e32 0, v5
	s_cbranch_execz .LBB253_1219
; %bb.1212:                             ;   in Loop: Header=BB253_991 Depth=1
	v_bfrev_b32_e32 v21, 1
	v_mov_b32_e32 v22, 0
	s_mov_b32 s11, exec_lo
	v_cmpx_ne_u16_e32 0x80, v5
	s_cbranch_execz .LBB253_1218
; %bb.1213:                             ;   in Loop: Header=BB253_991 Depth=1
	v_mov_b32_e32 v21, 0x7f800001
	v_bfe_u32 v9, v4, 16, 7
	v_mov_b32_e32 v22, 0
	s_mov_b32 s12, exec_lo
	v_cmpx_ne_u32_e32 0x7f, v9
	s_cbranch_execz .LBB253_1217
; %bb.1214:                             ;   in Loop: Header=BB253_991 Depth=1
	v_mov_b32_e32 v5, 7
	v_lshrrev_b32_e32 v7, 3, v9
	s_mov_b32 s13, exec_lo
	v_and_b32_sdwa v5, v4, v5 dst_sel:DWORD dst_unused:UNUSED_PAD src0_sel:WORD_1 src1_sel:DWORD
	v_cmpx_gt_u32_e32 8, v9
; %bb.1215:                             ;   in Loop: Header=BB253_991 Depth=1
	v_ffbh_u32_e32 v7, v5
	v_min_u32_e32 v7, 32, v7
	v_subrev_nc_u32_e32 v9, 28, v7
	v_sub_nc_u32_e32 v7, 29, v7
	v_lshlrev_b64 v[11:12], v9, v[5:6]
	v_and_b32_e32 v5, 7, v11
; %bb.1216:                             ;   in Loop: Header=BB253_991 Depth=1
	s_or_b32 exec_lo, exec_lo, s13
	v_mov_b32_e32 v9, 24
	v_lshlrev_b32_e32 v5, 20, v5
	v_lshl_add_u32 v7, v7, 23, 0x3c000000
	v_lshlrev_b32_sdwa v9, v9, v4 dst_sel:DWORD dst_unused:UNUSED_PAD src0_sel:DWORD src1_sel:WORD_1
	v_and_b32_e32 v9, 0x80000000, v9
	v_or3_b32 v5, v5, v9, v7
	v_mov_b32_e32 v22, v6
	v_mov_b32_e32 v21, v5
.LBB253_1217:                           ;   in Loop: Header=BB253_991 Depth=1
	s_or_b32 exec_lo, exec_lo, s12
.LBB253_1218:                           ;   in Loop: Header=BB253_991 Depth=1
	s_or_b32 exec_lo, exec_lo, s11
.LBB253_1219:                           ;   in Loop: Header=BB253_991 Depth=1
	s_or_b32 exec_lo, exec_lo, s9
	s_mov_b32 s9, exec_lo
	v_cmpx_lt_u32_e32 0xffffff, v4
	s_cbranch_execz .LBB253_1227
; %bb.1220:                             ;   in Loop: Header=BB253_991 Depth=1
	v_mov_b32_e32 v7, v6
	v_mov_b32_e32 v24, v8
	v_cmp_ne_u32_sdwa s4, v4, v86 src0_sel:BYTE_3 src1_sel:DWORD
	v_mov_b32_e32 v23, v7
	s_and_saveexec_b32 s11, s4
	s_cbranch_execz .LBB253_1226
; %bb.1221:                             ;   in Loop: Header=BB253_991 Depth=1
	v_mov_b32_e32 v9, v6
	v_mov_b32_e32 v24, v10
	v_bfe_u32 v11, v4, 24, 7
	s_mov_b32 s12, exec_lo
	v_mov_b32_e32 v23, v9
	v_cmpx_ne_u32_e32 0x7f, v11
	s_cbranch_execz .LBB253_1225
; %bb.1222:                             ;   in Loop: Header=BB253_991 Depth=1
	v_mov_b32_e32 v5, 7
	v_lshrrev_b32_e32 v7, 3, v11
	s_mov_b32 s13, exec_lo
	v_and_b32_sdwa v5, v4, v5 dst_sel:DWORD dst_unused:UNUSED_PAD src0_sel:BYTE_3 src1_sel:DWORD
	v_cmpx_gt_u32_e32 8, v11
; %bb.1223:                             ;   in Loop: Header=BB253_991 Depth=1
	v_ffbh_u32_e32 v7, v5
	v_min_u32_e32 v7, 32, v7
	v_subrev_nc_u32_e32 v9, 28, v7
	v_sub_nc_u32_e32 v7, 29, v7
	v_lshlrev_b64 v[11:12], v9, v[5:6]
	v_and_b32_e32 v5, 7, v11
; %bb.1224:                             ;   in Loop: Header=BB253_991 Depth=1
	s_or_b32 exec_lo, exec_lo, s13
	v_mov_b32_e32 v9, 24
	v_lshlrev_b32_e32 v5, 20, v5
	v_lshl_add_u32 v7, v7, 23, 0x3c000000
	v_mov_b32_e32 v23, v6
	v_lshlrev_b32_sdwa v4, v9, v4 dst_sel:DWORD dst_unused:UNUSED_PAD src0_sel:DWORD src1_sel:BYTE_3
	v_and_b32_e32 v4, 0x80000000, v4
	v_or3_b32 v24, v5, v4, v7
.LBB253_1225:                           ;   in Loop: Header=BB253_991 Depth=1
	s_or_b32 exec_lo, exec_lo, s12
.LBB253_1226:                           ;   in Loop: Header=BB253_991 Depth=1
	s_or_b32 exec_lo, exec_lo, s11
.LBB253_1227:                           ;   in Loop: Header=BB253_991 Depth=1
	s_or_b32 exec_lo, exec_lo, s9
	v_or_b32_e32 v4, v20, v18
	v_or_b32_e32 v5, v19, v17
	;; [unrolled: 1-line block ×4, first 2 shown]
	v_mul_f32_e32 v4, v100, v4
	buffer_store_dword v4, off, s[0:3], s32 offset:408 ; 4-byte Folded Spill
	v_mul_f32_e32 v4, v84, v5
	buffer_store_dword v4, off, s[0:3], s32 offset:416 ; 4-byte Folded Spill
	;; [unrolled: 2-line block ×4, first 2 shown]
	s_and_saveexec_b32 s9, vcc_lo
	s_cbranch_execz .LBB253_1229
; %bb.1228:                             ;   in Loop: Header=BB253_991 Depth=1
	buffer_load_dword v4, off, s[0:3], s32 offset:416 ; 4-byte Folded Reload
	v_cmp_lt_i32_e64 s4, v117, v32
	s_waitcnt vmcnt(0)
	v_cndmask_b32_e64 v4, 0, v4, s4
	v_cmp_lt_i32_e64 s4, v119, v32
	buffer_store_dword v4, off, s[0:3], s32 offset:416 ; 4-byte Folded Spill
	buffer_load_dword v4, off, s[0:3], s32 offset:408 ; 4-byte Folded Reload
	s_waitcnt vmcnt(0)
	v_cndmask_b32_e64 v4, 0, v4, s4
	v_cmp_lt_i32_e64 s4, v118, v32
	buffer_store_dword v4, off, s[0:3], s32 offset:408 ; 4-byte Folded Spill
	buffer_load_dword v4, off, s[0:3], s32 offset:400 ; 4-byte Folded Reload
	;; [unrolled: 5-line block ×3, first 2 shown]
	s_waitcnt vmcnt(0)
	v_cndmask_b32_e64 v4, 0, v4, s4
	buffer_store_dword v4, off, s[0:3], s32 offset:392 ; 4-byte Folded Spill
.LBB253_1229:                           ;   in Loop: Header=BB253_991 Depth=1
	s_or_b32 exec_lo, exec_lo, s9
	flat_load_dword v4, v[15:16] offset:896
	v_mov_b32_e32 v19, 0
	v_mov_b32_e32 v17, 0
	;; [unrolled: 1-line block ×4, first 2 shown]
	s_waitcnt vmcnt(0) lgkmcnt(0)
	v_cmp_ne_u16_sdwa s4, v4, v6 src0_sel:BYTE_0 src1_sel:DWORD
	s_and_saveexec_b32 s9, s4
	s_cbranch_execz .LBB253_1237
; %bb.1230:                             ;   in Loop: Header=BB253_991 Depth=1
	v_bfrev_b32_e32 v17, 1
	v_mov_b32_e32 v18, 0
	v_cmp_ne_u16_sdwa s4, v4, v86 src0_sel:BYTE_0 src1_sel:DWORD
	s_and_saveexec_b32 s11, s4
	s_cbranch_execz .LBB253_1236
; %bb.1231:                             ;   in Loop: Header=BB253_991 Depth=1
	v_mov_b32_e32 v17, 0x7f800001
	v_and_b32_e32 v9, 0x7f, v4
	v_mov_b32_e32 v18, 0
	s_mov_b32 s12, exec_lo
	v_cmpx_ne_u32_e32 0x7f, v9
	s_cbranch_execz .LBB253_1235
; %bb.1232:                             ;   in Loop: Header=BB253_991 Depth=1
	v_and_b32_e32 v5, 7, v4
	v_lshrrev_b32_e32 v7, 3, v9
	s_mov_b32 s13, exec_lo
	v_cmpx_gt_u32_e32 8, v9
; %bb.1233:                             ;   in Loop: Header=BB253_991 Depth=1
	v_ffbh_u32_e32 v7, v5
	v_min_u32_e32 v7, 32, v7
	v_subrev_nc_u32_e32 v9, 28, v7
	v_sub_nc_u32_e32 v7, 29, v7
	v_lshlrev_b64 v[11:12], v9, v[5:6]
	v_and_b32_e32 v5, 7, v11
; %bb.1234:                             ;   in Loop: Header=BB253_991 Depth=1
	s_or_b32 exec_lo, exec_lo, s13
	v_lshlrev_b32_e32 v9, 24, v4
	v_lshlrev_b32_e32 v5, 20, v5
	v_lshl_add_u32 v7, v7, 23, 0x3c000000
	v_and_b32_e32 v9, 0x80000000, v9
	v_or3_b32 v5, v5, v9, v7
	v_mov_b32_e32 v18, v6
	v_mov_b32_e32 v17, v5
.LBB253_1235:                           ;   in Loop: Header=BB253_991 Depth=1
	s_or_b32 exec_lo, exec_lo, s12
.LBB253_1236:                           ;   in Loop: Header=BB253_991 Depth=1
	s_or_b32 exec_lo, exec_lo, s11
.LBB253_1237:                           ;   in Loop: Header=BB253_991 Depth=1
	s_or_b32 exec_lo, exec_lo, s9
	v_cmp_ne_u16_sdwa s4, v4, v6 src0_sel:BYTE_1 src1_sel:DWORD
	s_and_saveexec_b32 s9, s4
	s_cbranch_execz .LBB253_1245
; %bb.1238:                             ;   in Loop: Header=BB253_991 Depth=1
	v_mov_b32_e32 v7, v6
	v_mov_b32_e32 v20, v8
	v_cmp_ne_u16_sdwa s4, v4, v86 src0_sel:BYTE_1 src1_sel:DWORD
	v_mov_b32_e32 v19, v7
	s_and_saveexec_b32 s11, s4
	s_cbranch_execz .LBB253_1244
; %bb.1239:                             ;   in Loop: Header=BB253_991 Depth=1
	v_mov_b32_e32 v5, 0xffff
	v_mov_b32_e32 v9, v6
	;; [unrolled: 1-line block ×3, first 2 shown]
	s_mov_b32 s12, exec_lo
	v_and_b32_sdwa v5, v5, v4 dst_sel:DWORD dst_unused:UNUSED_PAD src0_sel:DWORD src1_sel:BYTE_1
	v_mov_b32_e32 v19, v9
	v_and_b32_e32 v11, 0x7f, v5
	v_cmpx_ne_u32_e32 0x7f, v11
	s_cbranch_execz .LBB253_1243
; %bb.1240:                             ;   in Loop: Header=BB253_991 Depth=1
	v_and_b32_e32 v5, 7, v5
	v_lshrrev_b32_e32 v7, 3, v11
	s_mov_b32 s13, exec_lo
	v_cmpx_gt_u32_e32 8, v11
; %bb.1241:                             ;   in Loop: Header=BB253_991 Depth=1
	v_ffbh_u32_e32 v7, v5
	v_min_u32_e32 v7, 32, v7
	v_subrev_nc_u32_e32 v9, 28, v7
	v_sub_nc_u32_e32 v7, 29, v7
	v_lshlrev_b64 v[11:12], v9, v[5:6]
	v_and_b32_e32 v5, 7, v11
; %bb.1242:                             ;   in Loop: Header=BB253_991 Depth=1
	s_or_b32 exec_lo, exec_lo, s13
	v_lshlrev_b32_e32 v9, 16, v4
	v_lshlrev_b32_e32 v5, 20, v5
	v_lshl_add_u32 v7, v7, 23, 0x3c000000
	v_mov_b32_e32 v19, v6
	v_and_b32_e32 v9, 0x80000000, v9
	v_or3_b32 v20, v5, v9, v7
.LBB253_1243:                           ;   in Loop: Header=BB253_991 Depth=1
	s_or_b32 exec_lo, exec_lo, s12
.LBB253_1244:                           ;   in Loop: Header=BB253_991 Depth=1
	s_or_b32 exec_lo, exec_lo, s11
.LBB253_1245:                           ;   in Loop: Header=BB253_991 Depth=1
	s_or_b32 exec_lo, exec_lo, s9
	v_mov_b32_e32 v23, 0
	v_mov_b32_e32 v21, 0
	v_and_b32_sdwa v5, v4, v96 dst_sel:DWORD dst_unused:UNUSED_PAD src0_sel:WORD_1 src1_sel:DWORD
	v_mov_b32_e32 v24, 0
	v_mov_b32_e32 v22, 0
	s_mov_b32 s9, exec_lo
	v_cmpx_ne_u16_e32 0, v5
	s_cbranch_execz .LBB253_1253
; %bb.1246:                             ;   in Loop: Header=BB253_991 Depth=1
	v_bfrev_b32_e32 v21, 1
	v_mov_b32_e32 v22, 0
	s_mov_b32 s11, exec_lo
	v_cmpx_ne_u16_e32 0x80, v5
	s_cbranch_execz .LBB253_1252
; %bb.1247:                             ;   in Loop: Header=BB253_991 Depth=1
	v_mov_b32_e32 v21, 0x7f800001
	v_bfe_u32 v9, v4, 16, 7
	v_mov_b32_e32 v22, 0
	s_mov_b32 s12, exec_lo
	v_cmpx_ne_u32_e32 0x7f, v9
	s_cbranch_execz .LBB253_1251
; %bb.1248:                             ;   in Loop: Header=BB253_991 Depth=1
	v_mov_b32_e32 v5, 7
	v_lshrrev_b32_e32 v7, 3, v9
	s_mov_b32 s13, exec_lo
	v_and_b32_sdwa v5, v4, v5 dst_sel:DWORD dst_unused:UNUSED_PAD src0_sel:WORD_1 src1_sel:DWORD
	v_cmpx_gt_u32_e32 8, v9
; %bb.1249:                             ;   in Loop: Header=BB253_991 Depth=1
	v_ffbh_u32_e32 v7, v5
	v_min_u32_e32 v7, 32, v7
	v_subrev_nc_u32_e32 v9, 28, v7
	v_sub_nc_u32_e32 v7, 29, v7
	v_lshlrev_b64 v[11:12], v9, v[5:6]
	v_and_b32_e32 v5, 7, v11
; %bb.1250:                             ;   in Loop: Header=BB253_991 Depth=1
	s_or_b32 exec_lo, exec_lo, s13
	v_mov_b32_e32 v9, 24
	v_lshlrev_b32_e32 v5, 20, v5
	v_lshl_add_u32 v7, v7, 23, 0x3c000000
	v_lshlrev_b32_sdwa v9, v9, v4 dst_sel:DWORD dst_unused:UNUSED_PAD src0_sel:DWORD src1_sel:WORD_1
	v_and_b32_e32 v9, 0x80000000, v9
	v_or3_b32 v5, v5, v9, v7
	v_mov_b32_e32 v22, v6
	v_mov_b32_e32 v21, v5
.LBB253_1251:                           ;   in Loop: Header=BB253_991 Depth=1
	s_or_b32 exec_lo, exec_lo, s12
.LBB253_1252:                           ;   in Loop: Header=BB253_991 Depth=1
	s_or_b32 exec_lo, exec_lo, s11
.LBB253_1253:                           ;   in Loop: Header=BB253_991 Depth=1
	s_or_b32 exec_lo, exec_lo, s9
	s_mov_b32 s9, exec_lo
	v_cmpx_lt_u32_e32 0xffffff, v4
	s_cbranch_execz .LBB253_1261
; %bb.1254:                             ;   in Loop: Header=BB253_991 Depth=1
	v_mov_b32_e32 v7, v6
	v_mov_b32_e32 v24, v8
	v_cmp_ne_u32_sdwa s4, v4, v86 src0_sel:BYTE_3 src1_sel:DWORD
	v_mov_b32_e32 v23, v7
	s_and_saveexec_b32 s11, s4
	s_cbranch_execz .LBB253_1260
; %bb.1255:                             ;   in Loop: Header=BB253_991 Depth=1
	v_mov_b32_e32 v9, v6
	v_mov_b32_e32 v24, v10
	v_bfe_u32 v11, v4, 24, 7
	s_mov_b32 s12, exec_lo
	v_mov_b32_e32 v23, v9
	v_cmpx_ne_u32_e32 0x7f, v11
	s_cbranch_execz .LBB253_1259
; %bb.1256:                             ;   in Loop: Header=BB253_991 Depth=1
	v_mov_b32_e32 v5, 7
	v_lshrrev_b32_e32 v7, 3, v11
	s_mov_b32 s13, exec_lo
	v_and_b32_sdwa v5, v4, v5 dst_sel:DWORD dst_unused:UNUSED_PAD src0_sel:BYTE_3 src1_sel:DWORD
	v_cmpx_gt_u32_e32 8, v11
; %bb.1257:                             ;   in Loop: Header=BB253_991 Depth=1
	v_ffbh_u32_e32 v7, v5
	v_min_u32_e32 v7, 32, v7
	v_subrev_nc_u32_e32 v9, 28, v7
	v_sub_nc_u32_e32 v7, 29, v7
	v_lshlrev_b64 v[11:12], v9, v[5:6]
	v_and_b32_e32 v5, 7, v11
; %bb.1258:                             ;   in Loop: Header=BB253_991 Depth=1
	s_or_b32 exec_lo, exec_lo, s13
	v_mov_b32_e32 v9, 24
	v_lshlrev_b32_e32 v5, 20, v5
	v_lshl_add_u32 v7, v7, 23, 0x3c000000
	v_mov_b32_e32 v23, v6
	v_lshlrev_b32_sdwa v4, v9, v4 dst_sel:DWORD dst_unused:UNUSED_PAD src0_sel:DWORD src1_sel:BYTE_3
	v_and_b32_e32 v4, 0x80000000, v4
	v_or3_b32 v24, v5, v4, v7
.LBB253_1259:                           ;   in Loop: Header=BB253_991 Depth=1
	s_or_b32 exec_lo, exec_lo, s12
.LBB253_1260:                           ;   in Loop: Header=BB253_991 Depth=1
	s_or_b32 exec_lo, exec_lo, s11
.LBB253_1261:                           ;   in Loop: Header=BB253_991 Depth=1
	s_or_b32 exec_lo, exec_lo, s9
	v_or_b32_e32 v4, v20, v18
	v_or_b32_e32 v5, v19, v17
	;; [unrolled: 1-line block ×4, first 2 shown]
	v_mul_f32_e32 v4, v100, v4
	buffer_store_dword v4, off, s[0:3], s32 offset:440 ; 4-byte Folded Spill
	v_mul_f32_e32 v4, v84, v5
	buffer_store_dword v4, off, s[0:3], s32 offset:448 ; 4-byte Folded Spill
	v_mul_f32_e32 v4, v84, v7
	buffer_store_dword v4, off, s[0:3], s32 offset:432 ; 4-byte Folded Spill
	v_mul_f32_e32 v4, v100, v9
	buffer_store_dword v4, off, s[0:3], s32 offset:424 ; 4-byte Folded Spill
	s_and_saveexec_b32 s9, vcc_lo
	s_cbranch_execz .LBB253_1263
; %bb.1262:                             ;   in Loop: Header=BB253_991 Depth=1
	buffer_load_dword v4, off, s[0:3], s32 offset:448 ; 4-byte Folded Reload
	v_cmp_lt_i32_e64 s4, v117, v32
	s_waitcnt vmcnt(0)
	v_cndmask_b32_e64 v4, 0, v4, s4
	v_cmp_lt_i32_e64 s4, v119, v32
	buffer_store_dword v4, off, s[0:3], s32 offset:448 ; 4-byte Folded Spill
	buffer_load_dword v4, off, s[0:3], s32 offset:440 ; 4-byte Folded Reload
	s_waitcnt vmcnt(0)
	v_cndmask_b32_e64 v4, 0, v4, s4
	v_cmp_lt_i32_e64 s4, v118, v32
	buffer_store_dword v4, off, s[0:3], s32 offset:440 ; 4-byte Folded Spill
	buffer_load_dword v4, off, s[0:3], s32 offset:432 ; 4-byte Folded Reload
	;; [unrolled: 5-line block ×3, first 2 shown]
	s_waitcnt vmcnt(0)
	v_cndmask_b32_e64 v4, 0, v4, s4
	buffer_store_dword v4, off, s[0:3], s32 offset:424 ; 4-byte Folded Spill
.LBB253_1263:                           ;   in Loop: Header=BB253_991 Depth=1
	s_or_b32 exec_lo, exec_lo, s9
	flat_load_dword v4, v[15:16] offset:1024
	v_mov_b32_e32 v19, 0
	v_mov_b32_e32 v17, 0
	;; [unrolled: 1-line block ×4, first 2 shown]
	s_waitcnt vmcnt(0) lgkmcnt(0)
	v_cmp_ne_u16_sdwa s4, v4, v6 src0_sel:BYTE_0 src1_sel:DWORD
	s_and_saveexec_b32 s9, s4
	s_cbranch_execz .LBB253_1271
; %bb.1264:                             ;   in Loop: Header=BB253_991 Depth=1
	v_bfrev_b32_e32 v17, 1
	v_mov_b32_e32 v18, 0
	v_cmp_ne_u16_sdwa s4, v4, v86 src0_sel:BYTE_0 src1_sel:DWORD
	s_and_saveexec_b32 s11, s4
	s_cbranch_execz .LBB253_1270
; %bb.1265:                             ;   in Loop: Header=BB253_991 Depth=1
	v_mov_b32_e32 v17, 0x7f800001
	v_and_b32_e32 v9, 0x7f, v4
	v_mov_b32_e32 v18, 0
	s_mov_b32 s12, exec_lo
	v_cmpx_ne_u32_e32 0x7f, v9
	s_cbranch_execz .LBB253_1269
; %bb.1266:                             ;   in Loop: Header=BB253_991 Depth=1
	v_and_b32_e32 v5, 7, v4
	v_lshrrev_b32_e32 v7, 3, v9
	s_mov_b32 s13, exec_lo
	v_cmpx_gt_u32_e32 8, v9
; %bb.1267:                             ;   in Loop: Header=BB253_991 Depth=1
	v_ffbh_u32_e32 v7, v5
	v_min_u32_e32 v7, 32, v7
	v_subrev_nc_u32_e32 v9, 28, v7
	v_sub_nc_u32_e32 v7, 29, v7
	v_lshlrev_b64 v[11:12], v9, v[5:6]
	v_and_b32_e32 v5, 7, v11
; %bb.1268:                             ;   in Loop: Header=BB253_991 Depth=1
	s_or_b32 exec_lo, exec_lo, s13
	v_lshlrev_b32_e32 v9, 24, v4
	v_lshlrev_b32_e32 v5, 20, v5
	v_lshl_add_u32 v7, v7, 23, 0x3c000000
	v_and_b32_e32 v9, 0x80000000, v9
	v_or3_b32 v5, v5, v9, v7
	v_mov_b32_e32 v18, v6
	v_mov_b32_e32 v17, v5
.LBB253_1269:                           ;   in Loop: Header=BB253_991 Depth=1
	s_or_b32 exec_lo, exec_lo, s12
.LBB253_1270:                           ;   in Loop: Header=BB253_991 Depth=1
	s_or_b32 exec_lo, exec_lo, s11
.LBB253_1271:                           ;   in Loop: Header=BB253_991 Depth=1
	s_or_b32 exec_lo, exec_lo, s9
	v_cmp_ne_u16_sdwa s4, v4, v6 src0_sel:BYTE_1 src1_sel:DWORD
	s_and_saveexec_b32 s9, s4
	s_cbranch_execz .LBB253_1279
; %bb.1272:                             ;   in Loop: Header=BB253_991 Depth=1
	v_mov_b32_e32 v7, v6
	v_mov_b32_e32 v20, v8
	v_cmp_ne_u16_sdwa s4, v4, v86 src0_sel:BYTE_1 src1_sel:DWORD
	v_mov_b32_e32 v19, v7
	s_and_saveexec_b32 s11, s4
	s_cbranch_execz .LBB253_1278
; %bb.1273:                             ;   in Loop: Header=BB253_991 Depth=1
	v_mov_b32_e32 v5, 0xffff
	v_mov_b32_e32 v9, v6
	;; [unrolled: 1-line block ×3, first 2 shown]
	s_mov_b32 s12, exec_lo
	v_and_b32_sdwa v5, v5, v4 dst_sel:DWORD dst_unused:UNUSED_PAD src0_sel:DWORD src1_sel:BYTE_1
	v_mov_b32_e32 v19, v9
	v_and_b32_e32 v11, 0x7f, v5
	v_cmpx_ne_u32_e32 0x7f, v11
	s_cbranch_execz .LBB253_1277
; %bb.1274:                             ;   in Loop: Header=BB253_991 Depth=1
	v_and_b32_e32 v5, 7, v5
	v_lshrrev_b32_e32 v7, 3, v11
	s_mov_b32 s13, exec_lo
	v_cmpx_gt_u32_e32 8, v11
; %bb.1275:                             ;   in Loop: Header=BB253_991 Depth=1
	v_ffbh_u32_e32 v7, v5
	v_min_u32_e32 v7, 32, v7
	v_subrev_nc_u32_e32 v9, 28, v7
	v_sub_nc_u32_e32 v7, 29, v7
	v_lshlrev_b64 v[11:12], v9, v[5:6]
	v_and_b32_e32 v5, 7, v11
; %bb.1276:                             ;   in Loop: Header=BB253_991 Depth=1
	s_or_b32 exec_lo, exec_lo, s13
	v_lshlrev_b32_e32 v9, 16, v4
	v_lshlrev_b32_e32 v5, 20, v5
	v_lshl_add_u32 v7, v7, 23, 0x3c000000
	v_mov_b32_e32 v19, v6
	v_and_b32_e32 v9, 0x80000000, v9
	v_or3_b32 v20, v5, v9, v7
.LBB253_1277:                           ;   in Loop: Header=BB253_991 Depth=1
	s_or_b32 exec_lo, exec_lo, s12
.LBB253_1278:                           ;   in Loop: Header=BB253_991 Depth=1
	s_or_b32 exec_lo, exec_lo, s11
.LBB253_1279:                           ;   in Loop: Header=BB253_991 Depth=1
	s_or_b32 exec_lo, exec_lo, s9
	v_mov_b32_e32 v23, 0
	v_mov_b32_e32 v21, 0
	v_and_b32_sdwa v5, v4, v96 dst_sel:DWORD dst_unused:UNUSED_PAD src0_sel:WORD_1 src1_sel:DWORD
	v_mov_b32_e32 v24, 0
	v_mov_b32_e32 v22, 0
	s_mov_b32 s9, exec_lo
	v_cmpx_ne_u16_e32 0, v5
	s_cbranch_execz .LBB253_1287
; %bb.1280:                             ;   in Loop: Header=BB253_991 Depth=1
	v_bfrev_b32_e32 v21, 1
	v_mov_b32_e32 v22, 0
	s_mov_b32 s11, exec_lo
	v_cmpx_ne_u16_e32 0x80, v5
	s_cbranch_execz .LBB253_1286
; %bb.1281:                             ;   in Loop: Header=BB253_991 Depth=1
	v_mov_b32_e32 v21, 0x7f800001
	v_bfe_u32 v9, v4, 16, 7
	v_mov_b32_e32 v22, 0
	s_mov_b32 s12, exec_lo
	v_cmpx_ne_u32_e32 0x7f, v9
	s_cbranch_execz .LBB253_1285
; %bb.1282:                             ;   in Loop: Header=BB253_991 Depth=1
	v_mov_b32_e32 v5, 7
	v_lshrrev_b32_e32 v7, 3, v9
	s_mov_b32 s13, exec_lo
	v_and_b32_sdwa v5, v4, v5 dst_sel:DWORD dst_unused:UNUSED_PAD src0_sel:WORD_1 src1_sel:DWORD
	v_cmpx_gt_u32_e32 8, v9
; %bb.1283:                             ;   in Loop: Header=BB253_991 Depth=1
	v_ffbh_u32_e32 v7, v5
	v_min_u32_e32 v7, 32, v7
	v_subrev_nc_u32_e32 v9, 28, v7
	v_sub_nc_u32_e32 v7, 29, v7
	v_lshlrev_b64 v[11:12], v9, v[5:6]
	v_and_b32_e32 v5, 7, v11
; %bb.1284:                             ;   in Loop: Header=BB253_991 Depth=1
	s_or_b32 exec_lo, exec_lo, s13
	v_mov_b32_e32 v9, 24
	v_lshlrev_b32_e32 v5, 20, v5
	v_lshl_add_u32 v7, v7, 23, 0x3c000000
	v_lshlrev_b32_sdwa v9, v9, v4 dst_sel:DWORD dst_unused:UNUSED_PAD src0_sel:DWORD src1_sel:WORD_1
	v_and_b32_e32 v9, 0x80000000, v9
	v_or3_b32 v5, v5, v9, v7
	v_mov_b32_e32 v22, v6
	v_mov_b32_e32 v21, v5
.LBB253_1285:                           ;   in Loop: Header=BB253_991 Depth=1
	s_or_b32 exec_lo, exec_lo, s12
.LBB253_1286:                           ;   in Loop: Header=BB253_991 Depth=1
	s_or_b32 exec_lo, exec_lo, s11
.LBB253_1287:                           ;   in Loop: Header=BB253_991 Depth=1
	s_or_b32 exec_lo, exec_lo, s9
	s_mov_b32 s9, exec_lo
	v_cmpx_lt_u32_e32 0xffffff, v4
	s_cbranch_execz .LBB253_1295
; %bb.1288:                             ;   in Loop: Header=BB253_991 Depth=1
	v_mov_b32_e32 v7, v6
	v_mov_b32_e32 v24, v8
	v_cmp_ne_u32_sdwa s4, v4, v86 src0_sel:BYTE_3 src1_sel:DWORD
	v_mov_b32_e32 v23, v7
	s_and_saveexec_b32 s11, s4
	s_cbranch_execz .LBB253_1294
; %bb.1289:                             ;   in Loop: Header=BB253_991 Depth=1
	v_mov_b32_e32 v9, v6
	v_mov_b32_e32 v24, v10
	v_bfe_u32 v11, v4, 24, 7
	s_mov_b32 s12, exec_lo
	v_mov_b32_e32 v23, v9
	v_cmpx_ne_u32_e32 0x7f, v11
	s_cbranch_execz .LBB253_1293
; %bb.1290:                             ;   in Loop: Header=BB253_991 Depth=1
	v_mov_b32_e32 v5, 7
	v_lshrrev_b32_e32 v7, 3, v11
	s_mov_b32 s13, exec_lo
	v_and_b32_sdwa v5, v4, v5 dst_sel:DWORD dst_unused:UNUSED_PAD src0_sel:BYTE_3 src1_sel:DWORD
	v_cmpx_gt_u32_e32 8, v11
; %bb.1291:                             ;   in Loop: Header=BB253_991 Depth=1
	v_ffbh_u32_e32 v7, v5
	v_min_u32_e32 v7, 32, v7
	v_subrev_nc_u32_e32 v9, 28, v7
	v_sub_nc_u32_e32 v7, 29, v7
	v_lshlrev_b64 v[11:12], v9, v[5:6]
	v_and_b32_e32 v5, 7, v11
; %bb.1292:                             ;   in Loop: Header=BB253_991 Depth=1
	s_or_b32 exec_lo, exec_lo, s13
	v_mov_b32_e32 v9, 24
	v_lshlrev_b32_e32 v5, 20, v5
	v_lshl_add_u32 v7, v7, 23, 0x3c000000
	v_mov_b32_e32 v23, v6
	v_lshlrev_b32_sdwa v4, v9, v4 dst_sel:DWORD dst_unused:UNUSED_PAD src0_sel:DWORD src1_sel:BYTE_3
	v_and_b32_e32 v4, 0x80000000, v4
	v_or3_b32 v24, v5, v4, v7
.LBB253_1293:                           ;   in Loop: Header=BB253_991 Depth=1
	s_or_b32 exec_lo, exec_lo, s12
.LBB253_1294:                           ;   in Loop: Header=BB253_991 Depth=1
	s_or_b32 exec_lo, exec_lo, s11
.LBB253_1295:                           ;   in Loop: Header=BB253_991 Depth=1
	s_or_b32 exec_lo, exec_lo, s9
	v_or_b32_e32 v4, v20, v18
	v_or_b32_e32 v5, v19, v17
	v_or_b32_e32 v7, v23, v21
	v_or_b32_e32 v9, v24, v22
	v_mul_f32_e32 v4, v100, v4
	buffer_store_dword v4, off, s[0:3], s32 offset:480 ; 4-byte Folded Spill
	v_mul_f32_e32 v4, v84, v5
	buffer_store_dword v4, off, s[0:3], s32 offset:472 ; 4-byte Folded Spill
	;; [unrolled: 2-line block ×4, first 2 shown]
	s_and_saveexec_b32 s9, vcc_lo
	s_cbranch_execz .LBB253_1297
; %bb.1296:                             ;   in Loop: Header=BB253_991 Depth=1
	buffer_load_dword v4, off, s[0:3], s32 offset:472 ; 4-byte Folded Reload
	v_cmp_lt_i32_e64 s4, v117, v32
	s_waitcnt vmcnt(0)
	v_cndmask_b32_e64 v4, 0, v4, s4
	v_cmp_lt_i32_e64 s4, v119, v32
	buffer_store_dword v4, off, s[0:3], s32 offset:472 ; 4-byte Folded Spill
	buffer_load_dword v4, off, s[0:3], s32 offset:480 ; 4-byte Folded Reload
	s_waitcnt vmcnt(0)
	v_cndmask_b32_e64 v4, 0, v4, s4
	v_cmp_lt_i32_e64 s4, v118, v32
	buffer_store_dword v4, off, s[0:3], s32 offset:480 ; 4-byte Folded Spill
	buffer_load_dword v4, off, s[0:3], s32 offset:464 ; 4-byte Folded Reload
	;; [unrolled: 5-line block ×3, first 2 shown]
	s_waitcnt vmcnt(0)
	v_cndmask_b32_e64 v4, 0, v4, s4
	buffer_store_dword v4, off, s[0:3], s32 offset:456 ; 4-byte Folded Spill
.LBB253_1297:                           ;   in Loop: Header=BB253_991 Depth=1
	s_or_b32 exec_lo, exec_lo, s9
	flat_load_dword v4, v[15:16] offset:1152
	v_mov_b32_e32 v19, 0
	v_mov_b32_e32 v17, 0
	;; [unrolled: 1-line block ×4, first 2 shown]
	s_waitcnt vmcnt(0) lgkmcnt(0)
	v_cmp_ne_u16_sdwa s4, v4, v6 src0_sel:BYTE_0 src1_sel:DWORD
	s_and_saveexec_b32 s9, s4
	s_cbranch_execz .LBB253_1305
; %bb.1298:                             ;   in Loop: Header=BB253_991 Depth=1
	v_bfrev_b32_e32 v17, 1
	v_mov_b32_e32 v18, 0
	v_cmp_ne_u16_sdwa s4, v4, v86 src0_sel:BYTE_0 src1_sel:DWORD
	s_and_saveexec_b32 s11, s4
	s_cbranch_execz .LBB253_1304
; %bb.1299:                             ;   in Loop: Header=BB253_991 Depth=1
	v_mov_b32_e32 v17, 0x7f800001
	v_and_b32_e32 v9, 0x7f, v4
	v_mov_b32_e32 v18, 0
	s_mov_b32 s12, exec_lo
	v_cmpx_ne_u32_e32 0x7f, v9
	s_cbranch_execz .LBB253_1303
; %bb.1300:                             ;   in Loop: Header=BB253_991 Depth=1
	v_and_b32_e32 v5, 7, v4
	v_lshrrev_b32_e32 v7, 3, v9
	s_mov_b32 s13, exec_lo
	v_cmpx_gt_u32_e32 8, v9
; %bb.1301:                             ;   in Loop: Header=BB253_991 Depth=1
	v_ffbh_u32_e32 v7, v5
	v_min_u32_e32 v7, 32, v7
	v_subrev_nc_u32_e32 v9, 28, v7
	v_sub_nc_u32_e32 v7, 29, v7
	v_lshlrev_b64 v[11:12], v9, v[5:6]
	v_and_b32_e32 v5, 7, v11
; %bb.1302:                             ;   in Loop: Header=BB253_991 Depth=1
	s_or_b32 exec_lo, exec_lo, s13
	v_lshlrev_b32_e32 v9, 24, v4
	v_lshlrev_b32_e32 v5, 20, v5
	v_lshl_add_u32 v7, v7, 23, 0x3c000000
	v_and_b32_e32 v9, 0x80000000, v9
	v_or3_b32 v5, v5, v9, v7
	v_mov_b32_e32 v18, v6
	v_mov_b32_e32 v17, v5
.LBB253_1303:                           ;   in Loop: Header=BB253_991 Depth=1
	s_or_b32 exec_lo, exec_lo, s12
.LBB253_1304:                           ;   in Loop: Header=BB253_991 Depth=1
	s_or_b32 exec_lo, exec_lo, s11
.LBB253_1305:                           ;   in Loop: Header=BB253_991 Depth=1
	s_or_b32 exec_lo, exec_lo, s9
	v_cmp_ne_u16_sdwa s4, v4, v6 src0_sel:BYTE_1 src1_sel:DWORD
	s_and_saveexec_b32 s9, s4
	s_cbranch_execz .LBB253_1313
; %bb.1306:                             ;   in Loop: Header=BB253_991 Depth=1
	v_mov_b32_e32 v7, v6
	v_mov_b32_e32 v20, v8
	v_cmp_ne_u16_sdwa s4, v4, v86 src0_sel:BYTE_1 src1_sel:DWORD
	v_mov_b32_e32 v19, v7
	s_and_saveexec_b32 s11, s4
	s_cbranch_execz .LBB253_1312
; %bb.1307:                             ;   in Loop: Header=BB253_991 Depth=1
	v_mov_b32_e32 v5, 0xffff
	v_mov_b32_e32 v9, v6
	;; [unrolled: 1-line block ×3, first 2 shown]
	s_mov_b32 s12, exec_lo
	v_and_b32_sdwa v5, v5, v4 dst_sel:DWORD dst_unused:UNUSED_PAD src0_sel:DWORD src1_sel:BYTE_1
	v_mov_b32_e32 v19, v9
	v_and_b32_e32 v11, 0x7f, v5
	v_cmpx_ne_u32_e32 0x7f, v11
	s_cbranch_execz .LBB253_1311
; %bb.1308:                             ;   in Loop: Header=BB253_991 Depth=1
	v_and_b32_e32 v5, 7, v5
	v_lshrrev_b32_e32 v7, 3, v11
	s_mov_b32 s13, exec_lo
	v_cmpx_gt_u32_e32 8, v11
; %bb.1309:                             ;   in Loop: Header=BB253_991 Depth=1
	v_ffbh_u32_e32 v7, v5
	v_min_u32_e32 v7, 32, v7
	v_subrev_nc_u32_e32 v9, 28, v7
	v_sub_nc_u32_e32 v7, 29, v7
	v_lshlrev_b64 v[11:12], v9, v[5:6]
	v_and_b32_e32 v5, 7, v11
; %bb.1310:                             ;   in Loop: Header=BB253_991 Depth=1
	s_or_b32 exec_lo, exec_lo, s13
	v_lshlrev_b32_e32 v9, 16, v4
	v_lshlrev_b32_e32 v5, 20, v5
	v_lshl_add_u32 v7, v7, 23, 0x3c000000
	v_mov_b32_e32 v19, v6
	v_and_b32_e32 v9, 0x80000000, v9
	v_or3_b32 v20, v5, v9, v7
.LBB253_1311:                           ;   in Loop: Header=BB253_991 Depth=1
	s_or_b32 exec_lo, exec_lo, s12
.LBB253_1312:                           ;   in Loop: Header=BB253_991 Depth=1
	s_or_b32 exec_lo, exec_lo, s11
.LBB253_1313:                           ;   in Loop: Header=BB253_991 Depth=1
	s_or_b32 exec_lo, exec_lo, s9
	v_mov_b32_e32 v23, 0
	v_mov_b32_e32 v21, 0
	v_and_b32_sdwa v5, v4, v96 dst_sel:DWORD dst_unused:UNUSED_PAD src0_sel:WORD_1 src1_sel:DWORD
	v_mov_b32_e32 v24, 0
	v_mov_b32_e32 v22, 0
	s_mov_b32 s9, exec_lo
	v_cmpx_ne_u16_e32 0, v5
	s_cbranch_execz .LBB253_1321
; %bb.1314:                             ;   in Loop: Header=BB253_991 Depth=1
	v_bfrev_b32_e32 v21, 1
	v_mov_b32_e32 v22, 0
	s_mov_b32 s11, exec_lo
	v_cmpx_ne_u16_e32 0x80, v5
	s_cbranch_execz .LBB253_1320
; %bb.1315:                             ;   in Loop: Header=BB253_991 Depth=1
	v_mov_b32_e32 v21, 0x7f800001
	v_bfe_u32 v9, v4, 16, 7
	v_mov_b32_e32 v22, 0
	s_mov_b32 s12, exec_lo
	v_cmpx_ne_u32_e32 0x7f, v9
	s_cbranch_execz .LBB253_1319
; %bb.1316:                             ;   in Loop: Header=BB253_991 Depth=1
	v_mov_b32_e32 v5, 7
	v_lshrrev_b32_e32 v7, 3, v9
	s_mov_b32 s13, exec_lo
	v_and_b32_sdwa v5, v4, v5 dst_sel:DWORD dst_unused:UNUSED_PAD src0_sel:WORD_1 src1_sel:DWORD
	v_cmpx_gt_u32_e32 8, v9
; %bb.1317:                             ;   in Loop: Header=BB253_991 Depth=1
	v_ffbh_u32_e32 v7, v5
	v_min_u32_e32 v7, 32, v7
	v_subrev_nc_u32_e32 v9, 28, v7
	v_sub_nc_u32_e32 v7, 29, v7
	v_lshlrev_b64 v[11:12], v9, v[5:6]
	v_and_b32_e32 v5, 7, v11
; %bb.1318:                             ;   in Loop: Header=BB253_991 Depth=1
	s_or_b32 exec_lo, exec_lo, s13
	v_mov_b32_e32 v9, 24
	v_lshlrev_b32_e32 v5, 20, v5
	v_lshl_add_u32 v7, v7, 23, 0x3c000000
	v_lshlrev_b32_sdwa v9, v9, v4 dst_sel:DWORD dst_unused:UNUSED_PAD src0_sel:DWORD src1_sel:WORD_1
	v_and_b32_e32 v9, 0x80000000, v9
	v_or3_b32 v5, v5, v9, v7
	v_mov_b32_e32 v22, v6
	v_mov_b32_e32 v21, v5
.LBB253_1319:                           ;   in Loop: Header=BB253_991 Depth=1
	s_or_b32 exec_lo, exec_lo, s12
.LBB253_1320:                           ;   in Loop: Header=BB253_991 Depth=1
	s_or_b32 exec_lo, exec_lo, s11
.LBB253_1321:                           ;   in Loop: Header=BB253_991 Depth=1
	s_or_b32 exec_lo, exec_lo, s9
	s_mov_b32 s9, exec_lo
	v_cmpx_lt_u32_e32 0xffffff, v4
	s_cbranch_execz .LBB253_1329
; %bb.1322:                             ;   in Loop: Header=BB253_991 Depth=1
	v_mov_b32_e32 v7, v6
	v_mov_b32_e32 v24, v8
	v_cmp_ne_u32_sdwa s4, v4, v86 src0_sel:BYTE_3 src1_sel:DWORD
	v_mov_b32_e32 v23, v7
	s_and_saveexec_b32 s11, s4
	s_cbranch_execz .LBB253_1328
; %bb.1323:                             ;   in Loop: Header=BB253_991 Depth=1
	v_mov_b32_e32 v9, v6
	v_mov_b32_e32 v24, v10
	v_bfe_u32 v11, v4, 24, 7
	s_mov_b32 s12, exec_lo
	v_mov_b32_e32 v23, v9
	v_cmpx_ne_u32_e32 0x7f, v11
	s_cbranch_execz .LBB253_1327
; %bb.1324:                             ;   in Loop: Header=BB253_991 Depth=1
	v_mov_b32_e32 v5, 7
	v_lshrrev_b32_e32 v7, 3, v11
	s_mov_b32 s13, exec_lo
	v_and_b32_sdwa v5, v4, v5 dst_sel:DWORD dst_unused:UNUSED_PAD src0_sel:BYTE_3 src1_sel:DWORD
	v_cmpx_gt_u32_e32 8, v11
; %bb.1325:                             ;   in Loop: Header=BB253_991 Depth=1
	v_ffbh_u32_e32 v7, v5
	v_min_u32_e32 v7, 32, v7
	v_subrev_nc_u32_e32 v9, 28, v7
	v_sub_nc_u32_e32 v7, 29, v7
	v_lshlrev_b64 v[11:12], v9, v[5:6]
	v_and_b32_e32 v5, 7, v11
; %bb.1326:                             ;   in Loop: Header=BB253_991 Depth=1
	s_or_b32 exec_lo, exec_lo, s13
	v_mov_b32_e32 v9, 24
	v_lshlrev_b32_e32 v5, 20, v5
	v_lshl_add_u32 v7, v7, 23, 0x3c000000
	v_mov_b32_e32 v23, v6
	v_lshlrev_b32_sdwa v4, v9, v4 dst_sel:DWORD dst_unused:UNUSED_PAD src0_sel:DWORD src1_sel:BYTE_3
	v_and_b32_e32 v4, 0x80000000, v4
	v_or3_b32 v24, v5, v4, v7
.LBB253_1327:                           ;   in Loop: Header=BB253_991 Depth=1
	s_or_b32 exec_lo, exec_lo, s12
.LBB253_1328:                           ;   in Loop: Header=BB253_991 Depth=1
	s_or_b32 exec_lo, exec_lo, s11
.LBB253_1329:                           ;   in Loop: Header=BB253_991 Depth=1
	s_or_b32 exec_lo, exec_lo, s9
	v_or_b32_e32 v4, v20, v18
	v_or_b32_e32 v5, v19, v17
	;; [unrolled: 1-line block ×4, first 2 shown]
	v_mul_f32_e32 v4, v100, v4
	buffer_store_dword v4, off, s[0:3], s32 offset:512 ; 4-byte Folded Spill
	v_mul_f32_e32 v4, v84, v5
	buffer_store_dword v4, off, s[0:3], s32 offset:504 ; 4-byte Folded Spill
	;; [unrolled: 2-line block ×4, first 2 shown]
	s_and_saveexec_b32 s9, vcc_lo
	s_cbranch_execz .LBB253_1331
; %bb.1330:                             ;   in Loop: Header=BB253_991 Depth=1
	buffer_load_dword v4, off, s[0:3], s32 offset:504 ; 4-byte Folded Reload
	v_cmp_lt_i32_e64 s4, v117, v32
	s_waitcnt vmcnt(0)
	v_cndmask_b32_e64 v4, 0, v4, s4
	v_cmp_lt_i32_e64 s4, v119, v32
	buffer_store_dword v4, off, s[0:3], s32 offset:504 ; 4-byte Folded Spill
	buffer_load_dword v4, off, s[0:3], s32 offset:512 ; 4-byte Folded Reload
	s_waitcnt vmcnt(0)
	v_cndmask_b32_e64 v4, 0, v4, s4
	v_cmp_lt_i32_e64 s4, v118, v32
	buffer_store_dword v4, off, s[0:3], s32 offset:512 ; 4-byte Folded Spill
	buffer_load_dword v4, off, s[0:3], s32 offset:496 ; 4-byte Folded Reload
	;; [unrolled: 5-line block ×3, first 2 shown]
	s_waitcnt vmcnt(0)
	v_cndmask_b32_e64 v4, 0, v4, s4
	buffer_store_dword v4, off, s[0:3], s32 offset:488 ; 4-byte Folded Spill
.LBB253_1331:                           ;   in Loop: Header=BB253_991 Depth=1
	s_or_b32 exec_lo, exec_lo, s9
	flat_load_dword v4, v[15:16] offset:1280
	v_mov_b32_e32 v19, 0
	v_mov_b32_e32 v17, 0
	;; [unrolled: 1-line block ×4, first 2 shown]
	s_waitcnt vmcnt(0) lgkmcnt(0)
	v_cmp_ne_u16_sdwa s4, v4, v6 src0_sel:BYTE_0 src1_sel:DWORD
	s_and_saveexec_b32 s9, s4
	s_cbranch_execz .LBB253_1339
; %bb.1332:                             ;   in Loop: Header=BB253_991 Depth=1
	v_bfrev_b32_e32 v17, 1
	v_mov_b32_e32 v18, 0
	v_cmp_ne_u16_sdwa s4, v4, v86 src0_sel:BYTE_0 src1_sel:DWORD
	s_and_saveexec_b32 s11, s4
	s_cbranch_execz .LBB253_1338
; %bb.1333:                             ;   in Loop: Header=BB253_991 Depth=1
	v_mov_b32_e32 v17, 0x7f800001
	v_and_b32_e32 v9, 0x7f, v4
	v_mov_b32_e32 v18, 0
	s_mov_b32 s12, exec_lo
	v_cmpx_ne_u32_e32 0x7f, v9
	s_cbranch_execz .LBB253_1337
; %bb.1334:                             ;   in Loop: Header=BB253_991 Depth=1
	v_and_b32_e32 v5, 7, v4
	v_lshrrev_b32_e32 v7, 3, v9
	s_mov_b32 s13, exec_lo
	v_cmpx_gt_u32_e32 8, v9
; %bb.1335:                             ;   in Loop: Header=BB253_991 Depth=1
	v_ffbh_u32_e32 v7, v5
	v_min_u32_e32 v7, 32, v7
	v_subrev_nc_u32_e32 v9, 28, v7
	v_sub_nc_u32_e32 v7, 29, v7
	v_lshlrev_b64 v[11:12], v9, v[5:6]
	v_and_b32_e32 v5, 7, v11
; %bb.1336:                             ;   in Loop: Header=BB253_991 Depth=1
	s_or_b32 exec_lo, exec_lo, s13
	v_lshlrev_b32_e32 v9, 24, v4
	v_lshlrev_b32_e32 v5, 20, v5
	v_lshl_add_u32 v7, v7, 23, 0x3c000000
	v_and_b32_e32 v9, 0x80000000, v9
	v_or3_b32 v5, v5, v9, v7
	v_mov_b32_e32 v18, v6
	v_mov_b32_e32 v17, v5
.LBB253_1337:                           ;   in Loop: Header=BB253_991 Depth=1
	s_or_b32 exec_lo, exec_lo, s12
.LBB253_1338:                           ;   in Loop: Header=BB253_991 Depth=1
	s_or_b32 exec_lo, exec_lo, s11
.LBB253_1339:                           ;   in Loop: Header=BB253_991 Depth=1
	s_or_b32 exec_lo, exec_lo, s9
	v_cmp_ne_u16_sdwa s4, v4, v6 src0_sel:BYTE_1 src1_sel:DWORD
	s_and_saveexec_b32 s9, s4
	s_cbranch_execz .LBB253_1347
; %bb.1340:                             ;   in Loop: Header=BB253_991 Depth=1
	v_mov_b32_e32 v7, v6
	v_mov_b32_e32 v20, v8
	v_cmp_ne_u16_sdwa s4, v4, v86 src0_sel:BYTE_1 src1_sel:DWORD
	v_mov_b32_e32 v19, v7
	s_and_saveexec_b32 s11, s4
	s_cbranch_execz .LBB253_1346
; %bb.1341:                             ;   in Loop: Header=BB253_991 Depth=1
	v_mov_b32_e32 v5, 0xffff
	v_mov_b32_e32 v9, v6
	;; [unrolled: 1-line block ×3, first 2 shown]
	s_mov_b32 s12, exec_lo
	v_and_b32_sdwa v5, v5, v4 dst_sel:DWORD dst_unused:UNUSED_PAD src0_sel:DWORD src1_sel:BYTE_1
	v_mov_b32_e32 v19, v9
	v_and_b32_e32 v11, 0x7f, v5
	v_cmpx_ne_u32_e32 0x7f, v11
	s_cbranch_execz .LBB253_1345
; %bb.1342:                             ;   in Loop: Header=BB253_991 Depth=1
	v_and_b32_e32 v5, 7, v5
	v_lshrrev_b32_e32 v7, 3, v11
	s_mov_b32 s13, exec_lo
	v_cmpx_gt_u32_e32 8, v11
; %bb.1343:                             ;   in Loop: Header=BB253_991 Depth=1
	v_ffbh_u32_e32 v7, v5
	v_min_u32_e32 v7, 32, v7
	v_subrev_nc_u32_e32 v9, 28, v7
	v_sub_nc_u32_e32 v7, 29, v7
	v_lshlrev_b64 v[11:12], v9, v[5:6]
	v_and_b32_e32 v5, 7, v11
; %bb.1344:                             ;   in Loop: Header=BB253_991 Depth=1
	s_or_b32 exec_lo, exec_lo, s13
	v_lshlrev_b32_e32 v9, 16, v4
	v_lshlrev_b32_e32 v5, 20, v5
	v_lshl_add_u32 v7, v7, 23, 0x3c000000
	v_mov_b32_e32 v19, v6
	v_and_b32_e32 v9, 0x80000000, v9
	v_or3_b32 v20, v5, v9, v7
.LBB253_1345:                           ;   in Loop: Header=BB253_991 Depth=1
	s_or_b32 exec_lo, exec_lo, s12
.LBB253_1346:                           ;   in Loop: Header=BB253_991 Depth=1
	s_or_b32 exec_lo, exec_lo, s11
.LBB253_1347:                           ;   in Loop: Header=BB253_991 Depth=1
	s_or_b32 exec_lo, exec_lo, s9
	v_mov_b32_e32 v23, 0
	v_mov_b32_e32 v21, 0
	v_and_b32_sdwa v5, v4, v96 dst_sel:DWORD dst_unused:UNUSED_PAD src0_sel:WORD_1 src1_sel:DWORD
	v_mov_b32_e32 v24, 0
	v_mov_b32_e32 v22, 0
	s_mov_b32 s9, exec_lo
	v_cmpx_ne_u16_e32 0, v5
	s_cbranch_execz .LBB253_1355
; %bb.1348:                             ;   in Loop: Header=BB253_991 Depth=1
	v_bfrev_b32_e32 v21, 1
	v_mov_b32_e32 v22, 0
	s_mov_b32 s11, exec_lo
	v_cmpx_ne_u16_e32 0x80, v5
	s_cbranch_execz .LBB253_1354
; %bb.1349:                             ;   in Loop: Header=BB253_991 Depth=1
	v_mov_b32_e32 v21, 0x7f800001
	v_bfe_u32 v9, v4, 16, 7
	v_mov_b32_e32 v22, 0
	s_mov_b32 s12, exec_lo
	v_cmpx_ne_u32_e32 0x7f, v9
	s_cbranch_execz .LBB253_1353
; %bb.1350:                             ;   in Loop: Header=BB253_991 Depth=1
	v_mov_b32_e32 v5, 7
	v_lshrrev_b32_e32 v7, 3, v9
	s_mov_b32 s13, exec_lo
	v_and_b32_sdwa v5, v4, v5 dst_sel:DWORD dst_unused:UNUSED_PAD src0_sel:WORD_1 src1_sel:DWORD
	v_cmpx_gt_u32_e32 8, v9
; %bb.1351:                             ;   in Loop: Header=BB253_991 Depth=1
	v_ffbh_u32_e32 v7, v5
	v_min_u32_e32 v7, 32, v7
	v_subrev_nc_u32_e32 v9, 28, v7
	v_sub_nc_u32_e32 v7, 29, v7
	v_lshlrev_b64 v[11:12], v9, v[5:6]
	v_and_b32_e32 v5, 7, v11
; %bb.1352:                             ;   in Loop: Header=BB253_991 Depth=1
	s_or_b32 exec_lo, exec_lo, s13
	v_mov_b32_e32 v9, 24
	v_lshlrev_b32_e32 v5, 20, v5
	v_lshl_add_u32 v7, v7, 23, 0x3c000000
	v_lshlrev_b32_sdwa v9, v9, v4 dst_sel:DWORD dst_unused:UNUSED_PAD src0_sel:DWORD src1_sel:WORD_1
	v_and_b32_e32 v9, 0x80000000, v9
	v_or3_b32 v5, v5, v9, v7
	v_mov_b32_e32 v22, v6
	v_mov_b32_e32 v21, v5
.LBB253_1353:                           ;   in Loop: Header=BB253_991 Depth=1
	s_or_b32 exec_lo, exec_lo, s12
.LBB253_1354:                           ;   in Loop: Header=BB253_991 Depth=1
	s_or_b32 exec_lo, exec_lo, s11
.LBB253_1355:                           ;   in Loop: Header=BB253_991 Depth=1
	s_or_b32 exec_lo, exec_lo, s9
	s_mov_b32 s9, exec_lo
	v_cmpx_lt_u32_e32 0xffffff, v4
	s_cbranch_execz .LBB253_1363
; %bb.1356:                             ;   in Loop: Header=BB253_991 Depth=1
	v_mov_b32_e32 v7, v6
	v_mov_b32_e32 v24, v8
	v_cmp_ne_u32_sdwa s4, v4, v86 src0_sel:BYTE_3 src1_sel:DWORD
	v_mov_b32_e32 v23, v7
	s_and_saveexec_b32 s11, s4
	s_cbranch_execz .LBB253_1362
; %bb.1357:                             ;   in Loop: Header=BB253_991 Depth=1
	v_mov_b32_e32 v9, v6
	v_mov_b32_e32 v24, v10
	v_bfe_u32 v11, v4, 24, 7
	s_mov_b32 s12, exec_lo
	v_mov_b32_e32 v23, v9
	v_cmpx_ne_u32_e32 0x7f, v11
	s_cbranch_execz .LBB253_1361
; %bb.1358:                             ;   in Loop: Header=BB253_991 Depth=1
	v_mov_b32_e32 v5, 7
	v_lshrrev_b32_e32 v7, 3, v11
	s_mov_b32 s13, exec_lo
	v_and_b32_sdwa v5, v4, v5 dst_sel:DWORD dst_unused:UNUSED_PAD src0_sel:BYTE_3 src1_sel:DWORD
	v_cmpx_gt_u32_e32 8, v11
; %bb.1359:                             ;   in Loop: Header=BB253_991 Depth=1
	v_ffbh_u32_e32 v7, v5
	v_min_u32_e32 v7, 32, v7
	v_subrev_nc_u32_e32 v9, 28, v7
	v_sub_nc_u32_e32 v7, 29, v7
	v_lshlrev_b64 v[11:12], v9, v[5:6]
	v_and_b32_e32 v5, 7, v11
; %bb.1360:                             ;   in Loop: Header=BB253_991 Depth=1
	s_or_b32 exec_lo, exec_lo, s13
	v_mov_b32_e32 v9, 24
	v_lshlrev_b32_e32 v5, 20, v5
	v_lshl_add_u32 v7, v7, 23, 0x3c000000
	v_mov_b32_e32 v23, v6
	v_lshlrev_b32_sdwa v4, v9, v4 dst_sel:DWORD dst_unused:UNUSED_PAD src0_sel:DWORD src1_sel:BYTE_3
	v_and_b32_e32 v4, 0x80000000, v4
	v_or3_b32 v24, v5, v4, v7
.LBB253_1361:                           ;   in Loop: Header=BB253_991 Depth=1
	s_or_b32 exec_lo, exec_lo, s12
.LBB253_1362:                           ;   in Loop: Header=BB253_991 Depth=1
	s_or_b32 exec_lo, exec_lo, s11
.LBB253_1363:                           ;   in Loop: Header=BB253_991 Depth=1
	s_or_b32 exec_lo, exec_lo, s9
	v_or_b32_e32 v4, v20, v18
	v_or_b32_e32 v5, v19, v17
	;; [unrolled: 1-line block ×4, first 2 shown]
	v_mul_f32_e32 v4, v100, v4
	buffer_store_dword v4, off, s[0:3], s32 offset:536 ; 4-byte Folded Spill
	v_mul_f32_e32 v4, v84, v5
	buffer_store_dword v4, off, s[0:3], s32 offset:544 ; 4-byte Folded Spill
	;; [unrolled: 2-line block ×4, first 2 shown]
	s_and_saveexec_b32 s9, vcc_lo
	s_cbranch_execz .LBB253_1365
; %bb.1364:                             ;   in Loop: Header=BB253_991 Depth=1
	buffer_load_dword v4, off, s[0:3], s32 offset:544 ; 4-byte Folded Reload
	v_cmp_lt_i32_e64 s4, v117, v32
	s_waitcnt vmcnt(0)
	v_cndmask_b32_e64 v4, 0, v4, s4
	v_cmp_lt_i32_e64 s4, v119, v32
	buffer_store_dword v4, off, s[0:3], s32 offset:544 ; 4-byte Folded Spill
	buffer_load_dword v4, off, s[0:3], s32 offset:536 ; 4-byte Folded Reload
	s_waitcnt vmcnt(0)
	v_cndmask_b32_e64 v4, 0, v4, s4
	v_cmp_lt_i32_e64 s4, v118, v32
	buffer_store_dword v4, off, s[0:3], s32 offset:536 ; 4-byte Folded Spill
	buffer_load_dword v4, off, s[0:3], s32 offset:528 ; 4-byte Folded Reload
	;; [unrolled: 5-line block ×3, first 2 shown]
	s_waitcnt vmcnt(0)
	v_cndmask_b32_e64 v4, 0, v4, s4
	buffer_store_dword v4, off, s[0:3], s32 offset:520 ; 4-byte Folded Spill
.LBB253_1365:                           ;   in Loop: Header=BB253_991 Depth=1
	s_or_b32 exec_lo, exec_lo, s9
	flat_load_dword v4, v[15:16] offset:1408
	v_mov_b32_e32 v19, 0
	v_mov_b32_e32 v17, 0
	;; [unrolled: 1-line block ×4, first 2 shown]
	s_waitcnt vmcnt(0) lgkmcnt(0)
	v_cmp_ne_u16_sdwa s4, v4, v6 src0_sel:BYTE_0 src1_sel:DWORD
	s_and_saveexec_b32 s9, s4
	s_cbranch_execz .LBB253_1373
; %bb.1366:                             ;   in Loop: Header=BB253_991 Depth=1
	v_bfrev_b32_e32 v17, 1
	v_mov_b32_e32 v18, 0
	v_cmp_ne_u16_sdwa s4, v4, v86 src0_sel:BYTE_0 src1_sel:DWORD
	s_and_saveexec_b32 s11, s4
	s_cbranch_execz .LBB253_1372
; %bb.1367:                             ;   in Loop: Header=BB253_991 Depth=1
	v_mov_b32_e32 v17, 0x7f800001
	v_and_b32_e32 v9, 0x7f, v4
	v_mov_b32_e32 v18, 0
	s_mov_b32 s12, exec_lo
	v_cmpx_ne_u32_e32 0x7f, v9
	s_cbranch_execz .LBB253_1371
; %bb.1368:                             ;   in Loop: Header=BB253_991 Depth=1
	v_and_b32_e32 v5, 7, v4
	v_lshrrev_b32_e32 v7, 3, v9
	s_mov_b32 s13, exec_lo
	v_cmpx_gt_u32_e32 8, v9
; %bb.1369:                             ;   in Loop: Header=BB253_991 Depth=1
	v_ffbh_u32_e32 v7, v5
	v_min_u32_e32 v7, 32, v7
	v_subrev_nc_u32_e32 v9, 28, v7
	v_sub_nc_u32_e32 v7, 29, v7
	v_lshlrev_b64 v[11:12], v9, v[5:6]
	v_and_b32_e32 v5, 7, v11
; %bb.1370:                             ;   in Loop: Header=BB253_991 Depth=1
	s_or_b32 exec_lo, exec_lo, s13
	v_lshlrev_b32_e32 v9, 24, v4
	v_lshlrev_b32_e32 v5, 20, v5
	v_lshl_add_u32 v7, v7, 23, 0x3c000000
	v_and_b32_e32 v9, 0x80000000, v9
	v_or3_b32 v5, v5, v9, v7
	v_mov_b32_e32 v18, v6
	v_mov_b32_e32 v17, v5
.LBB253_1371:                           ;   in Loop: Header=BB253_991 Depth=1
	s_or_b32 exec_lo, exec_lo, s12
.LBB253_1372:                           ;   in Loop: Header=BB253_991 Depth=1
	s_or_b32 exec_lo, exec_lo, s11
.LBB253_1373:                           ;   in Loop: Header=BB253_991 Depth=1
	s_or_b32 exec_lo, exec_lo, s9
	v_cmp_ne_u16_sdwa s4, v4, v6 src0_sel:BYTE_1 src1_sel:DWORD
	s_and_saveexec_b32 s9, s4
	s_cbranch_execz .LBB253_1381
; %bb.1374:                             ;   in Loop: Header=BB253_991 Depth=1
	v_mov_b32_e32 v7, v6
	v_mov_b32_e32 v20, v8
	v_cmp_ne_u16_sdwa s4, v4, v86 src0_sel:BYTE_1 src1_sel:DWORD
	v_mov_b32_e32 v19, v7
	s_and_saveexec_b32 s11, s4
	s_cbranch_execz .LBB253_1380
; %bb.1375:                             ;   in Loop: Header=BB253_991 Depth=1
	v_mov_b32_e32 v5, 0xffff
	v_mov_b32_e32 v9, v6
	;; [unrolled: 1-line block ×3, first 2 shown]
	s_mov_b32 s12, exec_lo
	v_and_b32_sdwa v5, v5, v4 dst_sel:DWORD dst_unused:UNUSED_PAD src0_sel:DWORD src1_sel:BYTE_1
	v_mov_b32_e32 v19, v9
	v_and_b32_e32 v11, 0x7f, v5
	v_cmpx_ne_u32_e32 0x7f, v11
	s_cbranch_execz .LBB253_1379
; %bb.1376:                             ;   in Loop: Header=BB253_991 Depth=1
	v_and_b32_e32 v5, 7, v5
	v_lshrrev_b32_e32 v7, 3, v11
	s_mov_b32 s13, exec_lo
	v_cmpx_gt_u32_e32 8, v11
; %bb.1377:                             ;   in Loop: Header=BB253_991 Depth=1
	v_ffbh_u32_e32 v7, v5
	v_min_u32_e32 v7, 32, v7
	v_subrev_nc_u32_e32 v9, 28, v7
	v_sub_nc_u32_e32 v7, 29, v7
	v_lshlrev_b64 v[11:12], v9, v[5:6]
	v_and_b32_e32 v5, 7, v11
; %bb.1378:                             ;   in Loop: Header=BB253_991 Depth=1
	s_or_b32 exec_lo, exec_lo, s13
	v_lshlrev_b32_e32 v9, 16, v4
	v_lshlrev_b32_e32 v5, 20, v5
	v_lshl_add_u32 v7, v7, 23, 0x3c000000
	v_mov_b32_e32 v19, v6
	v_and_b32_e32 v9, 0x80000000, v9
	v_or3_b32 v20, v5, v9, v7
.LBB253_1379:                           ;   in Loop: Header=BB253_991 Depth=1
	s_or_b32 exec_lo, exec_lo, s12
.LBB253_1380:                           ;   in Loop: Header=BB253_991 Depth=1
	s_or_b32 exec_lo, exec_lo, s11
.LBB253_1381:                           ;   in Loop: Header=BB253_991 Depth=1
	s_or_b32 exec_lo, exec_lo, s9
	v_mov_b32_e32 v23, 0
	v_mov_b32_e32 v21, 0
	v_and_b32_sdwa v5, v4, v96 dst_sel:DWORD dst_unused:UNUSED_PAD src0_sel:WORD_1 src1_sel:DWORD
	v_mov_b32_e32 v24, 0
	v_mov_b32_e32 v22, 0
	s_mov_b32 s9, exec_lo
	v_cmpx_ne_u16_e32 0, v5
	s_cbranch_execz .LBB253_1389
; %bb.1382:                             ;   in Loop: Header=BB253_991 Depth=1
	v_bfrev_b32_e32 v21, 1
	v_mov_b32_e32 v22, 0
	s_mov_b32 s11, exec_lo
	v_cmpx_ne_u16_e32 0x80, v5
	s_cbranch_execz .LBB253_1388
; %bb.1383:                             ;   in Loop: Header=BB253_991 Depth=1
	v_mov_b32_e32 v21, 0x7f800001
	v_bfe_u32 v9, v4, 16, 7
	v_mov_b32_e32 v22, 0
	s_mov_b32 s12, exec_lo
	v_cmpx_ne_u32_e32 0x7f, v9
	s_cbranch_execz .LBB253_1387
; %bb.1384:                             ;   in Loop: Header=BB253_991 Depth=1
	v_mov_b32_e32 v5, 7
	v_lshrrev_b32_e32 v7, 3, v9
	s_mov_b32 s13, exec_lo
	v_and_b32_sdwa v5, v4, v5 dst_sel:DWORD dst_unused:UNUSED_PAD src0_sel:WORD_1 src1_sel:DWORD
	v_cmpx_gt_u32_e32 8, v9
; %bb.1385:                             ;   in Loop: Header=BB253_991 Depth=1
	v_ffbh_u32_e32 v7, v5
	v_min_u32_e32 v7, 32, v7
	v_subrev_nc_u32_e32 v9, 28, v7
	v_sub_nc_u32_e32 v7, 29, v7
	v_lshlrev_b64 v[11:12], v9, v[5:6]
	v_and_b32_e32 v5, 7, v11
; %bb.1386:                             ;   in Loop: Header=BB253_991 Depth=1
	s_or_b32 exec_lo, exec_lo, s13
	v_mov_b32_e32 v9, 24
	v_lshlrev_b32_e32 v5, 20, v5
	v_lshl_add_u32 v7, v7, 23, 0x3c000000
	v_lshlrev_b32_sdwa v9, v9, v4 dst_sel:DWORD dst_unused:UNUSED_PAD src0_sel:DWORD src1_sel:WORD_1
	v_and_b32_e32 v9, 0x80000000, v9
	v_or3_b32 v5, v5, v9, v7
	v_mov_b32_e32 v22, v6
	v_mov_b32_e32 v21, v5
.LBB253_1387:                           ;   in Loop: Header=BB253_991 Depth=1
	s_or_b32 exec_lo, exec_lo, s12
.LBB253_1388:                           ;   in Loop: Header=BB253_991 Depth=1
	s_or_b32 exec_lo, exec_lo, s11
.LBB253_1389:                           ;   in Loop: Header=BB253_991 Depth=1
	s_or_b32 exec_lo, exec_lo, s9
	s_mov_b32 s9, exec_lo
	v_cmpx_lt_u32_e32 0xffffff, v4
	s_cbranch_execz .LBB253_1397
; %bb.1390:                             ;   in Loop: Header=BB253_991 Depth=1
	v_mov_b32_e32 v7, v6
	v_mov_b32_e32 v24, v8
	v_cmp_ne_u32_sdwa s4, v4, v86 src0_sel:BYTE_3 src1_sel:DWORD
	v_mov_b32_e32 v23, v7
	s_and_saveexec_b32 s11, s4
	s_cbranch_execz .LBB253_1396
; %bb.1391:                             ;   in Loop: Header=BB253_991 Depth=1
	v_mov_b32_e32 v9, v6
	v_mov_b32_e32 v24, v10
	v_bfe_u32 v11, v4, 24, 7
	s_mov_b32 s12, exec_lo
	v_mov_b32_e32 v23, v9
	v_cmpx_ne_u32_e32 0x7f, v11
	s_cbranch_execz .LBB253_1395
; %bb.1392:                             ;   in Loop: Header=BB253_991 Depth=1
	v_mov_b32_e32 v5, 7
	v_lshrrev_b32_e32 v7, 3, v11
	s_mov_b32 s13, exec_lo
	v_and_b32_sdwa v5, v4, v5 dst_sel:DWORD dst_unused:UNUSED_PAD src0_sel:BYTE_3 src1_sel:DWORD
	v_cmpx_gt_u32_e32 8, v11
; %bb.1393:                             ;   in Loop: Header=BB253_991 Depth=1
	v_ffbh_u32_e32 v7, v5
	v_min_u32_e32 v7, 32, v7
	v_subrev_nc_u32_e32 v9, 28, v7
	v_sub_nc_u32_e32 v7, 29, v7
	v_lshlrev_b64 v[11:12], v9, v[5:6]
	v_and_b32_e32 v5, 7, v11
; %bb.1394:                             ;   in Loop: Header=BB253_991 Depth=1
	s_or_b32 exec_lo, exec_lo, s13
	v_mov_b32_e32 v9, 24
	v_lshlrev_b32_e32 v5, 20, v5
	v_lshl_add_u32 v7, v7, 23, 0x3c000000
	v_mov_b32_e32 v23, v6
	v_lshlrev_b32_sdwa v4, v9, v4 dst_sel:DWORD dst_unused:UNUSED_PAD src0_sel:DWORD src1_sel:BYTE_3
	v_and_b32_e32 v4, 0x80000000, v4
	v_or3_b32 v24, v5, v4, v7
.LBB253_1395:                           ;   in Loop: Header=BB253_991 Depth=1
	s_or_b32 exec_lo, exec_lo, s12
.LBB253_1396:                           ;   in Loop: Header=BB253_991 Depth=1
	s_or_b32 exec_lo, exec_lo, s11
.LBB253_1397:                           ;   in Loop: Header=BB253_991 Depth=1
	s_or_b32 exec_lo, exec_lo, s9
	v_or_b32_e32 v4, v20, v18
	v_or_b32_e32 v5, v19, v17
	;; [unrolled: 1-line block ×4, first 2 shown]
	v_mul_f32_e32 v4, v100, v4
	buffer_store_dword v4, off, s[0:3], s32 offset:568 ; 4-byte Folded Spill
	v_mul_f32_e32 v4, v84, v5
	buffer_store_dword v4, off, s[0:3], s32 offset:576 ; 4-byte Folded Spill
	;; [unrolled: 2-line block ×4, first 2 shown]
	s_and_saveexec_b32 s9, vcc_lo
	s_cbranch_execz .LBB253_1399
; %bb.1398:                             ;   in Loop: Header=BB253_991 Depth=1
	buffer_load_dword v4, off, s[0:3], s32 offset:576 ; 4-byte Folded Reload
	v_cmp_lt_i32_e64 s4, v117, v32
	s_waitcnt vmcnt(0)
	v_cndmask_b32_e64 v4, 0, v4, s4
	v_cmp_lt_i32_e64 s4, v119, v32
	buffer_store_dword v4, off, s[0:3], s32 offset:576 ; 4-byte Folded Spill
	buffer_load_dword v4, off, s[0:3], s32 offset:568 ; 4-byte Folded Reload
	s_waitcnt vmcnt(0)
	v_cndmask_b32_e64 v4, 0, v4, s4
	v_cmp_lt_i32_e64 s4, v118, v32
	buffer_store_dword v4, off, s[0:3], s32 offset:568 ; 4-byte Folded Spill
	buffer_load_dword v4, off, s[0:3], s32 offset:560 ; 4-byte Folded Reload
	;; [unrolled: 5-line block ×3, first 2 shown]
	s_waitcnt vmcnt(0)
	v_cndmask_b32_e64 v4, 0, v4, s4
	buffer_store_dword v4, off, s[0:3], s32 offset:552 ; 4-byte Folded Spill
.LBB253_1399:                           ;   in Loop: Header=BB253_991 Depth=1
	s_or_b32 exec_lo, exec_lo, s9
	flat_load_dword v4, v[15:16] offset:1536
	v_mov_b32_e32 v19, 0
	v_mov_b32_e32 v17, 0
	;; [unrolled: 1-line block ×4, first 2 shown]
	s_waitcnt vmcnt(0) lgkmcnt(0)
	v_cmp_ne_u16_sdwa s4, v4, v6 src0_sel:BYTE_0 src1_sel:DWORD
	s_and_saveexec_b32 s9, s4
	s_cbranch_execz .LBB253_1407
; %bb.1400:                             ;   in Loop: Header=BB253_991 Depth=1
	v_bfrev_b32_e32 v17, 1
	v_mov_b32_e32 v18, 0
	v_cmp_ne_u16_sdwa s4, v4, v86 src0_sel:BYTE_0 src1_sel:DWORD
	s_and_saveexec_b32 s11, s4
	s_cbranch_execz .LBB253_1406
; %bb.1401:                             ;   in Loop: Header=BB253_991 Depth=1
	v_mov_b32_e32 v17, 0x7f800001
	v_and_b32_e32 v9, 0x7f, v4
	v_mov_b32_e32 v18, 0
	s_mov_b32 s12, exec_lo
	v_cmpx_ne_u32_e32 0x7f, v9
	s_cbranch_execz .LBB253_1405
; %bb.1402:                             ;   in Loop: Header=BB253_991 Depth=1
	v_and_b32_e32 v5, 7, v4
	v_lshrrev_b32_e32 v7, 3, v9
	s_mov_b32 s13, exec_lo
	v_cmpx_gt_u32_e32 8, v9
; %bb.1403:                             ;   in Loop: Header=BB253_991 Depth=1
	v_ffbh_u32_e32 v7, v5
	v_min_u32_e32 v7, 32, v7
	v_subrev_nc_u32_e32 v9, 28, v7
	v_sub_nc_u32_e32 v7, 29, v7
	v_lshlrev_b64 v[11:12], v9, v[5:6]
	v_and_b32_e32 v5, 7, v11
; %bb.1404:                             ;   in Loop: Header=BB253_991 Depth=1
	s_or_b32 exec_lo, exec_lo, s13
	v_lshlrev_b32_e32 v9, 24, v4
	v_lshlrev_b32_e32 v5, 20, v5
	v_lshl_add_u32 v7, v7, 23, 0x3c000000
	v_and_b32_e32 v9, 0x80000000, v9
	v_or3_b32 v5, v5, v9, v7
	v_mov_b32_e32 v18, v6
	v_mov_b32_e32 v17, v5
.LBB253_1405:                           ;   in Loop: Header=BB253_991 Depth=1
	s_or_b32 exec_lo, exec_lo, s12
.LBB253_1406:                           ;   in Loop: Header=BB253_991 Depth=1
	s_or_b32 exec_lo, exec_lo, s11
.LBB253_1407:                           ;   in Loop: Header=BB253_991 Depth=1
	s_or_b32 exec_lo, exec_lo, s9
	v_cmp_ne_u16_sdwa s4, v4, v6 src0_sel:BYTE_1 src1_sel:DWORD
	s_and_saveexec_b32 s9, s4
	s_cbranch_execz .LBB253_1415
; %bb.1408:                             ;   in Loop: Header=BB253_991 Depth=1
	v_mov_b32_e32 v7, v6
	v_mov_b32_e32 v20, v8
	v_cmp_ne_u16_sdwa s4, v4, v86 src0_sel:BYTE_1 src1_sel:DWORD
	v_mov_b32_e32 v19, v7
	s_and_saveexec_b32 s11, s4
	s_cbranch_execz .LBB253_1414
; %bb.1409:                             ;   in Loop: Header=BB253_991 Depth=1
	v_mov_b32_e32 v5, 0xffff
	v_mov_b32_e32 v9, v6
	;; [unrolled: 1-line block ×3, first 2 shown]
	s_mov_b32 s12, exec_lo
	v_and_b32_sdwa v5, v5, v4 dst_sel:DWORD dst_unused:UNUSED_PAD src0_sel:DWORD src1_sel:BYTE_1
	v_mov_b32_e32 v19, v9
	v_and_b32_e32 v11, 0x7f, v5
	v_cmpx_ne_u32_e32 0x7f, v11
	s_cbranch_execz .LBB253_1413
; %bb.1410:                             ;   in Loop: Header=BB253_991 Depth=1
	v_and_b32_e32 v5, 7, v5
	v_lshrrev_b32_e32 v7, 3, v11
	s_mov_b32 s13, exec_lo
	v_cmpx_gt_u32_e32 8, v11
; %bb.1411:                             ;   in Loop: Header=BB253_991 Depth=1
	v_ffbh_u32_e32 v7, v5
	v_min_u32_e32 v7, 32, v7
	v_subrev_nc_u32_e32 v9, 28, v7
	v_sub_nc_u32_e32 v7, 29, v7
	v_lshlrev_b64 v[11:12], v9, v[5:6]
	v_and_b32_e32 v5, 7, v11
; %bb.1412:                             ;   in Loop: Header=BB253_991 Depth=1
	s_or_b32 exec_lo, exec_lo, s13
	v_lshlrev_b32_e32 v9, 16, v4
	v_lshlrev_b32_e32 v5, 20, v5
	v_lshl_add_u32 v7, v7, 23, 0x3c000000
	v_mov_b32_e32 v19, v6
	v_and_b32_e32 v9, 0x80000000, v9
	v_or3_b32 v20, v5, v9, v7
.LBB253_1413:                           ;   in Loop: Header=BB253_991 Depth=1
	s_or_b32 exec_lo, exec_lo, s12
.LBB253_1414:                           ;   in Loop: Header=BB253_991 Depth=1
	s_or_b32 exec_lo, exec_lo, s11
.LBB253_1415:                           ;   in Loop: Header=BB253_991 Depth=1
	s_or_b32 exec_lo, exec_lo, s9
	v_mov_b32_e32 v23, 0
	v_mov_b32_e32 v21, 0
	v_and_b32_sdwa v5, v4, v96 dst_sel:DWORD dst_unused:UNUSED_PAD src0_sel:WORD_1 src1_sel:DWORD
	v_mov_b32_e32 v24, 0
	v_mov_b32_e32 v22, 0
	s_mov_b32 s9, exec_lo
	v_cmpx_ne_u16_e32 0, v5
	s_cbranch_execz .LBB253_1423
; %bb.1416:                             ;   in Loop: Header=BB253_991 Depth=1
	v_bfrev_b32_e32 v21, 1
	v_mov_b32_e32 v22, 0
	s_mov_b32 s11, exec_lo
	v_cmpx_ne_u16_e32 0x80, v5
	s_cbranch_execz .LBB253_1422
; %bb.1417:                             ;   in Loop: Header=BB253_991 Depth=1
	v_mov_b32_e32 v21, 0x7f800001
	v_bfe_u32 v9, v4, 16, 7
	v_mov_b32_e32 v22, 0
	s_mov_b32 s12, exec_lo
	v_cmpx_ne_u32_e32 0x7f, v9
	s_cbranch_execz .LBB253_1421
; %bb.1418:                             ;   in Loop: Header=BB253_991 Depth=1
	v_mov_b32_e32 v5, 7
	v_lshrrev_b32_e32 v7, 3, v9
	s_mov_b32 s13, exec_lo
	v_and_b32_sdwa v5, v4, v5 dst_sel:DWORD dst_unused:UNUSED_PAD src0_sel:WORD_1 src1_sel:DWORD
	v_cmpx_gt_u32_e32 8, v9
; %bb.1419:                             ;   in Loop: Header=BB253_991 Depth=1
	v_ffbh_u32_e32 v7, v5
	v_min_u32_e32 v7, 32, v7
	v_subrev_nc_u32_e32 v9, 28, v7
	v_sub_nc_u32_e32 v7, 29, v7
	v_lshlrev_b64 v[11:12], v9, v[5:6]
	v_and_b32_e32 v5, 7, v11
; %bb.1420:                             ;   in Loop: Header=BB253_991 Depth=1
	s_or_b32 exec_lo, exec_lo, s13
	v_mov_b32_e32 v9, 24
	v_lshlrev_b32_e32 v5, 20, v5
	v_lshl_add_u32 v7, v7, 23, 0x3c000000
	v_lshlrev_b32_sdwa v9, v9, v4 dst_sel:DWORD dst_unused:UNUSED_PAD src0_sel:DWORD src1_sel:WORD_1
	v_and_b32_e32 v9, 0x80000000, v9
	v_or3_b32 v5, v5, v9, v7
	v_mov_b32_e32 v22, v6
	v_mov_b32_e32 v21, v5
.LBB253_1421:                           ;   in Loop: Header=BB253_991 Depth=1
	s_or_b32 exec_lo, exec_lo, s12
.LBB253_1422:                           ;   in Loop: Header=BB253_991 Depth=1
	s_or_b32 exec_lo, exec_lo, s11
.LBB253_1423:                           ;   in Loop: Header=BB253_991 Depth=1
	s_or_b32 exec_lo, exec_lo, s9
	s_mov_b32 s9, exec_lo
	v_cmpx_lt_u32_e32 0xffffff, v4
	s_cbranch_execz .LBB253_1431
; %bb.1424:                             ;   in Loop: Header=BB253_991 Depth=1
	v_mov_b32_e32 v7, v6
	v_mov_b32_e32 v24, v8
	v_cmp_ne_u32_sdwa s4, v4, v86 src0_sel:BYTE_3 src1_sel:DWORD
	v_mov_b32_e32 v23, v7
	s_and_saveexec_b32 s11, s4
	s_cbranch_execz .LBB253_1430
; %bb.1425:                             ;   in Loop: Header=BB253_991 Depth=1
	v_mov_b32_e32 v9, v6
	v_mov_b32_e32 v24, v10
	v_bfe_u32 v11, v4, 24, 7
	s_mov_b32 s12, exec_lo
	v_mov_b32_e32 v23, v9
	v_cmpx_ne_u32_e32 0x7f, v11
	s_cbranch_execz .LBB253_1429
; %bb.1426:                             ;   in Loop: Header=BB253_991 Depth=1
	v_mov_b32_e32 v5, 7
	v_lshrrev_b32_e32 v7, 3, v11
	s_mov_b32 s13, exec_lo
	v_and_b32_sdwa v5, v4, v5 dst_sel:DWORD dst_unused:UNUSED_PAD src0_sel:BYTE_3 src1_sel:DWORD
	v_cmpx_gt_u32_e32 8, v11
; %bb.1427:                             ;   in Loop: Header=BB253_991 Depth=1
	v_ffbh_u32_e32 v7, v5
	v_min_u32_e32 v7, 32, v7
	v_subrev_nc_u32_e32 v9, 28, v7
	v_sub_nc_u32_e32 v7, 29, v7
	v_lshlrev_b64 v[11:12], v9, v[5:6]
	v_and_b32_e32 v5, 7, v11
; %bb.1428:                             ;   in Loop: Header=BB253_991 Depth=1
	s_or_b32 exec_lo, exec_lo, s13
	v_mov_b32_e32 v9, 24
	v_lshlrev_b32_e32 v5, 20, v5
	v_lshl_add_u32 v7, v7, 23, 0x3c000000
	v_mov_b32_e32 v23, v6
	v_lshlrev_b32_sdwa v4, v9, v4 dst_sel:DWORD dst_unused:UNUSED_PAD src0_sel:DWORD src1_sel:BYTE_3
	v_and_b32_e32 v4, 0x80000000, v4
	v_or3_b32 v24, v5, v4, v7
.LBB253_1429:                           ;   in Loop: Header=BB253_991 Depth=1
	s_or_b32 exec_lo, exec_lo, s12
.LBB253_1430:                           ;   in Loop: Header=BB253_991 Depth=1
	s_or_b32 exec_lo, exec_lo, s11
.LBB253_1431:                           ;   in Loop: Header=BB253_991 Depth=1
	s_or_b32 exec_lo, exec_lo, s9
	v_or_b32_e32 v4, v20, v18
	v_or_b32_e32 v7, v23, v21
	;; [unrolled: 1-line block ×4, first 2 shown]
	v_mul_f32_e32 v4, v100, v4
	v_mul_f32_e32 v123, v84, v5
	buffer_store_dword v4, off, s[0:3], s32 offset:600 ; 4-byte Folded Spill
	v_mul_f32_e32 v4, v84, v7
	buffer_store_dword v4, off, s[0:3], s32 offset:592 ; 4-byte Folded Spill
	;; [unrolled: 2-line block ×3, first 2 shown]
	s_and_saveexec_b32 s9, vcc_lo
	s_cbranch_execz .LBB253_1433
; %bb.1432:                             ;   in Loop: Header=BB253_991 Depth=1
	buffer_load_dword v4, off, s[0:3], s32 offset:600 ; 4-byte Folded Reload
	v_cmp_lt_i32_e64 s4, v117, v32
	v_cndmask_b32_e64 v123, 0, v123, s4
	v_cmp_lt_i32_e64 s4, v119, v32
	s_waitcnt vmcnt(0)
	v_cndmask_b32_e64 v4, 0, v4, s4
	v_cmp_lt_i32_e64 s4, v118, v32
	buffer_store_dword v4, off, s[0:3], s32 offset:600 ; 4-byte Folded Spill
	buffer_load_dword v4, off, s[0:3], s32 offset:592 ; 4-byte Folded Reload
	s_waitcnt vmcnt(0)
	v_cndmask_b32_e64 v4, 0, v4, s4
	v_cmp_lt_i32_e64 s4, v33, v32
	buffer_store_dword v4, off, s[0:3], s32 offset:592 ; 4-byte Folded Spill
	buffer_load_dword v4, off, s[0:3], s32 offset:584 ; 4-byte Folded Reload
	s_waitcnt vmcnt(0)
	v_cndmask_b32_e64 v4, 0, v4, s4
	buffer_store_dword v4, off, s[0:3], s32 offset:584 ; 4-byte Folded Spill
.LBB253_1433:                           ;   in Loop: Header=BB253_991 Depth=1
	s_or_b32 exec_lo, exec_lo, s9
	flat_load_dword v4, v[15:16] offset:1664
	v_mov_b32_e32 v19, 0
	v_mov_b32_e32 v17, 0
	;; [unrolled: 1-line block ×4, first 2 shown]
	s_waitcnt vmcnt(0) lgkmcnt(0)
	v_cmp_ne_u16_sdwa s4, v4, v6 src0_sel:BYTE_0 src1_sel:DWORD
	s_and_saveexec_b32 s9, s4
	s_cbranch_execz .LBB253_1441
; %bb.1434:                             ;   in Loop: Header=BB253_991 Depth=1
	v_bfrev_b32_e32 v17, 1
	v_mov_b32_e32 v18, 0
	v_cmp_ne_u16_sdwa s4, v4, v86 src0_sel:BYTE_0 src1_sel:DWORD
	s_and_saveexec_b32 s11, s4
	s_cbranch_execz .LBB253_1440
; %bb.1435:                             ;   in Loop: Header=BB253_991 Depth=1
	v_mov_b32_e32 v17, 0x7f800001
	v_and_b32_e32 v9, 0x7f, v4
	v_mov_b32_e32 v18, 0
	s_mov_b32 s12, exec_lo
	v_cmpx_ne_u32_e32 0x7f, v9
	s_cbranch_execz .LBB253_1439
; %bb.1436:                             ;   in Loop: Header=BB253_991 Depth=1
	v_and_b32_e32 v5, 7, v4
	v_lshrrev_b32_e32 v7, 3, v9
	s_mov_b32 s13, exec_lo
	v_cmpx_gt_u32_e32 8, v9
; %bb.1437:                             ;   in Loop: Header=BB253_991 Depth=1
	v_ffbh_u32_e32 v7, v5
	v_min_u32_e32 v7, 32, v7
	v_subrev_nc_u32_e32 v9, 28, v7
	v_sub_nc_u32_e32 v7, 29, v7
	v_lshlrev_b64 v[11:12], v9, v[5:6]
	v_and_b32_e32 v5, 7, v11
; %bb.1438:                             ;   in Loop: Header=BB253_991 Depth=1
	s_or_b32 exec_lo, exec_lo, s13
	v_lshlrev_b32_e32 v9, 24, v4
	v_lshlrev_b32_e32 v5, 20, v5
	v_lshl_add_u32 v7, v7, 23, 0x3c000000
	v_and_b32_e32 v9, 0x80000000, v9
	v_or3_b32 v5, v5, v9, v7
	v_mov_b32_e32 v18, v6
	v_mov_b32_e32 v17, v5
.LBB253_1439:                           ;   in Loop: Header=BB253_991 Depth=1
	s_or_b32 exec_lo, exec_lo, s12
.LBB253_1440:                           ;   in Loop: Header=BB253_991 Depth=1
	s_or_b32 exec_lo, exec_lo, s11
.LBB253_1441:                           ;   in Loop: Header=BB253_991 Depth=1
	s_or_b32 exec_lo, exec_lo, s9
	v_cmp_ne_u16_sdwa s4, v4, v6 src0_sel:BYTE_1 src1_sel:DWORD
	s_and_saveexec_b32 s9, s4
	s_cbranch_execz .LBB253_1449
; %bb.1442:                             ;   in Loop: Header=BB253_991 Depth=1
	v_mov_b32_e32 v7, v6
	v_mov_b32_e32 v20, v8
	v_cmp_ne_u16_sdwa s4, v4, v86 src0_sel:BYTE_1 src1_sel:DWORD
	v_mov_b32_e32 v19, v7
	s_and_saveexec_b32 s11, s4
	s_cbranch_execz .LBB253_1448
; %bb.1443:                             ;   in Loop: Header=BB253_991 Depth=1
	v_mov_b32_e32 v5, 0xffff
	v_mov_b32_e32 v9, v6
	;; [unrolled: 1-line block ×3, first 2 shown]
	s_mov_b32 s12, exec_lo
	v_and_b32_sdwa v5, v5, v4 dst_sel:DWORD dst_unused:UNUSED_PAD src0_sel:DWORD src1_sel:BYTE_1
	v_mov_b32_e32 v19, v9
	v_and_b32_e32 v11, 0x7f, v5
	v_cmpx_ne_u32_e32 0x7f, v11
	s_cbranch_execz .LBB253_1447
; %bb.1444:                             ;   in Loop: Header=BB253_991 Depth=1
	v_and_b32_e32 v5, 7, v5
	v_lshrrev_b32_e32 v7, 3, v11
	s_mov_b32 s13, exec_lo
	v_cmpx_gt_u32_e32 8, v11
; %bb.1445:                             ;   in Loop: Header=BB253_991 Depth=1
	v_ffbh_u32_e32 v7, v5
	v_min_u32_e32 v7, 32, v7
	v_subrev_nc_u32_e32 v9, 28, v7
	v_sub_nc_u32_e32 v7, 29, v7
	v_lshlrev_b64 v[11:12], v9, v[5:6]
	v_and_b32_e32 v5, 7, v11
; %bb.1446:                             ;   in Loop: Header=BB253_991 Depth=1
	s_or_b32 exec_lo, exec_lo, s13
	v_lshlrev_b32_e32 v9, 16, v4
	v_lshlrev_b32_e32 v5, 20, v5
	v_lshl_add_u32 v7, v7, 23, 0x3c000000
	v_mov_b32_e32 v19, v6
	v_and_b32_e32 v9, 0x80000000, v9
	v_or3_b32 v20, v5, v9, v7
.LBB253_1447:                           ;   in Loop: Header=BB253_991 Depth=1
	s_or_b32 exec_lo, exec_lo, s12
.LBB253_1448:                           ;   in Loop: Header=BB253_991 Depth=1
	s_or_b32 exec_lo, exec_lo, s11
.LBB253_1449:                           ;   in Loop: Header=BB253_991 Depth=1
	s_or_b32 exec_lo, exec_lo, s9
	v_mov_b32_e32 v21, 0
	v_mov_b32_e32 v23, 0
	v_and_b32_sdwa v5, v4, v96 dst_sel:DWORD dst_unused:UNUSED_PAD src0_sel:WORD_1 src1_sel:DWORD
	v_mov_b32_e32 v22, 0
	v_mov_b32_e32 v24, 0
	s_mov_b32 s9, exec_lo
	v_cmpx_ne_u16_e32 0, v5
	s_cbranch_execz .LBB253_1457
; %bb.1450:                             ;   in Loop: Header=BB253_991 Depth=1
	v_bfrev_b32_e32 v23, 1
	v_mov_b32_e32 v24, 0
	s_mov_b32 s11, exec_lo
	v_cmpx_ne_u16_e32 0x80, v5
	s_cbranch_execz .LBB253_1456
; %bb.1451:                             ;   in Loop: Header=BB253_991 Depth=1
	v_mov_b32_e32 v23, 0x7f800001
	v_bfe_u32 v9, v4, 16, 7
	v_mov_b32_e32 v24, 0
	s_mov_b32 s12, exec_lo
	v_cmpx_ne_u32_e32 0x7f, v9
	s_cbranch_execz .LBB253_1455
; %bb.1452:                             ;   in Loop: Header=BB253_991 Depth=1
	v_mov_b32_e32 v5, 7
	v_lshrrev_b32_e32 v7, 3, v9
	s_mov_b32 s13, exec_lo
	v_and_b32_sdwa v5, v4, v5 dst_sel:DWORD dst_unused:UNUSED_PAD src0_sel:WORD_1 src1_sel:DWORD
	v_cmpx_gt_u32_e32 8, v9
; %bb.1453:                             ;   in Loop: Header=BB253_991 Depth=1
	v_ffbh_u32_e32 v7, v5
	v_min_u32_e32 v7, 32, v7
	v_subrev_nc_u32_e32 v9, 28, v7
	v_sub_nc_u32_e32 v7, 29, v7
	v_lshlrev_b64 v[11:12], v9, v[5:6]
	v_and_b32_e32 v5, 7, v11
; %bb.1454:                             ;   in Loop: Header=BB253_991 Depth=1
	s_or_b32 exec_lo, exec_lo, s13
	v_mov_b32_e32 v9, 24
	v_lshlrev_b32_e32 v5, 20, v5
	v_lshl_add_u32 v7, v7, 23, 0x3c000000
	v_lshlrev_b32_sdwa v9, v9, v4 dst_sel:DWORD dst_unused:UNUSED_PAD src0_sel:DWORD src1_sel:WORD_1
	v_and_b32_e32 v9, 0x80000000, v9
	v_or3_b32 v5, v5, v9, v7
	v_mov_b32_e32 v24, v6
	v_mov_b32_e32 v23, v5
.LBB253_1455:                           ;   in Loop: Header=BB253_991 Depth=1
	s_or_b32 exec_lo, exec_lo, s12
.LBB253_1456:                           ;   in Loop: Header=BB253_991 Depth=1
	s_or_b32 exec_lo, exec_lo, s11
.LBB253_1457:                           ;   in Loop: Header=BB253_991 Depth=1
	s_or_b32 exec_lo, exec_lo, s9
	s_mov_b32 s9, exec_lo
	v_cmpx_lt_u32_e32 0xffffff, v4
	s_cbranch_execz .LBB253_1465
; %bb.1458:                             ;   in Loop: Header=BB253_991 Depth=1
	v_mov_b32_e32 v7, v6
	v_mov_b32_e32 v22, v8
	v_cmp_ne_u32_sdwa s4, v4, v86 src0_sel:BYTE_3 src1_sel:DWORD
	v_mov_b32_e32 v21, v7
	s_and_saveexec_b32 s11, s4
	s_cbranch_execz .LBB253_1464
; %bb.1459:                             ;   in Loop: Header=BB253_991 Depth=1
	v_mov_b32_e32 v9, v6
	v_mov_b32_e32 v22, v10
	v_bfe_u32 v11, v4, 24, 7
	s_mov_b32 s12, exec_lo
	v_mov_b32_e32 v21, v9
	v_cmpx_ne_u32_e32 0x7f, v11
	s_cbranch_execz .LBB253_1463
; %bb.1460:                             ;   in Loop: Header=BB253_991 Depth=1
	v_mov_b32_e32 v5, 7
	v_lshrrev_b32_e32 v7, 3, v11
	s_mov_b32 s13, exec_lo
	v_and_b32_sdwa v5, v4, v5 dst_sel:DWORD dst_unused:UNUSED_PAD src0_sel:BYTE_3 src1_sel:DWORD
	v_cmpx_gt_u32_e32 8, v11
; %bb.1461:                             ;   in Loop: Header=BB253_991 Depth=1
	v_ffbh_u32_e32 v7, v5
	v_min_u32_e32 v7, 32, v7
	v_subrev_nc_u32_e32 v9, 28, v7
	v_sub_nc_u32_e32 v7, 29, v7
	v_lshlrev_b64 v[11:12], v9, v[5:6]
	v_and_b32_e32 v5, 7, v11
; %bb.1462:                             ;   in Loop: Header=BB253_991 Depth=1
	s_or_b32 exec_lo, exec_lo, s13
	v_mov_b32_e32 v9, 24
	v_lshlrev_b32_e32 v5, 20, v5
	v_lshl_add_u32 v7, v7, 23, 0x3c000000
	v_mov_b32_e32 v21, v6
	v_lshlrev_b32_sdwa v4, v9, v4 dst_sel:DWORD dst_unused:UNUSED_PAD src0_sel:DWORD src1_sel:BYTE_3
	v_and_b32_e32 v4, 0x80000000, v4
	v_or3_b32 v22, v5, v4, v7
.LBB253_1463:                           ;   in Loop: Header=BB253_991 Depth=1
	s_or_b32 exec_lo, exec_lo, s12
.LBB253_1464:                           ;   in Loop: Header=BB253_991 Depth=1
	s_or_b32 exec_lo, exec_lo, s11
.LBB253_1465:                           ;   in Loop: Header=BB253_991 Depth=1
	s_or_b32 exec_lo, exec_lo, s9
	v_or_b32_e32 v4, v20, v18
	v_or_b32_e32 v5, v19, v17
	;; [unrolled: 1-line block ×4, first 2 shown]
	v_mul_f32_e32 v127, v100, v4
	v_mul_f32_e32 v126, v84, v5
	;; [unrolled: 1-line block ×4, first 2 shown]
	s_and_saveexec_b32 s9, vcc_lo
	s_cbranch_execz .LBB253_1467
; %bb.1466:                             ;   in Loop: Header=BB253_991 Depth=1
	v_cmp_lt_i32_e64 s4, v117, v32
	v_cndmask_b32_e64 v126, 0, v126, s4
	v_cmp_lt_i32_e64 s4, v119, v32
	v_cndmask_b32_e64 v127, 0, v127, s4
	;; [unrolled: 2-line block ×4, first 2 shown]
.LBB253_1467:                           ;   in Loop: Header=BB253_991 Depth=1
	s_or_b32 exec_lo, exec_lo, s9
	flat_load_dword v4, v[15:16] offset:1792
	v_mov_b32_e32 v19, 0
	v_mov_b32_e32 v17, 0
	;; [unrolled: 1-line block ×4, first 2 shown]
	s_waitcnt vmcnt(0) lgkmcnt(0)
	v_cmp_ne_u16_sdwa s4, v4, v6 src0_sel:BYTE_0 src1_sel:DWORD
	s_and_saveexec_b32 s9, s4
	s_cbranch_execz .LBB253_1475
; %bb.1468:                             ;   in Loop: Header=BB253_991 Depth=1
	v_bfrev_b32_e32 v17, 1
	v_mov_b32_e32 v18, 0
	v_cmp_ne_u16_sdwa s4, v4, v86 src0_sel:BYTE_0 src1_sel:DWORD
	s_and_saveexec_b32 s11, s4
	s_cbranch_execz .LBB253_1474
; %bb.1469:                             ;   in Loop: Header=BB253_991 Depth=1
	v_mov_b32_e32 v17, 0x7f800001
	v_and_b32_e32 v9, 0x7f, v4
	v_mov_b32_e32 v18, 0
	s_mov_b32 s12, exec_lo
	v_cmpx_ne_u32_e32 0x7f, v9
	s_cbranch_execz .LBB253_1473
; %bb.1470:                             ;   in Loop: Header=BB253_991 Depth=1
	v_and_b32_e32 v5, 7, v4
	v_lshrrev_b32_e32 v7, 3, v9
	s_mov_b32 s13, exec_lo
	v_cmpx_gt_u32_e32 8, v9
; %bb.1471:                             ;   in Loop: Header=BB253_991 Depth=1
	v_ffbh_u32_e32 v7, v5
	v_min_u32_e32 v7, 32, v7
	v_subrev_nc_u32_e32 v9, 28, v7
	v_sub_nc_u32_e32 v7, 29, v7
	v_lshlrev_b64 v[11:12], v9, v[5:6]
	v_and_b32_e32 v5, 7, v11
; %bb.1472:                             ;   in Loop: Header=BB253_991 Depth=1
	s_or_b32 exec_lo, exec_lo, s13
	v_lshlrev_b32_e32 v9, 24, v4
	v_lshlrev_b32_e32 v5, 20, v5
	v_lshl_add_u32 v7, v7, 23, 0x3c000000
	v_and_b32_e32 v9, 0x80000000, v9
	v_or3_b32 v5, v5, v9, v7
	v_mov_b32_e32 v18, v6
	v_mov_b32_e32 v17, v5
.LBB253_1473:                           ;   in Loop: Header=BB253_991 Depth=1
	s_or_b32 exec_lo, exec_lo, s12
.LBB253_1474:                           ;   in Loop: Header=BB253_991 Depth=1
	s_or_b32 exec_lo, exec_lo, s11
.LBB253_1475:                           ;   in Loop: Header=BB253_991 Depth=1
	s_or_b32 exec_lo, exec_lo, s9
	v_cmp_ne_u16_sdwa s4, v4, v6 src0_sel:BYTE_1 src1_sel:DWORD
	s_and_saveexec_b32 s9, s4
	s_cbranch_execz .LBB253_1483
; %bb.1476:                             ;   in Loop: Header=BB253_991 Depth=1
	v_mov_b32_e32 v7, v6
	v_mov_b32_e32 v20, v8
	v_cmp_ne_u16_sdwa s4, v4, v86 src0_sel:BYTE_1 src1_sel:DWORD
	v_mov_b32_e32 v19, v7
	s_and_saveexec_b32 s11, s4
	s_cbranch_execz .LBB253_1482
; %bb.1477:                             ;   in Loop: Header=BB253_991 Depth=1
	v_mov_b32_e32 v5, 0xffff
	v_mov_b32_e32 v9, v6
	;; [unrolled: 1-line block ×3, first 2 shown]
	s_mov_b32 s12, exec_lo
	v_and_b32_sdwa v5, v5, v4 dst_sel:DWORD dst_unused:UNUSED_PAD src0_sel:DWORD src1_sel:BYTE_1
	v_mov_b32_e32 v19, v9
	v_and_b32_e32 v11, 0x7f, v5
	v_cmpx_ne_u32_e32 0x7f, v11
	s_cbranch_execz .LBB253_1481
; %bb.1478:                             ;   in Loop: Header=BB253_991 Depth=1
	v_and_b32_e32 v5, 7, v5
	v_lshrrev_b32_e32 v7, 3, v11
	s_mov_b32 s13, exec_lo
	v_cmpx_gt_u32_e32 8, v11
; %bb.1479:                             ;   in Loop: Header=BB253_991 Depth=1
	v_ffbh_u32_e32 v7, v5
	v_min_u32_e32 v7, 32, v7
	v_subrev_nc_u32_e32 v9, 28, v7
	v_sub_nc_u32_e32 v7, 29, v7
	v_lshlrev_b64 v[11:12], v9, v[5:6]
	v_and_b32_e32 v5, 7, v11
; %bb.1480:                             ;   in Loop: Header=BB253_991 Depth=1
	s_or_b32 exec_lo, exec_lo, s13
	v_lshlrev_b32_e32 v9, 16, v4
	v_lshlrev_b32_e32 v5, 20, v5
	v_lshl_add_u32 v7, v7, 23, 0x3c000000
	v_mov_b32_e32 v19, v6
	v_and_b32_e32 v9, 0x80000000, v9
	v_or3_b32 v20, v5, v9, v7
.LBB253_1481:                           ;   in Loop: Header=BB253_991 Depth=1
	s_or_b32 exec_lo, exec_lo, s12
.LBB253_1482:                           ;   in Loop: Header=BB253_991 Depth=1
	s_or_b32 exec_lo, exec_lo, s11
.LBB253_1483:                           ;   in Loop: Header=BB253_991 Depth=1
	s_or_b32 exec_lo, exec_lo, s9
	v_mov_b32_e32 v21, 0
	v_mov_b32_e32 v23, 0
	v_and_b32_sdwa v5, v4, v96 dst_sel:DWORD dst_unused:UNUSED_PAD src0_sel:WORD_1 src1_sel:DWORD
	v_mov_b32_e32 v22, 0
	v_mov_b32_e32 v24, 0
	s_mov_b32 s9, exec_lo
	v_cmpx_ne_u16_e32 0, v5
	s_cbranch_execz .LBB253_1491
; %bb.1484:                             ;   in Loop: Header=BB253_991 Depth=1
	v_bfrev_b32_e32 v23, 1
	v_mov_b32_e32 v24, 0
	s_mov_b32 s11, exec_lo
	v_cmpx_ne_u16_e32 0x80, v5
	s_cbranch_execz .LBB253_1490
; %bb.1485:                             ;   in Loop: Header=BB253_991 Depth=1
	v_mov_b32_e32 v23, 0x7f800001
	v_bfe_u32 v9, v4, 16, 7
	v_mov_b32_e32 v24, 0
	s_mov_b32 s12, exec_lo
	v_cmpx_ne_u32_e32 0x7f, v9
	s_cbranch_execz .LBB253_1489
; %bb.1486:                             ;   in Loop: Header=BB253_991 Depth=1
	v_mov_b32_e32 v5, 7
	v_lshrrev_b32_e32 v7, 3, v9
	s_mov_b32 s13, exec_lo
	v_and_b32_sdwa v5, v4, v5 dst_sel:DWORD dst_unused:UNUSED_PAD src0_sel:WORD_1 src1_sel:DWORD
	v_cmpx_gt_u32_e32 8, v9
; %bb.1487:                             ;   in Loop: Header=BB253_991 Depth=1
	v_ffbh_u32_e32 v7, v5
	v_min_u32_e32 v7, 32, v7
	v_subrev_nc_u32_e32 v9, 28, v7
	v_sub_nc_u32_e32 v7, 29, v7
	v_lshlrev_b64 v[11:12], v9, v[5:6]
	v_and_b32_e32 v5, 7, v11
; %bb.1488:                             ;   in Loop: Header=BB253_991 Depth=1
	s_or_b32 exec_lo, exec_lo, s13
	v_mov_b32_e32 v9, 24
	v_lshlrev_b32_e32 v5, 20, v5
	v_lshl_add_u32 v7, v7, 23, 0x3c000000
	v_lshlrev_b32_sdwa v9, v9, v4 dst_sel:DWORD dst_unused:UNUSED_PAD src0_sel:DWORD src1_sel:WORD_1
	v_and_b32_e32 v9, 0x80000000, v9
	v_or3_b32 v5, v5, v9, v7
	v_mov_b32_e32 v24, v6
	v_mov_b32_e32 v23, v5
.LBB253_1489:                           ;   in Loop: Header=BB253_991 Depth=1
	s_or_b32 exec_lo, exec_lo, s12
.LBB253_1490:                           ;   in Loop: Header=BB253_991 Depth=1
	s_or_b32 exec_lo, exec_lo, s11
.LBB253_1491:                           ;   in Loop: Header=BB253_991 Depth=1
	s_or_b32 exec_lo, exec_lo, s9
	s_mov_b32 s9, exec_lo
	v_cmpx_lt_u32_e32 0xffffff, v4
	s_cbranch_execz .LBB253_1499
; %bb.1492:                             ;   in Loop: Header=BB253_991 Depth=1
	v_mov_b32_e32 v7, v6
	v_mov_b32_e32 v22, v8
	v_cmp_ne_u32_sdwa s4, v4, v86 src0_sel:BYTE_3 src1_sel:DWORD
	v_mov_b32_e32 v21, v7
	s_and_saveexec_b32 s11, s4
	s_cbranch_execz .LBB253_1498
; %bb.1493:                             ;   in Loop: Header=BB253_991 Depth=1
	v_mov_b32_e32 v9, v6
	v_mov_b32_e32 v22, v10
	v_bfe_u32 v11, v4, 24, 7
	s_mov_b32 s12, exec_lo
	v_mov_b32_e32 v21, v9
	v_cmpx_ne_u32_e32 0x7f, v11
	s_cbranch_execz .LBB253_1497
; %bb.1494:                             ;   in Loop: Header=BB253_991 Depth=1
	v_mov_b32_e32 v5, 7
	v_lshrrev_b32_e32 v7, 3, v11
	s_mov_b32 s13, exec_lo
	v_and_b32_sdwa v5, v4, v5 dst_sel:DWORD dst_unused:UNUSED_PAD src0_sel:BYTE_3 src1_sel:DWORD
	v_cmpx_gt_u32_e32 8, v11
; %bb.1495:                             ;   in Loop: Header=BB253_991 Depth=1
	v_ffbh_u32_e32 v7, v5
	v_min_u32_e32 v7, 32, v7
	v_subrev_nc_u32_e32 v9, 28, v7
	v_sub_nc_u32_e32 v7, 29, v7
	v_lshlrev_b64 v[11:12], v9, v[5:6]
	v_and_b32_e32 v5, 7, v11
; %bb.1496:                             ;   in Loop: Header=BB253_991 Depth=1
	s_or_b32 exec_lo, exec_lo, s13
	v_mov_b32_e32 v9, 24
	v_lshlrev_b32_e32 v5, 20, v5
	v_lshl_add_u32 v7, v7, 23, 0x3c000000
	v_mov_b32_e32 v21, v6
	v_lshlrev_b32_sdwa v4, v9, v4 dst_sel:DWORD dst_unused:UNUSED_PAD src0_sel:DWORD src1_sel:BYTE_3
	v_and_b32_e32 v4, 0x80000000, v4
	v_or3_b32 v22, v5, v4, v7
.LBB253_1497:                           ;   in Loop: Header=BB253_991 Depth=1
	s_or_b32 exec_lo, exec_lo, s12
.LBB253_1498:                           ;   in Loop: Header=BB253_991 Depth=1
	s_or_b32 exec_lo, exec_lo, s11
.LBB253_1499:                           ;   in Loop: Header=BB253_991 Depth=1
	s_or_b32 exec_lo, exec_lo, s9
	v_or_b32_e32 v4, v20, v18
	v_or_b32_e32 v5, v19, v17
	;; [unrolled: 1-line block ×4, first 2 shown]
	v_mul_f32_e32 v12, v100, v4
	v_mul_f32_e32 v11, v84, v5
	;; [unrolled: 1-line block ×4, first 2 shown]
	s_and_saveexec_b32 s9, vcc_lo
	s_cbranch_execz .LBB253_1501
; %bb.1500:                             ;   in Loop: Header=BB253_991 Depth=1
	v_cmp_lt_i32_e64 s4, v117, v32
	v_cndmask_b32_e64 v11, 0, v11, s4
	v_cmp_lt_i32_e64 s4, v119, v32
	v_cndmask_b32_e64 v12, 0, v12, s4
	;; [unrolled: 2-line block ×4, first 2 shown]
.LBB253_1501:                           ;   in Loop: Header=BB253_991 Depth=1
	s_or_b32 exec_lo, exec_lo, s9
	flat_load_dword v4, v[15:16] offset:1920
	v_mov_b32_e32 v19, 0
	v_mov_b32_e32 v17, 0
	;; [unrolled: 1-line block ×4, first 2 shown]
	s_waitcnt vmcnt(0) lgkmcnt(0)
	v_cmp_ne_u16_sdwa s4, v4, v6 src0_sel:BYTE_0 src1_sel:DWORD
	s_and_saveexec_b32 s9, s4
	s_cbranch_execz .LBB253_1509
; %bb.1502:                             ;   in Loop: Header=BB253_991 Depth=1
	v_bfrev_b32_e32 v17, 1
	v_mov_b32_e32 v18, 0
	v_cmp_ne_u16_sdwa s4, v4, v86 src0_sel:BYTE_0 src1_sel:DWORD
	s_and_saveexec_b32 s11, s4
	s_cbranch_execz .LBB253_1508
; %bb.1503:                             ;   in Loop: Header=BB253_991 Depth=1
	v_mov_b32_e32 v17, 0x7f800001
	v_and_b32_e32 v9, 0x7f, v4
	v_mov_b32_e32 v18, 0
	s_mov_b32 s12, exec_lo
	v_cmpx_ne_u32_e32 0x7f, v9
	s_cbranch_execz .LBB253_1507
; %bb.1504:                             ;   in Loop: Header=BB253_991 Depth=1
	v_and_b32_e32 v5, 7, v4
	v_lshrrev_b32_e32 v7, 3, v9
	s_mov_b32 s13, exec_lo
	v_cmpx_gt_u32_e32 8, v9
; %bb.1505:                             ;   in Loop: Header=BB253_991 Depth=1
	v_ffbh_u32_e32 v7, v5
	v_min_u32_e32 v7, 32, v7
	v_subrev_nc_u32_e32 v9, 28, v7
	v_sub_nc_u32_e32 v7, 29, v7
	v_lshlrev_b64 v[17:18], v9, v[5:6]
	v_and_b32_e32 v5, 7, v17
; %bb.1506:                             ;   in Loop: Header=BB253_991 Depth=1
	s_or_b32 exec_lo, exec_lo, s13
	v_lshlrev_b32_e32 v9, 24, v4
	v_lshlrev_b32_e32 v5, 20, v5
	v_lshl_add_u32 v7, v7, 23, 0x3c000000
	v_and_b32_e32 v9, 0x80000000, v9
	v_or3_b32 v5, v5, v9, v7
	v_mov_b32_e32 v18, v6
	v_mov_b32_e32 v17, v5
.LBB253_1507:                           ;   in Loop: Header=BB253_991 Depth=1
	s_or_b32 exec_lo, exec_lo, s12
.LBB253_1508:                           ;   in Loop: Header=BB253_991 Depth=1
	s_or_b32 exec_lo, exec_lo, s11
.LBB253_1509:                           ;   in Loop: Header=BB253_991 Depth=1
	s_or_b32 exec_lo, exec_lo, s9
	v_cmp_ne_u16_sdwa s4, v4, v6 src0_sel:BYTE_1 src1_sel:DWORD
	s_and_saveexec_b32 s9, s4
	s_cbranch_execz .LBB253_1517
; %bb.1510:                             ;   in Loop: Header=BB253_991 Depth=1
	v_mov_b32_e32 v7, v6
	v_mov_b32_e32 v20, v8
	v_cmp_ne_u16_sdwa s4, v4, v86 src0_sel:BYTE_1 src1_sel:DWORD
	v_mov_b32_e32 v19, v7
	s_and_saveexec_b32 s11, s4
	s_cbranch_execz .LBB253_1516
; %bb.1511:                             ;   in Loop: Header=BB253_991 Depth=1
	v_mov_b32_e32 v5, 0xffff
	v_mov_b32_e32 v9, v6
	;; [unrolled: 1-line block ×3, first 2 shown]
	s_mov_b32 s12, exec_lo
	v_and_b32_sdwa v5, v5, v4 dst_sel:DWORD dst_unused:UNUSED_PAD src0_sel:DWORD src1_sel:BYTE_1
	v_mov_b32_e32 v19, v9
	v_and_b32_e32 v21, 0x7f, v5
	v_cmpx_ne_u32_e32 0x7f, v21
	s_cbranch_execz .LBB253_1515
; %bb.1512:                             ;   in Loop: Header=BB253_991 Depth=1
	v_and_b32_e32 v5, 7, v5
	v_lshrrev_b32_e32 v7, 3, v21
	s_mov_b32 s13, exec_lo
	v_cmpx_gt_u32_e32 8, v21
; %bb.1513:                             ;   in Loop: Header=BB253_991 Depth=1
	v_ffbh_u32_e32 v7, v5
	v_min_u32_e32 v7, 32, v7
	v_subrev_nc_u32_e32 v9, 28, v7
	v_sub_nc_u32_e32 v7, 29, v7
	v_lshlrev_b64 v[19:20], v9, v[5:6]
	v_and_b32_e32 v5, 7, v19
; %bb.1514:                             ;   in Loop: Header=BB253_991 Depth=1
	s_or_b32 exec_lo, exec_lo, s13
	v_lshlrev_b32_e32 v9, 16, v4
	v_lshlrev_b32_e32 v5, 20, v5
	v_lshl_add_u32 v7, v7, 23, 0x3c000000
	v_mov_b32_e32 v19, v6
	v_and_b32_e32 v9, 0x80000000, v9
	v_or3_b32 v20, v5, v9, v7
.LBB253_1515:                           ;   in Loop: Header=BB253_991 Depth=1
	s_or_b32 exec_lo, exec_lo, s12
.LBB253_1516:                           ;   in Loop: Header=BB253_991 Depth=1
	s_or_b32 exec_lo, exec_lo, s11
.LBB253_1517:                           ;   in Loop: Header=BB253_991 Depth=1
	s_or_b32 exec_lo, exec_lo, s9
	v_mov_b32_e32 v21, 0
	v_mov_b32_e32 v23, 0
	v_and_b32_sdwa v5, v4, v96 dst_sel:DWORD dst_unused:UNUSED_PAD src0_sel:WORD_1 src1_sel:DWORD
	v_mov_b32_e32 v22, 0
	v_mov_b32_e32 v24, 0
	s_mov_b32 s9, exec_lo
	v_cmpx_ne_u16_e32 0, v5
	s_cbranch_execz .LBB253_1525
; %bb.1518:                             ;   in Loop: Header=BB253_991 Depth=1
	v_bfrev_b32_e32 v23, 1
	v_mov_b32_e32 v24, 0
	s_mov_b32 s11, exec_lo
	v_cmpx_ne_u16_e32 0x80, v5
	s_cbranch_execz .LBB253_1524
; %bb.1519:                             ;   in Loop: Header=BB253_991 Depth=1
	v_mov_b32_e32 v23, 0x7f800001
	v_bfe_u32 v9, v4, 16, 7
	v_mov_b32_e32 v24, 0
	s_mov_b32 s12, exec_lo
	v_cmpx_ne_u32_e32 0x7f, v9
	s_cbranch_execz .LBB253_1523
; %bb.1520:                             ;   in Loop: Header=BB253_991 Depth=1
	v_mov_b32_e32 v5, 7
	v_lshrrev_b32_e32 v7, 3, v9
	s_mov_b32 s13, exec_lo
	v_and_b32_sdwa v5, v4, v5 dst_sel:DWORD dst_unused:UNUSED_PAD src0_sel:WORD_1 src1_sel:DWORD
	v_cmpx_gt_u32_e32 8, v9
; %bb.1521:                             ;   in Loop: Header=BB253_991 Depth=1
	v_ffbh_u32_e32 v7, v5
	v_min_u32_e32 v7, 32, v7
	v_subrev_nc_u32_e32 v9, 28, v7
	v_sub_nc_u32_e32 v7, 29, v7
	v_lshlrev_b64 v[23:24], v9, v[5:6]
	v_and_b32_e32 v5, 7, v23
; %bb.1522:                             ;   in Loop: Header=BB253_991 Depth=1
	s_or_b32 exec_lo, exec_lo, s13
	v_mov_b32_e32 v9, 24
	v_lshlrev_b32_e32 v5, 20, v5
	v_lshl_add_u32 v7, v7, 23, 0x3c000000
	v_lshlrev_b32_sdwa v9, v9, v4 dst_sel:DWORD dst_unused:UNUSED_PAD src0_sel:DWORD src1_sel:WORD_1
	v_and_b32_e32 v9, 0x80000000, v9
	v_or3_b32 v5, v5, v9, v7
	v_mov_b32_e32 v24, v6
	v_mov_b32_e32 v23, v5
.LBB253_1523:                           ;   in Loop: Header=BB253_991 Depth=1
	s_or_b32 exec_lo, exec_lo, s12
.LBB253_1524:                           ;   in Loop: Header=BB253_991 Depth=1
	s_or_b32 exec_lo, exec_lo, s11
.LBB253_1525:                           ;   in Loop: Header=BB253_991 Depth=1
	s_or_b32 exec_lo, exec_lo, s9
	s_mov_b32 s9, exec_lo
	v_cmpx_lt_u32_e32 0xffffff, v4
	s_cbranch_execz .LBB253_1533
; %bb.1526:                             ;   in Loop: Header=BB253_991 Depth=1
	v_mov_b32_e32 v7, v6
	v_mov_b32_e32 v22, v8
	v_cmp_ne_u32_sdwa s4, v4, v86 src0_sel:BYTE_3 src1_sel:DWORD
	v_mov_b32_e32 v21, v7
	s_and_saveexec_b32 s11, s4
	s_cbranch_execz .LBB253_1532
; %bb.1527:                             ;   in Loop: Header=BB253_991 Depth=1
	v_mov_b32_e32 v9, v6
	v_mov_b32_e32 v22, v10
	v_bfe_u32 v25, v4, 24, 7
	s_mov_b32 s12, exec_lo
	v_mov_b32_e32 v21, v9
	v_cmpx_ne_u32_e32 0x7f, v25
	s_cbranch_execz .LBB253_1531
; %bb.1528:                             ;   in Loop: Header=BB253_991 Depth=1
	v_mov_b32_e32 v5, 7
	v_lshrrev_b32_e32 v7, 3, v25
	s_mov_b32 s13, exec_lo
	v_and_b32_sdwa v5, v4, v5 dst_sel:DWORD dst_unused:UNUSED_PAD src0_sel:BYTE_3 src1_sel:DWORD
	v_cmpx_gt_u32_e32 8, v25
; %bb.1529:                             ;   in Loop: Header=BB253_991 Depth=1
	v_ffbh_u32_e32 v7, v5
	v_min_u32_e32 v7, 32, v7
	v_subrev_nc_u32_e32 v9, 28, v7
	v_sub_nc_u32_e32 v7, 29, v7
	v_lshlrev_b64 v[21:22], v9, v[5:6]
	v_and_b32_e32 v5, 7, v21
; %bb.1530:                             ;   in Loop: Header=BB253_991 Depth=1
	s_or_b32 exec_lo, exec_lo, s13
	v_mov_b32_e32 v9, 24
	v_lshlrev_b32_e32 v5, 20, v5
	v_lshl_add_u32 v7, v7, 23, 0x3c000000
	v_mov_b32_e32 v21, v6
	v_lshlrev_b32_sdwa v4, v9, v4 dst_sel:DWORD dst_unused:UNUSED_PAD src0_sel:DWORD src1_sel:BYTE_3
	v_and_b32_e32 v4, 0x80000000, v4
	v_or3_b32 v22, v5, v4, v7
.LBB253_1531:                           ;   in Loop: Header=BB253_991 Depth=1
	s_or_b32 exec_lo, exec_lo, s12
.LBB253_1532:                           ;   in Loop: Header=BB253_991 Depth=1
	s_or_b32 exec_lo, exec_lo, s11
.LBB253_1533:                           ;   in Loop: Header=BB253_991 Depth=1
	s_or_b32 exec_lo, exec_lo, s9
	v_or_b32_e32 v4, v20, v18
	v_or_b32_e32 v5, v19, v17
	;; [unrolled: 1-line block ×4, first 2 shown]
	v_mul_f32_e32 v25, v100, v4
	v_mul_f32_e32 v101, v84, v5
	;; [unrolled: 1-line block ×4, first 2 shown]
	s_and_saveexec_b32 s9, vcc_lo
	s_cbranch_execz .LBB253_1535
; %bb.1534:                             ;   in Loop: Header=BB253_991 Depth=1
	v_cmp_lt_i32_e64 s4, v117, v32
	v_cndmask_b32_e64 v101, 0, v101, s4
	v_cmp_lt_i32_e64 s4, v119, v32
	v_cndmask_b32_e64 v25, 0, v25, s4
	;; [unrolled: 2-line block ×4, first 2 shown]
.LBB253_1535:                           ;   in Loop: Header=BB253_991 Depth=1
	s_or_b32 exec_lo, exec_lo, s9
	v_add_co_u32 v15, s4, 0x800, v15
	v_add_co_ci_u32_e64 v16, null, 0, v16, s4
	v_mov_b32_e32 v19, 0
	v_mov_b32_e32 v17, 0
	;; [unrolled: 1-line block ×3, first 2 shown]
	flat_load_dword v87, v[15:16]
	v_mov_b32_e32 v18, 0
	s_waitcnt vmcnt(0) lgkmcnt(0)
	v_cmp_ne_u16_sdwa s4, v87, v6 src0_sel:BYTE_0 src1_sel:DWORD
	s_and_saveexec_b32 s9, s4
	s_cbranch_execz .LBB253_1543
; %bb.1536:                             ;   in Loop: Header=BB253_991 Depth=1
	v_bfrev_b32_e32 v17, 1
	v_mov_b32_e32 v18, 0
	v_cmp_ne_u16_sdwa s4, v87, v86 src0_sel:BYTE_0 src1_sel:DWORD
	s_and_saveexec_b32 s11, s4
	s_cbranch_execz .LBB253_1542
; %bb.1537:                             ;   in Loop: Header=BB253_991 Depth=1
	v_mov_b32_e32 v17, 0x7f800001
	v_and_b32_e32 v9, 0x7f, v87
	v_mov_b32_e32 v18, 0
	s_mov_b32 s12, exec_lo
	v_cmpx_ne_u32_e32 0x7f, v9
	s_cbranch_execz .LBB253_1541
; %bb.1538:                             ;   in Loop: Header=BB253_991 Depth=1
	v_and_b32_e32 v5, 7, v87
	v_lshrrev_b32_e32 v7, 3, v9
	s_mov_b32 s13, exec_lo
	v_cmpx_gt_u32_e32 8, v9
; %bb.1539:                             ;   in Loop: Header=BB253_991 Depth=1
	v_ffbh_u32_e32 v7, v5
	v_min_u32_e32 v7, 32, v7
	v_subrev_nc_u32_e32 v9, 28, v7
	v_sub_nc_u32_e32 v7, 29, v7
	v_lshlrev_b64 v[17:18], v9, v[5:6]
	v_and_b32_e32 v5, 7, v17
; %bb.1540:                             ;   in Loop: Header=BB253_991 Depth=1
	s_or_b32 exec_lo, exec_lo, s13
	v_lshlrev_b32_e32 v9, 24, v87
	v_lshlrev_b32_e32 v5, 20, v5
	v_lshl_add_u32 v7, v7, 23, 0x3c000000
	v_and_b32_e32 v9, 0x80000000, v9
	v_or3_b32 v5, v5, v9, v7
	v_mov_b32_e32 v18, v6
	v_mov_b32_e32 v17, v5
.LBB253_1541:                           ;   in Loop: Header=BB253_991 Depth=1
	s_or_b32 exec_lo, exec_lo, s12
.LBB253_1542:                           ;   in Loop: Header=BB253_991 Depth=1
	s_or_b32 exec_lo, exec_lo, s11
.LBB253_1543:                           ;   in Loop: Header=BB253_991 Depth=1
	s_or_b32 exec_lo, exec_lo, s9
	v_cmp_ne_u16_sdwa s4, v87, v6 src0_sel:BYTE_1 src1_sel:DWORD
	s_and_saveexec_b32 s9, s4
	s_cbranch_execz .LBB253_1551
; %bb.1544:                             ;   in Loop: Header=BB253_991 Depth=1
	v_mov_b32_e32 v7, v6
	v_mov_b32_e32 v20, v8
	v_cmp_ne_u16_sdwa s4, v87, v86 src0_sel:BYTE_1 src1_sel:DWORD
	v_mov_b32_e32 v19, v7
	s_and_saveexec_b32 s11, s4
	s_cbranch_execz .LBB253_1550
; %bb.1545:                             ;   in Loop: Header=BB253_991 Depth=1
	v_mov_b32_e32 v5, 0xffff
	v_mov_b32_e32 v9, v6
	;; [unrolled: 1-line block ×3, first 2 shown]
	s_mov_b32 s12, exec_lo
	v_and_b32_sdwa v5, v5, v87 dst_sel:DWORD dst_unused:UNUSED_PAD src0_sel:DWORD src1_sel:BYTE_1
	v_mov_b32_e32 v19, v9
	v_and_b32_e32 v21, 0x7f, v5
	v_cmpx_ne_u32_e32 0x7f, v21
	s_cbranch_execz .LBB253_1549
; %bb.1546:                             ;   in Loop: Header=BB253_991 Depth=1
	v_and_b32_e32 v5, 7, v5
	v_lshrrev_b32_e32 v7, 3, v21
	s_mov_b32 s13, exec_lo
	v_cmpx_gt_u32_e32 8, v21
; %bb.1547:                             ;   in Loop: Header=BB253_991 Depth=1
	v_ffbh_u32_e32 v7, v5
	v_min_u32_e32 v7, 32, v7
	v_subrev_nc_u32_e32 v9, 28, v7
	v_sub_nc_u32_e32 v7, 29, v7
	v_lshlrev_b64 v[19:20], v9, v[5:6]
	v_and_b32_e32 v5, 7, v19
; %bb.1548:                             ;   in Loop: Header=BB253_991 Depth=1
	s_or_b32 exec_lo, exec_lo, s13
	v_lshlrev_b32_e32 v9, 16, v87
	v_lshlrev_b32_e32 v5, 20, v5
	v_lshl_add_u32 v7, v7, 23, 0x3c000000
	v_mov_b32_e32 v19, v6
	v_and_b32_e32 v9, 0x80000000, v9
	v_or3_b32 v20, v5, v9, v7
.LBB253_1549:                           ;   in Loop: Header=BB253_991 Depth=1
	s_or_b32 exec_lo, exec_lo, s12
.LBB253_1550:                           ;   in Loop: Header=BB253_991 Depth=1
	s_or_b32 exec_lo, exec_lo, s11
.LBB253_1551:                           ;   in Loop: Header=BB253_991 Depth=1
	s_or_b32 exec_lo, exec_lo, s9
	v_mov_b32_e32 v21, 0
	v_mov_b32_e32 v23, 0
	v_and_b32_sdwa v5, v87, v96 dst_sel:DWORD dst_unused:UNUSED_PAD src0_sel:WORD_1 src1_sel:DWORD
	v_mov_b32_e32 v22, 0
	v_mov_b32_e32 v24, 0
	s_mov_b32 s9, exec_lo
	v_cmpx_ne_u16_e32 0, v5
	s_cbranch_execz .LBB253_1559
; %bb.1552:                             ;   in Loop: Header=BB253_991 Depth=1
	v_bfrev_b32_e32 v23, 1
	v_mov_b32_e32 v24, 0
	s_mov_b32 s11, exec_lo
	v_cmpx_ne_u16_e32 0x80, v5
	s_cbranch_execz .LBB253_1558
; %bb.1553:                             ;   in Loop: Header=BB253_991 Depth=1
	v_mov_b32_e32 v23, 0x7f800001
	v_bfe_u32 v9, v87, 16, 7
	v_mov_b32_e32 v24, 0
	s_mov_b32 s12, exec_lo
	v_cmpx_ne_u32_e32 0x7f, v9
	s_cbranch_execz .LBB253_1557
; %bb.1554:                             ;   in Loop: Header=BB253_991 Depth=1
	v_mov_b32_e32 v5, 7
	v_lshrrev_b32_e32 v7, 3, v9
	s_mov_b32 s13, exec_lo
	v_and_b32_sdwa v5, v87, v5 dst_sel:DWORD dst_unused:UNUSED_PAD src0_sel:WORD_1 src1_sel:DWORD
	v_cmpx_gt_u32_e32 8, v9
; %bb.1555:                             ;   in Loop: Header=BB253_991 Depth=1
	v_ffbh_u32_e32 v7, v5
	v_min_u32_e32 v7, 32, v7
	v_subrev_nc_u32_e32 v9, 28, v7
	v_sub_nc_u32_e32 v7, 29, v7
	v_lshlrev_b64 v[23:24], v9, v[5:6]
	v_and_b32_e32 v5, 7, v23
; %bb.1556:                             ;   in Loop: Header=BB253_991 Depth=1
	s_or_b32 exec_lo, exec_lo, s13
	v_mov_b32_e32 v9, 24
	v_lshlrev_b32_e32 v5, 20, v5
	v_lshl_add_u32 v7, v7, 23, 0x3c000000
	v_lshlrev_b32_sdwa v9, v9, v87 dst_sel:DWORD dst_unused:UNUSED_PAD src0_sel:DWORD src1_sel:WORD_1
	v_and_b32_e32 v9, 0x80000000, v9
	v_or3_b32 v5, v5, v9, v7
	v_mov_b32_e32 v24, v6
	v_mov_b32_e32 v23, v5
.LBB253_1557:                           ;   in Loop: Header=BB253_991 Depth=1
	s_or_b32 exec_lo, exec_lo, s12
.LBB253_1558:                           ;   in Loop: Header=BB253_991 Depth=1
	s_or_b32 exec_lo, exec_lo, s11
.LBB253_1559:                           ;   in Loop: Header=BB253_991 Depth=1
	s_or_b32 exec_lo, exec_lo, s9
	s_mov_b32 s9, exec_lo
	v_cmpx_lt_u32_e32 0xffffff, v87
	s_cbranch_execz .LBB253_1567
; %bb.1560:                             ;   in Loop: Header=BB253_991 Depth=1
	v_mov_b32_e32 v7, v6
	v_mov_b32_e32 v22, v8
	v_cmp_ne_u32_sdwa s4, v87, v86 src0_sel:BYTE_3 src1_sel:DWORD
	v_mov_b32_e32 v21, v7
	s_and_saveexec_b32 s11, s4
	s_cbranch_execz .LBB253_1566
; %bb.1561:                             ;   in Loop: Header=BB253_991 Depth=1
	v_mov_b32_e32 v9, v6
	v_mov_b32_e32 v22, v10
	v_bfe_u32 v97, v87, 24, 7
	s_mov_b32 s12, exec_lo
	v_mov_b32_e32 v21, v9
	v_cmpx_ne_u32_e32 0x7f, v97
	s_cbranch_execz .LBB253_1565
; %bb.1562:                             ;   in Loop: Header=BB253_991 Depth=1
	v_mov_b32_e32 v5, 7
	v_lshrrev_b32_e32 v7, 3, v97
	s_mov_b32 s13, exec_lo
	v_and_b32_sdwa v5, v87, v5 dst_sel:DWORD dst_unused:UNUSED_PAD src0_sel:BYTE_3 src1_sel:DWORD
	v_cmpx_gt_u32_e32 8, v97
; %bb.1563:                             ;   in Loop: Header=BB253_991 Depth=1
	v_ffbh_u32_e32 v7, v5
	v_min_u32_e32 v7, 32, v7
	v_subrev_nc_u32_e32 v9, 28, v7
	v_sub_nc_u32_e32 v7, 29, v7
	v_lshlrev_b64 v[21:22], v9, v[5:6]
	v_and_b32_e32 v5, 7, v21
; %bb.1564:                             ;   in Loop: Header=BB253_991 Depth=1
	s_or_b32 exec_lo, exec_lo, s13
	v_mov_b32_e32 v9, 24
	v_lshlrev_b32_e32 v5, 20, v5
	v_lshl_add_u32 v7, v7, 23, 0x3c000000
	v_mov_b32_e32 v21, v6
	v_lshlrev_b32_sdwa v9, v9, v87 dst_sel:DWORD dst_unused:UNUSED_PAD src0_sel:DWORD src1_sel:BYTE_3
	v_and_b32_e32 v9, 0x80000000, v9
	v_or3_b32 v22, v5, v9, v7
.LBB253_1565:                           ;   in Loop: Header=BB253_991 Depth=1
	s_or_b32 exec_lo, exec_lo, s12
.LBB253_1566:                           ;   in Loop: Header=BB253_991 Depth=1
	s_or_b32 exec_lo, exec_lo, s11
.LBB253_1567:                           ;   in Loop: Header=BB253_991 Depth=1
	s_or_b32 exec_lo, exec_lo, s9
	v_or_b32_e32 v5, v20, v18
	v_or_b32_e32 v7, v19, v17
	;; [unrolled: 1-line block ×4, first 2 shown]
	v_mul_f32_e32 v112, v100, v5
	v_mul_f32_e32 v113, v84, v7
	;; [unrolled: 1-line block ×4, first 2 shown]
	s_and_saveexec_b32 s9, vcc_lo
	s_cbranch_execz .LBB253_1569
; %bb.1568:                             ;   in Loop: Header=BB253_991 Depth=1
	v_cmp_lt_i32_e64 s4, v117, v32
	v_cndmask_b32_e64 v113, 0, v113, s4
	v_cmp_lt_i32_e64 s4, v119, v32
	v_cndmask_b32_e64 v112, 0, v112, s4
	;; [unrolled: 2-line block ×4, first 2 shown]
.LBB253_1569:                           ;   in Loop: Header=BB253_991 Depth=1
	s_or_b32 exec_lo, exec_lo, s9
	flat_load_dword v87, v[15:16] offset:128
	v_mov_b32_e32 v19, 0
	v_mov_b32_e32 v17, 0
	v_mov_b32_e32 v20, 0
	v_mov_b32_e32 v18, 0
	s_waitcnt vmcnt(0) lgkmcnt(0)
	v_cmp_ne_u16_sdwa s4, v87, v6 src0_sel:BYTE_0 src1_sel:DWORD
	s_and_saveexec_b32 s9, s4
	s_cbranch_execz .LBB253_1577
; %bb.1570:                             ;   in Loop: Header=BB253_991 Depth=1
	v_bfrev_b32_e32 v17, 1
	v_mov_b32_e32 v18, 0
	v_cmp_ne_u16_sdwa s4, v87, v86 src0_sel:BYTE_0 src1_sel:DWORD
	s_and_saveexec_b32 s11, s4
	s_cbranch_execz .LBB253_1576
; %bb.1571:                             ;   in Loop: Header=BB253_991 Depth=1
	v_mov_b32_e32 v17, 0x7f800001
	v_and_b32_e32 v9, 0x7f, v87
	v_mov_b32_e32 v18, 0
	s_mov_b32 s12, exec_lo
	v_cmpx_ne_u32_e32 0x7f, v9
	s_cbranch_execz .LBB253_1575
; %bb.1572:                             ;   in Loop: Header=BB253_991 Depth=1
	v_and_b32_e32 v5, 7, v87
	v_lshrrev_b32_e32 v7, 3, v9
	s_mov_b32 s13, exec_lo
	v_cmpx_gt_u32_e32 8, v9
; %bb.1573:                             ;   in Loop: Header=BB253_991 Depth=1
	v_ffbh_u32_e32 v7, v5
	v_min_u32_e32 v7, 32, v7
	v_subrev_nc_u32_e32 v9, 28, v7
	v_sub_nc_u32_e32 v7, 29, v7
	v_lshlrev_b64 v[17:18], v9, v[5:6]
	v_and_b32_e32 v5, 7, v17
; %bb.1574:                             ;   in Loop: Header=BB253_991 Depth=1
	s_or_b32 exec_lo, exec_lo, s13
	v_lshlrev_b32_e32 v9, 24, v87
	v_lshlrev_b32_e32 v5, 20, v5
	v_lshl_add_u32 v7, v7, 23, 0x3c000000
	v_and_b32_e32 v9, 0x80000000, v9
	v_or3_b32 v5, v5, v9, v7
	v_mov_b32_e32 v18, v6
	v_mov_b32_e32 v17, v5
.LBB253_1575:                           ;   in Loop: Header=BB253_991 Depth=1
	s_or_b32 exec_lo, exec_lo, s12
.LBB253_1576:                           ;   in Loop: Header=BB253_991 Depth=1
	s_or_b32 exec_lo, exec_lo, s11
.LBB253_1577:                           ;   in Loop: Header=BB253_991 Depth=1
	s_or_b32 exec_lo, exec_lo, s9
	v_cmp_ne_u16_sdwa s4, v87, v6 src0_sel:BYTE_1 src1_sel:DWORD
	s_and_saveexec_b32 s9, s4
	s_cbranch_execz .LBB253_1585
; %bb.1578:                             ;   in Loop: Header=BB253_991 Depth=1
	v_mov_b32_e32 v7, v6
	v_mov_b32_e32 v20, v8
	v_cmp_ne_u16_sdwa s4, v87, v86 src0_sel:BYTE_1 src1_sel:DWORD
	v_mov_b32_e32 v19, v7
	s_and_saveexec_b32 s11, s4
	s_cbranch_execz .LBB253_1584
; %bb.1579:                             ;   in Loop: Header=BB253_991 Depth=1
	v_mov_b32_e32 v5, 0xffff
	v_mov_b32_e32 v9, v6
	;; [unrolled: 1-line block ×3, first 2 shown]
	s_mov_b32 s12, exec_lo
	v_and_b32_sdwa v5, v5, v87 dst_sel:DWORD dst_unused:UNUSED_PAD src0_sel:DWORD src1_sel:BYTE_1
	v_mov_b32_e32 v19, v9
	v_and_b32_e32 v21, 0x7f, v5
	v_cmpx_ne_u32_e32 0x7f, v21
	s_cbranch_execz .LBB253_1583
; %bb.1580:                             ;   in Loop: Header=BB253_991 Depth=1
	v_and_b32_e32 v5, 7, v5
	v_lshrrev_b32_e32 v7, 3, v21
	s_mov_b32 s13, exec_lo
	v_cmpx_gt_u32_e32 8, v21
; %bb.1581:                             ;   in Loop: Header=BB253_991 Depth=1
	v_ffbh_u32_e32 v7, v5
	v_min_u32_e32 v7, 32, v7
	v_subrev_nc_u32_e32 v9, 28, v7
	v_sub_nc_u32_e32 v7, 29, v7
	v_lshlrev_b64 v[19:20], v9, v[5:6]
	v_and_b32_e32 v5, 7, v19
; %bb.1582:                             ;   in Loop: Header=BB253_991 Depth=1
	s_or_b32 exec_lo, exec_lo, s13
	v_lshlrev_b32_e32 v9, 16, v87
	v_lshlrev_b32_e32 v5, 20, v5
	v_lshl_add_u32 v7, v7, 23, 0x3c000000
	v_mov_b32_e32 v19, v6
	v_and_b32_e32 v9, 0x80000000, v9
	v_or3_b32 v20, v5, v9, v7
.LBB253_1583:                           ;   in Loop: Header=BB253_991 Depth=1
	s_or_b32 exec_lo, exec_lo, s12
.LBB253_1584:                           ;   in Loop: Header=BB253_991 Depth=1
	s_or_b32 exec_lo, exec_lo, s11
.LBB253_1585:                           ;   in Loop: Header=BB253_991 Depth=1
	s_or_b32 exec_lo, exec_lo, s9
	v_mov_b32_e32 v21, 0
	v_mov_b32_e32 v23, 0
	v_and_b32_sdwa v5, v87, v96 dst_sel:DWORD dst_unused:UNUSED_PAD src0_sel:WORD_1 src1_sel:DWORD
	v_mov_b32_e32 v22, 0
	v_mov_b32_e32 v24, 0
	s_mov_b32 s9, exec_lo
	v_cmpx_ne_u16_e32 0, v5
	s_cbranch_execz .LBB253_1593
; %bb.1586:                             ;   in Loop: Header=BB253_991 Depth=1
	v_bfrev_b32_e32 v23, 1
	v_mov_b32_e32 v24, 0
	s_mov_b32 s11, exec_lo
	v_cmpx_ne_u16_e32 0x80, v5
	s_cbranch_execz .LBB253_1592
; %bb.1587:                             ;   in Loop: Header=BB253_991 Depth=1
	v_mov_b32_e32 v23, 0x7f800001
	v_bfe_u32 v9, v87, 16, 7
	v_mov_b32_e32 v24, 0
	s_mov_b32 s12, exec_lo
	v_cmpx_ne_u32_e32 0x7f, v9
	s_cbranch_execz .LBB253_1591
; %bb.1588:                             ;   in Loop: Header=BB253_991 Depth=1
	v_mov_b32_e32 v5, 7
	v_lshrrev_b32_e32 v7, 3, v9
	s_mov_b32 s13, exec_lo
	v_and_b32_sdwa v5, v87, v5 dst_sel:DWORD dst_unused:UNUSED_PAD src0_sel:WORD_1 src1_sel:DWORD
	v_cmpx_gt_u32_e32 8, v9
; %bb.1589:                             ;   in Loop: Header=BB253_991 Depth=1
	v_ffbh_u32_e32 v7, v5
	v_min_u32_e32 v7, 32, v7
	v_subrev_nc_u32_e32 v9, 28, v7
	v_sub_nc_u32_e32 v7, 29, v7
	v_lshlrev_b64 v[23:24], v9, v[5:6]
	v_and_b32_e32 v5, 7, v23
; %bb.1590:                             ;   in Loop: Header=BB253_991 Depth=1
	s_or_b32 exec_lo, exec_lo, s13
	v_mov_b32_e32 v9, 24
	v_lshlrev_b32_e32 v5, 20, v5
	v_lshl_add_u32 v7, v7, 23, 0x3c000000
	v_lshlrev_b32_sdwa v9, v9, v87 dst_sel:DWORD dst_unused:UNUSED_PAD src0_sel:DWORD src1_sel:WORD_1
	v_and_b32_e32 v9, 0x80000000, v9
	v_or3_b32 v5, v5, v9, v7
	v_mov_b32_e32 v24, v6
	v_mov_b32_e32 v23, v5
.LBB253_1591:                           ;   in Loop: Header=BB253_991 Depth=1
	s_or_b32 exec_lo, exec_lo, s12
.LBB253_1592:                           ;   in Loop: Header=BB253_991 Depth=1
	s_or_b32 exec_lo, exec_lo, s11
.LBB253_1593:                           ;   in Loop: Header=BB253_991 Depth=1
	s_or_b32 exec_lo, exec_lo, s9
	s_mov_b32 s9, exec_lo
	v_cmpx_lt_u32_e32 0xffffff, v87
	s_cbranch_execz .LBB253_1601
; %bb.1594:                             ;   in Loop: Header=BB253_991 Depth=1
	v_mov_b32_e32 v7, v6
	v_mov_b32_e32 v22, v8
	v_cmp_ne_u32_sdwa s4, v87, v86 src0_sel:BYTE_3 src1_sel:DWORD
	v_mov_b32_e32 v21, v7
	s_and_saveexec_b32 s11, s4
	s_cbranch_execz .LBB253_1600
; %bb.1595:                             ;   in Loop: Header=BB253_991 Depth=1
	v_mov_b32_e32 v9, v6
	v_mov_b32_e32 v22, v10
	v_bfe_u32 v97, v87, 24, 7
	s_mov_b32 s12, exec_lo
	v_mov_b32_e32 v21, v9
	v_cmpx_ne_u32_e32 0x7f, v97
	s_cbranch_execz .LBB253_1599
; %bb.1596:                             ;   in Loop: Header=BB253_991 Depth=1
	v_mov_b32_e32 v5, 7
	v_lshrrev_b32_e32 v7, 3, v97
	s_mov_b32 s13, exec_lo
	v_and_b32_sdwa v5, v87, v5 dst_sel:DWORD dst_unused:UNUSED_PAD src0_sel:BYTE_3 src1_sel:DWORD
	v_cmpx_gt_u32_e32 8, v97
; %bb.1597:                             ;   in Loop: Header=BB253_991 Depth=1
	v_ffbh_u32_e32 v7, v5
	v_min_u32_e32 v7, 32, v7
	v_subrev_nc_u32_e32 v9, 28, v7
	v_sub_nc_u32_e32 v7, 29, v7
	v_lshlrev_b64 v[21:22], v9, v[5:6]
	v_and_b32_e32 v5, 7, v21
; %bb.1598:                             ;   in Loop: Header=BB253_991 Depth=1
	s_or_b32 exec_lo, exec_lo, s13
	v_mov_b32_e32 v9, 24
	v_lshlrev_b32_e32 v5, 20, v5
	v_lshl_add_u32 v7, v7, 23, 0x3c000000
	v_mov_b32_e32 v21, v6
	v_lshlrev_b32_sdwa v9, v9, v87 dst_sel:DWORD dst_unused:UNUSED_PAD src0_sel:DWORD src1_sel:BYTE_3
	v_and_b32_e32 v9, 0x80000000, v9
	v_or3_b32 v22, v5, v9, v7
.LBB253_1599:                           ;   in Loop: Header=BB253_991 Depth=1
	s_or_b32 exec_lo, exec_lo, s12
.LBB253_1600:                           ;   in Loop: Header=BB253_991 Depth=1
	s_or_b32 exec_lo, exec_lo, s11
.LBB253_1601:                           ;   in Loop: Header=BB253_991 Depth=1
	s_or_b32 exec_lo, exec_lo, s9
	v_or_b32_e32 v5, v20, v18
	v_or_b32_e32 v7, v19, v17
	;; [unrolled: 1-line block ×4, first 2 shown]
	v_mul_f32_e32 v116, v100, v5
	v_mul_f32_e32 v40, v84, v7
	;; [unrolled: 1-line block ×4, first 2 shown]
	s_and_saveexec_b32 s9, vcc_lo
	s_cbranch_execz .LBB253_1603
; %bb.1602:                             ;   in Loop: Header=BB253_991 Depth=1
	v_cmp_lt_i32_e64 s4, v117, v32
	v_cndmask_b32_e64 v40, 0, v40, s4
	v_cmp_lt_i32_e64 s4, v119, v32
	v_cndmask_b32_e64 v116, 0, v116, s4
	;; [unrolled: 2-line block ×4, first 2 shown]
.LBB253_1603:                           ;   in Loop: Header=BB253_991 Depth=1
	s_or_b32 exec_lo, exec_lo, s9
	flat_load_dword v87, v[15:16] offset:256
	v_mov_b32_e32 v19, 0
	v_mov_b32_e32 v17, 0
	;; [unrolled: 1-line block ×4, first 2 shown]
	s_waitcnt vmcnt(0) lgkmcnt(0)
	v_cmp_ne_u16_sdwa s4, v87, v6 src0_sel:BYTE_0 src1_sel:DWORD
	s_and_saveexec_b32 s9, s4
	s_cbranch_execz .LBB253_1611
; %bb.1604:                             ;   in Loop: Header=BB253_991 Depth=1
	v_bfrev_b32_e32 v17, 1
	v_mov_b32_e32 v18, 0
	v_cmp_ne_u16_sdwa s4, v87, v86 src0_sel:BYTE_0 src1_sel:DWORD
	s_and_saveexec_b32 s11, s4
	s_cbranch_execz .LBB253_1610
; %bb.1605:                             ;   in Loop: Header=BB253_991 Depth=1
	v_mov_b32_e32 v17, 0x7f800001
	v_and_b32_e32 v9, 0x7f, v87
	v_mov_b32_e32 v18, 0
	s_mov_b32 s12, exec_lo
	v_cmpx_ne_u32_e32 0x7f, v9
	s_cbranch_execz .LBB253_1609
; %bb.1606:                             ;   in Loop: Header=BB253_991 Depth=1
	v_and_b32_e32 v5, 7, v87
	v_lshrrev_b32_e32 v7, 3, v9
	s_mov_b32 s13, exec_lo
	v_cmpx_gt_u32_e32 8, v9
; %bb.1607:                             ;   in Loop: Header=BB253_991 Depth=1
	v_ffbh_u32_e32 v7, v5
	v_min_u32_e32 v7, 32, v7
	v_subrev_nc_u32_e32 v9, 28, v7
	v_sub_nc_u32_e32 v7, 29, v7
	v_lshlrev_b64 v[17:18], v9, v[5:6]
	v_and_b32_e32 v5, 7, v17
; %bb.1608:                             ;   in Loop: Header=BB253_991 Depth=1
	s_or_b32 exec_lo, exec_lo, s13
	v_lshlrev_b32_e32 v9, 24, v87
	v_lshlrev_b32_e32 v5, 20, v5
	v_lshl_add_u32 v7, v7, 23, 0x3c000000
	v_and_b32_e32 v9, 0x80000000, v9
	v_or3_b32 v5, v5, v9, v7
	v_mov_b32_e32 v18, v6
	v_mov_b32_e32 v17, v5
.LBB253_1609:                           ;   in Loop: Header=BB253_991 Depth=1
	s_or_b32 exec_lo, exec_lo, s12
.LBB253_1610:                           ;   in Loop: Header=BB253_991 Depth=1
	s_or_b32 exec_lo, exec_lo, s11
.LBB253_1611:                           ;   in Loop: Header=BB253_991 Depth=1
	s_or_b32 exec_lo, exec_lo, s9
	v_cmp_ne_u16_sdwa s4, v87, v6 src0_sel:BYTE_1 src1_sel:DWORD
	s_and_saveexec_b32 s9, s4
	s_cbranch_execz .LBB253_1619
; %bb.1612:                             ;   in Loop: Header=BB253_991 Depth=1
	v_mov_b32_e32 v7, v6
	v_mov_b32_e32 v20, v8
	v_cmp_ne_u16_sdwa s4, v87, v86 src0_sel:BYTE_1 src1_sel:DWORD
	v_mov_b32_e32 v19, v7
	s_and_saveexec_b32 s11, s4
	s_cbranch_execz .LBB253_1618
; %bb.1613:                             ;   in Loop: Header=BB253_991 Depth=1
	v_mov_b32_e32 v5, 0xffff
	v_mov_b32_e32 v9, v6
	;; [unrolled: 1-line block ×3, first 2 shown]
	s_mov_b32 s12, exec_lo
	v_and_b32_sdwa v5, v5, v87 dst_sel:DWORD dst_unused:UNUSED_PAD src0_sel:DWORD src1_sel:BYTE_1
	v_mov_b32_e32 v19, v9
	v_and_b32_e32 v21, 0x7f, v5
	v_cmpx_ne_u32_e32 0x7f, v21
	s_cbranch_execz .LBB253_1617
; %bb.1614:                             ;   in Loop: Header=BB253_991 Depth=1
	v_and_b32_e32 v5, 7, v5
	v_lshrrev_b32_e32 v7, 3, v21
	s_mov_b32 s13, exec_lo
	v_cmpx_gt_u32_e32 8, v21
; %bb.1615:                             ;   in Loop: Header=BB253_991 Depth=1
	v_ffbh_u32_e32 v7, v5
	v_min_u32_e32 v7, 32, v7
	v_subrev_nc_u32_e32 v9, 28, v7
	v_sub_nc_u32_e32 v7, 29, v7
	v_lshlrev_b64 v[19:20], v9, v[5:6]
	v_and_b32_e32 v5, 7, v19
; %bb.1616:                             ;   in Loop: Header=BB253_991 Depth=1
	s_or_b32 exec_lo, exec_lo, s13
	v_lshlrev_b32_e32 v9, 16, v87
	v_lshlrev_b32_e32 v5, 20, v5
	v_lshl_add_u32 v7, v7, 23, 0x3c000000
	v_mov_b32_e32 v19, v6
	v_and_b32_e32 v9, 0x80000000, v9
	v_or3_b32 v20, v5, v9, v7
.LBB253_1617:                           ;   in Loop: Header=BB253_991 Depth=1
	s_or_b32 exec_lo, exec_lo, s12
.LBB253_1618:                           ;   in Loop: Header=BB253_991 Depth=1
	s_or_b32 exec_lo, exec_lo, s11
.LBB253_1619:                           ;   in Loop: Header=BB253_991 Depth=1
	s_or_b32 exec_lo, exec_lo, s9
	v_mov_b32_e32 v21, 0
	v_mov_b32_e32 v23, 0
	v_and_b32_sdwa v5, v87, v96 dst_sel:DWORD dst_unused:UNUSED_PAD src0_sel:WORD_1 src1_sel:DWORD
	v_mov_b32_e32 v22, 0
	v_mov_b32_e32 v24, 0
	s_mov_b32 s9, exec_lo
	v_cmpx_ne_u16_e32 0, v5
	s_cbranch_execz .LBB253_1627
; %bb.1620:                             ;   in Loop: Header=BB253_991 Depth=1
	v_bfrev_b32_e32 v23, 1
	v_mov_b32_e32 v24, 0
	s_mov_b32 s11, exec_lo
	v_cmpx_ne_u16_e32 0x80, v5
	s_cbranch_execz .LBB253_1626
; %bb.1621:                             ;   in Loop: Header=BB253_991 Depth=1
	v_mov_b32_e32 v23, 0x7f800001
	v_bfe_u32 v9, v87, 16, 7
	v_mov_b32_e32 v24, 0
	s_mov_b32 s12, exec_lo
	v_cmpx_ne_u32_e32 0x7f, v9
	s_cbranch_execz .LBB253_1625
; %bb.1622:                             ;   in Loop: Header=BB253_991 Depth=1
	v_mov_b32_e32 v5, 7
	v_lshrrev_b32_e32 v7, 3, v9
	s_mov_b32 s13, exec_lo
	v_and_b32_sdwa v5, v87, v5 dst_sel:DWORD dst_unused:UNUSED_PAD src0_sel:WORD_1 src1_sel:DWORD
	v_cmpx_gt_u32_e32 8, v9
; %bb.1623:                             ;   in Loop: Header=BB253_991 Depth=1
	v_ffbh_u32_e32 v7, v5
	v_min_u32_e32 v7, 32, v7
	v_subrev_nc_u32_e32 v9, 28, v7
	v_sub_nc_u32_e32 v7, 29, v7
	v_lshlrev_b64 v[23:24], v9, v[5:6]
	v_and_b32_e32 v5, 7, v23
; %bb.1624:                             ;   in Loop: Header=BB253_991 Depth=1
	s_or_b32 exec_lo, exec_lo, s13
	v_mov_b32_e32 v9, 24
	v_lshlrev_b32_e32 v5, 20, v5
	v_lshl_add_u32 v7, v7, 23, 0x3c000000
	v_lshlrev_b32_sdwa v9, v9, v87 dst_sel:DWORD dst_unused:UNUSED_PAD src0_sel:DWORD src1_sel:WORD_1
	v_and_b32_e32 v9, 0x80000000, v9
	v_or3_b32 v5, v5, v9, v7
	v_mov_b32_e32 v24, v6
	v_mov_b32_e32 v23, v5
.LBB253_1625:                           ;   in Loop: Header=BB253_991 Depth=1
	s_or_b32 exec_lo, exec_lo, s12
.LBB253_1626:                           ;   in Loop: Header=BB253_991 Depth=1
	s_or_b32 exec_lo, exec_lo, s11
.LBB253_1627:                           ;   in Loop: Header=BB253_991 Depth=1
	s_or_b32 exec_lo, exec_lo, s9
	s_mov_b32 s9, exec_lo
	v_cmpx_lt_u32_e32 0xffffff, v87
	s_cbranch_execz .LBB253_1635
; %bb.1628:                             ;   in Loop: Header=BB253_991 Depth=1
	v_mov_b32_e32 v7, v6
	v_mov_b32_e32 v22, v8
	v_cmp_ne_u32_sdwa s4, v87, v86 src0_sel:BYTE_3 src1_sel:DWORD
	v_mov_b32_e32 v21, v7
	s_and_saveexec_b32 s11, s4
	s_cbranch_execz .LBB253_1634
; %bb.1629:                             ;   in Loop: Header=BB253_991 Depth=1
	v_mov_b32_e32 v9, v6
	v_mov_b32_e32 v22, v10
	v_bfe_u32 v97, v87, 24, 7
	s_mov_b32 s12, exec_lo
	v_mov_b32_e32 v21, v9
	v_cmpx_ne_u32_e32 0x7f, v97
	s_cbranch_execz .LBB253_1633
; %bb.1630:                             ;   in Loop: Header=BB253_991 Depth=1
	v_mov_b32_e32 v5, 7
	v_lshrrev_b32_e32 v7, 3, v97
	s_mov_b32 s13, exec_lo
	v_and_b32_sdwa v5, v87, v5 dst_sel:DWORD dst_unused:UNUSED_PAD src0_sel:BYTE_3 src1_sel:DWORD
	v_cmpx_gt_u32_e32 8, v97
; %bb.1631:                             ;   in Loop: Header=BB253_991 Depth=1
	v_ffbh_u32_e32 v7, v5
	v_min_u32_e32 v7, 32, v7
	v_subrev_nc_u32_e32 v9, 28, v7
	v_sub_nc_u32_e32 v7, 29, v7
	v_lshlrev_b64 v[21:22], v9, v[5:6]
	v_and_b32_e32 v5, 7, v21
; %bb.1632:                             ;   in Loop: Header=BB253_991 Depth=1
	s_or_b32 exec_lo, exec_lo, s13
	v_mov_b32_e32 v9, 24
	v_lshlrev_b32_e32 v5, 20, v5
	v_lshl_add_u32 v7, v7, 23, 0x3c000000
	v_mov_b32_e32 v21, v6
	v_lshlrev_b32_sdwa v9, v9, v87 dst_sel:DWORD dst_unused:UNUSED_PAD src0_sel:DWORD src1_sel:BYTE_3
	v_and_b32_e32 v9, 0x80000000, v9
	v_or3_b32 v22, v5, v9, v7
.LBB253_1633:                           ;   in Loop: Header=BB253_991 Depth=1
	s_or_b32 exec_lo, exec_lo, s12
.LBB253_1634:                           ;   in Loop: Header=BB253_991 Depth=1
	s_or_b32 exec_lo, exec_lo, s11
.LBB253_1635:                           ;   in Loop: Header=BB253_991 Depth=1
	s_or_b32 exec_lo, exec_lo, s9
	v_or_b32_e32 v5, v20, v18
	v_or_b32_e32 v7, v19, v17
	;; [unrolled: 1-line block ×4, first 2 shown]
	v_mul_f32_e32 v44, v100, v5
	v_mul_f32_e32 v43, v84, v7
	;; [unrolled: 1-line block ×4, first 2 shown]
	s_and_saveexec_b32 s9, vcc_lo
	s_cbranch_execz .LBB253_1637
; %bb.1636:                             ;   in Loop: Header=BB253_991 Depth=1
	v_cmp_lt_i32_e64 s4, v117, v32
	v_cndmask_b32_e64 v43, 0, v43, s4
	v_cmp_lt_i32_e64 s4, v119, v32
	v_cndmask_b32_e64 v44, 0, v44, s4
	;; [unrolled: 2-line block ×4, first 2 shown]
.LBB253_1637:                           ;   in Loop: Header=BB253_991 Depth=1
	s_or_b32 exec_lo, exec_lo, s9
	flat_load_dword v87, v[15:16] offset:384
	v_mov_b32_e32 v19, 0
	v_mov_b32_e32 v17, 0
	;; [unrolled: 1-line block ×4, first 2 shown]
	s_waitcnt vmcnt(0) lgkmcnt(0)
	v_cmp_ne_u16_sdwa s4, v87, v6 src0_sel:BYTE_0 src1_sel:DWORD
	s_and_saveexec_b32 s9, s4
	s_cbranch_execz .LBB253_1645
; %bb.1638:                             ;   in Loop: Header=BB253_991 Depth=1
	v_bfrev_b32_e32 v17, 1
	v_mov_b32_e32 v18, 0
	v_cmp_ne_u16_sdwa s4, v87, v86 src0_sel:BYTE_0 src1_sel:DWORD
	s_and_saveexec_b32 s11, s4
	s_cbranch_execz .LBB253_1644
; %bb.1639:                             ;   in Loop: Header=BB253_991 Depth=1
	v_mov_b32_e32 v17, 0x7f800001
	v_and_b32_e32 v9, 0x7f, v87
	v_mov_b32_e32 v18, 0
	s_mov_b32 s12, exec_lo
	v_cmpx_ne_u32_e32 0x7f, v9
	s_cbranch_execz .LBB253_1643
; %bb.1640:                             ;   in Loop: Header=BB253_991 Depth=1
	v_and_b32_e32 v5, 7, v87
	v_lshrrev_b32_e32 v7, 3, v9
	s_mov_b32 s13, exec_lo
	v_cmpx_gt_u32_e32 8, v9
; %bb.1641:                             ;   in Loop: Header=BB253_991 Depth=1
	v_ffbh_u32_e32 v7, v5
	v_min_u32_e32 v7, 32, v7
	v_subrev_nc_u32_e32 v9, 28, v7
	v_sub_nc_u32_e32 v7, 29, v7
	v_lshlrev_b64 v[17:18], v9, v[5:6]
	v_and_b32_e32 v5, 7, v17
; %bb.1642:                             ;   in Loop: Header=BB253_991 Depth=1
	s_or_b32 exec_lo, exec_lo, s13
	v_lshlrev_b32_e32 v9, 24, v87
	v_lshlrev_b32_e32 v5, 20, v5
	v_lshl_add_u32 v7, v7, 23, 0x3c000000
	v_and_b32_e32 v9, 0x80000000, v9
	v_or3_b32 v5, v5, v9, v7
	v_mov_b32_e32 v18, v6
	v_mov_b32_e32 v17, v5
.LBB253_1643:                           ;   in Loop: Header=BB253_991 Depth=1
	s_or_b32 exec_lo, exec_lo, s12
.LBB253_1644:                           ;   in Loop: Header=BB253_991 Depth=1
	s_or_b32 exec_lo, exec_lo, s11
.LBB253_1645:                           ;   in Loop: Header=BB253_991 Depth=1
	s_or_b32 exec_lo, exec_lo, s9
	v_cmp_ne_u16_sdwa s4, v87, v6 src0_sel:BYTE_1 src1_sel:DWORD
	s_and_saveexec_b32 s9, s4
	s_cbranch_execz .LBB253_1653
; %bb.1646:                             ;   in Loop: Header=BB253_991 Depth=1
	v_mov_b32_e32 v7, v6
	v_mov_b32_e32 v20, v8
	v_cmp_ne_u16_sdwa s4, v87, v86 src0_sel:BYTE_1 src1_sel:DWORD
	v_mov_b32_e32 v19, v7
	s_and_saveexec_b32 s11, s4
	s_cbranch_execz .LBB253_1652
; %bb.1647:                             ;   in Loop: Header=BB253_991 Depth=1
	v_mov_b32_e32 v5, 0xffff
	v_mov_b32_e32 v9, v6
	;; [unrolled: 1-line block ×3, first 2 shown]
	s_mov_b32 s12, exec_lo
	v_and_b32_sdwa v5, v5, v87 dst_sel:DWORD dst_unused:UNUSED_PAD src0_sel:DWORD src1_sel:BYTE_1
	v_mov_b32_e32 v19, v9
	v_and_b32_e32 v21, 0x7f, v5
	v_cmpx_ne_u32_e32 0x7f, v21
	s_cbranch_execz .LBB253_1651
; %bb.1648:                             ;   in Loop: Header=BB253_991 Depth=1
	v_and_b32_e32 v5, 7, v5
	v_lshrrev_b32_e32 v7, 3, v21
	s_mov_b32 s13, exec_lo
	v_cmpx_gt_u32_e32 8, v21
; %bb.1649:                             ;   in Loop: Header=BB253_991 Depth=1
	v_ffbh_u32_e32 v7, v5
	v_min_u32_e32 v7, 32, v7
	v_subrev_nc_u32_e32 v9, 28, v7
	v_sub_nc_u32_e32 v7, 29, v7
	v_lshlrev_b64 v[19:20], v9, v[5:6]
	v_and_b32_e32 v5, 7, v19
; %bb.1650:                             ;   in Loop: Header=BB253_991 Depth=1
	s_or_b32 exec_lo, exec_lo, s13
	v_lshlrev_b32_e32 v9, 16, v87
	v_lshlrev_b32_e32 v5, 20, v5
	v_lshl_add_u32 v7, v7, 23, 0x3c000000
	v_mov_b32_e32 v19, v6
	v_and_b32_e32 v9, 0x80000000, v9
	v_or3_b32 v20, v5, v9, v7
.LBB253_1651:                           ;   in Loop: Header=BB253_991 Depth=1
	s_or_b32 exec_lo, exec_lo, s12
.LBB253_1652:                           ;   in Loop: Header=BB253_991 Depth=1
	s_or_b32 exec_lo, exec_lo, s11
.LBB253_1653:                           ;   in Loop: Header=BB253_991 Depth=1
	s_or_b32 exec_lo, exec_lo, s9
	v_mov_b32_e32 v21, 0
	v_mov_b32_e32 v23, 0
	v_and_b32_sdwa v5, v87, v96 dst_sel:DWORD dst_unused:UNUSED_PAD src0_sel:WORD_1 src1_sel:DWORD
	v_mov_b32_e32 v22, 0
	v_mov_b32_e32 v24, 0
	s_mov_b32 s9, exec_lo
	v_cmpx_ne_u16_e32 0, v5
	s_cbranch_execz .LBB253_1661
; %bb.1654:                             ;   in Loop: Header=BB253_991 Depth=1
	v_bfrev_b32_e32 v23, 1
	v_mov_b32_e32 v24, 0
	s_mov_b32 s11, exec_lo
	v_cmpx_ne_u16_e32 0x80, v5
	s_cbranch_execz .LBB253_1660
; %bb.1655:                             ;   in Loop: Header=BB253_991 Depth=1
	v_mov_b32_e32 v23, 0x7f800001
	v_bfe_u32 v9, v87, 16, 7
	v_mov_b32_e32 v24, 0
	s_mov_b32 s12, exec_lo
	v_cmpx_ne_u32_e32 0x7f, v9
	s_cbranch_execz .LBB253_1659
; %bb.1656:                             ;   in Loop: Header=BB253_991 Depth=1
	v_mov_b32_e32 v5, 7
	v_lshrrev_b32_e32 v7, 3, v9
	s_mov_b32 s13, exec_lo
	v_and_b32_sdwa v5, v87, v5 dst_sel:DWORD dst_unused:UNUSED_PAD src0_sel:WORD_1 src1_sel:DWORD
	v_cmpx_gt_u32_e32 8, v9
; %bb.1657:                             ;   in Loop: Header=BB253_991 Depth=1
	v_ffbh_u32_e32 v7, v5
	v_min_u32_e32 v7, 32, v7
	v_subrev_nc_u32_e32 v9, 28, v7
	v_sub_nc_u32_e32 v7, 29, v7
	v_lshlrev_b64 v[23:24], v9, v[5:6]
	v_and_b32_e32 v5, 7, v23
; %bb.1658:                             ;   in Loop: Header=BB253_991 Depth=1
	s_or_b32 exec_lo, exec_lo, s13
	v_mov_b32_e32 v9, 24
	v_lshlrev_b32_e32 v5, 20, v5
	v_lshl_add_u32 v7, v7, 23, 0x3c000000
	v_lshlrev_b32_sdwa v9, v9, v87 dst_sel:DWORD dst_unused:UNUSED_PAD src0_sel:DWORD src1_sel:WORD_1
	v_and_b32_e32 v9, 0x80000000, v9
	v_or3_b32 v5, v5, v9, v7
	v_mov_b32_e32 v24, v6
	v_mov_b32_e32 v23, v5
.LBB253_1659:                           ;   in Loop: Header=BB253_991 Depth=1
	s_or_b32 exec_lo, exec_lo, s12
.LBB253_1660:                           ;   in Loop: Header=BB253_991 Depth=1
	s_or_b32 exec_lo, exec_lo, s11
.LBB253_1661:                           ;   in Loop: Header=BB253_991 Depth=1
	s_or_b32 exec_lo, exec_lo, s9
	s_mov_b32 s9, exec_lo
	v_cmpx_lt_u32_e32 0xffffff, v87
	s_cbranch_execz .LBB253_1669
; %bb.1662:                             ;   in Loop: Header=BB253_991 Depth=1
	v_mov_b32_e32 v7, v6
	v_mov_b32_e32 v22, v8
	v_cmp_ne_u32_sdwa s4, v87, v86 src0_sel:BYTE_3 src1_sel:DWORD
	v_mov_b32_e32 v21, v7
	s_and_saveexec_b32 s11, s4
	s_cbranch_execz .LBB253_1668
; %bb.1663:                             ;   in Loop: Header=BB253_991 Depth=1
	v_mov_b32_e32 v9, v6
	v_mov_b32_e32 v22, v10
	v_bfe_u32 v97, v87, 24, 7
	s_mov_b32 s12, exec_lo
	v_mov_b32_e32 v21, v9
	v_cmpx_ne_u32_e32 0x7f, v97
	s_cbranch_execz .LBB253_1667
; %bb.1664:                             ;   in Loop: Header=BB253_991 Depth=1
	v_mov_b32_e32 v5, 7
	v_lshrrev_b32_e32 v7, 3, v97
	s_mov_b32 s13, exec_lo
	v_and_b32_sdwa v5, v87, v5 dst_sel:DWORD dst_unused:UNUSED_PAD src0_sel:BYTE_3 src1_sel:DWORD
	v_cmpx_gt_u32_e32 8, v97
; %bb.1665:                             ;   in Loop: Header=BB253_991 Depth=1
	v_ffbh_u32_e32 v7, v5
	v_min_u32_e32 v7, 32, v7
	v_subrev_nc_u32_e32 v9, 28, v7
	v_sub_nc_u32_e32 v7, 29, v7
	v_lshlrev_b64 v[21:22], v9, v[5:6]
	v_and_b32_e32 v5, 7, v21
; %bb.1666:                             ;   in Loop: Header=BB253_991 Depth=1
	s_or_b32 exec_lo, exec_lo, s13
	v_mov_b32_e32 v9, 24
	v_lshlrev_b32_e32 v5, 20, v5
	v_lshl_add_u32 v7, v7, 23, 0x3c000000
	v_mov_b32_e32 v21, v6
	v_lshlrev_b32_sdwa v9, v9, v87 dst_sel:DWORD dst_unused:UNUSED_PAD src0_sel:DWORD src1_sel:BYTE_3
	v_and_b32_e32 v9, 0x80000000, v9
	v_or3_b32 v22, v5, v9, v7
.LBB253_1667:                           ;   in Loop: Header=BB253_991 Depth=1
	s_or_b32 exec_lo, exec_lo, s12
.LBB253_1668:                           ;   in Loop: Header=BB253_991 Depth=1
	s_or_b32 exec_lo, exec_lo, s11
.LBB253_1669:                           ;   in Loop: Header=BB253_991 Depth=1
	s_or_b32 exec_lo, exec_lo, s9
	v_or_b32_e32 v5, v20, v18
	v_or_b32_e32 v7, v19, v17
	;; [unrolled: 1-line block ×4, first 2 shown]
	v_mul_f32_e32 v56, v100, v5
	v_mul_f32_e32 v47, v84, v7
	;; [unrolled: 1-line block ×4, first 2 shown]
	s_and_saveexec_b32 s9, vcc_lo
	s_cbranch_execz .LBB253_1671
; %bb.1670:                             ;   in Loop: Header=BB253_991 Depth=1
	v_cmp_lt_i32_e64 s4, v117, v32
	v_cndmask_b32_e64 v47, 0, v47, s4
	v_cmp_lt_i32_e64 s4, v119, v32
	v_cndmask_b32_e64 v56, 0, v56, s4
	;; [unrolled: 2-line block ×4, first 2 shown]
.LBB253_1671:                           ;   in Loop: Header=BB253_991 Depth=1
	s_or_b32 exec_lo, exec_lo, s9
	flat_load_dword v87, v[15:16] offset:512
	v_mov_b32_e32 v19, 0
	v_mov_b32_e32 v17, 0
	;; [unrolled: 1-line block ×4, first 2 shown]
	s_waitcnt vmcnt(0) lgkmcnt(0)
	v_cmp_ne_u16_sdwa s4, v87, v6 src0_sel:BYTE_0 src1_sel:DWORD
	s_and_saveexec_b32 s9, s4
	s_cbranch_execz .LBB253_1679
; %bb.1672:                             ;   in Loop: Header=BB253_991 Depth=1
	v_bfrev_b32_e32 v17, 1
	v_mov_b32_e32 v18, 0
	v_cmp_ne_u16_sdwa s4, v87, v86 src0_sel:BYTE_0 src1_sel:DWORD
	s_and_saveexec_b32 s11, s4
	s_cbranch_execz .LBB253_1678
; %bb.1673:                             ;   in Loop: Header=BB253_991 Depth=1
	v_mov_b32_e32 v17, 0x7f800001
	v_and_b32_e32 v9, 0x7f, v87
	v_mov_b32_e32 v18, 0
	s_mov_b32 s12, exec_lo
	v_cmpx_ne_u32_e32 0x7f, v9
	s_cbranch_execz .LBB253_1677
; %bb.1674:                             ;   in Loop: Header=BB253_991 Depth=1
	v_and_b32_e32 v5, 7, v87
	v_lshrrev_b32_e32 v7, 3, v9
	s_mov_b32 s13, exec_lo
	v_cmpx_gt_u32_e32 8, v9
; %bb.1675:                             ;   in Loop: Header=BB253_991 Depth=1
	v_ffbh_u32_e32 v7, v5
	v_min_u32_e32 v7, 32, v7
	v_subrev_nc_u32_e32 v9, 28, v7
	v_sub_nc_u32_e32 v7, 29, v7
	v_lshlrev_b64 v[17:18], v9, v[5:6]
	v_and_b32_e32 v5, 7, v17
; %bb.1676:                             ;   in Loop: Header=BB253_991 Depth=1
	s_or_b32 exec_lo, exec_lo, s13
	v_lshlrev_b32_e32 v9, 24, v87
	v_lshlrev_b32_e32 v5, 20, v5
	v_lshl_add_u32 v7, v7, 23, 0x3c000000
	v_and_b32_e32 v9, 0x80000000, v9
	v_or3_b32 v5, v5, v9, v7
	v_mov_b32_e32 v18, v6
	v_mov_b32_e32 v17, v5
.LBB253_1677:                           ;   in Loop: Header=BB253_991 Depth=1
	s_or_b32 exec_lo, exec_lo, s12
.LBB253_1678:                           ;   in Loop: Header=BB253_991 Depth=1
	s_or_b32 exec_lo, exec_lo, s11
.LBB253_1679:                           ;   in Loop: Header=BB253_991 Depth=1
	s_or_b32 exec_lo, exec_lo, s9
	v_cmp_ne_u16_sdwa s4, v87, v6 src0_sel:BYTE_1 src1_sel:DWORD
	s_and_saveexec_b32 s9, s4
	s_cbranch_execz .LBB253_1687
; %bb.1680:                             ;   in Loop: Header=BB253_991 Depth=1
	v_mov_b32_e32 v7, v6
	v_mov_b32_e32 v20, v8
	v_cmp_ne_u16_sdwa s4, v87, v86 src0_sel:BYTE_1 src1_sel:DWORD
	v_mov_b32_e32 v19, v7
	s_and_saveexec_b32 s11, s4
	s_cbranch_execz .LBB253_1686
; %bb.1681:                             ;   in Loop: Header=BB253_991 Depth=1
	v_mov_b32_e32 v5, 0xffff
	v_mov_b32_e32 v9, v6
	;; [unrolled: 1-line block ×3, first 2 shown]
	s_mov_b32 s12, exec_lo
	v_and_b32_sdwa v5, v5, v87 dst_sel:DWORD dst_unused:UNUSED_PAD src0_sel:DWORD src1_sel:BYTE_1
	v_mov_b32_e32 v19, v9
	v_and_b32_e32 v21, 0x7f, v5
	v_cmpx_ne_u32_e32 0x7f, v21
	s_cbranch_execz .LBB253_1685
; %bb.1682:                             ;   in Loop: Header=BB253_991 Depth=1
	v_and_b32_e32 v5, 7, v5
	v_lshrrev_b32_e32 v7, 3, v21
	s_mov_b32 s13, exec_lo
	v_cmpx_gt_u32_e32 8, v21
; %bb.1683:                             ;   in Loop: Header=BB253_991 Depth=1
	v_ffbh_u32_e32 v7, v5
	v_min_u32_e32 v7, 32, v7
	v_subrev_nc_u32_e32 v9, 28, v7
	v_sub_nc_u32_e32 v7, 29, v7
	v_lshlrev_b64 v[19:20], v9, v[5:6]
	v_and_b32_e32 v5, 7, v19
; %bb.1684:                             ;   in Loop: Header=BB253_991 Depth=1
	s_or_b32 exec_lo, exec_lo, s13
	v_lshlrev_b32_e32 v9, 16, v87
	v_lshlrev_b32_e32 v5, 20, v5
	v_lshl_add_u32 v7, v7, 23, 0x3c000000
	v_mov_b32_e32 v19, v6
	v_and_b32_e32 v9, 0x80000000, v9
	v_or3_b32 v20, v5, v9, v7
.LBB253_1685:                           ;   in Loop: Header=BB253_991 Depth=1
	s_or_b32 exec_lo, exec_lo, s12
.LBB253_1686:                           ;   in Loop: Header=BB253_991 Depth=1
	s_or_b32 exec_lo, exec_lo, s11
.LBB253_1687:                           ;   in Loop: Header=BB253_991 Depth=1
	s_or_b32 exec_lo, exec_lo, s9
	v_mov_b32_e32 v21, 0
	v_mov_b32_e32 v23, 0
	v_and_b32_sdwa v5, v87, v96 dst_sel:DWORD dst_unused:UNUSED_PAD src0_sel:WORD_1 src1_sel:DWORD
	v_mov_b32_e32 v22, 0
	v_mov_b32_e32 v24, 0
	s_mov_b32 s9, exec_lo
	v_cmpx_ne_u16_e32 0, v5
	s_cbranch_execz .LBB253_1695
; %bb.1688:                             ;   in Loop: Header=BB253_991 Depth=1
	v_bfrev_b32_e32 v23, 1
	v_mov_b32_e32 v24, 0
	s_mov_b32 s11, exec_lo
	v_cmpx_ne_u16_e32 0x80, v5
	s_cbranch_execz .LBB253_1694
; %bb.1689:                             ;   in Loop: Header=BB253_991 Depth=1
	v_mov_b32_e32 v23, 0x7f800001
	v_bfe_u32 v9, v87, 16, 7
	v_mov_b32_e32 v24, 0
	s_mov_b32 s12, exec_lo
	v_cmpx_ne_u32_e32 0x7f, v9
	s_cbranch_execz .LBB253_1693
; %bb.1690:                             ;   in Loop: Header=BB253_991 Depth=1
	v_mov_b32_e32 v5, 7
	v_lshrrev_b32_e32 v7, 3, v9
	s_mov_b32 s13, exec_lo
	v_and_b32_sdwa v5, v87, v5 dst_sel:DWORD dst_unused:UNUSED_PAD src0_sel:WORD_1 src1_sel:DWORD
	v_cmpx_gt_u32_e32 8, v9
; %bb.1691:                             ;   in Loop: Header=BB253_991 Depth=1
	v_ffbh_u32_e32 v7, v5
	v_min_u32_e32 v7, 32, v7
	v_subrev_nc_u32_e32 v9, 28, v7
	v_sub_nc_u32_e32 v7, 29, v7
	v_lshlrev_b64 v[23:24], v9, v[5:6]
	v_and_b32_e32 v5, 7, v23
; %bb.1692:                             ;   in Loop: Header=BB253_991 Depth=1
	s_or_b32 exec_lo, exec_lo, s13
	v_mov_b32_e32 v9, 24
	v_lshlrev_b32_e32 v5, 20, v5
	v_lshl_add_u32 v7, v7, 23, 0x3c000000
	v_lshlrev_b32_sdwa v9, v9, v87 dst_sel:DWORD dst_unused:UNUSED_PAD src0_sel:DWORD src1_sel:WORD_1
	v_and_b32_e32 v9, 0x80000000, v9
	v_or3_b32 v5, v5, v9, v7
	v_mov_b32_e32 v24, v6
	v_mov_b32_e32 v23, v5
.LBB253_1693:                           ;   in Loop: Header=BB253_991 Depth=1
	s_or_b32 exec_lo, exec_lo, s12
.LBB253_1694:                           ;   in Loop: Header=BB253_991 Depth=1
	s_or_b32 exec_lo, exec_lo, s11
.LBB253_1695:                           ;   in Loop: Header=BB253_991 Depth=1
	s_or_b32 exec_lo, exec_lo, s9
	s_mov_b32 s9, exec_lo
	v_cmpx_lt_u32_e32 0xffffff, v87
	s_cbranch_execz .LBB253_1703
; %bb.1696:                             ;   in Loop: Header=BB253_991 Depth=1
	v_mov_b32_e32 v7, v6
	v_mov_b32_e32 v22, v8
	v_cmp_ne_u32_sdwa s4, v87, v86 src0_sel:BYTE_3 src1_sel:DWORD
	v_mov_b32_e32 v21, v7
	s_and_saveexec_b32 s11, s4
	s_cbranch_execz .LBB253_1702
; %bb.1697:                             ;   in Loop: Header=BB253_991 Depth=1
	v_mov_b32_e32 v9, v6
	v_mov_b32_e32 v22, v10
	v_bfe_u32 v97, v87, 24, 7
	s_mov_b32 s12, exec_lo
	v_mov_b32_e32 v21, v9
	v_cmpx_ne_u32_e32 0x7f, v97
	s_cbranch_execz .LBB253_1701
; %bb.1698:                             ;   in Loop: Header=BB253_991 Depth=1
	v_mov_b32_e32 v5, 7
	v_lshrrev_b32_e32 v7, 3, v97
	s_mov_b32 s13, exec_lo
	v_and_b32_sdwa v5, v87, v5 dst_sel:DWORD dst_unused:UNUSED_PAD src0_sel:BYTE_3 src1_sel:DWORD
	v_cmpx_gt_u32_e32 8, v97
; %bb.1699:                             ;   in Loop: Header=BB253_991 Depth=1
	v_ffbh_u32_e32 v7, v5
	v_min_u32_e32 v7, 32, v7
	v_subrev_nc_u32_e32 v9, 28, v7
	v_sub_nc_u32_e32 v7, 29, v7
	v_lshlrev_b64 v[21:22], v9, v[5:6]
	v_and_b32_e32 v5, 7, v21
; %bb.1700:                             ;   in Loop: Header=BB253_991 Depth=1
	s_or_b32 exec_lo, exec_lo, s13
	v_mov_b32_e32 v9, 24
	v_lshlrev_b32_e32 v5, 20, v5
	v_lshl_add_u32 v7, v7, 23, 0x3c000000
	v_mov_b32_e32 v21, v6
	v_lshlrev_b32_sdwa v9, v9, v87 dst_sel:DWORD dst_unused:UNUSED_PAD src0_sel:DWORD src1_sel:BYTE_3
	v_and_b32_e32 v9, 0x80000000, v9
	v_or3_b32 v22, v5, v9, v7
.LBB253_1701:                           ;   in Loop: Header=BB253_991 Depth=1
	s_or_b32 exec_lo, exec_lo, s12
.LBB253_1702:                           ;   in Loop: Header=BB253_991 Depth=1
	s_or_b32 exec_lo, exec_lo, s11
.LBB253_1703:                           ;   in Loop: Header=BB253_991 Depth=1
	s_or_b32 exec_lo, exec_lo, s9
	v_or_b32_e32 v5, v20, v18
	v_or_b32_e32 v7, v19, v17
	v_or_b32_e32 v9, v21, v23
	v_or_b32_e32 v17, v22, v24
	v_mul_f32_e32 v87, v100, v5
	v_mul_f32_e32 v59, v84, v7
	;; [unrolled: 1-line block ×4, first 2 shown]
	s_and_saveexec_b32 s9, vcc_lo
	s_cbranch_execz .LBB253_1705
; %bb.1704:                             ;   in Loop: Header=BB253_991 Depth=1
	v_cmp_lt_i32_e64 s4, v117, v32
	v_cndmask_b32_e64 v59, 0, v59, s4
	v_cmp_lt_i32_e64 s4, v119, v32
	v_cndmask_b32_e64 v87, 0, v87, s4
	;; [unrolled: 2-line block ×4, first 2 shown]
.LBB253_1705:                           ;   in Loop: Header=BB253_991 Depth=1
	s_or_b32 exec_lo, exec_lo, s9
	flat_load_dword v97, v[15:16] offset:640
	v_mov_b32_e32 v19, 0
	v_mov_b32_e32 v17, 0
	;; [unrolled: 1-line block ×4, first 2 shown]
	s_waitcnt vmcnt(0) lgkmcnt(0)
	v_cmp_ne_u16_sdwa s4, v97, v6 src0_sel:BYTE_0 src1_sel:DWORD
	s_and_saveexec_b32 s9, s4
	s_cbranch_execz .LBB253_1713
; %bb.1706:                             ;   in Loop: Header=BB253_991 Depth=1
	v_bfrev_b32_e32 v17, 1
	v_mov_b32_e32 v18, 0
	v_cmp_ne_u16_sdwa s4, v97, v86 src0_sel:BYTE_0 src1_sel:DWORD
	s_and_saveexec_b32 s11, s4
	s_cbranch_execz .LBB253_1712
; %bb.1707:                             ;   in Loop: Header=BB253_991 Depth=1
	v_mov_b32_e32 v17, 0x7f800001
	v_and_b32_e32 v9, 0x7f, v97
	v_mov_b32_e32 v18, 0
	s_mov_b32 s12, exec_lo
	v_cmpx_ne_u32_e32 0x7f, v9
	s_cbranch_execz .LBB253_1711
; %bb.1708:                             ;   in Loop: Header=BB253_991 Depth=1
	v_and_b32_e32 v5, 7, v97
	v_lshrrev_b32_e32 v7, 3, v9
	s_mov_b32 s13, exec_lo
	v_cmpx_gt_u32_e32 8, v9
; %bb.1709:                             ;   in Loop: Header=BB253_991 Depth=1
	v_ffbh_u32_e32 v7, v5
	v_min_u32_e32 v7, 32, v7
	v_subrev_nc_u32_e32 v9, 28, v7
	v_sub_nc_u32_e32 v7, 29, v7
	v_lshlrev_b64 v[17:18], v9, v[5:6]
	v_and_b32_e32 v5, 7, v17
; %bb.1710:                             ;   in Loop: Header=BB253_991 Depth=1
	s_or_b32 exec_lo, exec_lo, s13
	v_lshlrev_b32_e32 v9, 24, v97
	v_lshlrev_b32_e32 v5, 20, v5
	v_lshl_add_u32 v7, v7, 23, 0x3c000000
	v_and_b32_e32 v9, 0x80000000, v9
	v_or3_b32 v5, v5, v9, v7
	v_mov_b32_e32 v18, v6
	v_mov_b32_e32 v17, v5
.LBB253_1711:                           ;   in Loop: Header=BB253_991 Depth=1
	s_or_b32 exec_lo, exec_lo, s12
.LBB253_1712:                           ;   in Loop: Header=BB253_991 Depth=1
	s_or_b32 exec_lo, exec_lo, s11
.LBB253_1713:                           ;   in Loop: Header=BB253_991 Depth=1
	s_or_b32 exec_lo, exec_lo, s9
	v_cmp_ne_u16_sdwa s4, v97, v6 src0_sel:BYTE_1 src1_sel:DWORD
	s_and_saveexec_b32 s9, s4
	s_cbranch_execz .LBB253_1721
; %bb.1714:                             ;   in Loop: Header=BB253_991 Depth=1
	v_mov_b32_e32 v7, v6
	v_mov_b32_e32 v20, v8
	v_cmp_ne_u16_sdwa s4, v97, v86 src0_sel:BYTE_1 src1_sel:DWORD
	v_mov_b32_e32 v19, v7
	s_and_saveexec_b32 s11, s4
	s_cbranch_execz .LBB253_1720
; %bb.1715:                             ;   in Loop: Header=BB253_991 Depth=1
	v_mov_b32_e32 v5, 0xffff
	v_mov_b32_e32 v9, v6
	;; [unrolled: 1-line block ×3, first 2 shown]
	s_mov_b32 s12, exec_lo
	v_and_b32_sdwa v5, v5, v97 dst_sel:DWORD dst_unused:UNUSED_PAD src0_sel:DWORD src1_sel:BYTE_1
	v_mov_b32_e32 v19, v9
	v_and_b32_e32 v21, 0x7f, v5
	v_cmpx_ne_u32_e32 0x7f, v21
	s_cbranch_execz .LBB253_1719
; %bb.1716:                             ;   in Loop: Header=BB253_991 Depth=1
	v_and_b32_e32 v5, 7, v5
	v_lshrrev_b32_e32 v7, 3, v21
	s_mov_b32 s13, exec_lo
	v_cmpx_gt_u32_e32 8, v21
; %bb.1717:                             ;   in Loop: Header=BB253_991 Depth=1
	v_ffbh_u32_e32 v7, v5
	v_min_u32_e32 v7, 32, v7
	v_subrev_nc_u32_e32 v9, 28, v7
	v_sub_nc_u32_e32 v7, 29, v7
	v_lshlrev_b64 v[19:20], v9, v[5:6]
	v_and_b32_e32 v5, 7, v19
; %bb.1718:                             ;   in Loop: Header=BB253_991 Depth=1
	s_or_b32 exec_lo, exec_lo, s13
	v_lshlrev_b32_e32 v9, 16, v97
	v_lshlrev_b32_e32 v5, 20, v5
	v_lshl_add_u32 v7, v7, 23, 0x3c000000
	v_mov_b32_e32 v19, v6
	v_and_b32_e32 v9, 0x80000000, v9
	v_or3_b32 v20, v5, v9, v7
.LBB253_1719:                           ;   in Loop: Header=BB253_991 Depth=1
	s_or_b32 exec_lo, exec_lo, s12
.LBB253_1720:                           ;   in Loop: Header=BB253_991 Depth=1
	s_or_b32 exec_lo, exec_lo, s11
.LBB253_1721:                           ;   in Loop: Header=BB253_991 Depth=1
	s_or_b32 exec_lo, exec_lo, s9
	v_mov_b32_e32 v21, 0
	v_mov_b32_e32 v23, 0
	v_and_b32_sdwa v5, v97, v96 dst_sel:DWORD dst_unused:UNUSED_PAD src0_sel:WORD_1 src1_sel:DWORD
	v_mov_b32_e32 v22, 0
	v_mov_b32_e32 v24, 0
	s_mov_b32 s9, exec_lo
	v_cmpx_ne_u16_e32 0, v5
	s_cbranch_execz .LBB253_1729
; %bb.1722:                             ;   in Loop: Header=BB253_991 Depth=1
	v_bfrev_b32_e32 v23, 1
	v_mov_b32_e32 v24, 0
	s_mov_b32 s11, exec_lo
	v_cmpx_ne_u16_e32 0x80, v5
	s_cbranch_execz .LBB253_1728
; %bb.1723:                             ;   in Loop: Header=BB253_991 Depth=1
	v_mov_b32_e32 v23, 0x7f800001
	v_bfe_u32 v9, v97, 16, 7
	v_mov_b32_e32 v24, 0
	s_mov_b32 s12, exec_lo
	v_cmpx_ne_u32_e32 0x7f, v9
	s_cbranch_execz .LBB253_1727
; %bb.1724:                             ;   in Loop: Header=BB253_991 Depth=1
	v_mov_b32_e32 v5, 7
	v_lshrrev_b32_e32 v7, 3, v9
	s_mov_b32 s13, exec_lo
	v_and_b32_sdwa v5, v97, v5 dst_sel:DWORD dst_unused:UNUSED_PAD src0_sel:WORD_1 src1_sel:DWORD
	v_cmpx_gt_u32_e32 8, v9
; %bb.1725:                             ;   in Loop: Header=BB253_991 Depth=1
	v_ffbh_u32_e32 v7, v5
	v_min_u32_e32 v7, 32, v7
	v_subrev_nc_u32_e32 v9, 28, v7
	v_sub_nc_u32_e32 v7, 29, v7
	v_lshlrev_b64 v[23:24], v9, v[5:6]
	v_and_b32_e32 v5, 7, v23
; %bb.1726:                             ;   in Loop: Header=BB253_991 Depth=1
	s_or_b32 exec_lo, exec_lo, s13
	v_mov_b32_e32 v9, 24
	v_lshlrev_b32_e32 v5, 20, v5
	v_lshl_add_u32 v7, v7, 23, 0x3c000000
	v_lshlrev_b32_sdwa v9, v9, v97 dst_sel:DWORD dst_unused:UNUSED_PAD src0_sel:DWORD src1_sel:WORD_1
	v_and_b32_e32 v9, 0x80000000, v9
	v_or3_b32 v5, v5, v9, v7
	v_mov_b32_e32 v24, v6
	v_mov_b32_e32 v23, v5
.LBB253_1727:                           ;   in Loop: Header=BB253_991 Depth=1
	s_or_b32 exec_lo, exec_lo, s12
.LBB253_1728:                           ;   in Loop: Header=BB253_991 Depth=1
	s_or_b32 exec_lo, exec_lo, s11
.LBB253_1729:                           ;   in Loop: Header=BB253_991 Depth=1
	s_or_b32 exec_lo, exec_lo, s9
	s_mov_b32 s9, exec_lo
	v_cmpx_lt_u32_e32 0xffffff, v97
	s_cbranch_execz .LBB253_1737
; %bb.1730:                             ;   in Loop: Header=BB253_991 Depth=1
	v_mov_b32_e32 v7, v6
	v_mov_b32_e32 v22, v8
	v_cmp_ne_u32_sdwa s4, v97, v86 src0_sel:BYTE_3 src1_sel:DWORD
	v_mov_b32_e32 v21, v7
	s_and_saveexec_b32 s11, s4
	s_cbranch_execz .LBB253_1736
; %bb.1731:                             ;   in Loop: Header=BB253_991 Depth=1
	v_mov_b32_e32 v9, v6
	v_mov_b32_e32 v22, v10
	v_bfe_u32 v98, v97, 24, 7
	s_mov_b32 s12, exec_lo
	v_mov_b32_e32 v21, v9
	v_cmpx_ne_u32_e32 0x7f, v98
	s_cbranch_execz .LBB253_1735
; %bb.1732:                             ;   in Loop: Header=BB253_991 Depth=1
	v_mov_b32_e32 v5, 7
	v_lshrrev_b32_e32 v7, 3, v98
	s_mov_b32 s13, exec_lo
	v_and_b32_sdwa v5, v97, v5 dst_sel:DWORD dst_unused:UNUSED_PAD src0_sel:BYTE_3 src1_sel:DWORD
	v_cmpx_gt_u32_e32 8, v98
; %bb.1733:                             ;   in Loop: Header=BB253_991 Depth=1
	v_ffbh_u32_e32 v7, v5
	v_min_u32_e32 v7, 32, v7
	v_subrev_nc_u32_e32 v9, 28, v7
	v_sub_nc_u32_e32 v7, 29, v7
	v_lshlrev_b64 v[21:22], v9, v[5:6]
	v_and_b32_e32 v5, 7, v21
; %bb.1734:                             ;   in Loop: Header=BB253_991 Depth=1
	s_or_b32 exec_lo, exec_lo, s13
	v_mov_b32_e32 v9, 24
	v_lshlrev_b32_e32 v5, 20, v5
	v_lshl_add_u32 v7, v7, 23, 0x3c000000
	v_mov_b32_e32 v21, v6
	v_lshlrev_b32_sdwa v9, v9, v97 dst_sel:DWORD dst_unused:UNUSED_PAD src0_sel:DWORD src1_sel:BYTE_3
	v_and_b32_e32 v9, 0x80000000, v9
	v_or3_b32 v22, v5, v9, v7
.LBB253_1735:                           ;   in Loop: Header=BB253_991 Depth=1
	s_or_b32 exec_lo, exec_lo, s12
.LBB253_1736:                           ;   in Loop: Header=BB253_991 Depth=1
	s_or_b32 exec_lo, exec_lo, s11
.LBB253_1737:                           ;   in Loop: Header=BB253_991 Depth=1
	s_or_b32 exec_lo, exec_lo, s9
	v_or_b32_e32 v5, v20, v18
	v_or_b32_e32 v7, v19, v17
	;; [unrolled: 1-line block ×4, first 2 shown]
	v_mul_f32_e32 v61, v100, v5
	v_mul_f32_e32 v60, v84, v7
	;; [unrolled: 1-line block ×4, first 2 shown]
	s_and_saveexec_b32 s9, vcc_lo
	s_cbranch_execz .LBB253_1739
; %bb.1738:                             ;   in Loop: Header=BB253_991 Depth=1
	v_cmp_lt_i32_e64 s4, v117, v32
	v_cndmask_b32_e64 v60, 0, v60, s4
	v_cmp_lt_i32_e64 s4, v119, v32
	v_cndmask_b32_e64 v61, 0, v61, s4
	;; [unrolled: 2-line block ×4, first 2 shown]
.LBB253_1739:                           ;   in Loop: Header=BB253_991 Depth=1
	s_or_b32 exec_lo, exec_lo, s9
	flat_load_dword v62, v[15:16] offset:768
	v_mov_b32_e32 v19, 0
	v_mov_b32_e32 v17, 0
	v_mov_b32_e32 v20, 0
	v_mov_b32_e32 v18, 0
	s_waitcnt vmcnt(0) lgkmcnt(0)
	v_cmp_ne_u16_sdwa s4, v62, v6 src0_sel:BYTE_0 src1_sel:DWORD
	s_and_saveexec_b32 s9, s4
	s_cbranch_execz .LBB253_1747
; %bb.1740:                             ;   in Loop: Header=BB253_991 Depth=1
	v_bfrev_b32_e32 v17, 1
	v_mov_b32_e32 v18, 0
	v_cmp_ne_u16_sdwa s4, v62, v86 src0_sel:BYTE_0 src1_sel:DWORD
	s_and_saveexec_b32 s11, s4
	s_cbranch_execz .LBB253_1746
; %bb.1741:                             ;   in Loop: Header=BB253_991 Depth=1
	v_mov_b32_e32 v17, 0x7f800001
	v_and_b32_e32 v9, 0x7f, v62
	v_mov_b32_e32 v18, 0
	s_mov_b32 s12, exec_lo
	v_cmpx_ne_u32_e32 0x7f, v9
	s_cbranch_execz .LBB253_1745
; %bb.1742:                             ;   in Loop: Header=BB253_991 Depth=1
	v_and_b32_e32 v5, 7, v62
	v_lshrrev_b32_e32 v7, 3, v9
	s_mov_b32 s13, exec_lo
	v_cmpx_gt_u32_e32 8, v9
; %bb.1743:                             ;   in Loop: Header=BB253_991 Depth=1
	v_ffbh_u32_e32 v7, v5
	v_min_u32_e32 v7, 32, v7
	v_subrev_nc_u32_e32 v9, 28, v7
	v_sub_nc_u32_e32 v7, 29, v7
	v_lshlrev_b64 v[17:18], v9, v[5:6]
	v_and_b32_e32 v5, 7, v17
; %bb.1744:                             ;   in Loop: Header=BB253_991 Depth=1
	s_or_b32 exec_lo, exec_lo, s13
	v_lshlrev_b32_e32 v9, 24, v62
	v_lshlrev_b32_e32 v5, 20, v5
	v_lshl_add_u32 v7, v7, 23, 0x3c000000
	v_and_b32_e32 v9, 0x80000000, v9
	v_or3_b32 v5, v5, v9, v7
	v_mov_b32_e32 v18, v6
	v_mov_b32_e32 v17, v5
.LBB253_1745:                           ;   in Loop: Header=BB253_991 Depth=1
	s_or_b32 exec_lo, exec_lo, s12
.LBB253_1746:                           ;   in Loop: Header=BB253_991 Depth=1
	s_or_b32 exec_lo, exec_lo, s11
.LBB253_1747:                           ;   in Loop: Header=BB253_991 Depth=1
	s_or_b32 exec_lo, exec_lo, s9
	v_cmp_ne_u16_sdwa s4, v62, v6 src0_sel:BYTE_1 src1_sel:DWORD
	s_and_saveexec_b32 s9, s4
	s_cbranch_execz .LBB253_1755
; %bb.1748:                             ;   in Loop: Header=BB253_991 Depth=1
	v_mov_b32_e32 v7, v6
	v_mov_b32_e32 v20, v8
	v_cmp_ne_u16_sdwa s4, v62, v86 src0_sel:BYTE_1 src1_sel:DWORD
	v_mov_b32_e32 v19, v7
	s_and_saveexec_b32 s11, s4
	s_cbranch_execz .LBB253_1754
; %bb.1749:                             ;   in Loop: Header=BB253_991 Depth=1
	v_mov_b32_e32 v5, 0xffff
	v_mov_b32_e32 v9, v6
	;; [unrolled: 1-line block ×3, first 2 shown]
	s_mov_b32 s12, exec_lo
	v_and_b32_sdwa v5, v5, v62 dst_sel:DWORD dst_unused:UNUSED_PAD src0_sel:DWORD src1_sel:BYTE_1
	v_mov_b32_e32 v19, v9
	v_and_b32_e32 v21, 0x7f, v5
	v_cmpx_ne_u32_e32 0x7f, v21
	s_cbranch_execz .LBB253_1753
; %bb.1750:                             ;   in Loop: Header=BB253_991 Depth=1
	v_and_b32_e32 v5, 7, v5
	v_lshrrev_b32_e32 v7, 3, v21
	s_mov_b32 s13, exec_lo
	v_cmpx_gt_u32_e32 8, v21
; %bb.1751:                             ;   in Loop: Header=BB253_991 Depth=1
	v_ffbh_u32_e32 v7, v5
	v_min_u32_e32 v7, 32, v7
	v_subrev_nc_u32_e32 v9, 28, v7
	v_sub_nc_u32_e32 v7, 29, v7
	v_lshlrev_b64 v[19:20], v9, v[5:6]
	v_and_b32_e32 v5, 7, v19
; %bb.1752:                             ;   in Loop: Header=BB253_991 Depth=1
	s_or_b32 exec_lo, exec_lo, s13
	v_lshlrev_b32_e32 v9, 16, v62
	v_lshlrev_b32_e32 v5, 20, v5
	v_lshl_add_u32 v7, v7, 23, 0x3c000000
	v_mov_b32_e32 v19, v6
	v_and_b32_e32 v9, 0x80000000, v9
	v_or3_b32 v20, v5, v9, v7
.LBB253_1753:                           ;   in Loop: Header=BB253_991 Depth=1
	s_or_b32 exec_lo, exec_lo, s12
.LBB253_1754:                           ;   in Loop: Header=BB253_991 Depth=1
	s_or_b32 exec_lo, exec_lo, s11
.LBB253_1755:                           ;   in Loop: Header=BB253_991 Depth=1
	s_or_b32 exec_lo, exec_lo, s9
	v_mov_b32_e32 v21, 0
	v_mov_b32_e32 v23, 0
	v_and_b32_sdwa v5, v62, v96 dst_sel:DWORD dst_unused:UNUSED_PAD src0_sel:WORD_1 src1_sel:DWORD
	v_mov_b32_e32 v22, 0
	v_mov_b32_e32 v24, 0
	s_mov_b32 s9, exec_lo
	v_cmpx_ne_u16_e32 0, v5
	s_cbranch_execz .LBB253_1763
; %bb.1756:                             ;   in Loop: Header=BB253_991 Depth=1
	v_bfrev_b32_e32 v23, 1
	v_mov_b32_e32 v24, 0
	s_mov_b32 s11, exec_lo
	v_cmpx_ne_u16_e32 0x80, v5
	s_cbranch_execz .LBB253_1762
; %bb.1757:                             ;   in Loop: Header=BB253_991 Depth=1
	v_mov_b32_e32 v23, 0x7f800001
	v_bfe_u32 v9, v62, 16, 7
	v_mov_b32_e32 v24, 0
	s_mov_b32 s12, exec_lo
	v_cmpx_ne_u32_e32 0x7f, v9
	s_cbranch_execz .LBB253_1761
; %bb.1758:                             ;   in Loop: Header=BB253_991 Depth=1
	v_mov_b32_e32 v5, 7
	v_lshrrev_b32_e32 v7, 3, v9
	s_mov_b32 s13, exec_lo
	v_and_b32_sdwa v5, v62, v5 dst_sel:DWORD dst_unused:UNUSED_PAD src0_sel:WORD_1 src1_sel:DWORD
	v_cmpx_gt_u32_e32 8, v9
; %bb.1759:                             ;   in Loop: Header=BB253_991 Depth=1
	v_ffbh_u32_e32 v7, v5
	v_min_u32_e32 v7, 32, v7
	v_subrev_nc_u32_e32 v9, 28, v7
	v_sub_nc_u32_e32 v7, 29, v7
	v_lshlrev_b64 v[23:24], v9, v[5:6]
	v_and_b32_e32 v5, 7, v23
; %bb.1760:                             ;   in Loop: Header=BB253_991 Depth=1
	s_or_b32 exec_lo, exec_lo, s13
	v_mov_b32_e32 v9, 24
	v_lshlrev_b32_e32 v5, 20, v5
	v_lshl_add_u32 v7, v7, 23, 0x3c000000
	v_lshlrev_b32_sdwa v9, v9, v62 dst_sel:DWORD dst_unused:UNUSED_PAD src0_sel:DWORD src1_sel:WORD_1
	v_and_b32_e32 v9, 0x80000000, v9
	v_or3_b32 v5, v5, v9, v7
	v_mov_b32_e32 v24, v6
	v_mov_b32_e32 v23, v5
.LBB253_1761:                           ;   in Loop: Header=BB253_991 Depth=1
	s_or_b32 exec_lo, exec_lo, s12
.LBB253_1762:                           ;   in Loop: Header=BB253_991 Depth=1
	s_or_b32 exec_lo, exec_lo, s11
.LBB253_1763:                           ;   in Loop: Header=BB253_991 Depth=1
	s_or_b32 exec_lo, exec_lo, s9
	s_mov_b32 s9, exec_lo
	v_cmpx_lt_u32_e32 0xffffff, v62
	s_cbranch_execz .LBB253_1771
; %bb.1764:                             ;   in Loop: Header=BB253_991 Depth=1
	v_mov_b32_e32 v7, v6
	v_mov_b32_e32 v22, v8
	v_cmp_ne_u32_sdwa s4, v62, v86 src0_sel:BYTE_3 src1_sel:DWORD
	v_mov_b32_e32 v21, v7
	s_and_saveexec_b32 s11, s4
	s_cbranch_execz .LBB253_1770
; %bb.1765:                             ;   in Loop: Header=BB253_991 Depth=1
	v_mov_b32_e32 v9, v6
	v_mov_b32_e32 v22, v10
	v_bfe_u32 v63, v62, 24, 7
	s_mov_b32 s12, exec_lo
	v_mov_b32_e32 v21, v9
	v_cmpx_ne_u32_e32 0x7f, v63
	s_cbranch_execz .LBB253_1769
; %bb.1766:                             ;   in Loop: Header=BB253_991 Depth=1
	v_mov_b32_e32 v5, 7
	v_lshrrev_b32_e32 v7, 3, v63
	s_mov_b32 s13, exec_lo
	v_and_b32_sdwa v5, v62, v5 dst_sel:DWORD dst_unused:UNUSED_PAD src0_sel:BYTE_3 src1_sel:DWORD
	v_cmpx_gt_u32_e32 8, v63
; %bb.1767:                             ;   in Loop: Header=BB253_991 Depth=1
	v_ffbh_u32_e32 v7, v5
	v_min_u32_e32 v7, 32, v7
	v_subrev_nc_u32_e32 v9, 28, v7
	v_sub_nc_u32_e32 v7, 29, v7
	v_lshlrev_b64 v[21:22], v9, v[5:6]
	v_and_b32_e32 v5, 7, v21
; %bb.1768:                             ;   in Loop: Header=BB253_991 Depth=1
	s_or_b32 exec_lo, exec_lo, s13
	v_mov_b32_e32 v9, 24
	v_lshlrev_b32_e32 v5, 20, v5
	v_lshl_add_u32 v7, v7, 23, 0x3c000000
	v_mov_b32_e32 v21, v6
	v_lshlrev_b32_sdwa v9, v9, v62 dst_sel:DWORD dst_unused:UNUSED_PAD src0_sel:DWORD src1_sel:BYTE_3
	v_and_b32_e32 v9, 0x80000000, v9
	v_or3_b32 v22, v5, v9, v7
.LBB253_1769:                           ;   in Loop: Header=BB253_991 Depth=1
	s_or_b32 exec_lo, exec_lo, s12
.LBB253_1770:                           ;   in Loop: Header=BB253_991 Depth=1
	s_or_b32 exec_lo, exec_lo, s11
.LBB253_1771:                           ;   in Loop: Header=BB253_991 Depth=1
	s_or_b32 exec_lo, exec_lo, s9
	v_or_b32_e32 v5, v20, v18
	v_or_b32_e32 v7, v19, v17
	;; [unrolled: 1-line block ×4, first 2 shown]
	v_mul_f32_e32 v73, v100, v5
	v_mul_f32_e32 v72, v84, v7
	;; [unrolled: 1-line block ×4, first 2 shown]
	s_and_saveexec_b32 s9, vcc_lo
	s_cbranch_execz .LBB253_1773
; %bb.1772:                             ;   in Loop: Header=BB253_991 Depth=1
	v_cmp_lt_i32_e64 s4, v117, v32
	v_cndmask_b32_e64 v72, 0, v72, s4
	v_cmp_lt_i32_e64 s4, v119, v32
	v_cndmask_b32_e64 v73, 0, v73, s4
	;; [unrolled: 2-line block ×4, first 2 shown]
.LBB253_1773:                           ;   in Loop: Header=BB253_991 Depth=1
	s_or_b32 exec_lo, exec_lo, s9
	flat_load_dword v74, v[15:16] offset:896
	v_mov_b32_e32 v19, 0
	v_mov_b32_e32 v17, 0
	;; [unrolled: 1-line block ×4, first 2 shown]
	s_waitcnt vmcnt(0) lgkmcnt(0)
	v_cmp_ne_u16_sdwa s4, v74, v6 src0_sel:BYTE_0 src1_sel:DWORD
	s_and_saveexec_b32 s9, s4
	s_cbranch_execz .LBB253_1781
; %bb.1774:                             ;   in Loop: Header=BB253_991 Depth=1
	v_bfrev_b32_e32 v17, 1
	v_mov_b32_e32 v18, 0
	v_cmp_ne_u16_sdwa s4, v74, v86 src0_sel:BYTE_0 src1_sel:DWORD
	s_and_saveexec_b32 s11, s4
	s_cbranch_execz .LBB253_1780
; %bb.1775:                             ;   in Loop: Header=BB253_991 Depth=1
	v_mov_b32_e32 v17, 0x7f800001
	v_and_b32_e32 v9, 0x7f, v74
	v_mov_b32_e32 v18, 0
	s_mov_b32 s12, exec_lo
	v_cmpx_ne_u32_e32 0x7f, v9
	s_cbranch_execz .LBB253_1779
; %bb.1776:                             ;   in Loop: Header=BB253_991 Depth=1
	v_and_b32_e32 v5, 7, v74
	v_lshrrev_b32_e32 v7, 3, v9
	s_mov_b32 s13, exec_lo
	v_cmpx_gt_u32_e32 8, v9
; %bb.1777:                             ;   in Loop: Header=BB253_991 Depth=1
	v_ffbh_u32_e32 v7, v5
	v_min_u32_e32 v7, 32, v7
	v_subrev_nc_u32_e32 v9, 28, v7
	v_sub_nc_u32_e32 v7, 29, v7
	v_lshlrev_b64 v[17:18], v9, v[5:6]
	v_and_b32_e32 v5, 7, v17
; %bb.1778:                             ;   in Loop: Header=BB253_991 Depth=1
	s_or_b32 exec_lo, exec_lo, s13
	v_lshlrev_b32_e32 v9, 24, v74
	v_lshlrev_b32_e32 v5, 20, v5
	v_lshl_add_u32 v7, v7, 23, 0x3c000000
	v_and_b32_e32 v9, 0x80000000, v9
	v_or3_b32 v5, v5, v9, v7
	v_mov_b32_e32 v18, v6
	v_mov_b32_e32 v17, v5
.LBB253_1779:                           ;   in Loop: Header=BB253_991 Depth=1
	s_or_b32 exec_lo, exec_lo, s12
.LBB253_1780:                           ;   in Loop: Header=BB253_991 Depth=1
	s_or_b32 exec_lo, exec_lo, s11
.LBB253_1781:                           ;   in Loop: Header=BB253_991 Depth=1
	s_or_b32 exec_lo, exec_lo, s9
	v_cmp_ne_u16_sdwa s4, v74, v6 src0_sel:BYTE_1 src1_sel:DWORD
	s_and_saveexec_b32 s9, s4
	s_cbranch_execz .LBB253_1789
; %bb.1782:                             ;   in Loop: Header=BB253_991 Depth=1
	v_mov_b32_e32 v7, v6
	v_mov_b32_e32 v20, v8
	v_cmp_ne_u16_sdwa s4, v74, v86 src0_sel:BYTE_1 src1_sel:DWORD
	v_mov_b32_e32 v19, v7
	s_and_saveexec_b32 s11, s4
	s_cbranch_execz .LBB253_1788
; %bb.1783:                             ;   in Loop: Header=BB253_991 Depth=1
	v_mov_b32_e32 v5, 0xffff
	v_mov_b32_e32 v9, v6
	;; [unrolled: 1-line block ×3, first 2 shown]
	s_mov_b32 s12, exec_lo
	v_and_b32_sdwa v5, v5, v74 dst_sel:DWORD dst_unused:UNUSED_PAD src0_sel:DWORD src1_sel:BYTE_1
	v_mov_b32_e32 v19, v9
	v_and_b32_e32 v21, 0x7f, v5
	v_cmpx_ne_u32_e32 0x7f, v21
	s_cbranch_execz .LBB253_1787
; %bb.1784:                             ;   in Loop: Header=BB253_991 Depth=1
	v_and_b32_e32 v5, 7, v5
	v_lshrrev_b32_e32 v7, 3, v21
	s_mov_b32 s13, exec_lo
	v_cmpx_gt_u32_e32 8, v21
; %bb.1785:                             ;   in Loop: Header=BB253_991 Depth=1
	v_ffbh_u32_e32 v7, v5
	v_min_u32_e32 v7, 32, v7
	v_subrev_nc_u32_e32 v9, 28, v7
	v_sub_nc_u32_e32 v7, 29, v7
	v_lshlrev_b64 v[19:20], v9, v[5:6]
	v_and_b32_e32 v5, 7, v19
; %bb.1786:                             ;   in Loop: Header=BB253_991 Depth=1
	s_or_b32 exec_lo, exec_lo, s13
	v_lshlrev_b32_e32 v9, 16, v74
	v_lshlrev_b32_e32 v5, 20, v5
	v_lshl_add_u32 v7, v7, 23, 0x3c000000
	v_mov_b32_e32 v19, v6
	v_and_b32_e32 v9, 0x80000000, v9
	v_or3_b32 v20, v5, v9, v7
.LBB253_1787:                           ;   in Loop: Header=BB253_991 Depth=1
	s_or_b32 exec_lo, exec_lo, s12
.LBB253_1788:                           ;   in Loop: Header=BB253_991 Depth=1
	s_or_b32 exec_lo, exec_lo, s11
.LBB253_1789:                           ;   in Loop: Header=BB253_991 Depth=1
	s_or_b32 exec_lo, exec_lo, s9
	v_mov_b32_e32 v21, 0
	v_mov_b32_e32 v23, 0
	v_and_b32_sdwa v5, v74, v96 dst_sel:DWORD dst_unused:UNUSED_PAD src0_sel:WORD_1 src1_sel:DWORD
	v_mov_b32_e32 v22, 0
	v_mov_b32_e32 v24, 0
	s_mov_b32 s9, exec_lo
	v_cmpx_ne_u16_e32 0, v5
	s_cbranch_execz .LBB253_1797
; %bb.1790:                             ;   in Loop: Header=BB253_991 Depth=1
	v_bfrev_b32_e32 v23, 1
	v_mov_b32_e32 v24, 0
	s_mov_b32 s11, exec_lo
	v_cmpx_ne_u16_e32 0x80, v5
	s_cbranch_execz .LBB253_1796
; %bb.1791:                             ;   in Loop: Header=BB253_991 Depth=1
	v_mov_b32_e32 v23, 0x7f800001
	v_bfe_u32 v9, v74, 16, 7
	v_mov_b32_e32 v24, 0
	s_mov_b32 s12, exec_lo
	v_cmpx_ne_u32_e32 0x7f, v9
	s_cbranch_execz .LBB253_1795
; %bb.1792:                             ;   in Loop: Header=BB253_991 Depth=1
	v_mov_b32_e32 v5, 7
	v_lshrrev_b32_e32 v7, 3, v9
	s_mov_b32 s13, exec_lo
	v_and_b32_sdwa v5, v74, v5 dst_sel:DWORD dst_unused:UNUSED_PAD src0_sel:WORD_1 src1_sel:DWORD
	v_cmpx_gt_u32_e32 8, v9
; %bb.1793:                             ;   in Loop: Header=BB253_991 Depth=1
	v_ffbh_u32_e32 v7, v5
	v_min_u32_e32 v7, 32, v7
	v_subrev_nc_u32_e32 v9, 28, v7
	v_sub_nc_u32_e32 v7, 29, v7
	v_lshlrev_b64 v[23:24], v9, v[5:6]
	v_and_b32_e32 v5, 7, v23
; %bb.1794:                             ;   in Loop: Header=BB253_991 Depth=1
	s_or_b32 exec_lo, exec_lo, s13
	v_mov_b32_e32 v9, 24
	v_lshlrev_b32_e32 v5, 20, v5
	v_lshl_add_u32 v7, v7, 23, 0x3c000000
	v_lshlrev_b32_sdwa v9, v9, v74 dst_sel:DWORD dst_unused:UNUSED_PAD src0_sel:DWORD src1_sel:WORD_1
	v_and_b32_e32 v9, 0x80000000, v9
	v_or3_b32 v5, v5, v9, v7
	v_mov_b32_e32 v24, v6
	v_mov_b32_e32 v23, v5
.LBB253_1795:                           ;   in Loop: Header=BB253_991 Depth=1
	s_or_b32 exec_lo, exec_lo, s12
.LBB253_1796:                           ;   in Loop: Header=BB253_991 Depth=1
	s_or_b32 exec_lo, exec_lo, s11
.LBB253_1797:                           ;   in Loop: Header=BB253_991 Depth=1
	s_or_b32 exec_lo, exec_lo, s9
	s_mov_b32 s9, exec_lo
	v_cmpx_lt_u32_e32 0xffffff, v74
	s_cbranch_execz .LBB253_1805
; %bb.1798:                             ;   in Loop: Header=BB253_991 Depth=1
	v_mov_b32_e32 v7, v6
	v_mov_b32_e32 v22, v8
	v_cmp_ne_u32_sdwa s4, v74, v86 src0_sel:BYTE_3 src1_sel:DWORD
	v_mov_b32_e32 v21, v7
	s_and_saveexec_b32 s11, s4
	s_cbranch_execz .LBB253_1804
; %bb.1799:                             ;   in Loop: Header=BB253_991 Depth=1
	v_mov_b32_e32 v9, v6
	v_mov_b32_e32 v22, v10
	v_bfe_u32 v75, v74, 24, 7
	s_mov_b32 s12, exec_lo
	v_mov_b32_e32 v21, v9
	v_cmpx_ne_u32_e32 0x7f, v75
	s_cbranch_execz .LBB253_1803
; %bb.1800:                             ;   in Loop: Header=BB253_991 Depth=1
	v_mov_b32_e32 v5, 7
	v_lshrrev_b32_e32 v7, 3, v75
	s_mov_b32 s13, exec_lo
	v_and_b32_sdwa v5, v74, v5 dst_sel:DWORD dst_unused:UNUSED_PAD src0_sel:BYTE_3 src1_sel:DWORD
	v_cmpx_gt_u32_e32 8, v75
; %bb.1801:                             ;   in Loop: Header=BB253_991 Depth=1
	v_ffbh_u32_e32 v7, v5
	v_min_u32_e32 v7, 32, v7
	v_subrev_nc_u32_e32 v9, 28, v7
	v_sub_nc_u32_e32 v7, 29, v7
	v_lshlrev_b64 v[21:22], v9, v[5:6]
	v_and_b32_e32 v5, 7, v21
; %bb.1802:                             ;   in Loop: Header=BB253_991 Depth=1
	s_or_b32 exec_lo, exec_lo, s13
	v_mov_b32_e32 v9, 24
	v_lshlrev_b32_e32 v5, 20, v5
	v_lshl_add_u32 v7, v7, 23, 0x3c000000
	v_mov_b32_e32 v21, v6
	v_lshlrev_b32_sdwa v9, v9, v74 dst_sel:DWORD dst_unused:UNUSED_PAD src0_sel:DWORD src1_sel:BYTE_3
	v_and_b32_e32 v9, 0x80000000, v9
	v_or3_b32 v22, v5, v9, v7
.LBB253_1803:                           ;   in Loop: Header=BB253_991 Depth=1
	s_or_b32 exec_lo, exec_lo, s12
.LBB253_1804:                           ;   in Loop: Header=BB253_991 Depth=1
	s_or_b32 exec_lo, exec_lo, s11
.LBB253_1805:                           ;   in Loop: Header=BB253_991 Depth=1
	s_or_b32 exec_lo, exec_lo, s9
	v_or_b32_e32 v5, v20, v18
	v_or_b32_e32 v7, v19, v17
	;; [unrolled: 1-line block ×4, first 2 shown]
	v_mul_f32_e32 v77, v100, v5
	v_mul_f32_e32 v76, v84, v7
	;; [unrolled: 1-line block ×4, first 2 shown]
	s_and_saveexec_b32 s9, vcc_lo
	s_cbranch_execz .LBB253_1807
; %bb.1806:                             ;   in Loop: Header=BB253_991 Depth=1
	v_cmp_lt_i32_e64 s4, v117, v32
	v_cndmask_b32_e64 v76, 0, v76, s4
	v_cmp_lt_i32_e64 s4, v119, v32
	v_cndmask_b32_e64 v77, 0, v77, s4
	;; [unrolled: 2-line block ×4, first 2 shown]
.LBB253_1807:                           ;   in Loop: Header=BB253_991 Depth=1
	s_or_b32 exec_lo, exec_lo, s9
	flat_load_dword v78, v[15:16] offset:1024
	v_mov_b32_e32 v19, 0
	v_mov_b32_e32 v17, 0
	;; [unrolled: 1-line block ×4, first 2 shown]
	s_waitcnt vmcnt(0) lgkmcnt(0)
	v_cmp_ne_u16_sdwa s4, v78, v6 src0_sel:BYTE_0 src1_sel:DWORD
	s_and_saveexec_b32 s9, s4
	s_cbranch_execz .LBB253_1815
; %bb.1808:                             ;   in Loop: Header=BB253_991 Depth=1
	v_bfrev_b32_e32 v17, 1
	v_mov_b32_e32 v18, 0
	v_cmp_ne_u16_sdwa s4, v78, v86 src0_sel:BYTE_0 src1_sel:DWORD
	s_and_saveexec_b32 s11, s4
	s_cbranch_execz .LBB253_1814
; %bb.1809:                             ;   in Loop: Header=BB253_991 Depth=1
	v_mov_b32_e32 v17, 0x7f800001
	v_and_b32_e32 v9, 0x7f, v78
	v_mov_b32_e32 v18, 0
	s_mov_b32 s12, exec_lo
	v_cmpx_ne_u32_e32 0x7f, v9
	s_cbranch_execz .LBB253_1813
; %bb.1810:                             ;   in Loop: Header=BB253_991 Depth=1
	v_and_b32_e32 v5, 7, v78
	v_lshrrev_b32_e32 v7, 3, v9
	s_mov_b32 s13, exec_lo
	v_cmpx_gt_u32_e32 8, v9
; %bb.1811:                             ;   in Loop: Header=BB253_991 Depth=1
	v_ffbh_u32_e32 v7, v5
	v_min_u32_e32 v7, 32, v7
	v_subrev_nc_u32_e32 v9, 28, v7
	v_sub_nc_u32_e32 v7, 29, v7
	v_lshlrev_b64 v[17:18], v9, v[5:6]
	v_and_b32_e32 v5, 7, v17
; %bb.1812:                             ;   in Loop: Header=BB253_991 Depth=1
	s_or_b32 exec_lo, exec_lo, s13
	v_lshlrev_b32_e32 v9, 24, v78
	v_lshlrev_b32_e32 v5, 20, v5
	v_lshl_add_u32 v7, v7, 23, 0x3c000000
	v_and_b32_e32 v9, 0x80000000, v9
	v_or3_b32 v5, v5, v9, v7
	v_mov_b32_e32 v18, v6
	v_mov_b32_e32 v17, v5
.LBB253_1813:                           ;   in Loop: Header=BB253_991 Depth=1
	s_or_b32 exec_lo, exec_lo, s12
.LBB253_1814:                           ;   in Loop: Header=BB253_991 Depth=1
	s_or_b32 exec_lo, exec_lo, s11
.LBB253_1815:                           ;   in Loop: Header=BB253_991 Depth=1
	s_or_b32 exec_lo, exec_lo, s9
	v_cmp_ne_u16_sdwa s4, v78, v6 src0_sel:BYTE_1 src1_sel:DWORD
	s_and_saveexec_b32 s9, s4
	s_cbranch_execz .LBB253_1823
; %bb.1816:                             ;   in Loop: Header=BB253_991 Depth=1
	v_mov_b32_e32 v7, v6
	v_mov_b32_e32 v20, v8
	v_cmp_ne_u16_sdwa s4, v78, v86 src0_sel:BYTE_1 src1_sel:DWORD
	v_mov_b32_e32 v19, v7
	s_and_saveexec_b32 s11, s4
	s_cbranch_execz .LBB253_1822
; %bb.1817:                             ;   in Loop: Header=BB253_991 Depth=1
	v_mov_b32_e32 v5, 0xffff
	v_mov_b32_e32 v9, v6
	;; [unrolled: 1-line block ×3, first 2 shown]
	s_mov_b32 s12, exec_lo
	v_and_b32_sdwa v5, v5, v78 dst_sel:DWORD dst_unused:UNUSED_PAD src0_sel:DWORD src1_sel:BYTE_1
	v_mov_b32_e32 v19, v9
	v_and_b32_e32 v21, 0x7f, v5
	v_cmpx_ne_u32_e32 0x7f, v21
	s_cbranch_execz .LBB253_1821
; %bb.1818:                             ;   in Loop: Header=BB253_991 Depth=1
	v_and_b32_e32 v5, 7, v5
	v_lshrrev_b32_e32 v7, 3, v21
	s_mov_b32 s13, exec_lo
	v_cmpx_gt_u32_e32 8, v21
; %bb.1819:                             ;   in Loop: Header=BB253_991 Depth=1
	v_ffbh_u32_e32 v7, v5
	v_min_u32_e32 v7, 32, v7
	v_subrev_nc_u32_e32 v9, 28, v7
	v_sub_nc_u32_e32 v7, 29, v7
	v_lshlrev_b64 v[19:20], v9, v[5:6]
	v_and_b32_e32 v5, 7, v19
; %bb.1820:                             ;   in Loop: Header=BB253_991 Depth=1
	s_or_b32 exec_lo, exec_lo, s13
	v_lshlrev_b32_e32 v9, 16, v78
	v_lshlrev_b32_e32 v5, 20, v5
	v_lshl_add_u32 v7, v7, 23, 0x3c000000
	v_mov_b32_e32 v19, v6
	v_and_b32_e32 v9, 0x80000000, v9
	v_or3_b32 v20, v5, v9, v7
.LBB253_1821:                           ;   in Loop: Header=BB253_991 Depth=1
	s_or_b32 exec_lo, exec_lo, s12
.LBB253_1822:                           ;   in Loop: Header=BB253_991 Depth=1
	s_or_b32 exec_lo, exec_lo, s11
.LBB253_1823:                           ;   in Loop: Header=BB253_991 Depth=1
	s_or_b32 exec_lo, exec_lo, s9
	v_mov_b32_e32 v21, 0
	v_mov_b32_e32 v23, 0
	v_and_b32_sdwa v5, v78, v96 dst_sel:DWORD dst_unused:UNUSED_PAD src0_sel:WORD_1 src1_sel:DWORD
	v_mov_b32_e32 v22, 0
	v_mov_b32_e32 v24, 0
	s_mov_b32 s9, exec_lo
	v_cmpx_ne_u16_e32 0, v5
	s_cbranch_execz .LBB253_1831
; %bb.1824:                             ;   in Loop: Header=BB253_991 Depth=1
	v_bfrev_b32_e32 v23, 1
	v_mov_b32_e32 v24, 0
	s_mov_b32 s11, exec_lo
	v_cmpx_ne_u16_e32 0x80, v5
	s_cbranch_execz .LBB253_1830
; %bb.1825:                             ;   in Loop: Header=BB253_991 Depth=1
	v_mov_b32_e32 v23, 0x7f800001
	v_bfe_u32 v9, v78, 16, 7
	v_mov_b32_e32 v24, 0
	s_mov_b32 s12, exec_lo
	v_cmpx_ne_u32_e32 0x7f, v9
	s_cbranch_execz .LBB253_1829
; %bb.1826:                             ;   in Loop: Header=BB253_991 Depth=1
	v_mov_b32_e32 v5, 7
	v_lshrrev_b32_e32 v7, 3, v9
	s_mov_b32 s13, exec_lo
	v_and_b32_sdwa v5, v78, v5 dst_sel:DWORD dst_unused:UNUSED_PAD src0_sel:WORD_1 src1_sel:DWORD
	v_cmpx_gt_u32_e32 8, v9
; %bb.1827:                             ;   in Loop: Header=BB253_991 Depth=1
	v_ffbh_u32_e32 v7, v5
	v_min_u32_e32 v7, 32, v7
	v_subrev_nc_u32_e32 v9, 28, v7
	v_sub_nc_u32_e32 v7, 29, v7
	v_lshlrev_b64 v[23:24], v9, v[5:6]
	v_and_b32_e32 v5, 7, v23
; %bb.1828:                             ;   in Loop: Header=BB253_991 Depth=1
	s_or_b32 exec_lo, exec_lo, s13
	v_mov_b32_e32 v9, 24
	v_lshlrev_b32_e32 v5, 20, v5
	v_lshl_add_u32 v7, v7, 23, 0x3c000000
	v_lshlrev_b32_sdwa v9, v9, v78 dst_sel:DWORD dst_unused:UNUSED_PAD src0_sel:DWORD src1_sel:WORD_1
	v_and_b32_e32 v9, 0x80000000, v9
	v_or3_b32 v5, v5, v9, v7
	v_mov_b32_e32 v24, v6
	v_mov_b32_e32 v23, v5
.LBB253_1829:                           ;   in Loop: Header=BB253_991 Depth=1
	s_or_b32 exec_lo, exec_lo, s12
.LBB253_1830:                           ;   in Loop: Header=BB253_991 Depth=1
	s_or_b32 exec_lo, exec_lo, s11
.LBB253_1831:                           ;   in Loop: Header=BB253_991 Depth=1
	s_or_b32 exec_lo, exec_lo, s9
	s_mov_b32 s9, exec_lo
	v_cmpx_lt_u32_e32 0xffffff, v78
	s_cbranch_execz .LBB253_1839
; %bb.1832:                             ;   in Loop: Header=BB253_991 Depth=1
	v_mov_b32_e32 v7, v6
	v_mov_b32_e32 v22, v8
	v_cmp_ne_u32_sdwa s4, v78, v86 src0_sel:BYTE_3 src1_sel:DWORD
	v_mov_b32_e32 v21, v7
	s_and_saveexec_b32 s11, s4
	s_cbranch_execz .LBB253_1838
; %bb.1833:                             ;   in Loop: Header=BB253_991 Depth=1
	v_mov_b32_e32 v9, v6
	v_mov_b32_e32 v22, v10
	v_bfe_u32 v79, v78, 24, 7
	s_mov_b32 s12, exec_lo
	v_mov_b32_e32 v21, v9
	v_cmpx_ne_u32_e32 0x7f, v79
	s_cbranch_execz .LBB253_1837
; %bb.1834:                             ;   in Loop: Header=BB253_991 Depth=1
	v_mov_b32_e32 v5, 7
	v_lshrrev_b32_e32 v7, 3, v79
	s_mov_b32 s13, exec_lo
	v_and_b32_sdwa v5, v78, v5 dst_sel:DWORD dst_unused:UNUSED_PAD src0_sel:BYTE_3 src1_sel:DWORD
	v_cmpx_gt_u32_e32 8, v79
; %bb.1835:                             ;   in Loop: Header=BB253_991 Depth=1
	v_ffbh_u32_e32 v7, v5
	v_min_u32_e32 v7, 32, v7
	v_subrev_nc_u32_e32 v9, 28, v7
	v_sub_nc_u32_e32 v7, 29, v7
	v_lshlrev_b64 v[21:22], v9, v[5:6]
	v_and_b32_e32 v5, 7, v21
; %bb.1836:                             ;   in Loop: Header=BB253_991 Depth=1
	s_or_b32 exec_lo, exec_lo, s13
	v_mov_b32_e32 v9, 24
	v_lshlrev_b32_e32 v5, 20, v5
	v_lshl_add_u32 v7, v7, 23, 0x3c000000
	v_mov_b32_e32 v21, v6
	v_lshlrev_b32_sdwa v9, v9, v78 dst_sel:DWORD dst_unused:UNUSED_PAD src0_sel:DWORD src1_sel:BYTE_3
	v_and_b32_e32 v9, 0x80000000, v9
	v_or3_b32 v22, v5, v9, v7
.LBB253_1837:                           ;   in Loop: Header=BB253_991 Depth=1
	s_or_b32 exec_lo, exec_lo, s12
.LBB253_1838:                           ;   in Loop: Header=BB253_991 Depth=1
	s_or_b32 exec_lo, exec_lo, s11
.LBB253_1839:                           ;   in Loop: Header=BB253_991 Depth=1
	s_or_b32 exec_lo, exec_lo, s9
	v_or_b32_e32 v5, v20, v18
	v_or_b32_e32 v7, v19, v17
	;; [unrolled: 1-line block ×4, first 2 shown]
	v_mul_f32_e32 v89, v100, v5
	v_mul_f32_e32 v88, v84, v7
	;; [unrolled: 1-line block ×4, first 2 shown]
	s_and_saveexec_b32 s9, vcc_lo
	s_cbranch_execz .LBB253_1841
; %bb.1840:                             ;   in Loop: Header=BB253_991 Depth=1
	v_cmp_lt_i32_e64 s4, v117, v32
	v_cndmask_b32_e64 v88, 0, v88, s4
	v_cmp_lt_i32_e64 s4, v119, v32
	v_cndmask_b32_e64 v89, 0, v89, s4
	;; [unrolled: 2-line block ×4, first 2 shown]
.LBB253_1841:                           ;   in Loop: Header=BB253_991 Depth=1
	s_or_b32 exec_lo, exec_lo, s9
	flat_load_dword v90, v[15:16] offset:1152
	v_mov_b32_e32 v19, 0
	v_mov_b32_e32 v17, 0
	;; [unrolled: 1-line block ×4, first 2 shown]
	s_waitcnt vmcnt(0) lgkmcnt(0)
	v_cmp_ne_u16_sdwa s4, v90, v6 src0_sel:BYTE_0 src1_sel:DWORD
	s_and_saveexec_b32 s9, s4
	s_cbranch_execz .LBB253_1849
; %bb.1842:                             ;   in Loop: Header=BB253_991 Depth=1
	v_bfrev_b32_e32 v17, 1
	v_mov_b32_e32 v18, 0
	v_cmp_ne_u16_sdwa s4, v90, v86 src0_sel:BYTE_0 src1_sel:DWORD
	s_and_saveexec_b32 s11, s4
	s_cbranch_execz .LBB253_1848
; %bb.1843:                             ;   in Loop: Header=BB253_991 Depth=1
	v_mov_b32_e32 v17, 0x7f800001
	v_and_b32_e32 v9, 0x7f, v90
	v_mov_b32_e32 v18, 0
	s_mov_b32 s12, exec_lo
	v_cmpx_ne_u32_e32 0x7f, v9
	s_cbranch_execz .LBB253_1847
; %bb.1844:                             ;   in Loop: Header=BB253_991 Depth=1
	v_and_b32_e32 v5, 7, v90
	v_lshrrev_b32_e32 v7, 3, v9
	s_mov_b32 s13, exec_lo
	v_cmpx_gt_u32_e32 8, v9
; %bb.1845:                             ;   in Loop: Header=BB253_991 Depth=1
	v_ffbh_u32_e32 v7, v5
	v_min_u32_e32 v7, 32, v7
	v_subrev_nc_u32_e32 v9, 28, v7
	v_sub_nc_u32_e32 v7, 29, v7
	v_lshlrev_b64 v[17:18], v9, v[5:6]
	v_and_b32_e32 v5, 7, v17
; %bb.1846:                             ;   in Loop: Header=BB253_991 Depth=1
	s_or_b32 exec_lo, exec_lo, s13
	v_lshlrev_b32_e32 v9, 24, v90
	v_lshlrev_b32_e32 v5, 20, v5
	v_lshl_add_u32 v7, v7, 23, 0x3c000000
	v_and_b32_e32 v9, 0x80000000, v9
	v_or3_b32 v5, v5, v9, v7
	v_mov_b32_e32 v18, v6
	v_mov_b32_e32 v17, v5
.LBB253_1847:                           ;   in Loop: Header=BB253_991 Depth=1
	s_or_b32 exec_lo, exec_lo, s12
.LBB253_1848:                           ;   in Loop: Header=BB253_991 Depth=1
	s_or_b32 exec_lo, exec_lo, s11
.LBB253_1849:                           ;   in Loop: Header=BB253_991 Depth=1
	s_or_b32 exec_lo, exec_lo, s9
	v_cmp_ne_u16_sdwa s4, v90, v6 src0_sel:BYTE_1 src1_sel:DWORD
	s_and_saveexec_b32 s9, s4
	s_cbranch_execz .LBB253_1857
; %bb.1850:                             ;   in Loop: Header=BB253_991 Depth=1
	v_mov_b32_e32 v7, v6
	v_mov_b32_e32 v20, v8
	v_cmp_ne_u16_sdwa s4, v90, v86 src0_sel:BYTE_1 src1_sel:DWORD
	v_mov_b32_e32 v19, v7
	s_and_saveexec_b32 s11, s4
	s_cbranch_execz .LBB253_1856
; %bb.1851:                             ;   in Loop: Header=BB253_991 Depth=1
	v_mov_b32_e32 v5, 0xffff
	v_mov_b32_e32 v9, v6
	;; [unrolled: 1-line block ×3, first 2 shown]
	s_mov_b32 s12, exec_lo
	v_and_b32_sdwa v5, v5, v90 dst_sel:DWORD dst_unused:UNUSED_PAD src0_sel:DWORD src1_sel:BYTE_1
	v_mov_b32_e32 v19, v9
	v_and_b32_e32 v21, 0x7f, v5
	v_cmpx_ne_u32_e32 0x7f, v21
	s_cbranch_execz .LBB253_1855
; %bb.1852:                             ;   in Loop: Header=BB253_991 Depth=1
	v_and_b32_e32 v5, 7, v5
	v_lshrrev_b32_e32 v7, 3, v21
	s_mov_b32 s13, exec_lo
	v_cmpx_gt_u32_e32 8, v21
; %bb.1853:                             ;   in Loop: Header=BB253_991 Depth=1
	v_ffbh_u32_e32 v7, v5
	v_min_u32_e32 v7, 32, v7
	v_subrev_nc_u32_e32 v9, 28, v7
	v_sub_nc_u32_e32 v7, 29, v7
	v_lshlrev_b64 v[19:20], v9, v[5:6]
	v_and_b32_e32 v5, 7, v19
; %bb.1854:                             ;   in Loop: Header=BB253_991 Depth=1
	s_or_b32 exec_lo, exec_lo, s13
	v_lshlrev_b32_e32 v9, 16, v90
	v_lshlrev_b32_e32 v5, 20, v5
	v_lshl_add_u32 v7, v7, 23, 0x3c000000
	v_mov_b32_e32 v19, v6
	v_and_b32_e32 v9, 0x80000000, v9
	v_or3_b32 v20, v5, v9, v7
.LBB253_1855:                           ;   in Loop: Header=BB253_991 Depth=1
	s_or_b32 exec_lo, exec_lo, s12
.LBB253_1856:                           ;   in Loop: Header=BB253_991 Depth=1
	s_or_b32 exec_lo, exec_lo, s11
.LBB253_1857:                           ;   in Loop: Header=BB253_991 Depth=1
	s_or_b32 exec_lo, exec_lo, s9
	v_mov_b32_e32 v21, 0
	v_mov_b32_e32 v23, 0
	v_and_b32_sdwa v5, v90, v96 dst_sel:DWORD dst_unused:UNUSED_PAD src0_sel:WORD_1 src1_sel:DWORD
	v_mov_b32_e32 v22, 0
	v_mov_b32_e32 v24, 0
	s_mov_b32 s9, exec_lo
	v_cmpx_ne_u16_e32 0, v5
	s_cbranch_execz .LBB253_1865
; %bb.1858:                             ;   in Loop: Header=BB253_991 Depth=1
	v_bfrev_b32_e32 v23, 1
	v_mov_b32_e32 v24, 0
	s_mov_b32 s11, exec_lo
	v_cmpx_ne_u16_e32 0x80, v5
	s_cbranch_execz .LBB253_1864
; %bb.1859:                             ;   in Loop: Header=BB253_991 Depth=1
	v_mov_b32_e32 v23, 0x7f800001
	v_bfe_u32 v9, v90, 16, 7
	v_mov_b32_e32 v24, 0
	s_mov_b32 s12, exec_lo
	v_cmpx_ne_u32_e32 0x7f, v9
	s_cbranch_execz .LBB253_1863
; %bb.1860:                             ;   in Loop: Header=BB253_991 Depth=1
	v_mov_b32_e32 v5, 7
	v_lshrrev_b32_e32 v7, 3, v9
	s_mov_b32 s13, exec_lo
	v_and_b32_sdwa v5, v90, v5 dst_sel:DWORD dst_unused:UNUSED_PAD src0_sel:WORD_1 src1_sel:DWORD
	v_cmpx_gt_u32_e32 8, v9
; %bb.1861:                             ;   in Loop: Header=BB253_991 Depth=1
	v_ffbh_u32_e32 v7, v5
	v_min_u32_e32 v7, 32, v7
	v_subrev_nc_u32_e32 v9, 28, v7
	v_sub_nc_u32_e32 v7, 29, v7
	v_lshlrev_b64 v[23:24], v9, v[5:6]
	v_and_b32_e32 v5, 7, v23
; %bb.1862:                             ;   in Loop: Header=BB253_991 Depth=1
	s_or_b32 exec_lo, exec_lo, s13
	v_mov_b32_e32 v9, 24
	v_lshlrev_b32_e32 v5, 20, v5
	v_lshl_add_u32 v7, v7, 23, 0x3c000000
	v_lshlrev_b32_sdwa v9, v9, v90 dst_sel:DWORD dst_unused:UNUSED_PAD src0_sel:DWORD src1_sel:WORD_1
	v_and_b32_e32 v9, 0x80000000, v9
	v_or3_b32 v5, v5, v9, v7
	v_mov_b32_e32 v24, v6
	v_mov_b32_e32 v23, v5
.LBB253_1863:                           ;   in Loop: Header=BB253_991 Depth=1
	s_or_b32 exec_lo, exec_lo, s12
.LBB253_1864:                           ;   in Loop: Header=BB253_991 Depth=1
	s_or_b32 exec_lo, exec_lo, s11
.LBB253_1865:                           ;   in Loop: Header=BB253_991 Depth=1
	s_or_b32 exec_lo, exec_lo, s9
	s_mov_b32 s9, exec_lo
	v_cmpx_lt_u32_e32 0xffffff, v90
	s_cbranch_execz .LBB253_1873
; %bb.1866:                             ;   in Loop: Header=BB253_991 Depth=1
	v_mov_b32_e32 v7, v6
	v_mov_b32_e32 v22, v8
	v_cmp_ne_u32_sdwa s4, v90, v86 src0_sel:BYTE_3 src1_sel:DWORD
	v_mov_b32_e32 v21, v7
	s_and_saveexec_b32 s11, s4
	s_cbranch_execz .LBB253_1872
; %bb.1867:                             ;   in Loop: Header=BB253_991 Depth=1
	v_mov_b32_e32 v9, v6
	v_mov_b32_e32 v22, v10
	v_bfe_u32 v91, v90, 24, 7
	s_mov_b32 s12, exec_lo
	v_mov_b32_e32 v21, v9
	v_cmpx_ne_u32_e32 0x7f, v91
	s_cbranch_execz .LBB253_1871
; %bb.1868:                             ;   in Loop: Header=BB253_991 Depth=1
	v_mov_b32_e32 v5, 7
	v_lshrrev_b32_e32 v7, 3, v91
	s_mov_b32 s13, exec_lo
	v_and_b32_sdwa v5, v90, v5 dst_sel:DWORD dst_unused:UNUSED_PAD src0_sel:BYTE_3 src1_sel:DWORD
	v_cmpx_gt_u32_e32 8, v91
; %bb.1869:                             ;   in Loop: Header=BB253_991 Depth=1
	v_ffbh_u32_e32 v7, v5
	v_min_u32_e32 v7, 32, v7
	v_subrev_nc_u32_e32 v9, 28, v7
	v_sub_nc_u32_e32 v7, 29, v7
	v_lshlrev_b64 v[21:22], v9, v[5:6]
	v_and_b32_e32 v5, 7, v21
; %bb.1870:                             ;   in Loop: Header=BB253_991 Depth=1
	s_or_b32 exec_lo, exec_lo, s13
	v_mov_b32_e32 v9, 24
	v_lshlrev_b32_e32 v5, 20, v5
	v_lshl_add_u32 v7, v7, 23, 0x3c000000
	v_mov_b32_e32 v21, v6
	v_lshlrev_b32_sdwa v9, v9, v90 dst_sel:DWORD dst_unused:UNUSED_PAD src0_sel:DWORD src1_sel:BYTE_3
	v_and_b32_e32 v9, 0x80000000, v9
	v_or3_b32 v22, v5, v9, v7
.LBB253_1871:                           ;   in Loop: Header=BB253_991 Depth=1
	s_or_b32 exec_lo, exec_lo, s12
.LBB253_1872:                           ;   in Loop: Header=BB253_991 Depth=1
	s_or_b32 exec_lo, exec_lo, s11
.LBB253_1873:                           ;   in Loop: Header=BB253_991 Depth=1
	s_or_b32 exec_lo, exec_lo, s9
	v_or_b32_e32 v5, v20, v18
	v_or_b32_e32 v7, v19, v17
	v_or_b32_e32 v9, v21, v23
	v_or_b32_e32 v17, v22, v24
	v_mul_f32_e32 v93, v100, v5
	v_mul_f32_e32 v92, v84, v7
	;; [unrolled: 1-line block ×4, first 2 shown]
	s_and_saveexec_b32 s9, vcc_lo
	s_cbranch_execz .LBB253_1875
; %bb.1874:                             ;   in Loop: Header=BB253_991 Depth=1
	v_cmp_lt_i32_e64 s4, v117, v32
	v_cndmask_b32_e64 v92, 0, v92, s4
	v_cmp_lt_i32_e64 s4, v119, v32
	v_cndmask_b32_e64 v93, 0, v93, s4
	;; [unrolled: 2-line block ×4, first 2 shown]
.LBB253_1875:                           ;   in Loop: Header=BB253_991 Depth=1
	s_or_b32 exec_lo, exec_lo, s9
	flat_load_dword v94, v[15:16] offset:1280
	v_mov_b32_e32 v19, 0
	v_mov_b32_e32 v17, 0
	;; [unrolled: 1-line block ×4, first 2 shown]
	s_waitcnt vmcnt(0) lgkmcnt(0)
	v_cmp_ne_u16_sdwa s4, v94, v6 src0_sel:BYTE_0 src1_sel:DWORD
	s_and_saveexec_b32 s9, s4
	s_cbranch_execz .LBB253_1883
; %bb.1876:                             ;   in Loop: Header=BB253_991 Depth=1
	v_bfrev_b32_e32 v17, 1
	v_mov_b32_e32 v18, 0
	v_cmp_ne_u16_sdwa s4, v94, v86 src0_sel:BYTE_0 src1_sel:DWORD
	s_and_saveexec_b32 s11, s4
	s_cbranch_execz .LBB253_1882
; %bb.1877:                             ;   in Loop: Header=BB253_991 Depth=1
	v_mov_b32_e32 v17, 0x7f800001
	v_and_b32_e32 v9, 0x7f, v94
	v_mov_b32_e32 v18, 0
	s_mov_b32 s12, exec_lo
	v_cmpx_ne_u32_e32 0x7f, v9
	s_cbranch_execz .LBB253_1881
; %bb.1878:                             ;   in Loop: Header=BB253_991 Depth=1
	v_and_b32_e32 v5, 7, v94
	v_lshrrev_b32_e32 v7, 3, v9
	s_mov_b32 s13, exec_lo
	v_cmpx_gt_u32_e32 8, v9
; %bb.1879:                             ;   in Loop: Header=BB253_991 Depth=1
	v_ffbh_u32_e32 v7, v5
	v_min_u32_e32 v7, 32, v7
	v_subrev_nc_u32_e32 v9, 28, v7
	v_sub_nc_u32_e32 v7, 29, v7
	v_lshlrev_b64 v[17:18], v9, v[5:6]
	v_and_b32_e32 v5, 7, v17
; %bb.1880:                             ;   in Loop: Header=BB253_991 Depth=1
	s_or_b32 exec_lo, exec_lo, s13
	v_lshlrev_b32_e32 v9, 24, v94
	v_lshlrev_b32_e32 v5, 20, v5
	v_lshl_add_u32 v7, v7, 23, 0x3c000000
	v_and_b32_e32 v9, 0x80000000, v9
	v_or3_b32 v5, v5, v9, v7
	v_mov_b32_e32 v18, v6
	v_mov_b32_e32 v17, v5
.LBB253_1881:                           ;   in Loop: Header=BB253_991 Depth=1
	s_or_b32 exec_lo, exec_lo, s12
.LBB253_1882:                           ;   in Loop: Header=BB253_991 Depth=1
	s_or_b32 exec_lo, exec_lo, s11
.LBB253_1883:                           ;   in Loop: Header=BB253_991 Depth=1
	s_or_b32 exec_lo, exec_lo, s9
	v_cmp_ne_u16_sdwa s4, v94, v6 src0_sel:BYTE_1 src1_sel:DWORD
	s_and_saveexec_b32 s9, s4
	s_cbranch_execz .LBB253_1891
; %bb.1884:                             ;   in Loop: Header=BB253_991 Depth=1
	v_mov_b32_e32 v7, v6
	v_mov_b32_e32 v20, v8
	v_cmp_ne_u16_sdwa s4, v94, v86 src0_sel:BYTE_1 src1_sel:DWORD
	v_mov_b32_e32 v19, v7
	s_and_saveexec_b32 s11, s4
	s_cbranch_execz .LBB253_1890
; %bb.1885:                             ;   in Loop: Header=BB253_991 Depth=1
	v_mov_b32_e32 v5, 0xffff
	v_mov_b32_e32 v9, v6
	v_mov_b32_e32 v20, v10
	s_mov_b32 s12, exec_lo
	v_and_b32_sdwa v5, v5, v94 dst_sel:DWORD dst_unused:UNUSED_PAD src0_sel:DWORD src1_sel:BYTE_1
	v_mov_b32_e32 v19, v9
	v_and_b32_e32 v21, 0x7f, v5
	v_cmpx_ne_u32_e32 0x7f, v21
	s_cbranch_execz .LBB253_1889
; %bb.1886:                             ;   in Loop: Header=BB253_991 Depth=1
	v_and_b32_e32 v5, 7, v5
	v_lshrrev_b32_e32 v7, 3, v21
	s_mov_b32 s13, exec_lo
	v_cmpx_gt_u32_e32 8, v21
; %bb.1887:                             ;   in Loop: Header=BB253_991 Depth=1
	v_ffbh_u32_e32 v7, v5
	v_min_u32_e32 v7, 32, v7
	v_subrev_nc_u32_e32 v9, 28, v7
	v_sub_nc_u32_e32 v7, 29, v7
	v_lshlrev_b64 v[19:20], v9, v[5:6]
	v_and_b32_e32 v5, 7, v19
; %bb.1888:                             ;   in Loop: Header=BB253_991 Depth=1
	s_or_b32 exec_lo, exec_lo, s13
	v_lshlrev_b32_e32 v9, 16, v94
	v_lshlrev_b32_e32 v5, 20, v5
	v_lshl_add_u32 v7, v7, 23, 0x3c000000
	v_mov_b32_e32 v19, v6
	v_and_b32_e32 v9, 0x80000000, v9
	v_or3_b32 v20, v5, v9, v7
.LBB253_1889:                           ;   in Loop: Header=BB253_991 Depth=1
	s_or_b32 exec_lo, exec_lo, s12
.LBB253_1890:                           ;   in Loop: Header=BB253_991 Depth=1
	s_or_b32 exec_lo, exec_lo, s11
.LBB253_1891:                           ;   in Loop: Header=BB253_991 Depth=1
	s_or_b32 exec_lo, exec_lo, s9
	v_mov_b32_e32 v21, 0
	v_mov_b32_e32 v23, 0
	v_and_b32_sdwa v5, v94, v96 dst_sel:DWORD dst_unused:UNUSED_PAD src0_sel:WORD_1 src1_sel:DWORD
	v_mov_b32_e32 v22, 0
	v_mov_b32_e32 v24, 0
	s_mov_b32 s9, exec_lo
	v_cmpx_ne_u16_e32 0, v5
	s_cbranch_execz .LBB253_1899
; %bb.1892:                             ;   in Loop: Header=BB253_991 Depth=1
	v_bfrev_b32_e32 v23, 1
	v_mov_b32_e32 v24, 0
	s_mov_b32 s11, exec_lo
	v_cmpx_ne_u16_e32 0x80, v5
	s_cbranch_execz .LBB253_1898
; %bb.1893:                             ;   in Loop: Header=BB253_991 Depth=1
	v_mov_b32_e32 v23, 0x7f800001
	v_bfe_u32 v9, v94, 16, 7
	v_mov_b32_e32 v24, 0
	s_mov_b32 s12, exec_lo
	v_cmpx_ne_u32_e32 0x7f, v9
	s_cbranch_execz .LBB253_1897
; %bb.1894:                             ;   in Loop: Header=BB253_991 Depth=1
	v_mov_b32_e32 v5, 7
	v_lshrrev_b32_e32 v7, 3, v9
	s_mov_b32 s13, exec_lo
	v_and_b32_sdwa v5, v94, v5 dst_sel:DWORD dst_unused:UNUSED_PAD src0_sel:WORD_1 src1_sel:DWORD
	v_cmpx_gt_u32_e32 8, v9
; %bb.1895:                             ;   in Loop: Header=BB253_991 Depth=1
	v_ffbh_u32_e32 v7, v5
	v_min_u32_e32 v7, 32, v7
	v_subrev_nc_u32_e32 v9, 28, v7
	v_sub_nc_u32_e32 v7, 29, v7
	v_lshlrev_b64 v[23:24], v9, v[5:6]
	v_and_b32_e32 v5, 7, v23
; %bb.1896:                             ;   in Loop: Header=BB253_991 Depth=1
	s_or_b32 exec_lo, exec_lo, s13
	v_mov_b32_e32 v9, 24
	v_lshlrev_b32_e32 v5, 20, v5
	v_lshl_add_u32 v7, v7, 23, 0x3c000000
	v_lshlrev_b32_sdwa v9, v9, v94 dst_sel:DWORD dst_unused:UNUSED_PAD src0_sel:DWORD src1_sel:WORD_1
	v_and_b32_e32 v9, 0x80000000, v9
	v_or3_b32 v5, v5, v9, v7
	v_mov_b32_e32 v24, v6
	v_mov_b32_e32 v23, v5
.LBB253_1897:                           ;   in Loop: Header=BB253_991 Depth=1
	s_or_b32 exec_lo, exec_lo, s12
.LBB253_1898:                           ;   in Loop: Header=BB253_991 Depth=1
	s_or_b32 exec_lo, exec_lo, s11
.LBB253_1899:                           ;   in Loop: Header=BB253_991 Depth=1
	s_or_b32 exec_lo, exec_lo, s9
	s_mov_b32 s9, exec_lo
	v_cmpx_lt_u32_e32 0xffffff, v94
	s_cbranch_execz .LBB253_1907
; %bb.1900:                             ;   in Loop: Header=BB253_991 Depth=1
	v_mov_b32_e32 v7, v6
	v_mov_b32_e32 v22, v8
	v_cmp_ne_u32_sdwa s4, v94, v86 src0_sel:BYTE_3 src1_sel:DWORD
	v_mov_b32_e32 v21, v7
	s_and_saveexec_b32 s11, s4
	s_cbranch_execz .LBB253_1906
; %bb.1901:                             ;   in Loop: Header=BB253_991 Depth=1
	v_mov_b32_e32 v9, v6
	v_mov_b32_e32 v22, v10
	v_bfe_u32 v95, v94, 24, 7
	s_mov_b32 s12, exec_lo
	v_mov_b32_e32 v21, v9
	v_cmpx_ne_u32_e32 0x7f, v95
	s_cbranch_execz .LBB253_1905
; %bb.1902:                             ;   in Loop: Header=BB253_991 Depth=1
	v_mov_b32_e32 v5, 7
	v_lshrrev_b32_e32 v7, 3, v95
	s_mov_b32 s13, exec_lo
	v_and_b32_sdwa v5, v94, v5 dst_sel:DWORD dst_unused:UNUSED_PAD src0_sel:BYTE_3 src1_sel:DWORD
	v_cmpx_gt_u32_e32 8, v95
; %bb.1903:                             ;   in Loop: Header=BB253_991 Depth=1
	v_ffbh_u32_e32 v7, v5
	v_min_u32_e32 v7, 32, v7
	v_subrev_nc_u32_e32 v9, 28, v7
	v_sub_nc_u32_e32 v7, 29, v7
	v_lshlrev_b64 v[21:22], v9, v[5:6]
	v_and_b32_e32 v5, 7, v21
; %bb.1904:                             ;   in Loop: Header=BB253_991 Depth=1
	s_or_b32 exec_lo, exec_lo, s13
	v_mov_b32_e32 v9, 24
	v_lshlrev_b32_e32 v5, 20, v5
	v_lshl_add_u32 v7, v7, 23, 0x3c000000
	v_mov_b32_e32 v21, v6
	v_lshlrev_b32_sdwa v9, v9, v94 dst_sel:DWORD dst_unused:UNUSED_PAD src0_sel:DWORD src1_sel:BYTE_3
	v_and_b32_e32 v9, 0x80000000, v9
	v_or3_b32 v22, v5, v9, v7
.LBB253_1905:                           ;   in Loop: Header=BB253_991 Depth=1
	s_or_b32 exec_lo, exec_lo, s12
.LBB253_1906:                           ;   in Loop: Header=BB253_991 Depth=1
	s_or_b32 exec_lo, exec_lo, s11
.LBB253_1907:                           ;   in Loop: Header=BB253_991 Depth=1
	s_or_b32 exec_lo, exec_lo, s9
	v_or_b32_e32 v5, v20, v18
	v_or_b32_e32 v7, v19, v17
	;; [unrolled: 1-line block ×4, first 2 shown]
	v_mul_f32_e32 v105, v100, v5
	v_mul_f32_e32 v104, v84, v7
	;; [unrolled: 1-line block ×4, first 2 shown]
	s_and_saveexec_b32 s9, vcc_lo
	s_cbranch_execz .LBB253_1909
; %bb.1908:                             ;   in Loop: Header=BB253_991 Depth=1
	v_cmp_lt_i32_e64 s4, v117, v32
	v_cndmask_b32_e64 v104, 0, v104, s4
	v_cmp_lt_i32_e64 s4, v119, v32
	v_cndmask_b32_e64 v105, 0, v105, s4
	;; [unrolled: 2-line block ×4, first 2 shown]
.LBB253_1909:                           ;   in Loop: Header=BB253_991 Depth=1
	s_or_b32 exec_lo, exec_lo, s9
	flat_load_dword v106, v[15:16] offset:1408
	v_mov_b32_e32 v19, 0
	v_mov_b32_e32 v17, 0
	;; [unrolled: 1-line block ×4, first 2 shown]
	s_waitcnt vmcnt(0) lgkmcnt(0)
	v_cmp_ne_u16_sdwa s4, v106, v6 src0_sel:BYTE_0 src1_sel:DWORD
	s_and_saveexec_b32 s9, s4
	s_cbranch_execz .LBB253_1917
; %bb.1910:                             ;   in Loop: Header=BB253_991 Depth=1
	v_bfrev_b32_e32 v17, 1
	v_mov_b32_e32 v18, 0
	v_cmp_ne_u16_sdwa s4, v106, v86 src0_sel:BYTE_0 src1_sel:DWORD
	s_and_saveexec_b32 s11, s4
	s_cbranch_execz .LBB253_1916
; %bb.1911:                             ;   in Loop: Header=BB253_991 Depth=1
	v_mov_b32_e32 v17, 0x7f800001
	v_and_b32_e32 v9, 0x7f, v106
	v_mov_b32_e32 v18, 0
	s_mov_b32 s12, exec_lo
	v_cmpx_ne_u32_e32 0x7f, v9
	s_cbranch_execz .LBB253_1915
; %bb.1912:                             ;   in Loop: Header=BB253_991 Depth=1
	v_and_b32_e32 v5, 7, v106
	v_lshrrev_b32_e32 v7, 3, v9
	s_mov_b32 s13, exec_lo
	v_cmpx_gt_u32_e32 8, v9
; %bb.1913:                             ;   in Loop: Header=BB253_991 Depth=1
	v_ffbh_u32_e32 v7, v5
	v_min_u32_e32 v7, 32, v7
	v_subrev_nc_u32_e32 v9, 28, v7
	v_sub_nc_u32_e32 v7, 29, v7
	v_lshlrev_b64 v[17:18], v9, v[5:6]
	v_and_b32_e32 v5, 7, v17
; %bb.1914:                             ;   in Loop: Header=BB253_991 Depth=1
	s_or_b32 exec_lo, exec_lo, s13
	v_lshlrev_b32_e32 v9, 24, v106
	v_lshlrev_b32_e32 v5, 20, v5
	v_lshl_add_u32 v7, v7, 23, 0x3c000000
	v_and_b32_e32 v9, 0x80000000, v9
	v_or3_b32 v5, v5, v9, v7
	v_mov_b32_e32 v18, v6
	v_mov_b32_e32 v17, v5
.LBB253_1915:                           ;   in Loop: Header=BB253_991 Depth=1
	s_or_b32 exec_lo, exec_lo, s12
.LBB253_1916:                           ;   in Loop: Header=BB253_991 Depth=1
	s_or_b32 exec_lo, exec_lo, s11
.LBB253_1917:                           ;   in Loop: Header=BB253_991 Depth=1
	s_or_b32 exec_lo, exec_lo, s9
	v_cmp_ne_u16_sdwa s4, v106, v6 src0_sel:BYTE_1 src1_sel:DWORD
	s_and_saveexec_b32 s9, s4
	s_cbranch_execz .LBB253_1925
; %bb.1918:                             ;   in Loop: Header=BB253_991 Depth=1
	v_mov_b32_e32 v7, v6
	v_mov_b32_e32 v20, v8
	v_cmp_ne_u16_sdwa s4, v106, v86 src0_sel:BYTE_1 src1_sel:DWORD
	v_mov_b32_e32 v19, v7
	s_and_saveexec_b32 s11, s4
	s_cbranch_execz .LBB253_1924
; %bb.1919:                             ;   in Loop: Header=BB253_991 Depth=1
	v_mov_b32_e32 v5, 0xffff
	v_mov_b32_e32 v9, v6
	;; [unrolled: 1-line block ×3, first 2 shown]
	s_mov_b32 s12, exec_lo
	v_and_b32_sdwa v5, v5, v106 dst_sel:DWORD dst_unused:UNUSED_PAD src0_sel:DWORD src1_sel:BYTE_1
	v_mov_b32_e32 v19, v9
	v_and_b32_e32 v21, 0x7f, v5
	v_cmpx_ne_u32_e32 0x7f, v21
	s_cbranch_execz .LBB253_1923
; %bb.1920:                             ;   in Loop: Header=BB253_991 Depth=1
	v_and_b32_e32 v5, 7, v5
	v_lshrrev_b32_e32 v7, 3, v21
	s_mov_b32 s13, exec_lo
	v_cmpx_gt_u32_e32 8, v21
; %bb.1921:                             ;   in Loop: Header=BB253_991 Depth=1
	v_ffbh_u32_e32 v7, v5
	v_min_u32_e32 v7, 32, v7
	v_subrev_nc_u32_e32 v9, 28, v7
	v_sub_nc_u32_e32 v7, 29, v7
	v_lshlrev_b64 v[19:20], v9, v[5:6]
	v_and_b32_e32 v5, 7, v19
; %bb.1922:                             ;   in Loop: Header=BB253_991 Depth=1
	s_or_b32 exec_lo, exec_lo, s13
	v_lshlrev_b32_e32 v9, 16, v106
	v_lshlrev_b32_e32 v5, 20, v5
	v_lshl_add_u32 v7, v7, 23, 0x3c000000
	v_mov_b32_e32 v19, v6
	v_and_b32_e32 v9, 0x80000000, v9
	v_or3_b32 v20, v5, v9, v7
.LBB253_1923:                           ;   in Loop: Header=BB253_991 Depth=1
	s_or_b32 exec_lo, exec_lo, s12
.LBB253_1924:                           ;   in Loop: Header=BB253_991 Depth=1
	s_or_b32 exec_lo, exec_lo, s11
.LBB253_1925:                           ;   in Loop: Header=BB253_991 Depth=1
	s_or_b32 exec_lo, exec_lo, s9
	v_mov_b32_e32 v21, 0
	v_mov_b32_e32 v23, 0
	v_and_b32_sdwa v5, v106, v96 dst_sel:DWORD dst_unused:UNUSED_PAD src0_sel:WORD_1 src1_sel:DWORD
	v_mov_b32_e32 v22, 0
	v_mov_b32_e32 v24, 0
	s_mov_b32 s9, exec_lo
	v_cmpx_ne_u16_e32 0, v5
	s_cbranch_execz .LBB253_1933
; %bb.1926:                             ;   in Loop: Header=BB253_991 Depth=1
	v_bfrev_b32_e32 v23, 1
	v_mov_b32_e32 v24, 0
	s_mov_b32 s11, exec_lo
	v_cmpx_ne_u16_e32 0x80, v5
	s_cbranch_execz .LBB253_1932
; %bb.1927:                             ;   in Loop: Header=BB253_991 Depth=1
	v_mov_b32_e32 v23, 0x7f800001
	v_bfe_u32 v9, v106, 16, 7
	v_mov_b32_e32 v24, 0
	s_mov_b32 s12, exec_lo
	v_cmpx_ne_u32_e32 0x7f, v9
	s_cbranch_execz .LBB253_1931
; %bb.1928:                             ;   in Loop: Header=BB253_991 Depth=1
	v_mov_b32_e32 v5, 7
	v_lshrrev_b32_e32 v7, 3, v9
	s_mov_b32 s13, exec_lo
	v_and_b32_sdwa v5, v106, v5 dst_sel:DWORD dst_unused:UNUSED_PAD src0_sel:WORD_1 src1_sel:DWORD
	v_cmpx_gt_u32_e32 8, v9
; %bb.1929:                             ;   in Loop: Header=BB253_991 Depth=1
	v_ffbh_u32_e32 v7, v5
	v_min_u32_e32 v7, 32, v7
	v_subrev_nc_u32_e32 v9, 28, v7
	v_sub_nc_u32_e32 v7, 29, v7
	v_lshlrev_b64 v[23:24], v9, v[5:6]
	v_and_b32_e32 v5, 7, v23
; %bb.1930:                             ;   in Loop: Header=BB253_991 Depth=1
	s_or_b32 exec_lo, exec_lo, s13
	v_mov_b32_e32 v9, 24
	v_lshlrev_b32_e32 v5, 20, v5
	v_lshl_add_u32 v7, v7, 23, 0x3c000000
	v_lshlrev_b32_sdwa v9, v9, v106 dst_sel:DWORD dst_unused:UNUSED_PAD src0_sel:DWORD src1_sel:WORD_1
	v_and_b32_e32 v9, 0x80000000, v9
	v_or3_b32 v5, v5, v9, v7
	v_mov_b32_e32 v24, v6
	v_mov_b32_e32 v23, v5
.LBB253_1931:                           ;   in Loop: Header=BB253_991 Depth=1
	s_or_b32 exec_lo, exec_lo, s12
.LBB253_1932:                           ;   in Loop: Header=BB253_991 Depth=1
	s_or_b32 exec_lo, exec_lo, s11
.LBB253_1933:                           ;   in Loop: Header=BB253_991 Depth=1
	s_or_b32 exec_lo, exec_lo, s9
	s_mov_b32 s9, exec_lo
	v_cmpx_lt_u32_e32 0xffffff, v106
	s_cbranch_execz .LBB253_1941
; %bb.1934:                             ;   in Loop: Header=BB253_991 Depth=1
	v_mov_b32_e32 v7, v6
	v_mov_b32_e32 v22, v8
	v_cmp_ne_u32_sdwa s4, v106, v86 src0_sel:BYTE_3 src1_sel:DWORD
	v_mov_b32_e32 v21, v7
	s_and_saveexec_b32 s11, s4
	s_cbranch_execz .LBB253_1940
; %bb.1935:                             ;   in Loop: Header=BB253_991 Depth=1
	v_mov_b32_e32 v9, v6
	v_mov_b32_e32 v22, v10
	v_bfe_u32 v107, v106, 24, 7
	s_mov_b32 s12, exec_lo
	v_mov_b32_e32 v21, v9
	v_cmpx_ne_u32_e32 0x7f, v107
	s_cbranch_execz .LBB253_1939
; %bb.1936:                             ;   in Loop: Header=BB253_991 Depth=1
	v_mov_b32_e32 v5, 7
	v_lshrrev_b32_e32 v7, 3, v107
	s_mov_b32 s13, exec_lo
	v_and_b32_sdwa v5, v106, v5 dst_sel:DWORD dst_unused:UNUSED_PAD src0_sel:BYTE_3 src1_sel:DWORD
	v_cmpx_gt_u32_e32 8, v107
; %bb.1937:                             ;   in Loop: Header=BB253_991 Depth=1
	v_ffbh_u32_e32 v7, v5
	v_min_u32_e32 v7, 32, v7
	v_subrev_nc_u32_e32 v9, 28, v7
	v_sub_nc_u32_e32 v7, 29, v7
	v_lshlrev_b64 v[21:22], v9, v[5:6]
	v_and_b32_e32 v5, 7, v21
; %bb.1938:                             ;   in Loop: Header=BB253_991 Depth=1
	s_or_b32 exec_lo, exec_lo, s13
	v_mov_b32_e32 v9, 24
	v_lshlrev_b32_e32 v5, 20, v5
	v_lshl_add_u32 v7, v7, 23, 0x3c000000
	v_mov_b32_e32 v21, v6
	v_lshlrev_b32_sdwa v9, v9, v106 dst_sel:DWORD dst_unused:UNUSED_PAD src0_sel:DWORD src1_sel:BYTE_3
	v_and_b32_e32 v9, 0x80000000, v9
	v_or3_b32 v22, v5, v9, v7
.LBB253_1939:                           ;   in Loop: Header=BB253_991 Depth=1
	s_or_b32 exec_lo, exec_lo, s12
.LBB253_1940:                           ;   in Loop: Header=BB253_991 Depth=1
	s_or_b32 exec_lo, exec_lo, s11
.LBB253_1941:                           ;   in Loop: Header=BB253_991 Depth=1
	s_or_b32 exec_lo, exec_lo, s9
	v_or_b32_e32 v5, v20, v18
	v_or_b32_e32 v7, v19, v17
	;; [unrolled: 1-line block ×4, first 2 shown]
	v_mul_f32_e32 v109, v100, v5
	v_mul_f32_e32 v108, v84, v7
	;; [unrolled: 1-line block ×4, first 2 shown]
	s_and_saveexec_b32 s9, vcc_lo
	s_cbranch_execz .LBB253_1943
; %bb.1942:                             ;   in Loop: Header=BB253_991 Depth=1
	v_cmp_lt_i32_e64 s4, v117, v32
	v_cndmask_b32_e64 v108, 0, v108, s4
	v_cmp_lt_i32_e64 s4, v119, v32
	v_cndmask_b32_e64 v109, 0, v109, s4
	;; [unrolled: 2-line block ×4, first 2 shown]
.LBB253_1943:                           ;   in Loop: Header=BB253_991 Depth=1
	s_or_b32 exec_lo, exec_lo, s9
	flat_load_dword v110, v[15:16] offset:1536
	v_mov_b32_e32 v19, 0
	v_mov_b32_e32 v17, 0
	;; [unrolled: 1-line block ×4, first 2 shown]
	s_waitcnt vmcnt(0) lgkmcnt(0)
	v_cmp_ne_u16_sdwa s4, v110, v6 src0_sel:BYTE_0 src1_sel:DWORD
	s_and_saveexec_b32 s9, s4
	s_cbranch_execz .LBB253_1951
; %bb.1944:                             ;   in Loop: Header=BB253_991 Depth=1
	v_bfrev_b32_e32 v17, 1
	v_mov_b32_e32 v18, 0
	v_cmp_ne_u16_sdwa s4, v110, v86 src0_sel:BYTE_0 src1_sel:DWORD
	s_and_saveexec_b32 s11, s4
	s_cbranch_execz .LBB253_1950
; %bb.1945:                             ;   in Loop: Header=BB253_991 Depth=1
	v_mov_b32_e32 v17, 0x7f800001
	v_and_b32_e32 v9, 0x7f, v110
	v_mov_b32_e32 v18, 0
	s_mov_b32 s12, exec_lo
	v_cmpx_ne_u32_e32 0x7f, v9
	s_cbranch_execz .LBB253_1949
; %bb.1946:                             ;   in Loop: Header=BB253_991 Depth=1
	v_and_b32_e32 v5, 7, v110
	v_lshrrev_b32_e32 v7, 3, v9
	s_mov_b32 s13, exec_lo
	v_cmpx_gt_u32_e32 8, v9
; %bb.1947:                             ;   in Loop: Header=BB253_991 Depth=1
	v_ffbh_u32_e32 v7, v5
	v_min_u32_e32 v7, 32, v7
	v_subrev_nc_u32_e32 v9, 28, v7
	v_sub_nc_u32_e32 v7, 29, v7
	v_lshlrev_b64 v[17:18], v9, v[5:6]
	v_and_b32_e32 v5, 7, v17
; %bb.1948:                             ;   in Loop: Header=BB253_991 Depth=1
	s_or_b32 exec_lo, exec_lo, s13
	v_lshlrev_b32_e32 v9, 24, v110
	v_lshlrev_b32_e32 v5, 20, v5
	v_lshl_add_u32 v7, v7, 23, 0x3c000000
	v_and_b32_e32 v9, 0x80000000, v9
	v_or3_b32 v5, v5, v9, v7
	v_mov_b32_e32 v18, v6
	v_mov_b32_e32 v17, v5
.LBB253_1949:                           ;   in Loop: Header=BB253_991 Depth=1
	s_or_b32 exec_lo, exec_lo, s12
.LBB253_1950:                           ;   in Loop: Header=BB253_991 Depth=1
	s_or_b32 exec_lo, exec_lo, s11
.LBB253_1951:                           ;   in Loop: Header=BB253_991 Depth=1
	s_or_b32 exec_lo, exec_lo, s9
	v_cmp_ne_u16_sdwa s4, v110, v6 src0_sel:BYTE_1 src1_sel:DWORD
	s_and_saveexec_b32 s9, s4
	s_cbranch_execz .LBB253_1959
; %bb.1952:                             ;   in Loop: Header=BB253_991 Depth=1
	v_mov_b32_e32 v7, v6
	v_mov_b32_e32 v20, v8
	v_cmp_ne_u16_sdwa s4, v110, v86 src0_sel:BYTE_1 src1_sel:DWORD
	v_mov_b32_e32 v19, v7
	s_and_saveexec_b32 s11, s4
	s_cbranch_execz .LBB253_1958
; %bb.1953:                             ;   in Loop: Header=BB253_991 Depth=1
	v_mov_b32_e32 v5, 0xffff
	v_mov_b32_e32 v9, v6
	;; [unrolled: 1-line block ×3, first 2 shown]
	s_mov_b32 s12, exec_lo
	v_and_b32_sdwa v5, v5, v110 dst_sel:DWORD dst_unused:UNUSED_PAD src0_sel:DWORD src1_sel:BYTE_1
	v_mov_b32_e32 v19, v9
	v_and_b32_e32 v21, 0x7f, v5
	v_cmpx_ne_u32_e32 0x7f, v21
	s_cbranch_execz .LBB253_1957
; %bb.1954:                             ;   in Loop: Header=BB253_991 Depth=1
	v_and_b32_e32 v5, 7, v5
	v_lshrrev_b32_e32 v7, 3, v21
	s_mov_b32 s13, exec_lo
	v_cmpx_gt_u32_e32 8, v21
; %bb.1955:                             ;   in Loop: Header=BB253_991 Depth=1
	v_ffbh_u32_e32 v7, v5
	v_min_u32_e32 v7, 32, v7
	v_subrev_nc_u32_e32 v9, 28, v7
	v_sub_nc_u32_e32 v7, 29, v7
	v_lshlrev_b64 v[19:20], v9, v[5:6]
	v_and_b32_e32 v5, 7, v19
; %bb.1956:                             ;   in Loop: Header=BB253_991 Depth=1
	s_or_b32 exec_lo, exec_lo, s13
	v_lshlrev_b32_e32 v9, 16, v110
	v_lshlrev_b32_e32 v5, 20, v5
	v_lshl_add_u32 v7, v7, 23, 0x3c000000
	v_mov_b32_e32 v19, v6
	v_and_b32_e32 v9, 0x80000000, v9
	v_or3_b32 v20, v5, v9, v7
.LBB253_1957:                           ;   in Loop: Header=BB253_991 Depth=1
	s_or_b32 exec_lo, exec_lo, s12
.LBB253_1958:                           ;   in Loop: Header=BB253_991 Depth=1
	s_or_b32 exec_lo, exec_lo, s11
.LBB253_1959:                           ;   in Loop: Header=BB253_991 Depth=1
	s_or_b32 exec_lo, exec_lo, s9
	v_mov_b32_e32 v21, 0
	v_mov_b32_e32 v23, 0
	v_and_b32_sdwa v5, v110, v96 dst_sel:DWORD dst_unused:UNUSED_PAD src0_sel:WORD_1 src1_sel:DWORD
	v_mov_b32_e32 v22, 0
	v_mov_b32_e32 v24, 0
	s_mov_b32 s9, exec_lo
	v_cmpx_ne_u16_e32 0, v5
	s_cbranch_execz .LBB253_1967
; %bb.1960:                             ;   in Loop: Header=BB253_991 Depth=1
	v_bfrev_b32_e32 v23, 1
	v_mov_b32_e32 v24, 0
	s_mov_b32 s11, exec_lo
	v_cmpx_ne_u16_e32 0x80, v5
	s_cbranch_execz .LBB253_1966
; %bb.1961:                             ;   in Loop: Header=BB253_991 Depth=1
	v_mov_b32_e32 v23, 0x7f800001
	v_bfe_u32 v9, v110, 16, 7
	v_mov_b32_e32 v24, 0
	s_mov_b32 s12, exec_lo
	v_cmpx_ne_u32_e32 0x7f, v9
	s_cbranch_execz .LBB253_1965
; %bb.1962:                             ;   in Loop: Header=BB253_991 Depth=1
	v_mov_b32_e32 v5, 7
	v_lshrrev_b32_e32 v7, 3, v9
	s_mov_b32 s13, exec_lo
	v_and_b32_sdwa v5, v110, v5 dst_sel:DWORD dst_unused:UNUSED_PAD src0_sel:WORD_1 src1_sel:DWORD
	v_cmpx_gt_u32_e32 8, v9
; %bb.1963:                             ;   in Loop: Header=BB253_991 Depth=1
	v_ffbh_u32_e32 v7, v5
	v_min_u32_e32 v7, 32, v7
	v_subrev_nc_u32_e32 v9, 28, v7
	v_sub_nc_u32_e32 v7, 29, v7
	v_lshlrev_b64 v[23:24], v9, v[5:6]
	v_and_b32_e32 v5, 7, v23
; %bb.1964:                             ;   in Loop: Header=BB253_991 Depth=1
	s_or_b32 exec_lo, exec_lo, s13
	v_mov_b32_e32 v9, 24
	v_lshlrev_b32_e32 v5, 20, v5
	v_lshl_add_u32 v7, v7, 23, 0x3c000000
	v_lshlrev_b32_sdwa v9, v9, v110 dst_sel:DWORD dst_unused:UNUSED_PAD src0_sel:DWORD src1_sel:WORD_1
	v_and_b32_e32 v9, 0x80000000, v9
	v_or3_b32 v5, v5, v9, v7
	v_mov_b32_e32 v24, v6
	v_mov_b32_e32 v23, v5
.LBB253_1965:                           ;   in Loop: Header=BB253_991 Depth=1
	s_or_b32 exec_lo, exec_lo, s12
.LBB253_1966:                           ;   in Loop: Header=BB253_991 Depth=1
	s_or_b32 exec_lo, exec_lo, s11
.LBB253_1967:                           ;   in Loop: Header=BB253_991 Depth=1
	s_or_b32 exec_lo, exec_lo, s9
	s_mov_b32 s9, exec_lo
	v_cmpx_lt_u32_e32 0xffffff, v110
	s_cbranch_execz .LBB253_1975
; %bb.1968:                             ;   in Loop: Header=BB253_991 Depth=1
	v_mov_b32_e32 v7, v6
	v_mov_b32_e32 v22, v8
	v_cmp_ne_u32_sdwa s4, v110, v86 src0_sel:BYTE_3 src1_sel:DWORD
	v_mov_b32_e32 v21, v7
	s_and_saveexec_b32 s11, s4
	s_cbranch_execz .LBB253_1974
; %bb.1969:                             ;   in Loop: Header=BB253_991 Depth=1
	v_mov_b32_e32 v9, v6
	v_mov_b32_e32 v22, v10
	v_bfe_u32 v111, v110, 24, 7
	s_mov_b32 s12, exec_lo
	v_mov_b32_e32 v21, v9
	v_cmpx_ne_u32_e32 0x7f, v111
	s_cbranch_execz .LBB253_1973
; %bb.1970:                             ;   in Loop: Header=BB253_991 Depth=1
	v_mov_b32_e32 v5, 7
	v_lshrrev_b32_e32 v7, 3, v111
	s_mov_b32 s13, exec_lo
	v_and_b32_sdwa v5, v110, v5 dst_sel:DWORD dst_unused:UNUSED_PAD src0_sel:BYTE_3 src1_sel:DWORD
	v_cmpx_gt_u32_e32 8, v111
; %bb.1971:                             ;   in Loop: Header=BB253_991 Depth=1
	v_ffbh_u32_e32 v7, v5
	v_min_u32_e32 v7, 32, v7
	v_subrev_nc_u32_e32 v9, 28, v7
	v_sub_nc_u32_e32 v7, 29, v7
	v_lshlrev_b64 v[21:22], v9, v[5:6]
	v_and_b32_e32 v5, 7, v21
; %bb.1972:                             ;   in Loop: Header=BB253_991 Depth=1
	s_or_b32 exec_lo, exec_lo, s13
	v_mov_b32_e32 v9, 24
	v_lshlrev_b32_e32 v5, 20, v5
	v_lshl_add_u32 v7, v7, 23, 0x3c000000
	v_mov_b32_e32 v21, v6
	v_lshlrev_b32_sdwa v9, v9, v110 dst_sel:DWORD dst_unused:UNUSED_PAD src0_sel:DWORD src1_sel:BYTE_3
	v_and_b32_e32 v9, 0x80000000, v9
	v_or3_b32 v22, v5, v9, v7
.LBB253_1973:                           ;   in Loop: Header=BB253_991 Depth=1
	s_or_b32 exec_lo, exec_lo, s12
.LBB253_1974:                           ;   in Loop: Header=BB253_991 Depth=1
	s_or_b32 exec_lo, exec_lo, s11
.LBB253_1975:                           ;   in Loop: Header=BB253_991 Depth=1
	s_or_b32 exec_lo, exec_lo, s9
	v_or_b32_e32 v5, v20, v18
	v_or_b32_e32 v7, v19, v17
	;; [unrolled: 1-line block ×4, first 2 shown]
	v_mul_f32_e32 v111, v100, v5
	v_mul_f32_e32 v110, v84, v7
	;; [unrolled: 1-line block ×4, first 2 shown]
	s_and_saveexec_b32 s9, vcc_lo
	s_cbranch_execz .LBB253_1977
; %bb.1976:                             ;   in Loop: Header=BB253_991 Depth=1
	v_cmp_lt_i32_e64 s4, v117, v32
	v_cndmask_b32_e64 v110, 0, v110, s4
	v_cmp_lt_i32_e64 s4, v119, v32
	v_cndmask_b32_e64 v111, 0, v111, s4
	;; [unrolled: 2-line block ×4, first 2 shown]
.LBB253_1977:                           ;   in Loop: Header=BB253_991 Depth=1
	s_or_b32 exec_lo, exec_lo, s9
	flat_load_dword v120, v[15:16] offset:1664
	v_mov_b32_e32 v17, 0
	v_mov_b32_e32 v15, 0
	;; [unrolled: 1-line block ×4, first 2 shown]
	s_waitcnt vmcnt(0) lgkmcnt(0)
	v_cmp_ne_u16_sdwa s4, v120, v6 src0_sel:BYTE_0 src1_sel:DWORD
	s_and_saveexec_b32 s9, s4
	s_cbranch_execz .LBB253_1985
; %bb.1978:                             ;   in Loop: Header=BB253_991 Depth=1
	v_bfrev_b32_e32 v15, 1
	v_mov_b32_e32 v16, 0
	v_cmp_ne_u16_sdwa s4, v120, v86 src0_sel:BYTE_0 src1_sel:DWORD
	s_and_saveexec_b32 s11, s4
	s_cbranch_execz .LBB253_1984
; %bb.1979:                             ;   in Loop: Header=BB253_991 Depth=1
	v_mov_b32_e32 v15, 0x7f800001
	v_and_b32_e32 v9, 0x7f, v120
	v_mov_b32_e32 v16, 0
	s_mov_b32 s12, exec_lo
	v_cmpx_ne_u32_e32 0x7f, v9
	s_cbranch_execz .LBB253_1983
; %bb.1980:                             ;   in Loop: Header=BB253_991 Depth=1
	v_and_b32_e32 v5, 7, v120
	v_lshrrev_b32_e32 v7, 3, v9
	s_mov_b32 s13, exec_lo
	v_cmpx_gt_u32_e32 8, v9
; %bb.1981:                             ;   in Loop: Header=BB253_991 Depth=1
	v_ffbh_u32_e32 v7, v5
	v_min_u32_e32 v7, 32, v7
	v_subrev_nc_u32_e32 v9, 28, v7
	v_sub_nc_u32_e32 v7, 29, v7
	v_lshlrev_b64 v[15:16], v9, v[5:6]
	v_and_b32_e32 v5, 7, v15
; %bb.1982:                             ;   in Loop: Header=BB253_991 Depth=1
	s_or_b32 exec_lo, exec_lo, s13
	v_lshlrev_b32_e32 v9, 24, v120
	v_lshlrev_b32_e32 v5, 20, v5
	v_lshl_add_u32 v7, v7, 23, 0x3c000000
	v_and_b32_e32 v9, 0x80000000, v9
	v_or3_b32 v5, v5, v9, v7
	v_mov_b32_e32 v16, v6
	v_mov_b32_e32 v15, v5
.LBB253_1983:                           ;   in Loop: Header=BB253_991 Depth=1
	s_or_b32 exec_lo, exec_lo, s12
.LBB253_1984:                           ;   in Loop: Header=BB253_991 Depth=1
	s_or_b32 exec_lo, exec_lo, s11
.LBB253_1985:                           ;   in Loop: Header=BB253_991 Depth=1
	s_or_b32 exec_lo, exec_lo, s9
	v_cmp_ne_u16_sdwa s4, v120, v6 src0_sel:BYTE_1 src1_sel:DWORD
	s_and_saveexec_b32 s9, s4
	s_cbranch_execz .LBB253_1993
; %bb.1986:                             ;   in Loop: Header=BB253_991 Depth=1
	v_mov_b32_e32 v7, v6
	v_mov_b32_e32 v18, v8
	v_cmp_ne_u16_sdwa s4, v120, v86 src0_sel:BYTE_1 src1_sel:DWORD
	v_mov_b32_e32 v17, v7
	s_and_saveexec_b32 s11, s4
	s_cbranch_execz .LBB253_1992
; %bb.1987:                             ;   in Loop: Header=BB253_991 Depth=1
	v_mov_b32_e32 v5, 0xffff
	v_mov_b32_e32 v9, v6
	;; [unrolled: 1-line block ×3, first 2 shown]
	s_mov_b32 s12, exec_lo
	v_and_b32_sdwa v5, v5, v120 dst_sel:DWORD dst_unused:UNUSED_PAD src0_sel:DWORD src1_sel:BYTE_1
	v_mov_b32_e32 v17, v9
	v_and_b32_e32 v19, 0x7f, v5
	v_cmpx_ne_u32_e32 0x7f, v19
	s_cbranch_execz .LBB253_1991
; %bb.1988:                             ;   in Loop: Header=BB253_991 Depth=1
	v_and_b32_e32 v5, 7, v5
	v_lshrrev_b32_e32 v7, 3, v19
	s_mov_b32 s13, exec_lo
	v_cmpx_gt_u32_e32 8, v19
; %bb.1989:                             ;   in Loop: Header=BB253_991 Depth=1
	v_ffbh_u32_e32 v7, v5
	v_min_u32_e32 v7, 32, v7
	v_subrev_nc_u32_e32 v9, 28, v7
	v_sub_nc_u32_e32 v7, 29, v7
	v_lshlrev_b64 v[17:18], v9, v[5:6]
	v_and_b32_e32 v5, 7, v17
; %bb.1990:                             ;   in Loop: Header=BB253_991 Depth=1
	s_or_b32 exec_lo, exec_lo, s13
	v_lshlrev_b32_e32 v9, 16, v120
	v_lshlrev_b32_e32 v5, 20, v5
	v_lshl_add_u32 v7, v7, 23, 0x3c000000
	v_mov_b32_e32 v17, v6
	v_and_b32_e32 v9, 0x80000000, v9
	v_or3_b32 v18, v5, v9, v7
.LBB253_1991:                           ;   in Loop: Header=BB253_991 Depth=1
	s_or_b32 exec_lo, exec_lo, s12
.LBB253_1992:                           ;   in Loop: Header=BB253_991 Depth=1
	s_or_b32 exec_lo, exec_lo, s11
.LBB253_1993:                           ;   in Loop: Header=BB253_991 Depth=1
	s_or_b32 exec_lo, exec_lo, s9
	v_mov_b32_e32 v19, 0
	v_mov_b32_e32 v21, 0
	v_and_b32_sdwa v5, v120, v96 dst_sel:DWORD dst_unused:UNUSED_PAD src0_sel:WORD_1 src1_sel:DWORD
	v_mov_b32_e32 v20, 0
	v_mov_b32_e32 v22, 0
	s_mov_b32 s9, exec_lo
	v_cmpx_ne_u16_e32 0, v5
	s_cbranch_execz .LBB253_2001
; %bb.1994:                             ;   in Loop: Header=BB253_991 Depth=1
	v_bfrev_b32_e32 v21, 1
	v_mov_b32_e32 v22, 0
	s_mov_b32 s11, exec_lo
	v_cmpx_ne_u16_e32 0x80, v5
	s_cbranch_execz .LBB253_2000
; %bb.1995:                             ;   in Loop: Header=BB253_991 Depth=1
	v_mov_b32_e32 v21, 0x7f800001
	v_bfe_u32 v9, v120, 16, 7
	v_mov_b32_e32 v22, 0
	s_mov_b32 s12, exec_lo
	v_cmpx_ne_u32_e32 0x7f, v9
	s_cbranch_execz .LBB253_1999
; %bb.1996:                             ;   in Loop: Header=BB253_991 Depth=1
	v_mov_b32_e32 v5, 7
	v_lshrrev_b32_e32 v7, 3, v9
	s_mov_b32 s13, exec_lo
	v_and_b32_sdwa v5, v120, v5 dst_sel:DWORD dst_unused:UNUSED_PAD src0_sel:WORD_1 src1_sel:DWORD
	v_cmpx_gt_u32_e32 8, v9
; %bb.1997:                             ;   in Loop: Header=BB253_991 Depth=1
	v_ffbh_u32_e32 v7, v5
	v_min_u32_e32 v7, 32, v7
	v_subrev_nc_u32_e32 v9, 28, v7
	v_sub_nc_u32_e32 v7, 29, v7
	v_lshlrev_b64 v[21:22], v9, v[5:6]
	v_and_b32_e32 v5, 7, v21
; %bb.1998:                             ;   in Loop: Header=BB253_991 Depth=1
	s_or_b32 exec_lo, exec_lo, s13
	v_mov_b32_e32 v9, 24
	v_lshlrev_b32_e32 v5, 20, v5
	v_lshl_add_u32 v7, v7, 23, 0x3c000000
	v_lshlrev_b32_sdwa v9, v9, v120 dst_sel:DWORD dst_unused:UNUSED_PAD src0_sel:DWORD src1_sel:WORD_1
	v_and_b32_e32 v9, 0x80000000, v9
	v_or3_b32 v5, v5, v9, v7
	v_mov_b32_e32 v22, v6
	v_mov_b32_e32 v21, v5
.LBB253_1999:                           ;   in Loop: Header=BB253_991 Depth=1
	s_or_b32 exec_lo, exec_lo, s12
.LBB253_2000:                           ;   in Loop: Header=BB253_991 Depth=1
	s_or_b32 exec_lo, exec_lo, s11
.LBB253_2001:                           ;   in Loop: Header=BB253_991 Depth=1
	s_or_b32 exec_lo, exec_lo, s9
	s_mov_b32 s9, exec_lo
	v_cmpx_lt_u32_e32 0xffffff, v120
	s_cbranch_execz .LBB253_2009
; %bb.2002:                             ;   in Loop: Header=BB253_991 Depth=1
	v_mov_b32_e32 v7, v6
	v_mov_b32_e32 v20, v8
	v_cmp_ne_u32_sdwa s4, v120, v86 src0_sel:BYTE_3 src1_sel:DWORD
	v_mov_b32_e32 v19, v7
	s_and_saveexec_b32 s11, s4
	s_cbranch_execz .LBB253_2008
; %bb.2003:                             ;   in Loop: Header=BB253_991 Depth=1
	v_mov_b32_e32 v9, v6
	v_mov_b32_e32 v20, v10
	v_bfe_u32 v121, v120, 24, 7
	s_mov_b32 s12, exec_lo
	v_mov_b32_e32 v19, v9
	v_cmpx_ne_u32_e32 0x7f, v121
	s_cbranch_execz .LBB253_2007
; %bb.2004:                             ;   in Loop: Header=BB253_991 Depth=1
	v_mov_b32_e32 v5, 7
	v_lshrrev_b32_e32 v7, 3, v121
	s_mov_b32 s13, exec_lo
	v_and_b32_sdwa v5, v120, v5 dst_sel:DWORD dst_unused:UNUSED_PAD src0_sel:BYTE_3 src1_sel:DWORD
	v_cmpx_gt_u32_e32 8, v121
; %bb.2005:                             ;   in Loop: Header=BB253_991 Depth=1
	v_ffbh_u32_e32 v7, v5
	v_min_u32_e32 v7, 32, v7
	v_subrev_nc_u32_e32 v9, 28, v7
	v_sub_nc_u32_e32 v7, 29, v7
	v_lshlrev_b64 v[19:20], v9, v[5:6]
	v_and_b32_e32 v5, 7, v19
; %bb.2006:                             ;   in Loop: Header=BB253_991 Depth=1
	s_or_b32 exec_lo, exec_lo, s13
	v_mov_b32_e32 v9, 24
	v_lshlrev_b32_e32 v5, 20, v5
	v_lshl_add_u32 v7, v7, 23, 0x3c000000
	v_mov_b32_e32 v19, v6
	v_lshlrev_b32_sdwa v9, v9, v120 dst_sel:DWORD dst_unused:UNUSED_PAD src0_sel:DWORD src1_sel:BYTE_3
	v_and_b32_e32 v9, 0x80000000, v9
	v_or3_b32 v20, v5, v9, v7
.LBB253_2007:                           ;   in Loop: Header=BB253_991 Depth=1
	s_or_b32 exec_lo, exec_lo, s12
.LBB253_2008:                           ;   in Loop: Header=BB253_991 Depth=1
	s_or_b32 exec_lo, exec_lo, s11
.LBB253_2009:                           ;   in Loop: Header=BB253_991 Depth=1
	s_or_b32 exec_lo, exec_lo, s9
	v_or_b32_e32 v5, v18, v16
	v_or_b32_e32 v7, v17, v15
	;; [unrolled: 1-line block ×4, first 2 shown]
	v_mul_f32_e32 v15, v100, v5
	v_mul_f32_e32 v9, v84, v7
	;; [unrolled: 1-line block ×4, first 2 shown]
	s_and_saveexec_b32 s4, vcc_lo
	s_cbranch_execz .LBB253_990
; %bb.2010:                             ;   in Loop: Header=BB253_991 Depth=1
	v_cmp_lt_i32_e32 vcc_lo, v117, v32
	v_cndmask_b32_e32 v9, 0, v9, vcc_lo
	v_cmp_lt_i32_e32 vcc_lo, v119, v32
	v_cndmask_b32_e32 v15, 0, v15, vcc_lo
	;; [unrolled: 2-line block ×4, first 2 shown]
	s_branch .LBB253_990
.LBB253_2011:
	s_or_b32 exec_lo, exec_lo, s8
	s_clause 0x3
	buffer_load_dword v96, off, s[0:3], s32 offset:616
	buffer_load_dword v97, off, s[0:3], s32 offset:624
	;; [unrolled: 1-line block ×4, first 2 shown]
	v_mov_b32_e32 v0, s16
	v_mov_b32_e32 v1, s17
.LBB253_2012:
	s_or_b32 exec_lo, exec_lo, s7
	v_lshlrev_b64 v[0:1], 2, v[0:1]
	s_getpc_b64 s[8:9]
	s_add_u32 s8, s8, llvm.amdgcn.dynlds.offset.table@rel32@lo+4
	s_addc_u32 s9, s9, llvm.amdgcn.dynlds.offset.table@rel32@hi+12
	s_waitcnt vmcnt(0) lgkmcnt(0)
	s_waitcnt_vscnt null, 0x0
	s_barrier
	buffer_gl0_inv
	ds_bpermute_b32 v2, v33, v81
	v_add_co_u32 v0, vcc_lo, s8, v0
	v_add_co_ci_u32_e64 v1, null, s9, v1, vcc_lo
	ds_bpermute_b32 v3, v33, v80
	ds_bpermute_b32 v4, v33, v71
	;; [unrolled: 1-line block ×3, first 2 shown]
	global_load_dword v32, v[0:1], off
	ds_bpermute_b32 v0, v33, v83
	ds_bpermute_b32 v1, v33, v82
	;; [unrolled: 1-line block ×26, first 2 shown]
	s_clause 0x2
	buffer_load_dword v33, off, s[0:3], s32 offset:1320
	buffer_load_dword v84, off, s[0:3], s32 offset:1308
	;; [unrolled: 1-line block ×3, first 2 shown]
	s_waitcnt lgkmcnt(25)
	v_add_f32_e32 v0, v83, v0
	s_waitcnt lgkmcnt(24)
	v_add_f32_e32 v1, v82, v1
	v_add_f32_e32 v2, v81, v2
	;; [unrolled: 1-line block ×5, first 2 shown]
	s_waitcnt lgkmcnt(23)
	v_add_f32_e32 v6, v69, v6
	s_waitcnt lgkmcnt(22)
	v_add_f32_e32 v7, v68, v7
	;; [unrolled: 2-line block ×24, first 2 shown]
	ds_bpermute_b32 v30, v97, v0
	ds_bpermute_b32 v31, v97, v1
	;; [unrolled: 1-line block ×30, first 2 shown]
	s_waitcnt lgkmcnt(29)
	v_add_f32_e32 v0, v0, v30
	s_waitcnt lgkmcnt(28)
	v_add_f32_e32 v1, v1, v31
	;; [unrolled: 2-line block ×30, first 2 shown]
	ds_bpermute_b32 v28, v96, v0
	ds_bpermute_b32 v31, v96, v1
	;; [unrolled: 1-line block ×30, first 2 shown]
	s_waitcnt lgkmcnt(29)
	v_add_f32_e32 v0, v0, v28
	s_waitcnt lgkmcnt(28)
	v_add_f32_e32 v1, v1, v31
	;; [unrolled: 2-line block ×30, first 2 shown]
	s_mov_b32 s4, exec_lo
	s_waitcnt vmcnt(2)
	v_lshrrev_b32_e32 v33, 3, v33
	s_waitcnt vmcnt(1)
	v_mul_u32_u24_e32 v84, 0x1e0, v84
	s_waitcnt vmcnt(0)
	v_and_b32_e32 v87, 0x3c7, v87
	v_lshl_add_u32 v31, v33, 2, v32
	v_cmpx_eq_u32_e32 64, v87
	s_cbranch_execz .LBB253_2014
; %bb.2013:
	v_add_nc_u32_e32 v30, v31, v84
	v_add_nc_u32_e32 v34, 0xfffffc40, v30
	;; [unrolled: 1-line block ×6, first 2 shown]
	ds_write_b32 v34, v0
	ds_write_b32 v35, v1
	ds_write_b32 v36, v2
	ds_write_b32 v37, v3
	ds_write_b32 v38, v4
	v_add_nc_u32_e32 v34, 0xfffffc90, v30
	v_add_nc_u32_e32 v35, 0xfffffca0, v30
	v_add_nc_u32_e32 v36, 0xfffffcb0, v30
	v_add_nc_u32_e32 v37, 0xfffffcc0, v30
	v_add_nc_u32_e32 v38, 0xfffffcd0, v30
	ds_write_b32 v34, v5
	ds_write_b32 v35, v6
	ds_write_b32 v36, v7
	ds_write_b32 v37, v8
	ds_write_b32 v38, v9
	v_add_nc_u32_e32 v34, 0xfffffce0, v30
	v_add_nc_u32_e32 v35, 0xfffffcf0, v30
	v_add_nc_u32_e32 v36, 0xfffffd00, v30
	v_add_nc_u32_e32 v37, 0xfffffd10, v30
	v_add_nc_u32_e32 v38, 0xfffffd20, v30
	ds_write_b32 v34, v10
	ds_write_b32 v35, v11
	ds_write_b32 v36, v12
	ds_write_b32 v37, v13
	ds_write_b32 v38, v14
	v_add_nc_u32_e32 v34, 0xfffffd30, v30
	v_add_nc_u32_e32 v35, 0xfffffd40, v30
	v_add_nc_u32_e32 v36, 0xfffffd50, v30
	v_add_nc_u32_e32 v37, 0xfffffd60, v30
	v_add_nc_u32_e32 v38, 0xfffffd70, v30
	ds_write_b32 v34, v15
	ds_write_b32 v35, v16
	ds_write_b32 v36, v17
	ds_write_b32 v37, v18
	ds_write_b32 v38, v19
	v_add_nc_u32_e32 v34, 0xfffffd80, v30
	v_add_nc_u32_e32 v35, 0xfffffd90, v30
	v_add_nc_u32_e32 v36, 0xfffffda0, v30
	v_add_nc_u32_e32 v37, 0xfffffdb0, v30
	v_add_nc_u32_e32 v38, 0xfffffdc0, v30
	ds_write_b32 v34, v20
	ds_write_b32 v35, v21
	ds_write_b32 v36, v22
	ds_write_b32 v37, v23
	ds_write_b32 v38, v24
	v_add_nc_u32_e32 v34, 0xfffffdd0, v30
	v_add_nc_u32_e32 v35, 0xfffffde0, v30
	v_add_nc_u32_e32 v36, 0xfffffdf0, v30
	v_add_nc_u32_e32 v37, 0xfffffe00, v30
	v_add_nc_u32_e32 v30, 0xfffffe10, v30
	ds_write_b32 v34, v25
	ds_write_b32 v35, v26
	;; [unrolled: 1-line block ×5, first 2 shown]
.LBB253_2014:
	s_or_b32 exec_lo, exec_lo, s4
	v_lshlrev_b32_e32 v30, 2, v33
	s_mov_b32 s7, exec_lo
	v_cmp_eq_u32_e32 vcc_lo, 0, v98
	v_add3_u32 v30, v32, v84, v30
	buffer_load_dword v32, off, s[0:3], s32 offset:1304 ; 4-byte Folded Reload
	s_waitcnt vmcnt(0) lgkmcnt(0)
	s_barrier
	buffer_gl0_inv
	v_cmpx_gt_u32_e32 64, v32
	s_cbranch_execz .LBB253_2047
; %bb.2015:
	s_and_saveexec_b32 s4, vcc_lo
	s_cbranch_execnz .LBB253_2085
; %bb.2016:
	s_or_b32 exec_lo, exec_lo, s4
	s_and_saveexec_b32 s4, vcc_lo
	s_cbranch_execnz .LBB253_2086
.LBB253_2017:
	s_or_b32 exec_lo, exec_lo, s4
	s_and_saveexec_b32 s4, vcc_lo
	s_cbranch_execnz .LBB253_2087
.LBB253_2018:
	s_or_b32 exec_lo, exec_lo, s4
	s_and_saveexec_b32 s4, vcc_lo
	s_cbranch_execnz .LBB253_2088
.LBB253_2019:
	s_or_b32 exec_lo, exec_lo, s4
	s_and_saveexec_b32 s4, vcc_lo
	s_cbranch_execnz .LBB253_2089
.LBB253_2020:
	s_or_b32 exec_lo, exec_lo, s4
	s_and_saveexec_b32 s4, vcc_lo
	s_cbranch_execnz .LBB253_2090
.LBB253_2021:
	s_or_b32 exec_lo, exec_lo, s4
	s_and_saveexec_b32 s4, vcc_lo
	s_cbranch_execnz .LBB253_2091
.LBB253_2022:
	s_or_b32 exec_lo, exec_lo, s4
	s_and_saveexec_b32 s4, vcc_lo
	s_cbranch_execnz .LBB253_2092
.LBB253_2023:
	s_or_b32 exec_lo, exec_lo, s4
	s_and_saveexec_b32 s4, vcc_lo
	s_cbranch_execnz .LBB253_2093
.LBB253_2024:
	s_or_b32 exec_lo, exec_lo, s4
	s_and_saveexec_b32 s4, vcc_lo
	s_cbranch_execnz .LBB253_2094
.LBB253_2025:
	s_or_b32 exec_lo, exec_lo, s4
	s_and_saveexec_b32 s4, vcc_lo
	s_cbranch_execnz .LBB253_2095
.LBB253_2026:
	s_or_b32 exec_lo, exec_lo, s4
	s_and_saveexec_b32 s4, vcc_lo
	s_cbranch_execnz .LBB253_2096
.LBB253_2027:
	s_or_b32 exec_lo, exec_lo, s4
	s_and_saveexec_b32 s4, vcc_lo
	s_cbranch_execnz .LBB253_2097
.LBB253_2028:
	s_or_b32 exec_lo, exec_lo, s4
	s_and_saveexec_b32 s4, vcc_lo
	s_cbranch_execnz .LBB253_2098
.LBB253_2029:
	s_or_b32 exec_lo, exec_lo, s4
	s_and_saveexec_b32 s4, vcc_lo
	s_cbranch_execnz .LBB253_2099
.LBB253_2030:
	s_or_b32 exec_lo, exec_lo, s4
	s_and_saveexec_b32 s4, vcc_lo
	s_cbranch_execnz .LBB253_2100
.LBB253_2031:
	s_or_b32 exec_lo, exec_lo, s4
	s_and_saveexec_b32 s4, vcc_lo
	s_cbranch_execnz .LBB253_2101
.LBB253_2032:
	s_or_b32 exec_lo, exec_lo, s4
	s_and_saveexec_b32 s4, vcc_lo
	s_cbranch_execnz .LBB253_2102
.LBB253_2033:
	s_or_b32 exec_lo, exec_lo, s4
	s_and_saveexec_b32 s4, vcc_lo
	s_cbranch_execnz .LBB253_2103
.LBB253_2034:
	s_or_b32 exec_lo, exec_lo, s4
	s_and_saveexec_b32 s4, vcc_lo
	s_cbranch_execnz .LBB253_2104
.LBB253_2035:
	s_or_b32 exec_lo, exec_lo, s4
	s_and_saveexec_b32 s4, vcc_lo
	s_cbranch_execnz .LBB253_2105
.LBB253_2036:
	s_or_b32 exec_lo, exec_lo, s4
	s_and_saveexec_b32 s4, vcc_lo
	s_cbranch_execnz .LBB253_2106
.LBB253_2037:
	s_or_b32 exec_lo, exec_lo, s4
	s_and_saveexec_b32 s4, vcc_lo
	s_cbranch_execnz .LBB253_2107
.LBB253_2038:
	s_or_b32 exec_lo, exec_lo, s4
	s_and_saveexec_b32 s4, vcc_lo
	s_cbranch_execnz .LBB253_2108
.LBB253_2039:
	s_or_b32 exec_lo, exec_lo, s4
	s_and_saveexec_b32 s4, vcc_lo
	s_cbranch_execnz .LBB253_2109
.LBB253_2040:
	s_or_b32 exec_lo, exec_lo, s4
	s_and_saveexec_b32 s4, vcc_lo
	s_cbranch_execnz .LBB253_2110
.LBB253_2041:
	s_or_b32 exec_lo, exec_lo, s4
	s_and_saveexec_b32 s4, vcc_lo
	s_cbranch_execnz .LBB253_2111
.LBB253_2042:
	s_or_b32 exec_lo, exec_lo, s4
	s_and_saveexec_b32 s4, vcc_lo
	s_cbranch_execnz .LBB253_2112
.LBB253_2043:
	s_or_b32 exec_lo, exec_lo, s4
	s_and_saveexec_b32 s4, vcc_lo
	s_cbranch_execnz .LBB253_2113
.LBB253_2044:
	s_or_b32 exec_lo, exec_lo, s4
	s_and_saveexec_b32 s4, vcc_lo
	s_cbranch_execz .LBB253_2046
.LBB253_2045:
	ds_read_b32 v32, v30 offset:464
	s_waitcnt lgkmcnt(0)
	v_add_f32_e32 v29, v32, v29
.LBB253_2046:
	s_or_b32 exec_lo, exec_lo, s4
.LBB253_2047:
	s_or_b32 exec_lo, exec_lo, s7
	buffer_load_dword v32, off, s[0:3], s32 offset:1304 ; 4-byte Folded Reload
	s_mov_b32 s7, exec_lo
	s_waitcnt vmcnt(0)
	s_barrier
	buffer_gl0_inv
	v_and_b32_e32 v32, 0x3e7, v32
	v_cmpx_eq_u32_e32 32, v32
	s_cbranch_execz .LBB253_2049
; %bb.2048:
	ds_write2_b32 v31, v0, v1 offset1:4
	ds_write2_b32 v31, v2, v3 offset0:8 offset1:12
	ds_write2_b32 v31, v4, v5 offset0:16 offset1:20
	;; [unrolled: 1-line block ×14, first 2 shown]
.LBB253_2049:
	s_or_b32 exec_lo, exec_lo, s7
	buffer_load_dword v31, off, s[0:3], s32 offset:1304 ; 4-byte Folded Reload
	s_mov_b32 s7, exec_lo
	s_waitcnt vmcnt(0) lgkmcnt(0)
	s_barrier
	buffer_gl0_inv
	v_cmpx_gt_u32_e32 32, v31
	s_cbranch_execz .LBB253_2082
; %bb.2050:
	s_and_saveexec_b32 s4, vcc_lo
	s_cbranch_execnz .LBB253_2114
; %bb.2051:
	s_or_b32 exec_lo, exec_lo, s4
	s_and_saveexec_b32 s4, vcc_lo
	s_cbranch_execnz .LBB253_2115
.LBB253_2052:
	s_or_b32 exec_lo, exec_lo, s4
	s_and_saveexec_b32 s4, vcc_lo
	s_cbranch_execnz .LBB253_2116
.LBB253_2053:
	s_or_b32 exec_lo, exec_lo, s4
	s_and_saveexec_b32 s4, vcc_lo
	s_cbranch_execnz .LBB253_2117
.LBB253_2054:
	s_or_b32 exec_lo, exec_lo, s4
	s_and_saveexec_b32 s4, vcc_lo
	s_cbranch_execnz .LBB253_2118
.LBB253_2055:
	s_or_b32 exec_lo, exec_lo, s4
	s_and_saveexec_b32 s4, vcc_lo
	s_cbranch_execnz .LBB253_2119
.LBB253_2056:
	s_or_b32 exec_lo, exec_lo, s4
	s_and_saveexec_b32 s4, vcc_lo
	s_cbranch_execnz .LBB253_2120
.LBB253_2057:
	s_or_b32 exec_lo, exec_lo, s4
	s_and_saveexec_b32 s4, vcc_lo
	s_cbranch_execnz .LBB253_2121
.LBB253_2058:
	s_or_b32 exec_lo, exec_lo, s4
	s_and_saveexec_b32 s4, vcc_lo
	s_cbranch_execnz .LBB253_2122
.LBB253_2059:
	s_or_b32 exec_lo, exec_lo, s4
	s_and_saveexec_b32 s4, vcc_lo
	s_cbranch_execnz .LBB253_2123
.LBB253_2060:
	s_or_b32 exec_lo, exec_lo, s4
	s_and_saveexec_b32 s4, vcc_lo
	s_cbranch_execnz .LBB253_2124
.LBB253_2061:
	s_or_b32 exec_lo, exec_lo, s4
	s_and_saveexec_b32 s4, vcc_lo
	s_cbranch_execnz .LBB253_2125
.LBB253_2062:
	s_or_b32 exec_lo, exec_lo, s4
	s_and_saveexec_b32 s4, vcc_lo
	s_cbranch_execnz .LBB253_2126
.LBB253_2063:
	s_or_b32 exec_lo, exec_lo, s4
	s_and_saveexec_b32 s4, vcc_lo
	s_cbranch_execnz .LBB253_2127
.LBB253_2064:
	s_or_b32 exec_lo, exec_lo, s4
	s_and_saveexec_b32 s4, vcc_lo
	s_cbranch_execnz .LBB253_2128
.LBB253_2065:
	s_or_b32 exec_lo, exec_lo, s4
	s_and_saveexec_b32 s4, vcc_lo
	s_cbranch_execnz .LBB253_2129
.LBB253_2066:
	s_or_b32 exec_lo, exec_lo, s4
	s_and_saveexec_b32 s4, vcc_lo
	s_cbranch_execnz .LBB253_2130
.LBB253_2067:
	s_or_b32 exec_lo, exec_lo, s4
	s_and_saveexec_b32 s4, vcc_lo
	s_cbranch_execnz .LBB253_2131
.LBB253_2068:
	s_or_b32 exec_lo, exec_lo, s4
	s_and_saveexec_b32 s4, vcc_lo
	s_cbranch_execnz .LBB253_2132
.LBB253_2069:
	s_or_b32 exec_lo, exec_lo, s4
	s_and_saveexec_b32 s4, vcc_lo
	s_cbranch_execnz .LBB253_2133
.LBB253_2070:
	s_or_b32 exec_lo, exec_lo, s4
	s_and_saveexec_b32 s4, vcc_lo
	s_cbranch_execnz .LBB253_2134
.LBB253_2071:
	s_or_b32 exec_lo, exec_lo, s4
	s_and_saveexec_b32 s4, vcc_lo
	s_cbranch_execnz .LBB253_2135
.LBB253_2072:
	s_or_b32 exec_lo, exec_lo, s4
	s_and_saveexec_b32 s4, vcc_lo
	s_cbranch_execnz .LBB253_2136
.LBB253_2073:
	s_or_b32 exec_lo, exec_lo, s4
	s_and_saveexec_b32 s4, vcc_lo
	s_cbranch_execnz .LBB253_2137
.LBB253_2074:
	s_or_b32 exec_lo, exec_lo, s4
	s_and_saveexec_b32 s4, vcc_lo
	s_cbranch_execnz .LBB253_2138
.LBB253_2075:
	s_or_b32 exec_lo, exec_lo, s4
	s_and_saveexec_b32 s4, vcc_lo
	s_cbranch_execnz .LBB253_2139
.LBB253_2076:
	s_or_b32 exec_lo, exec_lo, s4
	s_and_saveexec_b32 s4, vcc_lo
	s_cbranch_execnz .LBB253_2140
.LBB253_2077:
	s_or_b32 exec_lo, exec_lo, s4
	s_and_saveexec_b32 s4, vcc_lo
	s_cbranch_execnz .LBB253_2141
.LBB253_2078:
	s_or_b32 exec_lo, exec_lo, s4
	s_and_saveexec_b32 s4, vcc_lo
	s_cbranch_execnz .LBB253_2142
.LBB253_2079:
	s_or_b32 exec_lo, exec_lo, s4
	s_and_saveexec_b32 s4, vcc_lo
	s_cbranch_execz .LBB253_2081
.LBB253_2080:
	ds_read_b32 v30, v30 offset:464
	s_waitcnt lgkmcnt(0)
	v_add_f32_e32 v29, v30, v29
.LBB253_2081:
	s_or_b32 exec_lo, exec_lo, s4
.LBB253_2082:
	s_or_b32 exec_lo, exec_lo, s7
	v_cmp_eq_u32_e32 vcc_lo, 0, v32
	s_barrier
	buffer_gl0_inv
	s_and_b32 exec_lo, exec_lo, vcc_lo
	s_cbranch_execz .LBB253_2084
; %bb.2083:
	s_clause 0x2
	buffer_load_dword v30, off, s[0:3], s32 offset:1316
	buffer_load_dword v31, off, s[0:3], s32 offset:1312
	;; [unrolled: 1-line block ×3, first 2 shown]
	s_mulk_i32 s6, 0x78
	s_mul_i32 s4, s10, s5
	s_ashr_i32 s7, s6, 31
	s_ashr_i32 s5, s4, 31
	s_lshl_b64 s[6:7], s[6:7], 2
	s_lshl_b64 s[4:5], s[4:5], 2
	s_waitcnt vmcnt(2)
	v_add_co_u32 v30, vcc_lo, v30, s6
	s_waitcnt vmcnt(1)
	v_add_co_ci_u32_e64 v31, null, s7, v31, vcc_lo
	s_mul_i32 s6, s14, 0x78
	v_add_co_u32 v30, vcc_lo, v30, s4
	s_ashr_i32 s7, s6, 31
	v_add_co_ci_u32_e64 v31, null, s5, v31, vcc_lo
	s_lshl_b64 s[4:5], s[6:7], 2
	s_waitcnt vmcnt(0)
	v_lshrrev_b32_e32 v32, 1, v32
	v_add_co_u32 v30, vcc_lo, v30, s4
	v_add_co_ci_u32_e64 v31, null, s5, v31, vcc_lo
	v_add_co_u32 v30, vcc_lo, v30, v32
	v_add_co_ci_u32_e64 v31, null, 0, v31, vcc_lo
	flat_store_dword v[30:31], v0
	flat_store_dword v[30:31], v1 offset:16
	flat_store_dword v[30:31], v2 offset:32
	;; [unrolled: 1-line block ×29, first 2 shown]
.LBB253_2084:
	s_or_b32 exec_lo, exec_lo, s19
	s_clause 0x2f
	buffer_load_dword v127, off, s[0:3], s32
	buffer_load_dword v126, off, s[0:3], s32 offset:4
	buffer_load_dword v125, off, s[0:3], s32 offset:8
	;; [unrolled: 1-line block ×47, first 2 shown]
	s_waitcnt vmcnt(0) lgkmcnt(0)
	s_setpc_b64 s[30:31]
.LBB253_2085:
	ds_read_b32 v32, v30
	s_waitcnt lgkmcnt(0)
	v_add_f32_e32 v0, v32, v0
	s_or_b32 exec_lo, exec_lo, s4
	s_and_saveexec_b32 s4, vcc_lo
	s_cbranch_execz .LBB253_2017
.LBB253_2086:
	ds_read_b32 v32, v30 offset:16
	s_waitcnt lgkmcnt(0)
	v_add_f32_e32 v1, v32, v1
	s_or_b32 exec_lo, exec_lo, s4
	s_and_saveexec_b32 s4, vcc_lo
	s_cbranch_execz .LBB253_2018
.LBB253_2087:
	ds_read_b32 v32, v30 offset:32
	s_waitcnt lgkmcnt(0)
	v_add_f32_e32 v2, v32, v2
	s_or_b32 exec_lo, exec_lo, s4
	s_and_saveexec_b32 s4, vcc_lo
	s_cbranch_execz .LBB253_2019
.LBB253_2088:
	ds_read_b32 v32, v30 offset:48
	s_waitcnt lgkmcnt(0)
	v_add_f32_e32 v3, v32, v3
	s_or_b32 exec_lo, exec_lo, s4
	s_and_saveexec_b32 s4, vcc_lo
	s_cbranch_execz .LBB253_2020
.LBB253_2089:
	ds_read_b32 v32, v30 offset:64
	s_waitcnt lgkmcnt(0)
	v_add_f32_e32 v4, v32, v4
	s_or_b32 exec_lo, exec_lo, s4
	s_and_saveexec_b32 s4, vcc_lo
	s_cbranch_execz .LBB253_2021
.LBB253_2090:
	ds_read_b32 v32, v30 offset:80
	s_waitcnt lgkmcnt(0)
	v_add_f32_e32 v5, v32, v5
	s_or_b32 exec_lo, exec_lo, s4
	s_and_saveexec_b32 s4, vcc_lo
	s_cbranch_execz .LBB253_2022
.LBB253_2091:
	ds_read_b32 v32, v30 offset:96
	s_waitcnt lgkmcnt(0)
	v_add_f32_e32 v6, v32, v6
	s_or_b32 exec_lo, exec_lo, s4
	s_and_saveexec_b32 s4, vcc_lo
	s_cbranch_execz .LBB253_2023
.LBB253_2092:
	ds_read_b32 v32, v30 offset:112
	s_waitcnt lgkmcnt(0)
	v_add_f32_e32 v7, v32, v7
	s_or_b32 exec_lo, exec_lo, s4
	s_and_saveexec_b32 s4, vcc_lo
	s_cbranch_execz .LBB253_2024
.LBB253_2093:
	ds_read_b32 v32, v30 offset:128
	s_waitcnt lgkmcnt(0)
	v_add_f32_e32 v8, v32, v8
	s_or_b32 exec_lo, exec_lo, s4
	s_and_saveexec_b32 s4, vcc_lo
	s_cbranch_execz .LBB253_2025
.LBB253_2094:
	ds_read_b32 v32, v30 offset:144
	s_waitcnt lgkmcnt(0)
	v_add_f32_e32 v9, v32, v9
	s_or_b32 exec_lo, exec_lo, s4
	s_and_saveexec_b32 s4, vcc_lo
	s_cbranch_execz .LBB253_2026
.LBB253_2095:
	ds_read_b32 v32, v30 offset:160
	s_waitcnt lgkmcnt(0)
	v_add_f32_e32 v10, v32, v10
	s_or_b32 exec_lo, exec_lo, s4
	s_and_saveexec_b32 s4, vcc_lo
	s_cbranch_execz .LBB253_2027
.LBB253_2096:
	ds_read_b32 v32, v30 offset:176
	s_waitcnt lgkmcnt(0)
	v_add_f32_e32 v11, v32, v11
	s_or_b32 exec_lo, exec_lo, s4
	s_and_saveexec_b32 s4, vcc_lo
	s_cbranch_execz .LBB253_2028
.LBB253_2097:
	ds_read_b32 v32, v30 offset:192
	s_waitcnt lgkmcnt(0)
	v_add_f32_e32 v12, v32, v12
	s_or_b32 exec_lo, exec_lo, s4
	s_and_saveexec_b32 s4, vcc_lo
	s_cbranch_execz .LBB253_2029
.LBB253_2098:
	ds_read_b32 v32, v30 offset:208
	s_waitcnt lgkmcnt(0)
	v_add_f32_e32 v13, v32, v13
	s_or_b32 exec_lo, exec_lo, s4
	s_and_saveexec_b32 s4, vcc_lo
	s_cbranch_execz .LBB253_2030
.LBB253_2099:
	ds_read_b32 v32, v30 offset:224
	s_waitcnt lgkmcnt(0)
	v_add_f32_e32 v14, v32, v14
	s_or_b32 exec_lo, exec_lo, s4
	s_and_saveexec_b32 s4, vcc_lo
	s_cbranch_execz .LBB253_2031
.LBB253_2100:
	ds_read_b32 v32, v30 offset:240
	s_waitcnt lgkmcnt(0)
	v_add_f32_e32 v15, v32, v15
	s_or_b32 exec_lo, exec_lo, s4
	s_and_saveexec_b32 s4, vcc_lo
	s_cbranch_execz .LBB253_2032
.LBB253_2101:
	ds_read_b32 v32, v30 offset:256
	s_waitcnt lgkmcnt(0)
	v_add_f32_e32 v16, v32, v16
	s_or_b32 exec_lo, exec_lo, s4
	s_and_saveexec_b32 s4, vcc_lo
	s_cbranch_execz .LBB253_2033
.LBB253_2102:
	ds_read_b32 v32, v30 offset:272
	s_waitcnt lgkmcnt(0)
	v_add_f32_e32 v17, v32, v17
	s_or_b32 exec_lo, exec_lo, s4
	s_and_saveexec_b32 s4, vcc_lo
	s_cbranch_execz .LBB253_2034
.LBB253_2103:
	ds_read_b32 v32, v30 offset:288
	s_waitcnt lgkmcnt(0)
	v_add_f32_e32 v18, v32, v18
	s_or_b32 exec_lo, exec_lo, s4
	s_and_saveexec_b32 s4, vcc_lo
	s_cbranch_execz .LBB253_2035
.LBB253_2104:
	ds_read_b32 v32, v30 offset:304
	s_waitcnt lgkmcnt(0)
	v_add_f32_e32 v19, v32, v19
	s_or_b32 exec_lo, exec_lo, s4
	s_and_saveexec_b32 s4, vcc_lo
	s_cbranch_execz .LBB253_2036
.LBB253_2105:
	ds_read_b32 v32, v30 offset:320
	s_waitcnt lgkmcnt(0)
	v_add_f32_e32 v20, v32, v20
	s_or_b32 exec_lo, exec_lo, s4
	s_and_saveexec_b32 s4, vcc_lo
	s_cbranch_execz .LBB253_2037
.LBB253_2106:
	ds_read_b32 v32, v30 offset:336
	s_waitcnt lgkmcnt(0)
	v_add_f32_e32 v21, v32, v21
	s_or_b32 exec_lo, exec_lo, s4
	s_and_saveexec_b32 s4, vcc_lo
	s_cbranch_execz .LBB253_2038
.LBB253_2107:
	ds_read_b32 v32, v30 offset:352
	s_waitcnt lgkmcnt(0)
	v_add_f32_e32 v22, v32, v22
	s_or_b32 exec_lo, exec_lo, s4
	s_and_saveexec_b32 s4, vcc_lo
	s_cbranch_execz .LBB253_2039
.LBB253_2108:
	ds_read_b32 v32, v30 offset:368
	s_waitcnt lgkmcnt(0)
	v_add_f32_e32 v23, v32, v23
	s_or_b32 exec_lo, exec_lo, s4
	s_and_saveexec_b32 s4, vcc_lo
	s_cbranch_execz .LBB253_2040
.LBB253_2109:
	ds_read_b32 v32, v30 offset:384
	s_waitcnt lgkmcnt(0)
	v_add_f32_e32 v24, v32, v24
	s_or_b32 exec_lo, exec_lo, s4
	s_and_saveexec_b32 s4, vcc_lo
	s_cbranch_execz .LBB253_2041
.LBB253_2110:
	ds_read_b32 v32, v30 offset:400
	s_waitcnt lgkmcnt(0)
	v_add_f32_e32 v25, v32, v25
	s_or_b32 exec_lo, exec_lo, s4
	s_and_saveexec_b32 s4, vcc_lo
	s_cbranch_execz .LBB253_2042
.LBB253_2111:
	ds_read_b32 v32, v30 offset:416
	s_waitcnt lgkmcnt(0)
	v_add_f32_e32 v26, v32, v26
	s_or_b32 exec_lo, exec_lo, s4
	s_and_saveexec_b32 s4, vcc_lo
	s_cbranch_execz .LBB253_2043
.LBB253_2112:
	ds_read_b32 v32, v30 offset:432
	s_waitcnt lgkmcnt(0)
	v_add_f32_e32 v27, v32, v27
	s_or_b32 exec_lo, exec_lo, s4
	s_and_saveexec_b32 s4, vcc_lo
	s_cbranch_execz .LBB253_2044
.LBB253_2113:
	ds_read_b32 v32, v30 offset:448
	s_waitcnt lgkmcnt(0)
	v_add_f32_e32 v28, v32, v28
	s_or_b32 exec_lo, exec_lo, s4
	s_and_saveexec_b32 s4, vcc_lo
	s_cbranch_execnz .LBB253_2045
	s_branch .LBB253_2046
.LBB253_2114:
	ds_read_b32 v31, v30
	s_waitcnt lgkmcnt(0)
	v_add_f32_e32 v0, v31, v0
	s_or_b32 exec_lo, exec_lo, s4
	s_and_saveexec_b32 s4, vcc_lo
	s_cbranch_execz .LBB253_2052
.LBB253_2115:
	ds_read_b32 v31, v30 offset:16
	s_waitcnt lgkmcnt(0)
	v_add_f32_e32 v1, v31, v1
	s_or_b32 exec_lo, exec_lo, s4
	s_and_saveexec_b32 s4, vcc_lo
	s_cbranch_execz .LBB253_2053
.LBB253_2116:
	ds_read_b32 v31, v30 offset:32
	s_waitcnt lgkmcnt(0)
	v_add_f32_e32 v2, v31, v2
	s_or_b32 exec_lo, exec_lo, s4
	s_and_saveexec_b32 s4, vcc_lo
	s_cbranch_execz .LBB253_2054
.LBB253_2117:
	ds_read_b32 v31, v30 offset:48
	s_waitcnt lgkmcnt(0)
	v_add_f32_e32 v3, v31, v3
	s_or_b32 exec_lo, exec_lo, s4
	s_and_saveexec_b32 s4, vcc_lo
	s_cbranch_execz .LBB253_2055
.LBB253_2118:
	ds_read_b32 v31, v30 offset:64
	s_waitcnt lgkmcnt(0)
	v_add_f32_e32 v4, v31, v4
	s_or_b32 exec_lo, exec_lo, s4
	s_and_saveexec_b32 s4, vcc_lo
	s_cbranch_execz .LBB253_2056
.LBB253_2119:
	ds_read_b32 v31, v30 offset:80
	s_waitcnt lgkmcnt(0)
	v_add_f32_e32 v5, v31, v5
	s_or_b32 exec_lo, exec_lo, s4
	s_and_saveexec_b32 s4, vcc_lo
	s_cbranch_execz .LBB253_2057
.LBB253_2120:
	ds_read_b32 v31, v30 offset:96
	s_waitcnt lgkmcnt(0)
	v_add_f32_e32 v6, v31, v6
	s_or_b32 exec_lo, exec_lo, s4
	s_and_saveexec_b32 s4, vcc_lo
	s_cbranch_execz .LBB253_2058
.LBB253_2121:
	ds_read_b32 v31, v30 offset:112
	s_waitcnt lgkmcnt(0)
	v_add_f32_e32 v7, v31, v7
	s_or_b32 exec_lo, exec_lo, s4
	s_and_saveexec_b32 s4, vcc_lo
	s_cbranch_execz .LBB253_2059
.LBB253_2122:
	ds_read_b32 v31, v30 offset:128
	s_waitcnt lgkmcnt(0)
	v_add_f32_e32 v8, v31, v8
	s_or_b32 exec_lo, exec_lo, s4
	s_and_saveexec_b32 s4, vcc_lo
	s_cbranch_execz .LBB253_2060
.LBB253_2123:
	ds_read_b32 v31, v30 offset:144
	s_waitcnt lgkmcnt(0)
	v_add_f32_e32 v9, v31, v9
	s_or_b32 exec_lo, exec_lo, s4
	s_and_saveexec_b32 s4, vcc_lo
	s_cbranch_execz .LBB253_2061
.LBB253_2124:
	ds_read_b32 v31, v30 offset:160
	s_waitcnt lgkmcnt(0)
	v_add_f32_e32 v10, v31, v10
	s_or_b32 exec_lo, exec_lo, s4
	s_and_saveexec_b32 s4, vcc_lo
	s_cbranch_execz .LBB253_2062
.LBB253_2125:
	ds_read_b32 v31, v30 offset:176
	s_waitcnt lgkmcnt(0)
	v_add_f32_e32 v11, v31, v11
	s_or_b32 exec_lo, exec_lo, s4
	s_and_saveexec_b32 s4, vcc_lo
	s_cbranch_execz .LBB253_2063
.LBB253_2126:
	ds_read_b32 v31, v30 offset:192
	s_waitcnt lgkmcnt(0)
	v_add_f32_e32 v12, v31, v12
	s_or_b32 exec_lo, exec_lo, s4
	s_and_saveexec_b32 s4, vcc_lo
	s_cbranch_execz .LBB253_2064
.LBB253_2127:
	ds_read_b32 v31, v30 offset:208
	s_waitcnt lgkmcnt(0)
	v_add_f32_e32 v13, v31, v13
	s_or_b32 exec_lo, exec_lo, s4
	s_and_saveexec_b32 s4, vcc_lo
	s_cbranch_execz .LBB253_2065
.LBB253_2128:
	ds_read_b32 v31, v30 offset:224
	s_waitcnt lgkmcnt(0)
	v_add_f32_e32 v14, v31, v14
	s_or_b32 exec_lo, exec_lo, s4
	s_and_saveexec_b32 s4, vcc_lo
	s_cbranch_execz .LBB253_2066
.LBB253_2129:
	ds_read_b32 v31, v30 offset:240
	s_waitcnt lgkmcnt(0)
	v_add_f32_e32 v15, v31, v15
	s_or_b32 exec_lo, exec_lo, s4
	s_and_saveexec_b32 s4, vcc_lo
	s_cbranch_execz .LBB253_2067
.LBB253_2130:
	ds_read_b32 v31, v30 offset:256
	s_waitcnt lgkmcnt(0)
	v_add_f32_e32 v16, v31, v16
	s_or_b32 exec_lo, exec_lo, s4
	s_and_saveexec_b32 s4, vcc_lo
	s_cbranch_execz .LBB253_2068
.LBB253_2131:
	ds_read_b32 v31, v30 offset:272
	s_waitcnt lgkmcnt(0)
	v_add_f32_e32 v17, v31, v17
	s_or_b32 exec_lo, exec_lo, s4
	s_and_saveexec_b32 s4, vcc_lo
	s_cbranch_execz .LBB253_2069
.LBB253_2132:
	ds_read_b32 v31, v30 offset:288
	s_waitcnt lgkmcnt(0)
	v_add_f32_e32 v18, v31, v18
	s_or_b32 exec_lo, exec_lo, s4
	s_and_saveexec_b32 s4, vcc_lo
	s_cbranch_execz .LBB253_2070
.LBB253_2133:
	ds_read_b32 v31, v30 offset:304
	s_waitcnt lgkmcnt(0)
	v_add_f32_e32 v19, v31, v19
	s_or_b32 exec_lo, exec_lo, s4
	s_and_saveexec_b32 s4, vcc_lo
	s_cbranch_execz .LBB253_2071
.LBB253_2134:
	ds_read_b32 v31, v30 offset:320
	s_waitcnt lgkmcnt(0)
	v_add_f32_e32 v20, v31, v20
	s_or_b32 exec_lo, exec_lo, s4
	s_and_saveexec_b32 s4, vcc_lo
	s_cbranch_execz .LBB253_2072
.LBB253_2135:
	ds_read_b32 v31, v30 offset:336
	s_waitcnt lgkmcnt(0)
	v_add_f32_e32 v21, v31, v21
	s_or_b32 exec_lo, exec_lo, s4
	s_and_saveexec_b32 s4, vcc_lo
	s_cbranch_execz .LBB253_2073
.LBB253_2136:
	ds_read_b32 v31, v30 offset:352
	s_waitcnt lgkmcnt(0)
	v_add_f32_e32 v22, v31, v22
	s_or_b32 exec_lo, exec_lo, s4
	s_and_saveexec_b32 s4, vcc_lo
	s_cbranch_execz .LBB253_2074
.LBB253_2137:
	ds_read_b32 v31, v30 offset:368
	s_waitcnt lgkmcnt(0)
	v_add_f32_e32 v23, v31, v23
	s_or_b32 exec_lo, exec_lo, s4
	s_and_saveexec_b32 s4, vcc_lo
	s_cbranch_execz .LBB253_2075
.LBB253_2138:
	ds_read_b32 v31, v30 offset:384
	s_waitcnt lgkmcnt(0)
	v_add_f32_e32 v24, v31, v24
	s_or_b32 exec_lo, exec_lo, s4
	s_and_saveexec_b32 s4, vcc_lo
	s_cbranch_execz .LBB253_2076
.LBB253_2139:
	ds_read_b32 v31, v30 offset:400
	s_waitcnt lgkmcnt(0)
	v_add_f32_e32 v25, v31, v25
	s_or_b32 exec_lo, exec_lo, s4
	s_and_saveexec_b32 s4, vcc_lo
	s_cbranch_execz .LBB253_2077
.LBB253_2140:
	ds_read_b32 v31, v30 offset:416
	s_waitcnt lgkmcnt(0)
	v_add_f32_e32 v26, v31, v26
	s_or_b32 exec_lo, exec_lo, s4
	s_and_saveexec_b32 s4, vcc_lo
	s_cbranch_execz .LBB253_2078
.LBB253_2141:
	ds_read_b32 v31, v30 offset:432
	s_waitcnt lgkmcnt(0)
	v_add_f32_e32 v27, v31, v27
	s_or_b32 exec_lo, exec_lo, s4
	s_and_saveexec_b32 s4, vcc_lo
	s_cbranch_execz .LBB253_2079
.LBB253_2142:
	ds_read_b32 v31, v30 offset:448
	s_waitcnt lgkmcnt(0)
	v_add_f32_e32 v28, v31, v28
	s_or_b32 exec_lo, exec_lo, s4
	s_and_saveexec_b32 s4, vcc_lo
	s_cbranch_execnz .LBB253_2080
	s_branch .LBB253_2081
.Lfunc_end253:
	.size	_ZN4vllm22paged_attention_kernelIfhLi120ELi32ELi128ELNS_18Fp8KVCacheDataTypeE1ELb0ELi512EEEvPfS2_PT_PKS3_PKT0_S9_ifPKiSB_iPKfiiiSD_SD_iiiii, .Lfunc_end253-_ZN4vllm22paged_attention_kernelIfhLi120ELi32ELi128ELNS_18Fp8KVCacheDataTypeE1ELb0ELi512EEEvPfS2_PT_PKS3_PKT0_S9_ifPKiSB_iPKfiiiSD_SD_iiiii
                                        ; -- End function
	.set .L_ZN4vllm22paged_attention_kernelIfhLi120ELi32ELi128ELNS_18Fp8KVCacheDataTypeE1ELb0ELi512EEEvPfS2_PT_PKS3_PKT0_S9_ifPKiSB_iPKfiiiSD_SD_iiiii.num_vgpr, 128
	.set .L_ZN4vllm22paged_attention_kernelIfhLi120ELi32ELi128ELNS_18Fp8KVCacheDataTypeE1ELb0ELi512EEEvPfS2_PT_PKS3_PKT0_S9_ifPKiSB_iPKfiiiSD_SD_iiiii.num_agpr, 0
	.set .L_ZN4vllm22paged_attention_kernelIfhLi120ELi32ELi128ELNS_18Fp8KVCacheDataTypeE1ELb0ELi512EEEvPfS2_PT_PKS3_PKT0_S9_ifPKiSB_iPKfiiiSD_SD_iiiii.numbered_sgpr, 33
	.set .L_ZN4vllm22paged_attention_kernelIfhLi120ELi32ELi128ELNS_18Fp8KVCacheDataTypeE1ELb0ELi512EEEvPfS2_PT_PKS3_PKT0_S9_ifPKiSB_iPKfiiiSD_SD_iiiii.num_named_barrier, 0
	.set .L_ZN4vllm22paged_attention_kernelIfhLi120ELi32ELi128ELNS_18Fp8KVCacheDataTypeE1ELb0ELi512EEEvPfS2_PT_PKS3_PKT0_S9_ifPKiSB_iPKfiiiSD_SD_iiiii.private_seg_size, 1392
	.set .L_ZN4vllm22paged_attention_kernelIfhLi120ELi32ELi128ELNS_18Fp8KVCacheDataTypeE1ELb0ELi512EEEvPfS2_PT_PKS3_PKT0_S9_ifPKiSB_iPKfiiiSD_SD_iiiii.uses_vcc, 1
	.set .L_ZN4vllm22paged_attention_kernelIfhLi120ELi32ELi128ELNS_18Fp8KVCacheDataTypeE1ELb0ELi512EEEvPfS2_PT_PKS3_PKT0_S9_ifPKiSB_iPKfiiiSD_SD_iiiii.uses_flat_scratch, 0
	.set .L_ZN4vllm22paged_attention_kernelIfhLi120ELi32ELi128ELNS_18Fp8KVCacheDataTypeE1ELb0ELi512EEEvPfS2_PT_PKS3_PKT0_S9_ifPKiSB_iPKfiiiSD_SD_iiiii.has_dyn_sized_stack, 0
	.set .L_ZN4vllm22paged_attention_kernelIfhLi120ELi32ELi128ELNS_18Fp8KVCacheDataTypeE1ELb0ELi512EEEvPfS2_PT_PKS3_PKT0_S9_ifPKiSB_iPKfiiiSD_SD_iiiii.has_recursion, 0
	.set .L_ZN4vllm22paged_attention_kernelIfhLi120ELi32ELi128ELNS_18Fp8KVCacheDataTypeE1ELb0ELi512EEEvPfS2_PT_PKS3_PKT0_S9_ifPKiSB_iPKfiiiSD_SD_iiiii.has_indirect_call, 0
	.section	.AMDGPU.csdata,"",@progbits
; Function info:
; codeLenInByte = 74292
; TotalNumSgprs: 35
; NumVgprs: 128
; ScratchSize: 1392
; MemoryBound: 0
	.section	.text._ZN4vllm25paged_attention_v2_kernelIfhLi120ELi32ELi128ELNS_18Fp8KVCacheDataTypeE1ELb0ELi512EEEvPfS2_PT_PKS3_PKT0_S9_ifPKiSB_iPKfiiiSD_SD_iiiii,"axG",@progbits,_ZN4vllm25paged_attention_v2_kernelIfhLi120ELi32ELi128ELNS_18Fp8KVCacheDataTypeE1ELb0ELi512EEEvPfS2_PT_PKS3_PKT0_S9_ifPKiSB_iPKfiiiSD_SD_iiiii,comdat
	.protected	_ZN4vllm25paged_attention_v2_kernelIfhLi120ELi32ELi128ELNS_18Fp8KVCacheDataTypeE1ELb0ELi512EEEvPfS2_PT_PKS3_PKT0_S9_ifPKiSB_iPKfiiiSD_SD_iiiii ; -- Begin function _ZN4vllm25paged_attention_v2_kernelIfhLi120ELi32ELi128ELNS_18Fp8KVCacheDataTypeE1ELb0ELi512EEEvPfS2_PT_PKS3_PKT0_S9_ifPKiSB_iPKfiiiSD_SD_iiiii
	.globl	_ZN4vllm25paged_attention_v2_kernelIfhLi120ELi32ELi128ELNS_18Fp8KVCacheDataTypeE1ELb0ELi512EEEvPfS2_PT_PKS3_PKT0_S9_ifPKiSB_iPKfiiiSD_SD_iiiii
	.p2align	8
	.type	_ZN4vllm25paged_attention_v2_kernelIfhLi120ELi32ELi128ELNS_18Fp8KVCacheDataTypeE1ELb0ELi512EEEvPfS2_PT_PKS3_PKT0_S9_ifPKiSB_iPKfiiiSD_SD_iiiii,@function
_ZN4vllm25paged_attention_v2_kernelIfhLi120ELi32ELi128ELNS_18Fp8KVCacheDataTypeE1ELb0ELi512EEEvPfS2_PT_PKS3_PKT0_S9_ifPKiSB_iPKfiiiSD_SD_iiiii: ; @_ZN4vllm25paged_attention_v2_kernelIfhLi120ELi32ELi128ELNS_18Fp8KVCacheDataTypeE1ELb0ELi512EEEvPfS2_PT_PKS3_PKT0_S9_ifPKiSB_iPKfiiiSD_SD_iiiii
; %bb.0:
	s_clause 0x5
	s_load_dwordx8 s[24:31], s[4:5], 0x0
	s_load_dwordx8 s[16:23], s[4:5], 0x20
	s_load_dwordx2 s[10:11], s[4:5], 0x40
	s_load_dwordx2 s[34:35], s[4:5], 0x50
	s_load_dword s13, s[4:5], 0x48
	s_load_dwordx8 s[36:43], s[4:5], 0x58
	s_add_u32 s0, s0, s9
	s_addc_u32 s1, s1, 0
	v_mov_b32_e32 v31, v0
	s_mov_b32 s14, s8
	s_add_u32 s8, s4, 0x90
	s_addc_u32 s9, s5, 0
	s_getpc_b64 s[4:5]
	s_add_u32 s4, s4, _ZN4vllm22paged_attention_kernelIfhLi120ELi32ELi128ELNS_18Fp8KVCacheDataTypeE1ELb0ELi512EEEvPfS2_PT_PKS3_PKT0_S9_ifPKiSB_iPKfiiiSD_SD_iiiii@rel32@lo+4
	s_addc_u32 s5, s5, _ZN4vllm22paged_attention_kernelIfhLi120ELi32ELi128ELNS_18Fp8KVCacheDataTypeE1ELb0ELi512EEEvPfS2_PT_PKS3_PKT0_S9_ifPKiSB_iPKfiiiSD_SD_iiiii@rel32@hi+12
	s_mov_b32 s12, s6
	s_mov_b32 s15, 18
	;; [unrolled: 1-line block ×3, first 2 shown]
	s_waitcnt lgkmcnt(0)
	v_mov_b32_e32 v0, s24
	v_mov_b32_e32 v1, s25
	;; [unrolled: 1-line block ×28, first 2 shown]
	s_mov_b32 s13, s7
	s_swappc_b64 s[30:31], s[4:5]
	s_endpgm
	.section	.rodata,"a",@progbits
	.p2align	6, 0x0
	.amdhsa_kernel _ZN4vllm25paged_attention_v2_kernelIfhLi120ELi32ELi128ELNS_18Fp8KVCacheDataTypeE1ELb0ELi512EEEvPfS2_PT_PKS3_PKT0_S9_ifPKiSB_iPKfiiiSD_SD_iiiii
		.amdhsa_group_segment_fixed_size 512
		.amdhsa_private_segment_fixed_size 1392
		.amdhsa_kernarg_size 400
		.amdhsa_user_sgpr_count 6
		.amdhsa_user_sgpr_private_segment_buffer 1
		.amdhsa_user_sgpr_dispatch_ptr 0
		.amdhsa_user_sgpr_queue_ptr 0
		.amdhsa_user_sgpr_kernarg_segment_ptr 1
		.amdhsa_user_sgpr_dispatch_id 0
		.amdhsa_user_sgpr_flat_scratch_init 0
		.amdhsa_user_sgpr_private_segment_size 0
		.amdhsa_wavefront_size32 1
		.amdhsa_uses_dynamic_stack 0
		.amdhsa_system_sgpr_private_segment_wavefront_offset 1
		.amdhsa_system_sgpr_workgroup_id_x 1
		.amdhsa_system_sgpr_workgroup_id_y 1
		.amdhsa_system_sgpr_workgroup_id_z 1
		.amdhsa_system_sgpr_workgroup_info 0
		.amdhsa_system_vgpr_workitem_id 0
		.amdhsa_next_free_vgpr 128
		.amdhsa_next_free_sgpr 44
		.amdhsa_reserve_vcc 1
		.amdhsa_reserve_flat_scratch 0
		.amdhsa_float_round_mode_32 0
		.amdhsa_float_round_mode_16_64 0
		.amdhsa_float_denorm_mode_32 3
		.amdhsa_float_denorm_mode_16_64 3
		.amdhsa_dx10_clamp 1
		.amdhsa_ieee_mode 1
		.amdhsa_fp16_overflow 0
		.amdhsa_workgroup_processor_mode 1
		.amdhsa_memory_ordered 1
		.amdhsa_forward_progress 1
		.amdhsa_shared_vgpr_count 0
		.amdhsa_exception_fp_ieee_invalid_op 0
		.amdhsa_exception_fp_denorm_src 0
		.amdhsa_exception_fp_ieee_div_zero 0
		.amdhsa_exception_fp_ieee_overflow 0
		.amdhsa_exception_fp_ieee_underflow 0
		.amdhsa_exception_fp_ieee_inexact 0
		.amdhsa_exception_int_div_zero 0
	.end_amdhsa_kernel
	.section	.text._ZN4vllm25paged_attention_v2_kernelIfhLi120ELi32ELi128ELNS_18Fp8KVCacheDataTypeE1ELb0ELi512EEEvPfS2_PT_PKS3_PKT0_S9_ifPKiSB_iPKfiiiSD_SD_iiiii,"axG",@progbits,_ZN4vllm25paged_attention_v2_kernelIfhLi120ELi32ELi128ELNS_18Fp8KVCacheDataTypeE1ELb0ELi512EEEvPfS2_PT_PKS3_PKT0_S9_ifPKiSB_iPKfiiiSD_SD_iiiii,comdat
.Lfunc_end254:
	.size	_ZN4vllm25paged_attention_v2_kernelIfhLi120ELi32ELi128ELNS_18Fp8KVCacheDataTypeE1ELb0ELi512EEEvPfS2_PT_PKS3_PKT0_S9_ifPKiSB_iPKfiiiSD_SD_iiiii, .Lfunc_end254-_ZN4vllm25paged_attention_v2_kernelIfhLi120ELi32ELi128ELNS_18Fp8KVCacheDataTypeE1ELb0ELi512EEEvPfS2_PT_PKS3_PKT0_S9_ifPKiSB_iPKfiiiSD_SD_iiiii
                                        ; -- End function
	.set _ZN4vllm25paged_attention_v2_kernelIfhLi120ELi32ELi128ELNS_18Fp8KVCacheDataTypeE1ELb0ELi512EEEvPfS2_PT_PKS3_PKT0_S9_ifPKiSB_iPKfiiiSD_SD_iiiii.num_vgpr, max(32, .L_ZN4vllm22paged_attention_kernelIfhLi120ELi32ELi128ELNS_18Fp8KVCacheDataTypeE1ELb0ELi512EEEvPfS2_PT_PKS3_PKT0_S9_ifPKiSB_iPKfiiiSD_SD_iiiii.num_vgpr)
	.set _ZN4vllm25paged_attention_v2_kernelIfhLi120ELi32ELi128ELNS_18Fp8KVCacheDataTypeE1ELb0ELi512EEEvPfS2_PT_PKS3_PKT0_S9_ifPKiSB_iPKfiiiSD_SD_iiiii.num_agpr, max(0, .L_ZN4vllm22paged_attention_kernelIfhLi120ELi32ELi128ELNS_18Fp8KVCacheDataTypeE1ELb0ELi512EEEvPfS2_PT_PKS3_PKT0_S9_ifPKiSB_iPKfiiiSD_SD_iiiii.num_agpr)
	.set _ZN4vllm25paged_attention_v2_kernelIfhLi120ELi32ELi128ELNS_18Fp8KVCacheDataTypeE1ELb0ELi512EEEvPfS2_PT_PKS3_PKT0_S9_ifPKiSB_iPKfiiiSD_SD_iiiii.numbered_sgpr, max(44, .L_ZN4vllm22paged_attention_kernelIfhLi120ELi32ELi128ELNS_18Fp8KVCacheDataTypeE1ELb0ELi512EEEvPfS2_PT_PKS3_PKT0_S9_ifPKiSB_iPKfiiiSD_SD_iiiii.numbered_sgpr)
	.set _ZN4vllm25paged_attention_v2_kernelIfhLi120ELi32ELi128ELNS_18Fp8KVCacheDataTypeE1ELb0ELi512EEEvPfS2_PT_PKS3_PKT0_S9_ifPKiSB_iPKfiiiSD_SD_iiiii.num_named_barrier, max(0, .L_ZN4vllm22paged_attention_kernelIfhLi120ELi32ELi128ELNS_18Fp8KVCacheDataTypeE1ELb0ELi512EEEvPfS2_PT_PKS3_PKT0_S9_ifPKiSB_iPKfiiiSD_SD_iiiii.num_named_barrier)
	.set _ZN4vllm25paged_attention_v2_kernelIfhLi120ELi32ELi128ELNS_18Fp8KVCacheDataTypeE1ELb0ELi512EEEvPfS2_PT_PKS3_PKT0_S9_ifPKiSB_iPKfiiiSD_SD_iiiii.private_seg_size, 0+max(.L_ZN4vllm22paged_attention_kernelIfhLi120ELi32ELi128ELNS_18Fp8KVCacheDataTypeE1ELb0ELi512EEEvPfS2_PT_PKS3_PKT0_S9_ifPKiSB_iPKfiiiSD_SD_iiiii.private_seg_size)
	.set _ZN4vllm25paged_attention_v2_kernelIfhLi120ELi32ELi128ELNS_18Fp8KVCacheDataTypeE1ELb0ELi512EEEvPfS2_PT_PKS3_PKT0_S9_ifPKiSB_iPKfiiiSD_SD_iiiii.uses_vcc, or(1, .L_ZN4vllm22paged_attention_kernelIfhLi120ELi32ELi128ELNS_18Fp8KVCacheDataTypeE1ELb0ELi512EEEvPfS2_PT_PKS3_PKT0_S9_ifPKiSB_iPKfiiiSD_SD_iiiii.uses_vcc)
	.set _ZN4vllm25paged_attention_v2_kernelIfhLi120ELi32ELi128ELNS_18Fp8KVCacheDataTypeE1ELb0ELi512EEEvPfS2_PT_PKS3_PKT0_S9_ifPKiSB_iPKfiiiSD_SD_iiiii.uses_flat_scratch, or(0, .L_ZN4vllm22paged_attention_kernelIfhLi120ELi32ELi128ELNS_18Fp8KVCacheDataTypeE1ELb0ELi512EEEvPfS2_PT_PKS3_PKT0_S9_ifPKiSB_iPKfiiiSD_SD_iiiii.uses_flat_scratch)
	.set _ZN4vllm25paged_attention_v2_kernelIfhLi120ELi32ELi128ELNS_18Fp8KVCacheDataTypeE1ELb0ELi512EEEvPfS2_PT_PKS3_PKT0_S9_ifPKiSB_iPKfiiiSD_SD_iiiii.has_dyn_sized_stack, or(0, .L_ZN4vllm22paged_attention_kernelIfhLi120ELi32ELi128ELNS_18Fp8KVCacheDataTypeE1ELb0ELi512EEEvPfS2_PT_PKS3_PKT0_S9_ifPKiSB_iPKfiiiSD_SD_iiiii.has_dyn_sized_stack)
	.set _ZN4vllm25paged_attention_v2_kernelIfhLi120ELi32ELi128ELNS_18Fp8KVCacheDataTypeE1ELb0ELi512EEEvPfS2_PT_PKS3_PKT0_S9_ifPKiSB_iPKfiiiSD_SD_iiiii.has_recursion, or(0, .L_ZN4vllm22paged_attention_kernelIfhLi120ELi32ELi128ELNS_18Fp8KVCacheDataTypeE1ELb0ELi512EEEvPfS2_PT_PKS3_PKT0_S9_ifPKiSB_iPKfiiiSD_SD_iiiii.has_recursion)
	.set _ZN4vllm25paged_attention_v2_kernelIfhLi120ELi32ELi128ELNS_18Fp8KVCacheDataTypeE1ELb0ELi512EEEvPfS2_PT_PKS3_PKT0_S9_ifPKiSB_iPKfiiiSD_SD_iiiii.has_indirect_call, or(0, .L_ZN4vllm22paged_attention_kernelIfhLi120ELi32ELi128ELNS_18Fp8KVCacheDataTypeE1ELb0ELi512EEEvPfS2_PT_PKS3_PKT0_S9_ifPKiSB_iPKfiiiSD_SD_iiiii.has_indirect_call)
	.section	.AMDGPU.csdata,"",@progbits
; Kernel info:
; codeLenInByte = 240
; TotalNumSgprs: 46
; NumVgprs: 128
; ScratchSize: 1392
; MemoryBound: 0
; FloatMode: 240
; IeeeMode: 1
; LDSByteSize: 512 bytes/workgroup (compile time only)
; SGPRBlocks: 0
; VGPRBlocks: 15
; NumSGPRsForWavesPerEU: 46
; NumVGPRsForWavesPerEU: 128
; Occupancy: 8
; WaveLimiterHint : 1
; COMPUTE_PGM_RSRC2:SCRATCH_EN: 1
; COMPUTE_PGM_RSRC2:USER_SGPR: 6
; COMPUTE_PGM_RSRC2:TRAP_HANDLER: 0
; COMPUTE_PGM_RSRC2:TGID_X_EN: 1
; COMPUTE_PGM_RSRC2:TGID_Y_EN: 1
; COMPUTE_PGM_RSRC2:TGID_Z_EN: 1
; COMPUTE_PGM_RSRC2:TIDIG_COMP_CNT: 0
	.text
	.p2align	2                               ; -- Begin function _ZN4vllm22paged_attention_kernelIfhLi128ELi32ELi128ELNS_18Fp8KVCacheDataTypeE1ELb0ELi512EEEvPfS2_PT_PKS3_PKT0_S9_ifPKiSB_iPKfiiiSD_SD_iiiii
	.type	_ZN4vllm22paged_attention_kernelIfhLi128ELi32ELi128ELNS_18Fp8KVCacheDataTypeE1ELb0ELi512EEEvPfS2_PT_PKS3_PKT0_S9_ifPKiSB_iPKfiiiSD_SD_iiiii,@function
_ZN4vllm22paged_attention_kernelIfhLi128ELi32ELi128ELNS_18Fp8KVCacheDataTypeE1ELb0ELi512EEEvPfS2_PT_PKS3_PKT0_S9_ifPKiSB_iPKfiiiSD_SD_iiiii: ; @_ZN4vllm22paged_attention_kernelIfhLi128ELi32ELi128ELNS_18Fp8KVCacheDataTypeE1ELb0ELi512EEEvPfS2_PT_PKS3_PKT0_S9_ifPKiSB_iPKfiiiSD_SD_iiiii
; %bb.0:
	s_waitcnt vmcnt(0) expcnt(0) lgkmcnt(0)
	buffer_store_dword v40, off, s[0:3], s32 offset:188 ; 4-byte Folded Spill
	buffer_store_dword v41, off, s[0:3], s32 offset:184 ; 4-byte Folded Spill
	;; [unrolled: 1-line block ×47, first 2 shown]
	buffer_store_dword v127, off, s[0:3], s32 ; 4-byte Folded Spill
	s_mov_b32 s18, s13
	s_ashr_i32 s19, s13, 31
	buffer_store_dword v26, off, s[0:3], s32 offset:1444 ; 4-byte Folded Spill
	buffer_store_dword v27, off, s[0:3], s32 offset:1448 ; 4-byte Folded Spill
	;; [unrolled: 1-line block ×12, first 2 shown]
	s_lshl_b64 s[4:5], s[18:19], 2
	v_mov_b32_e32 v14, v0
	v_add_co_u32 v0, vcc_lo, v16, s4
	v_mov_b32_e32 v13, v1
	v_add_co_ci_u32_e64 v1, null, s5, v17, vcc_lo
	v_mov_b32_e32 v15, v3
	v_mov_b32_e32 v22, v2
	s_lshl_b32 s20, s14, 9
	flat_load_dword v82, v[0:1]
	s_mov_b32 s19, exec_lo
	s_waitcnt vmcnt(0) lgkmcnt(0)
	v_cmpx_lt_i32_e64 s20, v82
	s_cbranch_execz .LBB255_2220
; %bb.1:
	v_sub_nc_u32_e32 v0, 0, v12
	s_clause 0x1
	s_load_dword s4, s[8:9], 0x10
	s_load_dword s5, s[8:9], 0x0
	s_mov_b32 s16, s15
	v_max_i32_e32 v0, v12, v0
	v_cvt_f32_u32_e32 v1, v0
	v_sub_nc_u32_e32 v2, 0, v0
	v_rcp_iflag_f32_e32 v1, v1
	s_waitcnt lgkmcnt(0)
	s_lshr_b32 s4, s4, 16
	s_cmp_lg_u32 s4, 0
	s_cselect_b32 s4, -1, 0
	v_mul_f32_e32 v1, 0x4f7ffffe, v1
	s_cmp_lg_u32 s4, 0
	s_addc_u32 s15, s5, 0
	s_mov_b32 s5, exec_lo
	v_cvt_u32_f32_e32 v1, v1
	s_abs_i32 s4, s15
	v_mul_lo_u32 v2, v2, v1
	v_mul_hi_u32 v2, v1, v2
	v_add_nc_u32_e32 v1, v1, v2
	v_mul_hi_u32 v1, s4, v1
	v_mul_lo_u32 v2, v1, v0
	v_add_nc_u32_e32 v3, 1, v1
	v_sub_nc_u32_e32 v2, s4, v2
	s_abs_i32 s4, s12
	v_sub_nc_u32_e32 v4, v2, v0
	v_cmp_ge_u32_e32 vcc_lo, v2, v0
	v_cndmask_b32_e32 v1, v1, v3, vcc_lo
	v_cndmask_b32_e32 v2, v2, v4, vcc_lo
	v_xor_b32_e32 v3, s15, v12
	v_add_nc_u32_e32 v4, 1, v1
	v_cmp_ge_u32_e32 vcc_lo, v2, v0
	v_ashrrev_i32_e32 v3, 31, v3
	v_cndmask_b32_e32 v0, v1, v4, vcc_lo
	v_xor_b32_e32 v0, v0, v3
	v_sub_nc_u32_e32 v3, v0, v3
	v_sub_nc_u32_e32 v0, 0, v3
	v_max_i32_e32 v2, v3, v0
	v_cvt_f32_u32_e32 v0, v2
	v_sub_nc_u32_e32 v1, 0, v2
	v_rcp_iflag_f32_e32 v0, v0
	v_mul_f32_e32 v0, 0x4f7ffffe, v0
	v_cvt_u32_f32_e32 v0, v0
	v_mul_lo_u32 v1, v1, v0
	v_mul_hi_u32 v1, v0, v1
	v_add_nc_u32_e32 v0, v0, v1
	v_mad_u64_u32 v[0:1], null, s4, v0, 0
	v_mov_b32_e32 v0, 0
	buffer_store_dword v0, off, s[0:3], s32 offset:892 ; 4-byte Folded Spill
	v_cmpx_ne_u64_e32 0, v[19:20]
	s_cbranch_execz .LBB255_3
; %bb.2:
	s_ashr_i32 s13, s12, 31
	s_lshl_b64 s[6:7], s[12:13], 2
	v_add_co_u32 v4, vcc_lo, v19, s6
	v_add_co_ci_u32_e64 v5, null, s7, v20, vcc_lo
	flat_load_dword v0, v[4:5]
	s_waitcnt vmcnt(0) lgkmcnt(0)
	buffer_store_dword v0, off, s[0:3], s32 offset:892 ; 4-byte Folded Spill
.LBB255_3:
	s_or_b32 exec_lo, exec_lo, s5
	v_and_b32_e32 v11, 0x3ff, v31
	v_ashrrev_i32_e32 v0, 31, v3
	s_ashr_i32 s5, s12, 31
	s_lshl_b32 s10, s12, 7
	s_mov_b32 s6, exec_lo
	v_cmpx_gt_u32_e32 32, v11
	s_cbranch_execz .LBB255_5
; %bb.4:
	v_mul_lo_u32 v3, v21, s18
	s_ashr_i32 s11, s10, 31
	v_lshlrev_b32_e32 v10, 4, v11
	s_lshl_b64 s[22:23], s[10:11], 2
	v_ashrrev_i32_e32 v4, 31, v3
	v_lshlrev_b64 v[3:4], 2, v[3:4]
	v_add_co_u32 v3, vcc_lo, v6, v3
	v_add_co_ci_u32_e64 v4, null, v7, v4, vcc_lo
	v_add_co_u32 v3, vcc_lo, v3, s22
	v_add_co_ci_u32_e64 v4, null, s23, v4, vcc_lo
	;; [unrolled: 2-line block ×3, first 2 shown]
	flat_load_dwordx4 v[3:6], v[3:4]
	s_waitcnt vmcnt(0) lgkmcnt(0)
	ds_write_b128 v10, v[3:6]
.LBB255_5:
	s_or_b32 exec_lo, exec_lo, s6
	v_mul_lo_u32 v3, v1, v2
	v_add_nc_u32_e32 v4, 1, v1
	v_add_nc_u32_e32 v5, 31, v82
	v_xor_b32_e32 v7, s5, v0
	v_mul_lo_u32 v0, v18, s18
	s_lshl_b32 s6, s14, 4
	s_clause 0x1
	s_load_dword s7, s[8:9], 0x14
	s_load_dword s8, s[8:9], 0x8
	v_mov_b32_e32 v27, 0xff7fffff
	v_sub_nc_u32_e32 v3, s4, v3
	s_add_i32 s4, s6, 16
	v_sub_nc_u32_e32 v6, v3, v2
	v_cmp_ge_u32_e32 vcc_lo, v3, v2
	v_cndmask_b32_e32 v1, v1, v4, vcc_lo
	v_cndmask_b32_e32 v3, v3, v6, vcc_lo
	v_ashrrev_i32_e32 v4, 31, v5
	v_add_nc_u32_e32 v6, 1, v1
	v_cmp_ge_u32_e32 vcc_lo, v3, v2
	v_lshrrev_b32_e32 v4, 27, v4
	v_cndmask_b32_e32 v1, v1, v6, vcc_lo
	v_add_nc_u32_e32 v2, v5, v4
	v_lshrrev_b32_e32 v4, 5, v11
	v_xor_b32_e32 v1, v1, v7
	v_ashrrev_i32_e32 v10, 5, v2
	buffer_store_dword v4, off, s[0:3], s32 offset:1424 ; 4-byte Folded Spill
	v_add_nc_u32_e32 v4, s6, v4
	v_and_b32_e32 v2, 31, v11
	v_sub_nc_u32_e32 v3, v1, v7
	v_ashrrev_i32_e32 v1, 31, v0
	v_ashrrev_i32_e32 v5, 31, v4
	v_lshlrev_b32_e32 v17, 2, v2
	v_mul_lo_u32 v12, v3, v23
	v_lshlrev_b64 v[0:1], 2, v[0:1]
	v_min_i32_e32 v3, s4, v10
	buffer_store_dword v0, off, s[0:3], s32 offset:1460 ; 4-byte Folded Spill
	buffer_store_dword v1, off, s[0:3], s32 offset:1464 ; 4-byte Folded Spill
	v_cmp_ge_i32_e64 s4, v4, v3
	buffer_store_dword v4, off, s[0:3], s32 offset:192 ; 4-byte Folded Spill
	buffer_store_dword v5, off, s[0:3], s32 offset:196 ; 4-byte Folded Spill
	;; [unrolled: 1-line block ×3, first 2 shown]
	v_ashrrev_i32_e32 v16, 31, v12
	buffer_store_dword v2, off, s[0:3], s32 offset:1416 ; 4-byte Folded Spill
	s_waitcnt lgkmcnt(0)
	s_waitcnt_vscnt null, 0x0
	s_barrier
	buffer_gl0_inv
	v_cmp_lt_i32_e32 vcc_lo, v4, v3
	s_mov_b32 s9, exec_lo
	s_and_b32 s5, s9, vcc_lo
	buffer_store_dword v11, off, s[0:3], s32 offset:1420 ; 4-byte Folded Spill
	s_mov_b32 exec_lo, s5
	s_cbranch_execz .LBB255_1033
; %bb.6:
	buffer_store_dword v10, off, s[0:3], s32 offset:1484 ; 4-byte Folded Spill
	buffer_store_dword v22, off, s[0:3], s32 offset:1480 ; 4-byte Folded Spill
	;; [unrolled: 1-line block ×6, first 2 shown]
	buffer_load_dword v3, off, s[0:3], s32 offset:1416 ; 4-byte Folded Reload
	v_add_co_u32 v0, vcc_lo, v8, v12
	v_add_co_ci_u32_e64 v1, null, v9, v16, vcc_lo
	buffer_store_dword v16, off, s[0:3], s32 offset:1492 ; 4-byte Folded Spill
	v_mov_b32_e32 v16, 0
	s_ashr_i32 s17, s16, 31
	v_mov_b32_e32 v27, 0xff7fffff
	s_lshl_b64 s[22:23], s[16:17], 2
	s_getpc_b64 s[24:25]
	s_add_u32 s24, s24, llvm.amdgcn.dynlds.offset.table@rel32@lo+4
	s_addc_u32 s25, s25, llvm.amdgcn.dynlds.offset.table@rel32@hi+12
	s_add_u32 s22, s24, s22
	s_addc_u32 s23, s25, s23
	v_bfrev_b32_e32 v51, 1
	v_mov_b32_e32 v71, 0x7f800001
	s_mov_b32 s11, 0
	s_waitcnt vmcnt(0)
	v_lshlrev_b32_e32 v2, 4, v3
	v_add_co_u32 v0, vcc_lo, v0, v2
	v_add_co_ci_u32_e64 v1, null, 0, v1, vcc_lo
	buffer_store_dword v0, off, s[0:3], s32 offset:896 ; 4-byte Folded Spill
	buffer_store_dword v1, off, s[0:3], s32 offset:900 ; 4-byte Folded Spill
	ds_read_b128 v[4:7], v16
	s_waitcnt lgkmcnt(0)
	buffer_store_dword v4, off, s[0:3], s32 offset:904 ; 4-byte Folded Spill
	buffer_store_dword v5, off, s[0:3], s32 offset:908 ; 4-byte Folded Spill
	buffer_store_dword v6, off, s[0:3], s32 offset:912 ; 4-byte Folded Spill
	buffer_store_dword v7, off, s[0:3], s32 offset:916 ; 4-byte Folded Spill
	ds_read_b128 v[4:7], v16 offset:16
	s_waitcnt lgkmcnt(0)
	buffer_store_dword v4, off, s[0:3], s32 offset:920 ; 4-byte Folded Spill
	buffer_store_dword v5, off, s[0:3], s32 offset:924 ; 4-byte Folded Spill
	buffer_store_dword v6, off, s[0:3], s32 offset:928 ; 4-byte Folded Spill
	buffer_store_dword v7, off, s[0:3], s32 offset:932 ; 4-byte Folded Spill
	ds_read_b128 v[4:7], v16 offset:32
	;; [unrolled: 6-line block ×25, first 2 shown]
	buffer_load_dword v0, off, s[0:3], s32 offset:892 ; 4-byte Folded Reload
	s_waitcnt lgkmcnt(0)
	buffer_store_dword v4, off, s[0:3], s32 offset:1304 ; 4-byte Folded Spill
	buffer_store_dword v5, off, s[0:3], s32 offset:1308 ; 4-byte Folded Spill
	buffer_store_dword v6, off, s[0:3], s32 offset:1312 ; 4-byte Folded Spill
	buffer_store_dword v7, off, s[0:3], s32 offset:1316 ; 4-byte Folded Spill
	ds_read_b128 v[4:7], v16 offset:416
	s_waitcnt lgkmcnt(0)
	buffer_store_dword v4, off, s[0:3], s32 offset:1320 ; 4-byte Folded Spill
	buffer_store_dword v5, off, s[0:3], s32 offset:1324 ; 4-byte Folded Spill
	buffer_store_dword v6, off, s[0:3], s32 offset:1328 ; 4-byte Folded Spill
	buffer_store_dword v7, off, s[0:3], s32 offset:1332 ; 4-byte Folded Spill
	ds_read_b128 v[4:7], v16 offset:432
	;; [unrolled: 6-line block ×6, first 2 shown]
	s_waitcnt lgkmcnt(0)
	buffer_store_dword v4, off, s[0:3], s32 offset:1400 ; 4-byte Folded Spill
	buffer_store_dword v5, off, s[0:3], s32 offset:1404 ; 4-byte Folded Spill
	;; [unrolled: 1-line block ×4, first 2 shown]
	s_load_dword s13, s[22:23], 0x0
	s_clause 0x1
	buffer_load_dword v4, off, s[0:3], s32 offset:192
	buffer_load_dword v5, off, s[0:3], s32 offset:196
	s_waitcnt vmcnt(2)
	v_cmp_neq_f32_e32 vcc_lo, 0, v0
	s_waitcnt vmcnt(1)
	v_mov_b32_e32 v69, v4
	s_waitcnt vmcnt(0)
	v_lshlrev_b64 v[0:1], 2, v[4:5]
	s_clause 0x2
	buffer_load_dword v5, off, s[0:3], s32 offset:1460
	buffer_load_dword v6, off, s[0:3], s32 offset:1464
	buffer_load_dword v2, off, s[0:3], s32 offset:1432
	buffer_store_dword v17, off, s[0:3], s32 offset:1496 ; 4-byte Folded Spill
	s_waitcnt vmcnt(2)
	v_add_co_u32 v0, s5, v5, v0
	s_waitcnt vmcnt(1)
	v_add_co_ci_u32_e64 v1, null, v6, v1, s5
	s_waitcnt vmcnt(0)
	v_add_co_u32 v5, s5, v2, v0
	buffer_load_dword v0, off, s[0:3], s32 offset:1428 ; 4-byte Folded Reload
	s_waitcnt vmcnt(0)
	v_add_co_ci_u32_e64 v6, null, v0, v1, s5
	buffer_load_dword v1, off, s[0:3], s32 offset:1424 ; 4-byte Folded Reload
	s_waitcnt vmcnt(0)
	v_lshlrev_b32_e32 v0, 5, v1
	v_add3_u32 v70, s20, v0, v3
	v_lshl_or_b32 v0, v1, 7, v17
	s_waitcnt lgkmcnt(0)
	v_add_nc_u32_e32 v68, s13, v0
	s_branch .LBB255_11
.LBB255_7:                              ;   in Loop: Header=BB255_11 Depth=1
	s_or_b32 exec_lo, exec_lo, s22
	v_mov_b32_e32 v27, 24
	v_lshlrev_b32_e32 v15, 20, v15
	v_lshl_add_u32 v36, v36, 23, 0x3c000000
	v_lshlrev_b32_sdwa v37, v27, v52 dst_sel:DWORD dst_unused:UNUSED_PAD src0_sel:DWORD src1_sel:BYTE_3
	v_and_b32_e32 v37, 0x80000000, v37
	v_or3_b32 v37, v15, v37, v36
	v_mov_b32_e32 v36, v16
.LBB255_8:                              ;   in Loop: Header=BB255_11 Depth=1
	s_or_b32 exec_lo, exec_lo, s21
.LBB255_9:                              ;   in Loop: Header=BB255_11 Depth=1
	s_or_b32 exec_lo, exec_lo, s17
	v_mov_b32_e32 v70, v14
	v_mov_b32_e32 v68, v53
	;; [unrolled: 1-line block ×3, first 2 shown]
.LBB255_10:                             ;   in Loop: Header=BB255_11 Depth=1
	s_or_b32 exec_lo, exec_lo, s13
	v_or_b32_e32 v15, v49, v55
	v_or_b32_e32 v48, v48, v54
	;; [unrolled: 1-line block ×5, first 2 shown]
	v_mul_f32_e32 v14, v67, v15
	v_or_b32_e32 v38, v25, v38
	v_or_b32_e32 v5, v5, v65
	v_or_b32_e32 v13, v13, v24
	v_or_b32_e32 v23, v12, v23
	buffer_store_dword v14, off, s[0:3], s32 offset:804 ; 4-byte Folded Spill
	v_mul_f32_e32 v14, v67, v48
	v_or_b32_e32 v1, v33, v1
	v_or_b32_e32 v9, v9, v11
	v_or_b32_e32 v10, v8, v10
	v_or_b32_e32 v3, v3, v20
	buffer_store_dword v14, off, s[0:3], s32 offset:812 ; 4-byte Folded Spill
	;; [unrolled: 6-line block ×3, first 2 shown]
	v_mul_f32_e32 v14, v67, v49
	v_mul_f32_e32 v54, v67, v52
	v_or_b32_e32 v52, v59, v61
	v_or_b32_e32 v7, v123, v7
	v_mul_f32_e32 v25, v67, v11
	buffer_store_dword v14, off, s[0:3], s32 offset:816 ; 4-byte Folded Spill
	v_mul_f32_e32 v14, v67, v26
	v_mul_f32_e32 v55, v67, v52
	v_or_b32_e32 v52, v63, v18
	v_mul_f32_e32 v48, v67, v7
	v_or_b32_e32 v7, v22, v125
	buffer_store_dword v14, off, s[0:3], s32 offset:820 ; 4-byte Folded Spill
	v_mul_f32_e32 v14, v67, v38
	v_or_b32_e32 v38, v4, v64
	v_mul_f32_e32 v4, v67, v5
	v_mul_f32_e32 v64, v67, v53
	v_or_b32_e32 v53, v58, v60
	buffer_store_dword v14, off, s[0:3], s32 offset:828 ; 4-byte Folded Spill
	v_mul_f32_e32 v15, v67, v52
	buffer_store_dword v4, off, s[0:3], s32 offset:824 ; 4-byte Folded Spill
	v_mul_f32_e32 v4, v67, v38
	v_mul_f32_e32 v65, v67, v53
	v_or_b32_e32 v53, v62, v17
	v_or_b32_e32 v52, v43, v45
	v_mul_f32_e32 v28, v67, v7
	buffer_store_dword v4, off, s[0:3], s32 offset:832 ; 4-byte Folded Spill
	v_mul_f32_e32 v4, v67, v13
	v_mul_f32_e32 v81, v67, v53
	v_or_b32_e32 v53, v42, v44
	v_mul_f32_e32 v80, v67, v52
	v_or_b32_e32 v52, v47, v87
	buffer_store_dword v4, off, s[0:3], s32 offset:836 ; 4-byte Folded Spill
	v_mul_f32_e32 v4, v67, v23
	v_or_b32_e32 v23, v32, v0
	v_mul_f32_e32 v0, v67, v1
	v_mul_f32_e32 v13, v67, v53
	v_or_b32_e32 v53, v46, v86
	buffer_store_dword v4, off, s[0:3], s32 offset:844 ; 4-byte Folded Spill
	v_mul_f32_e32 v12, v67, v52
	buffer_store_dword v0, off, s[0:3], s32 offset:840 ; 4-byte Folded Spill
	v_mul_f32_e32 v0, v67, v23
	v_or_b32_e32 v52, v99, v57
	v_or_b32_e32 v39, v94, v88
	;; [unrolled: 1-line block ×4, first 2 shown]
	buffer_store_dword v0, off, s[0:3], s32 offset:848 ; 4-byte Folded Spill
	v_mul_f32_e32 v0, v67, v9
	v_mul_f32_e32 v11, v67, v52
	v_or_b32_e32 v52, v119, v101
	v_mul_f32_e32 v49, v67, v39
	v_or_b32_e32 v39, v75, v77
	buffer_store_dword v0, off, s[0:3], s32 offset:852 ; 4-byte Folded Spill
	v_mul_f32_e32 v0, v67, v10
	v_or_b32_e32 v10, v2, v19
	v_or_b32_e32 v19, v107, v121
	v_mul_f32_e32 v8, v67, v52
	v_or_b32_e32 v52, v85, v41
	buffer_store_dword v0, off, s[0:3], s32 offset:860 ; 4-byte Folded Spill
	v_mul_f32_e32 v0, v67, v3
	v_or_b32_e32 v23, v91, v105
	;; [unrolled: 6-line block ×3, first 2 shown]
	v_mul_f32_e32 v32, v67, v24
	v_or_b32_e32 v24, v111, v93
	v_or_b32_e32 v22, v126, v108
	buffer_store_dword v0, off, s[0:3], s32 offset:864 ; 4-byte Folded Spill
	v_mul_f32_e32 v0, v67, v19
	v_mul_f32_e32 v26, v67, v10
	;; [unrolled: 1-line block ×3, first 2 shown]
	v_or_b32_e32 v53, v98, v56
	v_or_b32_e32 v31, v31, v115
	buffer_store_dword v0, off, s[0:3], s32 offset:868 ; 4-byte Folded Spill
	v_mul_f32_e32 v0, v67, v20
	v_or_b32_e32 v20, v127, v109
	v_or_b32_e32 v30, v30, v114
	v_mul_f32_e32 v38, v67, v38
	v_mul_f32_e32 v39, v67, v39
	buffer_store_dword v0, off, s[0:3], s32 offset:876 ; 4-byte Folded Spill
	v_mul_f32_e32 v0, v67, v20
	v_mul_f32_e32 v20, v67, v53
	v_or_b32_e32 v53, v118, v100
	v_mul_f32_e32 v97, v67, v30
	v_or_b32_e32 v30, v37, v35
	buffer_store_dword v0, off, s[0:3], s32 offset:872 ; 4-byte Folded Spill
	s_clause 0x1
	buffer_load_dword v0, off, s[0:3], s32 offset:776
	buffer_load_dword v1, off, s[0:3], s32 offset:780
	v_mul_f32_e32 v21, v67, v53
	v_or_b32_e32 v53, v84, v40
	v_mul_f32_e32 v50, v67, v50
	v_mul_f32_e32 v23, v67, v23
	;; [unrolled: 1-line block ×7, first 2 shown]
	v_cmp_lt_i32_e64 s5, v70, v82
	v_add_nc_u32_e32 v69, 4, v69
	s_waitcnt vmcnt(1)
	v_or_b32_e32 v53, v102, v0
	s_waitcnt vmcnt(0)
	v_or_b32_e32 v52, v103, v1
	s_clause 0x3
	buffer_load_dword v0, off, s[0:3], s32 offset:744
	buffer_load_dword v1, off, s[0:3], s32 offset:748
	;; [unrolled: 1-line block ×4, first 2 shown]
	v_mul_f32_e32 v99, v67, v53
	v_mul_f32_e32 v4, v67, v52
	v_or_b32_e32 v52, v117, v113
	v_or_b32_e32 v53, v116, v112
	v_mul_f32_e32 v5, v67, v52
	v_mul_f32_e32 v19, v67, v53
	s_waitcnt vmcnt(1)
	v_or_b32_e32 v53, v2, v0
	s_waitcnt vmcnt(0)
	v_or_b32_e32 v52, v3, v1
	s_clause 0x3
	buffer_load_dword v0, off, s[0:3], s32 offset:760
	buffer_load_dword v1, off, s[0:3], s32 offset:764
	buffer_load_dword v2, off, s[0:3], s32 offset:768
	buffer_load_dword v3, off, s[0:3], s32 offset:772
	v_mul_f32_e32 v83, v67, v53
	v_mul_f32_e32 v52, v67, v52
	s_waitcnt vmcnt(1)
	v_or_b32_e32 v86, v0, v2
	s_waitcnt vmcnt(0)
	v_or_b32_e32 v53, v1, v3
	s_clause 0x3
	buffer_load_dword v0, off, s[0:3], s32 offset:712
	buffer_load_dword v1, off, s[0:3], s32 offset:716
	buffer_load_dword v2, off, s[0:3], s32 offset:720
	buffer_load_dword v3, off, s[0:3], s32 offset:724
	;; [unrolled: 11-line block ×35, first 2 shown]
	buffer_load_dword v29, off, s[0:3], s32 offset:892
	v_mul_f32_e32 v101, v67, v101
	v_mul_f32_e32 v117, v67, v87
	s_waitcnt vmcnt(2)
	v_or_b32_e32 v84, v0, v2
	s_waitcnt vmcnt(1)
	v_or_b32_e32 v87, v1, v3
	v_mul_f32_e32 v84, v67, v84
	v_mul_f32_e32 v85, v67, v87
	v_sub_nc_u32_e32 v87, 1, v82
	v_add_nc_u32_e32 v87, v87, v70
	v_add_nc_u32_e32 v70, 0x80, v70
	v_cvt_f32_i32_e32 v87, v87
	s_waitcnt vmcnt(0)
	v_mul_f32_e32 v87, v29, v87
	v_mul_f32_e32 v29, v67, v31
	v_or_b32_e32 v31, v36, v34
	s_clause 0x7
	buffer_load_dword v34, off, s[0:3], s32 offset:920
	buffer_load_dword v35, off, s[0:3], s32 offset:924
	;; [unrolled: 1-line block ×8, first 2 shown]
	v_cndmask_b32_e32 v87, 0, v87, vcc_lo
	v_mul_f32_e32 v31, v67, v31
	s_waitcnt vmcnt(7)
	v_mul_f32_e32 v34, v34, v116
	s_waitcnt vmcnt(6)
	;; [unrolled: 2-line block ×5, first 2 shown]
	v_fmac_f32_e32 v34, v0, v101
	s_waitcnt vmcnt(2)
	v_fmac_f32_e32 v35, v1, v117
	s_waitcnt vmcnt(1)
	v_fmac_f32_e32 v36, v2, v84
	s_waitcnt vmcnt(0)
	v_fmac_f32_e32 v37, v3, v85
	s_clause 0x3
	buffer_load_dword v0, off, s[0:3], s32 offset:936
	buffer_load_dword v1, off, s[0:3], s32 offset:940
	buffer_load_dword v2, off, s[0:3], s32 offset:944
	buffer_load_dword v3, off, s[0:3], s32 offset:948
	s_waitcnt vmcnt(3)
	v_fmac_f32_e32 v34, v0, v66
	s_waitcnt vmcnt(2)
	v_fmac_f32_e32 v35, v1, v98
	s_waitcnt vmcnt(1)
	v_fmac_f32_e32 v36, v2, v14
	s_waitcnt vmcnt(0)
	v_fmac_f32_e32 v37, v3, v96
	s_clause 0x3
	buffer_load_dword v0, off, s[0:3], s32 offset:952
	buffer_load_dword v1, off, s[0:3], s32 offset:956
	buffer_load_dword v2, off, s[0:3], s32 offset:960
	buffer_load_dword v3, off, s[0:3], s32 offset:964
	s_waitcnt vmcnt(3)
	v_fmac_f32_e32 v34, v0, v126
	s_waitcnt vmcnt(2)
	v_fmac_f32_e32 v35, v1, v127
	s_waitcnt vmcnt(1)
	v_fmac_f32_e32 v36, v2, v17
	s_waitcnt vmcnt(0)
	v_fmac_f32_e32 v37, v3, v18
	s_clause 0x3
	buffer_load_dword v0, off, s[0:3], s32 offset:968
	buffer_load_dword v1, off, s[0:3], s32 offset:972
	buffer_load_dword v2, off, s[0:3], s32 offset:976
	buffer_load_dword v3, off, s[0:3], s32 offset:980
	s_waitcnt vmcnt(3)
	v_fmac_f32_e32 v34, v0, v124
	s_waitcnt vmcnt(2)
	v_fmac_f32_e32 v35, v1, v122
	s_waitcnt vmcnt(1)
	v_fmac_f32_e32 v36, v2, v125
	s_waitcnt vmcnt(0)
	v_fmac_f32_e32 v37, v3, v123
	s_clause 0x3
	buffer_load_dword v0, off, s[0:3], s32 offset:984
	buffer_load_dword v1, off, s[0:3], s32 offset:988
	buffer_load_dword v2, off, s[0:3], s32 offset:992
	buffer_load_dword v3, off, s[0:3], s32 offset:996
	s_waitcnt vmcnt(3)
	v_fmac_f32_e32 v34, v0, v120
	s_waitcnt vmcnt(2)
	v_fmac_f32_e32 v35, v1, v110
	s_waitcnt vmcnt(1)
	v_fmac_f32_e32 v36, v2, v121
	s_waitcnt vmcnt(0)
	v_fmac_f32_e32 v37, v3, v111
	s_clause 0x3
	buffer_load_dword v0, off, s[0:3], s32 offset:1000
	buffer_load_dword v1, off, s[0:3], s32 offset:1004
	buffer_load_dword v2, off, s[0:3], s32 offset:1008
	buffer_load_dword v3, off, s[0:3], s32 offset:1012
	s_waitcnt vmcnt(3)
	v_fmac_f32_e32 v34, v0, v108
	s_waitcnt vmcnt(2)
	v_fmac_f32_e32 v35, v1, v106
	s_waitcnt vmcnt(1)
	v_fmac_f32_e32 v36, v2, v109
	s_waitcnt vmcnt(0)
	v_fmac_f32_e32 v37, v3, v107
	s_clause 0x3
	buffer_load_dword v0, off, s[0:3], s32 offset:1016
	buffer_load_dword v1, off, s[0:3], s32 offset:1020
	buffer_load_dword v2, off, s[0:3], s32 offset:1024
	buffer_load_dword v3, off, s[0:3], s32 offset:1028
	s_waitcnt vmcnt(3)
	v_fmac_f32_e32 v34, v0, v104
	s_waitcnt vmcnt(2)
	v_fmac_f32_e32 v35, v1, v94
	s_waitcnt vmcnt(1)
	v_fmac_f32_e32 v36, v2, v105
	s_waitcnt vmcnt(0)
	v_fmac_f32_e32 v37, v3, v95
	s_clause 0x3
	buffer_load_dword v0, off, s[0:3], s32 offset:1032
	buffer_load_dword v1, off, s[0:3], s32 offset:1036
	buffer_load_dword v2, off, s[0:3], s32 offset:1040
	buffer_load_dword v3, off, s[0:3], s32 offset:1044
	s_waitcnt vmcnt(3)
	v_fmac_f32_e32 v34, v0, v92
	s_waitcnt vmcnt(2)
	v_fmac_f32_e32 v35, v1, v90
	s_waitcnt vmcnt(1)
	v_fmac_f32_e32 v36, v2, v93
	s_waitcnt vmcnt(0)
	v_fmac_f32_e32 v37, v3, v91
	s_clause 0x3
	buffer_load_dword v0, off, s[0:3], s32 offset:1048
	buffer_load_dword v1, off, s[0:3], s32 offset:1052
	buffer_load_dword v2, off, s[0:3], s32 offset:1056
	buffer_load_dword v3, off, s[0:3], s32 offset:1060
	s_waitcnt vmcnt(3)
	v_fmac_f32_e32 v34, v0, v88
	s_waitcnt vmcnt(2)
	v_fmac_f32_e32 v35, v1, v78
	s_waitcnt vmcnt(1)
	v_fmac_f32_e32 v36, v2, v89
	s_waitcnt vmcnt(0)
	v_fmac_f32_e32 v37, v3, v79
	s_clause 0x3
	buffer_load_dword v0, off, s[0:3], s32 offset:1064
	buffer_load_dword v1, off, s[0:3], s32 offset:1068
	buffer_load_dword v2, off, s[0:3], s32 offset:1072
	buffer_load_dword v3, off, s[0:3], s32 offset:1076
	s_waitcnt vmcnt(3)
	v_fmac_f32_e32 v34, v0, v76
	s_waitcnt vmcnt(2)
	v_fmac_f32_e32 v35, v1, v74
	s_waitcnt vmcnt(1)
	v_fmac_f32_e32 v36, v2, v77
	s_waitcnt vmcnt(0)
	v_fmac_f32_e32 v37, v3, v75
	s_clause 0x3
	buffer_load_dword v0, off, s[0:3], s32 offset:1080
	buffer_load_dword v1, off, s[0:3], s32 offset:1084
	buffer_load_dword v2, off, s[0:3], s32 offset:1088
	buffer_load_dword v3, off, s[0:3], s32 offset:1092
	s_waitcnt vmcnt(3)
	v_fmac_f32_e32 v34, v0, v72
	s_waitcnt vmcnt(2)
	v_fmac_f32_e32 v35, v1, v62
	s_waitcnt vmcnt(1)
	v_fmac_f32_e32 v36, v2, v73
	s_waitcnt vmcnt(0)
	v_fmac_f32_e32 v37, v3, v63
	s_clause 0x3
	buffer_load_dword v0, off, s[0:3], s32 offset:1096
	buffer_load_dword v1, off, s[0:3], s32 offset:1100
	buffer_load_dword v2, off, s[0:3], s32 offset:1104
	buffer_load_dword v3, off, s[0:3], s32 offset:1108
	s_waitcnt vmcnt(3)
	v_fmac_f32_e32 v34, v0, v60
	s_waitcnt vmcnt(2)
	v_fmac_f32_e32 v35, v1, v58
	s_waitcnt vmcnt(1)
	v_fmac_f32_e32 v36, v2, v61
	s_waitcnt vmcnt(0)
	v_fmac_f32_e32 v37, v3, v59
	s_clause 0x3
	buffer_load_dword v0, off, s[0:3], s32 offset:1112
	buffer_load_dword v1, off, s[0:3], s32 offset:1116
	buffer_load_dword v2, off, s[0:3], s32 offset:1120
	buffer_load_dword v3, off, s[0:3], s32 offset:1124
	s_waitcnt vmcnt(3)
	v_fmac_f32_e32 v34, v0, v56
	s_waitcnt vmcnt(2)
	v_fmac_f32_e32 v35, v1, v46
	s_waitcnt vmcnt(1)
	v_fmac_f32_e32 v36, v2, v57
	s_waitcnt vmcnt(0)
	v_fmac_f32_e32 v37, v3, v47
	s_clause 0x3
	buffer_load_dword v0, off, s[0:3], s32 offset:1128
	buffer_load_dword v1, off, s[0:3], s32 offset:1132
	buffer_load_dword v2, off, s[0:3], s32 offset:1136
	buffer_load_dword v3, off, s[0:3], s32 offset:1140
	s_waitcnt vmcnt(3)
	v_fmac_f32_e32 v34, v0, v44
	s_waitcnt vmcnt(2)
	v_fmac_f32_e32 v35, v1, v42
	s_waitcnt vmcnt(1)
	v_fmac_f32_e32 v36, v2, v45
	s_waitcnt vmcnt(0)
	v_fmac_f32_e32 v37, v3, v43
	s_clause 0x3
	buffer_load_dword v0, off, s[0:3], s32 offset:1144
	buffer_load_dword v1, off, s[0:3], s32 offset:1148
	buffer_load_dword v2, off, s[0:3], s32 offset:1152
	buffer_load_dword v3, off, s[0:3], s32 offset:1156
	s_waitcnt vmcnt(3)
	v_fmac_f32_e32 v34, v0, v40
	s_waitcnt vmcnt(2)
	v_fmac_f32_e32 v35, v1, v118
	s_waitcnt vmcnt(1)
	v_fmac_f32_e32 v36, v2, v41
	s_waitcnt vmcnt(0)
	v_fmac_f32_e32 v37, v3, v119
	s_clause 0x3
	buffer_load_dword v0, off, s[0:3], s32 offset:1160
	buffer_load_dword v1, off, s[0:3], s32 offset:1164
	buffer_load_dword v2, off, s[0:3], s32 offset:1168
	buffer_load_dword v3, off, s[0:3], s32 offset:1172
	s_waitcnt vmcnt(3)
	v_fmac_f32_e32 v34, v0, v112
	s_waitcnt vmcnt(2)
	v_fmac_f32_e32 v35, v1, v102
	s_waitcnt vmcnt(1)
	v_fmac_f32_e32 v36, v2, v113
	s_waitcnt vmcnt(0)
	v_fmac_f32_e32 v37, v3, v103
	s_clause 0x3
	buffer_load_dword v0, off, s[0:3], s32 offset:1176
	buffer_load_dword v1, off, s[0:3], s32 offset:1180
	buffer_load_dword v2, off, s[0:3], s32 offset:1184
	buffer_load_dword v3, off, s[0:3], s32 offset:1188
	s_waitcnt vmcnt(3)
	v_fmac_f32_e32 v34, v0, v83
	s_waitcnt vmcnt(2)
	v_fmac_f32_e32 v35, v1, v52
	s_waitcnt vmcnt(1)
	v_fmac_f32_e32 v36, v2, v86
	s_waitcnt vmcnt(0)
	v_fmac_f32_e32 v37, v3, v53
	s_clause 0x3
	buffer_load_dword v0, off, s[0:3], s32 offset:1192
	buffer_load_dword v1, off, s[0:3], s32 offset:1196
	buffer_load_dword v2, off, s[0:3], s32 offset:1200
	buffer_load_dword v3, off, s[0:3], s32 offset:1204
	s_waitcnt vmcnt(3)
	v_fmac_f32_e32 v34, v0, v99
	s_waitcnt vmcnt(2)
	v_fmac_f32_e32 v35, v1, v4
	s_waitcnt vmcnt(1)
	v_fmac_f32_e32 v36, v2, v19
	s_waitcnt vmcnt(0)
	v_fmac_f32_e32 v37, v3, v5
	s_clause 0x3
	buffer_load_dword v0, off, s[0:3], s32 offset:1208
	buffer_load_dword v1, off, s[0:3], s32 offset:1212
	buffer_load_dword v2, off, s[0:3], s32 offset:1216
	buffer_load_dword v3, off, s[0:3], s32 offset:1220
	s_waitcnt vmcnt(3)
	v_fmac_f32_e32 v34, v0, v21
	s_waitcnt vmcnt(2)
	v_fmac_f32_e32 v35, v1, v8
	s_waitcnt vmcnt(1)
	v_fmac_f32_e32 v36, v2, v7
	s_waitcnt vmcnt(0)
	v_fmac_f32_e32 v37, v3, v9
	s_clause 0x3
	buffer_load_dword v0, off, s[0:3], s32 offset:1224
	buffer_load_dword v1, off, s[0:3], s32 offset:1228
	buffer_load_dword v2, off, s[0:3], s32 offset:1232
	buffer_load_dword v3, off, s[0:3], s32 offset:1236
	s_waitcnt vmcnt(3)
	v_fmac_f32_e32 v34, v0, v10
	s_waitcnt vmcnt(2)
	v_fmac_f32_e32 v35, v1, v12
	s_waitcnt vmcnt(1)
	v_fmac_f32_e32 v36, v2, v20
	s_waitcnt vmcnt(0)
	v_fmac_f32_e32 v37, v3, v11
	s_clause 0x3
	buffer_load_dword v0, off, s[0:3], s32 offset:1240
	buffer_load_dword v1, off, s[0:3], s32 offset:1244
	buffer_load_dword v2, off, s[0:3], s32 offset:1248
	buffer_load_dword v3, off, s[0:3], s32 offset:1252
	s_waitcnt vmcnt(3)
	v_fmac_f32_e32 v34, v0, v81
	s_waitcnt vmcnt(2)
	v_fmac_f32_e32 v35, v1, v15
	s_waitcnt vmcnt(1)
	v_fmac_f32_e32 v36, v2, v13
	s_waitcnt vmcnt(0)
	v_fmac_f32_e32 v37, v3, v80
	s_clause 0x3
	buffer_load_dword v0, off, s[0:3], s32 offset:1256
	buffer_load_dword v1, off, s[0:3], s32 offset:1260
	buffer_load_dword v2, off, s[0:3], s32 offset:1264
	buffer_load_dword v3, off, s[0:3], s32 offset:1268
	s_waitcnt vmcnt(3)
	v_fmac_f32_e32 v34, v0, v64
	s_waitcnt vmcnt(2)
	v_fmac_f32_e32 v35, v1, v54
	s_waitcnt vmcnt(1)
	v_fmac_f32_e32 v36, v2, v65
	s_waitcnt vmcnt(0)
	v_fmac_f32_e32 v37, v3, v55
	s_clause 0x3
	buffer_load_dword v0, off, s[0:3], s32 offset:1272
	buffer_load_dword v1, off, s[0:3], s32 offset:1276
	buffer_load_dword v2, off, s[0:3], s32 offset:1280
	buffer_load_dword v3, off, s[0:3], s32 offset:1284
	s_waitcnt vmcnt(3)
	v_fmac_f32_e32 v34, v0, v49
	s_waitcnt vmcnt(2)
	v_fmac_f32_e32 v35, v1, v38
	s_waitcnt vmcnt(1)
	v_fmac_f32_e32 v36, v2, v50
	s_waitcnt vmcnt(0)
	v_fmac_f32_e32 v37, v3, v39
	s_clause 0x3
	buffer_load_dword v0, off, s[0:3], s32 offset:1288
	buffer_load_dword v1, off, s[0:3], s32 offset:1292
	buffer_load_dword v2, off, s[0:3], s32 offset:1296
	buffer_load_dword v3, off, s[0:3], s32 offset:1300
	s_waitcnt vmcnt(3)
	v_fmac_f32_e32 v34, v0, v32
	s_waitcnt vmcnt(2)
	v_fmac_f32_e32 v35, v1, v23
	s_waitcnt vmcnt(1)
	;; [unrolled: 2-line block ×3, first 2 shown]
	v_fmac_f32_e32 v37, v3, v24
	s_clause 0x4
	buffer_load_dword v0, off, s[0:3], s32 offset:1304
	buffer_load_dword v1, off, s[0:3], s32 offset:1308
	;; [unrolled: 1-line block ×5, first 2 shown]
	s_waitcnt vmcnt(2)
	v_fmac_f32_e32 v36, v2, v22
	s_waitcnt vmcnt(0)
	v_fmac_f32_e32 v34, v0, v4
	buffer_load_dword v0, off, s[0:3], s32 offset:868 ; 4-byte Folded Reload
	s_waitcnt vmcnt(0)
	v_fmac_f32_e32 v35, v1, v0
	buffer_load_dword v0, off, s[0:3], s32 offset:872 ; 4-byte Folded Reload
	s_waitcnt vmcnt(0)
	v_fmac_f32_e32 v37, v3, v0
	s_clause 0x3
	buffer_load_dword v0, off, s[0:3], s32 offset:1320
	buffer_load_dword v1, off, s[0:3], s32 offset:1324
	;; [unrolled: 1-line block ×4, first 2 shown]
	s_waitcnt vmcnt(3)
	v_fmac_f32_e32 v34, v0, v26
	s_waitcnt vmcnt(2)
	v_fmac_f32_e32 v35, v1, v48
	;; [unrolled: 2-line block ×4, first 2 shown]
	s_clause 0x4
	buffer_load_dword v0, off, s[0:3], s32 offset:1336
	buffer_load_dword v1, off, s[0:3], s32 offset:1340
	buffer_load_dword v2, off, s[0:3], s32 offset:1344
	buffer_load_dword v3, off, s[0:3], s32 offset:1348
	buffer_load_dword v4, off, s[0:3], s32 offset:860
	s_waitcnt vmcnt(0)
	v_fmac_f32_e32 v34, v0, v4
	buffer_load_dword v0, off, s[0:3], s32 offset:852 ; 4-byte Folded Reload
	s_waitcnt vmcnt(0)
	v_fmac_f32_e32 v35, v1, v0
	buffer_load_dword v0, off, s[0:3], s32 offset:864 ; 4-byte Folded Reload
	s_waitcnt vmcnt(0)
	v_fmac_f32_e32 v36, v2, v0
	buffer_load_dword v0, off, s[0:3], s32 offset:856 ; 4-byte Folded Reload
	s_waitcnt vmcnt(0)
	v_fmac_f32_e32 v37, v3, v0
	s_clause 0x4
	buffer_load_dword v0, off, s[0:3], s32 offset:1352
	buffer_load_dword v1, off, s[0:3], s32 offset:1356
	buffer_load_dword v2, off, s[0:3], s32 offset:1360
	buffer_load_dword v3, off, s[0:3], s32 offset:1364
	buffer_load_dword v4, off, s[0:3], s32 offset:844
	s_waitcnt vmcnt(0)
	v_fmac_f32_e32 v34, v0, v4
	buffer_load_dword v0, off, s[0:3], s32 offset:836 ; 4-byte Folded Reload
	s_waitcnt vmcnt(0)
	v_fmac_f32_e32 v35, v1, v0
	buffer_load_dword v0, off, s[0:3], s32 offset:848 ; 4-byte Folded Reload
	s_waitcnt vmcnt(0)
	v_fmac_f32_e32 v36, v2, v0
	buffer_load_dword v0, off, s[0:3], s32 offset:840 ; 4-byte Folded Reload
	s_waitcnt vmcnt(0)
	v_fmac_f32_e32 v37, v3, v0
	;; [unrolled: 17-line block ×4, first 2 shown]
	s_clause 0x4
	buffer_load_dword v0, off, s[0:3], s32 offset:1400
	buffer_load_dword v1, off, s[0:3], s32 offset:1404
	;; [unrolled: 1-line block ×5, first 2 shown]
	s_waitcnt vmcnt(4)
	v_fmac_f32_e32 v34, v0, v97
	s_waitcnt vmcnt(3)
	v_fmac_f32_e32 v35, v1, v29
	buffer_load_dword v1, off, s[0:3], s32 offset:888 ; 4-byte Folded Reload
	s_waitcnt vmcnt(3)
	v_fmac_f32_e32 v36, v2, v31
	s_waitcnt vmcnt(2)
	v_fmac_f32_e32 v37, v3, v30
	v_add_f32_e32 v0, v34, v35
	v_add_f32_e32 v0, v36, v0
	;; [unrolled: 1-line block ×3, first 2 shown]
	s_waitcnt vmcnt(0)
	v_fmac_f32_e32 v87, v1, v0
	v_cndmask_b32_e64 v0, 0, v87, s5
	ds_write_b32 v68, v0
	v_max_f32_e32 v0, v27, v27
	s_clause 0x1
	buffer_load_dword v5, off, s[0:3], s32 offset:796
	buffer_load_dword v6, off, s[0:3], s32 offset:800
	v_add_nc_u32_e32 v68, 0x200, v68
	v_max_f32_e32 v0, v0, v87
	v_cndmask_b32_e64 v27, v27, v0, s5
	buffer_load_dword v0, off, s[0:3], s32 offset:788 ; 4-byte Folded Reload
	s_waitcnt vmcnt(2)
	v_add_co_u32 v5, s5, v5, 16
	s_waitcnt vmcnt(1)
	v_add_co_ci_u32_e64 v6, null, 0, v6, s5
	s_waitcnt vmcnt(0)
	v_cmp_ge_i32_e64 s5, v69, v0
	s_or_b32 s11, s5, s11
	s_andn2_b32 exec_lo, exec_lo, s11
	s_cbranch_execz .LBB255_1032
.LBB255_11:                             ; =>This Inner Loop Header: Depth=1
	buffer_store_dword v5, off, s[0:3], s32 offset:796 ; 4-byte Folded Spill
	buffer_store_dword v6, off, s[0:3], s32 offset:800 ; 4-byte Folded Spill
	v_mov_b32_e32 v66, v69
	v_mov_b32_e32 v53, v68
	;; [unrolled: 1-line block ×3, first 2 shown]
	flat_load_dword v0, v[5:6]
	s_clause 0x2
	buffer_load_dword v1, off, s[0:3], s32 offset:784
	buffer_load_dword v2, off, s[0:3], s32 offset:896
	;; [unrolled: 1-line block ×3, first 2 shown]
	s_waitcnt vmcnt(0) lgkmcnt(0)
	v_mad_i64_i32 v[0:1], null, v0, v1, v[2:3]
	flat_load_dword v2, v[0:1]
	s_clause 0x1
	buffer_load_dword v3, off, s[0:3], s32 offset:880
	buffer_load_dword v4, off, s[0:3], s32 offset:884
	s_waitcnt vmcnt(2) lgkmcnt(0)
	v_cmp_ne_u16_sdwa s5, v2, v16 src0_sel:BYTE_0 src1_sel:DWORD
	s_waitcnt vmcnt(0)
	flat_load_dword v67, v[3:4]
	v_mov_b32_e32 v3, 0
	v_mov_b32_e32 v4, 0
	buffer_store_dword v3, off, s[0:3], s32 offset:208 ; 4-byte Folded Spill
	buffer_store_dword v4, off, s[0:3], s32 offset:212 ; 4-byte Folded Spill
	v_mov_b32_e32 v3, 0
	v_mov_b32_e32 v4, 0
	buffer_store_dword v3, off, s[0:3], s32 offset:200 ; 4-byte Folded Spill
	buffer_store_dword v4, off, s[0:3], s32 offset:204 ; 4-byte Folded Spill
	s_and_saveexec_b32 s13, s5
	s_cbranch_execz .LBB255_19
; %bb.12:                               ;   in Loop: Header=BB255_11 Depth=1
	v_bfrev_b32_e32 v3, 1
	v_mov_b32_e32 v4, 0
	buffer_store_dword v3, off, s[0:3], s32 offset:200 ; 4-byte Folded Spill
	buffer_store_dword v4, off, s[0:3], s32 offset:204 ; 4-byte Folded Spill
	v_mov_b32_e32 v3, 0x80
	v_cmp_ne_u16_sdwa s5, v2, v3 src0_sel:BYTE_0 src1_sel:DWORD
	s_and_saveexec_b32 s17, s5
	s_cbranch_execz .LBB255_18
; %bb.13:                               ;   in Loop: Header=BB255_11 Depth=1
	v_mov_b32_e32 v5, 0x7f800001
	v_and_b32_e32 v4, 0x7f, v2
	v_mov_b32_e32 v6, 0
	s_mov_b32 s21, exec_lo
	buffer_store_dword v5, off, s[0:3], s32 offset:200 ; 4-byte Folded Spill
	buffer_store_dword v6, off, s[0:3], s32 offset:204 ; 4-byte Folded Spill
	v_cmpx_ne_u32_e32 0x7f, v4
	s_cbranch_execz .LBB255_17
; %bb.14:                               ;   in Loop: Header=BB255_11 Depth=1
	v_and_b32_e32 v15, 7, v2
	v_lshrrev_b32_e32 v3, 3, v4
	s_mov_b32 s22, exec_lo
	v_cmpx_gt_u32_e32 8, v4
; %bb.15:                               ;   in Loop: Header=BB255_11 Depth=1
	v_ffbh_u32_e32 v3, v15
	v_min_u32_e32 v3, 32, v3
	v_subrev_nc_u32_e32 v4, 28, v3
	v_sub_nc_u32_e32 v3, 29, v3
	v_lshlrev_b64 v[4:5], v4, v[15:16]
	v_and_b32_e32 v15, 7, v4
; %bb.16:                               ;   in Loop: Header=BB255_11 Depth=1
	s_or_b32 exec_lo, exec_lo, s22
	v_lshlrev_b32_e32 v4, 24, v2
	v_lshlrev_b32_e32 v5, 20, v15
	v_lshl_add_u32 v3, v3, 23, 0x3c000000
	v_and_b32_e32 v4, 0x80000000, v4
	v_or3_b32 v15, v5, v4, v3
	buffer_store_dword v15, off, s[0:3], s32 offset:200 ; 4-byte Folded Spill
	buffer_store_dword v16, off, s[0:3], s32 offset:204 ; 4-byte Folded Spill
.LBB255_17:                             ;   in Loop: Header=BB255_11 Depth=1
	s_or_b32 exec_lo, exec_lo, s21
.LBB255_18:                             ;   in Loop: Header=BB255_11 Depth=1
	s_or_b32 exec_lo, exec_lo, s17
.LBB255_19:                             ;   in Loop: Header=BB255_11 Depth=1
	s_or_b32 exec_lo, exec_lo, s13
	v_cmp_ne_u16_sdwa s5, v2, v16 src0_sel:BYTE_1 src1_sel:DWORD
	s_and_saveexec_b32 s13, s5
	s_cbranch_execz .LBB255_27
; %bb.20:                               ;   in Loop: Header=BB255_11 Depth=1
	v_mov_b32_e32 v3, 0x80
	v_mov_b32_e32 v50, v16
	buffer_store_dword v50, off, s[0:3], s32 offset:208 ; 4-byte Folded Spill
	buffer_store_dword v51, off, s[0:3], s32 offset:212 ; 4-byte Folded Spill
	v_cmp_ne_u16_sdwa s5, v2, v3 src0_sel:BYTE_1 src1_sel:DWORD
	s_and_saveexec_b32 s17, s5
	s_cbranch_execz .LBB255_26
; %bb.21:                               ;   in Loop: Header=BB255_11 Depth=1
	v_mov_b32_e32 v3, 0xffff
	v_mov_b32_e32 v70, v16
	s_mov_b32 s21, exec_lo
	buffer_store_dword v70, off, s[0:3], s32 offset:208 ; 4-byte Folded Spill
	buffer_store_dword v71, off, s[0:3], s32 offset:212 ; 4-byte Folded Spill
	v_and_b32_sdwa v3, v3, v2 dst_sel:DWORD dst_unused:UNUSED_PAD src0_sel:DWORD src1_sel:BYTE_1
	v_and_b32_e32 v4, 0x7f, v3
	v_cmpx_ne_u32_e32 0x7f, v4
	s_cbranch_execz .LBB255_25
; %bb.22:                               ;   in Loop: Header=BB255_11 Depth=1
	v_and_b32_e32 v15, 7, v3
	v_lshrrev_b32_e32 v3, 3, v4
	s_mov_b32 s22, exec_lo
	v_cmpx_gt_u32_e32 8, v4
; %bb.23:                               ;   in Loop: Header=BB255_11 Depth=1
	v_ffbh_u32_e32 v3, v15
	v_min_u32_e32 v3, 32, v3
	v_subrev_nc_u32_e32 v4, 28, v3
	v_sub_nc_u32_e32 v3, 29, v3
	v_lshlrev_b64 v[4:5], v4, v[15:16]
	v_and_b32_e32 v15, 7, v4
; %bb.24:                               ;   in Loop: Header=BB255_11 Depth=1
	s_or_b32 exec_lo, exec_lo, s22
	v_lshlrev_b32_e32 v4, 16, v2
	v_lshlrev_b32_e32 v5, 20, v15
	v_lshl_add_u32 v3, v3, 23, 0x3c000000
	v_and_b32_e32 v4, 0x80000000, v4
	v_or3_b32 v4, v5, v4, v3
	v_mov_b32_e32 v3, v16
	buffer_store_dword v3, off, s[0:3], s32 offset:208 ; 4-byte Folded Spill
	buffer_store_dword v4, off, s[0:3], s32 offset:212 ; 4-byte Folded Spill
.LBB255_25:                             ;   in Loop: Header=BB255_11 Depth=1
	s_or_b32 exec_lo, exec_lo, s21
.LBB255_26:                             ;   in Loop: Header=BB255_11 Depth=1
	s_or_b32 exec_lo, exec_lo, s17
.LBB255_27:                             ;   in Loop: Header=BB255_11 Depth=1
	s_or_b32 exec_lo, exec_lo, s13
	v_mov_b32_e32 v4, 0
	v_mov_b32_e32 v5, 0
	;; [unrolled: 1-line block ×3, first 2 shown]
	s_mov_b32 s13, exec_lo
	buffer_store_dword v4, off, s[0:3], s32 offset:216 ; 4-byte Folded Spill
	buffer_store_dword v5, off, s[0:3], s32 offset:220 ; 4-byte Folded Spill
	v_mov_b32_e32 v4, 0
	v_and_b32_sdwa v3, v2, v3 dst_sel:DWORD dst_unused:UNUSED_PAD src0_sel:WORD_1 src1_sel:DWORD
	v_mov_b32_e32 v5, 0
	buffer_store_dword v4, off, s[0:3], s32 offset:224 ; 4-byte Folded Spill
	buffer_store_dword v5, off, s[0:3], s32 offset:228 ; 4-byte Folded Spill
	v_cmpx_ne_u16_e32 0, v3
	s_cbranch_execz .LBB255_35
; %bb.28:                               ;   in Loop: Header=BB255_11 Depth=1
	v_cmp_ne_u16_e64 s5, 0x80, v3
	v_bfrev_b32_e32 v3, 1
	v_mov_b32_e32 v4, 0
	buffer_store_dword v3, off, s[0:3], s32 offset:224 ; 4-byte Folded Spill
	buffer_store_dword v4, off, s[0:3], s32 offset:228 ; 4-byte Folded Spill
	s_and_saveexec_b32 s17, s5
	s_cbranch_execz .LBB255_34
; %bb.29:                               ;   in Loop: Header=BB255_11 Depth=1
	v_mov_b32_e32 v5, 0x7f800001
	v_bfe_u32 v4, v2, 16, 7
	v_mov_b32_e32 v6, 0
	s_mov_b32 s21, exec_lo
	buffer_store_dword v5, off, s[0:3], s32 offset:224 ; 4-byte Folded Spill
	buffer_store_dword v6, off, s[0:3], s32 offset:228 ; 4-byte Folded Spill
	v_cmpx_ne_u32_e32 0x7f, v4
	s_cbranch_execz .LBB255_33
; %bb.30:                               ;   in Loop: Header=BB255_11 Depth=1
	v_mov_b32_e32 v3, 7
	s_mov_b32 s22, exec_lo
	v_and_b32_sdwa v15, v2, v3 dst_sel:DWORD dst_unused:UNUSED_PAD src0_sel:WORD_1 src1_sel:DWORD
	v_lshrrev_b32_e32 v3, 3, v4
	v_cmpx_gt_u32_e32 8, v4
; %bb.31:                               ;   in Loop: Header=BB255_11 Depth=1
	v_ffbh_u32_e32 v3, v15
	v_min_u32_e32 v3, 32, v3
	v_subrev_nc_u32_e32 v4, 28, v3
	v_sub_nc_u32_e32 v3, 29, v3
	v_lshlrev_b64 v[4:5], v4, v[15:16]
	v_and_b32_e32 v15, 7, v4
; %bb.32:                               ;   in Loop: Header=BB255_11 Depth=1
	s_or_b32 exec_lo, exec_lo, s22
	v_mov_b32_e32 v4, 24
	v_lshlrev_b32_e32 v5, 20, v15
	v_lshl_add_u32 v3, v3, 23, 0x3c000000
	v_lshlrev_b32_sdwa v4, v4, v2 dst_sel:DWORD dst_unused:UNUSED_PAD src0_sel:DWORD src1_sel:WORD_1
	v_and_b32_e32 v4, 0x80000000, v4
	v_or3_b32 v15, v5, v4, v3
	buffer_store_dword v15, off, s[0:3], s32 offset:224 ; 4-byte Folded Spill
	buffer_store_dword v16, off, s[0:3], s32 offset:228 ; 4-byte Folded Spill
.LBB255_33:                             ;   in Loop: Header=BB255_11 Depth=1
	s_or_b32 exec_lo, exec_lo, s21
.LBB255_34:                             ;   in Loop: Header=BB255_11 Depth=1
	s_or_b32 exec_lo, exec_lo, s17
.LBB255_35:                             ;   in Loop: Header=BB255_11 Depth=1
	s_or_b32 exec_lo, exec_lo, s13
	s_mov_b32 s13, exec_lo
	v_cmpx_lt_u32_e32 0xffffff, v2
	s_cbranch_execz .LBB255_43
; %bb.36:                               ;   in Loop: Header=BB255_11 Depth=1
	v_mov_b32_e32 v3, 0x80
	v_mov_b32_e32 v50, v16
	buffer_store_dword v50, off, s[0:3], s32 offset:216 ; 4-byte Folded Spill
	buffer_store_dword v51, off, s[0:3], s32 offset:220 ; 4-byte Folded Spill
	v_cmp_ne_u32_sdwa s5, v2, v3 src0_sel:BYTE_3 src1_sel:DWORD
	s_and_saveexec_b32 s17, s5
	s_cbranch_execz .LBB255_42
; %bb.37:                               ;   in Loop: Header=BB255_11 Depth=1
	v_bfe_u32 v4, v2, 24, 7
	v_mov_b32_e32 v70, v16
	s_mov_b32 s21, exec_lo
	buffer_store_dword v70, off, s[0:3], s32 offset:216 ; 4-byte Folded Spill
	buffer_store_dword v71, off, s[0:3], s32 offset:220 ; 4-byte Folded Spill
	v_cmpx_ne_u32_e32 0x7f, v4
	s_cbranch_execz .LBB255_41
; %bb.38:                               ;   in Loop: Header=BB255_11 Depth=1
	v_mov_b32_e32 v3, 7
	s_mov_b32 s22, exec_lo
	v_and_b32_sdwa v15, v2, v3 dst_sel:DWORD dst_unused:UNUSED_PAD src0_sel:BYTE_3 src1_sel:DWORD
	v_lshrrev_b32_e32 v3, 3, v4
	v_cmpx_gt_u32_e32 8, v4
; %bb.39:                               ;   in Loop: Header=BB255_11 Depth=1
	v_ffbh_u32_e32 v3, v15
	v_min_u32_e32 v3, 32, v3
	v_subrev_nc_u32_e32 v4, 28, v3
	v_sub_nc_u32_e32 v3, 29, v3
	v_lshlrev_b64 v[4:5], v4, v[15:16]
	v_and_b32_e32 v15, 7, v4
; %bb.40:                               ;   in Loop: Header=BB255_11 Depth=1
	s_or_b32 exec_lo, exec_lo, s22
	v_mov_b32_e32 v4, 24
	v_lshl_add_u32 v3, v3, 23, 0x3c000000
	v_lshlrev_b32_sdwa v2, v4, v2 dst_sel:DWORD dst_unused:UNUSED_PAD src0_sel:DWORD src1_sel:BYTE_3
	v_lshlrev_b32_e32 v4, 20, v15
	v_and_b32_e32 v2, 0x80000000, v2
	v_or3_b32 v3, v4, v2, v3
	v_mov_b32_e32 v2, v16
	buffer_store_dword v2, off, s[0:3], s32 offset:216 ; 4-byte Folded Spill
	buffer_store_dword v3, off, s[0:3], s32 offset:220 ; 4-byte Folded Spill
.LBB255_41:                             ;   in Loop: Header=BB255_11 Depth=1
	s_or_b32 exec_lo, exec_lo, s21
.LBB255_42:                             ;   in Loop: Header=BB255_11 Depth=1
	s_or_b32 exec_lo, exec_lo, s17
.LBB255_43:                             ;   in Loop: Header=BB255_11 Depth=1
	s_or_b32 exec_lo, exec_lo, s13
	flat_load_dword v2, v[0:1] offset:4
	v_mov_b32_e32 v3, 0
	v_mov_b32_e32 v4, 0
	buffer_store_dword v3, off, s[0:3], s32 offset:240 ; 4-byte Folded Spill
	buffer_store_dword v4, off, s[0:3], s32 offset:244 ; 4-byte Folded Spill
	v_mov_b32_e32 v3, 0
	v_mov_b32_e32 v4, 0
	buffer_store_dword v3, off, s[0:3], s32 offset:232 ; 4-byte Folded Spill
	buffer_store_dword v4, off, s[0:3], s32 offset:236 ; 4-byte Folded Spill
	s_waitcnt vmcnt(0) lgkmcnt(0)
	v_cmp_ne_u16_sdwa s5, v2, v16 src0_sel:BYTE_0 src1_sel:DWORD
	s_and_saveexec_b32 s13, s5
	s_cbranch_execz .LBB255_51
; %bb.44:                               ;   in Loop: Header=BB255_11 Depth=1
	v_bfrev_b32_e32 v3, 1
	v_mov_b32_e32 v4, 0
	buffer_store_dword v3, off, s[0:3], s32 offset:232 ; 4-byte Folded Spill
	buffer_store_dword v4, off, s[0:3], s32 offset:236 ; 4-byte Folded Spill
	v_mov_b32_e32 v3, 0x80
	v_cmp_ne_u16_sdwa s5, v2, v3 src0_sel:BYTE_0 src1_sel:DWORD
	s_and_saveexec_b32 s17, s5
	s_cbranch_execz .LBB255_50
; %bb.45:                               ;   in Loop: Header=BB255_11 Depth=1
	v_mov_b32_e32 v5, 0x7f800001
	v_and_b32_e32 v4, 0x7f, v2
	v_mov_b32_e32 v6, 0
	s_mov_b32 s21, exec_lo
	buffer_store_dword v5, off, s[0:3], s32 offset:232 ; 4-byte Folded Spill
	buffer_store_dword v6, off, s[0:3], s32 offset:236 ; 4-byte Folded Spill
	v_cmpx_ne_u32_e32 0x7f, v4
	s_cbranch_execz .LBB255_49
; %bb.46:                               ;   in Loop: Header=BB255_11 Depth=1
	v_and_b32_e32 v15, 7, v2
	v_lshrrev_b32_e32 v3, 3, v4
	s_mov_b32 s22, exec_lo
	v_cmpx_gt_u32_e32 8, v4
; %bb.47:                               ;   in Loop: Header=BB255_11 Depth=1
	v_ffbh_u32_e32 v3, v15
	v_min_u32_e32 v3, 32, v3
	v_subrev_nc_u32_e32 v4, 28, v3
	v_sub_nc_u32_e32 v3, 29, v3
	v_lshlrev_b64 v[4:5], v4, v[15:16]
	v_and_b32_e32 v15, 7, v4
; %bb.48:                               ;   in Loop: Header=BB255_11 Depth=1
	s_or_b32 exec_lo, exec_lo, s22
	v_lshlrev_b32_e32 v4, 24, v2
	v_lshlrev_b32_e32 v5, 20, v15
	v_lshl_add_u32 v3, v3, 23, 0x3c000000
	v_and_b32_e32 v4, 0x80000000, v4
	v_or3_b32 v15, v5, v4, v3
	buffer_store_dword v15, off, s[0:3], s32 offset:232 ; 4-byte Folded Spill
	buffer_store_dword v16, off, s[0:3], s32 offset:236 ; 4-byte Folded Spill
.LBB255_49:                             ;   in Loop: Header=BB255_11 Depth=1
	s_or_b32 exec_lo, exec_lo, s21
.LBB255_50:                             ;   in Loop: Header=BB255_11 Depth=1
	s_or_b32 exec_lo, exec_lo, s17
.LBB255_51:                             ;   in Loop: Header=BB255_11 Depth=1
	s_or_b32 exec_lo, exec_lo, s13
	v_cmp_ne_u16_sdwa s5, v2, v16 src0_sel:BYTE_1 src1_sel:DWORD
	s_and_saveexec_b32 s13, s5
	s_cbranch_execz .LBB255_59
; %bb.52:                               ;   in Loop: Header=BB255_11 Depth=1
	v_mov_b32_e32 v3, 0x80
	v_mov_b32_e32 v50, v16
	buffer_store_dword v50, off, s[0:3], s32 offset:240 ; 4-byte Folded Spill
	buffer_store_dword v51, off, s[0:3], s32 offset:244 ; 4-byte Folded Spill
	v_cmp_ne_u16_sdwa s5, v2, v3 src0_sel:BYTE_1 src1_sel:DWORD
	s_and_saveexec_b32 s17, s5
	s_cbranch_execz .LBB255_58
; %bb.53:                               ;   in Loop: Header=BB255_11 Depth=1
	v_mov_b32_e32 v3, 0xffff
	v_mov_b32_e32 v70, v16
	s_mov_b32 s21, exec_lo
	buffer_store_dword v70, off, s[0:3], s32 offset:240 ; 4-byte Folded Spill
	buffer_store_dword v71, off, s[0:3], s32 offset:244 ; 4-byte Folded Spill
	v_and_b32_sdwa v3, v3, v2 dst_sel:DWORD dst_unused:UNUSED_PAD src0_sel:DWORD src1_sel:BYTE_1
	v_and_b32_e32 v4, 0x7f, v3
	v_cmpx_ne_u32_e32 0x7f, v4
	s_cbranch_execz .LBB255_57
; %bb.54:                               ;   in Loop: Header=BB255_11 Depth=1
	v_and_b32_e32 v15, 7, v3
	v_lshrrev_b32_e32 v3, 3, v4
	s_mov_b32 s22, exec_lo
	v_cmpx_gt_u32_e32 8, v4
; %bb.55:                               ;   in Loop: Header=BB255_11 Depth=1
	v_ffbh_u32_e32 v3, v15
	v_min_u32_e32 v3, 32, v3
	v_subrev_nc_u32_e32 v4, 28, v3
	v_sub_nc_u32_e32 v3, 29, v3
	v_lshlrev_b64 v[4:5], v4, v[15:16]
	v_and_b32_e32 v15, 7, v4
; %bb.56:                               ;   in Loop: Header=BB255_11 Depth=1
	s_or_b32 exec_lo, exec_lo, s22
	v_lshlrev_b32_e32 v4, 16, v2
	v_lshlrev_b32_e32 v5, 20, v15
	v_lshl_add_u32 v3, v3, 23, 0x3c000000
	v_and_b32_e32 v4, 0x80000000, v4
	v_or3_b32 v4, v5, v4, v3
	v_mov_b32_e32 v3, v16
	buffer_store_dword v3, off, s[0:3], s32 offset:240 ; 4-byte Folded Spill
	buffer_store_dword v4, off, s[0:3], s32 offset:244 ; 4-byte Folded Spill
.LBB255_57:                             ;   in Loop: Header=BB255_11 Depth=1
	s_or_b32 exec_lo, exec_lo, s21
.LBB255_58:                             ;   in Loop: Header=BB255_11 Depth=1
	s_or_b32 exec_lo, exec_lo, s17
.LBB255_59:                             ;   in Loop: Header=BB255_11 Depth=1
	s_or_b32 exec_lo, exec_lo, s13
	v_mov_b32_e32 v4, 0
	v_mov_b32_e32 v5, 0
	;; [unrolled: 1-line block ×3, first 2 shown]
	s_mov_b32 s13, exec_lo
	buffer_store_dword v4, off, s[0:3], s32 offset:248 ; 4-byte Folded Spill
	buffer_store_dword v5, off, s[0:3], s32 offset:252 ; 4-byte Folded Spill
	v_mov_b32_e32 v4, 0
	v_and_b32_sdwa v3, v2, v3 dst_sel:DWORD dst_unused:UNUSED_PAD src0_sel:WORD_1 src1_sel:DWORD
	v_mov_b32_e32 v5, 0
	buffer_store_dword v4, off, s[0:3], s32 offset:256 ; 4-byte Folded Spill
	buffer_store_dword v5, off, s[0:3], s32 offset:260 ; 4-byte Folded Spill
	v_cmpx_ne_u16_e32 0, v3
	s_cbranch_execz .LBB255_67
; %bb.60:                               ;   in Loop: Header=BB255_11 Depth=1
	v_cmp_ne_u16_e64 s5, 0x80, v3
	v_bfrev_b32_e32 v3, 1
	v_mov_b32_e32 v4, 0
	buffer_store_dword v3, off, s[0:3], s32 offset:256 ; 4-byte Folded Spill
	buffer_store_dword v4, off, s[0:3], s32 offset:260 ; 4-byte Folded Spill
	s_and_saveexec_b32 s17, s5
	s_cbranch_execz .LBB255_66
; %bb.61:                               ;   in Loop: Header=BB255_11 Depth=1
	v_mov_b32_e32 v5, 0x7f800001
	v_bfe_u32 v4, v2, 16, 7
	v_mov_b32_e32 v6, 0
	s_mov_b32 s21, exec_lo
	buffer_store_dword v5, off, s[0:3], s32 offset:256 ; 4-byte Folded Spill
	buffer_store_dword v6, off, s[0:3], s32 offset:260 ; 4-byte Folded Spill
	v_cmpx_ne_u32_e32 0x7f, v4
	s_cbranch_execz .LBB255_65
; %bb.62:                               ;   in Loop: Header=BB255_11 Depth=1
	v_mov_b32_e32 v3, 7
	s_mov_b32 s22, exec_lo
	v_and_b32_sdwa v15, v2, v3 dst_sel:DWORD dst_unused:UNUSED_PAD src0_sel:WORD_1 src1_sel:DWORD
	v_lshrrev_b32_e32 v3, 3, v4
	v_cmpx_gt_u32_e32 8, v4
; %bb.63:                               ;   in Loop: Header=BB255_11 Depth=1
	v_ffbh_u32_e32 v3, v15
	v_min_u32_e32 v3, 32, v3
	v_subrev_nc_u32_e32 v4, 28, v3
	v_sub_nc_u32_e32 v3, 29, v3
	v_lshlrev_b64 v[4:5], v4, v[15:16]
	v_and_b32_e32 v15, 7, v4
; %bb.64:                               ;   in Loop: Header=BB255_11 Depth=1
	s_or_b32 exec_lo, exec_lo, s22
	v_mov_b32_e32 v4, 24
	v_lshlrev_b32_e32 v5, 20, v15
	v_lshl_add_u32 v3, v3, 23, 0x3c000000
	v_lshlrev_b32_sdwa v4, v4, v2 dst_sel:DWORD dst_unused:UNUSED_PAD src0_sel:DWORD src1_sel:WORD_1
	v_and_b32_e32 v4, 0x80000000, v4
	v_or3_b32 v15, v5, v4, v3
	buffer_store_dword v15, off, s[0:3], s32 offset:256 ; 4-byte Folded Spill
	buffer_store_dword v16, off, s[0:3], s32 offset:260 ; 4-byte Folded Spill
.LBB255_65:                             ;   in Loop: Header=BB255_11 Depth=1
	s_or_b32 exec_lo, exec_lo, s21
.LBB255_66:                             ;   in Loop: Header=BB255_11 Depth=1
	s_or_b32 exec_lo, exec_lo, s17
.LBB255_67:                             ;   in Loop: Header=BB255_11 Depth=1
	s_or_b32 exec_lo, exec_lo, s13
	s_mov_b32 s13, exec_lo
	v_cmpx_lt_u32_e32 0xffffff, v2
	s_cbranch_execz .LBB255_75
; %bb.68:                               ;   in Loop: Header=BB255_11 Depth=1
	v_mov_b32_e32 v3, 0x80
	v_mov_b32_e32 v50, v16
	buffer_store_dword v50, off, s[0:3], s32 offset:248 ; 4-byte Folded Spill
	buffer_store_dword v51, off, s[0:3], s32 offset:252 ; 4-byte Folded Spill
	v_cmp_ne_u32_sdwa s5, v2, v3 src0_sel:BYTE_3 src1_sel:DWORD
	s_and_saveexec_b32 s17, s5
	s_cbranch_execz .LBB255_74
; %bb.69:                               ;   in Loop: Header=BB255_11 Depth=1
	v_bfe_u32 v4, v2, 24, 7
	v_mov_b32_e32 v70, v16
	s_mov_b32 s21, exec_lo
	buffer_store_dword v70, off, s[0:3], s32 offset:248 ; 4-byte Folded Spill
	buffer_store_dword v71, off, s[0:3], s32 offset:252 ; 4-byte Folded Spill
	v_cmpx_ne_u32_e32 0x7f, v4
	s_cbranch_execz .LBB255_73
; %bb.70:                               ;   in Loop: Header=BB255_11 Depth=1
	v_mov_b32_e32 v3, 7
	s_mov_b32 s22, exec_lo
	v_and_b32_sdwa v15, v2, v3 dst_sel:DWORD dst_unused:UNUSED_PAD src0_sel:BYTE_3 src1_sel:DWORD
	v_lshrrev_b32_e32 v3, 3, v4
	v_cmpx_gt_u32_e32 8, v4
; %bb.71:                               ;   in Loop: Header=BB255_11 Depth=1
	v_ffbh_u32_e32 v3, v15
	v_min_u32_e32 v3, 32, v3
	v_subrev_nc_u32_e32 v4, 28, v3
	v_sub_nc_u32_e32 v3, 29, v3
	v_lshlrev_b64 v[4:5], v4, v[15:16]
	v_and_b32_e32 v15, 7, v4
; %bb.72:                               ;   in Loop: Header=BB255_11 Depth=1
	s_or_b32 exec_lo, exec_lo, s22
	v_mov_b32_e32 v4, 24
	v_lshl_add_u32 v3, v3, 23, 0x3c000000
	v_lshlrev_b32_sdwa v2, v4, v2 dst_sel:DWORD dst_unused:UNUSED_PAD src0_sel:DWORD src1_sel:BYTE_3
	v_lshlrev_b32_e32 v4, 20, v15
	v_and_b32_e32 v2, 0x80000000, v2
	v_or3_b32 v3, v4, v2, v3
	v_mov_b32_e32 v2, v16
	buffer_store_dword v2, off, s[0:3], s32 offset:248 ; 4-byte Folded Spill
	buffer_store_dword v3, off, s[0:3], s32 offset:252 ; 4-byte Folded Spill
.LBB255_73:                             ;   in Loop: Header=BB255_11 Depth=1
	s_or_b32 exec_lo, exec_lo, s21
.LBB255_74:                             ;   in Loop: Header=BB255_11 Depth=1
	s_or_b32 exec_lo, exec_lo, s17
.LBB255_75:                             ;   in Loop: Header=BB255_11 Depth=1
	s_or_b32 exec_lo, exec_lo, s13
	flat_load_dword v2, v[0:1] offset:8
	v_mov_b32_e32 v3, 0
	v_mov_b32_e32 v4, 0
	buffer_store_dword v3, off, s[0:3], s32 offset:272 ; 4-byte Folded Spill
	buffer_store_dword v4, off, s[0:3], s32 offset:276 ; 4-byte Folded Spill
	v_mov_b32_e32 v3, 0
	v_mov_b32_e32 v4, 0
	buffer_store_dword v3, off, s[0:3], s32 offset:264 ; 4-byte Folded Spill
	buffer_store_dword v4, off, s[0:3], s32 offset:268 ; 4-byte Folded Spill
	s_waitcnt vmcnt(0) lgkmcnt(0)
	v_cmp_ne_u16_sdwa s5, v2, v16 src0_sel:BYTE_0 src1_sel:DWORD
	s_and_saveexec_b32 s13, s5
	s_cbranch_execz .LBB255_83
; %bb.76:                               ;   in Loop: Header=BB255_11 Depth=1
	v_bfrev_b32_e32 v3, 1
	v_mov_b32_e32 v4, 0
	buffer_store_dword v3, off, s[0:3], s32 offset:264 ; 4-byte Folded Spill
	buffer_store_dword v4, off, s[0:3], s32 offset:268 ; 4-byte Folded Spill
	v_mov_b32_e32 v3, 0x80
	v_cmp_ne_u16_sdwa s5, v2, v3 src0_sel:BYTE_0 src1_sel:DWORD
	s_and_saveexec_b32 s17, s5
	s_cbranch_execz .LBB255_82
; %bb.77:                               ;   in Loop: Header=BB255_11 Depth=1
	v_mov_b32_e32 v5, 0x7f800001
	v_and_b32_e32 v4, 0x7f, v2
	v_mov_b32_e32 v6, 0
	s_mov_b32 s21, exec_lo
	buffer_store_dword v5, off, s[0:3], s32 offset:264 ; 4-byte Folded Spill
	buffer_store_dword v6, off, s[0:3], s32 offset:268 ; 4-byte Folded Spill
	v_cmpx_ne_u32_e32 0x7f, v4
	s_cbranch_execz .LBB255_81
; %bb.78:                               ;   in Loop: Header=BB255_11 Depth=1
	v_and_b32_e32 v15, 7, v2
	v_lshrrev_b32_e32 v3, 3, v4
	s_mov_b32 s22, exec_lo
	v_cmpx_gt_u32_e32 8, v4
; %bb.79:                               ;   in Loop: Header=BB255_11 Depth=1
	v_ffbh_u32_e32 v3, v15
	v_min_u32_e32 v3, 32, v3
	v_subrev_nc_u32_e32 v4, 28, v3
	v_sub_nc_u32_e32 v3, 29, v3
	v_lshlrev_b64 v[4:5], v4, v[15:16]
	v_and_b32_e32 v15, 7, v4
; %bb.80:                               ;   in Loop: Header=BB255_11 Depth=1
	s_or_b32 exec_lo, exec_lo, s22
	v_lshlrev_b32_e32 v4, 24, v2
	v_lshlrev_b32_e32 v5, 20, v15
	v_lshl_add_u32 v3, v3, 23, 0x3c000000
	v_and_b32_e32 v4, 0x80000000, v4
	v_or3_b32 v15, v5, v4, v3
	buffer_store_dword v15, off, s[0:3], s32 offset:264 ; 4-byte Folded Spill
	buffer_store_dword v16, off, s[0:3], s32 offset:268 ; 4-byte Folded Spill
.LBB255_81:                             ;   in Loop: Header=BB255_11 Depth=1
	s_or_b32 exec_lo, exec_lo, s21
.LBB255_82:                             ;   in Loop: Header=BB255_11 Depth=1
	s_or_b32 exec_lo, exec_lo, s17
.LBB255_83:                             ;   in Loop: Header=BB255_11 Depth=1
	s_or_b32 exec_lo, exec_lo, s13
	v_cmp_ne_u16_sdwa s5, v2, v16 src0_sel:BYTE_1 src1_sel:DWORD
	s_and_saveexec_b32 s13, s5
	s_cbranch_execz .LBB255_91
; %bb.84:                               ;   in Loop: Header=BB255_11 Depth=1
	v_mov_b32_e32 v3, 0x80
	v_mov_b32_e32 v50, v16
	buffer_store_dword v50, off, s[0:3], s32 offset:272 ; 4-byte Folded Spill
	buffer_store_dword v51, off, s[0:3], s32 offset:276 ; 4-byte Folded Spill
	v_cmp_ne_u16_sdwa s5, v2, v3 src0_sel:BYTE_1 src1_sel:DWORD
	s_and_saveexec_b32 s17, s5
	s_cbranch_execz .LBB255_90
; %bb.85:                               ;   in Loop: Header=BB255_11 Depth=1
	v_mov_b32_e32 v3, 0xffff
	v_mov_b32_e32 v70, v16
	s_mov_b32 s21, exec_lo
	buffer_store_dword v70, off, s[0:3], s32 offset:272 ; 4-byte Folded Spill
	buffer_store_dword v71, off, s[0:3], s32 offset:276 ; 4-byte Folded Spill
	v_and_b32_sdwa v3, v3, v2 dst_sel:DWORD dst_unused:UNUSED_PAD src0_sel:DWORD src1_sel:BYTE_1
	v_and_b32_e32 v4, 0x7f, v3
	v_cmpx_ne_u32_e32 0x7f, v4
	s_cbranch_execz .LBB255_89
; %bb.86:                               ;   in Loop: Header=BB255_11 Depth=1
	v_and_b32_e32 v15, 7, v3
	v_lshrrev_b32_e32 v3, 3, v4
	s_mov_b32 s22, exec_lo
	v_cmpx_gt_u32_e32 8, v4
; %bb.87:                               ;   in Loop: Header=BB255_11 Depth=1
	v_ffbh_u32_e32 v3, v15
	v_min_u32_e32 v3, 32, v3
	v_subrev_nc_u32_e32 v4, 28, v3
	v_sub_nc_u32_e32 v3, 29, v3
	v_lshlrev_b64 v[4:5], v4, v[15:16]
	v_and_b32_e32 v15, 7, v4
; %bb.88:                               ;   in Loop: Header=BB255_11 Depth=1
	s_or_b32 exec_lo, exec_lo, s22
	v_lshlrev_b32_e32 v4, 16, v2
	v_lshlrev_b32_e32 v5, 20, v15
	v_lshl_add_u32 v3, v3, 23, 0x3c000000
	v_and_b32_e32 v4, 0x80000000, v4
	v_or3_b32 v4, v5, v4, v3
	v_mov_b32_e32 v3, v16
	buffer_store_dword v3, off, s[0:3], s32 offset:272 ; 4-byte Folded Spill
	buffer_store_dword v4, off, s[0:3], s32 offset:276 ; 4-byte Folded Spill
.LBB255_89:                             ;   in Loop: Header=BB255_11 Depth=1
	s_or_b32 exec_lo, exec_lo, s21
.LBB255_90:                             ;   in Loop: Header=BB255_11 Depth=1
	s_or_b32 exec_lo, exec_lo, s17
.LBB255_91:                             ;   in Loop: Header=BB255_11 Depth=1
	s_or_b32 exec_lo, exec_lo, s13
	v_mov_b32_e32 v4, 0
	v_mov_b32_e32 v5, 0
	;; [unrolled: 1-line block ×3, first 2 shown]
	s_mov_b32 s13, exec_lo
	buffer_store_dword v4, off, s[0:3], s32 offset:280 ; 4-byte Folded Spill
	buffer_store_dword v5, off, s[0:3], s32 offset:284 ; 4-byte Folded Spill
	v_mov_b32_e32 v4, 0
	v_and_b32_sdwa v3, v2, v3 dst_sel:DWORD dst_unused:UNUSED_PAD src0_sel:WORD_1 src1_sel:DWORD
	v_mov_b32_e32 v5, 0
	buffer_store_dword v4, off, s[0:3], s32 offset:288 ; 4-byte Folded Spill
	buffer_store_dword v5, off, s[0:3], s32 offset:292 ; 4-byte Folded Spill
	v_cmpx_ne_u16_e32 0, v3
	s_cbranch_execz .LBB255_99
; %bb.92:                               ;   in Loop: Header=BB255_11 Depth=1
	v_cmp_ne_u16_e64 s5, 0x80, v3
	v_bfrev_b32_e32 v3, 1
	v_mov_b32_e32 v4, 0
	buffer_store_dword v3, off, s[0:3], s32 offset:288 ; 4-byte Folded Spill
	buffer_store_dword v4, off, s[0:3], s32 offset:292 ; 4-byte Folded Spill
	s_and_saveexec_b32 s17, s5
	s_cbranch_execz .LBB255_98
; %bb.93:                               ;   in Loop: Header=BB255_11 Depth=1
	v_mov_b32_e32 v5, 0x7f800001
	v_bfe_u32 v4, v2, 16, 7
	v_mov_b32_e32 v6, 0
	s_mov_b32 s21, exec_lo
	buffer_store_dword v5, off, s[0:3], s32 offset:288 ; 4-byte Folded Spill
	buffer_store_dword v6, off, s[0:3], s32 offset:292 ; 4-byte Folded Spill
	v_cmpx_ne_u32_e32 0x7f, v4
	s_cbranch_execz .LBB255_97
; %bb.94:                               ;   in Loop: Header=BB255_11 Depth=1
	v_mov_b32_e32 v3, 7
	s_mov_b32 s22, exec_lo
	v_and_b32_sdwa v15, v2, v3 dst_sel:DWORD dst_unused:UNUSED_PAD src0_sel:WORD_1 src1_sel:DWORD
	v_lshrrev_b32_e32 v3, 3, v4
	v_cmpx_gt_u32_e32 8, v4
; %bb.95:                               ;   in Loop: Header=BB255_11 Depth=1
	v_ffbh_u32_e32 v3, v15
	v_min_u32_e32 v3, 32, v3
	v_subrev_nc_u32_e32 v4, 28, v3
	v_sub_nc_u32_e32 v3, 29, v3
	v_lshlrev_b64 v[4:5], v4, v[15:16]
	v_and_b32_e32 v15, 7, v4
; %bb.96:                               ;   in Loop: Header=BB255_11 Depth=1
	s_or_b32 exec_lo, exec_lo, s22
	v_mov_b32_e32 v4, 24
	v_lshlrev_b32_e32 v5, 20, v15
	v_lshl_add_u32 v3, v3, 23, 0x3c000000
	v_lshlrev_b32_sdwa v4, v4, v2 dst_sel:DWORD dst_unused:UNUSED_PAD src0_sel:DWORD src1_sel:WORD_1
	v_and_b32_e32 v4, 0x80000000, v4
	v_or3_b32 v15, v5, v4, v3
	buffer_store_dword v15, off, s[0:3], s32 offset:288 ; 4-byte Folded Spill
	buffer_store_dword v16, off, s[0:3], s32 offset:292 ; 4-byte Folded Spill
.LBB255_97:                             ;   in Loop: Header=BB255_11 Depth=1
	s_or_b32 exec_lo, exec_lo, s21
.LBB255_98:                             ;   in Loop: Header=BB255_11 Depth=1
	s_or_b32 exec_lo, exec_lo, s17
.LBB255_99:                             ;   in Loop: Header=BB255_11 Depth=1
	s_or_b32 exec_lo, exec_lo, s13
	s_mov_b32 s13, exec_lo
	v_cmpx_lt_u32_e32 0xffffff, v2
	s_cbranch_execz .LBB255_107
; %bb.100:                              ;   in Loop: Header=BB255_11 Depth=1
	v_mov_b32_e32 v3, 0x80
	v_mov_b32_e32 v50, v16
	buffer_store_dword v50, off, s[0:3], s32 offset:280 ; 4-byte Folded Spill
	buffer_store_dword v51, off, s[0:3], s32 offset:284 ; 4-byte Folded Spill
	v_cmp_ne_u32_sdwa s5, v2, v3 src0_sel:BYTE_3 src1_sel:DWORD
	s_and_saveexec_b32 s17, s5
	s_cbranch_execz .LBB255_106
; %bb.101:                              ;   in Loop: Header=BB255_11 Depth=1
	v_bfe_u32 v4, v2, 24, 7
	v_mov_b32_e32 v70, v16
	s_mov_b32 s21, exec_lo
	buffer_store_dword v70, off, s[0:3], s32 offset:280 ; 4-byte Folded Spill
	buffer_store_dword v71, off, s[0:3], s32 offset:284 ; 4-byte Folded Spill
	v_cmpx_ne_u32_e32 0x7f, v4
	s_cbranch_execz .LBB255_105
; %bb.102:                              ;   in Loop: Header=BB255_11 Depth=1
	v_mov_b32_e32 v3, 7
	s_mov_b32 s22, exec_lo
	v_and_b32_sdwa v15, v2, v3 dst_sel:DWORD dst_unused:UNUSED_PAD src0_sel:BYTE_3 src1_sel:DWORD
	v_lshrrev_b32_e32 v3, 3, v4
	v_cmpx_gt_u32_e32 8, v4
; %bb.103:                              ;   in Loop: Header=BB255_11 Depth=1
	v_ffbh_u32_e32 v3, v15
	v_min_u32_e32 v3, 32, v3
	v_subrev_nc_u32_e32 v4, 28, v3
	v_sub_nc_u32_e32 v3, 29, v3
	v_lshlrev_b64 v[4:5], v4, v[15:16]
	v_and_b32_e32 v15, 7, v4
; %bb.104:                              ;   in Loop: Header=BB255_11 Depth=1
	s_or_b32 exec_lo, exec_lo, s22
	v_mov_b32_e32 v4, 24
	v_lshl_add_u32 v3, v3, 23, 0x3c000000
	v_lshlrev_b32_sdwa v2, v4, v2 dst_sel:DWORD dst_unused:UNUSED_PAD src0_sel:DWORD src1_sel:BYTE_3
	v_lshlrev_b32_e32 v4, 20, v15
	v_and_b32_e32 v2, 0x80000000, v2
	v_or3_b32 v3, v4, v2, v3
	v_mov_b32_e32 v2, v16
	buffer_store_dword v2, off, s[0:3], s32 offset:280 ; 4-byte Folded Spill
	buffer_store_dword v3, off, s[0:3], s32 offset:284 ; 4-byte Folded Spill
.LBB255_105:                            ;   in Loop: Header=BB255_11 Depth=1
	s_or_b32 exec_lo, exec_lo, s21
.LBB255_106:                            ;   in Loop: Header=BB255_11 Depth=1
	s_or_b32 exec_lo, exec_lo, s17
.LBB255_107:                            ;   in Loop: Header=BB255_11 Depth=1
	s_or_b32 exec_lo, exec_lo, s13
	flat_load_dword v2, v[0:1] offset:12
	v_mov_b32_e32 v3, 0
	v_mov_b32_e32 v4, 0
	buffer_store_dword v3, off, s[0:3], s32 offset:304 ; 4-byte Folded Spill
	buffer_store_dword v4, off, s[0:3], s32 offset:308 ; 4-byte Folded Spill
	v_mov_b32_e32 v3, 0
	v_mov_b32_e32 v4, 0
	buffer_store_dword v3, off, s[0:3], s32 offset:296 ; 4-byte Folded Spill
	buffer_store_dword v4, off, s[0:3], s32 offset:300 ; 4-byte Folded Spill
	s_waitcnt vmcnt(0) lgkmcnt(0)
	v_cmp_ne_u16_sdwa s5, v2, v16 src0_sel:BYTE_0 src1_sel:DWORD
	s_and_saveexec_b32 s13, s5
	s_cbranch_execz .LBB255_115
; %bb.108:                              ;   in Loop: Header=BB255_11 Depth=1
	v_bfrev_b32_e32 v3, 1
	v_mov_b32_e32 v4, 0
	buffer_store_dword v3, off, s[0:3], s32 offset:296 ; 4-byte Folded Spill
	buffer_store_dword v4, off, s[0:3], s32 offset:300 ; 4-byte Folded Spill
	v_mov_b32_e32 v3, 0x80
	v_cmp_ne_u16_sdwa s5, v2, v3 src0_sel:BYTE_0 src1_sel:DWORD
	s_and_saveexec_b32 s17, s5
	s_cbranch_execz .LBB255_114
; %bb.109:                              ;   in Loop: Header=BB255_11 Depth=1
	v_mov_b32_e32 v5, 0x7f800001
	v_and_b32_e32 v4, 0x7f, v2
	v_mov_b32_e32 v6, 0
	s_mov_b32 s21, exec_lo
	buffer_store_dword v5, off, s[0:3], s32 offset:296 ; 4-byte Folded Spill
	buffer_store_dword v6, off, s[0:3], s32 offset:300 ; 4-byte Folded Spill
	v_cmpx_ne_u32_e32 0x7f, v4
	s_cbranch_execz .LBB255_113
; %bb.110:                              ;   in Loop: Header=BB255_11 Depth=1
	v_and_b32_e32 v15, 7, v2
	v_lshrrev_b32_e32 v3, 3, v4
	s_mov_b32 s22, exec_lo
	v_cmpx_gt_u32_e32 8, v4
; %bb.111:                              ;   in Loop: Header=BB255_11 Depth=1
	v_ffbh_u32_e32 v3, v15
	v_min_u32_e32 v3, 32, v3
	v_subrev_nc_u32_e32 v4, 28, v3
	v_sub_nc_u32_e32 v3, 29, v3
	v_lshlrev_b64 v[4:5], v4, v[15:16]
	v_and_b32_e32 v15, 7, v4
; %bb.112:                              ;   in Loop: Header=BB255_11 Depth=1
	s_or_b32 exec_lo, exec_lo, s22
	v_lshlrev_b32_e32 v4, 24, v2
	v_lshlrev_b32_e32 v5, 20, v15
	v_lshl_add_u32 v3, v3, 23, 0x3c000000
	v_and_b32_e32 v4, 0x80000000, v4
	v_or3_b32 v15, v5, v4, v3
	buffer_store_dword v15, off, s[0:3], s32 offset:296 ; 4-byte Folded Spill
	buffer_store_dword v16, off, s[0:3], s32 offset:300 ; 4-byte Folded Spill
.LBB255_113:                            ;   in Loop: Header=BB255_11 Depth=1
	s_or_b32 exec_lo, exec_lo, s21
.LBB255_114:                            ;   in Loop: Header=BB255_11 Depth=1
	s_or_b32 exec_lo, exec_lo, s17
.LBB255_115:                            ;   in Loop: Header=BB255_11 Depth=1
	s_or_b32 exec_lo, exec_lo, s13
	v_cmp_ne_u16_sdwa s5, v2, v16 src0_sel:BYTE_1 src1_sel:DWORD
	s_and_saveexec_b32 s13, s5
	s_cbranch_execz .LBB255_123
; %bb.116:                              ;   in Loop: Header=BB255_11 Depth=1
	v_mov_b32_e32 v3, 0x80
	v_mov_b32_e32 v50, v16
	buffer_store_dword v50, off, s[0:3], s32 offset:304 ; 4-byte Folded Spill
	buffer_store_dword v51, off, s[0:3], s32 offset:308 ; 4-byte Folded Spill
	v_cmp_ne_u16_sdwa s5, v2, v3 src0_sel:BYTE_1 src1_sel:DWORD
	s_and_saveexec_b32 s17, s5
	s_cbranch_execz .LBB255_122
; %bb.117:                              ;   in Loop: Header=BB255_11 Depth=1
	v_mov_b32_e32 v3, 0xffff
	v_mov_b32_e32 v70, v16
	s_mov_b32 s21, exec_lo
	buffer_store_dword v70, off, s[0:3], s32 offset:304 ; 4-byte Folded Spill
	buffer_store_dword v71, off, s[0:3], s32 offset:308 ; 4-byte Folded Spill
	v_and_b32_sdwa v3, v3, v2 dst_sel:DWORD dst_unused:UNUSED_PAD src0_sel:DWORD src1_sel:BYTE_1
	v_and_b32_e32 v4, 0x7f, v3
	v_cmpx_ne_u32_e32 0x7f, v4
	s_cbranch_execz .LBB255_121
; %bb.118:                              ;   in Loop: Header=BB255_11 Depth=1
	v_and_b32_e32 v15, 7, v3
	v_lshrrev_b32_e32 v3, 3, v4
	s_mov_b32 s22, exec_lo
	v_cmpx_gt_u32_e32 8, v4
; %bb.119:                              ;   in Loop: Header=BB255_11 Depth=1
	v_ffbh_u32_e32 v3, v15
	v_min_u32_e32 v3, 32, v3
	v_subrev_nc_u32_e32 v4, 28, v3
	v_sub_nc_u32_e32 v3, 29, v3
	v_lshlrev_b64 v[4:5], v4, v[15:16]
	v_and_b32_e32 v15, 7, v4
; %bb.120:                              ;   in Loop: Header=BB255_11 Depth=1
	s_or_b32 exec_lo, exec_lo, s22
	v_lshlrev_b32_e32 v4, 16, v2
	v_lshlrev_b32_e32 v5, 20, v15
	v_lshl_add_u32 v3, v3, 23, 0x3c000000
	v_and_b32_e32 v4, 0x80000000, v4
	v_or3_b32 v4, v5, v4, v3
	v_mov_b32_e32 v3, v16
	buffer_store_dword v3, off, s[0:3], s32 offset:304 ; 4-byte Folded Spill
	buffer_store_dword v4, off, s[0:3], s32 offset:308 ; 4-byte Folded Spill
.LBB255_121:                            ;   in Loop: Header=BB255_11 Depth=1
	s_or_b32 exec_lo, exec_lo, s21
.LBB255_122:                            ;   in Loop: Header=BB255_11 Depth=1
	s_or_b32 exec_lo, exec_lo, s17
.LBB255_123:                            ;   in Loop: Header=BB255_11 Depth=1
	s_or_b32 exec_lo, exec_lo, s13
	v_mov_b32_e32 v4, 0
	v_mov_b32_e32 v5, 0
	;; [unrolled: 1-line block ×3, first 2 shown]
	s_mov_b32 s13, exec_lo
	buffer_store_dword v4, off, s[0:3], s32 offset:312 ; 4-byte Folded Spill
	buffer_store_dword v5, off, s[0:3], s32 offset:316 ; 4-byte Folded Spill
	v_mov_b32_e32 v4, 0
	v_and_b32_sdwa v3, v2, v3 dst_sel:DWORD dst_unused:UNUSED_PAD src0_sel:WORD_1 src1_sel:DWORD
	v_mov_b32_e32 v5, 0
	buffer_store_dword v4, off, s[0:3], s32 offset:320 ; 4-byte Folded Spill
	buffer_store_dword v5, off, s[0:3], s32 offset:324 ; 4-byte Folded Spill
	v_cmpx_ne_u16_e32 0, v3
	s_cbranch_execz .LBB255_131
; %bb.124:                              ;   in Loop: Header=BB255_11 Depth=1
	v_cmp_ne_u16_e64 s5, 0x80, v3
	v_bfrev_b32_e32 v3, 1
	v_mov_b32_e32 v4, 0
	buffer_store_dword v3, off, s[0:3], s32 offset:320 ; 4-byte Folded Spill
	buffer_store_dword v4, off, s[0:3], s32 offset:324 ; 4-byte Folded Spill
	s_and_saveexec_b32 s17, s5
	s_cbranch_execz .LBB255_130
; %bb.125:                              ;   in Loop: Header=BB255_11 Depth=1
	v_mov_b32_e32 v5, 0x7f800001
	v_bfe_u32 v4, v2, 16, 7
	v_mov_b32_e32 v6, 0
	s_mov_b32 s21, exec_lo
	buffer_store_dword v5, off, s[0:3], s32 offset:320 ; 4-byte Folded Spill
	buffer_store_dword v6, off, s[0:3], s32 offset:324 ; 4-byte Folded Spill
	v_cmpx_ne_u32_e32 0x7f, v4
	s_cbranch_execz .LBB255_129
; %bb.126:                              ;   in Loop: Header=BB255_11 Depth=1
	v_mov_b32_e32 v3, 7
	s_mov_b32 s22, exec_lo
	v_and_b32_sdwa v15, v2, v3 dst_sel:DWORD dst_unused:UNUSED_PAD src0_sel:WORD_1 src1_sel:DWORD
	v_lshrrev_b32_e32 v3, 3, v4
	v_cmpx_gt_u32_e32 8, v4
; %bb.127:                              ;   in Loop: Header=BB255_11 Depth=1
	v_ffbh_u32_e32 v3, v15
	v_min_u32_e32 v3, 32, v3
	v_subrev_nc_u32_e32 v4, 28, v3
	v_sub_nc_u32_e32 v3, 29, v3
	v_lshlrev_b64 v[4:5], v4, v[15:16]
	v_and_b32_e32 v15, 7, v4
; %bb.128:                              ;   in Loop: Header=BB255_11 Depth=1
	s_or_b32 exec_lo, exec_lo, s22
	v_mov_b32_e32 v4, 24
	v_lshlrev_b32_e32 v5, 20, v15
	v_lshl_add_u32 v3, v3, 23, 0x3c000000
	v_lshlrev_b32_sdwa v4, v4, v2 dst_sel:DWORD dst_unused:UNUSED_PAD src0_sel:DWORD src1_sel:WORD_1
	v_and_b32_e32 v4, 0x80000000, v4
	v_or3_b32 v15, v5, v4, v3
	buffer_store_dword v15, off, s[0:3], s32 offset:320 ; 4-byte Folded Spill
	buffer_store_dword v16, off, s[0:3], s32 offset:324 ; 4-byte Folded Spill
.LBB255_129:                            ;   in Loop: Header=BB255_11 Depth=1
	s_or_b32 exec_lo, exec_lo, s21
.LBB255_130:                            ;   in Loop: Header=BB255_11 Depth=1
	s_or_b32 exec_lo, exec_lo, s17
.LBB255_131:                            ;   in Loop: Header=BB255_11 Depth=1
	s_or_b32 exec_lo, exec_lo, s13
	s_mov_b32 s13, exec_lo
	v_cmpx_lt_u32_e32 0xffffff, v2
	s_cbranch_execz .LBB255_139
; %bb.132:                              ;   in Loop: Header=BB255_11 Depth=1
	v_mov_b32_e32 v3, 0x80
	v_mov_b32_e32 v50, v16
	buffer_store_dword v50, off, s[0:3], s32 offset:312 ; 4-byte Folded Spill
	buffer_store_dword v51, off, s[0:3], s32 offset:316 ; 4-byte Folded Spill
	v_cmp_ne_u32_sdwa s5, v2, v3 src0_sel:BYTE_3 src1_sel:DWORD
	s_and_saveexec_b32 s17, s5
	s_cbranch_execz .LBB255_138
; %bb.133:                              ;   in Loop: Header=BB255_11 Depth=1
	v_bfe_u32 v4, v2, 24, 7
	v_mov_b32_e32 v70, v16
	s_mov_b32 s21, exec_lo
	buffer_store_dword v70, off, s[0:3], s32 offset:312 ; 4-byte Folded Spill
	buffer_store_dword v71, off, s[0:3], s32 offset:316 ; 4-byte Folded Spill
	v_cmpx_ne_u32_e32 0x7f, v4
	s_cbranch_execz .LBB255_137
; %bb.134:                              ;   in Loop: Header=BB255_11 Depth=1
	v_mov_b32_e32 v3, 7
	s_mov_b32 s22, exec_lo
	v_and_b32_sdwa v15, v2, v3 dst_sel:DWORD dst_unused:UNUSED_PAD src0_sel:BYTE_3 src1_sel:DWORD
	v_lshrrev_b32_e32 v3, 3, v4
	v_cmpx_gt_u32_e32 8, v4
; %bb.135:                              ;   in Loop: Header=BB255_11 Depth=1
	v_ffbh_u32_e32 v3, v15
	v_min_u32_e32 v3, 32, v3
	v_subrev_nc_u32_e32 v4, 28, v3
	v_sub_nc_u32_e32 v3, 29, v3
	v_lshlrev_b64 v[4:5], v4, v[15:16]
	v_and_b32_e32 v15, 7, v4
; %bb.136:                              ;   in Loop: Header=BB255_11 Depth=1
	s_or_b32 exec_lo, exec_lo, s22
	v_mov_b32_e32 v4, 24
	v_lshl_add_u32 v3, v3, 23, 0x3c000000
	v_lshlrev_b32_sdwa v2, v4, v2 dst_sel:DWORD dst_unused:UNUSED_PAD src0_sel:DWORD src1_sel:BYTE_3
	v_lshlrev_b32_e32 v4, 20, v15
	v_and_b32_e32 v2, 0x80000000, v2
	v_or3_b32 v3, v4, v2, v3
	v_mov_b32_e32 v2, v16
	buffer_store_dword v2, off, s[0:3], s32 offset:312 ; 4-byte Folded Spill
	buffer_store_dword v3, off, s[0:3], s32 offset:316 ; 4-byte Folded Spill
.LBB255_137:                            ;   in Loop: Header=BB255_11 Depth=1
	s_or_b32 exec_lo, exec_lo, s21
.LBB255_138:                            ;   in Loop: Header=BB255_11 Depth=1
	s_or_b32 exec_lo, exec_lo, s17
.LBB255_139:                            ;   in Loop: Header=BB255_11 Depth=1
	s_or_b32 exec_lo, exec_lo, s13
	flat_load_dword v2, v[0:1] offset:512
	v_mov_b32_e32 v3, 0
	v_mov_b32_e32 v4, 0
	buffer_store_dword v3, off, s[0:3], s32 offset:336 ; 4-byte Folded Spill
	buffer_store_dword v4, off, s[0:3], s32 offset:340 ; 4-byte Folded Spill
	v_mov_b32_e32 v3, 0
	v_mov_b32_e32 v4, 0
	buffer_store_dword v3, off, s[0:3], s32 offset:328 ; 4-byte Folded Spill
	buffer_store_dword v4, off, s[0:3], s32 offset:332 ; 4-byte Folded Spill
	s_waitcnt vmcnt(0) lgkmcnt(0)
	v_cmp_ne_u16_sdwa s5, v2, v16 src0_sel:BYTE_0 src1_sel:DWORD
	s_and_saveexec_b32 s13, s5
	s_cbranch_execz .LBB255_147
; %bb.140:                              ;   in Loop: Header=BB255_11 Depth=1
	v_bfrev_b32_e32 v3, 1
	v_mov_b32_e32 v4, 0
	buffer_store_dword v3, off, s[0:3], s32 offset:328 ; 4-byte Folded Spill
	buffer_store_dword v4, off, s[0:3], s32 offset:332 ; 4-byte Folded Spill
	v_mov_b32_e32 v3, 0x80
	v_cmp_ne_u16_sdwa s5, v2, v3 src0_sel:BYTE_0 src1_sel:DWORD
	s_and_saveexec_b32 s17, s5
	s_cbranch_execz .LBB255_146
; %bb.141:                              ;   in Loop: Header=BB255_11 Depth=1
	v_mov_b32_e32 v5, 0x7f800001
	v_and_b32_e32 v4, 0x7f, v2
	v_mov_b32_e32 v6, 0
	s_mov_b32 s21, exec_lo
	buffer_store_dword v5, off, s[0:3], s32 offset:328 ; 4-byte Folded Spill
	buffer_store_dword v6, off, s[0:3], s32 offset:332 ; 4-byte Folded Spill
	v_cmpx_ne_u32_e32 0x7f, v4
	s_cbranch_execz .LBB255_145
; %bb.142:                              ;   in Loop: Header=BB255_11 Depth=1
	v_and_b32_e32 v15, 7, v2
	v_lshrrev_b32_e32 v3, 3, v4
	s_mov_b32 s22, exec_lo
	v_cmpx_gt_u32_e32 8, v4
; %bb.143:                              ;   in Loop: Header=BB255_11 Depth=1
	v_ffbh_u32_e32 v3, v15
	v_min_u32_e32 v3, 32, v3
	v_subrev_nc_u32_e32 v4, 28, v3
	v_sub_nc_u32_e32 v3, 29, v3
	v_lshlrev_b64 v[4:5], v4, v[15:16]
	v_and_b32_e32 v15, 7, v4
; %bb.144:                              ;   in Loop: Header=BB255_11 Depth=1
	s_or_b32 exec_lo, exec_lo, s22
	v_lshlrev_b32_e32 v4, 24, v2
	v_lshlrev_b32_e32 v5, 20, v15
	v_lshl_add_u32 v3, v3, 23, 0x3c000000
	v_and_b32_e32 v4, 0x80000000, v4
	v_or3_b32 v15, v5, v4, v3
	buffer_store_dword v15, off, s[0:3], s32 offset:328 ; 4-byte Folded Spill
	buffer_store_dword v16, off, s[0:3], s32 offset:332 ; 4-byte Folded Spill
.LBB255_145:                            ;   in Loop: Header=BB255_11 Depth=1
	s_or_b32 exec_lo, exec_lo, s21
.LBB255_146:                            ;   in Loop: Header=BB255_11 Depth=1
	s_or_b32 exec_lo, exec_lo, s17
.LBB255_147:                            ;   in Loop: Header=BB255_11 Depth=1
	s_or_b32 exec_lo, exec_lo, s13
	v_cmp_ne_u16_sdwa s5, v2, v16 src0_sel:BYTE_1 src1_sel:DWORD
	s_and_saveexec_b32 s13, s5
	s_cbranch_execz .LBB255_155
; %bb.148:                              ;   in Loop: Header=BB255_11 Depth=1
	v_mov_b32_e32 v3, 0x80
	v_mov_b32_e32 v50, v16
	buffer_store_dword v50, off, s[0:3], s32 offset:336 ; 4-byte Folded Spill
	buffer_store_dword v51, off, s[0:3], s32 offset:340 ; 4-byte Folded Spill
	v_cmp_ne_u16_sdwa s5, v2, v3 src0_sel:BYTE_1 src1_sel:DWORD
	s_and_saveexec_b32 s17, s5
	s_cbranch_execz .LBB255_154
; %bb.149:                              ;   in Loop: Header=BB255_11 Depth=1
	v_mov_b32_e32 v3, 0xffff
	v_mov_b32_e32 v70, v16
	s_mov_b32 s21, exec_lo
	buffer_store_dword v70, off, s[0:3], s32 offset:336 ; 4-byte Folded Spill
	buffer_store_dword v71, off, s[0:3], s32 offset:340 ; 4-byte Folded Spill
	v_and_b32_sdwa v3, v3, v2 dst_sel:DWORD dst_unused:UNUSED_PAD src0_sel:DWORD src1_sel:BYTE_1
	v_and_b32_e32 v4, 0x7f, v3
	v_cmpx_ne_u32_e32 0x7f, v4
	s_cbranch_execz .LBB255_153
; %bb.150:                              ;   in Loop: Header=BB255_11 Depth=1
	v_and_b32_e32 v15, 7, v3
	v_lshrrev_b32_e32 v3, 3, v4
	s_mov_b32 s22, exec_lo
	v_cmpx_gt_u32_e32 8, v4
; %bb.151:                              ;   in Loop: Header=BB255_11 Depth=1
	v_ffbh_u32_e32 v3, v15
	v_min_u32_e32 v3, 32, v3
	v_subrev_nc_u32_e32 v4, 28, v3
	v_sub_nc_u32_e32 v3, 29, v3
	v_lshlrev_b64 v[4:5], v4, v[15:16]
	v_and_b32_e32 v15, 7, v4
; %bb.152:                              ;   in Loop: Header=BB255_11 Depth=1
	s_or_b32 exec_lo, exec_lo, s22
	v_lshlrev_b32_e32 v4, 16, v2
	v_lshlrev_b32_e32 v5, 20, v15
	v_lshl_add_u32 v3, v3, 23, 0x3c000000
	v_and_b32_e32 v4, 0x80000000, v4
	v_or3_b32 v4, v5, v4, v3
	v_mov_b32_e32 v3, v16
	buffer_store_dword v3, off, s[0:3], s32 offset:336 ; 4-byte Folded Spill
	buffer_store_dword v4, off, s[0:3], s32 offset:340 ; 4-byte Folded Spill
.LBB255_153:                            ;   in Loop: Header=BB255_11 Depth=1
	s_or_b32 exec_lo, exec_lo, s21
.LBB255_154:                            ;   in Loop: Header=BB255_11 Depth=1
	s_or_b32 exec_lo, exec_lo, s17
.LBB255_155:                            ;   in Loop: Header=BB255_11 Depth=1
	s_or_b32 exec_lo, exec_lo, s13
	v_mov_b32_e32 v4, 0
	v_mov_b32_e32 v5, 0
	;; [unrolled: 1-line block ×3, first 2 shown]
	s_mov_b32 s13, exec_lo
	buffer_store_dword v4, off, s[0:3], s32 offset:344 ; 4-byte Folded Spill
	buffer_store_dword v5, off, s[0:3], s32 offset:348 ; 4-byte Folded Spill
	v_mov_b32_e32 v4, 0
	v_and_b32_sdwa v3, v2, v3 dst_sel:DWORD dst_unused:UNUSED_PAD src0_sel:WORD_1 src1_sel:DWORD
	v_mov_b32_e32 v5, 0
	buffer_store_dword v4, off, s[0:3], s32 offset:352 ; 4-byte Folded Spill
	buffer_store_dword v5, off, s[0:3], s32 offset:356 ; 4-byte Folded Spill
	v_cmpx_ne_u16_e32 0, v3
	s_cbranch_execz .LBB255_163
; %bb.156:                              ;   in Loop: Header=BB255_11 Depth=1
	v_cmp_ne_u16_e64 s5, 0x80, v3
	v_bfrev_b32_e32 v3, 1
	v_mov_b32_e32 v4, 0
	buffer_store_dword v3, off, s[0:3], s32 offset:352 ; 4-byte Folded Spill
	buffer_store_dword v4, off, s[0:3], s32 offset:356 ; 4-byte Folded Spill
	s_and_saveexec_b32 s17, s5
	s_cbranch_execz .LBB255_162
; %bb.157:                              ;   in Loop: Header=BB255_11 Depth=1
	v_mov_b32_e32 v5, 0x7f800001
	v_bfe_u32 v4, v2, 16, 7
	v_mov_b32_e32 v6, 0
	s_mov_b32 s21, exec_lo
	buffer_store_dword v5, off, s[0:3], s32 offset:352 ; 4-byte Folded Spill
	buffer_store_dword v6, off, s[0:3], s32 offset:356 ; 4-byte Folded Spill
	v_cmpx_ne_u32_e32 0x7f, v4
	s_cbranch_execz .LBB255_161
; %bb.158:                              ;   in Loop: Header=BB255_11 Depth=1
	v_mov_b32_e32 v3, 7
	s_mov_b32 s22, exec_lo
	v_and_b32_sdwa v15, v2, v3 dst_sel:DWORD dst_unused:UNUSED_PAD src0_sel:WORD_1 src1_sel:DWORD
	v_lshrrev_b32_e32 v3, 3, v4
	v_cmpx_gt_u32_e32 8, v4
; %bb.159:                              ;   in Loop: Header=BB255_11 Depth=1
	v_ffbh_u32_e32 v3, v15
	v_min_u32_e32 v3, 32, v3
	v_subrev_nc_u32_e32 v4, 28, v3
	v_sub_nc_u32_e32 v3, 29, v3
	v_lshlrev_b64 v[4:5], v4, v[15:16]
	v_and_b32_e32 v15, 7, v4
; %bb.160:                              ;   in Loop: Header=BB255_11 Depth=1
	s_or_b32 exec_lo, exec_lo, s22
	v_mov_b32_e32 v4, 24
	v_lshlrev_b32_e32 v5, 20, v15
	v_lshl_add_u32 v3, v3, 23, 0x3c000000
	v_lshlrev_b32_sdwa v4, v4, v2 dst_sel:DWORD dst_unused:UNUSED_PAD src0_sel:DWORD src1_sel:WORD_1
	v_and_b32_e32 v4, 0x80000000, v4
	v_or3_b32 v15, v5, v4, v3
	buffer_store_dword v15, off, s[0:3], s32 offset:352 ; 4-byte Folded Spill
	buffer_store_dword v16, off, s[0:3], s32 offset:356 ; 4-byte Folded Spill
.LBB255_161:                            ;   in Loop: Header=BB255_11 Depth=1
	s_or_b32 exec_lo, exec_lo, s21
.LBB255_162:                            ;   in Loop: Header=BB255_11 Depth=1
	s_or_b32 exec_lo, exec_lo, s17
.LBB255_163:                            ;   in Loop: Header=BB255_11 Depth=1
	s_or_b32 exec_lo, exec_lo, s13
	s_mov_b32 s13, exec_lo
	v_cmpx_lt_u32_e32 0xffffff, v2
	s_cbranch_execz .LBB255_171
; %bb.164:                              ;   in Loop: Header=BB255_11 Depth=1
	v_mov_b32_e32 v3, 0x80
	v_mov_b32_e32 v50, v16
	buffer_store_dword v50, off, s[0:3], s32 offset:344 ; 4-byte Folded Spill
	buffer_store_dword v51, off, s[0:3], s32 offset:348 ; 4-byte Folded Spill
	v_cmp_ne_u32_sdwa s5, v2, v3 src0_sel:BYTE_3 src1_sel:DWORD
	s_and_saveexec_b32 s17, s5
	s_cbranch_execz .LBB255_170
; %bb.165:                              ;   in Loop: Header=BB255_11 Depth=1
	v_bfe_u32 v4, v2, 24, 7
	v_mov_b32_e32 v70, v16
	s_mov_b32 s21, exec_lo
	buffer_store_dword v70, off, s[0:3], s32 offset:344 ; 4-byte Folded Spill
	buffer_store_dword v71, off, s[0:3], s32 offset:348 ; 4-byte Folded Spill
	v_cmpx_ne_u32_e32 0x7f, v4
	s_cbranch_execz .LBB255_169
; %bb.166:                              ;   in Loop: Header=BB255_11 Depth=1
	v_mov_b32_e32 v3, 7
	s_mov_b32 s22, exec_lo
	v_and_b32_sdwa v15, v2, v3 dst_sel:DWORD dst_unused:UNUSED_PAD src0_sel:BYTE_3 src1_sel:DWORD
	v_lshrrev_b32_e32 v3, 3, v4
	v_cmpx_gt_u32_e32 8, v4
; %bb.167:                              ;   in Loop: Header=BB255_11 Depth=1
	v_ffbh_u32_e32 v3, v15
	v_min_u32_e32 v3, 32, v3
	v_subrev_nc_u32_e32 v4, 28, v3
	v_sub_nc_u32_e32 v3, 29, v3
	v_lshlrev_b64 v[4:5], v4, v[15:16]
	v_and_b32_e32 v15, 7, v4
; %bb.168:                              ;   in Loop: Header=BB255_11 Depth=1
	s_or_b32 exec_lo, exec_lo, s22
	v_mov_b32_e32 v4, 24
	v_lshl_add_u32 v3, v3, 23, 0x3c000000
	v_lshlrev_b32_sdwa v2, v4, v2 dst_sel:DWORD dst_unused:UNUSED_PAD src0_sel:DWORD src1_sel:BYTE_3
	v_lshlrev_b32_e32 v4, 20, v15
	v_and_b32_e32 v2, 0x80000000, v2
	v_or3_b32 v3, v4, v2, v3
	v_mov_b32_e32 v2, v16
	buffer_store_dword v2, off, s[0:3], s32 offset:344 ; 4-byte Folded Spill
	buffer_store_dword v3, off, s[0:3], s32 offset:348 ; 4-byte Folded Spill
.LBB255_169:                            ;   in Loop: Header=BB255_11 Depth=1
	s_or_b32 exec_lo, exec_lo, s21
.LBB255_170:                            ;   in Loop: Header=BB255_11 Depth=1
	s_or_b32 exec_lo, exec_lo, s17
.LBB255_171:                            ;   in Loop: Header=BB255_11 Depth=1
	s_or_b32 exec_lo, exec_lo, s13
	flat_load_dword v2, v[0:1] offset:516
	v_mov_b32_e32 v3, 0
	v_mov_b32_e32 v4, 0
	buffer_store_dword v3, off, s[0:3], s32 offset:368 ; 4-byte Folded Spill
	buffer_store_dword v4, off, s[0:3], s32 offset:372 ; 4-byte Folded Spill
	v_mov_b32_e32 v3, 0
	v_mov_b32_e32 v4, 0
	buffer_store_dword v3, off, s[0:3], s32 offset:360 ; 4-byte Folded Spill
	buffer_store_dword v4, off, s[0:3], s32 offset:364 ; 4-byte Folded Spill
	s_waitcnt vmcnt(0) lgkmcnt(0)
	v_cmp_ne_u16_sdwa s5, v2, v16 src0_sel:BYTE_0 src1_sel:DWORD
	s_and_saveexec_b32 s13, s5
	s_cbranch_execz .LBB255_179
; %bb.172:                              ;   in Loop: Header=BB255_11 Depth=1
	v_bfrev_b32_e32 v3, 1
	v_mov_b32_e32 v4, 0
	buffer_store_dword v3, off, s[0:3], s32 offset:360 ; 4-byte Folded Spill
	buffer_store_dword v4, off, s[0:3], s32 offset:364 ; 4-byte Folded Spill
	v_mov_b32_e32 v3, 0x80
	v_cmp_ne_u16_sdwa s5, v2, v3 src0_sel:BYTE_0 src1_sel:DWORD
	s_and_saveexec_b32 s17, s5
	s_cbranch_execz .LBB255_178
; %bb.173:                              ;   in Loop: Header=BB255_11 Depth=1
	v_mov_b32_e32 v5, 0x7f800001
	v_and_b32_e32 v4, 0x7f, v2
	v_mov_b32_e32 v6, 0
	s_mov_b32 s21, exec_lo
	buffer_store_dword v5, off, s[0:3], s32 offset:360 ; 4-byte Folded Spill
	buffer_store_dword v6, off, s[0:3], s32 offset:364 ; 4-byte Folded Spill
	v_cmpx_ne_u32_e32 0x7f, v4
	s_cbranch_execz .LBB255_177
; %bb.174:                              ;   in Loop: Header=BB255_11 Depth=1
	v_and_b32_e32 v15, 7, v2
	v_lshrrev_b32_e32 v3, 3, v4
	s_mov_b32 s22, exec_lo
	v_cmpx_gt_u32_e32 8, v4
; %bb.175:                              ;   in Loop: Header=BB255_11 Depth=1
	v_ffbh_u32_e32 v3, v15
	v_min_u32_e32 v3, 32, v3
	v_subrev_nc_u32_e32 v4, 28, v3
	v_sub_nc_u32_e32 v3, 29, v3
	v_lshlrev_b64 v[4:5], v4, v[15:16]
	v_and_b32_e32 v15, 7, v4
; %bb.176:                              ;   in Loop: Header=BB255_11 Depth=1
	s_or_b32 exec_lo, exec_lo, s22
	v_lshlrev_b32_e32 v4, 24, v2
	v_lshlrev_b32_e32 v5, 20, v15
	v_lshl_add_u32 v3, v3, 23, 0x3c000000
	v_and_b32_e32 v4, 0x80000000, v4
	v_or3_b32 v15, v5, v4, v3
	buffer_store_dword v15, off, s[0:3], s32 offset:360 ; 4-byte Folded Spill
	buffer_store_dword v16, off, s[0:3], s32 offset:364 ; 4-byte Folded Spill
.LBB255_177:                            ;   in Loop: Header=BB255_11 Depth=1
	s_or_b32 exec_lo, exec_lo, s21
.LBB255_178:                            ;   in Loop: Header=BB255_11 Depth=1
	s_or_b32 exec_lo, exec_lo, s17
.LBB255_179:                            ;   in Loop: Header=BB255_11 Depth=1
	s_or_b32 exec_lo, exec_lo, s13
	v_cmp_ne_u16_sdwa s5, v2, v16 src0_sel:BYTE_1 src1_sel:DWORD
	s_and_saveexec_b32 s13, s5
	s_cbranch_execz .LBB255_187
; %bb.180:                              ;   in Loop: Header=BB255_11 Depth=1
	v_mov_b32_e32 v3, 0x80
	v_mov_b32_e32 v50, v16
	buffer_store_dword v50, off, s[0:3], s32 offset:368 ; 4-byte Folded Spill
	buffer_store_dword v51, off, s[0:3], s32 offset:372 ; 4-byte Folded Spill
	v_cmp_ne_u16_sdwa s5, v2, v3 src0_sel:BYTE_1 src1_sel:DWORD
	s_and_saveexec_b32 s17, s5
	s_cbranch_execz .LBB255_186
; %bb.181:                              ;   in Loop: Header=BB255_11 Depth=1
	v_mov_b32_e32 v3, 0xffff
	v_mov_b32_e32 v70, v16
	s_mov_b32 s21, exec_lo
	buffer_store_dword v70, off, s[0:3], s32 offset:368 ; 4-byte Folded Spill
	buffer_store_dword v71, off, s[0:3], s32 offset:372 ; 4-byte Folded Spill
	v_and_b32_sdwa v3, v3, v2 dst_sel:DWORD dst_unused:UNUSED_PAD src0_sel:DWORD src1_sel:BYTE_1
	v_and_b32_e32 v4, 0x7f, v3
	v_cmpx_ne_u32_e32 0x7f, v4
	s_cbranch_execz .LBB255_185
; %bb.182:                              ;   in Loop: Header=BB255_11 Depth=1
	v_and_b32_e32 v15, 7, v3
	v_lshrrev_b32_e32 v3, 3, v4
	s_mov_b32 s22, exec_lo
	v_cmpx_gt_u32_e32 8, v4
; %bb.183:                              ;   in Loop: Header=BB255_11 Depth=1
	v_ffbh_u32_e32 v3, v15
	v_min_u32_e32 v3, 32, v3
	v_subrev_nc_u32_e32 v4, 28, v3
	v_sub_nc_u32_e32 v3, 29, v3
	v_lshlrev_b64 v[4:5], v4, v[15:16]
	v_and_b32_e32 v15, 7, v4
; %bb.184:                              ;   in Loop: Header=BB255_11 Depth=1
	s_or_b32 exec_lo, exec_lo, s22
	v_lshlrev_b32_e32 v4, 16, v2
	v_lshlrev_b32_e32 v5, 20, v15
	v_lshl_add_u32 v3, v3, 23, 0x3c000000
	v_and_b32_e32 v4, 0x80000000, v4
	v_or3_b32 v4, v5, v4, v3
	v_mov_b32_e32 v3, v16
	buffer_store_dword v3, off, s[0:3], s32 offset:368 ; 4-byte Folded Spill
	buffer_store_dword v4, off, s[0:3], s32 offset:372 ; 4-byte Folded Spill
.LBB255_185:                            ;   in Loop: Header=BB255_11 Depth=1
	s_or_b32 exec_lo, exec_lo, s21
.LBB255_186:                            ;   in Loop: Header=BB255_11 Depth=1
	s_or_b32 exec_lo, exec_lo, s17
.LBB255_187:                            ;   in Loop: Header=BB255_11 Depth=1
	s_or_b32 exec_lo, exec_lo, s13
	v_mov_b32_e32 v4, 0
	v_mov_b32_e32 v5, 0
	;; [unrolled: 1-line block ×3, first 2 shown]
	s_mov_b32 s13, exec_lo
	buffer_store_dword v4, off, s[0:3], s32 offset:376 ; 4-byte Folded Spill
	buffer_store_dword v5, off, s[0:3], s32 offset:380 ; 4-byte Folded Spill
	v_mov_b32_e32 v4, 0
	v_and_b32_sdwa v3, v2, v3 dst_sel:DWORD dst_unused:UNUSED_PAD src0_sel:WORD_1 src1_sel:DWORD
	v_mov_b32_e32 v5, 0
	buffer_store_dword v4, off, s[0:3], s32 offset:384 ; 4-byte Folded Spill
	buffer_store_dword v5, off, s[0:3], s32 offset:388 ; 4-byte Folded Spill
	v_cmpx_ne_u16_e32 0, v3
	s_cbranch_execz .LBB255_195
; %bb.188:                              ;   in Loop: Header=BB255_11 Depth=1
	v_cmp_ne_u16_e64 s5, 0x80, v3
	v_bfrev_b32_e32 v3, 1
	v_mov_b32_e32 v4, 0
	buffer_store_dword v3, off, s[0:3], s32 offset:384 ; 4-byte Folded Spill
	buffer_store_dword v4, off, s[0:3], s32 offset:388 ; 4-byte Folded Spill
	s_and_saveexec_b32 s17, s5
	s_cbranch_execz .LBB255_194
; %bb.189:                              ;   in Loop: Header=BB255_11 Depth=1
	v_mov_b32_e32 v5, 0x7f800001
	v_bfe_u32 v4, v2, 16, 7
	v_mov_b32_e32 v6, 0
	s_mov_b32 s21, exec_lo
	buffer_store_dword v5, off, s[0:3], s32 offset:384 ; 4-byte Folded Spill
	buffer_store_dword v6, off, s[0:3], s32 offset:388 ; 4-byte Folded Spill
	v_cmpx_ne_u32_e32 0x7f, v4
	s_cbranch_execz .LBB255_193
; %bb.190:                              ;   in Loop: Header=BB255_11 Depth=1
	v_mov_b32_e32 v3, 7
	s_mov_b32 s22, exec_lo
	v_and_b32_sdwa v15, v2, v3 dst_sel:DWORD dst_unused:UNUSED_PAD src0_sel:WORD_1 src1_sel:DWORD
	v_lshrrev_b32_e32 v3, 3, v4
	v_cmpx_gt_u32_e32 8, v4
; %bb.191:                              ;   in Loop: Header=BB255_11 Depth=1
	v_ffbh_u32_e32 v3, v15
	v_min_u32_e32 v3, 32, v3
	v_subrev_nc_u32_e32 v4, 28, v3
	v_sub_nc_u32_e32 v3, 29, v3
	v_lshlrev_b64 v[4:5], v4, v[15:16]
	v_and_b32_e32 v15, 7, v4
; %bb.192:                              ;   in Loop: Header=BB255_11 Depth=1
	s_or_b32 exec_lo, exec_lo, s22
	v_mov_b32_e32 v4, 24
	v_lshlrev_b32_e32 v5, 20, v15
	v_lshl_add_u32 v3, v3, 23, 0x3c000000
	v_lshlrev_b32_sdwa v4, v4, v2 dst_sel:DWORD dst_unused:UNUSED_PAD src0_sel:DWORD src1_sel:WORD_1
	v_and_b32_e32 v4, 0x80000000, v4
	v_or3_b32 v15, v5, v4, v3
	buffer_store_dword v15, off, s[0:3], s32 offset:384 ; 4-byte Folded Spill
	buffer_store_dword v16, off, s[0:3], s32 offset:388 ; 4-byte Folded Spill
.LBB255_193:                            ;   in Loop: Header=BB255_11 Depth=1
	s_or_b32 exec_lo, exec_lo, s21
.LBB255_194:                            ;   in Loop: Header=BB255_11 Depth=1
	s_or_b32 exec_lo, exec_lo, s17
.LBB255_195:                            ;   in Loop: Header=BB255_11 Depth=1
	s_or_b32 exec_lo, exec_lo, s13
	s_mov_b32 s13, exec_lo
	v_cmpx_lt_u32_e32 0xffffff, v2
	s_cbranch_execz .LBB255_203
; %bb.196:                              ;   in Loop: Header=BB255_11 Depth=1
	v_mov_b32_e32 v3, 0x80
	v_mov_b32_e32 v50, v16
	buffer_store_dword v50, off, s[0:3], s32 offset:376 ; 4-byte Folded Spill
	buffer_store_dword v51, off, s[0:3], s32 offset:380 ; 4-byte Folded Spill
	v_cmp_ne_u32_sdwa s5, v2, v3 src0_sel:BYTE_3 src1_sel:DWORD
	s_and_saveexec_b32 s17, s5
	s_cbranch_execz .LBB255_202
; %bb.197:                              ;   in Loop: Header=BB255_11 Depth=1
	v_bfe_u32 v4, v2, 24, 7
	v_mov_b32_e32 v70, v16
	s_mov_b32 s21, exec_lo
	buffer_store_dword v70, off, s[0:3], s32 offset:376 ; 4-byte Folded Spill
	buffer_store_dword v71, off, s[0:3], s32 offset:380 ; 4-byte Folded Spill
	v_cmpx_ne_u32_e32 0x7f, v4
	s_cbranch_execz .LBB255_201
; %bb.198:                              ;   in Loop: Header=BB255_11 Depth=1
	v_mov_b32_e32 v3, 7
	s_mov_b32 s22, exec_lo
	v_and_b32_sdwa v15, v2, v3 dst_sel:DWORD dst_unused:UNUSED_PAD src0_sel:BYTE_3 src1_sel:DWORD
	v_lshrrev_b32_e32 v3, 3, v4
	v_cmpx_gt_u32_e32 8, v4
; %bb.199:                              ;   in Loop: Header=BB255_11 Depth=1
	v_ffbh_u32_e32 v3, v15
	v_min_u32_e32 v3, 32, v3
	v_subrev_nc_u32_e32 v4, 28, v3
	v_sub_nc_u32_e32 v3, 29, v3
	v_lshlrev_b64 v[4:5], v4, v[15:16]
	v_and_b32_e32 v15, 7, v4
; %bb.200:                              ;   in Loop: Header=BB255_11 Depth=1
	s_or_b32 exec_lo, exec_lo, s22
	v_mov_b32_e32 v4, 24
	v_lshl_add_u32 v3, v3, 23, 0x3c000000
	v_lshlrev_b32_sdwa v2, v4, v2 dst_sel:DWORD dst_unused:UNUSED_PAD src0_sel:DWORD src1_sel:BYTE_3
	v_lshlrev_b32_e32 v4, 20, v15
	v_and_b32_e32 v2, 0x80000000, v2
	v_or3_b32 v3, v4, v2, v3
	v_mov_b32_e32 v2, v16
	buffer_store_dword v2, off, s[0:3], s32 offset:376 ; 4-byte Folded Spill
	buffer_store_dword v3, off, s[0:3], s32 offset:380 ; 4-byte Folded Spill
.LBB255_201:                            ;   in Loop: Header=BB255_11 Depth=1
	s_or_b32 exec_lo, exec_lo, s21
.LBB255_202:                            ;   in Loop: Header=BB255_11 Depth=1
	s_or_b32 exec_lo, exec_lo, s17
.LBB255_203:                            ;   in Loop: Header=BB255_11 Depth=1
	s_or_b32 exec_lo, exec_lo, s13
	flat_load_dword v2, v[0:1] offset:520
	v_mov_b32_e32 v3, 0
	v_mov_b32_e32 v4, 0
	buffer_store_dword v3, off, s[0:3], s32 offset:400 ; 4-byte Folded Spill
	buffer_store_dword v4, off, s[0:3], s32 offset:404 ; 4-byte Folded Spill
	v_mov_b32_e32 v3, 0
	v_mov_b32_e32 v4, 0
	buffer_store_dword v3, off, s[0:3], s32 offset:392 ; 4-byte Folded Spill
	buffer_store_dword v4, off, s[0:3], s32 offset:396 ; 4-byte Folded Spill
	s_waitcnt vmcnt(0) lgkmcnt(0)
	v_cmp_ne_u16_sdwa s5, v2, v16 src0_sel:BYTE_0 src1_sel:DWORD
	s_and_saveexec_b32 s13, s5
	s_cbranch_execz .LBB255_211
; %bb.204:                              ;   in Loop: Header=BB255_11 Depth=1
	v_bfrev_b32_e32 v3, 1
	v_mov_b32_e32 v4, 0
	buffer_store_dword v3, off, s[0:3], s32 offset:392 ; 4-byte Folded Spill
	buffer_store_dword v4, off, s[0:3], s32 offset:396 ; 4-byte Folded Spill
	v_mov_b32_e32 v3, 0x80
	v_cmp_ne_u16_sdwa s5, v2, v3 src0_sel:BYTE_0 src1_sel:DWORD
	s_and_saveexec_b32 s17, s5
	s_cbranch_execz .LBB255_210
; %bb.205:                              ;   in Loop: Header=BB255_11 Depth=1
	v_mov_b32_e32 v5, 0x7f800001
	v_and_b32_e32 v4, 0x7f, v2
	v_mov_b32_e32 v6, 0
	s_mov_b32 s21, exec_lo
	buffer_store_dword v5, off, s[0:3], s32 offset:392 ; 4-byte Folded Spill
	buffer_store_dword v6, off, s[0:3], s32 offset:396 ; 4-byte Folded Spill
	v_cmpx_ne_u32_e32 0x7f, v4
	s_cbranch_execz .LBB255_209
; %bb.206:                              ;   in Loop: Header=BB255_11 Depth=1
	v_and_b32_e32 v15, 7, v2
	v_lshrrev_b32_e32 v3, 3, v4
	s_mov_b32 s22, exec_lo
	v_cmpx_gt_u32_e32 8, v4
; %bb.207:                              ;   in Loop: Header=BB255_11 Depth=1
	v_ffbh_u32_e32 v3, v15
	v_min_u32_e32 v3, 32, v3
	v_subrev_nc_u32_e32 v4, 28, v3
	v_sub_nc_u32_e32 v3, 29, v3
	v_lshlrev_b64 v[4:5], v4, v[15:16]
	v_and_b32_e32 v15, 7, v4
; %bb.208:                              ;   in Loop: Header=BB255_11 Depth=1
	s_or_b32 exec_lo, exec_lo, s22
	v_lshlrev_b32_e32 v4, 24, v2
	v_lshlrev_b32_e32 v5, 20, v15
	v_lshl_add_u32 v3, v3, 23, 0x3c000000
	v_and_b32_e32 v4, 0x80000000, v4
	v_or3_b32 v15, v5, v4, v3
	buffer_store_dword v15, off, s[0:3], s32 offset:392 ; 4-byte Folded Spill
	buffer_store_dword v16, off, s[0:3], s32 offset:396 ; 4-byte Folded Spill
.LBB255_209:                            ;   in Loop: Header=BB255_11 Depth=1
	s_or_b32 exec_lo, exec_lo, s21
.LBB255_210:                            ;   in Loop: Header=BB255_11 Depth=1
	s_or_b32 exec_lo, exec_lo, s17
.LBB255_211:                            ;   in Loop: Header=BB255_11 Depth=1
	s_or_b32 exec_lo, exec_lo, s13
	v_cmp_ne_u16_sdwa s5, v2, v16 src0_sel:BYTE_1 src1_sel:DWORD
	s_and_saveexec_b32 s13, s5
	s_cbranch_execz .LBB255_219
; %bb.212:                              ;   in Loop: Header=BB255_11 Depth=1
	v_mov_b32_e32 v3, 0x80
	v_mov_b32_e32 v50, v16
	buffer_store_dword v50, off, s[0:3], s32 offset:400 ; 4-byte Folded Spill
	buffer_store_dword v51, off, s[0:3], s32 offset:404 ; 4-byte Folded Spill
	v_cmp_ne_u16_sdwa s5, v2, v3 src0_sel:BYTE_1 src1_sel:DWORD
	s_and_saveexec_b32 s17, s5
	s_cbranch_execz .LBB255_218
; %bb.213:                              ;   in Loop: Header=BB255_11 Depth=1
	v_mov_b32_e32 v3, 0xffff
	v_mov_b32_e32 v70, v16
	s_mov_b32 s21, exec_lo
	buffer_store_dword v70, off, s[0:3], s32 offset:400 ; 4-byte Folded Spill
	buffer_store_dword v71, off, s[0:3], s32 offset:404 ; 4-byte Folded Spill
	v_and_b32_sdwa v3, v3, v2 dst_sel:DWORD dst_unused:UNUSED_PAD src0_sel:DWORD src1_sel:BYTE_1
	v_and_b32_e32 v4, 0x7f, v3
	v_cmpx_ne_u32_e32 0x7f, v4
	s_cbranch_execz .LBB255_217
; %bb.214:                              ;   in Loop: Header=BB255_11 Depth=1
	v_and_b32_e32 v15, 7, v3
	v_lshrrev_b32_e32 v3, 3, v4
	s_mov_b32 s22, exec_lo
	v_cmpx_gt_u32_e32 8, v4
; %bb.215:                              ;   in Loop: Header=BB255_11 Depth=1
	v_ffbh_u32_e32 v3, v15
	v_min_u32_e32 v3, 32, v3
	v_subrev_nc_u32_e32 v4, 28, v3
	v_sub_nc_u32_e32 v3, 29, v3
	v_lshlrev_b64 v[4:5], v4, v[15:16]
	v_and_b32_e32 v15, 7, v4
; %bb.216:                              ;   in Loop: Header=BB255_11 Depth=1
	s_or_b32 exec_lo, exec_lo, s22
	v_lshlrev_b32_e32 v4, 16, v2
	v_lshlrev_b32_e32 v5, 20, v15
	v_lshl_add_u32 v3, v3, 23, 0x3c000000
	v_and_b32_e32 v4, 0x80000000, v4
	v_or3_b32 v4, v5, v4, v3
	v_mov_b32_e32 v3, v16
	buffer_store_dword v3, off, s[0:3], s32 offset:400 ; 4-byte Folded Spill
	buffer_store_dword v4, off, s[0:3], s32 offset:404 ; 4-byte Folded Spill
.LBB255_217:                            ;   in Loop: Header=BB255_11 Depth=1
	s_or_b32 exec_lo, exec_lo, s21
.LBB255_218:                            ;   in Loop: Header=BB255_11 Depth=1
	s_or_b32 exec_lo, exec_lo, s17
.LBB255_219:                            ;   in Loop: Header=BB255_11 Depth=1
	s_or_b32 exec_lo, exec_lo, s13
	v_mov_b32_e32 v4, 0
	v_mov_b32_e32 v5, 0
	;; [unrolled: 1-line block ×3, first 2 shown]
	s_mov_b32 s13, exec_lo
	buffer_store_dword v4, off, s[0:3], s32 offset:408 ; 4-byte Folded Spill
	buffer_store_dword v5, off, s[0:3], s32 offset:412 ; 4-byte Folded Spill
	v_mov_b32_e32 v4, 0
	v_and_b32_sdwa v3, v2, v3 dst_sel:DWORD dst_unused:UNUSED_PAD src0_sel:WORD_1 src1_sel:DWORD
	v_mov_b32_e32 v5, 0
	buffer_store_dword v4, off, s[0:3], s32 offset:416 ; 4-byte Folded Spill
	buffer_store_dword v5, off, s[0:3], s32 offset:420 ; 4-byte Folded Spill
	v_cmpx_ne_u16_e32 0, v3
	s_cbranch_execz .LBB255_227
; %bb.220:                              ;   in Loop: Header=BB255_11 Depth=1
	v_cmp_ne_u16_e64 s5, 0x80, v3
	v_bfrev_b32_e32 v3, 1
	v_mov_b32_e32 v4, 0
	buffer_store_dword v3, off, s[0:3], s32 offset:416 ; 4-byte Folded Spill
	buffer_store_dword v4, off, s[0:3], s32 offset:420 ; 4-byte Folded Spill
	s_and_saveexec_b32 s17, s5
	s_cbranch_execz .LBB255_226
; %bb.221:                              ;   in Loop: Header=BB255_11 Depth=1
	v_mov_b32_e32 v5, 0x7f800001
	v_bfe_u32 v4, v2, 16, 7
	v_mov_b32_e32 v6, 0
	s_mov_b32 s21, exec_lo
	buffer_store_dword v5, off, s[0:3], s32 offset:416 ; 4-byte Folded Spill
	buffer_store_dword v6, off, s[0:3], s32 offset:420 ; 4-byte Folded Spill
	v_cmpx_ne_u32_e32 0x7f, v4
	s_cbranch_execz .LBB255_225
; %bb.222:                              ;   in Loop: Header=BB255_11 Depth=1
	v_mov_b32_e32 v3, 7
	s_mov_b32 s22, exec_lo
	v_and_b32_sdwa v15, v2, v3 dst_sel:DWORD dst_unused:UNUSED_PAD src0_sel:WORD_1 src1_sel:DWORD
	v_lshrrev_b32_e32 v3, 3, v4
	v_cmpx_gt_u32_e32 8, v4
; %bb.223:                              ;   in Loop: Header=BB255_11 Depth=1
	v_ffbh_u32_e32 v3, v15
	v_min_u32_e32 v3, 32, v3
	v_subrev_nc_u32_e32 v4, 28, v3
	v_sub_nc_u32_e32 v3, 29, v3
	v_lshlrev_b64 v[4:5], v4, v[15:16]
	v_and_b32_e32 v15, 7, v4
; %bb.224:                              ;   in Loop: Header=BB255_11 Depth=1
	s_or_b32 exec_lo, exec_lo, s22
	v_mov_b32_e32 v4, 24
	v_lshlrev_b32_e32 v5, 20, v15
	v_lshl_add_u32 v3, v3, 23, 0x3c000000
	v_lshlrev_b32_sdwa v4, v4, v2 dst_sel:DWORD dst_unused:UNUSED_PAD src0_sel:DWORD src1_sel:WORD_1
	v_and_b32_e32 v4, 0x80000000, v4
	v_or3_b32 v15, v5, v4, v3
	buffer_store_dword v15, off, s[0:3], s32 offset:416 ; 4-byte Folded Spill
	buffer_store_dword v16, off, s[0:3], s32 offset:420 ; 4-byte Folded Spill
.LBB255_225:                            ;   in Loop: Header=BB255_11 Depth=1
	s_or_b32 exec_lo, exec_lo, s21
.LBB255_226:                            ;   in Loop: Header=BB255_11 Depth=1
	s_or_b32 exec_lo, exec_lo, s17
.LBB255_227:                            ;   in Loop: Header=BB255_11 Depth=1
	s_or_b32 exec_lo, exec_lo, s13
	s_mov_b32 s13, exec_lo
	v_cmpx_lt_u32_e32 0xffffff, v2
	s_cbranch_execz .LBB255_235
; %bb.228:                              ;   in Loop: Header=BB255_11 Depth=1
	v_mov_b32_e32 v3, 0x80
	v_mov_b32_e32 v50, v16
	buffer_store_dword v50, off, s[0:3], s32 offset:408 ; 4-byte Folded Spill
	buffer_store_dword v51, off, s[0:3], s32 offset:412 ; 4-byte Folded Spill
	v_cmp_ne_u32_sdwa s5, v2, v3 src0_sel:BYTE_3 src1_sel:DWORD
	s_and_saveexec_b32 s17, s5
	s_cbranch_execz .LBB255_234
; %bb.229:                              ;   in Loop: Header=BB255_11 Depth=1
	v_bfe_u32 v4, v2, 24, 7
	v_mov_b32_e32 v70, v16
	s_mov_b32 s21, exec_lo
	buffer_store_dword v70, off, s[0:3], s32 offset:408 ; 4-byte Folded Spill
	buffer_store_dword v71, off, s[0:3], s32 offset:412 ; 4-byte Folded Spill
	v_cmpx_ne_u32_e32 0x7f, v4
	s_cbranch_execz .LBB255_233
; %bb.230:                              ;   in Loop: Header=BB255_11 Depth=1
	v_mov_b32_e32 v3, 7
	s_mov_b32 s22, exec_lo
	v_and_b32_sdwa v15, v2, v3 dst_sel:DWORD dst_unused:UNUSED_PAD src0_sel:BYTE_3 src1_sel:DWORD
	v_lshrrev_b32_e32 v3, 3, v4
	v_cmpx_gt_u32_e32 8, v4
; %bb.231:                              ;   in Loop: Header=BB255_11 Depth=1
	v_ffbh_u32_e32 v3, v15
	v_min_u32_e32 v3, 32, v3
	v_subrev_nc_u32_e32 v4, 28, v3
	v_sub_nc_u32_e32 v3, 29, v3
	v_lshlrev_b64 v[4:5], v4, v[15:16]
	v_and_b32_e32 v15, 7, v4
; %bb.232:                              ;   in Loop: Header=BB255_11 Depth=1
	s_or_b32 exec_lo, exec_lo, s22
	v_mov_b32_e32 v4, 24
	v_lshl_add_u32 v3, v3, 23, 0x3c000000
	v_lshlrev_b32_sdwa v2, v4, v2 dst_sel:DWORD dst_unused:UNUSED_PAD src0_sel:DWORD src1_sel:BYTE_3
	v_lshlrev_b32_e32 v4, 20, v15
	v_and_b32_e32 v2, 0x80000000, v2
	v_or3_b32 v3, v4, v2, v3
	v_mov_b32_e32 v2, v16
	buffer_store_dword v2, off, s[0:3], s32 offset:408 ; 4-byte Folded Spill
	buffer_store_dword v3, off, s[0:3], s32 offset:412 ; 4-byte Folded Spill
.LBB255_233:                            ;   in Loop: Header=BB255_11 Depth=1
	s_or_b32 exec_lo, exec_lo, s21
.LBB255_234:                            ;   in Loop: Header=BB255_11 Depth=1
	s_or_b32 exec_lo, exec_lo, s17
.LBB255_235:                            ;   in Loop: Header=BB255_11 Depth=1
	s_or_b32 exec_lo, exec_lo, s13
	flat_load_dword v2, v[0:1] offset:524
	v_mov_b32_e32 v3, 0
	v_mov_b32_e32 v4, 0
	buffer_store_dword v3, off, s[0:3], s32 offset:432 ; 4-byte Folded Spill
	buffer_store_dword v4, off, s[0:3], s32 offset:436 ; 4-byte Folded Spill
	v_mov_b32_e32 v3, 0
	v_mov_b32_e32 v4, 0
	buffer_store_dword v3, off, s[0:3], s32 offset:424 ; 4-byte Folded Spill
	buffer_store_dword v4, off, s[0:3], s32 offset:428 ; 4-byte Folded Spill
	s_waitcnt vmcnt(0) lgkmcnt(0)
	v_cmp_ne_u16_sdwa s5, v2, v16 src0_sel:BYTE_0 src1_sel:DWORD
	s_and_saveexec_b32 s13, s5
	s_cbranch_execz .LBB255_243
; %bb.236:                              ;   in Loop: Header=BB255_11 Depth=1
	v_bfrev_b32_e32 v3, 1
	v_mov_b32_e32 v4, 0
	buffer_store_dword v3, off, s[0:3], s32 offset:424 ; 4-byte Folded Spill
	buffer_store_dword v4, off, s[0:3], s32 offset:428 ; 4-byte Folded Spill
	v_mov_b32_e32 v3, 0x80
	v_cmp_ne_u16_sdwa s5, v2, v3 src0_sel:BYTE_0 src1_sel:DWORD
	s_and_saveexec_b32 s17, s5
	s_cbranch_execz .LBB255_242
; %bb.237:                              ;   in Loop: Header=BB255_11 Depth=1
	v_mov_b32_e32 v5, 0x7f800001
	v_and_b32_e32 v4, 0x7f, v2
	v_mov_b32_e32 v6, 0
	s_mov_b32 s21, exec_lo
	buffer_store_dword v5, off, s[0:3], s32 offset:424 ; 4-byte Folded Spill
	buffer_store_dword v6, off, s[0:3], s32 offset:428 ; 4-byte Folded Spill
	v_cmpx_ne_u32_e32 0x7f, v4
	s_cbranch_execz .LBB255_241
; %bb.238:                              ;   in Loop: Header=BB255_11 Depth=1
	v_and_b32_e32 v15, 7, v2
	v_lshrrev_b32_e32 v3, 3, v4
	s_mov_b32 s22, exec_lo
	v_cmpx_gt_u32_e32 8, v4
; %bb.239:                              ;   in Loop: Header=BB255_11 Depth=1
	v_ffbh_u32_e32 v3, v15
	v_min_u32_e32 v3, 32, v3
	v_subrev_nc_u32_e32 v4, 28, v3
	v_sub_nc_u32_e32 v3, 29, v3
	v_lshlrev_b64 v[4:5], v4, v[15:16]
	v_and_b32_e32 v15, 7, v4
; %bb.240:                              ;   in Loop: Header=BB255_11 Depth=1
	s_or_b32 exec_lo, exec_lo, s22
	v_lshlrev_b32_e32 v4, 24, v2
	v_lshlrev_b32_e32 v5, 20, v15
	v_lshl_add_u32 v3, v3, 23, 0x3c000000
	v_and_b32_e32 v4, 0x80000000, v4
	v_or3_b32 v15, v5, v4, v3
	buffer_store_dword v15, off, s[0:3], s32 offset:424 ; 4-byte Folded Spill
	buffer_store_dword v16, off, s[0:3], s32 offset:428 ; 4-byte Folded Spill
.LBB255_241:                            ;   in Loop: Header=BB255_11 Depth=1
	s_or_b32 exec_lo, exec_lo, s21
.LBB255_242:                            ;   in Loop: Header=BB255_11 Depth=1
	s_or_b32 exec_lo, exec_lo, s17
.LBB255_243:                            ;   in Loop: Header=BB255_11 Depth=1
	s_or_b32 exec_lo, exec_lo, s13
	v_cmp_ne_u16_sdwa s5, v2, v16 src0_sel:BYTE_1 src1_sel:DWORD
	s_and_saveexec_b32 s13, s5
	s_cbranch_execz .LBB255_251
; %bb.244:                              ;   in Loop: Header=BB255_11 Depth=1
	v_mov_b32_e32 v3, 0x80
	v_mov_b32_e32 v50, v16
	buffer_store_dword v50, off, s[0:3], s32 offset:432 ; 4-byte Folded Spill
	buffer_store_dword v51, off, s[0:3], s32 offset:436 ; 4-byte Folded Spill
	v_cmp_ne_u16_sdwa s5, v2, v3 src0_sel:BYTE_1 src1_sel:DWORD
	s_and_saveexec_b32 s17, s5
	s_cbranch_execz .LBB255_250
; %bb.245:                              ;   in Loop: Header=BB255_11 Depth=1
	v_mov_b32_e32 v3, 0xffff
	v_mov_b32_e32 v70, v16
	s_mov_b32 s21, exec_lo
	buffer_store_dword v70, off, s[0:3], s32 offset:432 ; 4-byte Folded Spill
	buffer_store_dword v71, off, s[0:3], s32 offset:436 ; 4-byte Folded Spill
	v_and_b32_sdwa v3, v3, v2 dst_sel:DWORD dst_unused:UNUSED_PAD src0_sel:DWORD src1_sel:BYTE_1
	v_and_b32_e32 v4, 0x7f, v3
	v_cmpx_ne_u32_e32 0x7f, v4
	s_cbranch_execz .LBB255_249
; %bb.246:                              ;   in Loop: Header=BB255_11 Depth=1
	v_and_b32_e32 v15, 7, v3
	v_lshrrev_b32_e32 v3, 3, v4
	s_mov_b32 s22, exec_lo
	v_cmpx_gt_u32_e32 8, v4
; %bb.247:                              ;   in Loop: Header=BB255_11 Depth=1
	v_ffbh_u32_e32 v3, v15
	v_min_u32_e32 v3, 32, v3
	v_subrev_nc_u32_e32 v4, 28, v3
	v_sub_nc_u32_e32 v3, 29, v3
	v_lshlrev_b64 v[4:5], v4, v[15:16]
	v_and_b32_e32 v15, 7, v4
; %bb.248:                              ;   in Loop: Header=BB255_11 Depth=1
	s_or_b32 exec_lo, exec_lo, s22
	v_lshlrev_b32_e32 v4, 16, v2
	v_lshlrev_b32_e32 v5, 20, v15
	v_lshl_add_u32 v3, v3, 23, 0x3c000000
	v_and_b32_e32 v4, 0x80000000, v4
	v_or3_b32 v4, v5, v4, v3
	v_mov_b32_e32 v3, v16
	buffer_store_dword v3, off, s[0:3], s32 offset:432 ; 4-byte Folded Spill
	buffer_store_dword v4, off, s[0:3], s32 offset:436 ; 4-byte Folded Spill
.LBB255_249:                            ;   in Loop: Header=BB255_11 Depth=1
	s_or_b32 exec_lo, exec_lo, s21
.LBB255_250:                            ;   in Loop: Header=BB255_11 Depth=1
	s_or_b32 exec_lo, exec_lo, s17
.LBB255_251:                            ;   in Loop: Header=BB255_11 Depth=1
	s_or_b32 exec_lo, exec_lo, s13
	v_mov_b32_e32 v4, 0
	v_mov_b32_e32 v5, 0
	;; [unrolled: 1-line block ×3, first 2 shown]
	s_mov_b32 s13, exec_lo
	buffer_store_dword v4, off, s[0:3], s32 offset:440 ; 4-byte Folded Spill
	buffer_store_dword v5, off, s[0:3], s32 offset:444 ; 4-byte Folded Spill
	v_mov_b32_e32 v4, 0
	v_and_b32_sdwa v3, v2, v3 dst_sel:DWORD dst_unused:UNUSED_PAD src0_sel:WORD_1 src1_sel:DWORD
	v_mov_b32_e32 v5, 0
	buffer_store_dword v4, off, s[0:3], s32 offset:448 ; 4-byte Folded Spill
	buffer_store_dword v5, off, s[0:3], s32 offset:452 ; 4-byte Folded Spill
	v_cmpx_ne_u16_e32 0, v3
	s_cbranch_execz .LBB255_259
; %bb.252:                              ;   in Loop: Header=BB255_11 Depth=1
	v_cmp_ne_u16_e64 s5, 0x80, v3
	v_bfrev_b32_e32 v3, 1
	v_mov_b32_e32 v4, 0
	buffer_store_dword v3, off, s[0:3], s32 offset:448 ; 4-byte Folded Spill
	buffer_store_dword v4, off, s[0:3], s32 offset:452 ; 4-byte Folded Spill
	s_and_saveexec_b32 s17, s5
	s_cbranch_execz .LBB255_258
; %bb.253:                              ;   in Loop: Header=BB255_11 Depth=1
	v_mov_b32_e32 v5, 0x7f800001
	v_bfe_u32 v4, v2, 16, 7
	v_mov_b32_e32 v6, 0
	s_mov_b32 s21, exec_lo
	buffer_store_dword v5, off, s[0:3], s32 offset:448 ; 4-byte Folded Spill
	buffer_store_dword v6, off, s[0:3], s32 offset:452 ; 4-byte Folded Spill
	v_cmpx_ne_u32_e32 0x7f, v4
	s_cbranch_execz .LBB255_257
; %bb.254:                              ;   in Loop: Header=BB255_11 Depth=1
	v_mov_b32_e32 v3, 7
	s_mov_b32 s22, exec_lo
	v_and_b32_sdwa v15, v2, v3 dst_sel:DWORD dst_unused:UNUSED_PAD src0_sel:WORD_1 src1_sel:DWORD
	v_lshrrev_b32_e32 v3, 3, v4
	v_cmpx_gt_u32_e32 8, v4
; %bb.255:                              ;   in Loop: Header=BB255_11 Depth=1
	v_ffbh_u32_e32 v3, v15
	v_min_u32_e32 v3, 32, v3
	v_subrev_nc_u32_e32 v4, 28, v3
	v_sub_nc_u32_e32 v3, 29, v3
	v_lshlrev_b64 v[4:5], v4, v[15:16]
	v_and_b32_e32 v15, 7, v4
; %bb.256:                              ;   in Loop: Header=BB255_11 Depth=1
	s_or_b32 exec_lo, exec_lo, s22
	v_mov_b32_e32 v4, 24
	v_lshlrev_b32_e32 v5, 20, v15
	v_lshl_add_u32 v3, v3, 23, 0x3c000000
	v_lshlrev_b32_sdwa v4, v4, v2 dst_sel:DWORD dst_unused:UNUSED_PAD src0_sel:DWORD src1_sel:WORD_1
	v_and_b32_e32 v4, 0x80000000, v4
	v_or3_b32 v15, v5, v4, v3
	buffer_store_dword v15, off, s[0:3], s32 offset:448 ; 4-byte Folded Spill
	buffer_store_dword v16, off, s[0:3], s32 offset:452 ; 4-byte Folded Spill
.LBB255_257:                            ;   in Loop: Header=BB255_11 Depth=1
	s_or_b32 exec_lo, exec_lo, s21
.LBB255_258:                            ;   in Loop: Header=BB255_11 Depth=1
	s_or_b32 exec_lo, exec_lo, s17
.LBB255_259:                            ;   in Loop: Header=BB255_11 Depth=1
	s_or_b32 exec_lo, exec_lo, s13
	s_mov_b32 s13, exec_lo
	v_cmpx_lt_u32_e32 0xffffff, v2
	s_cbranch_execz .LBB255_267
; %bb.260:                              ;   in Loop: Header=BB255_11 Depth=1
	v_mov_b32_e32 v3, 0x80
	v_mov_b32_e32 v50, v16
	buffer_store_dword v50, off, s[0:3], s32 offset:440 ; 4-byte Folded Spill
	buffer_store_dword v51, off, s[0:3], s32 offset:444 ; 4-byte Folded Spill
	v_cmp_ne_u32_sdwa s5, v2, v3 src0_sel:BYTE_3 src1_sel:DWORD
	s_and_saveexec_b32 s17, s5
	s_cbranch_execz .LBB255_266
; %bb.261:                              ;   in Loop: Header=BB255_11 Depth=1
	v_bfe_u32 v4, v2, 24, 7
	v_mov_b32_e32 v70, v16
	s_mov_b32 s21, exec_lo
	buffer_store_dword v70, off, s[0:3], s32 offset:440 ; 4-byte Folded Spill
	buffer_store_dword v71, off, s[0:3], s32 offset:444 ; 4-byte Folded Spill
	v_cmpx_ne_u32_e32 0x7f, v4
	s_cbranch_execz .LBB255_265
; %bb.262:                              ;   in Loop: Header=BB255_11 Depth=1
	v_mov_b32_e32 v3, 7
	s_mov_b32 s22, exec_lo
	v_and_b32_sdwa v15, v2, v3 dst_sel:DWORD dst_unused:UNUSED_PAD src0_sel:BYTE_3 src1_sel:DWORD
	v_lshrrev_b32_e32 v3, 3, v4
	v_cmpx_gt_u32_e32 8, v4
; %bb.263:                              ;   in Loop: Header=BB255_11 Depth=1
	v_ffbh_u32_e32 v3, v15
	v_min_u32_e32 v3, 32, v3
	v_subrev_nc_u32_e32 v4, 28, v3
	v_sub_nc_u32_e32 v3, 29, v3
	v_lshlrev_b64 v[4:5], v4, v[15:16]
	v_and_b32_e32 v15, 7, v4
; %bb.264:                              ;   in Loop: Header=BB255_11 Depth=1
	s_or_b32 exec_lo, exec_lo, s22
	v_mov_b32_e32 v4, 24
	v_lshl_add_u32 v3, v3, 23, 0x3c000000
	v_lshlrev_b32_sdwa v2, v4, v2 dst_sel:DWORD dst_unused:UNUSED_PAD src0_sel:DWORD src1_sel:BYTE_3
	v_lshlrev_b32_e32 v4, 20, v15
	v_and_b32_e32 v2, 0x80000000, v2
	v_or3_b32 v3, v4, v2, v3
	v_mov_b32_e32 v2, v16
	buffer_store_dword v2, off, s[0:3], s32 offset:440 ; 4-byte Folded Spill
	buffer_store_dword v3, off, s[0:3], s32 offset:444 ; 4-byte Folded Spill
.LBB255_265:                            ;   in Loop: Header=BB255_11 Depth=1
	s_or_b32 exec_lo, exec_lo, s21
.LBB255_266:                            ;   in Loop: Header=BB255_11 Depth=1
	s_or_b32 exec_lo, exec_lo, s17
.LBB255_267:                            ;   in Loop: Header=BB255_11 Depth=1
	s_or_b32 exec_lo, exec_lo, s13
	flat_load_dword v2, v[0:1] offset:1024
	v_mov_b32_e32 v3, 0
	v_mov_b32_e32 v4, 0
	buffer_store_dword v3, off, s[0:3], s32 offset:464 ; 4-byte Folded Spill
	buffer_store_dword v4, off, s[0:3], s32 offset:468 ; 4-byte Folded Spill
	v_mov_b32_e32 v3, 0
	v_mov_b32_e32 v4, 0
	buffer_store_dword v3, off, s[0:3], s32 offset:456 ; 4-byte Folded Spill
	buffer_store_dword v4, off, s[0:3], s32 offset:460 ; 4-byte Folded Spill
	s_waitcnt vmcnt(0) lgkmcnt(0)
	v_cmp_ne_u16_sdwa s5, v2, v16 src0_sel:BYTE_0 src1_sel:DWORD
	s_and_saveexec_b32 s13, s5
	s_cbranch_execz .LBB255_275
; %bb.268:                              ;   in Loop: Header=BB255_11 Depth=1
	v_bfrev_b32_e32 v3, 1
	v_mov_b32_e32 v4, 0
	buffer_store_dword v3, off, s[0:3], s32 offset:456 ; 4-byte Folded Spill
	buffer_store_dword v4, off, s[0:3], s32 offset:460 ; 4-byte Folded Spill
	v_mov_b32_e32 v3, 0x80
	v_cmp_ne_u16_sdwa s5, v2, v3 src0_sel:BYTE_0 src1_sel:DWORD
	s_and_saveexec_b32 s17, s5
	s_cbranch_execz .LBB255_274
; %bb.269:                              ;   in Loop: Header=BB255_11 Depth=1
	v_mov_b32_e32 v5, 0x7f800001
	v_and_b32_e32 v4, 0x7f, v2
	v_mov_b32_e32 v6, 0
	s_mov_b32 s21, exec_lo
	buffer_store_dword v5, off, s[0:3], s32 offset:456 ; 4-byte Folded Spill
	buffer_store_dword v6, off, s[0:3], s32 offset:460 ; 4-byte Folded Spill
	v_cmpx_ne_u32_e32 0x7f, v4
	s_cbranch_execz .LBB255_273
; %bb.270:                              ;   in Loop: Header=BB255_11 Depth=1
	v_and_b32_e32 v15, 7, v2
	v_lshrrev_b32_e32 v3, 3, v4
	s_mov_b32 s22, exec_lo
	v_cmpx_gt_u32_e32 8, v4
; %bb.271:                              ;   in Loop: Header=BB255_11 Depth=1
	v_ffbh_u32_e32 v3, v15
	v_min_u32_e32 v3, 32, v3
	v_subrev_nc_u32_e32 v4, 28, v3
	v_sub_nc_u32_e32 v3, 29, v3
	v_lshlrev_b64 v[4:5], v4, v[15:16]
	v_and_b32_e32 v15, 7, v4
; %bb.272:                              ;   in Loop: Header=BB255_11 Depth=1
	s_or_b32 exec_lo, exec_lo, s22
	v_lshlrev_b32_e32 v4, 24, v2
	v_lshlrev_b32_e32 v5, 20, v15
	v_lshl_add_u32 v3, v3, 23, 0x3c000000
	v_and_b32_e32 v4, 0x80000000, v4
	v_or3_b32 v15, v5, v4, v3
	buffer_store_dword v15, off, s[0:3], s32 offset:456 ; 4-byte Folded Spill
	buffer_store_dword v16, off, s[0:3], s32 offset:460 ; 4-byte Folded Spill
.LBB255_273:                            ;   in Loop: Header=BB255_11 Depth=1
	s_or_b32 exec_lo, exec_lo, s21
.LBB255_274:                            ;   in Loop: Header=BB255_11 Depth=1
	s_or_b32 exec_lo, exec_lo, s17
.LBB255_275:                            ;   in Loop: Header=BB255_11 Depth=1
	s_or_b32 exec_lo, exec_lo, s13
	v_cmp_ne_u16_sdwa s5, v2, v16 src0_sel:BYTE_1 src1_sel:DWORD
	s_and_saveexec_b32 s13, s5
	s_cbranch_execz .LBB255_283
; %bb.276:                              ;   in Loop: Header=BB255_11 Depth=1
	v_mov_b32_e32 v3, 0x80
	v_mov_b32_e32 v50, v16
	buffer_store_dword v50, off, s[0:3], s32 offset:464 ; 4-byte Folded Spill
	buffer_store_dword v51, off, s[0:3], s32 offset:468 ; 4-byte Folded Spill
	v_cmp_ne_u16_sdwa s5, v2, v3 src0_sel:BYTE_1 src1_sel:DWORD
	s_and_saveexec_b32 s17, s5
	s_cbranch_execz .LBB255_282
; %bb.277:                              ;   in Loop: Header=BB255_11 Depth=1
	v_mov_b32_e32 v3, 0xffff
	v_mov_b32_e32 v70, v16
	s_mov_b32 s21, exec_lo
	buffer_store_dword v70, off, s[0:3], s32 offset:464 ; 4-byte Folded Spill
	buffer_store_dword v71, off, s[0:3], s32 offset:468 ; 4-byte Folded Spill
	v_and_b32_sdwa v3, v3, v2 dst_sel:DWORD dst_unused:UNUSED_PAD src0_sel:DWORD src1_sel:BYTE_1
	v_and_b32_e32 v4, 0x7f, v3
	v_cmpx_ne_u32_e32 0x7f, v4
	s_cbranch_execz .LBB255_281
; %bb.278:                              ;   in Loop: Header=BB255_11 Depth=1
	v_and_b32_e32 v15, 7, v3
	v_lshrrev_b32_e32 v3, 3, v4
	s_mov_b32 s22, exec_lo
	v_cmpx_gt_u32_e32 8, v4
; %bb.279:                              ;   in Loop: Header=BB255_11 Depth=1
	v_ffbh_u32_e32 v3, v15
	v_min_u32_e32 v3, 32, v3
	v_subrev_nc_u32_e32 v4, 28, v3
	v_sub_nc_u32_e32 v3, 29, v3
	v_lshlrev_b64 v[4:5], v4, v[15:16]
	v_and_b32_e32 v15, 7, v4
; %bb.280:                              ;   in Loop: Header=BB255_11 Depth=1
	s_or_b32 exec_lo, exec_lo, s22
	v_lshlrev_b32_e32 v4, 16, v2
	v_lshlrev_b32_e32 v5, 20, v15
	v_lshl_add_u32 v3, v3, 23, 0x3c000000
	v_and_b32_e32 v4, 0x80000000, v4
	v_or3_b32 v4, v5, v4, v3
	v_mov_b32_e32 v3, v16
	buffer_store_dword v3, off, s[0:3], s32 offset:464 ; 4-byte Folded Spill
	buffer_store_dword v4, off, s[0:3], s32 offset:468 ; 4-byte Folded Spill
.LBB255_281:                            ;   in Loop: Header=BB255_11 Depth=1
	s_or_b32 exec_lo, exec_lo, s21
.LBB255_282:                            ;   in Loop: Header=BB255_11 Depth=1
	s_or_b32 exec_lo, exec_lo, s17
.LBB255_283:                            ;   in Loop: Header=BB255_11 Depth=1
	s_or_b32 exec_lo, exec_lo, s13
	v_mov_b32_e32 v4, 0
	v_mov_b32_e32 v5, 0
	;; [unrolled: 1-line block ×3, first 2 shown]
	s_mov_b32 s13, exec_lo
	buffer_store_dword v4, off, s[0:3], s32 offset:472 ; 4-byte Folded Spill
	buffer_store_dword v5, off, s[0:3], s32 offset:476 ; 4-byte Folded Spill
	v_mov_b32_e32 v4, 0
	v_and_b32_sdwa v3, v2, v3 dst_sel:DWORD dst_unused:UNUSED_PAD src0_sel:WORD_1 src1_sel:DWORD
	v_mov_b32_e32 v5, 0
	buffer_store_dword v4, off, s[0:3], s32 offset:480 ; 4-byte Folded Spill
	buffer_store_dword v5, off, s[0:3], s32 offset:484 ; 4-byte Folded Spill
	v_cmpx_ne_u16_e32 0, v3
	s_cbranch_execz .LBB255_291
; %bb.284:                              ;   in Loop: Header=BB255_11 Depth=1
	v_cmp_ne_u16_e64 s5, 0x80, v3
	v_bfrev_b32_e32 v3, 1
	v_mov_b32_e32 v4, 0
	buffer_store_dword v3, off, s[0:3], s32 offset:480 ; 4-byte Folded Spill
	buffer_store_dword v4, off, s[0:3], s32 offset:484 ; 4-byte Folded Spill
	s_and_saveexec_b32 s17, s5
	s_cbranch_execz .LBB255_290
; %bb.285:                              ;   in Loop: Header=BB255_11 Depth=1
	v_mov_b32_e32 v5, 0x7f800001
	v_bfe_u32 v4, v2, 16, 7
	v_mov_b32_e32 v6, 0
	s_mov_b32 s21, exec_lo
	buffer_store_dword v5, off, s[0:3], s32 offset:480 ; 4-byte Folded Spill
	buffer_store_dword v6, off, s[0:3], s32 offset:484 ; 4-byte Folded Spill
	v_cmpx_ne_u32_e32 0x7f, v4
	s_cbranch_execz .LBB255_289
; %bb.286:                              ;   in Loop: Header=BB255_11 Depth=1
	v_mov_b32_e32 v3, 7
	s_mov_b32 s22, exec_lo
	v_and_b32_sdwa v15, v2, v3 dst_sel:DWORD dst_unused:UNUSED_PAD src0_sel:WORD_1 src1_sel:DWORD
	v_lshrrev_b32_e32 v3, 3, v4
	v_cmpx_gt_u32_e32 8, v4
; %bb.287:                              ;   in Loop: Header=BB255_11 Depth=1
	v_ffbh_u32_e32 v3, v15
	v_min_u32_e32 v3, 32, v3
	v_subrev_nc_u32_e32 v4, 28, v3
	v_sub_nc_u32_e32 v3, 29, v3
	v_lshlrev_b64 v[4:5], v4, v[15:16]
	v_and_b32_e32 v15, 7, v4
; %bb.288:                              ;   in Loop: Header=BB255_11 Depth=1
	s_or_b32 exec_lo, exec_lo, s22
	v_mov_b32_e32 v4, 24
	v_lshlrev_b32_e32 v5, 20, v15
	v_lshl_add_u32 v3, v3, 23, 0x3c000000
	v_lshlrev_b32_sdwa v4, v4, v2 dst_sel:DWORD dst_unused:UNUSED_PAD src0_sel:DWORD src1_sel:WORD_1
	v_and_b32_e32 v4, 0x80000000, v4
	v_or3_b32 v15, v5, v4, v3
	buffer_store_dword v15, off, s[0:3], s32 offset:480 ; 4-byte Folded Spill
	buffer_store_dword v16, off, s[0:3], s32 offset:484 ; 4-byte Folded Spill
.LBB255_289:                            ;   in Loop: Header=BB255_11 Depth=1
	s_or_b32 exec_lo, exec_lo, s21
.LBB255_290:                            ;   in Loop: Header=BB255_11 Depth=1
	s_or_b32 exec_lo, exec_lo, s17
.LBB255_291:                            ;   in Loop: Header=BB255_11 Depth=1
	s_or_b32 exec_lo, exec_lo, s13
	s_mov_b32 s13, exec_lo
	v_cmpx_lt_u32_e32 0xffffff, v2
	s_cbranch_execz .LBB255_299
; %bb.292:                              ;   in Loop: Header=BB255_11 Depth=1
	v_mov_b32_e32 v3, 0x80
	v_mov_b32_e32 v50, v16
	buffer_store_dword v50, off, s[0:3], s32 offset:472 ; 4-byte Folded Spill
	buffer_store_dword v51, off, s[0:3], s32 offset:476 ; 4-byte Folded Spill
	v_cmp_ne_u32_sdwa s5, v2, v3 src0_sel:BYTE_3 src1_sel:DWORD
	s_and_saveexec_b32 s17, s5
	s_cbranch_execz .LBB255_298
; %bb.293:                              ;   in Loop: Header=BB255_11 Depth=1
	v_bfe_u32 v4, v2, 24, 7
	v_mov_b32_e32 v70, v16
	s_mov_b32 s21, exec_lo
	buffer_store_dword v70, off, s[0:3], s32 offset:472 ; 4-byte Folded Spill
	buffer_store_dword v71, off, s[0:3], s32 offset:476 ; 4-byte Folded Spill
	v_cmpx_ne_u32_e32 0x7f, v4
	s_cbranch_execz .LBB255_297
; %bb.294:                              ;   in Loop: Header=BB255_11 Depth=1
	v_mov_b32_e32 v3, 7
	s_mov_b32 s22, exec_lo
	v_and_b32_sdwa v15, v2, v3 dst_sel:DWORD dst_unused:UNUSED_PAD src0_sel:BYTE_3 src1_sel:DWORD
	v_lshrrev_b32_e32 v3, 3, v4
	v_cmpx_gt_u32_e32 8, v4
; %bb.295:                              ;   in Loop: Header=BB255_11 Depth=1
	v_ffbh_u32_e32 v3, v15
	v_min_u32_e32 v3, 32, v3
	v_subrev_nc_u32_e32 v4, 28, v3
	v_sub_nc_u32_e32 v3, 29, v3
	v_lshlrev_b64 v[4:5], v4, v[15:16]
	v_and_b32_e32 v15, 7, v4
; %bb.296:                              ;   in Loop: Header=BB255_11 Depth=1
	s_or_b32 exec_lo, exec_lo, s22
	v_mov_b32_e32 v4, 24
	v_lshl_add_u32 v3, v3, 23, 0x3c000000
	v_lshlrev_b32_sdwa v2, v4, v2 dst_sel:DWORD dst_unused:UNUSED_PAD src0_sel:DWORD src1_sel:BYTE_3
	v_lshlrev_b32_e32 v4, 20, v15
	v_and_b32_e32 v2, 0x80000000, v2
	v_or3_b32 v3, v4, v2, v3
	v_mov_b32_e32 v2, v16
	buffer_store_dword v2, off, s[0:3], s32 offset:472 ; 4-byte Folded Spill
	buffer_store_dword v3, off, s[0:3], s32 offset:476 ; 4-byte Folded Spill
.LBB255_297:                            ;   in Loop: Header=BB255_11 Depth=1
	s_or_b32 exec_lo, exec_lo, s21
.LBB255_298:                            ;   in Loop: Header=BB255_11 Depth=1
	s_or_b32 exec_lo, exec_lo, s17
.LBB255_299:                            ;   in Loop: Header=BB255_11 Depth=1
	s_or_b32 exec_lo, exec_lo, s13
	flat_load_dword v2, v[0:1] offset:1028
	v_mov_b32_e32 v3, 0
	v_mov_b32_e32 v4, 0
	buffer_store_dword v3, off, s[0:3], s32 offset:496 ; 4-byte Folded Spill
	buffer_store_dword v4, off, s[0:3], s32 offset:500 ; 4-byte Folded Spill
	v_mov_b32_e32 v3, 0
	v_mov_b32_e32 v4, 0
	buffer_store_dword v3, off, s[0:3], s32 offset:488 ; 4-byte Folded Spill
	buffer_store_dword v4, off, s[0:3], s32 offset:492 ; 4-byte Folded Spill
	s_waitcnt vmcnt(0) lgkmcnt(0)
	v_cmp_ne_u16_sdwa s5, v2, v16 src0_sel:BYTE_0 src1_sel:DWORD
	s_and_saveexec_b32 s13, s5
	s_cbranch_execz .LBB255_307
; %bb.300:                              ;   in Loop: Header=BB255_11 Depth=1
	v_bfrev_b32_e32 v3, 1
	v_mov_b32_e32 v4, 0
	buffer_store_dword v3, off, s[0:3], s32 offset:488 ; 4-byte Folded Spill
	buffer_store_dword v4, off, s[0:3], s32 offset:492 ; 4-byte Folded Spill
	v_mov_b32_e32 v3, 0x80
	v_cmp_ne_u16_sdwa s5, v2, v3 src0_sel:BYTE_0 src1_sel:DWORD
	s_and_saveexec_b32 s17, s5
	s_cbranch_execz .LBB255_306
; %bb.301:                              ;   in Loop: Header=BB255_11 Depth=1
	v_mov_b32_e32 v5, 0x7f800001
	v_and_b32_e32 v4, 0x7f, v2
	v_mov_b32_e32 v6, 0
	s_mov_b32 s21, exec_lo
	buffer_store_dword v5, off, s[0:3], s32 offset:488 ; 4-byte Folded Spill
	buffer_store_dword v6, off, s[0:3], s32 offset:492 ; 4-byte Folded Spill
	v_cmpx_ne_u32_e32 0x7f, v4
	s_cbranch_execz .LBB255_305
; %bb.302:                              ;   in Loop: Header=BB255_11 Depth=1
	v_and_b32_e32 v15, 7, v2
	v_lshrrev_b32_e32 v3, 3, v4
	s_mov_b32 s22, exec_lo
	v_cmpx_gt_u32_e32 8, v4
; %bb.303:                              ;   in Loop: Header=BB255_11 Depth=1
	v_ffbh_u32_e32 v3, v15
	v_min_u32_e32 v3, 32, v3
	v_subrev_nc_u32_e32 v4, 28, v3
	v_sub_nc_u32_e32 v3, 29, v3
	v_lshlrev_b64 v[4:5], v4, v[15:16]
	v_and_b32_e32 v15, 7, v4
; %bb.304:                              ;   in Loop: Header=BB255_11 Depth=1
	s_or_b32 exec_lo, exec_lo, s22
	v_lshlrev_b32_e32 v4, 24, v2
	v_lshlrev_b32_e32 v5, 20, v15
	v_lshl_add_u32 v3, v3, 23, 0x3c000000
	v_and_b32_e32 v4, 0x80000000, v4
	v_or3_b32 v15, v5, v4, v3
	buffer_store_dword v15, off, s[0:3], s32 offset:488 ; 4-byte Folded Spill
	buffer_store_dword v16, off, s[0:3], s32 offset:492 ; 4-byte Folded Spill
.LBB255_305:                            ;   in Loop: Header=BB255_11 Depth=1
	s_or_b32 exec_lo, exec_lo, s21
.LBB255_306:                            ;   in Loop: Header=BB255_11 Depth=1
	s_or_b32 exec_lo, exec_lo, s17
.LBB255_307:                            ;   in Loop: Header=BB255_11 Depth=1
	s_or_b32 exec_lo, exec_lo, s13
	v_cmp_ne_u16_sdwa s5, v2, v16 src0_sel:BYTE_1 src1_sel:DWORD
	s_and_saveexec_b32 s13, s5
	s_cbranch_execz .LBB255_315
; %bb.308:                              ;   in Loop: Header=BB255_11 Depth=1
	v_mov_b32_e32 v3, 0x80
	v_mov_b32_e32 v50, v16
	buffer_store_dword v50, off, s[0:3], s32 offset:496 ; 4-byte Folded Spill
	buffer_store_dword v51, off, s[0:3], s32 offset:500 ; 4-byte Folded Spill
	v_cmp_ne_u16_sdwa s5, v2, v3 src0_sel:BYTE_1 src1_sel:DWORD
	s_and_saveexec_b32 s17, s5
	s_cbranch_execz .LBB255_314
; %bb.309:                              ;   in Loop: Header=BB255_11 Depth=1
	v_mov_b32_e32 v3, 0xffff
	v_mov_b32_e32 v70, v16
	s_mov_b32 s21, exec_lo
	buffer_store_dword v70, off, s[0:3], s32 offset:496 ; 4-byte Folded Spill
	buffer_store_dword v71, off, s[0:3], s32 offset:500 ; 4-byte Folded Spill
	v_and_b32_sdwa v3, v3, v2 dst_sel:DWORD dst_unused:UNUSED_PAD src0_sel:DWORD src1_sel:BYTE_1
	v_and_b32_e32 v4, 0x7f, v3
	v_cmpx_ne_u32_e32 0x7f, v4
	s_cbranch_execz .LBB255_313
; %bb.310:                              ;   in Loop: Header=BB255_11 Depth=1
	v_and_b32_e32 v15, 7, v3
	v_lshrrev_b32_e32 v3, 3, v4
	s_mov_b32 s22, exec_lo
	v_cmpx_gt_u32_e32 8, v4
; %bb.311:                              ;   in Loop: Header=BB255_11 Depth=1
	v_ffbh_u32_e32 v3, v15
	v_min_u32_e32 v3, 32, v3
	v_subrev_nc_u32_e32 v4, 28, v3
	v_sub_nc_u32_e32 v3, 29, v3
	v_lshlrev_b64 v[4:5], v4, v[15:16]
	v_and_b32_e32 v15, 7, v4
; %bb.312:                              ;   in Loop: Header=BB255_11 Depth=1
	s_or_b32 exec_lo, exec_lo, s22
	v_lshlrev_b32_e32 v4, 16, v2
	v_lshlrev_b32_e32 v5, 20, v15
	v_lshl_add_u32 v3, v3, 23, 0x3c000000
	v_and_b32_e32 v4, 0x80000000, v4
	v_or3_b32 v4, v5, v4, v3
	v_mov_b32_e32 v3, v16
	buffer_store_dword v3, off, s[0:3], s32 offset:496 ; 4-byte Folded Spill
	buffer_store_dword v4, off, s[0:3], s32 offset:500 ; 4-byte Folded Spill
.LBB255_313:                            ;   in Loop: Header=BB255_11 Depth=1
	s_or_b32 exec_lo, exec_lo, s21
.LBB255_314:                            ;   in Loop: Header=BB255_11 Depth=1
	s_or_b32 exec_lo, exec_lo, s17
.LBB255_315:                            ;   in Loop: Header=BB255_11 Depth=1
	s_or_b32 exec_lo, exec_lo, s13
	v_mov_b32_e32 v4, 0
	v_mov_b32_e32 v5, 0
	;; [unrolled: 1-line block ×3, first 2 shown]
	s_mov_b32 s13, exec_lo
	buffer_store_dword v4, off, s[0:3], s32 offset:504 ; 4-byte Folded Spill
	buffer_store_dword v5, off, s[0:3], s32 offset:508 ; 4-byte Folded Spill
	v_mov_b32_e32 v4, 0
	v_and_b32_sdwa v3, v2, v3 dst_sel:DWORD dst_unused:UNUSED_PAD src0_sel:WORD_1 src1_sel:DWORD
	v_mov_b32_e32 v5, 0
	buffer_store_dword v4, off, s[0:3], s32 offset:512 ; 4-byte Folded Spill
	buffer_store_dword v5, off, s[0:3], s32 offset:516 ; 4-byte Folded Spill
	v_cmpx_ne_u16_e32 0, v3
	s_cbranch_execz .LBB255_323
; %bb.316:                              ;   in Loop: Header=BB255_11 Depth=1
	v_cmp_ne_u16_e64 s5, 0x80, v3
	v_bfrev_b32_e32 v3, 1
	v_mov_b32_e32 v4, 0
	buffer_store_dword v3, off, s[0:3], s32 offset:512 ; 4-byte Folded Spill
	buffer_store_dword v4, off, s[0:3], s32 offset:516 ; 4-byte Folded Spill
	s_and_saveexec_b32 s17, s5
	s_cbranch_execz .LBB255_322
; %bb.317:                              ;   in Loop: Header=BB255_11 Depth=1
	v_mov_b32_e32 v5, 0x7f800001
	v_bfe_u32 v4, v2, 16, 7
	v_mov_b32_e32 v6, 0
	s_mov_b32 s21, exec_lo
	buffer_store_dword v5, off, s[0:3], s32 offset:512 ; 4-byte Folded Spill
	buffer_store_dword v6, off, s[0:3], s32 offset:516 ; 4-byte Folded Spill
	v_cmpx_ne_u32_e32 0x7f, v4
	s_cbranch_execz .LBB255_321
; %bb.318:                              ;   in Loop: Header=BB255_11 Depth=1
	v_mov_b32_e32 v3, 7
	s_mov_b32 s22, exec_lo
	v_and_b32_sdwa v15, v2, v3 dst_sel:DWORD dst_unused:UNUSED_PAD src0_sel:WORD_1 src1_sel:DWORD
	v_lshrrev_b32_e32 v3, 3, v4
	v_cmpx_gt_u32_e32 8, v4
; %bb.319:                              ;   in Loop: Header=BB255_11 Depth=1
	v_ffbh_u32_e32 v3, v15
	v_min_u32_e32 v3, 32, v3
	v_subrev_nc_u32_e32 v4, 28, v3
	v_sub_nc_u32_e32 v3, 29, v3
	v_lshlrev_b64 v[4:5], v4, v[15:16]
	v_and_b32_e32 v15, 7, v4
; %bb.320:                              ;   in Loop: Header=BB255_11 Depth=1
	s_or_b32 exec_lo, exec_lo, s22
	v_mov_b32_e32 v4, 24
	v_lshlrev_b32_e32 v5, 20, v15
	v_lshl_add_u32 v3, v3, 23, 0x3c000000
	v_lshlrev_b32_sdwa v4, v4, v2 dst_sel:DWORD dst_unused:UNUSED_PAD src0_sel:DWORD src1_sel:WORD_1
	v_and_b32_e32 v4, 0x80000000, v4
	v_or3_b32 v15, v5, v4, v3
	buffer_store_dword v15, off, s[0:3], s32 offset:512 ; 4-byte Folded Spill
	buffer_store_dword v16, off, s[0:3], s32 offset:516 ; 4-byte Folded Spill
.LBB255_321:                            ;   in Loop: Header=BB255_11 Depth=1
	s_or_b32 exec_lo, exec_lo, s21
.LBB255_322:                            ;   in Loop: Header=BB255_11 Depth=1
	s_or_b32 exec_lo, exec_lo, s17
.LBB255_323:                            ;   in Loop: Header=BB255_11 Depth=1
	s_or_b32 exec_lo, exec_lo, s13
	s_mov_b32 s13, exec_lo
	v_cmpx_lt_u32_e32 0xffffff, v2
	s_cbranch_execz .LBB255_331
; %bb.324:                              ;   in Loop: Header=BB255_11 Depth=1
	v_mov_b32_e32 v3, 0x80
	v_mov_b32_e32 v50, v16
	buffer_store_dword v50, off, s[0:3], s32 offset:504 ; 4-byte Folded Spill
	buffer_store_dword v51, off, s[0:3], s32 offset:508 ; 4-byte Folded Spill
	v_cmp_ne_u32_sdwa s5, v2, v3 src0_sel:BYTE_3 src1_sel:DWORD
	s_and_saveexec_b32 s17, s5
	s_cbranch_execz .LBB255_330
; %bb.325:                              ;   in Loop: Header=BB255_11 Depth=1
	v_bfe_u32 v4, v2, 24, 7
	v_mov_b32_e32 v70, v16
	s_mov_b32 s21, exec_lo
	buffer_store_dword v70, off, s[0:3], s32 offset:504 ; 4-byte Folded Spill
	buffer_store_dword v71, off, s[0:3], s32 offset:508 ; 4-byte Folded Spill
	v_cmpx_ne_u32_e32 0x7f, v4
	s_cbranch_execz .LBB255_329
; %bb.326:                              ;   in Loop: Header=BB255_11 Depth=1
	v_mov_b32_e32 v3, 7
	s_mov_b32 s22, exec_lo
	v_and_b32_sdwa v15, v2, v3 dst_sel:DWORD dst_unused:UNUSED_PAD src0_sel:BYTE_3 src1_sel:DWORD
	v_lshrrev_b32_e32 v3, 3, v4
	v_cmpx_gt_u32_e32 8, v4
; %bb.327:                              ;   in Loop: Header=BB255_11 Depth=1
	v_ffbh_u32_e32 v3, v15
	v_min_u32_e32 v3, 32, v3
	v_subrev_nc_u32_e32 v4, 28, v3
	v_sub_nc_u32_e32 v3, 29, v3
	v_lshlrev_b64 v[4:5], v4, v[15:16]
	v_and_b32_e32 v15, 7, v4
; %bb.328:                              ;   in Loop: Header=BB255_11 Depth=1
	s_or_b32 exec_lo, exec_lo, s22
	v_mov_b32_e32 v4, 24
	v_lshl_add_u32 v3, v3, 23, 0x3c000000
	v_lshlrev_b32_sdwa v2, v4, v2 dst_sel:DWORD dst_unused:UNUSED_PAD src0_sel:DWORD src1_sel:BYTE_3
	v_lshlrev_b32_e32 v4, 20, v15
	v_and_b32_e32 v2, 0x80000000, v2
	v_or3_b32 v3, v4, v2, v3
	v_mov_b32_e32 v2, v16
	buffer_store_dword v2, off, s[0:3], s32 offset:504 ; 4-byte Folded Spill
	buffer_store_dword v3, off, s[0:3], s32 offset:508 ; 4-byte Folded Spill
.LBB255_329:                            ;   in Loop: Header=BB255_11 Depth=1
	s_or_b32 exec_lo, exec_lo, s21
.LBB255_330:                            ;   in Loop: Header=BB255_11 Depth=1
	s_or_b32 exec_lo, exec_lo, s17
.LBB255_331:                            ;   in Loop: Header=BB255_11 Depth=1
	s_or_b32 exec_lo, exec_lo, s13
	flat_load_dword v2, v[0:1] offset:1032
	v_mov_b32_e32 v3, 0
	v_mov_b32_e32 v4, 0
	buffer_store_dword v3, off, s[0:3], s32 offset:528 ; 4-byte Folded Spill
	buffer_store_dword v4, off, s[0:3], s32 offset:532 ; 4-byte Folded Spill
	v_mov_b32_e32 v3, 0
	v_mov_b32_e32 v4, 0
	buffer_store_dword v3, off, s[0:3], s32 offset:520 ; 4-byte Folded Spill
	buffer_store_dword v4, off, s[0:3], s32 offset:524 ; 4-byte Folded Spill
	s_waitcnt vmcnt(0) lgkmcnt(0)
	v_cmp_ne_u16_sdwa s5, v2, v16 src0_sel:BYTE_0 src1_sel:DWORD
	s_and_saveexec_b32 s13, s5
	s_cbranch_execz .LBB255_339
; %bb.332:                              ;   in Loop: Header=BB255_11 Depth=1
	v_bfrev_b32_e32 v3, 1
	v_mov_b32_e32 v4, 0
	buffer_store_dword v3, off, s[0:3], s32 offset:520 ; 4-byte Folded Spill
	buffer_store_dword v4, off, s[0:3], s32 offset:524 ; 4-byte Folded Spill
	v_mov_b32_e32 v3, 0x80
	v_cmp_ne_u16_sdwa s5, v2, v3 src0_sel:BYTE_0 src1_sel:DWORD
	s_and_saveexec_b32 s17, s5
	s_cbranch_execz .LBB255_338
; %bb.333:                              ;   in Loop: Header=BB255_11 Depth=1
	v_mov_b32_e32 v5, 0x7f800001
	v_and_b32_e32 v4, 0x7f, v2
	v_mov_b32_e32 v6, 0
	s_mov_b32 s21, exec_lo
	buffer_store_dword v5, off, s[0:3], s32 offset:520 ; 4-byte Folded Spill
	buffer_store_dword v6, off, s[0:3], s32 offset:524 ; 4-byte Folded Spill
	v_cmpx_ne_u32_e32 0x7f, v4
	s_cbranch_execz .LBB255_337
; %bb.334:                              ;   in Loop: Header=BB255_11 Depth=1
	v_and_b32_e32 v15, 7, v2
	v_lshrrev_b32_e32 v3, 3, v4
	s_mov_b32 s22, exec_lo
	v_cmpx_gt_u32_e32 8, v4
; %bb.335:                              ;   in Loop: Header=BB255_11 Depth=1
	v_ffbh_u32_e32 v3, v15
	v_min_u32_e32 v3, 32, v3
	v_subrev_nc_u32_e32 v4, 28, v3
	v_sub_nc_u32_e32 v3, 29, v3
	v_lshlrev_b64 v[4:5], v4, v[15:16]
	v_and_b32_e32 v15, 7, v4
; %bb.336:                              ;   in Loop: Header=BB255_11 Depth=1
	s_or_b32 exec_lo, exec_lo, s22
	v_lshlrev_b32_e32 v4, 24, v2
	v_lshlrev_b32_e32 v5, 20, v15
	v_lshl_add_u32 v3, v3, 23, 0x3c000000
	v_and_b32_e32 v4, 0x80000000, v4
	v_or3_b32 v15, v5, v4, v3
	buffer_store_dword v15, off, s[0:3], s32 offset:520 ; 4-byte Folded Spill
	buffer_store_dword v16, off, s[0:3], s32 offset:524 ; 4-byte Folded Spill
.LBB255_337:                            ;   in Loop: Header=BB255_11 Depth=1
	s_or_b32 exec_lo, exec_lo, s21
.LBB255_338:                            ;   in Loop: Header=BB255_11 Depth=1
	s_or_b32 exec_lo, exec_lo, s17
.LBB255_339:                            ;   in Loop: Header=BB255_11 Depth=1
	s_or_b32 exec_lo, exec_lo, s13
	v_cmp_ne_u16_sdwa s5, v2, v16 src0_sel:BYTE_1 src1_sel:DWORD
	s_and_saveexec_b32 s13, s5
	s_cbranch_execz .LBB255_347
; %bb.340:                              ;   in Loop: Header=BB255_11 Depth=1
	v_mov_b32_e32 v3, 0x80
	v_mov_b32_e32 v50, v16
	buffer_store_dword v50, off, s[0:3], s32 offset:528 ; 4-byte Folded Spill
	buffer_store_dword v51, off, s[0:3], s32 offset:532 ; 4-byte Folded Spill
	v_cmp_ne_u16_sdwa s5, v2, v3 src0_sel:BYTE_1 src1_sel:DWORD
	s_and_saveexec_b32 s17, s5
	s_cbranch_execz .LBB255_346
; %bb.341:                              ;   in Loop: Header=BB255_11 Depth=1
	v_mov_b32_e32 v3, 0xffff
	v_mov_b32_e32 v70, v16
	s_mov_b32 s21, exec_lo
	buffer_store_dword v70, off, s[0:3], s32 offset:528 ; 4-byte Folded Spill
	buffer_store_dword v71, off, s[0:3], s32 offset:532 ; 4-byte Folded Spill
	v_and_b32_sdwa v3, v3, v2 dst_sel:DWORD dst_unused:UNUSED_PAD src0_sel:DWORD src1_sel:BYTE_1
	v_and_b32_e32 v4, 0x7f, v3
	v_cmpx_ne_u32_e32 0x7f, v4
	s_cbranch_execz .LBB255_345
; %bb.342:                              ;   in Loop: Header=BB255_11 Depth=1
	v_and_b32_e32 v15, 7, v3
	v_lshrrev_b32_e32 v3, 3, v4
	s_mov_b32 s22, exec_lo
	v_cmpx_gt_u32_e32 8, v4
; %bb.343:                              ;   in Loop: Header=BB255_11 Depth=1
	v_ffbh_u32_e32 v3, v15
	v_min_u32_e32 v3, 32, v3
	v_subrev_nc_u32_e32 v4, 28, v3
	v_sub_nc_u32_e32 v3, 29, v3
	v_lshlrev_b64 v[4:5], v4, v[15:16]
	v_and_b32_e32 v15, 7, v4
; %bb.344:                              ;   in Loop: Header=BB255_11 Depth=1
	s_or_b32 exec_lo, exec_lo, s22
	v_lshlrev_b32_e32 v4, 16, v2
	v_lshlrev_b32_e32 v5, 20, v15
	v_lshl_add_u32 v3, v3, 23, 0x3c000000
	v_and_b32_e32 v4, 0x80000000, v4
	v_or3_b32 v4, v5, v4, v3
	v_mov_b32_e32 v3, v16
	buffer_store_dword v3, off, s[0:3], s32 offset:528 ; 4-byte Folded Spill
	buffer_store_dword v4, off, s[0:3], s32 offset:532 ; 4-byte Folded Spill
.LBB255_345:                            ;   in Loop: Header=BB255_11 Depth=1
	s_or_b32 exec_lo, exec_lo, s21
.LBB255_346:                            ;   in Loop: Header=BB255_11 Depth=1
	s_or_b32 exec_lo, exec_lo, s17
.LBB255_347:                            ;   in Loop: Header=BB255_11 Depth=1
	s_or_b32 exec_lo, exec_lo, s13
	v_mov_b32_e32 v4, 0
	v_mov_b32_e32 v5, 0
	;; [unrolled: 1-line block ×3, first 2 shown]
	s_mov_b32 s13, exec_lo
	buffer_store_dword v4, off, s[0:3], s32 offset:536 ; 4-byte Folded Spill
	buffer_store_dword v5, off, s[0:3], s32 offset:540 ; 4-byte Folded Spill
	v_mov_b32_e32 v4, 0
	v_and_b32_sdwa v3, v2, v3 dst_sel:DWORD dst_unused:UNUSED_PAD src0_sel:WORD_1 src1_sel:DWORD
	v_mov_b32_e32 v5, 0
	buffer_store_dword v4, off, s[0:3], s32 offset:544 ; 4-byte Folded Spill
	buffer_store_dword v5, off, s[0:3], s32 offset:548 ; 4-byte Folded Spill
	v_cmpx_ne_u16_e32 0, v3
	s_cbranch_execz .LBB255_355
; %bb.348:                              ;   in Loop: Header=BB255_11 Depth=1
	v_cmp_ne_u16_e64 s5, 0x80, v3
	v_bfrev_b32_e32 v3, 1
	v_mov_b32_e32 v4, 0
	buffer_store_dword v3, off, s[0:3], s32 offset:544 ; 4-byte Folded Spill
	buffer_store_dword v4, off, s[0:3], s32 offset:548 ; 4-byte Folded Spill
	s_and_saveexec_b32 s17, s5
	s_cbranch_execz .LBB255_354
; %bb.349:                              ;   in Loop: Header=BB255_11 Depth=1
	v_mov_b32_e32 v5, 0x7f800001
	v_bfe_u32 v4, v2, 16, 7
	v_mov_b32_e32 v6, 0
	s_mov_b32 s21, exec_lo
	buffer_store_dword v5, off, s[0:3], s32 offset:544 ; 4-byte Folded Spill
	buffer_store_dword v6, off, s[0:3], s32 offset:548 ; 4-byte Folded Spill
	v_cmpx_ne_u32_e32 0x7f, v4
	s_cbranch_execz .LBB255_353
; %bb.350:                              ;   in Loop: Header=BB255_11 Depth=1
	v_mov_b32_e32 v3, 7
	s_mov_b32 s22, exec_lo
	v_and_b32_sdwa v15, v2, v3 dst_sel:DWORD dst_unused:UNUSED_PAD src0_sel:WORD_1 src1_sel:DWORD
	v_lshrrev_b32_e32 v3, 3, v4
	v_cmpx_gt_u32_e32 8, v4
; %bb.351:                              ;   in Loop: Header=BB255_11 Depth=1
	v_ffbh_u32_e32 v3, v15
	v_min_u32_e32 v3, 32, v3
	v_subrev_nc_u32_e32 v4, 28, v3
	v_sub_nc_u32_e32 v3, 29, v3
	v_lshlrev_b64 v[4:5], v4, v[15:16]
	v_and_b32_e32 v15, 7, v4
; %bb.352:                              ;   in Loop: Header=BB255_11 Depth=1
	s_or_b32 exec_lo, exec_lo, s22
	v_mov_b32_e32 v4, 24
	v_lshlrev_b32_e32 v5, 20, v15
	v_lshl_add_u32 v3, v3, 23, 0x3c000000
	v_lshlrev_b32_sdwa v4, v4, v2 dst_sel:DWORD dst_unused:UNUSED_PAD src0_sel:DWORD src1_sel:WORD_1
	v_and_b32_e32 v4, 0x80000000, v4
	v_or3_b32 v15, v5, v4, v3
	buffer_store_dword v15, off, s[0:3], s32 offset:544 ; 4-byte Folded Spill
	buffer_store_dword v16, off, s[0:3], s32 offset:548 ; 4-byte Folded Spill
.LBB255_353:                            ;   in Loop: Header=BB255_11 Depth=1
	s_or_b32 exec_lo, exec_lo, s21
.LBB255_354:                            ;   in Loop: Header=BB255_11 Depth=1
	s_or_b32 exec_lo, exec_lo, s17
.LBB255_355:                            ;   in Loop: Header=BB255_11 Depth=1
	s_or_b32 exec_lo, exec_lo, s13
	s_mov_b32 s13, exec_lo
	v_cmpx_lt_u32_e32 0xffffff, v2
	s_cbranch_execz .LBB255_363
; %bb.356:                              ;   in Loop: Header=BB255_11 Depth=1
	v_mov_b32_e32 v3, 0x80
	v_mov_b32_e32 v50, v16
	buffer_store_dword v50, off, s[0:3], s32 offset:536 ; 4-byte Folded Spill
	buffer_store_dword v51, off, s[0:3], s32 offset:540 ; 4-byte Folded Spill
	v_cmp_ne_u32_sdwa s5, v2, v3 src0_sel:BYTE_3 src1_sel:DWORD
	s_and_saveexec_b32 s17, s5
	s_cbranch_execz .LBB255_362
; %bb.357:                              ;   in Loop: Header=BB255_11 Depth=1
	v_bfe_u32 v4, v2, 24, 7
	v_mov_b32_e32 v70, v16
	s_mov_b32 s21, exec_lo
	buffer_store_dword v70, off, s[0:3], s32 offset:536 ; 4-byte Folded Spill
	buffer_store_dword v71, off, s[0:3], s32 offset:540 ; 4-byte Folded Spill
	v_cmpx_ne_u32_e32 0x7f, v4
	s_cbranch_execz .LBB255_361
; %bb.358:                              ;   in Loop: Header=BB255_11 Depth=1
	v_mov_b32_e32 v3, 7
	s_mov_b32 s22, exec_lo
	v_and_b32_sdwa v15, v2, v3 dst_sel:DWORD dst_unused:UNUSED_PAD src0_sel:BYTE_3 src1_sel:DWORD
	v_lshrrev_b32_e32 v3, 3, v4
	v_cmpx_gt_u32_e32 8, v4
; %bb.359:                              ;   in Loop: Header=BB255_11 Depth=1
	v_ffbh_u32_e32 v3, v15
	v_min_u32_e32 v3, 32, v3
	v_subrev_nc_u32_e32 v4, 28, v3
	v_sub_nc_u32_e32 v3, 29, v3
	v_lshlrev_b64 v[4:5], v4, v[15:16]
	v_and_b32_e32 v15, 7, v4
; %bb.360:                              ;   in Loop: Header=BB255_11 Depth=1
	s_or_b32 exec_lo, exec_lo, s22
	v_mov_b32_e32 v4, 24
	v_lshl_add_u32 v3, v3, 23, 0x3c000000
	v_lshlrev_b32_sdwa v2, v4, v2 dst_sel:DWORD dst_unused:UNUSED_PAD src0_sel:DWORD src1_sel:BYTE_3
	v_lshlrev_b32_e32 v4, 20, v15
	v_and_b32_e32 v2, 0x80000000, v2
	v_or3_b32 v3, v4, v2, v3
	v_mov_b32_e32 v2, v16
	buffer_store_dword v2, off, s[0:3], s32 offset:536 ; 4-byte Folded Spill
	buffer_store_dword v3, off, s[0:3], s32 offset:540 ; 4-byte Folded Spill
.LBB255_361:                            ;   in Loop: Header=BB255_11 Depth=1
	s_or_b32 exec_lo, exec_lo, s21
.LBB255_362:                            ;   in Loop: Header=BB255_11 Depth=1
	s_or_b32 exec_lo, exec_lo, s17
.LBB255_363:                            ;   in Loop: Header=BB255_11 Depth=1
	s_or_b32 exec_lo, exec_lo, s13
	flat_load_dword v2, v[0:1] offset:1036
	v_mov_b32_e32 v3, 0
	v_mov_b32_e32 v4, 0
	buffer_store_dword v3, off, s[0:3], s32 offset:560 ; 4-byte Folded Spill
	buffer_store_dword v4, off, s[0:3], s32 offset:564 ; 4-byte Folded Spill
	v_mov_b32_e32 v3, 0
	v_mov_b32_e32 v4, 0
	buffer_store_dword v3, off, s[0:3], s32 offset:552 ; 4-byte Folded Spill
	buffer_store_dword v4, off, s[0:3], s32 offset:556 ; 4-byte Folded Spill
	s_waitcnt vmcnt(0) lgkmcnt(0)
	v_cmp_ne_u16_sdwa s5, v2, v16 src0_sel:BYTE_0 src1_sel:DWORD
	s_and_saveexec_b32 s13, s5
	s_cbranch_execz .LBB255_371
; %bb.364:                              ;   in Loop: Header=BB255_11 Depth=1
	v_bfrev_b32_e32 v3, 1
	v_mov_b32_e32 v4, 0
	buffer_store_dword v3, off, s[0:3], s32 offset:552 ; 4-byte Folded Spill
	buffer_store_dword v4, off, s[0:3], s32 offset:556 ; 4-byte Folded Spill
	v_mov_b32_e32 v3, 0x80
	v_cmp_ne_u16_sdwa s5, v2, v3 src0_sel:BYTE_0 src1_sel:DWORD
	s_and_saveexec_b32 s17, s5
	s_cbranch_execz .LBB255_370
; %bb.365:                              ;   in Loop: Header=BB255_11 Depth=1
	v_mov_b32_e32 v5, 0x7f800001
	v_and_b32_e32 v4, 0x7f, v2
	v_mov_b32_e32 v6, 0
	s_mov_b32 s21, exec_lo
	buffer_store_dword v5, off, s[0:3], s32 offset:552 ; 4-byte Folded Spill
	buffer_store_dword v6, off, s[0:3], s32 offset:556 ; 4-byte Folded Spill
	v_cmpx_ne_u32_e32 0x7f, v4
	s_cbranch_execz .LBB255_369
; %bb.366:                              ;   in Loop: Header=BB255_11 Depth=1
	v_and_b32_e32 v15, 7, v2
	v_lshrrev_b32_e32 v3, 3, v4
	s_mov_b32 s22, exec_lo
	v_cmpx_gt_u32_e32 8, v4
; %bb.367:                              ;   in Loop: Header=BB255_11 Depth=1
	v_ffbh_u32_e32 v3, v15
	v_min_u32_e32 v3, 32, v3
	v_subrev_nc_u32_e32 v4, 28, v3
	v_sub_nc_u32_e32 v3, 29, v3
	v_lshlrev_b64 v[4:5], v4, v[15:16]
	v_and_b32_e32 v15, 7, v4
; %bb.368:                              ;   in Loop: Header=BB255_11 Depth=1
	s_or_b32 exec_lo, exec_lo, s22
	v_lshlrev_b32_e32 v4, 24, v2
	v_lshlrev_b32_e32 v5, 20, v15
	v_lshl_add_u32 v3, v3, 23, 0x3c000000
	v_and_b32_e32 v4, 0x80000000, v4
	v_or3_b32 v15, v5, v4, v3
	buffer_store_dword v15, off, s[0:3], s32 offset:552 ; 4-byte Folded Spill
	buffer_store_dword v16, off, s[0:3], s32 offset:556 ; 4-byte Folded Spill
.LBB255_369:                            ;   in Loop: Header=BB255_11 Depth=1
	s_or_b32 exec_lo, exec_lo, s21
.LBB255_370:                            ;   in Loop: Header=BB255_11 Depth=1
	s_or_b32 exec_lo, exec_lo, s17
.LBB255_371:                            ;   in Loop: Header=BB255_11 Depth=1
	s_or_b32 exec_lo, exec_lo, s13
	v_cmp_ne_u16_sdwa s5, v2, v16 src0_sel:BYTE_1 src1_sel:DWORD
	s_and_saveexec_b32 s13, s5
	s_cbranch_execz .LBB255_379
; %bb.372:                              ;   in Loop: Header=BB255_11 Depth=1
	v_mov_b32_e32 v3, 0x80
	v_mov_b32_e32 v50, v16
	buffer_store_dword v50, off, s[0:3], s32 offset:560 ; 4-byte Folded Spill
	buffer_store_dword v51, off, s[0:3], s32 offset:564 ; 4-byte Folded Spill
	v_cmp_ne_u16_sdwa s5, v2, v3 src0_sel:BYTE_1 src1_sel:DWORD
	s_and_saveexec_b32 s17, s5
	s_cbranch_execz .LBB255_378
; %bb.373:                              ;   in Loop: Header=BB255_11 Depth=1
	v_mov_b32_e32 v3, 0xffff
	v_mov_b32_e32 v70, v16
	s_mov_b32 s21, exec_lo
	buffer_store_dword v70, off, s[0:3], s32 offset:560 ; 4-byte Folded Spill
	buffer_store_dword v71, off, s[0:3], s32 offset:564 ; 4-byte Folded Spill
	v_and_b32_sdwa v3, v3, v2 dst_sel:DWORD dst_unused:UNUSED_PAD src0_sel:DWORD src1_sel:BYTE_1
	v_and_b32_e32 v4, 0x7f, v3
	v_cmpx_ne_u32_e32 0x7f, v4
	s_cbranch_execz .LBB255_377
; %bb.374:                              ;   in Loop: Header=BB255_11 Depth=1
	v_and_b32_e32 v15, 7, v3
	v_lshrrev_b32_e32 v3, 3, v4
	s_mov_b32 s22, exec_lo
	v_cmpx_gt_u32_e32 8, v4
; %bb.375:                              ;   in Loop: Header=BB255_11 Depth=1
	v_ffbh_u32_e32 v3, v15
	v_min_u32_e32 v3, 32, v3
	v_subrev_nc_u32_e32 v4, 28, v3
	v_sub_nc_u32_e32 v3, 29, v3
	v_lshlrev_b64 v[4:5], v4, v[15:16]
	v_and_b32_e32 v15, 7, v4
; %bb.376:                              ;   in Loop: Header=BB255_11 Depth=1
	s_or_b32 exec_lo, exec_lo, s22
	v_lshlrev_b32_e32 v4, 16, v2
	v_lshlrev_b32_e32 v5, 20, v15
	v_lshl_add_u32 v3, v3, 23, 0x3c000000
	v_and_b32_e32 v4, 0x80000000, v4
	v_or3_b32 v4, v5, v4, v3
	v_mov_b32_e32 v3, v16
	buffer_store_dword v3, off, s[0:3], s32 offset:560 ; 4-byte Folded Spill
	buffer_store_dword v4, off, s[0:3], s32 offset:564 ; 4-byte Folded Spill
.LBB255_377:                            ;   in Loop: Header=BB255_11 Depth=1
	s_or_b32 exec_lo, exec_lo, s21
.LBB255_378:                            ;   in Loop: Header=BB255_11 Depth=1
	s_or_b32 exec_lo, exec_lo, s17
.LBB255_379:                            ;   in Loop: Header=BB255_11 Depth=1
	s_or_b32 exec_lo, exec_lo, s13
	v_mov_b32_e32 v4, 0
	v_mov_b32_e32 v5, 0
	;; [unrolled: 1-line block ×3, first 2 shown]
	s_mov_b32 s13, exec_lo
	buffer_store_dword v4, off, s[0:3], s32 offset:568 ; 4-byte Folded Spill
	buffer_store_dword v5, off, s[0:3], s32 offset:572 ; 4-byte Folded Spill
	v_mov_b32_e32 v4, 0
	v_and_b32_sdwa v3, v2, v3 dst_sel:DWORD dst_unused:UNUSED_PAD src0_sel:WORD_1 src1_sel:DWORD
	v_mov_b32_e32 v5, 0
	buffer_store_dword v4, off, s[0:3], s32 offset:576 ; 4-byte Folded Spill
	buffer_store_dword v5, off, s[0:3], s32 offset:580 ; 4-byte Folded Spill
	v_cmpx_ne_u16_e32 0, v3
	s_cbranch_execz .LBB255_387
; %bb.380:                              ;   in Loop: Header=BB255_11 Depth=1
	v_cmp_ne_u16_e64 s5, 0x80, v3
	v_bfrev_b32_e32 v3, 1
	v_mov_b32_e32 v4, 0
	buffer_store_dword v3, off, s[0:3], s32 offset:576 ; 4-byte Folded Spill
	buffer_store_dword v4, off, s[0:3], s32 offset:580 ; 4-byte Folded Spill
	s_and_saveexec_b32 s17, s5
	s_cbranch_execz .LBB255_386
; %bb.381:                              ;   in Loop: Header=BB255_11 Depth=1
	v_mov_b32_e32 v5, 0x7f800001
	v_bfe_u32 v4, v2, 16, 7
	v_mov_b32_e32 v6, 0
	s_mov_b32 s21, exec_lo
	buffer_store_dword v5, off, s[0:3], s32 offset:576 ; 4-byte Folded Spill
	buffer_store_dword v6, off, s[0:3], s32 offset:580 ; 4-byte Folded Spill
	v_cmpx_ne_u32_e32 0x7f, v4
	s_cbranch_execz .LBB255_385
; %bb.382:                              ;   in Loop: Header=BB255_11 Depth=1
	v_mov_b32_e32 v3, 7
	s_mov_b32 s22, exec_lo
	v_and_b32_sdwa v15, v2, v3 dst_sel:DWORD dst_unused:UNUSED_PAD src0_sel:WORD_1 src1_sel:DWORD
	v_lshrrev_b32_e32 v3, 3, v4
	v_cmpx_gt_u32_e32 8, v4
; %bb.383:                              ;   in Loop: Header=BB255_11 Depth=1
	v_ffbh_u32_e32 v3, v15
	v_min_u32_e32 v3, 32, v3
	v_subrev_nc_u32_e32 v4, 28, v3
	v_sub_nc_u32_e32 v3, 29, v3
	v_lshlrev_b64 v[4:5], v4, v[15:16]
	v_and_b32_e32 v15, 7, v4
; %bb.384:                              ;   in Loop: Header=BB255_11 Depth=1
	s_or_b32 exec_lo, exec_lo, s22
	v_mov_b32_e32 v4, 24
	v_lshlrev_b32_e32 v5, 20, v15
	v_lshl_add_u32 v3, v3, 23, 0x3c000000
	v_lshlrev_b32_sdwa v4, v4, v2 dst_sel:DWORD dst_unused:UNUSED_PAD src0_sel:DWORD src1_sel:WORD_1
	v_and_b32_e32 v4, 0x80000000, v4
	v_or3_b32 v15, v5, v4, v3
	buffer_store_dword v15, off, s[0:3], s32 offset:576 ; 4-byte Folded Spill
	buffer_store_dword v16, off, s[0:3], s32 offset:580 ; 4-byte Folded Spill
.LBB255_385:                            ;   in Loop: Header=BB255_11 Depth=1
	s_or_b32 exec_lo, exec_lo, s21
.LBB255_386:                            ;   in Loop: Header=BB255_11 Depth=1
	s_or_b32 exec_lo, exec_lo, s17
.LBB255_387:                            ;   in Loop: Header=BB255_11 Depth=1
	s_or_b32 exec_lo, exec_lo, s13
	s_mov_b32 s13, exec_lo
	v_cmpx_lt_u32_e32 0xffffff, v2
	s_cbranch_execz .LBB255_395
; %bb.388:                              ;   in Loop: Header=BB255_11 Depth=1
	v_mov_b32_e32 v3, 0x80
	v_mov_b32_e32 v50, v16
	buffer_store_dword v50, off, s[0:3], s32 offset:568 ; 4-byte Folded Spill
	buffer_store_dword v51, off, s[0:3], s32 offset:572 ; 4-byte Folded Spill
	v_cmp_ne_u32_sdwa s5, v2, v3 src0_sel:BYTE_3 src1_sel:DWORD
	s_and_saveexec_b32 s17, s5
	s_cbranch_execz .LBB255_394
; %bb.389:                              ;   in Loop: Header=BB255_11 Depth=1
	v_bfe_u32 v4, v2, 24, 7
	v_mov_b32_e32 v70, v16
	s_mov_b32 s21, exec_lo
	buffer_store_dword v70, off, s[0:3], s32 offset:568 ; 4-byte Folded Spill
	buffer_store_dword v71, off, s[0:3], s32 offset:572 ; 4-byte Folded Spill
	v_cmpx_ne_u32_e32 0x7f, v4
	s_cbranch_execz .LBB255_393
; %bb.390:                              ;   in Loop: Header=BB255_11 Depth=1
	v_mov_b32_e32 v3, 7
	s_mov_b32 s22, exec_lo
	v_and_b32_sdwa v15, v2, v3 dst_sel:DWORD dst_unused:UNUSED_PAD src0_sel:BYTE_3 src1_sel:DWORD
	v_lshrrev_b32_e32 v3, 3, v4
	v_cmpx_gt_u32_e32 8, v4
; %bb.391:                              ;   in Loop: Header=BB255_11 Depth=1
	v_ffbh_u32_e32 v3, v15
	v_min_u32_e32 v3, 32, v3
	v_subrev_nc_u32_e32 v4, 28, v3
	v_sub_nc_u32_e32 v3, 29, v3
	v_lshlrev_b64 v[4:5], v4, v[15:16]
	v_and_b32_e32 v15, 7, v4
; %bb.392:                              ;   in Loop: Header=BB255_11 Depth=1
	s_or_b32 exec_lo, exec_lo, s22
	v_mov_b32_e32 v4, 24
	v_lshl_add_u32 v3, v3, 23, 0x3c000000
	v_lshlrev_b32_sdwa v2, v4, v2 dst_sel:DWORD dst_unused:UNUSED_PAD src0_sel:DWORD src1_sel:BYTE_3
	v_lshlrev_b32_e32 v4, 20, v15
	v_and_b32_e32 v2, 0x80000000, v2
	v_or3_b32 v3, v4, v2, v3
	v_mov_b32_e32 v2, v16
	buffer_store_dword v2, off, s[0:3], s32 offset:568 ; 4-byte Folded Spill
	buffer_store_dword v3, off, s[0:3], s32 offset:572 ; 4-byte Folded Spill
.LBB255_393:                            ;   in Loop: Header=BB255_11 Depth=1
	s_or_b32 exec_lo, exec_lo, s21
.LBB255_394:                            ;   in Loop: Header=BB255_11 Depth=1
	s_or_b32 exec_lo, exec_lo, s17
.LBB255_395:                            ;   in Loop: Header=BB255_11 Depth=1
	s_or_b32 exec_lo, exec_lo, s13
	flat_load_dword v2, v[0:1] offset:1536
	v_mov_b32_e32 v3, 0
	v_mov_b32_e32 v4, 0
	buffer_store_dword v3, off, s[0:3], s32 offset:592 ; 4-byte Folded Spill
	buffer_store_dword v4, off, s[0:3], s32 offset:596 ; 4-byte Folded Spill
	v_mov_b32_e32 v3, 0
	v_mov_b32_e32 v4, 0
	buffer_store_dword v3, off, s[0:3], s32 offset:584 ; 4-byte Folded Spill
	buffer_store_dword v4, off, s[0:3], s32 offset:588 ; 4-byte Folded Spill
	s_waitcnt vmcnt(0) lgkmcnt(0)
	v_cmp_ne_u16_sdwa s5, v2, v16 src0_sel:BYTE_0 src1_sel:DWORD
	s_and_saveexec_b32 s13, s5
	s_cbranch_execz .LBB255_403
; %bb.396:                              ;   in Loop: Header=BB255_11 Depth=1
	v_bfrev_b32_e32 v3, 1
	v_mov_b32_e32 v4, 0
	buffer_store_dword v3, off, s[0:3], s32 offset:584 ; 4-byte Folded Spill
	buffer_store_dword v4, off, s[0:3], s32 offset:588 ; 4-byte Folded Spill
	v_mov_b32_e32 v3, 0x80
	v_cmp_ne_u16_sdwa s5, v2, v3 src0_sel:BYTE_0 src1_sel:DWORD
	s_and_saveexec_b32 s17, s5
	s_cbranch_execz .LBB255_402
; %bb.397:                              ;   in Loop: Header=BB255_11 Depth=1
	v_mov_b32_e32 v5, 0x7f800001
	v_and_b32_e32 v4, 0x7f, v2
	v_mov_b32_e32 v6, 0
	s_mov_b32 s21, exec_lo
	buffer_store_dword v5, off, s[0:3], s32 offset:584 ; 4-byte Folded Spill
	buffer_store_dword v6, off, s[0:3], s32 offset:588 ; 4-byte Folded Spill
	v_cmpx_ne_u32_e32 0x7f, v4
	s_cbranch_execz .LBB255_401
; %bb.398:                              ;   in Loop: Header=BB255_11 Depth=1
	v_and_b32_e32 v15, 7, v2
	v_lshrrev_b32_e32 v3, 3, v4
	s_mov_b32 s22, exec_lo
	v_cmpx_gt_u32_e32 8, v4
; %bb.399:                              ;   in Loop: Header=BB255_11 Depth=1
	v_ffbh_u32_e32 v3, v15
	v_min_u32_e32 v3, 32, v3
	v_subrev_nc_u32_e32 v4, 28, v3
	v_sub_nc_u32_e32 v3, 29, v3
	v_lshlrev_b64 v[4:5], v4, v[15:16]
	v_and_b32_e32 v15, 7, v4
; %bb.400:                              ;   in Loop: Header=BB255_11 Depth=1
	s_or_b32 exec_lo, exec_lo, s22
	v_lshlrev_b32_e32 v4, 24, v2
	v_lshlrev_b32_e32 v5, 20, v15
	v_lshl_add_u32 v3, v3, 23, 0x3c000000
	v_and_b32_e32 v4, 0x80000000, v4
	v_or3_b32 v15, v5, v4, v3
	buffer_store_dword v15, off, s[0:3], s32 offset:584 ; 4-byte Folded Spill
	buffer_store_dword v16, off, s[0:3], s32 offset:588 ; 4-byte Folded Spill
.LBB255_401:                            ;   in Loop: Header=BB255_11 Depth=1
	s_or_b32 exec_lo, exec_lo, s21
.LBB255_402:                            ;   in Loop: Header=BB255_11 Depth=1
	s_or_b32 exec_lo, exec_lo, s17
.LBB255_403:                            ;   in Loop: Header=BB255_11 Depth=1
	s_or_b32 exec_lo, exec_lo, s13
	v_cmp_ne_u16_sdwa s5, v2, v16 src0_sel:BYTE_1 src1_sel:DWORD
	s_and_saveexec_b32 s13, s5
	s_cbranch_execz .LBB255_411
; %bb.404:                              ;   in Loop: Header=BB255_11 Depth=1
	v_mov_b32_e32 v3, 0x80
	v_mov_b32_e32 v50, v16
	buffer_store_dword v50, off, s[0:3], s32 offset:592 ; 4-byte Folded Spill
	buffer_store_dword v51, off, s[0:3], s32 offset:596 ; 4-byte Folded Spill
	v_cmp_ne_u16_sdwa s5, v2, v3 src0_sel:BYTE_1 src1_sel:DWORD
	s_and_saveexec_b32 s17, s5
	s_cbranch_execz .LBB255_410
; %bb.405:                              ;   in Loop: Header=BB255_11 Depth=1
	v_mov_b32_e32 v3, 0xffff
	v_mov_b32_e32 v70, v16
	s_mov_b32 s21, exec_lo
	buffer_store_dword v70, off, s[0:3], s32 offset:592 ; 4-byte Folded Spill
	buffer_store_dword v71, off, s[0:3], s32 offset:596 ; 4-byte Folded Spill
	v_and_b32_sdwa v3, v3, v2 dst_sel:DWORD dst_unused:UNUSED_PAD src0_sel:DWORD src1_sel:BYTE_1
	v_and_b32_e32 v4, 0x7f, v3
	v_cmpx_ne_u32_e32 0x7f, v4
	s_cbranch_execz .LBB255_409
; %bb.406:                              ;   in Loop: Header=BB255_11 Depth=1
	v_and_b32_e32 v15, 7, v3
	v_lshrrev_b32_e32 v3, 3, v4
	s_mov_b32 s22, exec_lo
	v_cmpx_gt_u32_e32 8, v4
; %bb.407:                              ;   in Loop: Header=BB255_11 Depth=1
	v_ffbh_u32_e32 v3, v15
	v_min_u32_e32 v3, 32, v3
	v_subrev_nc_u32_e32 v4, 28, v3
	v_sub_nc_u32_e32 v3, 29, v3
	v_lshlrev_b64 v[4:5], v4, v[15:16]
	v_and_b32_e32 v15, 7, v4
; %bb.408:                              ;   in Loop: Header=BB255_11 Depth=1
	s_or_b32 exec_lo, exec_lo, s22
	v_lshlrev_b32_e32 v4, 16, v2
	v_lshlrev_b32_e32 v5, 20, v15
	v_lshl_add_u32 v3, v3, 23, 0x3c000000
	v_and_b32_e32 v4, 0x80000000, v4
	v_or3_b32 v4, v5, v4, v3
	v_mov_b32_e32 v3, v16
	buffer_store_dword v3, off, s[0:3], s32 offset:592 ; 4-byte Folded Spill
	buffer_store_dword v4, off, s[0:3], s32 offset:596 ; 4-byte Folded Spill
.LBB255_409:                            ;   in Loop: Header=BB255_11 Depth=1
	s_or_b32 exec_lo, exec_lo, s21
.LBB255_410:                            ;   in Loop: Header=BB255_11 Depth=1
	s_or_b32 exec_lo, exec_lo, s17
.LBB255_411:                            ;   in Loop: Header=BB255_11 Depth=1
	s_or_b32 exec_lo, exec_lo, s13
	v_mov_b32_e32 v4, 0
	v_mov_b32_e32 v5, 0
	;; [unrolled: 1-line block ×3, first 2 shown]
	s_mov_b32 s13, exec_lo
	buffer_store_dword v4, off, s[0:3], s32 offset:600 ; 4-byte Folded Spill
	buffer_store_dword v5, off, s[0:3], s32 offset:604 ; 4-byte Folded Spill
	v_mov_b32_e32 v4, 0
	v_and_b32_sdwa v3, v2, v3 dst_sel:DWORD dst_unused:UNUSED_PAD src0_sel:WORD_1 src1_sel:DWORD
	v_mov_b32_e32 v5, 0
	buffer_store_dword v4, off, s[0:3], s32 offset:608 ; 4-byte Folded Spill
	buffer_store_dword v5, off, s[0:3], s32 offset:612 ; 4-byte Folded Spill
	v_cmpx_ne_u16_e32 0, v3
	s_cbranch_execz .LBB255_419
; %bb.412:                              ;   in Loop: Header=BB255_11 Depth=1
	v_cmp_ne_u16_e64 s5, 0x80, v3
	v_bfrev_b32_e32 v3, 1
	v_mov_b32_e32 v4, 0
	buffer_store_dword v3, off, s[0:3], s32 offset:608 ; 4-byte Folded Spill
	buffer_store_dword v4, off, s[0:3], s32 offset:612 ; 4-byte Folded Spill
	s_and_saveexec_b32 s17, s5
	s_cbranch_execz .LBB255_418
; %bb.413:                              ;   in Loop: Header=BB255_11 Depth=1
	v_mov_b32_e32 v5, 0x7f800001
	v_bfe_u32 v4, v2, 16, 7
	v_mov_b32_e32 v6, 0
	s_mov_b32 s21, exec_lo
	buffer_store_dword v5, off, s[0:3], s32 offset:608 ; 4-byte Folded Spill
	buffer_store_dword v6, off, s[0:3], s32 offset:612 ; 4-byte Folded Spill
	v_cmpx_ne_u32_e32 0x7f, v4
	s_cbranch_execz .LBB255_417
; %bb.414:                              ;   in Loop: Header=BB255_11 Depth=1
	v_mov_b32_e32 v3, 7
	s_mov_b32 s22, exec_lo
	v_and_b32_sdwa v15, v2, v3 dst_sel:DWORD dst_unused:UNUSED_PAD src0_sel:WORD_1 src1_sel:DWORD
	v_lshrrev_b32_e32 v3, 3, v4
	v_cmpx_gt_u32_e32 8, v4
; %bb.415:                              ;   in Loop: Header=BB255_11 Depth=1
	v_ffbh_u32_e32 v3, v15
	v_min_u32_e32 v3, 32, v3
	v_subrev_nc_u32_e32 v4, 28, v3
	v_sub_nc_u32_e32 v3, 29, v3
	v_lshlrev_b64 v[4:5], v4, v[15:16]
	v_and_b32_e32 v15, 7, v4
; %bb.416:                              ;   in Loop: Header=BB255_11 Depth=1
	s_or_b32 exec_lo, exec_lo, s22
	v_mov_b32_e32 v4, 24
	v_lshlrev_b32_e32 v5, 20, v15
	v_lshl_add_u32 v3, v3, 23, 0x3c000000
	v_lshlrev_b32_sdwa v4, v4, v2 dst_sel:DWORD dst_unused:UNUSED_PAD src0_sel:DWORD src1_sel:WORD_1
	v_and_b32_e32 v4, 0x80000000, v4
	v_or3_b32 v15, v5, v4, v3
	buffer_store_dword v15, off, s[0:3], s32 offset:608 ; 4-byte Folded Spill
	buffer_store_dword v16, off, s[0:3], s32 offset:612 ; 4-byte Folded Spill
.LBB255_417:                            ;   in Loop: Header=BB255_11 Depth=1
	s_or_b32 exec_lo, exec_lo, s21
.LBB255_418:                            ;   in Loop: Header=BB255_11 Depth=1
	s_or_b32 exec_lo, exec_lo, s17
.LBB255_419:                            ;   in Loop: Header=BB255_11 Depth=1
	s_or_b32 exec_lo, exec_lo, s13
	s_mov_b32 s13, exec_lo
	v_cmpx_lt_u32_e32 0xffffff, v2
	s_cbranch_execz .LBB255_427
; %bb.420:                              ;   in Loop: Header=BB255_11 Depth=1
	v_mov_b32_e32 v3, 0x80
	v_mov_b32_e32 v50, v16
	buffer_store_dword v50, off, s[0:3], s32 offset:600 ; 4-byte Folded Spill
	buffer_store_dword v51, off, s[0:3], s32 offset:604 ; 4-byte Folded Spill
	v_cmp_ne_u32_sdwa s5, v2, v3 src0_sel:BYTE_3 src1_sel:DWORD
	s_and_saveexec_b32 s17, s5
	s_cbranch_execz .LBB255_426
; %bb.421:                              ;   in Loop: Header=BB255_11 Depth=1
	v_bfe_u32 v4, v2, 24, 7
	v_mov_b32_e32 v70, v16
	s_mov_b32 s21, exec_lo
	buffer_store_dword v70, off, s[0:3], s32 offset:600 ; 4-byte Folded Spill
	buffer_store_dword v71, off, s[0:3], s32 offset:604 ; 4-byte Folded Spill
	v_cmpx_ne_u32_e32 0x7f, v4
	s_cbranch_execz .LBB255_425
; %bb.422:                              ;   in Loop: Header=BB255_11 Depth=1
	v_mov_b32_e32 v3, 7
	s_mov_b32 s22, exec_lo
	v_and_b32_sdwa v15, v2, v3 dst_sel:DWORD dst_unused:UNUSED_PAD src0_sel:BYTE_3 src1_sel:DWORD
	v_lshrrev_b32_e32 v3, 3, v4
	v_cmpx_gt_u32_e32 8, v4
; %bb.423:                              ;   in Loop: Header=BB255_11 Depth=1
	v_ffbh_u32_e32 v3, v15
	v_min_u32_e32 v3, 32, v3
	v_subrev_nc_u32_e32 v4, 28, v3
	v_sub_nc_u32_e32 v3, 29, v3
	v_lshlrev_b64 v[4:5], v4, v[15:16]
	v_and_b32_e32 v15, 7, v4
; %bb.424:                              ;   in Loop: Header=BB255_11 Depth=1
	s_or_b32 exec_lo, exec_lo, s22
	v_mov_b32_e32 v4, 24
	v_lshl_add_u32 v3, v3, 23, 0x3c000000
	v_lshlrev_b32_sdwa v2, v4, v2 dst_sel:DWORD dst_unused:UNUSED_PAD src0_sel:DWORD src1_sel:BYTE_3
	v_lshlrev_b32_e32 v4, 20, v15
	v_and_b32_e32 v2, 0x80000000, v2
	v_or3_b32 v3, v4, v2, v3
	v_mov_b32_e32 v2, v16
	buffer_store_dword v2, off, s[0:3], s32 offset:600 ; 4-byte Folded Spill
	buffer_store_dword v3, off, s[0:3], s32 offset:604 ; 4-byte Folded Spill
.LBB255_425:                            ;   in Loop: Header=BB255_11 Depth=1
	s_or_b32 exec_lo, exec_lo, s21
.LBB255_426:                            ;   in Loop: Header=BB255_11 Depth=1
	s_or_b32 exec_lo, exec_lo, s17
.LBB255_427:                            ;   in Loop: Header=BB255_11 Depth=1
	s_or_b32 exec_lo, exec_lo, s13
	flat_load_dword v2, v[0:1] offset:1540
	v_mov_b32_e32 v3, 0
	v_mov_b32_e32 v4, 0
	buffer_store_dword v3, off, s[0:3], s32 offset:624 ; 4-byte Folded Spill
	buffer_store_dword v4, off, s[0:3], s32 offset:628 ; 4-byte Folded Spill
	v_mov_b32_e32 v3, 0
	v_mov_b32_e32 v4, 0
	buffer_store_dword v3, off, s[0:3], s32 offset:616 ; 4-byte Folded Spill
	buffer_store_dword v4, off, s[0:3], s32 offset:620 ; 4-byte Folded Spill
	s_waitcnt vmcnt(0) lgkmcnt(0)
	v_cmp_ne_u16_sdwa s5, v2, v16 src0_sel:BYTE_0 src1_sel:DWORD
	s_and_saveexec_b32 s13, s5
	s_cbranch_execz .LBB255_435
; %bb.428:                              ;   in Loop: Header=BB255_11 Depth=1
	v_bfrev_b32_e32 v3, 1
	v_mov_b32_e32 v4, 0
	buffer_store_dword v3, off, s[0:3], s32 offset:616 ; 4-byte Folded Spill
	buffer_store_dword v4, off, s[0:3], s32 offset:620 ; 4-byte Folded Spill
	v_mov_b32_e32 v3, 0x80
	v_cmp_ne_u16_sdwa s5, v2, v3 src0_sel:BYTE_0 src1_sel:DWORD
	s_and_saveexec_b32 s17, s5
	s_cbranch_execz .LBB255_434
; %bb.429:                              ;   in Loop: Header=BB255_11 Depth=1
	v_mov_b32_e32 v5, 0x7f800001
	v_and_b32_e32 v4, 0x7f, v2
	v_mov_b32_e32 v6, 0
	s_mov_b32 s21, exec_lo
	buffer_store_dword v5, off, s[0:3], s32 offset:616 ; 4-byte Folded Spill
	buffer_store_dword v6, off, s[0:3], s32 offset:620 ; 4-byte Folded Spill
	v_cmpx_ne_u32_e32 0x7f, v4
	s_cbranch_execz .LBB255_433
; %bb.430:                              ;   in Loop: Header=BB255_11 Depth=1
	v_and_b32_e32 v15, 7, v2
	v_lshrrev_b32_e32 v3, 3, v4
	s_mov_b32 s22, exec_lo
	v_cmpx_gt_u32_e32 8, v4
; %bb.431:                              ;   in Loop: Header=BB255_11 Depth=1
	v_ffbh_u32_e32 v3, v15
	v_min_u32_e32 v3, 32, v3
	v_subrev_nc_u32_e32 v4, 28, v3
	v_sub_nc_u32_e32 v3, 29, v3
	v_lshlrev_b64 v[4:5], v4, v[15:16]
	v_and_b32_e32 v15, 7, v4
; %bb.432:                              ;   in Loop: Header=BB255_11 Depth=1
	s_or_b32 exec_lo, exec_lo, s22
	v_lshlrev_b32_e32 v4, 24, v2
	v_lshlrev_b32_e32 v5, 20, v15
	v_lshl_add_u32 v3, v3, 23, 0x3c000000
	v_and_b32_e32 v4, 0x80000000, v4
	v_or3_b32 v15, v5, v4, v3
	buffer_store_dword v15, off, s[0:3], s32 offset:616 ; 4-byte Folded Spill
	buffer_store_dword v16, off, s[0:3], s32 offset:620 ; 4-byte Folded Spill
.LBB255_433:                            ;   in Loop: Header=BB255_11 Depth=1
	s_or_b32 exec_lo, exec_lo, s21
.LBB255_434:                            ;   in Loop: Header=BB255_11 Depth=1
	s_or_b32 exec_lo, exec_lo, s17
.LBB255_435:                            ;   in Loop: Header=BB255_11 Depth=1
	s_or_b32 exec_lo, exec_lo, s13
	v_cmp_ne_u16_sdwa s5, v2, v16 src0_sel:BYTE_1 src1_sel:DWORD
	s_and_saveexec_b32 s13, s5
	s_cbranch_execz .LBB255_443
; %bb.436:                              ;   in Loop: Header=BB255_11 Depth=1
	v_mov_b32_e32 v3, 0x80
	v_mov_b32_e32 v50, v16
	buffer_store_dword v50, off, s[0:3], s32 offset:624 ; 4-byte Folded Spill
	buffer_store_dword v51, off, s[0:3], s32 offset:628 ; 4-byte Folded Spill
	v_cmp_ne_u16_sdwa s5, v2, v3 src0_sel:BYTE_1 src1_sel:DWORD
	s_and_saveexec_b32 s17, s5
	s_cbranch_execz .LBB255_442
; %bb.437:                              ;   in Loop: Header=BB255_11 Depth=1
	v_mov_b32_e32 v3, 0xffff
	v_mov_b32_e32 v70, v16
	s_mov_b32 s21, exec_lo
	buffer_store_dword v70, off, s[0:3], s32 offset:624 ; 4-byte Folded Spill
	buffer_store_dword v71, off, s[0:3], s32 offset:628 ; 4-byte Folded Spill
	v_and_b32_sdwa v3, v3, v2 dst_sel:DWORD dst_unused:UNUSED_PAD src0_sel:DWORD src1_sel:BYTE_1
	v_and_b32_e32 v4, 0x7f, v3
	v_cmpx_ne_u32_e32 0x7f, v4
	s_cbranch_execz .LBB255_441
; %bb.438:                              ;   in Loop: Header=BB255_11 Depth=1
	v_and_b32_e32 v15, 7, v3
	v_lshrrev_b32_e32 v3, 3, v4
	s_mov_b32 s22, exec_lo
	v_cmpx_gt_u32_e32 8, v4
; %bb.439:                              ;   in Loop: Header=BB255_11 Depth=1
	v_ffbh_u32_e32 v3, v15
	v_min_u32_e32 v3, 32, v3
	v_subrev_nc_u32_e32 v4, 28, v3
	v_sub_nc_u32_e32 v3, 29, v3
	v_lshlrev_b64 v[4:5], v4, v[15:16]
	v_and_b32_e32 v15, 7, v4
; %bb.440:                              ;   in Loop: Header=BB255_11 Depth=1
	s_or_b32 exec_lo, exec_lo, s22
	v_lshlrev_b32_e32 v4, 16, v2
	v_lshlrev_b32_e32 v5, 20, v15
	v_lshl_add_u32 v3, v3, 23, 0x3c000000
	v_and_b32_e32 v4, 0x80000000, v4
	v_or3_b32 v4, v5, v4, v3
	v_mov_b32_e32 v3, v16
	buffer_store_dword v3, off, s[0:3], s32 offset:624 ; 4-byte Folded Spill
	buffer_store_dword v4, off, s[0:3], s32 offset:628 ; 4-byte Folded Spill
.LBB255_441:                            ;   in Loop: Header=BB255_11 Depth=1
	s_or_b32 exec_lo, exec_lo, s21
.LBB255_442:                            ;   in Loop: Header=BB255_11 Depth=1
	s_or_b32 exec_lo, exec_lo, s17
.LBB255_443:                            ;   in Loop: Header=BB255_11 Depth=1
	s_or_b32 exec_lo, exec_lo, s13
	v_mov_b32_e32 v4, 0
	v_mov_b32_e32 v5, 0
	;; [unrolled: 1-line block ×3, first 2 shown]
	s_mov_b32 s13, exec_lo
	buffer_store_dword v4, off, s[0:3], s32 offset:632 ; 4-byte Folded Spill
	buffer_store_dword v5, off, s[0:3], s32 offset:636 ; 4-byte Folded Spill
	v_mov_b32_e32 v4, 0
	v_and_b32_sdwa v3, v2, v3 dst_sel:DWORD dst_unused:UNUSED_PAD src0_sel:WORD_1 src1_sel:DWORD
	v_mov_b32_e32 v5, 0
	buffer_store_dword v4, off, s[0:3], s32 offset:640 ; 4-byte Folded Spill
	buffer_store_dword v5, off, s[0:3], s32 offset:644 ; 4-byte Folded Spill
	v_cmpx_ne_u16_e32 0, v3
	s_cbranch_execz .LBB255_451
; %bb.444:                              ;   in Loop: Header=BB255_11 Depth=1
	v_cmp_ne_u16_e64 s5, 0x80, v3
	v_bfrev_b32_e32 v3, 1
	v_mov_b32_e32 v4, 0
	buffer_store_dword v3, off, s[0:3], s32 offset:640 ; 4-byte Folded Spill
	buffer_store_dword v4, off, s[0:3], s32 offset:644 ; 4-byte Folded Spill
	s_and_saveexec_b32 s17, s5
	s_cbranch_execz .LBB255_450
; %bb.445:                              ;   in Loop: Header=BB255_11 Depth=1
	v_mov_b32_e32 v5, 0x7f800001
	v_bfe_u32 v4, v2, 16, 7
	v_mov_b32_e32 v6, 0
	s_mov_b32 s21, exec_lo
	buffer_store_dword v5, off, s[0:3], s32 offset:640 ; 4-byte Folded Spill
	buffer_store_dword v6, off, s[0:3], s32 offset:644 ; 4-byte Folded Spill
	v_cmpx_ne_u32_e32 0x7f, v4
	s_cbranch_execz .LBB255_449
; %bb.446:                              ;   in Loop: Header=BB255_11 Depth=1
	v_mov_b32_e32 v3, 7
	s_mov_b32 s22, exec_lo
	v_and_b32_sdwa v15, v2, v3 dst_sel:DWORD dst_unused:UNUSED_PAD src0_sel:WORD_1 src1_sel:DWORD
	v_lshrrev_b32_e32 v3, 3, v4
	v_cmpx_gt_u32_e32 8, v4
; %bb.447:                              ;   in Loop: Header=BB255_11 Depth=1
	v_ffbh_u32_e32 v3, v15
	v_min_u32_e32 v3, 32, v3
	v_subrev_nc_u32_e32 v4, 28, v3
	v_sub_nc_u32_e32 v3, 29, v3
	v_lshlrev_b64 v[4:5], v4, v[15:16]
	v_and_b32_e32 v15, 7, v4
; %bb.448:                              ;   in Loop: Header=BB255_11 Depth=1
	s_or_b32 exec_lo, exec_lo, s22
	v_mov_b32_e32 v4, 24
	v_lshlrev_b32_e32 v5, 20, v15
	v_lshl_add_u32 v3, v3, 23, 0x3c000000
	v_lshlrev_b32_sdwa v4, v4, v2 dst_sel:DWORD dst_unused:UNUSED_PAD src0_sel:DWORD src1_sel:WORD_1
	v_and_b32_e32 v4, 0x80000000, v4
	v_or3_b32 v15, v5, v4, v3
	buffer_store_dword v15, off, s[0:3], s32 offset:640 ; 4-byte Folded Spill
	buffer_store_dword v16, off, s[0:3], s32 offset:644 ; 4-byte Folded Spill
.LBB255_449:                            ;   in Loop: Header=BB255_11 Depth=1
	s_or_b32 exec_lo, exec_lo, s21
.LBB255_450:                            ;   in Loop: Header=BB255_11 Depth=1
	s_or_b32 exec_lo, exec_lo, s17
.LBB255_451:                            ;   in Loop: Header=BB255_11 Depth=1
	s_or_b32 exec_lo, exec_lo, s13
	s_mov_b32 s13, exec_lo
	v_cmpx_lt_u32_e32 0xffffff, v2
	s_cbranch_execz .LBB255_459
; %bb.452:                              ;   in Loop: Header=BB255_11 Depth=1
	v_mov_b32_e32 v3, 0x80
	v_mov_b32_e32 v50, v16
	buffer_store_dword v50, off, s[0:3], s32 offset:632 ; 4-byte Folded Spill
	buffer_store_dword v51, off, s[0:3], s32 offset:636 ; 4-byte Folded Spill
	v_cmp_ne_u32_sdwa s5, v2, v3 src0_sel:BYTE_3 src1_sel:DWORD
	s_and_saveexec_b32 s17, s5
	s_cbranch_execz .LBB255_458
; %bb.453:                              ;   in Loop: Header=BB255_11 Depth=1
	v_bfe_u32 v4, v2, 24, 7
	v_mov_b32_e32 v70, v16
	s_mov_b32 s21, exec_lo
	buffer_store_dword v70, off, s[0:3], s32 offset:632 ; 4-byte Folded Spill
	buffer_store_dword v71, off, s[0:3], s32 offset:636 ; 4-byte Folded Spill
	v_cmpx_ne_u32_e32 0x7f, v4
	s_cbranch_execz .LBB255_457
; %bb.454:                              ;   in Loop: Header=BB255_11 Depth=1
	v_mov_b32_e32 v3, 7
	s_mov_b32 s22, exec_lo
	v_and_b32_sdwa v15, v2, v3 dst_sel:DWORD dst_unused:UNUSED_PAD src0_sel:BYTE_3 src1_sel:DWORD
	v_lshrrev_b32_e32 v3, 3, v4
	v_cmpx_gt_u32_e32 8, v4
; %bb.455:                              ;   in Loop: Header=BB255_11 Depth=1
	v_ffbh_u32_e32 v3, v15
	v_min_u32_e32 v3, 32, v3
	v_subrev_nc_u32_e32 v4, 28, v3
	v_sub_nc_u32_e32 v3, 29, v3
	v_lshlrev_b64 v[4:5], v4, v[15:16]
	v_and_b32_e32 v15, 7, v4
; %bb.456:                              ;   in Loop: Header=BB255_11 Depth=1
	s_or_b32 exec_lo, exec_lo, s22
	v_mov_b32_e32 v4, 24
	v_lshl_add_u32 v3, v3, 23, 0x3c000000
	v_lshlrev_b32_sdwa v2, v4, v2 dst_sel:DWORD dst_unused:UNUSED_PAD src0_sel:DWORD src1_sel:BYTE_3
	v_lshlrev_b32_e32 v4, 20, v15
	v_and_b32_e32 v2, 0x80000000, v2
	v_or3_b32 v3, v4, v2, v3
	v_mov_b32_e32 v2, v16
	buffer_store_dword v2, off, s[0:3], s32 offset:632 ; 4-byte Folded Spill
	buffer_store_dword v3, off, s[0:3], s32 offset:636 ; 4-byte Folded Spill
.LBB255_457:                            ;   in Loop: Header=BB255_11 Depth=1
	s_or_b32 exec_lo, exec_lo, s21
.LBB255_458:                            ;   in Loop: Header=BB255_11 Depth=1
	s_or_b32 exec_lo, exec_lo, s17
.LBB255_459:                            ;   in Loop: Header=BB255_11 Depth=1
	s_or_b32 exec_lo, exec_lo, s13
	flat_load_dword v2, v[0:1] offset:1544
	v_mov_b32_e32 v3, 0
	v_mov_b32_e32 v4, 0
	buffer_store_dword v3, off, s[0:3], s32 offset:656 ; 4-byte Folded Spill
	buffer_store_dword v4, off, s[0:3], s32 offset:660 ; 4-byte Folded Spill
	v_mov_b32_e32 v3, 0
	v_mov_b32_e32 v4, 0
	buffer_store_dword v3, off, s[0:3], s32 offset:648 ; 4-byte Folded Spill
	buffer_store_dword v4, off, s[0:3], s32 offset:652 ; 4-byte Folded Spill
	s_waitcnt vmcnt(0) lgkmcnt(0)
	v_cmp_ne_u16_sdwa s5, v2, v16 src0_sel:BYTE_0 src1_sel:DWORD
	s_and_saveexec_b32 s13, s5
	s_cbranch_execz .LBB255_467
; %bb.460:                              ;   in Loop: Header=BB255_11 Depth=1
	v_bfrev_b32_e32 v3, 1
	v_mov_b32_e32 v4, 0
	buffer_store_dword v3, off, s[0:3], s32 offset:648 ; 4-byte Folded Spill
	buffer_store_dword v4, off, s[0:3], s32 offset:652 ; 4-byte Folded Spill
	v_mov_b32_e32 v3, 0x80
	v_cmp_ne_u16_sdwa s5, v2, v3 src0_sel:BYTE_0 src1_sel:DWORD
	s_and_saveexec_b32 s17, s5
	s_cbranch_execz .LBB255_466
; %bb.461:                              ;   in Loop: Header=BB255_11 Depth=1
	v_mov_b32_e32 v5, 0x7f800001
	v_and_b32_e32 v4, 0x7f, v2
	v_mov_b32_e32 v6, 0
	s_mov_b32 s21, exec_lo
	buffer_store_dword v5, off, s[0:3], s32 offset:648 ; 4-byte Folded Spill
	buffer_store_dword v6, off, s[0:3], s32 offset:652 ; 4-byte Folded Spill
	v_cmpx_ne_u32_e32 0x7f, v4
	s_cbranch_execz .LBB255_465
; %bb.462:                              ;   in Loop: Header=BB255_11 Depth=1
	v_and_b32_e32 v15, 7, v2
	v_lshrrev_b32_e32 v3, 3, v4
	s_mov_b32 s22, exec_lo
	v_cmpx_gt_u32_e32 8, v4
; %bb.463:                              ;   in Loop: Header=BB255_11 Depth=1
	v_ffbh_u32_e32 v3, v15
	v_min_u32_e32 v3, 32, v3
	v_subrev_nc_u32_e32 v4, 28, v3
	v_sub_nc_u32_e32 v3, 29, v3
	v_lshlrev_b64 v[4:5], v4, v[15:16]
	v_and_b32_e32 v15, 7, v4
; %bb.464:                              ;   in Loop: Header=BB255_11 Depth=1
	s_or_b32 exec_lo, exec_lo, s22
	v_lshlrev_b32_e32 v4, 24, v2
	v_lshlrev_b32_e32 v5, 20, v15
	v_lshl_add_u32 v3, v3, 23, 0x3c000000
	v_and_b32_e32 v4, 0x80000000, v4
	v_or3_b32 v15, v5, v4, v3
	buffer_store_dword v15, off, s[0:3], s32 offset:648 ; 4-byte Folded Spill
	buffer_store_dword v16, off, s[0:3], s32 offset:652 ; 4-byte Folded Spill
.LBB255_465:                            ;   in Loop: Header=BB255_11 Depth=1
	s_or_b32 exec_lo, exec_lo, s21
.LBB255_466:                            ;   in Loop: Header=BB255_11 Depth=1
	s_or_b32 exec_lo, exec_lo, s17
.LBB255_467:                            ;   in Loop: Header=BB255_11 Depth=1
	s_or_b32 exec_lo, exec_lo, s13
	v_cmp_ne_u16_sdwa s5, v2, v16 src0_sel:BYTE_1 src1_sel:DWORD
	s_and_saveexec_b32 s13, s5
	s_cbranch_execz .LBB255_475
; %bb.468:                              ;   in Loop: Header=BB255_11 Depth=1
	v_mov_b32_e32 v3, 0x80
	v_mov_b32_e32 v50, v16
	buffer_store_dword v50, off, s[0:3], s32 offset:656 ; 4-byte Folded Spill
	buffer_store_dword v51, off, s[0:3], s32 offset:660 ; 4-byte Folded Spill
	v_cmp_ne_u16_sdwa s5, v2, v3 src0_sel:BYTE_1 src1_sel:DWORD
	s_and_saveexec_b32 s17, s5
	s_cbranch_execz .LBB255_474
; %bb.469:                              ;   in Loop: Header=BB255_11 Depth=1
	v_mov_b32_e32 v3, 0xffff
	v_mov_b32_e32 v70, v16
	s_mov_b32 s21, exec_lo
	buffer_store_dword v70, off, s[0:3], s32 offset:656 ; 4-byte Folded Spill
	buffer_store_dword v71, off, s[0:3], s32 offset:660 ; 4-byte Folded Spill
	v_and_b32_sdwa v3, v3, v2 dst_sel:DWORD dst_unused:UNUSED_PAD src0_sel:DWORD src1_sel:BYTE_1
	v_and_b32_e32 v4, 0x7f, v3
	v_cmpx_ne_u32_e32 0x7f, v4
	s_cbranch_execz .LBB255_473
; %bb.470:                              ;   in Loop: Header=BB255_11 Depth=1
	v_and_b32_e32 v15, 7, v3
	v_lshrrev_b32_e32 v3, 3, v4
	s_mov_b32 s22, exec_lo
	v_cmpx_gt_u32_e32 8, v4
; %bb.471:                              ;   in Loop: Header=BB255_11 Depth=1
	v_ffbh_u32_e32 v3, v15
	v_min_u32_e32 v3, 32, v3
	v_subrev_nc_u32_e32 v4, 28, v3
	v_sub_nc_u32_e32 v3, 29, v3
	v_lshlrev_b64 v[4:5], v4, v[15:16]
	v_and_b32_e32 v15, 7, v4
; %bb.472:                              ;   in Loop: Header=BB255_11 Depth=1
	s_or_b32 exec_lo, exec_lo, s22
	v_lshlrev_b32_e32 v4, 16, v2
	v_lshlrev_b32_e32 v5, 20, v15
	v_lshl_add_u32 v3, v3, 23, 0x3c000000
	v_and_b32_e32 v4, 0x80000000, v4
	v_or3_b32 v4, v5, v4, v3
	v_mov_b32_e32 v3, v16
	buffer_store_dword v3, off, s[0:3], s32 offset:656 ; 4-byte Folded Spill
	buffer_store_dword v4, off, s[0:3], s32 offset:660 ; 4-byte Folded Spill
.LBB255_473:                            ;   in Loop: Header=BB255_11 Depth=1
	s_or_b32 exec_lo, exec_lo, s21
.LBB255_474:                            ;   in Loop: Header=BB255_11 Depth=1
	s_or_b32 exec_lo, exec_lo, s17
.LBB255_475:                            ;   in Loop: Header=BB255_11 Depth=1
	s_or_b32 exec_lo, exec_lo, s13
	v_mov_b32_e32 v4, 0
	v_mov_b32_e32 v5, 0
	;; [unrolled: 1-line block ×3, first 2 shown]
	s_mov_b32 s13, exec_lo
	buffer_store_dword v4, off, s[0:3], s32 offset:664 ; 4-byte Folded Spill
	buffer_store_dword v5, off, s[0:3], s32 offset:668 ; 4-byte Folded Spill
	v_mov_b32_e32 v4, 0
	v_and_b32_sdwa v3, v2, v3 dst_sel:DWORD dst_unused:UNUSED_PAD src0_sel:WORD_1 src1_sel:DWORD
	v_mov_b32_e32 v5, 0
	buffer_store_dword v4, off, s[0:3], s32 offset:672 ; 4-byte Folded Spill
	buffer_store_dword v5, off, s[0:3], s32 offset:676 ; 4-byte Folded Spill
	v_cmpx_ne_u16_e32 0, v3
	s_cbranch_execz .LBB255_483
; %bb.476:                              ;   in Loop: Header=BB255_11 Depth=1
	v_cmp_ne_u16_e64 s5, 0x80, v3
	v_bfrev_b32_e32 v3, 1
	v_mov_b32_e32 v4, 0
	buffer_store_dword v3, off, s[0:3], s32 offset:672 ; 4-byte Folded Spill
	buffer_store_dword v4, off, s[0:3], s32 offset:676 ; 4-byte Folded Spill
	s_and_saveexec_b32 s17, s5
	s_cbranch_execz .LBB255_482
; %bb.477:                              ;   in Loop: Header=BB255_11 Depth=1
	v_mov_b32_e32 v5, 0x7f800001
	v_bfe_u32 v4, v2, 16, 7
	v_mov_b32_e32 v6, 0
	s_mov_b32 s21, exec_lo
	buffer_store_dword v5, off, s[0:3], s32 offset:672 ; 4-byte Folded Spill
	buffer_store_dword v6, off, s[0:3], s32 offset:676 ; 4-byte Folded Spill
	v_cmpx_ne_u32_e32 0x7f, v4
	s_cbranch_execz .LBB255_481
; %bb.478:                              ;   in Loop: Header=BB255_11 Depth=1
	v_mov_b32_e32 v3, 7
	s_mov_b32 s22, exec_lo
	v_and_b32_sdwa v15, v2, v3 dst_sel:DWORD dst_unused:UNUSED_PAD src0_sel:WORD_1 src1_sel:DWORD
	v_lshrrev_b32_e32 v3, 3, v4
	v_cmpx_gt_u32_e32 8, v4
; %bb.479:                              ;   in Loop: Header=BB255_11 Depth=1
	v_ffbh_u32_e32 v3, v15
	v_min_u32_e32 v3, 32, v3
	v_subrev_nc_u32_e32 v4, 28, v3
	v_sub_nc_u32_e32 v3, 29, v3
	v_lshlrev_b64 v[4:5], v4, v[15:16]
	v_and_b32_e32 v15, 7, v4
; %bb.480:                              ;   in Loop: Header=BB255_11 Depth=1
	s_or_b32 exec_lo, exec_lo, s22
	v_mov_b32_e32 v4, 24
	v_lshlrev_b32_e32 v5, 20, v15
	v_lshl_add_u32 v3, v3, 23, 0x3c000000
	v_lshlrev_b32_sdwa v4, v4, v2 dst_sel:DWORD dst_unused:UNUSED_PAD src0_sel:DWORD src1_sel:WORD_1
	v_and_b32_e32 v4, 0x80000000, v4
	v_or3_b32 v15, v5, v4, v3
	buffer_store_dword v15, off, s[0:3], s32 offset:672 ; 4-byte Folded Spill
	buffer_store_dword v16, off, s[0:3], s32 offset:676 ; 4-byte Folded Spill
.LBB255_481:                            ;   in Loop: Header=BB255_11 Depth=1
	s_or_b32 exec_lo, exec_lo, s21
.LBB255_482:                            ;   in Loop: Header=BB255_11 Depth=1
	s_or_b32 exec_lo, exec_lo, s17
.LBB255_483:                            ;   in Loop: Header=BB255_11 Depth=1
	s_or_b32 exec_lo, exec_lo, s13
	s_mov_b32 s13, exec_lo
	v_cmpx_lt_u32_e32 0xffffff, v2
	s_cbranch_execz .LBB255_491
; %bb.484:                              ;   in Loop: Header=BB255_11 Depth=1
	v_mov_b32_e32 v3, 0x80
	v_mov_b32_e32 v50, v16
	buffer_store_dword v50, off, s[0:3], s32 offset:664 ; 4-byte Folded Spill
	buffer_store_dword v51, off, s[0:3], s32 offset:668 ; 4-byte Folded Spill
	v_cmp_ne_u32_sdwa s5, v2, v3 src0_sel:BYTE_3 src1_sel:DWORD
	s_and_saveexec_b32 s17, s5
	s_cbranch_execz .LBB255_490
; %bb.485:                              ;   in Loop: Header=BB255_11 Depth=1
	v_bfe_u32 v4, v2, 24, 7
	v_mov_b32_e32 v70, v16
	s_mov_b32 s21, exec_lo
	buffer_store_dword v70, off, s[0:3], s32 offset:664 ; 4-byte Folded Spill
	buffer_store_dword v71, off, s[0:3], s32 offset:668 ; 4-byte Folded Spill
	v_cmpx_ne_u32_e32 0x7f, v4
	s_cbranch_execz .LBB255_489
; %bb.486:                              ;   in Loop: Header=BB255_11 Depth=1
	v_mov_b32_e32 v3, 7
	s_mov_b32 s22, exec_lo
	v_and_b32_sdwa v15, v2, v3 dst_sel:DWORD dst_unused:UNUSED_PAD src0_sel:BYTE_3 src1_sel:DWORD
	v_lshrrev_b32_e32 v3, 3, v4
	v_cmpx_gt_u32_e32 8, v4
; %bb.487:                              ;   in Loop: Header=BB255_11 Depth=1
	v_ffbh_u32_e32 v3, v15
	v_min_u32_e32 v3, 32, v3
	v_subrev_nc_u32_e32 v4, 28, v3
	v_sub_nc_u32_e32 v3, 29, v3
	v_lshlrev_b64 v[4:5], v4, v[15:16]
	v_and_b32_e32 v15, 7, v4
; %bb.488:                              ;   in Loop: Header=BB255_11 Depth=1
	s_or_b32 exec_lo, exec_lo, s22
	v_mov_b32_e32 v4, 24
	v_lshl_add_u32 v3, v3, 23, 0x3c000000
	v_lshlrev_b32_sdwa v2, v4, v2 dst_sel:DWORD dst_unused:UNUSED_PAD src0_sel:DWORD src1_sel:BYTE_3
	v_lshlrev_b32_e32 v4, 20, v15
	v_and_b32_e32 v2, 0x80000000, v2
	v_or3_b32 v3, v4, v2, v3
	v_mov_b32_e32 v2, v16
	buffer_store_dword v2, off, s[0:3], s32 offset:664 ; 4-byte Folded Spill
	buffer_store_dword v3, off, s[0:3], s32 offset:668 ; 4-byte Folded Spill
.LBB255_489:                            ;   in Loop: Header=BB255_11 Depth=1
	s_or_b32 exec_lo, exec_lo, s21
.LBB255_490:                            ;   in Loop: Header=BB255_11 Depth=1
	s_or_b32 exec_lo, exec_lo, s17
.LBB255_491:                            ;   in Loop: Header=BB255_11 Depth=1
	s_or_b32 exec_lo, exec_lo, s13
	flat_load_dword v2, v[0:1] offset:1548
	v_mov_b32_e32 v3, 0
	v_mov_b32_e32 v4, 0
	buffer_store_dword v3, off, s[0:3], s32 offset:688 ; 4-byte Folded Spill
	buffer_store_dword v4, off, s[0:3], s32 offset:692 ; 4-byte Folded Spill
	v_mov_b32_e32 v3, 0
	v_mov_b32_e32 v4, 0
	buffer_store_dword v3, off, s[0:3], s32 offset:680 ; 4-byte Folded Spill
	buffer_store_dword v4, off, s[0:3], s32 offset:684 ; 4-byte Folded Spill
	s_waitcnt vmcnt(0) lgkmcnt(0)
	v_cmp_ne_u16_sdwa s5, v2, v16 src0_sel:BYTE_0 src1_sel:DWORD
	s_and_saveexec_b32 s13, s5
	s_cbranch_execz .LBB255_499
; %bb.492:                              ;   in Loop: Header=BB255_11 Depth=1
	v_bfrev_b32_e32 v3, 1
	v_mov_b32_e32 v4, 0
	buffer_store_dword v3, off, s[0:3], s32 offset:680 ; 4-byte Folded Spill
	buffer_store_dword v4, off, s[0:3], s32 offset:684 ; 4-byte Folded Spill
	v_mov_b32_e32 v3, 0x80
	v_cmp_ne_u16_sdwa s5, v2, v3 src0_sel:BYTE_0 src1_sel:DWORD
	s_and_saveexec_b32 s17, s5
	s_cbranch_execz .LBB255_498
; %bb.493:                              ;   in Loop: Header=BB255_11 Depth=1
	v_mov_b32_e32 v5, 0x7f800001
	v_and_b32_e32 v4, 0x7f, v2
	v_mov_b32_e32 v6, 0
	s_mov_b32 s21, exec_lo
	buffer_store_dword v5, off, s[0:3], s32 offset:680 ; 4-byte Folded Spill
	buffer_store_dword v6, off, s[0:3], s32 offset:684 ; 4-byte Folded Spill
	v_cmpx_ne_u32_e32 0x7f, v4
	s_cbranch_execz .LBB255_497
; %bb.494:                              ;   in Loop: Header=BB255_11 Depth=1
	v_and_b32_e32 v15, 7, v2
	v_lshrrev_b32_e32 v3, 3, v4
	s_mov_b32 s22, exec_lo
	v_cmpx_gt_u32_e32 8, v4
; %bb.495:                              ;   in Loop: Header=BB255_11 Depth=1
	v_ffbh_u32_e32 v3, v15
	v_min_u32_e32 v3, 32, v3
	v_subrev_nc_u32_e32 v4, 28, v3
	v_sub_nc_u32_e32 v3, 29, v3
	v_lshlrev_b64 v[4:5], v4, v[15:16]
	v_and_b32_e32 v15, 7, v4
; %bb.496:                              ;   in Loop: Header=BB255_11 Depth=1
	s_or_b32 exec_lo, exec_lo, s22
	v_lshlrev_b32_e32 v4, 24, v2
	v_lshlrev_b32_e32 v5, 20, v15
	v_lshl_add_u32 v3, v3, 23, 0x3c000000
	v_and_b32_e32 v4, 0x80000000, v4
	v_or3_b32 v15, v5, v4, v3
	buffer_store_dword v15, off, s[0:3], s32 offset:680 ; 4-byte Folded Spill
	buffer_store_dword v16, off, s[0:3], s32 offset:684 ; 4-byte Folded Spill
.LBB255_497:                            ;   in Loop: Header=BB255_11 Depth=1
	s_or_b32 exec_lo, exec_lo, s21
.LBB255_498:                            ;   in Loop: Header=BB255_11 Depth=1
	s_or_b32 exec_lo, exec_lo, s17
.LBB255_499:                            ;   in Loop: Header=BB255_11 Depth=1
	s_or_b32 exec_lo, exec_lo, s13
	v_cmp_ne_u16_sdwa s5, v2, v16 src0_sel:BYTE_1 src1_sel:DWORD
	s_and_saveexec_b32 s13, s5
	s_cbranch_execz .LBB255_507
; %bb.500:                              ;   in Loop: Header=BB255_11 Depth=1
	v_mov_b32_e32 v3, 0x80
	v_mov_b32_e32 v50, v16
	buffer_store_dword v50, off, s[0:3], s32 offset:688 ; 4-byte Folded Spill
	buffer_store_dword v51, off, s[0:3], s32 offset:692 ; 4-byte Folded Spill
	v_cmp_ne_u16_sdwa s5, v2, v3 src0_sel:BYTE_1 src1_sel:DWORD
	s_and_saveexec_b32 s17, s5
	s_cbranch_execz .LBB255_506
; %bb.501:                              ;   in Loop: Header=BB255_11 Depth=1
	v_mov_b32_e32 v3, 0xffff
	v_mov_b32_e32 v70, v16
	s_mov_b32 s21, exec_lo
	buffer_store_dword v70, off, s[0:3], s32 offset:688 ; 4-byte Folded Spill
	buffer_store_dword v71, off, s[0:3], s32 offset:692 ; 4-byte Folded Spill
	v_and_b32_sdwa v3, v3, v2 dst_sel:DWORD dst_unused:UNUSED_PAD src0_sel:DWORD src1_sel:BYTE_1
	v_and_b32_e32 v4, 0x7f, v3
	v_cmpx_ne_u32_e32 0x7f, v4
	s_cbranch_execz .LBB255_505
; %bb.502:                              ;   in Loop: Header=BB255_11 Depth=1
	v_and_b32_e32 v15, 7, v3
	v_lshrrev_b32_e32 v3, 3, v4
	s_mov_b32 s22, exec_lo
	v_cmpx_gt_u32_e32 8, v4
; %bb.503:                              ;   in Loop: Header=BB255_11 Depth=1
	v_ffbh_u32_e32 v3, v15
	v_min_u32_e32 v3, 32, v3
	v_subrev_nc_u32_e32 v4, 28, v3
	v_sub_nc_u32_e32 v3, 29, v3
	v_lshlrev_b64 v[4:5], v4, v[15:16]
	v_and_b32_e32 v15, 7, v4
; %bb.504:                              ;   in Loop: Header=BB255_11 Depth=1
	s_or_b32 exec_lo, exec_lo, s22
	v_lshlrev_b32_e32 v4, 16, v2
	v_lshlrev_b32_e32 v5, 20, v15
	v_lshl_add_u32 v3, v3, 23, 0x3c000000
	v_and_b32_e32 v4, 0x80000000, v4
	v_or3_b32 v4, v5, v4, v3
	v_mov_b32_e32 v3, v16
	buffer_store_dword v3, off, s[0:3], s32 offset:688 ; 4-byte Folded Spill
	buffer_store_dword v4, off, s[0:3], s32 offset:692 ; 4-byte Folded Spill
.LBB255_505:                            ;   in Loop: Header=BB255_11 Depth=1
	s_or_b32 exec_lo, exec_lo, s21
.LBB255_506:                            ;   in Loop: Header=BB255_11 Depth=1
	s_or_b32 exec_lo, exec_lo, s17
.LBB255_507:                            ;   in Loop: Header=BB255_11 Depth=1
	s_or_b32 exec_lo, exec_lo, s13
	v_mov_b32_e32 v4, 0
	v_mov_b32_e32 v5, 0
	;; [unrolled: 1-line block ×3, first 2 shown]
	s_mov_b32 s13, exec_lo
	buffer_store_dword v4, off, s[0:3], s32 offset:696 ; 4-byte Folded Spill
	buffer_store_dword v5, off, s[0:3], s32 offset:700 ; 4-byte Folded Spill
	v_mov_b32_e32 v4, 0
	v_and_b32_sdwa v3, v2, v3 dst_sel:DWORD dst_unused:UNUSED_PAD src0_sel:WORD_1 src1_sel:DWORD
	v_mov_b32_e32 v5, 0
	buffer_store_dword v4, off, s[0:3], s32 offset:704 ; 4-byte Folded Spill
	buffer_store_dword v5, off, s[0:3], s32 offset:708 ; 4-byte Folded Spill
	v_cmpx_ne_u16_e32 0, v3
	s_cbranch_execz .LBB255_515
; %bb.508:                              ;   in Loop: Header=BB255_11 Depth=1
	v_cmp_ne_u16_e64 s5, 0x80, v3
	v_bfrev_b32_e32 v3, 1
	v_mov_b32_e32 v4, 0
	buffer_store_dword v3, off, s[0:3], s32 offset:704 ; 4-byte Folded Spill
	buffer_store_dword v4, off, s[0:3], s32 offset:708 ; 4-byte Folded Spill
	s_and_saveexec_b32 s17, s5
	s_cbranch_execz .LBB255_514
; %bb.509:                              ;   in Loop: Header=BB255_11 Depth=1
	v_mov_b32_e32 v5, 0x7f800001
	v_bfe_u32 v4, v2, 16, 7
	v_mov_b32_e32 v6, 0
	s_mov_b32 s21, exec_lo
	buffer_store_dword v5, off, s[0:3], s32 offset:704 ; 4-byte Folded Spill
	buffer_store_dword v6, off, s[0:3], s32 offset:708 ; 4-byte Folded Spill
	v_cmpx_ne_u32_e32 0x7f, v4
	s_cbranch_execz .LBB255_513
; %bb.510:                              ;   in Loop: Header=BB255_11 Depth=1
	v_mov_b32_e32 v3, 7
	s_mov_b32 s22, exec_lo
	v_and_b32_sdwa v15, v2, v3 dst_sel:DWORD dst_unused:UNUSED_PAD src0_sel:WORD_1 src1_sel:DWORD
	v_lshrrev_b32_e32 v3, 3, v4
	v_cmpx_gt_u32_e32 8, v4
; %bb.511:                              ;   in Loop: Header=BB255_11 Depth=1
	v_ffbh_u32_e32 v3, v15
	v_min_u32_e32 v3, 32, v3
	v_subrev_nc_u32_e32 v4, 28, v3
	v_sub_nc_u32_e32 v3, 29, v3
	v_lshlrev_b64 v[4:5], v4, v[15:16]
	v_and_b32_e32 v15, 7, v4
; %bb.512:                              ;   in Loop: Header=BB255_11 Depth=1
	s_or_b32 exec_lo, exec_lo, s22
	v_mov_b32_e32 v4, 24
	v_lshlrev_b32_e32 v5, 20, v15
	v_lshl_add_u32 v3, v3, 23, 0x3c000000
	v_lshlrev_b32_sdwa v4, v4, v2 dst_sel:DWORD dst_unused:UNUSED_PAD src0_sel:DWORD src1_sel:WORD_1
	v_and_b32_e32 v4, 0x80000000, v4
	v_or3_b32 v15, v5, v4, v3
	buffer_store_dword v15, off, s[0:3], s32 offset:704 ; 4-byte Folded Spill
	buffer_store_dword v16, off, s[0:3], s32 offset:708 ; 4-byte Folded Spill
.LBB255_513:                            ;   in Loop: Header=BB255_11 Depth=1
	s_or_b32 exec_lo, exec_lo, s21
.LBB255_514:                            ;   in Loop: Header=BB255_11 Depth=1
	s_or_b32 exec_lo, exec_lo, s17
.LBB255_515:                            ;   in Loop: Header=BB255_11 Depth=1
	s_or_b32 exec_lo, exec_lo, s13
	s_mov_b32 s13, exec_lo
	v_cmpx_lt_u32_e32 0xffffff, v2
	s_cbranch_execz .LBB255_523
; %bb.516:                              ;   in Loop: Header=BB255_11 Depth=1
	v_mov_b32_e32 v3, 0x80
	v_mov_b32_e32 v50, v16
	buffer_store_dword v50, off, s[0:3], s32 offset:696 ; 4-byte Folded Spill
	buffer_store_dword v51, off, s[0:3], s32 offset:700 ; 4-byte Folded Spill
	v_cmp_ne_u32_sdwa s5, v2, v3 src0_sel:BYTE_3 src1_sel:DWORD
	s_and_saveexec_b32 s17, s5
	s_cbranch_execz .LBB255_522
; %bb.517:                              ;   in Loop: Header=BB255_11 Depth=1
	v_bfe_u32 v4, v2, 24, 7
	v_mov_b32_e32 v70, v16
	s_mov_b32 s21, exec_lo
	buffer_store_dword v70, off, s[0:3], s32 offset:696 ; 4-byte Folded Spill
	buffer_store_dword v71, off, s[0:3], s32 offset:700 ; 4-byte Folded Spill
	v_cmpx_ne_u32_e32 0x7f, v4
	s_cbranch_execz .LBB255_521
; %bb.518:                              ;   in Loop: Header=BB255_11 Depth=1
	v_mov_b32_e32 v3, 7
	s_mov_b32 s22, exec_lo
	v_and_b32_sdwa v15, v2, v3 dst_sel:DWORD dst_unused:UNUSED_PAD src0_sel:BYTE_3 src1_sel:DWORD
	v_lshrrev_b32_e32 v3, 3, v4
	v_cmpx_gt_u32_e32 8, v4
; %bb.519:                              ;   in Loop: Header=BB255_11 Depth=1
	v_ffbh_u32_e32 v3, v15
	v_min_u32_e32 v3, 32, v3
	v_subrev_nc_u32_e32 v4, 28, v3
	v_sub_nc_u32_e32 v3, 29, v3
	v_lshlrev_b64 v[4:5], v4, v[15:16]
	v_and_b32_e32 v15, 7, v4
; %bb.520:                              ;   in Loop: Header=BB255_11 Depth=1
	s_or_b32 exec_lo, exec_lo, s22
	v_mov_b32_e32 v4, 24
	v_lshl_add_u32 v3, v3, 23, 0x3c000000
	v_lshlrev_b32_sdwa v2, v4, v2 dst_sel:DWORD dst_unused:UNUSED_PAD src0_sel:DWORD src1_sel:BYTE_3
	v_lshlrev_b32_e32 v4, 20, v15
	v_and_b32_e32 v2, 0x80000000, v2
	v_or3_b32 v3, v4, v2, v3
	v_mov_b32_e32 v2, v16
	buffer_store_dword v2, off, s[0:3], s32 offset:696 ; 4-byte Folded Spill
	buffer_store_dword v3, off, s[0:3], s32 offset:700 ; 4-byte Folded Spill
.LBB255_521:                            ;   in Loop: Header=BB255_11 Depth=1
	s_or_b32 exec_lo, exec_lo, s21
.LBB255_522:                            ;   in Loop: Header=BB255_11 Depth=1
	s_or_b32 exec_lo, exec_lo, s17
.LBB255_523:                            ;   in Loop: Header=BB255_11 Depth=1
	s_or_b32 exec_lo, exec_lo, s13
	v_add_co_u32 v96, s5, 0x800, v0
	v_add_co_ci_u32_e64 v97, null, 0, v1, s5
	v_mov_b32_e32 v1, 0
	v_mov_b32_e32 v2, 0
	flat_load_dword v0, v[96:97]
	buffer_store_dword v1, off, s[0:3], s32 offset:720 ; 4-byte Folded Spill
	buffer_store_dword v2, off, s[0:3], s32 offset:724 ; 4-byte Folded Spill
	v_mov_b32_e32 v1, 0
	v_mov_b32_e32 v2, 0
	buffer_store_dword v1, off, s[0:3], s32 offset:712 ; 4-byte Folded Spill
	buffer_store_dword v2, off, s[0:3], s32 offset:716 ; 4-byte Folded Spill
	s_waitcnt vmcnt(0) lgkmcnt(0)
	v_cmp_ne_u16_sdwa s5, v0, v16 src0_sel:BYTE_0 src1_sel:DWORD
	s_and_saveexec_b32 s13, s5
	s_cbranch_execz .LBB255_531
; %bb.524:                              ;   in Loop: Header=BB255_11 Depth=1
	v_bfrev_b32_e32 v1, 1
	v_mov_b32_e32 v2, 0
	buffer_store_dword v1, off, s[0:3], s32 offset:712 ; 4-byte Folded Spill
	buffer_store_dword v2, off, s[0:3], s32 offset:716 ; 4-byte Folded Spill
	v_mov_b32_e32 v1, 0x80
	v_cmp_ne_u16_sdwa s5, v0, v1 src0_sel:BYTE_0 src1_sel:DWORD
	s_and_saveexec_b32 s17, s5
	s_cbranch_execz .LBB255_530
; %bb.525:                              ;   in Loop: Header=BB255_11 Depth=1
	v_mov_b32_e32 v3, 0x7f800001
	v_and_b32_e32 v2, 0x7f, v0
	v_mov_b32_e32 v4, 0
	s_mov_b32 s21, exec_lo
	buffer_store_dword v3, off, s[0:3], s32 offset:712 ; 4-byte Folded Spill
	buffer_store_dword v4, off, s[0:3], s32 offset:716 ; 4-byte Folded Spill
	v_cmpx_ne_u32_e32 0x7f, v2
	s_cbranch_execz .LBB255_529
; %bb.526:                              ;   in Loop: Header=BB255_11 Depth=1
	v_and_b32_e32 v15, 7, v0
	v_lshrrev_b32_e32 v1, 3, v2
	s_mov_b32 s22, exec_lo
	v_cmpx_gt_u32_e32 8, v2
; %bb.527:                              ;   in Loop: Header=BB255_11 Depth=1
	v_ffbh_u32_e32 v1, v15
	v_min_u32_e32 v1, 32, v1
	v_subrev_nc_u32_e32 v2, 28, v1
	v_sub_nc_u32_e32 v1, 29, v1
	v_lshlrev_b64 v[2:3], v2, v[15:16]
	v_and_b32_e32 v15, 7, v2
; %bb.528:                              ;   in Loop: Header=BB255_11 Depth=1
	s_or_b32 exec_lo, exec_lo, s22
	v_lshlrev_b32_e32 v2, 24, v0
	v_lshlrev_b32_e32 v3, 20, v15
	v_lshl_add_u32 v1, v1, 23, 0x3c000000
	v_and_b32_e32 v2, 0x80000000, v2
	v_or3_b32 v15, v3, v2, v1
	buffer_store_dword v15, off, s[0:3], s32 offset:712 ; 4-byte Folded Spill
	buffer_store_dword v16, off, s[0:3], s32 offset:716 ; 4-byte Folded Spill
.LBB255_529:                            ;   in Loop: Header=BB255_11 Depth=1
	s_or_b32 exec_lo, exec_lo, s21
.LBB255_530:                            ;   in Loop: Header=BB255_11 Depth=1
	s_or_b32 exec_lo, exec_lo, s17
.LBB255_531:                            ;   in Loop: Header=BB255_11 Depth=1
	s_or_b32 exec_lo, exec_lo, s13
	v_cmp_ne_u16_sdwa s5, v0, v16 src0_sel:BYTE_1 src1_sel:DWORD
	s_and_saveexec_b32 s13, s5
	s_cbranch_execz .LBB255_539
; %bb.532:                              ;   in Loop: Header=BB255_11 Depth=1
	v_mov_b32_e32 v1, 0x80
	v_mov_b32_e32 v50, v16
	buffer_store_dword v50, off, s[0:3], s32 offset:720 ; 4-byte Folded Spill
	buffer_store_dword v51, off, s[0:3], s32 offset:724 ; 4-byte Folded Spill
	v_cmp_ne_u16_sdwa s5, v0, v1 src0_sel:BYTE_1 src1_sel:DWORD
	s_and_saveexec_b32 s17, s5
	s_cbranch_execz .LBB255_538
; %bb.533:                              ;   in Loop: Header=BB255_11 Depth=1
	v_mov_b32_e32 v1, 0xffff
	v_mov_b32_e32 v70, v16
	s_mov_b32 s21, exec_lo
	buffer_store_dword v70, off, s[0:3], s32 offset:720 ; 4-byte Folded Spill
	buffer_store_dword v71, off, s[0:3], s32 offset:724 ; 4-byte Folded Spill
	v_and_b32_sdwa v1, v1, v0 dst_sel:DWORD dst_unused:UNUSED_PAD src0_sel:DWORD src1_sel:BYTE_1
	v_and_b32_e32 v2, 0x7f, v1
	v_cmpx_ne_u32_e32 0x7f, v2
	s_cbranch_execz .LBB255_537
; %bb.534:                              ;   in Loop: Header=BB255_11 Depth=1
	v_and_b32_e32 v15, 7, v1
	v_lshrrev_b32_e32 v1, 3, v2
	s_mov_b32 s22, exec_lo
	v_cmpx_gt_u32_e32 8, v2
; %bb.535:                              ;   in Loop: Header=BB255_11 Depth=1
	v_ffbh_u32_e32 v1, v15
	v_min_u32_e32 v1, 32, v1
	v_subrev_nc_u32_e32 v2, 28, v1
	v_sub_nc_u32_e32 v1, 29, v1
	v_lshlrev_b64 v[2:3], v2, v[15:16]
	v_and_b32_e32 v15, 7, v2
; %bb.536:                              ;   in Loop: Header=BB255_11 Depth=1
	s_or_b32 exec_lo, exec_lo, s22
	v_lshlrev_b32_e32 v2, 16, v0
	v_lshlrev_b32_e32 v3, 20, v15
	v_lshl_add_u32 v1, v1, 23, 0x3c000000
	v_and_b32_e32 v2, 0x80000000, v2
	v_or3_b32 v2, v3, v2, v1
	v_mov_b32_e32 v1, v16
	buffer_store_dword v1, off, s[0:3], s32 offset:720 ; 4-byte Folded Spill
	buffer_store_dword v2, off, s[0:3], s32 offset:724 ; 4-byte Folded Spill
.LBB255_537:                            ;   in Loop: Header=BB255_11 Depth=1
	s_or_b32 exec_lo, exec_lo, s21
.LBB255_538:                            ;   in Loop: Header=BB255_11 Depth=1
	s_or_b32 exec_lo, exec_lo, s17
.LBB255_539:                            ;   in Loop: Header=BB255_11 Depth=1
	s_or_b32 exec_lo, exec_lo, s13
	v_mov_b32_e32 v2, 0
	v_mov_b32_e32 v3, 0
	;; [unrolled: 1-line block ×3, first 2 shown]
	s_mov_b32 s13, exec_lo
	buffer_store_dword v2, off, s[0:3], s32 offset:728 ; 4-byte Folded Spill
	buffer_store_dword v3, off, s[0:3], s32 offset:732 ; 4-byte Folded Spill
	v_mov_b32_e32 v2, 0
	v_and_b32_sdwa v1, v0, v1 dst_sel:DWORD dst_unused:UNUSED_PAD src0_sel:WORD_1 src1_sel:DWORD
	v_mov_b32_e32 v3, 0
	buffer_store_dword v2, off, s[0:3], s32 offset:736 ; 4-byte Folded Spill
	buffer_store_dword v3, off, s[0:3], s32 offset:740 ; 4-byte Folded Spill
	v_cmpx_ne_u16_e32 0, v1
	s_cbranch_execz .LBB255_547
; %bb.540:                              ;   in Loop: Header=BB255_11 Depth=1
	v_cmp_ne_u16_e64 s5, 0x80, v1
	v_bfrev_b32_e32 v1, 1
	v_mov_b32_e32 v2, 0
	buffer_store_dword v1, off, s[0:3], s32 offset:736 ; 4-byte Folded Spill
	buffer_store_dword v2, off, s[0:3], s32 offset:740 ; 4-byte Folded Spill
	s_and_saveexec_b32 s17, s5
	s_cbranch_execz .LBB255_546
; %bb.541:                              ;   in Loop: Header=BB255_11 Depth=1
	v_mov_b32_e32 v3, 0x7f800001
	v_bfe_u32 v2, v0, 16, 7
	v_mov_b32_e32 v4, 0
	s_mov_b32 s21, exec_lo
	buffer_store_dword v3, off, s[0:3], s32 offset:736 ; 4-byte Folded Spill
	buffer_store_dword v4, off, s[0:3], s32 offset:740 ; 4-byte Folded Spill
	v_cmpx_ne_u32_e32 0x7f, v2
	s_cbranch_execz .LBB255_545
; %bb.542:                              ;   in Loop: Header=BB255_11 Depth=1
	v_mov_b32_e32 v1, 7
	s_mov_b32 s22, exec_lo
	v_and_b32_sdwa v15, v0, v1 dst_sel:DWORD dst_unused:UNUSED_PAD src0_sel:WORD_1 src1_sel:DWORD
	v_lshrrev_b32_e32 v1, 3, v2
	v_cmpx_gt_u32_e32 8, v2
; %bb.543:                              ;   in Loop: Header=BB255_11 Depth=1
	v_ffbh_u32_e32 v1, v15
	v_min_u32_e32 v1, 32, v1
	v_subrev_nc_u32_e32 v2, 28, v1
	v_sub_nc_u32_e32 v1, 29, v1
	v_lshlrev_b64 v[2:3], v2, v[15:16]
	v_and_b32_e32 v15, 7, v2
; %bb.544:                              ;   in Loop: Header=BB255_11 Depth=1
	s_or_b32 exec_lo, exec_lo, s22
	v_mov_b32_e32 v2, 24
	v_lshlrev_b32_e32 v3, 20, v15
	v_lshl_add_u32 v1, v1, 23, 0x3c000000
	v_lshlrev_b32_sdwa v2, v2, v0 dst_sel:DWORD dst_unused:UNUSED_PAD src0_sel:DWORD src1_sel:WORD_1
	v_and_b32_e32 v2, 0x80000000, v2
	v_or3_b32 v15, v3, v2, v1
	buffer_store_dword v15, off, s[0:3], s32 offset:736 ; 4-byte Folded Spill
	buffer_store_dword v16, off, s[0:3], s32 offset:740 ; 4-byte Folded Spill
.LBB255_545:                            ;   in Loop: Header=BB255_11 Depth=1
	s_or_b32 exec_lo, exec_lo, s21
.LBB255_546:                            ;   in Loop: Header=BB255_11 Depth=1
	s_or_b32 exec_lo, exec_lo, s17
.LBB255_547:                            ;   in Loop: Header=BB255_11 Depth=1
	s_or_b32 exec_lo, exec_lo, s13
	s_mov_b32 s13, exec_lo
	v_cmpx_lt_u32_e32 0xffffff, v0
	s_cbranch_execz .LBB255_555
; %bb.548:                              ;   in Loop: Header=BB255_11 Depth=1
	v_mov_b32_e32 v1, 0x80
	v_mov_b32_e32 v50, v16
	buffer_store_dword v50, off, s[0:3], s32 offset:728 ; 4-byte Folded Spill
	buffer_store_dword v51, off, s[0:3], s32 offset:732 ; 4-byte Folded Spill
	v_cmp_ne_u32_sdwa s5, v0, v1 src0_sel:BYTE_3 src1_sel:DWORD
	s_and_saveexec_b32 s17, s5
	s_cbranch_execz .LBB255_554
; %bb.549:                              ;   in Loop: Header=BB255_11 Depth=1
	v_bfe_u32 v2, v0, 24, 7
	v_mov_b32_e32 v70, v16
	s_mov_b32 s21, exec_lo
	buffer_store_dword v70, off, s[0:3], s32 offset:728 ; 4-byte Folded Spill
	buffer_store_dword v71, off, s[0:3], s32 offset:732 ; 4-byte Folded Spill
	v_cmpx_ne_u32_e32 0x7f, v2
	s_cbranch_execz .LBB255_553
; %bb.550:                              ;   in Loop: Header=BB255_11 Depth=1
	v_mov_b32_e32 v1, 7
	s_mov_b32 s22, exec_lo
	v_and_b32_sdwa v15, v0, v1 dst_sel:DWORD dst_unused:UNUSED_PAD src0_sel:BYTE_3 src1_sel:DWORD
	v_lshrrev_b32_e32 v1, 3, v2
	v_cmpx_gt_u32_e32 8, v2
; %bb.551:                              ;   in Loop: Header=BB255_11 Depth=1
	v_ffbh_u32_e32 v1, v15
	v_min_u32_e32 v1, 32, v1
	v_subrev_nc_u32_e32 v2, 28, v1
	v_sub_nc_u32_e32 v1, 29, v1
	v_lshlrev_b64 v[2:3], v2, v[15:16]
	v_and_b32_e32 v15, 7, v2
; %bb.552:                              ;   in Loop: Header=BB255_11 Depth=1
	s_or_b32 exec_lo, exec_lo, s22
	v_mov_b32_e32 v2, 24
	v_lshl_add_u32 v1, v1, 23, 0x3c000000
	v_lshlrev_b32_sdwa v0, v2, v0 dst_sel:DWORD dst_unused:UNUSED_PAD src0_sel:DWORD src1_sel:BYTE_3
	v_lshlrev_b32_e32 v2, 20, v15
	v_and_b32_e32 v0, 0x80000000, v0
	v_or3_b32 v1, v2, v0, v1
	v_mov_b32_e32 v0, v16
	buffer_store_dword v0, off, s[0:3], s32 offset:728 ; 4-byte Folded Spill
	buffer_store_dword v1, off, s[0:3], s32 offset:732 ; 4-byte Folded Spill
.LBB255_553:                            ;   in Loop: Header=BB255_11 Depth=1
	s_or_b32 exec_lo, exec_lo, s21
.LBB255_554:                            ;   in Loop: Header=BB255_11 Depth=1
	s_or_b32 exec_lo, exec_lo, s17
.LBB255_555:                            ;   in Loop: Header=BB255_11 Depth=1
	s_or_b32 exec_lo, exec_lo, s13
	flat_load_dword v0, v[96:97] offset:4
	v_mov_b32_e32 v1, 0
	v_mov_b32_e32 v2, 0
	buffer_store_dword v1, off, s[0:3], s32 offset:752 ; 4-byte Folded Spill
	buffer_store_dword v2, off, s[0:3], s32 offset:756 ; 4-byte Folded Spill
	v_mov_b32_e32 v1, 0
	v_mov_b32_e32 v2, 0
	buffer_store_dword v1, off, s[0:3], s32 offset:744 ; 4-byte Folded Spill
	buffer_store_dword v2, off, s[0:3], s32 offset:748 ; 4-byte Folded Spill
	s_waitcnt vmcnt(0) lgkmcnt(0)
	v_cmp_ne_u16_sdwa s5, v0, v16 src0_sel:BYTE_0 src1_sel:DWORD
	s_and_saveexec_b32 s13, s5
	s_cbranch_execz .LBB255_563
; %bb.556:                              ;   in Loop: Header=BB255_11 Depth=1
	v_bfrev_b32_e32 v1, 1
	v_mov_b32_e32 v2, 0
	buffer_store_dword v1, off, s[0:3], s32 offset:744 ; 4-byte Folded Spill
	buffer_store_dword v2, off, s[0:3], s32 offset:748 ; 4-byte Folded Spill
	v_mov_b32_e32 v1, 0x80
	v_cmp_ne_u16_sdwa s5, v0, v1 src0_sel:BYTE_0 src1_sel:DWORD
	s_and_saveexec_b32 s17, s5
	s_cbranch_execz .LBB255_562
; %bb.557:                              ;   in Loop: Header=BB255_11 Depth=1
	v_mov_b32_e32 v3, 0x7f800001
	v_and_b32_e32 v2, 0x7f, v0
	v_mov_b32_e32 v4, 0
	s_mov_b32 s21, exec_lo
	buffer_store_dword v3, off, s[0:3], s32 offset:744 ; 4-byte Folded Spill
	buffer_store_dword v4, off, s[0:3], s32 offset:748 ; 4-byte Folded Spill
	v_cmpx_ne_u32_e32 0x7f, v2
	s_cbranch_execz .LBB255_561
; %bb.558:                              ;   in Loop: Header=BB255_11 Depth=1
	v_and_b32_e32 v15, 7, v0
	v_lshrrev_b32_e32 v1, 3, v2
	s_mov_b32 s22, exec_lo
	v_cmpx_gt_u32_e32 8, v2
; %bb.559:                              ;   in Loop: Header=BB255_11 Depth=1
	v_ffbh_u32_e32 v1, v15
	v_min_u32_e32 v1, 32, v1
	v_subrev_nc_u32_e32 v2, 28, v1
	v_sub_nc_u32_e32 v1, 29, v1
	v_lshlrev_b64 v[2:3], v2, v[15:16]
	v_and_b32_e32 v15, 7, v2
; %bb.560:                              ;   in Loop: Header=BB255_11 Depth=1
	s_or_b32 exec_lo, exec_lo, s22
	v_lshlrev_b32_e32 v2, 24, v0
	v_lshlrev_b32_e32 v3, 20, v15
	v_lshl_add_u32 v1, v1, 23, 0x3c000000
	v_and_b32_e32 v2, 0x80000000, v2
	v_or3_b32 v15, v3, v2, v1
	buffer_store_dword v15, off, s[0:3], s32 offset:744 ; 4-byte Folded Spill
	buffer_store_dword v16, off, s[0:3], s32 offset:748 ; 4-byte Folded Spill
.LBB255_561:                            ;   in Loop: Header=BB255_11 Depth=1
	s_or_b32 exec_lo, exec_lo, s21
.LBB255_562:                            ;   in Loop: Header=BB255_11 Depth=1
	s_or_b32 exec_lo, exec_lo, s17
.LBB255_563:                            ;   in Loop: Header=BB255_11 Depth=1
	s_or_b32 exec_lo, exec_lo, s13
	v_cmp_ne_u16_sdwa s5, v0, v16 src0_sel:BYTE_1 src1_sel:DWORD
	s_and_saveexec_b32 s13, s5
	s_cbranch_execz .LBB255_571
; %bb.564:                              ;   in Loop: Header=BB255_11 Depth=1
	v_mov_b32_e32 v1, 0x80
	v_mov_b32_e32 v50, v16
	buffer_store_dword v50, off, s[0:3], s32 offset:752 ; 4-byte Folded Spill
	buffer_store_dword v51, off, s[0:3], s32 offset:756 ; 4-byte Folded Spill
	v_cmp_ne_u16_sdwa s5, v0, v1 src0_sel:BYTE_1 src1_sel:DWORD
	s_and_saveexec_b32 s17, s5
	s_cbranch_execz .LBB255_570
; %bb.565:                              ;   in Loop: Header=BB255_11 Depth=1
	v_mov_b32_e32 v1, 0xffff
	v_mov_b32_e32 v70, v16
	s_mov_b32 s21, exec_lo
	buffer_store_dword v70, off, s[0:3], s32 offset:752 ; 4-byte Folded Spill
	buffer_store_dword v71, off, s[0:3], s32 offset:756 ; 4-byte Folded Spill
	v_and_b32_sdwa v1, v1, v0 dst_sel:DWORD dst_unused:UNUSED_PAD src0_sel:DWORD src1_sel:BYTE_1
	v_and_b32_e32 v2, 0x7f, v1
	v_cmpx_ne_u32_e32 0x7f, v2
	s_cbranch_execz .LBB255_569
; %bb.566:                              ;   in Loop: Header=BB255_11 Depth=1
	v_and_b32_e32 v15, 7, v1
	v_lshrrev_b32_e32 v1, 3, v2
	s_mov_b32 s22, exec_lo
	v_cmpx_gt_u32_e32 8, v2
; %bb.567:                              ;   in Loop: Header=BB255_11 Depth=1
	v_ffbh_u32_e32 v1, v15
	v_min_u32_e32 v1, 32, v1
	v_subrev_nc_u32_e32 v2, 28, v1
	v_sub_nc_u32_e32 v1, 29, v1
	v_lshlrev_b64 v[2:3], v2, v[15:16]
	v_and_b32_e32 v15, 7, v2
; %bb.568:                              ;   in Loop: Header=BB255_11 Depth=1
	s_or_b32 exec_lo, exec_lo, s22
	v_lshlrev_b32_e32 v2, 16, v0
	v_lshlrev_b32_e32 v3, 20, v15
	v_lshl_add_u32 v1, v1, 23, 0x3c000000
	v_and_b32_e32 v2, 0x80000000, v2
	v_or3_b32 v2, v3, v2, v1
	v_mov_b32_e32 v1, v16
	buffer_store_dword v1, off, s[0:3], s32 offset:752 ; 4-byte Folded Spill
	buffer_store_dword v2, off, s[0:3], s32 offset:756 ; 4-byte Folded Spill
.LBB255_569:                            ;   in Loop: Header=BB255_11 Depth=1
	s_or_b32 exec_lo, exec_lo, s21
.LBB255_570:                            ;   in Loop: Header=BB255_11 Depth=1
	s_or_b32 exec_lo, exec_lo, s17
.LBB255_571:                            ;   in Loop: Header=BB255_11 Depth=1
	s_or_b32 exec_lo, exec_lo, s13
	v_mov_b32_e32 v2, 0
	v_mov_b32_e32 v3, 0
	;; [unrolled: 1-line block ×3, first 2 shown]
	s_mov_b32 s13, exec_lo
	buffer_store_dword v2, off, s[0:3], s32 offset:760 ; 4-byte Folded Spill
	buffer_store_dword v3, off, s[0:3], s32 offset:764 ; 4-byte Folded Spill
	v_mov_b32_e32 v2, 0
	v_and_b32_sdwa v1, v0, v1 dst_sel:DWORD dst_unused:UNUSED_PAD src0_sel:WORD_1 src1_sel:DWORD
	v_mov_b32_e32 v3, 0
	buffer_store_dword v2, off, s[0:3], s32 offset:768 ; 4-byte Folded Spill
	buffer_store_dword v3, off, s[0:3], s32 offset:772 ; 4-byte Folded Spill
	v_cmpx_ne_u16_e32 0, v1
	s_cbranch_execz .LBB255_579
; %bb.572:                              ;   in Loop: Header=BB255_11 Depth=1
	v_cmp_ne_u16_e64 s5, 0x80, v1
	v_bfrev_b32_e32 v1, 1
	v_mov_b32_e32 v2, 0
	buffer_store_dword v1, off, s[0:3], s32 offset:768 ; 4-byte Folded Spill
	buffer_store_dword v2, off, s[0:3], s32 offset:772 ; 4-byte Folded Spill
	s_and_saveexec_b32 s17, s5
	s_cbranch_execz .LBB255_578
; %bb.573:                              ;   in Loop: Header=BB255_11 Depth=1
	v_mov_b32_e32 v3, 0x7f800001
	v_bfe_u32 v2, v0, 16, 7
	v_mov_b32_e32 v4, 0
	s_mov_b32 s21, exec_lo
	buffer_store_dword v3, off, s[0:3], s32 offset:768 ; 4-byte Folded Spill
	buffer_store_dword v4, off, s[0:3], s32 offset:772 ; 4-byte Folded Spill
	v_cmpx_ne_u32_e32 0x7f, v2
	s_cbranch_execz .LBB255_577
; %bb.574:                              ;   in Loop: Header=BB255_11 Depth=1
	v_mov_b32_e32 v1, 7
	s_mov_b32 s22, exec_lo
	v_and_b32_sdwa v15, v0, v1 dst_sel:DWORD dst_unused:UNUSED_PAD src0_sel:WORD_1 src1_sel:DWORD
	v_lshrrev_b32_e32 v1, 3, v2
	v_cmpx_gt_u32_e32 8, v2
; %bb.575:                              ;   in Loop: Header=BB255_11 Depth=1
	v_ffbh_u32_e32 v1, v15
	v_min_u32_e32 v1, 32, v1
	v_subrev_nc_u32_e32 v2, 28, v1
	v_sub_nc_u32_e32 v1, 29, v1
	v_lshlrev_b64 v[2:3], v2, v[15:16]
	v_and_b32_e32 v15, 7, v2
; %bb.576:                              ;   in Loop: Header=BB255_11 Depth=1
	s_or_b32 exec_lo, exec_lo, s22
	v_mov_b32_e32 v2, 24
	v_lshlrev_b32_e32 v3, 20, v15
	v_lshl_add_u32 v1, v1, 23, 0x3c000000
	v_lshlrev_b32_sdwa v2, v2, v0 dst_sel:DWORD dst_unused:UNUSED_PAD src0_sel:DWORD src1_sel:WORD_1
	v_and_b32_e32 v2, 0x80000000, v2
	v_or3_b32 v15, v3, v2, v1
	buffer_store_dword v15, off, s[0:3], s32 offset:768 ; 4-byte Folded Spill
	buffer_store_dword v16, off, s[0:3], s32 offset:772 ; 4-byte Folded Spill
.LBB255_577:                            ;   in Loop: Header=BB255_11 Depth=1
	s_or_b32 exec_lo, exec_lo, s21
.LBB255_578:                            ;   in Loop: Header=BB255_11 Depth=1
	s_or_b32 exec_lo, exec_lo, s17
.LBB255_579:                            ;   in Loop: Header=BB255_11 Depth=1
	s_or_b32 exec_lo, exec_lo, s13
	s_mov_b32 s13, exec_lo
	v_cmpx_lt_u32_e32 0xffffff, v0
	s_cbranch_execz .LBB255_587
; %bb.580:                              ;   in Loop: Header=BB255_11 Depth=1
	v_mov_b32_e32 v1, 0x80
	v_mov_b32_e32 v50, v16
	buffer_store_dword v50, off, s[0:3], s32 offset:760 ; 4-byte Folded Spill
	buffer_store_dword v51, off, s[0:3], s32 offset:764 ; 4-byte Folded Spill
	v_cmp_ne_u32_sdwa s5, v0, v1 src0_sel:BYTE_3 src1_sel:DWORD
	s_and_saveexec_b32 s17, s5
	s_cbranch_execz .LBB255_586
; %bb.581:                              ;   in Loop: Header=BB255_11 Depth=1
	v_bfe_u32 v2, v0, 24, 7
	v_mov_b32_e32 v70, v16
	s_mov_b32 s21, exec_lo
	buffer_store_dword v70, off, s[0:3], s32 offset:760 ; 4-byte Folded Spill
	buffer_store_dword v71, off, s[0:3], s32 offset:764 ; 4-byte Folded Spill
	v_cmpx_ne_u32_e32 0x7f, v2
	s_cbranch_execz .LBB255_585
; %bb.582:                              ;   in Loop: Header=BB255_11 Depth=1
	v_mov_b32_e32 v1, 7
	s_mov_b32 s22, exec_lo
	v_and_b32_sdwa v15, v0, v1 dst_sel:DWORD dst_unused:UNUSED_PAD src0_sel:BYTE_3 src1_sel:DWORD
	v_lshrrev_b32_e32 v1, 3, v2
	v_cmpx_gt_u32_e32 8, v2
; %bb.583:                              ;   in Loop: Header=BB255_11 Depth=1
	v_ffbh_u32_e32 v1, v15
	v_min_u32_e32 v1, 32, v1
	v_subrev_nc_u32_e32 v2, 28, v1
	v_sub_nc_u32_e32 v1, 29, v1
	v_lshlrev_b64 v[2:3], v2, v[15:16]
	v_and_b32_e32 v15, 7, v2
; %bb.584:                              ;   in Loop: Header=BB255_11 Depth=1
	s_or_b32 exec_lo, exec_lo, s22
	v_mov_b32_e32 v2, 24
	v_lshl_add_u32 v1, v1, 23, 0x3c000000
	v_lshlrev_b32_sdwa v0, v2, v0 dst_sel:DWORD dst_unused:UNUSED_PAD src0_sel:DWORD src1_sel:BYTE_3
	v_lshlrev_b32_e32 v2, 20, v15
	v_and_b32_e32 v0, 0x80000000, v0
	v_or3_b32 v1, v2, v0, v1
	v_mov_b32_e32 v0, v16
	buffer_store_dword v0, off, s[0:3], s32 offset:760 ; 4-byte Folded Spill
	buffer_store_dword v1, off, s[0:3], s32 offset:764 ; 4-byte Folded Spill
.LBB255_585:                            ;   in Loop: Header=BB255_11 Depth=1
	s_or_b32 exec_lo, exec_lo, s21
.LBB255_586:                            ;   in Loop: Header=BB255_11 Depth=1
	s_or_b32 exec_lo, exec_lo, s17
.LBB255_587:                            ;   in Loop: Header=BB255_11 Depth=1
	s_or_b32 exec_lo, exec_lo, s13
	flat_load_dword v0, v[96:97] offset:8
	v_mov_b32_e32 v102, 0
	v_mov_b32_e32 v1, 0
	;; [unrolled: 1-line block ×4, first 2 shown]
	buffer_store_dword v1, off, s[0:3], s32 offset:776 ; 4-byte Folded Spill
	buffer_store_dword v2, off, s[0:3], s32 offset:780 ; 4-byte Folded Spill
	s_waitcnt vmcnt(0) lgkmcnt(0)
	v_cmp_ne_u16_sdwa s5, v0, v16 src0_sel:BYTE_0 src1_sel:DWORD
	s_and_saveexec_b32 s13, s5
	s_cbranch_execz .LBB255_595
; %bb.588:                              ;   in Loop: Header=BB255_11 Depth=1
	v_bfrev_b32_e32 v1, 1
	v_mov_b32_e32 v2, 0
	buffer_store_dword v1, off, s[0:3], s32 offset:776 ; 4-byte Folded Spill
	buffer_store_dword v2, off, s[0:3], s32 offset:780 ; 4-byte Folded Spill
	v_mov_b32_e32 v1, 0x80
	v_cmp_ne_u16_sdwa s5, v0, v1 src0_sel:BYTE_0 src1_sel:DWORD
	s_and_saveexec_b32 s17, s5
	s_cbranch_execz .LBB255_594
; %bb.589:                              ;   in Loop: Header=BB255_11 Depth=1
	v_mov_b32_e32 v3, 0x7f800001
	v_and_b32_e32 v2, 0x7f, v0
	v_mov_b32_e32 v4, 0
	s_mov_b32 s21, exec_lo
	buffer_store_dword v3, off, s[0:3], s32 offset:776 ; 4-byte Folded Spill
	buffer_store_dword v4, off, s[0:3], s32 offset:780 ; 4-byte Folded Spill
	v_cmpx_ne_u32_e32 0x7f, v2
	s_cbranch_execz .LBB255_593
; %bb.590:                              ;   in Loop: Header=BB255_11 Depth=1
	v_and_b32_e32 v15, 7, v0
	v_lshrrev_b32_e32 v1, 3, v2
	s_mov_b32 s22, exec_lo
	v_cmpx_gt_u32_e32 8, v2
; %bb.591:                              ;   in Loop: Header=BB255_11 Depth=1
	v_ffbh_u32_e32 v1, v15
	v_min_u32_e32 v1, 32, v1
	v_subrev_nc_u32_e32 v2, 28, v1
	v_sub_nc_u32_e32 v1, 29, v1
	v_lshlrev_b64 v[2:3], v2, v[15:16]
	v_and_b32_e32 v15, 7, v2
; %bb.592:                              ;   in Loop: Header=BB255_11 Depth=1
	s_or_b32 exec_lo, exec_lo, s22
	v_lshlrev_b32_e32 v2, 24, v0
	v_lshlrev_b32_e32 v3, 20, v15
	v_lshl_add_u32 v1, v1, 23, 0x3c000000
	v_and_b32_e32 v2, 0x80000000, v2
	v_or3_b32 v15, v3, v2, v1
	buffer_store_dword v15, off, s[0:3], s32 offset:776 ; 4-byte Folded Spill
	buffer_store_dword v16, off, s[0:3], s32 offset:780 ; 4-byte Folded Spill
.LBB255_593:                            ;   in Loop: Header=BB255_11 Depth=1
	s_or_b32 exec_lo, exec_lo, s21
.LBB255_594:                            ;   in Loop: Header=BB255_11 Depth=1
	s_or_b32 exec_lo, exec_lo, s17
.LBB255_595:                            ;   in Loop: Header=BB255_11 Depth=1
	s_or_b32 exec_lo, exec_lo, s13
	v_cmp_ne_u16_sdwa s5, v0, v16 src0_sel:BYTE_1 src1_sel:DWORD
	s_and_saveexec_b32 s13, s5
	s_cbranch_execz .LBB255_603
; %bb.596:                              ;   in Loop: Header=BB255_11 Depth=1
	v_mov_b32_e32 v50, v16
	v_mov_b32_e32 v1, 0x80
	;; [unrolled: 1-line block ×4, first 2 shown]
	v_cmp_ne_u16_sdwa s5, v0, v1 src0_sel:BYTE_1 src1_sel:DWORD
	s_and_saveexec_b32 s17, s5
	s_cbranch_execz .LBB255_602
; %bb.597:                              ;   in Loop: Header=BB255_11 Depth=1
	v_mov_b32_e32 v1, 0xffff
	v_mov_b32_e32 v70, v16
	;; [unrolled: 1-line block ×3, first 2 shown]
	s_mov_b32 s21, exec_lo
	v_and_b32_sdwa v1, v1, v0 dst_sel:DWORD dst_unused:UNUSED_PAD src0_sel:DWORD src1_sel:BYTE_1
	v_mov_b32_e32 v102, v70
	v_and_b32_e32 v2, 0x7f, v1
	v_cmpx_ne_u32_e32 0x7f, v2
	s_cbranch_execz .LBB255_601
; %bb.598:                              ;   in Loop: Header=BB255_11 Depth=1
	v_and_b32_e32 v15, 7, v1
	v_lshrrev_b32_e32 v1, 3, v2
	s_mov_b32 s22, exec_lo
	v_cmpx_gt_u32_e32 8, v2
; %bb.599:                              ;   in Loop: Header=BB255_11 Depth=1
	v_ffbh_u32_e32 v1, v15
	v_min_u32_e32 v1, 32, v1
	v_subrev_nc_u32_e32 v2, 28, v1
	v_sub_nc_u32_e32 v1, 29, v1
	v_lshlrev_b64 v[2:3], v2, v[15:16]
	v_and_b32_e32 v15, 7, v2
; %bb.600:                              ;   in Loop: Header=BB255_11 Depth=1
	s_or_b32 exec_lo, exec_lo, s22
	v_lshlrev_b32_e32 v2, 16, v0
	v_lshlrev_b32_e32 v3, 20, v15
	v_lshl_add_u32 v1, v1, 23, 0x3c000000
	v_mov_b32_e32 v102, v16
	v_and_b32_e32 v2, 0x80000000, v2
	v_or3_b32 v103, v3, v2, v1
.LBB255_601:                            ;   in Loop: Header=BB255_11 Depth=1
	s_or_b32 exec_lo, exec_lo, s21
.LBB255_602:                            ;   in Loop: Header=BB255_11 Depth=1
	s_or_b32 exec_lo, exec_lo, s17
.LBB255_603:                            ;   in Loop: Header=BB255_11 Depth=1
	s_or_b32 exec_lo, exec_lo, s13
	v_mov_b32_e32 v1, 0xff
	v_mov_b32_e32 v116, 0
	;; [unrolled: 1-line block ×5, first 2 shown]
	v_and_b32_sdwa v1, v0, v1 dst_sel:DWORD dst_unused:UNUSED_PAD src0_sel:WORD_1 src1_sel:DWORD
	s_mov_b32 s13, exec_lo
	v_cmpx_ne_u16_e32 0, v1
	s_cbranch_execz .LBB255_611
; %bb.604:                              ;   in Loop: Header=BB255_11 Depth=1
	v_bfrev_b32_e32 v112, 1
	v_mov_b32_e32 v113, 0
	s_mov_b32 s17, exec_lo
	v_cmpx_ne_u16_e32 0x80, v1
	s_cbranch_execz .LBB255_610
; %bb.605:                              ;   in Loop: Header=BB255_11 Depth=1
	v_mov_b32_e32 v112, 0x7f800001
	v_bfe_u32 v2, v0, 16, 7
	v_mov_b32_e32 v113, 0
	s_mov_b32 s21, exec_lo
	v_cmpx_ne_u32_e32 0x7f, v2
	s_cbranch_execz .LBB255_609
; %bb.606:                              ;   in Loop: Header=BB255_11 Depth=1
	v_mov_b32_e32 v1, 7
	s_mov_b32 s22, exec_lo
	v_and_b32_sdwa v15, v0, v1 dst_sel:DWORD dst_unused:UNUSED_PAD src0_sel:WORD_1 src1_sel:DWORD
	v_lshrrev_b32_e32 v1, 3, v2
	v_cmpx_gt_u32_e32 8, v2
; %bb.607:                              ;   in Loop: Header=BB255_11 Depth=1
	v_ffbh_u32_e32 v1, v15
	v_min_u32_e32 v1, 32, v1
	v_subrev_nc_u32_e32 v2, 28, v1
	v_sub_nc_u32_e32 v1, 29, v1
	v_lshlrev_b64 v[2:3], v2, v[15:16]
	v_and_b32_e32 v15, 7, v2
; %bb.608:                              ;   in Loop: Header=BB255_11 Depth=1
	s_or_b32 exec_lo, exec_lo, s22
	v_mov_b32_e32 v2, 24
	v_lshlrev_b32_e32 v3, 20, v15
	v_lshl_add_u32 v1, v1, 23, 0x3c000000
	v_lshlrev_b32_sdwa v2, v2, v0 dst_sel:DWORD dst_unused:UNUSED_PAD src0_sel:DWORD src1_sel:WORD_1
	v_and_b32_e32 v2, 0x80000000, v2
	v_or3_b32 v15, v3, v2, v1
	v_mov_b32_e32 v113, v16
	v_mov_b32_e32 v112, v15
.LBB255_609:                            ;   in Loop: Header=BB255_11 Depth=1
	s_or_b32 exec_lo, exec_lo, s21
.LBB255_610:                            ;   in Loop: Header=BB255_11 Depth=1
	s_or_b32 exec_lo, exec_lo, s17
.LBB255_611:                            ;   in Loop: Header=BB255_11 Depth=1
	s_or_b32 exec_lo, exec_lo, s13
	s_mov_b32 s13, exec_lo
	v_cmpx_lt_u32_e32 0xffffff, v0
	s_cbranch_execz .LBB255_619
; %bb.612:                              ;   in Loop: Header=BB255_11 Depth=1
	v_mov_b32_e32 v50, v16
	v_mov_b32_e32 v1, 0x80
	;; [unrolled: 1-line block ×4, first 2 shown]
	v_cmp_ne_u32_sdwa s5, v0, v1 src0_sel:BYTE_3 src1_sel:DWORD
	s_and_saveexec_b32 s17, s5
	s_cbranch_execz .LBB255_618
; %bb.613:                              ;   in Loop: Header=BB255_11 Depth=1
	v_mov_b32_e32 v70, v16
	v_mov_b32_e32 v117, v71
	v_bfe_u32 v2, v0, 24, 7
	s_mov_b32 s21, exec_lo
	v_mov_b32_e32 v116, v70
	v_cmpx_ne_u32_e32 0x7f, v2
	s_cbranch_execz .LBB255_617
; %bb.614:                              ;   in Loop: Header=BB255_11 Depth=1
	v_mov_b32_e32 v1, 7
	s_mov_b32 s22, exec_lo
	v_and_b32_sdwa v15, v0, v1 dst_sel:DWORD dst_unused:UNUSED_PAD src0_sel:BYTE_3 src1_sel:DWORD
	v_lshrrev_b32_e32 v1, 3, v2
	v_cmpx_gt_u32_e32 8, v2
; %bb.615:                              ;   in Loop: Header=BB255_11 Depth=1
	v_ffbh_u32_e32 v1, v15
	v_min_u32_e32 v1, 32, v1
	v_subrev_nc_u32_e32 v2, 28, v1
	v_sub_nc_u32_e32 v1, 29, v1
	v_lshlrev_b64 v[2:3], v2, v[15:16]
	v_and_b32_e32 v15, 7, v2
; %bb.616:                              ;   in Loop: Header=BB255_11 Depth=1
	s_or_b32 exec_lo, exec_lo, s22
	v_mov_b32_e32 v2, 24
	v_lshl_add_u32 v1, v1, 23, 0x3c000000
	v_mov_b32_e32 v116, v16
	v_lshlrev_b32_sdwa v0, v2, v0 dst_sel:DWORD dst_unused:UNUSED_PAD src0_sel:DWORD src1_sel:BYTE_3
	v_lshlrev_b32_e32 v2, 20, v15
	v_and_b32_e32 v0, 0x80000000, v0
	v_or3_b32 v117, v2, v0, v1
.LBB255_617:                            ;   in Loop: Header=BB255_11 Depth=1
	s_or_b32 exec_lo, exec_lo, s21
.LBB255_618:                            ;   in Loop: Header=BB255_11 Depth=1
	s_or_b32 exec_lo, exec_lo, s17
.LBB255_619:                            ;   in Loop: Header=BB255_11 Depth=1
	s_or_b32 exec_lo, exec_lo, s13
	flat_load_dword v0, v[96:97] offset:12
	v_mov_b32_e32 v118, 0
	v_mov_b32_e32 v100, 0
	v_mov_b32_e32 v119, 0
	v_mov_b32_e32 v101, 0
	s_waitcnt vmcnt(0) lgkmcnt(0)
	v_cmp_ne_u16_sdwa s5, v0, v16 src0_sel:BYTE_0 src1_sel:DWORD
	s_and_saveexec_b32 s13, s5
	s_cbranch_execz .LBB255_627
; %bb.620:                              ;   in Loop: Header=BB255_11 Depth=1
	v_mov_b32_e32 v1, 0x80
	v_bfrev_b32_e32 v100, 1
	v_mov_b32_e32 v101, 0
	v_cmp_ne_u16_sdwa s5, v0, v1 src0_sel:BYTE_0 src1_sel:DWORD
	s_and_saveexec_b32 s17, s5
	s_cbranch_execz .LBB255_626
; %bb.621:                              ;   in Loop: Header=BB255_11 Depth=1
	v_mov_b32_e32 v100, 0x7f800001
	v_and_b32_e32 v2, 0x7f, v0
	v_mov_b32_e32 v101, 0
	s_mov_b32 s21, exec_lo
	v_cmpx_ne_u32_e32 0x7f, v2
	s_cbranch_execz .LBB255_625
; %bb.622:                              ;   in Loop: Header=BB255_11 Depth=1
	v_and_b32_e32 v15, 7, v0
	v_lshrrev_b32_e32 v1, 3, v2
	s_mov_b32 s22, exec_lo
	v_cmpx_gt_u32_e32 8, v2
; %bb.623:                              ;   in Loop: Header=BB255_11 Depth=1
	v_ffbh_u32_e32 v1, v15
	v_min_u32_e32 v1, 32, v1
	v_subrev_nc_u32_e32 v2, 28, v1
	v_sub_nc_u32_e32 v1, 29, v1
	v_lshlrev_b64 v[2:3], v2, v[15:16]
	v_and_b32_e32 v15, 7, v2
; %bb.624:                              ;   in Loop: Header=BB255_11 Depth=1
	s_or_b32 exec_lo, exec_lo, s22
	v_lshlrev_b32_e32 v2, 24, v0
	v_lshlrev_b32_e32 v3, 20, v15
	v_lshl_add_u32 v1, v1, 23, 0x3c000000
	v_and_b32_e32 v2, 0x80000000, v2
	v_or3_b32 v15, v3, v2, v1
	v_mov_b32_e32 v101, v16
	v_mov_b32_e32 v100, v15
.LBB255_625:                            ;   in Loop: Header=BB255_11 Depth=1
	s_or_b32 exec_lo, exec_lo, s21
.LBB255_626:                            ;   in Loop: Header=BB255_11 Depth=1
	s_or_b32 exec_lo, exec_lo, s17
.LBB255_627:                            ;   in Loop: Header=BB255_11 Depth=1
	s_or_b32 exec_lo, exec_lo, s13
	v_cmp_ne_u16_sdwa s5, v0, v16 src0_sel:BYTE_1 src1_sel:DWORD
	s_and_saveexec_b32 s13, s5
	s_cbranch_execz .LBB255_635
; %bb.628:                              ;   in Loop: Header=BB255_11 Depth=1
	v_mov_b32_e32 v50, v16
	v_mov_b32_e32 v1, 0x80
	;; [unrolled: 1-line block ×4, first 2 shown]
	v_cmp_ne_u16_sdwa s5, v0, v1 src0_sel:BYTE_1 src1_sel:DWORD
	s_and_saveexec_b32 s17, s5
	s_cbranch_execz .LBB255_634
; %bb.629:                              ;   in Loop: Header=BB255_11 Depth=1
	v_mov_b32_e32 v1, 0xffff
	v_mov_b32_e32 v70, v16
	;; [unrolled: 1-line block ×3, first 2 shown]
	s_mov_b32 s21, exec_lo
	v_and_b32_sdwa v1, v1, v0 dst_sel:DWORD dst_unused:UNUSED_PAD src0_sel:DWORD src1_sel:BYTE_1
	v_mov_b32_e32 v118, v70
	v_and_b32_e32 v2, 0x7f, v1
	v_cmpx_ne_u32_e32 0x7f, v2
	s_cbranch_execz .LBB255_633
; %bb.630:                              ;   in Loop: Header=BB255_11 Depth=1
	v_and_b32_e32 v15, 7, v1
	v_lshrrev_b32_e32 v1, 3, v2
	s_mov_b32 s22, exec_lo
	v_cmpx_gt_u32_e32 8, v2
; %bb.631:                              ;   in Loop: Header=BB255_11 Depth=1
	v_ffbh_u32_e32 v1, v15
	v_min_u32_e32 v1, 32, v1
	v_subrev_nc_u32_e32 v2, 28, v1
	v_sub_nc_u32_e32 v1, 29, v1
	v_lshlrev_b64 v[2:3], v2, v[15:16]
	v_and_b32_e32 v15, 7, v2
; %bb.632:                              ;   in Loop: Header=BB255_11 Depth=1
	s_or_b32 exec_lo, exec_lo, s22
	v_lshlrev_b32_e32 v2, 16, v0
	v_lshlrev_b32_e32 v3, 20, v15
	v_lshl_add_u32 v1, v1, 23, 0x3c000000
	v_mov_b32_e32 v118, v16
	v_and_b32_e32 v2, 0x80000000, v2
	v_or3_b32 v119, v3, v2, v1
.LBB255_633:                            ;   in Loop: Header=BB255_11 Depth=1
	s_or_b32 exec_lo, exec_lo, s21
.LBB255_634:                            ;   in Loop: Header=BB255_11 Depth=1
	s_or_b32 exec_lo, exec_lo, s17
.LBB255_635:                            ;   in Loop: Header=BB255_11 Depth=1
	s_or_b32 exec_lo, exec_lo, s13
	v_mov_b32_e32 v1, 0xff
	v_mov_b32_e32 v84, 0
	;; [unrolled: 1-line block ×5, first 2 shown]
	v_and_b32_sdwa v1, v0, v1 dst_sel:DWORD dst_unused:UNUSED_PAD src0_sel:WORD_1 src1_sel:DWORD
	s_mov_b32 s13, exec_lo
	v_cmpx_ne_u16_e32 0, v1
	s_cbranch_execz .LBB255_643
; %bb.636:                              ;   in Loop: Header=BB255_11 Depth=1
	v_bfrev_b32_e32 v40, 1
	v_mov_b32_e32 v41, 0
	s_mov_b32 s17, exec_lo
	v_cmpx_ne_u16_e32 0x80, v1
	s_cbranch_execz .LBB255_642
; %bb.637:                              ;   in Loop: Header=BB255_11 Depth=1
	v_mov_b32_e32 v40, 0x7f800001
	v_bfe_u32 v2, v0, 16, 7
	v_mov_b32_e32 v41, 0
	s_mov_b32 s21, exec_lo
	v_cmpx_ne_u32_e32 0x7f, v2
	s_cbranch_execz .LBB255_641
; %bb.638:                              ;   in Loop: Header=BB255_11 Depth=1
	v_mov_b32_e32 v1, 7
	s_mov_b32 s22, exec_lo
	v_and_b32_sdwa v15, v0, v1 dst_sel:DWORD dst_unused:UNUSED_PAD src0_sel:WORD_1 src1_sel:DWORD
	v_lshrrev_b32_e32 v1, 3, v2
	v_cmpx_gt_u32_e32 8, v2
; %bb.639:                              ;   in Loop: Header=BB255_11 Depth=1
	v_ffbh_u32_e32 v1, v15
	v_min_u32_e32 v1, 32, v1
	v_subrev_nc_u32_e32 v2, 28, v1
	v_sub_nc_u32_e32 v1, 29, v1
	v_lshlrev_b64 v[2:3], v2, v[15:16]
	v_and_b32_e32 v15, 7, v2
; %bb.640:                              ;   in Loop: Header=BB255_11 Depth=1
	s_or_b32 exec_lo, exec_lo, s22
	v_mov_b32_e32 v2, 24
	v_lshlrev_b32_e32 v3, 20, v15
	v_lshl_add_u32 v1, v1, 23, 0x3c000000
	v_lshlrev_b32_sdwa v2, v2, v0 dst_sel:DWORD dst_unused:UNUSED_PAD src0_sel:DWORD src1_sel:WORD_1
	v_and_b32_e32 v2, 0x80000000, v2
	v_or3_b32 v15, v3, v2, v1
	v_mov_b32_e32 v41, v16
	v_mov_b32_e32 v40, v15
.LBB255_641:                            ;   in Loop: Header=BB255_11 Depth=1
	s_or_b32 exec_lo, exec_lo, s21
.LBB255_642:                            ;   in Loop: Header=BB255_11 Depth=1
	s_or_b32 exec_lo, exec_lo, s17
.LBB255_643:                            ;   in Loop: Header=BB255_11 Depth=1
	s_or_b32 exec_lo, exec_lo, s13
	s_mov_b32 s13, exec_lo
	v_cmpx_lt_u32_e32 0xffffff, v0
	s_cbranch_execz .LBB255_651
; %bb.644:                              ;   in Loop: Header=BB255_11 Depth=1
	v_mov_b32_e32 v50, v16
	v_mov_b32_e32 v1, 0x80
	;; [unrolled: 1-line block ×4, first 2 shown]
	v_cmp_ne_u32_sdwa s5, v0, v1 src0_sel:BYTE_3 src1_sel:DWORD
	s_and_saveexec_b32 s17, s5
	s_cbranch_execz .LBB255_650
; %bb.645:                              ;   in Loop: Header=BB255_11 Depth=1
	v_mov_b32_e32 v70, v16
	v_mov_b32_e32 v85, v71
	v_bfe_u32 v2, v0, 24, 7
	s_mov_b32 s21, exec_lo
	v_mov_b32_e32 v84, v70
	v_cmpx_ne_u32_e32 0x7f, v2
	s_cbranch_execz .LBB255_649
; %bb.646:                              ;   in Loop: Header=BB255_11 Depth=1
	v_mov_b32_e32 v1, 7
	s_mov_b32 s22, exec_lo
	v_and_b32_sdwa v15, v0, v1 dst_sel:DWORD dst_unused:UNUSED_PAD src0_sel:BYTE_3 src1_sel:DWORD
	v_lshrrev_b32_e32 v1, 3, v2
	v_cmpx_gt_u32_e32 8, v2
; %bb.647:                              ;   in Loop: Header=BB255_11 Depth=1
	v_ffbh_u32_e32 v1, v15
	v_min_u32_e32 v1, 32, v1
	v_subrev_nc_u32_e32 v2, 28, v1
	v_sub_nc_u32_e32 v1, 29, v1
	v_lshlrev_b64 v[2:3], v2, v[15:16]
	v_and_b32_e32 v15, 7, v2
; %bb.648:                              ;   in Loop: Header=BB255_11 Depth=1
	s_or_b32 exec_lo, exec_lo, s22
	v_mov_b32_e32 v2, 24
	v_lshl_add_u32 v1, v1, 23, 0x3c000000
	v_mov_b32_e32 v84, v16
	v_lshlrev_b32_sdwa v0, v2, v0 dst_sel:DWORD dst_unused:UNUSED_PAD src0_sel:DWORD src1_sel:BYTE_3
	v_lshlrev_b32_e32 v2, 20, v15
	v_and_b32_e32 v0, 0x80000000, v0
	v_or3_b32 v85, v2, v0, v1
.LBB255_649:                            ;   in Loop: Header=BB255_11 Depth=1
	s_or_b32 exec_lo, exec_lo, s21
.LBB255_650:                            ;   in Loop: Header=BB255_11 Depth=1
	s_or_b32 exec_lo, exec_lo, s17
.LBB255_651:                            ;   in Loop: Header=BB255_11 Depth=1
	s_or_b32 exec_lo, exec_lo, s13
	flat_load_dword v0, v[96:97] offset:512
	v_mov_b32_e32 v46, 0
	v_mov_b32_e32 v86, 0
	;; [unrolled: 1-line block ×4, first 2 shown]
	s_waitcnt vmcnt(0) lgkmcnt(0)
	v_cmp_ne_u16_sdwa s5, v0, v16 src0_sel:BYTE_0 src1_sel:DWORD
	s_and_saveexec_b32 s13, s5
	s_cbranch_execz .LBB255_659
; %bb.652:                              ;   in Loop: Header=BB255_11 Depth=1
	v_mov_b32_e32 v1, 0x80
	v_bfrev_b32_e32 v86, 1
	v_mov_b32_e32 v87, 0
	v_cmp_ne_u16_sdwa s5, v0, v1 src0_sel:BYTE_0 src1_sel:DWORD
	s_and_saveexec_b32 s17, s5
	s_cbranch_execz .LBB255_658
; %bb.653:                              ;   in Loop: Header=BB255_11 Depth=1
	v_mov_b32_e32 v86, 0x7f800001
	v_and_b32_e32 v2, 0x7f, v0
	v_mov_b32_e32 v87, 0
	s_mov_b32 s21, exec_lo
	v_cmpx_ne_u32_e32 0x7f, v2
	s_cbranch_execz .LBB255_657
; %bb.654:                              ;   in Loop: Header=BB255_11 Depth=1
	v_and_b32_e32 v15, 7, v0
	v_lshrrev_b32_e32 v1, 3, v2
	s_mov_b32 s22, exec_lo
	v_cmpx_gt_u32_e32 8, v2
; %bb.655:                              ;   in Loop: Header=BB255_11 Depth=1
	v_ffbh_u32_e32 v1, v15
	v_min_u32_e32 v1, 32, v1
	v_subrev_nc_u32_e32 v2, 28, v1
	v_sub_nc_u32_e32 v1, 29, v1
	v_lshlrev_b64 v[2:3], v2, v[15:16]
	v_and_b32_e32 v15, 7, v2
; %bb.656:                              ;   in Loop: Header=BB255_11 Depth=1
	s_or_b32 exec_lo, exec_lo, s22
	v_lshlrev_b32_e32 v2, 24, v0
	v_lshlrev_b32_e32 v3, 20, v15
	v_lshl_add_u32 v1, v1, 23, 0x3c000000
	v_and_b32_e32 v2, 0x80000000, v2
	v_or3_b32 v15, v3, v2, v1
	v_mov_b32_e32 v87, v16
	v_mov_b32_e32 v86, v15
.LBB255_657:                            ;   in Loop: Header=BB255_11 Depth=1
	s_or_b32 exec_lo, exec_lo, s21
.LBB255_658:                            ;   in Loop: Header=BB255_11 Depth=1
	s_or_b32 exec_lo, exec_lo, s17
.LBB255_659:                            ;   in Loop: Header=BB255_11 Depth=1
	s_or_b32 exec_lo, exec_lo, s13
	v_cmp_ne_u16_sdwa s5, v0, v16 src0_sel:BYTE_1 src1_sel:DWORD
	s_and_saveexec_b32 s13, s5
	s_cbranch_execz .LBB255_667
; %bb.660:                              ;   in Loop: Header=BB255_11 Depth=1
	v_mov_b32_e32 v50, v16
	v_mov_b32_e32 v1, 0x80
	;; [unrolled: 1-line block ×3, first 2 shown]
	v_cmp_ne_u16_sdwa s5, v0, v1 src0_sel:BYTE_1 src1_sel:DWORD
	v_mov_b32_e32 v47, v51
	s_and_saveexec_b32 s17, s5
	s_cbranch_execz .LBB255_666
; %bb.661:                              ;   in Loop: Header=BB255_11 Depth=1
	v_mov_b32_e32 v1, 0xffff
	v_mov_b32_e32 v70, v16
	s_mov_b32 s21, exec_lo
	v_and_b32_sdwa v1, v1, v0 dst_sel:DWORD dst_unused:UNUSED_PAD src0_sel:DWORD src1_sel:BYTE_1
	v_mov_b32_e32 v46, v70
	v_mov_b32_e32 v47, v71
	v_and_b32_e32 v2, 0x7f, v1
	v_cmpx_ne_u32_e32 0x7f, v2
	s_cbranch_execz .LBB255_665
; %bb.662:                              ;   in Loop: Header=BB255_11 Depth=1
	v_and_b32_e32 v15, 7, v1
	v_lshrrev_b32_e32 v1, 3, v2
	s_mov_b32 s22, exec_lo
	v_cmpx_gt_u32_e32 8, v2
; %bb.663:                              ;   in Loop: Header=BB255_11 Depth=1
	v_ffbh_u32_e32 v1, v15
	v_min_u32_e32 v1, 32, v1
	v_subrev_nc_u32_e32 v2, 28, v1
	v_sub_nc_u32_e32 v1, 29, v1
	v_lshlrev_b64 v[2:3], v2, v[15:16]
	v_and_b32_e32 v15, 7, v2
; %bb.664:                              ;   in Loop: Header=BB255_11 Depth=1
	s_or_b32 exec_lo, exec_lo, s22
	v_lshlrev_b32_e32 v2, 16, v0
	v_lshlrev_b32_e32 v3, 20, v15
	v_lshl_add_u32 v1, v1, 23, 0x3c000000
	v_mov_b32_e32 v46, v16
	v_and_b32_e32 v2, 0x80000000, v2
	v_or3_b32 v47, v3, v2, v1
.LBB255_665:                            ;   in Loop: Header=BB255_11 Depth=1
	s_or_b32 exec_lo, exec_lo, s21
.LBB255_666:                            ;   in Loop: Header=BB255_11 Depth=1
	s_or_b32 exec_lo, exec_lo, s17
.LBB255_667:                            ;   in Loop: Header=BB255_11 Depth=1
	s_or_b32 exec_lo, exec_lo, s13
	v_mov_b32_e32 v1, 0xff
	v_mov_b32_e32 v98, 0
	;; [unrolled: 1-line block ×5, first 2 shown]
	v_and_b32_sdwa v1, v0, v1 dst_sel:DWORD dst_unused:UNUSED_PAD src0_sel:WORD_1 src1_sel:DWORD
	s_mov_b32 s13, exec_lo
	v_cmpx_ne_u16_e32 0, v1
	s_cbranch_execz .LBB255_675
; %bb.668:                              ;   in Loop: Header=BB255_11 Depth=1
	v_bfrev_b32_e32 v56, 1
	v_mov_b32_e32 v57, 0
	s_mov_b32 s17, exec_lo
	v_cmpx_ne_u16_e32 0x80, v1
	s_cbranch_execz .LBB255_674
; %bb.669:                              ;   in Loop: Header=BB255_11 Depth=1
	v_mov_b32_e32 v56, 0x7f800001
	v_bfe_u32 v2, v0, 16, 7
	v_mov_b32_e32 v57, 0
	s_mov_b32 s21, exec_lo
	v_cmpx_ne_u32_e32 0x7f, v2
	s_cbranch_execz .LBB255_673
; %bb.670:                              ;   in Loop: Header=BB255_11 Depth=1
	v_mov_b32_e32 v1, 7
	s_mov_b32 s22, exec_lo
	v_and_b32_sdwa v15, v0, v1 dst_sel:DWORD dst_unused:UNUSED_PAD src0_sel:WORD_1 src1_sel:DWORD
	v_lshrrev_b32_e32 v1, 3, v2
	v_cmpx_gt_u32_e32 8, v2
; %bb.671:                              ;   in Loop: Header=BB255_11 Depth=1
	v_ffbh_u32_e32 v1, v15
	v_min_u32_e32 v1, 32, v1
	v_subrev_nc_u32_e32 v2, 28, v1
	v_sub_nc_u32_e32 v1, 29, v1
	v_lshlrev_b64 v[2:3], v2, v[15:16]
	v_and_b32_e32 v15, 7, v2
; %bb.672:                              ;   in Loop: Header=BB255_11 Depth=1
	s_or_b32 exec_lo, exec_lo, s22
	v_mov_b32_e32 v2, 24
	v_lshlrev_b32_e32 v3, 20, v15
	v_lshl_add_u32 v1, v1, 23, 0x3c000000
	v_lshlrev_b32_sdwa v2, v2, v0 dst_sel:DWORD dst_unused:UNUSED_PAD src0_sel:DWORD src1_sel:WORD_1
	v_and_b32_e32 v2, 0x80000000, v2
	v_or3_b32 v15, v3, v2, v1
	v_mov_b32_e32 v57, v16
	v_mov_b32_e32 v56, v15
.LBB255_673:                            ;   in Loop: Header=BB255_11 Depth=1
	s_or_b32 exec_lo, exec_lo, s21
.LBB255_674:                            ;   in Loop: Header=BB255_11 Depth=1
	s_or_b32 exec_lo, exec_lo, s17
.LBB255_675:                            ;   in Loop: Header=BB255_11 Depth=1
	s_or_b32 exec_lo, exec_lo, s13
	s_mov_b32 s13, exec_lo
	v_cmpx_lt_u32_e32 0xffffff, v0
	s_cbranch_execz .LBB255_683
; %bb.676:                              ;   in Loop: Header=BB255_11 Depth=1
	v_mov_b32_e32 v50, v16
	v_mov_b32_e32 v1, 0x80
	;; [unrolled: 1-line block ×4, first 2 shown]
	v_cmp_ne_u32_sdwa s5, v0, v1 src0_sel:BYTE_3 src1_sel:DWORD
	s_and_saveexec_b32 s17, s5
	s_cbranch_execz .LBB255_682
; %bb.677:                              ;   in Loop: Header=BB255_11 Depth=1
	v_mov_b32_e32 v70, v16
	v_mov_b32_e32 v99, v71
	v_bfe_u32 v2, v0, 24, 7
	s_mov_b32 s21, exec_lo
	v_mov_b32_e32 v98, v70
	v_cmpx_ne_u32_e32 0x7f, v2
	s_cbranch_execz .LBB255_681
; %bb.678:                              ;   in Loop: Header=BB255_11 Depth=1
	v_mov_b32_e32 v1, 7
	s_mov_b32 s22, exec_lo
	v_and_b32_sdwa v15, v0, v1 dst_sel:DWORD dst_unused:UNUSED_PAD src0_sel:BYTE_3 src1_sel:DWORD
	v_lshrrev_b32_e32 v1, 3, v2
	v_cmpx_gt_u32_e32 8, v2
; %bb.679:                              ;   in Loop: Header=BB255_11 Depth=1
	v_ffbh_u32_e32 v1, v15
	v_min_u32_e32 v1, 32, v1
	v_subrev_nc_u32_e32 v2, 28, v1
	v_sub_nc_u32_e32 v1, 29, v1
	v_lshlrev_b64 v[2:3], v2, v[15:16]
	v_and_b32_e32 v15, 7, v2
; %bb.680:                              ;   in Loop: Header=BB255_11 Depth=1
	s_or_b32 exec_lo, exec_lo, s22
	v_mov_b32_e32 v2, 24
	v_lshl_add_u32 v1, v1, 23, 0x3c000000
	v_mov_b32_e32 v98, v16
	v_lshlrev_b32_sdwa v0, v2, v0 dst_sel:DWORD dst_unused:UNUSED_PAD src0_sel:DWORD src1_sel:BYTE_3
	v_lshlrev_b32_e32 v2, 20, v15
	v_and_b32_e32 v0, 0x80000000, v0
	v_or3_b32 v99, v2, v0, v1
.LBB255_681:                            ;   in Loop: Header=BB255_11 Depth=1
	s_or_b32 exec_lo, exec_lo, s21
.LBB255_682:                            ;   in Loop: Header=BB255_11 Depth=1
	s_or_b32 exec_lo, exec_lo, s17
.LBB255_683:                            ;   in Loop: Header=BB255_11 Depth=1
	s_or_b32 exec_lo, exec_lo, s13
	flat_load_dword v0, v[96:97] offset:516
	v_mov_b32_e32 v62, 0
	v_mov_b32_e32 v17, 0
	;; [unrolled: 1-line block ×4, first 2 shown]
	s_waitcnt vmcnt(0) lgkmcnt(0)
	v_cmp_ne_u16_sdwa s5, v0, v16 src0_sel:BYTE_0 src1_sel:DWORD
	s_and_saveexec_b32 s13, s5
	s_cbranch_execz .LBB255_691
; %bb.684:                              ;   in Loop: Header=BB255_11 Depth=1
	v_mov_b32_e32 v1, 0x80
	v_bfrev_b32_e32 v17, 1
	v_mov_b32_e32 v18, 0
	v_cmp_ne_u16_sdwa s5, v0, v1 src0_sel:BYTE_0 src1_sel:DWORD
	s_and_saveexec_b32 s17, s5
	s_cbranch_execz .LBB255_690
; %bb.685:                              ;   in Loop: Header=BB255_11 Depth=1
	v_mov_b32_e32 v17, 0x7f800001
	v_and_b32_e32 v2, 0x7f, v0
	v_mov_b32_e32 v18, 0
	s_mov_b32 s21, exec_lo
	v_cmpx_ne_u32_e32 0x7f, v2
	s_cbranch_execz .LBB255_689
; %bb.686:                              ;   in Loop: Header=BB255_11 Depth=1
	v_and_b32_e32 v15, 7, v0
	v_lshrrev_b32_e32 v1, 3, v2
	s_mov_b32 s22, exec_lo
	v_cmpx_gt_u32_e32 8, v2
; %bb.687:                              ;   in Loop: Header=BB255_11 Depth=1
	v_ffbh_u32_e32 v1, v15
	v_min_u32_e32 v1, 32, v1
	v_subrev_nc_u32_e32 v2, 28, v1
	v_sub_nc_u32_e32 v1, 29, v1
	v_lshlrev_b64 v[2:3], v2, v[15:16]
	v_and_b32_e32 v15, 7, v2
; %bb.688:                              ;   in Loop: Header=BB255_11 Depth=1
	s_or_b32 exec_lo, exec_lo, s22
	v_lshlrev_b32_e32 v2, 24, v0
	v_lshlrev_b32_e32 v3, 20, v15
	v_lshl_add_u32 v1, v1, 23, 0x3c000000
	v_and_b32_e32 v2, 0x80000000, v2
	v_or3_b32 v15, v3, v2, v1
	v_mov_b32_e32 v18, v16
	v_mov_b32_e32 v17, v15
.LBB255_689:                            ;   in Loop: Header=BB255_11 Depth=1
	s_or_b32 exec_lo, exec_lo, s21
.LBB255_690:                            ;   in Loop: Header=BB255_11 Depth=1
	s_or_b32 exec_lo, exec_lo, s17
.LBB255_691:                            ;   in Loop: Header=BB255_11 Depth=1
	s_or_b32 exec_lo, exec_lo, s13
	v_cmp_ne_u16_sdwa s5, v0, v16 src0_sel:BYTE_1 src1_sel:DWORD
	s_and_saveexec_b32 s13, s5
	s_cbranch_execz .LBB255_699
; %bb.692:                              ;   in Loop: Header=BB255_11 Depth=1
	v_mov_b32_e32 v50, v16
	v_mov_b32_e32 v1, 0x80
	;; [unrolled: 1-line block ×4, first 2 shown]
	v_cmp_ne_u16_sdwa s5, v0, v1 src0_sel:BYTE_1 src1_sel:DWORD
	s_and_saveexec_b32 s17, s5
	s_cbranch_execz .LBB255_698
; %bb.693:                              ;   in Loop: Header=BB255_11 Depth=1
	v_mov_b32_e32 v1, 0xffff
	v_mov_b32_e32 v70, v16
	s_mov_b32 s21, exec_lo
	v_and_b32_sdwa v1, v1, v0 dst_sel:DWORD dst_unused:UNUSED_PAD src0_sel:DWORD src1_sel:BYTE_1
	v_mov_b32_e32 v62, v70
	v_mov_b32_e32 v63, v71
	v_and_b32_e32 v2, 0x7f, v1
	v_cmpx_ne_u32_e32 0x7f, v2
	s_cbranch_execz .LBB255_697
; %bb.694:                              ;   in Loop: Header=BB255_11 Depth=1
	v_and_b32_e32 v15, 7, v1
	v_lshrrev_b32_e32 v1, 3, v2
	s_mov_b32 s22, exec_lo
	v_cmpx_gt_u32_e32 8, v2
; %bb.695:                              ;   in Loop: Header=BB255_11 Depth=1
	v_ffbh_u32_e32 v1, v15
	v_min_u32_e32 v1, 32, v1
	v_subrev_nc_u32_e32 v2, 28, v1
	v_sub_nc_u32_e32 v1, 29, v1
	v_lshlrev_b64 v[2:3], v2, v[15:16]
	v_and_b32_e32 v15, 7, v2
; %bb.696:                              ;   in Loop: Header=BB255_11 Depth=1
	s_or_b32 exec_lo, exec_lo, s22
	v_lshlrev_b32_e32 v2, 16, v0
	v_lshlrev_b32_e32 v3, 20, v15
	v_lshl_add_u32 v1, v1, 23, 0x3c000000
	v_mov_b32_e32 v62, v16
	v_and_b32_e32 v2, 0x80000000, v2
	v_or3_b32 v63, v3, v2, v1
.LBB255_697:                            ;   in Loop: Header=BB255_11 Depth=1
	s_or_b32 exec_lo, exec_lo, s21
.LBB255_698:                            ;   in Loop: Header=BB255_11 Depth=1
	s_or_b32 exec_lo, exec_lo, s17
.LBB255_699:                            ;   in Loop: Header=BB255_11 Depth=1
	s_or_b32 exec_lo, exec_lo, s13
	v_mov_b32_e32 v1, 0xff
	v_mov_b32_e32 v42, 0
	;; [unrolled: 1-line block ×5, first 2 shown]
	v_and_b32_sdwa v1, v0, v1 dst_sel:DWORD dst_unused:UNUSED_PAD src0_sel:WORD_1 src1_sel:DWORD
	s_mov_b32 s13, exec_lo
	v_cmpx_ne_u16_e32 0, v1
	s_cbranch_execz .LBB255_707
; %bb.700:                              ;   in Loop: Header=BB255_11 Depth=1
	v_bfrev_b32_e32 v44, 1
	v_mov_b32_e32 v45, 0
	s_mov_b32 s17, exec_lo
	v_cmpx_ne_u16_e32 0x80, v1
	s_cbranch_execz .LBB255_706
; %bb.701:                              ;   in Loop: Header=BB255_11 Depth=1
	v_mov_b32_e32 v44, 0x7f800001
	v_bfe_u32 v2, v0, 16, 7
	v_mov_b32_e32 v45, 0
	s_mov_b32 s21, exec_lo
	v_cmpx_ne_u32_e32 0x7f, v2
	s_cbranch_execz .LBB255_705
; %bb.702:                              ;   in Loop: Header=BB255_11 Depth=1
	v_mov_b32_e32 v1, 7
	s_mov_b32 s22, exec_lo
	v_and_b32_sdwa v15, v0, v1 dst_sel:DWORD dst_unused:UNUSED_PAD src0_sel:WORD_1 src1_sel:DWORD
	v_lshrrev_b32_e32 v1, 3, v2
	v_cmpx_gt_u32_e32 8, v2
; %bb.703:                              ;   in Loop: Header=BB255_11 Depth=1
	v_ffbh_u32_e32 v1, v15
	v_min_u32_e32 v1, 32, v1
	v_subrev_nc_u32_e32 v2, 28, v1
	v_sub_nc_u32_e32 v1, 29, v1
	v_lshlrev_b64 v[2:3], v2, v[15:16]
	v_and_b32_e32 v15, 7, v2
; %bb.704:                              ;   in Loop: Header=BB255_11 Depth=1
	s_or_b32 exec_lo, exec_lo, s22
	v_mov_b32_e32 v2, 24
	v_lshlrev_b32_e32 v3, 20, v15
	v_lshl_add_u32 v1, v1, 23, 0x3c000000
	v_lshlrev_b32_sdwa v2, v2, v0 dst_sel:DWORD dst_unused:UNUSED_PAD src0_sel:DWORD src1_sel:WORD_1
	v_and_b32_e32 v2, 0x80000000, v2
	v_or3_b32 v15, v3, v2, v1
	v_mov_b32_e32 v45, v16
	v_mov_b32_e32 v44, v15
.LBB255_705:                            ;   in Loop: Header=BB255_11 Depth=1
	s_or_b32 exec_lo, exec_lo, s21
.LBB255_706:                            ;   in Loop: Header=BB255_11 Depth=1
	s_or_b32 exec_lo, exec_lo, s17
.LBB255_707:                            ;   in Loop: Header=BB255_11 Depth=1
	s_or_b32 exec_lo, exec_lo, s13
	s_mov_b32 s13, exec_lo
	v_cmpx_lt_u32_e32 0xffffff, v0
	s_cbranch_execz .LBB255_715
; %bb.708:                              ;   in Loop: Header=BB255_11 Depth=1
	v_mov_b32_e32 v50, v16
	v_mov_b32_e32 v1, 0x80
	;; [unrolled: 1-line block ×3, first 2 shown]
	v_cmp_ne_u32_sdwa s5, v0, v1 src0_sel:BYTE_3 src1_sel:DWORD
	v_mov_b32_e32 v43, v51
	s_and_saveexec_b32 s17, s5
	s_cbranch_execz .LBB255_714
; %bb.709:                              ;   in Loop: Header=BB255_11 Depth=1
	v_mov_b32_e32 v70, v16
	v_bfe_u32 v2, v0, 24, 7
	s_mov_b32 s21, exec_lo
	v_mov_b32_e32 v42, v70
	v_mov_b32_e32 v43, v71
	v_cmpx_ne_u32_e32 0x7f, v2
	s_cbranch_execz .LBB255_713
; %bb.710:                              ;   in Loop: Header=BB255_11 Depth=1
	v_mov_b32_e32 v1, 7
	s_mov_b32 s22, exec_lo
	v_and_b32_sdwa v15, v0, v1 dst_sel:DWORD dst_unused:UNUSED_PAD src0_sel:BYTE_3 src1_sel:DWORD
	v_lshrrev_b32_e32 v1, 3, v2
	v_cmpx_gt_u32_e32 8, v2
; %bb.711:                              ;   in Loop: Header=BB255_11 Depth=1
	v_ffbh_u32_e32 v1, v15
	v_min_u32_e32 v1, 32, v1
	v_subrev_nc_u32_e32 v2, 28, v1
	v_sub_nc_u32_e32 v1, 29, v1
	v_lshlrev_b64 v[2:3], v2, v[15:16]
	v_and_b32_e32 v15, 7, v2
; %bb.712:                              ;   in Loop: Header=BB255_11 Depth=1
	s_or_b32 exec_lo, exec_lo, s22
	v_mov_b32_e32 v2, 24
	v_lshl_add_u32 v1, v1, 23, 0x3c000000
	v_mov_b32_e32 v42, v16
	v_lshlrev_b32_sdwa v0, v2, v0 dst_sel:DWORD dst_unused:UNUSED_PAD src0_sel:DWORD src1_sel:BYTE_3
	v_lshlrev_b32_e32 v2, 20, v15
	v_and_b32_e32 v0, 0x80000000, v0
	v_or3_b32 v43, v2, v0, v1
.LBB255_713:                            ;   in Loop: Header=BB255_11 Depth=1
	s_or_b32 exec_lo, exec_lo, s21
.LBB255_714:                            ;   in Loop: Header=BB255_11 Depth=1
	s_or_b32 exec_lo, exec_lo, s17
.LBB255_715:                            ;   in Loop: Header=BB255_11 Depth=1
	s_or_b32 exec_lo, exec_lo, s13
	flat_load_dword v0, v[96:97] offset:520
	v_mov_b32_e32 v78, 0
	v_mov_b32_e32 v72, 0
	;; [unrolled: 1-line block ×4, first 2 shown]
	s_waitcnt vmcnt(0) lgkmcnt(0)
	v_cmp_ne_u16_sdwa s5, v0, v16 src0_sel:BYTE_0 src1_sel:DWORD
	s_and_saveexec_b32 s13, s5
	s_cbranch_execz .LBB255_723
; %bb.716:                              ;   in Loop: Header=BB255_11 Depth=1
	v_mov_b32_e32 v1, 0x80
	v_bfrev_b32_e32 v72, 1
	v_mov_b32_e32 v73, 0
	v_cmp_ne_u16_sdwa s5, v0, v1 src0_sel:BYTE_0 src1_sel:DWORD
	s_and_saveexec_b32 s17, s5
	s_cbranch_execz .LBB255_722
; %bb.717:                              ;   in Loop: Header=BB255_11 Depth=1
	v_mov_b32_e32 v72, 0x7f800001
	v_and_b32_e32 v2, 0x7f, v0
	v_mov_b32_e32 v73, 0
	s_mov_b32 s21, exec_lo
	v_cmpx_ne_u32_e32 0x7f, v2
	s_cbranch_execz .LBB255_721
; %bb.718:                              ;   in Loop: Header=BB255_11 Depth=1
	v_and_b32_e32 v15, 7, v0
	v_lshrrev_b32_e32 v1, 3, v2
	s_mov_b32 s22, exec_lo
	v_cmpx_gt_u32_e32 8, v2
; %bb.719:                              ;   in Loop: Header=BB255_11 Depth=1
	v_ffbh_u32_e32 v1, v15
	v_min_u32_e32 v1, 32, v1
	v_subrev_nc_u32_e32 v2, 28, v1
	v_sub_nc_u32_e32 v1, 29, v1
	v_lshlrev_b64 v[2:3], v2, v[15:16]
	v_and_b32_e32 v15, 7, v2
; %bb.720:                              ;   in Loop: Header=BB255_11 Depth=1
	s_or_b32 exec_lo, exec_lo, s22
	v_lshlrev_b32_e32 v2, 24, v0
	v_lshlrev_b32_e32 v3, 20, v15
	v_lshl_add_u32 v1, v1, 23, 0x3c000000
	v_and_b32_e32 v2, 0x80000000, v2
	v_or3_b32 v15, v3, v2, v1
	v_mov_b32_e32 v73, v16
	v_mov_b32_e32 v72, v15
.LBB255_721:                            ;   in Loop: Header=BB255_11 Depth=1
	s_or_b32 exec_lo, exec_lo, s21
.LBB255_722:                            ;   in Loop: Header=BB255_11 Depth=1
	s_or_b32 exec_lo, exec_lo, s17
.LBB255_723:                            ;   in Loop: Header=BB255_11 Depth=1
	s_or_b32 exec_lo, exec_lo, s13
	v_cmp_ne_u16_sdwa s5, v0, v16 src0_sel:BYTE_1 src1_sel:DWORD
	s_and_saveexec_b32 s13, s5
	s_cbranch_execz .LBB255_731
; %bb.724:                              ;   in Loop: Header=BB255_11 Depth=1
	v_mov_b32_e32 v50, v16
	v_mov_b32_e32 v1, 0x80
	;; [unrolled: 1-line block ×4, first 2 shown]
	v_cmp_ne_u16_sdwa s5, v0, v1 src0_sel:BYTE_1 src1_sel:DWORD
	s_and_saveexec_b32 s17, s5
	s_cbranch_execz .LBB255_730
; %bb.725:                              ;   in Loop: Header=BB255_11 Depth=1
	v_mov_b32_e32 v1, 0xffff
	v_mov_b32_e32 v70, v16
	;; [unrolled: 1-line block ×3, first 2 shown]
	s_mov_b32 s21, exec_lo
	v_and_b32_sdwa v1, v1, v0 dst_sel:DWORD dst_unused:UNUSED_PAD src0_sel:DWORD src1_sel:BYTE_1
	v_mov_b32_e32 v78, v70
	v_and_b32_e32 v2, 0x7f, v1
	v_cmpx_ne_u32_e32 0x7f, v2
	s_cbranch_execz .LBB255_729
; %bb.726:                              ;   in Loop: Header=BB255_11 Depth=1
	v_and_b32_e32 v15, 7, v1
	v_lshrrev_b32_e32 v1, 3, v2
	s_mov_b32 s22, exec_lo
	v_cmpx_gt_u32_e32 8, v2
; %bb.727:                              ;   in Loop: Header=BB255_11 Depth=1
	v_ffbh_u32_e32 v1, v15
	v_min_u32_e32 v1, 32, v1
	v_subrev_nc_u32_e32 v2, 28, v1
	v_sub_nc_u32_e32 v1, 29, v1
	v_lshlrev_b64 v[2:3], v2, v[15:16]
	v_and_b32_e32 v15, 7, v2
; %bb.728:                              ;   in Loop: Header=BB255_11 Depth=1
	s_or_b32 exec_lo, exec_lo, s22
	v_lshlrev_b32_e32 v2, 16, v0
	v_lshlrev_b32_e32 v3, 20, v15
	v_lshl_add_u32 v1, v1, 23, 0x3c000000
	v_mov_b32_e32 v78, v16
	v_and_b32_e32 v2, 0x80000000, v2
	v_or3_b32 v79, v3, v2, v1
.LBB255_729:                            ;   in Loop: Header=BB255_11 Depth=1
	s_or_b32 exec_lo, exec_lo, s21
.LBB255_730:                            ;   in Loop: Header=BB255_11 Depth=1
	s_or_b32 exec_lo, exec_lo, s17
.LBB255_731:                            ;   in Loop: Header=BB255_11 Depth=1
	s_or_b32 exec_lo, exec_lo, s13
	v_mov_b32_e32 v1, 0xff
	v_mov_b32_e32 v58, 0
	v_mov_b32_e32 v60, 0
	v_mov_b32_e32 v59, 0
	v_mov_b32_e32 v61, 0
	v_and_b32_sdwa v1, v0, v1 dst_sel:DWORD dst_unused:UNUSED_PAD src0_sel:WORD_1 src1_sel:DWORD
	s_mov_b32 s13, exec_lo
	v_cmpx_ne_u16_e32 0, v1
	s_cbranch_execz .LBB255_739
; %bb.732:                              ;   in Loop: Header=BB255_11 Depth=1
	v_bfrev_b32_e32 v60, 1
	v_mov_b32_e32 v61, 0
	s_mov_b32 s17, exec_lo
	v_cmpx_ne_u16_e32 0x80, v1
	s_cbranch_execz .LBB255_738
; %bb.733:                              ;   in Loop: Header=BB255_11 Depth=1
	v_mov_b32_e32 v60, 0x7f800001
	v_bfe_u32 v2, v0, 16, 7
	v_mov_b32_e32 v61, 0
	s_mov_b32 s21, exec_lo
	v_cmpx_ne_u32_e32 0x7f, v2
	s_cbranch_execz .LBB255_737
; %bb.734:                              ;   in Loop: Header=BB255_11 Depth=1
	v_mov_b32_e32 v1, 7
	s_mov_b32 s22, exec_lo
	v_and_b32_sdwa v15, v0, v1 dst_sel:DWORD dst_unused:UNUSED_PAD src0_sel:WORD_1 src1_sel:DWORD
	v_lshrrev_b32_e32 v1, 3, v2
	v_cmpx_gt_u32_e32 8, v2
; %bb.735:                              ;   in Loop: Header=BB255_11 Depth=1
	v_ffbh_u32_e32 v1, v15
	v_min_u32_e32 v1, 32, v1
	v_subrev_nc_u32_e32 v2, 28, v1
	v_sub_nc_u32_e32 v1, 29, v1
	v_lshlrev_b64 v[2:3], v2, v[15:16]
	v_and_b32_e32 v15, 7, v2
; %bb.736:                              ;   in Loop: Header=BB255_11 Depth=1
	s_or_b32 exec_lo, exec_lo, s22
	v_mov_b32_e32 v2, 24
	v_lshlrev_b32_e32 v3, 20, v15
	v_lshl_add_u32 v1, v1, 23, 0x3c000000
	v_lshlrev_b32_sdwa v2, v2, v0 dst_sel:DWORD dst_unused:UNUSED_PAD src0_sel:DWORD src1_sel:WORD_1
	v_and_b32_e32 v2, 0x80000000, v2
	v_or3_b32 v15, v3, v2, v1
	v_mov_b32_e32 v61, v16
	v_mov_b32_e32 v60, v15
.LBB255_737:                            ;   in Loop: Header=BB255_11 Depth=1
	s_or_b32 exec_lo, exec_lo, s21
.LBB255_738:                            ;   in Loop: Header=BB255_11 Depth=1
	s_or_b32 exec_lo, exec_lo, s17
.LBB255_739:                            ;   in Loop: Header=BB255_11 Depth=1
	s_or_b32 exec_lo, exec_lo, s13
	s_mov_b32 s13, exec_lo
	v_cmpx_lt_u32_e32 0xffffff, v0
	s_cbranch_execz .LBB255_747
; %bb.740:                              ;   in Loop: Header=BB255_11 Depth=1
	v_mov_b32_e32 v50, v16
	v_mov_b32_e32 v1, 0x80
	;; [unrolled: 1-line block ×4, first 2 shown]
	v_cmp_ne_u32_sdwa s5, v0, v1 src0_sel:BYTE_3 src1_sel:DWORD
	s_and_saveexec_b32 s17, s5
	s_cbranch_execz .LBB255_746
; %bb.741:                              ;   in Loop: Header=BB255_11 Depth=1
	v_mov_b32_e32 v70, v16
	v_bfe_u32 v2, v0, 24, 7
	s_mov_b32 s21, exec_lo
	v_mov_b32_e32 v58, v70
	v_mov_b32_e32 v59, v71
	v_cmpx_ne_u32_e32 0x7f, v2
	s_cbranch_execz .LBB255_745
; %bb.742:                              ;   in Loop: Header=BB255_11 Depth=1
	v_mov_b32_e32 v1, 7
	s_mov_b32 s22, exec_lo
	v_and_b32_sdwa v15, v0, v1 dst_sel:DWORD dst_unused:UNUSED_PAD src0_sel:BYTE_3 src1_sel:DWORD
	v_lshrrev_b32_e32 v1, 3, v2
	v_cmpx_gt_u32_e32 8, v2
; %bb.743:                              ;   in Loop: Header=BB255_11 Depth=1
	v_ffbh_u32_e32 v1, v15
	v_min_u32_e32 v1, 32, v1
	v_subrev_nc_u32_e32 v2, 28, v1
	v_sub_nc_u32_e32 v1, 29, v1
	v_lshlrev_b64 v[2:3], v2, v[15:16]
	v_and_b32_e32 v15, 7, v2
; %bb.744:                              ;   in Loop: Header=BB255_11 Depth=1
	s_or_b32 exec_lo, exec_lo, s22
	v_mov_b32_e32 v2, 24
	v_lshl_add_u32 v1, v1, 23, 0x3c000000
	v_mov_b32_e32 v58, v16
	v_lshlrev_b32_sdwa v0, v2, v0 dst_sel:DWORD dst_unused:UNUSED_PAD src0_sel:DWORD src1_sel:BYTE_3
	v_lshlrev_b32_e32 v2, 20, v15
	v_and_b32_e32 v0, 0x80000000, v0
	v_or3_b32 v59, v2, v0, v1
.LBB255_745:                            ;   in Loop: Header=BB255_11 Depth=1
	s_or_b32 exec_lo, exec_lo, s21
.LBB255_746:                            ;   in Loop: Header=BB255_11 Depth=1
	s_or_b32 exec_lo, exec_lo, s17
.LBB255_747:                            ;   in Loop: Header=BB255_11 Depth=1
	s_or_b32 exec_lo, exec_lo, s13
	flat_load_dword v0, v[96:97] offset:524
	v_mov_b32_e32 v94, 0
	v_mov_b32_e32 v88, 0
	;; [unrolled: 1-line block ×4, first 2 shown]
	s_waitcnt vmcnt(0) lgkmcnt(0)
	v_cmp_ne_u16_sdwa s5, v0, v16 src0_sel:BYTE_0 src1_sel:DWORD
	s_and_saveexec_b32 s13, s5
	s_cbranch_execz .LBB255_755
; %bb.748:                              ;   in Loop: Header=BB255_11 Depth=1
	v_mov_b32_e32 v1, 0x80
	v_bfrev_b32_e32 v88, 1
	v_mov_b32_e32 v89, 0
	v_cmp_ne_u16_sdwa s5, v0, v1 src0_sel:BYTE_0 src1_sel:DWORD
	s_and_saveexec_b32 s17, s5
	s_cbranch_execz .LBB255_754
; %bb.749:                              ;   in Loop: Header=BB255_11 Depth=1
	v_mov_b32_e32 v88, 0x7f800001
	v_and_b32_e32 v2, 0x7f, v0
	v_mov_b32_e32 v89, 0
	s_mov_b32 s21, exec_lo
	v_cmpx_ne_u32_e32 0x7f, v2
	s_cbranch_execz .LBB255_753
; %bb.750:                              ;   in Loop: Header=BB255_11 Depth=1
	v_and_b32_e32 v15, 7, v0
	v_lshrrev_b32_e32 v1, 3, v2
	s_mov_b32 s22, exec_lo
	v_cmpx_gt_u32_e32 8, v2
; %bb.751:                              ;   in Loop: Header=BB255_11 Depth=1
	v_ffbh_u32_e32 v1, v15
	v_min_u32_e32 v1, 32, v1
	v_subrev_nc_u32_e32 v2, 28, v1
	v_sub_nc_u32_e32 v1, 29, v1
	v_lshlrev_b64 v[2:3], v2, v[15:16]
	v_and_b32_e32 v15, 7, v2
; %bb.752:                              ;   in Loop: Header=BB255_11 Depth=1
	s_or_b32 exec_lo, exec_lo, s22
	v_lshlrev_b32_e32 v2, 24, v0
	v_lshlrev_b32_e32 v3, 20, v15
	v_lshl_add_u32 v1, v1, 23, 0x3c000000
	v_and_b32_e32 v2, 0x80000000, v2
	v_or3_b32 v15, v3, v2, v1
	v_mov_b32_e32 v89, v16
	v_mov_b32_e32 v88, v15
.LBB255_753:                            ;   in Loop: Header=BB255_11 Depth=1
	s_or_b32 exec_lo, exec_lo, s21
.LBB255_754:                            ;   in Loop: Header=BB255_11 Depth=1
	s_or_b32 exec_lo, exec_lo, s17
.LBB255_755:                            ;   in Loop: Header=BB255_11 Depth=1
	s_or_b32 exec_lo, exec_lo, s13
	v_cmp_ne_u16_sdwa s5, v0, v16 src0_sel:BYTE_1 src1_sel:DWORD
	s_and_saveexec_b32 s13, s5
	s_cbranch_execz .LBB255_763
; %bb.756:                              ;   in Loop: Header=BB255_11 Depth=1
	v_mov_b32_e32 v50, v16
	v_mov_b32_e32 v1, 0x80
	;; [unrolled: 1-line block ×4, first 2 shown]
	v_cmp_ne_u16_sdwa s5, v0, v1 src0_sel:BYTE_1 src1_sel:DWORD
	s_and_saveexec_b32 s17, s5
	s_cbranch_execz .LBB255_762
; %bb.757:                              ;   in Loop: Header=BB255_11 Depth=1
	v_mov_b32_e32 v1, 0xffff
	v_mov_b32_e32 v70, v16
	;; [unrolled: 1-line block ×3, first 2 shown]
	s_mov_b32 s21, exec_lo
	v_and_b32_sdwa v1, v1, v0 dst_sel:DWORD dst_unused:UNUSED_PAD src0_sel:DWORD src1_sel:BYTE_1
	v_mov_b32_e32 v94, v70
	v_and_b32_e32 v2, 0x7f, v1
	v_cmpx_ne_u32_e32 0x7f, v2
	s_cbranch_execz .LBB255_761
; %bb.758:                              ;   in Loop: Header=BB255_11 Depth=1
	v_and_b32_e32 v15, 7, v1
	v_lshrrev_b32_e32 v1, 3, v2
	s_mov_b32 s22, exec_lo
	v_cmpx_gt_u32_e32 8, v2
; %bb.759:                              ;   in Loop: Header=BB255_11 Depth=1
	v_ffbh_u32_e32 v1, v15
	v_min_u32_e32 v1, 32, v1
	v_subrev_nc_u32_e32 v2, 28, v1
	v_sub_nc_u32_e32 v1, 29, v1
	v_lshlrev_b64 v[2:3], v2, v[15:16]
	v_and_b32_e32 v15, 7, v2
; %bb.760:                              ;   in Loop: Header=BB255_11 Depth=1
	s_or_b32 exec_lo, exec_lo, s22
	v_lshlrev_b32_e32 v2, 16, v0
	v_lshlrev_b32_e32 v3, 20, v15
	v_lshl_add_u32 v1, v1, 23, 0x3c000000
	v_mov_b32_e32 v94, v16
	v_and_b32_e32 v2, 0x80000000, v2
	v_or3_b32 v95, v3, v2, v1
.LBB255_761:                            ;   in Loop: Header=BB255_11 Depth=1
	s_or_b32 exec_lo, exec_lo, s21
.LBB255_762:                            ;   in Loop: Header=BB255_11 Depth=1
	s_or_b32 exec_lo, exec_lo, s17
.LBB255_763:                            ;   in Loop: Header=BB255_11 Depth=1
	s_or_b32 exec_lo, exec_lo, s13
	v_mov_b32_e32 v1, 0xff
	v_mov_b32_e32 v74, 0
	;; [unrolled: 1-line block ×5, first 2 shown]
	v_and_b32_sdwa v1, v0, v1 dst_sel:DWORD dst_unused:UNUSED_PAD src0_sel:WORD_1 src1_sel:DWORD
	s_mov_b32 s13, exec_lo
	v_cmpx_ne_u16_e32 0, v1
	s_cbranch_execz .LBB255_771
; %bb.764:                              ;   in Loop: Header=BB255_11 Depth=1
	v_bfrev_b32_e32 v76, 1
	v_mov_b32_e32 v77, 0
	s_mov_b32 s17, exec_lo
	v_cmpx_ne_u16_e32 0x80, v1
	s_cbranch_execz .LBB255_770
; %bb.765:                              ;   in Loop: Header=BB255_11 Depth=1
	v_mov_b32_e32 v76, 0x7f800001
	v_bfe_u32 v2, v0, 16, 7
	v_mov_b32_e32 v77, 0
	s_mov_b32 s21, exec_lo
	v_cmpx_ne_u32_e32 0x7f, v2
	s_cbranch_execz .LBB255_769
; %bb.766:                              ;   in Loop: Header=BB255_11 Depth=1
	v_mov_b32_e32 v1, 7
	s_mov_b32 s22, exec_lo
	v_and_b32_sdwa v15, v0, v1 dst_sel:DWORD dst_unused:UNUSED_PAD src0_sel:WORD_1 src1_sel:DWORD
	v_lshrrev_b32_e32 v1, 3, v2
	v_cmpx_gt_u32_e32 8, v2
; %bb.767:                              ;   in Loop: Header=BB255_11 Depth=1
	v_ffbh_u32_e32 v1, v15
	v_min_u32_e32 v1, 32, v1
	v_subrev_nc_u32_e32 v2, 28, v1
	v_sub_nc_u32_e32 v1, 29, v1
	v_lshlrev_b64 v[2:3], v2, v[15:16]
	v_and_b32_e32 v15, 7, v2
; %bb.768:                              ;   in Loop: Header=BB255_11 Depth=1
	s_or_b32 exec_lo, exec_lo, s22
	v_mov_b32_e32 v2, 24
	v_lshlrev_b32_e32 v3, 20, v15
	v_lshl_add_u32 v1, v1, 23, 0x3c000000
	v_lshlrev_b32_sdwa v2, v2, v0 dst_sel:DWORD dst_unused:UNUSED_PAD src0_sel:DWORD src1_sel:WORD_1
	v_and_b32_e32 v2, 0x80000000, v2
	v_or3_b32 v15, v3, v2, v1
	v_mov_b32_e32 v77, v16
	v_mov_b32_e32 v76, v15
.LBB255_769:                            ;   in Loop: Header=BB255_11 Depth=1
	s_or_b32 exec_lo, exec_lo, s21
.LBB255_770:                            ;   in Loop: Header=BB255_11 Depth=1
	s_or_b32 exec_lo, exec_lo, s17
.LBB255_771:                            ;   in Loop: Header=BB255_11 Depth=1
	s_or_b32 exec_lo, exec_lo, s13
	s_mov_b32 s13, exec_lo
	v_cmpx_lt_u32_e32 0xffffff, v0
	s_cbranch_execz .LBB255_779
; %bb.772:                              ;   in Loop: Header=BB255_11 Depth=1
	v_mov_b32_e32 v50, v16
	v_mov_b32_e32 v1, 0x80
	;; [unrolled: 1-line block ×4, first 2 shown]
	v_cmp_ne_u32_sdwa s5, v0, v1 src0_sel:BYTE_3 src1_sel:DWORD
	s_and_saveexec_b32 s17, s5
	s_cbranch_execz .LBB255_778
; %bb.773:                              ;   in Loop: Header=BB255_11 Depth=1
	v_mov_b32_e32 v70, v16
	v_mov_b32_e32 v75, v71
	v_bfe_u32 v2, v0, 24, 7
	s_mov_b32 s21, exec_lo
	v_mov_b32_e32 v74, v70
	v_cmpx_ne_u32_e32 0x7f, v2
	s_cbranch_execz .LBB255_777
; %bb.774:                              ;   in Loop: Header=BB255_11 Depth=1
	v_mov_b32_e32 v1, 7
	s_mov_b32 s22, exec_lo
	v_and_b32_sdwa v15, v0, v1 dst_sel:DWORD dst_unused:UNUSED_PAD src0_sel:BYTE_3 src1_sel:DWORD
	v_lshrrev_b32_e32 v1, 3, v2
	v_cmpx_gt_u32_e32 8, v2
; %bb.775:                              ;   in Loop: Header=BB255_11 Depth=1
	v_ffbh_u32_e32 v1, v15
	v_min_u32_e32 v1, 32, v1
	v_subrev_nc_u32_e32 v2, 28, v1
	v_sub_nc_u32_e32 v1, 29, v1
	v_lshlrev_b64 v[2:3], v2, v[15:16]
	v_and_b32_e32 v15, 7, v2
; %bb.776:                              ;   in Loop: Header=BB255_11 Depth=1
	s_or_b32 exec_lo, exec_lo, s22
	v_mov_b32_e32 v2, 24
	v_lshl_add_u32 v1, v1, 23, 0x3c000000
	v_mov_b32_e32 v74, v16
	v_lshlrev_b32_sdwa v0, v2, v0 dst_sel:DWORD dst_unused:UNUSED_PAD src0_sel:DWORD src1_sel:BYTE_3
	v_lshlrev_b32_e32 v2, 20, v15
	v_and_b32_e32 v0, 0x80000000, v0
	v_or3_b32 v75, v2, v0, v1
.LBB255_777:                            ;   in Loop: Header=BB255_11 Depth=1
	s_or_b32 exec_lo, exec_lo, s21
.LBB255_778:                            ;   in Loop: Header=BB255_11 Depth=1
	s_or_b32 exec_lo, exec_lo, s17
.LBB255_779:                            ;   in Loop: Header=BB255_11 Depth=1
	s_or_b32 exec_lo, exec_lo, s13
	flat_load_dword v0, v[96:97] offset:1024
	v_mov_b32_e32 v90, 0
	v_mov_b32_e32 v104, 0
	;; [unrolled: 1-line block ×4, first 2 shown]
	s_waitcnt vmcnt(0) lgkmcnt(0)
	v_cmp_ne_u16_sdwa s5, v0, v16 src0_sel:BYTE_0 src1_sel:DWORD
	s_and_saveexec_b32 s13, s5
	s_cbranch_execz .LBB255_787
; %bb.780:                              ;   in Loop: Header=BB255_11 Depth=1
	v_mov_b32_e32 v1, 0x80
	v_bfrev_b32_e32 v104, 1
	v_mov_b32_e32 v105, 0
	v_cmp_ne_u16_sdwa s5, v0, v1 src0_sel:BYTE_0 src1_sel:DWORD
	s_and_saveexec_b32 s17, s5
	s_cbranch_execz .LBB255_786
; %bb.781:                              ;   in Loop: Header=BB255_11 Depth=1
	v_mov_b32_e32 v104, 0x7f800001
	v_and_b32_e32 v2, 0x7f, v0
	v_mov_b32_e32 v105, 0
	s_mov_b32 s21, exec_lo
	v_cmpx_ne_u32_e32 0x7f, v2
	s_cbranch_execz .LBB255_785
; %bb.782:                              ;   in Loop: Header=BB255_11 Depth=1
	v_and_b32_e32 v15, 7, v0
	v_lshrrev_b32_e32 v1, 3, v2
	s_mov_b32 s22, exec_lo
	v_cmpx_gt_u32_e32 8, v2
; %bb.783:                              ;   in Loop: Header=BB255_11 Depth=1
	v_ffbh_u32_e32 v1, v15
	v_min_u32_e32 v1, 32, v1
	v_subrev_nc_u32_e32 v2, 28, v1
	v_sub_nc_u32_e32 v1, 29, v1
	v_lshlrev_b64 v[2:3], v2, v[15:16]
	v_and_b32_e32 v15, 7, v2
; %bb.784:                              ;   in Loop: Header=BB255_11 Depth=1
	s_or_b32 exec_lo, exec_lo, s22
	v_lshlrev_b32_e32 v2, 24, v0
	v_lshlrev_b32_e32 v3, 20, v15
	v_lshl_add_u32 v1, v1, 23, 0x3c000000
	v_and_b32_e32 v2, 0x80000000, v2
	v_or3_b32 v15, v3, v2, v1
	v_mov_b32_e32 v105, v16
	v_mov_b32_e32 v104, v15
.LBB255_785:                            ;   in Loop: Header=BB255_11 Depth=1
	s_or_b32 exec_lo, exec_lo, s21
.LBB255_786:                            ;   in Loop: Header=BB255_11 Depth=1
	s_or_b32 exec_lo, exec_lo, s17
.LBB255_787:                            ;   in Loop: Header=BB255_11 Depth=1
	s_or_b32 exec_lo, exec_lo, s13
	v_cmp_ne_u16_sdwa s5, v0, v16 src0_sel:BYTE_1 src1_sel:DWORD
	s_and_saveexec_b32 s13, s5
	s_cbranch_execz .LBB255_795
; %bb.788:                              ;   in Loop: Header=BB255_11 Depth=1
	v_mov_b32_e32 v50, v16
	v_mov_b32_e32 v1, 0x80
	;; [unrolled: 1-line block ×4, first 2 shown]
	v_cmp_ne_u16_sdwa s5, v0, v1 src0_sel:BYTE_1 src1_sel:DWORD
	s_and_saveexec_b32 s17, s5
	s_cbranch_execz .LBB255_794
; %bb.789:                              ;   in Loop: Header=BB255_11 Depth=1
	v_mov_b32_e32 v1, 0xffff
	v_mov_b32_e32 v70, v16
	;; [unrolled: 1-line block ×3, first 2 shown]
	s_mov_b32 s21, exec_lo
	v_and_b32_sdwa v1, v1, v0 dst_sel:DWORD dst_unused:UNUSED_PAD src0_sel:DWORD src1_sel:BYTE_1
	v_mov_b32_e32 v90, v70
	v_and_b32_e32 v2, 0x7f, v1
	v_cmpx_ne_u32_e32 0x7f, v2
	s_cbranch_execz .LBB255_793
; %bb.790:                              ;   in Loop: Header=BB255_11 Depth=1
	v_and_b32_e32 v15, 7, v1
	v_lshrrev_b32_e32 v1, 3, v2
	s_mov_b32 s22, exec_lo
	v_cmpx_gt_u32_e32 8, v2
; %bb.791:                              ;   in Loop: Header=BB255_11 Depth=1
	v_ffbh_u32_e32 v1, v15
	v_min_u32_e32 v1, 32, v1
	v_subrev_nc_u32_e32 v2, 28, v1
	v_sub_nc_u32_e32 v1, 29, v1
	v_lshlrev_b64 v[2:3], v2, v[15:16]
	v_and_b32_e32 v15, 7, v2
; %bb.792:                              ;   in Loop: Header=BB255_11 Depth=1
	s_or_b32 exec_lo, exec_lo, s22
	v_lshlrev_b32_e32 v2, 16, v0
	v_lshlrev_b32_e32 v3, 20, v15
	v_lshl_add_u32 v1, v1, 23, 0x3c000000
	v_mov_b32_e32 v90, v16
	v_and_b32_e32 v2, 0x80000000, v2
	v_or3_b32 v91, v3, v2, v1
.LBB255_793:                            ;   in Loop: Header=BB255_11 Depth=1
	s_or_b32 exec_lo, exec_lo, s21
.LBB255_794:                            ;   in Loop: Header=BB255_11 Depth=1
	s_or_b32 exec_lo, exec_lo, s17
.LBB255_795:                            ;   in Loop: Header=BB255_11 Depth=1
	s_or_b32 exec_lo, exec_lo, s13
	v_mov_b32_e32 v1, 0xff
	v_mov_b32_e32 v110, 0
	v_mov_b32_e32 v92, 0
	v_mov_b32_e32 v111, 0
	v_mov_b32_e32 v93, 0
	v_and_b32_sdwa v1, v0, v1 dst_sel:DWORD dst_unused:UNUSED_PAD src0_sel:WORD_1 src1_sel:DWORD
	s_mov_b32 s13, exec_lo
	v_cmpx_ne_u16_e32 0, v1
	s_cbranch_execz .LBB255_803
; %bb.796:                              ;   in Loop: Header=BB255_11 Depth=1
	v_bfrev_b32_e32 v92, 1
	v_mov_b32_e32 v93, 0
	s_mov_b32 s17, exec_lo
	v_cmpx_ne_u16_e32 0x80, v1
	s_cbranch_execz .LBB255_802
; %bb.797:                              ;   in Loop: Header=BB255_11 Depth=1
	v_mov_b32_e32 v92, 0x7f800001
	v_bfe_u32 v2, v0, 16, 7
	v_mov_b32_e32 v93, 0
	s_mov_b32 s21, exec_lo
	v_cmpx_ne_u32_e32 0x7f, v2
	s_cbranch_execz .LBB255_801
; %bb.798:                              ;   in Loop: Header=BB255_11 Depth=1
	v_mov_b32_e32 v1, 7
	s_mov_b32 s22, exec_lo
	v_and_b32_sdwa v15, v0, v1 dst_sel:DWORD dst_unused:UNUSED_PAD src0_sel:WORD_1 src1_sel:DWORD
	v_lshrrev_b32_e32 v1, 3, v2
	v_cmpx_gt_u32_e32 8, v2
; %bb.799:                              ;   in Loop: Header=BB255_11 Depth=1
	v_ffbh_u32_e32 v1, v15
	v_min_u32_e32 v1, 32, v1
	v_subrev_nc_u32_e32 v2, 28, v1
	v_sub_nc_u32_e32 v1, 29, v1
	v_lshlrev_b64 v[2:3], v2, v[15:16]
	v_and_b32_e32 v15, 7, v2
; %bb.800:                              ;   in Loop: Header=BB255_11 Depth=1
	s_or_b32 exec_lo, exec_lo, s22
	v_mov_b32_e32 v2, 24
	v_lshlrev_b32_e32 v3, 20, v15
	v_lshl_add_u32 v1, v1, 23, 0x3c000000
	v_lshlrev_b32_sdwa v2, v2, v0 dst_sel:DWORD dst_unused:UNUSED_PAD src0_sel:DWORD src1_sel:WORD_1
	v_and_b32_e32 v2, 0x80000000, v2
	v_or3_b32 v15, v3, v2, v1
	v_mov_b32_e32 v93, v16
	v_mov_b32_e32 v92, v15
.LBB255_801:                            ;   in Loop: Header=BB255_11 Depth=1
	s_or_b32 exec_lo, exec_lo, s21
.LBB255_802:                            ;   in Loop: Header=BB255_11 Depth=1
	s_or_b32 exec_lo, exec_lo, s17
.LBB255_803:                            ;   in Loop: Header=BB255_11 Depth=1
	s_or_b32 exec_lo, exec_lo, s13
	s_mov_b32 s13, exec_lo
	v_cmpx_lt_u32_e32 0xffffff, v0
	s_cbranch_execz .LBB255_811
; %bb.804:                              ;   in Loop: Header=BB255_11 Depth=1
	v_mov_b32_e32 v50, v16
	v_mov_b32_e32 v1, 0x80
	v_mov_b32_e32 v111, v51
	v_mov_b32_e32 v110, v50
	v_cmp_ne_u32_sdwa s5, v0, v1 src0_sel:BYTE_3 src1_sel:DWORD
	s_and_saveexec_b32 s17, s5
	s_cbranch_execz .LBB255_810
; %bb.805:                              ;   in Loop: Header=BB255_11 Depth=1
	v_mov_b32_e32 v70, v16
	v_mov_b32_e32 v111, v71
	v_bfe_u32 v2, v0, 24, 7
	s_mov_b32 s21, exec_lo
	v_mov_b32_e32 v110, v70
	v_cmpx_ne_u32_e32 0x7f, v2
	s_cbranch_execz .LBB255_809
; %bb.806:                              ;   in Loop: Header=BB255_11 Depth=1
	v_mov_b32_e32 v1, 7
	s_mov_b32 s22, exec_lo
	v_and_b32_sdwa v15, v0, v1 dst_sel:DWORD dst_unused:UNUSED_PAD src0_sel:BYTE_3 src1_sel:DWORD
	v_lshrrev_b32_e32 v1, 3, v2
	v_cmpx_gt_u32_e32 8, v2
; %bb.807:                              ;   in Loop: Header=BB255_11 Depth=1
	v_ffbh_u32_e32 v1, v15
	v_min_u32_e32 v1, 32, v1
	v_subrev_nc_u32_e32 v2, 28, v1
	v_sub_nc_u32_e32 v1, 29, v1
	v_lshlrev_b64 v[2:3], v2, v[15:16]
	v_and_b32_e32 v15, 7, v2
; %bb.808:                              ;   in Loop: Header=BB255_11 Depth=1
	s_or_b32 exec_lo, exec_lo, s22
	v_mov_b32_e32 v2, 24
	v_lshl_add_u32 v1, v1, 23, 0x3c000000
	v_mov_b32_e32 v110, v16
	v_lshlrev_b32_sdwa v0, v2, v0 dst_sel:DWORD dst_unused:UNUSED_PAD src0_sel:DWORD src1_sel:BYTE_3
	v_lshlrev_b32_e32 v2, 20, v15
	v_and_b32_e32 v0, 0x80000000, v0
	v_or3_b32 v111, v2, v0, v1
.LBB255_809:                            ;   in Loop: Header=BB255_11 Depth=1
	s_or_b32 exec_lo, exec_lo, s21
.LBB255_810:                            ;   in Loop: Header=BB255_11 Depth=1
	s_or_b32 exec_lo, exec_lo, s17
.LBB255_811:                            ;   in Loop: Header=BB255_11 Depth=1
	s_or_b32 exec_lo, exec_lo, s13
	flat_load_dword v0, v[96:97] offset:1028
	v_mov_b32_e32 v106, 0
	v_mov_b32_e32 v120, 0
	;; [unrolled: 1-line block ×4, first 2 shown]
	s_waitcnt vmcnt(0) lgkmcnt(0)
	v_cmp_ne_u16_sdwa s5, v0, v16 src0_sel:BYTE_0 src1_sel:DWORD
	s_and_saveexec_b32 s13, s5
	s_cbranch_execz .LBB255_819
; %bb.812:                              ;   in Loop: Header=BB255_11 Depth=1
	v_mov_b32_e32 v1, 0x80
	v_bfrev_b32_e32 v120, 1
	v_mov_b32_e32 v121, 0
	v_cmp_ne_u16_sdwa s5, v0, v1 src0_sel:BYTE_0 src1_sel:DWORD
	s_and_saveexec_b32 s17, s5
	s_cbranch_execz .LBB255_818
; %bb.813:                              ;   in Loop: Header=BB255_11 Depth=1
	v_mov_b32_e32 v120, 0x7f800001
	v_and_b32_e32 v2, 0x7f, v0
	v_mov_b32_e32 v121, 0
	s_mov_b32 s21, exec_lo
	v_cmpx_ne_u32_e32 0x7f, v2
	s_cbranch_execz .LBB255_817
; %bb.814:                              ;   in Loop: Header=BB255_11 Depth=1
	v_and_b32_e32 v15, 7, v0
	v_lshrrev_b32_e32 v1, 3, v2
	s_mov_b32 s22, exec_lo
	v_cmpx_gt_u32_e32 8, v2
; %bb.815:                              ;   in Loop: Header=BB255_11 Depth=1
	v_ffbh_u32_e32 v1, v15
	v_min_u32_e32 v1, 32, v1
	v_subrev_nc_u32_e32 v2, 28, v1
	v_sub_nc_u32_e32 v1, 29, v1
	v_lshlrev_b64 v[2:3], v2, v[15:16]
	v_and_b32_e32 v15, 7, v2
; %bb.816:                              ;   in Loop: Header=BB255_11 Depth=1
	s_or_b32 exec_lo, exec_lo, s22
	v_lshlrev_b32_e32 v2, 24, v0
	v_lshlrev_b32_e32 v3, 20, v15
	v_lshl_add_u32 v1, v1, 23, 0x3c000000
	v_and_b32_e32 v2, 0x80000000, v2
	v_or3_b32 v15, v3, v2, v1
	v_mov_b32_e32 v121, v16
	v_mov_b32_e32 v120, v15
.LBB255_817:                            ;   in Loop: Header=BB255_11 Depth=1
	s_or_b32 exec_lo, exec_lo, s21
.LBB255_818:                            ;   in Loop: Header=BB255_11 Depth=1
	s_or_b32 exec_lo, exec_lo, s17
.LBB255_819:                            ;   in Loop: Header=BB255_11 Depth=1
	s_or_b32 exec_lo, exec_lo, s13
	v_cmp_ne_u16_sdwa s5, v0, v16 src0_sel:BYTE_1 src1_sel:DWORD
	s_and_saveexec_b32 s13, s5
	s_cbranch_execz .LBB255_827
; %bb.820:                              ;   in Loop: Header=BB255_11 Depth=1
	v_mov_b32_e32 v50, v16
	v_mov_b32_e32 v1, 0x80
	;; [unrolled: 1-line block ×4, first 2 shown]
	v_cmp_ne_u16_sdwa s5, v0, v1 src0_sel:BYTE_1 src1_sel:DWORD
	s_and_saveexec_b32 s17, s5
	s_cbranch_execz .LBB255_826
; %bb.821:                              ;   in Loop: Header=BB255_11 Depth=1
	v_mov_b32_e32 v1, 0xffff
	v_mov_b32_e32 v70, v16
	;; [unrolled: 1-line block ×3, first 2 shown]
	s_mov_b32 s21, exec_lo
	v_and_b32_sdwa v1, v1, v0 dst_sel:DWORD dst_unused:UNUSED_PAD src0_sel:DWORD src1_sel:BYTE_1
	v_mov_b32_e32 v106, v70
	v_and_b32_e32 v2, 0x7f, v1
	v_cmpx_ne_u32_e32 0x7f, v2
	s_cbranch_execz .LBB255_825
; %bb.822:                              ;   in Loop: Header=BB255_11 Depth=1
	v_and_b32_e32 v15, 7, v1
	v_lshrrev_b32_e32 v1, 3, v2
	s_mov_b32 s22, exec_lo
	v_cmpx_gt_u32_e32 8, v2
; %bb.823:                              ;   in Loop: Header=BB255_11 Depth=1
	v_ffbh_u32_e32 v1, v15
	v_min_u32_e32 v1, 32, v1
	v_subrev_nc_u32_e32 v2, 28, v1
	v_sub_nc_u32_e32 v1, 29, v1
	v_lshlrev_b64 v[2:3], v2, v[15:16]
	v_and_b32_e32 v15, 7, v2
; %bb.824:                              ;   in Loop: Header=BB255_11 Depth=1
	s_or_b32 exec_lo, exec_lo, s22
	v_lshlrev_b32_e32 v2, 16, v0
	v_lshlrev_b32_e32 v3, 20, v15
	v_lshl_add_u32 v1, v1, 23, 0x3c000000
	v_mov_b32_e32 v106, v16
	v_and_b32_e32 v2, 0x80000000, v2
	v_or3_b32 v107, v3, v2, v1
.LBB255_825:                            ;   in Loop: Header=BB255_11 Depth=1
	s_or_b32 exec_lo, exec_lo, s21
.LBB255_826:                            ;   in Loop: Header=BB255_11 Depth=1
	s_or_b32 exec_lo, exec_lo, s17
.LBB255_827:                            ;   in Loop: Header=BB255_11 Depth=1
	s_or_b32 exec_lo, exec_lo, s13
	v_mov_b32_e32 v1, 0xff
	v_mov_b32_e32 v126, 0
	;; [unrolled: 1-line block ×5, first 2 shown]
	v_and_b32_sdwa v1, v0, v1 dst_sel:DWORD dst_unused:UNUSED_PAD src0_sel:WORD_1 src1_sel:DWORD
	s_mov_b32 s13, exec_lo
	v_cmpx_ne_u16_e32 0, v1
	s_cbranch_execz .LBB255_835
; %bb.828:                              ;   in Loop: Header=BB255_11 Depth=1
	v_bfrev_b32_e32 v108, 1
	v_mov_b32_e32 v109, 0
	s_mov_b32 s17, exec_lo
	v_cmpx_ne_u16_e32 0x80, v1
	s_cbranch_execz .LBB255_834
; %bb.829:                              ;   in Loop: Header=BB255_11 Depth=1
	v_mov_b32_e32 v108, 0x7f800001
	v_bfe_u32 v2, v0, 16, 7
	v_mov_b32_e32 v109, 0
	s_mov_b32 s21, exec_lo
	v_cmpx_ne_u32_e32 0x7f, v2
	s_cbranch_execz .LBB255_833
; %bb.830:                              ;   in Loop: Header=BB255_11 Depth=1
	v_mov_b32_e32 v1, 7
	s_mov_b32 s22, exec_lo
	v_and_b32_sdwa v15, v0, v1 dst_sel:DWORD dst_unused:UNUSED_PAD src0_sel:WORD_1 src1_sel:DWORD
	v_lshrrev_b32_e32 v1, 3, v2
	v_cmpx_gt_u32_e32 8, v2
; %bb.831:                              ;   in Loop: Header=BB255_11 Depth=1
	v_ffbh_u32_e32 v1, v15
	v_min_u32_e32 v1, 32, v1
	v_subrev_nc_u32_e32 v2, 28, v1
	v_sub_nc_u32_e32 v1, 29, v1
	v_lshlrev_b64 v[2:3], v2, v[15:16]
	v_and_b32_e32 v15, 7, v2
; %bb.832:                              ;   in Loop: Header=BB255_11 Depth=1
	s_or_b32 exec_lo, exec_lo, s22
	v_mov_b32_e32 v2, 24
	v_lshlrev_b32_e32 v3, 20, v15
	v_lshl_add_u32 v1, v1, 23, 0x3c000000
	v_lshlrev_b32_sdwa v2, v2, v0 dst_sel:DWORD dst_unused:UNUSED_PAD src0_sel:DWORD src1_sel:WORD_1
	v_and_b32_e32 v2, 0x80000000, v2
	v_or3_b32 v15, v3, v2, v1
	v_mov_b32_e32 v109, v16
	v_mov_b32_e32 v108, v15
.LBB255_833:                            ;   in Loop: Header=BB255_11 Depth=1
	s_or_b32 exec_lo, exec_lo, s21
.LBB255_834:                            ;   in Loop: Header=BB255_11 Depth=1
	s_or_b32 exec_lo, exec_lo, s17
.LBB255_835:                            ;   in Loop: Header=BB255_11 Depth=1
	s_or_b32 exec_lo, exec_lo, s13
	s_mov_b32 s13, exec_lo
	v_cmpx_lt_u32_e32 0xffffff, v0
	s_cbranch_execz .LBB255_843
; %bb.836:                              ;   in Loop: Header=BB255_11 Depth=1
	v_mov_b32_e32 v50, v16
	v_mov_b32_e32 v1, 0x80
	;; [unrolled: 1-line block ×4, first 2 shown]
	v_cmp_ne_u32_sdwa s5, v0, v1 src0_sel:BYTE_3 src1_sel:DWORD
	s_and_saveexec_b32 s17, s5
	s_cbranch_execz .LBB255_842
; %bb.837:                              ;   in Loop: Header=BB255_11 Depth=1
	v_mov_b32_e32 v70, v16
	v_mov_b32_e32 v127, v71
	v_bfe_u32 v2, v0, 24, 7
	s_mov_b32 s21, exec_lo
	v_mov_b32_e32 v126, v70
	v_cmpx_ne_u32_e32 0x7f, v2
	s_cbranch_execz .LBB255_841
; %bb.838:                              ;   in Loop: Header=BB255_11 Depth=1
	v_mov_b32_e32 v1, 7
	s_mov_b32 s22, exec_lo
	v_and_b32_sdwa v15, v0, v1 dst_sel:DWORD dst_unused:UNUSED_PAD src0_sel:BYTE_3 src1_sel:DWORD
	v_lshrrev_b32_e32 v1, 3, v2
	v_cmpx_gt_u32_e32 8, v2
; %bb.839:                              ;   in Loop: Header=BB255_11 Depth=1
	v_ffbh_u32_e32 v1, v15
	v_min_u32_e32 v1, 32, v1
	v_subrev_nc_u32_e32 v2, 28, v1
	v_sub_nc_u32_e32 v1, 29, v1
	v_lshlrev_b64 v[2:3], v2, v[15:16]
	v_and_b32_e32 v15, 7, v2
; %bb.840:                              ;   in Loop: Header=BB255_11 Depth=1
	s_or_b32 exec_lo, exec_lo, s22
	v_mov_b32_e32 v2, 24
	v_lshl_add_u32 v1, v1, 23, 0x3c000000
	v_mov_b32_e32 v126, v16
	v_lshlrev_b32_sdwa v0, v2, v0 dst_sel:DWORD dst_unused:UNUSED_PAD src0_sel:DWORD src1_sel:BYTE_3
	v_lshlrev_b32_e32 v2, 20, v15
	v_and_b32_e32 v0, 0x80000000, v0
	v_or3_b32 v127, v2, v0, v1
.LBB255_841:                            ;   in Loop: Header=BB255_11 Depth=1
	s_or_b32 exec_lo, exec_lo, s21
.LBB255_842:                            ;   in Loop: Header=BB255_11 Depth=1
	s_or_b32 exec_lo, exec_lo, s17
.LBB255_843:                            ;   in Loop: Header=BB255_11 Depth=1
	s_or_b32 exec_lo, exec_lo, s13
	flat_load_dword v0, v[96:97] offset:1032
	v_mov_b32_e32 v122, 0
	v_mov_b32_e32 v6, 0
	;; [unrolled: 1-line block ×4, first 2 shown]
	s_waitcnt vmcnt(0) lgkmcnt(0)
	v_cmp_ne_u16_sdwa s5, v0, v16 src0_sel:BYTE_0 src1_sel:DWORD
	s_and_saveexec_b32 s13, s5
	s_cbranch_execz .LBB255_851
; %bb.844:                              ;   in Loop: Header=BB255_11 Depth=1
	v_mov_b32_e32 v1, 0x80
	v_bfrev_b32_e32 v6, 1
	v_mov_b32_e32 v7, 0
	v_cmp_ne_u16_sdwa s5, v0, v1 src0_sel:BYTE_0 src1_sel:DWORD
	s_and_saveexec_b32 s17, s5
	s_cbranch_execz .LBB255_850
; %bb.845:                              ;   in Loop: Header=BB255_11 Depth=1
	v_mov_b32_e32 v6, 0x7f800001
	v_and_b32_e32 v2, 0x7f, v0
	v_mov_b32_e32 v7, 0
	s_mov_b32 s21, exec_lo
	v_cmpx_ne_u32_e32 0x7f, v2
	s_cbranch_execz .LBB255_849
; %bb.846:                              ;   in Loop: Header=BB255_11 Depth=1
	v_and_b32_e32 v15, 7, v0
	v_lshrrev_b32_e32 v1, 3, v2
	s_mov_b32 s22, exec_lo
	v_cmpx_gt_u32_e32 8, v2
; %bb.847:                              ;   in Loop: Header=BB255_11 Depth=1
	v_ffbh_u32_e32 v1, v15
	v_min_u32_e32 v1, 32, v1
	v_subrev_nc_u32_e32 v2, 28, v1
	v_sub_nc_u32_e32 v1, 29, v1
	v_lshlrev_b64 v[2:3], v2, v[15:16]
	v_and_b32_e32 v15, 7, v2
; %bb.848:                              ;   in Loop: Header=BB255_11 Depth=1
	s_or_b32 exec_lo, exec_lo, s22
	v_lshlrev_b32_e32 v2, 24, v0
	v_lshlrev_b32_e32 v3, 20, v15
	v_lshl_add_u32 v1, v1, 23, 0x3c000000
	v_and_b32_e32 v2, 0x80000000, v2
	v_or3_b32 v15, v3, v2, v1
	v_mov_b32_e32 v6, v15
	v_mov_b32_e32 v7, v16
.LBB255_849:                            ;   in Loop: Header=BB255_11 Depth=1
	s_or_b32 exec_lo, exec_lo, s21
.LBB255_850:                            ;   in Loop: Header=BB255_11 Depth=1
	s_or_b32 exec_lo, exec_lo, s17
.LBB255_851:                            ;   in Loop: Header=BB255_11 Depth=1
	s_or_b32 exec_lo, exec_lo, s13
	v_cmp_ne_u16_sdwa s5, v0, v16 src0_sel:BYTE_1 src1_sel:DWORD
	s_and_saveexec_b32 s13, s5
	s_cbranch_execz .LBB255_859
; %bb.852:                              ;   in Loop: Header=BB255_11 Depth=1
	v_mov_b32_e32 v50, v16
	v_mov_b32_e32 v1, 0x80
	;; [unrolled: 1-line block ×4, first 2 shown]
	v_cmp_ne_u16_sdwa s5, v0, v1 src0_sel:BYTE_1 src1_sel:DWORD
	s_and_saveexec_b32 s17, s5
	s_cbranch_execz .LBB255_858
; %bb.853:                              ;   in Loop: Header=BB255_11 Depth=1
	v_mov_b32_e32 v1, 0xffff
	v_mov_b32_e32 v70, v16
	;; [unrolled: 1-line block ×3, first 2 shown]
	s_mov_b32 s21, exec_lo
	v_and_b32_sdwa v1, v1, v0 dst_sel:DWORD dst_unused:UNUSED_PAD src0_sel:DWORD src1_sel:BYTE_1
	v_mov_b32_e32 v122, v70
	v_and_b32_e32 v2, 0x7f, v1
	v_cmpx_ne_u32_e32 0x7f, v2
	s_cbranch_execz .LBB255_857
; %bb.854:                              ;   in Loop: Header=BB255_11 Depth=1
	v_and_b32_e32 v15, 7, v1
	v_lshrrev_b32_e32 v1, 3, v2
	s_mov_b32 s22, exec_lo
	v_cmpx_gt_u32_e32 8, v2
; %bb.855:                              ;   in Loop: Header=BB255_11 Depth=1
	v_ffbh_u32_e32 v1, v15
	v_min_u32_e32 v1, 32, v1
	v_subrev_nc_u32_e32 v2, 28, v1
	v_sub_nc_u32_e32 v1, 29, v1
	v_lshlrev_b64 v[2:3], v2, v[15:16]
	v_and_b32_e32 v15, 7, v2
; %bb.856:                              ;   in Loop: Header=BB255_11 Depth=1
	s_or_b32 exec_lo, exec_lo, s22
	v_lshlrev_b32_e32 v2, 16, v0
	v_lshlrev_b32_e32 v3, 20, v15
	v_lshl_add_u32 v1, v1, 23, 0x3c000000
	v_mov_b32_e32 v122, v16
	v_and_b32_e32 v2, 0x80000000, v2
	v_or3_b32 v123, v3, v2, v1
.LBB255_857:                            ;   in Loop: Header=BB255_11 Depth=1
	s_or_b32 exec_lo, exec_lo, s21
.LBB255_858:                            ;   in Loop: Header=BB255_11 Depth=1
	s_or_b32 exec_lo, exec_lo, s17
.LBB255_859:                            ;   in Loop: Header=BB255_11 Depth=1
	s_or_b32 exec_lo, exec_lo, s13
	v_mov_b32_e32 v1, 0xff
	v_mov_b32_e32 v21, 0
	;; [unrolled: 1-line block ×5, first 2 shown]
	v_and_b32_sdwa v1, v0, v1 dst_sel:DWORD dst_unused:UNUSED_PAD src0_sel:WORD_1 src1_sel:DWORD
	s_mov_b32 s13, exec_lo
	v_cmpx_ne_u16_e32 0, v1
	s_cbranch_execz .LBB255_867
; %bb.860:                              ;   in Loop: Header=BB255_11 Depth=1
	v_bfrev_b32_e32 v124, 1
	v_mov_b32_e32 v125, 0
	s_mov_b32 s17, exec_lo
	v_cmpx_ne_u16_e32 0x80, v1
	s_cbranch_execz .LBB255_866
; %bb.861:                              ;   in Loop: Header=BB255_11 Depth=1
	v_mov_b32_e32 v124, 0x7f800001
	v_bfe_u32 v2, v0, 16, 7
	v_mov_b32_e32 v125, 0
	s_mov_b32 s21, exec_lo
	v_cmpx_ne_u32_e32 0x7f, v2
	s_cbranch_execz .LBB255_865
; %bb.862:                              ;   in Loop: Header=BB255_11 Depth=1
	v_mov_b32_e32 v1, 7
	s_mov_b32 s22, exec_lo
	v_and_b32_sdwa v15, v0, v1 dst_sel:DWORD dst_unused:UNUSED_PAD src0_sel:WORD_1 src1_sel:DWORD
	v_lshrrev_b32_e32 v1, 3, v2
	v_cmpx_gt_u32_e32 8, v2
; %bb.863:                              ;   in Loop: Header=BB255_11 Depth=1
	v_ffbh_u32_e32 v1, v15
	v_min_u32_e32 v1, 32, v1
	v_subrev_nc_u32_e32 v2, 28, v1
	v_sub_nc_u32_e32 v1, 29, v1
	v_lshlrev_b64 v[2:3], v2, v[15:16]
	v_and_b32_e32 v15, 7, v2
; %bb.864:                              ;   in Loop: Header=BB255_11 Depth=1
	s_or_b32 exec_lo, exec_lo, s22
	v_mov_b32_e32 v2, 24
	v_lshlrev_b32_e32 v3, 20, v15
	v_lshl_add_u32 v1, v1, 23, 0x3c000000
	v_lshlrev_b32_sdwa v2, v2, v0 dst_sel:DWORD dst_unused:UNUSED_PAD src0_sel:DWORD src1_sel:WORD_1
	v_and_b32_e32 v2, 0x80000000, v2
	v_or3_b32 v15, v3, v2, v1
	v_mov_b32_e32 v125, v16
	v_mov_b32_e32 v124, v15
.LBB255_865:                            ;   in Loop: Header=BB255_11 Depth=1
	s_or_b32 exec_lo, exec_lo, s21
.LBB255_866:                            ;   in Loop: Header=BB255_11 Depth=1
	s_or_b32 exec_lo, exec_lo, s17
.LBB255_867:                            ;   in Loop: Header=BB255_11 Depth=1
	s_or_b32 exec_lo, exec_lo, s13
	s_mov_b32 s13, exec_lo
	v_cmpx_lt_u32_e32 0xffffff, v0
	s_cbranch_execz .LBB255_875
; %bb.868:                              ;   in Loop: Header=BB255_11 Depth=1
	v_mov_b32_e32 v50, v16
	v_mov_b32_e32 v1, 0x80
	;; [unrolled: 1-line block ×3, first 2 shown]
	v_cmp_ne_u32_sdwa s5, v0, v1 src0_sel:BYTE_3 src1_sel:DWORD
	v_mov_b32_e32 v22, v51
	s_and_saveexec_b32 s17, s5
	s_cbranch_execz .LBB255_874
; %bb.869:                              ;   in Loop: Header=BB255_11 Depth=1
	v_mov_b32_e32 v70, v16
	v_bfe_u32 v2, v0, 24, 7
	s_mov_b32 s21, exec_lo
	v_mov_b32_e32 v21, v70
	v_mov_b32_e32 v22, v71
	v_cmpx_ne_u32_e32 0x7f, v2
	s_cbranch_execz .LBB255_873
; %bb.870:                              ;   in Loop: Header=BB255_11 Depth=1
	v_mov_b32_e32 v1, 7
	s_mov_b32 s22, exec_lo
	v_and_b32_sdwa v15, v0, v1 dst_sel:DWORD dst_unused:UNUSED_PAD src0_sel:BYTE_3 src1_sel:DWORD
	v_lshrrev_b32_e32 v1, 3, v2
	v_cmpx_gt_u32_e32 8, v2
; %bb.871:                              ;   in Loop: Header=BB255_11 Depth=1
	v_ffbh_u32_e32 v1, v15
	v_min_u32_e32 v1, 32, v1
	v_subrev_nc_u32_e32 v2, 28, v1
	v_sub_nc_u32_e32 v1, 29, v1
	v_lshlrev_b64 v[2:3], v2, v[15:16]
	v_and_b32_e32 v15, 7, v2
; %bb.872:                              ;   in Loop: Header=BB255_11 Depth=1
	s_or_b32 exec_lo, exec_lo, s22
	v_mov_b32_e32 v2, 24
	v_lshl_add_u32 v1, v1, 23, 0x3c000000
	v_mov_b32_e32 v21, v16
	v_lshlrev_b32_sdwa v0, v2, v0 dst_sel:DWORD dst_unused:UNUSED_PAD src0_sel:DWORD src1_sel:BYTE_3
	v_lshlrev_b32_e32 v2, 20, v15
	v_and_b32_e32 v0, 0x80000000, v0
	v_or3_b32 v22, v2, v0, v1
.LBB255_873:                            ;   in Loop: Header=BB255_11 Depth=1
	s_or_b32 exec_lo, exec_lo, s21
.LBB255_874:                            ;   in Loop: Header=BB255_11 Depth=1
	s_or_b32 exec_lo, exec_lo, s17
.LBB255_875:                            ;   in Loop: Header=BB255_11 Depth=1
	s_or_b32 exec_lo, exec_lo, s13
	flat_load_dword v0, v[96:97] offset:1036
	v_mov_b32_e32 v8, 0
	v_mov_b32_e32 v10, 0
	;; [unrolled: 1-line block ×4, first 2 shown]
	s_waitcnt vmcnt(0) lgkmcnt(0)
	v_cmp_ne_u16_sdwa s5, v0, v16 src0_sel:BYTE_0 src1_sel:DWORD
	s_and_saveexec_b32 s13, s5
	s_cbranch_execz .LBB255_883
; %bb.876:                              ;   in Loop: Header=BB255_11 Depth=1
	v_mov_b32_e32 v1, 0x80
	v_bfrev_b32_e32 v10, 1
	v_mov_b32_e32 v11, 0
	v_cmp_ne_u16_sdwa s5, v0, v1 src0_sel:BYTE_0 src1_sel:DWORD
	s_and_saveexec_b32 s17, s5
	s_cbranch_execz .LBB255_882
; %bb.877:                              ;   in Loop: Header=BB255_11 Depth=1
	v_mov_b32_e32 v10, 0x7f800001
	v_and_b32_e32 v2, 0x7f, v0
	v_mov_b32_e32 v11, 0
	s_mov_b32 s21, exec_lo
	v_cmpx_ne_u32_e32 0x7f, v2
	s_cbranch_execz .LBB255_881
; %bb.878:                              ;   in Loop: Header=BB255_11 Depth=1
	v_and_b32_e32 v15, 7, v0
	v_lshrrev_b32_e32 v1, 3, v2
	s_mov_b32 s22, exec_lo
	v_cmpx_gt_u32_e32 8, v2
; %bb.879:                              ;   in Loop: Header=BB255_11 Depth=1
	v_ffbh_u32_e32 v1, v15
	v_min_u32_e32 v1, 32, v1
	v_subrev_nc_u32_e32 v2, 28, v1
	v_sub_nc_u32_e32 v1, 29, v1
	v_lshlrev_b64 v[2:3], v2, v[15:16]
	v_and_b32_e32 v15, 7, v2
; %bb.880:                              ;   in Loop: Header=BB255_11 Depth=1
	s_or_b32 exec_lo, exec_lo, s22
	v_lshlrev_b32_e32 v2, 24, v0
	v_lshlrev_b32_e32 v3, 20, v15
	v_lshl_add_u32 v1, v1, 23, 0x3c000000
	v_and_b32_e32 v2, 0x80000000, v2
	v_or3_b32 v15, v3, v2, v1
	v_mov_b32_e32 v10, v15
	v_mov_b32_e32 v11, v16
.LBB255_881:                            ;   in Loop: Header=BB255_11 Depth=1
	s_or_b32 exec_lo, exec_lo, s21
.LBB255_882:                            ;   in Loop: Header=BB255_11 Depth=1
	s_or_b32 exec_lo, exec_lo, s17
.LBB255_883:                            ;   in Loop: Header=BB255_11 Depth=1
	s_or_b32 exec_lo, exec_lo, s13
	v_cmp_ne_u16_sdwa s5, v0, v16 src0_sel:BYTE_1 src1_sel:DWORD
	s_and_saveexec_b32 s13, s5
	s_cbranch_execz .LBB255_891
; %bb.884:                              ;   in Loop: Header=BB255_11 Depth=1
	v_mov_b32_e32 v50, v16
	v_mov_b32_e32 v1, 0x80
	;; [unrolled: 1-line block ×3, first 2 shown]
	v_cmp_ne_u16_sdwa s5, v0, v1 src0_sel:BYTE_1 src1_sel:DWORD
	v_mov_b32_e32 v9, v51
	s_and_saveexec_b32 s17, s5
	s_cbranch_execz .LBB255_890
; %bb.885:                              ;   in Loop: Header=BB255_11 Depth=1
	v_mov_b32_e32 v1, 0xffff
	v_mov_b32_e32 v70, v16
	s_mov_b32 s21, exec_lo
	v_and_b32_sdwa v1, v1, v0 dst_sel:DWORD dst_unused:UNUSED_PAD src0_sel:DWORD src1_sel:BYTE_1
	v_mov_b32_e32 v8, v70
	v_mov_b32_e32 v9, v71
	v_and_b32_e32 v2, 0x7f, v1
	v_cmpx_ne_u32_e32 0x7f, v2
	s_cbranch_execz .LBB255_889
; %bb.886:                              ;   in Loop: Header=BB255_11 Depth=1
	v_and_b32_e32 v15, 7, v1
	v_lshrrev_b32_e32 v1, 3, v2
	s_mov_b32 s22, exec_lo
	v_cmpx_gt_u32_e32 8, v2
; %bb.887:                              ;   in Loop: Header=BB255_11 Depth=1
	v_ffbh_u32_e32 v1, v15
	v_min_u32_e32 v1, 32, v1
	v_subrev_nc_u32_e32 v2, 28, v1
	v_sub_nc_u32_e32 v1, 29, v1
	v_lshlrev_b64 v[2:3], v2, v[15:16]
	v_and_b32_e32 v15, 7, v2
; %bb.888:                              ;   in Loop: Header=BB255_11 Depth=1
	s_or_b32 exec_lo, exec_lo, s22
	v_lshlrev_b32_e32 v2, 16, v0
	v_lshlrev_b32_e32 v3, 20, v15
	v_lshl_add_u32 v1, v1, 23, 0x3c000000
	v_mov_b32_e32 v8, v16
	v_and_b32_e32 v2, 0x80000000, v2
	v_or3_b32 v9, v3, v2, v1
.LBB255_889:                            ;   in Loop: Header=BB255_11 Depth=1
	s_or_b32 exec_lo, exec_lo, s21
.LBB255_890:                            ;   in Loop: Header=BB255_11 Depth=1
	s_or_b32 exec_lo, exec_lo, s17
.LBB255_891:                            ;   in Loop: Header=BB255_11 Depth=1
	s_or_b32 exec_lo, exec_lo, s13
	v_mov_b32_e32 v1, 0xff
	v_mov_b32_e32 v2, 0
	;; [unrolled: 1-line block ×5, first 2 shown]
	v_and_b32_sdwa v1, v0, v1 dst_sel:DWORD dst_unused:UNUSED_PAD src0_sel:WORD_1 src1_sel:DWORD
	s_mov_b32 s13, exec_lo
	v_cmpx_ne_u16_e32 0, v1
	s_cbranch_execz .LBB255_899
; %bb.892:                              ;   in Loop: Header=BB255_11 Depth=1
	v_bfrev_b32_e32 v19, 1
	v_mov_b32_e32 v20, 0
	s_mov_b32 s17, exec_lo
	v_cmpx_ne_u16_e32 0x80, v1
	s_cbranch_execz .LBB255_898
; %bb.893:                              ;   in Loop: Header=BB255_11 Depth=1
	v_mov_b32_e32 v19, 0x7f800001
	v_bfe_u32 v4, v0, 16, 7
	v_mov_b32_e32 v20, 0
	s_mov_b32 s21, exec_lo
	v_cmpx_ne_u32_e32 0x7f, v4
	s_cbranch_execz .LBB255_897
; %bb.894:                              ;   in Loop: Header=BB255_11 Depth=1
	v_mov_b32_e32 v1, 7
	s_mov_b32 s22, exec_lo
	v_and_b32_sdwa v15, v0, v1 dst_sel:DWORD dst_unused:UNUSED_PAD src0_sel:WORD_1 src1_sel:DWORD
	v_lshrrev_b32_e32 v1, 3, v4
	v_cmpx_gt_u32_e32 8, v4
; %bb.895:                              ;   in Loop: Header=BB255_11 Depth=1
	v_ffbh_u32_e32 v1, v15
	v_min_u32_e32 v1, 32, v1
	v_subrev_nc_u32_e32 v4, 28, v1
	v_sub_nc_u32_e32 v1, 29, v1
	v_lshlrev_b64 v[4:5], v4, v[15:16]
	v_and_b32_e32 v15, 7, v4
; %bb.896:                              ;   in Loop: Header=BB255_11 Depth=1
	s_or_b32 exec_lo, exec_lo, s22
	v_mov_b32_e32 v4, 24
	v_lshlrev_b32_e32 v5, 20, v15
	v_lshl_add_u32 v1, v1, 23, 0x3c000000
	v_lshlrev_b32_sdwa v4, v4, v0 dst_sel:DWORD dst_unused:UNUSED_PAD src0_sel:DWORD src1_sel:WORD_1
	v_and_b32_e32 v4, 0x80000000, v4
	v_or3_b32 v15, v5, v4, v1
	v_mov_b32_e32 v20, v16
	v_mov_b32_e32 v19, v15
.LBB255_897:                            ;   in Loop: Header=BB255_11 Depth=1
	s_or_b32 exec_lo, exec_lo, s21
.LBB255_898:                            ;   in Loop: Header=BB255_11 Depth=1
	s_or_b32 exec_lo, exec_lo, s17
.LBB255_899:                            ;   in Loop: Header=BB255_11 Depth=1
	s_or_b32 exec_lo, exec_lo, s13
	s_mov_b32 s13, exec_lo
	v_cmpx_lt_u32_e32 0xffffff, v0
	s_cbranch_execz .LBB255_907
; %bb.900:                              ;   in Loop: Header=BB255_11 Depth=1
	v_mov_b32_e32 v50, v16
	v_mov_b32_e32 v1, 0x80
	;; [unrolled: 1-line block ×3, first 2 shown]
	v_cmp_ne_u32_sdwa s5, v0, v1 src0_sel:BYTE_3 src1_sel:DWORD
	v_mov_b32_e32 v3, v51
	s_and_saveexec_b32 s17, s5
	s_cbranch_execz .LBB255_906
; %bb.901:                              ;   in Loop: Header=BB255_11 Depth=1
	v_mov_b32_e32 v70, v16
	v_bfe_u32 v4, v0, 24, 7
	s_mov_b32 s21, exec_lo
	v_mov_b32_e32 v2, v70
	v_mov_b32_e32 v3, v71
	v_cmpx_ne_u32_e32 0x7f, v4
	s_cbranch_execz .LBB255_905
; %bb.902:                              ;   in Loop: Header=BB255_11 Depth=1
	v_mov_b32_e32 v1, 7
	s_mov_b32 s22, exec_lo
	v_and_b32_sdwa v15, v0, v1 dst_sel:DWORD dst_unused:UNUSED_PAD src0_sel:BYTE_3 src1_sel:DWORD
	v_lshrrev_b32_e32 v1, 3, v4
	v_cmpx_gt_u32_e32 8, v4
; %bb.903:                              ;   in Loop: Header=BB255_11 Depth=1
	v_ffbh_u32_e32 v1, v15
	v_min_u32_e32 v1, 32, v1
	v_subrev_nc_u32_e32 v2, 28, v1
	v_sub_nc_u32_e32 v1, 29, v1
	v_lshlrev_b64 v[2:3], v2, v[15:16]
	v_and_b32_e32 v15, 7, v2
; %bb.904:                              ;   in Loop: Header=BB255_11 Depth=1
	s_or_b32 exec_lo, exec_lo, s22
	v_mov_b32_e32 v2, 24
	v_lshl_add_u32 v1, v1, 23, 0x3c000000
	v_lshlrev_b32_sdwa v0, v2, v0 dst_sel:DWORD dst_unused:UNUSED_PAD src0_sel:DWORD src1_sel:BYTE_3
	v_lshlrev_b32_e32 v2, 20, v15
	v_and_b32_e32 v0, 0x80000000, v0
	v_or3_b32 v3, v2, v0, v1
	v_mov_b32_e32 v2, v16
.LBB255_905:                            ;   in Loop: Header=BB255_11 Depth=1
	s_or_b32 exec_lo, exec_lo, s21
.LBB255_906:                            ;   in Loop: Header=BB255_11 Depth=1
	s_or_b32 exec_lo, exec_lo, s17
.LBB255_907:                            ;   in Loop: Header=BB255_11 Depth=1
	s_or_b32 exec_lo, exec_lo, s13
	flat_load_dword v4, v[96:97] offset:1536
	v_mov_b32_e32 v12, 0
	v_mov_b32_e32 v23, 0
	;; [unrolled: 1-line block ×4, first 2 shown]
	s_waitcnt vmcnt(0) lgkmcnt(0)
	v_cmp_ne_u16_sdwa s5, v4, v16 src0_sel:BYTE_0 src1_sel:DWORD
	s_and_saveexec_b32 s13, s5
	s_cbranch_execz .LBB255_915
; %bb.908:                              ;   in Loop: Header=BB255_11 Depth=1
	v_mov_b32_e32 v0, 0x80
	v_bfrev_b32_e32 v23, 1
	v_mov_b32_e32 v24, 0
	v_cmp_ne_u16_sdwa s5, v4, v0 src0_sel:BYTE_0 src1_sel:DWORD
	s_and_saveexec_b32 s17, s5
	s_cbranch_execz .LBB255_914
; %bb.909:                              ;   in Loop: Header=BB255_11 Depth=1
	v_mov_b32_e32 v23, 0x7f800001
	v_and_b32_e32 v1, 0x7f, v4
	v_mov_b32_e32 v24, 0
	s_mov_b32 s21, exec_lo
	v_cmpx_ne_u32_e32 0x7f, v1
	s_cbranch_execz .LBB255_913
; %bb.910:                              ;   in Loop: Header=BB255_11 Depth=1
	v_and_b32_e32 v15, 7, v4
	v_lshrrev_b32_e32 v0, 3, v1
	s_mov_b32 s22, exec_lo
	v_cmpx_gt_u32_e32 8, v1
; %bb.911:                              ;   in Loop: Header=BB255_11 Depth=1
	v_ffbh_u32_e32 v0, v15
	v_min_u32_e32 v0, 32, v0
	v_subrev_nc_u32_e32 v1, 28, v0
	v_sub_nc_u32_e32 v0, 29, v0
	v_lshlrev_b64 v[23:24], v1, v[15:16]
	v_and_b32_e32 v15, 7, v23
; %bb.912:                              ;   in Loop: Header=BB255_11 Depth=1
	s_or_b32 exec_lo, exec_lo, s22
	v_lshlrev_b32_e32 v1, 24, v4
	v_lshlrev_b32_e32 v5, 20, v15
	v_lshl_add_u32 v0, v0, 23, 0x3c000000
	v_and_b32_e32 v1, 0x80000000, v1
	v_or3_b32 v15, v5, v1, v0
	v_mov_b32_e32 v24, v16
	v_mov_b32_e32 v23, v15
.LBB255_913:                            ;   in Loop: Header=BB255_11 Depth=1
	s_or_b32 exec_lo, exec_lo, s21
.LBB255_914:                            ;   in Loop: Header=BB255_11 Depth=1
	s_or_b32 exec_lo, exec_lo, s17
.LBB255_915:                            ;   in Loop: Header=BB255_11 Depth=1
	s_or_b32 exec_lo, exec_lo, s13
	v_cmp_ne_u16_sdwa s5, v4, v16 src0_sel:BYTE_1 src1_sel:DWORD
	s_and_saveexec_b32 s13, s5
	s_cbranch_execz .LBB255_923
; %bb.916:                              ;   in Loop: Header=BB255_11 Depth=1
	v_mov_b32_e32 v50, v16
	v_mov_b32_e32 v0, 0x80
	;; [unrolled: 1-line block ×3, first 2 shown]
	v_cmp_ne_u16_sdwa s5, v4, v0 src0_sel:BYTE_1 src1_sel:DWORD
	v_mov_b32_e32 v13, v51
	s_and_saveexec_b32 s17, s5
	s_cbranch_execz .LBB255_922
; %bb.917:                              ;   in Loop: Header=BB255_11 Depth=1
	v_mov_b32_e32 v0, 0xffff
	v_mov_b32_e32 v70, v16
	s_mov_b32 s21, exec_lo
	v_and_b32_sdwa v0, v0, v4 dst_sel:DWORD dst_unused:UNUSED_PAD src0_sel:DWORD src1_sel:BYTE_1
	v_mov_b32_e32 v12, v70
	v_mov_b32_e32 v13, v71
	v_and_b32_e32 v1, 0x7f, v0
	v_cmpx_ne_u32_e32 0x7f, v1
	s_cbranch_execz .LBB255_921
; %bb.918:                              ;   in Loop: Header=BB255_11 Depth=1
	v_and_b32_e32 v15, 7, v0
	v_lshrrev_b32_e32 v0, 3, v1
	s_mov_b32 s22, exec_lo
	v_cmpx_gt_u32_e32 8, v1
; %bb.919:                              ;   in Loop: Header=BB255_11 Depth=1
	v_ffbh_u32_e32 v0, v15
	v_min_u32_e32 v0, 32, v0
	v_subrev_nc_u32_e32 v1, 28, v0
	v_sub_nc_u32_e32 v0, 29, v0
	v_lshlrev_b64 v[12:13], v1, v[15:16]
	v_and_b32_e32 v15, 7, v12
; %bb.920:                              ;   in Loop: Header=BB255_11 Depth=1
	s_or_b32 exec_lo, exec_lo, s22
	v_lshlrev_b32_e32 v1, 16, v4
	v_lshlrev_b32_e32 v5, 20, v15
	v_lshl_add_u32 v0, v0, 23, 0x3c000000
	v_mov_b32_e32 v12, v16
	v_and_b32_e32 v1, 0x80000000, v1
	v_or3_b32 v13, v5, v1, v0
.LBB255_921:                            ;   in Loop: Header=BB255_11 Depth=1
	s_or_b32 exec_lo, exec_lo, s21
.LBB255_922:                            ;   in Loop: Header=BB255_11 Depth=1
	s_or_b32 exec_lo, exec_lo, s17
.LBB255_923:                            ;   in Loop: Header=BB255_11 Depth=1
	s_or_b32 exec_lo, exec_lo, s13
	v_mov_b32_e32 v0, 0xff
	v_mov_b32_e32 v32, 0
	;; [unrolled: 1-line block ×3, first 2 shown]
	s_mov_b32 s13, exec_lo
	v_and_b32_sdwa v5, v4, v0 dst_sel:DWORD dst_unused:UNUSED_PAD src0_sel:WORD_1 src1_sel:DWORD
	v_mov_b32_e32 v0, 0
	v_mov_b32_e32 v1, 0
	v_cmpx_ne_u16_e32 0, v5
	s_cbranch_execz .LBB255_931
; %bb.924:                              ;   in Loop: Header=BB255_11 Depth=1
	v_bfrev_b32_e32 v0, 1
	v_mov_b32_e32 v1, 0
	s_mov_b32 s17, exec_lo
	v_cmpx_ne_u16_e32 0x80, v5
	s_cbranch_execz .LBB255_930
; %bb.925:                              ;   in Loop: Header=BB255_11 Depth=1
	v_mov_b32_e32 v0, 0x7f800001
	v_bfe_u32 v5, v4, 16, 7
	v_mov_b32_e32 v1, 0
	s_mov_b32 s21, exec_lo
	v_cmpx_ne_u32_e32 0x7f, v5
	s_cbranch_execz .LBB255_929
; %bb.926:                              ;   in Loop: Header=BB255_11 Depth=1
	v_mov_b32_e32 v0, 7
	s_mov_b32 s22, exec_lo
	v_and_b32_sdwa v15, v4, v0 dst_sel:DWORD dst_unused:UNUSED_PAD src0_sel:WORD_1 src1_sel:DWORD
	v_lshrrev_b32_e32 v0, 3, v5
	v_cmpx_gt_u32_e32 8, v5
; %bb.927:                              ;   in Loop: Header=BB255_11 Depth=1
	v_ffbh_u32_e32 v0, v15
	v_min_u32_e32 v0, 32, v0
	v_subrev_nc_u32_e32 v1, 28, v0
	v_sub_nc_u32_e32 v0, 29, v0
	v_lshlrev_b64 v[25:26], v1, v[15:16]
	v_and_b32_e32 v15, 7, v25
; %bb.928:                              ;   in Loop: Header=BB255_11 Depth=1
	s_or_b32 exec_lo, exec_lo, s22
	v_mov_b32_e32 v1, 24
	v_lshlrev_b32_e32 v5, 20, v15
	v_lshl_add_u32 v0, v0, 23, 0x3c000000
	v_lshlrev_b32_sdwa v1, v1, v4 dst_sel:DWORD dst_unused:UNUSED_PAD src0_sel:DWORD src1_sel:WORD_1
	v_and_b32_e32 v1, 0x80000000, v1
	v_or3_b32 v15, v5, v1, v0
	v_mov_b32_e32 v0, v15
	v_mov_b32_e32 v1, v16
.LBB255_929:                            ;   in Loop: Header=BB255_11 Depth=1
	s_or_b32 exec_lo, exec_lo, s21
.LBB255_930:                            ;   in Loop: Header=BB255_11 Depth=1
	s_or_b32 exec_lo, exec_lo, s17
.LBB255_931:                            ;   in Loop: Header=BB255_11 Depth=1
	s_or_b32 exec_lo, exec_lo, s13
	s_mov_b32 s13, exec_lo
	v_cmpx_lt_u32_e32 0xffffff, v4
	s_cbranch_execz .LBB255_939
; %bb.932:                              ;   in Loop: Header=BB255_11 Depth=1
	v_mov_b32_e32 v50, v16
	v_mov_b32_e32 v5, 0x80
	;; [unrolled: 1-line block ×3, first 2 shown]
	v_cmp_ne_u32_sdwa s5, v4, v5 src0_sel:BYTE_3 src1_sel:DWORD
	v_mov_b32_e32 v33, v51
	s_and_saveexec_b32 s17, s5
	s_cbranch_execz .LBB255_938
; %bb.933:                              ;   in Loop: Header=BB255_11 Depth=1
	v_mov_b32_e32 v70, v16
	v_bfe_u32 v25, v4, 24, 7
	s_mov_b32 s21, exec_lo
	v_mov_b32_e32 v32, v70
	v_mov_b32_e32 v33, v71
	v_cmpx_ne_u32_e32 0x7f, v25
	s_cbranch_execz .LBB255_937
; %bb.934:                              ;   in Loop: Header=BB255_11 Depth=1
	v_mov_b32_e32 v5, 7
	s_mov_b32 s22, exec_lo
	v_and_b32_sdwa v15, v4, v5 dst_sel:DWORD dst_unused:UNUSED_PAD src0_sel:BYTE_3 src1_sel:DWORD
	v_lshrrev_b32_e32 v5, 3, v25
	v_cmpx_gt_u32_e32 8, v25
; %bb.935:                              ;   in Loop: Header=BB255_11 Depth=1
	v_ffbh_u32_e32 v5, v15
	v_min_u32_e32 v5, 32, v5
	v_subrev_nc_u32_e32 v25, 28, v5
	v_sub_nc_u32_e32 v5, 29, v5
	v_lshlrev_b64 v[25:26], v25, v[15:16]
	v_and_b32_e32 v15, 7, v25
; %bb.936:                              ;   in Loop: Header=BB255_11 Depth=1
	s_or_b32 exec_lo, exec_lo, s22
	v_mov_b32_e32 v25, 24
	v_lshlrev_b32_e32 v15, 20, v15
	v_lshl_add_u32 v5, v5, 23, 0x3c000000
	v_mov_b32_e32 v32, v16
	v_lshlrev_b32_sdwa v4, v25, v4 dst_sel:DWORD dst_unused:UNUSED_PAD src0_sel:DWORD src1_sel:BYTE_3
	v_and_b32_e32 v4, 0x80000000, v4
	v_or3_b32 v33, v15, v4, v5
.LBB255_937:                            ;   in Loop: Header=BB255_11 Depth=1
	s_or_b32 exec_lo, exec_lo, s21
.LBB255_938:                            ;   in Loop: Header=BB255_11 Depth=1
	s_or_b32 exec_lo, exec_lo, s17
.LBB255_939:                            ;   in Loop: Header=BB255_11 Depth=1
	s_or_b32 exec_lo, exec_lo, s13
	flat_load_dword v28, v[96:97] offset:1540
	v_mov_b32_e32 v25, 0
	v_mov_b32_e32 v38, 0
	;; [unrolled: 1-line block ×4, first 2 shown]
	s_waitcnt vmcnt(0) lgkmcnt(0)
	v_cmp_ne_u16_sdwa s5, v28, v16 src0_sel:BYTE_0 src1_sel:DWORD
	s_and_saveexec_b32 s13, s5
	s_cbranch_execz .LBB255_947
; %bb.940:                              ;   in Loop: Header=BB255_11 Depth=1
	v_mov_b32_e32 v4, 0x80
	v_bfrev_b32_e32 v38, 1
	v_mov_b32_e32 v39, 0
	v_cmp_ne_u16_sdwa s5, v28, v4 src0_sel:BYTE_0 src1_sel:DWORD
	s_and_saveexec_b32 s17, s5
	s_cbranch_execz .LBB255_946
; %bb.941:                              ;   in Loop: Header=BB255_11 Depth=1
	v_mov_b32_e32 v38, 0x7f800001
	v_and_b32_e32 v5, 0x7f, v28
	v_mov_b32_e32 v39, 0
	s_mov_b32 s21, exec_lo
	v_cmpx_ne_u32_e32 0x7f, v5
	s_cbranch_execz .LBB255_945
; %bb.942:                              ;   in Loop: Header=BB255_11 Depth=1
	v_and_b32_e32 v15, 7, v28
	v_lshrrev_b32_e32 v4, 3, v5
	s_mov_b32 s22, exec_lo
	v_cmpx_gt_u32_e32 8, v5
; %bb.943:                              ;   in Loop: Header=BB255_11 Depth=1
	v_ffbh_u32_e32 v4, v15
	v_min_u32_e32 v4, 32, v4
	v_subrev_nc_u32_e32 v5, 28, v4
	v_sub_nc_u32_e32 v4, 29, v4
	v_lshlrev_b64 v[29:30], v5, v[15:16]
	v_and_b32_e32 v15, 7, v29
; %bb.944:                              ;   in Loop: Header=BB255_11 Depth=1
	s_or_b32 exec_lo, exec_lo, s22
	v_lshlrev_b32_e32 v5, 24, v28
	v_lshlrev_b32_e32 v15, 20, v15
	v_lshl_add_u32 v4, v4, 23, 0x3c000000
	v_and_b32_e32 v5, 0x80000000, v5
	v_or3_b32 v15, v15, v5, v4
	v_mov_b32_e32 v39, v16
	v_mov_b32_e32 v38, v15
.LBB255_945:                            ;   in Loop: Header=BB255_11 Depth=1
	s_or_b32 exec_lo, exec_lo, s21
.LBB255_946:                            ;   in Loop: Header=BB255_11 Depth=1
	s_or_b32 exec_lo, exec_lo, s17
.LBB255_947:                            ;   in Loop: Header=BB255_11 Depth=1
	s_or_b32 exec_lo, exec_lo, s13
	v_cmp_ne_u16_sdwa s5, v28, v16 src0_sel:BYTE_1 src1_sel:DWORD
	s_and_saveexec_b32 s13, s5
	s_cbranch_execz .LBB255_955
; %bb.948:                              ;   in Loop: Header=BB255_11 Depth=1
	v_mov_b32_e32 v50, v16
	v_mov_b32_e32 v4, 0x80
	v_mov_b32_e32 v25, v50
	v_cmp_ne_u16_sdwa s5, v28, v4 src0_sel:BYTE_1 src1_sel:DWORD
	v_mov_b32_e32 v26, v51
	s_and_saveexec_b32 s17, s5
	s_cbranch_execz .LBB255_954
; %bb.949:                              ;   in Loop: Header=BB255_11 Depth=1
	v_mov_b32_e32 v4, 0xffff
	v_mov_b32_e32 v70, v16
	s_mov_b32 s21, exec_lo
	v_and_b32_sdwa v4, v4, v28 dst_sel:DWORD dst_unused:UNUSED_PAD src0_sel:DWORD src1_sel:BYTE_1
	v_mov_b32_e32 v25, v70
	v_mov_b32_e32 v26, v71
	v_and_b32_e32 v5, 0x7f, v4
	v_cmpx_ne_u32_e32 0x7f, v5
	s_cbranch_execz .LBB255_953
; %bb.950:                              ;   in Loop: Header=BB255_11 Depth=1
	v_and_b32_e32 v15, 7, v4
	v_lshrrev_b32_e32 v4, 3, v5
	s_mov_b32 s22, exec_lo
	v_cmpx_gt_u32_e32 8, v5
; %bb.951:                              ;   in Loop: Header=BB255_11 Depth=1
	v_ffbh_u32_e32 v4, v15
	v_min_u32_e32 v4, 32, v4
	v_subrev_nc_u32_e32 v5, 28, v4
	v_sub_nc_u32_e32 v4, 29, v4
	v_lshlrev_b64 v[25:26], v5, v[15:16]
	v_and_b32_e32 v15, 7, v25
; %bb.952:                              ;   in Loop: Header=BB255_11 Depth=1
	s_or_b32 exec_lo, exec_lo, s22
	v_lshlrev_b32_e32 v5, 16, v28
	v_lshlrev_b32_e32 v15, 20, v15
	v_lshl_add_u32 v4, v4, 23, 0x3c000000
	v_mov_b32_e32 v25, v16
	v_and_b32_e32 v5, 0x80000000, v5
	v_or3_b32 v26, v15, v5, v4
.LBB255_953:                            ;   in Loop: Header=BB255_11 Depth=1
	s_or_b32 exec_lo, exec_lo, s21
.LBB255_954:                            ;   in Loop: Header=BB255_11 Depth=1
	s_or_b32 exec_lo, exec_lo, s17
.LBB255_955:                            ;   in Loop: Header=BB255_11 Depth=1
	s_or_b32 exec_lo, exec_lo, s13
	v_mov_b32_e32 v4, 0xff
	v_mov_b32_e32 v64, 0
	;; [unrolled: 1-line block ×3, first 2 shown]
	s_mov_b32 s13, exec_lo
	v_and_b32_sdwa v15, v28, v4 dst_sel:DWORD dst_unused:UNUSED_PAD src0_sel:WORD_1 src1_sel:DWORD
	v_mov_b32_e32 v4, 0
	v_mov_b32_e32 v5, 0
	v_cmpx_ne_u16_e32 0, v15
	s_cbranch_execz .LBB255_963
; %bb.956:                              ;   in Loop: Header=BB255_11 Depth=1
	v_bfrev_b32_e32 v64, 1
	v_mov_b32_e32 v65, 0
	s_mov_b32 s17, exec_lo
	v_cmpx_ne_u16_e32 0x80, v15
	s_cbranch_execz .LBB255_962
; %bb.957:                              ;   in Loop: Header=BB255_11 Depth=1
	v_mov_b32_e32 v64, 0x7f800001
	v_bfe_u32 v30, v28, 16, 7
	v_mov_b32_e32 v65, 0
	s_mov_b32 s21, exec_lo
	v_cmpx_ne_u32_e32 0x7f, v30
	s_cbranch_execz .LBB255_961
; %bb.958:                              ;   in Loop: Header=BB255_11 Depth=1
	v_mov_b32_e32 v15, 7
	v_lshrrev_b32_e32 v29, 3, v30
	s_mov_b32 s22, exec_lo
	v_and_b32_sdwa v15, v28, v15 dst_sel:DWORD dst_unused:UNUSED_PAD src0_sel:WORD_1 src1_sel:DWORD
	v_cmpx_gt_u32_e32 8, v30
; %bb.959:                              ;   in Loop: Header=BB255_11 Depth=1
	v_ffbh_u32_e32 v29, v15
	v_min_u32_e32 v29, 32, v29
	v_subrev_nc_u32_e32 v30, 28, v29
	v_sub_nc_u32_e32 v29, 29, v29
	v_lshlrev_b64 v[30:31], v30, v[15:16]
	v_and_b32_e32 v15, 7, v30
; %bb.960:                              ;   in Loop: Header=BB255_11 Depth=1
	s_or_b32 exec_lo, exec_lo, s22
	v_mov_b32_e32 v30, 24
	v_lshlrev_b32_e32 v15, 20, v15
	v_lshl_add_u32 v29, v29, 23, 0x3c000000
	v_lshlrev_b32_sdwa v30, v30, v28 dst_sel:DWORD dst_unused:UNUSED_PAD src0_sel:DWORD src1_sel:WORD_1
	v_and_b32_e32 v30, 0x80000000, v30
	v_or3_b32 v15, v15, v30, v29
	v_mov_b32_e32 v65, v16
	v_mov_b32_e32 v64, v15
.LBB255_961:                            ;   in Loop: Header=BB255_11 Depth=1
	s_or_b32 exec_lo, exec_lo, s21
.LBB255_962:                            ;   in Loop: Header=BB255_11 Depth=1
	s_or_b32 exec_lo, exec_lo, s17
.LBB255_963:                            ;   in Loop: Header=BB255_11 Depth=1
	s_or_b32 exec_lo, exec_lo, s13
	s_mov_b32 s13, exec_lo
	v_cmpx_lt_u32_e32 0xffffff, v28
	s_cbranch_execz .LBB255_971
; %bb.964:                              ;   in Loop: Header=BB255_11 Depth=1
	v_mov_b32_e32 v50, v16
	v_mov_b32_e32 v4, 0x80
	v_cmp_ne_u32_sdwa s5, v28, v4 src0_sel:BYTE_3 src1_sel:DWORD
	v_mov_b32_e32 v4, v50
	v_mov_b32_e32 v5, v51
	s_and_saveexec_b32 s17, s5
	s_cbranch_execz .LBB255_970
; %bb.965:                              ;   in Loop: Header=BB255_11 Depth=1
	v_mov_b32_e32 v70, v16
	v_bfe_u32 v29, v28, 24, 7
	s_mov_b32 s21, exec_lo
	v_mov_b32_e32 v4, v70
	v_mov_b32_e32 v5, v71
	v_cmpx_ne_u32_e32 0x7f, v29
	s_cbranch_execz .LBB255_969
; %bb.966:                              ;   in Loop: Header=BB255_11 Depth=1
	v_mov_b32_e32 v4, 7
	s_mov_b32 s22, exec_lo
	v_and_b32_sdwa v15, v28, v4 dst_sel:DWORD dst_unused:UNUSED_PAD src0_sel:BYTE_3 src1_sel:DWORD
	v_lshrrev_b32_e32 v4, 3, v29
	v_cmpx_gt_u32_e32 8, v29
; %bb.967:                              ;   in Loop: Header=BB255_11 Depth=1
	v_ffbh_u32_e32 v4, v15
	v_min_u32_e32 v4, 32, v4
	v_subrev_nc_u32_e32 v5, 28, v4
	v_sub_nc_u32_e32 v4, 29, v4
	v_lshlrev_b64 v[29:30], v5, v[15:16]
	v_and_b32_e32 v15, 7, v29
; %bb.968:                              ;   in Loop: Header=BB255_11 Depth=1
	s_or_b32 exec_lo, exec_lo, s22
	v_mov_b32_e32 v5, 24
	v_lshlrev_b32_e32 v15, 20, v15
	v_lshl_add_u32 v4, v4, 23, 0x3c000000
	v_lshlrev_b32_sdwa v5, v5, v28 dst_sel:DWORD dst_unused:UNUSED_PAD src0_sel:DWORD src1_sel:BYTE_3
	v_and_b32_e32 v5, 0x80000000, v5
	v_or3_b32 v5, v15, v5, v4
	v_mov_b32_e32 v4, v16
.LBB255_969:                            ;   in Loop: Header=BB255_11 Depth=1
	s_or_b32 exec_lo, exec_lo, s21
.LBB255_970:                            ;   in Loop: Header=BB255_11 Depth=1
	s_or_b32 exec_lo, exec_lo, s17
.LBB255_971:                            ;   in Loop: Header=BB255_11 Depth=1
	s_or_b32 exec_lo, exec_lo, s13
	flat_load_dword v30, v[96:97] offset:1544
	v_mov_b32_e32 v48, 0
	v_mov_b32_e32 v54, 0
	;; [unrolled: 1-line block ×4, first 2 shown]
	s_waitcnt vmcnt(0) lgkmcnt(0)
	v_cmp_ne_u16_sdwa s5, v30, v16 src0_sel:BYTE_0 src1_sel:DWORD
	s_and_saveexec_b32 s13, s5
	s_cbranch_execz .LBB255_979
; %bb.972:                              ;   in Loop: Header=BB255_11 Depth=1
	v_mov_b32_e32 v15, 0x80
	v_bfrev_b32_e32 v54, 1
	v_mov_b32_e32 v55, 0
	v_cmp_ne_u16_sdwa s5, v30, v15 src0_sel:BYTE_0 src1_sel:DWORD
	s_and_saveexec_b32 s17, s5
	s_cbranch_execz .LBB255_978
; %bb.973:                              ;   in Loop: Header=BB255_11 Depth=1
	v_mov_b32_e32 v54, 0x7f800001
	v_and_b32_e32 v29, 0x7f, v30
	v_mov_b32_e32 v55, 0
	s_mov_b32 s21, exec_lo
	v_cmpx_ne_u32_e32 0x7f, v29
	s_cbranch_execz .LBB255_977
; %bb.974:                              ;   in Loop: Header=BB255_11 Depth=1
	v_and_b32_e32 v15, 7, v30
	v_lshrrev_b32_e32 v28, 3, v29
	s_mov_b32 s22, exec_lo
	v_cmpx_gt_u32_e32 8, v29
; %bb.975:                              ;   in Loop: Header=BB255_11 Depth=1
	v_ffbh_u32_e32 v28, v15
	v_min_u32_e32 v28, 32, v28
	v_subrev_nc_u32_e32 v29, 28, v28
	v_sub_nc_u32_e32 v28, 29, v28
	v_lshlrev_b64 v[34:35], v29, v[15:16]
	v_and_b32_e32 v15, 7, v34
; %bb.976:                              ;   in Loop: Header=BB255_11 Depth=1
	s_or_b32 exec_lo, exec_lo, s22
	v_lshlrev_b32_e32 v29, 24, v30
	v_lshlrev_b32_e32 v15, 20, v15
	v_lshl_add_u32 v28, v28, 23, 0x3c000000
	v_and_b32_e32 v29, 0x80000000, v29
	v_or3_b32 v15, v15, v29, v28
	v_mov_b32_e32 v55, v16
	v_mov_b32_e32 v54, v15
.LBB255_977:                            ;   in Loop: Header=BB255_11 Depth=1
	s_or_b32 exec_lo, exec_lo, s21
.LBB255_978:                            ;   in Loop: Header=BB255_11 Depth=1
	s_or_b32 exec_lo, exec_lo, s17
.LBB255_979:                            ;   in Loop: Header=BB255_11 Depth=1
	s_or_b32 exec_lo, exec_lo, s13
	v_cmp_ne_u16_sdwa s5, v30, v16 src0_sel:BYTE_1 src1_sel:DWORD
	s_and_saveexec_b32 s13, s5
	s_cbranch_execz .LBB255_987
; %bb.980:                              ;   in Loop: Header=BB255_11 Depth=1
	v_mov_b32_e32 v50, v16
	v_mov_b32_e32 v15, 0x80
	;; [unrolled: 1-line block ×3, first 2 shown]
	v_cmp_ne_u16_sdwa s5, v30, v15 src0_sel:BYTE_1 src1_sel:DWORD
	v_mov_b32_e32 v49, v51
	s_and_saveexec_b32 s17, s5
	s_cbranch_execz .LBB255_986
; %bb.981:                              ;   in Loop: Header=BB255_11 Depth=1
	v_mov_b32_e32 v15, 0xffff
	v_mov_b32_e32 v70, v16
	s_mov_b32 s21, exec_lo
	v_and_b32_sdwa v15, v15, v30 dst_sel:DWORD dst_unused:UNUSED_PAD src0_sel:DWORD src1_sel:BYTE_1
	v_mov_b32_e32 v48, v70
	v_mov_b32_e32 v49, v71
	v_and_b32_e32 v29, 0x7f, v15
	v_cmpx_ne_u32_e32 0x7f, v29
	s_cbranch_execz .LBB255_985
; %bb.982:                              ;   in Loop: Header=BB255_11 Depth=1
	v_and_b32_e32 v15, 7, v15
	v_lshrrev_b32_e32 v28, 3, v29
	s_mov_b32 s22, exec_lo
	v_cmpx_gt_u32_e32 8, v29
; %bb.983:                              ;   in Loop: Header=BB255_11 Depth=1
	v_ffbh_u32_e32 v28, v15
	v_min_u32_e32 v28, 32, v28
	v_subrev_nc_u32_e32 v29, 28, v28
	v_sub_nc_u32_e32 v28, 29, v28
	v_lshlrev_b64 v[34:35], v29, v[15:16]
	v_and_b32_e32 v15, 7, v34
; %bb.984:                              ;   in Loop: Header=BB255_11 Depth=1
	s_or_b32 exec_lo, exec_lo, s22
	v_lshlrev_b32_e32 v29, 16, v30
	v_lshlrev_b32_e32 v15, 20, v15
	v_lshl_add_u32 v28, v28, 23, 0x3c000000
	v_mov_b32_e32 v48, v16
	v_and_b32_e32 v29, 0x80000000, v29
	v_or3_b32 v49, v15, v29, v28
.LBB255_985:                            ;   in Loop: Header=BB255_11 Depth=1
	s_or_b32 exec_lo, exec_lo, s21
.LBB255_986:                            ;   in Loop: Header=BB255_11 Depth=1
	s_or_b32 exec_lo, exec_lo, s17
.LBB255_987:                            ;   in Loop: Header=BB255_11 Depth=1
	s_or_b32 exec_lo, exec_lo, s13
	v_mov_b32_e32 v15, 0xff
	v_mov_b32_e32 v28, 0
	;; [unrolled: 1-line block ×5, first 2 shown]
	v_and_b32_sdwa v15, v30, v15 dst_sel:DWORD dst_unused:UNUSED_PAD src0_sel:WORD_1 src1_sel:DWORD
	s_mov_b32 s13, exec_lo
	v_cmpx_ne_u16_e32 0, v15
	s_cbranch_execz .LBB255_995
; %bb.988:                              ;   in Loop: Header=BB255_11 Depth=1
	v_bfrev_b32_e32 v80, 1
	v_mov_b32_e32 v81, 0
	s_mov_b32 s17, exec_lo
	v_cmpx_ne_u16_e32 0x80, v15
	s_cbranch_execz .LBB255_994
; %bb.989:                              ;   in Loop: Header=BB255_11 Depth=1
	v_mov_b32_e32 v80, 0x7f800001
	v_bfe_u32 v34, v30, 16, 7
	v_mov_b32_e32 v81, 0
	s_mov_b32 s21, exec_lo
	v_cmpx_ne_u32_e32 0x7f, v34
	s_cbranch_execz .LBB255_993
; %bb.990:                              ;   in Loop: Header=BB255_11 Depth=1
	v_mov_b32_e32 v15, 7
	v_lshrrev_b32_e32 v31, 3, v34
	s_mov_b32 s22, exec_lo
	v_and_b32_sdwa v15, v30, v15 dst_sel:DWORD dst_unused:UNUSED_PAD src0_sel:WORD_1 src1_sel:DWORD
	v_cmpx_gt_u32_e32 8, v34
; %bb.991:                              ;   in Loop: Header=BB255_11 Depth=1
	v_ffbh_u32_e32 v31, v15
	v_min_u32_e32 v31, 32, v31
	v_subrev_nc_u32_e32 v34, 28, v31
	v_sub_nc_u32_e32 v31, 29, v31
	v_lshlrev_b64 v[34:35], v34, v[15:16]
	v_and_b32_e32 v15, 7, v34
; %bb.992:                              ;   in Loop: Header=BB255_11 Depth=1
	s_or_b32 exec_lo, exec_lo, s22
	v_mov_b32_e32 v34, 24
	v_lshlrev_b32_e32 v15, 20, v15
	v_lshl_add_u32 v31, v31, 23, 0x3c000000
	v_lshlrev_b32_sdwa v34, v34, v30 dst_sel:DWORD dst_unused:UNUSED_PAD src0_sel:DWORD src1_sel:WORD_1
	v_and_b32_e32 v34, 0x80000000, v34
	v_or3_b32 v15, v15, v34, v31
	v_mov_b32_e32 v81, v16
	v_mov_b32_e32 v80, v15
.LBB255_993:                            ;   in Loop: Header=BB255_11 Depth=1
	s_or_b32 exec_lo, exec_lo, s21
.LBB255_994:                            ;   in Loop: Header=BB255_11 Depth=1
	s_or_b32 exec_lo, exec_lo, s17
.LBB255_995:                            ;   in Loop: Header=BB255_11 Depth=1
	s_or_b32 exec_lo, exec_lo, s13
	s_mov_b32 s13, exec_lo
	v_cmpx_lt_u32_e32 0xffffff, v30
	s_cbranch_execz .LBB255_1003
; %bb.996:                              ;   in Loop: Header=BB255_11 Depth=1
	v_mov_b32_e32 v50, v16
	v_mov_b32_e32 v15, 0x80
	v_mov_b32_e32 v28, v50
	v_cmp_ne_u32_sdwa s5, v30, v15 src0_sel:BYTE_3 src1_sel:DWORD
	v_mov_b32_e32 v29, v51
	s_and_saveexec_b32 s17, s5
	s_cbranch_execz .LBB255_1002
; %bb.997:                              ;   in Loop: Header=BB255_11 Depth=1
	v_mov_b32_e32 v70, v16
	v_bfe_u32 v31, v30, 24, 7
	s_mov_b32 s21, exec_lo
	v_mov_b32_e32 v28, v70
	v_mov_b32_e32 v29, v71
	v_cmpx_ne_u32_e32 0x7f, v31
	s_cbranch_execz .LBB255_1001
; %bb.998:                              ;   in Loop: Header=BB255_11 Depth=1
	v_mov_b32_e32 v15, 7
	v_lshrrev_b32_e32 v28, 3, v31
	s_mov_b32 s22, exec_lo
	v_and_b32_sdwa v15, v30, v15 dst_sel:DWORD dst_unused:UNUSED_PAD src0_sel:BYTE_3 src1_sel:DWORD
	v_cmpx_gt_u32_e32 8, v31
; %bb.999:                              ;   in Loop: Header=BB255_11 Depth=1
	v_ffbh_u32_e32 v28, v15
	v_min_u32_e32 v28, 32, v28
	v_subrev_nc_u32_e32 v29, 28, v28
	v_sub_nc_u32_e32 v28, 29, v28
	v_lshlrev_b64 v[34:35], v29, v[15:16]
	v_and_b32_e32 v15, 7, v34
; %bb.1000:                             ;   in Loop: Header=BB255_11 Depth=1
	s_or_b32 exec_lo, exec_lo, s22
	v_mov_b32_e32 v29, 24
	v_lshlrev_b32_e32 v15, 20, v15
	v_lshl_add_u32 v28, v28, 23, 0x3c000000
	v_lshlrev_b32_sdwa v29, v29, v30 dst_sel:DWORD dst_unused:UNUSED_PAD src0_sel:DWORD src1_sel:BYTE_3
	v_and_b32_e32 v29, 0x80000000, v29
	v_or3_b32 v29, v15, v29, v28
	v_mov_b32_e32 v28, v16
.LBB255_1001:                           ;   in Loop: Header=BB255_11 Depth=1
	s_or_b32 exec_lo, exec_lo, s21
.LBB255_1002:                           ;   in Loop: Header=BB255_11 Depth=1
	s_or_b32 exec_lo, exec_lo, s17
.LBB255_1003:                           ;   in Loop: Header=BB255_11 Depth=1
	s_or_b32 exec_lo, exec_lo, s13
	flat_load_dword v52, v[96:97] offset:1548
	v_mov_b32_e32 v30, 0
	v_mov_b32_e32 v114, 0
	;; [unrolled: 1-line block ×4, first 2 shown]
	s_waitcnt vmcnt(0) lgkmcnt(0)
	v_cmp_ne_u16_sdwa s5, v52, v16 src0_sel:BYTE_0 src1_sel:DWORD
	s_and_saveexec_b32 s13, s5
	s_cbranch_execz .LBB255_1011
; %bb.1004:                             ;   in Loop: Header=BB255_11 Depth=1
	v_mov_b32_e32 v15, 0x80
	v_bfrev_b32_e32 v114, 1
	v_mov_b32_e32 v115, 0
	v_cmp_ne_u16_sdwa s5, v52, v15 src0_sel:BYTE_0 src1_sel:DWORD
	s_and_saveexec_b32 s17, s5
	s_cbranch_execz .LBB255_1010
; %bb.1005:                             ;   in Loop: Header=BB255_11 Depth=1
	v_mov_b32_e32 v114, 0x7f800001
	v_and_b32_e32 v35, 0x7f, v52
	v_mov_b32_e32 v115, 0
	s_mov_b32 s21, exec_lo
	v_cmpx_ne_u32_e32 0x7f, v35
	s_cbranch_execz .LBB255_1009
; %bb.1006:                             ;   in Loop: Header=BB255_11 Depth=1
	v_and_b32_e32 v15, 7, v52
	v_lshrrev_b32_e32 v34, 3, v35
	s_mov_b32 s22, exec_lo
	v_cmpx_gt_u32_e32 8, v35
; %bb.1007:                             ;   in Loop: Header=BB255_11 Depth=1
	v_ffbh_u32_e32 v34, v15
	v_min_u32_e32 v34, 32, v34
	v_subrev_nc_u32_e32 v35, 28, v34
	v_sub_nc_u32_e32 v34, 29, v34
	v_lshlrev_b64 v[35:36], v35, v[15:16]
	v_and_b32_e32 v15, 7, v35
; %bb.1008:                             ;   in Loop: Header=BB255_11 Depth=1
	s_or_b32 exec_lo, exec_lo, s22
	v_lshlrev_b32_e32 v35, 24, v52
	v_lshlrev_b32_e32 v15, 20, v15
	v_lshl_add_u32 v34, v34, 23, 0x3c000000
	v_and_b32_e32 v35, 0x80000000, v35
	v_or3_b32 v15, v15, v35, v34
	v_mov_b32_e32 v115, v16
	v_mov_b32_e32 v114, v15
.LBB255_1009:                           ;   in Loop: Header=BB255_11 Depth=1
	s_or_b32 exec_lo, exec_lo, s21
.LBB255_1010:                           ;   in Loop: Header=BB255_11 Depth=1
	s_or_b32 exec_lo, exec_lo, s17
.LBB255_1011:                           ;   in Loop: Header=BB255_11 Depth=1
	s_or_b32 exec_lo, exec_lo, s13
	v_cmp_ne_u16_sdwa s5, v52, v16 src0_sel:BYTE_1 src1_sel:DWORD
	s_and_saveexec_b32 s13, s5
	s_cbranch_execz .LBB255_1019
; %bb.1012:                             ;   in Loop: Header=BB255_11 Depth=1
	v_mov_b32_e32 v50, v16
	v_mov_b32_e32 v15, 0x80
	;; [unrolled: 1-line block ×3, first 2 shown]
	v_cmp_ne_u16_sdwa s5, v52, v15 src0_sel:BYTE_1 src1_sel:DWORD
	v_mov_b32_e32 v31, v51
	s_and_saveexec_b32 s17, s5
	s_cbranch_execz .LBB255_1018
; %bb.1013:                             ;   in Loop: Header=BB255_11 Depth=1
	v_mov_b32_e32 v15, 0xffff
	v_mov_b32_e32 v70, v16
	s_mov_b32 s21, exec_lo
	v_and_b32_sdwa v15, v15, v52 dst_sel:DWORD dst_unused:UNUSED_PAD src0_sel:DWORD src1_sel:BYTE_1
	v_mov_b32_e32 v30, v70
	v_mov_b32_e32 v31, v71
	v_and_b32_e32 v34, 0x7f, v15
	v_cmpx_ne_u32_e32 0x7f, v34
	s_cbranch_execz .LBB255_1017
; %bb.1014:                             ;   in Loop: Header=BB255_11 Depth=1
	v_and_b32_e32 v15, 7, v15
	v_lshrrev_b32_e32 v30, 3, v34
	s_mov_b32 s22, exec_lo
	v_cmpx_gt_u32_e32 8, v34
; %bb.1015:                             ;   in Loop: Header=BB255_11 Depth=1
	v_ffbh_u32_e32 v30, v15
	v_min_u32_e32 v30, 32, v30
	v_subrev_nc_u32_e32 v31, 28, v30
	v_sub_nc_u32_e32 v30, 29, v30
	v_lshlrev_b64 v[34:35], v31, v[15:16]
	v_and_b32_e32 v15, 7, v34
; %bb.1016:                             ;   in Loop: Header=BB255_11 Depth=1
	s_or_b32 exec_lo, exec_lo, s22
	v_lshlrev_b32_e32 v31, 16, v52
	v_lshlrev_b32_e32 v15, 20, v15
	v_lshl_add_u32 v30, v30, 23, 0x3c000000
	v_and_b32_e32 v31, 0x80000000, v31
	v_or3_b32 v31, v15, v31, v30
	v_mov_b32_e32 v30, v16
.LBB255_1017:                           ;   in Loop: Header=BB255_11 Depth=1
	s_or_b32 exec_lo, exec_lo, s21
.LBB255_1018:                           ;   in Loop: Header=BB255_11 Depth=1
	s_or_b32 exec_lo, exec_lo, s17
.LBB255_1019:                           ;   in Loop: Header=BB255_11 Depth=1
	s_or_b32 exec_lo, exec_lo, s13
	v_mov_b32_e32 v15, 0xff
	v_mov_b32_e32 v36, 0
	;; [unrolled: 1-line block ×5, first 2 shown]
	v_and_b32_sdwa v15, v52, v15 dst_sel:DWORD dst_unused:UNUSED_PAD src0_sel:WORD_1 src1_sel:DWORD
	s_mov_b32 s13, exec_lo
	v_cmpx_ne_u16_e32 0, v15
	s_cbranch_execz .LBB255_1027
; %bb.1020:                             ;   in Loop: Header=BB255_11 Depth=1
	v_bfrev_b32_e32 v34, 1
	v_mov_b32_e32 v35, 0
	s_mov_b32 s17, exec_lo
	v_cmpx_ne_u16_e32 0x80, v15
	s_cbranch_execz .LBB255_1026
; %bb.1021:                             ;   in Loop: Header=BB255_11 Depth=1
	v_mov_b32_e32 v34, 0x7f800001
	v_bfe_u32 v50, v52, 16, 7
	v_mov_b32_e32 v35, 0
	s_mov_b32 s21, exec_lo
	v_cmpx_ne_u32_e32 0x7f, v50
	s_cbranch_execz .LBB255_1025
; %bb.1022:                             ;   in Loop: Header=BB255_11 Depth=1
	v_mov_b32_e32 v15, 7
	v_lshrrev_b32_e32 v34, 3, v50
	s_mov_b32 s22, exec_lo
	v_and_b32_sdwa v15, v52, v15 dst_sel:DWORD dst_unused:UNUSED_PAD src0_sel:WORD_1 src1_sel:DWORD
	v_cmpx_gt_u32_e32 8, v50
; %bb.1023:                             ;   in Loop: Header=BB255_11 Depth=1
	v_ffbh_u32_e32 v34, v15
	v_min_u32_e32 v34, 32, v34
	v_subrev_nc_u32_e32 v35, 28, v34
	v_sub_nc_u32_e32 v34, 29, v34
	v_lshlrev_b64 v[68:69], v35, v[15:16]
	v_and_b32_e32 v15, 7, v68
; %bb.1024:                             ;   in Loop: Header=BB255_11 Depth=1
	s_or_b32 exec_lo, exec_lo, s22
	v_mov_b32_e32 v35, 24
	v_lshlrev_b32_e32 v15, 20, v15
	v_lshl_add_u32 v34, v34, 23, 0x3c000000
	v_lshlrev_b32_sdwa v35, v35, v52 dst_sel:DWORD dst_unused:UNUSED_PAD src0_sel:DWORD src1_sel:WORD_1
	v_and_b32_e32 v35, 0x80000000, v35
	v_or3_b32 v15, v15, v35, v34
	v_mov_b32_e32 v35, v16
	v_mov_b32_e32 v34, v15
.LBB255_1025:                           ;   in Loop: Header=BB255_11 Depth=1
	s_or_b32 exec_lo, exec_lo, s21
.LBB255_1026:                           ;   in Loop: Header=BB255_11 Depth=1
	s_or_b32 exec_lo, exec_lo, s17
.LBB255_1027:                           ;   in Loop: Header=BB255_11 Depth=1
	s_or_b32 exec_lo, exec_lo, s13
	buffer_store_dword v27, off, s[0:3], s32 offset:792 ; 4-byte Folded Spill
	v_cmp_lt_u32_e64 s5, 0xffffff, v52
	s_mov_b32 s13, exec_lo
	v_mov_b32_e32 v70, v14
	v_mov_b32_e32 v68, v53
	;; [unrolled: 1-line block ×3, first 2 shown]
	s_and_b32 s5, s13, s5
	s_mov_b32 exec_lo, s5
	s_cbranch_execz .LBB255_10
; %bb.1028:                             ;   in Loop: Header=BB255_11 Depth=1
	v_mov_b32_e32 v50, v16
	v_mov_b32_e32 v15, 0x80
	;; [unrolled: 1-line block ×3, first 2 shown]
	v_cmp_ne_u32_sdwa s5, v52, v15 src0_sel:BYTE_3 src1_sel:DWORD
	v_mov_b32_e32 v37, v51
	s_and_saveexec_b32 s17, s5
	s_cbranch_execz .LBB255_9
; %bb.1029:                             ;   in Loop: Header=BB255_11 Depth=1
	v_mov_b32_e32 v70, v16
	v_bfe_u32 v50, v52, 24, 7
	s_mov_b32 s21, exec_lo
	v_mov_b32_e32 v36, v70
	v_mov_b32_e32 v37, v71
	v_cmpx_ne_u32_e32 0x7f, v50
	s_cbranch_execz .LBB255_8
; %bb.1030:                             ;   in Loop: Header=BB255_11 Depth=1
	v_mov_b32_e32 v15, 7
	v_lshrrev_b32_e32 v36, 3, v50
	s_mov_b32 s22, exec_lo
	v_and_b32_sdwa v15, v52, v15 dst_sel:DWORD dst_unused:UNUSED_PAD src0_sel:BYTE_3 src1_sel:DWORD
	v_cmpx_gt_u32_e32 8, v50
	s_cbranch_execz .LBB255_7
; %bb.1031:                             ;   in Loop: Header=BB255_11 Depth=1
	v_ffbh_u32_e32 v36, v15
	v_min_u32_e32 v36, 32, v36
	v_subrev_nc_u32_e32 v37, 28, v36
	v_sub_nc_u32_e32 v36, 29, v36
	v_lshlrev_b64 v[68:69], v37, v[15:16]
	v_and_b32_e32 v15, 7, v68
	s_branch .LBB255_7
.LBB255_1032:
	s_or_b32 exec_lo, exec_lo, s11
	s_clause 0x8
	buffer_load_dword v11, off, s[0:3], s32 offset:1420
	buffer_load_dword v13, off, s[0:3], s32 offset:1468
	;; [unrolled: 1-line block ×9, first 2 shown]
.LBB255_1033:
	s_or_b32 exec_lo, exec_lo, s9
	v_mbcnt_lo_u32_b32 v0, -1, 0
	v_max_f32_e32 v4, v27, v27
	s_lshr_b32 s9, s7, 16
	v_xor_b32_e32 v1, 16, v0
	v_xor_b32_e32 v3, 8, v0
	;; [unrolled: 1-line block ×3, first 2 shown]
	v_cmp_gt_i32_e32 vcc_lo, 32, v1
	v_cndmask_b32_e32 v1, v0, v1, vcc_lo
	v_cmp_gt_i32_e32 vcc_lo, 32, v3
	v_lshlrev_b32_e32 v2, 2, v1
	v_cndmask_b32_e32 v3, v0, v3, vcc_lo
	v_cmp_gt_i32_e32 vcc_lo, 32, v5
	ds_bpermute_b32 v1, v2, v27
	v_lshlrev_b32_e32 v3, 2, v3
	v_cndmask_b32_e32 v5, v0, v5, vcc_lo
	v_lshlrev_b32_e32 v85, 2, v5
	v_xor_b32_e32 v5, 2, v0
	v_cmp_gt_i32_e32 vcc_lo, 32, v5
	v_cndmask_b32_e32 v5, v0, v5, vcc_lo
	s_waitcnt lgkmcnt(0)
	v_max_f32_e32 v1, v1, v1
	v_lshlrev_b32_e32 v99, 2, v5
	v_xor_b32_e32 v5, 1, v0
	v_max_f32_e32 v1, v4, v1
	v_cmp_gt_i32_e32 vcc_lo, 32, v5
	ds_bpermute_b32 v4, v3, v1
	v_cndmask_b32_e32 v5, v0, v5, vcc_lo
	v_lshlrev_b32_e32 v100, 2, v5
	s_waitcnt lgkmcnt(0)
	v_max_f32_e32 v4, v4, v4
	v_max_f32_e32 v1, v1, v4
	ds_bpermute_b32 v4, v85, v1
	s_waitcnt lgkmcnt(0)
	v_max_f32_e32 v4, v4, v4
	v_max_f32_e32 v1, v1, v4
	ds_bpermute_b32 v4, v99, v1
	s_waitcnt lgkmcnt(0)
	v_max_f32_e32 v4, v4, v4
	v_max_f32_e32 v0, v1, v4
	buffer_load_dword v4, off, s[0:3], s32 offset:1416 ; 4-byte Folded Reload
	ds_bpermute_b32 v1, v100, v0
	s_waitcnt vmcnt(0)
	v_cmp_eq_u32_e32 vcc_lo, 0, v4
	buffer_load_dword v4, off, s[0:3], s32 offset:1424 ; 4-byte Folded Reload
	s_waitcnt vmcnt(0)
	v_lshlrev_b32_e32 v4, 2, v4
	s_and_saveexec_b32 s5, vcc_lo
	s_cbranch_execz .LBB255_1035
; %bb.1034:
	s_waitcnt lgkmcnt(0)
	v_max_f32_e32 v1, v1, v1
	v_max_f32_e32 v0, v0, v0
	;; [unrolled: 1-line block ×3, first 2 shown]
	ds_write_b32 v4, v0 offset:512
.LBB255_1035:
	s_or_b32 exec_lo, exec_lo, s5
	buffer_load_dword v0, off, s[0:3], s32 offset:1416 ; 4-byte Folded Reload
	s_waitcnt vmcnt(0) lgkmcnt(0)
	s_waitcnt_vscnt null, 0x0
	s_barrier
	buffer_gl0_inv
	v_cmp_gt_u32_e64 s5, 4, v0
	v_mov_b32_e32 v0, 0xff7fffff
	s_and_saveexec_b32 s7, s5
; %bb.1036:
	ds_read_b32 v0, v17 offset:512
; %bb.1037:
	s_or_b32 exec_lo, exec_lo, s7
	buffer_load_dword v5, off, s[0:3], s32 offset:788 ; 4-byte Folded Reload
	s_waitcnt lgkmcnt(0)
	ds_bpermute_b32 v1, v99, v0
	v_max_f32_e32 v0, v0, v0
	s_waitcnt lgkmcnt(0)
	v_max_f32_e32 v1, v1, v1
	v_max_f32_e32 v0, v0, v1
	ds_bpermute_b32 v1, v100, v0
	s_waitcnt lgkmcnt(0)
	v_max_f32_e32 v1, v1, v1
	v_max_f32_e32 v0, v0, v1
	s_waitcnt vmcnt(0)
	v_subrev_nc_u32_e32 v6, s6, v5
	v_mov_b32_e32 v5, 0
	v_lshl_add_u32 v1, v6, 5, s20
	ds_bpermute_b32 v0, v5, v0
	v_min_i32_e32 v1, v1, v82
	v_subrev_nc_u32_e32 v1, s20, v1
	v_cmp_lt_i32_e64 s6, v11, v1
	s_and_saveexec_b32 s11, s6
	s_cbranch_execz .LBB255_1041
; %bb.1038:
	s_getpc_b64 s[22:23]
	s_add_u32 s22, s22, llvm.amdgcn.dynlds.offset.table@rel32@lo+4
	s_addc_u32 s23, s23, llvm.amdgcn.dynlds.offset.table@rel32@hi+12
	s_ashr_i32 s17, s16, 31
	v_mov_b32_e32 v5, 0
	s_lshl_b64 s[24:25], s[16:17], 2
	v_mov_b32_e32 v7, v11
	s_add_u32 s22, s22, s24
	s_addc_u32 s23, s23, s25
	s_mov_b32 s13, 0
	s_load_dword s7, s[22:23], 0x0
	s_waitcnt lgkmcnt(0)
	v_lshl_add_u32 v6, v11, 2, s7
	.p2align	6
.LBB255_1039:                           ; =>This Inner Loop Header: Depth=1
	ds_read_b32 v8, v6
	v_add_nc_u32_e32 v7, 0x80, v7
	v_cmp_ge_i32_e64 s7, v7, v1
	s_or_b32 s13, s7, s13
	s_waitcnt lgkmcnt(0)
	v_sub_f32_e32 v8, v8, v0
	v_mul_f32_e32 v8, 0x3fb8aa3b, v8
	v_exp_f32_e32 v8, v8
	ds_write_b32 v6, v8
	v_add_f32_e32 v5, v5, v8
	v_add_nc_u32_e32 v6, 0x200, v6
	s_andn2_b32 exec_lo, exec_lo, s13
	s_cbranch_execnz .LBB255_1039
; %bb.1040:
	s_or_b32 exec_lo, exec_lo, s13
.LBB255_1041:
	s_or_b32 exec_lo, exec_lo, s11
	ds_bpermute_b32 v2, v2, v5
	s_waitcnt lgkmcnt(0)
	v_add_f32_e32 v2, v5, v2
	ds_bpermute_b32 v3, v3, v2
	s_waitcnt lgkmcnt(0)
	v_add_f32_e32 v2, v2, v3
	;; [unrolled: 3-line block ×5, first 2 shown]
	s_and_saveexec_b32 s7, vcc_lo
; %bb.1042:
	ds_write_b32 v4, v2 offset:528
; %bb.1043:
	s_or_b32 exec_lo, exec_lo, s7
	s_waitcnt lgkmcnt(0)
	s_barrier
	buffer_gl0_inv
	s_and_saveexec_b32 s7, s5
; %bb.1044:
	ds_read_b32 v2, v17 offset:528
; %bb.1045:
	s_or_b32 exec_lo, exec_lo, s7
	s_waitcnt lgkmcnt(0)
	ds_bpermute_b32 v3, v99, v2
	s_waitcnt lgkmcnt(0)
	v_add_f32_e32 v2, v2, v3
	ds_bpermute_b32 v3, v100, v2
	s_waitcnt lgkmcnt(0)
	v_add_f32_e32 v2, v2, v3
	v_mov_b32_e32 v3, 0
	ds_bpermute_b32 v2, v3, v2
	s_and_saveexec_b32 s5, s6
	s_cbranch_execz .LBB255_1048
; %bb.1046:
	s_waitcnt lgkmcnt(0)
	v_add_f32_e32 v4, 0x358637bd, v2
	s_getpc_b64 s[6:7]
	s_add_u32 s6, s6, llvm.amdgcn.dynlds.offset.table@rel32@lo+4
	s_addc_u32 s7, s7, llvm.amdgcn.dynlds.offset.table@rel32@hi+12
	s_ashr_i32 s17, s16, 31
	s_lshl_b64 s[22:23], s[16:17], 2
	v_div_scale_f32 v3, null, v4, v4, 1.0
	v_div_scale_f32 v7, vcc_lo, 1.0, v4, 1.0
	s_add_u32 s6, s6, s22
	v_rcp_f32_e32 v5, v3
	s_addc_u32 s7, s7, s23
	s_load_dword s6, s[6:7], 0x0
	v_fma_f32 v6, -v3, v5, 1.0
	v_fmac_f32_e32 v5, v6, v5
	v_mul_f32_e32 v6, v7, v5
	v_fma_f32 v8, -v3, v6, v7
	v_fmac_f32_e32 v6, v8, v5
	v_fma_f32 v3, -v3, v6, v7
	v_div_fmas_f32 v5, v3, v5, v6
	s_waitcnt lgkmcnt(0)
	v_lshl_add_u32 v3, v11, 2, s6
	s_mov_b32 s6, 0
	v_div_fixup_f32 v4, v5, v4, 1.0
	v_mov_b32_e32 v5, v11
.LBB255_1047:                           ; =>This Inner Loop Header: Depth=1
	ds_read_b32 v6, v3
	v_add_nc_u32_e32 v5, 0x80, v5
	v_cmp_ge_i32_e32 vcc_lo, v5, v1
	s_or_b32 s6, vcc_lo, s6
	s_waitcnt lgkmcnt(0)
	v_mul_f32_e32 v6, v4, v6
	ds_write_b32 v3, v6
	v_add_nc_u32_e32 v3, 0x200, v3
	s_andn2_b32 exec_lo, exec_lo, s6
	s_cbranch_execnz .LBB255_1047
.LBB255_1048:
	s_or_b32 exec_lo, exec_lo, s5
	s_and_b32 s5, 0xffff, s9
	s_waitcnt lgkmcnt(0)
	s_cmp_lg_u32 s5, 0
	s_barrier
	s_cselect_b32 s5, -1, 0
	buffer_gl0_inv
	s_cmp_lg_u32 s5, 0
	s_addc_u32 s5, s8, 0
	s_mov_b32 s8, exec_lo
	s_mul_i32 s6, s5, s18
	s_mul_i32 s6, s6, s15
	v_cmpx_eq_u32_e32 0, v11
	s_cbranch_execz .LBB255_1050
; %bb.1049:
	s_ashr_i32 s7, s6, 31
	s_mul_i32 s12, s5, s12
	s_lshl_b64 s[22:23], s[6:7], 2
	s_ashr_i32 s13, s12, 31
	v_add_co_u32 v1, vcc_lo, v22, s22
	v_add_co_ci_u32_e64 v3, null, s23, v15, vcc_lo
	s_lshl_b64 s[12:13], s[12:13], 2
	s_ashr_i32 s15, s14, 31
	v_add_co_u32 v1, vcc_lo, v1, s12
	v_add_co_ci_u32_e64 v4, null, s13, v3, vcc_lo
	v_add_co_u32 v3, vcc_lo, v14, s22
	v_add_co_ci_u32_e64 v5, null, s23, v13, vcc_lo
	s_lshl_b64 s[22:23], s[14:15], 2
	v_add_co_u32 v6, vcc_lo, v3, s12
	v_add_co_ci_u32_e64 v7, null, s13, v5, vcc_lo
	v_add_co_u32 v3, vcc_lo, v1, s22
	v_add_co_ci_u32_e64 v4, null, s23, v4, vcc_lo
	;; [unrolled: 2-line block ×3, first 2 shown]
	flat_store_dword v[3:4], v0
	flat_store_dword v[5:6], v2
.LBB255_1050:
	s_or_b32 exec_lo, exec_lo, s8
	s_and_saveexec_b32 s7, s4
	s_xor_b32 s4, exec_lo, s7
	s_cbranch_execz .LBB255_1052
; %bb.1051:
                                        ; implicit-def: $vgpr0
                                        ; kill: killed $vgpr0
	s_ashr_i32 s17, s16, 31
                                        ; implicit-def: $vgpr0
                                        ; implicit-def: $vgpr82
                                        ; implicit-def: $vgpr10
                                        ; implicit-def: $vgpr12
                                        ; implicit-def: $vgpr16
	buffer_store_dword v0, off, s[0:3], s32 offset:192 ; 4-byte Folded Spill
	buffer_store_dword v1, off, s[0:3], s32 offset:196 ; 4-byte Folded Spill
                                        ; implicit-def: $vgpr0
                                        ; kill: killed $vgpr0
                                        ; implicit-def: $vgpr0
                                        ; kill: killed $vgpr0
                                        ; implicit-def: $vgpr0
                                        ; kill: killed $vgpr0
                                        ; implicit-def: $vgpr0
                                        ; kill: killed $vgpr0
                                        ; implicit-def: $vgpr0
                                        ; kill: killed $vgpr0
                                        ; implicit-def: $vgpr0_vgpr1
                                        ; kill: killed $vgpr0_vgpr1
                                        ; implicit-def: $vgpr0_vgpr1
                                        ; kill: killed $vgpr0_vgpr1
.LBB255_1052:
	s_or_saveexec_b32 s7, s4
	v_mov_b32_e32 v0, s16
	v_mov_b32_e32 v86, 0
	;; [unrolled: 1-line block ×3, first 2 shown]
	v_and_b32_e32 v101, 7, v11
	v_mov_b32_e32 v84, 0
	v_mov_b32_e32 v117, 0
	;; [unrolled: 1-line block ×31, first 2 shown]
	s_xor_b32 exec_lo, exec_lo, s7
	s_cbranch_execz .LBB255_2144
; %bb.1053:
	buffer_store_dword v85, off, s[0:3], s32 offset:728 ; 4-byte Folded Spill
	buffer_store_dword v99, off, s[0:3], s32 offset:720 ; 4-byte Folded Spill
	;; [unrolled: 1-line block ×3, first 2 shown]
	s_clause 0x1
	buffer_load_dword v0, off, s[0:3], s32 offset:1444
	buffer_load_dword v1, off, s[0:3], s32 offset:1448
	s_ashr_i32 s17, s16, 31
	s_getpc_b64 s[8:9]
	s_add_u32 s8, s8, llvm.amdgcn.dynlds.offset.table@rel32@lo+4
	s_addc_u32 s9, s9, llvm.amdgcn.dynlds.offset.table@rel32@hi+12
	s_lshl_b64 s[12:13], s[16:17], 2
	v_add_nc_u32_e32 v115, -1, v10
	s_add_u32 s8, s8, s12
	s_addc_u32 s9, s9, s13
	v_mov_b32_e32 v9, 0
	v_mov_b32_e32 v97, 0x80
	v_bfrev_b32_e32 v11, 1
	v_mov_b32_e32 v13, 0x7f800001
	v_mov_b32_e32 v99, 0xff
	;; [unrolled: 1-line block ×34, first 2 shown]
	s_waitcnt vmcnt(0)
	flat_load_dword v87, v[0:1]
	buffer_load_dword v0, off, s[0:3], s32 offset:1420 ; 4-byte Folded Reload
	s_waitcnt vmcnt(1) lgkmcnt(0)
	v_mov_b32_e32 v114, v87
	s_waitcnt vmcnt(0)
	v_lshlrev_b32_e32 v2, 2, v0
	buffer_load_dword v0, off, s[0:3], s32 offset:1456 ; 4-byte Folded Reload
	v_and_b32_e32 v5, 28, v2
	v_and_b32_e32 v7, 0x7c, v2
	v_or_b32_e32 v2, 0xf80, v2
	s_waitcnt vmcnt(0)
	v_add_co_u32 v3, vcc_lo, v0, v12
	buffer_load_dword v0, off, s[0:3], s32 offset:1452 ; 4-byte Folded Reload
	s_waitcnt vmcnt(0)
	v_add_co_ci_u32_e64 v4, null, v0, v16, vcc_lo
	buffer_store_dword v3, off, s[0:3], s32 offset:688 ; 4-byte Folded Spill
	buffer_store_dword v4, off, s[0:3], s32 offset:692 ; 4-byte Folded Spill
	s_clause 0x2
	buffer_load_dword v0, off, s[0:3], s32 offset:192
	buffer_load_dword v1, off, s[0:3], s32 offset:196
	;; [unrolled: 1-line block ×3, first 2 shown]
	v_lshlrev_b32_e32 v4, 4, v101
	buffer_store_dword v101, off, s[0:3], s32 offset:736 ; 4-byte Folded Spill
	buffer_store_dword v7, off, s[0:3], s32 offset:696 ; 4-byte Folded Spill
	;; [unrolled: 1-line block ×3, first 2 shown]
	s_load_dword s4, s[8:9], 0x0
	s_mov_b32 s8, 0
	s_waitcnt vmcnt(1)
	v_lshlrev_b64 v[0:1], 2, v[0:1]
	s_waitcnt vmcnt(0)
	v_lshl_add_u32 v3, v6, 5, s20
	v_lshl_or_b32 v2, v6, 7, v4
	s_clause 0x1
	buffer_load_dword v6, off, s[0:3], s32 offset:1460
	buffer_load_dword v7, off, s[0:3], s32 offset:1464
	v_add3_u32 v112, v3, v5, 3
	buffer_load_dword v3, off, s[0:3], s32 offset:1432 ; 4-byte Folded Reload
	s_waitcnt lgkmcnt(0)
	v_add_nc_u32_e32 v113, s4, v2
	s_waitcnt vmcnt(2)
	v_add_co_u32 v0, vcc_lo, v6, v0
	s_waitcnt vmcnt(1)
	v_add_co_ci_u32_e64 v1, null, v7, v1, vcc_lo
	s_waitcnt vmcnt(0)
	v_add_co_u32 v14, vcc_lo, v3, v0
	buffer_load_dword v0, off, s[0:3], s32 offset:1428 ; 4-byte Folded Reload
	s_waitcnt vmcnt(0)
	v_add_co_ci_u32_e64 v15, null, v0, v1, vcc_lo
	s_branch .LBB255_1055
.LBB255_1054:                           ;   in Loop: Header=BB255_1055 Depth=1
	s_or_b32 exec_lo, exec_lo, s4
	v_mul_f32_e32 v7, v1, v7
	v_mul_f32_e32 v12, v1, v26
	v_add_co_u32 v14, vcc_lo, v14, 16
	v_add_co_ci_u32_e64 v15, null, 0, v15, vcc_lo
	v_fmac_f32_e32 v7, v0, v103
	v_fmac_f32_e32 v12, v0, v29
	v_add_nc_u32_e32 v112, 0x80, v112
	v_add_nc_u32_e32 v113, 0x200, v113
	v_fmac_f32_e32 v7, v2, v25
	v_fmac_f32_e32 v12, v2, v23
	;; [unrolled: 1-line block ×4, first 2 shown]
	v_add_f32_e32 v33, v33, v7
	v_mul_f32_e32 v7, v1, v102
	v_add_f32_e32 v32, v32, v12
	v_fmac_f32_e32 v7, v0, v6
	v_mul_f32_e32 v6, v1, v96
	v_fmac_f32_e32 v7, v2, v127
	v_fmac_f32_e32 v6, v0, v30
	;; [unrolled: 1-line block ×4, first 2 shown]
	v_add_f32_e32 v34, v34, v7
	buffer_load_dword v7, off, s[0:3], s32 offset:680 ; 4-byte Folded Reload
	v_fmac_f32_e32 v6, v3, v124
	v_add_f32_e32 v35, v35, v6
	v_mul_f32_e32 v6, v1, v123
	v_fmac_f32_e32 v6, v0, v122
	v_fmac_f32_e32 v6, v2, v121
	v_fmac_f32_e32 v6, v3, v120
	v_add_f32_e32 v36, v36, v6
	v_mul_f32_e32 v6, v1, v111
	v_fmac_f32_e32 v6, v0, v110
	v_fmac_f32_e32 v6, v2, v109
	;; [unrolled: 5-line block ×11, first 2 shown]
	v_fmac_f32_e32 v6, v3, v40
	v_add_f32_e32 v54, v54, v6
	v_mul_f32_e32 v6, v1, v118
	v_fmac_f32_e32 v6, v0, v119
	s_waitcnt vmcnt(0)
	v_fmac_f32_e32 v6, v2, v7
	buffer_load_dword v7, off, s[0:3], s32 offset:664 ; 4-byte Folded Reload
	v_fmac_f32_e32 v6, v3, v98
	v_add_f32_e32 v55, v55, v6
	buffer_load_dword v6, off, s[0:3], s32 offset:672 ; 4-byte Folded Reload
	s_waitcnt vmcnt(0)
	v_mul_f32_e32 v6, v1, v6
	v_fmac_f32_e32 v6, v0, v7
	buffer_load_dword v7, off, s[0:3], s32 offset:656 ; 4-byte Folded Reload
	s_waitcnt vmcnt(0)
	v_fmac_f32_e32 v6, v2, v7
	buffer_load_dword v7, off, s[0:3], s32 offset:648 ; 4-byte Folded Reload
	s_waitcnt vmcnt(0)
	v_fmac_f32_e32 v6, v3, v7
	buffer_load_dword v7, off, s[0:3], s32 offset:632 ; 4-byte Folded Reload
	v_add_f32_e32 v64, v64, v6
	buffer_load_dword v6, off, s[0:3], s32 offset:640 ; 4-byte Folded Reload
	s_waitcnt vmcnt(0)
	v_mul_f32_e32 v6, v1, v6
	v_fmac_f32_e32 v6, v0, v7
	buffer_load_dword v7, off, s[0:3], s32 offset:624 ; 4-byte Folded Reload
	s_waitcnt vmcnt(0)
	v_fmac_f32_e32 v6, v2, v7
	buffer_load_dword v7, off, s[0:3], s32 offset:616 ; 4-byte Folded Reload
	s_waitcnt vmcnt(0)
	v_fmac_f32_e32 v6, v3, v7
	buffer_load_dword v7, off, s[0:3], s32 offset:608 ; 4-byte Folded Reload
	;; [unrolled: 12-line block ×14, first 2 shown]
	v_add_f32_e32 v84, v84, v6
	buffer_load_dword v6, off, s[0:3], s32 offset:216 ; 4-byte Folded Reload
	s_waitcnt vmcnt(0)
	v_mul_f32_e32 v6, v1, v6
	v_mul_f32_e32 v1, v1, v10
	v_fmac_f32_e32 v6, v0, v7
	buffer_load_dword v7, off, s[0:3], s32 offset:208 ; 4-byte Folded Reload
	v_fmac_f32_e32 v1, v0, v8
	v_fmac_f32_e32 v1, v2, v5
	;; [unrolled: 1-line block ×3, first 2 shown]
	v_add_f32_e32 v31, v31, v1
	s_waitcnt vmcnt(0)
	v_fmac_f32_e32 v6, v2, v7
	s_clause 0x2
	buffer_load_dword v7, off, s[0:3], s32 offset:200
	buffer_load_dword v0, off, s[0:3], s32 offset:192
	;; [unrolled: 1-line block ×3, first 2 shown]
	s_waitcnt vmcnt(0)
	v_mov_b32_e32 v1, v0
	v_fmac_f32_e32 v6, v3, v7
	v_add_nc_u32_e32 v1, 4, v1
	v_add_f32_e32 v86, v86, v6
	v_mov_b32_e32 v0, v1
	buffer_store_dword v0, off, s[0:3], s32 offset:192 ; 4-byte Folded Spill
	buffer_store_dword v1, off, s[0:3], s32 offset:196 ; 4-byte Folded Spill
	buffer_load_dword v0, off, s[0:3], s32 offset:788 ; 4-byte Folded Reload
	s_waitcnt vmcnt(0)
	v_cmp_ge_i32_e32 vcc_lo, v1, v0
	s_or_b32 s8, vcc_lo, s8
	s_andn2_b32 exec_lo, exec_lo, s8
	s_cbranch_execz .LBB255_2143
.LBB255_1055:                           ; =>This Inner Loop Header: Depth=1
	flat_load_dword v0, v[14:15]
	s_clause 0x2
	buffer_load_dword v1, off, s[0:3], s32 offset:784
	buffer_load_dword v2, off, s[0:3], s32 offset:688
	;; [unrolled: 1-line block ×3, first 2 shown]
	v_mov_b32_e32 v20, 0
	v_mov_b32_e32 v18, 0
	;; [unrolled: 1-line block ×4, first 2 shown]
	s_waitcnt vmcnt(0) lgkmcnt(0)
	v_mad_i64_i32 v[16:17], null, v0, v1, v[2:3]
	buffer_load_dword v0, off, s[0:3], s32 offset:696 ; 4-byte Folded Reload
	s_waitcnt vmcnt(0)
	v_add_co_u32 v4, vcc_lo, v16, v0
	v_add_co_ci_u32_e64 v5, null, 0, v17, vcc_lo
	ds_read_b128 v[0:3], v113
	flat_load_dword v6, v[4:5]
	s_waitcnt vmcnt(0) lgkmcnt(0)
	v_cmp_ne_u16_sdwa s9, v6, v9 src0_sel:BYTE_0 src1_sel:DWORD
	s_and_saveexec_b32 s4, s9
	s_cbranch_execz .LBB255_1063
; %bb.1056:                             ;   in Loop: Header=BB255_1055 Depth=1
	v_bfrev_b32_e32 v18, 1
	v_mov_b32_e32 v19, 0
	v_cmp_ne_u16_sdwa s11, v6, v97 src0_sel:BYTE_0 src1_sel:DWORD
	s_and_saveexec_b32 s9, s11
	s_cbranch_execz .LBB255_1062
; %bb.1057:                             ;   in Loop: Header=BB255_1055 Depth=1
	v_mov_b32_e32 v18, 0x7f800001
	v_and_b32_e32 v10, 0x7f, v6
	v_mov_b32_e32 v19, 0
	s_mov_b32 s11, exec_lo
	v_cmpx_ne_u32_e32 0x7f, v10
	s_cbranch_execz .LBB255_1061
; %bb.1058:                             ;   in Loop: Header=BB255_1055 Depth=1
	v_and_b32_e32 v8, 7, v6
	v_lshrrev_b32_e32 v7, 3, v10
	s_mov_b32 s12, exec_lo
	v_cmpx_gt_u32_e32 8, v10
; %bb.1059:                             ;   in Loop: Header=BB255_1055 Depth=1
	v_ffbh_u32_e32 v7, v8
	v_min_u32_e32 v7, 32, v7
	v_subrev_nc_u32_e32 v10, 28, v7
	v_sub_nc_u32_e32 v7, 29, v7
	v_lshlrev_b64 v[18:19], v10, v[8:9]
	v_and_b32_e32 v8, 7, v18
; %bb.1060:                             ;   in Loop: Header=BB255_1055 Depth=1
	s_or_b32 exec_lo, exec_lo, s12
	v_lshlrev_b32_e32 v10, 24, v6
	v_lshlrev_b32_e32 v8, 20, v8
	v_lshl_add_u32 v7, v7, 23, 0x3c000000
	v_and_b32_e32 v10, 0x80000000, v10
	v_or3_b32 v8, v8, v10, v7
	v_mov_b32_e32 v19, v9
	v_mov_b32_e32 v18, v8
.LBB255_1061:                           ;   in Loop: Header=BB255_1055 Depth=1
	s_or_b32 exec_lo, exec_lo, s11
.LBB255_1062:                           ;   in Loop: Header=BB255_1055 Depth=1
	s_or_b32 exec_lo, exec_lo, s9
.LBB255_1063:                           ;   in Loop: Header=BB255_1055 Depth=1
	s_or_b32 exec_lo, exec_lo, s4
	v_cmp_ne_u16_sdwa s9, v6, v9 src0_sel:BYTE_1 src1_sel:DWORD
	s_and_saveexec_b32 s4, s9
	s_cbranch_execz .LBB255_1071
; %bb.1064:                             ;   in Loop: Header=BB255_1055 Depth=1
	v_mov_b32_e32 v10, v9
	v_mov_b32_e32 v21, v11
	v_cmp_ne_u16_sdwa s11, v6, v97 src0_sel:BYTE_1 src1_sel:DWORD
	v_mov_b32_e32 v20, v10
	s_and_saveexec_b32 s9, s11
	s_cbranch_execz .LBB255_1070
; %bb.1065:                             ;   in Loop: Header=BB255_1055 Depth=1
	v_mov_b32_e32 v7, 0xffff
	v_mov_b32_e32 v12, v9
	v_mov_b32_e32 v21, v13
	s_mov_b32 s11, exec_lo
	v_and_b32_sdwa v7, v7, v6 dst_sel:DWORD dst_unused:UNUSED_PAD src0_sel:DWORD src1_sel:BYTE_1
	v_mov_b32_e32 v20, v12
	v_and_b32_e32 v10, 0x7f, v7
	v_cmpx_ne_u32_e32 0x7f, v10
	s_cbranch_execz .LBB255_1069
; %bb.1066:                             ;   in Loop: Header=BB255_1055 Depth=1
	v_and_b32_e32 v8, 7, v7
	v_lshrrev_b32_e32 v7, 3, v10
	s_mov_b32 s12, exec_lo
	v_cmpx_gt_u32_e32 8, v10
; %bb.1067:                             ;   in Loop: Header=BB255_1055 Depth=1
	v_ffbh_u32_e32 v7, v8
	v_min_u32_e32 v7, 32, v7
	v_subrev_nc_u32_e32 v10, 28, v7
	v_sub_nc_u32_e32 v7, 29, v7
	v_lshlrev_b64 v[20:21], v10, v[8:9]
	v_and_b32_e32 v8, 7, v20
; %bb.1068:                             ;   in Loop: Header=BB255_1055 Depth=1
	s_or_b32 exec_lo, exec_lo, s12
	v_lshlrev_b32_e32 v10, 16, v6
	v_lshlrev_b32_e32 v8, 20, v8
	v_lshl_add_u32 v7, v7, 23, 0x3c000000
	v_mov_b32_e32 v20, v9
	v_and_b32_e32 v10, 0x80000000, v10
	v_or3_b32 v21, v8, v10, v7
.LBB255_1069:                           ;   in Loop: Header=BB255_1055 Depth=1
	s_or_b32 exec_lo, exec_lo, s11
.LBB255_1070:                           ;   in Loop: Header=BB255_1055 Depth=1
	s_or_b32 exec_lo, exec_lo, s9
.LBB255_1071:                           ;   in Loop: Header=BB255_1055 Depth=1
	s_or_b32 exec_lo, exec_lo, s4
	v_mov_b32_e32 v24, 0
	v_mov_b32_e32 v22, 0
	v_and_b32_sdwa v7, v6, v99 dst_sel:DWORD dst_unused:UNUSED_PAD src0_sel:WORD_1 src1_sel:DWORD
	v_mov_b32_e32 v25, 0
	v_mov_b32_e32 v23, 0
	s_mov_b32 s4, exec_lo
	v_cmpx_ne_u16_e32 0, v7
	s_cbranch_execz .LBB255_1079
; %bb.1072:                             ;   in Loop: Header=BB255_1055 Depth=1
	v_bfrev_b32_e32 v22, 1
	v_mov_b32_e32 v23, 0
	s_mov_b32 s9, exec_lo
	v_cmpx_ne_u16_e32 0x80, v7
	s_cbranch_execz .LBB255_1078
; %bb.1073:                             ;   in Loop: Header=BB255_1055 Depth=1
	v_mov_b32_e32 v22, 0x7f800001
	v_bfe_u32 v10, v6, 16, 7
	v_mov_b32_e32 v23, 0
	s_mov_b32 s11, exec_lo
	v_cmpx_ne_u32_e32 0x7f, v10
	s_cbranch_execz .LBB255_1077
; %bb.1074:                             ;   in Loop: Header=BB255_1055 Depth=1
	v_mov_b32_e32 v7, 7
	s_mov_b32 s12, exec_lo
	v_and_b32_sdwa v8, v6, v7 dst_sel:DWORD dst_unused:UNUSED_PAD src0_sel:WORD_1 src1_sel:DWORD
	v_lshrrev_b32_e32 v7, 3, v10
	v_cmpx_gt_u32_e32 8, v10
; %bb.1075:                             ;   in Loop: Header=BB255_1055 Depth=1
	v_ffbh_u32_e32 v7, v8
	v_min_u32_e32 v7, 32, v7
	v_subrev_nc_u32_e32 v10, 28, v7
	v_sub_nc_u32_e32 v7, 29, v7
	v_lshlrev_b64 v[22:23], v10, v[8:9]
	v_and_b32_e32 v8, 7, v22
; %bb.1076:                             ;   in Loop: Header=BB255_1055 Depth=1
	s_or_b32 exec_lo, exec_lo, s12
	v_mov_b32_e32 v10, 24
	v_lshlrev_b32_e32 v8, 20, v8
	v_lshl_add_u32 v7, v7, 23, 0x3c000000
	v_lshlrev_b32_sdwa v10, v10, v6 dst_sel:DWORD dst_unused:UNUSED_PAD src0_sel:DWORD src1_sel:WORD_1
	v_and_b32_e32 v10, 0x80000000, v10
	v_or3_b32 v8, v8, v10, v7
	v_mov_b32_e32 v23, v9
	v_mov_b32_e32 v22, v8
.LBB255_1077:                           ;   in Loop: Header=BB255_1055 Depth=1
	s_or_b32 exec_lo, exec_lo, s11
.LBB255_1078:                           ;   in Loop: Header=BB255_1055 Depth=1
	s_or_b32 exec_lo, exec_lo, s9
.LBB255_1079:                           ;   in Loop: Header=BB255_1055 Depth=1
	s_or_b32 exec_lo, exec_lo, s4
	s_mov_b32 s4, exec_lo
	v_cmpx_lt_u32_e32 0xffffff, v6
	s_cbranch_execz .LBB255_1087
; %bb.1080:                             ;   in Loop: Header=BB255_1055 Depth=1
	v_mov_b32_e32 v10, v9
	v_mov_b32_e32 v25, v11
	v_cmp_ne_u32_sdwa s11, v6, v97 src0_sel:BYTE_3 src1_sel:DWORD
	v_mov_b32_e32 v24, v10
	s_and_saveexec_b32 s9, s11
	s_cbranch_execz .LBB255_1086
; %bb.1081:                             ;   in Loop: Header=BB255_1055 Depth=1
	v_mov_b32_e32 v12, v9
	v_mov_b32_e32 v25, v13
	v_bfe_u32 v10, v6, 24, 7
	s_mov_b32 s11, exec_lo
	v_mov_b32_e32 v24, v12
	v_cmpx_ne_u32_e32 0x7f, v10
	s_cbranch_execz .LBB255_1085
; %bb.1082:                             ;   in Loop: Header=BB255_1055 Depth=1
	v_mov_b32_e32 v7, 7
	s_mov_b32 s12, exec_lo
	v_and_b32_sdwa v8, v6, v7 dst_sel:DWORD dst_unused:UNUSED_PAD src0_sel:BYTE_3 src1_sel:DWORD
	v_lshrrev_b32_e32 v7, 3, v10
	v_cmpx_gt_u32_e32 8, v10
; %bb.1083:                             ;   in Loop: Header=BB255_1055 Depth=1
	v_ffbh_u32_e32 v7, v8
	v_min_u32_e32 v7, 32, v7
	v_subrev_nc_u32_e32 v10, 28, v7
	v_sub_nc_u32_e32 v7, 29, v7
	v_lshlrev_b64 v[24:25], v10, v[8:9]
	v_and_b32_e32 v8, 7, v24
; %bb.1084:                             ;   in Loop: Header=BB255_1055 Depth=1
	s_or_b32 exec_lo, exec_lo, s12
	v_mov_b32_e32 v10, 24
	v_lshlrev_b32_e32 v8, 20, v8
	v_lshl_add_u32 v7, v7, 23, 0x3c000000
	v_mov_b32_e32 v24, v9
	v_lshlrev_b32_sdwa v6, v10, v6 dst_sel:DWORD dst_unused:UNUSED_PAD src0_sel:DWORD src1_sel:BYTE_3
	v_and_b32_e32 v6, 0x80000000, v6
	v_or3_b32 v25, v8, v6, v7
.LBB255_1085:                           ;   in Loop: Header=BB255_1055 Depth=1
	s_or_b32 exec_lo, exec_lo, s11
.LBB255_1086:                           ;   in Loop: Header=BB255_1055 Depth=1
	s_or_b32 exec_lo, exec_lo, s9
.LBB255_1087:                           ;   in Loop: Header=BB255_1055 Depth=1
	s_or_b32 exec_lo, exec_lo, s4
	v_or_b32_e32 v6, v21, v19
	v_or_b32_e32 v7, v20, v18
	s_clause 0x1
	buffer_load_dword v18, off, s[0:3], s32 offset:192
	buffer_load_dword v19, off, s[0:3], s32 offset:196
	v_or_b32_e32 v8, v24, v22
	v_or_b32_e32 v10, v25, v23
	v_mul_f32_e32 v6, v114, v6
	v_add_nc_u32_e32 v43, -3, v112
	v_add_nc_u32_e32 v45, -2, v112
	;; [unrolled: 1-line block ×3, first 2 shown]
	buffer_store_dword v6, off, s[0:3], s32 offset:216 ; 4-byte Folded Spill
	v_mul_f32_e32 v6, v87, v7
	buffer_store_dword v6, off, s[0:3], s32 offset:224 ; 4-byte Folded Spill
	v_mul_f32_e32 v6, v87, v8
	;; [unrolled: 2-line block ×3, first 2 shown]
	buffer_store_dword v6, off, s[0:3], s32 offset:200 ; 4-byte Folded Spill
	s_waitcnt vmcnt(1)
	v_cmp_eq_u32_e32 vcc_lo, v115, v18
	s_and_saveexec_b32 s9, vcc_lo
	s_cbranch_execz .LBB255_1089
; %bb.1088:                             ;   in Loop: Header=BB255_1055 Depth=1
	buffer_load_dword v6, off, s[0:3], s32 offset:224 ; 4-byte Folded Reload
	v_cmp_lt_i32_e64 s4, v43, v82
	s_waitcnt vmcnt(0)
	v_cndmask_b32_e64 v6, 0, v6, s4
	v_cmp_lt_i32_e64 s4, v45, v82
	buffer_store_dword v6, off, s[0:3], s32 offset:224 ; 4-byte Folded Spill
	buffer_load_dword v6, off, s[0:3], s32 offset:216 ; 4-byte Folded Reload
	s_waitcnt vmcnt(0)
	v_cndmask_b32_e64 v6, 0, v6, s4
	v_cmp_lt_i32_e64 s4, v44, v82
	buffer_store_dword v6, off, s[0:3], s32 offset:216 ; 4-byte Folded Spill
	buffer_load_dword v6, off, s[0:3], s32 offset:208 ; 4-byte Folded Reload
	;; [unrolled: 5-line block ×3, first 2 shown]
	s_waitcnt vmcnt(0)
	v_cndmask_b32_e64 v6, 0, v6, s4
	buffer_store_dword v6, off, s[0:3], s32 offset:200 ; 4-byte Folded Spill
.LBB255_1089:                           ;   in Loop: Header=BB255_1055 Depth=1
	s_or_b32 exec_lo, exec_lo, s9
	flat_load_dword v6, v[4:5] offset:128
	v_mov_b32_e32 v20, 0
	s_waitcnt vmcnt(1)
	v_mov_b32_e32 v18, 0
	v_mov_b32_e32 v21, 0
	;; [unrolled: 1-line block ×3, first 2 shown]
	s_waitcnt vmcnt(0) lgkmcnt(0)
	v_cmp_ne_u16_sdwa s4, v6, v9 src0_sel:BYTE_0 src1_sel:DWORD
	s_and_saveexec_b32 s9, s4
	s_cbranch_execz .LBB255_1097
; %bb.1090:                             ;   in Loop: Header=BB255_1055 Depth=1
	v_bfrev_b32_e32 v18, 1
	v_mov_b32_e32 v19, 0
	v_cmp_ne_u16_sdwa s4, v6, v97 src0_sel:BYTE_0 src1_sel:DWORD
	s_and_saveexec_b32 s11, s4
	s_cbranch_execz .LBB255_1096
; %bb.1091:                             ;   in Loop: Header=BB255_1055 Depth=1
	v_mov_b32_e32 v18, 0x7f800001
	v_and_b32_e32 v10, 0x7f, v6
	v_mov_b32_e32 v19, 0
	s_mov_b32 s12, exec_lo
	v_cmpx_ne_u32_e32 0x7f, v10
	s_cbranch_execz .LBB255_1095
; %bb.1092:                             ;   in Loop: Header=BB255_1055 Depth=1
	v_and_b32_e32 v8, 7, v6
	v_lshrrev_b32_e32 v7, 3, v10
	s_mov_b32 s13, exec_lo
	v_cmpx_gt_u32_e32 8, v10
; %bb.1093:                             ;   in Loop: Header=BB255_1055 Depth=1
	v_ffbh_u32_e32 v7, v8
	v_min_u32_e32 v7, 32, v7
	v_subrev_nc_u32_e32 v10, 28, v7
	v_sub_nc_u32_e32 v7, 29, v7
	v_lshlrev_b64 v[18:19], v10, v[8:9]
	v_and_b32_e32 v8, 7, v18
; %bb.1094:                             ;   in Loop: Header=BB255_1055 Depth=1
	s_or_b32 exec_lo, exec_lo, s13
	v_lshlrev_b32_e32 v10, 24, v6
	v_lshlrev_b32_e32 v8, 20, v8
	v_lshl_add_u32 v7, v7, 23, 0x3c000000
	v_and_b32_e32 v10, 0x80000000, v10
	v_or3_b32 v8, v8, v10, v7
	v_mov_b32_e32 v19, v9
	v_mov_b32_e32 v18, v8
.LBB255_1095:                           ;   in Loop: Header=BB255_1055 Depth=1
	s_or_b32 exec_lo, exec_lo, s12
.LBB255_1096:                           ;   in Loop: Header=BB255_1055 Depth=1
	s_or_b32 exec_lo, exec_lo, s11
.LBB255_1097:                           ;   in Loop: Header=BB255_1055 Depth=1
	s_or_b32 exec_lo, exec_lo, s9
	v_cmp_ne_u16_sdwa s4, v6, v9 src0_sel:BYTE_1 src1_sel:DWORD
	s_and_saveexec_b32 s9, s4
	s_cbranch_execz .LBB255_1105
; %bb.1098:                             ;   in Loop: Header=BB255_1055 Depth=1
	v_mov_b32_e32 v10, v9
	v_mov_b32_e32 v21, v11
	v_cmp_ne_u16_sdwa s4, v6, v97 src0_sel:BYTE_1 src1_sel:DWORD
	v_mov_b32_e32 v20, v10
	s_and_saveexec_b32 s11, s4
	s_cbranch_execz .LBB255_1104
; %bb.1099:                             ;   in Loop: Header=BB255_1055 Depth=1
	v_mov_b32_e32 v7, 0xffff
	v_mov_b32_e32 v12, v9
	;; [unrolled: 1-line block ×3, first 2 shown]
	s_mov_b32 s12, exec_lo
	v_and_b32_sdwa v7, v7, v6 dst_sel:DWORD dst_unused:UNUSED_PAD src0_sel:DWORD src1_sel:BYTE_1
	v_mov_b32_e32 v20, v12
	v_and_b32_e32 v10, 0x7f, v7
	v_cmpx_ne_u32_e32 0x7f, v10
	s_cbranch_execz .LBB255_1103
; %bb.1100:                             ;   in Loop: Header=BB255_1055 Depth=1
	v_and_b32_e32 v8, 7, v7
	v_lshrrev_b32_e32 v7, 3, v10
	s_mov_b32 s13, exec_lo
	v_cmpx_gt_u32_e32 8, v10
; %bb.1101:                             ;   in Loop: Header=BB255_1055 Depth=1
	v_ffbh_u32_e32 v7, v8
	v_min_u32_e32 v7, 32, v7
	v_subrev_nc_u32_e32 v10, 28, v7
	v_sub_nc_u32_e32 v7, 29, v7
	v_lshlrev_b64 v[20:21], v10, v[8:9]
	v_and_b32_e32 v8, 7, v20
; %bb.1102:                             ;   in Loop: Header=BB255_1055 Depth=1
	s_or_b32 exec_lo, exec_lo, s13
	v_lshlrev_b32_e32 v10, 16, v6
	v_lshlrev_b32_e32 v8, 20, v8
	v_lshl_add_u32 v7, v7, 23, 0x3c000000
	v_mov_b32_e32 v20, v9
	v_and_b32_e32 v10, 0x80000000, v10
	v_or3_b32 v21, v8, v10, v7
.LBB255_1103:                           ;   in Loop: Header=BB255_1055 Depth=1
	s_or_b32 exec_lo, exec_lo, s12
.LBB255_1104:                           ;   in Loop: Header=BB255_1055 Depth=1
	s_or_b32 exec_lo, exec_lo, s11
.LBB255_1105:                           ;   in Loop: Header=BB255_1055 Depth=1
	s_or_b32 exec_lo, exec_lo, s9
	v_mov_b32_e32 v24, 0
	v_mov_b32_e32 v22, 0
	v_and_b32_sdwa v7, v6, v99 dst_sel:DWORD dst_unused:UNUSED_PAD src0_sel:WORD_1 src1_sel:DWORD
	v_mov_b32_e32 v25, 0
	v_mov_b32_e32 v23, 0
	s_mov_b32 s9, exec_lo
	v_cmpx_ne_u16_e32 0, v7
	s_cbranch_execz .LBB255_1113
; %bb.1106:                             ;   in Loop: Header=BB255_1055 Depth=1
	v_bfrev_b32_e32 v22, 1
	v_mov_b32_e32 v23, 0
	s_mov_b32 s11, exec_lo
	v_cmpx_ne_u16_e32 0x80, v7
	s_cbranch_execz .LBB255_1112
; %bb.1107:                             ;   in Loop: Header=BB255_1055 Depth=1
	v_mov_b32_e32 v22, 0x7f800001
	v_bfe_u32 v10, v6, 16, 7
	v_mov_b32_e32 v23, 0
	s_mov_b32 s12, exec_lo
	v_cmpx_ne_u32_e32 0x7f, v10
	s_cbranch_execz .LBB255_1111
; %bb.1108:                             ;   in Loop: Header=BB255_1055 Depth=1
	v_mov_b32_e32 v7, 7
	s_mov_b32 s13, exec_lo
	v_and_b32_sdwa v8, v6, v7 dst_sel:DWORD dst_unused:UNUSED_PAD src0_sel:WORD_1 src1_sel:DWORD
	v_lshrrev_b32_e32 v7, 3, v10
	v_cmpx_gt_u32_e32 8, v10
; %bb.1109:                             ;   in Loop: Header=BB255_1055 Depth=1
	v_ffbh_u32_e32 v7, v8
	v_min_u32_e32 v7, 32, v7
	v_subrev_nc_u32_e32 v10, 28, v7
	v_sub_nc_u32_e32 v7, 29, v7
	v_lshlrev_b64 v[22:23], v10, v[8:9]
	v_and_b32_e32 v8, 7, v22
; %bb.1110:                             ;   in Loop: Header=BB255_1055 Depth=1
	s_or_b32 exec_lo, exec_lo, s13
	v_mov_b32_e32 v10, 24
	v_lshlrev_b32_e32 v8, 20, v8
	v_lshl_add_u32 v7, v7, 23, 0x3c000000
	v_lshlrev_b32_sdwa v10, v10, v6 dst_sel:DWORD dst_unused:UNUSED_PAD src0_sel:DWORD src1_sel:WORD_1
	v_and_b32_e32 v10, 0x80000000, v10
	v_or3_b32 v8, v8, v10, v7
	v_mov_b32_e32 v23, v9
	v_mov_b32_e32 v22, v8
.LBB255_1111:                           ;   in Loop: Header=BB255_1055 Depth=1
	s_or_b32 exec_lo, exec_lo, s12
.LBB255_1112:                           ;   in Loop: Header=BB255_1055 Depth=1
	s_or_b32 exec_lo, exec_lo, s11
.LBB255_1113:                           ;   in Loop: Header=BB255_1055 Depth=1
	s_or_b32 exec_lo, exec_lo, s9
	s_mov_b32 s9, exec_lo
	v_cmpx_lt_u32_e32 0xffffff, v6
	s_cbranch_execz .LBB255_1121
; %bb.1114:                             ;   in Loop: Header=BB255_1055 Depth=1
	v_mov_b32_e32 v10, v9
	v_mov_b32_e32 v25, v11
	v_cmp_ne_u32_sdwa s4, v6, v97 src0_sel:BYTE_3 src1_sel:DWORD
	v_mov_b32_e32 v24, v10
	s_and_saveexec_b32 s11, s4
	s_cbranch_execz .LBB255_1120
; %bb.1115:                             ;   in Loop: Header=BB255_1055 Depth=1
	v_mov_b32_e32 v12, v9
	v_mov_b32_e32 v25, v13
	v_bfe_u32 v10, v6, 24, 7
	s_mov_b32 s12, exec_lo
	v_mov_b32_e32 v24, v12
	v_cmpx_ne_u32_e32 0x7f, v10
	s_cbranch_execz .LBB255_1119
; %bb.1116:                             ;   in Loop: Header=BB255_1055 Depth=1
	v_mov_b32_e32 v7, 7
	s_mov_b32 s13, exec_lo
	v_and_b32_sdwa v8, v6, v7 dst_sel:DWORD dst_unused:UNUSED_PAD src0_sel:BYTE_3 src1_sel:DWORD
	v_lshrrev_b32_e32 v7, 3, v10
	v_cmpx_gt_u32_e32 8, v10
; %bb.1117:                             ;   in Loop: Header=BB255_1055 Depth=1
	v_ffbh_u32_e32 v7, v8
	v_min_u32_e32 v7, 32, v7
	v_subrev_nc_u32_e32 v10, 28, v7
	v_sub_nc_u32_e32 v7, 29, v7
	v_lshlrev_b64 v[24:25], v10, v[8:9]
	v_and_b32_e32 v8, 7, v24
; %bb.1118:                             ;   in Loop: Header=BB255_1055 Depth=1
	s_or_b32 exec_lo, exec_lo, s13
	v_mov_b32_e32 v10, 24
	v_lshlrev_b32_e32 v8, 20, v8
	v_lshl_add_u32 v7, v7, 23, 0x3c000000
	v_mov_b32_e32 v24, v9
	v_lshlrev_b32_sdwa v6, v10, v6 dst_sel:DWORD dst_unused:UNUSED_PAD src0_sel:DWORD src1_sel:BYTE_3
	v_and_b32_e32 v6, 0x80000000, v6
	v_or3_b32 v25, v8, v6, v7
.LBB255_1119:                           ;   in Loop: Header=BB255_1055 Depth=1
	s_or_b32 exec_lo, exec_lo, s12
.LBB255_1120:                           ;   in Loop: Header=BB255_1055 Depth=1
	s_or_b32 exec_lo, exec_lo, s11
.LBB255_1121:                           ;   in Loop: Header=BB255_1055 Depth=1
	s_or_b32 exec_lo, exec_lo, s9
	v_or_b32_e32 v6, v21, v19
	v_or_b32_e32 v7, v20, v18
	;; [unrolled: 1-line block ×4, first 2 shown]
	v_mul_f32_e32 v6, v114, v6
	buffer_store_dword v6, off, s[0:3], s32 offset:248 ; 4-byte Folded Spill
	v_mul_f32_e32 v6, v87, v7
	buffer_store_dword v6, off, s[0:3], s32 offset:256 ; 4-byte Folded Spill
	;; [unrolled: 2-line block ×4, first 2 shown]
	s_and_saveexec_b32 s9, vcc_lo
	s_cbranch_execz .LBB255_1123
; %bb.1122:                             ;   in Loop: Header=BB255_1055 Depth=1
	buffer_load_dword v6, off, s[0:3], s32 offset:256 ; 4-byte Folded Reload
	v_cmp_lt_i32_e64 s4, v43, v82
	s_waitcnt vmcnt(0)
	v_cndmask_b32_e64 v6, 0, v6, s4
	v_cmp_lt_i32_e64 s4, v45, v82
	buffer_store_dword v6, off, s[0:3], s32 offset:256 ; 4-byte Folded Spill
	buffer_load_dword v6, off, s[0:3], s32 offset:248 ; 4-byte Folded Reload
	s_waitcnt vmcnt(0)
	v_cndmask_b32_e64 v6, 0, v6, s4
	v_cmp_lt_i32_e64 s4, v44, v82
	buffer_store_dword v6, off, s[0:3], s32 offset:248 ; 4-byte Folded Spill
	buffer_load_dword v6, off, s[0:3], s32 offset:240 ; 4-byte Folded Reload
	;; [unrolled: 5-line block ×3, first 2 shown]
	s_waitcnt vmcnt(0)
	v_cndmask_b32_e64 v6, 0, v6, s4
	buffer_store_dword v6, off, s[0:3], s32 offset:232 ; 4-byte Folded Spill
.LBB255_1123:                           ;   in Loop: Header=BB255_1055 Depth=1
	s_or_b32 exec_lo, exec_lo, s9
	flat_load_dword v6, v[4:5] offset:256
	v_mov_b32_e32 v20, 0
	v_mov_b32_e32 v18, 0
	;; [unrolled: 1-line block ×4, first 2 shown]
	s_waitcnt vmcnt(0) lgkmcnt(0)
	v_cmp_ne_u16_sdwa s4, v6, v9 src0_sel:BYTE_0 src1_sel:DWORD
	s_and_saveexec_b32 s9, s4
	s_cbranch_execz .LBB255_1131
; %bb.1124:                             ;   in Loop: Header=BB255_1055 Depth=1
	v_bfrev_b32_e32 v18, 1
	v_mov_b32_e32 v19, 0
	v_cmp_ne_u16_sdwa s4, v6, v97 src0_sel:BYTE_0 src1_sel:DWORD
	s_and_saveexec_b32 s11, s4
	s_cbranch_execz .LBB255_1130
; %bb.1125:                             ;   in Loop: Header=BB255_1055 Depth=1
	v_mov_b32_e32 v18, 0x7f800001
	v_and_b32_e32 v10, 0x7f, v6
	v_mov_b32_e32 v19, 0
	s_mov_b32 s12, exec_lo
	v_cmpx_ne_u32_e32 0x7f, v10
	s_cbranch_execz .LBB255_1129
; %bb.1126:                             ;   in Loop: Header=BB255_1055 Depth=1
	v_and_b32_e32 v8, 7, v6
	v_lshrrev_b32_e32 v7, 3, v10
	s_mov_b32 s13, exec_lo
	v_cmpx_gt_u32_e32 8, v10
; %bb.1127:                             ;   in Loop: Header=BB255_1055 Depth=1
	v_ffbh_u32_e32 v7, v8
	v_min_u32_e32 v7, 32, v7
	v_subrev_nc_u32_e32 v10, 28, v7
	v_sub_nc_u32_e32 v7, 29, v7
	v_lshlrev_b64 v[18:19], v10, v[8:9]
	v_and_b32_e32 v8, 7, v18
; %bb.1128:                             ;   in Loop: Header=BB255_1055 Depth=1
	s_or_b32 exec_lo, exec_lo, s13
	v_lshlrev_b32_e32 v10, 24, v6
	v_lshlrev_b32_e32 v8, 20, v8
	v_lshl_add_u32 v7, v7, 23, 0x3c000000
	v_and_b32_e32 v10, 0x80000000, v10
	v_or3_b32 v8, v8, v10, v7
	v_mov_b32_e32 v19, v9
	v_mov_b32_e32 v18, v8
.LBB255_1129:                           ;   in Loop: Header=BB255_1055 Depth=1
	s_or_b32 exec_lo, exec_lo, s12
.LBB255_1130:                           ;   in Loop: Header=BB255_1055 Depth=1
	s_or_b32 exec_lo, exec_lo, s11
.LBB255_1131:                           ;   in Loop: Header=BB255_1055 Depth=1
	s_or_b32 exec_lo, exec_lo, s9
	v_cmp_ne_u16_sdwa s4, v6, v9 src0_sel:BYTE_1 src1_sel:DWORD
	s_and_saveexec_b32 s9, s4
	s_cbranch_execz .LBB255_1139
; %bb.1132:                             ;   in Loop: Header=BB255_1055 Depth=1
	v_mov_b32_e32 v10, v9
	v_mov_b32_e32 v21, v11
	v_cmp_ne_u16_sdwa s4, v6, v97 src0_sel:BYTE_1 src1_sel:DWORD
	v_mov_b32_e32 v20, v10
	s_and_saveexec_b32 s11, s4
	s_cbranch_execz .LBB255_1138
; %bb.1133:                             ;   in Loop: Header=BB255_1055 Depth=1
	v_mov_b32_e32 v7, 0xffff
	v_mov_b32_e32 v12, v9
	;; [unrolled: 1-line block ×3, first 2 shown]
	s_mov_b32 s12, exec_lo
	v_and_b32_sdwa v7, v7, v6 dst_sel:DWORD dst_unused:UNUSED_PAD src0_sel:DWORD src1_sel:BYTE_1
	v_mov_b32_e32 v20, v12
	v_and_b32_e32 v10, 0x7f, v7
	v_cmpx_ne_u32_e32 0x7f, v10
	s_cbranch_execz .LBB255_1137
; %bb.1134:                             ;   in Loop: Header=BB255_1055 Depth=1
	v_and_b32_e32 v8, 7, v7
	v_lshrrev_b32_e32 v7, 3, v10
	s_mov_b32 s13, exec_lo
	v_cmpx_gt_u32_e32 8, v10
; %bb.1135:                             ;   in Loop: Header=BB255_1055 Depth=1
	v_ffbh_u32_e32 v7, v8
	v_min_u32_e32 v7, 32, v7
	v_subrev_nc_u32_e32 v10, 28, v7
	v_sub_nc_u32_e32 v7, 29, v7
	v_lshlrev_b64 v[20:21], v10, v[8:9]
	v_and_b32_e32 v8, 7, v20
; %bb.1136:                             ;   in Loop: Header=BB255_1055 Depth=1
	s_or_b32 exec_lo, exec_lo, s13
	v_lshlrev_b32_e32 v10, 16, v6
	v_lshlrev_b32_e32 v8, 20, v8
	v_lshl_add_u32 v7, v7, 23, 0x3c000000
	v_mov_b32_e32 v20, v9
	v_and_b32_e32 v10, 0x80000000, v10
	v_or3_b32 v21, v8, v10, v7
.LBB255_1137:                           ;   in Loop: Header=BB255_1055 Depth=1
	s_or_b32 exec_lo, exec_lo, s12
.LBB255_1138:                           ;   in Loop: Header=BB255_1055 Depth=1
	s_or_b32 exec_lo, exec_lo, s11
.LBB255_1139:                           ;   in Loop: Header=BB255_1055 Depth=1
	s_or_b32 exec_lo, exec_lo, s9
	v_mov_b32_e32 v24, 0
	v_mov_b32_e32 v22, 0
	v_and_b32_sdwa v7, v6, v99 dst_sel:DWORD dst_unused:UNUSED_PAD src0_sel:WORD_1 src1_sel:DWORD
	v_mov_b32_e32 v25, 0
	v_mov_b32_e32 v23, 0
	s_mov_b32 s9, exec_lo
	v_cmpx_ne_u16_e32 0, v7
	s_cbranch_execz .LBB255_1147
; %bb.1140:                             ;   in Loop: Header=BB255_1055 Depth=1
	v_bfrev_b32_e32 v22, 1
	v_mov_b32_e32 v23, 0
	s_mov_b32 s11, exec_lo
	v_cmpx_ne_u16_e32 0x80, v7
	s_cbranch_execz .LBB255_1146
; %bb.1141:                             ;   in Loop: Header=BB255_1055 Depth=1
	v_mov_b32_e32 v22, 0x7f800001
	v_bfe_u32 v10, v6, 16, 7
	v_mov_b32_e32 v23, 0
	s_mov_b32 s12, exec_lo
	v_cmpx_ne_u32_e32 0x7f, v10
	s_cbranch_execz .LBB255_1145
; %bb.1142:                             ;   in Loop: Header=BB255_1055 Depth=1
	v_mov_b32_e32 v7, 7
	s_mov_b32 s13, exec_lo
	v_and_b32_sdwa v8, v6, v7 dst_sel:DWORD dst_unused:UNUSED_PAD src0_sel:WORD_1 src1_sel:DWORD
	v_lshrrev_b32_e32 v7, 3, v10
	v_cmpx_gt_u32_e32 8, v10
; %bb.1143:                             ;   in Loop: Header=BB255_1055 Depth=1
	v_ffbh_u32_e32 v7, v8
	v_min_u32_e32 v7, 32, v7
	v_subrev_nc_u32_e32 v10, 28, v7
	v_sub_nc_u32_e32 v7, 29, v7
	v_lshlrev_b64 v[22:23], v10, v[8:9]
	v_and_b32_e32 v8, 7, v22
; %bb.1144:                             ;   in Loop: Header=BB255_1055 Depth=1
	s_or_b32 exec_lo, exec_lo, s13
	v_mov_b32_e32 v10, 24
	v_lshlrev_b32_e32 v8, 20, v8
	v_lshl_add_u32 v7, v7, 23, 0x3c000000
	v_lshlrev_b32_sdwa v10, v10, v6 dst_sel:DWORD dst_unused:UNUSED_PAD src0_sel:DWORD src1_sel:WORD_1
	v_and_b32_e32 v10, 0x80000000, v10
	v_or3_b32 v8, v8, v10, v7
	v_mov_b32_e32 v23, v9
	v_mov_b32_e32 v22, v8
.LBB255_1145:                           ;   in Loop: Header=BB255_1055 Depth=1
	s_or_b32 exec_lo, exec_lo, s12
.LBB255_1146:                           ;   in Loop: Header=BB255_1055 Depth=1
	s_or_b32 exec_lo, exec_lo, s11
.LBB255_1147:                           ;   in Loop: Header=BB255_1055 Depth=1
	s_or_b32 exec_lo, exec_lo, s9
	s_mov_b32 s9, exec_lo
	v_cmpx_lt_u32_e32 0xffffff, v6
	s_cbranch_execz .LBB255_1155
; %bb.1148:                             ;   in Loop: Header=BB255_1055 Depth=1
	v_mov_b32_e32 v10, v9
	v_mov_b32_e32 v25, v11
	v_cmp_ne_u32_sdwa s4, v6, v97 src0_sel:BYTE_3 src1_sel:DWORD
	v_mov_b32_e32 v24, v10
	s_and_saveexec_b32 s11, s4
	s_cbranch_execz .LBB255_1154
; %bb.1149:                             ;   in Loop: Header=BB255_1055 Depth=1
	v_mov_b32_e32 v12, v9
	v_mov_b32_e32 v25, v13
	v_bfe_u32 v10, v6, 24, 7
	s_mov_b32 s12, exec_lo
	v_mov_b32_e32 v24, v12
	v_cmpx_ne_u32_e32 0x7f, v10
	s_cbranch_execz .LBB255_1153
; %bb.1150:                             ;   in Loop: Header=BB255_1055 Depth=1
	v_mov_b32_e32 v7, 7
	s_mov_b32 s13, exec_lo
	v_and_b32_sdwa v8, v6, v7 dst_sel:DWORD dst_unused:UNUSED_PAD src0_sel:BYTE_3 src1_sel:DWORD
	v_lshrrev_b32_e32 v7, 3, v10
	v_cmpx_gt_u32_e32 8, v10
; %bb.1151:                             ;   in Loop: Header=BB255_1055 Depth=1
	v_ffbh_u32_e32 v7, v8
	v_min_u32_e32 v7, 32, v7
	v_subrev_nc_u32_e32 v10, 28, v7
	v_sub_nc_u32_e32 v7, 29, v7
	v_lshlrev_b64 v[24:25], v10, v[8:9]
	v_and_b32_e32 v8, 7, v24
; %bb.1152:                             ;   in Loop: Header=BB255_1055 Depth=1
	s_or_b32 exec_lo, exec_lo, s13
	v_mov_b32_e32 v10, 24
	v_lshlrev_b32_e32 v8, 20, v8
	v_lshl_add_u32 v7, v7, 23, 0x3c000000
	v_mov_b32_e32 v24, v9
	v_lshlrev_b32_sdwa v6, v10, v6 dst_sel:DWORD dst_unused:UNUSED_PAD src0_sel:DWORD src1_sel:BYTE_3
	v_and_b32_e32 v6, 0x80000000, v6
	v_or3_b32 v25, v8, v6, v7
.LBB255_1153:                           ;   in Loop: Header=BB255_1055 Depth=1
	s_or_b32 exec_lo, exec_lo, s12
.LBB255_1154:                           ;   in Loop: Header=BB255_1055 Depth=1
	s_or_b32 exec_lo, exec_lo, s11
.LBB255_1155:                           ;   in Loop: Header=BB255_1055 Depth=1
	s_or_b32 exec_lo, exec_lo, s9
	v_or_b32_e32 v6, v21, v19
	v_or_b32_e32 v7, v20, v18
	;; [unrolled: 1-line block ×4, first 2 shown]
	v_mul_f32_e32 v6, v114, v6
	buffer_store_dword v6, off, s[0:3], s32 offset:280 ; 4-byte Folded Spill
	v_mul_f32_e32 v6, v87, v7
	buffer_store_dword v6, off, s[0:3], s32 offset:288 ; 4-byte Folded Spill
	;; [unrolled: 2-line block ×4, first 2 shown]
	s_and_saveexec_b32 s9, vcc_lo
	s_cbranch_execz .LBB255_1157
; %bb.1156:                             ;   in Loop: Header=BB255_1055 Depth=1
	buffer_load_dword v6, off, s[0:3], s32 offset:288 ; 4-byte Folded Reload
	v_cmp_lt_i32_e64 s4, v43, v82
	s_waitcnt vmcnt(0)
	v_cndmask_b32_e64 v6, 0, v6, s4
	v_cmp_lt_i32_e64 s4, v45, v82
	buffer_store_dword v6, off, s[0:3], s32 offset:288 ; 4-byte Folded Spill
	buffer_load_dword v6, off, s[0:3], s32 offset:280 ; 4-byte Folded Reload
	s_waitcnt vmcnt(0)
	v_cndmask_b32_e64 v6, 0, v6, s4
	v_cmp_lt_i32_e64 s4, v44, v82
	buffer_store_dword v6, off, s[0:3], s32 offset:280 ; 4-byte Folded Spill
	buffer_load_dword v6, off, s[0:3], s32 offset:272 ; 4-byte Folded Reload
	;; [unrolled: 5-line block ×3, first 2 shown]
	s_waitcnt vmcnt(0)
	v_cndmask_b32_e64 v6, 0, v6, s4
	buffer_store_dword v6, off, s[0:3], s32 offset:264 ; 4-byte Folded Spill
.LBB255_1157:                           ;   in Loop: Header=BB255_1055 Depth=1
	s_or_b32 exec_lo, exec_lo, s9
	flat_load_dword v6, v[4:5] offset:384
	v_mov_b32_e32 v20, 0
	v_mov_b32_e32 v18, 0
	;; [unrolled: 1-line block ×4, first 2 shown]
	s_waitcnt vmcnt(0) lgkmcnt(0)
	v_cmp_ne_u16_sdwa s4, v6, v9 src0_sel:BYTE_0 src1_sel:DWORD
	s_and_saveexec_b32 s9, s4
	s_cbranch_execz .LBB255_1165
; %bb.1158:                             ;   in Loop: Header=BB255_1055 Depth=1
	v_bfrev_b32_e32 v18, 1
	v_mov_b32_e32 v19, 0
	v_cmp_ne_u16_sdwa s4, v6, v97 src0_sel:BYTE_0 src1_sel:DWORD
	s_and_saveexec_b32 s11, s4
	s_cbranch_execz .LBB255_1164
; %bb.1159:                             ;   in Loop: Header=BB255_1055 Depth=1
	v_mov_b32_e32 v18, 0x7f800001
	v_and_b32_e32 v10, 0x7f, v6
	v_mov_b32_e32 v19, 0
	s_mov_b32 s12, exec_lo
	v_cmpx_ne_u32_e32 0x7f, v10
	s_cbranch_execz .LBB255_1163
; %bb.1160:                             ;   in Loop: Header=BB255_1055 Depth=1
	v_and_b32_e32 v8, 7, v6
	v_lshrrev_b32_e32 v7, 3, v10
	s_mov_b32 s13, exec_lo
	v_cmpx_gt_u32_e32 8, v10
; %bb.1161:                             ;   in Loop: Header=BB255_1055 Depth=1
	v_ffbh_u32_e32 v7, v8
	v_min_u32_e32 v7, 32, v7
	v_subrev_nc_u32_e32 v10, 28, v7
	v_sub_nc_u32_e32 v7, 29, v7
	v_lshlrev_b64 v[18:19], v10, v[8:9]
	v_and_b32_e32 v8, 7, v18
; %bb.1162:                             ;   in Loop: Header=BB255_1055 Depth=1
	s_or_b32 exec_lo, exec_lo, s13
	v_lshlrev_b32_e32 v10, 24, v6
	v_lshlrev_b32_e32 v8, 20, v8
	v_lshl_add_u32 v7, v7, 23, 0x3c000000
	v_and_b32_e32 v10, 0x80000000, v10
	v_or3_b32 v8, v8, v10, v7
	v_mov_b32_e32 v19, v9
	v_mov_b32_e32 v18, v8
.LBB255_1163:                           ;   in Loop: Header=BB255_1055 Depth=1
	s_or_b32 exec_lo, exec_lo, s12
.LBB255_1164:                           ;   in Loop: Header=BB255_1055 Depth=1
	s_or_b32 exec_lo, exec_lo, s11
.LBB255_1165:                           ;   in Loop: Header=BB255_1055 Depth=1
	s_or_b32 exec_lo, exec_lo, s9
	v_cmp_ne_u16_sdwa s4, v6, v9 src0_sel:BYTE_1 src1_sel:DWORD
	s_and_saveexec_b32 s9, s4
	s_cbranch_execz .LBB255_1173
; %bb.1166:                             ;   in Loop: Header=BB255_1055 Depth=1
	v_mov_b32_e32 v10, v9
	v_mov_b32_e32 v21, v11
	v_cmp_ne_u16_sdwa s4, v6, v97 src0_sel:BYTE_1 src1_sel:DWORD
	v_mov_b32_e32 v20, v10
	s_and_saveexec_b32 s11, s4
	s_cbranch_execz .LBB255_1172
; %bb.1167:                             ;   in Loop: Header=BB255_1055 Depth=1
	v_mov_b32_e32 v7, 0xffff
	v_mov_b32_e32 v12, v9
	;; [unrolled: 1-line block ×3, first 2 shown]
	s_mov_b32 s12, exec_lo
	v_and_b32_sdwa v7, v7, v6 dst_sel:DWORD dst_unused:UNUSED_PAD src0_sel:DWORD src1_sel:BYTE_1
	v_mov_b32_e32 v20, v12
	v_and_b32_e32 v10, 0x7f, v7
	v_cmpx_ne_u32_e32 0x7f, v10
	s_cbranch_execz .LBB255_1171
; %bb.1168:                             ;   in Loop: Header=BB255_1055 Depth=1
	v_and_b32_e32 v8, 7, v7
	v_lshrrev_b32_e32 v7, 3, v10
	s_mov_b32 s13, exec_lo
	v_cmpx_gt_u32_e32 8, v10
; %bb.1169:                             ;   in Loop: Header=BB255_1055 Depth=1
	v_ffbh_u32_e32 v7, v8
	v_min_u32_e32 v7, 32, v7
	v_subrev_nc_u32_e32 v10, 28, v7
	v_sub_nc_u32_e32 v7, 29, v7
	v_lshlrev_b64 v[20:21], v10, v[8:9]
	v_and_b32_e32 v8, 7, v20
; %bb.1170:                             ;   in Loop: Header=BB255_1055 Depth=1
	s_or_b32 exec_lo, exec_lo, s13
	v_lshlrev_b32_e32 v10, 16, v6
	v_lshlrev_b32_e32 v8, 20, v8
	v_lshl_add_u32 v7, v7, 23, 0x3c000000
	v_mov_b32_e32 v20, v9
	v_and_b32_e32 v10, 0x80000000, v10
	v_or3_b32 v21, v8, v10, v7
.LBB255_1171:                           ;   in Loop: Header=BB255_1055 Depth=1
	s_or_b32 exec_lo, exec_lo, s12
.LBB255_1172:                           ;   in Loop: Header=BB255_1055 Depth=1
	s_or_b32 exec_lo, exec_lo, s11
.LBB255_1173:                           ;   in Loop: Header=BB255_1055 Depth=1
	s_or_b32 exec_lo, exec_lo, s9
	v_mov_b32_e32 v24, 0
	v_mov_b32_e32 v22, 0
	v_and_b32_sdwa v7, v6, v99 dst_sel:DWORD dst_unused:UNUSED_PAD src0_sel:WORD_1 src1_sel:DWORD
	v_mov_b32_e32 v25, 0
	v_mov_b32_e32 v23, 0
	s_mov_b32 s9, exec_lo
	v_cmpx_ne_u16_e32 0, v7
	s_cbranch_execz .LBB255_1181
; %bb.1174:                             ;   in Loop: Header=BB255_1055 Depth=1
	v_bfrev_b32_e32 v22, 1
	v_mov_b32_e32 v23, 0
	s_mov_b32 s11, exec_lo
	v_cmpx_ne_u16_e32 0x80, v7
	s_cbranch_execz .LBB255_1180
; %bb.1175:                             ;   in Loop: Header=BB255_1055 Depth=1
	v_mov_b32_e32 v22, 0x7f800001
	v_bfe_u32 v10, v6, 16, 7
	v_mov_b32_e32 v23, 0
	s_mov_b32 s12, exec_lo
	v_cmpx_ne_u32_e32 0x7f, v10
	s_cbranch_execz .LBB255_1179
; %bb.1176:                             ;   in Loop: Header=BB255_1055 Depth=1
	v_mov_b32_e32 v7, 7
	s_mov_b32 s13, exec_lo
	v_and_b32_sdwa v8, v6, v7 dst_sel:DWORD dst_unused:UNUSED_PAD src0_sel:WORD_1 src1_sel:DWORD
	v_lshrrev_b32_e32 v7, 3, v10
	v_cmpx_gt_u32_e32 8, v10
; %bb.1177:                             ;   in Loop: Header=BB255_1055 Depth=1
	v_ffbh_u32_e32 v7, v8
	v_min_u32_e32 v7, 32, v7
	v_subrev_nc_u32_e32 v10, 28, v7
	v_sub_nc_u32_e32 v7, 29, v7
	v_lshlrev_b64 v[22:23], v10, v[8:9]
	v_and_b32_e32 v8, 7, v22
; %bb.1178:                             ;   in Loop: Header=BB255_1055 Depth=1
	s_or_b32 exec_lo, exec_lo, s13
	v_mov_b32_e32 v10, 24
	v_lshlrev_b32_e32 v8, 20, v8
	v_lshl_add_u32 v7, v7, 23, 0x3c000000
	v_lshlrev_b32_sdwa v10, v10, v6 dst_sel:DWORD dst_unused:UNUSED_PAD src0_sel:DWORD src1_sel:WORD_1
	v_and_b32_e32 v10, 0x80000000, v10
	v_or3_b32 v8, v8, v10, v7
	v_mov_b32_e32 v23, v9
	v_mov_b32_e32 v22, v8
.LBB255_1179:                           ;   in Loop: Header=BB255_1055 Depth=1
	s_or_b32 exec_lo, exec_lo, s12
.LBB255_1180:                           ;   in Loop: Header=BB255_1055 Depth=1
	s_or_b32 exec_lo, exec_lo, s11
.LBB255_1181:                           ;   in Loop: Header=BB255_1055 Depth=1
	s_or_b32 exec_lo, exec_lo, s9
	s_mov_b32 s9, exec_lo
	v_cmpx_lt_u32_e32 0xffffff, v6
	s_cbranch_execz .LBB255_1189
; %bb.1182:                             ;   in Loop: Header=BB255_1055 Depth=1
	v_mov_b32_e32 v10, v9
	v_mov_b32_e32 v25, v11
	v_cmp_ne_u32_sdwa s4, v6, v97 src0_sel:BYTE_3 src1_sel:DWORD
	v_mov_b32_e32 v24, v10
	s_and_saveexec_b32 s11, s4
	s_cbranch_execz .LBB255_1188
; %bb.1183:                             ;   in Loop: Header=BB255_1055 Depth=1
	v_mov_b32_e32 v12, v9
	v_mov_b32_e32 v25, v13
	v_bfe_u32 v10, v6, 24, 7
	s_mov_b32 s12, exec_lo
	v_mov_b32_e32 v24, v12
	v_cmpx_ne_u32_e32 0x7f, v10
	s_cbranch_execz .LBB255_1187
; %bb.1184:                             ;   in Loop: Header=BB255_1055 Depth=1
	v_mov_b32_e32 v7, 7
	s_mov_b32 s13, exec_lo
	v_and_b32_sdwa v8, v6, v7 dst_sel:DWORD dst_unused:UNUSED_PAD src0_sel:BYTE_3 src1_sel:DWORD
	v_lshrrev_b32_e32 v7, 3, v10
	v_cmpx_gt_u32_e32 8, v10
; %bb.1185:                             ;   in Loop: Header=BB255_1055 Depth=1
	v_ffbh_u32_e32 v7, v8
	v_min_u32_e32 v7, 32, v7
	v_subrev_nc_u32_e32 v10, 28, v7
	v_sub_nc_u32_e32 v7, 29, v7
	v_lshlrev_b64 v[24:25], v10, v[8:9]
	v_and_b32_e32 v8, 7, v24
; %bb.1186:                             ;   in Loop: Header=BB255_1055 Depth=1
	s_or_b32 exec_lo, exec_lo, s13
	v_mov_b32_e32 v10, 24
	v_lshlrev_b32_e32 v8, 20, v8
	v_lshl_add_u32 v7, v7, 23, 0x3c000000
	v_mov_b32_e32 v24, v9
	v_lshlrev_b32_sdwa v6, v10, v6 dst_sel:DWORD dst_unused:UNUSED_PAD src0_sel:DWORD src1_sel:BYTE_3
	v_and_b32_e32 v6, 0x80000000, v6
	v_or3_b32 v25, v8, v6, v7
.LBB255_1187:                           ;   in Loop: Header=BB255_1055 Depth=1
	s_or_b32 exec_lo, exec_lo, s12
.LBB255_1188:                           ;   in Loop: Header=BB255_1055 Depth=1
	s_or_b32 exec_lo, exec_lo, s11
.LBB255_1189:                           ;   in Loop: Header=BB255_1055 Depth=1
	s_or_b32 exec_lo, exec_lo, s9
	v_or_b32_e32 v6, v21, v19
	v_or_b32_e32 v7, v20, v18
	;; [unrolled: 1-line block ×4, first 2 shown]
	v_mul_f32_e32 v6, v114, v6
	buffer_store_dword v6, off, s[0:3], s32 offset:320 ; 4-byte Folded Spill
	v_mul_f32_e32 v6, v87, v7
	buffer_store_dword v6, off, s[0:3], s32 offset:312 ; 4-byte Folded Spill
	;; [unrolled: 2-line block ×4, first 2 shown]
	s_and_saveexec_b32 s9, vcc_lo
	s_cbranch_execz .LBB255_1191
; %bb.1190:                             ;   in Loop: Header=BB255_1055 Depth=1
	buffer_load_dword v6, off, s[0:3], s32 offset:312 ; 4-byte Folded Reload
	v_cmp_lt_i32_e64 s4, v43, v82
	s_waitcnt vmcnt(0)
	v_cndmask_b32_e64 v6, 0, v6, s4
	v_cmp_lt_i32_e64 s4, v45, v82
	buffer_store_dword v6, off, s[0:3], s32 offset:312 ; 4-byte Folded Spill
	buffer_load_dword v6, off, s[0:3], s32 offset:320 ; 4-byte Folded Reload
	s_waitcnt vmcnt(0)
	v_cndmask_b32_e64 v6, 0, v6, s4
	v_cmp_lt_i32_e64 s4, v44, v82
	buffer_store_dword v6, off, s[0:3], s32 offset:320 ; 4-byte Folded Spill
	buffer_load_dword v6, off, s[0:3], s32 offset:304 ; 4-byte Folded Reload
	;; [unrolled: 5-line block ×3, first 2 shown]
	s_waitcnt vmcnt(0)
	v_cndmask_b32_e64 v6, 0, v6, s4
	buffer_store_dword v6, off, s[0:3], s32 offset:296 ; 4-byte Folded Spill
.LBB255_1191:                           ;   in Loop: Header=BB255_1055 Depth=1
	s_or_b32 exec_lo, exec_lo, s9
	flat_load_dword v6, v[4:5] offset:512
	v_mov_b32_e32 v20, 0
	v_mov_b32_e32 v18, 0
	;; [unrolled: 1-line block ×4, first 2 shown]
	s_waitcnt vmcnt(0) lgkmcnt(0)
	v_cmp_ne_u16_sdwa s4, v6, v9 src0_sel:BYTE_0 src1_sel:DWORD
	s_and_saveexec_b32 s9, s4
	s_cbranch_execz .LBB255_1199
; %bb.1192:                             ;   in Loop: Header=BB255_1055 Depth=1
	v_bfrev_b32_e32 v18, 1
	v_mov_b32_e32 v19, 0
	v_cmp_ne_u16_sdwa s4, v6, v97 src0_sel:BYTE_0 src1_sel:DWORD
	s_and_saveexec_b32 s11, s4
	s_cbranch_execz .LBB255_1198
; %bb.1193:                             ;   in Loop: Header=BB255_1055 Depth=1
	v_mov_b32_e32 v18, 0x7f800001
	v_and_b32_e32 v10, 0x7f, v6
	v_mov_b32_e32 v19, 0
	s_mov_b32 s12, exec_lo
	v_cmpx_ne_u32_e32 0x7f, v10
	s_cbranch_execz .LBB255_1197
; %bb.1194:                             ;   in Loop: Header=BB255_1055 Depth=1
	v_and_b32_e32 v8, 7, v6
	v_lshrrev_b32_e32 v7, 3, v10
	s_mov_b32 s13, exec_lo
	v_cmpx_gt_u32_e32 8, v10
; %bb.1195:                             ;   in Loop: Header=BB255_1055 Depth=1
	v_ffbh_u32_e32 v7, v8
	v_min_u32_e32 v7, 32, v7
	v_subrev_nc_u32_e32 v10, 28, v7
	v_sub_nc_u32_e32 v7, 29, v7
	v_lshlrev_b64 v[18:19], v10, v[8:9]
	v_and_b32_e32 v8, 7, v18
; %bb.1196:                             ;   in Loop: Header=BB255_1055 Depth=1
	s_or_b32 exec_lo, exec_lo, s13
	v_lshlrev_b32_e32 v10, 24, v6
	v_lshlrev_b32_e32 v8, 20, v8
	v_lshl_add_u32 v7, v7, 23, 0x3c000000
	v_and_b32_e32 v10, 0x80000000, v10
	v_or3_b32 v8, v8, v10, v7
	v_mov_b32_e32 v19, v9
	v_mov_b32_e32 v18, v8
.LBB255_1197:                           ;   in Loop: Header=BB255_1055 Depth=1
	s_or_b32 exec_lo, exec_lo, s12
.LBB255_1198:                           ;   in Loop: Header=BB255_1055 Depth=1
	s_or_b32 exec_lo, exec_lo, s11
.LBB255_1199:                           ;   in Loop: Header=BB255_1055 Depth=1
	s_or_b32 exec_lo, exec_lo, s9
	v_cmp_ne_u16_sdwa s4, v6, v9 src0_sel:BYTE_1 src1_sel:DWORD
	s_and_saveexec_b32 s9, s4
	s_cbranch_execz .LBB255_1207
; %bb.1200:                             ;   in Loop: Header=BB255_1055 Depth=1
	v_mov_b32_e32 v10, v9
	v_mov_b32_e32 v21, v11
	v_cmp_ne_u16_sdwa s4, v6, v97 src0_sel:BYTE_1 src1_sel:DWORD
	v_mov_b32_e32 v20, v10
	s_and_saveexec_b32 s11, s4
	s_cbranch_execz .LBB255_1206
; %bb.1201:                             ;   in Loop: Header=BB255_1055 Depth=1
	v_mov_b32_e32 v7, 0xffff
	v_mov_b32_e32 v12, v9
	v_mov_b32_e32 v21, v13
	s_mov_b32 s12, exec_lo
	v_and_b32_sdwa v7, v7, v6 dst_sel:DWORD dst_unused:UNUSED_PAD src0_sel:DWORD src1_sel:BYTE_1
	v_mov_b32_e32 v20, v12
	v_and_b32_e32 v10, 0x7f, v7
	v_cmpx_ne_u32_e32 0x7f, v10
	s_cbranch_execz .LBB255_1205
; %bb.1202:                             ;   in Loop: Header=BB255_1055 Depth=1
	v_and_b32_e32 v8, 7, v7
	v_lshrrev_b32_e32 v7, 3, v10
	s_mov_b32 s13, exec_lo
	v_cmpx_gt_u32_e32 8, v10
; %bb.1203:                             ;   in Loop: Header=BB255_1055 Depth=1
	v_ffbh_u32_e32 v7, v8
	v_min_u32_e32 v7, 32, v7
	v_subrev_nc_u32_e32 v10, 28, v7
	v_sub_nc_u32_e32 v7, 29, v7
	v_lshlrev_b64 v[20:21], v10, v[8:9]
	v_and_b32_e32 v8, 7, v20
; %bb.1204:                             ;   in Loop: Header=BB255_1055 Depth=1
	s_or_b32 exec_lo, exec_lo, s13
	v_lshlrev_b32_e32 v10, 16, v6
	v_lshlrev_b32_e32 v8, 20, v8
	v_lshl_add_u32 v7, v7, 23, 0x3c000000
	v_mov_b32_e32 v20, v9
	v_and_b32_e32 v10, 0x80000000, v10
	v_or3_b32 v21, v8, v10, v7
.LBB255_1205:                           ;   in Loop: Header=BB255_1055 Depth=1
	s_or_b32 exec_lo, exec_lo, s12
.LBB255_1206:                           ;   in Loop: Header=BB255_1055 Depth=1
	s_or_b32 exec_lo, exec_lo, s11
.LBB255_1207:                           ;   in Loop: Header=BB255_1055 Depth=1
	s_or_b32 exec_lo, exec_lo, s9
	v_mov_b32_e32 v24, 0
	v_mov_b32_e32 v22, 0
	v_and_b32_sdwa v7, v6, v99 dst_sel:DWORD dst_unused:UNUSED_PAD src0_sel:WORD_1 src1_sel:DWORD
	v_mov_b32_e32 v25, 0
	v_mov_b32_e32 v23, 0
	s_mov_b32 s9, exec_lo
	v_cmpx_ne_u16_e32 0, v7
	s_cbranch_execz .LBB255_1215
; %bb.1208:                             ;   in Loop: Header=BB255_1055 Depth=1
	v_bfrev_b32_e32 v22, 1
	v_mov_b32_e32 v23, 0
	s_mov_b32 s11, exec_lo
	v_cmpx_ne_u16_e32 0x80, v7
	s_cbranch_execz .LBB255_1214
; %bb.1209:                             ;   in Loop: Header=BB255_1055 Depth=1
	v_mov_b32_e32 v22, 0x7f800001
	v_bfe_u32 v10, v6, 16, 7
	v_mov_b32_e32 v23, 0
	s_mov_b32 s12, exec_lo
	v_cmpx_ne_u32_e32 0x7f, v10
	s_cbranch_execz .LBB255_1213
; %bb.1210:                             ;   in Loop: Header=BB255_1055 Depth=1
	v_mov_b32_e32 v7, 7
	s_mov_b32 s13, exec_lo
	v_and_b32_sdwa v8, v6, v7 dst_sel:DWORD dst_unused:UNUSED_PAD src0_sel:WORD_1 src1_sel:DWORD
	v_lshrrev_b32_e32 v7, 3, v10
	v_cmpx_gt_u32_e32 8, v10
; %bb.1211:                             ;   in Loop: Header=BB255_1055 Depth=1
	v_ffbh_u32_e32 v7, v8
	v_min_u32_e32 v7, 32, v7
	v_subrev_nc_u32_e32 v10, 28, v7
	v_sub_nc_u32_e32 v7, 29, v7
	v_lshlrev_b64 v[22:23], v10, v[8:9]
	v_and_b32_e32 v8, 7, v22
; %bb.1212:                             ;   in Loop: Header=BB255_1055 Depth=1
	s_or_b32 exec_lo, exec_lo, s13
	v_mov_b32_e32 v10, 24
	v_lshlrev_b32_e32 v8, 20, v8
	v_lshl_add_u32 v7, v7, 23, 0x3c000000
	v_lshlrev_b32_sdwa v10, v10, v6 dst_sel:DWORD dst_unused:UNUSED_PAD src0_sel:DWORD src1_sel:WORD_1
	v_and_b32_e32 v10, 0x80000000, v10
	v_or3_b32 v8, v8, v10, v7
	v_mov_b32_e32 v23, v9
	v_mov_b32_e32 v22, v8
.LBB255_1213:                           ;   in Loop: Header=BB255_1055 Depth=1
	s_or_b32 exec_lo, exec_lo, s12
.LBB255_1214:                           ;   in Loop: Header=BB255_1055 Depth=1
	s_or_b32 exec_lo, exec_lo, s11
.LBB255_1215:                           ;   in Loop: Header=BB255_1055 Depth=1
	s_or_b32 exec_lo, exec_lo, s9
	s_mov_b32 s9, exec_lo
	v_cmpx_lt_u32_e32 0xffffff, v6
	s_cbranch_execz .LBB255_1223
; %bb.1216:                             ;   in Loop: Header=BB255_1055 Depth=1
	v_mov_b32_e32 v10, v9
	v_mov_b32_e32 v25, v11
	v_cmp_ne_u32_sdwa s4, v6, v97 src0_sel:BYTE_3 src1_sel:DWORD
	v_mov_b32_e32 v24, v10
	s_and_saveexec_b32 s11, s4
	s_cbranch_execz .LBB255_1222
; %bb.1217:                             ;   in Loop: Header=BB255_1055 Depth=1
	v_mov_b32_e32 v12, v9
	v_mov_b32_e32 v25, v13
	v_bfe_u32 v10, v6, 24, 7
	s_mov_b32 s12, exec_lo
	v_mov_b32_e32 v24, v12
	v_cmpx_ne_u32_e32 0x7f, v10
	s_cbranch_execz .LBB255_1221
; %bb.1218:                             ;   in Loop: Header=BB255_1055 Depth=1
	v_mov_b32_e32 v7, 7
	s_mov_b32 s13, exec_lo
	v_and_b32_sdwa v8, v6, v7 dst_sel:DWORD dst_unused:UNUSED_PAD src0_sel:BYTE_3 src1_sel:DWORD
	v_lshrrev_b32_e32 v7, 3, v10
	v_cmpx_gt_u32_e32 8, v10
; %bb.1219:                             ;   in Loop: Header=BB255_1055 Depth=1
	v_ffbh_u32_e32 v7, v8
	v_min_u32_e32 v7, 32, v7
	v_subrev_nc_u32_e32 v10, 28, v7
	v_sub_nc_u32_e32 v7, 29, v7
	v_lshlrev_b64 v[24:25], v10, v[8:9]
	v_and_b32_e32 v8, 7, v24
; %bb.1220:                             ;   in Loop: Header=BB255_1055 Depth=1
	s_or_b32 exec_lo, exec_lo, s13
	v_mov_b32_e32 v10, 24
	v_lshlrev_b32_e32 v8, 20, v8
	v_lshl_add_u32 v7, v7, 23, 0x3c000000
	v_mov_b32_e32 v24, v9
	v_lshlrev_b32_sdwa v6, v10, v6 dst_sel:DWORD dst_unused:UNUSED_PAD src0_sel:DWORD src1_sel:BYTE_3
	v_and_b32_e32 v6, 0x80000000, v6
	v_or3_b32 v25, v8, v6, v7
.LBB255_1221:                           ;   in Loop: Header=BB255_1055 Depth=1
	s_or_b32 exec_lo, exec_lo, s12
.LBB255_1222:                           ;   in Loop: Header=BB255_1055 Depth=1
	s_or_b32 exec_lo, exec_lo, s11
.LBB255_1223:                           ;   in Loop: Header=BB255_1055 Depth=1
	s_or_b32 exec_lo, exec_lo, s9
	v_or_b32_e32 v6, v21, v19
	v_or_b32_e32 v7, v20, v18
	;; [unrolled: 1-line block ×4, first 2 shown]
	v_mul_f32_e32 v6, v114, v6
	buffer_store_dword v6, off, s[0:3], s32 offset:352 ; 4-byte Folded Spill
	v_mul_f32_e32 v6, v87, v7
	buffer_store_dword v6, off, s[0:3], s32 offset:344 ; 4-byte Folded Spill
	;; [unrolled: 2-line block ×4, first 2 shown]
	s_and_saveexec_b32 s9, vcc_lo
	s_cbranch_execz .LBB255_1225
; %bb.1224:                             ;   in Loop: Header=BB255_1055 Depth=1
	buffer_load_dword v6, off, s[0:3], s32 offset:344 ; 4-byte Folded Reload
	v_cmp_lt_i32_e64 s4, v43, v82
	s_waitcnt vmcnt(0)
	v_cndmask_b32_e64 v6, 0, v6, s4
	v_cmp_lt_i32_e64 s4, v45, v82
	buffer_store_dword v6, off, s[0:3], s32 offset:344 ; 4-byte Folded Spill
	buffer_load_dword v6, off, s[0:3], s32 offset:352 ; 4-byte Folded Reload
	s_waitcnt vmcnt(0)
	v_cndmask_b32_e64 v6, 0, v6, s4
	v_cmp_lt_i32_e64 s4, v44, v82
	buffer_store_dword v6, off, s[0:3], s32 offset:352 ; 4-byte Folded Spill
	buffer_load_dword v6, off, s[0:3], s32 offset:336 ; 4-byte Folded Reload
	;; [unrolled: 5-line block ×3, first 2 shown]
	s_waitcnt vmcnt(0)
	v_cndmask_b32_e64 v6, 0, v6, s4
	buffer_store_dword v6, off, s[0:3], s32 offset:328 ; 4-byte Folded Spill
.LBB255_1225:                           ;   in Loop: Header=BB255_1055 Depth=1
	s_or_b32 exec_lo, exec_lo, s9
	flat_load_dword v6, v[4:5] offset:640
	v_mov_b32_e32 v20, 0
	v_mov_b32_e32 v18, 0
	;; [unrolled: 1-line block ×4, first 2 shown]
	s_waitcnt vmcnt(0) lgkmcnt(0)
	v_cmp_ne_u16_sdwa s4, v6, v9 src0_sel:BYTE_0 src1_sel:DWORD
	s_and_saveexec_b32 s9, s4
	s_cbranch_execz .LBB255_1233
; %bb.1226:                             ;   in Loop: Header=BB255_1055 Depth=1
	v_bfrev_b32_e32 v18, 1
	v_mov_b32_e32 v19, 0
	v_cmp_ne_u16_sdwa s4, v6, v97 src0_sel:BYTE_0 src1_sel:DWORD
	s_and_saveexec_b32 s11, s4
	s_cbranch_execz .LBB255_1232
; %bb.1227:                             ;   in Loop: Header=BB255_1055 Depth=1
	v_mov_b32_e32 v18, 0x7f800001
	v_and_b32_e32 v10, 0x7f, v6
	v_mov_b32_e32 v19, 0
	s_mov_b32 s12, exec_lo
	v_cmpx_ne_u32_e32 0x7f, v10
	s_cbranch_execz .LBB255_1231
; %bb.1228:                             ;   in Loop: Header=BB255_1055 Depth=1
	v_and_b32_e32 v8, 7, v6
	v_lshrrev_b32_e32 v7, 3, v10
	s_mov_b32 s13, exec_lo
	v_cmpx_gt_u32_e32 8, v10
; %bb.1229:                             ;   in Loop: Header=BB255_1055 Depth=1
	v_ffbh_u32_e32 v7, v8
	v_min_u32_e32 v7, 32, v7
	v_subrev_nc_u32_e32 v10, 28, v7
	v_sub_nc_u32_e32 v7, 29, v7
	v_lshlrev_b64 v[18:19], v10, v[8:9]
	v_and_b32_e32 v8, 7, v18
; %bb.1230:                             ;   in Loop: Header=BB255_1055 Depth=1
	s_or_b32 exec_lo, exec_lo, s13
	v_lshlrev_b32_e32 v10, 24, v6
	v_lshlrev_b32_e32 v8, 20, v8
	v_lshl_add_u32 v7, v7, 23, 0x3c000000
	v_and_b32_e32 v10, 0x80000000, v10
	v_or3_b32 v8, v8, v10, v7
	v_mov_b32_e32 v19, v9
	v_mov_b32_e32 v18, v8
.LBB255_1231:                           ;   in Loop: Header=BB255_1055 Depth=1
	s_or_b32 exec_lo, exec_lo, s12
.LBB255_1232:                           ;   in Loop: Header=BB255_1055 Depth=1
	s_or_b32 exec_lo, exec_lo, s11
.LBB255_1233:                           ;   in Loop: Header=BB255_1055 Depth=1
	s_or_b32 exec_lo, exec_lo, s9
	v_cmp_ne_u16_sdwa s4, v6, v9 src0_sel:BYTE_1 src1_sel:DWORD
	s_and_saveexec_b32 s9, s4
	s_cbranch_execz .LBB255_1241
; %bb.1234:                             ;   in Loop: Header=BB255_1055 Depth=1
	v_mov_b32_e32 v10, v9
	v_mov_b32_e32 v21, v11
	v_cmp_ne_u16_sdwa s4, v6, v97 src0_sel:BYTE_1 src1_sel:DWORD
	v_mov_b32_e32 v20, v10
	s_and_saveexec_b32 s11, s4
	s_cbranch_execz .LBB255_1240
; %bb.1235:                             ;   in Loop: Header=BB255_1055 Depth=1
	v_mov_b32_e32 v7, 0xffff
	v_mov_b32_e32 v12, v9
	;; [unrolled: 1-line block ×3, first 2 shown]
	s_mov_b32 s12, exec_lo
	v_and_b32_sdwa v7, v7, v6 dst_sel:DWORD dst_unused:UNUSED_PAD src0_sel:DWORD src1_sel:BYTE_1
	v_mov_b32_e32 v20, v12
	v_and_b32_e32 v10, 0x7f, v7
	v_cmpx_ne_u32_e32 0x7f, v10
	s_cbranch_execz .LBB255_1239
; %bb.1236:                             ;   in Loop: Header=BB255_1055 Depth=1
	v_and_b32_e32 v8, 7, v7
	v_lshrrev_b32_e32 v7, 3, v10
	s_mov_b32 s13, exec_lo
	v_cmpx_gt_u32_e32 8, v10
; %bb.1237:                             ;   in Loop: Header=BB255_1055 Depth=1
	v_ffbh_u32_e32 v7, v8
	v_min_u32_e32 v7, 32, v7
	v_subrev_nc_u32_e32 v10, 28, v7
	v_sub_nc_u32_e32 v7, 29, v7
	v_lshlrev_b64 v[20:21], v10, v[8:9]
	v_and_b32_e32 v8, 7, v20
; %bb.1238:                             ;   in Loop: Header=BB255_1055 Depth=1
	s_or_b32 exec_lo, exec_lo, s13
	v_lshlrev_b32_e32 v10, 16, v6
	v_lshlrev_b32_e32 v8, 20, v8
	v_lshl_add_u32 v7, v7, 23, 0x3c000000
	v_mov_b32_e32 v20, v9
	v_and_b32_e32 v10, 0x80000000, v10
	v_or3_b32 v21, v8, v10, v7
.LBB255_1239:                           ;   in Loop: Header=BB255_1055 Depth=1
	s_or_b32 exec_lo, exec_lo, s12
.LBB255_1240:                           ;   in Loop: Header=BB255_1055 Depth=1
	s_or_b32 exec_lo, exec_lo, s11
.LBB255_1241:                           ;   in Loop: Header=BB255_1055 Depth=1
	s_or_b32 exec_lo, exec_lo, s9
	v_mov_b32_e32 v24, 0
	v_mov_b32_e32 v22, 0
	v_and_b32_sdwa v7, v6, v99 dst_sel:DWORD dst_unused:UNUSED_PAD src0_sel:WORD_1 src1_sel:DWORD
	v_mov_b32_e32 v25, 0
	v_mov_b32_e32 v23, 0
	s_mov_b32 s9, exec_lo
	v_cmpx_ne_u16_e32 0, v7
	s_cbranch_execz .LBB255_1249
; %bb.1242:                             ;   in Loop: Header=BB255_1055 Depth=1
	v_bfrev_b32_e32 v22, 1
	v_mov_b32_e32 v23, 0
	s_mov_b32 s11, exec_lo
	v_cmpx_ne_u16_e32 0x80, v7
	s_cbranch_execz .LBB255_1248
; %bb.1243:                             ;   in Loop: Header=BB255_1055 Depth=1
	v_mov_b32_e32 v22, 0x7f800001
	v_bfe_u32 v10, v6, 16, 7
	v_mov_b32_e32 v23, 0
	s_mov_b32 s12, exec_lo
	v_cmpx_ne_u32_e32 0x7f, v10
	s_cbranch_execz .LBB255_1247
; %bb.1244:                             ;   in Loop: Header=BB255_1055 Depth=1
	v_mov_b32_e32 v7, 7
	s_mov_b32 s13, exec_lo
	v_and_b32_sdwa v8, v6, v7 dst_sel:DWORD dst_unused:UNUSED_PAD src0_sel:WORD_1 src1_sel:DWORD
	v_lshrrev_b32_e32 v7, 3, v10
	v_cmpx_gt_u32_e32 8, v10
; %bb.1245:                             ;   in Loop: Header=BB255_1055 Depth=1
	v_ffbh_u32_e32 v7, v8
	v_min_u32_e32 v7, 32, v7
	v_subrev_nc_u32_e32 v10, 28, v7
	v_sub_nc_u32_e32 v7, 29, v7
	v_lshlrev_b64 v[22:23], v10, v[8:9]
	v_and_b32_e32 v8, 7, v22
; %bb.1246:                             ;   in Loop: Header=BB255_1055 Depth=1
	s_or_b32 exec_lo, exec_lo, s13
	v_mov_b32_e32 v10, 24
	v_lshlrev_b32_e32 v8, 20, v8
	v_lshl_add_u32 v7, v7, 23, 0x3c000000
	v_lshlrev_b32_sdwa v10, v10, v6 dst_sel:DWORD dst_unused:UNUSED_PAD src0_sel:DWORD src1_sel:WORD_1
	v_and_b32_e32 v10, 0x80000000, v10
	v_or3_b32 v8, v8, v10, v7
	v_mov_b32_e32 v23, v9
	v_mov_b32_e32 v22, v8
.LBB255_1247:                           ;   in Loop: Header=BB255_1055 Depth=1
	s_or_b32 exec_lo, exec_lo, s12
.LBB255_1248:                           ;   in Loop: Header=BB255_1055 Depth=1
	s_or_b32 exec_lo, exec_lo, s11
.LBB255_1249:                           ;   in Loop: Header=BB255_1055 Depth=1
	s_or_b32 exec_lo, exec_lo, s9
	s_mov_b32 s9, exec_lo
	v_cmpx_lt_u32_e32 0xffffff, v6
	s_cbranch_execz .LBB255_1257
; %bb.1250:                             ;   in Loop: Header=BB255_1055 Depth=1
	v_mov_b32_e32 v10, v9
	v_mov_b32_e32 v25, v11
	v_cmp_ne_u32_sdwa s4, v6, v97 src0_sel:BYTE_3 src1_sel:DWORD
	v_mov_b32_e32 v24, v10
	s_and_saveexec_b32 s11, s4
	s_cbranch_execz .LBB255_1256
; %bb.1251:                             ;   in Loop: Header=BB255_1055 Depth=1
	v_mov_b32_e32 v12, v9
	v_mov_b32_e32 v25, v13
	v_bfe_u32 v10, v6, 24, 7
	s_mov_b32 s12, exec_lo
	v_mov_b32_e32 v24, v12
	v_cmpx_ne_u32_e32 0x7f, v10
	s_cbranch_execz .LBB255_1255
; %bb.1252:                             ;   in Loop: Header=BB255_1055 Depth=1
	v_mov_b32_e32 v7, 7
	s_mov_b32 s13, exec_lo
	v_and_b32_sdwa v8, v6, v7 dst_sel:DWORD dst_unused:UNUSED_PAD src0_sel:BYTE_3 src1_sel:DWORD
	v_lshrrev_b32_e32 v7, 3, v10
	v_cmpx_gt_u32_e32 8, v10
; %bb.1253:                             ;   in Loop: Header=BB255_1055 Depth=1
	v_ffbh_u32_e32 v7, v8
	v_min_u32_e32 v7, 32, v7
	v_subrev_nc_u32_e32 v10, 28, v7
	v_sub_nc_u32_e32 v7, 29, v7
	v_lshlrev_b64 v[24:25], v10, v[8:9]
	v_and_b32_e32 v8, 7, v24
; %bb.1254:                             ;   in Loop: Header=BB255_1055 Depth=1
	s_or_b32 exec_lo, exec_lo, s13
	v_mov_b32_e32 v10, 24
	v_lshlrev_b32_e32 v8, 20, v8
	v_lshl_add_u32 v7, v7, 23, 0x3c000000
	v_mov_b32_e32 v24, v9
	v_lshlrev_b32_sdwa v6, v10, v6 dst_sel:DWORD dst_unused:UNUSED_PAD src0_sel:DWORD src1_sel:BYTE_3
	v_and_b32_e32 v6, 0x80000000, v6
	v_or3_b32 v25, v8, v6, v7
.LBB255_1255:                           ;   in Loop: Header=BB255_1055 Depth=1
	s_or_b32 exec_lo, exec_lo, s12
.LBB255_1256:                           ;   in Loop: Header=BB255_1055 Depth=1
	s_or_b32 exec_lo, exec_lo, s11
.LBB255_1257:                           ;   in Loop: Header=BB255_1055 Depth=1
	s_or_b32 exec_lo, exec_lo, s9
	v_or_b32_e32 v6, v21, v19
	v_or_b32_e32 v7, v20, v18
	v_or_b32_e32 v8, v24, v22
	v_or_b32_e32 v10, v25, v23
	v_mul_f32_e32 v6, v114, v6
	buffer_store_dword v6, off, s[0:3], s32 offset:376 ; 4-byte Folded Spill
	v_mul_f32_e32 v6, v87, v7
	buffer_store_dword v6, off, s[0:3], s32 offset:384 ; 4-byte Folded Spill
	;; [unrolled: 2-line block ×4, first 2 shown]
	s_and_saveexec_b32 s9, vcc_lo
	s_cbranch_execz .LBB255_1259
; %bb.1258:                             ;   in Loop: Header=BB255_1055 Depth=1
	buffer_load_dword v6, off, s[0:3], s32 offset:384 ; 4-byte Folded Reload
	v_cmp_lt_i32_e64 s4, v43, v82
	s_waitcnt vmcnt(0)
	v_cndmask_b32_e64 v6, 0, v6, s4
	v_cmp_lt_i32_e64 s4, v45, v82
	buffer_store_dword v6, off, s[0:3], s32 offset:384 ; 4-byte Folded Spill
	buffer_load_dword v6, off, s[0:3], s32 offset:376 ; 4-byte Folded Reload
	s_waitcnt vmcnt(0)
	v_cndmask_b32_e64 v6, 0, v6, s4
	v_cmp_lt_i32_e64 s4, v44, v82
	buffer_store_dword v6, off, s[0:3], s32 offset:376 ; 4-byte Folded Spill
	buffer_load_dword v6, off, s[0:3], s32 offset:368 ; 4-byte Folded Reload
	;; [unrolled: 5-line block ×3, first 2 shown]
	s_waitcnt vmcnt(0)
	v_cndmask_b32_e64 v6, 0, v6, s4
	buffer_store_dword v6, off, s[0:3], s32 offset:360 ; 4-byte Folded Spill
.LBB255_1259:                           ;   in Loop: Header=BB255_1055 Depth=1
	s_or_b32 exec_lo, exec_lo, s9
	flat_load_dword v6, v[4:5] offset:768
	v_mov_b32_e32 v20, 0
	v_mov_b32_e32 v18, 0
	;; [unrolled: 1-line block ×4, first 2 shown]
	s_waitcnt vmcnt(0) lgkmcnt(0)
	v_cmp_ne_u16_sdwa s4, v6, v9 src0_sel:BYTE_0 src1_sel:DWORD
	s_and_saveexec_b32 s9, s4
	s_cbranch_execz .LBB255_1267
; %bb.1260:                             ;   in Loop: Header=BB255_1055 Depth=1
	v_bfrev_b32_e32 v18, 1
	v_mov_b32_e32 v19, 0
	v_cmp_ne_u16_sdwa s4, v6, v97 src0_sel:BYTE_0 src1_sel:DWORD
	s_and_saveexec_b32 s11, s4
	s_cbranch_execz .LBB255_1266
; %bb.1261:                             ;   in Loop: Header=BB255_1055 Depth=1
	v_mov_b32_e32 v18, 0x7f800001
	v_and_b32_e32 v10, 0x7f, v6
	v_mov_b32_e32 v19, 0
	s_mov_b32 s12, exec_lo
	v_cmpx_ne_u32_e32 0x7f, v10
	s_cbranch_execz .LBB255_1265
; %bb.1262:                             ;   in Loop: Header=BB255_1055 Depth=1
	v_and_b32_e32 v8, 7, v6
	v_lshrrev_b32_e32 v7, 3, v10
	s_mov_b32 s13, exec_lo
	v_cmpx_gt_u32_e32 8, v10
; %bb.1263:                             ;   in Loop: Header=BB255_1055 Depth=1
	v_ffbh_u32_e32 v7, v8
	v_min_u32_e32 v7, 32, v7
	v_subrev_nc_u32_e32 v10, 28, v7
	v_sub_nc_u32_e32 v7, 29, v7
	v_lshlrev_b64 v[18:19], v10, v[8:9]
	v_and_b32_e32 v8, 7, v18
; %bb.1264:                             ;   in Loop: Header=BB255_1055 Depth=1
	s_or_b32 exec_lo, exec_lo, s13
	v_lshlrev_b32_e32 v10, 24, v6
	v_lshlrev_b32_e32 v8, 20, v8
	v_lshl_add_u32 v7, v7, 23, 0x3c000000
	v_and_b32_e32 v10, 0x80000000, v10
	v_or3_b32 v8, v8, v10, v7
	v_mov_b32_e32 v19, v9
	v_mov_b32_e32 v18, v8
.LBB255_1265:                           ;   in Loop: Header=BB255_1055 Depth=1
	s_or_b32 exec_lo, exec_lo, s12
.LBB255_1266:                           ;   in Loop: Header=BB255_1055 Depth=1
	s_or_b32 exec_lo, exec_lo, s11
.LBB255_1267:                           ;   in Loop: Header=BB255_1055 Depth=1
	s_or_b32 exec_lo, exec_lo, s9
	v_cmp_ne_u16_sdwa s4, v6, v9 src0_sel:BYTE_1 src1_sel:DWORD
	s_and_saveexec_b32 s9, s4
	s_cbranch_execz .LBB255_1275
; %bb.1268:                             ;   in Loop: Header=BB255_1055 Depth=1
	v_mov_b32_e32 v10, v9
	v_mov_b32_e32 v21, v11
	v_cmp_ne_u16_sdwa s4, v6, v97 src0_sel:BYTE_1 src1_sel:DWORD
	v_mov_b32_e32 v20, v10
	s_and_saveexec_b32 s11, s4
	s_cbranch_execz .LBB255_1274
; %bb.1269:                             ;   in Loop: Header=BB255_1055 Depth=1
	v_mov_b32_e32 v7, 0xffff
	v_mov_b32_e32 v12, v9
	;; [unrolled: 1-line block ×3, first 2 shown]
	s_mov_b32 s12, exec_lo
	v_and_b32_sdwa v7, v7, v6 dst_sel:DWORD dst_unused:UNUSED_PAD src0_sel:DWORD src1_sel:BYTE_1
	v_mov_b32_e32 v20, v12
	v_and_b32_e32 v10, 0x7f, v7
	v_cmpx_ne_u32_e32 0x7f, v10
	s_cbranch_execz .LBB255_1273
; %bb.1270:                             ;   in Loop: Header=BB255_1055 Depth=1
	v_and_b32_e32 v8, 7, v7
	v_lshrrev_b32_e32 v7, 3, v10
	s_mov_b32 s13, exec_lo
	v_cmpx_gt_u32_e32 8, v10
; %bb.1271:                             ;   in Loop: Header=BB255_1055 Depth=1
	v_ffbh_u32_e32 v7, v8
	v_min_u32_e32 v7, 32, v7
	v_subrev_nc_u32_e32 v10, 28, v7
	v_sub_nc_u32_e32 v7, 29, v7
	v_lshlrev_b64 v[20:21], v10, v[8:9]
	v_and_b32_e32 v8, 7, v20
; %bb.1272:                             ;   in Loop: Header=BB255_1055 Depth=1
	s_or_b32 exec_lo, exec_lo, s13
	v_lshlrev_b32_e32 v10, 16, v6
	v_lshlrev_b32_e32 v8, 20, v8
	v_lshl_add_u32 v7, v7, 23, 0x3c000000
	v_mov_b32_e32 v20, v9
	v_and_b32_e32 v10, 0x80000000, v10
	v_or3_b32 v21, v8, v10, v7
.LBB255_1273:                           ;   in Loop: Header=BB255_1055 Depth=1
	s_or_b32 exec_lo, exec_lo, s12
.LBB255_1274:                           ;   in Loop: Header=BB255_1055 Depth=1
	s_or_b32 exec_lo, exec_lo, s11
.LBB255_1275:                           ;   in Loop: Header=BB255_1055 Depth=1
	s_or_b32 exec_lo, exec_lo, s9
	v_mov_b32_e32 v24, 0
	v_mov_b32_e32 v22, 0
	v_and_b32_sdwa v7, v6, v99 dst_sel:DWORD dst_unused:UNUSED_PAD src0_sel:WORD_1 src1_sel:DWORD
	v_mov_b32_e32 v25, 0
	v_mov_b32_e32 v23, 0
	s_mov_b32 s9, exec_lo
	v_cmpx_ne_u16_e32 0, v7
	s_cbranch_execz .LBB255_1283
; %bb.1276:                             ;   in Loop: Header=BB255_1055 Depth=1
	v_bfrev_b32_e32 v22, 1
	v_mov_b32_e32 v23, 0
	s_mov_b32 s11, exec_lo
	v_cmpx_ne_u16_e32 0x80, v7
	s_cbranch_execz .LBB255_1282
; %bb.1277:                             ;   in Loop: Header=BB255_1055 Depth=1
	v_mov_b32_e32 v22, 0x7f800001
	v_bfe_u32 v10, v6, 16, 7
	v_mov_b32_e32 v23, 0
	s_mov_b32 s12, exec_lo
	v_cmpx_ne_u32_e32 0x7f, v10
	s_cbranch_execz .LBB255_1281
; %bb.1278:                             ;   in Loop: Header=BB255_1055 Depth=1
	v_mov_b32_e32 v7, 7
	s_mov_b32 s13, exec_lo
	v_and_b32_sdwa v8, v6, v7 dst_sel:DWORD dst_unused:UNUSED_PAD src0_sel:WORD_1 src1_sel:DWORD
	v_lshrrev_b32_e32 v7, 3, v10
	v_cmpx_gt_u32_e32 8, v10
; %bb.1279:                             ;   in Loop: Header=BB255_1055 Depth=1
	v_ffbh_u32_e32 v7, v8
	v_min_u32_e32 v7, 32, v7
	v_subrev_nc_u32_e32 v10, 28, v7
	v_sub_nc_u32_e32 v7, 29, v7
	v_lshlrev_b64 v[22:23], v10, v[8:9]
	v_and_b32_e32 v8, 7, v22
; %bb.1280:                             ;   in Loop: Header=BB255_1055 Depth=1
	s_or_b32 exec_lo, exec_lo, s13
	v_mov_b32_e32 v10, 24
	v_lshlrev_b32_e32 v8, 20, v8
	v_lshl_add_u32 v7, v7, 23, 0x3c000000
	v_lshlrev_b32_sdwa v10, v10, v6 dst_sel:DWORD dst_unused:UNUSED_PAD src0_sel:DWORD src1_sel:WORD_1
	v_and_b32_e32 v10, 0x80000000, v10
	v_or3_b32 v8, v8, v10, v7
	v_mov_b32_e32 v23, v9
	v_mov_b32_e32 v22, v8
.LBB255_1281:                           ;   in Loop: Header=BB255_1055 Depth=1
	s_or_b32 exec_lo, exec_lo, s12
.LBB255_1282:                           ;   in Loop: Header=BB255_1055 Depth=1
	s_or_b32 exec_lo, exec_lo, s11
.LBB255_1283:                           ;   in Loop: Header=BB255_1055 Depth=1
	s_or_b32 exec_lo, exec_lo, s9
	s_mov_b32 s9, exec_lo
	v_cmpx_lt_u32_e32 0xffffff, v6
	s_cbranch_execz .LBB255_1291
; %bb.1284:                             ;   in Loop: Header=BB255_1055 Depth=1
	v_mov_b32_e32 v10, v9
	v_mov_b32_e32 v25, v11
	v_cmp_ne_u32_sdwa s4, v6, v97 src0_sel:BYTE_3 src1_sel:DWORD
	v_mov_b32_e32 v24, v10
	s_and_saveexec_b32 s11, s4
	s_cbranch_execz .LBB255_1290
; %bb.1285:                             ;   in Loop: Header=BB255_1055 Depth=1
	v_mov_b32_e32 v12, v9
	v_mov_b32_e32 v25, v13
	v_bfe_u32 v10, v6, 24, 7
	s_mov_b32 s12, exec_lo
	v_mov_b32_e32 v24, v12
	v_cmpx_ne_u32_e32 0x7f, v10
	s_cbranch_execz .LBB255_1289
; %bb.1286:                             ;   in Loop: Header=BB255_1055 Depth=1
	v_mov_b32_e32 v7, 7
	s_mov_b32 s13, exec_lo
	v_and_b32_sdwa v8, v6, v7 dst_sel:DWORD dst_unused:UNUSED_PAD src0_sel:BYTE_3 src1_sel:DWORD
	v_lshrrev_b32_e32 v7, 3, v10
	v_cmpx_gt_u32_e32 8, v10
; %bb.1287:                             ;   in Loop: Header=BB255_1055 Depth=1
	v_ffbh_u32_e32 v7, v8
	v_min_u32_e32 v7, 32, v7
	v_subrev_nc_u32_e32 v10, 28, v7
	v_sub_nc_u32_e32 v7, 29, v7
	v_lshlrev_b64 v[24:25], v10, v[8:9]
	v_and_b32_e32 v8, 7, v24
; %bb.1288:                             ;   in Loop: Header=BB255_1055 Depth=1
	s_or_b32 exec_lo, exec_lo, s13
	v_mov_b32_e32 v10, 24
	v_lshlrev_b32_e32 v8, 20, v8
	v_lshl_add_u32 v7, v7, 23, 0x3c000000
	v_mov_b32_e32 v24, v9
	v_lshlrev_b32_sdwa v6, v10, v6 dst_sel:DWORD dst_unused:UNUSED_PAD src0_sel:DWORD src1_sel:BYTE_3
	v_and_b32_e32 v6, 0x80000000, v6
	v_or3_b32 v25, v8, v6, v7
.LBB255_1289:                           ;   in Loop: Header=BB255_1055 Depth=1
	s_or_b32 exec_lo, exec_lo, s12
.LBB255_1290:                           ;   in Loop: Header=BB255_1055 Depth=1
	s_or_b32 exec_lo, exec_lo, s11
.LBB255_1291:                           ;   in Loop: Header=BB255_1055 Depth=1
	s_or_b32 exec_lo, exec_lo, s9
	v_or_b32_e32 v6, v21, v19
	v_or_b32_e32 v7, v20, v18
	v_or_b32_e32 v8, v24, v22
	v_or_b32_e32 v10, v25, v23
	v_mul_f32_e32 v6, v114, v6
	buffer_store_dword v6, off, s[0:3], s32 offset:408 ; 4-byte Folded Spill
	v_mul_f32_e32 v6, v87, v7
	buffer_store_dword v6, off, s[0:3], s32 offset:416 ; 4-byte Folded Spill
	;; [unrolled: 2-line block ×4, first 2 shown]
	s_and_saveexec_b32 s9, vcc_lo
	s_cbranch_execz .LBB255_1293
; %bb.1292:                             ;   in Loop: Header=BB255_1055 Depth=1
	buffer_load_dword v6, off, s[0:3], s32 offset:416 ; 4-byte Folded Reload
	v_cmp_lt_i32_e64 s4, v43, v82
	s_waitcnt vmcnt(0)
	v_cndmask_b32_e64 v6, 0, v6, s4
	v_cmp_lt_i32_e64 s4, v45, v82
	buffer_store_dword v6, off, s[0:3], s32 offset:416 ; 4-byte Folded Spill
	buffer_load_dword v6, off, s[0:3], s32 offset:408 ; 4-byte Folded Reload
	s_waitcnt vmcnt(0)
	v_cndmask_b32_e64 v6, 0, v6, s4
	v_cmp_lt_i32_e64 s4, v44, v82
	buffer_store_dword v6, off, s[0:3], s32 offset:408 ; 4-byte Folded Spill
	buffer_load_dword v6, off, s[0:3], s32 offset:400 ; 4-byte Folded Reload
	;; [unrolled: 5-line block ×3, first 2 shown]
	s_waitcnt vmcnt(0)
	v_cndmask_b32_e64 v6, 0, v6, s4
	buffer_store_dword v6, off, s[0:3], s32 offset:392 ; 4-byte Folded Spill
.LBB255_1293:                           ;   in Loop: Header=BB255_1055 Depth=1
	s_or_b32 exec_lo, exec_lo, s9
	flat_load_dword v6, v[4:5] offset:896
	v_mov_b32_e32 v20, 0
	v_mov_b32_e32 v18, 0
	;; [unrolled: 1-line block ×4, first 2 shown]
	s_waitcnt vmcnt(0) lgkmcnt(0)
	v_cmp_ne_u16_sdwa s4, v6, v9 src0_sel:BYTE_0 src1_sel:DWORD
	s_and_saveexec_b32 s9, s4
	s_cbranch_execz .LBB255_1301
; %bb.1294:                             ;   in Loop: Header=BB255_1055 Depth=1
	v_bfrev_b32_e32 v18, 1
	v_mov_b32_e32 v19, 0
	v_cmp_ne_u16_sdwa s4, v6, v97 src0_sel:BYTE_0 src1_sel:DWORD
	s_and_saveexec_b32 s11, s4
	s_cbranch_execz .LBB255_1300
; %bb.1295:                             ;   in Loop: Header=BB255_1055 Depth=1
	v_mov_b32_e32 v18, 0x7f800001
	v_and_b32_e32 v10, 0x7f, v6
	v_mov_b32_e32 v19, 0
	s_mov_b32 s12, exec_lo
	v_cmpx_ne_u32_e32 0x7f, v10
	s_cbranch_execz .LBB255_1299
; %bb.1296:                             ;   in Loop: Header=BB255_1055 Depth=1
	v_and_b32_e32 v8, 7, v6
	v_lshrrev_b32_e32 v7, 3, v10
	s_mov_b32 s13, exec_lo
	v_cmpx_gt_u32_e32 8, v10
; %bb.1297:                             ;   in Loop: Header=BB255_1055 Depth=1
	v_ffbh_u32_e32 v7, v8
	v_min_u32_e32 v7, 32, v7
	v_subrev_nc_u32_e32 v10, 28, v7
	v_sub_nc_u32_e32 v7, 29, v7
	v_lshlrev_b64 v[18:19], v10, v[8:9]
	v_and_b32_e32 v8, 7, v18
; %bb.1298:                             ;   in Loop: Header=BB255_1055 Depth=1
	s_or_b32 exec_lo, exec_lo, s13
	v_lshlrev_b32_e32 v10, 24, v6
	v_lshlrev_b32_e32 v8, 20, v8
	v_lshl_add_u32 v7, v7, 23, 0x3c000000
	v_and_b32_e32 v10, 0x80000000, v10
	v_or3_b32 v8, v8, v10, v7
	v_mov_b32_e32 v19, v9
	v_mov_b32_e32 v18, v8
.LBB255_1299:                           ;   in Loop: Header=BB255_1055 Depth=1
	s_or_b32 exec_lo, exec_lo, s12
.LBB255_1300:                           ;   in Loop: Header=BB255_1055 Depth=1
	s_or_b32 exec_lo, exec_lo, s11
.LBB255_1301:                           ;   in Loop: Header=BB255_1055 Depth=1
	s_or_b32 exec_lo, exec_lo, s9
	v_cmp_ne_u16_sdwa s4, v6, v9 src0_sel:BYTE_1 src1_sel:DWORD
	s_and_saveexec_b32 s9, s4
	s_cbranch_execz .LBB255_1309
; %bb.1302:                             ;   in Loop: Header=BB255_1055 Depth=1
	v_mov_b32_e32 v10, v9
	v_mov_b32_e32 v21, v11
	v_cmp_ne_u16_sdwa s4, v6, v97 src0_sel:BYTE_1 src1_sel:DWORD
	v_mov_b32_e32 v20, v10
	s_and_saveexec_b32 s11, s4
	s_cbranch_execz .LBB255_1308
; %bb.1303:                             ;   in Loop: Header=BB255_1055 Depth=1
	v_mov_b32_e32 v7, 0xffff
	v_mov_b32_e32 v12, v9
	;; [unrolled: 1-line block ×3, first 2 shown]
	s_mov_b32 s12, exec_lo
	v_and_b32_sdwa v7, v7, v6 dst_sel:DWORD dst_unused:UNUSED_PAD src0_sel:DWORD src1_sel:BYTE_1
	v_mov_b32_e32 v20, v12
	v_and_b32_e32 v10, 0x7f, v7
	v_cmpx_ne_u32_e32 0x7f, v10
	s_cbranch_execz .LBB255_1307
; %bb.1304:                             ;   in Loop: Header=BB255_1055 Depth=1
	v_and_b32_e32 v8, 7, v7
	v_lshrrev_b32_e32 v7, 3, v10
	s_mov_b32 s13, exec_lo
	v_cmpx_gt_u32_e32 8, v10
; %bb.1305:                             ;   in Loop: Header=BB255_1055 Depth=1
	v_ffbh_u32_e32 v7, v8
	v_min_u32_e32 v7, 32, v7
	v_subrev_nc_u32_e32 v10, 28, v7
	v_sub_nc_u32_e32 v7, 29, v7
	v_lshlrev_b64 v[20:21], v10, v[8:9]
	v_and_b32_e32 v8, 7, v20
; %bb.1306:                             ;   in Loop: Header=BB255_1055 Depth=1
	s_or_b32 exec_lo, exec_lo, s13
	v_lshlrev_b32_e32 v10, 16, v6
	v_lshlrev_b32_e32 v8, 20, v8
	v_lshl_add_u32 v7, v7, 23, 0x3c000000
	v_mov_b32_e32 v20, v9
	v_and_b32_e32 v10, 0x80000000, v10
	v_or3_b32 v21, v8, v10, v7
.LBB255_1307:                           ;   in Loop: Header=BB255_1055 Depth=1
	s_or_b32 exec_lo, exec_lo, s12
.LBB255_1308:                           ;   in Loop: Header=BB255_1055 Depth=1
	s_or_b32 exec_lo, exec_lo, s11
.LBB255_1309:                           ;   in Loop: Header=BB255_1055 Depth=1
	s_or_b32 exec_lo, exec_lo, s9
	v_mov_b32_e32 v24, 0
	v_mov_b32_e32 v22, 0
	v_and_b32_sdwa v7, v6, v99 dst_sel:DWORD dst_unused:UNUSED_PAD src0_sel:WORD_1 src1_sel:DWORD
	v_mov_b32_e32 v25, 0
	v_mov_b32_e32 v23, 0
	s_mov_b32 s9, exec_lo
	v_cmpx_ne_u16_e32 0, v7
	s_cbranch_execz .LBB255_1317
; %bb.1310:                             ;   in Loop: Header=BB255_1055 Depth=1
	v_bfrev_b32_e32 v22, 1
	v_mov_b32_e32 v23, 0
	s_mov_b32 s11, exec_lo
	v_cmpx_ne_u16_e32 0x80, v7
	s_cbranch_execz .LBB255_1316
; %bb.1311:                             ;   in Loop: Header=BB255_1055 Depth=1
	v_mov_b32_e32 v22, 0x7f800001
	v_bfe_u32 v10, v6, 16, 7
	v_mov_b32_e32 v23, 0
	s_mov_b32 s12, exec_lo
	v_cmpx_ne_u32_e32 0x7f, v10
	s_cbranch_execz .LBB255_1315
; %bb.1312:                             ;   in Loop: Header=BB255_1055 Depth=1
	v_mov_b32_e32 v7, 7
	s_mov_b32 s13, exec_lo
	v_and_b32_sdwa v8, v6, v7 dst_sel:DWORD dst_unused:UNUSED_PAD src0_sel:WORD_1 src1_sel:DWORD
	v_lshrrev_b32_e32 v7, 3, v10
	v_cmpx_gt_u32_e32 8, v10
; %bb.1313:                             ;   in Loop: Header=BB255_1055 Depth=1
	v_ffbh_u32_e32 v7, v8
	v_min_u32_e32 v7, 32, v7
	v_subrev_nc_u32_e32 v10, 28, v7
	v_sub_nc_u32_e32 v7, 29, v7
	v_lshlrev_b64 v[22:23], v10, v[8:9]
	v_and_b32_e32 v8, 7, v22
; %bb.1314:                             ;   in Loop: Header=BB255_1055 Depth=1
	s_or_b32 exec_lo, exec_lo, s13
	v_mov_b32_e32 v10, 24
	v_lshlrev_b32_e32 v8, 20, v8
	v_lshl_add_u32 v7, v7, 23, 0x3c000000
	v_lshlrev_b32_sdwa v10, v10, v6 dst_sel:DWORD dst_unused:UNUSED_PAD src0_sel:DWORD src1_sel:WORD_1
	v_and_b32_e32 v10, 0x80000000, v10
	v_or3_b32 v8, v8, v10, v7
	v_mov_b32_e32 v23, v9
	v_mov_b32_e32 v22, v8
.LBB255_1315:                           ;   in Loop: Header=BB255_1055 Depth=1
	s_or_b32 exec_lo, exec_lo, s12
.LBB255_1316:                           ;   in Loop: Header=BB255_1055 Depth=1
	s_or_b32 exec_lo, exec_lo, s11
.LBB255_1317:                           ;   in Loop: Header=BB255_1055 Depth=1
	s_or_b32 exec_lo, exec_lo, s9
	s_mov_b32 s9, exec_lo
	v_cmpx_lt_u32_e32 0xffffff, v6
	s_cbranch_execz .LBB255_1325
; %bb.1318:                             ;   in Loop: Header=BB255_1055 Depth=1
	v_mov_b32_e32 v10, v9
	v_mov_b32_e32 v25, v11
	v_cmp_ne_u32_sdwa s4, v6, v97 src0_sel:BYTE_3 src1_sel:DWORD
	v_mov_b32_e32 v24, v10
	s_and_saveexec_b32 s11, s4
	s_cbranch_execz .LBB255_1324
; %bb.1319:                             ;   in Loop: Header=BB255_1055 Depth=1
	v_mov_b32_e32 v12, v9
	v_mov_b32_e32 v25, v13
	v_bfe_u32 v10, v6, 24, 7
	s_mov_b32 s12, exec_lo
	v_mov_b32_e32 v24, v12
	v_cmpx_ne_u32_e32 0x7f, v10
	s_cbranch_execz .LBB255_1323
; %bb.1320:                             ;   in Loop: Header=BB255_1055 Depth=1
	v_mov_b32_e32 v7, 7
	s_mov_b32 s13, exec_lo
	v_and_b32_sdwa v8, v6, v7 dst_sel:DWORD dst_unused:UNUSED_PAD src0_sel:BYTE_3 src1_sel:DWORD
	v_lshrrev_b32_e32 v7, 3, v10
	v_cmpx_gt_u32_e32 8, v10
; %bb.1321:                             ;   in Loop: Header=BB255_1055 Depth=1
	v_ffbh_u32_e32 v7, v8
	v_min_u32_e32 v7, 32, v7
	v_subrev_nc_u32_e32 v10, 28, v7
	v_sub_nc_u32_e32 v7, 29, v7
	v_lshlrev_b64 v[24:25], v10, v[8:9]
	v_and_b32_e32 v8, 7, v24
; %bb.1322:                             ;   in Loop: Header=BB255_1055 Depth=1
	s_or_b32 exec_lo, exec_lo, s13
	v_mov_b32_e32 v10, 24
	v_lshlrev_b32_e32 v8, 20, v8
	v_lshl_add_u32 v7, v7, 23, 0x3c000000
	v_mov_b32_e32 v24, v9
	v_lshlrev_b32_sdwa v6, v10, v6 dst_sel:DWORD dst_unused:UNUSED_PAD src0_sel:DWORD src1_sel:BYTE_3
	v_and_b32_e32 v6, 0x80000000, v6
	v_or3_b32 v25, v8, v6, v7
.LBB255_1323:                           ;   in Loop: Header=BB255_1055 Depth=1
	s_or_b32 exec_lo, exec_lo, s12
.LBB255_1324:                           ;   in Loop: Header=BB255_1055 Depth=1
	s_or_b32 exec_lo, exec_lo, s11
.LBB255_1325:                           ;   in Loop: Header=BB255_1055 Depth=1
	s_or_b32 exec_lo, exec_lo, s9
	v_or_b32_e32 v6, v21, v19
	v_or_b32_e32 v7, v20, v18
	;; [unrolled: 1-line block ×4, first 2 shown]
	v_mul_f32_e32 v6, v114, v6
	buffer_store_dword v6, off, s[0:3], s32 offset:440 ; 4-byte Folded Spill
	v_mul_f32_e32 v6, v87, v7
	buffer_store_dword v6, off, s[0:3], s32 offset:448 ; 4-byte Folded Spill
	;; [unrolled: 2-line block ×4, first 2 shown]
	s_and_saveexec_b32 s9, vcc_lo
	s_cbranch_execz .LBB255_1327
; %bb.1326:                             ;   in Loop: Header=BB255_1055 Depth=1
	buffer_load_dword v6, off, s[0:3], s32 offset:448 ; 4-byte Folded Reload
	v_cmp_lt_i32_e64 s4, v43, v82
	s_waitcnt vmcnt(0)
	v_cndmask_b32_e64 v6, 0, v6, s4
	v_cmp_lt_i32_e64 s4, v45, v82
	buffer_store_dword v6, off, s[0:3], s32 offset:448 ; 4-byte Folded Spill
	buffer_load_dword v6, off, s[0:3], s32 offset:440 ; 4-byte Folded Reload
	s_waitcnt vmcnt(0)
	v_cndmask_b32_e64 v6, 0, v6, s4
	v_cmp_lt_i32_e64 s4, v44, v82
	buffer_store_dword v6, off, s[0:3], s32 offset:440 ; 4-byte Folded Spill
	buffer_load_dword v6, off, s[0:3], s32 offset:432 ; 4-byte Folded Reload
	;; [unrolled: 5-line block ×3, first 2 shown]
	s_waitcnt vmcnt(0)
	v_cndmask_b32_e64 v6, 0, v6, s4
	buffer_store_dword v6, off, s[0:3], s32 offset:424 ; 4-byte Folded Spill
.LBB255_1327:                           ;   in Loop: Header=BB255_1055 Depth=1
	s_or_b32 exec_lo, exec_lo, s9
	flat_load_dword v6, v[4:5] offset:1024
	v_mov_b32_e32 v20, 0
	v_mov_b32_e32 v18, 0
	v_mov_b32_e32 v21, 0
	v_mov_b32_e32 v19, 0
	s_waitcnt vmcnt(0) lgkmcnt(0)
	v_cmp_ne_u16_sdwa s4, v6, v9 src0_sel:BYTE_0 src1_sel:DWORD
	s_and_saveexec_b32 s9, s4
	s_cbranch_execz .LBB255_1335
; %bb.1328:                             ;   in Loop: Header=BB255_1055 Depth=1
	v_bfrev_b32_e32 v18, 1
	v_mov_b32_e32 v19, 0
	v_cmp_ne_u16_sdwa s4, v6, v97 src0_sel:BYTE_0 src1_sel:DWORD
	s_and_saveexec_b32 s11, s4
	s_cbranch_execz .LBB255_1334
; %bb.1329:                             ;   in Loop: Header=BB255_1055 Depth=1
	v_mov_b32_e32 v18, 0x7f800001
	v_and_b32_e32 v10, 0x7f, v6
	v_mov_b32_e32 v19, 0
	s_mov_b32 s12, exec_lo
	v_cmpx_ne_u32_e32 0x7f, v10
	s_cbranch_execz .LBB255_1333
; %bb.1330:                             ;   in Loop: Header=BB255_1055 Depth=1
	v_and_b32_e32 v8, 7, v6
	v_lshrrev_b32_e32 v7, 3, v10
	s_mov_b32 s13, exec_lo
	v_cmpx_gt_u32_e32 8, v10
; %bb.1331:                             ;   in Loop: Header=BB255_1055 Depth=1
	v_ffbh_u32_e32 v7, v8
	v_min_u32_e32 v7, 32, v7
	v_subrev_nc_u32_e32 v10, 28, v7
	v_sub_nc_u32_e32 v7, 29, v7
	v_lshlrev_b64 v[18:19], v10, v[8:9]
	v_and_b32_e32 v8, 7, v18
; %bb.1332:                             ;   in Loop: Header=BB255_1055 Depth=1
	s_or_b32 exec_lo, exec_lo, s13
	v_lshlrev_b32_e32 v10, 24, v6
	v_lshlrev_b32_e32 v8, 20, v8
	v_lshl_add_u32 v7, v7, 23, 0x3c000000
	v_and_b32_e32 v10, 0x80000000, v10
	v_or3_b32 v8, v8, v10, v7
	v_mov_b32_e32 v19, v9
	v_mov_b32_e32 v18, v8
.LBB255_1333:                           ;   in Loop: Header=BB255_1055 Depth=1
	s_or_b32 exec_lo, exec_lo, s12
.LBB255_1334:                           ;   in Loop: Header=BB255_1055 Depth=1
	s_or_b32 exec_lo, exec_lo, s11
.LBB255_1335:                           ;   in Loop: Header=BB255_1055 Depth=1
	s_or_b32 exec_lo, exec_lo, s9
	v_cmp_ne_u16_sdwa s4, v6, v9 src0_sel:BYTE_1 src1_sel:DWORD
	s_and_saveexec_b32 s9, s4
	s_cbranch_execz .LBB255_1343
; %bb.1336:                             ;   in Loop: Header=BB255_1055 Depth=1
	v_mov_b32_e32 v10, v9
	v_mov_b32_e32 v21, v11
	v_cmp_ne_u16_sdwa s4, v6, v97 src0_sel:BYTE_1 src1_sel:DWORD
	v_mov_b32_e32 v20, v10
	s_and_saveexec_b32 s11, s4
	s_cbranch_execz .LBB255_1342
; %bb.1337:                             ;   in Loop: Header=BB255_1055 Depth=1
	v_mov_b32_e32 v7, 0xffff
	v_mov_b32_e32 v12, v9
	;; [unrolled: 1-line block ×3, first 2 shown]
	s_mov_b32 s12, exec_lo
	v_and_b32_sdwa v7, v7, v6 dst_sel:DWORD dst_unused:UNUSED_PAD src0_sel:DWORD src1_sel:BYTE_1
	v_mov_b32_e32 v20, v12
	v_and_b32_e32 v10, 0x7f, v7
	v_cmpx_ne_u32_e32 0x7f, v10
	s_cbranch_execz .LBB255_1341
; %bb.1338:                             ;   in Loop: Header=BB255_1055 Depth=1
	v_and_b32_e32 v8, 7, v7
	v_lshrrev_b32_e32 v7, 3, v10
	s_mov_b32 s13, exec_lo
	v_cmpx_gt_u32_e32 8, v10
; %bb.1339:                             ;   in Loop: Header=BB255_1055 Depth=1
	v_ffbh_u32_e32 v7, v8
	v_min_u32_e32 v7, 32, v7
	v_subrev_nc_u32_e32 v10, 28, v7
	v_sub_nc_u32_e32 v7, 29, v7
	v_lshlrev_b64 v[20:21], v10, v[8:9]
	v_and_b32_e32 v8, 7, v20
; %bb.1340:                             ;   in Loop: Header=BB255_1055 Depth=1
	s_or_b32 exec_lo, exec_lo, s13
	v_lshlrev_b32_e32 v10, 16, v6
	v_lshlrev_b32_e32 v8, 20, v8
	v_lshl_add_u32 v7, v7, 23, 0x3c000000
	v_mov_b32_e32 v20, v9
	v_and_b32_e32 v10, 0x80000000, v10
	v_or3_b32 v21, v8, v10, v7
.LBB255_1341:                           ;   in Loop: Header=BB255_1055 Depth=1
	s_or_b32 exec_lo, exec_lo, s12
.LBB255_1342:                           ;   in Loop: Header=BB255_1055 Depth=1
	s_or_b32 exec_lo, exec_lo, s11
.LBB255_1343:                           ;   in Loop: Header=BB255_1055 Depth=1
	s_or_b32 exec_lo, exec_lo, s9
	v_mov_b32_e32 v24, 0
	v_mov_b32_e32 v22, 0
	v_and_b32_sdwa v7, v6, v99 dst_sel:DWORD dst_unused:UNUSED_PAD src0_sel:WORD_1 src1_sel:DWORD
	v_mov_b32_e32 v25, 0
	v_mov_b32_e32 v23, 0
	s_mov_b32 s9, exec_lo
	v_cmpx_ne_u16_e32 0, v7
	s_cbranch_execz .LBB255_1351
; %bb.1344:                             ;   in Loop: Header=BB255_1055 Depth=1
	v_bfrev_b32_e32 v22, 1
	v_mov_b32_e32 v23, 0
	s_mov_b32 s11, exec_lo
	v_cmpx_ne_u16_e32 0x80, v7
	s_cbranch_execz .LBB255_1350
; %bb.1345:                             ;   in Loop: Header=BB255_1055 Depth=1
	v_mov_b32_e32 v22, 0x7f800001
	v_bfe_u32 v10, v6, 16, 7
	v_mov_b32_e32 v23, 0
	s_mov_b32 s12, exec_lo
	v_cmpx_ne_u32_e32 0x7f, v10
	s_cbranch_execz .LBB255_1349
; %bb.1346:                             ;   in Loop: Header=BB255_1055 Depth=1
	v_mov_b32_e32 v7, 7
	s_mov_b32 s13, exec_lo
	v_and_b32_sdwa v8, v6, v7 dst_sel:DWORD dst_unused:UNUSED_PAD src0_sel:WORD_1 src1_sel:DWORD
	v_lshrrev_b32_e32 v7, 3, v10
	v_cmpx_gt_u32_e32 8, v10
; %bb.1347:                             ;   in Loop: Header=BB255_1055 Depth=1
	v_ffbh_u32_e32 v7, v8
	v_min_u32_e32 v7, 32, v7
	v_subrev_nc_u32_e32 v10, 28, v7
	v_sub_nc_u32_e32 v7, 29, v7
	v_lshlrev_b64 v[22:23], v10, v[8:9]
	v_and_b32_e32 v8, 7, v22
; %bb.1348:                             ;   in Loop: Header=BB255_1055 Depth=1
	s_or_b32 exec_lo, exec_lo, s13
	v_mov_b32_e32 v10, 24
	v_lshlrev_b32_e32 v8, 20, v8
	v_lshl_add_u32 v7, v7, 23, 0x3c000000
	v_lshlrev_b32_sdwa v10, v10, v6 dst_sel:DWORD dst_unused:UNUSED_PAD src0_sel:DWORD src1_sel:WORD_1
	v_and_b32_e32 v10, 0x80000000, v10
	v_or3_b32 v8, v8, v10, v7
	v_mov_b32_e32 v23, v9
	v_mov_b32_e32 v22, v8
.LBB255_1349:                           ;   in Loop: Header=BB255_1055 Depth=1
	s_or_b32 exec_lo, exec_lo, s12
.LBB255_1350:                           ;   in Loop: Header=BB255_1055 Depth=1
	s_or_b32 exec_lo, exec_lo, s11
.LBB255_1351:                           ;   in Loop: Header=BB255_1055 Depth=1
	s_or_b32 exec_lo, exec_lo, s9
	s_mov_b32 s9, exec_lo
	v_cmpx_lt_u32_e32 0xffffff, v6
	s_cbranch_execz .LBB255_1359
; %bb.1352:                             ;   in Loop: Header=BB255_1055 Depth=1
	v_mov_b32_e32 v10, v9
	v_mov_b32_e32 v25, v11
	v_cmp_ne_u32_sdwa s4, v6, v97 src0_sel:BYTE_3 src1_sel:DWORD
	v_mov_b32_e32 v24, v10
	s_and_saveexec_b32 s11, s4
	s_cbranch_execz .LBB255_1358
; %bb.1353:                             ;   in Loop: Header=BB255_1055 Depth=1
	v_mov_b32_e32 v12, v9
	v_mov_b32_e32 v25, v13
	v_bfe_u32 v10, v6, 24, 7
	s_mov_b32 s12, exec_lo
	v_mov_b32_e32 v24, v12
	v_cmpx_ne_u32_e32 0x7f, v10
	s_cbranch_execz .LBB255_1357
; %bb.1354:                             ;   in Loop: Header=BB255_1055 Depth=1
	v_mov_b32_e32 v7, 7
	s_mov_b32 s13, exec_lo
	v_and_b32_sdwa v8, v6, v7 dst_sel:DWORD dst_unused:UNUSED_PAD src0_sel:BYTE_3 src1_sel:DWORD
	v_lshrrev_b32_e32 v7, 3, v10
	v_cmpx_gt_u32_e32 8, v10
; %bb.1355:                             ;   in Loop: Header=BB255_1055 Depth=1
	v_ffbh_u32_e32 v7, v8
	v_min_u32_e32 v7, 32, v7
	v_subrev_nc_u32_e32 v10, 28, v7
	v_sub_nc_u32_e32 v7, 29, v7
	v_lshlrev_b64 v[24:25], v10, v[8:9]
	v_and_b32_e32 v8, 7, v24
; %bb.1356:                             ;   in Loop: Header=BB255_1055 Depth=1
	s_or_b32 exec_lo, exec_lo, s13
	v_mov_b32_e32 v10, 24
	v_lshlrev_b32_e32 v8, 20, v8
	v_lshl_add_u32 v7, v7, 23, 0x3c000000
	v_mov_b32_e32 v24, v9
	v_lshlrev_b32_sdwa v6, v10, v6 dst_sel:DWORD dst_unused:UNUSED_PAD src0_sel:DWORD src1_sel:BYTE_3
	v_and_b32_e32 v6, 0x80000000, v6
	v_or3_b32 v25, v8, v6, v7
.LBB255_1357:                           ;   in Loop: Header=BB255_1055 Depth=1
	s_or_b32 exec_lo, exec_lo, s12
.LBB255_1358:                           ;   in Loop: Header=BB255_1055 Depth=1
	s_or_b32 exec_lo, exec_lo, s11
.LBB255_1359:                           ;   in Loop: Header=BB255_1055 Depth=1
	s_or_b32 exec_lo, exec_lo, s9
	v_or_b32_e32 v6, v21, v19
	v_or_b32_e32 v7, v20, v18
	;; [unrolled: 1-line block ×4, first 2 shown]
	v_mul_f32_e32 v6, v114, v6
	buffer_store_dword v6, off, s[0:3], s32 offset:480 ; 4-byte Folded Spill
	v_mul_f32_e32 v6, v87, v7
	buffer_store_dword v6, off, s[0:3], s32 offset:472 ; 4-byte Folded Spill
	;; [unrolled: 2-line block ×4, first 2 shown]
	s_and_saveexec_b32 s9, vcc_lo
	s_cbranch_execz .LBB255_1361
; %bb.1360:                             ;   in Loop: Header=BB255_1055 Depth=1
	buffer_load_dword v6, off, s[0:3], s32 offset:472 ; 4-byte Folded Reload
	v_cmp_lt_i32_e64 s4, v43, v82
	s_waitcnt vmcnt(0)
	v_cndmask_b32_e64 v6, 0, v6, s4
	v_cmp_lt_i32_e64 s4, v45, v82
	buffer_store_dword v6, off, s[0:3], s32 offset:472 ; 4-byte Folded Spill
	buffer_load_dword v6, off, s[0:3], s32 offset:480 ; 4-byte Folded Reload
	s_waitcnt vmcnt(0)
	v_cndmask_b32_e64 v6, 0, v6, s4
	v_cmp_lt_i32_e64 s4, v44, v82
	buffer_store_dword v6, off, s[0:3], s32 offset:480 ; 4-byte Folded Spill
	buffer_load_dword v6, off, s[0:3], s32 offset:464 ; 4-byte Folded Reload
	;; [unrolled: 5-line block ×3, first 2 shown]
	s_waitcnt vmcnt(0)
	v_cndmask_b32_e64 v6, 0, v6, s4
	buffer_store_dword v6, off, s[0:3], s32 offset:456 ; 4-byte Folded Spill
.LBB255_1361:                           ;   in Loop: Header=BB255_1055 Depth=1
	s_or_b32 exec_lo, exec_lo, s9
	flat_load_dword v6, v[4:5] offset:1152
	v_mov_b32_e32 v20, 0
	v_mov_b32_e32 v18, 0
	;; [unrolled: 1-line block ×4, first 2 shown]
	s_waitcnt vmcnt(0) lgkmcnt(0)
	v_cmp_ne_u16_sdwa s4, v6, v9 src0_sel:BYTE_0 src1_sel:DWORD
	s_and_saveexec_b32 s9, s4
	s_cbranch_execz .LBB255_1369
; %bb.1362:                             ;   in Loop: Header=BB255_1055 Depth=1
	v_bfrev_b32_e32 v18, 1
	v_mov_b32_e32 v19, 0
	v_cmp_ne_u16_sdwa s4, v6, v97 src0_sel:BYTE_0 src1_sel:DWORD
	s_and_saveexec_b32 s11, s4
	s_cbranch_execz .LBB255_1368
; %bb.1363:                             ;   in Loop: Header=BB255_1055 Depth=1
	v_mov_b32_e32 v18, 0x7f800001
	v_and_b32_e32 v10, 0x7f, v6
	v_mov_b32_e32 v19, 0
	s_mov_b32 s12, exec_lo
	v_cmpx_ne_u32_e32 0x7f, v10
	s_cbranch_execz .LBB255_1367
; %bb.1364:                             ;   in Loop: Header=BB255_1055 Depth=1
	v_and_b32_e32 v8, 7, v6
	v_lshrrev_b32_e32 v7, 3, v10
	s_mov_b32 s13, exec_lo
	v_cmpx_gt_u32_e32 8, v10
; %bb.1365:                             ;   in Loop: Header=BB255_1055 Depth=1
	v_ffbh_u32_e32 v7, v8
	v_min_u32_e32 v7, 32, v7
	v_subrev_nc_u32_e32 v10, 28, v7
	v_sub_nc_u32_e32 v7, 29, v7
	v_lshlrev_b64 v[18:19], v10, v[8:9]
	v_and_b32_e32 v8, 7, v18
; %bb.1366:                             ;   in Loop: Header=BB255_1055 Depth=1
	s_or_b32 exec_lo, exec_lo, s13
	v_lshlrev_b32_e32 v10, 24, v6
	v_lshlrev_b32_e32 v8, 20, v8
	v_lshl_add_u32 v7, v7, 23, 0x3c000000
	v_and_b32_e32 v10, 0x80000000, v10
	v_or3_b32 v8, v8, v10, v7
	v_mov_b32_e32 v19, v9
	v_mov_b32_e32 v18, v8
.LBB255_1367:                           ;   in Loop: Header=BB255_1055 Depth=1
	s_or_b32 exec_lo, exec_lo, s12
.LBB255_1368:                           ;   in Loop: Header=BB255_1055 Depth=1
	s_or_b32 exec_lo, exec_lo, s11
.LBB255_1369:                           ;   in Loop: Header=BB255_1055 Depth=1
	s_or_b32 exec_lo, exec_lo, s9
	v_cmp_ne_u16_sdwa s4, v6, v9 src0_sel:BYTE_1 src1_sel:DWORD
	s_and_saveexec_b32 s9, s4
	s_cbranch_execz .LBB255_1377
; %bb.1370:                             ;   in Loop: Header=BB255_1055 Depth=1
	v_mov_b32_e32 v10, v9
	v_mov_b32_e32 v21, v11
	v_cmp_ne_u16_sdwa s4, v6, v97 src0_sel:BYTE_1 src1_sel:DWORD
	v_mov_b32_e32 v20, v10
	s_and_saveexec_b32 s11, s4
	s_cbranch_execz .LBB255_1376
; %bb.1371:                             ;   in Loop: Header=BB255_1055 Depth=1
	v_mov_b32_e32 v7, 0xffff
	v_mov_b32_e32 v12, v9
	;; [unrolled: 1-line block ×3, first 2 shown]
	s_mov_b32 s12, exec_lo
	v_and_b32_sdwa v7, v7, v6 dst_sel:DWORD dst_unused:UNUSED_PAD src0_sel:DWORD src1_sel:BYTE_1
	v_mov_b32_e32 v20, v12
	v_and_b32_e32 v10, 0x7f, v7
	v_cmpx_ne_u32_e32 0x7f, v10
	s_cbranch_execz .LBB255_1375
; %bb.1372:                             ;   in Loop: Header=BB255_1055 Depth=1
	v_and_b32_e32 v8, 7, v7
	v_lshrrev_b32_e32 v7, 3, v10
	s_mov_b32 s13, exec_lo
	v_cmpx_gt_u32_e32 8, v10
; %bb.1373:                             ;   in Loop: Header=BB255_1055 Depth=1
	v_ffbh_u32_e32 v7, v8
	v_min_u32_e32 v7, 32, v7
	v_subrev_nc_u32_e32 v10, 28, v7
	v_sub_nc_u32_e32 v7, 29, v7
	v_lshlrev_b64 v[20:21], v10, v[8:9]
	v_and_b32_e32 v8, 7, v20
; %bb.1374:                             ;   in Loop: Header=BB255_1055 Depth=1
	s_or_b32 exec_lo, exec_lo, s13
	v_lshlrev_b32_e32 v10, 16, v6
	v_lshlrev_b32_e32 v8, 20, v8
	v_lshl_add_u32 v7, v7, 23, 0x3c000000
	v_mov_b32_e32 v20, v9
	v_and_b32_e32 v10, 0x80000000, v10
	v_or3_b32 v21, v8, v10, v7
.LBB255_1375:                           ;   in Loop: Header=BB255_1055 Depth=1
	s_or_b32 exec_lo, exec_lo, s12
.LBB255_1376:                           ;   in Loop: Header=BB255_1055 Depth=1
	s_or_b32 exec_lo, exec_lo, s11
.LBB255_1377:                           ;   in Loop: Header=BB255_1055 Depth=1
	s_or_b32 exec_lo, exec_lo, s9
	v_mov_b32_e32 v24, 0
	v_mov_b32_e32 v22, 0
	v_and_b32_sdwa v7, v6, v99 dst_sel:DWORD dst_unused:UNUSED_PAD src0_sel:WORD_1 src1_sel:DWORD
	v_mov_b32_e32 v25, 0
	v_mov_b32_e32 v23, 0
	s_mov_b32 s9, exec_lo
	v_cmpx_ne_u16_e32 0, v7
	s_cbranch_execz .LBB255_1385
; %bb.1378:                             ;   in Loop: Header=BB255_1055 Depth=1
	v_bfrev_b32_e32 v22, 1
	v_mov_b32_e32 v23, 0
	s_mov_b32 s11, exec_lo
	v_cmpx_ne_u16_e32 0x80, v7
	s_cbranch_execz .LBB255_1384
; %bb.1379:                             ;   in Loop: Header=BB255_1055 Depth=1
	v_mov_b32_e32 v22, 0x7f800001
	v_bfe_u32 v10, v6, 16, 7
	v_mov_b32_e32 v23, 0
	s_mov_b32 s12, exec_lo
	v_cmpx_ne_u32_e32 0x7f, v10
	s_cbranch_execz .LBB255_1383
; %bb.1380:                             ;   in Loop: Header=BB255_1055 Depth=1
	v_mov_b32_e32 v7, 7
	s_mov_b32 s13, exec_lo
	v_and_b32_sdwa v8, v6, v7 dst_sel:DWORD dst_unused:UNUSED_PAD src0_sel:WORD_1 src1_sel:DWORD
	v_lshrrev_b32_e32 v7, 3, v10
	v_cmpx_gt_u32_e32 8, v10
; %bb.1381:                             ;   in Loop: Header=BB255_1055 Depth=1
	v_ffbh_u32_e32 v7, v8
	v_min_u32_e32 v7, 32, v7
	v_subrev_nc_u32_e32 v10, 28, v7
	v_sub_nc_u32_e32 v7, 29, v7
	v_lshlrev_b64 v[22:23], v10, v[8:9]
	v_and_b32_e32 v8, 7, v22
; %bb.1382:                             ;   in Loop: Header=BB255_1055 Depth=1
	s_or_b32 exec_lo, exec_lo, s13
	v_mov_b32_e32 v10, 24
	v_lshlrev_b32_e32 v8, 20, v8
	v_lshl_add_u32 v7, v7, 23, 0x3c000000
	v_lshlrev_b32_sdwa v10, v10, v6 dst_sel:DWORD dst_unused:UNUSED_PAD src0_sel:DWORD src1_sel:WORD_1
	v_and_b32_e32 v10, 0x80000000, v10
	v_or3_b32 v8, v8, v10, v7
	v_mov_b32_e32 v23, v9
	v_mov_b32_e32 v22, v8
.LBB255_1383:                           ;   in Loop: Header=BB255_1055 Depth=1
	s_or_b32 exec_lo, exec_lo, s12
.LBB255_1384:                           ;   in Loop: Header=BB255_1055 Depth=1
	s_or_b32 exec_lo, exec_lo, s11
.LBB255_1385:                           ;   in Loop: Header=BB255_1055 Depth=1
	s_or_b32 exec_lo, exec_lo, s9
	s_mov_b32 s9, exec_lo
	v_cmpx_lt_u32_e32 0xffffff, v6
	s_cbranch_execz .LBB255_1393
; %bb.1386:                             ;   in Loop: Header=BB255_1055 Depth=1
	v_mov_b32_e32 v10, v9
	v_mov_b32_e32 v25, v11
	v_cmp_ne_u32_sdwa s4, v6, v97 src0_sel:BYTE_3 src1_sel:DWORD
	v_mov_b32_e32 v24, v10
	s_and_saveexec_b32 s11, s4
	s_cbranch_execz .LBB255_1392
; %bb.1387:                             ;   in Loop: Header=BB255_1055 Depth=1
	v_mov_b32_e32 v12, v9
	v_mov_b32_e32 v25, v13
	v_bfe_u32 v10, v6, 24, 7
	s_mov_b32 s12, exec_lo
	v_mov_b32_e32 v24, v12
	v_cmpx_ne_u32_e32 0x7f, v10
	s_cbranch_execz .LBB255_1391
; %bb.1388:                             ;   in Loop: Header=BB255_1055 Depth=1
	v_mov_b32_e32 v7, 7
	s_mov_b32 s13, exec_lo
	v_and_b32_sdwa v8, v6, v7 dst_sel:DWORD dst_unused:UNUSED_PAD src0_sel:BYTE_3 src1_sel:DWORD
	v_lshrrev_b32_e32 v7, 3, v10
	v_cmpx_gt_u32_e32 8, v10
; %bb.1389:                             ;   in Loop: Header=BB255_1055 Depth=1
	v_ffbh_u32_e32 v7, v8
	v_min_u32_e32 v7, 32, v7
	v_subrev_nc_u32_e32 v10, 28, v7
	v_sub_nc_u32_e32 v7, 29, v7
	v_lshlrev_b64 v[24:25], v10, v[8:9]
	v_and_b32_e32 v8, 7, v24
; %bb.1390:                             ;   in Loop: Header=BB255_1055 Depth=1
	s_or_b32 exec_lo, exec_lo, s13
	v_mov_b32_e32 v10, 24
	v_lshlrev_b32_e32 v8, 20, v8
	v_lshl_add_u32 v7, v7, 23, 0x3c000000
	v_mov_b32_e32 v24, v9
	v_lshlrev_b32_sdwa v6, v10, v6 dst_sel:DWORD dst_unused:UNUSED_PAD src0_sel:DWORD src1_sel:BYTE_3
	v_and_b32_e32 v6, 0x80000000, v6
	v_or3_b32 v25, v8, v6, v7
.LBB255_1391:                           ;   in Loop: Header=BB255_1055 Depth=1
	s_or_b32 exec_lo, exec_lo, s12
.LBB255_1392:                           ;   in Loop: Header=BB255_1055 Depth=1
	s_or_b32 exec_lo, exec_lo, s11
.LBB255_1393:                           ;   in Loop: Header=BB255_1055 Depth=1
	s_or_b32 exec_lo, exec_lo, s9
	v_or_b32_e32 v6, v21, v19
	v_or_b32_e32 v7, v20, v18
	;; [unrolled: 1-line block ×4, first 2 shown]
	v_mul_f32_e32 v6, v114, v6
	buffer_store_dword v6, off, s[0:3], s32 offset:512 ; 4-byte Folded Spill
	v_mul_f32_e32 v6, v87, v7
	buffer_store_dword v6, off, s[0:3], s32 offset:504 ; 4-byte Folded Spill
	;; [unrolled: 2-line block ×4, first 2 shown]
	s_and_saveexec_b32 s9, vcc_lo
	s_cbranch_execz .LBB255_1395
; %bb.1394:                             ;   in Loop: Header=BB255_1055 Depth=1
	buffer_load_dword v6, off, s[0:3], s32 offset:504 ; 4-byte Folded Reload
	v_cmp_lt_i32_e64 s4, v43, v82
	s_waitcnt vmcnt(0)
	v_cndmask_b32_e64 v6, 0, v6, s4
	v_cmp_lt_i32_e64 s4, v45, v82
	buffer_store_dword v6, off, s[0:3], s32 offset:504 ; 4-byte Folded Spill
	buffer_load_dword v6, off, s[0:3], s32 offset:512 ; 4-byte Folded Reload
	s_waitcnt vmcnt(0)
	v_cndmask_b32_e64 v6, 0, v6, s4
	v_cmp_lt_i32_e64 s4, v44, v82
	buffer_store_dword v6, off, s[0:3], s32 offset:512 ; 4-byte Folded Spill
	buffer_load_dword v6, off, s[0:3], s32 offset:496 ; 4-byte Folded Reload
	;; [unrolled: 5-line block ×3, first 2 shown]
	s_waitcnt vmcnt(0)
	v_cndmask_b32_e64 v6, 0, v6, s4
	buffer_store_dword v6, off, s[0:3], s32 offset:488 ; 4-byte Folded Spill
.LBB255_1395:                           ;   in Loop: Header=BB255_1055 Depth=1
	s_or_b32 exec_lo, exec_lo, s9
	flat_load_dword v6, v[4:5] offset:1280
	v_mov_b32_e32 v20, 0
	v_mov_b32_e32 v18, 0
	;; [unrolled: 1-line block ×4, first 2 shown]
	s_waitcnt vmcnt(0) lgkmcnt(0)
	v_cmp_ne_u16_sdwa s4, v6, v9 src0_sel:BYTE_0 src1_sel:DWORD
	s_and_saveexec_b32 s9, s4
	s_cbranch_execz .LBB255_1403
; %bb.1396:                             ;   in Loop: Header=BB255_1055 Depth=1
	v_bfrev_b32_e32 v18, 1
	v_mov_b32_e32 v19, 0
	v_cmp_ne_u16_sdwa s4, v6, v97 src0_sel:BYTE_0 src1_sel:DWORD
	s_and_saveexec_b32 s11, s4
	s_cbranch_execz .LBB255_1402
; %bb.1397:                             ;   in Loop: Header=BB255_1055 Depth=1
	v_mov_b32_e32 v18, 0x7f800001
	v_and_b32_e32 v10, 0x7f, v6
	v_mov_b32_e32 v19, 0
	s_mov_b32 s12, exec_lo
	v_cmpx_ne_u32_e32 0x7f, v10
	s_cbranch_execz .LBB255_1401
; %bb.1398:                             ;   in Loop: Header=BB255_1055 Depth=1
	v_and_b32_e32 v8, 7, v6
	v_lshrrev_b32_e32 v7, 3, v10
	s_mov_b32 s13, exec_lo
	v_cmpx_gt_u32_e32 8, v10
; %bb.1399:                             ;   in Loop: Header=BB255_1055 Depth=1
	v_ffbh_u32_e32 v7, v8
	v_min_u32_e32 v7, 32, v7
	v_subrev_nc_u32_e32 v10, 28, v7
	v_sub_nc_u32_e32 v7, 29, v7
	v_lshlrev_b64 v[18:19], v10, v[8:9]
	v_and_b32_e32 v8, 7, v18
; %bb.1400:                             ;   in Loop: Header=BB255_1055 Depth=1
	s_or_b32 exec_lo, exec_lo, s13
	v_lshlrev_b32_e32 v10, 24, v6
	v_lshlrev_b32_e32 v8, 20, v8
	v_lshl_add_u32 v7, v7, 23, 0x3c000000
	v_and_b32_e32 v10, 0x80000000, v10
	v_or3_b32 v8, v8, v10, v7
	v_mov_b32_e32 v19, v9
	v_mov_b32_e32 v18, v8
.LBB255_1401:                           ;   in Loop: Header=BB255_1055 Depth=1
	s_or_b32 exec_lo, exec_lo, s12
.LBB255_1402:                           ;   in Loop: Header=BB255_1055 Depth=1
	s_or_b32 exec_lo, exec_lo, s11
.LBB255_1403:                           ;   in Loop: Header=BB255_1055 Depth=1
	s_or_b32 exec_lo, exec_lo, s9
	v_cmp_ne_u16_sdwa s4, v6, v9 src0_sel:BYTE_1 src1_sel:DWORD
	s_and_saveexec_b32 s9, s4
	s_cbranch_execz .LBB255_1411
; %bb.1404:                             ;   in Loop: Header=BB255_1055 Depth=1
	v_mov_b32_e32 v10, v9
	v_mov_b32_e32 v21, v11
	v_cmp_ne_u16_sdwa s4, v6, v97 src0_sel:BYTE_1 src1_sel:DWORD
	v_mov_b32_e32 v20, v10
	s_and_saveexec_b32 s11, s4
	s_cbranch_execz .LBB255_1410
; %bb.1405:                             ;   in Loop: Header=BB255_1055 Depth=1
	v_mov_b32_e32 v7, 0xffff
	v_mov_b32_e32 v12, v9
	;; [unrolled: 1-line block ×3, first 2 shown]
	s_mov_b32 s12, exec_lo
	v_and_b32_sdwa v7, v7, v6 dst_sel:DWORD dst_unused:UNUSED_PAD src0_sel:DWORD src1_sel:BYTE_1
	v_mov_b32_e32 v20, v12
	v_and_b32_e32 v10, 0x7f, v7
	v_cmpx_ne_u32_e32 0x7f, v10
	s_cbranch_execz .LBB255_1409
; %bb.1406:                             ;   in Loop: Header=BB255_1055 Depth=1
	v_and_b32_e32 v8, 7, v7
	v_lshrrev_b32_e32 v7, 3, v10
	s_mov_b32 s13, exec_lo
	v_cmpx_gt_u32_e32 8, v10
; %bb.1407:                             ;   in Loop: Header=BB255_1055 Depth=1
	v_ffbh_u32_e32 v7, v8
	v_min_u32_e32 v7, 32, v7
	v_subrev_nc_u32_e32 v10, 28, v7
	v_sub_nc_u32_e32 v7, 29, v7
	v_lshlrev_b64 v[20:21], v10, v[8:9]
	v_and_b32_e32 v8, 7, v20
; %bb.1408:                             ;   in Loop: Header=BB255_1055 Depth=1
	s_or_b32 exec_lo, exec_lo, s13
	v_lshlrev_b32_e32 v10, 16, v6
	v_lshlrev_b32_e32 v8, 20, v8
	v_lshl_add_u32 v7, v7, 23, 0x3c000000
	v_mov_b32_e32 v20, v9
	v_and_b32_e32 v10, 0x80000000, v10
	v_or3_b32 v21, v8, v10, v7
.LBB255_1409:                           ;   in Loop: Header=BB255_1055 Depth=1
	s_or_b32 exec_lo, exec_lo, s12
.LBB255_1410:                           ;   in Loop: Header=BB255_1055 Depth=1
	s_or_b32 exec_lo, exec_lo, s11
.LBB255_1411:                           ;   in Loop: Header=BB255_1055 Depth=1
	s_or_b32 exec_lo, exec_lo, s9
	v_mov_b32_e32 v24, 0
	v_mov_b32_e32 v22, 0
	v_and_b32_sdwa v7, v6, v99 dst_sel:DWORD dst_unused:UNUSED_PAD src0_sel:WORD_1 src1_sel:DWORD
	v_mov_b32_e32 v25, 0
	v_mov_b32_e32 v23, 0
	s_mov_b32 s9, exec_lo
	v_cmpx_ne_u16_e32 0, v7
	s_cbranch_execz .LBB255_1419
; %bb.1412:                             ;   in Loop: Header=BB255_1055 Depth=1
	v_bfrev_b32_e32 v22, 1
	v_mov_b32_e32 v23, 0
	s_mov_b32 s11, exec_lo
	v_cmpx_ne_u16_e32 0x80, v7
	s_cbranch_execz .LBB255_1418
; %bb.1413:                             ;   in Loop: Header=BB255_1055 Depth=1
	v_mov_b32_e32 v22, 0x7f800001
	v_bfe_u32 v10, v6, 16, 7
	v_mov_b32_e32 v23, 0
	s_mov_b32 s12, exec_lo
	v_cmpx_ne_u32_e32 0x7f, v10
	s_cbranch_execz .LBB255_1417
; %bb.1414:                             ;   in Loop: Header=BB255_1055 Depth=1
	v_mov_b32_e32 v7, 7
	s_mov_b32 s13, exec_lo
	v_and_b32_sdwa v8, v6, v7 dst_sel:DWORD dst_unused:UNUSED_PAD src0_sel:WORD_1 src1_sel:DWORD
	v_lshrrev_b32_e32 v7, 3, v10
	v_cmpx_gt_u32_e32 8, v10
; %bb.1415:                             ;   in Loop: Header=BB255_1055 Depth=1
	v_ffbh_u32_e32 v7, v8
	v_min_u32_e32 v7, 32, v7
	v_subrev_nc_u32_e32 v10, 28, v7
	v_sub_nc_u32_e32 v7, 29, v7
	v_lshlrev_b64 v[22:23], v10, v[8:9]
	v_and_b32_e32 v8, 7, v22
; %bb.1416:                             ;   in Loop: Header=BB255_1055 Depth=1
	s_or_b32 exec_lo, exec_lo, s13
	v_mov_b32_e32 v10, 24
	v_lshlrev_b32_e32 v8, 20, v8
	v_lshl_add_u32 v7, v7, 23, 0x3c000000
	v_lshlrev_b32_sdwa v10, v10, v6 dst_sel:DWORD dst_unused:UNUSED_PAD src0_sel:DWORD src1_sel:WORD_1
	v_and_b32_e32 v10, 0x80000000, v10
	v_or3_b32 v8, v8, v10, v7
	v_mov_b32_e32 v23, v9
	v_mov_b32_e32 v22, v8
.LBB255_1417:                           ;   in Loop: Header=BB255_1055 Depth=1
	s_or_b32 exec_lo, exec_lo, s12
.LBB255_1418:                           ;   in Loop: Header=BB255_1055 Depth=1
	s_or_b32 exec_lo, exec_lo, s11
.LBB255_1419:                           ;   in Loop: Header=BB255_1055 Depth=1
	s_or_b32 exec_lo, exec_lo, s9
	s_mov_b32 s9, exec_lo
	v_cmpx_lt_u32_e32 0xffffff, v6
	s_cbranch_execz .LBB255_1427
; %bb.1420:                             ;   in Loop: Header=BB255_1055 Depth=1
	v_mov_b32_e32 v10, v9
	v_mov_b32_e32 v25, v11
	v_cmp_ne_u32_sdwa s4, v6, v97 src0_sel:BYTE_3 src1_sel:DWORD
	v_mov_b32_e32 v24, v10
	s_and_saveexec_b32 s11, s4
	s_cbranch_execz .LBB255_1426
; %bb.1421:                             ;   in Loop: Header=BB255_1055 Depth=1
	v_mov_b32_e32 v12, v9
	v_mov_b32_e32 v25, v13
	v_bfe_u32 v10, v6, 24, 7
	s_mov_b32 s12, exec_lo
	v_mov_b32_e32 v24, v12
	v_cmpx_ne_u32_e32 0x7f, v10
	s_cbranch_execz .LBB255_1425
; %bb.1422:                             ;   in Loop: Header=BB255_1055 Depth=1
	v_mov_b32_e32 v7, 7
	s_mov_b32 s13, exec_lo
	v_and_b32_sdwa v8, v6, v7 dst_sel:DWORD dst_unused:UNUSED_PAD src0_sel:BYTE_3 src1_sel:DWORD
	v_lshrrev_b32_e32 v7, 3, v10
	v_cmpx_gt_u32_e32 8, v10
; %bb.1423:                             ;   in Loop: Header=BB255_1055 Depth=1
	v_ffbh_u32_e32 v7, v8
	v_min_u32_e32 v7, 32, v7
	v_subrev_nc_u32_e32 v10, 28, v7
	v_sub_nc_u32_e32 v7, 29, v7
	v_lshlrev_b64 v[24:25], v10, v[8:9]
	v_and_b32_e32 v8, 7, v24
; %bb.1424:                             ;   in Loop: Header=BB255_1055 Depth=1
	s_or_b32 exec_lo, exec_lo, s13
	v_mov_b32_e32 v10, 24
	v_lshlrev_b32_e32 v8, 20, v8
	v_lshl_add_u32 v7, v7, 23, 0x3c000000
	v_mov_b32_e32 v24, v9
	v_lshlrev_b32_sdwa v6, v10, v6 dst_sel:DWORD dst_unused:UNUSED_PAD src0_sel:DWORD src1_sel:BYTE_3
	v_and_b32_e32 v6, 0x80000000, v6
	v_or3_b32 v25, v8, v6, v7
.LBB255_1425:                           ;   in Loop: Header=BB255_1055 Depth=1
	s_or_b32 exec_lo, exec_lo, s12
.LBB255_1426:                           ;   in Loop: Header=BB255_1055 Depth=1
	s_or_b32 exec_lo, exec_lo, s11
.LBB255_1427:                           ;   in Loop: Header=BB255_1055 Depth=1
	s_or_b32 exec_lo, exec_lo, s9
	v_or_b32_e32 v6, v21, v19
	v_or_b32_e32 v7, v20, v18
	;; [unrolled: 1-line block ×4, first 2 shown]
	v_mul_f32_e32 v6, v114, v6
	buffer_store_dword v6, off, s[0:3], s32 offset:536 ; 4-byte Folded Spill
	v_mul_f32_e32 v6, v87, v7
	buffer_store_dword v6, off, s[0:3], s32 offset:544 ; 4-byte Folded Spill
	;; [unrolled: 2-line block ×4, first 2 shown]
	s_and_saveexec_b32 s9, vcc_lo
	s_cbranch_execz .LBB255_1429
; %bb.1428:                             ;   in Loop: Header=BB255_1055 Depth=1
	buffer_load_dword v6, off, s[0:3], s32 offset:544 ; 4-byte Folded Reload
	v_cmp_lt_i32_e64 s4, v43, v82
	s_waitcnt vmcnt(0)
	v_cndmask_b32_e64 v6, 0, v6, s4
	v_cmp_lt_i32_e64 s4, v45, v82
	buffer_store_dword v6, off, s[0:3], s32 offset:544 ; 4-byte Folded Spill
	buffer_load_dword v6, off, s[0:3], s32 offset:536 ; 4-byte Folded Reload
	s_waitcnt vmcnt(0)
	v_cndmask_b32_e64 v6, 0, v6, s4
	v_cmp_lt_i32_e64 s4, v44, v82
	buffer_store_dword v6, off, s[0:3], s32 offset:536 ; 4-byte Folded Spill
	buffer_load_dword v6, off, s[0:3], s32 offset:528 ; 4-byte Folded Reload
	s_waitcnt vmcnt(0)
	v_cndmask_b32_e64 v6, 0, v6, s4
	v_cmp_lt_i32_e64 s4, v112, v82
	buffer_store_dword v6, off, s[0:3], s32 offset:528 ; 4-byte Folded Spill
	buffer_load_dword v6, off, s[0:3], s32 offset:520 ; 4-byte Folded Reload
	s_waitcnt vmcnt(0)
	v_cndmask_b32_e64 v6, 0, v6, s4
	buffer_store_dword v6, off, s[0:3], s32 offset:520 ; 4-byte Folded Spill
.LBB255_1429:                           ;   in Loop: Header=BB255_1055 Depth=1
	s_or_b32 exec_lo, exec_lo, s9
	flat_load_dword v6, v[4:5] offset:1408
	v_mov_b32_e32 v20, 0
	v_mov_b32_e32 v18, 0
	;; [unrolled: 1-line block ×4, first 2 shown]
	s_waitcnt vmcnt(0) lgkmcnt(0)
	v_cmp_ne_u16_sdwa s4, v6, v9 src0_sel:BYTE_0 src1_sel:DWORD
	s_and_saveexec_b32 s9, s4
	s_cbranch_execz .LBB255_1437
; %bb.1430:                             ;   in Loop: Header=BB255_1055 Depth=1
	v_bfrev_b32_e32 v18, 1
	v_mov_b32_e32 v19, 0
	v_cmp_ne_u16_sdwa s4, v6, v97 src0_sel:BYTE_0 src1_sel:DWORD
	s_and_saveexec_b32 s11, s4
	s_cbranch_execz .LBB255_1436
; %bb.1431:                             ;   in Loop: Header=BB255_1055 Depth=1
	v_mov_b32_e32 v18, 0x7f800001
	v_and_b32_e32 v10, 0x7f, v6
	v_mov_b32_e32 v19, 0
	s_mov_b32 s12, exec_lo
	v_cmpx_ne_u32_e32 0x7f, v10
	s_cbranch_execz .LBB255_1435
; %bb.1432:                             ;   in Loop: Header=BB255_1055 Depth=1
	v_and_b32_e32 v8, 7, v6
	v_lshrrev_b32_e32 v7, 3, v10
	s_mov_b32 s13, exec_lo
	v_cmpx_gt_u32_e32 8, v10
; %bb.1433:                             ;   in Loop: Header=BB255_1055 Depth=1
	v_ffbh_u32_e32 v7, v8
	v_min_u32_e32 v7, 32, v7
	v_subrev_nc_u32_e32 v10, 28, v7
	v_sub_nc_u32_e32 v7, 29, v7
	v_lshlrev_b64 v[18:19], v10, v[8:9]
	v_and_b32_e32 v8, 7, v18
; %bb.1434:                             ;   in Loop: Header=BB255_1055 Depth=1
	s_or_b32 exec_lo, exec_lo, s13
	v_lshlrev_b32_e32 v10, 24, v6
	v_lshlrev_b32_e32 v8, 20, v8
	v_lshl_add_u32 v7, v7, 23, 0x3c000000
	v_and_b32_e32 v10, 0x80000000, v10
	v_or3_b32 v8, v8, v10, v7
	v_mov_b32_e32 v19, v9
	v_mov_b32_e32 v18, v8
.LBB255_1435:                           ;   in Loop: Header=BB255_1055 Depth=1
	s_or_b32 exec_lo, exec_lo, s12
.LBB255_1436:                           ;   in Loop: Header=BB255_1055 Depth=1
	s_or_b32 exec_lo, exec_lo, s11
.LBB255_1437:                           ;   in Loop: Header=BB255_1055 Depth=1
	s_or_b32 exec_lo, exec_lo, s9
	v_cmp_ne_u16_sdwa s4, v6, v9 src0_sel:BYTE_1 src1_sel:DWORD
	s_and_saveexec_b32 s9, s4
	s_cbranch_execz .LBB255_1445
; %bb.1438:                             ;   in Loop: Header=BB255_1055 Depth=1
	v_mov_b32_e32 v10, v9
	v_mov_b32_e32 v21, v11
	v_cmp_ne_u16_sdwa s4, v6, v97 src0_sel:BYTE_1 src1_sel:DWORD
	v_mov_b32_e32 v20, v10
	s_and_saveexec_b32 s11, s4
	s_cbranch_execz .LBB255_1444
; %bb.1439:                             ;   in Loop: Header=BB255_1055 Depth=1
	v_mov_b32_e32 v7, 0xffff
	v_mov_b32_e32 v12, v9
	;; [unrolled: 1-line block ×3, first 2 shown]
	s_mov_b32 s12, exec_lo
	v_and_b32_sdwa v7, v7, v6 dst_sel:DWORD dst_unused:UNUSED_PAD src0_sel:DWORD src1_sel:BYTE_1
	v_mov_b32_e32 v20, v12
	v_and_b32_e32 v10, 0x7f, v7
	v_cmpx_ne_u32_e32 0x7f, v10
	s_cbranch_execz .LBB255_1443
; %bb.1440:                             ;   in Loop: Header=BB255_1055 Depth=1
	v_and_b32_e32 v8, 7, v7
	v_lshrrev_b32_e32 v7, 3, v10
	s_mov_b32 s13, exec_lo
	v_cmpx_gt_u32_e32 8, v10
; %bb.1441:                             ;   in Loop: Header=BB255_1055 Depth=1
	v_ffbh_u32_e32 v7, v8
	v_min_u32_e32 v7, 32, v7
	v_subrev_nc_u32_e32 v10, 28, v7
	v_sub_nc_u32_e32 v7, 29, v7
	v_lshlrev_b64 v[20:21], v10, v[8:9]
	v_and_b32_e32 v8, 7, v20
; %bb.1442:                             ;   in Loop: Header=BB255_1055 Depth=1
	s_or_b32 exec_lo, exec_lo, s13
	v_lshlrev_b32_e32 v10, 16, v6
	v_lshlrev_b32_e32 v8, 20, v8
	v_lshl_add_u32 v7, v7, 23, 0x3c000000
	v_mov_b32_e32 v20, v9
	v_and_b32_e32 v10, 0x80000000, v10
	v_or3_b32 v21, v8, v10, v7
.LBB255_1443:                           ;   in Loop: Header=BB255_1055 Depth=1
	s_or_b32 exec_lo, exec_lo, s12
.LBB255_1444:                           ;   in Loop: Header=BB255_1055 Depth=1
	s_or_b32 exec_lo, exec_lo, s11
.LBB255_1445:                           ;   in Loop: Header=BB255_1055 Depth=1
	s_or_b32 exec_lo, exec_lo, s9
	v_mov_b32_e32 v22, 0
	v_mov_b32_e32 v24, 0
	v_and_b32_sdwa v7, v6, v99 dst_sel:DWORD dst_unused:UNUSED_PAD src0_sel:WORD_1 src1_sel:DWORD
	v_mov_b32_e32 v23, 0
	v_mov_b32_e32 v25, 0
	s_mov_b32 s9, exec_lo
	v_cmpx_ne_u16_e32 0, v7
	s_cbranch_execz .LBB255_1453
; %bb.1446:                             ;   in Loop: Header=BB255_1055 Depth=1
	v_bfrev_b32_e32 v24, 1
	v_mov_b32_e32 v25, 0
	s_mov_b32 s11, exec_lo
	v_cmpx_ne_u16_e32 0x80, v7
	s_cbranch_execz .LBB255_1452
; %bb.1447:                             ;   in Loop: Header=BB255_1055 Depth=1
	v_mov_b32_e32 v24, 0x7f800001
	v_bfe_u32 v10, v6, 16, 7
	v_mov_b32_e32 v25, 0
	s_mov_b32 s12, exec_lo
	v_cmpx_ne_u32_e32 0x7f, v10
	s_cbranch_execz .LBB255_1451
; %bb.1448:                             ;   in Loop: Header=BB255_1055 Depth=1
	v_mov_b32_e32 v7, 7
	s_mov_b32 s13, exec_lo
	v_and_b32_sdwa v8, v6, v7 dst_sel:DWORD dst_unused:UNUSED_PAD src0_sel:WORD_1 src1_sel:DWORD
	v_lshrrev_b32_e32 v7, 3, v10
	v_cmpx_gt_u32_e32 8, v10
; %bb.1449:                             ;   in Loop: Header=BB255_1055 Depth=1
	v_ffbh_u32_e32 v7, v8
	v_min_u32_e32 v7, 32, v7
	v_subrev_nc_u32_e32 v10, 28, v7
	v_sub_nc_u32_e32 v7, 29, v7
	v_lshlrev_b64 v[24:25], v10, v[8:9]
	v_and_b32_e32 v8, 7, v24
; %bb.1450:                             ;   in Loop: Header=BB255_1055 Depth=1
	s_or_b32 exec_lo, exec_lo, s13
	v_mov_b32_e32 v10, 24
	v_lshlrev_b32_e32 v8, 20, v8
	v_lshl_add_u32 v7, v7, 23, 0x3c000000
	v_lshlrev_b32_sdwa v10, v10, v6 dst_sel:DWORD dst_unused:UNUSED_PAD src0_sel:DWORD src1_sel:WORD_1
	v_and_b32_e32 v10, 0x80000000, v10
	v_or3_b32 v8, v8, v10, v7
	v_mov_b32_e32 v25, v9
	v_mov_b32_e32 v24, v8
.LBB255_1451:                           ;   in Loop: Header=BB255_1055 Depth=1
	s_or_b32 exec_lo, exec_lo, s12
.LBB255_1452:                           ;   in Loop: Header=BB255_1055 Depth=1
	s_or_b32 exec_lo, exec_lo, s11
.LBB255_1453:                           ;   in Loop: Header=BB255_1055 Depth=1
	s_or_b32 exec_lo, exec_lo, s9
	s_mov_b32 s9, exec_lo
	v_cmpx_lt_u32_e32 0xffffff, v6
	s_cbranch_execz .LBB255_1461
; %bb.1454:                             ;   in Loop: Header=BB255_1055 Depth=1
	v_mov_b32_e32 v10, v9
	v_mov_b32_e32 v23, v11
	v_cmp_ne_u32_sdwa s4, v6, v97 src0_sel:BYTE_3 src1_sel:DWORD
	v_mov_b32_e32 v22, v10
	s_and_saveexec_b32 s11, s4
	s_cbranch_execz .LBB255_1460
; %bb.1455:                             ;   in Loop: Header=BB255_1055 Depth=1
	v_mov_b32_e32 v12, v9
	v_mov_b32_e32 v23, v13
	v_bfe_u32 v10, v6, 24, 7
	s_mov_b32 s12, exec_lo
	v_mov_b32_e32 v22, v12
	v_cmpx_ne_u32_e32 0x7f, v10
	s_cbranch_execz .LBB255_1459
; %bb.1456:                             ;   in Loop: Header=BB255_1055 Depth=1
	v_mov_b32_e32 v7, 7
	s_mov_b32 s13, exec_lo
	v_and_b32_sdwa v8, v6, v7 dst_sel:DWORD dst_unused:UNUSED_PAD src0_sel:BYTE_3 src1_sel:DWORD
	v_lshrrev_b32_e32 v7, 3, v10
	v_cmpx_gt_u32_e32 8, v10
; %bb.1457:                             ;   in Loop: Header=BB255_1055 Depth=1
	v_ffbh_u32_e32 v7, v8
	v_min_u32_e32 v7, 32, v7
	v_subrev_nc_u32_e32 v10, 28, v7
	v_sub_nc_u32_e32 v7, 29, v7
	v_lshlrev_b64 v[22:23], v10, v[8:9]
	v_and_b32_e32 v8, 7, v22
; %bb.1458:                             ;   in Loop: Header=BB255_1055 Depth=1
	s_or_b32 exec_lo, exec_lo, s13
	v_mov_b32_e32 v10, 24
	v_lshlrev_b32_e32 v8, 20, v8
	v_lshl_add_u32 v7, v7, 23, 0x3c000000
	v_mov_b32_e32 v22, v9
	v_lshlrev_b32_sdwa v6, v10, v6 dst_sel:DWORD dst_unused:UNUSED_PAD src0_sel:DWORD src1_sel:BYTE_3
	v_and_b32_e32 v6, 0x80000000, v6
	v_or3_b32 v23, v8, v6, v7
.LBB255_1459:                           ;   in Loop: Header=BB255_1055 Depth=1
	s_or_b32 exec_lo, exec_lo, s12
.LBB255_1460:                           ;   in Loop: Header=BB255_1055 Depth=1
	s_or_b32 exec_lo, exec_lo, s11
.LBB255_1461:                           ;   in Loop: Header=BB255_1055 Depth=1
	s_or_b32 exec_lo, exec_lo, s9
	v_or_b32_e32 v6, v21, v19
	v_or_b32_e32 v7, v20, v18
	;; [unrolled: 1-line block ×4, first 2 shown]
	v_mul_f32_e32 v6, v114, v6
	buffer_store_dword v6, off, s[0:3], s32 offset:568 ; 4-byte Folded Spill
	v_mul_f32_e32 v6, v87, v7
	buffer_store_dword v6, off, s[0:3], s32 offset:576 ; 4-byte Folded Spill
	;; [unrolled: 2-line block ×4, first 2 shown]
	s_and_saveexec_b32 s9, vcc_lo
	s_cbranch_execz .LBB255_1463
; %bb.1462:                             ;   in Loop: Header=BB255_1055 Depth=1
	buffer_load_dword v6, off, s[0:3], s32 offset:576 ; 4-byte Folded Reload
	v_cmp_lt_i32_e64 s4, v43, v82
	s_waitcnt vmcnt(0)
	v_cndmask_b32_e64 v6, 0, v6, s4
	v_cmp_lt_i32_e64 s4, v45, v82
	buffer_store_dword v6, off, s[0:3], s32 offset:576 ; 4-byte Folded Spill
	buffer_load_dword v6, off, s[0:3], s32 offset:568 ; 4-byte Folded Reload
	s_waitcnt vmcnt(0)
	v_cndmask_b32_e64 v6, 0, v6, s4
	v_cmp_lt_i32_e64 s4, v44, v82
	buffer_store_dword v6, off, s[0:3], s32 offset:568 ; 4-byte Folded Spill
	buffer_load_dword v6, off, s[0:3], s32 offset:560 ; 4-byte Folded Reload
	;; [unrolled: 5-line block ×3, first 2 shown]
	s_waitcnt vmcnt(0)
	v_cndmask_b32_e64 v6, 0, v6, s4
	buffer_store_dword v6, off, s[0:3], s32 offset:552 ; 4-byte Folded Spill
.LBB255_1463:                           ;   in Loop: Header=BB255_1055 Depth=1
	s_or_b32 exec_lo, exec_lo, s9
	flat_load_dword v6, v[4:5] offset:1536
	v_mov_b32_e32 v20, 0
	v_mov_b32_e32 v18, 0
	;; [unrolled: 1-line block ×4, first 2 shown]
	s_waitcnt vmcnt(0) lgkmcnt(0)
	v_cmp_ne_u16_sdwa s4, v6, v9 src0_sel:BYTE_0 src1_sel:DWORD
	s_and_saveexec_b32 s9, s4
	s_cbranch_execz .LBB255_1471
; %bb.1464:                             ;   in Loop: Header=BB255_1055 Depth=1
	v_bfrev_b32_e32 v18, 1
	v_mov_b32_e32 v19, 0
	v_cmp_ne_u16_sdwa s4, v6, v97 src0_sel:BYTE_0 src1_sel:DWORD
	s_and_saveexec_b32 s11, s4
	s_cbranch_execz .LBB255_1470
; %bb.1465:                             ;   in Loop: Header=BB255_1055 Depth=1
	v_mov_b32_e32 v18, 0x7f800001
	v_and_b32_e32 v10, 0x7f, v6
	v_mov_b32_e32 v19, 0
	s_mov_b32 s12, exec_lo
	v_cmpx_ne_u32_e32 0x7f, v10
	s_cbranch_execz .LBB255_1469
; %bb.1466:                             ;   in Loop: Header=BB255_1055 Depth=1
	v_and_b32_e32 v8, 7, v6
	v_lshrrev_b32_e32 v7, 3, v10
	s_mov_b32 s13, exec_lo
	v_cmpx_gt_u32_e32 8, v10
; %bb.1467:                             ;   in Loop: Header=BB255_1055 Depth=1
	v_ffbh_u32_e32 v7, v8
	v_min_u32_e32 v7, 32, v7
	v_subrev_nc_u32_e32 v10, 28, v7
	v_sub_nc_u32_e32 v7, 29, v7
	v_lshlrev_b64 v[18:19], v10, v[8:9]
	v_and_b32_e32 v8, 7, v18
; %bb.1468:                             ;   in Loop: Header=BB255_1055 Depth=1
	s_or_b32 exec_lo, exec_lo, s13
	v_lshlrev_b32_e32 v10, 24, v6
	v_lshlrev_b32_e32 v8, 20, v8
	v_lshl_add_u32 v7, v7, 23, 0x3c000000
	v_and_b32_e32 v10, 0x80000000, v10
	v_or3_b32 v8, v8, v10, v7
	v_mov_b32_e32 v19, v9
	v_mov_b32_e32 v18, v8
.LBB255_1469:                           ;   in Loop: Header=BB255_1055 Depth=1
	s_or_b32 exec_lo, exec_lo, s12
.LBB255_1470:                           ;   in Loop: Header=BB255_1055 Depth=1
	s_or_b32 exec_lo, exec_lo, s11
.LBB255_1471:                           ;   in Loop: Header=BB255_1055 Depth=1
	s_or_b32 exec_lo, exec_lo, s9
	v_cmp_ne_u16_sdwa s4, v6, v9 src0_sel:BYTE_1 src1_sel:DWORD
	s_and_saveexec_b32 s9, s4
	s_cbranch_execz .LBB255_1479
; %bb.1472:                             ;   in Loop: Header=BB255_1055 Depth=1
	v_mov_b32_e32 v10, v9
	v_mov_b32_e32 v21, v11
	v_cmp_ne_u16_sdwa s4, v6, v97 src0_sel:BYTE_1 src1_sel:DWORD
	v_mov_b32_e32 v20, v10
	s_and_saveexec_b32 s11, s4
	s_cbranch_execz .LBB255_1478
; %bb.1473:                             ;   in Loop: Header=BB255_1055 Depth=1
	v_mov_b32_e32 v7, 0xffff
	v_mov_b32_e32 v12, v9
	;; [unrolled: 1-line block ×3, first 2 shown]
	s_mov_b32 s12, exec_lo
	v_and_b32_sdwa v7, v7, v6 dst_sel:DWORD dst_unused:UNUSED_PAD src0_sel:DWORD src1_sel:BYTE_1
	v_mov_b32_e32 v20, v12
	v_and_b32_e32 v10, 0x7f, v7
	v_cmpx_ne_u32_e32 0x7f, v10
	s_cbranch_execz .LBB255_1477
; %bb.1474:                             ;   in Loop: Header=BB255_1055 Depth=1
	v_and_b32_e32 v8, 7, v7
	v_lshrrev_b32_e32 v7, 3, v10
	s_mov_b32 s13, exec_lo
	v_cmpx_gt_u32_e32 8, v10
; %bb.1475:                             ;   in Loop: Header=BB255_1055 Depth=1
	v_ffbh_u32_e32 v7, v8
	v_min_u32_e32 v7, 32, v7
	v_subrev_nc_u32_e32 v10, 28, v7
	v_sub_nc_u32_e32 v7, 29, v7
	v_lshlrev_b64 v[20:21], v10, v[8:9]
	v_and_b32_e32 v8, 7, v20
; %bb.1476:                             ;   in Loop: Header=BB255_1055 Depth=1
	s_or_b32 exec_lo, exec_lo, s13
	v_lshlrev_b32_e32 v10, 16, v6
	v_lshlrev_b32_e32 v8, 20, v8
	v_lshl_add_u32 v7, v7, 23, 0x3c000000
	v_mov_b32_e32 v20, v9
	v_and_b32_e32 v10, 0x80000000, v10
	v_or3_b32 v21, v8, v10, v7
.LBB255_1477:                           ;   in Loop: Header=BB255_1055 Depth=1
	s_or_b32 exec_lo, exec_lo, s12
.LBB255_1478:                           ;   in Loop: Header=BB255_1055 Depth=1
	s_or_b32 exec_lo, exec_lo, s11
.LBB255_1479:                           ;   in Loop: Header=BB255_1055 Depth=1
	s_or_b32 exec_lo, exec_lo, s9
	v_mov_b32_e32 v22, 0
	v_mov_b32_e32 v24, 0
	v_and_b32_sdwa v7, v6, v99 dst_sel:DWORD dst_unused:UNUSED_PAD src0_sel:WORD_1 src1_sel:DWORD
	v_mov_b32_e32 v23, 0
	v_mov_b32_e32 v25, 0
	s_mov_b32 s9, exec_lo
	v_cmpx_ne_u16_e32 0, v7
	s_cbranch_execz .LBB255_1487
; %bb.1480:                             ;   in Loop: Header=BB255_1055 Depth=1
	v_bfrev_b32_e32 v24, 1
	v_mov_b32_e32 v25, 0
	s_mov_b32 s11, exec_lo
	v_cmpx_ne_u16_e32 0x80, v7
	s_cbranch_execz .LBB255_1486
; %bb.1481:                             ;   in Loop: Header=BB255_1055 Depth=1
	v_mov_b32_e32 v24, 0x7f800001
	v_bfe_u32 v10, v6, 16, 7
	v_mov_b32_e32 v25, 0
	s_mov_b32 s12, exec_lo
	v_cmpx_ne_u32_e32 0x7f, v10
	s_cbranch_execz .LBB255_1485
; %bb.1482:                             ;   in Loop: Header=BB255_1055 Depth=1
	v_mov_b32_e32 v7, 7
	s_mov_b32 s13, exec_lo
	v_and_b32_sdwa v8, v6, v7 dst_sel:DWORD dst_unused:UNUSED_PAD src0_sel:WORD_1 src1_sel:DWORD
	v_lshrrev_b32_e32 v7, 3, v10
	v_cmpx_gt_u32_e32 8, v10
; %bb.1483:                             ;   in Loop: Header=BB255_1055 Depth=1
	v_ffbh_u32_e32 v7, v8
	v_min_u32_e32 v7, 32, v7
	v_subrev_nc_u32_e32 v10, 28, v7
	v_sub_nc_u32_e32 v7, 29, v7
	v_lshlrev_b64 v[24:25], v10, v[8:9]
	v_and_b32_e32 v8, 7, v24
; %bb.1484:                             ;   in Loop: Header=BB255_1055 Depth=1
	s_or_b32 exec_lo, exec_lo, s13
	v_mov_b32_e32 v10, 24
	v_lshlrev_b32_e32 v8, 20, v8
	v_lshl_add_u32 v7, v7, 23, 0x3c000000
	v_lshlrev_b32_sdwa v10, v10, v6 dst_sel:DWORD dst_unused:UNUSED_PAD src0_sel:DWORD src1_sel:WORD_1
	v_and_b32_e32 v10, 0x80000000, v10
	v_or3_b32 v8, v8, v10, v7
	v_mov_b32_e32 v25, v9
	v_mov_b32_e32 v24, v8
.LBB255_1485:                           ;   in Loop: Header=BB255_1055 Depth=1
	s_or_b32 exec_lo, exec_lo, s12
.LBB255_1486:                           ;   in Loop: Header=BB255_1055 Depth=1
	s_or_b32 exec_lo, exec_lo, s11
.LBB255_1487:                           ;   in Loop: Header=BB255_1055 Depth=1
	s_or_b32 exec_lo, exec_lo, s9
	s_mov_b32 s9, exec_lo
	v_cmpx_lt_u32_e32 0xffffff, v6
	s_cbranch_execz .LBB255_1495
; %bb.1488:                             ;   in Loop: Header=BB255_1055 Depth=1
	v_mov_b32_e32 v10, v9
	v_mov_b32_e32 v23, v11
	v_cmp_ne_u32_sdwa s4, v6, v97 src0_sel:BYTE_3 src1_sel:DWORD
	v_mov_b32_e32 v22, v10
	s_and_saveexec_b32 s11, s4
	s_cbranch_execz .LBB255_1494
; %bb.1489:                             ;   in Loop: Header=BB255_1055 Depth=1
	v_mov_b32_e32 v12, v9
	v_mov_b32_e32 v23, v13
	v_bfe_u32 v10, v6, 24, 7
	s_mov_b32 s12, exec_lo
	v_mov_b32_e32 v22, v12
	v_cmpx_ne_u32_e32 0x7f, v10
	s_cbranch_execz .LBB255_1493
; %bb.1490:                             ;   in Loop: Header=BB255_1055 Depth=1
	v_mov_b32_e32 v7, 7
	s_mov_b32 s13, exec_lo
	v_and_b32_sdwa v8, v6, v7 dst_sel:DWORD dst_unused:UNUSED_PAD src0_sel:BYTE_3 src1_sel:DWORD
	v_lshrrev_b32_e32 v7, 3, v10
	v_cmpx_gt_u32_e32 8, v10
; %bb.1491:                             ;   in Loop: Header=BB255_1055 Depth=1
	v_ffbh_u32_e32 v7, v8
	v_min_u32_e32 v7, 32, v7
	v_subrev_nc_u32_e32 v10, 28, v7
	v_sub_nc_u32_e32 v7, 29, v7
	v_lshlrev_b64 v[22:23], v10, v[8:9]
	v_and_b32_e32 v8, 7, v22
; %bb.1492:                             ;   in Loop: Header=BB255_1055 Depth=1
	s_or_b32 exec_lo, exec_lo, s13
	v_mov_b32_e32 v10, 24
	v_lshlrev_b32_e32 v8, 20, v8
	v_lshl_add_u32 v7, v7, 23, 0x3c000000
	v_mov_b32_e32 v22, v9
	v_lshlrev_b32_sdwa v6, v10, v6 dst_sel:DWORD dst_unused:UNUSED_PAD src0_sel:DWORD src1_sel:BYTE_3
	v_and_b32_e32 v6, 0x80000000, v6
	v_or3_b32 v23, v8, v6, v7
.LBB255_1493:                           ;   in Loop: Header=BB255_1055 Depth=1
	s_or_b32 exec_lo, exec_lo, s12
.LBB255_1494:                           ;   in Loop: Header=BB255_1055 Depth=1
	s_or_b32 exec_lo, exec_lo, s11
.LBB255_1495:                           ;   in Loop: Header=BB255_1055 Depth=1
	s_or_b32 exec_lo, exec_lo, s9
	v_or_b32_e32 v6, v21, v19
	v_or_b32_e32 v7, v20, v18
	;; [unrolled: 1-line block ×4, first 2 shown]
	v_mul_f32_e32 v6, v114, v6
	buffer_store_dword v6, off, s[0:3], s32 offset:600 ; 4-byte Folded Spill
	v_mul_f32_e32 v6, v87, v7
	buffer_store_dword v6, off, s[0:3], s32 offset:608 ; 4-byte Folded Spill
	v_mul_f32_e32 v6, v87, v8
	buffer_store_dword v6, off, s[0:3], s32 offset:592 ; 4-byte Folded Spill
	v_mul_f32_e32 v6, v114, v10
	buffer_store_dword v6, off, s[0:3], s32 offset:584 ; 4-byte Folded Spill
	s_and_saveexec_b32 s9, vcc_lo
	s_cbranch_execz .LBB255_1497
; %bb.1496:                             ;   in Loop: Header=BB255_1055 Depth=1
	buffer_load_dword v6, off, s[0:3], s32 offset:608 ; 4-byte Folded Reload
	v_cmp_lt_i32_e64 s4, v43, v82
	s_waitcnt vmcnt(0)
	v_cndmask_b32_e64 v6, 0, v6, s4
	v_cmp_lt_i32_e64 s4, v45, v82
	buffer_store_dword v6, off, s[0:3], s32 offset:608 ; 4-byte Folded Spill
	buffer_load_dword v6, off, s[0:3], s32 offset:600 ; 4-byte Folded Reload
	s_waitcnt vmcnt(0)
	v_cndmask_b32_e64 v6, 0, v6, s4
	v_cmp_lt_i32_e64 s4, v44, v82
	buffer_store_dword v6, off, s[0:3], s32 offset:600 ; 4-byte Folded Spill
	buffer_load_dword v6, off, s[0:3], s32 offset:592 ; 4-byte Folded Reload
	;; [unrolled: 5-line block ×3, first 2 shown]
	s_waitcnt vmcnt(0)
	v_cndmask_b32_e64 v6, 0, v6, s4
	buffer_store_dword v6, off, s[0:3], s32 offset:584 ; 4-byte Folded Spill
.LBB255_1497:                           ;   in Loop: Header=BB255_1055 Depth=1
	s_or_b32 exec_lo, exec_lo, s9
	flat_load_dword v6, v[4:5] offset:1664
	v_mov_b32_e32 v20, 0
	v_mov_b32_e32 v18, 0
	;; [unrolled: 1-line block ×4, first 2 shown]
	s_waitcnt vmcnt(0) lgkmcnt(0)
	v_cmp_ne_u16_sdwa s4, v6, v9 src0_sel:BYTE_0 src1_sel:DWORD
	s_and_saveexec_b32 s9, s4
	s_cbranch_execz .LBB255_1505
; %bb.1498:                             ;   in Loop: Header=BB255_1055 Depth=1
	v_bfrev_b32_e32 v18, 1
	v_mov_b32_e32 v19, 0
	v_cmp_ne_u16_sdwa s4, v6, v97 src0_sel:BYTE_0 src1_sel:DWORD
	s_and_saveexec_b32 s11, s4
	s_cbranch_execz .LBB255_1504
; %bb.1499:                             ;   in Loop: Header=BB255_1055 Depth=1
	v_mov_b32_e32 v18, 0x7f800001
	v_and_b32_e32 v10, 0x7f, v6
	v_mov_b32_e32 v19, 0
	s_mov_b32 s12, exec_lo
	v_cmpx_ne_u32_e32 0x7f, v10
	s_cbranch_execz .LBB255_1503
; %bb.1500:                             ;   in Loop: Header=BB255_1055 Depth=1
	v_and_b32_e32 v8, 7, v6
	v_lshrrev_b32_e32 v7, 3, v10
	s_mov_b32 s13, exec_lo
	v_cmpx_gt_u32_e32 8, v10
; %bb.1501:                             ;   in Loop: Header=BB255_1055 Depth=1
	v_ffbh_u32_e32 v7, v8
	v_min_u32_e32 v7, 32, v7
	v_subrev_nc_u32_e32 v10, 28, v7
	v_sub_nc_u32_e32 v7, 29, v7
	v_lshlrev_b64 v[18:19], v10, v[8:9]
	v_and_b32_e32 v8, 7, v18
; %bb.1502:                             ;   in Loop: Header=BB255_1055 Depth=1
	s_or_b32 exec_lo, exec_lo, s13
	v_lshlrev_b32_e32 v10, 24, v6
	v_lshlrev_b32_e32 v8, 20, v8
	v_lshl_add_u32 v7, v7, 23, 0x3c000000
	v_and_b32_e32 v10, 0x80000000, v10
	v_or3_b32 v8, v8, v10, v7
	v_mov_b32_e32 v19, v9
	v_mov_b32_e32 v18, v8
.LBB255_1503:                           ;   in Loop: Header=BB255_1055 Depth=1
	s_or_b32 exec_lo, exec_lo, s12
.LBB255_1504:                           ;   in Loop: Header=BB255_1055 Depth=1
	s_or_b32 exec_lo, exec_lo, s11
.LBB255_1505:                           ;   in Loop: Header=BB255_1055 Depth=1
	s_or_b32 exec_lo, exec_lo, s9
	v_cmp_ne_u16_sdwa s4, v6, v9 src0_sel:BYTE_1 src1_sel:DWORD
	s_and_saveexec_b32 s9, s4
	s_cbranch_execz .LBB255_1513
; %bb.1506:                             ;   in Loop: Header=BB255_1055 Depth=1
	v_mov_b32_e32 v10, v9
	v_mov_b32_e32 v21, v11
	v_cmp_ne_u16_sdwa s4, v6, v97 src0_sel:BYTE_1 src1_sel:DWORD
	v_mov_b32_e32 v20, v10
	s_and_saveexec_b32 s11, s4
	s_cbranch_execz .LBB255_1512
; %bb.1507:                             ;   in Loop: Header=BB255_1055 Depth=1
	v_mov_b32_e32 v7, 0xffff
	v_mov_b32_e32 v12, v9
	;; [unrolled: 1-line block ×3, first 2 shown]
	s_mov_b32 s12, exec_lo
	v_and_b32_sdwa v7, v7, v6 dst_sel:DWORD dst_unused:UNUSED_PAD src0_sel:DWORD src1_sel:BYTE_1
	v_mov_b32_e32 v20, v12
	v_and_b32_e32 v10, 0x7f, v7
	v_cmpx_ne_u32_e32 0x7f, v10
	s_cbranch_execz .LBB255_1511
; %bb.1508:                             ;   in Loop: Header=BB255_1055 Depth=1
	v_and_b32_e32 v8, 7, v7
	v_lshrrev_b32_e32 v7, 3, v10
	s_mov_b32 s13, exec_lo
	v_cmpx_gt_u32_e32 8, v10
; %bb.1509:                             ;   in Loop: Header=BB255_1055 Depth=1
	v_ffbh_u32_e32 v7, v8
	v_min_u32_e32 v7, 32, v7
	v_subrev_nc_u32_e32 v10, 28, v7
	v_sub_nc_u32_e32 v7, 29, v7
	v_lshlrev_b64 v[20:21], v10, v[8:9]
	v_and_b32_e32 v8, 7, v20
; %bb.1510:                             ;   in Loop: Header=BB255_1055 Depth=1
	s_or_b32 exec_lo, exec_lo, s13
	v_lshlrev_b32_e32 v10, 16, v6
	v_lshlrev_b32_e32 v8, 20, v8
	v_lshl_add_u32 v7, v7, 23, 0x3c000000
	v_mov_b32_e32 v20, v9
	v_and_b32_e32 v10, 0x80000000, v10
	v_or3_b32 v21, v8, v10, v7
.LBB255_1511:                           ;   in Loop: Header=BB255_1055 Depth=1
	s_or_b32 exec_lo, exec_lo, s12
.LBB255_1512:                           ;   in Loop: Header=BB255_1055 Depth=1
	s_or_b32 exec_lo, exec_lo, s11
.LBB255_1513:                           ;   in Loop: Header=BB255_1055 Depth=1
	s_or_b32 exec_lo, exec_lo, s9
	v_mov_b32_e32 v22, 0
	v_mov_b32_e32 v24, 0
	v_and_b32_sdwa v7, v6, v99 dst_sel:DWORD dst_unused:UNUSED_PAD src0_sel:WORD_1 src1_sel:DWORD
	v_mov_b32_e32 v23, 0
	v_mov_b32_e32 v25, 0
	s_mov_b32 s9, exec_lo
	v_cmpx_ne_u16_e32 0, v7
	s_cbranch_execz .LBB255_1521
; %bb.1514:                             ;   in Loop: Header=BB255_1055 Depth=1
	v_bfrev_b32_e32 v24, 1
	v_mov_b32_e32 v25, 0
	s_mov_b32 s11, exec_lo
	v_cmpx_ne_u16_e32 0x80, v7
	s_cbranch_execz .LBB255_1520
; %bb.1515:                             ;   in Loop: Header=BB255_1055 Depth=1
	v_mov_b32_e32 v24, 0x7f800001
	v_bfe_u32 v10, v6, 16, 7
	v_mov_b32_e32 v25, 0
	s_mov_b32 s12, exec_lo
	v_cmpx_ne_u32_e32 0x7f, v10
	s_cbranch_execz .LBB255_1519
; %bb.1516:                             ;   in Loop: Header=BB255_1055 Depth=1
	v_mov_b32_e32 v7, 7
	s_mov_b32 s13, exec_lo
	v_and_b32_sdwa v8, v6, v7 dst_sel:DWORD dst_unused:UNUSED_PAD src0_sel:WORD_1 src1_sel:DWORD
	v_lshrrev_b32_e32 v7, 3, v10
	v_cmpx_gt_u32_e32 8, v10
; %bb.1517:                             ;   in Loop: Header=BB255_1055 Depth=1
	v_ffbh_u32_e32 v7, v8
	v_min_u32_e32 v7, 32, v7
	v_subrev_nc_u32_e32 v10, 28, v7
	v_sub_nc_u32_e32 v7, 29, v7
	v_lshlrev_b64 v[24:25], v10, v[8:9]
	v_and_b32_e32 v8, 7, v24
; %bb.1518:                             ;   in Loop: Header=BB255_1055 Depth=1
	s_or_b32 exec_lo, exec_lo, s13
	v_mov_b32_e32 v10, 24
	v_lshlrev_b32_e32 v8, 20, v8
	v_lshl_add_u32 v7, v7, 23, 0x3c000000
	v_lshlrev_b32_sdwa v10, v10, v6 dst_sel:DWORD dst_unused:UNUSED_PAD src0_sel:DWORD src1_sel:WORD_1
	v_and_b32_e32 v10, 0x80000000, v10
	v_or3_b32 v8, v8, v10, v7
	v_mov_b32_e32 v25, v9
	v_mov_b32_e32 v24, v8
.LBB255_1519:                           ;   in Loop: Header=BB255_1055 Depth=1
	s_or_b32 exec_lo, exec_lo, s12
.LBB255_1520:                           ;   in Loop: Header=BB255_1055 Depth=1
	s_or_b32 exec_lo, exec_lo, s11
.LBB255_1521:                           ;   in Loop: Header=BB255_1055 Depth=1
	s_or_b32 exec_lo, exec_lo, s9
	s_mov_b32 s9, exec_lo
	v_cmpx_lt_u32_e32 0xffffff, v6
	s_cbranch_execz .LBB255_1529
; %bb.1522:                             ;   in Loop: Header=BB255_1055 Depth=1
	v_mov_b32_e32 v10, v9
	v_mov_b32_e32 v23, v11
	v_cmp_ne_u32_sdwa s4, v6, v97 src0_sel:BYTE_3 src1_sel:DWORD
	v_mov_b32_e32 v22, v10
	s_and_saveexec_b32 s11, s4
	s_cbranch_execz .LBB255_1528
; %bb.1523:                             ;   in Loop: Header=BB255_1055 Depth=1
	v_mov_b32_e32 v12, v9
	v_mov_b32_e32 v23, v13
	v_bfe_u32 v10, v6, 24, 7
	s_mov_b32 s12, exec_lo
	v_mov_b32_e32 v22, v12
	v_cmpx_ne_u32_e32 0x7f, v10
	s_cbranch_execz .LBB255_1527
; %bb.1524:                             ;   in Loop: Header=BB255_1055 Depth=1
	v_mov_b32_e32 v7, 7
	s_mov_b32 s13, exec_lo
	v_and_b32_sdwa v8, v6, v7 dst_sel:DWORD dst_unused:UNUSED_PAD src0_sel:BYTE_3 src1_sel:DWORD
	v_lshrrev_b32_e32 v7, 3, v10
	v_cmpx_gt_u32_e32 8, v10
; %bb.1525:                             ;   in Loop: Header=BB255_1055 Depth=1
	v_ffbh_u32_e32 v7, v8
	v_min_u32_e32 v7, 32, v7
	v_subrev_nc_u32_e32 v10, 28, v7
	v_sub_nc_u32_e32 v7, 29, v7
	v_lshlrev_b64 v[22:23], v10, v[8:9]
	v_and_b32_e32 v8, 7, v22
; %bb.1526:                             ;   in Loop: Header=BB255_1055 Depth=1
	s_or_b32 exec_lo, exec_lo, s13
	v_mov_b32_e32 v10, 24
	v_lshlrev_b32_e32 v8, 20, v8
	v_lshl_add_u32 v7, v7, 23, 0x3c000000
	v_mov_b32_e32 v22, v9
	v_lshlrev_b32_sdwa v6, v10, v6 dst_sel:DWORD dst_unused:UNUSED_PAD src0_sel:DWORD src1_sel:BYTE_3
	v_and_b32_e32 v6, 0x80000000, v6
	v_or3_b32 v23, v8, v6, v7
.LBB255_1527:                           ;   in Loop: Header=BB255_1055 Depth=1
	s_or_b32 exec_lo, exec_lo, s12
.LBB255_1528:                           ;   in Loop: Header=BB255_1055 Depth=1
	s_or_b32 exec_lo, exec_lo, s11
.LBB255_1529:                           ;   in Loop: Header=BB255_1055 Depth=1
	s_or_b32 exec_lo, exec_lo, s9
	v_or_b32_e32 v6, v21, v19
	v_or_b32_e32 v7, v20, v18
	;; [unrolled: 1-line block ×4, first 2 shown]
	v_mul_f32_e32 v6, v114, v6
	buffer_store_dword v6, off, s[0:3], s32 offset:640 ; 4-byte Folded Spill
	v_mul_f32_e32 v6, v87, v7
	buffer_store_dword v6, off, s[0:3], s32 offset:632 ; 4-byte Folded Spill
	;; [unrolled: 2-line block ×4, first 2 shown]
	s_and_saveexec_b32 s9, vcc_lo
	s_cbranch_execz .LBB255_1531
; %bb.1530:                             ;   in Loop: Header=BB255_1055 Depth=1
	buffer_load_dword v6, off, s[0:3], s32 offset:632 ; 4-byte Folded Reload
	v_cmp_lt_i32_e64 s4, v43, v82
	s_waitcnt vmcnt(0)
	v_cndmask_b32_e64 v6, 0, v6, s4
	v_cmp_lt_i32_e64 s4, v45, v82
	buffer_store_dword v6, off, s[0:3], s32 offset:632 ; 4-byte Folded Spill
	buffer_load_dword v6, off, s[0:3], s32 offset:640 ; 4-byte Folded Reload
	s_waitcnt vmcnt(0)
	v_cndmask_b32_e64 v6, 0, v6, s4
	v_cmp_lt_i32_e64 s4, v44, v82
	buffer_store_dword v6, off, s[0:3], s32 offset:640 ; 4-byte Folded Spill
	buffer_load_dword v6, off, s[0:3], s32 offset:624 ; 4-byte Folded Reload
	;; [unrolled: 5-line block ×3, first 2 shown]
	s_waitcnt vmcnt(0)
	v_cndmask_b32_e64 v6, 0, v6, s4
	buffer_store_dword v6, off, s[0:3], s32 offset:616 ; 4-byte Folded Spill
.LBB255_1531:                           ;   in Loop: Header=BB255_1055 Depth=1
	s_or_b32 exec_lo, exec_lo, s9
	flat_load_dword v6, v[4:5] offset:1792
	v_mov_b32_e32 v20, 0
	v_mov_b32_e32 v18, 0
	;; [unrolled: 1-line block ×4, first 2 shown]
	s_waitcnt vmcnt(0) lgkmcnt(0)
	v_cmp_ne_u16_sdwa s4, v6, v9 src0_sel:BYTE_0 src1_sel:DWORD
	s_and_saveexec_b32 s9, s4
	s_cbranch_execz .LBB255_1539
; %bb.1532:                             ;   in Loop: Header=BB255_1055 Depth=1
	v_bfrev_b32_e32 v18, 1
	v_mov_b32_e32 v19, 0
	v_cmp_ne_u16_sdwa s4, v6, v97 src0_sel:BYTE_0 src1_sel:DWORD
	s_and_saveexec_b32 s11, s4
	s_cbranch_execz .LBB255_1538
; %bb.1533:                             ;   in Loop: Header=BB255_1055 Depth=1
	v_mov_b32_e32 v18, 0x7f800001
	v_and_b32_e32 v10, 0x7f, v6
	v_mov_b32_e32 v19, 0
	s_mov_b32 s12, exec_lo
	v_cmpx_ne_u32_e32 0x7f, v10
	s_cbranch_execz .LBB255_1537
; %bb.1534:                             ;   in Loop: Header=BB255_1055 Depth=1
	v_and_b32_e32 v8, 7, v6
	v_lshrrev_b32_e32 v7, 3, v10
	s_mov_b32 s13, exec_lo
	v_cmpx_gt_u32_e32 8, v10
; %bb.1535:                             ;   in Loop: Header=BB255_1055 Depth=1
	v_ffbh_u32_e32 v7, v8
	v_min_u32_e32 v7, 32, v7
	v_subrev_nc_u32_e32 v10, 28, v7
	v_sub_nc_u32_e32 v7, 29, v7
	v_lshlrev_b64 v[18:19], v10, v[8:9]
	v_and_b32_e32 v8, 7, v18
; %bb.1536:                             ;   in Loop: Header=BB255_1055 Depth=1
	s_or_b32 exec_lo, exec_lo, s13
	v_lshlrev_b32_e32 v10, 24, v6
	v_lshlrev_b32_e32 v8, 20, v8
	v_lshl_add_u32 v7, v7, 23, 0x3c000000
	v_and_b32_e32 v10, 0x80000000, v10
	v_or3_b32 v8, v8, v10, v7
	v_mov_b32_e32 v19, v9
	v_mov_b32_e32 v18, v8
.LBB255_1537:                           ;   in Loop: Header=BB255_1055 Depth=1
	s_or_b32 exec_lo, exec_lo, s12
.LBB255_1538:                           ;   in Loop: Header=BB255_1055 Depth=1
	s_or_b32 exec_lo, exec_lo, s11
.LBB255_1539:                           ;   in Loop: Header=BB255_1055 Depth=1
	s_or_b32 exec_lo, exec_lo, s9
	v_cmp_ne_u16_sdwa s4, v6, v9 src0_sel:BYTE_1 src1_sel:DWORD
	s_and_saveexec_b32 s9, s4
	s_cbranch_execz .LBB255_1547
; %bb.1540:                             ;   in Loop: Header=BB255_1055 Depth=1
	v_mov_b32_e32 v10, v9
	v_mov_b32_e32 v21, v11
	v_cmp_ne_u16_sdwa s4, v6, v97 src0_sel:BYTE_1 src1_sel:DWORD
	v_mov_b32_e32 v20, v10
	s_and_saveexec_b32 s11, s4
	s_cbranch_execz .LBB255_1546
; %bb.1541:                             ;   in Loop: Header=BB255_1055 Depth=1
	v_mov_b32_e32 v7, 0xffff
	v_mov_b32_e32 v12, v9
	;; [unrolled: 1-line block ×3, first 2 shown]
	s_mov_b32 s12, exec_lo
	v_and_b32_sdwa v7, v7, v6 dst_sel:DWORD dst_unused:UNUSED_PAD src0_sel:DWORD src1_sel:BYTE_1
	v_mov_b32_e32 v20, v12
	v_and_b32_e32 v10, 0x7f, v7
	v_cmpx_ne_u32_e32 0x7f, v10
	s_cbranch_execz .LBB255_1545
; %bb.1542:                             ;   in Loop: Header=BB255_1055 Depth=1
	v_and_b32_e32 v8, 7, v7
	v_lshrrev_b32_e32 v7, 3, v10
	s_mov_b32 s13, exec_lo
	v_cmpx_gt_u32_e32 8, v10
; %bb.1543:                             ;   in Loop: Header=BB255_1055 Depth=1
	v_ffbh_u32_e32 v7, v8
	v_min_u32_e32 v7, 32, v7
	v_subrev_nc_u32_e32 v10, 28, v7
	v_sub_nc_u32_e32 v7, 29, v7
	v_lshlrev_b64 v[20:21], v10, v[8:9]
	v_and_b32_e32 v8, 7, v20
; %bb.1544:                             ;   in Loop: Header=BB255_1055 Depth=1
	s_or_b32 exec_lo, exec_lo, s13
	v_lshlrev_b32_e32 v10, 16, v6
	v_lshlrev_b32_e32 v8, 20, v8
	v_lshl_add_u32 v7, v7, 23, 0x3c000000
	v_mov_b32_e32 v20, v9
	v_and_b32_e32 v10, 0x80000000, v10
	v_or3_b32 v21, v8, v10, v7
.LBB255_1545:                           ;   in Loop: Header=BB255_1055 Depth=1
	s_or_b32 exec_lo, exec_lo, s12
.LBB255_1546:                           ;   in Loop: Header=BB255_1055 Depth=1
	s_or_b32 exec_lo, exec_lo, s11
.LBB255_1547:                           ;   in Loop: Header=BB255_1055 Depth=1
	s_or_b32 exec_lo, exec_lo, s9
	v_mov_b32_e32 v22, 0
	v_mov_b32_e32 v24, 0
	v_and_b32_sdwa v7, v6, v99 dst_sel:DWORD dst_unused:UNUSED_PAD src0_sel:WORD_1 src1_sel:DWORD
	v_mov_b32_e32 v23, 0
	v_mov_b32_e32 v25, 0
	s_mov_b32 s9, exec_lo
	v_cmpx_ne_u16_e32 0, v7
	s_cbranch_execz .LBB255_1555
; %bb.1548:                             ;   in Loop: Header=BB255_1055 Depth=1
	v_bfrev_b32_e32 v24, 1
	v_mov_b32_e32 v25, 0
	s_mov_b32 s11, exec_lo
	v_cmpx_ne_u16_e32 0x80, v7
	s_cbranch_execz .LBB255_1554
; %bb.1549:                             ;   in Loop: Header=BB255_1055 Depth=1
	v_mov_b32_e32 v24, 0x7f800001
	v_bfe_u32 v10, v6, 16, 7
	v_mov_b32_e32 v25, 0
	s_mov_b32 s12, exec_lo
	v_cmpx_ne_u32_e32 0x7f, v10
	s_cbranch_execz .LBB255_1553
; %bb.1550:                             ;   in Loop: Header=BB255_1055 Depth=1
	v_mov_b32_e32 v7, 7
	s_mov_b32 s13, exec_lo
	v_and_b32_sdwa v8, v6, v7 dst_sel:DWORD dst_unused:UNUSED_PAD src0_sel:WORD_1 src1_sel:DWORD
	v_lshrrev_b32_e32 v7, 3, v10
	v_cmpx_gt_u32_e32 8, v10
; %bb.1551:                             ;   in Loop: Header=BB255_1055 Depth=1
	v_ffbh_u32_e32 v7, v8
	v_min_u32_e32 v7, 32, v7
	v_subrev_nc_u32_e32 v10, 28, v7
	v_sub_nc_u32_e32 v7, 29, v7
	v_lshlrev_b64 v[24:25], v10, v[8:9]
	v_and_b32_e32 v8, 7, v24
; %bb.1552:                             ;   in Loop: Header=BB255_1055 Depth=1
	s_or_b32 exec_lo, exec_lo, s13
	v_mov_b32_e32 v10, 24
	v_lshlrev_b32_e32 v8, 20, v8
	v_lshl_add_u32 v7, v7, 23, 0x3c000000
	v_lshlrev_b32_sdwa v10, v10, v6 dst_sel:DWORD dst_unused:UNUSED_PAD src0_sel:DWORD src1_sel:WORD_1
	v_and_b32_e32 v10, 0x80000000, v10
	v_or3_b32 v8, v8, v10, v7
	v_mov_b32_e32 v25, v9
	v_mov_b32_e32 v24, v8
.LBB255_1553:                           ;   in Loop: Header=BB255_1055 Depth=1
	s_or_b32 exec_lo, exec_lo, s12
.LBB255_1554:                           ;   in Loop: Header=BB255_1055 Depth=1
	s_or_b32 exec_lo, exec_lo, s11
.LBB255_1555:                           ;   in Loop: Header=BB255_1055 Depth=1
	s_or_b32 exec_lo, exec_lo, s9
	s_mov_b32 s9, exec_lo
	v_cmpx_lt_u32_e32 0xffffff, v6
	s_cbranch_execz .LBB255_1563
; %bb.1556:                             ;   in Loop: Header=BB255_1055 Depth=1
	v_mov_b32_e32 v10, v9
	v_mov_b32_e32 v23, v11
	v_cmp_ne_u32_sdwa s4, v6, v97 src0_sel:BYTE_3 src1_sel:DWORD
	v_mov_b32_e32 v22, v10
	s_and_saveexec_b32 s11, s4
	s_cbranch_execz .LBB255_1562
; %bb.1557:                             ;   in Loop: Header=BB255_1055 Depth=1
	v_mov_b32_e32 v12, v9
	v_mov_b32_e32 v23, v13
	v_bfe_u32 v10, v6, 24, 7
	s_mov_b32 s12, exec_lo
	v_mov_b32_e32 v22, v12
	v_cmpx_ne_u32_e32 0x7f, v10
	s_cbranch_execz .LBB255_1561
; %bb.1558:                             ;   in Loop: Header=BB255_1055 Depth=1
	v_mov_b32_e32 v7, 7
	s_mov_b32 s13, exec_lo
	v_and_b32_sdwa v8, v6, v7 dst_sel:DWORD dst_unused:UNUSED_PAD src0_sel:BYTE_3 src1_sel:DWORD
	v_lshrrev_b32_e32 v7, 3, v10
	v_cmpx_gt_u32_e32 8, v10
; %bb.1559:                             ;   in Loop: Header=BB255_1055 Depth=1
	v_ffbh_u32_e32 v7, v8
	v_min_u32_e32 v7, 32, v7
	v_subrev_nc_u32_e32 v10, 28, v7
	v_sub_nc_u32_e32 v7, 29, v7
	v_lshlrev_b64 v[22:23], v10, v[8:9]
	v_and_b32_e32 v8, 7, v22
; %bb.1560:                             ;   in Loop: Header=BB255_1055 Depth=1
	s_or_b32 exec_lo, exec_lo, s13
	v_mov_b32_e32 v10, 24
	v_lshlrev_b32_e32 v8, 20, v8
	v_lshl_add_u32 v7, v7, 23, 0x3c000000
	v_mov_b32_e32 v22, v9
	v_lshlrev_b32_sdwa v6, v10, v6 dst_sel:DWORD dst_unused:UNUSED_PAD src0_sel:DWORD src1_sel:BYTE_3
	v_and_b32_e32 v6, 0x80000000, v6
	v_or3_b32 v23, v8, v6, v7
.LBB255_1561:                           ;   in Loop: Header=BB255_1055 Depth=1
	s_or_b32 exec_lo, exec_lo, s12
.LBB255_1562:                           ;   in Loop: Header=BB255_1055 Depth=1
	s_or_b32 exec_lo, exec_lo, s11
.LBB255_1563:                           ;   in Loop: Header=BB255_1055 Depth=1
	s_or_b32 exec_lo, exec_lo, s9
	v_or_b32_e32 v6, v21, v19
	v_or_b32_e32 v7, v20, v18
	;; [unrolled: 1-line block ×4, first 2 shown]
	v_mul_f32_e32 v6, v114, v6
	buffer_store_dword v6, off, s[0:3], s32 offset:672 ; 4-byte Folded Spill
	v_mul_f32_e32 v6, v87, v7
	buffer_store_dword v6, off, s[0:3], s32 offset:664 ; 4-byte Folded Spill
	;; [unrolled: 2-line block ×4, first 2 shown]
	s_and_saveexec_b32 s9, vcc_lo
	s_cbranch_execz .LBB255_1565
; %bb.1564:                             ;   in Loop: Header=BB255_1055 Depth=1
	buffer_load_dword v6, off, s[0:3], s32 offset:664 ; 4-byte Folded Reload
	v_cmp_lt_i32_e64 s4, v43, v82
	s_waitcnt vmcnt(0)
	v_cndmask_b32_e64 v6, 0, v6, s4
	v_cmp_lt_i32_e64 s4, v45, v82
	buffer_store_dword v6, off, s[0:3], s32 offset:664 ; 4-byte Folded Spill
	buffer_load_dword v6, off, s[0:3], s32 offset:672 ; 4-byte Folded Reload
	s_waitcnt vmcnt(0)
	v_cndmask_b32_e64 v6, 0, v6, s4
	v_cmp_lt_i32_e64 s4, v44, v82
	buffer_store_dword v6, off, s[0:3], s32 offset:672 ; 4-byte Folded Spill
	buffer_load_dword v6, off, s[0:3], s32 offset:656 ; 4-byte Folded Reload
	;; [unrolled: 5-line block ×3, first 2 shown]
	s_waitcnt vmcnt(0)
	v_cndmask_b32_e64 v6, 0, v6, s4
	buffer_store_dword v6, off, s[0:3], s32 offset:648 ; 4-byte Folded Spill
.LBB255_1565:                           ;   in Loop: Header=BB255_1055 Depth=1
	s_or_b32 exec_lo, exec_lo, s9
	flat_load_dword v6, v[4:5] offset:1920
	v_mov_b32_e32 v20, 0
	v_mov_b32_e32 v18, 0
	v_mov_b32_e32 v21, 0
	v_mov_b32_e32 v19, 0
	s_waitcnt vmcnt(0) lgkmcnt(0)
	v_cmp_ne_u16_sdwa s4, v6, v9 src0_sel:BYTE_0 src1_sel:DWORD
	s_and_saveexec_b32 s9, s4
	s_cbranch_execz .LBB255_1573
; %bb.1566:                             ;   in Loop: Header=BB255_1055 Depth=1
	v_bfrev_b32_e32 v18, 1
	v_mov_b32_e32 v19, 0
	v_cmp_ne_u16_sdwa s4, v6, v97 src0_sel:BYTE_0 src1_sel:DWORD
	s_and_saveexec_b32 s11, s4
	s_cbranch_execz .LBB255_1572
; %bb.1567:                             ;   in Loop: Header=BB255_1055 Depth=1
	v_mov_b32_e32 v18, 0x7f800001
	v_and_b32_e32 v10, 0x7f, v6
	v_mov_b32_e32 v19, 0
	s_mov_b32 s12, exec_lo
	v_cmpx_ne_u32_e32 0x7f, v10
	s_cbranch_execz .LBB255_1571
; %bb.1568:                             ;   in Loop: Header=BB255_1055 Depth=1
	v_and_b32_e32 v8, 7, v6
	v_lshrrev_b32_e32 v7, 3, v10
	s_mov_b32 s13, exec_lo
	v_cmpx_gt_u32_e32 8, v10
; %bb.1569:                             ;   in Loop: Header=BB255_1055 Depth=1
	v_ffbh_u32_e32 v7, v8
	v_min_u32_e32 v7, 32, v7
	v_subrev_nc_u32_e32 v10, 28, v7
	v_sub_nc_u32_e32 v7, 29, v7
	v_lshlrev_b64 v[18:19], v10, v[8:9]
	v_and_b32_e32 v8, 7, v18
; %bb.1570:                             ;   in Loop: Header=BB255_1055 Depth=1
	s_or_b32 exec_lo, exec_lo, s13
	v_lshlrev_b32_e32 v10, 24, v6
	v_lshlrev_b32_e32 v8, 20, v8
	v_lshl_add_u32 v7, v7, 23, 0x3c000000
	v_and_b32_e32 v10, 0x80000000, v10
	v_or3_b32 v8, v8, v10, v7
	v_mov_b32_e32 v19, v9
	v_mov_b32_e32 v18, v8
.LBB255_1571:                           ;   in Loop: Header=BB255_1055 Depth=1
	s_or_b32 exec_lo, exec_lo, s12
.LBB255_1572:                           ;   in Loop: Header=BB255_1055 Depth=1
	s_or_b32 exec_lo, exec_lo, s11
.LBB255_1573:                           ;   in Loop: Header=BB255_1055 Depth=1
	s_or_b32 exec_lo, exec_lo, s9
	v_cmp_ne_u16_sdwa s4, v6, v9 src0_sel:BYTE_1 src1_sel:DWORD
	s_and_saveexec_b32 s9, s4
	s_cbranch_execz .LBB255_1581
; %bb.1574:                             ;   in Loop: Header=BB255_1055 Depth=1
	v_mov_b32_e32 v10, v9
	v_mov_b32_e32 v21, v11
	v_cmp_ne_u16_sdwa s4, v6, v97 src0_sel:BYTE_1 src1_sel:DWORD
	v_mov_b32_e32 v20, v10
	s_and_saveexec_b32 s11, s4
	s_cbranch_execz .LBB255_1580
; %bb.1575:                             ;   in Loop: Header=BB255_1055 Depth=1
	v_mov_b32_e32 v7, 0xffff
	v_mov_b32_e32 v12, v9
	;; [unrolled: 1-line block ×3, first 2 shown]
	s_mov_b32 s12, exec_lo
	v_and_b32_sdwa v7, v7, v6 dst_sel:DWORD dst_unused:UNUSED_PAD src0_sel:DWORD src1_sel:BYTE_1
	v_mov_b32_e32 v20, v12
	v_and_b32_e32 v10, 0x7f, v7
	v_cmpx_ne_u32_e32 0x7f, v10
	s_cbranch_execz .LBB255_1579
; %bb.1576:                             ;   in Loop: Header=BB255_1055 Depth=1
	v_and_b32_e32 v8, 7, v7
	v_lshrrev_b32_e32 v7, 3, v10
	s_mov_b32 s13, exec_lo
	v_cmpx_gt_u32_e32 8, v10
; %bb.1577:                             ;   in Loop: Header=BB255_1055 Depth=1
	v_ffbh_u32_e32 v7, v8
	v_min_u32_e32 v7, 32, v7
	v_subrev_nc_u32_e32 v10, 28, v7
	v_sub_nc_u32_e32 v7, 29, v7
	v_lshlrev_b64 v[20:21], v10, v[8:9]
	v_and_b32_e32 v8, 7, v20
; %bb.1578:                             ;   in Loop: Header=BB255_1055 Depth=1
	s_or_b32 exec_lo, exec_lo, s13
	v_lshlrev_b32_e32 v10, 16, v6
	v_lshlrev_b32_e32 v8, 20, v8
	v_lshl_add_u32 v7, v7, 23, 0x3c000000
	v_mov_b32_e32 v20, v9
	v_and_b32_e32 v10, 0x80000000, v10
	v_or3_b32 v21, v8, v10, v7
.LBB255_1579:                           ;   in Loop: Header=BB255_1055 Depth=1
	s_or_b32 exec_lo, exec_lo, s12
.LBB255_1580:                           ;   in Loop: Header=BB255_1055 Depth=1
	s_or_b32 exec_lo, exec_lo, s11
.LBB255_1581:                           ;   in Loop: Header=BB255_1055 Depth=1
	s_or_b32 exec_lo, exec_lo, s9
	v_mov_b32_e32 v22, 0
	v_mov_b32_e32 v24, 0
	v_and_b32_sdwa v7, v6, v99 dst_sel:DWORD dst_unused:UNUSED_PAD src0_sel:WORD_1 src1_sel:DWORD
	v_mov_b32_e32 v23, 0
	v_mov_b32_e32 v25, 0
	s_mov_b32 s9, exec_lo
	v_cmpx_ne_u16_e32 0, v7
	s_cbranch_execz .LBB255_1589
; %bb.1582:                             ;   in Loop: Header=BB255_1055 Depth=1
	v_bfrev_b32_e32 v24, 1
	v_mov_b32_e32 v25, 0
	s_mov_b32 s11, exec_lo
	v_cmpx_ne_u16_e32 0x80, v7
	s_cbranch_execz .LBB255_1588
; %bb.1583:                             ;   in Loop: Header=BB255_1055 Depth=1
	v_mov_b32_e32 v24, 0x7f800001
	v_bfe_u32 v10, v6, 16, 7
	v_mov_b32_e32 v25, 0
	s_mov_b32 s12, exec_lo
	v_cmpx_ne_u32_e32 0x7f, v10
	s_cbranch_execz .LBB255_1587
; %bb.1584:                             ;   in Loop: Header=BB255_1055 Depth=1
	v_mov_b32_e32 v7, 7
	s_mov_b32 s13, exec_lo
	v_and_b32_sdwa v8, v6, v7 dst_sel:DWORD dst_unused:UNUSED_PAD src0_sel:WORD_1 src1_sel:DWORD
	v_lshrrev_b32_e32 v7, 3, v10
	v_cmpx_gt_u32_e32 8, v10
; %bb.1585:                             ;   in Loop: Header=BB255_1055 Depth=1
	v_ffbh_u32_e32 v7, v8
	v_min_u32_e32 v7, 32, v7
	v_subrev_nc_u32_e32 v10, 28, v7
	v_sub_nc_u32_e32 v7, 29, v7
	v_lshlrev_b64 v[24:25], v10, v[8:9]
	v_and_b32_e32 v8, 7, v24
; %bb.1586:                             ;   in Loop: Header=BB255_1055 Depth=1
	s_or_b32 exec_lo, exec_lo, s13
	v_mov_b32_e32 v10, 24
	v_lshlrev_b32_e32 v8, 20, v8
	v_lshl_add_u32 v7, v7, 23, 0x3c000000
	v_lshlrev_b32_sdwa v10, v10, v6 dst_sel:DWORD dst_unused:UNUSED_PAD src0_sel:DWORD src1_sel:WORD_1
	v_and_b32_e32 v10, 0x80000000, v10
	v_or3_b32 v8, v8, v10, v7
	v_mov_b32_e32 v25, v9
	v_mov_b32_e32 v24, v8
.LBB255_1587:                           ;   in Loop: Header=BB255_1055 Depth=1
	s_or_b32 exec_lo, exec_lo, s12
.LBB255_1588:                           ;   in Loop: Header=BB255_1055 Depth=1
	s_or_b32 exec_lo, exec_lo, s11
.LBB255_1589:                           ;   in Loop: Header=BB255_1055 Depth=1
	s_or_b32 exec_lo, exec_lo, s9
	s_mov_b32 s9, exec_lo
	v_cmpx_lt_u32_e32 0xffffff, v6
	s_cbranch_execz .LBB255_1597
; %bb.1590:                             ;   in Loop: Header=BB255_1055 Depth=1
	v_mov_b32_e32 v10, v9
	v_mov_b32_e32 v23, v11
	v_cmp_ne_u32_sdwa s4, v6, v97 src0_sel:BYTE_3 src1_sel:DWORD
	v_mov_b32_e32 v22, v10
	s_and_saveexec_b32 s11, s4
	s_cbranch_execz .LBB255_1596
; %bb.1591:                             ;   in Loop: Header=BB255_1055 Depth=1
	v_mov_b32_e32 v12, v9
	v_mov_b32_e32 v23, v13
	v_bfe_u32 v10, v6, 24, 7
	s_mov_b32 s12, exec_lo
	v_mov_b32_e32 v22, v12
	v_cmpx_ne_u32_e32 0x7f, v10
	s_cbranch_execz .LBB255_1595
; %bb.1592:                             ;   in Loop: Header=BB255_1055 Depth=1
	v_mov_b32_e32 v7, 7
	s_mov_b32 s13, exec_lo
	v_and_b32_sdwa v8, v6, v7 dst_sel:DWORD dst_unused:UNUSED_PAD src0_sel:BYTE_3 src1_sel:DWORD
	v_lshrrev_b32_e32 v7, 3, v10
	v_cmpx_gt_u32_e32 8, v10
; %bb.1593:                             ;   in Loop: Header=BB255_1055 Depth=1
	v_ffbh_u32_e32 v7, v8
	v_min_u32_e32 v7, 32, v7
	v_subrev_nc_u32_e32 v10, 28, v7
	v_sub_nc_u32_e32 v7, 29, v7
	v_lshlrev_b64 v[22:23], v10, v[8:9]
	v_and_b32_e32 v8, 7, v22
; %bb.1594:                             ;   in Loop: Header=BB255_1055 Depth=1
	s_or_b32 exec_lo, exec_lo, s13
	v_mov_b32_e32 v10, 24
	v_lshlrev_b32_e32 v8, 20, v8
	v_lshl_add_u32 v7, v7, 23, 0x3c000000
	v_mov_b32_e32 v22, v9
	v_lshlrev_b32_sdwa v6, v10, v6 dst_sel:DWORD dst_unused:UNUSED_PAD src0_sel:DWORD src1_sel:BYTE_3
	v_and_b32_e32 v6, 0x80000000, v6
	v_or3_b32 v23, v8, v6, v7
.LBB255_1595:                           ;   in Loop: Header=BB255_1055 Depth=1
	s_or_b32 exec_lo, exec_lo, s12
.LBB255_1596:                           ;   in Loop: Header=BB255_1055 Depth=1
	s_or_b32 exec_lo, exec_lo, s11
.LBB255_1597:                           ;   in Loop: Header=BB255_1055 Depth=1
	s_or_b32 exec_lo, exec_lo, s9
	v_or_b32_e32 v6, v21, v19
	v_or_b32_e32 v7, v20, v18
	;; [unrolled: 1-line block ×4, first 2 shown]
	v_mul_f32_e32 v118, v114, v6
	v_mul_f32_e32 v119, v87, v7
	;; [unrolled: 1-line block ×4, first 2 shown]
	buffer_store_dword v6, off, s[0:3], s32 offset:680 ; 4-byte Folded Spill
	s_and_saveexec_b32 s9, vcc_lo
	s_cbranch_execz .LBB255_1599
; %bb.1598:                             ;   in Loop: Header=BB255_1055 Depth=1
	buffer_load_dword v6, off, s[0:3], s32 offset:680 ; 4-byte Folded Reload
	v_cmp_lt_i32_e64 s4, v43, v82
	v_cndmask_b32_e64 v119, 0, v119, s4
	v_cmp_lt_i32_e64 s4, v45, v82
	v_cndmask_b32_e64 v118, 0, v118, s4
	v_cmp_lt_i32_e64 s4, v44, v82
	s_waitcnt vmcnt(0)
	v_cndmask_b32_e64 v6, 0, v6, s4
	v_cmp_lt_i32_e64 s4, v112, v82
	buffer_store_dword v6, off, s[0:3], s32 offset:680 ; 4-byte Folded Spill
	v_cndmask_b32_e64 v98, 0, v98, s4
.LBB255_1599:                           ;   in Loop: Header=BB255_1055 Depth=1
	s_or_b32 exec_lo, exec_lo, s9
	v_add_co_u32 v4, s4, 0x800, v4
	v_add_co_ci_u32_e64 v5, null, 0, v5, s4
	v_mov_b32_e32 v20, 0
	v_mov_b32_e32 v18, 0
	;; [unrolled: 1-line block ×3, first 2 shown]
	flat_load_dword v6, v[4:5]
	v_mov_b32_e32 v19, 0
	s_waitcnt vmcnt(0) lgkmcnt(0)
	v_cmp_ne_u16_sdwa s4, v6, v9 src0_sel:BYTE_0 src1_sel:DWORD
	s_and_saveexec_b32 s9, s4
	s_cbranch_execz .LBB255_1607
; %bb.1600:                             ;   in Loop: Header=BB255_1055 Depth=1
	v_bfrev_b32_e32 v18, 1
	v_mov_b32_e32 v19, 0
	v_cmp_ne_u16_sdwa s4, v6, v97 src0_sel:BYTE_0 src1_sel:DWORD
	s_and_saveexec_b32 s11, s4
	s_cbranch_execz .LBB255_1606
; %bb.1601:                             ;   in Loop: Header=BB255_1055 Depth=1
	v_mov_b32_e32 v18, 0x7f800001
	v_and_b32_e32 v10, 0x7f, v6
	v_mov_b32_e32 v19, 0
	s_mov_b32 s12, exec_lo
	v_cmpx_ne_u32_e32 0x7f, v10
	s_cbranch_execz .LBB255_1605
; %bb.1602:                             ;   in Loop: Header=BB255_1055 Depth=1
	v_and_b32_e32 v8, 7, v6
	v_lshrrev_b32_e32 v7, 3, v10
	s_mov_b32 s13, exec_lo
	v_cmpx_gt_u32_e32 8, v10
; %bb.1603:                             ;   in Loop: Header=BB255_1055 Depth=1
	v_ffbh_u32_e32 v7, v8
	v_min_u32_e32 v7, 32, v7
	v_subrev_nc_u32_e32 v10, 28, v7
	v_sub_nc_u32_e32 v7, 29, v7
	v_lshlrev_b64 v[18:19], v10, v[8:9]
	v_and_b32_e32 v8, 7, v18
; %bb.1604:                             ;   in Loop: Header=BB255_1055 Depth=1
	s_or_b32 exec_lo, exec_lo, s13
	v_lshlrev_b32_e32 v10, 24, v6
	v_lshlrev_b32_e32 v8, 20, v8
	v_lshl_add_u32 v7, v7, 23, 0x3c000000
	v_and_b32_e32 v10, 0x80000000, v10
	v_or3_b32 v8, v8, v10, v7
	v_mov_b32_e32 v19, v9
	v_mov_b32_e32 v18, v8
.LBB255_1605:                           ;   in Loop: Header=BB255_1055 Depth=1
	s_or_b32 exec_lo, exec_lo, s12
.LBB255_1606:                           ;   in Loop: Header=BB255_1055 Depth=1
	s_or_b32 exec_lo, exec_lo, s11
.LBB255_1607:                           ;   in Loop: Header=BB255_1055 Depth=1
	s_or_b32 exec_lo, exec_lo, s9
	v_cmp_ne_u16_sdwa s4, v6, v9 src0_sel:BYTE_1 src1_sel:DWORD
	s_and_saveexec_b32 s9, s4
	s_cbranch_execz .LBB255_1615
; %bb.1608:                             ;   in Loop: Header=BB255_1055 Depth=1
	v_mov_b32_e32 v10, v9
	v_mov_b32_e32 v21, v11
	v_cmp_ne_u16_sdwa s4, v6, v97 src0_sel:BYTE_1 src1_sel:DWORD
	v_mov_b32_e32 v20, v10
	s_and_saveexec_b32 s11, s4
	s_cbranch_execz .LBB255_1614
; %bb.1609:                             ;   in Loop: Header=BB255_1055 Depth=1
	v_mov_b32_e32 v7, 0xffff
	v_mov_b32_e32 v12, v9
	;; [unrolled: 1-line block ×3, first 2 shown]
	s_mov_b32 s12, exec_lo
	v_and_b32_sdwa v7, v7, v6 dst_sel:DWORD dst_unused:UNUSED_PAD src0_sel:DWORD src1_sel:BYTE_1
	v_mov_b32_e32 v20, v12
	v_and_b32_e32 v10, 0x7f, v7
	v_cmpx_ne_u32_e32 0x7f, v10
	s_cbranch_execz .LBB255_1613
; %bb.1610:                             ;   in Loop: Header=BB255_1055 Depth=1
	v_and_b32_e32 v8, 7, v7
	v_lshrrev_b32_e32 v7, 3, v10
	s_mov_b32 s13, exec_lo
	v_cmpx_gt_u32_e32 8, v10
; %bb.1611:                             ;   in Loop: Header=BB255_1055 Depth=1
	v_ffbh_u32_e32 v7, v8
	v_min_u32_e32 v7, 32, v7
	v_subrev_nc_u32_e32 v10, 28, v7
	v_sub_nc_u32_e32 v7, 29, v7
	v_lshlrev_b64 v[20:21], v10, v[8:9]
	v_and_b32_e32 v8, 7, v20
; %bb.1612:                             ;   in Loop: Header=BB255_1055 Depth=1
	s_or_b32 exec_lo, exec_lo, s13
	v_lshlrev_b32_e32 v10, 16, v6
	v_lshlrev_b32_e32 v8, 20, v8
	v_lshl_add_u32 v7, v7, 23, 0x3c000000
	v_mov_b32_e32 v20, v9
	v_and_b32_e32 v10, 0x80000000, v10
	v_or3_b32 v21, v8, v10, v7
.LBB255_1613:                           ;   in Loop: Header=BB255_1055 Depth=1
	s_or_b32 exec_lo, exec_lo, s12
.LBB255_1614:                           ;   in Loop: Header=BB255_1055 Depth=1
	s_or_b32 exec_lo, exec_lo, s11
.LBB255_1615:                           ;   in Loop: Header=BB255_1055 Depth=1
	s_or_b32 exec_lo, exec_lo, s9
	v_mov_b32_e32 v22, 0
	v_mov_b32_e32 v24, 0
	v_and_b32_sdwa v7, v6, v99 dst_sel:DWORD dst_unused:UNUSED_PAD src0_sel:WORD_1 src1_sel:DWORD
	v_mov_b32_e32 v23, 0
	v_mov_b32_e32 v25, 0
	s_mov_b32 s9, exec_lo
	v_cmpx_ne_u16_e32 0, v7
	s_cbranch_execz .LBB255_1623
; %bb.1616:                             ;   in Loop: Header=BB255_1055 Depth=1
	v_bfrev_b32_e32 v24, 1
	v_mov_b32_e32 v25, 0
	s_mov_b32 s11, exec_lo
	v_cmpx_ne_u16_e32 0x80, v7
	s_cbranch_execz .LBB255_1622
; %bb.1617:                             ;   in Loop: Header=BB255_1055 Depth=1
	v_mov_b32_e32 v24, 0x7f800001
	v_bfe_u32 v10, v6, 16, 7
	v_mov_b32_e32 v25, 0
	s_mov_b32 s12, exec_lo
	v_cmpx_ne_u32_e32 0x7f, v10
	s_cbranch_execz .LBB255_1621
; %bb.1618:                             ;   in Loop: Header=BB255_1055 Depth=1
	v_mov_b32_e32 v7, 7
	s_mov_b32 s13, exec_lo
	v_and_b32_sdwa v8, v6, v7 dst_sel:DWORD dst_unused:UNUSED_PAD src0_sel:WORD_1 src1_sel:DWORD
	v_lshrrev_b32_e32 v7, 3, v10
	v_cmpx_gt_u32_e32 8, v10
; %bb.1619:                             ;   in Loop: Header=BB255_1055 Depth=1
	v_ffbh_u32_e32 v7, v8
	v_min_u32_e32 v7, 32, v7
	v_subrev_nc_u32_e32 v10, 28, v7
	v_sub_nc_u32_e32 v7, 29, v7
	v_lshlrev_b64 v[24:25], v10, v[8:9]
	v_and_b32_e32 v8, 7, v24
; %bb.1620:                             ;   in Loop: Header=BB255_1055 Depth=1
	s_or_b32 exec_lo, exec_lo, s13
	v_mov_b32_e32 v10, 24
	v_lshlrev_b32_e32 v8, 20, v8
	v_lshl_add_u32 v7, v7, 23, 0x3c000000
	v_lshlrev_b32_sdwa v10, v10, v6 dst_sel:DWORD dst_unused:UNUSED_PAD src0_sel:DWORD src1_sel:WORD_1
	v_and_b32_e32 v10, 0x80000000, v10
	v_or3_b32 v8, v8, v10, v7
	v_mov_b32_e32 v25, v9
	v_mov_b32_e32 v24, v8
.LBB255_1621:                           ;   in Loop: Header=BB255_1055 Depth=1
	s_or_b32 exec_lo, exec_lo, s12
.LBB255_1622:                           ;   in Loop: Header=BB255_1055 Depth=1
	s_or_b32 exec_lo, exec_lo, s11
.LBB255_1623:                           ;   in Loop: Header=BB255_1055 Depth=1
	s_or_b32 exec_lo, exec_lo, s9
	s_mov_b32 s9, exec_lo
	v_cmpx_lt_u32_e32 0xffffff, v6
	s_cbranch_execz .LBB255_1631
; %bb.1624:                             ;   in Loop: Header=BB255_1055 Depth=1
	v_mov_b32_e32 v10, v9
	v_mov_b32_e32 v23, v11
	v_cmp_ne_u32_sdwa s4, v6, v97 src0_sel:BYTE_3 src1_sel:DWORD
	v_mov_b32_e32 v22, v10
	s_and_saveexec_b32 s11, s4
	s_cbranch_execz .LBB255_1630
; %bb.1625:                             ;   in Loop: Header=BB255_1055 Depth=1
	v_mov_b32_e32 v12, v9
	v_mov_b32_e32 v23, v13
	v_bfe_u32 v10, v6, 24, 7
	s_mov_b32 s12, exec_lo
	v_mov_b32_e32 v22, v12
	v_cmpx_ne_u32_e32 0x7f, v10
	s_cbranch_execz .LBB255_1629
; %bb.1626:                             ;   in Loop: Header=BB255_1055 Depth=1
	v_mov_b32_e32 v7, 7
	s_mov_b32 s13, exec_lo
	v_and_b32_sdwa v8, v6, v7 dst_sel:DWORD dst_unused:UNUSED_PAD src0_sel:BYTE_3 src1_sel:DWORD
	v_lshrrev_b32_e32 v7, 3, v10
	v_cmpx_gt_u32_e32 8, v10
; %bb.1627:                             ;   in Loop: Header=BB255_1055 Depth=1
	v_ffbh_u32_e32 v7, v8
	v_min_u32_e32 v7, 32, v7
	v_subrev_nc_u32_e32 v10, 28, v7
	v_sub_nc_u32_e32 v7, 29, v7
	v_lshlrev_b64 v[22:23], v10, v[8:9]
	v_and_b32_e32 v8, 7, v22
; %bb.1628:                             ;   in Loop: Header=BB255_1055 Depth=1
	s_or_b32 exec_lo, exec_lo, s13
	v_mov_b32_e32 v10, 24
	v_lshlrev_b32_e32 v8, 20, v8
	v_lshl_add_u32 v7, v7, 23, 0x3c000000
	v_mov_b32_e32 v22, v9
	v_lshlrev_b32_sdwa v6, v10, v6 dst_sel:DWORD dst_unused:UNUSED_PAD src0_sel:DWORD src1_sel:BYTE_3
	v_and_b32_e32 v6, 0x80000000, v6
	v_or3_b32 v23, v8, v6, v7
.LBB255_1629:                           ;   in Loop: Header=BB255_1055 Depth=1
	s_or_b32 exec_lo, exec_lo, s12
.LBB255_1630:                           ;   in Loop: Header=BB255_1055 Depth=1
	s_or_b32 exec_lo, exec_lo, s11
.LBB255_1631:                           ;   in Loop: Header=BB255_1055 Depth=1
	s_or_b32 exec_lo, exec_lo, s9
	v_or_b32_e32 v6, v21, v19
	v_or_b32_e32 v7, v20, v18
	;; [unrolled: 1-line block ×4, first 2 shown]
	v_mul_f32_e32 v42, v114, v6
	v_mul_f32_e32 v46, v87, v7
	;; [unrolled: 1-line block ×4, first 2 shown]
	s_and_saveexec_b32 s9, vcc_lo
	s_cbranch_execz .LBB255_1633
; %bb.1632:                             ;   in Loop: Header=BB255_1055 Depth=1
	v_cmp_lt_i32_e64 s4, v43, v82
	v_cndmask_b32_e64 v46, 0, v46, s4
	v_cmp_lt_i32_e64 s4, v45, v82
	v_cndmask_b32_e64 v42, 0, v42, s4
	;; [unrolled: 2-line block ×4, first 2 shown]
.LBB255_1633:                           ;   in Loop: Header=BB255_1055 Depth=1
	s_or_b32 exec_lo, exec_lo, s9
	flat_load_dword v6, v[4:5] offset:128
	v_mov_b32_e32 v20, 0
	v_mov_b32_e32 v18, 0
	;; [unrolled: 1-line block ×4, first 2 shown]
	s_waitcnt vmcnt(0) lgkmcnt(0)
	v_cmp_ne_u16_sdwa s4, v6, v9 src0_sel:BYTE_0 src1_sel:DWORD
	s_and_saveexec_b32 s9, s4
	s_cbranch_execz .LBB255_1641
; %bb.1634:                             ;   in Loop: Header=BB255_1055 Depth=1
	v_bfrev_b32_e32 v18, 1
	v_mov_b32_e32 v19, 0
	v_cmp_ne_u16_sdwa s4, v6, v97 src0_sel:BYTE_0 src1_sel:DWORD
	s_and_saveexec_b32 s11, s4
	s_cbranch_execz .LBB255_1640
; %bb.1635:                             ;   in Loop: Header=BB255_1055 Depth=1
	v_mov_b32_e32 v18, 0x7f800001
	v_and_b32_e32 v10, 0x7f, v6
	v_mov_b32_e32 v19, 0
	s_mov_b32 s12, exec_lo
	v_cmpx_ne_u32_e32 0x7f, v10
	s_cbranch_execz .LBB255_1639
; %bb.1636:                             ;   in Loop: Header=BB255_1055 Depth=1
	v_and_b32_e32 v8, 7, v6
	v_lshrrev_b32_e32 v7, 3, v10
	s_mov_b32 s13, exec_lo
	v_cmpx_gt_u32_e32 8, v10
; %bb.1637:                             ;   in Loop: Header=BB255_1055 Depth=1
	v_ffbh_u32_e32 v7, v8
	v_min_u32_e32 v7, 32, v7
	v_subrev_nc_u32_e32 v10, 28, v7
	v_sub_nc_u32_e32 v7, 29, v7
	v_lshlrev_b64 v[18:19], v10, v[8:9]
	v_and_b32_e32 v8, 7, v18
; %bb.1638:                             ;   in Loop: Header=BB255_1055 Depth=1
	s_or_b32 exec_lo, exec_lo, s13
	v_lshlrev_b32_e32 v10, 24, v6
	v_lshlrev_b32_e32 v8, 20, v8
	v_lshl_add_u32 v7, v7, 23, 0x3c000000
	v_and_b32_e32 v10, 0x80000000, v10
	v_or3_b32 v8, v8, v10, v7
	v_mov_b32_e32 v19, v9
	v_mov_b32_e32 v18, v8
.LBB255_1639:                           ;   in Loop: Header=BB255_1055 Depth=1
	s_or_b32 exec_lo, exec_lo, s12
.LBB255_1640:                           ;   in Loop: Header=BB255_1055 Depth=1
	s_or_b32 exec_lo, exec_lo, s11
.LBB255_1641:                           ;   in Loop: Header=BB255_1055 Depth=1
	s_or_b32 exec_lo, exec_lo, s9
	v_cmp_ne_u16_sdwa s4, v6, v9 src0_sel:BYTE_1 src1_sel:DWORD
	s_and_saveexec_b32 s9, s4
	s_cbranch_execz .LBB255_1649
; %bb.1642:                             ;   in Loop: Header=BB255_1055 Depth=1
	v_mov_b32_e32 v10, v9
	v_mov_b32_e32 v21, v11
	v_cmp_ne_u16_sdwa s4, v6, v97 src0_sel:BYTE_1 src1_sel:DWORD
	v_mov_b32_e32 v20, v10
	s_and_saveexec_b32 s11, s4
	s_cbranch_execz .LBB255_1648
; %bb.1643:                             ;   in Loop: Header=BB255_1055 Depth=1
	v_mov_b32_e32 v7, 0xffff
	v_mov_b32_e32 v12, v9
	;; [unrolled: 1-line block ×3, first 2 shown]
	s_mov_b32 s12, exec_lo
	v_and_b32_sdwa v7, v7, v6 dst_sel:DWORD dst_unused:UNUSED_PAD src0_sel:DWORD src1_sel:BYTE_1
	v_mov_b32_e32 v20, v12
	v_and_b32_e32 v10, 0x7f, v7
	v_cmpx_ne_u32_e32 0x7f, v10
	s_cbranch_execz .LBB255_1647
; %bb.1644:                             ;   in Loop: Header=BB255_1055 Depth=1
	v_and_b32_e32 v8, 7, v7
	v_lshrrev_b32_e32 v7, 3, v10
	s_mov_b32 s13, exec_lo
	v_cmpx_gt_u32_e32 8, v10
; %bb.1645:                             ;   in Loop: Header=BB255_1055 Depth=1
	v_ffbh_u32_e32 v7, v8
	v_min_u32_e32 v7, 32, v7
	v_subrev_nc_u32_e32 v10, 28, v7
	v_sub_nc_u32_e32 v7, 29, v7
	v_lshlrev_b64 v[20:21], v10, v[8:9]
	v_and_b32_e32 v8, 7, v20
; %bb.1646:                             ;   in Loop: Header=BB255_1055 Depth=1
	s_or_b32 exec_lo, exec_lo, s13
	v_lshlrev_b32_e32 v10, 16, v6
	v_lshlrev_b32_e32 v8, 20, v8
	v_lshl_add_u32 v7, v7, 23, 0x3c000000
	v_mov_b32_e32 v20, v9
	v_and_b32_e32 v10, 0x80000000, v10
	v_or3_b32 v21, v8, v10, v7
.LBB255_1647:                           ;   in Loop: Header=BB255_1055 Depth=1
	s_or_b32 exec_lo, exec_lo, s12
.LBB255_1648:                           ;   in Loop: Header=BB255_1055 Depth=1
	s_or_b32 exec_lo, exec_lo, s11
.LBB255_1649:                           ;   in Loop: Header=BB255_1055 Depth=1
	s_or_b32 exec_lo, exec_lo, s9
	v_mov_b32_e32 v22, 0
	v_mov_b32_e32 v24, 0
	v_and_b32_sdwa v7, v6, v99 dst_sel:DWORD dst_unused:UNUSED_PAD src0_sel:WORD_1 src1_sel:DWORD
	v_mov_b32_e32 v23, 0
	v_mov_b32_e32 v25, 0
	s_mov_b32 s9, exec_lo
	v_cmpx_ne_u16_e32 0, v7
	s_cbranch_execz .LBB255_1657
; %bb.1650:                             ;   in Loop: Header=BB255_1055 Depth=1
	v_bfrev_b32_e32 v24, 1
	v_mov_b32_e32 v25, 0
	s_mov_b32 s11, exec_lo
	v_cmpx_ne_u16_e32 0x80, v7
	s_cbranch_execz .LBB255_1656
; %bb.1651:                             ;   in Loop: Header=BB255_1055 Depth=1
	v_mov_b32_e32 v24, 0x7f800001
	v_bfe_u32 v10, v6, 16, 7
	v_mov_b32_e32 v25, 0
	s_mov_b32 s12, exec_lo
	v_cmpx_ne_u32_e32 0x7f, v10
	s_cbranch_execz .LBB255_1655
; %bb.1652:                             ;   in Loop: Header=BB255_1055 Depth=1
	v_mov_b32_e32 v7, 7
	s_mov_b32 s13, exec_lo
	v_and_b32_sdwa v8, v6, v7 dst_sel:DWORD dst_unused:UNUSED_PAD src0_sel:WORD_1 src1_sel:DWORD
	v_lshrrev_b32_e32 v7, 3, v10
	v_cmpx_gt_u32_e32 8, v10
; %bb.1653:                             ;   in Loop: Header=BB255_1055 Depth=1
	v_ffbh_u32_e32 v7, v8
	v_min_u32_e32 v7, 32, v7
	v_subrev_nc_u32_e32 v10, 28, v7
	v_sub_nc_u32_e32 v7, 29, v7
	v_lshlrev_b64 v[24:25], v10, v[8:9]
	v_and_b32_e32 v8, 7, v24
; %bb.1654:                             ;   in Loop: Header=BB255_1055 Depth=1
	s_or_b32 exec_lo, exec_lo, s13
	v_mov_b32_e32 v10, 24
	v_lshlrev_b32_e32 v8, 20, v8
	v_lshl_add_u32 v7, v7, 23, 0x3c000000
	v_lshlrev_b32_sdwa v10, v10, v6 dst_sel:DWORD dst_unused:UNUSED_PAD src0_sel:DWORD src1_sel:WORD_1
	v_and_b32_e32 v10, 0x80000000, v10
	v_or3_b32 v8, v8, v10, v7
	v_mov_b32_e32 v25, v9
	v_mov_b32_e32 v24, v8
.LBB255_1655:                           ;   in Loop: Header=BB255_1055 Depth=1
	s_or_b32 exec_lo, exec_lo, s12
.LBB255_1656:                           ;   in Loop: Header=BB255_1055 Depth=1
	s_or_b32 exec_lo, exec_lo, s11
.LBB255_1657:                           ;   in Loop: Header=BB255_1055 Depth=1
	s_or_b32 exec_lo, exec_lo, s9
	s_mov_b32 s9, exec_lo
	v_cmpx_lt_u32_e32 0xffffff, v6
	s_cbranch_execz .LBB255_1665
; %bb.1658:                             ;   in Loop: Header=BB255_1055 Depth=1
	v_mov_b32_e32 v10, v9
	v_mov_b32_e32 v23, v11
	v_cmp_ne_u32_sdwa s4, v6, v97 src0_sel:BYTE_3 src1_sel:DWORD
	v_mov_b32_e32 v22, v10
	s_and_saveexec_b32 s11, s4
	s_cbranch_execz .LBB255_1664
; %bb.1659:                             ;   in Loop: Header=BB255_1055 Depth=1
	v_mov_b32_e32 v12, v9
	v_mov_b32_e32 v23, v13
	v_bfe_u32 v10, v6, 24, 7
	s_mov_b32 s12, exec_lo
	v_mov_b32_e32 v22, v12
	v_cmpx_ne_u32_e32 0x7f, v10
	s_cbranch_execz .LBB255_1663
; %bb.1660:                             ;   in Loop: Header=BB255_1055 Depth=1
	v_mov_b32_e32 v7, 7
	s_mov_b32 s13, exec_lo
	v_and_b32_sdwa v8, v6, v7 dst_sel:DWORD dst_unused:UNUSED_PAD src0_sel:BYTE_3 src1_sel:DWORD
	v_lshrrev_b32_e32 v7, 3, v10
	v_cmpx_gt_u32_e32 8, v10
; %bb.1661:                             ;   in Loop: Header=BB255_1055 Depth=1
	v_ffbh_u32_e32 v7, v8
	v_min_u32_e32 v7, 32, v7
	v_subrev_nc_u32_e32 v10, 28, v7
	v_sub_nc_u32_e32 v7, 29, v7
	v_lshlrev_b64 v[22:23], v10, v[8:9]
	v_and_b32_e32 v8, 7, v22
; %bb.1662:                             ;   in Loop: Header=BB255_1055 Depth=1
	s_or_b32 exec_lo, exec_lo, s13
	v_mov_b32_e32 v10, 24
	v_lshlrev_b32_e32 v8, 20, v8
	v_lshl_add_u32 v7, v7, 23, 0x3c000000
	v_mov_b32_e32 v22, v9
	v_lshlrev_b32_sdwa v6, v10, v6 dst_sel:DWORD dst_unused:UNUSED_PAD src0_sel:DWORD src1_sel:BYTE_3
	v_and_b32_e32 v6, 0x80000000, v6
	v_or3_b32 v23, v8, v6, v7
.LBB255_1663:                           ;   in Loop: Header=BB255_1055 Depth=1
	s_or_b32 exec_lo, exec_lo, s12
.LBB255_1664:                           ;   in Loop: Header=BB255_1055 Depth=1
	s_or_b32 exec_lo, exec_lo, s11
.LBB255_1665:                           ;   in Loop: Header=BB255_1055 Depth=1
	s_or_b32 exec_lo, exec_lo, s9
	v_or_b32_e32 v6, v21, v19
	v_or_b32_e32 v7, v20, v18
	;; [unrolled: 1-line block ×4, first 2 shown]
	v_mul_f32_e32 v57, v114, v6
	v_mul_f32_e32 v58, v87, v7
	;; [unrolled: 1-line block ×4, first 2 shown]
	s_and_saveexec_b32 s9, vcc_lo
	s_cbranch_execz .LBB255_1667
; %bb.1666:                             ;   in Loop: Header=BB255_1055 Depth=1
	v_cmp_lt_i32_e64 s4, v43, v82
	v_cndmask_b32_e64 v58, 0, v58, s4
	v_cmp_lt_i32_e64 s4, v45, v82
	v_cndmask_b32_e64 v57, 0, v57, s4
	;; [unrolled: 2-line block ×4, first 2 shown]
.LBB255_1667:                           ;   in Loop: Header=BB255_1055 Depth=1
	s_or_b32 exec_lo, exec_lo, s9
	flat_load_dword v6, v[4:5] offset:256
	v_mov_b32_e32 v20, 0
	v_mov_b32_e32 v18, 0
	;; [unrolled: 1-line block ×4, first 2 shown]
	s_waitcnt vmcnt(0) lgkmcnt(0)
	v_cmp_ne_u16_sdwa s4, v6, v9 src0_sel:BYTE_0 src1_sel:DWORD
	s_and_saveexec_b32 s9, s4
	s_cbranch_execz .LBB255_1675
; %bb.1668:                             ;   in Loop: Header=BB255_1055 Depth=1
	v_bfrev_b32_e32 v18, 1
	v_mov_b32_e32 v19, 0
	v_cmp_ne_u16_sdwa s4, v6, v97 src0_sel:BYTE_0 src1_sel:DWORD
	s_and_saveexec_b32 s11, s4
	s_cbranch_execz .LBB255_1674
; %bb.1669:                             ;   in Loop: Header=BB255_1055 Depth=1
	v_mov_b32_e32 v18, 0x7f800001
	v_and_b32_e32 v10, 0x7f, v6
	v_mov_b32_e32 v19, 0
	s_mov_b32 s12, exec_lo
	v_cmpx_ne_u32_e32 0x7f, v10
	s_cbranch_execz .LBB255_1673
; %bb.1670:                             ;   in Loop: Header=BB255_1055 Depth=1
	v_and_b32_e32 v8, 7, v6
	v_lshrrev_b32_e32 v7, 3, v10
	s_mov_b32 s13, exec_lo
	v_cmpx_gt_u32_e32 8, v10
; %bb.1671:                             ;   in Loop: Header=BB255_1055 Depth=1
	v_ffbh_u32_e32 v7, v8
	v_min_u32_e32 v7, 32, v7
	v_subrev_nc_u32_e32 v10, 28, v7
	v_sub_nc_u32_e32 v7, 29, v7
	v_lshlrev_b64 v[18:19], v10, v[8:9]
	v_and_b32_e32 v8, 7, v18
; %bb.1672:                             ;   in Loop: Header=BB255_1055 Depth=1
	s_or_b32 exec_lo, exec_lo, s13
	v_lshlrev_b32_e32 v10, 24, v6
	v_lshlrev_b32_e32 v8, 20, v8
	v_lshl_add_u32 v7, v7, 23, 0x3c000000
	v_and_b32_e32 v10, 0x80000000, v10
	v_or3_b32 v8, v8, v10, v7
	v_mov_b32_e32 v19, v9
	v_mov_b32_e32 v18, v8
.LBB255_1673:                           ;   in Loop: Header=BB255_1055 Depth=1
	s_or_b32 exec_lo, exec_lo, s12
.LBB255_1674:                           ;   in Loop: Header=BB255_1055 Depth=1
	s_or_b32 exec_lo, exec_lo, s11
.LBB255_1675:                           ;   in Loop: Header=BB255_1055 Depth=1
	s_or_b32 exec_lo, exec_lo, s9
	v_cmp_ne_u16_sdwa s4, v6, v9 src0_sel:BYTE_1 src1_sel:DWORD
	s_and_saveexec_b32 s9, s4
	s_cbranch_execz .LBB255_1683
; %bb.1676:                             ;   in Loop: Header=BB255_1055 Depth=1
	v_mov_b32_e32 v10, v9
	v_mov_b32_e32 v21, v11
	v_cmp_ne_u16_sdwa s4, v6, v97 src0_sel:BYTE_1 src1_sel:DWORD
	v_mov_b32_e32 v20, v10
	s_and_saveexec_b32 s11, s4
	s_cbranch_execz .LBB255_1682
; %bb.1677:                             ;   in Loop: Header=BB255_1055 Depth=1
	v_mov_b32_e32 v7, 0xffff
	v_mov_b32_e32 v12, v9
	;; [unrolled: 1-line block ×3, first 2 shown]
	s_mov_b32 s12, exec_lo
	v_and_b32_sdwa v7, v7, v6 dst_sel:DWORD dst_unused:UNUSED_PAD src0_sel:DWORD src1_sel:BYTE_1
	v_mov_b32_e32 v20, v12
	v_and_b32_e32 v10, 0x7f, v7
	v_cmpx_ne_u32_e32 0x7f, v10
	s_cbranch_execz .LBB255_1681
; %bb.1678:                             ;   in Loop: Header=BB255_1055 Depth=1
	v_and_b32_e32 v8, 7, v7
	v_lshrrev_b32_e32 v7, 3, v10
	s_mov_b32 s13, exec_lo
	v_cmpx_gt_u32_e32 8, v10
; %bb.1679:                             ;   in Loop: Header=BB255_1055 Depth=1
	v_ffbh_u32_e32 v7, v8
	v_min_u32_e32 v7, 32, v7
	v_subrev_nc_u32_e32 v10, 28, v7
	v_sub_nc_u32_e32 v7, 29, v7
	v_lshlrev_b64 v[20:21], v10, v[8:9]
	v_and_b32_e32 v8, 7, v20
; %bb.1680:                             ;   in Loop: Header=BB255_1055 Depth=1
	s_or_b32 exec_lo, exec_lo, s13
	v_lshlrev_b32_e32 v10, 16, v6
	v_lshlrev_b32_e32 v8, 20, v8
	v_lshl_add_u32 v7, v7, 23, 0x3c000000
	v_mov_b32_e32 v20, v9
	v_and_b32_e32 v10, 0x80000000, v10
	v_or3_b32 v21, v8, v10, v7
.LBB255_1681:                           ;   in Loop: Header=BB255_1055 Depth=1
	s_or_b32 exec_lo, exec_lo, s12
.LBB255_1682:                           ;   in Loop: Header=BB255_1055 Depth=1
	s_or_b32 exec_lo, exec_lo, s11
.LBB255_1683:                           ;   in Loop: Header=BB255_1055 Depth=1
	s_or_b32 exec_lo, exec_lo, s9
	v_mov_b32_e32 v22, 0
	v_mov_b32_e32 v24, 0
	v_and_b32_sdwa v7, v6, v99 dst_sel:DWORD dst_unused:UNUSED_PAD src0_sel:WORD_1 src1_sel:DWORD
	v_mov_b32_e32 v23, 0
	v_mov_b32_e32 v25, 0
	s_mov_b32 s9, exec_lo
	v_cmpx_ne_u16_e32 0, v7
	s_cbranch_execz .LBB255_1691
; %bb.1684:                             ;   in Loop: Header=BB255_1055 Depth=1
	v_bfrev_b32_e32 v24, 1
	v_mov_b32_e32 v25, 0
	s_mov_b32 s11, exec_lo
	v_cmpx_ne_u16_e32 0x80, v7
	s_cbranch_execz .LBB255_1690
; %bb.1685:                             ;   in Loop: Header=BB255_1055 Depth=1
	v_mov_b32_e32 v24, 0x7f800001
	v_bfe_u32 v10, v6, 16, 7
	v_mov_b32_e32 v25, 0
	s_mov_b32 s12, exec_lo
	v_cmpx_ne_u32_e32 0x7f, v10
	s_cbranch_execz .LBB255_1689
; %bb.1686:                             ;   in Loop: Header=BB255_1055 Depth=1
	v_mov_b32_e32 v7, 7
	s_mov_b32 s13, exec_lo
	v_and_b32_sdwa v8, v6, v7 dst_sel:DWORD dst_unused:UNUSED_PAD src0_sel:WORD_1 src1_sel:DWORD
	v_lshrrev_b32_e32 v7, 3, v10
	v_cmpx_gt_u32_e32 8, v10
; %bb.1687:                             ;   in Loop: Header=BB255_1055 Depth=1
	v_ffbh_u32_e32 v7, v8
	v_min_u32_e32 v7, 32, v7
	v_subrev_nc_u32_e32 v10, 28, v7
	v_sub_nc_u32_e32 v7, 29, v7
	v_lshlrev_b64 v[24:25], v10, v[8:9]
	v_and_b32_e32 v8, 7, v24
; %bb.1688:                             ;   in Loop: Header=BB255_1055 Depth=1
	s_or_b32 exec_lo, exec_lo, s13
	v_mov_b32_e32 v10, 24
	v_lshlrev_b32_e32 v8, 20, v8
	v_lshl_add_u32 v7, v7, 23, 0x3c000000
	v_lshlrev_b32_sdwa v10, v10, v6 dst_sel:DWORD dst_unused:UNUSED_PAD src0_sel:DWORD src1_sel:WORD_1
	v_and_b32_e32 v10, 0x80000000, v10
	v_or3_b32 v8, v8, v10, v7
	v_mov_b32_e32 v25, v9
	v_mov_b32_e32 v24, v8
.LBB255_1689:                           ;   in Loop: Header=BB255_1055 Depth=1
	s_or_b32 exec_lo, exec_lo, s12
.LBB255_1690:                           ;   in Loop: Header=BB255_1055 Depth=1
	s_or_b32 exec_lo, exec_lo, s11
.LBB255_1691:                           ;   in Loop: Header=BB255_1055 Depth=1
	s_or_b32 exec_lo, exec_lo, s9
	s_mov_b32 s9, exec_lo
	v_cmpx_lt_u32_e32 0xffffff, v6
	s_cbranch_execz .LBB255_1699
; %bb.1692:                             ;   in Loop: Header=BB255_1055 Depth=1
	v_mov_b32_e32 v10, v9
	v_mov_b32_e32 v23, v11
	v_cmp_ne_u32_sdwa s4, v6, v97 src0_sel:BYTE_3 src1_sel:DWORD
	v_mov_b32_e32 v22, v10
	s_and_saveexec_b32 s11, s4
	s_cbranch_execz .LBB255_1698
; %bb.1693:                             ;   in Loop: Header=BB255_1055 Depth=1
	v_mov_b32_e32 v12, v9
	v_mov_b32_e32 v23, v13
	v_bfe_u32 v10, v6, 24, 7
	s_mov_b32 s12, exec_lo
	v_mov_b32_e32 v22, v12
	v_cmpx_ne_u32_e32 0x7f, v10
	s_cbranch_execz .LBB255_1697
; %bb.1694:                             ;   in Loop: Header=BB255_1055 Depth=1
	v_mov_b32_e32 v7, 7
	s_mov_b32 s13, exec_lo
	v_and_b32_sdwa v8, v6, v7 dst_sel:DWORD dst_unused:UNUSED_PAD src0_sel:BYTE_3 src1_sel:DWORD
	v_lshrrev_b32_e32 v7, 3, v10
	v_cmpx_gt_u32_e32 8, v10
; %bb.1695:                             ;   in Loop: Header=BB255_1055 Depth=1
	v_ffbh_u32_e32 v7, v8
	v_min_u32_e32 v7, 32, v7
	v_subrev_nc_u32_e32 v10, 28, v7
	v_sub_nc_u32_e32 v7, 29, v7
	v_lshlrev_b64 v[22:23], v10, v[8:9]
	v_and_b32_e32 v8, 7, v22
; %bb.1696:                             ;   in Loop: Header=BB255_1055 Depth=1
	s_or_b32 exec_lo, exec_lo, s13
	v_mov_b32_e32 v10, 24
	v_lshlrev_b32_e32 v8, 20, v8
	v_lshl_add_u32 v7, v7, 23, 0x3c000000
	v_mov_b32_e32 v22, v9
	v_lshlrev_b32_sdwa v6, v10, v6 dst_sel:DWORD dst_unused:UNUSED_PAD src0_sel:DWORD src1_sel:BYTE_3
	v_and_b32_e32 v6, 0x80000000, v6
	v_or3_b32 v23, v8, v6, v7
.LBB255_1697:                           ;   in Loop: Header=BB255_1055 Depth=1
	s_or_b32 exec_lo, exec_lo, s12
.LBB255_1698:                           ;   in Loop: Header=BB255_1055 Depth=1
	s_or_b32 exec_lo, exec_lo, s11
.LBB255_1699:                           ;   in Loop: Header=BB255_1055 Depth=1
	s_or_b32 exec_lo, exec_lo, s9
	v_or_b32_e32 v6, v21, v19
	v_or_b32_e32 v7, v20, v18
	v_or_b32_e32 v8, v22, v24
	v_or_b32_e32 v10, v23, v25
	v_mul_f32_e32 v62, v114, v6
	v_mul_f32_e32 v61, v87, v7
	;; [unrolled: 1-line block ×4, first 2 shown]
	s_and_saveexec_b32 s9, vcc_lo
	s_cbranch_execz .LBB255_1701
; %bb.1700:                             ;   in Loop: Header=BB255_1055 Depth=1
	v_cmp_lt_i32_e64 s4, v43, v82
	v_cndmask_b32_e64 v61, 0, v61, s4
	v_cmp_lt_i32_e64 s4, v45, v82
	v_cndmask_b32_e64 v62, 0, v62, s4
	;; [unrolled: 2-line block ×4, first 2 shown]
.LBB255_1701:                           ;   in Loop: Header=BB255_1055 Depth=1
	s_or_b32 exec_lo, exec_lo, s9
	flat_load_dword v6, v[4:5] offset:384
	v_mov_b32_e32 v20, 0
	v_mov_b32_e32 v18, 0
	;; [unrolled: 1-line block ×4, first 2 shown]
	s_waitcnt vmcnt(0) lgkmcnt(0)
	v_cmp_ne_u16_sdwa s4, v6, v9 src0_sel:BYTE_0 src1_sel:DWORD
	s_and_saveexec_b32 s9, s4
	s_cbranch_execz .LBB255_1709
; %bb.1702:                             ;   in Loop: Header=BB255_1055 Depth=1
	v_bfrev_b32_e32 v18, 1
	v_mov_b32_e32 v19, 0
	v_cmp_ne_u16_sdwa s4, v6, v97 src0_sel:BYTE_0 src1_sel:DWORD
	s_and_saveexec_b32 s11, s4
	s_cbranch_execz .LBB255_1708
; %bb.1703:                             ;   in Loop: Header=BB255_1055 Depth=1
	v_mov_b32_e32 v18, 0x7f800001
	v_and_b32_e32 v10, 0x7f, v6
	v_mov_b32_e32 v19, 0
	s_mov_b32 s12, exec_lo
	v_cmpx_ne_u32_e32 0x7f, v10
	s_cbranch_execz .LBB255_1707
; %bb.1704:                             ;   in Loop: Header=BB255_1055 Depth=1
	v_and_b32_e32 v8, 7, v6
	v_lshrrev_b32_e32 v7, 3, v10
	s_mov_b32 s13, exec_lo
	v_cmpx_gt_u32_e32 8, v10
; %bb.1705:                             ;   in Loop: Header=BB255_1055 Depth=1
	v_ffbh_u32_e32 v7, v8
	v_min_u32_e32 v7, 32, v7
	v_subrev_nc_u32_e32 v10, 28, v7
	v_sub_nc_u32_e32 v7, 29, v7
	v_lshlrev_b64 v[18:19], v10, v[8:9]
	v_and_b32_e32 v8, 7, v18
; %bb.1706:                             ;   in Loop: Header=BB255_1055 Depth=1
	s_or_b32 exec_lo, exec_lo, s13
	v_lshlrev_b32_e32 v10, 24, v6
	v_lshlrev_b32_e32 v8, 20, v8
	v_lshl_add_u32 v7, v7, 23, 0x3c000000
	v_and_b32_e32 v10, 0x80000000, v10
	v_or3_b32 v8, v8, v10, v7
	v_mov_b32_e32 v19, v9
	v_mov_b32_e32 v18, v8
.LBB255_1707:                           ;   in Loop: Header=BB255_1055 Depth=1
	s_or_b32 exec_lo, exec_lo, s12
.LBB255_1708:                           ;   in Loop: Header=BB255_1055 Depth=1
	s_or_b32 exec_lo, exec_lo, s11
.LBB255_1709:                           ;   in Loop: Header=BB255_1055 Depth=1
	s_or_b32 exec_lo, exec_lo, s9
	v_cmp_ne_u16_sdwa s4, v6, v9 src0_sel:BYTE_1 src1_sel:DWORD
	s_and_saveexec_b32 s9, s4
	s_cbranch_execz .LBB255_1717
; %bb.1710:                             ;   in Loop: Header=BB255_1055 Depth=1
	v_mov_b32_e32 v10, v9
	v_mov_b32_e32 v21, v11
	v_cmp_ne_u16_sdwa s4, v6, v97 src0_sel:BYTE_1 src1_sel:DWORD
	v_mov_b32_e32 v20, v10
	s_and_saveexec_b32 s11, s4
	s_cbranch_execz .LBB255_1716
; %bb.1711:                             ;   in Loop: Header=BB255_1055 Depth=1
	v_mov_b32_e32 v7, 0xffff
	v_mov_b32_e32 v12, v9
	;; [unrolled: 1-line block ×3, first 2 shown]
	s_mov_b32 s12, exec_lo
	v_and_b32_sdwa v7, v7, v6 dst_sel:DWORD dst_unused:UNUSED_PAD src0_sel:DWORD src1_sel:BYTE_1
	v_mov_b32_e32 v20, v12
	v_and_b32_e32 v10, 0x7f, v7
	v_cmpx_ne_u32_e32 0x7f, v10
	s_cbranch_execz .LBB255_1715
; %bb.1712:                             ;   in Loop: Header=BB255_1055 Depth=1
	v_and_b32_e32 v8, 7, v7
	v_lshrrev_b32_e32 v7, 3, v10
	s_mov_b32 s13, exec_lo
	v_cmpx_gt_u32_e32 8, v10
; %bb.1713:                             ;   in Loop: Header=BB255_1055 Depth=1
	v_ffbh_u32_e32 v7, v8
	v_min_u32_e32 v7, 32, v7
	v_subrev_nc_u32_e32 v10, 28, v7
	v_sub_nc_u32_e32 v7, 29, v7
	v_lshlrev_b64 v[20:21], v10, v[8:9]
	v_and_b32_e32 v8, 7, v20
; %bb.1714:                             ;   in Loop: Header=BB255_1055 Depth=1
	s_or_b32 exec_lo, exec_lo, s13
	v_lshlrev_b32_e32 v10, 16, v6
	v_lshlrev_b32_e32 v8, 20, v8
	v_lshl_add_u32 v7, v7, 23, 0x3c000000
	v_mov_b32_e32 v20, v9
	v_and_b32_e32 v10, 0x80000000, v10
	v_or3_b32 v21, v8, v10, v7
.LBB255_1715:                           ;   in Loop: Header=BB255_1055 Depth=1
	s_or_b32 exec_lo, exec_lo, s12
.LBB255_1716:                           ;   in Loop: Header=BB255_1055 Depth=1
	s_or_b32 exec_lo, exec_lo, s11
.LBB255_1717:                           ;   in Loop: Header=BB255_1055 Depth=1
	s_or_b32 exec_lo, exec_lo, s9
	v_mov_b32_e32 v22, 0
	v_mov_b32_e32 v24, 0
	v_and_b32_sdwa v7, v6, v99 dst_sel:DWORD dst_unused:UNUSED_PAD src0_sel:WORD_1 src1_sel:DWORD
	v_mov_b32_e32 v23, 0
	v_mov_b32_e32 v25, 0
	s_mov_b32 s9, exec_lo
	v_cmpx_ne_u16_e32 0, v7
	s_cbranch_execz .LBB255_1725
; %bb.1718:                             ;   in Loop: Header=BB255_1055 Depth=1
	v_bfrev_b32_e32 v24, 1
	v_mov_b32_e32 v25, 0
	s_mov_b32 s11, exec_lo
	v_cmpx_ne_u16_e32 0x80, v7
	s_cbranch_execz .LBB255_1724
; %bb.1719:                             ;   in Loop: Header=BB255_1055 Depth=1
	v_mov_b32_e32 v24, 0x7f800001
	v_bfe_u32 v10, v6, 16, 7
	v_mov_b32_e32 v25, 0
	s_mov_b32 s12, exec_lo
	v_cmpx_ne_u32_e32 0x7f, v10
	s_cbranch_execz .LBB255_1723
; %bb.1720:                             ;   in Loop: Header=BB255_1055 Depth=1
	v_mov_b32_e32 v7, 7
	s_mov_b32 s13, exec_lo
	v_and_b32_sdwa v8, v6, v7 dst_sel:DWORD dst_unused:UNUSED_PAD src0_sel:WORD_1 src1_sel:DWORD
	v_lshrrev_b32_e32 v7, 3, v10
	v_cmpx_gt_u32_e32 8, v10
; %bb.1721:                             ;   in Loop: Header=BB255_1055 Depth=1
	v_ffbh_u32_e32 v7, v8
	v_min_u32_e32 v7, 32, v7
	v_subrev_nc_u32_e32 v10, 28, v7
	v_sub_nc_u32_e32 v7, 29, v7
	v_lshlrev_b64 v[24:25], v10, v[8:9]
	v_and_b32_e32 v8, 7, v24
; %bb.1722:                             ;   in Loop: Header=BB255_1055 Depth=1
	s_or_b32 exec_lo, exec_lo, s13
	v_mov_b32_e32 v10, 24
	v_lshlrev_b32_e32 v8, 20, v8
	v_lshl_add_u32 v7, v7, 23, 0x3c000000
	v_lshlrev_b32_sdwa v10, v10, v6 dst_sel:DWORD dst_unused:UNUSED_PAD src0_sel:DWORD src1_sel:WORD_1
	v_and_b32_e32 v10, 0x80000000, v10
	v_or3_b32 v8, v8, v10, v7
	v_mov_b32_e32 v25, v9
	v_mov_b32_e32 v24, v8
.LBB255_1723:                           ;   in Loop: Header=BB255_1055 Depth=1
	s_or_b32 exec_lo, exec_lo, s12
.LBB255_1724:                           ;   in Loop: Header=BB255_1055 Depth=1
	s_or_b32 exec_lo, exec_lo, s11
.LBB255_1725:                           ;   in Loop: Header=BB255_1055 Depth=1
	s_or_b32 exec_lo, exec_lo, s9
	s_mov_b32 s9, exec_lo
	v_cmpx_lt_u32_e32 0xffffff, v6
	s_cbranch_execz .LBB255_1733
; %bb.1726:                             ;   in Loop: Header=BB255_1055 Depth=1
	v_mov_b32_e32 v10, v9
	v_mov_b32_e32 v23, v11
	v_cmp_ne_u32_sdwa s4, v6, v97 src0_sel:BYTE_3 src1_sel:DWORD
	v_mov_b32_e32 v22, v10
	s_and_saveexec_b32 s11, s4
	s_cbranch_execz .LBB255_1732
; %bb.1727:                             ;   in Loop: Header=BB255_1055 Depth=1
	v_mov_b32_e32 v12, v9
	v_mov_b32_e32 v23, v13
	v_bfe_u32 v10, v6, 24, 7
	s_mov_b32 s12, exec_lo
	v_mov_b32_e32 v22, v12
	v_cmpx_ne_u32_e32 0x7f, v10
	s_cbranch_execz .LBB255_1731
; %bb.1728:                             ;   in Loop: Header=BB255_1055 Depth=1
	v_mov_b32_e32 v7, 7
	s_mov_b32 s13, exec_lo
	v_and_b32_sdwa v8, v6, v7 dst_sel:DWORD dst_unused:UNUSED_PAD src0_sel:BYTE_3 src1_sel:DWORD
	v_lshrrev_b32_e32 v7, 3, v10
	v_cmpx_gt_u32_e32 8, v10
; %bb.1729:                             ;   in Loop: Header=BB255_1055 Depth=1
	v_ffbh_u32_e32 v7, v8
	v_min_u32_e32 v7, 32, v7
	v_subrev_nc_u32_e32 v10, 28, v7
	v_sub_nc_u32_e32 v7, 29, v7
	v_lshlrev_b64 v[22:23], v10, v[8:9]
	v_and_b32_e32 v8, 7, v22
; %bb.1730:                             ;   in Loop: Header=BB255_1055 Depth=1
	s_or_b32 exec_lo, exec_lo, s13
	v_mov_b32_e32 v10, 24
	v_lshlrev_b32_e32 v8, 20, v8
	v_lshl_add_u32 v7, v7, 23, 0x3c000000
	v_mov_b32_e32 v22, v9
	v_lshlrev_b32_sdwa v6, v10, v6 dst_sel:DWORD dst_unused:UNUSED_PAD src0_sel:DWORD src1_sel:BYTE_3
	v_and_b32_e32 v6, 0x80000000, v6
	v_or3_b32 v23, v8, v6, v7
.LBB255_1731:                           ;   in Loop: Header=BB255_1055 Depth=1
	s_or_b32 exec_lo, exec_lo, s12
.LBB255_1732:                           ;   in Loop: Header=BB255_1055 Depth=1
	s_or_b32 exec_lo, exec_lo, s11
.LBB255_1733:                           ;   in Loop: Header=BB255_1055 Depth=1
	s_or_b32 exec_lo, exec_lo, s9
	v_or_b32_e32 v6, v21, v19
	v_or_b32_e32 v7, v20, v18
	;; [unrolled: 1-line block ×4, first 2 shown]
	v_mul_f32_e32 v74, v114, v6
	v_mul_f32_e32 v73, v87, v7
	;; [unrolled: 1-line block ×4, first 2 shown]
	s_and_saveexec_b32 s9, vcc_lo
	s_cbranch_execz .LBB255_1735
; %bb.1734:                             ;   in Loop: Header=BB255_1055 Depth=1
	v_cmp_lt_i32_e64 s4, v43, v82
	v_cndmask_b32_e64 v73, 0, v73, s4
	v_cmp_lt_i32_e64 s4, v45, v82
	v_cndmask_b32_e64 v74, 0, v74, s4
	v_cmp_lt_i32_e64 s4, v44, v82
	v_cndmask_b32_e64 v72, 0, v72, s4
	v_cmp_lt_i32_e64 s4, v112, v82
	v_cndmask_b32_e64 v63, 0, v63, s4
.LBB255_1735:                           ;   in Loop: Header=BB255_1055 Depth=1
	s_or_b32 exec_lo, exec_lo, s9
	flat_load_dword v6, v[4:5] offset:512
	v_mov_b32_e32 v20, 0
	v_mov_b32_e32 v18, 0
	;; [unrolled: 1-line block ×4, first 2 shown]
	s_waitcnt vmcnt(0) lgkmcnt(0)
	v_cmp_ne_u16_sdwa s4, v6, v9 src0_sel:BYTE_0 src1_sel:DWORD
	s_and_saveexec_b32 s9, s4
	s_cbranch_execz .LBB255_1743
; %bb.1736:                             ;   in Loop: Header=BB255_1055 Depth=1
	v_bfrev_b32_e32 v18, 1
	v_mov_b32_e32 v19, 0
	v_cmp_ne_u16_sdwa s4, v6, v97 src0_sel:BYTE_0 src1_sel:DWORD
	s_and_saveexec_b32 s11, s4
	s_cbranch_execz .LBB255_1742
; %bb.1737:                             ;   in Loop: Header=BB255_1055 Depth=1
	v_mov_b32_e32 v18, 0x7f800001
	v_and_b32_e32 v10, 0x7f, v6
	v_mov_b32_e32 v19, 0
	s_mov_b32 s12, exec_lo
	v_cmpx_ne_u32_e32 0x7f, v10
	s_cbranch_execz .LBB255_1741
; %bb.1738:                             ;   in Loop: Header=BB255_1055 Depth=1
	v_and_b32_e32 v8, 7, v6
	v_lshrrev_b32_e32 v7, 3, v10
	s_mov_b32 s13, exec_lo
	v_cmpx_gt_u32_e32 8, v10
; %bb.1739:                             ;   in Loop: Header=BB255_1055 Depth=1
	v_ffbh_u32_e32 v7, v8
	v_min_u32_e32 v7, 32, v7
	v_subrev_nc_u32_e32 v10, 28, v7
	v_sub_nc_u32_e32 v7, 29, v7
	v_lshlrev_b64 v[18:19], v10, v[8:9]
	v_and_b32_e32 v8, 7, v18
; %bb.1740:                             ;   in Loop: Header=BB255_1055 Depth=1
	s_or_b32 exec_lo, exec_lo, s13
	v_lshlrev_b32_e32 v10, 24, v6
	v_lshlrev_b32_e32 v8, 20, v8
	v_lshl_add_u32 v7, v7, 23, 0x3c000000
	v_and_b32_e32 v10, 0x80000000, v10
	v_or3_b32 v8, v8, v10, v7
	v_mov_b32_e32 v19, v9
	v_mov_b32_e32 v18, v8
.LBB255_1741:                           ;   in Loop: Header=BB255_1055 Depth=1
	s_or_b32 exec_lo, exec_lo, s12
.LBB255_1742:                           ;   in Loop: Header=BB255_1055 Depth=1
	s_or_b32 exec_lo, exec_lo, s11
.LBB255_1743:                           ;   in Loop: Header=BB255_1055 Depth=1
	s_or_b32 exec_lo, exec_lo, s9
	v_cmp_ne_u16_sdwa s4, v6, v9 src0_sel:BYTE_1 src1_sel:DWORD
	s_and_saveexec_b32 s9, s4
	s_cbranch_execz .LBB255_1751
; %bb.1744:                             ;   in Loop: Header=BB255_1055 Depth=1
	v_mov_b32_e32 v10, v9
	v_mov_b32_e32 v21, v11
	v_cmp_ne_u16_sdwa s4, v6, v97 src0_sel:BYTE_1 src1_sel:DWORD
	v_mov_b32_e32 v20, v10
	s_and_saveexec_b32 s11, s4
	s_cbranch_execz .LBB255_1750
; %bb.1745:                             ;   in Loop: Header=BB255_1055 Depth=1
	v_mov_b32_e32 v7, 0xffff
	v_mov_b32_e32 v12, v9
	v_mov_b32_e32 v21, v13
	s_mov_b32 s12, exec_lo
	v_and_b32_sdwa v7, v7, v6 dst_sel:DWORD dst_unused:UNUSED_PAD src0_sel:DWORD src1_sel:BYTE_1
	v_mov_b32_e32 v20, v12
	v_and_b32_e32 v10, 0x7f, v7
	v_cmpx_ne_u32_e32 0x7f, v10
	s_cbranch_execz .LBB255_1749
; %bb.1746:                             ;   in Loop: Header=BB255_1055 Depth=1
	v_and_b32_e32 v8, 7, v7
	v_lshrrev_b32_e32 v7, 3, v10
	s_mov_b32 s13, exec_lo
	v_cmpx_gt_u32_e32 8, v10
; %bb.1747:                             ;   in Loop: Header=BB255_1055 Depth=1
	v_ffbh_u32_e32 v7, v8
	v_min_u32_e32 v7, 32, v7
	v_subrev_nc_u32_e32 v10, 28, v7
	v_sub_nc_u32_e32 v7, 29, v7
	v_lshlrev_b64 v[20:21], v10, v[8:9]
	v_and_b32_e32 v8, 7, v20
; %bb.1748:                             ;   in Loop: Header=BB255_1055 Depth=1
	s_or_b32 exec_lo, exec_lo, s13
	v_lshlrev_b32_e32 v10, 16, v6
	v_lshlrev_b32_e32 v8, 20, v8
	v_lshl_add_u32 v7, v7, 23, 0x3c000000
	v_mov_b32_e32 v20, v9
	v_and_b32_e32 v10, 0x80000000, v10
	v_or3_b32 v21, v8, v10, v7
.LBB255_1749:                           ;   in Loop: Header=BB255_1055 Depth=1
	s_or_b32 exec_lo, exec_lo, s12
.LBB255_1750:                           ;   in Loop: Header=BB255_1055 Depth=1
	s_or_b32 exec_lo, exec_lo, s11
.LBB255_1751:                           ;   in Loop: Header=BB255_1055 Depth=1
	s_or_b32 exec_lo, exec_lo, s9
	v_mov_b32_e32 v22, 0
	v_mov_b32_e32 v24, 0
	v_and_b32_sdwa v7, v6, v99 dst_sel:DWORD dst_unused:UNUSED_PAD src0_sel:WORD_1 src1_sel:DWORD
	v_mov_b32_e32 v23, 0
	v_mov_b32_e32 v25, 0
	s_mov_b32 s9, exec_lo
	v_cmpx_ne_u16_e32 0, v7
	s_cbranch_execz .LBB255_1759
; %bb.1752:                             ;   in Loop: Header=BB255_1055 Depth=1
	v_bfrev_b32_e32 v24, 1
	v_mov_b32_e32 v25, 0
	s_mov_b32 s11, exec_lo
	v_cmpx_ne_u16_e32 0x80, v7
	s_cbranch_execz .LBB255_1758
; %bb.1753:                             ;   in Loop: Header=BB255_1055 Depth=1
	v_mov_b32_e32 v24, 0x7f800001
	v_bfe_u32 v10, v6, 16, 7
	v_mov_b32_e32 v25, 0
	s_mov_b32 s12, exec_lo
	v_cmpx_ne_u32_e32 0x7f, v10
	s_cbranch_execz .LBB255_1757
; %bb.1754:                             ;   in Loop: Header=BB255_1055 Depth=1
	v_mov_b32_e32 v7, 7
	s_mov_b32 s13, exec_lo
	v_and_b32_sdwa v8, v6, v7 dst_sel:DWORD dst_unused:UNUSED_PAD src0_sel:WORD_1 src1_sel:DWORD
	v_lshrrev_b32_e32 v7, 3, v10
	v_cmpx_gt_u32_e32 8, v10
; %bb.1755:                             ;   in Loop: Header=BB255_1055 Depth=1
	v_ffbh_u32_e32 v7, v8
	v_min_u32_e32 v7, 32, v7
	v_subrev_nc_u32_e32 v10, 28, v7
	v_sub_nc_u32_e32 v7, 29, v7
	v_lshlrev_b64 v[24:25], v10, v[8:9]
	v_and_b32_e32 v8, 7, v24
; %bb.1756:                             ;   in Loop: Header=BB255_1055 Depth=1
	s_or_b32 exec_lo, exec_lo, s13
	v_mov_b32_e32 v10, 24
	v_lshlrev_b32_e32 v8, 20, v8
	v_lshl_add_u32 v7, v7, 23, 0x3c000000
	v_lshlrev_b32_sdwa v10, v10, v6 dst_sel:DWORD dst_unused:UNUSED_PAD src0_sel:DWORD src1_sel:WORD_1
	v_and_b32_e32 v10, 0x80000000, v10
	v_or3_b32 v8, v8, v10, v7
	v_mov_b32_e32 v25, v9
	v_mov_b32_e32 v24, v8
.LBB255_1757:                           ;   in Loop: Header=BB255_1055 Depth=1
	s_or_b32 exec_lo, exec_lo, s12
.LBB255_1758:                           ;   in Loop: Header=BB255_1055 Depth=1
	s_or_b32 exec_lo, exec_lo, s11
.LBB255_1759:                           ;   in Loop: Header=BB255_1055 Depth=1
	s_or_b32 exec_lo, exec_lo, s9
	s_mov_b32 s9, exec_lo
	v_cmpx_lt_u32_e32 0xffffff, v6
	s_cbranch_execz .LBB255_1767
; %bb.1760:                             ;   in Loop: Header=BB255_1055 Depth=1
	v_mov_b32_e32 v10, v9
	v_mov_b32_e32 v23, v11
	v_cmp_ne_u32_sdwa s4, v6, v97 src0_sel:BYTE_3 src1_sel:DWORD
	v_mov_b32_e32 v22, v10
	s_and_saveexec_b32 s11, s4
	s_cbranch_execz .LBB255_1766
; %bb.1761:                             ;   in Loop: Header=BB255_1055 Depth=1
	v_mov_b32_e32 v12, v9
	v_mov_b32_e32 v23, v13
	v_bfe_u32 v10, v6, 24, 7
	s_mov_b32 s12, exec_lo
	v_mov_b32_e32 v22, v12
	v_cmpx_ne_u32_e32 0x7f, v10
	s_cbranch_execz .LBB255_1765
; %bb.1762:                             ;   in Loop: Header=BB255_1055 Depth=1
	v_mov_b32_e32 v7, 7
	s_mov_b32 s13, exec_lo
	v_and_b32_sdwa v8, v6, v7 dst_sel:DWORD dst_unused:UNUSED_PAD src0_sel:BYTE_3 src1_sel:DWORD
	v_lshrrev_b32_e32 v7, 3, v10
	v_cmpx_gt_u32_e32 8, v10
; %bb.1763:                             ;   in Loop: Header=BB255_1055 Depth=1
	v_ffbh_u32_e32 v7, v8
	v_min_u32_e32 v7, 32, v7
	v_subrev_nc_u32_e32 v10, 28, v7
	v_sub_nc_u32_e32 v7, 29, v7
	v_lshlrev_b64 v[22:23], v10, v[8:9]
	v_and_b32_e32 v8, 7, v22
; %bb.1764:                             ;   in Loop: Header=BB255_1055 Depth=1
	s_or_b32 exec_lo, exec_lo, s13
	v_mov_b32_e32 v10, 24
	v_lshlrev_b32_e32 v8, 20, v8
	v_lshl_add_u32 v7, v7, 23, 0x3c000000
	v_mov_b32_e32 v22, v9
	v_lshlrev_b32_sdwa v6, v10, v6 dst_sel:DWORD dst_unused:UNUSED_PAD src0_sel:DWORD src1_sel:BYTE_3
	v_and_b32_e32 v6, 0x80000000, v6
	v_or3_b32 v23, v8, v6, v7
.LBB255_1765:                           ;   in Loop: Header=BB255_1055 Depth=1
	s_or_b32 exec_lo, exec_lo, s12
.LBB255_1766:                           ;   in Loop: Header=BB255_1055 Depth=1
	s_or_b32 exec_lo, exec_lo, s11
.LBB255_1767:                           ;   in Loop: Header=BB255_1055 Depth=1
	s_or_b32 exec_lo, exec_lo, s9
	v_or_b32_e32 v6, v21, v19
	v_or_b32_e32 v7, v20, v18
	;; [unrolled: 1-line block ×4, first 2 shown]
	v_mul_f32_e32 v78, v114, v6
	v_mul_f32_e32 v77, v87, v7
	v_mul_f32_e32 v76, v87, v8
	v_mul_f32_e32 v75, v114, v10
	s_and_saveexec_b32 s9, vcc_lo
	s_cbranch_execz .LBB255_1769
; %bb.1768:                             ;   in Loop: Header=BB255_1055 Depth=1
	v_cmp_lt_i32_e64 s4, v43, v82
	v_cndmask_b32_e64 v77, 0, v77, s4
	v_cmp_lt_i32_e64 s4, v45, v82
	v_cndmask_b32_e64 v78, 0, v78, s4
	;; [unrolled: 2-line block ×4, first 2 shown]
.LBB255_1769:                           ;   in Loop: Header=BB255_1055 Depth=1
	s_or_b32 exec_lo, exec_lo, s9
	flat_load_dword v6, v[4:5] offset:640
	v_mov_b32_e32 v20, 0
	v_mov_b32_e32 v18, 0
	v_mov_b32_e32 v21, 0
	v_mov_b32_e32 v19, 0
	s_waitcnt vmcnt(0) lgkmcnt(0)
	v_cmp_ne_u16_sdwa s4, v6, v9 src0_sel:BYTE_0 src1_sel:DWORD
	s_and_saveexec_b32 s9, s4
	s_cbranch_execz .LBB255_1777
; %bb.1770:                             ;   in Loop: Header=BB255_1055 Depth=1
	v_bfrev_b32_e32 v18, 1
	v_mov_b32_e32 v19, 0
	v_cmp_ne_u16_sdwa s4, v6, v97 src0_sel:BYTE_0 src1_sel:DWORD
	s_and_saveexec_b32 s11, s4
	s_cbranch_execz .LBB255_1776
; %bb.1771:                             ;   in Loop: Header=BB255_1055 Depth=1
	v_mov_b32_e32 v18, 0x7f800001
	v_and_b32_e32 v10, 0x7f, v6
	v_mov_b32_e32 v19, 0
	s_mov_b32 s12, exec_lo
	v_cmpx_ne_u32_e32 0x7f, v10
	s_cbranch_execz .LBB255_1775
; %bb.1772:                             ;   in Loop: Header=BB255_1055 Depth=1
	v_and_b32_e32 v8, 7, v6
	v_lshrrev_b32_e32 v7, 3, v10
	s_mov_b32 s13, exec_lo
	v_cmpx_gt_u32_e32 8, v10
; %bb.1773:                             ;   in Loop: Header=BB255_1055 Depth=1
	v_ffbh_u32_e32 v7, v8
	v_min_u32_e32 v7, 32, v7
	v_subrev_nc_u32_e32 v10, 28, v7
	v_sub_nc_u32_e32 v7, 29, v7
	v_lshlrev_b64 v[18:19], v10, v[8:9]
	v_and_b32_e32 v8, 7, v18
; %bb.1774:                             ;   in Loop: Header=BB255_1055 Depth=1
	s_or_b32 exec_lo, exec_lo, s13
	v_lshlrev_b32_e32 v10, 24, v6
	v_lshlrev_b32_e32 v8, 20, v8
	v_lshl_add_u32 v7, v7, 23, 0x3c000000
	v_and_b32_e32 v10, 0x80000000, v10
	v_or3_b32 v8, v8, v10, v7
	v_mov_b32_e32 v19, v9
	v_mov_b32_e32 v18, v8
.LBB255_1775:                           ;   in Loop: Header=BB255_1055 Depth=1
	s_or_b32 exec_lo, exec_lo, s12
.LBB255_1776:                           ;   in Loop: Header=BB255_1055 Depth=1
	s_or_b32 exec_lo, exec_lo, s11
.LBB255_1777:                           ;   in Loop: Header=BB255_1055 Depth=1
	s_or_b32 exec_lo, exec_lo, s9
	v_cmp_ne_u16_sdwa s4, v6, v9 src0_sel:BYTE_1 src1_sel:DWORD
	s_and_saveexec_b32 s9, s4
	s_cbranch_execz .LBB255_1785
; %bb.1778:                             ;   in Loop: Header=BB255_1055 Depth=1
	v_mov_b32_e32 v10, v9
	v_mov_b32_e32 v21, v11
	v_cmp_ne_u16_sdwa s4, v6, v97 src0_sel:BYTE_1 src1_sel:DWORD
	v_mov_b32_e32 v20, v10
	s_and_saveexec_b32 s11, s4
	s_cbranch_execz .LBB255_1784
; %bb.1779:                             ;   in Loop: Header=BB255_1055 Depth=1
	v_mov_b32_e32 v7, 0xffff
	v_mov_b32_e32 v12, v9
	;; [unrolled: 1-line block ×3, first 2 shown]
	s_mov_b32 s12, exec_lo
	v_and_b32_sdwa v7, v7, v6 dst_sel:DWORD dst_unused:UNUSED_PAD src0_sel:DWORD src1_sel:BYTE_1
	v_mov_b32_e32 v20, v12
	v_and_b32_e32 v10, 0x7f, v7
	v_cmpx_ne_u32_e32 0x7f, v10
	s_cbranch_execz .LBB255_1783
; %bb.1780:                             ;   in Loop: Header=BB255_1055 Depth=1
	v_and_b32_e32 v8, 7, v7
	v_lshrrev_b32_e32 v7, 3, v10
	s_mov_b32 s13, exec_lo
	v_cmpx_gt_u32_e32 8, v10
; %bb.1781:                             ;   in Loop: Header=BB255_1055 Depth=1
	v_ffbh_u32_e32 v7, v8
	v_min_u32_e32 v7, 32, v7
	v_subrev_nc_u32_e32 v10, 28, v7
	v_sub_nc_u32_e32 v7, 29, v7
	v_lshlrev_b64 v[20:21], v10, v[8:9]
	v_and_b32_e32 v8, 7, v20
; %bb.1782:                             ;   in Loop: Header=BB255_1055 Depth=1
	s_or_b32 exec_lo, exec_lo, s13
	v_lshlrev_b32_e32 v10, 16, v6
	v_lshlrev_b32_e32 v8, 20, v8
	v_lshl_add_u32 v7, v7, 23, 0x3c000000
	v_mov_b32_e32 v20, v9
	v_and_b32_e32 v10, 0x80000000, v10
	v_or3_b32 v21, v8, v10, v7
.LBB255_1783:                           ;   in Loop: Header=BB255_1055 Depth=1
	s_or_b32 exec_lo, exec_lo, s12
.LBB255_1784:                           ;   in Loop: Header=BB255_1055 Depth=1
	s_or_b32 exec_lo, exec_lo, s11
.LBB255_1785:                           ;   in Loop: Header=BB255_1055 Depth=1
	s_or_b32 exec_lo, exec_lo, s9
	v_mov_b32_e32 v22, 0
	v_mov_b32_e32 v24, 0
	v_and_b32_sdwa v7, v6, v99 dst_sel:DWORD dst_unused:UNUSED_PAD src0_sel:WORD_1 src1_sel:DWORD
	v_mov_b32_e32 v23, 0
	v_mov_b32_e32 v25, 0
	s_mov_b32 s9, exec_lo
	v_cmpx_ne_u16_e32 0, v7
	s_cbranch_execz .LBB255_1793
; %bb.1786:                             ;   in Loop: Header=BB255_1055 Depth=1
	v_bfrev_b32_e32 v24, 1
	v_mov_b32_e32 v25, 0
	s_mov_b32 s11, exec_lo
	v_cmpx_ne_u16_e32 0x80, v7
	s_cbranch_execz .LBB255_1792
; %bb.1787:                             ;   in Loop: Header=BB255_1055 Depth=1
	v_mov_b32_e32 v24, 0x7f800001
	v_bfe_u32 v10, v6, 16, 7
	v_mov_b32_e32 v25, 0
	s_mov_b32 s12, exec_lo
	v_cmpx_ne_u32_e32 0x7f, v10
	s_cbranch_execz .LBB255_1791
; %bb.1788:                             ;   in Loop: Header=BB255_1055 Depth=1
	v_mov_b32_e32 v7, 7
	s_mov_b32 s13, exec_lo
	v_and_b32_sdwa v8, v6, v7 dst_sel:DWORD dst_unused:UNUSED_PAD src0_sel:WORD_1 src1_sel:DWORD
	v_lshrrev_b32_e32 v7, 3, v10
	v_cmpx_gt_u32_e32 8, v10
; %bb.1789:                             ;   in Loop: Header=BB255_1055 Depth=1
	v_ffbh_u32_e32 v7, v8
	v_min_u32_e32 v7, 32, v7
	v_subrev_nc_u32_e32 v10, 28, v7
	v_sub_nc_u32_e32 v7, 29, v7
	v_lshlrev_b64 v[24:25], v10, v[8:9]
	v_and_b32_e32 v8, 7, v24
; %bb.1790:                             ;   in Loop: Header=BB255_1055 Depth=1
	s_or_b32 exec_lo, exec_lo, s13
	v_mov_b32_e32 v10, 24
	v_lshlrev_b32_e32 v8, 20, v8
	v_lshl_add_u32 v7, v7, 23, 0x3c000000
	v_lshlrev_b32_sdwa v10, v10, v6 dst_sel:DWORD dst_unused:UNUSED_PAD src0_sel:DWORD src1_sel:WORD_1
	v_and_b32_e32 v10, 0x80000000, v10
	v_or3_b32 v8, v8, v10, v7
	v_mov_b32_e32 v25, v9
	v_mov_b32_e32 v24, v8
.LBB255_1791:                           ;   in Loop: Header=BB255_1055 Depth=1
	s_or_b32 exec_lo, exec_lo, s12
.LBB255_1792:                           ;   in Loop: Header=BB255_1055 Depth=1
	s_or_b32 exec_lo, exec_lo, s11
.LBB255_1793:                           ;   in Loop: Header=BB255_1055 Depth=1
	s_or_b32 exec_lo, exec_lo, s9
	s_mov_b32 s9, exec_lo
	v_cmpx_lt_u32_e32 0xffffff, v6
	s_cbranch_execz .LBB255_1801
; %bb.1794:                             ;   in Loop: Header=BB255_1055 Depth=1
	v_mov_b32_e32 v10, v9
	v_mov_b32_e32 v23, v11
	v_cmp_ne_u32_sdwa s4, v6, v97 src0_sel:BYTE_3 src1_sel:DWORD
	v_mov_b32_e32 v22, v10
	s_and_saveexec_b32 s11, s4
	s_cbranch_execz .LBB255_1800
; %bb.1795:                             ;   in Loop: Header=BB255_1055 Depth=1
	v_mov_b32_e32 v12, v9
	v_mov_b32_e32 v23, v13
	v_bfe_u32 v10, v6, 24, 7
	s_mov_b32 s12, exec_lo
	v_mov_b32_e32 v22, v12
	v_cmpx_ne_u32_e32 0x7f, v10
	s_cbranch_execz .LBB255_1799
; %bb.1796:                             ;   in Loop: Header=BB255_1055 Depth=1
	v_mov_b32_e32 v7, 7
	s_mov_b32 s13, exec_lo
	v_and_b32_sdwa v8, v6, v7 dst_sel:DWORD dst_unused:UNUSED_PAD src0_sel:BYTE_3 src1_sel:DWORD
	v_lshrrev_b32_e32 v7, 3, v10
	v_cmpx_gt_u32_e32 8, v10
; %bb.1797:                             ;   in Loop: Header=BB255_1055 Depth=1
	v_ffbh_u32_e32 v7, v8
	v_min_u32_e32 v7, 32, v7
	v_subrev_nc_u32_e32 v10, 28, v7
	v_sub_nc_u32_e32 v7, 29, v7
	v_lshlrev_b64 v[22:23], v10, v[8:9]
	v_and_b32_e32 v8, 7, v22
; %bb.1798:                             ;   in Loop: Header=BB255_1055 Depth=1
	s_or_b32 exec_lo, exec_lo, s13
	v_mov_b32_e32 v10, 24
	v_lshlrev_b32_e32 v8, 20, v8
	v_lshl_add_u32 v7, v7, 23, 0x3c000000
	v_mov_b32_e32 v22, v9
	v_lshlrev_b32_sdwa v6, v10, v6 dst_sel:DWORD dst_unused:UNUSED_PAD src0_sel:DWORD src1_sel:BYTE_3
	v_and_b32_e32 v6, 0x80000000, v6
	v_or3_b32 v23, v8, v6, v7
.LBB255_1799:                           ;   in Loop: Header=BB255_1055 Depth=1
	s_or_b32 exec_lo, exec_lo, s12
.LBB255_1800:                           ;   in Loop: Header=BB255_1055 Depth=1
	s_or_b32 exec_lo, exec_lo, s11
.LBB255_1801:                           ;   in Loop: Header=BB255_1055 Depth=1
	s_or_b32 exec_lo, exec_lo, s9
	v_or_b32_e32 v6, v21, v19
	v_or_b32_e32 v7, v20, v18
	;; [unrolled: 1-line block ×4, first 2 shown]
	v_mul_f32_e32 v85, v114, v6
	v_mul_f32_e32 v89, v87, v7
	;; [unrolled: 1-line block ×4, first 2 shown]
	s_and_saveexec_b32 s9, vcc_lo
	s_cbranch_execz .LBB255_1803
; %bb.1802:                             ;   in Loop: Header=BB255_1055 Depth=1
	v_cmp_lt_i32_e64 s4, v43, v82
	v_cndmask_b32_e64 v89, 0, v89, s4
	v_cmp_lt_i32_e64 s4, v45, v82
	v_cndmask_b32_e64 v85, 0, v85, s4
	;; [unrolled: 2-line block ×4, first 2 shown]
.LBB255_1803:                           ;   in Loop: Header=BB255_1055 Depth=1
	s_or_b32 exec_lo, exec_lo, s9
	flat_load_dword v6, v[4:5] offset:768
	v_mov_b32_e32 v20, 0
	v_mov_b32_e32 v18, 0
	;; [unrolled: 1-line block ×4, first 2 shown]
	s_waitcnt vmcnt(0) lgkmcnt(0)
	v_cmp_ne_u16_sdwa s4, v6, v9 src0_sel:BYTE_0 src1_sel:DWORD
	s_and_saveexec_b32 s9, s4
	s_cbranch_execz .LBB255_1811
; %bb.1804:                             ;   in Loop: Header=BB255_1055 Depth=1
	v_bfrev_b32_e32 v18, 1
	v_mov_b32_e32 v19, 0
	v_cmp_ne_u16_sdwa s4, v6, v97 src0_sel:BYTE_0 src1_sel:DWORD
	s_and_saveexec_b32 s11, s4
	s_cbranch_execz .LBB255_1810
; %bb.1805:                             ;   in Loop: Header=BB255_1055 Depth=1
	v_mov_b32_e32 v18, 0x7f800001
	v_and_b32_e32 v10, 0x7f, v6
	v_mov_b32_e32 v19, 0
	s_mov_b32 s12, exec_lo
	v_cmpx_ne_u32_e32 0x7f, v10
	s_cbranch_execz .LBB255_1809
; %bb.1806:                             ;   in Loop: Header=BB255_1055 Depth=1
	v_and_b32_e32 v8, 7, v6
	v_lshrrev_b32_e32 v7, 3, v10
	s_mov_b32 s13, exec_lo
	v_cmpx_gt_u32_e32 8, v10
; %bb.1807:                             ;   in Loop: Header=BB255_1055 Depth=1
	v_ffbh_u32_e32 v7, v8
	v_min_u32_e32 v7, 32, v7
	v_subrev_nc_u32_e32 v10, 28, v7
	v_sub_nc_u32_e32 v7, 29, v7
	v_lshlrev_b64 v[18:19], v10, v[8:9]
	v_and_b32_e32 v8, 7, v18
; %bb.1808:                             ;   in Loop: Header=BB255_1055 Depth=1
	s_or_b32 exec_lo, exec_lo, s13
	v_lshlrev_b32_e32 v10, 24, v6
	v_lshlrev_b32_e32 v8, 20, v8
	v_lshl_add_u32 v7, v7, 23, 0x3c000000
	v_and_b32_e32 v10, 0x80000000, v10
	v_or3_b32 v8, v8, v10, v7
	v_mov_b32_e32 v19, v9
	v_mov_b32_e32 v18, v8
.LBB255_1809:                           ;   in Loop: Header=BB255_1055 Depth=1
	s_or_b32 exec_lo, exec_lo, s12
.LBB255_1810:                           ;   in Loop: Header=BB255_1055 Depth=1
	s_or_b32 exec_lo, exec_lo, s11
.LBB255_1811:                           ;   in Loop: Header=BB255_1055 Depth=1
	s_or_b32 exec_lo, exec_lo, s9
	v_cmp_ne_u16_sdwa s4, v6, v9 src0_sel:BYTE_1 src1_sel:DWORD
	s_and_saveexec_b32 s9, s4
	s_cbranch_execz .LBB255_1819
; %bb.1812:                             ;   in Loop: Header=BB255_1055 Depth=1
	v_mov_b32_e32 v10, v9
	v_mov_b32_e32 v21, v11
	v_cmp_ne_u16_sdwa s4, v6, v97 src0_sel:BYTE_1 src1_sel:DWORD
	v_mov_b32_e32 v20, v10
	s_and_saveexec_b32 s11, s4
	s_cbranch_execz .LBB255_1818
; %bb.1813:                             ;   in Loop: Header=BB255_1055 Depth=1
	v_mov_b32_e32 v7, 0xffff
	v_mov_b32_e32 v12, v9
	;; [unrolled: 1-line block ×3, first 2 shown]
	s_mov_b32 s12, exec_lo
	v_and_b32_sdwa v7, v7, v6 dst_sel:DWORD dst_unused:UNUSED_PAD src0_sel:DWORD src1_sel:BYTE_1
	v_mov_b32_e32 v20, v12
	v_and_b32_e32 v10, 0x7f, v7
	v_cmpx_ne_u32_e32 0x7f, v10
	s_cbranch_execz .LBB255_1817
; %bb.1814:                             ;   in Loop: Header=BB255_1055 Depth=1
	v_and_b32_e32 v8, 7, v7
	v_lshrrev_b32_e32 v7, 3, v10
	s_mov_b32 s13, exec_lo
	v_cmpx_gt_u32_e32 8, v10
; %bb.1815:                             ;   in Loop: Header=BB255_1055 Depth=1
	v_ffbh_u32_e32 v7, v8
	v_min_u32_e32 v7, 32, v7
	v_subrev_nc_u32_e32 v10, 28, v7
	v_sub_nc_u32_e32 v7, 29, v7
	v_lshlrev_b64 v[20:21], v10, v[8:9]
	v_and_b32_e32 v8, 7, v20
; %bb.1816:                             ;   in Loop: Header=BB255_1055 Depth=1
	s_or_b32 exec_lo, exec_lo, s13
	v_lshlrev_b32_e32 v10, 16, v6
	v_lshlrev_b32_e32 v8, 20, v8
	v_lshl_add_u32 v7, v7, 23, 0x3c000000
	v_mov_b32_e32 v20, v9
	v_and_b32_e32 v10, 0x80000000, v10
	v_or3_b32 v21, v8, v10, v7
.LBB255_1817:                           ;   in Loop: Header=BB255_1055 Depth=1
	s_or_b32 exec_lo, exec_lo, s12
.LBB255_1818:                           ;   in Loop: Header=BB255_1055 Depth=1
	s_or_b32 exec_lo, exec_lo, s11
.LBB255_1819:                           ;   in Loop: Header=BB255_1055 Depth=1
	s_or_b32 exec_lo, exec_lo, s9
	v_mov_b32_e32 v22, 0
	v_mov_b32_e32 v24, 0
	v_and_b32_sdwa v7, v6, v99 dst_sel:DWORD dst_unused:UNUSED_PAD src0_sel:WORD_1 src1_sel:DWORD
	v_mov_b32_e32 v23, 0
	v_mov_b32_e32 v25, 0
	s_mov_b32 s9, exec_lo
	v_cmpx_ne_u16_e32 0, v7
	s_cbranch_execz .LBB255_1827
; %bb.1820:                             ;   in Loop: Header=BB255_1055 Depth=1
	v_bfrev_b32_e32 v24, 1
	v_mov_b32_e32 v25, 0
	s_mov_b32 s11, exec_lo
	v_cmpx_ne_u16_e32 0x80, v7
	s_cbranch_execz .LBB255_1826
; %bb.1821:                             ;   in Loop: Header=BB255_1055 Depth=1
	v_mov_b32_e32 v24, 0x7f800001
	v_bfe_u32 v10, v6, 16, 7
	v_mov_b32_e32 v25, 0
	s_mov_b32 s12, exec_lo
	v_cmpx_ne_u32_e32 0x7f, v10
	s_cbranch_execz .LBB255_1825
; %bb.1822:                             ;   in Loop: Header=BB255_1055 Depth=1
	v_mov_b32_e32 v7, 7
	s_mov_b32 s13, exec_lo
	v_and_b32_sdwa v8, v6, v7 dst_sel:DWORD dst_unused:UNUSED_PAD src0_sel:WORD_1 src1_sel:DWORD
	v_lshrrev_b32_e32 v7, 3, v10
	v_cmpx_gt_u32_e32 8, v10
; %bb.1823:                             ;   in Loop: Header=BB255_1055 Depth=1
	v_ffbh_u32_e32 v7, v8
	v_min_u32_e32 v7, 32, v7
	v_subrev_nc_u32_e32 v10, 28, v7
	v_sub_nc_u32_e32 v7, 29, v7
	v_lshlrev_b64 v[24:25], v10, v[8:9]
	v_and_b32_e32 v8, 7, v24
; %bb.1824:                             ;   in Loop: Header=BB255_1055 Depth=1
	s_or_b32 exec_lo, exec_lo, s13
	v_mov_b32_e32 v10, 24
	v_lshlrev_b32_e32 v8, 20, v8
	v_lshl_add_u32 v7, v7, 23, 0x3c000000
	v_lshlrev_b32_sdwa v10, v10, v6 dst_sel:DWORD dst_unused:UNUSED_PAD src0_sel:DWORD src1_sel:WORD_1
	v_and_b32_e32 v10, 0x80000000, v10
	v_or3_b32 v8, v8, v10, v7
	v_mov_b32_e32 v25, v9
	v_mov_b32_e32 v24, v8
.LBB255_1825:                           ;   in Loop: Header=BB255_1055 Depth=1
	s_or_b32 exec_lo, exec_lo, s12
.LBB255_1826:                           ;   in Loop: Header=BB255_1055 Depth=1
	s_or_b32 exec_lo, exec_lo, s11
.LBB255_1827:                           ;   in Loop: Header=BB255_1055 Depth=1
	s_or_b32 exec_lo, exec_lo, s9
	s_mov_b32 s9, exec_lo
	v_cmpx_lt_u32_e32 0xffffff, v6
	s_cbranch_execz .LBB255_1835
; %bb.1828:                             ;   in Loop: Header=BB255_1055 Depth=1
	v_mov_b32_e32 v10, v9
	v_mov_b32_e32 v23, v11
	v_cmp_ne_u32_sdwa s4, v6, v97 src0_sel:BYTE_3 src1_sel:DWORD
	v_mov_b32_e32 v22, v10
	s_and_saveexec_b32 s11, s4
	s_cbranch_execz .LBB255_1834
; %bb.1829:                             ;   in Loop: Header=BB255_1055 Depth=1
	v_mov_b32_e32 v12, v9
	v_mov_b32_e32 v23, v13
	v_bfe_u32 v10, v6, 24, 7
	s_mov_b32 s12, exec_lo
	v_mov_b32_e32 v22, v12
	v_cmpx_ne_u32_e32 0x7f, v10
	s_cbranch_execz .LBB255_1833
; %bb.1830:                             ;   in Loop: Header=BB255_1055 Depth=1
	v_mov_b32_e32 v7, 7
	s_mov_b32 s13, exec_lo
	v_and_b32_sdwa v8, v6, v7 dst_sel:DWORD dst_unused:UNUSED_PAD src0_sel:BYTE_3 src1_sel:DWORD
	v_lshrrev_b32_e32 v7, 3, v10
	v_cmpx_gt_u32_e32 8, v10
; %bb.1831:                             ;   in Loop: Header=BB255_1055 Depth=1
	v_ffbh_u32_e32 v7, v8
	v_min_u32_e32 v7, 32, v7
	v_subrev_nc_u32_e32 v10, 28, v7
	v_sub_nc_u32_e32 v7, 29, v7
	v_lshlrev_b64 v[22:23], v10, v[8:9]
	v_and_b32_e32 v8, 7, v22
; %bb.1832:                             ;   in Loop: Header=BB255_1055 Depth=1
	s_or_b32 exec_lo, exec_lo, s13
	v_mov_b32_e32 v10, 24
	v_lshlrev_b32_e32 v8, 20, v8
	v_lshl_add_u32 v7, v7, 23, 0x3c000000
	v_mov_b32_e32 v22, v9
	v_lshlrev_b32_sdwa v6, v10, v6 dst_sel:DWORD dst_unused:UNUSED_PAD src0_sel:DWORD src1_sel:BYTE_3
	v_and_b32_e32 v6, 0x80000000, v6
	v_or3_b32 v23, v8, v6, v7
.LBB255_1833:                           ;   in Loop: Header=BB255_1055 Depth=1
	s_or_b32 exec_lo, exec_lo, s12
.LBB255_1834:                           ;   in Loop: Header=BB255_1055 Depth=1
	s_or_b32 exec_lo, exec_lo, s11
.LBB255_1835:                           ;   in Loop: Header=BB255_1055 Depth=1
	s_or_b32 exec_lo, exec_lo, s9
	v_or_b32_e32 v6, v21, v19
	v_or_b32_e32 v7, v20, v18
	;; [unrolled: 1-line block ×4, first 2 shown]
	v_mul_f32_e32 v91, v114, v6
	v_mul_f32_e32 v90, v87, v7
	;; [unrolled: 1-line block ×4, first 2 shown]
	s_and_saveexec_b32 s9, vcc_lo
	s_cbranch_execz .LBB255_1837
; %bb.1836:                             ;   in Loop: Header=BB255_1055 Depth=1
	v_cmp_lt_i32_e64 s4, v43, v82
	v_cndmask_b32_e64 v90, 0, v90, s4
	v_cmp_lt_i32_e64 s4, v45, v82
	v_cndmask_b32_e64 v91, 0, v91, s4
	;; [unrolled: 2-line block ×4, first 2 shown]
.LBB255_1837:                           ;   in Loop: Header=BB255_1055 Depth=1
	s_or_b32 exec_lo, exec_lo, s9
	flat_load_dword v6, v[4:5] offset:896
	v_mov_b32_e32 v20, 0
	v_mov_b32_e32 v18, 0
	v_mov_b32_e32 v21, 0
	v_mov_b32_e32 v19, 0
	s_waitcnt vmcnt(0) lgkmcnt(0)
	v_cmp_ne_u16_sdwa s4, v6, v9 src0_sel:BYTE_0 src1_sel:DWORD
	s_and_saveexec_b32 s9, s4
	s_cbranch_execz .LBB255_1845
; %bb.1838:                             ;   in Loop: Header=BB255_1055 Depth=1
	v_bfrev_b32_e32 v18, 1
	v_mov_b32_e32 v19, 0
	v_cmp_ne_u16_sdwa s4, v6, v97 src0_sel:BYTE_0 src1_sel:DWORD
	s_and_saveexec_b32 s11, s4
	s_cbranch_execz .LBB255_1844
; %bb.1839:                             ;   in Loop: Header=BB255_1055 Depth=1
	v_mov_b32_e32 v18, 0x7f800001
	v_and_b32_e32 v10, 0x7f, v6
	v_mov_b32_e32 v19, 0
	s_mov_b32 s12, exec_lo
	v_cmpx_ne_u32_e32 0x7f, v10
	s_cbranch_execz .LBB255_1843
; %bb.1840:                             ;   in Loop: Header=BB255_1055 Depth=1
	v_and_b32_e32 v8, 7, v6
	v_lshrrev_b32_e32 v7, 3, v10
	s_mov_b32 s13, exec_lo
	v_cmpx_gt_u32_e32 8, v10
; %bb.1841:                             ;   in Loop: Header=BB255_1055 Depth=1
	v_ffbh_u32_e32 v7, v8
	v_min_u32_e32 v7, 32, v7
	v_subrev_nc_u32_e32 v10, 28, v7
	v_sub_nc_u32_e32 v7, 29, v7
	v_lshlrev_b64 v[18:19], v10, v[8:9]
	v_and_b32_e32 v8, 7, v18
; %bb.1842:                             ;   in Loop: Header=BB255_1055 Depth=1
	s_or_b32 exec_lo, exec_lo, s13
	v_lshlrev_b32_e32 v10, 24, v6
	v_lshlrev_b32_e32 v8, 20, v8
	v_lshl_add_u32 v7, v7, 23, 0x3c000000
	v_and_b32_e32 v10, 0x80000000, v10
	v_or3_b32 v8, v8, v10, v7
	v_mov_b32_e32 v19, v9
	v_mov_b32_e32 v18, v8
.LBB255_1843:                           ;   in Loop: Header=BB255_1055 Depth=1
	s_or_b32 exec_lo, exec_lo, s12
.LBB255_1844:                           ;   in Loop: Header=BB255_1055 Depth=1
	s_or_b32 exec_lo, exec_lo, s11
.LBB255_1845:                           ;   in Loop: Header=BB255_1055 Depth=1
	s_or_b32 exec_lo, exec_lo, s9
	v_cmp_ne_u16_sdwa s4, v6, v9 src0_sel:BYTE_1 src1_sel:DWORD
	s_and_saveexec_b32 s9, s4
	s_cbranch_execz .LBB255_1853
; %bb.1846:                             ;   in Loop: Header=BB255_1055 Depth=1
	v_mov_b32_e32 v10, v9
	v_mov_b32_e32 v21, v11
	v_cmp_ne_u16_sdwa s4, v6, v97 src0_sel:BYTE_1 src1_sel:DWORD
	v_mov_b32_e32 v20, v10
	s_and_saveexec_b32 s11, s4
	s_cbranch_execz .LBB255_1852
; %bb.1847:                             ;   in Loop: Header=BB255_1055 Depth=1
	v_mov_b32_e32 v7, 0xffff
	v_mov_b32_e32 v12, v9
	v_mov_b32_e32 v21, v13
	s_mov_b32 s12, exec_lo
	v_and_b32_sdwa v7, v7, v6 dst_sel:DWORD dst_unused:UNUSED_PAD src0_sel:DWORD src1_sel:BYTE_1
	v_mov_b32_e32 v20, v12
	v_and_b32_e32 v10, 0x7f, v7
	v_cmpx_ne_u32_e32 0x7f, v10
	s_cbranch_execz .LBB255_1851
; %bb.1848:                             ;   in Loop: Header=BB255_1055 Depth=1
	v_and_b32_e32 v8, 7, v7
	v_lshrrev_b32_e32 v7, 3, v10
	s_mov_b32 s13, exec_lo
	v_cmpx_gt_u32_e32 8, v10
; %bb.1849:                             ;   in Loop: Header=BB255_1055 Depth=1
	v_ffbh_u32_e32 v7, v8
	v_min_u32_e32 v7, 32, v7
	v_subrev_nc_u32_e32 v10, 28, v7
	v_sub_nc_u32_e32 v7, 29, v7
	v_lshlrev_b64 v[20:21], v10, v[8:9]
	v_and_b32_e32 v8, 7, v20
; %bb.1850:                             ;   in Loop: Header=BB255_1055 Depth=1
	s_or_b32 exec_lo, exec_lo, s13
	v_lshlrev_b32_e32 v10, 16, v6
	v_lshlrev_b32_e32 v8, 20, v8
	v_lshl_add_u32 v7, v7, 23, 0x3c000000
	v_mov_b32_e32 v20, v9
	v_and_b32_e32 v10, 0x80000000, v10
	v_or3_b32 v21, v8, v10, v7
.LBB255_1851:                           ;   in Loop: Header=BB255_1055 Depth=1
	s_or_b32 exec_lo, exec_lo, s12
.LBB255_1852:                           ;   in Loop: Header=BB255_1055 Depth=1
	s_or_b32 exec_lo, exec_lo, s11
.LBB255_1853:                           ;   in Loop: Header=BB255_1055 Depth=1
	s_or_b32 exec_lo, exec_lo, s9
	v_mov_b32_e32 v22, 0
	v_mov_b32_e32 v24, 0
	v_and_b32_sdwa v7, v6, v99 dst_sel:DWORD dst_unused:UNUSED_PAD src0_sel:WORD_1 src1_sel:DWORD
	v_mov_b32_e32 v23, 0
	v_mov_b32_e32 v25, 0
	s_mov_b32 s9, exec_lo
	v_cmpx_ne_u16_e32 0, v7
	s_cbranch_execz .LBB255_1861
; %bb.1854:                             ;   in Loop: Header=BB255_1055 Depth=1
	v_bfrev_b32_e32 v24, 1
	v_mov_b32_e32 v25, 0
	s_mov_b32 s11, exec_lo
	v_cmpx_ne_u16_e32 0x80, v7
	s_cbranch_execz .LBB255_1860
; %bb.1855:                             ;   in Loop: Header=BB255_1055 Depth=1
	v_mov_b32_e32 v24, 0x7f800001
	v_bfe_u32 v10, v6, 16, 7
	v_mov_b32_e32 v25, 0
	s_mov_b32 s12, exec_lo
	v_cmpx_ne_u32_e32 0x7f, v10
	s_cbranch_execz .LBB255_1859
; %bb.1856:                             ;   in Loop: Header=BB255_1055 Depth=1
	v_mov_b32_e32 v7, 7
	s_mov_b32 s13, exec_lo
	v_and_b32_sdwa v8, v6, v7 dst_sel:DWORD dst_unused:UNUSED_PAD src0_sel:WORD_1 src1_sel:DWORD
	v_lshrrev_b32_e32 v7, 3, v10
	v_cmpx_gt_u32_e32 8, v10
; %bb.1857:                             ;   in Loop: Header=BB255_1055 Depth=1
	v_ffbh_u32_e32 v7, v8
	v_min_u32_e32 v7, 32, v7
	v_subrev_nc_u32_e32 v10, 28, v7
	v_sub_nc_u32_e32 v7, 29, v7
	v_lshlrev_b64 v[24:25], v10, v[8:9]
	v_and_b32_e32 v8, 7, v24
; %bb.1858:                             ;   in Loop: Header=BB255_1055 Depth=1
	s_or_b32 exec_lo, exec_lo, s13
	v_mov_b32_e32 v10, 24
	v_lshlrev_b32_e32 v8, 20, v8
	v_lshl_add_u32 v7, v7, 23, 0x3c000000
	v_lshlrev_b32_sdwa v10, v10, v6 dst_sel:DWORD dst_unused:UNUSED_PAD src0_sel:DWORD src1_sel:WORD_1
	v_and_b32_e32 v10, 0x80000000, v10
	v_or3_b32 v8, v8, v10, v7
	v_mov_b32_e32 v25, v9
	v_mov_b32_e32 v24, v8
.LBB255_1859:                           ;   in Loop: Header=BB255_1055 Depth=1
	s_or_b32 exec_lo, exec_lo, s12
.LBB255_1860:                           ;   in Loop: Header=BB255_1055 Depth=1
	s_or_b32 exec_lo, exec_lo, s11
.LBB255_1861:                           ;   in Loop: Header=BB255_1055 Depth=1
	s_or_b32 exec_lo, exec_lo, s9
	s_mov_b32 s9, exec_lo
	v_cmpx_lt_u32_e32 0xffffff, v6
	s_cbranch_execz .LBB255_1869
; %bb.1862:                             ;   in Loop: Header=BB255_1055 Depth=1
	v_mov_b32_e32 v10, v9
	v_mov_b32_e32 v23, v11
	v_cmp_ne_u32_sdwa s4, v6, v97 src0_sel:BYTE_3 src1_sel:DWORD
	v_mov_b32_e32 v22, v10
	s_and_saveexec_b32 s11, s4
	s_cbranch_execz .LBB255_1868
; %bb.1863:                             ;   in Loop: Header=BB255_1055 Depth=1
	v_mov_b32_e32 v12, v9
	v_mov_b32_e32 v23, v13
	v_bfe_u32 v10, v6, 24, 7
	s_mov_b32 s12, exec_lo
	v_mov_b32_e32 v22, v12
	v_cmpx_ne_u32_e32 0x7f, v10
	s_cbranch_execz .LBB255_1867
; %bb.1864:                             ;   in Loop: Header=BB255_1055 Depth=1
	v_mov_b32_e32 v7, 7
	s_mov_b32 s13, exec_lo
	v_and_b32_sdwa v8, v6, v7 dst_sel:DWORD dst_unused:UNUSED_PAD src0_sel:BYTE_3 src1_sel:DWORD
	v_lshrrev_b32_e32 v7, 3, v10
	v_cmpx_gt_u32_e32 8, v10
; %bb.1865:                             ;   in Loop: Header=BB255_1055 Depth=1
	v_ffbh_u32_e32 v7, v8
	v_min_u32_e32 v7, 32, v7
	v_subrev_nc_u32_e32 v10, 28, v7
	v_sub_nc_u32_e32 v7, 29, v7
	v_lshlrev_b64 v[22:23], v10, v[8:9]
	v_and_b32_e32 v8, 7, v22
; %bb.1866:                             ;   in Loop: Header=BB255_1055 Depth=1
	s_or_b32 exec_lo, exec_lo, s13
	v_mov_b32_e32 v10, 24
	v_lshlrev_b32_e32 v8, 20, v8
	v_lshl_add_u32 v7, v7, 23, 0x3c000000
	v_mov_b32_e32 v22, v9
	v_lshlrev_b32_sdwa v6, v10, v6 dst_sel:DWORD dst_unused:UNUSED_PAD src0_sel:DWORD src1_sel:BYTE_3
	v_and_b32_e32 v6, 0x80000000, v6
	v_or3_b32 v23, v8, v6, v7
.LBB255_1867:                           ;   in Loop: Header=BB255_1055 Depth=1
	s_or_b32 exec_lo, exec_lo, s12
.LBB255_1868:                           ;   in Loop: Header=BB255_1055 Depth=1
	s_or_b32 exec_lo, exec_lo, s11
.LBB255_1869:                           ;   in Loop: Header=BB255_1055 Depth=1
	s_or_b32 exec_lo, exec_lo, s9
	v_or_b32_e32 v6, v21, v19
	v_or_b32_e32 v7, v20, v18
	;; [unrolled: 1-line block ×4, first 2 shown]
	v_mul_f32_e32 v95, v114, v6
	v_mul_f32_e32 v94, v87, v7
	;; [unrolled: 1-line block ×4, first 2 shown]
	s_and_saveexec_b32 s9, vcc_lo
	s_cbranch_execz .LBB255_1871
; %bb.1870:                             ;   in Loop: Header=BB255_1055 Depth=1
	v_cmp_lt_i32_e64 s4, v43, v82
	v_cndmask_b32_e64 v94, 0, v94, s4
	v_cmp_lt_i32_e64 s4, v45, v82
	v_cndmask_b32_e64 v95, 0, v95, s4
	;; [unrolled: 2-line block ×4, first 2 shown]
.LBB255_1871:                           ;   in Loop: Header=BB255_1055 Depth=1
	s_or_b32 exec_lo, exec_lo, s9
	flat_load_dword v6, v[4:5] offset:1024
	v_mov_b32_e32 v20, 0
	v_mov_b32_e32 v18, 0
	;; [unrolled: 1-line block ×4, first 2 shown]
	s_waitcnt vmcnt(0) lgkmcnt(0)
	v_cmp_ne_u16_sdwa s4, v6, v9 src0_sel:BYTE_0 src1_sel:DWORD
	s_and_saveexec_b32 s9, s4
	s_cbranch_execz .LBB255_1879
; %bb.1872:                             ;   in Loop: Header=BB255_1055 Depth=1
	v_bfrev_b32_e32 v18, 1
	v_mov_b32_e32 v19, 0
	v_cmp_ne_u16_sdwa s4, v6, v97 src0_sel:BYTE_0 src1_sel:DWORD
	s_and_saveexec_b32 s11, s4
	s_cbranch_execz .LBB255_1878
; %bb.1873:                             ;   in Loop: Header=BB255_1055 Depth=1
	v_mov_b32_e32 v18, 0x7f800001
	v_and_b32_e32 v10, 0x7f, v6
	v_mov_b32_e32 v19, 0
	s_mov_b32 s12, exec_lo
	v_cmpx_ne_u32_e32 0x7f, v10
	s_cbranch_execz .LBB255_1877
; %bb.1874:                             ;   in Loop: Header=BB255_1055 Depth=1
	v_and_b32_e32 v8, 7, v6
	v_lshrrev_b32_e32 v7, 3, v10
	s_mov_b32 s13, exec_lo
	v_cmpx_gt_u32_e32 8, v10
; %bb.1875:                             ;   in Loop: Header=BB255_1055 Depth=1
	v_ffbh_u32_e32 v7, v8
	v_min_u32_e32 v7, 32, v7
	v_subrev_nc_u32_e32 v10, 28, v7
	v_sub_nc_u32_e32 v7, 29, v7
	v_lshlrev_b64 v[18:19], v10, v[8:9]
	v_and_b32_e32 v8, 7, v18
; %bb.1876:                             ;   in Loop: Header=BB255_1055 Depth=1
	s_or_b32 exec_lo, exec_lo, s13
	v_lshlrev_b32_e32 v10, 24, v6
	v_lshlrev_b32_e32 v8, 20, v8
	v_lshl_add_u32 v7, v7, 23, 0x3c000000
	v_and_b32_e32 v10, 0x80000000, v10
	v_or3_b32 v8, v8, v10, v7
	v_mov_b32_e32 v19, v9
	v_mov_b32_e32 v18, v8
.LBB255_1877:                           ;   in Loop: Header=BB255_1055 Depth=1
	s_or_b32 exec_lo, exec_lo, s12
.LBB255_1878:                           ;   in Loop: Header=BB255_1055 Depth=1
	s_or_b32 exec_lo, exec_lo, s11
.LBB255_1879:                           ;   in Loop: Header=BB255_1055 Depth=1
	s_or_b32 exec_lo, exec_lo, s9
	v_cmp_ne_u16_sdwa s4, v6, v9 src0_sel:BYTE_1 src1_sel:DWORD
	s_and_saveexec_b32 s9, s4
	s_cbranch_execz .LBB255_1887
; %bb.1880:                             ;   in Loop: Header=BB255_1055 Depth=1
	v_mov_b32_e32 v10, v9
	v_mov_b32_e32 v21, v11
	v_cmp_ne_u16_sdwa s4, v6, v97 src0_sel:BYTE_1 src1_sel:DWORD
	v_mov_b32_e32 v20, v10
	s_and_saveexec_b32 s11, s4
	s_cbranch_execz .LBB255_1886
; %bb.1881:                             ;   in Loop: Header=BB255_1055 Depth=1
	v_mov_b32_e32 v7, 0xffff
	v_mov_b32_e32 v12, v9
	;; [unrolled: 1-line block ×3, first 2 shown]
	s_mov_b32 s12, exec_lo
	v_and_b32_sdwa v7, v7, v6 dst_sel:DWORD dst_unused:UNUSED_PAD src0_sel:DWORD src1_sel:BYTE_1
	v_mov_b32_e32 v20, v12
	v_and_b32_e32 v10, 0x7f, v7
	v_cmpx_ne_u32_e32 0x7f, v10
	s_cbranch_execz .LBB255_1885
; %bb.1882:                             ;   in Loop: Header=BB255_1055 Depth=1
	v_and_b32_e32 v8, 7, v7
	v_lshrrev_b32_e32 v7, 3, v10
	s_mov_b32 s13, exec_lo
	v_cmpx_gt_u32_e32 8, v10
; %bb.1883:                             ;   in Loop: Header=BB255_1055 Depth=1
	v_ffbh_u32_e32 v7, v8
	v_min_u32_e32 v7, 32, v7
	v_subrev_nc_u32_e32 v10, 28, v7
	v_sub_nc_u32_e32 v7, 29, v7
	v_lshlrev_b64 v[20:21], v10, v[8:9]
	v_and_b32_e32 v8, 7, v20
; %bb.1884:                             ;   in Loop: Header=BB255_1055 Depth=1
	s_or_b32 exec_lo, exec_lo, s13
	v_lshlrev_b32_e32 v10, 16, v6
	v_lshlrev_b32_e32 v8, 20, v8
	v_lshl_add_u32 v7, v7, 23, 0x3c000000
	v_mov_b32_e32 v20, v9
	v_and_b32_e32 v10, 0x80000000, v10
	v_or3_b32 v21, v8, v10, v7
.LBB255_1885:                           ;   in Loop: Header=BB255_1055 Depth=1
	s_or_b32 exec_lo, exec_lo, s12
.LBB255_1886:                           ;   in Loop: Header=BB255_1055 Depth=1
	s_or_b32 exec_lo, exec_lo, s11
.LBB255_1887:                           ;   in Loop: Header=BB255_1055 Depth=1
	s_or_b32 exec_lo, exec_lo, s9
	v_mov_b32_e32 v22, 0
	v_mov_b32_e32 v24, 0
	v_and_b32_sdwa v7, v6, v99 dst_sel:DWORD dst_unused:UNUSED_PAD src0_sel:WORD_1 src1_sel:DWORD
	v_mov_b32_e32 v23, 0
	v_mov_b32_e32 v25, 0
	s_mov_b32 s9, exec_lo
	v_cmpx_ne_u16_e32 0, v7
	s_cbranch_execz .LBB255_1895
; %bb.1888:                             ;   in Loop: Header=BB255_1055 Depth=1
	v_bfrev_b32_e32 v24, 1
	v_mov_b32_e32 v25, 0
	s_mov_b32 s11, exec_lo
	v_cmpx_ne_u16_e32 0x80, v7
	s_cbranch_execz .LBB255_1894
; %bb.1889:                             ;   in Loop: Header=BB255_1055 Depth=1
	v_mov_b32_e32 v24, 0x7f800001
	v_bfe_u32 v10, v6, 16, 7
	v_mov_b32_e32 v25, 0
	s_mov_b32 s12, exec_lo
	v_cmpx_ne_u32_e32 0x7f, v10
	s_cbranch_execz .LBB255_1893
; %bb.1890:                             ;   in Loop: Header=BB255_1055 Depth=1
	v_mov_b32_e32 v7, 7
	s_mov_b32 s13, exec_lo
	v_and_b32_sdwa v8, v6, v7 dst_sel:DWORD dst_unused:UNUSED_PAD src0_sel:WORD_1 src1_sel:DWORD
	v_lshrrev_b32_e32 v7, 3, v10
	v_cmpx_gt_u32_e32 8, v10
; %bb.1891:                             ;   in Loop: Header=BB255_1055 Depth=1
	v_ffbh_u32_e32 v7, v8
	v_min_u32_e32 v7, 32, v7
	v_subrev_nc_u32_e32 v10, 28, v7
	v_sub_nc_u32_e32 v7, 29, v7
	v_lshlrev_b64 v[24:25], v10, v[8:9]
	v_and_b32_e32 v8, 7, v24
; %bb.1892:                             ;   in Loop: Header=BB255_1055 Depth=1
	s_or_b32 exec_lo, exec_lo, s13
	v_mov_b32_e32 v10, 24
	v_lshlrev_b32_e32 v8, 20, v8
	v_lshl_add_u32 v7, v7, 23, 0x3c000000
	v_lshlrev_b32_sdwa v10, v10, v6 dst_sel:DWORD dst_unused:UNUSED_PAD src0_sel:DWORD src1_sel:WORD_1
	v_and_b32_e32 v10, 0x80000000, v10
	v_or3_b32 v8, v8, v10, v7
	v_mov_b32_e32 v25, v9
	v_mov_b32_e32 v24, v8
.LBB255_1893:                           ;   in Loop: Header=BB255_1055 Depth=1
	s_or_b32 exec_lo, exec_lo, s12
.LBB255_1894:                           ;   in Loop: Header=BB255_1055 Depth=1
	s_or_b32 exec_lo, exec_lo, s11
.LBB255_1895:                           ;   in Loop: Header=BB255_1055 Depth=1
	s_or_b32 exec_lo, exec_lo, s9
	s_mov_b32 s9, exec_lo
	v_cmpx_lt_u32_e32 0xffffff, v6
	s_cbranch_execz .LBB255_1903
; %bb.1896:                             ;   in Loop: Header=BB255_1055 Depth=1
	v_mov_b32_e32 v10, v9
	v_mov_b32_e32 v23, v11
	v_cmp_ne_u32_sdwa s4, v6, v97 src0_sel:BYTE_3 src1_sel:DWORD
	v_mov_b32_e32 v22, v10
	s_and_saveexec_b32 s11, s4
	s_cbranch_execz .LBB255_1902
; %bb.1897:                             ;   in Loop: Header=BB255_1055 Depth=1
	v_mov_b32_e32 v12, v9
	v_mov_b32_e32 v23, v13
	v_bfe_u32 v10, v6, 24, 7
	s_mov_b32 s12, exec_lo
	v_mov_b32_e32 v22, v12
	v_cmpx_ne_u32_e32 0x7f, v10
	s_cbranch_execz .LBB255_1901
; %bb.1898:                             ;   in Loop: Header=BB255_1055 Depth=1
	v_mov_b32_e32 v7, 7
	s_mov_b32 s13, exec_lo
	v_and_b32_sdwa v8, v6, v7 dst_sel:DWORD dst_unused:UNUSED_PAD src0_sel:BYTE_3 src1_sel:DWORD
	v_lshrrev_b32_e32 v7, 3, v10
	v_cmpx_gt_u32_e32 8, v10
; %bb.1899:                             ;   in Loop: Header=BB255_1055 Depth=1
	v_ffbh_u32_e32 v7, v8
	v_min_u32_e32 v7, 32, v7
	v_subrev_nc_u32_e32 v10, 28, v7
	v_sub_nc_u32_e32 v7, 29, v7
	v_lshlrev_b64 v[22:23], v10, v[8:9]
	v_and_b32_e32 v8, 7, v22
; %bb.1900:                             ;   in Loop: Header=BB255_1055 Depth=1
	s_or_b32 exec_lo, exec_lo, s13
	v_mov_b32_e32 v10, 24
	v_lshlrev_b32_e32 v8, 20, v8
	v_lshl_add_u32 v7, v7, 23, 0x3c000000
	v_mov_b32_e32 v22, v9
	v_lshlrev_b32_sdwa v6, v10, v6 dst_sel:DWORD dst_unused:UNUSED_PAD src0_sel:DWORD src1_sel:BYTE_3
	v_and_b32_e32 v6, 0x80000000, v6
	v_or3_b32 v23, v8, v6, v7
.LBB255_1901:                           ;   in Loop: Header=BB255_1055 Depth=1
	s_or_b32 exec_lo, exec_lo, s12
.LBB255_1902:                           ;   in Loop: Header=BB255_1055 Depth=1
	s_or_b32 exec_lo, exec_lo, s11
.LBB255_1903:                           ;   in Loop: Header=BB255_1055 Depth=1
	s_or_b32 exec_lo, exec_lo, s9
	v_or_b32_e32 v6, v21, v19
	v_or_b32_e32 v7, v20, v18
	;; [unrolled: 1-line block ×4, first 2 shown]
	v_mul_f32_e32 v107, v114, v6
	v_mul_f32_e32 v106, v87, v7
	;; [unrolled: 1-line block ×4, first 2 shown]
	s_and_saveexec_b32 s9, vcc_lo
	s_cbranch_execz .LBB255_1905
; %bb.1904:                             ;   in Loop: Header=BB255_1055 Depth=1
	v_cmp_lt_i32_e64 s4, v43, v82
	v_cndmask_b32_e64 v106, 0, v106, s4
	v_cmp_lt_i32_e64 s4, v45, v82
	v_cndmask_b32_e64 v107, 0, v107, s4
	;; [unrolled: 2-line block ×4, first 2 shown]
.LBB255_1905:                           ;   in Loop: Header=BB255_1055 Depth=1
	s_or_b32 exec_lo, exec_lo, s9
	flat_load_dword v6, v[4:5] offset:1152
	v_mov_b32_e32 v20, 0
	v_mov_b32_e32 v18, 0
	;; [unrolled: 1-line block ×4, first 2 shown]
	s_waitcnt vmcnt(0) lgkmcnt(0)
	v_cmp_ne_u16_sdwa s4, v6, v9 src0_sel:BYTE_0 src1_sel:DWORD
	s_and_saveexec_b32 s9, s4
	s_cbranch_execz .LBB255_1913
; %bb.1906:                             ;   in Loop: Header=BB255_1055 Depth=1
	v_bfrev_b32_e32 v18, 1
	v_mov_b32_e32 v19, 0
	v_cmp_ne_u16_sdwa s4, v6, v97 src0_sel:BYTE_0 src1_sel:DWORD
	s_and_saveexec_b32 s11, s4
	s_cbranch_execz .LBB255_1912
; %bb.1907:                             ;   in Loop: Header=BB255_1055 Depth=1
	v_mov_b32_e32 v18, 0x7f800001
	v_and_b32_e32 v10, 0x7f, v6
	v_mov_b32_e32 v19, 0
	s_mov_b32 s12, exec_lo
	v_cmpx_ne_u32_e32 0x7f, v10
	s_cbranch_execz .LBB255_1911
; %bb.1908:                             ;   in Loop: Header=BB255_1055 Depth=1
	v_and_b32_e32 v8, 7, v6
	v_lshrrev_b32_e32 v7, 3, v10
	s_mov_b32 s13, exec_lo
	v_cmpx_gt_u32_e32 8, v10
; %bb.1909:                             ;   in Loop: Header=BB255_1055 Depth=1
	v_ffbh_u32_e32 v7, v8
	v_min_u32_e32 v7, 32, v7
	v_subrev_nc_u32_e32 v10, 28, v7
	v_sub_nc_u32_e32 v7, 29, v7
	v_lshlrev_b64 v[18:19], v10, v[8:9]
	v_and_b32_e32 v8, 7, v18
; %bb.1910:                             ;   in Loop: Header=BB255_1055 Depth=1
	s_or_b32 exec_lo, exec_lo, s13
	v_lshlrev_b32_e32 v10, 24, v6
	v_lshlrev_b32_e32 v8, 20, v8
	v_lshl_add_u32 v7, v7, 23, 0x3c000000
	v_and_b32_e32 v10, 0x80000000, v10
	v_or3_b32 v8, v8, v10, v7
	v_mov_b32_e32 v19, v9
	v_mov_b32_e32 v18, v8
.LBB255_1911:                           ;   in Loop: Header=BB255_1055 Depth=1
	s_or_b32 exec_lo, exec_lo, s12
.LBB255_1912:                           ;   in Loop: Header=BB255_1055 Depth=1
	s_or_b32 exec_lo, exec_lo, s11
.LBB255_1913:                           ;   in Loop: Header=BB255_1055 Depth=1
	s_or_b32 exec_lo, exec_lo, s9
	v_cmp_ne_u16_sdwa s4, v6, v9 src0_sel:BYTE_1 src1_sel:DWORD
	s_and_saveexec_b32 s9, s4
	s_cbranch_execz .LBB255_1921
; %bb.1914:                             ;   in Loop: Header=BB255_1055 Depth=1
	v_mov_b32_e32 v10, v9
	v_mov_b32_e32 v21, v11
	v_cmp_ne_u16_sdwa s4, v6, v97 src0_sel:BYTE_1 src1_sel:DWORD
	v_mov_b32_e32 v20, v10
	s_and_saveexec_b32 s11, s4
	s_cbranch_execz .LBB255_1920
; %bb.1915:                             ;   in Loop: Header=BB255_1055 Depth=1
	v_mov_b32_e32 v7, 0xffff
	v_mov_b32_e32 v12, v9
	;; [unrolled: 1-line block ×3, first 2 shown]
	s_mov_b32 s12, exec_lo
	v_and_b32_sdwa v7, v7, v6 dst_sel:DWORD dst_unused:UNUSED_PAD src0_sel:DWORD src1_sel:BYTE_1
	v_mov_b32_e32 v20, v12
	v_and_b32_e32 v10, 0x7f, v7
	v_cmpx_ne_u32_e32 0x7f, v10
	s_cbranch_execz .LBB255_1919
; %bb.1916:                             ;   in Loop: Header=BB255_1055 Depth=1
	v_and_b32_e32 v8, 7, v7
	v_lshrrev_b32_e32 v7, 3, v10
	s_mov_b32 s13, exec_lo
	v_cmpx_gt_u32_e32 8, v10
; %bb.1917:                             ;   in Loop: Header=BB255_1055 Depth=1
	v_ffbh_u32_e32 v7, v8
	v_min_u32_e32 v7, 32, v7
	v_subrev_nc_u32_e32 v10, 28, v7
	v_sub_nc_u32_e32 v7, 29, v7
	v_lshlrev_b64 v[20:21], v10, v[8:9]
	v_and_b32_e32 v8, 7, v20
; %bb.1918:                             ;   in Loop: Header=BB255_1055 Depth=1
	s_or_b32 exec_lo, exec_lo, s13
	v_lshlrev_b32_e32 v10, 16, v6
	v_lshlrev_b32_e32 v8, 20, v8
	v_lshl_add_u32 v7, v7, 23, 0x3c000000
	v_mov_b32_e32 v20, v9
	v_and_b32_e32 v10, 0x80000000, v10
	v_or3_b32 v21, v8, v10, v7
.LBB255_1919:                           ;   in Loop: Header=BB255_1055 Depth=1
	s_or_b32 exec_lo, exec_lo, s12
.LBB255_1920:                           ;   in Loop: Header=BB255_1055 Depth=1
	s_or_b32 exec_lo, exec_lo, s11
.LBB255_1921:                           ;   in Loop: Header=BB255_1055 Depth=1
	s_or_b32 exec_lo, exec_lo, s9
	v_mov_b32_e32 v22, 0
	v_mov_b32_e32 v24, 0
	v_and_b32_sdwa v7, v6, v99 dst_sel:DWORD dst_unused:UNUSED_PAD src0_sel:WORD_1 src1_sel:DWORD
	v_mov_b32_e32 v23, 0
	v_mov_b32_e32 v25, 0
	s_mov_b32 s9, exec_lo
	v_cmpx_ne_u16_e32 0, v7
	s_cbranch_execz .LBB255_1929
; %bb.1922:                             ;   in Loop: Header=BB255_1055 Depth=1
	v_bfrev_b32_e32 v24, 1
	v_mov_b32_e32 v25, 0
	s_mov_b32 s11, exec_lo
	v_cmpx_ne_u16_e32 0x80, v7
	s_cbranch_execz .LBB255_1928
; %bb.1923:                             ;   in Loop: Header=BB255_1055 Depth=1
	v_mov_b32_e32 v24, 0x7f800001
	v_bfe_u32 v10, v6, 16, 7
	v_mov_b32_e32 v25, 0
	s_mov_b32 s12, exec_lo
	v_cmpx_ne_u32_e32 0x7f, v10
	s_cbranch_execz .LBB255_1927
; %bb.1924:                             ;   in Loop: Header=BB255_1055 Depth=1
	v_mov_b32_e32 v7, 7
	s_mov_b32 s13, exec_lo
	v_and_b32_sdwa v8, v6, v7 dst_sel:DWORD dst_unused:UNUSED_PAD src0_sel:WORD_1 src1_sel:DWORD
	v_lshrrev_b32_e32 v7, 3, v10
	v_cmpx_gt_u32_e32 8, v10
; %bb.1925:                             ;   in Loop: Header=BB255_1055 Depth=1
	v_ffbh_u32_e32 v7, v8
	v_min_u32_e32 v7, 32, v7
	v_subrev_nc_u32_e32 v10, 28, v7
	v_sub_nc_u32_e32 v7, 29, v7
	v_lshlrev_b64 v[24:25], v10, v[8:9]
	v_and_b32_e32 v8, 7, v24
; %bb.1926:                             ;   in Loop: Header=BB255_1055 Depth=1
	s_or_b32 exec_lo, exec_lo, s13
	v_mov_b32_e32 v10, 24
	v_lshlrev_b32_e32 v8, 20, v8
	v_lshl_add_u32 v7, v7, 23, 0x3c000000
	v_lshlrev_b32_sdwa v10, v10, v6 dst_sel:DWORD dst_unused:UNUSED_PAD src0_sel:DWORD src1_sel:WORD_1
	v_and_b32_e32 v10, 0x80000000, v10
	v_or3_b32 v8, v8, v10, v7
	v_mov_b32_e32 v25, v9
	v_mov_b32_e32 v24, v8
.LBB255_1927:                           ;   in Loop: Header=BB255_1055 Depth=1
	s_or_b32 exec_lo, exec_lo, s12
.LBB255_1928:                           ;   in Loop: Header=BB255_1055 Depth=1
	s_or_b32 exec_lo, exec_lo, s11
.LBB255_1929:                           ;   in Loop: Header=BB255_1055 Depth=1
	s_or_b32 exec_lo, exec_lo, s9
	s_mov_b32 s9, exec_lo
	v_cmpx_lt_u32_e32 0xffffff, v6
	s_cbranch_execz .LBB255_1937
; %bb.1930:                             ;   in Loop: Header=BB255_1055 Depth=1
	v_mov_b32_e32 v10, v9
	v_mov_b32_e32 v23, v11
	v_cmp_ne_u32_sdwa s4, v6, v97 src0_sel:BYTE_3 src1_sel:DWORD
	v_mov_b32_e32 v22, v10
	s_and_saveexec_b32 s11, s4
	s_cbranch_execz .LBB255_1936
; %bb.1931:                             ;   in Loop: Header=BB255_1055 Depth=1
	v_mov_b32_e32 v12, v9
	v_mov_b32_e32 v23, v13
	v_bfe_u32 v10, v6, 24, 7
	s_mov_b32 s12, exec_lo
	v_mov_b32_e32 v22, v12
	v_cmpx_ne_u32_e32 0x7f, v10
	s_cbranch_execz .LBB255_1935
; %bb.1932:                             ;   in Loop: Header=BB255_1055 Depth=1
	v_mov_b32_e32 v7, 7
	s_mov_b32 s13, exec_lo
	v_and_b32_sdwa v8, v6, v7 dst_sel:DWORD dst_unused:UNUSED_PAD src0_sel:BYTE_3 src1_sel:DWORD
	v_lshrrev_b32_e32 v7, 3, v10
	v_cmpx_gt_u32_e32 8, v10
; %bb.1933:                             ;   in Loop: Header=BB255_1055 Depth=1
	v_ffbh_u32_e32 v7, v8
	v_min_u32_e32 v7, 32, v7
	v_subrev_nc_u32_e32 v10, 28, v7
	v_sub_nc_u32_e32 v7, 29, v7
	v_lshlrev_b64 v[22:23], v10, v[8:9]
	v_and_b32_e32 v8, 7, v22
; %bb.1934:                             ;   in Loop: Header=BB255_1055 Depth=1
	s_or_b32 exec_lo, exec_lo, s13
	v_mov_b32_e32 v10, 24
	v_lshlrev_b32_e32 v8, 20, v8
	v_lshl_add_u32 v7, v7, 23, 0x3c000000
	v_mov_b32_e32 v22, v9
	v_lshlrev_b32_sdwa v6, v10, v6 dst_sel:DWORD dst_unused:UNUSED_PAD src0_sel:DWORD src1_sel:BYTE_3
	v_and_b32_e32 v6, 0x80000000, v6
	v_or3_b32 v23, v8, v6, v7
.LBB255_1935:                           ;   in Loop: Header=BB255_1055 Depth=1
	s_or_b32 exec_lo, exec_lo, s12
.LBB255_1936:                           ;   in Loop: Header=BB255_1055 Depth=1
	s_or_b32 exec_lo, exec_lo, s11
.LBB255_1937:                           ;   in Loop: Header=BB255_1055 Depth=1
	s_or_b32 exec_lo, exec_lo, s9
	v_or_b32_e32 v6, v21, v19
	v_or_b32_e32 v7, v20, v18
	;; [unrolled: 1-line block ×4, first 2 shown]
	v_mul_f32_e32 v111, v114, v6
	v_mul_f32_e32 v110, v87, v7
	;; [unrolled: 1-line block ×4, first 2 shown]
	s_and_saveexec_b32 s9, vcc_lo
	s_cbranch_execz .LBB255_1939
; %bb.1938:                             ;   in Loop: Header=BB255_1055 Depth=1
	v_cmp_lt_i32_e64 s4, v43, v82
	v_cndmask_b32_e64 v110, 0, v110, s4
	v_cmp_lt_i32_e64 s4, v45, v82
	v_cndmask_b32_e64 v111, 0, v111, s4
	;; [unrolled: 2-line block ×4, first 2 shown]
.LBB255_1939:                           ;   in Loop: Header=BB255_1055 Depth=1
	s_or_b32 exec_lo, exec_lo, s9
	flat_load_dword v6, v[4:5] offset:1280
	v_mov_b32_e32 v20, 0
	v_mov_b32_e32 v18, 0
	;; [unrolled: 1-line block ×4, first 2 shown]
	s_waitcnt vmcnt(0) lgkmcnt(0)
	v_cmp_ne_u16_sdwa s4, v6, v9 src0_sel:BYTE_0 src1_sel:DWORD
	s_and_saveexec_b32 s9, s4
	s_cbranch_execz .LBB255_1947
; %bb.1940:                             ;   in Loop: Header=BB255_1055 Depth=1
	v_bfrev_b32_e32 v18, 1
	v_mov_b32_e32 v19, 0
	v_cmp_ne_u16_sdwa s4, v6, v97 src0_sel:BYTE_0 src1_sel:DWORD
	s_and_saveexec_b32 s11, s4
	s_cbranch_execz .LBB255_1946
; %bb.1941:                             ;   in Loop: Header=BB255_1055 Depth=1
	v_mov_b32_e32 v18, 0x7f800001
	v_and_b32_e32 v10, 0x7f, v6
	v_mov_b32_e32 v19, 0
	s_mov_b32 s12, exec_lo
	v_cmpx_ne_u32_e32 0x7f, v10
	s_cbranch_execz .LBB255_1945
; %bb.1942:                             ;   in Loop: Header=BB255_1055 Depth=1
	v_and_b32_e32 v8, 7, v6
	v_lshrrev_b32_e32 v7, 3, v10
	s_mov_b32 s13, exec_lo
	v_cmpx_gt_u32_e32 8, v10
; %bb.1943:                             ;   in Loop: Header=BB255_1055 Depth=1
	v_ffbh_u32_e32 v7, v8
	v_min_u32_e32 v7, 32, v7
	v_subrev_nc_u32_e32 v10, 28, v7
	v_sub_nc_u32_e32 v7, 29, v7
	v_lshlrev_b64 v[18:19], v10, v[8:9]
	v_and_b32_e32 v8, 7, v18
; %bb.1944:                             ;   in Loop: Header=BB255_1055 Depth=1
	s_or_b32 exec_lo, exec_lo, s13
	v_lshlrev_b32_e32 v10, 24, v6
	v_lshlrev_b32_e32 v8, 20, v8
	v_lshl_add_u32 v7, v7, 23, 0x3c000000
	v_and_b32_e32 v10, 0x80000000, v10
	v_or3_b32 v8, v8, v10, v7
	v_mov_b32_e32 v19, v9
	v_mov_b32_e32 v18, v8
.LBB255_1945:                           ;   in Loop: Header=BB255_1055 Depth=1
	s_or_b32 exec_lo, exec_lo, s12
.LBB255_1946:                           ;   in Loop: Header=BB255_1055 Depth=1
	s_or_b32 exec_lo, exec_lo, s11
.LBB255_1947:                           ;   in Loop: Header=BB255_1055 Depth=1
	s_or_b32 exec_lo, exec_lo, s9
	v_cmp_ne_u16_sdwa s4, v6, v9 src0_sel:BYTE_1 src1_sel:DWORD
	s_and_saveexec_b32 s9, s4
	s_cbranch_execz .LBB255_1955
; %bb.1948:                             ;   in Loop: Header=BB255_1055 Depth=1
	v_mov_b32_e32 v10, v9
	v_mov_b32_e32 v21, v11
	v_cmp_ne_u16_sdwa s4, v6, v97 src0_sel:BYTE_1 src1_sel:DWORD
	v_mov_b32_e32 v20, v10
	s_and_saveexec_b32 s11, s4
	s_cbranch_execz .LBB255_1954
; %bb.1949:                             ;   in Loop: Header=BB255_1055 Depth=1
	v_mov_b32_e32 v7, 0xffff
	v_mov_b32_e32 v12, v9
	;; [unrolled: 1-line block ×3, first 2 shown]
	s_mov_b32 s12, exec_lo
	v_and_b32_sdwa v7, v7, v6 dst_sel:DWORD dst_unused:UNUSED_PAD src0_sel:DWORD src1_sel:BYTE_1
	v_mov_b32_e32 v20, v12
	v_and_b32_e32 v10, 0x7f, v7
	v_cmpx_ne_u32_e32 0x7f, v10
	s_cbranch_execz .LBB255_1953
; %bb.1950:                             ;   in Loop: Header=BB255_1055 Depth=1
	v_and_b32_e32 v8, 7, v7
	v_lshrrev_b32_e32 v7, 3, v10
	s_mov_b32 s13, exec_lo
	v_cmpx_gt_u32_e32 8, v10
; %bb.1951:                             ;   in Loop: Header=BB255_1055 Depth=1
	v_ffbh_u32_e32 v7, v8
	v_min_u32_e32 v7, 32, v7
	v_subrev_nc_u32_e32 v10, 28, v7
	v_sub_nc_u32_e32 v7, 29, v7
	v_lshlrev_b64 v[20:21], v10, v[8:9]
	v_and_b32_e32 v8, 7, v20
; %bb.1952:                             ;   in Loop: Header=BB255_1055 Depth=1
	s_or_b32 exec_lo, exec_lo, s13
	v_lshlrev_b32_e32 v10, 16, v6
	v_lshlrev_b32_e32 v8, 20, v8
	v_lshl_add_u32 v7, v7, 23, 0x3c000000
	v_mov_b32_e32 v20, v9
	v_and_b32_e32 v10, 0x80000000, v10
	v_or3_b32 v21, v8, v10, v7
.LBB255_1953:                           ;   in Loop: Header=BB255_1055 Depth=1
	s_or_b32 exec_lo, exec_lo, s12
.LBB255_1954:                           ;   in Loop: Header=BB255_1055 Depth=1
	s_or_b32 exec_lo, exec_lo, s11
.LBB255_1955:                           ;   in Loop: Header=BB255_1055 Depth=1
	s_or_b32 exec_lo, exec_lo, s9
	v_mov_b32_e32 v22, 0
	v_mov_b32_e32 v24, 0
	v_and_b32_sdwa v7, v6, v99 dst_sel:DWORD dst_unused:UNUSED_PAD src0_sel:WORD_1 src1_sel:DWORD
	v_mov_b32_e32 v23, 0
	v_mov_b32_e32 v25, 0
	s_mov_b32 s9, exec_lo
	v_cmpx_ne_u16_e32 0, v7
	s_cbranch_execz .LBB255_1963
; %bb.1956:                             ;   in Loop: Header=BB255_1055 Depth=1
	v_bfrev_b32_e32 v24, 1
	v_mov_b32_e32 v25, 0
	s_mov_b32 s11, exec_lo
	v_cmpx_ne_u16_e32 0x80, v7
	s_cbranch_execz .LBB255_1962
; %bb.1957:                             ;   in Loop: Header=BB255_1055 Depth=1
	v_mov_b32_e32 v24, 0x7f800001
	v_bfe_u32 v10, v6, 16, 7
	v_mov_b32_e32 v25, 0
	s_mov_b32 s12, exec_lo
	v_cmpx_ne_u32_e32 0x7f, v10
	s_cbranch_execz .LBB255_1961
; %bb.1958:                             ;   in Loop: Header=BB255_1055 Depth=1
	v_mov_b32_e32 v7, 7
	s_mov_b32 s13, exec_lo
	v_and_b32_sdwa v8, v6, v7 dst_sel:DWORD dst_unused:UNUSED_PAD src0_sel:WORD_1 src1_sel:DWORD
	v_lshrrev_b32_e32 v7, 3, v10
	v_cmpx_gt_u32_e32 8, v10
; %bb.1959:                             ;   in Loop: Header=BB255_1055 Depth=1
	v_ffbh_u32_e32 v7, v8
	v_min_u32_e32 v7, 32, v7
	v_subrev_nc_u32_e32 v10, 28, v7
	v_sub_nc_u32_e32 v7, 29, v7
	v_lshlrev_b64 v[24:25], v10, v[8:9]
	v_and_b32_e32 v8, 7, v24
; %bb.1960:                             ;   in Loop: Header=BB255_1055 Depth=1
	s_or_b32 exec_lo, exec_lo, s13
	v_mov_b32_e32 v10, 24
	v_lshlrev_b32_e32 v8, 20, v8
	v_lshl_add_u32 v7, v7, 23, 0x3c000000
	v_lshlrev_b32_sdwa v10, v10, v6 dst_sel:DWORD dst_unused:UNUSED_PAD src0_sel:DWORD src1_sel:WORD_1
	v_and_b32_e32 v10, 0x80000000, v10
	v_or3_b32 v8, v8, v10, v7
	v_mov_b32_e32 v25, v9
	v_mov_b32_e32 v24, v8
.LBB255_1961:                           ;   in Loop: Header=BB255_1055 Depth=1
	s_or_b32 exec_lo, exec_lo, s12
.LBB255_1962:                           ;   in Loop: Header=BB255_1055 Depth=1
	s_or_b32 exec_lo, exec_lo, s11
.LBB255_1963:                           ;   in Loop: Header=BB255_1055 Depth=1
	s_or_b32 exec_lo, exec_lo, s9
	s_mov_b32 s9, exec_lo
	v_cmpx_lt_u32_e32 0xffffff, v6
	s_cbranch_execz .LBB255_1971
; %bb.1964:                             ;   in Loop: Header=BB255_1055 Depth=1
	v_mov_b32_e32 v10, v9
	v_mov_b32_e32 v23, v11
	v_cmp_ne_u32_sdwa s4, v6, v97 src0_sel:BYTE_3 src1_sel:DWORD
	v_mov_b32_e32 v22, v10
	s_and_saveexec_b32 s11, s4
	s_cbranch_execz .LBB255_1970
; %bb.1965:                             ;   in Loop: Header=BB255_1055 Depth=1
	v_mov_b32_e32 v12, v9
	v_mov_b32_e32 v23, v13
	v_bfe_u32 v10, v6, 24, 7
	s_mov_b32 s12, exec_lo
	v_mov_b32_e32 v22, v12
	v_cmpx_ne_u32_e32 0x7f, v10
	s_cbranch_execz .LBB255_1969
; %bb.1966:                             ;   in Loop: Header=BB255_1055 Depth=1
	v_mov_b32_e32 v7, 7
	s_mov_b32 s13, exec_lo
	v_and_b32_sdwa v8, v6, v7 dst_sel:DWORD dst_unused:UNUSED_PAD src0_sel:BYTE_3 src1_sel:DWORD
	v_lshrrev_b32_e32 v7, 3, v10
	v_cmpx_gt_u32_e32 8, v10
; %bb.1967:                             ;   in Loop: Header=BB255_1055 Depth=1
	v_ffbh_u32_e32 v7, v8
	v_min_u32_e32 v7, 32, v7
	v_subrev_nc_u32_e32 v10, 28, v7
	v_sub_nc_u32_e32 v7, 29, v7
	v_lshlrev_b64 v[22:23], v10, v[8:9]
	v_and_b32_e32 v8, 7, v22
; %bb.1968:                             ;   in Loop: Header=BB255_1055 Depth=1
	s_or_b32 exec_lo, exec_lo, s13
	v_mov_b32_e32 v10, 24
	v_lshlrev_b32_e32 v8, 20, v8
	v_lshl_add_u32 v7, v7, 23, 0x3c000000
	v_mov_b32_e32 v22, v9
	v_lshlrev_b32_sdwa v6, v10, v6 dst_sel:DWORD dst_unused:UNUSED_PAD src0_sel:DWORD src1_sel:BYTE_3
	v_and_b32_e32 v6, 0x80000000, v6
	v_or3_b32 v23, v8, v6, v7
.LBB255_1969:                           ;   in Loop: Header=BB255_1055 Depth=1
	s_or_b32 exec_lo, exec_lo, s12
.LBB255_1970:                           ;   in Loop: Header=BB255_1055 Depth=1
	s_or_b32 exec_lo, exec_lo, s11
.LBB255_1971:                           ;   in Loop: Header=BB255_1055 Depth=1
	s_or_b32 exec_lo, exec_lo, s9
	v_or_b32_e32 v6, v21, v19
	v_or_b32_e32 v7, v20, v18
	;; [unrolled: 1-line block ×4, first 2 shown]
	v_mul_f32_e32 v123, v114, v6
	v_mul_f32_e32 v122, v87, v7
	;; [unrolled: 1-line block ×4, first 2 shown]
	s_and_saveexec_b32 s9, vcc_lo
	s_cbranch_execz .LBB255_1973
; %bb.1972:                             ;   in Loop: Header=BB255_1055 Depth=1
	v_cmp_lt_i32_e64 s4, v43, v82
	v_cndmask_b32_e64 v122, 0, v122, s4
	v_cmp_lt_i32_e64 s4, v45, v82
	v_cndmask_b32_e64 v123, 0, v123, s4
	;; [unrolled: 2-line block ×4, first 2 shown]
.LBB255_1973:                           ;   in Loop: Header=BB255_1055 Depth=1
	s_or_b32 exec_lo, exec_lo, s9
	flat_load_dword v6, v[4:5] offset:1408
	v_mov_b32_e32 v20, 0
	v_mov_b32_e32 v18, 0
	v_mov_b32_e32 v21, 0
	v_mov_b32_e32 v19, 0
	s_waitcnt vmcnt(0) lgkmcnt(0)
	v_cmp_ne_u16_sdwa s4, v6, v9 src0_sel:BYTE_0 src1_sel:DWORD
	s_and_saveexec_b32 s9, s4
	s_cbranch_execz .LBB255_1981
; %bb.1974:                             ;   in Loop: Header=BB255_1055 Depth=1
	v_bfrev_b32_e32 v18, 1
	v_mov_b32_e32 v19, 0
	v_cmp_ne_u16_sdwa s4, v6, v97 src0_sel:BYTE_0 src1_sel:DWORD
	s_and_saveexec_b32 s11, s4
	s_cbranch_execz .LBB255_1980
; %bb.1975:                             ;   in Loop: Header=BB255_1055 Depth=1
	v_mov_b32_e32 v18, 0x7f800001
	v_and_b32_e32 v10, 0x7f, v6
	v_mov_b32_e32 v19, 0
	s_mov_b32 s12, exec_lo
	v_cmpx_ne_u32_e32 0x7f, v10
	s_cbranch_execz .LBB255_1979
; %bb.1976:                             ;   in Loop: Header=BB255_1055 Depth=1
	v_and_b32_e32 v8, 7, v6
	v_lshrrev_b32_e32 v7, 3, v10
	s_mov_b32 s13, exec_lo
	v_cmpx_gt_u32_e32 8, v10
; %bb.1977:                             ;   in Loop: Header=BB255_1055 Depth=1
	v_ffbh_u32_e32 v7, v8
	v_min_u32_e32 v7, 32, v7
	v_subrev_nc_u32_e32 v10, 28, v7
	v_sub_nc_u32_e32 v7, 29, v7
	v_lshlrev_b64 v[18:19], v10, v[8:9]
	v_and_b32_e32 v8, 7, v18
; %bb.1978:                             ;   in Loop: Header=BB255_1055 Depth=1
	s_or_b32 exec_lo, exec_lo, s13
	v_lshlrev_b32_e32 v10, 24, v6
	v_lshlrev_b32_e32 v8, 20, v8
	v_lshl_add_u32 v7, v7, 23, 0x3c000000
	v_and_b32_e32 v10, 0x80000000, v10
	v_or3_b32 v8, v8, v10, v7
	v_mov_b32_e32 v19, v9
	v_mov_b32_e32 v18, v8
.LBB255_1979:                           ;   in Loop: Header=BB255_1055 Depth=1
	s_or_b32 exec_lo, exec_lo, s12
.LBB255_1980:                           ;   in Loop: Header=BB255_1055 Depth=1
	s_or_b32 exec_lo, exec_lo, s11
.LBB255_1981:                           ;   in Loop: Header=BB255_1055 Depth=1
	s_or_b32 exec_lo, exec_lo, s9
	v_cmp_ne_u16_sdwa s4, v6, v9 src0_sel:BYTE_1 src1_sel:DWORD
	s_and_saveexec_b32 s9, s4
	s_cbranch_execz .LBB255_1989
; %bb.1982:                             ;   in Loop: Header=BB255_1055 Depth=1
	v_mov_b32_e32 v10, v9
	v_mov_b32_e32 v21, v11
	v_cmp_ne_u16_sdwa s4, v6, v97 src0_sel:BYTE_1 src1_sel:DWORD
	v_mov_b32_e32 v20, v10
	s_and_saveexec_b32 s11, s4
	s_cbranch_execz .LBB255_1988
; %bb.1983:                             ;   in Loop: Header=BB255_1055 Depth=1
	v_mov_b32_e32 v7, 0xffff
	v_mov_b32_e32 v12, v9
	;; [unrolled: 1-line block ×3, first 2 shown]
	s_mov_b32 s12, exec_lo
	v_and_b32_sdwa v7, v7, v6 dst_sel:DWORD dst_unused:UNUSED_PAD src0_sel:DWORD src1_sel:BYTE_1
	v_mov_b32_e32 v20, v12
	v_and_b32_e32 v10, 0x7f, v7
	v_cmpx_ne_u32_e32 0x7f, v10
	s_cbranch_execz .LBB255_1987
; %bb.1984:                             ;   in Loop: Header=BB255_1055 Depth=1
	v_and_b32_e32 v8, 7, v7
	v_lshrrev_b32_e32 v7, 3, v10
	s_mov_b32 s13, exec_lo
	v_cmpx_gt_u32_e32 8, v10
; %bb.1985:                             ;   in Loop: Header=BB255_1055 Depth=1
	v_ffbh_u32_e32 v7, v8
	v_min_u32_e32 v7, 32, v7
	v_subrev_nc_u32_e32 v10, 28, v7
	v_sub_nc_u32_e32 v7, 29, v7
	v_lshlrev_b64 v[20:21], v10, v[8:9]
	v_and_b32_e32 v8, 7, v20
; %bb.1986:                             ;   in Loop: Header=BB255_1055 Depth=1
	s_or_b32 exec_lo, exec_lo, s13
	v_lshlrev_b32_e32 v10, 16, v6
	v_lshlrev_b32_e32 v8, 20, v8
	v_lshl_add_u32 v7, v7, 23, 0x3c000000
	v_mov_b32_e32 v20, v9
	v_and_b32_e32 v10, 0x80000000, v10
	v_or3_b32 v21, v8, v10, v7
.LBB255_1987:                           ;   in Loop: Header=BB255_1055 Depth=1
	s_or_b32 exec_lo, exec_lo, s12
.LBB255_1988:                           ;   in Loop: Header=BB255_1055 Depth=1
	s_or_b32 exec_lo, exec_lo, s11
.LBB255_1989:                           ;   in Loop: Header=BB255_1055 Depth=1
	s_or_b32 exec_lo, exec_lo, s9
	v_mov_b32_e32 v22, 0
	v_mov_b32_e32 v24, 0
	v_and_b32_sdwa v7, v6, v99 dst_sel:DWORD dst_unused:UNUSED_PAD src0_sel:WORD_1 src1_sel:DWORD
	v_mov_b32_e32 v23, 0
	v_mov_b32_e32 v25, 0
	s_mov_b32 s9, exec_lo
	v_cmpx_ne_u16_e32 0, v7
	s_cbranch_execz .LBB255_1997
; %bb.1990:                             ;   in Loop: Header=BB255_1055 Depth=1
	v_bfrev_b32_e32 v24, 1
	v_mov_b32_e32 v25, 0
	s_mov_b32 s11, exec_lo
	v_cmpx_ne_u16_e32 0x80, v7
	s_cbranch_execz .LBB255_1996
; %bb.1991:                             ;   in Loop: Header=BB255_1055 Depth=1
	v_mov_b32_e32 v24, 0x7f800001
	v_bfe_u32 v10, v6, 16, 7
	v_mov_b32_e32 v25, 0
	s_mov_b32 s12, exec_lo
	v_cmpx_ne_u32_e32 0x7f, v10
	s_cbranch_execz .LBB255_1995
; %bb.1992:                             ;   in Loop: Header=BB255_1055 Depth=1
	v_mov_b32_e32 v7, 7
	s_mov_b32 s13, exec_lo
	v_and_b32_sdwa v8, v6, v7 dst_sel:DWORD dst_unused:UNUSED_PAD src0_sel:WORD_1 src1_sel:DWORD
	v_lshrrev_b32_e32 v7, 3, v10
	v_cmpx_gt_u32_e32 8, v10
; %bb.1993:                             ;   in Loop: Header=BB255_1055 Depth=1
	v_ffbh_u32_e32 v7, v8
	v_min_u32_e32 v7, 32, v7
	v_subrev_nc_u32_e32 v10, 28, v7
	v_sub_nc_u32_e32 v7, 29, v7
	v_lshlrev_b64 v[24:25], v10, v[8:9]
	v_and_b32_e32 v8, 7, v24
; %bb.1994:                             ;   in Loop: Header=BB255_1055 Depth=1
	s_or_b32 exec_lo, exec_lo, s13
	v_mov_b32_e32 v10, 24
	v_lshlrev_b32_e32 v8, 20, v8
	v_lshl_add_u32 v7, v7, 23, 0x3c000000
	v_lshlrev_b32_sdwa v10, v10, v6 dst_sel:DWORD dst_unused:UNUSED_PAD src0_sel:DWORD src1_sel:WORD_1
	v_and_b32_e32 v10, 0x80000000, v10
	v_or3_b32 v8, v8, v10, v7
	v_mov_b32_e32 v25, v9
	v_mov_b32_e32 v24, v8
.LBB255_1995:                           ;   in Loop: Header=BB255_1055 Depth=1
	s_or_b32 exec_lo, exec_lo, s12
.LBB255_1996:                           ;   in Loop: Header=BB255_1055 Depth=1
	s_or_b32 exec_lo, exec_lo, s11
.LBB255_1997:                           ;   in Loop: Header=BB255_1055 Depth=1
	s_or_b32 exec_lo, exec_lo, s9
	s_mov_b32 s9, exec_lo
	v_cmpx_lt_u32_e32 0xffffff, v6
	s_cbranch_execz .LBB255_2005
; %bb.1998:                             ;   in Loop: Header=BB255_1055 Depth=1
	v_mov_b32_e32 v10, v9
	v_mov_b32_e32 v23, v11
	v_cmp_ne_u32_sdwa s4, v6, v97 src0_sel:BYTE_3 src1_sel:DWORD
	v_mov_b32_e32 v22, v10
	s_and_saveexec_b32 s11, s4
	s_cbranch_execz .LBB255_2004
; %bb.1999:                             ;   in Loop: Header=BB255_1055 Depth=1
	v_mov_b32_e32 v12, v9
	v_mov_b32_e32 v23, v13
	v_bfe_u32 v10, v6, 24, 7
	s_mov_b32 s12, exec_lo
	v_mov_b32_e32 v22, v12
	v_cmpx_ne_u32_e32 0x7f, v10
	s_cbranch_execz .LBB255_2003
; %bb.2000:                             ;   in Loop: Header=BB255_1055 Depth=1
	v_mov_b32_e32 v7, 7
	s_mov_b32 s13, exec_lo
	v_and_b32_sdwa v8, v6, v7 dst_sel:DWORD dst_unused:UNUSED_PAD src0_sel:BYTE_3 src1_sel:DWORD
	v_lshrrev_b32_e32 v7, 3, v10
	v_cmpx_gt_u32_e32 8, v10
; %bb.2001:                             ;   in Loop: Header=BB255_1055 Depth=1
	v_ffbh_u32_e32 v7, v8
	v_min_u32_e32 v7, 32, v7
	v_subrev_nc_u32_e32 v10, 28, v7
	v_sub_nc_u32_e32 v7, 29, v7
	v_lshlrev_b64 v[22:23], v10, v[8:9]
	v_and_b32_e32 v8, 7, v22
; %bb.2002:                             ;   in Loop: Header=BB255_1055 Depth=1
	s_or_b32 exec_lo, exec_lo, s13
	v_mov_b32_e32 v10, 24
	v_lshlrev_b32_e32 v8, 20, v8
	v_lshl_add_u32 v7, v7, 23, 0x3c000000
	v_mov_b32_e32 v22, v9
	v_lshlrev_b32_sdwa v6, v10, v6 dst_sel:DWORD dst_unused:UNUSED_PAD src0_sel:DWORD src1_sel:BYTE_3
	v_and_b32_e32 v6, 0x80000000, v6
	v_or3_b32 v23, v8, v6, v7
.LBB255_2003:                           ;   in Loop: Header=BB255_1055 Depth=1
	s_or_b32 exec_lo, exec_lo, s12
.LBB255_2004:                           ;   in Loop: Header=BB255_1055 Depth=1
	s_or_b32 exec_lo, exec_lo, s11
.LBB255_2005:                           ;   in Loop: Header=BB255_1055 Depth=1
	s_or_b32 exec_lo, exec_lo, s9
	v_or_b32_e32 v6, v21, v19
	v_or_b32_e32 v7, v20, v18
	;; [unrolled: 1-line block ×4, first 2 shown]
	v_mul_f32_e32 v96, v114, v6
	v_mul_f32_e32 v30, v87, v7
	;; [unrolled: 1-line block ×4, first 2 shown]
	s_and_saveexec_b32 s9, vcc_lo
	s_cbranch_execz .LBB255_2007
; %bb.2006:                             ;   in Loop: Header=BB255_1055 Depth=1
	v_cmp_lt_i32_e64 s4, v43, v82
	v_cndmask_b32_e64 v30, 0, v30, s4
	v_cmp_lt_i32_e64 s4, v45, v82
	v_cndmask_b32_e64 v96, 0, v96, s4
	v_cmp_lt_i32_e64 s4, v44, v82
	v_cndmask_b32_e64 v125, 0, v125, s4
	v_cmp_lt_i32_e64 s4, v112, v82
	v_cndmask_b32_e64 v124, 0, v124, s4
.LBB255_2007:                           ;   in Loop: Header=BB255_1055 Depth=1
	s_or_b32 exec_lo, exec_lo, s9
	flat_load_dword v6, v[4:5] offset:1536
	v_mov_b32_e32 v20, 0
	v_mov_b32_e32 v18, 0
	;; [unrolled: 1-line block ×4, first 2 shown]
	s_waitcnt vmcnt(0) lgkmcnt(0)
	v_cmp_ne_u16_sdwa s4, v6, v9 src0_sel:BYTE_0 src1_sel:DWORD
	s_and_saveexec_b32 s9, s4
	s_cbranch_execz .LBB255_2015
; %bb.2008:                             ;   in Loop: Header=BB255_1055 Depth=1
	v_bfrev_b32_e32 v18, 1
	v_mov_b32_e32 v19, 0
	v_cmp_ne_u16_sdwa s4, v6, v97 src0_sel:BYTE_0 src1_sel:DWORD
	s_and_saveexec_b32 s11, s4
	s_cbranch_execz .LBB255_2014
; %bb.2009:                             ;   in Loop: Header=BB255_1055 Depth=1
	v_mov_b32_e32 v18, 0x7f800001
	v_and_b32_e32 v10, 0x7f, v6
	v_mov_b32_e32 v19, 0
	s_mov_b32 s12, exec_lo
	v_cmpx_ne_u32_e32 0x7f, v10
	s_cbranch_execz .LBB255_2013
; %bb.2010:                             ;   in Loop: Header=BB255_1055 Depth=1
	v_and_b32_e32 v8, 7, v6
	v_lshrrev_b32_e32 v7, 3, v10
	s_mov_b32 s13, exec_lo
	v_cmpx_gt_u32_e32 8, v10
; %bb.2011:                             ;   in Loop: Header=BB255_1055 Depth=1
	v_ffbh_u32_e32 v7, v8
	v_min_u32_e32 v7, 32, v7
	v_subrev_nc_u32_e32 v10, 28, v7
	v_sub_nc_u32_e32 v7, 29, v7
	v_lshlrev_b64 v[18:19], v10, v[8:9]
	v_and_b32_e32 v8, 7, v18
; %bb.2012:                             ;   in Loop: Header=BB255_1055 Depth=1
	s_or_b32 exec_lo, exec_lo, s13
	v_lshlrev_b32_e32 v10, 24, v6
	v_lshlrev_b32_e32 v8, 20, v8
	v_lshl_add_u32 v7, v7, 23, 0x3c000000
	v_and_b32_e32 v10, 0x80000000, v10
	v_or3_b32 v8, v8, v10, v7
	v_mov_b32_e32 v19, v9
	v_mov_b32_e32 v18, v8
.LBB255_2013:                           ;   in Loop: Header=BB255_1055 Depth=1
	s_or_b32 exec_lo, exec_lo, s12
.LBB255_2014:                           ;   in Loop: Header=BB255_1055 Depth=1
	s_or_b32 exec_lo, exec_lo, s11
.LBB255_2015:                           ;   in Loop: Header=BB255_1055 Depth=1
	s_or_b32 exec_lo, exec_lo, s9
	v_cmp_ne_u16_sdwa s4, v6, v9 src0_sel:BYTE_1 src1_sel:DWORD
	s_and_saveexec_b32 s9, s4
	s_cbranch_execz .LBB255_2023
; %bb.2016:                             ;   in Loop: Header=BB255_1055 Depth=1
	v_mov_b32_e32 v10, v9
	v_mov_b32_e32 v21, v11
	v_cmp_ne_u16_sdwa s4, v6, v97 src0_sel:BYTE_1 src1_sel:DWORD
	v_mov_b32_e32 v20, v10
	s_and_saveexec_b32 s11, s4
	s_cbranch_execz .LBB255_2022
; %bb.2017:                             ;   in Loop: Header=BB255_1055 Depth=1
	v_mov_b32_e32 v7, 0xffff
	v_mov_b32_e32 v12, v9
	;; [unrolled: 1-line block ×3, first 2 shown]
	s_mov_b32 s12, exec_lo
	v_and_b32_sdwa v7, v7, v6 dst_sel:DWORD dst_unused:UNUSED_PAD src0_sel:DWORD src1_sel:BYTE_1
	v_mov_b32_e32 v20, v12
	v_and_b32_e32 v10, 0x7f, v7
	v_cmpx_ne_u32_e32 0x7f, v10
	s_cbranch_execz .LBB255_2021
; %bb.2018:                             ;   in Loop: Header=BB255_1055 Depth=1
	v_and_b32_e32 v8, 7, v7
	v_lshrrev_b32_e32 v7, 3, v10
	s_mov_b32 s13, exec_lo
	v_cmpx_gt_u32_e32 8, v10
; %bb.2019:                             ;   in Loop: Header=BB255_1055 Depth=1
	v_ffbh_u32_e32 v7, v8
	v_min_u32_e32 v7, 32, v7
	v_subrev_nc_u32_e32 v10, 28, v7
	v_sub_nc_u32_e32 v7, 29, v7
	v_lshlrev_b64 v[20:21], v10, v[8:9]
	v_and_b32_e32 v8, 7, v20
; %bb.2020:                             ;   in Loop: Header=BB255_1055 Depth=1
	s_or_b32 exec_lo, exec_lo, s13
	v_lshlrev_b32_e32 v10, 16, v6
	v_lshlrev_b32_e32 v8, 20, v8
	v_lshl_add_u32 v7, v7, 23, 0x3c000000
	v_mov_b32_e32 v20, v9
	v_and_b32_e32 v10, 0x80000000, v10
	v_or3_b32 v21, v8, v10, v7
.LBB255_2021:                           ;   in Loop: Header=BB255_1055 Depth=1
	s_or_b32 exec_lo, exec_lo, s12
.LBB255_2022:                           ;   in Loop: Header=BB255_1055 Depth=1
	s_or_b32 exec_lo, exec_lo, s11
.LBB255_2023:                           ;   in Loop: Header=BB255_1055 Depth=1
	s_or_b32 exec_lo, exec_lo, s9
	v_mov_b32_e32 v22, 0
	v_mov_b32_e32 v24, 0
	v_and_b32_sdwa v7, v6, v99 dst_sel:DWORD dst_unused:UNUSED_PAD src0_sel:WORD_1 src1_sel:DWORD
	v_mov_b32_e32 v23, 0
	v_mov_b32_e32 v25, 0
	s_mov_b32 s9, exec_lo
	v_cmpx_ne_u16_e32 0, v7
	s_cbranch_execz .LBB255_2031
; %bb.2024:                             ;   in Loop: Header=BB255_1055 Depth=1
	v_bfrev_b32_e32 v24, 1
	v_mov_b32_e32 v25, 0
	s_mov_b32 s11, exec_lo
	v_cmpx_ne_u16_e32 0x80, v7
	s_cbranch_execz .LBB255_2030
; %bb.2025:                             ;   in Loop: Header=BB255_1055 Depth=1
	v_mov_b32_e32 v24, 0x7f800001
	v_bfe_u32 v10, v6, 16, 7
	v_mov_b32_e32 v25, 0
	s_mov_b32 s12, exec_lo
	v_cmpx_ne_u32_e32 0x7f, v10
	s_cbranch_execz .LBB255_2029
; %bb.2026:                             ;   in Loop: Header=BB255_1055 Depth=1
	v_mov_b32_e32 v7, 7
	s_mov_b32 s13, exec_lo
	v_and_b32_sdwa v8, v6, v7 dst_sel:DWORD dst_unused:UNUSED_PAD src0_sel:WORD_1 src1_sel:DWORD
	v_lshrrev_b32_e32 v7, 3, v10
	v_cmpx_gt_u32_e32 8, v10
; %bb.2027:                             ;   in Loop: Header=BB255_1055 Depth=1
	v_ffbh_u32_e32 v7, v8
	v_min_u32_e32 v7, 32, v7
	v_subrev_nc_u32_e32 v10, 28, v7
	v_sub_nc_u32_e32 v7, 29, v7
	v_lshlrev_b64 v[24:25], v10, v[8:9]
	v_and_b32_e32 v8, 7, v24
; %bb.2028:                             ;   in Loop: Header=BB255_1055 Depth=1
	s_or_b32 exec_lo, exec_lo, s13
	v_mov_b32_e32 v10, 24
	v_lshlrev_b32_e32 v8, 20, v8
	v_lshl_add_u32 v7, v7, 23, 0x3c000000
	v_lshlrev_b32_sdwa v10, v10, v6 dst_sel:DWORD dst_unused:UNUSED_PAD src0_sel:DWORD src1_sel:WORD_1
	v_and_b32_e32 v10, 0x80000000, v10
	v_or3_b32 v8, v8, v10, v7
	v_mov_b32_e32 v25, v9
	v_mov_b32_e32 v24, v8
.LBB255_2029:                           ;   in Loop: Header=BB255_1055 Depth=1
	s_or_b32 exec_lo, exec_lo, s12
.LBB255_2030:                           ;   in Loop: Header=BB255_1055 Depth=1
	s_or_b32 exec_lo, exec_lo, s11
.LBB255_2031:                           ;   in Loop: Header=BB255_1055 Depth=1
	s_or_b32 exec_lo, exec_lo, s9
	s_mov_b32 s9, exec_lo
	v_cmpx_lt_u32_e32 0xffffff, v6
	s_cbranch_execz .LBB255_2039
; %bb.2032:                             ;   in Loop: Header=BB255_1055 Depth=1
	v_mov_b32_e32 v10, v9
	v_mov_b32_e32 v23, v11
	v_cmp_ne_u32_sdwa s4, v6, v97 src0_sel:BYTE_3 src1_sel:DWORD
	v_mov_b32_e32 v22, v10
	s_and_saveexec_b32 s11, s4
	s_cbranch_execz .LBB255_2038
; %bb.2033:                             ;   in Loop: Header=BB255_1055 Depth=1
	v_mov_b32_e32 v12, v9
	v_mov_b32_e32 v23, v13
	v_bfe_u32 v10, v6, 24, 7
	s_mov_b32 s12, exec_lo
	v_mov_b32_e32 v22, v12
	v_cmpx_ne_u32_e32 0x7f, v10
	s_cbranch_execz .LBB255_2037
; %bb.2034:                             ;   in Loop: Header=BB255_1055 Depth=1
	v_mov_b32_e32 v7, 7
	s_mov_b32 s13, exec_lo
	v_and_b32_sdwa v8, v6, v7 dst_sel:DWORD dst_unused:UNUSED_PAD src0_sel:BYTE_3 src1_sel:DWORD
	v_lshrrev_b32_e32 v7, 3, v10
	v_cmpx_gt_u32_e32 8, v10
; %bb.2035:                             ;   in Loop: Header=BB255_1055 Depth=1
	v_ffbh_u32_e32 v7, v8
	v_min_u32_e32 v7, 32, v7
	v_subrev_nc_u32_e32 v10, 28, v7
	v_sub_nc_u32_e32 v7, 29, v7
	v_lshlrev_b64 v[22:23], v10, v[8:9]
	v_and_b32_e32 v8, 7, v22
; %bb.2036:                             ;   in Loop: Header=BB255_1055 Depth=1
	s_or_b32 exec_lo, exec_lo, s13
	v_mov_b32_e32 v10, 24
	v_lshlrev_b32_e32 v8, 20, v8
	v_lshl_add_u32 v7, v7, 23, 0x3c000000
	v_mov_b32_e32 v22, v9
	v_lshlrev_b32_sdwa v6, v10, v6 dst_sel:DWORD dst_unused:UNUSED_PAD src0_sel:DWORD src1_sel:BYTE_3
	v_and_b32_e32 v6, 0x80000000, v6
	v_or3_b32 v23, v8, v6, v7
.LBB255_2037:                           ;   in Loop: Header=BB255_1055 Depth=1
	s_or_b32 exec_lo, exec_lo, s12
.LBB255_2038:                           ;   in Loop: Header=BB255_1055 Depth=1
	s_or_b32 exec_lo, exec_lo, s11
.LBB255_2039:                           ;   in Loop: Header=BB255_1055 Depth=1
	s_or_b32 exec_lo, exec_lo, s9
	v_or_b32_e32 v6, v21, v19
	v_or_b32_e32 v7, v20, v18
	;; [unrolled: 1-line block ×4, first 2 shown]
	v_mul_f32_e32 v102, v114, v6
	v_mul_f32_e32 v6, v87, v7
	;; [unrolled: 1-line block ×4, first 2 shown]
	s_and_saveexec_b32 s9, vcc_lo
	s_cbranch_execz .LBB255_2041
; %bb.2040:                             ;   in Loop: Header=BB255_1055 Depth=1
	v_cmp_lt_i32_e64 s4, v43, v82
	v_cndmask_b32_e64 v6, 0, v6, s4
	v_cmp_lt_i32_e64 s4, v45, v82
	v_cndmask_b32_e64 v102, 0, v102, s4
	;; [unrolled: 2-line block ×4, first 2 shown]
.LBB255_2041:                           ;   in Loop: Header=BB255_1055 Depth=1
	s_or_b32 exec_lo, exec_lo, s9
	flat_load_dword v7, v[4:5] offset:1664
	v_mov_b32_e32 v20, 0
	v_mov_b32_e32 v18, 0
	;; [unrolled: 1-line block ×4, first 2 shown]
	s_waitcnt vmcnt(0) lgkmcnt(0)
	v_cmp_ne_u16_sdwa s4, v7, v9 src0_sel:BYTE_0 src1_sel:DWORD
	s_and_saveexec_b32 s9, s4
	s_cbranch_execz .LBB255_2049
; %bb.2042:                             ;   in Loop: Header=BB255_1055 Depth=1
	v_bfrev_b32_e32 v18, 1
	v_mov_b32_e32 v19, 0
	v_cmp_ne_u16_sdwa s4, v7, v97 src0_sel:BYTE_0 src1_sel:DWORD
	s_and_saveexec_b32 s11, s4
	s_cbranch_execz .LBB255_2048
; %bb.2043:                             ;   in Loop: Header=BB255_1055 Depth=1
	v_mov_b32_e32 v18, 0x7f800001
	v_and_b32_e32 v12, 0x7f, v7
	v_mov_b32_e32 v19, 0
	s_mov_b32 s12, exec_lo
	v_cmpx_ne_u32_e32 0x7f, v12
	s_cbranch_execz .LBB255_2047
; %bb.2044:                             ;   in Loop: Header=BB255_1055 Depth=1
	v_and_b32_e32 v8, 7, v7
	v_lshrrev_b32_e32 v10, 3, v12
	s_mov_b32 s13, exec_lo
	v_cmpx_gt_u32_e32 8, v12
; %bb.2045:                             ;   in Loop: Header=BB255_1055 Depth=1
	v_ffbh_u32_e32 v10, v8
	v_min_u32_e32 v10, 32, v10
	v_subrev_nc_u32_e32 v12, 28, v10
	v_sub_nc_u32_e32 v10, 29, v10
	v_lshlrev_b64 v[18:19], v12, v[8:9]
	v_and_b32_e32 v8, 7, v18
; %bb.2046:                             ;   in Loop: Header=BB255_1055 Depth=1
	s_or_b32 exec_lo, exec_lo, s13
	v_lshlrev_b32_e32 v12, 24, v7
	v_lshlrev_b32_e32 v8, 20, v8
	v_lshl_add_u32 v10, v10, 23, 0x3c000000
	v_and_b32_e32 v12, 0x80000000, v12
	v_or3_b32 v8, v8, v12, v10
	v_mov_b32_e32 v19, v9
	v_mov_b32_e32 v18, v8
.LBB255_2047:                           ;   in Loop: Header=BB255_1055 Depth=1
	s_or_b32 exec_lo, exec_lo, s12
.LBB255_2048:                           ;   in Loop: Header=BB255_1055 Depth=1
	s_or_b32 exec_lo, exec_lo, s11
.LBB255_2049:                           ;   in Loop: Header=BB255_1055 Depth=1
	s_or_b32 exec_lo, exec_lo, s9
	v_cmp_ne_u16_sdwa s4, v7, v9 src0_sel:BYTE_1 src1_sel:DWORD
	s_and_saveexec_b32 s9, s4
	s_cbranch_execz .LBB255_2057
; %bb.2050:                             ;   in Loop: Header=BB255_1055 Depth=1
	v_mov_b32_e32 v10, v9
	v_mov_b32_e32 v21, v11
	v_cmp_ne_u16_sdwa s4, v7, v97 src0_sel:BYTE_1 src1_sel:DWORD
	v_mov_b32_e32 v20, v10
	s_and_saveexec_b32 s11, s4
	s_cbranch_execz .LBB255_2056
; %bb.2051:                             ;   in Loop: Header=BB255_1055 Depth=1
	v_mov_b32_e32 v8, 0xffff
	v_mov_b32_e32 v12, v9
	;; [unrolled: 1-line block ×3, first 2 shown]
	s_mov_b32 s12, exec_lo
	v_and_b32_sdwa v8, v8, v7 dst_sel:DWORD dst_unused:UNUSED_PAD src0_sel:DWORD src1_sel:BYTE_1
	v_mov_b32_e32 v20, v12
	v_and_b32_e32 v22, 0x7f, v8
	v_cmpx_ne_u32_e32 0x7f, v22
	s_cbranch_execz .LBB255_2055
; %bb.2052:                             ;   in Loop: Header=BB255_1055 Depth=1
	v_and_b32_e32 v8, 7, v8
	v_lshrrev_b32_e32 v10, 3, v22
	s_mov_b32 s13, exec_lo
	v_cmpx_gt_u32_e32 8, v22
; %bb.2053:                             ;   in Loop: Header=BB255_1055 Depth=1
	v_ffbh_u32_e32 v10, v8
	v_min_u32_e32 v10, 32, v10
	v_subrev_nc_u32_e32 v12, 28, v10
	v_sub_nc_u32_e32 v10, 29, v10
	v_lshlrev_b64 v[20:21], v12, v[8:9]
	v_and_b32_e32 v8, 7, v20
; %bb.2054:                             ;   in Loop: Header=BB255_1055 Depth=1
	s_or_b32 exec_lo, exec_lo, s13
	v_lshlrev_b32_e32 v12, 16, v7
	v_lshlrev_b32_e32 v8, 20, v8
	v_lshl_add_u32 v10, v10, 23, 0x3c000000
	v_mov_b32_e32 v20, v9
	v_and_b32_e32 v12, 0x80000000, v12
	v_or3_b32 v21, v8, v12, v10
.LBB255_2055:                           ;   in Loop: Header=BB255_1055 Depth=1
	s_or_b32 exec_lo, exec_lo, s12
.LBB255_2056:                           ;   in Loop: Header=BB255_1055 Depth=1
	s_or_b32 exec_lo, exec_lo, s11
.LBB255_2057:                           ;   in Loop: Header=BB255_1055 Depth=1
	s_or_b32 exec_lo, exec_lo, s9
	v_mov_b32_e32 v22, 0
	v_mov_b32_e32 v24, 0
	v_and_b32_sdwa v8, v7, v99 dst_sel:DWORD dst_unused:UNUSED_PAD src0_sel:WORD_1 src1_sel:DWORD
	v_mov_b32_e32 v23, 0
	v_mov_b32_e32 v25, 0
	s_mov_b32 s9, exec_lo
	v_cmpx_ne_u16_e32 0, v8
	s_cbranch_execz .LBB255_2065
; %bb.2058:                             ;   in Loop: Header=BB255_1055 Depth=1
	v_bfrev_b32_e32 v24, 1
	v_mov_b32_e32 v25, 0
	s_mov_b32 s11, exec_lo
	v_cmpx_ne_u16_e32 0x80, v8
	s_cbranch_execz .LBB255_2064
; %bb.2059:                             ;   in Loop: Header=BB255_1055 Depth=1
	v_mov_b32_e32 v24, 0x7f800001
	v_bfe_u32 v12, v7, 16, 7
	v_mov_b32_e32 v25, 0
	s_mov_b32 s12, exec_lo
	v_cmpx_ne_u32_e32 0x7f, v12
	s_cbranch_execz .LBB255_2063
; %bb.2060:                             ;   in Loop: Header=BB255_1055 Depth=1
	v_mov_b32_e32 v8, 7
	v_lshrrev_b32_e32 v10, 3, v12
	s_mov_b32 s13, exec_lo
	v_and_b32_sdwa v8, v7, v8 dst_sel:DWORD dst_unused:UNUSED_PAD src0_sel:WORD_1 src1_sel:DWORD
	v_cmpx_gt_u32_e32 8, v12
; %bb.2061:                             ;   in Loop: Header=BB255_1055 Depth=1
	v_ffbh_u32_e32 v10, v8
	v_min_u32_e32 v10, 32, v10
	v_subrev_nc_u32_e32 v12, 28, v10
	v_sub_nc_u32_e32 v10, 29, v10
	v_lshlrev_b64 v[24:25], v12, v[8:9]
	v_and_b32_e32 v8, 7, v24
; %bb.2062:                             ;   in Loop: Header=BB255_1055 Depth=1
	s_or_b32 exec_lo, exec_lo, s13
	v_mov_b32_e32 v12, 24
	v_lshlrev_b32_e32 v8, 20, v8
	v_lshl_add_u32 v10, v10, 23, 0x3c000000
	v_lshlrev_b32_sdwa v12, v12, v7 dst_sel:DWORD dst_unused:UNUSED_PAD src0_sel:DWORD src1_sel:WORD_1
	v_and_b32_e32 v12, 0x80000000, v12
	v_or3_b32 v8, v8, v12, v10
	v_mov_b32_e32 v25, v9
	v_mov_b32_e32 v24, v8
.LBB255_2063:                           ;   in Loop: Header=BB255_1055 Depth=1
	s_or_b32 exec_lo, exec_lo, s12
.LBB255_2064:                           ;   in Loop: Header=BB255_1055 Depth=1
	s_or_b32 exec_lo, exec_lo, s11
.LBB255_2065:                           ;   in Loop: Header=BB255_1055 Depth=1
	s_or_b32 exec_lo, exec_lo, s9
	s_mov_b32 s9, exec_lo
	v_cmpx_lt_u32_e32 0xffffff, v7
	s_cbranch_execz .LBB255_2073
; %bb.2066:                             ;   in Loop: Header=BB255_1055 Depth=1
	v_mov_b32_e32 v10, v9
	v_mov_b32_e32 v23, v11
	v_cmp_ne_u32_sdwa s4, v7, v97 src0_sel:BYTE_3 src1_sel:DWORD
	v_mov_b32_e32 v22, v10
	s_and_saveexec_b32 s11, s4
	s_cbranch_execz .LBB255_2072
; %bb.2067:                             ;   in Loop: Header=BB255_1055 Depth=1
	v_mov_b32_e32 v12, v9
	v_mov_b32_e32 v23, v13
	v_bfe_u32 v26, v7, 24, 7
	s_mov_b32 s12, exec_lo
	v_mov_b32_e32 v22, v12
	v_cmpx_ne_u32_e32 0x7f, v26
	s_cbranch_execz .LBB255_2071
; %bb.2068:                             ;   in Loop: Header=BB255_1055 Depth=1
	v_mov_b32_e32 v8, 7
	v_lshrrev_b32_e32 v10, 3, v26
	s_mov_b32 s13, exec_lo
	v_and_b32_sdwa v8, v7, v8 dst_sel:DWORD dst_unused:UNUSED_PAD src0_sel:BYTE_3 src1_sel:DWORD
	v_cmpx_gt_u32_e32 8, v26
; %bb.2069:                             ;   in Loop: Header=BB255_1055 Depth=1
	v_ffbh_u32_e32 v10, v8
	v_min_u32_e32 v10, 32, v10
	v_subrev_nc_u32_e32 v12, 28, v10
	v_sub_nc_u32_e32 v10, 29, v10
	v_lshlrev_b64 v[22:23], v12, v[8:9]
	v_and_b32_e32 v8, 7, v22
; %bb.2070:                             ;   in Loop: Header=BB255_1055 Depth=1
	s_or_b32 exec_lo, exec_lo, s13
	v_mov_b32_e32 v12, 24
	v_lshlrev_b32_e32 v8, 20, v8
	v_lshl_add_u32 v10, v10, 23, 0x3c000000
	v_mov_b32_e32 v22, v9
	v_lshlrev_b32_sdwa v7, v12, v7 dst_sel:DWORD dst_unused:UNUSED_PAD src0_sel:DWORD src1_sel:BYTE_3
	v_and_b32_e32 v7, 0x80000000, v7
	v_or3_b32 v23, v8, v7, v10
.LBB255_2071:                           ;   in Loop: Header=BB255_1055 Depth=1
	s_or_b32 exec_lo, exec_lo, s12
.LBB255_2072:                           ;   in Loop: Header=BB255_1055 Depth=1
	s_or_b32 exec_lo, exec_lo, s11
.LBB255_2073:                           ;   in Loop: Header=BB255_1055 Depth=1
	s_or_b32 exec_lo, exec_lo, s9
	v_or_b32_e32 v7, v21, v19
	v_or_b32_e32 v8, v20, v18
	;; [unrolled: 1-line block ×4, first 2 shown]
	v_mul_f32_e32 v7, v114, v7
	v_mul_f32_e32 v103, v87, v8
	;; [unrolled: 1-line block ×4, first 2 shown]
	s_and_saveexec_b32 s9, vcc_lo
	s_cbranch_execz .LBB255_2075
; %bb.2074:                             ;   in Loop: Header=BB255_1055 Depth=1
	v_cmp_lt_i32_e64 s4, v43, v82
	v_cndmask_b32_e64 v103, 0, v103, s4
	v_cmp_lt_i32_e64 s4, v45, v82
	v_cndmask_b32_e64 v7, 0, v7, s4
	;; [unrolled: 2-line block ×4, first 2 shown]
.LBB255_2075:                           ;   in Loop: Header=BB255_1055 Depth=1
	s_or_b32 exec_lo, exec_lo, s9
	flat_load_dword v26, v[4:5] offset:1792
	v_mov_b32_e32 v18, 0
	v_mov_b32_e32 v4, 0
	;; [unrolled: 1-line block ×4, first 2 shown]
	s_waitcnt vmcnt(0) lgkmcnt(0)
	v_cmp_ne_u16_sdwa s4, v26, v9 src0_sel:BYTE_0 src1_sel:DWORD
	s_and_saveexec_b32 s9, s4
	s_cbranch_execz .LBB255_2083
; %bb.2076:                             ;   in Loop: Header=BB255_1055 Depth=1
	v_bfrev_b32_e32 v4, 1
	v_mov_b32_e32 v5, 0
	v_cmp_ne_u16_sdwa s4, v26, v97 src0_sel:BYTE_0 src1_sel:DWORD
	s_and_saveexec_b32 s11, s4
	s_cbranch_execz .LBB255_2082
; %bb.2077:                             ;   in Loop: Header=BB255_1055 Depth=1
	v_mov_b32_e32 v4, 0x7f800001
	v_and_b32_e32 v10, 0x7f, v26
	v_mov_b32_e32 v5, 0
	s_mov_b32 s12, exec_lo
	v_cmpx_ne_u32_e32 0x7f, v10
	s_cbranch_execz .LBB255_2081
; %bb.2078:                             ;   in Loop: Header=BB255_1055 Depth=1
	v_and_b32_e32 v8, 7, v26
	v_lshrrev_b32_e32 v4, 3, v10
	s_mov_b32 s13, exec_lo
	v_cmpx_gt_u32_e32 8, v10
; %bb.2079:                             ;   in Loop: Header=BB255_1055 Depth=1
	v_ffbh_u32_e32 v4, v8
	v_min_u32_e32 v4, 32, v4
	v_subrev_nc_u32_e32 v5, 28, v4
	v_sub_nc_u32_e32 v4, 29, v4
	v_lshlrev_b64 v[20:21], v5, v[8:9]
	v_and_b32_e32 v8, 7, v20
; %bb.2080:                             ;   in Loop: Header=BB255_1055 Depth=1
	s_or_b32 exec_lo, exec_lo, s13
	v_lshlrev_b32_e32 v5, 24, v26
	v_lshlrev_b32_e32 v8, 20, v8
	v_lshl_add_u32 v4, v4, 23, 0x3c000000
	v_and_b32_e32 v5, 0x80000000, v5
	v_or3_b32 v8, v8, v5, v4
	v_mov_b32_e32 v4, v8
	v_mov_b32_e32 v5, v9
.LBB255_2081:                           ;   in Loop: Header=BB255_1055 Depth=1
	s_or_b32 exec_lo, exec_lo, s12
.LBB255_2082:                           ;   in Loop: Header=BB255_1055 Depth=1
	s_or_b32 exec_lo, exec_lo, s11
.LBB255_2083:                           ;   in Loop: Header=BB255_1055 Depth=1
	s_or_b32 exec_lo, exec_lo, s9
	v_cmp_ne_u16_sdwa s4, v26, v9 src0_sel:BYTE_1 src1_sel:DWORD
	s_and_saveexec_b32 s9, s4
	s_cbranch_execz .LBB255_2091
; %bb.2084:                             ;   in Loop: Header=BB255_1055 Depth=1
	v_mov_b32_e32 v10, v9
	v_mov_b32_e32 v19, v11
	v_cmp_ne_u16_sdwa s4, v26, v97 src0_sel:BYTE_1 src1_sel:DWORD
	v_mov_b32_e32 v18, v10
	s_and_saveexec_b32 s11, s4
	s_cbranch_execz .LBB255_2090
; %bb.2085:                             ;   in Loop: Header=BB255_1055 Depth=1
	v_mov_b32_e32 v8, 0xffff
	v_mov_b32_e32 v12, v9
	;; [unrolled: 1-line block ×3, first 2 shown]
	s_mov_b32 s12, exec_lo
	v_and_b32_sdwa v8, v8, v26 dst_sel:DWORD dst_unused:UNUSED_PAD src0_sel:DWORD src1_sel:BYTE_1
	v_mov_b32_e32 v18, v12
	v_and_b32_e32 v20, 0x7f, v8
	v_cmpx_ne_u32_e32 0x7f, v20
	s_cbranch_execz .LBB255_2089
; %bb.2086:                             ;   in Loop: Header=BB255_1055 Depth=1
	v_and_b32_e32 v8, 7, v8
	v_lshrrev_b32_e32 v10, 3, v20
	s_mov_b32 s13, exec_lo
	v_cmpx_gt_u32_e32 8, v20
; %bb.2087:                             ;   in Loop: Header=BB255_1055 Depth=1
	v_ffbh_u32_e32 v10, v8
	v_min_u32_e32 v10, 32, v10
	v_subrev_nc_u32_e32 v12, 28, v10
	v_sub_nc_u32_e32 v10, 29, v10
	v_lshlrev_b64 v[18:19], v12, v[8:9]
	v_and_b32_e32 v8, 7, v18
; %bb.2088:                             ;   in Loop: Header=BB255_1055 Depth=1
	s_or_b32 exec_lo, exec_lo, s13
	v_lshlrev_b32_e32 v12, 16, v26
	v_lshlrev_b32_e32 v8, 20, v8
	v_lshl_add_u32 v10, v10, 23, 0x3c000000
	v_mov_b32_e32 v18, v9
	v_and_b32_e32 v12, 0x80000000, v12
	v_or3_b32 v19, v8, v12, v10
.LBB255_2089:                           ;   in Loop: Header=BB255_1055 Depth=1
	s_or_b32 exec_lo, exec_lo, s12
.LBB255_2090:                           ;   in Loop: Header=BB255_1055 Depth=1
	s_or_b32 exec_lo, exec_lo, s11
.LBB255_2091:                           ;   in Loop: Header=BB255_1055 Depth=1
	s_or_b32 exec_lo, exec_lo, s9
	v_mov_b32_e32 v20, 0
	v_mov_b32_e32 v22, 0
	v_and_b32_sdwa v8, v26, v99 dst_sel:DWORD dst_unused:UNUSED_PAD src0_sel:WORD_1 src1_sel:DWORD
	v_mov_b32_e32 v21, 0
	v_mov_b32_e32 v23, 0
	s_mov_b32 s9, exec_lo
	v_cmpx_ne_u16_e32 0, v8
	s_cbranch_execz .LBB255_2099
; %bb.2092:                             ;   in Loop: Header=BB255_1055 Depth=1
	v_bfrev_b32_e32 v22, 1
	v_mov_b32_e32 v23, 0
	s_mov_b32 s11, exec_lo
	v_cmpx_ne_u16_e32 0x80, v8
	s_cbranch_execz .LBB255_2098
; %bb.2093:                             ;   in Loop: Header=BB255_1055 Depth=1
	v_mov_b32_e32 v22, 0x7f800001
	v_bfe_u32 v12, v26, 16, 7
	v_mov_b32_e32 v23, 0
	s_mov_b32 s12, exec_lo
	v_cmpx_ne_u32_e32 0x7f, v12
	s_cbranch_execz .LBB255_2097
; %bb.2094:                             ;   in Loop: Header=BB255_1055 Depth=1
	v_mov_b32_e32 v8, 7
	v_lshrrev_b32_e32 v10, 3, v12
	s_mov_b32 s13, exec_lo
	v_and_b32_sdwa v8, v26, v8 dst_sel:DWORD dst_unused:UNUSED_PAD src0_sel:WORD_1 src1_sel:DWORD
	v_cmpx_gt_u32_e32 8, v12
; %bb.2095:                             ;   in Loop: Header=BB255_1055 Depth=1
	v_ffbh_u32_e32 v10, v8
	v_min_u32_e32 v10, 32, v10
	v_subrev_nc_u32_e32 v12, 28, v10
	v_sub_nc_u32_e32 v10, 29, v10
	v_lshlrev_b64 v[22:23], v12, v[8:9]
	v_and_b32_e32 v8, 7, v22
; %bb.2096:                             ;   in Loop: Header=BB255_1055 Depth=1
	s_or_b32 exec_lo, exec_lo, s13
	v_mov_b32_e32 v12, 24
	v_lshlrev_b32_e32 v8, 20, v8
	v_lshl_add_u32 v10, v10, 23, 0x3c000000
	v_lshlrev_b32_sdwa v12, v12, v26 dst_sel:DWORD dst_unused:UNUSED_PAD src0_sel:DWORD src1_sel:WORD_1
	v_and_b32_e32 v12, 0x80000000, v12
	v_or3_b32 v8, v8, v12, v10
	v_mov_b32_e32 v23, v9
	v_mov_b32_e32 v22, v8
.LBB255_2097:                           ;   in Loop: Header=BB255_1055 Depth=1
	s_or_b32 exec_lo, exec_lo, s12
.LBB255_2098:                           ;   in Loop: Header=BB255_1055 Depth=1
	s_or_b32 exec_lo, exec_lo, s11
.LBB255_2099:                           ;   in Loop: Header=BB255_1055 Depth=1
	s_or_b32 exec_lo, exec_lo, s9
	s_mov_b32 s9, exec_lo
	v_cmpx_lt_u32_e32 0xffffff, v26
	s_cbranch_execz .LBB255_2107
; %bb.2100:                             ;   in Loop: Header=BB255_1055 Depth=1
	v_mov_b32_e32 v10, v9
	v_mov_b32_e32 v21, v11
	v_cmp_ne_u32_sdwa s4, v26, v97 src0_sel:BYTE_3 src1_sel:DWORD
	v_mov_b32_e32 v20, v10
	s_and_saveexec_b32 s11, s4
	s_cbranch_execz .LBB255_2106
; %bb.2101:                             ;   in Loop: Header=BB255_1055 Depth=1
	v_mov_b32_e32 v12, v9
	v_mov_b32_e32 v21, v13
	v_bfe_u32 v28, v26, 24, 7
	s_mov_b32 s12, exec_lo
	v_mov_b32_e32 v20, v12
	v_cmpx_ne_u32_e32 0x7f, v28
	s_cbranch_execz .LBB255_2105
; %bb.2102:                             ;   in Loop: Header=BB255_1055 Depth=1
	v_mov_b32_e32 v8, 7
	v_lshrrev_b32_e32 v10, 3, v28
	s_mov_b32 s13, exec_lo
	v_and_b32_sdwa v8, v26, v8 dst_sel:DWORD dst_unused:UNUSED_PAD src0_sel:BYTE_3 src1_sel:DWORD
	v_cmpx_gt_u32_e32 8, v28
; %bb.2103:                             ;   in Loop: Header=BB255_1055 Depth=1
	v_ffbh_u32_e32 v10, v8
	v_min_u32_e32 v10, 32, v10
	v_subrev_nc_u32_e32 v12, 28, v10
	v_sub_nc_u32_e32 v10, 29, v10
	v_lshlrev_b64 v[20:21], v12, v[8:9]
	v_and_b32_e32 v8, 7, v20
; %bb.2104:                             ;   in Loop: Header=BB255_1055 Depth=1
	s_or_b32 exec_lo, exec_lo, s13
	v_mov_b32_e32 v12, 24
	v_lshlrev_b32_e32 v8, 20, v8
	v_lshl_add_u32 v10, v10, 23, 0x3c000000
	v_mov_b32_e32 v20, v9
	v_lshlrev_b32_sdwa v12, v12, v26 dst_sel:DWORD dst_unused:UNUSED_PAD src0_sel:DWORD src1_sel:BYTE_3
	v_and_b32_e32 v12, 0x80000000, v12
	v_or3_b32 v21, v8, v12, v10
.LBB255_2105:                           ;   in Loop: Header=BB255_1055 Depth=1
	s_or_b32 exec_lo, exec_lo, s12
.LBB255_2106:                           ;   in Loop: Header=BB255_1055 Depth=1
	s_or_b32 exec_lo, exec_lo, s11
.LBB255_2107:                           ;   in Loop: Header=BB255_1055 Depth=1
	s_or_b32 exec_lo, exec_lo, s9
	v_or_b32_e32 v5, v19, v5
	v_or_b32_e32 v4, v18, v4
	;; [unrolled: 1-line block ×4, first 2 shown]
	v_mul_f32_e32 v26, v114, v5
	v_mul_f32_e32 v29, v87, v4
	;; [unrolled: 1-line block ×4, first 2 shown]
	s_and_saveexec_b32 s9, vcc_lo
	s_cbranch_execz .LBB255_2109
; %bb.2108:                             ;   in Loop: Header=BB255_1055 Depth=1
	v_cmp_lt_i32_e64 s4, v43, v82
	v_cndmask_b32_e64 v29, 0, v29, s4
	v_cmp_lt_i32_e64 s4, v45, v82
	v_cndmask_b32_e64 v26, 0, v26, s4
	;; [unrolled: 2-line block ×4, first 2 shown]
.LBB255_2109:                           ;   in Loop: Header=BB255_1055 Depth=1
	s_or_b32 exec_lo, exec_lo, s9
	buffer_load_dword v4, off, s[0:3], s32 offset:704 ; 4-byte Folded Reload
	s_waitcnt vmcnt(0)
	v_add_co_u32 v4, s4, v16, v4
	v_add_co_ci_u32_e64 v5, null, 0, v17, s4
	v_mov_b32_e32 v16, 0
	v_mov_b32_e32 v17, 0
	flat_load_dword v28, v[4:5]
	v_mov_b32_e32 v4, 0
	v_mov_b32_e32 v5, 0
	s_waitcnt vmcnt(0) lgkmcnt(0)
	v_cmp_ne_u16_sdwa s4, v28, v9 src0_sel:BYTE_0 src1_sel:DWORD
	s_and_saveexec_b32 s9, s4
	s_cbranch_execz .LBB255_2117
; %bb.2110:                             ;   in Loop: Header=BB255_1055 Depth=1
	v_bfrev_b32_e32 v4, 1
	v_mov_b32_e32 v5, 0
	v_cmp_ne_u16_sdwa s4, v28, v97 src0_sel:BYTE_0 src1_sel:DWORD
	s_and_saveexec_b32 s11, s4
	s_cbranch_execz .LBB255_2116
; %bb.2111:                             ;   in Loop: Header=BB255_1055 Depth=1
	v_mov_b32_e32 v4, 0x7f800001
	v_and_b32_e32 v10, 0x7f, v28
	v_mov_b32_e32 v5, 0
	s_mov_b32 s12, exec_lo
	v_cmpx_ne_u32_e32 0x7f, v10
	s_cbranch_execz .LBB255_2115
; %bb.2112:                             ;   in Loop: Header=BB255_1055 Depth=1
	v_and_b32_e32 v8, 7, v28
	v_lshrrev_b32_e32 v4, 3, v10
	s_mov_b32 s13, exec_lo
	v_cmpx_gt_u32_e32 8, v10
; %bb.2113:                             ;   in Loop: Header=BB255_1055 Depth=1
	v_ffbh_u32_e32 v4, v8
	v_min_u32_e32 v4, 32, v4
	v_subrev_nc_u32_e32 v5, 28, v4
	v_sub_nc_u32_e32 v4, 29, v4
	v_lshlrev_b64 v[18:19], v5, v[8:9]
	v_and_b32_e32 v8, 7, v18
; %bb.2114:                             ;   in Loop: Header=BB255_1055 Depth=1
	s_or_b32 exec_lo, exec_lo, s13
	v_lshlrev_b32_e32 v5, 24, v28
	v_lshlrev_b32_e32 v8, 20, v8
	v_lshl_add_u32 v4, v4, 23, 0x3c000000
	v_and_b32_e32 v5, 0x80000000, v5
	v_or3_b32 v8, v8, v5, v4
	v_mov_b32_e32 v4, v8
	v_mov_b32_e32 v5, v9
.LBB255_2115:                           ;   in Loop: Header=BB255_1055 Depth=1
	s_or_b32 exec_lo, exec_lo, s12
.LBB255_2116:                           ;   in Loop: Header=BB255_1055 Depth=1
	s_or_b32 exec_lo, exec_lo, s11
.LBB255_2117:                           ;   in Loop: Header=BB255_1055 Depth=1
	s_or_b32 exec_lo, exec_lo, s9
	v_cmp_ne_u16_sdwa s4, v28, v9 src0_sel:BYTE_1 src1_sel:DWORD
	s_and_saveexec_b32 s9, s4
	s_cbranch_execz .LBB255_2125
; %bb.2118:                             ;   in Loop: Header=BB255_1055 Depth=1
	v_mov_b32_e32 v10, v9
	v_mov_b32_e32 v17, v11
	v_cmp_ne_u16_sdwa s4, v28, v97 src0_sel:BYTE_1 src1_sel:DWORD
	v_mov_b32_e32 v16, v10
	s_and_saveexec_b32 s11, s4
	s_cbranch_execz .LBB255_2124
; %bb.2119:                             ;   in Loop: Header=BB255_1055 Depth=1
	v_mov_b32_e32 v8, 0xffff
	v_mov_b32_e32 v12, v9
	;; [unrolled: 1-line block ×3, first 2 shown]
	s_mov_b32 s12, exec_lo
	v_and_b32_sdwa v8, v8, v28 dst_sel:DWORD dst_unused:UNUSED_PAD src0_sel:DWORD src1_sel:BYTE_1
	v_mov_b32_e32 v16, v12
	v_and_b32_e32 v18, 0x7f, v8
	v_cmpx_ne_u32_e32 0x7f, v18
	s_cbranch_execz .LBB255_2123
; %bb.2120:                             ;   in Loop: Header=BB255_1055 Depth=1
	v_and_b32_e32 v8, 7, v8
	v_lshrrev_b32_e32 v10, 3, v18
	s_mov_b32 s13, exec_lo
	v_cmpx_gt_u32_e32 8, v18
; %bb.2121:                             ;   in Loop: Header=BB255_1055 Depth=1
	v_ffbh_u32_e32 v10, v8
	v_min_u32_e32 v10, 32, v10
	v_subrev_nc_u32_e32 v12, 28, v10
	v_sub_nc_u32_e32 v10, 29, v10
	v_lshlrev_b64 v[16:17], v12, v[8:9]
	v_and_b32_e32 v8, 7, v16
; %bb.2122:                             ;   in Loop: Header=BB255_1055 Depth=1
	s_or_b32 exec_lo, exec_lo, s13
	v_lshlrev_b32_e32 v12, 16, v28
	v_lshlrev_b32_e32 v8, 20, v8
	v_lshl_add_u32 v10, v10, 23, 0x3c000000
	v_mov_b32_e32 v16, v9
	v_and_b32_e32 v12, 0x80000000, v12
	v_or3_b32 v17, v8, v12, v10
.LBB255_2123:                           ;   in Loop: Header=BB255_1055 Depth=1
	s_or_b32 exec_lo, exec_lo, s12
.LBB255_2124:                           ;   in Loop: Header=BB255_1055 Depth=1
	s_or_b32 exec_lo, exec_lo, s11
.LBB255_2125:                           ;   in Loop: Header=BB255_1055 Depth=1
	s_or_b32 exec_lo, exec_lo, s9
	v_mov_b32_e32 v18, 0
	v_mov_b32_e32 v20, 0
	v_and_b32_sdwa v8, v28, v99 dst_sel:DWORD dst_unused:UNUSED_PAD src0_sel:WORD_1 src1_sel:DWORD
	v_mov_b32_e32 v19, 0
	v_mov_b32_e32 v21, 0
	s_mov_b32 s9, exec_lo
	v_cmpx_ne_u16_e32 0, v8
	s_cbranch_execz .LBB255_2133
; %bb.2126:                             ;   in Loop: Header=BB255_1055 Depth=1
	v_bfrev_b32_e32 v20, 1
	v_mov_b32_e32 v21, 0
	s_mov_b32 s11, exec_lo
	v_cmpx_ne_u16_e32 0x80, v8
	s_cbranch_execz .LBB255_2132
; %bb.2127:                             ;   in Loop: Header=BB255_1055 Depth=1
	v_mov_b32_e32 v20, 0x7f800001
	v_bfe_u32 v12, v28, 16, 7
	v_mov_b32_e32 v21, 0
	s_mov_b32 s12, exec_lo
	v_cmpx_ne_u32_e32 0x7f, v12
	s_cbranch_execz .LBB255_2131
; %bb.2128:                             ;   in Loop: Header=BB255_1055 Depth=1
	v_mov_b32_e32 v8, 7
	v_lshrrev_b32_e32 v10, 3, v12
	s_mov_b32 s13, exec_lo
	v_and_b32_sdwa v8, v28, v8 dst_sel:DWORD dst_unused:UNUSED_PAD src0_sel:WORD_1 src1_sel:DWORD
	v_cmpx_gt_u32_e32 8, v12
; %bb.2129:                             ;   in Loop: Header=BB255_1055 Depth=1
	v_ffbh_u32_e32 v10, v8
	v_min_u32_e32 v10, 32, v10
	v_subrev_nc_u32_e32 v12, 28, v10
	v_sub_nc_u32_e32 v10, 29, v10
	v_lshlrev_b64 v[20:21], v12, v[8:9]
	v_and_b32_e32 v8, 7, v20
; %bb.2130:                             ;   in Loop: Header=BB255_1055 Depth=1
	s_or_b32 exec_lo, exec_lo, s13
	v_mov_b32_e32 v12, 24
	v_lshlrev_b32_e32 v8, 20, v8
	v_lshl_add_u32 v10, v10, 23, 0x3c000000
	v_lshlrev_b32_sdwa v12, v12, v28 dst_sel:DWORD dst_unused:UNUSED_PAD src0_sel:DWORD src1_sel:WORD_1
	v_and_b32_e32 v12, 0x80000000, v12
	v_or3_b32 v8, v8, v12, v10
	v_mov_b32_e32 v21, v9
	v_mov_b32_e32 v20, v8
.LBB255_2131:                           ;   in Loop: Header=BB255_1055 Depth=1
	s_or_b32 exec_lo, exec_lo, s12
.LBB255_2132:                           ;   in Loop: Header=BB255_1055 Depth=1
	s_or_b32 exec_lo, exec_lo, s11
.LBB255_2133:                           ;   in Loop: Header=BB255_1055 Depth=1
	s_or_b32 exec_lo, exec_lo, s9
	s_mov_b32 s9, exec_lo
	v_cmpx_lt_u32_e32 0xffffff, v28
	s_cbranch_execz .LBB255_2141
; %bb.2134:                             ;   in Loop: Header=BB255_1055 Depth=1
	v_mov_b32_e32 v10, v9
	v_mov_b32_e32 v19, v11
	v_cmp_ne_u32_sdwa s4, v28, v97 src0_sel:BYTE_3 src1_sel:DWORD
	v_mov_b32_e32 v18, v10
	s_and_saveexec_b32 s11, s4
	s_cbranch_execz .LBB255_2140
; %bb.2135:                             ;   in Loop: Header=BB255_1055 Depth=1
	v_mov_b32_e32 v12, v9
	v_mov_b32_e32 v19, v13
	;; [unrolled: 1-line block ×3, first 2 shown]
	v_bfe_u32 v115, v28, 24, 7
	s_mov_b32 s12, exec_lo
	v_mov_b32_e32 v18, v12
	v_cmpx_ne_u32_e32 0x7f, v115
	s_cbranch_execz .LBB255_2139
; %bb.2136:                             ;   in Loop: Header=BB255_1055 Depth=1
	v_mov_b32_e32 v8, 7
	v_lshrrev_b32_e32 v10, 3, v115
	s_mov_b32 s13, exec_lo
	v_and_b32_sdwa v8, v28, v8 dst_sel:DWORD dst_unused:UNUSED_PAD src0_sel:BYTE_3 src1_sel:DWORD
	v_cmpx_gt_u32_e32 8, v115
; %bb.2137:                             ;   in Loop: Header=BB255_1055 Depth=1
	v_ffbh_u32_e32 v10, v8
	v_min_u32_e32 v10, 32, v10
	v_subrev_nc_u32_e32 v12, 28, v10
	v_sub_nc_u32_e32 v10, 29, v10
	v_lshlrev_b64 v[18:19], v12, v[8:9]
	v_and_b32_e32 v8, 7, v18
; %bb.2138:                             ;   in Loop: Header=BB255_1055 Depth=1
	s_or_b32 exec_lo, exec_lo, s13
	v_mov_b32_e32 v12, 24
	v_lshlrev_b32_e32 v8, 20, v8
	v_lshl_add_u32 v10, v10, 23, 0x3c000000
	v_mov_b32_e32 v18, v9
	v_lshlrev_b32_sdwa v12, v12, v28 dst_sel:DWORD dst_unused:UNUSED_PAD src0_sel:DWORD src1_sel:BYTE_3
	v_and_b32_e32 v12, 0x80000000, v12
	v_or3_b32 v19, v8, v12, v10
.LBB255_2139:                           ;   in Loop: Header=BB255_1055 Depth=1
	s_or_b32 exec_lo, exec_lo, s12
	v_mov_b32_e32 v115, v101
.LBB255_2140:                           ;   in Loop: Header=BB255_1055 Depth=1
	s_or_b32 exec_lo, exec_lo, s11
.LBB255_2141:                           ;   in Loop: Header=BB255_1055 Depth=1
	s_or_b32 exec_lo, exec_lo, s9
	v_or_b32_e32 v5, v17, v5
	v_or_b32_e32 v4, v16, v4
	;; [unrolled: 1-line block ×4, first 2 shown]
	v_mul_f32_e32 v10, v114, v5
	v_mul_f32_e32 v8, v87, v4
	;; [unrolled: 1-line block ×4, first 2 shown]
	s_and_saveexec_b32 s4, vcc_lo
	s_cbranch_execz .LBB255_1054
; %bb.2142:                             ;   in Loop: Header=BB255_1055 Depth=1
	v_cmp_lt_i32_e32 vcc_lo, v43, v82
	v_cndmask_b32_e32 v8, 0, v8, vcc_lo
	v_cmp_lt_i32_e32 vcc_lo, v45, v82
	v_cndmask_b32_e32 v10, 0, v10, vcc_lo
	;; [unrolled: 2-line block ×4, first 2 shown]
	s_branch .LBB255_1054
.LBB255_2143:
	s_or_b32 exec_lo, exec_lo, s8
	s_clause 0x3
	buffer_load_dword v100, off, s[0:3], s32 offset:712
	buffer_load_dword v99, off, s[0:3], s32 offset:720
	;; [unrolled: 1-line block ×4, first 2 shown]
	v_mov_b32_e32 v0, s16
	v_mov_b32_e32 v1, s17
.LBB255_2144:
	s_or_b32 exec_lo, exec_lo, s7
	v_lshlrev_b64 v[0:1], 2, v[0:1]
	s_getpc_b64 s[8:9]
	s_add_u32 s8, s8, llvm.amdgcn.dynlds.offset.table@rel32@lo+4
	s_addc_u32 s9, s9, llvm.amdgcn.dynlds.offset.table@rel32@hi+12
	s_waitcnt vmcnt(0) lgkmcnt(0)
	s_waitcnt_vscnt null, 0x0
	s_barrier
	buffer_gl0_inv
	s_clause 0x2
	buffer_load_dword v96, off, s[0:3], s32 offset:1416
	buffer_load_dword v97, off, s[0:3], s32 offset:1424
	;; [unrolled: 1-line block ×3, first 2 shown]
	v_add_co_u32 v0, vcc_lo, s8, v0
	v_add_co_ci_u32_e64 v1, null, s9, v1, vcc_lo
	ds_bpermute_b32 v2, v85, v117
	ds_bpermute_b32 v3, v85, v83
	;; [unrolled: 1-line block ×3, first 2 shown]
	global_load_dword v87, v[0:1], off
	ds_bpermute_b32 v0, v85, v86
	ds_bpermute_b32 v1, v85, v84
	;; [unrolled: 1-line block ×29, first 2 shown]
	s_waitcnt lgkmcnt(28)
	v_add_f32_e32 v0, v86, v0
	s_waitcnt lgkmcnt(27)
	v_add_f32_e32 v1, v84, v1
	v_add_f32_e32 v2, v117, v2
	;; [unrolled: 1-line block ×4, first 2 shown]
	s_waitcnt lgkmcnt(26)
	v_add_f32_e32 v5, v81, v5
	s_waitcnt lgkmcnt(25)
	v_add_f32_e32 v6, v80, v6
	;; [unrolled: 2-line block ×27, first 2 shown]
	ds_bpermute_b32 v32, v99, v0
	ds_bpermute_b32 v33, v99, v1
	;; [unrolled: 1-line block ×32, first 2 shown]
	s_waitcnt lgkmcnt(31)
	v_add_f32_e32 v0, v0, v32
	s_waitcnt lgkmcnt(30)
	v_add_f32_e32 v1, v1, v33
	;; [unrolled: 2-line block ×32, first 2 shown]
	ds_bpermute_b32 v32, v100, v0
	ds_bpermute_b32 v33, v100, v1
	;; [unrolled: 1-line block ×32, first 2 shown]
	s_waitcnt lgkmcnt(31)
	v_add_f32_e32 v0, v0, v32
	s_waitcnt lgkmcnt(30)
	v_add_f32_e32 v1, v1, v33
	;; [unrolled: 2-line block ×32, first 2 shown]
	s_mov_b32 s4, exec_lo
	s_waitcnt vmcnt(3)
	v_lshrrev_b32_e32 v96, 3, v96
	s_waitcnt vmcnt(2)
	v_lshlrev_b32_e32 v97, 9, v97
	s_waitcnt vmcnt(1)
	v_and_b32_e32 v98, 0x3c7, v98
	s_waitcnt vmcnt(0)
	v_lshl_add_u32 v33, v96, 2, v87
	v_cmpx_eq_u32_e32 64, v98
	s_cbranch_execz .LBB255_2146
; %bb.2145:
	v_add_nc_u32_e32 v32, v33, v97
	v_add_nc_u32_e32 v34, 0xfffffc00, v32
	;; [unrolled: 1-line block ×8, first 2 shown]
	ds_write_b32 v34, v0
	ds_write_b32 v35, v1
	;; [unrolled: 1-line block ×7, first 2 shown]
	v_add_nc_u32_e32 v34, 0xfffffc70, v32
	v_add_nc_u32_e32 v35, 0xfffffc80, v32
	v_add_nc_u32_e32 v36, 0xfffffc90, v32
	v_add_nc_u32_e32 v37, 0xfffffca0, v32
	v_add_nc_u32_e32 v38, 0xfffffcb0, v32
	ds_write_b32 v34, v7
	ds_write_b32 v35, v8
	ds_write_b32 v36, v9
	ds_write_b32 v37, v10
	ds_write_b32 v38, v11
	v_add_nc_u32_e32 v34, 0xfffffcc0, v32
	v_add_nc_u32_e32 v35, 0xfffffcd0, v32
	v_add_nc_u32_e32 v36, 0xfffffce0, v32
	v_add_nc_u32_e32 v37, 0xfffffcf0, v32
	v_add_nc_u32_e32 v38, 0xfffffd00, v32
	ds_write_b32 v34, v12
	ds_write_b32 v35, v13
	ds_write_b32 v36, v14
	ds_write_b32 v37, v15
	ds_write_b32 v38, v16
	;; [unrolled: 10-line block ×5, first 2 shown]
.LBB255_2146:
	s_or_b32 exec_lo, exec_lo, s4
	buffer_load_dword v35, off, s[0:3], s32 offset:1420 ; 4-byte Folded Reload
	v_lshlrev_b32_e32 v32, 2, v96
	s_mov_b32 s7, exec_lo
	v_cmp_eq_u32_e32 vcc_lo, 0, v101
	s_waitcnt vmcnt(0) lgkmcnt(0)
	s_barrier
	v_add3_u32 v32, v87, v97, v32
	buffer_gl0_inv
	v_cmpx_gt_u32_e32 64, v35
	s_cbranch_execz .LBB255_2181
; %bb.2147:
	s_and_saveexec_b32 s4, vcc_lo
	s_cbranch_execnz .LBB255_2221
; %bb.2148:
	s_or_b32 exec_lo, exec_lo, s4
	s_and_saveexec_b32 s4, vcc_lo
	s_cbranch_execnz .LBB255_2222
.LBB255_2149:
	s_or_b32 exec_lo, exec_lo, s4
	s_and_saveexec_b32 s4, vcc_lo
	s_cbranch_execnz .LBB255_2223
.LBB255_2150:
	s_or_b32 exec_lo, exec_lo, s4
	s_and_saveexec_b32 s4, vcc_lo
	s_cbranch_execnz .LBB255_2224
.LBB255_2151:
	s_or_b32 exec_lo, exec_lo, s4
	s_and_saveexec_b32 s4, vcc_lo
	s_cbranch_execnz .LBB255_2225
.LBB255_2152:
	s_or_b32 exec_lo, exec_lo, s4
	s_and_saveexec_b32 s4, vcc_lo
	s_cbranch_execnz .LBB255_2226
.LBB255_2153:
	s_or_b32 exec_lo, exec_lo, s4
	s_and_saveexec_b32 s4, vcc_lo
	s_cbranch_execnz .LBB255_2227
.LBB255_2154:
	s_or_b32 exec_lo, exec_lo, s4
	s_and_saveexec_b32 s4, vcc_lo
	s_cbranch_execnz .LBB255_2228
.LBB255_2155:
	s_or_b32 exec_lo, exec_lo, s4
	s_and_saveexec_b32 s4, vcc_lo
	s_cbranch_execnz .LBB255_2229
.LBB255_2156:
	s_or_b32 exec_lo, exec_lo, s4
	s_and_saveexec_b32 s4, vcc_lo
	s_cbranch_execnz .LBB255_2230
.LBB255_2157:
	s_or_b32 exec_lo, exec_lo, s4
	s_and_saveexec_b32 s4, vcc_lo
	s_cbranch_execnz .LBB255_2231
.LBB255_2158:
	s_or_b32 exec_lo, exec_lo, s4
	s_and_saveexec_b32 s4, vcc_lo
	s_cbranch_execnz .LBB255_2232
.LBB255_2159:
	s_or_b32 exec_lo, exec_lo, s4
	s_and_saveexec_b32 s4, vcc_lo
	s_cbranch_execnz .LBB255_2233
.LBB255_2160:
	s_or_b32 exec_lo, exec_lo, s4
	s_and_saveexec_b32 s4, vcc_lo
	s_cbranch_execnz .LBB255_2234
.LBB255_2161:
	s_or_b32 exec_lo, exec_lo, s4
	s_and_saveexec_b32 s4, vcc_lo
	s_cbranch_execnz .LBB255_2235
.LBB255_2162:
	s_or_b32 exec_lo, exec_lo, s4
	s_and_saveexec_b32 s4, vcc_lo
	s_cbranch_execnz .LBB255_2236
.LBB255_2163:
	s_or_b32 exec_lo, exec_lo, s4
	s_and_saveexec_b32 s4, vcc_lo
	s_cbranch_execnz .LBB255_2237
.LBB255_2164:
	s_or_b32 exec_lo, exec_lo, s4
	s_and_saveexec_b32 s4, vcc_lo
	s_cbranch_execnz .LBB255_2238
.LBB255_2165:
	s_or_b32 exec_lo, exec_lo, s4
	s_and_saveexec_b32 s4, vcc_lo
	s_cbranch_execnz .LBB255_2239
.LBB255_2166:
	s_or_b32 exec_lo, exec_lo, s4
	s_and_saveexec_b32 s4, vcc_lo
	s_cbranch_execnz .LBB255_2240
.LBB255_2167:
	s_or_b32 exec_lo, exec_lo, s4
	s_and_saveexec_b32 s4, vcc_lo
	s_cbranch_execnz .LBB255_2241
.LBB255_2168:
	s_or_b32 exec_lo, exec_lo, s4
	s_and_saveexec_b32 s4, vcc_lo
	s_cbranch_execnz .LBB255_2242
.LBB255_2169:
	s_or_b32 exec_lo, exec_lo, s4
	s_and_saveexec_b32 s4, vcc_lo
	s_cbranch_execnz .LBB255_2243
.LBB255_2170:
	s_or_b32 exec_lo, exec_lo, s4
	s_and_saveexec_b32 s4, vcc_lo
	s_cbranch_execnz .LBB255_2244
.LBB255_2171:
	s_or_b32 exec_lo, exec_lo, s4
	s_and_saveexec_b32 s4, vcc_lo
	s_cbranch_execnz .LBB255_2245
.LBB255_2172:
	s_or_b32 exec_lo, exec_lo, s4
	s_and_saveexec_b32 s4, vcc_lo
	s_cbranch_execnz .LBB255_2246
.LBB255_2173:
	s_or_b32 exec_lo, exec_lo, s4
	s_and_saveexec_b32 s4, vcc_lo
	s_cbranch_execnz .LBB255_2247
.LBB255_2174:
	s_or_b32 exec_lo, exec_lo, s4
	s_and_saveexec_b32 s4, vcc_lo
	s_cbranch_execnz .LBB255_2248
.LBB255_2175:
	s_or_b32 exec_lo, exec_lo, s4
	s_and_saveexec_b32 s4, vcc_lo
	s_cbranch_execnz .LBB255_2249
.LBB255_2176:
	s_or_b32 exec_lo, exec_lo, s4
	s_and_saveexec_b32 s4, vcc_lo
	s_cbranch_execnz .LBB255_2250
.LBB255_2177:
	s_or_b32 exec_lo, exec_lo, s4
	s_and_saveexec_b32 s4, vcc_lo
	s_cbranch_execnz .LBB255_2251
.LBB255_2178:
	s_or_b32 exec_lo, exec_lo, s4
	s_and_saveexec_b32 s4, vcc_lo
	s_cbranch_execz .LBB255_2180
.LBB255_2179:
	ds_read_b32 v34, v32 offset:496
	s_waitcnt lgkmcnt(0)
	v_add_f32_e32 v31, v34, v31
.LBB255_2180:
	s_or_b32 exec_lo, exec_lo, s4
.LBB255_2181:
	s_or_b32 exec_lo, exec_lo, s7
	v_and_b32_e32 v34, 0x3e7, v35
	s_mov_b32 s7, exec_lo
	s_barrier
	buffer_gl0_inv
	v_cmpx_eq_u32_e32 32, v34
	s_cbranch_execz .LBB255_2183
; %bb.2182:
	ds_write2_b32 v33, v0, v1 offset1:4
	ds_write2_b32 v33, v2, v3 offset0:8 offset1:12
	ds_write2_b32 v33, v4, v5 offset0:16 offset1:20
	ds_write2_b32 v33, v6, v7 offset0:24 offset1:28
	ds_write2_b32 v33, v8, v9 offset0:32 offset1:36
	ds_write2_b32 v33, v10, v11 offset0:40 offset1:44
	ds_write2_b32 v33, v12, v13 offset0:48 offset1:52
	ds_write2_b32 v33, v14, v15 offset0:56 offset1:60
	ds_write2_b32 v33, v16, v17 offset0:64 offset1:68
	ds_write2_b32 v33, v18, v19 offset0:72 offset1:76
	ds_write2_b32 v33, v20, v21 offset0:80 offset1:84
	ds_write2_b32 v33, v22, v23 offset0:88 offset1:92
	ds_write2_b32 v33, v24, v25 offset0:96 offset1:100
	ds_write2_b32 v33, v26, v27 offset0:104 offset1:108
	ds_write2_b32 v33, v28, v29 offset0:112 offset1:116
	ds_write2_b32 v33, v30, v31 offset0:120 offset1:124
.LBB255_2183:
	s_or_b32 exec_lo, exec_lo, s7
	s_mov_b32 s7, exec_lo
	s_waitcnt lgkmcnt(0)
	s_barrier
	buffer_gl0_inv
	v_cmpx_gt_u32_e32 32, v35
	s_cbranch_execz .LBB255_2218
; %bb.2184:
	s_and_saveexec_b32 s4, vcc_lo
	s_cbranch_execnz .LBB255_2252
; %bb.2185:
	s_or_b32 exec_lo, exec_lo, s4
	s_and_saveexec_b32 s4, vcc_lo
	s_cbranch_execnz .LBB255_2253
.LBB255_2186:
	s_or_b32 exec_lo, exec_lo, s4
	s_and_saveexec_b32 s4, vcc_lo
	s_cbranch_execnz .LBB255_2254
.LBB255_2187:
	s_or_b32 exec_lo, exec_lo, s4
	s_and_saveexec_b32 s4, vcc_lo
	s_cbranch_execnz .LBB255_2255
.LBB255_2188:
	s_or_b32 exec_lo, exec_lo, s4
	s_and_saveexec_b32 s4, vcc_lo
	s_cbranch_execnz .LBB255_2256
.LBB255_2189:
	s_or_b32 exec_lo, exec_lo, s4
	s_and_saveexec_b32 s4, vcc_lo
	s_cbranch_execnz .LBB255_2257
.LBB255_2190:
	s_or_b32 exec_lo, exec_lo, s4
	s_and_saveexec_b32 s4, vcc_lo
	s_cbranch_execnz .LBB255_2258
.LBB255_2191:
	s_or_b32 exec_lo, exec_lo, s4
	s_and_saveexec_b32 s4, vcc_lo
	s_cbranch_execnz .LBB255_2259
.LBB255_2192:
	s_or_b32 exec_lo, exec_lo, s4
	s_and_saveexec_b32 s4, vcc_lo
	s_cbranch_execnz .LBB255_2260
.LBB255_2193:
	s_or_b32 exec_lo, exec_lo, s4
	s_and_saveexec_b32 s4, vcc_lo
	s_cbranch_execnz .LBB255_2261
.LBB255_2194:
	s_or_b32 exec_lo, exec_lo, s4
	s_and_saveexec_b32 s4, vcc_lo
	s_cbranch_execnz .LBB255_2262
.LBB255_2195:
	s_or_b32 exec_lo, exec_lo, s4
	s_and_saveexec_b32 s4, vcc_lo
	s_cbranch_execnz .LBB255_2263
.LBB255_2196:
	s_or_b32 exec_lo, exec_lo, s4
	s_and_saveexec_b32 s4, vcc_lo
	s_cbranch_execnz .LBB255_2264
.LBB255_2197:
	s_or_b32 exec_lo, exec_lo, s4
	s_and_saveexec_b32 s4, vcc_lo
	s_cbranch_execnz .LBB255_2265
.LBB255_2198:
	s_or_b32 exec_lo, exec_lo, s4
	s_and_saveexec_b32 s4, vcc_lo
	s_cbranch_execnz .LBB255_2266
.LBB255_2199:
	s_or_b32 exec_lo, exec_lo, s4
	s_and_saveexec_b32 s4, vcc_lo
	s_cbranch_execnz .LBB255_2267
.LBB255_2200:
	s_or_b32 exec_lo, exec_lo, s4
	s_and_saveexec_b32 s4, vcc_lo
	s_cbranch_execnz .LBB255_2268
.LBB255_2201:
	s_or_b32 exec_lo, exec_lo, s4
	s_and_saveexec_b32 s4, vcc_lo
	s_cbranch_execnz .LBB255_2269
.LBB255_2202:
	s_or_b32 exec_lo, exec_lo, s4
	s_and_saveexec_b32 s4, vcc_lo
	s_cbranch_execnz .LBB255_2270
.LBB255_2203:
	s_or_b32 exec_lo, exec_lo, s4
	s_and_saveexec_b32 s4, vcc_lo
	s_cbranch_execnz .LBB255_2271
.LBB255_2204:
	s_or_b32 exec_lo, exec_lo, s4
	s_and_saveexec_b32 s4, vcc_lo
	s_cbranch_execnz .LBB255_2272
.LBB255_2205:
	s_or_b32 exec_lo, exec_lo, s4
	s_and_saveexec_b32 s4, vcc_lo
	s_cbranch_execnz .LBB255_2273
.LBB255_2206:
	s_or_b32 exec_lo, exec_lo, s4
	s_and_saveexec_b32 s4, vcc_lo
	s_cbranch_execnz .LBB255_2274
.LBB255_2207:
	s_or_b32 exec_lo, exec_lo, s4
	s_and_saveexec_b32 s4, vcc_lo
	s_cbranch_execnz .LBB255_2275
.LBB255_2208:
	s_or_b32 exec_lo, exec_lo, s4
	s_and_saveexec_b32 s4, vcc_lo
	s_cbranch_execnz .LBB255_2276
.LBB255_2209:
	s_or_b32 exec_lo, exec_lo, s4
	s_and_saveexec_b32 s4, vcc_lo
	s_cbranch_execnz .LBB255_2277
.LBB255_2210:
	s_or_b32 exec_lo, exec_lo, s4
	s_and_saveexec_b32 s4, vcc_lo
	s_cbranch_execnz .LBB255_2278
.LBB255_2211:
	s_or_b32 exec_lo, exec_lo, s4
	s_and_saveexec_b32 s4, vcc_lo
	s_cbranch_execnz .LBB255_2279
.LBB255_2212:
	s_or_b32 exec_lo, exec_lo, s4
	s_and_saveexec_b32 s4, vcc_lo
	s_cbranch_execnz .LBB255_2280
.LBB255_2213:
	s_or_b32 exec_lo, exec_lo, s4
	s_and_saveexec_b32 s4, vcc_lo
	s_cbranch_execnz .LBB255_2281
.LBB255_2214:
	s_or_b32 exec_lo, exec_lo, s4
	s_and_saveexec_b32 s4, vcc_lo
	s_cbranch_execnz .LBB255_2282
.LBB255_2215:
	s_or_b32 exec_lo, exec_lo, s4
	s_and_saveexec_b32 s4, vcc_lo
	s_cbranch_execz .LBB255_2217
.LBB255_2216:
	ds_read_b32 v32, v32 offset:496
	s_waitcnt lgkmcnt(0)
	v_add_f32_e32 v31, v32, v31
.LBB255_2217:
	s_or_b32 exec_lo, exec_lo, s4
.LBB255_2218:
	s_or_b32 exec_lo, exec_lo, s7
	v_cmp_eq_u32_e32 vcc_lo, 0, v34
	s_barrier
	buffer_gl0_inv
	s_and_b32 exec_lo, exec_lo, vcc_lo
	s_cbranch_execz .LBB255_2220
; %bb.2219:
	s_clause 0x1
	buffer_load_dword v32, off, s[0:3], s32 offset:1440
	buffer_load_dword v33, off, s[0:3], s32 offset:1436
	s_lshl_b32 s6, s6, 7
	s_mul_i32 s4, s10, s5
	s_ashr_i32 s7, s6, 31
	s_ashr_i32 s5, s4, 31
	s_lshl_b64 s[6:7], s[6:7], 2
	s_lshl_b64 s[4:5], s[4:5], 2
	v_lshrrev_b32_e32 v34, 1, v35
	s_waitcnt vmcnt(1)
	v_add_co_u32 v32, vcc_lo, v32, s6
	s_waitcnt vmcnt(0)
	v_add_co_ci_u32_e64 v33, null, s7, v33, vcc_lo
	s_lshl_b32 s6, s14, 7
	v_add_co_u32 v32, vcc_lo, v32, s4
	s_ashr_i32 s7, s6, 31
	v_add_co_ci_u32_e64 v33, null, s5, v33, vcc_lo
	s_lshl_b64 s[4:5], s[6:7], 2
	v_add_co_u32 v32, vcc_lo, v32, s4
	v_add_co_ci_u32_e64 v33, null, s5, v33, vcc_lo
	v_add_co_u32 v32, vcc_lo, v32, v34
	v_add_co_ci_u32_e64 v33, null, 0, v33, vcc_lo
	flat_store_dword v[32:33], v0
	flat_store_dword v[32:33], v1 offset:16
	flat_store_dword v[32:33], v2 offset:32
	;; [unrolled: 1-line block ×31, first 2 shown]
.LBB255_2220:
	s_or_b32 exec_lo, exec_lo, s19
	s_clause 0x2f
	buffer_load_dword v127, off, s[0:3], s32
	buffer_load_dword v126, off, s[0:3], s32 offset:4
	buffer_load_dword v125, off, s[0:3], s32 offset:8
	;; [unrolled: 1-line block ×47, first 2 shown]
	s_waitcnt vmcnt(0) lgkmcnt(0)
	s_setpc_b64 s[30:31]
.LBB255_2221:
	ds_read_b32 v34, v32
	s_waitcnt lgkmcnt(0)
	v_add_f32_e32 v0, v34, v0
	s_or_b32 exec_lo, exec_lo, s4
	s_and_saveexec_b32 s4, vcc_lo
	s_cbranch_execz .LBB255_2149
.LBB255_2222:
	ds_read_b32 v34, v32 offset:16
	s_waitcnt lgkmcnt(0)
	v_add_f32_e32 v1, v34, v1
	s_or_b32 exec_lo, exec_lo, s4
	s_and_saveexec_b32 s4, vcc_lo
	s_cbranch_execz .LBB255_2150
.LBB255_2223:
	ds_read_b32 v34, v32 offset:32
	s_waitcnt lgkmcnt(0)
	v_add_f32_e32 v2, v34, v2
	s_or_b32 exec_lo, exec_lo, s4
	s_and_saveexec_b32 s4, vcc_lo
	s_cbranch_execz .LBB255_2151
.LBB255_2224:
	ds_read_b32 v34, v32 offset:48
	s_waitcnt lgkmcnt(0)
	v_add_f32_e32 v3, v34, v3
	s_or_b32 exec_lo, exec_lo, s4
	s_and_saveexec_b32 s4, vcc_lo
	s_cbranch_execz .LBB255_2152
.LBB255_2225:
	ds_read_b32 v34, v32 offset:64
	s_waitcnt lgkmcnt(0)
	v_add_f32_e32 v4, v34, v4
	s_or_b32 exec_lo, exec_lo, s4
	s_and_saveexec_b32 s4, vcc_lo
	s_cbranch_execz .LBB255_2153
.LBB255_2226:
	ds_read_b32 v34, v32 offset:80
	s_waitcnt lgkmcnt(0)
	v_add_f32_e32 v5, v34, v5
	s_or_b32 exec_lo, exec_lo, s4
	s_and_saveexec_b32 s4, vcc_lo
	s_cbranch_execz .LBB255_2154
.LBB255_2227:
	ds_read_b32 v34, v32 offset:96
	s_waitcnt lgkmcnt(0)
	v_add_f32_e32 v6, v34, v6
	s_or_b32 exec_lo, exec_lo, s4
	s_and_saveexec_b32 s4, vcc_lo
	s_cbranch_execz .LBB255_2155
.LBB255_2228:
	ds_read_b32 v34, v32 offset:112
	s_waitcnt lgkmcnt(0)
	v_add_f32_e32 v7, v34, v7
	s_or_b32 exec_lo, exec_lo, s4
	s_and_saveexec_b32 s4, vcc_lo
	s_cbranch_execz .LBB255_2156
.LBB255_2229:
	ds_read_b32 v34, v32 offset:128
	s_waitcnt lgkmcnt(0)
	v_add_f32_e32 v8, v34, v8
	s_or_b32 exec_lo, exec_lo, s4
	s_and_saveexec_b32 s4, vcc_lo
	s_cbranch_execz .LBB255_2157
.LBB255_2230:
	ds_read_b32 v34, v32 offset:144
	s_waitcnt lgkmcnt(0)
	v_add_f32_e32 v9, v34, v9
	s_or_b32 exec_lo, exec_lo, s4
	s_and_saveexec_b32 s4, vcc_lo
	s_cbranch_execz .LBB255_2158
.LBB255_2231:
	ds_read_b32 v34, v32 offset:160
	s_waitcnt lgkmcnt(0)
	v_add_f32_e32 v10, v34, v10
	s_or_b32 exec_lo, exec_lo, s4
	s_and_saveexec_b32 s4, vcc_lo
	s_cbranch_execz .LBB255_2159
.LBB255_2232:
	ds_read_b32 v34, v32 offset:176
	s_waitcnt lgkmcnt(0)
	v_add_f32_e32 v11, v34, v11
	s_or_b32 exec_lo, exec_lo, s4
	s_and_saveexec_b32 s4, vcc_lo
	s_cbranch_execz .LBB255_2160
.LBB255_2233:
	ds_read_b32 v34, v32 offset:192
	s_waitcnt lgkmcnt(0)
	v_add_f32_e32 v12, v34, v12
	s_or_b32 exec_lo, exec_lo, s4
	s_and_saveexec_b32 s4, vcc_lo
	s_cbranch_execz .LBB255_2161
.LBB255_2234:
	ds_read_b32 v34, v32 offset:208
	s_waitcnt lgkmcnt(0)
	v_add_f32_e32 v13, v34, v13
	s_or_b32 exec_lo, exec_lo, s4
	s_and_saveexec_b32 s4, vcc_lo
	s_cbranch_execz .LBB255_2162
.LBB255_2235:
	ds_read_b32 v34, v32 offset:224
	s_waitcnt lgkmcnt(0)
	v_add_f32_e32 v14, v34, v14
	s_or_b32 exec_lo, exec_lo, s4
	s_and_saveexec_b32 s4, vcc_lo
	s_cbranch_execz .LBB255_2163
.LBB255_2236:
	ds_read_b32 v34, v32 offset:240
	s_waitcnt lgkmcnt(0)
	v_add_f32_e32 v15, v34, v15
	s_or_b32 exec_lo, exec_lo, s4
	s_and_saveexec_b32 s4, vcc_lo
	s_cbranch_execz .LBB255_2164
.LBB255_2237:
	ds_read_b32 v34, v32 offset:256
	s_waitcnt lgkmcnt(0)
	v_add_f32_e32 v16, v34, v16
	s_or_b32 exec_lo, exec_lo, s4
	s_and_saveexec_b32 s4, vcc_lo
	s_cbranch_execz .LBB255_2165
.LBB255_2238:
	ds_read_b32 v34, v32 offset:272
	s_waitcnt lgkmcnt(0)
	v_add_f32_e32 v17, v34, v17
	s_or_b32 exec_lo, exec_lo, s4
	s_and_saveexec_b32 s4, vcc_lo
	s_cbranch_execz .LBB255_2166
.LBB255_2239:
	ds_read_b32 v34, v32 offset:288
	s_waitcnt lgkmcnt(0)
	v_add_f32_e32 v18, v34, v18
	s_or_b32 exec_lo, exec_lo, s4
	s_and_saveexec_b32 s4, vcc_lo
	s_cbranch_execz .LBB255_2167
.LBB255_2240:
	ds_read_b32 v34, v32 offset:304
	s_waitcnt lgkmcnt(0)
	v_add_f32_e32 v19, v34, v19
	s_or_b32 exec_lo, exec_lo, s4
	s_and_saveexec_b32 s4, vcc_lo
	s_cbranch_execz .LBB255_2168
.LBB255_2241:
	ds_read_b32 v34, v32 offset:320
	s_waitcnt lgkmcnt(0)
	v_add_f32_e32 v20, v34, v20
	s_or_b32 exec_lo, exec_lo, s4
	s_and_saveexec_b32 s4, vcc_lo
	s_cbranch_execz .LBB255_2169
.LBB255_2242:
	ds_read_b32 v34, v32 offset:336
	s_waitcnt lgkmcnt(0)
	v_add_f32_e32 v21, v34, v21
	s_or_b32 exec_lo, exec_lo, s4
	s_and_saveexec_b32 s4, vcc_lo
	s_cbranch_execz .LBB255_2170
.LBB255_2243:
	ds_read_b32 v34, v32 offset:352
	s_waitcnt lgkmcnt(0)
	v_add_f32_e32 v22, v34, v22
	s_or_b32 exec_lo, exec_lo, s4
	s_and_saveexec_b32 s4, vcc_lo
	s_cbranch_execz .LBB255_2171
.LBB255_2244:
	ds_read_b32 v34, v32 offset:368
	s_waitcnt lgkmcnt(0)
	v_add_f32_e32 v23, v34, v23
	s_or_b32 exec_lo, exec_lo, s4
	s_and_saveexec_b32 s4, vcc_lo
	s_cbranch_execz .LBB255_2172
.LBB255_2245:
	ds_read_b32 v34, v32 offset:384
	s_waitcnt lgkmcnt(0)
	v_add_f32_e32 v24, v34, v24
	s_or_b32 exec_lo, exec_lo, s4
	s_and_saveexec_b32 s4, vcc_lo
	s_cbranch_execz .LBB255_2173
.LBB255_2246:
	ds_read_b32 v34, v32 offset:400
	s_waitcnt lgkmcnt(0)
	v_add_f32_e32 v25, v34, v25
	s_or_b32 exec_lo, exec_lo, s4
	s_and_saveexec_b32 s4, vcc_lo
	s_cbranch_execz .LBB255_2174
.LBB255_2247:
	ds_read_b32 v34, v32 offset:416
	s_waitcnt lgkmcnt(0)
	v_add_f32_e32 v26, v34, v26
	s_or_b32 exec_lo, exec_lo, s4
	s_and_saveexec_b32 s4, vcc_lo
	s_cbranch_execz .LBB255_2175
.LBB255_2248:
	ds_read_b32 v34, v32 offset:432
	s_waitcnt lgkmcnt(0)
	v_add_f32_e32 v27, v34, v27
	s_or_b32 exec_lo, exec_lo, s4
	s_and_saveexec_b32 s4, vcc_lo
	s_cbranch_execz .LBB255_2176
.LBB255_2249:
	ds_read_b32 v34, v32 offset:448
	s_waitcnt lgkmcnt(0)
	v_add_f32_e32 v28, v34, v28
	s_or_b32 exec_lo, exec_lo, s4
	s_and_saveexec_b32 s4, vcc_lo
	s_cbranch_execz .LBB255_2177
.LBB255_2250:
	ds_read_b32 v34, v32 offset:464
	s_waitcnt lgkmcnt(0)
	v_add_f32_e32 v29, v34, v29
	s_or_b32 exec_lo, exec_lo, s4
	s_and_saveexec_b32 s4, vcc_lo
	s_cbranch_execz .LBB255_2178
.LBB255_2251:
	ds_read_b32 v34, v32 offset:480
	s_waitcnt lgkmcnt(0)
	v_add_f32_e32 v30, v34, v30
	s_or_b32 exec_lo, exec_lo, s4
	s_and_saveexec_b32 s4, vcc_lo
	s_cbranch_execnz .LBB255_2179
	s_branch .LBB255_2180
.LBB255_2252:
	ds_read_b32 v33, v32
	s_waitcnt lgkmcnt(0)
	v_add_f32_e32 v0, v33, v0
	s_or_b32 exec_lo, exec_lo, s4
	s_and_saveexec_b32 s4, vcc_lo
	s_cbranch_execz .LBB255_2186
.LBB255_2253:
	ds_read_b32 v33, v32 offset:16
	s_waitcnt lgkmcnt(0)
	v_add_f32_e32 v1, v33, v1
	s_or_b32 exec_lo, exec_lo, s4
	s_and_saveexec_b32 s4, vcc_lo
	s_cbranch_execz .LBB255_2187
.LBB255_2254:
	ds_read_b32 v33, v32 offset:32
	s_waitcnt lgkmcnt(0)
	v_add_f32_e32 v2, v33, v2
	s_or_b32 exec_lo, exec_lo, s4
	s_and_saveexec_b32 s4, vcc_lo
	s_cbranch_execz .LBB255_2188
.LBB255_2255:
	ds_read_b32 v33, v32 offset:48
	s_waitcnt lgkmcnt(0)
	v_add_f32_e32 v3, v33, v3
	s_or_b32 exec_lo, exec_lo, s4
	s_and_saveexec_b32 s4, vcc_lo
	s_cbranch_execz .LBB255_2189
.LBB255_2256:
	ds_read_b32 v33, v32 offset:64
	s_waitcnt lgkmcnt(0)
	v_add_f32_e32 v4, v33, v4
	s_or_b32 exec_lo, exec_lo, s4
	s_and_saveexec_b32 s4, vcc_lo
	s_cbranch_execz .LBB255_2190
.LBB255_2257:
	ds_read_b32 v33, v32 offset:80
	s_waitcnt lgkmcnt(0)
	v_add_f32_e32 v5, v33, v5
	s_or_b32 exec_lo, exec_lo, s4
	s_and_saveexec_b32 s4, vcc_lo
	s_cbranch_execz .LBB255_2191
.LBB255_2258:
	ds_read_b32 v33, v32 offset:96
	s_waitcnt lgkmcnt(0)
	v_add_f32_e32 v6, v33, v6
	s_or_b32 exec_lo, exec_lo, s4
	s_and_saveexec_b32 s4, vcc_lo
	s_cbranch_execz .LBB255_2192
.LBB255_2259:
	ds_read_b32 v33, v32 offset:112
	s_waitcnt lgkmcnt(0)
	v_add_f32_e32 v7, v33, v7
	s_or_b32 exec_lo, exec_lo, s4
	s_and_saveexec_b32 s4, vcc_lo
	s_cbranch_execz .LBB255_2193
.LBB255_2260:
	ds_read_b32 v33, v32 offset:128
	s_waitcnt lgkmcnt(0)
	v_add_f32_e32 v8, v33, v8
	s_or_b32 exec_lo, exec_lo, s4
	s_and_saveexec_b32 s4, vcc_lo
	s_cbranch_execz .LBB255_2194
.LBB255_2261:
	ds_read_b32 v33, v32 offset:144
	s_waitcnt lgkmcnt(0)
	v_add_f32_e32 v9, v33, v9
	s_or_b32 exec_lo, exec_lo, s4
	s_and_saveexec_b32 s4, vcc_lo
	s_cbranch_execz .LBB255_2195
.LBB255_2262:
	ds_read_b32 v33, v32 offset:160
	s_waitcnt lgkmcnt(0)
	v_add_f32_e32 v10, v33, v10
	s_or_b32 exec_lo, exec_lo, s4
	s_and_saveexec_b32 s4, vcc_lo
	s_cbranch_execz .LBB255_2196
.LBB255_2263:
	ds_read_b32 v33, v32 offset:176
	s_waitcnt lgkmcnt(0)
	v_add_f32_e32 v11, v33, v11
	s_or_b32 exec_lo, exec_lo, s4
	s_and_saveexec_b32 s4, vcc_lo
	s_cbranch_execz .LBB255_2197
.LBB255_2264:
	ds_read_b32 v33, v32 offset:192
	s_waitcnt lgkmcnt(0)
	v_add_f32_e32 v12, v33, v12
	s_or_b32 exec_lo, exec_lo, s4
	s_and_saveexec_b32 s4, vcc_lo
	s_cbranch_execz .LBB255_2198
.LBB255_2265:
	ds_read_b32 v33, v32 offset:208
	s_waitcnt lgkmcnt(0)
	v_add_f32_e32 v13, v33, v13
	s_or_b32 exec_lo, exec_lo, s4
	s_and_saveexec_b32 s4, vcc_lo
	s_cbranch_execz .LBB255_2199
.LBB255_2266:
	ds_read_b32 v33, v32 offset:224
	s_waitcnt lgkmcnt(0)
	v_add_f32_e32 v14, v33, v14
	s_or_b32 exec_lo, exec_lo, s4
	s_and_saveexec_b32 s4, vcc_lo
	s_cbranch_execz .LBB255_2200
.LBB255_2267:
	ds_read_b32 v33, v32 offset:240
	s_waitcnt lgkmcnt(0)
	v_add_f32_e32 v15, v33, v15
	s_or_b32 exec_lo, exec_lo, s4
	s_and_saveexec_b32 s4, vcc_lo
	s_cbranch_execz .LBB255_2201
.LBB255_2268:
	ds_read_b32 v33, v32 offset:256
	s_waitcnt lgkmcnt(0)
	v_add_f32_e32 v16, v33, v16
	s_or_b32 exec_lo, exec_lo, s4
	s_and_saveexec_b32 s4, vcc_lo
	s_cbranch_execz .LBB255_2202
.LBB255_2269:
	ds_read_b32 v33, v32 offset:272
	s_waitcnt lgkmcnt(0)
	v_add_f32_e32 v17, v33, v17
	s_or_b32 exec_lo, exec_lo, s4
	s_and_saveexec_b32 s4, vcc_lo
	s_cbranch_execz .LBB255_2203
.LBB255_2270:
	ds_read_b32 v33, v32 offset:288
	s_waitcnt lgkmcnt(0)
	v_add_f32_e32 v18, v33, v18
	s_or_b32 exec_lo, exec_lo, s4
	s_and_saveexec_b32 s4, vcc_lo
	s_cbranch_execz .LBB255_2204
.LBB255_2271:
	ds_read_b32 v33, v32 offset:304
	s_waitcnt lgkmcnt(0)
	v_add_f32_e32 v19, v33, v19
	s_or_b32 exec_lo, exec_lo, s4
	s_and_saveexec_b32 s4, vcc_lo
	s_cbranch_execz .LBB255_2205
.LBB255_2272:
	ds_read_b32 v33, v32 offset:320
	s_waitcnt lgkmcnt(0)
	v_add_f32_e32 v20, v33, v20
	s_or_b32 exec_lo, exec_lo, s4
	s_and_saveexec_b32 s4, vcc_lo
	s_cbranch_execz .LBB255_2206
.LBB255_2273:
	ds_read_b32 v33, v32 offset:336
	s_waitcnt lgkmcnt(0)
	v_add_f32_e32 v21, v33, v21
	s_or_b32 exec_lo, exec_lo, s4
	s_and_saveexec_b32 s4, vcc_lo
	s_cbranch_execz .LBB255_2207
.LBB255_2274:
	ds_read_b32 v33, v32 offset:352
	s_waitcnt lgkmcnt(0)
	v_add_f32_e32 v22, v33, v22
	s_or_b32 exec_lo, exec_lo, s4
	s_and_saveexec_b32 s4, vcc_lo
	s_cbranch_execz .LBB255_2208
.LBB255_2275:
	ds_read_b32 v33, v32 offset:368
	s_waitcnt lgkmcnt(0)
	v_add_f32_e32 v23, v33, v23
	s_or_b32 exec_lo, exec_lo, s4
	s_and_saveexec_b32 s4, vcc_lo
	s_cbranch_execz .LBB255_2209
.LBB255_2276:
	ds_read_b32 v33, v32 offset:384
	s_waitcnt lgkmcnt(0)
	v_add_f32_e32 v24, v33, v24
	s_or_b32 exec_lo, exec_lo, s4
	s_and_saveexec_b32 s4, vcc_lo
	s_cbranch_execz .LBB255_2210
.LBB255_2277:
	ds_read_b32 v33, v32 offset:400
	s_waitcnt lgkmcnt(0)
	v_add_f32_e32 v25, v33, v25
	s_or_b32 exec_lo, exec_lo, s4
	s_and_saveexec_b32 s4, vcc_lo
	s_cbranch_execz .LBB255_2211
.LBB255_2278:
	ds_read_b32 v33, v32 offset:416
	s_waitcnt lgkmcnt(0)
	v_add_f32_e32 v26, v33, v26
	s_or_b32 exec_lo, exec_lo, s4
	s_and_saveexec_b32 s4, vcc_lo
	s_cbranch_execz .LBB255_2212
.LBB255_2279:
	ds_read_b32 v33, v32 offset:432
	s_waitcnt lgkmcnt(0)
	v_add_f32_e32 v27, v33, v27
	s_or_b32 exec_lo, exec_lo, s4
	s_and_saveexec_b32 s4, vcc_lo
	s_cbranch_execz .LBB255_2213
.LBB255_2280:
	ds_read_b32 v33, v32 offset:448
	s_waitcnt lgkmcnt(0)
	v_add_f32_e32 v28, v33, v28
	s_or_b32 exec_lo, exec_lo, s4
	s_and_saveexec_b32 s4, vcc_lo
	s_cbranch_execz .LBB255_2214
.LBB255_2281:
	ds_read_b32 v33, v32 offset:464
	s_waitcnt lgkmcnt(0)
	v_add_f32_e32 v29, v33, v29
	s_or_b32 exec_lo, exec_lo, s4
	s_and_saveexec_b32 s4, vcc_lo
	s_cbranch_execz .LBB255_2215
.LBB255_2282:
	ds_read_b32 v33, v32 offset:480
	s_waitcnt lgkmcnt(0)
	v_add_f32_e32 v30, v33, v30
	s_or_b32 exec_lo, exec_lo, s4
	s_and_saveexec_b32 s4, vcc_lo
	s_cbranch_execnz .LBB255_2216
	s_branch .LBB255_2217
.Lfunc_end255:
	.size	_ZN4vllm22paged_attention_kernelIfhLi128ELi32ELi128ELNS_18Fp8KVCacheDataTypeE1ELb0ELi512EEEvPfS2_PT_PKS3_PKT0_S9_ifPKiSB_iPKfiiiSD_SD_iiiii, .Lfunc_end255-_ZN4vllm22paged_attention_kernelIfhLi128ELi32ELi128ELNS_18Fp8KVCacheDataTypeE1ELb0ELi512EEEvPfS2_PT_PKS3_PKT0_S9_ifPKiSB_iPKfiiiSD_SD_iiiii
                                        ; -- End function
	.set .L_ZN4vllm22paged_attention_kernelIfhLi128ELi32ELi128ELNS_18Fp8KVCacheDataTypeE1ELb0ELi512EEEvPfS2_PT_PKS3_PKT0_S9_ifPKiSB_iPKfiiiSD_SD_iiiii.num_vgpr, 128
	.set .L_ZN4vllm22paged_attention_kernelIfhLi128ELi32ELi128ELNS_18Fp8KVCacheDataTypeE1ELb0ELi512EEEvPfS2_PT_PKS3_PKT0_S9_ifPKiSB_iPKfiiiSD_SD_iiiii.num_agpr, 0
	.set .L_ZN4vllm22paged_attention_kernelIfhLi128ELi32ELi128ELNS_18Fp8KVCacheDataTypeE1ELb0ELi512EEEvPfS2_PT_PKS3_PKT0_S9_ifPKiSB_iPKfiiiSD_SD_iiiii.numbered_sgpr, 33
	.set .L_ZN4vllm22paged_attention_kernelIfhLi128ELi32ELi128ELNS_18Fp8KVCacheDataTypeE1ELb0ELi512EEEvPfS2_PT_PKS3_PKT0_S9_ifPKiSB_iPKfiiiSD_SD_iiiii.num_named_barrier, 0
	.set .L_ZN4vllm22paged_attention_kernelIfhLi128ELi32ELi128ELNS_18Fp8KVCacheDataTypeE1ELb0ELi512EEEvPfS2_PT_PKS3_PKT0_S9_ifPKiSB_iPKfiiiSD_SD_iiiii.private_seg_size, 1504
	.set .L_ZN4vllm22paged_attention_kernelIfhLi128ELi32ELi128ELNS_18Fp8KVCacheDataTypeE1ELb0ELi512EEEvPfS2_PT_PKS3_PKT0_S9_ifPKiSB_iPKfiiiSD_SD_iiiii.uses_vcc, 1
	.set .L_ZN4vllm22paged_attention_kernelIfhLi128ELi32ELi128ELNS_18Fp8KVCacheDataTypeE1ELb0ELi512EEEvPfS2_PT_PKS3_PKT0_S9_ifPKiSB_iPKfiiiSD_SD_iiiii.uses_flat_scratch, 0
	.set .L_ZN4vllm22paged_attention_kernelIfhLi128ELi32ELi128ELNS_18Fp8KVCacheDataTypeE1ELb0ELi512EEEvPfS2_PT_PKS3_PKT0_S9_ifPKiSB_iPKfiiiSD_SD_iiiii.has_dyn_sized_stack, 0
	.set .L_ZN4vllm22paged_attention_kernelIfhLi128ELi32ELi128ELNS_18Fp8KVCacheDataTypeE1ELb0ELi512EEEvPfS2_PT_PKS3_PKT0_S9_ifPKiSB_iPKfiiiSD_SD_iiiii.has_recursion, 0
	.set .L_ZN4vllm22paged_attention_kernelIfhLi128ELi32ELi128ELNS_18Fp8KVCacheDataTypeE1ELb0ELi512EEEvPfS2_PT_PKS3_PKT0_S9_ifPKiSB_iPKfiiiSD_SD_iiiii.has_indirect_call, 0
	.section	.AMDGPU.csdata,"",@progbits
; Function info:
; codeLenInByte = 80324
; TotalNumSgprs: 35
; NumVgprs: 128
; ScratchSize: 1504
; MemoryBound: 0
	.section	.text._ZN4vllm25paged_attention_v2_kernelIfhLi128ELi32ELi128ELNS_18Fp8KVCacheDataTypeE1ELb0ELi512EEEvPfS2_PT_PKS3_PKT0_S9_ifPKiSB_iPKfiiiSD_SD_iiiii,"axG",@progbits,_ZN4vllm25paged_attention_v2_kernelIfhLi128ELi32ELi128ELNS_18Fp8KVCacheDataTypeE1ELb0ELi512EEEvPfS2_PT_PKS3_PKT0_S9_ifPKiSB_iPKfiiiSD_SD_iiiii,comdat
	.protected	_ZN4vllm25paged_attention_v2_kernelIfhLi128ELi32ELi128ELNS_18Fp8KVCacheDataTypeE1ELb0ELi512EEEvPfS2_PT_PKS3_PKT0_S9_ifPKiSB_iPKfiiiSD_SD_iiiii ; -- Begin function _ZN4vllm25paged_attention_v2_kernelIfhLi128ELi32ELi128ELNS_18Fp8KVCacheDataTypeE1ELb0ELi512EEEvPfS2_PT_PKS3_PKT0_S9_ifPKiSB_iPKfiiiSD_SD_iiiii
	.globl	_ZN4vllm25paged_attention_v2_kernelIfhLi128ELi32ELi128ELNS_18Fp8KVCacheDataTypeE1ELb0ELi512EEEvPfS2_PT_PKS3_PKT0_S9_ifPKiSB_iPKfiiiSD_SD_iiiii
	.p2align	8
	.type	_ZN4vllm25paged_attention_v2_kernelIfhLi128ELi32ELi128ELNS_18Fp8KVCacheDataTypeE1ELb0ELi512EEEvPfS2_PT_PKS3_PKT0_S9_ifPKiSB_iPKfiiiSD_SD_iiiii,@function
_ZN4vllm25paged_attention_v2_kernelIfhLi128ELi32ELi128ELNS_18Fp8KVCacheDataTypeE1ELb0ELi512EEEvPfS2_PT_PKS3_PKT0_S9_ifPKiSB_iPKfiiiSD_SD_iiiii: ; @_ZN4vllm25paged_attention_v2_kernelIfhLi128ELi32ELi128ELNS_18Fp8KVCacheDataTypeE1ELb0ELi512EEEvPfS2_PT_PKS3_PKT0_S9_ifPKiSB_iPKfiiiSD_SD_iiiii
; %bb.0:
	s_clause 0x5
	s_load_dwordx8 s[24:31], s[4:5], 0x0
	s_load_dwordx8 s[16:23], s[4:5], 0x20
	s_load_dwordx2 s[10:11], s[4:5], 0x40
	s_load_dwordx2 s[34:35], s[4:5], 0x50
	s_load_dword s13, s[4:5], 0x48
	s_load_dwordx8 s[36:43], s[4:5], 0x58
	s_add_u32 s0, s0, s9
	s_addc_u32 s1, s1, 0
	v_mov_b32_e32 v31, v0
	s_mov_b32 s14, s8
	s_add_u32 s8, s4, 0x90
	s_addc_u32 s9, s5, 0
	s_getpc_b64 s[4:5]
	s_add_u32 s4, s4, _ZN4vllm22paged_attention_kernelIfhLi128ELi32ELi128ELNS_18Fp8KVCacheDataTypeE1ELb0ELi512EEEvPfS2_PT_PKS3_PKT0_S9_ifPKiSB_iPKfiiiSD_SD_iiiii@rel32@lo+4
	s_addc_u32 s5, s5, _ZN4vllm22paged_attention_kernelIfhLi128ELi32ELi128ELNS_18Fp8KVCacheDataTypeE1ELb0ELi512EEEvPfS2_PT_PKS3_PKT0_S9_ifPKiSB_iPKfiiiSD_SD_iiiii@rel32@hi+12
	s_mov_b32 s12, s6
	s_mov_b32 s15, 20
	;; [unrolled: 1-line block ×3, first 2 shown]
	s_waitcnt lgkmcnt(0)
	v_mov_b32_e32 v0, s24
	v_mov_b32_e32 v1, s25
	;; [unrolled: 1-line block ×28, first 2 shown]
	s_mov_b32 s13, s7
	s_swappc_b64 s[30:31], s[4:5]
	s_endpgm
	.section	.rodata,"a",@progbits
	.p2align	6, 0x0
	.amdhsa_kernel _ZN4vllm25paged_attention_v2_kernelIfhLi128ELi32ELi128ELNS_18Fp8KVCacheDataTypeE1ELb0ELi512EEEvPfS2_PT_PKS3_PKT0_S9_ifPKiSB_iPKfiiiSD_SD_iiiii
		.amdhsa_group_segment_fixed_size 544
		.amdhsa_private_segment_fixed_size 1504
		.amdhsa_kernarg_size 400
		.amdhsa_user_sgpr_count 6
		.amdhsa_user_sgpr_private_segment_buffer 1
		.amdhsa_user_sgpr_dispatch_ptr 0
		.amdhsa_user_sgpr_queue_ptr 0
		.amdhsa_user_sgpr_kernarg_segment_ptr 1
		.amdhsa_user_sgpr_dispatch_id 0
		.amdhsa_user_sgpr_flat_scratch_init 0
		.amdhsa_user_sgpr_private_segment_size 0
		.amdhsa_wavefront_size32 1
		.amdhsa_uses_dynamic_stack 0
		.amdhsa_system_sgpr_private_segment_wavefront_offset 1
		.amdhsa_system_sgpr_workgroup_id_x 1
		.amdhsa_system_sgpr_workgroup_id_y 1
		.amdhsa_system_sgpr_workgroup_id_z 1
		.amdhsa_system_sgpr_workgroup_info 0
		.amdhsa_system_vgpr_workitem_id 0
		.amdhsa_next_free_vgpr 128
		.amdhsa_next_free_sgpr 44
		.amdhsa_reserve_vcc 1
		.amdhsa_reserve_flat_scratch 0
		.amdhsa_float_round_mode_32 0
		.amdhsa_float_round_mode_16_64 0
		.amdhsa_float_denorm_mode_32 3
		.amdhsa_float_denorm_mode_16_64 3
		.amdhsa_dx10_clamp 1
		.amdhsa_ieee_mode 1
		.amdhsa_fp16_overflow 0
		.amdhsa_workgroup_processor_mode 1
		.amdhsa_memory_ordered 1
		.amdhsa_forward_progress 1
		.amdhsa_shared_vgpr_count 0
		.amdhsa_exception_fp_ieee_invalid_op 0
		.amdhsa_exception_fp_denorm_src 0
		.amdhsa_exception_fp_ieee_div_zero 0
		.amdhsa_exception_fp_ieee_overflow 0
		.amdhsa_exception_fp_ieee_underflow 0
		.amdhsa_exception_fp_ieee_inexact 0
		.amdhsa_exception_int_div_zero 0
	.end_amdhsa_kernel
	.section	.text._ZN4vllm25paged_attention_v2_kernelIfhLi128ELi32ELi128ELNS_18Fp8KVCacheDataTypeE1ELb0ELi512EEEvPfS2_PT_PKS3_PKT0_S9_ifPKiSB_iPKfiiiSD_SD_iiiii,"axG",@progbits,_ZN4vllm25paged_attention_v2_kernelIfhLi128ELi32ELi128ELNS_18Fp8KVCacheDataTypeE1ELb0ELi512EEEvPfS2_PT_PKS3_PKT0_S9_ifPKiSB_iPKfiiiSD_SD_iiiii,comdat
.Lfunc_end256:
	.size	_ZN4vllm25paged_attention_v2_kernelIfhLi128ELi32ELi128ELNS_18Fp8KVCacheDataTypeE1ELb0ELi512EEEvPfS2_PT_PKS3_PKT0_S9_ifPKiSB_iPKfiiiSD_SD_iiiii, .Lfunc_end256-_ZN4vllm25paged_attention_v2_kernelIfhLi128ELi32ELi128ELNS_18Fp8KVCacheDataTypeE1ELb0ELi512EEEvPfS2_PT_PKS3_PKT0_S9_ifPKiSB_iPKfiiiSD_SD_iiiii
                                        ; -- End function
	.set _ZN4vllm25paged_attention_v2_kernelIfhLi128ELi32ELi128ELNS_18Fp8KVCacheDataTypeE1ELb0ELi512EEEvPfS2_PT_PKS3_PKT0_S9_ifPKiSB_iPKfiiiSD_SD_iiiii.num_vgpr, max(32, .L_ZN4vllm22paged_attention_kernelIfhLi128ELi32ELi128ELNS_18Fp8KVCacheDataTypeE1ELb0ELi512EEEvPfS2_PT_PKS3_PKT0_S9_ifPKiSB_iPKfiiiSD_SD_iiiii.num_vgpr)
	.set _ZN4vllm25paged_attention_v2_kernelIfhLi128ELi32ELi128ELNS_18Fp8KVCacheDataTypeE1ELb0ELi512EEEvPfS2_PT_PKS3_PKT0_S9_ifPKiSB_iPKfiiiSD_SD_iiiii.num_agpr, max(0, .L_ZN4vllm22paged_attention_kernelIfhLi128ELi32ELi128ELNS_18Fp8KVCacheDataTypeE1ELb0ELi512EEEvPfS2_PT_PKS3_PKT0_S9_ifPKiSB_iPKfiiiSD_SD_iiiii.num_agpr)
	.set _ZN4vllm25paged_attention_v2_kernelIfhLi128ELi32ELi128ELNS_18Fp8KVCacheDataTypeE1ELb0ELi512EEEvPfS2_PT_PKS3_PKT0_S9_ifPKiSB_iPKfiiiSD_SD_iiiii.numbered_sgpr, max(44, .L_ZN4vllm22paged_attention_kernelIfhLi128ELi32ELi128ELNS_18Fp8KVCacheDataTypeE1ELb0ELi512EEEvPfS2_PT_PKS3_PKT0_S9_ifPKiSB_iPKfiiiSD_SD_iiiii.numbered_sgpr)
	.set _ZN4vllm25paged_attention_v2_kernelIfhLi128ELi32ELi128ELNS_18Fp8KVCacheDataTypeE1ELb0ELi512EEEvPfS2_PT_PKS3_PKT0_S9_ifPKiSB_iPKfiiiSD_SD_iiiii.num_named_barrier, max(0, .L_ZN4vllm22paged_attention_kernelIfhLi128ELi32ELi128ELNS_18Fp8KVCacheDataTypeE1ELb0ELi512EEEvPfS2_PT_PKS3_PKT0_S9_ifPKiSB_iPKfiiiSD_SD_iiiii.num_named_barrier)
	.set _ZN4vllm25paged_attention_v2_kernelIfhLi128ELi32ELi128ELNS_18Fp8KVCacheDataTypeE1ELb0ELi512EEEvPfS2_PT_PKS3_PKT0_S9_ifPKiSB_iPKfiiiSD_SD_iiiii.private_seg_size, 0+max(.L_ZN4vllm22paged_attention_kernelIfhLi128ELi32ELi128ELNS_18Fp8KVCacheDataTypeE1ELb0ELi512EEEvPfS2_PT_PKS3_PKT0_S9_ifPKiSB_iPKfiiiSD_SD_iiiii.private_seg_size)
	.set _ZN4vllm25paged_attention_v2_kernelIfhLi128ELi32ELi128ELNS_18Fp8KVCacheDataTypeE1ELb0ELi512EEEvPfS2_PT_PKS3_PKT0_S9_ifPKiSB_iPKfiiiSD_SD_iiiii.uses_vcc, or(1, .L_ZN4vllm22paged_attention_kernelIfhLi128ELi32ELi128ELNS_18Fp8KVCacheDataTypeE1ELb0ELi512EEEvPfS2_PT_PKS3_PKT0_S9_ifPKiSB_iPKfiiiSD_SD_iiiii.uses_vcc)
	.set _ZN4vllm25paged_attention_v2_kernelIfhLi128ELi32ELi128ELNS_18Fp8KVCacheDataTypeE1ELb0ELi512EEEvPfS2_PT_PKS3_PKT0_S9_ifPKiSB_iPKfiiiSD_SD_iiiii.uses_flat_scratch, or(0, .L_ZN4vllm22paged_attention_kernelIfhLi128ELi32ELi128ELNS_18Fp8KVCacheDataTypeE1ELb0ELi512EEEvPfS2_PT_PKS3_PKT0_S9_ifPKiSB_iPKfiiiSD_SD_iiiii.uses_flat_scratch)
	.set _ZN4vllm25paged_attention_v2_kernelIfhLi128ELi32ELi128ELNS_18Fp8KVCacheDataTypeE1ELb0ELi512EEEvPfS2_PT_PKS3_PKT0_S9_ifPKiSB_iPKfiiiSD_SD_iiiii.has_dyn_sized_stack, or(0, .L_ZN4vllm22paged_attention_kernelIfhLi128ELi32ELi128ELNS_18Fp8KVCacheDataTypeE1ELb0ELi512EEEvPfS2_PT_PKS3_PKT0_S9_ifPKiSB_iPKfiiiSD_SD_iiiii.has_dyn_sized_stack)
	.set _ZN4vllm25paged_attention_v2_kernelIfhLi128ELi32ELi128ELNS_18Fp8KVCacheDataTypeE1ELb0ELi512EEEvPfS2_PT_PKS3_PKT0_S9_ifPKiSB_iPKfiiiSD_SD_iiiii.has_recursion, or(0, .L_ZN4vllm22paged_attention_kernelIfhLi128ELi32ELi128ELNS_18Fp8KVCacheDataTypeE1ELb0ELi512EEEvPfS2_PT_PKS3_PKT0_S9_ifPKiSB_iPKfiiiSD_SD_iiiii.has_recursion)
	.set _ZN4vllm25paged_attention_v2_kernelIfhLi128ELi32ELi128ELNS_18Fp8KVCacheDataTypeE1ELb0ELi512EEEvPfS2_PT_PKS3_PKT0_S9_ifPKiSB_iPKfiiiSD_SD_iiiii.has_indirect_call, or(0, .L_ZN4vllm22paged_attention_kernelIfhLi128ELi32ELi128ELNS_18Fp8KVCacheDataTypeE1ELb0ELi512EEEvPfS2_PT_PKS3_PKT0_S9_ifPKiSB_iPKfiiiSD_SD_iiiii.has_indirect_call)
	.section	.AMDGPU.csdata,"",@progbits
; Kernel info:
; codeLenInByte = 240
; TotalNumSgprs: 46
; NumVgprs: 128
; ScratchSize: 1504
; MemoryBound: 0
; FloatMode: 240
; IeeeMode: 1
; LDSByteSize: 544 bytes/workgroup (compile time only)
; SGPRBlocks: 0
; VGPRBlocks: 15
; NumSGPRsForWavesPerEU: 46
; NumVGPRsForWavesPerEU: 128
; Occupancy: 8
; WaveLimiterHint : 1
; COMPUTE_PGM_RSRC2:SCRATCH_EN: 1
; COMPUTE_PGM_RSRC2:USER_SGPR: 6
; COMPUTE_PGM_RSRC2:TRAP_HANDLER: 0
; COMPUTE_PGM_RSRC2:TGID_X_EN: 1
; COMPUTE_PGM_RSRC2:TGID_Y_EN: 1
; COMPUTE_PGM_RSRC2:TGID_Z_EN: 1
; COMPUTE_PGM_RSRC2:TIDIG_COMP_CNT: 0
	.text
	.p2align	2                               ; -- Begin function _ZN4vllm22paged_attention_kernelIfhLi192ELi32ELi128ELNS_18Fp8KVCacheDataTypeE1ELb0ELi512EEEvPfS2_PT_PKS3_PKT0_S9_ifPKiSB_iPKfiiiSD_SD_iiiii
	.type	_ZN4vllm22paged_attention_kernelIfhLi192ELi32ELi128ELNS_18Fp8KVCacheDataTypeE1ELb0ELi512EEEvPfS2_PT_PKS3_PKT0_S9_ifPKiSB_iPKfiiiSD_SD_iiiii,@function
_ZN4vllm22paged_attention_kernelIfhLi192ELi32ELi128ELNS_18Fp8KVCacheDataTypeE1ELb0ELi512EEEvPfS2_PT_PKS3_PKT0_S9_ifPKiSB_iPKfiiiSD_SD_iiiii: ; @_ZN4vllm22paged_attention_kernelIfhLi192ELi32ELi128ELNS_18Fp8KVCacheDataTypeE1ELb0ELi512EEEvPfS2_PT_PKS3_PKT0_S9_ifPKiSB_iPKfiiiSD_SD_iiiii
; %bb.0:
	s_waitcnt vmcnt(0) expcnt(0) lgkmcnt(0)
	buffer_store_dword v40, off, s[0:3], s32 offset:188 ; 4-byte Folded Spill
	buffer_store_dword v41, off, s[0:3], s32 offset:184 ; 4-byte Folded Spill
	;; [unrolled: 1-line block ×47, first 2 shown]
	buffer_store_dword v127, off, s[0:3], s32 ; 4-byte Folded Spill
	s_mov_b32 s10, s13
	s_ashr_i32 s11, s13, 31
	buffer_store_dword v24, off, s[0:3], s32 offset:1524 ; 4-byte Folded Spill
	buffer_store_dword v25, off, s[0:3], s32 offset:1528 ; 4-byte Folded Spill
	;; [unrolled: 1-line block ×6, first 2 shown]
	s_lshl_b64 s[4:5], s[10:11], 2
	v_mov_b32_e32 v24, v0
	v_add_co_u32 v0, vcc_lo, v16, s4
	v_mov_b32_e32 v22, v1
	v_add_co_ci_u32_e64 v1, null, s5, v17, vcc_lo
	v_mov_b32_e32 v25, v3
	v_mov_b32_e32 v30, v2
	s_lshl_b32 s21, s14, 9
	flat_load_dword v78, v[0:1]
	s_mov_b32 s11, exec_lo
	s_waitcnt vmcnt(0) lgkmcnt(0)
	v_cmpx_lt_i32_e64 s21, v78
	s_cbranch_execz .LBB257_3310
; %bb.1:
	v_sub_nc_u32_e32 v0, 0, v12
	s_clause 0x1
	s_load_dword s4, s[8:9], 0x10
	s_load_dword s5, s[8:9], 0x0
	s_mov_b32 s18, s15
	v_max_i32_e32 v0, v12, v0
	v_cvt_f32_u32_e32 v1, v0
	v_sub_nc_u32_e32 v2, 0, v0
	v_rcp_iflag_f32_e32 v1, v1
	s_waitcnt lgkmcnt(0)
	s_lshr_b32 s4, s4, 16
	s_cmp_lg_u32 s4, 0
	s_cselect_b32 s4, -1, 0
	v_mul_f32_e32 v1, 0x4f7ffffe, v1
	s_cmp_lg_u32 s4, 0
	s_addc_u32 s20, s5, 0
	s_mov_b32 s5, exec_lo
	v_cvt_u32_f32_e32 v1, v1
	s_abs_i32 s4, s20
	v_mul_lo_u32 v2, v2, v1
	v_mul_hi_u32 v2, v1, v2
	v_add_nc_u32_e32 v1, v1, v2
	v_mul_hi_u32 v1, s4, v1
	v_mul_lo_u32 v2, v1, v0
	v_add_nc_u32_e32 v3, 1, v1
	v_sub_nc_u32_e32 v2, s4, v2
	s_abs_i32 s4, s12
	v_sub_nc_u32_e32 v4, v2, v0
	v_cmp_ge_u32_e32 vcc_lo, v2, v0
	v_cndmask_b32_e32 v1, v1, v3, vcc_lo
	v_cndmask_b32_e32 v2, v2, v4, vcc_lo
	v_xor_b32_e32 v3, s20, v12
	v_add_nc_u32_e32 v4, 1, v1
	v_cmp_ge_u32_e32 vcc_lo, v2, v0
	v_ashrrev_i32_e32 v3, 31, v3
	v_cndmask_b32_e32 v0, v1, v4, vcc_lo
	v_xor_b32_e32 v0, v0, v3
	v_sub_nc_u32_e32 v3, v0, v3
	v_sub_nc_u32_e32 v0, 0, v3
	v_max_i32_e32 v2, v3, v0
	v_cvt_f32_u32_e32 v0, v2
	v_sub_nc_u32_e32 v1, 0, v2
	v_rcp_iflag_f32_e32 v0, v0
	v_mul_f32_e32 v0, 0x4f7ffffe, v0
	v_cvt_u32_f32_e32 v0, v0
	v_mul_lo_u32 v1, v1, v0
	v_mul_hi_u32 v1, v0, v1
	v_add_nc_u32_e32 v0, v0, v1
	v_mad_u64_u32 v[0:1], null, s4, v0, 0
	v_mov_b32_e32 v0, 0
	buffer_store_dword v0, off, s[0:3], s32 offset:1536 ; 4-byte Folded Spill
	v_cmpx_ne_u64_e32 0, v[19:20]
	s_cbranch_execz .LBB257_3
; %bb.2:
	s_ashr_i32 s13, s12, 31
	s_lshl_b64 s[6:7], s[12:13], 2
	v_add_co_u32 v4, vcc_lo, v19, s6
	v_add_co_ci_u32_e64 v5, null, s7, v20, vcc_lo
	flat_load_dword v0, v[4:5]
	s_waitcnt vmcnt(0) lgkmcnt(0)
	buffer_store_dword v0, off, s[0:3], s32 offset:1536 ; 4-byte Folded Spill
.LBB257_3:
	s_or_b32 exec_lo, exec_lo, s5
	v_and_b32_e32 v12, 0x3ff, v31
	v_ashrrev_i32_e32 v0, 31, v3
	s_ashr_i32 s5, s12, 31
	s_mul_i32 s16, s12, 0xc0
	s_mov_b32 s6, exec_lo
	v_cmpx_gt_u32_e32 48, v12
	s_cbranch_execz .LBB257_5
; %bb.4:
	v_mul_lo_u32 v3, v21, s10
	s_ashr_i32 s17, s16, 31
	v_lshlrev_b32_e32 v13, 4, v12
	s_lshl_b64 s[22:23], s[16:17], 2
	v_ashrrev_i32_e32 v4, 31, v3
	v_lshlrev_b64 v[3:4], 2, v[3:4]
	v_add_co_u32 v3, vcc_lo, v6, v3
	v_add_co_ci_u32_e64 v4, null, v7, v4, vcc_lo
	v_add_co_u32 v3, vcc_lo, v3, s22
	v_add_co_ci_u32_e64 v4, null, s23, v4, vcc_lo
	;; [unrolled: 2-line block ×3, first 2 shown]
	flat_load_dwordx4 v[3:6], v[3:4]
	s_waitcnt vmcnt(0) lgkmcnt(0)
	ds_write_b128 v13, v[3:6]
.LBB257_5:
	s_or_b32 exec_lo, exec_lo, s6
	v_mul_lo_u32 v3, v1, v2
	v_add_nc_u32_e32 v4, 1, v1
	v_add_nc_u32_e32 v5, 31, v78
	v_xor_b32_e32 v7, s5, v0
	s_clause 0x1
	s_load_dword s13, s[8:9], 0x14
	s_load_dword s8, s[8:9], 0x8
	v_mul_lo_u32 v0, v18, s10
	s_lshl_b32 s9, s14, 4
	s_mov_b32 s15, exec_lo
	v_sub_nc_u32_e32 v3, s4, v3
	s_add_i32 s4, s9, 16
	buffer_store_dword v12, off, s[0:3], s32 offset:2316 ; 4-byte Folded Spill
	v_sub_nc_u32_e32 v6, v3, v2
	v_cmp_ge_u32_e32 vcc_lo, v3, v2
	v_cndmask_b32_e32 v1, v1, v4, vcc_lo
	v_cndmask_b32_e32 v3, v3, v6, vcc_lo
	v_ashrrev_i32_e32 v4, 31, v5
	v_add_nc_u32_e32 v6, 1, v1
	v_cmp_ge_u32_e32 vcc_lo, v3, v2
	v_lshrrev_b32_e32 v4, 27, v4
	v_cndmask_b32_e32 v1, v1, v6, vcc_lo
	v_add_nc_u32_e32 v2, v5, v4
	v_lshrrev_b32_e32 v4, 5, v12
	v_xor_b32_e32 v1, v1, v7
	v_ashrrev_i32_e32 v13, 5, v2
	v_add_nc_u32_e32 v28, s9, v4
	v_and_b32_e32 v2, 31, v12
	buffer_store_dword v4, off, s[0:3], s32 offset:2324 ; 4-byte Folded Spill
	v_sub_nc_u32_e32 v3, v1, v7
	v_ashrrev_i32_e32 v1, 31, v0
	v_mov_b32_e32 v4, 0xff7fffff
	v_ashrrev_i32_e32 v29, 31, v28
	v_lshlrev_b32_e32 v16, 2, v2
	v_mul_lo_u32 v19, v3, v23
	v_min_i32_e32 v3, s4, v13
	v_lshlrev_b64 v[17:18], 2, v[0:1]
	buffer_store_dword v2, off, s[0:3], s32 offset:2320 ; 4-byte Folded Spill
	v_cmp_ge_i32_e64 s4, v28, v3
	buffer_store_dword v3, off, s[0:3], s32 offset:1280 ; 4-byte Folded Spill
	v_ashrrev_i32_e32 v20, 31, v19
	s_waitcnt lgkmcnt(0)
	s_waitcnt_vscnt null, 0x0
	s_barrier
	buffer_gl0_inv
	v_cmpx_lt_i32_e64 v28, v3
	s_cbranch_execz .LBB257_1545
; %bb.6:
	buffer_store_dword v13, off, s[0:3], s32 offset:2384 ; 4-byte Folded Spill
	buffer_store_dword v30, off, s[0:3], s32 offset:2380 ; 4-byte Folded Spill
	;; [unrolled: 1-line block ×10, first 2 shown]
	buffer_load_dword v3, off, s[0:3], s32 offset:2320 ; 4-byte Folded Reload
	v_add_co_u32 v0, vcc_lo, v8, v19
	v_add_co_ci_u32_e64 v1, null, v9, v20, vcc_lo
	v_mov_b32_e32 v57, 0
	buffer_store_dword v20, off, s[0:3], s32 offset:2392 ; 4-byte Folded Spill
	s_ashr_i32 s19, s18, 31
	v_bfrev_b32_e32 v91, 1
	s_lshl_b64 s[6:7], s[18:19], 2
	s_getpc_b64 s[22:23]
	s_add_u32 s22, s22, llvm.amdgcn.dynlds.offset.table@rel32@lo+4
	s_addc_u32 s23, s23, llvm.amdgcn.dynlds.offset.table@rel32@hi+12
	s_add_u32 s6, s22, s6
	s_addc_u32 s7, s23, s7
	v_mov_b32_e32 v121, 0x7f800001
	s_mov_b32 s17, 0
	s_waitcnt vmcnt(0)
	v_lshlrev_b32_e32 v2, 4, v3
	v_add_co_u32 v0, vcc_lo, v0, v2
	v_add_co_ci_u32_e64 v1, null, 0, v1, vcc_lo
	buffer_store_dword v0, off, s[0:3], s32 offset:1540 ; 4-byte Folded Spill
	buffer_store_dword v1, off, s[0:3], s32 offset:1544 ; 4-byte Folded Spill
	ds_read_b128 v[4:7], v57
	s_waitcnt lgkmcnt(0)
	buffer_store_dword v4, off, s[0:3], s32 offset:1548 ; 4-byte Folded Spill
	buffer_store_dword v5, off, s[0:3], s32 offset:1552 ; 4-byte Folded Spill
	buffer_store_dword v6, off, s[0:3], s32 offset:1556 ; 4-byte Folded Spill
	buffer_store_dword v7, off, s[0:3], s32 offset:1560 ; 4-byte Folded Spill
	ds_read_b128 v[4:7], v57 offset:16
	s_waitcnt lgkmcnt(0)
	buffer_store_dword v4, off, s[0:3], s32 offset:1564 ; 4-byte Folded Spill
	buffer_store_dword v5, off, s[0:3], s32 offset:1568 ; 4-byte Folded Spill
	buffer_store_dword v6, off, s[0:3], s32 offset:1572 ; 4-byte Folded Spill
	buffer_store_dword v7, off, s[0:3], s32 offset:1576 ; 4-byte Folded Spill
	ds_read_b128 v[4:7], v57 offset:32
	;; [unrolled: 6-line block ×25, first 2 shown]
	buffer_load_dword v0, off, s[0:3], s32 offset:1536 ; 4-byte Folded Reload
	s_waitcnt lgkmcnt(0)
	buffer_store_dword v4, off, s[0:3], s32 offset:1948 ; 4-byte Folded Spill
	buffer_store_dword v5, off, s[0:3], s32 offset:1952 ; 4-byte Folded Spill
	buffer_store_dword v6, off, s[0:3], s32 offset:1956 ; 4-byte Folded Spill
	buffer_store_dword v7, off, s[0:3], s32 offset:1960 ; 4-byte Folded Spill
	ds_read_b128 v[4:7], v57 offset:416
	s_waitcnt lgkmcnt(0)
	buffer_store_dword v4, off, s[0:3], s32 offset:1964 ; 4-byte Folded Spill
	buffer_store_dword v5, off, s[0:3], s32 offset:1968 ; 4-byte Folded Spill
	buffer_store_dword v6, off, s[0:3], s32 offset:1972 ; 4-byte Folded Spill
	buffer_store_dword v7, off, s[0:3], s32 offset:1976 ; 4-byte Folded Spill
	ds_read_b128 v[4:7], v57 offset:432
	;; [unrolled: 6-line block ×16, first 2 shown]
	s_waitcnt vmcnt(0)
	v_cmp_neq_f32_e32 vcc_lo, 0, v0
	v_lshlrev_b64 v[0:1], 2, v[28:29]
	s_waitcnt lgkmcnt(0)
	buffer_store_dword v4, off, s[0:3], s32 offset:2204 ; 4-byte Folded Spill
	buffer_store_dword v5, off, s[0:3], s32 offset:2208 ; 4-byte Folded Spill
	;; [unrolled: 1-line block ×4, first 2 shown]
	ds_read_b128 v[4:7], v57 offset:672
	v_add_co_u32 v0, s5, v17, v0
	s_waitcnt lgkmcnt(0)
	buffer_store_dword v4, off, s[0:3], s32 offset:2220 ; 4-byte Folded Spill
	buffer_store_dword v5, off, s[0:3], s32 offset:2224 ; 4-byte Folded Spill
	buffer_store_dword v6, off, s[0:3], s32 offset:2228 ; 4-byte Folded Spill
	buffer_store_dword v7, off, s[0:3], s32 offset:2232 ; 4-byte Folded Spill
	ds_read_b128 v[4:7], v57 offset:688
	s_waitcnt lgkmcnt(0)
	buffer_store_dword v4, off, s[0:3], s32 offset:2236 ; 4-byte Folded Spill
	buffer_store_dword v5, off, s[0:3], s32 offset:2240 ; 4-byte Folded Spill
	buffer_store_dword v6, off, s[0:3], s32 offset:2244 ; 4-byte Folded Spill
	buffer_store_dword v7, off, s[0:3], s32 offset:2248 ; 4-byte Folded Spill
	ds_read_b128 v[4:7], v57 offset:704
	;; [unrolled: 6-line block ×5, first 2 shown]
	s_waitcnt lgkmcnt(0)
	buffer_store_dword v4, off, s[0:3], s32 offset:2300 ; 4-byte Folded Spill
	buffer_store_dword v5, off, s[0:3], s32 offset:2304 ; 4-byte Folded Spill
	buffer_store_dword v6, off, s[0:3], s32 offset:2308 ; 4-byte Folded Spill
	buffer_store_dword v7, off, s[0:3], s32 offset:2312 ; 4-byte Folded Spill
	s_load_dword s6, s[6:7], 0x0
	buffer_store_dword v17, off, s[0:3], s32 offset:2360 ; 4-byte Folded Spill
	buffer_store_dword v18, off, s[0:3], s32 offset:2364 ; 4-byte Folded Spill
	;; [unrolled: 1-line block ×5, first 2 shown]
	v_mov_b32_e32 v4, 0xff7fffff
	v_add_co_ci_u32_e64 v1, null, v18, v1, s5
	v_add_co_u32 v5, s5, v14, v0
	v_add_co_ci_u32_e64 v6, null, v15, v1, s5
	buffer_load_dword v1, off, s[0:3], s32 offset:2324 ; 4-byte Folded Reload
	v_mov_b32_e32 v14, v28
	v_mov_b32_e32 v15, v29
	buffer_store_dword v14, off, s[0:3], s32 offset:1284 ; 4-byte Folded Spill
	buffer_store_dword v15, off, s[0:3], s32 offset:1288 ; 4-byte Folded Spill
	s_waitcnt vmcnt(0)
	v_lshlrev_b32_e32 v0, 5, v1
	v_add3_u32 v56, s21, v0, v3
	v_lshl_or_b32 v0, v1, 7, v16
	v_mov_b32_e32 v120, v14
	s_waitcnt lgkmcnt(0)
	v_add_nc_u32_e32 v79, s6, v0
	s_branch .LBB257_11
.LBB257_7:                              ;   in Loop: Header=BB257_11 Depth=1
	s_or_b32 exec_lo, exec_lo, s22
	v_mov_b32_e32 v83, 24
	v_lshl_add_u32 v30, v30, 23, 0x3c000000
	v_lshlrev_b32_sdwa v13, v83, v13 dst_sel:DWORD dst_unused:UNUSED_PAD src0_sel:DWORD src1_sel:BYTE_3
	v_lshlrev_b32_e32 v83, 20, v110
	v_mov_b32_e32 v110, v57
	v_and_b32_e32 v13, 0x80000000, v13
	v_or3_b32 v111, v83, v13, v30
.LBB257_8:                              ;   in Loop: Header=BB257_11 Depth=1
	s_or_b32 exec_lo, exec_lo, s19
.LBB257_9:                              ;   in Loop: Header=BB257_11 Depth=1
	s_or_b32 exec_lo, exec_lo, s7
	buffer_load_dword v120, off, s[0:3], s32 offset:1272 ; 4-byte Folded Reload
	v_mov_b32_e32 v56, v82
	v_mov_b32_e32 v79, v47
.LBB257_10:                             ;   in Loop: Header=BB257_11 Depth=1
	s_or_b32 exec_lo, exec_lo, s6
	v_or_b32_e32 v2, v98, v2
	v_or_b32_e32 v3, v99, v3
	;; [unrolled: 1-line block ×5, first 2 shown]
	v_mul_f32_e32 v2, v12, v2
	v_mul_f32_e32 v3, v12, v3
	;; [unrolled: 1-line block ×4, first 2 shown]
	v_or_b32_e32 v30, v74, v58
	buffer_store_dword v2, off, s[0:3], s32 offset:1380 ; 4-byte Folded Spill
	v_or_b32_e32 v2, v40, v125
	buffer_store_dword v3, off, s[0:3], s32 offset:1372 ; 4-byte Folded Spill
	;; [unrolled: 2-line block ×3, first 2 shown]
	v_or_b32_e32 v0, v38, v53
	v_mul_f32_e32 v2, v12, v2
	v_mul_f32_e32 v13, v12, v13
	buffer_store_dword v1, off, s[0:3], s32 offset:1452 ; 4-byte Folded Spill
	v_or_b32_e32 v1, v37, v52
	v_mul_f32_e32 v0, v12, v0
	buffer_store_dword v2, off, s[0:3], s32 offset:1376 ; 4-byte Folded Spill
	v_mul_f32_e32 v2, v12, v3
	v_or_b32_e32 v3, v43, v96
	buffer_store_dword v13, off, s[0:3], s32 offset:1304 ; 4-byte Folded Spill
	v_mul_f32_e32 v13, v12, v30
	buffer_store_dword v0, off, s[0:3], s32 offset:1456 ; 4-byte Folded Spill
	buffer_store_dword v2, off, s[0:3], s32 offset:1384 ; 4-byte Folded Spill
	v_or_b32_e32 v2, v44, v97
	v_mul_f32_e32 v0, v12, v1
	buffer_store_dword v13, off, s[0:3], s32 offset:1312 ; 4-byte Folded Spill
	v_or_b32_e32 v13, v61, v123
	v_or_b32_e32 v30, v60, v122
	v_mul_f32_e32 v2, v12, v2
	buffer_store_dword v0, off, s[0:3], s32 offset:1464 ; 4-byte Folded Spill
	v_or_b32_e32 v0, v55, v46
	v_mul_f32_e32 v13, v12, v13
	v_or_b32_e32 v1, v54, v45
	buffer_store_dword v2, off, s[0:3], s32 offset:1388 ; 4-byte Folded Spill
	v_mul_f32_e32 v2, v12, v3
	v_or_b32_e32 v3, v118, v22
	v_mul_f32_e32 v0, v12, v0
	buffer_store_dword v13, off, s[0:3], s32 offset:1308 ; 4-byte Folded Spill
	v_mul_f32_e32 v13, v12, v30
	buffer_store_dword v2, off, s[0:3], s32 offset:1396 ; 4-byte Folded Spill
	v_or_b32_e32 v2, v119, v23
	buffer_store_dword v0, off, s[0:3], s32 offset:1468 ; 4-byte Folded Spill
	v_mul_f32_e32 v0, v12, v1
	buffer_store_dword v13, off, s[0:3], s32 offset:1320 ; 4-byte Folded Spill
	v_or_b32_e32 v13, v63, v89
	v_mul_f32_e32 v2, v12, v2
	v_or_b32_e32 v30, v62, v88
	buffer_store_dword v0, off, s[0:3], s32 offset:1476 ; 4-byte Folded Spill
	v_or_b32_e32 v0, v25, v19
	v_mul_f32_e32 v13, v12, v13
	buffer_store_dword v2, off, s[0:3], s32 offset:1392 ; 4-byte Folded Spill
	v_mul_f32_e32 v2, v12, v3
	v_or_b32_e32 v3, v66, v102
	v_or_b32_e32 v1, v24, v18
	v_mul_f32_e32 v0, v12, v0
	buffer_store_dword v13, off, s[0:3], s32 offset:1324 ; 4-byte Folded Spill
	buffer_store_dword v2, off, s[0:3], s32 offset:1400 ; 4-byte Folded Spill
	v_or_b32_e32 v2, v67, v103
	v_mul_f32_e32 v13, v12, v30
	buffer_store_dword v0, off, s[0:3], s32 offset:1472 ; 4-byte Folded Spill
	v_mul_f32_e32 v0, v12, v1
	v_or_b32_e32 v20, v92, v20
	v_mul_f32_e32 v2, v12, v2
	buffer_store_dword v13, off, s[0:3], s32 offset:1332 ; 4-byte Folded Spill
	v_or_b32_e32 v13, v93, v21
	buffer_store_dword v0, off, s[0:3], s32 offset:1480 ; 4-byte Folded Spill
	v_or_b32_e32 v0, v81, v109
	buffer_store_dword v2, off, s[0:3], s32 offset:1404 ; 4-byte Folded Spill
	v_mul_f32_e32 v2, v12, v3
	v_or_b32_e32 v3, v116, v100
	v_mul_f32_e32 v13, v12, v13
	v_or_b32_e32 v1, v80, v108
	v_mul_f32_e32 v0, v12, v0
	buffer_store_dword v2, off, s[0:3], s32 offset:1412 ; 4-byte Folded Spill
	v_or_b32_e32 v2, v117, v101
	buffer_store_dword v13, off, s[0:3], s32 offset:1328 ; 4-byte Folded Spill
	v_mul_f32_e32 v13, v12, v20
	buffer_store_dword v0, off, s[0:3], s32 offset:1484 ; 4-byte Folded Spill
	v_mul_f32_e32 v0, v12, v1
	v_mul_f32_e32 v2, v12, v2
	v_or_b32_e32 v20, v126, v41
	buffer_store_dword v13, off, s[0:3], s32 offset:1336 ; 4-byte Folded Spill
	v_or_b32_e32 v13, v127, v42
	buffer_store_dword v0, off, s[0:3], s32 offset:1492 ; 4-byte Folded Spill
	buffer_store_dword v2, off, s[0:3], s32 offset:1408 ; 4-byte Folded Spill
	v_mul_f32_e32 v2, v12, v3
	v_or_b32_e32 v3, v48, v86
	v_or_b32_e32 v0, v17, v32
	v_mul_f32_e32 v13, v12, v13
	v_or_b32_e32 v1, v16, v31
	buffer_store_dword v2, off, s[0:3], s32 offset:1416 ; 4-byte Folded Spill
	v_or_b32_e32 v2, v49, v87
	v_mul_f32_e32 v0, v12, v0
	buffer_store_dword v13, off, s[0:3], s32 offset:1340 ; 4-byte Folded Spill
	v_mul_f32_e32 v13, v12, v20
	v_or_b32_e32 v20, v72, v106
	v_mul_f32_e32 v2, v12, v2
	buffer_store_dword v0, off, s[0:3], s32 offset:1488 ; 4-byte Folded Spill
	v_mul_f32_e32 v0, v12, v1
	buffer_store_dword v13, off, s[0:3], s32 offset:1348 ; 4-byte Folded Spill
	v_or_b32_e32 v13, v73, v107
	buffer_store_dword v2, off, s[0:3], s32 offset:1420 ; 4-byte Folded Spill
	v_mul_f32_e32 v2, v12, v3
	v_or_b32_e32 v3, v70, v84
	buffer_store_dword v0, off, s[0:3], s32 offset:1496 ; 4-byte Folded Spill
	v_or_b32_e32 v0, v29, v113
	v_mul_f32_e32 v13, v12, v13
	buffer_store_dword v2, off, s[0:3], s32 offset:1428 ; 4-byte Folded Spill
	v_or_b32_e32 v2, v71, v85
	v_or_b32_e32 v1, v28, v112
	v_mul_f32_e32 v0, v12, v0
	buffer_store_dword v13, off, s[0:3], s32 offset:1344 ; 4-byte Folded Spill
	v_mul_f32_e32 v13, v12, v20
	v_mul_f32_e32 v2, v12, v2
	v_or_b32_e32 v20, v114, v14
	buffer_store_dword v0, off, s[0:3], s32 offset:1500 ; 4-byte Folded Spill
	v_mul_f32_e32 v0, v12, v1
	buffer_store_dword v13, off, s[0:3], s32 offset:1352 ; 4-byte Folded Spill
	buffer_store_dword v2, off, s[0:3], s32 offset:1424 ; 4-byte Folded Spill
	v_mul_f32_e32 v2, v12, v3
	v_or_b32_e32 v3, v35, v50
	v_or_b32_e32 v13, v115, v15
	buffer_store_dword v0, off, s[0:3], s32 offset:1508 ; 4-byte Folded Spill
	v_or_b32_e32 v0, v11, v65
	buffer_store_dword v2, off, s[0:3], s32 offset:1432 ; 4-byte Folded Spill
	v_or_b32_e32 v2, v36, v51
	v_mul_f32_e32 v13, v12, v13
	v_or_b32_e32 v5, v5, v105
	v_or_b32_e32 v4, v4, v104
	v_or_b32_e32 v1, v10, v64
	v_mul_f32_e32 v2, v12, v2
	v_mul_f32_e32 v0, v12, v0
	buffer_store_dword v13, off, s[0:3], s32 offset:1356 ; 4-byte Folded Spill
	v_mul_f32_e32 v13, v12, v20
	v_mul_f32_e32 v5, v12, v5
	buffer_store_dword v2, off, s[0:3], s32 offset:1436 ; 4-byte Folded Spill
	v_mul_f32_e32 v2, v12, v3
	v_or_b32_e32 v3, v33, v68
	v_mul_f32_e32 v4, v12, v4
	buffer_store_dword v0, off, s[0:3], s32 offset:1504 ; 4-byte Folded Spill
	v_mul_f32_e32 v0, v12, v1
	buffer_store_dword v2, off, s[0:3], s32 offset:1444 ; 4-byte Folded Spill
	v_or_b32_e32 v2, v34, v69
	buffer_store_dword v13, off, s[0:3], s32 offset:1364 ; 4-byte Folded Spill
	buffer_store_dword v5, off, s[0:3], s32 offset:1360 ; 4-byte Folded Spill
	;; [unrolled: 1-line block ×4, first 2 shown]
	v_mul_f32_e32 v2, v12, v2
	v_or_b32_e32 v9, v77, v9
	v_or_b32_e32 v8, v76, v8
	v_cmp_lt_i32_e64 s5, v56, v78
	s_waitcnt vmcnt(0)
	v_add_nc_u32_e32 v120, 4, v120
	buffer_store_dword v2, off, s[0:3], s32 offset:1440 ; 4-byte Folded Spill
	v_mul_f32_e32 v2, v12, v3
	v_mul_f32_e32 v76, v12, v9
	;; [unrolled: 1-line block ×3, first 2 shown]
	v_or_b32_e32 v8, v111, v95
	v_or_b32_e32 v9, v110, v94
	buffer_store_dword v2, off, s[0:3], s32 offset:1448 ; 4-byte Folded Spill
	s_clause 0x3
	buffer_load_dword v1, off, s[0:3], s32 offset:1248
	buffer_load_dword v2, off, s[0:3], s32 offset:1252
	;; [unrolled: 1-line block ×4, first 2 shown]
	v_mul_f32_e32 v8, v12, v8
	v_mul_f32_e32 v9, v12, v9
	s_waitcnt vmcnt(1)
	v_or_b32_e32 v1, v3, v1
	s_waitcnt vmcnt(0)
	v_or_b32_e32 v0, v4, v2
	v_mul_f32_e32 v0, v12, v0
	buffer_store_dword v0, off, s[0:3], s32 offset:1248 ; 4-byte Folded Spill
	v_mul_f32_e32 v0, v12, v1
	buffer_store_dword v0, off, s[0:3], s32 offset:1516 ; 4-byte Folded Spill
	s_clause 0x1
	buffer_load_dword v1, off, s[0:3], s32 offset:1264
	buffer_load_dword v2, off, s[0:3], s32 offset:1268
	s_waitcnt vmcnt(1)
	v_or_b32_e32 v1, v26, v1
	s_waitcnt vmcnt(0)
	v_or_b32_e32 v0, v27, v2
	v_mul_f32_e32 v0, v12, v0
	buffer_store_dword v0, off, s[0:3], s32 offset:1256 ; 4-byte Folded Spill
	v_mul_f32_e32 v0, v12, v1
	buffer_store_dword v0, off, s[0:3], s32 offset:1264 ; 4-byte Folded Spill
	s_clause 0x3
	buffer_load_dword v1, off, s[0:3], s32 offset:1216
	buffer_load_dword v2, off, s[0:3], s32 offset:1220
	buffer_load_dword v3, off, s[0:3], s32 offset:1224
	buffer_load_dword v4, off, s[0:3], s32 offset:1228
	s_waitcnt vmcnt(1)
	v_or_b32_e32 v1, v3, v1
	s_waitcnt vmcnt(0)
	v_or_b32_e32 v0, v4, v2
	v_mul_f32_e32 v0, v12, v0
	buffer_store_dword v0, off, s[0:3], s32 offset:1216 ; 4-byte Folded Spill
	v_mul_f32_e32 v0, v12, v1
	buffer_store_dword v0, off, s[0:3], s32 offset:1520 ; 4-byte Folded Spill
	s_clause 0x3
	buffer_load_dword v1, off, s[0:3], s32 offset:1232
	buffer_load_dword v2, off, s[0:3], s32 offset:1236
	;; [unrolled: 13-line block ×13, first 2 shown]
	buffer_load_dword v3, off, s[0:3], s32 offset:1032
	buffer_load_dword v4, off, s[0:3], s32 offset:1036
	s_waitcnt vmcnt(1)
	v_or_b32_e32 v1, v3, v1
	s_waitcnt vmcnt(0)
	v_or_b32_e32 v0, v4, v2
	v_mul_f32_e32 v62, v12, v1
	v_mul_f32_e32 v0, v12, v0
	buffer_store_dword v0, off, s[0:3], s32 offset:1024 ; 4-byte Folded Spill
	s_clause 0x3
	buffer_load_dword v1, off, s[0:3], s32 offset:1040
	buffer_load_dword v2, off, s[0:3], s32 offset:1044
	;; [unrolled: 1-line block ×4, first 2 shown]
	s_waitcnt vmcnt(1)
	v_or_b32_e32 v1, v1, v3
	s_waitcnt vmcnt(0)
	v_or_b32_e32 v0, v2, v4
	v_mul_f32_e32 v72, v12, v1
	v_mul_f32_e32 v0, v12, v0
	buffer_store_dword v0, off, s[0:3], s32 offset:1032 ; 4-byte Folded Spill
	s_clause 0x3
	buffer_load_dword v1, off, s[0:3], s32 offset:992
	buffer_load_dword v2, off, s[0:3], s32 offset:996
	;; [unrolled: 1-line block ×4, first 2 shown]
	s_waitcnt vmcnt(1)
	v_or_b32_e32 v1, v3, v1
	s_waitcnt vmcnt(0)
	v_or_b32_e32 v0, v4, v2
	v_mul_f32_e32 v58, v12, v1
	s_clause 0x3
	buffer_load_dword v1, off, s[0:3], s32 offset:1008
	buffer_load_dword v2, off, s[0:3], s32 offset:1012
	;; [unrolled: 1-line block ×4, first 2 shown]
	v_mul_f32_e32 v61, v12, v0
	s_waitcnt vmcnt(1)
	v_or_b32_e32 v1, v1, v3
	s_waitcnt vmcnt(0)
	v_or_b32_e32 v0, v2, v4
	v_mul_f32_e32 v59, v12, v1
	s_clause 0x3
	buffer_load_dword v1, off, s[0:3], s32 offset:960
	buffer_load_dword v2, off, s[0:3], s32 offset:964
	;; [unrolled: 1-line block ×4, first 2 shown]
	v_mul_f32_e32 v60, v12, v0
	s_waitcnt vmcnt(1)
	v_or_b32_e32 v1, v3, v1
	s_waitcnt vmcnt(0)
	v_or_b32_e32 v0, v4, v2
	v_mul_f32_e32 v42, v12, v0
	v_mul_f32_e32 v0, v12, v1
	buffer_store_dword v0, off, s[0:3], s32 offset:968 ; 4-byte Folded Spill
	s_clause 0x3
	buffer_load_dword v1, off, s[0:3], s32 offset:976
	buffer_load_dword v2, off, s[0:3], s32 offset:980
	buffer_load_dword v3, off, s[0:3], s32 offset:984
	buffer_load_dword v4, off, s[0:3], s32 offset:988
	s_waitcnt vmcnt(1)
	v_or_b32_e32 v1, v1, v3
	s_waitcnt vmcnt(0)
	v_or_b32_e32 v0, v2, v4
	v_mul_f32_e32 v0, v12, v0
	buffer_store_dword v0, off, s[0:3], s32 offset:960 ; 4-byte Folded Spill
	v_mul_f32_e32 v0, v12, v1
	buffer_store_dword v0, off, s[0:3], s32 offset:976 ; 4-byte Folded Spill
	s_clause 0x3
	buffer_load_dword v1, off, s[0:3], s32 offset:928
	buffer_load_dword v2, off, s[0:3], s32 offset:932
	buffer_load_dword v3, off, s[0:3], s32 offset:936
	buffer_load_dword v4, off, s[0:3], s32 offset:940
	s_waitcnt vmcnt(1)
	v_or_b32_e32 v1, v3, v1
	s_waitcnt vmcnt(0)
	v_or_b32_e32 v0, v4, v2
	v_mul_f32_e32 v88, v12, v1
	v_mul_f32_e32 v0, v12, v0
	buffer_store_dword v0, off, s[0:3], s32 offset:928 ; 4-byte Folded Spill
	s_clause 0x3
	buffer_load_dword v1, off, s[0:3], s32 offset:944
	buffer_load_dword v2, off, s[0:3], s32 offset:948
	;; [unrolled: 1-line block ×4, first 2 shown]
	s_waitcnt vmcnt(1)
	v_or_b32_e32 v1, v1, v3
	s_waitcnt vmcnt(0)
	v_or_b32_e32 v0, v2, v4
	v_mul_f32_e32 v89, v12, v1
	s_clause 0x3
	buffer_load_dword v1, off, s[0:3], s32 offset:896
	buffer_load_dword v2, off, s[0:3], s32 offset:900
	buffer_load_dword v3, off, s[0:3], s32 offset:904
	buffer_load_dword v4, off, s[0:3], s32 offset:908
	v_mul_f32_e32 v41, v12, v0
	s_waitcnt vmcnt(1)
	v_or_b32_e32 v1, v3, v1
	s_waitcnt vmcnt(0)
	v_or_b32_e32 v0, v4, v2
	v_mul_f32_e32 v115, v12, v1
	s_clause 0x3
	buffer_load_dword v1, off, s[0:3], s32 offset:912
	buffer_load_dword v2, off, s[0:3], s32 offset:916
	buffer_load_dword v3, off, s[0:3], s32 offset:920
	buffer_load_dword v4, off, s[0:3], s32 offset:924
	v_mul_f32_e32 v92, v12, v0
	;; [unrolled: 11-line block ×8, first 2 shown]
	s_waitcnt vmcnt(1)
	v_or_b32_e32 v1, v1, v3
	s_waitcnt vmcnt(0)
	v_or_b32_e32 v0, v2, v4
	v_mul_f32_e32 v20, v12, v1
	v_mul_f32_e32 v126, v12, v0
	s_clause 0x3
	buffer_load_dword v0, off, s[0:3], s32 offset:768
	buffer_load_dword v1, off, s[0:3], s32 offset:772
	buffer_load_dword v2, off, s[0:3], s32 offset:776
	buffer_load_dword v3, off, s[0:3], s32 offset:780
	s_waitcnt vmcnt(1)
	v_or_b32_e32 v6, v2, v0
	s_waitcnt vmcnt(0)
	v_or_b32_e32 v1, v3, v1
	v_mul_f32_e32 v48, v12, v6
	v_mul_f32_e32 v74, v12, v1
	s_clause 0x3
	buffer_load_dword v0, off, s[0:3], s32 offset:784
	buffer_load_dword v1, off, s[0:3], s32 offset:788
	buffer_load_dword v2, off, s[0:3], s32 offset:792
	buffer_load_dword v3, off, s[0:3], s32 offset:796
	;; [unrolled: 11-line block ×3, first 2 shown]
	s_waitcnt vmcnt(1)
	v_or_b32_e32 v7, v2, v0
	s_waitcnt vmcnt(0)
	v_or_b32_e32 v6, v3, v1
	s_clause 0x3
	buffer_load_dword v0, off, s[0:3], s32 offset:752
	buffer_load_dword v1, off, s[0:3], s32 offset:756
	buffer_load_dword v2, off, s[0:3], s32 offset:760
	buffer_load_dword v3, off, s[0:3], s32 offset:764
	v_mul_f32_e32 v19, v12, v7
	v_mul_f32_e32 v26, v12, v6
	s_waitcnt vmcnt(1)
	v_or_b32_e32 v7, v0, v2
	s_waitcnt vmcnt(0)
	v_or_b32_e32 v6, v1, v3
	s_clause 0x3
	buffer_load_dword v0, off, s[0:3], s32 offset:704
	buffer_load_dword v1, off, s[0:3], s32 offset:708
	buffer_load_dword v2, off, s[0:3], s32 offset:712
	buffer_load_dword v3, off, s[0:3], s32 offset:716
	v_mul_f32_e32 v31, v12, v7
	v_mul_f32_e32 v22, v12, v6
	;; [unrolled: 11-line block ×34, first 2 shown]
	s_waitcnt vmcnt(1)
	v_or_b32_e32 v46, v2, v0
	s_waitcnt vmcnt(0)
	v_or_b32_e32 v45, v3, v1
	s_clause 0x8
	buffer_load_dword v0, off, s[0:3], s32 offset:208
	buffer_load_dword v1, off, s[0:3], s32 offset:212
	;; [unrolled: 1-line block ×9, first 2 shown]
	v_mul_f32_e32 v46, v12, v46
	v_mul_f32_e32 v14, v12, v45
	s_waitcnt vmcnt(6)
	v_or_b32_e32 v39, v0, v2
	s_waitcnt vmcnt(5)
	v_or_b32_e32 v45, v1, v3
	s_clause 0x3
	buffer_load_dword v0, off, s[0:3], s32 offset:1548
	buffer_load_dword v1, off, s[0:3], s32 offset:1552
	;; [unrolled: 1-line block ×4, first 2 shown]
	s_waitcnt vmcnt(5)
	v_mul_f32_e32 v94, v6, v124
	s_waitcnt vmcnt(4)
	v_mul_f32_e32 v95, v7, v125
	v_mul_f32_e32 v39, v12, v39
	;; [unrolled: 1-line block ×5, first 2 shown]
	v_sub_nc_u32_e32 v45, 1, v78
	v_add_nc_u32_e32 v45, v45, v56
	v_add_nc_u32_e32 v56, 0x80, v56
	v_cvt_f32_i32_e32 v45, v45
	v_mul_f32_e32 v45, v63, v45
	v_cndmask_b32_e32 v45, 0, v45, vcc_lo
	s_waitcnt vmcnt(3)
	v_fmac_f32_e32 v12, v0, v46
	s_waitcnt vmcnt(2)
	v_fmac_f32_e32 v90, v1, v14
	s_waitcnt vmcnt(1)
	v_fmac_f32_e32 v94, v2, v39
	s_waitcnt vmcnt(0)
	v_fmac_f32_e32 v95, v3, v15
	s_clause 0x3
	buffer_load_dword v0, off, s[0:3], s32 offset:1580
	buffer_load_dword v1, off, s[0:3], s32 offset:1584
	buffer_load_dword v2, off, s[0:3], s32 offset:1588
	buffer_load_dword v3, off, s[0:3], s32 offset:1592
	s_waitcnt vmcnt(3)
	v_fmac_f32_e32 v12, v0, v108
	s_waitcnt vmcnt(2)
	v_fmac_f32_e32 v90, v1, v113
	s_waitcnt vmcnt(1)
	v_fmac_f32_e32 v94, v2, v104
	s_waitcnt vmcnt(0)
	v_fmac_f32_e32 v95, v3, v109
	s_clause 0x3
	buffer_load_dword v0, off, s[0:3], s32 offset:1596
	buffer_load_dword v1, off, s[0:3], s32 offset:1600
	buffer_load_dword v2, off, s[0:3], s32 offset:1604
	buffer_load_dword v3, off, s[0:3], s32 offset:1608
	;; [unrolled: 13-line block ×22, first 2 shown]
	s_waitcnt vmcnt(3)
	v_fmac_f32_e32 v12, v0, v88
	buffer_load_dword v0, off, s[0:3], s32 offset:928 ; 4-byte Folded Reload
	s_waitcnt vmcnt(2)
	v_fmac_f32_e32 v94, v2, v89
	s_waitcnt vmcnt(1)
	v_fmac_f32_e32 v95, v3, v41
	s_waitcnt vmcnt(0)
	v_fmac_f32_e32 v90, v1, v0
	s_clause 0x4
	buffer_load_dword v0, off, s[0:3], s32 offset:1932
	buffer_load_dword v1, off, s[0:3], s32 offset:1936
	;; [unrolled: 1-line block ×5, first 2 shown]
	s_waitcnt vmcnt(3)
	v_fmac_f32_e32 v90, v1, v42
	s_waitcnt vmcnt(0)
	v_fmac_f32_e32 v12, v0, v4
	buffer_load_dword v0, off, s[0:3], s32 offset:976 ; 4-byte Folded Reload
	s_waitcnt vmcnt(0)
	v_fmac_f32_e32 v94, v2, v0
	buffer_load_dword v0, off, s[0:3], s32 offset:960 ; 4-byte Folded Reload
	s_waitcnt vmcnt(0)
	v_fmac_f32_e32 v95, v3, v0
	s_clause 0x3
	buffer_load_dword v0, off, s[0:3], s32 offset:1948
	buffer_load_dword v1, off, s[0:3], s32 offset:1952
	;; [unrolled: 1-line block ×4, first 2 shown]
	s_waitcnt vmcnt(3)
	v_fmac_f32_e32 v12, v0, v58
	s_waitcnt vmcnt(2)
	v_fmac_f32_e32 v90, v1, v61
	;; [unrolled: 2-line block ×4, first 2 shown]
	s_clause 0x3
	buffer_load_dword v0, off, s[0:3], s32 offset:1964
	buffer_load_dword v1, off, s[0:3], s32 offset:1968
	;; [unrolled: 1-line block ×4, first 2 shown]
	s_waitcnt vmcnt(3)
	v_fmac_f32_e32 v12, v0, v62
	buffer_load_dword v0, off, s[0:3], s32 offset:1024 ; 4-byte Folded Reload
	s_waitcnt vmcnt(2)
	v_fmac_f32_e32 v94, v2, v72
	s_waitcnt vmcnt(0)
	v_fmac_f32_e32 v90, v1, v0
	buffer_load_dword v0, off, s[0:3], s32 offset:1032 ; 4-byte Folded Reload
	s_waitcnt vmcnt(0)
	v_fmac_f32_e32 v95, v3, v0
	s_clause 0x4
	buffer_load_dword v0, off, s[0:3], s32 offset:1980
	buffer_load_dword v1, off, s[0:3], s32 offset:1984
	buffer_load_dword v2, off, s[0:3], s32 offset:1988
	buffer_load_dword v3, off, s[0:3], s32 offset:1992
	buffer_load_dword v4, off, s[0:3], s32 offset:1112
	s_waitcnt vmcnt(0)
	v_fmac_f32_e32 v12, v0, v4
	buffer_load_dword v0, off, s[0:3], s32 offset:1056 ; 4-byte Folded Reload
	s_waitcnt vmcnt(0)
	v_fmac_f32_e32 v90, v1, v0
	buffer_load_dword v0, off, s[0:3], s32 offset:1072 ; 4-byte Folded Reload
	s_waitcnt vmcnt(0)
	v_fmac_f32_e32 v94, v2, v0
	buffer_load_dword v0, off, s[0:3], s32 offset:1064 ; 4-byte Folded Reload
	s_waitcnt vmcnt(0)
	v_fmac_f32_e32 v95, v3, v0
	s_clause 0x4
	buffer_load_dword v0, off, s[0:3], s32 offset:1996
	buffer_load_dword v1, off, s[0:3], s32 offset:2000
	buffer_load_dword v2, off, s[0:3], s32 offset:2004
	buffer_load_dword v3, off, s[0:3], s32 offset:2008
	buffer_load_dword v4, off, s[0:3], s32 offset:1144
	s_waitcnt vmcnt(0)
	v_fmac_f32_e32 v12, v0, v4
	buffer_load_dword v0, off, s[0:3], s32 offset:1088 ; 4-byte Folded Reload
	s_waitcnt vmcnt(0)
	v_fmac_f32_e32 v90, v1, v0
	buffer_load_dword v0, off, s[0:3], s32 offset:1104 ; 4-byte Folded Reload
	;; [unrolled: 17-line block ×20, first 2 shown]
	s_waitcnt vmcnt(0)
	v_fmac_f32_e32 v94, v2, v0
	buffer_load_dword v0, off, s[0:3], s32 offset:1308 ; 4-byte Folded Reload
	s_waitcnt vmcnt(0)
	v_fmac_f32_e32 v95, v3, v0
	s_clause 0x4
	buffer_load_dword v0, off, s[0:3], s32 offset:2300
	buffer_load_dword v1, off, s[0:3], s32 offset:2304
	;; [unrolled: 1-line block ×5, first 2 shown]
	s_waitcnt vmcnt(4)
	v_fmac_f32_e32 v12, v0, v77
	s_waitcnt vmcnt(3)
	v_fmac_f32_e32 v90, v1, v76
	buffer_load_dword v1, off, s[0:3], s32 offset:1532 ; 4-byte Folded Reload
	s_waitcnt vmcnt(3)
	v_fmac_f32_e32 v94, v2, v9
	s_waitcnt vmcnt(2)
	v_fmac_f32_e32 v95, v3, v8
	v_add_f32_e32 v0, v12, v90
	v_add_f32_e32 v0, v94, v0
	;; [unrolled: 1-line block ×3, first 2 shown]
	s_waitcnt vmcnt(0)
	v_fmac_f32_e32 v45, v1, v0
	v_cndmask_b32_e64 v0, 0, v45, s5
	ds_write_b32 v79, v0
	v_max_f32_e32 v0, v4, v4
	s_clause 0x1
	buffer_load_dword v5, off, s[0:3], s32 offset:1296
	buffer_load_dword v6, off, s[0:3], s32 offset:1300
	v_add_nc_u32_e32 v79, 0x200, v79
	v_max_f32_e32 v0, v0, v45
	v_cndmask_b32_e64 v4, v4, v0, s5
	buffer_load_dword v0, off, s[0:3], s32 offset:1280 ; 4-byte Folded Reload
	s_waitcnt vmcnt(2)
	v_add_co_u32 v5, s5, v5, 16
	s_waitcnt vmcnt(1)
	v_add_co_ci_u32_e64 v6, null, 0, v6, s5
	s_waitcnt vmcnt(0)
	v_cmp_ge_i32_e64 s5, v120, v0
	s_or_b32 s17, s5, s17
	s_andn2_b32 exec_lo, exec_lo, s17
	s_cbranch_execz .LBB257_1544
.LBB257_11:                             ; =>This Inner Loop Header: Depth=1
	buffer_store_dword v120, off, s[0:3], s32 offset:1272 ; 4-byte Folded Spill
	buffer_store_dword v4, off, s[0:3], s32 offset:1292 ; 4-byte Folded Spill
	;; [unrolled: 1-line block ×4, first 2 shown]
	v_mov_b32_e32 v47, v79
	v_mov_b32_e32 v82, v56
	flat_load_dword v0, v[5:6]
	s_clause 0x2
	buffer_load_dword v1, off, s[0:3], s32 offset:1276
	buffer_load_dword v2, off, s[0:3], s32 offset:1540
	;; [unrolled: 1-line block ×3, first 2 shown]
	s_waitcnt vmcnt(0) lgkmcnt(0)
	v_mad_i64_i32 v[21:22], null, v0, v1, v[2:3]
	flat_load_dword v0, v[21:22]
	s_clause 0x1
	buffer_load_dword v1, off, s[0:3], s32 offset:1524
	buffer_load_dword v2, off, s[0:3], s32 offset:1528
	s_waitcnt vmcnt(2) lgkmcnt(0)
	v_cmp_ne_u16_sdwa s5, v0, v57 src0_sel:BYTE_0 src1_sel:DWORD
	s_waitcnt vmcnt(0)
	flat_load_dword v12, v[1:2]
	v_mov_b32_e32 v1, 0
	v_mov_b32_e32 v2, 0
	buffer_store_dword v1, off, s[0:3], s32 offset:200 ; 4-byte Folded Spill
	buffer_store_dword v2, off, s[0:3], s32 offset:204 ; 4-byte Folded Spill
	v_mov_b32_e32 v1, 0
	v_mov_b32_e32 v2, 0
	buffer_store_dword v1, off, s[0:3], s32 offset:192 ; 4-byte Folded Spill
	buffer_store_dword v2, off, s[0:3], s32 offset:196 ; 4-byte Folded Spill
	s_and_saveexec_b32 s6, s5
	s_cbranch_execz .LBB257_19
; %bb.12:                               ;   in Loop: Header=BB257_11 Depth=1
	v_bfrev_b32_e32 v1, 1
	v_mov_b32_e32 v2, 0
	buffer_store_dword v1, off, s[0:3], s32 offset:192 ; 4-byte Folded Spill
	buffer_store_dword v2, off, s[0:3], s32 offset:196 ; 4-byte Folded Spill
	v_mov_b32_e32 v1, 0x80
	v_cmp_ne_u16_sdwa s5, v0, v1 src0_sel:BYTE_0 src1_sel:DWORD
	s_and_saveexec_b32 s7, s5
	s_cbranch_execz .LBB257_18
; %bb.13:                               ;   in Loop: Header=BB257_11 Depth=1
	v_mov_b32_e32 v3, 0x7f800001
	v_and_b32_e32 v2, 0x7f, v0
	v_mov_b32_e32 v4, 0
	s_mov_b32 s19, exec_lo
	buffer_store_dword v3, off, s[0:3], s32 offset:192 ; 4-byte Folded Spill
	buffer_store_dword v4, off, s[0:3], s32 offset:196 ; 4-byte Folded Spill
	v_cmpx_ne_u32_e32 0x7f, v2
	s_cbranch_execz .LBB257_17
; %bb.14:                               ;   in Loop: Header=BB257_11 Depth=1
	v_and_b32_e32 v56, 7, v0
	v_lshrrev_b32_e32 v1, 3, v2
	s_mov_b32 s22, exec_lo
	v_cmpx_gt_u32_e32 8, v2
; %bb.15:                               ;   in Loop: Header=BB257_11 Depth=1
	v_ffbh_u32_e32 v1, v56
	v_min_u32_e32 v1, 32, v1
	v_subrev_nc_u32_e32 v2, 28, v1
	v_sub_nc_u32_e32 v1, 29, v1
	v_lshlrev_b64 v[2:3], v2, v[56:57]
	v_and_b32_e32 v56, 7, v2
; %bb.16:                               ;   in Loop: Header=BB257_11 Depth=1
	s_or_b32 exec_lo, exec_lo, s22
	v_lshlrev_b32_e32 v2, 24, v0
	v_lshlrev_b32_e32 v3, 20, v56
	v_lshl_add_u32 v1, v1, 23, 0x3c000000
	v_and_b32_e32 v2, 0x80000000, v2
	v_or3_b32 v56, v3, v2, v1
	buffer_store_dword v56, off, s[0:3], s32 offset:192 ; 4-byte Folded Spill
	buffer_store_dword v57, off, s[0:3], s32 offset:196 ; 4-byte Folded Spill
.LBB257_17:                             ;   in Loop: Header=BB257_11 Depth=1
	s_or_b32 exec_lo, exec_lo, s19
.LBB257_18:                             ;   in Loop: Header=BB257_11 Depth=1
	s_or_b32 exec_lo, exec_lo, s7
.LBB257_19:                             ;   in Loop: Header=BB257_11 Depth=1
	s_or_b32 exec_lo, exec_lo, s6
	v_cmp_ne_u16_sdwa s5, v0, v57 src0_sel:BYTE_1 src1_sel:DWORD
	s_and_saveexec_b32 s6, s5
	s_cbranch_execz .LBB257_27
; %bb.20:                               ;   in Loop: Header=BB257_11 Depth=1
	v_mov_b32_e32 v1, 0x80
	v_mov_b32_e32 v90, v57
	buffer_store_dword v90, off, s[0:3], s32 offset:200 ; 4-byte Folded Spill
	buffer_store_dword v91, off, s[0:3], s32 offset:204 ; 4-byte Folded Spill
	v_cmp_ne_u16_sdwa s5, v0, v1 src0_sel:BYTE_1 src1_sel:DWORD
	s_and_saveexec_b32 s7, s5
	s_cbranch_execz .LBB257_26
; %bb.21:                               ;   in Loop: Header=BB257_11 Depth=1
	v_mov_b32_e32 v1, 0xffff
	v_mov_b32_e32 v120, v57
	s_mov_b32 s19, exec_lo
	buffer_store_dword v120, off, s[0:3], s32 offset:200 ; 4-byte Folded Spill
	buffer_store_dword v121, off, s[0:3], s32 offset:204 ; 4-byte Folded Spill
	v_and_b32_sdwa v1, v1, v0 dst_sel:DWORD dst_unused:UNUSED_PAD src0_sel:DWORD src1_sel:BYTE_1
	v_and_b32_e32 v2, 0x7f, v1
	v_cmpx_ne_u32_e32 0x7f, v2
	s_cbranch_execz .LBB257_25
; %bb.22:                               ;   in Loop: Header=BB257_11 Depth=1
	v_and_b32_e32 v56, 7, v1
	v_lshrrev_b32_e32 v1, 3, v2
	s_mov_b32 s22, exec_lo
	v_cmpx_gt_u32_e32 8, v2
; %bb.23:                               ;   in Loop: Header=BB257_11 Depth=1
	v_ffbh_u32_e32 v1, v56
	v_min_u32_e32 v1, 32, v1
	v_subrev_nc_u32_e32 v2, 28, v1
	v_sub_nc_u32_e32 v1, 29, v1
	v_lshlrev_b64 v[2:3], v2, v[56:57]
	v_and_b32_e32 v56, 7, v2
; %bb.24:                               ;   in Loop: Header=BB257_11 Depth=1
	s_or_b32 exec_lo, exec_lo, s22
	v_lshlrev_b32_e32 v2, 16, v0
	v_lshlrev_b32_e32 v3, 20, v56
	v_lshl_add_u32 v1, v1, 23, 0x3c000000
	v_and_b32_e32 v2, 0x80000000, v2
	v_or3_b32 v2, v3, v2, v1
	v_mov_b32_e32 v1, v57
	buffer_store_dword v1, off, s[0:3], s32 offset:200 ; 4-byte Folded Spill
	buffer_store_dword v2, off, s[0:3], s32 offset:204 ; 4-byte Folded Spill
.LBB257_25:                             ;   in Loop: Header=BB257_11 Depth=1
	s_or_b32 exec_lo, exec_lo, s19
.LBB257_26:                             ;   in Loop: Header=BB257_11 Depth=1
	s_or_b32 exec_lo, exec_lo, s7
.LBB257_27:                             ;   in Loop: Header=BB257_11 Depth=1
	s_or_b32 exec_lo, exec_lo, s6
	v_mov_b32_e32 v2, 0
	v_mov_b32_e32 v3, 0
	;; [unrolled: 1-line block ×3, first 2 shown]
	s_mov_b32 s6, exec_lo
	buffer_store_dword v2, off, s[0:3], s32 offset:208 ; 4-byte Folded Spill
	buffer_store_dword v3, off, s[0:3], s32 offset:212 ; 4-byte Folded Spill
	v_mov_b32_e32 v2, 0
	v_and_b32_sdwa v1, v0, v1 dst_sel:DWORD dst_unused:UNUSED_PAD src0_sel:WORD_1 src1_sel:DWORD
	v_mov_b32_e32 v3, 0
	buffer_store_dword v2, off, s[0:3], s32 offset:216 ; 4-byte Folded Spill
	buffer_store_dword v3, off, s[0:3], s32 offset:220 ; 4-byte Folded Spill
	v_cmpx_ne_u16_e32 0, v1
	s_cbranch_execz .LBB257_35
; %bb.28:                               ;   in Loop: Header=BB257_11 Depth=1
	v_cmp_ne_u16_e64 s5, 0x80, v1
	v_bfrev_b32_e32 v1, 1
	v_mov_b32_e32 v2, 0
	buffer_store_dword v1, off, s[0:3], s32 offset:216 ; 4-byte Folded Spill
	buffer_store_dword v2, off, s[0:3], s32 offset:220 ; 4-byte Folded Spill
	s_and_saveexec_b32 s7, s5
	s_cbranch_execz .LBB257_34
; %bb.29:                               ;   in Loop: Header=BB257_11 Depth=1
	v_mov_b32_e32 v3, 0x7f800001
	v_bfe_u32 v2, v0, 16, 7
	v_mov_b32_e32 v4, 0
	s_mov_b32 s19, exec_lo
	buffer_store_dword v3, off, s[0:3], s32 offset:216 ; 4-byte Folded Spill
	buffer_store_dword v4, off, s[0:3], s32 offset:220 ; 4-byte Folded Spill
	v_cmpx_ne_u32_e32 0x7f, v2
	s_cbranch_execz .LBB257_33
; %bb.30:                               ;   in Loop: Header=BB257_11 Depth=1
	v_mov_b32_e32 v1, 7
	s_mov_b32 s22, exec_lo
	v_and_b32_sdwa v56, v0, v1 dst_sel:DWORD dst_unused:UNUSED_PAD src0_sel:WORD_1 src1_sel:DWORD
	v_lshrrev_b32_e32 v1, 3, v2
	v_cmpx_gt_u32_e32 8, v2
; %bb.31:                               ;   in Loop: Header=BB257_11 Depth=1
	v_ffbh_u32_e32 v1, v56
	v_min_u32_e32 v1, 32, v1
	v_subrev_nc_u32_e32 v2, 28, v1
	v_sub_nc_u32_e32 v1, 29, v1
	v_lshlrev_b64 v[2:3], v2, v[56:57]
	v_and_b32_e32 v56, 7, v2
; %bb.32:                               ;   in Loop: Header=BB257_11 Depth=1
	s_or_b32 exec_lo, exec_lo, s22
	v_mov_b32_e32 v2, 24
	v_lshlrev_b32_e32 v3, 20, v56
	v_lshl_add_u32 v1, v1, 23, 0x3c000000
	v_lshlrev_b32_sdwa v2, v2, v0 dst_sel:DWORD dst_unused:UNUSED_PAD src0_sel:DWORD src1_sel:WORD_1
	v_and_b32_e32 v2, 0x80000000, v2
	v_or3_b32 v56, v3, v2, v1
	buffer_store_dword v56, off, s[0:3], s32 offset:216 ; 4-byte Folded Spill
	buffer_store_dword v57, off, s[0:3], s32 offset:220 ; 4-byte Folded Spill
.LBB257_33:                             ;   in Loop: Header=BB257_11 Depth=1
	s_or_b32 exec_lo, exec_lo, s19
.LBB257_34:                             ;   in Loop: Header=BB257_11 Depth=1
	s_or_b32 exec_lo, exec_lo, s7
.LBB257_35:                             ;   in Loop: Header=BB257_11 Depth=1
	s_or_b32 exec_lo, exec_lo, s6
	s_mov_b32 s6, exec_lo
	v_cmpx_lt_u32_e32 0xffffff, v0
	s_cbranch_execz .LBB257_43
; %bb.36:                               ;   in Loop: Header=BB257_11 Depth=1
	v_mov_b32_e32 v1, 0x80
	v_mov_b32_e32 v90, v57
	buffer_store_dword v90, off, s[0:3], s32 offset:208 ; 4-byte Folded Spill
	buffer_store_dword v91, off, s[0:3], s32 offset:212 ; 4-byte Folded Spill
	v_cmp_ne_u32_sdwa s5, v0, v1 src0_sel:BYTE_3 src1_sel:DWORD
	s_and_saveexec_b32 s7, s5
	s_cbranch_execz .LBB257_42
; %bb.37:                               ;   in Loop: Header=BB257_11 Depth=1
	v_bfe_u32 v2, v0, 24, 7
	v_mov_b32_e32 v120, v57
	s_mov_b32 s19, exec_lo
	buffer_store_dword v120, off, s[0:3], s32 offset:208 ; 4-byte Folded Spill
	buffer_store_dword v121, off, s[0:3], s32 offset:212 ; 4-byte Folded Spill
	v_cmpx_ne_u32_e32 0x7f, v2
	s_cbranch_execz .LBB257_41
; %bb.38:                               ;   in Loop: Header=BB257_11 Depth=1
	v_mov_b32_e32 v1, 7
	s_mov_b32 s22, exec_lo
	v_and_b32_sdwa v56, v0, v1 dst_sel:DWORD dst_unused:UNUSED_PAD src0_sel:BYTE_3 src1_sel:DWORD
	v_lshrrev_b32_e32 v1, 3, v2
	v_cmpx_gt_u32_e32 8, v2
; %bb.39:                               ;   in Loop: Header=BB257_11 Depth=1
	v_ffbh_u32_e32 v1, v56
	v_min_u32_e32 v1, 32, v1
	v_subrev_nc_u32_e32 v2, 28, v1
	v_sub_nc_u32_e32 v1, 29, v1
	v_lshlrev_b64 v[2:3], v2, v[56:57]
	v_and_b32_e32 v56, 7, v2
; %bb.40:                               ;   in Loop: Header=BB257_11 Depth=1
	s_or_b32 exec_lo, exec_lo, s22
	v_mov_b32_e32 v2, 24
	v_lshl_add_u32 v1, v1, 23, 0x3c000000
	v_lshlrev_b32_sdwa v0, v2, v0 dst_sel:DWORD dst_unused:UNUSED_PAD src0_sel:DWORD src1_sel:BYTE_3
	v_lshlrev_b32_e32 v2, 20, v56
	v_and_b32_e32 v0, 0x80000000, v0
	v_or3_b32 v1, v2, v0, v1
	v_mov_b32_e32 v0, v57
	buffer_store_dword v0, off, s[0:3], s32 offset:208 ; 4-byte Folded Spill
	buffer_store_dword v1, off, s[0:3], s32 offset:212 ; 4-byte Folded Spill
.LBB257_41:                             ;   in Loop: Header=BB257_11 Depth=1
	s_or_b32 exec_lo, exec_lo, s19
.LBB257_42:                             ;   in Loop: Header=BB257_11 Depth=1
	s_or_b32 exec_lo, exec_lo, s7
.LBB257_43:                             ;   in Loop: Header=BB257_11 Depth=1
	s_or_b32 exec_lo, exec_lo, s6
	flat_load_dword v0, v[21:22] offset:4
	v_mov_b32_e32 v1, 0
	v_mov_b32_e32 v2, 0
	buffer_store_dword v1, off, s[0:3], s32 offset:232 ; 4-byte Folded Spill
	buffer_store_dword v2, off, s[0:3], s32 offset:236 ; 4-byte Folded Spill
	v_mov_b32_e32 v1, 0
	v_mov_b32_e32 v2, 0
	buffer_store_dword v1, off, s[0:3], s32 offset:224 ; 4-byte Folded Spill
	buffer_store_dword v2, off, s[0:3], s32 offset:228 ; 4-byte Folded Spill
	s_waitcnt vmcnt(0) lgkmcnt(0)
	v_cmp_ne_u16_sdwa s5, v0, v57 src0_sel:BYTE_0 src1_sel:DWORD
	s_and_saveexec_b32 s6, s5
	s_cbranch_execz .LBB257_51
; %bb.44:                               ;   in Loop: Header=BB257_11 Depth=1
	v_bfrev_b32_e32 v1, 1
	v_mov_b32_e32 v2, 0
	buffer_store_dword v1, off, s[0:3], s32 offset:224 ; 4-byte Folded Spill
	buffer_store_dword v2, off, s[0:3], s32 offset:228 ; 4-byte Folded Spill
	v_mov_b32_e32 v1, 0x80
	v_cmp_ne_u16_sdwa s5, v0, v1 src0_sel:BYTE_0 src1_sel:DWORD
	s_and_saveexec_b32 s7, s5
	s_cbranch_execz .LBB257_50
; %bb.45:                               ;   in Loop: Header=BB257_11 Depth=1
	v_mov_b32_e32 v3, 0x7f800001
	v_and_b32_e32 v2, 0x7f, v0
	v_mov_b32_e32 v4, 0
	s_mov_b32 s19, exec_lo
	buffer_store_dword v3, off, s[0:3], s32 offset:224 ; 4-byte Folded Spill
	buffer_store_dword v4, off, s[0:3], s32 offset:228 ; 4-byte Folded Spill
	v_cmpx_ne_u32_e32 0x7f, v2
	s_cbranch_execz .LBB257_49
; %bb.46:                               ;   in Loop: Header=BB257_11 Depth=1
	v_and_b32_e32 v56, 7, v0
	v_lshrrev_b32_e32 v1, 3, v2
	s_mov_b32 s22, exec_lo
	v_cmpx_gt_u32_e32 8, v2
; %bb.47:                               ;   in Loop: Header=BB257_11 Depth=1
	v_ffbh_u32_e32 v1, v56
	v_min_u32_e32 v1, 32, v1
	v_subrev_nc_u32_e32 v2, 28, v1
	v_sub_nc_u32_e32 v1, 29, v1
	v_lshlrev_b64 v[2:3], v2, v[56:57]
	v_and_b32_e32 v56, 7, v2
; %bb.48:                               ;   in Loop: Header=BB257_11 Depth=1
	s_or_b32 exec_lo, exec_lo, s22
	v_lshlrev_b32_e32 v2, 24, v0
	v_lshlrev_b32_e32 v3, 20, v56
	v_lshl_add_u32 v1, v1, 23, 0x3c000000
	v_and_b32_e32 v2, 0x80000000, v2
	v_or3_b32 v56, v3, v2, v1
	buffer_store_dword v56, off, s[0:3], s32 offset:224 ; 4-byte Folded Spill
	buffer_store_dword v57, off, s[0:3], s32 offset:228 ; 4-byte Folded Spill
.LBB257_49:                             ;   in Loop: Header=BB257_11 Depth=1
	s_or_b32 exec_lo, exec_lo, s19
.LBB257_50:                             ;   in Loop: Header=BB257_11 Depth=1
	s_or_b32 exec_lo, exec_lo, s7
.LBB257_51:                             ;   in Loop: Header=BB257_11 Depth=1
	s_or_b32 exec_lo, exec_lo, s6
	v_cmp_ne_u16_sdwa s5, v0, v57 src0_sel:BYTE_1 src1_sel:DWORD
	s_and_saveexec_b32 s6, s5
	s_cbranch_execz .LBB257_59
; %bb.52:                               ;   in Loop: Header=BB257_11 Depth=1
	v_mov_b32_e32 v1, 0x80
	v_mov_b32_e32 v90, v57
	buffer_store_dword v90, off, s[0:3], s32 offset:232 ; 4-byte Folded Spill
	buffer_store_dword v91, off, s[0:3], s32 offset:236 ; 4-byte Folded Spill
	v_cmp_ne_u16_sdwa s5, v0, v1 src0_sel:BYTE_1 src1_sel:DWORD
	s_and_saveexec_b32 s7, s5
	s_cbranch_execz .LBB257_58
; %bb.53:                               ;   in Loop: Header=BB257_11 Depth=1
	v_mov_b32_e32 v1, 0xffff
	v_mov_b32_e32 v120, v57
	s_mov_b32 s19, exec_lo
	buffer_store_dword v120, off, s[0:3], s32 offset:232 ; 4-byte Folded Spill
	buffer_store_dword v121, off, s[0:3], s32 offset:236 ; 4-byte Folded Spill
	v_and_b32_sdwa v1, v1, v0 dst_sel:DWORD dst_unused:UNUSED_PAD src0_sel:DWORD src1_sel:BYTE_1
	v_and_b32_e32 v2, 0x7f, v1
	v_cmpx_ne_u32_e32 0x7f, v2
	s_cbranch_execz .LBB257_57
; %bb.54:                               ;   in Loop: Header=BB257_11 Depth=1
	v_and_b32_e32 v56, 7, v1
	v_lshrrev_b32_e32 v1, 3, v2
	s_mov_b32 s22, exec_lo
	v_cmpx_gt_u32_e32 8, v2
; %bb.55:                               ;   in Loop: Header=BB257_11 Depth=1
	v_ffbh_u32_e32 v1, v56
	v_min_u32_e32 v1, 32, v1
	v_subrev_nc_u32_e32 v2, 28, v1
	v_sub_nc_u32_e32 v1, 29, v1
	v_lshlrev_b64 v[2:3], v2, v[56:57]
	v_and_b32_e32 v56, 7, v2
; %bb.56:                               ;   in Loop: Header=BB257_11 Depth=1
	s_or_b32 exec_lo, exec_lo, s22
	v_lshlrev_b32_e32 v2, 16, v0
	v_lshlrev_b32_e32 v3, 20, v56
	v_lshl_add_u32 v1, v1, 23, 0x3c000000
	v_and_b32_e32 v2, 0x80000000, v2
	v_or3_b32 v2, v3, v2, v1
	v_mov_b32_e32 v1, v57
	buffer_store_dword v1, off, s[0:3], s32 offset:232 ; 4-byte Folded Spill
	buffer_store_dword v2, off, s[0:3], s32 offset:236 ; 4-byte Folded Spill
.LBB257_57:                             ;   in Loop: Header=BB257_11 Depth=1
	s_or_b32 exec_lo, exec_lo, s19
.LBB257_58:                             ;   in Loop: Header=BB257_11 Depth=1
	s_or_b32 exec_lo, exec_lo, s7
.LBB257_59:                             ;   in Loop: Header=BB257_11 Depth=1
	s_or_b32 exec_lo, exec_lo, s6
	v_mov_b32_e32 v2, 0
	v_mov_b32_e32 v3, 0
	;; [unrolled: 1-line block ×3, first 2 shown]
	s_mov_b32 s6, exec_lo
	buffer_store_dword v2, off, s[0:3], s32 offset:240 ; 4-byte Folded Spill
	buffer_store_dword v3, off, s[0:3], s32 offset:244 ; 4-byte Folded Spill
	v_mov_b32_e32 v2, 0
	v_and_b32_sdwa v1, v0, v1 dst_sel:DWORD dst_unused:UNUSED_PAD src0_sel:WORD_1 src1_sel:DWORD
	v_mov_b32_e32 v3, 0
	buffer_store_dword v2, off, s[0:3], s32 offset:248 ; 4-byte Folded Spill
	buffer_store_dword v3, off, s[0:3], s32 offset:252 ; 4-byte Folded Spill
	v_cmpx_ne_u16_e32 0, v1
	s_cbranch_execz .LBB257_67
; %bb.60:                               ;   in Loop: Header=BB257_11 Depth=1
	v_cmp_ne_u16_e64 s5, 0x80, v1
	v_bfrev_b32_e32 v1, 1
	v_mov_b32_e32 v2, 0
	buffer_store_dword v1, off, s[0:3], s32 offset:248 ; 4-byte Folded Spill
	buffer_store_dword v2, off, s[0:3], s32 offset:252 ; 4-byte Folded Spill
	s_and_saveexec_b32 s7, s5
	s_cbranch_execz .LBB257_66
; %bb.61:                               ;   in Loop: Header=BB257_11 Depth=1
	v_mov_b32_e32 v3, 0x7f800001
	v_bfe_u32 v2, v0, 16, 7
	v_mov_b32_e32 v4, 0
	s_mov_b32 s19, exec_lo
	buffer_store_dword v3, off, s[0:3], s32 offset:248 ; 4-byte Folded Spill
	buffer_store_dword v4, off, s[0:3], s32 offset:252 ; 4-byte Folded Spill
	v_cmpx_ne_u32_e32 0x7f, v2
	s_cbranch_execz .LBB257_65
; %bb.62:                               ;   in Loop: Header=BB257_11 Depth=1
	v_mov_b32_e32 v1, 7
	s_mov_b32 s22, exec_lo
	v_and_b32_sdwa v56, v0, v1 dst_sel:DWORD dst_unused:UNUSED_PAD src0_sel:WORD_1 src1_sel:DWORD
	v_lshrrev_b32_e32 v1, 3, v2
	v_cmpx_gt_u32_e32 8, v2
; %bb.63:                               ;   in Loop: Header=BB257_11 Depth=1
	v_ffbh_u32_e32 v1, v56
	v_min_u32_e32 v1, 32, v1
	v_subrev_nc_u32_e32 v2, 28, v1
	v_sub_nc_u32_e32 v1, 29, v1
	v_lshlrev_b64 v[2:3], v2, v[56:57]
	v_and_b32_e32 v56, 7, v2
; %bb.64:                               ;   in Loop: Header=BB257_11 Depth=1
	s_or_b32 exec_lo, exec_lo, s22
	v_mov_b32_e32 v2, 24
	v_lshlrev_b32_e32 v3, 20, v56
	v_lshl_add_u32 v1, v1, 23, 0x3c000000
	v_lshlrev_b32_sdwa v2, v2, v0 dst_sel:DWORD dst_unused:UNUSED_PAD src0_sel:DWORD src1_sel:WORD_1
	v_and_b32_e32 v2, 0x80000000, v2
	v_or3_b32 v56, v3, v2, v1
	buffer_store_dword v56, off, s[0:3], s32 offset:248 ; 4-byte Folded Spill
	buffer_store_dword v57, off, s[0:3], s32 offset:252 ; 4-byte Folded Spill
.LBB257_65:                             ;   in Loop: Header=BB257_11 Depth=1
	s_or_b32 exec_lo, exec_lo, s19
.LBB257_66:                             ;   in Loop: Header=BB257_11 Depth=1
	s_or_b32 exec_lo, exec_lo, s7
.LBB257_67:                             ;   in Loop: Header=BB257_11 Depth=1
	s_or_b32 exec_lo, exec_lo, s6
	s_mov_b32 s6, exec_lo
	v_cmpx_lt_u32_e32 0xffffff, v0
	s_cbranch_execz .LBB257_75
; %bb.68:                               ;   in Loop: Header=BB257_11 Depth=1
	v_mov_b32_e32 v1, 0x80
	v_mov_b32_e32 v90, v57
	buffer_store_dword v90, off, s[0:3], s32 offset:240 ; 4-byte Folded Spill
	buffer_store_dword v91, off, s[0:3], s32 offset:244 ; 4-byte Folded Spill
	v_cmp_ne_u32_sdwa s5, v0, v1 src0_sel:BYTE_3 src1_sel:DWORD
	s_and_saveexec_b32 s7, s5
	s_cbranch_execz .LBB257_74
; %bb.69:                               ;   in Loop: Header=BB257_11 Depth=1
	v_bfe_u32 v2, v0, 24, 7
	v_mov_b32_e32 v120, v57
	s_mov_b32 s19, exec_lo
	buffer_store_dword v120, off, s[0:3], s32 offset:240 ; 4-byte Folded Spill
	buffer_store_dword v121, off, s[0:3], s32 offset:244 ; 4-byte Folded Spill
	v_cmpx_ne_u32_e32 0x7f, v2
	s_cbranch_execz .LBB257_73
; %bb.70:                               ;   in Loop: Header=BB257_11 Depth=1
	v_mov_b32_e32 v1, 7
	s_mov_b32 s22, exec_lo
	v_and_b32_sdwa v56, v0, v1 dst_sel:DWORD dst_unused:UNUSED_PAD src0_sel:BYTE_3 src1_sel:DWORD
	v_lshrrev_b32_e32 v1, 3, v2
	v_cmpx_gt_u32_e32 8, v2
; %bb.71:                               ;   in Loop: Header=BB257_11 Depth=1
	v_ffbh_u32_e32 v1, v56
	v_min_u32_e32 v1, 32, v1
	v_subrev_nc_u32_e32 v2, 28, v1
	v_sub_nc_u32_e32 v1, 29, v1
	v_lshlrev_b64 v[2:3], v2, v[56:57]
	v_and_b32_e32 v56, 7, v2
; %bb.72:                               ;   in Loop: Header=BB257_11 Depth=1
	s_or_b32 exec_lo, exec_lo, s22
	v_mov_b32_e32 v2, 24
	v_lshl_add_u32 v1, v1, 23, 0x3c000000
	v_lshlrev_b32_sdwa v0, v2, v0 dst_sel:DWORD dst_unused:UNUSED_PAD src0_sel:DWORD src1_sel:BYTE_3
	v_lshlrev_b32_e32 v2, 20, v56
	v_and_b32_e32 v0, 0x80000000, v0
	v_or3_b32 v1, v2, v0, v1
	v_mov_b32_e32 v0, v57
	buffer_store_dword v0, off, s[0:3], s32 offset:240 ; 4-byte Folded Spill
	buffer_store_dword v1, off, s[0:3], s32 offset:244 ; 4-byte Folded Spill
.LBB257_73:                             ;   in Loop: Header=BB257_11 Depth=1
	s_or_b32 exec_lo, exec_lo, s19
.LBB257_74:                             ;   in Loop: Header=BB257_11 Depth=1
	s_or_b32 exec_lo, exec_lo, s7
.LBB257_75:                             ;   in Loop: Header=BB257_11 Depth=1
	s_or_b32 exec_lo, exec_lo, s6
	flat_load_dword v0, v[21:22] offset:8
	v_mov_b32_e32 v1, 0
	v_mov_b32_e32 v2, 0
	buffer_store_dword v1, off, s[0:3], s32 offset:264 ; 4-byte Folded Spill
	buffer_store_dword v2, off, s[0:3], s32 offset:268 ; 4-byte Folded Spill
	v_mov_b32_e32 v1, 0
	v_mov_b32_e32 v2, 0
	buffer_store_dword v1, off, s[0:3], s32 offset:256 ; 4-byte Folded Spill
	buffer_store_dword v2, off, s[0:3], s32 offset:260 ; 4-byte Folded Spill
	s_waitcnt vmcnt(0) lgkmcnt(0)
	v_cmp_ne_u16_sdwa s5, v0, v57 src0_sel:BYTE_0 src1_sel:DWORD
	s_and_saveexec_b32 s6, s5
	s_cbranch_execz .LBB257_83
; %bb.76:                               ;   in Loop: Header=BB257_11 Depth=1
	v_bfrev_b32_e32 v1, 1
	v_mov_b32_e32 v2, 0
	buffer_store_dword v1, off, s[0:3], s32 offset:256 ; 4-byte Folded Spill
	buffer_store_dword v2, off, s[0:3], s32 offset:260 ; 4-byte Folded Spill
	v_mov_b32_e32 v1, 0x80
	v_cmp_ne_u16_sdwa s5, v0, v1 src0_sel:BYTE_0 src1_sel:DWORD
	s_and_saveexec_b32 s7, s5
	s_cbranch_execz .LBB257_82
; %bb.77:                               ;   in Loop: Header=BB257_11 Depth=1
	v_mov_b32_e32 v3, 0x7f800001
	v_and_b32_e32 v2, 0x7f, v0
	v_mov_b32_e32 v4, 0
	s_mov_b32 s19, exec_lo
	buffer_store_dword v3, off, s[0:3], s32 offset:256 ; 4-byte Folded Spill
	buffer_store_dword v4, off, s[0:3], s32 offset:260 ; 4-byte Folded Spill
	v_cmpx_ne_u32_e32 0x7f, v2
	s_cbranch_execz .LBB257_81
; %bb.78:                               ;   in Loop: Header=BB257_11 Depth=1
	v_and_b32_e32 v56, 7, v0
	v_lshrrev_b32_e32 v1, 3, v2
	s_mov_b32 s22, exec_lo
	v_cmpx_gt_u32_e32 8, v2
; %bb.79:                               ;   in Loop: Header=BB257_11 Depth=1
	v_ffbh_u32_e32 v1, v56
	v_min_u32_e32 v1, 32, v1
	v_subrev_nc_u32_e32 v2, 28, v1
	v_sub_nc_u32_e32 v1, 29, v1
	v_lshlrev_b64 v[2:3], v2, v[56:57]
	v_and_b32_e32 v56, 7, v2
; %bb.80:                               ;   in Loop: Header=BB257_11 Depth=1
	s_or_b32 exec_lo, exec_lo, s22
	v_lshlrev_b32_e32 v2, 24, v0
	v_lshlrev_b32_e32 v3, 20, v56
	v_lshl_add_u32 v1, v1, 23, 0x3c000000
	v_and_b32_e32 v2, 0x80000000, v2
	v_or3_b32 v56, v3, v2, v1
	buffer_store_dword v56, off, s[0:3], s32 offset:256 ; 4-byte Folded Spill
	buffer_store_dword v57, off, s[0:3], s32 offset:260 ; 4-byte Folded Spill
.LBB257_81:                             ;   in Loop: Header=BB257_11 Depth=1
	s_or_b32 exec_lo, exec_lo, s19
.LBB257_82:                             ;   in Loop: Header=BB257_11 Depth=1
	s_or_b32 exec_lo, exec_lo, s7
.LBB257_83:                             ;   in Loop: Header=BB257_11 Depth=1
	s_or_b32 exec_lo, exec_lo, s6
	v_cmp_ne_u16_sdwa s5, v0, v57 src0_sel:BYTE_1 src1_sel:DWORD
	s_and_saveexec_b32 s6, s5
	s_cbranch_execz .LBB257_91
; %bb.84:                               ;   in Loop: Header=BB257_11 Depth=1
	v_mov_b32_e32 v1, 0x80
	v_mov_b32_e32 v90, v57
	buffer_store_dword v90, off, s[0:3], s32 offset:264 ; 4-byte Folded Spill
	buffer_store_dword v91, off, s[0:3], s32 offset:268 ; 4-byte Folded Spill
	v_cmp_ne_u16_sdwa s5, v0, v1 src0_sel:BYTE_1 src1_sel:DWORD
	s_and_saveexec_b32 s7, s5
	s_cbranch_execz .LBB257_90
; %bb.85:                               ;   in Loop: Header=BB257_11 Depth=1
	v_mov_b32_e32 v1, 0xffff
	v_mov_b32_e32 v120, v57
	s_mov_b32 s19, exec_lo
	buffer_store_dword v120, off, s[0:3], s32 offset:264 ; 4-byte Folded Spill
	buffer_store_dword v121, off, s[0:3], s32 offset:268 ; 4-byte Folded Spill
	v_and_b32_sdwa v1, v1, v0 dst_sel:DWORD dst_unused:UNUSED_PAD src0_sel:DWORD src1_sel:BYTE_1
	v_and_b32_e32 v2, 0x7f, v1
	v_cmpx_ne_u32_e32 0x7f, v2
	s_cbranch_execz .LBB257_89
; %bb.86:                               ;   in Loop: Header=BB257_11 Depth=1
	v_and_b32_e32 v56, 7, v1
	v_lshrrev_b32_e32 v1, 3, v2
	s_mov_b32 s22, exec_lo
	v_cmpx_gt_u32_e32 8, v2
; %bb.87:                               ;   in Loop: Header=BB257_11 Depth=1
	v_ffbh_u32_e32 v1, v56
	v_min_u32_e32 v1, 32, v1
	v_subrev_nc_u32_e32 v2, 28, v1
	v_sub_nc_u32_e32 v1, 29, v1
	v_lshlrev_b64 v[2:3], v2, v[56:57]
	v_and_b32_e32 v56, 7, v2
; %bb.88:                               ;   in Loop: Header=BB257_11 Depth=1
	s_or_b32 exec_lo, exec_lo, s22
	v_lshlrev_b32_e32 v2, 16, v0
	v_lshlrev_b32_e32 v3, 20, v56
	v_lshl_add_u32 v1, v1, 23, 0x3c000000
	v_and_b32_e32 v2, 0x80000000, v2
	v_or3_b32 v2, v3, v2, v1
	v_mov_b32_e32 v1, v57
	buffer_store_dword v1, off, s[0:3], s32 offset:264 ; 4-byte Folded Spill
	buffer_store_dword v2, off, s[0:3], s32 offset:268 ; 4-byte Folded Spill
.LBB257_89:                             ;   in Loop: Header=BB257_11 Depth=1
	s_or_b32 exec_lo, exec_lo, s19
.LBB257_90:                             ;   in Loop: Header=BB257_11 Depth=1
	s_or_b32 exec_lo, exec_lo, s7
.LBB257_91:                             ;   in Loop: Header=BB257_11 Depth=1
	s_or_b32 exec_lo, exec_lo, s6
	v_mov_b32_e32 v2, 0
	v_mov_b32_e32 v3, 0
	;; [unrolled: 1-line block ×3, first 2 shown]
	s_mov_b32 s6, exec_lo
	buffer_store_dword v2, off, s[0:3], s32 offset:272 ; 4-byte Folded Spill
	buffer_store_dword v3, off, s[0:3], s32 offset:276 ; 4-byte Folded Spill
	v_mov_b32_e32 v2, 0
	v_and_b32_sdwa v1, v0, v1 dst_sel:DWORD dst_unused:UNUSED_PAD src0_sel:WORD_1 src1_sel:DWORD
	v_mov_b32_e32 v3, 0
	buffer_store_dword v2, off, s[0:3], s32 offset:280 ; 4-byte Folded Spill
	buffer_store_dword v3, off, s[0:3], s32 offset:284 ; 4-byte Folded Spill
	v_cmpx_ne_u16_e32 0, v1
	s_cbranch_execz .LBB257_99
; %bb.92:                               ;   in Loop: Header=BB257_11 Depth=1
	v_cmp_ne_u16_e64 s5, 0x80, v1
	v_bfrev_b32_e32 v1, 1
	v_mov_b32_e32 v2, 0
	buffer_store_dword v1, off, s[0:3], s32 offset:280 ; 4-byte Folded Spill
	buffer_store_dword v2, off, s[0:3], s32 offset:284 ; 4-byte Folded Spill
	s_and_saveexec_b32 s7, s5
	s_cbranch_execz .LBB257_98
; %bb.93:                               ;   in Loop: Header=BB257_11 Depth=1
	v_mov_b32_e32 v3, 0x7f800001
	v_bfe_u32 v2, v0, 16, 7
	v_mov_b32_e32 v4, 0
	s_mov_b32 s19, exec_lo
	buffer_store_dword v3, off, s[0:3], s32 offset:280 ; 4-byte Folded Spill
	buffer_store_dword v4, off, s[0:3], s32 offset:284 ; 4-byte Folded Spill
	v_cmpx_ne_u32_e32 0x7f, v2
	s_cbranch_execz .LBB257_97
; %bb.94:                               ;   in Loop: Header=BB257_11 Depth=1
	v_mov_b32_e32 v1, 7
	s_mov_b32 s22, exec_lo
	v_and_b32_sdwa v56, v0, v1 dst_sel:DWORD dst_unused:UNUSED_PAD src0_sel:WORD_1 src1_sel:DWORD
	v_lshrrev_b32_e32 v1, 3, v2
	v_cmpx_gt_u32_e32 8, v2
; %bb.95:                               ;   in Loop: Header=BB257_11 Depth=1
	v_ffbh_u32_e32 v1, v56
	v_min_u32_e32 v1, 32, v1
	v_subrev_nc_u32_e32 v2, 28, v1
	v_sub_nc_u32_e32 v1, 29, v1
	v_lshlrev_b64 v[2:3], v2, v[56:57]
	v_and_b32_e32 v56, 7, v2
; %bb.96:                               ;   in Loop: Header=BB257_11 Depth=1
	s_or_b32 exec_lo, exec_lo, s22
	v_mov_b32_e32 v2, 24
	v_lshlrev_b32_e32 v3, 20, v56
	v_lshl_add_u32 v1, v1, 23, 0x3c000000
	v_lshlrev_b32_sdwa v2, v2, v0 dst_sel:DWORD dst_unused:UNUSED_PAD src0_sel:DWORD src1_sel:WORD_1
	v_and_b32_e32 v2, 0x80000000, v2
	v_or3_b32 v56, v3, v2, v1
	buffer_store_dword v56, off, s[0:3], s32 offset:280 ; 4-byte Folded Spill
	buffer_store_dword v57, off, s[0:3], s32 offset:284 ; 4-byte Folded Spill
.LBB257_97:                             ;   in Loop: Header=BB257_11 Depth=1
	s_or_b32 exec_lo, exec_lo, s19
.LBB257_98:                             ;   in Loop: Header=BB257_11 Depth=1
	s_or_b32 exec_lo, exec_lo, s7
.LBB257_99:                             ;   in Loop: Header=BB257_11 Depth=1
	s_or_b32 exec_lo, exec_lo, s6
	s_mov_b32 s6, exec_lo
	v_cmpx_lt_u32_e32 0xffffff, v0
	s_cbranch_execz .LBB257_107
; %bb.100:                              ;   in Loop: Header=BB257_11 Depth=1
	v_mov_b32_e32 v1, 0x80
	v_mov_b32_e32 v90, v57
	buffer_store_dword v90, off, s[0:3], s32 offset:272 ; 4-byte Folded Spill
	buffer_store_dword v91, off, s[0:3], s32 offset:276 ; 4-byte Folded Spill
	v_cmp_ne_u32_sdwa s5, v0, v1 src0_sel:BYTE_3 src1_sel:DWORD
	s_and_saveexec_b32 s7, s5
	s_cbranch_execz .LBB257_106
; %bb.101:                              ;   in Loop: Header=BB257_11 Depth=1
	v_bfe_u32 v2, v0, 24, 7
	v_mov_b32_e32 v120, v57
	s_mov_b32 s19, exec_lo
	buffer_store_dword v120, off, s[0:3], s32 offset:272 ; 4-byte Folded Spill
	buffer_store_dword v121, off, s[0:3], s32 offset:276 ; 4-byte Folded Spill
	v_cmpx_ne_u32_e32 0x7f, v2
	s_cbranch_execz .LBB257_105
; %bb.102:                              ;   in Loop: Header=BB257_11 Depth=1
	v_mov_b32_e32 v1, 7
	s_mov_b32 s22, exec_lo
	v_and_b32_sdwa v56, v0, v1 dst_sel:DWORD dst_unused:UNUSED_PAD src0_sel:BYTE_3 src1_sel:DWORD
	v_lshrrev_b32_e32 v1, 3, v2
	v_cmpx_gt_u32_e32 8, v2
; %bb.103:                              ;   in Loop: Header=BB257_11 Depth=1
	v_ffbh_u32_e32 v1, v56
	v_min_u32_e32 v1, 32, v1
	v_subrev_nc_u32_e32 v2, 28, v1
	v_sub_nc_u32_e32 v1, 29, v1
	v_lshlrev_b64 v[2:3], v2, v[56:57]
	v_and_b32_e32 v56, 7, v2
; %bb.104:                              ;   in Loop: Header=BB257_11 Depth=1
	s_or_b32 exec_lo, exec_lo, s22
	v_mov_b32_e32 v2, 24
	v_lshl_add_u32 v1, v1, 23, 0x3c000000
	v_lshlrev_b32_sdwa v0, v2, v0 dst_sel:DWORD dst_unused:UNUSED_PAD src0_sel:DWORD src1_sel:BYTE_3
	v_lshlrev_b32_e32 v2, 20, v56
	v_and_b32_e32 v0, 0x80000000, v0
	v_or3_b32 v1, v2, v0, v1
	v_mov_b32_e32 v0, v57
	buffer_store_dword v0, off, s[0:3], s32 offset:272 ; 4-byte Folded Spill
	buffer_store_dword v1, off, s[0:3], s32 offset:276 ; 4-byte Folded Spill
.LBB257_105:                            ;   in Loop: Header=BB257_11 Depth=1
	s_or_b32 exec_lo, exec_lo, s19
.LBB257_106:                            ;   in Loop: Header=BB257_11 Depth=1
	s_or_b32 exec_lo, exec_lo, s7
.LBB257_107:                            ;   in Loop: Header=BB257_11 Depth=1
	s_or_b32 exec_lo, exec_lo, s6
	flat_load_dword v0, v[21:22] offset:12
	v_mov_b32_e32 v1, 0
	v_mov_b32_e32 v2, 0
	buffer_store_dword v1, off, s[0:3], s32 offset:296 ; 4-byte Folded Spill
	buffer_store_dword v2, off, s[0:3], s32 offset:300 ; 4-byte Folded Spill
	v_mov_b32_e32 v1, 0
	v_mov_b32_e32 v2, 0
	buffer_store_dword v1, off, s[0:3], s32 offset:288 ; 4-byte Folded Spill
	buffer_store_dword v2, off, s[0:3], s32 offset:292 ; 4-byte Folded Spill
	s_waitcnt vmcnt(0) lgkmcnt(0)
	v_cmp_ne_u16_sdwa s5, v0, v57 src0_sel:BYTE_0 src1_sel:DWORD
	s_and_saveexec_b32 s6, s5
	s_cbranch_execz .LBB257_115
; %bb.108:                              ;   in Loop: Header=BB257_11 Depth=1
	v_bfrev_b32_e32 v1, 1
	v_mov_b32_e32 v2, 0
	buffer_store_dword v1, off, s[0:3], s32 offset:288 ; 4-byte Folded Spill
	buffer_store_dword v2, off, s[0:3], s32 offset:292 ; 4-byte Folded Spill
	v_mov_b32_e32 v1, 0x80
	v_cmp_ne_u16_sdwa s5, v0, v1 src0_sel:BYTE_0 src1_sel:DWORD
	s_and_saveexec_b32 s7, s5
	s_cbranch_execz .LBB257_114
; %bb.109:                              ;   in Loop: Header=BB257_11 Depth=1
	v_mov_b32_e32 v3, 0x7f800001
	v_and_b32_e32 v2, 0x7f, v0
	v_mov_b32_e32 v4, 0
	s_mov_b32 s19, exec_lo
	buffer_store_dword v3, off, s[0:3], s32 offset:288 ; 4-byte Folded Spill
	buffer_store_dword v4, off, s[0:3], s32 offset:292 ; 4-byte Folded Spill
	v_cmpx_ne_u32_e32 0x7f, v2
	s_cbranch_execz .LBB257_113
; %bb.110:                              ;   in Loop: Header=BB257_11 Depth=1
	v_and_b32_e32 v56, 7, v0
	v_lshrrev_b32_e32 v1, 3, v2
	s_mov_b32 s22, exec_lo
	v_cmpx_gt_u32_e32 8, v2
; %bb.111:                              ;   in Loop: Header=BB257_11 Depth=1
	v_ffbh_u32_e32 v1, v56
	v_min_u32_e32 v1, 32, v1
	v_subrev_nc_u32_e32 v2, 28, v1
	v_sub_nc_u32_e32 v1, 29, v1
	v_lshlrev_b64 v[2:3], v2, v[56:57]
	v_and_b32_e32 v56, 7, v2
; %bb.112:                              ;   in Loop: Header=BB257_11 Depth=1
	s_or_b32 exec_lo, exec_lo, s22
	v_lshlrev_b32_e32 v2, 24, v0
	v_lshlrev_b32_e32 v3, 20, v56
	v_lshl_add_u32 v1, v1, 23, 0x3c000000
	v_and_b32_e32 v2, 0x80000000, v2
	v_or3_b32 v56, v3, v2, v1
	buffer_store_dword v56, off, s[0:3], s32 offset:288 ; 4-byte Folded Spill
	buffer_store_dword v57, off, s[0:3], s32 offset:292 ; 4-byte Folded Spill
.LBB257_113:                            ;   in Loop: Header=BB257_11 Depth=1
	s_or_b32 exec_lo, exec_lo, s19
.LBB257_114:                            ;   in Loop: Header=BB257_11 Depth=1
	s_or_b32 exec_lo, exec_lo, s7
.LBB257_115:                            ;   in Loop: Header=BB257_11 Depth=1
	s_or_b32 exec_lo, exec_lo, s6
	v_cmp_ne_u16_sdwa s5, v0, v57 src0_sel:BYTE_1 src1_sel:DWORD
	s_and_saveexec_b32 s6, s5
	s_cbranch_execz .LBB257_123
; %bb.116:                              ;   in Loop: Header=BB257_11 Depth=1
	v_mov_b32_e32 v1, 0x80
	v_mov_b32_e32 v90, v57
	buffer_store_dword v90, off, s[0:3], s32 offset:296 ; 4-byte Folded Spill
	buffer_store_dword v91, off, s[0:3], s32 offset:300 ; 4-byte Folded Spill
	v_cmp_ne_u16_sdwa s5, v0, v1 src0_sel:BYTE_1 src1_sel:DWORD
	s_and_saveexec_b32 s7, s5
	s_cbranch_execz .LBB257_122
; %bb.117:                              ;   in Loop: Header=BB257_11 Depth=1
	v_mov_b32_e32 v1, 0xffff
	v_mov_b32_e32 v120, v57
	s_mov_b32 s19, exec_lo
	buffer_store_dword v120, off, s[0:3], s32 offset:296 ; 4-byte Folded Spill
	buffer_store_dword v121, off, s[0:3], s32 offset:300 ; 4-byte Folded Spill
	v_and_b32_sdwa v1, v1, v0 dst_sel:DWORD dst_unused:UNUSED_PAD src0_sel:DWORD src1_sel:BYTE_1
	v_and_b32_e32 v2, 0x7f, v1
	v_cmpx_ne_u32_e32 0x7f, v2
	s_cbranch_execz .LBB257_121
; %bb.118:                              ;   in Loop: Header=BB257_11 Depth=1
	v_and_b32_e32 v56, 7, v1
	v_lshrrev_b32_e32 v1, 3, v2
	s_mov_b32 s22, exec_lo
	v_cmpx_gt_u32_e32 8, v2
; %bb.119:                              ;   in Loop: Header=BB257_11 Depth=1
	v_ffbh_u32_e32 v1, v56
	v_min_u32_e32 v1, 32, v1
	v_subrev_nc_u32_e32 v2, 28, v1
	v_sub_nc_u32_e32 v1, 29, v1
	v_lshlrev_b64 v[2:3], v2, v[56:57]
	v_and_b32_e32 v56, 7, v2
; %bb.120:                              ;   in Loop: Header=BB257_11 Depth=1
	s_or_b32 exec_lo, exec_lo, s22
	v_lshlrev_b32_e32 v2, 16, v0
	v_lshlrev_b32_e32 v3, 20, v56
	v_lshl_add_u32 v1, v1, 23, 0x3c000000
	v_and_b32_e32 v2, 0x80000000, v2
	v_or3_b32 v2, v3, v2, v1
	v_mov_b32_e32 v1, v57
	buffer_store_dword v1, off, s[0:3], s32 offset:296 ; 4-byte Folded Spill
	buffer_store_dword v2, off, s[0:3], s32 offset:300 ; 4-byte Folded Spill
.LBB257_121:                            ;   in Loop: Header=BB257_11 Depth=1
	s_or_b32 exec_lo, exec_lo, s19
.LBB257_122:                            ;   in Loop: Header=BB257_11 Depth=1
	s_or_b32 exec_lo, exec_lo, s7
.LBB257_123:                            ;   in Loop: Header=BB257_11 Depth=1
	s_or_b32 exec_lo, exec_lo, s6
	v_mov_b32_e32 v2, 0
	v_mov_b32_e32 v3, 0
	;; [unrolled: 1-line block ×3, first 2 shown]
	s_mov_b32 s6, exec_lo
	buffer_store_dword v2, off, s[0:3], s32 offset:304 ; 4-byte Folded Spill
	buffer_store_dword v3, off, s[0:3], s32 offset:308 ; 4-byte Folded Spill
	v_mov_b32_e32 v2, 0
	v_and_b32_sdwa v1, v0, v1 dst_sel:DWORD dst_unused:UNUSED_PAD src0_sel:WORD_1 src1_sel:DWORD
	v_mov_b32_e32 v3, 0
	buffer_store_dword v2, off, s[0:3], s32 offset:312 ; 4-byte Folded Spill
	buffer_store_dword v3, off, s[0:3], s32 offset:316 ; 4-byte Folded Spill
	v_cmpx_ne_u16_e32 0, v1
	s_cbranch_execz .LBB257_131
; %bb.124:                              ;   in Loop: Header=BB257_11 Depth=1
	v_cmp_ne_u16_e64 s5, 0x80, v1
	v_bfrev_b32_e32 v1, 1
	v_mov_b32_e32 v2, 0
	buffer_store_dword v1, off, s[0:3], s32 offset:312 ; 4-byte Folded Spill
	buffer_store_dword v2, off, s[0:3], s32 offset:316 ; 4-byte Folded Spill
	s_and_saveexec_b32 s7, s5
	s_cbranch_execz .LBB257_130
; %bb.125:                              ;   in Loop: Header=BB257_11 Depth=1
	v_mov_b32_e32 v3, 0x7f800001
	v_bfe_u32 v2, v0, 16, 7
	v_mov_b32_e32 v4, 0
	s_mov_b32 s19, exec_lo
	buffer_store_dword v3, off, s[0:3], s32 offset:312 ; 4-byte Folded Spill
	buffer_store_dword v4, off, s[0:3], s32 offset:316 ; 4-byte Folded Spill
	v_cmpx_ne_u32_e32 0x7f, v2
	s_cbranch_execz .LBB257_129
; %bb.126:                              ;   in Loop: Header=BB257_11 Depth=1
	v_mov_b32_e32 v1, 7
	s_mov_b32 s22, exec_lo
	v_and_b32_sdwa v56, v0, v1 dst_sel:DWORD dst_unused:UNUSED_PAD src0_sel:WORD_1 src1_sel:DWORD
	v_lshrrev_b32_e32 v1, 3, v2
	v_cmpx_gt_u32_e32 8, v2
; %bb.127:                              ;   in Loop: Header=BB257_11 Depth=1
	v_ffbh_u32_e32 v1, v56
	v_min_u32_e32 v1, 32, v1
	v_subrev_nc_u32_e32 v2, 28, v1
	v_sub_nc_u32_e32 v1, 29, v1
	v_lshlrev_b64 v[2:3], v2, v[56:57]
	v_and_b32_e32 v56, 7, v2
; %bb.128:                              ;   in Loop: Header=BB257_11 Depth=1
	s_or_b32 exec_lo, exec_lo, s22
	v_mov_b32_e32 v2, 24
	v_lshlrev_b32_e32 v3, 20, v56
	v_lshl_add_u32 v1, v1, 23, 0x3c000000
	v_lshlrev_b32_sdwa v2, v2, v0 dst_sel:DWORD dst_unused:UNUSED_PAD src0_sel:DWORD src1_sel:WORD_1
	v_and_b32_e32 v2, 0x80000000, v2
	v_or3_b32 v56, v3, v2, v1
	buffer_store_dword v56, off, s[0:3], s32 offset:312 ; 4-byte Folded Spill
	buffer_store_dword v57, off, s[0:3], s32 offset:316 ; 4-byte Folded Spill
.LBB257_129:                            ;   in Loop: Header=BB257_11 Depth=1
	s_or_b32 exec_lo, exec_lo, s19
.LBB257_130:                            ;   in Loop: Header=BB257_11 Depth=1
	s_or_b32 exec_lo, exec_lo, s7
.LBB257_131:                            ;   in Loop: Header=BB257_11 Depth=1
	s_or_b32 exec_lo, exec_lo, s6
	s_mov_b32 s6, exec_lo
	v_cmpx_lt_u32_e32 0xffffff, v0
	s_cbranch_execz .LBB257_139
; %bb.132:                              ;   in Loop: Header=BB257_11 Depth=1
	v_mov_b32_e32 v1, 0x80
	v_mov_b32_e32 v90, v57
	buffer_store_dword v90, off, s[0:3], s32 offset:304 ; 4-byte Folded Spill
	buffer_store_dword v91, off, s[0:3], s32 offset:308 ; 4-byte Folded Spill
	v_cmp_ne_u32_sdwa s5, v0, v1 src0_sel:BYTE_3 src1_sel:DWORD
	s_and_saveexec_b32 s7, s5
	s_cbranch_execz .LBB257_138
; %bb.133:                              ;   in Loop: Header=BB257_11 Depth=1
	v_bfe_u32 v2, v0, 24, 7
	v_mov_b32_e32 v120, v57
	s_mov_b32 s19, exec_lo
	buffer_store_dword v120, off, s[0:3], s32 offset:304 ; 4-byte Folded Spill
	buffer_store_dword v121, off, s[0:3], s32 offset:308 ; 4-byte Folded Spill
	v_cmpx_ne_u32_e32 0x7f, v2
	s_cbranch_execz .LBB257_137
; %bb.134:                              ;   in Loop: Header=BB257_11 Depth=1
	v_mov_b32_e32 v1, 7
	s_mov_b32 s22, exec_lo
	v_and_b32_sdwa v56, v0, v1 dst_sel:DWORD dst_unused:UNUSED_PAD src0_sel:BYTE_3 src1_sel:DWORD
	v_lshrrev_b32_e32 v1, 3, v2
	v_cmpx_gt_u32_e32 8, v2
; %bb.135:                              ;   in Loop: Header=BB257_11 Depth=1
	v_ffbh_u32_e32 v1, v56
	v_min_u32_e32 v1, 32, v1
	v_subrev_nc_u32_e32 v2, 28, v1
	v_sub_nc_u32_e32 v1, 29, v1
	v_lshlrev_b64 v[2:3], v2, v[56:57]
	v_and_b32_e32 v56, 7, v2
; %bb.136:                              ;   in Loop: Header=BB257_11 Depth=1
	s_or_b32 exec_lo, exec_lo, s22
	v_mov_b32_e32 v2, 24
	v_lshl_add_u32 v1, v1, 23, 0x3c000000
	v_lshlrev_b32_sdwa v0, v2, v0 dst_sel:DWORD dst_unused:UNUSED_PAD src0_sel:DWORD src1_sel:BYTE_3
	v_lshlrev_b32_e32 v2, 20, v56
	v_and_b32_e32 v0, 0x80000000, v0
	v_or3_b32 v1, v2, v0, v1
	v_mov_b32_e32 v0, v57
	buffer_store_dword v0, off, s[0:3], s32 offset:304 ; 4-byte Folded Spill
	buffer_store_dword v1, off, s[0:3], s32 offset:308 ; 4-byte Folded Spill
.LBB257_137:                            ;   in Loop: Header=BB257_11 Depth=1
	s_or_b32 exec_lo, exec_lo, s19
.LBB257_138:                            ;   in Loop: Header=BB257_11 Depth=1
	s_or_b32 exec_lo, exec_lo, s7
.LBB257_139:                            ;   in Loop: Header=BB257_11 Depth=1
	s_or_b32 exec_lo, exec_lo, s6
	flat_load_dword v0, v[21:22] offset:512
	v_mov_b32_e32 v1, 0
	v_mov_b32_e32 v2, 0
	buffer_store_dword v1, off, s[0:3], s32 offset:328 ; 4-byte Folded Spill
	buffer_store_dword v2, off, s[0:3], s32 offset:332 ; 4-byte Folded Spill
	v_mov_b32_e32 v1, 0
	v_mov_b32_e32 v2, 0
	buffer_store_dword v1, off, s[0:3], s32 offset:320 ; 4-byte Folded Spill
	buffer_store_dword v2, off, s[0:3], s32 offset:324 ; 4-byte Folded Spill
	s_waitcnt vmcnt(0) lgkmcnt(0)
	v_cmp_ne_u16_sdwa s5, v0, v57 src0_sel:BYTE_0 src1_sel:DWORD
	s_and_saveexec_b32 s6, s5
	s_cbranch_execz .LBB257_147
; %bb.140:                              ;   in Loop: Header=BB257_11 Depth=1
	v_bfrev_b32_e32 v1, 1
	v_mov_b32_e32 v2, 0
	buffer_store_dword v1, off, s[0:3], s32 offset:320 ; 4-byte Folded Spill
	buffer_store_dword v2, off, s[0:3], s32 offset:324 ; 4-byte Folded Spill
	v_mov_b32_e32 v1, 0x80
	v_cmp_ne_u16_sdwa s5, v0, v1 src0_sel:BYTE_0 src1_sel:DWORD
	s_and_saveexec_b32 s7, s5
	s_cbranch_execz .LBB257_146
; %bb.141:                              ;   in Loop: Header=BB257_11 Depth=1
	v_mov_b32_e32 v3, 0x7f800001
	v_and_b32_e32 v2, 0x7f, v0
	v_mov_b32_e32 v4, 0
	s_mov_b32 s19, exec_lo
	buffer_store_dword v3, off, s[0:3], s32 offset:320 ; 4-byte Folded Spill
	buffer_store_dword v4, off, s[0:3], s32 offset:324 ; 4-byte Folded Spill
	v_cmpx_ne_u32_e32 0x7f, v2
	s_cbranch_execz .LBB257_145
; %bb.142:                              ;   in Loop: Header=BB257_11 Depth=1
	v_and_b32_e32 v56, 7, v0
	v_lshrrev_b32_e32 v1, 3, v2
	s_mov_b32 s22, exec_lo
	v_cmpx_gt_u32_e32 8, v2
; %bb.143:                              ;   in Loop: Header=BB257_11 Depth=1
	v_ffbh_u32_e32 v1, v56
	v_min_u32_e32 v1, 32, v1
	v_subrev_nc_u32_e32 v2, 28, v1
	v_sub_nc_u32_e32 v1, 29, v1
	v_lshlrev_b64 v[2:3], v2, v[56:57]
	v_and_b32_e32 v56, 7, v2
; %bb.144:                              ;   in Loop: Header=BB257_11 Depth=1
	s_or_b32 exec_lo, exec_lo, s22
	v_lshlrev_b32_e32 v2, 24, v0
	v_lshlrev_b32_e32 v3, 20, v56
	v_lshl_add_u32 v1, v1, 23, 0x3c000000
	v_and_b32_e32 v2, 0x80000000, v2
	v_or3_b32 v56, v3, v2, v1
	buffer_store_dword v56, off, s[0:3], s32 offset:320 ; 4-byte Folded Spill
	buffer_store_dword v57, off, s[0:3], s32 offset:324 ; 4-byte Folded Spill
.LBB257_145:                            ;   in Loop: Header=BB257_11 Depth=1
	s_or_b32 exec_lo, exec_lo, s19
.LBB257_146:                            ;   in Loop: Header=BB257_11 Depth=1
	s_or_b32 exec_lo, exec_lo, s7
.LBB257_147:                            ;   in Loop: Header=BB257_11 Depth=1
	s_or_b32 exec_lo, exec_lo, s6
	v_cmp_ne_u16_sdwa s5, v0, v57 src0_sel:BYTE_1 src1_sel:DWORD
	s_and_saveexec_b32 s6, s5
	s_cbranch_execz .LBB257_155
; %bb.148:                              ;   in Loop: Header=BB257_11 Depth=1
	v_mov_b32_e32 v1, 0x80
	v_mov_b32_e32 v90, v57
	buffer_store_dword v90, off, s[0:3], s32 offset:328 ; 4-byte Folded Spill
	buffer_store_dword v91, off, s[0:3], s32 offset:332 ; 4-byte Folded Spill
	v_cmp_ne_u16_sdwa s5, v0, v1 src0_sel:BYTE_1 src1_sel:DWORD
	s_and_saveexec_b32 s7, s5
	s_cbranch_execz .LBB257_154
; %bb.149:                              ;   in Loop: Header=BB257_11 Depth=1
	v_mov_b32_e32 v1, 0xffff
	v_mov_b32_e32 v120, v57
	s_mov_b32 s19, exec_lo
	buffer_store_dword v120, off, s[0:3], s32 offset:328 ; 4-byte Folded Spill
	buffer_store_dword v121, off, s[0:3], s32 offset:332 ; 4-byte Folded Spill
	v_and_b32_sdwa v1, v1, v0 dst_sel:DWORD dst_unused:UNUSED_PAD src0_sel:DWORD src1_sel:BYTE_1
	v_and_b32_e32 v2, 0x7f, v1
	v_cmpx_ne_u32_e32 0x7f, v2
	s_cbranch_execz .LBB257_153
; %bb.150:                              ;   in Loop: Header=BB257_11 Depth=1
	v_and_b32_e32 v56, 7, v1
	v_lshrrev_b32_e32 v1, 3, v2
	s_mov_b32 s22, exec_lo
	v_cmpx_gt_u32_e32 8, v2
; %bb.151:                              ;   in Loop: Header=BB257_11 Depth=1
	v_ffbh_u32_e32 v1, v56
	v_min_u32_e32 v1, 32, v1
	v_subrev_nc_u32_e32 v2, 28, v1
	v_sub_nc_u32_e32 v1, 29, v1
	v_lshlrev_b64 v[2:3], v2, v[56:57]
	v_and_b32_e32 v56, 7, v2
; %bb.152:                              ;   in Loop: Header=BB257_11 Depth=1
	s_or_b32 exec_lo, exec_lo, s22
	v_lshlrev_b32_e32 v2, 16, v0
	v_lshlrev_b32_e32 v3, 20, v56
	v_lshl_add_u32 v1, v1, 23, 0x3c000000
	v_and_b32_e32 v2, 0x80000000, v2
	v_or3_b32 v2, v3, v2, v1
	v_mov_b32_e32 v1, v57
	buffer_store_dword v1, off, s[0:3], s32 offset:328 ; 4-byte Folded Spill
	buffer_store_dword v2, off, s[0:3], s32 offset:332 ; 4-byte Folded Spill
.LBB257_153:                            ;   in Loop: Header=BB257_11 Depth=1
	s_or_b32 exec_lo, exec_lo, s19
.LBB257_154:                            ;   in Loop: Header=BB257_11 Depth=1
	s_or_b32 exec_lo, exec_lo, s7
.LBB257_155:                            ;   in Loop: Header=BB257_11 Depth=1
	s_or_b32 exec_lo, exec_lo, s6
	v_mov_b32_e32 v2, 0
	v_mov_b32_e32 v3, 0
	;; [unrolled: 1-line block ×3, first 2 shown]
	s_mov_b32 s6, exec_lo
	buffer_store_dword v2, off, s[0:3], s32 offset:336 ; 4-byte Folded Spill
	buffer_store_dword v3, off, s[0:3], s32 offset:340 ; 4-byte Folded Spill
	v_mov_b32_e32 v2, 0
	v_and_b32_sdwa v1, v0, v1 dst_sel:DWORD dst_unused:UNUSED_PAD src0_sel:WORD_1 src1_sel:DWORD
	v_mov_b32_e32 v3, 0
	buffer_store_dword v2, off, s[0:3], s32 offset:344 ; 4-byte Folded Spill
	buffer_store_dword v3, off, s[0:3], s32 offset:348 ; 4-byte Folded Spill
	v_cmpx_ne_u16_e32 0, v1
	s_cbranch_execz .LBB257_163
; %bb.156:                              ;   in Loop: Header=BB257_11 Depth=1
	v_cmp_ne_u16_e64 s5, 0x80, v1
	v_bfrev_b32_e32 v1, 1
	v_mov_b32_e32 v2, 0
	buffer_store_dword v1, off, s[0:3], s32 offset:344 ; 4-byte Folded Spill
	buffer_store_dword v2, off, s[0:3], s32 offset:348 ; 4-byte Folded Spill
	s_and_saveexec_b32 s7, s5
	s_cbranch_execz .LBB257_162
; %bb.157:                              ;   in Loop: Header=BB257_11 Depth=1
	v_mov_b32_e32 v3, 0x7f800001
	v_bfe_u32 v2, v0, 16, 7
	v_mov_b32_e32 v4, 0
	s_mov_b32 s19, exec_lo
	buffer_store_dword v3, off, s[0:3], s32 offset:344 ; 4-byte Folded Spill
	buffer_store_dword v4, off, s[0:3], s32 offset:348 ; 4-byte Folded Spill
	v_cmpx_ne_u32_e32 0x7f, v2
	s_cbranch_execz .LBB257_161
; %bb.158:                              ;   in Loop: Header=BB257_11 Depth=1
	v_mov_b32_e32 v1, 7
	s_mov_b32 s22, exec_lo
	v_and_b32_sdwa v56, v0, v1 dst_sel:DWORD dst_unused:UNUSED_PAD src0_sel:WORD_1 src1_sel:DWORD
	v_lshrrev_b32_e32 v1, 3, v2
	v_cmpx_gt_u32_e32 8, v2
; %bb.159:                              ;   in Loop: Header=BB257_11 Depth=1
	v_ffbh_u32_e32 v1, v56
	v_min_u32_e32 v1, 32, v1
	v_subrev_nc_u32_e32 v2, 28, v1
	v_sub_nc_u32_e32 v1, 29, v1
	v_lshlrev_b64 v[2:3], v2, v[56:57]
	v_and_b32_e32 v56, 7, v2
; %bb.160:                              ;   in Loop: Header=BB257_11 Depth=1
	s_or_b32 exec_lo, exec_lo, s22
	v_mov_b32_e32 v2, 24
	v_lshlrev_b32_e32 v3, 20, v56
	v_lshl_add_u32 v1, v1, 23, 0x3c000000
	v_lshlrev_b32_sdwa v2, v2, v0 dst_sel:DWORD dst_unused:UNUSED_PAD src0_sel:DWORD src1_sel:WORD_1
	v_and_b32_e32 v2, 0x80000000, v2
	v_or3_b32 v56, v3, v2, v1
	buffer_store_dword v56, off, s[0:3], s32 offset:344 ; 4-byte Folded Spill
	buffer_store_dword v57, off, s[0:3], s32 offset:348 ; 4-byte Folded Spill
.LBB257_161:                            ;   in Loop: Header=BB257_11 Depth=1
	s_or_b32 exec_lo, exec_lo, s19
.LBB257_162:                            ;   in Loop: Header=BB257_11 Depth=1
	s_or_b32 exec_lo, exec_lo, s7
.LBB257_163:                            ;   in Loop: Header=BB257_11 Depth=1
	s_or_b32 exec_lo, exec_lo, s6
	s_mov_b32 s6, exec_lo
	v_cmpx_lt_u32_e32 0xffffff, v0
	s_cbranch_execz .LBB257_171
; %bb.164:                              ;   in Loop: Header=BB257_11 Depth=1
	v_mov_b32_e32 v1, 0x80
	v_mov_b32_e32 v90, v57
	buffer_store_dword v90, off, s[0:3], s32 offset:336 ; 4-byte Folded Spill
	buffer_store_dword v91, off, s[0:3], s32 offset:340 ; 4-byte Folded Spill
	v_cmp_ne_u32_sdwa s5, v0, v1 src0_sel:BYTE_3 src1_sel:DWORD
	s_and_saveexec_b32 s7, s5
	s_cbranch_execz .LBB257_170
; %bb.165:                              ;   in Loop: Header=BB257_11 Depth=1
	v_bfe_u32 v2, v0, 24, 7
	v_mov_b32_e32 v120, v57
	s_mov_b32 s19, exec_lo
	buffer_store_dword v120, off, s[0:3], s32 offset:336 ; 4-byte Folded Spill
	buffer_store_dword v121, off, s[0:3], s32 offset:340 ; 4-byte Folded Spill
	v_cmpx_ne_u32_e32 0x7f, v2
	s_cbranch_execz .LBB257_169
; %bb.166:                              ;   in Loop: Header=BB257_11 Depth=1
	v_mov_b32_e32 v1, 7
	s_mov_b32 s22, exec_lo
	v_and_b32_sdwa v56, v0, v1 dst_sel:DWORD dst_unused:UNUSED_PAD src0_sel:BYTE_3 src1_sel:DWORD
	v_lshrrev_b32_e32 v1, 3, v2
	v_cmpx_gt_u32_e32 8, v2
; %bb.167:                              ;   in Loop: Header=BB257_11 Depth=1
	v_ffbh_u32_e32 v1, v56
	v_min_u32_e32 v1, 32, v1
	v_subrev_nc_u32_e32 v2, 28, v1
	v_sub_nc_u32_e32 v1, 29, v1
	v_lshlrev_b64 v[2:3], v2, v[56:57]
	v_and_b32_e32 v56, 7, v2
; %bb.168:                              ;   in Loop: Header=BB257_11 Depth=1
	s_or_b32 exec_lo, exec_lo, s22
	v_mov_b32_e32 v2, 24
	v_lshl_add_u32 v1, v1, 23, 0x3c000000
	v_lshlrev_b32_sdwa v0, v2, v0 dst_sel:DWORD dst_unused:UNUSED_PAD src0_sel:DWORD src1_sel:BYTE_3
	v_lshlrev_b32_e32 v2, 20, v56
	v_and_b32_e32 v0, 0x80000000, v0
	v_or3_b32 v1, v2, v0, v1
	v_mov_b32_e32 v0, v57
	buffer_store_dword v0, off, s[0:3], s32 offset:336 ; 4-byte Folded Spill
	buffer_store_dword v1, off, s[0:3], s32 offset:340 ; 4-byte Folded Spill
.LBB257_169:                            ;   in Loop: Header=BB257_11 Depth=1
	s_or_b32 exec_lo, exec_lo, s19
.LBB257_170:                            ;   in Loop: Header=BB257_11 Depth=1
	s_or_b32 exec_lo, exec_lo, s7
.LBB257_171:                            ;   in Loop: Header=BB257_11 Depth=1
	s_or_b32 exec_lo, exec_lo, s6
	flat_load_dword v0, v[21:22] offset:516
	v_mov_b32_e32 v1, 0
	v_mov_b32_e32 v2, 0
	buffer_store_dword v1, off, s[0:3], s32 offset:360 ; 4-byte Folded Spill
	buffer_store_dword v2, off, s[0:3], s32 offset:364 ; 4-byte Folded Spill
	v_mov_b32_e32 v1, 0
	v_mov_b32_e32 v2, 0
	buffer_store_dword v1, off, s[0:3], s32 offset:352 ; 4-byte Folded Spill
	buffer_store_dword v2, off, s[0:3], s32 offset:356 ; 4-byte Folded Spill
	s_waitcnt vmcnt(0) lgkmcnt(0)
	v_cmp_ne_u16_sdwa s5, v0, v57 src0_sel:BYTE_0 src1_sel:DWORD
	s_and_saveexec_b32 s6, s5
	s_cbranch_execz .LBB257_179
; %bb.172:                              ;   in Loop: Header=BB257_11 Depth=1
	v_bfrev_b32_e32 v1, 1
	v_mov_b32_e32 v2, 0
	buffer_store_dword v1, off, s[0:3], s32 offset:352 ; 4-byte Folded Spill
	buffer_store_dword v2, off, s[0:3], s32 offset:356 ; 4-byte Folded Spill
	v_mov_b32_e32 v1, 0x80
	v_cmp_ne_u16_sdwa s5, v0, v1 src0_sel:BYTE_0 src1_sel:DWORD
	s_and_saveexec_b32 s7, s5
	s_cbranch_execz .LBB257_178
; %bb.173:                              ;   in Loop: Header=BB257_11 Depth=1
	v_mov_b32_e32 v3, 0x7f800001
	v_and_b32_e32 v2, 0x7f, v0
	v_mov_b32_e32 v4, 0
	s_mov_b32 s19, exec_lo
	buffer_store_dword v3, off, s[0:3], s32 offset:352 ; 4-byte Folded Spill
	buffer_store_dword v4, off, s[0:3], s32 offset:356 ; 4-byte Folded Spill
	v_cmpx_ne_u32_e32 0x7f, v2
	s_cbranch_execz .LBB257_177
; %bb.174:                              ;   in Loop: Header=BB257_11 Depth=1
	v_and_b32_e32 v56, 7, v0
	v_lshrrev_b32_e32 v1, 3, v2
	s_mov_b32 s22, exec_lo
	v_cmpx_gt_u32_e32 8, v2
; %bb.175:                              ;   in Loop: Header=BB257_11 Depth=1
	v_ffbh_u32_e32 v1, v56
	v_min_u32_e32 v1, 32, v1
	v_subrev_nc_u32_e32 v2, 28, v1
	v_sub_nc_u32_e32 v1, 29, v1
	v_lshlrev_b64 v[2:3], v2, v[56:57]
	v_and_b32_e32 v56, 7, v2
; %bb.176:                              ;   in Loop: Header=BB257_11 Depth=1
	s_or_b32 exec_lo, exec_lo, s22
	v_lshlrev_b32_e32 v2, 24, v0
	v_lshlrev_b32_e32 v3, 20, v56
	v_lshl_add_u32 v1, v1, 23, 0x3c000000
	v_and_b32_e32 v2, 0x80000000, v2
	v_or3_b32 v56, v3, v2, v1
	buffer_store_dword v56, off, s[0:3], s32 offset:352 ; 4-byte Folded Spill
	buffer_store_dword v57, off, s[0:3], s32 offset:356 ; 4-byte Folded Spill
.LBB257_177:                            ;   in Loop: Header=BB257_11 Depth=1
	s_or_b32 exec_lo, exec_lo, s19
.LBB257_178:                            ;   in Loop: Header=BB257_11 Depth=1
	s_or_b32 exec_lo, exec_lo, s7
.LBB257_179:                            ;   in Loop: Header=BB257_11 Depth=1
	s_or_b32 exec_lo, exec_lo, s6
	v_cmp_ne_u16_sdwa s5, v0, v57 src0_sel:BYTE_1 src1_sel:DWORD
	s_and_saveexec_b32 s6, s5
	s_cbranch_execz .LBB257_187
; %bb.180:                              ;   in Loop: Header=BB257_11 Depth=1
	v_mov_b32_e32 v1, 0x80
	v_mov_b32_e32 v90, v57
	buffer_store_dword v90, off, s[0:3], s32 offset:360 ; 4-byte Folded Spill
	buffer_store_dword v91, off, s[0:3], s32 offset:364 ; 4-byte Folded Spill
	v_cmp_ne_u16_sdwa s5, v0, v1 src0_sel:BYTE_1 src1_sel:DWORD
	s_and_saveexec_b32 s7, s5
	s_cbranch_execz .LBB257_186
; %bb.181:                              ;   in Loop: Header=BB257_11 Depth=1
	v_mov_b32_e32 v1, 0xffff
	v_mov_b32_e32 v120, v57
	s_mov_b32 s19, exec_lo
	buffer_store_dword v120, off, s[0:3], s32 offset:360 ; 4-byte Folded Spill
	buffer_store_dword v121, off, s[0:3], s32 offset:364 ; 4-byte Folded Spill
	v_and_b32_sdwa v1, v1, v0 dst_sel:DWORD dst_unused:UNUSED_PAD src0_sel:DWORD src1_sel:BYTE_1
	v_and_b32_e32 v2, 0x7f, v1
	v_cmpx_ne_u32_e32 0x7f, v2
	s_cbranch_execz .LBB257_185
; %bb.182:                              ;   in Loop: Header=BB257_11 Depth=1
	v_and_b32_e32 v56, 7, v1
	v_lshrrev_b32_e32 v1, 3, v2
	s_mov_b32 s22, exec_lo
	v_cmpx_gt_u32_e32 8, v2
; %bb.183:                              ;   in Loop: Header=BB257_11 Depth=1
	v_ffbh_u32_e32 v1, v56
	v_min_u32_e32 v1, 32, v1
	v_subrev_nc_u32_e32 v2, 28, v1
	v_sub_nc_u32_e32 v1, 29, v1
	v_lshlrev_b64 v[2:3], v2, v[56:57]
	v_and_b32_e32 v56, 7, v2
; %bb.184:                              ;   in Loop: Header=BB257_11 Depth=1
	s_or_b32 exec_lo, exec_lo, s22
	v_lshlrev_b32_e32 v2, 16, v0
	v_lshlrev_b32_e32 v3, 20, v56
	v_lshl_add_u32 v1, v1, 23, 0x3c000000
	v_and_b32_e32 v2, 0x80000000, v2
	v_or3_b32 v2, v3, v2, v1
	v_mov_b32_e32 v1, v57
	buffer_store_dword v1, off, s[0:3], s32 offset:360 ; 4-byte Folded Spill
	buffer_store_dword v2, off, s[0:3], s32 offset:364 ; 4-byte Folded Spill
.LBB257_185:                            ;   in Loop: Header=BB257_11 Depth=1
	s_or_b32 exec_lo, exec_lo, s19
.LBB257_186:                            ;   in Loop: Header=BB257_11 Depth=1
	s_or_b32 exec_lo, exec_lo, s7
.LBB257_187:                            ;   in Loop: Header=BB257_11 Depth=1
	s_or_b32 exec_lo, exec_lo, s6
	v_mov_b32_e32 v2, 0
	v_mov_b32_e32 v3, 0
	;; [unrolled: 1-line block ×3, first 2 shown]
	s_mov_b32 s6, exec_lo
	buffer_store_dword v2, off, s[0:3], s32 offset:368 ; 4-byte Folded Spill
	buffer_store_dword v3, off, s[0:3], s32 offset:372 ; 4-byte Folded Spill
	v_mov_b32_e32 v2, 0
	v_and_b32_sdwa v1, v0, v1 dst_sel:DWORD dst_unused:UNUSED_PAD src0_sel:WORD_1 src1_sel:DWORD
	v_mov_b32_e32 v3, 0
	buffer_store_dword v2, off, s[0:3], s32 offset:376 ; 4-byte Folded Spill
	buffer_store_dword v3, off, s[0:3], s32 offset:380 ; 4-byte Folded Spill
	v_cmpx_ne_u16_e32 0, v1
	s_cbranch_execz .LBB257_195
; %bb.188:                              ;   in Loop: Header=BB257_11 Depth=1
	v_cmp_ne_u16_e64 s5, 0x80, v1
	v_bfrev_b32_e32 v1, 1
	v_mov_b32_e32 v2, 0
	buffer_store_dword v1, off, s[0:3], s32 offset:376 ; 4-byte Folded Spill
	buffer_store_dword v2, off, s[0:3], s32 offset:380 ; 4-byte Folded Spill
	s_and_saveexec_b32 s7, s5
	s_cbranch_execz .LBB257_194
; %bb.189:                              ;   in Loop: Header=BB257_11 Depth=1
	v_mov_b32_e32 v3, 0x7f800001
	v_bfe_u32 v2, v0, 16, 7
	v_mov_b32_e32 v4, 0
	s_mov_b32 s19, exec_lo
	buffer_store_dword v3, off, s[0:3], s32 offset:376 ; 4-byte Folded Spill
	buffer_store_dword v4, off, s[0:3], s32 offset:380 ; 4-byte Folded Spill
	v_cmpx_ne_u32_e32 0x7f, v2
	s_cbranch_execz .LBB257_193
; %bb.190:                              ;   in Loop: Header=BB257_11 Depth=1
	v_mov_b32_e32 v1, 7
	s_mov_b32 s22, exec_lo
	v_and_b32_sdwa v56, v0, v1 dst_sel:DWORD dst_unused:UNUSED_PAD src0_sel:WORD_1 src1_sel:DWORD
	v_lshrrev_b32_e32 v1, 3, v2
	v_cmpx_gt_u32_e32 8, v2
; %bb.191:                              ;   in Loop: Header=BB257_11 Depth=1
	v_ffbh_u32_e32 v1, v56
	v_min_u32_e32 v1, 32, v1
	v_subrev_nc_u32_e32 v2, 28, v1
	v_sub_nc_u32_e32 v1, 29, v1
	v_lshlrev_b64 v[2:3], v2, v[56:57]
	v_and_b32_e32 v56, 7, v2
; %bb.192:                              ;   in Loop: Header=BB257_11 Depth=1
	s_or_b32 exec_lo, exec_lo, s22
	v_mov_b32_e32 v2, 24
	v_lshlrev_b32_e32 v3, 20, v56
	v_lshl_add_u32 v1, v1, 23, 0x3c000000
	v_lshlrev_b32_sdwa v2, v2, v0 dst_sel:DWORD dst_unused:UNUSED_PAD src0_sel:DWORD src1_sel:WORD_1
	v_and_b32_e32 v2, 0x80000000, v2
	v_or3_b32 v56, v3, v2, v1
	buffer_store_dword v56, off, s[0:3], s32 offset:376 ; 4-byte Folded Spill
	buffer_store_dword v57, off, s[0:3], s32 offset:380 ; 4-byte Folded Spill
.LBB257_193:                            ;   in Loop: Header=BB257_11 Depth=1
	s_or_b32 exec_lo, exec_lo, s19
.LBB257_194:                            ;   in Loop: Header=BB257_11 Depth=1
	s_or_b32 exec_lo, exec_lo, s7
.LBB257_195:                            ;   in Loop: Header=BB257_11 Depth=1
	s_or_b32 exec_lo, exec_lo, s6
	s_mov_b32 s6, exec_lo
	v_cmpx_lt_u32_e32 0xffffff, v0
	s_cbranch_execz .LBB257_203
; %bb.196:                              ;   in Loop: Header=BB257_11 Depth=1
	v_mov_b32_e32 v1, 0x80
	v_mov_b32_e32 v90, v57
	buffer_store_dword v90, off, s[0:3], s32 offset:368 ; 4-byte Folded Spill
	buffer_store_dword v91, off, s[0:3], s32 offset:372 ; 4-byte Folded Spill
	v_cmp_ne_u32_sdwa s5, v0, v1 src0_sel:BYTE_3 src1_sel:DWORD
	s_and_saveexec_b32 s7, s5
	s_cbranch_execz .LBB257_202
; %bb.197:                              ;   in Loop: Header=BB257_11 Depth=1
	v_bfe_u32 v2, v0, 24, 7
	v_mov_b32_e32 v120, v57
	s_mov_b32 s19, exec_lo
	buffer_store_dword v120, off, s[0:3], s32 offset:368 ; 4-byte Folded Spill
	buffer_store_dword v121, off, s[0:3], s32 offset:372 ; 4-byte Folded Spill
	v_cmpx_ne_u32_e32 0x7f, v2
	s_cbranch_execz .LBB257_201
; %bb.198:                              ;   in Loop: Header=BB257_11 Depth=1
	v_mov_b32_e32 v1, 7
	s_mov_b32 s22, exec_lo
	v_and_b32_sdwa v56, v0, v1 dst_sel:DWORD dst_unused:UNUSED_PAD src0_sel:BYTE_3 src1_sel:DWORD
	v_lshrrev_b32_e32 v1, 3, v2
	v_cmpx_gt_u32_e32 8, v2
; %bb.199:                              ;   in Loop: Header=BB257_11 Depth=1
	v_ffbh_u32_e32 v1, v56
	v_min_u32_e32 v1, 32, v1
	v_subrev_nc_u32_e32 v2, 28, v1
	v_sub_nc_u32_e32 v1, 29, v1
	v_lshlrev_b64 v[2:3], v2, v[56:57]
	v_and_b32_e32 v56, 7, v2
; %bb.200:                              ;   in Loop: Header=BB257_11 Depth=1
	s_or_b32 exec_lo, exec_lo, s22
	v_mov_b32_e32 v2, 24
	v_lshl_add_u32 v1, v1, 23, 0x3c000000
	v_lshlrev_b32_sdwa v0, v2, v0 dst_sel:DWORD dst_unused:UNUSED_PAD src0_sel:DWORD src1_sel:BYTE_3
	v_lshlrev_b32_e32 v2, 20, v56
	v_and_b32_e32 v0, 0x80000000, v0
	v_or3_b32 v1, v2, v0, v1
	v_mov_b32_e32 v0, v57
	buffer_store_dword v0, off, s[0:3], s32 offset:368 ; 4-byte Folded Spill
	buffer_store_dword v1, off, s[0:3], s32 offset:372 ; 4-byte Folded Spill
.LBB257_201:                            ;   in Loop: Header=BB257_11 Depth=1
	s_or_b32 exec_lo, exec_lo, s19
.LBB257_202:                            ;   in Loop: Header=BB257_11 Depth=1
	s_or_b32 exec_lo, exec_lo, s7
.LBB257_203:                            ;   in Loop: Header=BB257_11 Depth=1
	s_or_b32 exec_lo, exec_lo, s6
	flat_load_dword v0, v[21:22] offset:520
	v_mov_b32_e32 v1, 0
	v_mov_b32_e32 v2, 0
	buffer_store_dword v1, off, s[0:3], s32 offset:392 ; 4-byte Folded Spill
	buffer_store_dword v2, off, s[0:3], s32 offset:396 ; 4-byte Folded Spill
	v_mov_b32_e32 v1, 0
	v_mov_b32_e32 v2, 0
	buffer_store_dword v1, off, s[0:3], s32 offset:384 ; 4-byte Folded Spill
	buffer_store_dword v2, off, s[0:3], s32 offset:388 ; 4-byte Folded Spill
	s_waitcnt vmcnt(0) lgkmcnt(0)
	v_cmp_ne_u16_sdwa s5, v0, v57 src0_sel:BYTE_0 src1_sel:DWORD
	s_and_saveexec_b32 s6, s5
	s_cbranch_execz .LBB257_211
; %bb.204:                              ;   in Loop: Header=BB257_11 Depth=1
	v_bfrev_b32_e32 v1, 1
	v_mov_b32_e32 v2, 0
	buffer_store_dword v1, off, s[0:3], s32 offset:384 ; 4-byte Folded Spill
	buffer_store_dword v2, off, s[0:3], s32 offset:388 ; 4-byte Folded Spill
	v_mov_b32_e32 v1, 0x80
	v_cmp_ne_u16_sdwa s5, v0, v1 src0_sel:BYTE_0 src1_sel:DWORD
	s_and_saveexec_b32 s7, s5
	s_cbranch_execz .LBB257_210
; %bb.205:                              ;   in Loop: Header=BB257_11 Depth=1
	v_mov_b32_e32 v3, 0x7f800001
	v_and_b32_e32 v2, 0x7f, v0
	v_mov_b32_e32 v4, 0
	s_mov_b32 s19, exec_lo
	buffer_store_dword v3, off, s[0:3], s32 offset:384 ; 4-byte Folded Spill
	buffer_store_dword v4, off, s[0:3], s32 offset:388 ; 4-byte Folded Spill
	v_cmpx_ne_u32_e32 0x7f, v2
	s_cbranch_execz .LBB257_209
; %bb.206:                              ;   in Loop: Header=BB257_11 Depth=1
	v_and_b32_e32 v56, 7, v0
	v_lshrrev_b32_e32 v1, 3, v2
	s_mov_b32 s22, exec_lo
	v_cmpx_gt_u32_e32 8, v2
; %bb.207:                              ;   in Loop: Header=BB257_11 Depth=1
	v_ffbh_u32_e32 v1, v56
	v_min_u32_e32 v1, 32, v1
	v_subrev_nc_u32_e32 v2, 28, v1
	v_sub_nc_u32_e32 v1, 29, v1
	v_lshlrev_b64 v[2:3], v2, v[56:57]
	v_and_b32_e32 v56, 7, v2
; %bb.208:                              ;   in Loop: Header=BB257_11 Depth=1
	s_or_b32 exec_lo, exec_lo, s22
	v_lshlrev_b32_e32 v2, 24, v0
	v_lshlrev_b32_e32 v3, 20, v56
	v_lshl_add_u32 v1, v1, 23, 0x3c000000
	v_and_b32_e32 v2, 0x80000000, v2
	v_or3_b32 v56, v3, v2, v1
	buffer_store_dword v56, off, s[0:3], s32 offset:384 ; 4-byte Folded Spill
	buffer_store_dword v57, off, s[0:3], s32 offset:388 ; 4-byte Folded Spill
.LBB257_209:                            ;   in Loop: Header=BB257_11 Depth=1
	s_or_b32 exec_lo, exec_lo, s19
.LBB257_210:                            ;   in Loop: Header=BB257_11 Depth=1
	s_or_b32 exec_lo, exec_lo, s7
.LBB257_211:                            ;   in Loop: Header=BB257_11 Depth=1
	s_or_b32 exec_lo, exec_lo, s6
	v_cmp_ne_u16_sdwa s5, v0, v57 src0_sel:BYTE_1 src1_sel:DWORD
	s_and_saveexec_b32 s6, s5
	s_cbranch_execz .LBB257_219
; %bb.212:                              ;   in Loop: Header=BB257_11 Depth=1
	v_mov_b32_e32 v1, 0x80
	v_mov_b32_e32 v90, v57
	buffer_store_dword v90, off, s[0:3], s32 offset:392 ; 4-byte Folded Spill
	buffer_store_dword v91, off, s[0:3], s32 offset:396 ; 4-byte Folded Spill
	v_cmp_ne_u16_sdwa s5, v0, v1 src0_sel:BYTE_1 src1_sel:DWORD
	s_and_saveexec_b32 s7, s5
	s_cbranch_execz .LBB257_218
; %bb.213:                              ;   in Loop: Header=BB257_11 Depth=1
	v_mov_b32_e32 v1, 0xffff
	v_mov_b32_e32 v120, v57
	s_mov_b32 s19, exec_lo
	buffer_store_dword v120, off, s[0:3], s32 offset:392 ; 4-byte Folded Spill
	buffer_store_dword v121, off, s[0:3], s32 offset:396 ; 4-byte Folded Spill
	v_and_b32_sdwa v1, v1, v0 dst_sel:DWORD dst_unused:UNUSED_PAD src0_sel:DWORD src1_sel:BYTE_1
	v_and_b32_e32 v2, 0x7f, v1
	v_cmpx_ne_u32_e32 0x7f, v2
	s_cbranch_execz .LBB257_217
; %bb.214:                              ;   in Loop: Header=BB257_11 Depth=1
	v_and_b32_e32 v56, 7, v1
	v_lshrrev_b32_e32 v1, 3, v2
	s_mov_b32 s22, exec_lo
	v_cmpx_gt_u32_e32 8, v2
; %bb.215:                              ;   in Loop: Header=BB257_11 Depth=1
	v_ffbh_u32_e32 v1, v56
	v_min_u32_e32 v1, 32, v1
	v_subrev_nc_u32_e32 v2, 28, v1
	v_sub_nc_u32_e32 v1, 29, v1
	v_lshlrev_b64 v[2:3], v2, v[56:57]
	v_and_b32_e32 v56, 7, v2
; %bb.216:                              ;   in Loop: Header=BB257_11 Depth=1
	s_or_b32 exec_lo, exec_lo, s22
	v_lshlrev_b32_e32 v2, 16, v0
	v_lshlrev_b32_e32 v3, 20, v56
	v_lshl_add_u32 v1, v1, 23, 0x3c000000
	v_and_b32_e32 v2, 0x80000000, v2
	v_or3_b32 v2, v3, v2, v1
	v_mov_b32_e32 v1, v57
	buffer_store_dword v1, off, s[0:3], s32 offset:392 ; 4-byte Folded Spill
	buffer_store_dword v2, off, s[0:3], s32 offset:396 ; 4-byte Folded Spill
.LBB257_217:                            ;   in Loop: Header=BB257_11 Depth=1
	s_or_b32 exec_lo, exec_lo, s19
.LBB257_218:                            ;   in Loop: Header=BB257_11 Depth=1
	s_or_b32 exec_lo, exec_lo, s7
.LBB257_219:                            ;   in Loop: Header=BB257_11 Depth=1
	s_or_b32 exec_lo, exec_lo, s6
	v_mov_b32_e32 v2, 0
	v_mov_b32_e32 v3, 0
	;; [unrolled: 1-line block ×3, first 2 shown]
	s_mov_b32 s6, exec_lo
	buffer_store_dword v2, off, s[0:3], s32 offset:400 ; 4-byte Folded Spill
	buffer_store_dword v3, off, s[0:3], s32 offset:404 ; 4-byte Folded Spill
	v_mov_b32_e32 v2, 0
	v_and_b32_sdwa v1, v0, v1 dst_sel:DWORD dst_unused:UNUSED_PAD src0_sel:WORD_1 src1_sel:DWORD
	v_mov_b32_e32 v3, 0
	buffer_store_dword v2, off, s[0:3], s32 offset:408 ; 4-byte Folded Spill
	buffer_store_dword v3, off, s[0:3], s32 offset:412 ; 4-byte Folded Spill
	v_cmpx_ne_u16_e32 0, v1
	s_cbranch_execz .LBB257_227
; %bb.220:                              ;   in Loop: Header=BB257_11 Depth=1
	v_cmp_ne_u16_e64 s5, 0x80, v1
	v_bfrev_b32_e32 v1, 1
	v_mov_b32_e32 v2, 0
	buffer_store_dword v1, off, s[0:3], s32 offset:408 ; 4-byte Folded Spill
	buffer_store_dword v2, off, s[0:3], s32 offset:412 ; 4-byte Folded Spill
	s_and_saveexec_b32 s7, s5
	s_cbranch_execz .LBB257_226
; %bb.221:                              ;   in Loop: Header=BB257_11 Depth=1
	v_mov_b32_e32 v3, 0x7f800001
	v_bfe_u32 v2, v0, 16, 7
	v_mov_b32_e32 v4, 0
	s_mov_b32 s19, exec_lo
	buffer_store_dword v3, off, s[0:3], s32 offset:408 ; 4-byte Folded Spill
	buffer_store_dword v4, off, s[0:3], s32 offset:412 ; 4-byte Folded Spill
	v_cmpx_ne_u32_e32 0x7f, v2
	s_cbranch_execz .LBB257_225
; %bb.222:                              ;   in Loop: Header=BB257_11 Depth=1
	v_mov_b32_e32 v1, 7
	s_mov_b32 s22, exec_lo
	v_and_b32_sdwa v56, v0, v1 dst_sel:DWORD dst_unused:UNUSED_PAD src0_sel:WORD_1 src1_sel:DWORD
	v_lshrrev_b32_e32 v1, 3, v2
	v_cmpx_gt_u32_e32 8, v2
; %bb.223:                              ;   in Loop: Header=BB257_11 Depth=1
	v_ffbh_u32_e32 v1, v56
	v_min_u32_e32 v1, 32, v1
	v_subrev_nc_u32_e32 v2, 28, v1
	v_sub_nc_u32_e32 v1, 29, v1
	v_lshlrev_b64 v[2:3], v2, v[56:57]
	v_and_b32_e32 v56, 7, v2
; %bb.224:                              ;   in Loop: Header=BB257_11 Depth=1
	s_or_b32 exec_lo, exec_lo, s22
	v_mov_b32_e32 v2, 24
	v_lshlrev_b32_e32 v3, 20, v56
	v_lshl_add_u32 v1, v1, 23, 0x3c000000
	v_lshlrev_b32_sdwa v2, v2, v0 dst_sel:DWORD dst_unused:UNUSED_PAD src0_sel:DWORD src1_sel:WORD_1
	v_and_b32_e32 v2, 0x80000000, v2
	v_or3_b32 v56, v3, v2, v1
	buffer_store_dword v56, off, s[0:3], s32 offset:408 ; 4-byte Folded Spill
	buffer_store_dword v57, off, s[0:3], s32 offset:412 ; 4-byte Folded Spill
.LBB257_225:                            ;   in Loop: Header=BB257_11 Depth=1
	s_or_b32 exec_lo, exec_lo, s19
.LBB257_226:                            ;   in Loop: Header=BB257_11 Depth=1
	s_or_b32 exec_lo, exec_lo, s7
.LBB257_227:                            ;   in Loop: Header=BB257_11 Depth=1
	s_or_b32 exec_lo, exec_lo, s6
	s_mov_b32 s6, exec_lo
	v_cmpx_lt_u32_e32 0xffffff, v0
	s_cbranch_execz .LBB257_235
; %bb.228:                              ;   in Loop: Header=BB257_11 Depth=1
	v_mov_b32_e32 v1, 0x80
	v_mov_b32_e32 v90, v57
	buffer_store_dword v90, off, s[0:3], s32 offset:400 ; 4-byte Folded Spill
	buffer_store_dword v91, off, s[0:3], s32 offset:404 ; 4-byte Folded Spill
	v_cmp_ne_u32_sdwa s5, v0, v1 src0_sel:BYTE_3 src1_sel:DWORD
	s_and_saveexec_b32 s7, s5
	s_cbranch_execz .LBB257_234
; %bb.229:                              ;   in Loop: Header=BB257_11 Depth=1
	v_bfe_u32 v2, v0, 24, 7
	v_mov_b32_e32 v120, v57
	s_mov_b32 s19, exec_lo
	buffer_store_dword v120, off, s[0:3], s32 offset:400 ; 4-byte Folded Spill
	buffer_store_dword v121, off, s[0:3], s32 offset:404 ; 4-byte Folded Spill
	v_cmpx_ne_u32_e32 0x7f, v2
	s_cbranch_execz .LBB257_233
; %bb.230:                              ;   in Loop: Header=BB257_11 Depth=1
	v_mov_b32_e32 v1, 7
	s_mov_b32 s22, exec_lo
	v_and_b32_sdwa v56, v0, v1 dst_sel:DWORD dst_unused:UNUSED_PAD src0_sel:BYTE_3 src1_sel:DWORD
	v_lshrrev_b32_e32 v1, 3, v2
	v_cmpx_gt_u32_e32 8, v2
; %bb.231:                              ;   in Loop: Header=BB257_11 Depth=1
	v_ffbh_u32_e32 v1, v56
	v_min_u32_e32 v1, 32, v1
	v_subrev_nc_u32_e32 v2, 28, v1
	v_sub_nc_u32_e32 v1, 29, v1
	v_lshlrev_b64 v[2:3], v2, v[56:57]
	v_and_b32_e32 v56, 7, v2
; %bb.232:                              ;   in Loop: Header=BB257_11 Depth=1
	s_or_b32 exec_lo, exec_lo, s22
	v_mov_b32_e32 v2, 24
	v_lshl_add_u32 v1, v1, 23, 0x3c000000
	v_lshlrev_b32_sdwa v0, v2, v0 dst_sel:DWORD dst_unused:UNUSED_PAD src0_sel:DWORD src1_sel:BYTE_3
	v_lshlrev_b32_e32 v2, 20, v56
	v_and_b32_e32 v0, 0x80000000, v0
	v_or3_b32 v1, v2, v0, v1
	v_mov_b32_e32 v0, v57
	buffer_store_dword v0, off, s[0:3], s32 offset:400 ; 4-byte Folded Spill
	buffer_store_dword v1, off, s[0:3], s32 offset:404 ; 4-byte Folded Spill
.LBB257_233:                            ;   in Loop: Header=BB257_11 Depth=1
	s_or_b32 exec_lo, exec_lo, s19
.LBB257_234:                            ;   in Loop: Header=BB257_11 Depth=1
	s_or_b32 exec_lo, exec_lo, s7
.LBB257_235:                            ;   in Loop: Header=BB257_11 Depth=1
	s_or_b32 exec_lo, exec_lo, s6
	flat_load_dword v0, v[21:22] offset:524
	v_mov_b32_e32 v1, 0
	v_mov_b32_e32 v2, 0
	buffer_store_dword v1, off, s[0:3], s32 offset:424 ; 4-byte Folded Spill
	buffer_store_dword v2, off, s[0:3], s32 offset:428 ; 4-byte Folded Spill
	v_mov_b32_e32 v1, 0
	v_mov_b32_e32 v2, 0
	buffer_store_dword v1, off, s[0:3], s32 offset:416 ; 4-byte Folded Spill
	buffer_store_dword v2, off, s[0:3], s32 offset:420 ; 4-byte Folded Spill
	s_waitcnt vmcnt(0) lgkmcnt(0)
	v_cmp_ne_u16_sdwa s5, v0, v57 src0_sel:BYTE_0 src1_sel:DWORD
	s_and_saveexec_b32 s6, s5
	s_cbranch_execz .LBB257_243
; %bb.236:                              ;   in Loop: Header=BB257_11 Depth=1
	v_bfrev_b32_e32 v1, 1
	v_mov_b32_e32 v2, 0
	buffer_store_dword v1, off, s[0:3], s32 offset:416 ; 4-byte Folded Spill
	buffer_store_dword v2, off, s[0:3], s32 offset:420 ; 4-byte Folded Spill
	v_mov_b32_e32 v1, 0x80
	v_cmp_ne_u16_sdwa s5, v0, v1 src0_sel:BYTE_0 src1_sel:DWORD
	s_and_saveexec_b32 s7, s5
	s_cbranch_execz .LBB257_242
; %bb.237:                              ;   in Loop: Header=BB257_11 Depth=1
	v_mov_b32_e32 v3, 0x7f800001
	v_and_b32_e32 v2, 0x7f, v0
	v_mov_b32_e32 v4, 0
	s_mov_b32 s19, exec_lo
	buffer_store_dword v3, off, s[0:3], s32 offset:416 ; 4-byte Folded Spill
	buffer_store_dword v4, off, s[0:3], s32 offset:420 ; 4-byte Folded Spill
	v_cmpx_ne_u32_e32 0x7f, v2
	s_cbranch_execz .LBB257_241
; %bb.238:                              ;   in Loop: Header=BB257_11 Depth=1
	v_and_b32_e32 v56, 7, v0
	v_lshrrev_b32_e32 v1, 3, v2
	s_mov_b32 s22, exec_lo
	v_cmpx_gt_u32_e32 8, v2
; %bb.239:                              ;   in Loop: Header=BB257_11 Depth=1
	v_ffbh_u32_e32 v1, v56
	v_min_u32_e32 v1, 32, v1
	v_subrev_nc_u32_e32 v2, 28, v1
	v_sub_nc_u32_e32 v1, 29, v1
	v_lshlrev_b64 v[2:3], v2, v[56:57]
	v_and_b32_e32 v56, 7, v2
; %bb.240:                              ;   in Loop: Header=BB257_11 Depth=1
	s_or_b32 exec_lo, exec_lo, s22
	v_lshlrev_b32_e32 v2, 24, v0
	v_lshlrev_b32_e32 v3, 20, v56
	v_lshl_add_u32 v1, v1, 23, 0x3c000000
	v_and_b32_e32 v2, 0x80000000, v2
	v_or3_b32 v56, v3, v2, v1
	buffer_store_dword v56, off, s[0:3], s32 offset:416 ; 4-byte Folded Spill
	buffer_store_dword v57, off, s[0:3], s32 offset:420 ; 4-byte Folded Spill
.LBB257_241:                            ;   in Loop: Header=BB257_11 Depth=1
	s_or_b32 exec_lo, exec_lo, s19
.LBB257_242:                            ;   in Loop: Header=BB257_11 Depth=1
	s_or_b32 exec_lo, exec_lo, s7
.LBB257_243:                            ;   in Loop: Header=BB257_11 Depth=1
	s_or_b32 exec_lo, exec_lo, s6
	v_cmp_ne_u16_sdwa s5, v0, v57 src0_sel:BYTE_1 src1_sel:DWORD
	s_and_saveexec_b32 s6, s5
	s_cbranch_execz .LBB257_251
; %bb.244:                              ;   in Loop: Header=BB257_11 Depth=1
	v_mov_b32_e32 v1, 0x80
	v_mov_b32_e32 v90, v57
	buffer_store_dword v90, off, s[0:3], s32 offset:424 ; 4-byte Folded Spill
	buffer_store_dword v91, off, s[0:3], s32 offset:428 ; 4-byte Folded Spill
	v_cmp_ne_u16_sdwa s5, v0, v1 src0_sel:BYTE_1 src1_sel:DWORD
	s_and_saveexec_b32 s7, s5
	s_cbranch_execz .LBB257_250
; %bb.245:                              ;   in Loop: Header=BB257_11 Depth=1
	v_mov_b32_e32 v1, 0xffff
	v_mov_b32_e32 v120, v57
	s_mov_b32 s19, exec_lo
	buffer_store_dword v120, off, s[0:3], s32 offset:424 ; 4-byte Folded Spill
	buffer_store_dword v121, off, s[0:3], s32 offset:428 ; 4-byte Folded Spill
	v_and_b32_sdwa v1, v1, v0 dst_sel:DWORD dst_unused:UNUSED_PAD src0_sel:DWORD src1_sel:BYTE_1
	v_and_b32_e32 v2, 0x7f, v1
	v_cmpx_ne_u32_e32 0x7f, v2
	s_cbranch_execz .LBB257_249
; %bb.246:                              ;   in Loop: Header=BB257_11 Depth=1
	v_and_b32_e32 v56, 7, v1
	v_lshrrev_b32_e32 v1, 3, v2
	s_mov_b32 s22, exec_lo
	v_cmpx_gt_u32_e32 8, v2
; %bb.247:                              ;   in Loop: Header=BB257_11 Depth=1
	v_ffbh_u32_e32 v1, v56
	v_min_u32_e32 v1, 32, v1
	v_subrev_nc_u32_e32 v2, 28, v1
	v_sub_nc_u32_e32 v1, 29, v1
	v_lshlrev_b64 v[2:3], v2, v[56:57]
	v_and_b32_e32 v56, 7, v2
; %bb.248:                              ;   in Loop: Header=BB257_11 Depth=1
	s_or_b32 exec_lo, exec_lo, s22
	v_lshlrev_b32_e32 v2, 16, v0
	v_lshlrev_b32_e32 v3, 20, v56
	v_lshl_add_u32 v1, v1, 23, 0x3c000000
	v_and_b32_e32 v2, 0x80000000, v2
	v_or3_b32 v2, v3, v2, v1
	v_mov_b32_e32 v1, v57
	buffer_store_dword v1, off, s[0:3], s32 offset:424 ; 4-byte Folded Spill
	buffer_store_dword v2, off, s[0:3], s32 offset:428 ; 4-byte Folded Spill
.LBB257_249:                            ;   in Loop: Header=BB257_11 Depth=1
	s_or_b32 exec_lo, exec_lo, s19
.LBB257_250:                            ;   in Loop: Header=BB257_11 Depth=1
	s_or_b32 exec_lo, exec_lo, s7
.LBB257_251:                            ;   in Loop: Header=BB257_11 Depth=1
	s_or_b32 exec_lo, exec_lo, s6
	v_mov_b32_e32 v2, 0
	v_mov_b32_e32 v3, 0
	;; [unrolled: 1-line block ×3, first 2 shown]
	s_mov_b32 s6, exec_lo
	buffer_store_dword v2, off, s[0:3], s32 offset:432 ; 4-byte Folded Spill
	buffer_store_dword v3, off, s[0:3], s32 offset:436 ; 4-byte Folded Spill
	v_mov_b32_e32 v2, 0
	v_and_b32_sdwa v1, v0, v1 dst_sel:DWORD dst_unused:UNUSED_PAD src0_sel:WORD_1 src1_sel:DWORD
	v_mov_b32_e32 v3, 0
	buffer_store_dword v2, off, s[0:3], s32 offset:440 ; 4-byte Folded Spill
	buffer_store_dword v3, off, s[0:3], s32 offset:444 ; 4-byte Folded Spill
	v_cmpx_ne_u16_e32 0, v1
	s_cbranch_execz .LBB257_259
; %bb.252:                              ;   in Loop: Header=BB257_11 Depth=1
	v_cmp_ne_u16_e64 s5, 0x80, v1
	v_bfrev_b32_e32 v1, 1
	v_mov_b32_e32 v2, 0
	buffer_store_dword v1, off, s[0:3], s32 offset:440 ; 4-byte Folded Spill
	buffer_store_dword v2, off, s[0:3], s32 offset:444 ; 4-byte Folded Spill
	s_and_saveexec_b32 s7, s5
	s_cbranch_execz .LBB257_258
; %bb.253:                              ;   in Loop: Header=BB257_11 Depth=1
	v_mov_b32_e32 v3, 0x7f800001
	v_bfe_u32 v2, v0, 16, 7
	v_mov_b32_e32 v4, 0
	s_mov_b32 s19, exec_lo
	buffer_store_dword v3, off, s[0:3], s32 offset:440 ; 4-byte Folded Spill
	buffer_store_dword v4, off, s[0:3], s32 offset:444 ; 4-byte Folded Spill
	v_cmpx_ne_u32_e32 0x7f, v2
	s_cbranch_execz .LBB257_257
; %bb.254:                              ;   in Loop: Header=BB257_11 Depth=1
	v_mov_b32_e32 v1, 7
	s_mov_b32 s22, exec_lo
	v_and_b32_sdwa v56, v0, v1 dst_sel:DWORD dst_unused:UNUSED_PAD src0_sel:WORD_1 src1_sel:DWORD
	v_lshrrev_b32_e32 v1, 3, v2
	v_cmpx_gt_u32_e32 8, v2
; %bb.255:                              ;   in Loop: Header=BB257_11 Depth=1
	v_ffbh_u32_e32 v1, v56
	v_min_u32_e32 v1, 32, v1
	v_subrev_nc_u32_e32 v2, 28, v1
	v_sub_nc_u32_e32 v1, 29, v1
	v_lshlrev_b64 v[2:3], v2, v[56:57]
	v_and_b32_e32 v56, 7, v2
; %bb.256:                              ;   in Loop: Header=BB257_11 Depth=1
	s_or_b32 exec_lo, exec_lo, s22
	v_mov_b32_e32 v2, 24
	v_lshlrev_b32_e32 v3, 20, v56
	v_lshl_add_u32 v1, v1, 23, 0x3c000000
	v_lshlrev_b32_sdwa v2, v2, v0 dst_sel:DWORD dst_unused:UNUSED_PAD src0_sel:DWORD src1_sel:WORD_1
	v_and_b32_e32 v2, 0x80000000, v2
	v_or3_b32 v56, v3, v2, v1
	buffer_store_dword v56, off, s[0:3], s32 offset:440 ; 4-byte Folded Spill
	buffer_store_dword v57, off, s[0:3], s32 offset:444 ; 4-byte Folded Spill
.LBB257_257:                            ;   in Loop: Header=BB257_11 Depth=1
	s_or_b32 exec_lo, exec_lo, s19
.LBB257_258:                            ;   in Loop: Header=BB257_11 Depth=1
	s_or_b32 exec_lo, exec_lo, s7
.LBB257_259:                            ;   in Loop: Header=BB257_11 Depth=1
	s_or_b32 exec_lo, exec_lo, s6
	s_mov_b32 s6, exec_lo
	v_cmpx_lt_u32_e32 0xffffff, v0
	s_cbranch_execz .LBB257_267
; %bb.260:                              ;   in Loop: Header=BB257_11 Depth=1
	v_mov_b32_e32 v1, 0x80
	v_mov_b32_e32 v90, v57
	buffer_store_dword v90, off, s[0:3], s32 offset:432 ; 4-byte Folded Spill
	buffer_store_dword v91, off, s[0:3], s32 offset:436 ; 4-byte Folded Spill
	v_cmp_ne_u32_sdwa s5, v0, v1 src0_sel:BYTE_3 src1_sel:DWORD
	s_and_saveexec_b32 s7, s5
	s_cbranch_execz .LBB257_266
; %bb.261:                              ;   in Loop: Header=BB257_11 Depth=1
	v_bfe_u32 v2, v0, 24, 7
	v_mov_b32_e32 v120, v57
	s_mov_b32 s19, exec_lo
	buffer_store_dword v120, off, s[0:3], s32 offset:432 ; 4-byte Folded Spill
	buffer_store_dword v121, off, s[0:3], s32 offset:436 ; 4-byte Folded Spill
	v_cmpx_ne_u32_e32 0x7f, v2
	s_cbranch_execz .LBB257_265
; %bb.262:                              ;   in Loop: Header=BB257_11 Depth=1
	v_mov_b32_e32 v1, 7
	s_mov_b32 s22, exec_lo
	v_and_b32_sdwa v56, v0, v1 dst_sel:DWORD dst_unused:UNUSED_PAD src0_sel:BYTE_3 src1_sel:DWORD
	v_lshrrev_b32_e32 v1, 3, v2
	v_cmpx_gt_u32_e32 8, v2
; %bb.263:                              ;   in Loop: Header=BB257_11 Depth=1
	v_ffbh_u32_e32 v1, v56
	v_min_u32_e32 v1, 32, v1
	v_subrev_nc_u32_e32 v2, 28, v1
	v_sub_nc_u32_e32 v1, 29, v1
	v_lshlrev_b64 v[2:3], v2, v[56:57]
	v_and_b32_e32 v56, 7, v2
; %bb.264:                              ;   in Loop: Header=BB257_11 Depth=1
	s_or_b32 exec_lo, exec_lo, s22
	v_mov_b32_e32 v2, 24
	v_lshl_add_u32 v1, v1, 23, 0x3c000000
	v_lshlrev_b32_sdwa v0, v2, v0 dst_sel:DWORD dst_unused:UNUSED_PAD src0_sel:DWORD src1_sel:BYTE_3
	v_lshlrev_b32_e32 v2, 20, v56
	v_and_b32_e32 v0, 0x80000000, v0
	v_or3_b32 v1, v2, v0, v1
	v_mov_b32_e32 v0, v57
	buffer_store_dword v0, off, s[0:3], s32 offset:432 ; 4-byte Folded Spill
	buffer_store_dword v1, off, s[0:3], s32 offset:436 ; 4-byte Folded Spill
.LBB257_265:                            ;   in Loop: Header=BB257_11 Depth=1
	s_or_b32 exec_lo, exec_lo, s19
.LBB257_266:                            ;   in Loop: Header=BB257_11 Depth=1
	s_or_b32 exec_lo, exec_lo, s7
.LBB257_267:                            ;   in Loop: Header=BB257_11 Depth=1
	s_or_b32 exec_lo, exec_lo, s6
	flat_load_dword v0, v[21:22] offset:1024
	v_mov_b32_e32 v1, 0
	v_mov_b32_e32 v2, 0
	buffer_store_dword v1, off, s[0:3], s32 offset:456 ; 4-byte Folded Spill
	buffer_store_dword v2, off, s[0:3], s32 offset:460 ; 4-byte Folded Spill
	v_mov_b32_e32 v1, 0
	v_mov_b32_e32 v2, 0
	buffer_store_dword v1, off, s[0:3], s32 offset:448 ; 4-byte Folded Spill
	buffer_store_dword v2, off, s[0:3], s32 offset:452 ; 4-byte Folded Spill
	s_waitcnt vmcnt(0) lgkmcnt(0)
	v_cmp_ne_u16_sdwa s5, v0, v57 src0_sel:BYTE_0 src1_sel:DWORD
	s_and_saveexec_b32 s6, s5
	s_cbranch_execz .LBB257_275
; %bb.268:                              ;   in Loop: Header=BB257_11 Depth=1
	v_bfrev_b32_e32 v1, 1
	v_mov_b32_e32 v2, 0
	buffer_store_dword v1, off, s[0:3], s32 offset:448 ; 4-byte Folded Spill
	buffer_store_dword v2, off, s[0:3], s32 offset:452 ; 4-byte Folded Spill
	v_mov_b32_e32 v1, 0x80
	v_cmp_ne_u16_sdwa s5, v0, v1 src0_sel:BYTE_0 src1_sel:DWORD
	s_and_saveexec_b32 s7, s5
	s_cbranch_execz .LBB257_274
; %bb.269:                              ;   in Loop: Header=BB257_11 Depth=1
	v_mov_b32_e32 v3, 0x7f800001
	v_and_b32_e32 v2, 0x7f, v0
	v_mov_b32_e32 v4, 0
	s_mov_b32 s19, exec_lo
	buffer_store_dword v3, off, s[0:3], s32 offset:448 ; 4-byte Folded Spill
	buffer_store_dword v4, off, s[0:3], s32 offset:452 ; 4-byte Folded Spill
	v_cmpx_ne_u32_e32 0x7f, v2
	s_cbranch_execz .LBB257_273
; %bb.270:                              ;   in Loop: Header=BB257_11 Depth=1
	v_and_b32_e32 v56, 7, v0
	v_lshrrev_b32_e32 v1, 3, v2
	s_mov_b32 s22, exec_lo
	v_cmpx_gt_u32_e32 8, v2
; %bb.271:                              ;   in Loop: Header=BB257_11 Depth=1
	v_ffbh_u32_e32 v1, v56
	v_min_u32_e32 v1, 32, v1
	v_subrev_nc_u32_e32 v2, 28, v1
	v_sub_nc_u32_e32 v1, 29, v1
	v_lshlrev_b64 v[2:3], v2, v[56:57]
	v_and_b32_e32 v56, 7, v2
; %bb.272:                              ;   in Loop: Header=BB257_11 Depth=1
	s_or_b32 exec_lo, exec_lo, s22
	v_lshlrev_b32_e32 v2, 24, v0
	v_lshlrev_b32_e32 v3, 20, v56
	v_lshl_add_u32 v1, v1, 23, 0x3c000000
	v_and_b32_e32 v2, 0x80000000, v2
	v_or3_b32 v56, v3, v2, v1
	buffer_store_dword v56, off, s[0:3], s32 offset:448 ; 4-byte Folded Spill
	buffer_store_dword v57, off, s[0:3], s32 offset:452 ; 4-byte Folded Spill
.LBB257_273:                            ;   in Loop: Header=BB257_11 Depth=1
	s_or_b32 exec_lo, exec_lo, s19
.LBB257_274:                            ;   in Loop: Header=BB257_11 Depth=1
	s_or_b32 exec_lo, exec_lo, s7
.LBB257_275:                            ;   in Loop: Header=BB257_11 Depth=1
	s_or_b32 exec_lo, exec_lo, s6
	v_cmp_ne_u16_sdwa s5, v0, v57 src0_sel:BYTE_1 src1_sel:DWORD
	s_and_saveexec_b32 s6, s5
	s_cbranch_execz .LBB257_283
; %bb.276:                              ;   in Loop: Header=BB257_11 Depth=1
	v_mov_b32_e32 v1, 0x80
	v_mov_b32_e32 v90, v57
	buffer_store_dword v90, off, s[0:3], s32 offset:456 ; 4-byte Folded Spill
	buffer_store_dword v91, off, s[0:3], s32 offset:460 ; 4-byte Folded Spill
	v_cmp_ne_u16_sdwa s5, v0, v1 src0_sel:BYTE_1 src1_sel:DWORD
	s_and_saveexec_b32 s7, s5
	s_cbranch_execz .LBB257_282
; %bb.277:                              ;   in Loop: Header=BB257_11 Depth=1
	v_mov_b32_e32 v1, 0xffff
	v_mov_b32_e32 v120, v57
	s_mov_b32 s19, exec_lo
	buffer_store_dword v120, off, s[0:3], s32 offset:456 ; 4-byte Folded Spill
	buffer_store_dword v121, off, s[0:3], s32 offset:460 ; 4-byte Folded Spill
	v_and_b32_sdwa v1, v1, v0 dst_sel:DWORD dst_unused:UNUSED_PAD src0_sel:DWORD src1_sel:BYTE_1
	v_and_b32_e32 v2, 0x7f, v1
	v_cmpx_ne_u32_e32 0x7f, v2
	s_cbranch_execz .LBB257_281
; %bb.278:                              ;   in Loop: Header=BB257_11 Depth=1
	v_and_b32_e32 v56, 7, v1
	v_lshrrev_b32_e32 v1, 3, v2
	s_mov_b32 s22, exec_lo
	v_cmpx_gt_u32_e32 8, v2
; %bb.279:                              ;   in Loop: Header=BB257_11 Depth=1
	v_ffbh_u32_e32 v1, v56
	v_min_u32_e32 v1, 32, v1
	v_subrev_nc_u32_e32 v2, 28, v1
	v_sub_nc_u32_e32 v1, 29, v1
	v_lshlrev_b64 v[2:3], v2, v[56:57]
	v_and_b32_e32 v56, 7, v2
; %bb.280:                              ;   in Loop: Header=BB257_11 Depth=1
	s_or_b32 exec_lo, exec_lo, s22
	v_lshlrev_b32_e32 v2, 16, v0
	v_lshlrev_b32_e32 v3, 20, v56
	v_lshl_add_u32 v1, v1, 23, 0x3c000000
	v_and_b32_e32 v2, 0x80000000, v2
	v_or3_b32 v2, v3, v2, v1
	v_mov_b32_e32 v1, v57
	buffer_store_dword v1, off, s[0:3], s32 offset:456 ; 4-byte Folded Spill
	buffer_store_dword v2, off, s[0:3], s32 offset:460 ; 4-byte Folded Spill
.LBB257_281:                            ;   in Loop: Header=BB257_11 Depth=1
	s_or_b32 exec_lo, exec_lo, s19
.LBB257_282:                            ;   in Loop: Header=BB257_11 Depth=1
	s_or_b32 exec_lo, exec_lo, s7
.LBB257_283:                            ;   in Loop: Header=BB257_11 Depth=1
	s_or_b32 exec_lo, exec_lo, s6
	v_mov_b32_e32 v2, 0
	v_mov_b32_e32 v3, 0
	;; [unrolled: 1-line block ×3, first 2 shown]
	s_mov_b32 s6, exec_lo
	buffer_store_dword v2, off, s[0:3], s32 offset:464 ; 4-byte Folded Spill
	buffer_store_dword v3, off, s[0:3], s32 offset:468 ; 4-byte Folded Spill
	v_mov_b32_e32 v2, 0
	v_and_b32_sdwa v1, v0, v1 dst_sel:DWORD dst_unused:UNUSED_PAD src0_sel:WORD_1 src1_sel:DWORD
	v_mov_b32_e32 v3, 0
	buffer_store_dword v2, off, s[0:3], s32 offset:472 ; 4-byte Folded Spill
	buffer_store_dword v3, off, s[0:3], s32 offset:476 ; 4-byte Folded Spill
	v_cmpx_ne_u16_e32 0, v1
	s_cbranch_execz .LBB257_291
; %bb.284:                              ;   in Loop: Header=BB257_11 Depth=1
	v_cmp_ne_u16_e64 s5, 0x80, v1
	v_bfrev_b32_e32 v1, 1
	v_mov_b32_e32 v2, 0
	buffer_store_dword v1, off, s[0:3], s32 offset:472 ; 4-byte Folded Spill
	buffer_store_dword v2, off, s[0:3], s32 offset:476 ; 4-byte Folded Spill
	s_and_saveexec_b32 s7, s5
	s_cbranch_execz .LBB257_290
; %bb.285:                              ;   in Loop: Header=BB257_11 Depth=1
	v_mov_b32_e32 v3, 0x7f800001
	v_bfe_u32 v2, v0, 16, 7
	v_mov_b32_e32 v4, 0
	s_mov_b32 s19, exec_lo
	buffer_store_dword v3, off, s[0:3], s32 offset:472 ; 4-byte Folded Spill
	buffer_store_dword v4, off, s[0:3], s32 offset:476 ; 4-byte Folded Spill
	v_cmpx_ne_u32_e32 0x7f, v2
	s_cbranch_execz .LBB257_289
; %bb.286:                              ;   in Loop: Header=BB257_11 Depth=1
	v_mov_b32_e32 v1, 7
	s_mov_b32 s22, exec_lo
	v_and_b32_sdwa v56, v0, v1 dst_sel:DWORD dst_unused:UNUSED_PAD src0_sel:WORD_1 src1_sel:DWORD
	v_lshrrev_b32_e32 v1, 3, v2
	v_cmpx_gt_u32_e32 8, v2
; %bb.287:                              ;   in Loop: Header=BB257_11 Depth=1
	v_ffbh_u32_e32 v1, v56
	v_min_u32_e32 v1, 32, v1
	v_subrev_nc_u32_e32 v2, 28, v1
	v_sub_nc_u32_e32 v1, 29, v1
	v_lshlrev_b64 v[2:3], v2, v[56:57]
	v_and_b32_e32 v56, 7, v2
; %bb.288:                              ;   in Loop: Header=BB257_11 Depth=1
	s_or_b32 exec_lo, exec_lo, s22
	v_mov_b32_e32 v2, 24
	v_lshlrev_b32_e32 v3, 20, v56
	v_lshl_add_u32 v1, v1, 23, 0x3c000000
	v_lshlrev_b32_sdwa v2, v2, v0 dst_sel:DWORD dst_unused:UNUSED_PAD src0_sel:DWORD src1_sel:WORD_1
	v_and_b32_e32 v2, 0x80000000, v2
	v_or3_b32 v56, v3, v2, v1
	buffer_store_dword v56, off, s[0:3], s32 offset:472 ; 4-byte Folded Spill
	buffer_store_dword v57, off, s[0:3], s32 offset:476 ; 4-byte Folded Spill
.LBB257_289:                            ;   in Loop: Header=BB257_11 Depth=1
	s_or_b32 exec_lo, exec_lo, s19
.LBB257_290:                            ;   in Loop: Header=BB257_11 Depth=1
	s_or_b32 exec_lo, exec_lo, s7
.LBB257_291:                            ;   in Loop: Header=BB257_11 Depth=1
	s_or_b32 exec_lo, exec_lo, s6
	s_mov_b32 s6, exec_lo
	v_cmpx_lt_u32_e32 0xffffff, v0
	s_cbranch_execz .LBB257_299
; %bb.292:                              ;   in Loop: Header=BB257_11 Depth=1
	v_mov_b32_e32 v1, 0x80
	v_mov_b32_e32 v90, v57
	buffer_store_dword v90, off, s[0:3], s32 offset:464 ; 4-byte Folded Spill
	buffer_store_dword v91, off, s[0:3], s32 offset:468 ; 4-byte Folded Spill
	v_cmp_ne_u32_sdwa s5, v0, v1 src0_sel:BYTE_3 src1_sel:DWORD
	s_and_saveexec_b32 s7, s5
	s_cbranch_execz .LBB257_298
; %bb.293:                              ;   in Loop: Header=BB257_11 Depth=1
	v_bfe_u32 v2, v0, 24, 7
	v_mov_b32_e32 v120, v57
	s_mov_b32 s19, exec_lo
	buffer_store_dword v120, off, s[0:3], s32 offset:464 ; 4-byte Folded Spill
	buffer_store_dword v121, off, s[0:3], s32 offset:468 ; 4-byte Folded Spill
	v_cmpx_ne_u32_e32 0x7f, v2
	s_cbranch_execz .LBB257_297
; %bb.294:                              ;   in Loop: Header=BB257_11 Depth=1
	v_mov_b32_e32 v1, 7
	s_mov_b32 s22, exec_lo
	v_and_b32_sdwa v56, v0, v1 dst_sel:DWORD dst_unused:UNUSED_PAD src0_sel:BYTE_3 src1_sel:DWORD
	v_lshrrev_b32_e32 v1, 3, v2
	v_cmpx_gt_u32_e32 8, v2
; %bb.295:                              ;   in Loop: Header=BB257_11 Depth=1
	v_ffbh_u32_e32 v1, v56
	v_min_u32_e32 v1, 32, v1
	v_subrev_nc_u32_e32 v2, 28, v1
	v_sub_nc_u32_e32 v1, 29, v1
	v_lshlrev_b64 v[2:3], v2, v[56:57]
	v_and_b32_e32 v56, 7, v2
; %bb.296:                              ;   in Loop: Header=BB257_11 Depth=1
	s_or_b32 exec_lo, exec_lo, s22
	v_mov_b32_e32 v2, 24
	v_lshl_add_u32 v1, v1, 23, 0x3c000000
	v_lshlrev_b32_sdwa v0, v2, v0 dst_sel:DWORD dst_unused:UNUSED_PAD src0_sel:DWORD src1_sel:BYTE_3
	v_lshlrev_b32_e32 v2, 20, v56
	v_and_b32_e32 v0, 0x80000000, v0
	v_or3_b32 v1, v2, v0, v1
	v_mov_b32_e32 v0, v57
	buffer_store_dword v0, off, s[0:3], s32 offset:464 ; 4-byte Folded Spill
	buffer_store_dword v1, off, s[0:3], s32 offset:468 ; 4-byte Folded Spill
.LBB257_297:                            ;   in Loop: Header=BB257_11 Depth=1
	s_or_b32 exec_lo, exec_lo, s19
.LBB257_298:                            ;   in Loop: Header=BB257_11 Depth=1
	s_or_b32 exec_lo, exec_lo, s7
.LBB257_299:                            ;   in Loop: Header=BB257_11 Depth=1
	s_or_b32 exec_lo, exec_lo, s6
	flat_load_dword v0, v[21:22] offset:1028
	v_mov_b32_e32 v1, 0
	v_mov_b32_e32 v2, 0
	buffer_store_dword v1, off, s[0:3], s32 offset:488 ; 4-byte Folded Spill
	buffer_store_dword v2, off, s[0:3], s32 offset:492 ; 4-byte Folded Spill
	v_mov_b32_e32 v1, 0
	v_mov_b32_e32 v2, 0
	buffer_store_dword v1, off, s[0:3], s32 offset:480 ; 4-byte Folded Spill
	buffer_store_dword v2, off, s[0:3], s32 offset:484 ; 4-byte Folded Spill
	s_waitcnt vmcnt(0) lgkmcnt(0)
	v_cmp_ne_u16_sdwa s5, v0, v57 src0_sel:BYTE_0 src1_sel:DWORD
	s_and_saveexec_b32 s6, s5
	s_cbranch_execz .LBB257_307
; %bb.300:                              ;   in Loop: Header=BB257_11 Depth=1
	v_bfrev_b32_e32 v1, 1
	v_mov_b32_e32 v2, 0
	buffer_store_dword v1, off, s[0:3], s32 offset:480 ; 4-byte Folded Spill
	buffer_store_dword v2, off, s[0:3], s32 offset:484 ; 4-byte Folded Spill
	v_mov_b32_e32 v1, 0x80
	v_cmp_ne_u16_sdwa s5, v0, v1 src0_sel:BYTE_0 src1_sel:DWORD
	s_and_saveexec_b32 s7, s5
	s_cbranch_execz .LBB257_306
; %bb.301:                              ;   in Loop: Header=BB257_11 Depth=1
	v_mov_b32_e32 v3, 0x7f800001
	v_and_b32_e32 v2, 0x7f, v0
	v_mov_b32_e32 v4, 0
	s_mov_b32 s19, exec_lo
	buffer_store_dword v3, off, s[0:3], s32 offset:480 ; 4-byte Folded Spill
	buffer_store_dword v4, off, s[0:3], s32 offset:484 ; 4-byte Folded Spill
	v_cmpx_ne_u32_e32 0x7f, v2
	s_cbranch_execz .LBB257_305
; %bb.302:                              ;   in Loop: Header=BB257_11 Depth=1
	v_and_b32_e32 v56, 7, v0
	v_lshrrev_b32_e32 v1, 3, v2
	s_mov_b32 s22, exec_lo
	v_cmpx_gt_u32_e32 8, v2
; %bb.303:                              ;   in Loop: Header=BB257_11 Depth=1
	v_ffbh_u32_e32 v1, v56
	v_min_u32_e32 v1, 32, v1
	v_subrev_nc_u32_e32 v2, 28, v1
	v_sub_nc_u32_e32 v1, 29, v1
	v_lshlrev_b64 v[2:3], v2, v[56:57]
	v_and_b32_e32 v56, 7, v2
; %bb.304:                              ;   in Loop: Header=BB257_11 Depth=1
	s_or_b32 exec_lo, exec_lo, s22
	v_lshlrev_b32_e32 v2, 24, v0
	v_lshlrev_b32_e32 v3, 20, v56
	v_lshl_add_u32 v1, v1, 23, 0x3c000000
	v_and_b32_e32 v2, 0x80000000, v2
	v_or3_b32 v56, v3, v2, v1
	buffer_store_dword v56, off, s[0:3], s32 offset:480 ; 4-byte Folded Spill
	buffer_store_dword v57, off, s[0:3], s32 offset:484 ; 4-byte Folded Spill
.LBB257_305:                            ;   in Loop: Header=BB257_11 Depth=1
	s_or_b32 exec_lo, exec_lo, s19
.LBB257_306:                            ;   in Loop: Header=BB257_11 Depth=1
	s_or_b32 exec_lo, exec_lo, s7
.LBB257_307:                            ;   in Loop: Header=BB257_11 Depth=1
	s_or_b32 exec_lo, exec_lo, s6
	v_cmp_ne_u16_sdwa s5, v0, v57 src0_sel:BYTE_1 src1_sel:DWORD
	s_and_saveexec_b32 s6, s5
	s_cbranch_execz .LBB257_315
; %bb.308:                              ;   in Loop: Header=BB257_11 Depth=1
	v_mov_b32_e32 v1, 0x80
	v_mov_b32_e32 v90, v57
	buffer_store_dword v90, off, s[0:3], s32 offset:488 ; 4-byte Folded Spill
	buffer_store_dword v91, off, s[0:3], s32 offset:492 ; 4-byte Folded Spill
	v_cmp_ne_u16_sdwa s5, v0, v1 src0_sel:BYTE_1 src1_sel:DWORD
	s_and_saveexec_b32 s7, s5
	s_cbranch_execz .LBB257_314
; %bb.309:                              ;   in Loop: Header=BB257_11 Depth=1
	v_mov_b32_e32 v1, 0xffff
	v_mov_b32_e32 v120, v57
	s_mov_b32 s19, exec_lo
	buffer_store_dword v120, off, s[0:3], s32 offset:488 ; 4-byte Folded Spill
	buffer_store_dword v121, off, s[0:3], s32 offset:492 ; 4-byte Folded Spill
	v_and_b32_sdwa v1, v1, v0 dst_sel:DWORD dst_unused:UNUSED_PAD src0_sel:DWORD src1_sel:BYTE_1
	v_and_b32_e32 v2, 0x7f, v1
	v_cmpx_ne_u32_e32 0x7f, v2
	s_cbranch_execz .LBB257_313
; %bb.310:                              ;   in Loop: Header=BB257_11 Depth=1
	v_and_b32_e32 v56, 7, v1
	v_lshrrev_b32_e32 v1, 3, v2
	s_mov_b32 s22, exec_lo
	v_cmpx_gt_u32_e32 8, v2
; %bb.311:                              ;   in Loop: Header=BB257_11 Depth=1
	v_ffbh_u32_e32 v1, v56
	v_min_u32_e32 v1, 32, v1
	v_subrev_nc_u32_e32 v2, 28, v1
	v_sub_nc_u32_e32 v1, 29, v1
	v_lshlrev_b64 v[2:3], v2, v[56:57]
	v_and_b32_e32 v56, 7, v2
; %bb.312:                              ;   in Loop: Header=BB257_11 Depth=1
	s_or_b32 exec_lo, exec_lo, s22
	v_lshlrev_b32_e32 v2, 16, v0
	v_lshlrev_b32_e32 v3, 20, v56
	v_lshl_add_u32 v1, v1, 23, 0x3c000000
	v_and_b32_e32 v2, 0x80000000, v2
	v_or3_b32 v2, v3, v2, v1
	v_mov_b32_e32 v1, v57
	buffer_store_dword v1, off, s[0:3], s32 offset:488 ; 4-byte Folded Spill
	buffer_store_dword v2, off, s[0:3], s32 offset:492 ; 4-byte Folded Spill
.LBB257_313:                            ;   in Loop: Header=BB257_11 Depth=1
	s_or_b32 exec_lo, exec_lo, s19
.LBB257_314:                            ;   in Loop: Header=BB257_11 Depth=1
	s_or_b32 exec_lo, exec_lo, s7
.LBB257_315:                            ;   in Loop: Header=BB257_11 Depth=1
	s_or_b32 exec_lo, exec_lo, s6
	v_mov_b32_e32 v2, 0
	v_mov_b32_e32 v3, 0
	;; [unrolled: 1-line block ×3, first 2 shown]
	s_mov_b32 s6, exec_lo
	buffer_store_dword v2, off, s[0:3], s32 offset:496 ; 4-byte Folded Spill
	buffer_store_dword v3, off, s[0:3], s32 offset:500 ; 4-byte Folded Spill
	v_mov_b32_e32 v2, 0
	v_and_b32_sdwa v1, v0, v1 dst_sel:DWORD dst_unused:UNUSED_PAD src0_sel:WORD_1 src1_sel:DWORD
	v_mov_b32_e32 v3, 0
	buffer_store_dword v2, off, s[0:3], s32 offset:504 ; 4-byte Folded Spill
	buffer_store_dword v3, off, s[0:3], s32 offset:508 ; 4-byte Folded Spill
	v_cmpx_ne_u16_e32 0, v1
	s_cbranch_execz .LBB257_323
; %bb.316:                              ;   in Loop: Header=BB257_11 Depth=1
	v_cmp_ne_u16_e64 s5, 0x80, v1
	v_bfrev_b32_e32 v1, 1
	v_mov_b32_e32 v2, 0
	buffer_store_dword v1, off, s[0:3], s32 offset:504 ; 4-byte Folded Spill
	buffer_store_dword v2, off, s[0:3], s32 offset:508 ; 4-byte Folded Spill
	s_and_saveexec_b32 s7, s5
	s_cbranch_execz .LBB257_322
; %bb.317:                              ;   in Loop: Header=BB257_11 Depth=1
	v_mov_b32_e32 v3, 0x7f800001
	v_bfe_u32 v2, v0, 16, 7
	v_mov_b32_e32 v4, 0
	s_mov_b32 s19, exec_lo
	buffer_store_dword v3, off, s[0:3], s32 offset:504 ; 4-byte Folded Spill
	buffer_store_dword v4, off, s[0:3], s32 offset:508 ; 4-byte Folded Spill
	v_cmpx_ne_u32_e32 0x7f, v2
	s_cbranch_execz .LBB257_321
; %bb.318:                              ;   in Loop: Header=BB257_11 Depth=1
	v_mov_b32_e32 v1, 7
	s_mov_b32 s22, exec_lo
	v_and_b32_sdwa v56, v0, v1 dst_sel:DWORD dst_unused:UNUSED_PAD src0_sel:WORD_1 src1_sel:DWORD
	v_lshrrev_b32_e32 v1, 3, v2
	v_cmpx_gt_u32_e32 8, v2
; %bb.319:                              ;   in Loop: Header=BB257_11 Depth=1
	v_ffbh_u32_e32 v1, v56
	v_min_u32_e32 v1, 32, v1
	v_subrev_nc_u32_e32 v2, 28, v1
	v_sub_nc_u32_e32 v1, 29, v1
	v_lshlrev_b64 v[2:3], v2, v[56:57]
	v_and_b32_e32 v56, 7, v2
; %bb.320:                              ;   in Loop: Header=BB257_11 Depth=1
	s_or_b32 exec_lo, exec_lo, s22
	v_mov_b32_e32 v2, 24
	v_lshlrev_b32_e32 v3, 20, v56
	v_lshl_add_u32 v1, v1, 23, 0x3c000000
	v_lshlrev_b32_sdwa v2, v2, v0 dst_sel:DWORD dst_unused:UNUSED_PAD src0_sel:DWORD src1_sel:WORD_1
	v_and_b32_e32 v2, 0x80000000, v2
	v_or3_b32 v56, v3, v2, v1
	buffer_store_dword v56, off, s[0:3], s32 offset:504 ; 4-byte Folded Spill
	buffer_store_dword v57, off, s[0:3], s32 offset:508 ; 4-byte Folded Spill
.LBB257_321:                            ;   in Loop: Header=BB257_11 Depth=1
	s_or_b32 exec_lo, exec_lo, s19
.LBB257_322:                            ;   in Loop: Header=BB257_11 Depth=1
	s_or_b32 exec_lo, exec_lo, s7
.LBB257_323:                            ;   in Loop: Header=BB257_11 Depth=1
	s_or_b32 exec_lo, exec_lo, s6
	s_mov_b32 s6, exec_lo
	v_cmpx_lt_u32_e32 0xffffff, v0
	s_cbranch_execz .LBB257_331
; %bb.324:                              ;   in Loop: Header=BB257_11 Depth=1
	v_mov_b32_e32 v1, 0x80
	v_mov_b32_e32 v90, v57
	buffer_store_dword v90, off, s[0:3], s32 offset:496 ; 4-byte Folded Spill
	buffer_store_dword v91, off, s[0:3], s32 offset:500 ; 4-byte Folded Spill
	v_cmp_ne_u32_sdwa s5, v0, v1 src0_sel:BYTE_3 src1_sel:DWORD
	s_and_saveexec_b32 s7, s5
	s_cbranch_execz .LBB257_330
; %bb.325:                              ;   in Loop: Header=BB257_11 Depth=1
	v_bfe_u32 v2, v0, 24, 7
	v_mov_b32_e32 v120, v57
	s_mov_b32 s19, exec_lo
	buffer_store_dword v120, off, s[0:3], s32 offset:496 ; 4-byte Folded Spill
	buffer_store_dword v121, off, s[0:3], s32 offset:500 ; 4-byte Folded Spill
	v_cmpx_ne_u32_e32 0x7f, v2
	s_cbranch_execz .LBB257_329
; %bb.326:                              ;   in Loop: Header=BB257_11 Depth=1
	v_mov_b32_e32 v1, 7
	s_mov_b32 s22, exec_lo
	v_and_b32_sdwa v56, v0, v1 dst_sel:DWORD dst_unused:UNUSED_PAD src0_sel:BYTE_3 src1_sel:DWORD
	v_lshrrev_b32_e32 v1, 3, v2
	v_cmpx_gt_u32_e32 8, v2
; %bb.327:                              ;   in Loop: Header=BB257_11 Depth=1
	v_ffbh_u32_e32 v1, v56
	v_min_u32_e32 v1, 32, v1
	v_subrev_nc_u32_e32 v2, 28, v1
	v_sub_nc_u32_e32 v1, 29, v1
	v_lshlrev_b64 v[2:3], v2, v[56:57]
	v_and_b32_e32 v56, 7, v2
; %bb.328:                              ;   in Loop: Header=BB257_11 Depth=1
	s_or_b32 exec_lo, exec_lo, s22
	v_mov_b32_e32 v2, 24
	v_lshl_add_u32 v1, v1, 23, 0x3c000000
	v_lshlrev_b32_sdwa v0, v2, v0 dst_sel:DWORD dst_unused:UNUSED_PAD src0_sel:DWORD src1_sel:BYTE_3
	v_lshlrev_b32_e32 v2, 20, v56
	v_and_b32_e32 v0, 0x80000000, v0
	v_or3_b32 v1, v2, v0, v1
	v_mov_b32_e32 v0, v57
	buffer_store_dword v0, off, s[0:3], s32 offset:496 ; 4-byte Folded Spill
	buffer_store_dword v1, off, s[0:3], s32 offset:500 ; 4-byte Folded Spill
.LBB257_329:                            ;   in Loop: Header=BB257_11 Depth=1
	s_or_b32 exec_lo, exec_lo, s19
.LBB257_330:                            ;   in Loop: Header=BB257_11 Depth=1
	s_or_b32 exec_lo, exec_lo, s7
.LBB257_331:                            ;   in Loop: Header=BB257_11 Depth=1
	s_or_b32 exec_lo, exec_lo, s6
	flat_load_dword v0, v[21:22] offset:1032
	v_mov_b32_e32 v1, 0
	v_mov_b32_e32 v2, 0
	buffer_store_dword v1, off, s[0:3], s32 offset:520 ; 4-byte Folded Spill
	buffer_store_dword v2, off, s[0:3], s32 offset:524 ; 4-byte Folded Spill
	v_mov_b32_e32 v1, 0
	v_mov_b32_e32 v2, 0
	buffer_store_dword v1, off, s[0:3], s32 offset:512 ; 4-byte Folded Spill
	buffer_store_dword v2, off, s[0:3], s32 offset:516 ; 4-byte Folded Spill
	s_waitcnt vmcnt(0) lgkmcnt(0)
	v_cmp_ne_u16_sdwa s5, v0, v57 src0_sel:BYTE_0 src1_sel:DWORD
	s_and_saveexec_b32 s6, s5
	s_cbranch_execz .LBB257_339
; %bb.332:                              ;   in Loop: Header=BB257_11 Depth=1
	v_bfrev_b32_e32 v1, 1
	v_mov_b32_e32 v2, 0
	buffer_store_dword v1, off, s[0:3], s32 offset:512 ; 4-byte Folded Spill
	buffer_store_dword v2, off, s[0:3], s32 offset:516 ; 4-byte Folded Spill
	v_mov_b32_e32 v1, 0x80
	v_cmp_ne_u16_sdwa s5, v0, v1 src0_sel:BYTE_0 src1_sel:DWORD
	s_and_saveexec_b32 s7, s5
	s_cbranch_execz .LBB257_338
; %bb.333:                              ;   in Loop: Header=BB257_11 Depth=1
	v_mov_b32_e32 v3, 0x7f800001
	v_and_b32_e32 v2, 0x7f, v0
	v_mov_b32_e32 v4, 0
	s_mov_b32 s19, exec_lo
	buffer_store_dword v3, off, s[0:3], s32 offset:512 ; 4-byte Folded Spill
	buffer_store_dword v4, off, s[0:3], s32 offset:516 ; 4-byte Folded Spill
	v_cmpx_ne_u32_e32 0x7f, v2
	s_cbranch_execz .LBB257_337
; %bb.334:                              ;   in Loop: Header=BB257_11 Depth=1
	v_and_b32_e32 v56, 7, v0
	v_lshrrev_b32_e32 v1, 3, v2
	s_mov_b32 s22, exec_lo
	v_cmpx_gt_u32_e32 8, v2
; %bb.335:                              ;   in Loop: Header=BB257_11 Depth=1
	v_ffbh_u32_e32 v1, v56
	v_min_u32_e32 v1, 32, v1
	v_subrev_nc_u32_e32 v2, 28, v1
	v_sub_nc_u32_e32 v1, 29, v1
	v_lshlrev_b64 v[2:3], v2, v[56:57]
	v_and_b32_e32 v56, 7, v2
; %bb.336:                              ;   in Loop: Header=BB257_11 Depth=1
	s_or_b32 exec_lo, exec_lo, s22
	v_lshlrev_b32_e32 v2, 24, v0
	v_lshlrev_b32_e32 v3, 20, v56
	v_lshl_add_u32 v1, v1, 23, 0x3c000000
	v_and_b32_e32 v2, 0x80000000, v2
	v_or3_b32 v56, v3, v2, v1
	buffer_store_dword v56, off, s[0:3], s32 offset:512 ; 4-byte Folded Spill
	buffer_store_dword v57, off, s[0:3], s32 offset:516 ; 4-byte Folded Spill
.LBB257_337:                            ;   in Loop: Header=BB257_11 Depth=1
	s_or_b32 exec_lo, exec_lo, s19
.LBB257_338:                            ;   in Loop: Header=BB257_11 Depth=1
	s_or_b32 exec_lo, exec_lo, s7
.LBB257_339:                            ;   in Loop: Header=BB257_11 Depth=1
	s_or_b32 exec_lo, exec_lo, s6
	v_cmp_ne_u16_sdwa s5, v0, v57 src0_sel:BYTE_1 src1_sel:DWORD
	s_and_saveexec_b32 s6, s5
	s_cbranch_execz .LBB257_347
; %bb.340:                              ;   in Loop: Header=BB257_11 Depth=1
	v_mov_b32_e32 v1, 0x80
	v_mov_b32_e32 v90, v57
	buffer_store_dword v90, off, s[0:3], s32 offset:520 ; 4-byte Folded Spill
	buffer_store_dword v91, off, s[0:3], s32 offset:524 ; 4-byte Folded Spill
	v_cmp_ne_u16_sdwa s5, v0, v1 src0_sel:BYTE_1 src1_sel:DWORD
	s_and_saveexec_b32 s7, s5
	s_cbranch_execz .LBB257_346
; %bb.341:                              ;   in Loop: Header=BB257_11 Depth=1
	v_mov_b32_e32 v1, 0xffff
	v_mov_b32_e32 v120, v57
	s_mov_b32 s19, exec_lo
	buffer_store_dword v120, off, s[0:3], s32 offset:520 ; 4-byte Folded Spill
	buffer_store_dword v121, off, s[0:3], s32 offset:524 ; 4-byte Folded Spill
	v_and_b32_sdwa v1, v1, v0 dst_sel:DWORD dst_unused:UNUSED_PAD src0_sel:DWORD src1_sel:BYTE_1
	v_and_b32_e32 v2, 0x7f, v1
	v_cmpx_ne_u32_e32 0x7f, v2
	s_cbranch_execz .LBB257_345
; %bb.342:                              ;   in Loop: Header=BB257_11 Depth=1
	v_and_b32_e32 v56, 7, v1
	v_lshrrev_b32_e32 v1, 3, v2
	s_mov_b32 s22, exec_lo
	v_cmpx_gt_u32_e32 8, v2
; %bb.343:                              ;   in Loop: Header=BB257_11 Depth=1
	v_ffbh_u32_e32 v1, v56
	v_min_u32_e32 v1, 32, v1
	v_subrev_nc_u32_e32 v2, 28, v1
	v_sub_nc_u32_e32 v1, 29, v1
	v_lshlrev_b64 v[2:3], v2, v[56:57]
	v_and_b32_e32 v56, 7, v2
; %bb.344:                              ;   in Loop: Header=BB257_11 Depth=1
	s_or_b32 exec_lo, exec_lo, s22
	v_lshlrev_b32_e32 v2, 16, v0
	v_lshlrev_b32_e32 v3, 20, v56
	v_lshl_add_u32 v1, v1, 23, 0x3c000000
	v_and_b32_e32 v2, 0x80000000, v2
	v_or3_b32 v2, v3, v2, v1
	v_mov_b32_e32 v1, v57
	buffer_store_dword v1, off, s[0:3], s32 offset:520 ; 4-byte Folded Spill
	buffer_store_dword v2, off, s[0:3], s32 offset:524 ; 4-byte Folded Spill
.LBB257_345:                            ;   in Loop: Header=BB257_11 Depth=1
	s_or_b32 exec_lo, exec_lo, s19
.LBB257_346:                            ;   in Loop: Header=BB257_11 Depth=1
	s_or_b32 exec_lo, exec_lo, s7
.LBB257_347:                            ;   in Loop: Header=BB257_11 Depth=1
	s_or_b32 exec_lo, exec_lo, s6
	v_mov_b32_e32 v2, 0
	v_mov_b32_e32 v3, 0
	;; [unrolled: 1-line block ×3, first 2 shown]
	s_mov_b32 s6, exec_lo
	buffer_store_dword v2, off, s[0:3], s32 offset:528 ; 4-byte Folded Spill
	buffer_store_dword v3, off, s[0:3], s32 offset:532 ; 4-byte Folded Spill
	v_mov_b32_e32 v2, 0
	v_and_b32_sdwa v1, v0, v1 dst_sel:DWORD dst_unused:UNUSED_PAD src0_sel:WORD_1 src1_sel:DWORD
	v_mov_b32_e32 v3, 0
	buffer_store_dword v2, off, s[0:3], s32 offset:536 ; 4-byte Folded Spill
	buffer_store_dword v3, off, s[0:3], s32 offset:540 ; 4-byte Folded Spill
	v_cmpx_ne_u16_e32 0, v1
	s_cbranch_execz .LBB257_355
; %bb.348:                              ;   in Loop: Header=BB257_11 Depth=1
	v_cmp_ne_u16_e64 s5, 0x80, v1
	v_bfrev_b32_e32 v1, 1
	v_mov_b32_e32 v2, 0
	buffer_store_dword v1, off, s[0:3], s32 offset:536 ; 4-byte Folded Spill
	buffer_store_dword v2, off, s[0:3], s32 offset:540 ; 4-byte Folded Spill
	s_and_saveexec_b32 s7, s5
	s_cbranch_execz .LBB257_354
; %bb.349:                              ;   in Loop: Header=BB257_11 Depth=1
	v_mov_b32_e32 v3, 0x7f800001
	v_bfe_u32 v2, v0, 16, 7
	v_mov_b32_e32 v4, 0
	s_mov_b32 s19, exec_lo
	buffer_store_dword v3, off, s[0:3], s32 offset:536 ; 4-byte Folded Spill
	buffer_store_dword v4, off, s[0:3], s32 offset:540 ; 4-byte Folded Spill
	v_cmpx_ne_u32_e32 0x7f, v2
	s_cbranch_execz .LBB257_353
; %bb.350:                              ;   in Loop: Header=BB257_11 Depth=1
	v_mov_b32_e32 v1, 7
	s_mov_b32 s22, exec_lo
	v_and_b32_sdwa v56, v0, v1 dst_sel:DWORD dst_unused:UNUSED_PAD src0_sel:WORD_1 src1_sel:DWORD
	v_lshrrev_b32_e32 v1, 3, v2
	v_cmpx_gt_u32_e32 8, v2
; %bb.351:                              ;   in Loop: Header=BB257_11 Depth=1
	v_ffbh_u32_e32 v1, v56
	v_min_u32_e32 v1, 32, v1
	v_subrev_nc_u32_e32 v2, 28, v1
	v_sub_nc_u32_e32 v1, 29, v1
	v_lshlrev_b64 v[2:3], v2, v[56:57]
	v_and_b32_e32 v56, 7, v2
; %bb.352:                              ;   in Loop: Header=BB257_11 Depth=1
	s_or_b32 exec_lo, exec_lo, s22
	v_mov_b32_e32 v2, 24
	v_lshlrev_b32_e32 v3, 20, v56
	v_lshl_add_u32 v1, v1, 23, 0x3c000000
	v_lshlrev_b32_sdwa v2, v2, v0 dst_sel:DWORD dst_unused:UNUSED_PAD src0_sel:DWORD src1_sel:WORD_1
	v_and_b32_e32 v2, 0x80000000, v2
	v_or3_b32 v56, v3, v2, v1
	buffer_store_dword v56, off, s[0:3], s32 offset:536 ; 4-byte Folded Spill
	buffer_store_dword v57, off, s[0:3], s32 offset:540 ; 4-byte Folded Spill
.LBB257_353:                            ;   in Loop: Header=BB257_11 Depth=1
	s_or_b32 exec_lo, exec_lo, s19
.LBB257_354:                            ;   in Loop: Header=BB257_11 Depth=1
	s_or_b32 exec_lo, exec_lo, s7
.LBB257_355:                            ;   in Loop: Header=BB257_11 Depth=1
	s_or_b32 exec_lo, exec_lo, s6
	s_mov_b32 s6, exec_lo
	v_cmpx_lt_u32_e32 0xffffff, v0
	s_cbranch_execz .LBB257_363
; %bb.356:                              ;   in Loop: Header=BB257_11 Depth=1
	v_mov_b32_e32 v1, 0x80
	v_mov_b32_e32 v90, v57
	buffer_store_dword v90, off, s[0:3], s32 offset:528 ; 4-byte Folded Spill
	buffer_store_dword v91, off, s[0:3], s32 offset:532 ; 4-byte Folded Spill
	v_cmp_ne_u32_sdwa s5, v0, v1 src0_sel:BYTE_3 src1_sel:DWORD
	s_and_saveexec_b32 s7, s5
	s_cbranch_execz .LBB257_362
; %bb.357:                              ;   in Loop: Header=BB257_11 Depth=1
	v_bfe_u32 v2, v0, 24, 7
	v_mov_b32_e32 v120, v57
	s_mov_b32 s19, exec_lo
	buffer_store_dword v120, off, s[0:3], s32 offset:528 ; 4-byte Folded Spill
	buffer_store_dword v121, off, s[0:3], s32 offset:532 ; 4-byte Folded Spill
	v_cmpx_ne_u32_e32 0x7f, v2
	s_cbranch_execz .LBB257_361
; %bb.358:                              ;   in Loop: Header=BB257_11 Depth=1
	v_mov_b32_e32 v1, 7
	s_mov_b32 s22, exec_lo
	v_and_b32_sdwa v56, v0, v1 dst_sel:DWORD dst_unused:UNUSED_PAD src0_sel:BYTE_3 src1_sel:DWORD
	v_lshrrev_b32_e32 v1, 3, v2
	v_cmpx_gt_u32_e32 8, v2
; %bb.359:                              ;   in Loop: Header=BB257_11 Depth=1
	v_ffbh_u32_e32 v1, v56
	v_min_u32_e32 v1, 32, v1
	v_subrev_nc_u32_e32 v2, 28, v1
	v_sub_nc_u32_e32 v1, 29, v1
	v_lshlrev_b64 v[2:3], v2, v[56:57]
	v_and_b32_e32 v56, 7, v2
; %bb.360:                              ;   in Loop: Header=BB257_11 Depth=1
	s_or_b32 exec_lo, exec_lo, s22
	v_mov_b32_e32 v2, 24
	v_lshl_add_u32 v1, v1, 23, 0x3c000000
	v_lshlrev_b32_sdwa v0, v2, v0 dst_sel:DWORD dst_unused:UNUSED_PAD src0_sel:DWORD src1_sel:BYTE_3
	v_lshlrev_b32_e32 v2, 20, v56
	v_and_b32_e32 v0, 0x80000000, v0
	v_or3_b32 v1, v2, v0, v1
	v_mov_b32_e32 v0, v57
	buffer_store_dword v0, off, s[0:3], s32 offset:528 ; 4-byte Folded Spill
	buffer_store_dword v1, off, s[0:3], s32 offset:532 ; 4-byte Folded Spill
.LBB257_361:                            ;   in Loop: Header=BB257_11 Depth=1
	s_or_b32 exec_lo, exec_lo, s19
.LBB257_362:                            ;   in Loop: Header=BB257_11 Depth=1
	s_or_b32 exec_lo, exec_lo, s7
.LBB257_363:                            ;   in Loop: Header=BB257_11 Depth=1
	s_or_b32 exec_lo, exec_lo, s6
	flat_load_dword v0, v[21:22] offset:1036
	v_mov_b32_e32 v1, 0
	v_mov_b32_e32 v2, 0
	buffer_store_dword v1, off, s[0:3], s32 offset:552 ; 4-byte Folded Spill
	buffer_store_dword v2, off, s[0:3], s32 offset:556 ; 4-byte Folded Spill
	v_mov_b32_e32 v1, 0
	v_mov_b32_e32 v2, 0
	buffer_store_dword v1, off, s[0:3], s32 offset:544 ; 4-byte Folded Spill
	buffer_store_dword v2, off, s[0:3], s32 offset:548 ; 4-byte Folded Spill
	s_waitcnt vmcnt(0) lgkmcnt(0)
	v_cmp_ne_u16_sdwa s5, v0, v57 src0_sel:BYTE_0 src1_sel:DWORD
	s_and_saveexec_b32 s6, s5
	s_cbranch_execz .LBB257_371
; %bb.364:                              ;   in Loop: Header=BB257_11 Depth=1
	v_bfrev_b32_e32 v1, 1
	v_mov_b32_e32 v2, 0
	buffer_store_dword v1, off, s[0:3], s32 offset:544 ; 4-byte Folded Spill
	buffer_store_dword v2, off, s[0:3], s32 offset:548 ; 4-byte Folded Spill
	v_mov_b32_e32 v1, 0x80
	v_cmp_ne_u16_sdwa s5, v0, v1 src0_sel:BYTE_0 src1_sel:DWORD
	s_and_saveexec_b32 s7, s5
	s_cbranch_execz .LBB257_370
; %bb.365:                              ;   in Loop: Header=BB257_11 Depth=1
	v_mov_b32_e32 v3, 0x7f800001
	v_and_b32_e32 v2, 0x7f, v0
	v_mov_b32_e32 v4, 0
	s_mov_b32 s19, exec_lo
	buffer_store_dword v3, off, s[0:3], s32 offset:544 ; 4-byte Folded Spill
	buffer_store_dword v4, off, s[0:3], s32 offset:548 ; 4-byte Folded Spill
	v_cmpx_ne_u32_e32 0x7f, v2
	s_cbranch_execz .LBB257_369
; %bb.366:                              ;   in Loop: Header=BB257_11 Depth=1
	v_and_b32_e32 v56, 7, v0
	v_lshrrev_b32_e32 v1, 3, v2
	s_mov_b32 s22, exec_lo
	v_cmpx_gt_u32_e32 8, v2
; %bb.367:                              ;   in Loop: Header=BB257_11 Depth=1
	v_ffbh_u32_e32 v1, v56
	v_min_u32_e32 v1, 32, v1
	v_subrev_nc_u32_e32 v2, 28, v1
	v_sub_nc_u32_e32 v1, 29, v1
	v_lshlrev_b64 v[2:3], v2, v[56:57]
	v_and_b32_e32 v56, 7, v2
; %bb.368:                              ;   in Loop: Header=BB257_11 Depth=1
	s_or_b32 exec_lo, exec_lo, s22
	v_lshlrev_b32_e32 v2, 24, v0
	v_lshlrev_b32_e32 v3, 20, v56
	v_lshl_add_u32 v1, v1, 23, 0x3c000000
	v_and_b32_e32 v2, 0x80000000, v2
	v_or3_b32 v56, v3, v2, v1
	buffer_store_dword v56, off, s[0:3], s32 offset:544 ; 4-byte Folded Spill
	buffer_store_dword v57, off, s[0:3], s32 offset:548 ; 4-byte Folded Spill
.LBB257_369:                            ;   in Loop: Header=BB257_11 Depth=1
	s_or_b32 exec_lo, exec_lo, s19
.LBB257_370:                            ;   in Loop: Header=BB257_11 Depth=1
	s_or_b32 exec_lo, exec_lo, s7
.LBB257_371:                            ;   in Loop: Header=BB257_11 Depth=1
	s_or_b32 exec_lo, exec_lo, s6
	v_cmp_ne_u16_sdwa s5, v0, v57 src0_sel:BYTE_1 src1_sel:DWORD
	s_and_saveexec_b32 s6, s5
	s_cbranch_execz .LBB257_379
; %bb.372:                              ;   in Loop: Header=BB257_11 Depth=1
	v_mov_b32_e32 v1, 0x80
	v_mov_b32_e32 v90, v57
	buffer_store_dword v90, off, s[0:3], s32 offset:552 ; 4-byte Folded Spill
	buffer_store_dword v91, off, s[0:3], s32 offset:556 ; 4-byte Folded Spill
	v_cmp_ne_u16_sdwa s5, v0, v1 src0_sel:BYTE_1 src1_sel:DWORD
	s_and_saveexec_b32 s7, s5
	s_cbranch_execz .LBB257_378
; %bb.373:                              ;   in Loop: Header=BB257_11 Depth=1
	v_mov_b32_e32 v1, 0xffff
	v_mov_b32_e32 v120, v57
	s_mov_b32 s19, exec_lo
	buffer_store_dword v120, off, s[0:3], s32 offset:552 ; 4-byte Folded Spill
	buffer_store_dword v121, off, s[0:3], s32 offset:556 ; 4-byte Folded Spill
	v_and_b32_sdwa v1, v1, v0 dst_sel:DWORD dst_unused:UNUSED_PAD src0_sel:DWORD src1_sel:BYTE_1
	v_and_b32_e32 v2, 0x7f, v1
	v_cmpx_ne_u32_e32 0x7f, v2
	s_cbranch_execz .LBB257_377
; %bb.374:                              ;   in Loop: Header=BB257_11 Depth=1
	v_and_b32_e32 v56, 7, v1
	v_lshrrev_b32_e32 v1, 3, v2
	s_mov_b32 s22, exec_lo
	v_cmpx_gt_u32_e32 8, v2
; %bb.375:                              ;   in Loop: Header=BB257_11 Depth=1
	v_ffbh_u32_e32 v1, v56
	v_min_u32_e32 v1, 32, v1
	v_subrev_nc_u32_e32 v2, 28, v1
	v_sub_nc_u32_e32 v1, 29, v1
	v_lshlrev_b64 v[2:3], v2, v[56:57]
	v_and_b32_e32 v56, 7, v2
; %bb.376:                              ;   in Loop: Header=BB257_11 Depth=1
	s_or_b32 exec_lo, exec_lo, s22
	v_lshlrev_b32_e32 v2, 16, v0
	v_lshlrev_b32_e32 v3, 20, v56
	v_lshl_add_u32 v1, v1, 23, 0x3c000000
	v_and_b32_e32 v2, 0x80000000, v2
	v_or3_b32 v2, v3, v2, v1
	v_mov_b32_e32 v1, v57
	buffer_store_dword v1, off, s[0:3], s32 offset:552 ; 4-byte Folded Spill
	buffer_store_dword v2, off, s[0:3], s32 offset:556 ; 4-byte Folded Spill
.LBB257_377:                            ;   in Loop: Header=BB257_11 Depth=1
	s_or_b32 exec_lo, exec_lo, s19
.LBB257_378:                            ;   in Loop: Header=BB257_11 Depth=1
	s_or_b32 exec_lo, exec_lo, s7
.LBB257_379:                            ;   in Loop: Header=BB257_11 Depth=1
	s_or_b32 exec_lo, exec_lo, s6
	v_mov_b32_e32 v2, 0
	v_mov_b32_e32 v3, 0
	;; [unrolled: 1-line block ×3, first 2 shown]
	s_mov_b32 s6, exec_lo
	buffer_store_dword v2, off, s[0:3], s32 offset:560 ; 4-byte Folded Spill
	buffer_store_dword v3, off, s[0:3], s32 offset:564 ; 4-byte Folded Spill
	v_mov_b32_e32 v2, 0
	v_and_b32_sdwa v1, v0, v1 dst_sel:DWORD dst_unused:UNUSED_PAD src0_sel:WORD_1 src1_sel:DWORD
	v_mov_b32_e32 v3, 0
	buffer_store_dword v2, off, s[0:3], s32 offset:568 ; 4-byte Folded Spill
	buffer_store_dword v3, off, s[0:3], s32 offset:572 ; 4-byte Folded Spill
	v_cmpx_ne_u16_e32 0, v1
	s_cbranch_execz .LBB257_387
; %bb.380:                              ;   in Loop: Header=BB257_11 Depth=1
	v_cmp_ne_u16_e64 s5, 0x80, v1
	v_bfrev_b32_e32 v1, 1
	v_mov_b32_e32 v2, 0
	buffer_store_dword v1, off, s[0:3], s32 offset:568 ; 4-byte Folded Spill
	buffer_store_dword v2, off, s[0:3], s32 offset:572 ; 4-byte Folded Spill
	s_and_saveexec_b32 s7, s5
	s_cbranch_execz .LBB257_386
; %bb.381:                              ;   in Loop: Header=BB257_11 Depth=1
	v_mov_b32_e32 v3, 0x7f800001
	v_bfe_u32 v2, v0, 16, 7
	v_mov_b32_e32 v4, 0
	s_mov_b32 s19, exec_lo
	buffer_store_dword v3, off, s[0:3], s32 offset:568 ; 4-byte Folded Spill
	buffer_store_dword v4, off, s[0:3], s32 offset:572 ; 4-byte Folded Spill
	v_cmpx_ne_u32_e32 0x7f, v2
	s_cbranch_execz .LBB257_385
; %bb.382:                              ;   in Loop: Header=BB257_11 Depth=1
	v_mov_b32_e32 v1, 7
	s_mov_b32 s22, exec_lo
	v_and_b32_sdwa v56, v0, v1 dst_sel:DWORD dst_unused:UNUSED_PAD src0_sel:WORD_1 src1_sel:DWORD
	v_lshrrev_b32_e32 v1, 3, v2
	v_cmpx_gt_u32_e32 8, v2
; %bb.383:                              ;   in Loop: Header=BB257_11 Depth=1
	v_ffbh_u32_e32 v1, v56
	v_min_u32_e32 v1, 32, v1
	v_subrev_nc_u32_e32 v2, 28, v1
	v_sub_nc_u32_e32 v1, 29, v1
	v_lshlrev_b64 v[2:3], v2, v[56:57]
	v_and_b32_e32 v56, 7, v2
; %bb.384:                              ;   in Loop: Header=BB257_11 Depth=1
	s_or_b32 exec_lo, exec_lo, s22
	v_mov_b32_e32 v2, 24
	v_lshlrev_b32_e32 v3, 20, v56
	v_lshl_add_u32 v1, v1, 23, 0x3c000000
	v_lshlrev_b32_sdwa v2, v2, v0 dst_sel:DWORD dst_unused:UNUSED_PAD src0_sel:DWORD src1_sel:WORD_1
	v_and_b32_e32 v2, 0x80000000, v2
	v_or3_b32 v56, v3, v2, v1
	buffer_store_dword v56, off, s[0:3], s32 offset:568 ; 4-byte Folded Spill
	buffer_store_dword v57, off, s[0:3], s32 offset:572 ; 4-byte Folded Spill
.LBB257_385:                            ;   in Loop: Header=BB257_11 Depth=1
	s_or_b32 exec_lo, exec_lo, s19
.LBB257_386:                            ;   in Loop: Header=BB257_11 Depth=1
	s_or_b32 exec_lo, exec_lo, s7
.LBB257_387:                            ;   in Loop: Header=BB257_11 Depth=1
	s_or_b32 exec_lo, exec_lo, s6
	s_mov_b32 s6, exec_lo
	v_cmpx_lt_u32_e32 0xffffff, v0
	s_cbranch_execz .LBB257_395
; %bb.388:                              ;   in Loop: Header=BB257_11 Depth=1
	v_mov_b32_e32 v1, 0x80
	v_mov_b32_e32 v90, v57
	buffer_store_dword v90, off, s[0:3], s32 offset:560 ; 4-byte Folded Spill
	buffer_store_dword v91, off, s[0:3], s32 offset:564 ; 4-byte Folded Spill
	v_cmp_ne_u32_sdwa s5, v0, v1 src0_sel:BYTE_3 src1_sel:DWORD
	s_and_saveexec_b32 s7, s5
	s_cbranch_execz .LBB257_394
; %bb.389:                              ;   in Loop: Header=BB257_11 Depth=1
	v_bfe_u32 v2, v0, 24, 7
	v_mov_b32_e32 v120, v57
	s_mov_b32 s19, exec_lo
	buffer_store_dword v120, off, s[0:3], s32 offset:560 ; 4-byte Folded Spill
	buffer_store_dword v121, off, s[0:3], s32 offset:564 ; 4-byte Folded Spill
	v_cmpx_ne_u32_e32 0x7f, v2
	s_cbranch_execz .LBB257_393
; %bb.390:                              ;   in Loop: Header=BB257_11 Depth=1
	v_mov_b32_e32 v1, 7
	s_mov_b32 s22, exec_lo
	v_and_b32_sdwa v56, v0, v1 dst_sel:DWORD dst_unused:UNUSED_PAD src0_sel:BYTE_3 src1_sel:DWORD
	v_lshrrev_b32_e32 v1, 3, v2
	v_cmpx_gt_u32_e32 8, v2
; %bb.391:                              ;   in Loop: Header=BB257_11 Depth=1
	v_ffbh_u32_e32 v1, v56
	v_min_u32_e32 v1, 32, v1
	v_subrev_nc_u32_e32 v2, 28, v1
	v_sub_nc_u32_e32 v1, 29, v1
	v_lshlrev_b64 v[2:3], v2, v[56:57]
	v_and_b32_e32 v56, 7, v2
; %bb.392:                              ;   in Loop: Header=BB257_11 Depth=1
	s_or_b32 exec_lo, exec_lo, s22
	v_mov_b32_e32 v2, 24
	v_lshl_add_u32 v1, v1, 23, 0x3c000000
	v_lshlrev_b32_sdwa v0, v2, v0 dst_sel:DWORD dst_unused:UNUSED_PAD src0_sel:DWORD src1_sel:BYTE_3
	v_lshlrev_b32_e32 v2, 20, v56
	v_and_b32_e32 v0, 0x80000000, v0
	v_or3_b32 v1, v2, v0, v1
	v_mov_b32_e32 v0, v57
	buffer_store_dword v0, off, s[0:3], s32 offset:560 ; 4-byte Folded Spill
	buffer_store_dword v1, off, s[0:3], s32 offset:564 ; 4-byte Folded Spill
.LBB257_393:                            ;   in Loop: Header=BB257_11 Depth=1
	s_or_b32 exec_lo, exec_lo, s19
.LBB257_394:                            ;   in Loop: Header=BB257_11 Depth=1
	s_or_b32 exec_lo, exec_lo, s7
.LBB257_395:                            ;   in Loop: Header=BB257_11 Depth=1
	s_or_b32 exec_lo, exec_lo, s6
	flat_load_dword v0, v[21:22] offset:1536
	v_mov_b32_e32 v1, 0
	v_mov_b32_e32 v2, 0
	buffer_store_dword v1, off, s[0:3], s32 offset:584 ; 4-byte Folded Spill
	buffer_store_dword v2, off, s[0:3], s32 offset:588 ; 4-byte Folded Spill
	v_mov_b32_e32 v1, 0
	v_mov_b32_e32 v2, 0
	buffer_store_dword v1, off, s[0:3], s32 offset:576 ; 4-byte Folded Spill
	buffer_store_dword v2, off, s[0:3], s32 offset:580 ; 4-byte Folded Spill
	s_waitcnt vmcnt(0) lgkmcnt(0)
	v_cmp_ne_u16_sdwa s5, v0, v57 src0_sel:BYTE_0 src1_sel:DWORD
	s_and_saveexec_b32 s6, s5
	s_cbranch_execz .LBB257_403
; %bb.396:                              ;   in Loop: Header=BB257_11 Depth=1
	v_bfrev_b32_e32 v1, 1
	v_mov_b32_e32 v2, 0
	buffer_store_dword v1, off, s[0:3], s32 offset:576 ; 4-byte Folded Spill
	buffer_store_dword v2, off, s[0:3], s32 offset:580 ; 4-byte Folded Spill
	v_mov_b32_e32 v1, 0x80
	v_cmp_ne_u16_sdwa s5, v0, v1 src0_sel:BYTE_0 src1_sel:DWORD
	s_and_saveexec_b32 s7, s5
	s_cbranch_execz .LBB257_402
; %bb.397:                              ;   in Loop: Header=BB257_11 Depth=1
	v_mov_b32_e32 v3, 0x7f800001
	v_and_b32_e32 v2, 0x7f, v0
	v_mov_b32_e32 v4, 0
	s_mov_b32 s19, exec_lo
	buffer_store_dword v3, off, s[0:3], s32 offset:576 ; 4-byte Folded Spill
	buffer_store_dword v4, off, s[0:3], s32 offset:580 ; 4-byte Folded Spill
	v_cmpx_ne_u32_e32 0x7f, v2
	s_cbranch_execz .LBB257_401
; %bb.398:                              ;   in Loop: Header=BB257_11 Depth=1
	v_and_b32_e32 v56, 7, v0
	v_lshrrev_b32_e32 v1, 3, v2
	s_mov_b32 s22, exec_lo
	v_cmpx_gt_u32_e32 8, v2
; %bb.399:                              ;   in Loop: Header=BB257_11 Depth=1
	v_ffbh_u32_e32 v1, v56
	v_min_u32_e32 v1, 32, v1
	v_subrev_nc_u32_e32 v2, 28, v1
	v_sub_nc_u32_e32 v1, 29, v1
	v_lshlrev_b64 v[2:3], v2, v[56:57]
	v_and_b32_e32 v56, 7, v2
; %bb.400:                              ;   in Loop: Header=BB257_11 Depth=1
	s_or_b32 exec_lo, exec_lo, s22
	v_lshlrev_b32_e32 v2, 24, v0
	v_lshlrev_b32_e32 v3, 20, v56
	v_lshl_add_u32 v1, v1, 23, 0x3c000000
	v_and_b32_e32 v2, 0x80000000, v2
	v_or3_b32 v56, v3, v2, v1
	buffer_store_dword v56, off, s[0:3], s32 offset:576 ; 4-byte Folded Spill
	buffer_store_dword v57, off, s[0:3], s32 offset:580 ; 4-byte Folded Spill
.LBB257_401:                            ;   in Loop: Header=BB257_11 Depth=1
	s_or_b32 exec_lo, exec_lo, s19
.LBB257_402:                            ;   in Loop: Header=BB257_11 Depth=1
	s_or_b32 exec_lo, exec_lo, s7
.LBB257_403:                            ;   in Loop: Header=BB257_11 Depth=1
	s_or_b32 exec_lo, exec_lo, s6
	v_cmp_ne_u16_sdwa s5, v0, v57 src0_sel:BYTE_1 src1_sel:DWORD
	s_and_saveexec_b32 s6, s5
	s_cbranch_execz .LBB257_411
; %bb.404:                              ;   in Loop: Header=BB257_11 Depth=1
	v_mov_b32_e32 v1, 0x80
	v_mov_b32_e32 v90, v57
	buffer_store_dword v90, off, s[0:3], s32 offset:584 ; 4-byte Folded Spill
	buffer_store_dword v91, off, s[0:3], s32 offset:588 ; 4-byte Folded Spill
	v_cmp_ne_u16_sdwa s5, v0, v1 src0_sel:BYTE_1 src1_sel:DWORD
	s_and_saveexec_b32 s7, s5
	s_cbranch_execz .LBB257_410
; %bb.405:                              ;   in Loop: Header=BB257_11 Depth=1
	v_mov_b32_e32 v1, 0xffff
	v_mov_b32_e32 v120, v57
	s_mov_b32 s19, exec_lo
	buffer_store_dword v120, off, s[0:3], s32 offset:584 ; 4-byte Folded Spill
	buffer_store_dword v121, off, s[0:3], s32 offset:588 ; 4-byte Folded Spill
	v_and_b32_sdwa v1, v1, v0 dst_sel:DWORD dst_unused:UNUSED_PAD src0_sel:DWORD src1_sel:BYTE_1
	v_and_b32_e32 v2, 0x7f, v1
	v_cmpx_ne_u32_e32 0x7f, v2
	s_cbranch_execz .LBB257_409
; %bb.406:                              ;   in Loop: Header=BB257_11 Depth=1
	v_and_b32_e32 v56, 7, v1
	v_lshrrev_b32_e32 v1, 3, v2
	s_mov_b32 s22, exec_lo
	v_cmpx_gt_u32_e32 8, v2
; %bb.407:                              ;   in Loop: Header=BB257_11 Depth=1
	v_ffbh_u32_e32 v1, v56
	v_min_u32_e32 v1, 32, v1
	v_subrev_nc_u32_e32 v2, 28, v1
	v_sub_nc_u32_e32 v1, 29, v1
	v_lshlrev_b64 v[2:3], v2, v[56:57]
	v_and_b32_e32 v56, 7, v2
; %bb.408:                              ;   in Loop: Header=BB257_11 Depth=1
	s_or_b32 exec_lo, exec_lo, s22
	v_lshlrev_b32_e32 v2, 16, v0
	v_lshlrev_b32_e32 v3, 20, v56
	v_lshl_add_u32 v1, v1, 23, 0x3c000000
	v_and_b32_e32 v2, 0x80000000, v2
	v_or3_b32 v2, v3, v2, v1
	v_mov_b32_e32 v1, v57
	buffer_store_dword v1, off, s[0:3], s32 offset:584 ; 4-byte Folded Spill
	buffer_store_dword v2, off, s[0:3], s32 offset:588 ; 4-byte Folded Spill
.LBB257_409:                            ;   in Loop: Header=BB257_11 Depth=1
	s_or_b32 exec_lo, exec_lo, s19
.LBB257_410:                            ;   in Loop: Header=BB257_11 Depth=1
	s_or_b32 exec_lo, exec_lo, s7
.LBB257_411:                            ;   in Loop: Header=BB257_11 Depth=1
	s_or_b32 exec_lo, exec_lo, s6
	v_mov_b32_e32 v2, 0
	v_mov_b32_e32 v3, 0
	;; [unrolled: 1-line block ×3, first 2 shown]
	s_mov_b32 s6, exec_lo
	buffer_store_dword v2, off, s[0:3], s32 offset:592 ; 4-byte Folded Spill
	buffer_store_dword v3, off, s[0:3], s32 offset:596 ; 4-byte Folded Spill
	v_mov_b32_e32 v2, 0
	v_and_b32_sdwa v1, v0, v1 dst_sel:DWORD dst_unused:UNUSED_PAD src0_sel:WORD_1 src1_sel:DWORD
	v_mov_b32_e32 v3, 0
	buffer_store_dword v2, off, s[0:3], s32 offset:600 ; 4-byte Folded Spill
	buffer_store_dword v3, off, s[0:3], s32 offset:604 ; 4-byte Folded Spill
	v_cmpx_ne_u16_e32 0, v1
	s_cbranch_execz .LBB257_419
; %bb.412:                              ;   in Loop: Header=BB257_11 Depth=1
	v_cmp_ne_u16_e64 s5, 0x80, v1
	v_bfrev_b32_e32 v1, 1
	v_mov_b32_e32 v2, 0
	buffer_store_dword v1, off, s[0:3], s32 offset:600 ; 4-byte Folded Spill
	buffer_store_dword v2, off, s[0:3], s32 offset:604 ; 4-byte Folded Spill
	s_and_saveexec_b32 s7, s5
	s_cbranch_execz .LBB257_418
; %bb.413:                              ;   in Loop: Header=BB257_11 Depth=1
	v_mov_b32_e32 v3, 0x7f800001
	v_bfe_u32 v2, v0, 16, 7
	v_mov_b32_e32 v4, 0
	s_mov_b32 s19, exec_lo
	buffer_store_dword v3, off, s[0:3], s32 offset:600 ; 4-byte Folded Spill
	buffer_store_dword v4, off, s[0:3], s32 offset:604 ; 4-byte Folded Spill
	v_cmpx_ne_u32_e32 0x7f, v2
	s_cbranch_execz .LBB257_417
; %bb.414:                              ;   in Loop: Header=BB257_11 Depth=1
	v_mov_b32_e32 v1, 7
	s_mov_b32 s22, exec_lo
	v_and_b32_sdwa v56, v0, v1 dst_sel:DWORD dst_unused:UNUSED_PAD src0_sel:WORD_1 src1_sel:DWORD
	v_lshrrev_b32_e32 v1, 3, v2
	v_cmpx_gt_u32_e32 8, v2
; %bb.415:                              ;   in Loop: Header=BB257_11 Depth=1
	v_ffbh_u32_e32 v1, v56
	v_min_u32_e32 v1, 32, v1
	v_subrev_nc_u32_e32 v2, 28, v1
	v_sub_nc_u32_e32 v1, 29, v1
	v_lshlrev_b64 v[2:3], v2, v[56:57]
	v_and_b32_e32 v56, 7, v2
; %bb.416:                              ;   in Loop: Header=BB257_11 Depth=1
	s_or_b32 exec_lo, exec_lo, s22
	v_mov_b32_e32 v2, 24
	v_lshlrev_b32_e32 v3, 20, v56
	v_lshl_add_u32 v1, v1, 23, 0x3c000000
	v_lshlrev_b32_sdwa v2, v2, v0 dst_sel:DWORD dst_unused:UNUSED_PAD src0_sel:DWORD src1_sel:WORD_1
	v_and_b32_e32 v2, 0x80000000, v2
	v_or3_b32 v56, v3, v2, v1
	buffer_store_dword v56, off, s[0:3], s32 offset:600 ; 4-byte Folded Spill
	buffer_store_dword v57, off, s[0:3], s32 offset:604 ; 4-byte Folded Spill
.LBB257_417:                            ;   in Loop: Header=BB257_11 Depth=1
	s_or_b32 exec_lo, exec_lo, s19
.LBB257_418:                            ;   in Loop: Header=BB257_11 Depth=1
	s_or_b32 exec_lo, exec_lo, s7
.LBB257_419:                            ;   in Loop: Header=BB257_11 Depth=1
	s_or_b32 exec_lo, exec_lo, s6
	s_mov_b32 s6, exec_lo
	v_cmpx_lt_u32_e32 0xffffff, v0
	s_cbranch_execz .LBB257_427
; %bb.420:                              ;   in Loop: Header=BB257_11 Depth=1
	v_mov_b32_e32 v1, 0x80
	v_mov_b32_e32 v90, v57
	buffer_store_dword v90, off, s[0:3], s32 offset:592 ; 4-byte Folded Spill
	buffer_store_dword v91, off, s[0:3], s32 offset:596 ; 4-byte Folded Spill
	v_cmp_ne_u32_sdwa s5, v0, v1 src0_sel:BYTE_3 src1_sel:DWORD
	s_and_saveexec_b32 s7, s5
	s_cbranch_execz .LBB257_426
; %bb.421:                              ;   in Loop: Header=BB257_11 Depth=1
	v_bfe_u32 v2, v0, 24, 7
	v_mov_b32_e32 v120, v57
	s_mov_b32 s19, exec_lo
	buffer_store_dword v120, off, s[0:3], s32 offset:592 ; 4-byte Folded Spill
	buffer_store_dword v121, off, s[0:3], s32 offset:596 ; 4-byte Folded Spill
	v_cmpx_ne_u32_e32 0x7f, v2
	s_cbranch_execz .LBB257_425
; %bb.422:                              ;   in Loop: Header=BB257_11 Depth=1
	v_mov_b32_e32 v1, 7
	s_mov_b32 s22, exec_lo
	v_and_b32_sdwa v56, v0, v1 dst_sel:DWORD dst_unused:UNUSED_PAD src0_sel:BYTE_3 src1_sel:DWORD
	v_lshrrev_b32_e32 v1, 3, v2
	v_cmpx_gt_u32_e32 8, v2
; %bb.423:                              ;   in Loop: Header=BB257_11 Depth=1
	v_ffbh_u32_e32 v1, v56
	v_min_u32_e32 v1, 32, v1
	v_subrev_nc_u32_e32 v2, 28, v1
	v_sub_nc_u32_e32 v1, 29, v1
	v_lshlrev_b64 v[2:3], v2, v[56:57]
	v_and_b32_e32 v56, 7, v2
; %bb.424:                              ;   in Loop: Header=BB257_11 Depth=1
	s_or_b32 exec_lo, exec_lo, s22
	v_mov_b32_e32 v2, 24
	v_lshl_add_u32 v1, v1, 23, 0x3c000000
	v_lshlrev_b32_sdwa v0, v2, v0 dst_sel:DWORD dst_unused:UNUSED_PAD src0_sel:DWORD src1_sel:BYTE_3
	v_lshlrev_b32_e32 v2, 20, v56
	v_and_b32_e32 v0, 0x80000000, v0
	v_or3_b32 v1, v2, v0, v1
	v_mov_b32_e32 v0, v57
	buffer_store_dword v0, off, s[0:3], s32 offset:592 ; 4-byte Folded Spill
	buffer_store_dword v1, off, s[0:3], s32 offset:596 ; 4-byte Folded Spill
.LBB257_425:                            ;   in Loop: Header=BB257_11 Depth=1
	s_or_b32 exec_lo, exec_lo, s19
.LBB257_426:                            ;   in Loop: Header=BB257_11 Depth=1
	s_or_b32 exec_lo, exec_lo, s7
.LBB257_427:                            ;   in Loop: Header=BB257_11 Depth=1
	s_or_b32 exec_lo, exec_lo, s6
	flat_load_dword v0, v[21:22] offset:1540
	v_mov_b32_e32 v1, 0
	v_mov_b32_e32 v2, 0
	buffer_store_dword v1, off, s[0:3], s32 offset:616 ; 4-byte Folded Spill
	buffer_store_dword v2, off, s[0:3], s32 offset:620 ; 4-byte Folded Spill
	v_mov_b32_e32 v1, 0
	v_mov_b32_e32 v2, 0
	buffer_store_dword v1, off, s[0:3], s32 offset:608 ; 4-byte Folded Spill
	buffer_store_dword v2, off, s[0:3], s32 offset:612 ; 4-byte Folded Spill
	s_waitcnt vmcnt(0) lgkmcnt(0)
	v_cmp_ne_u16_sdwa s5, v0, v57 src0_sel:BYTE_0 src1_sel:DWORD
	s_and_saveexec_b32 s6, s5
	s_cbranch_execz .LBB257_435
; %bb.428:                              ;   in Loop: Header=BB257_11 Depth=1
	v_bfrev_b32_e32 v1, 1
	v_mov_b32_e32 v2, 0
	buffer_store_dword v1, off, s[0:3], s32 offset:608 ; 4-byte Folded Spill
	buffer_store_dword v2, off, s[0:3], s32 offset:612 ; 4-byte Folded Spill
	v_mov_b32_e32 v1, 0x80
	v_cmp_ne_u16_sdwa s5, v0, v1 src0_sel:BYTE_0 src1_sel:DWORD
	s_and_saveexec_b32 s7, s5
	s_cbranch_execz .LBB257_434
; %bb.429:                              ;   in Loop: Header=BB257_11 Depth=1
	v_mov_b32_e32 v3, 0x7f800001
	v_and_b32_e32 v2, 0x7f, v0
	v_mov_b32_e32 v4, 0
	s_mov_b32 s19, exec_lo
	buffer_store_dword v3, off, s[0:3], s32 offset:608 ; 4-byte Folded Spill
	buffer_store_dword v4, off, s[0:3], s32 offset:612 ; 4-byte Folded Spill
	v_cmpx_ne_u32_e32 0x7f, v2
	s_cbranch_execz .LBB257_433
; %bb.430:                              ;   in Loop: Header=BB257_11 Depth=1
	v_and_b32_e32 v56, 7, v0
	v_lshrrev_b32_e32 v1, 3, v2
	s_mov_b32 s22, exec_lo
	v_cmpx_gt_u32_e32 8, v2
; %bb.431:                              ;   in Loop: Header=BB257_11 Depth=1
	v_ffbh_u32_e32 v1, v56
	v_min_u32_e32 v1, 32, v1
	v_subrev_nc_u32_e32 v2, 28, v1
	v_sub_nc_u32_e32 v1, 29, v1
	v_lshlrev_b64 v[2:3], v2, v[56:57]
	v_and_b32_e32 v56, 7, v2
; %bb.432:                              ;   in Loop: Header=BB257_11 Depth=1
	s_or_b32 exec_lo, exec_lo, s22
	v_lshlrev_b32_e32 v2, 24, v0
	v_lshlrev_b32_e32 v3, 20, v56
	v_lshl_add_u32 v1, v1, 23, 0x3c000000
	v_and_b32_e32 v2, 0x80000000, v2
	v_or3_b32 v56, v3, v2, v1
	buffer_store_dword v56, off, s[0:3], s32 offset:608 ; 4-byte Folded Spill
	buffer_store_dword v57, off, s[0:3], s32 offset:612 ; 4-byte Folded Spill
.LBB257_433:                            ;   in Loop: Header=BB257_11 Depth=1
	s_or_b32 exec_lo, exec_lo, s19
.LBB257_434:                            ;   in Loop: Header=BB257_11 Depth=1
	s_or_b32 exec_lo, exec_lo, s7
.LBB257_435:                            ;   in Loop: Header=BB257_11 Depth=1
	s_or_b32 exec_lo, exec_lo, s6
	v_cmp_ne_u16_sdwa s5, v0, v57 src0_sel:BYTE_1 src1_sel:DWORD
	s_and_saveexec_b32 s6, s5
	s_cbranch_execz .LBB257_443
; %bb.436:                              ;   in Loop: Header=BB257_11 Depth=1
	v_mov_b32_e32 v1, 0x80
	v_mov_b32_e32 v90, v57
	buffer_store_dword v90, off, s[0:3], s32 offset:616 ; 4-byte Folded Spill
	buffer_store_dword v91, off, s[0:3], s32 offset:620 ; 4-byte Folded Spill
	v_cmp_ne_u16_sdwa s5, v0, v1 src0_sel:BYTE_1 src1_sel:DWORD
	s_and_saveexec_b32 s7, s5
	s_cbranch_execz .LBB257_442
; %bb.437:                              ;   in Loop: Header=BB257_11 Depth=1
	v_mov_b32_e32 v1, 0xffff
	v_mov_b32_e32 v120, v57
	s_mov_b32 s19, exec_lo
	buffer_store_dword v120, off, s[0:3], s32 offset:616 ; 4-byte Folded Spill
	buffer_store_dword v121, off, s[0:3], s32 offset:620 ; 4-byte Folded Spill
	v_and_b32_sdwa v1, v1, v0 dst_sel:DWORD dst_unused:UNUSED_PAD src0_sel:DWORD src1_sel:BYTE_1
	v_and_b32_e32 v2, 0x7f, v1
	v_cmpx_ne_u32_e32 0x7f, v2
	s_cbranch_execz .LBB257_441
; %bb.438:                              ;   in Loop: Header=BB257_11 Depth=1
	v_and_b32_e32 v56, 7, v1
	v_lshrrev_b32_e32 v1, 3, v2
	s_mov_b32 s22, exec_lo
	v_cmpx_gt_u32_e32 8, v2
; %bb.439:                              ;   in Loop: Header=BB257_11 Depth=1
	v_ffbh_u32_e32 v1, v56
	v_min_u32_e32 v1, 32, v1
	v_subrev_nc_u32_e32 v2, 28, v1
	v_sub_nc_u32_e32 v1, 29, v1
	v_lshlrev_b64 v[2:3], v2, v[56:57]
	v_and_b32_e32 v56, 7, v2
; %bb.440:                              ;   in Loop: Header=BB257_11 Depth=1
	s_or_b32 exec_lo, exec_lo, s22
	v_lshlrev_b32_e32 v2, 16, v0
	v_lshlrev_b32_e32 v3, 20, v56
	v_lshl_add_u32 v1, v1, 23, 0x3c000000
	v_and_b32_e32 v2, 0x80000000, v2
	v_or3_b32 v2, v3, v2, v1
	v_mov_b32_e32 v1, v57
	buffer_store_dword v1, off, s[0:3], s32 offset:616 ; 4-byte Folded Spill
	buffer_store_dword v2, off, s[0:3], s32 offset:620 ; 4-byte Folded Spill
.LBB257_441:                            ;   in Loop: Header=BB257_11 Depth=1
	s_or_b32 exec_lo, exec_lo, s19
.LBB257_442:                            ;   in Loop: Header=BB257_11 Depth=1
	s_or_b32 exec_lo, exec_lo, s7
.LBB257_443:                            ;   in Loop: Header=BB257_11 Depth=1
	s_or_b32 exec_lo, exec_lo, s6
	v_mov_b32_e32 v2, 0
	v_mov_b32_e32 v3, 0
	;; [unrolled: 1-line block ×3, first 2 shown]
	s_mov_b32 s6, exec_lo
	buffer_store_dword v2, off, s[0:3], s32 offset:624 ; 4-byte Folded Spill
	buffer_store_dword v3, off, s[0:3], s32 offset:628 ; 4-byte Folded Spill
	v_mov_b32_e32 v2, 0
	v_and_b32_sdwa v1, v0, v1 dst_sel:DWORD dst_unused:UNUSED_PAD src0_sel:WORD_1 src1_sel:DWORD
	v_mov_b32_e32 v3, 0
	buffer_store_dword v2, off, s[0:3], s32 offset:632 ; 4-byte Folded Spill
	buffer_store_dword v3, off, s[0:3], s32 offset:636 ; 4-byte Folded Spill
	v_cmpx_ne_u16_e32 0, v1
	s_cbranch_execz .LBB257_451
; %bb.444:                              ;   in Loop: Header=BB257_11 Depth=1
	v_cmp_ne_u16_e64 s5, 0x80, v1
	v_bfrev_b32_e32 v1, 1
	v_mov_b32_e32 v2, 0
	buffer_store_dword v1, off, s[0:3], s32 offset:632 ; 4-byte Folded Spill
	buffer_store_dword v2, off, s[0:3], s32 offset:636 ; 4-byte Folded Spill
	s_and_saveexec_b32 s7, s5
	s_cbranch_execz .LBB257_450
; %bb.445:                              ;   in Loop: Header=BB257_11 Depth=1
	v_mov_b32_e32 v3, 0x7f800001
	v_bfe_u32 v2, v0, 16, 7
	v_mov_b32_e32 v4, 0
	s_mov_b32 s19, exec_lo
	buffer_store_dword v3, off, s[0:3], s32 offset:632 ; 4-byte Folded Spill
	buffer_store_dword v4, off, s[0:3], s32 offset:636 ; 4-byte Folded Spill
	v_cmpx_ne_u32_e32 0x7f, v2
	s_cbranch_execz .LBB257_449
; %bb.446:                              ;   in Loop: Header=BB257_11 Depth=1
	v_mov_b32_e32 v1, 7
	s_mov_b32 s22, exec_lo
	v_and_b32_sdwa v56, v0, v1 dst_sel:DWORD dst_unused:UNUSED_PAD src0_sel:WORD_1 src1_sel:DWORD
	v_lshrrev_b32_e32 v1, 3, v2
	v_cmpx_gt_u32_e32 8, v2
; %bb.447:                              ;   in Loop: Header=BB257_11 Depth=1
	v_ffbh_u32_e32 v1, v56
	v_min_u32_e32 v1, 32, v1
	v_subrev_nc_u32_e32 v2, 28, v1
	v_sub_nc_u32_e32 v1, 29, v1
	v_lshlrev_b64 v[2:3], v2, v[56:57]
	v_and_b32_e32 v56, 7, v2
; %bb.448:                              ;   in Loop: Header=BB257_11 Depth=1
	s_or_b32 exec_lo, exec_lo, s22
	v_mov_b32_e32 v2, 24
	v_lshlrev_b32_e32 v3, 20, v56
	v_lshl_add_u32 v1, v1, 23, 0x3c000000
	v_lshlrev_b32_sdwa v2, v2, v0 dst_sel:DWORD dst_unused:UNUSED_PAD src0_sel:DWORD src1_sel:WORD_1
	v_and_b32_e32 v2, 0x80000000, v2
	v_or3_b32 v56, v3, v2, v1
	buffer_store_dword v56, off, s[0:3], s32 offset:632 ; 4-byte Folded Spill
	buffer_store_dword v57, off, s[0:3], s32 offset:636 ; 4-byte Folded Spill
.LBB257_449:                            ;   in Loop: Header=BB257_11 Depth=1
	s_or_b32 exec_lo, exec_lo, s19
.LBB257_450:                            ;   in Loop: Header=BB257_11 Depth=1
	s_or_b32 exec_lo, exec_lo, s7
.LBB257_451:                            ;   in Loop: Header=BB257_11 Depth=1
	s_or_b32 exec_lo, exec_lo, s6
	s_mov_b32 s6, exec_lo
	v_cmpx_lt_u32_e32 0xffffff, v0
	s_cbranch_execz .LBB257_459
; %bb.452:                              ;   in Loop: Header=BB257_11 Depth=1
	v_mov_b32_e32 v1, 0x80
	v_mov_b32_e32 v90, v57
	buffer_store_dword v90, off, s[0:3], s32 offset:624 ; 4-byte Folded Spill
	buffer_store_dword v91, off, s[0:3], s32 offset:628 ; 4-byte Folded Spill
	v_cmp_ne_u32_sdwa s5, v0, v1 src0_sel:BYTE_3 src1_sel:DWORD
	s_and_saveexec_b32 s7, s5
	s_cbranch_execz .LBB257_458
; %bb.453:                              ;   in Loop: Header=BB257_11 Depth=1
	v_bfe_u32 v2, v0, 24, 7
	v_mov_b32_e32 v120, v57
	s_mov_b32 s19, exec_lo
	buffer_store_dword v120, off, s[0:3], s32 offset:624 ; 4-byte Folded Spill
	buffer_store_dword v121, off, s[0:3], s32 offset:628 ; 4-byte Folded Spill
	v_cmpx_ne_u32_e32 0x7f, v2
	s_cbranch_execz .LBB257_457
; %bb.454:                              ;   in Loop: Header=BB257_11 Depth=1
	v_mov_b32_e32 v1, 7
	s_mov_b32 s22, exec_lo
	v_and_b32_sdwa v56, v0, v1 dst_sel:DWORD dst_unused:UNUSED_PAD src0_sel:BYTE_3 src1_sel:DWORD
	v_lshrrev_b32_e32 v1, 3, v2
	v_cmpx_gt_u32_e32 8, v2
; %bb.455:                              ;   in Loop: Header=BB257_11 Depth=1
	v_ffbh_u32_e32 v1, v56
	v_min_u32_e32 v1, 32, v1
	v_subrev_nc_u32_e32 v2, 28, v1
	v_sub_nc_u32_e32 v1, 29, v1
	v_lshlrev_b64 v[2:3], v2, v[56:57]
	v_and_b32_e32 v56, 7, v2
; %bb.456:                              ;   in Loop: Header=BB257_11 Depth=1
	s_or_b32 exec_lo, exec_lo, s22
	v_mov_b32_e32 v2, 24
	v_lshl_add_u32 v1, v1, 23, 0x3c000000
	v_lshlrev_b32_sdwa v0, v2, v0 dst_sel:DWORD dst_unused:UNUSED_PAD src0_sel:DWORD src1_sel:BYTE_3
	v_lshlrev_b32_e32 v2, 20, v56
	v_and_b32_e32 v0, 0x80000000, v0
	v_or3_b32 v1, v2, v0, v1
	v_mov_b32_e32 v0, v57
	buffer_store_dword v0, off, s[0:3], s32 offset:624 ; 4-byte Folded Spill
	buffer_store_dword v1, off, s[0:3], s32 offset:628 ; 4-byte Folded Spill
.LBB257_457:                            ;   in Loop: Header=BB257_11 Depth=1
	s_or_b32 exec_lo, exec_lo, s19
.LBB257_458:                            ;   in Loop: Header=BB257_11 Depth=1
	s_or_b32 exec_lo, exec_lo, s7
.LBB257_459:                            ;   in Loop: Header=BB257_11 Depth=1
	s_or_b32 exec_lo, exec_lo, s6
	flat_load_dword v0, v[21:22] offset:1544
	v_mov_b32_e32 v1, 0
	v_mov_b32_e32 v2, 0
	buffer_store_dword v1, off, s[0:3], s32 offset:648 ; 4-byte Folded Spill
	buffer_store_dword v2, off, s[0:3], s32 offset:652 ; 4-byte Folded Spill
	v_mov_b32_e32 v1, 0
	v_mov_b32_e32 v2, 0
	buffer_store_dword v1, off, s[0:3], s32 offset:640 ; 4-byte Folded Spill
	buffer_store_dword v2, off, s[0:3], s32 offset:644 ; 4-byte Folded Spill
	s_waitcnt vmcnt(0) lgkmcnt(0)
	v_cmp_ne_u16_sdwa s5, v0, v57 src0_sel:BYTE_0 src1_sel:DWORD
	s_and_saveexec_b32 s6, s5
	s_cbranch_execz .LBB257_467
; %bb.460:                              ;   in Loop: Header=BB257_11 Depth=1
	v_bfrev_b32_e32 v1, 1
	v_mov_b32_e32 v2, 0
	buffer_store_dword v1, off, s[0:3], s32 offset:640 ; 4-byte Folded Spill
	buffer_store_dword v2, off, s[0:3], s32 offset:644 ; 4-byte Folded Spill
	v_mov_b32_e32 v1, 0x80
	v_cmp_ne_u16_sdwa s5, v0, v1 src0_sel:BYTE_0 src1_sel:DWORD
	s_and_saveexec_b32 s7, s5
	s_cbranch_execz .LBB257_466
; %bb.461:                              ;   in Loop: Header=BB257_11 Depth=1
	v_mov_b32_e32 v3, 0x7f800001
	v_and_b32_e32 v2, 0x7f, v0
	v_mov_b32_e32 v4, 0
	s_mov_b32 s19, exec_lo
	buffer_store_dword v3, off, s[0:3], s32 offset:640 ; 4-byte Folded Spill
	buffer_store_dword v4, off, s[0:3], s32 offset:644 ; 4-byte Folded Spill
	v_cmpx_ne_u32_e32 0x7f, v2
	s_cbranch_execz .LBB257_465
; %bb.462:                              ;   in Loop: Header=BB257_11 Depth=1
	v_and_b32_e32 v56, 7, v0
	v_lshrrev_b32_e32 v1, 3, v2
	s_mov_b32 s22, exec_lo
	v_cmpx_gt_u32_e32 8, v2
; %bb.463:                              ;   in Loop: Header=BB257_11 Depth=1
	v_ffbh_u32_e32 v1, v56
	v_min_u32_e32 v1, 32, v1
	v_subrev_nc_u32_e32 v2, 28, v1
	v_sub_nc_u32_e32 v1, 29, v1
	v_lshlrev_b64 v[2:3], v2, v[56:57]
	v_and_b32_e32 v56, 7, v2
; %bb.464:                              ;   in Loop: Header=BB257_11 Depth=1
	s_or_b32 exec_lo, exec_lo, s22
	v_lshlrev_b32_e32 v2, 24, v0
	v_lshlrev_b32_e32 v3, 20, v56
	v_lshl_add_u32 v1, v1, 23, 0x3c000000
	v_and_b32_e32 v2, 0x80000000, v2
	v_or3_b32 v56, v3, v2, v1
	buffer_store_dword v56, off, s[0:3], s32 offset:640 ; 4-byte Folded Spill
	buffer_store_dword v57, off, s[0:3], s32 offset:644 ; 4-byte Folded Spill
.LBB257_465:                            ;   in Loop: Header=BB257_11 Depth=1
	s_or_b32 exec_lo, exec_lo, s19
.LBB257_466:                            ;   in Loop: Header=BB257_11 Depth=1
	s_or_b32 exec_lo, exec_lo, s7
.LBB257_467:                            ;   in Loop: Header=BB257_11 Depth=1
	s_or_b32 exec_lo, exec_lo, s6
	v_cmp_ne_u16_sdwa s5, v0, v57 src0_sel:BYTE_1 src1_sel:DWORD
	s_and_saveexec_b32 s6, s5
	s_cbranch_execz .LBB257_475
; %bb.468:                              ;   in Loop: Header=BB257_11 Depth=1
	v_mov_b32_e32 v1, 0x80
	v_mov_b32_e32 v90, v57
	buffer_store_dword v90, off, s[0:3], s32 offset:648 ; 4-byte Folded Spill
	buffer_store_dword v91, off, s[0:3], s32 offset:652 ; 4-byte Folded Spill
	v_cmp_ne_u16_sdwa s5, v0, v1 src0_sel:BYTE_1 src1_sel:DWORD
	s_and_saveexec_b32 s7, s5
	s_cbranch_execz .LBB257_474
; %bb.469:                              ;   in Loop: Header=BB257_11 Depth=1
	v_mov_b32_e32 v1, 0xffff
	v_mov_b32_e32 v120, v57
	s_mov_b32 s19, exec_lo
	buffer_store_dword v120, off, s[0:3], s32 offset:648 ; 4-byte Folded Spill
	buffer_store_dword v121, off, s[0:3], s32 offset:652 ; 4-byte Folded Spill
	v_and_b32_sdwa v1, v1, v0 dst_sel:DWORD dst_unused:UNUSED_PAD src0_sel:DWORD src1_sel:BYTE_1
	v_and_b32_e32 v2, 0x7f, v1
	v_cmpx_ne_u32_e32 0x7f, v2
	s_cbranch_execz .LBB257_473
; %bb.470:                              ;   in Loop: Header=BB257_11 Depth=1
	v_and_b32_e32 v56, 7, v1
	v_lshrrev_b32_e32 v1, 3, v2
	s_mov_b32 s22, exec_lo
	v_cmpx_gt_u32_e32 8, v2
; %bb.471:                              ;   in Loop: Header=BB257_11 Depth=1
	v_ffbh_u32_e32 v1, v56
	v_min_u32_e32 v1, 32, v1
	v_subrev_nc_u32_e32 v2, 28, v1
	v_sub_nc_u32_e32 v1, 29, v1
	v_lshlrev_b64 v[2:3], v2, v[56:57]
	v_and_b32_e32 v56, 7, v2
; %bb.472:                              ;   in Loop: Header=BB257_11 Depth=1
	s_or_b32 exec_lo, exec_lo, s22
	v_lshlrev_b32_e32 v2, 16, v0
	v_lshlrev_b32_e32 v3, 20, v56
	v_lshl_add_u32 v1, v1, 23, 0x3c000000
	v_and_b32_e32 v2, 0x80000000, v2
	v_or3_b32 v2, v3, v2, v1
	v_mov_b32_e32 v1, v57
	buffer_store_dword v1, off, s[0:3], s32 offset:648 ; 4-byte Folded Spill
	buffer_store_dword v2, off, s[0:3], s32 offset:652 ; 4-byte Folded Spill
.LBB257_473:                            ;   in Loop: Header=BB257_11 Depth=1
	s_or_b32 exec_lo, exec_lo, s19
.LBB257_474:                            ;   in Loop: Header=BB257_11 Depth=1
	s_or_b32 exec_lo, exec_lo, s7
.LBB257_475:                            ;   in Loop: Header=BB257_11 Depth=1
	s_or_b32 exec_lo, exec_lo, s6
	v_mov_b32_e32 v2, 0
	v_mov_b32_e32 v3, 0
	;; [unrolled: 1-line block ×3, first 2 shown]
	s_mov_b32 s6, exec_lo
	buffer_store_dword v2, off, s[0:3], s32 offset:656 ; 4-byte Folded Spill
	buffer_store_dword v3, off, s[0:3], s32 offset:660 ; 4-byte Folded Spill
	v_mov_b32_e32 v2, 0
	v_and_b32_sdwa v1, v0, v1 dst_sel:DWORD dst_unused:UNUSED_PAD src0_sel:WORD_1 src1_sel:DWORD
	v_mov_b32_e32 v3, 0
	buffer_store_dword v2, off, s[0:3], s32 offset:664 ; 4-byte Folded Spill
	buffer_store_dword v3, off, s[0:3], s32 offset:668 ; 4-byte Folded Spill
	v_cmpx_ne_u16_e32 0, v1
	s_cbranch_execz .LBB257_483
; %bb.476:                              ;   in Loop: Header=BB257_11 Depth=1
	v_cmp_ne_u16_e64 s5, 0x80, v1
	v_bfrev_b32_e32 v1, 1
	v_mov_b32_e32 v2, 0
	buffer_store_dword v1, off, s[0:3], s32 offset:664 ; 4-byte Folded Spill
	buffer_store_dword v2, off, s[0:3], s32 offset:668 ; 4-byte Folded Spill
	s_and_saveexec_b32 s7, s5
	s_cbranch_execz .LBB257_482
; %bb.477:                              ;   in Loop: Header=BB257_11 Depth=1
	v_mov_b32_e32 v3, 0x7f800001
	v_bfe_u32 v2, v0, 16, 7
	v_mov_b32_e32 v4, 0
	s_mov_b32 s19, exec_lo
	buffer_store_dword v3, off, s[0:3], s32 offset:664 ; 4-byte Folded Spill
	buffer_store_dword v4, off, s[0:3], s32 offset:668 ; 4-byte Folded Spill
	v_cmpx_ne_u32_e32 0x7f, v2
	s_cbranch_execz .LBB257_481
; %bb.478:                              ;   in Loop: Header=BB257_11 Depth=1
	v_mov_b32_e32 v1, 7
	s_mov_b32 s22, exec_lo
	v_and_b32_sdwa v56, v0, v1 dst_sel:DWORD dst_unused:UNUSED_PAD src0_sel:WORD_1 src1_sel:DWORD
	v_lshrrev_b32_e32 v1, 3, v2
	v_cmpx_gt_u32_e32 8, v2
; %bb.479:                              ;   in Loop: Header=BB257_11 Depth=1
	v_ffbh_u32_e32 v1, v56
	v_min_u32_e32 v1, 32, v1
	v_subrev_nc_u32_e32 v2, 28, v1
	v_sub_nc_u32_e32 v1, 29, v1
	v_lshlrev_b64 v[2:3], v2, v[56:57]
	v_and_b32_e32 v56, 7, v2
; %bb.480:                              ;   in Loop: Header=BB257_11 Depth=1
	s_or_b32 exec_lo, exec_lo, s22
	v_mov_b32_e32 v2, 24
	v_lshlrev_b32_e32 v3, 20, v56
	v_lshl_add_u32 v1, v1, 23, 0x3c000000
	v_lshlrev_b32_sdwa v2, v2, v0 dst_sel:DWORD dst_unused:UNUSED_PAD src0_sel:DWORD src1_sel:WORD_1
	v_and_b32_e32 v2, 0x80000000, v2
	v_or3_b32 v56, v3, v2, v1
	buffer_store_dword v56, off, s[0:3], s32 offset:664 ; 4-byte Folded Spill
	buffer_store_dword v57, off, s[0:3], s32 offset:668 ; 4-byte Folded Spill
.LBB257_481:                            ;   in Loop: Header=BB257_11 Depth=1
	s_or_b32 exec_lo, exec_lo, s19
.LBB257_482:                            ;   in Loop: Header=BB257_11 Depth=1
	s_or_b32 exec_lo, exec_lo, s7
.LBB257_483:                            ;   in Loop: Header=BB257_11 Depth=1
	s_or_b32 exec_lo, exec_lo, s6
	s_mov_b32 s6, exec_lo
	v_cmpx_lt_u32_e32 0xffffff, v0
	s_cbranch_execz .LBB257_491
; %bb.484:                              ;   in Loop: Header=BB257_11 Depth=1
	v_mov_b32_e32 v1, 0x80
	v_mov_b32_e32 v90, v57
	buffer_store_dword v90, off, s[0:3], s32 offset:656 ; 4-byte Folded Spill
	buffer_store_dword v91, off, s[0:3], s32 offset:660 ; 4-byte Folded Spill
	v_cmp_ne_u32_sdwa s5, v0, v1 src0_sel:BYTE_3 src1_sel:DWORD
	s_and_saveexec_b32 s7, s5
	s_cbranch_execz .LBB257_490
; %bb.485:                              ;   in Loop: Header=BB257_11 Depth=1
	v_bfe_u32 v2, v0, 24, 7
	v_mov_b32_e32 v120, v57
	s_mov_b32 s19, exec_lo
	buffer_store_dword v120, off, s[0:3], s32 offset:656 ; 4-byte Folded Spill
	buffer_store_dword v121, off, s[0:3], s32 offset:660 ; 4-byte Folded Spill
	v_cmpx_ne_u32_e32 0x7f, v2
	s_cbranch_execz .LBB257_489
; %bb.486:                              ;   in Loop: Header=BB257_11 Depth=1
	v_mov_b32_e32 v1, 7
	s_mov_b32 s22, exec_lo
	v_and_b32_sdwa v56, v0, v1 dst_sel:DWORD dst_unused:UNUSED_PAD src0_sel:BYTE_3 src1_sel:DWORD
	v_lshrrev_b32_e32 v1, 3, v2
	v_cmpx_gt_u32_e32 8, v2
; %bb.487:                              ;   in Loop: Header=BB257_11 Depth=1
	v_ffbh_u32_e32 v1, v56
	v_min_u32_e32 v1, 32, v1
	v_subrev_nc_u32_e32 v2, 28, v1
	v_sub_nc_u32_e32 v1, 29, v1
	v_lshlrev_b64 v[2:3], v2, v[56:57]
	v_and_b32_e32 v56, 7, v2
; %bb.488:                              ;   in Loop: Header=BB257_11 Depth=1
	s_or_b32 exec_lo, exec_lo, s22
	v_mov_b32_e32 v2, 24
	v_lshl_add_u32 v1, v1, 23, 0x3c000000
	v_lshlrev_b32_sdwa v0, v2, v0 dst_sel:DWORD dst_unused:UNUSED_PAD src0_sel:DWORD src1_sel:BYTE_3
	v_lshlrev_b32_e32 v2, 20, v56
	v_and_b32_e32 v0, 0x80000000, v0
	v_or3_b32 v1, v2, v0, v1
	v_mov_b32_e32 v0, v57
	buffer_store_dword v0, off, s[0:3], s32 offset:656 ; 4-byte Folded Spill
	buffer_store_dword v1, off, s[0:3], s32 offset:660 ; 4-byte Folded Spill
.LBB257_489:                            ;   in Loop: Header=BB257_11 Depth=1
	s_or_b32 exec_lo, exec_lo, s19
.LBB257_490:                            ;   in Loop: Header=BB257_11 Depth=1
	s_or_b32 exec_lo, exec_lo, s7
.LBB257_491:                            ;   in Loop: Header=BB257_11 Depth=1
	s_or_b32 exec_lo, exec_lo, s6
	flat_load_dword v0, v[21:22] offset:1548
	v_mov_b32_e32 v1, 0
	v_mov_b32_e32 v2, 0
	buffer_store_dword v1, off, s[0:3], s32 offset:680 ; 4-byte Folded Spill
	buffer_store_dword v2, off, s[0:3], s32 offset:684 ; 4-byte Folded Spill
	v_mov_b32_e32 v1, 0
	v_mov_b32_e32 v2, 0
	buffer_store_dword v1, off, s[0:3], s32 offset:672 ; 4-byte Folded Spill
	buffer_store_dword v2, off, s[0:3], s32 offset:676 ; 4-byte Folded Spill
	s_waitcnt vmcnt(0) lgkmcnt(0)
	v_cmp_ne_u16_sdwa s5, v0, v57 src0_sel:BYTE_0 src1_sel:DWORD
	s_and_saveexec_b32 s6, s5
	s_cbranch_execz .LBB257_499
; %bb.492:                              ;   in Loop: Header=BB257_11 Depth=1
	v_bfrev_b32_e32 v1, 1
	v_mov_b32_e32 v2, 0
	buffer_store_dword v1, off, s[0:3], s32 offset:672 ; 4-byte Folded Spill
	buffer_store_dword v2, off, s[0:3], s32 offset:676 ; 4-byte Folded Spill
	v_mov_b32_e32 v1, 0x80
	v_cmp_ne_u16_sdwa s5, v0, v1 src0_sel:BYTE_0 src1_sel:DWORD
	s_and_saveexec_b32 s7, s5
	s_cbranch_execz .LBB257_498
; %bb.493:                              ;   in Loop: Header=BB257_11 Depth=1
	v_mov_b32_e32 v3, 0x7f800001
	v_and_b32_e32 v2, 0x7f, v0
	v_mov_b32_e32 v4, 0
	s_mov_b32 s19, exec_lo
	buffer_store_dword v3, off, s[0:3], s32 offset:672 ; 4-byte Folded Spill
	buffer_store_dword v4, off, s[0:3], s32 offset:676 ; 4-byte Folded Spill
	v_cmpx_ne_u32_e32 0x7f, v2
	s_cbranch_execz .LBB257_497
; %bb.494:                              ;   in Loop: Header=BB257_11 Depth=1
	v_and_b32_e32 v56, 7, v0
	v_lshrrev_b32_e32 v1, 3, v2
	s_mov_b32 s22, exec_lo
	v_cmpx_gt_u32_e32 8, v2
; %bb.495:                              ;   in Loop: Header=BB257_11 Depth=1
	v_ffbh_u32_e32 v1, v56
	v_min_u32_e32 v1, 32, v1
	v_subrev_nc_u32_e32 v2, 28, v1
	v_sub_nc_u32_e32 v1, 29, v1
	v_lshlrev_b64 v[2:3], v2, v[56:57]
	v_and_b32_e32 v56, 7, v2
; %bb.496:                              ;   in Loop: Header=BB257_11 Depth=1
	s_or_b32 exec_lo, exec_lo, s22
	v_lshlrev_b32_e32 v2, 24, v0
	v_lshlrev_b32_e32 v3, 20, v56
	v_lshl_add_u32 v1, v1, 23, 0x3c000000
	v_and_b32_e32 v2, 0x80000000, v2
	v_or3_b32 v56, v3, v2, v1
	buffer_store_dword v56, off, s[0:3], s32 offset:672 ; 4-byte Folded Spill
	buffer_store_dword v57, off, s[0:3], s32 offset:676 ; 4-byte Folded Spill
.LBB257_497:                            ;   in Loop: Header=BB257_11 Depth=1
	s_or_b32 exec_lo, exec_lo, s19
.LBB257_498:                            ;   in Loop: Header=BB257_11 Depth=1
	s_or_b32 exec_lo, exec_lo, s7
.LBB257_499:                            ;   in Loop: Header=BB257_11 Depth=1
	s_or_b32 exec_lo, exec_lo, s6
	v_cmp_ne_u16_sdwa s5, v0, v57 src0_sel:BYTE_1 src1_sel:DWORD
	s_and_saveexec_b32 s6, s5
	s_cbranch_execz .LBB257_507
; %bb.500:                              ;   in Loop: Header=BB257_11 Depth=1
	v_mov_b32_e32 v1, 0x80
	v_mov_b32_e32 v90, v57
	buffer_store_dword v90, off, s[0:3], s32 offset:680 ; 4-byte Folded Spill
	buffer_store_dword v91, off, s[0:3], s32 offset:684 ; 4-byte Folded Spill
	v_cmp_ne_u16_sdwa s5, v0, v1 src0_sel:BYTE_1 src1_sel:DWORD
	s_and_saveexec_b32 s7, s5
	s_cbranch_execz .LBB257_506
; %bb.501:                              ;   in Loop: Header=BB257_11 Depth=1
	v_mov_b32_e32 v1, 0xffff
	v_mov_b32_e32 v120, v57
	s_mov_b32 s19, exec_lo
	buffer_store_dword v120, off, s[0:3], s32 offset:680 ; 4-byte Folded Spill
	buffer_store_dword v121, off, s[0:3], s32 offset:684 ; 4-byte Folded Spill
	v_and_b32_sdwa v1, v1, v0 dst_sel:DWORD dst_unused:UNUSED_PAD src0_sel:DWORD src1_sel:BYTE_1
	v_and_b32_e32 v2, 0x7f, v1
	v_cmpx_ne_u32_e32 0x7f, v2
	s_cbranch_execz .LBB257_505
; %bb.502:                              ;   in Loop: Header=BB257_11 Depth=1
	v_and_b32_e32 v56, 7, v1
	v_lshrrev_b32_e32 v1, 3, v2
	s_mov_b32 s22, exec_lo
	v_cmpx_gt_u32_e32 8, v2
; %bb.503:                              ;   in Loop: Header=BB257_11 Depth=1
	v_ffbh_u32_e32 v1, v56
	v_min_u32_e32 v1, 32, v1
	v_subrev_nc_u32_e32 v2, 28, v1
	v_sub_nc_u32_e32 v1, 29, v1
	v_lshlrev_b64 v[2:3], v2, v[56:57]
	v_and_b32_e32 v56, 7, v2
; %bb.504:                              ;   in Loop: Header=BB257_11 Depth=1
	s_or_b32 exec_lo, exec_lo, s22
	v_lshlrev_b32_e32 v2, 16, v0
	v_lshlrev_b32_e32 v3, 20, v56
	v_lshl_add_u32 v1, v1, 23, 0x3c000000
	v_and_b32_e32 v2, 0x80000000, v2
	v_or3_b32 v2, v3, v2, v1
	v_mov_b32_e32 v1, v57
	buffer_store_dword v1, off, s[0:3], s32 offset:680 ; 4-byte Folded Spill
	buffer_store_dword v2, off, s[0:3], s32 offset:684 ; 4-byte Folded Spill
.LBB257_505:                            ;   in Loop: Header=BB257_11 Depth=1
	s_or_b32 exec_lo, exec_lo, s19
.LBB257_506:                            ;   in Loop: Header=BB257_11 Depth=1
	s_or_b32 exec_lo, exec_lo, s7
.LBB257_507:                            ;   in Loop: Header=BB257_11 Depth=1
	s_or_b32 exec_lo, exec_lo, s6
	v_mov_b32_e32 v2, 0
	v_mov_b32_e32 v3, 0
	;; [unrolled: 1-line block ×3, first 2 shown]
	s_mov_b32 s6, exec_lo
	buffer_store_dword v2, off, s[0:3], s32 offset:688 ; 4-byte Folded Spill
	buffer_store_dword v3, off, s[0:3], s32 offset:692 ; 4-byte Folded Spill
	v_mov_b32_e32 v2, 0
	v_and_b32_sdwa v1, v0, v1 dst_sel:DWORD dst_unused:UNUSED_PAD src0_sel:WORD_1 src1_sel:DWORD
	v_mov_b32_e32 v3, 0
	buffer_store_dword v2, off, s[0:3], s32 offset:696 ; 4-byte Folded Spill
	buffer_store_dword v3, off, s[0:3], s32 offset:700 ; 4-byte Folded Spill
	v_cmpx_ne_u16_e32 0, v1
	s_cbranch_execz .LBB257_515
; %bb.508:                              ;   in Loop: Header=BB257_11 Depth=1
	v_cmp_ne_u16_e64 s5, 0x80, v1
	v_bfrev_b32_e32 v1, 1
	v_mov_b32_e32 v2, 0
	buffer_store_dword v1, off, s[0:3], s32 offset:696 ; 4-byte Folded Spill
	buffer_store_dword v2, off, s[0:3], s32 offset:700 ; 4-byte Folded Spill
	s_and_saveexec_b32 s7, s5
	s_cbranch_execz .LBB257_514
; %bb.509:                              ;   in Loop: Header=BB257_11 Depth=1
	v_mov_b32_e32 v3, 0x7f800001
	v_bfe_u32 v2, v0, 16, 7
	v_mov_b32_e32 v4, 0
	s_mov_b32 s19, exec_lo
	buffer_store_dword v3, off, s[0:3], s32 offset:696 ; 4-byte Folded Spill
	buffer_store_dword v4, off, s[0:3], s32 offset:700 ; 4-byte Folded Spill
	v_cmpx_ne_u32_e32 0x7f, v2
	s_cbranch_execz .LBB257_513
; %bb.510:                              ;   in Loop: Header=BB257_11 Depth=1
	v_mov_b32_e32 v1, 7
	s_mov_b32 s22, exec_lo
	v_and_b32_sdwa v56, v0, v1 dst_sel:DWORD dst_unused:UNUSED_PAD src0_sel:WORD_1 src1_sel:DWORD
	v_lshrrev_b32_e32 v1, 3, v2
	v_cmpx_gt_u32_e32 8, v2
; %bb.511:                              ;   in Loop: Header=BB257_11 Depth=1
	v_ffbh_u32_e32 v1, v56
	v_min_u32_e32 v1, 32, v1
	v_subrev_nc_u32_e32 v2, 28, v1
	v_sub_nc_u32_e32 v1, 29, v1
	v_lshlrev_b64 v[2:3], v2, v[56:57]
	v_and_b32_e32 v56, 7, v2
; %bb.512:                              ;   in Loop: Header=BB257_11 Depth=1
	s_or_b32 exec_lo, exec_lo, s22
	v_mov_b32_e32 v2, 24
	v_lshlrev_b32_e32 v3, 20, v56
	v_lshl_add_u32 v1, v1, 23, 0x3c000000
	v_lshlrev_b32_sdwa v2, v2, v0 dst_sel:DWORD dst_unused:UNUSED_PAD src0_sel:DWORD src1_sel:WORD_1
	v_and_b32_e32 v2, 0x80000000, v2
	v_or3_b32 v56, v3, v2, v1
	buffer_store_dword v56, off, s[0:3], s32 offset:696 ; 4-byte Folded Spill
	buffer_store_dword v57, off, s[0:3], s32 offset:700 ; 4-byte Folded Spill
.LBB257_513:                            ;   in Loop: Header=BB257_11 Depth=1
	s_or_b32 exec_lo, exec_lo, s19
.LBB257_514:                            ;   in Loop: Header=BB257_11 Depth=1
	s_or_b32 exec_lo, exec_lo, s7
.LBB257_515:                            ;   in Loop: Header=BB257_11 Depth=1
	s_or_b32 exec_lo, exec_lo, s6
	s_mov_b32 s6, exec_lo
	v_cmpx_lt_u32_e32 0xffffff, v0
	s_cbranch_execz .LBB257_523
; %bb.516:                              ;   in Loop: Header=BB257_11 Depth=1
	v_mov_b32_e32 v1, 0x80
	v_mov_b32_e32 v90, v57
	buffer_store_dword v90, off, s[0:3], s32 offset:688 ; 4-byte Folded Spill
	buffer_store_dword v91, off, s[0:3], s32 offset:692 ; 4-byte Folded Spill
	v_cmp_ne_u32_sdwa s5, v0, v1 src0_sel:BYTE_3 src1_sel:DWORD
	s_and_saveexec_b32 s7, s5
	s_cbranch_execz .LBB257_522
; %bb.517:                              ;   in Loop: Header=BB257_11 Depth=1
	v_bfe_u32 v2, v0, 24, 7
	v_mov_b32_e32 v120, v57
	s_mov_b32 s19, exec_lo
	buffer_store_dword v120, off, s[0:3], s32 offset:688 ; 4-byte Folded Spill
	buffer_store_dword v121, off, s[0:3], s32 offset:692 ; 4-byte Folded Spill
	v_cmpx_ne_u32_e32 0x7f, v2
	s_cbranch_execz .LBB257_521
; %bb.518:                              ;   in Loop: Header=BB257_11 Depth=1
	v_mov_b32_e32 v1, 7
	s_mov_b32 s22, exec_lo
	v_and_b32_sdwa v56, v0, v1 dst_sel:DWORD dst_unused:UNUSED_PAD src0_sel:BYTE_3 src1_sel:DWORD
	v_lshrrev_b32_e32 v1, 3, v2
	v_cmpx_gt_u32_e32 8, v2
; %bb.519:                              ;   in Loop: Header=BB257_11 Depth=1
	v_ffbh_u32_e32 v1, v56
	v_min_u32_e32 v1, 32, v1
	v_subrev_nc_u32_e32 v2, 28, v1
	v_sub_nc_u32_e32 v1, 29, v1
	v_lshlrev_b64 v[2:3], v2, v[56:57]
	v_and_b32_e32 v56, 7, v2
; %bb.520:                              ;   in Loop: Header=BB257_11 Depth=1
	s_or_b32 exec_lo, exec_lo, s22
	v_mov_b32_e32 v2, 24
	v_lshl_add_u32 v1, v1, 23, 0x3c000000
	v_lshlrev_b32_sdwa v0, v2, v0 dst_sel:DWORD dst_unused:UNUSED_PAD src0_sel:DWORD src1_sel:BYTE_3
	v_lshlrev_b32_e32 v2, 20, v56
	v_and_b32_e32 v0, 0x80000000, v0
	v_or3_b32 v1, v2, v0, v1
	v_mov_b32_e32 v0, v57
	buffer_store_dword v0, off, s[0:3], s32 offset:688 ; 4-byte Folded Spill
	buffer_store_dword v1, off, s[0:3], s32 offset:692 ; 4-byte Folded Spill
.LBB257_521:                            ;   in Loop: Header=BB257_11 Depth=1
	s_or_b32 exec_lo, exec_lo, s19
.LBB257_522:                            ;   in Loop: Header=BB257_11 Depth=1
	s_or_b32 exec_lo, exec_lo, s7
.LBB257_523:                            ;   in Loop: Header=BB257_11 Depth=1
	s_or_b32 exec_lo, exec_lo, s6
	v_add_co_u32 v2, s5, 0x800, v21
	v_add_co_ci_u32_e64 v3, null, 0, v22, s5
	v_mov_b32_e32 v4, 0
	v_mov_b32_e32 v5, 0
	flat_load_dword v0, v[2:3]
	buffer_store_dword v4, off, s[0:3], s32 offset:712 ; 4-byte Folded Spill
	buffer_store_dword v5, off, s[0:3], s32 offset:716 ; 4-byte Folded Spill
	v_mov_b32_e32 v4, 0
	v_mov_b32_e32 v5, 0
	buffer_store_dword v4, off, s[0:3], s32 offset:704 ; 4-byte Folded Spill
	buffer_store_dword v5, off, s[0:3], s32 offset:708 ; 4-byte Folded Spill
	s_waitcnt vmcnt(0) lgkmcnt(0)
	v_cmp_ne_u16_sdwa s5, v0, v57 src0_sel:BYTE_0 src1_sel:DWORD
	s_and_saveexec_b32 s6, s5
	s_cbranch_execz .LBB257_531
; %bb.524:                              ;   in Loop: Header=BB257_11 Depth=1
	v_mov_b32_e32 v1, 0x80
	v_bfrev_b32_e32 v4, 1
	v_mov_b32_e32 v5, 0
	buffer_store_dword v4, off, s[0:3], s32 offset:704 ; 4-byte Folded Spill
	buffer_store_dword v5, off, s[0:3], s32 offset:708 ; 4-byte Folded Spill
	v_cmp_ne_u16_sdwa s5, v0, v1 src0_sel:BYTE_0 src1_sel:DWORD
	s_and_saveexec_b32 s7, s5
	s_cbranch_execz .LBB257_530
; %bb.525:                              ;   in Loop: Header=BB257_11 Depth=1
	v_mov_b32_e32 v5, 0x7f800001
	v_and_b32_e32 v4, 0x7f, v0
	v_mov_b32_e32 v6, 0
	s_mov_b32 s19, exec_lo
	buffer_store_dword v5, off, s[0:3], s32 offset:704 ; 4-byte Folded Spill
	buffer_store_dword v6, off, s[0:3], s32 offset:708 ; 4-byte Folded Spill
	v_cmpx_ne_u32_e32 0x7f, v4
	s_cbranch_execz .LBB257_529
; %bb.526:                              ;   in Loop: Header=BB257_11 Depth=1
	v_and_b32_e32 v56, 7, v0
	v_lshrrev_b32_e32 v1, 3, v4
	s_mov_b32 s22, exec_lo
	v_cmpx_gt_u32_e32 8, v4
; %bb.527:                              ;   in Loop: Header=BB257_11 Depth=1
	v_ffbh_u32_e32 v1, v56
	v_min_u32_e32 v1, 32, v1
	v_subrev_nc_u32_e32 v4, 28, v1
	v_sub_nc_u32_e32 v1, 29, v1
	v_lshlrev_b64 v[4:5], v4, v[56:57]
	v_and_b32_e32 v56, 7, v4
; %bb.528:                              ;   in Loop: Header=BB257_11 Depth=1
	s_or_b32 exec_lo, exec_lo, s22
	v_lshlrev_b32_e32 v4, 24, v0
	v_lshlrev_b32_e32 v5, 20, v56
	v_lshl_add_u32 v1, v1, 23, 0x3c000000
	v_and_b32_e32 v4, 0x80000000, v4
	v_or3_b32 v56, v5, v4, v1
	buffer_store_dword v56, off, s[0:3], s32 offset:704 ; 4-byte Folded Spill
	buffer_store_dword v57, off, s[0:3], s32 offset:708 ; 4-byte Folded Spill
.LBB257_529:                            ;   in Loop: Header=BB257_11 Depth=1
	s_or_b32 exec_lo, exec_lo, s19
.LBB257_530:                            ;   in Loop: Header=BB257_11 Depth=1
	s_or_b32 exec_lo, exec_lo, s7
.LBB257_531:                            ;   in Loop: Header=BB257_11 Depth=1
	s_or_b32 exec_lo, exec_lo, s6
	v_cmp_ne_u16_sdwa s5, v0, v57 src0_sel:BYTE_1 src1_sel:DWORD
	s_and_saveexec_b32 s6, s5
	s_cbranch_execz .LBB257_539
; %bb.532:                              ;   in Loop: Header=BB257_11 Depth=1
	v_mov_b32_e32 v1, 0x80
	v_mov_b32_e32 v90, v57
	buffer_store_dword v90, off, s[0:3], s32 offset:712 ; 4-byte Folded Spill
	buffer_store_dword v91, off, s[0:3], s32 offset:716 ; 4-byte Folded Spill
	v_cmp_ne_u16_sdwa s5, v0, v1 src0_sel:BYTE_1 src1_sel:DWORD
	s_and_saveexec_b32 s7, s5
	s_cbranch_execz .LBB257_538
; %bb.533:                              ;   in Loop: Header=BB257_11 Depth=1
	v_mov_b32_e32 v1, 0xffff
	v_mov_b32_e32 v120, v57
	s_mov_b32 s19, exec_lo
	buffer_store_dword v120, off, s[0:3], s32 offset:712 ; 4-byte Folded Spill
	buffer_store_dword v121, off, s[0:3], s32 offset:716 ; 4-byte Folded Spill
	v_and_b32_sdwa v1, v1, v0 dst_sel:DWORD dst_unused:UNUSED_PAD src0_sel:DWORD src1_sel:BYTE_1
	v_and_b32_e32 v4, 0x7f, v1
	v_cmpx_ne_u32_e32 0x7f, v4
	s_cbranch_execz .LBB257_537
; %bb.534:                              ;   in Loop: Header=BB257_11 Depth=1
	v_and_b32_e32 v56, 7, v1
	v_lshrrev_b32_e32 v1, 3, v4
	s_mov_b32 s22, exec_lo
	v_cmpx_gt_u32_e32 8, v4
; %bb.535:                              ;   in Loop: Header=BB257_11 Depth=1
	v_ffbh_u32_e32 v1, v56
	v_min_u32_e32 v1, 32, v1
	v_subrev_nc_u32_e32 v4, 28, v1
	v_sub_nc_u32_e32 v1, 29, v1
	v_lshlrev_b64 v[4:5], v4, v[56:57]
	v_and_b32_e32 v56, 7, v4
; %bb.536:                              ;   in Loop: Header=BB257_11 Depth=1
	s_or_b32 exec_lo, exec_lo, s22
	v_lshlrev_b32_e32 v4, 16, v0
	v_lshlrev_b32_e32 v5, 20, v56
	v_lshl_add_u32 v1, v1, 23, 0x3c000000
	v_and_b32_e32 v4, 0x80000000, v4
	v_or3_b32 v5, v5, v4, v1
	v_mov_b32_e32 v4, v57
	buffer_store_dword v4, off, s[0:3], s32 offset:712 ; 4-byte Folded Spill
	buffer_store_dword v5, off, s[0:3], s32 offset:716 ; 4-byte Folded Spill
.LBB257_537:                            ;   in Loop: Header=BB257_11 Depth=1
	s_or_b32 exec_lo, exec_lo, s19
.LBB257_538:                            ;   in Loop: Header=BB257_11 Depth=1
	s_or_b32 exec_lo, exec_lo, s7
.LBB257_539:                            ;   in Loop: Header=BB257_11 Depth=1
	s_or_b32 exec_lo, exec_lo, s6
	v_mov_b32_e32 v4, 0
	v_mov_b32_e32 v5, 0
	;; [unrolled: 1-line block ×3, first 2 shown]
	s_mov_b32 s6, exec_lo
	buffer_store_dword v4, off, s[0:3], s32 offset:720 ; 4-byte Folded Spill
	buffer_store_dword v5, off, s[0:3], s32 offset:724 ; 4-byte Folded Spill
	v_mov_b32_e32 v4, 0
	v_and_b32_sdwa v1, v0, v1 dst_sel:DWORD dst_unused:UNUSED_PAD src0_sel:WORD_1 src1_sel:DWORD
	v_mov_b32_e32 v5, 0
	buffer_store_dword v4, off, s[0:3], s32 offset:728 ; 4-byte Folded Spill
	buffer_store_dword v5, off, s[0:3], s32 offset:732 ; 4-byte Folded Spill
	v_cmpx_ne_u16_e32 0, v1
	s_cbranch_execz .LBB257_547
; %bb.540:                              ;   in Loop: Header=BB257_11 Depth=1
	v_bfrev_b32_e32 v4, 1
	v_mov_b32_e32 v5, 0
	s_mov_b32 s7, exec_lo
	buffer_store_dword v4, off, s[0:3], s32 offset:728 ; 4-byte Folded Spill
	buffer_store_dword v5, off, s[0:3], s32 offset:732 ; 4-byte Folded Spill
	v_cmpx_ne_u16_e32 0x80, v1
	s_cbranch_execz .LBB257_546
; %bb.541:                              ;   in Loop: Header=BB257_11 Depth=1
	v_mov_b32_e32 v5, 0x7f800001
	v_bfe_u32 v4, v0, 16, 7
	v_mov_b32_e32 v6, 0
	s_mov_b32 s19, exec_lo
	buffer_store_dword v5, off, s[0:3], s32 offset:728 ; 4-byte Folded Spill
	buffer_store_dword v6, off, s[0:3], s32 offset:732 ; 4-byte Folded Spill
	v_cmpx_ne_u32_e32 0x7f, v4
	s_cbranch_execz .LBB257_545
; %bb.542:                              ;   in Loop: Header=BB257_11 Depth=1
	v_mov_b32_e32 v1, 7
	s_mov_b32 s22, exec_lo
	v_and_b32_sdwa v56, v0, v1 dst_sel:DWORD dst_unused:UNUSED_PAD src0_sel:WORD_1 src1_sel:DWORD
	v_lshrrev_b32_e32 v1, 3, v4
	v_cmpx_gt_u32_e32 8, v4
; %bb.543:                              ;   in Loop: Header=BB257_11 Depth=1
	v_ffbh_u32_e32 v1, v56
	v_min_u32_e32 v1, 32, v1
	v_subrev_nc_u32_e32 v4, 28, v1
	v_sub_nc_u32_e32 v1, 29, v1
	v_lshlrev_b64 v[4:5], v4, v[56:57]
	v_and_b32_e32 v56, 7, v4
; %bb.544:                              ;   in Loop: Header=BB257_11 Depth=1
	s_or_b32 exec_lo, exec_lo, s22
	v_mov_b32_e32 v4, 24
	v_lshlrev_b32_e32 v5, 20, v56
	v_lshl_add_u32 v1, v1, 23, 0x3c000000
	v_lshlrev_b32_sdwa v4, v4, v0 dst_sel:DWORD dst_unused:UNUSED_PAD src0_sel:DWORD src1_sel:WORD_1
	v_and_b32_e32 v4, 0x80000000, v4
	v_or3_b32 v56, v5, v4, v1
	buffer_store_dword v56, off, s[0:3], s32 offset:728 ; 4-byte Folded Spill
	buffer_store_dword v57, off, s[0:3], s32 offset:732 ; 4-byte Folded Spill
.LBB257_545:                            ;   in Loop: Header=BB257_11 Depth=1
	s_or_b32 exec_lo, exec_lo, s19
.LBB257_546:                            ;   in Loop: Header=BB257_11 Depth=1
	s_or_b32 exec_lo, exec_lo, s7
.LBB257_547:                            ;   in Loop: Header=BB257_11 Depth=1
	s_or_b32 exec_lo, exec_lo, s6
	s_mov_b32 s6, exec_lo
	v_cmpx_lt_u32_e32 0xffffff, v0
	s_cbranch_execz .LBB257_555
; %bb.548:                              ;   in Loop: Header=BB257_11 Depth=1
	v_mov_b32_e32 v1, 0x80
	v_mov_b32_e32 v90, v57
	buffer_store_dword v90, off, s[0:3], s32 offset:720 ; 4-byte Folded Spill
	buffer_store_dword v91, off, s[0:3], s32 offset:724 ; 4-byte Folded Spill
	v_cmp_ne_u32_sdwa s5, v0, v1 src0_sel:BYTE_3 src1_sel:DWORD
	s_and_saveexec_b32 s7, s5
	s_cbranch_execz .LBB257_554
; %bb.549:                              ;   in Loop: Header=BB257_11 Depth=1
	v_bfe_u32 v4, v0, 24, 7
	v_mov_b32_e32 v120, v57
	s_mov_b32 s19, exec_lo
	buffer_store_dword v120, off, s[0:3], s32 offset:720 ; 4-byte Folded Spill
	buffer_store_dword v121, off, s[0:3], s32 offset:724 ; 4-byte Folded Spill
	v_cmpx_ne_u32_e32 0x7f, v4
	s_cbranch_execz .LBB257_553
; %bb.550:                              ;   in Loop: Header=BB257_11 Depth=1
	v_mov_b32_e32 v1, 7
	s_mov_b32 s22, exec_lo
	v_and_b32_sdwa v56, v0, v1 dst_sel:DWORD dst_unused:UNUSED_PAD src0_sel:BYTE_3 src1_sel:DWORD
	v_lshrrev_b32_e32 v1, 3, v4
	v_cmpx_gt_u32_e32 8, v4
; %bb.551:                              ;   in Loop: Header=BB257_11 Depth=1
	v_ffbh_u32_e32 v1, v56
	v_min_u32_e32 v1, 32, v1
	v_subrev_nc_u32_e32 v4, 28, v1
	v_sub_nc_u32_e32 v1, 29, v1
	v_lshlrev_b64 v[4:5], v4, v[56:57]
	v_and_b32_e32 v56, 7, v4
; %bb.552:                              ;   in Loop: Header=BB257_11 Depth=1
	s_or_b32 exec_lo, exec_lo, s22
	v_mov_b32_e32 v4, 24
	v_lshl_add_u32 v1, v1, 23, 0x3c000000
	v_lshlrev_b32_sdwa v0, v4, v0 dst_sel:DWORD dst_unused:UNUSED_PAD src0_sel:DWORD src1_sel:BYTE_3
	v_lshlrev_b32_e32 v4, 20, v56
	v_and_b32_e32 v0, 0x80000000, v0
	v_or3_b32 v1, v4, v0, v1
	v_mov_b32_e32 v0, v57
	buffer_store_dword v0, off, s[0:3], s32 offset:720 ; 4-byte Folded Spill
	buffer_store_dword v1, off, s[0:3], s32 offset:724 ; 4-byte Folded Spill
.LBB257_553:                            ;   in Loop: Header=BB257_11 Depth=1
	s_or_b32 exec_lo, exec_lo, s19
.LBB257_554:                            ;   in Loop: Header=BB257_11 Depth=1
	s_or_b32 exec_lo, exec_lo, s7
.LBB257_555:                            ;   in Loop: Header=BB257_11 Depth=1
	s_or_b32 exec_lo, exec_lo, s6
	flat_load_dword v0, v[2:3] offset:4
	v_mov_b32_e32 v4, 0
	v_mov_b32_e32 v5, 0
	buffer_store_dword v4, off, s[0:3], s32 offset:744 ; 4-byte Folded Spill
	buffer_store_dword v5, off, s[0:3], s32 offset:748 ; 4-byte Folded Spill
	v_mov_b32_e32 v4, 0
	v_mov_b32_e32 v5, 0
	buffer_store_dword v4, off, s[0:3], s32 offset:736 ; 4-byte Folded Spill
	buffer_store_dword v5, off, s[0:3], s32 offset:740 ; 4-byte Folded Spill
	s_waitcnt vmcnt(0) lgkmcnt(0)
	v_cmp_ne_u16_sdwa s5, v0, v57 src0_sel:BYTE_0 src1_sel:DWORD
	s_and_saveexec_b32 s6, s5
	s_cbranch_execz .LBB257_563
; %bb.556:                              ;   in Loop: Header=BB257_11 Depth=1
	v_mov_b32_e32 v1, 0x80
	v_bfrev_b32_e32 v4, 1
	v_mov_b32_e32 v5, 0
	buffer_store_dword v4, off, s[0:3], s32 offset:736 ; 4-byte Folded Spill
	buffer_store_dword v5, off, s[0:3], s32 offset:740 ; 4-byte Folded Spill
	v_cmp_ne_u16_sdwa s5, v0, v1 src0_sel:BYTE_0 src1_sel:DWORD
	s_and_saveexec_b32 s7, s5
	s_cbranch_execz .LBB257_562
; %bb.557:                              ;   in Loop: Header=BB257_11 Depth=1
	v_mov_b32_e32 v5, 0x7f800001
	v_and_b32_e32 v4, 0x7f, v0
	v_mov_b32_e32 v6, 0
	s_mov_b32 s19, exec_lo
	buffer_store_dword v5, off, s[0:3], s32 offset:736 ; 4-byte Folded Spill
	buffer_store_dword v6, off, s[0:3], s32 offset:740 ; 4-byte Folded Spill
	v_cmpx_ne_u32_e32 0x7f, v4
	s_cbranch_execz .LBB257_561
; %bb.558:                              ;   in Loop: Header=BB257_11 Depth=1
	v_and_b32_e32 v56, 7, v0
	v_lshrrev_b32_e32 v1, 3, v4
	s_mov_b32 s22, exec_lo
	v_cmpx_gt_u32_e32 8, v4
; %bb.559:                              ;   in Loop: Header=BB257_11 Depth=1
	v_ffbh_u32_e32 v1, v56
	v_min_u32_e32 v1, 32, v1
	v_subrev_nc_u32_e32 v4, 28, v1
	v_sub_nc_u32_e32 v1, 29, v1
	v_lshlrev_b64 v[4:5], v4, v[56:57]
	v_and_b32_e32 v56, 7, v4
; %bb.560:                              ;   in Loop: Header=BB257_11 Depth=1
	s_or_b32 exec_lo, exec_lo, s22
	v_lshlrev_b32_e32 v4, 24, v0
	v_lshlrev_b32_e32 v5, 20, v56
	v_lshl_add_u32 v1, v1, 23, 0x3c000000
	v_and_b32_e32 v4, 0x80000000, v4
	v_or3_b32 v56, v5, v4, v1
	buffer_store_dword v56, off, s[0:3], s32 offset:736 ; 4-byte Folded Spill
	buffer_store_dword v57, off, s[0:3], s32 offset:740 ; 4-byte Folded Spill
.LBB257_561:                            ;   in Loop: Header=BB257_11 Depth=1
	s_or_b32 exec_lo, exec_lo, s19
.LBB257_562:                            ;   in Loop: Header=BB257_11 Depth=1
	s_or_b32 exec_lo, exec_lo, s7
.LBB257_563:                            ;   in Loop: Header=BB257_11 Depth=1
	s_or_b32 exec_lo, exec_lo, s6
	v_cmp_ne_u16_sdwa s5, v0, v57 src0_sel:BYTE_1 src1_sel:DWORD
	s_and_saveexec_b32 s6, s5
	s_cbranch_execz .LBB257_571
; %bb.564:                              ;   in Loop: Header=BB257_11 Depth=1
	v_mov_b32_e32 v1, 0x80
	v_mov_b32_e32 v90, v57
	buffer_store_dword v90, off, s[0:3], s32 offset:744 ; 4-byte Folded Spill
	buffer_store_dword v91, off, s[0:3], s32 offset:748 ; 4-byte Folded Spill
	v_cmp_ne_u16_sdwa s5, v0, v1 src0_sel:BYTE_1 src1_sel:DWORD
	s_and_saveexec_b32 s7, s5
	s_cbranch_execz .LBB257_570
; %bb.565:                              ;   in Loop: Header=BB257_11 Depth=1
	v_mov_b32_e32 v1, 0xffff
	v_mov_b32_e32 v120, v57
	s_mov_b32 s19, exec_lo
	buffer_store_dword v120, off, s[0:3], s32 offset:744 ; 4-byte Folded Spill
	buffer_store_dword v121, off, s[0:3], s32 offset:748 ; 4-byte Folded Spill
	v_and_b32_sdwa v1, v1, v0 dst_sel:DWORD dst_unused:UNUSED_PAD src0_sel:DWORD src1_sel:BYTE_1
	v_and_b32_e32 v4, 0x7f, v1
	v_cmpx_ne_u32_e32 0x7f, v4
	s_cbranch_execz .LBB257_569
; %bb.566:                              ;   in Loop: Header=BB257_11 Depth=1
	v_and_b32_e32 v56, 7, v1
	v_lshrrev_b32_e32 v1, 3, v4
	s_mov_b32 s22, exec_lo
	v_cmpx_gt_u32_e32 8, v4
; %bb.567:                              ;   in Loop: Header=BB257_11 Depth=1
	v_ffbh_u32_e32 v1, v56
	v_min_u32_e32 v1, 32, v1
	v_subrev_nc_u32_e32 v4, 28, v1
	v_sub_nc_u32_e32 v1, 29, v1
	v_lshlrev_b64 v[4:5], v4, v[56:57]
	v_and_b32_e32 v56, 7, v4
; %bb.568:                              ;   in Loop: Header=BB257_11 Depth=1
	s_or_b32 exec_lo, exec_lo, s22
	v_lshlrev_b32_e32 v4, 16, v0
	v_lshlrev_b32_e32 v5, 20, v56
	v_lshl_add_u32 v1, v1, 23, 0x3c000000
	v_and_b32_e32 v4, 0x80000000, v4
	v_or3_b32 v5, v5, v4, v1
	v_mov_b32_e32 v4, v57
	buffer_store_dword v4, off, s[0:3], s32 offset:744 ; 4-byte Folded Spill
	buffer_store_dword v5, off, s[0:3], s32 offset:748 ; 4-byte Folded Spill
.LBB257_569:                            ;   in Loop: Header=BB257_11 Depth=1
	s_or_b32 exec_lo, exec_lo, s19
.LBB257_570:                            ;   in Loop: Header=BB257_11 Depth=1
	s_or_b32 exec_lo, exec_lo, s7
.LBB257_571:                            ;   in Loop: Header=BB257_11 Depth=1
	s_or_b32 exec_lo, exec_lo, s6
	v_mov_b32_e32 v4, 0
	v_mov_b32_e32 v5, 0
	v_mov_b32_e32 v1, 0xff
	s_mov_b32 s6, exec_lo
	buffer_store_dword v4, off, s[0:3], s32 offset:752 ; 4-byte Folded Spill
	buffer_store_dword v5, off, s[0:3], s32 offset:756 ; 4-byte Folded Spill
	v_mov_b32_e32 v4, 0
	v_and_b32_sdwa v1, v0, v1 dst_sel:DWORD dst_unused:UNUSED_PAD src0_sel:WORD_1 src1_sel:DWORD
	v_mov_b32_e32 v5, 0
	buffer_store_dword v4, off, s[0:3], s32 offset:760 ; 4-byte Folded Spill
	buffer_store_dword v5, off, s[0:3], s32 offset:764 ; 4-byte Folded Spill
	v_cmpx_ne_u16_e32 0, v1
	s_cbranch_execz .LBB257_579
; %bb.572:                              ;   in Loop: Header=BB257_11 Depth=1
	v_bfrev_b32_e32 v4, 1
	v_mov_b32_e32 v5, 0
	s_mov_b32 s7, exec_lo
	buffer_store_dword v4, off, s[0:3], s32 offset:760 ; 4-byte Folded Spill
	buffer_store_dword v5, off, s[0:3], s32 offset:764 ; 4-byte Folded Spill
	v_cmpx_ne_u16_e32 0x80, v1
	s_cbranch_execz .LBB257_578
; %bb.573:                              ;   in Loop: Header=BB257_11 Depth=1
	v_mov_b32_e32 v5, 0x7f800001
	v_bfe_u32 v4, v0, 16, 7
	v_mov_b32_e32 v6, 0
	s_mov_b32 s19, exec_lo
	buffer_store_dword v5, off, s[0:3], s32 offset:760 ; 4-byte Folded Spill
	buffer_store_dword v6, off, s[0:3], s32 offset:764 ; 4-byte Folded Spill
	v_cmpx_ne_u32_e32 0x7f, v4
	s_cbranch_execz .LBB257_577
; %bb.574:                              ;   in Loop: Header=BB257_11 Depth=1
	v_mov_b32_e32 v1, 7
	s_mov_b32 s22, exec_lo
	v_and_b32_sdwa v56, v0, v1 dst_sel:DWORD dst_unused:UNUSED_PAD src0_sel:WORD_1 src1_sel:DWORD
	v_lshrrev_b32_e32 v1, 3, v4
	v_cmpx_gt_u32_e32 8, v4
; %bb.575:                              ;   in Loop: Header=BB257_11 Depth=1
	v_ffbh_u32_e32 v1, v56
	v_min_u32_e32 v1, 32, v1
	v_subrev_nc_u32_e32 v4, 28, v1
	v_sub_nc_u32_e32 v1, 29, v1
	v_lshlrev_b64 v[4:5], v4, v[56:57]
	v_and_b32_e32 v56, 7, v4
; %bb.576:                              ;   in Loop: Header=BB257_11 Depth=1
	s_or_b32 exec_lo, exec_lo, s22
	v_mov_b32_e32 v4, 24
	v_lshlrev_b32_e32 v5, 20, v56
	v_lshl_add_u32 v1, v1, 23, 0x3c000000
	v_lshlrev_b32_sdwa v4, v4, v0 dst_sel:DWORD dst_unused:UNUSED_PAD src0_sel:DWORD src1_sel:WORD_1
	v_and_b32_e32 v4, 0x80000000, v4
	v_or3_b32 v56, v5, v4, v1
	buffer_store_dword v56, off, s[0:3], s32 offset:760 ; 4-byte Folded Spill
	buffer_store_dword v57, off, s[0:3], s32 offset:764 ; 4-byte Folded Spill
.LBB257_577:                            ;   in Loop: Header=BB257_11 Depth=1
	s_or_b32 exec_lo, exec_lo, s19
.LBB257_578:                            ;   in Loop: Header=BB257_11 Depth=1
	s_or_b32 exec_lo, exec_lo, s7
.LBB257_579:                            ;   in Loop: Header=BB257_11 Depth=1
	s_or_b32 exec_lo, exec_lo, s6
	s_mov_b32 s6, exec_lo
	v_cmpx_lt_u32_e32 0xffffff, v0
	s_cbranch_execz .LBB257_587
; %bb.580:                              ;   in Loop: Header=BB257_11 Depth=1
	v_mov_b32_e32 v1, 0x80
	v_mov_b32_e32 v90, v57
	buffer_store_dword v90, off, s[0:3], s32 offset:752 ; 4-byte Folded Spill
	buffer_store_dword v91, off, s[0:3], s32 offset:756 ; 4-byte Folded Spill
	v_cmp_ne_u32_sdwa s5, v0, v1 src0_sel:BYTE_3 src1_sel:DWORD
	s_and_saveexec_b32 s7, s5
	s_cbranch_execz .LBB257_586
; %bb.581:                              ;   in Loop: Header=BB257_11 Depth=1
	v_bfe_u32 v4, v0, 24, 7
	v_mov_b32_e32 v120, v57
	s_mov_b32 s19, exec_lo
	buffer_store_dword v120, off, s[0:3], s32 offset:752 ; 4-byte Folded Spill
	buffer_store_dword v121, off, s[0:3], s32 offset:756 ; 4-byte Folded Spill
	v_cmpx_ne_u32_e32 0x7f, v4
	s_cbranch_execz .LBB257_585
; %bb.582:                              ;   in Loop: Header=BB257_11 Depth=1
	v_mov_b32_e32 v1, 7
	s_mov_b32 s22, exec_lo
	v_and_b32_sdwa v56, v0, v1 dst_sel:DWORD dst_unused:UNUSED_PAD src0_sel:BYTE_3 src1_sel:DWORD
	v_lshrrev_b32_e32 v1, 3, v4
	v_cmpx_gt_u32_e32 8, v4
; %bb.583:                              ;   in Loop: Header=BB257_11 Depth=1
	v_ffbh_u32_e32 v1, v56
	v_min_u32_e32 v1, 32, v1
	v_subrev_nc_u32_e32 v4, 28, v1
	v_sub_nc_u32_e32 v1, 29, v1
	v_lshlrev_b64 v[4:5], v4, v[56:57]
	v_and_b32_e32 v56, 7, v4
; %bb.584:                              ;   in Loop: Header=BB257_11 Depth=1
	s_or_b32 exec_lo, exec_lo, s22
	v_mov_b32_e32 v4, 24
	v_lshl_add_u32 v1, v1, 23, 0x3c000000
	v_lshlrev_b32_sdwa v0, v4, v0 dst_sel:DWORD dst_unused:UNUSED_PAD src0_sel:DWORD src1_sel:BYTE_3
	v_lshlrev_b32_e32 v4, 20, v56
	v_and_b32_e32 v0, 0x80000000, v0
	v_or3_b32 v1, v4, v0, v1
	v_mov_b32_e32 v0, v57
	buffer_store_dword v0, off, s[0:3], s32 offset:752 ; 4-byte Folded Spill
	buffer_store_dword v1, off, s[0:3], s32 offset:756 ; 4-byte Folded Spill
.LBB257_585:                            ;   in Loop: Header=BB257_11 Depth=1
	s_or_b32 exec_lo, exec_lo, s19
.LBB257_586:                            ;   in Loop: Header=BB257_11 Depth=1
	s_or_b32 exec_lo, exec_lo, s7
.LBB257_587:                            ;   in Loop: Header=BB257_11 Depth=1
	s_or_b32 exec_lo, exec_lo, s6
	flat_load_dword v0, v[2:3] offset:8
	v_mov_b32_e32 v4, 0
	v_mov_b32_e32 v5, 0
	buffer_store_dword v4, off, s[0:3], s32 offset:776 ; 4-byte Folded Spill
	buffer_store_dword v5, off, s[0:3], s32 offset:780 ; 4-byte Folded Spill
	v_mov_b32_e32 v4, 0
	v_mov_b32_e32 v5, 0
	buffer_store_dword v4, off, s[0:3], s32 offset:768 ; 4-byte Folded Spill
	buffer_store_dword v5, off, s[0:3], s32 offset:772 ; 4-byte Folded Spill
	s_waitcnt vmcnt(0) lgkmcnt(0)
	v_cmp_ne_u16_sdwa s5, v0, v57 src0_sel:BYTE_0 src1_sel:DWORD
	s_and_saveexec_b32 s6, s5
	s_cbranch_execz .LBB257_595
; %bb.588:                              ;   in Loop: Header=BB257_11 Depth=1
	v_mov_b32_e32 v1, 0x80
	v_bfrev_b32_e32 v4, 1
	v_mov_b32_e32 v5, 0
	buffer_store_dword v4, off, s[0:3], s32 offset:768 ; 4-byte Folded Spill
	buffer_store_dword v5, off, s[0:3], s32 offset:772 ; 4-byte Folded Spill
	v_cmp_ne_u16_sdwa s5, v0, v1 src0_sel:BYTE_0 src1_sel:DWORD
	s_and_saveexec_b32 s7, s5
	s_cbranch_execz .LBB257_594
; %bb.589:                              ;   in Loop: Header=BB257_11 Depth=1
	v_mov_b32_e32 v5, 0x7f800001
	v_and_b32_e32 v4, 0x7f, v0
	v_mov_b32_e32 v6, 0
	s_mov_b32 s19, exec_lo
	buffer_store_dword v5, off, s[0:3], s32 offset:768 ; 4-byte Folded Spill
	buffer_store_dword v6, off, s[0:3], s32 offset:772 ; 4-byte Folded Spill
	v_cmpx_ne_u32_e32 0x7f, v4
	s_cbranch_execz .LBB257_593
; %bb.590:                              ;   in Loop: Header=BB257_11 Depth=1
	v_and_b32_e32 v56, 7, v0
	v_lshrrev_b32_e32 v1, 3, v4
	s_mov_b32 s22, exec_lo
	v_cmpx_gt_u32_e32 8, v4
; %bb.591:                              ;   in Loop: Header=BB257_11 Depth=1
	v_ffbh_u32_e32 v1, v56
	v_min_u32_e32 v1, 32, v1
	v_subrev_nc_u32_e32 v4, 28, v1
	v_sub_nc_u32_e32 v1, 29, v1
	v_lshlrev_b64 v[4:5], v4, v[56:57]
	v_and_b32_e32 v56, 7, v4
; %bb.592:                              ;   in Loop: Header=BB257_11 Depth=1
	s_or_b32 exec_lo, exec_lo, s22
	v_lshlrev_b32_e32 v4, 24, v0
	v_lshlrev_b32_e32 v5, 20, v56
	v_lshl_add_u32 v1, v1, 23, 0x3c000000
	v_and_b32_e32 v4, 0x80000000, v4
	v_or3_b32 v56, v5, v4, v1
	buffer_store_dword v56, off, s[0:3], s32 offset:768 ; 4-byte Folded Spill
	buffer_store_dword v57, off, s[0:3], s32 offset:772 ; 4-byte Folded Spill
.LBB257_593:                            ;   in Loop: Header=BB257_11 Depth=1
	s_or_b32 exec_lo, exec_lo, s19
.LBB257_594:                            ;   in Loop: Header=BB257_11 Depth=1
	s_or_b32 exec_lo, exec_lo, s7
.LBB257_595:                            ;   in Loop: Header=BB257_11 Depth=1
	s_or_b32 exec_lo, exec_lo, s6
	v_cmp_ne_u16_sdwa s5, v0, v57 src0_sel:BYTE_1 src1_sel:DWORD
	s_and_saveexec_b32 s6, s5
	s_cbranch_execz .LBB257_603
; %bb.596:                              ;   in Loop: Header=BB257_11 Depth=1
	v_mov_b32_e32 v1, 0x80
	v_mov_b32_e32 v90, v57
	buffer_store_dword v90, off, s[0:3], s32 offset:776 ; 4-byte Folded Spill
	buffer_store_dword v91, off, s[0:3], s32 offset:780 ; 4-byte Folded Spill
	v_cmp_ne_u16_sdwa s5, v0, v1 src0_sel:BYTE_1 src1_sel:DWORD
	s_and_saveexec_b32 s7, s5
	s_cbranch_execz .LBB257_602
; %bb.597:                              ;   in Loop: Header=BB257_11 Depth=1
	v_mov_b32_e32 v1, 0xffff
	v_mov_b32_e32 v120, v57
	s_mov_b32 s19, exec_lo
	buffer_store_dword v120, off, s[0:3], s32 offset:776 ; 4-byte Folded Spill
	buffer_store_dword v121, off, s[0:3], s32 offset:780 ; 4-byte Folded Spill
	v_and_b32_sdwa v1, v1, v0 dst_sel:DWORD dst_unused:UNUSED_PAD src0_sel:DWORD src1_sel:BYTE_1
	v_and_b32_e32 v4, 0x7f, v1
	v_cmpx_ne_u32_e32 0x7f, v4
	s_cbranch_execz .LBB257_601
; %bb.598:                              ;   in Loop: Header=BB257_11 Depth=1
	v_and_b32_e32 v56, 7, v1
	v_lshrrev_b32_e32 v1, 3, v4
	s_mov_b32 s22, exec_lo
	v_cmpx_gt_u32_e32 8, v4
; %bb.599:                              ;   in Loop: Header=BB257_11 Depth=1
	v_ffbh_u32_e32 v1, v56
	v_min_u32_e32 v1, 32, v1
	v_subrev_nc_u32_e32 v4, 28, v1
	v_sub_nc_u32_e32 v1, 29, v1
	v_lshlrev_b64 v[4:5], v4, v[56:57]
	v_and_b32_e32 v56, 7, v4
; %bb.600:                              ;   in Loop: Header=BB257_11 Depth=1
	s_or_b32 exec_lo, exec_lo, s22
	v_lshlrev_b32_e32 v4, 16, v0
	v_lshlrev_b32_e32 v5, 20, v56
	v_lshl_add_u32 v1, v1, 23, 0x3c000000
	v_and_b32_e32 v4, 0x80000000, v4
	v_or3_b32 v5, v5, v4, v1
	v_mov_b32_e32 v4, v57
	buffer_store_dword v4, off, s[0:3], s32 offset:776 ; 4-byte Folded Spill
	buffer_store_dword v5, off, s[0:3], s32 offset:780 ; 4-byte Folded Spill
.LBB257_601:                            ;   in Loop: Header=BB257_11 Depth=1
	s_or_b32 exec_lo, exec_lo, s19
.LBB257_602:                            ;   in Loop: Header=BB257_11 Depth=1
	s_or_b32 exec_lo, exec_lo, s7
.LBB257_603:                            ;   in Loop: Header=BB257_11 Depth=1
	s_or_b32 exec_lo, exec_lo, s6
	v_mov_b32_e32 v4, 0
	v_mov_b32_e32 v5, 0
	;; [unrolled: 1-line block ×3, first 2 shown]
	s_mov_b32 s6, exec_lo
	buffer_store_dword v4, off, s[0:3], s32 offset:784 ; 4-byte Folded Spill
	buffer_store_dword v5, off, s[0:3], s32 offset:788 ; 4-byte Folded Spill
	v_mov_b32_e32 v4, 0
	v_and_b32_sdwa v1, v0, v1 dst_sel:DWORD dst_unused:UNUSED_PAD src0_sel:WORD_1 src1_sel:DWORD
	v_mov_b32_e32 v5, 0
	buffer_store_dword v4, off, s[0:3], s32 offset:792 ; 4-byte Folded Spill
	buffer_store_dword v5, off, s[0:3], s32 offset:796 ; 4-byte Folded Spill
	v_cmpx_ne_u16_e32 0, v1
	s_cbranch_execz .LBB257_611
; %bb.604:                              ;   in Loop: Header=BB257_11 Depth=1
	v_bfrev_b32_e32 v4, 1
	v_mov_b32_e32 v5, 0
	s_mov_b32 s7, exec_lo
	buffer_store_dword v4, off, s[0:3], s32 offset:792 ; 4-byte Folded Spill
	buffer_store_dword v5, off, s[0:3], s32 offset:796 ; 4-byte Folded Spill
	v_cmpx_ne_u16_e32 0x80, v1
	s_cbranch_execz .LBB257_610
; %bb.605:                              ;   in Loop: Header=BB257_11 Depth=1
	v_mov_b32_e32 v5, 0x7f800001
	v_bfe_u32 v4, v0, 16, 7
	v_mov_b32_e32 v6, 0
	s_mov_b32 s19, exec_lo
	buffer_store_dword v5, off, s[0:3], s32 offset:792 ; 4-byte Folded Spill
	buffer_store_dword v6, off, s[0:3], s32 offset:796 ; 4-byte Folded Spill
	v_cmpx_ne_u32_e32 0x7f, v4
	s_cbranch_execz .LBB257_609
; %bb.606:                              ;   in Loop: Header=BB257_11 Depth=1
	v_mov_b32_e32 v1, 7
	s_mov_b32 s22, exec_lo
	v_and_b32_sdwa v56, v0, v1 dst_sel:DWORD dst_unused:UNUSED_PAD src0_sel:WORD_1 src1_sel:DWORD
	v_lshrrev_b32_e32 v1, 3, v4
	v_cmpx_gt_u32_e32 8, v4
; %bb.607:                              ;   in Loop: Header=BB257_11 Depth=1
	v_ffbh_u32_e32 v1, v56
	v_min_u32_e32 v1, 32, v1
	v_subrev_nc_u32_e32 v4, 28, v1
	v_sub_nc_u32_e32 v1, 29, v1
	v_lshlrev_b64 v[4:5], v4, v[56:57]
	v_and_b32_e32 v56, 7, v4
; %bb.608:                              ;   in Loop: Header=BB257_11 Depth=1
	s_or_b32 exec_lo, exec_lo, s22
	v_mov_b32_e32 v4, 24
	v_lshlrev_b32_e32 v5, 20, v56
	v_lshl_add_u32 v1, v1, 23, 0x3c000000
	v_lshlrev_b32_sdwa v4, v4, v0 dst_sel:DWORD dst_unused:UNUSED_PAD src0_sel:DWORD src1_sel:WORD_1
	v_and_b32_e32 v4, 0x80000000, v4
	v_or3_b32 v56, v5, v4, v1
	buffer_store_dword v56, off, s[0:3], s32 offset:792 ; 4-byte Folded Spill
	buffer_store_dword v57, off, s[0:3], s32 offset:796 ; 4-byte Folded Spill
.LBB257_609:                            ;   in Loop: Header=BB257_11 Depth=1
	s_or_b32 exec_lo, exec_lo, s19
.LBB257_610:                            ;   in Loop: Header=BB257_11 Depth=1
	s_or_b32 exec_lo, exec_lo, s7
.LBB257_611:                            ;   in Loop: Header=BB257_11 Depth=1
	s_or_b32 exec_lo, exec_lo, s6
	s_mov_b32 s6, exec_lo
	v_cmpx_lt_u32_e32 0xffffff, v0
	s_cbranch_execz .LBB257_619
; %bb.612:                              ;   in Loop: Header=BB257_11 Depth=1
	v_mov_b32_e32 v1, 0x80
	v_mov_b32_e32 v90, v57
	buffer_store_dword v90, off, s[0:3], s32 offset:784 ; 4-byte Folded Spill
	buffer_store_dword v91, off, s[0:3], s32 offset:788 ; 4-byte Folded Spill
	v_cmp_ne_u32_sdwa s5, v0, v1 src0_sel:BYTE_3 src1_sel:DWORD
	s_and_saveexec_b32 s7, s5
	s_cbranch_execz .LBB257_618
; %bb.613:                              ;   in Loop: Header=BB257_11 Depth=1
	v_bfe_u32 v4, v0, 24, 7
	v_mov_b32_e32 v120, v57
	s_mov_b32 s19, exec_lo
	buffer_store_dword v120, off, s[0:3], s32 offset:784 ; 4-byte Folded Spill
	buffer_store_dword v121, off, s[0:3], s32 offset:788 ; 4-byte Folded Spill
	v_cmpx_ne_u32_e32 0x7f, v4
	s_cbranch_execz .LBB257_617
; %bb.614:                              ;   in Loop: Header=BB257_11 Depth=1
	v_mov_b32_e32 v1, 7
	s_mov_b32 s22, exec_lo
	v_and_b32_sdwa v56, v0, v1 dst_sel:DWORD dst_unused:UNUSED_PAD src0_sel:BYTE_3 src1_sel:DWORD
	v_lshrrev_b32_e32 v1, 3, v4
	v_cmpx_gt_u32_e32 8, v4
; %bb.615:                              ;   in Loop: Header=BB257_11 Depth=1
	v_ffbh_u32_e32 v1, v56
	v_min_u32_e32 v1, 32, v1
	v_subrev_nc_u32_e32 v4, 28, v1
	v_sub_nc_u32_e32 v1, 29, v1
	v_lshlrev_b64 v[4:5], v4, v[56:57]
	v_and_b32_e32 v56, 7, v4
; %bb.616:                              ;   in Loop: Header=BB257_11 Depth=1
	s_or_b32 exec_lo, exec_lo, s22
	v_mov_b32_e32 v4, 24
	v_lshl_add_u32 v1, v1, 23, 0x3c000000
	v_lshlrev_b32_sdwa v0, v4, v0 dst_sel:DWORD dst_unused:UNUSED_PAD src0_sel:DWORD src1_sel:BYTE_3
	v_lshlrev_b32_e32 v4, 20, v56
	v_and_b32_e32 v0, 0x80000000, v0
	v_or3_b32 v1, v4, v0, v1
	v_mov_b32_e32 v0, v57
	buffer_store_dword v0, off, s[0:3], s32 offset:784 ; 4-byte Folded Spill
	buffer_store_dword v1, off, s[0:3], s32 offset:788 ; 4-byte Folded Spill
.LBB257_617:                            ;   in Loop: Header=BB257_11 Depth=1
	s_or_b32 exec_lo, exec_lo, s19
.LBB257_618:                            ;   in Loop: Header=BB257_11 Depth=1
	s_or_b32 exec_lo, exec_lo, s7
.LBB257_619:                            ;   in Loop: Header=BB257_11 Depth=1
	s_or_b32 exec_lo, exec_lo, s6
	flat_load_dword v0, v[2:3] offset:12
	v_mov_b32_e32 v4, 0
	v_mov_b32_e32 v5, 0
	buffer_store_dword v4, off, s[0:3], s32 offset:808 ; 4-byte Folded Spill
	buffer_store_dword v5, off, s[0:3], s32 offset:812 ; 4-byte Folded Spill
	v_mov_b32_e32 v4, 0
	v_mov_b32_e32 v5, 0
	buffer_store_dword v4, off, s[0:3], s32 offset:800 ; 4-byte Folded Spill
	buffer_store_dword v5, off, s[0:3], s32 offset:804 ; 4-byte Folded Spill
	s_waitcnt vmcnt(0) lgkmcnt(0)
	v_cmp_ne_u16_sdwa s5, v0, v57 src0_sel:BYTE_0 src1_sel:DWORD
	s_and_saveexec_b32 s6, s5
	s_cbranch_execz .LBB257_627
; %bb.620:                              ;   in Loop: Header=BB257_11 Depth=1
	v_mov_b32_e32 v1, 0x80
	v_bfrev_b32_e32 v4, 1
	v_mov_b32_e32 v5, 0
	buffer_store_dword v4, off, s[0:3], s32 offset:800 ; 4-byte Folded Spill
	buffer_store_dword v5, off, s[0:3], s32 offset:804 ; 4-byte Folded Spill
	v_cmp_ne_u16_sdwa s5, v0, v1 src0_sel:BYTE_0 src1_sel:DWORD
	s_and_saveexec_b32 s7, s5
	s_cbranch_execz .LBB257_626
; %bb.621:                              ;   in Loop: Header=BB257_11 Depth=1
	v_mov_b32_e32 v5, 0x7f800001
	v_and_b32_e32 v4, 0x7f, v0
	v_mov_b32_e32 v6, 0
	s_mov_b32 s19, exec_lo
	buffer_store_dword v5, off, s[0:3], s32 offset:800 ; 4-byte Folded Spill
	buffer_store_dword v6, off, s[0:3], s32 offset:804 ; 4-byte Folded Spill
	v_cmpx_ne_u32_e32 0x7f, v4
	s_cbranch_execz .LBB257_625
; %bb.622:                              ;   in Loop: Header=BB257_11 Depth=1
	v_and_b32_e32 v56, 7, v0
	v_lshrrev_b32_e32 v1, 3, v4
	s_mov_b32 s22, exec_lo
	v_cmpx_gt_u32_e32 8, v4
; %bb.623:                              ;   in Loop: Header=BB257_11 Depth=1
	v_ffbh_u32_e32 v1, v56
	v_min_u32_e32 v1, 32, v1
	v_subrev_nc_u32_e32 v4, 28, v1
	v_sub_nc_u32_e32 v1, 29, v1
	v_lshlrev_b64 v[4:5], v4, v[56:57]
	v_and_b32_e32 v56, 7, v4
; %bb.624:                              ;   in Loop: Header=BB257_11 Depth=1
	s_or_b32 exec_lo, exec_lo, s22
	v_lshlrev_b32_e32 v4, 24, v0
	v_lshlrev_b32_e32 v5, 20, v56
	v_lshl_add_u32 v1, v1, 23, 0x3c000000
	v_and_b32_e32 v4, 0x80000000, v4
	v_or3_b32 v56, v5, v4, v1
	buffer_store_dword v56, off, s[0:3], s32 offset:800 ; 4-byte Folded Spill
	buffer_store_dword v57, off, s[0:3], s32 offset:804 ; 4-byte Folded Spill
.LBB257_625:                            ;   in Loop: Header=BB257_11 Depth=1
	s_or_b32 exec_lo, exec_lo, s19
.LBB257_626:                            ;   in Loop: Header=BB257_11 Depth=1
	s_or_b32 exec_lo, exec_lo, s7
.LBB257_627:                            ;   in Loop: Header=BB257_11 Depth=1
	s_or_b32 exec_lo, exec_lo, s6
	v_cmp_ne_u16_sdwa s5, v0, v57 src0_sel:BYTE_1 src1_sel:DWORD
	s_and_saveexec_b32 s6, s5
	s_cbranch_execz .LBB257_635
; %bb.628:                              ;   in Loop: Header=BB257_11 Depth=1
	v_mov_b32_e32 v1, 0x80
	v_mov_b32_e32 v90, v57
	buffer_store_dword v90, off, s[0:3], s32 offset:808 ; 4-byte Folded Spill
	buffer_store_dword v91, off, s[0:3], s32 offset:812 ; 4-byte Folded Spill
	v_cmp_ne_u16_sdwa s5, v0, v1 src0_sel:BYTE_1 src1_sel:DWORD
	s_and_saveexec_b32 s7, s5
	s_cbranch_execz .LBB257_634
; %bb.629:                              ;   in Loop: Header=BB257_11 Depth=1
	v_mov_b32_e32 v1, 0xffff
	v_mov_b32_e32 v120, v57
	s_mov_b32 s19, exec_lo
	buffer_store_dword v120, off, s[0:3], s32 offset:808 ; 4-byte Folded Spill
	buffer_store_dword v121, off, s[0:3], s32 offset:812 ; 4-byte Folded Spill
	v_and_b32_sdwa v1, v1, v0 dst_sel:DWORD dst_unused:UNUSED_PAD src0_sel:DWORD src1_sel:BYTE_1
	v_and_b32_e32 v4, 0x7f, v1
	v_cmpx_ne_u32_e32 0x7f, v4
	s_cbranch_execz .LBB257_633
; %bb.630:                              ;   in Loop: Header=BB257_11 Depth=1
	v_and_b32_e32 v56, 7, v1
	v_lshrrev_b32_e32 v1, 3, v4
	s_mov_b32 s22, exec_lo
	v_cmpx_gt_u32_e32 8, v4
; %bb.631:                              ;   in Loop: Header=BB257_11 Depth=1
	v_ffbh_u32_e32 v1, v56
	v_min_u32_e32 v1, 32, v1
	v_subrev_nc_u32_e32 v4, 28, v1
	v_sub_nc_u32_e32 v1, 29, v1
	v_lshlrev_b64 v[4:5], v4, v[56:57]
	v_and_b32_e32 v56, 7, v4
; %bb.632:                              ;   in Loop: Header=BB257_11 Depth=1
	s_or_b32 exec_lo, exec_lo, s22
	v_lshlrev_b32_e32 v4, 16, v0
	v_lshlrev_b32_e32 v5, 20, v56
	v_lshl_add_u32 v1, v1, 23, 0x3c000000
	v_and_b32_e32 v4, 0x80000000, v4
	v_or3_b32 v5, v5, v4, v1
	v_mov_b32_e32 v4, v57
	buffer_store_dword v4, off, s[0:3], s32 offset:808 ; 4-byte Folded Spill
	buffer_store_dword v5, off, s[0:3], s32 offset:812 ; 4-byte Folded Spill
.LBB257_633:                            ;   in Loop: Header=BB257_11 Depth=1
	s_or_b32 exec_lo, exec_lo, s19
.LBB257_634:                            ;   in Loop: Header=BB257_11 Depth=1
	s_or_b32 exec_lo, exec_lo, s7
.LBB257_635:                            ;   in Loop: Header=BB257_11 Depth=1
	s_or_b32 exec_lo, exec_lo, s6
	v_mov_b32_e32 v4, 0
	v_mov_b32_e32 v5, 0
	;; [unrolled: 1-line block ×3, first 2 shown]
	s_mov_b32 s6, exec_lo
	buffer_store_dword v4, off, s[0:3], s32 offset:816 ; 4-byte Folded Spill
	buffer_store_dword v5, off, s[0:3], s32 offset:820 ; 4-byte Folded Spill
	v_mov_b32_e32 v4, 0
	v_and_b32_sdwa v1, v0, v1 dst_sel:DWORD dst_unused:UNUSED_PAD src0_sel:WORD_1 src1_sel:DWORD
	v_mov_b32_e32 v5, 0
	buffer_store_dword v4, off, s[0:3], s32 offset:824 ; 4-byte Folded Spill
	buffer_store_dword v5, off, s[0:3], s32 offset:828 ; 4-byte Folded Spill
	v_cmpx_ne_u16_e32 0, v1
	s_cbranch_execz .LBB257_643
; %bb.636:                              ;   in Loop: Header=BB257_11 Depth=1
	v_bfrev_b32_e32 v4, 1
	v_mov_b32_e32 v5, 0
	s_mov_b32 s7, exec_lo
	buffer_store_dword v4, off, s[0:3], s32 offset:824 ; 4-byte Folded Spill
	buffer_store_dword v5, off, s[0:3], s32 offset:828 ; 4-byte Folded Spill
	v_cmpx_ne_u16_e32 0x80, v1
	s_cbranch_execz .LBB257_642
; %bb.637:                              ;   in Loop: Header=BB257_11 Depth=1
	v_mov_b32_e32 v5, 0x7f800001
	v_bfe_u32 v4, v0, 16, 7
	v_mov_b32_e32 v6, 0
	s_mov_b32 s19, exec_lo
	buffer_store_dword v5, off, s[0:3], s32 offset:824 ; 4-byte Folded Spill
	buffer_store_dword v6, off, s[0:3], s32 offset:828 ; 4-byte Folded Spill
	v_cmpx_ne_u32_e32 0x7f, v4
	s_cbranch_execz .LBB257_641
; %bb.638:                              ;   in Loop: Header=BB257_11 Depth=1
	v_mov_b32_e32 v1, 7
	s_mov_b32 s22, exec_lo
	v_and_b32_sdwa v56, v0, v1 dst_sel:DWORD dst_unused:UNUSED_PAD src0_sel:WORD_1 src1_sel:DWORD
	v_lshrrev_b32_e32 v1, 3, v4
	v_cmpx_gt_u32_e32 8, v4
; %bb.639:                              ;   in Loop: Header=BB257_11 Depth=1
	v_ffbh_u32_e32 v1, v56
	v_min_u32_e32 v1, 32, v1
	v_subrev_nc_u32_e32 v4, 28, v1
	v_sub_nc_u32_e32 v1, 29, v1
	v_lshlrev_b64 v[4:5], v4, v[56:57]
	v_and_b32_e32 v56, 7, v4
; %bb.640:                              ;   in Loop: Header=BB257_11 Depth=1
	s_or_b32 exec_lo, exec_lo, s22
	v_mov_b32_e32 v4, 24
	v_lshlrev_b32_e32 v5, 20, v56
	v_lshl_add_u32 v1, v1, 23, 0x3c000000
	v_lshlrev_b32_sdwa v4, v4, v0 dst_sel:DWORD dst_unused:UNUSED_PAD src0_sel:DWORD src1_sel:WORD_1
	v_and_b32_e32 v4, 0x80000000, v4
	v_or3_b32 v56, v5, v4, v1
	buffer_store_dword v56, off, s[0:3], s32 offset:824 ; 4-byte Folded Spill
	buffer_store_dword v57, off, s[0:3], s32 offset:828 ; 4-byte Folded Spill
.LBB257_641:                            ;   in Loop: Header=BB257_11 Depth=1
	s_or_b32 exec_lo, exec_lo, s19
.LBB257_642:                            ;   in Loop: Header=BB257_11 Depth=1
	s_or_b32 exec_lo, exec_lo, s7
.LBB257_643:                            ;   in Loop: Header=BB257_11 Depth=1
	s_or_b32 exec_lo, exec_lo, s6
	s_mov_b32 s6, exec_lo
	v_cmpx_lt_u32_e32 0xffffff, v0
	s_cbranch_execz .LBB257_651
; %bb.644:                              ;   in Loop: Header=BB257_11 Depth=1
	v_mov_b32_e32 v1, 0x80
	v_mov_b32_e32 v90, v57
	buffer_store_dword v90, off, s[0:3], s32 offset:816 ; 4-byte Folded Spill
	buffer_store_dword v91, off, s[0:3], s32 offset:820 ; 4-byte Folded Spill
	v_cmp_ne_u32_sdwa s5, v0, v1 src0_sel:BYTE_3 src1_sel:DWORD
	s_and_saveexec_b32 s7, s5
	s_cbranch_execz .LBB257_650
; %bb.645:                              ;   in Loop: Header=BB257_11 Depth=1
	v_bfe_u32 v4, v0, 24, 7
	v_mov_b32_e32 v120, v57
	s_mov_b32 s19, exec_lo
	buffer_store_dword v120, off, s[0:3], s32 offset:816 ; 4-byte Folded Spill
	buffer_store_dword v121, off, s[0:3], s32 offset:820 ; 4-byte Folded Spill
	v_cmpx_ne_u32_e32 0x7f, v4
	s_cbranch_execz .LBB257_649
; %bb.646:                              ;   in Loop: Header=BB257_11 Depth=1
	v_mov_b32_e32 v1, 7
	s_mov_b32 s22, exec_lo
	v_and_b32_sdwa v56, v0, v1 dst_sel:DWORD dst_unused:UNUSED_PAD src0_sel:BYTE_3 src1_sel:DWORD
	v_lshrrev_b32_e32 v1, 3, v4
	v_cmpx_gt_u32_e32 8, v4
; %bb.647:                              ;   in Loop: Header=BB257_11 Depth=1
	v_ffbh_u32_e32 v1, v56
	v_min_u32_e32 v1, 32, v1
	v_subrev_nc_u32_e32 v4, 28, v1
	v_sub_nc_u32_e32 v1, 29, v1
	v_lshlrev_b64 v[4:5], v4, v[56:57]
	v_and_b32_e32 v56, 7, v4
; %bb.648:                              ;   in Loop: Header=BB257_11 Depth=1
	s_or_b32 exec_lo, exec_lo, s22
	v_mov_b32_e32 v4, 24
	v_lshl_add_u32 v1, v1, 23, 0x3c000000
	v_lshlrev_b32_sdwa v0, v4, v0 dst_sel:DWORD dst_unused:UNUSED_PAD src0_sel:DWORD src1_sel:BYTE_3
	v_lshlrev_b32_e32 v4, 20, v56
	v_and_b32_e32 v0, 0x80000000, v0
	v_or3_b32 v1, v4, v0, v1
	v_mov_b32_e32 v0, v57
	buffer_store_dword v0, off, s[0:3], s32 offset:816 ; 4-byte Folded Spill
	buffer_store_dword v1, off, s[0:3], s32 offset:820 ; 4-byte Folded Spill
.LBB257_649:                            ;   in Loop: Header=BB257_11 Depth=1
	s_or_b32 exec_lo, exec_lo, s19
.LBB257_650:                            ;   in Loop: Header=BB257_11 Depth=1
	s_or_b32 exec_lo, exec_lo, s7
.LBB257_651:                            ;   in Loop: Header=BB257_11 Depth=1
	s_or_b32 exec_lo, exec_lo, s6
	flat_load_dword v0, v[2:3] offset:512
	v_mov_b32_e32 v4, 0
	v_mov_b32_e32 v5, 0
	buffer_store_dword v4, off, s[0:3], s32 offset:840 ; 4-byte Folded Spill
	buffer_store_dword v5, off, s[0:3], s32 offset:844 ; 4-byte Folded Spill
	v_mov_b32_e32 v4, 0
	v_mov_b32_e32 v5, 0
	buffer_store_dword v4, off, s[0:3], s32 offset:832 ; 4-byte Folded Spill
	buffer_store_dword v5, off, s[0:3], s32 offset:836 ; 4-byte Folded Spill
	s_waitcnt vmcnt(0) lgkmcnt(0)
	v_cmp_ne_u16_sdwa s5, v0, v57 src0_sel:BYTE_0 src1_sel:DWORD
	s_and_saveexec_b32 s6, s5
	s_cbranch_execz .LBB257_659
; %bb.652:                              ;   in Loop: Header=BB257_11 Depth=1
	v_mov_b32_e32 v1, 0x80
	v_bfrev_b32_e32 v4, 1
	v_mov_b32_e32 v5, 0
	buffer_store_dword v4, off, s[0:3], s32 offset:832 ; 4-byte Folded Spill
	buffer_store_dword v5, off, s[0:3], s32 offset:836 ; 4-byte Folded Spill
	v_cmp_ne_u16_sdwa s5, v0, v1 src0_sel:BYTE_0 src1_sel:DWORD
	s_and_saveexec_b32 s7, s5
	s_cbranch_execz .LBB257_658
; %bb.653:                              ;   in Loop: Header=BB257_11 Depth=1
	v_mov_b32_e32 v5, 0x7f800001
	v_and_b32_e32 v4, 0x7f, v0
	v_mov_b32_e32 v6, 0
	s_mov_b32 s19, exec_lo
	buffer_store_dword v5, off, s[0:3], s32 offset:832 ; 4-byte Folded Spill
	buffer_store_dword v6, off, s[0:3], s32 offset:836 ; 4-byte Folded Spill
	v_cmpx_ne_u32_e32 0x7f, v4
	s_cbranch_execz .LBB257_657
; %bb.654:                              ;   in Loop: Header=BB257_11 Depth=1
	v_and_b32_e32 v56, 7, v0
	v_lshrrev_b32_e32 v1, 3, v4
	s_mov_b32 s22, exec_lo
	v_cmpx_gt_u32_e32 8, v4
; %bb.655:                              ;   in Loop: Header=BB257_11 Depth=1
	v_ffbh_u32_e32 v1, v56
	v_min_u32_e32 v1, 32, v1
	v_subrev_nc_u32_e32 v4, 28, v1
	v_sub_nc_u32_e32 v1, 29, v1
	v_lshlrev_b64 v[4:5], v4, v[56:57]
	v_and_b32_e32 v56, 7, v4
; %bb.656:                              ;   in Loop: Header=BB257_11 Depth=1
	s_or_b32 exec_lo, exec_lo, s22
	v_lshlrev_b32_e32 v4, 24, v0
	v_lshlrev_b32_e32 v5, 20, v56
	v_lshl_add_u32 v1, v1, 23, 0x3c000000
	v_and_b32_e32 v4, 0x80000000, v4
	v_or3_b32 v56, v5, v4, v1
	buffer_store_dword v56, off, s[0:3], s32 offset:832 ; 4-byte Folded Spill
	buffer_store_dword v57, off, s[0:3], s32 offset:836 ; 4-byte Folded Spill
.LBB257_657:                            ;   in Loop: Header=BB257_11 Depth=1
	s_or_b32 exec_lo, exec_lo, s19
.LBB257_658:                            ;   in Loop: Header=BB257_11 Depth=1
	s_or_b32 exec_lo, exec_lo, s7
.LBB257_659:                            ;   in Loop: Header=BB257_11 Depth=1
	s_or_b32 exec_lo, exec_lo, s6
	v_cmp_ne_u16_sdwa s5, v0, v57 src0_sel:BYTE_1 src1_sel:DWORD
	s_and_saveexec_b32 s6, s5
	s_cbranch_execz .LBB257_667
; %bb.660:                              ;   in Loop: Header=BB257_11 Depth=1
	v_mov_b32_e32 v1, 0x80
	v_mov_b32_e32 v90, v57
	buffer_store_dword v90, off, s[0:3], s32 offset:840 ; 4-byte Folded Spill
	buffer_store_dword v91, off, s[0:3], s32 offset:844 ; 4-byte Folded Spill
	v_cmp_ne_u16_sdwa s5, v0, v1 src0_sel:BYTE_1 src1_sel:DWORD
	s_and_saveexec_b32 s7, s5
	s_cbranch_execz .LBB257_666
; %bb.661:                              ;   in Loop: Header=BB257_11 Depth=1
	v_mov_b32_e32 v1, 0xffff
	v_mov_b32_e32 v120, v57
	s_mov_b32 s19, exec_lo
	buffer_store_dword v120, off, s[0:3], s32 offset:840 ; 4-byte Folded Spill
	buffer_store_dword v121, off, s[0:3], s32 offset:844 ; 4-byte Folded Spill
	v_and_b32_sdwa v1, v1, v0 dst_sel:DWORD dst_unused:UNUSED_PAD src0_sel:DWORD src1_sel:BYTE_1
	v_and_b32_e32 v4, 0x7f, v1
	v_cmpx_ne_u32_e32 0x7f, v4
	s_cbranch_execz .LBB257_665
; %bb.662:                              ;   in Loop: Header=BB257_11 Depth=1
	v_and_b32_e32 v56, 7, v1
	v_lshrrev_b32_e32 v1, 3, v4
	s_mov_b32 s22, exec_lo
	v_cmpx_gt_u32_e32 8, v4
; %bb.663:                              ;   in Loop: Header=BB257_11 Depth=1
	v_ffbh_u32_e32 v1, v56
	v_min_u32_e32 v1, 32, v1
	v_subrev_nc_u32_e32 v4, 28, v1
	v_sub_nc_u32_e32 v1, 29, v1
	v_lshlrev_b64 v[4:5], v4, v[56:57]
	v_and_b32_e32 v56, 7, v4
; %bb.664:                              ;   in Loop: Header=BB257_11 Depth=1
	s_or_b32 exec_lo, exec_lo, s22
	v_lshlrev_b32_e32 v4, 16, v0
	v_lshlrev_b32_e32 v5, 20, v56
	v_lshl_add_u32 v1, v1, 23, 0x3c000000
	v_and_b32_e32 v4, 0x80000000, v4
	v_or3_b32 v5, v5, v4, v1
	v_mov_b32_e32 v4, v57
	buffer_store_dword v4, off, s[0:3], s32 offset:840 ; 4-byte Folded Spill
	buffer_store_dword v5, off, s[0:3], s32 offset:844 ; 4-byte Folded Spill
.LBB257_665:                            ;   in Loop: Header=BB257_11 Depth=1
	s_or_b32 exec_lo, exec_lo, s19
.LBB257_666:                            ;   in Loop: Header=BB257_11 Depth=1
	s_or_b32 exec_lo, exec_lo, s7
.LBB257_667:                            ;   in Loop: Header=BB257_11 Depth=1
	s_or_b32 exec_lo, exec_lo, s6
	v_mov_b32_e32 v4, 0
	v_mov_b32_e32 v5, 0
	;; [unrolled: 1-line block ×3, first 2 shown]
	s_mov_b32 s6, exec_lo
	buffer_store_dword v4, off, s[0:3], s32 offset:848 ; 4-byte Folded Spill
	buffer_store_dword v5, off, s[0:3], s32 offset:852 ; 4-byte Folded Spill
	v_mov_b32_e32 v4, 0
	v_and_b32_sdwa v1, v0, v1 dst_sel:DWORD dst_unused:UNUSED_PAD src0_sel:WORD_1 src1_sel:DWORD
	v_mov_b32_e32 v5, 0
	buffer_store_dword v4, off, s[0:3], s32 offset:856 ; 4-byte Folded Spill
	buffer_store_dword v5, off, s[0:3], s32 offset:860 ; 4-byte Folded Spill
	v_cmpx_ne_u16_e32 0, v1
	s_cbranch_execz .LBB257_675
; %bb.668:                              ;   in Loop: Header=BB257_11 Depth=1
	v_bfrev_b32_e32 v4, 1
	v_mov_b32_e32 v5, 0
	s_mov_b32 s7, exec_lo
	buffer_store_dword v4, off, s[0:3], s32 offset:856 ; 4-byte Folded Spill
	buffer_store_dword v5, off, s[0:3], s32 offset:860 ; 4-byte Folded Spill
	v_cmpx_ne_u16_e32 0x80, v1
	s_cbranch_execz .LBB257_674
; %bb.669:                              ;   in Loop: Header=BB257_11 Depth=1
	v_mov_b32_e32 v5, 0x7f800001
	v_bfe_u32 v4, v0, 16, 7
	v_mov_b32_e32 v6, 0
	s_mov_b32 s19, exec_lo
	buffer_store_dword v5, off, s[0:3], s32 offset:856 ; 4-byte Folded Spill
	buffer_store_dword v6, off, s[0:3], s32 offset:860 ; 4-byte Folded Spill
	v_cmpx_ne_u32_e32 0x7f, v4
	s_cbranch_execz .LBB257_673
; %bb.670:                              ;   in Loop: Header=BB257_11 Depth=1
	v_mov_b32_e32 v1, 7
	s_mov_b32 s22, exec_lo
	v_and_b32_sdwa v56, v0, v1 dst_sel:DWORD dst_unused:UNUSED_PAD src0_sel:WORD_1 src1_sel:DWORD
	v_lshrrev_b32_e32 v1, 3, v4
	v_cmpx_gt_u32_e32 8, v4
; %bb.671:                              ;   in Loop: Header=BB257_11 Depth=1
	v_ffbh_u32_e32 v1, v56
	v_min_u32_e32 v1, 32, v1
	v_subrev_nc_u32_e32 v4, 28, v1
	v_sub_nc_u32_e32 v1, 29, v1
	v_lshlrev_b64 v[4:5], v4, v[56:57]
	v_and_b32_e32 v56, 7, v4
; %bb.672:                              ;   in Loop: Header=BB257_11 Depth=1
	s_or_b32 exec_lo, exec_lo, s22
	v_mov_b32_e32 v4, 24
	v_lshlrev_b32_e32 v5, 20, v56
	v_lshl_add_u32 v1, v1, 23, 0x3c000000
	v_lshlrev_b32_sdwa v4, v4, v0 dst_sel:DWORD dst_unused:UNUSED_PAD src0_sel:DWORD src1_sel:WORD_1
	v_and_b32_e32 v4, 0x80000000, v4
	v_or3_b32 v56, v5, v4, v1
	buffer_store_dword v56, off, s[0:3], s32 offset:856 ; 4-byte Folded Spill
	buffer_store_dword v57, off, s[0:3], s32 offset:860 ; 4-byte Folded Spill
.LBB257_673:                            ;   in Loop: Header=BB257_11 Depth=1
	s_or_b32 exec_lo, exec_lo, s19
.LBB257_674:                            ;   in Loop: Header=BB257_11 Depth=1
	s_or_b32 exec_lo, exec_lo, s7
.LBB257_675:                            ;   in Loop: Header=BB257_11 Depth=1
	s_or_b32 exec_lo, exec_lo, s6
	s_mov_b32 s6, exec_lo
	v_cmpx_lt_u32_e32 0xffffff, v0
	s_cbranch_execz .LBB257_683
; %bb.676:                              ;   in Loop: Header=BB257_11 Depth=1
	v_mov_b32_e32 v1, 0x80
	v_mov_b32_e32 v90, v57
	buffer_store_dword v90, off, s[0:3], s32 offset:848 ; 4-byte Folded Spill
	buffer_store_dword v91, off, s[0:3], s32 offset:852 ; 4-byte Folded Spill
	v_cmp_ne_u32_sdwa s5, v0, v1 src0_sel:BYTE_3 src1_sel:DWORD
	s_and_saveexec_b32 s7, s5
	s_cbranch_execz .LBB257_682
; %bb.677:                              ;   in Loop: Header=BB257_11 Depth=1
	v_bfe_u32 v4, v0, 24, 7
	v_mov_b32_e32 v120, v57
	s_mov_b32 s19, exec_lo
	buffer_store_dword v120, off, s[0:3], s32 offset:848 ; 4-byte Folded Spill
	buffer_store_dword v121, off, s[0:3], s32 offset:852 ; 4-byte Folded Spill
	v_cmpx_ne_u32_e32 0x7f, v4
	s_cbranch_execz .LBB257_681
; %bb.678:                              ;   in Loop: Header=BB257_11 Depth=1
	v_mov_b32_e32 v1, 7
	s_mov_b32 s22, exec_lo
	v_and_b32_sdwa v56, v0, v1 dst_sel:DWORD dst_unused:UNUSED_PAD src0_sel:BYTE_3 src1_sel:DWORD
	v_lshrrev_b32_e32 v1, 3, v4
	v_cmpx_gt_u32_e32 8, v4
; %bb.679:                              ;   in Loop: Header=BB257_11 Depth=1
	v_ffbh_u32_e32 v1, v56
	v_min_u32_e32 v1, 32, v1
	v_subrev_nc_u32_e32 v4, 28, v1
	v_sub_nc_u32_e32 v1, 29, v1
	v_lshlrev_b64 v[4:5], v4, v[56:57]
	v_and_b32_e32 v56, 7, v4
; %bb.680:                              ;   in Loop: Header=BB257_11 Depth=1
	s_or_b32 exec_lo, exec_lo, s22
	v_mov_b32_e32 v4, 24
	v_lshl_add_u32 v1, v1, 23, 0x3c000000
	v_lshlrev_b32_sdwa v0, v4, v0 dst_sel:DWORD dst_unused:UNUSED_PAD src0_sel:DWORD src1_sel:BYTE_3
	v_lshlrev_b32_e32 v4, 20, v56
	v_and_b32_e32 v0, 0x80000000, v0
	v_or3_b32 v1, v4, v0, v1
	v_mov_b32_e32 v0, v57
	buffer_store_dword v0, off, s[0:3], s32 offset:848 ; 4-byte Folded Spill
	buffer_store_dword v1, off, s[0:3], s32 offset:852 ; 4-byte Folded Spill
.LBB257_681:                            ;   in Loop: Header=BB257_11 Depth=1
	s_or_b32 exec_lo, exec_lo, s19
.LBB257_682:                            ;   in Loop: Header=BB257_11 Depth=1
	s_or_b32 exec_lo, exec_lo, s7
.LBB257_683:                            ;   in Loop: Header=BB257_11 Depth=1
	s_or_b32 exec_lo, exec_lo, s6
	flat_load_dword v0, v[2:3] offset:516
	v_mov_b32_e32 v4, 0
	v_mov_b32_e32 v5, 0
	buffer_store_dword v4, off, s[0:3], s32 offset:872 ; 4-byte Folded Spill
	buffer_store_dword v5, off, s[0:3], s32 offset:876 ; 4-byte Folded Spill
	v_mov_b32_e32 v4, 0
	v_mov_b32_e32 v5, 0
	buffer_store_dword v4, off, s[0:3], s32 offset:864 ; 4-byte Folded Spill
	buffer_store_dword v5, off, s[0:3], s32 offset:868 ; 4-byte Folded Spill
	s_waitcnt vmcnt(0) lgkmcnt(0)
	v_cmp_ne_u16_sdwa s5, v0, v57 src0_sel:BYTE_0 src1_sel:DWORD
	s_and_saveexec_b32 s6, s5
	s_cbranch_execz .LBB257_691
; %bb.684:                              ;   in Loop: Header=BB257_11 Depth=1
	v_mov_b32_e32 v1, 0x80
	v_bfrev_b32_e32 v4, 1
	v_mov_b32_e32 v5, 0
	buffer_store_dword v4, off, s[0:3], s32 offset:864 ; 4-byte Folded Spill
	buffer_store_dword v5, off, s[0:3], s32 offset:868 ; 4-byte Folded Spill
	v_cmp_ne_u16_sdwa s5, v0, v1 src0_sel:BYTE_0 src1_sel:DWORD
	s_and_saveexec_b32 s7, s5
	s_cbranch_execz .LBB257_690
; %bb.685:                              ;   in Loop: Header=BB257_11 Depth=1
	v_mov_b32_e32 v5, 0x7f800001
	v_and_b32_e32 v4, 0x7f, v0
	v_mov_b32_e32 v6, 0
	s_mov_b32 s19, exec_lo
	buffer_store_dword v5, off, s[0:3], s32 offset:864 ; 4-byte Folded Spill
	buffer_store_dword v6, off, s[0:3], s32 offset:868 ; 4-byte Folded Spill
	v_cmpx_ne_u32_e32 0x7f, v4
	s_cbranch_execz .LBB257_689
; %bb.686:                              ;   in Loop: Header=BB257_11 Depth=1
	v_and_b32_e32 v56, 7, v0
	v_lshrrev_b32_e32 v1, 3, v4
	s_mov_b32 s22, exec_lo
	v_cmpx_gt_u32_e32 8, v4
; %bb.687:                              ;   in Loop: Header=BB257_11 Depth=1
	v_ffbh_u32_e32 v1, v56
	v_min_u32_e32 v1, 32, v1
	v_subrev_nc_u32_e32 v4, 28, v1
	v_sub_nc_u32_e32 v1, 29, v1
	v_lshlrev_b64 v[4:5], v4, v[56:57]
	v_and_b32_e32 v56, 7, v4
; %bb.688:                              ;   in Loop: Header=BB257_11 Depth=1
	s_or_b32 exec_lo, exec_lo, s22
	v_lshlrev_b32_e32 v4, 24, v0
	v_lshlrev_b32_e32 v5, 20, v56
	v_lshl_add_u32 v1, v1, 23, 0x3c000000
	v_and_b32_e32 v4, 0x80000000, v4
	v_or3_b32 v56, v5, v4, v1
	buffer_store_dword v56, off, s[0:3], s32 offset:864 ; 4-byte Folded Spill
	buffer_store_dword v57, off, s[0:3], s32 offset:868 ; 4-byte Folded Spill
.LBB257_689:                            ;   in Loop: Header=BB257_11 Depth=1
	s_or_b32 exec_lo, exec_lo, s19
.LBB257_690:                            ;   in Loop: Header=BB257_11 Depth=1
	s_or_b32 exec_lo, exec_lo, s7
.LBB257_691:                            ;   in Loop: Header=BB257_11 Depth=1
	s_or_b32 exec_lo, exec_lo, s6
	v_cmp_ne_u16_sdwa s5, v0, v57 src0_sel:BYTE_1 src1_sel:DWORD
	s_and_saveexec_b32 s6, s5
	s_cbranch_execz .LBB257_699
; %bb.692:                              ;   in Loop: Header=BB257_11 Depth=1
	v_mov_b32_e32 v1, 0x80
	v_mov_b32_e32 v90, v57
	buffer_store_dword v90, off, s[0:3], s32 offset:872 ; 4-byte Folded Spill
	buffer_store_dword v91, off, s[0:3], s32 offset:876 ; 4-byte Folded Spill
	v_cmp_ne_u16_sdwa s5, v0, v1 src0_sel:BYTE_1 src1_sel:DWORD
	s_and_saveexec_b32 s7, s5
	s_cbranch_execz .LBB257_698
; %bb.693:                              ;   in Loop: Header=BB257_11 Depth=1
	v_mov_b32_e32 v1, 0xffff
	v_mov_b32_e32 v120, v57
	s_mov_b32 s19, exec_lo
	buffer_store_dword v120, off, s[0:3], s32 offset:872 ; 4-byte Folded Spill
	buffer_store_dword v121, off, s[0:3], s32 offset:876 ; 4-byte Folded Spill
	v_and_b32_sdwa v1, v1, v0 dst_sel:DWORD dst_unused:UNUSED_PAD src0_sel:DWORD src1_sel:BYTE_1
	v_and_b32_e32 v4, 0x7f, v1
	v_cmpx_ne_u32_e32 0x7f, v4
	s_cbranch_execz .LBB257_697
; %bb.694:                              ;   in Loop: Header=BB257_11 Depth=1
	v_and_b32_e32 v56, 7, v1
	v_lshrrev_b32_e32 v1, 3, v4
	s_mov_b32 s22, exec_lo
	v_cmpx_gt_u32_e32 8, v4
; %bb.695:                              ;   in Loop: Header=BB257_11 Depth=1
	v_ffbh_u32_e32 v1, v56
	v_min_u32_e32 v1, 32, v1
	v_subrev_nc_u32_e32 v4, 28, v1
	v_sub_nc_u32_e32 v1, 29, v1
	v_lshlrev_b64 v[4:5], v4, v[56:57]
	v_and_b32_e32 v56, 7, v4
; %bb.696:                              ;   in Loop: Header=BB257_11 Depth=1
	s_or_b32 exec_lo, exec_lo, s22
	v_lshlrev_b32_e32 v4, 16, v0
	v_lshlrev_b32_e32 v5, 20, v56
	v_lshl_add_u32 v1, v1, 23, 0x3c000000
	v_and_b32_e32 v4, 0x80000000, v4
	v_or3_b32 v5, v5, v4, v1
	v_mov_b32_e32 v4, v57
	buffer_store_dword v4, off, s[0:3], s32 offset:872 ; 4-byte Folded Spill
	buffer_store_dword v5, off, s[0:3], s32 offset:876 ; 4-byte Folded Spill
.LBB257_697:                            ;   in Loop: Header=BB257_11 Depth=1
	s_or_b32 exec_lo, exec_lo, s19
.LBB257_698:                            ;   in Loop: Header=BB257_11 Depth=1
	s_or_b32 exec_lo, exec_lo, s7
.LBB257_699:                            ;   in Loop: Header=BB257_11 Depth=1
	s_or_b32 exec_lo, exec_lo, s6
	v_mov_b32_e32 v4, 0
	v_mov_b32_e32 v5, 0
	;; [unrolled: 1-line block ×3, first 2 shown]
	s_mov_b32 s6, exec_lo
	buffer_store_dword v4, off, s[0:3], s32 offset:880 ; 4-byte Folded Spill
	buffer_store_dword v5, off, s[0:3], s32 offset:884 ; 4-byte Folded Spill
	v_mov_b32_e32 v4, 0
	v_and_b32_sdwa v1, v0, v1 dst_sel:DWORD dst_unused:UNUSED_PAD src0_sel:WORD_1 src1_sel:DWORD
	v_mov_b32_e32 v5, 0
	buffer_store_dword v4, off, s[0:3], s32 offset:888 ; 4-byte Folded Spill
	buffer_store_dword v5, off, s[0:3], s32 offset:892 ; 4-byte Folded Spill
	v_cmpx_ne_u16_e32 0, v1
	s_cbranch_execz .LBB257_707
; %bb.700:                              ;   in Loop: Header=BB257_11 Depth=1
	v_bfrev_b32_e32 v4, 1
	v_mov_b32_e32 v5, 0
	s_mov_b32 s7, exec_lo
	buffer_store_dword v4, off, s[0:3], s32 offset:888 ; 4-byte Folded Spill
	buffer_store_dword v5, off, s[0:3], s32 offset:892 ; 4-byte Folded Spill
	v_cmpx_ne_u16_e32 0x80, v1
	s_cbranch_execz .LBB257_706
; %bb.701:                              ;   in Loop: Header=BB257_11 Depth=1
	v_mov_b32_e32 v5, 0x7f800001
	v_bfe_u32 v4, v0, 16, 7
	v_mov_b32_e32 v6, 0
	s_mov_b32 s19, exec_lo
	buffer_store_dword v5, off, s[0:3], s32 offset:888 ; 4-byte Folded Spill
	buffer_store_dword v6, off, s[0:3], s32 offset:892 ; 4-byte Folded Spill
	v_cmpx_ne_u32_e32 0x7f, v4
	s_cbranch_execz .LBB257_705
; %bb.702:                              ;   in Loop: Header=BB257_11 Depth=1
	v_mov_b32_e32 v1, 7
	s_mov_b32 s22, exec_lo
	v_and_b32_sdwa v56, v0, v1 dst_sel:DWORD dst_unused:UNUSED_PAD src0_sel:WORD_1 src1_sel:DWORD
	v_lshrrev_b32_e32 v1, 3, v4
	v_cmpx_gt_u32_e32 8, v4
; %bb.703:                              ;   in Loop: Header=BB257_11 Depth=1
	v_ffbh_u32_e32 v1, v56
	v_min_u32_e32 v1, 32, v1
	v_subrev_nc_u32_e32 v4, 28, v1
	v_sub_nc_u32_e32 v1, 29, v1
	v_lshlrev_b64 v[4:5], v4, v[56:57]
	v_and_b32_e32 v56, 7, v4
; %bb.704:                              ;   in Loop: Header=BB257_11 Depth=1
	s_or_b32 exec_lo, exec_lo, s22
	v_mov_b32_e32 v4, 24
	v_lshlrev_b32_e32 v5, 20, v56
	v_lshl_add_u32 v1, v1, 23, 0x3c000000
	v_lshlrev_b32_sdwa v4, v4, v0 dst_sel:DWORD dst_unused:UNUSED_PAD src0_sel:DWORD src1_sel:WORD_1
	v_and_b32_e32 v4, 0x80000000, v4
	v_or3_b32 v56, v5, v4, v1
	buffer_store_dword v56, off, s[0:3], s32 offset:888 ; 4-byte Folded Spill
	buffer_store_dword v57, off, s[0:3], s32 offset:892 ; 4-byte Folded Spill
.LBB257_705:                            ;   in Loop: Header=BB257_11 Depth=1
	s_or_b32 exec_lo, exec_lo, s19
.LBB257_706:                            ;   in Loop: Header=BB257_11 Depth=1
	s_or_b32 exec_lo, exec_lo, s7
.LBB257_707:                            ;   in Loop: Header=BB257_11 Depth=1
	s_or_b32 exec_lo, exec_lo, s6
	s_mov_b32 s6, exec_lo
	v_cmpx_lt_u32_e32 0xffffff, v0
	s_cbranch_execz .LBB257_715
; %bb.708:                              ;   in Loop: Header=BB257_11 Depth=1
	v_mov_b32_e32 v1, 0x80
	v_mov_b32_e32 v90, v57
	buffer_store_dword v90, off, s[0:3], s32 offset:880 ; 4-byte Folded Spill
	buffer_store_dword v91, off, s[0:3], s32 offset:884 ; 4-byte Folded Spill
	v_cmp_ne_u32_sdwa s5, v0, v1 src0_sel:BYTE_3 src1_sel:DWORD
	s_and_saveexec_b32 s7, s5
	s_cbranch_execz .LBB257_714
; %bb.709:                              ;   in Loop: Header=BB257_11 Depth=1
	v_bfe_u32 v4, v0, 24, 7
	v_mov_b32_e32 v120, v57
	s_mov_b32 s19, exec_lo
	buffer_store_dword v120, off, s[0:3], s32 offset:880 ; 4-byte Folded Spill
	buffer_store_dword v121, off, s[0:3], s32 offset:884 ; 4-byte Folded Spill
	v_cmpx_ne_u32_e32 0x7f, v4
	s_cbranch_execz .LBB257_713
; %bb.710:                              ;   in Loop: Header=BB257_11 Depth=1
	v_mov_b32_e32 v1, 7
	s_mov_b32 s22, exec_lo
	v_and_b32_sdwa v56, v0, v1 dst_sel:DWORD dst_unused:UNUSED_PAD src0_sel:BYTE_3 src1_sel:DWORD
	v_lshrrev_b32_e32 v1, 3, v4
	v_cmpx_gt_u32_e32 8, v4
; %bb.711:                              ;   in Loop: Header=BB257_11 Depth=1
	v_ffbh_u32_e32 v1, v56
	v_min_u32_e32 v1, 32, v1
	v_subrev_nc_u32_e32 v4, 28, v1
	v_sub_nc_u32_e32 v1, 29, v1
	v_lshlrev_b64 v[4:5], v4, v[56:57]
	v_and_b32_e32 v56, 7, v4
; %bb.712:                              ;   in Loop: Header=BB257_11 Depth=1
	s_or_b32 exec_lo, exec_lo, s22
	v_mov_b32_e32 v4, 24
	v_lshl_add_u32 v1, v1, 23, 0x3c000000
	v_lshlrev_b32_sdwa v0, v4, v0 dst_sel:DWORD dst_unused:UNUSED_PAD src0_sel:DWORD src1_sel:BYTE_3
	v_lshlrev_b32_e32 v4, 20, v56
	v_and_b32_e32 v0, 0x80000000, v0
	v_or3_b32 v1, v4, v0, v1
	v_mov_b32_e32 v0, v57
	buffer_store_dword v0, off, s[0:3], s32 offset:880 ; 4-byte Folded Spill
	buffer_store_dword v1, off, s[0:3], s32 offset:884 ; 4-byte Folded Spill
.LBB257_713:                            ;   in Loop: Header=BB257_11 Depth=1
	s_or_b32 exec_lo, exec_lo, s19
.LBB257_714:                            ;   in Loop: Header=BB257_11 Depth=1
	s_or_b32 exec_lo, exec_lo, s7
.LBB257_715:                            ;   in Loop: Header=BB257_11 Depth=1
	s_or_b32 exec_lo, exec_lo, s6
	flat_load_dword v0, v[2:3] offset:520
	v_mov_b32_e32 v4, 0
	v_mov_b32_e32 v5, 0
	buffer_store_dword v4, off, s[0:3], s32 offset:904 ; 4-byte Folded Spill
	buffer_store_dword v5, off, s[0:3], s32 offset:908 ; 4-byte Folded Spill
	v_mov_b32_e32 v4, 0
	v_mov_b32_e32 v5, 0
	buffer_store_dword v4, off, s[0:3], s32 offset:896 ; 4-byte Folded Spill
	buffer_store_dword v5, off, s[0:3], s32 offset:900 ; 4-byte Folded Spill
	s_waitcnt vmcnt(0) lgkmcnt(0)
	v_cmp_ne_u16_sdwa s5, v0, v57 src0_sel:BYTE_0 src1_sel:DWORD
	s_and_saveexec_b32 s6, s5
	s_cbranch_execz .LBB257_723
; %bb.716:                              ;   in Loop: Header=BB257_11 Depth=1
	v_mov_b32_e32 v1, 0x80
	v_bfrev_b32_e32 v4, 1
	v_mov_b32_e32 v5, 0
	buffer_store_dword v4, off, s[0:3], s32 offset:896 ; 4-byte Folded Spill
	buffer_store_dword v5, off, s[0:3], s32 offset:900 ; 4-byte Folded Spill
	v_cmp_ne_u16_sdwa s5, v0, v1 src0_sel:BYTE_0 src1_sel:DWORD
	s_and_saveexec_b32 s7, s5
	s_cbranch_execz .LBB257_722
; %bb.717:                              ;   in Loop: Header=BB257_11 Depth=1
	v_mov_b32_e32 v5, 0x7f800001
	v_and_b32_e32 v4, 0x7f, v0
	v_mov_b32_e32 v6, 0
	s_mov_b32 s19, exec_lo
	buffer_store_dword v5, off, s[0:3], s32 offset:896 ; 4-byte Folded Spill
	buffer_store_dword v6, off, s[0:3], s32 offset:900 ; 4-byte Folded Spill
	v_cmpx_ne_u32_e32 0x7f, v4
	s_cbranch_execz .LBB257_721
; %bb.718:                              ;   in Loop: Header=BB257_11 Depth=1
	v_and_b32_e32 v56, 7, v0
	v_lshrrev_b32_e32 v1, 3, v4
	s_mov_b32 s22, exec_lo
	v_cmpx_gt_u32_e32 8, v4
; %bb.719:                              ;   in Loop: Header=BB257_11 Depth=1
	v_ffbh_u32_e32 v1, v56
	v_min_u32_e32 v1, 32, v1
	v_subrev_nc_u32_e32 v4, 28, v1
	v_sub_nc_u32_e32 v1, 29, v1
	v_lshlrev_b64 v[4:5], v4, v[56:57]
	v_and_b32_e32 v56, 7, v4
; %bb.720:                              ;   in Loop: Header=BB257_11 Depth=1
	s_or_b32 exec_lo, exec_lo, s22
	v_lshlrev_b32_e32 v4, 24, v0
	v_lshlrev_b32_e32 v5, 20, v56
	v_lshl_add_u32 v1, v1, 23, 0x3c000000
	v_and_b32_e32 v4, 0x80000000, v4
	v_or3_b32 v56, v5, v4, v1
	buffer_store_dword v56, off, s[0:3], s32 offset:896 ; 4-byte Folded Spill
	buffer_store_dword v57, off, s[0:3], s32 offset:900 ; 4-byte Folded Spill
.LBB257_721:                            ;   in Loop: Header=BB257_11 Depth=1
	s_or_b32 exec_lo, exec_lo, s19
.LBB257_722:                            ;   in Loop: Header=BB257_11 Depth=1
	s_or_b32 exec_lo, exec_lo, s7
.LBB257_723:                            ;   in Loop: Header=BB257_11 Depth=1
	s_or_b32 exec_lo, exec_lo, s6
	v_cmp_ne_u16_sdwa s5, v0, v57 src0_sel:BYTE_1 src1_sel:DWORD
	s_and_saveexec_b32 s6, s5
	s_cbranch_execz .LBB257_731
; %bb.724:                              ;   in Loop: Header=BB257_11 Depth=1
	v_mov_b32_e32 v1, 0x80
	v_mov_b32_e32 v90, v57
	buffer_store_dword v90, off, s[0:3], s32 offset:904 ; 4-byte Folded Spill
	buffer_store_dword v91, off, s[0:3], s32 offset:908 ; 4-byte Folded Spill
	v_cmp_ne_u16_sdwa s5, v0, v1 src0_sel:BYTE_1 src1_sel:DWORD
	s_and_saveexec_b32 s7, s5
	s_cbranch_execz .LBB257_730
; %bb.725:                              ;   in Loop: Header=BB257_11 Depth=1
	v_mov_b32_e32 v1, 0xffff
	v_mov_b32_e32 v120, v57
	s_mov_b32 s19, exec_lo
	buffer_store_dword v120, off, s[0:3], s32 offset:904 ; 4-byte Folded Spill
	buffer_store_dword v121, off, s[0:3], s32 offset:908 ; 4-byte Folded Spill
	v_and_b32_sdwa v1, v1, v0 dst_sel:DWORD dst_unused:UNUSED_PAD src0_sel:DWORD src1_sel:BYTE_1
	v_and_b32_e32 v4, 0x7f, v1
	v_cmpx_ne_u32_e32 0x7f, v4
	s_cbranch_execz .LBB257_729
; %bb.726:                              ;   in Loop: Header=BB257_11 Depth=1
	v_and_b32_e32 v56, 7, v1
	v_lshrrev_b32_e32 v1, 3, v4
	s_mov_b32 s22, exec_lo
	v_cmpx_gt_u32_e32 8, v4
; %bb.727:                              ;   in Loop: Header=BB257_11 Depth=1
	v_ffbh_u32_e32 v1, v56
	v_min_u32_e32 v1, 32, v1
	v_subrev_nc_u32_e32 v4, 28, v1
	v_sub_nc_u32_e32 v1, 29, v1
	v_lshlrev_b64 v[4:5], v4, v[56:57]
	v_and_b32_e32 v56, 7, v4
; %bb.728:                              ;   in Loop: Header=BB257_11 Depth=1
	s_or_b32 exec_lo, exec_lo, s22
	v_lshlrev_b32_e32 v4, 16, v0
	v_lshlrev_b32_e32 v5, 20, v56
	v_lshl_add_u32 v1, v1, 23, 0x3c000000
	v_and_b32_e32 v4, 0x80000000, v4
	v_or3_b32 v5, v5, v4, v1
	v_mov_b32_e32 v4, v57
	buffer_store_dword v4, off, s[0:3], s32 offset:904 ; 4-byte Folded Spill
	buffer_store_dword v5, off, s[0:3], s32 offset:908 ; 4-byte Folded Spill
.LBB257_729:                            ;   in Loop: Header=BB257_11 Depth=1
	s_or_b32 exec_lo, exec_lo, s19
.LBB257_730:                            ;   in Loop: Header=BB257_11 Depth=1
	s_or_b32 exec_lo, exec_lo, s7
.LBB257_731:                            ;   in Loop: Header=BB257_11 Depth=1
	s_or_b32 exec_lo, exec_lo, s6
	v_mov_b32_e32 v4, 0
	v_mov_b32_e32 v5, 0
	;; [unrolled: 1-line block ×3, first 2 shown]
	s_mov_b32 s6, exec_lo
	buffer_store_dword v4, off, s[0:3], s32 offset:912 ; 4-byte Folded Spill
	buffer_store_dword v5, off, s[0:3], s32 offset:916 ; 4-byte Folded Spill
	v_mov_b32_e32 v4, 0
	v_and_b32_sdwa v1, v0, v1 dst_sel:DWORD dst_unused:UNUSED_PAD src0_sel:WORD_1 src1_sel:DWORD
	v_mov_b32_e32 v5, 0
	buffer_store_dword v4, off, s[0:3], s32 offset:920 ; 4-byte Folded Spill
	buffer_store_dword v5, off, s[0:3], s32 offset:924 ; 4-byte Folded Spill
	v_cmpx_ne_u16_e32 0, v1
	s_cbranch_execz .LBB257_739
; %bb.732:                              ;   in Loop: Header=BB257_11 Depth=1
	v_bfrev_b32_e32 v4, 1
	v_mov_b32_e32 v5, 0
	s_mov_b32 s7, exec_lo
	buffer_store_dword v4, off, s[0:3], s32 offset:920 ; 4-byte Folded Spill
	buffer_store_dword v5, off, s[0:3], s32 offset:924 ; 4-byte Folded Spill
	v_cmpx_ne_u16_e32 0x80, v1
	s_cbranch_execz .LBB257_738
; %bb.733:                              ;   in Loop: Header=BB257_11 Depth=1
	v_mov_b32_e32 v5, 0x7f800001
	v_bfe_u32 v4, v0, 16, 7
	v_mov_b32_e32 v6, 0
	s_mov_b32 s19, exec_lo
	buffer_store_dword v5, off, s[0:3], s32 offset:920 ; 4-byte Folded Spill
	buffer_store_dword v6, off, s[0:3], s32 offset:924 ; 4-byte Folded Spill
	v_cmpx_ne_u32_e32 0x7f, v4
	s_cbranch_execz .LBB257_737
; %bb.734:                              ;   in Loop: Header=BB257_11 Depth=1
	v_mov_b32_e32 v1, 7
	s_mov_b32 s22, exec_lo
	v_and_b32_sdwa v56, v0, v1 dst_sel:DWORD dst_unused:UNUSED_PAD src0_sel:WORD_1 src1_sel:DWORD
	v_lshrrev_b32_e32 v1, 3, v4
	v_cmpx_gt_u32_e32 8, v4
; %bb.735:                              ;   in Loop: Header=BB257_11 Depth=1
	v_ffbh_u32_e32 v1, v56
	v_min_u32_e32 v1, 32, v1
	v_subrev_nc_u32_e32 v4, 28, v1
	v_sub_nc_u32_e32 v1, 29, v1
	v_lshlrev_b64 v[4:5], v4, v[56:57]
	v_and_b32_e32 v56, 7, v4
; %bb.736:                              ;   in Loop: Header=BB257_11 Depth=1
	s_or_b32 exec_lo, exec_lo, s22
	v_mov_b32_e32 v4, 24
	v_lshlrev_b32_e32 v5, 20, v56
	v_lshl_add_u32 v1, v1, 23, 0x3c000000
	v_lshlrev_b32_sdwa v4, v4, v0 dst_sel:DWORD dst_unused:UNUSED_PAD src0_sel:DWORD src1_sel:WORD_1
	v_and_b32_e32 v4, 0x80000000, v4
	v_or3_b32 v56, v5, v4, v1
	buffer_store_dword v56, off, s[0:3], s32 offset:920 ; 4-byte Folded Spill
	buffer_store_dword v57, off, s[0:3], s32 offset:924 ; 4-byte Folded Spill
.LBB257_737:                            ;   in Loop: Header=BB257_11 Depth=1
	s_or_b32 exec_lo, exec_lo, s19
.LBB257_738:                            ;   in Loop: Header=BB257_11 Depth=1
	s_or_b32 exec_lo, exec_lo, s7
.LBB257_739:                            ;   in Loop: Header=BB257_11 Depth=1
	s_or_b32 exec_lo, exec_lo, s6
	s_mov_b32 s6, exec_lo
	v_cmpx_lt_u32_e32 0xffffff, v0
	s_cbranch_execz .LBB257_747
; %bb.740:                              ;   in Loop: Header=BB257_11 Depth=1
	v_mov_b32_e32 v1, 0x80
	v_mov_b32_e32 v90, v57
	buffer_store_dword v90, off, s[0:3], s32 offset:912 ; 4-byte Folded Spill
	buffer_store_dword v91, off, s[0:3], s32 offset:916 ; 4-byte Folded Spill
	v_cmp_ne_u32_sdwa s5, v0, v1 src0_sel:BYTE_3 src1_sel:DWORD
	s_and_saveexec_b32 s7, s5
	s_cbranch_execz .LBB257_746
; %bb.741:                              ;   in Loop: Header=BB257_11 Depth=1
	v_bfe_u32 v4, v0, 24, 7
	v_mov_b32_e32 v120, v57
	s_mov_b32 s19, exec_lo
	buffer_store_dword v120, off, s[0:3], s32 offset:912 ; 4-byte Folded Spill
	buffer_store_dword v121, off, s[0:3], s32 offset:916 ; 4-byte Folded Spill
	v_cmpx_ne_u32_e32 0x7f, v4
	s_cbranch_execz .LBB257_745
; %bb.742:                              ;   in Loop: Header=BB257_11 Depth=1
	v_mov_b32_e32 v1, 7
	s_mov_b32 s22, exec_lo
	v_and_b32_sdwa v56, v0, v1 dst_sel:DWORD dst_unused:UNUSED_PAD src0_sel:BYTE_3 src1_sel:DWORD
	v_lshrrev_b32_e32 v1, 3, v4
	v_cmpx_gt_u32_e32 8, v4
; %bb.743:                              ;   in Loop: Header=BB257_11 Depth=1
	v_ffbh_u32_e32 v1, v56
	v_min_u32_e32 v1, 32, v1
	v_subrev_nc_u32_e32 v4, 28, v1
	v_sub_nc_u32_e32 v1, 29, v1
	v_lshlrev_b64 v[4:5], v4, v[56:57]
	v_and_b32_e32 v56, 7, v4
; %bb.744:                              ;   in Loop: Header=BB257_11 Depth=1
	s_or_b32 exec_lo, exec_lo, s22
	v_mov_b32_e32 v4, 24
	v_lshl_add_u32 v1, v1, 23, 0x3c000000
	v_lshlrev_b32_sdwa v0, v4, v0 dst_sel:DWORD dst_unused:UNUSED_PAD src0_sel:DWORD src1_sel:BYTE_3
	v_lshlrev_b32_e32 v4, 20, v56
	v_and_b32_e32 v0, 0x80000000, v0
	v_or3_b32 v1, v4, v0, v1
	v_mov_b32_e32 v0, v57
	buffer_store_dword v0, off, s[0:3], s32 offset:912 ; 4-byte Folded Spill
	buffer_store_dword v1, off, s[0:3], s32 offset:916 ; 4-byte Folded Spill
.LBB257_745:                            ;   in Loop: Header=BB257_11 Depth=1
	s_or_b32 exec_lo, exec_lo, s19
.LBB257_746:                            ;   in Loop: Header=BB257_11 Depth=1
	s_or_b32 exec_lo, exec_lo, s7
.LBB257_747:                            ;   in Loop: Header=BB257_11 Depth=1
	s_or_b32 exec_lo, exec_lo, s6
	flat_load_dword v0, v[2:3] offset:524
	v_mov_b32_e32 v4, 0
	v_mov_b32_e32 v5, 0
	buffer_store_dword v4, off, s[0:3], s32 offset:936 ; 4-byte Folded Spill
	buffer_store_dword v5, off, s[0:3], s32 offset:940 ; 4-byte Folded Spill
	v_mov_b32_e32 v4, 0
	v_mov_b32_e32 v5, 0
	buffer_store_dword v4, off, s[0:3], s32 offset:928 ; 4-byte Folded Spill
	buffer_store_dword v5, off, s[0:3], s32 offset:932 ; 4-byte Folded Spill
	s_waitcnt vmcnt(0) lgkmcnt(0)
	v_cmp_ne_u16_sdwa s5, v0, v57 src0_sel:BYTE_0 src1_sel:DWORD
	s_and_saveexec_b32 s6, s5
	s_cbranch_execz .LBB257_755
; %bb.748:                              ;   in Loop: Header=BB257_11 Depth=1
	v_mov_b32_e32 v1, 0x80
	v_bfrev_b32_e32 v4, 1
	v_mov_b32_e32 v5, 0
	buffer_store_dword v4, off, s[0:3], s32 offset:928 ; 4-byte Folded Spill
	buffer_store_dword v5, off, s[0:3], s32 offset:932 ; 4-byte Folded Spill
	v_cmp_ne_u16_sdwa s5, v0, v1 src0_sel:BYTE_0 src1_sel:DWORD
	s_and_saveexec_b32 s7, s5
	s_cbranch_execz .LBB257_754
; %bb.749:                              ;   in Loop: Header=BB257_11 Depth=1
	v_mov_b32_e32 v5, 0x7f800001
	v_and_b32_e32 v4, 0x7f, v0
	v_mov_b32_e32 v6, 0
	s_mov_b32 s19, exec_lo
	buffer_store_dword v5, off, s[0:3], s32 offset:928 ; 4-byte Folded Spill
	buffer_store_dword v6, off, s[0:3], s32 offset:932 ; 4-byte Folded Spill
	v_cmpx_ne_u32_e32 0x7f, v4
	s_cbranch_execz .LBB257_753
; %bb.750:                              ;   in Loop: Header=BB257_11 Depth=1
	v_and_b32_e32 v56, 7, v0
	v_lshrrev_b32_e32 v1, 3, v4
	s_mov_b32 s22, exec_lo
	v_cmpx_gt_u32_e32 8, v4
; %bb.751:                              ;   in Loop: Header=BB257_11 Depth=1
	v_ffbh_u32_e32 v1, v56
	v_min_u32_e32 v1, 32, v1
	v_subrev_nc_u32_e32 v4, 28, v1
	v_sub_nc_u32_e32 v1, 29, v1
	v_lshlrev_b64 v[4:5], v4, v[56:57]
	v_and_b32_e32 v56, 7, v4
; %bb.752:                              ;   in Loop: Header=BB257_11 Depth=1
	s_or_b32 exec_lo, exec_lo, s22
	v_lshlrev_b32_e32 v4, 24, v0
	v_lshlrev_b32_e32 v5, 20, v56
	v_lshl_add_u32 v1, v1, 23, 0x3c000000
	v_and_b32_e32 v4, 0x80000000, v4
	v_or3_b32 v56, v5, v4, v1
	buffer_store_dword v56, off, s[0:3], s32 offset:928 ; 4-byte Folded Spill
	buffer_store_dword v57, off, s[0:3], s32 offset:932 ; 4-byte Folded Spill
.LBB257_753:                            ;   in Loop: Header=BB257_11 Depth=1
	s_or_b32 exec_lo, exec_lo, s19
.LBB257_754:                            ;   in Loop: Header=BB257_11 Depth=1
	s_or_b32 exec_lo, exec_lo, s7
.LBB257_755:                            ;   in Loop: Header=BB257_11 Depth=1
	s_or_b32 exec_lo, exec_lo, s6
	v_cmp_ne_u16_sdwa s5, v0, v57 src0_sel:BYTE_1 src1_sel:DWORD
	s_and_saveexec_b32 s6, s5
	s_cbranch_execz .LBB257_763
; %bb.756:                              ;   in Loop: Header=BB257_11 Depth=1
	v_mov_b32_e32 v1, 0x80
	v_mov_b32_e32 v90, v57
	buffer_store_dword v90, off, s[0:3], s32 offset:936 ; 4-byte Folded Spill
	buffer_store_dword v91, off, s[0:3], s32 offset:940 ; 4-byte Folded Spill
	v_cmp_ne_u16_sdwa s5, v0, v1 src0_sel:BYTE_1 src1_sel:DWORD
	s_and_saveexec_b32 s7, s5
	s_cbranch_execz .LBB257_762
; %bb.757:                              ;   in Loop: Header=BB257_11 Depth=1
	v_mov_b32_e32 v1, 0xffff
	v_mov_b32_e32 v120, v57
	s_mov_b32 s19, exec_lo
	buffer_store_dword v120, off, s[0:3], s32 offset:936 ; 4-byte Folded Spill
	buffer_store_dword v121, off, s[0:3], s32 offset:940 ; 4-byte Folded Spill
	v_and_b32_sdwa v1, v1, v0 dst_sel:DWORD dst_unused:UNUSED_PAD src0_sel:DWORD src1_sel:BYTE_1
	v_and_b32_e32 v4, 0x7f, v1
	v_cmpx_ne_u32_e32 0x7f, v4
	s_cbranch_execz .LBB257_761
; %bb.758:                              ;   in Loop: Header=BB257_11 Depth=1
	v_and_b32_e32 v56, 7, v1
	v_lshrrev_b32_e32 v1, 3, v4
	s_mov_b32 s22, exec_lo
	v_cmpx_gt_u32_e32 8, v4
; %bb.759:                              ;   in Loop: Header=BB257_11 Depth=1
	v_ffbh_u32_e32 v1, v56
	v_min_u32_e32 v1, 32, v1
	v_subrev_nc_u32_e32 v4, 28, v1
	v_sub_nc_u32_e32 v1, 29, v1
	v_lshlrev_b64 v[4:5], v4, v[56:57]
	v_and_b32_e32 v56, 7, v4
; %bb.760:                              ;   in Loop: Header=BB257_11 Depth=1
	s_or_b32 exec_lo, exec_lo, s22
	v_lshlrev_b32_e32 v4, 16, v0
	v_lshlrev_b32_e32 v5, 20, v56
	v_lshl_add_u32 v1, v1, 23, 0x3c000000
	v_and_b32_e32 v4, 0x80000000, v4
	v_or3_b32 v5, v5, v4, v1
	v_mov_b32_e32 v4, v57
	buffer_store_dword v4, off, s[0:3], s32 offset:936 ; 4-byte Folded Spill
	buffer_store_dword v5, off, s[0:3], s32 offset:940 ; 4-byte Folded Spill
.LBB257_761:                            ;   in Loop: Header=BB257_11 Depth=1
	s_or_b32 exec_lo, exec_lo, s19
.LBB257_762:                            ;   in Loop: Header=BB257_11 Depth=1
	s_or_b32 exec_lo, exec_lo, s7
.LBB257_763:                            ;   in Loop: Header=BB257_11 Depth=1
	s_or_b32 exec_lo, exec_lo, s6
	v_mov_b32_e32 v4, 0
	v_mov_b32_e32 v5, 0
	;; [unrolled: 1-line block ×3, first 2 shown]
	s_mov_b32 s6, exec_lo
	buffer_store_dword v4, off, s[0:3], s32 offset:944 ; 4-byte Folded Spill
	buffer_store_dword v5, off, s[0:3], s32 offset:948 ; 4-byte Folded Spill
	v_mov_b32_e32 v4, 0
	v_and_b32_sdwa v1, v0, v1 dst_sel:DWORD dst_unused:UNUSED_PAD src0_sel:WORD_1 src1_sel:DWORD
	v_mov_b32_e32 v5, 0
	buffer_store_dword v4, off, s[0:3], s32 offset:952 ; 4-byte Folded Spill
	buffer_store_dword v5, off, s[0:3], s32 offset:956 ; 4-byte Folded Spill
	v_cmpx_ne_u16_e32 0, v1
	s_cbranch_execz .LBB257_771
; %bb.764:                              ;   in Loop: Header=BB257_11 Depth=1
	v_bfrev_b32_e32 v4, 1
	v_mov_b32_e32 v5, 0
	s_mov_b32 s7, exec_lo
	buffer_store_dword v4, off, s[0:3], s32 offset:952 ; 4-byte Folded Spill
	buffer_store_dword v5, off, s[0:3], s32 offset:956 ; 4-byte Folded Spill
	v_cmpx_ne_u16_e32 0x80, v1
	s_cbranch_execz .LBB257_770
; %bb.765:                              ;   in Loop: Header=BB257_11 Depth=1
	v_mov_b32_e32 v5, 0x7f800001
	v_bfe_u32 v4, v0, 16, 7
	v_mov_b32_e32 v6, 0
	s_mov_b32 s19, exec_lo
	buffer_store_dword v5, off, s[0:3], s32 offset:952 ; 4-byte Folded Spill
	buffer_store_dword v6, off, s[0:3], s32 offset:956 ; 4-byte Folded Spill
	v_cmpx_ne_u32_e32 0x7f, v4
	s_cbranch_execz .LBB257_769
; %bb.766:                              ;   in Loop: Header=BB257_11 Depth=1
	v_mov_b32_e32 v1, 7
	s_mov_b32 s22, exec_lo
	v_and_b32_sdwa v56, v0, v1 dst_sel:DWORD dst_unused:UNUSED_PAD src0_sel:WORD_1 src1_sel:DWORD
	v_lshrrev_b32_e32 v1, 3, v4
	v_cmpx_gt_u32_e32 8, v4
; %bb.767:                              ;   in Loop: Header=BB257_11 Depth=1
	v_ffbh_u32_e32 v1, v56
	v_min_u32_e32 v1, 32, v1
	v_subrev_nc_u32_e32 v4, 28, v1
	v_sub_nc_u32_e32 v1, 29, v1
	v_lshlrev_b64 v[4:5], v4, v[56:57]
	v_and_b32_e32 v56, 7, v4
; %bb.768:                              ;   in Loop: Header=BB257_11 Depth=1
	s_or_b32 exec_lo, exec_lo, s22
	v_mov_b32_e32 v4, 24
	v_lshlrev_b32_e32 v5, 20, v56
	v_lshl_add_u32 v1, v1, 23, 0x3c000000
	v_lshlrev_b32_sdwa v4, v4, v0 dst_sel:DWORD dst_unused:UNUSED_PAD src0_sel:DWORD src1_sel:WORD_1
	v_and_b32_e32 v4, 0x80000000, v4
	v_or3_b32 v56, v5, v4, v1
	buffer_store_dword v56, off, s[0:3], s32 offset:952 ; 4-byte Folded Spill
	buffer_store_dword v57, off, s[0:3], s32 offset:956 ; 4-byte Folded Spill
.LBB257_769:                            ;   in Loop: Header=BB257_11 Depth=1
	s_or_b32 exec_lo, exec_lo, s19
.LBB257_770:                            ;   in Loop: Header=BB257_11 Depth=1
	s_or_b32 exec_lo, exec_lo, s7
.LBB257_771:                            ;   in Loop: Header=BB257_11 Depth=1
	s_or_b32 exec_lo, exec_lo, s6
	s_mov_b32 s6, exec_lo
	v_cmpx_lt_u32_e32 0xffffff, v0
	s_cbranch_execz .LBB257_779
; %bb.772:                              ;   in Loop: Header=BB257_11 Depth=1
	v_mov_b32_e32 v1, 0x80
	v_mov_b32_e32 v90, v57
	buffer_store_dword v90, off, s[0:3], s32 offset:944 ; 4-byte Folded Spill
	buffer_store_dword v91, off, s[0:3], s32 offset:948 ; 4-byte Folded Spill
	v_cmp_ne_u32_sdwa s5, v0, v1 src0_sel:BYTE_3 src1_sel:DWORD
	s_and_saveexec_b32 s7, s5
	s_cbranch_execz .LBB257_778
; %bb.773:                              ;   in Loop: Header=BB257_11 Depth=1
	v_bfe_u32 v4, v0, 24, 7
	v_mov_b32_e32 v120, v57
	s_mov_b32 s19, exec_lo
	buffer_store_dword v120, off, s[0:3], s32 offset:944 ; 4-byte Folded Spill
	buffer_store_dword v121, off, s[0:3], s32 offset:948 ; 4-byte Folded Spill
	v_cmpx_ne_u32_e32 0x7f, v4
	s_cbranch_execz .LBB257_777
; %bb.774:                              ;   in Loop: Header=BB257_11 Depth=1
	v_mov_b32_e32 v1, 7
	s_mov_b32 s22, exec_lo
	v_and_b32_sdwa v56, v0, v1 dst_sel:DWORD dst_unused:UNUSED_PAD src0_sel:BYTE_3 src1_sel:DWORD
	v_lshrrev_b32_e32 v1, 3, v4
	v_cmpx_gt_u32_e32 8, v4
; %bb.775:                              ;   in Loop: Header=BB257_11 Depth=1
	v_ffbh_u32_e32 v1, v56
	v_min_u32_e32 v1, 32, v1
	v_subrev_nc_u32_e32 v4, 28, v1
	v_sub_nc_u32_e32 v1, 29, v1
	v_lshlrev_b64 v[4:5], v4, v[56:57]
	v_and_b32_e32 v56, 7, v4
; %bb.776:                              ;   in Loop: Header=BB257_11 Depth=1
	s_or_b32 exec_lo, exec_lo, s22
	v_mov_b32_e32 v4, 24
	v_lshl_add_u32 v1, v1, 23, 0x3c000000
	v_lshlrev_b32_sdwa v0, v4, v0 dst_sel:DWORD dst_unused:UNUSED_PAD src0_sel:DWORD src1_sel:BYTE_3
	v_lshlrev_b32_e32 v4, 20, v56
	v_and_b32_e32 v0, 0x80000000, v0
	v_or3_b32 v1, v4, v0, v1
	v_mov_b32_e32 v0, v57
	buffer_store_dword v0, off, s[0:3], s32 offset:944 ; 4-byte Folded Spill
	buffer_store_dword v1, off, s[0:3], s32 offset:948 ; 4-byte Folded Spill
.LBB257_777:                            ;   in Loop: Header=BB257_11 Depth=1
	s_or_b32 exec_lo, exec_lo, s19
.LBB257_778:                            ;   in Loop: Header=BB257_11 Depth=1
	s_or_b32 exec_lo, exec_lo, s7
.LBB257_779:                            ;   in Loop: Header=BB257_11 Depth=1
	s_or_b32 exec_lo, exec_lo, s6
	flat_load_dword v0, v[2:3] offset:1024
	v_mov_b32_e32 v4, 0
	v_mov_b32_e32 v5, 0
	buffer_store_dword v4, off, s[0:3], s32 offset:968 ; 4-byte Folded Spill
	buffer_store_dword v5, off, s[0:3], s32 offset:972 ; 4-byte Folded Spill
	v_mov_b32_e32 v4, 0
	v_mov_b32_e32 v5, 0
	buffer_store_dword v4, off, s[0:3], s32 offset:960 ; 4-byte Folded Spill
	buffer_store_dword v5, off, s[0:3], s32 offset:964 ; 4-byte Folded Spill
	s_waitcnt vmcnt(0) lgkmcnt(0)
	v_cmp_ne_u16_sdwa s5, v0, v57 src0_sel:BYTE_0 src1_sel:DWORD
	s_and_saveexec_b32 s6, s5
	s_cbranch_execz .LBB257_787
; %bb.780:                              ;   in Loop: Header=BB257_11 Depth=1
	v_mov_b32_e32 v1, 0x80
	v_bfrev_b32_e32 v4, 1
	v_mov_b32_e32 v5, 0
	buffer_store_dword v4, off, s[0:3], s32 offset:960 ; 4-byte Folded Spill
	buffer_store_dword v5, off, s[0:3], s32 offset:964 ; 4-byte Folded Spill
	v_cmp_ne_u16_sdwa s5, v0, v1 src0_sel:BYTE_0 src1_sel:DWORD
	s_and_saveexec_b32 s7, s5
	s_cbranch_execz .LBB257_786
; %bb.781:                              ;   in Loop: Header=BB257_11 Depth=1
	v_mov_b32_e32 v5, 0x7f800001
	v_and_b32_e32 v4, 0x7f, v0
	v_mov_b32_e32 v6, 0
	s_mov_b32 s19, exec_lo
	buffer_store_dword v5, off, s[0:3], s32 offset:960 ; 4-byte Folded Spill
	buffer_store_dword v6, off, s[0:3], s32 offset:964 ; 4-byte Folded Spill
	v_cmpx_ne_u32_e32 0x7f, v4
	s_cbranch_execz .LBB257_785
; %bb.782:                              ;   in Loop: Header=BB257_11 Depth=1
	v_and_b32_e32 v56, 7, v0
	v_lshrrev_b32_e32 v1, 3, v4
	s_mov_b32 s22, exec_lo
	v_cmpx_gt_u32_e32 8, v4
; %bb.783:                              ;   in Loop: Header=BB257_11 Depth=1
	v_ffbh_u32_e32 v1, v56
	v_min_u32_e32 v1, 32, v1
	v_subrev_nc_u32_e32 v4, 28, v1
	v_sub_nc_u32_e32 v1, 29, v1
	v_lshlrev_b64 v[4:5], v4, v[56:57]
	v_and_b32_e32 v56, 7, v4
; %bb.784:                              ;   in Loop: Header=BB257_11 Depth=1
	s_or_b32 exec_lo, exec_lo, s22
	v_lshlrev_b32_e32 v4, 24, v0
	v_lshlrev_b32_e32 v5, 20, v56
	v_lshl_add_u32 v1, v1, 23, 0x3c000000
	v_and_b32_e32 v4, 0x80000000, v4
	v_or3_b32 v56, v5, v4, v1
	buffer_store_dword v56, off, s[0:3], s32 offset:960 ; 4-byte Folded Spill
	buffer_store_dword v57, off, s[0:3], s32 offset:964 ; 4-byte Folded Spill
.LBB257_785:                            ;   in Loop: Header=BB257_11 Depth=1
	s_or_b32 exec_lo, exec_lo, s19
.LBB257_786:                            ;   in Loop: Header=BB257_11 Depth=1
	s_or_b32 exec_lo, exec_lo, s7
.LBB257_787:                            ;   in Loop: Header=BB257_11 Depth=1
	s_or_b32 exec_lo, exec_lo, s6
	v_cmp_ne_u16_sdwa s5, v0, v57 src0_sel:BYTE_1 src1_sel:DWORD
	s_and_saveexec_b32 s6, s5
	s_cbranch_execz .LBB257_795
; %bb.788:                              ;   in Loop: Header=BB257_11 Depth=1
	v_mov_b32_e32 v1, 0x80
	v_mov_b32_e32 v90, v57
	buffer_store_dword v90, off, s[0:3], s32 offset:968 ; 4-byte Folded Spill
	buffer_store_dword v91, off, s[0:3], s32 offset:972 ; 4-byte Folded Spill
	v_cmp_ne_u16_sdwa s5, v0, v1 src0_sel:BYTE_1 src1_sel:DWORD
	s_and_saveexec_b32 s7, s5
	s_cbranch_execz .LBB257_794
; %bb.789:                              ;   in Loop: Header=BB257_11 Depth=1
	v_mov_b32_e32 v1, 0xffff
	v_mov_b32_e32 v120, v57
	s_mov_b32 s19, exec_lo
	buffer_store_dword v120, off, s[0:3], s32 offset:968 ; 4-byte Folded Spill
	buffer_store_dword v121, off, s[0:3], s32 offset:972 ; 4-byte Folded Spill
	v_and_b32_sdwa v1, v1, v0 dst_sel:DWORD dst_unused:UNUSED_PAD src0_sel:DWORD src1_sel:BYTE_1
	v_and_b32_e32 v4, 0x7f, v1
	v_cmpx_ne_u32_e32 0x7f, v4
	s_cbranch_execz .LBB257_793
; %bb.790:                              ;   in Loop: Header=BB257_11 Depth=1
	v_and_b32_e32 v56, 7, v1
	v_lshrrev_b32_e32 v1, 3, v4
	s_mov_b32 s22, exec_lo
	v_cmpx_gt_u32_e32 8, v4
; %bb.791:                              ;   in Loop: Header=BB257_11 Depth=1
	v_ffbh_u32_e32 v1, v56
	v_min_u32_e32 v1, 32, v1
	v_subrev_nc_u32_e32 v4, 28, v1
	v_sub_nc_u32_e32 v1, 29, v1
	v_lshlrev_b64 v[4:5], v4, v[56:57]
	v_and_b32_e32 v56, 7, v4
; %bb.792:                              ;   in Loop: Header=BB257_11 Depth=1
	s_or_b32 exec_lo, exec_lo, s22
	v_lshlrev_b32_e32 v4, 16, v0
	v_lshlrev_b32_e32 v5, 20, v56
	v_lshl_add_u32 v1, v1, 23, 0x3c000000
	v_and_b32_e32 v4, 0x80000000, v4
	v_or3_b32 v5, v5, v4, v1
	v_mov_b32_e32 v4, v57
	buffer_store_dword v4, off, s[0:3], s32 offset:968 ; 4-byte Folded Spill
	buffer_store_dword v5, off, s[0:3], s32 offset:972 ; 4-byte Folded Spill
.LBB257_793:                            ;   in Loop: Header=BB257_11 Depth=1
	s_or_b32 exec_lo, exec_lo, s19
.LBB257_794:                            ;   in Loop: Header=BB257_11 Depth=1
	s_or_b32 exec_lo, exec_lo, s7
.LBB257_795:                            ;   in Loop: Header=BB257_11 Depth=1
	s_or_b32 exec_lo, exec_lo, s6
	v_mov_b32_e32 v4, 0
	v_mov_b32_e32 v5, 0
	;; [unrolled: 1-line block ×3, first 2 shown]
	s_mov_b32 s6, exec_lo
	buffer_store_dword v4, off, s[0:3], s32 offset:976 ; 4-byte Folded Spill
	buffer_store_dword v5, off, s[0:3], s32 offset:980 ; 4-byte Folded Spill
	v_mov_b32_e32 v4, 0
	v_and_b32_sdwa v1, v0, v1 dst_sel:DWORD dst_unused:UNUSED_PAD src0_sel:WORD_1 src1_sel:DWORD
	v_mov_b32_e32 v5, 0
	buffer_store_dword v4, off, s[0:3], s32 offset:984 ; 4-byte Folded Spill
	buffer_store_dword v5, off, s[0:3], s32 offset:988 ; 4-byte Folded Spill
	v_cmpx_ne_u16_e32 0, v1
	s_cbranch_execz .LBB257_803
; %bb.796:                              ;   in Loop: Header=BB257_11 Depth=1
	v_bfrev_b32_e32 v4, 1
	v_mov_b32_e32 v5, 0
	s_mov_b32 s7, exec_lo
	buffer_store_dword v4, off, s[0:3], s32 offset:984 ; 4-byte Folded Spill
	buffer_store_dword v5, off, s[0:3], s32 offset:988 ; 4-byte Folded Spill
	v_cmpx_ne_u16_e32 0x80, v1
	s_cbranch_execz .LBB257_802
; %bb.797:                              ;   in Loop: Header=BB257_11 Depth=1
	v_mov_b32_e32 v5, 0x7f800001
	v_bfe_u32 v4, v0, 16, 7
	v_mov_b32_e32 v6, 0
	s_mov_b32 s19, exec_lo
	buffer_store_dword v5, off, s[0:3], s32 offset:984 ; 4-byte Folded Spill
	buffer_store_dword v6, off, s[0:3], s32 offset:988 ; 4-byte Folded Spill
	v_cmpx_ne_u32_e32 0x7f, v4
	s_cbranch_execz .LBB257_801
; %bb.798:                              ;   in Loop: Header=BB257_11 Depth=1
	v_mov_b32_e32 v1, 7
	s_mov_b32 s22, exec_lo
	v_and_b32_sdwa v56, v0, v1 dst_sel:DWORD dst_unused:UNUSED_PAD src0_sel:WORD_1 src1_sel:DWORD
	v_lshrrev_b32_e32 v1, 3, v4
	v_cmpx_gt_u32_e32 8, v4
; %bb.799:                              ;   in Loop: Header=BB257_11 Depth=1
	v_ffbh_u32_e32 v1, v56
	v_min_u32_e32 v1, 32, v1
	v_subrev_nc_u32_e32 v4, 28, v1
	v_sub_nc_u32_e32 v1, 29, v1
	v_lshlrev_b64 v[4:5], v4, v[56:57]
	v_and_b32_e32 v56, 7, v4
; %bb.800:                              ;   in Loop: Header=BB257_11 Depth=1
	s_or_b32 exec_lo, exec_lo, s22
	v_mov_b32_e32 v4, 24
	v_lshlrev_b32_e32 v5, 20, v56
	v_lshl_add_u32 v1, v1, 23, 0x3c000000
	v_lshlrev_b32_sdwa v4, v4, v0 dst_sel:DWORD dst_unused:UNUSED_PAD src0_sel:DWORD src1_sel:WORD_1
	v_and_b32_e32 v4, 0x80000000, v4
	v_or3_b32 v56, v5, v4, v1
	buffer_store_dword v56, off, s[0:3], s32 offset:984 ; 4-byte Folded Spill
	buffer_store_dword v57, off, s[0:3], s32 offset:988 ; 4-byte Folded Spill
.LBB257_801:                            ;   in Loop: Header=BB257_11 Depth=1
	s_or_b32 exec_lo, exec_lo, s19
.LBB257_802:                            ;   in Loop: Header=BB257_11 Depth=1
	s_or_b32 exec_lo, exec_lo, s7
.LBB257_803:                            ;   in Loop: Header=BB257_11 Depth=1
	s_or_b32 exec_lo, exec_lo, s6
	s_mov_b32 s6, exec_lo
	v_cmpx_lt_u32_e32 0xffffff, v0
	s_cbranch_execz .LBB257_811
; %bb.804:                              ;   in Loop: Header=BB257_11 Depth=1
	v_mov_b32_e32 v1, 0x80
	v_mov_b32_e32 v90, v57
	buffer_store_dword v90, off, s[0:3], s32 offset:976 ; 4-byte Folded Spill
	buffer_store_dword v91, off, s[0:3], s32 offset:980 ; 4-byte Folded Spill
	v_cmp_ne_u32_sdwa s5, v0, v1 src0_sel:BYTE_3 src1_sel:DWORD
	s_and_saveexec_b32 s7, s5
	s_cbranch_execz .LBB257_810
; %bb.805:                              ;   in Loop: Header=BB257_11 Depth=1
	v_bfe_u32 v4, v0, 24, 7
	v_mov_b32_e32 v120, v57
	s_mov_b32 s19, exec_lo
	buffer_store_dword v120, off, s[0:3], s32 offset:976 ; 4-byte Folded Spill
	buffer_store_dword v121, off, s[0:3], s32 offset:980 ; 4-byte Folded Spill
	v_cmpx_ne_u32_e32 0x7f, v4
	s_cbranch_execz .LBB257_809
; %bb.806:                              ;   in Loop: Header=BB257_11 Depth=1
	v_mov_b32_e32 v1, 7
	s_mov_b32 s22, exec_lo
	v_and_b32_sdwa v56, v0, v1 dst_sel:DWORD dst_unused:UNUSED_PAD src0_sel:BYTE_3 src1_sel:DWORD
	v_lshrrev_b32_e32 v1, 3, v4
	v_cmpx_gt_u32_e32 8, v4
; %bb.807:                              ;   in Loop: Header=BB257_11 Depth=1
	v_ffbh_u32_e32 v1, v56
	v_min_u32_e32 v1, 32, v1
	v_subrev_nc_u32_e32 v4, 28, v1
	v_sub_nc_u32_e32 v1, 29, v1
	v_lshlrev_b64 v[4:5], v4, v[56:57]
	v_and_b32_e32 v56, 7, v4
; %bb.808:                              ;   in Loop: Header=BB257_11 Depth=1
	s_or_b32 exec_lo, exec_lo, s22
	v_mov_b32_e32 v4, 24
	v_lshl_add_u32 v1, v1, 23, 0x3c000000
	v_lshlrev_b32_sdwa v0, v4, v0 dst_sel:DWORD dst_unused:UNUSED_PAD src0_sel:DWORD src1_sel:BYTE_3
	v_lshlrev_b32_e32 v4, 20, v56
	v_and_b32_e32 v0, 0x80000000, v0
	v_or3_b32 v1, v4, v0, v1
	v_mov_b32_e32 v0, v57
	buffer_store_dword v0, off, s[0:3], s32 offset:976 ; 4-byte Folded Spill
	buffer_store_dword v1, off, s[0:3], s32 offset:980 ; 4-byte Folded Spill
.LBB257_809:                            ;   in Loop: Header=BB257_11 Depth=1
	s_or_b32 exec_lo, exec_lo, s19
.LBB257_810:                            ;   in Loop: Header=BB257_11 Depth=1
	s_or_b32 exec_lo, exec_lo, s7
.LBB257_811:                            ;   in Loop: Header=BB257_11 Depth=1
	s_or_b32 exec_lo, exec_lo, s6
	flat_load_dword v0, v[2:3] offset:1028
	v_mov_b32_e32 v4, 0
	v_mov_b32_e32 v5, 0
	buffer_store_dword v4, off, s[0:3], s32 offset:1000 ; 4-byte Folded Spill
	buffer_store_dword v5, off, s[0:3], s32 offset:1004 ; 4-byte Folded Spill
	v_mov_b32_e32 v4, 0
	v_mov_b32_e32 v5, 0
	buffer_store_dword v4, off, s[0:3], s32 offset:992 ; 4-byte Folded Spill
	buffer_store_dword v5, off, s[0:3], s32 offset:996 ; 4-byte Folded Spill
	s_waitcnt vmcnt(0) lgkmcnt(0)
	v_cmp_ne_u16_sdwa s5, v0, v57 src0_sel:BYTE_0 src1_sel:DWORD
	s_and_saveexec_b32 s6, s5
	s_cbranch_execz .LBB257_819
; %bb.812:                              ;   in Loop: Header=BB257_11 Depth=1
	v_mov_b32_e32 v1, 0x80
	v_bfrev_b32_e32 v4, 1
	v_mov_b32_e32 v5, 0
	buffer_store_dword v4, off, s[0:3], s32 offset:992 ; 4-byte Folded Spill
	buffer_store_dword v5, off, s[0:3], s32 offset:996 ; 4-byte Folded Spill
	v_cmp_ne_u16_sdwa s5, v0, v1 src0_sel:BYTE_0 src1_sel:DWORD
	s_and_saveexec_b32 s7, s5
	s_cbranch_execz .LBB257_818
; %bb.813:                              ;   in Loop: Header=BB257_11 Depth=1
	v_mov_b32_e32 v5, 0x7f800001
	v_and_b32_e32 v4, 0x7f, v0
	v_mov_b32_e32 v6, 0
	s_mov_b32 s19, exec_lo
	buffer_store_dword v5, off, s[0:3], s32 offset:992 ; 4-byte Folded Spill
	buffer_store_dword v6, off, s[0:3], s32 offset:996 ; 4-byte Folded Spill
	v_cmpx_ne_u32_e32 0x7f, v4
	s_cbranch_execz .LBB257_817
; %bb.814:                              ;   in Loop: Header=BB257_11 Depth=1
	v_and_b32_e32 v56, 7, v0
	v_lshrrev_b32_e32 v1, 3, v4
	s_mov_b32 s22, exec_lo
	v_cmpx_gt_u32_e32 8, v4
; %bb.815:                              ;   in Loop: Header=BB257_11 Depth=1
	v_ffbh_u32_e32 v1, v56
	v_min_u32_e32 v1, 32, v1
	v_subrev_nc_u32_e32 v4, 28, v1
	v_sub_nc_u32_e32 v1, 29, v1
	v_lshlrev_b64 v[4:5], v4, v[56:57]
	v_and_b32_e32 v56, 7, v4
; %bb.816:                              ;   in Loop: Header=BB257_11 Depth=1
	s_or_b32 exec_lo, exec_lo, s22
	v_lshlrev_b32_e32 v4, 24, v0
	v_lshlrev_b32_e32 v5, 20, v56
	v_lshl_add_u32 v1, v1, 23, 0x3c000000
	v_and_b32_e32 v4, 0x80000000, v4
	v_or3_b32 v56, v5, v4, v1
	buffer_store_dword v56, off, s[0:3], s32 offset:992 ; 4-byte Folded Spill
	buffer_store_dword v57, off, s[0:3], s32 offset:996 ; 4-byte Folded Spill
.LBB257_817:                            ;   in Loop: Header=BB257_11 Depth=1
	s_or_b32 exec_lo, exec_lo, s19
.LBB257_818:                            ;   in Loop: Header=BB257_11 Depth=1
	s_or_b32 exec_lo, exec_lo, s7
.LBB257_819:                            ;   in Loop: Header=BB257_11 Depth=1
	s_or_b32 exec_lo, exec_lo, s6
	v_cmp_ne_u16_sdwa s5, v0, v57 src0_sel:BYTE_1 src1_sel:DWORD
	s_and_saveexec_b32 s6, s5
	s_cbranch_execz .LBB257_827
; %bb.820:                              ;   in Loop: Header=BB257_11 Depth=1
	v_mov_b32_e32 v1, 0x80
	v_mov_b32_e32 v90, v57
	buffer_store_dword v90, off, s[0:3], s32 offset:1000 ; 4-byte Folded Spill
	buffer_store_dword v91, off, s[0:3], s32 offset:1004 ; 4-byte Folded Spill
	v_cmp_ne_u16_sdwa s5, v0, v1 src0_sel:BYTE_1 src1_sel:DWORD
	s_and_saveexec_b32 s7, s5
	s_cbranch_execz .LBB257_826
; %bb.821:                              ;   in Loop: Header=BB257_11 Depth=1
	v_mov_b32_e32 v1, 0xffff
	v_mov_b32_e32 v120, v57
	s_mov_b32 s19, exec_lo
	buffer_store_dword v120, off, s[0:3], s32 offset:1000 ; 4-byte Folded Spill
	buffer_store_dword v121, off, s[0:3], s32 offset:1004 ; 4-byte Folded Spill
	v_and_b32_sdwa v1, v1, v0 dst_sel:DWORD dst_unused:UNUSED_PAD src0_sel:DWORD src1_sel:BYTE_1
	v_and_b32_e32 v4, 0x7f, v1
	v_cmpx_ne_u32_e32 0x7f, v4
	s_cbranch_execz .LBB257_825
; %bb.822:                              ;   in Loop: Header=BB257_11 Depth=1
	v_and_b32_e32 v56, 7, v1
	v_lshrrev_b32_e32 v1, 3, v4
	s_mov_b32 s22, exec_lo
	v_cmpx_gt_u32_e32 8, v4
; %bb.823:                              ;   in Loop: Header=BB257_11 Depth=1
	v_ffbh_u32_e32 v1, v56
	v_min_u32_e32 v1, 32, v1
	v_subrev_nc_u32_e32 v4, 28, v1
	v_sub_nc_u32_e32 v1, 29, v1
	v_lshlrev_b64 v[4:5], v4, v[56:57]
	v_and_b32_e32 v56, 7, v4
; %bb.824:                              ;   in Loop: Header=BB257_11 Depth=1
	s_or_b32 exec_lo, exec_lo, s22
	v_lshlrev_b32_e32 v4, 16, v0
	v_lshlrev_b32_e32 v5, 20, v56
	v_lshl_add_u32 v1, v1, 23, 0x3c000000
	v_and_b32_e32 v4, 0x80000000, v4
	v_or3_b32 v5, v5, v4, v1
	v_mov_b32_e32 v4, v57
	buffer_store_dword v4, off, s[0:3], s32 offset:1000 ; 4-byte Folded Spill
	buffer_store_dword v5, off, s[0:3], s32 offset:1004 ; 4-byte Folded Spill
.LBB257_825:                            ;   in Loop: Header=BB257_11 Depth=1
	s_or_b32 exec_lo, exec_lo, s19
.LBB257_826:                            ;   in Loop: Header=BB257_11 Depth=1
	s_or_b32 exec_lo, exec_lo, s7
.LBB257_827:                            ;   in Loop: Header=BB257_11 Depth=1
	s_or_b32 exec_lo, exec_lo, s6
	v_mov_b32_e32 v4, 0
	v_mov_b32_e32 v5, 0
	;; [unrolled: 1-line block ×3, first 2 shown]
	s_mov_b32 s6, exec_lo
	buffer_store_dword v4, off, s[0:3], s32 offset:1008 ; 4-byte Folded Spill
	buffer_store_dword v5, off, s[0:3], s32 offset:1012 ; 4-byte Folded Spill
	v_mov_b32_e32 v4, 0
	v_and_b32_sdwa v1, v0, v1 dst_sel:DWORD dst_unused:UNUSED_PAD src0_sel:WORD_1 src1_sel:DWORD
	v_mov_b32_e32 v5, 0
	buffer_store_dword v4, off, s[0:3], s32 offset:1016 ; 4-byte Folded Spill
	buffer_store_dword v5, off, s[0:3], s32 offset:1020 ; 4-byte Folded Spill
	v_cmpx_ne_u16_e32 0, v1
	s_cbranch_execz .LBB257_835
; %bb.828:                              ;   in Loop: Header=BB257_11 Depth=1
	v_bfrev_b32_e32 v4, 1
	v_mov_b32_e32 v5, 0
	s_mov_b32 s7, exec_lo
	buffer_store_dword v4, off, s[0:3], s32 offset:1016 ; 4-byte Folded Spill
	buffer_store_dword v5, off, s[0:3], s32 offset:1020 ; 4-byte Folded Spill
	v_cmpx_ne_u16_e32 0x80, v1
	s_cbranch_execz .LBB257_834
; %bb.829:                              ;   in Loop: Header=BB257_11 Depth=1
	v_mov_b32_e32 v5, 0x7f800001
	v_bfe_u32 v4, v0, 16, 7
	v_mov_b32_e32 v6, 0
	s_mov_b32 s19, exec_lo
	buffer_store_dword v5, off, s[0:3], s32 offset:1016 ; 4-byte Folded Spill
	buffer_store_dword v6, off, s[0:3], s32 offset:1020 ; 4-byte Folded Spill
	v_cmpx_ne_u32_e32 0x7f, v4
	s_cbranch_execz .LBB257_833
; %bb.830:                              ;   in Loop: Header=BB257_11 Depth=1
	v_mov_b32_e32 v1, 7
	s_mov_b32 s22, exec_lo
	v_and_b32_sdwa v56, v0, v1 dst_sel:DWORD dst_unused:UNUSED_PAD src0_sel:WORD_1 src1_sel:DWORD
	v_lshrrev_b32_e32 v1, 3, v4
	v_cmpx_gt_u32_e32 8, v4
; %bb.831:                              ;   in Loop: Header=BB257_11 Depth=1
	v_ffbh_u32_e32 v1, v56
	v_min_u32_e32 v1, 32, v1
	v_subrev_nc_u32_e32 v4, 28, v1
	v_sub_nc_u32_e32 v1, 29, v1
	v_lshlrev_b64 v[4:5], v4, v[56:57]
	v_and_b32_e32 v56, 7, v4
; %bb.832:                              ;   in Loop: Header=BB257_11 Depth=1
	s_or_b32 exec_lo, exec_lo, s22
	v_mov_b32_e32 v4, 24
	v_lshlrev_b32_e32 v5, 20, v56
	v_lshl_add_u32 v1, v1, 23, 0x3c000000
	v_lshlrev_b32_sdwa v4, v4, v0 dst_sel:DWORD dst_unused:UNUSED_PAD src0_sel:DWORD src1_sel:WORD_1
	v_and_b32_e32 v4, 0x80000000, v4
	v_or3_b32 v56, v5, v4, v1
	buffer_store_dword v56, off, s[0:3], s32 offset:1016 ; 4-byte Folded Spill
	buffer_store_dword v57, off, s[0:3], s32 offset:1020 ; 4-byte Folded Spill
.LBB257_833:                            ;   in Loop: Header=BB257_11 Depth=1
	s_or_b32 exec_lo, exec_lo, s19
.LBB257_834:                            ;   in Loop: Header=BB257_11 Depth=1
	s_or_b32 exec_lo, exec_lo, s7
.LBB257_835:                            ;   in Loop: Header=BB257_11 Depth=1
	s_or_b32 exec_lo, exec_lo, s6
	s_mov_b32 s6, exec_lo
	v_cmpx_lt_u32_e32 0xffffff, v0
	s_cbranch_execz .LBB257_843
; %bb.836:                              ;   in Loop: Header=BB257_11 Depth=1
	v_mov_b32_e32 v1, 0x80
	v_mov_b32_e32 v90, v57
	buffer_store_dword v90, off, s[0:3], s32 offset:1008 ; 4-byte Folded Spill
	buffer_store_dword v91, off, s[0:3], s32 offset:1012 ; 4-byte Folded Spill
	v_cmp_ne_u32_sdwa s5, v0, v1 src0_sel:BYTE_3 src1_sel:DWORD
	s_and_saveexec_b32 s7, s5
	s_cbranch_execz .LBB257_842
; %bb.837:                              ;   in Loop: Header=BB257_11 Depth=1
	v_bfe_u32 v4, v0, 24, 7
	v_mov_b32_e32 v120, v57
	s_mov_b32 s19, exec_lo
	buffer_store_dword v120, off, s[0:3], s32 offset:1008 ; 4-byte Folded Spill
	buffer_store_dword v121, off, s[0:3], s32 offset:1012 ; 4-byte Folded Spill
	v_cmpx_ne_u32_e32 0x7f, v4
	s_cbranch_execz .LBB257_841
; %bb.838:                              ;   in Loop: Header=BB257_11 Depth=1
	v_mov_b32_e32 v1, 7
	s_mov_b32 s22, exec_lo
	v_and_b32_sdwa v56, v0, v1 dst_sel:DWORD dst_unused:UNUSED_PAD src0_sel:BYTE_3 src1_sel:DWORD
	v_lshrrev_b32_e32 v1, 3, v4
	v_cmpx_gt_u32_e32 8, v4
; %bb.839:                              ;   in Loop: Header=BB257_11 Depth=1
	v_ffbh_u32_e32 v1, v56
	v_min_u32_e32 v1, 32, v1
	v_subrev_nc_u32_e32 v4, 28, v1
	v_sub_nc_u32_e32 v1, 29, v1
	v_lshlrev_b64 v[4:5], v4, v[56:57]
	v_and_b32_e32 v56, 7, v4
; %bb.840:                              ;   in Loop: Header=BB257_11 Depth=1
	s_or_b32 exec_lo, exec_lo, s22
	v_mov_b32_e32 v4, 24
	v_lshl_add_u32 v1, v1, 23, 0x3c000000
	v_lshlrev_b32_sdwa v0, v4, v0 dst_sel:DWORD dst_unused:UNUSED_PAD src0_sel:DWORD src1_sel:BYTE_3
	v_lshlrev_b32_e32 v4, 20, v56
	v_and_b32_e32 v0, 0x80000000, v0
	v_or3_b32 v1, v4, v0, v1
	v_mov_b32_e32 v0, v57
	buffer_store_dword v0, off, s[0:3], s32 offset:1008 ; 4-byte Folded Spill
	buffer_store_dword v1, off, s[0:3], s32 offset:1012 ; 4-byte Folded Spill
.LBB257_841:                            ;   in Loop: Header=BB257_11 Depth=1
	s_or_b32 exec_lo, exec_lo, s19
.LBB257_842:                            ;   in Loop: Header=BB257_11 Depth=1
	s_or_b32 exec_lo, exec_lo, s7
.LBB257_843:                            ;   in Loop: Header=BB257_11 Depth=1
	s_or_b32 exec_lo, exec_lo, s6
	flat_load_dword v0, v[2:3] offset:1032
	v_mov_b32_e32 v4, 0
	v_mov_b32_e32 v5, 0
	buffer_store_dword v4, off, s[0:3], s32 offset:1032 ; 4-byte Folded Spill
	buffer_store_dword v5, off, s[0:3], s32 offset:1036 ; 4-byte Folded Spill
	v_mov_b32_e32 v4, 0
	v_mov_b32_e32 v5, 0
	buffer_store_dword v4, off, s[0:3], s32 offset:1024 ; 4-byte Folded Spill
	buffer_store_dword v5, off, s[0:3], s32 offset:1028 ; 4-byte Folded Spill
	s_waitcnt vmcnt(0) lgkmcnt(0)
	v_cmp_ne_u16_sdwa s5, v0, v57 src0_sel:BYTE_0 src1_sel:DWORD
	s_and_saveexec_b32 s6, s5
	s_cbranch_execz .LBB257_851
; %bb.844:                              ;   in Loop: Header=BB257_11 Depth=1
	v_mov_b32_e32 v1, 0x80
	v_bfrev_b32_e32 v4, 1
	v_mov_b32_e32 v5, 0
	buffer_store_dword v4, off, s[0:3], s32 offset:1024 ; 4-byte Folded Spill
	buffer_store_dword v5, off, s[0:3], s32 offset:1028 ; 4-byte Folded Spill
	v_cmp_ne_u16_sdwa s5, v0, v1 src0_sel:BYTE_0 src1_sel:DWORD
	s_and_saveexec_b32 s7, s5
	s_cbranch_execz .LBB257_850
; %bb.845:                              ;   in Loop: Header=BB257_11 Depth=1
	v_mov_b32_e32 v5, 0x7f800001
	v_and_b32_e32 v4, 0x7f, v0
	v_mov_b32_e32 v6, 0
	s_mov_b32 s19, exec_lo
	buffer_store_dword v5, off, s[0:3], s32 offset:1024 ; 4-byte Folded Spill
	buffer_store_dword v6, off, s[0:3], s32 offset:1028 ; 4-byte Folded Spill
	v_cmpx_ne_u32_e32 0x7f, v4
	s_cbranch_execz .LBB257_849
; %bb.846:                              ;   in Loop: Header=BB257_11 Depth=1
	v_and_b32_e32 v56, 7, v0
	v_lshrrev_b32_e32 v1, 3, v4
	s_mov_b32 s22, exec_lo
	v_cmpx_gt_u32_e32 8, v4
; %bb.847:                              ;   in Loop: Header=BB257_11 Depth=1
	v_ffbh_u32_e32 v1, v56
	v_min_u32_e32 v1, 32, v1
	v_subrev_nc_u32_e32 v4, 28, v1
	v_sub_nc_u32_e32 v1, 29, v1
	v_lshlrev_b64 v[4:5], v4, v[56:57]
	v_and_b32_e32 v56, 7, v4
; %bb.848:                              ;   in Loop: Header=BB257_11 Depth=1
	s_or_b32 exec_lo, exec_lo, s22
	v_lshlrev_b32_e32 v4, 24, v0
	v_lshlrev_b32_e32 v5, 20, v56
	v_lshl_add_u32 v1, v1, 23, 0x3c000000
	v_and_b32_e32 v4, 0x80000000, v4
	v_or3_b32 v56, v5, v4, v1
	buffer_store_dword v56, off, s[0:3], s32 offset:1024 ; 4-byte Folded Spill
	buffer_store_dword v57, off, s[0:3], s32 offset:1028 ; 4-byte Folded Spill
.LBB257_849:                            ;   in Loop: Header=BB257_11 Depth=1
	s_or_b32 exec_lo, exec_lo, s19
.LBB257_850:                            ;   in Loop: Header=BB257_11 Depth=1
	s_or_b32 exec_lo, exec_lo, s7
.LBB257_851:                            ;   in Loop: Header=BB257_11 Depth=1
	s_or_b32 exec_lo, exec_lo, s6
	v_cmp_ne_u16_sdwa s5, v0, v57 src0_sel:BYTE_1 src1_sel:DWORD
	s_and_saveexec_b32 s6, s5
	s_cbranch_execz .LBB257_859
; %bb.852:                              ;   in Loop: Header=BB257_11 Depth=1
	v_mov_b32_e32 v1, 0x80
	v_mov_b32_e32 v90, v57
	buffer_store_dword v90, off, s[0:3], s32 offset:1032 ; 4-byte Folded Spill
	buffer_store_dword v91, off, s[0:3], s32 offset:1036 ; 4-byte Folded Spill
	v_cmp_ne_u16_sdwa s5, v0, v1 src0_sel:BYTE_1 src1_sel:DWORD
	s_and_saveexec_b32 s7, s5
	s_cbranch_execz .LBB257_858
; %bb.853:                              ;   in Loop: Header=BB257_11 Depth=1
	v_mov_b32_e32 v1, 0xffff
	v_mov_b32_e32 v120, v57
	s_mov_b32 s19, exec_lo
	buffer_store_dword v120, off, s[0:3], s32 offset:1032 ; 4-byte Folded Spill
	buffer_store_dword v121, off, s[0:3], s32 offset:1036 ; 4-byte Folded Spill
	v_and_b32_sdwa v1, v1, v0 dst_sel:DWORD dst_unused:UNUSED_PAD src0_sel:DWORD src1_sel:BYTE_1
	v_and_b32_e32 v4, 0x7f, v1
	v_cmpx_ne_u32_e32 0x7f, v4
	s_cbranch_execz .LBB257_857
; %bb.854:                              ;   in Loop: Header=BB257_11 Depth=1
	v_and_b32_e32 v56, 7, v1
	v_lshrrev_b32_e32 v1, 3, v4
	s_mov_b32 s22, exec_lo
	v_cmpx_gt_u32_e32 8, v4
; %bb.855:                              ;   in Loop: Header=BB257_11 Depth=1
	v_ffbh_u32_e32 v1, v56
	v_min_u32_e32 v1, 32, v1
	v_subrev_nc_u32_e32 v4, 28, v1
	v_sub_nc_u32_e32 v1, 29, v1
	v_lshlrev_b64 v[4:5], v4, v[56:57]
	v_and_b32_e32 v56, 7, v4
; %bb.856:                              ;   in Loop: Header=BB257_11 Depth=1
	s_or_b32 exec_lo, exec_lo, s22
	v_lshlrev_b32_e32 v4, 16, v0
	v_lshlrev_b32_e32 v5, 20, v56
	v_lshl_add_u32 v1, v1, 23, 0x3c000000
	v_and_b32_e32 v4, 0x80000000, v4
	v_or3_b32 v5, v5, v4, v1
	v_mov_b32_e32 v4, v57
	buffer_store_dword v4, off, s[0:3], s32 offset:1032 ; 4-byte Folded Spill
	buffer_store_dword v5, off, s[0:3], s32 offset:1036 ; 4-byte Folded Spill
.LBB257_857:                            ;   in Loop: Header=BB257_11 Depth=1
	s_or_b32 exec_lo, exec_lo, s19
.LBB257_858:                            ;   in Loop: Header=BB257_11 Depth=1
	s_or_b32 exec_lo, exec_lo, s7
.LBB257_859:                            ;   in Loop: Header=BB257_11 Depth=1
	s_or_b32 exec_lo, exec_lo, s6
	v_mov_b32_e32 v4, 0
	v_mov_b32_e32 v5, 0
	;; [unrolled: 1-line block ×3, first 2 shown]
	s_mov_b32 s6, exec_lo
	buffer_store_dword v4, off, s[0:3], s32 offset:1040 ; 4-byte Folded Spill
	buffer_store_dword v5, off, s[0:3], s32 offset:1044 ; 4-byte Folded Spill
	v_mov_b32_e32 v4, 0
	v_and_b32_sdwa v1, v0, v1 dst_sel:DWORD dst_unused:UNUSED_PAD src0_sel:WORD_1 src1_sel:DWORD
	v_mov_b32_e32 v5, 0
	buffer_store_dword v4, off, s[0:3], s32 offset:1048 ; 4-byte Folded Spill
	buffer_store_dword v5, off, s[0:3], s32 offset:1052 ; 4-byte Folded Spill
	v_cmpx_ne_u16_e32 0, v1
	s_cbranch_execz .LBB257_867
; %bb.860:                              ;   in Loop: Header=BB257_11 Depth=1
	v_bfrev_b32_e32 v4, 1
	v_mov_b32_e32 v5, 0
	s_mov_b32 s7, exec_lo
	buffer_store_dword v4, off, s[0:3], s32 offset:1048 ; 4-byte Folded Spill
	buffer_store_dword v5, off, s[0:3], s32 offset:1052 ; 4-byte Folded Spill
	v_cmpx_ne_u16_e32 0x80, v1
	s_cbranch_execz .LBB257_866
; %bb.861:                              ;   in Loop: Header=BB257_11 Depth=1
	v_mov_b32_e32 v5, 0x7f800001
	v_bfe_u32 v4, v0, 16, 7
	v_mov_b32_e32 v6, 0
	s_mov_b32 s19, exec_lo
	buffer_store_dword v5, off, s[0:3], s32 offset:1048 ; 4-byte Folded Spill
	buffer_store_dword v6, off, s[0:3], s32 offset:1052 ; 4-byte Folded Spill
	v_cmpx_ne_u32_e32 0x7f, v4
	s_cbranch_execz .LBB257_865
; %bb.862:                              ;   in Loop: Header=BB257_11 Depth=1
	v_mov_b32_e32 v1, 7
	s_mov_b32 s22, exec_lo
	v_and_b32_sdwa v56, v0, v1 dst_sel:DWORD dst_unused:UNUSED_PAD src0_sel:WORD_1 src1_sel:DWORD
	v_lshrrev_b32_e32 v1, 3, v4
	v_cmpx_gt_u32_e32 8, v4
; %bb.863:                              ;   in Loop: Header=BB257_11 Depth=1
	v_ffbh_u32_e32 v1, v56
	v_min_u32_e32 v1, 32, v1
	v_subrev_nc_u32_e32 v4, 28, v1
	v_sub_nc_u32_e32 v1, 29, v1
	v_lshlrev_b64 v[4:5], v4, v[56:57]
	v_and_b32_e32 v56, 7, v4
; %bb.864:                              ;   in Loop: Header=BB257_11 Depth=1
	s_or_b32 exec_lo, exec_lo, s22
	v_mov_b32_e32 v4, 24
	v_lshlrev_b32_e32 v5, 20, v56
	v_lshl_add_u32 v1, v1, 23, 0x3c000000
	v_lshlrev_b32_sdwa v4, v4, v0 dst_sel:DWORD dst_unused:UNUSED_PAD src0_sel:DWORD src1_sel:WORD_1
	v_and_b32_e32 v4, 0x80000000, v4
	v_or3_b32 v56, v5, v4, v1
	buffer_store_dword v56, off, s[0:3], s32 offset:1048 ; 4-byte Folded Spill
	buffer_store_dword v57, off, s[0:3], s32 offset:1052 ; 4-byte Folded Spill
.LBB257_865:                            ;   in Loop: Header=BB257_11 Depth=1
	s_or_b32 exec_lo, exec_lo, s19
.LBB257_866:                            ;   in Loop: Header=BB257_11 Depth=1
	s_or_b32 exec_lo, exec_lo, s7
.LBB257_867:                            ;   in Loop: Header=BB257_11 Depth=1
	s_or_b32 exec_lo, exec_lo, s6
	s_mov_b32 s6, exec_lo
	v_cmpx_lt_u32_e32 0xffffff, v0
	s_cbranch_execz .LBB257_875
; %bb.868:                              ;   in Loop: Header=BB257_11 Depth=1
	v_mov_b32_e32 v1, 0x80
	v_mov_b32_e32 v90, v57
	buffer_store_dword v90, off, s[0:3], s32 offset:1040 ; 4-byte Folded Spill
	buffer_store_dword v91, off, s[0:3], s32 offset:1044 ; 4-byte Folded Spill
	v_cmp_ne_u32_sdwa s5, v0, v1 src0_sel:BYTE_3 src1_sel:DWORD
	s_and_saveexec_b32 s7, s5
	s_cbranch_execz .LBB257_874
; %bb.869:                              ;   in Loop: Header=BB257_11 Depth=1
	v_bfe_u32 v4, v0, 24, 7
	v_mov_b32_e32 v120, v57
	s_mov_b32 s19, exec_lo
	buffer_store_dword v120, off, s[0:3], s32 offset:1040 ; 4-byte Folded Spill
	buffer_store_dword v121, off, s[0:3], s32 offset:1044 ; 4-byte Folded Spill
	v_cmpx_ne_u32_e32 0x7f, v4
	s_cbranch_execz .LBB257_873
; %bb.870:                              ;   in Loop: Header=BB257_11 Depth=1
	v_mov_b32_e32 v1, 7
	s_mov_b32 s22, exec_lo
	v_and_b32_sdwa v56, v0, v1 dst_sel:DWORD dst_unused:UNUSED_PAD src0_sel:BYTE_3 src1_sel:DWORD
	v_lshrrev_b32_e32 v1, 3, v4
	v_cmpx_gt_u32_e32 8, v4
; %bb.871:                              ;   in Loop: Header=BB257_11 Depth=1
	v_ffbh_u32_e32 v1, v56
	v_min_u32_e32 v1, 32, v1
	v_subrev_nc_u32_e32 v4, 28, v1
	v_sub_nc_u32_e32 v1, 29, v1
	v_lshlrev_b64 v[4:5], v4, v[56:57]
	v_and_b32_e32 v56, 7, v4
; %bb.872:                              ;   in Loop: Header=BB257_11 Depth=1
	s_or_b32 exec_lo, exec_lo, s22
	v_mov_b32_e32 v4, 24
	v_lshl_add_u32 v1, v1, 23, 0x3c000000
	v_lshlrev_b32_sdwa v0, v4, v0 dst_sel:DWORD dst_unused:UNUSED_PAD src0_sel:DWORD src1_sel:BYTE_3
	v_lshlrev_b32_e32 v4, 20, v56
	v_and_b32_e32 v0, 0x80000000, v0
	v_or3_b32 v1, v4, v0, v1
	v_mov_b32_e32 v0, v57
	buffer_store_dword v0, off, s[0:3], s32 offset:1040 ; 4-byte Folded Spill
	buffer_store_dword v1, off, s[0:3], s32 offset:1044 ; 4-byte Folded Spill
.LBB257_873:                            ;   in Loop: Header=BB257_11 Depth=1
	s_or_b32 exec_lo, exec_lo, s19
.LBB257_874:                            ;   in Loop: Header=BB257_11 Depth=1
	s_or_b32 exec_lo, exec_lo, s7
.LBB257_875:                            ;   in Loop: Header=BB257_11 Depth=1
	s_or_b32 exec_lo, exec_lo, s6
	flat_load_dword v0, v[2:3] offset:1036
	v_mov_b32_e32 v4, 0
	v_mov_b32_e32 v5, 0
	buffer_store_dword v4, off, s[0:3], s32 offset:1064 ; 4-byte Folded Spill
	buffer_store_dword v5, off, s[0:3], s32 offset:1068 ; 4-byte Folded Spill
	v_mov_b32_e32 v4, 0
	v_mov_b32_e32 v5, 0
	buffer_store_dword v4, off, s[0:3], s32 offset:1056 ; 4-byte Folded Spill
	buffer_store_dword v5, off, s[0:3], s32 offset:1060 ; 4-byte Folded Spill
	s_waitcnt vmcnt(0) lgkmcnt(0)
	v_cmp_ne_u16_sdwa s5, v0, v57 src0_sel:BYTE_0 src1_sel:DWORD
	s_and_saveexec_b32 s6, s5
	s_cbranch_execz .LBB257_883
; %bb.876:                              ;   in Loop: Header=BB257_11 Depth=1
	v_mov_b32_e32 v1, 0x80
	v_bfrev_b32_e32 v4, 1
	v_mov_b32_e32 v5, 0
	buffer_store_dword v4, off, s[0:3], s32 offset:1056 ; 4-byte Folded Spill
	buffer_store_dword v5, off, s[0:3], s32 offset:1060 ; 4-byte Folded Spill
	v_cmp_ne_u16_sdwa s5, v0, v1 src0_sel:BYTE_0 src1_sel:DWORD
	s_and_saveexec_b32 s7, s5
	s_cbranch_execz .LBB257_882
; %bb.877:                              ;   in Loop: Header=BB257_11 Depth=1
	v_mov_b32_e32 v5, 0x7f800001
	v_and_b32_e32 v4, 0x7f, v0
	v_mov_b32_e32 v6, 0
	s_mov_b32 s19, exec_lo
	buffer_store_dword v5, off, s[0:3], s32 offset:1056 ; 4-byte Folded Spill
	buffer_store_dword v6, off, s[0:3], s32 offset:1060 ; 4-byte Folded Spill
	v_cmpx_ne_u32_e32 0x7f, v4
	s_cbranch_execz .LBB257_881
; %bb.878:                              ;   in Loop: Header=BB257_11 Depth=1
	v_and_b32_e32 v56, 7, v0
	v_lshrrev_b32_e32 v1, 3, v4
	s_mov_b32 s22, exec_lo
	v_cmpx_gt_u32_e32 8, v4
; %bb.879:                              ;   in Loop: Header=BB257_11 Depth=1
	v_ffbh_u32_e32 v1, v56
	v_min_u32_e32 v1, 32, v1
	v_subrev_nc_u32_e32 v4, 28, v1
	v_sub_nc_u32_e32 v1, 29, v1
	v_lshlrev_b64 v[4:5], v4, v[56:57]
	v_and_b32_e32 v56, 7, v4
; %bb.880:                              ;   in Loop: Header=BB257_11 Depth=1
	s_or_b32 exec_lo, exec_lo, s22
	v_lshlrev_b32_e32 v4, 24, v0
	v_lshlrev_b32_e32 v5, 20, v56
	v_lshl_add_u32 v1, v1, 23, 0x3c000000
	v_and_b32_e32 v4, 0x80000000, v4
	v_or3_b32 v56, v5, v4, v1
	buffer_store_dword v56, off, s[0:3], s32 offset:1056 ; 4-byte Folded Spill
	buffer_store_dword v57, off, s[0:3], s32 offset:1060 ; 4-byte Folded Spill
.LBB257_881:                            ;   in Loop: Header=BB257_11 Depth=1
	s_or_b32 exec_lo, exec_lo, s19
.LBB257_882:                            ;   in Loop: Header=BB257_11 Depth=1
	s_or_b32 exec_lo, exec_lo, s7
.LBB257_883:                            ;   in Loop: Header=BB257_11 Depth=1
	s_or_b32 exec_lo, exec_lo, s6
	v_cmp_ne_u16_sdwa s5, v0, v57 src0_sel:BYTE_1 src1_sel:DWORD
	s_and_saveexec_b32 s6, s5
	s_cbranch_execz .LBB257_891
; %bb.884:                              ;   in Loop: Header=BB257_11 Depth=1
	v_mov_b32_e32 v1, 0x80
	v_mov_b32_e32 v90, v57
	buffer_store_dword v90, off, s[0:3], s32 offset:1064 ; 4-byte Folded Spill
	buffer_store_dword v91, off, s[0:3], s32 offset:1068 ; 4-byte Folded Spill
	v_cmp_ne_u16_sdwa s5, v0, v1 src0_sel:BYTE_1 src1_sel:DWORD
	s_and_saveexec_b32 s7, s5
	s_cbranch_execz .LBB257_890
; %bb.885:                              ;   in Loop: Header=BB257_11 Depth=1
	v_mov_b32_e32 v1, 0xffff
	v_mov_b32_e32 v120, v57
	s_mov_b32 s19, exec_lo
	buffer_store_dword v120, off, s[0:3], s32 offset:1064 ; 4-byte Folded Spill
	buffer_store_dword v121, off, s[0:3], s32 offset:1068 ; 4-byte Folded Spill
	v_and_b32_sdwa v1, v1, v0 dst_sel:DWORD dst_unused:UNUSED_PAD src0_sel:DWORD src1_sel:BYTE_1
	v_and_b32_e32 v4, 0x7f, v1
	v_cmpx_ne_u32_e32 0x7f, v4
	s_cbranch_execz .LBB257_889
; %bb.886:                              ;   in Loop: Header=BB257_11 Depth=1
	v_and_b32_e32 v56, 7, v1
	v_lshrrev_b32_e32 v1, 3, v4
	s_mov_b32 s22, exec_lo
	v_cmpx_gt_u32_e32 8, v4
; %bb.887:                              ;   in Loop: Header=BB257_11 Depth=1
	v_ffbh_u32_e32 v1, v56
	v_min_u32_e32 v1, 32, v1
	v_subrev_nc_u32_e32 v4, 28, v1
	v_sub_nc_u32_e32 v1, 29, v1
	v_lshlrev_b64 v[4:5], v4, v[56:57]
	v_and_b32_e32 v56, 7, v4
; %bb.888:                              ;   in Loop: Header=BB257_11 Depth=1
	s_or_b32 exec_lo, exec_lo, s22
	v_lshlrev_b32_e32 v4, 16, v0
	v_lshlrev_b32_e32 v5, 20, v56
	v_lshl_add_u32 v1, v1, 23, 0x3c000000
	v_and_b32_e32 v4, 0x80000000, v4
	v_or3_b32 v5, v5, v4, v1
	v_mov_b32_e32 v4, v57
	buffer_store_dword v4, off, s[0:3], s32 offset:1064 ; 4-byte Folded Spill
	buffer_store_dword v5, off, s[0:3], s32 offset:1068 ; 4-byte Folded Spill
.LBB257_889:                            ;   in Loop: Header=BB257_11 Depth=1
	s_or_b32 exec_lo, exec_lo, s19
.LBB257_890:                            ;   in Loop: Header=BB257_11 Depth=1
	s_or_b32 exec_lo, exec_lo, s7
.LBB257_891:                            ;   in Loop: Header=BB257_11 Depth=1
	s_or_b32 exec_lo, exec_lo, s6
	v_mov_b32_e32 v4, 0
	v_mov_b32_e32 v5, 0
	;; [unrolled: 1-line block ×3, first 2 shown]
	s_mov_b32 s6, exec_lo
	buffer_store_dword v4, off, s[0:3], s32 offset:1072 ; 4-byte Folded Spill
	buffer_store_dword v5, off, s[0:3], s32 offset:1076 ; 4-byte Folded Spill
	v_mov_b32_e32 v4, 0
	v_and_b32_sdwa v1, v0, v1 dst_sel:DWORD dst_unused:UNUSED_PAD src0_sel:WORD_1 src1_sel:DWORD
	v_mov_b32_e32 v5, 0
	buffer_store_dword v4, off, s[0:3], s32 offset:1080 ; 4-byte Folded Spill
	buffer_store_dword v5, off, s[0:3], s32 offset:1084 ; 4-byte Folded Spill
	v_cmpx_ne_u16_e32 0, v1
	s_cbranch_execz .LBB257_899
; %bb.892:                              ;   in Loop: Header=BB257_11 Depth=1
	v_bfrev_b32_e32 v4, 1
	v_mov_b32_e32 v5, 0
	s_mov_b32 s7, exec_lo
	buffer_store_dword v4, off, s[0:3], s32 offset:1080 ; 4-byte Folded Spill
	buffer_store_dword v5, off, s[0:3], s32 offset:1084 ; 4-byte Folded Spill
	v_cmpx_ne_u16_e32 0x80, v1
	s_cbranch_execz .LBB257_898
; %bb.893:                              ;   in Loop: Header=BB257_11 Depth=1
	v_mov_b32_e32 v5, 0x7f800001
	v_bfe_u32 v4, v0, 16, 7
	v_mov_b32_e32 v6, 0
	s_mov_b32 s19, exec_lo
	buffer_store_dword v5, off, s[0:3], s32 offset:1080 ; 4-byte Folded Spill
	buffer_store_dword v6, off, s[0:3], s32 offset:1084 ; 4-byte Folded Spill
	v_cmpx_ne_u32_e32 0x7f, v4
	s_cbranch_execz .LBB257_897
; %bb.894:                              ;   in Loop: Header=BB257_11 Depth=1
	v_mov_b32_e32 v1, 7
	s_mov_b32 s22, exec_lo
	v_and_b32_sdwa v56, v0, v1 dst_sel:DWORD dst_unused:UNUSED_PAD src0_sel:WORD_1 src1_sel:DWORD
	v_lshrrev_b32_e32 v1, 3, v4
	v_cmpx_gt_u32_e32 8, v4
; %bb.895:                              ;   in Loop: Header=BB257_11 Depth=1
	v_ffbh_u32_e32 v1, v56
	v_min_u32_e32 v1, 32, v1
	v_subrev_nc_u32_e32 v4, 28, v1
	v_sub_nc_u32_e32 v1, 29, v1
	v_lshlrev_b64 v[4:5], v4, v[56:57]
	v_and_b32_e32 v56, 7, v4
; %bb.896:                              ;   in Loop: Header=BB257_11 Depth=1
	s_or_b32 exec_lo, exec_lo, s22
	v_mov_b32_e32 v4, 24
	v_lshlrev_b32_e32 v5, 20, v56
	v_lshl_add_u32 v1, v1, 23, 0x3c000000
	v_lshlrev_b32_sdwa v4, v4, v0 dst_sel:DWORD dst_unused:UNUSED_PAD src0_sel:DWORD src1_sel:WORD_1
	v_and_b32_e32 v4, 0x80000000, v4
	v_or3_b32 v56, v5, v4, v1
	buffer_store_dword v56, off, s[0:3], s32 offset:1080 ; 4-byte Folded Spill
	buffer_store_dword v57, off, s[0:3], s32 offset:1084 ; 4-byte Folded Spill
.LBB257_897:                            ;   in Loop: Header=BB257_11 Depth=1
	s_or_b32 exec_lo, exec_lo, s19
.LBB257_898:                            ;   in Loop: Header=BB257_11 Depth=1
	s_or_b32 exec_lo, exec_lo, s7
.LBB257_899:                            ;   in Loop: Header=BB257_11 Depth=1
	s_or_b32 exec_lo, exec_lo, s6
	s_mov_b32 s6, exec_lo
	v_cmpx_lt_u32_e32 0xffffff, v0
	s_cbranch_execz .LBB257_907
; %bb.900:                              ;   in Loop: Header=BB257_11 Depth=1
	v_mov_b32_e32 v1, 0x80
	v_mov_b32_e32 v90, v57
	buffer_store_dword v90, off, s[0:3], s32 offset:1072 ; 4-byte Folded Spill
	buffer_store_dword v91, off, s[0:3], s32 offset:1076 ; 4-byte Folded Spill
	v_cmp_ne_u32_sdwa s5, v0, v1 src0_sel:BYTE_3 src1_sel:DWORD
	s_and_saveexec_b32 s7, s5
	s_cbranch_execz .LBB257_906
; %bb.901:                              ;   in Loop: Header=BB257_11 Depth=1
	v_bfe_u32 v4, v0, 24, 7
	v_mov_b32_e32 v120, v57
	s_mov_b32 s19, exec_lo
	buffer_store_dword v120, off, s[0:3], s32 offset:1072 ; 4-byte Folded Spill
	buffer_store_dword v121, off, s[0:3], s32 offset:1076 ; 4-byte Folded Spill
	v_cmpx_ne_u32_e32 0x7f, v4
	s_cbranch_execz .LBB257_905
; %bb.902:                              ;   in Loop: Header=BB257_11 Depth=1
	v_mov_b32_e32 v1, 7
	s_mov_b32 s22, exec_lo
	v_and_b32_sdwa v56, v0, v1 dst_sel:DWORD dst_unused:UNUSED_PAD src0_sel:BYTE_3 src1_sel:DWORD
	v_lshrrev_b32_e32 v1, 3, v4
	v_cmpx_gt_u32_e32 8, v4
; %bb.903:                              ;   in Loop: Header=BB257_11 Depth=1
	v_ffbh_u32_e32 v1, v56
	v_min_u32_e32 v1, 32, v1
	v_subrev_nc_u32_e32 v4, 28, v1
	v_sub_nc_u32_e32 v1, 29, v1
	v_lshlrev_b64 v[4:5], v4, v[56:57]
	v_and_b32_e32 v56, 7, v4
; %bb.904:                              ;   in Loop: Header=BB257_11 Depth=1
	s_or_b32 exec_lo, exec_lo, s22
	v_mov_b32_e32 v4, 24
	v_lshl_add_u32 v1, v1, 23, 0x3c000000
	v_lshlrev_b32_sdwa v0, v4, v0 dst_sel:DWORD dst_unused:UNUSED_PAD src0_sel:DWORD src1_sel:BYTE_3
	v_lshlrev_b32_e32 v4, 20, v56
	v_and_b32_e32 v0, 0x80000000, v0
	v_or3_b32 v1, v4, v0, v1
	v_mov_b32_e32 v0, v57
	buffer_store_dword v0, off, s[0:3], s32 offset:1072 ; 4-byte Folded Spill
	buffer_store_dword v1, off, s[0:3], s32 offset:1076 ; 4-byte Folded Spill
.LBB257_905:                            ;   in Loop: Header=BB257_11 Depth=1
	s_or_b32 exec_lo, exec_lo, s19
.LBB257_906:                            ;   in Loop: Header=BB257_11 Depth=1
	s_or_b32 exec_lo, exec_lo, s7
.LBB257_907:                            ;   in Loop: Header=BB257_11 Depth=1
	s_or_b32 exec_lo, exec_lo, s6
	flat_load_dword v0, v[2:3] offset:1536
	v_mov_b32_e32 v4, 0
	v_mov_b32_e32 v5, 0
	buffer_store_dword v4, off, s[0:3], s32 offset:1096 ; 4-byte Folded Spill
	buffer_store_dword v5, off, s[0:3], s32 offset:1100 ; 4-byte Folded Spill
	v_mov_b32_e32 v4, 0
	v_mov_b32_e32 v5, 0
	buffer_store_dword v4, off, s[0:3], s32 offset:1088 ; 4-byte Folded Spill
	buffer_store_dword v5, off, s[0:3], s32 offset:1092 ; 4-byte Folded Spill
	s_waitcnt vmcnt(0) lgkmcnt(0)
	v_cmp_ne_u16_sdwa s5, v0, v57 src0_sel:BYTE_0 src1_sel:DWORD
	s_and_saveexec_b32 s6, s5
	s_cbranch_execz .LBB257_915
; %bb.908:                              ;   in Loop: Header=BB257_11 Depth=1
	v_mov_b32_e32 v1, 0x80
	v_bfrev_b32_e32 v4, 1
	v_mov_b32_e32 v5, 0
	buffer_store_dword v4, off, s[0:3], s32 offset:1088 ; 4-byte Folded Spill
	buffer_store_dword v5, off, s[0:3], s32 offset:1092 ; 4-byte Folded Spill
	v_cmp_ne_u16_sdwa s5, v0, v1 src0_sel:BYTE_0 src1_sel:DWORD
	s_and_saveexec_b32 s7, s5
	s_cbranch_execz .LBB257_914
; %bb.909:                              ;   in Loop: Header=BB257_11 Depth=1
	v_mov_b32_e32 v5, 0x7f800001
	v_and_b32_e32 v4, 0x7f, v0
	v_mov_b32_e32 v6, 0
	s_mov_b32 s19, exec_lo
	buffer_store_dword v5, off, s[0:3], s32 offset:1088 ; 4-byte Folded Spill
	buffer_store_dword v6, off, s[0:3], s32 offset:1092 ; 4-byte Folded Spill
	v_cmpx_ne_u32_e32 0x7f, v4
	s_cbranch_execz .LBB257_913
; %bb.910:                              ;   in Loop: Header=BB257_11 Depth=1
	v_and_b32_e32 v56, 7, v0
	v_lshrrev_b32_e32 v1, 3, v4
	s_mov_b32 s22, exec_lo
	v_cmpx_gt_u32_e32 8, v4
; %bb.911:                              ;   in Loop: Header=BB257_11 Depth=1
	v_ffbh_u32_e32 v1, v56
	v_min_u32_e32 v1, 32, v1
	v_subrev_nc_u32_e32 v4, 28, v1
	v_sub_nc_u32_e32 v1, 29, v1
	v_lshlrev_b64 v[4:5], v4, v[56:57]
	v_and_b32_e32 v56, 7, v4
; %bb.912:                              ;   in Loop: Header=BB257_11 Depth=1
	s_or_b32 exec_lo, exec_lo, s22
	v_lshlrev_b32_e32 v4, 24, v0
	v_lshlrev_b32_e32 v5, 20, v56
	v_lshl_add_u32 v1, v1, 23, 0x3c000000
	v_and_b32_e32 v4, 0x80000000, v4
	v_or3_b32 v56, v5, v4, v1
	buffer_store_dword v56, off, s[0:3], s32 offset:1088 ; 4-byte Folded Spill
	buffer_store_dword v57, off, s[0:3], s32 offset:1092 ; 4-byte Folded Spill
.LBB257_913:                            ;   in Loop: Header=BB257_11 Depth=1
	s_or_b32 exec_lo, exec_lo, s19
.LBB257_914:                            ;   in Loop: Header=BB257_11 Depth=1
	s_or_b32 exec_lo, exec_lo, s7
.LBB257_915:                            ;   in Loop: Header=BB257_11 Depth=1
	s_or_b32 exec_lo, exec_lo, s6
	v_cmp_ne_u16_sdwa s5, v0, v57 src0_sel:BYTE_1 src1_sel:DWORD
	s_and_saveexec_b32 s6, s5
	s_cbranch_execz .LBB257_923
; %bb.916:                              ;   in Loop: Header=BB257_11 Depth=1
	v_mov_b32_e32 v1, 0x80
	v_mov_b32_e32 v90, v57
	buffer_store_dword v90, off, s[0:3], s32 offset:1096 ; 4-byte Folded Spill
	buffer_store_dword v91, off, s[0:3], s32 offset:1100 ; 4-byte Folded Spill
	v_cmp_ne_u16_sdwa s5, v0, v1 src0_sel:BYTE_1 src1_sel:DWORD
	s_and_saveexec_b32 s7, s5
	s_cbranch_execz .LBB257_922
; %bb.917:                              ;   in Loop: Header=BB257_11 Depth=1
	v_mov_b32_e32 v1, 0xffff
	v_mov_b32_e32 v120, v57
	s_mov_b32 s19, exec_lo
	buffer_store_dword v120, off, s[0:3], s32 offset:1096 ; 4-byte Folded Spill
	buffer_store_dword v121, off, s[0:3], s32 offset:1100 ; 4-byte Folded Spill
	v_and_b32_sdwa v1, v1, v0 dst_sel:DWORD dst_unused:UNUSED_PAD src0_sel:DWORD src1_sel:BYTE_1
	v_and_b32_e32 v4, 0x7f, v1
	v_cmpx_ne_u32_e32 0x7f, v4
	s_cbranch_execz .LBB257_921
; %bb.918:                              ;   in Loop: Header=BB257_11 Depth=1
	v_and_b32_e32 v56, 7, v1
	v_lshrrev_b32_e32 v1, 3, v4
	s_mov_b32 s22, exec_lo
	v_cmpx_gt_u32_e32 8, v4
; %bb.919:                              ;   in Loop: Header=BB257_11 Depth=1
	v_ffbh_u32_e32 v1, v56
	v_min_u32_e32 v1, 32, v1
	v_subrev_nc_u32_e32 v4, 28, v1
	v_sub_nc_u32_e32 v1, 29, v1
	v_lshlrev_b64 v[4:5], v4, v[56:57]
	v_and_b32_e32 v56, 7, v4
; %bb.920:                              ;   in Loop: Header=BB257_11 Depth=1
	s_or_b32 exec_lo, exec_lo, s22
	v_lshlrev_b32_e32 v4, 16, v0
	v_lshlrev_b32_e32 v5, 20, v56
	v_lshl_add_u32 v1, v1, 23, 0x3c000000
	v_and_b32_e32 v4, 0x80000000, v4
	v_or3_b32 v5, v5, v4, v1
	v_mov_b32_e32 v4, v57
	buffer_store_dword v4, off, s[0:3], s32 offset:1096 ; 4-byte Folded Spill
	buffer_store_dword v5, off, s[0:3], s32 offset:1100 ; 4-byte Folded Spill
.LBB257_921:                            ;   in Loop: Header=BB257_11 Depth=1
	s_or_b32 exec_lo, exec_lo, s19
.LBB257_922:                            ;   in Loop: Header=BB257_11 Depth=1
	s_or_b32 exec_lo, exec_lo, s7
.LBB257_923:                            ;   in Loop: Header=BB257_11 Depth=1
	s_or_b32 exec_lo, exec_lo, s6
	v_mov_b32_e32 v4, 0
	v_mov_b32_e32 v5, 0
	;; [unrolled: 1-line block ×3, first 2 shown]
	s_mov_b32 s6, exec_lo
	buffer_store_dword v4, off, s[0:3], s32 offset:1104 ; 4-byte Folded Spill
	buffer_store_dword v5, off, s[0:3], s32 offset:1108 ; 4-byte Folded Spill
	v_mov_b32_e32 v4, 0
	v_and_b32_sdwa v1, v0, v1 dst_sel:DWORD dst_unused:UNUSED_PAD src0_sel:WORD_1 src1_sel:DWORD
	v_mov_b32_e32 v5, 0
	buffer_store_dword v4, off, s[0:3], s32 offset:1112 ; 4-byte Folded Spill
	buffer_store_dword v5, off, s[0:3], s32 offset:1116 ; 4-byte Folded Spill
	v_cmpx_ne_u16_e32 0, v1
	s_cbranch_execz .LBB257_931
; %bb.924:                              ;   in Loop: Header=BB257_11 Depth=1
	v_bfrev_b32_e32 v4, 1
	v_mov_b32_e32 v5, 0
	s_mov_b32 s7, exec_lo
	buffer_store_dword v4, off, s[0:3], s32 offset:1112 ; 4-byte Folded Spill
	buffer_store_dword v5, off, s[0:3], s32 offset:1116 ; 4-byte Folded Spill
	v_cmpx_ne_u16_e32 0x80, v1
	s_cbranch_execz .LBB257_930
; %bb.925:                              ;   in Loop: Header=BB257_11 Depth=1
	v_mov_b32_e32 v5, 0x7f800001
	v_bfe_u32 v4, v0, 16, 7
	v_mov_b32_e32 v6, 0
	s_mov_b32 s19, exec_lo
	buffer_store_dword v5, off, s[0:3], s32 offset:1112 ; 4-byte Folded Spill
	buffer_store_dword v6, off, s[0:3], s32 offset:1116 ; 4-byte Folded Spill
	v_cmpx_ne_u32_e32 0x7f, v4
	s_cbranch_execz .LBB257_929
; %bb.926:                              ;   in Loop: Header=BB257_11 Depth=1
	v_mov_b32_e32 v1, 7
	s_mov_b32 s22, exec_lo
	v_and_b32_sdwa v56, v0, v1 dst_sel:DWORD dst_unused:UNUSED_PAD src0_sel:WORD_1 src1_sel:DWORD
	v_lshrrev_b32_e32 v1, 3, v4
	v_cmpx_gt_u32_e32 8, v4
; %bb.927:                              ;   in Loop: Header=BB257_11 Depth=1
	v_ffbh_u32_e32 v1, v56
	v_min_u32_e32 v1, 32, v1
	v_subrev_nc_u32_e32 v4, 28, v1
	v_sub_nc_u32_e32 v1, 29, v1
	v_lshlrev_b64 v[4:5], v4, v[56:57]
	v_and_b32_e32 v56, 7, v4
; %bb.928:                              ;   in Loop: Header=BB257_11 Depth=1
	s_or_b32 exec_lo, exec_lo, s22
	v_mov_b32_e32 v4, 24
	v_lshlrev_b32_e32 v5, 20, v56
	v_lshl_add_u32 v1, v1, 23, 0x3c000000
	v_lshlrev_b32_sdwa v4, v4, v0 dst_sel:DWORD dst_unused:UNUSED_PAD src0_sel:DWORD src1_sel:WORD_1
	v_and_b32_e32 v4, 0x80000000, v4
	v_or3_b32 v56, v5, v4, v1
	buffer_store_dword v56, off, s[0:3], s32 offset:1112 ; 4-byte Folded Spill
	buffer_store_dword v57, off, s[0:3], s32 offset:1116 ; 4-byte Folded Spill
.LBB257_929:                            ;   in Loop: Header=BB257_11 Depth=1
	s_or_b32 exec_lo, exec_lo, s19
.LBB257_930:                            ;   in Loop: Header=BB257_11 Depth=1
	s_or_b32 exec_lo, exec_lo, s7
.LBB257_931:                            ;   in Loop: Header=BB257_11 Depth=1
	s_or_b32 exec_lo, exec_lo, s6
	s_mov_b32 s6, exec_lo
	v_cmpx_lt_u32_e32 0xffffff, v0
	s_cbranch_execz .LBB257_939
; %bb.932:                              ;   in Loop: Header=BB257_11 Depth=1
	v_mov_b32_e32 v1, 0x80
	v_mov_b32_e32 v90, v57
	buffer_store_dword v90, off, s[0:3], s32 offset:1104 ; 4-byte Folded Spill
	buffer_store_dword v91, off, s[0:3], s32 offset:1108 ; 4-byte Folded Spill
	v_cmp_ne_u32_sdwa s5, v0, v1 src0_sel:BYTE_3 src1_sel:DWORD
	s_and_saveexec_b32 s7, s5
	s_cbranch_execz .LBB257_938
; %bb.933:                              ;   in Loop: Header=BB257_11 Depth=1
	v_bfe_u32 v4, v0, 24, 7
	v_mov_b32_e32 v120, v57
	s_mov_b32 s19, exec_lo
	buffer_store_dword v120, off, s[0:3], s32 offset:1104 ; 4-byte Folded Spill
	buffer_store_dword v121, off, s[0:3], s32 offset:1108 ; 4-byte Folded Spill
	v_cmpx_ne_u32_e32 0x7f, v4
	s_cbranch_execz .LBB257_937
; %bb.934:                              ;   in Loop: Header=BB257_11 Depth=1
	v_mov_b32_e32 v1, 7
	s_mov_b32 s22, exec_lo
	v_and_b32_sdwa v56, v0, v1 dst_sel:DWORD dst_unused:UNUSED_PAD src0_sel:BYTE_3 src1_sel:DWORD
	v_lshrrev_b32_e32 v1, 3, v4
	v_cmpx_gt_u32_e32 8, v4
; %bb.935:                              ;   in Loop: Header=BB257_11 Depth=1
	v_ffbh_u32_e32 v1, v56
	v_min_u32_e32 v1, 32, v1
	v_subrev_nc_u32_e32 v4, 28, v1
	v_sub_nc_u32_e32 v1, 29, v1
	v_lshlrev_b64 v[4:5], v4, v[56:57]
	v_and_b32_e32 v56, 7, v4
; %bb.936:                              ;   in Loop: Header=BB257_11 Depth=1
	s_or_b32 exec_lo, exec_lo, s22
	v_mov_b32_e32 v4, 24
	v_lshl_add_u32 v1, v1, 23, 0x3c000000
	v_lshlrev_b32_sdwa v0, v4, v0 dst_sel:DWORD dst_unused:UNUSED_PAD src0_sel:DWORD src1_sel:BYTE_3
	v_lshlrev_b32_e32 v4, 20, v56
	v_and_b32_e32 v0, 0x80000000, v0
	v_or3_b32 v1, v4, v0, v1
	v_mov_b32_e32 v0, v57
	buffer_store_dword v0, off, s[0:3], s32 offset:1104 ; 4-byte Folded Spill
	buffer_store_dword v1, off, s[0:3], s32 offset:1108 ; 4-byte Folded Spill
.LBB257_937:                            ;   in Loop: Header=BB257_11 Depth=1
	s_or_b32 exec_lo, exec_lo, s19
.LBB257_938:                            ;   in Loop: Header=BB257_11 Depth=1
	s_or_b32 exec_lo, exec_lo, s7
.LBB257_939:                            ;   in Loop: Header=BB257_11 Depth=1
	s_or_b32 exec_lo, exec_lo, s6
	flat_load_dword v0, v[2:3] offset:1540
	v_mov_b32_e32 v4, 0
	v_mov_b32_e32 v5, 0
	buffer_store_dword v4, off, s[0:3], s32 offset:1128 ; 4-byte Folded Spill
	buffer_store_dword v5, off, s[0:3], s32 offset:1132 ; 4-byte Folded Spill
	v_mov_b32_e32 v4, 0
	v_mov_b32_e32 v5, 0
	buffer_store_dword v4, off, s[0:3], s32 offset:1120 ; 4-byte Folded Spill
	buffer_store_dword v5, off, s[0:3], s32 offset:1124 ; 4-byte Folded Spill
	s_waitcnt vmcnt(0) lgkmcnt(0)
	v_cmp_ne_u16_sdwa s5, v0, v57 src0_sel:BYTE_0 src1_sel:DWORD
	s_and_saveexec_b32 s6, s5
	s_cbranch_execz .LBB257_947
; %bb.940:                              ;   in Loop: Header=BB257_11 Depth=1
	v_mov_b32_e32 v1, 0x80
	v_bfrev_b32_e32 v4, 1
	v_mov_b32_e32 v5, 0
	buffer_store_dword v4, off, s[0:3], s32 offset:1120 ; 4-byte Folded Spill
	buffer_store_dword v5, off, s[0:3], s32 offset:1124 ; 4-byte Folded Spill
	v_cmp_ne_u16_sdwa s5, v0, v1 src0_sel:BYTE_0 src1_sel:DWORD
	s_and_saveexec_b32 s7, s5
	s_cbranch_execz .LBB257_946
; %bb.941:                              ;   in Loop: Header=BB257_11 Depth=1
	v_mov_b32_e32 v5, 0x7f800001
	v_and_b32_e32 v4, 0x7f, v0
	v_mov_b32_e32 v6, 0
	s_mov_b32 s19, exec_lo
	buffer_store_dword v5, off, s[0:3], s32 offset:1120 ; 4-byte Folded Spill
	buffer_store_dword v6, off, s[0:3], s32 offset:1124 ; 4-byte Folded Spill
	v_cmpx_ne_u32_e32 0x7f, v4
	s_cbranch_execz .LBB257_945
; %bb.942:                              ;   in Loop: Header=BB257_11 Depth=1
	v_and_b32_e32 v56, 7, v0
	v_lshrrev_b32_e32 v1, 3, v4
	s_mov_b32 s22, exec_lo
	v_cmpx_gt_u32_e32 8, v4
; %bb.943:                              ;   in Loop: Header=BB257_11 Depth=1
	v_ffbh_u32_e32 v1, v56
	v_min_u32_e32 v1, 32, v1
	v_subrev_nc_u32_e32 v4, 28, v1
	v_sub_nc_u32_e32 v1, 29, v1
	v_lshlrev_b64 v[4:5], v4, v[56:57]
	v_and_b32_e32 v56, 7, v4
; %bb.944:                              ;   in Loop: Header=BB257_11 Depth=1
	s_or_b32 exec_lo, exec_lo, s22
	v_lshlrev_b32_e32 v4, 24, v0
	v_lshlrev_b32_e32 v5, 20, v56
	v_lshl_add_u32 v1, v1, 23, 0x3c000000
	v_and_b32_e32 v4, 0x80000000, v4
	v_or3_b32 v56, v5, v4, v1
	buffer_store_dword v56, off, s[0:3], s32 offset:1120 ; 4-byte Folded Spill
	buffer_store_dword v57, off, s[0:3], s32 offset:1124 ; 4-byte Folded Spill
.LBB257_945:                            ;   in Loop: Header=BB257_11 Depth=1
	s_or_b32 exec_lo, exec_lo, s19
.LBB257_946:                            ;   in Loop: Header=BB257_11 Depth=1
	s_or_b32 exec_lo, exec_lo, s7
.LBB257_947:                            ;   in Loop: Header=BB257_11 Depth=1
	s_or_b32 exec_lo, exec_lo, s6
	v_cmp_ne_u16_sdwa s5, v0, v57 src0_sel:BYTE_1 src1_sel:DWORD
	s_and_saveexec_b32 s6, s5
	s_cbranch_execz .LBB257_955
; %bb.948:                              ;   in Loop: Header=BB257_11 Depth=1
	v_mov_b32_e32 v1, 0x80
	v_mov_b32_e32 v90, v57
	buffer_store_dword v90, off, s[0:3], s32 offset:1128 ; 4-byte Folded Spill
	buffer_store_dword v91, off, s[0:3], s32 offset:1132 ; 4-byte Folded Spill
	v_cmp_ne_u16_sdwa s5, v0, v1 src0_sel:BYTE_1 src1_sel:DWORD
	s_and_saveexec_b32 s7, s5
	s_cbranch_execz .LBB257_954
; %bb.949:                              ;   in Loop: Header=BB257_11 Depth=1
	v_mov_b32_e32 v1, 0xffff
	v_mov_b32_e32 v120, v57
	s_mov_b32 s19, exec_lo
	buffer_store_dword v120, off, s[0:3], s32 offset:1128 ; 4-byte Folded Spill
	buffer_store_dword v121, off, s[0:3], s32 offset:1132 ; 4-byte Folded Spill
	v_and_b32_sdwa v1, v1, v0 dst_sel:DWORD dst_unused:UNUSED_PAD src0_sel:DWORD src1_sel:BYTE_1
	v_and_b32_e32 v4, 0x7f, v1
	v_cmpx_ne_u32_e32 0x7f, v4
	s_cbranch_execz .LBB257_953
; %bb.950:                              ;   in Loop: Header=BB257_11 Depth=1
	v_and_b32_e32 v56, 7, v1
	v_lshrrev_b32_e32 v1, 3, v4
	s_mov_b32 s22, exec_lo
	v_cmpx_gt_u32_e32 8, v4
; %bb.951:                              ;   in Loop: Header=BB257_11 Depth=1
	v_ffbh_u32_e32 v1, v56
	v_min_u32_e32 v1, 32, v1
	v_subrev_nc_u32_e32 v4, 28, v1
	v_sub_nc_u32_e32 v1, 29, v1
	v_lshlrev_b64 v[4:5], v4, v[56:57]
	v_and_b32_e32 v56, 7, v4
; %bb.952:                              ;   in Loop: Header=BB257_11 Depth=1
	s_or_b32 exec_lo, exec_lo, s22
	v_lshlrev_b32_e32 v4, 16, v0
	v_lshlrev_b32_e32 v5, 20, v56
	v_lshl_add_u32 v1, v1, 23, 0x3c000000
	v_and_b32_e32 v4, 0x80000000, v4
	v_or3_b32 v5, v5, v4, v1
	v_mov_b32_e32 v4, v57
	buffer_store_dword v4, off, s[0:3], s32 offset:1128 ; 4-byte Folded Spill
	buffer_store_dword v5, off, s[0:3], s32 offset:1132 ; 4-byte Folded Spill
.LBB257_953:                            ;   in Loop: Header=BB257_11 Depth=1
	s_or_b32 exec_lo, exec_lo, s19
.LBB257_954:                            ;   in Loop: Header=BB257_11 Depth=1
	s_or_b32 exec_lo, exec_lo, s7
.LBB257_955:                            ;   in Loop: Header=BB257_11 Depth=1
	s_or_b32 exec_lo, exec_lo, s6
	v_mov_b32_e32 v4, 0
	v_mov_b32_e32 v5, 0
	;; [unrolled: 1-line block ×3, first 2 shown]
	s_mov_b32 s6, exec_lo
	buffer_store_dword v4, off, s[0:3], s32 offset:1136 ; 4-byte Folded Spill
	buffer_store_dword v5, off, s[0:3], s32 offset:1140 ; 4-byte Folded Spill
	v_mov_b32_e32 v4, 0
	v_and_b32_sdwa v1, v0, v1 dst_sel:DWORD dst_unused:UNUSED_PAD src0_sel:WORD_1 src1_sel:DWORD
	v_mov_b32_e32 v5, 0
	buffer_store_dword v4, off, s[0:3], s32 offset:1144 ; 4-byte Folded Spill
	buffer_store_dword v5, off, s[0:3], s32 offset:1148 ; 4-byte Folded Spill
	v_cmpx_ne_u16_e32 0, v1
	s_cbranch_execz .LBB257_963
; %bb.956:                              ;   in Loop: Header=BB257_11 Depth=1
	v_bfrev_b32_e32 v4, 1
	v_mov_b32_e32 v5, 0
	s_mov_b32 s7, exec_lo
	buffer_store_dword v4, off, s[0:3], s32 offset:1144 ; 4-byte Folded Spill
	buffer_store_dword v5, off, s[0:3], s32 offset:1148 ; 4-byte Folded Spill
	v_cmpx_ne_u16_e32 0x80, v1
	s_cbranch_execz .LBB257_962
; %bb.957:                              ;   in Loop: Header=BB257_11 Depth=1
	v_mov_b32_e32 v5, 0x7f800001
	v_bfe_u32 v4, v0, 16, 7
	v_mov_b32_e32 v6, 0
	s_mov_b32 s19, exec_lo
	buffer_store_dword v5, off, s[0:3], s32 offset:1144 ; 4-byte Folded Spill
	buffer_store_dword v6, off, s[0:3], s32 offset:1148 ; 4-byte Folded Spill
	v_cmpx_ne_u32_e32 0x7f, v4
	s_cbranch_execz .LBB257_961
; %bb.958:                              ;   in Loop: Header=BB257_11 Depth=1
	v_mov_b32_e32 v1, 7
	s_mov_b32 s22, exec_lo
	v_and_b32_sdwa v56, v0, v1 dst_sel:DWORD dst_unused:UNUSED_PAD src0_sel:WORD_1 src1_sel:DWORD
	v_lshrrev_b32_e32 v1, 3, v4
	v_cmpx_gt_u32_e32 8, v4
; %bb.959:                              ;   in Loop: Header=BB257_11 Depth=1
	v_ffbh_u32_e32 v1, v56
	v_min_u32_e32 v1, 32, v1
	v_subrev_nc_u32_e32 v4, 28, v1
	v_sub_nc_u32_e32 v1, 29, v1
	v_lshlrev_b64 v[4:5], v4, v[56:57]
	v_and_b32_e32 v56, 7, v4
; %bb.960:                              ;   in Loop: Header=BB257_11 Depth=1
	s_or_b32 exec_lo, exec_lo, s22
	v_mov_b32_e32 v4, 24
	v_lshlrev_b32_e32 v5, 20, v56
	v_lshl_add_u32 v1, v1, 23, 0x3c000000
	v_lshlrev_b32_sdwa v4, v4, v0 dst_sel:DWORD dst_unused:UNUSED_PAD src0_sel:DWORD src1_sel:WORD_1
	v_and_b32_e32 v4, 0x80000000, v4
	v_or3_b32 v56, v5, v4, v1
	buffer_store_dword v56, off, s[0:3], s32 offset:1144 ; 4-byte Folded Spill
	buffer_store_dword v57, off, s[0:3], s32 offset:1148 ; 4-byte Folded Spill
.LBB257_961:                            ;   in Loop: Header=BB257_11 Depth=1
	s_or_b32 exec_lo, exec_lo, s19
.LBB257_962:                            ;   in Loop: Header=BB257_11 Depth=1
	s_or_b32 exec_lo, exec_lo, s7
.LBB257_963:                            ;   in Loop: Header=BB257_11 Depth=1
	s_or_b32 exec_lo, exec_lo, s6
	s_mov_b32 s6, exec_lo
	v_cmpx_lt_u32_e32 0xffffff, v0
	s_cbranch_execz .LBB257_971
; %bb.964:                              ;   in Loop: Header=BB257_11 Depth=1
	v_mov_b32_e32 v1, 0x80
	v_mov_b32_e32 v90, v57
	buffer_store_dword v90, off, s[0:3], s32 offset:1136 ; 4-byte Folded Spill
	buffer_store_dword v91, off, s[0:3], s32 offset:1140 ; 4-byte Folded Spill
	v_cmp_ne_u32_sdwa s5, v0, v1 src0_sel:BYTE_3 src1_sel:DWORD
	s_and_saveexec_b32 s7, s5
	s_cbranch_execz .LBB257_970
; %bb.965:                              ;   in Loop: Header=BB257_11 Depth=1
	v_bfe_u32 v4, v0, 24, 7
	v_mov_b32_e32 v120, v57
	s_mov_b32 s19, exec_lo
	buffer_store_dword v120, off, s[0:3], s32 offset:1136 ; 4-byte Folded Spill
	buffer_store_dword v121, off, s[0:3], s32 offset:1140 ; 4-byte Folded Spill
	v_cmpx_ne_u32_e32 0x7f, v4
	s_cbranch_execz .LBB257_969
; %bb.966:                              ;   in Loop: Header=BB257_11 Depth=1
	v_mov_b32_e32 v1, 7
	s_mov_b32 s22, exec_lo
	v_and_b32_sdwa v56, v0, v1 dst_sel:DWORD dst_unused:UNUSED_PAD src0_sel:BYTE_3 src1_sel:DWORD
	v_lshrrev_b32_e32 v1, 3, v4
	v_cmpx_gt_u32_e32 8, v4
; %bb.967:                              ;   in Loop: Header=BB257_11 Depth=1
	v_ffbh_u32_e32 v1, v56
	v_min_u32_e32 v1, 32, v1
	v_subrev_nc_u32_e32 v4, 28, v1
	v_sub_nc_u32_e32 v1, 29, v1
	v_lshlrev_b64 v[4:5], v4, v[56:57]
	v_and_b32_e32 v56, 7, v4
; %bb.968:                              ;   in Loop: Header=BB257_11 Depth=1
	s_or_b32 exec_lo, exec_lo, s22
	v_mov_b32_e32 v4, 24
	v_lshl_add_u32 v1, v1, 23, 0x3c000000
	v_lshlrev_b32_sdwa v0, v4, v0 dst_sel:DWORD dst_unused:UNUSED_PAD src0_sel:DWORD src1_sel:BYTE_3
	v_lshlrev_b32_e32 v4, 20, v56
	v_and_b32_e32 v0, 0x80000000, v0
	v_or3_b32 v1, v4, v0, v1
	v_mov_b32_e32 v0, v57
	buffer_store_dword v0, off, s[0:3], s32 offset:1136 ; 4-byte Folded Spill
	buffer_store_dword v1, off, s[0:3], s32 offset:1140 ; 4-byte Folded Spill
.LBB257_969:                            ;   in Loop: Header=BB257_11 Depth=1
	s_or_b32 exec_lo, exec_lo, s19
.LBB257_970:                            ;   in Loop: Header=BB257_11 Depth=1
	s_or_b32 exec_lo, exec_lo, s7
.LBB257_971:                            ;   in Loop: Header=BB257_11 Depth=1
	s_or_b32 exec_lo, exec_lo, s6
	flat_load_dword v0, v[2:3] offset:1544
	v_mov_b32_e32 v4, 0
	v_mov_b32_e32 v5, 0
	buffer_store_dword v4, off, s[0:3], s32 offset:1160 ; 4-byte Folded Spill
	buffer_store_dword v5, off, s[0:3], s32 offset:1164 ; 4-byte Folded Spill
	v_mov_b32_e32 v4, 0
	v_mov_b32_e32 v5, 0
	buffer_store_dword v4, off, s[0:3], s32 offset:1152 ; 4-byte Folded Spill
	buffer_store_dword v5, off, s[0:3], s32 offset:1156 ; 4-byte Folded Spill
	s_waitcnt vmcnt(0) lgkmcnt(0)
	v_cmp_ne_u16_sdwa s5, v0, v57 src0_sel:BYTE_0 src1_sel:DWORD
	s_and_saveexec_b32 s6, s5
	s_cbranch_execz .LBB257_979
; %bb.972:                              ;   in Loop: Header=BB257_11 Depth=1
	v_mov_b32_e32 v1, 0x80
	v_bfrev_b32_e32 v4, 1
	v_mov_b32_e32 v5, 0
	buffer_store_dword v4, off, s[0:3], s32 offset:1152 ; 4-byte Folded Spill
	buffer_store_dword v5, off, s[0:3], s32 offset:1156 ; 4-byte Folded Spill
	v_cmp_ne_u16_sdwa s5, v0, v1 src0_sel:BYTE_0 src1_sel:DWORD
	s_and_saveexec_b32 s7, s5
	s_cbranch_execz .LBB257_978
; %bb.973:                              ;   in Loop: Header=BB257_11 Depth=1
	v_mov_b32_e32 v5, 0x7f800001
	v_and_b32_e32 v4, 0x7f, v0
	v_mov_b32_e32 v6, 0
	s_mov_b32 s19, exec_lo
	buffer_store_dword v5, off, s[0:3], s32 offset:1152 ; 4-byte Folded Spill
	buffer_store_dword v6, off, s[0:3], s32 offset:1156 ; 4-byte Folded Spill
	v_cmpx_ne_u32_e32 0x7f, v4
	s_cbranch_execz .LBB257_977
; %bb.974:                              ;   in Loop: Header=BB257_11 Depth=1
	v_and_b32_e32 v56, 7, v0
	v_lshrrev_b32_e32 v1, 3, v4
	s_mov_b32 s22, exec_lo
	v_cmpx_gt_u32_e32 8, v4
; %bb.975:                              ;   in Loop: Header=BB257_11 Depth=1
	v_ffbh_u32_e32 v1, v56
	v_min_u32_e32 v1, 32, v1
	v_subrev_nc_u32_e32 v4, 28, v1
	v_sub_nc_u32_e32 v1, 29, v1
	v_lshlrev_b64 v[4:5], v4, v[56:57]
	v_and_b32_e32 v56, 7, v4
; %bb.976:                              ;   in Loop: Header=BB257_11 Depth=1
	s_or_b32 exec_lo, exec_lo, s22
	v_lshlrev_b32_e32 v4, 24, v0
	v_lshlrev_b32_e32 v5, 20, v56
	v_lshl_add_u32 v1, v1, 23, 0x3c000000
	v_and_b32_e32 v4, 0x80000000, v4
	v_or3_b32 v56, v5, v4, v1
	buffer_store_dword v56, off, s[0:3], s32 offset:1152 ; 4-byte Folded Spill
	buffer_store_dword v57, off, s[0:3], s32 offset:1156 ; 4-byte Folded Spill
.LBB257_977:                            ;   in Loop: Header=BB257_11 Depth=1
	s_or_b32 exec_lo, exec_lo, s19
.LBB257_978:                            ;   in Loop: Header=BB257_11 Depth=1
	s_or_b32 exec_lo, exec_lo, s7
.LBB257_979:                            ;   in Loop: Header=BB257_11 Depth=1
	s_or_b32 exec_lo, exec_lo, s6
	v_cmp_ne_u16_sdwa s5, v0, v57 src0_sel:BYTE_1 src1_sel:DWORD
	s_and_saveexec_b32 s6, s5
	s_cbranch_execz .LBB257_987
; %bb.980:                              ;   in Loop: Header=BB257_11 Depth=1
	v_mov_b32_e32 v1, 0x80
	v_mov_b32_e32 v90, v57
	buffer_store_dword v90, off, s[0:3], s32 offset:1160 ; 4-byte Folded Spill
	buffer_store_dword v91, off, s[0:3], s32 offset:1164 ; 4-byte Folded Spill
	v_cmp_ne_u16_sdwa s5, v0, v1 src0_sel:BYTE_1 src1_sel:DWORD
	s_and_saveexec_b32 s7, s5
	s_cbranch_execz .LBB257_986
; %bb.981:                              ;   in Loop: Header=BB257_11 Depth=1
	v_mov_b32_e32 v1, 0xffff
	v_mov_b32_e32 v120, v57
	s_mov_b32 s19, exec_lo
	buffer_store_dword v120, off, s[0:3], s32 offset:1160 ; 4-byte Folded Spill
	buffer_store_dword v121, off, s[0:3], s32 offset:1164 ; 4-byte Folded Spill
	v_and_b32_sdwa v1, v1, v0 dst_sel:DWORD dst_unused:UNUSED_PAD src0_sel:DWORD src1_sel:BYTE_1
	v_and_b32_e32 v4, 0x7f, v1
	v_cmpx_ne_u32_e32 0x7f, v4
	s_cbranch_execz .LBB257_985
; %bb.982:                              ;   in Loop: Header=BB257_11 Depth=1
	v_and_b32_e32 v56, 7, v1
	v_lshrrev_b32_e32 v1, 3, v4
	s_mov_b32 s22, exec_lo
	v_cmpx_gt_u32_e32 8, v4
; %bb.983:                              ;   in Loop: Header=BB257_11 Depth=1
	v_ffbh_u32_e32 v1, v56
	v_min_u32_e32 v1, 32, v1
	v_subrev_nc_u32_e32 v4, 28, v1
	v_sub_nc_u32_e32 v1, 29, v1
	v_lshlrev_b64 v[4:5], v4, v[56:57]
	v_and_b32_e32 v56, 7, v4
; %bb.984:                              ;   in Loop: Header=BB257_11 Depth=1
	s_or_b32 exec_lo, exec_lo, s22
	v_lshlrev_b32_e32 v4, 16, v0
	v_lshlrev_b32_e32 v5, 20, v56
	v_lshl_add_u32 v1, v1, 23, 0x3c000000
	v_and_b32_e32 v4, 0x80000000, v4
	v_or3_b32 v5, v5, v4, v1
	v_mov_b32_e32 v4, v57
	buffer_store_dword v4, off, s[0:3], s32 offset:1160 ; 4-byte Folded Spill
	buffer_store_dword v5, off, s[0:3], s32 offset:1164 ; 4-byte Folded Spill
.LBB257_985:                            ;   in Loop: Header=BB257_11 Depth=1
	s_or_b32 exec_lo, exec_lo, s19
.LBB257_986:                            ;   in Loop: Header=BB257_11 Depth=1
	s_or_b32 exec_lo, exec_lo, s7
.LBB257_987:                            ;   in Loop: Header=BB257_11 Depth=1
	s_or_b32 exec_lo, exec_lo, s6
	v_mov_b32_e32 v4, 0
	v_mov_b32_e32 v5, 0
	;; [unrolled: 1-line block ×3, first 2 shown]
	s_mov_b32 s6, exec_lo
	buffer_store_dword v4, off, s[0:3], s32 offset:1168 ; 4-byte Folded Spill
	buffer_store_dword v5, off, s[0:3], s32 offset:1172 ; 4-byte Folded Spill
	v_mov_b32_e32 v4, 0
	v_and_b32_sdwa v1, v0, v1 dst_sel:DWORD dst_unused:UNUSED_PAD src0_sel:WORD_1 src1_sel:DWORD
	v_mov_b32_e32 v5, 0
	buffer_store_dword v4, off, s[0:3], s32 offset:1176 ; 4-byte Folded Spill
	buffer_store_dword v5, off, s[0:3], s32 offset:1180 ; 4-byte Folded Spill
	v_cmpx_ne_u16_e32 0, v1
	s_cbranch_execz .LBB257_995
; %bb.988:                              ;   in Loop: Header=BB257_11 Depth=1
	v_bfrev_b32_e32 v4, 1
	v_mov_b32_e32 v5, 0
	s_mov_b32 s7, exec_lo
	buffer_store_dword v4, off, s[0:3], s32 offset:1176 ; 4-byte Folded Spill
	buffer_store_dword v5, off, s[0:3], s32 offset:1180 ; 4-byte Folded Spill
	v_cmpx_ne_u16_e32 0x80, v1
	s_cbranch_execz .LBB257_994
; %bb.989:                              ;   in Loop: Header=BB257_11 Depth=1
	v_mov_b32_e32 v5, 0x7f800001
	v_bfe_u32 v4, v0, 16, 7
	v_mov_b32_e32 v6, 0
	s_mov_b32 s19, exec_lo
	buffer_store_dword v5, off, s[0:3], s32 offset:1176 ; 4-byte Folded Spill
	buffer_store_dword v6, off, s[0:3], s32 offset:1180 ; 4-byte Folded Spill
	v_cmpx_ne_u32_e32 0x7f, v4
	s_cbranch_execz .LBB257_993
; %bb.990:                              ;   in Loop: Header=BB257_11 Depth=1
	v_mov_b32_e32 v1, 7
	s_mov_b32 s22, exec_lo
	v_and_b32_sdwa v56, v0, v1 dst_sel:DWORD dst_unused:UNUSED_PAD src0_sel:WORD_1 src1_sel:DWORD
	v_lshrrev_b32_e32 v1, 3, v4
	v_cmpx_gt_u32_e32 8, v4
; %bb.991:                              ;   in Loop: Header=BB257_11 Depth=1
	v_ffbh_u32_e32 v1, v56
	v_min_u32_e32 v1, 32, v1
	v_subrev_nc_u32_e32 v4, 28, v1
	v_sub_nc_u32_e32 v1, 29, v1
	v_lshlrev_b64 v[4:5], v4, v[56:57]
	v_and_b32_e32 v56, 7, v4
; %bb.992:                              ;   in Loop: Header=BB257_11 Depth=1
	s_or_b32 exec_lo, exec_lo, s22
	v_mov_b32_e32 v4, 24
	v_lshlrev_b32_e32 v5, 20, v56
	v_lshl_add_u32 v1, v1, 23, 0x3c000000
	v_lshlrev_b32_sdwa v4, v4, v0 dst_sel:DWORD dst_unused:UNUSED_PAD src0_sel:DWORD src1_sel:WORD_1
	v_and_b32_e32 v4, 0x80000000, v4
	v_or3_b32 v56, v5, v4, v1
	buffer_store_dword v56, off, s[0:3], s32 offset:1176 ; 4-byte Folded Spill
	buffer_store_dword v57, off, s[0:3], s32 offset:1180 ; 4-byte Folded Spill
.LBB257_993:                            ;   in Loop: Header=BB257_11 Depth=1
	s_or_b32 exec_lo, exec_lo, s19
.LBB257_994:                            ;   in Loop: Header=BB257_11 Depth=1
	s_or_b32 exec_lo, exec_lo, s7
.LBB257_995:                            ;   in Loop: Header=BB257_11 Depth=1
	s_or_b32 exec_lo, exec_lo, s6
	s_mov_b32 s6, exec_lo
	v_cmpx_lt_u32_e32 0xffffff, v0
	s_cbranch_execz .LBB257_1003
; %bb.996:                              ;   in Loop: Header=BB257_11 Depth=1
	v_mov_b32_e32 v1, 0x80
	v_mov_b32_e32 v90, v57
	buffer_store_dword v90, off, s[0:3], s32 offset:1168 ; 4-byte Folded Spill
	buffer_store_dword v91, off, s[0:3], s32 offset:1172 ; 4-byte Folded Spill
	v_cmp_ne_u32_sdwa s5, v0, v1 src0_sel:BYTE_3 src1_sel:DWORD
	s_and_saveexec_b32 s7, s5
	s_cbranch_execz .LBB257_1002
; %bb.997:                              ;   in Loop: Header=BB257_11 Depth=1
	v_bfe_u32 v4, v0, 24, 7
	v_mov_b32_e32 v120, v57
	s_mov_b32 s19, exec_lo
	buffer_store_dword v120, off, s[0:3], s32 offset:1168 ; 4-byte Folded Spill
	buffer_store_dword v121, off, s[0:3], s32 offset:1172 ; 4-byte Folded Spill
	v_cmpx_ne_u32_e32 0x7f, v4
	s_cbranch_execz .LBB257_1001
; %bb.998:                              ;   in Loop: Header=BB257_11 Depth=1
	v_mov_b32_e32 v1, 7
	s_mov_b32 s22, exec_lo
	v_and_b32_sdwa v56, v0, v1 dst_sel:DWORD dst_unused:UNUSED_PAD src0_sel:BYTE_3 src1_sel:DWORD
	v_lshrrev_b32_e32 v1, 3, v4
	v_cmpx_gt_u32_e32 8, v4
; %bb.999:                              ;   in Loop: Header=BB257_11 Depth=1
	v_ffbh_u32_e32 v1, v56
	v_min_u32_e32 v1, 32, v1
	v_subrev_nc_u32_e32 v4, 28, v1
	v_sub_nc_u32_e32 v1, 29, v1
	v_lshlrev_b64 v[4:5], v4, v[56:57]
	v_and_b32_e32 v56, 7, v4
; %bb.1000:                             ;   in Loop: Header=BB257_11 Depth=1
	s_or_b32 exec_lo, exec_lo, s22
	v_mov_b32_e32 v4, 24
	v_lshl_add_u32 v1, v1, 23, 0x3c000000
	v_lshlrev_b32_sdwa v0, v4, v0 dst_sel:DWORD dst_unused:UNUSED_PAD src0_sel:DWORD src1_sel:BYTE_3
	v_lshlrev_b32_e32 v4, 20, v56
	v_and_b32_e32 v0, 0x80000000, v0
	v_or3_b32 v1, v4, v0, v1
	v_mov_b32_e32 v0, v57
	buffer_store_dword v0, off, s[0:3], s32 offset:1168 ; 4-byte Folded Spill
	buffer_store_dword v1, off, s[0:3], s32 offset:1172 ; 4-byte Folded Spill
.LBB257_1001:                           ;   in Loop: Header=BB257_11 Depth=1
	s_or_b32 exec_lo, exec_lo, s19
.LBB257_1002:                           ;   in Loop: Header=BB257_11 Depth=1
	s_or_b32 exec_lo, exec_lo, s7
.LBB257_1003:                           ;   in Loop: Header=BB257_11 Depth=1
	s_or_b32 exec_lo, exec_lo, s6
	flat_load_dword v0, v[2:3] offset:1548
	v_mov_b32_e32 v1, 0
	v_mov_b32_e32 v2, 0
	buffer_store_dword v1, off, s[0:3], s32 offset:1192 ; 4-byte Folded Spill
	buffer_store_dword v2, off, s[0:3], s32 offset:1196 ; 4-byte Folded Spill
	v_mov_b32_e32 v1, 0
	v_mov_b32_e32 v2, 0
	buffer_store_dword v1, off, s[0:3], s32 offset:1184 ; 4-byte Folded Spill
	buffer_store_dword v2, off, s[0:3], s32 offset:1188 ; 4-byte Folded Spill
	s_waitcnt vmcnt(0) lgkmcnt(0)
	v_cmp_ne_u16_sdwa s5, v0, v57 src0_sel:BYTE_0 src1_sel:DWORD
	s_and_saveexec_b32 s6, s5
	s_cbranch_execz .LBB257_1011
; %bb.1004:                             ;   in Loop: Header=BB257_11 Depth=1
	v_bfrev_b32_e32 v1, 1
	v_mov_b32_e32 v2, 0
	buffer_store_dword v1, off, s[0:3], s32 offset:1184 ; 4-byte Folded Spill
	buffer_store_dword v2, off, s[0:3], s32 offset:1188 ; 4-byte Folded Spill
	v_mov_b32_e32 v1, 0x80
	v_cmp_ne_u16_sdwa s5, v0, v1 src0_sel:BYTE_0 src1_sel:DWORD
	s_and_saveexec_b32 s7, s5
	s_cbranch_execz .LBB257_1010
; %bb.1005:                             ;   in Loop: Header=BB257_11 Depth=1
	v_mov_b32_e32 v3, 0x7f800001
	v_and_b32_e32 v2, 0x7f, v0
	v_mov_b32_e32 v4, 0
	s_mov_b32 s19, exec_lo
	buffer_store_dword v3, off, s[0:3], s32 offset:1184 ; 4-byte Folded Spill
	buffer_store_dword v4, off, s[0:3], s32 offset:1188 ; 4-byte Folded Spill
	v_cmpx_ne_u32_e32 0x7f, v2
	s_cbranch_execz .LBB257_1009
; %bb.1006:                             ;   in Loop: Header=BB257_11 Depth=1
	v_and_b32_e32 v56, 7, v0
	v_lshrrev_b32_e32 v1, 3, v2
	s_mov_b32 s22, exec_lo
	v_cmpx_gt_u32_e32 8, v2
; %bb.1007:                             ;   in Loop: Header=BB257_11 Depth=1
	v_ffbh_u32_e32 v1, v56
	v_min_u32_e32 v1, 32, v1
	v_subrev_nc_u32_e32 v2, 28, v1
	v_sub_nc_u32_e32 v1, 29, v1
	v_lshlrev_b64 v[2:3], v2, v[56:57]
	v_and_b32_e32 v56, 7, v2
; %bb.1008:                             ;   in Loop: Header=BB257_11 Depth=1
	s_or_b32 exec_lo, exec_lo, s22
	v_lshlrev_b32_e32 v2, 24, v0
	v_lshlrev_b32_e32 v3, 20, v56
	v_lshl_add_u32 v1, v1, 23, 0x3c000000
	v_and_b32_e32 v2, 0x80000000, v2
	v_or3_b32 v56, v3, v2, v1
	buffer_store_dword v56, off, s[0:3], s32 offset:1184 ; 4-byte Folded Spill
	buffer_store_dword v57, off, s[0:3], s32 offset:1188 ; 4-byte Folded Spill
.LBB257_1009:                           ;   in Loop: Header=BB257_11 Depth=1
	s_or_b32 exec_lo, exec_lo, s19
.LBB257_1010:                           ;   in Loop: Header=BB257_11 Depth=1
	s_or_b32 exec_lo, exec_lo, s7
.LBB257_1011:                           ;   in Loop: Header=BB257_11 Depth=1
	s_or_b32 exec_lo, exec_lo, s6
	v_cmp_ne_u16_sdwa s5, v0, v57 src0_sel:BYTE_1 src1_sel:DWORD
	s_and_saveexec_b32 s6, s5
	s_cbranch_execz .LBB257_1019
; %bb.1012:                             ;   in Loop: Header=BB257_11 Depth=1
	v_mov_b32_e32 v1, 0x80
	v_mov_b32_e32 v90, v57
	buffer_store_dword v90, off, s[0:3], s32 offset:1192 ; 4-byte Folded Spill
	buffer_store_dword v91, off, s[0:3], s32 offset:1196 ; 4-byte Folded Spill
	v_cmp_ne_u16_sdwa s5, v0, v1 src0_sel:BYTE_1 src1_sel:DWORD
	s_and_saveexec_b32 s7, s5
	s_cbranch_execz .LBB257_1018
; %bb.1013:                             ;   in Loop: Header=BB257_11 Depth=1
	v_mov_b32_e32 v1, 0xffff
	v_mov_b32_e32 v120, v57
	s_mov_b32 s19, exec_lo
	buffer_store_dword v120, off, s[0:3], s32 offset:1192 ; 4-byte Folded Spill
	buffer_store_dword v121, off, s[0:3], s32 offset:1196 ; 4-byte Folded Spill
	v_and_b32_sdwa v1, v1, v0 dst_sel:DWORD dst_unused:UNUSED_PAD src0_sel:DWORD src1_sel:BYTE_1
	v_and_b32_e32 v2, 0x7f, v1
	v_cmpx_ne_u32_e32 0x7f, v2
	s_cbranch_execz .LBB257_1017
; %bb.1014:                             ;   in Loop: Header=BB257_11 Depth=1
	v_and_b32_e32 v56, 7, v1
	v_lshrrev_b32_e32 v1, 3, v2
	s_mov_b32 s22, exec_lo
	v_cmpx_gt_u32_e32 8, v2
; %bb.1015:                             ;   in Loop: Header=BB257_11 Depth=1
	v_ffbh_u32_e32 v1, v56
	v_min_u32_e32 v1, 32, v1
	v_subrev_nc_u32_e32 v2, 28, v1
	v_sub_nc_u32_e32 v1, 29, v1
	v_lshlrev_b64 v[2:3], v2, v[56:57]
	v_and_b32_e32 v56, 7, v2
; %bb.1016:                             ;   in Loop: Header=BB257_11 Depth=1
	s_or_b32 exec_lo, exec_lo, s22
	v_lshlrev_b32_e32 v2, 16, v0
	v_lshlrev_b32_e32 v3, 20, v56
	v_lshl_add_u32 v1, v1, 23, 0x3c000000
	v_and_b32_e32 v2, 0x80000000, v2
	v_or3_b32 v2, v3, v2, v1
	v_mov_b32_e32 v1, v57
	buffer_store_dword v1, off, s[0:3], s32 offset:1192 ; 4-byte Folded Spill
	buffer_store_dword v2, off, s[0:3], s32 offset:1196 ; 4-byte Folded Spill
.LBB257_1017:                           ;   in Loop: Header=BB257_11 Depth=1
	s_or_b32 exec_lo, exec_lo, s19
.LBB257_1018:                           ;   in Loop: Header=BB257_11 Depth=1
	s_or_b32 exec_lo, exec_lo, s7
.LBB257_1019:                           ;   in Loop: Header=BB257_11 Depth=1
	s_or_b32 exec_lo, exec_lo, s6
	v_mov_b32_e32 v2, 0
	v_mov_b32_e32 v3, 0
	;; [unrolled: 1-line block ×3, first 2 shown]
	s_mov_b32 s6, exec_lo
	buffer_store_dword v2, off, s[0:3], s32 offset:1200 ; 4-byte Folded Spill
	buffer_store_dword v3, off, s[0:3], s32 offset:1204 ; 4-byte Folded Spill
	v_mov_b32_e32 v2, 0
	v_and_b32_sdwa v1, v0, v1 dst_sel:DWORD dst_unused:UNUSED_PAD src0_sel:WORD_1 src1_sel:DWORD
	v_mov_b32_e32 v3, 0
	buffer_store_dword v2, off, s[0:3], s32 offset:1208 ; 4-byte Folded Spill
	buffer_store_dword v3, off, s[0:3], s32 offset:1212 ; 4-byte Folded Spill
	v_cmpx_ne_u16_e32 0, v1
	s_cbranch_execz .LBB257_1027
; %bb.1020:                             ;   in Loop: Header=BB257_11 Depth=1
	v_cmp_ne_u16_e64 s5, 0x80, v1
	v_bfrev_b32_e32 v1, 1
	v_mov_b32_e32 v2, 0
	buffer_store_dword v1, off, s[0:3], s32 offset:1208 ; 4-byte Folded Spill
	buffer_store_dword v2, off, s[0:3], s32 offset:1212 ; 4-byte Folded Spill
	s_and_saveexec_b32 s7, s5
	s_cbranch_execz .LBB257_1026
; %bb.1021:                             ;   in Loop: Header=BB257_11 Depth=1
	v_mov_b32_e32 v3, 0x7f800001
	v_bfe_u32 v2, v0, 16, 7
	v_mov_b32_e32 v4, 0
	s_mov_b32 s19, exec_lo
	buffer_store_dword v3, off, s[0:3], s32 offset:1208 ; 4-byte Folded Spill
	buffer_store_dword v4, off, s[0:3], s32 offset:1212 ; 4-byte Folded Spill
	v_cmpx_ne_u32_e32 0x7f, v2
	s_cbranch_execz .LBB257_1025
; %bb.1022:                             ;   in Loop: Header=BB257_11 Depth=1
	v_mov_b32_e32 v1, 7
	s_mov_b32 s22, exec_lo
	v_and_b32_sdwa v56, v0, v1 dst_sel:DWORD dst_unused:UNUSED_PAD src0_sel:WORD_1 src1_sel:DWORD
	v_lshrrev_b32_e32 v1, 3, v2
	v_cmpx_gt_u32_e32 8, v2
; %bb.1023:                             ;   in Loop: Header=BB257_11 Depth=1
	v_ffbh_u32_e32 v1, v56
	v_min_u32_e32 v1, 32, v1
	v_subrev_nc_u32_e32 v2, 28, v1
	v_sub_nc_u32_e32 v1, 29, v1
	v_lshlrev_b64 v[2:3], v2, v[56:57]
	v_and_b32_e32 v56, 7, v2
; %bb.1024:                             ;   in Loop: Header=BB257_11 Depth=1
	s_or_b32 exec_lo, exec_lo, s22
	v_mov_b32_e32 v2, 24
	v_lshlrev_b32_e32 v3, 20, v56
	v_lshl_add_u32 v1, v1, 23, 0x3c000000
	v_lshlrev_b32_sdwa v2, v2, v0 dst_sel:DWORD dst_unused:UNUSED_PAD src0_sel:DWORD src1_sel:WORD_1
	v_and_b32_e32 v2, 0x80000000, v2
	v_or3_b32 v56, v3, v2, v1
	buffer_store_dword v56, off, s[0:3], s32 offset:1208 ; 4-byte Folded Spill
	buffer_store_dword v57, off, s[0:3], s32 offset:1212 ; 4-byte Folded Spill
.LBB257_1025:                           ;   in Loop: Header=BB257_11 Depth=1
	s_or_b32 exec_lo, exec_lo, s19
.LBB257_1026:                           ;   in Loop: Header=BB257_11 Depth=1
	s_or_b32 exec_lo, exec_lo, s7
.LBB257_1027:                           ;   in Loop: Header=BB257_11 Depth=1
	s_or_b32 exec_lo, exec_lo, s6
	s_mov_b32 s6, exec_lo
	v_cmpx_lt_u32_e32 0xffffff, v0
	s_cbranch_execz .LBB257_1035
; %bb.1028:                             ;   in Loop: Header=BB257_11 Depth=1
	v_mov_b32_e32 v1, 0x80
	v_mov_b32_e32 v90, v57
	buffer_store_dword v90, off, s[0:3], s32 offset:1200 ; 4-byte Folded Spill
	buffer_store_dword v91, off, s[0:3], s32 offset:1204 ; 4-byte Folded Spill
	v_cmp_ne_u32_sdwa s5, v0, v1 src0_sel:BYTE_3 src1_sel:DWORD
	s_and_saveexec_b32 s7, s5
	s_cbranch_execz .LBB257_1034
; %bb.1029:                             ;   in Loop: Header=BB257_11 Depth=1
	v_bfe_u32 v2, v0, 24, 7
	v_mov_b32_e32 v120, v57
	s_mov_b32 s19, exec_lo
	buffer_store_dword v120, off, s[0:3], s32 offset:1200 ; 4-byte Folded Spill
	buffer_store_dword v121, off, s[0:3], s32 offset:1204 ; 4-byte Folded Spill
	v_cmpx_ne_u32_e32 0x7f, v2
	s_cbranch_execz .LBB257_1033
; %bb.1030:                             ;   in Loop: Header=BB257_11 Depth=1
	v_mov_b32_e32 v1, 7
	s_mov_b32 s22, exec_lo
	v_and_b32_sdwa v56, v0, v1 dst_sel:DWORD dst_unused:UNUSED_PAD src0_sel:BYTE_3 src1_sel:DWORD
	v_lshrrev_b32_e32 v1, 3, v2
	v_cmpx_gt_u32_e32 8, v2
; %bb.1031:                             ;   in Loop: Header=BB257_11 Depth=1
	v_ffbh_u32_e32 v1, v56
	v_min_u32_e32 v1, 32, v1
	v_subrev_nc_u32_e32 v2, 28, v1
	v_sub_nc_u32_e32 v1, 29, v1
	v_lshlrev_b64 v[2:3], v2, v[56:57]
	v_and_b32_e32 v56, 7, v2
; %bb.1032:                             ;   in Loop: Header=BB257_11 Depth=1
	s_or_b32 exec_lo, exec_lo, s22
	v_mov_b32_e32 v2, 24
	v_lshl_add_u32 v1, v1, 23, 0x3c000000
	v_lshlrev_b32_sdwa v0, v2, v0 dst_sel:DWORD dst_unused:UNUSED_PAD src0_sel:DWORD src1_sel:BYTE_3
	v_lshlrev_b32_e32 v2, 20, v56
	v_and_b32_e32 v0, 0x80000000, v0
	v_or3_b32 v1, v2, v0, v1
	v_mov_b32_e32 v0, v57
	buffer_store_dword v0, off, s[0:3], s32 offset:1200 ; 4-byte Folded Spill
	buffer_store_dword v1, off, s[0:3], s32 offset:1204 ; 4-byte Folded Spill
.LBB257_1033:                           ;   in Loop: Header=BB257_11 Depth=1
	s_or_b32 exec_lo, exec_lo, s19
.LBB257_1034:                           ;   in Loop: Header=BB257_11 Depth=1
	s_or_b32 exec_lo, exec_lo, s7
.LBB257_1035:                           ;   in Loop: Header=BB257_11 Depth=1
	s_or_b32 exec_lo, exec_lo, s6
	v_add_co_u32 v8, s5, 0x1000, v21
	v_add_co_ci_u32_e64 v9, null, 0, v22, s5
	v_mov_b32_e32 v1, 0
	v_mov_b32_e32 v2, 0
	flat_load_dword v0, v[8:9]
	buffer_store_dword v1, off, s[0:3], s32 offset:1224 ; 4-byte Folded Spill
	buffer_store_dword v2, off, s[0:3], s32 offset:1228 ; 4-byte Folded Spill
	v_mov_b32_e32 v1, 0
	v_mov_b32_e32 v2, 0
	buffer_store_dword v1, off, s[0:3], s32 offset:1216 ; 4-byte Folded Spill
	buffer_store_dword v2, off, s[0:3], s32 offset:1220 ; 4-byte Folded Spill
	s_waitcnt vmcnt(0) lgkmcnt(0)
	v_cmp_ne_u16_sdwa s5, v0, v57 src0_sel:BYTE_0 src1_sel:DWORD
	s_and_saveexec_b32 s6, s5
	s_cbranch_execz .LBB257_1043
; %bb.1036:                             ;   in Loop: Header=BB257_11 Depth=1
	v_bfrev_b32_e32 v1, 1
	v_mov_b32_e32 v2, 0
	buffer_store_dword v1, off, s[0:3], s32 offset:1216 ; 4-byte Folded Spill
	buffer_store_dword v2, off, s[0:3], s32 offset:1220 ; 4-byte Folded Spill
	v_mov_b32_e32 v1, 0x80
	v_cmp_ne_u16_sdwa s5, v0, v1 src0_sel:BYTE_0 src1_sel:DWORD
	s_and_saveexec_b32 s7, s5
	s_cbranch_execz .LBB257_1042
; %bb.1037:                             ;   in Loop: Header=BB257_11 Depth=1
	v_mov_b32_e32 v3, 0x7f800001
	v_and_b32_e32 v2, 0x7f, v0
	v_mov_b32_e32 v4, 0
	s_mov_b32 s19, exec_lo
	buffer_store_dword v3, off, s[0:3], s32 offset:1216 ; 4-byte Folded Spill
	buffer_store_dword v4, off, s[0:3], s32 offset:1220 ; 4-byte Folded Spill
	v_cmpx_ne_u32_e32 0x7f, v2
	s_cbranch_execz .LBB257_1041
; %bb.1038:                             ;   in Loop: Header=BB257_11 Depth=1
	v_and_b32_e32 v56, 7, v0
	v_lshrrev_b32_e32 v1, 3, v2
	s_mov_b32 s22, exec_lo
	v_cmpx_gt_u32_e32 8, v2
; %bb.1039:                             ;   in Loop: Header=BB257_11 Depth=1
	v_ffbh_u32_e32 v1, v56
	v_min_u32_e32 v1, 32, v1
	v_subrev_nc_u32_e32 v2, 28, v1
	v_sub_nc_u32_e32 v1, 29, v1
	v_lshlrev_b64 v[2:3], v2, v[56:57]
	v_and_b32_e32 v56, 7, v2
; %bb.1040:                             ;   in Loop: Header=BB257_11 Depth=1
	s_or_b32 exec_lo, exec_lo, s22
	v_lshlrev_b32_e32 v2, 24, v0
	v_lshlrev_b32_e32 v3, 20, v56
	v_lshl_add_u32 v1, v1, 23, 0x3c000000
	v_and_b32_e32 v2, 0x80000000, v2
	v_or3_b32 v56, v3, v2, v1
	buffer_store_dword v56, off, s[0:3], s32 offset:1216 ; 4-byte Folded Spill
	buffer_store_dword v57, off, s[0:3], s32 offset:1220 ; 4-byte Folded Spill
.LBB257_1041:                           ;   in Loop: Header=BB257_11 Depth=1
	s_or_b32 exec_lo, exec_lo, s19
.LBB257_1042:                           ;   in Loop: Header=BB257_11 Depth=1
	s_or_b32 exec_lo, exec_lo, s7
.LBB257_1043:                           ;   in Loop: Header=BB257_11 Depth=1
	s_or_b32 exec_lo, exec_lo, s6
	v_cmp_ne_u16_sdwa s5, v0, v57 src0_sel:BYTE_1 src1_sel:DWORD
	s_and_saveexec_b32 s6, s5
	s_cbranch_execz .LBB257_1051
; %bb.1044:                             ;   in Loop: Header=BB257_11 Depth=1
	v_mov_b32_e32 v1, 0x80
	v_mov_b32_e32 v90, v57
	buffer_store_dword v90, off, s[0:3], s32 offset:1224 ; 4-byte Folded Spill
	buffer_store_dword v91, off, s[0:3], s32 offset:1228 ; 4-byte Folded Spill
	v_cmp_ne_u16_sdwa s5, v0, v1 src0_sel:BYTE_1 src1_sel:DWORD
	s_and_saveexec_b32 s7, s5
	s_cbranch_execz .LBB257_1050
; %bb.1045:                             ;   in Loop: Header=BB257_11 Depth=1
	v_mov_b32_e32 v1, 0xffff
	v_mov_b32_e32 v120, v57
	s_mov_b32 s19, exec_lo
	buffer_store_dword v120, off, s[0:3], s32 offset:1224 ; 4-byte Folded Spill
	buffer_store_dword v121, off, s[0:3], s32 offset:1228 ; 4-byte Folded Spill
	v_and_b32_sdwa v1, v1, v0 dst_sel:DWORD dst_unused:UNUSED_PAD src0_sel:DWORD src1_sel:BYTE_1
	v_and_b32_e32 v2, 0x7f, v1
	v_cmpx_ne_u32_e32 0x7f, v2
	s_cbranch_execz .LBB257_1049
; %bb.1046:                             ;   in Loop: Header=BB257_11 Depth=1
	v_and_b32_e32 v56, 7, v1
	v_lshrrev_b32_e32 v1, 3, v2
	s_mov_b32 s22, exec_lo
	v_cmpx_gt_u32_e32 8, v2
; %bb.1047:                             ;   in Loop: Header=BB257_11 Depth=1
	v_ffbh_u32_e32 v1, v56
	v_min_u32_e32 v1, 32, v1
	v_subrev_nc_u32_e32 v2, 28, v1
	v_sub_nc_u32_e32 v1, 29, v1
	v_lshlrev_b64 v[2:3], v2, v[56:57]
	v_and_b32_e32 v56, 7, v2
; %bb.1048:                             ;   in Loop: Header=BB257_11 Depth=1
	s_or_b32 exec_lo, exec_lo, s22
	v_lshlrev_b32_e32 v2, 16, v0
	v_lshlrev_b32_e32 v3, 20, v56
	v_lshl_add_u32 v1, v1, 23, 0x3c000000
	v_and_b32_e32 v2, 0x80000000, v2
	v_or3_b32 v2, v3, v2, v1
	v_mov_b32_e32 v1, v57
	buffer_store_dword v1, off, s[0:3], s32 offset:1224 ; 4-byte Folded Spill
	buffer_store_dword v2, off, s[0:3], s32 offset:1228 ; 4-byte Folded Spill
.LBB257_1049:                           ;   in Loop: Header=BB257_11 Depth=1
	s_or_b32 exec_lo, exec_lo, s19
.LBB257_1050:                           ;   in Loop: Header=BB257_11 Depth=1
	s_or_b32 exec_lo, exec_lo, s7
.LBB257_1051:                           ;   in Loop: Header=BB257_11 Depth=1
	s_or_b32 exec_lo, exec_lo, s6
	v_mov_b32_e32 v2, 0
	v_mov_b32_e32 v3, 0
	;; [unrolled: 1-line block ×3, first 2 shown]
	s_mov_b32 s6, exec_lo
	buffer_store_dword v2, off, s[0:3], s32 offset:1232 ; 4-byte Folded Spill
	buffer_store_dword v3, off, s[0:3], s32 offset:1236 ; 4-byte Folded Spill
	v_mov_b32_e32 v2, 0
	v_and_b32_sdwa v1, v0, v1 dst_sel:DWORD dst_unused:UNUSED_PAD src0_sel:WORD_1 src1_sel:DWORD
	v_mov_b32_e32 v3, 0
	buffer_store_dword v2, off, s[0:3], s32 offset:1240 ; 4-byte Folded Spill
	buffer_store_dword v3, off, s[0:3], s32 offset:1244 ; 4-byte Folded Spill
	v_cmpx_ne_u16_e32 0, v1
	s_cbranch_execz .LBB257_1059
; %bb.1052:                             ;   in Loop: Header=BB257_11 Depth=1
	v_cmp_ne_u16_e64 s5, 0x80, v1
	v_bfrev_b32_e32 v1, 1
	v_mov_b32_e32 v2, 0
	buffer_store_dword v1, off, s[0:3], s32 offset:1240 ; 4-byte Folded Spill
	buffer_store_dword v2, off, s[0:3], s32 offset:1244 ; 4-byte Folded Spill
	s_and_saveexec_b32 s7, s5
	s_cbranch_execz .LBB257_1058
; %bb.1053:                             ;   in Loop: Header=BB257_11 Depth=1
	v_mov_b32_e32 v3, 0x7f800001
	v_bfe_u32 v2, v0, 16, 7
	v_mov_b32_e32 v4, 0
	s_mov_b32 s19, exec_lo
	buffer_store_dword v3, off, s[0:3], s32 offset:1240 ; 4-byte Folded Spill
	buffer_store_dword v4, off, s[0:3], s32 offset:1244 ; 4-byte Folded Spill
	v_cmpx_ne_u32_e32 0x7f, v2
	s_cbranch_execz .LBB257_1057
; %bb.1054:                             ;   in Loop: Header=BB257_11 Depth=1
	v_mov_b32_e32 v1, 7
	s_mov_b32 s22, exec_lo
	v_and_b32_sdwa v56, v0, v1 dst_sel:DWORD dst_unused:UNUSED_PAD src0_sel:WORD_1 src1_sel:DWORD
	v_lshrrev_b32_e32 v1, 3, v2
	v_cmpx_gt_u32_e32 8, v2
; %bb.1055:                             ;   in Loop: Header=BB257_11 Depth=1
	v_ffbh_u32_e32 v1, v56
	v_min_u32_e32 v1, 32, v1
	v_subrev_nc_u32_e32 v2, 28, v1
	v_sub_nc_u32_e32 v1, 29, v1
	v_lshlrev_b64 v[2:3], v2, v[56:57]
	v_and_b32_e32 v56, 7, v2
; %bb.1056:                             ;   in Loop: Header=BB257_11 Depth=1
	s_or_b32 exec_lo, exec_lo, s22
	v_mov_b32_e32 v2, 24
	v_lshlrev_b32_e32 v3, 20, v56
	v_lshl_add_u32 v1, v1, 23, 0x3c000000
	v_lshlrev_b32_sdwa v2, v2, v0 dst_sel:DWORD dst_unused:UNUSED_PAD src0_sel:DWORD src1_sel:WORD_1
	v_and_b32_e32 v2, 0x80000000, v2
	v_or3_b32 v56, v3, v2, v1
	buffer_store_dword v56, off, s[0:3], s32 offset:1240 ; 4-byte Folded Spill
	buffer_store_dword v57, off, s[0:3], s32 offset:1244 ; 4-byte Folded Spill
.LBB257_1057:                           ;   in Loop: Header=BB257_11 Depth=1
	s_or_b32 exec_lo, exec_lo, s19
.LBB257_1058:                           ;   in Loop: Header=BB257_11 Depth=1
	s_or_b32 exec_lo, exec_lo, s7
.LBB257_1059:                           ;   in Loop: Header=BB257_11 Depth=1
	s_or_b32 exec_lo, exec_lo, s6
	s_mov_b32 s6, exec_lo
	v_cmpx_lt_u32_e32 0xffffff, v0
	s_cbranch_execz .LBB257_1067
; %bb.1060:                             ;   in Loop: Header=BB257_11 Depth=1
	v_mov_b32_e32 v1, 0x80
	v_mov_b32_e32 v90, v57
	buffer_store_dword v90, off, s[0:3], s32 offset:1232 ; 4-byte Folded Spill
	buffer_store_dword v91, off, s[0:3], s32 offset:1236 ; 4-byte Folded Spill
	v_cmp_ne_u32_sdwa s5, v0, v1 src0_sel:BYTE_3 src1_sel:DWORD
	s_and_saveexec_b32 s7, s5
	s_cbranch_execz .LBB257_1066
; %bb.1061:                             ;   in Loop: Header=BB257_11 Depth=1
	v_bfe_u32 v2, v0, 24, 7
	v_mov_b32_e32 v120, v57
	s_mov_b32 s19, exec_lo
	buffer_store_dword v120, off, s[0:3], s32 offset:1232 ; 4-byte Folded Spill
	buffer_store_dword v121, off, s[0:3], s32 offset:1236 ; 4-byte Folded Spill
	v_cmpx_ne_u32_e32 0x7f, v2
	s_cbranch_execz .LBB257_1065
; %bb.1062:                             ;   in Loop: Header=BB257_11 Depth=1
	v_mov_b32_e32 v1, 7
	s_mov_b32 s22, exec_lo
	v_and_b32_sdwa v56, v0, v1 dst_sel:DWORD dst_unused:UNUSED_PAD src0_sel:BYTE_3 src1_sel:DWORD
	v_lshrrev_b32_e32 v1, 3, v2
	v_cmpx_gt_u32_e32 8, v2
; %bb.1063:                             ;   in Loop: Header=BB257_11 Depth=1
	v_ffbh_u32_e32 v1, v56
	v_min_u32_e32 v1, 32, v1
	v_subrev_nc_u32_e32 v2, 28, v1
	v_sub_nc_u32_e32 v1, 29, v1
	v_lshlrev_b64 v[2:3], v2, v[56:57]
	v_and_b32_e32 v56, 7, v2
; %bb.1064:                             ;   in Loop: Header=BB257_11 Depth=1
	s_or_b32 exec_lo, exec_lo, s22
	v_mov_b32_e32 v2, 24
	v_lshl_add_u32 v1, v1, 23, 0x3c000000
	v_lshlrev_b32_sdwa v0, v2, v0 dst_sel:DWORD dst_unused:UNUSED_PAD src0_sel:DWORD src1_sel:BYTE_3
	v_lshlrev_b32_e32 v2, 20, v56
	v_and_b32_e32 v0, 0x80000000, v0
	v_or3_b32 v1, v2, v0, v1
	v_mov_b32_e32 v0, v57
	buffer_store_dword v0, off, s[0:3], s32 offset:1232 ; 4-byte Folded Spill
	buffer_store_dword v1, off, s[0:3], s32 offset:1236 ; 4-byte Folded Spill
.LBB257_1065:                           ;   in Loop: Header=BB257_11 Depth=1
	s_or_b32 exec_lo, exec_lo, s19
.LBB257_1066:                           ;   in Loop: Header=BB257_11 Depth=1
	s_or_b32 exec_lo, exec_lo, s7
.LBB257_1067:                           ;   in Loop: Header=BB257_11 Depth=1
	s_or_b32 exec_lo, exec_lo, s6
	flat_load_dword v0, v[8:9] offset:4
	v_mov_b32_e32 v1, 0
	v_mov_b32_e32 v2, 0
	buffer_store_dword v1, off, s[0:3], s32 offset:1256 ; 4-byte Folded Spill
	buffer_store_dword v2, off, s[0:3], s32 offset:1260 ; 4-byte Folded Spill
	v_mov_b32_e32 v1, 0
	v_mov_b32_e32 v2, 0
	buffer_store_dword v1, off, s[0:3], s32 offset:1248 ; 4-byte Folded Spill
	buffer_store_dword v2, off, s[0:3], s32 offset:1252 ; 4-byte Folded Spill
	s_waitcnt vmcnt(0) lgkmcnt(0)
	v_cmp_ne_u16_sdwa s5, v0, v57 src0_sel:BYTE_0 src1_sel:DWORD
	s_and_saveexec_b32 s6, s5
	s_cbranch_execz .LBB257_1075
; %bb.1068:                             ;   in Loop: Header=BB257_11 Depth=1
	v_bfrev_b32_e32 v1, 1
	v_mov_b32_e32 v2, 0
	buffer_store_dword v1, off, s[0:3], s32 offset:1248 ; 4-byte Folded Spill
	buffer_store_dword v2, off, s[0:3], s32 offset:1252 ; 4-byte Folded Spill
	v_mov_b32_e32 v1, 0x80
	v_cmp_ne_u16_sdwa s5, v0, v1 src0_sel:BYTE_0 src1_sel:DWORD
	s_and_saveexec_b32 s7, s5
	s_cbranch_execz .LBB257_1074
; %bb.1069:                             ;   in Loop: Header=BB257_11 Depth=1
	v_mov_b32_e32 v3, 0x7f800001
	v_and_b32_e32 v2, 0x7f, v0
	v_mov_b32_e32 v4, 0
	s_mov_b32 s19, exec_lo
	buffer_store_dword v3, off, s[0:3], s32 offset:1248 ; 4-byte Folded Spill
	buffer_store_dword v4, off, s[0:3], s32 offset:1252 ; 4-byte Folded Spill
	v_cmpx_ne_u32_e32 0x7f, v2
	s_cbranch_execz .LBB257_1073
; %bb.1070:                             ;   in Loop: Header=BB257_11 Depth=1
	v_and_b32_e32 v56, 7, v0
	v_lshrrev_b32_e32 v1, 3, v2
	s_mov_b32 s22, exec_lo
	v_cmpx_gt_u32_e32 8, v2
; %bb.1071:                             ;   in Loop: Header=BB257_11 Depth=1
	v_ffbh_u32_e32 v1, v56
	v_min_u32_e32 v1, 32, v1
	v_subrev_nc_u32_e32 v2, 28, v1
	v_sub_nc_u32_e32 v1, 29, v1
	v_lshlrev_b64 v[2:3], v2, v[56:57]
	v_and_b32_e32 v56, 7, v2
; %bb.1072:                             ;   in Loop: Header=BB257_11 Depth=1
	s_or_b32 exec_lo, exec_lo, s22
	v_lshlrev_b32_e32 v2, 24, v0
	v_lshlrev_b32_e32 v3, 20, v56
	v_lshl_add_u32 v1, v1, 23, 0x3c000000
	v_and_b32_e32 v2, 0x80000000, v2
	v_or3_b32 v56, v3, v2, v1
	buffer_store_dword v56, off, s[0:3], s32 offset:1248 ; 4-byte Folded Spill
	buffer_store_dword v57, off, s[0:3], s32 offset:1252 ; 4-byte Folded Spill
.LBB257_1073:                           ;   in Loop: Header=BB257_11 Depth=1
	s_or_b32 exec_lo, exec_lo, s19
.LBB257_1074:                           ;   in Loop: Header=BB257_11 Depth=1
	s_or_b32 exec_lo, exec_lo, s7
.LBB257_1075:                           ;   in Loop: Header=BB257_11 Depth=1
	s_or_b32 exec_lo, exec_lo, s6
	v_cmp_ne_u16_sdwa s5, v0, v57 src0_sel:BYTE_1 src1_sel:DWORD
	s_and_saveexec_b32 s6, s5
	s_cbranch_execz .LBB257_1083
; %bb.1076:                             ;   in Loop: Header=BB257_11 Depth=1
	v_mov_b32_e32 v1, 0x80
	v_mov_b32_e32 v90, v57
	buffer_store_dword v90, off, s[0:3], s32 offset:1256 ; 4-byte Folded Spill
	buffer_store_dword v91, off, s[0:3], s32 offset:1260 ; 4-byte Folded Spill
	v_cmp_ne_u16_sdwa s5, v0, v1 src0_sel:BYTE_1 src1_sel:DWORD
	s_and_saveexec_b32 s7, s5
	s_cbranch_execz .LBB257_1082
; %bb.1077:                             ;   in Loop: Header=BB257_11 Depth=1
	v_mov_b32_e32 v1, 0xffff
	v_mov_b32_e32 v120, v57
	s_mov_b32 s19, exec_lo
	buffer_store_dword v120, off, s[0:3], s32 offset:1256 ; 4-byte Folded Spill
	buffer_store_dword v121, off, s[0:3], s32 offset:1260 ; 4-byte Folded Spill
	v_and_b32_sdwa v1, v1, v0 dst_sel:DWORD dst_unused:UNUSED_PAD src0_sel:DWORD src1_sel:BYTE_1
	v_and_b32_e32 v2, 0x7f, v1
	v_cmpx_ne_u32_e32 0x7f, v2
	s_cbranch_execz .LBB257_1081
; %bb.1078:                             ;   in Loop: Header=BB257_11 Depth=1
	v_and_b32_e32 v56, 7, v1
	v_lshrrev_b32_e32 v1, 3, v2
	s_mov_b32 s22, exec_lo
	v_cmpx_gt_u32_e32 8, v2
; %bb.1079:                             ;   in Loop: Header=BB257_11 Depth=1
	v_ffbh_u32_e32 v1, v56
	v_min_u32_e32 v1, 32, v1
	v_subrev_nc_u32_e32 v2, 28, v1
	v_sub_nc_u32_e32 v1, 29, v1
	v_lshlrev_b64 v[2:3], v2, v[56:57]
	v_and_b32_e32 v56, 7, v2
; %bb.1080:                             ;   in Loop: Header=BB257_11 Depth=1
	s_or_b32 exec_lo, exec_lo, s22
	v_lshlrev_b32_e32 v2, 16, v0
	v_lshlrev_b32_e32 v3, 20, v56
	v_lshl_add_u32 v1, v1, 23, 0x3c000000
	v_and_b32_e32 v2, 0x80000000, v2
	v_or3_b32 v2, v3, v2, v1
	v_mov_b32_e32 v1, v57
	buffer_store_dword v1, off, s[0:3], s32 offset:1256 ; 4-byte Folded Spill
	buffer_store_dword v2, off, s[0:3], s32 offset:1260 ; 4-byte Folded Spill
.LBB257_1081:                           ;   in Loop: Header=BB257_11 Depth=1
	s_or_b32 exec_lo, exec_lo, s19
.LBB257_1082:                           ;   in Loop: Header=BB257_11 Depth=1
	s_or_b32 exec_lo, exec_lo, s7
.LBB257_1083:                           ;   in Loop: Header=BB257_11 Depth=1
	s_or_b32 exec_lo, exec_lo, s6
	v_mov_b32_e32 v1, 0xff
	v_mov_b32_e32 v26, 0
	;; [unrolled: 1-line block ×5, first 2 shown]
	v_and_b32_sdwa v1, v0, v1 dst_sel:DWORD dst_unused:UNUSED_PAD src0_sel:WORD_1 src1_sel:DWORD
	s_mov_b32 s6, exec_lo
	buffer_store_dword v2, off, s[0:3], s32 offset:1264 ; 4-byte Folded Spill
	buffer_store_dword v3, off, s[0:3], s32 offset:1268 ; 4-byte Folded Spill
	v_cmpx_ne_u16_e32 0, v1
	s_cbranch_execz .LBB257_1091
; %bb.1084:                             ;   in Loop: Header=BB257_11 Depth=1
	v_cmp_ne_u16_e64 s5, 0x80, v1
	v_bfrev_b32_e32 v1, 1
	v_mov_b32_e32 v2, 0
	buffer_store_dword v1, off, s[0:3], s32 offset:1264 ; 4-byte Folded Spill
	buffer_store_dword v2, off, s[0:3], s32 offset:1268 ; 4-byte Folded Spill
	s_and_saveexec_b32 s7, s5
	s_cbranch_execz .LBB257_1090
; %bb.1085:                             ;   in Loop: Header=BB257_11 Depth=1
	v_mov_b32_e32 v3, 0x7f800001
	v_bfe_u32 v2, v0, 16, 7
	v_mov_b32_e32 v4, 0
	s_mov_b32 s19, exec_lo
	buffer_store_dword v3, off, s[0:3], s32 offset:1264 ; 4-byte Folded Spill
	buffer_store_dword v4, off, s[0:3], s32 offset:1268 ; 4-byte Folded Spill
	v_cmpx_ne_u32_e32 0x7f, v2
	s_cbranch_execz .LBB257_1089
; %bb.1086:                             ;   in Loop: Header=BB257_11 Depth=1
	v_mov_b32_e32 v1, 7
	s_mov_b32 s22, exec_lo
	v_and_b32_sdwa v56, v0, v1 dst_sel:DWORD dst_unused:UNUSED_PAD src0_sel:WORD_1 src1_sel:DWORD
	v_lshrrev_b32_e32 v1, 3, v2
	v_cmpx_gt_u32_e32 8, v2
; %bb.1087:                             ;   in Loop: Header=BB257_11 Depth=1
	v_ffbh_u32_e32 v1, v56
	v_min_u32_e32 v1, 32, v1
	v_subrev_nc_u32_e32 v2, 28, v1
	v_sub_nc_u32_e32 v1, 29, v1
	v_lshlrev_b64 v[2:3], v2, v[56:57]
	v_and_b32_e32 v56, 7, v2
; %bb.1088:                             ;   in Loop: Header=BB257_11 Depth=1
	s_or_b32 exec_lo, exec_lo, s22
	v_mov_b32_e32 v2, 24
	v_lshlrev_b32_e32 v3, 20, v56
	v_lshl_add_u32 v1, v1, 23, 0x3c000000
	v_lshlrev_b32_sdwa v2, v2, v0 dst_sel:DWORD dst_unused:UNUSED_PAD src0_sel:DWORD src1_sel:WORD_1
	v_and_b32_e32 v2, 0x80000000, v2
	v_or3_b32 v56, v3, v2, v1
	buffer_store_dword v56, off, s[0:3], s32 offset:1264 ; 4-byte Folded Spill
	buffer_store_dword v57, off, s[0:3], s32 offset:1268 ; 4-byte Folded Spill
.LBB257_1089:                           ;   in Loop: Header=BB257_11 Depth=1
	s_or_b32 exec_lo, exec_lo, s19
.LBB257_1090:                           ;   in Loop: Header=BB257_11 Depth=1
	s_or_b32 exec_lo, exec_lo, s7
.LBB257_1091:                           ;   in Loop: Header=BB257_11 Depth=1
	s_or_b32 exec_lo, exec_lo, s6
	s_mov_b32 s6, exec_lo
	v_cmpx_lt_u32_e32 0xffffff, v0
	s_cbranch_execz .LBB257_1099
; %bb.1092:                             ;   in Loop: Header=BB257_11 Depth=1
	v_mov_b32_e32 v90, v57
	v_mov_b32_e32 v1, 0x80
	;; [unrolled: 1-line block ×3, first 2 shown]
	v_cmp_ne_u32_sdwa s5, v0, v1 src0_sel:BYTE_3 src1_sel:DWORD
	v_mov_b32_e32 v27, v91
	s_and_saveexec_b32 s7, s5
	s_cbranch_execz .LBB257_1098
; %bb.1093:                             ;   in Loop: Header=BB257_11 Depth=1
	v_mov_b32_e32 v120, v57
	v_bfe_u32 v2, v0, 24, 7
	s_mov_b32 s19, exec_lo
	v_mov_b32_e32 v26, v120
	v_mov_b32_e32 v27, v121
	v_cmpx_ne_u32_e32 0x7f, v2
	s_cbranch_execz .LBB257_1097
; %bb.1094:                             ;   in Loop: Header=BB257_11 Depth=1
	v_mov_b32_e32 v1, 7
	s_mov_b32 s22, exec_lo
	v_and_b32_sdwa v56, v0, v1 dst_sel:DWORD dst_unused:UNUSED_PAD src0_sel:BYTE_3 src1_sel:DWORD
	v_lshrrev_b32_e32 v1, 3, v2
	v_cmpx_gt_u32_e32 8, v2
; %bb.1095:                             ;   in Loop: Header=BB257_11 Depth=1
	v_ffbh_u32_e32 v1, v56
	v_min_u32_e32 v1, 32, v1
	v_subrev_nc_u32_e32 v2, 28, v1
	v_sub_nc_u32_e32 v1, 29, v1
	v_lshlrev_b64 v[2:3], v2, v[56:57]
	v_and_b32_e32 v56, 7, v2
; %bb.1096:                             ;   in Loop: Header=BB257_11 Depth=1
	s_or_b32 exec_lo, exec_lo, s22
	v_mov_b32_e32 v2, 24
	v_lshl_add_u32 v1, v1, 23, 0x3c000000
	v_mov_b32_e32 v26, v57
	v_lshlrev_b32_sdwa v0, v2, v0 dst_sel:DWORD dst_unused:UNUSED_PAD src0_sel:DWORD src1_sel:BYTE_3
	v_lshlrev_b32_e32 v2, 20, v56
	v_and_b32_e32 v0, 0x80000000, v0
	v_or3_b32 v27, v2, v0, v1
.LBB257_1097:                           ;   in Loop: Header=BB257_11 Depth=1
	s_or_b32 exec_lo, exec_lo, s19
.LBB257_1098:                           ;   in Loop: Header=BB257_11 Depth=1
	s_or_b32 exec_lo, exec_lo, s7
.LBB257_1099:                           ;   in Loop: Header=BB257_11 Depth=1
	s_or_b32 exec_lo, exec_lo, s6
	flat_load_dword v0, v[8:9] offset:8
	v_mov_b32_e32 v28, 0
	v_mov_b32_e32 v112, 0
	;; [unrolled: 1-line block ×4, first 2 shown]
	s_waitcnt vmcnt(0) lgkmcnt(0)
	v_cmp_ne_u16_sdwa s5, v0, v57 src0_sel:BYTE_0 src1_sel:DWORD
	s_and_saveexec_b32 s6, s5
	s_cbranch_execz .LBB257_1107
; %bb.1100:                             ;   in Loop: Header=BB257_11 Depth=1
	v_mov_b32_e32 v1, 0x80
	v_bfrev_b32_e32 v112, 1
	v_mov_b32_e32 v113, 0
	v_cmp_ne_u16_sdwa s5, v0, v1 src0_sel:BYTE_0 src1_sel:DWORD
	s_and_saveexec_b32 s7, s5
	s_cbranch_execz .LBB257_1106
; %bb.1101:                             ;   in Loop: Header=BB257_11 Depth=1
	v_mov_b32_e32 v112, 0x7f800001
	v_and_b32_e32 v2, 0x7f, v0
	v_mov_b32_e32 v113, 0
	s_mov_b32 s19, exec_lo
	v_cmpx_ne_u32_e32 0x7f, v2
	s_cbranch_execz .LBB257_1105
; %bb.1102:                             ;   in Loop: Header=BB257_11 Depth=1
	v_and_b32_e32 v56, 7, v0
	v_lshrrev_b32_e32 v1, 3, v2
	s_mov_b32 s22, exec_lo
	v_cmpx_gt_u32_e32 8, v2
; %bb.1103:                             ;   in Loop: Header=BB257_11 Depth=1
	v_ffbh_u32_e32 v1, v56
	v_min_u32_e32 v1, 32, v1
	v_subrev_nc_u32_e32 v2, 28, v1
	v_sub_nc_u32_e32 v1, 29, v1
	v_lshlrev_b64 v[2:3], v2, v[56:57]
	v_and_b32_e32 v56, 7, v2
; %bb.1104:                             ;   in Loop: Header=BB257_11 Depth=1
	s_or_b32 exec_lo, exec_lo, s22
	v_lshlrev_b32_e32 v2, 24, v0
	v_lshlrev_b32_e32 v3, 20, v56
	v_lshl_add_u32 v1, v1, 23, 0x3c000000
	v_and_b32_e32 v2, 0x80000000, v2
	v_or3_b32 v56, v3, v2, v1
	v_mov_b32_e32 v113, v57
	v_mov_b32_e32 v112, v56
.LBB257_1105:                           ;   in Loop: Header=BB257_11 Depth=1
	s_or_b32 exec_lo, exec_lo, s19
.LBB257_1106:                           ;   in Loop: Header=BB257_11 Depth=1
	s_or_b32 exec_lo, exec_lo, s7
.LBB257_1107:                           ;   in Loop: Header=BB257_11 Depth=1
	s_or_b32 exec_lo, exec_lo, s6
	v_cmp_ne_u16_sdwa s5, v0, v57 src0_sel:BYTE_1 src1_sel:DWORD
	s_and_saveexec_b32 s6, s5
	s_cbranch_execz .LBB257_1115
; %bb.1108:                             ;   in Loop: Header=BB257_11 Depth=1
	v_mov_b32_e32 v90, v57
	v_mov_b32_e32 v1, 0x80
	;; [unrolled: 1-line block ×3, first 2 shown]
	v_cmp_ne_u16_sdwa s5, v0, v1 src0_sel:BYTE_1 src1_sel:DWORD
	v_mov_b32_e32 v29, v91
	s_and_saveexec_b32 s7, s5
	s_cbranch_execz .LBB257_1114
; %bb.1109:                             ;   in Loop: Header=BB257_11 Depth=1
	v_mov_b32_e32 v1, 0xffff
	v_mov_b32_e32 v120, v57
	s_mov_b32 s19, exec_lo
	v_and_b32_sdwa v1, v1, v0 dst_sel:DWORD dst_unused:UNUSED_PAD src0_sel:DWORD src1_sel:BYTE_1
	v_mov_b32_e32 v28, v120
	v_mov_b32_e32 v29, v121
	v_and_b32_e32 v2, 0x7f, v1
	v_cmpx_ne_u32_e32 0x7f, v2
	s_cbranch_execz .LBB257_1113
; %bb.1110:                             ;   in Loop: Header=BB257_11 Depth=1
	v_and_b32_e32 v56, 7, v1
	v_lshrrev_b32_e32 v1, 3, v2
	s_mov_b32 s22, exec_lo
	v_cmpx_gt_u32_e32 8, v2
; %bb.1111:                             ;   in Loop: Header=BB257_11 Depth=1
	v_ffbh_u32_e32 v1, v56
	v_min_u32_e32 v1, 32, v1
	v_subrev_nc_u32_e32 v2, 28, v1
	v_sub_nc_u32_e32 v1, 29, v1
	v_lshlrev_b64 v[2:3], v2, v[56:57]
	v_and_b32_e32 v56, 7, v2
; %bb.1112:                             ;   in Loop: Header=BB257_11 Depth=1
	s_or_b32 exec_lo, exec_lo, s22
	v_lshlrev_b32_e32 v2, 16, v0
	v_lshlrev_b32_e32 v3, 20, v56
	v_lshl_add_u32 v1, v1, 23, 0x3c000000
	v_mov_b32_e32 v28, v57
	v_and_b32_e32 v2, 0x80000000, v2
	v_or3_b32 v29, v3, v2, v1
.LBB257_1113:                           ;   in Loop: Header=BB257_11 Depth=1
	s_or_b32 exec_lo, exec_lo, s19
.LBB257_1114:                           ;   in Loop: Header=BB257_11 Depth=1
	s_or_b32 exec_lo, exec_lo, s7
.LBB257_1115:                           ;   in Loop: Header=BB257_11 Depth=1
	s_or_b32 exec_lo, exec_lo, s6
	v_mov_b32_e32 v1, 0xff
	v_mov_b32_e32 v10, 0
	;; [unrolled: 1-line block ×5, first 2 shown]
	v_and_b32_sdwa v1, v0, v1 dst_sel:DWORD dst_unused:UNUSED_PAD src0_sel:WORD_1 src1_sel:DWORD
	s_mov_b32 s6, exec_lo
	v_cmpx_ne_u16_e32 0, v1
	s_cbranch_execz .LBB257_1123
; %bb.1116:                             ;   in Loop: Header=BB257_11 Depth=1
	v_bfrev_b32_e32 v64, 1
	v_mov_b32_e32 v65, 0
	s_mov_b32 s7, exec_lo
	v_cmpx_ne_u16_e32 0x80, v1
	s_cbranch_execz .LBB257_1122
; %bb.1117:                             ;   in Loop: Header=BB257_11 Depth=1
	v_mov_b32_e32 v64, 0x7f800001
	v_bfe_u32 v2, v0, 16, 7
	v_mov_b32_e32 v65, 0
	s_mov_b32 s19, exec_lo
	v_cmpx_ne_u32_e32 0x7f, v2
	s_cbranch_execz .LBB257_1121
; %bb.1118:                             ;   in Loop: Header=BB257_11 Depth=1
	v_mov_b32_e32 v1, 7
	s_mov_b32 s22, exec_lo
	v_and_b32_sdwa v56, v0, v1 dst_sel:DWORD dst_unused:UNUSED_PAD src0_sel:WORD_1 src1_sel:DWORD
	v_lshrrev_b32_e32 v1, 3, v2
	v_cmpx_gt_u32_e32 8, v2
; %bb.1119:                             ;   in Loop: Header=BB257_11 Depth=1
	v_ffbh_u32_e32 v1, v56
	v_min_u32_e32 v1, 32, v1
	v_subrev_nc_u32_e32 v2, 28, v1
	v_sub_nc_u32_e32 v1, 29, v1
	v_lshlrev_b64 v[2:3], v2, v[56:57]
	v_and_b32_e32 v56, 7, v2
; %bb.1120:                             ;   in Loop: Header=BB257_11 Depth=1
	s_or_b32 exec_lo, exec_lo, s22
	v_mov_b32_e32 v2, 24
	v_lshlrev_b32_e32 v3, 20, v56
	v_lshl_add_u32 v1, v1, 23, 0x3c000000
	v_lshlrev_b32_sdwa v2, v2, v0 dst_sel:DWORD dst_unused:UNUSED_PAD src0_sel:DWORD src1_sel:WORD_1
	v_and_b32_e32 v2, 0x80000000, v2
	v_or3_b32 v56, v3, v2, v1
	v_mov_b32_e32 v65, v57
	v_mov_b32_e32 v64, v56
.LBB257_1121:                           ;   in Loop: Header=BB257_11 Depth=1
	s_or_b32 exec_lo, exec_lo, s19
.LBB257_1122:                           ;   in Loop: Header=BB257_11 Depth=1
	s_or_b32 exec_lo, exec_lo, s7
.LBB257_1123:                           ;   in Loop: Header=BB257_11 Depth=1
	s_or_b32 exec_lo, exec_lo, s6
	s_mov_b32 s6, exec_lo
	v_cmpx_lt_u32_e32 0xffffff, v0
	s_cbranch_execz .LBB257_1131
; %bb.1124:                             ;   in Loop: Header=BB257_11 Depth=1
	v_mov_b32_e32 v90, v57
	v_mov_b32_e32 v1, 0x80
	;; [unrolled: 1-line block ×3, first 2 shown]
	v_cmp_ne_u32_sdwa s5, v0, v1 src0_sel:BYTE_3 src1_sel:DWORD
	v_mov_b32_e32 v11, v91
	s_and_saveexec_b32 s7, s5
	s_cbranch_execz .LBB257_1130
; %bb.1125:                             ;   in Loop: Header=BB257_11 Depth=1
	v_mov_b32_e32 v120, v57
	v_bfe_u32 v2, v0, 24, 7
	s_mov_b32 s19, exec_lo
	v_mov_b32_e32 v10, v120
	v_mov_b32_e32 v11, v121
	v_cmpx_ne_u32_e32 0x7f, v2
	s_cbranch_execz .LBB257_1129
; %bb.1126:                             ;   in Loop: Header=BB257_11 Depth=1
	v_mov_b32_e32 v1, 7
	s_mov_b32 s22, exec_lo
	v_and_b32_sdwa v56, v0, v1 dst_sel:DWORD dst_unused:UNUSED_PAD src0_sel:BYTE_3 src1_sel:DWORD
	v_lshrrev_b32_e32 v1, 3, v2
	v_cmpx_gt_u32_e32 8, v2
; %bb.1127:                             ;   in Loop: Header=BB257_11 Depth=1
	v_ffbh_u32_e32 v1, v56
	v_min_u32_e32 v1, 32, v1
	v_subrev_nc_u32_e32 v2, 28, v1
	v_sub_nc_u32_e32 v1, 29, v1
	v_lshlrev_b64 v[2:3], v2, v[56:57]
	v_and_b32_e32 v56, 7, v2
; %bb.1128:                             ;   in Loop: Header=BB257_11 Depth=1
	s_or_b32 exec_lo, exec_lo, s22
	v_mov_b32_e32 v2, 24
	v_lshl_add_u32 v1, v1, 23, 0x3c000000
	v_mov_b32_e32 v10, v57
	v_lshlrev_b32_sdwa v0, v2, v0 dst_sel:DWORD dst_unused:UNUSED_PAD src0_sel:DWORD src1_sel:BYTE_3
	v_lshlrev_b32_e32 v2, 20, v56
	v_and_b32_e32 v0, 0x80000000, v0
	v_or3_b32 v11, v2, v0, v1
.LBB257_1129:                           ;   in Loop: Header=BB257_11 Depth=1
	s_or_b32 exec_lo, exec_lo, s19
.LBB257_1130:                           ;   in Loop: Header=BB257_11 Depth=1
	s_or_b32 exec_lo, exec_lo, s7
.LBB257_1131:                           ;   in Loop: Header=BB257_11 Depth=1
	s_or_b32 exec_lo, exec_lo, s6
	flat_load_dword v0, v[8:9] offset:12
	v_mov_b32_e32 v80, 0
	v_mov_b32_e32 v108, 0
	;; [unrolled: 1-line block ×4, first 2 shown]
	s_waitcnt vmcnt(0) lgkmcnt(0)
	v_cmp_ne_u16_sdwa s5, v0, v57 src0_sel:BYTE_0 src1_sel:DWORD
	s_and_saveexec_b32 s6, s5
	s_cbranch_execz .LBB257_1139
; %bb.1132:                             ;   in Loop: Header=BB257_11 Depth=1
	v_mov_b32_e32 v1, 0x80
	v_bfrev_b32_e32 v108, 1
	v_mov_b32_e32 v109, 0
	v_cmp_ne_u16_sdwa s5, v0, v1 src0_sel:BYTE_0 src1_sel:DWORD
	s_and_saveexec_b32 s7, s5
	s_cbranch_execz .LBB257_1138
; %bb.1133:                             ;   in Loop: Header=BB257_11 Depth=1
	v_mov_b32_e32 v108, 0x7f800001
	v_and_b32_e32 v2, 0x7f, v0
	v_mov_b32_e32 v109, 0
	s_mov_b32 s19, exec_lo
	v_cmpx_ne_u32_e32 0x7f, v2
	s_cbranch_execz .LBB257_1137
; %bb.1134:                             ;   in Loop: Header=BB257_11 Depth=1
	v_and_b32_e32 v56, 7, v0
	v_lshrrev_b32_e32 v1, 3, v2
	s_mov_b32 s22, exec_lo
	v_cmpx_gt_u32_e32 8, v2
; %bb.1135:                             ;   in Loop: Header=BB257_11 Depth=1
	v_ffbh_u32_e32 v1, v56
	v_min_u32_e32 v1, 32, v1
	v_subrev_nc_u32_e32 v2, 28, v1
	v_sub_nc_u32_e32 v1, 29, v1
	v_lshlrev_b64 v[2:3], v2, v[56:57]
	v_and_b32_e32 v56, 7, v2
; %bb.1136:                             ;   in Loop: Header=BB257_11 Depth=1
	s_or_b32 exec_lo, exec_lo, s22
	v_lshlrev_b32_e32 v2, 24, v0
	v_lshlrev_b32_e32 v3, 20, v56
	v_lshl_add_u32 v1, v1, 23, 0x3c000000
	v_and_b32_e32 v2, 0x80000000, v2
	v_or3_b32 v56, v3, v2, v1
	v_mov_b32_e32 v109, v57
	v_mov_b32_e32 v108, v56
.LBB257_1137:                           ;   in Loop: Header=BB257_11 Depth=1
	s_or_b32 exec_lo, exec_lo, s19
.LBB257_1138:                           ;   in Loop: Header=BB257_11 Depth=1
	s_or_b32 exec_lo, exec_lo, s7
.LBB257_1139:                           ;   in Loop: Header=BB257_11 Depth=1
	s_or_b32 exec_lo, exec_lo, s6
	v_cmp_ne_u16_sdwa s5, v0, v57 src0_sel:BYTE_1 src1_sel:DWORD
	s_and_saveexec_b32 s6, s5
	s_cbranch_execz .LBB257_1147
; %bb.1140:                             ;   in Loop: Header=BB257_11 Depth=1
	v_mov_b32_e32 v90, v57
	v_mov_b32_e32 v1, 0x80
	;; [unrolled: 1-line block ×3, first 2 shown]
	v_cmp_ne_u16_sdwa s5, v0, v1 src0_sel:BYTE_1 src1_sel:DWORD
	v_mov_b32_e32 v81, v91
	s_and_saveexec_b32 s7, s5
	s_cbranch_execz .LBB257_1146
; %bb.1141:                             ;   in Loop: Header=BB257_11 Depth=1
	v_mov_b32_e32 v1, 0xffff
	v_mov_b32_e32 v120, v57
	s_mov_b32 s19, exec_lo
	v_and_b32_sdwa v1, v1, v0 dst_sel:DWORD dst_unused:UNUSED_PAD src0_sel:DWORD src1_sel:BYTE_1
	v_mov_b32_e32 v80, v120
	v_mov_b32_e32 v81, v121
	v_and_b32_e32 v2, 0x7f, v1
	v_cmpx_ne_u32_e32 0x7f, v2
	s_cbranch_execz .LBB257_1145
; %bb.1142:                             ;   in Loop: Header=BB257_11 Depth=1
	v_and_b32_e32 v56, 7, v1
	v_lshrrev_b32_e32 v1, 3, v2
	s_mov_b32 s22, exec_lo
	v_cmpx_gt_u32_e32 8, v2
; %bb.1143:                             ;   in Loop: Header=BB257_11 Depth=1
	v_ffbh_u32_e32 v1, v56
	v_min_u32_e32 v1, 32, v1
	v_subrev_nc_u32_e32 v2, 28, v1
	v_sub_nc_u32_e32 v1, 29, v1
	v_lshlrev_b64 v[2:3], v2, v[56:57]
	v_and_b32_e32 v56, 7, v2
; %bb.1144:                             ;   in Loop: Header=BB257_11 Depth=1
	s_or_b32 exec_lo, exec_lo, s22
	v_lshlrev_b32_e32 v2, 16, v0
	v_lshlrev_b32_e32 v3, 20, v56
	v_lshl_add_u32 v1, v1, 23, 0x3c000000
	v_mov_b32_e32 v80, v57
	v_and_b32_e32 v2, 0x80000000, v2
	v_or3_b32 v81, v3, v2, v1
.LBB257_1145:                           ;   in Loop: Header=BB257_11 Depth=1
	s_or_b32 exec_lo, exec_lo, s19
.LBB257_1146:                           ;   in Loop: Header=BB257_11 Depth=1
	s_or_b32 exec_lo, exec_lo, s7
.LBB257_1147:                           ;   in Loop: Header=BB257_11 Depth=1
	s_or_b32 exec_lo, exec_lo, s6
	v_mov_b32_e32 v1, 0xff
	v_mov_b32_e32 v16, 0
	v_mov_b32_e32 v31, 0
	v_mov_b32_e32 v17, 0
	v_mov_b32_e32 v32, 0
	v_and_b32_sdwa v1, v0, v1 dst_sel:DWORD dst_unused:UNUSED_PAD src0_sel:WORD_1 src1_sel:DWORD
	s_mov_b32 s6, exec_lo
	v_cmpx_ne_u16_e32 0, v1
	s_cbranch_execz .LBB257_1155
; %bb.1148:                             ;   in Loop: Header=BB257_11 Depth=1
	v_bfrev_b32_e32 v31, 1
	v_mov_b32_e32 v32, 0
	s_mov_b32 s7, exec_lo
	v_cmpx_ne_u16_e32 0x80, v1
	s_cbranch_execz .LBB257_1154
; %bb.1149:                             ;   in Loop: Header=BB257_11 Depth=1
	v_mov_b32_e32 v31, 0x7f800001
	v_bfe_u32 v2, v0, 16, 7
	v_mov_b32_e32 v32, 0
	s_mov_b32 s19, exec_lo
	v_cmpx_ne_u32_e32 0x7f, v2
	s_cbranch_execz .LBB257_1153
; %bb.1150:                             ;   in Loop: Header=BB257_11 Depth=1
	v_mov_b32_e32 v1, 7
	s_mov_b32 s22, exec_lo
	v_and_b32_sdwa v56, v0, v1 dst_sel:DWORD dst_unused:UNUSED_PAD src0_sel:WORD_1 src1_sel:DWORD
	v_lshrrev_b32_e32 v1, 3, v2
	v_cmpx_gt_u32_e32 8, v2
; %bb.1151:                             ;   in Loop: Header=BB257_11 Depth=1
	v_ffbh_u32_e32 v1, v56
	v_min_u32_e32 v1, 32, v1
	v_subrev_nc_u32_e32 v2, 28, v1
	v_sub_nc_u32_e32 v1, 29, v1
	v_lshlrev_b64 v[2:3], v2, v[56:57]
	v_and_b32_e32 v56, 7, v2
; %bb.1152:                             ;   in Loop: Header=BB257_11 Depth=1
	s_or_b32 exec_lo, exec_lo, s22
	v_mov_b32_e32 v2, 24
	v_lshlrev_b32_e32 v3, 20, v56
	v_lshl_add_u32 v1, v1, 23, 0x3c000000
	v_lshlrev_b32_sdwa v2, v2, v0 dst_sel:DWORD dst_unused:UNUSED_PAD src0_sel:DWORD src1_sel:WORD_1
	v_and_b32_e32 v2, 0x80000000, v2
	v_or3_b32 v56, v3, v2, v1
	v_mov_b32_e32 v31, v56
	v_mov_b32_e32 v32, v57
.LBB257_1153:                           ;   in Loop: Header=BB257_11 Depth=1
	s_or_b32 exec_lo, exec_lo, s19
.LBB257_1154:                           ;   in Loop: Header=BB257_11 Depth=1
	s_or_b32 exec_lo, exec_lo, s7
.LBB257_1155:                           ;   in Loop: Header=BB257_11 Depth=1
	s_or_b32 exec_lo, exec_lo, s6
	s_mov_b32 s6, exec_lo
	v_cmpx_lt_u32_e32 0xffffff, v0
	s_cbranch_execz .LBB257_1163
; %bb.1156:                             ;   in Loop: Header=BB257_11 Depth=1
	v_mov_b32_e32 v90, v57
	v_mov_b32_e32 v1, 0x80
	;; [unrolled: 1-line block ×3, first 2 shown]
	v_cmp_ne_u32_sdwa s5, v0, v1 src0_sel:BYTE_3 src1_sel:DWORD
	v_mov_b32_e32 v17, v91
	s_and_saveexec_b32 s7, s5
	s_cbranch_execz .LBB257_1162
; %bb.1157:                             ;   in Loop: Header=BB257_11 Depth=1
	v_mov_b32_e32 v120, v57
	v_bfe_u32 v2, v0, 24, 7
	s_mov_b32 s19, exec_lo
	v_mov_b32_e32 v16, v120
	v_mov_b32_e32 v17, v121
	v_cmpx_ne_u32_e32 0x7f, v2
	s_cbranch_execz .LBB257_1161
; %bb.1158:                             ;   in Loop: Header=BB257_11 Depth=1
	v_mov_b32_e32 v1, 7
	s_mov_b32 s22, exec_lo
	v_and_b32_sdwa v56, v0, v1 dst_sel:DWORD dst_unused:UNUSED_PAD src0_sel:BYTE_3 src1_sel:DWORD
	v_lshrrev_b32_e32 v1, 3, v2
	v_cmpx_gt_u32_e32 8, v2
; %bb.1159:                             ;   in Loop: Header=BB257_11 Depth=1
	v_ffbh_u32_e32 v1, v56
	v_min_u32_e32 v1, 32, v1
	v_subrev_nc_u32_e32 v2, 28, v1
	v_sub_nc_u32_e32 v1, 29, v1
	v_lshlrev_b64 v[2:3], v2, v[56:57]
	v_and_b32_e32 v56, 7, v2
; %bb.1160:                             ;   in Loop: Header=BB257_11 Depth=1
	s_or_b32 exec_lo, exec_lo, s22
	v_mov_b32_e32 v2, 24
	v_lshl_add_u32 v1, v1, 23, 0x3c000000
	v_mov_b32_e32 v16, v57
	v_lshlrev_b32_sdwa v0, v2, v0 dst_sel:DWORD dst_unused:UNUSED_PAD src0_sel:DWORD src1_sel:BYTE_3
	v_lshlrev_b32_e32 v2, 20, v56
	v_and_b32_e32 v0, 0x80000000, v0
	v_or3_b32 v17, v2, v0, v1
.LBB257_1161:                           ;   in Loop: Header=BB257_11 Depth=1
	s_or_b32 exec_lo, exec_lo, s19
.LBB257_1162:                           ;   in Loop: Header=BB257_11 Depth=1
	s_or_b32 exec_lo, exec_lo, s7
.LBB257_1163:                           ;   in Loop: Header=BB257_11 Depth=1
	s_or_b32 exec_lo, exec_lo, s6
	flat_load_dword v0, v[8:9] offset:512
	v_mov_b32_e32 v54, 0
	v_mov_b32_e32 v45, 0
	;; [unrolled: 1-line block ×4, first 2 shown]
	s_waitcnt vmcnt(0) lgkmcnt(0)
	v_cmp_ne_u16_sdwa s5, v0, v57 src0_sel:BYTE_0 src1_sel:DWORD
	s_and_saveexec_b32 s6, s5
	s_cbranch_execz .LBB257_1171
; %bb.1164:                             ;   in Loop: Header=BB257_11 Depth=1
	v_mov_b32_e32 v1, 0x80
	v_bfrev_b32_e32 v45, 1
	v_mov_b32_e32 v46, 0
	v_cmp_ne_u16_sdwa s5, v0, v1 src0_sel:BYTE_0 src1_sel:DWORD
	s_and_saveexec_b32 s7, s5
	s_cbranch_execz .LBB257_1170
; %bb.1165:                             ;   in Loop: Header=BB257_11 Depth=1
	v_mov_b32_e32 v45, 0x7f800001
	v_and_b32_e32 v2, 0x7f, v0
	v_mov_b32_e32 v46, 0
	s_mov_b32 s19, exec_lo
	v_cmpx_ne_u32_e32 0x7f, v2
	s_cbranch_execz .LBB257_1169
; %bb.1166:                             ;   in Loop: Header=BB257_11 Depth=1
	v_and_b32_e32 v56, 7, v0
	v_lshrrev_b32_e32 v1, 3, v2
	s_mov_b32 s22, exec_lo
	v_cmpx_gt_u32_e32 8, v2
; %bb.1167:                             ;   in Loop: Header=BB257_11 Depth=1
	v_ffbh_u32_e32 v1, v56
	v_min_u32_e32 v1, 32, v1
	v_subrev_nc_u32_e32 v2, 28, v1
	v_sub_nc_u32_e32 v1, 29, v1
	v_lshlrev_b64 v[2:3], v2, v[56:57]
	v_and_b32_e32 v56, 7, v2
; %bb.1168:                             ;   in Loop: Header=BB257_11 Depth=1
	s_or_b32 exec_lo, exec_lo, s22
	v_lshlrev_b32_e32 v2, 24, v0
	v_lshlrev_b32_e32 v3, 20, v56
	v_lshl_add_u32 v1, v1, 23, 0x3c000000
	v_and_b32_e32 v2, 0x80000000, v2
	v_or3_b32 v56, v3, v2, v1
	v_mov_b32_e32 v45, v56
	v_mov_b32_e32 v46, v57
.LBB257_1169:                           ;   in Loop: Header=BB257_11 Depth=1
	s_or_b32 exec_lo, exec_lo, s19
.LBB257_1170:                           ;   in Loop: Header=BB257_11 Depth=1
	s_or_b32 exec_lo, exec_lo, s7
.LBB257_1171:                           ;   in Loop: Header=BB257_11 Depth=1
	s_or_b32 exec_lo, exec_lo, s6
	v_cmp_ne_u16_sdwa s5, v0, v57 src0_sel:BYTE_1 src1_sel:DWORD
	s_and_saveexec_b32 s6, s5
	s_cbranch_execz .LBB257_1179
; %bb.1172:                             ;   in Loop: Header=BB257_11 Depth=1
	v_mov_b32_e32 v90, v57
	v_mov_b32_e32 v1, 0x80
	;; [unrolled: 1-line block ×3, first 2 shown]
	v_cmp_ne_u16_sdwa s5, v0, v1 src0_sel:BYTE_1 src1_sel:DWORD
	v_mov_b32_e32 v55, v91
	s_and_saveexec_b32 s7, s5
	s_cbranch_execz .LBB257_1178
; %bb.1173:                             ;   in Loop: Header=BB257_11 Depth=1
	v_mov_b32_e32 v1, 0xffff
	v_mov_b32_e32 v120, v57
	s_mov_b32 s19, exec_lo
	v_and_b32_sdwa v1, v1, v0 dst_sel:DWORD dst_unused:UNUSED_PAD src0_sel:DWORD src1_sel:BYTE_1
	v_mov_b32_e32 v54, v120
	v_mov_b32_e32 v55, v121
	v_and_b32_e32 v2, 0x7f, v1
	v_cmpx_ne_u32_e32 0x7f, v2
	s_cbranch_execz .LBB257_1177
; %bb.1174:                             ;   in Loop: Header=BB257_11 Depth=1
	v_and_b32_e32 v56, 7, v1
	v_lshrrev_b32_e32 v1, 3, v2
	s_mov_b32 s22, exec_lo
	v_cmpx_gt_u32_e32 8, v2
; %bb.1175:                             ;   in Loop: Header=BB257_11 Depth=1
	v_ffbh_u32_e32 v1, v56
	v_min_u32_e32 v1, 32, v1
	v_subrev_nc_u32_e32 v2, 28, v1
	v_sub_nc_u32_e32 v1, 29, v1
	v_lshlrev_b64 v[2:3], v2, v[56:57]
	v_and_b32_e32 v56, 7, v2
; %bb.1176:                             ;   in Loop: Header=BB257_11 Depth=1
	s_or_b32 exec_lo, exec_lo, s22
	v_lshlrev_b32_e32 v2, 16, v0
	v_lshlrev_b32_e32 v3, 20, v56
	v_lshl_add_u32 v1, v1, 23, 0x3c000000
	v_mov_b32_e32 v54, v57
	v_and_b32_e32 v2, 0x80000000, v2
	v_or3_b32 v55, v3, v2, v1
.LBB257_1177:                           ;   in Loop: Header=BB257_11 Depth=1
	s_or_b32 exec_lo, exec_lo, s19
.LBB257_1178:                           ;   in Loop: Header=BB257_11 Depth=1
	s_or_b32 exec_lo, exec_lo, s7
.LBB257_1179:                           ;   in Loop: Header=BB257_11 Depth=1
	s_or_b32 exec_lo, exec_lo, s6
	v_mov_b32_e32 v1, 0xff
	v_mov_b32_e32 v24, 0
	;; [unrolled: 1-line block ×5, first 2 shown]
	v_and_b32_sdwa v1, v0, v1 dst_sel:DWORD dst_unused:UNUSED_PAD src0_sel:WORD_1 src1_sel:DWORD
	s_mov_b32 s6, exec_lo
	v_cmpx_ne_u16_e32 0, v1
	s_cbranch_execz .LBB257_1187
; %bb.1180:                             ;   in Loop: Header=BB257_11 Depth=1
	v_bfrev_b32_e32 v18, 1
	v_mov_b32_e32 v19, 0
	s_mov_b32 s7, exec_lo
	v_cmpx_ne_u16_e32 0x80, v1
	s_cbranch_execz .LBB257_1186
; %bb.1181:                             ;   in Loop: Header=BB257_11 Depth=1
	v_mov_b32_e32 v18, 0x7f800001
	v_bfe_u32 v2, v0, 16, 7
	v_mov_b32_e32 v19, 0
	s_mov_b32 s19, exec_lo
	v_cmpx_ne_u32_e32 0x7f, v2
	s_cbranch_execz .LBB257_1185
; %bb.1182:                             ;   in Loop: Header=BB257_11 Depth=1
	v_mov_b32_e32 v1, 7
	s_mov_b32 s22, exec_lo
	v_and_b32_sdwa v56, v0, v1 dst_sel:DWORD dst_unused:UNUSED_PAD src0_sel:WORD_1 src1_sel:DWORD
	v_lshrrev_b32_e32 v1, 3, v2
	v_cmpx_gt_u32_e32 8, v2
; %bb.1183:                             ;   in Loop: Header=BB257_11 Depth=1
	v_ffbh_u32_e32 v1, v56
	v_min_u32_e32 v1, 32, v1
	v_subrev_nc_u32_e32 v2, 28, v1
	v_sub_nc_u32_e32 v1, 29, v1
	v_lshlrev_b64 v[2:3], v2, v[56:57]
	v_and_b32_e32 v56, 7, v2
; %bb.1184:                             ;   in Loop: Header=BB257_11 Depth=1
	s_or_b32 exec_lo, exec_lo, s22
	v_mov_b32_e32 v2, 24
	v_lshlrev_b32_e32 v3, 20, v56
	v_lshl_add_u32 v1, v1, 23, 0x3c000000
	v_lshlrev_b32_sdwa v2, v2, v0 dst_sel:DWORD dst_unused:UNUSED_PAD src0_sel:DWORD src1_sel:WORD_1
	v_and_b32_e32 v2, 0x80000000, v2
	v_or3_b32 v56, v3, v2, v1
	v_mov_b32_e32 v18, v56
	v_mov_b32_e32 v19, v57
.LBB257_1185:                           ;   in Loop: Header=BB257_11 Depth=1
	s_or_b32 exec_lo, exec_lo, s19
.LBB257_1186:                           ;   in Loop: Header=BB257_11 Depth=1
	s_or_b32 exec_lo, exec_lo, s7
.LBB257_1187:                           ;   in Loop: Header=BB257_11 Depth=1
	s_or_b32 exec_lo, exec_lo, s6
	s_mov_b32 s6, exec_lo
	v_cmpx_lt_u32_e32 0xffffff, v0
	s_cbranch_execz .LBB257_1195
; %bb.1188:                             ;   in Loop: Header=BB257_11 Depth=1
	v_mov_b32_e32 v90, v57
	v_mov_b32_e32 v1, 0x80
	;; [unrolled: 1-line block ×3, first 2 shown]
	v_cmp_ne_u32_sdwa s5, v0, v1 src0_sel:BYTE_3 src1_sel:DWORD
	v_mov_b32_e32 v25, v91
	s_and_saveexec_b32 s7, s5
	s_cbranch_execz .LBB257_1194
; %bb.1189:                             ;   in Loop: Header=BB257_11 Depth=1
	v_mov_b32_e32 v120, v57
	v_bfe_u32 v2, v0, 24, 7
	s_mov_b32 s19, exec_lo
	v_mov_b32_e32 v24, v120
	v_mov_b32_e32 v25, v121
	v_cmpx_ne_u32_e32 0x7f, v2
	s_cbranch_execz .LBB257_1193
; %bb.1190:                             ;   in Loop: Header=BB257_11 Depth=1
	v_mov_b32_e32 v1, 7
	s_mov_b32 s22, exec_lo
	v_and_b32_sdwa v56, v0, v1 dst_sel:DWORD dst_unused:UNUSED_PAD src0_sel:BYTE_3 src1_sel:DWORD
	v_lshrrev_b32_e32 v1, 3, v2
	v_cmpx_gt_u32_e32 8, v2
; %bb.1191:                             ;   in Loop: Header=BB257_11 Depth=1
	v_ffbh_u32_e32 v1, v56
	v_min_u32_e32 v1, 32, v1
	v_subrev_nc_u32_e32 v2, 28, v1
	v_sub_nc_u32_e32 v1, 29, v1
	v_lshlrev_b64 v[2:3], v2, v[56:57]
	v_and_b32_e32 v56, 7, v2
; %bb.1192:                             ;   in Loop: Header=BB257_11 Depth=1
	s_or_b32 exec_lo, exec_lo, s22
	v_mov_b32_e32 v2, 24
	v_lshl_add_u32 v1, v1, 23, 0x3c000000
	v_mov_b32_e32 v24, v57
	v_lshlrev_b32_sdwa v0, v2, v0 dst_sel:DWORD dst_unused:UNUSED_PAD src0_sel:DWORD src1_sel:BYTE_3
	v_lshlrev_b32_e32 v2, 20, v56
	v_and_b32_e32 v0, 0x80000000, v0
	v_or3_b32 v25, v2, v0, v1
.LBB257_1193:                           ;   in Loop: Header=BB257_11 Depth=1
	s_or_b32 exec_lo, exec_lo, s19
.LBB257_1194:                           ;   in Loop: Header=BB257_11 Depth=1
	s_or_b32 exec_lo, exec_lo, s7
.LBB257_1195:                           ;   in Loop: Header=BB257_11 Depth=1
	s_or_b32 exec_lo, exec_lo, s6
	flat_load_dword v2, v[8:9] offset:516
	v_mov_b32_e32 v0, 0
	v_mov_b32_e32 v6, 0
	;; [unrolled: 1-line block ×4, first 2 shown]
	s_waitcnt vmcnt(0) lgkmcnt(0)
	v_cmp_ne_u16_sdwa s5, v2, v57 src0_sel:BYTE_0 src1_sel:DWORD
	s_and_saveexec_b32 s6, s5
	s_cbranch_execz .LBB257_1203
; %bb.1196:                             ;   in Loop: Header=BB257_11 Depth=1
	v_mov_b32_e32 v3, 0x80
	v_bfrev_b32_e32 v6, 1
	v_mov_b32_e32 v7, 0
	v_cmp_ne_u16_sdwa s5, v2, v3 src0_sel:BYTE_0 src1_sel:DWORD
	s_and_saveexec_b32 s7, s5
	s_cbranch_execz .LBB257_1202
; %bb.1197:                             ;   in Loop: Header=BB257_11 Depth=1
	v_mov_b32_e32 v6, 0x7f800001
	v_and_b32_e32 v4, 0x7f, v2
	v_mov_b32_e32 v7, 0
	s_mov_b32 s19, exec_lo
	v_cmpx_ne_u32_e32 0x7f, v4
	s_cbranch_execz .LBB257_1201
; %bb.1198:                             ;   in Loop: Header=BB257_11 Depth=1
	v_and_b32_e32 v56, 7, v2
	v_lshrrev_b32_e32 v3, 3, v4
	s_mov_b32 s22, exec_lo
	v_cmpx_gt_u32_e32 8, v4
; %bb.1199:                             ;   in Loop: Header=BB257_11 Depth=1
	v_ffbh_u32_e32 v3, v56
	v_min_u32_e32 v3, 32, v3
	v_subrev_nc_u32_e32 v4, 28, v3
	v_sub_nc_u32_e32 v3, 29, v3
	v_lshlrev_b64 v[4:5], v4, v[56:57]
	v_and_b32_e32 v56, 7, v4
; %bb.1200:                             ;   in Loop: Header=BB257_11 Depth=1
	s_or_b32 exec_lo, exec_lo, s22
	v_lshlrev_b32_e32 v4, 24, v2
	v_lshlrev_b32_e32 v5, 20, v56
	v_lshl_add_u32 v3, v3, 23, 0x3c000000
	v_and_b32_e32 v4, 0x80000000, v4
	v_or3_b32 v56, v5, v4, v3
	v_mov_b32_e32 v6, v56
	v_mov_b32_e32 v7, v57
.LBB257_1201:                           ;   in Loop: Header=BB257_11 Depth=1
	s_or_b32 exec_lo, exec_lo, s19
.LBB257_1202:                           ;   in Loop: Header=BB257_11 Depth=1
	s_or_b32 exec_lo, exec_lo, s7
.LBB257_1203:                           ;   in Loop: Header=BB257_11 Depth=1
	s_or_b32 exec_lo, exec_lo, s6
	v_cmp_ne_u16_sdwa s5, v2, v57 src0_sel:BYTE_1 src1_sel:DWORD
	s_and_saveexec_b32 s6, s5
	s_cbranch_execz .LBB257_1211
; %bb.1204:                             ;   in Loop: Header=BB257_11 Depth=1
	v_mov_b32_e32 v90, v57
	v_mov_b32_e32 v0, 0x80
	v_cmp_ne_u16_sdwa s5, v2, v0 src0_sel:BYTE_1 src1_sel:DWORD
	v_mov_b32_e32 v0, v90
	v_mov_b32_e32 v1, v91
	s_and_saveexec_b32 s7, s5
	s_cbranch_execz .LBB257_1210
; %bb.1205:                             ;   in Loop: Header=BB257_11 Depth=1
	v_mov_b32_e32 v0, 0xffff
	v_mov_b32_e32 v120, v57
	s_mov_b32 s19, exec_lo
	v_and_b32_sdwa v4, v0, v2 dst_sel:DWORD dst_unused:UNUSED_PAD src0_sel:DWORD src1_sel:BYTE_1
	v_mov_b32_e32 v0, v120
	v_mov_b32_e32 v1, v121
	v_and_b32_e32 v3, 0x7f, v4
	v_cmpx_ne_u32_e32 0x7f, v3
	s_cbranch_execz .LBB257_1209
; %bb.1206:                             ;   in Loop: Header=BB257_11 Depth=1
	v_and_b32_e32 v56, 7, v4
	v_lshrrev_b32_e32 v0, 3, v3
	s_mov_b32 s22, exec_lo
	v_cmpx_gt_u32_e32 8, v3
; %bb.1207:                             ;   in Loop: Header=BB257_11 Depth=1
	v_ffbh_u32_e32 v0, v56
	v_min_u32_e32 v0, 32, v0
	v_subrev_nc_u32_e32 v1, 28, v0
	v_sub_nc_u32_e32 v0, 29, v0
	v_lshlrev_b64 v[3:4], v1, v[56:57]
	v_and_b32_e32 v56, 7, v3
; %bb.1208:                             ;   in Loop: Header=BB257_11 Depth=1
	s_or_b32 exec_lo, exec_lo, s22
	v_lshlrev_b32_e32 v1, 16, v2
	v_lshlrev_b32_e32 v3, 20, v56
	v_lshl_add_u32 v0, v0, 23, 0x3c000000
	v_and_b32_e32 v1, 0x80000000, v1
	v_or3_b32 v1, v3, v1, v0
	v_mov_b32_e32 v0, v57
.LBB257_1209:                           ;   in Loop: Header=BB257_11 Depth=1
	s_or_b32 exec_lo, exec_lo, s19
.LBB257_1210:                           ;   in Loop: Header=BB257_11 Depth=1
	s_or_b32 exec_lo, exec_lo, s7
.LBB257_1211:                           ;   in Loop: Header=BB257_11 Depth=1
	s_or_b32 exec_lo, exec_lo, s6
	v_mov_b32_e32 v3, 0xff
	v_mov_b32_e32 v37, 0
	;; [unrolled: 1-line block ×5, first 2 shown]
	v_and_b32_sdwa v3, v2, v3 dst_sel:DWORD dst_unused:UNUSED_PAD src0_sel:WORD_1 src1_sel:DWORD
	s_mov_b32 s6, exec_lo
	v_cmpx_ne_u16_e32 0, v3
	s_cbranch_execz .LBB257_1219
; %bb.1212:                             ;   in Loop: Header=BB257_11 Depth=1
	v_bfrev_b32_e32 v52, 1
	v_mov_b32_e32 v53, 0
	s_mov_b32 s7, exec_lo
	v_cmpx_ne_u16_e32 0x80, v3
	s_cbranch_execz .LBB257_1218
; %bb.1213:                             ;   in Loop: Header=BB257_11 Depth=1
	v_mov_b32_e32 v52, 0x7f800001
	v_bfe_u32 v4, v2, 16, 7
	v_mov_b32_e32 v53, 0
	s_mov_b32 s19, exec_lo
	v_cmpx_ne_u32_e32 0x7f, v4
	s_cbranch_execz .LBB257_1217
; %bb.1214:                             ;   in Loop: Header=BB257_11 Depth=1
	v_mov_b32_e32 v3, 7
	s_mov_b32 s22, exec_lo
	v_and_b32_sdwa v56, v2, v3 dst_sel:DWORD dst_unused:UNUSED_PAD src0_sel:WORD_1 src1_sel:DWORD
	v_lshrrev_b32_e32 v3, 3, v4
	v_cmpx_gt_u32_e32 8, v4
; %bb.1215:                             ;   in Loop: Header=BB257_11 Depth=1
	v_ffbh_u32_e32 v3, v56
	v_min_u32_e32 v3, 32, v3
	v_subrev_nc_u32_e32 v4, 28, v3
	v_sub_nc_u32_e32 v3, 29, v3
	v_lshlrev_b64 v[4:5], v4, v[56:57]
	v_and_b32_e32 v56, 7, v4
; %bb.1216:                             ;   in Loop: Header=BB257_11 Depth=1
	s_or_b32 exec_lo, exec_lo, s22
	v_mov_b32_e32 v4, 24
	v_lshlrev_b32_e32 v5, 20, v56
	v_lshl_add_u32 v3, v3, 23, 0x3c000000
	v_lshlrev_b32_sdwa v4, v4, v2 dst_sel:DWORD dst_unused:UNUSED_PAD src0_sel:DWORD src1_sel:WORD_1
	v_and_b32_e32 v4, 0x80000000, v4
	v_or3_b32 v56, v5, v4, v3
	v_mov_b32_e32 v52, v56
	v_mov_b32_e32 v53, v57
.LBB257_1217:                           ;   in Loop: Header=BB257_11 Depth=1
	s_or_b32 exec_lo, exec_lo, s19
.LBB257_1218:                           ;   in Loop: Header=BB257_11 Depth=1
	s_or_b32 exec_lo, exec_lo, s7
.LBB257_1219:                           ;   in Loop: Header=BB257_11 Depth=1
	s_or_b32 exec_lo, exec_lo, s6
	s_mov_b32 s6, exec_lo
	v_cmpx_lt_u32_e32 0xffffff, v2
	s_cbranch_execz .LBB257_1227
; %bb.1220:                             ;   in Loop: Header=BB257_11 Depth=1
	v_mov_b32_e32 v90, v57
	v_mov_b32_e32 v3, 0x80
	;; [unrolled: 1-line block ×3, first 2 shown]
	v_cmp_ne_u32_sdwa s5, v2, v3 src0_sel:BYTE_3 src1_sel:DWORD
	v_mov_b32_e32 v38, v91
	s_and_saveexec_b32 s7, s5
	s_cbranch_execz .LBB257_1226
; %bb.1221:                             ;   in Loop: Header=BB257_11 Depth=1
	v_mov_b32_e32 v120, v57
	v_bfe_u32 v4, v2, 24, 7
	s_mov_b32 s19, exec_lo
	v_mov_b32_e32 v37, v120
	v_mov_b32_e32 v38, v121
	v_cmpx_ne_u32_e32 0x7f, v4
	s_cbranch_execz .LBB257_1225
; %bb.1222:                             ;   in Loop: Header=BB257_11 Depth=1
	v_mov_b32_e32 v3, 7
	s_mov_b32 s22, exec_lo
	v_and_b32_sdwa v56, v2, v3 dst_sel:DWORD dst_unused:UNUSED_PAD src0_sel:BYTE_3 src1_sel:DWORD
	v_lshrrev_b32_e32 v3, 3, v4
	v_cmpx_gt_u32_e32 8, v4
; %bb.1223:                             ;   in Loop: Header=BB257_11 Depth=1
	v_ffbh_u32_e32 v3, v56
	v_min_u32_e32 v3, 32, v3
	v_subrev_nc_u32_e32 v4, 28, v3
	v_sub_nc_u32_e32 v3, 29, v3
	v_lshlrev_b64 v[4:5], v4, v[56:57]
	v_and_b32_e32 v56, 7, v4
; %bb.1224:                             ;   in Loop: Header=BB257_11 Depth=1
	s_or_b32 exec_lo, exec_lo, s22
	v_mov_b32_e32 v4, 24
	v_lshl_add_u32 v3, v3, 23, 0x3c000000
	v_mov_b32_e32 v37, v57
	v_lshlrev_b32_sdwa v2, v4, v2 dst_sel:DWORD dst_unused:UNUSED_PAD src0_sel:DWORD src1_sel:BYTE_3
	v_lshlrev_b32_e32 v4, 20, v56
	v_and_b32_e32 v2, 0x80000000, v2
	v_or3_b32 v38, v4, v2, v3
.LBB257_1225:                           ;   in Loop: Header=BB257_11 Depth=1
	s_or_b32 exec_lo, exec_lo, s19
.LBB257_1226:                           ;   in Loop: Header=BB257_11 Depth=1
	s_or_b32 exec_lo, exec_lo, s7
.LBB257_1227:                           ;   in Loop: Header=BB257_11 Depth=1
	s_or_b32 exec_lo, exec_lo, s6
	flat_load_dword v2, v[8:9] offset:520
	v_mov_b32_e32 v35, 0
	v_mov_b32_e32 v50, 0
	;; [unrolled: 1-line block ×4, first 2 shown]
	s_waitcnt vmcnt(0) lgkmcnt(0)
	v_cmp_ne_u16_sdwa s5, v2, v57 src0_sel:BYTE_0 src1_sel:DWORD
	s_and_saveexec_b32 s6, s5
	s_cbranch_execz .LBB257_1235
; %bb.1228:                             ;   in Loop: Header=BB257_11 Depth=1
	v_mov_b32_e32 v3, 0x80
	v_bfrev_b32_e32 v50, 1
	v_mov_b32_e32 v51, 0
	v_cmp_ne_u16_sdwa s5, v2, v3 src0_sel:BYTE_0 src1_sel:DWORD
	s_and_saveexec_b32 s7, s5
	s_cbranch_execz .LBB257_1234
; %bb.1229:                             ;   in Loop: Header=BB257_11 Depth=1
	v_mov_b32_e32 v50, 0x7f800001
	v_and_b32_e32 v4, 0x7f, v2
	v_mov_b32_e32 v51, 0
	s_mov_b32 s19, exec_lo
	v_cmpx_ne_u32_e32 0x7f, v4
	s_cbranch_execz .LBB257_1233
; %bb.1230:                             ;   in Loop: Header=BB257_11 Depth=1
	v_and_b32_e32 v56, 7, v2
	v_lshrrev_b32_e32 v3, 3, v4
	s_mov_b32 s22, exec_lo
	v_cmpx_gt_u32_e32 8, v4
; %bb.1231:                             ;   in Loop: Header=BB257_11 Depth=1
	v_ffbh_u32_e32 v3, v56
	v_min_u32_e32 v3, 32, v3
	v_subrev_nc_u32_e32 v4, 28, v3
	v_sub_nc_u32_e32 v3, 29, v3
	v_lshlrev_b64 v[4:5], v4, v[56:57]
	v_and_b32_e32 v56, 7, v4
; %bb.1232:                             ;   in Loop: Header=BB257_11 Depth=1
	s_or_b32 exec_lo, exec_lo, s22
	v_lshlrev_b32_e32 v4, 24, v2
	v_lshlrev_b32_e32 v5, 20, v56
	v_lshl_add_u32 v3, v3, 23, 0x3c000000
	v_and_b32_e32 v4, 0x80000000, v4
	v_or3_b32 v56, v5, v4, v3
	v_mov_b32_e32 v50, v56
	v_mov_b32_e32 v51, v57
.LBB257_1233:                           ;   in Loop: Header=BB257_11 Depth=1
	s_or_b32 exec_lo, exec_lo, s19
.LBB257_1234:                           ;   in Loop: Header=BB257_11 Depth=1
	s_or_b32 exec_lo, exec_lo, s7
.LBB257_1235:                           ;   in Loop: Header=BB257_11 Depth=1
	s_or_b32 exec_lo, exec_lo, s6
	v_cmp_ne_u16_sdwa s5, v2, v57 src0_sel:BYTE_1 src1_sel:DWORD
	s_and_saveexec_b32 s6, s5
	s_cbranch_execz .LBB257_1243
; %bb.1236:                             ;   in Loop: Header=BB257_11 Depth=1
	v_mov_b32_e32 v90, v57
	v_mov_b32_e32 v3, 0x80
	;; [unrolled: 1-line block ×3, first 2 shown]
	v_cmp_ne_u16_sdwa s5, v2, v3 src0_sel:BYTE_1 src1_sel:DWORD
	v_mov_b32_e32 v36, v91
	s_and_saveexec_b32 s7, s5
	s_cbranch_execz .LBB257_1242
; %bb.1237:                             ;   in Loop: Header=BB257_11 Depth=1
	v_mov_b32_e32 v3, 0xffff
	v_mov_b32_e32 v120, v57
	s_mov_b32 s19, exec_lo
	v_and_b32_sdwa v3, v3, v2 dst_sel:DWORD dst_unused:UNUSED_PAD src0_sel:DWORD src1_sel:BYTE_1
	v_mov_b32_e32 v35, v120
	v_mov_b32_e32 v36, v121
	v_and_b32_e32 v4, 0x7f, v3
	v_cmpx_ne_u32_e32 0x7f, v4
	s_cbranch_execz .LBB257_1241
; %bb.1238:                             ;   in Loop: Header=BB257_11 Depth=1
	v_and_b32_e32 v56, 7, v3
	v_lshrrev_b32_e32 v3, 3, v4
	s_mov_b32 s22, exec_lo
	v_cmpx_gt_u32_e32 8, v4
; %bb.1239:                             ;   in Loop: Header=BB257_11 Depth=1
	v_ffbh_u32_e32 v3, v56
	v_min_u32_e32 v3, 32, v3
	v_subrev_nc_u32_e32 v4, 28, v3
	v_sub_nc_u32_e32 v3, 29, v3
	v_lshlrev_b64 v[4:5], v4, v[56:57]
	v_and_b32_e32 v56, 7, v4
; %bb.1240:                             ;   in Loop: Header=BB257_11 Depth=1
	s_or_b32 exec_lo, exec_lo, s22
	v_lshlrev_b32_e32 v4, 16, v2
	v_lshlrev_b32_e32 v5, 20, v56
	v_lshl_add_u32 v3, v3, 23, 0x3c000000
	v_mov_b32_e32 v35, v57
	v_and_b32_e32 v4, 0x80000000, v4
	v_or3_b32 v36, v5, v4, v3
.LBB257_1241:                           ;   in Loop: Header=BB257_11 Depth=1
	s_or_b32 exec_lo, exec_lo, s19
.LBB257_1242:                           ;   in Loop: Header=BB257_11 Depth=1
	s_or_b32 exec_lo, exec_lo, s7
.LBB257_1243:                           ;   in Loop: Header=BB257_11 Depth=1
	s_or_b32 exec_lo, exec_lo, s6
	v_mov_b32_e32 v3, 0xff
	v_mov_b32_e32 v33, 0
	;; [unrolled: 1-line block ×5, first 2 shown]
	v_and_b32_sdwa v3, v2, v3 dst_sel:DWORD dst_unused:UNUSED_PAD src0_sel:WORD_1 src1_sel:DWORD
	s_mov_b32 s6, exec_lo
	v_cmpx_ne_u16_e32 0, v3
	s_cbranch_execz .LBB257_1251
; %bb.1244:                             ;   in Loop: Header=BB257_11 Depth=1
	v_bfrev_b32_e32 v68, 1
	v_mov_b32_e32 v69, 0
	s_mov_b32 s7, exec_lo
	v_cmpx_ne_u16_e32 0x80, v3
	s_cbranch_execz .LBB257_1250
; %bb.1245:                             ;   in Loop: Header=BB257_11 Depth=1
	v_mov_b32_e32 v68, 0x7f800001
	v_bfe_u32 v4, v2, 16, 7
	v_mov_b32_e32 v69, 0
	s_mov_b32 s19, exec_lo
	v_cmpx_ne_u32_e32 0x7f, v4
	s_cbranch_execz .LBB257_1249
; %bb.1246:                             ;   in Loop: Header=BB257_11 Depth=1
	v_mov_b32_e32 v3, 7
	s_mov_b32 s22, exec_lo
	v_and_b32_sdwa v56, v2, v3 dst_sel:DWORD dst_unused:UNUSED_PAD src0_sel:WORD_1 src1_sel:DWORD
	v_lshrrev_b32_e32 v3, 3, v4
	v_cmpx_gt_u32_e32 8, v4
; %bb.1247:                             ;   in Loop: Header=BB257_11 Depth=1
	v_ffbh_u32_e32 v3, v56
	v_min_u32_e32 v3, 32, v3
	v_subrev_nc_u32_e32 v4, 28, v3
	v_sub_nc_u32_e32 v3, 29, v3
	v_lshlrev_b64 v[4:5], v4, v[56:57]
	v_and_b32_e32 v56, 7, v4
; %bb.1248:                             ;   in Loop: Header=BB257_11 Depth=1
	s_or_b32 exec_lo, exec_lo, s22
	v_mov_b32_e32 v4, 24
	v_lshlrev_b32_e32 v5, 20, v56
	v_lshl_add_u32 v3, v3, 23, 0x3c000000
	v_lshlrev_b32_sdwa v4, v4, v2 dst_sel:DWORD dst_unused:UNUSED_PAD src0_sel:DWORD src1_sel:WORD_1
	v_and_b32_e32 v4, 0x80000000, v4
	v_or3_b32 v56, v5, v4, v3
	v_mov_b32_e32 v69, v57
	v_mov_b32_e32 v68, v56
.LBB257_1249:                           ;   in Loop: Header=BB257_11 Depth=1
	s_or_b32 exec_lo, exec_lo, s19
.LBB257_1250:                           ;   in Loop: Header=BB257_11 Depth=1
	s_or_b32 exec_lo, exec_lo, s7
.LBB257_1251:                           ;   in Loop: Header=BB257_11 Depth=1
	s_or_b32 exec_lo, exec_lo, s6
	s_mov_b32 s6, exec_lo
	v_cmpx_lt_u32_e32 0xffffff, v2
	s_cbranch_execz .LBB257_1259
; %bb.1252:                             ;   in Loop: Header=BB257_11 Depth=1
	v_mov_b32_e32 v90, v57
	v_mov_b32_e32 v3, 0x80
	;; [unrolled: 1-line block ×3, first 2 shown]
	v_cmp_ne_u32_sdwa s5, v2, v3 src0_sel:BYTE_3 src1_sel:DWORD
	v_mov_b32_e32 v34, v91
	s_and_saveexec_b32 s7, s5
	s_cbranch_execz .LBB257_1258
; %bb.1253:                             ;   in Loop: Header=BB257_11 Depth=1
	v_mov_b32_e32 v120, v57
	v_bfe_u32 v4, v2, 24, 7
	s_mov_b32 s19, exec_lo
	v_mov_b32_e32 v33, v120
	v_mov_b32_e32 v34, v121
	v_cmpx_ne_u32_e32 0x7f, v4
	s_cbranch_execz .LBB257_1257
; %bb.1254:                             ;   in Loop: Header=BB257_11 Depth=1
	v_mov_b32_e32 v3, 7
	s_mov_b32 s22, exec_lo
	v_and_b32_sdwa v56, v2, v3 dst_sel:DWORD dst_unused:UNUSED_PAD src0_sel:BYTE_3 src1_sel:DWORD
	v_lshrrev_b32_e32 v3, 3, v4
	v_cmpx_gt_u32_e32 8, v4
; %bb.1255:                             ;   in Loop: Header=BB257_11 Depth=1
	v_ffbh_u32_e32 v3, v56
	v_min_u32_e32 v3, 32, v3
	v_subrev_nc_u32_e32 v4, 28, v3
	v_sub_nc_u32_e32 v3, 29, v3
	v_lshlrev_b64 v[4:5], v4, v[56:57]
	v_and_b32_e32 v56, 7, v4
; %bb.1256:                             ;   in Loop: Header=BB257_11 Depth=1
	s_or_b32 exec_lo, exec_lo, s22
	v_mov_b32_e32 v4, 24
	v_lshl_add_u32 v3, v3, 23, 0x3c000000
	v_mov_b32_e32 v33, v57
	v_lshlrev_b32_sdwa v2, v4, v2 dst_sel:DWORD dst_unused:UNUSED_PAD src0_sel:DWORD src1_sel:BYTE_3
	v_lshlrev_b32_e32 v4, 20, v56
	v_and_b32_e32 v2, 0x80000000, v2
	v_or3_b32 v34, v4, v2, v3
.LBB257_1257:                           ;   in Loop: Header=BB257_11 Depth=1
	s_or_b32 exec_lo, exec_lo, s19
.LBB257_1258:                           ;   in Loop: Header=BB257_11 Depth=1
	s_or_b32 exec_lo, exec_lo, s7
.LBB257_1259:                           ;   in Loop: Header=BB257_11 Depth=1
	s_or_b32 exec_lo, exec_lo, s6
	flat_load_dword v2, v[8:9] offset:524
	v_mov_b32_e32 v48, 0
	v_mov_b32_e32 v86, 0
	;; [unrolled: 1-line block ×4, first 2 shown]
	s_waitcnt vmcnt(0) lgkmcnt(0)
	v_cmp_ne_u16_sdwa s5, v2, v57 src0_sel:BYTE_0 src1_sel:DWORD
	s_and_saveexec_b32 s6, s5
	s_cbranch_execz .LBB257_1267
; %bb.1260:                             ;   in Loop: Header=BB257_11 Depth=1
	v_mov_b32_e32 v3, 0x80
	v_bfrev_b32_e32 v86, 1
	v_mov_b32_e32 v87, 0
	v_cmp_ne_u16_sdwa s5, v2, v3 src0_sel:BYTE_0 src1_sel:DWORD
	s_and_saveexec_b32 s7, s5
	s_cbranch_execz .LBB257_1266
; %bb.1261:                             ;   in Loop: Header=BB257_11 Depth=1
	v_mov_b32_e32 v86, 0x7f800001
	v_and_b32_e32 v4, 0x7f, v2
	v_mov_b32_e32 v87, 0
	s_mov_b32 s19, exec_lo
	v_cmpx_ne_u32_e32 0x7f, v4
	s_cbranch_execz .LBB257_1265
; %bb.1262:                             ;   in Loop: Header=BB257_11 Depth=1
	v_and_b32_e32 v56, 7, v2
	v_lshrrev_b32_e32 v3, 3, v4
	s_mov_b32 s22, exec_lo
	v_cmpx_gt_u32_e32 8, v4
; %bb.1263:                             ;   in Loop: Header=BB257_11 Depth=1
	v_ffbh_u32_e32 v3, v56
	v_min_u32_e32 v3, 32, v3
	v_subrev_nc_u32_e32 v4, 28, v3
	v_sub_nc_u32_e32 v3, 29, v3
	v_lshlrev_b64 v[4:5], v4, v[56:57]
	v_and_b32_e32 v56, 7, v4
; %bb.1264:                             ;   in Loop: Header=BB257_11 Depth=1
	s_or_b32 exec_lo, exec_lo, s22
	v_lshlrev_b32_e32 v4, 24, v2
	v_lshlrev_b32_e32 v5, 20, v56
	v_lshl_add_u32 v3, v3, 23, 0x3c000000
	v_and_b32_e32 v4, 0x80000000, v4
	v_or3_b32 v56, v5, v4, v3
	v_mov_b32_e32 v87, v57
	v_mov_b32_e32 v86, v56
.LBB257_1265:                           ;   in Loop: Header=BB257_11 Depth=1
	s_or_b32 exec_lo, exec_lo, s19
.LBB257_1266:                           ;   in Loop: Header=BB257_11 Depth=1
	s_or_b32 exec_lo, exec_lo, s7
.LBB257_1267:                           ;   in Loop: Header=BB257_11 Depth=1
	s_or_b32 exec_lo, exec_lo, s6
	v_cmp_ne_u16_sdwa s5, v2, v57 src0_sel:BYTE_1 src1_sel:DWORD
	s_and_saveexec_b32 s6, s5
	s_cbranch_execz .LBB257_1275
; %bb.1268:                             ;   in Loop: Header=BB257_11 Depth=1
	v_mov_b32_e32 v90, v57
	v_mov_b32_e32 v3, 0x80
	;; [unrolled: 1-line block ×3, first 2 shown]
	v_cmp_ne_u16_sdwa s5, v2, v3 src0_sel:BYTE_1 src1_sel:DWORD
	v_mov_b32_e32 v49, v91
	s_and_saveexec_b32 s7, s5
	s_cbranch_execz .LBB257_1274
; %bb.1269:                             ;   in Loop: Header=BB257_11 Depth=1
	v_mov_b32_e32 v3, 0xffff
	v_mov_b32_e32 v120, v57
	s_mov_b32 s19, exec_lo
	v_and_b32_sdwa v3, v3, v2 dst_sel:DWORD dst_unused:UNUSED_PAD src0_sel:DWORD src1_sel:BYTE_1
	v_mov_b32_e32 v48, v120
	v_mov_b32_e32 v49, v121
	v_and_b32_e32 v4, 0x7f, v3
	v_cmpx_ne_u32_e32 0x7f, v4
	s_cbranch_execz .LBB257_1273
; %bb.1270:                             ;   in Loop: Header=BB257_11 Depth=1
	v_and_b32_e32 v56, 7, v3
	v_lshrrev_b32_e32 v3, 3, v4
	s_mov_b32 s22, exec_lo
	v_cmpx_gt_u32_e32 8, v4
; %bb.1271:                             ;   in Loop: Header=BB257_11 Depth=1
	v_ffbh_u32_e32 v3, v56
	v_min_u32_e32 v3, 32, v3
	v_subrev_nc_u32_e32 v4, 28, v3
	v_sub_nc_u32_e32 v3, 29, v3
	v_lshlrev_b64 v[4:5], v4, v[56:57]
	v_and_b32_e32 v56, 7, v4
; %bb.1272:                             ;   in Loop: Header=BB257_11 Depth=1
	s_or_b32 exec_lo, exec_lo, s22
	v_lshlrev_b32_e32 v4, 16, v2
	v_lshlrev_b32_e32 v5, 20, v56
	v_lshl_add_u32 v3, v3, 23, 0x3c000000
	v_mov_b32_e32 v48, v57
	v_and_b32_e32 v4, 0x80000000, v4
	v_or3_b32 v49, v5, v4, v3
.LBB257_1273:                           ;   in Loop: Header=BB257_11 Depth=1
	s_or_b32 exec_lo, exec_lo, s19
.LBB257_1274:                           ;   in Loop: Header=BB257_11 Depth=1
	s_or_b32 exec_lo, exec_lo, s7
.LBB257_1275:                           ;   in Loop: Header=BB257_11 Depth=1
	s_or_b32 exec_lo, exec_lo, s6
	v_mov_b32_e32 v3, 0xff
	v_mov_b32_e32 v70, 0
	;; [unrolled: 1-line block ×5, first 2 shown]
	v_and_b32_sdwa v3, v2, v3 dst_sel:DWORD dst_unused:UNUSED_PAD src0_sel:WORD_1 src1_sel:DWORD
	s_mov_b32 s6, exec_lo
	v_cmpx_ne_u16_e32 0, v3
	s_cbranch_execz .LBB257_1283
; %bb.1276:                             ;   in Loop: Header=BB257_11 Depth=1
	v_bfrev_b32_e32 v84, 1
	v_mov_b32_e32 v85, 0
	s_mov_b32 s7, exec_lo
	v_cmpx_ne_u16_e32 0x80, v3
	s_cbranch_execz .LBB257_1282
; %bb.1277:                             ;   in Loop: Header=BB257_11 Depth=1
	v_mov_b32_e32 v84, 0x7f800001
	v_bfe_u32 v4, v2, 16, 7
	v_mov_b32_e32 v85, 0
	s_mov_b32 s19, exec_lo
	v_cmpx_ne_u32_e32 0x7f, v4
	s_cbranch_execz .LBB257_1281
; %bb.1278:                             ;   in Loop: Header=BB257_11 Depth=1
	v_mov_b32_e32 v3, 7
	s_mov_b32 s22, exec_lo
	v_and_b32_sdwa v56, v2, v3 dst_sel:DWORD dst_unused:UNUSED_PAD src0_sel:WORD_1 src1_sel:DWORD
	v_lshrrev_b32_e32 v3, 3, v4
	v_cmpx_gt_u32_e32 8, v4
; %bb.1279:                             ;   in Loop: Header=BB257_11 Depth=1
	v_ffbh_u32_e32 v3, v56
	v_min_u32_e32 v3, 32, v3
	v_subrev_nc_u32_e32 v4, 28, v3
	v_sub_nc_u32_e32 v3, 29, v3
	v_lshlrev_b64 v[4:5], v4, v[56:57]
	v_and_b32_e32 v56, 7, v4
; %bb.1280:                             ;   in Loop: Header=BB257_11 Depth=1
	s_or_b32 exec_lo, exec_lo, s22
	v_mov_b32_e32 v4, 24
	v_lshlrev_b32_e32 v5, 20, v56
	v_lshl_add_u32 v3, v3, 23, 0x3c000000
	v_lshlrev_b32_sdwa v4, v4, v2 dst_sel:DWORD dst_unused:UNUSED_PAD src0_sel:DWORD src1_sel:WORD_1
	v_and_b32_e32 v4, 0x80000000, v4
	v_or3_b32 v56, v5, v4, v3
	v_mov_b32_e32 v85, v57
	v_mov_b32_e32 v84, v56
.LBB257_1281:                           ;   in Loop: Header=BB257_11 Depth=1
	s_or_b32 exec_lo, exec_lo, s19
.LBB257_1282:                           ;   in Loop: Header=BB257_11 Depth=1
	s_or_b32 exec_lo, exec_lo, s7
.LBB257_1283:                           ;   in Loop: Header=BB257_11 Depth=1
	s_or_b32 exec_lo, exec_lo, s6
	s_mov_b32 s6, exec_lo
	v_cmpx_lt_u32_e32 0xffffff, v2
	s_cbranch_execz .LBB257_1291
; %bb.1284:                             ;   in Loop: Header=BB257_11 Depth=1
	v_mov_b32_e32 v90, v57
	v_mov_b32_e32 v3, 0x80
	v_mov_b32_e32 v70, v90
	v_cmp_ne_u32_sdwa s5, v2, v3 src0_sel:BYTE_3 src1_sel:DWORD
	v_mov_b32_e32 v71, v91
	s_and_saveexec_b32 s7, s5
	s_cbranch_execz .LBB257_1290
; %bb.1285:                             ;   in Loop: Header=BB257_11 Depth=1
	v_mov_b32_e32 v120, v57
	v_bfe_u32 v4, v2, 24, 7
	s_mov_b32 s19, exec_lo
	v_mov_b32_e32 v70, v120
	v_mov_b32_e32 v71, v121
	v_cmpx_ne_u32_e32 0x7f, v4
	s_cbranch_execz .LBB257_1289
; %bb.1286:                             ;   in Loop: Header=BB257_11 Depth=1
	v_mov_b32_e32 v3, 7
	s_mov_b32 s22, exec_lo
	v_and_b32_sdwa v56, v2, v3 dst_sel:DWORD dst_unused:UNUSED_PAD src0_sel:BYTE_3 src1_sel:DWORD
	v_lshrrev_b32_e32 v3, 3, v4
	v_cmpx_gt_u32_e32 8, v4
; %bb.1287:                             ;   in Loop: Header=BB257_11 Depth=1
	v_ffbh_u32_e32 v3, v56
	v_min_u32_e32 v3, 32, v3
	v_subrev_nc_u32_e32 v4, 28, v3
	v_sub_nc_u32_e32 v3, 29, v3
	v_lshlrev_b64 v[4:5], v4, v[56:57]
	v_and_b32_e32 v56, 7, v4
; %bb.1288:                             ;   in Loop: Header=BB257_11 Depth=1
	s_or_b32 exec_lo, exec_lo, s22
	v_mov_b32_e32 v4, 24
	v_lshl_add_u32 v3, v3, 23, 0x3c000000
	v_mov_b32_e32 v70, v57
	v_lshlrev_b32_sdwa v2, v4, v2 dst_sel:DWORD dst_unused:UNUSED_PAD src0_sel:DWORD src1_sel:BYTE_3
	v_lshlrev_b32_e32 v4, 20, v56
	v_and_b32_e32 v2, 0x80000000, v2
	v_or3_b32 v71, v4, v2, v3
.LBB257_1289:                           ;   in Loop: Header=BB257_11 Depth=1
	s_or_b32 exec_lo, exec_lo, s19
.LBB257_1290:                           ;   in Loop: Header=BB257_11 Depth=1
	s_or_b32 exec_lo, exec_lo, s7
.LBB257_1291:                           ;   in Loop: Header=BB257_11 Depth=1
	s_or_b32 exec_lo, exec_lo, s6
	flat_load_dword v2, v[8:9] offset:1024
	v_mov_b32_e32 v66, 0
	v_mov_b32_e32 v102, 0
	;; [unrolled: 1-line block ×4, first 2 shown]
	s_waitcnt vmcnt(0) lgkmcnt(0)
	v_cmp_ne_u16_sdwa s5, v2, v57 src0_sel:BYTE_0 src1_sel:DWORD
	s_and_saveexec_b32 s6, s5
	s_cbranch_execz .LBB257_1299
; %bb.1292:                             ;   in Loop: Header=BB257_11 Depth=1
	v_mov_b32_e32 v3, 0x80
	v_bfrev_b32_e32 v102, 1
	v_mov_b32_e32 v103, 0
	v_cmp_ne_u16_sdwa s5, v2, v3 src0_sel:BYTE_0 src1_sel:DWORD
	s_and_saveexec_b32 s7, s5
	s_cbranch_execz .LBB257_1298
; %bb.1293:                             ;   in Loop: Header=BB257_11 Depth=1
	v_mov_b32_e32 v102, 0x7f800001
	v_and_b32_e32 v4, 0x7f, v2
	v_mov_b32_e32 v103, 0
	s_mov_b32 s19, exec_lo
	v_cmpx_ne_u32_e32 0x7f, v4
	s_cbranch_execz .LBB257_1297
; %bb.1294:                             ;   in Loop: Header=BB257_11 Depth=1
	v_and_b32_e32 v56, 7, v2
	v_lshrrev_b32_e32 v3, 3, v4
	s_mov_b32 s22, exec_lo
	v_cmpx_gt_u32_e32 8, v4
; %bb.1295:                             ;   in Loop: Header=BB257_11 Depth=1
	v_ffbh_u32_e32 v3, v56
	v_min_u32_e32 v3, 32, v3
	v_subrev_nc_u32_e32 v4, 28, v3
	v_sub_nc_u32_e32 v3, 29, v3
	v_lshlrev_b64 v[4:5], v4, v[56:57]
	v_and_b32_e32 v56, 7, v4
; %bb.1296:                             ;   in Loop: Header=BB257_11 Depth=1
	s_or_b32 exec_lo, exec_lo, s22
	v_lshlrev_b32_e32 v4, 24, v2
	v_lshlrev_b32_e32 v5, 20, v56
	v_lshl_add_u32 v3, v3, 23, 0x3c000000
	v_and_b32_e32 v4, 0x80000000, v4
	v_or3_b32 v56, v5, v4, v3
	v_mov_b32_e32 v103, v57
	v_mov_b32_e32 v102, v56
.LBB257_1297:                           ;   in Loop: Header=BB257_11 Depth=1
	s_or_b32 exec_lo, exec_lo, s19
.LBB257_1298:                           ;   in Loop: Header=BB257_11 Depth=1
	s_or_b32 exec_lo, exec_lo, s7
.LBB257_1299:                           ;   in Loop: Header=BB257_11 Depth=1
	s_or_b32 exec_lo, exec_lo, s6
	v_cmp_ne_u16_sdwa s5, v2, v57 src0_sel:BYTE_1 src1_sel:DWORD
	s_and_saveexec_b32 s6, s5
	s_cbranch_execz .LBB257_1307
; %bb.1300:                             ;   in Loop: Header=BB257_11 Depth=1
	v_mov_b32_e32 v90, v57
	v_mov_b32_e32 v3, 0x80
	;; [unrolled: 1-line block ×3, first 2 shown]
	v_cmp_ne_u16_sdwa s5, v2, v3 src0_sel:BYTE_1 src1_sel:DWORD
	v_mov_b32_e32 v67, v91
	s_and_saveexec_b32 s7, s5
	s_cbranch_execz .LBB257_1306
; %bb.1301:                             ;   in Loop: Header=BB257_11 Depth=1
	v_mov_b32_e32 v3, 0xffff
	v_mov_b32_e32 v120, v57
	s_mov_b32 s19, exec_lo
	v_and_b32_sdwa v3, v3, v2 dst_sel:DWORD dst_unused:UNUSED_PAD src0_sel:DWORD src1_sel:BYTE_1
	v_mov_b32_e32 v66, v120
	v_mov_b32_e32 v67, v121
	v_and_b32_e32 v4, 0x7f, v3
	v_cmpx_ne_u32_e32 0x7f, v4
	s_cbranch_execz .LBB257_1305
; %bb.1302:                             ;   in Loop: Header=BB257_11 Depth=1
	v_and_b32_e32 v56, 7, v3
	v_lshrrev_b32_e32 v3, 3, v4
	s_mov_b32 s22, exec_lo
	v_cmpx_gt_u32_e32 8, v4
; %bb.1303:                             ;   in Loop: Header=BB257_11 Depth=1
	v_ffbh_u32_e32 v3, v56
	v_min_u32_e32 v3, 32, v3
	v_subrev_nc_u32_e32 v4, 28, v3
	v_sub_nc_u32_e32 v3, 29, v3
	v_lshlrev_b64 v[4:5], v4, v[56:57]
	v_and_b32_e32 v56, 7, v4
; %bb.1304:                             ;   in Loop: Header=BB257_11 Depth=1
	s_or_b32 exec_lo, exec_lo, s22
	v_lshlrev_b32_e32 v4, 16, v2
	v_lshlrev_b32_e32 v5, 20, v56
	v_lshl_add_u32 v3, v3, 23, 0x3c000000
	v_mov_b32_e32 v66, v57
	v_and_b32_e32 v4, 0x80000000, v4
	v_or3_b32 v67, v5, v4, v3
.LBB257_1305:                           ;   in Loop: Header=BB257_11 Depth=1
	s_or_b32 exec_lo, exec_lo, s19
.LBB257_1306:                           ;   in Loop: Header=BB257_11 Depth=1
	s_or_b32 exec_lo, exec_lo, s7
.LBB257_1307:                           ;   in Loop: Header=BB257_11 Depth=1
	s_or_b32 exec_lo, exec_lo, s6
	v_mov_b32_e32 v3, 0xff
	v_mov_b32_e32 v116, 0
	;; [unrolled: 1-line block ×5, first 2 shown]
	v_and_b32_sdwa v3, v2, v3 dst_sel:DWORD dst_unused:UNUSED_PAD src0_sel:WORD_1 src1_sel:DWORD
	s_mov_b32 s6, exec_lo
	v_cmpx_ne_u16_e32 0, v3
	s_cbranch_execz .LBB257_1315
; %bb.1308:                             ;   in Loop: Header=BB257_11 Depth=1
	v_bfrev_b32_e32 v100, 1
	v_mov_b32_e32 v101, 0
	s_mov_b32 s7, exec_lo
	v_cmpx_ne_u16_e32 0x80, v3
	s_cbranch_execz .LBB257_1314
; %bb.1309:                             ;   in Loop: Header=BB257_11 Depth=1
	v_mov_b32_e32 v100, 0x7f800001
	v_bfe_u32 v4, v2, 16, 7
	v_mov_b32_e32 v101, 0
	s_mov_b32 s19, exec_lo
	v_cmpx_ne_u32_e32 0x7f, v4
	s_cbranch_execz .LBB257_1313
; %bb.1310:                             ;   in Loop: Header=BB257_11 Depth=1
	v_mov_b32_e32 v3, 7
	s_mov_b32 s22, exec_lo
	v_and_b32_sdwa v56, v2, v3 dst_sel:DWORD dst_unused:UNUSED_PAD src0_sel:WORD_1 src1_sel:DWORD
	v_lshrrev_b32_e32 v3, 3, v4
	v_cmpx_gt_u32_e32 8, v4
; %bb.1311:                             ;   in Loop: Header=BB257_11 Depth=1
	v_ffbh_u32_e32 v3, v56
	v_min_u32_e32 v3, 32, v3
	v_subrev_nc_u32_e32 v4, 28, v3
	v_sub_nc_u32_e32 v3, 29, v3
	v_lshlrev_b64 v[4:5], v4, v[56:57]
	v_and_b32_e32 v56, 7, v4
; %bb.1312:                             ;   in Loop: Header=BB257_11 Depth=1
	s_or_b32 exec_lo, exec_lo, s22
	v_mov_b32_e32 v4, 24
	v_lshlrev_b32_e32 v5, 20, v56
	v_lshl_add_u32 v3, v3, 23, 0x3c000000
	v_lshlrev_b32_sdwa v4, v4, v2 dst_sel:DWORD dst_unused:UNUSED_PAD src0_sel:DWORD src1_sel:WORD_1
	v_and_b32_e32 v4, 0x80000000, v4
	v_or3_b32 v56, v5, v4, v3
	v_mov_b32_e32 v101, v57
	v_mov_b32_e32 v100, v56
.LBB257_1313:                           ;   in Loop: Header=BB257_11 Depth=1
	s_or_b32 exec_lo, exec_lo, s19
.LBB257_1314:                           ;   in Loop: Header=BB257_11 Depth=1
	s_or_b32 exec_lo, exec_lo, s7
.LBB257_1315:                           ;   in Loop: Header=BB257_11 Depth=1
	s_or_b32 exec_lo, exec_lo, s6
	s_mov_b32 s6, exec_lo
	v_cmpx_lt_u32_e32 0xffffff, v2
	s_cbranch_execz .LBB257_1323
; %bb.1316:                             ;   in Loop: Header=BB257_11 Depth=1
	v_mov_b32_e32 v90, v57
	v_mov_b32_e32 v3, 0x80
	v_mov_b32_e32 v117, v91
	v_mov_b32_e32 v116, v90
	v_cmp_ne_u32_sdwa s5, v2, v3 src0_sel:BYTE_3 src1_sel:DWORD
	s_and_saveexec_b32 s7, s5
	s_cbranch_execz .LBB257_1322
; %bb.1317:                             ;   in Loop: Header=BB257_11 Depth=1
	v_mov_b32_e32 v120, v57
	v_bfe_u32 v4, v2, 24, 7
	s_mov_b32 s19, exec_lo
	v_mov_b32_e32 v116, v120
	v_mov_b32_e32 v117, v121
	v_cmpx_ne_u32_e32 0x7f, v4
	s_cbranch_execz .LBB257_1321
; %bb.1318:                             ;   in Loop: Header=BB257_11 Depth=1
	v_mov_b32_e32 v3, 7
	s_mov_b32 s22, exec_lo
	v_and_b32_sdwa v56, v2, v3 dst_sel:DWORD dst_unused:UNUSED_PAD src0_sel:BYTE_3 src1_sel:DWORD
	v_lshrrev_b32_e32 v3, 3, v4
	v_cmpx_gt_u32_e32 8, v4
; %bb.1319:                             ;   in Loop: Header=BB257_11 Depth=1
	v_ffbh_u32_e32 v3, v56
	v_min_u32_e32 v3, 32, v3
	v_subrev_nc_u32_e32 v4, 28, v3
	v_sub_nc_u32_e32 v3, 29, v3
	v_lshlrev_b64 v[4:5], v4, v[56:57]
	v_and_b32_e32 v56, 7, v4
; %bb.1320:                             ;   in Loop: Header=BB257_11 Depth=1
	s_or_b32 exec_lo, exec_lo, s22
	v_mov_b32_e32 v4, 24
	v_lshl_add_u32 v3, v3, 23, 0x3c000000
	v_mov_b32_e32 v116, v57
	v_lshlrev_b32_sdwa v2, v4, v2 dst_sel:DWORD dst_unused:UNUSED_PAD src0_sel:DWORD src1_sel:BYTE_3
	v_lshlrev_b32_e32 v4, 20, v56
	v_and_b32_e32 v2, 0x80000000, v2
	v_or3_b32 v117, v4, v2, v3
.LBB257_1321:                           ;   in Loop: Header=BB257_11 Depth=1
	s_or_b32 exec_lo, exec_lo, s19
.LBB257_1322:                           ;   in Loop: Header=BB257_11 Depth=1
	s_or_b32 exec_lo, exec_lo, s7
.LBB257_1323:                           ;   in Loop: Header=BB257_11 Depth=1
	s_or_b32 exec_lo, exec_lo, s6
	flat_load_dword v2, v[8:9] offset:1028
	v_mov_b32_e32 v43, 0
	v_mov_b32_e32 v96, 0
	;; [unrolled: 1-line block ×4, first 2 shown]
	s_waitcnt vmcnt(0) lgkmcnt(0)
	v_cmp_ne_u16_sdwa s5, v2, v57 src0_sel:BYTE_0 src1_sel:DWORD
	s_and_saveexec_b32 s6, s5
	s_cbranch_execz .LBB257_1331
; %bb.1324:                             ;   in Loop: Header=BB257_11 Depth=1
	v_mov_b32_e32 v3, 0x80
	v_bfrev_b32_e32 v96, 1
	v_mov_b32_e32 v97, 0
	v_cmp_ne_u16_sdwa s5, v2, v3 src0_sel:BYTE_0 src1_sel:DWORD
	s_and_saveexec_b32 s7, s5
	s_cbranch_execz .LBB257_1330
; %bb.1325:                             ;   in Loop: Header=BB257_11 Depth=1
	v_mov_b32_e32 v96, 0x7f800001
	v_and_b32_e32 v4, 0x7f, v2
	v_mov_b32_e32 v97, 0
	s_mov_b32 s19, exec_lo
	v_cmpx_ne_u32_e32 0x7f, v4
	s_cbranch_execz .LBB257_1329
; %bb.1326:                             ;   in Loop: Header=BB257_11 Depth=1
	v_and_b32_e32 v56, 7, v2
	v_lshrrev_b32_e32 v3, 3, v4
	s_mov_b32 s22, exec_lo
	v_cmpx_gt_u32_e32 8, v4
; %bb.1327:                             ;   in Loop: Header=BB257_11 Depth=1
	v_ffbh_u32_e32 v3, v56
	v_min_u32_e32 v3, 32, v3
	v_subrev_nc_u32_e32 v4, 28, v3
	v_sub_nc_u32_e32 v3, 29, v3
	v_lshlrev_b64 v[4:5], v4, v[56:57]
	v_and_b32_e32 v56, 7, v4
; %bb.1328:                             ;   in Loop: Header=BB257_11 Depth=1
	s_or_b32 exec_lo, exec_lo, s22
	v_lshlrev_b32_e32 v4, 24, v2
	v_lshlrev_b32_e32 v5, 20, v56
	v_lshl_add_u32 v3, v3, 23, 0x3c000000
	v_and_b32_e32 v4, 0x80000000, v4
	v_or3_b32 v56, v5, v4, v3
	v_mov_b32_e32 v97, v57
	v_mov_b32_e32 v96, v56
.LBB257_1329:                           ;   in Loop: Header=BB257_11 Depth=1
	s_or_b32 exec_lo, exec_lo, s19
.LBB257_1330:                           ;   in Loop: Header=BB257_11 Depth=1
	s_or_b32 exec_lo, exec_lo, s7
.LBB257_1331:                           ;   in Loop: Header=BB257_11 Depth=1
	s_or_b32 exec_lo, exec_lo, s6
	v_cmp_ne_u16_sdwa s5, v2, v57 src0_sel:BYTE_1 src1_sel:DWORD
	s_and_saveexec_b32 s6, s5
	s_cbranch_execz .LBB257_1339
; %bb.1332:                             ;   in Loop: Header=BB257_11 Depth=1
	v_mov_b32_e32 v90, v57
	v_mov_b32_e32 v3, 0x80
	v_mov_b32_e32 v43, v90
	v_cmp_ne_u16_sdwa s5, v2, v3 src0_sel:BYTE_1 src1_sel:DWORD
	v_mov_b32_e32 v44, v91
	s_and_saveexec_b32 s7, s5
	s_cbranch_execz .LBB257_1338
; %bb.1333:                             ;   in Loop: Header=BB257_11 Depth=1
	v_mov_b32_e32 v3, 0xffff
	v_mov_b32_e32 v120, v57
	s_mov_b32 s19, exec_lo
	v_and_b32_sdwa v3, v3, v2 dst_sel:DWORD dst_unused:UNUSED_PAD src0_sel:DWORD src1_sel:BYTE_1
	v_mov_b32_e32 v43, v120
	v_mov_b32_e32 v44, v121
	v_and_b32_e32 v4, 0x7f, v3
	v_cmpx_ne_u32_e32 0x7f, v4
	s_cbranch_execz .LBB257_1337
; %bb.1334:                             ;   in Loop: Header=BB257_11 Depth=1
	v_and_b32_e32 v56, 7, v3
	v_lshrrev_b32_e32 v3, 3, v4
	s_mov_b32 s22, exec_lo
	v_cmpx_gt_u32_e32 8, v4
; %bb.1335:                             ;   in Loop: Header=BB257_11 Depth=1
	v_ffbh_u32_e32 v3, v56
	v_min_u32_e32 v3, 32, v3
	v_subrev_nc_u32_e32 v4, 28, v3
	v_sub_nc_u32_e32 v3, 29, v3
	v_lshlrev_b64 v[4:5], v4, v[56:57]
	v_and_b32_e32 v56, 7, v4
; %bb.1336:                             ;   in Loop: Header=BB257_11 Depth=1
	s_or_b32 exec_lo, exec_lo, s22
	v_lshlrev_b32_e32 v4, 16, v2
	v_lshlrev_b32_e32 v5, 20, v56
	v_lshl_add_u32 v3, v3, 23, 0x3c000000
	v_mov_b32_e32 v43, v57
	v_and_b32_e32 v4, 0x80000000, v4
	v_or3_b32 v44, v5, v4, v3
.LBB257_1337:                           ;   in Loop: Header=BB257_11 Depth=1
	s_or_b32 exec_lo, exec_lo, s19
.LBB257_1338:                           ;   in Loop: Header=BB257_11 Depth=1
	s_or_b32 exec_lo, exec_lo, s7
.LBB257_1339:                           ;   in Loop: Header=BB257_11 Depth=1
	s_or_b32 exec_lo, exec_lo, s6
	v_mov_b32_e32 v3, 0xff
	v_mov_b32_e32 v118, 0
	;; [unrolled: 1-line block ×5, first 2 shown]
	v_and_b32_sdwa v3, v2, v3 dst_sel:DWORD dst_unused:UNUSED_PAD src0_sel:WORD_1 src1_sel:DWORD
	s_mov_b32 s6, exec_lo
	v_cmpx_ne_u16_e32 0, v3
	s_cbranch_execz .LBB257_1347
; %bb.1340:                             ;   in Loop: Header=BB257_11 Depth=1
	v_bfrev_b32_e32 v22, 1
	v_mov_b32_e32 v23, 0
	s_mov_b32 s7, exec_lo
	v_cmpx_ne_u16_e32 0x80, v3
	s_cbranch_execz .LBB257_1346
; %bb.1341:                             ;   in Loop: Header=BB257_11 Depth=1
	v_mov_b32_e32 v22, 0x7f800001
	v_bfe_u32 v4, v2, 16, 7
	v_mov_b32_e32 v23, 0
	s_mov_b32 s19, exec_lo
	v_cmpx_ne_u32_e32 0x7f, v4
	s_cbranch_execz .LBB257_1345
; %bb.1342:                             ;   in Loop: Header=BB257_11 Depth=1
	v_mov_b32_e32 v3, 7
	s_mov_b32 s22, exec_lo
	v_and_b32_sdwa v56, v2, v3 dst_sel:DWORD dst_unused:UNUSED_PAD src0_sel:WORD_1 src1_sel:DWORD
	v_lshrrev_b32_e32 v3, 3, v4
	v_cmpx_gt_u32_e32 8, v4
; %bb.1343:                             ;   in Loop: Header=BB257_11 Depth=1
	v_ffbh_u32_e32 v3, v56
	v_min_u32_e32 v3, 32, v3
	v_subrev_nc_u32_e32 v4, 28, v3
	v_sub_nc_u32_e32 v3, 29, v3
	v_lshlrev_b64 v[4:5], v4, v[56:57]
	v_and_b32_e32 v56, 7, v4
; %bb.1344:                             ;   in Loop: Header=BB257_11 Depth=1
	s_or_b32 exec_lo, exec_lo, s22
	v_mov_b32_e32 v4, 24
	v_lshlrev_b32_e32 v5, 20, v56
	v_lshl_add_u32 v3, v3, 23, 0x3c000000
	v_lshlrev_b32_sdwa v4, v4, v2 dst_sel:DWORD dst_unused:UNUSED_PAD src0_sel:DWORD src1_sel:WORD_1
	v_and_b32_e32 v4, 0x80000000, v4
	v_or3_b32 v56, v5, v4, v3
	v_mov_b32_e32 v22, v56
	v_mov_b32_e32 v23, v57
.LBB257_1345:                           ;   in Loop: Header=BB257_11 Depth=1
	s_or_b32 exec_lo, exec_lo, s19
.LBB257_1346:                           ;   in Loop: Header=BB257_11 Depth=1
	s_or_b32 exec_lo, exec_lo, s7
.LBB257_1347:                           ;   in Loop: Header=BB257_11 Depth=1
	s_or_b32 exec_lo, exec_lo, s6
	s_mov_b32 s6, exec_lo
	v_cmpx_lt_u32_e32 0xffffff, v2
	s_cbranch_execz .LBB257_1355
; %bb.1348:                             ;   in Loop: Header=BB257_11 Depth=1
	v_mov_b32_e32 v90, v57
	v_mov_b32_e32 v3, 0x80
	v_mov_b32_e32 v119, v91
	v_mov_b32_e32 v118, v90
	v_cmp_ne_u32_sdwa s5, v2, v3 src0_sel:BYTE_3 src1_sel:DWORD
	s_and_saveexec_b32 s7, s5
	s_cbranch_execz .LBB257_1354
; %bb.1349:                             ;   in Loop: Header=BB257_11 Depth=1
	v_mov_b32_e32 v120, v57
	v_bfe_u32 v4, v2, 24, 7
	s_mov_b32 s19, exec_lo
	v_mov_b32_e32 v118, v120
	v_mov_b32_e32 v119, v121
	v_cmpx_ne_u32_e32 0x7f, v4
	s_cbranch_execz .LBB257_1353
; %bb.1350:                             ;   in Loop: Header=BB257_11 Depth=1
	v_mov_b32_e32 v3, 7
	v_cmp_gt_u32_e64 s5, 8, v4
	v_and_b32_sdwa v56, v2, v3 dst_sel:DWORD dst_unused:UNUSED_PAD src0_sel:BYTE_3 src1_sel:DWORD
	v_lshrrev_b32_e32 v3, 3, v4
	v_mov_b32_e32 v4, v56
	v_mov_b32_e32 v5, v57
	s_and_saveexec_b32 s22, s5
; %bb.1351:                             ;   in Loop: Header=BB257_11 Depth=1
	v_ffbh_u32_e32 v3, v56
	v_min_u32_e32 v3, 32, v3
	v_subrev_nc_u32_e32 v4, 28, v3
	v_sub_nc_u32_e32 v3, 29, v3
	v_lshlrev_b64 v[4:5], v4, v[56:57]
	v_and_b32_e32 v4, 7, v4
; %bb.1352:                             ;   in Loop: Header=BB257_11 Depth=1
	s_or_b32 exec_lo, exec_lo, s22
	v_mov_b32_e32 v5, 24
	v_lshlrev_b32_e32 v4, 20, v4
	v_lshl_add_u32 v3, v3, 23, 0x3c000000
	v_mov_b32_e32 v118, v57
	v_lshlrev_b32_sdwa v2, v5, v2 dst_sel:DWORD dst_unused:UNUSED_PAD src0_sel:DWORD src1_sel:BYTE_3
	v_and_b32_e32 v2, 0x80000000, v2
	v_or3_b32 v119, v4, v2, v3
.LBB257_1353:                           ;   in Loop: Header=BB257_11 Depth=1
	s_or_b32 exec_lo, exec_lo, s19
.LBB257_1354:                           ;   in Loop: Header=BB257_11 Depth=1
	s_or_b32 exec_lo, exec_lo, s7
.LBB257_1355:                           ;   in Loop: Header=BB257_11 Depth=1
	s_or_b32 exec_lo, exec_lo, s6
	flat_load_dword v13, v[8:9] offset:1032
	v_mov_b32_e32 v98, 0
	v_mov_b32_e32 v2, 0
	;; [unrolled: 1-line block ×4, first 2 shown]
	s_waitcnt vmcnt(0) lgkmcnt(0)
	v_cmp_ne_u16_sdwa s5, v13, v57 src0_sel:BYTE_0 src1_sel:DWORD
	s_and_saveexec_b32 s6, s5
	s_cbranch_execz .LBB257_1363
; %bb.1356:                             ;   in Loop: Header=BB257_11 Depth=1
	v_mov_b32_e32 v4, 0x80
	v_bfrev_b32_e32 v2, 1
	v_mov_b32_e32 v3, 0
	v_cmp_ne_u16_sdwa s5, v13, v4 src0_sel:BYTE_0 src1_sel:DWORD
	s_and_saveexec_b32 s7, s5
	s_cbranch_execz .LBB257_1362
; %bb.1357:                             ;   in Loop: Header=BB257_11 Depth=1
	v_mov_b32_e32 v2, 0x7f800001
	v_and_b32_e32 v4, 0x7f, v13
	v_mov_b32_e32 v3, 0
	s_mov_b32 s19, exec_lo
	v_cmpx_ne_u32_e32 0x7f, v4
	s_cbranch_execz .LBB257_1361
; %bb.1358:                             ;   in Loop: Header=BB257_11 Depth=1
	v_and_b32_e32 v56, 7, v13
	v_lshrrev_b32_e32 v2, 3, v4
	v_cmp_gt_u32_e64 s5, 8, v4
	v_mov_b32_e32 v4, v56
	v_mov_b32_e32 v5, v57
	s_and_saveexec_b32 s22, s5
; %bb.1359:                             ;   in Loop: Header=BB257_11 Depth=1
	v_ffbh_u32_e32 v2, v56
	v_min_u32_e32 v2, 32, v2
	v_subrev_nc_u32_e32 v3, 28, v2
	v_sub_nc_u32_e32 v2, 29, v2
	v_lshlrev_b64 v[3:4], v3, v[56:57]
	v_and_b32_e32 v4, 7, v3
; %bb.1360:                             ;   in Loop: Header=BB257_11 Depth=1
	s_or_b32 exec_lo, exec_lo, s22
	v_lshlrev_b32_e32 v3, 24, v13
	v_lshlrev_b32_e32 v4, 20, v4
	v_lshl_add_u32 v2, v2, 23, 0x3c000000
	v_and_b32_e32 v3, 0x80000000, v3
	v_or3_b32 v56, v4, v3, v2
	v_mov_b32_e32 v2, v56
	v_mov_b32_e32 v3, v57
.LBB257_1361:                           ;   in Loop: Header=BB257_11 Depth=1
	s_or_b32 exec_lo, exec_lo, s19
.LBB257_1362:                           ;   in Loop: Header=BB257_11 Depth=1
	s_or_b32 exec_lo, exec_lo, s7
.LBB257_1363:                           ;   in Loop: Header=BB257_11 Depth=1
	s_or_b32 exec_lo, exec_lo, s6
	v_cmp_ne_u16_sdwa s5, v13, v57 src0_sel:BYTE_1 src1_sel:DWORD
	s_and_saveexec_b32 s6, s5
	s_cbranch_execz .LBB257_1371
; %bb.1364:                             ;   in Loop: Header=BB257_11 Depth=1
	v_mov_b32_e32 v90, v57
	v_mov_b32_e32 v4, 0x80
	;; [unrolled: 1-line block ×4, first 2 shown]
	v_cmp_ne_u16_sdwa s5, v13, v4 src0_sel:BYTE_1 src1_sel:DWORD
	s_and_saveexec_b32 s7, s5
	s_cbranch_execz .LBB257_1370
; %bb.1365:                             ;   in Loop: Header=BB257_11 Depth=1
	v_mov_b32_e32 v4, 0xffff
	v_mov_b32_e32 v120, v57
	s_mov_b32 s19, exec_lo
	v_and_b32_sdwa v5, v4, v13 dst_sel:DWORD dst_unused:UNUSED_PAD src0_sel:DWORD src1_sel:BYTE_1
	v_mov_b32_e32 v98, v120
	v_mov_b32_e32 v99, v121
	v_and_b32_e32 v4, 0x7f, v5
	v_cmpx_ne_u32_e32 0x7f, v4
	s_cbranch_execz .LBB257_1369
; %bb.1366:                             ;   in Loop: Header=BB257_11 Depth=1
	v_and_b32_e32 v56, 7, v5
	v_lshrrev_b32_e32 v20, 3, v4
	v_cmp_gt_u32_e64 s5, 8, v4
	v_mov_b32_e32 v4, v56
	v_mov_b32_e32 v5, v57
	s_and_saveexec_b32 s22, s5
; %bb.1367:                             ;   in Loop: Header=BB257_11 Depth=1
	v_ffbh_u32_e32 v4, v56
	v_min_u32_e32 v20, 32, v4
	v_subrev_nc_u32_e32 v4, 28, v20
	v_sub_nc_u32_e32 v20, 29, v20
	v_lshlrev_b64 v[4:5], v4, v[56:57]
	v_and_b32_e32 v4, 7, v4
; %bb.1368:                             ;   in Loop: Header=BB257_11 Depth=1
	s_or_b32 exec_lo, exec_lo, s22
	v_lshlrev_b32_e32 v5, 16, v13
	v_lshlrev_b32_e32 v4, 20, v4
	v_lshl_add_u32 v20, v20, 23, 0x3c000000
	v_mov_b32_e32 v98, v57
	v_and_b32_e32 v5, 0x80000000, v5
	v_or3_b32 v99, v4, v5, v20
.LBB257_1369:                           ;   in Loop: Header=BB257_11 Depth=1
	s_or_b32 exec_lo, exec_lo, s19
.LBB257_1370:                           ;   in Loop: Header=BB257_11 Depth=1
	s_or_b32 exec_lo, exec_lo, s7
.LBB257_1371:                           ;   in Loop: Header=BB257_11 Depth=1
	s_or_b32 exec_lo, exec_lo, s6
	v_mov_b32_e32 v4, 0xff
	v_mov_b32_e32 v39, 0
	;; [unrolled: 1-line block ×5, first 2 shown]
	v_and_b32_sdwa v4, v13, v4 dst_sel:DWORD dst_unused:UNUSED_PAD src0_sel:WORD_1 src1_sel:DWORD
	s_mov_b32 s6, exec_lo
	v_cmpx_ne_u16_e32 0, v4
	s_cbranch_execz .LBB257_1379
; %bb.1372:                             ;   in Loop: Header=BB257_11 Depth=1
	v_bfrev_b32_e32 v124, 1
	v_mov_b32_e32 v125, 0
	s_mov_b32 s7, exec_lo
	v_cmpx_ne_u16_e32 0x80, v4
	s_cbranch_execz .LBB257_1378
; %bb.1373:                             ;   in Loop: Header=BB257_11 Depth=1
	v_mov_b32_e32 v124, 0x7f800001
	v_bfe_u32 v4, v13, 16, 7
	v_mov_b32_e32 v125, 0
	s_mov_b32 s19, exec_lo
	v_cmpx_ne_u32_e32 0x7f, v4
	s_cbranch_execz .LBB257_1377
; %bb.1374:                             ;   in Loop: Header=BB257_11 Depth=1
	v_mov_b32_e32 v5, 7
	v_lshrrev_b32_e32 v20, 3, v4
	v_cmp_gt_u32_e64 s5, 8, v4
	v_and_b32_sdwa v56, v13, v5 dst_sel:DWORD dst_unused:UNUSED_PAD src0_sel:WORD_1 src1_sel:DWORD
	v_mov_b32_e32 v4, v56
	v_mov_b32_e32 v5, v57
	s_and_saveexec_b32 s22, s5
; %bb.1375:                             ;   in Loop: Header=BB257_11 Depth=1
	v_ffbh_u32_e32 v4, v56
	v_min_u32_e32 v20, 32, v4
	v_subrev_nc_u32_e32 v4, 28, v20
	v_sub_nc_u32_e32 v20, 29, v20
	v_lshlrev_b64 v[4:5], v4, v[56:57]
	v_and_b32_e32 v4, 7, v4
; %bb.1376:                             ;   in Loop: Header=BB257_11 Depth=1
	s_or_b32 exec_lo, exec_lo, s22
	v_mov_b32_e32 v5, 24
	v_lshlrev_b32_e32 v4, 20, v4
	v_lshl_add_u32 v20, v20, 23, 0x3c000000
	v_lshlrev_b32_sdwa v5, v5, v13 dst_sel:DWORD dst_unused:UNUSED_PAD src0_sel:DWORD src1_sel:WORD_1
	v_and_b32_e32 v5, 0x80000000, v5
	v_or3_b32 v56, v4, v5, v20
	v_mov_b32_e32 v125, v57
	v_mov_b32_e32 v124, v56
.LBB257_1377:                           ;   in Loop: Header=BB257_11 Depth=1
	s_or_b32 exec_lo, exec_lo, s19
.LBB257_1378:                           ;   in Loop: Header=BB257_11 Depth=1
	s_or_b32 exec_lo, exec_lo, s7
.LBB257_1379:                           ;   in Loop: Header=BB257_11 Depth=1
	s_or_b32 exec_lo, exec_lo, s6
	s_mov_b32 s6, exec_lo
	v_cmpx_lt_u32_e32 0xffffff, v13
	s_cbranch_execz .LBB257_1387
; %bb.1380:                             ;   in Loop: Header=BB257_11 Depth=1
	v_mov_b32_e32 v90, v57
	v_mov_b32_e32 v4, 0x80
	v_mov_b32_e32 v39, v90
	v_cmp_ne_u32_sdwa s5, v13, v4 src0_sel:BYTE_3 src1_sel:DWORD
	v_mov_b32_e32 v40, v91
	s_and_saveexec_b32 s7, s5
	s_cbranch_execz .LBB257_1386
; %bb.1381:                             ;   in Loop: Header=BB257_11 Depth=1
	v_mov_b32_e32 v120, v57
	v_bfe_u32 v4, v13, 24, 7
	s_mov_b32 s19, exec_lo
	v_mov_b32_e32 v39, v120
	v_mov_b32_e32 v40, v121
	v_cmpx_ne_u32_e32 0x7f, v4
	s_cbranch_execz .LBB257_1385
; %bb.1382:                             ;   in Loop: Header=BB257_11 Depth=1
	v_mov_b32_e32 v5, 7
	v_lshrrev_b32_e32 v20, 3, v4
	v_cmp_gt_u32_e64 s5, 8, v4
	v_and_b32_sdwa v56, v13, v5 dst_sel:DWORD dst_unused:UNUSED_PAD src0_sel:BYTE_3 src1_sel:DWORD
	v_mov_b32_e32 v4, v56
	v_mov_b32_e32 v5, v57
	s_and_saveexec_b32 s22, s5
; %bb.1383:                             ;   in Loop: Header=BB257_11 Depth=1
	v_ffbh_u32_e32 v4, v56
	v_min_u32_e32 v20, 32, v4
	v_subrev_nc_u32_e32 v4, 28, v20
	v_sub_nc_u32_e32 v20, 29, v20
	v_lshlrev_b64 v[4:5], v4, v[56:57]
	v_and_b32_e32 v4, 7, v4
; %bb.1384:                             ;   in Loop: Header=BB257_11 Depth=1
	s_or_b32 exec_lo, exec_lo, s22
	v_mov_b32_e32 v5, 24
	v_lshlrev_b32_e32 v4, 20, v4
	v_mov_b32_e32 v39, v57
	v_lshlrev_b32_sdwa v5, v5, v13 dst_sel:DWORD dst_unused:UNUSED_PAD src0_sel:DWORD src1_sel:BYTE_3
	v_lshl_add_u32 v13, v20, 23, 0x3c000000
	v_and_b32_e32 v5, 0x80000000, v5
	v_or3_b32 v40, v4, v5, v13
.LBB257_1385:                           ;   in Loop: Header=BB257_11 Depth=1
	s_or_b32 exec_lo, exec_lo, s19
.LBB257_1386:                           ;   in Loop: Header=BB257_11 Depth=1
	s_or_b32 exec_lo, exec_lo, s7
.LBB257_1387:                           ;   in Loop: Header=BB257_11 Depth=1
	s_or_b32 exec_lo, exec_lo, s6
	flat_load_dword v13, v[8:9] offset:1036
	v_mov_b32_e32 v114, 0
	v_mov_b32_e32 v14, 0
	;; [unrolled: 1-line block ×4, first 2 shown]
	s_waitcnt vmcnt(0) lgkmcnt(0)
	v_cmp_ne_u16_sdwa s5, v13, v57 src0_sel:BYTE_0 src1_sel:DWORD
	s_and_saveexec_b32 s6, s5
	s_cbranch_execz .LBB257_1395
; %bb.1388:                             ;   in Loop: Header=BB257_11 Depth=1
	v_mov_b32_e32 v4, 0x80
	v_bfrev_b32_e32 v14, 1
	v_mov_b32_e32 v15, 0
	v_cmp_ne_u16_sdwa s5, v13, v4 src0_sel:BYTE_0 src1_sel:DWORD
	s_and_saveexec_b32 s7, s5
	s_cbranch_execz .LBB257_1394
; %bb.1389:                             ;   in Loop: Header=BB257_11 Depth=1
	v_mov_b32_e32 v14, 0x7f800001
	v_and_b32_e32 v4, 0x7f, v13
	v_mov_b32_e32 v15, 0
	s_mov_b32 s19, exec_lo
	v_cmpx_ne_u32_e32 0x7f, v4
	s_cbranch_execz .LBB257_1393
; %bb.1390:                             ;   in Loop: Header=BB257_11 Depth=1
	v_and_b32_e32 v56, 7, v13
	v_lshrrev_b32_e32 v20, 3, v4
	v_cmp_gt_u32_e64 s5, 8, v4
	v_mov_b32_e32 v4, v56
	v_mov_b32_e32 v5, v57
	s_and_saveexec_b32 s22, s5
; %bb.1391:                             ;   in Loop: Header=BB257_11 Depth=1
	v_ffbh_u32_e32 v4, v56
	v_min_u32_e32 v20, 32, v4
	v_subrev_nc_u32_e32 v4, 28, v20
	v_sub_nc_u32_e32 v20, 29, v20
	v_lshlrev_b64 v[4:5], v4, v[56:57]
	v_and_b32_e32 v4, 7, v4
; %bb.1392:                             ;   in Loop: Header=BB257_11 Depth=1
	s_or_b32 exec_lo, exec_lo, s22
	v_lshlrev_b32_e32 v5, 24, v13
	v_lshlrev_b32_e32 v4, 20, v4
	v_lshl_add_u32 v20, v20, 23, 0x3c000000
	v_and_b32_e32 v5, 0x80000000, v5
	v_or3_b32 v56, v4, v5, v20
	v_mov_b32_e32 v14, v56
	v_mov_b32_e32 v15, v57
.LBB257_1393:                           ;   in Loop: Header=BB257_11 Depth=1
	s_or_b32 exec_lo, exec_lo, s19
.LBB257_1394:                           ;   in Loop: Header=BB257_11 Depth=1
	s_or_b32 exec_lo, exec_lo, s7
.LBB257_1395:                           ;   in Loop: Header=BB257_11 Depth=1
	s_or_b32 exec_lo, exec_lo, s6
	v_cmp_ne_u16_sdwa s5, v13, v57 src0_sel:BYTE_1 src1_sel:DWORD
	s_and_saveexec_b32 s6, s5
	s_cbranch_execz .LBB257_1403
; %bb.1396:                             ;   in Loop: Header=BB257_11 Depth=1
	v_mov_b32_e32 v90, v57
	v_mov_b32_e32 v4, 0x80
	;; [unrolled: 1-line block ×4, first 2 shown]
	v_cmp_ne_u16_sdwa s5, v13, v4 src0_sel:BYTE_1 src1_sel:DWORD
	s_and_saveexec_b32 s7, s5
	s_cbranch_execz .LBB257_1402
; %bb.1397:                             ;   in Loop: Header=BB257_11 Depth=1
	v_mov_b32_e32 v4, 0xffff
	v_mov_b32_e32 v120, v57
	s_mov_b32 s19, exec_lo
	v_and_b32_sdwa v5, v4, v13 dst_sel:DWORD dst_unused:UNUSED_PAD src0_sel:DWORD src1_sel:BYTE_1
	v_mov_b32_e32 v114, v120
	v_mov_b32_e32 v115, v121
	v_and_b32_e32 v4, 0x7f, v5
	v_cmpx_ne_u32_e32 0x7f, v4
	s_cbranch_execz .LBB257_1401
; %bb.1398:                             ;   in Loop: Header=BB257_11 Depth=1
	v_and_b32_e32 v56, 7, v5
	v_lshrrev_b32_e32 v20, 3, v4
	v_cmp_gt_u32_e64 s5, 8, v4
	v_mov_b32_e32 v4, v56
	v_mov_b32_e32 v5, v57
	s_and_saveexec_b32 s22, s5
; %bb.1399:                             ;   in Loop: Header=BB257_11 Depth=1
	v_ffbh_u32_e32 v4, v56
	v_min_u32_e32 v20, 32, v4
	v_subrev_nc_u32_e32 v4, 28, v20
	v_sub_nc_u32_e32 v20, 29, v20
	v_lshlrev_b64 v[4:5], v4, v[56:57]
	v_and_b32_e32 v4, 7, v4
; %bb.1400:                             ;   in Loop: Header=BB257_11 Depth=1
	s_or_b32 exec_lo, exec_lo, s22
	v_lshlrev_b32_e32 v5, 16, v13
	v_lshlrev_b32_e32 v4, 20, v4
	v_lshl_add_u32 v20, v20, 23, 0x3c000000
	v_mov_b32_e32 v114, v57
	v_and_b32_e32 v5, 0x80000000, v5
	v_or3_b32 v115, v4, v5, v20
.LBB257_1401:                           ;   in Loop: Header=BB257_11 Depth=1
	s_or_b32 exec_lo, exec_lo, s19
.LBB257_1402:                           ;   in Loop: Header=BB257_11 Depth=1
	s_or_b32 exec_lo, exec_lo, s7
.LBB257_1403:                           ;   in Loop: Header=BB257_11 Depth=1
	s_or_b32 exec_lo, exec_lo, s6
	v_mov_b32_e32 v4, 0xff
	v_mov_b32_e32 v104, 0
	;; [unrolled: 1-line block ×3, first 2 shown]
	s_mov_b32 s6, exec_lo
	v_and_b32_sdwa v20, v13, v4 dst_sel:DWORD dst_unused:UNUSED_PAD src0_sel:WORD_1 src1_sel:DWORD
	v_mov_b32_e32 v4, 0
	v_mov_b32_e32 v5, 0
	v_cmpx_ne_u16_e32 0, v20
	s_cbranch_execz .LBB257_1411
; %bb.1404:                             ;   in Loop: Header=BB257_11 Depth=1
	v_bfrev_b32_e32 v104, 1
	v_mov_b32_e32 v105, 0
	s_mov_b32 s7, exec_lo
	v_cmpx_ne_u16_e32 0x80, v20
	s_cbranch_execz .LBB257_1410
; %bb.1405:                             ;   in Loop: Header=BB257_11 Depth=1
	v_mov_b32_e32 v104, 0x7f800001
	v_bfe_u32 v20, v13, 16, 7
	v_mov_b32_e32 v105, 0
	s_mov_b32 s19, exec_lo
	v_cmpx_ne_u32_e32 0x7f, v20
	s_cbranch_execz .LBB257_1409
; %bb.1406:                             ;   in Loop: Header=BB257_11 Depth=1
	v_mov_b32_e32 v21, 7
	v_lshrrev_b32_e32 v30, 3, v20
	v_cmp_gt_u32_e64 s5, 8, v20
	v_and_b32_sdwa v56, v13, v21 dst_sel:DWORD dst_unused:UNUSED_PAD src0_sel:WORD_1 src1_sel:DWORD
	v_mov_b32_e32 v20, v56
	v_mov_b32_e32 v21, v57
	s_and_saveexec_b32 s22, s5
; %bb.1407:                             ;   in Loop: Header=BB257_11 Depth=1
	v_ffbh_u32_e32 v20, v56
	v_min_u32_e32 v30, 32, v20
	v_subrev_nc_u32_e32 v20, 28, v30
	v_sub_nc_u32_e32 v30, 29, v30
	v_lshlrev_b64 v[20:21], v20, v[56:57]
	v_and_b32_e32 v20, 7, v20
; %bb.1408:                             ;   in Loop: Header=BB257_11 Depth=1
	s_or_b32 exec_lo, exec_lo, s22
	v_mov_b32_e32 v21, 24
	v_lshlrev_b32_e32 v20, 20, v20
	v_lshl_add_u32 v30, v30, 23, 0x3c000000
	v_lshlrev_b32_sdwa v21, v21, v13 dst_sel:DWORD dst_unused:UNUSED_PAD src0_sel:DWORD src1_sel:WORD_1
	v_and_b32_e32 v21, 0x80000000, v21
	v_or3_b32 v56, v20, v21, v30
	v_mov_b32_e32 v105, v57
	v_mov_b32_e32 v104, v56
.LBB257_1409:                           ;   in Loop: Header=BB257_11 Depth=1
	s_or_b32 exec_lo, exec_lo, s19
.LBB257_1410:                           ;   in Loop: Header=BB257_11 Depth=1
	s_or_b32 exec_lo, exec_lo, s7
.LBB257_1411:                           ;   in Loop: Header=BB257_11 Depth=1
	s_or_b32 exec_lo, exec_lo, s6
	s_mov_b32 s6, exec_lo
	v_cmpx_lt_u32_e32 0xffffff, v13
	s_cbranch_execz .LBB257_1419
; %bb.1412:                             ;   in Loop: Header=BB257_11 Depth=1
	v_mov_b32_e32 v90, v57
	v_mov_b32_e32 v4, 0x80
	v_cmp_ne_u32_sdwa s5, v13, v4 src0_sel:BYTE_3 src1_sel:DWORD
	v_mov_b32_e32 v4, v90
	v_mov_b32_e32 v5, v91
	s_and_saveexec_b32 s7, s5
	s_cbranch_execz .LBB257_1418
; %bb.1413:                             ;   in Loop: Header=BB257_11 Depth=1
	v_mov_b32_e32 v120, v57
	v_bfe_u32 v21, v13, 24, 7
	s_mov_b32 s19, exec_lo
	v_mov_b32_e32 v4, v120
	v_mov_b32_e32 v5, v121
	v_cmpx_ne_u32_e32 0x7f, v21
	s_cbranch_execz .LBB257_1417
; %bb.1414:                             ;   in Loop: Header=BB257_11 Depth=1
	v_mov_b32_e32 v4, 7
	v_lshrrev_b32_e32 v20, 3, v21
	s_mov_b32 s22, exec_lo
	v_and_b32_sdwa v56, v13, v4 dst_sel:DWORD dst_unused:UNUSED_PAD src0_sel:BYTE_3 src1_sel:DWORD
	v_mov_b32_e32 v4, v56
	v_mov_b32_e32 v5, v57
	v_cmpx_gt_u32_e32 8, v21
; %bb.1415:                             ;   in Loop: Header=BB257_11 Depth=1
	v_ffbh_u32_e32 v4, v56
	v_min_u32_e32 v20, 32, v4
	v_subrev_nc_u32_e32 v4, 28, v20
	v_sub_nc_u32_e32 v20, 29, v20
	v_lshlrev_b64 v[4:5], v4, v[56:57]
	v_and_b32_e32 v4, 7, v4
; %bb.1416:                             ;   in Loop: Header=BB257_11 Depth=1
	s_or_b32 exec_lo, exec_lo, s22
	v_mov_b32_e32 v5, 24
	v_lshlrev_b32_e32 v4, 20, v4
	v_lshlrev_b32_sdwa v5, v5, v13 dst_sel:DWORD dst_unused:UNUSED_PAD src0_sel:DWORD src1_sel:BYTE_3
	v_lshl_add_u32 v13, v20, 23, 0x3c000000
	v_and_b32_e32 v5, 0x80000000, v5
	v_or3_b32 v5, v4, v5, v13
	v_mov_b32_e32 v4, v57
.LBB257_1417:                           ;   in Loop: Header=BB257_11 Depth=1
	s_or_b32 exec_lo, exec_lo, s19
.LBB257_1418:                           ;   in Loop: Header=BB257_11 Depth=1
	s_or_b32 exec_lo, exec_lo, s7
.LBB257_1419:                           ;   in Loop: Header=BB257_11 Depth=1
	s_or_b32 exec_lo, exec_lo, s6
	flat_load_dword v13, v[8:9] offset:1536
	v_mov_b32_e32 v126, 0
	v_mov_b32_e32 v41, 0
	;; [unrolled: 1-line block ×4, first 2 shown]
	s_waitcnt vmcnt(0) lgkmcnt(0)
	v_cmp_ne_u16_sdwa s5, v13, v57 src0_sel:BYTE_0 src1_sel:DWORD
	s_and_saveexec_b32 s6, s5
	s_cbranch_execz .LBB257_1427
; %bb.1420:                             ;   in Loop: Header=BB257_11 Depth=1
	v_mov_b32_e32 v20, 0x80
	v_bfrev_b32_e32 v41, 1
	v_mov_b32_e32 v42, 0
	v_cmp_ne_u16_sdwa s5, v13, v20 src0_sel:BYTE_0 src1_sel:DWORD
	s_and_saveexec_b32 s7, s5
	s_cbranch_execz .LBB257_1426
; %bb.1421:                             ;   in Loop: Header=BB257_11 Depth=1
	v_mov_b32_e32 v41, 0x7f800001
	v_and_b32_e32 v20, 0x7f, v13
	v_mov_b32_e32 v42, 0
	s_mov_b32 s19, exec_lo
	v_cmpx_ne_u32_e32 0x7f, v20
	s_cbranch_execz .LBB257_1425
; %bb.1422:                             ;   in Loop: Header=BB257_11 Depth=1
	v_and_b32_e32 v56, 7, v13
	v_lshrrev_b32_e32 v30, 3, v20
	v_cmp_gt_u32_e64 s5, 8, v20
	v_mov_b32_e32 v20, v56
	v_mov_b32_e32 v21, v57
	s_and_saveexec_b32 s22, s5
; %bb.1423:                             ;   in Loop: Header=BB257_11 Depth=1
	v_ffbh_u32_e32 v20, v56
	v_min_u32_e32 v30, 32, v20
	v_subrev_nc_u32_e32 v20, 28, v30
	v_sub_nc_u32_e32 v30, 29, v30
	v_lshlrev_b64 v[20:21], v20, v[56:57]
	v_and_b32_e32 v20, 7, v20
; %bb.1424:                             ;   in Loop: Header=BB257_11 Depth=1
	s_or_b32 exec_lo, exec_lo, s22
	v_lshlrev_b32_e32 v21, 24, v13
	v_lshlrev_b32_e32 v20, 20, v20
	v_lshl_add_u32 v30, v30, 23, 0x3c000000
	v_and_b32_e32 v21, 0x80000000, v21
	v_or3_b32 v56, v20, v21, v30
	v_mov_b32_e32 v41, v56
	v_mov_b32_e32 v42, v57
.LBB257_1425:                           ;   in Loop: Header=BB257_11 Depth=1
	s_or_b32 exec_lo, exec_lo, s19
.LBB257_1426:                           ;   in Loop: Header=BB257_11 Depth=1
	s_or_b32 exec_lo, exec_lo, s7
.LBB257_1427:                           ;   in Loop: Header=BB257_11 Depth=1
	s_or_b32 exec_lo, exec_lo, s6
	v_cmp_ne_u16_sdwa s5, v13, v57 src0_sel:BYTE_1 src1_sel:DWORD
	s_and_saveexec_b32 s6, s5
	s_cbranch_execz .LBB257_1435
; %bb.1428:                             ;   in Loop: Header=BB257_11 Depth=1
	v_mov_b32_e32 v90, v57
	v_mov_b32_e32 v20, 0x80
	;; [unrolled: 1-line block ×4, first 2 shown]
	v_cmp_ne_u16_sdwa s5, v13, v20 src0_sel:BYTE_1 src1_sel:DWORD
	s_and_saveexec_b32 s7, s5
	s_cbranch_execz .LBB257_1434
; %bb.1429:                             ;   in Loop: Header=BB257_11 Depth=1
	v_mov_b32_e32 v20, 0xffff
	v_mov_b32_e32 v120, v57
	;; [unrolled: 1-line block ×3, first 2 shown]
	s_mov_b32 s19, exec_lo
	v_and_b32_sdwa v21, v20, v13 dst_sel:DWORD dst_unused:UNUSED_PAD src0_sel:DWORD src1_sel:BYTE_1
	v_mov_b32_e32 v126, v120
	v_and_b32_e32 v20, 0x7f, v21
	v_cmpx_ne_u32_e32 0x7f, v20
	s_cbranch_execz .LBB257_1433
; %bb.1430:                             ;   in Loop: Header=BB257_11 Depth=1
	v_and_b32_e32 v56, 7, v21
	v_lshrrev_b32_e32 v30, 3, v20
	v_cmp_gt_u32_e64 s5, 8, v20
	v_mov_b32_e32 v20, v56
	v_mov_b32_e32 v21, v57
	s_and_saveexec_b32 s22, s5
; %bb.1431:                             ;   in Loop: Header=BB257_11 Depth=1
	v_ffbh_u32_e32 v20, v56
	v_min_u32_e32 v30, 32, v20
	v_subrev_nc_u32_e32 v20, 28, v30
	v_sub_nc_u32_e32 v30, 29, v30
	v_lshlrev_b64 v[20:21], v20, v[56:57]
	v_and_b32_e32 v20, 7, v20
; %bb.1432:                             ;   in Loop: Header=BB257_11 Depth=1
	s_or_b32 exec_lo, exec_lo, s22
	v_lshlrev_b32_e32 v21, 16, v13
	v_lshlrev_b32_e32 v20, 20, v20
	v_lshl_add_u32 v30, v30, 23, 0x3c000000
	v_mov_b32_e32 v126, v57
	v_and_b32_e32 v21, 0x80000000, v21
	v_or3_b32 v127, v20, v21, v30
.LBB257_1433:                           ;   in Loop: Header=BB257_11 Depth=1
	s_or_b32 exec_lo, exec_lo, s19
.LBB257_1434:                           ;   in Loop: Header=BB257_11 Depth=1
	s_or_b32 exec_lo, exec_lo, s7
.LBB257_1435:                           ;   in Loop: Header=BB257_11 Depth=1
	s_or_b32 exec_lo, exec_lo, s6
	v_mov_b32_e32 v20, 0xff
	v_mov_b32_e32 v72, 0
	;; [unrolled: 1-line block ×5, first 2 shown]
	v_and_b32_sdwa v20, v13, v20 dst_sel:DWORD dst_unused:UNUSED_PAD src0_sel:WORD_1 src1_sel:DWORD
	s_mov_b32 s6, exec_lo
	v_cmpx_ne_u16_e32 0, v20
	s_cbranch_execz .LBB257_1443
; %bb.1436:                             ;   in Loop: Header=BB257_11 Depth=1
	v_bfrev_b32_e32 v106, 1
	v_mov_b32_e32 v107, 0
	s_mov_b32 s7, exec_lo
	v_cmpx_ne_u16_e32 0x80, v20
	s_cbranch_execz .LBB257_1442
; %bb.1437:                             ;   in Loop: Header=BB257_11 Depth=1
	v_mov_b32_e32 v106, 0x7f800001
	v_bfe_u32 v20, v13, 16, 7
	v_mov_b32_e32 v107, 0
	s_mov_b32 s19, exec_lo
	v_cmpx_ne_u32_e32 0x7f, v20
	s_cbranch_execz .LBB257_1441
; %bb.1438:                             ;   in Loop: Header=BB257_11 Depth=1
	v_mov_b32_e32 v21, 7
	v_lshrrev_b32_e32 v30, 3, v20
	v_cmp_gt_u32_e64 s5, 8, v20
	v_and_b32_sdwa v56, v13, v21 dst_sel:DWORD dst_unused:UNUSED_PAD src0_sel:WORD_1 src1_sel:DWORD
	v_mov_b32_e32 v20, v56
	v_mov_b32_e32 v21, v57
	s_and_saveexec_b32 s22, s5
; %bb.1439:                             ;   in Loop: Header=BB257_11 Depth=1
	v_ffbh_u32_e32 v20, v56
	v_min_u32_e32 v30, 32, v20
	v_subrev_nc_u32_e32 v20, 28, v30
	v_sub_nc_u32_e32 v30, 29, v30
	v_lshlrev_b64 v[20:21], v20, v[56:57]
	v_and_b32_e32 v20, 7, v20
; %bb.1440:                             ;   in Loop: Header=BB257_11 Depth=1
	s_or_b32 exec_lo, exec_lo, s22
	v_mov_b32_e32 v21, 24
	v_lshlrev_b32_e32 v20, 20, v20
	v_lshl_add_u32 v30, v30, 23, 0x3c000000
	v_lshlrev_b32_sdwa v21, v21, v13 dst_sel:DWORD dst_unused:UNUSED_PAD src0_sel:DWORD src1_sel:WORD_1
	v_and_b32_e32 v21, 0x80000000, v21
	v_or3_b32 v56, v20, v21, v30
	v_mov_b32_e32 v107, v57
	v_mov_b32_e32 v106, v56
.LBB257_1441:                           ;   in Loop: Header=BB257_11 Depth=1
	s_or_b32 exec_lo, exec_lo, s19
.LBB257_1442:                           ;   in Loop: Header=BB257_11 Depth=1
	s_or_b32 exec_lo, exec_lo, s7
.LBB257_1443:                           ;   in Loop: Header=BB257_11 Depth=1
	s_or_b32 exec_lo, exec_lo, s6
	s_mov_b32 s6, exec_lo
	v_cmpx_lt_u32_e32 0xffffff, v13
	s_cbranch_execz .LBB257_1451
; %bb.1444:                             ;   in Loop: Header=BB257_11 Depth=1
	v_mov_b32_e32 v90, v57
	v_mov_b32_e32 v20, 0x80
	;; [unrolled: 1-line block ×3, first 2 shown]
	v_cmp_ne_u32_sdwa s5, v13, v20 src0_sel:BYTE_3 src1_sel:DWORD
	v_mov_b32_e32 v73, v91
	s_and_saveexec_b32 s7, s5
	s_cbranch_execz .LBB257_1450
; %bb.1445:                             ;   in Loop: Header=BB257_11 Depth=1
	v_mov_b32_e32 v120, v57
	v_bfe_u32 v20, v13, 24, 7
	s_mov_b32 s19, exec_lo
	v_mov_b32_e32 v72, v120
	v_mov_b32_e32 v73, v121
	v_cmpx_ne_u32_e32 0x7f, v20
	s_cbranch_execz .LBB257_1449
; %bb.1446:                             ;   in Loop: Header=BB257_11 Depth=1
	v_mov_b32_e32 v21, 7
	v_lshrrev_b32_e32 v30, 3, v20
	v_cmp_gt_u32_e64 s5, 8, v20
	v_and_b32_sdwa v56, v13, v21 dst_sel:DWORD dst_unused:UNUSED_PAD src0_sel:BYTE_3 src1_sel:DWORD
	v_mov_b32_e32 v20, v56
	v_mov_b32_e32 v21, v57
	s_and_saveexec_b32 s22, s5
; %bb.1447:                             ;   in Loop: Header=BB257_11 Depth=1
	v_ffbh_u32_e32 v20, v56
	v_min_u32_e32 v30, 32, v20
	v_subrev_nc_u32_e32 v20, 28, v30
	v_sub_nc_u32_e32 v30, 29, v30
	v_lshlrev_b64 v[20:21], v20, v[56:57]
	v_and_b32_e32 v20, 7, v20
; %bb.1448:                             ;   in Loop: Header=BB257_11 Depth=1
	s_or_b32 exec_lo, exec_lo, s22
	v_mov_b32_e32 v21, 24
	v_lshlrev_b32_e32 v20, 20, v20
	v_mov_b32_e32 v72, v57
	v_lshlrev_b32_sdwa v13, v21, v13 dst_sel:DWORD dst_unused:UNUSED_PAD src0_sel:DWORD src1_sel:BYTE_3
	v_lshl_add_u32 v21, v30, 23, 0x3c000000
	v_and_b32_e32 v13, 0x80000000, v13
	v_or3_b32 v73, v20, v13, v21
.LBB257_1449:                           ;   in Loop: Header=BB257_11 Depth=1
	s_or_b32 exec_lo, exec_lo, s19
.LBB257_1450:                           ;   in Loop: Header=BB257_11 Depth=1
	s_or_b32 exec_lo, exec_lo, s7
.LBB257_1451:                           ;   in Loop: Header=BB257_11 Depth=1
	s_or_b32 exec_lo, exec_lo, s6
	flat_load_dword v13, v[8:9] offset:1540
	v_mov_b32_e32 v62, 0
	v_mov_b32_e32 v88, 0
	;; [unrolled: 1-line block ×4, first 2 shown]
	s_waitcnt vmcnt(0) lgkmcnt(0)
	v_cmp_ne_u16_sdwa s5, v13, v57 src0_sel:BYTE_0 src1_sel:DWORD
	s_and_saveexec_b32 s6, s5
	s_cbranch_execz .LBB257_1459
; %bb.1452:                             ;   in Loop: Header=BB257_11 Depth=1
	v_mov_b32_e32 v20, 0x80
	v_bfrev_b32_e32 v88, 1
	v_mov_b32_e32 v89, 0
	v_cmp_ne_u16_sdwa s5, v13, v20 src0_sel:BYTE_0 src1_sel:DWORD
	s_and_saveexec_b32 s7, s5
	s_cbranch_execz .LBB257_1458
; %bb.1453:                             ;   in Loop: Header=BB257_11 Depth=1
	v_mov_b32_e32 v88, 0x7f800001
	v_and_b32_e32 v20, 0x7f, v13
	v_mov_b32_e32 v89, 0
	s_mov_b32 s19, exec_lo
	v_cmpx_ne_u32_e32 0x7f, v20
	s_cbranch_execz .LBB257_1457
; %bb.1454:                             ;   in Loop: Header=BB257_11 Depth=1
	v_and_b32_e32 v56, 7, v13
	v_lshrrev_b32_e32 v30, 3, v20
	v_cmp_gt_u32_e64 s5, 8, v20
	v_mov_b32_e32 v20, v56
	v_mov_b32_e32 v21, v57
	s_and_saveexec_b32 s22, s5
; %bb.1455:                             ;   in Loop: Header=BB257_11 Depth=1
	v_ffbh_u32_e32 v20, v56
	v_min_u32_e32 v30, 32, v20
	v_subrev_nc_u32_e32 v20, 28, v30
	v_sub_nc_u32_e32 v30, 29, v30
	v_lshlrev_b64 v[20:21], v20, v[56:57]
	v_and_b32_e32 v20, 7, v20
; %bb.1456:                             ;   in Loop: Header=BB257_11 Depth=1
	s_or_b32 exec_lo, exec_lo, s22
	v_lshlrev_b32_e32 v21, 24, v13
	v_lshlrev_b32_e32 v20, 20, v20
	v_lshl_add_u32 v30, v30, 23, 0x3c000000
	v_and_b32_e32 v21, 0x80000000, v21
	v_or3_b32 v56, v20, v21, v30
	v_mov_b32_e32 v89, v57
	v_mov_b32_e32 v88, v56
.LBB257_1457:                           ;   in Loop: Header=BB257_11 Depth=1
	s_or_b32 exec_lo, exec_lo, s19
.LBB257_1458:                           ;   in Loop: Header=BB257_11 Depth=1
	s_or_b32 exec_lo, exec_lo, s7
.LBB257_1459:                           ;   in Loop: Header=BB257_11 Depth=1
	s_or_b32 exec_lo, exec_lo, s6
	v_cmp_ne_u16_sdwa s5, v13, v57 src0_sel:BYTE_1 src1_sel:DWORD
	s_and_saveexec_b32 s6, s5
	s_cbranch_execz .LBB257_1467
; %bb.1460:                             ;   in Loop: Header=BB257_11 Depth=1
	v_mov_b32_e32 v90, v57
	v_mov_b32_e32 v20, 0x80
	v_mov_b32_e32 v62, v90
	v_cmp_ne_u16_sdwa s5, v13, v20 src0_sel:BYTE_1 src1_sel:DWORD
	v_mov_b32_e32 v63, v91
	s_and_saveexec_b32 s7, s5
	s_cbranch_execz .LBB257_1466
; %bb.1461:                             ;   in Loop: Header=BB257_11 Depth=1
	v_mov_b32_e32 v20, 0xffff
	v_mov_b32_e32 v120, v57
	s_mov_b32 s19, exec_lo
	v_and_b32_sdwa v21, v20, v13 dst_sel:DWORD dst_unused:UNUSED_PAD src0_sel:DWORD src1_sel:BYTE_1
	v_mov_b32_e32 v62, v120
	v_mov_b32_e32 v63, v121
	v_and_b32_e32 v20, 0x7f, v21
	v_cmpx_ne_u32_e32 0x7f, v20
	s_cbranch_execz .LBB257_1465
; %bb.1462:                             ;   in Loop: Header=BB257_11 Depth=1
	v_and_b32_e32 v56, 7, v21
	v_lshrrev_b32_e32 v30, 3, v20
	v_cmp_gt_u32_e64 s5, 8, v20
	v_mov_b32_e32 v20, v56
	v_mov_b32_e32 v21, v57
	s_and_saveexec_b32 s22, s5
; %bb.1463:                             ;   in Loop: Header=BB257_11 Depth=1
	v_ffbh_u32_e32 v20, v56
	v_min_u32_e32 v30, 32, v20
	v_subrev_nc_u32_e32 v20, 28, v30
	v_sub_nc_u32_e32 v30, 29, v30
	v_lshlrev_b64 v[20:21], v20, v[56:57]
	v_and_b32_e32 v20, 7, v20
; %bb.1464:                             ;   in Loop: Header=BB257_11 Depth=1
	s_or_b32 exec_lo, exec_lo, s22
	v_lshlrev_b32_e32 v21, 16, v13
	v_lshlrev_b32_e32 v20, 20, v20
	v_lshl_add_u32 v30, v30, 23, 0x3c000000
	v_mov_b32_e32 v62, v57
	v_and_b32_e32 v21, 0x80000000, v21
	v_or3_b32 v63, v20, v21, v30
.LBB257_1465:                           ;   in Loop: Header=BB257_11 Depth=1
	s_or_b32 exec_lo, exec_lo, s19
.LBB257_1466:                           ;   in Loop: Header=BB257_11 Depth=1
	s_or_b32 exec_lo, exec_lo, s7
.LBB257_1467:                           ;   in Loop: Header=BB257_11 Depth=1
	s_or_b32 exec_lo, exec_lo, s6
	v_mov_b32_e32 v20, 0xff
	v_mov_b32_e32 v92, 0
	;; [unrolled: 1-line block ×3, first 2 shown]
	s_mov_b32 s6, exec_lo
	v_and_b32_sdwa v30, v13, v20 dst_sel:DWORD dst_unused:UNUSED_PAD src0_sel:WORD_1 src1_sel:DWORD
	v_mov_b32_e32 v20, 0
	v_mov_b32_e32 v21, 0
	v_cmpx_ne_u16_e32 0, v30
	s_cbranch_execz .LBB257_1475
; %bb.1468:                             ;   in Loop: Header=BB257_11 Depth=1
	v_bfrev_b32_e32 v20, 1
	v_mov_b32_e32 v21, 0
	s_mov_b32 s7, exec_lo
	v_cmpx_ne_u16_e32 0x80, v30
	s_cbranch_execz .LBB257_1474
; %bb.1469:                             ;   in Loop: Header=BB257_11 Depth=1
	v_mov_b32_e32 v20, 0x7f800001
	v_bfe_u32 v83, v13, 16, 7
	v_mov_b32_e32 v21, 0
	s_mov_b32 s19, exec_lo
	v_cmpx_ne_u32_e32 0x7f, v83
	s_cbranch_execz .LBB257_1473
; %bb.1470:                             ;   in Loop: Header=BB257_11 Depth=1
	v_mov_b32_e32 v20, 7
	v_lshrrev_b32_e32 v30, 3, v83
	s_mov_b32 s22, exec_lo
	v_and_b32_sdwa v56, v13, v20 dst_sel:DWORD dst_unused:UNUSED_PAD src0_sel:WORD_1 src1_sel:DWORD
	v_mov_b32_e32 v20, v56
	v_mov_b32_e32 v21, v57
	v_cmpx_gt_u32_e32 8, v83
; %bb.1471:                             ;   in Loop: Header=BB257_11 Depth=1
	v_ffbh_u32_e32 v20, v56
	v_min_u32_e32 v30, 32, v20
	v_subrev_nc_u32_e32 v20, 28, v30
	v_sub_nc_u32_e32 v30, 29, v30
	v_lshlrev_b64 v[20:21], v20, v[56:57]
	v_and_b32_e32 v20, 7, v20
; %bb.1472:                             ;   in Loop: Header=BB257_11 Depth=1
	s_or_b32 exec_lo, exec_lo, s22
	v_mov_b32_e32 v21, 24
	v_lshlrev_b32_e32 v20, 20, v20
	v_lshl_add_u32 v30, v30, 23, 0x3c000000
	v_lshlrev_b32_sdwa v21, v21, v13 dst_sel:DWORD dst_unused:UNUSED_PAD src0_sel:DWORD src1_sel:WORD_1
	v_and_b32_e32 v21, 0x80000000, v21
	v_or3_b32 v56, v20, v21, v30
	v_mov_b32_e32 v20, v56
	v_mov_b32_e32 v21, v57
.LBB257_1473:                           ;   in Loop: Header=BB257_11 Depth=1
	s_or_b32 exec_lo, exec_lo, s19
.LBB257_1474:                           ;   in Loop: Header=BB257_11 Depth=1
	s_or_b32 exec_lo, exec_lo, s7
.LBB257_1475:                           ;   in Loop: Header=BB257_11 Depth=1
	s_or_b32 exec_lo, exec_lo, s6
	s_mov_b32 s6, exec_lo
	v_cmpx_lt_u32_e32 0xffffff, v13
	s_cbranch_execz .LBB257_1483
; %bb.1476:                             ;   in Loop: Header=BB257_11 Depth=1
	v_mov_b32_e32 v90, v57
	v_mov_b32_e32 v30, 0x80
	;; [unrolled: 1-line block ×4, first 2 shown]
	v_cmp_ne_u32_sdwa s5, v13, v30 src0_sel:BYTE_3 src1_sel:DWORD
	s_and_saveexec_b32 s7, s5
	s_cbranch_execz .LBB257_1482
; %bb.1477:                             ;   in Loop: Header=BB257_11 Depth=1
	v_mov_b32_e32 v120, v57
	v_bfe_u32 v83, v13, 24, 7
	s_mov_b32 s19, exec_lo
	v_mov_b32_e32 v92, v120
	v_mov_b32_e32 v93, v121
	v_cmpx_ne_u32_e32 0x7f, v83
	s_cbranch_execz .LBB257_1481
; %bb.1478:                             ;   in Loop: Header=BB257_11 Depth=1
	v_mov_b32_e32 v30, 7
	s_mov_b32 s22, exec_lo
	v_and_b32_sdwa v56, v13, v30 dst_sel:DWORD dst_unused:UNUSED_PAD src0_sel:BYTE_3 src1_sel:DWORD
	v_mov_b32_e32 v59, v57
	v_lshrrev_b32_e32 v30, 3, v83
	v_mov_b32_e32 v58, v56
	v_cmpx_gt_u32_e32 8, v83
; %bb.1479:                             ;   in Loop: Header=BB257_11 Depth=1
	v_ffbh_u32_e32 v30, v56
	v_min_u32_e32 v30, 32, v30
	v_subrev_nc_u32_e32 v83, 28, v30
	v_sub_nc_u32_e32 v30, 29, v30
	v_lshlrev_b64 v[58:59], v83, v[56:57]
	v_and_b32_e32 v58, 7, v58
; %bb.1480:                             ;   in Loop: Header=BB257_11 Depth=1
	s_or_b32 exec_lo, exec_lo, s22
	v_mov_b32_e32 v83, 24
	v_lshl_add_u32 v30, v30, 23, 0x3c000000
	v_mov_b32_e32 v92, v57
	v_lshlrev_b32_sdwa v13, v83, v13 dst_sel:DWORD dst_unused:UNUSED_PAD src0_sel:DWORD src1_sel:BYTE_3
	v_lshlrev_b32_e32 v83, 20, v58
	v_and_b32_e32 v13, 0x80000000, v13
	v_or3_b32 v93, v83, v13, v30
.LBB257_1481:                           ;   in Loop: Header=BB257_11 Depth=1
	s_or_b32 exec_lo, exec_lo, s19
.LBB257_1482:                           ;   in Loop: Header=BB257_11 Depth=1
	s_or_b32 exec_lo, exec_lo, s7
.LBB257_1483:                           ;   in Loop: Header=BB257_11 Depth=1
	s_or_b32 exec_lo, exec_lo, s6
	flat_load_dword v13, v[8:9] offset:1544
	v_mov_b32_e32 v74, 0
	v_mov_b32_e32 v58, 0
	;; [unrolled: 1-line block ×4, first 2 shown]
	s_waitcnt vmcnt(0) lgkmcnt(0)
	v_cmp_ne_u16_sdwa s5, v13, v57 src0_sel:BYTE_0 src1_sel:DWORD
	s_and_saveexec_b32 s6, s5
	s_cbranch_execz .LBB257_1491
; %bb.1484:                             ;   in Loop: Header=BB257_11 Depth=1
	v_mov_b32_e32 v30, 0x80
	v_bfrev_b32_e32 v58, 1
	v_mov_b32_e32 v59, 0
	v_cmp_ne_u16_sdwa s5, v13, v30 src0_sel:BYTE_0 src1_sel:DWORD
	s_and_saveexec_b32 s7, s5
	s_cbranch_execz .LBB257_1490
; %bb.1485:                             ;   in Loop: Header=BB257_11 Depth=1
	v_mov_b32_e32 v58, 0x7f800001
	v_and_b32_e32 v83, 0x7f, v13
	v_mov_b32_e32 v59, 0
	s_mov_b32 s19, exec_lo
	v_cmpx_ne_u32_e32 0x7f, v83
	s_cbranch_execz .LBB257_1489
; %bb.1486:                             ;   in Loop: Header=BB257_11 Depth=1
	v_and_b32_e32 v56, 7, v13
	v_mov_b32_e32 v59, v57
	v_lshrrev_b32_e32 v30, 3, v83
	s_mov_b32 s22, exec_lo
	v_mov_b32_e32 v58, v56
	v_cmpx_gt_u32_e32 8, v83
; %bb.1487:                             ;   in Loop: Header=BB257_11 Depth=1
	v_ffbh_u32_e32 v30, v56
	v_min_u32_e32 v30, 32, v30
	v_subrev_nc_u32_e32 v83, 28, v30
	v_sub_nc_u32_e32 v30, 29, v30
	v_lshlrev_b64 v[58:59], v83, v[56:57]
	v_and_b32_e32 v58, 7, v58
; %bb.1488:                             ;   in Loop: Header=BB257_11 Depth=1
	s_or_b32 exec_lo, exec_lo, s22
	v_lshlrev_b32_e32 v83, 24, v13
	v_lshlrev_b32_e32 v56, 20, v58
	v_lshl_add_u32 v30, v30, 23, 0x3c000000
	v_and_b32_e32 v83, 0x80000000, v83
	v_or3_b32 v56, v56, v83, v30
	v_mov_b32_e32 v59, v57
	v_mov_b32_e32 v58, v56
.LBB257_1489:                           ;   in Loop: Header=BB257_11 Depth=1
	s_or_b32 exec_lo, exec_lo, s19
.LBB257_1490:                           ;   in Loop: Header=BB257_11 Depth=1
	s_or_b32 exec_lo, exec_lo, s7
.LBB257_1491:                           ;   in Loop: Header=BB257_11 Depth=1
	s_or_b32 exec_lo, exec_lo, s6
	v_cmp_ne_u16_sdwa s5, v13, v57 src0_sel:BYTE_1 src1_sel:DWORD
	s_and_saveexec_b32 s6, s5
	s_cbranch_execz .LBB257_1499
; %bb.1492:                             ;   in Loop: Header=BB257_11 Depth=1
	v_mov_b32_e32 v90, v57
	v_mov_b32_e32 v30, 0x80
	v_mov_b32_e32 v74, v90
	v_cmp_ne_u16_sdwa s5, v13, v30 src0_sel:BYTE_1 src1_sel:DWORD
	v_mov_b32_e32 v75, v91
	s_and_saveexec_b32 s7, s5
	s_cbranch_execz .LBB257_1498
; %bb.1493:                             ;   in Loop: Header=BB257_11 Depth=1
	v_mov_b32_e32 v30, 0xffff
	v_mov_b32_e32 v120, v57
	s_mov_b32 s19, exec_lo
	v_and_b32_sdwa v30, v30, v13 dst_sel:DWORD dst_unused:UNUSED_PAD src0_sel:DWORD src1_sel:BYTE_1
	v_mov_b32_e32 v74, v120
	v_mov_b32_e32 v75, v121
	v_and_b32_e32 v83, 0x7f, v30
	v_cmpx_ne_u32_e32 0x7f, v83
	s_cbranch_execz .LBB257_1497
; %bb.1494:                             ;   in Loop: Header=BB257_11 Depth=1
	v_and_b32_e32 v56, 7, v30
	v_mov_b32_e32 v61, v57
	v_lshrrev_b32_e32 v30, 3, v83
	s_mov_b32 s22, exec_lo
	v_mov_b32_e32 v60, v56
	v_cmpx_gt_u32_e32 8, v83
; %bb.1495:                             ;   in Loop: Header=BB257_11 Depth=1
	v_ffbh_u32_e32 v30, v56
	v_min_u32_e32 v30, 32, v30
	v_subrev_nc_u32_e32 v83, 28, v30
	v_sub_nc_u32_e32 v30, 29, v30
	v_lshlrev_b64 v[60:61], v83, v[56:57]
	v_and_b32_e32 v60, 7, v60
; %bb.1496:                             ;   in Loop: Header=BB257_11 Depth=1
	s_or_b32 exec_lo, exec_lo, s22
	v_lshlrev_b32_e32 v83, 16, v13
	v_lshlrev_b32_e32 v56, 20, v60
	v_lshl_add_u32 v30, v30, 23, 0x3c000000
	v_mov_b32_e32 v74, v57
	v_and_b32_e32 v83, 0x80000000, v83
	v_or3_b32 v75, v56, v83, v30
.LBB257_1497:                           ;   in Loop: Header=BB257_11 Depth=1
	s_or_b32 exec_lo, exec_lo, s19
.LBB257_1498:                           ;   in Loop: Header=BB257_11 Depth=1
	s_or_b32 exec_lo, exec_lo, s7
.LBB257_1499:                           ;   in Loop: Header=BB257_11 Depth=1
	s_or_b32 exec_lo, exec_lo, s6
	v_mov_b32_e32 v30, 0xff
	v_mov_b32_e32 v60, 0
	;; [unrolled: 1-line block ×5, first 2 shown]
	v_and_b32_sdwa v30, v13, v30 dst_sel:DWORD dst_unused:UNUSED_PAD src0_sel:WORD_1 src1_sel:DWORD
	s_mov_b32 s6, exec_lo
	v_cmpx_ne_u16_e32 0, v30
	s_cbranch_execz .LBB257_1507
; %bb.1500:                             ;   in Loop: Header=BB257_11 Depth=1
	v_bfrev_b32_e32 v122, 1
	v_mov_b32_e32 v123, 0
	s_mov_b32 s7, exec_lo
	v_cmpx_ne_u16_e32 0x80, v30
	s_cbranch_execz .LBB257_1506
; %bb.1501:                             ;   in Loop: Header=BB257_11 Depth=1
	v_mov_b32_e32 v122, 0x7f800001
	v_bfe_u32 v83, v13, 16, 7
	v_mov_b32_e32 v123, 0
	s_mov_b32 s19, exec_lo
	v_cmpx_ne_u32_e32 0x7f, v83
	s_cbranch_execz .LBB257_1505
; %bb.1502:                             ;   in Loop: Header=BB257_11 Depth=1
	v_mov_b32_e32 v30, 7
	s_mov_b32 s22, exec_lo
	v_and_b32_sdwa v56, v13, v30 dst_sel:DWORD dst_unused:UNUSED_PAD src0_sel:WORD_1 src1_sel:DWORD
	v_mov_b32_e32 v77, v57
	v_lshrrev_b32_e32 v30, 3, v83
	v_mov_b32_e32 v76, v56
	v_cmpx_gt_u32_e32 8, v83
; %bb.1503:                             ;   in Loop: Header=BB257_11 Depth=1
	v_ffbh_u32_e32 v30, v56
	v_min_u32_e32 v30, 32, v30
	v_subrev_nc_u32_e32 v83, 28, v30
	v_sub_nc_u32_e32 v30, 29, v30
	v_lshlrev_b64 v[76:77], v83, v[56:57]
	v_and_b32_e32 v76, 7, v76
; %bb.1504:                             ;   in Loop: Header=BB257_11 Depth=1
	s_or_b32 exec_lo, exec_lo, s22
	v_mov_b32_e32 v83, 24
	v_lshlrev_b32_e32 v56, 20, v76
	v_lshl_add_u32 v30, v30, 23, 0x3c000000
	v_lshlrev_b32_sdwa v83, v83, v13 dst_sel:DWORD dst_unused:UNUSED_PAD src0_sel:DWORD src1_sel:WORD_1
	v_and_b32_e32 v83, 0x80000000, v83
	v_or3_b32 v56, v56, v83, v30
	v_mov_b32_e32 v123, v57
	v_mov_b32_e32 v122, v56
.LBB257_1505:                           ;   in Loop: Header=BB257_11 Depth=1
	s_or_b32 exec_lo, exec_lo, s19
.LBB257_1506:                           ;   in Loop: Header=BB257_11 Depth=1
	s_or_b32 exec_lo, exec_lo, s7
.LBB257_1507:                           ;   in Loop: Header=BB257_11 Depth=1
	s_or_b32 exec_lo, exec_lo, s6
	s_mov_b32 s6, exec_lo
	v_cmpx_lt_u32_e32 0xffffff, v13
	s_cbranch_execz .LBB257_1515
; %bb.1508:                             ;   in Loop: Header=BB257_11 Depth=1
	v_mov_b32_e32 v90, v57
	v_mov_b32_e32 v30, 0x80
	;; [unrolled: 1-line block ×3, first 2 shown]
	v_cmp_ne_u32_sdwa s5, v13, v30 src0_sel:BYTE_3 src1_sel:DWORD
	v_mov_b32_e32 v61, v91
	s_and_saveexec_b32 s7, s5
	s_cbranch_execz .LBB257_1514
; %bb.1509:                             ;   in Loop: Header=BB257_11 Depth=1
	v_mov_b32_e32 v120, v57
	v_bfe_u32 v83, v13, 24, 7
	s_mov_b32 s19, exec_lo
	v_mov_b32_e32 v60, v120
	v_mov_b32_e32 v61, v121
	v_cmpx_ne_u32_e32 0x7f, v83
	s_cbranch_execz .LBB257_1513
; %bb.1510:                             ;   in Loop: Header=BB257_11 Depth=1
	v_mov_b32_e32 v30, 7
	s_mov_b32 s22, exec_lo
	v_and_b32_sdwa v56, v13, v30 dst_sel:DWORD dst_unused:UNUSED_PAD src0_sel:BYTE_3 src1_sel:DWORD
	v_mov_b32_e32 v61, v57
	v_lshrrev_b32_e32 v30, 3, v83
	v_mov_b32_e32 v60, v56
	v_cmpx_gt_u32_e32 8, v83
; %bb.1511:                             ;   in Loop: Header=BB257_11 Depth=1
	v_ffbh_u32_e32 v30, v56
	v_min_u32_e32 v30, 32, v30
	v_subrev_nc_u32_e32 v83, 28, v30
	v_sub_nc_u32_e32 v30, 29, v30
	v_lshlrev_b64 v[60:61], v83, v[56:57]
	v_and_b32_e32 v60, 7, v60
; %bb.1512:                             ;   in Loop: Header=BB257_11 Depth=1
	s_or_b32 exec_lo, exec_lo, s22
	v_mov_b32_e32 v83, 24
	v_lshl_add_u32 v30, v30, 23, 0x3c000000
	v_lshlrev_b32_sdwa v13, v83, v13 dst_sel:DWORD dst_unused:UNUSED_PAD src0_sel:DWORD src1_sel:BYTE_3
	v_lshlrev_b32_e32 v83, 20, v60
	v_mov_b32_e32 v60, v57
	v_and_b32_e32 v13, 0x80000000, v13
	v_or3_b32 v61, v83, v13, v30
.LBB257_1513:                           ;   in Loop: Header=BB257_11 Depth=1
	s_or_b32 exec_lo, exec_lo, s19
.LBB257_1514:                           ;   in Loop: Header=BB257_11 Depth=1
	s_or_b32 exec_lo, exec_lo, s7
.LBB257_1515:                           ;   in Loop: Header=BB257_11 Depth=1
	s_or_b32 exec_lo, exec_lo, s6
	flat_load_dword v13, v[8:9] offset:1548
	v_mov_b32_e32 v76, 0
	v_mov_b32_e32 v8, 0
	;; [unrolled: 1-line block ×4, first 2 shown]
	s_waitcnt vmcnt(0) lgkmcnt(0)
	v_cmp_ne_u16_sdwa s5, v13, v57 src0_sel:BYTE_0 src1_sel:DWORD
	s_and_saveexec_b32 s6, s5
	s_cbranch_execz .LBB257_1523
; %bb.1516:                             ;   in Loop: Header=BB257_11 Depth=1
	v_mov_b32_e32 v30, 0x80
	v_bfrev_b32_e32 v8, 1
	v_mov_b32_e32 v9, 0
	v_cmp_ne_u16_sdwa s5, v13, v30 src0_sel:BYTE_0 src1_sel:DWORD
	s_and_saveexec_b32 s7, s5
	s_cbranch_execz .LBB257_1522
; %bb.1517:                             ;   in Loop: Header=BB257_11 Depth=1
	v_mov_b32_e32 v8, 0x7f800001
	v_and_b32_e32 v83, 0x7f, v13
	v_mov_b32_e32 v9, 0
	s_mov_b32 s19, exec_lo
	v_cmpx_ne_u32_e32 0x7f, v83
	s_cbranch_execz .LBB257_1521
; %bb.1518:                             ;   in Loop: Header=BB257_11 Depth=1
	v_and_b32_e32 v56, 7, v13
	v_lshrrev_b32_e32 v30, 3, v83
	s_mov_b32 s22, exec_lo
	v_mov_b32_e32 v8, v56
	v_mov_b32_e32 v9, v57
	v_cmpx_gt_u32_e32 8, v83
; %bb.1519:                             ;   in Loop: Header=BB257_11 Depth=1
	v_ffbh_u32_e32 v8, v56
	v_min_u32_e32 v30, 32, v8
	v_subrev_nc_u32_e32 v8, 28, v30
	v_sub_nc_u32_e32 v30, 29, v30
	v_lshlrev_b64 v[8:9], v8, v[56:57]
	v_and_b32_e32 v8, 7, v8
; %bb.1520:                             ;   in Loop: Header=BB257_11 Depth=1
	s_or_b32 exec_lo, exec_lo, s22
	v_lshlrev_b32_e32 v9, 24, v13
	v_lshlrev_b32_e32 v8, 20, v8
	v_lshl_add_u32 v30, v30, 23, 0x3c000000
	v_and_b32_e32 v9, 0x80000000, v9
	v_or3_b32 v56, v8, v9, v30
	v_mov_b32_e32 v8, v56
	v_mov_b32_e32 v9, v57
.LBB257_1521:                           ;   in Loop: Header=BB257_11 Depth=1
	s_or_b32 exec_lo, exec_lo, s19
.LBB257_1522:                           ;   in Loop: Header=BB257_11 Depth=1
	s_or_b32 exec_lo, exec_lo, s7
.LBB257_1523:                           ;   in Loop: Header=BB257_11 Depth=1
	s_or_b32 exec_lo, exec_lo, s6
	v_cmp_ne_u16_sdwa s5, v13, v57 src0_sel:BYTE_1 src1_sel:DWORD
	s_and_saveexec_b32 s6, s5
	s_cbranch_execz .LBB257_1531
; %bb.1524:                             ;   in Loop: Header=BB257_11 Depth=1
	v_mov_b32_e32 v90, v57
	v_mov_b32_e32 v30, 0x80
	v_mov_b32_e32 v76, v90
	v_cmp_ne_u16_sdwa s5, v13, v30 src0_sel:BYTE_1 src1_sel:DWORD
	v_mov_b32_e32 v77, v91
	s_and_saveexec_b32 s7, s5
	s_cbranch_execz .LBB257_1530
; %bb.1525:                             ;   in Loop: Header=BB257_11 Depth=1
	v_mov_b32_e32 v30, 0xffff
	v_mov_b32_e32 v120, v57
	s_mov_b32 s19, exec_lo
	v_and_b32_sdwa v30, v30, v13 dst_sel:DWORD dst_unused:UNUSED_PAD src0_sel:DWORD src1_sel:BYTE_1
	v_mov_b32_e32 v76, v120
	v_mov_b32_e32 v77, v121
	v_and_b32_e32 v83, 0x7f, v30
	v_cmpx_ne_u32_e32 0x7f, v83
	s_cbranch_execz .LBB257_1529
; %bb.1526:                             ;   in Loop: Header=BB257_11 Depth=1
	v_and_b32_e32 v56, 7, v30
	v_mov_b32_e32 v77, v57
	v_lshrrev_b32_e32 v30, 3, v83
	s_mov_b32 s22, exec_lo
	v_mov_b32_e32 v76, v56
	v_cmpx_gt_u32_e32 8, v83
; %bb.1527:                             ;   in Loop: Header=BB257_11 Depth=1
	v_ffbh_u32_e32 v30, v56
	v_min_u32_e32 v30, 32, v30
	v_subrev_nc_u32_e32 v83, 28, v30
	v_sub_nc_u32_e32 v30, 29, v30
	v_lshlrev_b64 v[76:77], v83, v[56:57]
	v_and_b32_e32 v76, 7, v76
; %bb.1528:                             ;   in Loop: Header=BB257_11 Depth=1
	s_or_b32 exec_lo, exec_lo, s22
	v_lshlrev_b32_e32 v83, 16, v13
	v_lshlrev_b32_e32 v56, 20, v76
	v_lshl_add_u32 v30, v30, 23, 0x3c000000
	v_mov_b32_e32 v76, v57
	v_and_b32_e32 v83, 0x80000000, v83
	v_or3_b32 v77, v56, v83, v30
.LBB257_1529:                           ;   in Loop: Header=BB257_11 Depth=1
	s_or_b32 exec_lo, exec_lo, s19
.LBB257_1530:                           ;   in Loop: Header=BB257_11 Depth=1
	s_or_b32 exec_lo, exec_lo, s7
.LBB257_1531:                           ;   in Loop: Header=BB257_11 Depth=1
	s_or_b32 exec_lo, exec_lo, s6
	v_mov_b32_e32 v30, 0xff
	v_mov_b32_e32 v110, 0
	;; [unrolled: 1-line block ×5, first 2 shown]
	v_and_b32_sdwa v30, v13, v30 dst_sel:DWORD dst_unused:UNUSED_PAD src0_sel:WORD_1 src1_sel:DWORD
	s_mov_b32 s6, exec_lo
	v_cmpx_ne_u16_e32 0, v30
	s_cbranch_execz .LBB257_1539
; %bb.1532:                             ;   in Loop: Header=BB257_11 Depth=1
	v_bfrev_b32_e32 v94, 1
	v_mov_b32_e32 v95, 0
	s_mov_b32 s7, exec_lo
	v_cmpx_ne_u16_e32 0x80, v30
	s_cbranch_execz .LBB257_1538
; %bb.1533:                             ;   in Loop: Header=BB257_11 Depth=1
	v_mov_b32_e32 v94, 0x7f800001
	v_bfe_u32 v83, v13, 16, 7
	v_mov_b32_e32 v95, 0
	s_mov_b32 s19, exec_lo
	v_cmpx_ne_u32_e32 0x7f, v83
	s_cbranch_execz .LBB257_1537
; %bb.1534:                             ;   in Loop: Header=BB257_11 Depth=1
	v_mov_b32_e32 v30, 7
	s_mov_b32 s22, exec_lo
	v_and_b32_sdwa v56, v13, v30 dst_sel:DWORD dst_unused:UNUSED_PAD src0_sel:WORD_1 src1_sel:DWORD
	v_mov_b32_e32 v95, v57
	v_lshrrev_b32_e32 v30, 3, v83
	v_mov_b32_e32 v94, v56
	v_cmpx_gt_u32_e32 8, v83
; %bb.1535:                             ;   in Loop: Header=BB257_11 Depth=1
	v_ffbh_u32_e32 v30, v56
	v_min_u32_e32 v30, 32, v30
	v_subrev_nc_u32_e32 v83, 28, v30
	v_sub_nc_u32_e32 v30, 29, v30
	v_lshlrev_b64 v[94:95], v83, v[56:57]
	v_and_b32_e32 v94, 7, v94
; %bb.1536:                             ;   in Loop: Header=BB257_11 Depth=1
	s_or_b32 exec_lo, exec_lo, s22
	v_mov_b32_e32 v83, 24
	v_lshlrev_b32_e32 v56, 20, v94
	v_lshl_add_u32 v30, v30, 23, 0x3c000000
	v_lshlrev_b32_sdwa v83, v83, v13 dst_sel:DWORD dst_unused:UNUSED_PAD src0_sel:DWORD src1_sel:WORD_1
	v_and_b32_e32 v83, 0x80000000, v83
	v_or3_b32 v56, v56, v83, v30
	v_mov_b32_e32 v95, v57
	v_mov_b32_e32 v94, v56
.LBB257_1537:                           ;   in Loop: Header=BB257_11 Depth=1
	s_or_b32 exec_lo, exec_lo, s19
.LBB257_1538:                           ;   in Loop: Header=BB257_11 Depth=1
	s_or_b32 exec_lo, exec_lo, s7
.LBB257_1539:                           ;   in Loop: Header=BB257_11 Depth=1
	s_or_b32 exec_lo, exec_lo, s6
	v_cmp_lt_u32_e64 s5, 0xffffff, v13
	s_mov_b32 s6, exec_lo
	buffer_load_dword v120, off, s[0:3], s32 offset:1272 ; 4-byte Folded Reload
	v_mov_b32_e32 v56, v82
	v_mov_b32_e32 v79, v47
	s_and_b32 s5, s6, s5
	s_mov_b32 exec_lo, s5
	s_cbranch_execz .LBB257_10
; %bb.1540:                             ;   in Loop: Header=BB257_11 Depth=1
	v_mov_b32_e32 v90, v57
	v_mov_b32_e32 v30, 0x80
	;; [unrolled: 1-line block ×4, first 2 shown]
	v_cmp_ne_u32_sdwa s5, v13, v30 src0_sel:BYTE_3 src1_sel:DWORD
	s_and_saveexec_b32 s7, s5
	s_cbranch_execz .LBB257_9
; %bb.1541:                             ;   in Loop: Header=BB257_11 Depth=1
	s_waitcnt vmcnt(0)
	v_mov_b32_e32 v120, v57
	v_bfe_u32 v83, v13, 24, 7
	s_mov_b32 s19, exec_lo
	v_mov_b32_e32 v110, v120
	v_mov_b32_e32 v111, v121
	v_cmpx_ne_u32_e32 0x7f, v83
	s_cbranch_execz .LBB257_8
; %bb.1542:                             ;   in Loop: Header=BB257_11 Depth=1
	v_mov_b32_e32 v30, 7
	s_mov_b32 s22, exec_lo
	v_and_b32_sdwa v56, v13, v30 dst_sel:DWORD dst_unused:UNUSED_PAD src0_sel:BYTE_3 src1_sel:DWORD
	v_mov_b32_e32 v111, v57
	v_lshrrev_b32_e32 v30, 3, v83
	v_mov_b32_e32 v110, v56
	v_cmpx_gt_u32_e32 8, v83
	s_cbranch_execz .LBB257_7
; %bb.1543:                             ;   in Loop: Header=BB257_11 Depth=1
	v_ffbh_u32_e32 v30, v56
	v_min_u32_e32 v30, 32, v30
	v_subrev_nc_u32_e32 v83, 28, v30
	v_sub_nc_u32_e32 v30, 29, v30
	v_lshlrev_b64 v[110:111], v83, v[56:57]
	v_and_b32_e32 v110, 7, v110
	s_branch .LBB257_7
.LBB257_1544:
	s_or_b32 exec_lo, exec_lo, s17
	s_clause 0x11
	buffer_load_dword v28, off, s[0:3], s32 offset:1284
	buffer_load_dword v29, off, s[0:3], s32 offset:1288
	;; [unrolled: 1-line block ×18, first 2 shown]
.LBB257_1545:
	s_or_b32 exec_lo, exec_lo, s15
	v_mbcnt_lo_u32_b32 v0, -1, 0
	s_lshr_b32 s13, s13, 16
	v_xor_b32_e32 v1, 16, v0
	v_xor_b32_e32 v3, 8, v0
	;; [unrolled: 1-line block ×3, first 2 shown]
	v_cmp_gt_i32_e32 vcc_lo, 32, v1
	v_cndmask_b32_e32 v1, v0, v1, vcc_lo
	v_cmp_gt_i32_e32 vcc_lo, 32, v3
	v_lshlrev_b32_e32 v2, 2, v1
	v_cndmask_b32_e32 v3, v0, v3, vcc_lo
	v_cmp_gt_i32_e32 vcc_lo, 32, v5
	ds_bpermute_b32 v1, v2, v4
	v_max_f32_e32 v4, v4, v4
	v_lshlrev_b32_e32 v3, 2, v3
	v_cndmask_b32_e32 v5, v0, v5, vcc_lo
	v_lshlrev_b32_e32 v65, 2, v5
	v_xor_b32_e32 v5, 2, v0
	v_cmp_gt_i32_e32 vcc_lo, 32, v5
	v_cndmask_b32_e32 v5, v0, v5, vcc_lo
	s_waitcnt lgkmcnt(0)
	v_max_f32_e32 v1, v1, v1
	v_lshlrev_b32_e32 v12, 2, v5
	v_max_f32_e32 v1, v4, v1
	v_xor_b32_e32 v5, 1, v0
	ds_bpermute_b32 v4, v3, v1
	v_cmp_gt_i32_e32 vcc_lo, 32, v5
	v_cndmask_b32_e32 v5, v0, v5, vcc_lo
	v_lshlrev_b32_e32 v9, 2, v5
	s_waitcnt lgkmcnt(0)
	v_max_f32_e32 v4, v4, v4
	v_max_f32_e32 v1, v1, v4
	ds_bpermute_b32 v4, v65, v1
	s_waitcnt lgkmcnt(0)
	v_max_f32_e32 v4, v4, v4
	v_max_f32_e32 v1, v1, v4
	ds_bpermute_b32 v4, v12, v1
	s_waitcnt lgkmcnt(0)
	v_max_f32_e32 v4, v4, v4
	v_max_f32_e32 v0, v1, v4
	buffer_load_dword v4, off, s[0:3], s32 offset:2320 ; 4-byte Folded Reload
	ds_bpermute_b32 v1, v9, v0
	s_waitcnt vmcnt(0)
	v_cmp_eq_u32_e32 vcc_lo, 0, v4
	buffer_load_dword v4, off, s[0:3], s32 offset:2324 ; 4-byte Folded Reload
	s_waitcnt vmcnt(0)
	v_lshlrev_b32_e32 v4, 2, v4
	s_and_saveexec_b32 s5, vcc_lo
	s_cbranch_execz .LBB257_1547
; %bb.1546:
	s_waitcnt lgkmcnt(0)
	v_max_f32_e32 v1, v1, v1
	v_max_f32_e32 v0, v0, v0
	;; [unrolled: 1-line block ×3, first 2 shown]
	ds_write_b32 v4, v0 offset:768
.LBB257_1547:
	s_or_b32 exec_lo, exec_lo, s5
	buffer_load_dword v0, off, s[0:3], s32 offset:2320 ; 4-byte Folded Reload
	s_waitcnt vmcnt(0) lgkmcnt(0)
	s_waitcnt_vscnt null, 0x0
	s_barrier
	buffer_gl0_inv
	v_cmp_gt_u32_e64 s5, 4, v0
	v_mov_b32_e32 v0, 0xff7fffff
	s_and_saveexec_b32 s6, s5
; %bb.1548:
	ds_read_b32 v0, v16 offset:768
; %bb.1549:
	s_or_b32 exec_lo, exec_lo, s6
	buffer_load_dword v5, off, s[0:3], s32 offset:1280 ; 4-byte Folded Reload
	s_waitcnt lgkmcnt(0)
	ds_bpermute_b32 v1, v12, v0
	v_max_f32_e32 v0, v0, v0
	s_waitcnt lgkmcnt(0)
	v_max_f32_e32 v1, v1, v1
	v_max_f32_e32 v0, v0, v1
	ds_bpermute_b32 v1, v9, v0
	s_waitcnt lgkmcnt(0)
	v_max_f32_e32 v1, v1, v1
	v_max_f32_e32 v0, v0, v1
	s_waitcnt vmcnt(0)
	v_subrev_nc_u32_e32 v6, s9, v5
	v_mov_b32_e32 v5, 0
	v_lshl_add_u32 v1, v6, 5, s21
	buffer_load_dword v6, off, s[0:3], s32 offset:2316 ; 4-byte Folded Reload
	ds_bpermute_b32 v0, v5, v0
	v_min_i32_e32 v1, v1, v78
	v_subrev_nc_u32_e32 v1, s21, v1
	s_waitcnt vmcnt(0)
	v_cmp_lt_i32_e64 s6, v6, v1
	s_and_saveexec_b32 s9, s6
	s_cbranch_execz .LBB257_1553
; %bb.1550:
	buffer_load_dword v7, off, s[0:3], s32 offset:2316 ; 4-byte Folded Reload
	s_getpc_b64 s[22:23]
	s_add_u32 s22, s22, llvm.amdgcn.dynlds.offset.table@rel32@lo+4
	s_addc_u32 s23, s23, llvm.amdgcn.dynlds.offset.table@rel32@hi+12
	s_ashr_i32 s19, s18, 31
	v_mov_b32_e32 v5, 0
	s_lshl_b64 s[24:25], s[18:19], 2
	s_mov_b32 s15, 0
	s_add_u32 s22, s22, s24
	s_addc_u32 s23, s23, s25
	s_load_dword s7, s[22:23], 0x0
	s_waitcnt vmcnt(0) lgkmcnt(0)
	v_lshl_add_u32 v6, v7, 2, s7
	.p2align	6
.LBB257_1551:                           ; =>This Inner Loop Header: Depth=1
	ds_read_b32 v8, v6
	v_add_nc_u32_e32 v7, 0x80, v7
	v_cmp_ge_i32_e64 s7, v7, v1
	s_or_b32 s15, s7, s15
	s_waitcnt lgkmcnt(0)
	v_sub_f32_e32 v8, v8, v0
	v_mul_f32_e32 v8, 0x3fb8aa3b, v8
	v_exp_f32_e32 v8, v8
	ds_write_b32 v6, v8
	v_add_f32_e32 v5, v5, v8
	v_add_nc_u32_e32 v6, 0x200, v6
	s_andn2_b32 exec_lo, exec_lo, s15
	s_cbranch_execnz .LBB257_1551
; %bb.1552:
	s_or_b32 exec_lo, exec_lo, s15
.LBB257_1553:
	s_or_b32 exec_lo, exec_lo, s9
	ds_bpermute_b32 v2, v2, v5
	s_waitcnt lgkmcnt(0)
	v_add_f32_e32 v2, v5, v2
	ds_bpermute_b32 v3, v3, v2
	s_waitcnt lgkmcnt(0)
	v_add_f32_e32 v2, v2, v3
	;; [unrolled: 3-line block ×5, first 2 shown]
	s_and_saveexec_b32 s7, vcc_lo
; %bb.1554:
	ds_write_b32 v4, v2 offset:784
; %bb.1555:
	s_or_b32 exec_lo, exec_lo, s7
	s_waitcnt lgkmcnt(0)
	s_barrier
	buffer_gl0_inv
	s_and_saveexec_b32 s7, s5
; %bb.1556:
	ds_read_b32 v2, v16 offset:784
; %bb.1557:
	s_or_b32 exec_lo, exec_lo, s7
	s_waitcnt lgkmcnt(0)
	ds_bpermute_b32 v3, v12, v2
	s_waitcnt lgkmcnt(0)
	v_add_f32_e32 v2, v2, v3
	ds_bpermute_b32 v3, v9, v2
	s_waitcnt lgkmcnt(0)
	v_add_f32_e32 v2, v2, v3
	v_mov_b32_e32 v3, 0
	ds_bpermute_b32 v2, v3, v2
	s_and_saveexec_b32 s5, s6
	s_cbranch_execz .LBB257_1560
; %bb.1558:
	s_waitcnt lgkmcnt(0)
	v_add_f32_e32 v4, 0x358637bd, v2
	s_getpc_b64 s[6:7]
	s_add_u32 s6, s6, llvm.amdgcn.dynlds.offset.table@rel32@lo+4
	s_addc_u32 s7, s7, llvm.amdgcn.dynlds.offset.table@rel32@hi+12
	s_ashr_i32 s19, s18, 31
	s_lshl_b64 s[22:23], s[18:19], 2
	v_div_scale_f32 v3, null, v4, v4, 1.0
	v_div_scale_f32 v7, vcc_lo, 1.0, v4, 1.0
	s_add_u32 s6, s6, s22
	v_rcp_f32_e32 v5, v3
	s_addc_u32 s7, s7, s23
	s_load_dword s6, s[6:7], 0x0
	v_fma_f32 v6, -v3, v5, 1.0
	v_fmac_f32_e32 v5, v6, v5
	v_mul_f32_e32 v6, v7, v5
	v_fma_f32 v8, -v3, v6, v7
	v_fmac_f32_e32 v6, v8, v5
	v_fma_f32 v3, -v3, v6, v7
	v_div_fmas_f32 v5, v3, v5, v6
	buffer_load_dword v6, off, s[0:3], s32 offset:2316 ; 4-byte Folded Reload
	v_div_fixup_f32 v4, v5, v4, 1.0
	s_waitcnt vmcnt(0) lgkmcnt(0)
	v_lshl_add_u32 v3, v6, 2, s6
	v_mov_b32_e32 v5, v6
	s_mov_b32 s6, 0
.LBB257_1559:                           ; =>This Inner Loop Header: Depth=1
	ds_read_b32 v6, v3
	v_add_nc_u32_e32 v5, 0x80, v5
	v_cmp_ge_i32_e32 vcc_lo, v5, v1
	s_or_b32 s6, vcc_lo, s6
	s_waitcnt lgkmcnt(0)
	v_mul_f32_e32 v6, v4, v6
	ds_write_b32 v3, v6
	v_add_nc_u32_e32 v3, 0x200, v3
	s_andn2_b32 exec_lo, exec_lo, s6
	s_cbranch_execnz .LBB257_1559
.LBB257_1560:
	s_or_b32 exec_lo, exec_lo, s5
	buffer_load_dword v1, off, s[0:3], s32 offset:2316 ; 4-byte Folded Reload
	s_and_b32 s5, 0xffff, s13
	s_mov_b32 s6, exec_lo
	s_cmp_lg_u32 s5, 0
	s_waitcnt vmcnt(0) lgkmcnt(0)
	s_cselect_b32 s5, -1, 0
	s_barrier
	s_cmp_lg_u32 s5, 0
	buffer_gl0_inv
	s_addc_u32 s5, s8, 0
	v_cmpx_eq_u32_e32 0, v1
	s_cbranch_execz .LBB257_1562
; %bb.1561:
	s_mul_i32 s7, s5, s10
	s_mul_i32 s12, s5, s12
	;; [unrolled: 1-line block ×3, first 2 shown]
	s_ashr_i32 s13, s12, 31
	s_ashr_i32 s9, s8, 31
	s_lshl_b64 s[12:13], s[12:13], 2
	s_lshl_b64 s[8:9], s[8:9], 2
	s_ashr_i32 s15, s14, 31
	v_add_co_u32 v1, vcc_lo, v30, s8
	v_add_co_ci_u32_e64 v3, null, s9, v25, vcc_lo
	v_add_co_u32 v1, vcc_lo, v1, s12
	v_add_co_ci_u32_e64 v4, null, s13, v3, vcc_lo
	;; [unrolled: 2-line block ×3, first 2 shown]
	s_lshl_b64 s[8:9], s[14:15], 2
	v_add_co_u32 v6, vcc_lo, v3, s12
	v_add_co_ci_u32_e64 v7, null, s13, v5, vcc_lo
	v_add_co_u32 v3, vcc_lo, v1, s8
	v_add_co_ci_u32_e64 v4, null, s9, v4, vcc_lo
	;; [unrolled: 2-line block ×3, first 2 shown]
	flat_store_dword v[3:4], v0
	flat_store_dword v[5:6], v2
.LBB257_1562:
	s_or_b32 exec_lo, exec_lo, s6
	s_and_saveexec_b32 s6, s4
	s_xor_b32 s4, exec_lo, s6
; %bb.1563:
	s_ashr_i32 s19, s18, 31
                                        ; implicit-def: $vgpr0
                                        ; implicit-def: $vgpr78
                                        ; implicit-def: $vgpr13
                                        ; kill: killed $vgpr0
                                        ; implicit-def: $vgpr28
                                        ; implicit-def: $vgpr10
                                        ; implicit-def: $vgpr11
                                        ; implicit-def: $vgpr14
                                        ; implicit-def: $vgpr15
                                        ; implicit-def: $vgpr0
                                        ; kill: killed $vgpr0
                                        ; implicit-def: $vgpr26_vgpr27
                                        ; implicit-def: $vgpr19
                                        ; implicit-def: $vgpr20
                                        ; implicit-def: $vgpr17_vgpr18
; %bb.1564:
	s_or_saveexec_b32 s6, s4
	buffer_store_dword v12, off, s[0:3], s32 offset:1336 ; 4-byte Folded Spill
	buffer_store_dword v9, off, s[0:3], s32 offset:1332 ; 4-byte Folded Spill
	buffer_load_dword v2, off, s[0:3], s32 offset:2316 ; 4-byte Folded Reload
	v_mov_b32_e32 v0, s18
	v_mov_b32_e32 v9, 0
	;; [unrolled: 1-line block ×49, first 2 shown]
	s_waitcnt vmcnt(0)
	v_and_b32_e32 v66, 7, v2
	v_mov_b32_e32 v2, 0
	s_xor_b32 exec_lo, exec_lo, s6
	s_cbranch_execz .LBB257_3200
; %bb.1565:
	buffer_load_dword v0, off, s[0:3], s32 offset:2316 ; 4-byte Folded Reload
	buffer_store_dword v65, off, s[0:3], s32 offset:1340 ; 4-byte Folded Spill
	flat_load_dword v40, v[26:27]
	v_mov_b32_e32 v5, 0
	s_ashr_i32 s19, s18, 31
	s_getpc_b64 s[8:9]
	s_add_u32 s8, s8, llvm.amdgcn.dynlds.offset.table@rel32@lo+4
	s_addc_u32 s9, s9, llvm.amdgcn.dynlds.offset.table@rel32@hi+12
	s_lshl_b64 s[12:13], s[18:19], 2
	v_lshlrev_b32_e32 v4, 4, v66
	s_add_u32 s8, s8, s12
	s_addc_u32 s9, s9, s13
	v_mov_b32_e32 v9, 0
	v_mov_b32_e32 v42, 0x80
	v_mov_b32_e32 v44, 0xff
	v_mov_b32_e32 v115, 0
	v_mov_b32_e32 v46, 0
	v_mov_b32_e32 v118, 0
	v_mov_b32_e32 v119, 0
	v_mov_b32_e32 v16, 0
	s_mov_b32 s7, 0
	s_waitcnt vmcnt(1)
	v_lshlrev_b32_e32 v2, 2, v0
	v_add_co_u32 v0, vcc_lo, v10, v19
	v_add_co_ci_u32_e64 v1, null, v11, v20, vcc_lo
	v_and_b32_e32 v7, 0x7c, v2
	v_bfrev_b32_e32 v11, 1
	buffer_store_dword v0, off, s[0:3], s32 offset:1312 ; 4-byte Folded Spill
	buffer_store_dword v1, off, s[0:3], s32 offset:1316 ; 4-byte Folded Spill
	buffer_load_dword v6, off, s[0:3], s32 offset:2324 ; 4-byte Folded Reload
	buffer_store_dword v5, off, s[0:3], s32 offset:960 ; 4-byte Folded Spill
	v_mov_b32_e32 v5, 0
	s_load_dword s4, s[8:9], 0x0
	v_add_nc_u32_e32 v0, -1, v13
	v_mov_b32_e32 v13, 0x7f800001
	s_waitcnt vmcnt(1) lgkmcnt(0)
	v_mov_b32_e32 v60, v40
	buffer_store_dword v5, off, s[0:3], s32 offset:968 ; 4-byte Folded Spill
	v_mov_b32_e32 v5, 0
	buffer_store_dword v0, off, s[0:3], s32 offset:1320 ; 4-byte Folded Spill
	v_lshlrev_b64 v[0:1], 2, v[28:29]
	buffer_store_dword v66, off, s[0:3], s32 offset:1344 ; 4-byte Folded Spill
	buffer_store_dword v7, off, s[0:3], s32 offset:1324 ; 4-byte Folded Spill
	;; [unrolled: 1-line block ×3, first 2 shown]
	v_mov_b32_e32 v5, 0
	v_add_co_u32 v0, vcc_lo, v17, v0
	v_add_co_ci_u32_e64 v1, null, v18, v1, vcc_lo
	buffer_store_dword v5, off, s[0:3], s32 offset:984 ; 4-byte Folded Spill
	v_mov_b32_e32 v5, 0
	v_add_co_u32 v116, vcc_lo, v14, v0
	v_add_co_ci_u32_e64 v117, null, v15, v1, vcc_lo
	buffer_store_dword v5, off, s[0:3], s32 offset:992 ; 4-byte Folded Spill
	v_mov_b32_e32 v5, 0
	v_mov_b32_e32 v0, 0
	buffer_store_dword v5, off, s[0:3], s32 offset:1000 ; 4-byte Folded Spill
	v_mov_b32_e32 v5, 0
	buffer_store_dword v0, off, s[0:3], s32 offset:1304 ; 4-byte Folded Spill
	buffer_store_dword v5, off, s[0:3], s32 offset:1008 ; 4-byte Folded Spill
	v_mov_b32_e32 v5, 0
	buffer_store_dword v5, off, s[0:3], s32 offset:1016 ; 4-byte Folded Spill
	v_mov_b32_e32 v5, 0
	;; [unrolled: 2-line block ×35, first 2 shown]
	buffer_store_dword v5, off, s[0:3], s32 offset:1296 ; 4-byte Folded Spill
	v_and_b32_e32 v5, 28, v2
	v_or_b32_e32 v2, 0xf80, v2
	buffer_store_dword v2, off, s[0:3], s32 offset:1328 ; 4-byte Folded Spill
	s_waitcnt vmcnt(0)
	v_lshl_add_u32 v3, v6, 5, s21
	v_lshl_or_b32 v2, v6, 7, v4
	v_add3_u32 v58, v3, v5, 3
	v_add_nc_u32_e32 v59, s4, v2
	s_branch .LBB257_1567
.LBB257_1566:                           ;   in Loop: Header=BB257_1567 Depth=1
	s_or_b32 exec_lo, exec_lo, s4
	v_mul_f32_e32 v7, v1, v7
	buffer_load_dword v16, off, s[0:3], s32 offset:960 ; 4-byte Folded Reload
	v_mul_f32_e32 v12, v1, v113
	v_add_co_u32 v116, vcc_lo, v116, 16
	v_fmac_f32_e32 v7, v0, v6
	buffer_load_dword v6, off, s[0:3], s32 offset:1064 ; 4-byte Folded Reload
	v_fmac_f32_e32 v12, v0, v112
	v_add_co_ci_u32_e64 v117, null, 0, v117, vcc_lo
	v_fmac_f32_e32 v7, v2, v25
	v_add_nc_u32_e32 v58, 0x80, v58
	v_fmac_f32_e32 v12, v2, v23
	v_add_nc_u32_e32 v59, 0x200, v59
	v_fmac_f32_e32 v7, v3, v24
	v_fmac_f32_e32 v12, v3, v22
	v_add_f32_e32 v46, v46, v12
	v_mul_f32_e32 v12, v1, v103
	v_fmac_f32_e32 v12, v0, v102
	v_fmac_f32_e32 v12, v2, v101
	v_fmac_f32_e32 v12, v3, v100
	v_add_f32_e32 v118, v118, v12
	v_mul_f32_e32 v12, v1, v99
	v_fmac_f32_e32 v12, v0, v98
	;; [unrolled: 5-line block ×3, first 2 shown]
	v_fmac_f32_e32 v12, v2, v85
	v_fmac_f32_e32 v12, v3, v84
	s_waitcnt vmcnt(0)
	v_add_f32_e32 v6, v6, v7
	buffer_load_dword v7, off, s[0:3], s32 offset:1072 ; 4-byte Folded Reload
	buffer_store_dword v6, off, s[0:3], s32 offset:1064 ; 4-byte Folded Spill
	v_mul_f32_e32 v6, v1, v57
	v_fmac_f32_e32 v6, v0, v56
	v_fmac_f32_e32 v6, v2, v27
	v_fmac_f32_e32 v6, v3, v26
	s_waitcnt vmcnt(0)
	v_add_f32_e32 v7, v7, v6
	v_mul_f32_e32 v6, v1, v41
	buffer_store_dword v7, off, s[0:3], s32 offset:1072 ; 4-byte Folded Spill
	buffer_load_dword v7, off, s[0:3], s32 offset:1080 ; 4-byte Folded Reload
	v_fmac_f32_e32 v6, v0, v127
	v_fmac_f32_e32 v6, v2, v31
	v_fmac_f32_e32 v6, v3, v126
	s_waitcnt vmcnt(0)
	v_add_f32_e32 v7, v7, v6
	v_mul_f32_e32 v6, v1, v124
	buffer_store_dword v7, off, s[0:3], s32 offset:1080 ; 4-byte Folded Spill
	buffer_load_dword v7, off, s[0:3], s32 offset:1088 ; 4-byte Folded Reload
	;; [unrolled: 8-line block ×5, first 2 shown]
	v_fmac_f32_e32 v6, v0, v15
	v_fmac_f32_e32 v6, v2, v95
	;; [unrolled: 1-line block ×3, first 2 shown]
	s_waitcnt vmcnt(0)
	v_add_f32_e32 v7, v7, v6
	buffer_load_dword v6, off, s[0:3], s32 offset:952 ; 4-byte Folded Reload
	buffer_store_dword v7, off, s[0:3], s32 offset:1112 ; 4-byte Folded Spill
	buffer_load_dword v7, off, s[0:3], s32 offset:944 ; 4-byte Folded Reload
	s_waitcnt vmcnt(1)
	v_mul_f32_e32 v6, v1, v6
	s_waitcnt vmcnt(0)
	v_fmac_f32_e32 v6, v0, v7
	buffer_load_dword v7, off, s[0:3], s32 offset:936 ; 4-byte Folded Reload
	s_waitcnt vmcnt(0)
	v_fmac_f32_e32 v6, v2, v7
	buffer_load_dword v7, off, s[0:3], s32 offset:928 ; 4-byte Folded Reload
	s_waitcnt vmcnt(0)
	v_fmac_f32_e32 v6, v3, v7
	buffer_load_dword v7, off, s[0:3], s32 offset:1120 ; 4-byte Folded Reload
	s_waitcnt vmcnt(0)
	v_add_f32_e32 v7, v7, v6
	buffer_load_dword v6, off, s[0:3], s32 offset:920 ; 4-byte Folded Reload
	buffer_store_dword v7, off, s[0:3], s32 offset:1120 ; 4-byte Folded Spill
	buffer_load_dword v7, off, s[0:3], s32 offset:912 ; 4-byte Folded Reload
	s_waitcnt vmcnt(1)
	v_mul_f32_e32 v6, v1, v6
	s_waitcnt vmcnt(0)
	v_fmac_f32_e32 v6, v0, v7
	buffer_load_dword v7, off, s[0:3], s32 offset:904 ; 4-byte Folded Reload
	s_waitcnt vmcnt(0)
	v_fmac_f32_e32 v6, v2, v7
	buffer_load_dword v7, off, s[0:3], s32 offset:896 ; 4-byte Folded Reload
	s_waitcnt vmcnt(0)
	v_fmac_f32_e32 v6, v3, v7
	buffer_load_dword v7, off, s[0:3], s32 offset:1128 ; 4-byte Folded Reload
	;; [unrolled: 16-line block ×7, first 2 shown]
	s_waitcnt vmcnt(0)
	v_add_f32_e32 v7, v7, v6
	buffer_load_dword v6, off, s[0:3], s32 offset:728 ; 4-byte Folded Reload
	buffer_store_dword v7, off, s[0:3], s32 offset:1168 ; 4-byte Folded Spill
	buffer_load_dword v7, off, s[0:3], s32 offset:720 ; 4-byte Folded Reload
	s_waitcnt vmcnt(1)
	v_mul_f32_e32 v6, v1, v6
	s_waitcnt vmcnt(0)
	v_fmac_f32_e32 v6, v0, v7
	buffer_load_dword v7, off, s[0:3], s32 offset:712 ; 4-byte Folded Reload
	s_waitcnt vmcnt(0)
	v_fmac_f32_e32 v6, v2, v7
	buffer_load_dword v7, off, s[0:3], s32 offset:704 ; 4-byte Folded Reload
	v_add_f32_e32 v16, v16, v12
	v_mul_f32_e32 v12, v1, v83
	buffer_store_dword v16, off, s[0:3], s32 offset:960 ; 4-byte Folded Spill
	buffer_load_dword v16, off, s[0:3], s32 offset:968 ; 4-byte Folded Reload
	v_fmac_f32_e32 v12, v0, v82
	v_fmac_f32_e32 v12, v2, v81
	;; [unrolled: 1-line block ×3, first 2 shown]
	s_waitcnt vmcnt(1)
	v_fmac_f32_e32 v6, v3, v7
	buffer_load_dword v7, off, s[0:3], s32 offset:688 ; 4-byte Folded Reload
	s_waitcnt vmcnt(1)
	v_add_f32_e32 v16, v16, v12
	v_mul_f32_e32 v12, v1, v71
	buffer_store_dword v16, off, s[0:3], s32 offset:968 ; 4-byte Folded Spill
	buffer_load_dword v16, off, s[0:3], s32 offset:976 ; 4-byte Folded Reload
	v_fmac_f32_e32 v12, v0, v70
	v_fmac_f32_e32 v12, v2, v69
	v_fmac_f32_e32 v12, v3, v68
	s_waitcnt vmcnt(0)
	v_add_f32_e32 v16, v16, v12
	v_mul_f32_e32 v12, v1, v67
	buffer_store_dword v16, off, s[0:3], s32 offset:976 ; 4-byte Folded Spill
	buffer_load_dword v16, off, s[0:3], s32 offset:984 ; 4-byte Folded Reload
	v_fmac_f32_e32 v12, v0, v66
	v_fmac_f32_e32 v12, v2, v65
	v_fmac_f32_e32 v12, v3, v64
	;; [unrolled: 8-line block ×4, first 2 shown]
	s_waitcnt vmcnt(0)
	v_add_f32_e32 v16, v16, v12
	v_mul_f32_e32 v12, v1, v14
	buffer_load_dword v14, off, s[0:3], s32 offset:1008 ; 4-byte Folded Reload
	buffer_store_dword v16, off, s[0:3], s32 offset:1000 ; 4-byte Folded Spill
	buffer_load_dword v16, off, s[0:3], s32 offset:1308 ; 4-byte Folded Reload
	v_fmac_f32_e32 v12, v0, v38
	v_fmac_f32_e32 v12, v2, v37
	v_fmac_f32_e32 v12, v3, v36
	s_waitcnt vmcnt(0)
	v_add_f32_e32 v16, v16, v6
	buffer_load_dword v6, off, s[0:3], s32 offset:696 ; 4-byte Folded Reload
	s_waitcnt vmcnt(0)
	v_mul_f32_e32 v6, v1, v6
	v_fmac_f32_e32 v6, v0, v7
	buffer_load_dword v7, off, s[0:3], s32 offset:680 ; 4-byte Folded Reload
	s_waitcnt vmcnt(0)
	v_fmac_f32_e32 v6, v2, v7
	buffer_load_dword v7, off, s[0:3], s32 offset:672 ; 4-byte Folded Reload
	s_waitcnt vmcnt(0)
	v_fmac_f32_e32 v6, v3, v7
	buffer_load_dword v7, off, s[0:3], s32 offset:1176 ; 4-byte Folded Reload
	s_waitcnt vmcnt(0)
	v_add_f32_e32 v7, v7, v6
	buffer_load_dword v6, off, s[0:3], s32 offset:664 ; 4-byte Folded Reload
	buffer_store_dword v7, off, s[0:3], s32 offset:1176 ; 4-byte Folded Spill
	buffer_load_dword v7, off, s[0:3], s32 offset:656 ; 4-byte Folded Reload
	s_waitcnt vmcnt(1)
	v_mul_f32_e32 v6, v1, v6
	s_waitcnt vmcnt(0)
	v_fmac_f32_e32 v6, v0, v7
	buffer_load_dword v7, off, s[0:3], s32 offset:648 ; 4-byte Folded Reload
	s_waitcnt vmcnt(0)
	v_fmac_f32_e32 v6, v2, v7
	buffer_load_dword v7, off, s[0:3], s32 offset:640 ; 4-byte Folded Reload
	s_waitcnt vmcnt(0)
	v_fmac_f32_e32 v6, v3, v7
	buffer_load_dword v7, off, s[0:3], s32 offset:1184 ; 4-byte Folded Reload
	s_waitcnt vmcnt(0)
	v_add_f32_e32 v7, v7, v6
	buffer_load_dword v6, off, s[0:3], s32 offset:632 ; 4-byte Folded Reload
	buffer_store_dword v7, off, s[0:3], s32 offset:1184 ; 4-byte Folded Spill
	buffer_load_dword v7, off, s[0:3], s32 offset:624 ; 4-byte Folded Reload
	s_waitcnt vmcnt(1)
	v_mul_f32_e32 v6, v1, v6
	s_waitcnt vmcnt(0)
	;; [unrolled: 16-line block ×15, first 2 shown]
	v_fmac_f32_e32 v6, v0, v7
	buffer_load_dword v7, off, s[0:3], s32 offset:200 ; 4-byte Folded Reload
	s_waitcnt vmcnt(0)
	v_fmac_f32_e32 v6, v2, v7
	buffer_load_dword v7, off, s[0:3], s32 offset:192 ; 4-byte Folded Reload
	v_add_f32_e32 v14, v14, v12
	v_mul_f32_e32 v12, v1, v35
	buffer_store_dword v14, off, s[0:3], s32 offset:1008 ; 4-byte Folded Spill
	buffer_load_dword v14, off, s[0:3], s32 offset:1016 ; 4-byte Folded Reload
	v_fmac_f32_e32 v12, v0, v34
	v_fmac_f32_e32 v12, v2, v33
	;; [unrolled: 1-line block ×3, first 2 shown]
	s_waitcnt vmcnt(1)
	v_fmac_f32_e32 v6, v3, v7
	buffer_load_dword v7, off, s[0:3], s32 offset:1304 ; 4-byte Folded Reload
	s_waitcnt vmcnt(1)
	v_add_f32_e32 v14, v14, v12
	v_mul_f32_e32 v12, v1, v93
	buffer_store_dword v14, off, s[0:3], s32 offset:1016 ; 4-byte Folded Spill
	buffer_load_dword v14, off, s[0:3], s32 offset:1024 ; 4-byte Folded Reload
	v_fmac_f32_e32 v12, v0, v92
	v_fmac_f32_e32 v12, v2, v88
	;; [unrolled: 1-line block ×3, first 2 shown]
	s_waitcnt vmcnt(1)
	v_add_f32_e32 v7, v7, v6
	buffer_store_dword v7, off, s[0:3], s32 offset:1304 ; 4-byte Folded Spill
	s_waitcnt vmcnt(0)
	v_add_f32_e32 v14, v14, v12
	v_mul_f32_e32 v12, v1, v125
	buffer_store_dword v14, off, s[0:3], s32 offset:1024 ; 4-byte Folded Spill
	buffer_load_dword v14, off, s[0:3], s32 offset:1032 ; 4-byte Folded Reload
	v_fmac_f32_e32 v12, v0, v45
	v_fmac_f32_e32 v12, v2, v43
	v_fmac_f32_e32 v12, v3, v105
	s_waitcnt vmcnt(0)
	v_add_f32_e32 v14, v14, v12
	v_mul_f32_e32 v12, v1, v77
	buffer_store_dword v14, off, s[0:3], s32 offset:1032 ; 4-byte Folded Spill
	buffer_load_dword v14, off, s[0:3], s32 offset:1040 ; 4-byte Folded Reload
	v_fmac_f32_e32 v12, v0, v76
	v_fmac_f32_e32 v12, v2, v75
	v_fmac_f32_e32 v12, v3, v74
	s_waitcnt vmcnt(0)
	v_add_f32_e32 v14, v14, v12
	v_mul_f32_e32 v12, v1, v73
	buffer_store_dword v14, off, s[0:3], s32 offset:1040 ; 4-byte Folded Spill
	buffer_load_dword v14, off, s[0:3], s32 offset:1048 ; 4-byte Folded Reload
	v_fmac_f32_e32 v12, v0, v72
	v_fmac_f32_e32 v12, v2, v29
	v_fmac_f32_e32 v12, v3, v63
	s_waitcnt vmcnt(0)
	v_add_f32_e32 v14, v14, v12
	v_mul_f32_e32 v12, v1, v62
	v_mul_f32_e32 v1, v1, v10
	buffer_store_dword v14, off, s[0:3], s32 offset:1048 ; 4-byte Folded Spill
	buffer_load_dword v14, off, s[0:3], s32 offset:1056 ; 4-byte Folded Reload
	v_fmac_f32_e32 v12, v0, v61
	v_fmac_f32_e32 v1, v0, v8
	;; [unrolled: 1-line block ×6, first 2 shown]
	v_add_f32_e32 v115, v115, v1
	s_waitcnt vmcnt(0)
	v_add_f32_e32 v14, v14, v12
	buffer_store_dword v14, off, s[0:3], s32 offset:1056 ; 4-byte Folded Spill
	s_clause 0x2
	buffer_load_dword v14, off, s[0:3], s32 offset:1284
	buffer_load_dword v15, off, s[0:3], s32 offset:1288
	;; [unrolled: 1-line block ×3, first 2 shown]
	s_waitcnt vmcnt(2)
	v_mov_b32_e32 v28, v14
	v_add_nc_u32_e32 v28, 4, v28
	s_waitcnt vmcnt(0)
	v_cmp_ge_i32_e32 vcc_lo, v28, v0
	s_or_b32 s7, vcc_lo, s7
	s_andn2_b32 exec_lo, exec_lo, s7
	s_cbranch_execz .LBB257_3199
.LBB257_1567:                           ; =>This Inner Loop Header: Depth=1
	buffer_store_dword v16, off, s[0:3], s32 offset:1308 ; 4-byte Folded Spill
	flat_load_dword v0, v[116:117]
	s_clause 0x2
	buffer_load_dword v1, off, s[0:3], s32 offset:1276
	buffer_load_dword v2, off, s[0:3], s32 offset:1312
	;; [unrolled: 1-line block ×3, first 2 shown]
	v_mov_b32_e32 v20, 0
	v_mov_b32_e32 v18, 0
	;; [unrolled: 1-line block ×4, first 2 shown]
	s_waitcnt vmcnt(0) lgkmcnt(0)
	v_mad_i64_i32 v[16:17], null, v0, v1, v[2:3]
	buffer_load_dword v0, off, s[0:3], s32 offset:1324 ; 4-byte Folded Reload
	s_waitcnt vmcnt(0)
	v_add_co_u32 v4, vcc_lo, v16, v0
	v_add_co_ci_u32_e64 v5, null, 0, v17, vcc_lo
	ds_read_b128 v[0:3], v59
	flat_load_dword v6, v[4:5]
	s_waitcnt vmcnt(0) lgkmcnt(0)
	v_cmp_ne_u16_sdwa s8, v6, v9 src0_sel:BYTE_0 src1_sel:DWORD
	s_and_saveexec_b32 s4, s8
	s_cbranch_execz .LBB257_1575
; %bb.1568:                             ;   in Loop: Header=BB257_1567 Depth=1
	v_bfrev_b32_e32 v18, 1
	v_mov_b32_e32 v19, 0
	v_cmp_ne_u16_sdwa s9, v6, v42 src0_sel:BYTE_0 src1_sel:DWORD
	s_and_saveexec_b32 s8, s9
	s_cbranch_execz .LBB257_1574
; %bb.1569:                             ;   in Loop: Header=BB257_1567 Depth=1
	v_mov_b32_e32 v18, 0x7f800001
	v_and_b32_e32 v10, 0x7f, v6
	v_mov_b32_e32 v19, 0
	s_mov_b32 s9, exec_lo
	v_cmpx_ne_u32_e32 0x7f, v10
	s_cbranch_execz .LBB257_1573
; %bb.1570:                             ;   in Loop: Header=BB257_1567 Depth=1
	v_and_b32_e32 v8, 7, v6
	v_lshrrev_b32_e32 v7, 3, v10
	s_mov_b32 s12, exec_lo
	v_cmpx_gt_u32_e32 8, v10
; %bb.1571:                             ;   in Loop: Header=BB257_1567 Depth=1
	v_ffbh_u32_e32 v7, v8
	v_min_u32_e32 v7, 32, v7
	v_subrev_nc_u32_e32 v10, 28, v7
	v_sub_nc_u32_e32 v7, 29, v7
	v_lshlrev_b64 v[18:19], v10, v[8:9]
	v_and_b32_e32 v8, 7, v18
; %bb.1572:                             ;   in Loop: Header=BB257_1567 Depth=1
	s_or_b32 exec_lo, exec_lo, s12
	v_lshlrev_b32_e32 v10, 24, v6
	v_lshlrev_b32_e32 v8, 20, v8
	v_lshl_add_u32 v7, v7, 23, 0x3c000000
	v_and_b32_e32 v10, 0x80000000, v10
	v_or3_b32 v8, v8, v10, v7
	v_mov_b32_e32 v19, v9
	v_mov_b32_e32 v18, v8
.LBB257_1573:                           ;   in Loop: Header=BB257_1567 Depth=1
	s_or_b32 exec_lo, exec_lo, s9
.LBB257_1574:                           ;   in Loop: Header=BB257_1567 Depth=1
	s_or_b32 exec_lo, exec_lo, s8
.LBB257_1575:                           ;   in Loop: Header=BB257_1567 Depth=1
	s_or_b32 exec_lo, exec_lo, s4
	v_cmp_ne_u16_sdwa s8, v6, v9 src0_sel:BYTE_1 src1_sel:DWORD
	s_and_saveexec_b32 s4, s8
	s_cbranch_execz .LBB257_1583
; %bb.1576:                             ;   in Loop: Header=BB257_1567 Depth=1
	v_mov_b32_e32 v10, v9
	v_mov_b32_e32 v21, v11
	v_cmp_ne_u16_sdwa s9, v6, v42 src0_sel:BYTE_1 src1_sel:DWORD
	v_mov_b32_e32 v20, v10
	s_and_saveexec_b32 s8, s9
	s_cbranch_execz .LBB257_1582
; %bb.1577:                             ;   in Loop: Header=BB257_1567 Depth=1
	v_mov_b32_e32 v7, 0xffff
	v_mov_b32_e32 v12, v9
	;; [unrolled: 1-line block ×3, first 2 shown]
	s_mov_b32 s9, exec_lo
	v_and_b32_sdwa v7, v7, v6 dst_sel:DWORD dst_unused:UNUSED_PAD src0_sel:DWORD src1_sel:BYTE_1
	v_mov_b32_e32 v20, v12
	v_and_b32_e32 v10, 0x7f, v7
	v_cmpx_ne_u32_e32 0x7f, v10
	s_cbranch_execz .LBB257_1581
; %bb.1578:                             ;   in Loop: Header=BB257_1567 Depth=1
	v_and_b32_e32 v8, 7, v7
	v_lshrrev_b32_e32 v7, 3, v10
	s_mov_b32 s12, exec_lo
	v_cmpx_gt_u32_e32 8, v10
; %bb.1579:                             ;   in Loop: Header=BB257_1567 Depth=1
	v_ffbh_u32_e32 v7, v8
	v_min_u32_e32 v7, 32, v7
	v_subrev_nc_u32_e32 v10, 28, v7
	v_sub_nc_u32_e32 v7, 29, v7
	v_lshlrev_b64 v[20:21], v10, v[8:9]
	v_and_b32_e32 v8, 7, v20
; %bb.1580:                             ;   in Loop: Header=BB257_1567 Depth=1
	s_or_b32 exec_lo, exec_lo, s12
	v_lshlrev_b32_e32 v10, 16, v6
	v_lshlrev_b32_e32 v8, 20, v8
	v_lshl_add_u32 v7, v7, 23, 0x3c000000
	v_mov_b32_e32 v20, v9
	v_and_b32_e32 v10, 0x80000000, v10
	v_or3_b32 v21, v8, v10, v7
.LBB257_1581:                           ;   in Loop: Header=BB257_1567 Depth=1
	s_or_b32 exec_lo, exec_lo, s9
.LBB257_1582:                           ;   in Loop: Header=BB257_1567 Depth=1
	s_or_b32 exec_lo, exec_lo, s8
.LBB257_1583:                           ;   in Loop: Header=BB257_1567 Depth=1
	s_or_b32 exec_lo, exec_lo, s4
	v_mov_b32_e32 v24, 0
	v_mov_b32_e32 v22, 0
	v_and_b32_sdwa v7, v6, v44 dst_sel:DWORD dst_unused:UNUSED_PAD src0_sel:WORD_1 src1_sel:DWORD
	v_mov_b32_e32 v25, 0
	v_mov_b32_e32 v23, 0
	s_mov_b32 s4, exec_lo
	v_cmpx_ne_u16_e32 0, v7
	s_cbranch_execz .LBB257_1591
; %bb.1584:                             ;   in Loop: Header=BB257_1567 Depth=1
	v_bfrev_b32_e32 v22, 1
	v_mov_b32_e32 v23, 0
	s_mov_b32 s8, exec_lo
	v_cmpx_ne_u16_e32 0x80, v7
	s_cbranch_execz .LBB257_1590
; %bb.1585:                             ;   in Loop: Header=BB257_1567 Depth=1
	v_mov_b32_e32 v22, 0x7f800001
	v_bfe_u32 v10, v6, 16, 7
	v_mov_b32_e32 v23, 0
	s_mov_b32 s9, exec_lo
	v_cmpx_ne_u32_e32 0x7f, v10
	s_cbranch_execz .LBB257_1589
; %bb.1586:                             ;   in Loop: Header=BB257_1567 Depth=1
	v_mov_b32_e32 v7, 7
	s_mov_b32 s12, exec_lo
	v_and_b32_sdwa v8, v6, v7 dst_sel:DWORD dst_unused:UNUSED_PAD src0_sel:WORD_1 src1_sel:DWORD
	v_lshrrev_b32_e32 v7, 3, v10
	v_cmpx_gt_u32_e32 8, v10
; %bb.1587:                             ;   in Loop: Header=BB257_1567 Depth=1
	v_ffbh_u32_e32 v7, v8
	v_min_u32_e32 v7, 32, v7
	v_subrev_nc_u32_e32 v10, 28, v7
	v_sub_nc_u32_e32 v7, 29, v7
	v_lshlrev_b64 v[22:23], v10, v[8:9]
	v_and_b32_e32 v8, 7, v22
; %bb.1588:                             ;   in Loop: Header=BB257_1567 Depth=1
	s_or_b32 exec_lo, exec_lo, s12
	v_mov_b32_e32 v10, 24
	v_lshlrev_b32_e32 v8, 20, v8
	v_lshl_add_u32 v7, v7, 23, 0x3c000000
	v_lshlrev_b32_sdwa v10, v10, v6 dst_sel:DWORD dst_unused:UNUSED_PAD src0_sel:DWORD src1_sel:WORD_1
	v_and_b32_e32 v10, 0x80000000, v10
	v_or3_b32 v8, v8, v10, v7
	v_mov_b32_e32 v23, v9
	v_mov_b32_e32 v22, v8
.LBB257_1589:                           ;   in Loop: Header=BB257_1567 Depth=1
	s_or_b32 exec_lo, exec_lo, s9
.LBB257_1590:                           ;   in Loop: Header=BB257_1567 Depth=1
	s_or_b32 exec_lo, exec_lo, s8
.LBB257_1591:                           ;   in Loop: Header=BB257_1567 Depth=1
	s_or_b32 exec_lo, exec_lo, s4
	s_mov_b32 s4, exec_lo
	v_cmpx_lt_u32_e32 0xffffff, v6
	s_cbranch_execz .LBB257_1599
; %bb.1592:                             ;   in Loop: Header=BB257_1567 Depth=1
	v_mov_b32_e32 v10, v9
	v_mov_b32_e32 v25, v11
	v_cmp_ne_u32_sdwa s9, v6, v42 src0_sel:BYTE_3 src1_sel:DWORD
	v_mov_b32_e32 v24, v10
	s_and_saveexec_b32 s8, s9
	s_cbranch_execz .LBB257_1598
; %bb.1593:                             ;   in Loop: Header=BB257_1567 Depth=1
	v_mov_b32_e32 v12, v9
	v_mov_b32_e32 v25, v13
	v_bfe_u32 v10, v6, 24, 7
	s_mov_b32 s9, exec_lo
	v_mov_b32_e32 v24, v12
	v_cmpx_ne_u32_e32 0x7f, v10
	s_cbranch_execz .LBB257_1597
; %bb.1594:                             ;   in Loop: Header=BB257_1567 Depth=1
	v_mov_b32_e32 v7, 7
	s_mov_b32 s12, exec_lo
	v_and_b32_sdwa v8, v6, v7 dst_sel:DWORD dst_unused:UNUSED_PAD src0_sel:BYTE_3 src1_sel:DWORD
	v_lshrrev_b32_e32 v7, 3, v10
	v_cmpx_gt_u32_e32 8, v10
; %bb.1595:                             ;   in Loop: Header=BB257_1567 Depth=1
	v_ffbh_u32_e32 v7, v8
	v_min_u32_e32 v7, 32, v7
	v_subrev_nc_u32_e32 v10, 28, v7
	v_sub_nc_u32_e32 v7, 29, v7
	v_lshlrev_b64 v[24:25], v10, v[8:9]
	v_and_b32_e32 v8, 7, v24
; %bb.1596:                             ;   in Loop: Header=BB257_1567 Depth=1
	s_or_b32 exec_lo, exec_lo, s12
	v_mov_b32_e32 v10, 24
	v_lshlrev_b32_e32 v8, 20, v8
	v_lshl_add_u32 v7, v7, 23, 0x3c000000
	v_mov_b32_e32 v24, v9
	v_lshlrev_b32_sdwa v6, v10, v6 dst_sel:DWORD dst_unused:UNUSED_PAD src0_sel:DWORD src1_sel:BYTE_3
	v_and_b32_e32 v6, 0x80000000, v6
	v_or3_b32 v25, v8, v6, v7
.LBB257_1597:                           ;   in Loop: Header=BB257_1567 Depth=1
	s_or_b32 exec_lo, exec_lo, s9
.LBB257_1598:                           ;   in Loop: Header=BB257_1567 Depth=1
	s_or_b32 exec_lo, exec_lo, s8
.LBB257_1599:                           ;   in Loop: Header=BB257_1567 Depth=1
	s_or_b32 exec_lo, exec_lo, s4
	v_mov_b32_e32 v12, v28
	v_or_b32_e32 v6, v21, v19
	v_or_b32_e32 v7, v20, v18
	v_or_b32_e32 v8, v24, v22
	v_or_b32_e32 v10, v25, v23
	buffer_store_dword v12, off, s[0:3], s32 offset:1284 ; 4-byte Folded Spill
	buffer_store_dword v13, off, s[0:3], s32 offset:1288 ; 4-byte Folded Spill
	buffer_load_dword v12, off, s[0:3], s32 offset:1320 ; 4-byte Folded Reload
	v_mul_f32_e32 v6, v60, v6
	v_add_nc_u32_e32 v89, -3, v58
	v_add_nc_u32_e32 v91, -2, v58
	;; [unrolled: 1-line block ×3, first 2 shown]
	buffer_store_dword v6, off, s[0:3], s32 offset:208 ; 4-byte Folded Spill
	v_mul_f32_e32 v6, v40, v7
	buffer_store_dword v6, off, s[0:3], s32 offset:216 ; 4-byte Folded Spill
	v_mul_f32_e32 v6, v40, v8
	buffer_store_dword v6, off, s[0:3], s32 offset:200 ; 4-byte Folded Spill
	v_mul_f32_e32 v6, v60, v10
	buffer_store_dword v6, off, s[0:3], s32 offset:192 ; 4-byte Folded Spill
	s_waitcnt vmcnt(0)
	v_cmp_eq_u32_e32 vcc_lo, v12, v28
	s_and_saveexec_b32 s8, vcc_lo
	s_cbranch_execz .LBB257_1601
; %bb.1600:                             ;   in Loop: Header=BB257_1567 Depth=1
	buffer_load_dword v6, off, s[0:3], s32 offset:216 ; 4-byte Folded Reload
	v_cmp_lt_i32_e64 s4, v89, v78
	s_waitcnt vmcnt(0)
	v_cndmask_b32_e64 v6, 0, v6, s4
	v_cmp_lt_i32_e64 s4, v91, v78
	buffer_store_dword v6, off, s[0:3], s32 offset:216 ; 4-byte Folded Spill
	buffer_load_dword v6, off, s[0:3], s32 offset:208 ; 4-byte Folded Reload
	s_waitcnt vmcnt(0)
	v_cndmask_b32_e64 v6, 0, v6, s4
	v_cmp_lt_i32_e64 s4, v90, v78
	buffer_store_dword v6, off, s[0:3], s32 offset:208 ; 4-byte Folded Spill
	buffer_load_dword v6, off, s[0:3], s32 offset:200 ; 4-byte Folded Reload
	;; [unrolled: 5-line block ×3, first 2 shown]
	s_waitcnt vmcnt(0)
	v_cndmask_b32_e64 v6, 0, v6, s4
	buffer_store_dword v6, off, s[0:3], s32 offset:192 ; 4-byte Folded Spill
.LBB257_1601:                           ;   in Loop: Header=BB257_1567 Depth=1
	s_or_b32 exec_lo, exec_lo, s8
	flat_load_dword v6, v[4:5] offset:128
	v_mov_b32_e32 v20, 0
	v_mov_b32_e32 v18, 0
	;; [unrolled: 1-line block ×4, first 2 shown]
	s_waitcnt vmcnt(0) lgkmcnt(0)
	v_cmp_ne_u16_sdwa s4, v6, v9 src0_sel:BYTE_0 src1_sel:DWORD
	s_and_saveexec_b32 s8, s4
	s_cbranch_execz .LBB257_1609
; %bb.1602:                             ;   in Loop: Header=BB257_1567 Depth=1
	v_bfrev_b32_e32 v18, 1
	v_mov_b32_e32 v19, 0
	v_cmp_ne_u16_sdwa s4, v6, v42 src0_sel:BYTE_0 src1_sel:DWORD
	s_and_saveexec_b32 s9, s4
	s_cbranch_execz .LBB257_1608
; %bb.1603:                             ;   in Loop: Header=BB257_1567 Depth=1
	v_mov_b32_e32 v18, 0x7f800001
	v_and_b32_e32 v10, 0x7f, v6
	v_mov_b32_e32 v19, 0
	s_mov_b32 s12, exec_lo
	v_cmpx_ne_u32_e32 0x7f, v10
	s_cbranch_execz .LBB257_1607
; %bb.1604:                             ;   in Loop: Header=BB257_1567 Depth=1
	v_and_b32_e32 v8, 7, v6
	v_lshrrev_b32_e32 v7, 3, v10
	s_mov_b32 s13, exec_lo
	v_cmpx_gt_u32_e32 8, v10
; %bb.1605:                             ;   in Loop: Header=BB257_1567 Depth=1
	v_ffbh_u32_e32 v7, v8
	v_min_u32_e32 v7, 32, v7
	v_subrev_nc_u32_e32 v10, 28, v7
	v_sub_nc_u32_e32 v7, 29, v7
	v_lshlrev_b64 v[18:19], v10, v[8:9]
	v_and_b32_e32 v8, 7, v18
; %bb.1606:                             ;   in Loop: Header=BB257_1567 Depth=1
	s_or_b32 exec_lo, exec_lo, s13
	v_lshlrev_b32_e32 v10, 24, v6
	v_lshlrev_b32_e32 v8, 20, v8
	v_lshl_add_u32 v7, v7, 23, 0x3c000000
	v_and_b32_e32 v10, 0x80000000, v10
	v_or3_b32 v8, v8, v10, v7
	v_mov_b32_e32 v19, v9
	v_mov_b32_e32 v18, v8
.LBB257_1607:                           ;   in Loop: Header=BB257_1567 Depth=1
	s_or_b32 exec_lo, exec_lo, s12
.LBB257_1608:                           ;   in Loop: Header=BB257_1567 Depth=1
	s_or_b32 exec_lo, exec_lo, s9
.LBB257_1609:                           ;   in Loop: Header=BB257_1567 Depth=1
	s_or_b32 exec_lo, exec_lo, s8
	v_cmp_ne_u16_sdwa s4, v6, v9 src0_sel:BYTE_1 src1_sel:DWORD
	s_and_saveexec_b32 s8, s4
	s_cbranch_execz .LBB257_1617
; %bb.1610:                             ;   in Loop: Header=BB257_1567 Depth=1
	v_mov_b32_e32 v10, v9
	v_mov_b32_e32 v21, v11
	v_cmp_ne_u16_sdwa s4, v6, v42 src0_sel:BYTE_1 src1_sel:DWORD
	v_mov_b32_e32 v20, v10
	s_and_saveexec_b32 s9, s4
	s_cbranch_execz .LBB257_1616
; %bb.1611:                             ;   in Loop: Header=BB257_1567 Depth=1
	v_mov_b32_e32 v7, 0xffff
	v_mov_b32_e32 v12, v9
	v_mov_b32_e32 v21, v13
	s_mov_b32 s12, exec_lo
	v_and_b32_sdwa v7, v7, v6 dst_sel:DWORD dst_unused:UNUSED_PAD src0_sel:DWORD src1_sel:BYTE_1
	v_mov_b32_e32 v20, v12
	v_and_b32_e32 v10, 0x7f, v7
	v_cmpx_ne_u32_e32 0x7f, v10
	s_cbranch_execz .LBB257_1615
; %bb.1612:                             ;   in Loop: Header=BB257_1567 Depth=1
	v_and_b32_e32 v8, 7, v7
	v_lshrrev_b32_e32 v7, 3, v10
	s_mov_b32 s13, exec_lo
	v_cmpx_gt_u32_e32 8, v10
; %bb.1613:                             ;   in Loop: Header=BB257_1567 Depth=1
	v_ffbh_u32_e32 v7, v8
	v_min_u32_e32 v7, 32, v7
	v_subrev_nc_u32_e32 v10, 28, v7
	v_sub_nc_u32_e32 v7, 29, v7
	v_lshlrev_b64 v[20:21], v10, v[8:9]
	v_and_b32_e32 v8, 7, v20
; %bb.1614:                             ;   in Loop: Header=BB257_1567 Depth=1
	s_or_b32 exec_lo, exec_lo, s13
	v_lshlrev_b32_e32 v10, 16, v6
	v_lshlrev_b32_e32 v8, 20, v8
	v_lshl_add_u32 v7, v7, 23, 0x3c000000
	v_mov_b32_e32 v20, v9
	v_and_b32_e32 v10, 0x80000000, v10
	v_or3_b32 v21, v8, v10, v7
.LBB257_1615:                           ;   in Loop: Header=BB257_1567 Depth=1
	s_or_b32 exec_lo, exec_lo, s12
.LBB257_1616:                           ;   in Loop: Header=BB257_1567 Depth=1
	s_or_b32 exec_lo, exec_lo, s9
.LBB257_1617:                           ;   in Loop: Header=BB257_1567 Depth=1
	s_or_b32 exec_lo, exec_lo, s8
	v_mov_b32_e32 v24, 0
	v_mov_b32_e32 v22, 0
	v_and_b32_sdwa v7, v6, v44 dst_sel:DWORD dst_unused:UNUSED_PAD src0_sel:WORD_1 src1_sel:DWORD
	v_mov_b32_e32 v25, 0
	v_mov_b32_e32 v23, 0
	s_mov_b32 s8, exec_lo
	v_cmpx_ne_u16_e32 0, v7
	s_cbranch_execz .LBB257_1625
; %bb.1618:                             ;   in Loop: Header=BB257_1567 Depth=1
	v_bfrev_b32_e32 v22, 1
	v_mov_b32_e32 v23, 0
	s_mov_b32 s9, exec_lo
	v_cmpx_ne_u16_e32 0x80, v7
	s_cbranch_execz .LBB257_1624
; %bb.1619:                             ;   in Loop: Header=BB257_1567 Depth=1
	v_mov_b32_e32 v22, 0x7f800001
	v_bfe_u32 v10, v6, 16, 7
	v_mov_b32_e32 v23, 0
	s_mov_b32 s12, exec_lo
	v_cmpx_ne_u32_e32 0x7f, v10
	s_cbranch_execz .LBB257_1623
; %bb.1620:                             ;   in Loop: Header=BB257_1567 Depth=1
	v_mov_b32_e32 v7, 7
	s_mov_b32 s13, exec_lo
	v_and_b32_sdwa v8, v6, v7 dst_sel:DWORD dst_unused:UNUSED_PAD src0_sel:WORD_1 src1_sel:DWORD
	v_lshrrev_b32_e32 v7, 3, v10
	v_cmpx_gt_u32_e32 8, v10
; %bb.1621:                             ;   in Loop: Header=BB257_1567 Depth=1
	v_ffbh_u32_e32 v7, v8
	v_min_u32_e32 v7, 32, v7
	v_subrev_nc_u32_e32 v10, 28, v7
	v_sub_nc_u32_e32 v7, 29, v7
	v_lshlrev_b64 v[22:23], v10, v[8:9]
	v_and_b32_e32 v8, 7, v22
; %bb.1622:                             ;   in Loop: Header=BB257_1567 Depth=1
	s_or_b32 exec_lo, exec_lo, s13
	v_mov_b32_e32 v10, 24
	v_lshlrev_b32_e32 v8, 20, v8
	v_lshl_add_u32 v7, v7, 23, 0x3c000000
	v_lshlrev_b32_sdwa v10, v10, v6 dst_sel:DWORD dst_unused:UNUSED_PAD src0_sel:DWORD src1_sel:WORD_1
	v_and_b32_e32 v10, 0x80000000, v10
	v_or3_b32 v8, v8, v10, v7
	v_mov_b32_e32 v23, v9
	v_mov_b32_e32 v22, v8
.LBB257_1623:                           ;   in Loop: Header=BB257_1567 Depth=1
	s_or_b32 exec_lo, exec_lo, s12
.LBB257_1624:                           ;   in Loop: Header=BB257_1567 Depth=1
	s_or_b32 exec_lo, exec_lo, s9
.LBB257_1625:                           ;   in Loop: Header=BB257_1567 Depth=1
	s_or_b32 exec_lo, exec_lo, s8
	s_mov_b32 s8, exec_lo
	v_cmpx_lt_u32_e32 0xffffff, v6
	s_cbranch_execz .LBB257_1633
; %bb.1626:                             ;   in Loop: Header=BB257_1567 Depth=1
	v_mov_b32_e32 v10, v9
	v_mov_b32_e32 v25, v11
	v_cmp_ne_u32_sdwa s4, v6, v42 src0_sel:BYTE_3 src1_sel:DWORD
	v_mov_b32_e32 v24, v10
	s_and_saveexec_b32 s9, s4
	s_cbranch_execz .LBB257_1632
; %bb.1627:                             ;   in Loop: Header=BB257_1567 Depth=1
	v_mov_b32_e32 v12, v9
	v_mov_b32_e32 v25, v13
	v_bfe_u32 v10, v6, 24, 7
	s_mov_b32 s12, exec_lo
	v_mov_b32_e32 v24, v12
	v_cmpx_ne_u32_e32 0x7f, v10
	s_cbranch_execz .LBB257_1631
; %bb.1628:                             ;   in Loop: Header=BB257_1567 Depth=1
	v_mov_b32_e32 v7, 7
	s_mov_b32 s13, exec_lo
	v_and_b32_sdwa v8, v6, v7 dst_sel:DWORD dst_unused:UNUSED_PAD src0_sel:BYTE_3 src1_sel:DWORD
	v_lshrrev_b32_e32 v7, 3, v10
	v_cmpx_gt_u32_e32 8, v10
; %bb.1629:                             ;   in Loop: Header=BB257_1567 Depth=1
	v_ffbh_u32_e32 v7, v8
	v_min_u32_e32 v7, 32, v7
	v_subrev_nc_u32_e32 v10, 28, v7
	v_sub_nc_u32_e32 v7, 29, v7
	v_lshlrev_b64 v[24:25], v10, v[8:9]
	v_and_b32_e32 v8, 7, v24
; %bb.1630:                             ;   in Loop: Header=BB257_1567 Depth=1
	s_or_b32 exec_lo, exec_lo, s13
	v_mov_b32_e32 v10, 24
	v_lshlrev_b32_e32 v8, 20, v8
	v_lshl_add_u32 v7, v7, 23, 0x3c000000
	v_mov_b32_e32 v24, v9
	v_lshlrev_b32_sdwa v6, v10, v6 dst_sel:DWORD dst_unused:UNUSED_PAD src0_sel:DWORD src1_sel:BYTE_3
	v_and_b32_e32 v6, 0x80000000, v6
	v_or3_b32 v25, v8, v6, v7
.LBB257_1631:                           ;   in Loop: Header=BB257_1567 Depth=1
	s_or_b32 exec_lo, exec_lo, s12
.LBB257_1632:                           ;   in Loop: Header=BB257_1567 Depth=1
	s_or_b32 exec_lo, exec_lo, s9
.LBB257_1633:                           ;   in Loop: Header=BB257_1567 Depth=1
	s_or_b32 exec_lo, exec_lo, s8
	v_or_b32_e32 v6, v21, v19
	v_or_b32_e32 v7, v20, v18
	;; [unrolled: 1-line block ×4, first 2 shown]
	v_mul_f32_e32 v6, v60, v6
	buffer_store_dword v6, off, s[0:3], s32 offset:240 ; 4-byte Folded Spill
	v_mul_f32_e32 v6, v40, v7
	buffer_store_dword v6, off, s[0:3], s32 offset:248 ; 4-byte Folded Spill
	;; [unrolled: 2-line block ×4, first 2 shown]
	s_and_saveexec_b32 s8, vcc_lo
	s_cbranch_execz .LBB257_1635
; %bb.1634:                             ;   in Loop: Header=BB257_1567 Depth=1
	buffer_load_dword v6, off, s[0:3], s32 offset:248 ; 4-byte Folded Reload
	v_cmp_lt_i32_e64 s4, v89, v78
	s_waitcnt vmcnt(0)
	v_cndmask_b32_e64 v6, 0, v6, s4
	v_cmp_lt_i32_e64 s4, v91, v78
	buffer_store_dword v6, off, s[0:3], s32 offset:248 ; 4-byte Folded Spill
	buffer_load_dword v6, off, s[0:3], s32 offset:240 ; 4-byte Folded Reload
	s_waitcnt vmcnt(0)
	v_cndmask_b32_e64 v6, 0, v6, s4
	v_cmp_lt_i32_e64 s4, v90, v78
	buffer_store_dword v6, off, s[0:3], s32 offset:240 ; 4-byte Folded Spill
	buffer_load_dword v6, off, s[0:3], s32 offset:232 ; 4-byte Folded Reload
	;; [unrolled: 5-line block ×3, first 2 shown]
	s_waitcnt vmcnt(0)
	v_cndmask_b32_e64 v6, 0, v6, s4
	buffer_store_dword v6, off, s[0:3], s32 offset:224 ; 4-byte Folded Spill
.LBB257_1635:                           ;   in Loop: Header=BB257_1567 Depth=1
	s_or_b32 exec_lo, exec_lo, s8
	flat_load_dword v6, v[4:5] offset:256
	v_mov_b32_e32 v20, 0
	v_mov_b32_e32 v18, 0
	v_mov_b32_e32 v21, 0
	v_mov_b32_e32 v19, 0
	s_waitcnt vmcnt(0) lgkmcnt(0)
	v_cmp_ne_u16_sdwa s4, v6, v9 src0_sel:BYTE_0 src1_sel:DWORD
	s_and_saveexec_b32 s8, s4
	s_cbranch_execz .LBB257_1643
; %bb.1636:                             ;   in Loop: Header=BB257_1567 Depth=1
	v_bfrev_b32_e32 v18, 1
	v_mov_b32_e32 v19, 0
	v_cmp_ne_u16_sdwa s4, v6, v42 src0_sel:BYTE_0 src1_sel:DWORD
	s_and_saveexec_b32 s9, s4
	s_cbranch_execz .LBB257_1642
; %bb.1637:                             ;   in Loop: Header=BB257_1567 Depth=1
	v_mov_b32_e32 v18, 0x7f800001
	v_and_b32_e32 v10, 0x7f, v6
	v_mov_b32_e32 v19, 0
	s_mov_b32 s12, exec_lo
	v_cmpx_ne_u32_e32 0x7f, v10
	s_cbranch_execz .LBB257_1641
; %bb.1638:                             ;   in Loop: Header=BB257_1567 Depth=1
	v_and_b32_e32 v8, 7, v6
	v_lshrrev_b32_e32 v7, 3, v10
	s_mov_b32 s13, exec_lo
	v_cmpx_gt_u32_e32 8, v10
; %bb.1639:                             ;   in Loop: Header=BB257_1567 Depth=1
	v_ffbh_u32_e32 v7, v8
	v_min_u32_e32 v7, 32, v7
	v_subrev_nc_u32_e32 v10, 28, v7
	v_sub_nc_u32_e32 v7, 29, v7
	v_lshlrev_b64 v[18:19], v10, v[8:9]
	v_and_b32_e32 v8, 7, v18
; %bb.1640:                             ;   in Loop: Header=BB257_1567 Depth=1
	s_or_b32 exec_lo, exec_lo, s13
	v_lshlrev_b32_e32 v10, 24, v6
	v_lshlrev_b32_e32 v8, 20, v8
	v_lshl_add_u32 v7, v7, 23, 0x3c000000
	v_and_b32_e32 v10, 0x80000000, v10
	v_or3_b32 v8, v8, v10, v7
	v_mov_b32_e32 v19, v9
	v_mov_b32_e32 v18, v8
.LBB257_1641:                           ;   in Loop: Header=BB257_1567 Depth=1
	s_or_b32 exec_lo, exec_lo, s12
.LBB257_1642:                           ;   in Loop: Header=BB257_1567 Depth=1
	s_or_b32 exec_lo, exec_lo, s9
.LBB257_1643:                           ;   in Loop: Header=BB257_1567 Depth=1
	s_or_b32 exec_lo, exec_lo, s8
	v_cmp_ne_u16_sdwa s4, v6, v9 src0_sel:BYTE_1 src1_sel:DWORD
	s_and_saveexec_b32 s8, s4
	s_cbranch_execz .LBB257_1651
; %bb.1644:                             ;   in Loop: Header=BB257_1567 Depth=1
	v_mov_b32_e32 v10, v9
	v_mov_b32_e32 v21, v11
	v_cmp_ne_u16_sdwa s4, v6, v42 src0_sel:BYTE_1 src1_sel:DWORD
	v_mov_b32_e32 v20, v10
	s_and_saveexec_b32 s9, s4
	s_cbranch_execz .LBB257_1650
; %bb.1645:                             ;   in Loop: Header=BB257_1567 Depth=1
	v_mov_b32_e32 v7, 0xffff
	v_mov_b32_e32 v12, v9
	v_mov_b32_e32 v21, v13
	s_mov_b32 s12, exec_lo
	v_and_b32_sdwa v7, v7, v6 dst_sel:DWORD dst_unused:UNUSED_PAD src0_sel:DWORD src1_sel:BYTE_1
	v_mov_b32_e32 v20, v12
	v_and_b32_e32 v10, 0x7f, v7
	v_cmpx_ne_u32_e32 0x7f, v10
	s_cbranch_execz .LBB257_1649
; %bb.1646:                             ;   in Loop: Header=BB257_1567 Depth=1
	v_and_b32_e32 v8, 7, v7
	v_lshrrev_b32_e32 v7, 3, v10
	s_mov_b32 s13, exec_lo
	v_cmpx_gt_u32_e32 8, v10
; %bb.1647:                             ;   in Loop: Header=BB257_1567 Depth=1
	v_ffbh_u32_e32 v7, v8
	v_min_u32_e32 v7, 32, v7
	v_subrev_nc_u32_e32 v10, 28, v7
	v_sub_nc_u32_e32 v7, 29, v7
	v_lshlrev_b64 v[20:21], v10, v[8:9]
	v_and_b32_e32 v8, 7, v20
; %bb.1648:                             ;   in Loop: Header=BB257_1567 Depth=1
	s_or_b32 exec_lo, exec_lo, s13
	v_lshlrev_b32_e32 v10, 16, v6
	v_lshlrev_b32_e32 v8, 20, v8
	v_lshl_add_u32 v7, v7, 23, 0x3c000000
	v_mov_b32_e32 v20, v9
	v_and_b32_e32 v10, 0x80000000, v10
	v_or3_b32 v21, v8, v10, v7
.LBB257_1649:                           ;   in Loop: Header=BB257_1567 Depth=1
	s_or_b32 exec_lo, exec_lo, s12
.LBB257_1650:                           ;   in Loop: Header=BB257_1567 Depth=1
	s_or_b32 exec_lo, exec_lo, s9
.LBB257_1651:                           ;   in Loop: Header=BB257_1567 Depth=1
	s_or_b32 exec_lo, exec_lo, s8
	v_mov_b32_e32 v24, 0
	v_mov_b32_e32 v22, 0
	v_and_b32_sdwa v7, v6, v44 dst_sel:DWORD dst_unused:UNUSED_PAD src0_sel:WORD_1 src1_sel:DWORD
	v_mov_b32_e32 v25, 0
	v_mov_b32_e32 v23, 0
	s_mov_b32 s8, exec_lo
	v_cmpx_ne_u16_e32 0, v7
	s_cbranch_execz .LBB257_1659
; %bb.1652:                             ;   in Loop: Header=BB257_1567 Depth=1
	v_bfrev_b32_e32 v22, 1
	v_mov_b32_e32 v23, 0
	s_mov_b32 s9, exec_lo
	v_cmpx_ne_u16_e32 0x80, v7
	s_cbranch_execz .LBB257_1658
; %bb.1653:                             ;   in Loop: Header=BB257_1567 Depth=1
	v_mov_b32_e32 v22, 0x7f800001
	v_bfe_u32 v10, v6, 16, 7
	v_mov_b32_e32 v23, 0
	s_mov_b32 s12, exec_lo
	v_cmpx_ne_u32_e32 0x7f, v10
	s_cbranch_execz .LBB257_1657
; %bb.1654:                             ;   in Loop: Header=BB257_1567 Depth=1
	v_mov_b32_e32 v7, 7
	s_mov_b32 s13, exec_lo
	v_and_b32_sdwa v8, v6, v7 dst_sel:DWORD dst_unused:UNUSED_PAD src0_sel:WORD_1 src1_sel:DWORD
	v_lshrrev_b32_e32 v7, 3, v10
	v_cmpx_gt_u32_e32 8, v10
; %bb.1655:                             ;   in Loop: Header=BB257_1567 Depth=1
	v_ffbh_u32_e32 v7, v8
	v_min_u32_e32 v7, 32, v7
	v_subrev_nc_u32_e32 v10, 28, v7
	v_sub_nc_u32_e32 v7, 29, v7
	v_lshlrev_b64 v[22:23], v10, v[8:9]
	v_and_b32_e32 v8, 7, v22
; %bb.1656:                             ;   in Loop: Header=BB257_1567 Depth=1
	s_or_b32 exec_lo, exec_lo, s13
	v_mov_b32_e32 v10, 24
	v_lshlrev_b32_e32 v8, 20, v8
	v_lshl_add_u32 v7, v7, 23, 0x3c000000
	v_lshlrev_b32_sdwa v10, v10, v6 dst_sel:DWORD dst_unused:UNUSED_PAD src0_sel:DWORD src1_sel:WORD_1
	v_and_b32_e32 v10, 0x80000000, v10
	v_or3_b32 v8, v8, v10, v7
	v_mov_b32_e32 v23, v9
	v_mov_b32_e32 v22, v8
.LBB257_1657:                           ;   in Loop: Header=BB257_1567 Depth=1
	s_or_b32 exec_lo, exec_lo, s12
.LBB257_1658:                           ;   in Loop: Header=BB257_1567 Depth=1
	s_or_b32 exec_lo, exec_lo, s9
.LBB257_1659:                           ;   in Loop: Header=BB257_1567 Depth=1
	s_or_b32 exec_lo, exec_lo, s8
	s_mov_b32 s8, exec_lo
	v_cmpx_lt_u32_e32 0xffffff, v6
	s_cbranch_execz .LBB257_1667
; %bb.1660:                             ;   in Loop: Header=BB257_1567 Depth=1
	v_mov_b32_e32 v10, v9
	v_mov_b32_e32 v25, v11
	v_cmp_ne_u32_sdwa s4, v6, v42 src0_sel:BYTE_3 src1_sel:DWORD
	v_mov_b32_e32 v24, v10
	s_and_saveexec_b32 s9, s4
	s_cbranch_execz .LBB257_1666
; %bb.1661:                             ;   in Loop: Header=BB257_1567 Depth=1
	v_mov_b32_e32 v12, v9
	v_mov_b32_e32 v25, v13
	v_bfe_u32 v10, v6, 24, 7
	s_mov_b32 s12, exec_lo
	v_mov_b32_e32 v24, v12
	v_cmpx_ne_u32_e32 0x7f, v10
	s_cbranch_execz .LBB257_1665
; %bb.1662:                             ;   in Loop: Header=BB257_1567 Depth=1
	v_mov_b32_e32 v7, 7
	s_mov_b32 s13, exec_lo
	v_and_b32_sdwa v8, v6, v7 dst_sel:DWORD dst_unused:UNUSED_PAD src0_sel:BYTE_3 src1_sel:DWORD
	v_lshrrev_b32_e32 v7, 3, v10
	v_cmpx_gt_u32_e32 8, v10
; %bb.1663:                             ;   in Loop: Header=BB257_1567 Depth=1
	v_ffbh_u32_e32 v7, v8
	v_min_u32_e32 v7, 32, v7
	v_subrev_nc_u32_e32 v10, 28, v7
	v_sub_nc_u32_e32 v7, 29, v7
	v_lshlrev_b64 v[24:25], v10, v[8:9]
	v_and_b32_e32 v8, 7, v24
; %bb.1664:                             ;   in Loop: Header=BB257_1567 Depth=1
	s_or_b32 exec_lo, exec_lo, s13
	v_mov_b32_e32 v10, 24
	v_lshlrev_b32_e32 v8, 20, v8
	v_lshl_add_u32 v7, v7, 23, 0x3c000000
	v_mov_b32_e32 v24, v9
	v_lshlrev_b32_sdwa v6, v10, v6 dst_sel:DWORD dst_unused:UNUSED_PAD src0_sel:DWORD src1_sel:BYTE_3
	v_and_b32_e32 v6, 0x80000000, v6
	v_or3_b32 v25, v8, v6, v7
.LBB257_1665:                           ;   in Loop: Header=BB257_1567 Depth=1
	s_or_b32 exec_lo, exec_lo, s12
.LBB257_1666:                           ;   in Loop: Header=BB257_1567 Depth=1
	s_or_b32 exec_lo, exec_lo, s9
.LBB257_1667:                           ;   in Loop: Header=BB257_1567 Depth=1
	s_or_b32 exec_lo, exec_lo, s8
	v_or_b32_e32 v6, v21, v19
	v_or_b32_e32 v7, v20, v18
	;; [unrolled: 1-line block ×4, first 2 shown]
	v_mul_f32_e32 v6, v60, v6
	buffer_store_dword v6, off, s[0:3], s32 offset:272 ; 4-byte Folded Spill
	v_mul_f32_e32 v6, v40, v7
	buffer_store_dword v6, off, s[0:3], s32 offset:280 ; 4-byte Folded Spill
	;; [unrolled: 2-line block ×4, first 2 shown]
	s_and_saveexec_b32 s8, vcc_lo
	s_cbranch_execz .LBB257_1669
; %bb.1668:                             ;   in Loop: Header=BB257_1567 Depth=1
	buffer_load_dword v6, off, s[0:3], s32 offset:280 ; 4-byte Folded Reload
	v_cmp_lt_i32_e64 s4, v89, v78
	s_waitcnt vmcnt(0)
	v_cndmask_b32_e64 v6, 0, v6, s4
	v_cmp_lt_i32_e64 s4, v91, v78
	buffer_store_dword v6, off, s[0:3], s32 offset:280 ; 4-byte Folded Spill
	buffer_load_dword v6, off, s[0:3], s32 offset:272 ; 4-byte Folded Reload
	s_waitcnt vmcnt(0)
	v_cndmask_b32_e64 v6, 0, v6, s4
	v_cmp_lt_i32_e64 s4, v90, v78
	buffer_store_dword v6, off, s[0:3], s32 offset:272 ; 4-byte Folded Spill
	buffer_load_dword v6, off, s[0:3], s32 offset:264 ; 4-byte Folded Reload
	;; [unrolled: 5-line block ×3, first 2 shown]
	s_waitcnt vmcnt(0)
	v_cndmask_b32_e64 v6, 0, v6, s4
	buffer_store_dword v6, off, s[0:3], s32 offset:256 ; 4-byte Folded Spill
.LBB257_1669:                           ;   in Loop: Header=BB257_1567 Depth=1
	s_or_b32 exec_lo, exec_lo, s8
	flat_load_dword v6, v[4:5] offset:384
	v_mov_b32_e32 v20, 0
	v_mov_b32_e32 v18, 0
	v_mov_b32_e32 v21, 0
	v_mov_b32_e32 v19, 0
	s_waitcnt vmcnt(0) lgkmcnt(0)
	v_cmp_ne_u16_sdwa s4, v6, v9 src0_sel:BYTE_0 src1_sel:DWORD
	s_and_saveexec_b32 s8, s4
	s_cbranch_execz .LBB257_1677
; %bb.1670:                             ;   in Loop: Header=BB257_1567 Depth=1
	v_bfrev_b32_e32 v18, 1
	v_mov_b32_e32 v19, 0
	v_cmp_ne_u16_sdwa s4, v6, v42 src0_sel:BYTE_0 src1_sel:DWORD
	s_and_saveexec_b32 s9, s4
	s_cbranch_execz .LBB257_1676
; %bb.1671:                             ;   in Loop: Header=BB257_1567 Depth=1
	v_mov_b32_e32 v18, 0x7f800001
	v_and_b32_e32 v10, 0x7f, v6
	v_mov_b32_e32 v19, 0
	s_mov_b32 s12, exec_lo
	v_cmpx_ne_u32_e32 0x7f, v10
	s_cbranch_execz .LBB257_1675
; %bb.1672:                             ;   in Loop: Header=BB257_1567 Depth=1
	v_and_b32_e32 v8, 7, v6
	v_lshrrev_b32_e32 v7, 3, v10
	s_mov_b32 s13, exec_lo
	v_cmpx_gt_u32_e32 8, v10
; %bb.1673:                             ;   in Loop: Header=BB257_1567 Depth=1
	v_ffbh_u32_e32 v7, v8
	v_min_u32_e32 v7, 32, v7
	v_subrev_nc_u32_e32 v10, 28, v7
	v_sub_nc_u32_e32 v7, 29, v7
	v_lshlrev_b64 v[18:19], v10, v[8:9]
	v_and_b32_e32 v8, 7, v18
; %bb.1674:                             ;   in Loop: Header=BB257_1567 Depth=1
	s_or_b32 exec_lo, exec_lo, s13
	v_lshlrev_b32_e32 v10, 24, v6
	v_lshlrev_b32_e32 v8, 20, v8
	v_lshl_add_u32 v7, v7, 23, 0x3c000000
	v_and_b32_e32 v10, 0x80000000, v10
	v_or3_b32 v8, v8, v10, v7
	v_mov_b32_e32 v19, v9
	v_mov_b32_e32 v18, v8
.LBB257_1675:                           ;   in Loop: Header=BB257_1567 Depth=1
	s_or_b32 exec_lo, exec_lo, s12
.LBB257_1676:                           ;   in Loop: Header=BB257_1567 Depth=1
	s_or_b32 exec_lo, exec_lo, s9
.LBB257_1677:                           ;   in Loop: Header=BB257_1567 Depth=1
	s_or_b32 exec_lo, exec_lo, s8
	v_cmp_ne_u16_sdwa s4, v6, v9 src0_sel:BYTE_1 src1_sel:DWORD
	s_and_saveexec_b32 s8, s4
	s_cbranch_execz .LBB257_1685
; %bb.1678:                             ;   in Loop: Header=BB257_1567 Depth=1
	v_mov_b32_e32 v10, v9
	v_mov_b32_e32 v21, v11
	v_cmp_ne_u16_sdwa s4, v6, v42 src0_sel:BYTE_1 src1_sel:DWORD
	v_mov_b32_e32 v20, v10
	s_and_saveexec_b32 s9, s4
	s_cbranch_execz .LBB257_1684
; %bb.1679:                             ;   in Loop: Header=BB257_1567 Depth=1
	v_mov_b32_e32 v7, 0xffff
	v_mov_b32_e32 v12, v9
	;; [unrolled: 1-line block ×3, first 2 shown]
	s_mov_b32 s12, exec_lo
	v_and_b32_sdwa v7, v7, v6 dst_sel:DWORD dst_unused:UNUSED_PAD src0_sel:DWORD src1_sel:BYTE_1
	v_mov_b32_e32 v20, v12
	v_and_b32_e32 v10, 0x7f, v7
	v_cmpx_ne_u32_e32 0x7f, v10
	s_cbranch_execz .LBB257_1683
; %bb.1680:                             ;   in Loop: Header=BB257_1567 Depth=1
	v_and_b32_e32 v8, 7, v7
	v_lshrrev_b32_e32 v7, 3, v10
	s_mov_b32 s13, exec_lo
	v_cmpx_gt_u32_e32 8, v10
; %bb.1681:                             ;   in Loop: Header=BB257_1567 Depth=1
	v_ffbh_u32_e32 v7, v8
	v_min_u32_e32 v7, 32, v7
	v_subrev_nc_u32_e32 v10, 28, v7
	v_sub_nc_u32_e32 v7, 29, v7
	v_lshlrev_b64 v[20:21], v10, v[8:9]
	v_and_b32_e32 v8, 7, v20
; %bb.1682:                             ;   in Loop: Header=BB257_1567 Depth=1
	s_or_b32 exec_lo, exec_lo, s13
	v_lshlrev_b32_e32 v10, 16, v6
	v_lshlrev_b32_e32 v8, 20, v8
	v_lshl_add_u32 v7, v7, 23, 0x3c000000
	v_mov_b32_e32 v20, v9
	v_and_b32_e32 v10, 0x80000000, v10
	v_or3_b32 v21, v8, v10, v7
.LBB257_1683:                           ;   in Loop: Header=BB257_1567 Depth=1
	s_or_b32 exec_lo, exec_lo, s12
.LBB257_1684:                           ;   in Loop: Header=BB257_1567 Depth=1
	s_or_b32 exec_lo, exec_lo, s9
.LBB257_1685:                           ;   in Loop: Header=BB257_1567 Depth=1
	s_or_b32 exec_lo, exec_lo, s8
	v_mov_b32_e32 v24, 0
	v_mov_b32_e32 v22, 0
	v_and_b32_sdwa v7, v6, v44 dst_sel:DWORD dst_unused:UNUSED_PAD src0_sel:WORD_1 src1_sel:DWORD
	v_mov_b32_e32 v25, 0
	v_mov_b32_e32 v23, 0
	s_mov_b32 s8, exec_lo
	v_cmpx_ne_u16_e32 0, v7
	s_cbranch_execz .LBB257_1693
; %bb.1686:                             ;   in Loop: Header=BB257_1567 Depth=1
	v_bfrev_b32_e32 v22, 1
	v_mov_b32_e32 v23, 0
	s_mov_b32 s9, exec_lo
	v_cmpx_ne_u16_e32 0x80, v7
	s_cbranch_execz .LBB257_1692
; %bb.1687:                             ;   in Loop: Header=BB257_1567 Depth=1
	v_mov_b32_e32 v22, 0x7f800001
	v_bfe_u32 v10, v6, 16, 7
	v_mov_b32_e32 v23, 0
	s_mov_b32 s12, exec_lo
	v_cmpx_ne_u32_e32 0x7f, v10
	s_cbranch_execz .LBB257_1691
; %bb.1688:                             ;   in Loop: Header=BB257_1567 Depth=1
	v_mov_b32_e32 v7, 7
	s_mov_b32 s13, exec_lo
	v_and_b32_sdwa v8, v6, v7 dst_sel:DWORD dst_unused:UNUSED_PAD src0_sel:WORD_1 src1_sel:DWORD
	v_lshrrev_b32_e32 v7, 3, v10
	v_cmpx_gt_u32_e32 8, v10
; %bb.1689:                             ;   in Loop: Header=BB257_1567 Depth=1
	v_ffbh_u32_e32 v7, v8
	v_min_u32_e32 v7, 32, v7
	v_subrev_nc_u32_e32 v10, 28, v7
	v_sub_nc_u32_e32 v7, 29, v7
	v_lshlrev_b64 v[22:23], v10, v[8:9]
	v_and_b32_e32 v8, 7, v22
; %bb.1690:                             ;   in Loop: Header=BB257_1567 Depth=1
	s_or_b32 exec_lo, exec_lo, s13
	v_mov_b32_e32 v10, 24
	v_lshlrev_b32_e32 v8, 20, v8
	v_lshl_add_u32 v7, v7, 23, 0x3c000000
	v_lshlrev_b32_sdwa v10, v10, v6 dst_sel:DWORD dst_unused:UNUSED_PAD src0_sel:DWORD src1_sel:WORD_1
	v_and_b32_e32 v10, 0x80000000, v10
	v_or3_b32 v8, v8, v10, v7
	v_mov_b32_e32 v23, v9
	v_mov_b32_e32 v22, v8
.LBB257_1691:                           ;   in Loop: Header=BB257_1567 Depth=1
	s_or_b32 exec_lo, exec_lo, s12
.LBB257_1692:                           ;   in Loop: Header=BB257_1567 Depth=1
	s_or_b32 exec_lo, exec_lo, s9
.LBB257_1693:                           ;   in Loop: Header=BB257_1567 Depth=1
	s_or_b32 exec_lo, exec_lo, s8
	s_mov_b32 s8, exec_lo
	v_cmpx_lt_u32_e32 0xffffff, v6
	s_cbranch_execz .LBB257_1701
; %bb.1694:                             ;   in Loop: Header=BB257_1567 Depth=1
	v_mov_b32_e32 v10, v9
	v_mov_b32_e32 v25, v11
	v_cmp_ne_u32_sdwa s4, v6, v42 src0_sel:BYTE_3 src1_sel:DWORD
	v_mov_b32_e32 v24, v10
	s_and_saveexec_b32 s9, s4
	s_cbranch_execz .LBB257_1700
; %bb.1695:                             ;   in Loop: Header=BB257_1567 Depth=1
	v_mov_b32_e32 v12, v9
	v_mov_b32_e32 v25, v13
	v_bfe_u32 v10, v6, 24, 7
	s_mov_b32 s12, exec_lo
	v_mov_b32_e32 v24, v12
	v_cmpx_ne_u32_e32 0x7f, v10
	s_cbranch_execz .LBB257_1699
; %bb.1696:                             ;   in Loop: Header=BB257_1567 Depth=1
	v_mov_b32_e32 v7, 7
	s_mov_b32 s13, exec_lo
	v_and_b32_sdwa v8, v6, v7 dst_sel:DWORD dst_unused:UNUSED_PAD src0_sel:BYTE_3 src1_sel:DWORD
	v_lshrrev_b32_e32 v7, 3, v10
	v_cmpx_gt_u32_e32 8, v10
; %bb.1697:                             ;   in Loop: Header=BB257_1567 Depth=1
	v_ffbh_u32_e32 v7, v8
	v_min_u32_e32 v7, 32, v7
	v_subrev_nc_u32_e32 v10, 28, v7
	v_sub_nc_u32_e32 v7, 29, v7
	v_lshlrev_b64 v[24:25], v10, v[8:9]
	v_and_b32_e32 v8, 7, v24
; %bb.1698:                             ;   in Loop: Header=BB257_1567 Depth=1
	s_or_b32 exec_lo, exec_lo, s13
	v_mov_b32_e32 v10, 24
	v_lshlrev_b32_e32 v8, 20, v8
	v_lshl_add_u32 v7, v7, 23, 0x3c000000
	v_mov_b32_e32 v24, v9
	v_lshlrev_b32_sdwa v6, v10, v6 dst_sel:DWORD dst_unused:UNUSED_PAD src0_sel:DWORD src1_sel:BYTE_3
	v_and_b32_e32 v6, 0x80000000, v6
	v_or3_b32 v25, v8, v6, v7
.LBB257_1699:                           ;   in Loop: Header=BB257_1567 Depth=1
	s_or_b32 exec_lo, exec_lo, s12
.LBB257_1700:                           ;   in Loop: Header=BB257_1567 Depth=1
	s_or_b32 exec_lo, exec_lo, s9
.LBB257_1701:                           ;   in Loop: Header=BB257_1567 Depth=1
	s_or_b32 exec_lo, exec_lo, s8
	v_or_b32_e32 v6, v21, v19
	v_or_b32_e32 v7, v20, v18
	;; [unrolled: 1-line block ×4, first 2 shown]
	v_mul_f32_e32 v6, v60, v6
	buffer_store_dword v6, off, s[0:3], s32 offset:312 ; 4-byte Folded Spill
	v_mul_f32_e32 v6, v40, v7
	buffer_store_dword v6, off, s[0:3], s32 offset:304 ; 4-byte Folded Spill
	;; [unrolled: 2-line block ×4, first 2 shown]
	s_and_saveexec_b32 s8, vcc_lo
	s_cbranch_execz .LBB257_1703
; %bb.1702:                             ;   in Loop: Header=BB257_1567 Depth=1
	buffer_load_dword v6, off, s[0:3], s32 offset:304 ; 4-byte Folded Reload
	v_cmp_lt_i32_e64 s4, v89, v78
	s_waitcnt vmcnt(0)
	v_cndmask_b32_e64 v6, 0, v6, s4
	v_cmp_lt_i32_e64 s4, v91, v78
	buffer_store_dword v6, off, s[0:3], s32 offset:304 ; 4-byte Folded Spill
	buffer_load_dword v6, off, s[0:3], s32 offset:312 ; 4-byte Folded Reload
	s_waitcnt vmcnt(0)
	v_cndmask_b32_e64 v6, 0, v6, s4
	v_cmp_lt_i32_e64 s4, v90, v78
	buffer_store_dword v6, off, s[0:3], s32 offset:312 ; 4-byte Folded Spill
	buffer_load_dword v6, off, s[0:3], s32 offset:296 ; 4-byte Folded Reload
	;; [unrolled: 5-line block ×3, first 2 shown]
	s_waitcnt vmcnt(0)
	v_cndmask_b32_e64 v6, 0, v6, s4
	buffer_store_dword v6, off, s[0:3], s32 offset:288 ; 4-byte Folded Spill
.LBB257_1703:                           ;   in Loop: Header=BB257_1567 Depth=1
	s_or_b32 exec_lo, exec_lo, s8
	flat_load_dword v6, v[4:5] offset:512
	v_mov_b32_e32 v20, 0
	v_mov_b32_e32 v18, 0
	v_mov_b32_e32 v21, 0
	v_mov_b32_e32 v19, 0
	s_waitcnt vmcnt(0) lgkmcnt(0)
	v_cmp_ne_u16_sdwa s4, v6, v9 src0_sel:BYTE_0 src1_sel:DWORD
	s_and_saveexec_b32 s8, s4
	s_cbranch_execz .LBB257_1711
; %bb.1704:                             ;   in Loop: Header=BB257_1567 Depth=1
	v_bfrev_b32_e32 v18, 1
	v_mov_b32_e32 v19, 0
	v_cmp_ne_u16_sdwa s4, v6, v42 src0_sel:BYTE_0 src1_sel:DWORD
	s_and_saveexec_b32 s9, s4
	s_cbranch_execz .LBB257_1710
; %bb.1705:                             ;   in Loop: Header=BB257_1567 Depth=1
	v_mov_b32_e32 v18, 0x7f800001
	v_and_b32_e32 v10, 0x7f, v6
	v_mov_b32_e32 v19, 0
	s_mov_b32 s12, exec_lo
	v_cmpx_ne_u32_e32 0x7f, v10
	s_cbranch_execz .LBB257_1709
; %bb.1706:                             ;   in Loop: Header=BB257_1567 Depth=1
	v_and_b32_e32 v8, 7, v6
	v_lshrrev_b32_e32 v7, 3, v10
	s_mov_b32 s13, exec_lo
	v_cmpx_gt_u32_e32 8, v10
; %bb.1707:                             ;   in Loop: Header=BB257_1567 Depth=1
	v_ffbh_u32_e32 v7, v8
	v_min_u32_e32 v7, 32, v7
	v_subrev_nc_u32_e32 v10, 28, v7
	v_sub_nc_u32_e32 v7, 29, v7
	v_lshlrev_b64 v[18:19], v10, v[8:9]
	v_and_b32_e32 v8, 7, v18
; %bb.1708:                             ;   in Loop: Header=BB257_1567 Depth=1
	s_or_b32 exec_lo, exec_lo, s13
	v_lshlrev_b32_e32 v10, 24, v6
	v_lshlrev_b32_e32 v8, 20, v8
	v_lshl_add_u32 v7, v7, 23, 0x3c000000
	v_and_b32_e32 v10, 0x80000000, v10
	v_or3_b32 v8, v8, v10, v7
	v_mov_b32_e32 v19, v9
	v_mov_b32_e32 v18, v8
.LBB257_1709:                           ;   in Loop: Header=BB257_1567 Depth=1
	s_or_b32 exec_lo, exec_lo, s12
.LBB257_1710:                           ;   in Loop: Header=BB257_1567 Depth=1
	s_or_b32 exec_lo, exec_lo, s9
.LBB257_1711:                           ;   in Loop: Header=BB257_1567 Depth=1
	s_or_b32 exec_lo, exec_lo, s8
	v_cmp_ne_u16_sdwa s4, v6, v9 src0_sel:BYTE_1 src1_sel:DWORD
	s_and_saveexec_b32 s8, s4
	s_cbranch_execz .LBB257_1719
; %bb.1712:                             ;   in Loop: Header=BB257_1567 Depth=1
	v_mov_b32_e32 v10, v9
	v_mov_b32_e32 v21, v11
	v_cmp_ne_u16_sdwa s4, v6, v42 src0_sel:BYTE_1 src1_sel:DWORD
	v_mov_b32_e32 v20, v10
	s_and_saveexec_b32 s9, s4
	s_cbranch_execz .LBB257_1718
; %bb.1713:                             ;   in Loop: Header=BB257_1567 Depth=1
	v_mov_b32_e32 v7, 0xffff
	v_mov_b32_e32 v12, v9
	;; [unrolled: 1-line block ×3, first 2 shown]
	s_mov_b32 s12, exec_lo
	v_and_b32_sdwa v7, v7, v6 dst_sel:DWORD dst_unused:UNUSED_PAD src0_sel:DWORD src1_sel:BYTE_1
	v_mov_b32_e32 v20, v12
	v_and_b32_e32 v10, 0x7f, v7
	v_cmpx_ne_u32_e32 0x7f, v10
	s_cbranch_execz .LBB257_1717
; %bb.1714:                             ;   in Loop: Header=BB257_1567 Depth=1
	v_and_b32_e32 v8, 7, v7
	v_lshrrev_b32_e32 v7, 3, v10
	s_mov_b32 s13, exec_lo
	v_cmpx_gt_u32_e32 8, v10
; %bb.1715:                             ;   in Loop: Header=BB257_1567 Depth=1
	v_ffbh_u32_e32 v7, v8
	v_min_u32_e32 v7, 32, v7
	v_subrev_nc_u32_e32 v10, 28, v7
	v_sub_nc_u32_e32 v7, 29, v7
	v_lshlrev_b64 v[20:21], v10, v[8:9]
	v_and_b32_e32 v8, 7, v20
; %bb.1716:                             ;   in Loop: Header=BB257_1567 Depth=1
	s_or_b32 exec_lo, exec_lo, s13
	v_lshlrev_b32_e32 v10, 16, v6
	v_lshlrev_b32_e32 v8, 20, v8
	v_lshl_add_u32 v7, v7, 23, 0x3c000000
	v_mov_b32_e32 v20, v9
	v_and_b32_e32 v10, 0x80000000, v10
	v_or3_b32 v21, v8, v10, v7
.LBB257_1717:                           ;   in Loop: Header=BB257_1567 Depth=1
	s_or_b32 exec_lo, exec_lo, s12
.LBB257_1718:                           ;   in Loop: Header=BB257_1567 Depth=1
	s_or_b32 exec_lo, exec_lo, s9
.LBB257_1719:                           ;   in Loop: Header=BB257_1567 Depth=1
	s_or_b32 exec_lo, exec_lo, s8
	v_mov_b32_e32 v24, 0
	v_mov_b32_e32 v22, 0
	v_and_b32_sdwa v7, v6, v44 dst_sel:DWORD dst_unused:UNUSED_PAD src0_sel:WORD_1 src1_sel:DWORD
	v_mov_b32_e32 v25, 0
	v_mov_b32_e32 v23, 0
	s_mov_b32 s8, exec_lo
	v_cmpx_ne_u16_e32 0, v7
	s_cbranch_execz .LBB257_1727
; %bb.1720:                             ;   in Loop: Header=BB257_1567 Depth=1
	v_bfrev_b32_e32 v22, 1
	v_mov_b32_e32 v23, 0
	s_mov_b32 s9, exec_lo
	v_cmpx_ne_u16_e32 0x80, v7
	s_cbranch_execz .LBB257_1726
; %bb.1721:                             ;   in Loop: Header=BB257_1567 Depth=1
	v_mov_b32_e32 v22, 0x7f800001
	v_bfe_u32 v10, v6, 16, 7
	v_mov_b32_e32 v23, 0
	s_mov_b32 s12, exec_lo
	v_cmpx_ne_u32_e32 0x7f, v10
	s_cbranch_execz .LBB257_1725
; %bb.1722:                             ;   in Loop: Header=BB257_1567 Depth=1
	v_mov_b32_e32 v7, 7
	s_mov_b32 s13, exec_lo
	v_and_b32_sdwa v8, v6, v7 dst_sel:DWORD dst_unused:UNUSED_PAD src0_sel:WORD_1 src1_sel:DWORD
	v_lshrrev_b32_e32 v7, 3, v10
	v_cmpx_gt_u32_e32 8, v10
; %bb.1723:                             ;   in Loop: Header=BB257_1567 Depth=1
	v_ffbh_u32_e32 v7, v8
	v_min_u32_e32 v7, 32, v7
	v_subrev_nc_u32_e32 v10, 28, v7
	v_sub_nc_u32_e32 v7, 29, v7
	v_lshlrev_b64 v[22:23], v10, v[8:9]
	v_and_b32_e32 v8, 7, v22
; %bb.1724:                             ;   in Loop: Header=BB257_1567 Depth=1
	s_or_b32 exec_lo, exec_lo, s13
	v_mov_b32_e32 v10, 24
	v_lshlrev_b32_e32 v8, 20, v8
	v_lshl_add_u32 v7, v7, 23, 0x3c000000
	v_lshlrev_b32_sdwa v10, v10, v6 dst_sel:DWORD dst_unused:UNUSED_PAD src0_sel:DWORD src1_sel:WORD_1
	v_and_b32_e32 v10, 0x80000000, v10
	v_or3_b32 v8, v8, v10, v7
	v_mov_b32_e32 v23, v9
	v_mov_b32_e32 v22, v8
.LBB257_1725:                           ;   in Loop: Header=BB257_1567 Depth=1
	s_or_b32 exec_lo, exec_lo, s12
.LBB257_1726:                           ;   in Loop: Header=BB257_1567 Depth=1
	s_or_b32 exec_lo, exec_lo, s9
.LBB257_1727:                           ;   in Loop: Header=BB257_1567 Depth=1
	s_or_b32 exec_lo, exec_lo, s8
	s_mov_b32 s8, exec_lo
	v_cmpx_lt_u32_e32 0xffffff, v6
	s_cbranch_execz .LBB257_1735
; %bb.1728:                             ;   in Loop: Header=BB257_1567 Depth=1
	v_mov_b32_e32 v10, v9
	v_mov_b32_e32 v25, v11
	v_cmp_ne_u32_sdwa s4, v6, v42 src0_sel:BYTE_3 src1_sel:DWORD
	v_mov_b32_e32 v24, v10
	s_and_saveexec_b32 s9, s4
	s_cbranch_execz .LBB257_1734
; %bb.1729:                             ;   in Loop: Header=BB257_1567 Depth=1
	v_mov_b32_e32 v12, v9
	v_mov_b32_e32 v25, v13
	v_bfe_u32 v10, v6, 24, 7
	s_mov_b32 s12, exec_lo
	v_mov_b32_e32 v24, v12
	v_cmpx_ne_u32_e32 0x7f, v10
	s_cbranch_execz .LBB257_1733
; %bb.1730:                             ;   in Loop: Header=BB257_1567 Depth=1
	v_mov_b32_e32 v7, 7
	s_mov_b32 s13, exec_lo
	v_and_b32_sdwa v8, v6, v7 dst_sel:DWORD dst_unused:UNUSED_PAD src0_sel:BYTE_3 src1_sel:DWORD
	v_lshrrev_b32_e32 v7, 3, v10
	v_cmpx_gt_u32_e32 8, v10
; %bb.1731:                             ;   in Loop: Header=BB257_1567 Depth=1
	v_ffbh_u32_e32 v7, v8
	v_min_u32_e32 v7, 32, v7
	v_subrev_nc_u32_e32 v10, 28, v7
	v_sub_nc_u32_e32 v7, 29, v7
	v_lshlrev_b64 v[24:25], v10, v[8:9]
	v_and_b32_e32 v8, 7, v24
; %bb.1732:                             ;   in Loop: Header=BB257_1567 Depth=1
	s_or_b32 exec_lo, exec_lo, s13
	v_mov_b32_e32 v10, 24
	v_lshlrev_b32_e32 v8, 20, v8
	v_lshl_add_u32 v7, v7, 23, 0x3c000000
	v_mov_b32_e32 v24, v9
	v_lshlrev_b32_sdwa v6, v10, v6 dst_sel:DWORD dst_unused:UNUSED_PAD src0_sel:DWORD src1_sel:BYTE_3
	v_and_b32_e32 v6, 0x80000000, v6
	v_or3_b32 v25, v8, v6, v7
.LBB257_1733:                           ;   in Loop: Header=BB257_1567 Depth=1
	s_or_b32 exec_lo, exec_lo, s12
.LBB257_1734:                           ;   in Loop: Header=BB257_1567 Depth=1
	s_or_b32 exec_lo, exec_lo, s9
.LBB257_1735:                           ;   in Loop: Header=BB257_1567 Depth=1
	s_or_b32 exec_lo, exec_lo, s8
	v_or_b32_e32 v6, v21, v19
	v_or_b32_e32 v7, v20, v18
	;; [unrolled: 1-line block ×4, first 2 shown]
	v_mul_f32_e32 v6, v60, v6
	buffer_store_dword v6, off, s[0:3], s32 offset:344 ; 4-byte Folded Spill
	v_mul_f32_e32 v6, v40, v7
	buffer_store_dword v6, off, s[0:3], s32 offset:336 ; 4-byte Folded Spill
	;; [unrolled: 2-line block ×4, first 2 shown]
	s_and_saveexec_b32 s8, vcc_lo
	s_cbranch_execz .LBB257_1737
; %bb.1736:                             ;   in Loop: Header=BB257_1567 Depth=1
	buffer_load_dword v6, off, s[0:3], s32 offset:336 ; 4-byte Folded Reload
	v_cmp_lt_i32_e64 s4, v89, v78
	s_waitcnt vmcnt(0)
	v_cndmask_b32_e64 v6, 0, v6, s4
	v_cmp_lt_i32_e64 s4, v91, v78
	buffer_store_dword v6, off, s[0:3], s32 offset:336 ; 4-byte Folded Spill
	buffer_load_dword v6, off, s[0:3], s32 offset:344 ; 4-byte Folded Reload
	s_waitcnt vmcnt(0)
	v_cndmask_b32_e64 v6, 0, v6, s4
	v_cmp_lt_i32_e64 s4, v90, v78
	buffer_store_dword v6, off, s[0:3], s32 offset:344 ; 4-byte Folded Spill
	buffer_load_dword v6, off, s[0:3], s32 offset:328 ; 4-byte Folded Reload
	;; [unrolled: 5-line block ×3, first 2 shown]
	s_waitcnt vmcnt(0)
	v_cndmask_b32_e64 v6, 0, v6, s4
	buffer_store_dword v6, off, s[0:3], s32 offset:320 ; 4-byte Folded Spill
.LBB257_1737:                           ;   in Loop: Header=BB257_1567 Depth=1
	s_or_b32 exec_lo, exec_lo, s8
	flat_load_dword v6, v[4:5] offset:640
	v_mov_b32_e32 v20, 0
	v_mov_b32_e32 v18, 0
	v_mov_b32_e32 v21, 0
	v_mov_b32_e32 v19, 0
	s_waitcnt vmcnt(0) lgkmcnt(0)
	v_cmp_ne_u16_sdwa s4, v6, v9 src0_sel:BYTE_0 src1_sel:DWORD
	s_and_saveexec_b32 s8, s4
	s_cbranch_execz .LBB257_1745
; %bb.1738:                             ;   in Loop: Header=BB257_1567 Depth=1
	v_bfrev_b32_e32 v18, 1
	v_mov_b32_e32 v19, 0
	v_cmp_ne_u16_sdwa s4, v6, v42 src0_sel:BYTE_0 src1_sel:DWORD
	s_and_saveexec_b32 s9, s4
	s_cbranch_execz .LBB257_1744
; %bb.1739:                             ;   in Loop: Header=BB257_1567 Depth=1
	v_mov_b32_e32 v18, 0x7f800001
	v_and_b32_e32 v10, 0x7f, v6
	v_mov_b32_e32 v19, 0
	s_mov_b32 s12, exec_lo
	v_cmpx_ne_u32_e32 0x7f, v10
	s_cbranch_execz .LBB257_1743
; %bb.1740:                             ;   in Loop: Header=BB257_1567 Depth=1
	v_and_b32_e32 v8, 7, v6
	v_lshrrev_b32_e32 v7, 3, v10
	s_mov_b32 s13, exec_lo
	v_cmpx_gt_u32_e32 8, v10
; %bb.1741:                             ;   in Loop: Header=BB257_1567 Depth=1
	v_ffbh_u32_e32 v7, v8
	v_min_u32_e32 v7, 32, v7
	v_subrev_nc_u32_e32 v10, 28, v7
	v_sub_nc_u32_e32 v7, 29, v7
	v_lshlrev_b64 v[18:19], v10, v[8:9]
	v_and_b32_e32 v8, 7, v18
; %bb.1742:                             ;   in Loop: Header=BB257_1567 Depth=1
	s_or_b32 exec_lo, exec_lo, s13
	v_lshlrev_b32_e32 v10, 24, v6
	v_lshlrev_b32_e32 v8, 20, v8
	v_lshl_add_u32 v7, v7, 23, 0x3c000000
	v_and_b32_e32 v10, 0x80000000, v10
	v_or3_b32 v8, v8, v10, v7
	v_mov_b32_e32 v19, v9
	v_mov_b32_e32 v18, v8
.LBB257_1743:                           ;   in Loop: Header=BB257_1567 Depth=1
	s_or_b32 exec_lo, exec_lo, s12
.LBB257_1744:                           ;   in Loop: Header=BB257_1567 Depth=1
	s_or_b32 exec_lo, exec_lo, s9
.LBB257_1745:                           ;   in Loop: Header=BB257_1567 Depth=1
	s_or_b32 exec_lo, exec_lo, s8
	v_cmp_ne_u16_sdwa s4, v6, v9 src0_sel:BYTE_1 src1_sel:DWORD
	s_and_saveexec_b32 s8, s4
	s_cbranch_execz .LBB257_1753
; %bb.1746:                             ;   in Loop: Header=BB257_1567 Depth=1
	v_mov_b32_e32 v10, v9
	v_mov_b32_e32 v21, v11
	v_cmp_ne_u16_sdwa s4, v6, v42 src0_sel:BYTE_1 src1_sel:DWORD
	v_mov_b32_e32 v20, v10
	s_and_saveexec_b32 s9, s4
	s_cbranch_execz .LBB257_1752
; %bb.1747:                             ;   in Loop: Header=BB257_1567 Depth=1
	v_mov_b32_e32 v7, 0xffff
	v_mov_b32_e32 v12, v9
	;; [unrolled: 1-line block ×3, first 2 shown]
	s_mov_b32 s12, exec_lo
	v_and_b32_sdwa v7, v7, v6 dst_sel:DWORD dst_unused:UNUSED_PAD src0_sel:DWORD src1_sel:BYTE_1
	v_mov_b32_e32 v20, v12
	v_and_b32_e32 v10, 0x7f, v7
	v_cmpx_ne_u32_e32 0x7f, v10
	s_cbranch_execz .LBB257_1751
; %bb.1748:                             ;   in Loop: Header=BB257_1567 Depth=1
	v_and_b32_e32 v8, 7, v7
	v_lshrrev_b32_e32 v7, 3, v10
	s_mov_b32 s13, exec_lo
	v_cmpx_gt_u32_e32 8, v10
; %bb.1749:                             ;   in Loop: Header=BB257_1567 Depth=1
	v_ffbh_u32_e32 v7, v8
	v_min_u32_e32 v7, 32, v7
	v_subrev_nc_u32_e32 v10, 28, v7
	v_sub_nc_u32_e32 v7, 29, v7
	v_lshlrev_b64 v[20:21], v10, v[8:9]
	v_and_b32_e32 v8, 7, v20
; %bb.1750:                             ;   in Loop: Header=BB257_1567 Depth=1
	s_or_b32 exec_lo, exec_lo, s13
	v_lshlrev_b32_e32 v10, 16, v6
	v_lshlrev_b32_e32 v8, 20, v8
	v_lshl_add_u32 v7, v7, 23, 0x3c000000
	v_mov_b32_e32 v20, v9
	v_and_b32_e32 v10, 0x80000000, v10
	v_or3_b32 v21, v8, v10, v7
.LBB257_1751:                           ;   in Loop: Header=BB257_1567 Depth=1
	s_or_b32 exec_lo, exec_lo, s12
.LBB257_1752:                           ;   in Loop: Header=BB257_1567 Depth=1
	s_or_b32 exec_lo, exec_lo, s9
.LBB257_1753:                           ;   in Loop: Header=BB257_1567 Depth=1
	s_or_b32 exec_lo, exec_lo, s8
	v_mov_b32_e32 v24, 0
	v_mov_b32_e32 v22, 0
	v_and_b32_sdwa v7, v6, v44 dst_sel:DWORD dst_unused:UNUSED_PAD src0_sel:WORD_1 src1_sel:DWORD
	v_mov_b32_e32 v25, 0
	v_mov_b32_e32 v23, 0
	s_mov_b32 s8, exec_lo
	v_cmpx_ne_u16_e32 0, v7
	s_cbranch_execz .LBB257_1761
; %bb.1754:                             ;   in Loop: Header=BB257_1567 Depth=1
	v_bfrev_b32_e32 v22, 1
	v_mov_b32_e32 v23, 0
	s_mov_b32 s9, exec_lo
	v_cmpx_ne_u16_e32 0x80, v7
	s_cbranch_execz .LBB257_1760
; %bb.1755:                             ;   in Loop: Header=BB257_1567 Depth=1
	v_mov_b32_e32 v22, 0x7f800001
	v_bfe_u32 v10, v6, 16, 7
	v_mov_b32_e32 v23, 0
	s_mov_b32 s12, exec_lo
	v_cmpx_ne_u32_e32 0x7f, v10
	s_cbranch_execz .LBB257_1759
; %bb.1756:                             ;   in Loop: Header=BB257_1567 Depth=1
	v_mov_b32_e32 v7, 7
	s_mov_b32 s13, exec_lo
	v_and_b32_sdwa v8, v6, v7 dst_sel:DWORD dst_unused:UNUSED_PAD src0_sel:WORD_1 src1_sel:DWORD
	v_lshrrev_b32_e32 v7, 3, v10
	v_cmpx_gt_u32_e32 8, v10
; %bb.1757:                             ;   in Loop: Header=BB257_1567 Depth=1
	v_ffbh_u32_e32 v7, v8
	v_min_u32_e32 v7, 32, v7
	v_subrev_nc_u32_e32 v10, 28, v7
	v_sub_nc_u32_e32 v7, 29, v7
	v_lshlrev_b64 v[22:23], v10, v[8:9]
	v_and_b32_e32 v8, 7, v22
; %bb.1758:                             ;   in Loop: Header=BB257_1567 Depth=1
	s_or_b32 exec_lo, exec_lo, s13
	v_mov_b32_e32 v10, 24
	v_lshlrev_b32_e32 v8, 20, v8
	v_lshl_add_u32 v7, v7, 23, 0x3c000000
	v_lshlrev_b32_sdwa v10, v10, v6 dst_sel:DWORD dst_unused:UNUSED_PAD src0_sel:DWORD src1_sel:WORD_1
	v_and_b32_e32 v10, 0x80000000, v10
	v_or3_b32 v8, v8, v10, v7
	v_mov_b32_e32 v23, v9
	v_mov_b32_e32 v22, v8
.LBB257_1759:                           ;   in Loop: Header=BB257_1567 Depth=1
	s_or_b32 exec_lo, exec_lo, s12
.LBB257_1760:                           ;   in Loop: Header=BB257_1567 Depth=1
	s_or_b32 exec_lo, exec_lo, s9
.LBB257_1761:                           ;   in Loop: Header=BB257_1567 Depth=1
	s_or_b32 exec_lo, exec_lo, s8
	s_mov_b32 s8, exec_lo
	v_cmpx_lt_u32_e32 0xffffff, v6
	s_cbranch_execz .LBB257_1769
; %bb.1762:                             ;   in Loop: Header=BB257_1567 Depth=1
	v_mov_b32_e32 v10, v9
	v_mov_b32_e32 v25, v11
	v_cmp_ne_u32_sdwa s4, v6, v42 src0_sel:BYTE_3 src1_sel:DWORD
	v_mov_b32_e32 v24, v10
	s_and_saveexec_b32 s9, s4
	s_cbranch_execz .LBB257_1768
; %bb.1763:                             ;   in Loop: Header=BB257_1567 Depth=1
	v_mov_b32_e32 v12, v9
	v_mov_b32_e32 v25, v13
	v_bfe_u32 v10, v6, 24, 7
	s_mov_b32 s12, exec_lo
	v_mov_b32_e32 v24, v12
	v_cmpx_ne_u32_e32 0x7f, v10
	s_cbranch_execz .LBB257_1767
; %bb.1764:                             ;   in Loop: Header=BB257_1567 Depth=1
	v_mov_b32_e32 v7, 7
	s_mov_b32 s13, exec_lo
	v_and_b32_sdwa v8, v6, v7 dst_sel:DWORD dst_unused:UNUSED_PAD src0_sel:BYTE_3 src1_sel:DWORD
	v_lshrrev_b32_e32 v7, 3, v10
	v_cmpx_gt_u32_e32 8, v10
; %bb.1765:                             ;   in Loop: Header=BB257_1567 Depth=1
	v_ffbh_u32_e32 v7, v8
	v_min_u32_e32 v7, 32, v7
	v_subrev_nc_u32_e32 v10, 28, v7
	v_sub_nc_u32_e32 v7, 29, v7
	v_lshlrev_b64 v[24:25], v10, v[8:9]
	v_and_b32_e32 v8, 7, v24
; %bb.1766:                             ;   in Loop: Header=BB257_1567 Depth=1
	s_or_b32 exec_lo, exec_lo, s13
	v_mov_b32_e32 v10, 24
	v_lshlrev_b32_e32 v8, 20, v8
	v_lshl_add_u32 v7, v7, 23, 0x3c000000
	v_mov_b32_e32 v24, v9
	v_lshlrev_b32_sdwa v6, v10, v6 dst_sel:DWORD dst_unused:UNUSED_PAD src0_sel:DWORD src1_sel:BYTE_3
	v_and_b32_e32 v6, 0x80000000, v6
	v_or3_b32 v25, v8, v6, v7
.LBB257_1767:                           ;   in Loop: Header=BB257_1567 Depth=1
	s_or_b32 exec_lo, exec_lo, s12
.LBB257_1768:                           ;   in Loop: Header=BB257_1567 Depth=1
	s_or_b32 exec_lo, exec_lo, s9
.LBB257_1769:                           ;   in Loop: Header=BB257_1567 Depth=1
	s_or_b32 exec_lo, exec_lo, s8
	v_or_b32_e32 v6, v21, v19
	v_or_b32_e32 v7, v20, v18
	;; [unrolled: 1-line block ×4, first 2 shown]
	v_mul_f32_e32 v6, v60, v6
	buffer_store_dword v6, off, s[0:3], s32 offset:368 ; 4-byte Folded Spill
	v_mul_f32_e32 v6, v40, v7
	buffer_store_dword v6, off, s[0:3], s32 offset:376 ; 4-byte Folded Spill
	;; [unrolled: 2-line block ×4, first 2 shown]
	s_and_saveexec_b32 s8, vcc_lo
	s_cbranch_execz .LBB257_1771
; %bb.1770:                             ;   in Loop: Header=BB257_1567 Depth=1
	buffer_load_dword v6, off, s[0:3], s32 offset:376 ; 4-byte Folded Reload
	v_cmp_lt_i32_e64 s4, v89, v78
	s_waitcnt vmcnt(0)
	v_cndmask_b32_e64 v6, 0, v6, s4
	v_cmp_lt_i32_e64 s4, v91, v78
	buffer_store_dword v6, off, s[0:3], s32 offset:376 ; 4-byte Folded Spill
	buffer_load_dword v6, off, s[0:3], s32 offset:368 ; 4-byte Folded Reload
	s_waitcnt vmcnt(0)
	v_cndmask_b32_e64 v6, 0, v6, s4
	v_cmp_lt_i32_e64 s4, v90, v78
	buffer_store_dword v6, off, s[0:3], s32 offset:368 ; 4-byte Folded Spill
	buffer_load_dword v6, off, s[0:3], s32 offset:360 ; 4-byte Folded Reload
	s_waitcnt vmcnt(0)
	v_cndmask_b32_e64 v6, 0, v6, s4
	v_cmp_lt_i32_e64 s4, v58, v78
	buffer_store_dword v6, off, s[0:3], s32 offset:360 ; 4-byte Folded Spill
	buffer_load_dword v6, off, s[0:3], s32 offset:352 ; 4-byte Folded Reload
	s_waitcnt vmcnt(0)
	v_cndmask_b32_e64 v6, 0, v6, s4
	buffer_store_dword v6, off, s[0:3], s32 offset:352 ; 4-byte Folded Spill
.LBB257_1771:                           ;   in Loop: Header=BB257_1567 Depth=1
	s_or_b32 exec_lo, exec_lo, s8
	flat_load_dword v6, v[4:5] offset:768
	v_mov_b32_e32 v20, 0
	v_mov_b32_e32 v18, 0
	;; [unrolled: 1-line block ×4, first 2 shown]
	s_waitcnt vmcnt(0) lgkmcnt(0)
	v_cmp_ne_u16_sdwa s4, v6, v9 src0_sel:BYTE_0 src1_sel:DWORD
	s_and_saveexec_b32 s8, s4
	s_cbranch_execz .LBB257_1779
; %bb.1772:                             ;   in Loop: Header=BB257_1567 Depth=1
	v_bfrev_b32_e32 v18, 1
	v_mov_b32_e32 v19, 0
	v_cmp_ne_u16_sdwa s4, v6, v42 src0_sel:BYTE_0 src1_sel:DWORD
	s_and_saveexec_b32 s9, s4
	s_cbranch_execz .LBB257_1778
; %bb.1773:                             ;   in Loop: Header=BB257_1567 Depth=1
	v_mov_b32_e32 v18, 0x7f800001
	v_and_b32_e32 v10, 0x7f, v6
	v_mov_b32_e32 v19, 0
	s_mov_b32 s12, exec_lo
	v_cmpx_ne_u32_e32 0x7f, v10
	s_cbranch_execz .LBB257_1777
; %bb.1774:                             ;   in Loop: Header=BB257_1567 Depth=1
	v_and_b32_e32 v8, 7, v6
	v_lshrrev_b32_e32 v7, 3, v10
	s_mov_b32 s13, exec_lo
	v_cmpx_gt_u32_e32 8, v10
; %bb.1775:                             ;   in Loop: Header=BB257_1567 Depth=1
	v_ffbh_u32_e32 v7, v8
	v_min_u32_e32 v7, 32, v7
	v_subrev_nc_u32_e32 v10, 28, v7
	v_sub_nc_u32_e32 v7, 29, v7
	v_lshlrev_b64 v[18:19], v10, v[8:9]
	v_and_b32_e32 v8, 7, v18
; %bb.1776:                             ;   in Loop: Header=BB257_1567 Depth=1
	s_or_b32 exec_lo, exec_lo, s13
	v_lshlrev_b32_e32 v10, 24, v6
	v_lshlrev_b32_e32 v8, 20, v8
	v_lshl_add_u32 v7, v7, 23, 0x3c000000
	v_and_b32_e32 v10, 0x80000000, v10
	v_or3_b32 v8, v8, v10, v7
	v_mov_b32_e32 v19, v9
	v_mov_b32_e32 v18, v8
.LBB257_1777:                           ;   in Loop: Header=BB257_1567 Depth=1
	s_or_b32 exec_lo, exec_lo, s12
.LBB257_1778:                           ;   in Loop: Header=BB257_1567 Depth=1
	s_or_b32 exec_lo, exec_lo, s9
.LBB257_1779:                           ;   in Loop: Header=BB257_1567 Depth=1
	s_or_b32 exec_lo, exec_lo, s8
	v_cmp_ne_u16_sdwa s4, v6, v9 src0_sel:BYTE_1 src1_sel:DWORD
	s_and_saveexec_b32 s8, s4
	s_cbranch_execz .LBB257_1787
; %bb.1780:                             ;   in Loop: Header=BB257_1567 Depth=1
	v_mov_b32_e32 v10, v9
	v_mov_b32_e32 v21, v11
	v_cmp_ne_u16_sdwa s4, v6, v42 src0_sel:BYTE_1 src1_sel:DWORD
	v_mov_b32_e32 v20, v10
	s_and_saveexec_b32 s9, s4
	s_cbranch_execz .LBB257_1786
; %bb.1781:                             ;   in Loop: Header=BB257_1567 Depth=1
	v_mov_b32_e32 v7, 0xffff
	v_mov_b32_e32 v12, v9
	;; [unrolled: 1-line block ×3, first 2 shown]
	s_mov_b32 s12, exec_lo
	v_and_b32_sdwa v7, v7, v6 dst_sel:DWORD dst_unused:UNUSED_PAD src0_sel:DWORD src1_sel:BYTE_1
	v_mov_b32_e32 v20, v12
	v_and_b32_e32 v10, 0x7f, v7
	v_cmpx_ne_u32_e32 0x7f, v10
	s_cbranch_execz .LBB257_1785
; %bb.1782:                             ;   in Loop: Header=BB257_1567 Depth=1
	v_and_b32_e32 v8, 7, v7
	v_lshrrev_b32_e32 v7, 3, v10
	s_mov_b32 s13, exec_lo
	v_cmpx_gt_u32_e32 8, v10
; %bb.1783:                             ;   in Loop: Header=BB257_1567 Depth=1
	v_ffbh_u32_e32 v7, v8
	v_min_u32_e32 v7, 32, v7
	v_subrev_nc_u32_e32 v10, 28, v7
	v_sub_nc_u32_e32 v7, 29, v7
	v_lshlrev_b64 v[20:21], v10, v[8:9]
	v_and_b32_e32 v8, 7, v20
; %bb.1784:                             ;   in Loop: Header=BB257_1567 Depth=1
	s_or_b32 exec_lo, exec_lo, s13
	v_lshlrev_b32_e32 v10, 16, v6
	v_lshlrev_b32_e32 v8, 20, v8
	v_lshl_add_u32 v7, v7, 23, 0x3c000000
	v_mov_b32_e32 v20, v9
	v_and_b32_e32 v10, 0x80000000, v10
	v_or3_b32 v21, v8, v10, v7
.LBB257_1785:                           ;   in Loop: Header=BB257_1567 Depth=1
	s_or_b32 exec_lo, exec_lo, s12
.LBB257_1786:                           ;   in Loop: Header=BB257_1567 Depth=1
	s_or_b32 exec_lo, exec_lo, s9
.LBB257_1787:                           ;   in Loop: Header=BB257_1567 Depth=1
	s_or_b32 exec_lo, exec_lo, s8
	v_mov_b32_e32 v24, 0
	v_mov_b32_e32 v22, 0
	v_and_b32_sdwa v7, v6, v44 dst_sel:DWORD dst_unused:UNUSED_PAD src0_sel:WORD_1 src1_sel:DWORD
	v_mov_b32_e32 v25, 0
	v_mov_b32_e32 v23, 0
	s_mov_b32 s8, exec_lo
	v_cmpx_ne_u16_e32 0, v7
	s_cbranch_execz .LBB257_1795
; %bb.1788:                             ;   in Loop: Header=BB257_1567 Depth=1
	v_bfrev_b32_e32 v22, 1
	v_mov_b32_e32 v23, 0
	s_mov_b32 s9, exec_lo
	v_cmpx_ne_u16_e32 0x80, v7
	s_cbranch_execz .LBB257_1794
; %bb.1789:                             ;   in Loop: Header=BB257_1567 Depth=1
	v_mov_b32_e32 v22, 0x7f800001
	v_bfe_u32 v10, v6, 16, 7
	v_mov_b32_e32 v23, 0
	s_mov_b32 s12, exec_lo
	v_cmpx_ne_u32_e32 0x7f, v10
	s_cbranch_execz .LBB257_1793
; %bb.1790:                             ;   in Loop: Header=BB257_1567 Depth=1
	v_mov_b32_e32 v7, 7
	s_mov_b32 s13, exec_lo
	v_and_b32_sdwa v8, v6, v7 dst_sel:DWORD dst_unused:UNUSED_PAD src0_sel:WORD_1 src1_sel:DWORD
	v_lshrrev_b32_e32 v7, 3, v10
	v_cmpx_gt_u32_e32 8, v10
; %bb.1791:                             ;   in Loop: Header=BB257_1567 Depth=1
	v_ffbh_u32_e32 v7, v8
	v_min_u32_e32 v7, 32, v7
	v_subrev_nc_u32_e32 v10, 28, v7
	v_sub_nc_u32_e32 v7, 29, v7
	v_lshlrev_b64 v[22:23], v10, v[8:9]
	v_and_b32_e32 v8, 7, v22
; %bb.1792:                             ;   in Loop: Header=BB257_1567 Depth=1
	s_or_b32 exec_lo, exec_lo, s13
	v_mov_b32_e32 v10, 24
	v_lshlrev_b32_e32 v8, 20, v8
	v_lshl_add_u32 v7, v7, 23, 0x3c000000
	v_lshlrev_b32_sdwa v10, v10, v6 dst_sel:DWORD dst_unused:UNUSED_PAD src0_sel:DWORD src1_sel:WORD_1
	v_and_b32_e32 v10, 0x80000000, v10
	v_or3_b32 v8, v8, v10, v7
	v_mov_b32_e32 v23, v9
	v_mov_b32_e32 v22, v8
.LBB257_1793:                           ;   in Loop: Header=BB257_1567 Depth=1
	s_or_b32 exec_lo, exec_lo, s12
.LBB257_1794:                           ;   in Loop: Header=BB257_1567 Depth=1
	s_or_b32 exec_lo, exec_lo, s9
.LBB257_1795:                           ;   in Loop: Header=BB257_1567 Depth=1
	s_or_b32 exec_lo, exec_lo, s8
	s_mov_b32 s8, exec_lo
	v_cmpx_lt_u32_e32 0xffffff, v6
	s_cbranch_execz .LBB257_1803
; %bb.1796:                             ;   in Loop: Header=BB257_1567 Depth=1
	v_mov_b32_e32 v10, v9
	v_mov_b32_e32 v25, v11
	v_cmp_ne_u32_sdwa s4, v6, v42 src0_sel:BYTE_3 src1_sel:DWORD
	v_mov_b32_e32 v24, v10
	s_and_saveexec_b32 s9, s4
	s_cbranch_execz .LBB257_1802
; %bb.1797:                             ;   in Loop: Header=BB257_1567 Depth=1
	v_mov_b32_e32 v12, v9
	v_mov_b32_e32 v25, v13
	v_bfe_u32 v10, v6, 24, 7
	s_mov_b32 s12, exec_lo
	v_mov_b32_e32 v24, v12
	v_cmpx_ne_u32_e32 0x7f, v10
	s_cbranch_execz .LBB257_1801
; %bb.1798:                             ;   in Loop: Header=BB257_1567 Depth=1
	v_mov_b32_e32 v7, 7
	s_mov_b32 s13, exec_lo
	v_and_b32_sdwa v8, v6, v7 dst_sel:DWORD dst_unused:UNUSED_PAD src0_sel:BYTE_3 src1_sel:DWORD
	v_lshrrev_b32_e32 v7, 3, v10
	v_cmpx_gt_u32_e32 8, v10
; %bb.1799:                             ;   in Loop: Header=BB257_1567 Depth=1
	v_ffbh_u32_e32 v7, v8
	v_min_u32_e32 v7, 32, v7
	v_subrev_nc_u32_e32 v10, 28, v7
	v_sub_nc_u32_e32 v7, 29, v7
	v_lshlrev_b64 v[24:25], v10, v[8:9]
	v_and_b32_e32 v8, 7, v24
; %bb.1800:                             ;   in Loop: Header=BB257_1567 Depth=1
	s_or_b32 exec_lo, exec_lo, s13
	v_mov_b32_e32 v10, 24
	v_lshlrev_b32_e32 v8, 20, v8
	v_lshl_add_u32 v7, v7, 23, 0x3c000000
	v_mov_b32_e32 v24, v9
	v_lshlrev_b32_sdwa v6, v10, v6 dst_sel:DWORD dst_unused:UNUSED_PAD src0_sel:DWORD src1_sel:BYTE_3
	v_and_b32_e32 v6, 0x80000000, v6
	v_or3_b32 v25, v8, v6, v7
.LBB257_1801:                           ;   in Loop: Header=BB257_1567 Depth=1
	s_or_b32 exec_lo, exec_lo, s12
.LBB257_1802:                           ;   in Loop: Header=BB257_1567 Depth=1
	s_or_b32 exec_lo, exec_lo, s9
.LBB257_1803:                           ;   in Loop: Header=BB257_1567 Depth=1
	s_or_b32 exec_lo, exec_lo, s8
	v_or_b32_e32 v6, v21, v19
	v_or_b32_e32 v7, v20, v18
	;; [unrolled: 1-line block ×4, first 2 shown]
	v_mul_f32_e32 v6, v60, v6
	buffer_store_dword v6, off, s[0:3], s32 offset:400 ; 4-byte Folded Spill
	v_mul_f32_e32 v6, v40, v7
	buffer_store_dword v6, off, s[0:3], s32 offset:408 ; 4-byte Folded Spill
	v_mul_f32_e32 v6, v40, v8
	buffer_store_dword v6, off, s[0:3], s32 offset:392 ; 4-byte Folded Spill
	v_mul_f32_e32 v6, v60, v10
	buffer_store_dword v6, off, s[0:3], s32 offset:384 ; 4-byte Folded Spill
	s_and_saveexec_b32 s8, vcc_lo
	s_cbranch_execz .LBB257_1805
; %bb.1804:                             ;   in Loop: Header=BB257_1567 Depth=1
	buffer_load_dword v6, off, s[0:3], s32 offset:408 ; 4-byte Folded Reload
	v_cmp_lt_i32_e64 s4, v89, v78
	s_waitcnt vmcnt(0)
	v_cndmask_b32_e64 v6, 0, v6, s4
	v_cmp_lt_i32_e64 s4, v91, v78
	buffer_store_dword v6, off, s[0:3], s32 offset:408 ; 4-byte Folded Spill
	buffer_load_dword v6, off, s[0:3], s32 offset:400 ; 4-byte Folded Reload
	s_waitcnt vmcnt(0)
	v_cndmask_b32_e64 v6, 0, v6, s4
	v_cmp_lt_i32_e64 s4, v90, v78
	buffer_store_dword v6, off, s[0:3], s32 offset:400 ; 4-byte Folded Spill
	buffer_load_dword v6, off, s[0:3], s32 offset:392 ; 4-byte Folded Reload
	s_waitcnt vmcnt(0)
	v_cndmask_b32_e64 v6, 0, v6, s4
	v_cmp_lt_i32_e64 s4, v58, v78
	buffer_store_dword v6, off, s[0:3], s32 offset:392 ; 4-byte Folded Spill
	buffer_load_dword v6, off, s[0:3], s32 offset:384 ; 4-byte Folded Reload
	s_waitcnt vmcnt(0)
	v_cndmask_b32_e64 v6, 0, v6, s4
	buffer_store_dword v6, off, s[0:3], s32 offset:384 ; 4-byte Folded Spill
.LBB257_1805:                           ;   in Loop: Header=BB257_1567 Depth=1
	s_or_b32 exec_lo, exec_lo, s8
	flat_load_dword v6, v[4:5] offset:896
	v_mov_b32_e32 v20, 0
	v_mov_b32_e32 v18, 0
	;; [unrolled: 1-line block ×4, first 2 shown]
	s_waitcnt vmcnt(0) lgkmcnt(0)
	v_cmp_ne_u16_sdwa s4, v6, v9 src0_sel:BYTE_0 src1_sel:DWORD
	s_and_saveexec_b32 s8, s4
	s_cbranch_execz .LBB257_1813
; %bb.1806:                             ;   in Loop: Header=BB257_1567 Depth=1
	v_bfrev_b32_e32 v18, 1
	v_mov_b32_e32 v19, 0
	v_cmp_ne_u16_sdwa s4, v6, v42 src0_sel:BYTE_0 src1_sel:DWORD
	s_and_saveexec_b32 s9, s4
	s_cbranch_execz .LBB257_1812
; %bb.1807:                             ;   in Loop: Header=BB257_1567 Depth=1
	v_mov_b32_e32 v18, 0x7f800001
	v_and_b32_e32 v10, 0x7f, v6
	v_mov_b32_e32 v19, 0
	s_mov_b32 s12, exec_lo
	v_cmpx_ne_u32_e32 0x7f, v10
	s_cbranch_execz .LBB257_1811
; %bb.1808:                             ;   in Loop: Header=BB257_1567 Depth=1
	v_and_b32_e32 v8, 7, v6
	v_lshrrev_b32_e32 v7, 3, v10
	s_mov_b32 s13, exec_lo
	v_cmpx_gt_u32_e32 8, v10
; %bb.1809:                             ;   in Loop: Header=BB257_1567 Depth=1
	v_ffbh_u32_e32 v7, v8
	v_min_u32_e32 v7, 32, v7
	v_subrev_nc_u32_e32 v10, 28, v7
	v_sub_nc_u32_e32 v7, 29, v7
	v_lshlrev_b64 v[18:19], v10, v[8:9]
	v_and_b32_e32 v8, 7, v18
; %bb.1810:                             ;   in Loop: Header=BB257_1567 Depth=1
	s_or_b32 exec_lo, exec_lo, s13
	v_lshlrev_b32_e32 v10, 24, v6
	v_lshlrev_b32_e32 v8, 20, v8
	v_lshl_add_u32 v7, v7, 23, 0x3c000000
	v_and_b32_e32 v10, 0x80000000, v10
	v_or3_b32 v8, v8, v10, v7
	v_mov_b32_e32 v19, v9
	v_mov_b32_e32 v18, v8
.LBB257_1811:                           ;   in Loop: Header=BB257_1567 Depth=1
	s_or_b32 exec_lo, exec_lo, s12
.LBB257_1812:                           ;   in Loop: Header=BB257_1567 Depth=1
	s_or_b32 exec_lo, exec_lo, s9
.LBB257_1813:                           ;   in Loop: Header=BB257_1567 Depth=1
	s_or_b32 exec_lo, exec_lo, s8
	v_cmp_ne_u16_sdwa s4, v6, v9 src0_sel:BYTE_1 src1_sel:DWORD
	s_and_saveexec_b32 s8, s4
	s_cbranch_execz .LBB257_1821
; %bb.1814:                             ;   in Loop: Header=BB257_1567 Depth=1
	v_mov_b32_e32 v10, v9
	v_mov_b32_e32 v21, v11
	v_cmp_ne_u16_sdwa s4, v6, v42 src0_sel:BYTE_1 src1_sel:DWORD
	v_mov_b32_e32 v20, v10
	s_and_saveexec_b32 s9, s4
	s_cbranch_execz .LBB257_1820
; %bb.1815:                             ;   in Loop: Header=BB257_1567 Depth=1
	v_mov_b32_e32 v7, 0xffff
	v_mov_b32_e32 v12, v9
	;; [unrolled: 1-line block ×3, first 2 shown]
	s_mov_b32 s12, exec_lo
	v_and_b32_sdwa v7, v7, v6 dst_sel:DWORD dst_unused:UNUSED_PAD src0_sel:DWORD src1_sel:BYTE_1
	v_mov_b32_e32 v20, v12
	v_and_b32_e32 v10, 0x7f, v7
	v_cmpx_ne_u32_e32 0x7f, v10
	s_cbranch_execz .LBB257_1819
; %bb.1816:                             ;   in Loop: Header=BB257_1567 Depth=1
	v_and_b32_e32 v8, 7, v7
	v_lshrrev_b32_e32 v7, 3, v10
	s_mov_b32 s13, exec_lo
	v_cmpx_gt_u32_e32 8, v10
; %bb.1817:                             ;   in Loop: Header=BB257_1567 Depth=1
	v_ffbh_u32_e32 v7, v8
	v_min_u32_e32 v7, 32, v7
	v_subrev_nc_u32_e32 v10, 28, v7
	v_sub_nc_u32_e32 v7, 29, v7
	v_lshlrev_b64 v[20:21], v10, v[8:9]
	v_and_b32_e32 v8, 7, v20
; %bb.1818:                             ;   in Loop: Header=BB257_1567 Depth=1
	s_or_b32 exec_lo, exec_lo, s13
	v_lshlrev_b32_e32 v10, 16, v6
	v_lshlrev_b32_e32 v8, 20, v8
	v_lshl_add_u32 v7, v7, 23, 0x3c000000
	v_mov_b32_e32 v20, v9
	v_and_b32_e32 v10, 0x80000000, v10
	v_or3_b32 v21, v8, v10, v7
.LBB257_1819:                           ;   in Loop: Header=BB257_1567 Depth=1
	s_or_b32 exec_lo, exec_lo, s12
.LBB257_1820:                           ;   in Loop: Header=BB257_1567 Depth=1
	s_or_b32 exec_lo, exec_lo, s9
.LBB257_1821:                           ;   in Loop: Header=BB257_1567 Depth=1
	s_or_b32 exec_lo, exec_lo, s8
	v_mov_b32_e32 v22, 0
	v_mov_b32_e32 v24, 0
	v_and_b32_sdwa v7, v6, v44 dst_sel:DWORD dst_unused:UNUSED_PAD src0_sel:WORD_1 src1_sel:DWORD
	v_mov_b32_e32 v23, 0
	v_mov_b32_e32 v25, 0
	s_mov_b32 s8, exec_lo
	v_cmpx_ne_u16_e32 0, v7
	s_cbranch_execz .LBB257_1829
; %bb.1822:                             ;   in Loop: Header=BB257_1567 Depth=1
	v_bfrev_b32_e32 v24, 1
	v_mov_b32_e32 v25, 0
	s_mov_b32 s9, exec_lo
	v_cmpx_ne_u16_e32 0x80, v7
	s_cbranch_execz .LBB257_1828
; %bb.1823:                             ;   in Loop: Header=BB257_1567 Depth=1
	v_mov_b32_e32 v24, 0x7f800001
	v_bfe_u32 v10, v6, 16, 7
	v_mov_b32_e32 v25, 0
	s_mov_b32 s12, exec_lo
	v_cmpx_ne_u32_e32 0x7f, v10
	s_cbranch_execz .LBB257_1827
; %bb.1824:                             ;   in Loop: Header=BB257_1567 Depth=1
	v_mov_b32_e32 v7, 7
	s_mov_b32 s13, exec_lo
	v_and_b32_sdwa v8, v6, v7 dst_sel:DWORD dst_unused:UNUSED_PAD src0_sel:WORD_1 src1_sel:DWORD
	v_lshrrev_b32_e32 v7, 3, v10
	v_cmpx_gt_u32_e32 8, v10
; %bb.1825:                             ;   in Loop: Header=BB257_1567 Depth=1
	v_ffbh_u32_e32 v7, v8
	v_min_u32_e32 v7, 32, v7
	v_subrev_nc_u32_e32 v10, 28, v7
	v_sub_nc_u32_e32 v7, 29, v7
	v_lshlrev_b64 v[24:25], v10, v[8:9]
	v_and_b32_e32 v8, 7, v24
; %bb.1826:                             ;   in Loop: Header=BB257_1567 Depth=1
	s_or_b32 exec_lo, exec_lo, s13
	v_mov_b32_e32 v10, 24
	v_lshlrev_b32_e32 v8, 20, v8
	v_lshl_add_u32 v7, v7, 23, 0x3c000000
	v_lshlrev_b32_sdwa v10, v10, v6 dst_sel:DWORD dst_unused:UNUSED_PAD src0_sel:DWORD src1_sel:WORD_1
	v_and_b32_e32 v10, 0x80000000, v10
	v_or3_b32 v8, v8, v10, v7
	v_mov_b32_e32 v25, v9
	v_mov_b32_e32 v24, v8
.LBB257_1827:                           ;   in Loop: Header=BB257_1567 Depth=1
	s_or_b32 exec_lo, exec_lo, s12
.LBB257_1828:                           ;   in Loop: Header=BB257_1567 Depth=1
	s_or_b32 exec_lo, exec_lo, s9
.LBB257_1829:                           ;   in Loop: Header=BB257_1567 Depth=1
	s_or_b32 exec_lo, exec_lo, s8
	s_mov_b32 s8, exec_lo
	v_cmpx_lt_u32_e32 0xffffff, v6
	s_cbranch_execz .LBB257_1837
; %bb.1830:                             ;   in Loop: Header=BB257_1567 Depth=1
	v_mov_b32_e32 v10, v9
	v_mov_b32_e32 v23, v11
	v_cmp_ne_u32_sdwa s4, v6, v42 src0_sel:BYTE_3 src1_sel:DWORD
	v_mov_b32_e32 v22, v10
	s_and_saveexec_b32 s9, s4
	s_cbranch_execz .LBB257_1836
; %bb.1831:                             ;   in Loop: Header=BB257_1567 Depth=1
	v_mov_b32_e32 v12, v9
	v_mov_b32_e32 v23, v13
	v_bfe_u32 v10, v6, 24, 7
	s_mov_b32 s12, exec_lo
	v_mov_b32_e32 v22, v12
	v_cmpx_ne_u32_e32 0x7f, v10
	s_cbranch_execz .LBB257_1835
; %bb.1832:                             ;   in Loop: Header=BB257_1567 Depth=1
	v_mov_b32_e32 v7, 7
	s_mov_b32 s13, exec_lo
	v_and_b32_sdwa v8, v6, v7 dst_sel:DWORD dst_unused:UNUSED_PAD src0_sel:BYTE_3 src1_sel:DWORD
	v_lshrrev_b32_e32 v7, 3, v10
	v_cmpx_gt_u32_e32 8, v10
; %bb.1833:                             ;   in Loop: Header=BB257_1567 Depth=1
	v_ffbh_u32_e32 v7, v8
	v_min_u32_e32 v7, 32, v7
	v_subrev_nc_u32_e32 v10, 28, v7
	v_sub_nc_u32_e32 v7, 29, v7
	v_lshlrev_b64 v[22:23], v10, v[8:9]
	v_and_b32_e32 v8, 7, v22
; %bb.1834:                             ;   in Loop: Header=BB257_1567 Depth=1
	s_or_b32 exec_lo, exec_lo, s13
	v_mov_b32_e32 v10, 24
	v_lshlrev_b32_e32 v8, 20, v8
	v_lshl_add_u32 v7, v7, 23, 0x3c000000
	v_mov_b32_e32 v22, v9
	v_lshlrev_b32_sdwa v6, v10, v6 dst_sel:DWORD dst_unused:UNUSED_PAD src0_sel:DWORD src1_sel:BYTE_3
	v_and_b32_e32 v6, 0x80000000, v6
	v_or3_b32 v23, v8, v6, v7
.LBB257_1835:                           ;   in Loop: Header=BB257_1567 Depth=1
	s_or_b32 exec_lo, exec_lo, s12
.LBB257_1836:                           ;   in Loop: Header=BB257_1567 Depth=1
	s_or_b32 exec_lo, exec_lo, s9
.LBB257_1837:                           ;   in Loop: Header=BB257_1567 Depth=1
	s_or_b32 exec_lo, exec_lo, s8
	v_or_b32_e32 v6, v21, v19
	v_or_b32_e32 v7, v20, v18
	;; [unrolled: 1-line block ×4, first 2 shown]
	v_mul_f32_e32 v6, v60, v6
	buffer_store_dword v6, off, s[0:3], s32 offset:432 ; 4-byte Folded Spill
	v_mul_f32_e32 v6, v40, v7
	buffer_store_dword v6, off, s[0:3], s32 offset:440 ; 4-byte Folded Spill
	;; [unrolled: 2-line block ×4, first 2 shown]
	s_and_saveexec_b32 s8, vcc_lo
	s_cbranch_execz .LBB257_1839
; %bb.1838:                             ;   in Loop: Header=BB257_1567 Depth=1
	buffer_load_dword v6, off, s[0:3], s32 offset:440 ; 4-byte Folded Reload
	v_cmp_lt_i32_e64 s4, v89, v78
	s_waitcnt vmcnt(0)
	v_cndmask_b32_e64 v6, 0, v6, s4
	v_cmp_lt_i32_e64 s4, v91, v78
	buffer_store_dword v6, off, s[0:3], s32 offset:440 ; 4-byte Folded Spill
	buffer_load_dword v6, off, s[0:3], s32 offset:432 ; 4-byte Folded Reload
	s_waitcnt vmcnt(0)
	v_cndmask_b32_e64 v6, 0, v6, s4
	v_cmp_lt_i32_e64 s4, v90, v78
	buffer_store_dword v6, off, s[0:3], s32 offset:432 ; 4-byte Folded Spill
	buffer_load_dword v6, off, s[0:3], s32 offset:424 ; 4-byte Folded Reload
	;; [unrolled: 5-line block ×3, first 2 shown]
	s_waitcnt vmcnt(0)
	v_cndmask_b32_e64 v6, 0, v6, s4
	buffer_store_dword v6, off, s[0:3], s32 offset:416 ; 4-byte Folded Spill
.LBB257_1839:                           ;   in Loop: Header=BB257_1567 Depth=1
	s_or_b32 exec_lo, exec_lo, s8
	flat_load_dword v6, v[4:5] offset:1024
	v_mov_b32_e32 v20, 0
	v_mov_b32_e32 v18, 0
	;; [unrolled: 1-line block ×4, first 2 shown]
	s_waitcnt vmcnt(0) lgkmcnt(0)
	v_cmp_ne_u16_sdwa s4, v6, v9 src0_sel:BYTE_0 src1_sel:DWORD
	s_and_saveexec_b32 s8, s4
	s_cbranch_execz .LBB257_1847
; %bb.1840:                             ;   in Loop: Header=BB257_1567 Depth=1
	v_bfrev_b32_e32 v18, 1
	v_mov_b32_e32 v19, 0
	v_cmp_ne_u16_sdwa s4, v6, v42 src0_sel:BYTE_0 src1_sel:DWORD
	s_and_saveexec_b32 s9, s4
	s_cbranch_execz .LBB257_1846
; %bb.1841:                             ;   in Loop: Header=BB257_1567 Depth=1
	v_mov_b32_e32 v18, 0x7f800001
	v_and_b32_e32 v10, 0x7f, v6
	v_mov_b32_e32 v19, 0
	s_mov_b32 s12, exec_lo
	v_cmpx_ne_u32_e32 0x7f, v10
	s_cbranch_execz .LBB257_1845
; %bb.1842:                             ;   in Loop: Header=BB257_1567 Depth=1
	v_and_b32_e32 v8, 7, v6
	v_lshrrev_b32_e32 v7, 3, v10
	s_mov_b32 s13, exec_lo
	v_cmpx_gt_u32_e32 8, v10
; %bb.1843:                             ;   in Loop: Header=BB257_1567 Depth=1
	v_ffbh_u32_e32 v7, v8
	v_min_u32_e32 v7, 32, v7
	v_subrev_nc_u32_e32 v10, 28, v7
	v_sub_nc_u32_e32 v7, 29, v7
	v_lshlrev_b64 v[18:19], v10, v[8:9]
	v_and_b32_e32 v8, 7, v18
; %bb.1844:                             ;   in Loop: Header=BB257_1567 Depth=1
	s_or_b32 exec_lo, exec_lo, s13
	v_lshlrev_b32_e32 v10, 24, v6
	v_lshlrev_b32_e32 v8, 20, v8
	v_lshl_add_u32 v7, v7, 23, 0x3c000000
	v_and_b32_e32 v10, 0x80000000, v10
	v_or3_b32 v8, v8, v10, v7
	v_mov_b32_e32 v19, v9
	v_mov_b32_e32 v18, v8
.LBB257_1845:                           ;   in Loop: Header=BB257_1567 Depth=1
	s_or_b32 exec_lo, exec_lo, s12
.LBB257_1846:                           ;   in Loop: Header=BB257_1567 Depth=1
	s_or_b32 exec_lo, exec_lo, s9
.LBB257_1847:                           ;   in Loop: Header=BB257_1567 Depth=1
	s_or_b32 exec_lo, exec_lo, s8
	v_cmp_ne_u16_sdwa s4, v6, v9 src0_sel:BYTE_1 src1_sel:DWORD
	s_and_saveexec_b32 s8, s4
	s_cbranch_execz .LBB257_1855
; %bb.1848:                             ;   in Loop: Header=BB257_1567 Depth=1
	v_mov_b32_e32 v10, v9
	v_mov_b32_e32 v21, v11
	v_cmp_ne_u16_sdwa s4, v6, v42 src0_sel:BYTE_1 src1_sel:DWORD
	v_mov_b32_e32 v20, v10
	s_and_saveexec_b32 s9, s4
	s_cbranch_execz .LBB257_1854
; %bb.1849:                             ;   in Loop: Header=BB257_1567 Depth=1
	v_mov_b32_e32 v7, 0xffff
	v_mov_b32_e32 v12, v9
	;; [unrolled: 1-line block ×3, first 2 shown]
	s_mov_b32 s12, exec_lo
	v_and_b32_sdwa v7, v7, v6 dst_sel:DWORD dst_unused:UNUSED_PAD src0_sel:DWORD src1_sel:BYTE_1
	v_mov_b32_e32 v20, v12
	v_and_b32_e32 v10, 0x7f, v7
	v_cmpx_ne_u32_e32 0x7f, v10
	s_cbranch_execz .LBB257_1853
; %bb.1850:                             ;   in Loop: Header=BB257_1567 Depth=1
	v_and_b32_e32 v8, 7, v7
	v_lshrrev_b32_e32 v7, 3, v10
	s_mov_b32 s13, exec_lo
	v_cmpx_gt_u32_e32 8, v10
; %bb.1851:                             ;   in Loop: Header=BB257_1567 Depth=1
	v_ffbh_u32_e32 v7, v8
	v_min_u32_e32 v7, 32, v7
	v_subrev_nc_u32_e32 v10, 28, v7
	v_sub_nc_u32_e32 v7, 29, v7
	v_lshlrev_b64 v[20:21], v10, v[8:9]
	v_and_b32_e32 v8, 7, v20
; %bb.1852:                             ;   in Loop: Header=BB257_1567 Depth=1
	s_or_b32 exec_lo, exec_lo, s13
	v_lshlrev_b32_e32 v10, 16, v6
	v_lshlrev_b32_e32 v8, 20, v8
	v_lshl_add_u32 v7, v7, 23, 0x3c000000
	v_mov_b32_e32 v20, v9
	v_and_b32_e32 v10, 0x80000000, v10
	v_or3_b32 v21, v8, v10, v7
.LBB257_1853:                           ;   in Loop: Header=BB257_1567 Depth=1
	s_or_b32 exec_lo, exec_lo, s12
.LBB257_1854:                           ;   in Loop: Header=BB257_1567 Depth=1
	s_or_b32 exec_lo, exec_lo, s9
.LBB257_1855:                           ;   in Loop: Header=BB257_1567 Depth=1
	s_or_b32 exec_lo, exec_lo, s8
	v_mov_b32_e32 v22, 0
	v_mov_b32_e32 v24, 0
	v_and_b32_sdwa v7, v6, v44 dst_sel:DWORD dst_unused:UNUSED_PAD src0_sel:WORD_1 src1_sel:DWORD
	v_mov_b32_e32 v23, 0
	v_mov_b32_e32 v25, 0
	s_mov_b32 s8, exec_lo
	v_cmpx_ne_u16_e32 0, v7
	s_cbranch_execz .LBB257_1863
; %bb.1856:                             ;   in Loop: Header=BB257_1567 Depth=1
	v_bfrev_b32_e32 v24, 1
	v_mov_b32_e32 v25, 0
	s_mov_b32 s9, exec_lo
	v_cmpx_ne_u16_e32 0x80, v7
	s_cbranch_execz .LBB257_1862
; %bb.1857:                             ;   in Loop: Header=BB257_1567 Depth=1
	v_mov_b32_e32 v24, 0x7f800001
	v_bfe_u32 v10, v6, 16, 7
	v_mov_b32_e32 v25, 0
	s_mov_b32 s12, exec_lo
	v_cmpx_ne_u32_e32 0x7f, v10
	s_cbranch_execz .LBB257_1861
; %bb.1858:                             ;   in Loop: Header=BB257_1567 Depth=1
	v_mov_b32_e32 v7, 7
	s_mov_b32 s13, exec_lo
	v_and_b32_sdwa v8, v6, v7 dst_sel:DWORD dst_unused:UNUSED_PAD src0_sel:WORD_1 src1_sel:DWORD
	v_lshrrev_b32_e32 v7, 3, v10
	v_cmpx_gt_u32_e32 8, v10
; %bb.1859:                             ;   in Loop: Header=BB257_1567 Depth=1
	v_ffbh_u32_e32 v7, v8
	v_min_u32_e32 v7, 32, v7
	v_subrev_nc_u32_e32 v10, 28, v7
	v_sub_nc_u32_e32 v7, 29, v7
	v_lshlrev_b64 v[24:25], v10, v[8:9]
	v_and_b32_e32 v8, 7, v24
; %bb.1860:                             ;   in Loop: Header=BB257_1567 Depth=1
	s_or_b32 exec_lo, exec_lo, s13
	v_mov_b32_e32 v10, 24
	v_lshlrev_b32_e32 v8, 20, v8
	v_lshl_add_u32 v7, v7, 23, 0x3c000000
	v_lshlrev_b32_sdwa v10, v10, v6 dst_sel:DWORD dst_unused:UNUSED_PAD src0_sel:DWORD src1_sel:WORD_1
	v_and_b32_e32 v10, 0x80000000, v10
	v_or3_b32 v8, v8, v10, v7
	v_mov_b32_e32 v25, v9
	v_mov_b32_e32 v24, v8
.LBB257_1861:                           ;   in Loop: Header=BB257_1567 Depth=1
	s_or_b32 exec_lo, exec_lo, s12
.LBB257_1862:                           ;   in Loop: Header=BB257_1567 Depth=1
	s_or_b32 exec_lo, exec_lo, s9
.LBB257_1863:                           ;   in Loop: Header=BB257_1567 Depth=1
	s_or_b32 exec_lo, exec_lo, s8
	s_mov_b32 s8, exec_lo
	v_cmpx_lt_u32_e32 0xffffff, v6
	s_cbranch_execz .LBB257_1871
; %bb.1864:                             ;   in Loop: Header=BB257_1567 Depth=1
	v_mov_b32_e32 v10, v9
	v_mov_b32_e32 v23, v11
	v_cmp_ne_u32_sdwa s4, v6, v42 src0_sel:BYTE_3 src1_sel:DWORD
	v_mov_b32_e32 v22, v10
	s_and_saveexec_b32 s9, s4
	s_cbranch_execz .LBB257_1870
; %bb.1865:                             ;   in Loop: Header=BB257_1567 Depth=1
	v_mov_b32_e32 v12, v9
	v_mov_b32_e32 v23, v13
	v_bfe_u32 v10, v6, 24, 7
	s_mov_b32 s12, exec_lo
	v_mov_b32_e32 v22, v12
	v_cmpx_ne_u32_e32 0x7f, v10
	s_cbranch_execz .LBB257_1869
; %bb.1866:                             ;   in Loop: Header=BB257_1567 Depth=1
	v_mov_b32_e32 v7, 7
	s_mov_b32 s13, exec_lo
	v_and_b32_sdwa v8, v6, v7 dst_sel:DWORD dst_unused:UNUSED_PAD src0_sel:BYTE_3 src1_sel:DWORD
	v_lshrrev_b32_e32 v7, 3, v10
	v_cmpx_gt_u32_e32 8, v10
; %bb.1867:                             ;   in Loop: Header=BB257_1567 Depth=1
	v_ffbh_u32_e32 v7, v8
	v_min_u32_e32 v7, 32, v7
	v_subrev_nc_u32_e32 v10, 28, v7
	v_sub_nc_u32_e32 v7, 29, v7
	v_lshlrev_b64 v[22:23], v10, v[8:9]
	v_and_b32_e32 v8, 7, v22
; %bb.1868:                             ;   in Loop: Header=BB257_1567 Depth=1
	s_or_b32 exec_lo, exec_lo, s13
	v_mov_b32_e32 v10, 24
	v_lshlrev_b32_e32 v8, 20, v8
	v_lshl_add_u32 v7, v7, 23, 0x3c000000
	v_mov_b32_e32 v22, v9
	v_lshlrev_b32_sdwa v6, v10, v6 dst_sel:DWORD dst_unused:UNUSED_PAD src0_sel:DWORD src1_sel:BYTE_3
	v_and_b32_e32 v6, 0x80000000, v6
	v_or3_b32 v23, v8, v6, v7
.LBB257_1869:                           ;   in Loop: Header=BB257_1567 Depth=1
	s_or_b32 exec_lo, exec_lo, s12
.LBB257_1870:                           ;   in Loop: Header=BB257_1567 Depth=1
	s_or_b32 exec_lo, exec_lo, s9
.LBB257_1871:                           ;   in Loop: Header=BB257_1567 Depth=1
	s_or_b32 exec_lo, exec_lo, s8
	v_or_b32_e32 v6, v21, v19
	v_or_b32_e32 v7, v20, v18
	;; [unrolled: 1-line block ×4, first 2 shown]
	v_mul_f32_e32 v6, v60, v6
	buffer_store_dword v6, off, s[0:3], s32 offset:472 ; 4-byte Folded Spill
	v_mul_f32_e32 v6, v40, v7
	buffer_store_dword v6, off, s[0:3], s32 offset:464 ; 4-byte Folded Spill
	;; [unrolled: 2-line block ×4, first 2 shown]
	s_and_saveexec_b32 s8, vcc_lo
	s_cbranch_execz .LBB257_1873
; %bb.1872:                             ;   in Loop: Header=BB257_1567 Depth=1
	buffer_load_dword v6, off, s[0:3], s32 offset:464 ; 4-byte Folded Reload
	v_cmp_lt_i32_e64 s4, v89, v78
	s_waitcnt vmcnt(0)
	v_cndmask_b32_e64 v6, 0, v6, s4
	v_cmp_lt_i32_e64 s4, v91, v78
	buffer_store_dword v6, off, s[0:3], s32 offset:464 ; 4-byte Folded Spill
	buffer_load_dword v6, off, s[0:3], s32 offset:472 ; 4-byte Folded Reload
	s_waitcnt vmcnt(0)
	v_cndmask_b32_e64 v6, 0, v6, s4
	v_cmp_lt_i32_e64 s4, v90, v78
	buffer_store_dword v6, off, s[0:3], s32 offset:472 ; 4-byte Folded Spill
	buffer_load_dword v6, off, s[0:3], s32 offset:456 ; 4-byte Folded Reload
	;; [unrolled: 5-line block ×3, first 2 shown]
	s_waitcnt vmcnt(0)
	v_cndmask_b32_e64 v6, 0, v6, s4
	buffer_store_dword v6, off, s[0:3], s32 offset:448 ; 4-byte Folded Spill
.LBB257_1873:                           ;   in Loop: Header=BB257_1567 Depth=1
	s_or_b32 exec_lo, exec_lo, s8
	flat_load_dword v6, v[4:5] offset:1152
	v_mov_b32_e32 v20, 0
	v_mov_b32_e32 v18, 0
	;; [unrolled: 1-line block ×4, first 2 shown]
	s_waitcnt vmcnt(0) lgkmcnt(0)
	v_cmp_ne_u16_sdwa s4, v6, v9 src0_sel:BYTE_0 src1_sel:DWORD
	s_and_saveexec_b32 s8, s4
	s_cbranch_execz .LBB257_1881
; %bb.1874:                             ;   in Loop: Header=BB257_1567 Depth=1
	v_bfrev_b32_e32 v18, 1
	v_mov_b32_e32 v19, 0
	v_cmp_ne_u16_sdwa s4, v6, v42 src0_sel:BYTE_0 src1_sel:DWORD
	s_and_saveexec_b32 s9, s4
	s_cbranch_execz .LBB257_1880
; %bb.1875:                             ;   in Loop: Header=BB257_1567 Depth=1
	v_mov_b32_e32 v18, 0x7f800001
	v_and_b32_e32 v10, 0x7f, v6
	v_mov_b32_e32 v19, 0
	s_mov_b32 s12, exec_lo
	v_cmpx_ne_u32_e32 0x7f, v10
	s_cbranch_execz .LBB257_1879
; %bb.1876:                             ;   in Loop: Header=BB257_1567 Depth=1
	v_and_b32_e32 v8, 7, v6
	v_lshrrev_b32_e32 v7, 3, v10
	s_mov_b32 s13, exec_lo
	v_cmpx_gt_u32_e32 8, v10
; %bb.1877:                             ;   in Loop: Header=BB257_1567 Depth=1
	v_ffbh_u32_e32 v7, v8
	v_min_u32_e32 v7, 32, v7
	v_subrev_nc_u32_e32 v10, 28, v7
	v_sub_nc_u32_e32 v7, 29, v7
	v_lshlrev_b64 v[18:19], v10, v[8:9]
	v_and_b32_e32 v8, 7, v18
; %bb.1878:                             ;   in Loop: Header=BB257_1567 Depth=1
	s_or_b32 exec_lo, exec_lo, s13
	v_lshlrev_b32_e32 v10, 24, v6
	v_lshlrev_b32_e32 v8, 20, v8
	v_lshl_add_u32 v7, v7, 23, 0x3c000000
	v_and_b32_e32 v10, 0x80000000, v10
	v_or3_b32 v8, v8, v10, v7
	v_mov_b32_e32 v19, v9
	v_mov_b32_e32 v18, v8
.LBB257_1879:                           ;   in Loop: Header=BB257_1567 Depth=1
	s_or_b32 exec_lo, exec_lo, s12
.LBB257_1880:                           ;   in Loop: Header=BB257_1567 Depth=1
	s_or_b32 exec_lo, exec_lo, s9
.LBB257_1881:                           ;   in Loop: Header=BB257_1567 Depth=1
	s_or_b32 exec_lo, exec_lo, s8
	v_cmp_ne_u16_sdwa s4, v6, v9 src0_sel:BYTE_1 src1_sel:DWORD
	s_and_saveexec_b32 s8, s4
	s_cbranch_execz .LBB257_1889
; %bb.1882:                             ;   in Loop: Header=BB257_1567 Depth=1
	v_mov_b32_e32 v10, v9
	v_mov_b32_e32 v21, v11
	v_cmp_ne_u16_sdwa s4, v6, v42 src0_sel:BYTE_1 src1_sel:DWORD
	v_mov_b32_e32 v20, v10
	s_and_saveexec_b32 s9, s4
	s_cbranch_execz .LBB257_1888
; %bb.1883:                             ;   in Loop: Header=BB257_1567 Depth=1
	v_mov_b32_e32 v7, 0xffff
	v_mov_b32_e32 v12, v9
	;; [unrolled: 1-line block ×3, first 2 shown]
	s_mov_b32 s12, exec_lo
	v_and_b32_sdwa v7, v7, v6 dst_sel:DWORD dst_unused:UNUSED_PAD src0_sel:DWORD src1_sel:BYTE_1
	v_mov_b32_e32 v20, v12
	v_and_b32_e32 v10, 0x7f, v7
	v_cmpx_ne_u32_e32 0x7f, v10
	s_cbranch_execz .LBB257_1887
; %bb.1884:                             ;   in Loop: Header=BB257_1567 Depth=1
	v_and_b32_e32 v8, 7, v7
	v_lshrrev_b32_e32 v7, 3, v10
	s_mov_b32 s13, exec_lo
	v_cmpx_gt_u32_e32 8, v10
; %bb.1885:                             ;   in Loop: Header=BB257_1567 Depth=1
	v_ffbh_u32_e32 v7, v8
	v_min_u32_e32 v7, 32, v7
	v_subrev_nc_u32_e32 v10, 28, v7
	v_sub_nc_u32_e32 v7, 29, v7
	v_lshlrev_b64 v[20:21], v10, v[8:9]
	v_and_b32_e32 v8, 7, v20
; %bb.1886:                             ;   in Loop: Header=BB257_1567 Depth=1
	s_or_b32 exec_lo, exec_lo, s13
	v_lshlrev_b32_e32 v10, 16, v6
	v_lshlrev_b32_e32 v8, 20, v8
	v_lshl_add_u32 v7, v7, 23, 0x3c000000
	v_mov_b32_e32 v20, v9
	v_and_b32_e32 v10, 0x80000000, v10
	v_or3_b32 v21, v8, v10, v7
.LBB257_1887:                           ;   in Loop: Header=BB257_1567 Depth=1
	s_or_b32 exec_lo, exec_lo, s12
.LBB257_1888:                           ;   in Loop: Header=BB257_1567 Depth=1
	s_or_b32 exec_lo, exec_lo, s9
.LBB257_1889:                           ;   in Loop: Header=BB257_1567 Depth=1
	s_or_b32 exec_lo, exec_lo, s8
	v_mov_b32_e32 v22, 0
	v_mov_b32_e32 v24, 0
	v_and_b32_sdwa v7, v6, v44 dst_sel:DWORD dst_unused:UNUSED_PAD src0_sel:WORD_1 src1_sel:DWORD
	v_mov_b32_e32 v23, 0
	v_mov_b32_e32 v25, 0
	s_mov_b32 s8, exec_lo
	v_cmpx_ne_u16_e32 0, v7
	s_cbranch_execz .LBB257_1897
; %bb.1890:                             ;   in Loop: Header=BB257_1567 Depth=1
	v_bfrev_b32_e32 v24, 1
	v_mov_b32_e32 v25, 0
	s_mov_b32 s9, exec_lo
	v_cmpx_ne_u16_e32 0x80, v7
	s_cbranch_execz .LBB257_1896
; %bb.1891:                             ;   in Loop: Header=BB257_1567 Depth=1
	v_mov_b32_e32 v24, 0x7f800001
	v_bfe_u32 v10, v6, 16, 7
	v_mov_b32_e32 v25, 0
	s_mov_b32 s12, exec_lo
	v_cmpx_ne_u32_e32 0x7f, v10
	s_cbranch_execz .LBB257_1895
; %bb.1892:                             ;   in Loop: Header=BB257_1567 Depth=1
	v_mov_b32_e32 v7, 7
	s_mov_b32 s13, exec_lo
	v_and_b32_sdwa v8, v6, v7 dst_sel:DWORD dst_unused:UNUSED_PAD src0_sel:WORD_1 src1_sel:DWORD
	v_lshrrev_b32_e32 v7, 3, v10
	v_cmpx_gt_u32_e32 8, v10
; %bb.1893:                             ;   in Loop: Header=BB257_1567 Depth=1
	v_ffbh_u32_e32 v7, v8
	v_min_u32_e32 v7, 32, v7
	v_subrev_nc_u32_e32 v10, 28, v7
	v_sub_nc_u32_e32 v7, 29, v7
	v_lshlrev_b64 v[24:25], v10, v[8:9]
	v_and_b32_e32 v8, 7, v24
; %bb.1894:                             ;   in Loop: Header=BB257_1567 Depth=1
	s_or_b32 exec_lo, exec_lo, s13
	v_mov_b32_e32 v10, 24
	v_lshlrev_b32_e32 v8, 20, v8
	v_lshl_add_u32 v7, v7, 23, 0x3c000000
	v_lshlrev_b32_sdwa v10, v10, v6 dst_sel:DWORD dst_unused:UNUSED_PAD src0_sel:DWORD src1_sel:WORD_1
	v_and_b32_e32 v10, 0x80000000, v10
	v_or3_b32 v8, v8, v10, v7
	v_mov_b32_e32 v25, v9
	v_mov_b32_e32 v24, v8
.LBB257_1895:                           ;   in Loop: Header=BB257_1567 Depth=1
	s_or_b32 exec_lo, exec_lo, s12
.LBB257_1896:                           ;   in Loop: Header=BB257_1567 Depth=1
	s_or_b32 exec_lo, exec_lo, s9
.LBB257_1897:                           ;   in Loop: Header=BB257_1567 Depth=1
	s_or_b32 exec_lo, exec_lo, s8
	s_mov_b32 s8, exec_lo
	v_cmpx_lt_u32_e32 0xffffff, v6
	s_cbranch_execz .LBB257_1905
; %bb.1898:                             ;   in Loop: Header=BB257_1567 Depth=1
	v_mov_b32_e32 v10, v9
	v_mov_b32_e32 v23, v11
	v_cmp_ne_u32_sdwa s4, v6, v42 src0_sel:BYTE_3 src1_sel:DWORD
	v_mov_b32_e32 v22, v10
	s_and_saveexec_b32 s9, s4
	s_cbranch_execz .LBB257_1904
; %bb.1899:                             ;   in Loop: Header=BB257_1567 Depth=1
	v_mov_b32_e32 v12, v9
	v_mov_b32_e32 v23, v13
	v_bfe_u32 v10, v6, 24, 7
	s_mov_b32 s12, exec_lo
	v_mov_b32_e32 v22, v12
	v_cmpx_ne_u32_e32 0x7f, v10
	s_cbranch_execz .LBB257_1903
; %bb.1900:                             ;   in Loop: Header=BB257_1567 Depth=1
	v_mov_b32_e32 v7, 7
	s_mov_b32 s13, exec_lo
	v_and_b32_sdwa v8, v6, v7 dst_sel:DWORD dst_unused:UNUSED_PAD src0_sel:BYTE_3 src1_sel:DWORD
	v_lshrrev_b32_e32 v7, 3, v10
	v_cmpx_gt_u32_e32 8, v10
; %bb.1901:                             ;   in Loop: Header=BB257_1567 Depth=1
	v_ffbh_u32_e32 v7, v8
	v_min_u32_e32 v7, 32, v7
	v_subrev_nc_u32_e32 v10, 28, v7
	v_sub_nc_u32_e32 v7, 29, v7
	v_lshlrev_b64 v[22:23], v10, v[8:9]
	v_and_b32_e32 v8, 7, v22
; %bb.1902:                             ;   in Loop: Header=BB257_1567 Depth=1
	s_or_b32 exec_lo, exec_lo, s13
	v_mov_b32_e32 v10, 24
	v_lshlrev_b32_e32 v8, 20, v8
	v_lshl_add_u32 v7, v7, 23, 0x3c000000
	v_mov_b32_e32 v22, v9
	v_lshlrev_b32_sdwa v6, v10, v6 dst_sel:DWORD dst_unused:UNUSED_PAD src0_sel:DWORD src1_sel:BYTE_3
	v_and_b32_e32 v6, 0x80000000, v6
	v_or3_b32 v23, v8, v6, v7
.LBB257_1903:                           ;   in Loop: Header=BB257_1567 Depth=1
	s_or_b32 exec_lo, exec_lo, s12
.LBB257_1904:                           ;   in Loop: Header=BB257_1567 Depth=1
	s_or_b32 exec_lo, exec_lo, s9
.LBB257_1905:                           ;   in Loop: Header=BB257_1567 Depth=1
	s_or_b32 exec_lo, exec_lo, s8
	v_or_b32_e32 v6, v21, v19
	v_or_b32_e32 v7, v20, v18
	;; [unrolled: 1-line block ×4, first 2 shown]
	v_mul_f32_e32 v6, v60, v6
	buffer_store_dword v6, off, s[0:3], s32 offset:504 ; 4-byte Folded Spill
	v_mul_f32_e32 v6, v40, v7
	buffer_store_dword v6, off, s[0:3], s32 offset:496 ; 4-byte Folded Spill
	;; [unrolled: 2-line block ×4, first 2 shown]
	s_and_saveexec_b32 s8, vcc_lo
	s_cbranch_execz .LBB257_1907
; %bb.1906:                             ;   in Loop: Header=BB257_1567 Depth=1
	buffer_load_dword v6, off, s[0:3], s32 offset:496 ; 4-byte Folded Reload
	v_cmp_lt_i32_e64 s4, v89, v78
	s_waitcnt vmcnt(0)
	v_cndmask_b32_e64 v6, 0, v6, s4
	v_cmp_lt_i32_e64 s4, v91, v78
	buffer_store_dword v6, off, s[0:3], s32 offset:496 ; 4-byte Folded Spill
	buffer_load_dword v6, off, s[0:3], s32 offset:504 ; 4-byte Folded Reload
	s_waitcnt vmcnt(0)
	v_cndmask_b32_e64 v6, 0, v6, s4
	v_cmp_lt_i32_e64 s4, v90, v78
	buffer_store_dword v6, off, s[0:3], s32 offset:504 ; 4-byte Folded Spill
	buffer_load_dword v6, off, s[0:3], s32 offset:488 ; 4-byte Folded Reload
	;; [unrolled: 5-line block ×3, first 2 shown]
	s_waitcnt vmcnt(0)
	v_cndmask_b32_e64 v6, 0, v6, s4
	buffer_store_dword v6, off, s[0:3], s32 offset:480 ; 4-byte Folded Spill
.LBB257_1907:                           ;   in Loop: Header=BB257_1567 Depth=1
	s_or_b32 exec_lo, exec_lo, s8
	flat_load_dword v6, v[4:5] offset:1280
	v_mov_b32_e32 v20, 0
	v_mov_b32_e32 v18, 0
	;; [unrolled: 1-line block ×4, first 2 shown]
	s_waitcnt vmcnt(0) lgkmcnt(0)
	v_cmp_ne_u16_sdwa s4, v6, v9 src0_sel:BYTE_0 src1_sel:DWORD
	s_and_saveexec_b32 s8, s4
	s_cbranch_execz .LBB257_1915
; %bb.1908:                             ;   in Loop: Header=BB257_1567 Depth=1
	v_bfrev_b32_e32 v18, 1
	v_mov_b32_e32 v19, 0
	v_cmp_ne_u16_sdwa s4, v6, v42 src0_sel:BYTE_0 src1_sel:DWORD
	s_and_saveexec_b32 s9, s4
	s_cbranch_execz .LBB257_1914
; %bb.1909:                             ;   in Loop: Header=BB257_1567 Depth=1
	v_mov_b32_e32 v18, 0x7f800001
	v_and_b32_e32 v10, 0x7f, v6
	v_mov_b32_e32 v19, 0
	s_mov_b32 s12, exec_lo
	v_cmpx_ne_u32_e32 0x7f, v10
	s_cbranch_execz .LBB257_1913
; %bb.1910:                             ;   in Loop: Header=BB257_1567 Depth=1
	v_and_b32_e32 v8, 7, v6
	v_lshrrev_b32_e32 v7, 3, v10
	s_mov_b32 s13, exec_lo
	v_cmpx_gt_u32_e32 8, v10
; %bb.1911:                             ;   in Loop: Header=BB257_1567 Depth=1
	v_ffbh_u32_e32 v7, v8
	v_min_u32_e32 v7, 32, v7
	v_subrev_nc_u32_e32 v10, 28, v7
	v_sub_nc_u32_e32 v7, 29, v7
	v_lshlrev_b64 v[18:19], v10, v[8:9]
	v_and_b32_e32 v8, 7, v18
; %bb.1912:                             ;   in Loop: Header=BB257_1567 Depth=1
	s_or_b32 exec_lo, exec_lo, s13
	v_lshlrev_b32_e32 v10, 24, v6
	v_lshlrev_b32_e32 v8, 20, v8
	v_lshl_add_u32 v7, v7, 23, 0x3c000000
	v_and_b32_e32 v10, 0x80000000, v10
	v_or3_b32 v8, v8, v10, v7
	v_mov_b32_e32 v19, v9
	v_mov_b32_e32 v18, v8
.LBB257_1913:                           ;   in Loop: Header=BB257_1567 Depth=1
	s_or_b32 exec_lo, exec_lo, s12
.LBB257_1914:                           ;   in Loop: Header=BB257_1567 Depth=1
	s_or_b32 exec_lo, exec_lo, s9
.LBB257_1915:                           ;   in Loop: Header=BB257_1567 Depth=1
	s_or_b32 exec_lo, exec_lo, s8
	v_cmp_ne_u16_sdwa s4, v6, v9 src0_sel:BYTE_1 src1_sel:DWORD
	s_and_saveexec_b32 s8, s4
	s_cbranch_execz .LBB257_1923
; %bb.1916:                             ;   in Loop: Header=BB257_1567 Depth=1
	v_mov_b32_e32 v10, v9
	v_mov_b32_e32 v21, v11
	v_cmp_ne_u16_sdwa s4, v6, v42 src0_sel:BYTE_1 src1_sel:DWORD
	v_mov_b32_e32 v20, v10
	s_and_saveexec_b32 s9, s4
	s_cbranch_execz .LBB257_1922
; %bb.1917:                             ;   in Loop: Header=BB257_1567 Depth=1
	v_mov_b32_e32 v7, 0xffff
	v_mov_b32_e32 v12, v9
	;; [unrolled: 1-line block ×3, first 2 shown]
	s_mov_b32 s12, exec_lo
	v_and_b32_sdwa v7, v7, v6 dst_sel:DWORD dst_unused:UNUSED_PAD src0_sel:DWORD src1_sel:BYTE_1
	v_mov_b32_e32 v20, v12
	v_and_b32_e32 v10, 0x7f, v7
	v_cmpx_ne_u32_e32 0x7f, v10
	s_cbranch_execz .LBB257_1921
; %bb.1918:                             ;   in Loop: Header=BB257_1567 Depth=1
	v_and_b32_e32 v8, 7, v7
	v_lshrrev_b32_e32 v7, 3, v10
	s_mov_b32 s13, exec_lo
	v_cmpx_gt_u32_e32 8, v10
; %bb.1919:                             ;   in Loop: Header=BB257_1567 Depth=1
	v_ffbh_u32_e32 v7, v8
	v_min_u32_e32 v7, 32, v7
	v_subrev_nc_u32_e32 v10, 28, v7
	v_sub_nc_u32_e32 v7, 29, v7
	v_lshlrev_b64 v[20:21], v10, v[8:9]
	v_and_b32_e32 v8, 7, v20
; %bb.1920:                             ;   in Loop: Header=BB257_1567 Depth=1
	s_or_b32 exec_lo, exec_lo, s13
	v_lshlrev_b32_e32 v10, 16, v6
	v_lshlrev_b32_e32 v8, 20, v8
	v_lshl_add_u32 v7, v7, 23, 0x3c000000
	v_mov_b32_e32 v20, v9
	v_and_b32_e32 v10, 0x80000000, v10
	v_or3_b32 v21, v8, v10, v7
.LBB257_1921:                           ;   in Loop: Header=BB257_1567 Depth=1
	s_or_b32 exec_lo, exec_lo, s12
.LBB257_1922:                           ;   in Loop: Header=BB257_1567 Depth=1
	s_or_b32 exec_lo, exec_lo, s9
.LBB257_1923:                           ;   in Loop: Header=BB257_1567 Depth=1
	s_or_b32 exec_lo, exec_lo, s8
	v_mov_b32_e32 v22, 0
	v_mov_b32_e32 v24, 0
	v_and_b32_sdwa v7, v6, v44 dst_sel:DWORD dst_unused:UNUSED_PAD src0_sel:WORD_1 src1_sel:DWORD
	v_mov_b32_e32 v23, 0
	v_mov_b32_e32 v25, 0
	s_mov_b32 s8, exec_lo
	v_cmpx_ne_u16_e32 0, v7
	s_cbranch_execz .LBB257_1931
; %bb.1924:                             ;   in Loop: Header=BB257_1567 Depth=1
	v_bfrev_b32_e32 v24, 1
	v_mov_b32_e32 v25, 0
	s_mov_b32 s9, exec_lo
	v_cmpx_ne_u16_e32 0x80, v7
	s_cbranch_execz .LBB257_1930
; %bb.1925:                             ;   in Loop: Header=BB257_1567 Depth=1
	v_mov_b32_e32 v24, 0x7f800001
	v_bfe_u32 v10, v6, 16, 7
	v_mov_b32_e32 v25, 0
	s_mov_b32 s12, exec_lo
	v_cmpx_ne_u32_e32 0x7f, v10
	s_cbranch_execz .LBB257_1929
; %bb.1926:                             ;   in Loop: Header=BB257_1567 Depth=1
	v_mov_b32_e32 v7, 7
	s_mov_b32 s13, exec_lo
	v_and_b32_sdwa v8, v6, v7 dst_sel:DWORD dst_unused:UNUSED_PAD src0_sel:WORD_1 src1_sel:DWORD
	v_lshrrev_b32_e32 v7, 3, v10
	v_cmpx_gt_u32_e32 8, v10
; %bb.1927:                             ;   in Loop: Header=BB257_1567 Depth=1
	v_ffbh_u32_e32 v7, v8
	v_min_u32_e32 v7, 32, v7
	v_subrev_nc_u32_e32 v10, 28, v7
	v_sub_nc_u32_e32 v7, 29, v7
	v_lshlrev_b64 v[24:25], v10, v[8:9]
	v_and_b32_e32 v8, 7, v24
; %bb.1928:                             ;   in Loop: Header=BB257_1567 Depth=1
	s_or_b32 exec_lo, exec_lo, s13
	v_mov_b32_e32 v10, 24
	v_lshlrev_b32_e32 v8, 20, v8
	v_lshl_add_u32 v7, v7, 23, 0x3c000000
	v_lshlrev_b32_sdwa v10, v10, v6 dst_sel:DWORD dst_unused:UNUSED_PAD src0_sel:DWORD src1_sel:WORD_1
	v_and_b32_e32 v10, 0x80000000, v10
	v_or3_b32 v8, v8, v10, v7
	v_mov_b32_e32 v25, v9
	v_mov_b32_e32 v24, v8
.LBB257_1929:                           ;   in Loop: Header=BB257_1567 Depth=1
	s_or_b32 exec_lo, exec_lo, s12
.LBB257_1930:                           ;   in Loop: Header=BB257_1567 Depth=1
	s_or_b32 exec_lo, exec_lo, s9
.LBB257_1931:                           ;   in Loop: Header=BB257_1567 Depth=1
	s_or_b32 exec_lo, exec_lo, s8
	s_mov_b32 s8, exec_lo
	v_cmpx_lt_u32_e32 0xffffff, v6
	s_cbranch_execz .LBB257_1939
; %bb.1932:                             ;   in Loop: Header=BB257_1567 Depth=1
	v_mov_b32_e32 v10, v9
	v_mov_b32_e32 v23, v11
	v_cmp_ne_u32_sdwa s4, v6, v42 src0_sel:BYTE_3 src1_sel:DWORD
	v_mov_b32_e32 v22, v10
	s_and_saveexec_b32 s9, s4
	s_cbranch_execz .LBB257_1938
; %bb.1933:                             ;   in Loop: Header=BB257_1567 Depth=1
	v_mov_b32_e32 v12, v9
	v_mov_b32_e32 v23, v13
	v_bfe_u32 v10, v6, 24, 7
	s_mov_b32 s12, exec_lo
	v_mov_b32_e32 v22, v12
	v_cmpx_ne_u32_e32 0x7f, v10
	s_cbranch_execz .LBB257_1937
; %bb.1934:                             ;   in Loop: Header=BB257_1567 Depth=1
	v_mov_b32_e32 v7, 7
	s_mov_b32 s13, exec_lo
	v_and_b32_sdwa v8, v6, v7 dst_sel:DWORD dst_unused:UNUSED_PAD src0_sel:BYTE_3 src1_sel:DWORD
	v_lshrrev_b32_e32 v7, 3, v10
	v_cmpx_gt_u32_e32 8, v10
; %bb.1935:                             ;   in Loop: Header=BB257_1567 Depth=1
	v_ffbh_u32_e32 v7, v8
	v_min_u32_e32 v7, 32, v7
	v_subrev_nc_u32_e32 v10, 28, v7
	v_sub_nc_u32_e32 v7, 29, v7
	v_lshlrev_b64 v[22:23], v10, v[8:9]
	v_and_b32_e32 v8, 7, v22
; %bb.1936:                             ;   in Loop: Header=BB257_1567 Depth=1
	s_or_b32 exec_lo, exec_lo, s13
	v_mov_b32_e32 v10, 24
	v_lshlrev_b32_e32 v8, 20, v8
	v_lshl_add_u32 v7, v7, 23, 0x3c000000
	v_mov_b32_e32 v22, v9
	v_lshlrev_b32_sdwa v6, v10, v6 dst_sel:DWORD dst_unused:UNUSED_PAD src0_sel:DWORD src1_sel:BYTE_3
	v_and_b32_e32 v6, 0x80000000, v6
	v_or3_b32 v23, v8, v6, v7
.LBB257_1937:                           ;   in Loop: Header=BB257_1567 Depth=1
	s_or_b32 exec_lo, exec_lo, s12
.LBB257_1938:                           ;   in Loop: Header=BB257_1567 Depth=1
	s_or_b32 exec_lo, exec_lo, s9
.LBB257_1939:                           ;   in Loop: Header=BB257_1567 Depth=1
	s_or_b32 exec_lo, exec_lo, s8
	v_or_b32_e32 v6, v21, v19
	v_or_b32_e32 v7, v20, v18
	;; [unrolled: 1-line block ×4, first 2 shown]
	v_mul_f32_e32 v6, v60, v6
	buffer_store_dword v6, off, s[0:3], s32 offset:528 ; 4-byte Folded Spill
	v_mul_f32_e32 v6, v40, v7
	buffer_store_dword v6, off, s[0:3], s32 offset:536 ; 4-byte Folded Spill
	;; [unrolled: 2-line block ×4, first 2 shown]
	s_and_saveexec_b32 s8, vcc_lo
	s_cbranch_execz .LBB257_1941
; %bb.1940:                             ;   in Loop: Header=BB257_1567 Depth=1
	buffer_load_dword v6, off, s[0:3], s32 offset:536 ; 4-byte Folded Reload
	v_cmp_lt_i32_e64 s4, v89, v78
	s_waitcnt vmcnt(0)
	v_cndmask_b32_e64 v6, 0, v6, s4
	v_cmp_lt_i32_e64 s4, v91, v78
	buffer_store_dword v6, off, s[0:3], s32 offset:536 ; 4-byte Folded Spill
	buffer_load_dword v6, off, s[0:3], s32 offset:528 ; 4-byte Folded Reload
	s_waitcnt vmcnt(0)
	v_cndmask_b32_e64 v6, 0, v6, s4
	v_cmp_lt_i32_e64 s4, v90, v78
	buffer_store_dword v6, off, s[0:3], s32 offset:528 ; 4-byte Folded Spill
	buffer_load_dword v6, off, s[0:3], s32 offset:520 ; 4-byte Folded Reload
	s_waitcnt vmcnt(0)
	v_cndmask_b32_e64 v6, 0, v6, s4
	v_cmp_lt_i32_e64 s4, v58, v78
	buffer_store_dword v6, off, s[0:3], s32 offset:520 ; 4-byte Folded Spill
	buffer_load_dword v6, off, s[0:3], s32 offset:512 ; 4-byte Folded Reload
	s_waitcnt vmcnt(0)
	v_cndmask_b32_e64 v6, 0, v6, s4
	buffer_store_dword v6, off, s[0:3], s32 offset:512 ; 4-byte Folded Spill
.LBB257_1941:                           ;   in Loop: Header=BB257_1567 Depth=1
	s_or_b32 exec_lo, exec_lo, s8
	flat_load_dword v6, v[4:5] offset:1408
	v_mov_b32_e32 v20, 0
	v_mov_b32_e32 v18, 0
	;; [unrolled: 1-line block ×4, first 2 shown]
	s_waitcnt vmcnt(0) lgkmcnt(0)
	v_cmp_ne_u16_sdwa s4, v6, v9 src0_sel:BYTE_0 src1_sel:DWORD
	s_and_saveexec_b32 s8, s4
	s_cbranch_execz .LBB257_1949
; %bb.1942:                             ;   in Loop: Header=BB257_1567 Depth=1
	v_bfrev_b32_e32 v18, 1
	v_mov_b32_e32 v19, 0
	v_cmp_ne_u16_sdwa s4, v6, v42 src0_sel:BYTE_0 src1_sel:DWORD
	s_and_saveexec_b32 s9, s4
	s_cbranch_execz .LBB257_1948
; %bb.1943:                             ;   in Loop: Header=BB257_1567 Depth=1
	v_mov_b32_e32 v18, 0x7f800001
	v_and_b32_e32 v10, 0x7f, v6
	v_mov_b32_e32 v19, 0
	s_mov_b32 s12, exec_lo
	v_cmpx_ne_u32_e32 0x7f, v10
	s_cbranch_execz .LBB257_1947
; %bb.1944:                             ;   in Loop: Header=BB257_1567 Depth=1
	v_and_b32_e32 v8, 7, v6
	v_lshrrev_b32_e32 v7, 3, v10
	s_mov_b32 s13, exec_lo
	v_cmpx_gt_u32_e32 8, v10
; %bb.1945:                             ;   in Loop: Header=BB257_1567 Depth=1
	v_ffbh_u32_e32 v7, v8
	v_min_u32_e32 v7, 32, v7
	v_subrev_nc_u32_e32 v10, 28, v7
	v_sub_nc_u32_e32 v7, 29, v7
	v_lshlrev_b64 v[18:19], v10, v[8:9]
	v_and_b32_e32 v8, 7, v18
; %bb.1946:                             ;   in Loop: Header=BB257_1567 Depth=1
	s_or_b32 exec_lo, exec_lo, s13
	v_lshlrev_b32_e32 v10, 24, v6
	v_lshlrev_b32_e32 v8, 20, v8
	v_lshl_add_u32 v7, v7, 23, 0x3c000000
	v_and_b32_e32 v10, 0x80000000, v10
	v_or3_b32 v8, v8, v10, v7
	v_mov_b32_e32 v19, v9
	v_mov_b32_e32 v18, v8
.LBB257_1947:                           ;   in Loop: Header=BB257_1567 Depth=1
	s_or_b32 exec_lo, exec_lo, s12
.LBB257_1948:                           ;   in Loop: Header=BB257_1567 Depth=1
	s_or_b32 exec_lo, exec_lo, s9
.LBB257_1949:                           ;   in Loop: Header=BB257_1567 Depth=1
	s_or_b32 exec_lo, exec_lo, s8
	v_cmp_ne_u16_sdwa s4, v6, v9 src0_sel:BYTE_1 src1_sel:DWORD
	s_and_saveexec_b32 s8, s4
	s_cbranch_execz .LBB257_1957
; %bb.1950:                             ;   in Loop: Header=BB257_1567 Depth=1
	v_mov_b32_e32 v10, v9
	v_mov_b32_e32 v21, v11
	v_cmp_ne_u16_sdwa s4, v6, v42 src0_sel:BYTE_1 src1_sel:DWORD
	v_mov_b32_e32 v20, v10
	s_and_saveexec_b32 s9, s4
	s_cbranch_execz .LBB257_1956
; %bb.1951:                             ;   in Loop: Header=BB257_1567 Depth=1
	v_mov_b32_e32 v7, 0xffff
	v_mov_b32_e32 v12, v9
	;; [unrolled: 1-line block ×3, first 2 shown]
	s_mov_b32 s12, exec_lo
	v_and_b32_sdwa v7, v7, v6 dst_sel:DWORD dst_unused:UNUSED_PAD src0_sel:DWORD src1_sel:BYTE_1
	v_mov_b32_e32 v20, v12
	v_and_b32_e32 v10, 0x7f, v7
	v_cmpx_ne_u32_e32 0x7f, v10
	s_cbranch_execz .LBB257_1955
; %bb.1952:                             ;   in Loop: Header=BB257_1567 Depth=1
	v_and_b32_e32 v8, 7, v7
	v_lshrrev_b32_e32 v7, 3, v10
	s_mov_b32 s13, exec_lo
	v_cmpx_gt_u32_e32 8, v10
; %bb.1953:                             ;   in Loop: Header=BB257_1567 Depth=1
	v_ffbh_u32_e32 v7, v8
	v_min_u32_e32 v7, 32, v7
	v_subrev_nc_u32_e32 v10, 28, v7
	v_sub_nc_u32_e32 v7, 29, v7
	v_lshlrev_b64 v[20:21], v10, v[8:9]
	v_and_b32_e32 v8, 7, v20
; %bb.1954:                             ;   in Loop: Header=BB257_1567 Depth=1
	s_or_b32 exec_lo, exec_lo, s13
	v_lshlrev_b32_e32 v10, 16, v6
	v_lshlrev_b32_e32 v8, 20, v8
	v_lshl_add_u32 v7, v7, 23, 0x3c000000
	v_mov_b32_e32 v20, v9
	v_and_b32_e32 v10, 0x80000000, v10
	v_or3_b32 v21, v8, v10, v7
.LBB257_1955:                           ;   in Loop: Header=BB257_1567 Depth=1
	s_or_b32 exec_lo, exec_lo, s12
.LBB257_1956:                           ;   in Loop: Header=BB257_1567 Depth=1
	s_or_b32 exec_lo, exec_lo, s9
.LBB257_1957:                           ;   in Loop: Header=BB257_1567 Depth=1
	s_or_b32 exec_lo, exec_lo, s8
	v_mov_b32_e32 v22, 0
	v_mov_b32_e32 v24, 0
	v_and_b32_sdwa v7, v6, v44 dst_sel:DWORD dst_unused:UNUSED_PAD src0_sel:WORD_1 src1_sel:DWORD
	v_mov_b32_e32 v23, 0
	v_mov_b32_e32 v25, 0
	s_mov_b32 s8, exec_lo
	v_cmpx_ne_u16_e32 0, v7
	s_cbranch_execz .LBB257_1965
; %bb.1958:                             ;   in Loop: Header=BB257_1567 Depth=1
	v_bfrev_b32_e32 v24, 1
	v_mov_b32_e32 v25, 0
	s_mov_b32 s9, exec_lo
	v_cmpx_ne_u16_e32 0x80, v7
	s_cbranch_execz .LBB257_1964
; %bb.1959:                             ;   in Loop: Header=BB257_1567 Depth=1
	v_mov_b32_e32 v24, 0x7f800001
	v_bfe_u32 v10, v6, 16, 7
	v_mov_b32_e32 v25, 0
	s_mov_b32 s12, exec_lo
	v_cmpx_ne_u32_e32 0x7f, v10
	s_cbranch_execz .LBB257_1963
; %bb.1960:                             ;   in Loop: Header=BB257_1567 Depth=1
	v_mov_b32_e32 v7, 7
	s_mov_b32 s13, exec_lo
	v_and_b32_sdwa v8, v6, v7 dst_sel:DWORD dst_unused:UNUSED_PAD src0_sel:WORD_1 src1_sel:DWORD
	v_lshrrev_b32_e32 v7, 3, v10
	v_cmpx_gt_u32_e32 8, v10
; %bb.1961:                             ;   in Loop: Header=BB257_1567 Depth=1
	v_ffbh_u32_e32 v7, v8
	v_min_u32_e32 v7, 32, v7
	v_subrev_nc_u32_e32 v10, 28, v7
	v_sub_nc_u32_e32 v7, 29, v7
	v_lshlrev_b64 v[24:25], v10, v[8:9]
	v_and_b32_e32 v8, 7, v24
; %bb.1962:                             ;   in Loop: Header=BB257_1567 Depth=1
	s_or_b32 exec_lo, exec_lo, s13
	v_mov_b32_e32 v10, 24
	v_lshlrev_b32_e32 v8, 20, v8
	v_lshl_add_u32 v7, v7, 23, 0x3c000000
	v_lshlrev_b32_sdwa v10, v10, v6 dst_sel:DWORD dst_unused:UNUSED_PAD src0_sel:DWORD src1_sel:WORD_1
	v_and_b32_e32 v10, 0x80000000, v10
	v_or3_b32 v8, v8, v10, v7
	v_mov_b32_e32 v25, v9
	v_mov_b32_e32 v24, v8
.LBB257_1963:                           ;   in Loop: Header=BB257_1567 Depth=1
	s_or_b32 exec_lo, exec_lo, s12
.LBB257_1964:                           ;   in Loop: Header=BB257_1567 Depth=1
	s_or_b32 exec_lo, exec_lo, s9
.LBB257_1965:                           ;   in Loop: Header=BB257_1567 Depth=1
	s_or_b32 exec_lo, exec_lo, s8
	s_mov_b32 s8, exec_lo
	v_cmpx_lt_u32_e32 0xffffff, v6
	s_cbranch_execz .LBB257_1973
; %bb.1966:                             ;   in Loop: Header=BB257_1567 Depth=1
	v_mov_b32_e32 v10, v9
	v_mov_b32_e32 v23, v11
	v_cmp_ne_u32_sdwa s4, v6, v42 src0_sel:BYTE_3 src1_sel:DWORD
	v_mov_b32_e32 v22, v10
	s_and_saveexec_b32 s9, s4
	s_cbranch_execz .LBB257_1972
; %bb.1967:                             ;   in Loop: Header=BB257_1567 Depth=1
	v_mov_b32_e32 v12, v9
	v_mov_b32_e32 v23, v13
	v_bfe_u32 v10, v6, 24, 7
	s_mov_b32 s12, exec_lo
	v_mov_b32_e32 v22, v12
	v_cmpx_ne_u32_e32 0x7f, v10
	s_cbranch_execz .LBB257_1971
; %bb.1968:                             ;   in Loop: Header=BB257_1567 Depth=1
	v_mov_b32_e32 v7, 7
	s_mov_b32 s13, exec_lo
	v_and_b32_sdwa v8, v6, v7 dst_sel:DWORD dst_unused:UNUSED_PAD src0_sel:BYTE_3 src1_sel:DWORD
	v_lshrrev_b32_e32 v7, 3, v10
	v_cmpx_gt_u32_e32 8, v10
; %bb.1969:                             ;   in Loop: Header=BB257_1567 Depth=1
	v_ffbh_u32_e32 v7, v8
	v_min_u32_e32 v7, 32, v7
	v_subrev_nc_u32_e32 v10, 28, v7
	v_sub_nc_u32_e32 v7, 29, v7
	v_lshlrev_b64 v[22:23], v10, v[8:9]
	v_and_b32_e32 v8, 7, v22
; %bb.1970:                             ;   in Loop: Header=BB257_1567 Depth=1
	s_or_b32 exec_lo, exec_lo, s13
	v_mov_b32_e32 v10, 24
	v_lshlrev_b32_e32 v8, 20, v8
	v_lshl_add_u32 v7, v7, 23, 0x3c000000
	v_mov_b32_e32 v22, v9
	v_lshlrev_b32_sdwa v6, v10, v6 dst_sel:DWORD dst_unused:UNUSED_PAD src0_sel:DWORD src1_sel:BYTE_3
	v_and_b32_e32 v6, 0x80000000, v6
	v_or3_b32 v23, v8, v6, v7
.LBB257_1971:                           ;   in Loop: Header=BB257_1567 Depth=1
	s_or_b32 exec_lo, exec_lo, s12
.LBB257_1972:                           ;   in Loop: Header=BB257_1567 Depth=1
	s_or_b32 exec_lo, exec_lo, s9
.LBB257_1973:                           ;   in Loop: Header=BB257_1567 Depth=1
	s_or_b32 exec_lo, exec_lo, s8
	v_or_b32_e32 v6, v21, v19
	v_or_b32_e32 v7, v20, v18
	;; [unrolled: 1-line block ×4, first 2 shown]
	v_mul_f32_e32 v6, v60, v6
	buffer_store_dword v6, off, s[0:3], s32 offset:560 ; 4-byte Folded Spill
	v_mul_f32_e32 v6, v40, v7
	buffer_store_dword v6, off, s[0:3], s32 offset:568 ; 4-byte Folded Spill
	;; [unrolled: 2-line block ×4, first 2 shown]
	s_and_saveexec_b32 s8, vcc_lo
	s_cbranch_execz .LBB257_1975
; %bb.1974:                             ;   in Loop: Header=BB257_1567 Depth=1
	buffer_load_dword v6, off, s[0:3], s32 offset:568 ; 4-byte Folded Reload
	v_cmp_lt_i32_e64 s4, v89, v78
	s_waitcnt vmcnt(0)
	v_cndmask_b32_e64 v6, 0, v6, s4
	v_cmp_lt_i32_e64 s4, v91, v78
	buffer_store_dword v6, off, s[0:3], s32 offset:568 ; 4-byte Folded Spill
	buffer_load_dword v6, off, s[0:3], s32 offset:560 ; 4-byte Folded Reload
	s_waitcnt vmcnt(0)
	v_cndmask_b32_e64 v6, 0, v6, s4
	v_cmp_lt_i32_e64 s4, v90, v78
	buffer_store_dword v6, off, s[0:3], s32 offset:560 ; 4-byte Folded Spill
	buffer_load_dword v6, off, s[0:3], s32 offset:552 ; 4-byte Folded Reload
	;; [unrolled: 5-line block ×3, first 2 shown]
	s_waitcnt vmcnt(0)
	v_cndmask_b32_e64 v6, 0, v6, s4
	buffer_store_dword v6, off, s[0:3], s32 offset:544 ; 4-byte Folded Spill
.LBB257_1975:                           ;   in Loop: Header=BB257_1567 Depth=1
	s_or_b32 exec_lo, exec_lo, s8
	flat_load_dword v6, v[4:5] offset:1536
	v_mov_b32_e32 v20, 0
	v_mov_b32_e32 v18, 0
	;; [unrolled: 1-line block ×4, first 2 shown]
	s_waitcnt vmcnt(0) lgkmcnt(0)
	v_cmp_ne_u16_sdwa s4, v6, v9 src0_sel:BYTE_0 src1_sel:DWORD
	s_and_saveexec_b32 s8, s4
	s_cbranch_execz .LBB257_1983
; %bb.1976:                             ;   in Loop: Header=BB257_1567 Depth=1
	v_bfrev_b32_e32 v18, 1
	v_mov_b32_e32 v19, 0
	v_cmp_ne_u16_sdwa s4, v6, v42 src0_sel:BYTE_0 src1_sel:DWORD
	s_and_saveexec_b32 s9, s4
	s_cbranch_execz .LBB257_1982
; %bb.1977:                             ;   in Loop: Header=BB257_1567 Depth=1
	v_mov_b32_e32 v18, 0x7f800001
	v_and_b32_e32 v10, 0x7f, v6
	v_mov_b32_e32 v19, 0
	s_mov_b32 s12, exec_lo
	v_cmpx_ne_u32_e32 0x7f, v10
	s_cbranch_execz .LBB257_1981
; %bb.1978:                             ;   in Loop: Header=BB257_1567 Depth=1
	v_and_b32_e32 v8, 7, v6
	v_lshrrev_b32_e32 v7, 3, v10
	s_mov_b32 s13, exec_lo
	v_cmpx_gt_u32_e32 8, v10
; %bb.1979:                             ;   in Loop: Header=BB257_1567 Depth=1
	v_ffbh_u32_e32 v7, v8
	v_min_u32_e32 v7, 32, v7
	v_subrev_nc_u32_e32 v10, 28, v7
	v_sub_nc_u32_e32 v7, 29, v7
	v_lshlrev_b64 v[18:19], v10, v[8:9]
	v_and_b32_e32 v8, 7, v18
; %bb.1980:                             ;   in Loop: Header=BB257_1567 Depth=1
	s_or_b32 exec_lo, exec_lo, s13
	v_lshlrev_b32_e32 v10, 24, v6
	v_lshlrev_b32_e32 v8, 20, v8
	v_lshl_add_u32 v7, v7, 23, 0x3c000000
	v_and_b32_e32 v10, 0x80000000, v10
	v_or3_b32 v8, v8, v10, v7
	v_mov_b32_e32 v19, v9
	v_mov_b32_e32 v18, v8
.LBB257_1981:                           ;   in Loop: Header=BB257_1567 Depth=1
	s_or_b32 exec_lo, exec_lo, s12
.LBB257_1982:                           ;   in Loop: Header=BB257_1567 Depth=1
	s_or_b32 exec_lo, exec_lo, s9
.LBB257_1983:                           ;   in Loop: Header=BB257_1567 Depth=1
	s_or_b32 exec_lo, exec_lo, s8
	v_cmp_ne_u16_sdwa s4, v6, v9 src0_sel:BYTE_1 src1_sel:DWORD
	s_and_saveexec_b32 s8, s4
	s_cbranch_execz .LBB257_1991
; %bb.1984:                             ;   in Loop: Header=BB257_1567 Depth=1
	v_mov_b32_e32 v10, v9
	v_mov_b32_e32 v21, v11
	v_cmp_ne_u16_sdwa s4, v6, v42 src0_sel:BYTE_1 src1_sel:DWORD
	v_mov_b32_e32 v20, v10
	s_and_saveexec_b32 s9, s4
	s_cbranch_execz .LBB257_1990
; %bb.1985:                             ;   in Loop: Header=BB257_1567 Depth=1
	v_mov_b32_e32 v7, 0xffff
	v_mov_b32_e32 v12, v9
	;; [unrolled: 1-line block ×3, first 2 shown]
	s_mov_b32 s12, exec_lo
	v_and_b32_sdwa v7, v7, v6 dst_sel:DWORD dst_unused:UNUSED_PAD src0_sel:DWORD src1_sel:BYTE_1
	v_mov_b32_e32 v20, v12
	v_and_b32_e32 v10, 0x7f, v7
	v_cmpx_ne_u32_e32 0x7f, v10
	s_cbranch_execz .LBB257_1989
; %bb.1986:                             ;   in Loop: Header=BB257_1567 Depth=1
	v_and_b32_e32 v8, 7, v7
	v_lshrrev_b32_e32 v7, 3, v10
	s_mov_b32 s13, exec_lo
	v_cmpx_gt_u32_e32 8, v10
; %bb.1987:                             ;   in Loop: Header=BB257_1567 Depth=1
	v_ffbh_u32_e32 v7, v8
	v_min_u32_e32 v7, 32, v7
	v_subrev_nc_u32_e32 v10, 28, v7
	v_sub_nc_u32_e32 v7, 29, v7
	v_lshlrev_b64 v[20:21], v10, v[8:9]
	v_and_b32_e32 v8, 7, v20
; %bb.1988:                             ;   in Loop: Header=BB257_1567 Depth=1
	s_or_b32 exec_lo, exec_lo, s13
	v_lshlrev_b32_e32 v10, 16, v6
	v_lshlrev_b32_e32 v8, 20, v8
	v_lshl_add_u32 v7, v7, 23, 0x3c000000
	v_mov_b32_e32 v20, v9
	v_and_b32_e32 v10, 0x80000000, v10
	v_or3_b32 v21, v8, v10, v7
.LBB257_1989:                           ;   in Loop: Header=BB257_1567 Depth=1
	s_or_b32 exec_lo, exec_lo, s12
.LBB257_1990:                           ;   in Loop: Header=BB257_1567 Depth=1
	s_or_b32 exec_lo, exec_lo, s9
.LBB257_1991:                           ;   in Loop: Header=BB257_1567 Depth=1
	s_or_b32 exec_lo, exec_lo, s8
	v_mov_b32_e32 v22, 0
	v_mov_b32_e32 v24, 0
	v_and_b32_sdwa v7, v6, v44 dst_sel:DWORD dst_unused:UNUSED_PAD src0_sel:WORD_1 src1_sel:DWORD
	v_mov_b32_e32 v23, 0
	v_mov_b32_e32 v25, 0
	s_mov_b32 s8, exec_lo
	v_cmpx_ne_u16_e32 0, v7
	s_cbranch_execz .LBB257_1999
; %bb.1992:                             ;   in Loop: Header=BB257_1567 Depth=1
	v_bfrev_b32_e32 v24, 1
	v_mov_b32_e32 v25, 0
	s_mov_b32 s9, exec_lo
	v_cmpx_ne_u16_e32 0x80, v7
	s_cbranch_execz .LBB257_1998
; %bb.1993:                             ;   in Loop: Header=BB257_1567 Depth=1
	v_mov_b32_e32 v24, 0x7f800001
	v_bfe_u32 v10, v6, 16, 7
	v_mov_b32_e32 v25, 0
	s_mov_b32 s12, exec_lo
	v_cmpx_ne_u32_e32 0x7f, v10
	s_cbranch_execz .LBB257_1997
; %bb.1994:                             ;   in Loop: Header=BB257_1567 Depth=1
	v_mov_b32_e32 v7, 7
	s_mov_b32 s13, exec_lo
	v_and_b32_sdwa v8, v6, v7 dst_sel:DWORD dst_unused:UNUSED_PAD src0_sel:WORD_1 src1_sel:DWORD
	v_lshrrev_b32_e32 v7, 3, v10
	v_cmpx_gt_u32_e32 8, v10
; %bb.1995:                             ;   in Loop: Header=BB257_1567 Depth=1
	v_ffbh_u32_e32 v7, v8
	v_min_u32_e32 v7, 32, v7
	v_subrev_nc_u32_e32 v10, 28, v7
	v_sub_nc_u32_e32 v7, 29, v7
	v_lshlrev_b64 v[24:25], v10, v[8:9]
	v_and_b32_e32 v8, 7, v24
; %bb.1996:                             ;   in Loop: Header=BB257_1567 Depth=1
	s_or_b32 exec_lo, exec_lo, s13
	v_mov_b32_e32 v10, 24
	v_lshlrev_b32_e32 v8, 20, v8
	v_lshl_add_u32 v7, v7, 23, 0x3c000000
	v_lshlrev_b32_sdwa v10, v10, v6 dst_sel:DWORD dst_unused:UNUSED_PAD src0_sel:DWORD src1_sel:WORD_1
	v_and_b32_e32 v10, 0x80000000, v10
	v_or3_b32 v8, v8, v10, v7
	v_mov_b32_e32 v25, v9
	v_mov_b32_e32 v24, v8
.LBB257_1997:                           ;   in Loop: Header=BB257_1567 Depth=1
	s_or_b32 exec_lo, exec_lo, s12
.LBB257_1998:                           ;   in Loop: Header=BB257_1567 Depth=1
	s_or_b32 exec_lo, exec_lo, s9
.LBB257_1999:                           ;   in Loop: Header=BB257_1567 Depth=1
	s_or_b32 exec_lo, exec_lo, s8
	s_mov_b32 s8, exec_lo
	v_cmpx_lt_u32_e32 0xffffff, v6
	s_cbranch_execz .LBB257_2007
; %bb.2000:                             ;   in Loop: Header=BB257_1567 Depth=1
	v_mov_b32_e32 v10, v9
	v_mov_b32_e32 v23, v11
	v_cmp_ne_u32_sdwa s4, v6, v42 src0_sel:BYTE_3 src1_sel:DWORD
	v_mov_b32_e32 v22, v10
	s_and_saveexec_b32 s9, s4
	s_cbranch_execz .LBB257_2006
; %bb.2001:                             ;   in Loop: Header=BB257_1567 Depth=1
	v_mov_b32_e32 v12, v9
	v_mov_b32_e32 v23, v13
	v_bfe_u32 v10, v6, 24, 7
	s_mov_b32 s12, exec_lo
	v_mov_b32_e32 v22, v12
	v_cmpx_ne_u32_e32 0x7f, v10
	s_cbranch_execz .LBB257_2005
; %bb.2002:                             ;   in Loop: Header=BB257_1567 Depth=1
	v_mov_b32_e32 v7, 7
	s_mov_b32 s13, exec_lo
	v_and_b32_sdwa v8, v6, v7 dst_sel:DWORD dst_unused:UNUSED_PAD src0_sel:BYTE_3 src1_sel:DWORD
	v_lshrrev_b32_e32 v7, 3, v10
	v_cmpx_gt_u32_e32 8, v10
; %bb.2003:                             ;   in Loop: Header=BB257_1567 Depth=1
	v_ffbh_u32_e32 v7, v8
	v_min_u32_e32 v7, 32, v7
	v_subrev_nc_u32_e32 v10, 28, v7
	v_sub_nc_u32_e32 v7, 29, v7
	v_lshlrev_b64 v[22:23], v10, v[8:9]
	v_and_b32_e32 v8, 7, v22
; %bb.2004:                             ;   in Loop: Header=BB257_1567 Depth=1
	s_or_b32 exec_lo, exec_lo, s13
	v_mov_b32_e32 v10, 24
	v_lshlrev_b32_e32 v8, 20, v8
	v_lshl_add_u32 v7, v7, 23, 0x3c000000
	v_mov_b32_e32 v22, v9
	v_lshlrev_b32_sdwa v6, v10, v6 dst_sel:DWORD dst_unused:UNUSED_PAD src0_sel:DWORD src1_sel:BYTE_3
	v_and_b32_e32 v6, 0x80000000, v6
	v_or3_b32 v23, v8, v6, v7
.LBB257_2005:                           ;   in Loop: Header=BB257_1567 Depth=1
	s_or_b32 exec_lo, exec_lo, s12
.LBB257_2006:                           ;   in Loop: Header=BB257_1567 Depth=1
	s_or_b32 exec_lo, exec_lo, s9
.LBB257_2007:                           ;   in Loop: Header=BB257_1567 Depth=1
	s_or_b32 exec_lo, exec_lo, s8
	v_or_b32_e32 v6, v21, v19
	v_or_b32_e32 v7, v20, v18
	;; [unrolled: 1-line block ×4, first 2 shown]
	v_mul_f32_e32 v6, v60, v6
	buffer_store_dword v6, off, s[0:3], s32 offset:592 ; 4-byte Folded Spill
	v_mul_f32_e32 v6, v40, v7
	buffer_store_dword v6, off, s[0:3], s32 offset:600 ; 4-byte Folded Spill
	;; [unrolled: 2-line block ×4, first 2 shown]
	s_and_saveexec_b32 s8, vcc_lo
	s_cbranch_execz .LBB257_2009
; %bb.2008:                             ;   in Loop: Header=BB257_1567 Depth=1
	buffer_load_dword v6, off, s[0:3], s32 offset:600 ; 4-byte Folded Reload
	v_cmp_lt_i32_e64 s4, v89, v78
	s_waitcnt vmcnt(0)
	v_cndmask_b32_e64 v6, 0, v6, s4
	v_cmp_lt_i32_e64 s4, v91, v78
	buffer_store_dword v6, off, s[0:3], s32 offset:600 ; 4-byte Folded Spill
	buffer_load_dword v6, off, s[0:3], s32 offset:592 ; 4-byte Folded Reload
	s_waitcnt vmcnt(0)
	v_cndmask_b32_e64 v6, 0, v6, s4
	v_cmp_lt_i32_e64 s4, v90, v78
	buffer_store_dword v6, off, s[0:3], s32 offset:592 ; 4-byte Folded Spill
	buffer_load_dword v6, off, s[0:3], s32 offset:584 ; 4-byte Folded Reload
	;; [unrolled: 5-line block ×3, first 2 shown]
	s_waitcnt vmcnt(0)
	v_cndmask_b32_e64 v6, 0, v6, s4
	buffer_store_dword v6, off, s[0:3], s32 offset:576 ; 4-byte Folded Spill
.LBB257_2009:                           ;   in Loop: Header=BB257_1567 Depth=1
	s_or_b32 exec_lo, exec_lo, s8
	flat_load_dword v6, v[4:5] offset:1664
	v_mov_b32_e32 v20, 0
	v_mov_b32_e32 v18, 0
	;; [unrolled: 1-line block ×4, first 2 shown]
	s_waitcnt vmcnt(0) lgkmcnt(0)
	v_cmp_ne_u16_sdwa s4, v6, v9 src0_sel:BYTE_0 src1_sel:DWORD
	s_and_saveexec_b32 s8, s4
	s_cbranch_execz .LBB257_2017
; %bb.2010:                             ;   in Loop: Header=BB257_1567 Depth=1
	v_bfrev_b32_e32 v18, 1
	v_mov_b32_e32 v19, 0
	v_cmp_ne_u16_sdwa s4, v6, v42 src0_sel:BYTE_0 src1_sel:DWORD
	s_and_saveexec_b32 s9, s4
	s_cbranch_execz .LBB257_2016
; %bb.2011:                             ;   in Loop: Header=BB257_1567 Depth=1
	v_mov_b32_e32 v18, 0x7f800001
	v_and_b32_e32 v10, 0x7f, v6
	v_mov_b32_e32 v19, 0
	s_mov_b32 s12, exec_lo
	v_cmpx_ne_u32_e32 0x7f, v10
	s_cbranch_execz .LBB257_2015
; %bb.2012:                             ;   in Loop: Header=BB257_1567 Depth=1
	v_and_b32_e32 v8, 7, v6
	v_lshrrev_b32_e32 v7, 3, v10
	s_mov_b32 s13, exec_lo
	v_cmpx_gt_u32_e32 8, v10
; %bb.2013:                             ;   in Loop: Header=BB257_1567 Depth=1
	v_ffbh_u32_e32 v7, v8
	v_min_u32_e32 v7, 32, v7
	v_subrev_nc_u32_e32 v10, 28, v7
	v_sub_nc_u32_e32 v7, 29, v7
	v_lshlrev_b64 v[18:19], v10, v[8:9]
	v_and_b32_e32 v8, 7, v18
; %bb.2014:                             ;   in Loop: Header=BB257_1567 Depth=1
	s_or_b32 exec_lo, exec_lo, s13
	v_lshlrev_b32_e32 v10, 24, v6
	v_lshlrev_b32_e32 v8, 20, v8
	v_lshl_add_u32 v7, v7, 23, 0x3c000000
	v_and_b32_e32 v10, 0x80000000, v10
	v_or3_b32 v8, v8, v10, v7
	v_mov_b32_e32 v19, v9
	v_mov_b32_e32 v18, v8
.LBB257_2015:                           ;   in Loop: Header=BB257_1567 Depth=1
	s_or_b32 exec_lo, exec_lo, s12
.LBB257_2016:                           ;   in Loop: Header=BB257_1567 Depth=1
	s_or_b32 exec_lo, exec_lo, s9
.LBB257_2017:                           ;   in Loop: Header=BB257_1567 Depth=1
	s_or_b32 exec_lo, exec_lo, s8
	v_cmp_ne_u16_sdwa s4, v6, v9 src0_sel:BYTE_1 src1_sel:DWORD
	s_and_saveexec_b32 s8, s4
	s_cbranch_execz .LBB257_2025
; %bb.2018:                             ;   in Loop: Header=BB257_1567 Depth=1
	v_mov_b32_e32 v10, v9
	v_mov_b32_e32 v21, v11
	v_cmp_ne_u16_sdwa s4, v6, v42 src0_sel:BYTE_1 src1_sel:DWORD
	v_mov_b32_e32 v20, v10
	s_and_saveexec_b32 s9, s4
	s_cbranch_execz .LBB257_2024
; %bb.2019:                             ;   in Loop: Header=BB257_1567 Depth=1
	v_mov_b32_e32 v7, 0xffff
	v_mov_b32_e32 v12, v9
	;; [unrolled: 1-line block ×3, first 2 shown]
	s_mov_b32 s12, exec_lo
	v_and_b32_sdwa v7, v7, v6 dst_sel:DWORD dst_unused:UNUSED_PAD src0_sel:DWORD src1_sel:BYTE_1
	v_mov_b32_e32 v20, v12
	v_and_b32_e32 v10, 0x7f, v7
	v_cmpx_ne_u32_e32 0x7f, v10
	s_cbranch_execz .LBB257_2023
; %bb.2020:                             ;   in Loop: Header=BB257_1567 Depth=1
	v_and_b32_e32 v8, 7, v7
	v_lshrrev_b32_e32 v7, 3, v10
	s_mov_b32 s13, exec_lo
	v_cmpx_gt_u32_e32 8, v10
; %bb.2021:                             ;   in Loop: Header=BB257_1567 Depth=1
	v_ffbh_u32_e32 v7, v8
	v_min_u32_e32 v7, 32, v7
	v_subrev_nc_u32_e32 v10, 28, v7
	v_sub_nc_u32_e32 v7, 29, v7
	v_lshlrev_b64 v[20:21], v10, v[8:9]
	v_and_b32_e32 v8, 7, v20
; %bb.2022:                             ;   in Loop: Header=BB257_1567 Depth=1
	s_or_b32 exec_lo, exec_lo, s13
	v_lshlrev_b32_e32 v10, 16, v6
	v_lshlrev_b32_e32 v8, 20, v8
	v_lshl_add_u32 v7, v7, 23, 0x3c000000
	v_mov_b32_e32 v20, v9
	v_and_b32_e32 v10, 0x80000000, v10
	v_or3_b32 v21, v8, v10, v7
.LBB257_2023:                           ;   in Loop: Header=BB257_1567 Depth=1
	s_or_b32 exec_lo, exec_lo, s12
.LBB257_2024:                           ;   in Loop: Header=BB257_1567 Depth=1
	s_or_b32 exec_lo, exec_lo, s9
.LBB257_2025:                           ;   in Loop: Header=BB257_1567 Depth=1
	s_or_b32 exec_lo, exec_lo, s8
	v_mov_b32_e32 v22, 0
	v_mov_b32_e32 v24, 0
	v_and_b32_sdwa v7, v6, v44 dst_sel:DWORD dst_unused:UNUSED_PAD src0_sel:WORD_1 src1_sel:DWORD
	v_mov_b32_e32 v23, 0
	v_mov_b32_e32 v25, 0
	s_mov_b32 s8, exec_lo
	v_cmpx_ne_u16_e32 0, v7
	s_cbranch_execz .LBB257_2033
; %bb.2026:                             ;   in Loop: Header=BB257_1567 Depth=1
	v_bfrev_b32_e32 v24, 1
	v_mov_b32_e32 v25, 0
	s_mov_b32 s9, exec_lo
	v_cmpx_ne_u16_e32 0x80, v7
	s_cbranch_execz .LBB257_2032
; %bb.2027:                             ;   in Loop: Header=BB257_1567 Depth=1
	v_mov_b32_e32 v24, 0x7f800001
	v_bfe_u32 v10, v6, 16, 7
	v_mov_b32_e32 v25, 0
	s_mov_b32 s12, exec_lo
	v_cmpx_ne_u32_e32 0x7f, v10
	s_cbranch_execz .LBB257_2031
; %bb.2028:                             ;   in Loop: Header=BB257_1567 Depth=1
	v_mov_b32_e32 v7, 7
	s_mov_b32 s13, exec_lo
	v_and_b32_sdwa v8, v6, v7 dst_sel:DWORD dst_unused:UNUSED_PAD src0_sel:WORD_1 src1_sel:DWORD
	v_lshrrev_b32_e32 v7, 3, v10
	v_cmpx_gt_u32_e32 8, v10
; %bb.2029:                             ;   in Loop: Header=BB257_1567 Depth=1
	v_ffbh_u32_e32 v7, v8
	v_min_u32_e32 v7, 32, v7
	v_subrev_nc_u32_e32 v10, 28, v7
	v_sub_nc_u32_e32 v7, 29, v7
	v_lshlrev_b64 v[24:25], v10, v[8:9]
	v_and_b32_e32 v8, 7, v24
; %bb.2030:                             ;   in Loop: Header=BB257_1567 Depth=1
	s_or_b32 exec_lo, exec_lo, s13
	v_mov_b32_e32 v10, 24
	v_lshlrev_b32_e32 v8, 20, v8
	v_lshl_add_u32 v7, v7, 23, 0x3c000000
	v_lshlrev_b32_sdwa v10, v10, v6 dst_sel:DWORD dst_unused:UNUSED_PAD src0_sel:DWORD src1_sel:WORD_1
	v_and_b32_e32 v10, 0x80000000, v10
	v_or3_b32 v8, v8, v10, v7
	v_mov_b32_e32 v25, v9
	v_mov_b32_e32 v24, v8
.LBB257_2031:                           ;   in Loop: Header=BB257_1567 Depth=1
	s_or_b32 exec_lo, exec_lo, s12
.LBB257_2032:                           ;   in Loop: Header=BB257_1567 Depth=1
	s_or_b32 exec_lo, exec_lo, s9
.LBB257_2033:                           ;   in Loop: Header=BB257_1567 Depth=1
	s_or_b32 exec_lo, exec_lo, s8
	s_mov_b32 s8, exec_lo
	v_cmpx_lt_u32_e32 0xffffff, v6
	s_cbranch_execz .LBB257_2041
; %bb.2034:                             ;   in Loop: Header=BB257_1567 Depth=1
	v_mov_b32_e32 v10, v9
	v_mov_b32_e32 v23, v11
	v_cmp_ne_u32_sdwa s4, v6, v42 src0_sel:BYTE_3 src1_sel:DWORD
	v_mov_b32_e32 v22, v10
	s_and_saveexec_b32 s9, s4
	s_cbranch_execz .LBB257_2040
; %bb.2035:                             ;   in Loop: Header=BB257_1567 Depth=1
	v_mov_b32_e32 v12, v9
	v_mov_b32_e32 v23, v13
	v_bfe_u32 v10, v6, 24, 7
	s_mov_b32 s12, exec_lo
	v_mov_b32_e32 v22, v12
	v_cmpx_ne_u32_e32 0x7f, v10
	s_cbranch_execz .LBB257_2039
; %bb.2036:                             ;   in Loop: Header=BB257_1567 Depth=1
	v_mov_b32_e32 v7, 7
	s_mov_b32 s13, exec_lo
	v_and_b32_sdwa v8, v6, v7 dst_sel:DWORD dst_unused:UNUSED_PAD src0_sel:BYTE_3 src1_sel:DWORD
	v_lshrrev_b32_e32 v7, 3, v10
	v_cmpx_gt_u32_e32 8, v10
; %bb.2037:                             ;   in Loop: Header=BB257_1567 Depth=1
	v_ffbh_u32_e32 v7, v8
	v_min_u32_e32 v7, 32, v7
	v_subrev_nc_u32_e32 v10, 28, v7
	v_sub_nc_u32_e32 v7, 29, v7
	v_lshlrev_b64 v[22:23], v10, v[8:9]
	v_and_b32_e32 v8, 7, v22
; %bb.2038:                             ;   in Loop: Header=BB257_1567 Depth=1
	s_or_b32 exec_lo, exec_lo, s13
	v_mov_b32_e32 v10, 24
	v_lshlrev_b32_e32 v8, 20, v8
	v_lshl_add_u32 v7, v7, 23, 0x3c000000
	v_mov_b32_e32 v22, v9
	v_lshlrev_b32_sdwa v6, v10, v6 dst_sel:DWORD dst_unused:UNUSED_PAD src0_sel:DWORD src1_sel:BYTE_3
	v_and_b32_e32 v6, 0x80000000, v6
	v_or3_b32 v23, v8, v6, v7
.LBB257_2039:                           ;   in Loop: Header=BB257_1567 Depth=1
	s_or_b32 exec_lo, exec_lo, s12
.LBB257_2040:                           ;   in Loop: Header=BB257_1567 Depth=1
	s_or_b32 exec_lo, exec_lo, s9
.LBB257_2041:                           ;   in Loop: Header=BB257_1567 Depth=1
	s_or_b32 exec_lo, exec_lo, s8
	v_or_b32_e32 v6, v21, v19
	v_or_b32_e32 v7, v20, v18
	;; [unrolled: 1-line block ×4, first 2 shown]
	v_mul_f32_e32 v6, v60, v6
	buffer_store_dword v6, off, s[0:3], s32 offset:632 ; 4-byte Folded Spill
	v_mul_f32_e32 v6, v40, v7
	buffer_store_dword v6, off, s[0:3], s32 offset:624 ; 4-byte Folded Spill
	;; [unrolled: 2-line block ×4, first 2 shown]
	s_and_saveexec_b32 s8, vcc_lo
	s_cbranch_execz .LBB257_2043
; %bb.2042:                             ;   in Loop: Header=BB257_1567 Depth=1
	buffer_load_dword v6, off, s[0:3], s32 offset:624 ; 4-byte Folded Reload
	v_cmp_lt_i32_e64 s4, v89, v78
	s_waitcnt vmcnt(0)
	v_cndmask_b32_e64 v6, 0, v6, s4
	v_cmp_lt_i32_e64 s4, v91, v78
	buffer_store_dword v6, off, s[0:3], s32 offset:624 ; 4-byte Folded Spill
	buffer_load_dword v6, off, s[0:3], s32 offset:632 ; 4-byte Folded Reload
	s_waitcnt vmcnt(0)
	v_cndmask_b32_e64 v6, 0, v6, s4
	v_cmp_lt_i32_e64 s4, v90, v78
	buffer_store_dword v6, off, s[0:3], s32 offset:632 ; 4-byte Folded Spill
	buffer_load_dword v6, off, s[0:3], s32 offset:616 ; 4-byte Folded Reload
	;; [unrolled: 5-line block ×3, first 2 shown]
	s_waitcnt vmcnt(0)
	v_cndmask_b32_e64 v6, 0, v6, s4
	buffer_store_dword v6, off, s[0:3], s32 offset:608 ; 4-byte Folded Spill
.LBB257_2043:                           ;   in Loop: Header=BB257_1567 Depth=1
	s_or_b32 exec_lo, exec_lo, s8
	flat_load_dword v6, v[4:5] offset:1792
	v_mov_b32_e32 v20, 0
	v_mov_b32_e32 v18, 0
	;; [unrolled: 1-line block ×4, first 2 shown]
	s_waitcnt vmcnt(0) lgkmcnt(0)
	v_cmp_ne_u16_sdwa s4, v6, v9 src0_sel:BYTE_0 src1_sel:DWORD
	s_and_saveexec_b32 s8, s4
	s_cbranch_execz .LBB257_2051
; %bb.2044:                             ;   in Loop: Header=BB257_1567 Depth=1
	v_bfrev_b32_e32 v18, 1
	v_mov_b32_e32 v19, 0
	v_cmp_ne_u16_sdwa s4, v6, v42 src0_sel:BYTE_0 src1_sel:DWORD
	s_and_saveexec_b32 s9, s4
	s_cbranch_execz .LBB257_2050
; %bb.2045:                             ;   in Loop: Header=BB257_1567 Depth=1
	v_mov_b32_e32 v18, 0x7f800001
	v_and_b32_e32 v10, 0x7f, v6
	v_mov_b32_e32 v19, 0
	s_mov_b32 s12, exec_lo
	v_cmpx_ne_u32_e32 0x7f, v10
	s_cbranch_execz .LBB257_2049
; %bb.2046:                             ;   in Loop: Header=BB257_1567 Depth=1
	v_and_b32_e32 v8, 7, v6
	v_lshrrev_b32_e32 v7, 3, v10
	s_mov_b32 s13, exec_lo
	v_cmpx_gt_u32_e32 8, v10
; %bb.2047:                             ;   in Loop: Header=BB257_1567 Depth=1
	v_ffbh_u32_e32 v7, v8
	v_min_u32_e32 v7, 32, v7
	v_subrev_nc_u32_e32 v10, 28, v7
	v_sub_nc_u32_e32 v7, 29, v7
	v_lshlrev_b64 v[18:19], v10, v[8:9]
	v_and_b32_e32 v8, 7, v18
; %bb.2048:                             ;   in Loop: Header=BB257_1567 Depth=1
	s_or_b32 exec_lo, exec_lo, s13
	v_lshlrev_b32_e32 v10, 24, v6
	v_lshlrev_b32_e32 v8, 20, v8
	v_lshl_add_u32 v7, v7, 23, 0x3c000000
	v_and_b32_e32 v10, 0x80000000, v10
	v_or3_b32 v8, v8, v10, v7
	v_mov_b32_e32 v19, v9
	v_mov_b32_e32 v18, v8
.LBB257_2049:                           ;   in Loop: Header=BB257_1567 Depth=1
	s_or_b32 exec_lo, exec_lo, s12
.LBB257_2050:                           ;   in Loop: Header=BB257_1567 Depth=1
	s_or_b32 exec_lo, exec_lo, s9
.LBB257_2051:                           ;   in Loop: Header=BB257_1567 Depth=1
	s_or_b32 exec_lo, exec_lo, s8
	v_cmp_ne_u16_sdwa s4, v6, v9 src0_sel:BYTE_1 src1_sel:DWORD
	s_and_saveexec_b32 s8, s4
	s_cbranch_execz .LBB257_2059
; %bb.2052:                             ;   in Loop: Header=BB257_1567 Depth=1
	v_mov_b32_e32 v10, v9
	v_mov_b32_e32 v21, v11
	v_cmp_ne_u16_sdwa s4, v6, v42 src0_sel:BYTE_1 src1_sel:DWORD
	v_mov_b32_e32 v20, v10
	s_and_saveexec_b32 s9, s4
	s_cbranch_execz .LBB257_2058
; %bb.2053:                             ;   in Loop: Header=BB257_1567 Depth=1
	v_mov_b32_e32 v7, 0xffff
	v_mov_b32_e32 v12, v9
	;; [unrolled: 1-line block ×3, first 2 shown]
	s_mov_b32 s12, exec_lo
	v_and_b32_sdwa v7, v7, v6 dst_sel:DWORD dst_unused:UNUSED_PAD src0_sel:DWORD src1_sel:BYTE_1
	v_mov_b32_e32 v20, v12
	v_and_b32_e32 v10, 0x7f, v7
	v_cmpx_ne_u32_e32 0x7f, v10
	s_cbranch_execz .LBB257_2057
; %bb.2054:                             ;   in Loop: Header=BB257_1567 Depth=1
	v_and_b32_e32 v8, 7, v7
	v_lshrrev_b32_e32 v7, 3, v10
	s_mov_b32 s13, exec_lo
	v_cmpx_gt_u32_e32 8, v10
; %bb.2055:                             ;   in Loop: Header=BB257_1567 Depth=1
	v_ffbh_u32_e32 v7, v8
	v_min_u32_e32 v7, 32, v7
	v_subrev_nc_u32_e32 v10, 28, v7
	v_sub_nc_u32_e32 v7, 29, v7
	v_lshlrev_b64 v[20:21], v10, v[8:9]
	v_and_b32_e32 v8, 7, v20
; %bb.2056:                             ;   in Loop: Header=BB257_1567 Depth=1
	s_or_b32 exec_lo, exec_lo, s13
	v_lshlrev_b32_e32 v10, 16, v6
	v_lshlrev_b32_e32 v8, 20, v8
	v_lshl_add_u32 v7, v7, 23, 0x3c000000
	v_mov_b32_e32 v20, v9
	v_and_b32_e32 v10, 0x80000000, v10
	v_or3_b32 v21, v8, v10, v7
.LBB257_2057:                           ;   in Loop: Header=BB257_1567 Depth=1
	s_or_b32 exec_lo, exec_lo, s12
.LBB257_2058:                           ;   in Loop: Header=BB257_1567 Depth=1
	s_or_b32 exec_lo, exec_lo, s9
.LBB257_2059:                           ;   in Loop: Header=BB257_1567 Depth=1
	s_or_b32 exec_lo, exec_lo, s8
	v_mov_b32_e32 v22, 0
	v_mov_b32_e32 v24, 0
	v_and_b32_sdwa v7, v6, v44 dst_sel:DWORD dst_unused:UNUSED_PAD src0_sel:WORD_1 src1_sel:DWORD
	v_mov_b32_e32 v23, 0
	v_mov_b32_e32 v25, 0
	s_mov_b32 s8, exec_lo
	v_cmpx_ne_u16_e32 0, v7
	s_cbranch_execz .LBB257_2067
; %bb.2060:                             ;   in Loop: Header=BB257_1567 Depth=1
	v_bfrev_b32_e32 v24, 1
	v_mov_b32_e32 v25, 0
	s_mov_b32 s9, exec_lo
	v_cmpx_ne_u16_e32 0x80, v7
	s_cbranch_execz .LBB257_2066
; %bb.2061:                             ;   in Loop: Header=BB257_1567 Depth=1
	v_mov_b32_e32 v24, 0x7f800001
	v_bfe_u32 v10, v6, 16, 7
	v_mov_b32_e32 v25, 0
	s_mov_b32 s12, exec_lo
	v_cmpx_ne_u32_e32 0x7f, v10
	s_cbranch_execz .LBB257_2065
; %bb.2062:                             ;   in Loop: Header=BB257_1567 Depth=1
	v_mov_b32_e32 v7, 7
	s_mov_b32 s13, exec_lo
	v_and_b32_sdwa v8, v6, v7 dst_sel:DWORD dst_unused:UNUSED_PAD src0_sel:WORD_1 src1_sel:DWORD
	v_lshrrev_b32_e32 v7, 3, v10
	v_cmpx_gt_u32_e32 8, v10
; %bb.2063:                             ;   in Loop: Header=BB257_1567 Depth=1
	v_ffbh_u32_e32 v7, v8
	v_min_u32_e32 v7, 32, v7
	v_subrev_nc_u32_e32 v10, 28, v7
	v_sub_nc_u32_e32 v7, 29, v7
	v_lshlrev_b64 v[24:25], v10, v[8:9]
	v_and_b32_e32 v8, 7, v24
; %bb.2064:                             ;   in Loop: Header=BB257_1567 Depth=1
	s_or_b32 exec_lo, exec_lo, s13
	v_mov_b32_e32 v10, 24
	v_lshlrev_b32_e32 v8, 20, v8
	v_lshl_add_u32 v7, v7, 23, 0x3c000000
	v_lshlrev_b32_sdwa v10, v10, v6 dst_sel:DWORD dst_unused:UNUSED_PAD src0_sel:DWORD src1_sel:WORD_1
	v_and_b32_e32 v10, 0x80000000, v10
	v_or3_b32 v8, v8, v10, v7
	v_mov_b32_e32 v25, v9
	v_mov_b32_e32 v24, v8
.LBB257_2065:                           ;   in Loop: Header=BB257_1567 Depth=1
	s_or_b32 exec_lo, exec_lo, s12
.LBB257_2066:                           ;   in Loop: Header=BB257_1567 Depth=1
	s_or_b32 exec_lo, exec_lo, s9
.LBB257_2067:                           ;   in Loop: Header=BB257_1567 Depth=1
	s_or_b32 exec_lo, exec_lo, s8
	s_mov_b32 s8, exec_lo
	v_cmpx_lt_u32_e32 0xffffff, v6
	s_cbranch_execz .LBB257_2075
; %bb.2068:                             ;   in Loop: Header=BB257_1567 Depth=1
	v_mov_b32_e32 v10, v9
	v_mov_b32_e32 v23, v11
	v_cmp_ne_u32_sdwa s4, v6, v42 src0_sel:BYTE_3 src1_sel:DWORD
	v_mov_b32_e32 v22, v10
	s_and_saveexec_b32 s9, s4
	s_cbranch_execz .LBB257_2074
; %bb.2069:                             ;   in Loop: Header=BB257_1567 Depth=1
	v_mov_b32_e32 v12, v9
	v_mov_b32_e32 v23, v13
	v_bfe_u32 v10, v6, 24, 7
	s_mov_b32 s12, exec_lo
	v_mov_b32_e32 v22, v12
	v_cmpx_ne_u32_e32 0x7f, v10
	s_cbranch_execz .LBB257_2073
; %bb.2070:                             ;   in Loop: Header=BB257_1567 Depth=1
	v_mov_b32_e32 v7, 7
	s_mov_b32 s13, exec_lo
	v_and_b32_sdwa v8, v6, v7 dst_sel:DWORD dst_unused:UNUSED_PAD src0_sel:BYTE_3 src1_sel:DWORD
	v_lshrrev_b32_e32 v7, 3, v10
	v_cmpx_gt_u32_e32 8, v10
; %bb.2071:                             ;   in Loop: Header=BB257_1567 Depth=1
	v_ffbh_u32_e32 v7, v8
	v_min_u32_e32 v7, 32, v7
	v_subrev_nc_u32_e32 v10, 28, v7
	v_sub_nc_u32_e32 v7, 29, v7
	v_lshlrev_b64 v[22:23], v10, v[8:9]
	v_and_b32_e32 v8, 7, v22
; %bb.2072:                             ;   in Loop: Header=BB257_1567 Depth=1
	s_or_b32 exec_lo, exec_lo, s13
	v_mov_b32_e32 v10, 24
	v_lshlrev_b32_e32 v8, 20, v8
	v_lshl_add_u32 v7, v7, 23, 0x3c000000
	v_mov_b32_e32 v22, v9
	v_lshlrev_b32_sdwa v6, v10, v6 dst_sel:DWORD dst_unused:UNUSED_PAD src0_sel:DWORD src1_sel:BYTE_3
	v_and_b32_e32 v6, 0x80000000, v6
	v_or3_b32 v23, v8, v6, v7
.LBB257_2073:                           ;   in Loop: Header=BB257_1567 Depth=1
	s_or_b32 exec_lo, exec_lo, s12
.LBB257_2074:                           ;   in Loop: Header=BB257_1567 Depth=1
	s_or_b32 exec_lo, exec_lo, s9
.LBB257_2075:                           ;   in Loop: Header=BB257_1567 Depth=1
	s_or_b32 exec_lo, exec_lo, s8
	v_or_b32_e32 v6, v21, v19
	v_or_b32_e32 v7, v20, v18
	;; [unrolled: 1-line block ×4, first 2 shown]
	v_mul_f32_e32 v6, v60, v6
	buffer_store_dword v6, off, s[0:3], s32 offset:664 ; 4-byte Folded Spill
	v_mul_f32_e32 v6, v40, v7
	buffer_store_dword v6, off, s[0:3], s32 offset:656 ; 4-byte Folded Spill
	v_mul_f32_e32 v6, v40, v8
	buffer_store_dword v6, off, s[0:3], s32 offset:648 ; 4-byte Folded Spill
	v_mul_f32_e32 v6, v60, v10
	buffer_store_dword v6, off, s[0:3], s32 offset:640 ; 4-byte Folded Spill
	s_and_saveexec_b32 s8, vcc_lo
	s_cbranch_execz .LBB257_2077
; %bb.2076:                             ;   in Loop: Header=BB257_1567 Depth=1
	buffer_load_dword v6, off, s[0:3], s32 offset:656 ; 4-byte Folded Reload
	v_cmp_lt_i32_e64 s4, v89, v78
	s_waitcnt vmcnt(0)
	v_cndmask_b32_e64 v6, 0, v6, s4
	v_cmp_lt_i32_e64 s4, v91, v78
	buffer_store_dword v6, off, s[0:3], s32 offset:656 ; 4-byte Folded Spill
	buffer_load_dword v6, off, s[0:3], s32 offset:664 ; 4-byte Folded Reload
	s_waitcnt vmcnt(0)
	v_cndmask_b32_e64 v6, 0, v6, s4
	v_cmp_lt_i32_e64 s4, v90, v78
	buffer_store_dword v6, off, s[0:3], s32 offset:664 ; 4-byte Folded Spill
	buffer_load_dword v6, off, s[0:3], s32 offset:648 ; 4-byte Folded Reload
	;; [unrolled: 5-line block ×3, first 2 shown]
	s_waitcnt vmcnt(0)
	v_cndmask_b32_e64 v6, 0, v6, s4
	buffer_store_dword v6, off, s[0:3], s32 offset:640 ; 4-byte Folded Spill
.LBB257_2077:                           ;   in Loop: Header=BB257_1567 Depth=1
	s_or_b32 exec_lo, exec_lo, s8
	flat_load_dword v6, v[4:5] offset:1920
	v_mov_b32_e32 v20, 0
	v_mov_b32_e32 v18, 0
	;; [unrolled: 1-line block ×4, first 2 shown]
	s_waitcnt vmcnt(0) lgkmcnt(0)
	v_cmp_ne_u16_sdwa s4, v6, v9 src0_sel:BYTE_0 src1_sel:DWORD
	s_and_saveexec_b32 s8, s4
	s_cbranch_execz .LBB257_2085
; %bb.2078:                             ;   in Loop: Header=BB257_1567 Depth=1
	v_bfrev_b32_e32 v18, 1
	v_mov_b32_e32 v19, 0
	v_cmp_ne_u16_sdwa s4, v6, v42 src0_sel:BYTE_0 src1_sel:DWORD
	s_and_saveexec_b32 s9, s4
	s_cbranch_execz .LBB257_2084
; %bb.2079:                             ;   in Loop: Header=BB257_1567 Depth=1
	v_mov_b32_e32 v18, 0x7f800001
	v_and_b32_e32 v10, 0x7f, v6
	v_mov_b32_e32 v19, 0
	s_mov_b32 s12, exec_lo
	v_cmpx_ne_u32_e32 0x7f, v10
	s_cbranch_execz .LBB257_2083
; %bb.2080:                             ;   in Loop: Header=BB257_1567 Depth=1
	v_and_b32_e32 v8, 7, v6
	v_lshrrev_b32_e32 v7, 3, v10
	s_mov_b32 s13, exec_lo
	v_cmpx_gt_u32_e32 8, v10
; %bb.2081:                             ;   in Loop: Header=BB257_1567 Depth=1
	v_ffbh_u32_e32 v7, v8
	v_min_u32_e32 v7, 32, v7
	v_subrev_nc_u32_e32 v10, 28, v7
	v_sub_nc_u32_e32 v7, 29, v7
	v_lshlrev_b64 v[18:19], v10, v[8:9]
	v_and_b32_e32 v8, 7, v18
; %bb.2082:                             ;   in Loop: Header=BB257_1567 Depth=1
	s_or_b32 exec_lo, exec_lo, s13
	v_lshlrev_b32_e32 v10, 24, v6
	v_lshlrev_b32_e32 v8, 20, v8
	v_lshl_add_u32 v7, v7, 23, 0x3c000000
	v_and_b32_e32 v10, 0x80000000, v10
	v_or3_b32 v8, v8, v10, v7
	v_mov_b32_e32 v19, v9
	v_mov_b32_e32 v18, v8
.LBB257_2083:                           ;   in Loop: Header=BB257_1567 Depth=1
	s_or_b32 exec_lo, exec_lo, s12
.LBB257_2084:                           ;   in Loop: Header=BB257_1567 Depth=1
	s_or_b32 exec_lo, exec_lo, s9
.LBB257_2085:                           ;   in Loop: Header=BB257_1567 Depth=1
	s_or_b32 exec_lo, exec_lo, s8
	v_cmp_ne_u16_sdwa s4, v6, v9 src0_sel:BYTE_1 src1_sel:DWORD
	s_and_saveexec_b32 s8, s4
	s_cbranch_execz .LBB257_2093
; %bb.2086:                             ;   in Loop: Header=BB257_1567 Depth=1
	v_mov_b32_e32 v10, v9
	v_mov_b32_e32 v21, v11
	v_cmp_ne_u16_sdwa s4, v6, v42 src0_sel:BYTE_1 src1_sel:DWORD
	v_mov_b32_e32 v20, v10
	s_and_saveexec_b32 s9, s4
	s_cbranch_execz .LBB257_2092
; %bb.2087:                             ;   in Loop: Header=BB257_1567 Depth=1
	v_mov_b32_e32 v7, 0xffff
	v_mov_b32_e32 v12, v9
	;; [unrolled: 1-line block ×3, first 2 shown]
	s_mov_b32 s12, exec_lo
	v_and_b32_sdwa v7, v7, v6 dst_sel:DWORD dst_unused:UNUSED_PAD src0_sel:DWORD src1_sel:BYTE_1
	v_mov_b32_e32 v20, v12
	v_and_b32_e32 v10, 0x7f, v7
	v_cmpx_ne_u32_e32 0x7f, v10
	s_cbranch_execz .LBB257_2091
; %bb.2088:                             ;   in Loop: Header=BB257_1567 Depth=1
	v_and_b32_e32 v8, 7, v7
	v_lshrrev_b32_e32 v7, 3, v10
	s_mov_b32 s13, exec_lo
	v_cmpx_gt_u32_e32 8, v10
; %bb.2089:                             ;   in Loop: Header=BB257_1567 Depth=1
	v_ffbh_u32_e32 v7, v8
	v_min_u32_e32 v7, 32, v7
	v_subrev_nc_u32_e32 v10, 28, v7
	v_sub_nc_u32_e32 v7, 29, v7
	v_lshlrev_b64 v[20:21], v10, v[8:9]
	v_and_b32_e32 v8, 7, v20
; %bb.2090:                             ;   in Loop: Header=BB257_1567 Depth=1
	s_or_b32 exec_lo, exec_lo, s13
	v_lshlrev_b32_e32 v10, 16, v6
	v_lshlrev_b32_e32 v8, 20, v8
	v_lshl_add_u32 v7, v7, 23, 0x3c000000
	v_mov_b32_e32 v20, v9
	v_and_b32_e32 v10, 0x80000000, v10
	v_or3_b32 v21, v8, v10, v7
.LBB257_2091:                           ;   in Loop: Header=BB257_1567 Depth=1
	s_or_b32 exec_lo, exec_lo, s12
.LBB257_2092:                           ;   in Loop: Header=BB257_1567 Depth=1
	s_or_b32 exec_lo, exec_lo, s9
.LBB257_2093:                           ;   in Loop: Header=BB257_1567 Depth=1
	s_or_b32 exec_lo, exec_lo, s8
	v_mov_b32_e32 v22, 0
	v_mov_b32_e32 v24, 0
	v_and_b32_sdwa v7, v6, v44 dst_sel:DWORD dst_unused:UNUSED_PAD src0_sel:WORD_1 src1_sel:DWORD
	v_mov_b32_e32 v23, 0
	v_mov_b32_e32 v25, 0
	s_mov_b32 s8, exec_lo
	v_cmpx_ne_u16_e32 0, v7
	s_cbranch_execz .LBB257_2101
; %bb.2094:                             ;   in Loop: Header=BB257_1567 Depth=1
	v_bfrev_b32_e32 v24, 1
	v_mov_b32_e32 v25, 0
	s_mov_b32 s9, exec_lo
	v_cmpx_ne_u16_e32 0x80, v7
	s_cbranch_execz .LBB257_2100
; %bb.2095:                             ;   in Loop: Header=BB257_1567 Depth=1
	v_mov_b32_e32 v24, 0x7f800001
	v_bfe_u32 v10, v6, 16, 7
	v_mov_b32_e32 v25, 0
	s_mov_b32 s12, exec_lo
	v_cmpx_ne_u32_e32 0x7f, v10
	s_cbranch_execz .LBB257_2099
; %bb.2096:                             ;   in Loop: Header=BB257_1567 Depth=1
	v_mov_b32_e32 v7, 7
	s_mov_b32 s13, exec_lo
	v_and_b32_sdwa v8, v6, v7 dst_sel:DWORD dst_unused:UNUSED_PAD src0_sel:WORD_1 src1_sel:DWORD
	v_lshrrev_b32_e32 v7, 3, v10
	v_cmpx_gt_u32_e32 8, v10
; %bb.2097:                             ;   in Loop: Header=BB257_1567 Depth=1
	v_ffbh_u32_e32 v7, v8
	v_min_u32_e32 v7, 32, v7
	v_subrev_nc_u32_e32 v10, 28, v7
	v_sub_nc_u32_e32 v7, 29, v7
	v_lshlrev_b64 v[24:25], v10, v[8:9]
	v_and_b32_e32 v8, 7, v24
; %bb.2098:                             ;   in Loop: Header=BB257_1567 Depth=1
	s_or_b32 exec_lo, exec_lo, s13
	v_mov_b32_e32 v10, 24
	v_lshlrev_b32_e32 v8, 20, v8
	v_lshl_add_u32 v7, v7, 23, 0x3c000000
	v_lshlrev_b32_sdwa v10, v10, v6 dst_sel:DWORD dst_unused:UNUSED_PAD src0_sel:DWORD src1_sel:WORD_1
	v_and_b32_e32 v10, 0x80000000, v10
	v_or3_b32 v8, v8, v10, v7
	v_mov_b32_e32 v25, v9
	v_mov_b32_e32 v24, v8
.LBB257_2099:                           ;   in Loop: Header=BB257_1567 Depth=1
	s_or_b32 exec_lo, exec_lo, s12
.LBB257_2100:                           ;   in Loop: Header=BB257_1567 Depth=1
	s_or_b32 exec_lo, exec_lo, s9
.LBB257_2101:                           ;   in Loop: Header=BB257_1567 Depth=1
	s_or_b32 exec_lo, exec_lo, s8
	s_mov_b32 s8, exec_lo
	v_cmpx_lt_u32_e32 0xffffff, v6
	s_cbranch_execz .LBB257_2109
; %bb.2102:                             ;   in Loop: Header=BB257_1567 Depth=1
	v_mov_b32_e32 v10, v9
	v_mov_b32_e32 v23, v11
	v_cmp_ne_u32_sdwa s4, v6, v42 src0_sel:BYTE_3 src1_sel:DWORD
	v_mov_b32_e32 v22, v10
	s_and_saveexec_b32 s9, s4
	s_cbranch_execz .LBB257_2108
; %bb.2103:                             ;   in Loop: Header=BB257_1567 Depth=1
	v_mov_b32_e32 v12, v9
	v_mov_b32_e32 v23, v13
	v_bfe_u32 v10, v6, 24, 7
	s_mov_b32 s12, exec_lo
	v_mov_b32_e32 v22, v12
	v_cmpx_ne_u32_e32 0x7f, v10
	s_cbranch_execz .LBB257_2107
; %bb.2104:                             ;   in Loop: Header=BB257_1567 Depth=1
	v_mov_b32_e32 v7, 7
	s_mov_b32 s13, exec_lo
	v_and_b32_sdwa v8, v6, v7 dst_sel:DWORD dst_unused:UNUSED_PAD src0_sel:BYTE_3 src1_sel:DWORD
	v_lshrrev_b32_e32 v7, 3, v10
	v_cmpx_gt_u32_e32 8, v10
; %bb.2105:                             ;   in Loop: Header=BB257_1567 Depth=1
	v_ffbh_u32_e32 v7, v8
	v_min_u32_e32 v7, 32, v7
	v_subrev_nc_u32_e32 v10, 28, v7
	v_sub_nc_u32_e32 v7, 29, v7
	v_lshlrev_b64 v[22:23], v10, v[8:9]
	v_and_b32_e32 v8, 7, v22
; %bb.2106:                             ;   in Loop: Header=BB257_1567 Depth=1
	s_or_b32 exec_lo, exec_lo, s13
	v_mov_b32_e32 v10, 24
	v_lshlrev_b32_e32 v8, 20, v8
	v_lshl_add_u32 v7, v7, 23, 0x3c000000
	v_mov_b32_e32 v22, v9
	v_lshlrev_b32_sdwa v6, v10, v6 dst_sel:DWORD dst_unused:UNUSED_PAD src0_sel:DWORD src1_sel:BYTE_3
	v_and_b32_e32 v6, 0x80000000, v6
	v_or3_b32 v23, v8, v6, v7
.LBB257_2107:                           ;   in Loop: Header=BB257_1567 Depth=1
	s_or_b32 exec_lo, exec_lo, s12
.LBB257_2108:                           ;   in Loop: Header=BB257_1567 Depth=1
	s_or_b32 exec_lo, exec_lo, s9
.LBB257_2109:                           ;   in Loop: Header=BB257_1567 Depth=1
	s_or_b32 exec_lo, exec_lo, s8
	v_or_b32_e32 v6, v21, v19
	v_or_b32_e32 v7, v20, v18
	;; [unrolled: 1-line block ×4, first 2 shown]
	v_mul_f32_e32 v6, v60, v6
	buffer_store_dword v6, off, s[0:3], s32 offset:696 ; 4-byte Folded Spill
	v_mul_f32_e32 v6, v40, v7
	buffer_store_dword v6, off, s[0:3], s32 offset:688 ; 4-byte Folded Spill
	;; [unrolled: 2-line block ×4, first 2 shown]
	s_and_saveexec_b32 s8, vcc_lo
	s_cbranch_execz .LBB257_2111
; %bb.2110:                             ;   in Loop: Header=BB257_1567 Depth=1
	buffer_load_dword v6, off, s[0:3], s32 offset:688 ; 4-byte Folded Reload
	v_cmp_lt_i32_e64 s4, v89, v78
	s_waitcnt vmcnt(0)
	v_cndmask_b32_e64 v6, 0, v6, s4
	v_cmp_lt_i32_e64 s4, v91, v78
	buffer_store_dword v6, off, s[0:3], s32 offset:688 ; 4-byte Folded Spill
	buffer_load_dword v6, off, s[0:3], s32 offset:696 ; 4-byte Folded Reload
	s_waitcnt vmcnt(0)
	v_cndmask_b32_e64 v6, 0, v6, s4
	v_cmp_lt_i32_e64 s4, v90, v78
	buffer_store_dword v6, off, s[0:3], s32 offset:696 ; 4-byte Folded Spill
	buffer_load_dword v6, off, s[0:3], s32 offset:680 ; 4-byte Folded Reload
	s_waitcnt vmcnt(0)
	v_cndmask_b32_e64 v6, 0, v6, s4
	v_cmp_lt_i32_e64 s4, v58, v78
	buffer_store_dword v6, off, s[0:3], s32 offset:680 ; 4-byte Folded Spill
	buffer_load_dword v6, off, s[0:3], s32 offset:672 ; 4-byte Folded Reload
	s_waitcnt vmcnt(0)
	v_cndmask_b32_e64 v6, 0, v6, s4
	buffer_store_dword v6, off, s[0:3], s32 offset:672 ; 4-byte Folded Spill
.LBB257_2111:                           ;   in Loop: Header=BB257_1567 Depth=1
	s_or_b32 exec_lo, exec_lo, s8
	v_add_co_u32 v18, s4, 0x800, v4
	v_add_co_ci_u32_e64 v19, null, 0, v5, s4
	v_mov_b32_e32 v22, 0
	v_mov_b32_e32 v20, 0
	v_mov_b32_e32 v23, 0
	flat_load_dword v6, v[18:19]
	v_mov_b32_e32 v21, 0
	s_waitcnt vmcnt(0) lgkmcnt(0)
	v_cmp_ne_u16_sdwa s4, v6, v9 src0_sel:BYTE_0 src1_sel:DWORD
	s_and_saveexec_b32 s8, s4
	s_cbranch_execz .LBB257_2119
; %bb.2112:                             ;   in Loop: Header=BB257_1567 Depth=1
	v_bfrev_b32_e32 v20, 1
	v_mov_b32_e32 v21, 0
	v_cmp_ne_u16_sdwa s4, v6, v42 src0_sel:BYTE_0 src1_sel:DWORD
	s_and_saveexec_b32 s9, s4
	s_cbranch_execz .LBB257_2118
; %bb.2113:                             ;   in Loop: Header=BB257_1567 Depth=1
	v_mov_b32_e32 v20, 0x7f800001
	v_and_b32_e32 v10, 0x7f, v6
	v_mov_b32_e32 v21, 0
	s_mov_b32 s12, exec_lo
	v_cmpx_ne_u32_e32 0x7f, v10
	s_cbranch_execz .LBB257_2117
; %bb.2114:                             ;   in Loop: Header=BB257_1567 Depth=1
	v_and_b32_e32 v8, 7, v6
	v_lshrrev_b32_e32 v7, 3, v10
	s_mov_b32 s13, exec_lo
	v_cmpx_gt_u32_e32 8, v10
; %bb.2115:                             ;   in Loop: Header=BB257_1567 Depth=1
	v_ffbh_u32_e32 v7, v8
	v_min_u32_e32 v7, 32, v7
	v_subrev_nc_u32_e32 v10, 28, v7
	v_sub_nc_u32_e32 v7, 29, v7
	v_lshlrev_b64 v[20:21], v10, v[8:9]
	v_and_b32_e32 v8, 7, v20
; %bb.2116:                             ;   in Loop: Header=BB257_1567 Depth=1
	s_or_b32 exec_lo, exec_lo, s13
	v_lshlrev_b32_e32 v10, 24, v6
	v_lshlrev_b32_e32 v8, 20, v8
	v_lshl_add_u32 v7, v7, 23, 0x3c000000
	v_and_b32_e32 v10, 0x80000000, v10
	v_or3_b32 v8, v8, v10, v7
	v_mov_b32_e32 v21, v9
	v_mov_b32_e32 v20, v8
.LBB257_2117:                           ;   in Loop: Header=BB257_1567 Depth=1
	s_or_b32 exec_lo, exec_lo, s12
.LBB257_2118:                           ;   in Loop: Header=BB257_1567 Depth=1
	s_or_b32 exec_lo, exec_lo, s9
.LBB257_2119:                           ;   in Loop: Header=BB257_1567 Depth=1
	s_or_b32 exec_lo, exec_lo, s8
	v_cmp_ne_u16_sdwa s4, v6, v9 src0_sel:BYTE_1 src1_sel:DWORD
	s_and_saveexec_b32 s8, s4
	s_cbranch_execz .LBB257_2127
; %bb.2120:                             ;   in Loop: Header=BB257_1567 Depth=1
	v_mov_b32_e32 v10, v9
	v_mov_b32_e32 v23, v11
	v_cmp_ne_u16_sdwa s4, v6, v42 src0_sel:BYTE_1 src1_sel:DWORD
	v_mov_b32_e32 v22, v10
	s_and_saveexec_b32 s9, s4
	s_cbranch_execz .LBB257_2126
; %bb.2121:                             ;   in Loop: Header=BB257_1567 Depth=1
	v_mov_b32_e32 v7, 0xffff
	v_mov_b32_e32 v12, v9
	;; [unrolled: 1-line block ×3, first 2 shown]
	s_mov_b32 s12, exec_lo
	v_and_b32_sdwa v7, v7, v6 dst_sel:DWORD dst_unused:UNUSED_PAD src0_sel:DWORD src1_sel:BYTE_1
	v_mov_b32_e32 v22, v12
	v_and_b32_e32 v10, 0x7f, v7
	v_cmpx_ne_u32_e32 0x7f, v10
	s_cbranch_execz .LBB257_2125
; %bb.2122:                             ;   in Loop: Header=BB257_1567 Depth=1
	v_and_b32_e32 v8, 7, v7
	v_lshrrev_b32_e32 v7, 3, v10
	s_mov_b32 s13, exec_lo
	v_cmpx_gt_u32_e32 8, v10
; %bb.2123:                             ;   in Loop: Header=BB257_1567 Depth=1
	v_ffbh_u32_e32 v7, v8
	v_min_u32_e32 v7, 32, v7
	v_subrev_nc_u32_e32 v10, 28, v7
	v_sub_nc_u32_e32 v7, 29, v7
	v_lshlrev_b64 v[22:23], v10, v[8:9]
	v_and_b32_e32 v8, 7, v22
; %bb.2124:                             ;   in Loop: Header=BB257_1567 Depth=1
	s_or_b32 exec_lo, exec_lo, s13
	v_lshlrev_b32_e32 v10, 16, v6
	v_lshlrev_b32_e32 v8, 20, v8
	v_lshl_add_u32 v7, v7, 23, 0x3c000000
	v_mov_b32_e32 v22, v9
	v_and_b32_e32 v10, 0x80000000, v10
	v_or3_b32 v23, v8, v10, v7
.LBB257_2125:                           ;   in Loop: Header=BB257_1567 Depth=1
	s_or_b32 exec_lo, exec_lo, s12
.LBB257_2126:                           ;   in Loop: Header=BB257_1567 Depth=1
	s_or_b32 exec_lo, exec_lo, s9
.LBB257_2127:                           ;   in Loop: Header=BB257_1567 Depth=1
	s_or_b32 exec_lo, exec_lo, s8
	v_mov_b32_e32 v24, 0
	v_mov_b32_e32 v26, 0
	v_and_b32_sdwa v7, v6, v44 dst_sel:DWORD dst_unused:UNUSED_PAD src0_sel:WORD_1 src1_sel:DWORD
	v_mov_b32_e32 v25, 0
	v_mov_b32_e32 v27, 0
	s_mov_b32 s8, exec_lo
	v_cmpx_ne_u16_e32 0, v7
	s_cbranch_execz .LBB257_2135
; %bb.2128:                             ;   in Loop: Header=BB257_1567 Depth=1
	v_bfrev_b32_e32 v26, 1
	v_mov_b32_e32 v27, 0
	s_mov_b32 s9, exec_lo
	v_cmpx_ne_u16_e32 0x80, v7
	s_cbranch_execz .LBB257_2134
; %bb.2129:                             ;   in Loop: Header=BB257_1567 Depth=1
	v_mov_b32_e32 v26, 0x7f800001
	v_bfe_u32 v10, v6, 16, 7
	v_mov_b32_e32 v27, 0
	s_mov_b32 s12, exec_lo
	v_cmpx_ne_u32_e32 0x7f, v10
	s_cbranch_execz .LBB257_2133
; %bb.2130:                             ;   in Loop: Header=BB257_1567 Depth=1
	v_mov_b32_e32 v7, 7
	s_mov_b32 s13, exec_lo
	v_and_b32_sdwa v8, v6, v7 dst_sel:DWORD dst_unused:UNUSED_PAD src0_sel:WORD_1 src1_sel:DWORD
	v_lshrrev_b32_e32 v7, 3, v10
	v_cmpx_gt_u32_e32 8, v10
; %bb.2131:                             ;   in Loop: Header=BB257_1567 Depth=1
	v_ffbh_u32_e32 v7, v8
	v_min_u32_e32 v7, 32, v7
	v_subrev_nc_u32_e32 v10, 28, v7
	v_sub_nc_u32_e32 v7, 29, v7
	v_lshlrev_b64 v[26:27], v10, v[8:9]
	v_and_b32_e32 v8, 7, v26
; %bb.2132:                             ;   in Loop: Header=BB257_1567 Depth=1
	s_or_b32 exec_lo, exec_lo, s13
	v_mov_b32_e32 v10, 24
	v_lshlrev_b32_e32 v8, 20, v8
	v_lshl_add_u32 v7, v7, 23, 0x3c000000
	v_lshlrev_b32_sdwa v10, v10, v6 dst_sel:DWORD dst_unused:UNUSED_PAD src0_sel:DWORD src1_sel:WORD_1
	v_and_b32_e32 v10, 0x80000000, v10
	v_or3_b32 v8, v8, v10, v7
	v_mov_b32_e32 v27, v9
	v_mov_b32_e32 v26, v8
.LBB257_2133:                           ;   in Loop: Header=BB257_1567 Depth=1
	s_or_b32 exec_lo, exec_lo, s12
.LBB257_2134:                           ;   in Loop: Header=BB257_1567 Depth=1
	s_or_b32 exec_lo, exec_lo, s9
.LBB257_2135:                           ;   in Loop: Header=BB257_1567 Depth=1
	s_or_b32 exec_lo, exec_lo, s8
	s_mov_b32 s8, exec_lo
	v_cmpx_lt_u32_e32 0xffffff, v6
	s_cbranch_execz .LBB257_2143
; %bb.2136:                             ;   in Loop: Header=BB257_1567 Depth=1
	v_mov_b32_e32 v10, v9
	v_mov_b32_e32 v25, v11
	v_cmp_ne_u32_sdwa s4, v6, v42 src0_sel:BYTE_3 src1_sel:DWORD
	v_mov_b32_e32 v24, v10
	s_and_saveexec_b32 s9, s4
	s_cbranch_execz .LBB257_2142
; %bb.2137:                             ;   in Loop: Header=BB257_1567 Depth=1
	v_mov_b32_e32 v12, v9
	v_mov_b32_e32 v25, v13
	v_bfe_u32 v10, v6, 24, 7
	s_mov_b32 s12, exec_lo
	v_mov_b32_e32 v24, v12
	v_cmpx_ne_u32_e32 0x7f, v10
	s_cbranch_execz .LBB257_2141
; %bb.2138:                             ;   in Loop: Header=BB257_1567 Depth=1
	v_mov_b32_e32 v7, 7
	s_mov_b32 s13, exec_lo
	v_and_b32_sdwa v8, v6, v7 dst_sel:DWORD dst_unused:UNUSED_PAD src0_sel:BYTE_3 src1_sel:DWORD
	v_lshrrev_b32_e32 v7, 3, v10
	v_cmpx_gt_u32_e32 8, v10
; %bb.2139:                             ;   in Loop: Header=BB257_1567 Depth=1
	v_ffbh_u32_e32 v7, v8
	v_min_u32_e32 v7, 32, v7
	v_subrev_nc_u32_e32 v10, 28, v7
	v_sub_nc_u32_e32 v7, 29, v7
	v_lshlrev_b64 v[24:25], v10, v[8:9]
	v_and_b32_e32 v8, 7, v24
; %bb.2140:                             ;   in Loop: Header=BB257_1567 Depth=1
	s_or_b32 exec_lo, exec_lo, s13
	v_mov_b32_e32 v10, 24
	v_lshlrev_b32_e32 v8, 20, v8
	v_lshl_add_u32 v7, v7, 23, 0x3c000000
	v_mov_b32_e32 v24, v9
	v_lshlrev_b32_sdwa v6, v10, v6 dst_sel:DWORD dst_unused:UNUSED_PAD src0_sel:DWORD src1_sel:BYTE_3
	v_and_b32_e32 v6, 0x80000000, v6
	v_or3_b32 v25, v8, v6, v7
.LBB257_2141:                           ;   in Loop: Header=BB257_1567 Depth=1
	s_or_b32 exec_lo, exec_lo, s12
.LBB257_2142:                           ;   in Loop: Header=BB257_1567 Depth=1
	s_or_b32 exec_lo, exec_lo, s9
.LBB257_2143:                           ;   in Loop: Header=BB257_1567 Depth=1
	s_or_b32 exec_lo, exec_lo, s8
	v_or_b32_e32 v6, v23, v21
	v_or_b32_e32 v7, v22, v20
	;; [unrolled: 1-line block ×4, first 2 shown]
	v_mul_f32_e32 v6, v60, v6
	buffer_store_dword v6, off, s[0:3], s32 offset:728 ; 4-byte Folded Spill
	v_mul_f32_e32 v6, v40, v7
	buffer_store_dword v6, off, s[0:3], s32 offset:720 ; 4-byte Folded Spill
	;; [unrolled: 2-line block ×4, first 2 shown]
	s_and_saveexec_b32 s8, vcc_lo
	s_cbranch_execz .LBB257_2145
; %bb.2144:                             ;   in Loop: Header=BB257_1567 Depth=1
	buffer_load_dword v6, off, s[0:3], s32 offset:720 ; 4-byte Folded Reload
	v_cmp_lt_i32_e64 s4, v89, v78
	s_waitcnt vmcnt(0)
	v_cndmask_b32_e64 v6, 0, v6, s4
	v_cmp_lt_i32_e64 s4, v91, v78
	buffer_store_dword v6, off, s[0:3], s32 offset:720 ; 4-byte Folded Spill
	buffer_load_dword v6, off, s[0:3], s32 offset:728 ; 4-byte Folded Reload
	s_waitcnt vmcnt(0)
	v_cndmask_b32_e64 v6, 0, v6, s4
	v_cmp_lt_i32_e64 s4, v90, v78
	buffer_store_dword v6, off, s[0:3], s32 offset:728 ; 4-byte Folded Spill
	buffer_load_dword v6, off, s[0:3], s32 offset:712 ; 4-byte Folded Reload
	;; [unrolled: 5-line block ×3, first 2 shown]
	s_waitcnt vmcnt(0)
	v_cndmask_b32_e64 v6, 0, v6, s4
	buffer_store_dword v6, off, s[0:3], s32 offset:704 ; 4-byte Folded Spill
.LBB257_2145:                           ;   in Loop: Header=BB257_1567 Depth=1
	s_or_b32 exec_lo, exec_lo, s8
	flat_load_dword v6, v[18:19] offset:128
	v_mov_b32_e32 v22, 0
	v_mov_b32_e32 v20, 0
	v_mov_b32_e32 v23, 0
	v_mov_b32_e32 v21, 0
	s_waitcnt vmcnt(0) lgkmcnt(0)
	v_cmp_ne_u16_sdwa s4, v6, v9 src0_sel:BYTE_0 src1_sel:DWORD
	s_and_saveexec_b32 s8, s4
	s_cbranch_execz .LBB257_2153
; %bb.2146:                             ;   in Loop: Header=BB257_1567 Depth=1
	v_bfrev_b32_e32 v20, 1
	v_mov_b32_e32 v21, 0
	v_cmp_ne_u16_sdwa s4, v6, v42 src0_sel:BYTE_0 src1_sel:DWORD
	s_and_saveexec_b32 s9, s4
	s_cbranch_execz .LBB257_2152
; %bb.2147:                             ;   in Loop: Header=BB257_1567 Depth=1
	v_mov_b32_e32 v20, 0x7f800001
	v_and_b32_e32 v10, 0x7f, v6
	v_mov_b32_e32 v21, 0
	s_mov_b32 s12, exec_lo
	v_cmpx_ne_u32_e32 0x7f, v10
	s_cbranch_execz .LBB257_2151
; %bb.2148:                             ;   in Loop: Header=BB257_1567 Depth=1
	v_and_b32_e32 v8, 7, v6
	v_lshrrev_b32_e32 v7, 3, v10
	s_mov_b32 s13, exec_lo
	v_cmpx_gt_u32_e32 8, v10
; %bb.2149:                             ;   in Loop: Header=BB257_1567 Depth=1
	v_ffbh_u32_e32 v7, v8
	v_min_u32_e32 v7, 32, v7
	v_subrev_nc_u32_e32 v10, 28, v7
	v_sub_nc_u32_e32 v7, 29, v7
	v_lshlrev_b64 v[20:21], v10, v[8:9]
	v_and_b32_e32 v8, 7, v20
; %bb.2150:                             ;   in Loop: Header=BB257_1567 Depth=1
	s_or_b32 exec_lo, exec_lo, s13
	v_lshlrev_b32_e32 v10, 24, v6
	v_lshlrev_b32_e32 v8, 20, v8
	v_lshl_add_u32 v7, v7, 23, 0x3c000000
	v_and_b32_e32 v10, 0x80000000, v10
	v_or3_b32 v8, v8, v10, v7
	v_mov_b32_e32 v21, v9
	v_mov_b32_e32 v20, v8
.LBB257_2151:                           ;   in Loop: Header=BB257_1567 Depth=1
	s_or_b32 exec_lo, exec_lo, s12
.LBB257_2152:                           ;   in Loop: Header=BB257_1567 Depth=1
	s_or_b32 exec_lo, exec_lo, s9
.LBB257_2153:                           ;   in Loop: Header=BB257_1567 Depth=1
	s_or_b32 exec_lo, exec_lo, s8
	v_cmp_ne_u16_sdwa s4, v6, v9 src0_sel:BYTE_1 src1_sel:DWORD
	s_and_saveexec_b32 s8, s4
	s_cbranch_execz .LBB257_2161
; %bb.2154:                             ;   in Loop: Header=BB257_1567 Depth=1
	v_mov_b32_e32 v10, v9
	v_mov_b32_e32 v23, v11
	v_cmp_ne_u16_sdwa s4, v6, v42 src0_sel:BYTE_1 src1_sel:DWORD
	v_mov_b32_e32 v22, v10
	s_and_saveexec_b32 s9, s4
	s_cbranch_execz .LBB257_2160
; %bb.2155:                             ;   in Loop: Header=BB257_1567 Depth=1
	v_mov_b32_e32 v7, 0xffff
	v_mov_b32_e32 v12, v9
	;; [unrolled: 1-line block ×3, first 2 shown]
	s_mov_b32 s12, exec_lo
	v_and_b32_sdwa v7, v7, v6 dst_sel:DWORD dst_unused:UNUSED_PAD src0_sel:DWORD src1_sel:BYTE_1
	v_mov_b32_e32 v22, v12
	v_and_b32_e32 v10, 0x7f, v7
	v_cmpx_ne_u32_e32 0x7f, v10
	s_cbranch_execz .LBB257_2159
; %bb.2156:                             ;   in Loop: Header=BB257_1567 Depth=1
	v_and_b32_e32 v8, 7, v7
	v_lshrrev_b32_e32 v7, 3, v10
	s_mov_b32 s13, exec_lo
	v_cmpx_gt_u32_e32 8, v10
; %bb.2157:                             ;   in Loop: Header=BB257_1567 Depth=1
	v_ffbh_u32_e32 v7, v8
	v_min_u32_e32 v7, 32, v7
	v_subrev_nc_u32_e32 v10, 28, v7
	v_sub_nc_u32_e32 v7, 29, v7
	v_lshlrev_b64 v[22:23], v10, v[8:9]
	v_and_b32_e32 v8, 7, v22
; %bb.2158:                             ;   in Loop: Header=BB257_1567 Depth=1
	s_or_b32 exec_lo, exec_lo, s13
	v_lshlrev_b32_e32 v10, 16, v6
	v_lshlrev_b32_e32 v8, 20, v8
	v_lshl_add_u32 v7, v7, 23, 0x3c000000
	v_mov_b32_e32 v22, v9
	v_and_b32_e32 v10, 0x80000000, v10
	v_or3_b32 v23, v8, v10, v7
.LBB257_2159:                           ;   in Loop: Header=BB257_1567 Depth=1
	s_or_b32 exec_lo, exec_lo, s12
.LBB257_2160:                           ;   in Loop: Header=BB257_1567 Depth=1
	s_or_b32 exec_lo, exec_lo, s9
.LBB257_2161:                           ;   in Loop: Header=BB257_1567 Depth=1
	s_or_b32 exec_lo, exec_lo, s8
	v_mov_b32_e32 v24, 0
	v_mov_b32_e32 v26, 0
	v_and_b32_sdwa v7, v6, v44 dst_sel:DWORD dst_unused:UNUSED_PAD src0_sel:WORD_1 src1_sel:DWORD
	v_mov_b32_e32 v25, 0
	v_mov_b32_e32 v27, 0
	s_mov_b32 s8, exec_lo
	v_cmpx_ne_u16_e32 0, v7
	s_cbranch_execz .LBB257_2169
; %bb.2162:                             ;   in Loop: Header=BB257_1567 Depth=1
	v_bfrev_b32_e32 v26, 1
	v_mov_b32_e32 v27, 0
	s_mov_b32 s9, exec_lo
	v_cmpx_ne_u16_e32 0x80, v7
	s_cbranch_execz .LBB257_2168
; %bb.2163:                             ;   in Loop: Header=BB257_1567 Depth=1
	v_mov_b32_e32 v26, 0x7f800001
	v_bfe_u32 v10, v6, 16, 7
	v_mov_b32_e32 v27, 0
	s_mov_b32 s12, exec_lo
	v_cmpx_ne_u32_e32 0x7f, v10
	s_cbranch_execz .LBB257_2167
; %bb.2164:                             ;   in Loop: Header=BB257_1567 Depth=1
	v_mov_b32_e32 v7, 7
	s_mov_b32 s13, exec_lo
	v_and_b32_sdwa v8, v6, v7 dst_sel:DWORD dst_unused:UNUSED_PAD src0_sel:WORD_1 src1_sel:DWORD
	v_lshrrev_b32_e32 v7, 3, v10
	v_cmpx_gt_u32_e32 8, v10
; %bb.2165:                             ;   in Loop: Header=BB257_1567 Depth=1
	v_ffbh_u32_e32 v7, v8
	v_min_u32_e32 v7, 32, v7
	v_subrev_nc_u32_e32 v10, 28, v7
	v_sub_nc_u32_e32 v7, 29, v7
	v_lshlrev_b64 v[26:27], v10, v[8:9]
	v_and_b32_e32 v8, 7, v26
; %bb.2166:                             ;   in Loop: Header=BB257_1567 Depth=1
	s_or_b32 exec_lo, exec_lo, s13
	v_mov_b32_e32 v10, 24
	v_lshlrev_b32_e32 v8, 20, v8
	v_lshl_add_u32 v7, v7, 23, 0x3c000000
	v_lshlrev_b32_sdwa v10, v10, v6 dst_sel:DWORD dst_unused:UNUSED_PAD src0_sel:DWORD src1_sel:WORD_1
	v_and_b32_e32 v10, 0x80000000, v10
	v_or3_b32 v8, v8, v10, v7
	v_mov_b32_e32 v27, v9
	v_mov_b32_e32 v26, v8
.LBB257_2167:                           ;   in Loop: Header=BB257_1567 Depth=1
	s_or_b32 exec_lo, exec_lo, s12
.LBB257_2168:                           ;   in Loop: Header=BB257_1567 Depth=1
	s_or_b32 exec_lo, exec_lo, s9
.LBB257_2169:                           ;   in Loop: Header=BB257_1567 Depth=1
	s_or_b32 exec_lo, exec_lo, s8
	s_mov_b32 s8, exec_lo
	v_cmpx_lt_u32_e32 0xffffff, v6
	s_cbranch_execz .LBB257_2177
; %bb.2170:                             ;   in Loop: Header=BB257_1567 Depth=1
	v_mov_b32_e32 v10, v9
	v_mov_b32_e32 v25, v11
	v_cmp_ne_u32_sdwa s4, v6, v42 src0_sel:BYTE_3 src1_sel:DWORD
	v_mov_b32_e32 v24, v10
	s_and_saveexec_b32 s9, s4
	s_cbranch_execz .LBB257_2176
; %bb.2171:                             ;   in Loop: Header=BB257_1567 Depth=1
	v_mov_b32_e32 v12, v9
	v_mov_b32_e32 v25, v13
	v_bfe_u32 v10, v6, 24, 7
	s_mov_b32 s12, exec_lo
	v_mov_b32_e32 v24, v12
	v_cmpx_ne_u32_e32 0x7f, v10
	s_cbranch_execz .LBB257_2175
; %bb.2172:                             ;   in Loop: Header=BB257_1567 Depth=1
	v_mov_b32_e32 v7, 7
	s_mov_b32 s13, exec_lo
	v_and_b32_sdwa v8, v6, v7 dst_sel:DWORD dst_unused:UNUSED_PAD src0_sel:BYTE_3 src1_sel:DWORD
	v_lshrrev_b32_e32 v7, 3, v10
	v_cmpx_gt_u32_e32 8, v10
; %bb.2173:                             ;   in Loop: Header=BB257_1567 Depth=1
	v_ffbh_u32_e32 v7, v8
	v_min_u32_e32 v7, 32, v7
	v_subrev_nc_u32_e32 v10, 28, v7
	v_sub_nc_u32_e32 v7, 29, v7
	v_lshlrev_b64 v[24:25], v10, v[8:9]
	v_and_b32_e32 v8, 7, v24
; %bb.2174:                             ;   in Loop: Header=BB257_1567 Depth=1
	s_or_b32 exec_lo, exec_lo, s13
	v_mov_b32_e32 v10, 24
	v_lshlrev_b32_e32 v8, 20, v8
	v_lshl_add_u32 v7, v7, 23, 0x3c000000
	v_mov_b32_e32 v24, v9
	v_lshlrev_b32_sdwa v6, v10, v6 dst_sel:DWORD dst_unused:UNUSED_PAD src0_sel:DWORD src1_sel:BYTE_3
	v_and_b32_e32 v6, 0x80000000, v6
	v_or3_b32 v25, v8, v6, v7
.LBB257_2175:                           ;   in Loop: Header=BB257_1567 Depth=1
	s_or_b32 exec_lo, exec_lo, s12
.LBB257_2176:                           ;   in Loop: Header=BB257_1567 Depth=1
	s_or_b32 exec_lo, exec_lo, s9
.LBB257_2177:                           ;   in Loop: Header=BB257_1567 Depth=1
	s_or_b32 exec_lo, exec_lo, s8
	v_or_b32_e32 v6, v23, v21
	v_or_b32_e32 v7, v22, v20
	;; [unrolled: 1-line block ×4, first 2 shown]
	v_mul_f32_e32 v6, v60, v6
	buffer_store_dword v6, off, s[0:3], s32 offset:760 ; 4-byte Folded Spill
	v_mul_f32_e32 v6, v40, v7
	buffer_store_dword v6, off, s[0:3], s32 offset:752 ; 4-byte Folded Spill
	;; [unrolled: 2-line block ×4, first 2 shown]
	s_and_saveexec_b32 s8, vcc_lo
	s_cbranch_execz .LBB257_2179
; %bb.2178:                             ;   in Loop: Header=BB257_1567 Depth=1
	buffer_load_dword v6, off, s[0:3], s32 offset:752 ; 4-byte Folded Reload
	v_cmp_lt_i32_e64 s4, v89, v78
	s_waitcnt vmcnt(0)
	v_cndmask_b32_e64 v6, 0, v6, s4
	v_cmp_lt_i32_e64 s4, v91, v78
	buffer_store_dword v6, off, s[0:3], s32 offset:752 ; 4-byte Folded Spill
	buffer_load_dword v6, off, s[0:3], s32 offset:760 ; 4-byte Folded Reload
	s_waitcnt vmcnt(0)
	v_cndmask_b32_e64 v6, 0, v6, s4
	v_cmp_lt_i32_e64 s4, v90, v78
	buffer_store_dword v6, off, s[0:3], s32 offset:760 ; 4-byte Folded Spill
	buffer_load_dword v6, off, s[0:3], s32 offset:744 ; 4-byte Folded Reload
	;; [unrolled: 5-line block ×3, first 2 shown]
	s_waitcnt vmcnt(0)
	v_cndmask_b32_e64 v6, 0, v6, s4
	buffer_store_dword v6, off, s[0:3], s32 offset:736 ; 4-byte Folded Spill
.LBB257_2179:                           ;   in Loop: Header=BB257_1567 Depth=1
	s_or_b32 exec_lo, exec_lo, s8
	flat_load_dword v6, v[18:19] offset:256
	v_mov_b32_e32 v22, 0
	v_mov_b32_e32 v20, 0
	;; [unrolled: 1-line block ×4, first 2 shown]
	s_waitcnt vmcnt(0) lgkmcnt(0)
	v_cmp_ne_u16_sdwa s4, v6, v9 src0_sel:BYTE_0 src1_sel:DWORD
	s_and_saveexec_b32 s8, s4
	s_cbranch_execz .LBB257_2187
; %bb.2180:                             ;   in Loop: Header=BB257_1567 Depth=1
	v_bfrev_b32_e32 v20, 1
	v_mov_b32_e32 v21, 0
	v_cmp_ne_u16_sdwa s4, v6, v42 src0_sel:BYTE_0 src1_sel:DWORD
	s_and_saveexec_b32 s9, s4
	s_cbranch_execz .LBB257_2186
; %bb.2181:                             ;   in Loop: Header=BB257_1567 Depth=1
	v_mov_b32_e32 v20, 0x7f800001
	v_and_b32_e32 v10, 0x7f, v6
	v_mov_b32_e32 v21, 0
	s_mov_b32 s12, exec_lo
	v_cmpx_ne_u32_e32 0x7f, v10
	s_cbranch_execz .LBB257_2185
; %bb.2182:                             ;   in Loop: Header=BB257_1567 Depth=1
	v_and_b32_e32 v8, 7, v6
	v_lshrrev_b32_e32 v7, 3, v10
	s_mov_b32 s13, exec_lo
	v_cmpx_gt_u32_e32 8, v10
; %bb.2183:                             ;   in Loop: Header=BB257_1567 Depth=1
	v_ffbh_u32_e32 v7, v8
	v_min_u32_e32 v7, 32, v7
	v_subrev_nc_u32_e32 v10, 28, v7
	v_sub_nc_u32_e32 v7, 29, v7
	v_lshlrev_b64 v[20:21], v10, v[8:9]
	v_and_b32_e32 v8, 7, v20
; %bb.2184:                             ;   in Loop: Header=BB257_1567 Depth=1
	s_or_b32 exec_lo, exec_lo, s13
	v_lshlrev_b32_e32 v10, 24, v6
	v_lshlrev_b32_e32 v8, 20, v8
	v_lshl_add_u32 v7, v7, 23, 0x3c000000
	v_and_b32_e32 v10, 0x80000000, v10
	v_or3_b32 v8, v8, v10, v7
	v_mov_b32_e32 v21, v9
	v_mov_b32_e32 v20, v8
.LBB257_2185:                           ;   in Loop: Header=BB257_1567 Depth=1
	s_or_b32 exec_lo, exec_lo, s12
.LBB257_2186:                           ;   in Loop: Header=BB257_1567 Depth=1
	s_or_b32 exec_lo, exec_lo, s9
.LBB257_2187:                           ;   in Loop: Header=BB257_1567 Depth=1
	s_or_b32 exec_lo, exec_lo, s8
	v_cmp_ne_u16_sdwa s4, v6, v9 src0_sel:BYTE_1 src1_sel:DWORD
	s_and_saveexec_b32 s8, s4
	s_cbranch_execz .LBB257_2195
; %bb.2188:                             ;   in Loop: Header=BB257_1567 Depth=1
	v_mov_b32_e32 v10, v9
	v_mov_b32_e32 v23, v11
	v_cmp_ne_u16_sdwa s4, v6, v42 src0_sel:BYTE_1 src1_sel:DWORD
	v_mov_b32_e32 v22, v10
	s_and_saveexec_b32 s9, s4
	s_cbranch_execz .LBB257_2194
; %bb.2189:                             ;   in Loop: Header=BB257_1567 Depth=1
	v_mov_b32_e32 v7, 0xffff
	v_mov_b32_e32 v12, v9
	;; [unrolled: 1-line block ×3, first 2 shown]
	s_mov_b32 s12, exec_lo
	v_and_b32_sdwa v7, v7, v6 dst_sel:DWORD dst_unused:UNUSED_PAD src0_sel:DWORD src1_sel:BYTE_1
	v_mov_b32_e32 v22, v12
	v_and_b32_e32 v10, 0x7f, v7
	v_cmpx_ne_u32_e32 0x7f, v10
	s_cbranch_execz .LBB257_2193
; %bb.2190:                             ;   in Loop: Header=BB257_1567 Depth=1
	v_and_b32_e32 v8, 7, v7
	v_lshrrev_b32_e32 v7, 3, v10
	s_mov_b32 s13, exec_lo
	v_cmpx_gt_u32_e32 8, v10
; %bb.2191:                             ;   in Loop: Header=BB257_1567 Depth=1
	v_ffbh_u32_e32 v7, v8
	v_min_u32_e32 v7, 32, v7
	v_subrev_nc_u32_e32 v10, 28, v7
	v_sub_nc_u32_e32 v7, 29, v7
	v_lshlrev_b64 v[22:23], v10, v[8:9]
	v_and_b32_e32 v8, 7, v22
; %bb.2192:                             ;   in Loop: Header=BB257_1567 Depth=1
	s_or_b32 exec_lo, exec_lo, s13
	v_lshlrev_b32_e32 v10, 16, v6
	v_lshlrev_b32_e32 v8, 20, v8
	v_lshl_add_u32 v7, v7, 23, 0x3c000000
	v_mov_b32_e32 v22, v9
	v_and_b32_e32 v10, 0x80000000, v10
	v_or3_b32 v23, v8, v10, v7
.LBB257_2193:                           ;   in Loop: Header=BB257_1567 Depth=1
	s_or_b32 exec_lo, exec_lo, s12
.LBB257_2194:                           ;   in Loop: Header=BB257_1567 Depth=1
	s_or_b32 exec_lo, exec_lo, s9
.LBB257_2195:                           ;   in Loop: Header=BB257_1567 Depth=1
	s_or_b32 exec_lo, exec_lo, s8
	v_mov_b32_e32 v24, 0
	v_mov_b32_e32 v26, 0
	v_and_b32_sdwa v7, v6, v44 dst_sel:DWORD dst_unused:UNUSED_PAD src0_sel:WORD_1 src1_sel:DWORD
	v_mov_b32_e32 v25, 0
	v_mov_b32_e32 v27, 0
	s_mov_b32 s8, exec_lo
	v_cmpx_ne_u16_e32 0, v7
	s_cbranch_execz .LBB257_2203
; %bb.2196:                             ;   in Loop: Header=BB257_1567 Depth=1
	v_bfrev_b32_e32 v26, 1
	v_mov_b32_e32 v27, 0
	s_mov_b32 s9, exec_lo
	v_cmpx_ne_u16_e32 0x80, v7
	s_cbranch_execz .LBB257_2202
; %bb.2197:                             ;   in Loop: Header=BB257_1567 Depth=1
	v_mov_b32_e32 v26, 0x7f800001
	v_bfe_u32 v10, v6, 16, 7
	v_mov_b32_e32 v27, 0
	s_mov_b32 s12, exec_lo
	v_cmpx_ne_u32_e32 0x7f, v10
	s_cbranch_execz .LBB257_2201
; %bb.2198:                             ;   in Loop: Header=BB257_1567 Depth=1
	v_mov_b32_e32 v7, 7
	s_mov_b32 s13, exec_lo
	v_and_b32_sdwa v8, v6, v7 dst_sel:DWORD dst_unused:UNUSED_PAD src0_sel:WORD_1 src1_sel:DWORD
	v_lshrrev_b32_e32 v7, 3, v10
	v_cmpx_gt_u32_e32 8, v10
; %bb.2199:                             ;   in Loop: Header=BB257_1567 Depth=1
	v_ffbh_u32_e32 v7, v8
	v_min_u32_e32 v7, 32, v7
	v_subrev_nc_u32_e32 v10, 28, v7
	v_sub_nc_u32_e32 v7, 29, v7
	v_lshlrev_b64 v[26:27], v10, v[8:9]
	v_and_b32_e32 v8, 7, v26
; %bb.2200:                             ;   in Loop: Header=BB257_1567 Depth=1
	s_or_b32 exec_lo, exec_lo, s13
	v_mov_b32_e32 v10, 24
	v_lshlrev_b32_e32 v8, 20, v8
	v_lshl_add_u32 v7, v7, 23, 0x3c000000
	v_lshlrev_b32_sdwa v10, v10, v6 dst_sel:DWORD dst_unused:UNUSED_PAD src0_sel:DWORD src1_sel:WORD_1
	v_and_b32_e32 v10, 0x80000000, v10
	v_or3_b32 v8, v8, v10, v7
	v_mov_b32_e32 v27, v9
	v_mov_b32_e32 v26, v8
.LBB257_2201:                           ;   in Loop: Header=BB257_1567 Depth=1
	s_or_b32 exec_lo, exec_lo, s12
.LBB257_2202:                           ;   in Loop: Header=BB257_1567 Depth=1
	s_or_b32 exec_lo, exec_lo, s9
.LBB257_2203:                           ;   in Loop: Header=BB257_1567 Depth=1
	s_or_b32 exec_lo, exec_lo, s8
	s_mov_b32 s8, exec_lo
	v_cmpx_lt_u32_e32 0xffffff, v6
	s_cbranch_execz .LBB257_2211
; %bb.2204:                             ;   in Loop: Header=BB257_1567 Depth=1
	v_mov_b32_e32 v10, v9
	v_mov_b32_e32 v25, v11
	v_cmp_ne_u32_sdwa s4, v6, v42 src0_sel:BYTE_3 src1_sel:DWORD
	v_mov_b32_e32 v24, v10
	s_and_saveexec_b32 s9, s4
	s_cbranch_execz .LBB257_2210
; %bb.2205:                             ;   in Loop: Header=BB257_1567 Depth=1
	v_mov_b32_e32 v12, v9
	v_mov_b32_e32 v25, v13
	v_bfe_u32 v10, v6, 24, 7
	s_mov_b32 s12, exec_lo
	v_mov_b32_e32 v24, v12
	v_cmpx_ne_u32_e32 0x7f, v10
	s_cbranch_execz .LBB257_2209
; %bb.2206:                             ;   in Loop: Header=BB257_1567 Depth=1
	v_mov_b32_e32 v7, 7
	s_mov_b32 s13, exec_lo
	v_and_b32_sdwa v8, v6, v7 dst_sel:DWORD dst_unused:UNUSED_PAD src0_sel:BYTE_3 src1_sel:DWORD
	v_lshrrev_b32_e32 v7, 3, v10
	v_cmpx_gt_u32_e32 8, v10
; %bb.2207:                             ;   in Loop: Header=BB257_1567 Depth=1
	v_ffbh_u32_e32 v7, v8
	v_min_u32_e32 v7, 32, v7
	v_subrev_nc_u32_e32 v10, 28, v7
	v_sub_nc_u32_e32 v7, 29, v7
	v_lshlrev_b64 v[24:25], v10, v[8:9]
	v_and_b32_e32 v8, 7, v24
; %bb.2208:                             ;   in Loop: Header=BB257_1567 Depth=1
	s_or_b32 exec_lo, exec_lo, s13
	v_mov_b32_e32 v10, 24
	v_lshlrev_b32_e32 v8, 20, v8
	v_lshl_add_u32 v7, v7, 23, 0x3c000000
	v_mov_b32_e32 v24, v9
	v_lshlrev_b32_sdwa v6, v10, v6 dst_sel:DWORD dst_unused:UNUSED_PAD src0_sel:DWORD src1_sel:BYTE_3
	v_and_b32_e32 v6, 0x80000000, v6
	v_or3_b32 v25, v8, v6, v7
.LBB257_2209:                           ;   in Loop: Header=BB257_1567 Depth=1
	s_or_b32 exec_lo, exec_lo, s12
.LBB257_2210:                           ;   in Loop: Header=BB257_1567 Depth=1
	s_or_b32 exec_lo, exec_lo, s9
.LBB257_2211:                           ;   in Loop: Header=BB257_1567 Depth=1
	s_or_b32 exec_lo, exec_lo, s8
	v_or_b32_e32 v6, v23, v21
	v_or_b32_e32 v7, v22, v20
	;; [unrolled: 1-line block ×4, first 2 shown]
	v_mul_f32_e32 v6, v60, v6
	buffer_store_dword v6, off, s[0:3], s32 offset:792 ; 4-byte Folded Spill
	v_mul_f32_e32 v6, v40, v7
	buffer_store_dword v6, off, s[0:3], s32 offset:784 ; 4-byte Folded Spill
	;; [unrolled: 2-line block ×4, first 2 shown]
	s_and_saveexec_b32 s8, vcc_lo
	s_cbranch_execz .LBB257_2213
; %bb.2212:                             ;   in Loop: Header=BB257_1567 Depth=1
	buffer_load_dword v6, off, s[0:3], s32 offset:784 ; 4-byte Folded Reload
	v_cmp_lt_i32_e64 s4, v89, v78
	s_waitcnt vmcnt(0)
	v_cndmask_b32_e64 v6, 0, v6, s4
	v_cmp_lt_i32_e64 s4, v91, v78
	buffer_store_dword v6, off, s[0:3], s32 offset:784 ; 4-byte Folded Spill
	buffer_load_dword v6, off, s[0:3], s32 offset:792 ; 4-byte Folded Reload
	s_waitcnt vmcnt(0)
	v_cndmask_b32_e64 v6, 0, v6, s4
	v_cmp_lt_i32_e64 s4, v90, v78
	buffer_store_dword v6, off, s[0:3], s32 offset:792 ; 4-byte Folded Spill
	buffer_load_dword v6, off, s[0:3], s32 offset:776 ; 4-byte Folded Reload
	;; [unrolled: 5-line block ×3, first 2 shown]
	s_waitcnt vmcnt(0)
	v_cndmask_b32_e64 v6, 0, v6, s4
	buffer_store_dword v6, off, s[0:3], s32 offset:768 ; 4-byte Folded Spill
.LBB257_2213:                           ;   in Loop: Header=BB257_1567 Depth=1
	s_or_b32 exec_lo, exec_lo, s8
	flat_load_dword v6, v[18:19] offset:384
	v_mov_b32_e32 v22, 0
	v_mov_b32_e32 v20, 0
	;; [unrolled: 1-line block ×4, first 2 shown]
	s_waitcnt vmcnt(0) lgkmcnt(0)
	v_cmp_ne_u16_sdwa s4, v6, v9 src0_sel:BYTE_0 src1_sel:DWORD
	s_and_saveexec_b32 s8, s4
	s_cbranch_execz .LBB257_2221
; %bb.2214:                             ;   in Loop: Header=BB257_1567 Depth=1
	v_bfrev_b32_e32 v20, 1
	v_mov_b32_e32 v21, 0
	v_cmp_ne_u16_sdwa s4, v6, v42 src0_sel:BYTE_0 src1_sel:DWORD
	s_and_saveexec_b32 s9, s4
	s_cbranch_execz .LBB257_2220
; %bb.2215:                             ;   in Loop: Header=BB257_1567 Depth=1
	v_mov_b32_e32 v20, 0x7f800001
	v_and_b32_e32 v10, 0x7f, v6
	v_mov_b32_e32 v21, 0
	s_mov_b32 s12, exec_lo
	v_cmpx_ne_u32_e32 0x7f, v10
	s_cbranch_execz .LBB257_2219
; %bb.2216:                             ;   in Loop: Header=BB257_1567 Depth=1
	v_and_b32_e32 v8, 7, v6
	v_lshrrev_b32_e32 v7, 3, v10
	s_mov_b32 s13, exec_lo
	v_cmpx_gt_u32_e32 8, v10
; %bb.2217:                             ;   in Loop: Header=BB257_1567 Depth=1
	v_ffbh_u32_e32 v7, v8
	v_min_u32_e32 v7, 32, v7
	v_subrev_nc_u32_e32 v10, 28, v7
	v_sub_nc_u32_e32 v7, 29, v7
	v_lshlrev_b64 v[20:21], v10, v[8:9]
	v_and_b32_e32 v8, 7, v20
; %bb.2218:                             ;   in Loop: Header=BB257_1567 Depth=1
	s_or_b32 exec_lo, exec_lo, s13
	v_lshlrev_b32_e32 v10, 24, v6
	v_lshlrev_b32_e32 v8, 20, v8
	v_lshl_add_u32 v7, v7, 23, 0x3c000000
	v_and_b32_e32 v10, 0x80000000, v10
	v_or3_b32 v8, v8, v10, v7
	v_mov_b32_e32 v21, v9
	v_mov_b32_e32 v20, v8
.LBB257_2219:                           ;   in Loop: Header=BB257_1567 Depth=1
	s_or_b32 exec_lo, exec_lo, s12
.LBB257_2220:                           ;   in Loop: Header=BB257_1567 Depth=1
	s_or_b32 exec_lo, exec_lo, s9
.LBB257_2221:                           ;   in Loop: Header=BB257_1567 Depth=1
	s_or_b32 exec_lo, exec_lo, s8
	v_cmp_ne_u16_sdwa s4, v6, v9 src0_sel:BYTE_1 src1_sel:DWORD
	s_and_saveexec_b32 s8, s4
	s_cbranch_execz .LBB257_2229
; %bb.2222:                             ;   in Loop: Header=BB257_1567 Depth=1
	v_mov_b32_e32 v10, v9
	v_mov_b32_e32 v23, v11
	v_cmp_ne_u16_sdwa s4, v6, v42 src0_sel:BYTE_1 src1_sel:DWORD
	v_mov_b32_e32 v22, v10
	s_and_saveexec_b32 s9, s4
	s_cbranch_execz .LBB257_2228
; %bb.2223:                             ;   in Loop: Header=BB257_1567 Depth=1
	v_mov_b32_e32 v7, 0xffff
	v_mov_b32_e32 v12, v9
	;; [unrolled: 1-line block ×3, first 2 shown]
	s_mov_b32 s12, exec_lo
	v_and_b32_sdwa v7, v7, v6 dst_sel:DWORD dst_unused:UNUSED_PAD src0_sel:DWORD src1_sel:BYTE_1
	v_mov_b32_e32 v22, v12
	v_and_b32_e32 v10, 0x7f, v7
	v_cmpx_ne_u32_e32 0x7f, v10
	s_cbranch_execz .LBB257_2227
; %bb.2224:                             ;   in Loop: Header=BB257_1567 Depth=1
	v_and_b32_e32 v8, 7, v7
	v_lshrrev_b32_e32 v7, 3, v10
	s_mov_b32 s13, exec_lo
	v_cmpx_gt_u32_e32 8, v10
; %bb.2225:                             ;   in Loop: Header=BB257_1567 Depth=1
	v_ffbh_u32_e32 v7, v8
	v_min_u32_e32 v7, 32, v7
	v_subrev_nc_u32_e32 v10, 28, v7
	v_sub_nc_u32_e32 v7, 29, v7
	v_lshlrev_b64 v[22:23], v10, v[8:9]
	v_and_b32_e32 v8, 7, v22
; %bb.2226:                             ;   in Loop: Header=BB257_1567 Depth=1
	s_or_b32 exec_lo, exec_lo, s13
	v_lshlrev_b32_e32 v10, 16, v6
	v_lshlrev_b32_e32 v8, 20, v8
	v_lshl_add_u32 v7, v7, 23, 0x3c000000
	v_mov_b32_e32 v22, v9
	v_and_b32_e32 v10, 0x80000000, v10
	v_or3_b32 v23, v8, v10, v7
.LBB257_2227:                           ;   in Loop: Header=BB257_1567 Depth=1
	s_or_b32 exec_lo, exec_lo, s12
.LBB257_2228:                           ;   in Loop: Header=BB257_1567 Depth=1
	s_or_b32 exec_lo, exec_lo, s9
.LBB257_2229:                           ;   in Loop: Header=BB257_1567 Depth=1
	s_or_b32 exec_lo, exec_lo, s8
	v_mov_b32_e32 v24, 0
	v_mov_b32_e32 v26, 0
	v_and_b32_sdwa v7, v6, v44 dst_sel:DWORD dst_unused:UNUSED_PAD src0_sel:WORD_1 src1_sel:DWORD
	v_mov_b32_e32 v25, 0
	v_mov_b32_e32 v27, 0
	s_mov_b32 s8, exec_lo
	v_cmpx_ne_u16_e32 0, v7
	s_cbranch_execz .LBB257_2237
; %bb.2230:                             ;   in Loop: Header=BB257_1567 Depth=1
	v_bfrev_b32_e32 v26, 1
	v_mov_b32_e32 v27, 0
	s_mov_b32 s9, exec_lo
	v_cmpx_ne_u16_e32 0x80, v7
	s_cbranch_execz .LBB257_2236
; %bb.2231:                             ;   in Loop: Header=BB257_1567 Depth=1
	v_mov_b32_e32 v26, 0x7f800001
	v_bfe_u32 v10, v6, 16, 7
	v_mov_b32_e32 v27, 0
	s_mov_b32 s12, exec_lo
	v_cmpx_ne_u32_e32 0x7f, v10
	s_cbranch_execz .LBB257_2235
; %bb.2232:                             ;   in Loop: Header=BB257_1567 Depth=1
	v_mov_b32_e32 v7, 7
	s_mov_b32 s13, exec_lo
	v_and_b32_sdwa v8, v6, v7 dst_sel:DWORD dst_unused:UNUSED_PAD src0_sel:WORD_1 src1_sel:DWORD
	v_lshrrev_b32_e32 v7, 3, v10
	v_cmpx_gt_u32_e32 8, v10
; %bb.2233:                             ;   in Loop: Header=BB257_1567 Depth=1
	v_ffbh_u32_e32 v7, v8
	v_min_u32_e32 v7, 32, v7
	v_subrev_nc_u32_e32 v10, 28, v7
	v_sub_nc_u32_e32 v7, 29, v7
	v_lshlrev_b64 v[26:27], v10, v[8:9]
	v_and_b32_e32 v8, 7, v26
; %bb.2234:                             ;   in Loop: Header=BB257_1567 Depth=1
	s_or_b32 exec_lo, exec_lo, s13
	v_mov_b32_e32 v10, 24
	v_lshlrev_b32_e32 v8, 20, v8
	v_lshl_add_u32 v7, v7, 23, 0x3c000000
	v_lshlrev_b32_sdwa v10, v10, v6 dst_sel:DWORD dst_unused:UNUSED_PAD src0_sel:DWORD src1_sel:WORD_1
	v_and_b32_e32 v10, 0x80000000, v10
	v_or3_b32 v8, v8, v10, v7
	v_mov_b32_e32 v27, v9
	v_mov_b32_e32 v26, v8
.LBB257_2235:                           ;   in Loop: Header=BB257_1567 Depth=1
	s_or_b32 exec_lo, exec_lo, s12
.LBB257_2236:                           ;   in Loop: Header=BB257_1567 Depth=1
	s_or_b32 exec_lo, exec_lo, s9
.LBB257_2237:                           ;   in Loop: Header=BB257_1567 Depth=1
	s_or_b32 exec_lo, exec_lo, s8
	s_mov_b32 s8, exec_lo
	v_cmpx_lt_u32_e32 0xffffff, v6
	s_cbranch_execz .LBB257_2245
; %bb.2238:                             ;   in Loop: Header=BB257_1567 Depth=1
	v_mov_b32_e32 v10, v9
	v_mov_b32_e32 v25, v11
	v_cmp_ne_u32_sdwa s4, v6, v42 src0_sel:BYTE_3 src1_sel:DWORD
	v_mov_b32_e32 v24, v10
	s_and_saveexec_b32 s9, s4
	s_cbranch_execz .LBB257_2244
; %bb.2239:                             ;   in Loop: Header=BB257_1567 Depth=1
	v_mov_b32_e32 v12, v9
	v_mov_b32_e32 v25, v13
	v_bfe_u32 v10, v6, 24, 7
	s_mov_b32 s12, exec_lo
	v_mov_b32_e32 v24, v12
	v_cmpx_ne_u32_e32 0x7f, v10
	s_cbranch_execz .LBB257_2243
; %bb.2240:                             ;   in Loop: Header=BB257_1567 Depth=1
	v_mov_b32_e32 v7, 7
	s_mov_b32 s13, exec_lo
	v_and_b32_sdwa v8, v6, v7 dst_sel:DWORD dst_unused:UNUSED_PAD src0_sel:BYTE_3 src1_sel:DWORD
	v_lshrrev_b32_e32 v7, 3, v10
	v_cmpx_gt_u32_e32 8, v10
; %bb.2241:                             ;   in Loop: Header=BB257_1567 Depth=1
	v_ffbh_u32_e32 v7, v8
	v_min_u32_e32 v7, 32, v7
	v_subrev_nc_u32_e32 v10, 28, v7
	v_sub_nc_u32_e32 v7, 29, v7
	v_lshlrev_b64 v[24:25], v10, v[8:9]
	v_and_b32_e32 v8, 7, v24
; %bb.2242:                             ;   in Loop: Header=BB257_1567 Depth=1
	s_or_b32 exec_lo, exec_lo, s13
	v_mov_b32_e32 v10, 24
	v_lshlrev_b32_e32 v8, 20, v8
	v_lshl_add_u32 v7, v7, 23, 0x3c000000
	v_mov_b32_e32 v24, v9
	v_lshlrev_b32_sdwa v6, v10, v6 dst_sel:DWORD dst_unused:UNUSED_PAD src0_sel:DWORD src1_sel:BYTE_3
	v_and_b32_e32 v6, 0x80000000, v6
	v_or3_b32 v25, v8, v6, v7
.LBB257_2243:                           ;   in Loop: Header=BB257_1567 Depth=1
	s_or_b32 exec_lo, exec_lo, s12
.LBB257_2244:                           ;   in Loop: Header=BB257_1567 Depth=1
	s_or_b32 exec_lo, exec_lo, s9
.LBB257_2245:                           ;   in Loop: Header=BB257_1567 Depth=1
	s_or_b32 exec_lo, exec_lo, s8
	v_or_b32_e32 v6, v23, v21
	v_or_b32_e32 v7, v22, v20
	v_or_b32_e32 v8, v24, v26
	v_or_b32_e32 v10, v25, v27
	v_mul_f32_e32 v6, v60, v6
	buffer_store_dword v6, off, s[0:3], s32 offset:824 ; 4-byte Folded Spill
	v_mul_f32_e32 v6, v40, v7
	buffer_store_dword v6, off, s[0:3], s32 offset:816 ; 4-byte Folded Spill
	;; [unrolled: 2-line block ×4, first 2 shown]
	s_and_saveexec_b32 s8, vcc_lo
	s_cbranch_execz .LBB257_2247
; %bb.2246:                             ;   in Loop: Header=BB257_1567 Depth=1
	buffer_load_dword v6, off, s[0:3], s32 offset:816 ; 4-byte Folded Reload
	v_cmp_lt_i32_e64 s4, v89, v78
	s_waitcnt vmcnt(0)
	v_cndmask_b32_e64 v6, 0, v6, s4
	v_cmp_lt_i32_e64 s4, v91, v78
	buffer_store_dword v6, off, s[0:3], s32 offset:816 ; 4-byte Folded Spill
	buffer_load_dword v6, off, s[0:3], s32 offset:824 ; 4-byte Folded Reload
	s_waitcnt vmcnt(0)
	v_cndmask_b32_e64 v6, 0, v6, s4
	v_cmp_lt_i32_e64 s4, v90, v78
	buffer_store_dword v6, off, s[0:3], s32 offset:824 ; 4-byte Folded Spill
	buffer_load_dword v6, off, s[0:3], s32 offset:808 ; 4-byte Folded Reload
	;; [unrolled: 5-line block ×3, first 2 shown]
	s_waitcnt vmcnt(0)
	v_cndmask_b32_e64 v6, 0, v6, s4
	buffer_store_dword v6, off, s[0:3], s32 offset:800 ; 4-byte Folded Spill
.LBB257_2247:                           ;   in Loop: Header=BB257_1567 Depth=1
	s_or_b32 exec_lo, exec_lo, s8
	flat_load_dword v6, v[18:19] offset:512
	v_mov_b32_e32 v22, 0
	v_mov_b32_e32 v20, 0
	;; [unrolled: 1-line block ×4, first 2 shown]
	s_waitcnt vmcnt(0) lgkmcnt(0)
	v_cmp_ne_u16_sdwa s4, v6, v9 src0_sel:BYTE_0 src1_sel:DWORD
	s_and_saveexec_b32 s8, s4
	s_cbranch_execz .LBB257_2255
; %bb.2248:                             ;   in Loop: Header=BB257_1567 Depth=1
	v_bfrev_b32_e32 v20, 1
	v_mov_b32_e32 v21, 0
	v_cmp_ne_u16_sdwa s4, v6, v42 src0_sel:BYTE_0 src1_sel:DWORD
	s_and_saveexec_b32 s9, s4
	s_cbranch_execz .LBB257_2254
; %bb.2249:                             ;   in Loop: Header=BB257_1567 Depth=1
	v_mov_b32_e32 v20, 0x7f800001
	v_and_b32_e32 v10, 0x7f, v6
	v_mov_b32_e32 v21, 0
	s_mov_b32 s12, exec_lo
	v_cmpx_ne_u32_e32 0x7f, v10
	s_cbranch_execz .LBB257_2253
; %bb.2250:                             ;   in Loop: Header=BB257_1567 Depth=1
	v_and_b32_e32 v8, 7, v6
	v_lshrrev_b32_e32 v7, 3, v10
	s_mov_b32 s13, exec_lo
	v_cmpx_gt_u32_e32 8, v10
; %bb.2251:                             ;   in Loop: Header=BB257_1567 Depth=1
	v_ffbh_u32_e32 v7, v8
	v_min_u32_e32 v7, 32, v7
	v_subrev_nc_u32_e32 v10, 28, v7
	v_sub_nc_u32_e32 v7, 29, v7
	v_lshlrev_b64 v[20:21], v10, v[8:9]
	v_and_b32_e32 v8, 7, v20
; %bb.2252:                             ;   in Loop: Header=BB257_1567 Depth=1
	s_or_b32 exec_lo, exec_lo, s13
	v_lshlrev_b32_e32 v10, 24, v6
	v_lshlrev_b32_e32 v8, 20, v8
	v_lshl_add_u32 v7, v7, 23, 0x3c000000
	v_and_b32_e32 v10, 0x80000000, v10
	v_or3_b32 v8, v8, v10, v7
	v_mov_b32_e32 v21, v9
	v_mov_b32_e32 v20, v8
.LBB257_2253:                           ;   in Loop: Header=BB257_1567 Depth=1
	s_or_b32 exec_lo, exec_lo, s12
.LBB257_2254:                           ;   in Loop: Header=BB257_1567 Depth=1
	s_or_b32 exec_lo, exec_lo, s9
.LBB257_2255:                           ;   in Loop: Header=BB257_1567 Depth=1
	s_or_b32 exec_lo, exec_lo, s8
	v_cmp_ne_u16_sdwa s4, v6, v9 src0_sel:BYTE_1 src1_sel:DWORD
	s_and_saveexec_b32 s8, s4
	s_cbranch_execz .LBB257_2263
; %bb.2256:                             ;   in Loop: Header=BB257_1567 Depth=1
	v_mov_b32_e32 v10, v9
	v_mov_b32_e32 v23, v11
	v_cmp_ne_u16_sdwa s4, v6, v42 src0_sel:BYTE_1 src1_sel:DWORD
	v_mov_b32_e32 v22, v10
	s_and_saveexec_b32 s9, s4
	s_cbranch_execz .LBB257_2262
; %bb.2257:                             ;   in Loop: Header=BB257_1567 Depth=1
	v_mov_b32_e32 v7, 0xffff
	v_mov_b32_e32 v12, v9
	;; [unrolled: 1-line block ×3, first 2 shown]
	s_mov_b32 s12, exec_lo
	v_and_b32_sdwa v7, v7, v6 dst_sel:DWORD dst_unused:UNUSED_PAD src0_sel:DWORD src1_sel:BYTE_1
	v_mov_b32_e32 v22, v12
	v_and_b32_e32 v10, 0x7f, v7
	v_cmpx_ne_u32_e32 0x7f, v10
	s_cbranch_execz .LBB257_2261
; %bb.2258:                             ;   in Loop: Header=BB257_1567 Depth=1
	v_and_b32_e32 v8, 7, v7
	v_lshrrev_b32_e32 v7, 3, v10
	s_mov_b32 s13, exec_lo
	v_cmpx_gt_u32_e32 8, v10
; %bb.2259:                             ;   in Loop: Header=BB257_1567 Depth=1
	v_ffbh_u32_e32 v7, v8
	v_min_u32_e32 v7, 32, v7
	v_subrev_nc_u32_e32 v10, 28, v7
	v_sub_nc_u32_e32 v7, 29, v7
	v_lshlrev_b64 v[22:23], v10, v[8:9]
	v_and_b32_e32 v8, 7, v22
; %bb.2260:                             ;   in Loop: Header=BB257_1567 Depth=1
	s_or_b32 exec_lo, exec_lo, s13
	v_lshlrev_b32_e32 v10, 16, v6
	v_lshlrev_b32_e32 v8, 20, v8
	v_lshl_add_u32 v7, v7, 23, 0x3c000000
	v_mov_b32_e32 v22, v9
	v_and_b32_e32 v10, 0x80000000, v10
	v_or3_b32 v23, v8, v10, v7
.LBB257_2261:                           ;   in Loop: Header=BB257_1567 Depth=1
	s_or_b32 exec_lo, exec_lo, s12
.LBB257_2262:                           ;   in Loop: Header=BB257_1567 Depth=1
	s_or_b32 exec_lo, exec_lo, s9
.LBB257_2263:                           ;   in Loop: Header=BB257_1567 Depth=1
	s_or_b32 exec_lo, exec_lo, s8
	v_mov_b32_e32 v24, 0
	v_mov_b32_e32 v26, 0
	v_and_b32_sdwa v7, v6, v44 dst_sel:DWORD dst_unused:UNUSED_PAD src0_sel:WORD_1 src1_sel:DWORD
	v_mov_b32_e32 v25, 0
	v_mov_b32_e32 v27, 0
	s_mov_b32 s8, exec_lo
	v_cmpx_ne_u16_e32 0, v7
	s_cbranch_execz .LBB257_2271
; %bb.2264:                             ;   in Loop: Header=BB257_1567 Depth=1
	v_bfrev_b32_e32 v26, 1
	v_mov_b32_e32 v27, 0
	s_mov_b32 s9, exec_lo
	v_cmpx_ne_u16_e32 0x80, v7
	s_cbranch_execz .LBB257_2270
; %bb.2265:                             ;   in Loop: Header=BB257_1567 Depth=1
	v_mov_b32_e32 v26, 0x7f800001
	v_bfe_u32 v10, v6, 16, 7
	v_mov_b32_e32 v27, 0
	s_mov_b32 s12, exec_lo
	v_cmpx_ne_u32_e32 0x7f, v10
	s_cbranch_execz .LBB257_2269
; %bb.2266:                             ;   in Loop: Header=BB257_1567 Depth=1
	v_mov_b32_e32 v7, 7
	s_mov_b32 s13, exec_lo
	v_and_b32_sdwa v8, v6, v7 dst_sel:DWORD dst_unused:UNUSED_PAD src0_sel:WORD_1 src1_sel:DWORD
	v_lshrrev_b32_e32 v7, 3, v10
	v_cmpx_gt_u32_e32 8, v10
; %bb.2267:                             ;   in Loop: Header=BB257_1567 Depth=1
	v_ffbh_u32_e32 v7, v8
	v_min_u32_e32 v7, 32, v7
	v_subrev_nc_u32_e32 v10, 28, v7
	v_sub_nc_u32_e32 v7, 29, v7
	v_lshlrev_b64 v[26:27], v10, v[8:9]
	v_and_b32_e32 v8, 7, v26
; %bb.2268:                             ;   in Loop: Header=BB257_1567 Depth=1
	s_or_b32 exec_lo, exec_lo, s13
	v_mov_b32_e32 v10, 24
	v_lshlrev_b32_e32 v8, 20, v8
	v_lshl_add_u32 v7, v7, 23, 0x3c000000
	v_lshlrev_b32_sdwa v10, v10, v6 dst_sel:DWORD dst_unused:UNUSED_PAD src0_sel:DWORD src1_sel:WORD_1
	v_and_b32_e32 v10, 0x80000000, v10
	v_or3_b32 v8, v8, v10, v7
	v_mov_b32_e32 v27, v9
	v_mov_b32_e32 v26, v8
.LBB257_2269:                           ;   in Loop: Header=BB257_1567 Depth=1
	s_or_b32 exec_lo, exec_lo, s12
.LBB257_2270:                           ;   in Loop: Header=BB257_1567 Depth=1
	s_or_b32 exec_lo, exec_lo, s9
.LBB257_2271:                           ;   in Loop: Header=BB257_1567 Depth=1
	s_or_b32 exec_lo, exec_lo, s8
	s_mov_b32 s8, exec_lo
	v_cmpx_lt_u32_e32 0xffffff, v6
	s_cbranch_execz .LBB257_2279
; %bb.2272:                             ;   in Loop: Header=BB257_1567 Depth=1
	v_mov_b32_e32 v10, v9
	v_mov_b32_e32 v25, v11
	v_cmp_ne_u32_sdwa s4, v6, v42 src0_sel:BYTE_3 src1_sel:DWORD
	v_mov_b32_e32 v24, v10
	s_and_saveexec_b32 s9, s4
	s_cbranch_execz .LBB257_2278
; %bb.2273:                             ;   in Loop: Header=BB257_1567 Depth=1
	v_mov_b32_e32 v12, v9
	v_mov_b32_e32 v25, v13
	v_bfe_u32 v10, v6, 24, 7
	s_mov_b32 s12, exec_lo
	v_mov_b32_e32 v24, v12
	v_cmpx_ne_u32_e32 0x7f, v10
	s_cbranch_execz .LBB257_2277
; %bb.2274:                             ;   in Loop: Header=BB257_1567 Depth=1
	v_mov_b32_e32 v7, 7
	s_mov_b32 s13, exec_lo
	v_and_b32_sdwa v8, v6, v7 dst_sel:DWORD dst_unused:UNUSED_PAD src0_sel:BYTE_3 src1_sel:DWORD
	v_lshrrev_b32_e32 v7, 3, v10
	v_cmpx_gt_u32_e32 8, v10
; %bb.2275:                             ;   in Loop: Header=BB257_1567 Depth=1
	v_ffbh_u32_e32 v7, v8
	v_min_u32_e32 v7, 32, v7
	v_subrev_nc_u32_e32 v10, 28, v7
	v_sub_nc_u32_e32 v7, 29, v7
	v_lshlrev_b64 v[24:25], v10, v[8:9]
	v_and_b32_e32 v8, 7, v24
; %bb.2276:                             ;   in Loop: Header=BB257_1567 Depth=1
	s_or_b32 exec_lo, exec_lo, s13
	v_mov_b32_e32 v10, 24
	v_lshlrev_b32_e32 v8, 20, v8
	v_lshl_add_u32 v7, v7, 23, 0x3c000000
	v_mov_b32_e32 v24, v9
	v_lshlrev_b32_sdwa v6, v10, v6 dst_sel:DWORD dst_unused:UNUSED_PAD src0_sel:DWORD src1_sel:BYTE_3
	v_and_b32_e32 v6, 0x80000000, v6
	v_or3_b32 v25, v8, v6, v7
.LBB257_2277:                           ;   in Loop: Header=BB257_1567 Depth=1
	s_or_b32 exec_lo, exec_lo, s12
.LBB257_2278:                           ;   in Loop: Header=BB257_1567 Depth=1
	s_or_b32 exec_lo, exec_lo, s9
.LBB257_2279:                           ;   in Loop: Header=BB257_1567 Depth=1
	s_or_b32 exec_lo, exec_lo, s8
	v_or_b32_e32 v6, v23, v21
	v_or_b32_e32 v7, v22, v20
	;; [unrolled: 1-line block ×4, first 2 shown]
	v_mul_f32_e32 v6, v60, v6
	buffer_store_dword v6, off, s[0:3], s32 offset:856 ; 4-byte Folded Spill
	v_mul_f32_e32 v6, v40, v7
	buffer_store_dword v6, off, s[0:3], s32 offset:848 ; 4-byte Folded Spill
	;; [unrolled: 2-line block ×4, first 2 shown]
	s_and_saveexec_b32 s8, vcc_lo
	s_cbranch_execz .LBB257_2281
; %bb.2280:                             ;   in Loop: Header=BB257_1567 Depth=1
	buffer_load_dword v6, off, s[0:3], s32 offset:848 ; 4-byte Folded Reload
	v_cmp_lt_i32_e64 s4, v89, v78
	s_waitcnt vmcnt(0)
	v_cndmask_b32_e64 v6, 0, v6, s4
	v_cmp_lt_i32_e64 s4, v91, v78
	buffer_store_dword v6, off, s[0:3], s32 offset:848 ; 4-byte Folded Spill
	buffer_load_dword v6, off, s[0:3], s32 offset:856 ; 4-byte Folded Reload
	s_waitcnt vmcnt(0)
	v_cndmask_b32_e64 v6, 0, v6, s4
	v_cmp_lt_i32_e64 s4, v90, v78
	buffer_store_dword v6, off, s[0:3], s32 offset:856 ; 4-byte Folded Spill
	buffer_load_dword v6, off, s[0:3], s32 offset:840 ; 4-byte Folded Reload
	;; [unrolled: 5-line block ×3, first 2 shown]
	s_waitcnt vmcnt(0)
	v_cndmask_b32_e64 v6, 0, v6, s4
	buffer_store_dword v6, off, s[0:3], s32 offset:832 ; 4-byte Folded Spill
.LBB257_2281:                           ;   in Loop: Header=BB257_1567 Depth=1
	s_or_b32 exec_lo, exec_lo, s8
	flat_load_dword v6, v[18:19] offset:640
	v_mov_b32_e32 v22, 0
	v_mov_b32_e32 v20, 0
	;; [unrolled: 1-line block ×4, first 2 shown]
	s_waitcnt vmcnt(0) lgkmcnt(0)
	v_cmp_ne_u16_sdwa s4, v6, v9 src0_sel:BYTE_0 src1_sel:DWORD
	s_and_saveexec_b32 s8, s4
	s_cbranch_execz .LBB257_2289
; %bb.2282:                             ;   in Loop: Header=BB257_1567 Depth=1
	v_bfrev_b32_e32 v20, 1
	v_mov_b32_e32 v21, 0
	v_cmp_ne_u16_sdwa s4, v6, v42 src0_sel:BYTE_0 src1_sel:DWORD
	s_and_saveexec_b32 s9, s4
	s_cbranch_execz .LBB257_2288
; %bb.2283:                             ;   in Loop: Header=BB257_1567 Depth=1
	v_mov_b32_e32 v20, 0x7f800001
	v_and_b32_e32 v10, 0x7f, v6
	v_mov_b32_e32 v21, 0
	s_mov_b32 s12, exec_lo
	v_cmpx_ne_u32_e32 0x7f, v10
	s_cbranch_execz .LBB257_2287
; %bb.2284:                             ;   in Loop: Header=BB257_1567 Depth=1
	v_and_b32_e32 v8, 7, v6
	v_lshrrev_b32_e32 v7, 3, v10
	s_mov_b32 s13, exec_lo
	v_cmpx_gt_u32_e32 8, v10
; %bb.2285:                             ;   in Loop: Header=BB257_1567 Depth=1
	v_ffbh_u32_e32 v7, v8
	v_min_u32_e32 v7, 32, v7
	v_subrev_nc_u32_e32 v10, 28, v7
	v_sub_nc_u32_e32 v7, 29, v7
	v_lshlrev_b64 v[20:21], v10, v[8:9]
	v_and_b32_e32 v8, 7, v20
; %bb.2286:                             ;   in Loop: Header=BB257_1567 Depth=1
	s_or_b32 exec_lo, exec_lo, s13
	v_lshlrev_b32_e32 v10, 24, v6
	v_lshlrev_b32_e32 v8, 20, v8
	v_lshl_add_u32 v7, v7, 23, 0x3c000000
	v_and_b32_e32 v10, 0x80000000, v10
	v_or3_b32 v8, v8, v10, v7
	v_mov_b32_e32 v21, v9
	v_mov_b32_e32 v20, v8
.LBB257_2287:                           ;   in Loop: Header=BB257_1567 Depth=1
	s_or_b32 exec_lo, exec_lo, s12
.LBB257_2288:                           ;   in Loop: Header=BB257_1567 Depth=1
	s_or_b32 exec_lo, exec_lo, s9
.LBB257_2289:                           ;   in Loop: Header=BB257_1567 Depth=1
	s_or_b32 exec_lo, exec_lo, s8
	v_cmp_ne_u16_sdwa s4, v6, v9 src0_sel:BYTE_1 src1_sel:DWORD
	s_and_saveexec_b32 s8, s4
	s_cbranch_execz .LBB257_2297
; %bb.2290:                             ;   in Loop: Header=BB257_1567 Depth=1
	v_mov_b32_e32 v10, v9
	v_mov_b32_e32 v23, v11
	v_cmp_ne_u16_sdwa s4, v6, v42 src0_sel:BYTE_1 src1_sel:DWORD
	v_mov_b32_e32 v22, v10
	s_and_saveexec_b32 s9, s4
	s_cbranch_execz .LBB257_2296
; %bb.2291:                             ;   in Loop: Header=BB257_1567 Depth=1
	v_mov_b32_e32 v7, 0xffff
	v_mov_b32_e32 v12, v9
	;; [unrolled: 1-line block ×3, first 2 shown]
	s_mov_b32 s12, exec_lo
	v_and_b32_sdwa v7, v7, v6 dst_sel:DWORD dst_unused:UNUSED_PAD src0_sel:DWORD src1_sel:BYTE_1
	v_mov_b32_e32 v22, v12
	v_and_b32_e32 v10, 0x7f, v7
	v_cmpx_ne_u32_e32 0x7f, v10
	s_cbranch_execz .LBB257_2295
; %bb.2292:                             ;   in Loop: Header=BB257_1567 Depth=1
	v_and_b32_e32 v8, 7, v7
	v_lshrrev_b32_e32 v7, 3, v10
	s_mov_b32 s13, exec_lo
	v_cmpx_gt_u32_e32 8, v10
; %bb.2293:                             ;   in Loop: Header=BB257_1567 Depth=1
	v_ffbh_u32_e32 v7, v8
	v_min_u32_e32 v7, 32, v7
	v_subrev_nc_u32_e32 v10, 28, v7
	v_sub_nc_u32_e32 v7, 29, v7
	v_lshlrev_b64 v[22:23], v10, v[8:9]
	v_and_b32_e32 v8, 7, v22
; %bb.2294:                             ;   in Loop: Header=BB257_1567 Depth=1
	s_or_b32 exec_lo, exec_lo, s13
	v_lshlrev_b32_e32 v10, 16, v6
	v_lshlrev_b32_e32 v8, 20, v8
	v_lshl_add_u32 v7, v7, 23, 0x3c000000
	v_mov_b32_e32 v22, v9
	v_and_b32_e32 v10, 0x80000000, v10
	v_or3_b32 v23, v8, v10, v7
.LBB257_2295:                           ;   in Loop: Header=BB257_1567 Depth=1
	s_or_b32 exec_lo, exec_lo, s12
.LBB257_2296:                           ;   in Loop: Header=BB257_1567 Depth=1
	s_or_b32 exec_lo, exec_lo, s9
.LBB257_2297:                           ;   in Loop: Header=BB257_1567 Depth=1
	s_or_b32 exec_lo, exec_lo, s8
	v_mov_b32_e32 v24, 0
	v_mov_b32_e32 v26, 0
	v_and_b32_sdwa v7, v6, v44 dst_sel:DWORD dst_unused:UNUSED_PAD src0_sel:WORD_1 src1_sel:DWORD
	v_mov_b32_e32 v25, 0
	v_mov_b32_e32 v27, 0
	s_mov_b32 s8, exec_lo
	v_cmpx_ne_u16_e32 0, v7
	s_cbranch_execz .LBB257_2305
; %bb.2298:                             ;   in Loop: Header=BB257_1567 Depth=1
	v_bfrev_b32_e32 v26, 1
	v_mov_b32_e32 v27, 0
	s_mov_b32 s9, exec_lo
	v_cmpx_ne_u16_e32 0x80, v7
	s_cbranch_execz .LBB257_2304
; %bb.2299:                             ;   in Loop: Header=BB257_1567 Depth=1
	v_mov_b32_e32 v26, 0x7f800001
	v_bfe_u32 v10, v6, 16, 7
	v_mov_b32_e32 v27, 0
	s_mov_b32 s12, exec_lo
	v_cmpx_ne_u32_e32 0x7f, v10
	s_cbranch_execz .LBB257_2303
; %bb.2300:                             ;   in Loop: Header=BB257_1567 Depth=1
	v_mov_b32_e32 v7, 7
	s_mov_b32 s13, exec_lo
	v_and_b32_sdwa v8, v6, v7 dst_sel:DWORD dst_unused:UNUSED_PAD src0_sel:WORD_1 src1_sel:DWORD
	v_lshrrev_b32_e32 v7, 3, v10
	v_cmpx_gt_u32_e32 8, v10
; %bb.2301:                             ;   in Loop: Header=BB257_1567 Depth=1
	v_ffbh_u32_e32 v7, v8
	v_min_u32_e32 v7, 32, v7
	v_subrev_nc_u32_e32 v10, 28, v7
	v_sub_nc_u32_e32 v7, 29, v7
	v_lshlrev_b64 v[26:27], v10, v[8:9]
	v_and_b32_e32 v8, 7, v26
; %bb.2302:                             ;   in Loop: Header=BB257_1567 Depth=1
	s_or_b32 exec_lo, exec_lo, s13
	v_mov_b32_e32 v10, 24
	v_lshlrev_b32_e32 v8, 20, v8
	v_lshl_add_u32 v7, v7, 23, 0x3c000000
	v_lshlrev_b32_sdwa v10, v10, v6 dst_sel:DWORD dst_unused:UNUSED_PAD src0_sel:DWORD src1_sel:WORD_1
	v_and_b32_e32 v10, 0x80000000, v10
	v_or3_b32 v8, v8, v10, v7
	v_mov_b32_e32 v27, v9
	v_mov_b32_e32 v26, v8
.LBB257_2303:                           ;   in Loop: Header=BB257_1567 Depth=1
	s_or_b32 exec_lo, exec_lo, s12
.LBB257_2304:                           ;   in Loop: Header=BB257_1567 Depth=1
	s_or_b32 exec_lo, exec_lo, s9
.LBB257_2305:                           ;   in Loop: Header=BB257_1567 Depth=1
	s_or_b32 exec_lo, exec_lo, s8
	s_mov_b32 s8, exec_lo
	v_cmpx_lt_u32_e32 0xffffff, v6
	s_cbranch_execz .LBB257_2313
; %bb.2306:                             ;   in Loop: Header=BB257_1567 Depth=1
	v_mov_b32_e32 v10, v9
	v_mov_b32_e32 v25, v11
	v_cmp_ne_u32_sdwa s4, v6, v42 src0_sel:BYTE_3 src1_sel:DWORD
	v_mov_b32_e32 v24, v10
	s_and_saveexec_b32 s9, s4
	s_cbranch_execz .LBB257_2312
; %bb.2307:                             ;   in Loop: Header=BB257_1567 Depth=1
	v_mov_b32_e32 v12, v9
	v_mov_b32_e32 v25, v13
	v_bfe_u32 v10, v6, 24, 7
	s_mov_b32 s12, exec_lo
	v_mov_b32_e32 v24, v12
	v_cmpx_ne_u32_e32 0x7f, v10
	s_cbranch_execz .LBB257_2311
; %bb.2308:                             ;   in Loop: Header=BB257_1567 Depth=1
	v_mov_b32_e32 v7, 7
	s_mov_b32 s13, exec_lo
	v_and_b32_sdwa v8, v6, v7 dst_sel:DWORD dst_unused:UNUSED_PAD src0_sel:BYTE_3 src1_sel:DWORD
	v_lshrrev_b32_e32 v7, 3, v10
	v_cmpx_gt_u32_e32 8, v10
; %bb.2309:                             ;   in Loop: Header=BB257_1567 Depth=1
	v_ffbh_u32_e32 v7, v8
	v_min_u32_e32 v7, 32, v7
	v_subrev_nc_u32_e32 v10, 28, v7
	v_sub_nc_u32_e32 v7, 29, v7
	v_lshlrev_b64 v[24:25], v10, v[8:9]
	v_and_b32_e32 v8, 7, v24
; %bb.2310:                             ;   in Loop: Header=BB257_1567 Depth=1
	s_or_b32 exec_lo, exec_lo, s13
	v_mov_b32_e32 v10, 24
	v_lshlrev_b32_e32 v8, 20, v8
	v_lshl_add_u32 v7, v7, 23, 0x3c000000
	v_mov_b32_e32 v24, v9
	v_lshlrev_b32_sdwa v6, v10, v6 dst_sel:DWORD dst_unused:UNUSED_PAD src0_sel:DWORD src1_sel:BYTE_3
	v_and_b32_e32 v6, 0x80000000, v6
	v_or3_b32 v25, v8, v6, v7
.LBB257_2311:                           ;   in Loop: Header=BB257_1567 Depth=1
	s_or_b32 exec_lo, exec_lo, s12
.LBB257_2312:                           ;   in Loop: Header=BB257_1567 Depth=1
	s_or_b32 exec_lo, exec_lo, s9
.LBB257_2313:                           ;   in Loop: Header=BB257_1567 Depth=1
	s_or_b32 exec_lo, exec_lo, s8
	v_or_b32_e32 v6, v23, v21
	v_or_b32_e32 v7, v22, v20
	v_or_b32_e32 v8, v24, v26
	v_or_b32_e32 v10, v25, v27
	v_mul_f32_e32 v6, v60, v6
	buffer_store_dword v6, off, s[0:3], s32 offset:888 ; 4-byte Folded Spill
	v_mul_f32_e32 v6, v40, v7
	buffer_store_dword v6, off, s[0:3], s32 offset:880 ; 4-byte Folded Spill
	;; [unrolled: 2-line block ×4, first 2 shown]
	s_and_saveexec_b32 s8, vcc_lo
	s_cbranch_execz .LBB257_2315
; %bb.2314:                             ;   in Loop: Header=BB257_1567 Depth=1
	buffer_load_dword v6, off, s[0:3], s32 offset:880 ; 4-byte Folded Reload
	v_cmp_lt_i32_e64 s4, v89, v78
	s_waitcnt vmcnt(0)
	v_cndmask_b32_e64 v6, 0, v6, s4
	v_cmp_lt_i32_e64 s4, v91, v78
	buffer_store_dword v6, off, s[0:3], s32 offset:880 ; 4-byte Folded Spill
	buffer_load_dword v6, off, s[0:3], s32 offset:888 ; 4-byte Folded Reload
	s_waitcnt vmcnt(0)
	v_cndmask_b32_e64 v6, 0, v6, s4
	v_cmp_lt_i32_e64 s4, v90, v78
	buffer_store_dword v6, off, s[0:3], s32 offset:888 ; 4-byte Folded Spill
	buffer_load_dword v6, off, s[0:3], s32 offset:872 ; 4-byte Folded Reload
	;; [unrolled: 5-line block ×3, first 2 shown]
	s_waitcnt vmcnt(0)
	v_cndmask_b32_e64 v6, 0, v6, s4
	buffer_store_dword v6, off, s[0:3], s32 offset:864 ; 4-byte Folded Spill
.LBB257_2315:                           ;   in Loop: Header=BB257_1567 Depth=1
	s_or_b32 exec_lo, exec_lo, s8
	flat_load_dword v6, v[18:19] offset:768
	v_mov_b32_e32 v22, 0
	v_mov_b32_e32 v20, 0
	;; [unrolled: 1-line block ×4, first 2 shown]
	s_waitcnt vmcnt(0) lgkmcnt(0)
	v_cmp_ne_u16_sdwa s4, v6, v9 src0_sel:BYTE_0 src1_sel:DWORD
	s_and_saveexec_b32 s8, s4
	s_cbranch_execz .LBB257_2323
; %bb.2316:                             ;   in Loop: Header=BB257_1567 Depth=1
	v_bfrev_b32_e32 v20, 1
	v_mov_b32_e32 v21, 0
	v_cmp_ne_u16_sdwa s4, v6, v42 src0_sel:BYTE_0 src1_sel:DWORD
	s_and_saveexec_b32 s9, s4
	s_cbranch_execz .LBB257_2322
; %bb.2317:                             ;   in Loop: Header=BB257_1567 Depth=1
	v_mov_b32_e32 v20, 0x7f800001
	v_and_b32_e32 v10, 0x7f, v6
	v_mov_b32_e32 v21, 0
	s_mov_b32 s12, exec_lo
	v_cmpx_ne_u32_e32 0x7f, v10
	s_cbranch_execz .LBB257_2321
; %bb.2318:                             ;   in Loop: Header=BB257_1567 Depth=1
	v_and_b32_e32 v8, 7, v6
	v_lshrrev_b32_e32 v7, 3, v10
	s_mov_b32 s13, exec_lo
	v_cmpx_gt_u32_e32 8, v10
; %bb.2319:                             ;   in Loop: Header=BB257_1567 Depth=1
	v_ffbh_u32_e32 v7, v8
	v_min_u32_e32 v7, 32, v7
	v_subrev_nc_u32_e32 v10, 28, v7
	v_sub_nc_u32_e32 v7, 29, v7
	v_lshlrev_b64 v[20:21], v10, v[8:9]
	v_and_b32_e32 v8, 7, v20
; %bb.2320:                             ;   in Loop: Header=BB257_1567 Depth=1
	s_or_b32 exec_lo, exec_lo, s13
	v_lshlrev_b32_e32 v10, 24, v6
	v_lshlrev_b32_e32 v8, 20, v8
	v_lshl_add_u32 v7, v7, 23, 0x3c000000
	v_and_b32_e32 v10, 0x80000000, v10
	v_or3_b32 v8, v8, v10, v7
	v_mov_b32_e32 v21, v9
	v_mov_b32_e32 v20, v8
.LBB257_2321:                           ;   in Loop: Header=BB257_1567 Depth=1
	s_or_b32 exec_lo, exec_lo, s12
.LBB257_2322:                           ;   in Loop: Header=BB257_1567 Depth=1
	s_or_b32 exec_lo, exec_lo, s9
.LBB257_2323:                           ;   in Loop: Header=BB257_1567 Depth=1
	s_or_b32 exec_lo, exec_lo, s8
	v_cmp_ne_u16_sdwa s4, v6, v9 src0_sel:BYTE_1 src1_sel:DWORD
	s_and_saveexec_b32 s8, s4
	s_cbranch_execz .LBB257_2331
; %bb.2324:                             ;   in Loop: Header=BB257_1567 Depth=1
	v_mov_b32_e32 v10, v9
	v_mov_b32_e32 v23, v11
	v_cmp_ne_u16_sdwa s4, v6, v42 src0_sel:BYTE_1 src1_sel:DWORD
	v_mov_b32_e32 v22, v10
	s_and_saveexec_b32 s9, s4
	s_cbranch_execz .LBB257_2330
; %bb.2325:                             ;   in Loop: Header=BB257_1567 Depth=1
	v_mov_b32_e32 v7, 0xffff
	v_mov_b32_e32 v12, v9
	;; [unrolled: 1-line block ×3, first 2 shown]
	s_mov_b32 s12, exec_lo
	v_and_b32_sdwa v7, v7, v6 dst_sel:DWORD dst_unused:UNUSED_PAD src0_sel:DWORD src1_sel:BYTE_1
	v_mov_b32_e32 v22, v12
	v_and_b32_e32 v10, 0x7f, v7
	v_cmpx_ne_u32_e32 0x7f, v10
	s_cbranch_execz .LBB257_2329
; %bb.2326:                             ;   in Loop: Header=BB257_1567 Depth=1
	v_and_b32_e32 v8, 7, v7
	v_lshrrev_b32_e32 v7, 3, v10
	s_mov_b32 s13, exec_lo
	v_cmpx_gt_u32_e32 8, v10
; %bb.2327:                             ;   in Loop: Header=BB257_1567 Depth=1
	v_ffbh_u32_e32 v7, v8
	v_min_u32_e32 v7, 32, v7
	v_subrev_nc_u32_e32 v10, 28, v7
	v_sub_nc_u32_e32 v7, 29, v7
	v_lshlrev_b64 v[22:23], v10, v[8:9]
	v_and_b32_e32 v8, 7, v22
; %bb.2328:                             ;   in Loop: Header=BB257_1567 Depth=1
	s_or_b32 exec_lo, exec_lo, s13
	v_lshlrev_b32_e32 v10, 16, v6
	v_lshlrev_b32_e32 v8, 20, v8
	v_lshl_add_u32 v7, v7, 23, 0x3c000000
	v_mov_b32_e32 v22, v9
	v_and_b32_e32 v10, 0x80000000, v10
	v_or3_b32 v23, v8, v10, v7
.LBB257_2329:                           ;   in Loop: Header=BB257_1567 Depth=1
	s_or_b32 exec_lo, exec_lo, s12
.LBB257_2330:                           ;   in Loop: Header=BB257_1567 Depth=1
	s_or_b32 exec_lo, exec_lo, s9
.LBB257_2331:                           ;   in Loop: Header=BB257_1567 Depth=1
	s_or_b32 exec_lo, exec_lo, s8
	v_mov_b32_e32 v24, 0
	v_mov_b32_e32 v26, 0
	v_and_b32_sdwa v7, v6, v44 dst_sel:DWORD dst_unused:UNUSED_PAD src0_sel:WORD_1 src1_sel:DWORD
	v_mov_b32_e32 v25, 0
	v_mov_b32_e32 v27, 0
	s_mov_b32 s8, exec_lo
	v_cmpx_ne_u16_e32 0, v7
	s_cbranch_execz .LBB257_2339
; %bb.2332:                             ;   in Loop: Header=BB257_1567 Depth=1
	v_bfrev_b32_e32 v26, 1
	v_mov_b32_e32 v27, 0
	s_mov_b32 s9, exec_lo
	v_cmpx_ne_u16_e32 0x80, v7
	s_cbranch_execz .LBB257_2338
; %bb.2333:                             ;   in Loop: Header=BB257_1567 Depth=1
	v_mov_b32_e32 v26, 0x7f800001
	v_bfe_u32 v10, v6, 16, 7
	v_mov_b32_e32 v27, 0
	s_mov_b32 s12, exec_lo
	v_cmpx_ne_u32_e32 0x7f, v10
	s_cbranch_execz .LBB257_2337
; %bb.2334:                             ;   in Loop: Header=BB257_1567 Depth=1
	v_mov_b32_e32 v7, 7
	s_mov_b32 s13, exec_lo
	v_and_b32_sdwa v8, v6, v7 dst_sel:DWORD dst_unused:UNUSED_PAD src0_sel:WORD_1 src1_sel:DWORD
	v_lshrrev_b32_e32 v7, 3, v10
	v_cmpx_gt_u32_e32 8, v10
; %bb.2335:                             ;   in Loop: Header=BB257_1567 Depth=1
	v_ffbh_u32_e32 v7, v8
	v_min_u32_e32 v7, 32, v7
	v_subrev_nc_u32_e32 v10, 28, v7
	v_sub_nc_u32_e32 v7, 29, v7
	v_lshlrev_b64 v[26:27], v10, v[8:9]
	v_and_b32_e32 v8, 7, v26
; %bb.2336:                             ;   in Loop: Header=BB257_1567 Depth=1
	s_or_b32 exec_lo, exec_lo, s13
	v_mov_b32_e32 v10, 24
	v_lshlrev_b32_e32 v8, 20, v8
	v_lshl_add_u32 v7, v7, 23, 0x3c000000
	v_lshlrev_b32_sdwa v10, v10, v6 dst_sel:DWORD dst_unused:UNUSED_PAD src0_sel:DWORD src1_sel:WORD_1
	v_and_b32_e32 v10, 0x80000000, v10
	v_or3_b32 v8, v8, v10, v7
	v_mov_b32_e32 v27, v9
	v_mov_b32_e32 v26, v8
.LBB257_2337:                           ;   in Loop: Header=BB257_1567 Depth=1
	s_or_b32 exec_lo, exec_lo, s12
.LBB257_2338:                           ;   in Loop: Header=BB257_1567 Depth=1
	s_or_b32 exec_lo, exec_lo, s9
.LBB257_2339:                           ;   in Loop: Header=BB257_1567 Depth=1
	s_or_b32 exec_lo, exec_lo, s8
	s_mov_b32 s8, exec_lo
	v_cmpx_lt_u32_e32 0xffffff, v6
	s_cbranch_execz .LBB257_2347
; %bb.2340:                             ;   in Loop: Header=BB257_1567 Depth=1
	v_mov_b32_e32 v10, v9
	v_mov_b32_e32 v25, v11
	v_cmp_ne_u32_sdwa s4, v6, v42 src0_sel:BYTE_3 src1_sel:DWORD
	v_mov_b32_e32 v24, v10
	s_and_saveexec_b32 s9, s4
	s_cbranch_execz .LBB257_2346
; %bb.2341:                             ;   in Loop: Header=BB257_1567 Depth=1
	v_mov_b32_e32 v12, v9
	v_mov_b32_e32 v25, v13
	v_bfe_u32 v10, v6, 24, 7
	s_mov_b32 s12, exec_lo
	v_mov_b32_e32 v24, v12
	v_cmpx_ne_u32_e32 0x7f, v10
	s_cbranch_execz .LBB257_2345
; %bb.2342:                             ;   in Loop: Header=BB257_1567 Depth=1
	v_mov_b32_e32 v7, 7
	s_mov_b32 s13, exec_lo
	v_and_b32_sdwa v8, v6, v7 dst_sel:DWORD dst_unused:UNUSED_PAD src0_sel:BYTE_3 src1_sel:DWORD
	v_lshrrev_b32_e32 v7, 3, v10
	v_cmpx_gt_u32_e32 8, v10
; %bb.2343:                             ;   in Loop: Header=BB257_1567 Depth=1
	v_ffbh_u32_e32 v7, v8
	v_min_u32_e32 v7, 32, v7
	v_subrev_nc_u32_e32 v10, 28, v7
	v_sub_nc_u32_e32 v7, 29, v7
	v_lshlrev_b64 v[24:25], v10, v[8:9]
	v_and_b32_e32 v8, 7, v24
; %bb.2344:                             ;   in Loop: Header=BB257_1567 Depth=1
	s_or_b32 exec_lo, exec_lo, s13
	v_mov_b32_e32 v10, 24
	v_lshlrev_b32_e32 v8, 20, v8
	v_lshl_add_u32 v7, v7, 23, 0x3c000000
	v_mov_b32_e32 v24, v9
	v_lshlrev_b32_sdwa v6, v10, v6 dst_sel:DWORD dst_unused:UNUSED_PAD src0_sel:DWORD src1_sel:BYTE_3
	v_and_b32_e32 v6, 0x80000000, v6
	v_or3_b32 v25, v8, v6, v7
.LBB257_2345:                           ;   in Loop: Header=BB257_1567 Depth=1
	s_or_b32 exec_lo, exec_lo, s12
.LBB257_2346:                           ;   in Loop: Header=BB257_1567 Depth=1
	s_or_b32 exec_lo, exec_lo, s9
.LBB257_2347:                           ;   in Loop: Header=BB257_1567 Depth=1
	s_or_b32 exec_lo, exec_lo, s8
	v_or_b32_e32 v6, v23, v21
	v_or_b32_e32 v7, v22, v20
	;; [unrolled: 1-line block ×4, first 2 shown]
	v_mul_f32_e32 v6, v60, v6
	buffer_store_dword v6, off, s[0:3], s32 offset:920 ; 4-byte Folded Spill
	v_mul_f32_e32 v6, v40, v7
	buffer_store_dword v6, off, s[0:3], s32 offset:912 ; 4-byte Folded Spill
	;; [unrolled: 2-line block ×4, first 2 shown]
	s_and_saveexec_b32 s8, vcc_lo
	s_cbranch_execz .LBB257_2349
; %bb.2348:                             ;   in Loop: Header=BB257_1567 Depth=1
	buffer_load_dword v6, off, s[0:3], s32 offset:912 ; 4-byte Folded Reload
	v_cmp_lt_i32_e64 s4, v89, v78
	s_waitcnt vmcnt(0)
	v_cndmask_b32_e64 v6, 0, v6, s4
	v_cmp_lt_i32_e64 s4, v91, v78
	buffer_store_dword v6, off, s[0:3], s32 offset:912 ; 4-byte Folded Spill
	buffer_load_dword v6, off, s[0:3], s32 offset:920 ; 4-byte Folded Reload
	s_waitcnt vmcnt(0)
	v_cndmask_b32_e64 v6, 0, v6, s4
	v_cmp_lt_i32_e64 s4, v90, v78
	buffer_store_dword v6, off, s[0:3], s32 offset:920 ; 4-byte Folded Spill
	buffer_load_dword v6, off, s[0:3], s32 offset:904 ; 4-byte Folded Reload
	;; [unrolled: 5-line block ×3, first 2 shown]
	s_waitcnt vmcnt(0)
	v_cndmask_b32_e64 v6, 0, v6, s4
	buffer_store_dword v6, off, s[0:3], s32 offset:896 ; 4-byte Folded Spill
.LBB257_2349:                           ;   in Loop: Header=BB257_1567 Depth=1
	s_or_b32 exec_lo, exec_lo, s8
	flat_load_dword v6, v[18:19] offset:896
	v_mov_b32_e32 v22, 0
	v_mov_b32_e32 v20, 0
	;; [unrolled: 1-line block ×4, first 2 shown]
	s_waitcnt vmcnt(0) lgkmcnt(0)
	v_cmp_ne_u16_sdwa s4, v6, v9 src0_sel:BYTE_0 src1_sel:DWORD
	s_and_saveexec_b32 s8, s4
	s_cbranch_execz .LBB257_2357
; %bb.2350:                             ;   in Loop: Header=BB257_1567 Depth=1
	v_bfrev_b32_e32 v20, 1
	v_mov_b32_e32 v21, 0
	v_cmp_ne_u16_sdwa s4, v6, v42 src0_sel:BYTE_0 src1_sel:DWORD
	s_and_saveexec_b32 s9, s4
	s_cbranch_execz .LBB257_2356
; %bb.2351:                             ;   in Loop: Header=BB257_1567 Depth=1
	v_mov_b32_e32 v20, 0x7f800001
	v_and_b32_e32 v10, 0x7f, v6
	v_mov_b32_e32 v21, 0
	s_mov_b32 s12, exec_lo
	v_cmpx_ne_u32_e32 0x7f, v10
	s_cbranch_execz .LBB257_2355
; %bb.2352:                             ;   in Loop: Header=BB257_1567 Depth=1
	v_and_b32_e32 v8, 7, v6
	v_lshrrev_b32_e32 v7, 3, v10
	s_mov_b32 s13, exec_lo
	v_cmpx_gt_u32_e32 8, v10
; %bb.2353:                             ;   in Loop: Header=BB257_1567 Depth=1
	v_ffbh_u32_e32 v7, v8
	v_min_u32_e32 v7, 32, v7
	v_subrev_nc_u32_e32 v10, 28, v7
	v_sub_nc_u32_e32 v7, 29, v7
	v_lshlrev_b64 v[20:21], v10, v[8:9]
	v_and_b32_e32 v8, 7, v20
; %bb.2354:                             ;   in Loop: Header=BB257_1567 Depth=1
	s_or_b32 exec_lo, exec_lo, s13
	v_lshlrev_b32_e32 v10, 24, v6
	v_lshlrev_b32_e32 v8, 20, v8
	v_lshl_add_u32 v7, v7, 23, 0x3c000000
	v_and_b32_e32 v10, 0x80000000, v10
	v_or3_b32 v8, v8, v10, v7
	v_mov_b32_e32 v21, v9
	v_mov_b32_e32 v20, v8
.LBB257_2355:                           ;   in Loop: Header=BB257_1567 Depth=1
	s_or_b32 exec_lo, exec_lo, s12
.LBB257_2356:                           ;   in Loop: Header=BB257_1567 Depth=1
	s_or_b32 exec_lo, exec_lo, s9
.LBB257_2357:                           ;   in Loop: Header=BB257_1567 Depth=1
	s_or_b32 exec_lo, exec_lo, s8
	v_cmp_ne_u16_sdwa s4, v6, v9 src0_sel:BYTE_1 src1_sel:DWORD
	s_and_saveexec_b32 s8, s4
	s_cbranch_execz .LBB257_2365
; %bb.2358:                             ;   in Loop: Header=BB257_1567 Depth=1
	v_mov_b32_e32 v10, v9
	v_mov_b32_e32 v23, v11
	v_cmp_ne_u16_sdwa s4, v6, v42 src0_sel:BYTE_1 src1_sel:DWORD
	v_mov_b32_e32 v22, v10
	s_and_saveexec_b32 s9, s4
	s_cbranch_execz .LBB257_2364
; %bb.2359:                             ;   in Loop: Header=BB257_1567 Depth=1
	v_mov_b32_e32 v7, 0xffff
	v_mov_b32_e32 v12, v9
	;; [unrolled: 1-line block ×3, first 2 shown]
	s_mov_b32 s12, exec_lo
	v_and_b32_sdwa v7, v7, v6 dst_sel:DWORD dst_unused:UNUSED_PAD src0_sel:DWORD src1_sel:BYTE_1
	v_mov_b32_e32 v22, v12
	v_and_b32_e32 v10, 0x7f, v7
	v_cmpx_ne_u32_e32 0x7f, v10
	s_cbranch_execz .LBB257_2363
; %bb.2360:                             ;   in Loop: Header=BB257_1567 Depth=1
	v_and_b32_e32 v8, 7, v7
	v_lshrrev_b32_e32 v7, 3, v10
	s_mov_b32 s13, exec_lo
	v_cmpx_gt_u32_e32 8, v10
; %bb.2361:                             ;   in Loop: Header=BB257_1567 Depth=1
	v_ffbh_u32_e32 v7, v8
	v_min_u32_e32 v7, 32, v7
	v_subrev_nc_u32_e32 v10, 28, v7
	v_sub_nc_u32_e32 v7, 29, v7
	v_lshlrev_b64 v[22:23], v10, v[8:9]
	v_and_b32_e32 v8, 7, v22
; %bb.2362:                             ;   in Loop: Header=BB257_1567 Depth=1
	s_or_b32 exec_lo, exec_lo, s13
	v_lshlrev_b32_e32 v10, 16, v6
	v_lshlrev_b32_e32 v8, 20, v8
	v_lshl_add_u32 v7, v7, 23, 0x3c000000
	v_mov_b32_e32 v22, v9
	v_and_b32_e32 v10, 0x80000000, v10
	v_or3_b32 v23, v8, v10, v7
.LBB257_2363:                           ;   in Loop: Header=BB257_1567 Depth=1
	s_or_b32 exec_lo, exec_lo, s12
.LBB257_2364:                           ;   in Loop: Header=BB257_1567 Depth=1
	s_or_b32 exec_lo, exec_lo, s9
.LBB257_2365:                           ;   in Loop: Header=BB257_1567 Depth=1
	s_or_b32 exec_lo, exec_lo, s8
	v_mov_b32_e32 v24, 0
	v_mov_b32_e32 v26, 0
	v_and_b32_sdwa v7, v6, v44 dst_sel:DWORD dst_unused:UNUSED_PAD src0_sel:WORD_1 src1_sel:DWORD
	v_mov_b32_e32 v25, 0
	v_mov_b32_e32 v27, 0
	s_mov_b32 s8, exec_lo
	v_cmpx_ne_u16_e32 0, v7
	s_cbranch_execz .LBB257_2373
; %bb.2366:                             ;   in Loop: Header=BB257_1567 Depth=1
	v_bfrev_b32_e32 v26, 1
	v_mov_b32_e32 v27, 0
	s_mov_b32 s9, exec_lo
	v_cmpx_ne_u16_e32 0x80, v7
	s_cbranch_execz .LBB257_2372
; %bb.2367:                             ;   in Loop: Header=BB257_1567 Depth=1
	v_mov_b32_e32 v26, 0x7f800001
	v_bfe_u32 v10, v6, 16, 7
	v_mov_b32_e32 v27, 0
	s_mov_b32 s12, exec_lo
	v_cmpx_ne_u32_e32 0x7f, v10
	s_cbranch_execz .LBB257_2371
; %bb.2368:                             ;   in Loop: Header=BB257_1567 Depth=1
	v_mov_b32_e32 v7, 7
	s_mov_b32 s13, exec_lo
	v_and_b32_sdwa v8, v6, v7 dst_sel:DWORD dst_unused:UNUSED_PAD src0_sel:WORD_1 src1_sel:DWORD
	v_lshrrev_b32_e32 v7, 3, v10
	v_cmpx_gt_u32_e32 8, v10
; %bb.2369:                             ;   in Loop: Header=BB257_1567 Depth=1
	v_ffbh_u32_e32 v7, v8
	v_min_u32_e32 v7, 32, v7
	v_subrev_nc_u32_e32 v10, 28, v7
	v_sub_nc_u32_e32 v7, 29, v7
	v_lshlrev_b64 v[26:27], v10, v[8:9]
	v_and_b32_e32 v8, 7, v26
; %bb.2370:                             ;   in Loop: Header=BB257_1567 Depth=1
	s_or_b32 exec_lo, exec_lo, s13
	v_mov_b32_e32 v10, 24
	v_lshlrev_b32_e32 v8, 20, v8
	v_lshl_add_u32 v7, v7, 23, 0x3c000000
	v_lshlrev_b32_sdwa v10, v10, v6 dst_sel:DWORD dst_unused:UNUSED_PAD src0_sel:DWORD src1_sel:WORD_1
	v_and_b32_e32 v10, 0x80000000, v10
	v_or3_b32 v8, v8, v10, v7
	v_mov_b32_e32 v27, v9
	v_mov_b32_e32 v26, v8
.LBB257_2371:                           ;   in Loop: Header=BB257_1567 Depth=1
	s_or_b32 exec_lo, exec_lo, s12
.LBB257_2372:                           ;   in Loop: Header=BB257_1567 Depth=1
	s_or_b32 exec_lo, exec_lo, s9
.LBB257_2373:                           ;   in Loop: Header=BB257_1567 Depth=1
	s_or_b32 exec_lo, exec_lo, s8
	s_mov_b32 s8, exec_lo
	v_cmpx_lt_u32_e32 0xffffff, v6
	s_cbranch_execz .LBB257_2381
; %bb.2374:                             ;   in Loop: Header=BB257_1567 Depth=1
	v_mov_b32_e32 v10, v9
	v_mov_b32_e32 v25, v11
	v_cmp_ne_u32_sdwa s4, v6, v42 src0_sel:BYTE_3 src1_sel:DWORD
	v_mov_b32_e32 v24, v10
	s_and_saveexec_b32 s9, s4
	s_cbranch_execz .LBB257_2380
; %bb.2375:                             ;   in Loop: Header=BB257_1567 Depth=1
	v_mov_b32_e32 v12, v9
	v_mov_b32_e32 v25, v13
	v_bfe_u32 v10, v6, 24, 7
	s_mov_b32 s12, exec_lo
	v_mov_b32_e32 v24, v12
	v_cmpx_ne_u32_e32 0x7f, v10
	s_cbranch_execz .LBB257_2379
; %bb.2376:                             ;   in Loop: Header=BB257_1567 Depth=1
	v_mov_b32_e32 v7, 7
	s_mov_b32 s13, exec_lo
	v_and_b32_sdwa v8, v6, v7 dst_sel:DWORD dst_unused:UNUSED_PAD src0_sel:BYTE_3 src1_sel:DWORD
	v_lshrrev_b32_e32 v7, 3, v10
	v_cmpx_gt_u32_e32 8, v10
; %bb.2377:                             ;   in Loop: Header=BB257_1567 Depth=1
	v_ffbh_u32_e32 v7, v8
	v_min_u32_e32 v7, 32, v7
	v_subrev_nc_u32_e32 v10, 28, v7
	v_sub_nc_u32_e32 v7, 29, v7
	v_lshlrev_b64 v[24:25], v10, v[8:9]
	v_and_b32_e32 v8, 7, v24
; %bb.2378:                             ;   in Loop: Header=BB257_1567 Depth=1
	s_or_b32 exec_lo, exec_lo, s13
	v_mov_b32_e32 v10, 24
	v_lshlrev_b32_e32 v8, 20, v8
	v_lshl_add_u32 v7, v7, 23, 0x3c000000
	v_mov_b32_e32 v24, v9
	v_lshlrev_b32_sdwa v6, v10, v6 dst_sel:DWORD dst_unused:UNUSED_PAD src0_sel:DWORD src1_sel:BYTE_3
	v_and_b32_e32 v6, 0x80000000, v6
	v_or3_b32 v25, v8, v6, v7
.LBB257_2379:                           ;   in Loop: Header=BB257_1567 Depth=1
	s_or_b32 exec_lo, exec_lo, s12
.LBB257_2380:                           ;   in Loop: Header=BB257_1567 Depth=1
	s_or_b32 exec_lo, exec_lo, s9
.LBB257_2381:                           ;   in Loop: Header=BB257_1567 Depth=1
	s_or_b32 exec_lo, exec_lo, s8
	v_or_b32_e32 v6, v23, v21
	v_or_b32_e32 v7, v22, v20
	;; [unrolled: 1-line block ×4, first 2 shown]
	v_mul_f32_e32 v6, v60, v6
	buffer_store_dword v6, off, s[0:3], s32 offset:952 ; 4-byte Folded Spill
	v_mul_f32_e32 v6, v40, v7
	buffer_store_dword v6, off, s[0:3], s32 offset:944 ; 4-byte Folded Spill
	;; [unrolled: 2-line block ×4, first 2 shown]
	s_and_saveexec_b32 s8, vcc_lo
	s_cbranch_execz .LBB257_2383
; %bb.2382:                             ;   in Loop: Header=BB257_1567 Depth=1
	buffer_load_dword v6, off, s[0:3], s32 offset:944 ; 4-byte Folded Reload
	v_cmp_lt_i32_e64 s4, v89, v78
	s_waitcnt vmcnt(0)
	v_cndmask_b32_e64 v6, 0, v6, s4
	v_cmp_lt_i32_e64 s4, v91, v78
	buffer_store_dword v6, off, s[0:3], s32 offset:944 ; 4-byte Folded Spill
	buffer_load_dword v6, off, s[0:3], s32 offset:952 ; 4-byte Folded Reload
	s_waitcnt vmcnt(0)
	v_cndmask_b32_e64 v6, 0, v6, s4
	v_cmp_lt_i32_e64 s4, v90, v78
	buffer_store_dword v6, off, s[0:3], s32 offset:952 ; 4-byte Folded Spill
	buffer_load_dword v6, off, s[0:3], s32 offset:936 ; 4-byte Folded Reload
	;; [unrolled: 5-line block ×3, first 2 shown]
	s_waitcnt vmcnt(0)
	v_cndmask_b32_e64 v6, 0, v6, s4
	buffer_store_dword v6, off, s[0:3], s32 offset:928 ; 4-byte Folded Spill
.LBB257_2383:                           ;   in Loop: Header=BB257_1567 Depth=1
	s_or_b32 exec_lo, exec_lo, s8
	flat_load_dword v6, v[18:19] offset:1024
	v_mov_b32_e32 v22, 0
	v_mov_b32_e32 v20, 0
	;; [unrolled: 1-line block ×4, first 2 shown]
	s_waitcnt vmcnt(0) lgkmcnt(0)
	v_cmp_ne_u16_sdwa s4, v6, v9 src0_sel:BYTE_0 src1_sel:DWORD
	s_and_saveexec_b32 s8, s4
	s_cbranch_execz .LBB257_2391
; %bb.2384:                             ;   in Loop: Header=BB257_1567 Depth=1
	v_bfrev_b32_e32 v20, 1
	v_mov_b32_e32 v21, 0
	v_cmp_ne_u16_sdwa s4, v6, v42 src0_sel:BYTE_0 src1_sel:DWORD
	s_and_saveexec_b32 s9, s4
	s_cbranch_execz .LBB257_2390
; %bb.2385:                             ;   in Loop: Header=BB257_1567 Depth=1
	v_mov_b32_e32 v20, 0x7f800001
	v_and_b32_e32 v10, 0x7f, v6
	v_mov_b32_e32 v21, 0
	s_mov_b32 s12, exec_lo
	v_cmpx_ne_u32_e32 0x7f, v10
	s_cbranch_execz .LBB257_2389
; %bb.2386:                             ;   in Loop: Header=BB257_1567 Depth=1
	v_and_b32_e32 v8, 7, v6
	v_lshrrev_b32_e32 v7, 3, v10
	s_mov_b32 s13, exec_lo
	v_cmpx_gt_u32_e32 8, v10
; %bb.2387:                             ;   in Loop: Header=BB257_1567 Depth=1
	v_ffbh_u32_e32 v7, v8
	v_min_u32_e32 v7, 32, v7
	v_subrev_nc_u32_e32 v10, 28, v7
	v_sub_nc_u32_e32 v7, 29, v7
	v_lshlrev_b64 v[20:21], v10, v[8:9]
	v_and_b32_e32 v8, 7, v20
; %bb.2388:                             ;   in Loop: Header=BB257_1567 Depth=1
	s_or_b32 exec_lo, exec_lo, s13
	v_lshlrev_b32_e32 v10, 24, v6
	v_lshlrev_b32_e32 v8, 20, v8
	v_lshl_add_u32 v7, v7, 23, 0x3c000000
	v_and_b32_e32 v10, 0x80000000, v10
	v_or3_b32 v8, v8, v10, v7
	v_mov_b32_e32 v21, v9
	v_mov_b32_e32 v20, v8
.LBB257_2389:                           ;   in Loop: Header=BB257_1567 Depth=1
	s_or_b32 exec_lo, exec_lo, s12
.LBB257_2390:                           ;   in Loop: Header=BB257_1567 Depth=1
	s_or_b32 exec_lo, exec_lo, s9
.LBB257_2391:                           ;   in Loop: Header=BB257_1567 Depth=1
	s_or_b32 exec_lo, exec_lo, s8
	v_cmp_ne_u16_sdwa s4, v6, v9 src0_sel:BYTE_1 src1_sel:DWORD
	s_and_saveexec_b32 s8, s4
	s_cbranch_execz .LBB257_2399
; %bb.2392:                             ;   in Loop: Header=BB257_1567 Depth=1
	v_mov_b32_e32 v10, v9
	v_mov_b32_e32 v23, v11
	v_cmp_ne_u16_sdwa s4, v6, v42 src0_sel:BYTE_1 src1_sel:DWORD
	v_mov_b32_e32 v22, v10
	s_and_saveexec_b32 s9, s4
	s_cbranch_execz .LBB257_2398
; %bb.2393:                             ;   in Loop: Header=BB257_1567 Depth=1
	v_mov_b32_e32 v7, 0xffff
	v_mov_b32_e32 v12, v9
	;; [unrolled: 1-line block ×3, first 2 shown]
	s_mov_b32 s12, exec_lo
	v_and_b32_sdwa v7, v7, v6 dst_sel:DWORD dst_unused:UNUSED_PAD src0_sel:DWORD src1_sel:BYTE_1
	v_mov_b32_e32 v22, v12
	v_and_b32_e32 v10, 0x7f, v7
	v_cmpx_ne_u32_e32 0x7f, v10
	s_cbranch_execz .LBB257_2397
; %bb.2394:                             ;   in Loop: Header=BB257_1567 Depth=1
	v_and_b32_e32 v8, 7, v7
	v_lshrrev_b32_e32 v7, 3, v10
	s_mov_b32 s13, exec_lo
	v_cmpx_gt_u32_e32 8, v10
; %bb.2395:                             ;   in Loop: Header=BB257_1567 Depth=1
	v_ffbh_u32_e32 v7, v8
	v_min_u32_e32 v7, 32, v7
	v_subrev_nc_u32_e32 v10, 28, v7
	v_sub_nc_u32_e32 v7, 29, v7
	v_lshlrev_b64 v[22:23], v10, v[8:9]
	v_and_b32_e32 v8, 7, v22
; %bb.2396:                             ;   in Loop: Header=BB257_1567 Depth=1
	s_or_b32 exec_lo, exec_lo, s13
	v_lshlrev_b32_e32 v10, 16, v6
	v_lshlrev_b32_e32 v8, 20, v8
	v_lshl_add_u32 v7, v7, 23, 0x3c000000
	v_mov_b32_e32 v22, v9
	v_and_b32_e32 v10, 0x80000000, v10
	v_or3_b32 v23, v8, v10, v7
.LBB257_2397:                           ;   in Loop: Header=BB257_1567 Depth=1
	s_or_b32 exec_lo, exec_lo, s12
.LBB257_2398:                           ;   in Loop: Header=BB257_1567 Depth=1
	s_or_b32 exec_lo, exec_lo, s9
.LBB257_2399:                           ;   in Loop: Header=BB257_1567 Depth=1
	s_or_b32 exec_lo, exec_lo, s8
	v_mov_b32_e32 v24, 0
	v_mov_b32_e32 v26, 0
	v_and_b32_sdwa v7, v6, v44 dst_sel:DWORD dst_unused:UNUSED_PAD src0_sel:WORD_1 src1_sel:DWORD
	v_mov_b32_e32 v25, 0
	v_mov_b32_e32 v27, 0
	s_mov_b32 s8, exec_lo
	v_cmpx_ne_u16_e32 0, v7
	s_cbranch_execz .LBB257_2407
; %bb.2400:                             ;   in Loop: Header=BB257_1567 Depth=1
	v_bfrev_b32_e32 v26, 1
	v_mov_b32_e32 v27, 0
	s_mov_b32 s9, exec_lo
	v_cmpx_ne_u16_e32 0x80, v7
	s_cbranch_execz .LBB257_2406
; %bb.2401:                             ;   in Loop: Header=BB257_1567 Depth=1
	v_mov_b32_e32 v26, 0x7f800001
	v_bfe_u32 v10, v6, 16, 7
	v_mov_b32_e32 v27, 0
	s_mov_b32 s12, exec_lo
	v_cmpx_ne_u32_e32 0x7f, v10
	s_cbranch_execz .LBB257_2405
; %bb.2402:                             ;   in Loop: Header=BB257_1567 Depth=1
	v_mov_b32_e32 v7, 7
	s_mov_b32 s13, exec_lo
	v_and_b32_sdwa v8, v6, v7 dst_sel:DWORD dst_unused:UNUSED_PAD src0_sel:WORD_1 src1_sel:DWORD
	v_lshrrev_b32_e32 v7, 3, v10
	v_cmpx_gt_u32_e32 8, v10
; %bb.2403:                             ;   in Loop: Header=BB257_1567 Depth=1
	v_ffbh_u32_e32 v7, v8
	v_min_u32_e32 v7, 32, v7
	v_subrev_nc_u32_e32 v10, 28, v7
	v_sub_nc_u32_e32 v7, 29, v7
	v_lshlrev_b64 v[26:27], v10, v[8:9]
	v_and_b32_e32 v8, 7, v26
; %bb.2404:                             ;   in Loop: Header=BB257_1567 Depth=1
	s_or_b32 exec_lo, exec_lo, s13
	v_mov_b32_e32 v10, 24
	v_lshlrev_b32_e32 v8, 20, v8
	v_lshl_add_u32 v7, v7, 23, 0x3c000000
	v_lshlrev_b32_sdwa v10, v10, v6 dst_sel:DWORD dst_unused:UNUSED_PAD src0_sel:DWORD src1_sel:WORD_1
	v_and_b32_e32 v10, 0x80000000, v10
	v_or3_b32 v8, v8, v10, v7
	v_mov_b32_e32 v27, v9
	v_mov_b32_e32 v26, v8
.LBB257_2405:                           ;   in Loop: Header=BB257_1567 Depth=1
	s_or_b32 exec_lo, exec_lo, s12
.LBB257_2406:                           ;   in Loop: Header=BB257_1567 Depth=1
	s_or_b32 exec_lo, exec_lo, s9
.LBB257_2407:                           ;   in Loop: Header=BB257_1567 Depth=1
	s_or_b32 exec_lo, exec_lo, s8
	s_mov_b32 s8, exec_lo
	v_cmpx_lt_u32_e32 0xffffff, v6
	s_cbranch_execz .LBB257_2415
; %bb.2408:                             ;   in Loop: Header=BB257_1567 Depth=1
	v_mov_b32_e32 v10, v9
	v_mov_b32_e32 v25, v11
	v_cmp_ne_u32_sdwa s4, v6, v42 src0_sel:BYTE_3 src1_sel:DWORD
	v_mov_b32_e32 v24, v10
	s_and_saveexec_b32 s9, s4
	s_cbranch_execz .LBB257_2414
; %bb.2409:                             ;   in Loop: Header=BB257_1567 Depth=1
	v_mov_b32_e32 v12, v9
	v_mov_b32_e32 v25, v13
	v_bfe_u32 v10, v6, 24, 7
	s_mov_b32 s12, exec_lo
	v_mov_b32_e32 v24, v12
	v_cmpx_ne_u32_e32 0x7f, v10
	s_cbranch_execz .LBB257_2413
; %bb.2410:                             ;   in Loop: Header=BB257_1567 Depth=1
	v_mov_b32_e32 v7, 7
	s_mov_b32 s13, exec_lo
	v_and_b32_sdwa v8, v6, v7 dst_sel:DWORD dst_unused:UNUSED_PAD src0_sel:BYTE_3 src1_sel:DWORD
	v_lshrrev_b32_e32 v7, 3, v10
	v_cmpx_gt_u32_e32 8, v10
; %bb.2411:                             ;   in Loop: Header=BB257_1567 Depth=1
	v_ffbh_u32_e32 v7, v8
	v_min_u32_e32 v7, 32, v7
	v_subrev_nc_u32_e32 v10, 28, v7
	v_sub_nc_u32_e32 v7, 29, v7
	v_lshlrev_b64 v[24:25], v10, v[8:9]
	v_and_b32_e32 v8, 7, v24
; %bb.2412:                             ;   in Loop: Header=BB257_1567 Depth=1
	s_or_b32 exec_lo, exec_lo, s13
	v_mov_b32_e32 v10, 24
	v_lshlrev_b32_e32 v8, 20, v8
	v_lshl_add_u32 v7, v7, 23, 0x3c000000
	v_mov_b32_e32 v24, v9
	v_lshlrev_b32_sdwa v6, v10, v6 dst_sel:DWORD dst_unused:UNUSED_PAD src0_sel:DWORD src1_sel:BYTE_3
	v_and_b32_e32 v6, 0x80000000, v6
	v_or3_b32 v25, v8, v6, v7
.LBB257_2413:                           ;   in Loop: Header=BB257_1567 Depth=1
	s_or_b32 exec_lo, exec_lo, s12
.LBB257_2414:                           ;   in Loop: Header=BB257_1567 Depth=1
	s_or_b32 exec_lo, exec_lo, s9
.LBB257_2415:                           ;   in Loop: Header=BB257_1567 Depth=1
	s_or_b32 exec_lo, exec_lo, s8
	v_or_b32_e32 v6, v23, v21
	v_or_b32_e32 v7, v22, v20
	;; [unrolled: 1-line block ×4, first 2 shown]
	v_mul_f32_e32 v104, v60, v6
	v_mul_f32_e32 v15, v40, v7
	;; [unrolled: 1-line block ×4, first 2 shown]
	s_and_saveexec_b32 s8, vcc_lo
	s_cbranch_execz .LBB257_2417
; %bb.2416:                             ;   in Loop: Header=BB257_1567 Depth=1
	v_cmp_lt_i32_e64 s4, v89, v78
	v_cndmask_b32_e64 v15, 0, v15, s4
	v_cmp_lt_i32_e64 s4, v91, v78
	v_cndmask_b32_e64 v104, 0, v104, s4
	;; [unrolled: 2-line block ×4, first 2 shown]
.LBB257_2417:                           ;   in Loop: Header=BB257_1567 Depth=1
	s_or_b32 exec_lo, exec_lo, s8
	flat_load_dword v6, v[18:19] offset:1152
	v_mov_b32_e32 v22, 0
	v_mov_b32_e32 v20, 0
	;; [unrolled: 1-line block ×4, first 2 shown]
	s_waitcnt vmcnt(0) lgkmcnt(0)
	v_cmp_ne_u16_sdwa s4, v6, v9 src0_sel:BYTE_0 src1_sel:DWORD
	s_and_saveexec_b32 s8, s4
	s_cbranch_execz .LBB257_2425
; %bb.2418:                             ;   in Loop: Header=BB257_1567 Depth=1
	v_bfrev_b32_e32 v20, 1
	v_mov_b32_e32 v21, 0
	v_cmp_ne_u16_sdwa s4, v6, v42 src0_sel:BYTE_0 src1_sel:DWORD
	s_and_saveexec_b32 s9, s4
	s_cbranch_execz .LBB257_2424
; %bb.2419:                             ;   in Loop: Header=BB257_1567 Depth=1
	v_mov_b32_e32 v20, 0x7f800001
	v_and_b32_e32 v10, 0x7f, v6
	v_mov_b32_e32 v21, 0
	s_mov_b32 s12, exec_lo
	v_cmpx_ne_u32_e32 0x7f, v10
	s_cbranch_execz .LBB257_2423
; %bb.2420:                             ;   in Loop: Header=BB257_1567 Depth=1
	v_and_b32_e32 v8, 7, v6
	v_lshrrev_b32_e32 v7, 3, v10
	s_mov_b32 s13, exec_lo
	v_cmpx_gt_u32_e32 8, v10
; %bb.2421:                             ;   in Loop: Header=BB257_1567 Depth=1
	v_ffbh_u32_e32 v7, v8
	v_min_u32_e32 v7, 32, v7
	v_subrev_nc_u32_e32 v10, 28, v7
	v_sub_nc_u32_e32 v7, 29, v7
	v_lshlrev_b64 v[20:21], v10, v[8:9]
	v_and_b32_e32 v8, 7, v20
; %bb.2422:                             ;   in Loop: Header=BB257_1567 Depth=1
	s_or_b32 exec_lo, exec_lo, s13
	v_lshlrev_b32_e32 v10, 24, v6
	v_lshlrev_b32_e32 v8, 20, v8
	v_lshl_add_u32 v7, v7, 23, 0x3c000000
	v_and_b32_e32 v10, 0x80000000, v10
	v_or3_b32 v8, v8, v10, v7
	v_mov_b32_e32 v21, v9
	v_mov_b32_e32 v20, v8
.LBB257_2423:                           ;   in Loop: Header=BB257_1567 Depth=1
	s_or_b32 exec_lo, exec_lo, s12
.LBB257_2424:                           ;   in Loop: Header=BB257_1567 Depth=1
	s_or_b32 exec_lo, exec_lo, s9
.LBB257_2425:                           ;   in Loop: Header=BB257_1567 Depth=1
	s_or_b32 exec_lo, exec_lo, s8
	v_cmp_ne_u16_sdwa s4, v6, v9 src0_sel:BYTE_1 src1_sel:DWORD
	s_and_saveexec_b32 s8, s4
	s_cbranch_execz .LBB257_2433
; %bb.2426:                             ;   in Loop: Header=BB257_1567 Depth=1
	v_mov_b32_e32 v10, v9
	v_mov_b32_e32 v23, v11
	v_cmp_ne_u16_sdwa s4, v6, v42 src0_sel:BYTE_1 src1_sel:DWORD
	v_mov_b32_e32 v22, v10
	s_and_saveexec_b32 s9, s4
	s_cbranch_execz .LBB257_2432
; %bb.2427:                             ;   in Loop: Header=BB257_1567 Depth=1
	v_mov_b32_e32 v7, 0xffff
	v_mov_b32_e32 v12, v9
	;; [unrolled: 1-line block ×3, first 2 shown]
	s_mov_b32 s12, exec_lo
	v_and_b32_sdwa v7, v7, v6 dst_sel:DWORD dst_unused:UNUSED_PAD src0_sel:DWORD src1_sel:BYTE_1
	v_mov_b32_e32 v22, v12
	v_and_b32_e32 v10, 0x7f, v7
	v_cmpx_ne_u32_e32 0x7f, v10
	s_cbranch_execz .LBB257_2431
; %bb.2428:                             ;   in Loop: Header=BB257_1567 Depth=1
	v_and_b32_e32 v8, 7, v7
	v_lshrrev_b32_e32 v7, 3, v10
	s_mov_b32 s13, exec_lo
	v_cmpx_gt_u32_e32 8, v10
; %bb.2429:                             ;   in Loop: Header=BB257_1567 Depth=1
	v_ffbh_u32_e32 v7, v8
	v_min_u32_e32 v7, 32, v7
	v_subrev_nc_u32_e32 v10, 28, v7
	v_sub_nc_u32_e32 v7, 29, v7
	v_lshlrev_b64 v[22:23], v10, v[8:9]
	v_and_b32_e32 v8, 7, v22
; %bb.2430:                             ;   in Loop: Header=BB257_1567 Depth=1
	s_or_b32 exec_lo, exec_lo, s13
	v_lshlrev_b32_e32 v10, 16, v6
	v_lshlrev_b32_e32 v8, 20, v8
	v_lshl_add_u32 v7, v7, 23, 0x3c000000
	v_mov_b32_e32 v22, v9
	v_and_b32_e32 v10, 0x80000000, v10
	v_or3_b32 v23, v8, v10, v7
.LBB257_2431:                           ;   in Loop: Header=BB257_1567 Depth=1
	s_or_b32 exec_lo, exec_lo, s12
.LBB257_2432:                           ;   in Loop: Header=BB257_1567 Depth=1
	s_or_b32 exec_lo, exec_lo, s9
.LBB257_2433:                           ;   in Loop: Header=BB257_1567 Depth=1
	s_or_b32 exec_lo, exec_lo, s8
	v_mov_b32_e32 v24, 0
	v_mov_b32_e32 v26, 0
	v_and_b32_sdwa v7, v6, v44 dst_sel:DWORD dst_unused:UNUSED_PAD src0_sel:WORD_1 src1_sel:DWORD
	v_mov_b32_e32 v25, 0
	v_mov_b32_e32 v27, 0
	s_mov_b32 s8, exec_lo
	v_cmpx_ne_u16_e32 0, v7
	s_cbranch_execz .LBB257_2441
; %bb.2434:                             ;   in Loop: Header=BB257_1567 Depth=1
	v_bfrev_b32_e32 v26, 1
	v_mov_b32_e32 v27, 0
	s_mov_b32 s9, exec_lo
	v_cmpx_ne_u16_e32 0x80, v7
	s_cbranch_execz .LBB257_2440
; %bb.2435:                             ;   in Loop: Header=BB257_1567 Depth=1
	v_mov_b32_e32 v26, 0x7f800001
	v_bfe_u32 v10, v6, 16, 7
	v_mov_b32_e32 v27, 0
	s_mov_b32 s12, exec_lo
	v_cmpx_ne_u32_e32 0x7f, v10
	s_cbranch_execz .LBB257_2439
; %bb.2436:                             ;   in Loop: Header=BB257_1567 Depth=1
	v_mov_b32_e32 v7, 7
	s_mov_b32 s13, exec_lo
	v_and_b32_sdwa v8, v6, v7 dst_sel:DWORD dst_unused:UNUSED_PAD src0_sel:WORD_1 src1_sel:DWORD
	v_lshrrev_b32_e32 v7, 3, v10
	v_cmpx_gt_u32_e32 8, v10
; %bb.2437:                             ;   in Loop: Header=BB257_1567 Depth=1
	v_ffbh_u32_e32 v7, v8
	v_min_u32_e32 v7, 32, v7
	v_subrev_nc_u32_e32 v10, 28, v7
	v_sub_nc_u32_e32 v7, 29, v7
	v_lshlrev_b64 v[26:27], v10, v[8:9]
	v_and_b32_e32 v8, 7, v26
; %bb.2438:                             ;   in Loop: Header=BB257_1567 Depth=1
	s_or_b32 exec_lo, exec_lo, s13
	v_mov_b32_e32 v10, 24
	v_lshlrev_b32_e32 v8, 20, v8
	v_lshl_add_u32 v7, v7, 23, 0x3c000000
	v_lshlrev_b32_sdwa v10, v10, v6 dst_sel:DWORD dst_unused:UNUSED_PAD src0_sel:DWORD src1_sel:WORD_1
	v_and_b32_e32 v10, 0x80000000, v10
	v_or3_b32 v8, v8, v10, v7
	v_mov_b32_e32 v27, v9
	v_mov_b32_e32 v26, v8
.LBB257_2439:                           ;   in Loop: Header=BB257_1567 Depth=1
	s_or_b32 exec_lo, exec_lo, s12
.LBB257_2440:                           ;   in Loop: Header=BB257_1567 Depth=1
	s_or_b32 exec_lo, exec_lo, s9
.LBB257_2441:                           ;   in Loop: Header=BB257_1567 Depth=1
	s_or_b32 exec_lo, exec_lo, s8
	s_mov_b32 s8, exec_lo
	v_cmpx_lt_u32_e32 0xffffff, v6
	s_cbranch_execz .LBB257_2449
; %bb.2442:                             ;   in Loop: Header=BB257_1567 Depth=1
	v_mov_b32_e32 v10, v9
	v_mov_b32_e32 v25, v11
	v_cmp_ne_u32_sdwa s4, v6, v42 src0_sel:BYTE_3 src1_sel:DWORD
	v_mov_b32_e32 v24, v10
	s_and_saveexec_b32 s9, s4
	s_cbranch_execz .LBB257_2448
; %bb.2443:                             ;   in Loop: Header=BB257_1567 Depth=1
	v_mov_b32_e32 v12, v9
	v_mov_b32_e32 v25, v13
	v_bfe_u32 v10, v6, 24, 7
	s_mov_b32 s12, exec_lo
	v_mov_b32_e32 v24, v12
	v_cmpx_ne_u32_e32 0x7f, v10
	s_cbranch_execz .LBB257_2447
; %bb.2444:                             ;   in Loop: Header=BB257_1567 Depth=1
	v_mov_b32_e32 v7, 7
	s_mov_b32 s13, exec_lo
	v_and_b32_sdwa v8, v6, v7 dst_sel:DWORD dst_unused:UNUSED_PAD src0_sel:BYTE_3 src1_sel:DWORD
	v_lshrrev_b32_e32 v7, 3, v10
	v_cmpx_gt_u32_e32 8, v10
; %bb.2445:                             ;   in Loop: Header=BB257_1567 Depth=1
	v_ffbh_u32_e32 v7, v8
	v_min_u32_e32 v7, 32, v7
	v_subrev_nc_u32_e32 v10, 28, v7
	v_sub_nc_u32_e32 v7, 29, v7
	v_lshlrev_b64 v[24:25], v10, v[8:9]
	v_and_b32_e32 v8, 7, v24
; %bb.2446:                             ;   in Loop: Header=BB257_1567 Depth=1
	s_or_b32 exec_lo, exec_lo, s13
	v_mov_b32_e32 v10, 24
	v_lshlrev_b32_e32 v8, 20, v8
	v_lshl_add_u32 v7, v7, 23, 0x3c000000
	v_mov_b32_e32 v24, v9
	v_lshlrev_b32_sdwa v6, v10, v6 dst_sel:DWORD dst_unused:UNUSED_PAD src0_sel:DWORD src1_sel:BYTE_3
	v_and_b32_e32 v6, 0x80000000, v6
	v_or3_b32 v25, v8, v6, v7
.LBB257_2447:                           ;   in Loop: Header=BB257_1567 Depth=1
	s_or_b32 exec_lo, exec_lo, s12
.LBB257_2448:                           ;   in Loop: Header=BB257_1567 Depth=1
	s_or_b32 exec_lo, exec_lo, s9
.LBB257_2449:                           ;   in Loop: Header=BB257_1567 Depth=1
	s_or_b32 exec_lo, exec_lo, s8
	v_or_b32_e32 v6, v23, v21
	v_or_b32_e32 v7, v22, v20
	;; [unrolled: 1-line block ×4, first 2 shown]
	v_mul_f32_e32 v109, v60, v6
	v_mul_f32_e32 v108, v40, v7
	;; [unrolled: 1-line block ×4, first 2 shown]
	s_and_saveexec_b32 s8, vcc_lo
	s_cbranch_execz .LBB257_2451
; %bb.2450:                             ;   in Loop: Header=BB257_1567 Depth=1
	v_cmp_lt_i32_e64 s4, v89, v78
	v_cndmask_b32_e64 v108, 0, v108, s4
	v_cmp_lt_i32_e64 s4, v91, v78
	v_cndmask_b32_e64 v109, 0, v109, s4
	v_cmp_lt_i32_e64 s4, v90, v78
	v_cndmask_b32_e64 v107, 0, v107, s4
	v_cmp_lt_i32_e64 s4, v58, v78
	v_cndmask_b32_e64 v106, 0, v106, s4
.LBB257_2451:                           ;   in Loop: Header=BB257_1567 Depth=1
	s_or_b32 exec_lo, exec_lo, s8
	flat_load_dword v6, v[18:19] offset:1280
	v_mov_b32_e32 v22, 0
	v_mov_b32_e32 v20, 0
	;; [unrolled: 1-line block ×4, first 2 shown]
	s_waitcnt vmcnt(0) lgkmcnt(0)
	v_cmp_ne_u16_sdwa s4, v6, v9 src0_sel:BYTE_0 src1_sel:DWORD
	s_and_saveexec_b32 s8, s4
	s_cbranch_execz .LBB257_2459
; %bb.2452:                             ;   in Loop: Header=BB257_1567 Depth=1
	v_bfrev_b32_e32 v20, 1
	v_mov_b32_e32 v21, 0
	v_cmp_ne_u16_sdwa s4, v6, v42 src0_sel:BYTE_0 src1_sel:DWORD
	s_and_saveexec_b32 s9, s4
	s_cbranch_execz .LBB257_2458
; %bb.2453:                             ;   in Loop: Header=BB257_1567 Depth=1
	v_mov_b32_e32 v20, 0x7f800001
	v_and_b32_e32 v10, 0x7f, v6
	v_mov_b32_e32 v21, 0
	s_mov_b32 s12, exec_lo
	v_cmpx_ne_u32_e32 0x7f, v10
	s_cbranch_execz .LBB257_2457
; %bb.2454:                             ;   in Loop: Header=BB257_1567 Depth=1
	v_and_b32_e32 v8, 7, v6
	v_lshrrev_b32_e32 v7, 3, v10
	s_mov_b32 s13, exec_lo
	v_cmpx_gt_u32_e32 8, v10
; %bb.2455:                             ;   in Loop: Header=BB257_1567 Depth=1
	v_ffbh_u32_e32 v7, v8
	v_min_u32_e32 v7, 32, v7
	v_subrev_nc_u32_e32 v10, 28, v7
	v_sub_nc_u32_e32 v7, 29, v7
	v_lshlrev_b64 v[20:21], v10, v[8:9]
	v_and_b32_e32 v8, 7, v20
; %bb.2456:                             ;   in Loop: Header=BB257_1567 Depth=1
	s_or_b32 exec_lo, exec_lo, s13
	v_lshlrev_b32_e32 v10, 24, v6
	v_lshlrev_b32_e32 v8, 20, v8
	v_lshl_add_u32 v7, v7, 23, 0x3c000000
	v_and_b32_e32 v10, 0x80000000, v10
	v_or3_b32 v8, v8, v10, v7
	v_mov_b32_e32 v21, v9
	v_mov_b32_e32 v20, v8
.LBB257_2457:                           ;   in Loop: Header=BB257_1567 Depth=1
	s_or_b32 exec_lo, exec_lo, s12
.LBB257_2458:                           ;   in Loop: Header=BB257_1567 Depth=1
	s_or_b32 exec_lo, exec_lo, s9
.LBB257_2459:                           ;   in Loop: Header=BB257_1567 Depth=1
	s_or_b32 exec_lo, exec_lo, s8
	v_cmp_ne_u16_sdwa s4, v6, v9 src0_sel:BYTE_1 src1_sel:DWORD
	s_and_saveexec_b32 s8, s4
	s_cbranch_execz .LBB257_2467
; %bb.2460:                             ;   in Loop: Header=BB257_1567 Depth=1
	v_mov_b32_e32 v10, v9
	v_mov_b32_e32 v23, v11
	v_cmp_ne_u16_sdwa s4, v6, v42 src0_sel:BYTE_1 src1_sel:DWORD
	v_mov_b32_e32 v22, v10
	s_and_saveexec_b32 s9, s4
	s_cbranch_execz .LBB257_2466
; %bb.2461:                             ;   in Loop: Header=BB257_1567 Depth=1
	v_mov_b32_e32 v7, 0xffff
	v_mov_b32_e32 v12, v9
	;; [unrolled: 1-line block ×3, first 2 shown]
	s_mov_b32 s12, exec_lo
	v_and_b32_sdwa v7, v7, v6 dst_sel:DWORD dst_unused:UNUSED_PAD src0_sel:DWORD src1_sel:BYTE_1
	v_mov_b32_e32 v22, v12
	v_and_b32_e32 v10, 0x7f, v7
	v_cmpx_ne_u32_e32 0x7f, v10
	s_cbranch_execz .LBB257_2465
; %bb.2462:                             ;   in Loop: Header=BB257_1567 Depth=1
	v_and_b32_e32 v8, 7, v7
	v_lshrrev_b32_e32 v7, 3, v10
	s_mov_b32 s13, exec_lo
	v_cmpx_gt_u32_e32 8, v10
; %bb.2463:                             ;   in Loop: Header=BB257_1567 Depth=1
	v_ffbh_u32_e32 v7, v8
	v_min_u32_e32 v7, 32, v7
	v_subrev_nc_u32_e32 v10, 28, v7
	v_sub_nc_u32_e32 v7, 29, v7
	v_lshlrev_b64 v[22:23], v10, v[8:9]
	v_and_b32_e32 v8, 7, v22
; %bb.2464:                             ;   in Loop: Header=BB257_1567 Depth=1
	s_or_b32 exec_lo, exec_lo, s13
	v_lshlrev_b32_e32 v10, 16, v6
	v_lshlrev_b32_e32 v8, 20, v8
	v_lshl_add_u32 v7, v7, 23, 0x3c000000
	v_mov_b32_e32 v22, v9
	v_and_b32_e32 v10, 0x80000000, v10
	v_or3_b32 v23, v8, v10, v7
.LBB257_2465:                           ;   in Loop: Header=BB257_1567 Depth=1
	s_or_b32 exec_lo, exec_lo, s12
.LBB257_2466:                           ;   in Loop: Header=BB257_1567 Depth=1
	s_or_b32 exec_lo, exec_lo, s9
.LBB257_2467:                           ;   in Loop: Header=BB257_1567 Depth=1
	s_or_b32 exec_lo, exec_lo, s8
	v_mov_b32_e32 v24, 0
	v_mov_b32_e32 v26, 0
	v_and_b32_sdwa v7, v6, v44 dst_sel:DWORD dst_unused:UNUSED_PAD src0_sel:WORD_1 src1_sel:DWORD
	v_mov_b32_e32 v25, 0
	v_mov_b32_e32 v27, 0
	s_mov_b32 s8, exec_lo
	v_cmpx_ne_u16_e32 0, v7
	s_cbranch_execz .LBB257_2475
; %bb.2468:                             ;   in Loop: Header=BB257_1567 Depth=1
	v_bfrev_b32_e32 v26, 1
	v_mov_b32_e32 v27, 0
	s_mov_b32 s9, exec_lo
	v_cmpx_ne_u16_e32 0x80, v7
	s_cbranch_execz .LBB257_2474
; %bb.2469:                             ;   in Loop: Header=BB257_1567 Depth=1
	v_mov_b32_e32 v26, 0x7f800001
	v_bfe_u32 v10, v6, 16, 7
	v_mov_b32_e32 v27, 0
	s_mov_b32 s12, exec_lo
	v_cmpx_ne_u32_e32 0x7f, v10
	s_cbranch_execz .LBB257_2473
; %bb.2470:                             ;   in Loop: Header=BB257_1567 Depth=1
	v_mov_b32_e32 v7, 7
	s_mov_b32 s13, exec_lo
	v_and_b32_sdwa v8, v6, v7 dst_sel:DWORD dst_unused:UNUSED_PAD src0_sel:WORD_1 src1_sel:DWORD
	v_lshrrev_b32_e32 v7, 3, v10
	v_cmpx_gt_u32_e32 8, v10
; %bb.2471:                             ;   in Loop: Header=BB257_1567 Depth=1
	v_ffbh_u32_e32 v7, v8
	v_min_u32_e32 v7, 32, v7
	v_subrev_nc_u32_e32 v10, 28, v7
	v_sub_nc_u32_e32 v7, 29, v7
	v_lshlrev_b64 v[26:27], v10, v[8:9]
	v_and_b32_e32 v8, 7, v26
; %bb.2472:                             ;   in Loop: Header=BB257_1567 Depth=1
	s_or_b32 exec_lo, exec_lo, s13
	v_mov_b32_e32 v10, 24
	v_lshlrev_b32_e32 v8, 20, v8
	v_lshl_add_u32 v7, v7, 23, 0x3c000000
	v_lshlrev_b32_sdwa v10, v10, v6 dst_sel:DWORD dst_unused:UNUSED_PAD src0_sel:DWORD src1_sel:WORD_1
	v_and_b32_e32 v10, 0x80000000, v10
	v_or3_b32 v8, v8, v10, v7
	v_mov_b32_e32 v27, v9
	v_mov_b32_e32 v26, v8
.LBB257_2473:                           ;   in Loop: Header=BB257_1567 Depth=1
	s_or_b32 exec_lo, exec_lo, s12
.LBB257_2474:                           ;   in Loop: Header=BB257_1567 Depth=1
	s_or_b32 exec_lo, exec_lo, s9
.LBB257_2475:                           ;   in Loop: Header=BB257_1567 Depth=1
	s_or_b32 exec_lo, exec_lo, s8
	s_mov_b32 s8, exec_lo
	v_cmpx_lt_u32_e32 0xffffff, v6
	s_cbranch_execz .LBB257_2483
; %bb.2476:                             ;   in Loop: Header=BB257_1567 Depth=1
	v_mov_b32_e32 v10, v9
	v_mov_b32_e32 v25, v11
	v_cmp_ne_u32_sdwa s4, v6, v42 src0_sel:BYTE_3 src1_sel:DWORD
	v_mov_b32_e32 v24, v10
	s_and_saveexec_b32 s9, s4
	s_cbranch_execz .LBB257_2482
; %bb.2477:                             ;   in Loop: Header=BB257_1567 Depth=1
	v_mov_b32_e32 v12, v9
	v_mov_b32_e32 v25, v13
	v_bfe_u32 v10, v6, 24, 7
	s_mov_b32 s12, exec_lo
	v_mov_b32_e32 v24, v12
	v_cmpx_ne_u32_e32 0x7f, v10
	s_cbranch_execz .LBB257_2481
; %bb.2478:                             ;   in Loop: Header=BB257_1567 Depth=1
	v_mov_b32_e32 v7, 7
	s_mov_b32 s13, exec_lo
	v_and_b32_sdwa v8, v6, v7 dst_sel:DWORD dst_unused:UNUSED_PAD src0_sel:BYTE_3 src1_sel:DWORD
	v_lshrrev_b32_e32 v7, 3, v10
	v_cmpx_gt_u32_e32 8, v10
; %bb.2479:                             ;   in Loop: Header=BB257_1567 Depth=1
	v_ffbh_u32_e32 v7, v8
	v_min_u32_e32 v7, 32, v7
	v_subrev_nc_u32_e32 v10, 28, v7
	v_sub_nc_u32_e32 v7, 29, v7
	v_lshlrev_b64 v[24:25], v10, v[8:9]
	v_and_b32_e32 v8, 7, v24
; %bb.2480:                             ;   in Loop: Header=BB257_1567 Depth=1
	s_or_b32 exec_lo, exec_lo, s13
	v_mov_b32_e32 v10, 24
	v_lshlrev_b32_e32 v8, 20, v8
	v_lshl_add_u32 v7, v7, 23, 0x3c000000
	v_mov_b32_e32 v24, v9
	v_lshlrev_b32_sdwa v6, v10, v6 dst_sel:DWORD dst_unused:UNUSED_PAD src0_sel:DWORD src1_sel:BYTE_3
	v_and_b32_e32 v6, 0x80000000, v6
	v_or3_b32 v25, v8, v6, v7
.LBB257_2481:                           ;   in Loop: Header=BB257_1567 Depth=1
	s_or_b32 exec_lo, exec_lo, s12
.LBB257_2482:                           ;   in Loop: Header=BB257_1567 Depth=1
	s_or_b32 exec_lo, exec_lo, s9
.LBB257_2483:                           ;   in Loop: Header=BB257_1567 Depth=1
	s_or_b32 exec_lo, exec_lo, s8
	v_or_b32_e32 v6, v23, v21
	v_or_b32_e32 v7, v22, v20
	;; [unrolled: 1-line block ×4, first 2 shown]
	v_mul_f32_e32 v121, v60, v6
	v_mul_f32_e32 v120, v40, v7
	;; [unrolled: 1-line block ×4, first 2 shown]
	s_and_saveexec_b32 s8, vcc_lo
	s_cbranch_execz .LBB257_2485
; %bb.2484:                             ;   in Loop: Header=BB257_1567 Depth=1
	v_cmp_lt_i32_e64 s4, v89, v78
	v_cndmask_b32_e64 v120, 0, v120, s4
	v_cmp_lt_i32_e64 s4, v91, v78
	v_cndmask_b32_e64 v121, 0, v121, s4
	;; [unrolled: 2-line block ×4, first 2 shown]
.LBB257_2485:                           ;   in Loop: Header=BB257_1567 Depth=1
	s_or_b32 exec_lo, exec_lo, s8
	flat_load_dword v6, v[18:19] offset:1408
	v_mov_b32_e32 v22, 0
	v_mov_b32_e32 v20, 0
	;; [unrolled: 1-line block ×4, first 2 shown]
	s_waitcnt vmcnt(0) lgkmcnt(0)
	v_cmp_ne_u16_sdwa s4, v6, v9 src0_sel:BYTE_0 src1_sel:DWORD
	s_and_saveexec_b32 s8, s4
	s_cbranch_execz .LBB257_2493
; %bb.2486:                             ;   in Loop: Header=BB257_1567 Depth=1
	v_bfrev_b32_e32 v20, 1
	v_mov_b32_e32 v21, 0
	v_cmp_ne_u16_sdwa s4, v6, v42 src0_sel:BYTE_0 src1_sel:DWORD
	s_and_saveexec_b32 s9, s4
	s_cbranch_execz .LBB257_2492
; %bb.2487:                             ;   in Loop: Header=BB257_1567 Depth=1
	v_mov_b32_e32 v20, 0x7f800001
	v_and_b32_e32 v10, 0x7f, v6
	v_mov_b32_e32 v21, 0
	s_mov_b32 s12, exec_lo
	v_cmpx_ne_u32_e32 0x7f, v10
	s_cbranch_execz .LBB257_2491
; %bb.2488:                             ;   in Loop: Header=BB257_1567 Depth=1
	v_and_b32_e32 v8, 7, v6
	v_lshrrev_b32_e32 v7, 3, v10
	s_mov_b32 s13, exec_lo
	v_cmpx_gt_u32_e32 8, v10
; %bb.2489:                             ;   in Loop: Header=BB257_1567 Depth=1
	v_ffbh_u32_e32 v7, v8
	v_min_u32_e32 v7, 32, v7
	v_subrev_nc_u32_e32 v10, 28, v7
	v_sub_nc_u32_e32 v7, 29, v7
	v_lshlrev_b64 v[20:21], v10, v[8:9]
	v_and_b32_e32 v8, 7, v20
; %bb.2490:                             ;   in Loop: Header=BB257_1567 Depth=1
	s_or_b32 exec_lo, exec_lo, s13
	v_lshlrev_b32_e32 v10, 24, v6
	v_lshlrev_b32_e32 v8, 20, v8
	v_lshl_add_u32 v7, v7, 23, 0x3c000000
	v_and_b32_e32 v10, 0x80000000, v10
	v_or3_b32 v8, v8, v10, v7
	v_mov_b32_e32 v21, v9
	v_mov_b32_e32 v20, v8
.LBB257_2491:                           ;   in Loop: Header=BB257_1567 Depth=1
	s_or_b32 exec_lo, exec_lo, s12
.LBB257_2492:                           ;   in Loop: Header=BB257_1567 Depth=1
	s_or_b32 exec_lo, exec_lo, s9
.LBB257_2493:                           ;   in Loop: Header=BB257_1567 Depth=1
	s_or_b32 exec_lo, exec_lo, s8
	v_cmp_ne_u16_sdwa s4, v6, v9 src0_sel:BYTE_1 src1_sel:DWORD
	s_and_saveexec_b32 s8, s4
	s_cbranch_execz .LBB257_2501
; %bb.2494:                             ;   in Loop: Header=BB257_1567 Depth=1
	v_mov_b32_e32 v10, v9
	v_mov_b32_e32 v23, v11
	v_cmp_ne_u16_sdwa s4, v6, v42 src0_sel:BYTE_1 src1_sel:DWORD
	v_mov_b32_e32 v22, v10
	s_and_saveexec_b32 s9, s4
	s_cbranch_execz .LBB257_2500
; %bb.2495:                             ;   in Loop: Header=BB257_1567 Depth=1
	v_mov_b32_e32 v7, 0xffff
	v_mov_b32_e32 v12, v9
	;; [unrolled: 1-line block ×3, first 2 shown]
	s_mov_b32 s12, exec_lo
	v_and_b32_sdwa v7, v7, v6 dst_sel:DWORD dst_unused:UNUSED_PAD src0_sel:DWORD src1_sel:BYTE_1
	v_mov_b32_e32 v22, v12
	v_and_b32_e32 v10, 0x7f, v7
	v_cmpx_ne_u32_e32 0x7f, v10
	s_cbranch_execz .LBB257_2499
; %bb.2496:                             ;   in Loop: Header=BB257_1567 Depth=1
	v_and_b32_e32 v8, 7, v7
	v_lshrrev_b32_e32 v7, 3, v10
	s_mov_b32 s13, exec_lo
	v_cmpx_gt_u32_e32 8, v10
; %bb.2497:                             ;   in Loop: Header=BB257_1567 Depth=1
	v_ffbh_u32_e32 v7, v8
	v_min_u32_e32 v7, 32, v7
	v_subrev_nc_u32_e32 v10, 28, v7
	v_sub_nc_u32_e32 v7, 29, v7
	v_lshlrev_b64 v[22:23], v10, v[8:9]
	v_and_b32_e32 v8, 7, v22
; %bb.2498:                             ;   in Loop: Header=BB257_1567 Depth=1
	s_or_b32 exec_lo, exec_lo, s13
	v_lshlrev_b32_e32 v10, 16, v6
	v_lshlrev_b32_e32 v8, 20, v8
	v_lshl_add_u32 v7, v7, 23, 0x3c000000
	v_mov_b32_e32 v22, v9
	v_and_b32_e32 v10, 0x80000000, v10
	v_or3_b32 v23, v8, v10, v7
.LBB257_2499:                           ;   in Loop: Header=BB257_1567 Depth=1
	s_or_b32 exec_lo, exec_lo, s12
.LBB257_2500:                           ;   in Loop: Header=BB257_1567 Depth=1
	s_or_b32 exec_lo, exec_lo, s9
.LBB257_2501:                           ;   in Loop: Header=BB257_1567 Depth=1
	s_or_b32 exec_lo, exec_lo, s8
	v_mov_b32_e32 v24, 0
	v_mov_b32_e32 v26, 0
	v_and_b32_sdwa v7, v6, v44 dst_sel:DWORD dst_unused:UNUSED_PAD src0_sel:WORD_1 src1_sel:DWORD
	v_mov_b32_e32 v25, 0
	v_mov_b32_e32 v27, 0
	s_mov_b32 s8, exec_lo
	v_cmpx_ne_u16_e32 0, v7
	s_cbranch_execz .LBB257_2509
; %bb.2502:                             ;   in Loop: Header=BB257_1567 Depth=1
	v_bfrev_b32_e32 v26, 1
	v_mov_b32_e32 v27, 0
	s_mov_b32 s9, exec_lo
	v_cmpx_ne_u16_e32 0x80, v7
	s_cbranch_execz .LBB257_2508
; %bb.2503:                             ;   in Loop: Header=BB257_1567 Depth=1
	v_mov_b32_e32 v26, 0x7f800001
	v_bfe_u32 v10, v6, 16, 7
	v_mov_b32_e32 v27, 0
	s_mov_b32 s12, exec_lo
	v_cmpx_ne_u32_e32 0x7f, v10
	s_cbranch_execz .LBB257_2507
; %bb.2504:                             ;   in Loop: Header=BB257_1567 Depth=1
	v_mov_b32_e32 v7, 7
	s_mov_b32 s13, exec_lo
	v_and_b32_sdwa v8, v6, v7 dst_sel:DWORD dst_unused:UNUSED_PAD src0_sel:WORD_1 src1_sel:DWORD
	v_lshrrev_b32_e32 v7, 3, v10
	v_cmpx_gt_u32_e32 8, v10
; %bb.2505:                             ;   in Loop: Header=BB257_1567 Depth=1
	v_ffbh_u32_e32 v7, v8
	v_min_u32_e32 v7, 32, v7
	v_subrev_nc_u32_e32 v10, 28, v7
	v_sub_nc_u32_e32 v7, 29, v7
	v_lshlrev_b64 v[26:27], v10, v[8:9]
	v_and_b32_e32 v8, 7, v26
; %bb.2506:                             ;   in Loop: Header=BB257_1567 Depth=1
	s_or_b32 exec_lo, exec_lo, s13
	v_mov_b32_e32 v10, 24
	v_lshlrev_b32_e32 v8, 20, v8
	v_lshl_add_u32 v7, v7, 23, 0x3c000000
	v_lshlrev_b32_sdwa v10, v10, v6 dst_sel:DWORD dst_unused:UNUSED_PAD src0_sel:DWORD src1_sel:WORD_1
	v_and_b32_e32 v10, 0x80000000, v10
	v_or3_b32 v8, v8, v10, v7
	v_mov_b32_e32 v27, v9
	v_mov_b32_e32 v26, v8
.LBB257_2507:                           ;   in Loop: Header=BB257_1567 Depth=1
	s_or_b32 exec_lo, exec_lo, s12
.LBB257_2508:                           ;   in Loop: Header=BB257_1567 Depth=1
	s_or_b32 exec_lo, exec_lo, s9
.LBB257_2509:                           ;   in Loop: Header=BB257_1567 Depth=1
	s_or_b32 exec_lo, exec_lo, s8
	s_mov_b32 s8, exec_lo
	v_cmpx_lt_u32_e32 0xffffff, v6
	s_cbranch_execz .LBB257_2517
; %bb.2510:                             ;   in Loop: Header=BB257_1567 Depth=1
	v_mov_b32_e32 v10, v9
	v_mov_b32_e32 v25, v11
	v_cmp_ne_u32_sdwa s4, v6, v42 src0_sel:BYTE_3 src1_sel:DWORD
	v_mov_b32_e32 v24, v10
	s_and_saveexec_b32 s9, s4
	s_cbranch_execz .LBB257_2516
; %bb.2511:                             ;   in Loop: Header=BB257_1567 Depth=1
	v_mov_b32_e32 v12, v9
	v_mov_b32_e32 v25, v13
	v_bfe_u32 v10, v6, 24, 7
	s_mov_b32 s12, exec_lo
	v_mov_b32_e32 v24, v12
	v_cmpx_ne_u32_e32 0x7f, v10
	s_cbranch_execz .LBB257_2515
; %bb.2512:                             ;   in Loop: Header=BB257_1567 Depth=1
	v_mov_b32_e32 v7, 7
	s_mov_b32 s13, exec_lo
	v_and_b32_sdwa v8, v6, v7 dst_sel:DWORD dst_unused:UNUSED_PAD src0_sel:BYTE_3 src1_sel:DWORD
	v_lshrrev_b32_e32 v7, 3, v10
	v_cmpx_gt_u32_e32 8, v10
; %bb.2513:                             ;   in Loop: Header=BB257_1567 Depth=1
	v_ffbh_u32_e32 v7, v8
	v_min_u32_e32 v7, 32, v7
	v_subrev_nc_u32_e32 v10, 28, v7
	v_sub_nc_u32_e32 v7, 29, v7
	v_lshlrev_b64 v[24:25], v10, v[8:9]
	v_and_b32_e32 v8, 7, v24
; %bb.2514:                             ;   in Loop: Header=BB257_1567 Depth=1
	s_or_b32 exec_lo, exec_lo, s13
	v_mov_b32_e32 v10, 24
	v_lshlrev_b32_e32 v8, 20, v8
	v_lshl_add_u32 v7, v7, 23, 0x3c000000
	v_mov_b32_e32 v24, v9
	v_lshlrev_b32_sdwa v6, v10, v6 dst_sel:DWORD dst_unused:UNUSED_PAD src0_sel:DWORD src1_sel:BYTE_3
	v_and_b32_e32 v6, 0x80000000, v6
	v_or3_b32 v25, v8, v6, v7
.LBB257_2515:                           ;   in Loop: Header=BB257_1567 Depth=1
	s_or_b32 exec_lo, exec_lo, s12
.LBB257_2516:                           ;   in Loop: Header=BB257_1567 Depth=1
	s_or_b32 exec_lo, exec_lo, s9
.LBB257_2517:                           ;   in Loop: Header=BB257_1567 Depth=1
	s_or_b32 exec_lo, exec_lo, s8
	v_or_b32_e32 v6, v23, v21
	v_or_b32_e32 v7, v22, v20
	;; [unrolled: 1-line block ×4, first 2 shown]
	v_mul_f32_e32 v124, v60, v6
	v_mul_f32_e32 v47, v40, v7
	;; [unrolled: 1-line block ×4, first 2 shown]
	s_and_saveexec_b32 s8, vcc_lo
	s_cbranch_execz .LBB257_2519
; %bb.2518:                             ;   in Loop: Header=BB257_1567 Depth=1
	v_cmp_lt_i32_e64 s4, v89, v78
	v_cndmask_b32_e64 v47, 0, v47, s4
	v_cmp_lt_i32_e64 s4, v91, v78
	v_cndmask_b32_e64 v124, 0, v124, s4
	;; [unrolled: 2-line block ×4, first 2 shown]
.LBB257_2519:                           ;   in Loop: Header=BB257_1567 Depth=1
	s_or_b32 exec_lo, exec_lo, s8
	flat_load_dword v6, v[18:19] offset:1536
	v_mov_b32_e32 v22, 0
	v_mov_b32_e32 v20, 0
	v_mov_b32_e32 v23, 0
	v_mov_b32_e32 v21, 0
	s_waitcnt vmcnt(0) lgkmcnt(0)
	v_cmp_ne_u16_sdwa s4, v6, v9 src0_sel:BYTE_0 src1_sel:DWORD
	s_and_saveexec_b32 s8, s4
	s_cbranch_execz .LBB257_2527
; %bb.2520:                             ;   in Loop: Header=BB257_1567 Depth=1
	v_bfrev_b32_e32 v20, 1
	v_mov_b32_e32 v21, 0
	v_cmp_ne_u16_sdwa s4, v6, v42 src0_sel:BYTE_0 src1_sel:DWORD
	s_and_saveexec_b32 s9, s4
	s_cbranch_execz .LBB257_2526
; %bb.2521:                             ;   in Loop: Header=BB257_1567 Depth=1
	v_mov_b32_e32 v20, 0x7f800001
	v_and_b32_e32 v10, 0x7f, v6
	v_mov_b32_e32 v21, 0
	s_mov_b32 s12, exec_lo
	v_cmpx_ne_u32_e32 0x7f, v10
	s_cbranch_execz .LBB257_2525
; %bb.2522:                             ;   in Loop: Header=BB257_1567 Depth=1
	v_and_b32_e32 v8, 7, v6
	v_lshrrev_b32_e32 v7, 3, v10
	s_mov_b32 s13, exec_lo
	v_cmpx_gt_u32_e32 8, v10
; %bb.2523:                             ;   in Loop: Header=BB257_1567 Depth=1
	v_ffbh_u32_e32 v7, v8
	v_min_u32_e32 v7, 32, v7
	v_subrev_nc_u32_e32 v10, 28, v7
	v_sub_nc_u32_e32 v7, 29, v7
	v_lshlrev_b64 v[20:21], v10, v[8:9]
	v_and_b32_e32 v8, 7, v20
; %bb.2524:                             ;   in Loop: Header=BB257_1567 Depth=1
	s_or_b32 exec_lo, exec_lo, s13
	v_lshlrev_b32_e32 v10, 24, v6
	v_lshlrev_b32_e32 v8, 20, v8
	v_lshl_add_u32 v7, v7, 23, 0x3c000000
	v_and_b32_e32 v10, 0x80000000, v10
	v_or3_b32 v8, v8, v10, v7
	v_mov_b32_e32 v21, v9
	v_mov_b32_e32 v20, v8
.LBB257_2525:                           ;   in Loop: Header=BB257_1567 Depth=1
	s_or_b32 exec_lo, exec_lo, s12
.LBB257_2526:                           ;   in Loop: Header=BB257_1567 Depth=1
	s_or_b32 exec_lo, exec_lo, s9
.LBB257_2527:                           ;   in Loop: Header=BB257_1567 Depth=1
	s_or_b32 exec_lo, exec_lo, s8
	v_cmp_ne_u16_sdwa s4, v6, v9 src0_sel:BYTE_1 src1_sel:DWORD
	s_and_saveexec_b32 s8, s4
	s_cbranch_execz .LBB257_2535
; %bb.2528:                             ;   in Loop: Header=BB257_1567 Depth=1
	v_mov_b32_e32 v10, v9
	v_mov_b32_e32 v23, v11
	v_cmp_ne_u16_sdwa s4, v6, v42 src0_sel:BYTE_1 src1_sel:DWORD
	v_mov_b32_e32 v22, v10
	s_and_saveexec_b32 s9, s4
	s_cbranch_execz .LBB257_2534
; %bb.2529:                             ;   in Loop: Header=BB257_1567 Depth=1
	v_mov_b32_e32 v7, 0xffff
	v_mov_b32_e32 v12, v9
	;; [unrolled: 1-line block ×3, first 2 shown]
	s_mov_b32 s12, exec_lo
	v_and_b32_sdwa v7, v7, v6 dst_sel:DWORD dst_unused:UNUSED_PAD src0_sel:DWORD src1_sel:BYTE_1
	v_mov_b32_e32 v22, v12
	v_and_b32_e32 v10, 0x7f, v7
	v_cmpx_ne_u32_e32 0x7f, v10
	s_cbranch_execz .LBB257_2533
; %bb.2530:                             ;   in Loop: Header=BB257_1567 Depth=1
	v_and_b32_e32 v8, 7, v7
	v_lshrrev_b32_e32 v7, 3, v10
	s_mov_b32 s13, exec_lo
	v_cmpx_gt_u32_e32 8, v10
; %bb.2531:                             ;   in Loop: Header=BB257_1567 Depth=1
	v_ffbh_u32_e32 v7, v8
	v_min_u32_e32 v7, 32, v7
	v_subrev_nc_u32_e32 v10, 28, v7
	v_sub_nc_u32_e32 v7, 29, v7
	v_lshlrev_b64 v[22:23], v10, v[8:9]
	v_and_b32_e32 v8, 7, v22
; %bb.2532:                             ;   in Loop: Header=BB257_1567 Depth=1
	s_or_b32 exec_lo, exec_lo, s13
	v_lshlrev_b32_e32 v10, 16, v6
	v_lshlrev_b32_e32 v8, 20, v8
	v_lshl_add_u32 v7, v7, 23, 0x3c000000
	v_mov_b32_e32 v22, v9
	v_and_b32_e32 v10, 0x80000000, v10
	v_or3_b32 v23, v8, v10, v7
.LBB257_2533:                           ;   in Loop: Header=BB257_1567 Depth=1
	s_or_b32 exec_lo, exec_lo, s12
.LBB257_2534:                           ;   in Loop: Header=BB257_1567 Depth=1
	s_or_b32 exec_lo, exec_lo, s9
.LBB257_2535:                           ;   in Loop: Header=BB257_1567 Depth=1
	s_or_b32 exec_lo, exec_lo, s8
	v_mov_b32_e32 v24, 0
	v_mov_b32_e32 v26, 0
	v_and_b32_sdwa v7, v6, v44 dst_sel:DWORD dst_unused:UNUSED_PAD src0_sel:WORD_1 src1_sel:DWORD
	v_mov_b32_e32 v25, 0
	v_mov_b32_e32 v27, 0
	s_mov_b32 s8, exec_lo
	v_cmpx_ne_u16_e32 0, v7
	s_cbranch_execz .LBB257_2543
; %bb.2536:                             ;   in Loop: Header=BB257_1567 Depth=1
	v_bfrev_b32_e32 v26, 1
	v_mov_b32_e32 v27, 0
	s_mov_b32 s9, exec_lo
	v_cmpx_ne_u16_e32 0x80, v7
	s_cbranch_execz .LBB257_2542
; %bb.2537:                             ;   in Loop: Header=BB257_1567 Depth=1
	v_mov_b32_e32 v26, 0x7f800001
	v_bfe_u32 v10, v6, 16, 7
	v_mov_b32_e32 v27, 0
	s_mov_b32 s12, exec_lo
	v_cmpx_ne_u32_e32 0x7f, v10
	s_cbranch_execz .LBB257_2541
; %bb.2538:                             ;   in Loop: Header=BB257_1567 Depth=1
	v_mov_b32_e32 v7, 7
	s_mov_b32 s13, exec_lo
	v_and_b32_sdwa v8, v6, v7 dst_sel:DWORD dst_unused:UNUSED_PAD src0_sel:WORD_1 src1_sel:DWORD
	v_lshrrev_b32_e32 v7, 3, v10
	v_cmpx_gt_u32_e32 8, v10
; %bb.2539:                             ;   in Loop: Header=BB257_1567 Depth=1
	v_ffbh_u32_e32 v7, v8
	v_min_u32_e32 v7, 32, v7
	v_subrev_nc_u32_e32 v10, 28, v7
	v_sub_nc_u32_e32 v7, 29, v7
	v_lshlrev_b64 v[26:27], v10, v[8:9]
	v_and_b32_e32 v8, 7, v26
; %bb.2540:                             ;   in Loop: Header=BB257_1567 Depth=1
	s_or_b32 exec_lo, exec_lo, s13
	v_mov_b32_e32 v10, 24
	v_lshlrev_b32_e32 v8, 20, v8
	v_lshl_add_u32 v7, v7, 23, 0x3c000000
	v_lshlrev_b32_sdwa v10, v10, v6 dst_sel:DWORD dst_unused:UNUSED_PAD src0_sel:DWORD src1_sel:WORD_1
	v_and_b32_e32 v10, 0x80000000, v10
	v_or3_b32 v8, v8, v10, v7
	v_mov_b32_e32 v27, v9
	v_mov_b32_e32 v26, v8
.LBB257_2541:                           ;   in Loop: Header=BB257_1567 Depth=1
	s_or_b32 exec_lo, exec_lo, s12
.LBB257_2542:                           ;   in Loop: Header=BB257_1567 Depth=1
	s_or_b32 exec_lo, exec_lo, s9
.LBB257_2543:                           ;   in Loop: Header=BB257_1567 Depth=1
	s_or_b32 exec_lo, exec_lo, s8
	s_mov_b32 s8, exec_lo
	v_cmpx_lt_u32_e32 0xffffff, v6
	s_cbranch_execz .LBB257_2551
; %bb.2544:                             ;   in Loop: Header=BB257_1567 Depth=1
	v_mov_b32_e32 v10, v9
	v_mov_b32_e32 v25, v11
	v_cmp_ne_u32_sdwa s4, v6, v42 src0_sel:BYTE_3 src1_sel:DWORD
	v_mov_b32_e32 v24, v10
	s_and_saveexec_b32 s9, s4
	s_cbranch_execz .LBB257_2550
; %bb.2545:                             ;   in Loop: Header=BB257_1567 Depth=1
	v_mov_b32_e32 v12, v9
	v_mov_b32_e32 v25, v13
	v_bfe_u32 v10, v6, 24, 7
	s_mov_b32 s12, exec_lo
	v_mov_b32_e32 v24, v12
	v_cmpx_ne_u32_e32 0x7f, v10
	s_cbranch_execz .LBB257_2549
; %bb.2546:                             ;   in Loop: Header=BB257_1567 Depth=1
	v_mov_b32_e32 v7, 7
	s_mov_b32 s13, exec_lo
	v_and_b32_sdwa v8, v6, v7 dst_sel:DWORD dst_unused:UNUSED_PAD src0_sel:BYTE_3 src1_sel:DWORD
	v_lshrrev_b32_e32 v7, 3, v10
	v_cmpx_gt_u32_e32 8, v10
; %bb.2547:                             ;   in Loop: Header=BB257_1567 Depth=1
	v_ffbh_u32_e32 v7, v8
	v_min_u32_e32 v7, 32, v7
	v_subrev_nc_u32_e32 v10, 28, v7
	v_sub_nc_u32_e32 v7, 29, v7
	v_lshlrev_b64 v[24:25], v10, v[8:9]
	v_and_b32_e32 v8, 7, v24
; %bb.2548:                             ;   in Loop: Header=BB257_1567 Depth=1
	s_or_b32 exec_lo, exec_lo, s13
	v_mov_b32_e32 v10, 24
	v_lshlrev_b32_e32 v8, 20, v8
	v_lshl_add_u32 v7, v7, 23, 0x3c000000
	v_mov_b32_e32 v24, v9
	v_lshlrev_b32_sdwa v6, v10, v6 dst_sel:DWORD dst_unused:UNUSED_PAD src0_sel:DWORD src1_sel:BYTE_3
	v_and_b32_e32 v6, 0x80000000, v6
	v_or3_b32 v25, v8, v6, v7
.LBB257_2549:                           ;   in Loop: Header=BB257_1567 Depth=1
	s_or_b32 exec_lo, exec_lo, s12
.LBB257_2550:                           ;   in Loop: Header=BB257_1567 Depth=1
	s_or_b32 exec_lo, exec_lo, s9
.LBB257_2551:                           ;   in Loop: Header=BB257_1567 Depth=1
	s_or_b32 exec_lo, exec_lo, s8
	v_or_b32_e32 v6, v23, v21
	v_or_b32_e32 v7, v22, v20
	;; [unrolled: 1-line block ×4, first 2 shown]
	v_mul_f32_e32 v41, v60, v6
	v_mul_f32_e32 v127, v40, v7
	;; [unrolled: 1-line block ×4, first 2 shown]
	s_and_saveexec_b32 s8, vcc_lo
	s_cbranch_execz .LBB257_2553
; %bb.2552:                             ;   in Loop: Header=BB257_1567 Depth=1
	v_cmp_lt_i32_e64 s4, v89, v78
	v_cndmask_b32_e64 v127, 0, v127, s4
	v_cmp_lt_i32_e64 s4, v91, v78
	v_cndmask_b32_e64 v41, 0, v41, s4
	;; [unrolled: 2-line block ×4, first 2 shown]
.LBB257_2553:                           ;   in Loop: Header=BB257_1567 Depth=1
	s_or_b32 exec_lo, exec_lo, s8
	flat_load_dword v6, v[18:19] offset:1664
	v_mov_b32_e32 v22, 0
	v_mov_b32_e32 v20, 0
	;; [unrolled: 1-line block ×4, first 2 shown]
	s_waitcnt vmcnt(0) lgkmcnt(0)
	v_cmp_ne_u16_sdwa s4, v6, v9 src0_sel:BYTE_0 src1_sel:DWORD
	s_and_saveexec_b32 s8, s4
	s_cbranch_execz .LBB257_2561
; %bb.2554:                             ;   in Loop: Header=BB257_1567 Depth=1
	v_bfrev_b32_e32 v20, 1
	v_mov_b32_e32 v21, 0
	v_cmp_ne_u16_sdwa s4, v6, v42 src0_sel:BYTE_0 src1_sel:DWORD
	s_and_saveexec_b32 s9, s4
	s_cbranch_execz .LBB257_2560
; %bb.2555:                             ;   in Loop: Header=BB257_1567 Depth=1
	v_mov_b32_e32 v20, 0x7f800001
	v_and_b32_e32 v10, 0x7f, v6
	v_mov_b32_e32 v21, 0
	s_mov_b32 s12, exec_lo
	v_cmpx_ne_u32_e32 0x7f, v10
	s_cbranch_execz .LBB257_2559
; %bb.2556:                             ;   in Loop: Header=BB257_1567 Depth=1
	v_and_b32_e32 v8, 7, v6
	v_lshrrev_b32_e32 v7, 3, v10
	s_mov_b32 s13, exec_lo
	v_cmpx_gt_u32_e32 8, v10
; %bb.2557:                             ;   in Loop: Header=BB257_1567 Depth=1
	v_ffbh_u32_e32 v7, v8
	v_min_u32_e32 v7, 32, v7
	v_subrev_nc_u32_e32 v10, 28, v7
	v_sub_nc_u32_e32 v7, 29, v7
	v_lshlrev_b64 v[20:21], v10, v[8:9]
	v_and_b32_e32 v8, 7, v20
; %bb.2558:                             ;   in Loop: Header=BB257_1567 Depth=1
	s_or_b32 exec_lo, exec_lo, s13
	v_lshlrev_b32_e32 v10, 24, v6
	v_lshlrev_b32_e32 v8, 20, v8
	v_lshl_add_u32 v7, v7, 23, 0x3c000000
	v_and_b32_e32 v10, 0x80000000, v10
	v_or3_b32 v8, v8, v10, v7
	v_mov_b32_e32 v21, v9
	v_mov_b32_e32 v20, v8
.LBB257_2559:                           ;   in Loop: Header=BB257_1567 Depth=1
	s_or_b32 exec_lo, exec_lo, s12
.LBB257_2560:                           ;   in Loop: Header=BB257_1567 Depth=1
	s_or_b32 exec_lo, exec_lo, s9
.LBB257_2561:                           ;   in Loop: Header=BB257_1567 Depth=1
	s_or_b32 exec_lo, exec_lo, s8
	v_cmp_ne_u16_sdwa s4, v6, v9 src0_sel:BYTE_1 src1_sel:DWORD
	s_and_saveexec_b32 s8, s4
	s_cbranch_execz .LBB257_2569
; %bb.2562:                             ;   in Loop: Header=BB257_1567 Depth=1
	v_mov_b32_e32 v10, v9
	v_mov_b32_e32 v23, v11
	v_cmp_ne_u16_sdwa s4, v6, v42 src0_sel:BYTE_1 src1_sel:DWORD
	v_mov_b32_e32 v22, v10
	s_and_saveexec_b32 s9, s4
	s_cbranch_execz .LBB257_2568
; %bb.2563:                             ;   in Loop: Header=BB257_1567 Depth=1
	v_mov_b32_e32 v7, 0xffff
	v_mov_b32_e32 v12, v9
	;; [unrolled: 1-line block ×3, first 2 shown]
	s_mov_b32 s12, exec_lo
	v_and_b32_sdwa v7, v7, v6 dst_sel:DWORD dst_unused:UNUSED_PAD src0_sel:DWORD src1_sel:BYTE_1
	v_mov_b32_e32 v22, v12
	v_and_b32_e32 v10, 0x7f, v7
	v_cmpx_ne_u32_e32 0x7f, v10
	s_cbranch_execz .LBB257_2567
; %bb.2564:                             ;   in Loop: Header=BB257_1567 Depth=1
	v_and_b32_e32 v8, 7, v7
	v_lshrrev_b32_e32 v7, 3, v10
	s_mov_b32 s13, exec_lo
	v_cmpx_gt_u32_e32 8, v10
; %bb.2565:                             ;   in Loop: Header=BB257_1567 Depth=1
	v_ffbh_u32_e32 v7, v8
	v_min_u32_e32 v7, 32, v7
	v_subrev_nc_u32_e32 v10, 28, v7
	v_sub_nc_u32_e32 v7, 29, v7
	v_lshlrev_b64 v[22:23], v10, v[8:9]
	v_and_b32_e32 v8, 7, v22
; %bb.2566:                             ;   in Loop: Header=BB257_1567 Depth=1
	s_or_b32 exec_lo, exec_lo, s13
	v_lshlrev_b32_e32 v10, 16, v6
	v_lshlrev_b32_e32 v8, 20, v8
	v_lshl_add_u32 v7, v7, 23, 0x3c000000
	v_mov_b32_e32 v22, v9
	v_and_b32_e32 v10, 0x80000000, v10
	v_or3_b32 v23, v8, v10, v7
.LBB257_2567:                           ;   in Loop: Header=BB257_1567 Depth=1
	s_or_b32 exec_lo, exec_lo, s12
.LBB257_2568:                           ;   in Loop: Header=BB257_1567 Depth=1
	s_or_b32 exec_lo, exec_lo, s9
.LBB257_2569:                           ;   in Loop: Header=BB257_1567 Depth=1
	s_or_b32 exec_lo, exec_lo, s8
	v_mov_b32_e32 v24, 0
	v_mov_b32_e32 v26, 0
	v_and_b32_sdwa v7, v6, v44 dst_sel:DWORD dst_unused:UNUSED_PAD src0_sel:WORD_1 src1_sel:DWORD
	v_mov_b32_e32 v25, 0
	v_mov_b32_e32 v27, 0
	s_mov_b32 s8, exec_lo
	v_cmpx_ne_u16_e32 0, v7
	s_cbranch_execz .LBB257_2577
; %bb.2570:                             ;   in Loop: Header=BB257_1567 Depth=1
	v_bfrev_b32_e32 v26, 1
	v_mov_b32_e32 v27, 0
	s_mov_b32 s9, exec_lo
	v_cmpx_ne_u16_e32 0x80, v7
	s_cbranch_execz .LBB257_2576
; %bb.2571:                             ;   in Loop: Header=BB257_1567 Depth=1
	v_mov_b32_e32 v26, 0x7f800001
	v_bfe_u32 v10, v6, 16, 7
	v_mov_b32_e32 v27, 0
	s_mov_b32 s12, exec_lo
	v_cmpx_ne_u32_e32 0x7f, v10
	s_cbranch_execz .LBB257_2575
; %bb.2572:                             ;   in Loop: Header=BB257_1567 Depth=1
	v_mov_b32_e32 v7, 7
	s_mov_b32 s13, exec_lo
	v_and_b32_sdwa v8, v6, v7 dst_sel:DWORD dst_unused:UNUSED_PAD src0_sel:WORD_1 src1_sel:DWORD
	v_lshrrev_b32_e32 v7, 3, v10
	v_cmpx_gt_u32_e32 8, v10
; %bb.2573:                             ;   in Loop: Header=BB257_1567 Depth=1
	v_ffbh_u32_e32 v7, v8
	v_min_u32_e32 v7, 32, v7
	v_subrev_nc_u32_e32 v10, 28, v7
	v_sub_nc_u32_e32 v7, 29, v7
	v_lshlrev_b64 v[26:27], v10, v[8:9]
	v_and_b32_e32 v8, 7, v26
; %bb.2574:                             ;   in Loop: Header=BB257_1567 Depth=1
	s_or_b32 exec_lo, exec_lo, s13
	v_mov_b32_e32 v10, 24
	v_lshlrev_b32_e32 v8, 20, v8
	v_lshl_add_u32 v7, v7, 23, 0x3c000000
	v_lshlrev_b32_sdwa v10, v10, v6 dst_sel:DWORD dst_unused:UNUSED_PAD src0_sel:DWORD src1_sel:WORD_1
	v_and_b32_e32 v10, 0x80000000, v10
	v_or3_b32 v8, v8, v10, v7
	v_mov_b32_e32 v27, v9
	v_mov_b32_e32 v26, v8
.LBB257_2575:                           ;   in Loop: Header=BB257_1567 Depth=1
	s_or_b32 exec_lo, exec_lo, s12
.LBB257_2576:                           ;   in Loop: Header=BB257_1567 Depth=1
	s_or_b32 exec_lo, exec_lo, s9
.LBB257_2577:                           ;   in Loop: Header=BB257_1567 Depth=1
	s_or_b32 exec_lo, exec_lo, s8
	s_mov_b32 s8, exec_lo
	v_cmpx_lt_u32_e32 0xffffff, v6
	s_cbranch_execz .LBB257_2585
; %bb.2578:                             ;   in Loop: Header=BB257_1567 Depth=1
	v_mov_b32_e32 v10, v9
	v_mov_b32_e32 v25, v11
	v_cmp_ne_u32_sdwa s4, v6, v42 src0_sel:BYTE_3 src1_sel:DWORD
	v_mov_b32_e32 v24, v10
	s_and_saveexec_b32 s9, s4
	s_cbranch_execz .LBB257_2584
; %bb.2579:                             ;   in Loop: Header=BB257_1567 Depth=1
	v_mov_b32_e32 v12, v9
	v_mov_b32_e32 v25, v13
	v_bfe_u32 v10, v6, 24, 7
	s_mov_b32 s12, exec_lo
	v_mov_b32_e32 v24, v12
	v_cmpx_ne_u32_e32 0x7f, v10
	s_cbranch_execz .LBB257_2583
; %bb.2580:                             ;   in Loop: Header=BB257_1567 Depth=1
	v_mov_b32_e32 v7, 7
	s_mov_b32 s13, exec_lo
	v_and_b32_sdwa v8, v6, v7 dst_sel:DWORD dst_unused:UNUSED_PAD src0_sel:BYTE_3 src1_sel:DWORD
	v_lshrrev_b32_e32 v7, 3, v10
	v_cmpx_gt_u32_e32 8, v10
; %bb.2581:                             ;   in Loop: Header=BB257_1567 Depth=1
	v_ffbh_u32_e32 v7, v8
	v_min_u32_e32 v7, 32, v7
	v_subrev_nc_u32_e32 v10, 28, v7
	v_sub_nc_u32_e32 v7, 29, v7
	v_lshlrev_b64 v[24:25], v10, v[8:9]
	v_and_b32_e32 v8, 7, v24
; %bb.2582:                             ;   in Loop: Header=BB257_1567 Depth=1
	s_or_b32 exec_lo, exec_lo, s13
	v_mov_b32_e32 v10, 24
	v_lshlrev_b32_e32 v8, 20, v8
	v_lshl_add_u32 v7, v7, 23, 0x3c000000
	v_mov_b32_e32 v24, v9
	v_lshlrev_b32_sdwa v6, v10, v6 dst_sel:DWORD dst_unused:UNUSED_PAD src0_sel:DWORD src1_sel:BYTE_3
	v_and_b32_e32 v6, 0x80000000, v6
	v_or3_b32 v25, v8, v6, v7
.LBB257_2583:                           ;   in Loop: Header=BB257_1567 Depth=1
	s_or_b32 exec_lo, exec_lo, s12
.LBB257_2584:                           ;   in Loop: Header=BB257_1567 Depth=1
	s_or_b32 exec_lo, exec_lo, s9
.LBB257_2585:                           ;   in Loop: Header=BB257_1567 Depth=1
	s_or_b32 exec_lo, exec_lo, s8
	v_or_b32_e32 v6, v23, v21
	v_or_b32_e32 v7, v22, v20
	;; [unrolled: 1-line block ×4, first 2 shown]
	v_mul_f32_e32 v57, v60, v6
	v_mul_f32_e32 v56, v40, v7
	;; [unrolled: 1-line block ×4, first 2 shown]
	s_and_saveexec_b32 s8, vcc_lo
	s_cbranch_execz .LBB257_2587
; %bb.2586:                             ;   in Loop: Header=BB257_1567 Depth=1
	v_cmp_lt_i32_e64 s4, v89, v78
	v_cndmask_b32_e64 v56, 0, v56, s4
	v_cmp_lt_i32_e64 s4, v91, v78
	v_cndmask_b32_e64 v57, 0, v57, s4
	;; [unrolled: 2-line block ×4, first 2 shown]
.LBB257_2587:                           ;   in Loop: Header=BB257_1567 Depth=1
	s_or_b32 exec_lo, exec_lo, s8
	flat_load_dword v6, v[18:19] offset:1792
	v_mov_b32_e32 v20, 0
	v_mov_b32_e32 v18, 0
	;; [unrolled: 1-line block ×4, first 2 shown]
	s_waitcnt vmcnt(0) lgkmcnt(0)
	v_cmp_ne_u16_sdwa s4, v6, v9 src0_sel:BYTE_0 src1_sel:DWORD
	s_and_saveexec_b32 s8, s4
	s_cbranch_execz .LBB257_2595
; %bb.2588:                             ;   in Loop: Header=BB257_1567 Depth=1
	v_bfrev_b32_e32 v18, 1
	v_mov_b32_e32 v19, 0
	v_cmp_ne_u16_sdwa s4, v6, v42 src0_sel:BYTE_0 src1_sel:DWORD
	s_and_saveexec_b32 s9, s4
	s_cbranch_execz .LBB257_2594
; %bb.2589:                             ;   in Loop: Header=BB257_1567 Depth=1
	v_mov_b32_e32 v18, 0x7f800001
	v_and_b32_e32 v10, 0x7f, v6
	v_mov_b32_e32 v19, 0
	s_mov_b32 s12, exec_lo
	v_cmpx_ne_u32_e32 0x7f, v10
	s_cbranch_execz .LBB257_2593
; %bb.2590:                             ;   in Loop: Header=BB257_1567 Depth=1
	v_and_b32_e32 v8, 7, v6
	v_lshrrev_b32_e32 v7, 3, v10
	s_mov_b32 s13, exec_lo
	v_cmpx_gt_u32_e32 8, v10
; %bb.2591:                             ;   in Loop: Header=BB257_1567 Depth=1
	v_ffbh_u32_e32 v7, v8
	v_min_u32_e32 v7, 32, v7
	v_subrev_nc_u32_e32 v10, 28, v7
	v_sub_nc_u32_e32 v7, 29, v7
	v_lshlrev_b64 v[18:19], v10, v[8:9]
	v_and_b32_e32 v8, 7, v18
; %bb.2592:                             ;   in Loop: Header=BB257_1567 Depth=1
	s_or_b32 exec_lo, exec_lo, s13
	v_lshlrev_b32_e32 v10, 24, v6
	v_lshlrev_b32_e32 v8, 20, v8
	v_lshl_add_u32 v7, v7, 23, 0x3c000000
	v_and_b32_e32 v10, 0x80000000, v10
	v_or3_b32 v8, v8, v10, v7
	v_mov_b32_e32 v19, v9
	v_mov_b32_e32 v18, v8
.LBB257_2593:                           ;   in Loop: Header=BB257_1567 Depth=1
	s_or_b32 exec_lo, exec_lo, s12
.LBB257_2594:                           ;   in Loop: Header=BB257_1567 Depth=1
	s_or_b32 exec_lo, exec_lo, s9
.LBB257_2595:                           ;   in Loop: Header=BB257_1567 Depth=1
	s_or_b32 exec_lo, exec_lo, s8
	v_cmp_ne_u16_sdwa s4, v6, v9 src0_sel:BYTE_1 src1_sel:DWORD
	s_and_saveexec_b32 s8, s4
	s_cbranch_execz .LBB257_2603
; %bb.2596:                             ;   in Loop: Header=BB257_1567 Depth=1
	v_mov_b32_e32 v10, v9
	v_mov_b32_e32 v21, v11
	v_cmp_ne_u16_sdwa s4, v6, v42 src0_sel:BYTE_1 src1_sel:DWORD
	v_mov_b32_e32 v20, v10
	s_and_saveexec_b32 s9, s4
	s_cbranch_execz .LBB257_2602
; %bb.2597:                             ;   in Loop: Header=BB257_1567 Depth=1
	v_mov_b32_e32 v7, 0xffff
	v_mov_b32_e32 v12, v9
	v_mov_b32_e32 v21, v13
	s_mov_b32 s12, exec_lo
	v_and_b32_sdwa v7, v7, v6 dst_sel:DWORD dst_unused:UNUSED_PAD src0_sel:DWORD src1_sel:BYTE_1
	v_mov_b32_e32 v20, v12
	v_and_b32_e32 v10, 0x7f, v7
	v_cmpx_ne_u32_e32 0x7f, v10
	s_cbranch_execz .LBB257_2601
; %bb.2598:                             ;   in Loop: Header=BB257_1567 Depth=1
	v_and_b32_e32 v8, 7, v7
	v_lshrrev_b32_e32 v7, 3, v10
	s_mov_b32 s13, exec_lo
	v_cmpx_gt_u32_e32 8, v10
; %bb.2599:                             ;   in Loop: Header=BB257_1567 Depth=1
	v_ffbh_u32_e32 v7, v8
	v_min_u32_e32 v7, 32, v7
	v_subrev_nc_u32_e32 v10, 28, v7
	v_sub_nc_u32_e32 v7, 29, v7
	v_lshlrev_b64 v[20:21], v10, v[8:9]
	v_and_b32_e32 v8, 7, v20
; %bb.2600:                             ;   in Loop: Header=BB257_1567 Depth=1
	s_or_b32 exec_lo, exec_lo, s13
	v_lshlrev_b32_e32 v10, 16, v6
	v_lshlrev_b32_e32 v8, 20, v8
	v_lshl_add_u32 v7, v7, 23, 0x3c000000
	v_mov_b32_e32 v20, v9
	v_and_b32_e32 v10, 0x80000000, v10
	v_or3_b32 v21, v8, v10, v7
.LBB257_2601:                           ;   in Loop: Header=BB257_1567 Depth=1
	s_or_b32 exec_lo, exec_lo, s12
.LBB257_2602:                           ;   in Loop: Header=BB257_1567 Depth=1
	s_or_b32 exec_lo, exec_lo, s9
.LBB257_2603:                           ;   in Loop: Header=BB257_1567 Depth=1
	s_or_b32 exec_lo, exec_lo, s8
	v_mov_b32_e32 v22, 0
	v_mov_b32_e32 v24, 0
	v_and_b32_sdwa v7, v6, v44 dst_sel:DWORD dst_unused:UNUSED_PAD src0_sel:WORD_1 src1_sel:DWORD
	v_mov_b32_e32 v23, 0
	v_mov_b32_e32 v25, 0
	s_mov_b32 s8, exec_lo
	v_cmpx_ne_u16_e32 0, v7
	s_cbranch_execz .LBB257_2611
; %bb.2604:                             ;   in Loop: Header=BB257_1567 Depth=1
	v_bfrev_b32_e32 v24, 1
	v_mov_b32_e32 v25, 0
	s_mov_b32 s9, exec_lo
	v_cmpx_ne_u16_e32 0x80, v7
	s_cbranch_execz .LBB257_2610
; %bb.2605:                             ;   in Loop: Header=BB257_1567 Depth=1
	v_mov_b32_e32 v24, 0x7f800001
	v_bfe_u32 v10, v6, 16, 7
	v_mov_b32_e32 v25, 0
	s_mov_b32 s12, exec_lo
	v_cmpx_ne_u32_e32 0x7f, v10
	s_cbranch_execz .LBB257_2609
; %bb.2606:                             ;   in Loop: Header=BB257_1567 Depth=1
	v_mov_b32_e32 v7, 7
	s_mov_b32 s13, exec_lo
	v_and_b32_sdwa v8, v6, v7 dst_sel:DWORD dst_unused:UNUSED_PAD src0_sel:WORD_1 src1_sel:DWORD
	v_lshrrev_b32_e32 v7, 3, v10
	v_cmpx_gt_u32_e32 8, v10
; %bb.2607:                             ;   in Loop: Header=BB257_1567 Depth=1
	v_ffbh_u32_e32 v7, v8
	v_min_u32_e32 v7, 32, v7
	v_subrev_nc_u32_e32 v10, 28, v7
	v_sub_nc_u32_e32 v7, 29, v7
	v_lshlrev_b64 v[24:25], v10, v[8:9]
	v_and_b32_e32 v8, 7, v24
; %bb.2608:                             ;   in Loop: Header=BB257_1567 Depth=1
	s_or_b32 exec_lo, exec_lo, s13
	v_mov_b32_e32 v10, 24
	v_lshlrev_b32_e32 v8, 20, v8
	v_lshl_add_u32 v7, v7, 23, 0x3c000000
	v_lshlrev_b32_sdwa v10, v10, v6 dst_sel:DWORD dst_unused:UNUSED_PAD src0_sel:DWORD src1_sel:WORD_1
	v_and_b32_e32 v10, 0x80000000, v10
	v_or3_b32 v8, v8, v10, v7
	v_mov_b32_e32 v25, v9
	v_mov_b32_e32 v24, v8
.LBB257_2609:                           ;   in Loop: Header=BB257_1567 Depth=1
	s_or_b32 exec_lo, exec_lo, s12
.LBB257_2610:                           ;   in Loop: Header=BB257_1567 Depth=1
	s_or_b32 exec_lo, exec_lo, s9
.LBB257_2611:                           ;   in Loop: Header=BB257_1567 Depth=1
	s_or_b32 exec_lo, exec_lo, s8
	s_mov_b32 s8, exec_lo
	v_cmpx_lt_u32_e32 0xffffff, v6
	s_cbranch_execz .LBB257_2619
; %bb.2612:                             ;   in Loop: Header=BB257_1567 Depth=1
	v_mov_b32_e32 v10, v9
	v_mov_b32_e32 v23, v11
	v_cmp_ne_u32_sdwa s4, v6, v42 src0_sel:BYTE_3 src1_sel:DWORD
	v_mov_b32_e32 v22, v10
	s_and_saveexec_b32 s9, s4
	s_cbranch_execz .LBB257_2618
; %bb.2613:                             ;   in Loop: Header=BB257_1567 Depth=1
	v_mov_b32_e32 v12, v9
	v_mov_b32_e32 v23, v13
	v_bfe_u32 v10, v6, 24, 7
	s_mov_b32 s12, exec_lo
	v_mov_b32_e32 v22, v12
	v_cmpx_ne_u32_e32 0x7f, v10
	s_cbranch_execz .LBB257_2617
; %bb.2614:                             ;   in Loop: Header=BB257_1567 Depth=1
	v_mov_b32_e32 v7, 7
	s_mov_b32 s13, exec_lo
	v_and_b32_sdwa v8, v6, v7 dst_sel:DWORD dst_unused:UNUSED_PAD src0_sel:BYTE_3 src1_sel:DWORD
	v_lshrrev_b32_e32 v7, 3, v10
	v_cmpx_gt_u32_e32 8, v10
; %bb.2615:                             ;   in Loop: Header=BB257_1567 Depth=1
	v_ffbh_u32_e32 v7, v8
	v_min_u32_e32 v7, 32, v7
	v_subrev_nc_u32_e32 v10, 28, v7
	v_sub_nc_u32_e32 v7, 29, v7
	v_lshlrev_b64 v[22:23], v10, v[8:9]
	v_and_b32_e32 v8, 7, v22
; %bb.2616:                             ;   in Loop: Header=BB257_1567 Depth=1
	s_or_b32 exec_lo, exec_lo, s13
	v_mov_b32_e32 v10, 24
	v_lshlrev_b32_e32 v8, 20, v8
	v_lshl_add_u32 v7, v7, 23, 0x3c000000
	v_mov_b32_e32 v22, v9
	v_lshlrev_b32_sdwa v6, v10, v6 dst_sel:DWORD dst_unused:UNUSED_PAD src0_sel:DWORD src1_sel:BYTE_3
	v_and_b32_e32 v6, 0x80000000, v6
	v_or3_b32 v23, v8, v6, v7
.LBB257_2617:                           ;   in Loop: Header=BB257_1567 Depth=1
	s_or_b32 exec_lo, exec_lo, s12
.LBB257_2618:                           ;   in Loop: Header=BB257_1567 Depth=1
	s_or_b32 exec_lo, exec_lo, s9
.LBB257_2619:                           ;   in Loop: Header=BB257_1567 Depth=1
	s_or_b32 exec_lo, exec_lo, s8
	v_or_b32_e32 v6, v21, v19
	v_or_b32_e32 v8, v20, v18
	v_or_b32_e32 v10, v22, v24
	v_or_b32_e32 v12, v23, v25
	v_mul_f32_e32 v7, v60, v6
	v_mul_f32_e32 v6, v40, v8
	;; [unrolled: 1-line block ×4, first 2 shown]
	s_and_saveexec_b32 s8, vcc_lo
	s_cbranch_execz .LBB257_2621
; %bb.2620:                             ;   in Loop: Header=BB257_1567 Depth=1
	v_cmp_lt_i32_e64 s4, v89, v78
	v_cndmask_b32_e64 v6, 0, v6, s4
	v_cmp_lt_i32_e64 s4, v91, v78
	v_cndmask_b32_e64 v7, 0, v7, s4
	;; [unrolled: 2-line block ×4, first 2 shown]
.LBB257_2621:                           ;   in Loop: Header=BB257_1567 Depth=1
	s_or_b32 exec_lo, exec_lo, s8
	buffer_load_dword v8, off, s[0:3], s32 offset:1328 ; 4-byte Folded Reload
	v_mov_b32_e32 v18, 0
	v_mov_b32_e32 v19, 0
	s_waitcnt vmcnt(0)
	v_add_co_u32 v16, s4, v16, v8
	v_add_co_ci_u32_e64 v17, null, 0, v17, s4
	flat_load_dword v28, v[16:17]
	v_mov_b32_e32 v16, 0
	v_mov_b32_e32 v17, 0
	s_waitcnt vmcnt(0) lgkmcnt(0)
	v_cmp_ne_u16_sdwa s4, v28, v9 src0_sel:BYTE_0 src1_sel:DWORD
	s_and_saveexec_b32 s8, s4
	s_cbranch_execz .LBB257_2629
; %bb.2622:                             ;   in Loop: Header=BB257_1567 Depth=1
	v_bfrev_b32_e32 v16, 1
	v_mov_b32_e32 v17, 0
	v_cmp_ne_u16_sdwa s4, v28, v42 src0_sel:BYTE_0 src1_sel:DWORD
	s_and_saveexec_b32 s9, s4
	s_cbranch_execz .LBB257_2628
; %bb.2623:                             ;   in Loop: Header=BB257_1567 Depth=1
	v_mov_b32_e32 v16, 0x7f800001
	v_and_b32_e32 v12, 0x7f, v28
	v_mov_b32_e32 v17, 0
	s_mov_b32 s12, exec_lo
	v_cmpx_ne_u32_e32 0x7f, v12
	s_cbranch_execz .LBB257_2627
; %bb.2624:                             ;   in Loop: Header=BB257_1567 Depth=1
	v_and_b32_e32 v8, 7, v28
	v_lshrrev_b32_e32 v10, 3, v12
	s_mov_b32 s13, exec_lo
	v_cmpx_gt_u32_e32 8, v12
; %bb.2625:                             ;   in Loop: Header=BB257_1567 Depth=1
	v_ffbh_u32_e32 v10, v8
	v_min_u32_e32 v10, 32, v10
	v_subrev_nc_u32_e32 v12, 28, v10
	v_sub_nc_u32_e32 v10, 29, v10
	v_lshlrev_b64 v[16:17], v12, v[8:9]
	v_and_b32_e32 v8, 7, v16
; %bb.2626:                             ;   in Loop: Header=BB257_1567 Depth=1
	s_or_b32 exec_lo, exec_lo, s13
	v_lshlrev_b32_e32 v12, 24, v28
	v_lshlrev_b32_e32 v8, 20, v8
	v_lshl_add_u32 v10, v10, 23, 0x3c000000
	v_and_b32_e32 v12, 0x80000000, v12
	v_or3_b32 v8, v8, v12, v10
	v_mov_b32_e32 v17, v9
	v_mov_b32_e32 v16, v8
.LBB257_2627:                           ;   in Loop: Header=BB257_1567 Depth=1
	s_or_b32 exec_lo, exec_lo, s12
.LBB257_2628:                           ;   in Loop: Header=BB257_1567 Depth=1
	s_or_b32 exec_lo, exec_lo, s9
.LBB257_2629:                           ;   in Loop: Header=BB257_1567 Depth=1
	s_or_b32 exec_lo, exec_lo, s8
	v_cmp_ne_u16_sdwa s4, v28, v9 src0_sel:BYTE_1 src1_sel:DWORD
	s_and_saveexec_b32 s8, s4
	s_cbranch_execz .LBB257_2637
; %bb.2630:                             ;   in Loop: Header=BB257_1567 Depth=1
	v_mov_b32_e32 v10, v9
	v_mov_b32_e32 v19, v11
	v_cmp_ne_u16_sdwa s4, v28, v42 src0_sel:BYTE_1 src1_sel:DWORD
	v_mov_b32_e32 v18, v10
	s_and_saveexec_b32 s9, s4
	s_cbranch_execz .LBB257_2636
; %bb.2631:                             ;   in Loop: Header=BB257_1567 Depth=1
	v_mov_b32_e32 v8, 0xffff
	v_mov_b32_e32 v12, v9
	v_mov_b32_e32 v19, v13
	s_mov_b32 s12, exec_lo
	v_and_b32_sdwa v8, v8, v28 dst_sel:DWORD dst_unused:UNUSED_PAD src0_sel:DWORD src1_sel:BYTE_1
	v_mov_b32_e32 v18, v12
	v_and_b32_e32 v20, 0x7f, v8
	v_cmpx_ne_u32_e32 0x7f, v20
	s_cbranch_execz .LBB257_2635
; %bb.2632:                             ;   in Loop: Header=BB257_1567 Depth=1
	v_and_b32_e32 v8, 7, v8
	v_lshrrev_b32_e32 v10, 3, v20
	s_mov_b32 s13, exec_lo
	v_cmpx_gt_u32_e32 8, v20
; %bb.2633:                             ;   in Loop: Header=BB257_1567 Depth=1
	v_ffbh_u32_e32 v10, v8
	v_min_u32_e32 v10, 32, v10
	v_subrev_nc_u32_e32 v12, 28, v10
	v_sub_nc_u32_e32 v10, 29, v10
	v_lshlrev_b64 v[18:19], v12, v[8:9]
	v_and_b32_e32 v8, 7, v18
; %bb.2634:                             ;   in Loop: Header=BB257_1567 Depth=1
	s_or_b32 exec_lo, exec_lo, s13
	v_lshlrev_b32_e32 v12, 16, v28
	v_lshlrev_b32_e32 v8, 20, v8
	v_lshl_add_u32 v10, v10, 23, 0x3c000000
	v_mov_b32_e32 v18, v9
	v_and_b32_e32 v12, 0x80000000, v12
	v_or3_b32 v19, v8, v12, v10
.LBB257_2635:                           ;   in Loop: Header=BB257_1567 Depth=1
	s_or_b32 exec_lo, exec_lo, s12
.LBB257_2636:                           ;   in Loop: Header=BB257_1567 Depth=1
	s_or_b32 exec_lo, exec_lo, s9
.LBB257_2637:                           ;   in Loop: Header=BB257_1567 Depth=1
	s_or_b32 exec_lo, exec_lo, s8
	v_mov_b32_e32 v20, 0
	v_mov_b32_e32 v22, 0
	v_and_b32_sdwa v8, v28, v44 dst_sel:DWORD dst_unused:UNUSED_PAD src0_sel:WORD_1 src1_sel:DWORD
	v_mov_b32_e32 v21, 0
	v_mov_b32_e32 v23, 0
	s_mov_b32 s8, exec_lo
	v_cmpx_ne_u16_e32 0, v8
	s_cbranch_execz .LBB257_2645
; %bb.2638:                             ;   in Loop: Header=BB257_1567 Depth=1
	v_bfrev_b32_e32 v22, 1
	v_mov_b32_e32 v23, 0
	s_mov_b32 s9, exec_lo
	v_cmpx_ne_u16_e32 0x80, v8
	s_cbranch_execz .LBB257_2644
; %bb.2639:                             ;   in Loop: Header=BB257_1567 Depth=1
	v_mov_b32_e32 v22, 0x7f800001
	v_bfe_u32 v12, v28, 16, 7
	v_mov_b32_e32 v23, 0
	s_mov_b32 s12, exec_lo
	v_cmpx_ne_u32_e32 0x7f, v12
	s_cbranch_execz .LBB257_2643
; %bb.2640:                             ;   in Loop: Header=BB257_1567 Depth=1
	v_mov_b32_e32 v8, 7
	v_lshrrev_b32_e32 v10, 3, v12
	s_mov_b32 s13, exec_lo
	v_and_b32_sdwa v8, v28, v8 dst_sel:DWORD dst_unused:UNUSED_PAD src0_sel:WORD_1 src1_sel:DWORD
	v_cmpx_gt_u32_e32 8, v12
; %bb.2641:                             ;   in Loop: Header=BB257_1567 Depth=1
	v_ffbh_u32_e32 v10, v8
	v_min_u32_e32 v10, 32, v10
	v_subrev_nc_u32_e32 v12, 28, v10
	v_sub_nc_u32_e32 v10, 29, v10
	v_lshlrev_b64 v[22:23], v12, v[8:9]
	v_and_b32_e32 v8, 7, v22
; %bb.2642:                             ;   in Loop: Header=BB257_1567 Depth=1
	s_or_b32 exec_lo, exec_lo, s13
	v_mov_b32_e32 v12, 24
	v_lshlrev_b32_e32 v8, 20, v8
	v_lshl_add_u32 v10, v10, 23, 0x3c000000
	v_lshlrev_b32_sdwa v12, v12, v28 dst_sel:DWORD dst_unused:UNUSED_PAD src0_sel:DWORD src1_sel:WORD_1
	v_and_b32_e32 v12, 0x80000000, v12
	v_or3_b32 v8, v8, v12, v10
	v_mov_b32_e32 v23, v9
	v_mov_b32_e32 v22, v8
.LBB257_2643:                           ;   in Loop: Header=BB257_1567 Depth=1
	s_or_b32 exec_lo, exec_lo, s12
.LBB257_2644:                           ;   in Loop: Header=BB257_1567 Depth=1
	s_or_b32 exec_lo, exec_lo, s9
.LBB257_2645:                           ;   in Loop: Header=BB257_1567 Depth=1
	s_or_b32 exec_lo, exec_lo, s8
	s_mov_b32 s8, exec_lo
	v_cmpx_lt_u32_e32 0xffffff, v28
	s_cbranch_execz .LBB257_2653
; %bb.2646:                             ;   in Loop: Header=BB257_1567 Depth=1
	v_mov_b32_e32 v10, v9
	v_mov_b32_e32 v21, v11
	v_cmp_ne_u32_sdwa s4, v28, v42 src0_sel:BYTE_3 src1_sel:DWORD
	v_mov_b32_e32 v20, v10
	s_and_saveexec_b32 s9, s4
	s_cbranch_execz .LBB257_2652
; %bb.2647:                             ;   in Loop: Header=BB257_1567 Depth=1
	v_mov_b32_e32 v12, v9
	v_mov_b32_e32 v21, v13
	v_bfe_u32 v29, v28, 24, 7
	s_mov_b32 s12, exec_lo
	v_mov_b32_e32 v20, v12
	v_cmpx_ne_u32_e32 0x7f, v29
	s_cbranch_execz .LBB257_2651
; %bb.2648:                             ;   in Loop: Header=BB257_1567 Depth=1
	v_mov_b32_e32 v8, 7
	v_lshrrev_b32_e32 v10, 3, v29
	s_mov_b32 s13, exec_lo
	v_and_b32_sdwa v8, v28, v8 dst_sel:DWORD dst_unused:UNUSED_PAD src0_sel:BYTE_3 src1_sel:DWORD
	v_cmpx_gt_u32_e32 8, v29
; %bb.2649:                             ;   in Loop: Header=BB257_1567 Depth=1
	v_ffbh_u32_e32 v10, v8
	v_min_u32_e32 v10, 32, v10
	v_subrev_nc_u32_e32 v12, 28, v10
	v_sub_nc_u32_e32 v10, 29, v10
	v_lshlrev_b64 v[20:21], v12, v[8:9]
	v_and_b32_e32 v8, 7, v20
; %bb.2650:                             ;   in Loop: Header=BB257_1567 Depth=1
	s_or_b32 exec_lo, exec_lo, s13
	v_mov_b32_e32 v12, 24
	v_lshlrev_b32_e32 v8, 20, v8
	v_lshl_add_u32 v10, v10, 23, 0x3c000000
	v_mov_b32_e32 v20, v9
	v_lshlrev_b32_sdwa v12, v12, v28 dst_sel:DWORD dst_unused:UNUSED_PAD src0_sel:DWORD src1_sel:BYTE_3
	v_and_b32_e32 v12, 0x80000000, v12
	v_or3_b32 v21, v8, v12, v10
.LBB257_2651:                           ;   in Loop: Header=BB257_1567 Depth=1
	s_or_b32 exec_lo, exec_lo, s12
.LBB257_2652:                           ;   in Loop: Header=BB257_1567 Depth=1
	s_or_b32 exec_lo, exec_lo, s9
.LBB257_2653:                           ;   in Loop: Header=BB257_1567 Depth=1
	s_or_b32 exec_lo, exec_lo, s8
	v_or_b32_e32 v8, v19, v17
	v_or_b32_e32 v10, v18, v16
	;; [unrolled: 1-line block ×4, first 2 shown]
	v_mul_f32_e32 v62, v60, v8
	v_mul_f32_e32 v61, v40, v10
	;; [unrolled: 1-line block ×4, first 2 shown]
	s_and_saveexec_b32 s8, vcc_lo
	s_cbranch_execz .LBB257_2655
; %bb.2654:                             ;   in Loop: Header=BB257_1567 Depth=1
	v_cmp_lt_i32_e64 s4, v89, v78
	v_cndmask_b32_e64 v61, 0, v61, s4
	v_cmp_lt_i32_e64 s4, v91, v78
	v_cndmask_b32_e64 v62, 0, v62, s4
	;; [unrolled: 2-line block ×4, first 2 shown]
.LBB257_2655:                           ;   in Loop: Header=BB257_1567 Depth=1
	s_or_b32 exec_lo, exec_lo, s8
	v_add_co_u32 v4, s4, 0x1000, v4
	v_add_co_ci_u32_e64 v5, null, 0, v5, s4
	v_mov_b32_e32 v18, 0
	v_mov_b32_e32 v16, 0
	;; [unrolled: 1-line block ×3, first 2 shown]
	flat_load_dword v29, v[4:5]
	v_mov_b32_e32 v17, 0
	s_waitcnt vmcnt(0) lgkmcnt(0)
	v_cmp_ne_u16_sdwa s4, v29, v9 src0_sel:BYTE_0 src1_sel:DWORD
	s_and_saveexec_b32 s8, s4
	s_cbranch_execz .LBB257_2663
; %bb.2656:                             ;   in Loop: Header=BB257_1567 Depth=1
	v_bfrev_b32_e32 v16, 1
	v_mov_b32_e32 v17, 0
	v_cmp_ne_u16_sdwa s4, v29, v42 src0_sel:BYTE_0 src1_sel:DWORD
	s_and_saveexec_b32 s9, s4
	s_cbranch_execz .LBB257_2662
; %bb.2657:                             ;   in Loop: Header=BB257_1567 Depth=1
	v_mov_b32_e32 v16, 0x7f800001
	v_and_b32_e32 v12, 0x7f, v29
	v_mov_b32_e32 v17, 0
	s_mov_b32 s12, exec_lo
	v_cmpx_ne_u32_e32 0x7f, v12
	s_cbranch_execz .LBB257_2661
; %bb.2658:                             ;   in Loop: Header=BB257_1567 Depth=1
	v_and_b32_e32 v8, 7, v29
	v_lshrrev_b32_e32 v10, 3, v12
	s_mov_b32 s13, exec_lo
	v_cmpx_gt_u32_e32 8, v12
; %bb.2659:                             ;   in Loop: Header=BB257_1567 Depth=1
	v_ffbh_u32_e32 v10, v8
	v_min_u32_e32 v10, 32, v10
	v_subrev_nc_u32_e32 v12, 28, v10
	v_sub_nc_u32_e32 v10, 29, v10
	v_lshlrev_b64 v[16:17], v12, v[8:9]
	v_and_b32_e32 v8, 7, v16
; %bb.2660:                             ;   in Loop: Header=BB257_1567 Depth=1
	s_or_b32 exec_lo, exec_lo, s13
	v_lshlrev_b32_e32 v12, 24, v29
	v_lshlrev_b32_e32 v8, 20, v8
	v_lshl_add_u32 v10, v10, 23, 0x3c000000
	v_and_b32_e32 v12, 0x80000000, v12
	v_or3_b32 v8, v8, v12, v10
	v_mov_b32_e32 v17, v9
	v_mov_b32_e32 v16, v8
.LBB257_2661:                           ;   in Loop: Header=BB257_1567 Depth=1
	s_or_b32 exec_lo, exec_lo, s12
.LBB257_2662:                           ;   in Loop: Header=BB257_1567 Depth=1
	s_or_b32 exec_lo, exec_lo, s9
.LBB257_2663:                           ;   in Loop: Header=BB257_1567 Depth=1
	s_or_b32 exec_lo, exec_lo, s8
	v_cmp_ne_u16_sdwa s4, v29, v9 src0_sel:BYTE_1 src1_sel:DWORD
	s_and_saveexec_b32 s8, s4
	s_cbranch_execz .LBB257_2671
; %bb.2664:                             ;   in Loop: Header=BB257_1567 Depth=1
	v_mov_b32_e32 v10, v9
	v_mov_b32_e32 v19, v11
	v_cmp_ne_u16_sdwa s4, v29, v42 src0_sel:BYTE_1 src1_sel:DWORD
	v_mov_b32_e32 v18, v10
	s_and_saveexec_b32 s9, s4
	s_cbranch_execz .LBB257_2670
; %bb.2665:                             ;   in Loop: Header=BB257_1567 Depth=1
	v_mov_b32_e32 v8, 0xffff
	v_mov_b32_e32 v12, v9
	;; [unrolled: 1-line block ×3, first 2 shown]
	s_mov_b32 s12, exec_lo
	v_and_b32_sdwa v8, v8, v29 dst_sel:DWORD dst_unused:UNUSED_PAD src0_sel:DWORD src1_sel:BYTE_1
	v_mov_b32_e32 v18, v12
	v_and_b32_e32 v20, 0x7f, v8
	v_cmpx_ne_u32_e32 0x7f, v20
	s_cbranch_execz .LBB257_2669
; %bb.2666:                             ;   in Loop: Header=BB257_1567 Depth=1
	v_and_b32_e32 v8, 7, v8
	v_lshrrev_b32_e32 v10, 3, v20
	s_mov_b32 s13, exec_lo
	v_cmpx_gt_u32_e32 8, v20
; %bb.2667:                             ;   in Loop: Header=BB257_1567 Depth=1
	v_ffbh_u32_e32 v10, v8
	v_min_u32_e32 v10, 32, v10
	v_subrev_nc_u32_e32 v12, 28, v10
	v_sub_nc_u32_e32 v10, 29, v10
	v_lshlrev_b64 v[18:19], v12, v[8:9]
	v_and_b32_e32 v8, 7, v18
; %bb.2668:                             ;   in Loop: Header=BB257_1567 Depth=1
	s_or_b32 exec_lo, exec_lo, s13
	v_lshlrev_b32_e32 v12, 16, v29
	v_lshlrev_b32_e32 v8, 20, v8
	v_lshl_add_u32 v10, v10, 23, 0x3c000000
	v_mov_b32_e32 v18, v9
	v_and_b32_e32 v12, 0x80000000, v12
	v_or3_b32 v19, v8, v12, v10
.LBB257_2669:                           ;   in Loop: Header=BB257_1567 Depth=1
	s_or_b32 exec_lo, exec_lo, s12
.LBB257_2670:                           ;   in Loop: Header=BB257_1567 Depth=1
	s_or_b32 exec_lo, exec_lo, s9
.LBB257_2671:                           ;   in Loop: Header=BB257_1567 Depth=1
	s_or_b32 exec_lo, exec_lo, s8
	v_mov_b32_e32 v20, 0
	v_mov_b32_e32 v22, 0
	v_and_b32_sdwa v8, v29, v44 dst_sel:DWORD dst_unused:UNUSED_PAD src0_sel:WORD_1 src1_sel:DWORD
	v_mov_b32_e32 v21, 0
	v_mov_b32_e32 v23, 0
	s_mov_b32 s8, exec_lo
	v_cmpx_ne_u16_e32 0, v8
	s_cbranch_execz .LBB257_2679
; %bb.2672:                             ;   in Loop: Header=BB257_1567 Depth=1
	v_bfrev_b32_e32 v22, 1
	v_mov_b32_e32 v23, 0
	s_mov_b32 s9, exec_lo
	v_cmpx_ne_u16_e32 0x80, v8
	s_cbranch_execz .LBB257_2678
; %bb.2673:                             ;   in Loop: Header=BB257_1567 Depth=1
	v_mov_b32_e32 v22, 0x7f800001
	v_bfe_u32 v12, v29, 16, 7
	v_mov_b32_e32 v23, 0
	s_mov_b32 s12, exec_lo
	v_cmpx_ne_u32_e32 0x7f, v12
	s_cbranch_execz .LBB257_2677
; %bb.2674:                             ;   in Loop: Header=BB257_1567 Depth=1
	v_mov_b32_e32 v8, 7
	v_lshrrev_b32_e32 v10, 3, v12
	s_mov_b32 s13, exec_lo
	v_and_b32_sdwa v8, v29, v8 dst_sel:DWORD dst_unused:UNUSED_PAD src0_sel:WORD_1 src1_sel:DWORD
	v_cmpx_gt_u32_e32 8, v12
; %bb.2675:                             ;   in Loop: Header=BB257_1567 Depth=1
	v_ffbh_u32_e32 v10, v8
	v_min_u32_e32 v10, 32, v10
	v_subrev_nc_u32_e32 v12, 28, v10
	v_sub_nc_u32_e32 v10, 29, v10
	v_lshlrev_b64 v[22:23], v12, v[8:9]
	v_and_b32_e32 v8, 7, v22
; %bb.2676:                             ;   in Loop: Header=BB257_1567 Depth=1
	s_or_b32 exec_lo, exec_lo, s13
	v_mov_b32_e32 v12, 24
	v_lshlrev_b32_e32 v8, 20, v8
	v_lshl_add_u32 v10, v10, 23, 0x3c000000
	v_lshlrev_b32_sdwa v12, v12, v29 dst_sel:DWORD dst_unused:UNUSED_PAD src0_sel:DWORD src1_sel:WORD_1
	v_and_b32_e32 v12, 0x80000000, v12
	v_or3_b32 v8, v8, v12, v10
	v_mov_b32_e32 v23, v9
	v_mov_b32_e32 v22, v8
.LBB257_2677:                           ;   in Loop: Header=BB257_1567 Depth=1
	s_or_b32 exec_lo, exec_lo, s12
.LBB257_2678:                           ;   in Loop: Header=BB257_1567 Depth=1
	s_or_b32 exec_lo, exec_lo, s9
.LBB257_2679:                           ;   in Loop: Header=BB257_1567 Depth=1
	s_or_b32 exec_lo, exec_lo, s8
	s_mov_b32 s8, exec_lo
	v_cmpx_lt_u32_e32 0xffffff, v29
	s_cbranch_execz .LBB257_2687
; %bb.2680:                             ;   in Loop: Header=BB257_1567 Depth=1
	v_mov_b32_e32 v10, v9
	v_mov_b32_e32 v21, v11
	v_cmp_ne_u32_sdwa s4, v29, v42 src0_sel:BYTE_3 src1_sel:DWORD
	v_mov_b32_e32 v20, v10
	s_and_saveexec_b32 s9, s4
	s_cbranch_execz .LBB257_2686
; %bb.2681:                             ;   in Loop: Header=BB257_1567 Depth=1
	v_mov_b32_e32 v12, v9
	v_mov_b32_e32 v21, v13
	v_bfe_u32 v32, v29, 24, 7
	s_mov_b32 s12, exec_lo
	v_mov_b32_e32 v20, v12
	v_cmpx_ne_u32_e32 0x7f, v32
	s_cbranch_execz .LBB257_2685
; %bb.2682:                             ;   in Loop: Header=BB257_1567 Depth=1
	v_mov_b32_e32 v8, 7
	v_lshrrev_b32_e32 v10, 3, v32
	s_mov_b32 s13, exec_lo
	v_and_b32_sdwa v8, v29, v8 dst_sel:DWORD dst_unused:UNUSED_PAD src0_sel:BYTE_3 src1_sel:DWORD
	v_cmpx_gt_u32_e32 8, v32
; %bb.2683:                             ;   in Loop: Header=BB257_1567 Depth=1
	v_ffbh_u32_e32 v10, v8
	v_min_u32_e32 v10, 32, v10
	v_subrev_nc_u32_e32 v12, 28, v10
	v_sub_nc_u32_e32 v10, 29, v10
	v_lshlrev_b64 v[20:21], v12, v[8:9]
	v_and_b32_e32 v8, 7, v20
; %bb.2684:                             ;   in Loop: Header=BB257_1567 Depth=1
	s_or_b32 exec_lo, exec_lo, s13
	v_mov_b32_e32 v12, 24
	v_lshlrev_b32_e32 v8, 20, v8
	v_lshl_add_u32 v10, v10, 23, 0x3c000000
	v_mov_b32_e32 v20, v9
	v_lshlrev_b32_sdwa v12, v12, v29 dst_sel:DWORD dst_unused:UNUSED_PAD src0_sel:DWORD src1_sel:BYTE_3
	v_and_b32_e32 v12, 0x80000000, v12
	v_or3_b32 v21, v8, v12, v10
.LBB257_2685:                           ;   in Loop: Header=BB257_1567 Depth=1
	s_or_b32 exec_lo, exec_lo, s12
.LBB257_2686:                           ;   in Loop: Header=BB257_1567 Depth=1
	s_or_b32 exec_lo, exec_lo, s9
.LBB257_2687:                           ;   in Loop: Header=BB257_1567 Depth=1
	s_or_b32 exec_lo, exec_lo, s8
	v_or_b32_e32 v8, v19, v17
	v_or_b32_e32 v10, v18, v16
	;; [unrolled: 1-line block ×4, first 2 shown]
	v_mul_f32_e32 v73, v60, v8
	v_mul_f32_e32 v72, v40, v10
	;; [unrolled: 1-line block ×4, first 2 shown]
	s_and_saveexec_b32 s8, vcc_lo
	s_cbranch_execz .LBB257_2689
; %bb.2688:                             ;   in Loop: Header=BB257_1567 Depth=1
	v_cmp_lt_i32_e64 s4, v89, v78
	v_cndmask_b32_e64 v72, 0, v72, s4
	v_cmp_lt_i32_e64 s4, v91, v78
	v_cndmask_b32_e64 v73, 0, v73, s4
	v_cmp_lt_i32_e64 s4, v90, v78
	v_cndmask_b32_e64 v29, 0, v29, s4
	v_cmp_lt_i32_e64 s4, v58, v78
	v_cndmask_b32_e64 v63, 0, v63, s4
.LBB257_2689:                           ;   in Loop: Header=BB257_1567 Depth=1
	s_or_b32 exec_lo, exec_lo, s8
	flat_load_dword v32, v[4:5] offset:128
	v_mov_b32_e32 v18, 0
	v_mov_b32_e32 v16, 0
	;; [unrolled: 1-line block ×4, first 2 shown]
	s_waitcnt vmcnt(0) lgkmcnt(0)
	v_cmp_ne_u16_sdwa s4, v32, v9 src0_sel:BYTE_0 src1_sel:DWORD
	s_and_saveexec_b32 s8, s4
	s_cbranch_execz .LBB257_2697
; %bb.2690:                             ;   in Loop: Header=BB257_1567 Depth=1
	v_bfrev_b32_e32 v16, 1
	v_mov_b32_e32 v17, 0
	v_cmp_ne_u16_sdwa s4, v32, v42 src0_sel:BYTE_0 src1_sel:DWORD
	s_and_saveexec_b32 s9, s4
	s_cbranch_execz .LBB257_2696
; %bb.2691:                             ;   in Loop: Header=BB257_1567 Depth=1
	v_mov_b32_e32 v16, 0x7f800001
	v_and_b32_e32 v12, 0x7f, v32
	v_mov_b32_e32 v17, 0
	s_mov_b32 s12, exec_lo
	v_cmpx_ne_u32_e32 0x7f, v12
	s_cbranch_execz .LBB257_2695
; %bb.2692:                             ;   in Loop: Header=BB257_1567 Depth=1
	v_and_b32_e32 v8, 7, v32
	v_lshrrev_b32_e32 v10, 3, v12
	s_mov_b32 s13, exec_lo
	v_cmpx_gt_u32_e32 8, v12
; %bb.2693:                             ;   in Loop: Header=BB257_1567 Depth=1
	v_ffbh_u32_e32 v10, v8
	v_min_u32_e32 v10, 32, v10
	v_subrev_nc_u32_e32 v12, 28, v10
	v_sub_nc_u32_e32 v10, 29, v10
	v_lshlrev_b64 v[16:17], v12, v[8:9]
	v_and_b32_e32 v8, 7, v16
; %bb.2694:                             ;   in Loop: Header=BB257_1567 Depth=1
	s_or_b32 exec_lo, exec_lo, s13
	v_lshlrev_b32_e32 v12, 24, v32
	v_lshlrev_b32_e32 v8, 20, v8
	v_lshl_add_u32 v10, v10, 23, 0x3c000000
	v_and_b32_e32 v12, 0x80000000, v12
	v_or3_b32 v8, v8, v12, v10
	v_mov_b32_e32 v17, v9
	v_mov_b32_e32 v16, v8
.LBB257_2695:                           ;   in Loop: Header=BB257_1567 Depth=1
	s_or_b32 exec_lo, exec_lo, s12
.LBB257_2696:                           ;   in Loop: Header=BB257_1567 Depth=1
	s_or_b32 exec_lo, exec_lo, s9
.LBB257_2697:                           ;   in Loop: Header=BB257_1567 Depth=1
	s_or_b32 exec_lo, exec_lo, s8
	v_cmp_ne_u16_sdwa s4, v32, v9 src0_sel:BYTE_1 src1_sel:DWORD
	s_and_saveexec_b32 s8, s4
	s_cbranch_execz .LBB257_2705
; %bb.2698:                             ;   in Loop: Header=BB257_1567 Depth=1
	v_mov_b32_e32 v10, v9
	v_mov_b32_e32 v19, v11
	v_cmp_ne_u16_sdwa s4, v32, v42 src0_sel:BYTE_1 src1_sel:DWORD
	v_mov_b32_e32 v18, v10
	s_and_saveexec_b32 s9, s4
	s_cbranch_execz .LBB257_2704
; %bb.2699:                             ;   in Loop: Header=BB257_1567 Depth=1
	v_mov_b32_e32 v8, 0xffff
	v_mov_b32_e32 v12, v9
	;; [unrolled: 1-line block ×3, first 2 shown]
	s_mov_b32 s12, exec_lo
	v_and_b32_sdwa v8, v8, v32 dst_sel:DWORD dst_unused:UNUSED_PAD src0_sel:DWORD src1_sel:BYTE_1
	v_mov_b32_e32 v18, v12
	v_and_b32_e32 v20, 0x7f, v8
	v_cmpx_ne_u32_e32 0x7f, v20
	s_cbranch_execz .LBB257_2703
; %bb.2700:                             ;   in Loop: Header=BB257_1567 Depth=1
	v_and_b32_e32 v8, 7, v8
	v_lshrrev_b32_e32 v10, 3, v20
	s_mov_b32 s13, exec_lo
	v_cmpx_gt_u32_e32 8, v20
; %bb.2701:                             ;   in Loop: Header=BB257_1567 Depth=1
	v_ffbh_u32_e32 v10, v8
	v_min_u32_e32 v10, 32, v10
	v_subrev_nc_u32_e32 v12, 28, v10
	v_sub_nc_u32_e32 v10, 29, v10
	v_lshlrev_b64 v[18:19], v12, v[8:9]
	v_and_b32_e32 v8, 7, v18
; %bb.2702:                             ;   in Loop: Header=BB257_1567 Depth=1
	s_or_b32 exec_lo, exec_lo, s13
	v_lshlrev_b32_e32 v12, 16, v32
	v_lshlrev_b32_e32 v8, 20, v8
	v_lshl_add_u32 v10, v10, 23, 0x3c000000
	v_mov_b32_e32 v18, v9
	v_and_b32_e32 v12, 0x80000000, v12
	v_or3_b32 v19, v8, v12, v10
.LBB257_2703:                           ;   in Loop: Header=BB257_1567 Depth=1
	s_or_b32 exec_lo, exec_lo, s12
.LBB257_2704:                           ;   in Loop: Header=BB257_1567 Depth=1
	s_or_b32 exec_lo, exec_lo, s9
.LBB257_2705:                           ;   in Loop: Header=BB257_1567 Depth=1
	s_or_b32 exec_lo, exec_lo, s8
	v_mov_b32_e32 v20, 0
	v_mov_b32_e32 v22, 0
	v_and_b32_sdwa v8, v32, v44 dst_sel:DWORD dst_unused:UNUSED_PAD src0_sel:WORD_1 src1_sel:DWORD
	v_mov_b32_e32 v21, 0
	v_mov_b32_e32 v23, 0
	s_mov_b32 s8, exec_lo
	v_cmpx_ne_u16_e32 0, v8
	s_cbranch_execz .LBB257_2713
; %bb.2706:                             ;   in Loop: Header=BB257_1567 Depth=1
	v_bfrev_b32_e32 v22, 1
	v_mov_b32_e32 v23, 0
	s_mov_b32 s9, exec_lo
	v_cmpx_ne_u16_e32 0x80, v8
	s_cbranch_execz .LBB257_2712
; %bb.2707:                             ;   in Loop: Header=BB257_1567 Depth=1
	v_mov_b32_e32 v22, 0x7f800001
	v_bfe_u32 v12, v32, 16, 7
	v_mov_b32_e32 v23, 0
	s_mov_b32 s12, exec_lo
	v_cmpx_ne_u32_e32 0x7f, v12
	s_cbranch_execz .LBB257_2711
; %bb.2708:                             ;   in Loop: Header=BB257_1567 Depth=1
	v_mov_b32_e32 v8, 7
	v_lshrrev_b32_e32 v10, 3, v12
	s_mov_b32 s13, exec_lo
	v_and_b32_sdwa v8, v32, v8 dst_sel:DWORD dst_unused:UNUSED_PAD src0_sel:WORD_1 src1_sel:DWORD
	v_cmpx_gt_u32_e32 8, v12
; %bb.2709:                             ;   in Loop: Header=BB257_1567 Depth=1
	v_ffbh_u32_e32 v10, v8
	v_min_u32_e32 v10, 32, v10
	v_subrev_nc_u32_e32 v12, 28, v10
	v_sub_nc_u32_e32 v10, 29, v10
	v_lshlrev_b64 v[22:23], v12, v[8:9]
	v_and_b32_e32 v8, 7, v22
; %bb.2710:                             ;   in Loop: Header=BB257_1567 Depth=1
	s_or_b32 exec_lo, exec_lo, s13
	v_mov_b32_e32 v12, 24
	v_lshlrev_b32_e32 v8, 20, v8
	v_lshl_add_u32 v10, v10, 23, 0x3c000000
	v_lshlrev_b32_sdwa v12, v12, v32 dst_sel:DWORD dst_unused:UNUSED_PAD src0_sel:DWORD src1_sel:WORD_1
	v_and_b32_e32 v12, 0x80000000, v12
	v_or3_b32 v8, v8, v12, v10
	v_mov_b32_e32 v23, v9
	v_mov_b32_e32 v22, v8
.LBB257_2711:                           ;   in Loop: Header=BB257_1567 Depth=1
	s_or_b32 exec_lo, exec_lo, s12
.LBB257_2712:                           ;   in Loop: Header=BB257_1567 Depth=1
	s_or_b32 exec_lo, exec_lo, s9
.LBB257_2713:                           ;   in Loop: Header=BB257_1567 Depth=1
	s_or_b32 exec_lo, exec_lo, s8
	s_mov_b32 s8, exec_lo
	v_cmpx_lt_u32_e32 0xffffff, v32
	s_cbranch_execz .LBB257_2721
; %bb.2714:                             ;   in Loop: Header=BB257_1567 Depth=1
	v_mov_b32_e32 v10, v9
	v_mov_b32_e32 v21, v11
	v_cmp_ne_u32_sdwa s4, v32, v42 src0_sel:BYTE_3 src1_sel:DWORD
	v_mov_b32_e32 v20, v10
	s_and_saveexec_b32 s9, s4
	s_cbranch_execz .LBB257_2720
; %bb.2715:                             ;   in Loop: Header=BB257_1567 Depth=1
	v_mov_b32_e32 v12, v9
	v_mov_b32_e32 v21, v13
	v_bfe_u32 v33, v32, 24, 7
	s_mov_b32 s12, exec_lo
	v_mov_b32_e32 v20, v12
	v_cmpx_ne_u32_e32 0x7f, v33
	s_cbranch_execz .LBB257_2719
; %bb.2716:                             ;   in Loop: Header=BB257_1567 Depth=1
	v_mov_b32_e32 v8, 7
	v_lshrrev_b32_e32 v10, 3, v33
	s_mov_b32 s13, exec_lo
	v_and_b32_sdwa v8, v32, v8 dst_sel:DWORD dst_unused:UNUSED_PAD src0_sel:BYTE_3 src1_sel:DWORD
	v_mov_b32_e32 v21, v9
	v_mov_b32_e32 v20, v8
	v_cmpx_gt_u32_e32 8, v33
; %bb.2717:                             ;   in Loop: Header=BB257_1567 Depth=1
	v_ffbh_u32_e32 v10, v8
	v_min_u32_e32 v10, 32, v10
	v_subrev_nc_u32_e32 v12, 28, v10
	v_sub_nc_u32_e32 v10, 29, v10
	v_lshlrev_b64 v[20:21], v12, v[8:9]
	v_and_b32_e32 v20, 7, v20
; %bb.2718:                             ;   in Loop: Header=BB257_1567 Depth=1
	s_or_b32 exec_lo, exec_lo, s13
	v_mov_b32_e32 v8, 24
	v_lshlrev_b32_e32 v12, 20, v20
	v_lshl_add_u32 v10, v10, 23, 0x3c000000
	v_mov_b32_e32 v20, v9
	v_lshlrev_b32_sdwa v8, v8, v32 dst_sel:DWORD dst_unused:UNUSED_PAD src0_sel:DWORD src1_sel:BYTE_3
	v_and_b32_e32 v8, 0x80000000, v8
	v_or3_b32 v21, v12, v8, v10
.LBB257_2719:                           ;   in Loop: Header=BB257_1567 Depth=1
	s_or_b32 exec_lo, exec_lo, s12
.LBB257_2720:                           ;   in Loop: Header=BB257_1567 Depth=1
	s_or_b32 exec_lo, exec_lo, s9
.LBB257_2721:                           ;   in Loop: Header=BB257_1567 Depth=1
	s_or_b32 exec_lo, exec_lo, s8
	v_or_b32_e32 v8, v19, v17
	v_or_b32_e32 v10, v18, v16
	;; [unrolled: 1-line block ×4, first 2 shown]
	v_mul_f32_e32 v77, v60, v8
	v_mul_f32_e32 v76, v40, v10
	;; [unrolled: 1-line block ×4, first 2 shown]
	s_and_saveexec_b32 s8, vcc_lo
	s_cbranch_execz .LBB257_2723
; %bb.2722:                             ;   in Loop: Header=BB257_1567 Depth=1
	v_cmp_lt_i32_e64 s4, v89, v78
	v_cndmask_b32_e64 v76, 0, v76, s4
	v_cmp_lt_i32_e64 s4, v91, v78
	v_cndmask_b32_e64 v77, 0, v77, s4
	;; [unrolled: 2-line block ×4, first 2 shown]
.LBB257_2723:                           ;   in Loop: Header=BB257_1567 Depth=1
	s_or_b32 exec_lo, exec_lo, s8
	flat_load_dword v32, v[4:5] offset:256
	v_mov_b32_e32 v18, 0
	v_mov_b32_e32 v16, 0
	;; [unrolled: 1-line block ×4, first 2 shown]
	s_waitcnt vmcnt(0) lgkmcnt(0)
	v_cmp_ne_u16_sdwa s4, v32, v9 src0_sel:BYTE_0 src1_sel:DWORD
	s_and_saveexec_b32 s8, s4
	s_cbranch_execz .LBB257_2731
; %bb.2724:                             ;   in Loop: Header=BB257_1567 Depth=1
	v_bfrev_b32_e32 v16, 1
	v_mov_b32_e32 v17, 0
	v_cmp_ne_u16_sdwa s4, v32, v42 src0_sel:BYTE_0 src1_sel:DWORD
	s_and_saveexec_b32 s9, s4
	s_cbranch_execz .LBB257_2730
; %bb.2725:                             ;   in Loop: Header=BB257_1567 Depth=1
	v_mov_b32_e32 v16, 0x7f800001
	v_and_b32_e32 v12, 0x7f, v32
	v_mov_b32_e32 v17, 0
	s_mov_b32 s12, exec_lo
	v_cmpx_ne_u32_e32 0x7f, v12
	s_cbranch_execz .LBB257_2729
; %bb.2726:                             ;   in Loop: Header=BB257_1567 Depth=1
	v_and_b32_e32 v8, 7, v32
	v_mov_b32_e32 v17, v9
	v_lshrrev_b32_e32 v10, 3, v12
	s_mov_b32 s13, exec_lo
	v_mov_b32_e32 v16, v8
	v_cmpx_gt_u32_e32 8, v12
; %bb.2727:                             ;   in Loop: Header=BB257_1567 Depth=1
	v_ffbh_u32_e32 v10, v8
	v_min_u32_e32 v10, 32, v10
	v_subrev_nc_u32_e32 v12, 28, v10
	v_sub_nc_u32_e32 v10, 29, v10
	v_lshlrev_b64 v[16:17], v12, v[8:9]
	v_and_b32_e32 v16, 7, v16
; %bb.2728:                             ;   in Loop: Header=BB257_1567 Depth=1
	s_or_b32 exec_lo, exec_lo, s13
	v_lshlrev_b32_e32 v8, 24, v32
	v_lshlrev_b32_e32 v12, 20, v16
	v_lshl_add_u32 v10, v10, 23, 0x3c000000
	v_and_b32_e32 v8, 0x80000000, v8
	v_or3_b32 v8, v12, v8, v10
	v_mov_b32_e32 v17, v9
	v_mov_b32_e32 v16, v8
.LBB257_2729:                           ;   in Loop: Header=BB257_1567 Depth=1
	s_or_b32 exec_lo, exec_lo, s12
.LBB257_2730:                           ;   in Loop: Header=BB257_1567 Depth=1
	s_or_b32 exec_lo, exec_lo, s9
.LBB257_2731:                           ;   in Loop: Header=BB257_1567 Depth=1
	s_or_b32 exec_lo, exec_lo, s8
	v_cmp_ne_u16_sdwa s4, v32, v9 src0_sel:BYTE_1 src1_sel:DWORD
	s_and_saveexec_b32 s8, s4
	s_cbranch_execz .LBB257_2739
; %bb.2732:                             ;   in Loop: Header=BB257_1567 Depth=1
	v_mov_b32_e32 v10, v9
	v_mov_b32_e32 v19, v11
	v_cmp_ne_u16_sdwa s4, v32, v42 src0_sel:BYTE_1 src1_sel:DWORD
	v_mov_b32_e32 v18, v10
	s_and_saveexec_b32 s9, s4
	s_cbranch_execz .LBB257_2738
; %bb.2733:                             ;   in Loop: Header=BB257_1567 Depth=1
	v_mov_b32_e32 v8, 0xffff
	v_mov_b32_e32 v12, v9
	;; [unrolled: 1-line block ×3, first 2 shown]
	s_mov_b32 s12, exec_lo
	v_and_b32_sdwa v8, v8, v32 dst_sel:DWORD dst_unused:UNUSED_PAD src0_sel:DWORD src1_sel:BYTE_1
	v_mov_b32_e32 v18, v12
	v_and_b32_e32 v20, 0x7f, v8
	v_cmpx_ne_u32_e32 0x7f, v20
	s_cbranch_execz .LBB257_2737
; %bb.2734:                             ;   in Loop: Header=BB257_1567 Depth=1
	v_and_b32_e32 v8, 7, v8
	v_mov_b32_e32 v19, v9
	v_lshrrev_b32_e32 v10, 3, v20
	s_mov_b32 s13, exec_lo
	v_mov_b32_e32 v18, v8
	v_cmpx_gt_u32_e32 8, v20
; %bb.2735:                             ;   in Loop: Header=BB257_1567 Depth=1
	v_ffbh_u32_e32 v10, v8
	v_min_u32_e32 v10, 32, v10
	v_subrev_nc_u32_e32 v12, 28, v10
	v_sub_nc_u32_e32 v10, 29, v10
	v_lshlrev_b64 v[18:19], v12, v[8:9]
	v_and_b32_e32 v18, 7, v18
; %bb.2736:                             ;   in Loop: Header=BB257_1567 Depth=1
	s_or_b32 exec_lo, exec_lo, s13
	v_lshlrev_b32_e32 v8, 16, v32
	v_lshlrev_b32_e32 v12, 20, v18
	v_lshl_add_u32 v10, v10, 23, 0x3c000000
	v_mov_b32_e32 v18, v9
	v_and_b32_e32 v8, 0x80000000, v8
	v_or3_b32 v19, v12, v8, v10
.LBB257_2737:                           ;   in Loop: Header=BB257_1567 Depth=1
	s_or_b32 exec_lo, exec_lo, s12
.LBB257_2738:                           ;   in Loop: Header=BB257_1567 Depth=1
	s_or_b32 exec_lo, exec_lo, s9
.LBB257_2739:                           ;   in Loop: Header=BB257_1567 Depth=1
	s_or_b32 exec_lo, exec_lo, s8
	v_mov_b32_e32 v20, 0
	v_mov_b32_e32 v22, 0
	v_and_b32_sdwa v8, v32, v44 dst_sel:DWORD dst_unused:UNUSED_PAD src0_sel:WORD_1 src1_sel:DWORD
	v_mov_b32_e32 v21, 0
	v_mov_b32_e32 v23, 0
	s_mov_b32 s8, exec_lo
	v_cmpx_ne_u16_e32 0, v8
	s_cbranch_execz .LBB257_2747
; %bb.2740:                             ;   in Loop: Header=BB257_1567 Depth=1
	v_bfrev_b32_e32 v22, 1
	v_mov_b32_e32 v23, 0
	s_mov_b32 s9, exec_lo
	v_cmpx_ne_u16_e32 0x80, v8
	s_cbranch_execz .LBB257_2746
; %bb.2741:                             ;   in Loop: Header=BB257_1567 Depth=1
	v_mov_b32_e32 v22, 0x7f800001
	v_bfe_u32 v12, v32, 16, 7
	v_mov_b32_e32 v23, 0
	s_mov_b32 s12, exec_lo
	v_cmpx_ne_u32_e32 0x7f, v12
	s_cbranch_execz .LBB257_2745
; %bb.2742:                             ;   in Loop: Header=BB257_1567 Depth=1
	v_mov_b32_e32 v8, 7
	v_lshrrev_b32_e32 v10, 3, v12
	s_mov_b32 s13, exec_lo
	v_and_b32_sdwa v8, v32, v8 dst_sel:DWORD dst_unused:UNUSED_PAD src0_sel:WORD_1 src1_sel:DWORD
	v_mov_b32_e32 v23, v9
	v_mov_b32_e32 v22, v8
	v_cmpx_gt_u32_e32 8, v12
; %bb.2743:                             ;   in Loop: Header=BB257_1567 Depth=1
	v_ffbh_u32_e32 v10, v8
	v_min_u32_e32 v10, 32, v10
	v_subrev_nc_u32_e32 v12, 28, v10
	v_sub_nc_u32_e32 v10, 29, v10
	v_lshlrev_b64 v[22:23], v12, v[8:9]
	v_and_b32_e32 v22, 7, v22
; %bb.2744:                             ;   in Loop: Header=BB257_1567 Depth=1
	s_or_b32 exec_lo, exec_lo, s13
	v_mov_b32_e32 v8, 24
	v_lshlrev_b32_e32 v12, 20, v22
	v_lshl_add_u32 v10, v10, 23, 0x3c000000
	v_lshlrev_b32_sdwa v8, v8, v32 dst_sel:DWORD dst_unused:UNUSED_PAD src0_sel:DWORD src1_sel:WORD_1
	v_and_b32_e32 v8, 0x80000000, v8
	v_or3_b32 v8, v12, v8, v10
	v_mov_b32_e32 v23, v9
	v_mov_b32_e32 v22, v8
.LBB257_2745:                           ;   in Loop: Header=BB257_1567 Depth=1
	s_or_b32 exec_lo, exec_lo, s12
.LBB257_2746:                           ;   in Loop: Header=BB257_1567 Depth=1
	s_or_b32 exec_lo, exec_lo, s9
.LBB257_2747:                           ;   in Loop: Header=BB257_1567 Depth=1
	s_or_b32 exec_lo, exec_lo, s8
	s_mov_b32 s8, exec_lo
	v_cmpx_lt_u32_e32 0xffffff, v32
	s_cbranch_execz .LBB257_2755
; %bb.2748:                             ;   in Loop: Header=BB257_1567 Depth=1
	v_mov_b32_e32 v10, v9
	v_mov_b32_e32 v21, v11
	v_cmp_ne_u32_sdwa s4, v32, v42 src0_sel:BYTE_3 src1_sel:DWORD
	v_mov_b32_e32 v20, v10
	s_and_saveexec_b32 s9, s4
	s_cbranch_execz .LBB257_2754
; %bb.2749:                             ;   in Loop: Header=BB257_1567 Depth=1
	v_mov_b32_e32 v12, v9
	v_mov_b32_e32 v21, v13
	v_bfe_u32 v33, v32, 24, 7
	s_mov_b32 s12, exec_lo
	v_mov_b32_e32 v20, v12
	v_cmpx_ne_u32_e32 0x7f, v33
	s_cbranch_execz .LBB257_2753
; %bb.2750:                             ;   in Loop: Header=BB257_1567 Depth=1
	v_mov_b32_e32 v8, 7
	v_lshrrev_b32_e32 v10, 3, v33
	s_mov_b32 s13, exec_lo
	v_and_b32_sdwa v8, v32, v8 dst_sel:DWORD dst_unused:UNUSED_PAD src0_sel:BYTE_3 src1_sel:DWORD
	v_mov_b32_e32 v21, v9
	v_mov_b32_e32 v20, v8
	v_cmpx_gt_u32_e32 8, v33
; %bb.2751:                             ;   in Loop: Header=BB257_1567 Depth=1
	v_ffbh_u32_e32 v10, v8
	v_min_u32_e32 v10, 32, v10
	v_subrev_nc_u32_e32 v12, 28, v10
	v_sub_nc_u32_e32 v10, 29, v10
	v_lshlrev_b64 v[20:21], v12, v[8:9]
	v_and_b32_e32 v20, 7, v20
; %bb.2752:                             ;   in Loop: Header=BB257_1567 Depth=1
	s_or_b32 exec_lo, exec_lo, s13
	v_mov_b32_e32 v8, 24
	v_lshlrev_b32_e32 v12, 20, v20
	v_lshl_add_u32 v10, v10, 23, 0x3c000000
	v_mov_b32_e32 v20, v9
	v_lshlrev_b32_sdwa v8, v8, v32 dst_sel:DWORD dst_unused:UNUSED_PAD src0_sel:DWORD src1_sel:BYTE_3
	v_and_b32_e32 v8, 0x80000000, v8
	v_or3_b32 v21, v12, v8, v10
.LBB257_2753:                           ;   in Loop: Header=BB257_1567 Depth=1
	s_or_b32 exec_lo, exec_lo, s12
.LBB257_2754:                           ;   in Loop: Header=BB257_1567 Depth=1
	s_or_b32 exec_lo, exec_lo, s9
.LBB257_2755:                           ;   in Loop: Header=BB257_1567 Depth=1
	s_or_b32 exec_lo, exec_lo, s8
	v_or_b32_e32 v8, v19, v17
	v_or_b32_e32 v10, v18, v16
	;; [unrolled: 1-line block ×4, first 2 shown]
	v_mul_f32_e32 v125, v60, v8
	v_mul_f32_e32 v45, v40, v10
	;; [unrolled: 1-line block ×4, first 2 shown]
	s_and_saveexec_b32 s8, vcc_lo
	s_cbranch_execz .LBB257_2757
; %bb.2756:                             ;   in Loop: Header=BB257_1567 Depth=1
	v_cmp_lt_i32_e64 s4, v89, v78
	v_cndmask_b32_e64 v45, 0, v45, s4
	v_cmp_lt_i32_e64 s4, v91, v78
	v_cndmask_b32_e64 v125, 0, v125, s4
	;; [unrolled: 2-line block ×4, first 2 shown]
.LBB257_2757:                           ;   in Loop: Header=BB257_1567 Depth=1
	s_or_b32 exec_lo, exec_lo, s8
	flat_load_dword v32, v[4:5] offset:384
	v_mov_b32_e32 v18, 0
	v_mov_b32_e32 v16, 0
	;; [unrolled: 1-line block ×4, first 2 shown]
	s_waitcnt vmcnt(0) lgkmcnt(0)
	v_cmp_ne_u16_sdwa s4, v32, v9 src0_sel:BYTE_0 src1_sel:DWORD
	s_and_saveexec_b32 s8, s4
	s_cbranch_execz .LBB257_2765
; %bb.2758:                             ;   in Loop: Header=BB257_1567 Depth=1
	v_bfrev_b32_e32 v16, 1
	v_mov_b32_e32 v17, 0
	v_cmp_ne_u16_sdwa s4, v32, v42 src0_sel:BYTE_0 src1_sel:DWORD
	s_and_saveexec_b32 s9, s4
	s_cbranch_execz .LBB257_2764
; %bb.2759:                             ;   in Loop: Header=BB257_1567 Depth=1
	v_mov_b32_e32 v16, 0x7f800001
	v_and_b32_e32 v12, 0x7f, v32
	v_mov_b32_e32 v17, 0
	s_mov_b32 s12, exec_lo
	v_cmpx_ne_u32_e32 0x7f, v12
	s_cbranch_execz .LBB257_2763
; %bb.2760:                             ;   in Loop: Header=BB257_1567 Depth=1
	v_and_b32_e32 v8, 7, v32
	v_mov_b32_e32 v17, v9
	v_lshrrev_b32_e32 v10, 3, v12
	s_mov_b32 s13, exec_lo
	v_mov_b32_e32 v16, v8
	v_cmpx_gt_u32_e32 8, v12
; %bb.2761:                             ;   in Loop: Header=BB257_1567 Depth=1
	v_ffbh_u32_e32 v10, v8
	v_min_u32_e32 v10, 32, v10
	v_subrev_nc_u32_e32 v12, 28, v10
	v_sub_nc_u32_e32 v10, 29, v10
	v_lshlrev_b64 v[16:17], v12, v[8:9]
	v_and_b32_e32 v16, 7, v16
; %bb.2762:                             ;   in Loop: Header=BB257_1567 Depth=1
	s_or_b32 exec_lo, exec_lo, s13
	v_lshlrev_b32_e32 v8, 24, v32
	v_lshlrev_b32_e32 v12, 20, v16
	v_lshl_add_u32 v10, v10, 23, 0x3c000000
	v_and_b32_e32 v8, 0x80000000, v8
	v_or3_b32 v8, v12, v8, v10
	v_mov_b32_e32 v17, v9
	v_mov_b32_e32 v16, v8
.LBB257_2763:                           ;   in Loop: Header=BB257_1567 Depth=1
	s_or_b32 exec_lo, exec_lo, s12
.LBB257_2764:                           ;   in Loop: Header=BB257_1567 Depth=1
	s_or_b32 exec_lo, exec_lo, s9
.LBB257_2765:                           ;   in Loop: Header=BB257_1567 Depth=1
	s_or_b32 exec_lo, exec_lo, s8
	v_cmp_ne_u16_sdwa s4, v32, v9 src0_sel:BYTE_1 src1_sel:DWORD
	s_and_saveexec_b32 s8, s4
	s_cbranch_execz .LBB257_2773
; %bb.2766:                             ;   in Loop: Header=BB257_1567 Depth=1
	v_mov_b32_e32 v10, v9
	v_mov_b32_e32 v19, v11
	v_cmp_ne_u16_sdwa s4, v32, v42 src0_sel:BYTE_1 src1_sel:DWORD
	v_mov_b32_e32 v18, v10
	s_and_saveexec_b32 s9, s4
	s_cbranch_execz .LBB257_2772
; %bb.2767:                             ;   in Loop: Header=BB257_1567 Depth=1
	v_mov_b32_e32 v8, 0xffff
	v_mov_b32_e32 v12, v9
	;; [unrolled: 1-line block ×3, first 2 shown]
	s_mov_b32 s12, exec_lo
	v_and_b32_sdwa v8, v8, v32 dst_sel:DWORD dst_unused:UNUSED_PAD src0_sel:DWORD src1_sel:BYTE_1
	v_mov_b32_e32 v18, v12
	v_and_b32_e32 v20, 0x7f, v8
	v_cmpx_ne_u32_e32 0x7f, v20
	s_cbranch_execz .LBB257_2771
; %bb.2768:                             ;   in Loop: Header=BB257_1567 Depth=1
	v_and_b32_e32 v8, 7, v8
	v_mov_b32_e32 v19, v9
	v_lshrrev_b32_e32 v10, 3, v20
	s_mov_b32 s13, exec_lo
	v_mov_b32_e32 v18, v8
	v_cmpx_gt_u32_e32 8, v20
; %bb.2769:                             ;   in Loop: Header=BB257_1567 Depth=1
	v_ffbh_u32_e32 v10, v8
	v_min_u32_e32 v10, 32, v10
	v_subrev_nc_u32_e32 v12, 28, v10
	v_sub_nc_u32_e32 v10, 29, v10
	v_lshlrev_b64 v[18:19], v12, v[8:9]
	v_and_b32_e32 v18, 7, v18
; %bb.2770:                             ;   in Loop: Header=BB257_1567 Depth=1
	s_or_b32 exec_lo, exec_lo, s13
	v_lshlrev_b32_e32 v8, 16, v32
	v_lshlrev_b32_e32 v12, 20, v18
	v_lshl_add_u32 v10, v10, 23, 0x3c000000
	v_mov_b32_e32 v18, v9
	v_and_b32_e32 v8, 0x80000000, v8
	v_or3_b32 v19, v12, v8, v10
.LBB257_2771:                           ;   in Loop: Header=BB257_1567 Depth=1
	s_or_b32 exec_lo, exec_lo, s12
.LBB257_2772:                           ;   in Loop: Header=BB257_1567 Depth=1
	s_or_b32 exec_lo, exec_lo, s9
.LBB257_2773:                           ;   in Loop: Header=BB257_1567 Depth=1
	s_or_b32 exec_lo, exec_lo, s8
	v_mov_b32_e32 v20, 0
	v_mov_b32_e32 v22, 0
	v_and_b32_sdwa v8, v32, v44 dst_sel:DWORD dst_unused:UNUSED_PAD src0_sel:WORD_1 src1_sel:DWORD
	v_mov_b32_e32 v21, 0
	v_mov_b32_e32 v23, 0
	s_mov_b32 s8, exec_lo
	v_cmpx_ne_u16_e32 0, v8
	s_cbranch_execz .LBB257_2781
; %bb.2774:                             ;   in Loop: Header=BB257_1567 Depth=1
	v_bfrev_b32_e32 v22, 1
	v_mov_b32_e32 v23, 0
	s_mov_b32 s9, exec_lo
	v_cmpx_ne_u16_e32 0x80, v8
	s_cbranch_execz .LBB257_2780
; %bb.2775:                             ;   in Loop: Header=BB257_1567 Depth=1
	v_mov_b32_e32 v22, 0x7f800001
	v_bfe_u32 v12, v32, 16, 7
	v_mov_b32_e32 v23, 0
	s_mov_b32 s12, exec_lo
	v_cmpx_ne_u32_e32 0x7f, v12
	s_cbranch_execz .LBB257_2779
; %bb.2776:                             ;   in Loop: Header=BB257_1567 Depth=1
	v_mov_b32_e32 v8, 7
	v_lshrrev_b32_e32 v10, 3, v12
	s_mov_b32 s13, exec_lo
	v_and_b32_sdwa v8, v32, v8 dst_sel:DWORD dst_unused:UNUSED_PAD src0_sel:WORD_1 src1_sel:DWORD
	v_mov_b32_e32 v23, v9
	v_mov_b32_e32 v22, v8
	v_cmpx_gt_u32_e32 8, v12
; %bb.2777:                             ;   in Loop: Header=BB257_1567 Depth=1
	v_ffbh_u32_e32 v10, v8
	v_min_u32_e32 v10, 32, v10
	v_subrev_nc_u32_e32 v12, 28, v10
	v_sub_nc_u32_e32 v10, 29, v10
	v_lshlrev_b64 v[22:23], v12, v[8:9]
	v_and_b32_e32 v22, 7, v22
; %bb.2778:                             ;   in Loop: Header=BB257_1567 Depth=1
	s_or_b32 exec_lo, exec_lo, s13
	v_mov_b32_e32 v8, 24
	v_lshlrev_b32_e32 v12, 20, v22
	v_lshl_add_u32 v10, v10, 23, 0x3c000000
	v_lshlrev_b32_sdwa v8, v8, v32 dst_sel:DWORD dst_unused:UNUSED_PAD src0_sel:DWORD src1_sel:WORD_1
	v_and_b32_e32 v8, 0x80000000, v8
	v_or3_b32 v8, v12, v8, v10
	v_mov_b32_e32 v23, v9
	v_mov_b32_e32 v22, v8
.LBB257_2779:                           ;   in Loop: Header=BB257_1567 Depth=1
	s_or_b32 exec_lo, exec_lo, s12
.LBB257_2780:                           ;   in Loop: Header=BB257_1567 Depth=1
	s_or_b32 exec_lo, exec_lo, s9
.LBB257_2781:                           ;   in Loop: Header=BB257_1567 Depth=1
	s_or_b32 exec_lo, exec_lo, s8
	s_mov_b32 s8, exec_lo
	v_cmpx_lt_u32_e32 0xffffff, v32
	s_cbranch_execz .LBB257_2789
; %bb.2782:                             ;   in Loop: Header=BB257_1567 Depth=1
	v_mov_b32_e32 v10, v9
	v_mov_b32_e32 v21, v11
	v_cmp_ne_u32_sdwa s4, v32, v42 src0_sel:BYTE_3 src1_sel:DWORD
	v_mov_b32_e32 v20, v10
	s_and_saveexec_b32 s9, s4
	s_cbranch_execz .LBB257_2788
; %bb.2783:                             ;   in Loop: Header=BB257_1567 Depth=1
	v_mov_b32_e32 v12, v9
	v_mov_b32_e32 v21, v13
	v_bfe_u32 v33, v32, 24, 7
	s_mov_b32 s12, exec_lo
	v_mov_b32_e32 v20, v12
	v_cmpx_ne_u32_e32 0x7f, v33
	s_cbranch_execz .LBB257_2787
; %bb.2784:                             ;   in Loop: Header=BB257_1567 Depth=1
	v_mov_b32_e32 v8, 7
	v_lshrrev_b32_e32 v10, 3, v33
	s_mov_b32 s13, exec_lo
	v_and_b32_sdwa v8, v32, v8 dst_sel:DWORD dst_unused:UNUSED_PAD src0_sel:BYTE_3 src1_sel:DWORD
	v_mov_b32_e32 v21, v9
	v_mov_b32_e32 v20, v8
	v_cmpx_gt_u32_e32 8, v33
; %bb.2785:                             ;   in Loop: Header=BB257_1567 Depth=1
	v_ffbh_u32_e32 v10, v8
	v_min_u32_e32 v10, 32, v10
	v_subrev_nc_u32_e32 v12, 28, v10
	v_sub_nc_u32_e32 v10, 29, v10
	v_lshlrev_b64 v[20:21], v12, v[8:9]
	v_and_b32_e32 v20, 7, v20
; %bb.2786:                             ;   in Loop: Header=BB257_1567 Depth=1
	s_or_b32 exec_lo, exec_lo, s13
	v_mov_b32_e32 v8, 24
	v_lshlrev_b32_e32 v12, 20, v20
	v_lshl_add_u32 v10, v10, 23, 0x3c000000
	v_mov_b32_e32 v20, v9
	v_lshlrev_b32_sdwa v8, v8, v32 dst_sel:DWORD dst_unused:UNUSED_PAD src0_sel:DWORD src1_sel:BYTE_3
	v_and_b32_e32 v8, 0x80000000, v8
	v_or3_b32 v21, v12, v8, v10
.LBB257_2787:                           ;   in Loop: Header=BB257_1567 Depth=1
	s_or_b32 exec_lo, exec_lo, s12
.LBB257_2788:                           ;   in Loop: Header=BB257_1567 Depth=1
	s_or_b32 exec_lo, exec_lo, s9
.LBB257_2789:                           ;   in Loop: Header=BB257_1567 Depth=1
	s_or_b32 exec_lo, exec_lo, s8
	v_or_b32_e32 v8, v19, v17
	v_or_b32_e32 v10, v18, v16
	;; [unrolled: 1-line block ×4, first 2 shown]
	v_mul_f32_e32 v93, v60, v8
	v_mul_f32_e32 v92, v40, v10
	;; [unrolled: 1-line block ×4, first 2 shown]
	s_and_saveexec_b32 s8, vcc_lo
	s_cbranch_execz .LBB257_2791
; %bb.2790:                             ;   in Loop: Header=BB257_1567 Depth=1
	v_cmp_lt_i32_e64 s4, v89, v78
	v_cndmask_b32_e64 v92, 0, v92, s4
	v_cmp_lt_i32_e64 s4, v91, v78
	v_cndmask_b32_e64 v93, 0, v93, s4
	;; [unrolled: 2-line block ×4, first 2 shown]
.LBB257_2791:                           ;   in Loop: Header=BB257_1567 Depth=1
	s_or_b32 exec_lo, exec_lo, s8
	flat_load_dword v32, v[4:5] offset:512
	v_mov_b32_e32 v18, 0
	v_mov_b32_e32 v16, 0
	;; [unrolled: 1-line block ×4, first 2 shown]
	s_waitcnt vmcnt(0) lgkmcnt(0)
	v_cmp_ne_u16_sdwa s4, v32, v9 src0_sel:BYTE_0 src1_sel:DWORD
	s_and_saveexec_b32 s8, s4
	s_cbranch_execz .LBB257_2799
; %bb.2792:                             ;   in Loop: Header=BB257_1567 Depth=1
	v_bfrev_b32_e32 v16, 1
	v_mov_b32_e32 v17, 0
	v_cmp_ne_u16_sdwa s4, v32, v42 src0_sel:BYTE_0 src1_sel:DWORD
	s_and_saveexec_b32 s9, s4
	s_cbranch_execz .LBB257_2798
; %bb.2793:                             ;   in Loop: Header=BB257_1567 Depth=1
	v_mov_b32_e32 v16, 0x7f800001
	v_and_b32_e32 v12, 0x7f, v32
	v_mov_b32_e32 v17, 0
	s_mov_b32 s12, exec_lo
	v_cmpx_ne_u32_e32 0x7f, v12
	s_cbranch_execz .LBB257_2797
; %bb.2794:                             ;   in Loop: Header=BB257_1567 Depth=1
	v_and_b32_e32 v8, 7, v32
	v_mov_b32_e32 v17, v9
	v_lshrrev_b32_e32 v10, 3, v12
	s_mov_b32 s13, exec_lo
	v_mov_b32_e32 v16, v8
	v_cmpx_gt_u32_e32 8, v12
; %bb.2795:                             ;   in Loop: Header=BB257_1567 Depth=1
	v_ffbh_u32_e32 v10, v8
	v_min_u32_e32 v10, 32, v10
	v_subrev_nc_u32_e32 v12, 28, v10
	v_sub_nc_u32_e32 v10, 29, v10
	v_lshlrev_b64 v[16:17], v12, v[8:9]
	v_and_b32_e32 v16, 7, v16
; %bb.2796:                             ;   in Loop: Header=BB257_1567 Depth=1
	s_or_b32 exec_lo, exec_lo, s13
	v_lshlrev_b32_e32 v8, 24, v32
	v_lshlrev_b32_e32 v12, 20, v16
	v_lshl_add_u32 v10, v10, 23, 0x3c000000
	v_and_b32_e32 v8, 0x80000000, v8
	v_or3_b32 v8, v12, v8, v10
	v_mov_b32_e32 v17, v9
	v_mov_b32_e32 v16, v8
.LBB257_2797:                           ;   in Loop: Header=BB257_1567 Depth=1
	s_or_b32 exec_lo, exec_lo, s12
.LBB257_2798:                           ;   in Loop: Header=BB257_1567 Depth=1
	s_or_b32 exec_lo, exec_lo, s9
.LBB257_2799:                           ;   in Loop: Header=BB257_1567 Depth=1
	s_or_b32 exec_lo, exec_lo, s8
	v_cmp_ne_u16_sdwa s4, v32, v9 src0_sel:BYTE_1 src1_sel:DWORD
	s_and_saveexec_b32 s8, s4
	s_cbranch_execz .LBB257_2807
; %bb.2800:                             ;   in Loop: Header=BB257_1567 Depth=1
	v_mov_b32_e32 v10, v9
	v_mov_b32_e32 v19, v11
	v_cmp_ne_u16_sdwa s4, v32, v42 src0_sel:BYTE_1 src1_sel:DWORD
	v_mov_b32_e32 v18, v10
	s_and_saveexec_b32 s9, s4
	s_cbranch_execz .LBB257_2806
; %bb.2801:                             ;   in Loop: Header=BB257_1567 Depth=1
	v_mov_b32_e32 v8, 0xffff
	v_mov_b32_e32 v12, v9
	;; [unrolled: 1-line block ×3, first 2 shown]
	s_mov_b32 s12, exec_lo
	v_and_b32_sdwa v8, v8, v32 dst_sel:DWORD dst_unused:UNUSED_PAD src0_sel:DWORD src1_sel:BYTE_1
	v_mov_b32_e32 v18, v12
	v_and_b32_e32 v20, 0x7f, v8
	v_cmpx_ne_u32_e32 0x7f, v20
	s_cbranch_execz .LBB257_2805
; %bb.2802:                             ;   in Loop: Header=BB257_1567 Depth=1
	v_and_b32_e32 v8, 7, v8
	v_mov_b32_e32 v19, v9
	v_lshrrev_b32_e32 v10, 3, v20
	s_mov_b32 s13, exec_lo
	v_mov_b32_e32 v18, v8
	v_cmpx_gt_u32_e32 8, v20
; %bb.2803:                             ;   in Loop: Header=BB257_1567 Depth=1
	v_ffbh_u32_e32 v10, v8
	v_min_u32_e32 v10, 32, v10
	v_subrev_nc_u32_e32 v12, 28, v10
	v_sub_nc_u32_e32 v10, 29, v10
	v_lshlrev_b64 v[18:19], v12, v[8:9]
	v_and_b32_e32 v18, 7, v18
; %bb.2804:                             ;   in Loop: Header=BB257_1567 Depth=1
	s_or_b32 exec_lo, exec_lo, s13
	v_lshlrev_b32_e32 v8, 16, v32
	v_lshlrev_b32_e32 v12, 20, v18
	v_lshl_add_u32 v10, v10, 23, 0x3c000000
	v_mov_b32_e32 v18, v9
	v_and_b32_e32 v8, 0x80000000, v8
	v_or3_b32 v19, v12, v8, v10
.LBB257_2805:                           ;   in Loop: Header=BB257_1567 Depth=1
	s_or_b32 exec_lo, exec_lo, s12
.LBB257_2806:                           ;   in Loop: Header=BB257_1567 Depth=1
	s_or_b32 exec_lo, exec_lo, s9
.LBB257_2807:                           ;   in Loop: Header=BB257_1567 Depth=1
	s_or_b32 exec_lo, exec_lo, s8
	v_mov_b32_e32 v20, 0
	v_mov_b32_e32 v22, 0
	v_and_b32_sdwa v8, v32, v44 dst_sel:DWORD dst_unused:UNUSED_PAD src0_sel:WORD_1 src1_sel:DWORD
	v_mov_b32_e32 v21, 0
	v_mov_b32_e32 v23, 0
	s_mov_b32 s8, exec_lo
	v_cmpx_ne_u16_e32 0, v8
	s_cbranch_execz .LBB257_2815
; %bb.2808:                             ;   in Loop: Header=BB257_1567 Depth=1
	v_bfrev_b32_e32 v22, 1
	v_mov_b32_e32 v23, 0
	s_mov_b32 s9, exec_lo
	v_cmpx_ne_u16_e32 0x80, v8
	s_cbranch_execz .LBB257_2814
; %bb.2809:                             ;   in Loop: Header=BB257_1567 Depth=1
	v_mov_b32_e32 v22, 0x7f800001
	v_bfe_u32 v12, v32, 16, 7
	v_mov_b32_e32 v23, 0
	s_mov_b32 s12, exec_lo
	v_cmpx_ne_u32_e32 0x7f, v12
	s_cbranch_execz .LBB257_2813
; %bb.2810:                             ;   in Loop: Header=BB257_1567 Depth=1
	v_mov_b32_e32 v8, 7
	v_lshrrev_b32_e32 v10, 3, v12
	s_mov_b32 s13, exec_lo
	v_and_b32_sdwa v8, v32, v8 dst_sel:DWORD dst_unused:UNUSED_PAD src0_sel:WORD_1 src1_sel:DWORD
	v_mov_b32_e32 v23, v9
	v_mov_b32_e32 v22, v8
	v_cmpx_gt_u32_e32 8, v12
; %bb.2811:                             ;   in Loop: Header=BB257_1567 Depth=1
	v_ffbh_u32_e32 v10, v8
	v_min_u32_e32 v10, 32, v10
	v_subrev_nc_u32_e32 v12, 28, v10
	v_sub_nc_u32_e32 v10, 29, v10
	v_lshlrev_b64 v[22:23], v12, v[8:9]
	v_and_b32_e32 v22, 7, v22
; %bb.2812:                             ;   in Loop: Header=BB257_1567 Depth=1
	s_or_b32 exec_lo, exec_lo, s13
	v_mov_b32_e32 v8, 24
	v_lshlrev_b32_e32 v12, 20, v22
	v_lshl_add_u32 v10, v10, 23, 0x3c000000
	v_lshlrev_b32_sdwa v8, v8, v32 dst_sel:DWORD dst_unused:UNUSED_PAD src0_sel:DWORD src1_sel:WORD_1
	v_and_b32_e32 v8, 0x80000000, v8
	v_or3_b32 v8, v12, v8, v10
	v_mov_b32_e32 v23, v9
	v_mov_b32_e32 v22, v8
.LBB257_2813:                           ;   in Loop: Header=BB257_1567 Depth=1
	s_or_b32 exec_lo, exec_lo, s12
.LBB257_2814:                           ;   in Loop: Header=BB257_1567 Depth=1
	s_or_b32 exec_lo, exec_lo, s9
.LBB257_2815:                           ;   in Loop: Header=BB257_1567 Depth=1
	s_or_b32 exec_lo, exec_lo, s8
	s_mov_b32 s8, exec_lo
	v_cmpx_lt_u32_e32 0xffffff, v32
	s_cbranch_execz .LBB257_2823
; %bb.2816:                             ;   in Loop: Header=BB257_1567 Depth=1
	v_mov_b32_e32 v10, v9
	v_mov_b32_e32 v21, v11
	v_cmp_ne_u32_sdwa s4, v32, v42 src0_sel:BYTE_3 src1_sel:DWORD
	v_mov_b32_e32 v20, v10
	s_and_saveexec_b32 s9, s4
	s_cbranch_execz .LBB257_2822
; %bb.2817:                             ;   in Loop: Header=BB257_1567 Depth=1
	v_mov_b32_e32 v12, v9
	v_mov_b32_e32 v21, v13
	v_bfe_u32 v33, v32, 24, 7
	s_mov_b32 s12, exec_lo
	v_mov_b32_e32 v20, v12
	v_cmpx_ne_u32_e32 0x7f, v33
	s_cbranch_execz .LBB257_2821
; %bb.2818:                             ;   in Loop: Header=BB257_1567 Depth=1
	v_mov_b32_e32 v8, 7
	v_lshrrev_b32_e32 v10, 3, v33
	s_mov_b32 s13, exec_lo
	v_and_b32_sdwa v8, v32, v8 dst_sel:DWORD dst_unused:UNUSED_PAD src0_sel:BYTE_3 src1_sel:DWORD
	v_mov_b32_e32 v21, v9
	v_mov_b32_e32 v20, v8
	v_cmpx_gt_u32_e32 8, v33
; %bb.2819:                             ;   in Loop: Header=BB257_1567 Depth=1
	v_ffbh_u32_e32 v10, v8
	v_min_u32_e32 v10, 32, v10
	v_subrev_nc_u32_e32 v12, 28, v10
	v_sub_nc_u32_e32 v10, 29, v10
	v_lshlrev_b64 v[20:21], v12, v[8:9]
	v_and_b32_e32 v20, 7, v20
; %bb.2820:                             ;   in Loop: Header=BB257_1567 Depth=1
	s_or_b32 exec_lo, exec_lo, s13
	v_mov_b32_e32 v8, 24
	v_lshlrev_b32_e32 v12, 20, v20
	v_lshl_add_u32 v10, v10, 23, 0x3c000000
	v_mov_b32_e32 v20, v9
	v_lshlrev_b32_sdwa v8, v8, v32 dst_sel:DWORD dst_unused:UNUSED_PAD src0_sel:DWORD src1_sel:BYTE_3
	v_and_b32_e32 v8, 0x80000000, v8
	v_or3_b32 v21, v12, v8, v10
.LBB257_2821:                           ;   in Loop: Header=BB257_1567 Depth=1
	s_or_b32 exec_lo, exec_lo, s12
.LBB257_2822:                           ;   in Loop: Header=BB257_1567 Depth=1
	s_or_b32 exec_lo, exec_lo, s9
.LBB257_2823:                           ;   in Loop: Header=BB257_1567 Depth=1
	s_or_b32 exec_lo, exec_lo, s8
	v_or_b32_e32 v8, v19, v17
	v_or_b32_e32 v10, v18, v16
	v_or_b32_e32 v12, v20, v22
	v_or_b32_e32 v14, v21, v23
	v_mul_f32_e32 v35, v60, v8
	v_mul_f32_e32 v34, v40, v10
	;; [unrolled: 1-line block ×4, first 2 shown]
	s_and_saveexec_b32 s8, vcc_lo
	s_cbranch_execz .LBB257_2825
; %bb.2824:                             ;   in Loop: Header=BB257_1567 Depth=1
	v_cmp_lt_i32_e64 s4, v89, v78
	v_cndmask_b32_e64 v34, 0, v34, s4
	v_cmp_lt_i32_e64 s4, v91, v78
	v_cndmask_b32_e64 v35, 0, v35, s4
	;; [unrolled: 2-line block ×4, first 2 shown]
.LBB257_2825:                           ;   in Loop: Header=BB257_1567 Depth=1
	s_or_b32 exec_lo, exec_lo, s8
	flat_load_dword v36, v[4:5] offset:640
	v_mov_b32_e32 v18, 0
	v_mov_b32_e32 v16, 0
	;; [unrolled: 1-line block ×4, first 2 shown]
	s_waitcnt vmcnt(0) lgkmcnt(0)
	v_cmp_ne_u16_sdwa s4, v36, v9 src0_sel:BYTE_0 src1_sel:DWORD
	s_and_saveexec_b32 s8, s4
	s_cbranch_execz .LBB257_2833
; %bb.2826:                             ;   in Loop: Header=BB257_1567 Depth=1
	v_bfrev_b32_e32 v16, 1
	v_mov_b32_e32 v17, 0
	v_cmp_ne_u16_sdwa s4, v36, v42 src0_sel:BYTE_0 src1_sel:DWORD
	s_and_saveexec_b32 s9, s4
	s_cbranch_execz .LBB257_2832
; %bb.2827:                             ;   in Loop: Header=BB257_1567 Depth=1
	v_mov_b32_e32 v16, 0x7f800001
	v_and_b32_e32 v12, 0x7f, v36
	v_mov_b32_e32 v17, 0
	s_mov_b32 s12, exec_lo
	v_cmpx_ne_u32_e32 0x7f, v12
	s_cbranch_execz .LBB257_2831
; %bb.2828:                             ;   in Loop: Header=BB257_1567 Depth=1
	v_and_b32_e32 v8, 7, v36
	v_mov_b32_e32 v17, v9
	v_lshrrev_b32_e32 v10, 3, v12
	s_mov_b32 s13, exec_lo
	v_mov_b32_e32 v16, v8
	v_cmpx_gt_u32_e32 8, v12
; %bb.2829:                             ;   in Loop: Header=BB257_1567 Depth=1
	v_ffbh_u32_e32 v10, v8
	v_min_u32_e32 v10, 32, v10
	v_subrev_nc_u32_e32 v12, 28, v10
	v_sub_nc_u32_e32 v10, 29, v10
	v_lshlrev_b64 v[16:17], v12, v[8:9]
	v_and_b32_e32 v16, 7, v16
; %bb.2830:                             ;   in Loop: Header=BB257_1567 Depth=1
	s_or_b32 exec_lo, exec_lo, s13
	v_lshlrev_b32_e32 v8, 24, v36
	v_lshlrev_b32_e32 v12, 20, v16
	v_lshl_add_u32 v10, v10, 23, 0x3c000000
	v_and_b32_e32 v8, 0x80000000, v8
	v_or3_b32 v8, v12, v8, v10
	v_mov_b32_e32 v17, v9
	v_mov_b32_e32 v16, v8
.LBB257_2831:                           ;   in Loop: Header=BB257_1567 Depth=1
	s_or_b32 exec_lo, exec_lo, s12
.LBB257_2832:                           ;   in Loop: Header=BB257_1567 Depth=1
	s_or_b32 exec_lo, exec_lo, s9
.LBB257_2833:                           ;   in Loop: Header=BB257_1567 Depth=1
	s_or_b32 exec_lo, exec_lo, s8
	v_cmp_ne_u16_sdwa s4, v36, v9 src0_sel:BYTE_1 src1_sel:DWORD
	s_and_saveexec_b32 s8, s4
	s_cbranch_execz .LBB257_2841
; %bb.2834:                             ;   in Loop: Header=BB257_1567 Depth=1
	v_mov_b32_e32 v10, v9
	v_mov_b32_e32 v19, v11
	v_cmp_ne_u16_sdwa s4, v36, v42 src0_sel:BYTE_1 src1_sel:DWORD
	v_mov_b32_e32 v18, v10
	s_and_saveexec_b32 s9, s4
	s_cbranch_execz .LBB257_2840
; %bb.2835:                             ;   in Loop: Header=BB257_1567 Depth=1
	v_mov_b32_e32 v8, 0xffff
	v_mov_b32_e32 v12, v9
	;; [unrolled: 1-line block ×3, first 2 shown]
	s_mov_b32 s12, exec_lo
	v_and_b32_sdwa v8, v8, v36 dst_sel:DWORD dst_unused:UNUSED_PAD src0_sel:DWORD src1_sel:BYTE_1
	v_mov_b32_e32 v18, v12
	v_and_b32_e32 v20, 0x7f, v8
	v_cmpx_ne_u32_e32 0x7f, v20
	s_cbranch_execz .LBB257_2839
; %bb.2836:                             ;   in Loop: Header=BB257_1567 Depth=1
	v_and_b32_e32 v8, 7, v8
	v_mov_b32_e32 v19, v9
	v_lshrrev_b32_e32 v10, 3, v20
	s_mov_b32 s13, exec_lo
	v_mov_b32_e32 v18, v8
	v_cmpx_gt_u32_e32 8, v20
; %bb.2837:                             ;   in Loop: Header=BB257_1567 Depth=1
	v_ffbh_u32_e32 v10, v8
	v_min_u32_e32 v10, 32, v10
	v_subrev_nc_u32_e32 v12, 28, v10
	v_sub_nc_u32_e32 v10, 29, v10
	v_lshlrev_b64 v[18:19], v12, v[8:9]
	v_and_b32_e32 v18, 7, v18
; %bb.2838:                             ;   in Loop: Header=BB257_1567 Depth=1
	s_or_b32 exec_lo, exec_lo, s13
	v_lshlrev_b32_e32 v8, 16, v36
	v_lshlrev_b32_e32 v12, 20, v18
	v_lshl_add_u32 v10, v10, 23, 0x3c000000
	v_mov_b32_e32 v18, v9
	v_and_b32_e32 v8, 0x80000000, v8
	v_or3_b32 v19, v12, v8, v10
.LBB257_2839:                           ;   in Loop: Header=BB257_1567 Depth=1
	s_or_b32 exec_lo, exec_lo, s12
.LBB257_2840:                           ;   in Loop: Header=BB257_1567 Depth=1
	s_or_b32 exec_lo, exec_lo, s9
.LBB257_2841:                           ;   in Loop: Header=BB257_1567 Depth=1
	s_or_b32 exec_lo, exec_lo, s8
	v_mov_b32_e32 v20, 0
	v_mov_b32_e32 v22, 0
	v_and_b32_sdwa v8, v36, v44 dst_sel:DWORD dst_unused:UNUSED_PAD src0_sel:WORD_1 src1_sel:DWORD
	v_mov_b32_e32 v21, 0
	v_mov_b32_e32 v23, 0
	s_mov_b32 s8, exec_lo
	v_cmpx_ne_u16_e32 0, v8
	s_cbranch_execz .LBB257_2849
; %bb.2842:                             ;   in Loop: Header=BB257_1567 Depth=1
	v_bfrev_b32_e32 v22, 1
	v_mov_b32_e32 v23, 0
	s_mov_b32 s9, exec_lo
	v_cmpx_ne_u16_e32 0x80, v8
	s_cbranch_execz .LBB257_2848
; %bb.2843:                             ;   in Loop: Header=BB257_1567 Depth=1
	v_mov_b32_e32 v22, 0x7f800001
	v_bfe_u32 v12, v36, 16, 7
	v_mov_b32_e32 v23, 0
	s_mov_b32 s12, exec_lo
	v_cmpx_ne_u32_e32 0x7f, v12
	s_cbranch_execz .LBB257_2847
; %bb.2844:                             ;   in Loop: Header=BB257_1567 Depth=1
	v_mov_b32_e32 v8, 7
	v_lshrrev_b32_e32 v10, 3, v12
	s_mov_b32 s13, exec_lo
	v_and_b32_sdwa v8, v36, v8 dst_sel:DWORD dst_unused:UNUSED_PAD src0_sel:WORD_1 src1_sel:DWORD
	v_mov_b32_e32 v23, v9
	v_mov_b32_e32 v22, v8
	v_cmpx_gt_u32_e32 8, v12
; %bb.2845:                             ;   in Loop: Header=BB257_1567 Depth=1
	v_ffbh_u32_e32 v10, v8
	v_min_u32_e32 v10, 32, v10
	v_subrev_nc_u32_e32 v12, 28, v10
	v_sub_nc_u32_e32 v10, 29, v10
	v_lshlrev_b64 v[22:23], v12, v[8:9]
	v_and_b32_e32 v22, 7, v22
; %bb.2846:                             ;   in Loop: Header=BB257_1567 Depth=1
	s_or_b32 exec_lo, exec_lo, s13
	v_mov_b32_e32 v8, 24
	v_lshlrev_b32_e32 v12, 20, v22
	v_lshl_add_u32 v10, v10, 23, 0x3c000000
	v_lshlrev_b32_sdwa v8, v8, v36 dst_sel:DWORD dst_unused:UNUSED_PAD src0_sel:DWORD src1_sel:WORD_1
	v_and_b32_e32 v8, 0x80000000, v8
	v_or3_b32 v8, v12, v8, v10
	v_mov_b32_e32 v23, v9
	v_mov_b32_e32 v22, v8
.LBB257_2847:                           ;   in Loop: Header=BB257_1567 Depth=1
	s_or_b32 exec_lo, exec_lo, s12
.LBB257_2848:                           ;   in Loop: Header=BB257_1567 Depth=1
	s_or_b32 exec_lo, exec_lo, s9
.LBB257_2849:                           ;   in Loop: Header=BB257_1567 Depth=1
	s_or_b32 exec_lo, exec_lo, s8
	s_mov_b32 s8, exec_lo
	v_cmpx_lt_u32_e32 0xffffff, v36
	s_cbranch_execz .LBB257_2857
; %bb.2850:                             ;   in Loop: Header=BB257_1567 Depth=1
	v_mov_b32_e32 v10, v9
	v_mov_b32_e32 v21, v11
	v_cmp_ne_u32_sdwa s4, v36, v42 src0_sel:BYTE_3 src1_sel:DWORD
	v_mov_b32_e32 v20, v10
	s_and_saveexec_b32 s9, s4
	s_cbranch_execz .LBB257_2856
; %bb.2851:                             ;   in Loop: Header=BB257_1567 Depth=1
	v_mov_b32_e32 v12, v9
	v_mov_b32_e32 v21, v13
	v_bfe_u32 v37, v36, 24, 7
	s_mov_b32 s12, exec_lo
	v_mov_b32_e32 v20, v12
	v_cmpx_ne_u32_e32 0x7f, v37
	s_cbranch_execz .LBB257_2855
; %bb.2852:                             ;   in Loop: Header=BB257_1567 Depth=1
	v_mov_b32_e32 v8, 7
	v_lshrrev_b32_e32 v10, 3, v37
	s_mov_b32 s13, exec_lo
	v_and_b32_sdwa v8, v36, v8 dst_sel:DWORD dst_unused:UNUSED_PAD src0_sel:BYTE_3 src1_sel:DWORD
	v_mov_b32_e32 v21, v9
	v_mov_b32_e32 v20, v8
	v_cmpx_gt_u32_e32 8, v37
; %bb.2853:                             ;   in Loop: Header=BB257_1567 Depth=1
	v_ffbh_u32_e32 v10, v8
	v_min_u32_e32 v10, 32, v10
	v_subrev_nc_u32_e32 v12, 28, v10
	v_sub_nc_u32_e32 v10, 29, v10
	v_lshlrev_b64 v[20:21], v12, v[8:9]
	v_and_b32_e32 v20, 7, v20
; %bb.2854:                             ;   in Loop: Header=BB257_1567 Depth=1
	s_or_b32 exec_lo, exec_lo, s13
	v_mov_b32_e32 v8, 24
	v_lshlrev_b32_e32 v12, 20, v20
	v_lshl_add_u32 v10, v10, 23, 0x3c000000
	v_mov_b32_e32 v20, v9
	v_lshlrev_b32_sdwa v8, v8, v36 dst_sel:DWORD dst_unused:UNUSED_PAD src0_sel:DWORD src1_sel:BYTE_3
	v_and_b32_e32 v8, 0x80000000, v8
	v_or3_b32 v21, v12, v8, v10
.LBB257_2855:                           ;   in Loop: Header=BB257_1567 Depth=1
	s_or_b32 exec_lo, exec_lo, s12
.LBB257_2856:                           ;   in Loop: Header=BB257_1567 Depth=1
	s_or_b32 exec_lo, exec_lo, s9
.LBB257_2857:                           ;   in Loop: Header=BB257_1567 Depth=1
	s_or_b32 exec_lo, exec_lo, s8
	v_or_b32_e32 v8, v19, v17
	v_or_b32_e32 v10, v18, v16
	;; [unrolled: 1-line block ×4, first 2 shown]
	v_mul_f32_e32 v14, v60, v8
	v_mul_f32_e32 v38, v40, v10
	;; [unrolled: 1-line block ×4, first 2 shown]
	s_and_saveexec_b32 s8, vcc_lo
	s_cbranch_execz .LBB257_2859
; %bb.2858:                             ;   in Loop: Header=BB257_1567 Depth=1
	v_cmp_lt_i32_e64 s4, v89, v78
	v_cndmask_b32_e64 v38, 0, v38, s4
	v_cmp_lt_i32_e64 s4, v91, v78
	v_cndmask_b32_e64 v14, 0, v14, s4
	;; [unrolled: 2-line block ×4, first 2 shown]
.LBB257_2859:                           ;   in Loop: Header=BB257_1567 Depth=1
	s_or_b32 exec_lo, exec_lo, s8
	flat_load_dword v48, v[4:5] offset:768
	v_mov_b32_e32 v18, 0
	v_mov_b32_e32 v16, 0
	v_mov_b32_e32 v19, 0
	v_mov_b32_e32 v17, 0
	s_waitcnt vmcnt(0) lgkmcnt(0)
	v_cmp_ne_u16_sdwa s4, v48, v9 src0_sel:BYTE_0 src1_sel:DWORD
	s_and_saveexec_b32 s8, s4
	s_cbranch_execz .LBB257_2867
; %bb.2860:                             ;   in Loop: Header=BB257_1567 Depth=1
	v_bfrev_b32_e32 v16, 1
	v_mov_b32_e32 v17, 0
	v_cmp_ne_u16_sdwa s4, v48, v42 src0_sel:BYTE_0 src1_sel:DWORD
	s_and_saveexec_b32 s9, s4
	s_cbranch_execz .LBB257_2866
; %bb.2861:                             ;   in Loop: Header=BB257_1567 Depth=1
	v_mov_b32_e32 v16, 0x7f800001
	v_and_b32_e32 v12, 0x7f, v48
	v_mov_b32_e32 v17, 0
	s_mov_b32 s12, exec_lo
	v_cmpx_ne_u32_e32 0x7f, v12
	s_cbranch_execz .LBB257_2865
; %bb.2862:                             ;   in Loop: Header=BB257_1567 Depth=1
	v_and_b32_e32 v8, 7, v48
	v_mov_b32_e32 v17, v9
	v_lshrrev_b32_e32 v10, 3, v12
	s_mov_b32 s13, exec_lo
	v_mov_b32_e32 v16, v8
	v_cmpx_gt_u32_e32 8, v12
; %bb.2863:                             ;   in Loop: Header=BB257_1567 Depth=1
	v_ffbh_u32_e32 v10, v8
	v_min_u32_e32 v10, 32, v10
	v_subrev_nc_u32_e32 v12, 28, v10
	v_sub_nc_u32_e32 v10, 29, v10
	v_lshlrev_b64 v[16:17], v12, v[8:9]
	v_and_b32_e32 v16, 7, v16
; %bb.2864:                             ;   in Loop: Header=BB257_1567 Depth=1
	s_or_b32 exec_lo, exec_lo, s13
	v_lshlrev_b32_e32 v8, 24, v48
	v_lshlrev_b32_e32 v12, 20, v16
	v_lshl_add_u32 v10, v10, 23, 0x3c000000
	v_and_b32_e32 v8, 0x80000000, v8
	v_or3_b32 v8, v12, v8, v10
	v_mov_b32_e32 v17, v9
	v_mov_b32_e32 v16, v8
.LBB257_2865:                           ;   in Loop: Header=BB257_1567 Depth=1
	s_or_b32 exec_lo, exec_lo, s12
.LBB257_2866:                           ;   in Loop: Header=BB257_1567 Depth=1
	s_or_b32 exec_lo, exec_lo, s9
.LBB257_2867:                           ;   in Loop: Header=BB257_1567 Depth=1
	s_or_b32 exec_lo, exec_lo, s8
	v_cmp_ne_u16_sdwa s4, v48, v9 src0_sel:BYTE_1 src1_sel:DWORD
	s_and_saveexec_b32 s8, s4
	s_cbranch_execz .LBB257_2875
; %bb.2868:                             ;   in Loop: Header=BB257_1567 Depth=1
	v_mov_b32_e32 v10, v9
	v_mov_b32_e32 v19, v11
	v_cmp_ne_u16_sdwa s4, v48, v42 src0_sel:BYTE_1 src1_sel:DWORD
	v_mov_b32_e32 v18, v10
	s_and_saveexec_b32 s9, s4
	s_cbranch_execz .LBB257_2874
; %bb.2869:                             ;   in Loop: Header=BB257_1567 Depth=1
	v_mov_b32_e32 v8, 0xffff
	v_mov_b32_e32 v12, v9
	;; [unrolled: 1-line block ×3, first 2 shown]
	s_mov_b32 s12, exec_lo
	v_and_b32_sdwa v8, v8, v48 dst_sel:DWORD dst_unused:UNUSED_PAD src0_sel:DWORD src1_sel:BYTE_1
	v_mov_b32_e32 v18, v12
	v_and_b32_e32 v20, 0x7f, v8
	v_cmpx_ne_u32_e32 0x7f, v20
	s_cbranch_execz .LBB257_2873
; %bb.2870:                             ;   in Loop: Header=BB257_1567 Depth=1
	v_and_b32_e32 v8, 7, v8
	v_mov_b32_e32 v19, v9
	v_lshrrev_b32_e32 v10, 3, v20
	s_mov_b32 s13, exec_lo
	v_mov_b32_e32 v18, v8
	v_cmpx_gt_u32_e32 8, v20
; %bb.2871:                             ;   in Loop: Header=BB257_1567 Depth=1
	v_ffbh_u32_e32 v10, v8
	v_min_u32_e32 v10, 32, v10
	v_subrev_nc_u32_e32 v12, 28, v10
	v_sub_nc_u32_e32 v10, 29, v10
	v_lshlrev_b64 v[18:19], v12, v[8:9]
	v_and_b32_e32 v18, 7, v18
; %bb.2872:                             ;   in Loop: Header=BB257_1567 Depth=1
	s_or_b32 exec_lo, exec_lo, s13
	v_lshlrev_b32_e32 v8, 16, v48
	v_lshlrev_b32_e32 v12, 20, v18
	v_lshl_add_u32 v10, v10, 23, 0x3c000000
	v_mov_b32_e32 v18, v9
	v_and_b32_e32 v8, 0x80000000, v8
	v_or3_b32 v19, v12, v8, v10
.LBB257_2873:                           ;   in Loop: Header=BB257_1567 Depth=1
	s_or_b32 exec_lo, exec_lo, s12
.LBB257_2874:                           ;   in Loop: Header=BB257_1567 Depth=1
	s_or_b32 exec_lo, exec_lo, s9
.LBB257_2875:                           ;   in Loop: Header=BB257_1567 Depth=1
	s_or_b32 exec_lo, exec_lo, s8
	v_mov_b32_e32 v20, 0
	v_mov_b32_e32 v22, 0
	v_and_b32_sdwa v8, v48, v44 dst_sel:DWORD dst_unused:UNUSED_PAD src0_sel:WORD_1 src1_sel:DWORD
	v_mov_b32_e32 v21, 0
	v_mov_b32_e32 v23, 0
	s_mov_b32 s8, exec_lo
	v_cmpx_ne_u16_e32 0, v8
	s_cbranch_execz .LBB257_2883
; %bb.2876:                             ;   in Loop: Header=BB257_1567 Depth=1
	v_bfrev_b32_e32 v22, 1
	v_mov_b32_e32 v23, 0
	s_mov_b32 s9, exec_lo
	v_cmpx_ne_u16_e32 0x80, v8
	s_cbranch_execz .LBB257_2882
; %bb.2877:                             ;   in Loop: Header=BB257_1567 Depth=1
	v_mov_b32_e32 v22, 0x7f800001
	v_bfe_u32 v12, v48, 16, 7
	v_mov_b32_e32 v23, 0
	s_mov_b32 s12, exec_lo
	v_cmpx_ne_u32_e32 0x7f, v12
	s_cbranch_execz .LBB257_2881
; %bb.2878:                             ;   in Loop: Header=BB257_1567 Depth=1
	v_mov_b32_e32 v8, 7
	v_lshrrev_b32_e32 v10, 3, v12
	s_mov_b32 s13, exec_lo
	v_and_b32_sdwa v8, v48, v8 dst_sel:DWORD dst_unused:UNUSED_PAD src0_sel:WORD_1 src1_sel:DWORD
	v_mov_b32_e32 v23, v9
	v_mov_b32_e32 v22, v8
	v_cmpx_gt_u32_e32 8, v12
; %bb.2879:                             ;   in Loop: Header=BB257_1567 Depth=1
	v_ffbh_u32_e32 v10, v8
	v_min_u32_e32 v10, 32, v10
	v_subrev_nc_u32_e32 v12, 28, v10
	v_sub_nc_u32_e32 v10, 29, v10
	v_lshlrev_b64 v[22:23], v12, v[8:9]
	v_and_b32_e32 v22, 7, v22
; %bb.2880:                             ;   in Loop: Header=BB257_1567 Depth=1
	s_or_b32 exec_lo, exec_lo, s13
	v_mov_b32_e32 v8, 24
	v_lshlrev_b32_e32 v12, 20, v22
	v_lshl_add_u32 v10, v10, 23, 0x3c000000
	v_lshlrev_b32_sdwa v8, v8, v48 dst_sel:DWORD dst_unused:UNUSED_PAD src0_sel:DWORD src1_sel:WORD_1
	v_and_b32_e32 v8, 0x80000000, v8
	v_or3_b32 v8, v12, v8, v10
	v_mov_b32_e32 v23, v9
	v_mov_b32_e32 v22, v8
.LBB257_2881:                           ;   in Loop: Header=BB257_1567 Depth=1
	s_or_b32 exec_lo, exec_lo, s12
.LBB257_2882:                           ;   in Loop: Header=BB257_1567 Depth=1
	s_or_b32 exec_lo, exec_lo, s9
.LBB257_2883:                           ;   in Loop: Header=BB257_1567 Depth=1
	s_or_b32 exec_lo, exec_lo, s8
	s_mov_b32 s8, exec_lo
	v_cmpx_lt_u32_e32 0xffffff, v48
	s_cbranch_execz .LBB257_2891
; %bb.2884:                             ;   in Loop: Header=BB257_1567 Depth=1
	v_mov_b32_e32 v10, v9
	v_mov_b32_e32 v21, v11
	v_cmp_ne_u32_sdwa s4, v48, v42 src0_sel:BYTE_3 src1_sel:DWORD
	v_mov_b32_e32 v20, v10
	s_and_saveexec_b32 s9, s4
	s_cbranch_execz .LBB257_2890
; %bb.2885:                             ;   in Loop: Header=BB257_1567 Depth=1
	v_mov_b32_e32 v12, v9
	v_mov_b32_e32 v21, v13
	v_bfe_u32 v49, v48, 24, 7
	s_mov_b32 s12, exec_lo
	v_mov_b32_e32 v20, v12
	v_cmpx_ne_u32_e32 0x7f, v49
	s_cbranch_execz .LBB257_2889
; %bb.2886:                             ;   in Loop: Header=BB257_1567 Depth=1
	v_mov_b32_e32 v8, 7
	v_lshrrev_b32_e32 v10, 3, v49
	s_mov_b32 s13, exec_lo
	v_and_b32_sdwa v8, v48, v8 dst_sel:DWORD dst_unused:UNUSED_PAD src0_sel:BYTE_3 src1_sel:DWORD
	v_mov_b32_e32 v21, v9
	v_mov_b32_e32 v20, v8
	v_cmpx_gt_u32_e32 8, v49
; %bb.2887:                             ;   in Loop: Header=BB257_1567 Depth=1
	v_ffbh_u32_e32 v10, v8
	v_min_u32_e32 v10, 32, v10
	v_subrev_nc_u32_e32 v12, 28, v10
	v_sub_nc_u32_e32 v10, 29, v10
	v_lshlrev_b64 v[20:21], v12, v[8:9]
	v_and_b32_e32 v20, 7, v20
; %bb.2888:                             ;   in Loop: Header=BB257_1567 Depth=1
	s_or_b32 exec_lo, exec_lo, s13
	v_mov_b32_e32 v8, 24
	v_lshlrev_b32_e32 v12, 20, v20
	v_lshl_add_u32 v10, v10, 23, 0x3c000000
	v_mov_b32_e32 v20, v9
	v_lshlrev_b32_sdwa v8, v8, v48 dst_sel:DWORD dst_unused:UNUSED_PAD src0_sel:DWORD src1_sel:BYTE_3
	v_and_b32_e32 v8, 0x80000000, v8
	v_or3_b32 v21, v12, v8, v10
.LBB257_2889:                           ;   in Loop: Header=BB257_1567 Depth=1
	s_or_b32 exec_lo, exec_lo, s12
.LBB257_2890:                           ;   in Loop: Header=BB257_1567 Depth=1
	s_or_b32 exec_lo, exec_lo, s9
.LBB257_2891:                           ;   in Loop: Header=BB257_1567 Depth=1
	s_or_b32 exec_lo, exec_lo, s8
	v_or_b32_e32 v8, v19, v17
	v_or_b32_e32 v10, v18, v16
	;; [unrolled: 1-line block ×4, first 2 shown]
	v_mul_f32_e32 v51, v60, v8
	v_mul_f32_e32 v50, v40, v10
	;; [unrolled: 1-line block ×4, first 2 shown]
	s_and_saveexec_b32 s8, vcc_lo
	s_cbranch_execz .LBB257_2893
; %bb.2892:                             ;   in Loop: Header=BB257_1567 Depth=1
	v_cmp_lt_i32_e64 s4, v89, v78
	v_cndmask_b32_e64 v50, 0, v50, s4
	v_cmp_lt_i32_e64 s4, v91, v78
	v_cndmask_b32_e64 v51, 0, v51, s4
	;; [unrolled: 2-line block ×4, first 2 shown]
.LBB257_2893:                           ;   in Loop: Header=BB257_1567 Depth=1
	s_or_b32 exec_lo, exec_lo, s8
	flat_load_dword v52, v[4:5] offset:896
	v_mov_b32_e32 v18, 0
	v_mov_b32_e32 v16, 0
	;; [unrolled: 1-line block ×4, first 2 shown]
	s_waitcnt vmcnt(0) lgkmcnt(0)
	v_cmp_ne_u16_sdwa s4, v52, v9 src0_sel:BYTE_0 src1_sel:DWORD
	s_and_saveexec_b32 s8, s4
	s_cbranch_execz .LBB257_2901
; %bb.2894:                             ;   in Loop: Header=BB257_1567 Depth=1
	v_bfrev_b32_e32 v16, 1
	v_mov_b32_e32 v17, 0
	v_cmp_ne_u16_sdwa s4, v52, v42 src0_sel:BYTE_0 src1_sel:DWORD
	s_and_saveexec_b32 s9, s4
	s_cbranch_execz .LBB257_2900
; %bb.2895:                             ;   in Loop: Header=BB257_1567 Depth=1
	v_mov_b32_e32 v16, 0x7f800001
	v_and_b32_e32 v12, 0x7f, v52
	v_mov_b32_e32 v17, 0
	s_mov_b32 s12, exec_lo
	v_cmpx_ne_u32_e32 0x7f, v12
	s_cbranch_execz .LBB257_2899
; %bb.2896:                             ;   in Loop: Header=BB257_1567 Depth=1
	v_and_b32_e32 v8, 7, v52
	v_mov_b32_e32 v17, v9
	v_lshrrev_b32_e32 v10, 3, v12
	s_mov_b32 s13, exec_lo
	v_mov_b32_e32 v16, v8
	v_cmpx_gt_u32_e32 8, v12
; %bb.2897:                             ;   in Loop: Header=BB257_1567 Depth=1
	v_ffbh_u32_e32 v10, v8
	v_min_u32_e32 v10, 32, v10
	v_subrev_nc_u32_e32 v12, 28, v10
	v_sub_nc_u32_e32 v10, 29, v10
	v_lshlrev_b64 v[16:17], v12, v[8:9]
	v_and_b32_e32 v16, 7, v16
; %bb.2898:                             ;   in Loop: Header=BB257_1567 Depth=1
	s_or_b32 exec_lo, exec_lo, s13
	v_lshlrev_b32_e32 v8, 24, v52
	v_lshlrev_b32_e32 v12, 20, v16
	v_lshl_add_u32 v10, v10, 23, 0x3c000000
	v_and_b32_e32 v8, 0x80000000, v8
	v_or3_b32 v8, v12, v8, v10
	v_mov_b32_e32 v17, v9
	v_mov_b32_e32 v16, v8
.LBB257_2899:                           ;   in Loop: Header=BB257_1567 Depth=1
	s_or_b32 exec_lo, exec_lo, s12
.LBB257_2900:                           ;   in Loop: Header=BB257_1567 Depth=1
	s_or_b32 exec_lo, exec_lo, s9
.LBB257_2901:                           ;   in Loop: Header=BB257_1567 Depth=1
	s_or_b32 exec_lo, exec_lo, s8
	v_cmp_ne_u16_sdwa s4, v52, v9 src0_sel:BYTE_1 src1_sel:DWORD
	s_and_saveexec_b32 s8, s4
	s_cbranch_execz .LBB257_2909
; %bb.2902:                             ;   in Loop: Header=BB257_1567 Depth=1
	v_mov_b32_e32 v10, v9
	v_mov_b32_e32 v19, v11
	v_cmp_ne_u16_sdwa s4, v52, v42 src0_sel:BYTE_1 src1_sel:DWORD
	v_mov_b32_e32 v18, v10
	s_and_saveexec_b32 s9, s4
	s_cbranch_execz .LBB257_2908
; %bb.2903:                             ;   in Loop: Header=BB257_1567 Depth=1
	v_mov_b32_e32 v8, 0xffff
	v_mov_b32_e32 v12, v9
	;; [unrolled: 1-line block ×3, first 2 shown]
	s_mov_b32 s12, exec_lo
	v_and_b32_sdwa v8, v8, v52 dst_sel:DWORD dst_unused:UNUSED_PAD src0_sel:DWORD src1_sel:BYTE_1
	v_mov_b32_e32 v18, v12
	v_and_b32_e32 v20, 0x7f, v8
	v_cmpx_ne_u32_e32 0x7f, v20
	s_cbranch_execz .LBB257_2907
; %bb.2904:                             ;   in Loop: Header=BB257_1567 Depth=1
	v_and_b32_e32 v8, 7, v8
	v_mov_b32_e32 v19, v9
	v_lshrrev_b32_e32 v10, 3, v20
	s_mov_b32 s13, exec_lo
	v_mov_b32_e32 v18, v8
	v_cmpx_gt_u32_e32 8, v20
; %bb.2905:                             ;   in Loop: Header=BB257_1567 Depth=1
	v_ffbh_u32_e32 v10, v8
	v_min_u32_e32 v10, 32, v10
	v_subrev_nc_u32_e32 v12, 28, v10
	v_sub_nc_u32_e32 v10, 29, v10
	v_lshlrev_b64 v[18:19], v12, v[8:9]
	v_and_b32_e32 v18, 7, v18
; %bb.2906:                             ;   in Loop: Header=BB257_1567 Depth=1
	s_or_b32 exec_lo, exec_lo, s13
	v_lshlrev_b32_e32 v8, 16, v52
	v_lshlrev_b32_e32 v12, 20, v18
	v_lshl_add_u32 v10, v10, 23, 0x3c000000
	v_mov_b32_e32 v18, v9
	v_and_b32_e32 v8, 0x80000000, v8
	v_or3_b32 v19, v12, v8, v10
.LBB257_2907:                           ;   in Loop: Header=BB257_1567 Depth=1
	s_or_b32 exec_lo, exec_lo, s12
.LBB257_2908:                           ;   in Loop: Header=BB257_1567 Depth=1
	s_or_b32 exec_lo, exec_lo, s9
.LBB257_2909:                           ;   in Loop: Header=BB257_1567 Depth=1
	s_or_b32 exec_lo, exec_lo, s8
	v_mov_b32_e32 v20, 0
	v_mov_b32_e32 v22, 0
	v_and_b32_sdwa v8, v52, v44 dst_sel:DWORD dst_unused:UNUSED_PAD src0_sel:WORD_1 src1_sel:DWORD
	v_mov_b32_e32 v21, 0
	v_mov_b32_e32 v23, 0
	s_mov_b32 s8, exec_lo
	v_cmpx_ne_u16_e32 0, v8
	s_cbranch_execz .LBB257_2917
; %bb.2910:                             ;   in Loop: Header=BB257_1567 Depth=1
	v_bfrev_b32_e32 v22, 1
	v_mov_b32_e32 v23, 0
	s_mov_b32 s9, exec_lo
	v_cmpx_ne_u16_e32 0x80, v8
	s_cbranch_execz .LBB257_2916
; %bb.2911:                             ;   in Loop: Header=BB257_1567 Depth=1
	v_mov_b32_e32 v22, 0x7f800001
	v_bfe_u32 v12, v52, 16, 7
	v_mov_b32_e32 v23, 0
	s_mov_b32 s12, exec_lo
	v_cmpx_ne_u32_e32 0x7f, v12
	s_cbranch_execz .LBB257_2915
; %bb.2912:                             ;   in Loop: Header=BB257_1567 Depth=1
	v_mov_b32_e32 v8, 7
	v_lshrrev_b32_e32 v10, 3, v12
	s_mov_b32 s13, exec_lo
	v_and_b32_sdwa v8, v52, v8 dst_sel:DWORD dst_unused:UNUSED_PAD src0_sel:WORD_1 src1_sel:DWORD
	v_mov_b32_e32 v23, v9
	v_mov_b32_e32 v22, v8
	v_cmpx_gt_u32_e32 8, v12
; %bb.2913:                             ;   in Loop: Header=BB257_1567 Depth=1
	v_ffbh_u32_e32 v10, v8
	v_min_u32_e32 v10, 32, v10
	v_subrev_nc_u32_e32 v12, 28, v10
	v_sub_nc_u32_e32 v10, 29, v10
	v_lshlrev_b64 v[22:23], v12, v[8:9]
	v_and_b32_e32 v22, 7, v22
; %bb.2914:                             ;   in Loop: Header=BB257_1567 Depth=1
	s_or_b32 exec_lo, exec_lo, s13
	v_mov_b32_e32 v8, 24
	v_lshlrev_b32_e32 v12, 20, v22
	v_lshl_add_u32 v10, v10, 23, 0x3c000000
	v_lshlrev_b32_sdwa v8, v8, v52 dst_sel:DWORD dst_unused:UNUSED_PAD src0_sel:DWORD src1_sel:WORD_1
	v_and_b32_e32 v8, 0x80000000, v8
	v_or3_b32 v8, v12, v8, v10
	v_mov_b32_e32 v23, v9
	v_mov_b32_e32 v22, v8
.LBB257_2915:                           ;   in Loop: Header=BB257_1567 Depth=1
	s_or_b32 exec_lo, exec_lo, s12
.LBB257_2916:                           ;   in Loop: Header=BB257_1567 Depth=1
	s_or_b32 exec_lo, exec_lo, s9
.LBB257_2917:                           ;   in Loop: Header=BB257_1567 Depth=1
	s_or_b32 exec_lo, exec_lo, s8
	s_mov_b32 s8, exec_lo
	v_cmpx_lt_u32_e32 0xffffff, v52
	s_cbranch_execz .LBB257_2925
; %bb.2918:                             ;   in Loop: Header=BB257_1567 Depth=1
	v_mov_b32_e32 v10, v9
	v_mov_b32_e32 v21, v11
	v_cmp_ne_u32_sdwa s4, v52, v42 src0_sel:BYTE_3 src1_sel:DWORD
	v_mov_b32_e32 v20, v10
	s_and_saveexec_b32 s9, s4
	s_cbranch_execz .LBB257_2924
; %bb.2919:                             ;   in Loop: Header=BB257_1567 Depth=1
	v_mov_b32_e32 v12, v9
	v_mov_b32_e32 v21, v13
	v_bfe_u32 v53, v52, 24, 7
	s_mov_b32 s12, exec_lo
	v_mov_b32_e32 v20, v12
	v_cmpx_ne_u32_e32 0x7f, v53
	s_cbranch_execz .LBB257_2923
; %bb.2920:                             ;   in Loop: Header=BB257_1567 Depth=1
	v_mov_b32_e32 v8, 7
	v_lshrrev_b32_e32 v10, 3, v53
	s_mov_b32 s13, exec_lo
	v_and_b32_sdwa v8, v52, v8 dst_sel:DWORD dst_unused:UNUSED_PAD src0_sel:BYTE_3 src1_sel:DWORD
	v_mov_b32_e32 v21, v9
	v_mov_b32_e32 v20, v8
	v_cmpx_gt_u32_e32 8, v53
; %bb.2921:                             ;   in Loop: Header=BB257_1567 Depth=1
	v_ffbh_u32_e32 v10, v8
	v_min_u32_e32 v10, 32, v10
	v_subrev_nc_u32_e32 v12, 28, v10
	v_sub_nc_u32_e32 v10, 29, v10
	v_lshlrev_b64 v[20:21], v12, v[8:9]
	v_and_b32_e32 v20, 7, v20
; %bb.2922:                             ;   in Loop: Header=BB257_1567 Depth=1
	s_or_b32 exec_lo, exec_lo, s13
	v_mov_b32_e32 v8, 24
	v_lshlrev_b32_e32 v12, 20, v20
	v_lshl_add_u32 v10, v10, 23, 0x3c000000
	v_mov_b32_e32 v20, v9
	v_lshlrev_b32_sdwa v8, v8, v52 dst_sel:DWORD dst_unused:UNUSED_PAD src0_sel:DWORD src1_sel:BYTE_3
	v_and_b32_e32 v8, 0x80000000, v8
	v_or3_b32 v21, v12, v8, v10
.LBB257_2923:                           ;   in Loop: Header=BB257_1567 Depth=1
	s_or_b32 exec_lo, exec_lo, s12
.LBB257_2924:                           ;   in Loop: Header=BB257_1567 Depth=1
	s_or_b32 exec_lo, exec_lo, s9
.LBB257_2925:                           ;   in Loop: Header=BB257_1567 Depth=1
	s_or_b32 exec_lo, exec_lo, s8
	v_or_b32_e32 v8, v19, v17
	v_or_b32_e32 v10, v18, v16
	;; [unrolled: 1-line block ×4, first 2 shown]
	v_mul_f32_e32 v55, v60, v8
	v_mul_f32_e32 v54, v40, v10
	;; [unrolled: 1-line block ×4, first 2 shown]
	s_and_saveexec_b32 s8, vcc_lo
	s_cbranch_execz .LBB257_2927
; %bb.2926:                             ;   in Loop: Header=BB257_1567 Depth=1
	v_cmp_lt_i32_e64 s4, v89, v78
	v_cndmask_b32_e64 v54, 0, v54, s4
	v_cmp_lt_i32_e64 s4, v91, v78
	v_cndmask_b32_e64 v55, 0, v55, s4
	;; [unrolled: 2-line block ×4, first 2 shown]
.LBB257_2927:                           ;   in Loop: Header=BB257_1567 Depth=1
	s_or_b32 exec_lo, exec_lo, s8
	flat_load_dword v64, v[4:5] offset:1024
	v_mov_b32_e32 v18, 0
	v_mov_b32_e32 v16, 0
	;; [unrolled: 1-line block ×4, first 2 shown]
	s_waitcnt vmcnt(0) lgkmcnt(0)
	v_cmp_ne_u16_sdwa s4, v64, v9 src0_sel:BYTE_0 src1_sel:DWORD
	s_and_saveexec_b32 s8, s4
	s_cbranch_execz .LBB257_2935
; %bb.2928:                             ;   in Loop: Header=BB257_1567 Depth=1
	v_bfrev_b32_e32 v16, 1
	v_mov_b32_e32 v17, 0
	v_cmp_ne_u16_sdwa s4, v64, v42 src0_sel:BYTE_0 src1_sel:DWORD
	s_and_saveexec_b32 s9, s4
	s_cbranch_execz .LBB257_2934
; %bb.2929:                             ;   in Loop: Header=BB257_1567 Depth=1
	v_mov_b32_e32 v16, 0x7f800001
	v_and_b32_e32 v12, 0x7f, v64
	v_mov_b32_e32 v17, 0
	s_mov_b32 s12, exec_lo
	v_cmpx_ne_u32_e32 0x7f, v12
	s_cbranch_execz .LBB257_2933
; %bb.2930:                             ;   in Loop: Header=BB257_1567 Depth=1
	v_and_b32_e32 v8, 7, v64
	v_mov_b32_e32 v17, v9
	v_lshrrev_b32_e32 v10, 3, v12
	s_mov_b32 s13, exec_lo
	v_mov_b32_e32 v16, v8
	v_cmpx_gt_u32_e32 8, v12
; %bb.2931:                             ;   in Loop: Header=BB257_1567 Depth=1
	v_ffbh_u32_e32 v10, v8
	v_min_u32_e32 v10, 32, v10
	v_subrev_nc_u32_e32 v12, 28, v10
	v_sub_nc_u32_e32 v10, 29, v10
	v_lshlrev_b64 v[16:17], v12, v[8:9]
	v_and_b32_e32 v16, 7, v16
; %bb.2932:                             ;   in Loop: Header=BB257_1567 Depth=1
	s_or_b32 exec_lo, exec_lo, s13
	v_lshlrev_b32_e32 v8, 24, v64
	v_lshlrev_b32_e32 v12, 20, v16
	v_lshl_add_u32 v10, v10, 23, 0x3c000000
	v_and_b32_e32 v8, 0x80000000, v8
	v_or3_b32 v8, v12, v8, v10
	v_mov_b32_e32 v17, v9
	v_mov_b32_e32 v16, v8
.LBB257_2933:                           ;   in Loop: Header=BB257_1567 Depth=1
	s_or_b32 exec_lo, exec_lo, s12
.LBB257_2934:                           ;   in Loop: Header=BB257_1567 Depth=1
	s_or_b32 exec_lo, exec_lo, s9
.LBB257_2935:                           ;   in Loop: Header=BB257_1567 Depth=1
	s_or_b32 exec_lo, exec_lo, s8
	v_cmp_ne_u16_sdwa s4, v64, v9 src0_sel:BYTE_1 src1_sel:DWORD
	s_and_saveexec_b32 s8, s4
	s_cbranch_execz .LBB257_2943
; %bb.2936:                             ;   in Loop: Header=BB257_1567 Depth=1
	v_mov_b32_e32 v10, v9
	v_mov_b32_e32 v19, v11
	v_cmp_ne_u16_sdwa s4, v64, v42 src0_sel:BYTE_1 src1_sel:DWORD
	v_mov_b32_e32 v18, v10
	s_and_saveexec_b32 s9, s4
	s_cbranch_execz .LBB257_2942
; %bb.2937:                             ;   in Loop: Header=BB257_1567 Depth=1
	v_mov_b32_e32 v8, 0xffff
	v_mov_b32_e32 v12, v9
	;; [unrolled: 1-line block ×3, first 2 shown]
	s_mov_b32 s12, exec_lo
	v_and_b32_sdwa v8, v8, v64 dst_sel:DWORD dst_unused:UNUSED_PAD src0_sel:DWORD src1_sel:BYTE_1
	v_mov_b32_e32 v18, v12
	v_and_b32_e32 v20, 0x7f, v8
	v_cmpx_ne_u32_e32 0x7f, v20
	s_cbranch_execz .LBB257_2941
; %bb.2938:                             ;   in Loop: Header=BB257_1567 Depth=1
	v_and_b32_e32 v8, 7, v8
	v_mov_b32_e32 v19, v9
	v_lshrrev_b32_e32 v10, 3, v20
	s_mov_b32 s13, exec_lo
	v_mov_b32_e32 v18, v8
	v_cmpx_gt_u32_e32 8, v20
; %bb.2939:                             ;   in Loop: Header=BB257_1567 Depth=1
	v_ffbh_u32_e32 v10, v8
	v_min_u32_e32 v10, 32, v10
	v_subrev_nc_u32_e32 v12, 28, v10
	v_sub_nc_u32_e32 v10, 29, v10
	v_lshlrev_b64 v[18:19], v12, v[8:9]
	v_and_b32_e32 v18, 7, v18
; %bb.2940:                             ;   in Loop: Header=BB257_1567 Depth=1
	s_or_b32 exec_lo, exec_lo, s13
	v_lshlrev_b32_e32 v8, 16, v64
	v_lshlrev_b32_e32 v12, 20, v18
	v_lshl_add_u32 v10, v10, 23, 0x3c000000
	v_mov_b32_e32 v18, v9
	v_and_b32_e32 v8, 0x80000000, v8
	v_or3_b32 v19, v12, v8, v10
.LBB257_2941:                           ;   in Loop: Header=BB257_1567 Depth=1
	s_or_b32 exec_lo, exec_lo, s12
.LBB257_2942:                           ;   in Loop: Header=BB257_1567 Depth=1
	s_or_b32 exec_lo, exec_lo, s9
.LBB257_2943:                           ;   in Loop: Header=BB257_1567 Depth=1
	s_or_b32 exec_lo, exec_lo, s8
	v_mov_b32_e32 v20, 0
	v_mov_b32_e32 v22, 0
	v_and_b32_sdwa v8, v64, v44 dst_sel:DWORD dst_unused:UNUSED_PAD src0_sel:WORD_1 src1_sel:DWORD
	v_mov_b32_e32 v21, 0
	v_mov_b32_e32 v23, 0
	s_mov_b32 s8, exec_lo
	v_cmpx_ne_u16_e32 0, v8
	s_cbranch_execz .LBB257_2951
; %bb.2944:                             ;   in Loop: Header=BB257_1567 Depth=1
	v_bfrev_b32_e32 v22, 1
	v_mov_b32_e32 v23, 0
	s_mov_b32 s9, exec_lo
	v_cmpx_ne_u16_e32 0x80, v8
	s_cbranch_execz .LBB257_2950
; %bb.2945:                             ;   in Loop: Header=BB257_1567 Depth=1
	v_mov_b32_e32 v22, 0x7f800001
	v_bfe_u32 v12, v64, 16, 7
	v_mov_b32_e32 v23, 0
	s_mov_b32 s12, exec_lo
	v_cmpx_ne_u32_e32 0x7f, v12
	s_cbranch_execz .LBB257_2949
; %bb.2946:                             ;   in Loop: Header=BB257_1567 Depth=1
	v_mov_b32_e32 v8, 7
	v_lshrrev_b32_e32 v10, 3, v12
	s_mov_b32 s13, exec_lo
	v_and_b32_sdwa v8, v64, v8 dst_sel:DWORD dst_unused:UNUSED_PAD src0_sel:WORD_1 src1_sel:DWORD
	v_mov_b32_e32 v23, v9
	v_mov_b32_e32 v22, v8
	v_cmpx_gt_u32_e32 8, v12
; %bb.2947:                             ;   in Loop: Header=BB257_1567 Depth=1
	v_ffbh_u32_e32 v10, v8
	v_min_u32_e32 v10, 32, v10
	v_subrev_nc_u32_e32 v12, 28, v10
	v_sub_nc_u32_e32 v10, 29, v10
	v_lshlrev_b64 v[22:23], v12, v[8:9]
	v_and_b32_e32 v22, 7, v22
; %bb.2948:                             ;   in Loop: Header=BB257_1567 Depth=1
	s_or_b32 exec_lo, exec_lo, s13
	v_mov_b32_e32 v8, 24
	v_lshlrev_b32_e32 v12, 20, v22
	v_lshl_add_u32 v10, v10, 23, 0x3c000000
	v_lshlrev_b32_sdwa v8, v8, v64 dst_sel:DWORD dst_unused:UNUSED_PAD src0_sel:DWORD src1_sel:WORD_1
	v_and_b32_e32 v8, 0x80000000, v8
	v_or3_b32 v8, v12, v8, v10
	v_mov_b32_e32 v23, v9
	v_mov_b32_e32 v22, v8
.LBB257_2949:                           ;   in Loop: Header=BB257_1567 Depth=1
	s_or_b32 exec_lo, exec_lo, s12
.LBB257_2950:                           ;   in Loop: Header=BB257_1567 Depth=1
	s_or_b32 exec_lo, exec_lo, s9
.LBB257_2951:                           ;   in Loop: Header=BB257_1567 Depth=1
	s_or_b32 exec_lo, exec_lo, s8
	s_mov_b32 s8, exec_lo
	v_cmpx_lt_u32_e32 0xffffff, v64
	s_cbranch_execz .LBB257_2959
; %bb.2952:                             ;   in Loop: Header=BB257_1567 Depth=1
	v_mov_b32_e32 v10, v9
	v_mov_b32_e32 v21, v11
	v_cmp_ne_u32_sdwa s4, v64, v42 src0_sel:BYTE_3 src1_sel:DWORD
	v_mov_b32_e32 v20, v10
	s_and_saveexec_b32 s9, s4
	s_cbranch_execz .LBB257_2958
; %bb.2953:                             ;   in Loop: Header=BB257_1567 Depth=1
	v_mov_b32_e32 v12, v9
	v_mov_b32_e32 v21, v13
	v_bfe_u32 v65, v64, 24, 7
	s_mov_b32 s12, exec_lo
	v_mov_b32_e32 v20, v12
	v_cmpx_ne_u32_e32 0x7f, v65
	s_cbranch_execz .LBB257_2957
; %bb.2954:                             ;   in Loop: Header=BB257_1567 Depth=1
	v_mov_b32_e32 v8, 7
	v_lshrrev_b32_e32 v10, 3, v65
	s_mov_b32 s13, exec_lo
	v_and_b32_sdwa v8, v64, v8 dst_sel:DWORD dst_unused:UNUSED_PAD src0_sel:BYTE_3 src1_sel:DWORD
	v_mov_b32_e32 v21, v9
	v_mov_b32_e32 v20, v8
	v_cmpx_gt_u32_e32 8, v65
; %bb.2955:                             ;   in Loop: Header=BB257_1567 Depth=1
	v_ffbh_u32_e32 v10, v8
	v_min_u32_e32 v10, 32, v10
	v_subrev_nc_u32_e32 v12, 28, v10
	v_sub_nc_u32_e32 v10, 29, v10
	v_lshlrev_b64 v[20:21], v12, v[8:9]
	v_and_b32_e32 v20, 7, v20
; %bb.2956:                             ;   in Loop: Header=BB257_1567 Depth=1
	s_or_b32 exec_lo, exec_lo, s13
	v_mov_b32_e32 v8, 24
	v_lshlrev_b32_e32 v12, 20, v20
	v_lshl_add_u32 v10, v10, 23, 0x3c000000
	v_mov_b32_e32 v20, v9
	v_lshlrev_b32_sdwa v8, v8, v64 dst_sel:DWORD dst_unused:UNUSED_PAD src0_sel:DWORD src1_sel:BYTE_3
	v_and_b32_e32 v8, 0x80000000, v8
	v_or3_b32 v21, v12, v8, v10
.LBB257_2957:                           ;   in Loop: Header=BB257_1567 Depth=1
	s_or_b32 exec_lo, exec_lo, s12
.LBB257_2958:                           ;   in Loop: Header=BB257_1567 Depth=1
	s_or_b32 exec_lo, exec_lo, s9
.LBB257_2959:                           ;   in Loop: Header=BB257_1567 Depth=1
	s_or_b32 exec_lo, exec_lo, s8
	v_or_b32_e32 v8, v19, v17
	v_or_b32_e32 v10, v18, v16
	;; [unrolled: 1-line block ×4, first 2 shown]
	v_mul_f32_e32 v67, v60, v8
	v_mul_f32_e32 v66, v40, v10
	;; [unrolled: 1-line block ×4, first 2 shown]
	s_and_saveexec_b32 s8, vcc_lo
	s_cbranch_execz .LBB257_2961
; %bb.2960:                             ;   in Loop: Header=BB257_1567 Depth=1
	v_cmp_lt_i32_e64 s4, v89, v78
	v_cndmask_b32_e64 v66, 0, v66, s4
	v_cmp_lt_i32_e64 s4, v91, v78
	v_cndmask_b32_e64 v67, 0, v67, s4
	;; [unrolled: 2-line block ×4, first 2 shown]
.LBB257_2961:                           ;   in Loop: Header=BB257_1567 Depth=1
	s_or_b32 exec_lo, exec_lo, s8
	flat_load_dword v68, v[4:5] offset:1152
	v_mov_b32_e32 v18, 0
	v_mov_b32_e32 v16, 0
	;; [unrolled: 1-line block ×4, first 2 shown]
	s_waitcnt vmcnt(0) lgkmcnt(0)
	v_cmp_ne_u16_sdwa s4, v68, v9 src0_sel:BYTE_0 src1_sel:DWORD
	s_and_saveexec_b32 s8, s4
	s_cbranch_execz .LBB257_2969
; %bb.2962:                             ;   in Loop: Header=BB257_1567 Depth=1
	v_bfrev_b32_e32 v16, 1
	v_mov_b32_e32 v17, 0
	v_cmp_ne_u16_sdwa s4, v68, v42 src0_sel:BYTE_0 src1_sel:DWORD
	s_and_saveexec_b32 s9, s4
	s_cbranch_execz .LBB257_2968
; %bb.2963:                             ;   in Loop: Header=BB257_1567 Depth=1
	v_mov_b32_e32 v16, 0x7f800001
	v_and_b32_e32 v12, 0x7f, v68
	v_mov_b32_e32 v17, 0
	s_mov_b32 s12, exec_lo
	v_cmpx_ne_u32_e32 0x7f, v12
	s_cbranch_execz .LBB257_2967
; %bb.2964:                             ;   in Loop: Header=BB257_1567 Depth=1
	v_and_b32_e32 v8, 7, v68
	v_mov_b32_e32 v17, v9
	v_lshrrev_b32_e32 v10, 3, v12
	s_mov_b32 s13, exec_lo
	v_mov_b32_e32 v16, v8
	v_cmpx_gt_u32_e32 8, v12
; %bb.2965:                             ;   in Loop: Header=BB257_1567 Depth=1
	v_ffbh_u32_e32 v10, v8
	v_min_u32_e32 v10, 32, v10
	v_subrev_nc_u32_e32 v12, 28, v10
	v_sub_nc_u32_e32 v10, 29, v10
	v_lshlrev_b64 v[16:17], v12, v[8:9]
	v_and_b32_e32 v16, 7, v16
; %bb.2966:                             ;   in Loop: Header=BB257_1567 Depth=1
	s_or_b32 exec_lo, exec_lo, s13
	v_lshlrev_b32_e32 v8, 24, v68
	v_lshlrev_b32_e32 v12, 20, v16
	v_lshl_add_u32 v10, v10, 23, 0x3c000000
	v_and_b32_e32 v8, 0x80000000, v8
	v_or3_b32 v8, v12, v8, v10
	v_mov_b32_e32 v17, v9
	v_mov_b32_e32 v16, v8
.LBB257_2967:                           ;   in Loop: Header=BB257_1567 Depth=1
	s_or_b32 exec_lo, exec_lo, s12
.LBB257_2968:                           ;   in Loop: Header=BB257_1567 Depth=1
	s_or_b32 exec_lo, exec_lo, s9
.LBB257_2969:                           ;   in Loop: Header=BB257_1567 Depth=1
	s_or_b32 exec_lo, exec_lo, s8
	v_cmp_ne_u16_sdwa s4, v68, v9 src0_sel:BYTE_1 src1_sel:DWORD
	s_and_saveexec_b32 s8, s4
	s_cbranch_execz .LBB257_2977
; %bb.2970:                             ;   in Loop: Header=BB257_1567 Depth=1
	v_mov_b32_e32 v10, v9
	v_mov_b32_e32 v19, v11
	v_cmp_ne_u16_sdwa s4, v68, v42 src0_sel:BYTE_1 src1_sel:DWORD
	v_mov_b32_e32 v18, v10
	s_and_saveexec_b32 s9, s4
	s_cbranch_execz .LBB257_2976
; %bb.2971:                             ;   in Loop: Header=BB257_1567 Depth=1
	v_mov_b32_e32 v8, 0xffff
	v_mov_b32_e32 v12, v9
	;; [unrolled: 1-line block ×3, first 2 shown]
	s_mov_b32 s12, exec_lo
	v_and_b32_sdwa v8, v8, v68 dst_sel:DWORD dst_unused:UNUSED_PAD src0_sel:DWORD src1_sel:BYTE_1
	v_mov_b32_e32 v18, v12
	v_and_b32_e32 v20, 0x7f, v8
	v_cmpx_ne_u32_e32 0x7f, v20
	s_cbranch_execz .LBB257_2975
; %bb.2972:                             ;   in Loop: Header=BB257_1567 Depth=1
	v_and_b32_e32 v8, 7, v8
	v_mov_b32_e32 v19, v9
	v_lshrrev_b32_e32 v10, 3, v20
	s_mov_b32 s13, exec_lo
	v_mov_b32_e32 v18, v8
	v_cmpx_gt_u32_e32 8, v20
; %bb.2973:                             ;   in Loop: Header=BB257_1567 Depth=1
	v_ffbh_u32_e32 v10, v8
	v_min_u32_e32 v10, 32, v10
	v_subrev_nc_u32_e32 v12, 28, v10
	v_sub_nc_u32_e32 v10, 29, v10
	v_lshlrev_b64 v[18:19], v12, v[8:9]
	v_and_b32_e32 v18, 7, v18
; %bb.2974:                             ;   in Loop: Header=BB257_1567 Depth=1
	s_or_b32 exec_lo, exec_lo, s13
	v_lshlrev_b32_e32 v8, 16, v68
	v_lshlrev_b32_e32 v12, 20, v18
	v_lshl_add_u32 v10, v10, 23, 0x3c000000
	v_mov_b32_e32 v18, v9
	v_and_b32_e32 v8, 0x80000000, v8
	v_or3_b32 v19, v12, v8, v10
.LBB257_2975:                           ;   in Loop: Header=BB257_1567 Depth=1
	s_or_b32 exec_lo, exec_lo, s12
.LBB257_2976:                           ;   in Loop: Header=BB257_1567 Depth=1
	s_or_b32 exec_lo, exec_lo, s9
.LBB257_2977:                           ;   in Loop: Header=BB257_1567 Depth=1
	s_or_b32 exec_lo, exec_lo, s8
	v_mov_b32_e32 v20, 0
	v_mov_b32_e32 v22, 0
	v_and_b32_sdwa v8, v68, v44 dst_sel:DWORD dst_unused:UNUSED_PAD src0_sel:WORD_1 src1_sel:DWORD
	v_mov_b32_e32 v21, 0
	v_mov_b32_e32 v23, 0
	s_mov_b32 s8, exec_lo
	v_cmpx_ne_u16_e32 0, v8
	s_cbranch_execz .LBB257_2985
; %bb.2978:                             ;   in Loop: Header=BB257_1567 Depth=1
	v_bfrev_b32_e32 v22, 1
	v_mov_b32_e32 v23, 0
	s_mov_b32 s9, exec_lo
	v_cmpx_ne_u16_e32 0x80, v8
	s_cbranch_execz .LBB257_2984
; %bb.2979:                             ;   in Loop: Header=BB257_1567 Depth=1
	v_mov_b32_e32 v22, 0x7f800001
	v_bfe_u32 v12, v68, 16, 7
	v_mov_b32_e32 v23, 0
	s_mov_b32 s12, exec_lo
	v_cmpx_ne_u32_e32 0x7f, v12
	s_cbranch_execz .LBB257_2983
; %bb.2980:                             ;   in Loop: Header=BB257_1567 Depth=1
	v_mov_b32_e32 v8, 7
	v_lshrrev_b32_e32 v10, 3, v12
	s_mov_b32 s13, exec_lo
	v_and_b32_sdwa v8, v68, v8 dst_sel:DWORD dst_unused:UNUSED_PAD src0_sel:WORD_1 src1_sel:DWORD
	v_mov_b32_e32 v23, v9
	v_mov_b32_e32 v22, v8
	v_cmpx_gt_u32_e32 8, v12
; %bb.2981:                             ;   in Loop: Header=BB257_1567 Depth=1
	v_ffbh_u32_e32 v10, v8
	v_min_u32_e32 v10, 32, v10
	v_subrev_nc_u32_e32 v12, 28, v10
	v_sub_nc_u32_e32 v10, 29, v10
	v_lshlrev_b64 v[22:23], v12, v[8:9]
	v_and_b32_e32 v22, 7, v22
; %bb.2982:                             ;   in Loop: Header=BB257_1567 Depth=1
	s_or_b32 exec_lo, exec_lo, s13
	v_mov_b32_e32 v8, 24
	v_lshlrev_b32_e32 v12, 20, v22
	v_lshl_add_u32 v10, v10, 23, 0x3c000000
	v_lshlrev_b32_sdwa v8, v8, v68 dst_sel:DWORD dst_unused:UNUSED_PAD src0_sel:DWORD src1_sel:WORD_1
	v_and_b32_e32 v8, 0x80000000, v8
	v_or3_b32 v8, v12, v8, v10
	v_mov_b32_e32 v23, v9
	v_mov_b32_e32 v22, v8
.LBB257_2983:                           ;   in Loop: Header=BB257_1567 Depth=1
	s_or_b32 exec_lo, exec_lo, s12
.LBB257_2984:                           ;   in Loop: Header=BB257_1567 Depth=1
	s_or_b32 exec_lo, exec_lo, s9
.LBB257_2985:                           ;   in Loop: Header=BB257_1567 Depth=1
	s_or_b32 exec_lo, exec_lo, s8
	s_mov_b32 s8, exec_lo
	v_cmpx_lt_u32_e32 0xffffff, v68
	s_cbranch_execz .LBB257_2993
; %bb.2986:                             ;   in Loop: Header=BB257_1567 Depth=1
	v_mov_b32_e32 v10, v9
	v_mov_b32_e32 v21, v11
	v_cmp_ne_u32_sdwa s4, v68, v42 src0_sel:BYTE_3 src1_sel:DWORD
	v_mov_b32_e32 v20, v10
	s_and_saveexec_b32 s9, s4
	s_cbranch_execz .LBB257_2992
; %bb.2987:                             ;   in Loop: Header=BB257_1567 Depth=1
	v_mov_b32_e32 v12, v9
	v_mov_b32_e32 v21, v13
	v_bfe_u32 v69, v68, 24, 7
	s_mov_b32 s12, exec_lo
	v_mov_b32_e32 v20, v12
	v_cmpx_ne_u32_e32 0x7f, v69
	s_cbranch_execz .LBB257_2991
; %bb.2988:                             ;   in Loop: Header=BB257_1567 Depth=1
	v_mov_b32_e32 v8, 7
	v_lshrrev_b32_e32 v10, 3, v69
	s_mov_b32 s13, exec_lo
	v_and_b32_sdwa v8, v68, v8 dst_sel:DWORD dst_unused:UNUSED_PAD src0_sel:BYTE_3 src1_sel:DWORD
	v_mov_b32_e32 v21, v9
	v_mov_b32_e32 v20, v8
	v_cmpx_gt_u32_e32 8, v69
; %bb.2989:                             ;   in Loop: Header=BB257_1567 Depth=1
	v_ffbh_u32_e32 v10, v8
	v_min_u32_e32 v10, 32, v10
	v_subrev_nc_u32_e32 v12, 28, v10
	v_sub_nc_u32_e32 v10, 29, v10
	v_lshlrev_b64 v[20:21], v12, v[8:9]
	v_and_b32_e32 v20, 7, v20
; %bb.2990:                             ;   in Loop: Header=BB257_1567 Depth=1
	s_or_b32 exec_lo, exec_lo, s13
	v_mov_b32_e32 v8, 24
	v_lshlrev_b32_e32 v12, 20, v20
	v_lshl_add_u32 v10, v10, 23, 0x3c000000
	v_mov_b32_e32 v20, v9
	v_lshlrev_b32_sdwa v8, v8, v68 dst_sel:DWORD dst_unused:UNUSED_PAD src0_sel:DWORD src1_sel:BYTE_3
	v_and_b32_e32 v8, 0x80000000, v8
	v_or3_b32 v21, v12, v8, v10
.LBB257_2991:                           ;   in Loop: Header=BB257_1567 Depth=1
	s_or_b32 exec_lo, exec_lo, s12
.LBB257_2992:                           ;   in Loop: Header=BB257_1567 Depth=1
	s_or_b32 exec_lo, exec_lo, s9
.LBB257_2993:                           ;   in Loop: Header=BB257_1567 Depth=1
	s_or_b32 exec_lo, exec_lo, s8
	v_or_b32_e32 v8, v19, v17
	v_or_b32_e32 v10, v18, v16
	;; [unrolled: 1-line block ×4, first 2 shown]
	v_mul_f32_e32 v71, v60, v8
	v_mul_f32_e32 v70, v40, v10
	;; [unrolled: 1-line block ×4, first 2 shown]
	s_and_saveexec_b32 s8, vcc_lo
	s_cbranch_execz .LBB257_2995
; %bb.2994:                             ;   in Loop: Header=BB257_1567 Depth=1
	v_cmp_lt_i32_e64 s4, v89, v78
	v_cndmask_b32_e64 v70, 0, v70, s4
	v_cmp_lt_i32_e64 s4, v91, v78
	v_cndmask_b32_e64 v71, 0, v71, s4
	;; [unrolled: 2-line block ×4, first 2 shown]
.LBB257_2995:                           ;   in Loop: Header=BB257_1567 Depth=1
	s_or_b32 exec_lo, exec_lo, s8
	flat_load_dword v80, v[4:5] offset:1280
	v_mov_b32_e32 v18, 0
	v_mov_b32_e32 v16, 0
	;; [unrolled: 1-line block ×4, first 2 shown]
	s_waitcnt vmcnt(0) lgkmcnt(0)
	v_cmp_ne_u16_sdwa s4, v80, v9 src0_sel:BYTE_0 src1_sel:DWORD
	s_and_saveexec_b32 s8, s4
	s_cbranch_execz .LBB257_3003
; %bb.2996:                             ;   in Loop: Header=BB257_1567 Depth=1
	v_bfrev_b32_e32 v16, 1
	v_mov_b32_e32 v17, 0
	v_cmp_ne_u16_sdwa s4, v80, v42 src0_sel:BYTE_0 src1_sel:DWORD
	s_and_saveexec_b32 s9, s4
	s_cbranch_execz .LBB257_3002
; %bb.2997:                             ;   in Loop: Header=BB257_1567 Depth=1
	v_mov_b32_e32 v16, 0x7f800001
	v_and_b32_e32 v12, 0x7f, v80
	v_mov_b32_e32 v17, 0
	s_mov_b32 s12, exec_lo
	v_cmpx_ne_u32_e32 0x7f, v12
	s_cbranch_execz .LBB257_3001
; %bb.2998:                             ;   in Loop: Header=BB257_1567 Depth=1
	v_and_b32_e32 v8, 7, v80
	v_mov_b32_e32 v17, v9
	v_lshrrev_b32_e32 v10, 3, v12
	s_mov_b32 s13, exec_lo
	v_mov_b32_e32 v16, v8
	v_cmpx_gt_u32_e32 8, v12
; %bb.2999:                             ;   in Loop: Header=BB257_1567 Depth=1
	v_ffbh_u32_e32 v10, v8
	v_min_u32_e32 v10, 32, v10
	v_subrev_nc_u32_e32 v12, 28, v10
	v_sub_nc_u32_e32 v10, 29, v10
	v_lshlrev_b64 v[16:17], v12, v[8:9]
	v_and_b32_e32 v16, 7, v16
; %bb.3000:                             ;   in Loop: Header=BB257_1567 Depth=1
	s_or_b32 exec_lo, exec_lo, s13
	v_lshlrev_b32_e32 v8, 24, v80
	v_lshlrev_b32_e32 v12, 20, v16
	v_lshl_add_u32 v10, v10, 23, 0x3c000000
	v_and_b32_e32 v8, 0x80000000, v8
	v_or3_b32 v8, v12, v8, v10
	v_mov_b32_e32 v17, v9
	v_mov_b32_e32 v16, v8
.LBB257_3001:                           ;   in Loop: Header=BB257_1567 Depth=1
	s_or_b32 exec_lo, exec_lo, s12
.LBB257_3002:                           ;   in Loop: Header=BB257_1567 Depth=1
	s_or_b32 exec_lo, exec_lo, s9
.LBB257_3003:                           ;   in Loop: Header=BB257_1567 Depth=1
	s_or_b32 exec_lo, exec_lo, s8
	v_cmp_ne_u16_sdwa s4, v80, v9 src0_sel:BYTE_1 src1_sel:DWORD
	s_and_saveexec_b32 s8, s4
	s_cbranch_execz .LBB257_3011
; %bb.3004:                             ;   in Loop: Header=BB257_1567 Depth=1
	v_mov_b32_e32 v10, v9
	v_mov_b32_e32 v19, v11
	v_cmp_ne_u16_sdwa s4, v80, v42 src0_sel:BYTE_1 src1_sel:DWORD
	v_mov_b32_e32 v18, v10
	s_and_saveexec_b32 s9, s4
	s_cbranch_execz .LBB257_3010
; %bb.3005:                             ;   in Loop: Header=BB257_1567 Depth=1
	v_mov_b32_e32 v8, 0xffff
	v_mov_b32_e32 v12, v9
	;; [unrolled: 1-line block ×3, first 2 shown]
	s_mov_b32 s12, exec_lo
	v_and_b32_sdwa v8, v8, v80 dst_sel:DWORD dst_unused:UNUSED_PAD src0_sel:DWORD src1_sel:BYTE_1
	v_mov_b32_e32 v18, v12
	v_and_b32_e32 v20, 0x7f, v8
	v_cmpx_ne_u32_e32 0x7f, v20
	s_cbranch_execz .LBB257_3009
; %bb.3006:                             ;   in Loop: Header=BB257_1567 Depth=1
	v_and_b32_e32 v8, 7, v8
	v_mov_b32_e32 v19, v9
	v_lshrrev_b32_e32 v10, 3, v20
	s_mov_b32 s13, exec_lo
	v_mov_b32_e32 v18, v8
	v_cmpx_gt_u32_e32 8, v20
; %bb.3007:                             ;   in Loop: Header=BB257_1567 Depth=1
	v_ffbh_u32_e32 v10, v8
	v_min_u32_e32 v10, 32, v10
	v_subrev_nc_u32_e32 v12, 28, v10
	v_sub_nc_u32_e32 v10, 29, v10
	v_lshlrev_b64 v[18:19], v12, v[8:9]
	v_and_b32_e32 v18, 7, v18
; %bb.3008:                             ;   in Loop: Header=BB257_1567 Depth=1
	s_or_b32 exec_lo, exec_lo, s13
	v_lshlrev_b32_e32 v8, 16, v80
	v_lshlrev_b32_e32 v12, 20, v18
	v_lshl_add_u32 v10, v10, 23, 0x3c000000
	v_mov_b32_e32 v18, v9
	v_and_b32_e32 v8, 0x80000000, v8
	v_or3_b32 v19, v12, v8, v10
.LBB257_3009:                           ;   in Loop: Header=BB257_1567 Depth=1
	s_or_b32 exec_lo, exec_lo, s12
.LBB257_3010:                           ;   in Loop: Header=BB257_1567 Depth=1
	s_or_b32 exec_lo, exec_lo, s9
.LBB257_3011:                           ;   in Loop: Header=BB257_1567 Depth=1
	s_or_b32 exec_lo, exec_lo, s8
	v_mov_b32_e32 v20, 0
	v_mov_b32_e32 v22, 0
	v_and_b32_sdwa v8, v80, v44 dst_sel:DWORD dst_unused:UNUSED_PAD src0_sel:WORD_1 src1_sel:DWORD
	v_mov_b32_e32 v21, 0
	v_mov_b32_e32 v23, 0
	s_mov_b32 s8, exec_lo
	v_cmpx_ne_u16_e32 0, v8
	s_cbranch_execz .LBB257_3019
; %bb.3012:                             ;   in Loop: Header=BB257_1567 Depth=1
	v_bfrev_b32_e32 v22, 1
	v_mov_b32_e32 v23, 0
	s_mov_b32 s9, exec_lo
	v_cmpx_ne_u16_e32 0x80, v8
	s_cbranch_execz .LBB257_3018
; %bb.3013:                             ;   in Loop: Header=BB257_1567 Depth=1
	v_mov_b32_e32 v22, 0x7f800001
	v_bfe_u32 v12, v80, 16, 7
	v_mov_b32_e32 v23, 0
	s_mov_b32 s12, exec_lo
	v_cmpx_ne_u32_e32 0x7f, v12
	s_cbranch_execz .LBB257_3017
; %bb.3014:                             ;   in Loop: Header=BB257_1567 Depth=1
	v_mov_b32_e32 v8, 7
	v_lshrrev_b32_e32 v10, 3, v12
	s_mov_b32 s13, exec_lo
	v_and_b32_sdwa v8, v80, v8 dst_sel:DWORD dst_unused:UNUSED_PAD src0_sel:WORD_1 src1_sel:DWORD
	v_mov_b32_e32 v23, v9
	v_mov_b32_e32 v22, v8
	v_cmpx_gt_u32_e32 8, v12
; %bb.3015:                             ;   in Loop: Header=BB257_1567 Depth=1
	v_ffbh_u32_e32 v10, v8
	v_min_u32_e32 v10, 32, v10
	v_subrev_nc_u32_e32 v12, 28, v10
	v_sub_nc_u32_e32 v10, 29, v10
	v_lshlrev_b64 v[22:23], v12, v[8:9]
	v_and_b32_e32 v22, 7, v22
; %bb.3016:                             ;   in Loop: Header=BB257_1567 Depth=1
	s_or_b32 exec_lo, exec_lo, s13
	v_mov_b32_e32 v8, 24
	v_lshlrev_b32_e32 v12, 20, v22
	v_lshl_add_u32 v10, v10, 23, 0x3c000000
	v_lshlrev_b32_sdwa v8, v8, v80 dst_sel:DWORD dst_unused:UNUSED_PAD src0_sel:DWORD src1_sel:WORD_1
	v_and_b32_e32 v8, 0x80000000, v8
	v_or3_b32 v8, v12, v8, v10
	v_mov_b32_e32 v23, v9
	v_mov_b32_e32 v22, v8
.LBB257_3017:                           ;   in Loop: Header=BB257_1567 Depth=1
	s_or_b32 exec_lo, exec_lo, s12
.LBB257_3018:                           ;   in Loop: Header=BB257_1567 Depth=1
	s_or_b32 exec_lo, exec_lo, s9
.LBB257_3019:                           ;   in Loop: Header=BB257_1567 Depth=1
	s_or_b32 exec_lo, exec_lo, s8
	s_mov_b32 s8, exec_lo
	v_cmpx_lt_u32_e32 0xffffff, v80
	s_cbranch_execz .LBB257_3027
; %bb.3020:                             ;   in Loop: Header=BB257_1567 Depth=1
	v_mov_b32_e32 v10, v9
	v_mov_b32_e32 v21, v11
	v_cmp_ne_u32_sdwa s4, v80, v42 src0_sel:BYTE_3 src1_sel:DWORD
	v_mov_b32_e32 v20, v10
	s_and_saveexec_b32 s9, s4
	s_cbranch_execz .LBB257_3026
; %bb.3021:                             ;   in Loop: Header=BB257_1567 Depth=1
	v_mov_b32_e32 v12, v9
	v_mov_b32_e32 v21, v13
	v_bfe_u32 v81, v80, 24, 7
	s_mov_b32 s12, exec_lo
	v_mov_b32_e32 v20, v12
	v_cmpx_ne_u32_e32 0x7f, v81
	s_cbranch_execz .LBB257_3025
; %bb.3022:                             ;   in Loop: Header=BB257_1567 Depth=1
	v_mov_b32_e32 v8, 7
	v_lshrrev_b32_e32 v10, 3, v81
	s_mov_b32 s13, exec_lo
	v_and_b32_sdwa v8, v80, v8 dst_sel:DWORD dst_unused:UNUSED_PAD src0_sel:BYTE_3 src1_sel:DWORD
	v_mov_b32_e32 v21, v9
	v_mov_b32_e32 v20, v8
	v_cmpx_gt_u32_e32 8, v81
; %bb.3023:                             ;   in Loop: Header=BB257_1567 Depth=1
	v_ffbh_u32_e32 v10, v8
	v_min_u32_e32 v10, 32, v10
	v_subrev_nc_u32_e32 v12, 28, v10
	v_sub_nc_u32_e32 v10, 29, v10
	v_lshlrev_b64 v[20:21], v12, v[8:9]
	v_and_b32_e32 v20, 7, v20
; %bb.3024:                             ;   in Loop: Header=BB257_1567 Depth=1
	s_or_b32 exec_lo, exec_lo, s13
	v_mov_b32_e32 v8, 24
	v_lshlrev_b32_e32 v12, 20, v20
	v_lshl_add_u32 v10, v10, 23, 0x3c000000
	v_mov_b32_e32 v20, v9
	v_lshlrev_b32_sdwa v8, v8, v80 dst_sel:DWORD dst_unused:UNUSED_PAD src0_sel:DWORD src1_sel:BYTE_3
	v_and_b32_e32 v8, 0x80000000, v8
	v_or3_b32 v21, v12, v8, v10
.LBB257_3025:                           ;   in Loop: Header=BB257_1567 Depth=1
	s_or_b32 exec_lo, exec_lo, s12
.LBB257_3026:                           ;   in Loop: Header=BB257_1567 Depth=1
	s_or_b32 exec_lo, exec_lo, s9
.LBB257_3027:                           ;   in Loop: Header=BB257_1567 Depth=1
	s_or_b32 exec_lo, exec_lo, s8
	v_or_b32_e32 v8, v19, v17
	v_or_b32_e32 v10, v18, v16
	;; [unrolled: 1-line block ×4, first 2 shown]
	v_mul_f32_e32 v83, v60, v8
	v_mul_f32_e32 v82, v40, v10
	;; [unrolled: 1-line block ×4, first 2 shown]
	s_and_saveexec_b32 s8, vcc_lo
	s_cbranch_execz .LBB257_3029
; %bb.3028:                             ;   in Loop: Header=BB257_1567 Depth=1
	v_cmp_lt_i32_e64 s4, v89, v78
	v_cndmask_b32_e64 v82, 0, v82, s4
	v_cmp_lt_i32_e64 s4, v91, v78
	v_cndmask_b32_e64 v83, 0, v83, s4
	;; [unrolled: 2-line block ×4, first 2 shown]
.LBB257_3029:                           ;   in Loop: Header=BB257_1567 Depth=1
	s_or_b32 exec_lo, exec_lo, s8
	flat_load_dword v84, v[4:5] offset:1408
	v_mov_b32_e32 v18, 0
	v_mov_b32_e32 v16, 0
	;; [unrolled: 1-line block ×4, first 2 shown]
	s_waitcnt vmcnt(0) lgkmcnt(0)
	v_cmp_ne_u16_sdwa s4, v84, v9 src0_sel:BYTE_0 src1_sel:DWORD
	s_and_saveexec_b32 s8, s4
	s_cbranch_execz .LBB257_3037
; %bb.3030:                             ;   in Loop: Header=BB257_1567 Depth=1
	v_bfrev_b32_e32 v16, 1
	v_mov_b32_e32 v17, 0
	v_cmp_ne_u16_sdwa s4, v84, v42 src0_sel:BYTE_0 src1_sel:DWORD
	s_and_saveexec_b32 s9, s4
	s_cbranch_execz .LBB257_3036
; %bb.3031:                             ;   in Loop: Header=BB257_1567 Depth=1
	v_mov_b32_e32 v16, 0x7f800001
	v_and_b32_e32 v12, 0x7f, v84
	v_mov_b32_e32 v17, 0
	s_mov_b32 s12, exec_lo
	v_cmpx_ne_u32_e32 0x7f, v12
	s_cbranch_execz .LBB257_3035
; %bb.3032:                             ;   in Loop: Header=BB257_1567 Depth=1
	v_and_b32_e32 v8, 7, v84
	v_mov_b32_e32 v17, v9
	v_lshrrev_b32_e32 v10, 3, v12
	s_mov_b32 s13, exec_lo
	v_mov_b32_e32 v16, v8
	v_cmpx_gt_u32_e32 8, v12
; %bb.3033:                             ;   in Loop: Header=BB257_1567 Depth=1
	v_ffbh_u32_e32 v10, v8
	v_min_u32_e32 v10, 32, v10
	v_subrev_nc_u32_e32 v12, 28, v10
	v_sub_nc_u32_e32 v10, 29, v10
	v_lshlrev_b64 v[16:17], v12, v[8:9]
	v_and_b32_e32 v16, 7, v16
; %bb.3034:                             ;   in Loop: Header=BB257_1567 Depth=1
	s_or_b32 exec_lo, exec_lo, s13
	v_lshlrev_b32_e32 v8, 24, v84
	v_lshlrev_b32_e32 v12, 20, v16
	v_lshl_add_u32 v10, v10, 23, 0x3c000000
	v_and_b32_e32 v8, 0x80000000, v8
	v_or3_b32 v8, v12, v8, v10
	v_mov_b32_e32 v17, v9
	v_mov_b32_e32 v16, v8
.LBB257_3035:                           ;   in Loop: Header=BB257_1567 Depth=1
	s_or_b32 exec_lo, exec_lo, s12
.LBB257_3036:                           ;   in Loop: Header=BB257_1567 Depth=1
	s_or_b32 exec_lo, exec_lo, s9
.LBB257_3037:                           ;   in Loop: Header=BB257_1567 Depth=1
	s_or_b32 exec_lo, exec_lo, s8
	v_cmp_ne_u16_sdwa s4, v84, v9 src0_sel:BYTE_1 src1_sel:DWORD
	s_and_saveexec_b32 s8, s4
	s_cbranch_execz .LBB257_3045
; %bb.3038:                             ;   in Loop: Header=BB257_1567 Depth=1
	v_mov_b32_e32 v10, v9
	v_mov_b32_e32 v19, v11
	v_cmp_ne_u16_sdwa s4, v84, v42 src0_sel:BYTE_1 src1_sel:DWORD
	v_mov_b32_e32 v18, v10
	s_and_saveexec_b32 s9, s4
	s_cbranch_execz .LBB257_3044
; %bb.3039:                             ;   in Loop: Header=BB257_1567 Depth=1
	v_mov_b32_e32 v8, 0xffff
	v_mov_b32_e32 v12, v9
	;; [unrolled: 1-line block ×3, first 2 shown]
	s_mov_b32 s12, exec_lo
	v_and_b32_sdwa v8, v8, v84 dst_sel:DWORD dst_unused:UNUSED_PAD src0_sel:DWORD src1_sel:BYTE_1
	v_mov_b32_e32 v18, v12
	v_and_b32_e32 v20, 0x7f, v8
	v_cmpx_ne_u32_e32 0x7f, v20
	s_cbranch_execz .LBB257_3043
; %bb.3040:                             ;   in Loop: Header=BB257_1567 Depth=1
	v_and_b32_e32 v8, 7, v8
	v_mov_b32_e32 v19, v9
	v_lshrrev_b32_e32 v10, 3, v20
	s_mov_b32 s13, exec_lo
	v_mov_b32_e32 v18, v8
	v_cmpx_gt_u32_e32 8, v20
; %bb.3041:                             ;   in Loop: Header=BB257_1567 Depth=1
	v_ffbh_u32_e32 v10, v8
	v_min_u32_e32 v10, 32, v10
	v_subrev_nc_u32_e32 v12, 28, v10
	v_sub_nc_u32_e32 v10, 29, v10
	v_lshlrev_b64 v[18:19], v12, v[8:9]
	v_and_b32_e32 v18, 7, v18
; %bb.3042:                             ;   in Loop: Header=BB257_1567 Depth=1
	s_or_b32 exec_lo, exec_lo, s13
	v_lshlrev_b32_e32 v8, 16, v84
	v_lshlrev_b32_e32 v12, 20, v18
	v_lshl_add_u32 v10, v10, 23, 0x3c000000
	v_mov_b32_e32 v18, v9
	v_and_b32_e32 v8, 0x80000000, v8
	v_or3_b32 v19, v12, v8, v10
.LBB257_3043:                           ;   in Loop: Header=BB257_1567 Depth=1
	s_or_b32 exec_lo, exec_lo, s12
.LBB257_3044:                           ;   in Loop: Header=BB257_1567 Depth=1
	s_or_b32 exec_lo, exec_lo, s9
.LBB257_3045:                           ;   in Loop: Header=BB257_1567 Depth=1
	s_or_b32 exec_lo, exec_lo, s8
	v_mov_b32_e32 v20, 0
	v_mov_b32_e32 v22, 0
	v_and_b32_sdwa v8, v84, v44 dst_sel:DWORD dst_unused:UNUSED_PAD src0_sel:WORD_1 src1_sel:DWORD
	v_mov_b32_e32 v21, 0
	v_mov_b32_e32 v23, 0
	s_mov_b32 s8, exec_lo
	v_cmpx_ne_u16_e32 0, v8
	s_cbranch_execz .LBB257_3053
; %bb.3046:                             ;   in Loop: Header=BB257_1567 Depth=1
	v_bfrev_b32_e32 v22, 1
	v_mov_b32_e32 v23, 0
	s_mov_b32 s9, exec_lo
	v_cmpx_ne_u16_e32 0x80, v8
	s_cbranch_execz .LBB257_3052
; %bb.3047:                             ;   in Loop: Header=BB257_1567 Depth=1
	v_mov_b32_e32 v22, 0x7f800001
	v_bfe_u32 v12, v84, 16, 7
	v_mov_b32_e32 v23, 0
	s_mov_b32 s12, exec_lo
	v_cmpx_ne_u32_e32 0x7f, v12
	s_cbranch_execz .LBB257_3051
; %bb.3048:                             ;   in Loop: Header=BB257_1567 Depth=1
	v_mov_b32_e32 v8, 7
	v_lshrrev_b32_e32 v10, 3, v12
	s_mov_b32 s13, exec_lo
	v_and_b32_sdwa v8, v84, v8 dst_sel:DWORD dst_unused:UNUSED_PAD src0_sel:WORD_1 src1_sel:DWORD
	v_mov_b32_e32 v23, v9
	v_mov_b32_e32 v22, v8
	v_cmpx_gt_u32_e32 8, v12
; %bb.3049:                             ;   in Loop: Header=BB257_1567 Depth=1
	v_ffbh_u32_e32 v10, v8
	v_min_u32_e32 v10, 32, v10
	v_subrev_nc_u32_e32 v12, 28, v10
	v_sub_nc_u32_e32 v10, 29, v10
	v_lshlrev_b64 v[22:23], v12, v[8:9]
	v_and_b32_e32 v22, 7, v22
; %bb.3050:                             ;   in Loop: Header=BB257_1567 Depth=1
	s_or_b32 exec_lo, exec_lo, s13
	v_mov_b32_e32 v8, 24
	v_lshlrev_b32_e32 v12, 20, v22
	v_lshl_add_u32 v10, v10, 23, 0x3c000000
	v_lshlrev_b32_sdwa v8, v8, v84 dst_sel:DWORD dst_unused:UNUSED_PAD src0_sel:DWORD src1_sel:WORD_1
	v_and_b32_e32 v8, 0x80000000, v8
	v_or3_b32 v8, v12, v8, v10
	v_mov_b32_e32 v23, v9
	v_mov_b32_e32 v22, v8
.LBB257_3051:                           ;   in Loop: Header=BB257_1567 Depth=1
	s_or_b32 exec_lo, exec_lo, s12
.LBB257_3052:                           ;   in Loop: Header=BB257_1567 Depth=1
	s_or_b32 exec_lo, exec_lo, s9
.LBB257_3053:                           ;   in Loop: Header=BB257_1567 Depth=1
	s_or_b32 exec_lo, exec_lo, s8
	s_mov_b32 s8, exec_lo
	v_cmpx_lt_u32_e32 0xffffff, v84
	s_cbranch_execz .LBB257_3061
; %bb.3054:                             ;   in Loop: Header=BB257_1567 Depth=1
	v_mov_b32_e32 v10, v9
	v_mov_b32_e32 v21, v11
	v_cmp_ne_u32_sdwa s4, v84, v42 src0_sel:BYTE_3 src1_sel:DWORD
	v_mov_b32_e32 v20, v10
	s_and_saveexec_b32 s9, s4
	s_cbranch_execz .LBB257_3060
; %bb.3055:                             ;   in Loop: Header=BB257_1567 Depth=1
	v_mov_b32_e32 v12, v9
	v_mov_b32_e32 v21, v13
	v_bfe_u32 v85, v84, 24, 7
	s_mov_b32 s12, exec_lo
	v_mov_b32_e32 v20, v12
	v_cmpx_ne_u32_e32 0x7f, v85
	s_cbranch_execz .LBB257_3059
; %bb.3056:                             ;   in Loop: Header=BB257_1567 Depth=1
	v_mov_b32_e32 v8, 7
	v_lshrrev_b32_e32 v10, 3, v85
	s_mov_b32 s13, exec_lo
	v_and_b32_sdwa v8, v84, v8 dst_sel:DWORD dst_unused:UNUSED_PAD src0_sel:BYTE_3 src1_sel:DWORD
	v_mov_b32_e32 v21, v9
	v_mov_b32_e32 v20, v8
	v_cmpx_gt_u32_e32 8, v85
; %bb.3057:                             ;   in Loop: Header=BB257_1567 Depth=1
	v_ffbh_u32_e32 v10, v8
	v_min_u32_e32 v10, 32, v10
	v_subrev_nc_u32_e32 v12, 28, v10
	v_sub_nc_u32_e32 v10, 29, v10
	v_lshlrev_b64 v[20:21], v12, v[8:9]
	v_and_b32_e32 v20, 7, v20
; %bb.3058:                             ;   in Loop: Header=BB257_1567 Depth=1
	s_or_b32 exec_lo, exec_lo, s13
	v_mov_b32_e32 v8, 24
	v_lshlrev_b32_e32 v12, 20, v20
	v_lshl_add_u32 v10, v10, 23, 0x3c000000
	v_mov_b32_e32 v20, v9
	v_lshlrev_b32_sdwa v8, v8, v84 dst_sel:DWORD dst_unused:UNUSED_PAD src0_sel:DWORD src1_sel:BYTE_3
	v_and_b32_e32 v8, 0x80000000, v8
	v_or3_b32 v21, v12, v8, v10
.LBB257_3059:                           ;   in Loop: Header=BB257_1567 Depth=1
	s_or_b32 exec_lo, exec_lo, s12
.LBB257_3060:                           ;   in Loop: Header=BB257_1567 Depth=1
	s_or_b32 exec_lo, exec_lo, s9
.LBB257_3061:                           ;   in Loop: Header=BB257_1567 Depth=1
	s_or_b32 exec_lo, exec_lo, s8
	v_or_b32_e32 v8, v19, v17
	v_or_b32_e32 v10, v18, v16
	;; [unrolled: 1-line block ×4, first 2 shown]
	v_mul_f32_e32 v87, v60, v8
	v_mul_f32_e32 v86, v40, v10
	;; [unrolled: 1-line block ×4, first 2 shown]
	s_and_saveexec_b32 s8, vcc_lo
	s_cbranch_execz .LBB257_3063
; %bb.3062:                             ;   in Loop: Header=BB257_1567 Depth=1
	v_cmp_lt_i32_e64 s4, v89, v78
	v_cndmask_b32_e64 v86, 0, v86, s4
	v_cmp_lt_i32_e64 s4, v91, v78
	v_cndmask_b32_e64 v87, 0, v87, s4
	;; [unrolled: 2-line block ×4, first 2 shown]
.LBB257_3063:                           ;   in Loop: Header=BB257_1567 Depth=1
	s_or_b32 exec_lo, exec_lo, s8
	flat_load_dword v96, v[4:5] offset:1536
	v_mov_b32_e32 v18, 0
	v_mov_b32_e32 v16, 0
	;; [unrolled: 1-line block ×4, first 2 shown]
	s_waitcnt vmcnt(0) lgkmcnt(0)
	v_cmp_ne_u16_sdwa s4, v96, v9 src0_sel:BYTE_0 src1_sel:DWORD
	s_and_saveexec_b32 s8, s4
	s_cbranch_execz .LBB257_3071
; %bb.3064:                             ;   in Loop: Header=BB257_1567 Depth=1
	v_bfrev_b32_e32 v16, 1
	v_mov_b32_e32 v17, 0
	v_cmp_ne_u16_sdwa s4, v96, v42 src0_sel:BYTE_0 src1_sel:DWORD
	s_and_saveexec_b32 s9, s4
	s_cbranch_execz .LBB257_3070
; %bb.3065:                             ;   in Loop: Header=BB257_1567 Depth=1
	v_mov_b32_e32 v16, 0x7f800001
	v_and_b32_e32 v12, 0x7f, v96
	v_mov_b32_e32 v17, 0
	s_mov_b32 s12, exec_lo
	v_cmpx_ne_u32_e32 0x7f, v12
	s_cbranch_execz .LBB257_3069
; %bb.3066:                             ;   in Loop: Header=BB257_1567 Depth=1
	v_and_b32_e32 v8, 7, v96
	v_mov_b32_e32 v17, v9
	v_lshrrev_b32_e32 v10, 3, v12
	s_mov_b32 s13, exec_lo
	v_mov_b32_e32 v16, v8
	v_cmpx_gt_u32_e32 8, v12
; %bb.3067:                             ;   in Loop: Header=BB257_1567 Depth=1
	v_ffbh_u32_e32 v10, v8
	v_min_u32_e32 v10, 32, v10
	v_subrev_nc_u32_e32 v12, 28, v10
	v_sub_nc_u32_e32 v10, 29, v10
	v_lshlrev_b64 v[16:17], v12, v[8:9]
	v_and_b32_e32 v16, 7, v16
; %bb.3068:                             ;   in Loop: Header=BB257_1567 Depth=1
	s_or_b32 exec_lo, exec_lo, s13
	v_lshlrev_b32_e32 v8, 24, v96
	v_lshlrev_b32_e32 v12, 20, v16
	v_lshl_add_u32 v10, v10, 23, 0x3c000000
	v_and_b32_e32 v8, 0x80000000, v8
	v_or3_b32 v8, v12, v8, v10
	v_mov_b32_e32 v17, v9
	v_mov_b32_e32 v16, v8
.LBB257_3069:                           ;   in Loop: Header=BB257_1567 Depth=1
	s_or_b32 exec_lo, exec_lo, s12
.LBB257_3070:                           ;   in Loop: Header=BB257_1567 Depth=1
	s_or_b32 exec_lo, exec_lo, s9
.LBB257_3071:                           ;   in Loop: Header=BB257_1567 Depth=1
	s_or_b32 exec_lo, exec_lo, s8
	v_cmp_ne_u16_sdwa s4, v96, v9 src0_sel:BYTE_1 src1_sel:DWORD
	s_and_saveexec_b32 s8, s4
	s_cbranch_execz .LBB257_3079
; %bb.3072:                             ;   in Loop: Header=BB257_1567 Depth=1
	v_mov_b32_e32 v10, v9
	v_mov_b32_e32 v19, v11
	v_cmp_ne_u16_sdwa s4, v96, v42 src0_sel:BYTE_1 src1_sel:DWORD
	v_mov_b32_e32 v18, v10
	s_and_saveexec_b32 s9, s4
	s_cbranch_execz .LBB257_3078
; %bb.3073:                             ;   in Loop: Header=BB257_1567 Depth=1
	v_mov_b32_e32 v8, 0xffff
	v_mov_b32_e32 v12, v9
	;; [unrolled: 1-line block ×3, first 2 shown]
	s_mov_b32 s12, exec_lo
	v_and_b32_sdwa v8, v8, v96 dst_sel:DWORD dst_unused:UNUSED_PAD src0_sel:DWORD src1_sel:BYTE_1
	v_mov_b32_e32 v18, v12
	v_and_b32_e32 v20, 0x7f, v8
	v_cmpx_ne_u32_e32 0x7f, v20
	s_cbranch_execz .LBB257_3077
; %bb.3074:                             ;   in Loop: Header=BB257_1567 Depth=1
	v_and_b32_e32 v8, 7, v8
	v_mov_b32_e32 v19, v9
	v_lshrrev_b32_e32 v10, 3, v20
	s_mov_b32 s13, exec_lo
	v_mov_b32_e32 v18, v8
	v_cmpx_gt_u32_e32 8, v20
; %bb.3075:                             ;   in Loop: Header=BB257_1567 Depth=1
	v_ffbh_u32_e32 v10, v8
	v_min_u32_e32 v10, 32, v10
	v_subrev_nc_u32_e32 v12, 28, v10
	v_sub_nc_u32_e32 v10, 29, v10
	v_lshlrev_b64 v[18:19], v12, v[8:9]
	v_and_b32_e32 v18, 7, v18
; %bb.3076:                             ;   in Loop: Header=BB257_1567 Depth=1
	s_or_b32 exec_lo, exec_lo, s13
	v_lshlrev_b32_e32 v8, 16, v96
	v_lshlrev_b32_e32 v12, 20, v18
	v_lshl_add_u32 v10, v10, 23, 0x3c000000
	v_mov_b32_e32 v18, v9
	v_and_b32_e32 v8, 0x80000000, v8
	v_or3_b32 v19, v12, v8, v10
.LBB257_3077:                           ;   in Loop: Header=BB257_1567 Depth=1
	s_or_b32 exec_lo, exec_lo, s12
.LBB257_3078:                           ;   in Loop: Header=BB257_1567 Depth=1
	s_or_b32 exec_lo, exec_lo, s9
.LBB257_3079:                           ;   in Loop: Header=BB257_1567 Depth=1
	s_or_b32 exec_lo, exec_lo, s8
	v_mov_b32_e32 v20, 0
	v_mov_b32_e32 v22, 0
	v_and_b32_sdwa v8, v96, v44 dst_sel:DWORD dst_unused:UNUSED_PAD src0_sel:WORD_1 src1_sel:DWORD
	v_mov_b32_e32 v21, 0
	v_mov_b32_e32 v23, 0
	s_mov_b32 s8, exec_lo
	v_cmpx_ne_u16_e32 0, v8
	s_cbranch_execz .LBB257_3087
; %bb.3080:                             ;   in Loop: Header=BB257_1567 Depth=1
	v_bfrev_b32_e32 v22, 1
	v_mov_b32_e32 v23, 0
	s_mov_b32 s9, exec_lo
	v_cmpx_ne_u16_e32 0x80, v8
	s_cbranch_execz .LBB257_3086
; %bb.3081:                             ;   in Loop: Header=BB257_1567 Depth=1
	v_mov_b32_e32 v22, 0x7f800001
	v_bfe_u32 v12, v96, 16, 7
	v_mov_b32_e32 v23, 0
	s_mov_b32 s12, exec_lo
	v_cmpx_ne_u32_e32 0x7f, v12
	s_cbranch_execz .LBB257_3085
; %bb.3082:                             ;   in Loop: Header=BB257_1567 Depth=1
	v_mov_b32_e32 v8, 7
	v_lshrrev_b32_e32 v10, 3, v12
	s_mov_b32 s13, exec_lo
	v_and_b32_sdwa v8, v96, v8 dst_sel:DWORD dst_unused:UNUSED_PAD src0_sel:WORD_1 src1_sel:DWORD
	v_mov_b32_e32 v23, v9
	v_mov_b32_e32 v22, v8
	v_cmpx_gt_u32_e32 8, v12
; %bb.3083:                             ;   in Loop: Header=BB257_1567 Depth=1
	v_ffbh_u32_e32 v10, v8
	v_min_u32_e32 v10, 32, v10
	v_subrev_nc_u32_e32 v12, 28, v10
	v_sub_nc_u32_e32 v10, 29, v10
	v_lshlrev_b64 v[22:23], v12, v[8:9]
	v_and_b32_e32 v22, 7, v22
; %bb.3084:                             ;   in Loop: Header=BB257_1567 Depth=1
	s_or_b32 exec_lo, exec_lo, s13
	v_mov_b32_e32 v8, 24
	v_lshlrev_b32_e32 v12, 20, v22
	v_lshl_add_u32 v10, v10, 23, 0x3c000000
	v_lshlrev_b32_sdwa v8, v8, v96 dst_sel:DWORD dst_unused:UNUSED_PAD src0_sel:DWORD src1_sel:WORD_1
	v_and_b32_e32 v8, 0x80000000, v8
	v_or3_b32 v8, v12, v8, v10
	v_mov_b32_e32 v23, v9
	v_mov_b32_e32 v22, v8
.LBB257_3085:                           ;   in Loop: Header=BB257_1567 Depth=1
	s_or_b32 exec_lo, exec_lo, s12
.LBB257_3086:                           ;   in Loop: Header=BB257_1567 Depth=1
	s_or_b32 exec_lo, exec_lo, s9
.LBB257_3087:                           ;   in Loop: Header=BB257_1567 Depth=1
	s_or_b32 exec_lo, exec_lo, s8
	s_mov_b32 s8, exec_lo
	v_cmpx_lt_u32_e32 0xffffff, v96
	s_cbranch_execz .LBB257_3095
; %bb.3088:                             ;   in Loop: Header=BB257_1567 Depth=1
	v_mov_b32_e32 v10, v9
	v_mov_b32_e32 v21, v11
	v_cmp_ne_u32_sdwa s4, v96, v42 src0_sel:BYTE_3 src1_sel:DWORD
	v_mov_b32_e32 v20, v10
	s_and_saveexec_b32 s9, s4
	s_cbranch_execz .LBB257_3094
; %bb.3089:                             ;   in Loop: Header=BB257_1567 Depth=1
	v_mov_b32_e32 v12, v9
	v_mov_b32_e32 v21, v13
	v_bfe_u32 v97, v96, 24, 7
	s_mov_b32 s12, exec_lo
	v_mov_b32_e32 v20, v12
	v_cmpx_ne_u32_e32 0x7f, v97
	s_cbranch_execz .LBB257_3093
; %bb.3090:                             ;   in Loop: Header=BB257_1567 Depth=1
	v_mov_b32_e32 v8, 7
	v_lshrrev_b32_e32 v10, 3, v97
	s_mov_b32 s13, exec_lo
	v_and_b32_sdwa v8, v96, v8 dst_sel:DWORD dst_unused:UNUSED_PAD src0_sel:BYTE_3 src1_sel:DWORD
	v_mov_b32_e32 v21, v9
	v_mov_b32_e32 v20, v8
	v_cmpx_gt_u32_e32 8, v97
; %bb.3091:                             ;   in Loop: Header=BB257_1567 Depth=1
	v_ffbh_u32_e32 v10, v8
	v_min_u32_e32 v10, 32, v10
	v_subrev_nc_u32_e32 v12, 28, v10
	v_sub_nc_u32_e32 v10, 29, v10
	v_lshlrev_b64 v[20:21], v12, v[8:9]
	v_and_b32_e32 v20, 7, v20
; %bb.3092:                             ;   in Loop: Header=BB257_1567 Depth=1
	s_or_b32 exec_lo, exec_lo, s13
	v_mov_b32_e32 v8, 24
	v_lshlrev_b32_e32 v12, 20, v20
	v_lshl_add_u32 v10, v10, 23, 0x3c000000
	v_mov_b32_e32 v20, v9
	v_lshlrev_b32_sdwa v8, v8, v96 dst_sel:DWORD dst_unused:UNUSED_PAD src0_sel:DWORD src1_sel:BYTE_3
	v_and_b32_e32 v8, 0x80000000, v8
	v_or3_b32 v21, v12, v8, v10
.LBB257_3093:                           ;   in Loop: Header=BB257_1567 Depth=1
	s_or_b32 exec_lo, exec_lo, s12
.LBB257_3094:                           ;   in Loop: Header=BB257_1567 Depth=1
	s_or_b32 exec_lo, exec_lo, s9
.LBB257_3095:                           ;   in Loop: Header=BB257_1567 Depth=1
	s_or_b32 exec_lo, exec_lo, s8
	v_or_b32_e32 v8, v19, v17
	v_or_b32_e32 v10, v18, v16
	v_or_b32_e32 v12, v20, v22
	v_or_b32_e32 v16, v21, v23
	v_mul_f32_e32 v99, v60, v8
	v_mul_f32_e32 v98, v40, v10
	;; [unrolled: 1-line block ×4, first 2 shown]
	s_and_saveexec_b32 s8, vcc_lo
	s_cbranch_execz .LBB257_3097
; %bb.3096:                             ;   in Loop: Header=BB257_1567 Depth=1
	v_cmp_lt_i32_e64 s4, v89, v78
	v_cndmask_b32_e64 v98, 0, v98, s4
	v_cmp_lt_i32_e64 s4, v91, v78
	v_cndmask_b32_e64 v99, 0, v99, s4
	;; [unrolled: 2-line block ×4, first 2 shown]
.LBB257_3097:                           ;   in Loop: Header=BB257_1567 Depth=1
	s_or_b32 exec_lo, exec_lo, s8
	flat_load_dword v100, v[4:5] offset:1664
	v_mov_b32_e32 v18, 0
	v_mov_b32_e32 v16, 0
	v_mov_b32_e32 v19, 0
	v_mov_b32_e32 v17, 0
	s_waitcnt vmcnt(0) lgkmcnt(0)
	v_cmp_ne_u16_sdwa s4, v100, v9 src0_sel:BYTE_0 src1_sel:DWORD
	s_and_saveexec_b32 s8, s4
	s_cbranch_execz .LBB257_3105
; %bb.3098:                             ;   in Loop: Header=BB257_1567 Depth=1
	v_bfrev_b32_e32 v16, 1
	v_mov_b32_e32 v17, 0
	v_cmp_ne_u16_sdwa s4, v100, v42 src0_sel:BYTE_0 src1_sel:DWORD
	s_and_saveexec_b32 s9, s4
	s_cbranch_execz .LBB257_3104
; %bb.3099:                             ;   in Loop: Header=BB257_1567 Depth=1
	v_mov_b32_e32 v16, 0x7f800001
	v_and_b32_e32 v12, 0x7f, v100
	v_mov_b32_e32 v17, 0
	s_mov_b32 s12, exec_lo
	v_cmpx_ne_u32_e32 0x7f, v12
	s_cbranch_execz .LBB257_3103
; %bb.3100:                             ;   in Loop: Header=BB257_1567 Depth=1
	v_and_b32_e32 v8, 7, v100
	v_mov_b32_e32 v17, v9
	v_lshrrev_b32_e32 v10, 3, v12
	s_mov_b32 s13, exec_lo
	v_mov_b32_e32 v16, v8
	v_cmpx_gt_u32_e32 8, v12
; %bb.3101:                             ;   in Loop: Header=BB257_1567 Depth=1
	v_ffbh_u32_e32 v10, v8
	v_min_u32_e32 v10, 32, v10
	v_subrev_nc_u32_e32 v12, 28, v10
	v_sub_nc_u32_e32 v10, 29, v10
	v_lshlrev_b64 v[16:17], v12, v[8:9]
	v_and_b32_e32 v16, 7, v16
; %bb.3102:                             ;   in Loop: Header=BB257_1567 Depth=1
	s_or_b32 exec_lo, exec_lo, s13
	v_lshlrev_b32_e32 v8, 24, v100
	v_lshlrev_b32_e32 v12, 20, v16
	v_lshl_add_u32 v10, v10, 23, 0x3c000000
	v_and_b32_e32 v8, 0x80000000, v8
	v_or3_b32 v8, v12, v8, v10
	v_mov_b32_e32 v17, v9
	v_mov_b32_e32 v16, v8
.LBB257_3103:                           ;   in Loop: Header=BB257_1567 Depth=1
	s_or_b32 exec_lo, exec_lo, s12
.LBB257_3104:                           ;   in Loop: Header=BB257_1567 Depth=1
	s_or_b32 exec_lo, exec_lo, s9
.LBB257_3105:                           ;   in Loop: Header=BB257_1567 Depth=1
	s_or_b32 exec_lo, exec_lo, s8
	v_cmp_ne_u16_sdwa s4, v100, v9 src0_sel:BYTE_1 src1_sel:DWORD
	s_and_saveexec_b32 s8, s4
	s_cbranch_execz .LBB257_3113
; %bb.3106:                             ;   in Loop: Header=BB257_1567 Depth=1
	v_mov_b32_e32 v10, v9
	v_mov_b32_e32 v19, v11
	v_cmp_ne_u16_sdwa s4, v100, v42 src0_sel:BYTE_1 src1_sel:DWORD
	v_mov_b32_e32 v18, v10
	s_and_saveexec_b32 s9, s4
	s_cbranch_execz .LBB257_3112
; %bb.3107:                             ;   in Loop: Header=BB257_1567 Depth=1
	v_mov_b32_e32 v8, 0xffff
	v_mov_b32_e32 v12, v9
	;; [unrolled: 1-line block ×3, first 2 shown]
	s_mov_b32 s12, exec_lo
	v_and_b32_sdwa v8, v8, v100 dst_sel:DWORD dst_unused:UNUSED_PAD src0_sel:DWORD src1_sel:BYTE_1
	v_mov_b32_e32 v18, v12
	v_and_b32_e32 v20, 0x7f, v8
	v_cmpx_ne_u32_e32 0x7f, v20
	s_cbranch_execz .LBB257_3111
; %bb.3108:                             ;   in Loop: Header=BB257_1567 Depth=1
	v_and_b32_e32 v8, 7, v8
	v_mov_b32_e32 v19, v9
	v_lshrrev_b32_e32 v10, 3, v20
	s_mov_b32 s13, exec_lo
	v_mov_b32_e32 v18, v8
	v_cmpx_gt_u32_e32 8, v20
; %bb.3109:                             ;   in Loop: Header=BB257_1567 Depth=1
	v_ffbh_u32_e32 v10, v8
	v_min_u32_e32 v10, 32, v10
	v_subrev_nc_u32_e32 v12, 28, v10
	v_sub_nc_u32_e32 v10, 29, v10
	v_lshlrev_b64 v[18:19], v12, v[8:9]
	v_and_b32_e32 v18, 7, v18
; %bb.3110:                             ;   in Loop: Header=BB257_1567 Depth=1
	s_or_b32 exec_lo, exec_lo, s13
	v_lshlrev_b32_e32 v8, 16, v100
	v_lshlrev_b32_e32 v12, 20, v18
	v_lshl_add_u32 v10, v10, 23, 0x3c000000
	v_mov_b32_e32 v18, v9
	v_and_b32_e32 v8, 0x80000000, v8
	v_or3_b32 v19, v12, v8, v10
.LBB257_3111:                           ;   in Loop: Header=BB257_1567 Depth=1
	s_or_b32 exec_lo, exec_lo, s12
.LBB257_3112:                           ;   in Loop: Header=BB257_1567 Depth=1
	s_or_b32 exec_lo, exec_lo, s9
.LBB257_3113:                           ;   in Loop: Header=BB257_1567 Depth=1
	s_or_b32 exec_lo, exec_lo, s8
	v_mov_b32_e32 v20, 0
	v_mov_b32_e32 v22, 0
	v_and_b32_sdwa v8, v100, v44 dst_sel:DWORD dst_unused:UNUSED_PAD src0_sel:WORD_1 src1_sel:DWORD
	v_mov_b32_e32 v21, 0
	v_mov_b32_e32 v23, 0
	s_mov_b32 s8, exec_lo
	v_cmpx_ne_u16_e32 0, v8
	s_cbranch_execz .LBB257_3121
; %bb.3114:                             ;   in Loop: Header=BB257_1567 Depth=1
	v_bfrev_b32_e32 v22, 1
	v_mov_b32_e32 v23, 0
	s_mov_b32 s9, exec_lo
	v_cmpx_ne_u16_e32 0x80, v8
	s_cbranch_execz .LBB257_3120
; %bb.3115:                             ;   in Loop: Header=BB257_1567 Depth=1
	v_mov_b32_e32 v22, 0x7f800001
	v_bfe_u32 v12, v100, 16, 7
	v_mov_b32_e32 v23, 0
	s_mov_b32 s12, exec_lo
	v_cmpx_ne_u32_e32 0x7f, v12
	s_cbranch_execz .LBB257_3119
; %bb.3116:                             ;   in Loop: Header=BB257_1567 Depth=1
	v_mov_b32_e32 v8, 7
	v_lshrrev_b32_e32 v10, 3, v12
	s_mov_b32 s13, exec_lo
	v_and_b32_sdwa v8, v100, v8 dst_sel:DWORD dst_unused:UNUSED_PAD src0_sel:WORD_1 src1_sel:DWORD
	v_mov_b32_e32 v23, v9
	v_mov_b32_e32 v22, v8
	v_cmpx_gt_u32_e32 8, v12
; %bb.3117:                             ;   in Loop: Header=BB257_1567 Depth=1
	v_ffbh_u32_e32 v10, v8
	v_min_u32_e32 v10, 32, v10
	v_subrev_nc_u32_e32 v12, 28, v10
	v_sub_nc_u32_e32 v10, 29, v10
	v_lshlrev_b64 v[22:23], v12, v[8:9]
	v_and_b32_e32 v22, 7, v22
; %bb.3118:                             ;   in Loop: Header=BB257_1567 Depth=1
	s_or_b32 exec_lo, exec_lo, s13
	v_mov_b32_e32 v8, 24
	v_lshlrev_b32_e32 v12, 20, v22
	v_lshl_add_u32 v10, v10, 23, 0x3c000000
	v_lshlrev_b32_sdwa v8, v8, v100 dst_sel:DWORD dst_unused:UNUSED_PAD src0_sel:DWORD src1_sel:WORD_1
	v_and_b32_e32 v8, 0x80000000, v8
	v_or3_b32 v8, v12, v8, v10
	v_mov_b32_e32 v23, v9
	v_mov_b32_e32 v22, v8
.LBB257_3119:                           ;   in Loop: Header=BB257_1567 Depth=1
	s_or_b32 exec_lo, exec_lo, s12
.LBB257_3120:                           ;   in Loop: Header=BB257_1567 Depth=1
	s_or_b32 exec_lo, exec_lo, s9
.LBB257_3121:                           ;   in Loop: Header=BB257_1567 Depth=1
	s_or_b32 exec_lo, exec_lo, s8
	s_mov_b32 s8, exec_lo
	v_cmpx_lt_u32_e32 0xffffff, v100
	s_cbranch_execz .LBB257_3129
; %bb.3122:                             ;   in Loop: Header=BB257_1567 Depth=1
	v_mov_b32_e32 v10, v9
	v_mov_b32_e32 v21, v11
	v_cmp_ne_u32_sdwa s4, v100, v42 src0_sel:BYTE_3 src1_sel:DWORD
	v_mov_b32_e32 v20, v10
	s_and_saveexec_b32 s9, s4
	s_cbranch_execz .LBB257_3128
; %bb.3123:                             ;   in Loop: Header=BB257_1567 Depth=1
	v_mov_b32_e32 v12, v9
	v_mov_b32_e32 v21, v13
	v_bfe_u32 v101, v100, 24, 7
	s_mov_b32 s12, exec_lo
	v_mov_b32_e32 v20, v12
	v_cmpx_ne_u32_e32 0x7f, v101
	s_cbranch_execz .LBB257_3127
; %bb.3124:                             ;   in Loop: Header=BB257_1567 Depth=1
	v_mov_b32_e32 v8, 7
	v_lshrrev_b32_e32 v10, 3, v101
	s_mov_b32 s13, exec_lo
	v_and_b32_sdwa v8, v100, v8 dst_sel:DWORD dst_unused:UNUSED_PAD src0_sel:BYTE_3 src1_sel:DWORD
	v_mov_b32_e32 v21, v9
	v_mov_b32_e32 v20, v8
	v_cmpx_gt_u32_e32 8, v101
; %bb.3125:                             ;   in Loop: Header=BB257_1567 Depth=1
	v_ffbh_u32_e32 v10, v8
	v_min_u32_e32 v10, 32, v10
	v_subrev_nc_u32_e32 v12, 28, v10
	v_sub_nc_u32_e32 v10, 29, v10
	v_lshlrev_b64 v[20:21], v12, v[8:9]
	v_and_b32_e32 v20, 7, v20
; %bb.3126:                             ;   in Loop: Header=BB257_1567 Depth=1
	s_or_b32 exec_lo, exec_lo, s13
	v_mov_b32_e32 v8, 24
	v_lshlrev_b32_e32 v12, 20, v20
	v_lshl_add_u32 v10, v10, 23, 0x3c000000
	v_mov_b32_e32 v20, v9
	v_lshlrev_b32_sdwa v8, v8, v100 dst_sel:DWORD dst_unused:UNUSED_PAD src0_sel:DWORD src1_sel:BYTE_3
	v_and_b32_e32 v8, 0x80000000, v8
	v_or3_b32 v21, v12, v8, v10
.LBB257_3127:                           ;   in Loop: Header=BB257_1567 Depth=1
	s_or_b32 exec_lo, exec_lo, s12
.LBB257_3128:                           ;   in Loop: Header=BB257_1567 Depth=1
	s_or_b32 exec_lo, exec_lo, s9
.LBB257_3129:                           ;   in Loop: Header=BB257_1567 Depth=1
	s_or_b32 exec_lo, exec_lo, s8
	v_or_b32_e32 v8, v19, v17
	v_or_b32_e32 v10, v18, v16
	v_or_b32_e32 v12, v20, v22
	v_or_b32_e32 v16, v21, v23
	v_mul_f32_e32 v103, v60, v8
	v_mul_f32_e32 v102, v40, v10
	;; [unrolled: 1-line block ×4, first 2 shown]
	s_and_saveexec_b32 s8, vcc_lo
	s_cbranch_execz .LBB257_3131
; %bb.3130:                             ;   in Loop: Header=BB257_1567 Depth=1
	v_cmp_lt_i32_e64 s4, v89, v78
	v_cndmask_b32_e64 v102, 0, v102, s4
	v_cmp_lt_i32_e64 s4, v91, v78
	v_cndmask_b32_e64 v103, 0, v103, s4
	;; [unrolled: 2-line block ×4, first 2 shown]
.LBB257_3131:                           ;   in Loop: Header=BB257_1567 Depth=1
	s_or_b32 exec_lo, exec_lo, s8
	flat_load_dword v112, v[4:5] offset:1792
	v_mov_b32_e32 v18, 0
	v_mov_b32_e32 v16, 0
	;; [unrolled: 1-line block ×4, first 2 shown]
	s_waitcnt vmcnt(0) lgkmcnt(0)
	v_cmp_ne_u16_sdwa s4, v112, v9 src0_sel:BYTE_0 src1_sel:DWORD
	s_and_saveexec_b32 s8, s4
	s_cbranch_execz .LBB257_3139
; %bb.3132:                             ;   in Loop: Header=BB257_1567 Depth=1
	v_bfrev_b32_e32 v16, 1
	v_mov_b32_e32 v17, 0
	v_cmp_ne_u16_sdwa s4, v112, v42 src0_sel:BYTE_0 src1_sel:DWORD
	s_and_saveexec_b32 s9, s4
	s_cbranch_execz .LBB257_3138
; %bb.3133:                             ;   in Loop: Header=BB257_1567 Depth=1
	v_mov_b32_e32 v16, 0x7f800001
	v_and_b32_e32 v12, 0x7f, v112
	v_mov_b32_e32 v17, 0
	s_mov_b32 s12, exec_lo
	v_cmpx_ne_u32_e32 0x7f, v12
	s_cbranch_execz .LBB257_3137
; %bb.3134:                             ;   in Loop: Header=BB257_1567 Depth=1
	v_and_b32_e32 v8, 7, v112
	v_mov_b32_e32 v17, v9
	v_lshrrev_b32_e32 v10, 3, v12
	s_mov_b32 s13, exec_lo
	v_mov_b32_e32 v16, v8
	v_cmpx_gt_u32_e32 8, v12
; %bb.3135:                             ;   in Loop: Header=BB257_1567 Depth=1
	v_ffbh_u32_e32 v10, v8
	v_min_u32_e32 v10, 32, v10
	v_subrev_nc_u32_e32 v12, 28, v10
	v_sub_nc_u32_e32 v10, 29, v10
	v_lshlrev_b64 v[16:17], v12, v[8:9]
	v_and_b32_e32 v16, 7, v16
; %bb.3136:                             ;   in Loop: Header=BB257_1567 Depth=1
	s_or_b32 exec_lo, exec_lo, s13
	v_lshlrev_b32_e32 v8, 24, v112
	v_lshlrev_b32_e32 v12, 20, v16
	v_lshl_add_u32 v10, v10, 23, 0x3c000000
	v_and_b32_e32 v8, 0x80000000, v8
	v_or3_b32 v8, v12, v8, v10
	v_mov_b32_e32 v17, v9
	v_mov_b32_e32 v16, v8
.LBB257_3137:                           ;   in Loop: Header=BB257_1567 Depth=1
	s_or_b32 exec_lo, exec_lo, s12
.LBB257_3138:                           ;   in Loop: Header=BB257_1567 Depth=1
	s_or_b32 exec_lo, exec_lo, s9
.LBB257_3139:                           ;   in Loop: Header=BB257_1567 Depth=1
	s_or_b32 exec_lo, exec_lo, s8
	v_cmp_ne_u16_sdwa s4, v112, v9 src0_sel:BYTE_1 src1_sel:DWORD
	s_and_saveexec_b32 s8, s4
	s_cbranch_execz .LBB257_3147
; %bb.3140:                             ;   in Loop: Header=BB257_1567 Depth=1
	v_mov_b32_e32 v10, v9
	v_mov_b32_e32 v19, v11
	v_cmp_ne_u16_sdwa s4, v112, v42 src0_sel:BYTE_1 src1_sel:DWORD
	v_mov_b32_e32 v18, v10
	s_and_saveexec_b32 s9, s4
	s_cbranch_execz .LBB257_3146
; %bb.3141:                             ;   in Loop: Header=BB257_1567 Depth=1
	v_mov_b32_e32 v8, 0xffff
	v_mov_b32_e32 v12, v9
	;; [unrolled: 1-line block ×3, first 2 shown]
	s_mov_b32 s12, exec_lo
	v_and_b32_sdwa v8, v8, v112 dst_sel:DWORD dst_unused:UNUSED_PAD src0_sel:DWORD src1_sel:BYTE_1
	v_mov_b32_e32 v18, v12
	v_and_b32_e32 v20, 0x7f, v8
	v_cmpx_ne_u32_e32 0x7f, v20
	s_cbranch_execz .LBB257_3145
; %bb.3142:                             ;   in Loop: Header=BB257_1567 Depth=1
	v_and_b32_e32 v8, 7, v8
	v_mov_b32_e32 v19, v9
	v_lshrrev_b32_e32 v10, 3, v20
	s_mov_b32 s13, exec_lo
	v_mov_b32_e32 v18, v8
	v_cmpx_gt_u32_e32 8, v20
; %bb.3143:                             ;   in Loop: Header=BB257_1567 Depth=1
	v_ffbh_u32_e32 v10, v8
	v_min_u32_e32 v10, 32, v10
	v_subrev_nc_u32_e32 v12, 28, v10
	v_sub_nc_u32_e32 v10, 29, v10
	v_lshlrev_b64 v[18:19], v12, v[8:9]
	v_and_b32_e32 v18, 7, v18
; %bb.3144:                             ;   in Loop: Header=BB257_1567 Depth=1
	s_or_b32 exec_lo, exec_lo, s13
	v_lshlrev_b32_e32 v8, 16, v112
	v_lshlrev_b32_e32 v12, 20, v18
	v_lshl_add_u32 v10, v10, 23, 0x3c000000
	v_mov_b32_e32 v18, v9
	v_and_b32_e32 v8, 0x80000000, v8
	v_or3_b32 v19, v12, v8, v10
.LBB257_3145:                           ;   in Loop: Header=BB257_1567 Depth=1
	s_or_b32 exec_lo, exec_lo, s12
.LBB257_3146:                           ;   in Loop: Header=BB257_1567 Depth=1
	s_or_b32 exec_lo, exec_lo, s9
.LBB257_3147:                           ;   in Loop: Header=BB257_1567 Depth=1
	s_or_b32 exec_lo, exec_lo, s8
	v_mov_b32_e32 v20, 0
	v_mov_b32_e32 v22, 0
	v_and_b32_sdwa v8, v112, v44 dst_sel:DWORD dst_unused:UNUSED_PAD src0_sel:WORD_1 src1_sel:DWORD
	v_mov_b32_e32 v21, 0
	v_mov_b32_e32 v23, 0
	s_mov_b32 s8, exec_lo
	v_cmpx_ne_u16_e32 0, v8
	s_cbranch_execz .LBB257_3155
; %bb.3148:                             ;   in Loop: Header=BB257_1567 Depth=1
	v_bfrev_b32_e32 v22, 1
	v_mov_b32_e32 v23, 0
	s_mov_b32 s9, exec_lo
	v_cmpx_ne_u16_e32 0x80, v8
	s_cbranch_execz .LBB257_3154
; %bb.3149:                             ;   in Loop: Header=BB257_1567 Depth=1
	v_mov_b32_e32 v22, 0x7f800001
	v_bfe_u32 v12, v112, 16, 7
	v_mov_b32_e32 v23, 0
	s_mov_b32 s12, exec_lo
	v_cmpx_ne_u32_e32 0x7f, v12
	s_cbranch_execz .LBB257_3153
; %bb.3150:                             ;   in Loop: Header=BB257_1567 Depth=1
	v_mov_b32_e32 v8, 7
	v_lshrrev_b32_e32 v10, 3, v12
	s_mov_b32 s13, exec_lo
	v_and_b32_sdwa v8, v112, v8 dst_sel:DWORD dst_unused:UNUSED_PAD src0_sel:WORD_1 src1_sel:DWORD
	v_mov_b32_e32 v23, v9
	v_mov_b32_e32 v22, v8
	v_cmpx_gt_u32_e32 8, v12
; %bb.3151:                             ;   in Loop: Header=BB257_1567 Depth=1
	v_ffbh_u32_e32 v10, v8
	v_min_u32_e32 v10, 32, v10
	v_subrev_nc_u32_e32 v12, 28, v10
	v_sub_nc_u32_e32 v10, 29, v10
	v_lshlrev_b64 v[22:23], v12, v[8:9]
	v_and_b32_e32 v22, 7, v22
; %bb.3152:                             ;   in Loop: Header=BB257_1567 Depth=1
	s_or_b32 exec_lo, exec_lo, s13
	v_mov_b32_e32 v8, 24
	v_lshlrev_b32_e32 v12, 20, v22
	v_lshl_add_u32 v10, v10, 23, 0x3c000000
	v_lshlrev_b32_sdwa v8, v8, v112 dst_sel:DWORD dst_unused:UNUSED_PAD src0_sel:DWORD src1_sel:WORD_1
	v_and_b32_e32 v8, 0x80000000, v8
	v_or3_b32 v8, v12, v8, v10
	v_mov_b32_e32 v23, v9
	v_mov_b32_e32 v22, v8
.LBB257_3153:                           ;   in Loop: Header=BB257_1567 Depth=1
	s_or_b32 exec_lo, exec_lo, s12
.LBB257_3154:                           ;   in Loop: Header=BB257_1567 Depth=1
	s_or_b32 exec_lo, exec_lo, s9
.LBB257_3155:                           ;   in Loop: Header=BB257_1567 Depth=1
	s_or_b32 exec_lo, exec_lo, s8
	s_mov_b32 s8, exec_lo
	v_cmpx_lt_u32_e32 0xffffff, v112
	s_cbranch_execz .LBB257_3163
; %bb.3156:                             ;   in Loop: Header=BB257_1567 Depth=1
	v_mov_b32_e32 v10, v9
	v_mov_b32_e32 v21, v11
	v_cmp_ne_u32_sdwa s4, v112, v42 src0_sel:BYTE_3 src1_sel:DWORD
	v_mov_b32_e32 v20, v10
	s_and_saveexec_b32 s9, s4
	s_cbranch_execz .LBB257_3162
; %bb.3157:                             ;   in Loop: Header=BB257_1567 Depth=1
	v_mov_b32_e32 v12, v9
	v_mov_b32_e32 v21, v13
	v_bfe_u32 v113, v112, 24, 7
	s_mov_b32 s12, exec_lo
	v_mov_b32_e32 v20, v12
	v_cmpx_ne_u32_e32 0x7f, v113
	s_cbranch_execz .LBB257_3161
; %bb.3158:                             ;   in Loop: Header=BB257_1567 Depth=1
	v_mov_b32_e32 v8, 7
	v_lshrrev_b32_e32 v10, 3, v113
	s_mov_b32 s13, exec_lo
	v_and_b32_sdwa v8, v112, v8 dst_sel:DWORD dst_unused:UNUSED_PAD src0_sel:BYTE_3 src1_sel:DWORD
	v_mov_b32_e32 v21, v9
	v_mov_b32_e32 v20, v8
	v_cmpx_gt_u32_e32 8, v113
; %bb.3159:                             ;   in Loop: Header=BB257_1567 Depth=1
	v_ffbh_u32_e32 v10, v8
	v_min_u32_e32 v10, 32, v10
	v_subrev_nc_u32_e32 v12, 28, v10
	v_sub_nc_u32_e32 v10, 29, v10
	v_lshlrev_b64 v[20:21], v12, v[8:9]
	v_and_b32_e32 v20, 7, v20
; %bb.3160:                             ;   in Loop: Header=BB257_1567 Depth=1
	s_or_b32 exec_lo, exec_lo, s13
	v_mov_b32_e32 v8, 24
	v_lshlrev_b32_e32 v12, 20, v20
	v_lshl_add_u32 v10, v10, 23, 0x3c000000
	v_mov_b32_e32 v20, v9
	v_lshlrev_b32_sdwa v8, v8, v112 dst_sel:DWORD dst_unused:UNUSED_PAD src0_sel:DWORD src1_sel:BYTE_3
	v_and_b32_e32 v8, 0x80000000, v8
	v_or3_b32 v21, v12, v8, v10
.LBB257_3161:                           ;   in Loop: Header=BB257_1567 Depth=1
	s_or_b32 exec_lo, exec_lo, s12
.LBB257_3162:                           ;   in Loop: Header=BB257_1567 Depth=1
	s_or_b32 exec_lo, exec_lo, s9
.LBB257_3163:                           ;   in Loop: Header=BB257_1567 Depth=1
	s_or_b32 exec_lo, exec_lo, s8
	v_or_b32_e32 v8, v19, v17
	v_or_b32_e32 v10, v18, v16
	;; [unrolled: 1-line block ×4, first 2 shown]
	v_mul_f32_e32 v113, v60, v8
	v_mul_f32_e32 v112, v40, v10
	;; [unrolled: 1-line block ×4, first 2 shown]
	s_and_saveexec_b32 s8, vcc_lo
	s_cbranch_execz .LBB257_3165
; %bb.3164:                             ;   in Loop: Header=BB257_1567 Depth=1
	v_cmp_lt_i32_e64 s4, v89, v78
	v_cndmask_b32_e64 v112, 0, v112, s4
	v_cmp_lt_i32_e64 s4, v91, v78
	v_cndmask_b32_e64 v113, 0, v113, s4
	;; [unrolled: 2-line block ×4, first 2 shown]
.LBB257_3165:                           ;   in Loop: Header=BB257_1567 Depth=1
	s_or_b32 exec_lo, exec_lo, s8
	flat_load_dword v114, v[4:5] offset:1920
	v_mov_b32_e32 v16, 0
	v_mov_b32_e32 v4, 0
	;; [unrolled: 1-line block ×4, first 2 shown]
	s_waitcnt vmcnt(0) lgkmcnt(0)
	v_cmp_ne_u16_sdwa s4, v114, v9 src0_sel:BYTE_0 src1_sel:DWORD
	s_and_saveexec_b32 s8, s4
	s_cbranch_execz .LBB257_3173
; %bb.3166:                             ;   in Loop: Header=BB257_1567 Depth=1
	v_bfrev_b32_e32 v4, 1
	v_mov_b32_e32 v5, 0
	v_cmp_ne_u16_sdwa s4, v114, v42 src0_sel:BYTE_0 src1_sel:DWORD
	s_and_saveexec_b32 s9, s4
	s_cbranch_execz .LBB257_3172
; %bb.3167:                             ;   in Loop: Header=BB257_1567 Depth=1
	v_mov_b32_e32 v4, 0x7f800001
	v_and_b32_e32 v12, 0x7f, v114
	v_mov_b32_e32 v5, 0
	s_mov_b32 s12, exec_lo
	v_cmpx_ne_u32_e32 0x7f, v12
	s_cbranch_execz .LBB257_3171
; %bb.3168:                             ;   in Loop: Header=BB257_1567 Depth=1
	v_and_b32_e32 v8, 7, v114
	v_lshrrev_b32_e32 v10, 3, v12
	s_mov_b32 s13, exec_lo
	v_mov_b32_e32 v4, v8
	v_mov_b32_e32 v5, v9
	v_cmpx_gt_u32_e32 8, v12
; %bb.3169:                             ;   in Loop: Header=BB257_1567 Depth=1
	v_ffbh_u32_e32 v4, v8
	v_min_u32_e32 v10, 32, v4
	v_subrev_nc_u32_e32 v4, 28, v10
	v_sub_nc_u32_e32 v10, 29, v10
	v_lshlrev_b64 v[4:5], v4, v[8:9]
	v_and_b32_e32 v4, 7, v4
; %bb.3170:                             ;   in Loop: Header=BB257_1567 Depth=1
	s_or_b32 exec_lo, exec_lo, s13
	v_lshlrev_b32_e32 v5, 24, v114
	v_lshlrev_b32_e32 v4, 20, v4
	v_lshl_add_u32 v8, v10, 23, 0x3c000000
	v_and_b32_e32 v5, 0x80000000, v5
	v_or3_b32 v8, v4, v5, v8
	v_mov_b32_e32 v4, v8
	v_mov_b32_e32 v5, v9
.LBB257_3171:                           ;   in Loop: Header=BB257_1567 Depth=1
	s_or_b32 exec_lo, exec_lo, s12
.LBB257_3172:                           ;   in Loop: Header=BB257_1567 Depth=1
	s_or_b32 exec_lo, exec_lo, s9
.LBB257_3173:                           ;   in Loop: Header=BB257_1567 Depth=1
	s_or_b32 exec_lo, exec_lo, s8
	v_cmp_ne_u16_sdwa s4, v114, v9 src0_sel:BYTE_1 src1_sel:DWORD
	s_and_saveexec_b32 s8, s4
	s_cbranch_execz .LBB257_3181
; %bb.3174:                             ;   in Loop: Header=BB257_1567 Depth=1
	v_mov_b32_e32 v10, v9
	v_mov_b32_e32 v17, v11
	v_cmp_ne_u16_sdwa s4, v114, v42 src0_sel:BYTE_1 src1_sel:DWORD
	v_mov_b32_e32 v16, v10
	s_and_saveexec_b32 s9, s4
	s_cbranch_execz .LBB257_3180
; %bb.3175:                             ;   in Loop: Header=BB257_1567 Depth=1
	v_mov_b32_e32 v8, 0xffff
	v_mov_b32_e32 v12, v9
	;; [unrolled: 1-line block ×3, first 2 shown]
	s_mov_b32 s12, exec_lo
	v_and_b32_sdwa v8, v8, v114 dst_sel:DWORD dst_unused:UNUSED_PAD src0_sel:DWORD src1_sel:BYTE_1
	v_mov_b32_e32 v16, v12
	v_and_b32_e32 v18, 0x7f, v8
	v_cmpx_ne_u32_e32 0x7f, v18
	s_cbranch_execz .LBB257_3179
; %bb.3176:                             ;   in Loop: Header=BB257_1567 Depth=1
	v_and_b32_e32 v8, 7, v8
	v_mov_b32_e32 v17, v9
	v_lshrrev_b32_e32 v10, 3, v18
	s_mov_b32 s13, exec_lo
	v_mov_b32_e32 v16, v8
	v_cmpx_gt_u32_e32 8, v18
; %bb.3177:                             ;   in Loop: Header=BB257_1567 Depth=1
	v_ffbh_u32_e32 v10, v8
	v_min_u32_e32 v10, 32, v10
	v_subrev_nc_u32_e32 v12, 28, v10
	v_sub_nc_u32_e32 v10, 29, v10
	v_lshlrev_b64 v[16:17], v12, v[8:9]
	v_and_b32_e32 v16, 7, v16
; %bb.3178:                             ;   in Loop: Header=BB257_1567 Depth=1
	s_or_b32 exec_lo, exec_lo, s13
	v_lshlrev_b32_e32 v8, 16, v114
	v_lshlrev_b32_e32 v12, 20, v16
	v_lshl_add_u32 v10, v10, 23, 0x3c000000
	v_mov_b32_e32 v16, v9
	v_and_b32_e32 v8, 0x80000000, v8
	v_or3_b32 v17, v12, v8, v10
.LBB257_3179:                           ;   in Loop: Header=BB257_1567 Depth=1
	s_or_b32 exec_lo, exec_lo, s12
.LBB257_3180:                           ;   in Loop: Header=BB257_1567 Depth=1
	s_or_b32 exec_lo, exec_lo, s9
.LBB257_3181:                           ;   in Loop: Header=BB257_1567 Depth=1
	s_or_b32 exec_lo, exec_lo, s8
	v_mov_b32_e32 v18, 0
	v_mov_b32_e32 v20, 0
	v_and_b32_sdwa v8, v114, v44 dst_sel:DWORD dst_unused:UNUSED_PAD src0_sel:WORD_1 src1_sel:DWORD
	v_mov_b32_e32 v19, 0
	v_mov_b32_e32 v21, 0
	s_mov_b32 s8, exec_lo
	v_cmpx_ne_u16_e32 0, v8
	s_cbranch_execz .LBB257_3189
; %bb.3182:                             ;   in Loop: Header=BB257_1567 Depth=1
	v_bfrev_b32_e32 v20, 1
	v_mov_b32_e32 v21, 0
	s_mov_b32 s9, exec_lo
	v_cmpx_ne_u16_e32 0x80, v8
	s_cbranch_execz .LBB257_3188
; %bb.3183:                             ;   in Loop: Header=BB257_1567 Depth=1
	v_mov_b32_e32 v20, 0x7f800001
	v_bfe_u32 v12, v114, 16, 7
	v_mov_b32_e32 v21, 0
	s_mov_b32 s12, exec_lo
	v_cmpx_ne_u32_e32 0x7f, v12
	s_cbranch_execz .LBB257_3187
; %bb.3184:                             ;   in Loop: Header=BB257_1567 Depth=1
	v_mov_b32_e32 v8, 7
	v_lshrrev_b32_e32 v10, 3, v12
	s_mov_b32 s13, exec_lo
	v_and_b32_sdwa v8, v114, v8 dst_sel:DWORD dst_unused:UNUSED_PAD src0_sel:WORD_1 src1_sel:DWORD
	v_mov_b32_e32 v21, v9
	v_mov_b32_e32 v20, v8
	v_cmpx_gt_u32_e32 8, v12
; %bb.3185:                             ;   in Loop: Header=BB257_1567 Depth=1
	v_ffbh_u32_e32 v10, v8
	v_min_u32_e32 v10, 32, v10
	v_subrev_nc_u32_e32 v12, 28, v10
	v_sub_nc_u32_e32 v10, 29, v10
	v_lshlrev_b64 v[20:21], v12, v[8:9]
	v_and_b32_e32 v20, 7, v20
; %bb.3186:                             ;   in Loop: Header=BB257_1567 Depth=1
	s_or_b32 exec_lo, exec_lo, s13
	v_mov_b32_e32 v8, 24
	v_lshlrev_b32_e32 v12, 20, v20
	v_lshl_add_u32 v10, v10, 23, 0x3c000000
	v_lshlrev_b32_sdwa v8, v8, v114 dst_sel:DWORD dst_unused:UNUSED_PAD src0_sel:DWORD src1_sel:WORD_1
	v_and_b32_e32 v8, 0x80000000, v8
	v_or3_b32 v8, v12, v8, v10
	v_mov_b32_e32 v21, v9
	v_mov_b32_e32 v20, v8
.LBB257_3187:                           ;   in Loop: Header=BB257_1567 Depth=1
	s_or_b32 exec_lo, exec_lo, s12
.LBB257_3188:                           ;   in Loop: Header=BB257_1567 Depth=1
	s_or_b32 exec_lo, exec_lo, s9
.LBB257_3189:                           ;   in Loop: Header=BB257_1567 Depth=1
	s_or_b32 exec_lo, exec_lo, s8
	s_mov_b32 s8, exec_lo
	v_cmpx_lt_u32_e32 0xffffff, v114
	s_cbranch_execz .LBB257_3197
; %bb.3190:                             ;   in Loop: Header=BB257_1567 Depth=1
	v_mov_b32_e32 v10, v9
	v_mov_b32_e32 v19, v11
	v_cmp_ne_u32_sdwa s4, v114, v42 src0_sel:BYTE_3 src1_sel:DWORD
	v_mov_b32_e32 v18, v10
	s_and_saveexec_b32 s9, s4
	s_cbranch_execz .LBB257_3196
; %bb.3191:                             ;   in Loop: Header=BB257_1567 Depth=1
	v_mov_b32_e32 v12, v9
	v_mov_b32_e32 v19, v13
	;; [unrolled: 1-line block ×3, first 2 shown]
	v_bfe_u32 v115, v114, 24, 7
	s_mov_b32 s12, exec_lo
	v_mov_b32_e32 v18, v12
	v_cmpx_ne_u32_e32 0x7f, v115
	s_cbranch_execz .LBB257_3195
; %bb.3192:                             ;   in Loop: Header=BB257_1567 Depth=1
	v_mov_b32_e32 v8, 7
	v_lshrrev_b32_e32 v10, 3, v115
	s_mov_b32 s13, exec_lo
	v_and_b32_sdwa v8, v114, v8 dst_sel:DWORD dst_unused:UNUSED_PAD src0_sel:BYTE_3 src1_sel:DWORD
	v_mov_b32_e32 v19, v9
	v_mov_b32_e32 v18, v8
	v_cmpx_gt_u32_e32 8, v115
; %bb.3193:                             ;   in Loop: Header=BB257_1567 Depth=1
	v_ffbh_u32_e32 v10, v8
	v_min_u32_e32 v10, 32, v10
	v_subrev_nc_u32_e32 v12, 28, v10
	v_sub_nc_u32_e32 v10, 29, v10
	v_lshlrev_b64 v[18:19], v12, v[8:9]
	v_and_b32_e32 v18, 7, v18
; %bb.3194:                             ;   in Loop: Header=BB257_1567 Depth=1
	s_or_b32 exec_lo, exec_lo, s13
	v_mov_b32_e32 v8, 24
	v_lshlrev_b32_e32 v12, 20, v18
	v_lshl_add_u32 v10, v10, 23, 0x3c000000
	v_mov_b32_e32 v18, v9
	v_lshlrev_b32_sdwa v8, v8, v114 dst_sel:DWORD dst_unused:UNUSED_PAD src0_sel:DWORD src1_sel:BYTE_3
	v_and_b32_e32 v8, 0x80000000, v8
	v_or3_b32 v19, v12, v8, v10
.LBB257_3195:                           ;   in Loop: Header=BB257_1567 Depth=1
	s_or_b32 exec_lo, exec_lo, s12
	v_mov_b32_e32 v115, v39
.LBB257_3196:                           ;   in Loop: Header=BB257_1567 Depth=1
	s_or_b32 exec_lo, exec_lo, s9
.LBB257_3197:                           ;   in Loop: Header=BB257_1567 Depth=1
	s_or_b32 exec_lo, exec_lo, s8
	v_or_b32_e32 v5, v17, v5
	v_or_b32_e32 v4, v16, v4
	v_or_b32_e32 v12, v18, v20
	v_or_b32_e32 v16, v19, v21
	v_mul_f32_e32 v10, v60, v5
	v_mul_f32_e32 v8, v40, v4
	;; [unrolled: 1-line block ×4, first 2 shown]
	s_and_saveexec_b32 s4, vcc_lo
	s_cbranch_execz .LBB257_1566
; %bb.3198:                             ;   in Loop: Header=BB257_1567 Depth=1
	v_cmp_lt_i32_e32 vcc_lo, v89, v78
	v_cndmask_b32_e32 v8, 0, v8, vcc_lo
	v_cmp_lt_i32_e32 vcc_lo, v91, v78
	v_cndmask_b32_e32 v10, 0, v10, vcc_lo
	;; [unrolled: 2-line block ×4, first 2 shown]
	s_branch .LBB257_1566
.LBB257_3199:
	s_or_b32 exec_lo, exec_lo, s7
	s_clause 0x2c
	buffer_load_dword v65, off, s[0:3], s32 offset:1340
	buffer_load_dword v66, off, s[0:3], s32 offset:1344
	;; [unrolled: 1-line block ×45, first 2 shown]
	v_mov_b32_e32 v0, s18
	v_mov_b32_e32 v1, s19
.LBB257_3200:
	s_or_b32 exec_lo, exec_lo, s6
	v_lshlrev_b64 v[0:1], 2, v[0:1]
	s_getpc_b64 s[6:7]
	s_add_u32 s6, s6, llvm.amdgcn.dynlds.offset.table@rel32@lo+4
	s_addc_u32 s7, s7, llvm.amdgcn.dynlds.offset.table@rel32@hi+12
	s_waitcnt vmcnt(0) lgkmcnt(0)
	s_waitcnt_vscnt null, 0x0
	s_barrier
	buffer_gl0_inv
	v_mov_b32_e32 v75, v9
	v_add_co_u32 v0, vcc_lo, s6, v0
	v_add_co_ci_u32_e64 v1, null, s7, v1, vcc_lo
	v_cmp_eq_u32_e32 vcc_lo, 0, v66
	buffer_load_dword v66, off, s[0:3], s32 offset:2320 ; 4-byte Folded Reload
	v_mov_b32_e32 v73, v2
	global_load_dword v64, v[0:1], off
	ds_bpermute_b32 v0, v65, v9
	ds_bpermute_b32 v1, v65, v8
	;; [unrolled: 1-line block ×3, first 2 shown]
	v_mov_b32_e32 v72, v3
	ds_bpermute_b32 v3, v65, v3
	v_mov_b32_e32 v63, v4
	ds_bpermute_b32 v4, v65, v4
	;; [unrolled: 2-line block ×4, first 2 shown]
	ds_bpermute_b32 v7, v65, v60
	v_mov_b32_e32 v74, v8
	ds_bpermute_b32 v8, v65, v59
	ds_bpermute_b32 v9, v65, v58
	;; [unrolled: 1-line block ×7, first 2 shown]
	s_waitcnt lgkmcnt(14)
	v_add_f32_e32 v0, v75, v0
	buffer_load_dword v75, off, s[0:3], s32 offset:1336 ; 4-byte Folded Reload
	ds_bpermute_b32 v15, v65, v43
	v_mov_b32_e32 v42, v16
	ds_bpermute_b32 v16, v65, v16
	ds_bpermute_b32 v17, v65, v41
	ds_bpermute_b32 v18, v65, v40
	ds_bpermute_b32 v19, v65, v117
	ds_bpermute_b32 v20, v65, v116
	ds_bpermute_b32 v21, v65, v114
	ds_bpermute_b32 v22, v65, v113
	ds_bpermute_b32 v23, v65, v112
	ds_bpermute_b32 v24, v65, v103
	ds_bpermute_b32 v25, v65, v102
	ds_bpermute_b32 v26, v65, v101
	ds_bpermute_b32 v27, v65, v100
	ds_bpermute_b32 v28, v65, v99
	ds_bpermute_b32 v29, v65, v98
	ds_bpermute_b32 v30, v65, v97
	ds_bpermute_b32 v31, v65, v96
	ds_bpermute_b32 v32, v65, v87
	ds_bpermute_b32 v33, v65, v86
	ds_bpermute_b32 v34, v65, v85
	ds_bpermute_b32 v35, v65, v84
	ds_bpermute_b32 v36, v65, v83
	ds_bpermute_b32 v37, v65, v82
	ds_bpermute_b32 v38, v65, v81
	ds_bpermute_b32 v48, v65, v39
	ds_bpermute_b32 v49, v65, v80
	ds_bpermute_b32 v50, v65, v71
	ds_bpermute_b32 v51, v65, v70
	ds_bpermute_b32 v52, v65, v69
	ds_bpermute_b32 v53, v65, v119
	ds_bpermute_b32 v54, v65, v118
	ds_bpermute_b32 v55, v65, v46
	ds_bpermute_b32 v65, v65, v115
	s_waitcnt lgkmcnt(46)
	v_add_f32_e32 v1, v74, v1
	s_waitcnt lgkmcnt(45)
	v_add_f32_e32 v2, v73, v2
	;; [unrolled: 2-line block ×47, first 2 shown]
	s_clause 0x1
	buffer_load_dword v67, off, s[0:3], s32 offset:2324
	buffer_load_dword v76, off, s[0:3], s32 offset:2316
	s_mov_b32 s6, exec_lo
	s_waitcnt vmcnt(4)
	v_lshrrev_b32_e32 v66, 3, v66
	s_waitcnt vmcnt(2)
	ds_bpermute_b32 v65, v75, v0
	ds_bpermute_b32 v69, v75, v1
	;; [unrolled: 1-line block ×48, first 2 shown]
	s_waitcnt lgkmcnt(47)
	v_add_f32_e32 v0, v0, v65
	s_waitcnt lgkmcnt(46)
	v_add_f32_e32 v1, v1, v69
	;; [unrolled: 2-line block ×20, first 2 shown]
	buffer_load_dword v75, off, s[0:3], s32 offset:1332 ; 4-byte Folded Reload
	v_add_f32_e32 v19, v19, v103
	v_add_f32_e32 v20, v20, v112
	;; [unrolled: 1-line block ×28, first 2 shown]
	s_waitcnt vmcnt(2)
	v_mul_u32_u24_e32 v67, 0x300, v67
	s_waitcnt vmcnt(1)
	v_and_b32_e32 v68, 0x3c0, v76
	s_waitcnt vmcnt(0)
	ds_bpermute_b32 v65, v75, v0
	ds_bpermute_b32 v69, v75, v1
	;; [unrolled: 1-line block ×48, first 2 shown]
	s_waitcnt lgkmcnt(47)
	v_add_f32_e32 v0, v0, v65
	s_waitcnt lgkmcnt(46)
	v_add_f32_e32 v1, v1, v69
	s_waitcnt lgkmcnt(45)
	v_add_f32_e32 v2, v2, v70
	s_waitcnt lgkmcnt(44)
	v_add_f32_e32 v3, v3, v71
	s_waitcnt lgkmcnt(43)
	v_add_f32_e32 v4, v4, v80
	s_waitcnt lgkmcnt(42)
	v_add_f32_e32 v5, v5, v81
	s_waitcnt lgkmcnt(41)
	v_add_f32_e32 v6, v6, v82
	s_waitcnt lgkmcnt(40)
	v_add_f32_e32 v7, v7, v83
	s_waitcnt lgkmcnt(39)
	v_add_f32_e32 v8, v8, v84
	s_waitcnt lgkmcnt(38)
	v_add_f32_e32 v9, v9, v85
	s_waitcnt lgkmcnt(37)
	v_add_f32_e32 v10, v10, v86
	s_waitcnt lgkmcnt(36)
	v_add_f32_e32 v11, v11, v87
	s_waitcnt lgkmcnt(35)
	v_add_f32_e32 v12, v12, v96
	s_waitcnt lgkmcnt(34)
	v_add_f32_e32 v13, v13, v97
	s_waitcnt lgkmcnt(33)
	v_add_f32_e32 v14, v14, v98
	s_waitcnt lgkmcnt(32)
	v_add_f32_e32 v15, v15, v99
	s_waitcnt lgkmcnt(31)
	v_add_f32_e32 v16, v16, v100
	s_waitcnt lgkmcnt(30)
	v_add_f32_e32 v17, v17, v101
	s_waitcnt lgkmcnt(29)
	v_add_f32_e32 v18, v18, v102
	s_waitcnt lgkmcnt(28)
	v_add_f32_e32 v19, v19, v103
	s_waitcnt lgkmcnt(27)
	v_add_f32_e32 v20, v20, v112
	s_waitcnt lgkmcnt(26)
	v_add_f32_e32 v21, v21, v113
	s_waitcnt lgkmcnt(25)
	v_add_f32_e32 v22, v22, v114
	s_waitcnt lgkmcnt(24)
	v_add_f32_e32 v23, v23, v115
	s_waitcnt lgkmcnt(23)
	v_add_f32_e32 v24, v24, v116
	s_waitcnt lgkmcnt(22)
	v_add_f32_e32 v25, v25, v117
	s_waitcnt lgkmcnt(21)
	v_add_f32_e32 v26, v26, v118
	s_waitcnt lgkmcnt(20)
	v_add_f32_e32 v27, v27, v119
	s_waitcnt lgkmcnt(19)
	v_add_f32_e32 v28, v28, v40
	s_waitcnt lgkmcnt(18)
	v_add_f32_e32 v29, v29, v41
	s_waitcnt lgkmcnt(17)
	v_add_f32_e32 v30, v30, v42
	s_waitcnt lgkmcnt(16)
	v_add_f32_e32 v31, v31, v43
	s_waitcnt lgkmcnt(15)
	v_add_f32_e32 v32, v32, v44
	s_waitcnt lgkmcnt(14)
	v_add_f32_e32 v33, v33, v45
	s_waitcnt lgkmcnt(13)
	v_add_f32_e32 v34, v34, v46
	s_waitcnt lgkmcnt(12)
	v_add_f32_e32 v35, v35, v47
	s_waitcnt lgkmcnt(11)
	v_add_f32_e32 v36, v36, v56
	s_waitcnt lgkmcnt(10)
	v_add_f32_e32 v37, v37, v57
	s_waitcnt lgkmcnt(9)
	v_add_f32_e32 v38, v38, v58
	s_waitcnt lgkmcnt(8)
	v_add_f32_e32 v39, v39, v59
	s_waitcnt lgkmcnt(7)
	v_add_f32_e32 v48, v48, v60
	s_waitcnt lgkmcnt(6)
	v_add_f32_e32 v49, v49, v61
	s_waitcnt lgkmcnt(5)
	v_add_f32_e32 v50, v50, v62
	s_waitcnt lgkmcnt(4)
	v_add_f32_e32 v51, v51, v63
	s_waitcnt lgkmcnt(3)
	v_add_f32_e32 v52, v52, v72
	s_waitcnt lgkmcnt(2)
	v_add_f32_e32 v53, v53, v73
	s_waitcnt lgkmcnt(1)
	v_add_f32_e32 v54, v54, v74
	s_waitcnt lgkmcnt(0)
	v_add_f32_e32 v55, v55, v75
	v_lshl_add_u32 v65, v66, 2, v64
	v_cmpx_eq_u32_e32 64, v68
	s_cbranch_execz .LBB257_3203
; %bb.3201:
	s_and_b32 exec_lo, exec_lo, vcc_lo
	s_cbranch_execz .LBB257_3203
; %bb.3202:
	v_add_nc_u32_e32 v68, v65, v67
	v_add_nc_u32_e32 v69, 0xfffffa00, v68
	;; [unrolled: 1-line block ×8, first 2 shown]
	ds_write_b32 v69, v0
	ds_write_b32 v70, v1
	;; [unrolled: 1-line block ×3, first 2 shown]
	v_add_nc_u32_e32 v69, 0xfffffa70, v68
	ds_write_b32 v80, v3
	ds_write_b32 v81, v4
	ds_write_b32 v82, v5
	ds_write_b32 v83, v6
	ds_write_b32 v69, v7
	v_add_nc_u32_e32 v69, 0xfffffa80, v68
	v_add_nc_u32_e32 v70, 0xfffffa90, v68
	v_add_nc_u32_e32 v71, 0xfffffaa0, v68
	v_add_nc_u32_e32 v80, 0xfffffab0, v68
	v_add_nc_u32_e32 v81, 0xfffffac0, v68
	ds_write_b32 v69, v8
	ds_write_b32 v70, v9
	ds_write_b32 v71, v10
	ds_write_b32 v80, v11
	ds_write_b32 v81, v12
	v_add_nc_u32_e32 v69, 0xfffffad0, v68
	v_add_nc_u32_e32 v70, 0xfffffae0, v68
	v_add_nc_u32_e32 v71, 0xfffffaf0, v68
	v_add_nc_u32_e32 v80, 0xfffffb00, v68
	;; [unrolled: 10-line block ×8, first 2 shown]
	v_add_nc_u32_e32 v68, 0xfffffcf0, v68
	ds_write_b32 v69, v51
	ds_write_b32 v70, v52
	;; [unrolled: 1-line block ×5, first 2 shown]
.LBB257_3203:
	s_or_b32 exec_lo, exec_lo, s6
	v_lshlrev_b32_e32 v66, 2, v66
	s_mov_b32 s6, exec_lo
	s_waitcnt lgkmcnt(0)
	s_barrier
	buffer_gl0_inv
	v_add3_u32 v64, v64, v67, v66
	v_cmpx_gt_u32_e32 64, v76
	s_cbranch_execz .LBB257_3254
; %bb.3204:
	s_and_saveexec_b32 s4, vcc_lo
	s_cbranch_execnz .LBB257_3311
; %bb.3205:
	s_or_b32 exec_lo, exec_lo, s4
	s_and_saveexec_b32 s4, vcc_lo
	s_cbranch_execnz .LBB257_3312
.LBB257_3206:
	s_or_b32 exec_lo, exec_lo, s4
	s_and_saveexec_b32 s4, vcc_lo
	s_cbranch_execnz .LBB257_3313
.LBB257_3207:
	s_or_b32 exec_lo, exec_lo, s4
	s_and_saveexec_b32 s4, vcc_lo
	s_cbranch_execnz .LBB257_3314
.LBB257_3208:
	s_or_b32 exec_lo, exec_lo, s4
	s_and_saveexec_b32 s4, vcc_lo
	s_cbranch_execnz .LBB257_3315
.LBB257_3209:
	s_or_b32 exec_lo, exec_lo, s4
	s_and_saveexec_b32 s4, vcc_lo
	s_cbranch_execnz .LBB257_3316
.LBB257_3210:
	s_or_b32 exec_lo, exec_lo, s4
	s_and_saveexec_b32 s4, vcc_lo
	s_cbranch_execnz .LBB257_3317
.LBB257_3211:
	s_or_b32 exec_lo, exec_lo, s4
	s_and_saveexec_b32 s4, vcc_lo
	s_cbranch_execnz .LBB257_3318
.LBB257_3212:
	s_or_b32 exec_lo, exec_lo, s4
	s_and_saveexec_b32 s4, vcc_lo
	s_cbranch_execnz .LBB257_3319
.LBB257_3213:
	s_or_b32 exec_lo, exec_lo, s4
	s_and_saveexec_b32 s4, vcc_lo
	s_cbranch_execnz .LBB257_3320
.LBB257_3214:
	s_or_b32 exec_lo, exec_lo, s4
	s_and_saveexec_b32 s4, vcc_lo
	s_cbranch_execnz .LBB257_3321
.LBB257_3215:
	s_or_b32 exec_lo, exec_lo, s4
	s_and_saveexec_b32 s4, vcc_lo
	s_cbranch_execnz .LBB257_3322
.LBB257_3216:
	s_or_b32 exec_lo, exec_lo, s4
	s_and_saveexec_b32 s4, vcc_lo
	s_cbranch_execnz .LBB257_3323
.LBB257_3217:
	s_or_b32 exec_lo, exec_lo, s4
	s_and_saveexec_b32 s4, vcc_lo
	s_cbranch_execnz .LBB257_3324
.LBB257_3218:
	s_or_b32 exec_lo, exec_lo, s4
	s_and_saveexec_b32 s4, vcc_lo
	s_cbranch_execnz .LBB257_3325
.LBB257_3219:
	s_or_b32 exec_lo, exec_lo, s4
	s_and_saveexec_b32 s4, vcc_lo
	s_cbranch_execnz .LBB257_3326
.LBB257_3220:
	s_or_b32 exec_lo, exec_lo, s4
	s_and_saveexec_b32 s4, vcc_lo
	s_cbranch_execnz .LBB257_3327
.LBB257_3221:
	s_or_b32 exec_lo, exec_lo, s4
	s_and_saveexec_b32 s4, vcc_lo
	s_cbranch_execnz .LBB257_3328
.LBB257_3222:
	s_or_b32 exec_lo, exec_lo, s4
	s_and_saveexec_b32 s4, vcc_lo
	s_cbranch_execnz .LBB257_3329
.LBB257_3223:
	s_or_b32 exec_lo, exec_lo, s4
	s_and_saveexec_b32 s4, vcc_lo
	s_cbranch_execnz .LBB257_3330
.LBB257_3224:
	s_or_b32 exec_lo, exec_lo, s4
	s_and_saveexec_b32 s4, vcc_lo
	s_cbranch_execnz .LBB257_3331
.LBB257_3225:
	s_or_b32 exec_lo, exec_lo, s4
	s_and_saveexec_b32 s4, vcc_lo
	s_cbranch_execnz .LBB257_3332
.LBB257_3226:
	s_or_b32 exec_lo, exec_lo, s4
	s_and_saveexec_b32 s4, vcc_lo
	s_cbranch_execnz .LBB257_3333
.LBB257_3227:
	s_or_b32 exec_lo, exec_lo, s4
	s_and_saveexec_b32 s4, vcc_lo
	s_cbranch_execnz .LBB257_3334
.LBB257_3228:
	s_or_b32 exec_lo, exec_lo, s4
	s_and_saveexec_b32 s4, vcc_lo
	s_cbranch_execnz .LBB257_3335
.LBB257_3229:
	s_or_b32 exec_lo, exec_lo, s4
	s_and_saveexec_b32 s4, vcc_lo
	s_cbranch_execnz .LBB257_3336
.LBB257_3230:
	s_or_b32 exec_lo, exec_lo, s4
	s_and_saveexec_b32 s4, vcc_lo
	s_cbranch_execnz .LBB257_3337
.LBB257_3231:
	s_or_b32 exec_lo, exec_lo, s4
	s_and_saveexec_b32 s4, vcc_lo
	s_cbranch_execnz .LBB257_3338
.LBB257_3232:
	s_or_b32 exec_lo, exec_lo, s4
	s_and_saveexec_b32 s4, vcc_lo
	s_cbranch_execnz .LBB257_3339
.LBB257_3233:
	s_or_b32 exec_lo, exec_lo, s4
	s_and_saveexec_b32 s4, vcc_lo
	s_cbranch_execnz .LBB257_3340
.LBB257_3234:
	s_or_b32 exec_lo, exec_lo, s4
	s_and_saveexec_b32 s4, vcc_lo
	s_cbranch_execnz .LBB257_3341
.LBB257_3235:
	s_or_b32 exec_lo, exec_lo, s4
	s_and_saveexec_b32 s4, vcc_lo
	s_cbranch_execnz .LBB257_3342
.LBB257_3236:
	s_or_b32 exec_lo, exec_lo, s4
	s_and_saveexec_b32 s4, vcc_lo
	s_cbranch_execnz .LBB257_3343
.LBB257_3237:
	s_or_b32 exec_lo, exec_lo, s4
	s_and_saveexec_b32 s4, vcc_lo
	s_cbranch_execnz .LBB257_3344
.LBB257_3238:
	s_or_b32 exec_lo, exec_lo, s4
	s_and_saveexec_b32 s4, vcc_lo
	s_cbranch_execnz .LBB257_3345
.LBB257_3239:
	s_or_b32 exec_lo, exec_lo, s4
	s_and_saveexec_b32 s4, vcc_lo
	s_cbranch_execnz .LBB257_3346
.LBB257_3240:
	s_or_b32 exec_lo, exec_lo, s4
	s_and_saveexec_b32 s4, vcc_lo
	s_cbranch_execnz .LBB257_3347
.LBB257_3241:
	s_or_b32 exec_lo, exec_lo, s4
	s_and_saveexec_b32 s4, vcc_lo
	s_cbranch_execnz .LBB257_3348
.LBB257_3242:
	s_or_b32 exec_lo, exec_lo, s4
	s_and_saveexec_b32 s4, vcc_lo
	s_cbranch_execnz .LBB257_3349
.LBB257_3243:
	s_or_b32 exec_lo, exec_lo, s4
	s_and_saveexec_b32 s4, vcc_lo
	s_cbranch_execnz .LBB257_3350
.LBB257_3244:
	s_or_b32 exec_lo, exec_lo, s4
	s_and_saveexec_b32 s4, vcc_lo
	s_cbranch_execnz .LBB257_3351
.LBB257_3245:
	s_or_b32 exec_lo, exec_lo, s4
	s_and_saveexec_b32 s4, vcc_lo
	s_cbranch_execnz .LBB257_3352
.LBB257_3246:
	s_or_b32 exec_lo, exec_lo, s4
	s_and_saveexec_b32 s4, vcc_lo
	s_cbranch_execnz .LBB257_3353
.LBB257_3247:
	s_or_b32 exec_lo, exec_lo, s4
	s_and_saveexec_b32 s4, vcc_lo
	s_cbranch_execnz .LBB257_3354
.LBB257_3248:
	s_or_b32 exec_lo, exec_lo, s4
	s_and_saveexec_b32 s4, vcc_lo
	s_cbranch_execnz .LBB257_3355
.LBB257_3249:
	s_or_b32 exec_lo, exec_lo, s4
	s_and_saveexec_b32 s4, vcc_lo
	s_cbranch_execnz .LBB257_3356
.LBB257_3250:
	s_or_b32 exec_lo, exec_lo, s4
	s_and_saveexec_b32 s4, vcc_lo
	s_cbranch_execnz .LBB257_3357
.LBB257_3251:
	s_or_b32 exec_lo, exec_lo, s4
	s_and_saveexec_b32 s4, vcc_lo
	s_cbranch_execz .LBB257_3253
.LBB257_3252:
	ds_read_b32 v66, v64 offset:752
	s_waitcnt lgkmcnt(0)
	v_add_f32_e32 v55, v66, v55
.LBB257_3253:
	s_or_b32 exec_lo, exec_lo, s4
.LBB257_3254:
	s_or_b32 exec_lo, exec_lo, s6
	v_and_b32_e32 v66, 0x3e7, v76
	s_mov_b32 s6, exec_lo
	s_barrier
	buffer_gl0_inv
	v_cmpx_eq_u32_e32 32, v66
	s_cbranch_execz .LBB257_3256
; %bb.3255:
	ds_write2_b32 v65, v0, v1 offset1:4
	ds_write2_b32 v65, v2, v3 offset0:8 offset1:12
	ds_write2_b32 v65, v4, v5 offset0:16 offset1:20
	;; [unrolled: 1-line block ×23, first 2 shown]
.LBB257_3256:
	s_or_b32 exec_lo, exec_lo, s6
	v_cmp_gt_u32_e64 s4, 32, v76
	s_waitcnt lgkmcnt(0)
	s_barrier
	buffer_gl0_inv
	s_and_saveexec_b32 s6, s4
	s_cbranch_execz .LBB257_3307
; %bb.3257:
	s_and_saveexec_b32 s7, vcc_lo
	s_cbranch_execnz .LBB257_3358
; %bb.3258:
	s_or_b32 exec_lo, exec_lo, s7
	s_and_saveexec_b32 s7, vcc_lo
	s_cbranch_execnz .LBB257_3359
.LBB257_3259:
	s_or_b32 exec_lo, exec_lo, s7
	s_and_saveexec_b32 s7, vcc_lo
	s_cbranch_execnz .LBB257_3360
.LBB257_3260:
	s_or_b32 exec_lo, exec_lo, s7
	s_and_saveexec_b32 s7, vcc_lo
	s_cbranch_execnz .LBB257_3361
.LBB257_3261:
	s_or_b32 exec_lo, exec_lo, s7
	s_and_saveexec_b32 s7, vcc_lo
	s_cbranch_execnz .LBB257_3362
.LBB257_3262:
	s_or_b32 exec_lo, exec_lo, s7
	s_and_saveexec_b32 s7, vcc_lo
	s_cbranch_execnz .LBB257_3363
.LBB257_3263:
	s_or_b32 exec_lo, exec_lo, s7
	s_and_saveexec_b32 s7, vcc_lo
	s_cbranch_execnz .LBB257_3364
.LBB257_3264:
	s_or_b32 exec_lo, exec_lo, s7
	s_and_saveexec_b32 s7, vcc_lo
	s_cbranch_execnz .LBB257_3365
.LBB257_3265:
	s_or_b32 exec_lo, exec_lo, s7
	s_and_saveexec_b32 s7, vcc_lo
	s_cbranch_execnz .LBB257_3366
.LBB257_3266:
	s_or_b32 exec_lo, exec_lo, s7
	s_and_saveexec_b32 s7, vcc_lo
	s_cbranch_execnz .LBB257_3367
.LBB257_3267:
	s_or_b32 exec_lo, exec_lo, s7
	s_and_saveexec_b32 s7, vcc_lo
	s_cbranch_execnz .LBB257_3368
.LBB257_3268:
	s_or_b32 exec_lo, exec_lo, s7
	s_and_saveexec_b32 s7, vcc_lo
	s_cbranch_execnz .LBB257_3369
.LBB257_3269:
	s_or_b32 exec_lo, exec_lo, s7
	s_and_saveexec_b32 s7, vcc_lo
	s_cbranch_execnz .LBB257_3370
.LBB257_3270:
	s_or_b32 exec_lo, exec_lo, s7
	s_and_saveexec_b32 s7, vcc_lo
	s_cbranch_execnz .LBB257_3371
.LBB257_3271:
	s_or_b32 exec_lo, exec_lo, s7
	s_and_saveexec_b32 s7, vcc_lo
	s_cbranch_execnz .LBB257_3372
.LBB257_3272:
	s_or_b32 exec_lo, exec_lo, s7
	s_and_saveexec_b32 s7, vcc_lo
	s_cbranch_execnz .LBB257_3373
.LBB257_3273:
	s_or_b32 exec_lo, exec_lo, s7
	s_and_saveexec_b32 s7, vcc_lo
	s_cbranch_execnz .LBB257_3374
.LBB257_3274:
	s_or_b32 exec_lo, exec_lo, s7
	s_and_saveexec_b32 s7, vcc_lo
	s_cbranch_execnz .LBB257_3375
.LBB257_3275:
	s_or_b32 exec_lo, exec_lo, s7
	s_and_saveexec_b32 s7, vcc_lo
	s_cbranch_execnz .LBB257_3376
.LBB257_3276:
	s_or_b32 exec_lo, exec_lo, s7
	s_and_saveexec_b32 s7, vcc_lo
	s_cbranch_execnz .LBB257_3377
.LBB257_3277:
	s_or_b32 exec_lo, exec_lo, s7
	s_and_saveexec_b32 s7, vcc_lo
	s_cbranch_execnz .LBB257_3378
.LBB257_3278:
	s_or_b32 exec_lo, exec_lo, s7
	s_and_saveexec_b32 s7, vcc_lo
	s_cbranch_execnz .LBB257_3379
.LBB257_3279:
	s_or_b32 exec_lo, exec_lo, s7
	s_and_saveexec_b32 s7, vcc_lo
	s_cbranch_execnz .LBB257_3380
.LBB257_3280:
	s_or_b32 exec_lo, exec_lo, s7
	s_and_saveexec_b32 s7, vcc_lo
	s_cbranch_execnz .LBB257_3381
.LBB257_3281:
	s_or_b32 exec_lo, exec_lo, s7
	s_and_saveexec_b32 s7, vcc_lo
	s_cbranch_execnz .LBB257_3382
.LBB257_3282:
	s_or_b32 exec_lo, exec_lo, s7
	s_and_saveexec_b32 s7, vcc_lo
	s_cbranch_execnz .LBB257_3383
.LBB257_3283:
	s_or_b32 exec_lo, exec_lo, s7
	s_and_saveexec_b32 s7, vcc_lo
	s_cbranch_execnz .LBB257_3384
.LBB257_3284:
	s_or_b32 exec_lo, exec_lo, s7
	s_and_saveexec_b32 s7, vcc_lo
	s_cbranch_execnz .LBB257_3385
.LBB257_3285:
	s_or_b32 exec_lo, exec_lo, s7
	s_and_saveexec_b32 s7, vcc_lo
	s_cbranch_execnz .LBB257_3386
.LBB257_3286:
	s_or_b32 exec_lo, exec_lo, s7
	s_and_saveexec_b32 s7, vcc_lo
	s_cbranch_execnz .LBB257_3387
.LBB257_3287:
	s_or_b32 exec_lo, exec_lo, s7
	s_and_saveexec_b32 s7, vcc_lo
	s_cbranch_execnz .LBB257_3388
.LBB257_3288:
	s_or_b32 exec_lo, exec_lo, s7
	s_and_saveexec_b32 s7, vcc_lo
	s_cbranch_execnz .LBB257_3389
.LBB257_3289:
	s_or_b32 exec_lo, exec_lo, s7
	s_and_saveexec_b32 s7, vcc_lo
	s_cbranch_execnz .LBB257_3390
.LBB257_3290:
	s_or_b32 exec_lo, exec_lo, s7
	s_and_saveexec_b32 s7, vcc_lo
	s_cbranch_execnz .LBB257_3391
.LBB257_3291:
	s_or_b32 exec_lo, exec_lo, s7
	s_and_saveexec_b32 s7, vcc_lo
	s_cbranch_execnz .LBB257_3392
.LBB257_3292:
	s_or_b32 exec_lo, exec_lo, s7
	s_and_saveexec_b32 s7, vcc_lo
	s_cbranch_execnz .LBB257_3393
.LBB257_3293:
	s_or_b32 exec_lo, exec_lo, s7
	s_and_saveexec_b32 s7, vcc_lo
	s_cbranch_execnz .LBB257_3394
.LBB257_3294:
	s_or_b32 exec_lo, exec_lo, s7
	s_and_saveexec_b32 s7, vcc_lo
	s_cbranch_execnz .LBB257_3395
.LBB257_3295:
	s_or_b32 exec_lo, exec_lo, s7
	s_and_saveexec_b32 s7, vcc_lo
	s_cbranch_execnz .LBB257_3396
.LBB257_3296:
	s_or_b32 exec_lo, exec_lo, s7
	s_and_saveexec_b32 s7, vcc_lo
	s_cbranch_execnz .LBB257_3397
.LBB257_3297:
	s_or_b32 exec_lo, exec_lo, s7
	s_and_saveexec_b32 s7, vcc_lo
	s_cbranch_execnz .LBB257_3398
.LBB257_3298:
	s_or_b32 exec_lo, exec_lo, s7
	s_and_saveexec_b32 s7, vcc_lo
	s_cbranch_execnz .LBB257_3399
.LBB257_3299:
	s_or_b32 exec_lo, exec_lo, s7
	s_and_saveexec_b32 s7, vcc_lo
	s_cbranch_execnz .LBB257_3400
.LBB257_3300:
	s_or_b32 exec_lo, exec_lo, s7
	s_and_saveexec_b32 s7, vcc_lo
	s_cbranch_execnz .LBB257_3401
.LBB257_3301:
	s_or_b32 exec_lo, exec_lo, s7
	s_and_saveexec_b32 s7, vcc_lo
	s_cbranch_execnz .LBB257_3402
.LBB257_3302:
	s_or_b32 exec_lo, exec_lo, s7
	s_and_saveexec_b32 s7, vcc_lo
	s_cbranch_execnz .LBB257_3403
.LBB257_3303:
	s_or_b32 exec_lo, exec_lo, s7
	s_and_saveexec_b32 s7, vcc_lo
	s_cbranch_execnz .LBB257_3404
.LBB257_3304:
	s_or_b32 exec_lo, exec_lo, s7
	s_and_saveexec_b32 s7, vcc_lo
	s_cbranch_execz .LBB257_3306
.LBB257_3305:
	ds_read_b32 v64, v64 offset:752
	s_waitcnt lgkmcnt(0)
	v_add_f32_e32 v55, v64, v55
.LBB257_3306:
	s_or_b32 exec_lo, exec_lo, s7
.LBB257_3307:
	s_or_b32 exec_lo, exec_lo, s6
	s_barrier
	buffer_gl0_inv
	s_and_b32 exec_lo, exec_lo, s4
	s_cbranch_execz .LBB257_3310
; %bb.3308:
	s_and_b32 exec_lo, exec_lo, vcc_lo
	s_cbranch_execz .LBB257_3310
; %bb.3309:
	s_clause 0x1
	buffer_load_dword v64, off, s[0:3], s32 offset:2332
	buffer_load_dword v65, off, s[0:3], s32 offset:2328
	s_mul_i32 s4, s5, s10
	s_mul_i32 s6, s16, s5
	;; [unrolled: 1-line block ×3, first 2 shown]
	s_ashr_i32 s7, s6, 31
	s_mulk_i32 s4, 0xc0
	s_lshl_b64 s[6:7], s[6:7], 2
	s_ashr_i32 s5, s4, 31
	v_lshrrev_b32_e32 v66, 1, v76
	s_lshl_b64 s[4:5], s[4:5], 2
	v_and_b32_e32 v66, 0x1fc, v66
	s_waitcnt vmcnt(1)
	v_add_co_u32 v64, vcc_lo, v64, s4
	s_waitcnt vmcnt(0)
	v_add_co_ci_u32_e64 v65, null, s5, v65, vcc_lo
	s_mul_i32 s4, s14, 0xc0
	v_add_co_u32 v64, vcc_lo, v64, s6
	s_ashr_i32 s5, s4, 31
	v_add_co_ci_u32_e64 v65, null, s7, v65, vcc_lo
	s_lshl_b64 s[4:5], s[4:5], 2
	v_add_co_u32 v64, vcc_lo, v64, s4
	v_add_co_ci_u32_e64 v65, null, s5, v65, vcc_lo
	v_add_co_u32 v64, vcc_lo, v64, v66
	v_add_co_ci_u32_e64 v65, null, 0, v65, vcc_lo
	flat_store_dword v[64:65], v0
	flat_store_dword v[64:65], v1 offset:16
	flat_store_dword v[64:65], v2 offset:32
	;; [unrolled: 1-line block ×47, first 2 shown]
.LBB257_3310:
	s_or_b32 exec_lo, exec_lo, s11
	s_clause 0x2f
	buffer_load_dword v127, off, s[0:3], s32
	buffer_load_dword v126, off, s[0:3], s32 offset:4
	buffer_load_dword v125, off, s[0:3], s32 offset:8
	;; [unrolled: 1-line block ×47, first 2 shown]
	s_waitcnt vmcnt(0) lgkmcnt(0)
	s_setpc_b64 s[30:31]
.LBB257_3311:
	ds_read_b32 v66, v64
	s_waitcnt lgkmcnt(0)
	v_add_f32_e32 v0, v66, v0
	s_or_b32 exec_lo, exec_lo, s4
	s_and_saveexec_b32 s4, vcc_lo
	s_cbranch_execz .LBB257_3206
.LBB257_3312:
	ds_read_b32 v66, v64 offset:16
	s_waitcnt lgkmcnt(0)
	v_add_f32_e32 v1, v66, v1
	s_or_b32 exec_lo, exec_lo, s4
	s_and_saveexec_b32 s4, vcc_lo
	s_cbranch_execz .LBB257_3207
.LBB257_3313:
	ds_read_b32 v66, v64 offset:32
	s_waitcnt lgkmcnt(0)
	v_add_f32_e32 v2, v66, v2
	s_or_b32 exec_lo, exec_lo, s4
	s_and_saveexec_b32 s4, vcc_lo
	s_cbranch_execz .LBB257_3208
.LBB257_3314:
	ds_read_b32 v66, v64 offset:48
	s_waitcnt lgkmcnt(0)
	v_add_f32_e32 v3, v66, v3
	s_or_b32 exec_lo, exec_lo, s4
	s_and_saveexec_b32 s4, vcc_lo
	s_cbranch_execz .LBB257_3209
.LBB257_3315:
	ds_read_b32 v66, v64 offset:64
	s_waitcnt lgkmcnt(0)
	v_add_f32_e32 v4, v66, v4
	s_or_b32 exec_lo, exec_lo, s4
	s_and_saveexec_b32 s4, vcc_lo
	s_cbranch_execz .LBB257_3210
.LBB257_3316:
	ds_read_b32 v66, v64 offset:80
	s_waitcnt lgkmcnt(0)
	v_add_f32_e32 v5, v66, v5
	s_or_b32 exec_lo, exec_lo, s4
	s_and_saveexec_b32 s4, vcc_lo
	s_cbranch_execz .LBB257_3211
.LBB257_3317:
	ds_read_b32 v66, v64 offset:96
	s_waitcnt lgkmcnt(0)
	v_add_f32_e32 v6, v66, v6
	s_or_b32 exec_lo, exec_lo, s4
	s_and_saveexec_b32 s4, vcc_lo
	s_cbranch_execz .LBB257_3212
.LBB257_3318:
	ds_read_b32 v66, v64 offset:112
	s_waitcnt lgkmcnt(0)
	v_add_f32_e32 v7, v66, v7
	s_or_b32 exec_lo, exec_lo, s4
	s_and_saveexec_b32 s4, vcc_lo
	s_cbranch_execz .LBB257_3213
.LBB257_3319:
	ds_read_b32 v66, v64 offset:128
	s_waitcnt lgkmcnt(0)
	v_add_f32_e32 v8, v66, v8
	s_or_b32 exec_lo, exec_lo, s4
	s_and_saveexec_b32 s4, vcc_lo
	s_cbranch_execz .LBB257_3214
.LBB257_3320:
	ds_read_b32 v66, v64 offset:144
	s_waitcnt lgkmcnt(0)
	v_add_f32_e32 v9, v66, v9
	s_or_b32 exec_lo, exec_lo, s4
	s_and_saveexec_b32 s4, vcc_lo
	s_cbranch_execz .LBB257_3215
.LBB257_3321:
	ds_read_b32 v66, v64 offset:160
	s_waitcnt lgkmcnt(0)
	v_add_f32_e32 v10, v66, v10
	s_or_b32 exec_lo, exec_lo, s4
	s_and_saveexec_b32 s4, vcc_lo
	s_cbranch_execz .LBB257_3216
.LBB257_3322:
	ds_read_b32 v66, v64 offset:176
	s_waitcnt lgkmcnt(0)
	v_add_f32_e32 v11, v66, v11
	s_or_b32 exec_lo, exec_lo, s4
	s_and_saveexec_b32 s4, vcc_lo
	s_cbranch_execz .LBB257_3217
.LBB257_3323:
	ds_read_b32 v66, v64 offset:192
	s_waitcnt lgkmcnt(0)
	v_add_f32_e32 v12, v66, v12
	s_or_b32 exec_lo, exec_lo, s4
	s_and_saveexec_b32 s4, vcc_lo
	s_cbranch_execz .LBB257_3218
.LBB257_3324:
	ds_read_b32 v66, v64 offset:208
	s_waitcnt lgkmcnt(0)
	v_add_f32_e32 v13, v66, v13
	s_or_b32 exec_lo, exec_lo, s4
	s_and_saveexec_b32 s4, vcc_lo
	s_cbranch_execz .LBB257_3219
.LBB257_3325:
	ds_read_b32 v66, v64 offset:224
	s_waitcnt lgkmcnt(0)
	v_add_f32_e32 v14, v66, v14
	s_or_b32 exec_lo, exec_lo, s4
	s_and_saveexec_b32 s4, vcc_lo
	s_cbranch_execz .LBB257_3220
.LBB257_3326:
	ds_read_b32 v66, v64 offset:240
	s_waitcnt lgkmcnt(0)
	v_add_f32_e32 v15, v66, v15
	s_or_b32 exec_lo, exec_lo, s4
	s_and_saveexec_b32 s4, vcc_lo
	s_cbranch_execz .LBB257_3221
.LBB257_3327:
	ds_read_b32 v66, v64 offset:256
	s_waitcnt lgkmcnt(0)
	v_add_f32_e32 v16, v66, v16
	s_or_b32 exec_lo, exec_lo, s4
	s_and_saveexec_b32 s4, vcc_lo
	s_cbranch_execz .LBB257_3222
.LBB257_3328:
	ds_read_b32 v66, v64 offset:272
	s_waitcnt lgkmcnt(0)
	v_add_f32_e32 v17, v66, v17
	s_or_b32 exec_lo, exec_lo, s4
	s_and_saveexec_b32 s4, vcc_lo
	s_cbranch_execz .LBB257_3223
.LBB257_3329:
	ds_read_b32 v66, v64 offset:288
	s_waitcnt lgkmcnt(0)
	v_add_f32_e32 v18, v66, v18
	s_or_b32 exec_lo, exec_lo, s4
	s_and_saveexec_b32 s4, vcc_lo
	s_cbranch_execz .LBB257_3224
.LBB257_3330:
	ds_read_b32 v66, v64 offset:304
	s_waitcnt lgkmcnt(0)
	v_add_f32_e32 v19, v66, v19
	s_or_b32 exec_lo, exec_lo, s4
	s_and_saveexec_b32 s4, vcc_lo
	s_cbranch_execz .LBB257_3225
.LBB257_3331:
	ds_read_b32 v66, v64 offset:320
	s_waitcnt lgkmcnt(0)
	v_add_f32_e32 v20, v66, v20
	s_or_b32 exec_lo, exec_lo, s4
	s_and_saveexec_b32 s4, vcc_lo
	s_cbranch_execz .LBB257_3226
.LBB257_3332:
	ds_read_b32 v66, v64 offset:336
	s_waitcnt lgkmcnt(0)
	v_add_f32_e32 v21, v66, v21
	s_or_b32 exec_lo, exec_lo, s4
	s_and_saveexec_b32 s4, vcc_lo
	s_cbranch_execz .LBB257_3227
.LBB257_3333:
	ds_read_b32 v66, v64 offset:352
	s_waitcnt lgkmcnt(0)
	v_add_f32_e32 v22, v66, v22
	s_or_b32 exec_lo, exec_lo, s4
	s_and_saveexec_b32 s4, vcc_lo
	s_cbranch_execz .LBB257_3228
.LBB257_3334:
	ds_read_b32 v66, v64 offset:368
	s_waitcnt lgkmcnt(0)
	v_add_f32_e32 v23, v66, v23
	s_or_b32 exec_lo, exec_lo, s4
	s_and_saveexec_b32 s4, vcc_lo
	s_cbranch_execz .LBB257_3229
.LBB257_3335:
	ds_read_b32 v66, v64 offset:384
	s_waitcnt lgkmcnt(0)
	v_add_f32_e32 v24, v66, v24
	s_or_b32 exec_lo, exec_lo, s4
	s_and_saveexec_b32 s4, vcc_lo
	s_cbranch_execz .LBB257_3230
.LBB257_3336:
	ds_read_b32 v66, v64 offset:400
	s_waitcnt lgkmcnt(0)
	v_add_f32_e32 v25, v66, v25
	s_or_b32 exec_lo, exec_lo, s4
	s_and_saveexec_b32 s4, vcc_lo
	s_cbranch_execz .LBB257_3231
.LBB257_3337:
	ds_read_b32 v66, v64 offset:416
	s_waitcnt lgkmcnt(0)
	v_add_f32_e32 v26, v66, v26
	s_or_b32 exec_lo, exec_lo, s4
	s_and_saveexec_b32 s4, vcc_lo
	s_cbranch_execz .LBB257_3232
.LBB257_3338:
	ds_read_b32 v66, v64 offset:432
	s_waitcnt lgkmcnt(0)
	v_add_f32_e32 v27, v66, v27
	s_or_b32 exec_lo, exec_lo, s4
	s_and_saveexec_b32 s4, vcc_lo
	s_cbranch_execz .LBB257_3233
.LBB257_3339:
	ds_read_b32 v66, v64 offset:448
	s_waitcnt lgkmcnt(0)
	v_add_f32_e32 v28, v66, v28
	s_or_b32 exec_lo, exec_lo, s4
	s_and_saveexec_b32 s4, vcc_lo
	s_cbranch_execz .LBB257_3234
.LBB257_3340:
	ds_read_b32 v66, v64 offset:464
	s_waitcnt lgkmcnt(0)
	v_add_f32_e32 v29, v66, v29
	s_or_b32 exec_lo, exec_lo, s4
	s_and_saveexec_b32 s4, vcc_lo
	s_cbranch_execz .LBB257_3235
.LBB257_3341:
	ds_read_b32 v66, v64 offset:480
	s_waitcnt lgkmcnt(0)
	v_add_f32_e32 v30, v66, v30
	s_or_b32 exec_lo, exec_lo, s4
	s_and_saveexec_b32 s4, vcc_lo
	s_cbranch_execz .LBB257_3236
.LBB257_3342:
	ds_read_b32 v66, v64 offset:496
	s_waitcnt lgkmcnt(0)
	v_add_f32_e32 v31, v66, v31
	s_or_b32 exec_lo, exec_lo, s4
	s_and_saveexec_b32 s4, vcc_lo
	s_cbranch_execz .LBB257_3237
.LBB257_3343:
	ds_read_b32 v66, v64 offset:512
	s_waitcnt lgkmcnt(0)
	v_add_f32_e32 v32, v66, v32
	s_or_b32 exec_lo, exec_lo, s4
	s_and_saveexec_b32 s4, vcc_lo
	s_cbranch_execz .LBB257_3238
.LBB257_3344:
	ds_read_b32 v66, v64 offset:528
	s_waitcnt lgkmcnt(0)
	v_add_f32_e32 v33, v66, v33
	s_or_b32 exec_lo, exec_lo, s4
	s_and_saveexec_b32 s4, vcc_lo
	s_cbranch_execz .LBB257_3239
.LBB257_3345:
	ds_read_b32 v66, v64 offset:544
	s_waitcnt lgkmcnt(0)
	v_add_f32_e32 v34, v66, v34
	s_or_b32 exec_lo, exec_lo, s4
	s_and_saveexec_b32 s4, vcc_lo
	s_cbranch_execz .LBB257_3240
.LBB257_3346:
	ds_read_b32 v66, v64 offset:560
	s_waitcnt lgkmcnt(0)
	v_add_f32_e32 v35, v66, v35
	s_or_b32 exec_lo, exec_lo, s4
	s_and_saveexec_b32 s4, vcc_lo
	s_cbranch_execz .LBB257_3241
.LBB257_3347:
	ds_read_b32 v66, v64 offset:576
	s_waitcnt lgkmcnt(0)
	v_add_f32_e32 v36, v66, v36
	s_or_b32 exec_lo, exec_lo, s4
	s_and_saveexec_b32 s4, vcc_lo
	s_cbranch_execz .LBB257_3242
.LBB257_3348:
	ds_read_b32 v66, v64 offset:592
	s_waitcnt lgkmcnt(0)
	v_add_f32_e32 v37, v66, v37
	s_or_b32 exec_lo, exec_lo, s4
	s_and_saveexec_b32 s4, vcc_lo
	s_cbranch_execz .LBB257_3243
.LBB257_3349:
	ds_read_b32 v66, v64 offset:608
	s_waitcnt lgkmcnt(0)
	v_add_f32_e32 v38, v66, v38
	s_or_b32 exec_lo, exec_lo, s4
	s_and_saveexec_b32 s4, vcc_lo
	s_cbranch_execz .LBB257_3244
.LBB257_3350:
	ds_read_b32 v66, v64 offset:624
	s_waitcnt lgkmcnt(0)
	v_add_f32_e32 v39, v66, v39
	s_or_b32 exec_lo, exec_lo, s4
	s_and_saveexec_b32 s4, vcc_lo
	s_cbranch_execz .LBB257_3245
.LBB257_3351:
	ds_read_b32 v66, v64 offset:640
	s_waitcnt lgkmcnt(0)
	v_add_f32_e32 v48, v66, v48
	s_or_b32 exec_lo, exec_lo, s4
	s_and_saveexec_b32 s4, vcc_lo
	s_cbranch_execz .LBB257_3246
.LBB257_3352:
	ds_read_b32 v66, v64 offset:656
	s_waitcnt lgkmcnt(0)
	v_add_f32_e32 v49, v66, v49
	s_or_b32 exec_lo, exec_lo, s4
	s_and_saveexec_b32 s4, vcc_lo
	s_cbranch_execz .LBB257_3247
.LBB257_3353:
	ds_read_b32 v66, v64 offset:672
	s_waitcnt lgkmcnt(0)
	v_add_f32_e32 v50, v66, v50
	s_or_b32 exec_lo, exec_lo, s4
	s_and_saveexec_b32 s4, vcc_lo
	s_cbranch_execz .LBB257_3248
.LBB257_3354:
	ds_read_b32 v66, v64 offset:688
	s_waitcnt lgkmcnt(0)
	v_add_f32_e32 v51, v66, v51
	s_or_b32 exec_lo, exec_lo, s4
	s_and_saveexec_b32 s4, vcc_lo
	s_cbranch_execz .LBB257_3249
.LBB257_3355:
	ds_read_b32 v66, v64 offset:704
	s_waitcnt lgkmcnt(0)
	v_add_f32_e32 v52, v66, v52
	s_or_b32 exec_lo, exec_lo, s4
	s_and_saveexec_b32 s4, vcc_lo
	s_cbranch_execz .LBB257_3250
.LBB257_3356:
	ds_read_b32 v66, v64 offset:720
	s_waitcnt lgkmcnt(0)
	v_add_f32_e32 v53, v66, v53
	s_or_b32 exec_lo, exec_lo, s4
	s_and_saveexec_b32 s4, vcc_lo
	s_cbranch_execz .LBB257_3251
.LBB257_3357:
	ds_read_b32 v66, v64 offset:736
	s_waitcnt lgkmcnt(0)
	v_add_f32_e32 v54, v66, v54
	s_or_b32 exec_lo, exec_lo, s4
	s_and_saveexec_b32 s4, vcc_lo
	s_cbranch_execnz .LBB257_3252
	s_branch .LBB257_3253
.LBB257_3358:
	ds_read_b32 v65, v64
	s_waitcnt lgkmcnt(0)
	v_add_f32_e32 v0, v65, v0
	s_or_b32 exec_lo, exec_lo, s7
	s_and_saveexec_b32 s7, vcc_lo
	s_cbranch_execz .LBB257_3259
.LBB257_3359:
	ds_read_b32 v65, v64 offset:16
	s_waitcnt lgkmcnt(0)
	v_add_f32_e32 v1, v65, v1
	s_or_b32 exec_lo, exec_lo, s7
	s_and_saveexec_b32 s7, vcc_lo
	s_cbranch_execz .LBB257_3260
.LBB257_3360:
	ds_read_b32 v65, v64 offset:32
	s_waitcnt lgkmcnt(0)
	v_add_f32_e32 v2, v65, v2
	s_or_b32 exec_lo, exec_lo, s7
	s_and_saveexec_b32 s7, vcc_lo
	s_cbranch_execz .LBB257_3261
.LBB257_3361:
	ds_read_b32 v65, v64 offset:48
	s_waitcnt lgkmcnt(0)
	v_add_f32_e32 v3, v65, v3
	s_or_b32 exec_lo, exec_lo, s7
	s_and_saveexec_b32 s7, vcc_lo
	s_cbranch_execz .LBB257_3262
.LBB257_3362:
	ds_read_b32 v65, v64 offset:64
	s_waitcnt lgkmcnt(0)
	v_add_f32_e32 v4, v65, v4
	s_or_b32 exec_lo, exec_lo, s7
	s_and_saveexec_b32 s7, vcc_lo
	s_cbranch_execz .LBB257_3263
.LBB257_3363:
	ds_read_b32 v65, v64 offset:80
	s_waitcnt lgkmcnt(0)
	v_add_f32_e32 v5, v65, v5
	s_or_b32 exec_lo, exec_lo, s7
	s_and_saveexec_b32 s7, vcc_lo
	s_cbranch_execz .LBB257_3264
.LBB257_3364:
	ds_read_b32 v65, v64 offset:96
	s_waitcnt lgkmcnt(0)
	v_add_f32_e32 v6, v65, v6
	s_or_b32 exec_lo, exec_lo, s7
	s_and_saveexec_b32 s7, vcc_lo
	s_cbranch_execz .LBB257_3265
.LBB257_3365:
	ds_read_b32 v65, v64 offset:112
	s_waitcnt lgkmcnt(0)
	v_add_f32_e32 v7, v65, v7
	s_or_b32 exec_lo, exec_lo, s7
	s_and_saveexec_b32 s7, vcc_lo
	s_cbranch_execz .LBB257_3266
.LBB257_3366:
	ds_read_b32 v65, v64 offset:128
	s_waitcnt lgkmcnt(0)
	v_add_f32_e32 v8, v65, v8
	s_or_b32 exec_lo, exec_lo, s7
	s_and_saveexec_b32 s7, vcc_lo
	s_cbranch_execz .LBB257_3267
.LBB257_3367:
	ds_read_b32 v65, v64 offset:144
	s_waitcnt lgkmcnt(0)
	v_add_f32_e32 v9, v65, v9
	s_or_b32 exec_lo, exec_lo, s7
	s_and_saveexec_b32 s7, vcc_lo
	s_cbranch_execz .LBB257_3268
.LBB257_3368:
	ds_read_b32 v65, v64 offset:160
	s_waitcnt lgkmcnt(0)
	v_add_f32_e32 v10, v65, v10
	s_or_b32 exec_lo, exec_lo, s7
	s_and_saveexec_b32 s7, vcc_lo
	s_cbranch_execz .LBB257_3269
.LBB257_3369:
	ds_read_b32 v65, v64 offset:176
	s_waitcnt lgkmcnt(0)
	v_add_f32_e32 v11, v65, v11
	s_or_b32 exec_lo, exec_lo, s7
	s_and_saveexec_b32 s7, vcc_lo
	s_cbranch_execz .LBB257_3270
.LBB257_3370:
	ds_read_b32 v65, v64 offset:192
	s_waitcnt lgkmcnt(0)
	v_add_f32_e32 v12, v65, v12
	s_or_b32 exec_lo, exec_lo, s7
	s_and_saveexec_b32 s7, vcc_lo
	s_cbranch_execz .LBB257_3271
.LBB257_3371:
	ds_read_b32 v65, v64 offset:208
	s_waitcnt lgkmcnt(0)
	v_add_f32_e32 v13, v65, v13
	s_or_b32 exec_lo, exec_lo, s7
	s_and_saveexec_b32 s7, vcc_lo
	s_cbranch_execz .LBB257_3272
.LBB257_3372:
	ds_read_b32 v65, v64 offset:224
	s_waitcnt lgkmcnt(0)
	v_add_f32_e32 v14, v65, v14
	s_or_b32 exec_lo, exec_lo, s7
	s_and_saveexec_b32 s7, vcc_lo
	s_cbranch_execz .LBB257_3273
.LBB257_3373:
	ds_read_b32 v65, v64 offset:240
	s_waitcnt lgkmcnt(0)
	v_add_f32_e32 v15, v65, v15
	s_or_b32 exec_lo, exec_lo, s7
	s_and_saveexec_b32 s7, vcc_lo
	s_cbranch_execz .LBB257_3274
.LBB257_3374:
	ds_read_b32 v65, v64 offset:256
	s_waitcnt lgkmcnt(0)
	v_add_f32_e32 v16, v65, v16
	s_or_b32 exec_lo, exec_lo, s7
	s_and_saveexec_b32 s7, vcc_lo
	s_cbranch_execz .LBB257_3275
.LBB257_3375:
	ds_read_b32 v65, v64 offset:272
	s_waitcnt lgkmcnt(0)
	v_add_f32_e32 v17, v65, v17
	s_or_b32 exec_lo, exec_lo, s7
	s_and_saveexec_b32 s7, vcc_lo
	s_cbranch_execz .LBB257_3276
.LBB257_3376:
	ds_read_b32 v65, v64 offset:288
	s_waitcnt lgkmcnt(0)
	v_add_f32_e32 v18, v65, v18
	s_or_b32 exec_lo, exec_lo, s7
	s_and_saveexec_b32 s7, vcc_lo
	s_cbranch_execz .LBB257_3277
.LBB257_3377:
	ds_read_b32 v65, v64 offset:304
	s_waitcnt lgkmcnt(0)
	v_add_f32_e32 v19, v65, v19
	s_or_b32 exec_lo, exec_lo, s7
	s_and_saveexec_b32 s7, vcc_lo
	s_cbranch_execz .LBB257_3278
.LBB257_3378:
	ds_read_b32 v65, v64 offset:320
	s_waitcnt lgkmcnt(0)
	v_add_f32_e32 v20, v65, v20
	s_or_b32 exec_lo, exec_lo, s7
	s_and_saveexec_b32 s7, vcc_lo
	s_cbranch_execz .LBB257_3279
.LBB257_3379:
	ds_read_b32 v65, v64 offset:336
	s_waitcnt lgkmcnt(0)
	v_add_f32_e32 v21, v65, v21
	s_or_b32 exec_lo, exec_lo, s7
	s_and_saveexec_b32 s7, vcc_lo
	s_cbranch_execz .LBB257_3280
.LBB257_3380:
	ds_read_b32 v65, v64 offset:352
	s_waitcnt lgkmcnt(0)
	v_add_f32_e32 v22, v65, v22
	s_or_b32 exec_lo, exec_lo, s7
	s_and_saveexec_b32 s7, vcc_lo
	s_cbranch_execz .LBB257_3281
.LBB257_3381:
	ds_read_b32 v65, v64 offset:368
	s_waitcnt lgkmcnt(0)
	v_add_f32_e32 v23, v65, v23
	s_or_b32 exec_lo, exec_lo, s7
	s_and_saveexec_b32 s7, vcc_lo
	s_cbranch_execz .LBB257_3282
.LBB257_3382:
	ds_read_b32 v65, v64 offset:384
	s_waitcnt lgkmcnt(0)
	v_add_f32_e32 v24, v65, v24
	s_or_b32 exec_lo, exec_lo, s7
	s_and_saveexec_b32 s7, vcc_lo
	s_cbranch_execz .LBB257_3283
.LBB257_3383:
	ds_read_b32 v65, v64 offset:400
	s_waitcnt lgkmcnt(0)
	v_add_f32_e32 v25, v65, v25
	s_or_b32 exec_lo, exec_lo, s7
	s_and_saveexec_b32 s7, vcc_lo
	s_cbranch_execz .LBB257_3284
.LBB257_3384:
	ds_read_b32 v65, v64 offset:416
	s_waitcnt lgkmcnt(0)
	v_add_f32_e32 v26, v65, v26
	s_or_b32 exec_lo, exec_lo, s7
	s_and_saveexec_b32 s7, vcc_lo
	s_cbranch_execz .LBB257_3285
.LBB257_3385:
	ds_read_b32 v65, v64 offset:432
	s_waitcnt lgkmcnt(0)
	v_add_f32_e32 v27, v65, v27
	s_or_b32 exec_lo, exec_lo, s7
	s_and_saveexec_b32 s7, vcc_lo
	s_cbranch_execz .LBB257_3286
.LBB257_3386:
	ds_read_b32 v65, v64 offset:448
	s_waitcnt lgkmcnt(0)
	v_add_f32_e32 v28, v65, v28
	s_or_b32 exec_lo, exec_lo, s7
	s_and_saveexec_b32 s7, vcc_lo
	s_cbranch_execz .LBB257_3287
.LBB257_3387:
	ds_read_b32 v65, v64 offset:464
	s_waitcnt lgkmcnt(0)
	v_add_f32_e32 v29, v65, v29
	s_or_b32 exec_lo, exec_lo, s7
	s_and_saveexec_b32 s7, vcc_lo
	s_cbranch_execz .LBB257_3288
.LBB257_3388:
	ds_read_b32 v65, v64 offset:480
	s_waitcnt lgkmcnt(0)
	v_add_f32_e32 v30, v65, v30
	s_or_b32 exec_lo, exec_lo, s7
	s_and_saveexec_b32 s7, vcc_lo
	s_cbranch_execz .LBB257_3289
.LBB257_3389:
	ds_read_b32 v65, v64 offset:496
	s_waitcnt lgkmcnt(0)
	v_add_f32_e32 v31, v65, v31
	s_or_b32 exec_lo, exec_lo, s7
	s_and_saveexec_b32 s7, vcc_lo
	s_cbranch_execz .LBB257_3290
.LBB257_3390:
	ds_read_b32 v65, v64 offset:512
	s_waitcnt lgkmcnt(0)
	v_add_f32_e32 v32, v65, v32
	s_or_b32 exec_lo, exec_lo, s7
	s_and_saveexec_b32 s7, vcc_lo
	s_cbranch_execz .LBB257_3291
.LBB257_3391:
	ds_read_b32 v65, v64 offset:528
	s_waitcnt lgkmcnt(0)
	v_add_f32_e32 v33, v65, v33
	s_or_b32 exec_lo, exec_lo, s7
	s_and_saveexec_b32 s7, vcc_lo
	s_cbranch_execz .LBB257_3292
.LBB257_3392:
	ds_read_b32 v65, v64 offset:544
	s_waitcnt lgkmcnt(0)
	v_add_f32_e32 v34, v65, v34
	s_or_b32 exec_lo, exec_lo, s7
	s_and_saveexec_b32 s7, vcc_lo
	s_cbranch_execz .LBB257_3293
.LBB257_3393:
	ds_read_b32 v65, v64 offset:560
	s_waitcnt lgkmcnt(0)
	v_add_f32_e32 v35, v65, v35
	s_or_b32 exec_lo, exec_lo, s7
	s_and_saveexec_b32 s7, vcc_lo
	s_cbranch_execz .LBB257_3294
.LBB257_3394:
	ds_read_b32 v65, v64 offset:576
	s_waitcnt lgkmcnt(0)
	v_add_f32_e32 v36, v65, v36
	s_or_b32 exec_lo, exec_lo, s7
	s_and_saveexec_b32 s7, vcc_lo
	s_cbranch_execz .LBB257_3295
.LBB257_3395:
	ds_read_b32 v65, v64 offset:592
	s_waitcnt lgkmcnt(0)
	v_add_f32_e32 v37, v65, v37
	s_or_b32 exec_lo, exec_lo, s7
	s_and_saveexec_b32 s7, vcc_lo
	s_cbranch_execz .LBB257_3296
.LBB257_3396:
	ds_read_b32 v65, v64 offset:608
	s_waitcnt lgkmcnt(0)
	v_add_f32_e32 v38, v65, v38
	s_or_b32 exec_lo, exec_lo, s7
	s_and_saveexec_b32 s7, vcc_lo
	s_cbranch_execz .LBB257_3297
.LBB257_3397:
	ds_read_b32 v65, v64 offset:624
	s_waitcnt lgkmcnt(0)
	v_add_f32_e32 v39, v65, v39
	s_or_b32 exec_lo, exec_lo, s7
	s_and_saveexec_b32 s7, vcc_lo
	s_cbranch_execz .LBB257_3298
.LBB257_3398:
	ds_read_b32 v65, v64 offset:640
	s_waitcnt lgkmcnt(0)
	v_add_f32_e32 v48, v65, v48
	s_or_b32 exec_lo, exec_lo, s7
	s_and_saveexec_b32 s7, vcc_lo
	s_cbranch_execz .LBB257_3299
.LBB257_3399:
	ds_read_b32 v65, v64 offset:656
	s_waitcnt lgkmcnt(0)
	v_add_f32_e32 v49, v65, v49
	s_or_b32 exec_lo, exec_lo, s7
	s_and_saveexec_b32 s7, vcc_lo
	s_cbranch_execz .LBB257_3300
.LBB257_3400:
	ds_read_b32 v65, v64 offset:672
	s_waitcnt lgkmcnt(0)
	v_add_f32_e32 v50, v65, v50
	s_or_b32 exec_lo, exec_lo, s7
	s_and_saveexec_b32 s7, vcc_lo
	s_cbranch_execz .LBB257_3301
.LBB257_3401:
	ds_read_b32 v65, v64 offset:688
	s_waitcnt lgkmcnt(0)
	v_add_f32_e32 v51, v65, v51
	s_or_b32 exec_lo, exec_lo, s7
	s_and_saveexec_b32 s7, vcc_lo
	s_cbranch_execz .LBB257_3302
.LBB257_3402:
	ds_read_b32 v65, v64 offset:704
	s_waitcnt lgkmcnt(0)
	v_add_f32_e32 v52, v65, v52
	s_or_b32 exec_lo, exec_lo, s7
	s_and_saveexec_b32 s7, vcc_lo
	s_cbranch_execz .LBB257_3303
.LBB257_3403:
	ds_read_b32 v65, v64 offset:720
	s_waitcnt lgkmcnt(0)
	v_add_f32_e32 v53, v65, v53
	s_or_b32 exec_lo, exec_lo, s7
	s_and_saveexec_b32 s7, vcc_lo
	s_cbranch_execz .LBB257_3304
.LBB257_3404:
	ds_read_b32 v65, v64 offset:736
	s_waitcnt lgkmcnt(0)
	v_add_f32_e32 v54, v65, v54
	s_or_b32 exec_lo, exec_lo, s7
	s_and_saveexec_b32 s7, vcc_lo
	s_cbranch_execnz .LBB257_3305
	s_branch .LBB257_3306
.Lfunc_end257:
	.size	_ZN4vllm22paged_attention_kernelIfhLi192ELi32ELi128ELNS_18Fp8KVCacheDataTypeE1ELb0ELi512EEEvPfS2_PT_PKS3_PKT0_S9_ifPKiSB_iPKfiiiSD_SD_iiiii, .Lfunc_end257-_ZN4vllm22paged_attention_kernelIfhLi192ELi32ELi128ELNS_18Fp8KVCacheDataTypeE1ELb0ELi512EEEvPfS2_PT_PKS3_PKT0_S9_ifPKiSB_iPKfiiiSD_SD_iiiii
                                        ; -- End function
	.set .L_ZN4vllm22paged_attention_kernelIfhLi192ELi32ELi128ELNS_18Fp8KVCacheDataTypeE1ELb0ELi512EEEvPfS2_PT_PKS3_PKT0_S9_ifPKiSB_iPKfiiiSD_SD_iiiii.num_vgpr, 128
	.set .L_ZN4vllm22paged_attention_kernelIfhLi192ELi32ELi128ELNS_18Fp8KVCacheDataTypeE1ELb0ELi512EEEvPfS2_PT_PKS3_PKT0_S9_ifPKiSB_iPKfiiiSD_SD_iiiii.num_agpr, 0
	.set .L_ZN4vllm22paged_attention_kernelIfhLi192ELi32ELi128ELNS_18Fp8KVCacheDataTypeE1ELb0ELi512EEEvPfS2_PT_PKS3_PKT0_S9_ifPKiSB_iPKfiiiSD_SD_iiiii.numbered_sgpr, 33
	.set .L_ZN4vllm22paged_attention_kernelIfhLi192ELi32ELi128ELNS_18Fp8KVCacheDataTypeE1ELb0ELi512EEEvPfS2_PT_PKS3_PKT0_S9_ifPKiSB_iPKfiiiSD_SD_iiiii.num_named_barrier, 0
	.set .L_ZN4vllm22paged_attention_kernelIfhLi192ELi32ELi128ELNS_18Fp8KVCacheDataTypeE1ELb0ELi512EEEvPfS2_PT_PKS3_PKT0_S9_ifPKiSB_iPKfiiiSD_SD_iiiii.private_seg_size, 2404
	.set .L_ZN4vllm22paged_attention_kernelIfhLi192ELi32ELi128ELNS_18Fp8KVCacheDataTypeE1ELb0ELi512EEEvPfS2_PT_PKS3_PKT0_S9_ifPKiSB_iPKfiiiSD_SD_iiiii.uses_vcc, 1
	.set .L_ZN4vllm22paged_attention_kernelIfhLi192ELi32ELi128ELNS_18Fp8KVCacheDataTypeE1ELb0ELi512EEEvPfS2_PT_PKS3_PKT0_S9_ifPKiSB_iPKfiiiSD_SD_iiiii.uses_flat_scratch, 0
	.set .L_ZN4vllm22paged_attention_kernelIfhLi192ELi32ELi128ELNS_18Fp8KVCacheDataTypeE1ELb0ELi512EEEvPfS2_PT_PKS3_PKT0_S9_ifPKiSB_iPKfiiiSD_SD_iiiii.has_dyn_sized_stack, 0
	.set .L_ZN4vllm22paged_attention_kernelIfhLi192ELi32ELi128ELNS_18Fp8KVCacheDataTypeE1ELb0ELi512EEEvPfS2_PT_PKS3_PKT0_S9_ifPKiSB_iPKfiiiSD_SD_iiiii.has_recursion, 0
	.set .L_ZN4vllm22paged_attention_kernelIfhLi192ELi32ELi128ELNS_18Fp8KVCacheDataTypeE1ELb0ELi512EEEvPfS2_PT_PKS3_PKT0_S9_ifPKiSB_iPKfiiiSD_SD_iiiii.has_indirect_call, 0
	.section	.AMDGPU.csdata,"",@progbits
; Function info:
; codeLenInByte = 123212
; TotalNumSgprs: 35
; NumVgprs: 128
; ScratchSize: 2404
; MemoryBound: 0
	.section	.text._ZN4vllm25paged_attention_v2_kernelIfhLi192ELi32ELi128ELNS_18Fp8KVCacheDataTypeE1ELb0ELi512EEEvPfS2_PT_PKS3_PKT0_S9_ifPKiSB_iPKfiiiSD_SD_iiiii,"axG",@progbits,_ZN4vllm25paged_attention_v2_kernelIfhLi192ELi32ELi128ELNS_18Fp8KVCacheDataTypeE1ELb0ELi512EEEvPfS2_PT_PKS3_PKT0_S9_ifPKiSB_iPKfiiiSD_SD_iiiii,comdat
	.protected	_ZN4vllm25paged_attention_v2_kernelIfhLi192ELi32ELi128ELNS_18Fp8KVCacheDataTypeE1ELb0ELi512EEEvPfS2_PT_PKS3_PKT0_S9_ifPKiSB_iPKfiiiSD_SD_iiiii ; -- Begin function _ZN4vllm25paged_attention_v2_kernelIfhLi192ELi32ELi128ELNS_18Fp8KVCacheDataTypeE1ELb0ELi512EEEvPfS2_PT_PKS3_PKT0_S9_ifPKiSB_iPKfiiiSD_SD_iiiii
	.globl	_ZN4vllm25paged_attention_v2_kernelIfhLi192ELi32ELi128ELNS_18Fp8KVCacheDataTypeE1ELb0ELi512EEEvPfS2_PT_PKS3_PKT0_S9_ifPKiSB_iPKfiiiSD_SD_iiiii
	.p2align	8
	.type	_ZN4vllm25paged_attention_v2_kernelIfhLi192ELi32ELi128ELNS_18Fp8KVCacheDataTypeE1ELb0ELi512EEEvPfS2_PT_PKS3_PKT0_S9_ifPKiSB_iPKfiiiSD_SD_iiiii,@function
_ZN4vllm25paged_attention_v2_kernelIfhLi192ELi32ELi128ELNS_18Fp8KVCacheDataTypeE1ELb0ELi512EEEvPfS2_PT_PKS3_PKT0_S9_ifPKiSB_iPKfiiiSD_SD_iiiii: ; @_ZN4vllm25paged_attention_v2_kernelIfhLi192ELi32ELi128ELNS_18Fp8KVCacheDataTypeE1ELb0ELi512EEEvPfS2_PT_PKS3_PKT0_S9_ifPKiSB_iPKfiiiSD_SD_iiiii
; %bb.0:
	s_clause 0x5
	s_load_dwordx8 s[24:31], s[4:5], 0x0
	s_load_dwordx8 s[16:23], s[4:5], 0x20
	s_load_dwordx2 s[10:11], s[4:5], 0x40
	s_load_dwordx2 s[34:35], s[4:5], 0x50
	s_load_dword s13, s[4:5], 0x48
	s_load_dwordx8 s[36:43], s[4:5], 0x58
	s_add_u32 s0, s0, s9
	s_addc_u32 s1, s1, 0
	v_mov_b32_e32 v31, v0
	s_mov_b32 s14, s8
	s_add_u32 s8, s4, 0x90
	s_addc_u32 s9, s5, 0
	s_getpc_b64 s[4:5]
	s_add_u32 s4, s4, _ZN4vllm22paged_attention_kernelIfhLi192ELi32ELi128ELNS_18Fp8KVCacheDataTypeE1ELb0ELi512EEEvPfS2_PT_PKS3_PKT0_S9_ifPKiSB_iPKfiiiSD_SD_iiiii@rel32@lo+4
	s_addc_u32 s5, s5, _ZN4vllm22paged_attention_kernelIfhLi192ELi32ELi128ELNS_18Fp8KVCacheDataTypeE1ELb0ELi512EEEvPfS2_PT_PKS3_PKT0_S9_ifPKiSB_iPKfiiiSD_SD_iiiii@rel32@hi+12
	s_mov_b32 s12, s6
	s_mov_b32 s15, 24
	;; [unrolled: 1-line block ×3, first 2 shown]
	s_waitcnt lgkmcnt(0)
	v_mov_b32_e32 v0, s24
	v_mov_b32_e32 v1, s25
	;; [unrolled: 1-line block ×28, first 2 shown]
	s_mov_b32 s13, s7
	s_swappc_b64 s[30:31], s[4:5]
	s_endpgm
	.section	.rodata,"a",@progbits
	.p2align	6, 0x0
	.amdhsa_kernel _ZN4vllm25paged_attention_v2_kernelIfhLi192ELi32ELi128ELNS_18Fp8KVCacheDataTypeE1ELb0ELi512EEEvPfS2_PT_PKS3_PKT0_S9_ifPKiSB_iPKfiiiSD_SD_iiiii
		.amdhsa_group_segment_fixed_size 800
		.amdhsa_private_segment_fixed_size 2404
		.amdhsa_kernarg_size 400
		.amdhsa_user_sgpr_count 6
		.amdhsa_user_sgpr_private_segment_buffer 1
		.amdhsa_user_sgpr_dispatch_ptr 0
		.amdhsa_user_sgpr_queue_ptr 0
		.amdhsa_user_sgpr_kernarg_segment_ptr 1
		.amdhsa_user_sgpr_dispatch_id 0
		.amdhsa_user_sgpr_flat_scratch_init 0
		.amdhsa_user_sgpr_private_segment_size 0
		.amdhsa_wavefront_size32 1
		.amdhsa_uses_dynamic_stack 0
		.amdhsa_system_sgpr_private_segment_wavefront_offset 1
		.amdhsa_system_sgpr_workgroup_id_x 1
		.amdhsa_system_sgpr_workgroup_id_y 1
		.amdhsa_system_sgpr_workgroup_id_z 1
		.amdhsa_system_sgpr_workgroup_info 0
		.amdhsa_system_vgpr_workitem_id 0
		.amdhsa_next_free_vgpr 128
		.amdhsa_next_free_sgpr 44
		.amdhsa_reserve_vcc 1
		.amdhsa_reserve_flat_scratch 0
		.amdhsa_float_round_mode_32 0
		.amdhsa_float_round_mode_16_64 0
		.amdhsa_float_denorm_mode_32 3
		.amdhsa_float_denorm_mode_16_64 3
		.amdhsa_dx10_clamp 1
		.amdhsa_ieee_mode 1
		.amdhsa_fp16_overflow 0
		.amdhsa_workgroup_processor_mode 1
		.amdhsa_memory_ordered 1
		.amdhsa_forward_progress 1
		.amdhsa_shared_vgpr_count 0
		.amdhsa_exception_fp_ieee_invalid_op 0
		.amdhsa_exception_fp_denorm_src 0
		.amdhsa_exception_fp_ieee_div_zero 0
		.amdhsa_exception_fp_ieee_overflow 0
		.amdhsa_exception_fp_ieee_underflow 0
		.amdhsa_exception_fp_ieee_inexact 0
		.amdhsa_exception_int_div_zero 0
	.end_amdhsa_kernel
	.section	.text._ZN4vllm25paged_attention_v2_kernelIfhLi192ELi32ELi128ELNS_18Fp8KVCacheDataTypeE1ELb0ELi512EEEvPfS2_PT_PKS3_PKT0_S9_ifPKiSB_iPKfiiiSD_SD_iiiii,"axG",@progbits,_ZN4vllm25paged_attention_v2_kernelIfhLi192ELi32ELi128ELNS_18Fp8KVCacheDataTypeE1ELb0ELi512EEEvPfS2_PT_PKS3_PKT0_S9_ifPKiSB_iPKfiiiSD_SD_iiiii,comdat
.Lfunc_end258:
	.size	_ZN4vllm25paged_attention_v2_kernelIfhLi192ELi32ELi128ELNS_18Fp8KVCacheDataTypeE1ELb0ELi512EEEvPfS2_PT_PKS3_PKT0_S9_ifPKiSB_iPKfiiiSD_SD_iiiii, .Lfunc_end258-_ZN4vllm25paged_attention_v2_kernelIfhLi192ELi32ELi128ELNS_18Fp8KVCacheDataTypeE1ELb0ELi512EEEvPfS2_PT_PKS3_PKT0_S9_ifPKiSB_iPKfiiiSD_SD_iiiii
                                        ; -- End function
	.set _ZN4vllm25paged_attention_v2_kernelIfhLi192ELi32ELi128ELNS_18Fp8KVCacheDataTypeE1ELb0ELi512EEEvPfS2_PT_PKS3_PKT0_S9_ifPKiSB_iPKfiiiSD_SD_iiiii.num_vgpr, max(32, .L_ZN4vllm22paged_attention_kernelIfhLi192ELi32ELi128ELNS_18Fp8KVCacheDataTypeE1ELb0ELi512EEEvPfS2_PT_PKS3_PKT0_S9_ifPKiSB_iPKfiiiSD_SD_iiiii.num_vgpr)
	.set _ZN4vllm25paged_attention_v2_kernelIfhLi192ELi32ELi128ELNS_18Fp8KVCacheDataTypeE1ELb0ELi512EEEvPfS2_PT_PKS3_PKT0_S9_ifPKiSB_iPKfiiiSD_SD_iiiii.num_agpr, max(0, .L_ZN4vllm22paged_attention_kernelIfhLi192ELi32ELi128ELNS_18Fp8KVCacheDataTypeE1ELb0ELi512EEEvPfS2_PT_PKS3_PKT0_S9_ifPKiSB_iPKfiiiSD_SD_iiiii.num_agpr)
	.set _ZN4vllm25paged_attention_v2_kernelIfhLi192ELi32ELi128ELNS_18Fp8KVCacheDataTypeE1ELb0ELi512EEEvPfS2_PT_PKS3_PKT0_S9_ifPKiSB_iPKfiiiSD_SD_iiiii.numbered_sgpr, max(44, .L_ZN4vllm22paged_attention_kernelIfhLi192ELi32ELi128ELNS_18Fp8KVCacheDataTypeE1ELb0ELi512EEEvPfS2_PT_PKS3_PKT0_S9_ifPKiSB_iPKfiiiSD_SD_iiiii.numbered_sgpr)
	.set _ZN4vllm25paged_attention_v2_kernelIfhLi192ELi32ELi128ELNS_18Fp8KVCacheDataTypeE1ELb0ELi512EEEvPfS2_PT_PKS3_PKT0_S9_ifPKiSB_iPKfiiiSD_SD_iiiii.num_named_barrier, max(0, .L_ZN4vllm22paged_attention_kernelIfhLi192ELi32ELi128ELNS_18Fp8KVCacheDataTypeE1ELb0ELi512EEEvPfS2_PT_PKS3_PKT0_S9_ifPKiSB_iPKfiiiSD_SD_iiiii.num_named_barrier)
	.set _ZN4vllm25paged_attention_v2_kernelIfhLi192ELi32ELi128ELNS_18Fp8KVCacheDataTypeE1ELb0ELi512EEEvPfS2_PT_PKS3_PKT0_S9_ifPKiSB_iPKfiiiSD_SD_iiiii.private_seg_size, 0+max(.L_ZN4vllm22paged_attention_kernelIfhLi192ELi32ELi128ELNS_18Fp8KVCacheDataTypeE1ELb0ELi512EEEvPfS2_PT_PKS3_PKT0_S9_ifPKiSB_iPKfiiiSD_SD_iiiii.private_seg_size)
	.set _ZN4vllm25paged_attention_v2_kernelIfhLi192ELi32ELi128ELNS_18Fp8KVCacheDataTypeE1ELb0ELi512EEEvPfS2_PT_PKS3_PKT0_S9_ifPKiSB_iPKfiiiSD_SD_iiiii.uses_vcc, or(1, .L_ZN4vllm22paged_attention_kernelIfhLi192ELi32ELi128ELNS_18Fp8KVCacheDataTypeE1ELb0ELi512EEEvPfS2_PT_PKS3_PKT0_S9_ifPKiSB_iPKfiiiSD_SD_iiiii.uses_vcc)
	.set _ZN4vllm25paged_attention_v2_kernelIfhLi192ELi32ELi128ELNS_18Fp8KVCacheDataTypeE1ELb0ELi512EEEvPfS2_PT_PKS3_PKT0_S9_ifPKiSB_iPKfiiiSD_SD_iiiii.uses_flat_scratch, or(0, .L_ZN4vllm22paged_attention_kernelIfhLi192ELi32ELi128ELNS_18Fp8KVCacheDataTypeE1ELb0ELi512EEEvPfS2_PT_PKS3_PKT0_S9_ifPKiSB_iPKfiiiSD_SD_iiiii.uses_flat_scratch)
	.set _ZN4vllm25paged_attention_v2_kernelIfhLi192ELi32ELi128ELNS_18Fp8KVCacheDataTypeE1ELb0ELi512EEEvPfS2_PT_PKS3_PKT0_S9_ifPKiSB_iPKfiiiSD_SD_iiiii.has_dyn_sized_stack, or(0, .L_ZN4vllm22paged_attention_kernelIfhLi192ELi32ELi128ELNS_18Fp8KVCacheDataTypeE1ELb0ELi512EEEvPfS2_PT_PKS3_PKT0_S9_ifPKiSB_iPKfiiiSD_SD_iiiii.has_dyn_sized_stack)
	.set _ZN4vllm25paged_attention_v2_kernelIfhLi192ELi32ELi128ELNS_18Fp8KVCacheDataTypeE1ELb0ELi512EEEvPfS2_PT_PKS3_PKT0_S9_ifPKiSB_iPKfiiiSD_SD_iiiii.has_recursion, or(0, .L_ZN4vllm22paged_attention_kernelIfhLi192ELi32ELi128ELNS_18Fp8KVCacheDataTypeE1ELb0ELi512EEEvPfS2_PT_PKS3_PKT0_S9_ifPKiSB_iPKfiiiSD_SD_iiiii.has_recursion)
	.set _ZN4vllm25paged_attention_v2_kernelIfhLi192ELi32ELi128ELNS_18Fp8KVCacheDataTypeE1ELb0ELi512EEEvPfS2_PT_PKS3_PKT0_S9_ifPKiSB_iPKfiiiSD_SD_iiiii.has_indirect_call, or(0, .L_ZN4vllm22paged_attention_kernelIfhLi192ELi32ELi128ELNS_18Fp8KVCacheDataTypeE1ELb0ELi512EEEvPfS2_PT_PKS3_PKT0_S9_ifPKiSB_iPKfiiiSD_SD_iiiii.has_indirect_call)
	.section	.AMDGPU.csdata,"",@progbits
; Kernel info:
; codeLenInByte = 240
; TotalNumSgprs: 46
; NumVgprs: 128
; ScratchSize: 2404
; MemoryBound: 0
; FloatMode: 240
; IeeeMode: 1
; LDSByteSize: 800 bytes/workgroup (compile time only)
; SGPRBlocks: 0
; VGPRBlocks: 15
; NumSGPRsForWavesPerEU: 46
; NumVGPRsForWavesPerEU: 128
; Occupancy: 8
; WaveLimiterHint : 1
; COMPUTE_PGM_RSRC2:SCRATCH_EN: 1
; COMPUTE_PGM_RSRC2:USER_SGPR: 6
; COMPUTE_PGM_RSRC2:TRAP_HANDLER: 0
; COMPUTE_PGM_RSRC2:TGID_X_EN: 1
; COMPUTE_PGM_RSRC2:TGID_Y_EN: 1
; COMPUTE_PGM_RSRC2:TGID_Z_EN: 1
; COMPUTE_PGM_RSRC2:TIDIG_COMP_CNT: 0
	.text
	.p2align	2                               ; -- Begin function _ZN4vllm22paged_attention_kernelIfhLi256ELi32ELi128ELNS_18Fp8KVCacheDataTypeE1ELb0ELi512EEEvPfS2_PT_PKS3_PKT0_S9_ifPKiSB_iPKfiiiSD_SD_iiiii
	.type	_ZN4vllm22paged_attention_kernelIfhLi256ELi32ELi128ELNS_18Fp8KVCacheDataTypeE1ELb0ELi512EEEvPfS2_PT_PKS3_PKT0_S9_ifPKiSB_iPKfiiiSD_SD_iiiii,@function
_ZN4vllm22paged_attention_kernelIfhLi256ELi32ELi128ELNS_18Fp8KVCacheDataTypeE1ELb0ELi512EEEvPfS2_PT_PKS3_PKT0_S9_ifPKiSB_iPKfiiiSD_SD_iiiii: ; @_ZN4vllm22paged_attention_kernelIfhLi256ELi32ELi128ELNS_18Fp8KVCacheDataTypeE1ELb0ELi512EEEvPfS2_PT_PKS3_PKT0_S9_ifPKiSB_iPKfiiiSD_SD_iiiii
; %bb.0:
	s_waitcnt vmcnt(0) expcnt(0) lgkmcnt(0)
	buffer_store_dword v40, off, s[0:3], s32 offset:188 ; 4-byte Folded Spill
	buffer_store_dword v41, off, s[0:3], s32 offset:184 ; 4-byte Folded Spill
	;; [unrolled: 1-line block ×47, first 2 shown]
	buffer_store_dword v127, off, s[0:3], s32 ; 4-byte Folded Spill
	s_mov_b32 s10, s13
	s_ashr_i32 s11, s13, 31
	buffer_store_dword v24, off, s[0:3], s32 offset:2052 ; 4-byte Folded Spill
	buffer_store_dword v25, off, s[0:3], s32 offset:2056 ; 4-byte Folded Spill
	;; [unrolled: 1-line block ×6, first 2 shown]
	s_lshl_b64 s[4:5], s[10:11], 2
	v_mov_b32_e32 v24, v0
	v_add_co_u32 v0, vcc_lo, v16, s4
	v_mov_b32_e32 v22, v1
	v_add_co_ci_u32_e64 v1, null, s5, v17, vcc_lo
	v_mov_b32_e32 v25, v3
	v_mov_b32_e32 v28, v2
	s_lshl_b32 s21, s14, 9
	flat_load_dword v0, v[0:1]
	s_mov_b32 s11, exec_lo
	s_waitcnt vmcnt(0) lgkmcnt(0)
	buffer_store_dword v0, off, s[0:3], s32 offset:1808 ; 4-byte Folded Spill
	v_cmpx_lt_i32_e64 s21, v0
	s_cbranch_execnz .LBB259_1
; %bb.4269:
	s_getpc_b64 s[26:27]
.Lpost_getpc1:
	s_add_u32 s26, s26, (.LBB259_4268-.Lpost_getpc1)&4294967295
	s_addc_u32 s27, s27, (.LBB259_4268-.Lpost_getpc1)>>32
	s_setpc_b64 s[26:27]
.LBB259_1:
	v_sub_nc_u32_e32 v0, 0, v12
	s_clause 0x1
	s_load_dword s4, s[8:9], 0x10
	s_load_dword s5, s[8:9], 0x0
	s_mov_b32 s18, s15
	v_max_i32_e32 v0, v12, v0
	v_cvt_f32_u32_e32 v1, v0
	v_sub_nc_u32_e32 v2, 0, v0
	v_rcp_iflag_f32_e32 v1, v1
	s_waitcnt lgkmcnt(0)
	s_lshr_b32 s4, s4, 16
	s_cmp_lg_u32 s4, 0
	s_cselect_b32 s4, -1, 0
	v_mul_f32_e32 v1, 0x4f7ffffe, v1
	s_cmp_lg_u32 s4, 0
	s_addc_u32 s20, s5, 0
	s_mov_b32 s5, exec_lo
	v_cvt_u32_f32_e32 v1, v1
	s_abs_i32 s4, s20
	v_mul_lo_u32 v2, v2, v1
	v_mul_hi_u32 v2, v1, v2
	v_add_nc_u32_e32 v1, v1, v2
	v_mul_hi_u32 v1, s4, v1
	v_mul_lo_u32 v2, v1, v0
	v_add_nc_u32_e32 v3, 1, v1
	v_sub_nc_u32_e32 v2, s4, v2
	s_abs_i32 s4, s12
	v_sub_nc_u32_e32 v4, v2, v0
	v_cmp_ge_u32_e32 vcc_lo, v2, v0
	v_cndmask_b32_e32 v1, v1, v3, vcc_lo
	v_cndmask_b32_e32 v2, v2, v4, vcc_lo
	v_xor_b32_e32 v3, s20, v12
	v_add_nc_u32_e32 v4, 1, v1
	v_cmp_ge_u32_e32 vcc_lo, v2, v0
	v_ashrrev_i32_e32 v3, 31, v3
	v_cndmask_b32_e32 v0, v1, v4, vcc_lo
	v_xor_b32_e32 v0, v0, v3
	v_sub_nc_u32_e32 v3, v0, v3
	v_sub_nc_u32_e32 v0, 0, v3
	v_max_i32_e32 v2, v3, v0
	v_cvt_f32_u32_e32 v0, v2
	v_sub_nc_u32_e32 v1, 0, v2
	v_rcp_iflag_f32_e32 v0, v0
	v_mul_f32_e32 v0, 0x4f7ffffe, v0
	v_cvt_u32_f32_e32 v0, v0
	v_mul_lo_u32 v1, v1, v0
	v_mul_hi_u32 v1, v0, v1
	v_add_nc_u32_e32 v0, v0, v1
	v_mad_u64_u32 v[0:1], null, s4, v0, 0
	v_mov_b32_e32 v0, 0
	buffer_store_dword v0, off, s[0:3], s32 offset:2064 ; 4-byte Folded Spill
	v_cmpx_ne_u64_e32 0, v[19:20]
	s_cbranch_execz .LBB259_3
; %bb.2:
	s_ashr_i32 s13, s12, 31
	s_lshl_b64 s[6:7], s[12:13], 2
	v_add_co_u32 v4, vcc_lo, v19, s6
	v_add_co_ci_u32_e64 v5, null, s7, v20, vcc_lo
	flat_load_dword v0, v[4:5]
	s_waitcnt vmcnt(0) lgkmcnt(0)
	buffer_store_dword v0, off, s[0:3], s32 offset:2064 ; 4-byte Folded Spill
.LBB259_3:
	s_or_b32 exec_lo, exec_lo, s5
	v_and_b32_e32 v12, 0x3ff, v31
	v_ashrrev_i32_e32 v0, 31, v3
	s_ashr_i32 s5, s12, 31
	s_lshl_b32 s16, s12, 8
	s_mov_b32 s6, exec_lo
	v_cmpx_gt_u32_e32 64, v12
	s_cbranch_execz .LBB259_5
; %bb.4:
	v_mul_lo_u32 v3, v21, s10
	s_ashr_i32 s17, s16, 31
	v_lshlrev_b32_e32 v13, 4, v12
	s_lshl_b64 s[22:23], s[16:17], 2
	v_ashrrev_i32_e32 v4, 31, v3
	v_lshlrev_b64 v[3:4], 2, v[3:4]
	v_add_co_u32 v3, vcc_lo, v6, v3
	v_add_co_ci_u32_e64 v4, null, v7, v4, vcc_lo
	v_add_co_u32 v3, vcc_lo, v3, s22
	v_add_co_ci_u32_e64 v4, null, s23, v4, vcc_lo
	;; [unrolled: 2-line block ×3, first 2 shown]
	flat_load_dwordx4 v[3:6], v[3:4]
	s_waitcnt vmcnt(0) lgkmcnt(0)
	ds_write_b128 v13, v[3:6]
.LBB259_5:
	s_or_b32 exec_lo, exec_lo, s6
	v_mul_lo_u32 v3, v1, v2
	v_add_nc_u32_e32 v4, 1, v1
	v_xor_b32_e32 v7, s5, v0
	v_mul_lo_u32 v0, v18, s10
	v_mov_b32_e32 v13, 0xff7fffff
	s_mov_b32 s15, exec_lo
	v_sub_nc_u32_e32 v3, s4, v3
	v_cmp_ge_u32_e32 vcc_lo, v3, v2
	v_sub_nc_u32_e32 v5, v3, v2
	v_cndmask_b32_e32 v1, v1, v4, vcc_lo
	buffer_load_dword v4, off, s[0:3], s32 offset:1808 ; 4-byte Folded Reload
	v_cndmask_b32_e32 v3, v3, v5, vcc_lo
	s_clause 0x1
	s_load_dword s13, s[8:9], 0x14
	s_load_dword s8, s[8:9], 0x8
	s_lshl_b32 s9, s14, 4
	v_add_nc_u32_e32 v5, 1, v1
	s_add_i32 s4, s9, 16
	v_cmp_ge_u32_e32 vcc_lo, v3, v2
	buffer_store_dword v12, off, s[0:3], s32 offset:3100 ; 4-byte Folded Spill
	v_cndmask_b32_e32 v1, v1, v5, vcc_lo
	v_and_b32_e32 v5, 31, v12
	v_xor_b32_e32 v1, v1, v7
	v_sub_nc_u32_e32 v3, v1, v7
	v_ashrrev_i32_e32 v1, 31, v0
	v_mul_lo_u32 v7, v3, v23
	v_lshlrev_b64 v[0:1], 2, v[0:1]
	s_waitcnt vmcnt(0)
	v_add_nc_u32_e32 v4, 31, v4
	v_ashrrev_i32_e32 v6, 31, v4
	v_lshrrev_b32_e32 v2, 27, v6
	v_add_nc_u32_e32 v2, v4, v2
	v_lshrrev_b32_e32 v4, 5, v12
	v_lshlrev_b32_e32 v12, 2, v5
	v_ashrrev_i32_e32 v6, 5, v2
	v_add_nc_u32_e32 v2, s9, v4
	v_lshlrev_b32_e32 v3, 5, v4
	buffer_store_dword v4, off, s[0:3], s32 offset:3108 ; 4-byte Folded Spill
	buffer_store_dword v6, off, s[0:3], s32 offset:3140 ; 4-byte Folded Spill
	v_min_i32_e32 v6, s4, v6
	buffer_store_dword v3, off, s[0:3], s32 offset:3120 ; 4-byte Folded Spill
	v_ashrrev_i32_e32 v3, 31, v2
	buffer_store_dword v0, off, s[0:3], s32 offset:3124 ; 4-byte Folded Spill
	buffer_store_dword v1, off, s[0:3], s32 offset:3128 ; 4-byte Folded Spill
	v_ashrrev_i32_e32 v0, 31, v7
	v_cmp_ge_i32_e64 s4, v2, v6
	buffer_store_dword v2, off, s[0:3], s32 offset:192 ; 4-byte Folded Spill
	buffer_store_dword v3, off, s[0:3], s32 offset:196 ; 4-byte Folded Spill
	;; [unrolled: 1-line block ×6, first 2 shown]
	s_waitcnt lgkmcnt(0)
	s_waitcnt_vscnt null, 0x0
	s_barrier
	buffer_gl0_inv
	v_cmpx_lt_i32_e64 v2, v6
	s_cbranch_execz .LBB259_2057
; %bb.6:
	buffer_store_dword v28, off, s[0:3], s32 offset:3180 ; 4-byte Folded Spill
	buffer_store_dword v25, off, s[0:3], s32 offset:3176 ; 4-byte Folded Spill
	;; [unrolled: 1-line block ×8, first 2 shown]
	s_clause 0x2
	buffer_load_dword v0, off, s[0:3], s32 offset:3132
	buffer_load_dword v1, off, s[0:3], s32 offset:3136
	;; [unrolled: 1-line block ×3, first 2 shown]
	v_mov_b32_e32 v28, 0
	s_ashr_i32 s19, s18, 31
	v_mov_b32_e32 v13, 0xff7fffff
	s_lshl_b64 s[6:7], s[18:19], 2
	s_getpc_b64 s[22:23]
	s_add_u32 s22, s22, llvm.amdgcn.dynlds.offset.table@rel32@lo+4
	s_addc_u32 s23, s23, llvm.amdgcn.dynlds.offset.table@rel32@hi+12
	s_add_u32 s6, s22, s6
	s_addc_u32 s7, s23, s7
	v_bfrev_b32_e32 v99, 1
	v_mov_b32_e32 v117, 0x7f800001
	s_mov_b32 s17, 0
	s_waitcnt vmcnt(2)
	v_add_co_u32 v0, vcc_lo, v8, v0
	s_waitcnt vmcnt(0)
	v_lshlrev_b32_e32 v2, 4, v3
	v_add_co_ci_u32_e64 v1, null, v9, v1, vcc_lo
	v_add_co_u32 v0, vcc_lo, v0, v2
	v_add_co_ci_u32_e64 v1, null, 0, v1, vcc_lo
	buffer_store_dword v0, off, s[0:3], s32 offset:2068 ; 4-byte Folded Spill
	buffer_store_dword v1, off, s[0:3], s32 offset:2072 ; 4-byte Folded Spill
	ds_read_b128 v[4:7], v28
	s_waitcnt lgkmcnt(0)
	buffer_store_dword v4, off, s[0:3], s32 offset:2076 ; 4-byte Folded Spill
	buffer_store_dword v5, off, s[0:3], s32 offset:2080 ; 4-byte Folded Spill
	buffer_store_dword v6, off, s[0:3], s32 offset:2084 ; 4-byte Folded Spill
	buffer_store_dword v7, off, s[0:3], s32 offset:2088 ; 4-byte Folded Spill
	ds_read_b128 v[4:7], v28 offset:16
	s_waitcnt lgkmcnt(0)
	buffer_store_dword v4, off, s[0:3], s32 offset:2092 ; 4-byte Folded Spill
	buffer_store_dword v5, off, s[0:3], s32 offset:2096 ; 4-byte Folded Spill
	buffer_store_dword v6, off, s[0:3], s32 offset:2100 ; 4-byte Folded Spill
	buffer_store_dword v7, off, s[0:3], s32 offset:2104 ; 4-byte Folded Spill
	ds_read_b128 v[4:7], v28 offset:32
	s_waitcnt lgkmcnt(0)
	buffer_store_dword v4, off, s[0:3], s32 offset:2108 ; 4-byte Folded Spill
	buffer_store_dword v5, off, s[0:3], s32 offset:2112 ; 4-byte Folded Spill
	buffer_store_dword v6, off, s[0:3], s32 offset:2116 ; 4-byte Folded Spill
	buffer_store_dword v7, off, s[0:3], s32 offset:2120 ; 4-byte Folded Spill
	ds_read_b128 v[4:7], v28 offset:48
	s_waitcnt lgkmcnt(0)
	buffer_store_dword v4, off, s[0:3], s32 offset:2124 ; 4-byte Folded Spill
	buffer_store_dword v5, off, s[0:3], s32 offset:2128 ; 4-byte Folded Spill
	buffer_store_dword v6, off, s[0:3], s32 offset:2132 ; 4-byte Folded Spill
	buffer_store_dword v7, off, s[0:3], s32 offset:2136 ; 4-byte Folded Spill
	ds_read_b128 v[4:7], v28 offset:64
	s_waitcnt lgkmcnt(0)
	buffer_store_dword v4, off, s[0:3], s32 offset:2140 ; 4-byte Folded Spill
	buffer_store_dword v5, off, s[0:3], s32 offset:2144 ; 4-byte Folded Spill
	buffer_store_dword v6, off, s[0:3], s32 offset:2148 ; 4-byte Folded Spill
	buffer_store_dword v7, off, s[0:3], s32 offset:2152 ; 4-byte Folded Spill
	ds_read_b128 v[4:7], v28 offset:80
	s_waitcnt lgkmcnt(0)
	buffer_store_dword v4, off, s[0:3], s32 offset:2156 ; 4-byte Folded Spill
	buffer_store_dword v5, off, s[0:3], s32 offset:2160 ; 4-byte Folded Spill
	buffer_store_dword v6, off, s[0:3], s32 offset:2164 ; 4-byte Folded Spill
	buffer_store_dword v7, off, s[0:3], s32 offset:2168 ; 4-byte Folded Spill
	ds_read_b128 v[4:7], v28 offset:96
	s_waitcnt lgkmcnt(0)
	buffer_store_dword v4, off, s[0:3], s32 offset:2172 ; 4-byte Folded Spill
	buffer_store_dword v5, off, s[0:3], s32 offset:2176 ; 4-byte Folded Spill
	buffer_store_dword v6, off, s[0:3], s32 offset:2180 ; 4-byte Folded Spill
	buffer_store_dword v7, off, s[0:3], s32 offset:2184 ; 4-byte Folded Spill
	ds_read_b128 v[4:7], v28 offset:112
	s_waitcnt lgkmcnt(0)
	buffer_store_dword v4, off, s[0:3], s32 offset:2188 ; 4-byte Folded Spill
	buffer_store_dword v5, off, s[0:3], s32 offset:2192 ; 4-byte Folded Spill
	buffer_store_dword v6, off, s[0:3], s32 offset:2196 ; 4-byte Folded Spill
	buffer_store_dword v7, off, s[0:3], s32 offset:2200 ; 4-byte Folded Spill
	ds_read_b128 v[4:7], v28 offset:128
	s_waitcnt lgkmcnt(0)
	buffer_store_dword v4, off, s[0:3], s32 offset:2204 ; 4-byte Folded Spill
	buffer_store_dword v5, off, s[0:3], s32 offset:2208 ; 4-byte Folded Spill
	buffer_store_dword v6, off, s[0:3], s32 offset:2212 ; 4-byte Folded Spill
	buffer_store_dword v7, off, s[0:3], s32 offset:2216 ; 4-byte Folded Spill
	ds_read_b128 v[4:7], v28 offset:144
	s_waitcnt lgkmcnt(0)
	buffer_store_dword v4, off, s[0:3], s32 offset:2220 ; 4-byte Folded Spill
	buffer_store_dword v5, off, s[0:3], s32 offset:2224 ; 4-byte Folded Spill
	buffer_store_dword v6, off, s[0:3], s32 offset:2228 ; 4-byte Folded Spill
	buffer_store_dword v7, off, s[0:3], s32 offset:2232 ; 4-byte Folded Spill
	ds_read_b128 v[4:7], v28 offset:160
	s_waitcnt lgkmcnt(0)
	buffer_store_dword v4, off, s[0:3], s32 offset:2236 ; 4-byte Folded Spill
	buffer_store_dword v5, off, s[0:3], s32 offset:2240 ; 4-byte Folded Spill
	buffer_store_dword v6, off, s[0:3], s32 offset:2244 ; 4-byte Folded Spill
	buffer_store_dword v7, off, s[0:3], s32 offset:2248 ; 4-byte Folded Spill
	ds_read_b128 v[4:7], v28 offset:176
	s_waitcnt lgkmcnt(0)
	buffer_store_dword v4, off, s[0:3], s32 offset:2252 ; 4-byte Folded Spill
	buffer_store_dword v5, off, s[0:3], s32 offset:2256 ; 4-byte Folded Spill
	buffer_store_dword v6, off, s[0:3], s32 offset:2260 ; 4-byte Folded Spill
	buffer_store_dword v7, off, s[0:3], s32 offset:2264 ; 4-byte Folded Spill
	ds_read_b128 v[4:7], v28 offset:192
	s_waitcnt lgkmcnt(0)
	buffer_store_dword v4, off, s[0:3], s32 offset:2268 ; 4-byte Folded Spill
	buffer_store_dword v5, off, s[0:3], s32 offset:2272 ; 4-byte Folded Spill
	buffer_store_dword v6, off, s[0:3], s32 offset:2276 ; 4-byte Folded Spill
	buffer_store_dword v7, off, s[0:3], s32 offset:2280 ; 4-byte Folded Spill
	ds_read_b128 v[4:7], v28 offset:208
	s_waitcnt lgkmcnt(0)
	buffer_store_dword v4, off, s[0:3], s32 offset:2284 ; 4-byte Folded Spill
	buffer_store_dword v5, off, s[0:3], s32 offset:2288 ; 4-byte Folded Spill
	buffer_store_dword v6, off, s[0:3], s32 offset:2292 ; 4-byte Folded Spill
	buffer_store_dword v7, off, s[0:3], s32 offset:2296 ; 4-byte Folded Spill
	ds_read_b128 v[4:7], v28 offset:224
	s_waitcnt lgkmcnt(0)
	buffer_store_dword v4, off, s[0:3], s32 offset:2300 ; 4-byte Folded Spill
	buffer_store_dword v5, off, s[0:3], s32 offset:2304 ; 4-byte Folded Spill
	buffer_store_dword v6, off, s[0:3], s32 offset:2308 ; 4-byte Folded Spill
	buffer_store_dword v7, off, s[0:3], s32 offset:2312 ; 4-byte Folded Spill
	ds_read_b128 v[4:7], v28 offset:240
	s_waitcnt lgkmcnt(0)
	buffer_store_dword v4, off, s[0:3], s32 offset:2316 ; 4-byte Folded Spill
	buffer_store_dword v5, off, s[0:3], s32 offset:2320 ; 4-byte Folded Spill
	buffer_store_dword v6, off, s[0:3], s32 offset:2324 ; 4-byte Folded Spill
	buffer_store_dword v7, off, s[0:3], s32 offset:2328 ; 4-byte Folded Spill
	ds_read_b128 v[4:7], v28 offset:256
	s_waitcnt lgkmcnt(0)
	buffer_store_dword v4, off, s[0:3], s32 offset:2332 ; 4-byte Folded Spill
	buffer_store_dword v5, off, s[0:3], s32 offset:2336 ; 4-byte Folded Spill
	buffer_store_dword v6, off, s[0:3], s32 offset:2340 ; 4-byte Folded Spill
	buffer_store_dword v7, off, s[0:3], s32 offset:2344 ; 4-byte Folded Spill
	ds_read_b128 v[4:7], v28 offset:272
	s_waitcnt lgkmcnt(0)
	buffer_store_dword v4, off, s[0:3], s32 offset:2348 ; 4-byte Folded Spill
	buffer_store_dword v5, off, s[0:3], s32 offset:2352 ; 4-byte Folded Spill
	buffer_store_dword v6, off, s[0:3], s32 offset:2356 ; 4-byte Folded Spill
	buffer_store_dword v7, off, s[0:3], s32 offset:2360 ; 4-byte Folded Spill
	ds_read_b128 v[4:7], v28 offset:288
	s_waitcnt lgkmcnt(0)
	buffer_store_dword v4, off, s[0:3], s32 offset:2364 ; 4-byte Folded Spill
	buffer_store_dword v5, off, s[0:3], s32 offset:2368 ; 4-byte Folded Spill
	buffer_store_dword v6, off, s[0:3], s32 offset:2372 ; 4-byte Folded Spill
	buffer_store_dword v7, off, s[0:3], s32 offset:2376 ; 4-byte Folded Spill
	ds_read_b128 v[4:7], v28 offset:304
	s_waitcnt lgkmcnt(0)
	buffer_store_dword v4, off, s[0:3], s32 offset:2380 ; 4-byte Folded Spill
	buffer_store_dword v5, off, s[0:3], s32 offset:2384 ; 4-byte Folded Spill
	buffer_store_dword v6, off, s[0:3], s32 offset:2388 ; 4-byte Folded Spill
	buffer_store_dword v7, off, s[0:3], s32 offset:2392 ; 4-byte Folded Spill
	ds_read_b128 v[4:7], v28 offset:320
	s_waitcnt lgkmcnt(0)
	buffer_store_dword v4, off, s[0:3], s32 offset:2396 ; 4-byte Folded Spill
	buffer_store_dword v5, off, s[0:3], s32 offset:2400 ; 4-byte Folded Spill
	buffer_store_dword v6, off, s[0:3], s32 offset:2404 ; 4-byte Folded Spill
	buffer_store_dword v7, off, s[0:3], s32 offset:2408 ; 4-byte Folded Spill
	ds_read_b128 v[4:7], v28 offset:336
	s_waitcnt lgkmcnt(0)
	buffer_store_dword v4, off, s[0:3], s32 offset:2412 ; 4-byte Folded Spill
	buffer_store_dword v5, off, s[0:3], s32 offset:2416 ; 4-byte Folded Spill
	buffer_store_dword v6, off, s[0:3], s32 offset:2420 ; 4-byte Folded Spill
	buffer_store_dword v7, off, s[0:3], s32 offset:2424 ; 4-byte Folded Spill
	ds_read_b128 v[4:7], v28 offset:352
	s_waitcnt lgkmcnt(0)
	buffer_store_dword v4, off, s[0:3], s32 offset:2428 ; 4-byte Folded Spill
	buffer_store_dword v5, off, s[0:3], s32 offset:2432 ; 4-byte Folded Spill
	buffer_store_dword v6, off, s[0:3], s32 offset:2436 ; 4-byte Folded Spill
	buffer_store_dword v7, off, s[0:3], s32 offset:2440 ; 4-byte Folded Spill
	ds_read_b128 v[4:7], v28 offset:368
	s_waitcnt lgkmcnt(0)
	buffer_store_dword v4, off, s[0:3], s32 offset:2444 ; 4-byte Folded Spill
	buffer_store_dword v5, off, s[0:3], s32 offset:2448 ; 4-byte Folded Spill
	buffer_store_dword v6, off, s[0:3], s32 offset:2452 ; 4-byte Folded Spill
	buffer_store_dword v7, off, s[0:3], s32 offset:2456 ; 4-byte Folded Spill
	ds_read_b128 v[4:7], v28 offset:384
	s_waitcnt lgkmcnt(0)
	buffer_store_dword v4, off, s[0:3], s32 offset:2460 ; 4-byte Folded Spill
	buffer_store_dword v5, off, s[0:3], s32 offset:2464 ; 4-byte Folded Spill
	buffer_store_dword v6, off, s[0:3], s32 offset:2468 ; 4-byte Folded Spill
	buffer_store_dword v7, off, s[0:3], s32 offset:2472 ; 4-byte Folded Spill
	ds_read_b128 v[4:7], v28 offset:400
	buffer_load_dword v0, off, s[0:3], s32 offset:2064 ; 4-byte Folded Reload
	s_waitcnt lgkmcnt(0)
	buffer_store_dword v4, off, s[0:3], s32 offset:2476 ; 4-byte Folded Spill
	buffer_store_dword v5, off, s[0:3], s32 offset:2480 ; 4-byte Folded Spill
	buffer_store_dword v6, off, s[0:3], s32 offset:2484 ; 4-byte Folded Spill
	buffer_store_dword v7, off, s[0:3], s32 offset:2488 ; 4-byte Folded Spill
	ds_read_b128 v[4:7], v28 offset:416
	s_waitcnt lgkmcnt(0)
	buffer_store_dword v4, off, s[0:3], s32 offset:2492 ; 4-byte Folded Spill
	buffer_store_dword v5, off, s[0:3], s32 offset:2496 ; 4-byte Folded Spill
	buffer_store_dword v6, off, s[0:3], s32 offset:2500 ; 4-byte Folded Spill
	buffer_store_dword v7, off, s[0:3], s32 offset:2504 ; 4-byte Folded Spill
	ds_read_b128 v[4:7], v28 offset:432
	;; [unrolled: 6-line block ×16, first 2 shown]
	s_waitcnt vmcnt(0)
	v_cmp_neq_f32_e32 vcc_lo, 0, v0
	s_waitcnt lgkmcnt(0)
	buffer_store_dword v4, off, s[0:3], s32 offset:2732 ; 4-byte Folded Spill
	buffer_store_dword v5, off, s[0:3], s32 offset:2736 ; 4-byte Folded Spill
	buffer_store_dword v6, off, s[0:3], s32 offset:2740 ; 4-byte Folded Spill
	buffer_store_dword v7, off, s[0:3], s32 offset:2744 ; 4-byte Folded Spill
	ds_read_b128 v[4:7], v28 offset:672
	s_waitcnt lgkmcnt(0)
	buffer_store_dword v4, off, s[0:3], s32 offset:2748 ; 4-byte Folded Spill
	buffer_store_dword v5, off, s[0:3], s32 offset:2752 ; 4-byte Folded Spill
	buffer_store_dword v6, off, s[0:3], s32 offset:2756 ; 4-byte Folded Spill
	buffer_store_dword v7, off, s[0:3], s32 offset:2760 ; 4-byte Folded Spill
	ds_read_b128 v[4:7], v28 offset:688
	s_waitcnt lgkmcnt(0)
	buffer_store_dword v4, off, s[0:3], s32 offset:2764 ; 4-byte Folded Spill
	buffer_store_dword v5, off, s[0:3], s32 offset:2768 ; 4-byte Folded Spill
	buffer_store_dword v6, off, s[0:3], s32 offset:2772 ; 4-byte Folded Spill
	buffer_store_dword v7, off, s[0:3], s32 offset:2776 ; 4-byte Folded Spill
	ds_read_b128 v[4:7], v28 offset:704
	s_waitcnt lgkmcnt(0)
	buffer_store_dword v4, off, s[0:3], s32 offset:2780 ; 4-byte Folded Spill
	buffer_store_dword v5, off, s[0:3], s32 offset:2784 ; 4-byte Folded Spill
	buffer_store_dword v6, off, s[0:3], s32 offset:2788 ; 4-byte Folded Spill
	buffer_store_dword v7, off, s[0:3], s32 offset:2792 ; 4-byte Folded Spill
	ds_read_b128 v[4:7], v28 offset:720
	s_waitcnt lgkmcnt(0)
	buffer_store_dword v4, off, s[0:3], s32 offset:2796 ; 4-byte Folded Spill
	buffer_store_dword v5, off, s[0:3], s32 offset:2800 ; 4-byte Folded Spill
	buffer_store_dword v6, off, s[0:3], s32 offset:2804 ; 4-byte Folded Spill
	buffer_store_dword v7, off, s[0:3], s32 offset:2808 ; 4-byte Folded Spill
	ds_read_b128 v[4:7], v28 offset:736
	s_waitcnt lgkmcnt(0)
	buffer_store_dword v4, off, s[0:3], s32 offset:2812 ; 4-byte Folded Spill
	buffer_store_dword v5, off, s[0:3], s32 offset:2816 ; 4-byte Folded Spill
	buffer_store_dword v6, off, s[0:3], s32 offset:2820 ; 4-byte Folded Spill
	buffer_store_dword v7, off, s[0:3], s32 offset:2824 ; 4-byte Folded Spill
	ds_read_b128 v[4:7], v28 offset:752
	s_waitcnt lgkmcnt(0)
	buffer_store_dword v4, off, s[0:3], s32 offset:2828 ; 4-byte Folded Spill
	buffer_store_dword v5, off, s[0:3], s32 offset:2832 ; 4-byte Folded Spill
	buffer_store_dword v6, off, s[0:3], s32 offset:2836 ; 4-byte Folded Spill
	buffer_store_dword v7, off, s[0:3], s32 offset:2840 ; 4-byte Folded Spill
	ds_read_b128 v[4:7], v28 offset:768
	s_waitcnt lgkmcnt(0)
	buffer_store_dword v4, off, s[0:3], s32 offset:2844 ; 4-byte Folded Spill
	buffer_store_dword v5, off, s[0:3], s32 offset:2848 ; 4-byte Folded Spill
	buffer_store_dword v6, off, s[0:3], s32 offset:2852 ; 4-byte Folded Spill
	buffer_store_dword v7, off, s[0:3], s32 offset:2856 ; 4-byte Folded Spill
	ds_read_b128 v[4:7], v28 offset:784
	s_waitcnt lgkmcnt(0)
	buffer_store_dword v4, off, s[0:3], s32 offset:2860 ; 4-byte Folded Spill
	buffer_store_dword v5, off, s[0:3], s32 offset:2864 ; 4-byte Folded Spill
	buffer_store_dword v6, off, s[0:3], s32 offset:2868 ; 4-byte Folded Spill
	buffer_store_dword v7, off, s[0:3], s32 offset:2872 ; 4-byte Folded Spill
	ds_read_b128 v[4:7], v28 offset:800
	s_waitcnt lgkmcnt(0)
	buffer_store_dword v4, off, s[0:3], s32 offset:2876 ; 4-byte Folded Spill
	buffer_store_dword v5, off, s[0:3], s32 offset:2880 ; 4-byte Folded Spill
	buffer_store_dword v6, off, s[0:3], s32 offset:2884 ; 4-byte Folded Spill
	buffer_store_dword v7, off, s[0:3], s32 offset:2888 ; 4-byte Folded Spill
	ds_read_b128 v[4:7], v28 offset:816
	s_waitcnt lgkmcnt(0)
	buffer_store_dword v4, off, s[0:3], s32 offset:2892 ; 4-byte Folded Spill
	buffer_store_dword v5, off, s[0:3], s32 offset:2896 ; 4-byte Folded Spill
	buffer_store_dword v6, off, s[0:3], s32 offset:2900 ; 4-byte Folded Spill
	buffer_store_dword v7, off, s[0:3], s32 offset:2904 ; 4-byte Folded Spill
	ds_read_b128 v[4:7], v28 offset:832
	s_waitcnt lgkmcnt(0)
	buffer_store_dword v4, off, s[0:3], s32 offset:2908 ; 4-byte Folded Spill
	buffer_store_dword v5, off, s[0:3], s32 offset:2912 ; 4-byte Folded Spill
	buffer_store_dword v6, off, s[0:3], s32 offset:2916 ; 4-byte Folded Spill
	buffer_store_dword v7, off, s[0:3], s32 offset:2920 ; 4-byte Folded Spill
	ds_read_b128 v[4:7], v28 offset:848
	s_waitcnt lgkmcnt(0)
	buffer_store_dword v4, off, s[0:3], s32 offset:2924 ; 4-byte Folded Spill
	buffer_store_dword v5, off, s[0:3], s32 offset:2928 ; 4-byte Folded Spill
	buffer_store_dword v6, off, s[0:3], s32 offset:2932 ; 4-byte Folded Spill
	buffer_store_dword v7, off, s[0:3], s32 offset:2936 ; 4-byte Folded Spill
	ds_read_b128 v[4:7], v28 offset:864
	s_waitcnt lgkmcnt(0)
	buffer_store_dword v4, off, s[0:3], s32 offset:2940 ; 4-byte Folded Spill
	buffer_store_dword v5, off, s[0:3], s32 offset:2944 ; 4-byte Folded Spill
	buffer_store_dword v6, off, s[0:3], s32 offset:2948 ; 4-byte Folded Spill
	buffer_store_dword v7, off, s[0:3], s32 offset:2952 ; 4-byte Folded Spill
	ds_read_b128 v[4:7], v28 offset:880
	s_waitcnt lgkmcnt(0)
	buffer_store_dword v4, off, s[0:3], s32 offset:2956 ; 4-byte Folded Spill
	buffer_store_dword v5, off, s[0:3], s32 offset:2960 ; 4-byte Folded Spill
	buffer_store_dword v6, off, s[0:3], s32 offset:2964 ; 4-byte Folded Spill
	buffer_store_dword v7, off, s[0:3], s32 offset:2968 ; 4-byte Folded Spill
	ds_read_b128 v[4:7], v28 offset:896
	s_waitcnt lgkmcnt(0)
	buffer_store_dword v4, off, s[0:3], s32 offset:2972 ; 4-byte Folded Spill
	buffer_store_dword v5, off, s[0:3], s32 offset:2976 ; 4-byte Folded Spill
	buffer_store_dword v6, off, s[0:3], s32 offset:2980 ; 4-byte Folded Spill
	buffer_store_dword v7, off, s[0:3], s32 offset:2984 ; 4-byte Folded Spill
	ds_read_b128 v[4:7], v28 offset:912
	s_waitcnt lgkmcnt(0)
	buffer_store_dword v4, off, s[0:3], s32 offset:2988 ; 4-byte Folded Spill
	buffer_store_dword v5, off, s[0:3], s32 offset:2992 ; 4-byte Folded Spill
	buffer_store_dword v6, off, s[0:3], s32 offset:2996 ; 4-byte Folded Spill
	buffer_store_dword v7, off, s[0:3], s32 offset:3000 ; 4-byte Folded Spill
	ds_read_b128 v[4:7], v28 offset:928
	s_waitcnt lgkmcnt(0)
	buffer_store_dword v4, off, s[0:3], s32 offset:3004 ; 4-byte Folded Spill
	buffer_store_dword v5, off, s[0:3], s32 offset:3008 ; 4-byte Folded Spill
	buffer_store_dword v6, off, s[0:3], s32 offset:3012 ; 4-byte Folded Spill
	buffer_store_dword v7, off, s[0:3], s32 offset:3016 ; 4-byte Folded Spill
	ds_read_b128 v[4:7], v28 offset:944
	s_waitcnt lgkmcnt(0)
	buffer_store_dword v4, off, s[0:3], s32 offset:3020 ; 4-byte Folded Spill
	buffer_store_dword v5, off, s[0:3], s32 offset:3024 ; 4-byte Folded Spill
	buffer_store_dword v6, off, s[0:3], s32 offset:3028 ; 4-byte Folded Spill
	buffer_store_dword v7, off, s[0:3], s32 offset:3032 ; 4-byte Folded Spill
	ds_read_b128 v[4:7], v28 offset:960
	s_waitcnt lgkmcnt(0)
	buffer_store_dword v4, off, s[0:3], s32 offset:3036 ; 4-byte Folded Spill
	buffer_store_dword v5, off, s[0:3], s32 offset:3040 ; 4-byte Folded Spill
	buffer_store_dword v6, off, s[0:3], s32 offset:3044 ; 4-byte Folded Spill
	buffer_store_dword v7, off, s[0:3], s32 offset:3048 ; 4-byte Folded Spill
	ds_read_b128 v[4:7], v28 offset:976
	s_waitcnt lgkmcnt(0)
	buffer_store_dword v4, off, s[0:3], s32 offset:3052 ; 4-byte Folded Spill
	buffer_store_dword v5, off, s[0:3], s32 offset:3056 ; 4-byte Folded Spill
	buffer_store_dword v6, off, s[0:3], s32 offset:3060 ; 4-byte Folded Spill
	buffer_store_dword v7, off, s[0:3], s32 offset:3064 ; 4-byte Folded Spill
	ds_read_b128 v[4:7], v28 offset:992
	s_waitcnt lgkmcnt(0)
	buffer_store_dword v4, off, s[0:3], s32 offset:3068 ; 4-byte Folded Spill
	buffer_store_dword v5, off, s[0:3], s32 offset:3072 ; 4-byte Folded Spill
	buffer_store_dword v6, off, s[0:3], s32 offset:3076 ; 4-byte Folded Spill
	buffer_store_dword v7, off, s[0:3], s32 offset:3080 ; 4-byte Folded Spill
	ds_read_b128 v[4:7], v28 offset:1008
	s_waitcnt lgkmcnt(0)
	buffer_store_dword v4, off, s[0:3], s32 offset:3084 ; 4-byte Folded Spill
	buffer_store_dword v5, off, s[0:3], s32 offset:3088 ; 4-byte Folded Spill
	;; [unrolled: 1-line block ×4, first 2 shown]
	s_load_dword s6, s[6:7], 0x0
	s_clause 0x1
	buffer_load_dword v4, off, s[0:3], s32 offset:192
	buffer_load_dword v5, off, s[0:3], s32 offset:196
	s_waitcnt vmcnt(1)
	v_mov_b32_e32 v98, v4
	s_waitcnt vmcnt(0)
	v_lshlrev_b64 v[0:1], 2, v[4:5]
	s_clause 0x1
	buffer_load_dword v5, off, s[0:3], s32 offset:3124
	buffer_load_dword v6, off, s[0:3], s32 offset:3128
	buffer_store_dword v14, off, s[0:3], s32 offset:3148 ; 4-byte Folded Spill
	buffer_store_dword v15, off, s[0:3], s32 offset:3144 ; 4-byte Folded Spill
	;; [unrolled: 1-line block ×3, first 2 shown]
	s_waitcnt vmcnt(1)
	v_add_co_u32 v0, s5, v5, v0
	s_waitcnt vmcnt(0)
	v_add_co_ci_u32_e64 v1, null, v6, v1, s5
	v_add_co_u32 v5, s5, v14, v0
	buffer_load_dword v0, off, s[0:3], s32 offset:3120 ; 4-byte Folded Reload
	v_add_co_ci_u32_e64 v6, null, v15, v1, s5
	s_waitcnt vmcnt(0)
	v_add3_u32 v7, s21, v0, v3
	buffer_load_dword v0, off, s[0:3], s32 offset:3108 ; 4-byte Folded Reload
	s_waitcnt vmcnt(0)
	v_lshl_or_b32 v0, v0, 7, v12
	s_waitcnt lgkmcnt(0)
	v_add_nc_u32_e32 v100, s6, v0
	s_branch .LBB259_11
.LBB259_7:                              ;   in Loop: Header=BB259_11 Depth=1
	s_or_b32 exec_lo, exec_lo, s22
	v_mov_b32_e32 v4, 24
	v_lshlrev_b32_e32 v16, 20, v16
	v_lshl_add_u32 v9, v9, 23, 0x3c000000
	v_lshlrev_b32_sdwa v8, v4, v8 dst_sel:DWORD dst_unused:UNUSED_PAD src0_sel:DWORD src1_sel:BYTE_3
	v_and_b32_e32 v8, 0x80000000, v8
	v_or3_b32 v17, v16, v8, v9
	v_mov_b32_e32 v16, v28
.LBB259_8:                              ;   in Loop: Header=BB259_11 Depth=1
	s_or_b32 exec_lo, exec_lo, s19
.LBB259_9:                              ;   in Loop: Header=BB259_11 Depth=1
	s_or_b32 exec_lo, exec_lo, s7
	v_mov_b32_e32 v100, v44
	v_mov_b32_e32 v98, v101
.LBB259_10:                             ;   in Loop: Header=BB259_11 Depth=1
	s_or_b32 exec_lo, exec_lo, s6
	v_or_b32_e32 v2, v12, v2
	v_or_b32_e32 v3, v13, v3
	;; [unrolled: 1-line block ×5, first 2 shown]
	v_mul_f32_e32 v2, v41, v2
	v_mul_f32_e32 v3, v41, v3
	;; [unrolled: 1-line block ×3, first 2 shown]
	v_or_b32_e32 v9, v78, v82
	v_mul_f32_e32 v4, v41, v8
	buffer_store_dword v2, off, s[0:3], s32 offset:1912 ; 4-byte Folded Spill
	v_or_b32_e32 v2, v109, v95
	buffer_store_dword v3, off, s[0:3], s32 offset:1904 ; 4-byte Folded Spill
	v_or_b32_e32 v3, v108, v94
	v_mul_f32_e32 v1, v41, v1
	buffer_store_dword v0, off, s[0:3], s32 offset:1976 ; 4-byte Folded Spill
	v_mul_f32_e32 v2, v41, v2
	v_or_b32_e32 v0, v21, v125
	buffer_store_dword v4, off, s[0:3], s32 offset:1832 ; 4-byte Folded Spill
	v_mul_f32_e32 v4, v41, v9
	v_or_b32_e32 v8, v15, v61
	;; [unrolled: 3-line block ×3, first 2 shown]
	buffer_store_dword v1, off, s[0:3], s32 offset:1968 ; 4-byte Folded Spill
	v_or_b32_e32 v1, v20, v124
	v_mul_f32_e32 v0, v41, v0
	buffer_store_dword v2, off, s[0:3], s32 offset:1924 ; 4-byte Folded Spill
	v_or_b32_e32 v2, v123, v34
	buffer_store_dword v4, off, s[0:3], s32 offset:1840 ; 4-byte Folded Spill
	v_or_b32_e32 v9, v14, v60
	v_mul_f32_e32 v4, v41, v8
	buffer_store_dword v0, off, s[0:3], s32 offset:1980 ; 4-byte Folded Spill
	v_mul_f32_e32 v2, v41, v2
	v_mul_f32_e32 v0, v41, v1
	v_or_b32_e32 v8, v36, v67
	buffer_store_dword v4, off, s[0:3], s32 offset:1836 ; 4-byte Folded Spill
	v_mul_f32_e32 v4, v41, v9
	buffer_store_dword v2, off, s[0:3], s32 offset:1920 ; 4-byte Folded Spill
	v_mul_f32_e32 v2, v41, v3
	buffer_store_dword v0, off, s[0:3], s32 offset:1988 ; 4-byte Folded Spill
	v_or_b32_e32 v0, v107, v91
	buffer_store_dword v4, off, s[0:3], s32 offset:1844 ; 4-byte Folded Spill
	v_or_b32_e32 v9, v35, v66
	buffer_store_dword v2, off, s[0:3], s32 offset:1928 ; 4-byte Folded Spill
	v_or_b32_e32 v2, v53, v19
	v_mul_f32_e32 v4, v41, v8
	v_or_b32_e32 v3, v52, v18
	v_or_b32_e32 v1, v106, v90
	v_mul_f32_e32 v0, v41, v0
	v_mul_f32_e32 v2, v41, v2
	buffer_store_dword v4, off, s[0:3], s32 offset:1848 ; 4-byte Folded Spill
	v_mul_f32_e32 v4, v41, v9
	v_or_b32_e32 v8, v119, v46
	buffer_store_dword v0, off, s[0:3], s32 offset:1984 ; 4-byte Folded Spill
	buffer_store_dword v2, off, s[0:3], s32 offset:1932 ; 4-byte Folded Spill
	v_mul_f32_e32 v2, v41, v3
	v_mul_f32_e32 v0, v41, v1
	buffer_store_dword v4, off, s[0:3], s32 offset:1856 ; 4-byte Folded Spill
	v_or_b32_e32 v9, v118, v45
	v_mul_f32_e32 v4, v41, v8
	buffer_store_dword v2, off, s[0:3], s32 offset:1940 ; 4-byte Folded Spill
	v_or_b32_e32 v2, v93, v40
	buffer_store_dword v0, off, s[0:3], s32 offset:1992 ; 4-byte Folded Spill
	v_or_b32_e32 v0, v23, v115
	buffer_store_dword v4, off, s[0:3], s32 offset:1852 ; 4-byte Folded Spill
	v_mul_f32_e32 v4, v41, v9
	v_or_b32_e32 v8, v87, v51
	v_or_b32_e32 v3, v92, v39
	v_mul_f32_e32 v2, v41, v2
	v_or_b32_e32 v1, v22, v114
	v_mul_f32_e32 v0, v41, v0
	buffer_store_dword v4, off, s[0:3], s32 offset:1860 ; 4-byte Folded Spill
	v_or_b32_e32 v9, v86, v50
	v_mul_f32_e32 v4, v41, v8
	buffer_store_dword v2, off, s[0:3], s32 offset:1936 ; 4-byte Folded Spill
	v_mul_f32_e32 v2, v41, v3
	buffer_store_dword v0, off, s[0:3], s32 offset:1996 ; 4-byte Folded Spill
	;; [unrolled: 2-line block ×3, first 2 shown]
	v_mul_f32_e32 v4, v41, v9
	v_or_b32_e32 v8, v69, v38
	buffer_store_dword v2, off, s[0:3], s32 offset:1944 ; 4-byte Folded Spill
	v_or_b32_e32 v2, v11, v127
	buffer_store_dword v0, off, s[0:3], s32 offset:2004 ; 4-byte Folded Spill
	;; [unrolled: 2-line block ×3, first 2 shown]
	v_or_b32_e32 v9, v68, v37
	v_mul_f32_e32 v4, v41, v8
	v_or_b32_e32 v3, v10, v126
	v_mul_f32_e32 v2, v41, v2
	;; [unrolled: 2-line block ×3, first 2 shown]
	buffer_store_dword v4, off, s[0:3], s32 offset:1868 ; 4-byte Folded Spill
	v_mul_f32_e32 v4, v41, v9
	v_or_b32_e32 v8, v71, v81
	buffer_store_dword v2, off, s[0:3], s32 offset:1948 ; 4-byte Folded Spill
	v_mul_f32_e32 v2, v41, v3
	buffer_store_dword v0, off, s[0:3], s32 offset:2000 ; 4-byte Folded Spill
	v_mul_f32_e32 v0, v41, v1
	buffer_store_dword v4, off, s[0:3], s32 offset:1876 ; 4-byte Folded Spill
	v_or_b32_e32 v9, v70, v80
	v_mul_f32_e32 v4, v41, v8
	buffer_store_dword v2, off, s[0:3], s32 offset:1956 ; 4-byte Folded Spill
	v_or_b32_e32 v2, v113, v121
	buffer_store_dword v0, off, s[0:3], s32 offset:2008 ; 4-byte Folded Spill
	v_or_b32_e32 v0, v75, v65
	buffer_store_dword v4, off, s[0:3], s32 offset:1880 ; 4-byte Folded Spill
	v_mul_f32_e32 v4, v41, v9
	v_or_b32_e32 v8, v63, v49
	v_or_b32_e32 v3, v112, v120
	v_mul_f32_e32 v2, v41, v2
	v_or_b32_e32 v1, v74, v64
	v_mul_f32_e32 v0, v41, v0
	buffer_store_dword v4, off, s[0:3], s32 offset:1888 ; 4-byte Folded Spill
	v_or_b32_e32 v9, v62, v48
	v_mul_f32_e32 v4, v41, v8
	buffer_store_dword v2, off, s[0:3], s32 offset:1952 ; 4-byte Folded Spill
	v_mul_f32_e32 v2, v41, v3
	buffer_store_dword v0, off, s[0:3], s32 offset:2012 ; 4-byte Folded Spill
	;; [unrolled: 2-line block ×3, first 2 shown]
	v_mul_f32_e32 v4, v41, v9
	v_or_b32_e32 v8, v73, v105
	buffer_store_dword v2, off, s[0:3], s32 offset:1960 ; 4-byte Folded Spill
	v_or_b32_e32 v2, v30, v57
	buffer_store_dword v0, off, s[0:3], s32 offset:2020 ; 4-byte Folded Spill
	;; [unrolled: 2-line block ×3, first 2 shown]
	v_or_b32_e32 v9, v72, v104
	v_mul_f32_e32 v4, v41, v8
	v_or_b32_e32 v3, v29, v56
	v_mul_f32_e32 v2, v41, v2
	v_or_b32_e32 v1, v31, v88
	v_mul_f32_e32 v0, v41, v0
	buffer_store_dword v4, off, s[0:3], s32 offset:1896 ; 4-byte Folded Spill
	v_mul_f32_e32 v4, v41, v9
	buffer_store_dword v2, off, s[0:3], s32 offset:1964 ; 4-byte Folded Spill
	v_mul_f32_e32 v2, v41, v3
	;; [unrolled: 2-line block ×3, first 2 shown]
	buffer_store_dword v4, off, s[0:3], s32 offset:1908 ; 4-byte Folded Spill
	v_or_b32_e32 v17, v17, v6
	buffer_store_dword v2, off, s[0:3], s32 offset:1972 ; 4-byte Folded Spill
	v_or_b32_e32 v31, v16, v5
	buffer_store_dword v0, off, s[0:3], s32 offset:2024 ; 4-byte Folded Spill
	s_clause 0x1
	buffer_load_dword v1, off, s[0:3], s32 offset:1800
	buffer_load_dword v2, off, s[0:3], s32 offset:1804
	v_mul_f32_e32 v16, v41, v17
	v_add_nc_u32_e32 v98, 4, v98
	v_mul_f32_e32 v17, v41, v31
	v_mov_b32_e32 v31, v7
	s_waitcnt vmcnt(1)
	v_or_b32_e32 v1, v42, v1
	s_waitcnt vmcnt(0)
	v_or_b32_e32 v0, v43, v2
	v_mul_f32_e32 v0, v41, v0
	buffer_store_dword v0, off, s[0:3], s32 offset:1800 ; 4-byte Folded Spill
	v_mul_f32_e32 v0, v41, v1
	v_or_b32_e32 v1, v96, v24
	buffer_store_dword v0, off, s[0:3], s32 offset:2032 ; 4-byte Folded Spill
	v_or_b32_e32 v0, v97, v25
	v_mul_f32_e32 v0, v41, v0
	buffer_store_dword v0, off, s[0:3], s32 offset:2028 ; 4-byte Folded Spill
	v_mul_f32_e32 v0, v41, v1
	buffer_store_dword v0, off, s[0:3], s32 offset:2036 ; 4-byte Folded Spill
	s_clause 0x3
	buffer_load_dword v1, off, s[0:3], s32 offset:1768
	buffer_load_dword v2, off, s[0:3], s32 offset:1772
	buffer_load_dword v3, off, s[0:3], s32 offset:1776
	buffer_load_dword v4, off, s[0:3], s32 offset:1780
	s_waitcnt vmcnt(1)
	v_or_b32_e32 v1, v3, v1
	s_waitcnt vmcnt(0)
	v_or_b32_e32 v0, v4, v2
	v_mul_f32_e32 v0, v41, v0
	buffer_store_dword v0, off, s[0:3], s32 offset:1768 ; 4-byte Folded Spill
	v_mul_f32_e32 v0, v41, v1
	buffer_store_dword v0, off, s[0:3], s32 offset:2040 ; 4-byte Folded Spill
	s_clause 0x3
	buffer_load_dword v1, off, s[0:3], s32 offset:1784
	buffer_load_dword v2, off, s[0:3], s32 offset:1788
	buffer_load_dword v3, off, s[0:3], s32 offset:1792
	buffer_load_dword v4, off, s[0:3], s32 offset:1796
	s_waitcnt vmcnt(1)
	v_or_b32_e32 v1, v1, v3
	s_waitcnt vmcnt(0)
	;; [unrolled: 13-line block ×46, first 2 shown]
	v_or_b32_e32 v0, v2, v4
	v_mul_f32_e32 v79, v41, v1
	v_mul_f32_e32 v0, v41, v0
	buffer_store_dword v0, off, s[0:3], s32 offset:1072 ; 4-byte Folded Spill
	s_clause 0x3
	buffer_load_dword v1, off, s[0:3], s32 offset:1032
	buffer_load_dword v2, off, s[0:3], s32 offset:1036
	;; [unrolled: 1-line block ×4, first 2 shown]
	s_waitcnt vmcnt(1)
	v_or_b32_e32 v1, v3, v1
	s_waitcnt vmcnt(0)
	v_or_b32_e32 v0, v4, v2
	v_mul_f32_e32 v62, v41, v1
	s_clause 0x3
	buffer_load_dword v1, off, s[0:3], s32 offset:1048
	buffer_load_dword v2, off, s[0:3], s32 offset:1052
	buffer_load_dword v3, off, s[0:3], s32 offset:1056
	buffer_load_dword v4, off, s[0:3], s32 offset:1060
	v_mul_f32_e32 v78, v41, v0
	s_waitcnt vmcnt(1)
	v_or_b32_e32 v1, v1, v3
	s_waitcnt vmcnt(0)
	v_or_b32_e32 v0, v2, v4
	v_mul_f32_e32 v61, v41, v1
	s_clause 0x3
	buffer_load_dword v1, off, s[0:3], s32 offset:1000
	buffer_load_dword v2, off, s[0:3], s32 offset:1004
	buffer_load_dword v3, off, s[0:3], s32 offset:1008
	buffer_load_dword v4, off, s[0:3], s32 offset:1012
	v_mul_f32_e32 v63, v41, v0
	;; [unrolled: 11-line block ×6, first 2 shown]
	s_waitcnt vmcnt(1)
	v_or_b32_e32 v1, v3, v1
	s_waitcnt vmcnt(0)
	v_or_b32_e32 v0, v4, v2
	v_mul_f32_e32 v71, v41, v1
	v_mul_f32_e32 v0, v41, v0
	buffer_store_dword v0, off, s[0:3], s32 offset:936 ; 4-byte Folded Spill
	s_clause 0x3
	buffer_load_dword v1, off, s[0:3], s32 offset:952
	buffer_load_dword v2, off, s[0:3], s32 offset:956
	;; [unrolled: 1-line block ×4, first 2 shown]
	s_waitcnt vmcnt(1)
	v_or_b32_e32 v1, v1, v3
	s_waitcnt vmcnt(0)
	v_or_b32_e32 v0, v2, v4
	v_mul_f32_e32 v82, v41, v1
	s_clause 0x3
	buffer_load_dword v1, off, s[0:3], s32 offset:904
	buffer_load_dword v2, off, s[0:3], s32 offset:908
	buffer_load_dword v3, off, s[0:3], s32 offset:912
	buffer_load_dword v4, off, s[0:3], s32 offset:916
	v_mul_f32_e32 v81, v41, v0
	s_waitcnt vmcnt(1)
	v_or_b32_e32 v1, v3, v1
	s_waitcnt vmcnt(0)
	v_or_b32_e32 v0, v4, v2
	v_mul_f32_e32 v68, v41, v1
	s_clause 0x3
	buffer_load_dword v1, off, s[0:3], s32 offset:920
	buffer_load_dword v2, off, s[0:3], s32 offset:924
	buffer_load_dword v3, off, s[0:3], s32 offset:928
	buffer_load_dword v4, off, s[0:3], s32 offset:932
	v_mul_f32_e32 v69, v41, v0
	;; [unrolled: 11-line block ×5, first 2 shown]
	s_waitcnt vmcnt(1)
	v_or_b32_e32 v1, v3, v1
	s_waitcnt vmcnt(0)
	v_or_b32_e32 v0, v4, v2
	v_mul_f32_e32 v48, v41, v0
	v_mul_f32_e32 v0, v41, v1
	buffer_store_dword v0, off, s[0:3], s32 offset:840 ; 4-byte Folded Spill
	s_clause 0x3
	buffer_load_dword v1, off, s[0:3], s32 offset:856
	buffer_load_dword v2, off, s[0:3], s32 offset:860
	buffer_load_dword v3, off, s[0:3], s32 offset:864
	buffer_load_dword v4, off, s[0:3], s32 offset:868
	s_waitcnt vmcnt(1)
	v_or_b32_e32 v1, v1, v3
	s_waitcnt vmcnt(0)
	v_or_b32_e32 v0, v2, v4
	v_mul_f32_e32 v37, v41, v1
	s_clause 0x3
	buffer_load_dword v1, off, s[0:3], s32 offset:808
	buffer_load_dword v2, off, s[0:3], s32 offset:812
	;; [unrolled: 1-line block ×4, first 2 shown]
	v_mul_f32_e32 v49, v41, v0
	s_waitcnt vmcnt(1)
	v_or_b32_e32 v1, v3, v1
	s_waitcnt vmcnt(0)
	v_or_b32_e32 v0, v4, v2
	v_mul_f32_e32 v36, v41, v1
	s_clause 0x3
	buffer_load_dword v1, off, s[0:3], s32 offset:824
	buffer_load_dword v2, off, s[0:3], s32 offset:828
	;; [unrolled: 1-line block ×4, first 2 shown]
	v_mul_f32_e32 v73, v41, v0
	s_waitcnt vmcnt(0)
	v_or_b32_e32 v0, v2, v4
	v_or_b32_e32 v2, v1, v3
	v_mul_f32_e32 v38, v41, v0
	v_mul_f32_e32 v35, v41, v2
	s_clause 0x3
	buffer_load_dword v1, off, s[0:3], s32 offset:776
	buffer_load_dword v2, off, s[0:3], s32 offset:780
	;; [unrolled: 1-line block ×4, first 2 shown]
	s_waitcnt vmcnt(0)
	v_or_b32_e32 v0, v4, v2
	v_or_b32_e32 v4, v3, v1
	v_mul_f32_e32 v65, v41, v0
	v_mul_f32_e32 v0, v41, v4
	buffer_store_dword v0, off, s[0:3], s32 offset:776 ; 4-byte Folded Spill
	s_clause 0x3
	buffer_load_dword v1, off, s[0:3], s32 offset:792
	buffer_load_dword v2, off, s[0:3], s32 offset:796
	buffer_load_dword v3, off, s[0:3], s32 offset:800
	buffer_load_dword v4, off, s[0:3], s32 offset:804
	s_waitcnt vmcnt(0)
	v_or_b32_e32 v0, v2, v4
	v_or_b32_e32 v4, v1, v3
	v_mul_f32_e32 v77, v41, v0
	v_mul_f32_e32 v15, v41, v4
	s_clause 0x3
	buffer_load_dword v1, off, s[0:3], s32 offset:744
	buffer_load_dword v2, off, s[0:3], s32 offset:748
	buffer_load_dword v3, off, s[0:3], s32 offset:752
	buffer_load_dword v4, off, s[0:3], s32 offset:756
	s_waitcnt vmcnt(0)
	v_or_b32_e32 v0, v4, v2
	v_or_b32_e32 v4, v3, v1
	v_mul_f32_e32 v27, v41, v0
	v_mul_f32_e32 v121, v41, v4
	;; [unrolled: 10-line block ×17, first 2 shown]
	s_clause 0x3
	buffer_load_dword v1, off, s[0:3], s32 offset:488
	buffer_load_dword v2, off, s[0:3], s32 offset:492
	;; [unrolled: 1-line block ×4, first 2 shown]
	s_waitcnt vmcnt(1)
	v_or_b32_e32 v8, v3, v1
	s_waitcnt vmcnt(0)
	v_or_b32_e32 v0, v4, v2
	s_clause 0x3
	buffer_load_dword v1, off, s[0:3], s32 offset:504
	buffer_load_dword v2, off, s[0:3], s32 offset:508
	buffer_load_dword v3, off, s[0:3], s32 offset:512
	buffer_load_dword v4, off, s[0:3], s32 offset:516
	v_mul_f32_e32 v21, v41, v8
	v_mul_f32_e32 v10, v41, v0
	s_waitcnt vmcnt(1)
	v_or_b32_e32 v8, v1, v3
	s_waitcnt vmcnt(0)
	v_or_b32_e32 v0, v2, v4
	s_clause 0x3
	buffer_load_dword v1, off, s[0:3], s32 offset:456
	buffer_load_dword v2, off, s[0:3], s32 offset:460
	buffer_load_dword v3, off, s[0:3], s32 offset:464
	buffer_load_dword v4, off, s[0:3], s32 offset:468
	v_mul_f32_e32 v94, v41, v8
	v_mul_f32_e32 v20, v41, v0
	;; [unrolled: 11-line block ×17, first 2 shown]
	s_waitcnt vmcnt(1)
	v_or_b32_e32 v1, v1, v3
	s_waitcnt vmcnt(0)
	v_or_b32_e32 v0, v2, v4
	v_mul_f32_e32 v32, v41, v1
	s_clause 0x3
	buffer_load_dword v1, off, s[0:3], s32 offset:200
	buffer_load_dword v2, off, s[0:3], s32 offset:204
	;; [unrolled: 1-line block ×4, first 2 shown]
	v_mul_f32_e32 v72, v41, v0
	s_waitcnt vmcnt(1)
	v_or_b32_e32 v64, v3, v1
	s_waitcnt vmcnt(0)
	v_or_b32_e32 v0, v4, v2
	s_clause 0x5
	buffer_load_dword v1, off, s[0:3], s32 offset:216
	buffer_load_dword v2, off, s[0:3], s32 offset:220
	;; [unrolled: 1-line block ×6, first 2 shown]
	v_mul_f32_e32 v64, v41, v64
	v_mul_f32_e32 v101, v41, v0
	s_waitcnt vmcnt(3)
	v_or_b32_e32 v12, v1, v3
	s_waitcnt vmcnt(2)
	v_or_b32_e32 v0, v2, v4
	s_waitcnt vmcnt(1)
	v_cmp_lt_i32_e64 s5, v7, v55
	v_mul_f32_e32 v12, v41, v12
	v_mul_f32_e32 v13, v41, v0
	v_sub_nc_u32_e32 v0, 1, v55
	v_add_nc_u32_e32 v0, v0, v7
	v_cvt_f32_i32_e32 v0, v0
	s_waitcnt vmcnt(0)
	v_mul_f32_e32 v0, v54, v0
	v_cndmask_b32_e32 v96, 0, v0, vcc_lo
	s_clause 0x5
	buffer_load_dword v0, off, s[0:3], s32 offset:2044
	buffer_load_dword v1, off, s[0:3], s32 offset:2048
	;; [unrolled: 1-line block ×6, first 2 shown]
	s_waitcnt vmcnt(2)
	v_mul_f32_e32 v55, v5, v76
	v_or_b32_e32 v103, v103, v1
	v_or_b32_e32 v54, v102, v0
	s_clause 0x3
	buffer_load_dword v0, off, s[0:3], s32 offset:2076
	buffer_load_dword v1, off, s[0:3], s32 offset:2080
	;; [unrolled: 1-line block ×4, first 2 shown]
	s_waitcnt vmcnt(4)
	v_mul_f32_e32 v76, v7, v72
	v_mov_b32_e32 v7, v31
	v_mul_f32_e32 v102, v41, v103
	v_mul_f32_e32 v103, v41, v54
	;; [unrolled: 1-line block ×4, first 2 shown]
	v_add_nc_u32_e32 v7, 0x80, v7
	s_waitcnt vmcnt(3)
	v_fmac_f32_e32 v54, v0, v64
	s_waitcnt vmcnt(2)
	v_fmac_f32_e32 v55, v1, v101
	s_waitcnt vmcnt(1)
	v_fmac_f32_e32 v41, v2, v12
	s_waitcnt vmcnt(0)
	v_fmac_f32_e32 v76, v3, v13
	s_clause 0x3
	buffer_load_dword v0, off, s[0:3], s32 offset:2108
	buffer_load_dword v1, off, s[0:3], s32 offset:2112
	buffer_load_dword v2, off, s[0:3], s32 offset:2116
	buffer_load_dword v3, off, s[0:3], s32 offset:2120
	s_waitcnt vmcnt(3)
	v_fmac_f32_e32 v54, v0, v105
	s_waitcnt vmcnt(2)
	v_fmac_f32_e32 v55, v1, v84
	s_waitcnt vmcnt(1)
	v_fmac_f32_e32 v41, v2, v85
	s_waitcnt vmcnt(0)
	v_fmac_f32_e32 v76, v3, v126
	s_clause 0x3
	buffer_load_dword v0, off, s[0:3], s32 offset:2124
	buffer_load_dword v1, off, s[0:3], s32 offset:2128
	buffer_load_dword v2, off, s[0:3], s32 offset:2132
	buffer_load_dword v3, off, s[0:3], s32 offset:2136
	;; [unrolled: 13-line block ×17, first 2 shown]
	buffer_load_dword v4, off, s[0:3], s32 offset:776
	s_waitcnt vmcnt(3)
	v_fmac_f32_e32 v55, v1, v65
	s_waitcnt vmcnt(2)
	v_fmac_f32_e32 v41, v2, v15
	;; [unrolled: 2-line block ×4, first 2 shown]
	s_clause 0x3
	buffer_load_dword v0, off, s[0:3], s32 offset:2380
	buffer_load_dword v1, off, s[0:3], s32 offset:2384
	;; [unrolled: 1-line block ×4, first 2 shown]
	s_waitcnt vmcnt(3)
	v_fmac_f32_e32 v54, v0, v36
	s_waitcnt vmcnt(2)
	v_fmac_f32_e32 v55, v1, v73
	s_waitcnt vmcnt(1)
	v_fmac_f32_e32 v41, v2, v35
	s_waitcnt vmcnt(0)
	v_fmac_f32_e32 v76, v3, v38
	s_clause 0x4
	buffer_load_dword v0, off, s[0:3], s32 offset:2396
	buffer_load_dword v1, off, s[0:3], s32 offset:2400
	;; [unrolled: 1-line block ×5, first 2 shown]
	s_waitcnt vmcnt(3)
	v_fmac_f32_e32 v55, v1, v48
	s_waitcnt vmcnt(2)
	v_fmac_f32_e32 v41, v2, v37
	s_waitcnt vmcnt(1)
	v_fmac_f32_e32 v76, v3, v49
	s_waitcnt vmcnt(0)
	v_fmac_f32_e32 v54, v0, v4
	s_clause 0x3
	buffer_load_dword v0, off, s[0:3], s32 offset:2412
	buffer_load_dword v1, off, s[0:3], s32 offset:2416
	buffer_load_dword v2, off, s[0:3], s32 offset:2420
	buffer_load_dword v3, off, s[0:3], s32 offset:2424
	s_waitcnt vmcnt(3)
	v_fmac_f32_e32 v54, v0, v50
	s_waitcnt vmcnt(2)
	v_fmac_f32_e32 v55, v1, v66
	s_waitcnt vmcnt(1)
	v_fmac_f32_e32 v41, v2, v51
	s_waitcnt vmcnt(0)
	v_fmac_f32_e32 v76, v3, v67
	s_clause 0x3
	buffer_load_dword v0, off, s[0:3], s32 offset:2428
	buffer_load_dword v1, off, s[0:3], s32 offset:2432
	buffer_load_dword v2, off, s[0:3], s32 offset:2436
	buffer_load_dword v3, off, s[0:3], s32 offset:2440
	;; [unrolled: 13-line block ×3, first 2 shown]
	s_waitcnt vmcnt(3)
	v_fmac_f32_e32 v54, v0, v71
	buffer_load_dword v0, off, s[0:3], s32 offset:936 ; 4-byte Folded Reload
	s_waitcnt vmcnt(2)
	v_fmac_f32_e32 v41, v2, v82
	s_waitcnt vmcnt(1)
	v_fmac_f32_e32 v76, v3, v81
	s_waitcnt vmcnt(0)
	v_fmac_f32_e32 v55, v1, v0
	s_clause 0x3
	buffer_load_dword v0, off, s[0:3], s32 offset:2460
	buffer_load_dword v1, off, s[0:3], s32 offset:2464
	buffer_load_dword v2, off, s[0:3], s32 offset:2468
	buffer_load_dword v3, off, s[0:3], s32 offset:2472
	s_waitcnt vmcnt(3)
	v_fmac_f32_e32 v54, v0, v86
	s_waitcnt vmcnt(2)
	v_fmac_f32_e32 v55, v1, v118
	s_waitcnt vmcnt(1)
	v_fmac_f32_e32 v41, v2, v83
	s_waitcnt vmcnt(0)
	v_fmac_f32_e32 v76, v3, v87
	s_clause 0x3
	buffer_load_dword v0, off, s[0:3], s32 offset:2476
	buffer_load_dword v1, off, s[0:3], s32 offset:2480
	buffer_load_dword v2, off, s[0:3], s32 offset:2484
	buffer_load_dword v3, off, s[0:3], s32 offset:2488
	s_waitcnt vmcnt(3)
	v_fmac_f32_e32 v54, v0, v45
	;; [unrolled: 13-line block ×3, first 2 shown]
	s_waitcnt vmcnt(2)
	v_fmac_f32_e32 v55, v1, v78
	s_waitcnt vmcnt(1)
	v_fmac_f32_e32 v41, v2, v61
	;; [unrolled: 2-line block ×3, first 2 shown]
	s_clause 0x4
	buffer_load_dword v0, off, s[0:3], s32 offset:2508
	buffer_load_dword v1, off, s[0:3], s32 offset:2512
	;; [unrolled: 1-line block ×5, first 2 shown]
	s_waitcnt vmcnt(2)
	v_fmac_f32_e32 v41, v2, v79
	s_waitcnt vmcnt(0)
	v_fmac_f32_e32 v54, v0, v4
	buffer_load_dword v0, off, s[0:3], s32 offset:1064 ; 4-byte Folded Reload
	s_waitcnt vmcnt(0)
	v_fmac_f32_e32 v55, v1, v0
	buffer_load_dword v0, off, s[0:3], s32 offset:1072 ; 4-byte Folded Reload
	s_waitcnt vmcnt(0)
	v_fmac_f32_e32 v76, v3, v0
	s_clause 0x4
	buffer_load_dword v0, off, s[0:3], s32 offset:2524
	buffer_load_dword v1, off, s[0:3], s32 offset:2528
	buffer_load_dword v2, off, s[0:3], s32 offset:2532
	buffer_load_dword v3, off, s[0:3], s32 offset:2536
	buffer_load_dword v4, off, s[0:3], s32 offset:1152
	s_waitcnt vmcnt(0)
	v_fmac_f32_e32 v54, v0, v4
	buffer_load_dword v0, off, s[0:3], s32 offset:1096 ; 4-byte Folded Reload
	s_waitcnt vmcnt(0)
	v_fmac_f32_e32 v55, v1, v0
	buffer_load_dword v0, off, s[0:3], s32 offset:1112 ; 4-byte Folded Reload
	s_waitcnt vmcnt(0)
	v_fmac_f32_e32 v41, v2, v0
	buffer_load_dword v0, off, s[0:3], s32 offset:1104 ; 4-byte Folded Reload
	s_waitcnt vmcnt(0)
	v_fmac_f32_e32 v76, v3, v0
	s_clause 0x4
	buffer_load_dword v0, off, s[0:3], s32 offset:2540
	buffer_load_dword v1, off, s[0:3], s32 offset:2544
	buffer_load_dword v2, off, s[0:3], s32 offset:2548
	buffer_load_dword v3, off, s[0:3], s32 offset:2552
	buffer_load_dword v4, off, s[0:3], s32 offset:1184
	s_waitcnt vmcnt(0)
	v_fmac_f32_e32 v54, v0, v4
	buffer_load_dword v0, off, s[0:3], s32 offset:1128 ; 4-byte Folded Reload
	;; [unrolled: 17-line block ×35, first 2 shown]
	s_waitcnt vmcnt(0)
	v_fmac_f32_e32 v55, v1, v0
	buffer_load_dword v0, off, s[0:3], s32 offset:1844 ; 4-byte Folded Reload
	s_waitcnt vmcnt(0)
	v_fmac_f32_e32 v41, v2, v0
	buffer_load_dword v0, off, s[0:3], s32 offset:1836 ; 4-byte Folded Reload
	s_waitcnt vmcnt(0)
	v_fmac_f32_e32 v76, v3, v0
	s_clause 0x4
	buffer_load_dword v0, off, s[0:3], s32 offset:3084
	buffer_load_dword v1, off, s[0:3], s32 offset:3088
	;; [unrolled: 1-line block ×5, first 2 shown]
	s_waitcnt vmcnt(4)
	v_fmac_f32_e32 v54, v0, v103
	s_waitcnt vmcnt(3)
	v_fmac_f32_e32 v55, v1, v102
	;; [unrolled: 2-line block ×3, first 2 shown]
	buffer_load_dword v2, off, s[0:3], s32 offset:2060 ; 4-byte Folded Reload
	s_waitcnt vmcnt(2)
	v_fmac_f32_e32 v76, v3, v16
	v_add_f32_e32 v1, v54, v55
	v_add_f32_e32 v1, v41, v1
	;; [unrolled: 1-line block ×3, first 2 shown]
	s_waitcnt vmcnt(0)
	v_fmac_f32_e32 v96, v2, v1
	v_cndmask_b32_e64 v1, 0, v96, s5
	ds_write_b32 v100, v1
	v_max_f32_e32 v1, v13, v13
	s_clause 0x1
	buffer_load_dword v5, off, s[0:3], s32 offset:1824
	buffer_load_dword v6, off, s[0:3], s32 offset:1828
	v_add_nc_u32_e32 v100, 0x200, v100
	v_max_f32_e32 v0, v1, v96
	v_cndmask_b32_e64 v13, v13, v0, s5
	buffer_load_dword v0, off, s[0:3], s32 offset:1816 ; 4-byte Folded Reload
	s_waitcnt vmcnt(2)
	v_add_co_u32 v5, s5, v5, 16
	s_waitcnt vmcnt(1)
	v_add_co_ci_u32_e64 v6, null, 0, v6, s5
	s_waitcnt vmcnt(0)
	v_cmp_ge_i32_e64 s5, v98, v0
	s_or_b32 s17, s5, s17
	s_andn2_b32 exec_lo, exec_lo, s17
	s_cbranch_execz .LBB259_2056
.LBB259_11:                             ; =>This Inner Loop Header: Depth=1
	buffer_store_dword v13, off, s[0:3], s32 offset:1820 ; 4-byte Folded Spill
	buffer_store_dword v5, off, s[0:3], s32 offset:1824 ; 4-byte Folded Spill
	;; [unrolled: 1-line block ×3, first 2 shown]
	v_mov_b32_e32 v101, v98
	v_mov_b32_e32 v44, v100
	flat_load_dword v0, v[5:6]
	s_clause 0x2
	buffer_load_dword v1, off, s[0:3], s32 offset:1812
	buffer_load_dword v2, off, s[0:3], s32 offset:2068
	;; [unrolled: 1-line block ×3, first 2 shown]
	s_waitcnt vmcnt(0) lgkmcnt(0)
	v_mad_i64_i32 v[45:46], null, v0, v1, v[2:3]
	flat_load_dword v0, v[45:46]
	s_clause 0x1
	buffer_load_dword v1, off, s[0:3], s32 offset:2052
	buffer_load_dword v2, off, s[0:3], s32 offset:2056
	s_waitcnt vmcnt(2) lgkmcnt(0)
	v_cmp_ne_u16_sdwa s5, v0, v28 src0_sel:BYTE_0 src1_sel:DWORD
	s_waitcnt vmcnt(0)
	flat_load_dword v41, v[1:2]
	v_mov_b32_e32 v1, 0
	v_mov_b32_e32 v2, 0
	buffer_store_dword v1, off, s[0:3], s32 offset:208 ; 4-byte Folded Spill
	buffer_store_dword v2, off, s[0:3], s32 offset:212 ; 4-byte Folded Spill
	v_mov_b32_e32 v1, 0
	v_mov_b32_e32 v2, 0
	buffer_store_dword v1, off, s[0:3], s32 offset:200 ; 4-byte Folded Spill
	buffer_store_dword v2, off, s[0:3], s32 offset:204 ; 4-byte Folded Spill
	s_mov_b32 s6, exec_lo
	v_mov_b32_e32 v6, 0xff
	s_and_b32 s5, s6, s5
	s_mov_b32 exec_lo, s5
	s_cbranch_execz .LBB259_19
; %bb.12:                               ;   in Loop: Header=BB259_11 Depth=1
	v_bfrev_b32_e32 v1, 1
	v_mov_b32_e32 v2, 0
	buffer_store_dword v1, off, s[0:3], s32 offset:200 ; 4-byte Folded Spill
	buffer_store_dword v2, off, s[0:3], s32 offset:204 ; 4-byte Folded Spill
	v_mov_b32_e32 v1, 0x80
	v_cmp_ne_u16_sdwa s5, v0, v1 src0_sel:BYTE_0 src1_sel:DWORD
	s_and_saveexec_b32 s7, s5
	s_cbranch_execz .LBB259_18
; %bb.13:                               ;   in Loop: Header=BB259_11 Depth=1
	v_mov_b32_e32 v3, 0x7f800001
	v_and_b32_e32 v2, 0x7f, v0
	v_mov_b32_e32 v4, 0
	s_mov_b32 s19, exec_lo
	buffer_store_dword v3, off, s[0:3], s32 offset:200 ; 4-byte Folded Spill
	buffer_store_dword v4, off, s[0:3], s32 offset:204 ; 4-byte Folded Spill
	v_cmpx_ne_u32_e32 0x7f, v2
	s_cbranch_execz .LBB259_17
; %bb.14:                               ;   in Loop: Header=BB259_11 Depth=1
	v_and_b32_e32 v27, 7, v0
	v_lshrrev_b32_e32 v1, 3, v2
	s_mov_b32 s22, exec_lo
	v_cmpx_gt_u32_e32 8, v2
; %bb.15:                               ;   in Loop: Header=BB259_11 Depth=1
	v_ffbh_u32_e32 v1, v27
	v_min_u32_e32 v1, 32, v1
	v_subrev_nc_u32_e32 v2, 28, v1
	v_sub_nc_u32_e32 v1, 29, v1
	v_lshlrev_b64 v[2:3], v2, v[27:28]
	v_and_b32_e32 v27, 7, v2
; %bb.16:                               ;   in Loop: Header=BB259_11 Depth=1
	s_or_b32 exec_lo, exec_lo, s22
	v_lshlrev_b32_e32 v2, 24, v0
	v_lshlrev_b32_e32 v3, 20, v27
	v_lshl_add_u32 v1, v1, 23, 0x3c000000
	v_and_b32_e32 v2, 0x80000000, v2
	v_or3_b32 v27, v3, v2, v1
	buffer_store_dword v27, off, s[0:3], s32 offset:200 ; 4-byte Folded Spill
	buffer_store_dword v28, off, s[0:3], s32 offset:204 ; 4-byte Folded Spill
.LBB259_17:                             ;   in Loop: Header=BB259_11 Depth=1
	s_or_b32 exec_lo, exec_lo, s19
.LBB259_18:                             ;   in Loop: Header=BB259_11 Depth=1
	s_or_b32 exec_lo, exec_lo, s7
.LBB259_19:                             ;   in Loop: Header=BB259_11 Depth=1
	s_or_b32 exec_lo, exec_lo, s6
	v_cmp_ne_u16_sdwa s5, v0, v28 src0_sel:BYTE_1 src1_sel:DWORD
	s_and_saveexec_b32 s6, s5
	s_cbranch_execz .LBB259_27
; %bb.20:                               ;   in Loop: Header=BB259_11 Depth=1
	v_mov_b32_e32 v1, 0x80
	v_mov_b32_e32 v98, v28
	buffer_store_dword v98, off, s[0:3], s32 offset:208 ; 4-byte Folded Spill
	buffer_store_dword v99, off, s[0:3], s32 offset:212 ; 4-byte Folded Spill
	v_cmp_ne_u16_sdwa s5, v0, v1 src0_sel:BYTE_1 src1_sel:DWORD
	s_and_saveexec_b32 s7, s5
	s_cbranch_execz .LBB259_26
; %bb.21:                               ;   in Loop: Header=BB259_11 Depth=1
	v_mov_b32_e32 v1, 0xffff
	v_mov_b32_e32 v116, v28
	s_mov_b32 s19, exec_lo
	buffer_store_dword v116, off, s[0:3], s32 offset:208 ; 4-byte Folded Spill
	buffer_store_dword v117, off, s[0:3], s32 offset:212 ; 4-byte Folded Spill
	v_and_b32_sdwa v1, v1, v0 dst_sel:DWORD dst_unused:UNUSED_PAD src0_sel:DWORD src1_sel:BYTE_1
	v_and_b32_e32 v2, 0x7f, v1
	v_cmpx_ne_u32_e32 0x7f, v2
	s_cbranch_execz .LBB259_25
; %bb.22:                               ;   in Loop: Header=BB259_11 Depth=1
	v_and_b32_e32 v27, 7, v1
	v_lshrrev_b32_e32 v1, 3, v2
	s_mov_b32 s22, exec_lo
	v_cmpx_gt_u32_e32 8, v2
; %bb.23:                               ;   in Loop: Header=BB259_11 Depth=1
	v_ffbh_u32_e32 v1, v27
	v_min_u32_e32 v1, 32, v1
	v_subrev_nc_u32_e32 v2, 28, v1
	v_sub_nc_u32_e32 v1, 29, v1
	v_lshlrev_b64 v[2:3], v2, v[27:28]
	v_and_b32_e32 v27, 7, v2
; %bb.24:                               ;   in Loop: Header=BB259_11 Depth=1
	s_or_b32 exec_lo, exec_lo, s22
	v_lshlrev_b32_e32 v2, 16, v0
	v_lshlrev_b32_e32 v3, 20, v27
	v_lshl_add_u32 v1, v1, 23, 0x3c000000
	v_and_b32_e32 v2, 0x80000000, v2
	v_or3_b32 v2, v3, v2, v1
	v_mov_b32_e32 v1, v28
	buffer_store_dword v1, off, s[0:3], s32 offset:208 ; 4-byte Folded Spill
	buffer_store_dword v2, off, s[0:3], s32 offset:212 ; 4-byte Folded Spill
.LBB259_25:                             ;   in Loop: Header=BB259_11 Depth=1
	s_or_b32 exec_lo, exec_lo, s19
.LBB259_26:                             ;   in Loop: Header=BB259_11 Depth=1
	s_or_b32 exec_lo, exec_lo, s7
.LBB259_27:                             ;   in Loop: Header=BB259_11 Depth=1
	s_or_b32 exec_lo, exec_lo, s6
	v_mov_b32_e32 v2, 0
	v_mov_b32_e32 v3, 0
	v_and_b32_sdwa v1, v0, v6 dst_sel:DWORD dst_unused:UNUSED_PAD src0_sel:WORD_1 src1_sel:DWORD
	s_mov_b32 s6, exec_lo
	buffer_store_dword v2, off, s[0:3], s32 offset:216 ; 4-byte Folded Spill
	buffer_store_dword v3, off, s[0:3], s32 offset:220 ; 4-byte Folded Spill
	v_mov_b32_e32 v2, 0
	v_mov_b32_e32 v3, 0
	buffer_store_dword v2, off, s[0:3], s32 offset:224 ; 4-byte Folded Spill
	buffer_store_dword v3, off, s[0:3], s32 offset:228 ; 4-byte Folded Spill
	v_cmpx_ne_u16_e32 0, v1
	s_cbranch_execz .LBB259_35
; %bb.28:                               ;   in Loop: Header=BB259_11 Depth=1
	v_cmp_ne_u16_e64 s5, 0x80, v1
	v_bfrev_b32_e32 v1, 1
	v_mov_b32_e32 v2, 0
	buffer_store_dword v1, off, s[0:3], s32 offset:224 ; 4-byte Folded Spill
	buffer_store_dword v2, off, s[0:3], s32 offset:228 ; 4-byte Folded Spill
	s_and_saveexec_b32 s7, s5
	s_cbranch_execz .LBB259_34
; %bb.29:                               ;   in Loop: Header=BB259_11 Depth=1
	v_mov_b32_e32 v3, 0x7f800001
	v_bfe_u32 v2, v0, 16, 7
	v_mov_b32_e32 v4, 0
	s_mov_b32 s19, exec_lo
	buffer_store_dword v3, off, s[0:3], s32 offset:224 ; 4-byte Folded Spill
	buffer_store_dword v4, off, s[0:3], s32 offset:228 ; 4-byte Folded Spill
	v_cmpx_ne_u32_e32 0x7f, v2
	s_cbranch_execz .LBB259_33
; %bb.30:                               ;   in Loop: Header=BB259_11 Depth=1
	v_mov_b32_e32 v1, 7
	s_mov_b32 s22, exec_lo
	v_and_b32_sdwa v27, v0, v1 dst_sel:DWORD dst_unused:UNUSED_PAD src0_sel:WORD_1 src1_sel:DWORD
	v_lshrrev_b32_e32 v1, 3, v2
	v_cmpx_gt_u32_e32 8, v2
; %bb.31:                               ;   in Loop: Header=BB259_11 Depth=1
	v_ffbh_u32_e32 v1, v27
	v_min_u32_e32 v1, 32, v1
	v_subrev_nc_u32_e32 v2, 28, v1
	v_sub_nc_u32_e32 v1, 29, v1
	v_lshlrev_b64 v[2:3], v2, v[27:28]
	v_and_b32_e32 v27, 7, v2
; %bb.32:                               ;   in Loop: Header=BB259_11 Depth=1
	s_or_b32 exec_lo, exec_lo, s22
	v_mov_b32_e32 v2, 24
	v_lshlrev_b32_e32 v3, 20, v27
	v_lshl_add_u32 v1, v1, 23, 0x3c000000
	v_lshlrev_b32_sdwa v2, v2, v0 dst_sel:DWORD dst_unused:UNUSED_PAD src0_sel:DWORD src1_sel:WORD_1
	v_and_b32_e32 v2, 0x80000000, v2
	v_or3_b32 v27, v3, v2, v1
	buffer_store_dword v27, off, s[0:3], s32 offset:224 ; 4-byte Folded Spill
	buffer_store_dword v28, off, s[0:3], s32 offset:228 ; 4-byte Folded Spill
.LBB259_33:                             ;   in Loop: Header=BB259_11 Depth=1
	s_or_b32 exec_lo, exec_lo, s19
.LBB259_34:                             ;   in Loop: Header=BB259_11 Depth=1
	s_or_b32 exec_lo, exec_lo, s7
.LBB259_35:                             ;   in Loop: Header=BB259_11 Depth=1
	s_or_b32 exec_lo, exec_lo, s6
	s_mov_b32 s6, exec_lo
	v_cmpx_lt_u32_e32 0xffffff, v0
	s_cbranch_execz .LBB259_43
; %bb.36:                               ;   in Loop: Header=BB259_11 Depth=1
	v_mov_b32_e32 v1, 0x80
	v_mov_b32_e32 v98, v28
	buffer_store_dword v98, off, s[0:3], s32 offset:216 ; 4-byte Folded Spill
	buffer_store_dword v99, off, s[0:3], s32 offset:220 ; 4-byte Folded Spill
	v_cmp_ne_u32_sdwa s5, v0, v1 src0_sel:BYTE_3 src1_sel:DWORD
	s_and_saveexec_b32 s7, s5
	s_cbranch_execz .LBB259_42
; %bb.37:                               ;   in Loop: Header=BB259_11 Depth=1
	v_bfe_u32 v2, v0, 24, 7
	v_mov_b32_e32 v116, v28
	s_mov_b32 s19, exec_lo
	buffer_store_dword v116, off, s[0:3], s32 offset:216 ; 4-byte Folded Spill
	buffer_store_dword v117, off, s[0:3], s32 offset:220 ; 4-byte Folded Spill
	v_cmpx_ne_u32_e32 0x7f, v2
	s_cbranch_execz .LBB259_41
; %bb.38:                               ;   in Loop: Header=BB259_11 Depth=1
	v_mov_b32_e32 v1, 7
	s_mov_b32 s22, exec_lo
	v_and_b32_sdwa v27, v0, v1 dst_sel:DWORD dst_unused:UNUSED_PAD src0_sel:BYTE_3 src1_sel:DWORD
	v_lshrrev_b32_e32 v1, 3, v2
	v_cmpx_gt_u32_e32 8, v2
; %bb.39:                               ;   in Loop: Header=BB259_11 Depth=1
	v_ffbh_u32_e32 v1, v27
	v_min_u32_e32 v1, 32, v1
	v_subrev_nc_u32_e32 v2, 28, v1
	v_sub_nc_u32_e32 v1, 29, v1
	v_lshlrev_b64 v[2:3], v2, v[27:28]
	v_and_b32_e32 v27, 7, v2
; %bb.40:                               ;   in Loop: Header=BB259_11 Depth=1
	s_or_b32 exec_lo, exec_lo, s22
	v_mov_b32_e32 v2, 24
	v_lshl_add_u32 v1, v1, 23, 0x3c000000
	v_lshlrev_b32_sdwa v0, v2, v0 dst_sel:DWORD dst_unused:UNUSED_PAD src0_sel:DWORD src1_sel:BYTE_3
	v_lshlrev_b32_e32 v2, 20, v27
	v_and_b32_e32 v0, 0x80000000, v0
	v_or3_b32 v1, v2, v0, v1
	v_mov_b32_e32 v0, v28
	buffer_store_dword v0, off, s[0:3], s32 offset:216 ; 4-byte Folded Spill
	buffer_store_dword v1, off, s[0:3], s32 offset:220 ; 4-byte Folded Spill
.LBB259_41:                             ;   in Loop: Header=BB259_11 Depth=1
	s_or_b32 exec_lo, exec_lo, s19
.LBB259_42:                             ;   in Loop: Header=BB259_11 Depth=1
	s_or_b32 exec_lo, exec_lo, s7
.LBB259_43:                             ;   in Loop: Header=BB259_11 Depth=1
	s_or_b32 exec_lo, exec_lo, s6
	flat_load_dword v0, v[45:46] offset:4
	v_mov_b32_e32 v1, 0
	v_mov_b32_e32 v2, 0
	buffer_store_dword v1, off, s[0:3], s32 offset:240 ; 4-byte Folded Spill
	buffer_store_dword v2, off, s[0:3], s32 offset:244 ; 4-byte Folded Spill
	v_mov_b32_e32 v1, 0
	v_mov_b32_e32 v2, 0
	buffer_store_dword v1, off, s[0:3], s32 offset:232 ; 4-byte Folded Spill
	buffer_store_dword v2, off, s[0:3], s32 offset:236 ; 4-byte Folded Spill
	s_waitcnt vmcnt(0) lgkmcnt(0)
	v_cmp_ne_u16_sdwa s5, v0, v28 src0_sel:BYTE_0 src1_sel:DWORD
	s_and_saveexec_b32 s6, s5
	s_cbranch_execz .LBB259_51
; %bb.44:                               ;   in Loop: Header=BB259_11 Depth=1
	v_bfrev_b32_e32 v1, 1
	v_mov_b32_e32 v2, 0
	buffer_store_dword v1, off, s[0:3], s32 offset:232 ; 4-byte Folded Spill
	buffer_store_dword v2, off, s[0:3], s32 offset:236 ; 4-byte Folded Spill
	v_mov_b32_e32 v1, 0x80
	v_cmp_ne_u16_sdwa s5, v0, v1 src0_sel:BYTE_0 src1_sel:DWORD
	s_and_saveexec_b32 s7, s5
	s_cbranch_execz .LBB259_50
; %bb.45:                               ;   in Loop: Header=BB259_11 Depth=1
	v_mov_b32_e32 v3, 0x7f800001
	v_and_b32_e32 v2, 0x7f, v0
	v_mov_b32_e32 v4, 0
	s_mov_b32 s19, exec_lo
	buffer_store_dword v3, off, s[0:3], s32 offset:232 ; 4-byte Folded Spill
	buffer_store_dword v4, off, s[0:3], s32 offset:236 ; 4-byte Folded Spill
	v_cmpx_ne_u32_e32 0x7f, v2
	s_cbranch_execz .LBB259_49
; %bb.46:                               ;   in Loop: Header=BB259_11 Depth=1
	v_and_b32_e32 v27, 7, v0
	v_lshrrev_b32_e32 v1, 3, v2
	s_mov_b32 s22, exec_lo
	v_cmpx_gt_u32_e32 8, v2
; %bb.47:                               ;   in Loop: Header=BB259_11 Depth=1
	v_ffbh_u32_e32 v1, v27
	v_min_u32_e32 v1, 32, v1
	v_subrev_nc_u32_e32 v2, 28, v1
	v_sub_nc_u32_e32 v1, 29, v1
	v_lshlrev_b64 v[2:3], v2, v[27:28]
	v_and_b32_e32 v27, 7, v2
; %bb.48:                               ;   in Loop: Header=BB259_11 Depth=1
	s_or_b32 exec_lo, exec_lo, s22
	v_lshlrev_b32_e32 v2, 24, v0
	v_lshlrev_b32_e32 v3, 20, v27
	v_lshl_add_u32 v1, v1, 23, 0x3c000000
	v_and_b32_e32 v2, 0x80000000, v2
	v_or3_b32 v27, v3, v2, v1
	buffer_store_dword v27, off, s[0:3], s32 offset:232 ; 4-byte Folded Spill
	buffer_store_dword v28, off, s[0:3], s32 offset:236 ; 4-byte Folded Spill
.LBB259_49:                             ;   in Loop: Header=BB259_11 Depth=1
	s_or_b32 exec_lo, exec_lo, s19
.LBB259_50:                             ;   in Loop: Header=BB259_11 Depth=1
	s_or_b32 exec_lo, exec_lo, s7
.LBB259_51:                             ;   in Loop: Header=BB259_11 Depth=1
	s_or_b32 exec_lo, exec_lo, s6
	v_cmp_ne_u16_sdwa s5, v0, v28 src0_sel:BYTE_1 src1_sel:DWORD
	s_and_saveexec_b32 s6, s5
	s_cbranch_execz .LBB259_59
; %bb.52:                               ;   in Loop: Header=BB259_11 Depth=1
	v_mov_b32_e32 v1, 0x80
	v_mov_b32_e32 v98, v28
	buffer_store_dword v98, off, s[0:3], s32 offset:240 ; 4-byte Folded Spill
	buffer_store_dword v99, off, s[0:3], s32 offset:244 ; 4-byte Folded Spill
	v_cmp_ne_u16_sdwa s5, v0, v1 src0_sel:BYTE_1 src1_sel:DWORD
	s_and_saveexec_b32 s7, s5
	s_cbranch_execz .LBB259_58
; %bb.53:                               ;   in Loop: Header=BB259_11 Depth=1
	v_mov_b32_e32 v1, 0xffff
	v_mov_b32_e32 v116, v28
	s_mov_b32 s19, exec_lo
	buffer_store_dword v116, off, s[0:3], s32 offset:240 ; 4-byte Folded Spill
	buffer_store_dword v117, off, s[0:3], s32 offset:244 ; 4-byte Folded Spill
	v_and_b32_sdwa v1, v1, v0 dst_sel:DWORD dst_unused:UNUSED_PAD src0_sel:DWORD src1_sel:BYTE_1
	v_and_b32_e32 v2, 0x7f, v1
	v_cmpx_ne_u32_e32 0x7f, v2
	s_cbranch_execz .LBB259_57
; %bb.54:                               ;   in Loop: Header=BB259_11 Depth=1
	v_and_b32_e32 v27, 7, v1
	v_lshrrev_b32_e32 v1, 3, v2
	s_mov_b32 s22, exec_lo
	v_cmpx_gt_u32_e32 8, v2
; %bb.55:                               ;   in Loop: Header=BB259_11 Depth=1
	v_ffbh_u32_e32 v1, v27
	v_min_u32_e32 v1, 32, v1
	v_subrev_nc_u32_e32 v2, 28, v1
	v_sub_nc_u32_e32 v1, 29, v1
	v_lshlrev_b64 v[2:3], v2, v[27:28]
	v_and_b32_e32 v27, 7, v2
; %bb.56:                               ;   in Loop: Header=BB259_11 Depth=1
	s_or_b32 exec_lo, exec_lo, s22
	v_lshlrev_b32_e32 v2, 16, v0
	v_lshlrev_b32_e32 v3, 20, v27
	v_lshl_add_u32 v1, v1, 23, 0x3c000000
	v_and_b32_e32 v2, 0x80000000, v2
	v_or3_b32 v2, v3, v2, v1
	v_mov_b32_e32 v1, v28
	buffer_store_dword v1, off, s[0:3], s32 offset:240 ; 4-byte Folded Spill
	buffer_store_dword v2, off, s[0:3], s32 offset:244 ; 4-byte Folded Spill
.LBB259_57:                             ;   in Loop: Header=BB259_11 Depth=1
	s_or_b32 exec_lo, exec_lo, s19
.LBB259_58:                             ;   in Loop: Header=BB259_11 Depth=1
	s_or_b32 exec_lo, exec_lo, s7
.LBB259_59:                             ;   in Loop: Header=BB259_11 Depth=1
	s_or_b32 exec_lo, exec_lo, s6
	v_mov_b32_e32 v2, 0
	v_mov_b32_e32 v3, 0
	v_and_b32_sdwa v1, v0, v6 dst_sel:DWORD dst_unused:UNUSED_PAD src0_sel:WORD_1 src1_sel:DWORD
	s_mov_b32 s6, exec_lo
	buffer_store_dword v2, off, s[0:3], s32 offset:248 ; 4-byte Folded Spill
	buffer_store_dword v3, off, s[0:3], s32 offset:252 ; 4-byte Folded Spill
	v_mov_b32_e32 v2, 0
	v_mov_b32_e32 v3, 0
	buffer_store_dword v2, off, s[0:3], s32 offset:256 ; 4-byte Folded Spill
	buffer_store_dword v3, off, s[0:3], s32 offset:260 ; 4-byte Folded Spill
	v_cmpx_ne_u16_e32 0, v1
	s_cbranch_execz .LBB259_67
; %bb.60:                               ;   in Loop: Header=BB259_11 Depth=1
	v_cmp_ne_u16_e64 s5, 0x80, v1
	v_bfrev_b32_e32 v1, 1
	v_mov_b32_e32 v2, 0
	buffer_store_dword v1, off, s[0:3], s32 offset:256 ; 4-byte Folded Spill
	buffer_store_dword v2, off, s[0:3], s32 offset:260 ; 4-byte Folded Spill
	s_and_saveexec_b32 s7, s5
	s_cbranch_execz .LBB259_66
; %bb.61:                               ;   in Loop: Header=BB259_11 Depth=1
	v_mov_b32_e32 v3, 0x7f800001
	v_bfe_u32 v2, v0, 16, 7
	v_mov_b32_e32 v4, 0
	s_mov_b32 s19, exec_lo
	buffer_store_dword v3, off, s[0:3], s32 offset:256 ; 4-byte Folded Spill
	buffer_store_dword v4, off, s[0:3], s32 offset:260 ; 4-byte Folded Spill
	v_cmpx_ne_u32_e32 0x7f, v2
	s_cbranch_execz .LBB259_65
; %bb.62:                               ;   in Loop: Header=BB259_11 Depth=1
	v_mov_b32_e32 v1, 7
	s_mov_b32 s22, exec_lo
	v_and_b32_sdwa v27, v0, v1 dst_sel:DWORD dst_unused:UNUSED_PAD src0_sel:WORD_1 src1_sel:DWORD
	v_lshrrev_b32_e32 v1, 3, v2
	v_cmpx_gt_u32_e32 8, v2
; %bb.63:                               ;   in Loop: Header=BB259_11 Depth=1
	v_ffbh_u32_e32 v1, v27
	v_min_u32_e32 v1, 32, v1
	v_subrev_nc_u32_e32 v2, 28, v1
	v_sub_nc_u32_e32 v1, 29, v1
	v_lshlrev_b64 v[2:3], v2, v[27:28]
	v_and_b32_e32 v27, 7, v2
; %bb.64:                               ;   in Loop: Header=BB259_11 Depth=1
	s_or_b32 exec_lo, exec_lo, s22
	v_mov_b32_e32 v2, 24
	v_lshlrev_b32_e32 v3, 20, v27
	v_lshl_add_u32 v1, v1, 23, 0x3c000000
	v_lshlrev_b32_sdwa v2, v2, v0 dst_sel:DWORD dst_unused:UNUSED_PAD src0_sel:DWORD src1_sel:WORD_1
	v_and_b32_e32 v2, 0x80000000, v2
	v_or3_b32 v27, v3, v2, v1
	buffer_store_dword v27, off, s[0:3], s32 offset:256 ; 4-byte Folded Spill
	buffer_store_dword v28, off, s[0:3], s32 offset:260 ; 4-byte Folded Spill
.LBB259_65:                             ;   in Loop: Header=BB259_11 Depth=1
	s_or_b32 exec_lo, exec_lo, s19
.LBB259_66:                             ;   in Loop: Header=BB259_11 Depth=1
	s_or_b32 exec_lo, exec_lo, s7
.LBB259_67:                             ;   in Loop: Header=BB259_11 Depth=1
	s_or_b32 exec_lo, exec_lo, s6
	s_mov_b32 s6, exec_lo
	v_cmpx_lt_u32_e32 0xffffff, v0
	s_cbranch_execz .LBB259_75
; %bb.68:                               ;   in Loop: Header=BB259_11 Depth=1
	v_mov_b32_e32 v1, 0x80
	v_mov_b32_e32 v98, v28
	buffer_store_dword v98, off, s[0:3], s32 offset:248 ; 4-byte Folded Spill
	buffer_store_dword v99, off, s[0:3], s32 offset:252 ; 4-byte Folded Spill
	v_cmp_ne_u32_sdwa s5, v0, v1 src0_sel:BYTE_3 src1_sel:DWORD
	s_and_saveexec_b32 s7, s5
	s_cbranch_execz .LBB259_74
; %bb.69:                               ;   in Loop: Header=BB259_11 Depth=1
	v_bfe_u32 v2, v0, 24, 7
	v_mov_b32_e32 v116, v28
	s_mov_b32 s19, exec_lo
	buffer_store_dword v116, off, s[0:3], s32 offset:248 ; 4-byte Folded Spill
	buffer_store_dword v117, off, s[0:3], s32 offset:252 ; 4-byte Folded Spill
	v_cmpx_ne_u32_e32 0x7f, v2
	s_cbranch_execz .LBB259_73
; %bb.70:                               ;   in Loop: Header=BB259_11 Depth=1
	v_mov_b32_e32 v1, 7
	s_mov_b32 s22, exec_lo
	v_and_b32_sdwa v27, v0, v1 dst_sel:DWORD dst_unused:UNUSED_PAD src0_sel:BYTE_3 src1_sel:DWORD
	v_lshrrev_b32_e32 v1, 3, v2
	v_cmpx_gt_u32_e32 8, v2
; %bb.71:                               ;   in Loop: Header=BB259_11 Depth=1
	v_ffbh_u32_e32 v1, v27
	v_min_u32_e32 v1, 32, v1
	v_subrev_nc_u32_e32 v2, 28, v1
	v_sub_nc_u32_e32 v1, 29, v1
	v_lshlrev_b64 v[2:3], v2, v[27:28]
	v_and_b32_e32 v27, 7, v2
; %bb.72:                               ;   in Loop: Header=BB259_11 Depth=1
	s_or_b32 exec_lo, exec_lo, s22
	v_mov_b32_e32 v2, 24
	v_lshl_add_u32 v1, v1, 23, 0x3c000000
	v_lshlrev_b32_sdwa v0, v2, v0 dst_sel:DWORD dst_unused:UNUSED_PAD src0_sel:DWORD src1_sel:BYTE_3
	v_lshlrev_b32_e32 v2, 20, v27
	v_and_b32_e32 v0, 0x80000000, v0
	v_or3_b32 v1, v2, v0, v1
	v_mov_b32_e32 v0, v28
	buffer_store_dword v0, off, s[0:3], s32 offset:248 ; 4-byte Folded Spill
	buffer_store_dword v1, off, s[0:3], s32 offset:252 ; 4-byte Folded Spill
.LBB259_73:                             ;   in Loop: Header=BB259_11 Depth=1
	s_or_b32 exec_lo, exec_lo, s19
.LBB259_74:                             ;   in Loop: Header=BB259_11 Depth=1
	s_or_b32 exec_lo, exec_lo, s7
.LBB259_75:                             ;   in Loop: Header=BB259_11 Depth=1
	s_or_b32 exec_lo, exec_lo, s6
	flat_load_dword v0, v[45:46] offset:8
	v_mov_b32_e32 v1, 0
	v_mov_b32_e32 v2, 0
	buffer_store_dword v1, off, s[0:3], s32 offset:272 ; 4-byte Folded Spill
	buffer_store_dword v2, off, s[0:3], s32 offset:276 ; 4-byte Folded Spill
	v_mov_b32_e32 v1, 0
	v_mov_b32_e32 v2, 0
	buffer_store_dword v1, off, s[0:3], s32 offset:264 ; 4-byte Folded Spill
	buffer_store_dword v2, off, s[0:3], s32 offset:268 ; 4-byte Folded Spill
	s_waitcnt vmcnt(0) lgkmcnt(0)
	v_cmp_ne_u16_sdwa s5, v0, v28 src0_sel:BYTE_0 src1_sel:DWORD
	s_and_saveexec_b32 s6, s5
	s_cbranch_execz .LBB259_83
; %bb.76:                               ;   in Loop: Header=BB259_11 Depth=1
	v_bfrev_b32_e32 v1, 1
	v_mov_b32_e32 v2, 0
	buffer_store_dword v1, off, s[0:3], s32 offset:264 ; 4-byte Folded Spill
	buffer_store_dword v2, off, s[0:3], s32 offset:268 ; 4-byte Folded Spill
	v_mov_b32_e32 v1, 0x80
	v_cmp_ne_u16_sdwa s5, v0, v1 src0_sel:BYTE_0 src1_sel:DWORD
	s_and_saveexec_b32 s7, s5
	s_cbranch_execz .LBB259_82
; %bb.77:                               ;   in Loop: Header=BB259_11 Depth=1
	v_mov_b32_e32 v3, 0x7f800001
	v_and_b32_e32 v2, 0x7f, v0
	v_mov_b32_e32 v4, 0
	s_mov_b32 s19, exec_lo
	buffer_store_dword v3, off, s[0:3], s32 offset:264 ; 4-byte Folded Spill
	buffer_store_dword v4, off, s[0:3], s32 offset:268 ; 4-byte Folded Spill
	v_cmpx_ne_u32_e32 0x7f, v2
	s_cbranch_execz .LBB259_81
; %bb.78:                               ;   in Loop: Header=BB259_11 Depth=1
	v_and_b32_e32 v27, 7, v0
	v_lshrrev_b32_e32 v1, 3, v2
	s_mov_b32 s22, exec_lo
	v_cmpx_gt_u32_e32 8, v2
; %bb.79:                               ;   in Loop: Header=BB259_11 Depth=1
	v_ffbh_u32_e32 v1, v27
	v_min_u32_e32 v1, 32, v1
	v_subrev_nc_u32_e32 v2, 28, v1
	v_sub_nc_u32_e32 v1, 29, v1
	v_lshlrev_b64 v[2:3], v2, v[27:28]
	v_and_b32_e32 v27, 7, v2
; %bb.80:                               ;   in Loop: Header=BB259_11 Depth=1
	s_or_b32 exec_lo, exec_lo, s22
	v_lshlrev_b32_e32 v2, 24, v0
	v_lshlrev_b32_e32 v3, 20, v27
	v_lshl_add_u32 v1, v1, 23, 0x3c000000
	v_and_b32_e32 v2, 0x80000000, v2
	v_or3_b32 v27, v3, v2, v1
	buffer_store_dword v27, off, s[0:3], s32 offset:264 ; 4-byte Folded Spill
	buffer_store_dword v28, off, s[0:3], s32 offset:268 ; 4-byte Folded Spill
.LBB259_81:                             ;   in Loop: Header=BB259_11 Depth=1
	s_or_b32 exec_lo, exec_lo, s19
.LBB259_82:                             ;   in Loop: Header=BB259_11 Depth=1
	s_or_b32 exec_lo, exec_lo, s7
.LBB259_83:                             ;   in Loop: Header=BB259_11 Depth=1
	s_or_b32 exec_lo, exec_lo, s6
	v_cmp_ne_u16_sdwa s5, v0, v28 src0_sel:BYTE_1 src1_sel:DWORD
	s_and_saveexec_b32 s6, s5
	s_cbranch_execz .LBB259_91
; %bb.84:                               ;   in Loop: Header=BB259_11 Depth=1
	v_mov_b32_e32 v1, 0x80
	v_mov_b32_e32 v98, v28
	buffer_store_dword v98, off, s[0:3], s32 offset:272 ; 4-byte Folded Spill
	buffer_store_dword v99, off, s[0:3], s32 offset:276 ; 4-byte Folded Spill
	v_cmp_ne_u16_sdwa s5, v0, v1 src0_sel:BYTE_1 src1_sel:DWORD
	s_and_saveexec_b32 s7, s5
	s_cbranch_execz .LBB259_90
; %bb.85:                               ;   in Loop: Header=BB259_11 Depth=1
	v_mov_b32_e32 v1, 0xffff
	v_mov_b32_e32 v116, v28
	s_mov_b32 s19, exec_lo
	buffer_store_dword v116, off, s[0:3], s32 offset:272 ; 4-byte Folded Spill
	buffer_store_dword v117, off, s[0:3], s32 offset:276 ; 4-byte Folded Spill
	v_and_b32_sdwa v1, v1, v0 dst_sel:DWORD dst_unused:UNUSED_PAD src0_sel:DWORD src1_sel:BYTE_1
	v_and_b32_e32 v2, 0x7f, v1
	v_cmpx_ne_u32_e32 0x7f, v2
	s_cbranch_execz .LBB259_89
; %bb.86:                               ;   in Loop: Header=BB259_11 Depth=1
	v_and_b32_e32 v27, 7, v1
	v_lshrrev_b32_e32 v1, 3, v2
	s_mov_b32 s22, exec_lo
	v_cmpx_gt_u32_e32 8, v2
; %bb.87:                               ;   in Loop: Header=BB259_11 Depth=1
	v_ffbh_u32_e32 v1, v27
	v_min_u32_e32 v1, 32, v1
	v_subrev_nc_u32_e32 v2, 28, v1
	v_sub_nc_u32_e32 v1, 29, v1
	v_lshlrev_b64 v[2:3], v2, v[27:28]
	v_and_b32_e32 v27, 7, v2
; %bb.88:                               ;   in Loop: Header=BB259_11 Depth=1
	s_or_b32 exec_lo, exec_lo, s22
	v_lshlrev_b32_e32 v2, 16, v0
	v_lshlrev_b32_e32 v3, 20, v27
	v_lshl_add_u32 v1, v1, 23, 0x3c000000
	v_and_b32_e32 v2, 0x80000000, v2
	v_or3_b32 v2, v3, v2, v1
	v_mov_b32_e32 v1, v28
	buffer_store_dword v1, off, s[0:3], s32 offset:272 ; 4-byte Folded Spill
	buffer_store_dword v2, off, s[0:3], s32 offset:276 ; 4-byte Folded Spill
.LBB259_89:                             ;   in Loop: Header=BB259_11 Depth=1
	s_or_b32 exec_lo, exec_lo, s19
.LBB259_90:                             ;   in Loop: Header=BB259_11 Depth=1
	s_or_b32 exec_lo, exec_lo, s7
.LBB259_91:                             ;   in Loop: Header=BB259_11 Depth=1
	s_or_b32 exec_lo, exec_lo, s6
	v_mov_b32_e32 v2, 0
	v_mov_b32_e32 v3, 0
	v_and_b32_sdwa v1, v0, v6 dst_sel:DWORD dst_unused:UNUSED_PAD src0_sel:WORD_1 src1_sel:DWORD
	s_mov_b32 s6, exec_lo
	buffer_store_dword v2, off, s[0:3], s32 offset:280 ; 4-byte Folded Spill
	buffer_store_dword v3, off, s[0:3], s32 offset:284 ; 4-byte Folded Spill
	v_mov_b32_e32 v2, 0
	v_mov_b32_e32 v3, 0
	buffer_store_dword v2, off, s[0:3], s32 offset:288 ; 4-byte Folded Spill
	buffer_store_dword v3, off, s[0:3], s32 offset:292 ; 4-byte Folded Spill
	v_cmpx_ne_u16_e32 0, v1
	s_cbranch_execz .LBB259_99
; %bb.92:                               ;   in Loop: Header=BB259_11 Depth=1
	v_cmp_ne_u16_e64 s5, 0x80, v1
	v_bfrev_b32_e32 v1, 1
	v_mov_b32_e32 v2, 0
	buffer_store_dword v1, off, s[0:3], s32 offset:288 ; 4-byte Folded Spill
	buffer_store_dword v2, off, s[0:3], s32 offset:292 ; 4-byte Folded Spill
	s_and_saveexec_b32 s7, s5
	s_cbranch_execz .LBB259_98
; %bb.93:                               ;   in Loop: Header=BB259_11 Depth=1
	v_mov_b32_e32 v3, 0x7f800001
	v_bfe_u32 v2, v0, 16, 7
	v_mov_b32_e32 v4, 0
	s_mov_b32 s19, exec_lo
	buffer_store_dword v3, off, s[0:3], s32 offset:288 ; 4-byte Folded Spill
	buffer_store_dword v4, off, s[0:3], s32 offset:292 ; 4-byte Folded Spill
	v_cmpx_ne_u32_e32 0x7f, v2
	s_cbranch_execz .LBB259_97
; %bb.94:                               ;   in Loop: Header=BB259_11 Depth=1
	v_mov_b32_e32 v1, 7
	s_mov_b32 s22, exec_lo
	v_and_b32_sdwa v27, v0, v1 dst_sel:DWORD dst_unused:UNUSED_PAD src0_sel:WORD_1 src1_sel:DWORD
	v_lshrrev_b32_e32 v1, 3, v2
	v_cmpx_gt_u32_e32 8, v2
; %bb.95:                               ;   in Loop: Header=BB259_11 Depth=1
	v_ffbh_u32_e32 v1, v27
	v_min_u32_e32 v1, 32, v1
	v_subrev_nc_u32_e32 v2, 28, v1
	v_sub_nc_u32_e32 v1, 29, v1
	v_lshlrev_b64 v[2:3], v2, v[27:28]
	v_and_b32_e32 v27, 7, v2
; %bb.96:                               ;   in Loop: Header=BB259_11 Depth=1
	s_or_b32 exec_lo, exec_lo, s22
	v_mov_b32_e32 v2, 24
	v_lshlrev_b32_e32 v3, 20, v27
	v_lshl_add_u32 v1, v1, 23, 0x3c000000
	v_lshlrev_b32_sdwa v2, v2, v0 dst_sel:DWORD dst_unused:UNUSED_PAD src0_sel:DWORD src1_sel:WORD_1
	v_and_b32_e32 v2, 0x80000000, v2
	v_or3_b32 v27, v3, v2, v1
	buffer_store_dword v27, off, s[0:3], s32 offset:288 ; 4-byte Folded Spill
	buffer_store_dword v28, off, s[0:3], s32 offset:292 ; 4-byte Folded Spill
.LBB259_97:                             ;   in Loop: Header=BB259_11 Depth=1
	s_or_b32 exec_lo, exec_lo, s19
.LBB259_98:                             ;   in Loop: Header=BB259_11 Depth=1
	s_or_b32 exec_lo, exec_lo, s7
.LBB259_99:                             ;   in Loop: Header=BB259_11 Depth=1
	s_or_b32 exec_lo, exec_lo, s6
	s_mov_b32 s6, exec_lo
	v_cmpx_lt_u32_e32 0xffffff, v0
	s_cbranch_execz .LBB259_107
; %bb.100:                              ;   in Loop: Header=BB259_11 Depth=1
	v_mov_b32_e32 v1, 0x80
	v_mov_b32_e32 v98, v28
	buffer_store_dword v98, off, s[0:3], s32 offset:280 ; 4-byte Folded Spill
	buffer_store_dword v99, off, s[0:3], s32 offset:284 ; 4-byte Folded Spill
	v_cmp_ne_u32_sdwa s5, v0, v1 src0_sel:BYTE_3 src1_sel:DWORD
	s_and_saveexec_b32 s7, s5
	s_cbranch_execz .LBB259_106
; %bb.101:                              ;   in Loop: Header=BB259_11 Depth=1
	v_bfe_u32 v2, v0, 24, 7
	v_mov_b32_e32 v116, v28
	s_mov_b32 s19, exec_lo
	buffer_store_dword v116, off, s[0:3], s32 offset:280 ; 4-byte Folded Spill
	buffer_store_dword v117, off, s[0:3], s32 offset:284 ; 4-byte Folded Spill
	v_cmpx_ne_u32_e32 0x7f, v2
	s_cbranch_execz .LBB259_105
; %bb.102:                              ;   in Loop: Header=BB259_11 Depth=1
	v_mov_b32_e32 v1, 7
	s_mov_b32 s22, exec_lo
	v_and_b32_sdwa v27, v0, v1 dst_sel:DWORD dst_unused:UNUSED_PAD src0_sel:BYTE_3 src1_sel:DWORD
	v_lshrrev_b32_e32 v1, 3, v2
	v_cmpx_gt_u32_e32 8, v2
; %bb.103:                              ;   in Loop: Header=BB259_11 Depth=1
	v_ffbh_u32_e32 v1, v27
	v_min_u32_e32 v1, 32, v1
	v_subrev_nc_u32_e32 v2, 28, v1
	v_sub_nc_u32_e32 v1, 29, v1
	v_lshlrev_b64 v[2:3], v2, v[27:28]
	v_and_b32_e32 v27, 7, v2
; %bb.104:                              ;   in Loop: Header=BB259_11 Depth=1
	s_or_b32 exec_lo, exec_lo, s22
	v_mov_b32_e32 v2, 24
	v_lshl_add_u32 v1, v1, 23, 0x3c000000
	v_lshlrev_b32_sdwa v0, v2, v0 dst_sel:DWORD dst_unused:UNUSED_PAD src0_sel:DWORD src1_sel:BYTE_3
	v_lshlrev_b32_e32 v2, 20, v27
	v_and_b32_e32 v0, 0x80000000, v0
	v_or3_b32 v1, v2, v0, v1
	v_mov_b32_e32 v0, v28
	buffer_store_dword v0, off, s[0:3], s32 offset:280 ; 4-byte Folded Spill
	buffer_store_dword v1, off, s[0:3], s32 offset:284 ; 4-byte Folded Spill
.LBB259_105:                            ;   in Loop: Header=BB259_11 Depth=1
	s_or_b32 exec_lo, exec_lo, s19
.LBB259_106:                            ;   in Loop: Header=BB259_11 Depth=1
	s_or_b32 exec_lo, exec_lo, s7
.LBB259_107:                            ;   in Loop: Header=BB259_11 Depth=1
	s_or_b32 exec_lo, exec_lo, s6
	flat_load_dword v0, v[45:46] offset:12
	v_mov_b32_e32 v1, 0
	v_mov_b32_e32 v2, 0
	buffer_store_dword v1, off, s[0:3], s32 offset:304 ; 4-byte Folded Spill
	buffer_store_dword v2, off, s[0:3], s32 offset:308 ; 4-byte Folded Spill
	v_mov_b32_e32 v1, 0
	v_mov_b32_e32 v2, 0
	buffer_store_dword v1, off, s[0:3], s32 offset:296 ; 4-byte Folded Spill
	buffer_store_dword v2, off, s[0:3], s32 offset:300 ; 4-byte Folded Spill
	s_waitcnt vmcnt(0) lgkmcnt(0)
	v_cmp_ne_u16_sdwa s5, v0, v28 src0_sel:BYTE_0 src1_sel:DWORD
	s_and_saveexec_b32 s6, s5
	s_cbranch_execz .LBB259_115
; %bb.108:                              ;   in Loop: Header=BB259_11 Depth=1
	v_bfrev_b32_e32 v1, 1
	v_mov_b32_e32 v2, 0
	buffer_store_dword v1, off, s[0:3], s32 offset:296 ; 4-byte Folded Spill
	buffer_store_dword v2, off, s[0:3], s32 offset:300 ; 4-byte Folded Spill
	v_mov_b32_e32 v1, 0x80
	v_cmp_ne_u16_sdwa s5, v0, v1 src0_sel:BYTE_0 src1_sel:DWORD
	s_and_saveexec_b32 s7, s5
	s_cbranch_execz .LBB259_114
; %bb.109:                              ;   in Loop: Header=BB259_11 Depth=1
	v_mov_b32_e32 v3, 0x7f800001
	v_and_b32_e32 v2, 0x7f, v0
	v_mov_b32_e32 v4, 0
	s_mov_b32 s19, exec_lo
	buffer_store_dword v3, off, s[0:3], s32 offset:296 ; 4-byte Folded Spill
	buffer_store_dword v4, off, s[0:3], s32 offset:300 ; 4-byte Folded Spill
	v_cmpx_ne_u32_e32 0x7f, v2
	s_cbranch_execz .LBB259_113
; %bb.110:                              ;   in Loop: Header=BB259_11 Depth=1
	v_and_b32_e32 v27, 7, v0
	v_lshrrev_b32_e32 v1, 3, v2
	s_mov_b32 s22, exec_lo
	v_cmpx_gt_u32_e32 8, v2
; %bb.111:                              ;   in Loop: Header=BB259_11 Depth=1
	v_ffbh_u32_e32 v1, v27
	v_min_u32_e32 v1, 32, v1
	v_subrev_nc_u32_e32 v2, 28, v1
	v_sub_nc_u32_e32 v1, 29, v1
	v_lshlrev_b64 v[2:3], v2, v[27:28]
	v_and_b32_e32 v27, 7, v2
; %bb.112:                              ;   in Loop: Header=BB259_11 Depth=1
	s_or_b32 exec_lo, exec_lo, s22
	v_lshlrev_b32_e32 v2, 24, v0
	v_lshlrev_b32_e32 v3, 20, v27
	v_lshl_add_u32 v1, v1, 23, 0x3c000000
	v_and_b32_e32 v2, 0x80000000, v2
	v_or3_b32 v27, v3, v2, v1
	buffer_store_dword v27, off, s[0:3], s32 offset:296 ; 4-byte Folded Spill
	buffer_store_dword v28, off, s[0:3], s32 offset:300 ; 4-byte Folded Spill
.LBB259_113:                            ;   in Loop: Header=BB259_11 Depth=1
	s_or_b32 exec_lo, exec_lo, s19
.LBB259_114:                            ;   in Loop: Header=BB259_11 Depth=1
	s_or_b32 exec_lo, exec_lo, s7
.LBB259_115:                            ;   in Loop: Header=BB259_11 Depth=1
	s_or_b32 exec_lo, exec_lo, s6
	v_cmp_ne_u16_sdwa s5, v0, v28 src0_sel:BYTE_1 src1_sel:DWORD
	s_and_saveexec_b32 s6, s5
	s_cbranch_execz .LBB259_123
; %bb.116:                              ;   in Loop: Header=BB259_11 Depth=1
	v_mov_b32_e32 v1, 0x80
	v_mov_b32_e32 v98, v28
	buffer_store_dword v98, off, s[0:3], s32 offset:304 ; 4-byte Folded Spill
	buffer_store_dword v99, off, s[0:3], s32 offset:308 ; 4-byte Folded Spill
	v_cmp_ne_u16_sdwa s5, v0, v1 src0_sel:BYTE_1 src1_sel:DWORD
	s_and_saveexec_b32 s7, s5
	s_cbranch_execz .LBB259_122
; %bb.117:                              ;   in Loop: Header=BB259_11 Depth=1
	v_mov_b32_e32 v1, 0xffff
	v_mov_b32_e32 v116, v28
	s_mov_b32 s19, exec_lo
	buffer_store_dword v116, off, s[0:3], s32 offset:304 ; 4-byte Folded Spill
	buffer_store_dword v117, off, s[0:3], s32 offset:308 ; 4-byte Folded Spill
	v_and_b32_sdwa v1, v1, v0 dst_sel:DWORD dst_unused:UNUSED_PAD src0_sel:DWORD src1_sel:BYTE_1
	v_and_b32_e32 v2, 0x7f, v1
	v_cmpx_ne_u32_e32 0x7f, v2
	s_cbranch_execz .LBB259_121
; %bb.118:                              ;   in Loop: Header=BB259_11 Depth=1
	v_and_b32_e32 v27, 7, v1
	v_lshrrev_b32_e32 v1, 3, v2
	s_mov_b32 s22, exec_lo
	v_cmpx_gt_u32_e32 8, v2
; %bb.119:                              ;   in Loop: Header=BB259_11 Depth=1
	v_ffbh_u32_e32 v1, v27
	v_min_u32_e32 v1, 32, v1
	v_subrev_nc_u32_e32 v2, 28, v1
	v_sub_nc_u32_e32 v1, 29, v1
	v_lshlrev_b64 v[2:3], v2, v[27:28]
	v_and_b32_e32 v27, 7, v2
; %bb.120:                              ;   in Loop: Header=BB259_11 Depth=1
	s_or_b32 exec_lo, exec_lo, s22
	v_lshlrev_b32_e32 v2, 16, v0
	v_lshlrev_b32_e32 v3, 20, v27
	v_lshl_add_u32 v1, v1, 23, 0x3c000000
	v_and_b32_e32 v2, 0x80000000, v2
	v_or3_b32 v2, v3, v2, v1
	v_mov_b32_e32 v1, v28
	buffer_store_dword v1, off, s[0:3], s32 offset:304 ; 4-byte Folded Spill
	buffer_store_dword v2, off, s[0:3], s32 offset:308 ; 4-byte Folded Spill
.LBB259_121:                            ;   in Loop: Header=BB259_11 Depth=1
	s_or_b32 exec_lo, exec_lo, s19
.LBB259_122:                            ;   in Loop: Header=BB259_11 Depth=1
	s_or_b32 exec_lo, exec_lo, s7
.LBB259_123:                            ;   in Loop: Header=BB259_11 Depth=1
	s_or_b32 exec_lo, exec_lo, s6
	v_mov_b32_e32 v2, 0
	v_mov_b32_e32 v3, 0
	v_and_b32_sdwa v1, v0, v6 dst_sel:DWORD dst_unused:UNUSED_PAD src0_sel:WORD_1 src1_sel:DWORD
	s_mov_b32 s6, exec_lo
	buffer_store_dword v2, off, s[0:3], s32 offset:312 ; 4-byte Folded Spill
	buffer_store_dword v3, off, s[0:3], s32 offset:316 ; 4-byte Folded Spill
	v_mov_b32_e32 v2, 0
	v_mov_b32_e32 v3, 0
	buffer_store_dword v2, off, s[0:3], s32 offset:320 ; 4-byte Folded Spill
	buffer_store_dword v3, off, s[0:3], s32 offset:324 ; 4-byte Folded Spill
	v_cmpx_ne_u16_e32 0, v1
	s_cbranch_execz .LBB259_131
; %bb.124:                              ;   in Loop: Header=BB259_11 Depth=1
	v_cmp_ne_u16_e64 s5, 0x80, v1
	v_bfrev_b32_e32 v1, 1
	v_mov_b32_e32 v2, 0
	buffer_store_dword v1, off, s[0:3], s32 offset:320 ; 4-byte Folded Spill
	buffer_store_dword v2, off, s[0:3], s32 offset:324 ; 4-byte Folded Spill
	s_and_saveexec_b32 s7, s5
	s_cbranch_execz .LBB259_130
; %bb.125:                              ;   in Loop: Header=BB259_11 Depth=1
	v_mov_b32_e32 v3, 0x7f800001
	v_bfe_u32 v2, v0, 16, 7
	v_mov_b32_e32 v4, 0
	s_mov_b32 s19, exec_lo
	buffer_store_dword v3, off, s[0:3], s32 offset:320 ; 4-byte Folded Spill
	buffer_store_dword v4, off, s[0:3], s32 offset:324 ; 4-byte Folded Spill
	v_cmpx_ne_u32_e32 0x7f, v2
	s_cbranch_execz .LBB259_129
; %bb.126:                              ;   in Loop: Header=BB259_11 Depth=1
	v_mov_b32_e32 v1, 7
	s_mov_b32 s22, exec_lo
	v_and_b32_sdwa v27, v0, v1 dst_sel:DWORD dst_unused:UNUSED_PAD src0_sel:WORD_1 src1_sel:DWORD
	v_lshrrev_b32_e32 v1, 3, v2
	v_cmpx_gt_u32_e32 8, v2
; %bb.127:                              ;   in Loop: Header=BB259_11 Depth=1
	v_ffbh_u32_e32 v1, v27
	v_min_u32_e32 v1, 32, v1
	v_subrev_nc_u32_e32 v2, 28, v1
	v_sub_nc_u32_e32 v1, 29, v1
	v_lshlrev_b64 v[2:3], v2, v[27:28]
	v_and_b32_e32 v27, 7, v2
; %bb.128:                              ;   in Loop: Header=BB259_11 Depth=1
	s_or_b32 exec_lo, exec_lo, s22
	v_mov_b32_e32 v2, 24
	v_lshlrev_b32_e32 v3, 20, v27
	v_lshl_add_u32 v1, v1, 23, 0x3c000000
	v_lshlrev_b32_sdwa v2, v2, v0 dst_sel:DWORD dst_unused:UNUSED_PAD src0_sel:DWORD src1_sel:WORD_1
	v_and_b32_e32 v2, 0x80000000, v2
	v_or3_b32 v27, v3, v2, v1
	buffer_store_dword v27, off, s[0:3], s32 offset:320 ; 4-byte Folded Spill
	buffer_store_dword v28, off, s[0:3], s32 offset:324 ; 4-byte Folded Spill
.LBB259_129:                            ;   in Loop: Header=BB259_11 Depth=1
	s_or_b32 exec_lo, exec_lo, s19
.LBB259_130:                            ;   in Loop: Header=BB259_11 Depth=1
	s_or_b32 exec_lo, exec_lo, s7
.LBB259_131:                            ;   in Loop: Header=BB259_11 Depth=1
	s_or_b32 exec_lo, exec_lo, s6
	s_mov_b32 s6, exec_lo
	v_cmpx_lt_u32_e32 0xffffff, v0
	s_cbranch_execz .LBB259_139
; %bb.132:                              ;   in Loop: Header=BB259_11 Depth=1
	v_mov_b32_e32 v1, 0x80
	v_mov_b32_e32 v98, v28
	buffer_store_dword v98, off, s[0:3], s32 offset:312 ; 4-byte Folded Spill
	buffer_store_dword v99, off, s[0:3], s32 offset:316 ; 4-byte Folded Spill
	v_cmp_ne_u32_sdwa s5, v0, v1 src0_sel:BYTE_3 src1_sel:DWORD
	s_and_saveexec_b32 s7, s5
	s_cbranch_execz .LBB259_138
; %bb.133:                              ;   in Loop: Header=BB259_11 Depth=1
	v_bfe_u32 v2, v0, 24, 7
	v_mov_b32_e32 v116, v28
	s_mov_b32 s19, exec_lo
	buffer_store_dword v116, off, s[0:3], s32 offset:312 ; 4-byte Folded Spill
	buffer_store_dword v117, off, s[0:3], s32 offset:316 ; 4-byte Folded Spill
	v_cmpx_ne_u32_e32 0x7f, v2
	s_cbranch_execz .LBB259_137
; %bb.134:                              ;   in Loop: Header=BB259_11 Depth=1
	v_mov_b32_e32 v1, 7
	s_mov_b32 s22, exec_lo
	v_and_b32_sdwa v27, v0, v1 dst_sel:DWORD dst_unused:UNUSED_PAD src0_sel:BYTE_3 src1_sel:DWORD
	v_lshrrev_b32_e32 v1, 3, v2
	v_cmpx_gt_u32_e32 8, v2
; %bb.135:                              ;   in Loop: Header=BB259_11 Depth=1
	v_ffbh_u32_e32 v1, v27
	v_min_u32_e32 v1, 32, v1
	v_subrev_nc_u32_e32 v2, 28, v1
	v_sub_nc_u32_e32 v1, 29, v1
	v_lshlrev_b64 v[2:3], v2, v[27:28]
	v_and_b32_e32 v27, 7, v2
; %bb.136:                              ;   in Loop: Header=BB259_11 Depth=1
	s_or_b32 exec_lo, exec_lo, s22
	v_mov_b32_e32 v2, 24
	v_lshl_add_u32 v1, v1, 23, 0x3c000000
	v_lshlrev_b32_sdwa v0, v2, v0 dst_sel:DWORD dst_unused:UNUSED_PAD src0_sel:DWORD src1_sel:BYTE_3
	v_lshlrev_b32_e32 v2, 20, v27
	v_and_b32_e32 v0, 0x80000000, v0
	v_or3_b32 v1, v2, v0, v1
	v_mov_b32_e32 v0, v28
	buffer_store_dword v0, off, s[0:3], s32 offset:312 ; 4-byte Folded Spill
	buffer_store_dword v1, off, s[0:3], s32 offset:316 ; 4-byte Folded Spill
.LBB259_137:                            ;   in Loop: Header=BB259_11 Depth=1
	s_or_b32 exec_lo, exec_lo, s19
.LBB259_138:                            ;   in Loop: Header=BB259_11 Depth=1
	s_or_b32 exec_lo, exec_lo, s7
.LBB259_139:                            ;   in Loop: Header=BB259_11 Depth=1
	s_or_b32 exec_lo, exec_lo, s6
	flat_load_dword v0, v[45:46] offset:512
	v_mov_b32_e32 v1, 0
	v_mov_b32_e32 v2, 0
	buffer_store_dword v1, off, s[0:3], s32 offset:336 ; 4-byte Folded Spill
	buffer_store_dword v2, off, s[0:3], s32 offset:340 ; 4-byte Folded Spill
	v_mov_b32_e32 v1, 0
	v_mov_b32_e32 v2, 0
	buffer_store_dword v1, off, s[0:3], s32 offset:328 ; 4-byte Folded Spill
	buffer_store_dword v2, off, s[0:3], s32 offset:332 ; 4-byte Folded Spill
	s_waitcnt vmcnt(0) lgkmcnt(0)
	v_cmp_ne_u16_sdwa s5, v0, v28 src0_sel:BYTE_0 src1_sel:DWORD
	s_and_saveexec_b32 s6, s5
	s_cbranch_execz .LBB259_147
; %bb.140:                              ;   in Loop: Header=BB259_11 Depth=1
	v_bfrev_b32_e32 v1, 1
	v_mov_b32_e32 v2, 0
	buffer_store_dword v1, off, s[0:3], s32 offset:328 ; 4-byte Folded Spill
	buffer_store_dword v2, off, s[0:3], s32 offset:332 ; 4-byte Folded Spill
	v_mov_b32_e32 v1, 0x80
	v_cmp_ne_u16_sdwa s5, v0, v1 src0_sel:BYTE_0 src1_sel:DWORD
	s_and_saveexec_b32 s7, s5
	s_cbranch_execz .LBB259_146
; %bb.141:                              ;   in Loop: Header=BB259_11 Depth=1
	v_mov_b32_e32 v3, 0x7f800001
	v_and_b32_e32 v2, 0x7f, v0
	v_mov_b32_e32 v4, 0
	s_mov_b32 s19, exec_lo
	buffer_store_dword v3, off, s[0:3], s32 offset:328 ; 4-byte Folded Spill
	buffer_store_dword v4, off, s[0:3], s32 offset:332 ; 4-byte Folded Spill
	v_cmpx_ne_u32_e32 0x7f, v2
	s_cbranch_execz .LBB259_145
; %bb.142:                              ;   in Loop: Header=BB259_11 Depth=1
	v_and_b32_e32 v27, 7, v0
	v_lshrrev_b32_e32 v1, 3, v2
	s_mov_b32 s22, exec_lo
	v_cmpx_gt_u32_e32 8, v2
; %bb.143:                              ;   in Loop: Header=BB259_11 Depth=1
	v_ffbh_u32_e32 v1, v27
	v_min_u32_e32 v1, 32, v1
	v_subrev_nc_u32_e32 v2, 28, v1
	v_sub_nc_u32_e32 v1, 29, v1
	v_lshlrev_b64 v[2:3], v2, v[27:28]
	v_and_b32_e32 v27, 7, v2
; %bb.144:                              ;   in Loop: Header=BB259_11 Depth=1
	s_or_b32 exec_lo, exec_lo, s22
	v_lshlrev_b32_e32 v2, 24, v0
	v_lshlrev_b32_e32 v3, 20, v27
	v_lshl_add_u32 v1, v1, 23, 0x3c000000
	v_and_b32_e32 v2, 0x80000000, v2
	v_or3_b32 v27, v3, v2, v1
	buffer_store_dword v27, off, s[0:3], s32 offset:328 ; 4-byte Folded Spill
	buffer_store_dword v28, off, s[0:3], s32 offset:332 ; 4-byte Folded Spill
.LBB259_145:                            ;   in Loop: Header=BB259_11 Depth=1
	s_or_b32 exec_lo, exec_lo, s19
.LBB259_146:                            ;   in Loop: Header=BB259_11 Depth=1
	s_or_b32 exec_lo, exec_lo, s7
.LBB259_147:                            ;   in Loop: Header=BB259_11 Depth=1
	s_or_b32 exec_lo, exec_lo, s6
	v_cmp_ne_u16_sdwa s5, v0, v28 src0_sel:BYTE_1 src1_sel:DWORD
	s_and_saveexec_b32 s6, s5
	s_cbranch_execz .LBB259_155
; %bb.148:                              ;   in Loop: Header=BB259_11 Depth=1
	v_mov_b32_e32 v1, 0x80
	v_mov_b32_e32 v98, v28
	buffer_store_dword v98, off, s[0:3], s32 offset:336 ; 4-byte Folded Spill
	buffer_store_dword v99, off, s[0:3], s32 offset:340 ; 4-byte Folded Spill
	v_cmp_ne_u16_sdwa s5, v0, v1 src0_sel:BYTE_1 src1_sel:DWORD
	s_and_saveexec_b32 s7, s5
	s_cbranch_execz .LBB259_154
; %bb.149:                              ;   in Loop: Header=BB259_11 Depth=1
	v_mov_b32_e32 v1, 0xffff
	v_mov_b32_e32 v116, v28
	s_mov_b32 s19, exec_lo
	buffer_store_dword v116, off, s[0:3], s32 offset:336 ; 4-byte Folded Spill
	buffer_store_dword v117, off, s[0:3], s32 offset:340 ; 4-byte Folded Spill
	v_and_b32_sdwa v1, v1, v0 dst_sel:DWORD dst_unused:UNUSED_PAD src0_sel:DWORD src1_sel:BYTE_1
	v_and_b32_e32 v2, 0x7f, v1
	v_cmpx_ne_u32_e32 0x7f, v2
	s_cbranch_execz .LBB259_153
; %bb.150:                              ;   in Loop: Header=BB259_11 Depth=1
	v_and_b32_e32 v27, 7, v1
	v_lshrrev_b32_e32 v1, 3, v2
	s_mov_b32 s22, exec_lo
	v_cmpx_gt_u32_e32 8, v2
; %bb.151:                              ;   in Loop: Header=BB259_11 Depth=1
	v_ffbh_u32_e32 v1, v27
	v_min_u32_e32 v1, 32, v1
	v_subrev_nc_u32_e32 v2, 28, v1
	v_sub_nc_u32_e32 v1, 29, v1
	v_lshlrev_b64 v[2:3], v2, v[27:28]
	v_and_b32_e32 v27, 7, v2
; %bb.152:                              ;   in Loop: Header=BB259_11 Depth=1
	s_or_b32 exec_lo, exec_lo, s22
	v_lshlrev_b32_e32 v2, 16, v0
	v_lshlrev_b32_e32 v3, 20, v27
	v_lshl_add_u32 v1, v1, 23, 0x3c000000
	v_and_b32_e32 v2, 0x80000000, v2
	v_or3_b32 v2, v3, v2, v1
	v_mov_b32_e32 v1, v28
	buffer_store_dword v1, off, s[0:3], s32 offset:336 ; 4-byte Folded Spill
	buffer_store_dword v2, off, s[0:3], s32 offset:340 ; 4-byte Folded Spill
.LBB259_153:                            ;   in Loop: Header=BB259_11 Depth=1
	s_or_b32 exec_lo, exec_lo, s19
.LBB259_154:                            ;   in Loop: Header=BB259_11 Depth=1
	s_or_b32 exec_lo, exec_lo, s7
.LBB259_155:                            ;   in Loop: Header=BB259_11 Depth=1
	s_or_b32 exec_lo, exec_lo, s6
	v_mov_b32_e32 v2, 0
	v_mov_b32_e32 v3, 0
	v_and_b32_sdwa v1, v0, v6 dst_sel:DWORD dst_unused:UNUSED_PAD src0_sel:WORD_1 src1_sel:DWORD
	s_mov_b32 s6, exec_lo
	buffer_store_dword v2, off, s[0:3], s32 offset:344 ; 4-byte Folded Spill
	buffer_store_dword v3, off, s[0:3], s32 offset:348 ; 4-byte Folded Spill
	v_mov_b32_e32 v2, 0
	v_mov_b32_e32 v3, 0
	buffer_store_dword v2, off, s[0:3], s32 offset:352 ; 4-byte Folded Spill
	buffer_store_dword v3, off, s[0:3], s32 offset:356 ; 4-byte Folded Spill
	v_cmpx_ne_u16_e32 0, v1
	s_cbranch_execz .LBB259_163
; %bb.156:                              ;   in Loop: Header=BB259_11 Depth=1
	v_cmp_ne_u16_e64 s5, 0x80, v1
	v_bfrev_b32_e32 v1, 1
	v_mov_b32_e32 v2, 0
	buffer_store_dword v1, off, s[0:3], s32 offset:352 ; 4-byte Folded Spill
	buffer_store_dword v2, off, s[0:3], s32 offset:356 ; 4-byte Folded Spill
	s_and_saveexec_b32 s7, s5
	s_cbranch_execz .LBB259_162
; %bb.157:                              ;   in Loop: Header=BB259_11 Depth=1
	v_mov_b32_e32 v3, 0x7f800001
	v_bfe_u32 v2, v0, 16, 7
	v_mov_b32_e32 v4, 0
	s_mov_b32 s19, exec_lo
	buffer_store_dword v3, off, s[0:3], s32 offset:352 ; 4-byte Folded Spill
	buffer_store_dword v4, off, s[0:3], s32 offset:356 ; 4-byte Folded Spill
	v_cmpx_ne_u32_e32 0x7f, v2
	s_cbranch_execz .LBB259_161
; %bb.158:                              ;   in Loop: Header=BB259_11 Depth=1
	v_mov_b32_e32 v1, 7
	s_mov_b32 s22, exec_lo
	v_and_b32_sdwa v27, v0, v1 dst_sel:DWORD dst_unused:UNUSED_PAD src0_sel:WORD_1 src1_sel:DWORD
	v_lshrrev_b32_e32 v1, 3, v2
	v_cmpx_gt_u32_e32 8, v2
; %bb.159:                              ;   in Loop: Header=BB259_11 Depth=1
	v_ffbh_u32_e32 v1, v27
	v_min_u32_e32 v1, 32, v1
	v_subrev_nc_u32_e32 v2, 28, v1
	v_sub_nc_u32_e32 v1, 29, v1
	v_lshlrev_b64 v[2:3], v2, v[27:28]
	v_and_b32_e32 v27, 7, v2
; %bb.160:                              ;   in Loop: Header=BB259_11 Depth=1
	s_or_b32 exec_lo, exec_lo, s22
	v_mov_b32_e32 v2, 24
	v_lshlrev_b32_e32 v3, 20, v27
	v_lshl_add_u32 v1, v1, 23, 0x3c000000
	v_lshlrev_b32_sdwa v2, v2, v0 dst_sel:DWORD dst_unused:UNUSED_PAD src0_sel:DWORD src1_sel:WORD_1
	v_and_b32_e32 v2, 0x80000000, v2
	v_or3_b32 v27, v3, v2, v1
	buffer_store_dword v27, off, s[0:3], s32 offset:352 ; 4-byte Folded Spill
	buffer_store_dword v28, off, s[0:3], s32 offset:356 ; 4-byte Folded Spill
.LBB259_161:                            ;   in Loop: Header=BB259_11 Depth=1
	s_or_b32 exec_lo, exec_lo, s19
.LBB259_162:                            ;   in Loop: Header=BB259_11 Depth=1
	s_or_b32 exec_lo, exec_lo, s7
.LBB259_163:                            ;   in Loop: Header=BB259_11 Depth=1
	s_or_b32 exec_lo, exec_lo, s6
	s_mov_b32 s6, exec_lo
	v_cmpx_lt_u32_e32 0xffffff, v0
	s_cbranch_execz .LBB259_171
; %bb.164:                              ;   in Loop: Header=BB259_11 Depth=1
	v_mov_b32_e32 v1, 0x80
	v_mov_b32_e32 v98, v28
	buffer_store_dword v98, off, s[0:3], s32 offset:344 ; 4-byte Folded Spill
	buffer_store_dword v99, off, s[0:3], s32 offset:348 ; 4-byte Folded Spill
	v_cmp_ne_u32_sdwa s5, v0, v1 src0_sel:BYTE_3 src1_sel:DWORD
	s_and_saveexec_b32 s7, s5
	s_cbranch_execz .LBB259_170
; %bb.165:                              ;   in Loop: Header=BB259_11 Depth=1
	v_bfe_u32 v2, v0, 24, 7
	v_mov_b32_e32 v116, v28
	s_mov_b32 s19, exec_lo
	buffer_store_dword v116, off, s[0:3], s32 offset:344 ; 4-byte Folded Spill
	buffer_store_dword v117, off, s[0:3], s32 offset:348 ; 4-byte Folded Spill
	v_cmpx_ne_u32_e32 0x7f, v2
	s_cbranch_execz .LBB259_169
; %bb.166:                              ;   in Loop: Header=BB259_11 Depth=1
	v_mov_b32_e32 v1, 7
	s_mov_b32 s22, exec_lo
	v_and_b32_sdwa v27, v0, v1 dst_sel:DWORD dst_unused:UNUSED_PAD src0_sel:BYTE_3 src1_sel:DWORD
	v_lshrrev_b32_e32 v1, 3, v2
	v_cmpx_gt_u32_e32 8, v2
; %bb.167:                              ;   in Loop: Header=BB259_11 Depth=1
	v_ffbh_u32_e32 v1, v27
	v_min_u32_e32 v1, 32, v1
	v_subrev_nc_u32_e32 v2, 28, v1
	v_sub_nc_u32_e32 v1, 29, v1
	v_lshlrev_b64 v[2:3], v2, v[27:28]
	v_and_b32_e32 v27, 7, v2
; %bb.168:                              ;   in Loop: Header=BB259_11 Depth=1
	s_or_b32 exec_lo, exec_lo, s22
	v_mov_b32_e32 v2, 24
	v_lshl_add_u32 v1, v1, 23, 0x3c000000
	v_lshlrev_b32_sdwa v0, v2, v0 dst_sel:DWORD dst_unused:UNUSED_PAD src0_sel:DWORD src1_sel:BYTE_3
	v_lshlrev_b32_e32 v2, 20, v27
	v_and_b32_e32 v0, 0x80000000, v0
	v_or3_b32 v1, v2, v0, v1
	v_mov_b32_e32 v0, v28
	buffer_store_dword v0, off, s[0:3], s32 offset:344 ; 4-byte Folded Spill
	buffer_store_dword v1, off, s[0:3], s32 offset:348 ; 4-byte Folded Spill
.LBB259_169:                            ;   in Loop: Header=BB259_11 Depth=1
	s_or_b32 exec_lo, exec_lo, s19
.LBB259_170:                            ;   in Loop: Header=BB259_11 Depth=1
	s_or_b32 exec_lo, exec_lo, s7
.LBB259_171:                            ;   in Loop: Header=BB259_11 Depth=1
	s_or_b32 exec_lo, exec_lo, s6
	flat_load_dword v0, v[45:46] offset:516
	v_mov_b32_e32 v1, 0
	v_mov_b32_e32 v2, 0
	buffer_store_dword v1, off, s[0:3], s32 offset:368 ; 4-byte Folded Spill
	buffer_store_dword v2, off, s[0:3], s32 offset:372 ; 4-byte Folded Spill
	v_mov_b32_e32 v1, 0
	v_mov_b32_e32 v2, 0
	buffer_store_dword v1, off, s[0:3], s32 offset:360 ; 4-byte Folded Spill
	buffer_store_dword v2, off, s[0:3], s32 offset:364 ; 4-byte Folded Spill
	s_waitcnt vmcnt(0) lgkmcnt(0)
	v_cmp_ne_u16_sdwa s5, v0, v28 src0_sel:BYTE_0 src1_sel:DWORD
	s_and_saveexec_b32 s6, s5
	s_cbranch_execz .LBB259_179
; %bb.172:                              ;   in Loop: Header=BB259_11 Depth=1
	v_bfrev_b32_e32 v1, 1
	v_mov_b32_e32 v2, 0
	buffer_store_dword v1, off, s[0:3], s32 offset:360 ; 4-byte Folded Spill
	buffer_store_dword v2, off, s[0:3], s32 offset:364 ; 4-byte Folded Spill
	v_mov_b32_e32 v1, 0x80
	v_cmp_ne_u16_sdwa s5, v0, v1 src0_sel:BYTE_0 src1_sel:DWORD
	s_and_saveexec_b32 s7, s5
	s_cbranch_execz .LBB259_178
; %bb.173:                              ;   in Loop: Header=BB259_11 Depth=1
	v_mov_b32_e32 v3, 0x7f800001
	v_and_b32_e32 v2, 0x7f, v0
	v_mov_b32_e32 v4, 0
	s_mov_b32 s19, exec_lo
	buffer_store_dword v3, off, s[0:3], s32 offset:360 ; 4-byte Folded Spill
	buffer_store_dword v4, off, s[0:3], s32 offset:364 ; 4-byte Folded Spill
	v_cmpx_ne_u32_e32 0x7f, v2
	s_cbranch_execz .LBB259_177
; %bb.174:                              ;   in Loop: Header=BB259_11 Depth=1
	v_and_b32_e32 v27, 7, v0
	v_lshrrev_b32_e32 v1, 3, v2
	s_mov_b32 s22, exec_lo
	v_cmpx_gt_u32_e32 8, v2
; %bb.175:                              ;   in Loop: Header=BB259_11 Depth=1
	v_ffbh_u32_e32 v1, v27
	v_min_u32_e32 v1, 32, v1
	v_subrev_nc_u32_e32 v2, 28, v1
	v_sub_nc_u32_e32 v1, 29, v1
	v_lshlrev_b64 v[2:3], v2, v[27:28]
	v_and_b32_e32 v27, 7, v2
; %bb.176:                              ;   in Loop: Header=BB259_11 Depth=1
	s_or_b32 exec_lo, exec_lo, s22
	v_lshlrev_b32_e32 v2, 24, v0
	v_lshlrev_b32_e32 v3, 20, v27
	v_lshl_add_u32 v1, v1, 23, 0x3c000000
	v_and_b32_e32 v2, 0x80000000, v2
	v_or3_b32 v27, v3, v2, v1
	buffer_store_dword v27, off, s[0:3], s32 offset:360 ; 4-byte Folded Spill
	buffer_store_dword v28, off, s[0:3], s32 offset:364 ; 4-byte Folded Spill
.LBB259_177:                            ;   in Loop: Header=BB259_11 Depth=1
	s_or_b32 exec_lo, exec_lo, s19
.LBB259_178:                            ;   in Loop: Header=BB259_11 Depth=1
	s_or_b32 exec_lo, exec_lo, s7
.LBB259_179:                            ;   in Loop: Header=BB259_11 Depth=1
	s_or_b32 exec_lo, exec_lo, s6
	v_cmp_ne_u16_sdwa s5, v0, v28 src0_sel:BYTE_1 src1_sel:DWORD
	s_and_saveexec_b32 s6, s5
	s_cbranch_execz .LBB259_187
; %bb.180:                              ;   in Loop: Header=BB259_11 Depth=1
	v_mov_b32_e32 v1, 0x80
	v_mov_b32_e32 v98, v28
	buffer_store_dword v98, off, s[0:3], s32 offset:368 ; 4-byte Folded Spill
	buffer_store_dword v99, off, s[0:3], s32 offset:372 ; 4-byte Folded Spill
	v_cmp_ne_u16_sdwa s5, v0, v1 src0_sel:BYTE_1 src1_sel:DWORD
	s_and_saveexec_b32 s7, s5
	s_cbranch_execz .LBB259_186
; %bb.181:                              ;   in Loop: Header=BB259_11 Depth=1
	v_mov_b32_e32 v1, 0xffff
	v_mov_b32_e32 v116, v28
	s_mov_b32 s19, exec_lo
	buffer_store_dword v116, off, s[0:3], s32 offset:368 ; 4-byte Folded Spill
	buffer_store_dword v117, off, s[0:3], s32 offset:372 ; 4-byte Folded Spill
	v_and_b32_sdwa v1, v1, v0 dst_sel:DWORD dst_unused:UNUSED_PAD src0_sel:DWORD src1_sel:BYTE_1
	v_and_b32_e32 v2, 0x7f, v1
	v_cmpx_ne_u32_e32 0x7f, v2
	s_cbranch_execz .LBB259_185
; %bb.182:                              ;   in Loop: Header=BB259_11 Depth=1
	v_and_b32_e32 v27, 7, v1
	v_lshrrev_b32_e32 v1, 3, v2
	s_mov_b32 s22, exec_lo
	v_cmpx_gt_u32_e32 8, v2
; %bb.183:                              ;   in Loop: Header=BB259_11 Depth=1
	v_ffbh_u32_e32 v1, v27
	v_min_u32_e32 v1, 32, v1
	v_subrev_nc_u32_e32 v2, 28, v1
	v_sub_nc_u32_e32 v1, 29, v1
	v_lshlrev_b64 v[2:3], v2, v[27:28]
	v_and_b32_e32 v27, 7, v2
; %bb.184:                              ;   in Loop: Header=BB259_11 Depth=1
	s_or_b32 exec_lo, exec_lo, s22
	v_lshlrev_b32_e32 v2, 16, v0
	v_lshlrev_b32_e32 v3, 20, v27
	v_lshl_add_u32 v1, v1, 23, 0x3c000000
	v_and_b32_e32 v2, 0x80000000, v2
	v_or3_b32 v2, v3, v2, v1
	v_mov_b32_e32 v1, v28
	buffer_store_dword v1, off, s[0:3], s32 offset:368 ; 4-byte Folded Spill
	buffer_store_dword v2, off, s[0:3], s32 offset:372 ; 4-byte Folded Spill
.LBB259_185:                            ;   in Loop: Header=BB259_11 Depth=1
	s_or_b32 exec_lo, exec_lo, s19
.LBB259_186:                            ;   in Loop: Header=BB259_11 Depth=1
	s_or_b32 exec_lo, exec_lo, s7
.LBB259_187:                            ;   in Loop: Header=BB259_11 Depth=1
	s_or_b32 exec_lo, exec_lo, s6
	v_mov_b32_e32 v2, 0
	v_mov_b32_e32 v3, 0
	v_and_b32_sdwa v1, v0, v6 dst_sel:DWORD dst_unused:UNUSED_PAD src0_sel:WORD_1 src1_sel:DWORD
	s_mov_b32 s6, exec_lo
	buffer_store_dword v2, off, s[0:3], s32 offset:376 ; 4-byte Folded Spill
	buffer_store_dword v3, off, s[0:3], s32 offset:380 ; 4-byte Folded Spill
	v_mov_b32_e32 v2, 0
	v_mov_b32_e32 v3, 0
	buffer_store_dword v2, off, s[0:3], s32 offset:384 ; 4-byte Folded Spill
	buffer_store_dword v3, off, s[0:3], s32 offset:388 ; 4-byte Folded Spill
	v_cmpx_ne_u16_e32 0, v1
	s_cbranch_execz .LBB259_195
; %bb.188:                              ;   in Loop: Header=BB259_11 Depth=1
	v_cmp_ne_u16_e64 s5, 0x80, v1
	v_bfrev_b32_e32 v1, 1
	v_mov_b32_e32 v2, 0
	buffer_store_dword v1, off, s[0:3], s32 offset:384 ; 4-byte Folded Spill
	buffer_store_dword v2, off, s[0:3], s32 offset:388 ; 4-byte Folded Spill
	s_and_saveexec_b32 s7, s5
	s_cbranch_execz .LBB259_194
; %bb.189:                              ;   in Loop: Header=BB259_11 Depth=1
	v_mov_b32_e32 v3, 0x7f800001
	v_bfe_u32 v2, v0, 16, 7
	v_mov_b32_e32 v4, 0
	s_mov_b32 s19, exec_lo
	buffer_store_dword v3, off, s[0:3], s32 offset:384 ; 4-byte Folded Spill
	buffer_store_dword v4, off, s[0:3], s32 offset:388 ; 4-byte Folded Spill
	v_cmpx_ne_u32_e32 0x7f, v2
	s_cbranch_execz .LBB259_193
; %bb.190:                              ;   in Loop: Header=BB259_11 Depth=1
	v_mov_b32_e32 v1, 7
	s_mov_b32 s22, exec_lo
	v_and_b32_sdwa v27, v0, v1 dst_sel:DWORD dst_unused:UNUSED_PAD src0_sel:WORD_1 src1_sel:DWORD
	v_lshrrev_b32_e32 v1, 3, v2
	v_cmpx_gt_u32_e32 8, v2
; %bb.191:                              ;   in Loop: Header=BB259_11 Depth=1
	v_ffbh_u32_e32 v1, v27
	v_min_u32_e32 v1, 32, v1
	v_subrev_nc_u32_e32 v2, 28, v1
	v_sub_nc_u32_e32 v1, 29, v1
	v_lshlrev_b64 v[2:3], v2, v[27:28]
	v_and_b32_e32 v27, 7, v2
; %bb.192:                              ;   in Loop: Header=BB259_11 Depth=1
	s_or_b32 exec_lo, exec_lo, s22
	v_mov_b32_e32 v2, 24
	v_lshlrev_b32_e32 v3, 20, v27
	v_lshl_add_u32 v1, v1, 23, 0x3c000000
	v_lshlrev_b32_sdwa v2, v2, v0 dst_sel:DWORD dst_unused:UNUSED_PAD src0_sel:DWORD src1_sel:WORD_1
	v_and_b32_e32 v2, 0x80000000, v2
	v_or3_b32 v27, v3, v2, v1
	buffer_store_dword v27, off, s[0:3], s32 offset:384 ; 4-byte Folded Spill
	buffer_store_dword v28, off, s[0:3], s32 offset:388 ; 4-byte Folded Spill
.LBB259_193:                            ;   in Loop: Header=BB259_11 Depth=1
	s_or_b32 exec_lo, exec_lo, s19
.LBB259_194:                            ;   in Loop: Header=BB259_11 Depth=1
	s_or_b32 exec_lo, exec_lo, s7
.LBB259_195:                            ;   in Loop: Header=BB259_11 Depth=1
	s_or_b32 exec_lo, exec_lo, s6
	s_mov_b32 s6, exec_lo
	v_cmpx_lt_u32_e32 0xffffff, v0
	s_cbranch_execz .LBB259_203
; %bb.196:                              ;   in Loop: Header=BB259_11 Depth=1
	v_mov_b32_e32 v1, 0x80
	v_mov_b32_e32 v98, v28
	buffer_store_dword v98, off, s[0:3], s32 offset:376 ; 4-byte Folded Spill
	buffer_store_dword v99, off, s[0:3], s32 offset:380 ; 4-byte Folded Spill
	v_cmp_ne_u32_sdwa s5, v0, v1 src0_sel:BYTE_3 src1_sel:DWORD
	s_and_saveexec_b32 s7, s5
	s_cbranch_execz .LBB259_202
; %bb.197:                              ;   in Loop: Header=BB259_11 Depth=1
	v_bfe_u32 v2, v0, 24, 7
	v_mov_b32_e32 v116, v28
	s_mov_b32 s19, exec_lo
	buffer_store_dword v116, off, s[0:3], s32 offset:376 ; 4-byte Folded Spill
	buffer_store_dword v117, off, s[0:3], s32 offset:380 ; 4-byte Folded Spill
	v_cmpx_ne_u32_e32 0x7f, v2
	s_cbranch_execz .LBB259_201
; %bb.198:                              ;   in Loop: Header=BB259_11 Depth=1
	v_mov_b32_e32 v1, 7
	s_mov_b32 s22, exec_lo
	v_and_b32_sdwa v27, v0, v1 dst_sel:DWORD dst_unused:UNUSED_PAD src0_sel:BYTE_3 src1_sel:DWORD
	v_lshrrev_b32_e32 v1, 3, v2
	v_cmpx_gt_u32_e32 8, v2
; %bb.199:                              ;   in Loop: Header=BB259_11 Depth=1
	v_ffbh_u32_e32 v1, v27
	v_min_u32_e32 v1, 32, v1
	v_subrev_nc_u32_e32 v2, 28, v1
	v_sub_nc_u32_e32 v1, 29, v1
	v_lshlrev_b64 v[2:3], v2, v[27:28]
	v_and_b32_e32 v27, 7, v2
; %bb.200:                              ;   in Loop: Header=BB259_11 Depth=1
	s_or_b32 exec_lo, exec_lo, s22
	v_mov_b32_e32 v2, 24
	v_lshl_add_u32 v1, v1, 23, 0x3c000000
	v_lshlrev_b32_sdwa v0, v2, v0 dst_sel:DWORD dst_unused:UNUSED_PAD src0_sel:DWORD src1_sel:BYTE_3
	v_lshlrev_b32_e32 v2, 20, v27
	v_and_b32_e32 v0, 0x80000000, v0
	v_or3_b32 v1, v2, v0, v1
	v_mov_b32_e32 v0, v28
	buffer_store_dword v0, off, s[0:3], s32 offset:376 ; 4-byte Folded Spill
	buffer_store_dword v1, off, s[0:3], s32 offset:380 ; 4-byte Folded Spill
.LBB259_201:                            ;   in Loop: Header=BB259_11 Depth=1
	s_or_b32 exec_lo, exec_lo, s19
.LBB259_202:                            ;   in Loop: Header=BB259_11 Depth=1
	s_or_b32 exec_lo, exec_lo, s7
.LBB259_203:                            ;   in Loop: Header=BB259_11 Depth=1
	s_or_b32 exec_lo, exec_lo, s6
	flat_load_dword v0, v[45:46] offset:520
	v_mov_b32_e32 v1, 0
	v_mov_b32_e32 v2, 0
	buffer_store_dword v1, off, s[0:3], s32 offset:400 ; 4-byte Folded Spill
	buffer_store_dword v2, off, s[0:3], s32 offset:404 ; 4-byte Folded Spill
	v_mov_b32_e32 v1, 0
	v_mov_b32_e32 v2, 0
	buffer_store_dword v1, off, s[0:3], s32 offset:392 ; 4-byte Folded Spill
	buffer_store_dword v2, off, s[0:3], s32 offset:396 ; 4-byte Folded Spill
	s_waitcnt vmcnt(0) lgkmcnt(0)
	v_cmp_ne_u16_sdwa s5, v0, v28 src0_sel:BYTE_0 src1_sel:DWORD
	s_and_saveexec_b32 s6, s5
	s_cbranch_execz .LBB259_211
; %bb.204:                              ;   in Loop: Header=BB259_11 Depth=1
	v_bfrev_b32_e32 v1, 1
	v_mov_b32_e32 v2, 0
	buffer_store_dword v1, off, s[0:3], s32 offset:392 ; 4-byte Folded Spill
	buffer_store_dword v2, off, s[0:3], s32 offset:396 ; 4-byte Folded Spill
	v_mov_b32_e32 v1, 0x80
	v_cmp_ne_u16_sdwa s5, v0, v1 src0_sel:BYTE_0 src1_sel:DWORD
	s_and_saveexec_b32 s7, s5
	s_cbranch_execz .LBB259_210
; %bb.205:                              ;   in Loop: Header=BB259_11 Depth=1
	v_mov_b32_e32 v3, 0x7f800001
	v_and_b32_e32 v2, 0x7f, v0
	v_mov_b32_e32 v4, 0
	s_mov_b32 s19, exec_lo
	buffer_store_dword v3, off, s[0:3], s32 offset:392 ; 4-byte Folded Spill
	buffer_store_dword v4, off, s[0:3], s32 offset:396 ; 4-byte Folded Spill
	v_cmpx_ne_u32_e32 0x7f, v2
	s_cbranch_execz .LBB259_209
; %bb.206:                              ;   in Loop: Header=BB259_11 Depth=1
	v_and_b32_e32 v27, 7, v0
	v_lshrrev_b32_e32 v1, 3, v2
	s_mov_b32 s22, exec_lo
	v_cmpx_gt_u32_e32 8, v2
; %bb.207:                              ;   in Loop: Header=BB259_11 Depth=1
	v_ffbh_u32_e32 v1, v27
	v_min_u32_e32 v1, 32, v1
	v_subrev_nc_u32_e32 v2, 28, v1
	v_sub_nc_u32_e32 v1, 29, v1
	v_lshlrev_b64 v[2:3], v2, v[27:28]
	v_and_b32_e32 v27, 7, v2
; %bb.208:                              ;   in Loop: Header=BB259_11 Depth=1
	s_or_b32 exec_lo, exec_lo, s22
	v_lshlrev_b32_e32 v2, 24, v0
	v_lshlrev_b32_e32 v3, 20, v27
	v_lshl_add_u32 v1, v1, 23, 0x3c000000
	v_and_b32_e32 v2, 0x80000000, v2
	v_or3_b32 v27, v3, v2, v1
	buffer_store_dword v27, off, s[0:3], s32 offset:392 ; 4-byte Folded Spill
	buffer_store_dword v28, off, s[0:3], s32 offset:396 ; 4-byte Folded Spill
.LBB259_209:                            ;   in Loop: Header=BB259_11 Depth=1
	s_or_b32 exec_lo, exec_lo, s19
.LBB259_210:                            ;   in Loop: Header=BB259_11 Depth=1
	s_or_b32 exec_lo, exec_lo, s7
.LBB259_211:                            ;   in Loop: Header=BB259_11 Depth=1
	s_or_b32 exec_lo, exec_lo, s6
	v_cmp_ne_u16_sdwa s5, v0, v28 src0_sel:BYTE_1 src1_sel:DWORD
	s_and_saveexec_b32 s6, s5
	s_cbranch_execz .LBB259_219
; %bb.212:                              ;   in Loop: Header=BB259_11 Depth=1
	v_mov_b32_e32 v1, 0x80
	v_mov_b32_e32 v98, v28
	buffer_store_dword v98, off, s[0:3], s32 offset:400 ; 4-byte Folded Spill
	buffer_store_dword v99, off, s[0:3], s32 offset:404 ; 4-byte Folded Spill
	v_cmp_ne_u16_sdwa s5, v0, v1 src0_sel:BYTE_1 src1_sel:DWORD
	s_and_saveexec_b32 s7, s5
	s_cbranch_execz .LBB259_218
; %bb.213:                              ;   in Loop: Header=BB259_11 Depth=1
	v_mov_b32_e32 v1, 0xffff
	v_mov_b32_e32 v116, v28
	s_mov_b32 s19, exec_lo
	buffer_store_dword v116, off, s[0:3], s32 offset:400 ; 4-byte Folded Spill
	buffer_store_dword v117, off, s[0:3], s32 offset:404 ; 4-byte Folded Spill
	v_and_b32_sdwa v1, v1, v0 dst_sel:DWORD dst_unused:UNUSED_PAD src0_sel:DWORD src1_sel:BYTE_1
	v_and_b32_e32 v2, 0x7f, v1
	v_cmpx_ne_u32_e32 0x7f, v2
	s_cbranch_execz .LBB259_217
; %bb.214:                              ;   in Loop: Header=BB259_11 Depth=1
	v_and_b32_e32 v27, 7, v1
	v_lshrrev_b32_e32 v1, 3, v2
	s_mov_b32 s22, exec_lo
	v_cmpx_gt_u32_e32 8, v2
; %bb.215:                              ;   in Loop: Header=BB259_11 Depth=1
	v_ffbh_u32_e32 v1, v27
	v_min_u32_e32 v1, 32, v1
	v_subrev_nc_u32_e32 v2, 28, v1
	v_sub_nc_u32_e32 v1, 29, v1
	v_lshlrev_b64 v[2:3], v2, v[27:28]
	v_and_b32_e32 v27, 7, v2
; %bb.216:                              ;   in Loop: Header=BB259_11 Depth=1
	s_or_b32 exec_lo, exec_lo, s22
	v_lshlrev_b32_e32 v2, 16, v0
	v_lshlrev_b32_e32 v3, 20, v27
	v_lshl_add_u32 v1, v1, 23, 0x3c000000
	v_and_b32_e32 v2, 0x80000000, v2
	v_or3_b32 v2, v3, v2, v1
	v_mov_b32_e32 v1, v28
	buffer_store_dword v1, off, s[0:3], s32 offset:400 ; 4-byte Folded Spill
	buffer_store_dword v2, off, s[0:3], s32 offset:404 ; 4-byte Folded Spill
.LBB259_217:                            ;   in Loop: Header=BB259_11 Depth=1
	s_or_b32 exec_lo, exec_lo, s19
.LBB259_218:                            ;   in Loop: Header=BB259_11 Depth=1
	s_or_b32 exec_lo, exec_lo, s7
.LBB259_219:                            ;   in Loop: Header=BB259_11 Depth=1
	s_or_b32 exec_lo, exec_lo, s6
	v_mov_b32_e32 v2, 0
	v_mov_b32_e32 v3, 0
	v_and_b32_sdwa v1, v0, v6 dst_sel:DWORD dst_unused:UNUSED_PAD src0_sel:WORD_1 src1_sel:DWORD
	s_mov_b32 s6, exec_lo
	buffer_store_dword v2, off, s[0:3], s32 offset:408 ; 4-byte Folded Spill
	buffer_store_dword v3, off, s[0:3], s32 offset:412 ; 4-byte Folded Spill
	v_mov_b32_e32 v2, 0
	v_mov_b32_e32 v3, 0
	buffer_store_dword v2, off, s[0:3], s32 offset:416 ; 4-byte Folded Spill
	buffer_store_dword v3, off, s[0:3], s32 offset:420 ; 4-byte Folded Spill
	v_cmpx_ne_u16_e32 0, v1
	s_cbranch_execz .LBB259_227
; %bb.220:                              ;   in Loop: Header=BB259_11 Depth=1
	v_cmp_ne_u16_e64 s5, 0x80, v1
	v_bfrev_b32_e32 v1, 1
	v_mov_b32_e32 v2, 0
	buffer_store_dword v1, off, s[0:3], s32 offset:416 ; 4-byte Folded Spill
	buffer_store_dword v2, off, s[0:3], s32 offset:420 ; 4-byte Folded Spill
	s_and_saveexec_b32 s7, s5
	s_cbranch_execz .LBB259_226
; %bb.221:                              ;   in Loop: Header=BB259_11 Depth=1
	v_mov_b32_e32 v3, 0x7f800001
	v_bfe_u32 v2, v0, 16, 7
	v_mov_b32_e32 v4, 0
	s_mov_b32 s19, exec_lo
	buffer_store_dword v3, off, s[0:3], s32 offset:416 ; 4-byte Folded Spill
	buffer_store_dword v4, off, s[0:3], s32 offset:420 ; 4-byte Folded Spill
	v_cmpx_ne_u32_e32 0x7f, v2
	s_cbranch_execz .LBB259_225
; %bb.222:                              ;   in Loop: Header=BB259_11 Depth=1
	v_mov_b32_e32 v1, 7
	s_mov_b32 s22, exec_lo
	v_and_b32_sdwa v27, v0, v1 dst_sel:DWORD dst_unused:UNUSED_PAD src0_sel:WORD_1 src1_sel:DWORD
	v_lshrrev_b32_e32 v1, 3, v2
	v_cmpx_gt_u32_e32 8, v2
; %bb.223:                              ;   in Loop: Header=BB259_11 Depth=1
	v_ffbh_u32_e32 v1, v27
	v_min_u32_e32 v1, 32, v1
	v_subrev_nc_u32_e32 v2, 28, v1
	v_sub_nc_u32_e32 v1, 29, v1
	v_lshlrev_b64 v[2:3], v2, v[27:28]
	v_and_b32_e32 v27, 7, v2
; %bb.224:                              ;   in Loop: Header=BB259_11 Depth=1
	s_or_b32 exec_lo, exec_lo, s22
	v_mov_b32_e32 v2, 24
	v_lshlrev_b32_e32 v3, 20, v27
	v_lshl_add_u32 v1, v1, 23, 0x3c000000
	v_lshlrev_b32_sdwa v2, v2, v0 dst_sel:DWORD dst_unused:UNUSED_PAD src0_sel:DWORD src1_sel:WORD_1
	v_and_b32_e32 v2, 0x80000000, v2
	v_or3_b32 v27, v3, v2, v1
	buffer_store_dword v27, off, s[0:3], s32 offset:416 ; 4-byte Folded Spill
	buffer_store_dword v28, off, s[0:3], s32 offset:420 ; 4-byte Folded Spill
.LBB259_225:                            ;   in Loop: Header=BB259_11 Depth=1
	s_or_b32 exec_lo, exec_lo, s19
.LBB259_226:                            ;   in Loop: Header=BB259_11 Depth=1
	s_or_b32 exec_lo, exec_lo, s7
.LBB259_227:                            ;   in Loop: Header=BB259_11 Depth=1
	s_or_b32 exec_lo, exec_lo, s6
	s_mov_b32 s6, exec_lo
	v_cmpx_lt_u32_e32 0xffffff, v0
	s_cbranch_execz .LBB259_235
; %bb.228:                              ;   in Loop: Header=BB259_11 Depth=1
	v_mov_b32_e32 v1, 0x80
	v_mov_b32_e32 v98, v28
	buffer_store_dword v98, off, s[0:3], s32 offset:408 ; 4-byte Folded Spill
	buffer_store_dword v99, off, s[0:3], s32 offset:412 ; 4-byte Folded Spill
	v_cmp_ne_u32_sdwa s5, v0, v1 src0_sel:BYTE_3 src1_sel:DWORD
	s_and_saveexec_b32 s7, s5
	s_cbranch_execz .LBB259_234
; %bb.229:                              ;   in Loop: Header=BB259_11 Depth=1
	v_bfe_u32 v2, v0, 24, 7
	v_mov_b32_e32 v116, v28
	s_mov_b32 s19, exec_lo
	buffer_store_dword v116, off, s[0:3], s32 offset:408 ; 4-byte Folded Spill
	buffer_store_dword v117, off, s[0:3], s32 offset:412 ; 4-byte Folded Spill
	v_cmpx_ne_u32_e32 0x7f, v2
	s_cbranch_execz .LBB259_233
; %bb.230:                              ;   in Loop: Header=BB259_11 Depth=1
	v_mov_b32_e32 v1, 7
	s_mov_b32 s22, exec_lo
	v_and_b32_sdwa v27, v0, v1 dst_sel:DWORD dst_unused:UNUSED_PAD src0_sel:BYTE_3 src1_sel:DWORD
	v_lshrrev_b32_e32 v1, 3, v2
	v_cmpx_gt_u32_e32 8, v2
; %bb.231:                              ;   in Loop: Header=BB259_11 Depth=1
	v_ffbh_u32_e32 v1, v27
	v_min_u32_e32 v1, 32, v1
	v_subrev_nc_u32_e32 v2, 28, v1
	v_sub_nc_u32_e32 v1, 29, v1
	v_lshlrev_b64 v[2:3], v2, v[27:28]
	v_and_b32_e32 v27, 7, v2
; %bb.232:                              ;   in Loop: Header=BB259_11 Depth=1
	s_or_b32 exec_lo, exec_lo, s22
	v_mov_b32_e32 v2, 24
	v_lshl_add_u32 v1, v1, 23, 0x3c000000
	v_lshlrev_b32_sdwa v0, v2, v0 dst_sel:DWORD dst_unused:UNUSED_PAD src0_sel:DWORD src1_sel:BYTE_3
	v_lshlrev_b32_e32 v2, 20, v27
	v_and_b32_e32 v0, 0x80000000, v0
	v_or3_b32 v1, v2, v0, v1
	v_mov_b32_e32 v0, v28
	buffer_store_dword v0, off, s[0:3], s32 offset:408 ; 4-byte Folded Spill
	buffer_store_dword v1, off, s[0:3], s32 offset:412 ; 4-byte Folded Spill
.LBB259_233:                            ;   in Loop: Header=BB259_11 Depth=1
	s_or_b32 exec_lo, exec_lo, s19
.LBB259_234:                            ;   in Loop: Header=BB259_11 Depth=1
	s_or_b32 exec_lo, exec_lo, s7
.LBB259_235:                            ;   in Loop: Header=BB259_11 Depth=1
	s_or_b32 exec_lo, exec_lo, s6
	flat_load_dword v0, v[45:46] offset:524
	v_mov_b32_e32 v1, 0
	v_mov_b32_e32 v2, 0
	buffer_store_dword v1, off, s[0:3], s32 offset:432 ; 4-byte Folded Spill
	buffer_store_dword v2, off, s[0:3], s32 offset:436 ; 4-byte Folded Spill
	v_mov_b32_e32 v1, 0
	v_mov_b32_e32 v2, 0
	buffer_store_dword v1, off, s[0:3], s32 offset:424 ; 4-byte Folded Spill
	buffer_store_dword v2, off, s[0:3], s32 offset:428 ; 4-byte Folded Spill
	s_waitcnt vmcnt(0) lgkmcnt(0)
	v_cmp_ne_u16_sdwa s5, v0, v28 src0_sel:BYTE_0 src1_sel:DWORD
	s_and_saveexec_b32 s6, s5
	s_cbranch_execz .LBB259_243
; %bb.236:                              ;   in Loop: Header=BB259_11 Depth=1
	v_bfrev_b32_e32 v1, 1
	v_mov_b32_e32 v2, 0
	buffer_store_dword v1, off, s[0:3], s32 offset:424 ; 4-byte Folded Spill
	buffer_store_dword v2, off, s[0:3], s32 offset:428 ; 4-byte Folded Spill
	v_mov_b32_e32 v1, 0x80
	v_cmp_ne_u16_sdwa s5, v0, v1 src0_sel:BYTE_0 src1_sel:DWORD
	s_and_saveexec_b32 s7, s5
	s_cbranch_execz .LBB259_242
; %bb.237:                              ;   in Loop: Header=BB259_11 Depth=1
	v_mov_b32_e32 v3, 0x7f800001
	v_and_b32_e32 v2, 0x7f, v0
	v_mov_b32_e32 v4, 0
	s_mov_b32 s19, exec_lo
	buffer_store_dword v3, off, s[0:3], s32 offset:424 ; 4-byte Folded Spill
	buffer_store_dword v4, off, s[0:3], s32 offset:428 ; 4-byte Folded Spill
	v_cmpx_ne_u32_e32 0x7f, v2
	s_cbranch_execz .LBB259_241
; %bb.238:                              ;   in Loop: Header=BB259_11 Depth=1
	v_and_b32_e32 v27, 7, v0
	v_lshrrev_b32_e32 v1, 3, v2
	s_mov_b32 s22, exec_lo
	v_cmpx_gt_u32_e32 8, v2
; %bb.239:                              ;   in Loop: Header=BB259_11 Depth=1
	v_ffbh_u32_e32 v1, v27
	v_min_u32_e32 v1, 32, v1
	v_subrev_nc_u32_e32 v2, 28, v1
	v_sub_nc_u32_e32 v1, 29, v1
	v_lshlrev_b64 v[2:3], v2, v[27:28]
	v_and_b32_e32 v27, 7, v2
; %bb.240:                              ;   in Loop: Header=BB259_11 Depth=1
	s_or_b32 exec_lo, exec_lo, s22
	v_lshlrev_b32_e32 v2, 24, v0
	v_lshlrev_b32_e32 v3, 20, v27
	v_lshl_add_u32 v1, v1, 23, 0x3c000000
	v_and_b32_e32 v2, 0x80000000, v2
	v_or3_b32 v27, v3, v2, v1
	buffer_store_dword v27, off, s[0:3], s32 offset:424 ; 4-byte Folded Spill
	buffer_store_dword v28, off, s[0:3], s32 offset:428 ; 4-byte Folded Spill
.LBB259_241:                            ;   in Loop: Header=BB259_11 Depth=1
	s_or_b32 exec_lo, exec_lo, s19
.LBB259_242:                            ;   in Loop: Header=BB259_11 Depth=1
	s_or_b32 exec_lo, exec_lo, s7
.LBB259_243:                            ;   in Loop: Header=BB259_11 Depth=1
	s_or_b32 exec_lo, exec_lo, s6
	v_cmp_ne_u16_sdwa s5, v0, v28 src0_sel:BYTE_1 src1_sel:DWORD
	s_and_saveexec_b32 s6, s5
	s_cbranch_execz .LBB259_251
; %bb.244:                              ;   in Loop: Header=BB259_11 Depth=1
	v_mov_b32_e32 v1, 0x80
	v_mov_b32_e32 v98, v28
	buffer_store_dword v98, off, s[0:3], s32 offset:432 ; 4-byte Folded Spill
	buffer_store_dword v99, off, s[0:3], s32 offset:436 ; 4-byte Folded Spill
	v_cmp_ne_u16_sdwa s5, v0, v1 src0_sel:BYTE_1 src1_sel:DWORD
	s_and_saveexec_b32 s7, s5
	s_cbranch_execz .LBB259_250
; %bb.245:                              ;   in Loop: Header=BB259_11 Depth=1
	v_mov_b32_e32 v1, 0xffff
	v_mov_b32_e32 v116, v28
	s_mov_b32 s19, exec_lo
	buffer_store_dword v116, off, s[0:3], s32 offset:432 ; 4-byte Folded Spill
	buffer_store_dword v117, off, s[0:3], s32 offset:436 ; 4-byte Folded Spill
	v_and_b32_sdwa v1, v1, v0 dst_sel:DWORD dst_unused:UNUSED_PAD src0_sel:DWORD src1_sel:BYTE_1
	v_and_b32_e32 v2, 0x7f, v1
	v_cmpx_ne_u32_e32 0x7f, v2
	s_cbranch_execz .LBB259_249
; %bb.246:                              ;   in Loop: Header=BB259_11 Depth=1
	v_and_b32_e32 v27, 7, v1
	v_lshrrev_b32_e32 v1, 3, v2
	s_mov_b32 s22, exec_lo
	v_cmpx_gt_u32_e32 8, v2
; %bb.247:                              ;   in Loop: Header=BB259_11 Depth=1
	v_ffbh_u32_e32 v1, v27
	v_min_u32_e32 v1, 32, v1
	v_subrev_nc_u32_e32 v2, 28, v1
	v_sub_nc_u32_e32 v1, 29, v1
	v_lshlrev_b64 v[2:3], v2, v[27:28]
	v_and_b32_e32 v27, 7, v2
; %bb.248:                              ;   in Loop: Header=BB259_11 Depth=1
	s_or_b32 exec_lo, exec_lo, s22
	v_lshlrev_b32_e32 v2, 16, v0
	v_lshlrev_b32_e32 v3, 20, v27
	v_lshl_add_u32 v1, v1, 23, 0x3c000000
	v_and_b32_e32 v2, 0x80000000, v2
	v_or3_b32 v2, v3, v2, v1
	v_mov_b32_e32 v1, v28
	buffer_store_dword v1, off, s[0:3], s32 offset:432 ; 4-byte Folded Spill
	buffer_store_dword v2, off, s[0:3], s32 offset:436 ; 4-byte Folded Spill
.LBB259_249:                            ;   in Loop: Header=BB259_11 Depth=1
	s_or_b32 exec_lo, exec_lo, s19
.LBB259_250:                            ;   in Loop: Header=BB259_11 Depth=1
	s_or_b32 exec_lo, exec_lo, s7
.LBB259_251:                            ;   in Loop: Header=BB259_11 Depth=1
	s_or_b32 exec_lo, exec_lo, s6
	v_mov_b32_e32 v2, 0
	v_mov_b32_e32 v3, 0
	v_and_b32_sdwa v1, v0, v6 dst_sel:DWORD dst_unused:UNUSED_PAD src0_sel:WORD_1 src1_sel:DWORD
	s_mov_b32 s6, exec_lo
	buffer_store_dword v2, off, s[0:3], s32 offset:440 ; 4-byte Folded Spill
	buffer_store_dword v3, off, s[0:3], s32 offset:444 ; 4-byte Folded Spill
	v_mov_b32_e32 v2, 0
	v_mov_b32_e32 v3, 0
	buffer_store_dword v2, off, s[0:3], s32 offset:448 ; 4-byte Folded Spill
	buffer_store_dword v3, off, s[0:3], s32 offset:452 ; 4-byte Folded Spill
	v_cmpx_ne_u16_e32 0, v1
	s_cbranch_execz .LBB259_259
; %bb.252:                              ;   in Loop: Header=BB259_11 Depth=1
	v_cmp_ne_u16_e64 s5, 0x80, v1
	v_bfrev_b32_e32 v1, 1
	v_mov_b32_e32 v2, 0
	buffer_store_dword v1, off, s[0:3], s32 offset:448 ; 4-byte Folded Spill
	buffer_store_dword v2, off, s[0:3], s32 offset:452 ; 4-byte Folded Spill
	s_and_saveexec_b32 s7, s5
	s_cbranch_execz .LBB259_258
; %bb.253:                              ;   in Loop: Header=BB259_11 Depth=1
	v_mov_b32_e32 v3, 0x7f800001
	v_bfe_u32 v2, v0, 16, 7
	v_mov_b32_e32 v4, 0
	s_mov_b32 s19, exec_lo
	buffer_store_dword v3, off, s[0:3], s32 offset:448 ; 4-byte Folded Spill
	buffer_store_dword v4, off, s[0:3], s32 offset:452 ; 4-byte Folded Spill
	v_cmpx_ne_u32_e32 0x7f, v2
	s_cbranch_execz .LBB259_257
; %bb.254:                              ;   in Loop: Header=BB259_11 Depth=1
	v_mov_b32_e32 v1, 7
	s_mov_b32 s22, exec_lo
	v_and_b32_sdwa v27, v0, v1 dst_sel:DWORD dst_unused:UNUSED_PAD src0_sel:WORD_1 src1_sel:DWORD
	v_lshrrev_b32_e32 v1, 3, v2
	v_cmpx_gt_u32_e32 8, v2
; %bb.255:                              ;   in Loop: Header=BB259_11 Depth=1
	v_ffbh_u32_e32 v1, v27
	v_min_u32_e32 v1, 32, v1
	v_subrev_nc_u32_e32 v2, 28, v1
	v_sub_nc_u32_e32 v1, 29, v1
	v_lshlrev_b64 v[2:3], v2, v[27:28]
	v_and_b32_e32 v27, 7, v2
; %bb.256:                              ;   in Loop: Header=BB259_11 Depth=1
	s_or_b32 exec_lo, exec_lo, s22
	v_mov_b32_e32 v2, 24
	v_lshlrev_b32_e32 v3, 20, v27
	v_lshl_add_u32 v1, v1, 23, 0x3c000000
	v_lshlrev_b32_sdwa v2, v2, v0 dst_sel:DWORD dst_unused:UNUSED_PAD src0_sel:DWORD src1_sel:WORD_1
	v_and_b32_e32 v2, 0x80000000, v2
	v_or3_b32 v27, v3, v2, v1
	buffer_store_dword v27, off, s[0:3], s32 offset:448 ; 4-byte Folded Spill
	buffer_store_dword v28, off, s[0:3], s32 offset:452 ; 4-byte Folded Spill
.LBB259_257:                            ;   in Loop: Header=BB259_11 Depth=1
	s_or_b32 exec_lo, exec_lo, s19
.LBB259_258:                            ;   in Loop: Header=BB259_11 Depth=1
	s_or_b32 exec_lo, exec_lo, s7
.LBB259_259:                            ;   in Loop: Header=BB259_11 Depth=1
	s_or_b32 exec_lo, exec_lo, s6
	s_mov_b32 s6, exec_lo
	v_cmpx_lt_u32_e32 0xffffff, v0
	s_cbranch_execz .LBB259_267
; %bb.260:                              ;   in Loop: Header=BB259_11 Depth=1
	v_mov_b32_e32 v1, 0x80
	v_mov_b32_e32 v98, v28
	buffer_store_dword v98, off, s[0:3], s32 offset:440 ; 4-byte Folded Spill
	buffer_store_dword v99, off, s[0:3], s32 offset:444 ; 4-byte Folded Spill
	v_cmp_ne_u32_sdwa s5, v0, v1 src0_sel:BYTE_3 src1_sel:DWORD
	s_and_saveexec_b32 s7, s5
	s_cbranch_execz .LBB259_266
; %bb.261:                              ;   in Loop: Header=BB259_11 Depth=1
	v_bfe_u32 v2, v0, 24, 7
	v_mov_b32_e32 v116, v28
	s_mov_b32 s19, exec_lo
	buffer_store_dword v116, off, s[0:3], s32 offset:440 ; 4-byte Folded Spill
	buffer_store_dword v117, off, s[0:3], s32 offset:444 ; 4-byte Folded Spill
	v_cmpx_ne_u32_e32 0x7f, v2
	s_cbranch_execz .LBB259_265
; %bb.262:                              ;   in Loop: Header=BB259_11 Depth=1
	v_mov_b32_e32 v1, 7
	s_mov_b32 s22, exec_lo
	v_and_b32_sdwa v27, v0, v1 dst_sel:DWORD dst_unused:UNUSED_PAD src0_sel:BYTE_3 src1_sel:DWORD
	v_lshrrev_b32_e32 v1, 3, v2
	v_cmpx_gt_u32_e32 8, v2
; %bb.263:                              ;   in Loop: Header=BB259_11 Depth=1
	v_ffbh_u32_e32 v1, v27
	v_min_u32_e32 v1, 32, v1
	v_subrev_nc_u32_e32 v2, 28, v1
	v_sub_nc_u32_e32 v1, 29, v1
	v_lshlrev_b64 v[2:3], v2, v[27:28]
	v_and_b32_e32 v27, 7, v2
; %bb.264:                              ;   in Loop: Header=BB259_11 Depth=1
	s_or_b32 exec_lo, exec_lo, s22
	v_mov_b32_e32 v2, 24
	v_lshl_add_u32 v1, v1, 23, 0x3c000000
	v_lshlrev_b32_sdwa v0, v2, v0 dst_sel:DWORD dst_unused:UNUSED_PAD src0_sel:DWORD src1_sel:BYTE_3
	v_lshlrev_b32_e32 v2, 20, v27
	v_and_b32_e32 v0, 0x80000000, v0
	v_or3_b32 v1, v2, v0, v1
	v_mov_b32_e32 v0, v28
	buffer_store_dword v0, off, s[0:3], s32 offset:440 ; 4-byte Folded Spill
	buffer_store_dword v1, off, s[0:3], s32 offset:444 ; 4-byte Folded Spill
.LBB259_265:                            ;   in Loop: Header=BB259_11 Depth=1
	s_or_b32 exec_lo, exec_lo, s19
.LBB259_266:                            ;   in Loop: Header=BB259_11 Depth=1
	s_or_b32 exec_lo, exec_lo, s7
.LBB259_267:                            ;   in Loop: Header=BB259_11 Depth=1
	s_or_b32 exec_lo, exec_lo, s6
	flat_load_dword v0, v[45:46] offset:1024
	v_mov_b32_e32 v1, 0
	v_mov_b32_e32 v2, 0
	buffer_store_dword v1, off, s[0:3], s32 offset:464 ; 4-byte Folded Spill
	buffer_store_dword v2, off, s[0:3], s32 offset:468 ; 4-byte Folded Spill
	v_mov_b32_e32 v1, 0
	v_mov_b32_e32 v2, 0
	buffer_store_dword v1, off, s[0:3], s32 offset:456 ; 4-byte Folded Spill
	buffer_store_dword v2, off, s[0:3], s32 offset:460 ; 4-byte Folded Spill
	s_waitcnt vmcnt(0) lgkmcnt(0)
	v_cmp_ne_u16_sdwa s5, v0, v28 src0_sel:BYTE_0 src1_sel:DWORD
	s_and_saveexec_b32 s6, s5
	s_cbranch_execz .LBB259_275
; %bb.268:                              ;   in Loop: Header=BB259_11 Depth=1
	v_bfrev_b32_e32 v1, 1
	v_mov_b32_e32 v2, 0
	buffer_store_dword v1, off, s[0:3], s32 offset:456 ; 4-byte Folded Spill
	buffer_store_dword v2, off, s[0:3], s32 offset:460 ; 4-byte Folded Spill
	v_mov_b32_e32 v1, 0x80
	v_cmp_ne_u16_sdwa s5, v0, v1 src0_sel:BYTE_0 src1_sel:DWORD
	s_and_saveexec_b32 s7, s5
	s_cbranch_execz .LBB259_274
; %bb.269:                              ;   in Loop: Header=BB259_11 Depth=1
	v_mov_b32_e32 v3, 0x7f800001
	v_and_b32_e32 v2, 0x7f, v0
	v_mov_b32_e32 v4, 0
	s_mov_b32 s19, exec_lo
	buffer_store_dword v3, off, s[0:3], s32 offset:456 ; 4-byte Folded Spill
	buffer_store_dword v4, off, s[0:3], s32 offset:460 ; 4-byte Folded Spill
	v_cmpx_ne_u32_e32 0x7f, v2
	s_cbranch_execz .LBB259_273
; %bb.270:                              ;   in Loop: Header=BB259_11 Depth=1
	v_and_b32_e32 v27, 7, v0
	v_lshrrev_b32_e32 v1, 3, v2
	s_mov_b32 s22, exec_lo
	v_cmpx_gt_u32_e32 8, v2
; %bb.271:                              ;   in Loop: Header=BB259_11 Depth=1
	v_ffbh_u32_e32 v1, v27
	v_min_u32_e32 v1, 32, v1
	v_subrev_nc_u32_e32 v2, 28, v1
	v_sub_nc_u32_e32 v1, 29, v1
	v_lshlrev_b64 v[2:3], v2, v[27:28]
	v_and_b32_e32 v27, 7, v2
; %bb.272:                              ;   in Loop: Header=BB259_11 Depth=1
	s_or_b32 exec_lo, exec_lo, s22
	v_lshlrev_b32_e32 v2, 24, v0
	v_lshlrev_b32_e32 v3, 20, v27
	v_lshl_add_u32 v1, v1, 23, 0x3c000000
	v_and_b32_e32 v2, 0x80000000, v2
	v_or3_b32 v27, v3, v2, v1
	buffer_store_dword v27, off, s[0:3], s32 offset:456 ; 4-byte Folded Spill
	buffer_store_dword v28, off, s[0:3], s32 offset:460 ; 4-byte Folded Spill
.LBB259_273:                            ;   in Loop: Header=BB259_11 Depth=1
	s_or_b32 exec_lo, exec_lo, s19
.LBB259_274:                            ;   in Loop: Header=BB259_11 Depth=1
	s_or_b32 exec_lo, exec_lo, s7
.LBB259_275:                            ;   in Loop: Header=BB259_11 Depth=1
	s_or_b32 exec_lo, exec_lo, s6
	v_cmp_ne_u16_sdwa s5, v0, v28 src0_sel:BYTE_1 src1_sel:DWORD
	s_and_saveexec_b32 s6, s5
	s_cbranch_execz .LBB259_283
; %bb.276:                              ;   in Loop: Header=BB259_11 Depth=1
	v_mov_b32_e32 v1, 0x80
	v_mov_b32_e32 v98, v28
	buffer_store_dword v98, off, s[0:3], s32 offset:464 ; 4-byte Folded Spill
	buffer_store_dword v99, off, s[0:3], s32 offset:468 ; 4-byte Folded Spill
	v_cmp_ne_u16_sdwa s5, v0, v1 src0_sel:BYTE_1 src1_sel:DWORD
	s_and_saveexec_b32 s7, s5
	s_cbranch_execz .LBB259_282
; %bb.277:                              ;   in Loop: Header=BB259_11 Depth=1
	v_mov_b32_e32 v1, 0xffff
	v_mov_b32_e32 v116, v28
	s_mov_b32 s19, exec_lo
	buffer_store_dword v116, off, s[0:3], s32 offset:464 ; 4-byte Folded Spill
	buffer_store_dword v117, off, s[0:3], s32 offset:468 ; 4-byte Folded Spill
	v_and_b32_sdwa v1, v1, v0 dst_sel:DWORD dst_unused:UNUSED_PAD src0_sel:DWORD src1_sel:BYTE_1
	v_and_b32_e32 v2, 0x7f, v1
	v_cmpx_ne_u32_e32 0x7f, v2
	s_cbranch_execz .LBB259_281
; %bb.278:                              ;   in Loop: Header=BB259_11 Depth=1
	v_and_b32_e32 v27, 7, v1
	v_lshrrev_b32_e32 v1, 3, v2
	s_mov_b32 s22, exec_lo
	v_cmpx_gt_u32_e32 8, v2
; %bb.279:                              ;   in Loop: Header=BB259_11 Depth=1
	v_ffbh_u32_e32 v1, v27
	v_min_u32_e32 v1, 32, v1
	v_subrev_nc_u32_e32 v2, 28, v1
	v_sub_nc_u32_e32 v1, 29, v1
	v_lshlrev_b64 v[2:3], v2, v[27:28]
	v_and_b32_e32 v27, 7, v2
; %bb.280:                              ;   in Loop: Header=BB259_11 Depth=1
	s_or_b32 exec_lo, exec_lo, s22
	v_lshlrev_b32_e32 v2, 16, v0
	v_lshlrev_b32_e32 v3, 20, v27
	v_lshl_add_u32 v1, v1, 23, 0x3c000000
	v_and_b32_e32 v2, 0x80000000, v2
	v_or3_b32 v2, v3, v2, v1
	v_mov_b32_e32 v1, v28
	buffer_store_dword v1, off, s[0:3], s32 offset:464 ; 4-byte Folded Spill
	buffer_store_dword v2, off, s[0:3], s32 offset:468 ; 4-byte Folded Spill
.LBB259_281:                            ;   in Loop: Header=BB259_11 Depth=1
	s_or_b32 exec_lo, exec_lo, s19
.LBB259_282:                            ;   in Loop: Header=BB259_11 Depth=1
	s_or_b32 exec_lo, exec_lo, s7
.LBB259_283:                            ;   in Loop: Header=BB259_11 Depth=1
	s_or_b32 exec_lo, exec_lo, s6
	v_mov_b32_e32 v2, 0
	v_mov_b32_e32 v3, 0
	v_and_b32_sdwa v1, v0, v6 dst_sel:DWORD dst_unused:UNUSED_PAD src0_sel:WORD_1 src1_sel:DWORD
	s_mov_b32 s6, exec_lo
	buffer_store_dword v2, off, s[0:3], s32 offset:472 ; 4-byte Folded Spill
	buffer_store_dword v3, off, s[0:3], s32 offset:476 ; 4-byte Folded Spill
	v_mov_b32_e32 v2, 0
	v_mov_b32_e32 v3, 0
	buffer_store_dword v2, off, s[0:3], s32 offset:480 ; 4-byte Folded Spill
	buffer_store_dword v3, off, s[0:3], s32 offset:484 ; 4-byte Folded Spill
	v_cmpx_ne_u16_e32 0, v1
	s_cbranch_execz .LBB259_291
; %bb.284:                              ;   in Loop: Header=BB259_11 Depth=1
	v_cmp_ne_u16_e64 s5, 0x80, v1
	v_bfrev_b32_e32 v1, 1
	v_mov_b32_e32 v2, 0
	buffer_store_dword v1, off, s[0:3], s32 offset:480 ; 4-byte Folded Spill
	buffer_store_dword v2, off, s[0:3], s32 offset:484 ; 4-byte Folded Spill
	s_and_saveexec_b32 s7, s5
	s_cbranch_execz .LBB259_290
; %bb.285:                              ;   in Loop: Header=BB259_11 Depth=1
	v_mov_b32_e32 v3, 0x7f800001
	v_bfe_u32 v2, v0, 16, 7
	v_mov_b32_e32 v4, 0
	s_mov_b32 s19, exec_lo
	buffer_store_dword v3, off, s[0:3], s32 offset:480 ; 4-byte Folded Spill
	buffer_store_dword v4, off, s[0:3], s32 offset:484 ; 4-byte Folded Spill
	v_cmpx_ne_u32_e32 0x7f, v2
	s_cbranch_execz .LBB259_289
; %bb.286:                              ;   in Loop: Header=BB259_11 Depth=1
	v_mov_b32_e32 v1, 7
	s_mov_b32 s22, exec_lo
	v_and_b32_sdwa v27, v0, v1 dst_sel:DWORD dst_unused:UNUSED_PAD src0_sel:WORD_1 src1_sel:DWORD
	v_lshrrev_b32_e32 v1, 3, v2
	v_cmpx_gt_u32_e32 8, v2
; %bb.287:                              ;   in Loop: Header=BB259_11 Depth=1
	v_ffbh_u32_e32 v1, v27
	v_min_u32_e32 v1, 32, v1
	v_subrev_nc_u32_e32 v2, 28, v1
	v_sub_nc_u32_e32 v1, 29, v1
	v_lshlrev_b64 v[2:3], v2, v[27:28]
	v_and_b32_e32 v27, 7, v2
; %bb.288:                              ;   in Loop: Header=BB259_11 Depth=1
	s_or_b32 exec_lo, exec_lo, s22
	v_mov_b32_e32 v2, 24
	v_lshlrev_b32_e32 v3, 20, v27
	v_lshl_add_u32 v1, v1, 23, 0x3c000000
	v_lshlrev_b32_sdwa v2, v2, v0 dst_sel:DWORD dst_unused:UNUSED_PAD src0_sel:DWORD src1_sel:WORD_1
	v_and_b32_e32 v2, 0x80000000, v2
	v_or3_b32 v27, v3, v2, v1
	buffer_store_dword v27, off, s[0:3], s32 offset:480 ; 4-byte Folded Spill
	buffer_store_dword v28, off, s[0:3], s32 offset:484 ; 4-byte Folded Spill
.LBB259_289:                            ;   in Loop: Header=BB259_11 Depth=1
	s_or_b32 exec_lo, exec_lo, s19
.LBB259_290:                            ;   in Loop: Header=BB259_11 Depth=1
	s_or_b32 exec_lo, exec_lo, s7
.LBB259_291:                            ;   in Loop: Header=BB259_11 Depth=1
	s_or_b32 exec_lo, exec_lo, s6
	s_mov_b32 s6, exec_lo
	v_cmpx_lt_u32_e32 0xffffff, v0
	s_cbranch_execz .LBB259_299
; %bb.292:                              ;   in Loop: Header=BB259_11 Depth=1
	v_mov_b32_e32 v1, 0x80
	v_mov_b32_e32 v98, v28
	buffer_store_dword v98, off, s[0:3], s32 offset:472 ; 4-byte Folded Spill
	buffer_store_dword v99, off, s[0:3], s32 offset:476 ; 4-byte Folded Spill
	v_cmp_ne_u32_sdwa s5, v0, v1 src0_sel:BYTE_3 src1_sel:DWORD
	s_and_saveexec_b32 s7, s5
	s_cbranch_execz .LBB259_298
; %bb.293:                              ;   in Loop: Header=BB259_11 Depth=1
	v_bfe_u32 v2, v0, 24, 7
	v_mov_b32_e32 v116, v28
	s_mov_b32 s19, exec_lo
	buffer_store_dword v116, off, s[0:3], s32 offset:472 ; 4-byte Folded Spill
	buffer_store_dword v117, off, s[0:3], s32 offset:476 ; 4-byte Folded Spill
	v_cmpx_ne_u32_e32 0x7f, v2
	s_cbranch_execz .LBB259_297
; %bb.294:                              ;   in Loop: Header=BB259_11 Depth=1
	v_mov_b32_e32 v1, 7
	s_mov_b32 s22, exec_lo
	v_and_b32_sdwa v27, v0, v1 dst_sel:DWORD dst_unused:UNUSED_PAD src0_sel:BYTE_3 src1_sel:DWORD
	v_lshrrev_b32_e32 v1, 3, v2
	v_cmpx_gt_u32_e32 8, v2
; %bb.295:                              ;   in Loop: Header=BB259_11 Depth=1
	v_ffbh_u32_e32 v1, v27
	v_min_u32_e32 v1, 32, v1
	v_subrev_nc_u32_e32 v2, 28, v1
	v_sub_nc_u32_e32 v1, 29, v1
	v_lshlrev_b64 v[2:3], v2, v[27:28]
	v_and_b32_e32 v27, 7, v2
; %bb.296:                              ;   in Loop: Header=BB259_11 Depth=1
	s_or_b32 exec_lo, exec_lo, s22
	v_mov_b32_e32 v2, 24
	v_lshl_add_u32 v1, v1, 23, 0x3c000000
	v_lshlrev_b32_sdwa v0, v2, v0 dst_sel:DWORD dst_unused:UNUSED_PAD src0_sel:DWORD src1_sel:BYTE_3
	v_lshlrev_b32_e32 v2, 20, v27
	v_and_b32_e32 v0, 0x80000000, v0
	v_or3_b32 v1, v2, v0, v1
	v_mov_b32_e32 v0, v28
	buffer_store_dword v0, off, s[0:3], s32 offset:472 ; 4-byte Folded Spill
	buffer_store_dword v1, off, s[0:3], s32 offset:476 ; 4-byte Folded Spill
.LBB259_297:                            ;   in Loop: Header=BB259_11 Depth=1
	s_or_b32 exec_lo, exec_lo, s19
.LBB259_298:                            ;   in Loop: Header=BB259_11 Depth=1
	s_or_b32 exec_lo, exec_lo, s7
.LBB259_299:                            ;   in Loop: Header=BB259_11 Depth=1
	s_or_b32 exec_lo, exec_lo, s6
	flat_load_dword v0, v[45:46] offset:1028
	v_mov_b32_e32 v1, 0
	v_mov_b32_e32 v2, 0
	buffer_store_dword v1, off, s[0:3], s32 offset:496 ; 4-byte Folded Spill
	buffer_store_dword v2, off, s[0:3], s32 offset:500 ; 4-byte Folded Spill
	v_mov_b32_e32 v1, 0
	v_mov_b32_e32 v2, 0
	buffer_store_dword v1, off, s[0:3], s32 offset:488 ; 4-byte Folded Spill
	buffer_store_dword v2, off, s[0:3], s32 offset:492 ; 4-byte Folded Spill
	s_waitcnt vmcnt(0) lgkmcnt(0)
	v_cmp_ne_u16_sdwa s5, v0, v28 src0_sel:BYTE_0 src1_sel:DWORD
	s_and_saveexec_b32 s6, s5
	s_cbranch_execz .LBB259_307
; %bb.300:                              ;   in Loop: Header=BB259_11 Depth=1
	v_bfrev_b32_e32 v1, 1
	v_mov_b32_e32 v2, 0
	buffer_store_dword v1, off, s[0:3], s32 offset:488 ; 4-byte Folded Spill
	buffer_store_dword v2, off, s[0:3], s32 offset:492 ; 4-byte Folded Spill
	v_mov_b32_e32 v1, 0x80
	v_cmp_ne_u16_sdwa s5, v0, v1 src0_sel:BYTE_0 src1_sel:DWORD
	s_and_saveexec_b32 s7, s5
	s_cbranch_execz .LBB259_306
; %bb.301:                              ;   in Loop: Header=BB259_11 Depth=1
	v_mov_b32_e32 v3, 0x7f800001
	v_and_b32_e32 v2, 0x7f, v0
	v_mov_b32_e32 v4, 0
	s_mov_b32 s19, exec_lo
	buffer_store_dword v3, off, s[0:3], s32 offset:488 ; 4-byte Folded Spill
	buffer_store_dword v4, off, s[0:3], s32 offset:492 ; 4-byte Folded Spill
	v_cmpx_ne_u32_e32 0x7f, v2
	s_cbranch_execz .LBB259_305
; %bb.302:                              ;   in Loop: Header=BB259_11 Depth=1
	v_and_b32_e32 v27, 7, v0
	v_lshrrev_b32_e32 v1, 3, v2
	s_mov_b32 s22, exec_lo
	v_cmpx_gt_u32_e32 8, v2
; %bb.303:                              ;   in Loop: Header=BB259_11 Depth=1
	v_ffbh_u32_e32 v1, v27
	v_min_u32_e32 v1, 32, v1
	v_subrev_nc_u32_e32 v2, 28, v1
	v_sub_nc_u32_e32 v1, 29, v1
	v_lshlrev_b64 v[2:3], v2, v[27:28]
	v_and_b32_e32 v27, 7, v2
; %bb.304:                              ;   in Loop: Header=BB259_11 Depth=1
	s_or_b32 exec_lo, exec_lo, s22
	v_lshlrev_b32_e32 v2, 24, v0
	v_lshlrev_b32_e32 v3, 20, v27
	v_lshl_add_u32 v1, v1, 23, 0x3c000000
	v_and_b32_e32 v2, 0x80000000, v2
	v_or3_b32 v27, v3, v2, v1
	buffer_store_dword v27, off, s[0:3], s32 offset:488 ; 4-byte Folded Spill
	buffer_store_dword v28, off, s[0:3], s32 offset:492 ; 4-byte Folded Spill
.LBB259_305:                            ;   in Loop: Header=BB259_11 Depth=1
	s_or_b32 exec_lo, exec_lo, s19
.LBB259_306:                            ;   in Loop: Header=BB259_11 Depth=1
	s_or_b32 exec_lo, exec_lo, s7
.LBB259_307:                            ;   in Loop: Header=BB259_11 Depth=1
	s_or_b32 exec_lo, exec_lo, s6
	v_cmp_ne_u16_sdwa s5, v0, v28 src0_sel:BYTE_1 src1_sel:DWORD
	s_and_saveexec_b32 s6, s5
	s_cbranch_execz .LBB259_315
; %bb.308:                              ;   in Loop: Header=BB259_11 Depth=1
	v_mov_b32_e32 v1, 0x80
	v_mov_b32_e32 v98, v28
	buffer_store_dword v98, off, s[0:3], s32 offset:496 ; 4-byte Folded Spill
	buffer_store_dword v99, off, s[0:3], s32 offset:500 ; 4-byte Folded Spill
	v_cmp_ne_u16_sdwa s5, v0, v1 src0_sel:BYTE_1 src1_sel:DWORD
	s_and_saveexec_b32 s7, s5
	s_cbranch_execz .LBB259_314
; %bb.309:                              ;   in Loop: Header=BB259_11 Depth=1
	v_mov_b32_e32 v1, 0xffff
	v_mov_b32_e32 v116, v28
	s_mov_b32 s19, exec_lo
	buffer_store_dword v116, off, s[0:3], s32 offset:496 ; 4-byte Folded Spill
	buffer_store_dword v117, off, s[0:3], s32 offset:500 ; 4-byte Folded Spill
	v_and_b32_sdwa v1, v1, v0 dst_sel:DWORD dst_unused:UNUSED_PAD src0_sel:DWORD src1_sel:BYTE_1
	v_and_b32_e32 v2, 0x7f, v1
	v_cmpx_ne_u32_e32 0x7f, v2
	s_cbranch_execz .LBB259_313
; %bb.310:                              ;   in Loop: Header=BB259_11 Depth=1
	v_and_b32_e32 v27, 7, v1
	v_lshrrev_b32_e32 v1, 3, v2
	s_mov_b32 s22, exec_lo
	v_cmpx_gt_u32_e32 8, v2
; %bb.311:                              ;   in Loop: Header=BB259_11 Depth=1
	v_ffbh_u32_e32 v1, v27
	v_min_u32_e32 v1, 32, v1
	v_subrev_nc_u32_e32 v2, 28, v1
	v_sub_nc_u32_e32 v1, 29, v1
	v_lshlrev_b64 v[2:3], v2, v[27:28]
	v_and_b32_e32 v27, 7, v2
; %bb.312:                              ;   in Loop: Header=BB259_11 Depth=1
	s_or_b32 exec_lo, exec_lo, s22
	v_lshlrev_b32_e32 v2, 16, v0
	v_lshlrev_b32_e32 v3, 20, v27
	v_lshl_add_u32 v1, v1, 23, 0x3c000000
	v_and_b32_e32 v2, 0x80000000, v2
	v_or3_b32 v2, v3, v2, v1
	v_mov_b32_e32 v1, v28
	buffer_store_dword v1, off, s[0:3], s32 offset:496 ; 4-byte Folded Spill
	buffer_store_dword v2, off, s[0:3], s32 offset:500 ; 4-byte Folded Spill
.LBB259_313:                            ;   in Loop: Header=BB259_11 Depth=1
	s_or_b32 exec_lo, exec_lo, s19
.LBB259_314:                            ;   in Loop: Header=BB259_11 Depth=1
	s_or_b32 exec_lo, exec_lo, s7
.LBB259_315:                            ;   in Loop: Header=BB259_11 Depth=1
	s_or_b32 exec_lo, exec_lo, s6
	v_mov_b32_e32 v2, 0
	v_mov_b32_e32 v3, 0
	v_and_b32_sdwa v1, v0, v6 dst_sel:DWORD dst_unused:UNUSED_PAD src0_sel:WORD_1 src1_sel:DWORD
	s_mov_b32 s6, exec_lo
	buffer_store_dword v2, off, s[0:3], s32 offset:504 ; 4-byte Folded Spill
	buffer_store_dword v3, off, s[0:3], s32 offset:508 ; 4-byte Folded Spill
	v_mov_b32_e32 v2, 0
	v_mov_b32_e32 v3, 0
	buffer_store_dword v2, off, s[0:3], s32 offset:512 ; 4-byte Folded Spill
	buffer_store_dword v3, off, s[0:3], s32 offset:516 ; 4-byte Folded Spill
	v_cmpx_ne_u16_e32 0, v1
	s_cbranch_execz .LBB259_323
; %bb.316:                              ;   in Loop: Header=BB259_11 Depth=1
	v_cmp_ne_u16_e64 s5, 0x80, v1
	v_bfrev_b32_e32 v1, 1
	v_mov_b32_e32 v2, 0
	buffer_store_dword v1, off, s[0:3], s32 offset:512 ; 4-byte Folded Spill
	buffer_store_dword v2, off, s[0:3], s32 offset:516 ; 4-byte Folded Spill
	s_and_saveexec_b32 s7, s5
	s_cbranch_execz .LBB259_322
; %bb.317:                              ;   in Loop: Header=BB259_11 Depth=1
	v_mov_b32_e32 v3, 0x7f800001
	v_bfe_u32 v2, v0, 16, 7
	v_mov_b32_e32 v4, 0
	s_mov_b32 s19, exec_lo
	buffer_store_dword v3, off, s[0:3], s32 offset:512 ; 4-byte Folded Spill
	buffer_store_dword v4, off, s[0:3], s32 offset:516 ; 4-byte Folded Spill
	v_cmpx_ne_u32_e32 0x7f, v2
	s_cbranch_execz .LBB259_321
; %bb.318:                              ;   in Loop: Header=BB259_11 Depth=1
	v_mov_b32_e32 v1, 7
	s_mov_b32 s22, exec_lo
	v_and_b32_sdwa v27, v0, v1 dst_sel:DWORD dst_unused:UNUSED_PAD src0_sel:WORD_1 src1_sel:DWORD
	v_lshrrev_b32_e32 v1, 3, v2
	v_cmpx_gt_u32_e32 8, v2
; %bb.319:                              ;   in Loop: Header=BB259_11 Depth=1
	v_ffbh_u32_e32 v1, v27
	v_min_u32_e32 v1, 32, v1
	v_subrev_nc_u32_e32 v2, 28, v1
	v_sub_nc_u32_e32 v1, 29, v1
	v_lshlrev_b64 v[2:3], v2, v[27:28]
	v_and_b32_e32 v27, 7, v2
; %bb.320:                              ;   in Loop: Header=BB259_11 Depth=1
	s_or_b32 exec_lo, exec_lo, s22
	v_mov_b32_e32 v2, 24
	v_lshlrev_b32_e32 v3, 20, v27
	v_lshl_add_u32 v1, v1, 23, 0x3c000000
	v_lshlrev_b32_sdwa v2, v2, v0 dst_sel:DWORD dst_unused:UNUSED_PAD src0_sel:DWORD src1_sel:WORD_1
	v_and_b32_e32 v2, 0x80000000, v2
	v_or3_b32 v27, v3, v2, v1
	buffer_store_dword v27, off, s[0:3], s32 offset:512 ; 4-byte Folded Spill
	buffer_store_dword v28, off, s[0:3], s32 offset:516 ; 4-byte Folded Spill
.LBB259_321:                            ;   in Loop: Header=BB259_11 Depth=1
	s_or_b32 exec_lo, exec_lo, s19
.LBB259_322:                            ;   in Loop: Header=BB259_11 Depth=1
	s_or_b32 exec_lo, exec_lo, s7
.LBB259_323:                            ;   in Loop: Header=BB259_11 Depth=1
	s_or_b32 exec_lo, exec_lo, s6
	s_mov_b32 s6, exec_lo
	v_cmpx_lt_u32_e32 0xffffff, v0
	s_cbranch_execz .LBB259_331
; %bb.324:                              ;   in Loop: Header=BB259_11 Depth=1
	v_mov_b32_e32 v1, 0x80
	v_mov_b32_e32 v98, v28
	buffer_store_dword v98, off, s[0:3], s32 offset:504 ; 4-byte Folded Spill
	buffer_store_dword v99, off, s[0:3], s32 offset:508 ; 4-byte Folded Spill
	v_cmp_ne_u32_sdwa s5, v0, v1 src0_sel:BYTE_3 src1_sel:DWORD
	s_and_saveexec_b32 s7, s5
	s_cbranch_execz .LBB259_330
; %bb.325:                              ;   in Loop: Header=BB259_11 Depth=1
	v_bfe_u32 v2, v0, 24, 7
	v_mov_b32_e32 v116, v28
	s_mov_b32 s19, exec_lo
	buffer_store_dword v116, off, s[0:3], s32 offset:504 ; 4-byte Folded Spill
	buffer_store_dword v117, off, s[0:3], s32 offset:508 ; 4-byte Folded Spill
	v_cmpx_ne_u32_e32 0x7f, v2
	s_cbranch_execz .LBB259_329
; %bb.326:                              ;   in Loop: Header=BB259_11 Depth=1
	v_mov_b32_e32 v1, 7
	s_mov_b32 s22, exec_lo
	v_and_b32_sdwa v27, v0, v1 dst_sel:DWORD dst_unused:UNUSED_PAD src0_sel:BYTE_3 src1_sel:DWORD
	v_lshrrev_b32_e32 v1, 3, v2
	v_cmpx_gt_u32_e32 8, v2
; %bb.327:                              ;   in Loop: Header=BB259_11 Depth=1
	v_ffbh_u32_e32 v1, v27
	v_min_u32_e32 v1, 32, v1
	v_subrev_nc_u32_e32 v2, 28, v1
	v_sub_nc_u32_e32 v1, 29, v1
	v_lshlrev_b64 v[2:3], v2, v[27:28]
	v_and_b32_e32 v27, 7, v2
; %bb.328:                              ;   in Loop: Header=BB259_11 Depth=1
	s_or_b32 exec_lo, exec_lo, s22
	v_mov_b32_e32 v2, 24
	v_lshl_add_u32 v1, v1, 23, 0x3c000000
	v_lshlrev_b32_sdwa v0, v2, v0 dst_sel:DWORD dst_unused:UNUSED_PAD src0_sel:DWORD src1_sel:BYTE_3
	v_lshlrev_b32_e32 v2, 20, v27
	v_and_b32_e32 v0, 0x80000000, v0
	v_or3_b32 v1, v2, v0, v1
	v_mov_b32_e32 v0, v28
	buffer_store_dword v0, off, s[0:3], s32 offset:504 ; 4-byte Folded Spill
	buffer_store_dword v1, off, s[0:3], s32 offset:508 ; 4-byte Folded Spill
.LBB259_329:                            ;   in Loop: Header=BB259_11 Depth=1
	s_or_b32 exec_lo, exec_lo, s19
.LBB259_330:                            ;   in Loop: Header=BB259_11 Depth=1
	s_or_b32 exec_lo, exec_lo, s7
.LBB259_331:                            ;   in Loop: Header=BB259_11 Depth=1
	s_or_b32 exec_lo, exec_lo, s6
	flat_load_dword v0, v[45:46] offset:1032
	v_mov_b32_e32 v1, 0
	v_mov_b32_e32 v2, 0
	buffer_store_dword v1, off, s[0:3], s32 offset:528 ; 4-byte Folded Spill
	buffer_store_dword v2, off, s[0:3], s32 offset:532 ; 4-byte Folded Spill
	v_mov_b32_e32 v1, 0
	v_mov_b32_e32 v2, 0
	buffer_store_dword v1, off, s[0:3], s32 offset:520 ; 4-byte Folded Spill
	buffer_store_dword v2, off, s[0:3], s32 offset:524 ; 4-byte Folded Spill
	s_waitcnt vmcnt(0) lgkmcnt(0)
	v_cmp_ne_u16_sdwa s5, v0, v28 src0_sel:BYTE_0 src1_sel:DWORD
	s_and_saveexec_b32 s6, s5
	s_cbranch_execz .LBB259_339
; %bb.332:                              ;   in Loop: Header=BB259_11 Depth=1
	v_bfrev_b32_e32 v1, 1
	v_mov_b32_e32 v2, 0
	buffer_store_dword v1, off, s[0:3], s32 offset:520 ; 4-byte Folded Spill
	buffer_store_dword v2, off, s[0:3], s32 offset:524 ; 4-byte Folded Spill
	v_mov_b32_e32 v1, 0x80
	v_cmp_ne_u16_sdwa s5, v0, v1 src0_sel:BYTE_0 src1_sel:DWORD
	s_and_saveexec_b32 s7, s5
	s_cbranch_execz .LBB259_338
; %bb.333:                              ;   in Loop: Header=BB259_11 Depth=1
	v_mov_b32_e32 v3, 0x7f800001
	v_and_b32_e32 v2, 0x7f, v0
	v_mov_b32_e32 v4, 0
	s_mov_b32 s19, exec_lo
	buffer_store_dword v3, off, s[0:3], s32 offset:520 ; 4-byte Folded Spill
	buffer_store_dword v4, off, s[0:3], s32 offset:524 ; 4-byte Folded Spill
	v_cmpx_ne_u32_e32 0x7f, v2
	s_cbranch_execz .LBB259_337
; %bb.334:                              ;   in Loop: Header=BB259_11 Depth=1
	v_and_b32_e32 v27, 7, v0
	v_lshrrev_b32_e32 v1, 3, v2
	s_mov_b32 s22, exec_lo
	v_cmpx_gt_u32_e32 8, v2
; %bb.335:                              ;   in Loop: Header=BB259_11 Depth=1
	v_ffbh_u32_e32 v1, v27
	v_min_u32_e32 v1, 32, v1
	v_subrev_nc_u32_e32 v2, 28, v1
	v_sub_nc_u32_e32 v1, 29, v1
	v_lshlrev_b64 v[2:3], v2, v[27:28]
	v_and_b32_e32 v27, 7, v2
; %bb.336:                              ;   in Loop: Header=BB259_11 Depth=1
	s_or_b32 exec_lo, exec_lo, s22
	v_lshlrev_b32_e32 v2, 24, v0
	v_lshlrev_b32_e32 v3, 20, v27
	v_lshl_add_u32 v1, v1, 23, 0x3c000000
	v_and_b32_e32 v2, 0x80000000, v2
	v_or3_b32 v27, v3, v2, v1
	buffer_store_dword v27, off, s[0:3], s32 offset:520 ; 4-byte Folded Spill
	buffer_store_dword v28, off, s[0:3], s32 offset:524 ; 4-byte Folded Spill
.LBB259_337:                            ;   in Loop: Header=BB259_11 Depth=1
	s_or_b32 exec_lo, exec_lo, s19
.LBB259_338:                            ;   in Loop: Header=BB259_11 Depth=1
	s_or_b32 exec_lo, exec_lo, s7
.LBB259_339:                            ;   in Loop: Header=BB259_11 Depth=1
	s_or_b32 exec_lo, exec_lo, s6
	v_cmp_ne_u16_sdwa s5, v0, v28 src0_sel:BYTE_1 src1_sel:DWORD
	s_and_saveexec_b32 s6, s5
	s_cbranch_execz .LBB259_347
; %bb.340:                              ;   in Loop: Header=BB259_11 Depth=1
	v_mov_b32_e32 v1, 0x80
	v_mov_b32_e32 v98, v28
	buffer_store_dword v98, off, s[0:3], s32 offset:528 ; 4-byte Folded Spill
	buffer_store_dword v99, off, s[0:3], s32 offset:532 ; 4-byte Folded Spill
	v_cmp_ne_u16_sdwa s5, v0, v1 src0_sel:BYTE_1 src1_sel:DWORD
	s_and_saveexec_b32 s7, s5
	s_cbranch_execz .LBB259_346
; %bb.341:                              ;   in Loop: Header=BB259_11 Depth=1
	v_mov_b32_e32 v1, 0xffff
	v_mov_b32_e32 v116, v28
	s_mov_b32 s19, exec_lo
	buffer_store_dword v116, off, s[0:3], s32 offset:528 ; 4-byte Folded Spill
	buffer_store_dword v117, off, s[0:3], s32 offset:532 ; 4-byte Folded Spill
	v_and_b32_sdwa v1, v1, v0 dst_sel:DWORD dst_unused:UNUSED_PAD src0_sel:DWORD src1_sel:BYTE_1
	v_and_b32_e32 v2, 0x7f, v1
	v_cmpx_ne_u32_e32 0x7f, v2
	s_cbranch_execz .LBB259_345
; %bb.342:                              ;   in Loop: Header=BB259_11 Depth=1
	v_and_b32_e32 v27, 7, v1
	v_lshrrev_b32_e32 v1, 3, v2
	s_mov_b32 s22, exec_lo
	v_cmpx_gt_u32_e32 8, v2
; %bb.343:                              ;   in Loop: Header=BB259_11 Depth=1
	v_ffbh_u32_e32 v1, v27
	v_min_u32_e32 v1, 32, v1
	v_subrev_nc_u32_e32 v2, 28, v1
	v_sub_nc_u32_e32 v1, 29, v1
	v_lshlrev_b64 v[2:3], v2, v[27:28]
	v_and_b32_e32 v27, 7, v2
; %bb.344:                              ;   in Loop: Header=BB259_11 Depth=1
	s_or_b32 exec_lo, exec_lo, s22
	v_lshlrev_b32_e32 v2, 16, v0
	v_lshlrev_b32_e32 v3, 20, v27
	v_lshl_add_u32 v1, v1, 23, 0x3c000000
	v_and_b32_e32 v2, 0x80000000, v2
	v_or3_b32 v2, v3, v2, v1
	v_mov_b32_e32 v1, v28
	buffer_store_dword v1, off, s[0:3], s32 offset:528 ; 4-byte Folded Spill
	buffer_store_dword v2, off, s[0:3], s32 offset:532 ; 4-byte Folded Spill
.LBB259_345:                            ;   in Loop: Header=BB259_11 Depth=1
	s_or_b32 exec_lo, exec_lo, s19
.LBB259_346:                            ;   in Loop: Header=BB259_11 Depth=1
	s_or_b32 exec_lo, exec_lo, s7
.LBB259_347:                            ;   in Loop: Header=BB259_11 Depth=1
	s_or_b32 exec_lo, exec_lo, s6
	v_mov_b32_e32 v2, 0
	v_mov_b32_e32 v3, 0
	v_and_b32_sdwa v1, v0, v6 dst_sel:DWORD dst_unused:UNUSED_PAD src0_sel:WORD_1 src1_sel:DWORD
	s_mov_b32 s6, exec_lo
	buffer_store_dword v2, off, s[0:3], s32 offset:536 ; 4-byte Folded Spill
	buffer_store_dword v3, off, s[0:3], s32 offset:540 ; 4-byte Folded Spill
	v_mov_b32_e32 v2, 0
	v_mov_b32_e32 v3, 0
	buffer_store_dword v2, off, s[0:3], s32 offset:544 ; 4-byte Folded Spill
	buffer_store_dword v3, off, s[0:3], s32 offset:548 ; 4-byte Folded Spill
	v_cmpx_ne_u16_e32 0, v1
	s_cbranch_execz .LBB259_355
; %bb.348:                              ;   in Loop: Header=BB259_11 Depth=1
	v_cmp_ne_u16_e64 s5, 0x80, v1
	v_bfrev_b32_e32 v1, 1
	v_mov_b32_e32 v2, 0
	buffer_store_dword v1, off, s[0:3], s32 offset:544 ; 4-byte Folded Spill
	buffer_store_dword v2, off, s[0:3], s32 offset:548 ; 4-byte Folded Spill
	s_and_saveexec_b32 s7, s5
	s_cbranch_execz .LBB259_354
; %bb.349:                              ;   in Loop: Header=BB259_11 Depth=1
	v_mov_b32_e32 v3, 0x7f800001
	v_bfe_u32 v2, v0, 16, 7
	v_mov_b32_e32 v4, 0
	s_mov_b32 s19, exec_lo
	buffer_store_dword v3, off, s[0:3], s32 offset:544 ; 4-byte Folded Spill
	buffer_store_dword v4, off, s[0:3], s32 offset:548 ; 4-byte Folded Spill
	v_cmpx_ne_u32_e32 0x7f, v2
	s_cbranch_execz .LBB259_353
; %bb.350:                              ;   in Loop: Header=BB259_11 Depth=1
	v_mov_b32_e32 v1, 7
	s_mov_b32 s22, exec_lo
	v_and_b32_sdwa v27, v0, v1 dst_sel:DWORD dst_unused:UNUSED_PAD src0_sel:WORD_1 src1_sel:DWORD
	v_lshrrev_b32_e32 v1, 3, v2
	v_cmpx_gt_u32_e32 8, v2
; %bb.351:                              ;   in Loop: Header=BB259_11 Depth=1
	v_ffbh_u32_e32 v1, v27
	v_min_u32_e32 v1, 32, v1
	v_subrev_nc_u32_e32 v2, 28, v1
	v_sub_nc_u32_e32 v1, 29, v1
	v_lshlrev_b64 v[2:3], v2, v[27:28]
	v_and_b32_e32 v27, 7, v2
; %bb.352:                              ;   in Loop: Header=BB259_11 Depth=1
	s_or_b32 exec_lo, exec_lo, s22
	v_mov_b32_e32 v2, 24
	v_lshlrev_b32_e32 v3, 20, v27
	v_lshl_add_u32 v1, v1, 23, 0x3c000000
	v_lshlrev_b32_sdwa v2, v2, v0 dst_sel:DWORD dst_unused:UNUSED_PAD src0_sel:DWORD src1_sel:WORD_1
	v_and_b32_e32 v2, 0x80000000, v2
	v_or3_b32 v27, v3, v2, v1
	buffer_store_dword v27, off, s[0:3], s32 offset:544 ; 4-byte Folded Spill
	buffer_store_dword v28, off, s[0:3], s32 offset:548 ; 4-byte Folded Spill
.LBB259_353:                            ;   in Loop: Header=BB259_11 Depth=1
	s_or_b32 exec_lo, exec_lo, s19
.LBB259_354:                            ;   in Loop: Header=BB259_11 Depth=1
	s_or_b32 exec_lo, exec_lo, s7
.LBB259_355:                            ;   in Loop: Header=BB259_11 Depth=1
	s_or_b32 exec_lo, exec_lo, s6
	s_mov_b32 s6, exec_lo
	v_cmpx_lt_u32_e32 0xffffff, v0
	s_cbranch_execz .LBB259_363
; %bb.356:                              ;   in Loop: Header=BB259_11 Depth=1
	v_mov_b32_e32 v1, 0x80
	v_mov_b32_e32 v98, v28
	buffer_store_dword v98, off, s[0:3], s32 offset:536 ; 4-byte Folded Spill
	buffer_store_dword v99, off, s[0:3], s32 offset:540 ; 4-byte Folded Spill
	v_cmp_ne_u32_sdwa s5, v0, v1 src0_sel:BYTE_3 src1_sel:DWORD
	s_and_saveexec_b32 s7, s5
	s_cbranch_execz .LBB259_362
; %bb.357:                              ;   in Loop: Header=BB259_11 Depth=1
	v_bfe_u32 v2, v0, 24, 7
	v_mov_b32_e32 v116, v28
	s_mov_b32 s19, exec_lo
	buffer_store_dword v116, off, s[0:3], s32 offset:536 ; 4-byte Folded Spill
	buffer_store_dword v117, off, s[0:3], s32 offset:540 ; 4-byte Folded Spill
	v_cmpx_ne_u32_e32 0x7f, v2
	s_cbranch_execz .LBB259_361
; %bb.358:                              ;   in Loop: Header=BB259_11 Depth=1
	v_mov_b32_e32 v1, 7
	s_mov_b32 s22, exec_lo
	v_and_b32_sdwa v27, v0, v1 dst_sel:DWORD dst_unused:UNUSED_PAD src0_sel:BYTE_3 src1_sel:DWORD
	v_lshrrev_b32_e32 v1, 3, v2
	v_cmpx_gt_u32_e32 8, v2
; %bb.359:                              ;   in Loop: Header=BB259_11 Depth=1
	v_ffbh_u32_e32 v1, v27
	v_min_u32_e32 v1, 32, v1
	v_subrev_nc_u32_e32 v2, 28, v1
	v_sub_nc_u32_e32 v1, 29, v1
	v_lshlrev_b64 v[2:3], v2, v[27:28]
	v_and_b32_e32 v27, 7, v2
; %bb.360:                              ;   in Loop: Header=BB259_11 Depth=1
	s_or_b32 exec_lo, exec_lo, s22
	v_mov_b32_e32 v2, 24
	v_lshl_add_u32 v1, v1, 23, 0x3c000000
	v_lshlrev_b32_sdwa v0, v2, v0 dst_sel:DWORD dst_unused:UNUSED_PAD src0_sel:DWORD src1_sel:BYTE_3
	v_lshlrev_b32_e32 v2, 20, v27
	v_and_b32_e32 v0, 0x80000000, v0
	v_or3_b32 v1, v2, v0, v1
	v_mov_b32_e32 v0, v28
	buffer_store_dword v0, off, s[0:3], s32 offset:536 ; 4-byte Folded Spill
	buffer_store_dword v1, off, s[0:3], s32 offset:540 ; 4-byte Folded Spill
.LBB259_361:                            ;   in Loop: Header=BB259_11 Depth=1
	s_or_b32 exec_lo, exec_lo, s19
.LBB259_362:                            ;   in Loop: Header=BB259_11 Depth=1
	s_or_b32 exec_lo, exec_lo, s7
.LBB259_363:                            ;   in Loop: Header=BB259_11 Depth=1
	s_or_b32 exec_lo, exec_lo, s6
	flat_load_dword v0, v[45:46] offset:1036
	v_mov_b32_e32 v1, 0
	v_mov_b32_e32 v2, 0
	buffer_store_dword v1, off, s[0:3], s32 offset:560 ; 4-byte Folded Spill
	buffer_store_dword v2, off, s[0:3], s32 offset:564 ; 4-byte Folded Spill
	v_mov_b32_e32 v1, 0
	v_mov_b32_e32 v2, 0
	buffer_store_dword v1, off, s[0:3], s32 offset:552 ; 4-byte Folded Spill
	buffer_store_dword v2, off, s[0:3], s32 offset:556 ; 4-byte Folded Spill
	s_waitcnt vmcnt(0) lgkmcnt(0)
	v_cmp_ne_u16_sdwa s5, v0, v28 src0_sel:BYTE_0 src1_sel:DWORD
	s_and_saveexec_b32 s6, s5
	s_cbranch_execz .LBB259_371
; %bb.364:                              ;   in Loop: Header=BB259_11 Depth=1
	v_bfrev_b32_e32 v1, 1
	v_mov_b32_e32 v2, 0
	buffer_store_dword v1, off, s[0:3], s32 offset:552 ; 4-byte Folded Spill
	buffer_store_dword v2, off, s[0:3], s32 offset:556 ; 4-byte Folded Spill
	v_mov_b32_e32 v1, 0x80
	v_cmp_ne_u16_sdwa s5, v0, v1 src0_sel:BYTE_0 src1_sel:DWORD
	s_and_saveexec_b32 s7, s5
	s_cbranch_execz .LBB259_370
; %bb.365:                              ;   in Loop: Header=BB259_11 Depth=1
	v_mov_b32_e32 v3, 0x7f800001
	v_and_b32_e32 v2, 0x7f, v0
	v_mov_b32_e32 v4, 0
	s_mov_b32 s19, exec_lo
	buffer_store_dword v3, off, s[0:3], s32 offset:552 ; 4-byte Folded Spill
	buffer_store_dword v4, off, s[0:3], s32 offset:556 ; 4-byte Folded Spill
	v_cmpx_ne_u32_e32 0x7f, v2
	s_cbranch_execz .LBB259_369
; %bb.366:                              ;   in Loop: Header=BB259_11 Depth=1
	v_and_b32_e32 v27, 7, v0
	v_lshrrev_b32_e32 v1, 3, v2
	s_mov_b32 s22, exec_lo
	v_cmpx_gt_u32_e32 8, v2
; %bb.367:                              ;   in Loop: Header=BB259_11 Depth=1
	v_ffbh_u32_e32 v1, v27
	v_min_u32_e32 v1, 32, v1
	v_subrev_nc_u32_e32 v2, 28, v1
	v_sub_nc_u32_e32 v1, 29, v1
	v_lshlrev_b64 v[2:3], v2, v[27:28]
	v_and_b32_e32 v27, 7, v2
; %bb.368:                              ;   in Loop: Header=BB259_11 Depth=1
	s_or_b32 exec_lo, exec_lo, s22
	v_lshlrev_b32_e32 v2, 24, v0
	v_lshlrev_b32_e32 v3, 20, v27
	v_lshl_add_u32 v1, v1, 23, 0x3c000000
	v_and_b32_e32 v2, 0x80000000, v2
	v_or3_b32 v27, v3, v2, v1
	buffer_store_dword v27, off, s[0:3], s32 offset:552 ; 4-byte Folded Spill
	buffer_store_dword v28, off, s[0:3], s32 offset:556 ; 4-byte Folded Spill
.LBB259_369:                            ;   in Loop: Header=BB259_11 Depth=1
	s_or_b32 exec_lo, exec_lo, s19
.LBB259_370:                            ;   in Loop: Header=BB259_11 Depth=1
	s_or_b32 exec_lo, exec_lo, s7
.LBB259_371:                            ;   in Loop: Header=BB259_11 Depth=1
	s_or_b32 exec_lo, exec_lo, s6
	v_cmp_ne_u16_sdwa s5, v0, v28 src0_sel:BYTE_1 src1_sel:DWORD
	s_and_saveexec_b32 s6, s5
	s_cbranch_execz .LBB259_379
; %bb.372:                              ;   in Loop: Header=BB259_11 Depth=1
	v_mov_b32_e32 v1, 0x80
	v_mov_b32_e32 v98, v28
	buffer_store_dword v98, off, s[0:3], s32 offset:560 ; 4-byte Folded Spill
	buffer_store_dword v99, off, s[0:3], s32 offset:564 ; 4-byte Folded Spill
	v_cmp_ne_u16_sdwa s5, v0, v1 src0_sel:BYTE_1 src1_sel:DWORD
	s_and_saveexec_b32 s7, s5
	s_cbranch_execz .LBB259_378
; %bb.373:                              ;   in Loop: Header=BB259_11 Depth=1
	v_mov_b32_e32 v1, 0xffff
	v_mov_b32_e32 v116, v28
	s_mov_b32 s19, exec_lo
	buffer_store_dword v116, off, s[0:3], s32 offset:560 ; 4-byte Folded Spill
	buffer_store_dword v117, off, s[0:3], s32 offset:564 ; 4-byte Folded Spill
	v_and_b32_sdwa v1, v1, v0 dst_sel:DWORD dst_unused:UNUSED_PAD src0_sel:DWORD src1_sel:BYTE_1
	v_and_b32_e32 v2, 0x7f, v1
	v_cmpx_ne_u32_e32 0x7f, v2
	s_cbranch_execz .LBB259_377
; %bb.374:                              ;   in Loop: Header=BB259_11 Depth=1
	v_and_b32_e32 v27, 7, v1
	v_lshrrev_b32_e32 v1, 3, v2
	s_mov_b32 s22, exec_lo
	v_cmpx_gt_u32_e32 8, v2
; %bb.375:                              ;   in Loop: Header=BB259_11 Depth=1
	v_ffbh_u32_e32 v1, v27
	v_min_u32_e32 v1, 32, v1
	v_subrev_nc_u32_e32 v2, 28, v1
	v_sub_nc_u32_e32 v1, 29, v1
	v_lshlrev_b64 v[2:3], v2, v[27:28]
	v_and_b32_e32 v27, 7, v2
; %bb.376:                              ;   in Loop: Header=BB259_11 Depth=1
	s_or_b32 exec_lo, exec_lo, s22
	v_lshlrev_b32_e32 v2, 16, v0
	v_lshlrev_b32_e32 v3, 20, v27
	v_lshl_add_u32 v1, v1, 23, 0x3c000000
	v_and_b32_e32 v2, 0x80000000, v2
	v_or3_b32 v2, v3, v2, v1
	v_mov_b32_e32 v1, v28
	buffer_store_dword v1, off, s[0:3], s32 offset:560 ; 4-byte Folded Spill
	buffer_store_dword v2, off, s[0:3], s32 offset:564 ; 4-byte Folded Spill
.LBB259_377:                            ;   in Loop: Header=BB259_11 Depth=1
	s_or_b32 exec_lo, exec_lo, s19
.LBB259_378:                            ;   in Loop: Header=BB259_11 Depth=1
	s_or_b32 exec_lo, exec_lo, s7
.LBB259_379:                            ;   in Loop: Header=BB259_11 Depth=1
	s_or_b32 exec_lo, exec_lo, s6
	v_mov_b32_e32 v2, 0
	v_mov_b32_e32 v3, 0
	v_and_b32_sdwa v1, v0, v6 dst_sel:DWORD dst_unused:UNUSED_PAD src0_sel:WORD_1 src1_sel:DWORD
	s_mov_b32 s6, exec_lo
	buffer_store_dword v2, off, s[0:3], s32 offset:568 ; 4-byte Folded Spill
	buffer_store_dword v3, off, s[0:3], s32 offset:572 ; 4-byte Folded Spill
	v_mov_b32_e32 v2, 0
	v_mov_b32_e32 v3, 0
	buffer_store_dword v2, off, s[0:3], s32 offset:576 ; 4-byte Folded Spill
	buffer_store_dword v3, off, s[0:3], s32 offset:580 ; 4-byte Folded Spill
	v_cmpx_ne_u16_e32 0, v1
	s_cbranch_execz .LBB259_387
; %bb.380:                              ;   in Loop: Header=BB259_11 Depth=1
	v_cmp_ne_u16_e64 s5, 0x80, v1
	v_bfrev_b32_e32 v1, 1
	v_mov_b32_e32 v2, 0
	buffer_store_dword v1, off, s[0:3], s32 offset:576 ; 4-byte Folded Spill
	buffer_store_dword v2, off, s[0:3], s32 offset:580 ; 4-byte Folded Spill
	s_and_saveexec_b32 s7, s5
	s_cbranch_execz .LBB259_386
; %bb.381:                              ;   in Loop: Header=BB259_11 Depth=1
	v_mov_b32_e32 v3, 0x7f800001
	v_bfe_u32 v2, v0, 16, 7
	v_mov_b32_e32 v4, 0
	s_mov_b32 s19, exec_lo
	buffer_store_dword v3, off, s[0:3], s32 offset:576 ; 4-byte Folded Spill
	buffer_store_dword v4, off, s[0:3], s32 offset:580 ; 4-byte Folded Spill
	v_cmpx_ne_u32_e32 0x7f, v2
	s_cbranch_execz .LBB259_385
; %bb.382:                              ;   in Loop: Header=BB259_11 Depth=1
	v_mov_b32_e32 v1, 7
	s_mov_b32 s22, exec_lo
	v_and_b32_sdwa v27, v0, v1 dst_sel:DWORD dst_unused:UNUSED_PAD src0_sel:WORD_1 src1_sel:DWORD
	v_lshrrev_b32_e32 v1, 3, v2
	v_cmpx_gt_u32_e32 8, v2
; %bb.383:                              ;   in Loop: Header=BB259_11 Depth=1
	v_ffbh_u32_e32 v1, v27
	v_min_u32_e32 v1, 32, v1
	v_subrev_nc_u32_e32 v2, 28, v1
	v_sub_nc_u32_e32 v1, 29, v1
	v_lshlrev_b64 v[2:3], v2, v[27:28]
	v_and_b32_e32 v27, 7, v2
; %bb.384:                              ;   in Loop: Header=BB259_11 Depth=1
	s_or_b32 exec_lo, exec_lo, s22
	v_mov_b32_e32 v2, 24
	v_lshlrev_b32_e32 v3, 20, v27
	v_lshl_add_u32 v1, v1, 23, 0x3c000000
	v_lshlrev_b32_sdwa v2, v2, v0 dst_sel:DWORD dst_unused:UNUSED_PAD src0_sel:DWORD src1_sel:WORD_1
	v_and_b32_e32 v2, 0x80000000, v2
	v_or3_b32 v27, v3, v2, v1
	buffer_store_dword v27, off, s[0:3], s32 offset:576 ; 4-byte Folded Spill
	buffer_store_dword v28, off, s[0:3], s32 offset:580 ; 4-byte Folded Spill
.LBB259_385:                            ;   in Loop: Header=BB259_11 Depth=1
	s_or_b32 exec_lo, exec_lo, s19
.LBB259_386:                            ;   in Loop: Header=BB259_11 Depth=1
	s_or_b32 exec_lo, exec_lo, s7
.LBB259_387:                            ;   in Loop: Header=BB259_11 Depth=1
	s_or_b32 exec_lo, exec_lo, s6
	s_mov_b32 s6, exec_lo
	v_cmpx_lt_u32_e32 0xffffff, v0
	s_cbranch_execz .LBB259_395
; %bb.388:                              ;   in Loop: Header=BB259_11 Depth=1
	v_mov_b32_e32 v1, 0x80
	v_mov_b32_e32 v98, v28
	buffer_store_dword v98, off, s[0:3], s32 offset:568 ; 4-byte Folded Spill
	buffer_store_dword v99, off, s[0:3], s32 offset:572 ; 4-byte Folded Spill
	v_cmp_ne_u32_sdwa s5, v0, v1 src0_sel:BYTE_3 src1_sel:DWORD
	s_and_saveexec_b32 s7, s5
	s_cbranch_execz .LBB259_394
; %bb.389:                              ;   in Loop: Header=BB259_11 Depth=1
	v_bfe_u32 v2, v0, 24, 7
	v_mov_b32_e32 v116, v28
	s_mov_b32 s19, exec_lo
	buffer_store_dword v116, off, s[0:3], s32 offset:568 ; 4-byte Folded Spill
	buffer_store_dword v117, off, s[0:3], s32 offset:572 ; 4-byte Folded Spill
	v_cmpx_ne_u32_e32 0x7f, v2
	s_cbranch_execz .LBB259_393
; %bb.390:                              ;   in Loop: Header=BB259_11 Depth=1
	v_mov_b32_e32 v1, 7
	s_mov_b32 s22, exec_lo
	v_and_b32_sdwa v27, v0, v1 dst_sel:DWORD dst_unused:UNUSED_PAD src0_sel:BYTE_3 src1_sel:DWORD
	v_lshrrev_b32_e32 v1, 3, v2
	v_cmpx_gt_u32_e32 8, v2
; %bb.391:                              ;   in Loop: Header=BB259_11 Depth=1
	v_ffbh_u32_e32 v1, v27
	v_min_u32_e32 v1, 32, v1
	v_subrev_nc_u32_e32 v2, 28, v1
	v_sub_nc_u32_e32 v1, 29, v1
	v_lshlrev_b64 v[2:3], v2, v[27:28]
	v_and_b32_e32 v27, 7, v2
; %bb.392:                              ;   in Loop: Header=BB259_11 Depth=1
	s_or_b32 exec_lo, exec_lo, s22
	v_mov_b32_e32 v2, 24
	v_lshl_add_u32 v1, v1, 23, 0x3c000000
	v_lshlrev_b32_sdwa v0, v2, v0 dst_sel:DWORD dst_unused:UNUSED_PAD src0_sel:DWORD src1_sel:BYTE_3
	v_lshlrev_b32_e32 v2, 20, v27
	v_and_b32_e32 v0, 0x80000000, v0
	v_or3_b32 v1, v2, v0, v1
	v_mov_b32_e32 v0, v28
	buffer_store_dword v0, off, s[0:3], s32 offset:568 ; 4-byte Folded Spill
	buffer_store_dword v1, off, s[0:3], s32 offset:572 ; 4-byte Folded Spill
.LBB259_393:                            ;   in Loop: Header=BB259_11 Depth=1
	s_or_b32 exec_lo, exec_lo, s19
.LBB259_394:                            ;   in Loop: Header=BB259_11 Depth=1
	s_or_b32 exec_lo, exec_lo, s7
.LBB259_395:                            ;   in Loop: Header=BB259_11 Depth=1
	s_or_b32 exec_lo, exec_lo, s6
	flat_load_dword v0, v[45:46] offset:1536
	v_mov_b32_e32 v1, 0
	v_mov_b32_e32 v2, 0
	buffer_store_dword v1, off, s[0:3], s32 offset:592 ; 4-byte Folded Spill
	buffer_store_dword v2, off, s[0:3], s32 offset:596 ; 4-byte Folded Spill
	v_mov_b32_e32 v1, 0
	v_mov_b32_e32 v2, 0
	buffer_store_dword v1, off, s[0:3], s32 offset:584 ; 4-byte Folded Spill
	buffer_store_dword v2, off, s[0:3], s32 offset:588 ; 4-byte Folded Spill
	s_waitcnt vmcnt(0) lgkmcnt(0)
	v_cmp_ne_u16_sdwa s5, v0, v28 src0_sel:BYTE_0 src1_sel:DWORD
	s_and_saveexec_b32 s6, s5
	s_cbranch_execz .LBB259_403
; %bb.396:                              ;   in Loop: Header=BB259_11 Depth=1
	v_bfrev_b32_e32 v1, 1
	v_mov_b32_e32 v2, 0
	buffer_store_dword v1, off, s[0:3], s32 offset:584 ; 4-byte Folded Spill
	buffer_store_dword v2, off, s[0:3], s32 offset:588 ; 4-byte Folded Spill
	v_mov_b32_e32 v1, 0x80
	v_cmp_ne_u16_sdwa s5, v0, v1 src0_sel:BYTE_0 src1_sel:DWORD
	s_and_saveexec_b32 s7, s5
	s_cbranch_execz .LBB259_402
; %bb.397:                              ;   in Loop: Header=BB259_11 Depth=1
	v_mov_b32_e32 v3, 0x7f800001
	v_and_b32_e32 v2, 0x7f, v0
	v_mov_b32_e32 v4, 0
	s_mov_b32 s19, exec_lo
	buffer_store_dword v3, off, s[0:3], s32 offset:584 ; 4-byte Folded Spill
	buffer_store_dword v4, off, s[0:3], s32 offset:588 ; 4-byte Folded Spill
	v_cmpx_ne_u32_e32 0x7f, v2
	s_cbranch_execz .LBB259_401
; %bb.398:                              ;   in Loop: Header=BB259_11 Depth=1
	v_and_b32_e32 v27, 7, v0
	v_lshrrev_b32_e32 v1, 3, v2
	s_mov_b32 s22, exec_lo
	v_cmpx_gt_u32_e32 8, v2
; %bb.399:                              ;   in Loop: Header=BB259_11 Depth=1
	v_ffbh_u32_e32 v1, v27
	v_min_u32_e32 v1, 32, v1
	v_subrev_nc_u32_e32 v2, 28, v1
	v_sub_nc_u32_e32 v1, 29, v1
	v_lshlrev_b64 v[2:3], v2, v[27:28]
	v_and_b32_e32 v27, 7, v2
; %bb.400:                              ;   in Loop: Header=BB259_11 Depth=1
	s_or_b32 exec_lo, exec_lo, s22
	v_lshlrev_b32_e32 v2, 24, v0
	v_lshlrev_b32_e32 v3, 20, v27
	v_lshl_add_u32 v1, v1, 23, 0x3c000000
	v_and_b32_e32 v2, 0x80000000, v2
	v_or3_b32 v27, v3, v2, v1
	buffer_store_dword v27, off, s[0:3], s32 offset:584 ; 4-byte Folded Spill
	buffer_store_dword v28, off, s[0:3], s32 offset:588 ; 4-byte Folded Spill
.LBB259_401:                            ;   in Loop: Header=BB259_11 Depth=1
	s_or_b32 exec_lo, exec_lo, s19
.LBB259_402:                            ;   in Loop: Header=BB259_11 Depth=1
	s_or_b32 exec_lo, exec_lo, s7
.LBB259_403:                            ;   in Loop: Header=BB259_11 Depth=1
	s_or_b32 exec_lo, exec_lo, s6
	v_cmp_ne_u16_sdwa s5, v0, v28 src0_sel:BYTE_1 src1_sel:DWORD
	s_and_saveexec_b32 s6, s5
	s_cbranch_execz .LBB259_411
; %bb.404:                              ;   in Loop: Header=BB259_11 Depth=1
	v_mov_b32_e32 v1, 0x80
	v_mov_b32_e32 v98, v28
	buffer_store_dword v98, off, s[0:3], s32 offset:592 ; 4-byte Folded Spill
	buffer_store_dword v99, off, s[0:3], s32 offset:596 ; 4-byte Folded Spill
	v_cmp_ne_u16_sdwa s5, v0, v1 src0_sel:BYTE_1 src1_sel:DWORD
	s_and_saveexec_b32 s7, s5
	s_cbranch_execz .LBB259_410
; %bb.405:                              ;   in Loop: Header=BB259_11 Depth=1
	v_mov_b32_e32 v1, 0xffff
	v_mov_b32_e32 v116, v28
	s_mov_b32 s19, exec_lo
	buffer_store_dword v116, off, s[0:3], s32 offset:592 ; 4-byte Folded Spill
	buffer_store_dword v117, off, s[0:3], s32 offset:596 ; 4-byte Folded Spill
	v_and_b32_sdwa v1, v1, v0 dst_sel:DWORD dst_unused:UNUSED_PAD src0_sel:DWORD src1_sel:BYTE_1
	v_and_b32_e32 v2, 0x7f, v1
	v_cmpx_ne_u32_e32 0x7f, v2
	s_cbranch_execz .LBB259_409
; %bb.406:                              ;   in Loop: Header=BB259_11 Depth=1
	v_and_b32_e32 v27, 7, v1
	v_lshrrev_b32_e32 v1, 3, v2
	s_mov_b32 s22, exec_lo
	v_cmpx_gt_u32_e32 8, v2
; %bb.407:                              ;   in Loop: Header=BB259_11 Depth=1
	v_ffbh_u32_e32 v1, v27
	v_min_u32_e32 v1, 32, v1
	v_subrev_nc_u32_e32 v2, 28, v1
	v_sub_nc_u32_e32 v1, 29, v1
	v_lshlrev_b64 v[2:3], v2, v[27:28]
	v_and_b32_e32 v27, 7, v2
; %bb.408:                              ;   in Loop: Header=BB259_11 Depth=1
	s_or_b32 exec_lo, exec_lo, s22
	v_lshlrev_b32_e32 v2, 16, v0
	v_lshlrev_b32_e32 v3, 20, v27
	v_lshl_add_u32 v1, v1, 23, 0x3c000000
	v_and_b32_e32 v2, 0x80000000, v2
	v_or3_b32 v2, v3, v2, v1
	v_mov_b32_e32 v1, v28
	buffer_store_dword v1, off, s[0:3], s32 offset:592 ; 4-byte Folded Spill
	buffer_store_dword v2, off, s[0:3], s32 offset:596 ; 4-byte Folded Spill
.LBB259_409:                            ;   in Loop: Header=BB259_11 Depth=1
	s_or_b32 exec_lo, exec_lo, s19
.LBB259_410:                            ;   in Loop: Header=BB259_11 Depth=1
	s_or_b32 exec_lo, exec_lo, s7
.LBB259_411:                            ;   in Loop: Header=BB259_11 Depth=1
	s_or_b32 exec_lo, exec_lo, s6
	v_mov_b32_e32 v2, 0
	v_mov_b32_e32 v3, 0
	v_and_b32_sdwa v1, v0, v6 dst_sel:DWORD dst_unused:UNUSED_PAD src0_sel:WORD_1 src1_sel:DWORD
	s_mov_b32 s6, exec_lo
	buffer_store_dword v2, off, s[0:3], s32 offset:600 ; 4-byte Folded Spill
	buffer_store_dword v3, off, s[0:3], s32 offset:604 ; 4-byte Folded Spill
	v_mov_b32_e32 v2, 0
	v_mov_b32_e32 v3, 0
	buffer_store_dword v2, off, s[0:3], s32 offset:608 ; 4-byte Folded Spill
	buffer_store_dword v3, off, s[0:3], s32 offset:612 ; 4-byte Folded Spill
	v_cmpx_ne_u16_e32 0, v1
	s_cbranch_execz .LBB259_419
; %bb.412:                              ;   in Loop: Header=BB259_11 Depth=1
	v_cmp_ne_u16_e64 s5, 0x80, v1
	v_bfrev_b32_e32 v1, 1
	v_mov_b32_e32 v2, 0
	buffer_store_dword v1, off, s[0:3], s32 offset:608 ; 4-byte Folded Spill
	buffer_store_dword v2, off, s[0:3], s32 offset:612 ; 4-byte Folded Spill
	s_and_saveexec_b32 s7, s5
	s_cbranch_execz .LBB259_418
; %bb.413:                              ;   in Loop: Header=BB259_11 Depth=1
	v_mov_b32_e32 v3, 0x7f800001
	v_bfe_u32 v2, v0, 16, 7
	v_mov_b32_e32 v4, 0
	s_mov_b32 s19, exec_lo
	buffer_store_dword v3, off, s[0:3], s32 offset:608 ; 4-byte Folded Spill
	buffer_store_dword v4, off, s[0:3], s32 offset:612 ; 4-byte Folded Spill
	v_cmpx_ne_u32_e32 0x7f, v2
	s_cbranch_execz .LBB259_417
; %bb.414:                              ;   in Loop: Header=BB259_11 Depth=1
	v_mov_b32_e32 v1, 7
	s_mov_b32 s22, exec_lo
	v_and_b32_sdwa v27, v0, v1 dst_sel:DWORD dst_unused:UNUSED_PAD src0_sel:WORD_1 src1_sel:DWORD
	v_lshrrev_b32_e32 v1, 3, v2
	v_cmpx_gt_u32_e32 8, v2
; %bb.415:                              ;   in Loop: Header=BB259_11 Depth=1
	v_ffbh_u32_e32 v1, v27
	v_min_u32_e32 v1, 32, v1
	v_subrev_nc_u32_e32 v2, 28, v1
	v_sub_nc_u32_e32 v1, 29, v1
	v_lshlrev_b64 v[2:3], v2, v[27:28]
	v_and_b32_e32 v27, 7, v2
; %bb.416:                              ;   in Loop: Header=BB259_11 Depth=1
	s_or_b32 exec_lo, exec_lo, s22
	v_mov_b32_e32 v2, 24
	v_lshlrev_b32_e32 v3, 20, v27
	v_lshl_add_u32 v1, v1, 23, 0x3c000000
	v_lshlrev_b32_sdwa v2, v2, v0 dst_sel:DWORD dst_unused:UNUSED_PAD src0_sel:DWORD src1_sel:WORD_1
	v_and_b32_e32 v2, 0x80000000, v2
	v_or3_b32 v27, v3, v2, v1
	buffer_store_dword v27, off, s[0:3], s32 offset:608 ; 4-byte Folded Spill
	buffer_store_dword v28, off, s[0:3], s32 offset:612 ; 4-byte Folded Spill
.LBB259_417:                            ;   in Loop: Header=BB259_11 Depth=1
	s_or_b32 exec_lo, exec_lo, s19
.LBB259_418:                            ;   in Loop: Header=BB259_11 Depth=1
	s_or_b32 exec_lo, exec_lo, s7
.LBB259_419:                            ;   in Loop: Header=BB259_11 Depth=1
	s_or_b32 exec_lo, exec_lo, s6
	s_mov_b32 s6, exec_lo
	v_cmpx_lt_u32_e32 0xffffff, v0
	s_cbranch_execz .LBB259_427
; %bb.420:                              ;   in Loop: Header=BB259_11 Depth=1
	v_mov_b32_e32 v1, 0x80
	v_mov_b32_e32 v98, v28
	buffer_store_dword v98, off, s[0:3], s32 offset:600 ; 4-byte Folded Spill
	buffer_store_dword v99, off, s[0:3], s32 offset:604 ; 4-byte Folded Spill
	v_cmp_ne_u32_sdwa s5, v0, v1 src0_sel:BYTE_3 src1_sel:DWORD
	s_and_saveexec_b32 s7, s5
	s_cbranch_execz .LBB259_426
; %bb.421:                              ;   in Loop: Header=BB259_11 Depth=1
	v_bfe_u32 v2, v0, 24, 7
	v_mov_b32_e32 v116, v28
	s_mov_b32 s19, exec_lo
	buffer_store_dword v116, off, s[0:3], s32 offset:600 ; 4-byte Folded Spill
	buffer_store_dword v117, off, s[0:3], s32 offset:604 ; 4-byte Folded Spill
	v_cmpx_ne_u32_e32 0x7f, v2
	s_cbranch_execz .LBB259_425
; %bb.422:                              ;   in Loop: Header=BB259_11 Depth=1
	v_mov_b32_e32 v1, 7
	s_mov_b32 s22, exec_lo
	v_and_b32_sdwa v27, v0, v1 dst_sel:DWORD dst_unused:UNUSED_PAD src0_sel:BYTE_3 src1_sel:DWORD
	v_lshrrev_b32_e32 v1, 3, v2
	v_cmpx_gt_u32_e32 8, v2
; %bb.423:                              ;   in Loop: Header=BB259_11 Depth=1
	v_ffbh_u32_e32 v1, v27
	v_min_u32_e32 v1, 32, v1
	v_subrev_nc_u32_e32 v2, 28, v1
	v_sub_nc_u32_e32 v1, 29, v1
	v_lshlrev_b64 v[2:3], v2, v[27:28]
	v_and_b32_e32 v27, 7, v2
; %bb.424:                              ;   in Loop: Header=BB259_11 Depth=1
	s_or_b32 exec_lo, exec_lo, s22
	v_mov_b32_e32 v2, 24
	v_lshl_add_u32 v1, v1, 23, 0x3c000000
	v_lshlrev_b32_sdwa v0, v2, v0 dst_sel:DWORD dst_unused:UNUSED_PAD src0_sel:DWORD src1_sel:BYTE_3
	v_lshlrev_b32_e32 v2, 20, v27
	v_and_b32_e32 v0, 0x80000000, v0
	v_or3_b32 v1, v2, v0, v1
	v_mov_b32_e32 v0, v28
	buffer_store_dword v0, off, s[0:3], s32 offset:600 ; 4-byte Folded Spill
	buffer_store_dword v1, off, s[0:3], s32 offset:604 ; 4-byte Folded Spill
.LBB259_425:                            ;   in Loop: Header=BB259_11 Depth=1
	s_or_b32 exec_lo, exec_lo, s19
.LBB259_426:                            ;   in Loop: Header=BB259_11 Depth=1
	s_or_b32 exec_lo, exec_lo, s7
.LBB259_427:                            ;   in Loop: Header=BB259_11 Depth=1
	s_or_b32 exec_lo, exec_lo, s6
	flat_load_dword v0, v[45:46] offset:1540
	v_mov_b32_e32 v1, 0
	v_mov_b32_e32 v2, 0
	buffer_store_dword v1, off, s[0:3], s32 offset:624 ; 4-byte Folded Spill
	buffer_store_dword v2, off, s[0:3], s32 offset:628 ; 4-byte Folded Spill
	v_mov_b32_e32 v1, 0
	v_mov_b32_e32 v2, 0
	buffer_store_dword v1, off, s[0:3], s32 offset:616 ; 4-byte Folded Spill
	buffer_store_dword v2, off, s[0:3], s32 offset:620 ; 4-byte Folded Spill
	s_waitcnt vmcnt(0) lgkmcnt(0)
	v_cmp_ne_u16_sdwa s5, v0, v28 src0_sel:BYTE_0 src1_sel:DWORD
	s_and_saveexec_b32 s6, s5
	s_cbranch_execz .LBB259_435
; %bb.428:                              ;   in Loop: Header=BB259_11 Depth=1
	v_bfrev_b32_e32 v1, 1
	v_mov_b32_e32 v2, 0
	buffer_store_dword v1, off, s[0:3], s32 offset:616 ; 4-byte Folded Spill
	buffer_store_dword v2, off, s[0:3], s32 offset:620 ; 4-byte Folded Spill
	v_mov_b32_e32 v1, 0x80
	v_cmp_ne_u16_sdwa s5, v0, v1 src0_sel:BYTE_0 src1_sel:DWORD
	s_and_saveexec_b32 s7, s5
	s_cbranch_execz .LBB259_434
; %bb.429:                              ;   in Loop: Header=BB259_11 Depth=1
	v_mov_b32_e32 v3, 0x7f800001
	v_and_b32_e32 v2, 0x7f, v0
	v_mov_b32_e32 v4, 0
	s_mov_b32 s19, exec_lo
	buffer_store_dword v3, off, s[0:3], s32 offset:616 ; 4-byte Folded Spill
	buffer_store_dword v4, off, s[0:3], s32 offset:620 ; 4-byte Folded Spill
	v_cmpx_ne_u32_e32 0x7f, v2
	s_cbranch_execz .LBB259_433
; %bb.430:                              ;   in Loop: Header=BB259_11 Depth=1
	v_and_b32_e32 v27, 7, v0
	v_lshrrev_b32_e32 v1, 3, v2
	s_mov_b32 s22, exec_lo
	v_cmpx_gt_u32_e32 8, v2
; %bb.431:                              ;   in Loop: Header=BB259_11 Depth=1
	v_ffbh_u32_e32 v1, v27
	v_min_u32_e32 v1, 32, v1
	v_subrev_nc_u32_e32 v2, 28, v1
	v_sub_nc_u32_e32 v1, 29, v1
	v_lshlrev_b64 v[2:3], v2, v[27:28]
	v_and_b32_e32 v27, 7, v2
; %bb.432:                              ;   in Loop: Header=BB259_11 Depth=1
	s_or_b32 exec_lo, exec_lo, s22
	v_lshlrev_b32_e32 v2, 24, v0
	v_lshlrev_b32_e32 v3, 20, v27
	v_lshl_add_u32 v1, v1, 23, 0x3c000000
	v_and_b32_e32 v2, 0x80000000, v2
	v_or3_b32 v27, v3, v2, v1
	buffer_store_dword v27, off, s[0:3], s32 offset:616 ; 4-byte Folded Spill
	buffer_store_dword v28, off, s[0:3], s32 offset:620 ; 4-byte Folded Spill
.LBB259_433:                            ;   in Loop: Header=BB259_11 Depth=1
	s_or_b32 exec_lo, exec_lo, s19
.LBB259_434:                            ;   in Loop: Header=BB259_11 Depth=1
	s_or_b32 exec_lo, exec_lo, s7
.LBB259_435:                            ;   in Loop: Header=BB259_11 Depth=1
	s_or_b32 exec_lo, exec_lo, s6
	v_cmp_ne_u16_sdwa s5, v0, v28 src0_sel:BYTE_1 src1_sel:DWORD
	s_and_saveexec_b32 s6, s5
	s_cbranch_execz .LBB259_443
; %bb.436:                              ;   in Loop: Header=BB259_11 Depth=1
	v_mov_b32_e32 v1, 0x80
	v_mov_b32_e32 v98, v28
	buffer_store_dword v98, off, s[0:3], s32 offset:624 ; 4-byte Folded Spill
	buffer_store_dword v99, off, s[0:3], s32 offset:628 ; 4-byte Folded Spill
	v_cmp_ne_u16_sdwa s5, v0, v1 src0_sel:BYTE_1 src1_sel:DWORD
	s_and_saveexec_b32 s7, s5
	s_cbranch_execz .LBB259_442
; %bb.437:                              ;   in Loop: Header=BB259_11 Depth=1
	v_mov_b32_e32 v1, 0xffff
	v_mov_b32_e32 v116, v28
	s_mov_b32 s19, exec_lo
	buffer_store_dword v116, off, s[0:3], s32 offset:624 ; 4-byte Folded Spill
	buffer_store_dword v117, off, s[0:3], s32 offset:628 ; 4-byte Folded Spill
	v_and_b32_sdwa v1, v1, v0 dst_sel:DWORD dst_unused:UNUSED_PAD src0_sel:DWORD src1_sel:BYTE_1
	v_and_b32_e32 v2, 0x7f, v1
	v_cmpx_ne_u32_e32 0x7f, v2
	s_cbranch_execz .LBB259_441
; %bb.438:                              ;   in Loop: Header=BB259_11 Depth=1
	v_and_b32_e32 v27, 7, v1
	v_lshrrev_b32_e32 v1, 3, v2
	s_mov_b32 s22, exec_lo
	v_cmpx_gt_u32_e32 8, v2
; %bb.439:                              ;   in Loop: Header=BB259_11 Depth=1
	v_ffbh_u32_e32 v1, v27
	v_min_u32_e32 v1, 32, v1
	v_subrev_nc_u32_e32 v2, 28, v1
	v_sub_nc_u32_e32 v1, 29, v1
	v_lshlrev_b64 v[2:3], v2, v[27:28]
	v_and_b32_e32 v27, 7, v2
; %bb.440:                              ;   in Loop: Header=BB259_11 Depth=1
	s_or_b32 exec_lo, exec_lo, s22
	v_lshlrev_b32_e32 v2, 16, v0
	v_lshlrev_b32_e32 v3, 20, v27
	v_lshl_add_u32 v1, v1, 23, 0x3c000000
	v_and_b32_e32 v2, 0x80000000, v2
	v_or3_b32 v2, v3, v2, v1
	v_mov_b32_e32 v1, v28
	buffer_store_dword v1, off, s[0:3], s32 offset:624 ; 4-byte Folded Spill
	buffer_store_dword v2, off, s[0:3], s32 offset:628 ; 4-byte Folded Spill
.LBB259_441:                            ;   in Loop: Header=BB259_11 Depth=1
	s_or_b32 exec_lo, exec_lo, s19
.LBB259_442:                            ;   in Loop: Header=BB259_11 Depth=1
	s_or_b32 exec_lo, exec_lo, s7
.LBB259_443:                            ;   in Loop: Header=BB259_11 Depth=1
	s_or_b32 exec_lo, exec_lo, s6
	v_mov_b32_e32 v2, 0
	v_mov_b32_e32 v3, 0
	v_and_b32_sdwa v1, v0, v6 dst_sel:DWORD dst_unused:UNUSED_PAD src0_sel:WORD_1 src1_sel:DWORD
	s_mov_b32 s6, exec_lo
	buffer_store_dword v2, off, s[0:3], s32 offset:632 ; 4-byte Folded Spill
	buffer_store_dword v3, off, s[0:3], s32 offset:636 ; 4-byte Folded Spill
	v_mov_b32_e32 v2, 0
	v_mov_b32_e32 v3, 0
	buffer_store_dword v2, off, s[0:3], s32 offset:640 ; 4-byte Folded Spill
	buffer_store_dword v3, off, s[0:3], s32 offset:644 ; 4-byte Folded Spill
	v_cmpx_ne_u16_e32 0, v1
	s_cbranch_execz .LBB259_451
; %bb.444:                              ;   in Loop: Header=BB259_11 Depth=1
	v_cmp_ne_u16_e64 s5, 0x80, v1
	v_bfrev_b32_e32 v1, 1
	v_mov_b32_e32 v2, 0
	buffer_store_dword v1, off, s[0:3], s32 offset:640 ; 4-byte Folded Spill
	buffer_store_dword v2, off, s[0:3], s32 offset:644 ; 4-byte Folded Spill
	s_and_saveexec_b32 s7, s5
	s_cbranch_execz .LBB259_450
; %bb.445:                              ;   in Loop: Header=BB259_11 Depth=1
	v_mov_b32_e32 v3, 0x7f800001
	v_bfe_u32 v2, v0, 16, 7
	v_mov_b32_e32 v4, 0
	s_mov_b32 s19, exec_lo
	buffer_store_dword v3, off, s[0:3], s32 offset:640 ; 4-byte Folded Spill
	buffer_store_dword v4, off, s[0:3], s32 offset:644 ; 4-byte Folded Spill
	v_cmpx_ne_u32_e32 0x7f, v2
	s_cbranch_execz .LBB259_449
; %bb.446:                              ;   in Loop: Header=BB259_11 Depth=1
	v_mov_b32_e32 v1, 7
	s_mov_b32 s22, exec_lo
	v_and_b32_sdwa v27, v0, v1 dst_sel:DWORD dst_unused:UNUSED_PAD src0_sel:WORD_1 src1_sel:DWORD
	v_lshrrev_b32_e32 v1, 3, v2
	v_cmpx_gt_u32_e32 8, v2
; %bb.447:                              ;   in Loop: Header=BB259_11 Depth=1
	v_ffbh_u32_e32 v1, v27
	v_min_u32_e32 v1, 32, v1
	v_subrev_nc_u32_e32 v2, 28, v1
	v_sub_nc_u32_e32 v1, 29, v1
	v_lshlrev_b64 v[2:3], v2, v[27:28]
	v_and_b32_e32 v27, 7, v2
; %bb.448:                              ;   in Loop: Header=BB259_11 Depth=1
	s_or_b32 exec_lo, exec_lo, s22
	v_mov_b32_e32 v2, 24
	v_lshlrev_b32_e32 v3, 20, v27
	v_lshl_add_u32 v1, v1, 23, 0x3c000000
	v_lshlrev_b32_sdwa v2, v2, v0 dst_sel:DWORD dst_unused:UNUSED_PAD src0_sel:DWORD src1_sel:WORD_1
	v_and_b32_e32 v2, 0x80000000, v2
	v_or3_b32 v27, v3, v2, v1
	buffer_store_dword v27, off, s[0:3], s32 offset:640 ; 4-byte Folded Spill
	buffer_store_dword v28, off, s[0:3], s32 offset:644 ; 4-byte Folded Spill
.LBB259_449:                            ;   in Loop: Header=BB259_11 Depth=1
	s_or_b32 exec_lo, exec_lo, s19
.LBB259_450:                            ;   in Loop: Header=BB259_11 Depth=1
	s_or_b32 exec_lo, exec_lo, s7
.LBB259_451:                            ;   in Loop: Header=BB259_11 Depth=1
	s_or_b32 exec_lo, exec_lo, s6
	s_mov_b32 s6, exec_lo
	v_cmpx_lt_u32_e32 0xffffff, v0
	s_cbranch_execz .LBB259_459
; %bb.452:                              ;   in Loop: Header=BB259_11 Depth=1
	v_mov_b32_e32 v1, 0x80
	v_mov_b32_e32 v98, v28
	buffer_store_dword v98, off, s[0:3], s32 offset:632 ; 4-byte Folded Spill
	buffer_store_dword v99, off, s[0:3], s32 offset:636 ; 4-byte Folded Spill
	v_cmp_ne_u32_sdwa s5, v0, v1 src0_sel:BYTE_3 src1_sel:DWORD
	s_and_saveexec_b32 s7, s5
	s_cbranch_execz .LBB259_458
; %bb.453:                              ;   in Loop: Header=BB259_11 Depth=1
	v_bfe_u32 v2, v0, 24, 7
	v_mov_b32_e32 v116, v28
	s_mov_b32 s19, exec_lo
	buffer_store_dword v116, off, s[0:3], s32 offset:632 ; 4-byte Folded Spill
	buffer_store_dword v117, off, s[0:3], s32 offset:636 ; 4-byte Folded Spill
	v_cmpx_ne_u32_e32 0x7f, v2
	s_cbranch_execz .LBB259_457
; %bb.454:                              ;   in Loop: Header=BB259_11 Depth=1
	v_mov_b32_e32 v1, 7
	s_mov_b32 s22, exec_lo
	v_and_b32_sdwa v27, v0, v1 dst_sel:DWORD dst_unused:UNUSED_PAD src0_sel:BYTE_3 src1_sel:DWORD
	v_lshrrev_b32_e32 v1, 3, v2
	v_cmpx_gt_u32_e32 8, v2
; %bb.455:                              ;   in Loop: Header=BB259_11 Depth=1
	v_ffbh_u32_e32 v1, v27
	v_min_u32_e32 v1, 32, v1
	v_subrev_nc_u32_e32 v2, 28, v1
	v_sub_nc_u32_e32 v1, 29, v1
	v_lshlrev_b64 v[2:3], v2, v[27:28]
	v_and_b32_e32 v27, 7, v2
; %bb.456:                              ;   in Loop: Header=BB259_11 Depth=1
	s_or_b32 exec_lo, exec_lo, s22
	v_mov_b32_e32 v2, 24
	v_lshl_add_u32 v1, v1, 23, 0x3c000000
	v_lshlrev_b32_sdwa v0, v2, v0 dst_sel:DWORD dst_unused:UNUSED_PAD src0_sel:DWORD src1_sel:BYTE_3
	v_lshlrev_b32_e32 v2, 20, v27
	v_and_b32_e32 v0, 0x80000000, v0
	v_or3_b32 v1, v2, v0, v1
	v_mov_b32_e32 v0, v28
	buffer_store_dword v0, off, s[0:3], s32 offset:632 ; 4-byte Folded Spill
	buffer_store_dword v1, off, s[0:3], s32 offset:636 ; 4-byte Folded Spill
.LBB259_457:                            ;   in Loop: Header=BB259_11 Depth=1
	s_or_b32 exec_lo, exec_lo, s19
.LBB259_458:                            ;   in Loop: Header=BB259_11 Depth=1
	s_or_b32 exec_lo, exec_lo, s7
.LBB259_459:                            ;   in Loop: Header=BB259_11 Depth=1
	s_or_b32 exec_lo, exec_lo, s6
	flat_load_dword v0, v[45:46] offset:1544
	v_mov_b32_e32 v1, 0
	v_mov_b32_e32 v2, 0
	buffer_store_dword v1, off, s[0:3], s32 offset:656 ; 4-byte Folded Spill
	buffer_store_dword v2, off, s[0:3], s32 offset:660 ; 4-byte Folded Spill
	v_mov_b32_e32 v1, 0
	v_mov_b32_e32 v2, 0
	buffer_store_dword v1, off, s[0:3], s32 offset:648 ; 4-byte Folded Spill
	buffer_store_dword v2, off, s[0:3], s32 offset:652 ; 4-byte Folded Spill
	s_waitcnt vmcnt(0) lgkmcnt(0)
	v_cmp_ne_u16_sdwa s5, v0, v28 src0_sel:BYTE_0 src1_sel:DWORD
	s_and_saveexec_b32 s6, s5
	s_cbranch_execz .LBB259_467
; %bb.460:                              ;   in Loop: Header=BB259_11 Depth=1
	v_bfrev_b32_e32 v1, 1
	v_mov_b32_e32 v2, 0
	buffer_store_dword v1, off, s[0:3], s32 offset:648 ; 4-byte Folded Spill
	buffer_store_dword v2, off, s[0:3], s32 offset:652 ; 4-byte Folded Spill
	v_mov_b32_e32 v1, 0x80
	v_cmp_ne_u16_sdwa s5, v0, v1 src0_sel:BYTE_0 src1_sel:DWORD
	s_and_saveexec_b32 s7, s5
	s_cbranch_execz .LBB259_466
; %bb.461:                              ;   in Loop: Header=BB259_11 Depth=1
	v_mov_b32_e32 v3, 0x7f800001
	v_and_b32_e32 v2, 0x7f, v0
	v_mov_b32_e32 v4, 0
	s_mov_b32 s19, exec_lo
	buffer_store_dword v3, off, s[0:3], s32 offset:648 ; 4-byte Folded Spill
	buffer_store_dword v4, off, s[0:3], s32 offset:652 ; 4-byte Folded Spill
	v_cmpx_ne_u32_e32 0x7f, v2
	s_cbranch_execz .LBB259_465
; %bb.462:                              ;   in Loop: Header=BB259_11 Depth=1
	v_and_b32_e32 v27, 7, v0
	v_lshrrev_b32_e32 v1, 3, v2
	s_mov_b32 s22, exec_lo
	v_cmpx_gt_u32_e32 8, v2
; %bb.463:                              ;   in Loop: Header=BB259_11 Depth=1
	v_ffbh_u32_e32 v1, v27
	v_min_u32_e32 v1, 32, v1
	v_subrev_nc_u32_e32 v2, 28, v1
	v_sub_nc_u32_e32 v1, 29, v1
	v_lshlrev_b64 v[2:3], v2, v[27:28]
	v_and_b32_e32 v27, 7, v2
; %bb.464:                              ;   in Loop: Header=BB259_11 Depth=1
	s_or_b32 exec_lo, exec_lo, s22
	v_lshlrev_b32_e32 v2, 24, v0
	v_lshlrev_b32_e32 v3, 20, v27
	v_lshl_add_u32 v1, v1, 23, 0x3c000000
	v_and_b32_e32 v2, 0x80000000, v2
	v_or3_b32 v27, v3, v2, v1
	buffer_store_dword v27, off, s[0:3], s32 offset:648 ; 4-byte Folded Spill
	buffer_store_dword v28, off, s[0:3], s32 offset:652 ; 4-byte Folded Spill
.LBB259_465:                            ;   in Loop: Header=BB259_11 Depth=1
	s_or_b32 exec_lo, exec_lo, s19
.LBB259_466:                            ;   in Loop: Header=BB259_11 Depth=1
	s_or_b32 exec_lo, exec_lo, s7
.LBB259_467:                            ;   in Loop: Header=BB259_11 Depth=1
	s_or_b32 exec_lo, exec_lo, s6
	v_cmp_ne_u16_sdwa s5, v0, v28 src0_sel:BYTE_1 src1_sel:DWORD
	s_and_saveexec_b32 s6, s5
	s_cbranch_execz .LBB259_475
; %bb.468:                              ;   in Loop: Header=BB259_11 Depth=1
	v_mov_b32_e32 v1, 0x80
	v_mov_b32_e32 v98, v28
	buffer_store_dword v98, off, s[0:3], s32 offset:656 ; 4-byte Folded Spill
	buffer_store_dword v99, off, s[0:3], s32 offset:660 ; 4-byte Folded Spill
	v_cmp_ne_u16_sdwa s5, v0, v1 src0_sel:BYTE_1 src1_sel:DWORD
	s_and_saveexec_b32 s7, s5
	s_cbranch_execz .LBB259_474
; %bb.469:                              ;   in Loop: Header=BB259_11 Depth=1
	v_mov_b32_e32 v1, 0xffff
	v_mov_b32_e32 v116, v28
	s_mov_b32 s19, exec_lo
	buffer_store_dword v116, off, s[0:3], s32 offset:656 ; 4-byte Folded Spill
	buffer_store_dword v117, off, s[0:3], s32 offset:660 ; 4-byte Folded Spill
	v_and_b32_sdwa v1, v1, v0 dst_sel:DWORD dst_unused:UNUSED_PAD src0_sel:DWORD src1_sel:BYTE_1
	v_and_b32_e32 v2, 0x7f, v1
	v_cmpx_ne_u32_e32 0x7f, v2
	s_cbranch_execz .LBB259_473
; %bb.470:                              ;   in Loop: Header=BB259_11 Depth=1
	v_and_b32_e32 v27, 7, v1
	v_lshrrev_b32_e32 v1, 3, v2
	s_mov_b32 s22, exec_lo
	v_cmpx_gt_u32_e32 8, v2
; %bb.471:                              ;   in Loop: Header=BB259_11 Depth=1
	v_ffbh_u32_e32 v1, v27
	v_min_u32_e32 v1, 32, v1
	v_subrev_nc_u32_e32 v2, 28, v1
	v_sub_nc_u32_e32 v1, 29, v1
	v_lshlrev_b64 v[2:3], v2, v[27:28]
	v_and_b32_e32 v27, 7, v2
; %bb.472:                              ;   in Loop: Header=BB259_11 Depth=1
	s_or_b32 exec_lo, exec_lo, s22
	v_lshlrev_b32_e32 v2, 16, v0
	v_lshlrev_b32_e32 v3, 20, v27
	v_lshl_add_u32 v1, v1, 23, 0x3c000000
	v_and_b32_e32 v2, 0x80000000, v2
	v_or3_b32 v2, v3, v2, v1
	v_mov_b32_e32 v1, v28
	buffer_store_dword v1, off, s[0:3], s32 offset:656 ; 4-byte Folded Spill
	buffer_store_dword v2, off, s[0:3], s32 offset:660 ; 4-byte Folded Spill
.LBB259_473:                            ;   in Loop: Header=BB259_11 Depth=1
	s_or_b32 exec_lo, exec_lo, s19
.LBB259_474:                            ;   in Loop: Header=BB259_11 Depth=1
	s_or_b32 exec_lo, exec_lo, s7
.LBB259_475:                            ;   in Loop: Header=BB259_11 Depth=1
	s_or_b32 exec_lo, exec_lo, s6
	v_mov_b32_e32 v2, 0
	v_mov_b32_e32 v3, 0
	v_and_b32_sdwa v1, v0, v6 dst_sel:DWORD dst_unused:UNUSED_PAD src0_sel:WORD_1 src1_sel:DWORD
	s_mov_b32 s6, exec_lo
	buffer_store_dword v2, off, s[0:3], s32 offset:664 ; 4-byte Folded Spill
	buffer_store_dword v3, off, s[0:3], s32 offset:668 ; 4-byte Folded Spill
	v_mov_b32_e32 v2, 0
	v_mov_b32_e32 v3, 0
	buffer_store_dword v2, off, s[0:3], s32 offset:672 ; 4-byte Folded Spill
	buffer_store_dword v3, off, s[0:3], s32 offset:676 ; 4-byte Folded Spill
	v_cmpx_ne_u16_e32 0, v1
	s_cbranch_execz .LBB259_483
; %bb.476:                              ;   in Loop: Header=BB259_11 Depth=1
	v_cmp_ne_u16_e64 s5, 0x80, v1
	v_bfrev_b32_e32 v1, 1
	v_mov_b32_e32 v2, 0
	buffer_store_dword v1, off, s[0:3], s32 offset:672 ; 4-byte Folded Spill
	buffer_store_dword v2, off, s[0:3], s32 offset:676 ; 4-byte Folded Spill
	s_and_saveexec_b32 s7, s5
	s_cbranch_execz .LBB259_482
; %bb.477:                              ;   in Loop: Header=BB259_11 Depth=1
	v_mov_b32_e32 v3, 0x7f800001
	v_bfe_u32 v2, v0, 16, 7
	v_mov_b32_e32 v4, 0
	s_mov_b32 s19, exec_lo
	buffer_store_dword v3, off, s[0:3], s32 offset:672 ; 4-byte Folded Spill
	buffer_store_dword v4, off, s[0:3], s32 offset:676 ; 4-byte Folded Spill
	v_cmpx_ne_u32_e32 0x7f, v2
	s_cbranch_execz .LBB259_481
; %bb.478:                              ;   in Loop: Header=BB259_11 Depth=1
	v_mov_b32_e32 v1, 7
	s_mov_b32 s22, exec_lo
	v_and_b32_sdwa v27, v0, v1 dst_sel:DWORD dst_unused:UNUSED_PAD src0_sel:WORD_1 src1_sel:DWORD
	v_lshrrev_b32_e32 v1, 3, v2
	v_cmpx_gt_u32_e32 8, v2
; %bb.479:                              ;   in Loop: Header=BB259_11 Depth=1
	v_ffbh_u32_e32 v1, v27
	v_min_u32_e32 v1, 32, v1
	v_subrev_nc_u32_e32 v2, 28, v1
	v_sub_nc_u32_e32 v1, 29, v1
	v_lshlrev_b64 v[2:3], v2, v[27:28]
	v_and_b32_e32 v27, 7, v2
; %bb.480:                              ;   in Loop: Header=BB259_11 Depth=1
	s_or_b32 exec_lo, exec_lo, s22
	v_mov_b32_e32 v2, 24
	v_lshlrev_b32_e32 v3, 20, v27
	v_lshl_add_u32 v1, v1, 23, 0x3c000000
	v_lshlrev_b32_sdwa v2, v2, v0 dst_sel:DWORD dst_unused:UNUSED_PAD src0_sel:DWORD src1_sel:WORD_1
	v_and_b32_e32 v2, 0x80000000, v2
	v_or3_b32 v27, v3, v2, v1
	buffer_store_dword v27, off, s[0:3], s32 offset:672 ; 4-byte Folded Spill
	buffer_store_dword v28, off, s[0:3], s32 offset:676 ; 4-byte Folded Spill
.LBB259_481:                            ;   in Loop: Header=BB259_11 Depth=1
	s_or_b32 exec_lo, exec_lo, s19
.LBB259_482:                            ;   in Loop: Header=BB259_11 Depth=1
	s_or_b32 exec_lo, exec_lo, s7
.LBB259_483:                            ;   in Loop: Header=BB259_11 Depth=1
	s_or_b32 exec_lo, exec_lo, s6
	s_mov_b32 s6, exec_lo
	v_cmpx_lt_u32_e32 0xffffff, v0
	s_cbranch_execz .LBB259_491
; %bb.484:                              ;   in Loop: Header=BB259_11 Depth=1
	v_mov_b32_e32 v1, 0x80
	v_mov_b32_e32 v98, v28
	buffer_store_dword v98, off, s[0:3], s32 offset:664 ; 4-byte Folded Spill
	buffer_store_dword v99, off, s[0:3], s32 offset:668 ; 4-byte Folded Spill
	v_cmp_ne_u32_sdwa s5, v0, v1 src0_sel:BYTE_3 src1_sel:DWORD
	s_and_saveexec_b32 s7, s5
	s_cbranch_execz .LBB259_490
; %bb.485:                              ;   in Loop: Header=BB259_11 Depth=1
	v_bfe_u32 v2, v0, 24, 7
	v_mov_b32_e32 v116, v28
	s_mov_b32 s19, exec_lo
	buffer_store_dword v116, off, s[0:3], s32 offset:664 ; 4-byte Folded Spill
	buffer_store_dword v117, off, s[0:3], s32 offset:668 ; 4-byte Folded Spill
	v_cmpx_ne_u32_e32 0x7f, v2
	s_cbranch_execz .LBB259_489
; %bb.486:                              ;   in Loop: Header=BB259_11 Depth=1
	v_mov_b32_e32 v1, 7
	s_mov_b32 s22, exec_lo
	v_and_b32_sdwa v27, v0, v1 dst_sel:DWORD dst_unused:UNUSED_PAD src0_sel:BYTE_3 src1_sel:DWORD
	v_lshrrev_b32_e32 v1, 3, v2
	v_cmpx_gt_u32_e32 8, v2
; %bb.487:                              ;   in Loop: Header=BB259_11 Depth=1
	v_ffbh_u32_e32 v1, v27
	v_min_u32_e32 v1, 32, v1
	v_subrev_nc_u32_e32 v2, 28, v1
	v_sub_nc_u32_e32 v1, 29, v1
	v_lshlrev_b64 v[2:3], v2, v[27:28]
	v_and_b32_e32 v27, 7, v2
; %bb.488:                              ;   in Loop: Header=BB259_11 Depth=1
	s_or_b32 exec_lo, exec_lo, s22
	v_mov_b32_e32 v2, 24
	v_lshl_add_u32 v1, v1, 23, 0x3c000000
	v_lshlrev_b32_sdwa v0, v2, v0 dst_sel:DWORD dst_unused:UNUSED_PAD src0_sel:DWORD src1_sel:BYTE_3
	v_lshlrev_b32_e32 v2, 20, v27
	v_and_b32_e32 v0, 0x80000000, v0
	v_or3_b32 v1, v2, v0, v1
	v_mov_b32_e32 v0, v28
	buffer_store_dword v0, off, s[0:3], s32 offset:664 ; 4-byte Folded Spill
	buffer_store_dword v1, off, s[0:3], s32 offset:668 ; 4-byte Folded Spill
.LBB259_489:                            ;   in Loop: Header=BB259_11 Depth=1
	s_or_b32 exec_lo, exec_lo, s19
.LBB259_490:                            ;   in Loop: Header=BB259_11 Depth=1
	s_or_b32 exec_lo, exec_lo, s7
.LBB259_491:                            ;   in Loop: Header=BB259_11 Depth=1
	s_or_b32 exec_lo, exec_lo, s6
	flat_load_dword v0, v[45:46] offset:1548
	v_mov_b32_e32 v1, 0
	v_mov_b32_e32 v2, 0
	buffer_store_dword v1, off, s[0:3], s32 offset:688 ; 4-byte Folded Spill
	buffer_store_dword v2, off, s[0:3], s32 offset:692 ; 4-byte Folded Spill
	v_mov_b32_e32 v1, 0
	v_mov_b32_e32 v2, 0
	buffer_store_dword v1, off, s[0:3], s32 offset:680 ; 4-byte Folded Spill
	buffer_store_dword v2, off, s[0:3], s32 offset:684 ; 4-byte Folded Spill
	s_waitcnt vmcnt(0) lgkmcnt(0)
	v_cmp_ne_u16_sdwa s5, v0, v28 src0_sel:BYTE_0 src1_sel:DWORD
	s_and_saveexec_b32 s6, s5
	s_cbranch_execz .LBB259_499
; %bb.492:                              ;   in Loop: Header=BB259_11 Depth=1
	v_bfrev_b32_e32 v1, 1
	v_mov_b32_e32 v2, 0
	buffer_store_dword v1, off, s[0:3], s32 offset:680 ; 4-byte Folded Spill
	buffer_store_dword v2, off, s[0:3], s32 offset:684 ; 4-byte Folded Spill
	v_mov_b32_e32 v1, 0x80
	v_cmp_ne_u16_sdwa s5, v0, v1 src0_sel:BYTE_0 src1_sel:DWORD
	s_and_saveexec_b32 s7, s5
	s_cbranch_execz .LBB259_498
; %bb.493:                              ;   in Loop: Header=BB259_11 Depth=1
	v_mov_b32_e32 v3, 0x7f800001
	v_and_b32_e32 v2, 0x7f, v0
	v_mov_b32_e32 v4, 0
	s_mov_b32 s19, exec_lo
	buffer_store_dword v3, off, s[0:3], s32 offset:680 ; 4-byte Folded Spill
	buffer_store_dword v4, off, s[0:3], s32 offset:684 ; 4-byte Folded Spill
	v_cmpx_ne_u32_e32 0x7f, v2
	s_cbranch_execz .LBB259_497
; %bb.494:                              ;   in Loop: Header=BB259_11 Depth=1
	v_and_b32_e32 v27, 7, v0
	v_lshrrev_b32_e32 v1, 3, v2
	s_mov_b32 s22, exec_lo
	v_cmpx_gt_u32_e32 8, v2
; %bb.495:                              ;   in Loop: Header=BB259_11 Depth=1
	v_ffbh_u32_e32 v1, v27
	v_min_u32_e32 v1, 32, v1
	v_subrev_nc_u32_e32 v2, 28, v1
	v_sub_nc_u32_e32 v1, 29, v1
	v_lshlrev_b64 v[2:3], v2, v[27:28]
	v_and_b32_e32 v27, 7, v2
; %bb.496:                              ;   in Loop: Header=BB259_11 Depth=1
	s_or_b32 exec_lo, exec_lo, s22
	v_lshlrev_b32_e32 v2, 24, v0
	v_lshlrev_b32_e32 v3, 20, v27
	v_lshl_add_u32 v1, v1, 23, 0x3c000000
	v_and_b32_e32 v2, 0x80000000, v2
	v_or3_b32 v27, v3, v2, v1
	buffer_store_dword v27, off, s[0:3], s32 offset:680 ; 4-byte Folded Spill
	buffer_store_dword v28, off, s[0:3], s32 offset:684 ; 4-byte Folded Spill
.LBB259_497:                            ;   in Loop: Header=BB259_11 Depth=1
	s_or_b32 exec_lo, exec_lo, s19
.LBB259_498:                            ;   in Loop: Header=BB259_11 Depth=1
	s_or_b32 exec_lo, exec_lo, s7
.LBB259_499:                            ;   in Loop: Header=BB259_11 Depth=1
	s_or_b32 exec_lo, exec_lo, s6
	v_cmp_ne_u16_sdwa s5, v0, v28 src0_sel:BYTE_1 src1_sel:DWORD
	s_and_saveexec_b32 s6, s5
	s_cbranch_execz .LBB259_507
; %bb.500:                              ;   in Loop: Header=BB259_11 Depth=1
	v_mov_b32_e32 v1, 0x80
	v_mov_b32_e32 v98, v28
	buffer_store_dword v98, off, s[0:3], s32 offset:688 ; 4-byte Folded Spill
	buffer_store_dword v99, off, s[0:3], s32 offset:692 ; 4-byte Folded Spill
	v_cmp_ne_u16_sdwa s5, v0, v1 src0_sel:BYTE_1 src1_sel:DWORD
	s_and_saveexec_b32 s7, s5
	s_cbranch_execz .LBB259_506
; %bb.501:                              ;   in Loop: Header=BB259_11 Depth=1
	v_mov_b32_e32 v1, 0xffff
	v_mov_b32_e32 v116, v28
	s_mov_b32 s19, exec_lo
	buffer_store_dword v116, off, s[0:3], s32 offset:688 ; 4-byte Folded Spill
	buffer_store_dword v117, off, s[0:3], s32 offset:692 ; 4-byte Folded Spill
	v_and_b32_sdwa v1, v1, v0 dst_sel:DWORD dst_unused:UNUSED_PAD src0_sel:DWORD src1_sel:BYTE_1
	v_and_b32_e32 v2, 0x7f, v1
	v_cmpx_ne_u32_e32 0x7f, v2
	s_cbranch_execz .LBB259_505
; %bb.502:                              ;   in Loop: Header=BB259_11 Depth=1
	v_and_b32_e32 v27, 7, v1
	v_lshrrev_b32_e32 v1, 3, v2
	s_mov_b32 s22, exec_lo
	v_cmpx_gt_u32_e32 8, v2
; %bb.503:                              ;   in Loop: Header=BB259_11 Depth=1
	v_ffbh_u32_e32 v1, v27
	v_min_u32_e32 v1, 32, v1
	v_subrev_nc_u32_e32 v2, 28, v1
	v_sub_nc_u32_e32 v1, 29, v1
	v_lshlrev_b64 v[2:3], v2, v[27:28]
	v_and_b32_e32 v27, 7, v2
; %bb.504:                              ;   in Loop: Header=BB259_11 Depth=1
	s_or_b32 exec_lo, exec_lo, s22
	v_lshlrev_b32_e32 v2, 16, v0
	v_lshlrev_b32_e32 v3, 20, v27
	v_lshl_add_u32 v1, v1, 23, 0x3c000000
	v_and_b32_e32 v2, 0x80000000, v2
	v_or3_b32 v2, v3, v2, v1
	v_mov_b32_e32 v1, v28
	buffer_store_dword v1, off, s[0:3], s32 offset:688 ; 4-byte Folded Spill
	buffer_store_dword v2, off, s[0:3], s32 offset:692 ; 4-byte Folded Spill
.LBB259_505:                            ;   in Loop: Header=BB259_11 Depth=1
	s_or_b32 exec_lo, exec_lo, s19
.LBB259_506:                            ;   in Loop: Header=BB259_11 Depth=1
	s_or_b32 exec_lo, exec_lo, s7
.LBB259_507:                            ;   in Loop: Header=BB259_11 Depth=1
	s_or_b32 exec_lo, exec_lo, s6
	v_mov_b32_e32 v2, 0
	v_mov_b32_e32 v3, 0
	v_and_b32_sdwa v1, v0, v6 dst_sel:DWORD dst_unused:UNUSED_PAD src0_sel:WORD_1 src1_sel:DWORD
	s_mov_b32 s6, exec_lo
	buffer_store_dword v2, off, s[0:3], s32 offset:696 ; 4-byte Folded Spill
	buffer_store_dword v3, off, s[0:3], s32 offset:700 ; 4-byte Folded Spill
	v_mov_b32_e32 v2, 0
	v_mov_b32_e32 v3, 0
	buffer_store_dword v2, off, s[0:3], s32 offset:704 ; 4-byte Folded Spill
	buffer_store_dword v3, off, s[0:3], s32 offset:708 ; 4-byte Folded Spill
	v_cmpx_ne_u16_e32 0, v1
	s_cbranch_execz .LBB259_515
; %bb.508:                              ;   in Loop: Header=BB259_11 Depth=1
	v_cmp_ne_u16_e64 s5, 0x80, v1
	v_bfrev_b32_e32 v1, 1
	v_mov_b32_e32 v2, 0
	buffer_store_dword v1, off, s[0:3], s32 offset:704 ; 4-byte Folded Spill
	buffer_store_dword v2, off, s[0:3], s32 offset:708 ; 4-byte Folded Spill
	s_and_saveexec_b32 s7, s5
	s_cbranch_execz .LBB259_514
; %bb.509:                              ;   in Loop: Header=BB259_11 Depth=1
	v_mov_b32_e32 v3, 0x7f800001
	v_bfe_u32 v2, v0, 16, 7
	v_mov_b32_e32 v4, 0
	s_mov_b32 s19, exec_lo
	buffer_store_dword v3, off, s[0:3], s32 offset:704 ; 4-byte Folded Spill
	buffer_store_dword v4, off, s[0:3], s32 offset:708 ; 4-byte Folded Spill
	v_cmpx_ne_u32_e32 0x7f, v2
	s_cbranch_execz .LBB259_513
; %bb.510:                              ;   in Loop: Header=BB259_11 Depth=1
	v_mov_b32_e32 v1, 7
	s_mov_b32 s22, exec_lo
	v_and_b32_sdwa v27, v0, v1 dst_sel:DWORD dst_unused:UNUSED_PAD src0_sel:WORD_1 src1_sel:DWORD
	v_lshrrev_b32_e32 v1, 3, v2
	v_cmpx_gt_u32_e32 8, v2
; %bb.511:                              ;   in Loop: Header=BB259_11 Depth=1
	v_ffbh_u32_e32 v1, v27
	v_min_u32_e32 v1, 32, v1
	v_subrev_nc_u32_e32 v2, 28, v1
	v_sub_nc_u32_e32 v1, 29, v1
	v_lshlrev_b64 v[2:3], v2, v[27:28]
	v_and_b32_e32 v27, 7, v2
; %bb.512:                              ;   in Loop: Header=BB259_11 Depth=1
	s_or_b32 exec_lo, exec_lo, s22
	v_mov_b32_e32 v2, 24
	v_lshlrev_b32_e32 v3, 20, v27
	v_lshl_add_u32 v1, v1, 23, 0x3c000000
	v_lshlrev_b32_sdwa v2, v2, v0 dst_sel:DWORD dst_unused:UNUSED_PAD src0_sel:DWORD src1_sel:WORD_1
	v_and_b32_e32 v2, 0x80000000, v2
	v_or3_b32 v27, v3, v2, v1
	buffer_store_dword v27, off, s[0:3], s32 offset:704 ; 4-byte Folded Spill
	buffer_store_dword v28, off, s[0:3], s32 offset:708 ; 4-byte Folded Spill
.LBB259_513:                            ;   in Loop: Header=BB259_11 Depth=1
	s_or_b32 exec_lo, exec_lo, s19
.LBB259_514:                            ;   in Loop: Header=BB259_11 Depth=1
	s_or_b32 exec_lo, exec_lo, s7
.LBB259_515:                            ;   in Loop: Header=BB259_11 Depth=1
	s_or_b32 exec_lo, exec_lo, s6
	s_mov_b32 s6, exec_lo
	v_cmpx_lt_u32_e32 0xffffff, v0
	s_cbranch_execz .LBB259_523
; %bb.516:                              ;   in Loop: Header=BB259_11 Depth=1
	v_mov_b32_e32 v1, 0x80
	v_mov_b32_e32 v98, v28
	buffer_store_dword v98, off, s[0:3], s32 offset:696 ; 4-byte Folded Spill
	buffer_store_dword v99, off, s[0:3], s32 offset:700 ; 4-byte Folded Spill
	v_cmp_ne_u32_sdwa s5, v0, v1 src0_sel:BYTE_3 src1_sel:DWORD
	s_and_saveexec_b32 s7, s5
	s_cbranch_execz .LBB259_522
; %bb.517:                              ;   in Loop: Header=BB259_11 Depth=1
	v_bfe_u32 v2, v0, 24, 7
	v_mov_b32_e32 v116, v28
	s_mov_b32 s19, exec_lo
	buffer_store_dword v116, off, s[0:3], s32 offset:696 ; 4-byte Folded Spill
	buffer_store_dword v117, off, s[0:3], s32 offset:700 ; 4-byte Folded Spill
	v_cmpx_ne_u32_e32 0x7f, v2
	s_cbranch_execz .LBB259_521
; %bb.518:                              ;   in Loop: Header=BB259_11 Depth=1
	v_mov_b32_e32 v1, 7
	s_mov_b32 s22, exec_lo
	v_and_b32_sdwa v27, v0, v1 dst_sel:DWORD dst_unused:UNUSED_PAD src0_sel:BYTE_3 src1_sel:DWORD
	v_lshrrev_b32_e32 v1, 3, v2
	v_cmpx_gt_u32_e32 8, v2
; %bb.519:                              ;   in Loop: Header=BB259_11 Depth=1
	v_ffbh_u32_e32 v1, v27
	v_min_u32_e32 v1, 32, v1
	v_subrev_nc_u32_e32 v2, 28, v1
	v_sub_nc_u32_e32 v1, 29, v1
	v_lshlrev_b64 v[2:3], v2, v[27:28]
	v_and_b32_e32 v27, 7, v2
; %bb.520:                              ;   in Loop: Header=BB259_11 Depth=1
	s_or_b32 exec_lo, exec_lo, s22
	v_mov_b32_e32 v2, 24
	v_lshl_add_u32 v1, v1, 23, 0x3c000000
	v_lshlrev_b32_sdwa v0, v2, v0 dst_sel:DWORD dst_unused:UNUSED_PAD src0_sel:DWORD src1_sel:BYTE_3
	v_lshlrev_b32_e32 v2, 20, v27
	v_and_b32_e32 v0, 0x80000000, v0
	v_or3_b32 v1, v2, v0, v1
	v_mov_b32_e32 v0, v28
	buffer_store_dword v0, off, s[0:3], s32 offset:696 ; 4-byte Folded Spill
	buffer_store_dword v1, off, s[0:3], s32 offset:700 ; 4-byte Folded Spill
.LBB259_521:                            ;   in Loop: Header=BB259_11 Depth=1
	s_or_b32 exec_lo, exec_lo, s19
.LBB259_522:                            ;   in Loop: Header=BB259_11 Depth=1
	s_or_b32 exec_lo, exec_lo, s7
.LBB259_523:                            ;   in Loop: Header=BB259_11 Depth=1
	s_or_b32 exec_lo, exec_lo, s6
	v_add_co_u32 v0, s5, 0x800, v45
	v_add_co_ci_u32_e64 v1, null, 0, v46, s5
	v_mov_b32_e32 v3, 0
	v_mov_b32_e32 v4, 0
	flat_load_dword v2, v[0:1]
	buffer_store_dword v3, off, s[0:3], s32 offset:720 ; 4-byte Folded Spill
	buffer_store_dword v4, off, s[0:3], s32 offset:724 ; 4-byte Folded Spill
	v_mov_b32_e32 v3, 0
	v_mov_b32_e32 v4, 0
	buffer_store_dword v3, off, s[0:3], s32 offset:712 ; 4-byte Folded Spill
	buffer_store_dword v4, off, s[0:3], s32 offset:716 ; 4-byte Folded Spill
	s_waitcnt vmcnt(0) lgkmcnt(0)
	v_cmp_ne_u16_sdwa s5, v2, v28 src0_sel:BYTE_0 src1_sel:DWORD
	s_and_saveexec_b32 s6, s5
	s_cbranch_execz .LBB259_531
; %bb.524:                              ;   in Loop: Header=BB259_11 Depth=1
	v_bfrev_b32_e32 v3, 1
	v_mov_b32_e32 v4, 0
	buffer_store_dword v3, off, s[0:3], s32 offset:712 ; 4-byte Folded Spill
	buffer_store_dword v4, off, s[0:3], s32 offset:716 ; 4-byte Folded Spill
	v_mov_b32_e32 v3, 0x80
	v_cmp_ne_u16_sdwa s5, v2, v3 src0_sel:BYTE_0 src1_sel:DWORD
	s_and_saveexec_b32 s7, s5
	s_cbranch_execz .LBB259_530
; %bb.525:                              ;   in Loop: Header=BB259_11 Depth=1
	v_mov_b32_e32 v8, 0x7f800001
	v_and_b32_e32 v4, 0x7f, v2
	v_mov_b32_e32 v9, 0
	s_mov_b32 s19, exec_lo
	buffer_store_dword v8, off, s[0:3], s32 offset:712 ; 4-byte Folded Spill
	buffer_store_dword v9, off, s[0:3], s32 offset:716 ; 4-byte Folded Spill
	v_cmpx_ne_u32_e32 0x7f, v4
	s_cbranch_execz .LBB259_529
; %bb.526:                              ;   in Loop: Header=BB259_11 Depth=1
	v_and_b32_e32 v27, 7, v2
	v_lshrrev_b32_e32 v3, 3, v4
	s_mov_b32 s22, exec_lo
	v_cmpx_gt_u32_e32 8, v4
; %bb.527:                              ;   in Loop: Header=BB259_11 Depth=1
	v_ffbh_u32_e32 v3, v27
	v_min_u32_e32 v3, 32, v3
	v_subrev_nc_u32_e32 v4, 28, v3
	v_sub_nc_u32_e32 v3, 29, v3
	v_lshlrev_b64 v[4:5], v4, v[27:28]
	v_and_b32_e32 v27, 7, v4
; %bb.528:                              ;   in Loop: Header=BB259_11 Depth=1
	s_or_b32 exec_lo, exec_lo, s22
	v_lshlrev_b32_e32 v4, 24, v2
	v_lshlrev_b32_e32 v5, 20, v27
	v_lshl_add_u32 v3, v3, 23, 0x3c000000
	v_and_b32_e32 v4, 0x80000000, v4
	v_or3_b32 v27, v5, v4, v3
	buffer_store_dword v27, off, s[0:3], s32 offset:712 ; 4-byte Folded Spill
	buffer_store_dword v28, off, s[0:3], s32 offset:716 ; 4-byte Folded Spill
.LBB259_529:                            ;   in Loop: Header=BB259_11 Depth=1
	s_or_b32 exec_lo, exec_lo, s19
.LBB259_530:                            ;   in Loop: Header=BB259_11 Depth=1
	s_or_b32 exec_lo, exec_lo, s7
.LBB259_531:                            ;   in Loop: Header=BB259_11 Depth=1
	s_or_b32 exec_lo, exec_lo, s6
	v_cmp_ne_u16_sdwa s5, v2, v28 src0_sel:BYTE_1 src1_sel:DWORD
	s_and_saveexec_b32 s6, s5
	s_cbranch_execz .LBB259_539
; %bb.532:                              ;   in Loop: Header=BB259_11 Depth=1
	v_mov_b32_e32 v3, 0x80
	v_mov_b32_e32 v98, v28
	buffer_store_dword v98, off, s[0:3], s32 offset:720 ; 4-byte Folded Spill
	buffer_store_dword v99, off, s[0:3], s32 offset:724 ; 4-byte Folded Spill
	v_cmp_ne_u16_sdwa s5, v2, v3 src0_sel:BYTE_1 src1_sel:DWORD
	s_and_saveexec_b32 s7, s5
	s_cbranch_execz .LBB259_538
; %bb.533:                              ;   in Loop: Header=BB259_11 Depth=1
	v_mov_b32_e32 v3, 0xffff
	v_mov_b32_e32 v116, v28
	s_mov_b32 s19, exec_lo
	buffer_store_dword v116, off, s[0:3], s32 offset:720 ; 4-byte Folded Spill
	buffer_store_dword v117, off, s[0:3], s32 offset:724 ; 4-byte Folded Spill
	v_and_b32_sdwa v3, v3, v2 dst_sel:DWORD dst_unused:UNUSED_PAD src0_sel:DWORD src1_sel:BYTE_1
	v_and_b32_e32 v4, 0x7f, v3
	v_cmpx_ne_u32_e32 0x7f, v4
	s_cbranch_execz .LBB259_537
; %bb.534:                              ;   in Loop: Header=BB259_11 Depth=1
	v_and_b32_e32 v27, 7, v3
	v_lshrrev_b32_e32 v3, 3, v4
	s_mov_b32 s22, exec_lo
	v_cmpx_gt_u32_e32 8, v4
; %bb.535:                              ;   in Loop: Header=BB259_11 Depth=1
	v_ffbh_u32_e32 v3, v27
	v_min_u32_e32 v3, 32, v3
	v_subrev_nc_u32_e32 v4, 28, v3
	v_sub_nc_u32_e32 v3, 29, v3
	v_lshlrev_b64 v[4:5], v4, v[27:28]
	v_and_b32_e32 v27, 7, v4
; %bb.536:                              ;   in Loop: Header=BB259_11 Depth=1
	s_or_b32 exec_lo, exec_lo, s22
	v_lshlrev_b32_e32 v4, 16, v2
	v_lshlrev_b32_e32 v5, 20, v27
	v_lshl_add_u32 v3, v3, 23, 0x3c000000
	v_and_b32_e32 v4, 0x80000000, v4
	v_or3_b32 v4, v5, v4, v3
	v_mov_b32_e32 v3, v28
	buffer_store_dword v3, off, s[0:3], s32 offset:720 ; 4-byte Folded Spill
	buffer_store_dword v4, off, s[0:3], s32 offset:724 ; 4-byte Folded Spill
.LBB259_537:                            ;   in Loop: Header=BB259_11 Depth=1
	s_or_b32 exec_lo, exec_lo, s19
.LBB259_538:                            ;   in Loop: Header=BB259_11 Depth=1
	s_or_b32 exec_lo, exec_lo, s7
.LBB259_539:                            ;   in Loop: Header=BB259_11 Depth=1
	s_or_b32 exec_lo, exec_lo, s6
	v_mov_b32_e32 v4, 0
	v_mov_b32_e32 v5, 0
	v_and_b32_sdwa v3, v2, v6 dst_sel:DWORD dst_unused:UNUSED_PAD src0_sel:WORD_1 src1_sel:DWORD
	s_mov_b32 s6, exec_lo
	buffer_store_dword v4, off, s[0:3], s32 offset:728 ; 4-byte Folded Spill
	buffer_store_dword v5, off, s[0:3], s32 offset:732 ; 4-byte Folded Spill
	v_mov_b32_e32 v4, 0
	v_mov_b32_e32 v5, 0
	buffer_store_dword v4, off, s[0:3], s32 offset:736 ; 4-byte Folded Spill
	buffer_store_dword v5, off, s[0:3], s32 offset:740 ; 4-byte Folded Spill
	v_cmpx_ne_u16_e32 0, v3
	s_cbranch_execz .LBB259_547
; %bb.540:                              ;   in Loop: Header=BB259_11 Depth=1
	v_cmp_ne_u16_e64 s5, 0x80, v3
	v_bfrev_b32_e32 v3, 1
	v_mov_b32_e32 v4, 0
	buffer_store_dword v3, off, s[0:3], s32 offset:736 ; 4-byte Folded Spill
	buffer_store_dword v4, off, s[0:3], s32 offset:740 ; 4-byte Folded Spill
	s_and_saveexec_b32 s7, s5
	s_cbranch_execz .LBB259_546
; %bb.541:                              ;   in Loop: Header=BB259_11 Depth=1
	v_mov_b32_e32 v8, 0x7f800001
	v_bfe_u32 v4, v2, 16, 7
	v_mov_b32_e32 v9, 0
	s_mov_b32 s19, exec_lo
	buffer_store_dword v8, off, s[0:3], s32 offset:736 ; 4-byte Folded Spill
	buffer_store_dword v9, off, s[0:3], s32 offset:740 ; 4-byte Folded Spill
	v_cmpx_ne_u32_e32 0x7f, v4
	s_cbranch_execz .LBB259_545
; %bb.542:                              ;   in Loop: Header=BB259_11 Depth=1
	v_mov_b32_e32 v3, 7
	s_mov_b32 s22, exec_lo
	v_and_b32_sdwa v27, v2, v3 dst_sel:DWORD dst_unused:UNUSED_PAD src0_sel:WORD_1 src1_sel:DWORD
	v_lshrrev_b32_e32 v3, 3, v4
	v_cmpx_gt_u32_e32 8, v4
; %bb.543:                              ;   in Loop: Header=BB259_11 Depth=1
	v_ffbh_u32_e32 v3, v27
	v_min_u32_e32 v3, 32, v3
	v_subrev_nc_u32_e32 v4, 28, v3
	v_sub_nc_u32_e32 v3, 29, v3
	v_lshlrev_b64 v[4:5], v4, v[27:28]
	v_and_b32_e32 v27, 7, v4
; %bb.544:                              ;   in Loop: Header=BB259_11 Depth=1
	s_or_b32 exec_lo, exec_lo, s22
	v_mov_b32_e32 v4, 24
	v_lshlrev_b32_e32 v5, 20, v27
	v_lshl_add_u32 v3, v3, 23, 0x3c000000
	v_lshlrev_b32_sdwa v4, v4, v2 dst_sel:DWORD dst_unused:UNUSED_PAD src0_sel:DWORD src1_sel:WORD_1
	v_and_b32_e32 v4, 0x80000000, v4
	v_or3_b32 v27, v5, v4, v3
	buffer_store_dword v27, off, s[0:3], s32 offset:736 ; 4-byte Folded Spill
	buffer_store_dword v28, off, s[0:3], s32 offset:740 ; 4-byte Folded Spill
.LBB259_545:                            ;   in Loop: Header=BB259_11 Depth=1
	s_or_b32 exec_lo, exec_lo, s19
.LBB259_546:                            ;   in Loop: Header=BB259_11 Depth=1
	s_or_b32 exec_lo, exec_lo, s7
.LBB259_547:                            ;   in Loop: Header=BB259_11 Depth=1
	s_or_b32 exec_lo, exec_lo, s6
	s_mov_b32 s6, exec_lo
	v_cmpx_lt_u32_e32 0xffffff, v2
	s_cbranch_execz .LBB259_555
; %bb.548:                              ;   in Loop: Header=BB259_11 Depth=1
	v_mov_b32_e32 v3, 0x80
	v_mov_b32_e32 v98, v28
	buffer_store_dword v98, off, s[0:3], s32 offset:728 ; 4-byte Folded Spill
	buffer_store_dword v99, off, s[0:3], s32 offset:732 ; 4-byte Folded Spill
	v_cmp_ne_u32_sdwa s5, v2, v3 src0_sel:BYTE_3 src1_sel:DWORD
	s_and_saveexec_b32 s7, s5
	s_cbranch_execz .LBB259_554
; %bb.549:                              ;   in Loop: Header=BB259_11 Depth=1
	v_bfe_u32 v4, v2, 24, 7
	v_mov_b32_e32 v116, v28
	s_mov_b32 s19, exec_lo
	buffer_store_dword v116, off, s[0:3], s32 offset:728 ; 4-byte Folded Spill
	buffer_store_dword v117, off, s[0:3], s32 offset:732 ; 4-byte Folded Spill
	v_cmpx_ne_u32_e32 0x7f, v4
	s_cbranch_execz .LBB259_553
; %bb.550:                              ;   in Loop: Header=BB259_11 Depth=1
	v_mov_b32_e32 v3, 7
	s_mov_b32 s22, exec_lo
	v_and_b32_sdwa v27, v2, v3 dst_sel:DWORD dst_unused:UNUSED_PAD src0_sel:BYTE_3 src1_sel:DWORD
	v_lshrrev_b32_e32 v3, 3, v4
	v_cmpx_gt_u32_e32 8, v4
; %bb.551:                              ;   in Loop: Header=BB259_11 Depth=1
	v_ffbh_u32_e32 v3, v27
	v_min_u32_e32 v3, 32, v3
	v_subrev_nc_u32_e32 v4, 28, v3
	v_sub_nc_u32_e32 v3, 29, v3
	v_lshlrev_b64 v[4:5], v4, v[27:28]
	v_and_b32_e32 v27, 7, v4
; %bb.552:                              ;   in Loop: Header=BB259_11 Depth=1
	s_or_b32 exec_lo, exec_lo, s22
	v_mov_b32_e32 v4, 24
	v_lshl_add_u32 v3, v3, 23, 0x3c000000
	v_lshlrev_b32_sdwa v2, v4, v2 dst_sel:DWORD dst_unused:UNUSED_PAD src0_sel:DWORD src1_sel:BYTE_3
	v_lshlrev_b32_e32 v4, 20, v27
	v_and_b32_e32 v2, 0x80000000, v2
	v_or3_b32 v3, v4, v2, v3
	v_mov_b32_e32 v2, v28
	buffer_store_dword v2, off, s[0:3], s32 offset:728 ; 4-byte Folded Spill
	buffer_store_dword v3, off, s[0:3], s32 offset:732 ; 4-byte Folded Spill
.LBB259_553:                            ;   in Loop: Header=BB259_11 Depth=1
	s_or_b32 exec_lo, exec_lo, s19
.LBB259_554:                            ;   in Loop: Header=BB259_11 Depth=1
	s_or_b32 exec_lo, exec_lo, s7
.LBB259_555:                            ;   in Loop: Header=BB259_11 Depth=1
	s_or_b32 exec_lo, exec_lo, s6
	flat_load_dword v2, v[0:1] offset:4
	v_mov_b32_e32 v3, 0
	v_mov_b32_e32 v4, 0
	buffer_store_dword v3, off, s[0:3], s32 offset:752 ; 4-byte Folded Spill
	buffer_store_dword v4, off, s[0:3], s32 offset:756 ; 4-byte Folded Spill
	v_mov_b32_e32 v3, 0
	v_mov_b32_e32 v4, 0
	buffer_store_dword v3, off, s[0:3], s32 offset:744 ; 4-byte Folded Spill
	buffer_store_dword v4, off, s[0:3], s32 offset:748 ; 4-byte Folded Spill
	s_waitcnt vmcnt(0) lgkmcnt(0)
	v_cmp_ne_u16_sdwa s5, v2, v28 src0_sel:BYTE_0 src1_sel:DWORD
	s_and_saveexec_b32 s6, s5
	s_cbranch_execz .LBB259_563
; %bb.556:                              ;   in Loop: Header=BB259_11 Depth=1
	v_bfrev_b32_e32 v3, 1
	v_mov_b32_e32 v4, 0
	buffer_store_dword v3, off, s[0:3], s32 offset:744 ; 4-byte Folded Spill
	buffer_store_dword v4, off, s[0:3], s32 offset:748 ; 4-byte Folded Spill
	v_mov_b32_e32 v3, 0x80
	v_cmp_ne_u16_sdwa s5, v2, v3 src0_sel:BYTE_0 src1_sel:DWORD
	s_and_saveexec_b32 s7, s5
	s_cbranch_execz .LBB259_562
; %bb.557:                              ;   in Loop: Header=BB259_11 Depth=1
	v_mov_b32_e32 v8, 0x7f800001
	v_and_b32_e32 v4, 0x7f, v2
	v_mov_b32_e32 v9, 0
	s_mov_b32 s19, exec_lo
	buffer_store_dword v8, off, s[0:3], s32 offset:744 ; 4-byte Folded Spill
	buffer_store_dword v9, off, s[0:3], s32 offset:748 ; 4-byte Folded Spill
	v_cmpx_ne_u32_e32 0x7f, v4
	s_cbranch_execz .LBB259_561
; %bb.558:                              ;   in Loop: Header=BB259_11 Depth=1
	v_and_b32_e32 v27, 7, v2
	v_lshrrev_b32_e32 v3, 3, v4
	s_mov_b32 s22, exec_lo
	v_cmpx_gt_u32_e32 8, v4
; %bb.559:                              ;   in Loop: Header=BB259_11 Depth=1
	v_ffbh_u32_e32 v3, v27
	v_min_u32_e32 v3, 32, v3
	v_subrev_nc_u32_e32 v4, 28, v3
	v_sub_nc_u32_e32 v3, 29, v3
	v_lshlrev_b64 v[4:5], v4, v[27:28]
	v_and_b32_e32 v27, 7, v4
; %bb.560:                              ;   in Loop: Header=BB259_11 Depth=1
	s_or_b32 exec_lo, exec_lo, s22
	v_lshlrev_b32_e32 v4, 24, v2
	v_lshlrev_b32_e32 v5, 20, v27
	v_lshl_add_u32 v3, v3, 23, 0x3c000000
	v_and_b32_e32 v4, 0x80000000, v4
	v_or3_b32 v27, v5, v4, v3
	buffer_store_dword v27, off, s[0:3], s32 offset:744 ; 4-byte Folded Spill
	buffer_store_dword v28, off, s[0:3], s32 offset:748 ; 4-byte Folded Spill
.LBB259_561:                            ;   in Loop: Header=BB259_11 Depth=1
	s_or_b32 exec_lo, exec_lo, s19
.LBB259_562:                            ;   in Loop: Header=BB259_11 Depth=1
	s_or_b32 exec_lo, exec_lo, s7
.LBB259_563:                            ;   in Loop: Header=BB259_11 Depth=1
	s_or_b32 exec_lo, exec_lo, s6
	v_cmp_ne_u16_sdwa s5, v2, v28 src0_sel:BYTE_1 src1_sel:DWORD
	s_and_saveexec_b32 s6, s5
	s_cbranch_execz .LBB259_571
; %bb.564:                              ;   in Loop: Header=BB259_11 Depth=1
	v_mov_b32_e32 v3, 0x80
	v_mov_b32_e32 v98, v28
	buffer_store_dword v98, off, s[0:3], s32 offset:752 ; 4-byte Folded Spill
	buffer_store_dword v99, off, s[0:3], s32 offset:756 ; 4-byte Folded Spill
	v_cmp_ne_u16_sdwa s5, v2, v3 src0_sel:BYTE_1 src1_sel:DWORD
	s_and_saveexec_b32 s7, s5
	s_cbranch_execz .LBB259_570
; %bb.565:                              ;   in Loop: Header=BB259_11 Depth=1
	v_mov_b32_e32 v3, 0xffff
	v_mov_b32_e32 v116, v28
	s_mov_b32 s19, exec_lo
	buffer_store_dword v116, off, s[0:3], s32 offset:752 ; 4-byte Folded Spill
	buffer_store_dword v117, off, s[0:3], s32 offset:756 ; 4-byte Folded Spill
	v_and_b32_sdwa v3, v3, v2 dst_sel:DWORD dst_unused:UNUSED_PAD src0_sel:DWORD src1_sel:BYTE_1
	v_and_b32_e32 v4, 0x7f, v3
	v_cmpx_ne_u32_e32 0x7f, v4
	s_cbranch_execz .LBB259_569
; %bb.566:                              ;   in Loop: Header=BB259_11 Depth=1
	v_and_b32_e32 v27, 7, v3
	v_lshrrev_b32_e32 v3, 3, v4
	s_mov_b32 s22, exec_lo
	v_cmpx_gt_u32_e32 8, v4
; %bb.567:                              ;   in Loop: Header=BB259_11 Depth=1
	v_ffbh_u32_e32 v3, v27
	v_min_u32_e32 v3, 32, v3
	v_subrev_nc_u32_e32 v4, 28, v3
	v_sub_nc_u32_e32 v3, 29, v3
	v_lshlrev_b64 v[4:5], v4, v[27:28]
	v_and_b32_e32 v27, 7, v4
; %bb.568:                              ;   in Loop: Header=BB259_11 Depth=1
	s_or_b32 exec_lo, exec_lo, s22
	v_lshlrev_b32_e32 v4, 16, v2
	v_lshlrev_b32_e32 v5, 20, v27
	v_lshl_add_u32 v3, v3, 23, 0x3c000000
	v_and_b32_e32 v4, 0x80000000, v4
	v_or3_b32 v4, v5, v4, v3
	v_mov_b32_e32 v3, v28
	buffer_store_dword v3, off, s[0:3], s32 offset:752 ; 4-byte Folded Spill
	buffer_store_dword v4, off, s[0:3], s32 offset:756 ; 4-byte Folded Spill
.LBB259_569:                            ;   in Loop: Header=BB259_11 Depth=1
	s_or_b32 exec_lo, exec_lo, s19
.LBB259_570:                            ;   in Loop: Header=BB259_11 Depth=1
	s_or_b32 exec_lo, exec_lo, s7
.LBB259_571:                            ;   in Loop: Header=BB259_11 Depth=1
	s_or_b32 exec_lo, exec_lo, s6
	v_mov_b32_e32 v4, 0
	v_mov_b32_e32 v5, 0
	v_and_b32_sdwa v3, v2, v6 dst_sel:DWORD dst_unused:UNUSED_PAD src0_sel:WORD_1 src1_sel:DWORD
	s_mov_b32 s6, exec_lo
	buffer_store_dword v4, off, s[0:3], s32 offset:760 ; 4-byte Folded Spill
	buffer_store_dword v5, off, s[0:3], s32 offset:764 ; 4-byte Folded Spill
	v_mov_b32_e32 v4, 0
	v_mov_b32_e32 v5, 0
	buffer_store_dword v4, off, s[0:3], s32 offset:768 ; 4-byte Folded Spill
	buffer_store_dword v5, off, s[0:3], s32 offset:772 ; 4-byte Folded Spill
	v_cmpx_ne_u16_e32 0, v3
	s_cbranch_execz .LBB259_579
; %bb.572:                              ;   in Loop: Header=BB259_11 Depth=1
	v_cmp_ne_u16_e64 s5, 0x80, v3
	v_bfrev_b32_e32 v3, 1
	v_mov_b32_e32 v4, 0
	buffer_store_dword v3, off, s[0:3], s32 offset:768 ; 4-byte Folded Spill
	buffer_store_dword v4, off, s[0:3], s32 offset:772 ; 4-byte Folded Spill
	s_and_saveexec_b32 s7, s5
	s_cbranch_execz .LBB259_578
; %bb.573:                              ;   in Loop: Header=BB259_11 Depth=1
	v_mov_b32_e32 v8, 0x7f800001
	v_bfe_u32 v4, v2, 16, 7
	v_mov_b32_e32 v9, 0
	s_mov_b32 s19, exec_lo
	buffer_store_dword v8, off, s[0:3], s32 offset:768 ; 4-byte Folded Spill
	buffer_store_dword v9, off, s[0:3], s32 offset:772 ; 4-byte Folded Spill
	v_cmpx_ne_u32_e32 0x7f, v4
	s_cbranch_execz .LBB259_577
; %bb.574:                              ;   in Loop: Header=BB259_11 Depth=1
	v_mov_b32_e32 v3, 7
	s_mov_b32 s22, exec_lo
	v_and_b32_sdwa v27, v2, v3 dst_sel:DWORD dst_unused:UNUSED_PAD src0_sel:WORD_1 src1_sel:DWORD
	v_lshrrev_b32_e32 v3, 3, v4
	v_cmpx_gt_u32_e32 8, v4
; %bb.575:                              ;   in Loop: Header=BB259_11 Depth=1
	v_ffbh_u32_e32 v3, v27
	v_min_u32_e32 v3, 32, v3
	v_subrev_nc_u32_e32 v4, 28, v3
	v_sub_nc_u32_e32 v3, 29, v3
	v_lshlrev_b64 v[4:5], v4, v[27:28]
	v_and_b32_e32 v27, 7, v4
; %bb.576:                              ;   in Loop: Header=BB259_11 Depth=1
	s_or_b32 exec_lo, exec_lo, s22
	v_mov_b32_e32 v4, 24
	v_lshlrev_b32_e32 v5, 20, v27
	v_lshl_add_u32 v3, v3, 23, 0x3c000000
	v_lshlrev_b32_sdwa v4, v4, v2 dst_sel:DWORD dst_unused:UNUSED_PAD src0_sel:DWORD src1_sel:WORD_1
	v_and_b32_e32 v4, 0x80000000, v4
	v_or3_b32 v27, v5, v4, v3
	buffer_store_dword v27, off, s[0:3], s32 offset:768 ; 4-byte Folded Spill
	buffer_store_dword v28, off, s[0:3], s32 offset:772 ; 4-byte Folded Spill
.LBB259_577:                            ;   in Loop: Header=BB259_11 Depth=1
	s_or_b32 exec_lo, exec_lo, s19
.LBB259_578:                            ;   in Loop: Header=BB259_11 Depth=1
	s_or_b32 exec_lo, exec_lo, s7
.LBB259_579:                            ;   in Loop: Header=BB259_11 Depth=1
	s_or_b32 exec_lo, exec_lo, s6
	s_mov_b32 s6, exec_lo
	v_cmpx_lt_u32_e32 0xffffff, v2
	s_cbranch_execz .LBB259_587
; %bb.580:                              ;   in Loop: Header=BB259_11 Depth=1
	v_mov_b32_e32 v3, 0x80
	v_mov_b32_e32 v98, v28
	buffer_store_dword v98, off, s[0:3], s32 offset:760 ; 4-byte Folded Spill
	buffer_store_dword v99, off, s[0:3], s32 offset:764 ; 4-byte Folded Spill
	v_cmp_ne_u32_sdwa s5, v2, v3 src0_sel:BYTE_3 src1_sel:DWORD
	s_and_saveexec_b32 s7, s5
	s_cbranch_execz .LBB259_586
; %bb.581:                              ;   in Loop: Header=BB259_11 Depth=1
	v_bfe_u32 v4, v2, 24, 7
	v_mov_b32_e32 v116, v28
	s_mov_b32 s19, exec_lo
	buffer_store_dword v116, off, s[0:3], s32 offset:760 ; 4-byte Folded Spill
	buffer_store_dword v117, off, s[0:3], s32 offset:764 ; 4-byte Folded Spill
	v_cmpx_ne_u32_e32 0x7f, v4
	s_cbranch_execz .LBB259_585
; %bb.582:                              ;   in Loop: Header=BB259_11 Depth=1
	v_mov_b32_e32 v3, 7
	s_mov_b32 s22, exec_lo
	v_and_b32_sdwa v27, v2, v3 dst_sel:DWORD dst_unused:UNUSED_PAD src0_sel:BYTE_3 src1_sel:DWORD
	v_lshrrev_b32_e32 v3, 3, v4
	v_cmpx_gt_u32_e32 8, v4
; %bb.583:                              ;   in Loop: Header=BB259_11 Depth=1
	v_ffbh_u32_e32 v3, v27
	v_min_u32_e32 v3, 32, v3
	v_subrev_nc_u32_e32 v4, 28, v3
	v_sub_nc_u32_e32 v3, 29, v3
	v_lshlrev_b64 v[4:5], v4, v[27:28]
	v_and_b32_e32 v27, 7, v4
; %bb.584:                              ;   in Loop: Header=BB259_11 Depth=1
	s_or_b32 exec_lo, exec_lo, s22
	v_mov_b32_e32 v4, 24
	v_lshl_add_u32 v3, v3, 23, 0x3c000000
	v_lshlrev_b32_sdwa v2, v4, v2 dst_sel:DWORD dst_unused:UNUSED_PAD src0_sel:DWORD src1_sel:BYTE_3
	v_lshlrev_b32_e32 v4, 20, v27
	v_and_b32_e32 v2, 0x80000000, v2
	v_or3_b32 v3, v4, v2, v3
	v_mov_b32_e32 v2, v28
	buffer_store_dword v2, off, s[0:3], s32 offset:760 ; 4-byte Folded Spill
	buffer_store_dword v3, off, s[0:3], s32 offset:764 ; 4-byte Folded Spill
.LBB259_585:                            ;   in Loop: Header=BB259_11 Depth=1
	s_or_b32 exec_lo, exec_lo, s19
.LBB259_586:                            ;   in Loop: Header=BB259_11 Depth=1
	s_or_b32 exec_lo, exec_lo, s7
.LBB259_587:                            ;   in Loop: Header=BB259_11 Depth=1
	s_or_b32 exec_lo, exec_lo, s6
	flat_load_dword v2, v[0:1] offset:8
	v_mov_b32_e32 v3, 0
	v_mov_b32_e32 v4, 0
	buffer_store_dword v3, off, s[0:3], s32 offset:784 ; 4-byte Folded Spill
	buffer_store_dword v4, off, s[0:3], s32 offset:788 ; 4-byte Folded Spill
	v_mov_b32_e32 v3, 0
	v_mov_b32_e32 v4, 0
	buffer_store_dword v3, off, s[0:3], s32 offset:776 ; 4-byte Folded Spill
	buffer_store_dword v4, off, s[0:3], s32 offset:780 ; 4-byte Folded Spill
	s_waitcnt vmcnt(0) lgkmcnt(0)
	v_cmp_ne_u16_sdwa s5, v2, v28 src0_sel:BYTE_0 src1_sel:DWORD
	s_and_saveexec_b32 s6, s5
	s_cbranch_execz .LBB259_595
; %bb.588:                              ;   in Loop: Header=BB259_11 Depth=1
	v_bfrev_b32_e32 v3, 1
	v_mov_b32_e32 v4, 0
	buffer_store_dword v3, off, s[0:3], s32 offset:776 ; 4-byte Folded Spill
	buffer_store_dword v4, off, s[0:3], s32 offset:780 ; 4-byte Folded Spill
	v_mov_b32_e32 v3, 0x80
	v_cmp_ne_u16_sdwa s5, v2, v3 src0_sel:BYTE_0 src1_sel:DWORD
	s_and_saveexec_b32 s7, s5
	s_cbranch_execz .LBB259_594
; %bb.589:                              ;   in Loop: Header=BB259_11 Depth=1
	v_mov_b32_e32 v8, 0x7f800001
	v_and_b32_e32 v4, 0x7f, v2
	v_mov_b32_e32 v9, 0
	s_mov_b32 s19, exec_lo
	buffer_store_dword v8, off, s[0:3], s32 offset:776 ; 4-byte Folded Spill
	buffer_store_dword v9, off, s[0:3], s32 offset:780 ; 4-byte Folded Spill
	v_cmpx_ne_u32_e32 0x7f, v4
	s_cbranch_execz .LBB259_593
; %bb.590:                              ;   in Loop: Header=BB259_11 Depth=1
	v_and_b32_e32 v27, 7, v2
	v_lshrrev_b32_e32 v3, 3, v4
	s_mov_b32 s22, exec_lo
	v_cmpx_gt_u32_e32 8, v4
; %bb.591:                              ;   in Loop: Header=BB259_11 Depth=1
	v_ffbh_u32_e32 v3, v27
	v_min_u32_e32 v3, 32, v3
	v_subrev_nc_u32_e32 v4, 28, v3
	v_sub_nc_u32_e32 v3, 29, v3
	v_lshlrev_b64 v[4:5], v4, v[27:28]
	v_and_b32_e32 v27, 7, v4
; %bb.592:                              ;   in Loop: Header=BB259_11 Depth=1
	s_or_b32 exec_lo, exec_lo, s22
	v_lshlrev_b32_e32 v4, 24, v2
	v_lshlrev_b32_e32 v5, 20, v27
	v_lshl_add_u32 v3, v3, 23, 0x3c000000
	v_and_b32_e32 v4, 0x80000000, v4
	v_or3_b32 v27, v5, v4, v3
	buffer_store_dword v27, off, s[0:3], s32 offset:776 ; 4-byte Folded Spill
	buffer_store_dword v28, off, s[0:3], s32 offset:780 ; 4-byte Folded Spill
.LBB259_593:                            ;   in Loop: Header=BB259_11 Depth=1
	s_or_b32 exec_lo, exec_lo, s19
.LBB259_594:                            ;   in Loop: Header=BB259_11 Depth=1
	s_or_b32 exec_lo, exec_lo, s7
.LBB259_595:                            ;   in Loop: Header=BB259_11 Depth=1
	s_or_b32 exec_lo, exec_lo, s6
	v_cmp_ne_u16_sdwa s5, v2, v28 src0_sel:BYTE_1 src1_sel:DWORD
	s_and_saveexec_b32 s6, s5
	s_cbranch_execz .LBB259_603
; %bb.596:                              ;   in Loop: Header=BB259_11 Depth=1
	v_mov_b32_e32 v3, 0x80
	v_mov_b32_e32 v98, v28
	buffer_store_dword v98, off, s[0:3], s32 offset:784 ; 4-byte Folded Spill
	buffer_store_dword v99, off, s[0:3], s32 offset:788 ; 4-byte Folded Spill
	v_cmp_ne_u16_sdwa s5, v2, v3 src0_sel:BYTE_1 src1_sel:DWORD
	s_and_saveexec_b32 s7, s5
	s_cbranch_execz .LBB259_602
; %bb.597:                              ;   in Loop: Header=BB259_11 Depth=1
	v_mov_b32_e32 v3, 0xffff
	v_mov_b32_e32 v116, v28
	s_mov_b32 s19, exec_lo
	buffer_store_dword v116, off, s[0:3], s32 offset:784 ; 4-byte Folded Spill
	buffer_store_dword v117, off, s[0:3], s32 offset:788 ; 4-byte Folded Spill
	v_and_b32_sdwa v3, v3, v2 dst_sel:DWORD dst_unused:UNUSED_PAD src0_sel:DWORD src1_sel:BYTE_1
	v_and_b32_e32 v4, 0x7f, v3
	v_cmpx_ne_u32_e32 0x7f, v4
	s_cbranch_execz .LBB259_601
; %bb.598:                              ;   in Loop: Header=BB259_11 Depth=1
	v_and_b32_e32 v27, 7, v3
	v_lshrrev_b32_e32 v3, 3, v4
	s_mov_b32 s22, exec_lo
	v_cmpx_gt_u32_e32 8, v4
; %bb.599:                              ;   in Loop: Header=BB259_11 Depth=1
	v_ffbh_u32_e32 v3, v27
	v_min_u32_e32 v3, 32, v3
	v_subrev_nc_u32_e32 v4, 28, v3
	v_sub_nc_u32_e32 v3, 29, v3
	v_lshlrev_b64 v[4:5], v4, v[27:28]
	v_and_b32_e32 v27, 7, v4
; %bb.600:                              ;   in Loop: Header=BB259_11 Depth=1
	s_or_b32 exec_lo, exec_lo, s22
	v_lshlrev_b32_e32 v4, 16, v2
	v_lshlrev_b32_e32 v5, 20, v27
	v_lshl_add_u32 v3, v3, 23, 0x3c000000
	v_and_b32_e32 v4, 0x80000000, v4
	v_or3_b32 v4, v5, v4, v3
	v_mov_b32_e32 v3, v28
	buffer_store_dword v3, off, s[0:3], s32 offset:784 ; 4-byte Folded Spill
	buffer_store_dword v4, off, s[0:3], s32 offset:788 ; 4-byte Folded Spill
.LBB259_601:                            ;   in Loop: Header=BB259_11 Depth=1
	s_or_b32 exec_lo, exec_lo, s19
.LBB259_602:                            ;   in Loop: Header=BB259_11 Depth=1
	s_or_b32 exec_lo, exec_lo, s7
.LBB259_603:                            ;   in Loop: Header=BB259_11 Depth=1
	s_or_b32 exec_lo, exec_lo, s6
	v_mov_b32_e32 v4, 0
	v_mov_b32_e32 v5, 0
	v_and_b32_sdwa v3, v2, v6 dst_sel:DWORD dst_unused:UNUSED_PAD src0_sel:WORD_1 src1_sel:DWORD
	s_mov_b32 s6, exec_lo
	buffer_store_dword v4, off, s[0:3], s32 offset:792 ; 4-byte Folded Spill
	buffer_store_dword v5, off, s[0:3], s32 offset:796 ; 4-byte Folded Spill
	v_mov_b32_e32 v4, 0
	v_mov_b32_e32 v5, 0
	buffer_store_dword v4, off, s[0:3], s32 offset:800 ; 4-byte Folded Spill
	buffer_store_dword v5, off, s[0:3], s32 offset:804 ; 4-byte Folded Spill
	v_cmpx_ne_u16_e32 0, v3
	s_cbranch_execz .LBB259_611
; %bb.604:                              ;   in Loop: Header=BB259_11 Depth=1
	v_cmp_ne_u16_e64 s5, 0x80, v3
	v_bfrev_b32_e32 v3, 1
	v_mov_b32_e32 v4, 0
	buffer_store_dword v3, off, s[0:3], s32 offset:800 ; 4-byte Folded Spill
	buffer_store_dword v4, off, s[0:3], s32 offset:804 ; 4-byte Folded Spill
	s_and_saveexec_b32 s7, s5
	s_cbranch_execz .LBB259_610
; %bb.605:                              ;   in Loop: Header=BB259_11 Depth=1
	v_mov_b32_e32 v8, 0x7f800001
	v_bfe_u32 v4, v2, 16, 7
	v_mov_b32_e32 v9, 0
	s_mov_b32 s19, exec_lo
	buffer_store_dword v8, off, s[0:3], s32 offset:800 ; 4-byte Folded Spill
	buffer_store_dword v9, off, s[0:3], s32 offset:804 ; 4-byte Folded Spill
	v_cmpx_ne_u32_e32 0x7f, v4
	s_cbranch_execz .LBB259_609
; %bb.606:                              ;   in Loop: Header=BB259_11 Depth=1
	v_mov_b32_e32 v3, 7
	s_mov_b32 s22, exec_lo
	v_and_b32_sdwa v27, v2, v3 dst_sel:DWORD dst_unused:UNUSED_PAD src0_sel:WORD_1 src1_sel:DWORD
	v_lshrrev_b32_e32 v3, 3, v4
	v_cmpx_gt_u32_e32 8, v4
; %bb.607:                              ;   in Loop: Header=BB259_11 Depth=1
	v_ffbh_u32_e32 v3, v27
	v_min_u32_e32 v3, 32, v3
	v_subrev_nc_u32_e32 v4, 28, v3
	v_sub_nc_u32_e32 v3, 29, v3
	v_lshlrev_b64 v[4:5], v4, v[27:28]
	v_and_b32_e32 v27, 7, v4
; %bb.608:                              ;   in Loop: Header=BB259_11 Depth=1
	s_or_b32 exec_lo, exec_lo, s22
	v_mov_b32_e32 v4, 24
	v_lshlrev_b32_e32 v5, 20, v27
	v_lshl_add_u32 v3, v3, 23, 0x3c000000
	v_lshlrev_b32_sdwa v4, v4, v2 dst_sel:DWORD dst_unused:UNUSED_PAD src0_sel:DWORD src1_sel:WORD_1
	v_and_b32_e32 v4, 0x80000000, v4
	v_or3_b32 v27, v5, v4, v3
	buffer_store_dword v27, off, s[0:3], s32 offset:800 ; 4-byte Folded Spill
	buffer_store_dword v28, off, s[0:3], s32 offset:804 ; 4-byte Folded Spill
.LBB259_609:                            ;   in Loop: Header=BB259_11 Depth=1
	s_or_b32 exec_lo, exec_lo, s19
.LBB259_610:                            ;   in Loop: Header=BB259_11 Depth=1
	s_or_b32 exec_lo, exec_lo, s7
.LBB259_611:                            ;   in Loop: Header=BB259_11 Depth=1
	s_or_b32 exec_lo, exec_lo, s6
	s_mov_b32 s6, exec_lo
	v_cmpx_lt_u32_e32 0xffffff, v2
	s_cbranch_execz .LBB259_619
; %bb.612:                              ;   in Loop: Header=BB259_11 Depth=1
	v_mov_b32_e32 v3, 0x80
	v_mov_b32_e32 v98, v28
	buffer_store_dword v98, off, s[0:3], s32 offset:792 ; 4-byte Folded Spill
	buffer_store_dword v99, off, s[0:3], s32 offset:796 ; 4-byte Folded Spill
	v_cmp_ne_u32_sdwa s5, v2, v3 src0_sel:BYTE_3 src1_sel:DWORD
	s_and_saveexec_b32 s7, s5
	s_cbranch_execz .LBB259_618
; %bb.613:                              ;   in Loop: Header=BB259_11 Depth=1
	v_bfe_u32 v4, v2, 24, 7
	v_mov_b32_e32 v116, v28
	s_mov_b32 s19, exec_lo
	buffer_store_dword v116, off, s[0:3], s32 offset:792 ; 4-byte Folded Spill
	buffer_store_dword v117, off, s[0:3], s32 offset:796 ; 4-byte Folded Spill
	v_cmpx_ne_u32_e32 0x7f, v4
	s_cbranch_execz .LBB259_617
; %bb.614:                              ;   in Loop: Header=BB259_11 Depth=1
	v_mov_b32_e32 v3, 7
	s_mov_b32 s22, exec_lo
	v_and_b32_sdwa v27, v2, v3 dst_sel:DWORD dst_unused:UNUSED_PAD src0_sel:BYTE_3 src1_sel:DWORD
	v_lshrrev_b32_e32 v3, 3, v4
	v_cmpx_gt_u32_e32 8, v4
; %bb.615:                              ;   in Loop: Header=BB259_11 Depth=1
	v_ffbh_u32_e32 v3, v27
	v_min_u32_e32 v3, 32, v3
	v_subrev_nc_u32_e32 v4, 28, v3
	v_sub_nc_u32_e32 v3, 29, v3
	v_lshlrev_b64 v[4:5], v4, v[27:28]
	v_and_b32_e32 v27, 7, v4
; %bb.616:                              ;   in Loop: Header=BB259_11 Depth=1
	s_or_b32 exec_lo, exec_lo, s22
	v_mov_b32_e32 v4, 24
	v_lshl_add_u32 v3, v3, 23, 0x3c000000
	v_lshlrev_b32_sdwa v2, v4, v2 dst_sel:DWORD dst_unused:UNUSED_PAD src0_sel:DWORD src1_sel:BYTE_3
	v_lshlrev_b32_e32 v4, 20, v27
	v_and_b32_e32 v2, 0x80000000, v2
	v_or3_b32 v3, v4, v2, v3
	v_mov_b32_e32 v2, v28
	buffer_store_dword v2, off, s[0:3], s32 offset:792 ; 4-byte Folded Spill
	buffer_store_dword v3, off, s[0:3], s32 offset:796 ; 4-byte Folded Spill
.LBB259_617:                            ;   in Loop: Header=BB259_11 Depth=1
	s_or_b32 exec_lo, exec_lo, s19
.LBB259_618:                            ;   in Loop: Header=BB259_11 Depth=1
	s_or_b32 exec_lo, exec_lo, s7
.LBB259_619:                            ;   in Loop: Header=BB259_11 Depth=1
	s_or_b32 exec_lo, exec_lo, s6
	flat_load_dword v2, v[0:1] offset:12
	v_mov_b32_e32 v3, 0
	v_mov_b32_e32 v4, 0
	buffer_store_dword v3, off, s[0:3], s32 offset:816 ; 4-byte Folded Spill
	buffer_store_dword v4, off, s[0:3], s32 offset:820 ; 4-byte Folded Spill
	v_mov_b32_e32 v3, 0
	v_mov_b32_e32 v4, 0
	buffer_store_dword v3, off, s[0:3], s32 offset:808 ; 4-byte Folded Spill
	buffer_store_dword v4, off, s[0:3], s32 offset:812 ; 4-byte Folded Spill
	s_waitcnt vmcnt(0) lgkmcnt(0)
	v_cmp_ne_u16_sdwa s5, v2, v28 src0_sel:BYTE_0 src1_sel:DWORD
	s_and_saveexec_b32 s6, s5
	s_cbranch_execz .LBB259_627
; %bb.620:                              ;   in Loop: Header=BB259_11 Depth=1
	v_bfrev_b32_e32 v3, 1
	v_mov_b32_e32 v4, 0
	buffer_store_dword v3, off, s[0:3], s32 offset:808 ; 4-byte Folded Spill
	buffer_store_dword v4, off, s[0:3], s32 offset:812 ; 4-byte Folded Spill
	v_mov_b32_e32 v3, 0x80
	v_cmp_ne_u16_sdwa s5, v2, v3 src0_sel:BYTE_0 src1_sel:DWORD
	s_and_saveexec_b32 s7, s5
	s_cbranch_execz .LBB259_626
; %bb.621:                              ;   in Loop: Header=BB259_11 Depth=1
	v_mov_b32_e32 v8, 0x7f800001
	v_and_b32_e32 v4, 0x7f, v2
	v_mov_b32_e32 v9, 0
	s_mov_b32 s19, exec_lo
	buffer_store_dword v8, off, s[0:3], s32 offset:808 ; 4-byte Folded Spill
	buffer_store_dword v9, off, s[0:3], s32 offset:812 ; 4-byte Folded Spill
	v_cmpx_ne_u32_e32 0x7f, v4
	s_cbranch_execz .LBB259_625
; %bb.622:                              ;   in Loop: Header=BB259_11 Depth=1
	v_and_b32_e32 v27, 7, v2
	v_lshrrev_b32_e32 v3, 3, v4
	s_mov_b32 s22, exec_lo
	v_cmpx_gt_u32_e32 8, v4
; %bb.623:                              ;   in Loop: Header=BB259_11 Depth=1
	v_ffbh_u32_e32 v3, v27
	v_min_u32_e32 v3, 32, v3
	v_subrev_nc_u32_e32 v4, 28, v3
	v_sub_nc_u32_e32 v3, 29, v3
	v_lshlrev_b64 v[4:5], v4, v[27:28]
	v_and_b32_e32 v27, 7, v4
; %bb.624:                              ;   in Loop: Header=BB259_11 Depth=1
	s_or_b32 exec_lo, exec_lo, s22
	v_lshlrev_b32_e32 v4, 24, v2
	v_lshlrev_b32_e32 v5, 20, v27
	v_lshl_add_u32 v3, v3, 23, 0x3c000000
	v_and_b32_e32 v4, 0x80000000, v4
	v_or3_b32 v27, v5, v4, v3
	buffer_store_dword v27, off, s[0:3], s32 offset:808 ; 4-byte Folded Spill
	buffer_store_dword v28, off, s[0:3], s32 offset:812 ; 4-byte Folded Spill
.LBB259_625:                            ;   in Loop: Header=BB259_11 Depth=1
	s_or_b32 exec_lo, exec_lo, s19
.LBB259_626:                            ;   in Loop: Header=BB259_11 Depth=1
	s_or_b32 exec_lo, exec_lo, s7
.LBB259_627:                            ;   in Loop: Header=BB259_11 Depth=1
	s_or_b32 exec_lo, exec_lo, s6
	v_cmp_ne_u16_sdwa s5, v2, v28 src0_sel:BYTE_1 src1_sel:DWORD
	s_and_saveexec_b32 s6, s5
	s_cbranch_execz .LBB259_635
; %bb.628:                              ;   in Loop: Header=BB259_11 Depth=1
	v_mov_b32_e32 v3, 0x80
	v_mov_b32_e32 v98, v28
	buffer_store_dword v98, off, s[0:3], s32 offset:816 ; 4-byte Folded Spill
	buffer_store_dword v99, off, s[0:3], s32 offset:820 ; 4-byte Folded Spill
	v_cmp_ne_u16_sdwa s5, v2, v3 src0_sel:BYTE_1 src1_sel:DWORD
	s_and_saveexec_b32 s7, s5
	s_cbranch_execz .LBB259_634
; %bb.629:                              ;   in Loop: Header=BB259_11 Depth=1
	v_mov_b32_e32 v3, 0xffff
	v_mov_b32_e32 v116, v28
	s_mov_b32 s19, exec_lo
	buffer_store_dword v116, off, s[0:3], s32 offset:816 ; 4-byte Folded Spill
	buffer_store_dword v117, off, s[0:3], s32 offset:820 ; 4-byte Folded Spill
	v_and_b32_sdwa v3, v3, v2 dst_sel:DWORD dst_unused:UNUSED_PAD src0_sel:DWORD src1_sel:BYTE_1
	v_and_b32_e32 v4, 0x7f, v3
	v_cmpx_ne_u32_e32 0x7f, v4
	s_cbranch_execz .LBB259_633
; %bb.630:                              ;   in Loop: Header=BB259_11 Depth=1
	v_and_b32_e32 v27, 7, v3
	v_lshrrev_b32_e32 v3, 3, v4
	s_mov_b32 s22, exec_lo
	v_cmpx_gt_u32_e32 8, v4
; %bb.631:                              ;   in Loop: Header=BB259_11 Depth=1
	v_ffbh_u32_e32 v3, v27
	v_min_u32_e32 v3, 32, v3
	v_subrev_nc_u32_e32 v4, 28, v3
	v_sub_nc_u32_e32 v3, 29, v3
	v_lshlrev_b64 v[4:5], v4, v[27:28]
	v_and_b32_e32 v27, 7, v4
; %bb.632:                              ;   in Loop: Header=BB259_11 Depth=1
	s_or_b32 exec_lo, exec_lo, s22
	v_lshlrev_b32_e32 v4, 16, v2
	v_lshlrev_b32_e32 v5, 20, v27
	v_lshl_add_u32 v3, v3, 23, 0x3c000000
	v_and_b32_e32 v4, 0x80000000, v4
	v_or3_b32 v4, v5, v4, v3
	v_mov_b32_e32 v3, v28
	buffer_store_dword v3, off, s[0:3], s32 offset:816 ; 4-byte Folded Spill
	buffer_store_dword v4, off, s[0:3], s32 offset:820 ; 4-byte Folded Spill
.LBB259_633:                            ;   in Loop: Header=BB259_11 Depth=1
	s_or_b32 exec_lo, exec_lo, s19
.LBB259_634:                            ;   in Loop: Header=BB259_11 Depth=1
	s_or_b32 exec_lo, exec_lo, s7
.LBB259_635:                            ;   in Loop: Header=BB259_11 Depth=1
	s_or_b32 exec_lo, exec_lo, s6
	v_mov_b32_e32 v4, 0
	v_mov_b32_e32 v5, 0
	v_and_b32_sdwa v3, v2, v6 dst_sel:DWORD dst_unused:UNUSED_PAD src0_sel:WORD_1 src1_sel:DWORD
	s_mov_b32 s6, exec_lo
	buffer_store_dword v4, off, s[0:3], s32 offset:824 ; 4-byte Folded Spill
	buffer_store_dword v5, off, s[0:3], s32 offset:828 ; 4-byte Folded Spill
	v_mov_b32_e32 v4, 0
	v_mov_b32_e32 v5, 0
	buffer_store_dword v4, off, s[0:3], s32 offset:832 ; 4-byte Folded Spill
	buffer_store_dword v5, off, s[0:3], s32 offset:836 ; 4-byte Folded Spill
	v_cmpx_ne_u16_e32 0, v3
	s_cbranch_execz .LBB259_643
; %bb.636:                              ;   in Loop: Header=BB259_11 Depth=1
	v_cmp_ne_u16_e64 s5, 0x80, v3
	v_bfrev_b32_e32 v3, 1
	v_mov_b32_e32 v4, 0
	buffer_store_dword v3, off, s[0:3], s32 offset:832 ; 4-byte Folded Spill
	buffer_store_dword v4, off, s[0:3], s32 offset:836 ; 4-byte Folded Spill
	s_and_saveexec_b32 s7, s5
	s_cbranch_execz .LBB259_642
; %bb.637:                              ;   in Loop: Header=BB259_11 Depth=1
	v_mov_b32_e32 v8, 0x7f800001
	v_bfe_u32 v4, v2, 16, 7
	v_mov_b32_e32 v9, 0
	s_mov_b32 s19, exec_lo
	buffer_store_dword v8, off, s[0:3], s32 offset:832 ; 4-byte Folded Spill
	buffer_store_dword v9, off, s[0:3], s32 offset:836 ; 4-byte Folded Spill
	v_cmpx_ne_u32_e32 0x7f, v4
	s_cbranch_execz .LBB259_641
; %bb.638:                              ;   in Loop: Header=BB259_11 Depth=1
	v_mov_b32_e32 v3, 7
	s_mov_b32 s22, exec_lo
	v_and_b32_sdwa v27, v2, v3 dst_sel:DWORD dst_unused:UNUSED_PAD src0_sel:WORD_1 src1_sel:DWORD
	v_lshrrev_b32_e32 v3, 3, v4
	v_cmpx_gt_u32_e32 8, v4
; %bb.639:                              ;   in Loop: Header=BB259_11 Depth=1
	v_ffbh_u32_e32 v3, v27
	v_min_u32_e32 v3, 32, v3
	v_subrev_nc_u32_e32 v4, 28, v3
	v_sub_nc_u32_e32 v3, 29, v3
	v_lshlrev_b64 v[4:5], v4, v[27:28]
	v_and_b32_e32 v27, 7, v4
; %bb.640:                              ;   in Loop: Header=BB259_11 Depth=1
	s_or_b32 exec_lo, exec_lo, s22
	v_mov_b32_e32 v4, 24
	v_lshlrev_b32_e32 v5, 20, v27
	v_lshl_add_u32 v3, v3, 23, 0x3c000000
	v_lshlrev_b32_sdwa v4, v4, v2 dst_sel:DWORD dst_unused:UNUSED_PAD src0_sel:DWORD src1_sel:WORD_1
	v_and_b32_e32 v4, 0x80000000, v4
	v_or3_b32 v27, v5, v4, v3
	buffer_store_dword v27, off, s[0:3], s32 offset:832 ; 4-byte Folded Spill
	buffer_store_dword v28, off, s[0:3], s32 offset:836 ; 4-byte Folded Spill
.LBB259_641:                            ;   in Loop: Header=BB259_11 Depth=1
	s_or_b32 exec_lo, exec_lo, s19
.LBB259_642:                            ;   in Loop: Header=BB259_11 Depth=1
	s_or_b32 exec_lo, exec_lo, s7
.LBB259_643:                            ;   in Loop: Header=BB259_11 Depth=1
	s_or_b32 exec_lo, exec_lo, s6
	s_mov_b32 s6, exec_lo
	v_cmpx_lt_u32_e32 0xffffff, v2
	s_cbranch_execz .LBB259_651
; %bb.644:                              ;   in Loop: Header=BB259_11 Depth=1
	v_mov_b32_e32 v3, 0x80
	v_mov_b32_e32 v98, v28
	buffer_store_dword v98, off, s[0:3], s32 offset:824 ; 4-byte Folded Spill
	buffer_store_dword v99, off, s[0:3], s32 offset:828 ; 4-byte Folded Spill
	v_cmp_ne_u32_sdwa s5, v2, v3 src0_sel:BYTE_3 src1_sel:DWORD
	s_and_saveexec_b32 s7, s5
	s_cbranch_execz .LBB259_650
; %bb.645:                              ;   in Loop: Header=BB259_11 Depth=1
	v_bfe_u32 v4, v2, 24, 7
	v_mov_b32_e32 v116, v28
	s_mov_b32 s19, exec_lo
	buffer_store_dword v116, off, s[0:3], s32 offset:824 ; 4-byte Folded Spill
	buffer_store_dword v117, off, s[0:3], s32 offset:828 ; 4-byte Folded Spill
	v_cmpx_ne_u32_e32 0x7f, v4
	s_cbranch_execz .LBB259_649
; %bb.646:                              ;   in Loop: Header=BB259_11 Depth=1
	v_mov_b32_e32 v3, 7
	s_mov_b32 s22, exec_lo
	v_and_b32_sdwa v27, v2, v3 dst_sel:DWORD dst_unused:UNUSED_PAD src0_sel:BYTE_3 src1_sel:DWORD
	v_lshrrev_b32_e32 v3, 3, v4
	v_cmpx_gt_u32_e32 8, v4
; %bb.647:                              ;   in Loop: Header=BB259_11 Depth=1
	v_ffbh_u32_e32 v3, v27
	v_min_u32_e32 v3, 32, v3
	v_subrev_nc_u32_e32 v4, 28, v3
	v_sub_nc_u32_e32 v3, 29, v3
	v_lshlrev_b64 v[4:5], v4, v[27:28]
	v_and_b32_e32 v27, 7, v4
; %bb.648:                              ;   in Loop: Header=BB259_11 Depth=1
	s_or_b32 exec_lo, exec_lo, s22
	v_mov_b32_e32 v4, 24
	v_lshl_add_u32 v3, v3, 23, 0x3c000000
	v_lshlrev_b32_sdwa v2, v4, v2 dst_sel:DWORD dst_unused:UNUSED_PAD src0_sel:DWORD src1_sel:BYTE_3
	v_lshlrev_b32_e32 v4, 20, v27
	v_and_b32_e32 v2, 0x80000000, v2
	v_or3_b32 v3, v4, v2, v3
	v_mov_b32_e32 v2, v28
	buffer_store_dword v2, off, s[0:3], s32 offset:824 ; 4-byte Folded Spill
	buffer_store_dword v3, off, s[0:3], s32 offset:828 ; 4-byte Folded Spill
.LBB259_649:                            ;   in Loop: Header=BB259_11 Depth=1
	s_or_b32 exec_lo, exec_lo, s19
.LBB259_650:                            ;   in Loop: Header=BB259_11 Depth=1
	s_or_b32 exec_lo, exec_lo, s7
.LBB259_651:                            ;   in Loop: Header=BB259_11 Depth=1
	s_or_b32 exec_lo, exec_lo, s6
	flat_load_dword v2, v[0:1] offset:512
	v_mov_b32_e32 v3, 0
	v_mov_b32_e32 v4, 0
	buffer_store_dword v3, off, s[0:3], s32 offset:848 ; 4-byte Folded Spill
	buffer_store_dword v4, off, s[0:3], s32 offset:852 ; 4-byte Folded Spill
	v_mov_b32_e32 v3, 0
	v_mov_b32_e32 v4, 0
	buffer_store_dword v3, off, s[0:3], s32 offset:840 ; 4-byte Folded Spill
	buffer_store_dword v4, off, s[0:3], s32 offset:844 ; 4-byte Folded Spill
	s_waitcnt vmcnt(0) lgkmcnt(0)
	v_cmp_ne_u16_sdwa s5, v2, v28 src0_sel:BYTE_0 src1_sel:DWORD
	s_and_saveexec_b32 s6, s5
	s_cbranch_execz .LBB259_659
; %bb.652:                              ;   in Loop: Header=BB259_11 Depth=1
	v_bfrev_b32_e32 v3, 1
	v_mov_b32_e32 v4, 0
	buffer_store_dword v3, off, s[0:3], s32 offset:840 ; 4-byte Folded Spill
	buffer_store_dword v4, off, s[0:3], s32 offset:844 ; 4-byte Folded Spill
	v_mov_b32_e32 v3, 0x80
	v_cmp_ne_u16_sdwa s5, v2, v3 src0_sel:BYTE_0 src1_sel:DWORD
	s_and_saveexec_b32 s7, s5
	s_cbranch_execz .LBB259_658
; %bb.653:                              ;   in Loop: Header=BB259_11 Depth=1
	v_mov_b32_e32 v8, 0x7f800001
	v_and_b32_e32 v4, 0x7f, v2
	v_mov_b32_e32 v9, 0
	s_mov_b32 s19, exec_lo
	buffer_store_dword v8, off, s[0:3], s32 offset:840 ; 4-byte Folded Spill
	buffer_store_dword v9, off, s[0:3], s32 offset:844 ; 4-byte Folded Spill
	v_cmpx_ne_u32_e32 0x7f, v4
	s_cbranch_execz .LBB259_657
; %bb.654:                              ;   in Loop: Header=BB259_11 Depth=1
	v_and_b32_e32 v27, 7, v2
	v_lshrrev_b32_e32 v3, 3, v4
	s_mov_b32 s22, exec_lo
	v_cmpx_gt_u32_e32 8, v4
; %bb.655:                              ;   in Loop: Header=BB259_11 Depth=1
	v_ffbh_u32_e32 v3, v27
	v_min_u32_e32 v3, 32, v3
	v_subrev_nc_u32_e32 v4, 28, v3
	v_sub_nc_u32_e32 v3, 29, v3
	v_lshlrev_b64 v[4:5], v4, v[27:28]
	v_and_b32_e32 v27, 7, v4
; %bb.656:                              ;   in Loop: Header=BB259_11 Depth=1
	s_or_b32 exec_lo, exec_lo, s22
	v_lshlrev_b32_e32 v4, 24, v2
	v_lshlrev_b32_e32 v5, 20, v27
	v_lshl_add_u32 v3, v3, 23, 0x3c000000
	v_and_b32_e32 v4, 0x80000000, v4
	v_or3_b32 v27, v5, v4, v3
	buffer_store_dword v27, off, s[0:3], s32 offset:840 ; 4-byte Folded Spill
	buffer_store_dword v28, off, s[0:3], s32 offset:844 ; 4-byte Folded Spill
.LBB259_657:                            ;   in Loop: Header=BB259_11 Depth=1
	s_or_b32 exec_lo, exec_lo, s19
.LBB259_658:                            ;   in Loop: Header=BB259_11 Depth=1
	s_or_b32 exec_lo, exec_lo, s7
.LBB259_659:                            ;   in Loop: Header=BB259_11 Depth=1
	s_or_b32 exec_lo, exec_lo, s6
	v_cmp_ne_u16_sdwa s5, v2, v28 src0_sel:BYTE_1 src1_sel:DWORD
	s_and_saveexec_b32 s6, s5
	s_cbranch_execz .LBB259_667
; %bb.660:                              ;   in Loop: Header=BB259_11 Depth=1
	v_mov_b32_e32 v3, 0x80
	v_mov_b32_e32 v98, v28
	buffer_store_dword v98, off, s[0:3], s32 offset:848 ; 4-byte Folded Spill
	buffer_store_dword v99, off, s[0:3], s32 offset:852 ; 4-byte Folded Spill
	v_cmp_ne_u16_sdwa s5, v2, v3 src0_sel:BYTE_1 src1_sel:DWORD
	s_and_saveexec_b32 s7, s5
	s_cbranch_execz .LBB259_666
; %bb.661:                              ;   in Loop: Header=BB259_11 Depth=1
	v_mov_b32_e32 v3, 0xffff
	v_mov_b32_e32 v116, v28
	s_mov_b32 s19, exec_lo
	buffer_store_dword v116, off, s[0:3], s32 offset:848 ; 4-byte Folded Spill
	buffer_store_dword v117, off, s[0:3], s32 offset:852 ; 4-byte Folded Spill
	v_and_b32_sdwa v3, v3, v2 dst_sel:DWORD dst_unused:UNUSED_PAD src0_sel:DWORD src1_sel:BYTE_1
	v_and_b32_e32 v4, 0x7f, v3
	v_cmpx_ne_u32_e32 0x7f, v4
	s_cbranch_execz .LBB259_665
; %bb.662:                              ;   in Loop: Header=BB259_11 Depth=1
	v_and_b32_e32 v27, 7, v3
	v_lshrrev_b32_e32 v3, 3, v4
	s_mov_b32 s22, exec_lo
	v_cmpx_gt_u32_e32 8, v4
; %bb.663:                              ;   in Loop: Header=BB259_11 Depth=1
	v_ffbh_u32_e32 v3, v27
	v_min_u32_e32 v3, 32, v3
	v_subrev_nc_u32_e32 v4, 28, v3
	v_sub_nc_u32_e32 v3, 29, v3
	v_lshlrev_b64 v[4:5], v4, v[27:28]
	v_and_b32_e32 v27, 7, v4
; %bb.664:                              ;   in Loop: Header=BB259_11 Depth=1
	s_or_b32 exec_lo, exec_lo, s22
	v_lshlrev_b32_e32 v4, 16, v2
	v_lshlrev_b32_e32 v5, 20, v27
	v_lshl_add_u32 v3, v3, 23, 0x3c000000
	v_and_b32_e32 v4, 0x80000000, v4
	v_or3_b32 v4, v5, v4, v3
	v_mov_b32_e32 v3, v28
	buffer_store_dword v3, off, s[0:3], s32 offset:848 ; 4-byte Folded Spill
	buffer_store_dword v4, off, s[0:3], s32 offset:852 ; 4-byte Folded Spill
.LBB259_665:                            ;   in Loop: Header=BB259_11 Depth=1
	s_or_b32 exec_lo, exec_lo, s19
.LBB259_666:                            ;   in Loop: Header=BB259_11 Depth=1
	s_or_b32 exec_lo, exec_lo, s7
.LBB259_667:                            ;   in Loop: Header=BB259_11 Depth=1
	s_or_b32 exec_lo, exec_lo, s6
	v_mov_b32_e32 v4, 0
	v_mov_b32_e32 v5, 0
	v_and_b32_sdwa v3, v2, v6 dst_sel:DWORD dst_unused:UNUSED_PAD src0_sel:WORD_1 src1_sel:DWORD
	s_mov_b32 s6, exec_lo
	buffer_store_dword v4, off, s[0:3], s32 offset:856 ; 4-byte Folded Spill
	buffer_store_dword v5, off, s[0:3], s32 offset:860 ; 4-byte Folded Spill
	v_mov_b32_e32 v4, 0
	v_mov_b32_e32 v5, 0
	buffer_store_dword v4, off, s[0:3], s32 offset:864 ; 4-byte Folded Spill
	buffer_store_dword v5, off, s[0:3], s32 offset:868 ; 4-byte Folded Spill
	v_cmpx_ne_u16_e32 0, v3
	s_cbranch_execz .LBB259_675
; %bb.668:                              ;   in Loop: Header=BB259_11 Depth=1
	v_cmp_ne_u16_e64 s5, 0x80, v3
	v_bfrev_b32_e32 v3, 1
	v_mov_b32_e32 v4, 0
	buffer_store_dword v3, off, s[0:3], s32 offset:864 ; 4-byte Folded Spill
	buffer_store_dword v4, off, s[0:3], s32 offset:868 ; 4-byte Folded Spill
	s_and_saveexec_b32 s7, s5
	s_cbranch_execz .LBB259_674
; %bb.669:                              ;   in Loop: Header=BB259_11 Depth=1
	v_mov_b32_e32 v8, 0x7f800001
	v_bfe_u32 v4, v2, 16, 7
	v_mov_b32_e32 v9, 0
	s_mov_b32 s19, exec_lo
	buffer_store_dword v8, off, s[0:3], s32 offset:864 ; 4-byte Folded Spill
	buffer_store_dword v9, off, s[0:3], s32 offset:868 ; 4-byte Folded Spill
	v_cmpx_ne_u32_e32 0x7f, v4
	s_cbranch_execz .LBB259_673
; %bb.670:                              ;   in Loop: Header=BB259_11 Depth=1
	v_mov_b32_e32 v3, 7
	s_mov_b32 s22, exec_lo
	v_and_b32_sdwa v27, v2, v3 dst_sel:DWORD dst_unused:UNUSED_PAD src0_sel:WORD_1 src1_sel:DWORD
	v_lshrrev_b32_e32 v3, 3, v4
	v_cmpx_gt_u32_e32 8, v4
; %bb.671:                              ;   in Loop: Header=BB259_11 Depth=1
	v_ffbh_u32_e32 v3, v27
	v_min_u32_e32 v3, 32, v3
	v_subrev_nc_u32_e32 v4, 28, v3
	v_sub_nc_u32_e32 v3, 29, v3
	v_lshlrev_b64 v[4:5], v4, v[27:28]
	v_and_b32_e32 v27, 7, v4
; %bb.672:                              ;   in Loop: Header=BB259_11 Depth=1
	s_or_b32 exec_lo, exec_lo, s22
	v_mov_b32_e32 v4, 24
	v_lshlrev_b32_e32 v5, 20, v27
	v_lshl_add_u32 v3, v3, 23, 0x3c000000
	v_lshlrev_b32_sdwa v4, v4, v2 dst_sel:DWORD dst_unused:UNUSED_PAD src0_sel:DWORD src1_sel:WORD_1
	v_and_b32_e32 v4, 0x80000000, v4
	v_or3_b32 v27, v5, v4, v3
	buffer_store_dword v27, off, s[0:3], s32 offset:864 ; 4-byte Folded Spill
	buffer_store_dword v28, off, s[0:3], s32 offset:868 ; 4-byte Folded Spill
.LBB259_673:                            ;   in Loop: Header=BB259_11 Depth=1
	s_or_b32 exec_lo, exec_lo, s19
.LBB259_674:                            ;   in Loop: Header=BB259_11 Depth=1
	s_or_b32 exec_lo, exec_lo, s7
.LBB259_675:                            ;   in Loop: Header=BB259_11 Depth=1
	s_or_b32 exec_lo, exec_lo, s6
	s_mov_b32 s6, exec_lo
	v_cmpx_lt_u32_e32 0xffffff, v2
	s_cbranch_execz .LBB259_683
; %bb.676:                              ;   in Loop: Header=BB259_11 Depth=1
	v_mov_b32_e32 v3, 0x80
	v_mov_b32_e32 v98, v28
	buffer_store_dword v98, off, s[0:3], s32 offset:856 ; 4-byte Folded Spill
	buffer_store_dword v99, off, s[0:3], s32 offset:860 ; 4-byte Folded Spill
	v_cmp_ne_u32_sdwa s5, v2, v3 src0_sel:BYTE_3 src1_sel:DWORD
	s_and_saveexec_b32 s7, s5
	s_cbranch_execz .LBB259_682
; %bb.677:                              ;   in Loop: Header=BB259_11 Depth=1
	v_bfe_u32 v4, v2, 24, 7
	v_mov_b32_e32 v116, v28
	s_mov_b32 s19, exec_lo
	buffer_store_dword v116, off, s[0:3], s32 offset:856 ; 4-byte Folded Spill
	buffer_store_dword v117, off, s[0:3], s32 offset:860 ; 4-byte Folded Spill
	v_cmpx_ne_u32_e32 0x7f, v4
	s_cbranch_execz .LBB259_681
; %bb.678:                              ;   in Loop: Header=BB259_11 Depth=1
	v_mov_b32_e32 v3, 7
	s_mov_b32 s22, exec_lo
	v_and_b32_sdwa v27, v2, v3 dst_sel:DWORD dst_unused:UNUSED_PAD src0_sel:BYTE_3 src1_sel:DWORD
	v_lshrrev_b32_e32 v3, 3, v4
	v_cmpx_gt_u32_e32 8, v4
; %bb.679:                              ;   in Loop: Header=BB259_11 Depth=1
	v_ffbh_u32_e32 v3, v27
	v_min_u32_e32 v3, 32, v3
	v_subrev_nc_u32_e32 v4, 28, v3
	v_sub_nc_u32_e32 v3, 29, v3
	v_lshlrev_b64 v[4:5], v4, v[27:28]
	v_and_b32_e32 v27, 7, v4
; %bb.680:                              ;   in Loop: Header=BB259_11 Depth=1
	s_or_b32 exec_lo, exec_lo, s22
	v_mov_b32_e32 v4, 24
	v_lshl_add_u32 v3, v3, 23, 0x3c000000
	v_lshlrev_b32_sdwa v2, v4, v2 dst_sel:DWORD dst_unused:UNUSED_PAD src0_sel:DWORD src1_sel:BYTE_3
	v_lshlrev_b32_e32 v4, 20, v27
	v_and_b32_e32 v2, 0x80000000, v2
	v_or3_b32 v3, v4, v2, v3
	v_mov_b32_e32 v2, v28
	buffer_store_dword v2, off, s[0:3], s32 offset:856 ; 4-byte Folded Spill
	buffer_store_dword v3, off, s[0:3], s32 offset:860 ; 4-byte Folded Spill
.LBB259_681:                            ;   in Loop: Header=BB259_11 Depth=1
	s_or_b32 exec_lo, exec_lo, s19
.LBB259_682:                            ;   in Loop: Header=BB259_11 Depth=1
	s_or_b32 exec_lo, exec_lo, s7
.LBB259_683:                            ;   in Loop: Header=BB259_11 Depth=1
	s_or_b32 exec_lo, exec_lo, s6
	flat_load_dword v2, v[0:1] offset:516
	v_mov_b32_e32 v3, 0
	v_mov_b32_e32 v4, 0
	buffer_store_dword v3, off, s[0:3], s32 offset:880 ; 4-byte Folded Spill
	buffer_store_dword v4, off, s[0:3], s32 offset:884 ; 4-byte Folded Spill
	v_mov_b32_e32 v3, 0
	v_mov_b32_e32 v4, 0
	buffer_store_dword v3, off, s[0:3], s32 offset:872 ; 4-byte Folded Spill
	buffer_store_dword v4, off, s[0:3], s32 offset:876 ; 4-byte Folded Spill
	s_waitcnt vmcnt(0) lgkmcnt(0)
	v_cmp_ne_u16_sdwa s5, v2, v28 src0_sel:BYTE_0 src1_sel:DWORD
	s_and_saveexec_b32 s6, s5
	s_cbranch_execz .LBB259_691
; %bb.684:                              ;   in Loop: Header=BB259_11 Depth=1
	v_bfrev_b32_e32 v3, 1
	v_mov_b32_e32 v4, 0
	buffer_store_dword v3, off, s[0:3], s32 offset:872 ; 4-byte Folded Spill
	buffer_store_dword v4, off, s[0:3], s32 offset:876 ; 4-byte Folded Spill
	v_mov_b32_e32 v3, 0x80
	v_cmp_ne_u16_sdwa s5, v2, v3 src0_sel:BYTE_0 src1_sel:DWORD
	s_and_saveexec_b32 s7, s5
	s_cbranch_execz .LBB259_690
; %bb.685:                              ;   in Loop: Header=BB259_11 Depth=1
	v_mov_b32_e32 v8, 0x7f800001
	v_and_b32_e32 v4, 0x7f, v2
	v_mov_b32_e32 v9, 0
	s_mov_b32 s19, exec_lo
	buffer_store_dword v8, off, s[0:3], s32 offset:872 ; 4-byte Folded Spill
	buffer_store_dword v9, off, s[0:3], s32 offset:876 ; 4-byte Folded Spill
	v_cmpx_ne_u32_e32 0x7f, v4
	s_cbranch_execz .LBB259_689
; %bb.686:                              ;   in Loop: Header=BB259_11 Depth=1
	v_and_b32_e32 v27, 7, v2
	v_lshrrev_b32_e32 v3, 3, v4
	s_mov_b32 s22, exec_lo
	v_cmpx_gt_u32_e32 8, v4
; %bb.687:                              ;   in Loop: Header=BB259_11 Depth=1
	v_ffbh_u32_e32 v3, v27
	v_min_u32_e32 v3, 32, v3
	v_subrev_nc_u32_e32 v4, 28, v3
	v_sub_nc_u32_e32 v3, 29, v3
	v_lshlrev_b64 v[4:5], v4, v[27:28]
	v_and_b32_e32 v27, 7, v4
; %bb.688:                              ;   in Loop: Header=BB259_11 Depth=1
	s_or_b32 exec_lo, exec_lo, s22
	v_lshlrev_b32_e32 v4, 24, v2
	v_lshlrev_b32_e32 v5, 20, v27
	v_lshl_add_u32 v3, v3, 23, 0x3c000000
	v_and_b32_e32 v4, 0x80000000, v4
	v_or3_b32 v27, v5, v4, v3
	buffer_store_dword v27, off, s[0:3], s32 offset:872 ; 4-byte Folded Spill
	buffer_store_dword v28, off, s[0:3], s32 offset:876 ; 4-byte Folded Spill
.LBB259_689:                            ;   in Loop: Header=BB259_11 Depth=1
	s_or_b32 exec_lo, exec_lo, s19
.LBB259_690:                            ;   in Loop: Header=BB259_11 Depth=1
	s_or_b32 exec_lo, exec_lo, s7
.LBB259_691:                            ;   in Loop: Header=BB259_11 Depth=1
	s_or_b32 exec_lo, exec_lo, s6
	v_cmp_ne_u16_sdwa s5, v2, v28 src0_sel:BYTE_1 src1_sel:DWORD
	s_and_saveexec_b32 s6, s5
	s_cbranch_execz .LBB259_699
; %bb.692:                              ;   in Loop: Header=BB259_11 Depth=1
	v_mov_b32_e32 v3, 0x80
	v_mov_b32_e32 v98, v28
	buffer_store_dword v98, off, s[0:3], s32 offset:880 ; 4-byte Folded Spill
	buffer_store_dword v99, off, s[0:3], s32 offset:884 ; 4-byte Folded Spill
	v_cmp_ne_u16_sdwa s5, v2, v3 src0_sel:BYTE_1 src1_sel:DWORD
	s_and_saveexec_b32 s7, s5
	s_cbranch_execz .LBB259_698
; %bb.693:                              ;   in Loop: Header=BB259_11 Depth=1
	v_mov_b32_e32 v3, 0xffff
	v_mov_b32_e32 v116, v28
	s_mov_b32 s19, exec_lo
	buffer_store_dword v116, off, s[0:3], s32 offset:880 ; 4-byte Folded Spill
	buffer_store_dword v117, off, s[0:3], s32 offset:884 ; 4-byte Folded Spill
	v_and_b32_sdwa v3, v3, v2 dst_sel:DWORD dst_unused:UNUSED_PAD src0_sel:DWORD src1_sel:BYTE_1
	v_and_b32_e32 v4, 0x7f, v3
	v_cmpx_ne_u32_e32 0x7f, v4
	s_cbranch_execz .LBB259_697
; %bb.694:                              ;   in Loop: Header=BB259_11 Depth=1
	v_and_b32_e32 v27, 7, v3
	v_lshrrev_b32_e32 v3, 3, v4
	s_mov_b32 s22, exec_lo
	v_cmpx_gt_u32_e32 8, v4
; %bb.695:                              ;   in Loop: Header=BB259_11 Depth=1
	v_ffbh_u32_e32 v3, v27
	v_min_u32_e32 v3, 32, v3
	v_subrev_nc_u32_e32 v4, 28, v3
	v_sub_nc_u32_e32 v3, 29, v3
	v_lshlrev_b64 v[4:5], v4, v[27:28]
	v_and_b32_e32 v27, 7, v4
; %bb.696:                              ;   in Loop: Header=BB259_11 Depth=1
	s_or_b32 exec_lo, exec_lo, s22
	v_lshlrev_b32_e32 v4, 16, v2
	v_lshlrev_b32_e32 v5, 20, v27
	v_lshl_add_u32 v3, v3, 23, 0x3c000000
	v_and_b32_e32 v4, 0x80000000, v4
	v_or3_b32 v4, v5, v4, v3
	v_mov_b32_e32 v3, v28
	buffer_store_dword v3, off, s[0:3], s32 offset:880 ; 4-byte Folded Spill
	buffer_store_dword v4, off, s[0:3], s32 offset:884 ; 4-byte Folded Spill
.LBB259_697:                            ;   in Loop: Header=BB259_11 Depth=1
	s_or_b32 exec_lo, exec_lo, s19
.LBB259_698:                            ;   in Loop: Header=BB259_11 Depth=1
	s_or_b32 exec_lo, exec_lo, s7
.LBB259_699:                            ;   in Loop: Header=BB259_11 Depth=1
	s_or_b32 exec_lo, exec_lo, s6
	v_mov_b32_e32 v4, 0
	v_mov_b32_e32 v5, 0
	v_and_b32_sdwa v3, v2, v6 dst_sel:DWORD dst_unused:UNUSED_PAD src0_sel:WORD_1 src1_sel:DWORD
	s_mov_b32 s6, exec_lo
	buffer_store_dword v4, off, s[0:3], s32 offset:888 ; 4-byte Folded Spill
	buffer_store_dword v5, off, s[0:3], s32 offset:892 ; 4-byte Folded Spill
	v_mov_b32_e32 v4, 0
	v_mov_b32_e32 v5, 0
	buffer_store_dword v4, off, s[0:3], s32 offset:896 ; 4-byte Folded Spill
	buffer_store_dword v5, off, s[0:3], s32 offset:900 ; 4-byte Folded Spill
	v_cmpx_ne_u16_e32 0, v3
	s_cbranch_execz .LBB259_707
; %bb.700:                              ;   in Loop: Header=BB259_11 Depth=1
	v_cmp_ne_u16_e64 s5, 0x80, v3
	v_bfrev_b32_e32 v3, 1
	v_mov_b32_e32 v4, 0
	buffer_store_dword v3, off, s[0:3], s32 offset:896 ; 4-byte Folded Spill
	buffer_store_dword v4, off, s[0:3], s32 offset:900 ; 4-byte Folded Spill
	s_and_saveexec_b32 s7, s5
	s_cbranch_execz .LBB259_706
; %bb.701:                              ;   in Loop: Header=BB259_11 Depth=1
	v_mov_b32_e32 v8, 0x7f800001
	v_bfe_u32 v4, v2, 16, 7
	v_mov_b32_e32 v9, 0
	s_mov_b32 s19, exec_lo
	buffer_store_dword v8, off, s[0:3], s32 offset:896 ; 4-byte Folded Spill
	buffer_store_dword v9, off, s[0:3], s32 offset:900 ; 4-byte Folded Spill
	v_cmpx_ne_u32_e32 0x7f, v4
	s_cbranch_execz .LBB259_705
; %bb.702:                              ;   in Loop: Header=BB259_11 Depth=1
	v_mov_b32_e32 v3, 7
	s_mov_b32 s22, exec_lo
	v_and_b32_sdwa v27, v2, v3 dst_sel:DWORD dst_unused:UNUSED_PAD src0_sel:WORD_1 src1_sel:DWORD
	v_lshrrev_b32_e32 v3, 3, v4
	v_cmpx_gt_u32_e32 8, v4
; %bb.703:                              ;   in Loop: Header=BB259_11 Depth=1
	v_ffbh_u32_e32 v3, v27
	v_min_u32_e32 v3, 32, v3
	v_subrev_nc_u32_e32 v4, 28, v3
	v_sub_nc_u32_e32 v3, 29, v3
	v_lshlrev_b64 v[4:5], v4, v[27:28]
	v_and_b32_e32 v27, 7, v4
; %bb.704:                              ;   in Loop: Header=BB259_11 Depth=1
	s_or_b32 exec_lo, exec_lo, s22
	v_mov_b32_e32 v4, 24
	v_lshlrev_b32_e32 v5, 20, v27
	v_lshl_add_u32 v3, v3, 23, 0x3c000000
	v_lshlrev_b32_sdwa v4, v4, v2 dst_sel:DWORD dst_unused:UNUSED_PAD src0_sel:DWORD src1_sel:WORD_1
	v_and_b32_e32 v4, 0x80000000, v4
	v_or3_b32 v27, v5, v4, v3
	buffer_store_dword v27, off, s[0:3], s32 offset:896 ; 4-byte Folded Spill
	buffer_store_dword v28, off, s[0:3], s32 offset:900 ; 4-byte Folded Spill
.LBB259_705:                            ;   in Loop: Header=BB259_11 Depth=1
	s_or_b32 exec_lo, exec_lo, s19
.LBB259_706:                            ;   in Loop: Header=BB259_11 Depth=1
	s_or_b32 exec_lo, exec_lo, s7
.LBB259_707:                            ;   in Loop: Header=BB259_11 Depth=1
	s_or_b32 exec_lo, exec_lo, s6
	s_mov_b32 s6, exec_lo
	v_cmpx_lt_u32_e32 0xffffff, v2
	s_cbranch_execz .LBB259_715
; %bb.708:                              ;   in Loop: Header=BB259_11 Depth=1
	v_mov_b32_e32 v3, 0x80
	v_mov_b32_e32 v98, v28
	buffer_store_dword v98, off, s[0:3], s32 offset:888 ; 4-byte Folded Spill
	buffer_store_dword v99, off, s[0:3], s32 offset:892 ; 4-byte Folded Spill
	v_cmp_ne_u32_sdwa s5, v2, v3 src0_sel:BYTE_3 src1_sel:DWORD
	s_and_saveexec_b32 s7, s5
	s_cbranch_execz .LBB259_714
; %bb.709:                              ;   in Loop: Header=BB259_11 Depth=1
	v_bfe_u32 v4, v2, 24, 7
	v_mov_b32_e32 v116, v28
	s_mov_b32 s19, exec_lo
	buffer_store_dword v116, off, s[0:3], s32 offset:888 ; 4-byte Folded Spill
	buffer_store_dword v117, off, s[0:3], s32 offset:892 ; 4-byte Folded Spill
	v_cmpx_ne_u32_e32 0x7f, v4
	s_cbranch_execz .LBB259_713
; %bb.710:                              ;   in Loop: Header=BB259_11 Depth=1
	v_mov_b32_e32 v3, 7
	s_mov_b32 s22, exec_lo
	v_and_b32_sdwa v27, v2, v3 dst_sel:DWORD dst_unused:UNUSED_PAD src0_sel:BYTE_3 src1_sel:DWORD
	v_lshrrev_b32_e32 v3, 3, v4
	v_cmpx_gt_u32_e32 8, v4
; %bb.711:                              ;   in Loop: Header=BB259_11 Depth=1
	v_ffbh_u32_e32 v3, v27
	v_min_u32_e32 v3, 32, v3
	v_subrev_nc_u32_e32 v4, 28, v3
	v_sub_nc_u32_e32 v3, 29, v3
	v_lshlrev_b64 v[4:5], v4, v[27:28]
	v_and_b32_e32 v27, 7, v4
; %bb.712:                              ;   in Loop: Header=BB259_11 Depth=1
	s_or_b32 exec_lo, exec_lo, s22
	v_mov_b32_e32 v4, 24
	v_lshl_add_u32 v3, v3, 23, 0x3c000000
	v_lshlrev_b32_sdwa v2, v4, v2 dst_sel:DWORD dst_unused:UNUSED_PAD src0_sel:DWORD src1_sel:BYTE_3
	v_lshlrev_b32_e32 v4, 20, v27
	v_and_b32_e32 v2, 0x80000000, v2
	v_or3_b32 v3, v4, v2, v3
	v_mov_b32_e32 v2, v28
	buffer_store_dword v2, off, s[0:3], s32 offset:888 ; 4-byte Folded Spill
	buffer_store_dword v3, off, s[0:3], s32 offset:892 ; 4-byte Folded Spill
.LBB259_713:                            ;   in Loop: Header=BB259_11 Depth=1
	s_or_b32 exec_lo, exec_lo, s19
.LBB259_714:                            ;   in Loop: Header=BB259_11 Depth=1
	s_or_b32 exec_lo, exec_lo, s7
.LBB259_715:                            ;   in Loop: Header=BB259_11 Depth=1
	s_or_b32 exec_lo, exec_lo, s6
	flat_load_dword v2, v[0:1] offset:520
	v_mov_b32_e32 v3, 0
	v_mov_b32_e32 v4, 0
	buffer_store_dword v3, off, s[0:3], s32 offset:912 ; 4-byte Folded Spill
	buffer_store_dword v4, off, s[0:3], s32 offset:916 ; 4-byte Folded Spill
	v_mov_b32_e32 v3, 0
	v_mov_b32_e32 v4, 0
	buffer_store_dword v3, off, s[0:3], s32 offset:904 ; 4-byte Folded Spill
	buffer_store_dword v4, off, s[0:3], s32 offset:908 ; 4-byte Folded Spill
	s_waitcnt vmcnt(0) lgkmcnt(0)
	v_cmp_ne_u16_sdwa s5, v2, v28 src0_sel:BYTE_0 src1_sel:DWORD
	s_and_saveexec_b32 s6, s5
	s_cbranch_execz .LBB259_723
; %bb.716:                              ;   in Loop: Header=BB259_11 Depth=1
	v_bfrev_b32_e32 v3, 1
	v_mov_b32_e32 v4, 0
	buffer_store_dword v3, off, s[0:3], s32 offset:904 ; 4-byte Folded Spill
	buffer_store_dword v4, off, s[0:3], s32 offset:908 ; 4-byte Folded Spill
	v_mov_b32_e32 v3, 0x80
	v_cmp_ne_u16_sdwa s5, v2, v3 src0_sel:BYTE_0 src1_sel:DWORD
	s_and_saveexec_b32 s7, s5
	s_cbranch_execz .LBB259_722
; %bb.717:                              ;   in Loop: Header=BB259_11 Depth=1
	v_mov_b32_e32 v8, 0x7f800001
	v_and_b32_e32 v4, 0x7f, v2
	v_mov_b32_e32 v9, 0
	s_mov_b32 s19, exec_lo
	buffer_store_dword v8, off, s[0:3], s32 offset:904 ; 4-byte Folded Spill
	buffer_store_dword v9, off, s[0:3], s32 offset:908 ; 4-byte Folded Spill
	v_cmpx_ne_u32_e32 0x7f, v4
	s_cbranch_execz .LBB259_721
; %bb.718:                              ;   in Loop: Header=BB259_11 Depth=1
	v_and_b32_e32 v27, 7, v2
	v_lshrrev_b32_e32 v3, 3, v4
	s_mov_b32 s22, exec_lo
	v_cmpx_gt_u32_e32 8, v4
; %bb.719:                              ;   in Loop: Header=BB259_11 Depth=1
	v_ffbh_u32_e32 v3, v27
	v_min_u32_e32 v3, 32, v3
	v_subrev_nc_u32_e32 v4, 28, v3
	v_sub_nc_u32_e32 v3, 29, v3
	v_lshlrev_b64 v[4:5], v4, v[27:28]
	v_and_b32_e32 v27, 7, v4
; %bb.720:                              ;   in Loop: Header=BB259_11 Depth=1
	s_or_b32 exec_lo, exec_lo, s22
	v_lshlrev_b32_e32 v4, 24, v2
	v_lshlrev_b32_e32 v5, 20, v27
	v_lshl_add_u32 v3, v3, 23, 0x3c000000
	v_and_b32_e32 v4, 0x80000000, v4
	v_or3_b32 v27, v5, v4, v3
	buffer_store_dword v27, off, s[0:3], s32 offset:904 ; 4-byte Folded Spill
	buffer_store_dword v28, off, s[0:3], s32 offset:908 ; 4-byte Folded Spill
.LBB259_721:                            ;   in Loop: Header=BB259_11 Depth=1
	s_or_b32 exec_lo, exec_lo, s19
.LBB259_722:                            ;   in Loop: Header=BB259_11 Depth=1
	s_or_b32 exec_lo, exec_lo, s7
.LBB259_723:                            ;   in Loop: Header=BB259_11 Depth=1
	s_or_b32 exec_lo, exec_lo, s6
	v_cmp_ne_u16_sdwa s5, v2, v28 src0_sel:BYTE_1 src1_sel:DWORD
	s_and_saveexec_b32 s6, s5
	s_cbranch_execz .LBB259_731
; %bb.724:                              ;   in Loop: Header=BB259_11 Depth=1
	v_mov_b32_e32 v3, 0x80
	v_mov_b32_e32 v98, v28
	buffer_store_dword v98, off, s[0:3], s32 offset:912 ; 4-byte Folded Spill
	buffer_store_dword v99, off, s[0:3], s32 offset:916 ; 4-byte Folded Spill
	v_cmp_ne_u16_sdwa s5, v2, v3 src0_sel:BYTE_1 src1_sel:DWORD
	s_and_saveexec_b32 s7, s5
	s_cbranch_execz .LBB259_730
; %bb.725:                              ;   in Loop: Header=BB259_11 Depth=1
	v_mov_b32_e32 v3, 0xffff
	v_mov_b32_e32 v116, v28
	s_mov_b32 s19, exec_lo
	buffer_store_dword v116, off, s[0:3], s32 offset:912 ; 4-byte Folded Spill
	buffer_store_dword v117, off, s[0:3], s32 offset:916 ; 4-byte Folded Spill
	v_and_b32_sdwa v3, v3, v2 dst_sel:DWORD dst_unused:UNUSED_PAD src0_sel:DWORD src1_sel:BYTE_1
	v_and_b32_e32 v4, 0x7f, v3
	v_cmpx_ne_u32_e32 0x7f, v4
	s_cbranch_execz .LBB259_729
; %bb.726:                              ;   in Loop: Header=BB259_11 Depth=1
	v_and_b32_e32 v27, 7, v3
	v_lshrrev_b32_e32 v3, 3, v4
	s_mov_b32 s22, exec_lo
	v_cmpx_gt_u32_e32 8, v4
; %bb.727:                              ;   in Loop: Header=BB259_11 Depth=1
	v_ffbh_u32_e32 v3, v27
	v_min_u32_e32 v3, 32, v3
	v_subrev_nc_u32_e32 v4, 28, v3
	v_sub_nc_u32_e32 v3, 29, v3
	v_lshlrev_b64 v[4:5], v4, v[27:28]
	v_and_b32_e32 v27, 7, v4
; %bb.728:                              ;   in Loop: Header=BB259_11 Depth=1
	s_or_b32 exec_lo, exec_lo, s22
	v_lshlrev_b32_e32 v4, 16, v2
	v_lshlrev_b32_e32 v5, 20, v27
	v_lshl_add_u32 v3, v3, 23, 0x3c000000
	v_and_b32_e32 v4, 0x80000000, v4
	v_or3_b32 v4, v5, v4, v3
	v_mov_b32_e32 v3, v28
	buffer_store_dword v3, off, s[0:3], s32 offset:912 ; 4-byte Folded Spill
	buffer_store_dword v4, off, s[0:3], s32 offset:916 ; 4-byte Folded Spill
.LBB259_729:                            ;   in Loop: Header=BB259_11 Depth=1
	s_or_b32 exec_lo, exec_lo, s19
.LBB259_730:                            ;   in Loop: Header=BB259_11 Depth=1
	s_or_b32 exec_lo, exec_lo, s7
.LBB259_731:                            ;   in Loop: Header=BB259_11 Depth=1
	s_or_b32 exec_lo, exec_lo, s6
	v_mov_b32_e32 v4, 0
	v_mov_b32_e32 v5, 0
	v_and_b32_sdwa v3, v2, v6 dst_sel:DWORD dst_unused:UNUSED_PAD src0_sel:WORD_1 src1_sel:DWORD
	s_mov_b32 s6, exec_lo
	buffer_store_dword v4, off, s[0:3], s32 offset:920 ; 4-byte Folded Spill
	buffer_store_dword v5, off, s[0:3], s32 offset:924 ; 4-byte Folded Spill
	v_mov_b32_e32 v4, 0
	v_mov_b32_e32 v5, 0
	buffer_store_dword v4, off, s[0:3], s32 offset:928 ; 4-byte Folded Spill
	buffer_store_dword v5, off, s[0:3], s32 offset:932 ; 4-byte Folded Spill
	v_cmpx_ne_u16_e32 0, v3
	s_cbranch_execz .LBB259_739
; %bb.732:                              ;   in Loop: Header=BB259_11 Depth=1
	v_cmp_ne_u16_e64 s5, 0x80, v3
	v_bfrev_b32_e32 v3, 1
	v_mov_b32_e32 v4, 0
	buffer_store_dword v3, off, s[0:3], s32 offset:928 ; 4-byte Folded Spill
	buffer_store_dword v4, off, s[0:3], s32 offset:932 ; 4-byte Folded Spill
	s_and_saveexec_b32 s7, s5
	s_cbranch_execz .LBB259_738
; %bb.733:                              ;   in Loop: Header=BB259_11 Depth=1
	v_mov_b32_e32 v8, 0x7f800001
	v_bfe_u32 v4, v2, 16, 7
	v_mov_b32_e32 v9, 0
	s_mov_b32 s19, exec_lo
	buffer_store_dword v8, off, s[0:3], s32 offset:928 ; 4-byte Folded Spill
	buffer_store_dword v9, off, s[0:3], s32 offset:932 ; 4-byte Folded Spill
	v_cmpx_ne_u32_e32 0x7f, v4
	s_cbranch_execz .LBB259_737
; %bb.734:                              ;   in Loop: Header=BB259_11 Depth=1
	v_mov_b32_e32 v3, 7
	s_mov_b32 s22, exec_lo
	v_and_b32_sdwa v27, v2, v3 dst_sel:DWORD dst_unused:UNUSED_PAD src0_sel:WORD_1 src1_sel:DWORD
	v_lshrrev_b32_e32 v3, 3, v4
	v_cmpx_gt_u32_e32 8, v4
; %bb.735:                              ;   in Loop: Header=BB259_11 Depth=1
	v_ffbh_u32_e32 v3, v27
	v_min_u32_e32 v3, 32, v3
	v_subrev_nc_u32_e32 v4, 28, v3
	v_sub_nc_u32_e32 v3, 29, v3
	v_lshlrev_b64 v[4:5], v4, v[27:28]
	v_and_b32_e32 v27, 7, v4
; %bb.736:                              ;   in Loop: Header=BB259_11 Depth=1
	s_or_b32 exec_lo, exec_lo, s22
	v_mov_b32_e32 v4, 24
	v_lshlrev_b32_e32 v5, 20, v27
	v_lshl_add_u32 v3, v3, 23, 0x3c000000
	v_lshlrev_b32_sdwa v4, v4, v2 dst_sel:DWORD dst_unused:UNUSED_PAD src0_sel:DWORD src1_sel:WORD_1
	v_and_b32_e32 v4, 0x80000000, v4
	v_or3_b32 v27, v5, v4, v3
	buffer_store_dword v27, off, s[0:3], s32 offset:928 ; 4-byte Folded Spill
	buffer_store_dword v28, off, s[0:3], s32 offset:932 ; 4-byte Folded Spill
.LBB259_737:                            ;   in Loop: Header=BB259_11 Depth=1
	s_or_b32 exec_lo, exec_lo, s19
.LBB259_738:                            ;   in Loop: Header=BB259_11 Depth=1
	s_or_b32 exec_lo, exec_lo, s7
.LBB259_739:                            ;   in Loop: Header=BB259_11 Depth=1
	s_or_b32 exec_lo, exec_lo, s6
	s_mov_b32 s6, exec_lo
	v_cmpx_lt_u32_e32 0xffffff, v2
	s_cbranch_execz .LBB259_747
; %bb.740:                              ;   in Loop: Header=BB259_11 Depth=1
	v_mov_b32_e32 v3, 0x80
	v_mov_b32_e32 v98, v28
	buffer_store_dword v98, off, s[0:3], s32 offset:920 ; 4-byte Folded Spill
	buffer_store_dword v99, off, s[0:3], s32 offset:924 ; 4-byte Folded Spill
	v_cmp_ne_u32_sdwa s5, v2, v3 src0_sel:BYTE_3 src1_sel:DWORD
	s_and_saveexec_b32 s7, s5
	s_cbranch_execz .LBB259_746
; %bb.741:                              ;   in Loop: Header=BB259_11 Depth=1
	v_bfe_u32 v4, v2, 24, 7
	v_mov_b32_e32 v116, v28
	s_mov_b32 s19, exec_lo
	buffer_store_dword v116, off, s[0:3], s32 offset:920 ; 4-byte Folded Spill
	buffer_store_dword v117, off, s[0:3], s32 offset:924 ; 4-byte Folded Spill
	v_cmpx_ne_u32_e32 0x7f, v4
	s_cbranch_execz .LBB259_745
; %bb.742:                              ;   in Loop: Header=BB259_11 Depth=1
	v_mov_b32_e32 v3, 7
	s_mov_b32 s22, exec_lo
	v_and_b32_sdwa v27, v2, v3 dst_sel:DWORD dst_unused:UNUSED_PAD src0_sel:BYTE_3 src1_sel:DWORD
	v_lshrrev_b32_e32 v3, 3, v4
	v_cmpx_gt_u32_e32 8, v4
; %bb.743:                              ;   in Loop: Header=BB259_11 Depth=1
	v_ffbh_u32_e32 v3, v27
	v_min_u32_e32 v3, 32, v3
	v_subrev_nc_u32_e32 v4, 28, v3
	v_sub_nc_u32_e32 v3, 29, v3
	v_lshlrev_b64 v[4:5], v4, v[27:28]
	v_and_b32_e32 v27, 7, v4
; %bb.744:                              ;   in Loop: Header=BB259_11 Depth=1
	s_or_b32 exec_lo, exec_lo, s22
	v_mov_b32_e32 v4, 24
	v_lshl_add_u32 v3, v3, 23, 0x3c000000
	v_lshlrev_b32_sdwa v2, v4, v2 dst_sel:DWORD dst_unused:UNUSED_PAD src0_sel:DWORD src1_sel:BYTE_3
	v_lshlrev_b32_e32 v4, 20, v27
	v_and_b32_e32 v2, 0x80000000, v2
	v_or3_b32 v3, v4, v2, v3
	v_mov_b32_e32 v2, v28
	buffer_store_dword v2, off, s[0:3], s32 offset:920 ; 4-byte Folded Spill
	buffer_store_dword v3, off, s[0:3], s32 offset:924 ; 4-byte Folded Spill
.LBB259_745:                            ;   in Loop: Header=BB259_11 Depth=1
	s_or_b32 exec_lo, exec_lo, s19
.LBB259_746:                            ;   in Loop: Header=BB259_11 Depth=1
	s_or_b32 exec_lo, exec_lo, s7
.LBB259_747:                            ;   in Loop: Header=BB259_11 Depth=1
	s_or_b32 exec_lo, exec_lo, s6
	flat_load_dword v2, v[0:1] offset:524
	v_mov_b32_e32 v3, 0
	v_mov_b32_e32 v4, 0
	buffer_store_dword v3, off, s[0:3], s32 offset:944 ; 4-byte Folded Spill
	buffer_store_dword v4, off, s[0:3], s32 offset:948 ; 4-byte Folded Spill
	v_mov_b32_e32 v3, 0
	v_mov_b32_e32 v4, 0
	buffer_store_dword v3, off, s[0:3], s32 offset:936 ; 4-byte Folded Spill
	buffer_store_dword v4, off, s[0:3], s32 offset:940 ; 4-byte Folded Spill
	s_waitcnt vmcnt(0) lgkmcnt(0)
	v_cmp_ne_u16_sdwa s5, v2, v28 src0_sel:BYTE_0 src1_sel:DWORD
	s_and_saveexec_b32 s6, s5
	s_cbranch_execz .LBB259_755
; %bb.748:                              ;   in Loop: Header=BB259_11 Depth=1
	v_bfrev_b32_e32 v3, 1
	v_mov_b32_e32 v4, 0
	buffer_store_dword v3, off, s[0:3], s32 offset:936 ; 4-byte Folded Spill
	buffer_store_dword v4, off, s[0:3], s32 offset:940 ; 4-byte Folded Spill
	v_mov_b32_e32 v3, 0x80
	v_cmp_ne_u16_sdwa s5, v2, v3 src0_sel:BYTE_0 src1_sel:DWORD
	s_and_saveexec_b32 s7, s5
	s_cbranch_execz .LBB259_754
; %bb.749:                              ;   in Loop: Header=BB259_11 Depth=1
	v_mov_b32_e32 v8, 0x7f800001
	v_and_b32_e32 v4, 0x7f, v2
	v_mov_b32_e32 v9, 0
	s_mov_b32 s19, exec_lo
	buffer_store_dword v8, off, s[0:3], s32 offset:936 ; 4-byte Folded Spill
	buffer_store_dword v9, off, s[0:3], s32 offset:940 ; 4-byte Folded Spill
	v_cmpx_ne_u32_e32 0x7f, v4
	s_cbranch_execz .LBB259_753
; %bb.750:                              ;   in Loop: Header=BB259_11 Depth=1
	v_and_b32_e32 v27, 7, v2
	v_lshrrev_b32_e32 v3, 3, v4
	s_mov_b32 s22, exec_lo
	v_cmpx_gt_u32_e32 8, v4
; %bb.751:                              ;   in Loop: Header=BB259_11 Depth=1
	v_ffbh_u32_e32 v3, v27
	v_min_u32_e32 v3, 32, v3
	v_subrev_nc_u32_e32 v4, 28, v3
	v_sub_nc_u32_e32 v3, 29, v3
	v_lshlrev_b64 v[4:5], v4, v[27:28]
	v_and_b32_e32 v27, 7, v4
; %bb.752:                              ;   in Loop: Header=BB259_11 Depth=1
	s_or_b32 exec_lo, exec_lo, s22
	v_lshlrev_b32_e32 v4, 24, v2
	v_lshlrev_b32_e32 v5, 20, v27
	v_lshl_add_u32 v3, v3, 23, 0x3c000000
	v_and_b32_e32 v4, 0x80000000, v4
	v_or3_b32 v27, v5, v4, v3
	buffer_store_dword v27, off, s[0:3], s32 offset:936 ; 4-byte Folded Spill
	buffer_store_dword v28, off, s[0:3], s32 offset:940 ; 4-byte Folded Spill
.LBB259_753:                            ;   in Loop: Header=BB259_11 Depth=1
	s_or_b32 exec_lo, exec_lo, s19
.LBB259_754:                            ;   in Loop: Header=BB259_11 Depth=1
	s_or_b32 exec_lo, exec_lo, s7
.LBB259_755:                            ;   in Loop: Header=BB259_11 Depth=1
	s_or_b32 exec_lo, exec_lo, s6
	v_cmp_ne_u16_sdwa s5, v2, v28 src0_sel:BYTE_1 src1_sel:DWORD
	s_and_saveexec_b32 s6, s5
	s_cbranch_execz .LBB259_763
; %bb.756:                              ;   in Loop: Header=BB259_11 Depth=1
	v_mov_b32_e32 v3, 0x80
	v_mov_b32_e32 v98, v28
	buffer_store_dword v98, off, s[0:3], s32 offset:944 ; 4-byte Folded Spill
	buffer_store_dword v99, off, s[0:3], s32 offset:948 ; 4-byte Folded Spill
	v_cmp_ne_u16_sdwa s5, v2, v3 src0_sel:BYTE_1 src1_sel:DWORD
	s_and_saveexec_b32 s7, s5
	s_cbranch_execz .LBB259_762
; %bb.757:                              ;   in Loop: Header=BB259_11 Depth=1
	v_mov_b32_e32 v3, 0xffff
	v_mov_b32_e32 v116, v28
	s_mov_b32 s19, exec_lo
	buffer_store_dword v116, off, s[0:3], s32 offset:944 ; 4-byte Folded Spill
	buffer_store_dword v117, off, s[0:3], s32 offset:948 ; 4-byte Folded Spill
	v_and_b32_sdwa v3, v3, v2 dst_sel:DWORD dst_unused:UNUSED_PAD src0_sel:DWORD src1_sel:BYTE_1
	v_and_b32_e32 v4, 0x7f, v3
	v_cmpx_ne_u32_e32 0x7f, v4
	s_cbranch_execz .LBB259_761
; %bb.758:                              ;   in Loop: Header=BB259_11 Depth=1
	v_and_b32_e32 v27, 7, v3
	v_lshrrev_b32_e32 v3, 3, v4
	s_mov_b32 s22, exec_lo
	v_cmpx_gt_u32_e32 8, v4
; %bb.759:                              ;   in Loop: Header=BB259_11 Depth=1
	v_ffbh_u32_e32 v3, v27
	v_min_u32_e32 v3, 32, v3
	v_subrev_nc_u32_e32 v4, 28, v3
	v_sub_nc_u32_e32 v3, 29, v3
	v_lshlrev_b64 v[4:5], v4, v[27:28]
	v_and_b32_e32 v27, 7, v4
; %bb.760:                              ;   in Loop: Header=BB259_11 Depth=1
	s_or_b32 exec_lo, exec_lo, s22
	v_lshlrev_b32_e32 v4, 16, v2
	v_lshlrev_b32_e32 v5, 20, v27
	v_lshl_add_u32 v3, v3, 23, 0x3c000000
	v_and_b32_e32 v4, 0x80000000, v4
	v_or3_b32 v4, v5, v4, v3
	v_mov_b32_e32 v3, v28
	buffer_store_dword v3, off, s[0:3], s32 offset:944 ; 4-byte Folded Spill
	buffer_store_dword v4, off, s[0:3], s32 offset:948 ; 4-byte Folded Spill
.LBB259_761:                            ;   in Loop: Header=BB259_11 Depth=1
	s_or_b32 exec_lo, exec_lo, s19
.LBB259_762:                            ;   in Loop: Header=BB259_11 Depth=1
	s_or_b32 exec_lo, exec_lo, s7
.LBB259_763:                            ;   in Loop: Header=BB259_11 Depth=1
	s_or_b32 exec_lo, exec_lo, s6
	v_mov_b32_e32 v4, 0
	v_mov_b32_e32 v5, 0
	v_and_b32_sdwa v3, v2, v6 dst_sel:DWORD dst_unused:UNUSED_PAD src0_sel:WORD_1 src1_sel:DWORD
	s_mov_b32 s6, exec_lo
	buffer_store_dword v4, off, s[0:3], s32 offset:952 ; 4-byte Folded Spill
	buffer_store_dword v5, off, s[0:3], s32 offset:956 ; 4-byte Folded Spill
	v_mov_b32_e32 v4, 0
	v_mov_b32_e32 v5, 0
	buffer_store_dword v4, off, s[0:3], s32 offset:960 ; 4-byte Folded Spill
	buffer_store_dword v5, off, s[0:3], s32 offset:964 ; 4-byte Folded Spill
	v_cmpx_ne_u16_e32 0, v3
	s_cbranch_execz .LBB259_771
; %bb.764:                              ;   in Loop: Header=BB259_11 Depth=1
	v_cmp_ne_u16_e64 s5, 0x80, v3
	v_bfrev_b32_e32 v3, 1
	v_mov_b32_e32 v4, 0
	buffer_store_dword v3, off, s[0:3], s32 offset:960 ; 4-byte Folded Spill
	buffer_store_dword v4, off, s[0:3], s32 offset:964 ; 4-byte Folded Spill
	s_and_saveexec_b32 s7, s5
	s_cbranch_execz .LBB259_770
; %bb.765:                              ;   in Loop: Header=BB259_11 Depth=1
	v_mov_b32_e32 v8, 0x7f800001
	v_bfe_u32 v4, v2, 16, 7
	v_mov_b32_e32 v9, 0
	s_mov_b32 s19, exec_lo
	buffer_store_dword v8, off, s[0:3], s32 offset:960 ; 4-byte Folded Spill
	buffer_store_dword v9, off, s[0:3], s32 offset:964 ; 4-byte Folded Spill
	v_cmpx_ne_u32_e32 0x7f, v4
	s_cbranch_execz .LBB259_769
; %bb.766:                              ;   in Loop: Header=BB259_11 Depth=1
	v_mov_b32_e32 v3, 7
	s_mov_b32 s22, exec_lo
	v_and_b32_sdwa v27, v2, v3 dst_sel:DWORD dst_unused:UNUSED_PAD src0_sel:WORD_1 src1_sel:DWORD
	v_lshrrev_b32_e32 v3, 3, v4
	v_cmpx_gt_u32_e32 8, v4
; %bb.767:                              ;   in Loop: Header=BB259_11 Depth=1
	v_ffbh_u32_e32 v3, v27
	v_min_u32_e32 v3, 32, v3
	v_subrev_nc_u32_e32 v4, 28, v3
	v_sub_nc_u32_e32 v3, 29, v3
	v_lshlrev_b64 v[4:5], v4, v[27:28]
	v_and_b32_e32 v27, 7, v4
; %bb.768:                              ;   in Loop: Header=BB259_11 Depth=1
	s_or_b32 exec_lo, exec_lo, s22
	v_mov_b32_e32 v4, 24
	v_lshlrev_b32_e32 v5, 20, v27
	v_lshl_add_u32 v3, v3, 23, 0x3c000000
	v_lshlrev_b32_sdwa v4, v4, v2 dst_sel:DWORD dst_unused:UNUSED_PAD src0_sel:DWORD src1_sel:WORD_1
	v_and_b32_e32 v4, 0x80000000, v4
	v_or3_b32 v27, v5, v4, v3
	buffer_store_dword v27, off, s[0:3], s32 offset:960 ; 4-byte Folded Spill
	buffer_store_dword v28, off, s[0:3], s32 offset:964 ; 4-byte Folded Spill
.LBB259_769:                            ;   in Loop: Header=BB259_11 Depth=1
	s_or_b32 exec_lo, exec_lo, s19
.LBB259_770:                            ;   in Loop: Header=BB259_11 Depth=1
	s_or_b32 exec_lo, exec_lo, s7
.LBB259_771:                            ;   in Loop: Header=BB259_11 Depth=1
	s_or_b32 exec_lo, exec_lo, s6
	s_mov_b32 s6, exec_lo
	v_cmpx_lt_u32_e32 0xffffff, v2
	s_cbranch_execz .LBB259_779
; %bb.772:                              ;   in Loop: Header=BB259_11 Depth=1
	v_mov_b32_e32 v3, 0x80
	v_mov_b32_e32 v98, v28
	buffer_store_dword v98, off, s[0:3], s32 offset:952 ; 4-byte Folded Spill
	buffer_store_dword v99, off, s[0:3], s32 offset:956 ; 4-byte Folded Spill
	v_cmp_ne_u32_sdwa s5, v2, v3 src0_sel:BYTE_3 src1_sel:DWORD
	s_and_saveexec_b32 s7, s5
	s_cbranch_execz .LBB259_778
; %bb.773:                              ;   in Loop: Header=BB259_11 Depth=1
	v_bfe_u32 v4, v2, 24, 7
	v_mov_b32_e32 v116, v28
	s_mov_b32 s19, exec_lo
	buffer_store_dword v116, off, s[0:3], s32 offset:952 ; 4-byte Folded Spill
	buffer_store_dword v117, off, s[0:3], s32 offset:956 ; 4-byte Folded Spill
	v_cmpx_ne_u32_e32 0x7f, v4
	s_cbranch_execz .LBB259_777
; %bb.774:                              ;   in Loop: Header=BB259_11 Depth=1
	v_mov_b32_e32 v3, 7
	s_mov_b32 s22, exec_lo
	v_and_b32_sdwa v27, v2, v3 dst_sel:DWORD dst_unused:UNUSED_PAD src0_sel:BYTE_3 src1_sel:DWORD
	v_lshrrev_b32_e32 v3, 3, v4
	v_cmpx_gt_u32_e32 8, v4
; %bb.775:                              ;   in Loop: Header=BB259_11 Depth=1
	v_ffbh_u32_e32 v3, v27
	v_min_u32_e32 v3, 32, v3
	v_subrev_nc_u32_e32 v4, 28, v3
	v_sub_nc_u32_e32 v3, 29, v3
	v_lshlrev_b64 v[4:5], v4, v[27:28]
	v_and_b32_e32 v27, 7, v4
; %bb.776:                              ;   in Loop: Header=BB259_11 Depth=1
	s_or_b32 exec_lo, exec_lo, s22
	v_mov_b32_e32 v4, 24
	v_lshl_add_u32 v3, v3, 23, 0x3c000000
	v_lshlrev_b32_sdwa v2, v4, v2 dst_sel:DWORD dst_unused:UNUSED_PAD src0_sel:DWORD src1_sel:BYTE_3
	v_lshlrev_b32_e32 v4, 20, v27
	v_and_b32_e32 v2, 0x80000000, v2
	v_or3_b32 v3, v4, v2, v3
	v_mov_b32_e32 v2, v28
	buffer_store_dword v2, off, s[0:3], s32 offset:952 ; 4-byte Folded Spill
	buffer_store_dword v3, off, s[0:3], s32 offset:956 ; 4-byte Folded Spill
.LBB259_777:                            ;   in Loop: Header=BB259_11 Depth=1
	s_or_b32 exec_lo, exec_lo, s19
.LBB259_778:                            ;   in Loop: Header=BB259_11 Depth=1
	s_or_b32 exec_lo, exec_lo, s7
.LBB259_779:                            ;   in Loop: Header=BB259_11 Depth=1
	s_or_b32 exec_lo, exec_lo, s6
	flat_load_dword v2, v[0:1] offset:1024
	v_mov_b32_e32 v3, 0
	v_mov_b32_e32 v4, 0
	buffer_store_dword v3, off, s[0:3], s32 offset:976 ; 4-byte Folded Spill
	buffer_store_dword v4, off, s[0:3], s32 offset:980 ; 4-byte Folded Spill
	v_mov_b32_e32 v3, 0
	v_mov_b32_e32 v4, 0
	buffer_store_dword v3, off, s[0:3], s32 offset:968 ; 4-byte Folded Spill
	buffer_store_dword v4, off, s[0:3], s32 offset:972 ; 4-byte Folded Spill
	s_waitcnt vmcnt(0) lgkmcnt(0)
	v_cmp_ne_u16_sdwa s5, v2, v28 src0_sel:BYTE_0 src1_sel:DWORD
	s_and_saveexec_b32 s6, s5
	s_cbranch_execz .LBB259_787
; %bb.780:                              ;   in Loop: Header=BB259_11 Depth=1
	v_bfrev_b32_e32 v3, 1
	v_mov_b32_e32 v4, 0
	buffer_store_dword v3, off, s[0:3], s32 offset:968 ; 4-byte Folded Spill
	buffer_store_dword v4, off, s[0:3], s32 offset:972 ; 4-byte Folded Spill
	v_mov_b32_e32 v3, 0x80
	v_cmp_ne_u16_sdwa s5, v2, v3 src0_sel:BYTE_0 src1_sel:DWORD
	s_and_saveexec_b32 s7, s5
	s_cbranch_execz .LBB259_786
; %bb.781:                              ;   in Loop: Header=BB259_11 Depth=1
	v_mov_b32_e32 v8, 0x7f800001
	v_and_b32_e32 v4, 0x7f, v2
	v_mov_b32_e32 v9, 0
	s_mov_b32 s19, exec_lo
	buffer_store_dword v8, off, s[0:3], s32 offset:968 ; 4-byte Folded Spill
	buffer_store_dword v9, off, s[0:3], s32 offset:972 ; 4-byte Folded Spill
	v_cmpx_ne_u32_e32 0x7f, v4
	s_cbranch_execz .LBB259_785
; %bb.782:                              ;   in Loop: Header=BB259_11 Depth=1
	v_and_b32_e32 v27, 7, v2
	v_lshrrev_b32_e32 v3, 3, v4
	s_mov_b32 s22, exec_lo
	v_cmpx_gt_u32_e32 8, v4
; %bb.783:                              ;   in Loop: Header=BB259_11 Depth=1
	v_ffbh_u32_e32 v3, v27
	v_min_u32_e32 v3, 32, v3
	v_subrev_nc_u32_e32 v4, 28, v3
	v_sub_nc_u32_e32 v3, 29, v3
	v_lshlrev_b64 v[4:5], v4, v[27:28]
	v_and_b32_e32 v27, 7, v4
; %bb.784:                              ;   in Loop: Header=BB259_11 Depth=1
	s_or_b32 exec_lo, exec_lo, s22
	v_lshlrev_b32_e32 v4, 24, v2
	v_lshlrev_b32_e32 v5, 20, v27
	v_lshl_add_u32 v3, v3, 23, 0x3c000000
	v_and_b32_e32 v4, 0x80000000, v4
	v_or3_b32 v27, v5, v4, v3
	buffer_store_dword v27, off, s[0:3], s32 offset:968 ; 4-byte Folded Spill
	buffer_store_dword v28, off, s[0:3], s32 offset:972 ; 4-byte Folded Spill
.LBB259_785:                            ;   in Loop: Header=BB259_11 Depth=1
	s_or_b32 exec_lo, exec_lo, s19
.LBB259_786:                            ;   in Loop: Header=BB259_11 Depth=1
	s_or_b32 exec_lo, exec_lo, s7
.LBB259_787:                            ;   in Loop: Header=BB259_11 Depth=1
	s_or_b32 exec_lo, exec_lo, s6
	v_cmp_ne_u16_sdwa s5, v2, v28 src0_sel:BYTE_1 src1_sel:DWORD
	s_and_saveexec_b32 s6, s5
	s_cbranch_execz .LBB259_795
; %bb.788:                              ;   in Loop: Header=BB259_11 Depth=1
	v_mov_b32_e32 v3, 0x80
	v_mov_b32_e32 v98, v28
	buffer_store_dword v98, off, s[0:3], s32 offset:976 ; 4-byte Folded Spill
	buffer_store_dword v99, off, s[0:3], s32 offset:980 ; 4-byte Folded Spill
	v_cmp_ne_u16_sdwa s5, v2, v3 src0_sel:BYTE_1 src1_sel:DWORD
	s_and_saveexec_b32 s7, s5
	s_cbranch_execz .LBB259_794
; %bb.789:                              ;   in Loop: Header=BB259_11 Depth=1
	v_mov_b32_e32 v3, 0xffff
	v_mov_b32_e32 v116, v28
	s_mov_b32 s19, exec_lo
	buffer_store_dword v116, off, s[0:3], s32 offset:976 ; 4-byte Folded Spill
	buffer_store_dword v117, off, s[0:3], s32 offset:980 ; 4-byte Folded Spill
	v_and_b32_sdwa v3, v3, v2 dst_sel:DWORD dst_unused:UNUSED_PAD src0_sel:DWORD src1_sel:BYTE_1
	v_and_b32_e32 v4, 0x7f, v3
	v_cmpx_ne_u32_e32 0x7f, v4
	s_cbranch_execz .LBB259_793
; %bb.790:                              ;   in Loop: Header=BB259_11 Depth=1
	v_and_b32_e32 v27, 7, v3
	v_lshrrev_b32_e32 v3, 3, v4
	s_mov_b32 s22, exec_lo
	v_cmpx_gt_u32_e32 8, v4
; %bb.791:                              ;   in Loop: Header=BB259_11 Depth=1
	v_ffbh_u32_e32 v3, v27
	v_min_u32_e32 v3, 32, v3
	v_subrev_nc_u32_e32 v4, 28, v3
	v_sub_nc_u32_e32 v3, 29, v3
	v_lshlrev_b64 v[4:5], v4, v[27:28]
	v_and_b32_e32 v27, 7, v4
; %bb.792:                              ;   in Loop: Header=BB259_11 Depth=1
	s_or_b32 exec_lo, exec_lo, s22
	v_lshlrev_b32_e32 v4, 16, v2
	v_lshlrev_b32_e32 v5, 20, v27
	v_lshl_add_u32 v3, v3, 23, 0x3c000000
	v_and_b32_e32 v4, 0x80000000, v4
	v_or3_b32 v4, v5, v4, v3
	v_mov_b32_e32 v3, v28
	buffer_store_dword v3, off, s[0:3], s32 offset:976 ; 4-byte Folded Spill
	buffer_store_dword v4, off, s[0:3], s32 offset:980 ; 4-byte Folded Spill
.LBB259_793:                            ;   in Loop: Header=BB259_11 Depth=1
	s_or_b32 exec_lo, exec_lo, s19
.LBB259_794:                            ;   in Loop: Header=BB259_11 Depth=1
	s_or_b32 exec_lo, exec_lo, s7
.LBB259_795:                            ;   in Loop: Header=BB259_11 Depth=1
	s_or_b32 exec_lo, exec_lo, s6
	v_mov_b32_e32 v4, 0
	v_mov_b32_e32 v5, 0
	v_and_b32_sdwa v3, v2, v6 dst_sel:DWORD dst_unused:UNUSED_PAD src0_sel:WORD_1 src1_sel:DWORD
	s_mov_b32 s6, exec_lo
	buffer_store_dword v4, off, s[0:3], s32 offset:984 ; 4-byte Folded Spill
	buffer_store_dword v5, off, s[0:3], s32 offset:988 ; 4-byte Folded Spill
	v_mov_b32_e32 v4, 0
	v_mov_b32_e32 v5, 0
	buffer_store_dword v4, off, s[0:3], s32 offset:992 ; 4-byte Folded Spill
	buffer_store_dword v5, off, s[0:3], s32 offset:996 ; 4-byte Folded Spill
	v_cmpx_ne_u16_e32 0, v3
	s_cbranch_execz .LBB259_803
; %bb.796:                              ;   in Loop: Header=BB259_11 Depth=1
	v_cmp_ne_u16_e64 s5, 0x80, v3
	v_bfrev_b32_e32 v3, 1
	v_mov_b32_e32 v4, 0
	buffer_store_dword v3, off, s[0:3], s32 offset:992 ; 4-byte Folded Spill
	buffer_store_dword v4, off, s[0:3], s32 offset:996 ; 4-byte Folded Spill
	s_and_saveexec_b32 s7, s5
	s_cbranch_execz .LBB259_802
; %bb.797:                              ;   in Loop: Header=BB259_11 Depth=1
	v_mov_b32_e32 v8, 0x7f800001
	v_bfe_u32 v4, v2, 16, 7
	v_mov_b32_e32 v9, 0
	s_mov_b32 s19, exec_lo
	buffer_store_dword v8, off, s[0:3], s32 offset:992 ; 4-byte Folded Spill
	buffer_store_dword v9, off, s[0:3], s32 offset:996 ; 4-byte Folded Spill
	v_cmpx_ne_u32_e32 0x7f, v4
	s_cbranch_execz .LBB259_801
; %bb.798:                              ;   in Loop: Header=BB259_11 Depth=1
	v_mov_b32_e32 v3, 7
	s_mov_b32 s22, exec_lo
	v_and_b32_sdwa v27, v2, v3 dst_sel:DWORD dst_unused:UNUSED_PAD src0_sel:WORD_1 src1_sel:DWORD
	v_lshrrev_b32_e32 v3, 3, v4
	v_cmpx_gt_u32_e32 8, v4
; %bb.799:                              ;   in Loop: Header=BB259_11 Depth=1
	v_ffbh_u32_e32 v3, v27
	v_min_u32_e32 v3, 32, v3
	v_subrev_nc_u32_e32 v4, 28, v3
	v_sub_nc_u32_e32 v3, 29, v3
	v_lshlrev_b64 v[4:5], v4, v[27:28]
	v_and_b32_e32 v27, 7, v4
; %bb.800:                              ;   in Loop: Header=BB259_11 Depth=1
	s_or_b32 exec_lo, exec_lo, s22
	v_mov_b32_e32 v4, 24
	v_lshlrev_b32_e32 v5, 20, v27
	v_lshl_add_u32 v3, v3, 23, 0x3c000000
	v_lshlrev_b32_sdwa v4, v4, v2 dst_sel:DWORD dst_unused:UNUSED_PAD src0_sel:DWORD src1_sel:WORD_1
	v_and_b32_e32 v4, 0x80000000, v4
	v_or3_b32 v27, v5, v4, v3
	buffer_store_dword v27, off, s[0:3], s32 offset:992 ; 4-byte Folded Spill
	buffer_store_dword v28, off, s[0:3], s32 offset:996 ; 4-byte Folded Spill
.LBB259_801:                            ;   in Loop: Header=BB259_11 Depth=1
	s_or_b32 exec_lo, exec_lo, s19
.LBB259_802:                            ;   in Loop: Header=BB259_11 Depth=1
	s_or_b32 exec_lo, exec_lo, s7
.LBB259_803:                            ;   in Loop: Header=BB259_11 Depth=1
	s_or_b32 exec_lo, exec_lo, s6
	s_mov_b32 s6, exec_lo
	v_cmpx_lt_u32_e32 0xffffff, v2
	s_cbranch_execz .LBB259_811
; %bb.804:                              ;   in Loop: Header=BB259_11 Depth=1
	v_mov_b32_e32 v3, 0x80
	v_mov_b32_e32 v98, v28
	buffer_store_dword v98, off, s[0:3], s32 offset:984 ; 4-byte Folded Spill
	buffer_store_dword v99, off, s[0:3], s32 offset:988 ; 4-byte Folded Spill
	v_cmp_ne_u32_sdwa s5, v2, v3 src0_sel:BYTE_3 src1_sel:DWORD
	s_and_saveexec_b32 s7, s5
	s_cbranch_execz .LBB259_810
; %bb.805:                              ;   in Loop: Header=BB259_11 Depth=1
	v_bfe_u32 v4, v2, 24, 7
	v_mov_b32_e32 v116, v28
	s_mov_b32 s19, exec_lo
	buffer_store_dword v116, off, s[0:3], s32 offset:984 ; 4-byte Folded Spill
	buffer_store_dword v117, off, s[0:3], s32 offset:988 ; 4-byte Folded Spill
	v_cmpx_ne_u32_e32 0x7f, v4
	s_cbranch_execz .LBB259_809
; %bb.806:                              ;   in Loop: Header=BB259_11 Depth=1
	v_mov_b32_e32 v3, 7
	s_mov_b32 s22, exec_lo
	v_and_b32_sdwa v27, v2, v3 dst_sel:DWORD dst_unused:UNUSED_PAD src0_sel:BYTE_3 src1_sel:DWORD
	v_lshrrev_b32_e32 v3, 3, v4
	v_cmpx_gt_u32_e32 8, v4
; %bb.807:                              ;   in Loop: Header=BB259_11 Depth=1
	v_ffbh_u32_e32 v3, v27
	v_min_u32_e32 v3, 32, v3
	v_subrev_nc_u32_e32 v4, 28, v3
	v_sub_nc_u32_e32 v3, 29, v3
	v_lshlrev_b64 v[4:5], v4, v[27:28]
	v_and_b32_e32 v27, 7, v4
; %bb.808:                              ;   in Loop: Header=BB259_11 Depth=1
	s_or_b32 exec_lo, exec_lo, s22
	v_mov_b32_e32 v4, 24
	v_lshl_add_u32 v3, v3, 23, 0x3c000000
	v_lshlrev_b32_sdwa v2, v4, v2 dst_sel:DWORD dst_unused:UNUSED_PAD src0_sel:DWORD src1_sel:BYTE_3
	v_lshlrev_b32_e32 v4, 20, v27
	v_and_b32_e32 v2, 0x80000000, v2
	v_or3_b32 v3, v4, v2, v3
	v_mov_b32_e32 v2, v28
	buffer_store_dword v2, off, s[0:3], s32 offset:984 ; 4-byte Folded Spill
	buffer_store_dword v3, off, s[0:3], s32 offset:988 ; 4-byte Folded Spill
.LBB259_809:                            ;   in Loop: Header=BB259_11 Depth=1
	s_or_b32 exec_lo, exec_lo, s19
.LBB259_810:                            ;   in Loop: Header=BB259_11 Depth=1
	s_or_b32 exec_lo, exec_lo, s7
.LBB259_811:                            ;   in Loop: Header=BB259_11 Depth=1
	s_or_b32 exec_lo, exec_lo, s6
	flat_load_dword v2, v[0:1] offset:1028
	v_mov_b32_e32 v3, 0
	v_mov_b32_e32 v4, 0
	buffer_store_dword v3, off, s[0:3], s32 offset:1008 ; 4-byte Folded Spill
	buffer_store_dword v4, off, s[0:3], s32 offset:1012 ; 4-byte Folded Spill
	v_mov_b32_e32 v3, 0
	v_mov_b32_e32 v4, 0
	buffer_store_dword v3, off, s[0:3], s32 offset:1000 ; 4-byte Folded Spill
	buffer_store_dword v4, off, s[0:3], s32 offset:1004 ; 4-byte Folded Spill
	s_waitcnt vmcnt(0) lgkmcnt(0)
	v_cmp_ne_u16_sdwa s5, v2, v28 src0_sel:BYTE_0 src1_sel:DWORD
	s_and_saveexec_b32 s6, s5
	s_cbranch_execz .LBB259_819
; %bb.812:                              ;   in Loop: Header=BB259_11 Depth=1
	v_bfrev_b32_e32 v3, 1
	v_mov_b32_e32 v4, 0
	buffer_store_dword v3, off, s[0:3], s32 offset:1000 ; 4-byte Folded Spill
	buffer_store_dword v4, off, s[0:3], s32 offset:1004 ; 4-byte Folded Spill
	v_mov_b32_e32 v3, 0x80
	v_cmp_ne_u16_sdwa s5, v2, v3 src0_sel:BYTE_0 src1_sel:DWORD
	s_and_saveexec_b32 s7, s5
	s_cbranch_execz .LBB259_818
; %bb.813:                              ;   in Loop: Header=BB259_11 Depth=1
	v_mov_b32_e32 v8, 0x7f800001
	v_and_b32_e32 v4, 0x7f, v2
	v_mov_b32_e32 v9, 0
	s_mov_b32 s19, exec_lo
	buffer_store_dword v8, off, s[0:3], s32 offset:1000 ; 4-byte Folded Spill
	buffer_store_dword v9, off, s[0:3], s32 offset:1004 ; 4-byte Folded Spill
	v_cmpx_ne_u32_e32 0x7f, v4
	s_cbranch_execz .LBB259_817
; %bb.814:                              ;   in Loop: Header=BB259_11 Depth=1
	v_and_b32_e32 v27, 7, v2
	v_lshrrev_b32_e32 v3, 3, v4
	s_mov_b32 s22, exec_lo
	v_cmpx_gt_u32_e32 8, v4
; %bb.815:                              ;   in Loop: Header=BB259_11 Depth=1
	v_ffbh_u32_e32 v3, v27
	v_min_u32_e32 v3, 32, v3
	v_subrev_nc_u32_e32 v4, 28, v3
	v_sub_nc_u32_e32 v3, 29, v3
	v_lshlrev_b64 v[4:5], v4, v[27:28]
	v_and_b32_e32 v27, 7, v4
; %bb.816:                              ;   in Loop: Header=BB259_11 Depth=1
	s_or_b32 exec_lo, exec_lo, s22
	v_lshlrev_b32_e32 v4, 24, v2
	v_lshlrev_b32_e32 v5, 20, v27
	v_lshl_add_u32 v3, v3, 23, 0x3c000000
	v_and_b32_e32 v4, 0x80000000, v4
	v_or3_b32 v27, v5, v4, v3
	buffer_store_dword v27, off, s[0:3], s32 offset:1000 ; 4-byte Folded Spill
	buffer_store_dword v28, off, s[0:3], s32 offset:1004 ; 4-byte Folded Spill
.LBB259_817:                            ;   in Loop: Header=BB259_11 Depth=1
	s_or_b32 exec_lo, exec_lo, s19
.LBB259_818:                            ;   in Loop: Header=BB259_11 Depth=1
	s_or_b32 exec_lo, exec_lo, s7
.LBB259_819:                            ;   in Loop: Header=BB259_11 Depth=1
	s_or_b32 exec_lo, exec_lo, s6
	v_cmp_ne_u16_sdwa s5, v2, v28 src0_sel:BYTE_1 src1_sel:DWORD
	s_and_saveexec_b32 s6, s5
	s_cbranch_execz .LBB259_827
; %bb.820:                              ;   in Loop: Header=BB259_11 Depth=1
	v_mov_b32_e32 v3, 0x80
	v_mov_b32_e32 v98, v28
	buffer_store_dword v98, off, s[0:3], s32 offset:1008 ; 4-byte Folded Spill
	buffer_store_dword v99, off, s[0:3], s32 offset:1012 ; 4-byte Folded Spill
	v_cmp_ne_u16_sdwa s5, v2, v3 src0_sel:BYTE_1 src1_sel:DWORD
	s_and_saveexec_b32 s7, s5
	s_cbranch_execz .LBB259_826
; %bb.821:                              ;   in Loop: Header=BB259_11 Depth=1
	v_mov_b32_e32 v3, 0xffff
	v_mov_b32_e32 v116, v28
	s_mov_b32 s19, exec_lo
	buffer_store_dword v116, off, s[0:3], s32 offset:1008 ; 4-byte Folded Spill
	buffer_store_dword v117, off, s[0:3], s32 offset:1012 ; 4-byte Folded Spill
	v_and_b32_sdwa v3, v3, v2 dst_sel:DWORD dst_unused:UNUSED_PAD src0_sel:DWORD src1_sel:BYTE_1
	v_and_b32_e32 v4, 0x7f, v3
	v_cmpx_ne_u32_e32 0x7f, v4
	s_cbranch_execz .LBB259_825
; %bb.822:                              ;   in Loop: Header=BB259_11 Depth=1
	v_and_b32_e32 v27, 7, v3
	v_lshrrev_b32_e32 v3, 3, v4
	s_mov_b32 s22, exec_lo
	v_cmpx_gt_u32_e32 8, v4
; %bb.823:                              ;   in Loop: Header=BB259_11 Depth=1
	v_ffbh_u32_e32 v3, v27
	v_min_u32_e32 v3, 32, v3
	v_subrev_nc_u32_e32 v4, 28, v3
	v_sub_nc_u32_e32 v3, 29, v3
	v_lshlrev_b64 v[4:5], v4, v[27:28]
	v_and_b32_e32 v27, 7, v4
; %bb.824:                              ;   in Loop: Header=BB259_11 Depth=1
	s_or_b32 exec_lo, exec_lo, s22
	v_lshlrev_b32_e32 v4, 16, v2
	v_lshlrev_b32_e32 v5, 20, v27
	v_lshl_add_u32 v3, v3, 23, 0x3c000000
	v_and_b32_e32 v4, 0x80000000, v4
	v_or3_b32 v4, v5, v4, v3
	v_mov_b32_e32 v3, v28
	buffer_store_dword v3, off, s[0:3], s32 offset:1008 ; 4-byte Folded Spill
	buffer_store_dword v4, off, s[0:3], s32 offset:1012 ; 4-byte Folded Spill
.LBB259_825:                            ;   in Loop: Header=BB259_11 Depth=1
	s_or_b32 exec_lo, exec_lo, s19
.LBB259_826:                            ;   in Loop: Header=BB259_11 Depth=1
	s_or_b32 exec_lo, exec_lo, s7
.LBB259_827:                            ;   in Loop: Header=BB259_11 Depth=1
	s_or_b32 exec_lo, exec_lo, s6
	v_mov_b32_e32 v4, 0
	v_mov_b32_e32 v5, 0
	v_and_b32_sdwa v3, v2, v6 dst_sel:DWORD dst_unused:UNUSED_PAD src0_sel:WORD_1 src1_sel:DWORD
	s_mov_b32 s6, exec_lo
	buffer_store_dword v4, off, s[0:3], s32 offset:1016 ; 4-byte Folded Spill
	buffer_store_dword v5, off, s[0:3], s32 offset:1020 ; 4-byte Folded Spill
	v_mov_b32_e32 v4, 0
	v_mov_b32_e32 v5, 0
	buffer_store_dword v4, off, s[0:3], s32 offset:1024 ; 4-byte Folded Spill
	buffer_store_dword v5, off, s[0:3], s32 offset:1028 ; 4-byte Folded Spill
	v_cmpx_ne_u16_e32 0, v3
	s_cbranch_execz .LBB259_835
; %bb.828:                              ;   in Loop: Header=BB259_11 Depth=1
	v_cmp_ne_u16_e64 s5, 0x80, v3
	v_bfrev_b32_e32 v3, 1
	v_mov_b32_e32 v4, 0
	buffer_store_dword v3, off, s[0:3], s32 offset:1024 ; 4-byte Folded Spill
	buffer_store_dword v4, off, s[0:3], s32 offset:1028 ; 4-byte Folded Spill
	s_and_saveexec_b32 s7, s5
	s_cbranch_execz .LBB259_834
; %bb.829:                              ;   in Loop: Header=BB259_11 Depth=1
	v_mov_b32_e32 v8, 0x7f800001
	v_bfe_u32 v4, v2, 16, 7
	v_mov_b32_e32 v9, 0
	s_mov_b32 s19, exec_lo
	buffer_store_dword v8, off, s[0:3], s32 offset:1024 ; 4-byte Folded Spill
	buffer_store_dword v9, off, s[0:3], s32 offset:1028 ; 4-byte Folded Spill
	v_cmpx_ne_u32_e32 0x7f, v4
	s_cbranch_execz .LBB259_833
; %bb.830:                              ;   in Loop: Header=BB259_11 Depth=1
	v_mov_b32_e32 v3, 7
	s_mov_b32 s22, exec_lo
	v_and_b32_sdwa v27, v2, v3 dst_sel:DWORD dst_unused:UNUSED_PAD src0_sel:WORD_1 src1_sel:DWORD
	v_lshrrev_b32_e32 v3, 3, v4
	v_cmpx_gt_u32_e32 8, v4
; %bb.831:                              ;   in Loop: Header=BB259_11 Depth=1
	v_ffbh_u32_e32 v3, v27
	v_min_u32_e32 v3, 32, v3
	v_subrev_nc_u32_e32 v4, 28, v3
	v_sub_nc_u32_e32 v3, 29, v3
	v_lshlrev_b64 v[4:5], v4, v[27:28]
	v_and_b32_e32 v27, 7, v4
; %bb.832:                              ;   in Loop: Header=BB259_11 Depth=1
	s_or_b32 exec_lo, exec_lo, s22
	v_mov_b32_e32 v4, 24
	v_lshlrev_b32_e32 v5, 20, v27
	v_lshl_add_u32 v3, v3, 23, 0x3c000000
	v_lshlrev_b32_sdwa v4, v4, v2 dst_sel:DWORD dst_unused:UNUSED_PAD src0_sel:DWORD src1_sel:WORD_1
	v_and_b32_e32 v4, 0x80000000, v4
	v_or3_b32 v27, v5, v4, v3
	buffer_store_dword v27, off, s[0:3], s32 offset:1024 ; 4-byte Folded Spill
	buffer_store_dword v28, off, s[0:3], s32 offset:1028 ; 4-byte Folded Spill
.LBB259_833:                            ;   in Loop: Header=BB259_11 Depth=1
	s_or_b32 exec_lo, exec_lo, s19
.LBB259_834:                            ;   in Loop: Header=BB259_11 Depth=1
	s_or_b32 exec_lo, exec_lo, s7
.LBB259_835:                            ;   in Loop: Header=BB259_11 Depth=1
	s_or_b32 exec_lo, exec_lo, s6
	s_mov_b32 s6, exec_lo
	v_cmpx_lt_u32_e32 0xffffff, v2
	s_cbranch_execz .LBB259_843
; %bb.836:                              ;   in Loop: Header=BB259_11 Depth=1
	v_mov_b32_e32 v3, 0x80
	v_mov_b32_e32 v98, v28
	buffer_store_dword v98, off, s[0:3], s32 offset:1016 ; 4-byte Folded Spill
	buffer_store_dword v99, off, s[0:3], s32 offset:1020 ; 4-byte Folded Spill
	v_cmp_ne_u32_sdwa s5, v2, v3 src0_sel:BYTE_3 src1_sel:DWORD
	s_and_saveexec_b32 s7, s5
	s_cbranch_execz .LBB259_842
; %bb.837:                              ;   in Loop: Header=BB259_11 Depth=1
	v_bfe_u32 v4, v2, 24, 7
	v_mov_b32_e32 v116, v28
	s_mov_b32 s19, exec_lo
	buffer_store_dword v116, off, s[0:3], s32 offset:1016 ; 4-byte Folded Spill
	buffer_store_dword v117, off, s[0:3], s32 offset:1020 ; 4-byte Folded Spill
	v_cmpx_ne_u32_e32 0x7f, v4
	s_cbranch_execz .LBB259_841
; %bb.838:                              ;   in Loop: Header=BB259_11 Depth=1
	v_mov_b32_e32 v3, 7
	s_mov_b32 s22, exec_lo
	v_and_b32_sdwa v27, v2, v3 dst_sel:DWORD dst_unused:UNUSED_PAD src0_sel:BYTE_3 src1_sel:DWORD
	v_lshrrev_b32_e32 v3, 3, v4
	v_cmpx_gt_u32_e32 8, v4
; %bb.839:                              ;   in Loop: Header=BB259_11 Depth=1
	v_ffbh_u32_e32 v3, v27
	v_min_u32_e32 v3, 32, v3
	v_subrev_nc_u32_e32 v4, 28, v3
	v_sub_nc_u32_e32 v3, 29, v3
	v_lshlrev_b64 v[4:5], v4, v[27:28]
	v_and_b32_e32 v27, 7, v4
; %bb.840:                              ;   in Loop: Header=BB259_11 Depth=1
	s_or_b32 exec_lo, exec_lo, s22
	v_mov_b32_e32 v4, 24
	v_lshl_add_u32 v3, v3, 23, 0x3c000000
	v_lshlrev_b32_sdwa v2, v4, v2 dst_sel:DWORD dst_unused:UNUSED_PAD src0_sel:DWORD src1_sel:BYTE_3
	v_lshlrev_b32_e32 v4, 20, v27
	v_and_b32_e32 v2, 0x80000000, v2
	v_or3_b32 v3, v4, v2, v3
	v_mov_b32_e32 v2, v28
	buffer_store_dword v2, off, s[0:3], s32 offset:1016 ; 4-byte Folded Spill
	buffer_store_dword v3, off, s[0:3], s32 offset:1020 ; 4-byte Folded Spill
.LBB259_841:                            ;   in Loop: Header=BB259_11 Depth=1
	s_or_b32 exec_lo, exec_lo, s19
.LBB259_842:                            ;   in Loop: Header=BB259_11 Depth=1
	s_or_b32 exec_lo, exec_lo, s7
.LBB259_843:                            ;   in Loop: Header=BB259_11 Depth=1
	s_or_b32 exec_lo, exec_lo, s6
	flat_load_dword v2, v[0:1] offset:1032
	v_mov_b32_e32 v3, 0
	v_mov_b32_e32 v4, 0
	buffer_store_dword v3, off, s[0:3], s32 offset:1040 ; 4-byte Folded Spill
	buffer_store_dword v4, off, s[0:3], s32 offset:1044 ; 4-byte Folded Spill
	v_mov_b32_e32 v3, 0
	v_mov_b32_e32 v4, 0
	buffer_store_dword v3, off, s[0:3], s32 offset:1032 ; 4-byte Folded Spill
	buffer_store_dword v4, off, s[0:3], s32 offset:1036 ; 4-byte Folded Spill
	s_waitcnt vmcnt(0) lgkmcnt(0)
	v_cmp_ne_u16_sdwa s5, v2, v28 src0_sel:BYTE_0 src1_sel:DWORD
	s_and_saveexec_b32 s6, s5
	s_cbranch_execz .LBB259_851
; %bb.844:                              ;   in Loop: Header=BB259_11 Depth=1
	v_bfrev_b32_e32 v3, 1
	v_mov_b32_e32 v4, 0
	buffer_store_dword v3, off, s[0:3], s32 offset:1032 ; 4-byte Folded Spill
	buffer_store_dword v4, off, s[0:3], s32 offset:1036 ; 4-byte Folded Spill
	v_mov_b32_e32 v3, 0x80
	v_cmp_ne_u16_sdwa s5, v2, v3 src0_sel:BYTE_0 src1_sel:DWORD
	s_and_saveexec_b32 s7, s5
	s_cbranch_execz .LBB259_850
; %bb.845:                              ;   in Loop: Header=BB259_11 Depth=1
	v_mov_b32_e32 v8, 0x7f800001
	v_and_b32_e32 v4, 0x7f, v2
	v_mov_b32_e32 v9, 0
	s_mov_b32 s19, exec_lo
	buffer_store_dword v8, off, s[0:3], s32 offset:1032 ; 4-byte Folded Spill
	buffer_store_dword v9, off, s[0:3], s32 offset:1036 ; 4-byte Folded Spill
	v_cmpx_ne_u32_e32 0x7f, v4
	s_cbranch_execz .LBB259_849
; %bb.846:                              ;   in Loop: Header=BB259_11 Depth=1
	v_and_b32_e32 v27, 7, v2
	v_lshrrev_b32_e32 v3, 3, v4
	s_mov_b32 s22, exec_lo
	v_cmpx_gt_u32_e32 8, v4
; %bb.847:                              ;   in Loop: Header=BB259_11 Depth=1
	v_ffbh_u32_e32 v3, v27
	v_min_u32_e32 v3, 32, v3
	v_subrev_nc_u32_e32 v4, 28, v3
	v_sub_nc_u32_e32 v3, 29, v3
	v_lshlrev_b64 v[4:5], v4, v[27:28]
	v_and_b32_e32 v27, 7, v4
; %bb.848:                              ;   in Loop: Header=BB259_11 Depth=1
	s_or_b32 exec_lo, exec_lo, s22
	v_lshlrev_b32_e32 v4, 24, v2
	v_lshlrev_b32_e32 v5, 20, v27
	v_lshl_add_u32 v3, v3, 23, 0x3c000000
	v_and_b32_e32 v4, 0x80000000, v4
	v_or3_b32 v27, v5, v4, v3
	buffer_store_dword v27, off, s[0:3], s32 offset:1032 ; 4-byte Folded Spill
	buffer_store_dword v28, off, s[0:3], s32 offset:1036 ; 4-byte Folded Spill
.LBB259_849:                            ;   in Loop: Header=BB259_11 Depth=1
	s_or_b32 exec_lo, exec_lo, s19
.LBB259_850:                            ;   in Loop: Header=BB259_11 Depth=1
	s_or_b32 exec_lo, exec_lo, s7
.LBB259_851:                            ;   in Loop: Header=BB259_11 Depth=1
	s_or_b32 exec_lo, exec_lo, s6
	v_cmp_ne_u16_sdwa s5, v2, v28 src0_sel:BYTE_1 src1_sel:DWORD
	s_and_saveexec_b32 s6, s5
	s_cbranch_execz .LBB259_859
; %bb.852:                              ;   in Loop: Header=BB259_11 Depth=1
	v_mov_b32_e32 v3, 0x80
	v_mov_b32_e32 v98, v28
	buffer_store_dword v98, off, s[0:3], s32 offset:1040 ; 4-byte Folded Spill
	buffer_store_dword v99, off, s[0:3], s32 offset:1044 ; 4-byte Folded Spill
	v_cmp_ne_u16_sdwa s5, v2, v3 src0_sel:BYTE_1 src1_sel:DWORD
	s_and_saveexec_b32 s7, s5
	s_cbranch_execz .LBB259_858
; %bb.853:                              ;   in Loop: Header=BB259_11 Depth=1
	v_mov_b32_e32 v3, 0xffff
	v_mov_b32_e32 v116, v28
	s_mov_b32 s19, exec_lo
	buffer_store_dword v116, off, s[0:3], s32 offset:1040 ; 4-byte Folded Spill
	buffer_store_dword v117, off, s[0:3], s32 offset:1044 ; 4-byte Folded Spill
	v_and_b32_sdwa v3, v3, v2 dst_sel:DWORD dst_unused:UNUSED_PAD src0_sel:DWORD src1_sel:BYTE_1
	v_and_b32_e32 v4, 0x7f, v3
	v_cmpx_ne_u32_e32 0x7f, v4
	s_cbranch_execz .LBB259_857
; %bb.854:                              ;   in Loop: Header=BB259_11 Depth=1
	v_and_b32_e32 v27, 7, v3
	v_lshrrev_b32_e32 v3, 3, v4
	s_mov_b32 s22, exec_lo
	v_cmpx_gt_u32_e32 8, v4
; %bb.855:                              ;   in Loop: Header=BB259_11 Depth=1
	v_ffbh_u32_e32 v3, v27
	v_min_u32_e32 v3, 32, v3
	v_subrev_nc_u32_e32 v4, 28, v3
	v_sub_nc_u32_e32 v3, 29, v3
	v_lshlrev_b64 v[4:5], v4, v[27:28]
	v_and_b32_e32 v27, 7, v4
; %bb.856:                              ;   in Loop: Header=BB259_11 Depth=1
	s_or_b32 exec_lo, exec_lo, s22
	v_lshlrev_b32_e32 v4, 16, v2
	v_lshlrev_b32_e32 v5, 20, v27
	v_lshl_add_u32 v3, v3, 23, 0x3c000000
	v_and_b32_e32 v4, 0x80000000, v4
	v_or3_b32 v4, v5, v4, v3
	v_mov_b32_e32 v3, v28
	buffer_store_dword v3, off, s[0:3], s32 offset:1040 ; 4-byte Folded Spill
	buffer_store_dword v4, off, s[0:3], s32 offset:1044 ; 4-byte Folded Spill
.LBB259_857:                            ;   in Loop: Header=BB259_11 Depth=1
	s_or_b32 exec_lo, exec_lo, s19
.LBB259_858:                            ;   in Loop: Header=BB259_11 Depth=1
	s_or_b32 exec_lo, exec_lo, s7
.LBB259_859:                            ;   in Loop: Header=BB259_11 Depth=1
	s_or_b32 exec_lo, exec_lo, s6
	v_mov_b32_e32 v4, 0
	v_mov_b32_e32 v5, 0
	v_and_b32_sdwa v3, v2, v6 dst_sel:DWORD dst_unused:UNUSED_PAD src0_sel:WORD_1 src1_sel:DWORD
	s_mov_b32 s6, exec_lo
	buffer_store_dword v4, off, s[0:3], s32 offset:1048 ; 4-byte Folded Spill
	buffer_store_dword v5, off, s[0:3], s32 offset:1052 ; 4-byte Folded Spill
	v_mov_b32_e32 v4, 0
	v_mov_b32_e32 v5, 0
	buffer_store_dword v4, off, s[0:3], s32 offset:1056 ; 4-byte Folded Spill
	buffer_store_dword v5, off, s[0:3], s32 offset:1060 ; 4-byte Folded Spill
	v_cmpx_ne_u16_e32 0, v3
	s_cbranch_execz .LBB259_867
; %bb.860:                              ;   in Loop: Header=BB259_11 Depth=1
	v_cmp_ne_u16_e64 s5, 0x80, v3
	v_bfrev_b32_e32 v3, 1
	v_mov_b32_e32 v4, 0
	buffer_store_dword v3, off, s[0:3], s32 offset:1056 ; 4-byte Folded Spill
	buffer_store_dword v4, off, s[0:3], s32 offset:1060 ; 4-byte Folded Spill
	s_and_saveexec_b32 s7, s5
	s_cbranch_execz .LBB259_866
; %bb.861:                              ;   in Loop: Header=BB259_11 Depth=1
	v_mov_b32_e32 v8, 0x7f800001
	v_bfe_u32 v4, v2, 16, 7
	v_mov_b32_e32 v9, 0
	s_mov_b32 s19, exec_lo
	buffer_store_dword v8, off, s[0:3], s32 offset:1056 ; 4-byte Folded Spill
	buffer_store_dword v9, off, s[0:3], s32 offset:1060 ; 4-byte Folded Spill
	v_cmpx_ne_u32_e32 0x7f, v4
	s_cbranch_execz .LBB259_865
; %bb.862:                              ;   in Loop: Header=BB259_11 Depth=1
	v_mov_b32_e32 v3, 7
	s_mov_b32 s22, exec_lo
	v_and_b32_sdwa v27, v2, v3 dst_sel:DWORD dst_unused:UNUSED_PAD src0_sel:WORD_1 src1_sel:DWORD
	v_lshrrev_b32_e32 v3, 3, v4
	v_cmpx_gt_u32_e32 8, v4
; %bb.863:                              ;   in Loop: Header=BB259_11 Depth=1
	v_ffbh_u32_e32 v3, v27
	v_min_u32_e32 v3, 32, v3
	v_subrev_nc_u32_e32 v4, 28, v3
	v_sub_nc_u32_e32 v3, 29, v3
	v_lshlrev_b64 v[4:5], v4, v[27:28]
	v_and_b32_e32 v27, 7, v4
; %bb.864:                              ;   in Loop: Header=BB259_11 Depth=1
	s_or_b32 exec_lo, exec_lo, s22
	v_mov_b32_e32 v4, 24
	v_lshlrev_b32_e32 v5, 20, v27
	v_lshl_add_u32 v3, v3, 23, 0x3c000000
	v_lshlrev_b32_sdwa v4, v4, v2 dst_sel:DWORD dst_unused:UNUSED_PAD src0_sel:DWORD src1_sel:WORD_1
	v_and_b32_e32 v4, 0x80000000, v4
	v_or3_b32 v27, v5, v4, v3
	buffer_store_dword v27, off, s[0:3], s32 offset:1056 ; 4-byte Folded Spill
	buffer_store_dword v28, off, s[0:3], s32 offset:1060 ; 4-byte Folded Spill
.LBB259_865:                            ;   in Loop: Header=BB259_11 Depth=1
	s_or_b32 exec_lo, exec_lo, s19
.LBB259_866:                            ;   in Loop: Header=BB259_11 Depth=1
	s_or_b32 exec_lo, exec_lo, s7
.LBB259_867:                            ;   in Loop: Header=BB259_11 Depth=1
	s_or_b32 exec_lo, exec_lo, s6
	s_mov_b32 s6, exec_lo
	v_cmpx_lt_u32_e32 0xffffff, v2
	s_cbranch_execz .LBB259_875
; %bb.868:                              ;   in Loop: Header=BB259_11 Depth=1
	v_mov_b32_e32 v3, 0x80
	v_mov_b32_e32 v98, v28
	buffer_store_dword v98, off, s[0:3], s32 offset:1048 ; 4-byte Folded Spill
	buffer_store_dword v99, off, s[0:3], s32 offset:1052 ; 4-byte Folded Spill
	v_cmp_ne_u32_sdwa s5, v2, v3 src0_sel:BYTE_3 src1_sel:DWORD
	s_and_saveexec_b32 s7, s5
	s_cbranch_execz .LBB259_874
; %bb.869:                              ;   in Loop: Header=BB259_11 Depth=1
	v_bfe_u32 v4, v2, 24, 7
	v_mov_b32_e32 v116, v28
	s_mov_b32 s19, exec_lo
	buffer_store_dword v116, off, s[0:3], s32 offset:1048 ; 4-byte Folded Spill
	buffer_store_dword v117, off, s[0:3], s32 offset:1052 ; 4-byte Folded Spill
	v_cmpx_ne_u32_e32 0x7f, v4
	s_cbranch_execz .LBB259_873
; %bb.870:                              ;   in Loop: Header=BB259_11 Depth=1
	v_mov_b32_e32 v3, 7
	s_mov_b32 s22, exec_lo
	v_and_b32_sdwa v27, v2, v3 dst_sel:DWORD dst_unused:UNUSED_PAD src0_sel:BYTE_3 src1_sel:DWORD
	v_lshrrev_b32_e32 v3, 3, v4
	v_cmpx_gt_u32_e32 8, v4
; %bb.871:                              ;   in Loop: Header=BB259_11 Depth=1
	v_ffbh_u32_e32 v3, v27
	v_min_u32_e32 v3, 32, v3
	v_subrev_nc_u32_e32 v4, 28, v3
	v_sub_nc_u32_e32 v3, 29, v3
	v_lshlrev_b64 v[4:5], v4, v[27:28]
	v_and_b32_e32 v27, 7, v4
; %bb.872:                              ;   in Loop: Header=BB259_11 Depth=1
	s_or_b32 exec_lo, exec_lo, s22
	v_mov_b32_e32 v4, 24
	v_lshl_add_u32 v3, v3, 23, 0x3c000000
	v_lshlrev_b32_sdwa v2, v4, v2 dst_sel:DWORD dst_unused:UNUSED_PAD src0_sel:DWORD src1_sel:BYTE_3
	v_lshlrev_b32_e32 v4, 20, v27
	v_and_b32_e32 v2, 0x80000000, v2
	v_or3_b32 v3, v4, v2, v3
	v_mov_b32_e32 v2, v28
	buffer_store_dword v2, off, s[0:3], s32 offset:1048 ; 4-byte Folded Spill
	buffer_store_dword v3, off, s[0:3], s32 offset:1052 ; 4-byte Folded Spill
.LBB259_873:                            ;   in Loop: Header=BB259_11 Depth=1
	s_or_b32 exec_lo, exec_lo, s19
.LBB259_874:                            ;   in Loop: Header=BB259_11 Depth=1
	s_or_b32 exec_lo, exec_lo, s7
.LBB259_875:                            ;   in Loop: Header=BB259_11 Depth=1
	s_or_b32 exec_lo, exec_lo, s6
	flat_load_dword v2, v[0:1] offset:1036
	v_mov_b32_e32 v3, 0
	v_mov_b32_e32 v4, 0
	buffer_store_dword v3, off, s[0:3], s32 offset:1072 ; 4-byte Folded Spill
	buffer_store_dword v4, off, s[0:3], s32 offset:1076 ; 4-byte Folded Spill
	v_mov_b32_e32 v3, 0
	v_mov_b32_e32 v4, 0
	buffer_store_dword v3, off, s[0:3], s32 offset:1064 ; 4-byte Folded Spill
	buffer_store_dword v4, off, s[0:3], s32 offset:1068 ; 4-byte Folded Spill
	s_waitcnt vmcnt(0) lgkmcnt(0)
	v_cmp_ne_u16_sdwa s5, v2, v28 src0_sel:BYTE_0 src1_sel:DWORD
	s_and_saveexec_b32 s6, s5
	s_cbranch_execz .LBB259_883
; %bb.876:                              ;   in Loop: Header=BB259_11 Depth=1
	v_bfrev_b32_e32 v3, 1
	v_mov_b32_e32 v4, 0
	buffer_store_dword v3, off, s[0:3], s32 offset:1064 ; 4-byte Folded Spill
	buffer_store_dword v4, off, s[0:3], s32 offset:1068 ; 4-byte Folded Spill
	v_mov_b32_e32 v3, 0x80
	v_cmp_ne_u16_sdwa s5, v2, v3 src0_sel:BYTE_0 src1_sel:DWORD
	s_and_saveexec_b32 s7, s5
	s_cbranch_execz .LBB259_882
; %bb.877:                              ;   in Loop: Header=BB259_11 Depth=1
	v_mov_b32_e32 v8, 0x7f800001
	v_and_b32_e32 v4, 0x7f, v2
	v_mov_b32_e32 v9, 0
	s_mov_b32 s19, exec_lo
	buffer_store_dword v8, off, s[0:3], s32 offset:1064 ; 4-byte Folded Spill
	buffer_store_dword v9, off, s[0:3], s32 offset:1068 ; 4-byte Folded Spill
	v_cmpx_ne_u32_e32 0x7f, v4
	s_cbranch_execz .LBB259_881
; %bb.878:                              ;   in Loop: Header=BB259_11 Depth=1
	v_and_b32_e32 v27, 7, v2
	v_lshrrev_b32_e32 v3, 3, v4
	s_mov_b32 s22, exec_lo
	v_cmpx_gt_u32_e32 8, v4
; %bb.879:                              ;   in Loop: Header=BB259_11 Depth=1
	v_ffbh_u32_e32 v3, v27
	v_min_u32_e32 v3, 32, v3
	v_subrev_nc_u32_e32 v4, 28, v3
	v_sub_nc_u32_e32 v3, 29, v3
	v_lshlrev_b64 v[4:5], v4, v[27:28]
	v_and_b32_e32 v27, 7, v4
; %bb.880:                              ;   in Loop: Header=BB259_11 Depth=1
	s_or_b32 exec_lo, exec_lo, s22
	v_lshlrev_b32_e32 v4, 24, v2
	v_lshlrev_b32_e32 v5, 20, v27
	v_lshl_add_u32 v3, v3, 23, 0x3c000000
	v_and_b32_e32 v4, 0x80000000, v4
	v_or3_b32 v27, v5, v4, v3
	buffer_store_dword v27, off, s[0:3], s32 offset:1064 ; 4-byte Folded Spill
	buffer_store_dword v28, off, s[0:3], s32 offset:1068 ; 4-byte Folded Spill
.LBB259_881:                            ;   in Loop: Header=BB259_11 Depth=1
	s_or_b32 exec_lo, exec_lo, s19
.LBB259_882:                            ;   in Loop: Header=BB259_11 Depth=1
	s_or_b32 exec_lo, exec_lo, s7
.LBB259_883:                            ;   in Loop: Header=BB259_11 Depth=1
	s_or_b32 exec_lo, exec_lo, s6
	v_cmp_ne_u16_sdwa s5, v2, v28 src0_sel:BYTE_1 src1_sel:DWORD
	s_and_saveexec_b32 s6, s5
	s_cbranch_execz .LBB259_891
; %bb.884:                              ;   in Loop: Header=BB259_11 Depth=1
	v_mov_b32_e32 v3, 0x80
	v_mov_b32_e32 v98, v28
	buffer_store_dword v98, off, s[0:3], s32 offset:1072 ; 4-byte Folded Spill
	buffer_store_dword v99, off, s[0:3], s32 offset:1076 ; 4-byte Folded Spill
	v_cmp_ne_u16_sdwa s5, v2, v3 src0_sel:BYTE_1 src1_sel:DWORD
	s_and_saveexec_b32 s7, s5
	s_cbranch_execz .LBB259_890
; %bb.885:                              ;   in Loop: Header=BB259_11 Depth=1
	v_mov_b32_e32 v3, 0xffff
	v_mov_b32_e32 v116, v28
	s_mov_b32 s19, exec_lo
	buffer_store_dword v116, off, s[0:3], s32 offset:1072 ; 4-byte Folded Spill
	buffer_store_dword v117, off, s[0:3], s32 offset:1076 ; 4-byte Folded Spill
	v_and_b32_sdwa v3, v3, v2 dst_sel:DWORD dst_unused:UNUSED_PAD src0_sel:DWORD src1_sel:BYTE_1
	v_and_b32_e32 v4, 0x7f, v3
	v_cmpx_ne_u32_e32 0x7f, v4
	s_cbranch_execz .LBB259_889
; %bb.886:                              ;   in Loop: Header=BB259_11 Depth=1
	v_and_b32_e32 v27, 7, v3
	v_lshrrev_b32_e32 v3, 3, v4
	s_mov_b32 s22, exec_lo
	v_cmpx_gt_u32_e32 8, v4
; %bb.887:                              ;   in Loop: Header=BB259_11 Depth=1
	v_ffbh_u32_e32 v3, v27
	v_min_u32_e32 v3, 32, v3
	v_subrev_nc_u32_e32 v4, 28, v3
	v_sub_nc_u32_e32 v3, 29, v3
	v_lshlrev_b64 v[4:5], v4, v[27:28]
	v_and_b32_e32 v27, 7, v4
; %bb.888:                              ;   in Loop: Header=BB259_11 Depth=1
	s_or_b32 exec_lo, exec_lo, s22
	v_lshlrev_b32_e32 v4, 16, v2
	v_lshlrev_b32_e32 v5, 20, v27
	v_lshl_add_u32 v3, v3, 23, 0x3c000000
	v_and_b32_e32 v4, 0x80000000, v4
	v_or3_b32 v4, v5, v4, v3
	v_mov_b32_e32 v3, v28
	buffer_store_dword v3, off, s[0:3], s32 offset:1072 ; 4-byte Folded Spill
	buffer_store_dword v4, off, s[0:3], s32 offset:1076 ; 4-byte Folded Spill
.LBB259_889:                            ;   in Loop: Header=BB259_11 Depth=1
	s_or_b32 exec_lo, exec_lo, s19
.LBB259_890:                            ;   in Loop: Header=BB259_11 Depth=1
	s_or_b32 exec_lo, exec_lo, s7
.LBB259_891:                            ;   in Loop: Header=BB259_11 Depth=1
	s_or_b32 exec_lo, exec_lo, s6
	v_mov_b32_e32 v4, 0
	v_mov_b32_e32 v5, 0
	v_and_b32_sdwa v3, v2, v6 dst_sel:DWORD dst_unused:UNUSED_PAD src0_sel:WORD_1 src1_sel:DWORD
	s_mov_b32 s6, exec_lo
	buffer_store_dword v4, off, s[0:3], s32 offset:1080 ; 4-byte Folded Spill
	buffer_store_dword v5, off, s[0:3], s32 offset:1084 ; 4-byte Folded Spill
	v_mov_b32_e32 v4, 0
	v_mov_b32_e32 v5, 0
	buffer_store_dword v4, off, s[0:3], s32 offset:1088 ; 4-byte Folded Spill
	buffer_store_dword v5, off, s[0:3], s32 offset:1092 ; 4-byte Folded Spill
	v_cmpx_ne_u16_e32 0, v3
	s_cbranch_execz .LBB259_899
; %bb.892:                              ;   in Loop: Header=BB259_11 Depth=1
	v_cmp_ne_u16_e64 s5, 0x80, v3
	v_bfrev_b32_e32 v3, 1
	v_mov_b32_e32 v4, 0
	buffer_store_dword v3, off, s[0:3], s32 offset:1088 ; 4-byte Folded Spill
	buffer_store_dword v4, off, s[0:3], s32 offset:1092 ; 4-byte Folded Spill
	s_and_saveexec_b32 s7, s5
	s_cbranch_execz .LBB259_898
; %bb.893:                              ;   in Loop: Header=BB259_11 Depth=1
	v_mov_b32_e32 v8, 0x7f800001
	v_bfe_u32 v4, v2, 16, 7
	v_mov_b32_e32 v9, 0
	s_mov_b32 s19, exec_lo
	buffer_store_dword v8, off, s[0:3], s32 offset:1088 ; 4-byte Folded Spill
	buffer_store_dword v9, off, s[0:3], s32 offset:1092 ; 4-byte Folded Spill
	v_cmpx_ne_u32_e32 0x7f, v4
	s_cbranch_execz .LBB259_897
; %bb.894:                              ;   in Loop: Header=BB259_11 Depth=1
	v_mov_b32_e32 v3, 7
	s_mov_b32 s22, exec_lo
	v_and_b32_sdwa v27, v2, v3 dst_sel:DWORD dst_unused:UNUSED_PAD src0_sel:WORD_1 src1_sel:DWORD
	v_lshrrev_b32_e32 v3, 3, v4
	v_cmpx_gt_u32_e32 8, v4
; %bb.895:                              ;   in Loop: Header=BB259_11 Depth=1
	v_ffbh_u32_e32 v3, v27
	v_min_u32_e32 v3, 32, v3
	v_subrev_nc_u32_e32 v4, 28, v3
	v_sub_nc_u32_e32 v3, 29, v3
	v_lshlrev_b64 v[4:5], v4, v[27:28]
	v_and_b32_e32 v27, 7, v4
; %bb.896:                              ;   in Loop: Header=BB259_11 Depth=1
	s_or_b32 exec_lo, exec_lo, s22
	v_mov_b32_e32 v4, 24
	v_lshlrev_b32_e32 v5, 20, v27
	v_lshl_add_u32 v3, v3, 23, 0x3c000000
	v_lshlrev_b32_sdwa v4, v4, v2 dst_sel:DWORD dst_unused:UNUSED_PAD src0_sel:DWORD src1_sel:WORD_1
	v_and_b32_e32 v4, 0x80000000, v4
	v_or3_b32 v27, v5, v4, v3
	buffer_store_dword v27, off, s[0:3], s32 offset:1088 ; 4-byte Folded Spill
	buffer_store_dword v28, off, s[0:3], s32 offset:1092 ; 4-byte Folded Spill
.LBB259_897:                            ;   in Loop: Header=BB259_11 Depth=1
	s_or_b32 exec_lo, exec_lo, s19
.LBB259_898:                            ;   in Loop: Header=BB259_11 Depth=1
	s_or_b32 exec_lo, exec_lo, s7
.LBB259_899:                            ;   in Loop: Header=BB259_11 Depth=1
	s_or_b32 exec_lo, exec_lo, s6
	s_mov_b32 s6, exec_lo
	v_cmpx_lt_u32_e32 0xffffff, v2
	s_cbranch_execz .LBB259_907
; %bb.900:                              ;   in Loop: Header=BB259_11 Depth=1
	v_mov_b32_e32 v3, 0x80
	v_mov_b32_e32 v98, v28
	buffer_store_dword v98, off, s[0:3], s32 offset:1080 ; 4-byte Folded Spill
	buffer_store_dword v99, off, s[0:3], s32 offset:1084 ; 4-byte Folded Spill
	v_cmp_ne_u32_sdwa s5, v2, v3 src0_sel:BYTE_3 src1_sel:DWORD
	s_and_saveexec_b32 s7, s5
	s_cbranch_execz .LBB259_906
; %bb.901:                              ;   in Loop: Header=BB259_11 Depth=1
	v_bfe_u32 v4, v2, 24, 7
	v_mov_b32_e32 v116, v28
	s_mov_b32 s19, exec_lo
	buffer_store_dword v116, off, s[0:3], s32 offset:1080 ; 4-byte Folded Spill
	buffer_store_dword v117, off, s[0:3], s32 offset:1084 ; 4-byte Folded Spill
	v_cmpx_ne_u32_e32 0x7f, v4
	s_cbranch_execz .LBB259_905
; %bb.902:                              ;   in Loop: Header=BB259_11 Depth=1
	v_mov_b32_e32 v3, 7
	s_mov_b32 s22, exec_lo
	v_and_b32_sdwa v27, v2, v3 dst_sel:DWORD dst_unused:UNUSED_PAD src0_sel:BYTE_3 src1_sel:DWORD
	v_lshrrev_b32_e32 v3, 3, v4
	v_cmpx_gt_u32_e32 8, v4
; %bb.903:                              ;   in Loop: Header=BB259_11 Depth=1
	v_ffbh_u32_e32 v3, v27
	v_min_u32_e32 v3, 32, v3
	v_subrev_nc_u32_e32 v4, 28, v3
	v_sub_nc_u32_e32 v3, 29, v3
	v_lshlrev_b64 v[4:5], v4, v[27:28]
	v_and_b32_e32 v27, 7, v4
; %bb.904:                              ;   in Loop: Header=BB259_11 Depth=1
	s_or_b32 exec_lo, exec_lo, s22
	v_mov_b32_e32 v4, 24
	v_lshl_add_u32 v3, v3, 23, 0x3c000000
	v_lshlrev_b32_sdwa v2, v4, v2 dst_sel:DWORD dst_unused:UNUSED_PAD src0_sel:DWORD src1_sel:BYTE_3
	v_lshlrev_b32_e32 v4, 20, v27
	v_and_b32_e32 v2, 0x80000000, v2
	v_or3_b32 v3, v4, v2, v3
	v_mov_b32_e32 v2, v28
	buffer_store_dword v2, off, s[0:3], s32 offset:1080 ; 4-byte Folded Spill
	buffer_store_dword v3, off, s[0:3], s32 offset:1084 ; 4-byte Folded Spill
.LBB259_905:                            ;   in Loop: Header=BB259_11 Depth=1
	s_or_b32 exec_lo, exec_lo, s19
.LBB259_906:                            ;   in Loop: Header=BB259_11 Depth=1
	s_or_b32 exec_lo, exec_lo, s7
.LBB259_907:                            ;   in Loop: Header=BB259_11 Depth=1
	s_or_b32 exec_lo, exec_lo, s6
	flat_load_dword v2, v[0:1] offset:1536
	v_mov_b32_e32 v3, 0
	v_mov_b32_e32 v4, 0
	buffer_store_dword v3, off, s[0:3], s32 offset:1104 ; 4-byte Folded Spill
	buffer_store_dword v4, off, s[0:3], s32 offset:1108 ; 4-byte Folded Spill
	v_mov_b32_e32 v3, 0
	v_mov_b32_e32 v4, 0
	buffer_store_dword v3, off, s[0:3], s32 offset:1096 ; 4-byte Folded Spill
	buffer_store_dword v4, off, s[0:3], s32 offset:1100 ; 4-byte Folded Spill
	s_waitcnt vmcnt(0) lgkmcnt(0)
	v_cmp_ne_u16_sdwa s5, v2, v28 src0_sel:BYTE_0 src1_sel:DWORD
	s_and_saveexec_b32 s6, s5
	s_cbranch_execz .LBB259_915
; %bb.908:                              ;   in Loop: Header=BB259_11 Depth=1
	v_bfrev_b32_e32 v3, 1
	v_mov_b32_e32 v4, 0
	buffer_store_dword v3, off, s[0:3], s32 offset:1096 ; 4-byte Folded Spill
	buffer_store_dword v4, off, s[0:3], s32 offset:1100 ; 4-byte Folded Spill
	v_mov_b32_e32 v3, 0x80
	v_cmp_ne_u16_sdwa s5, v2, v3 src0_sel:BYTE_0 src1_sel:DWORD
	s_and_saveexec_b32 s7, s5
	s_cbranch_execz .LBB259_914
; %bb.909:                              ;   in Loop: Header=BB259_11 Depth=1
	v_mov_b32_e32 v8, 0x7f800001
	v_and_b32_e32 v4, 0x7f, v2
	v_mov_b32_e32 v9, 0
	s_mov_b32 s19, exec_lo
	buffer_store_dword v8, off, s[0:3], s32 offset:1096 ; 4-byte Folded Spill
	buffer_store_dword v9, off, s[0:3], s32 offset:1100 ; 4-byte Folded Spill
	v_cmpx_ne_u32_e32 0x7f, v4
	s_cbranch_execz .LBB259_913
; %bb.910:                              ;   in Loop: Header=BB259_11 Depth=1
	v_and_b32_e32 v27, 7, v2
	v_lshrrev_b32_e32 v3, 3, v4
	s_mov_b32 s22, exec_lo
	v_cmpx_gt_u32_e32 8, v4
; %bb.911:                              ;   in Loop: Header=BB259_11 Depth=1
	v_ffbh_u32_e32 v3, v27
	v_min_u32_e32 v3, 32, v3
	v_subrev_nc_u32_e32 v4, 28, v3
	v_sub_nc_u32_e32 v3, 29, v3
	v_lshlrev_b64 v[4:5], v4, v[27:28]
	v_and_b32_e32 v27, 7, v4
; %bb.912:                              ;   in Loop: Header=BB259_11 Depth=1
	s_or_b32 exec_lo, exec_lo, s22
	v_lshlrev_b32_e32 v4, 24, v2
	v_lshlrev_b32_e32 v5, 20, v27
	v_lshl_add_u32 v3, v3, 23, 0x3c000000
	v_and_b32_e32 v4, 0x80000000, v4
	v_or3_b32 v27, v5, v4, v3
	buffer_store_dword v27, off, s[0:3], s32 offset:1096 ; 4-byte Folded Spill
	buffer_store_dword v28, off, s[0:3], s32 offset:1100 ; 4-byte Folded Spill
.LBB259_913:                            ;   in Loop: Header=BB259_11 Depth=1
	s_or_b32 exec_lo, exec_lo, s19
.LBB259_914:                            ;   in Loop: Header=BB259_11 Depth=1
	s_or_b32 exec_lo, exec_lo, s7
.LBB259_915:                            ;   in Loop: Header=BB259_11 Depth=1
	s_or_b32 exec_lo, exec_lo, s6
	v_cmp_ne_u16_sdwa s5, v2, v28 src0_sel:BYTE_1 src1_sel:DWORD
	s_and_saveexec_b32 s6, s5
	s_cbranch_execz .LBB259_923
; %bb.916:                              ;   in Loop: Header=BB259_11 Depth=1
	v_mov_b32_e32 v3, 0x80
	v_mov_b32_e32 v98, v28
	buffer_store_dword v98, off, s[0:3], s32 offset:1104 ; 4-byte Folded Spill
	buffer_store_dword v99, off, s[0:3], s32 offset:1108 ; 4-byte Folded Spill
	v_cmp_ne_u16_sdwa s5, v2, v3 src0_sel:BYTE_1 src1_sel:DWORD
	s_and_saveexec_b32 s7, s5
	s_cbranch_execz .LBB259_922
; %bb.917:                              ;   in Loop: Header=BB259_11 Depth=1
	v_mov_b32_e32 v3, 0xffff
	v_mov_b32_e32 v116, v28
	s_mov_b32 s19, exec_lo
	buffer_store_dword v116, off, s[0:3], s32 offset:1104 ; 4-byte Folded Spill
	buffer_store_dword v117, off, s[0:3], s32 offset:1108 ; 4-byte Folded Spill
	v_and_b32_sdwa v3, v3, v2 dst_sel:DWORD dst_unused:UNUSED_PAD src0_sel:DWORD src1_sel:BYTE_1
	v_and_b32_e32 v4, 0x7f, v3
	v_cmpx_ne_u32_e32 0x7f, v4
	s_cbranch_execz .LBB259_921
; %bb.918:                              ;   in Loop: Header=BB259_11 Depth=1
	v_and_b32_e32 v27, 7, v3
	v_lshrrev_b32_e32 v3, 3, v4
	s_mov_b32 s22, exec_lo
	v_cmpx_gt_u32_e32 8, v4
; %bb.919:                              ;   in Loop: Header=BB259_11 Depth=1
	v_ffbh_u32_e32 v3, v27
	v_min_u32_e32 v3, 32, v3
	v_subrev_nc_u32_e32 v4, 28, v3
	v_sub_nc_u32_e32 v3, 29, v3
	v_lshlrev_b64 v[4:5], v4, v[27:28]
	v_and_b32_e32 v27, 7, v4
; %bb.920:                              ;   in Loop: Header=BB259_11 Depth=1
	s_or_b32 exec_lo, exec_lo, s22
	v_lshlrev_b32_e32 v4, 16, v2
	v_lshlrev_b32_e32 v5, 20, v27
	v_lshl_add_u32 v3, v3, 23, 0x3c000000
	v_and_b32_e32 v4, 0x80000000, v4
	v_or3_b32 v4, v5, v4, v3
	v_mov_b32_e32 v3, v28
	buffer_store_dword v3, off, s[0:3], s32 offset:1104 ; 4-byte Folded Spill
	buffer_store_dword v4, off, s[0:3], s32 offset:1108 ; 4-byte Folded Spill
.LBB259_921:                            ;   in Loop: Header=BB259_11 Depth=1
	s_or_b32 exec_lo, exec_lo, s19
.LBB259_922:                            ;   in Loop: Header=BB259_11 Depth=1
	s_or_b32 exec_lo, exec_lo, s7
.LBB259_923:                            ;   in Loop: Header=BB259_11 Depth=1
	s_or_b32 exec_lo, exec_lo, s6
	v_mov_b32_e32 v4, 0
	v_mov_b32_e32 v5, 0
	v_and_b32_sdwa v3, v2, v6 dst_sel:DWORD dst_unused:UNUSED_PAD src0_sel:WORD_1 src1_sel:DWORD
	s_mov_b32 s6, exec_lo
	buffer_store_dword v4, off, s[0:3], s32 offset:1112 ; 4-byte Folded Spill
	buffer_store_dword v5, off, s[0:3], s32 offset:1116 ; 4-byte Folded Spill
	v_mov_b32_e32 v4, 0
	v_mov_b32_e32 v5, 0
	buffer_store_dword v4, off, s[0:3], s32 offset:1120 ; 4-byte Folded Spill
	buffer_store_dword v5, off, s[0:3], s32 offset:1124 ; 4-byte Folded Spill
	v_cmpx_ne_u16_e32 0, v3
	s_cbranch_execz .LBB259_931
; %bb.924:                              ;   in Loop: Header=BB259_11 Depth=1
	v_cmp_ne_u16_e64 s5, 0x80, v3
	v_bfrev_b32_e32 v3, 1
	v_mov_b32_e32 v4, 0
	buffer_store_dword v3, off, s[0:3], s32 offset:1120 ; 4-byte Folded Spill
	buffer_store_dword v4, off, s[0:3], s32 offset:1124 ; 4-byte Folded Spill
	s_and_saveexec_b32 s7, s5
	s_cbranch_execz .LBB259_930
; %bb.925:                              ;   in Loop: Header=BB259_11 Depth=1
	v_mov_b32_e32 v8, 0x7f800001
	v_bfe_u32 v4, v2, 16, 7
	v_mov_b32_e32 v9, 0
	s_mov_b32 s19, exec_lo
	buffer_store_dword v8, off, s[0:3], s32 offset:1120 ; 4-byte Folded Spill
	buffer_store_dword v9, off, s[0:3], s32 offset:1124 ; 4-byte Folded Spill
	v_cmpx_ne_u32_e32 0x7f, v4
	s_cbranch_execz .LBB259_929
; %bb.926:                              ;   in Loop: Header=BB259_11 Depth=1
	v_mov_b32_e32 v3, 7
	s_mov_b32 s22, exec_lo
	v_and_b32_sdwa v27, v2, v3 dst_sel:DWORD dst_unused:UNUSED_PAD src0_sel:WORD_1 src1_sel:DWORD
	v_lshrrev_b32_e32 v3, 3, v4
	v_cmpx_gt_u32_e32 8, v4
; %bb.927:                              ;   in Loop: Header=BB259_11 Depth=1
	v_ffbh_u32_e32 v3, v27
	v_min_u32_e32 v3, 32, v3
	v_subrev_nc_u32_e32 v4, 28, v3
	v_sub_nc_u32_e32 v3, 29, v3
	v_lshlrev_b64 v[4:5], v4, v[27:28]
	v_and_b32_e32 v27, 7, v4
; %bb.928:                              ;   in Loop: Header=BB259_11 Depth=1
	s_or_b32 exec_lo, exec_lo, s22
	v_mov_b32_e32 v4, 24
	v_lshlrev_b32_e32 v5, 20, v27
	v_lshl_add_u32 v3, v3, 23, 0x3c000000
	v_lshlrev_b32_sdwa v4, v4, v2 dst_sel:DWORD dst_unused:UNUSED_PAD src0_sel:DWORD src1_sel:WORD_1
	v_and_b32_e32 v4, 0x80000000, v4
	v_or3_b32 v27, v5, v4, v3
	buffer_store_dword v27, off, s[0:3], s32 offset:1120 ; 4-byte Folded Spill
	buffer_store_dword v28, off, s[0:3], s32 offset:1124 ; 4-byte Folded Spill
.LBB259_929:                            ;   in Loop: Header=BB259_11 Depth=1
	s_or_b32 exec_lo, exec_lo, s19
.LBB259_930:                            ;   in Loop: Header=BB259_11 Depth=1
	s_or_b32 exec_lo, exec_lo, s7
.LBB259_931:                            ;   in Loop: Header=BB259_11 Depth=1
	s_or_b32 exec_lo, exec_lo, s6
	s_mov_b32 s6, exec_lo
	v_cmpx_lt_u32_e32 0xffffff, v2
	s_cbranch_execz .LBB259_939
; %bb.932:                              ;   in Loop: Header=BB259_11 Depth=1
	v_mov_b32_e32 v3, 0x80
	v_mov_b32_e32 v98, v28
	buffer_store_dword v98, off, s[0:3], s32 offset:1112 ; 4-byte Folded Spill
	buffer_store_dword v99, off, s[0:3], s32 offset:1116 ; 4-byte Folded Spill
	v_cmp_ne_u32_sdwa s5, v2, v3 src0_sel:BYTE_3 src1_sel:DWORD
	s_and_saveexec_b32 s7, s5
	s_cbranch_execz .LBB259_938
; %bb.933:                              ;   in Loop: Header=BB259_11 Depth=1
	v_bfe_u32 v4, v2, 24, 7
	v_mov_b32_e32 v116, v28
	s_mov_b32 s19, exec_lo
	buffer_store_dword v116, off, s[0:3], s32 offset:1112 ; 4-byte Folded Spill
	buffer_store_dword v117, off, s[0:3], s32 offset:1116 ; 4-byte Folded Spill
	v_cmpx_ne_u32_e32 0x7f, v4
	s_cbranch_execz .LBB259_937
; %bb.934:                              ;   in Loop: Header=BB259_11 Depth=1
	v_mov_b32_e32 v3, 7
	s_mov_b32 s22, exec_lo
	v_and_b32_sdwa v27, v2, v3 dst_sel:DWORD dst_unused:UNUSED_PAD src0_sel:BYTE_3 src1_sel:DWORD
	v_lshrrev_b32_e32 v3, 3, v4
	v_cmpx_gt_u32_e32 8, v4
; %bb.935:                              ;   in Loop: Header=BB259_11 Depth=1
	v_ffbh_u32_e32 v3, v27
	v_min_u32_e32 v3, 32, v3
	v_subrev_nc_u32_e32 v4, 28, v3
	v_sub_nc_u32_e32 v3, 29, v3
	v_lshlrev_b64 v[4:5], v4, v[27:28]
	v_and_b32_e32 v27, 7, v4
; %bb.936:                              ;   in Loop: Header=BB259_11 Depth=1
	s_or_b32 exec_lo, exec_lo, s22
	v_mov_b32_e32 v4, 24
	v_lshl_add_u32 v3, v3, 23, 0x3c000000
	v_lshlrev_b32_sdwa v2, v4, v2 dst_sel:DWORD dst_unused:UNUSED_PAD src0_sel:DWORD src1_sel:BYTE_3
	v_lshlrev_b32_e32 v4, 20, v27
	v_and_b32_e32 v2, 0x80000000, v2
	v_or3_b32 v3, v4, v2, v3
	v_mov_b32_e32 v2, v28
	buffer_store_dword v2, off, s[0:3], s32 offset:1112 ; 4-byte Folded Spill
	buffer_store_dword v3, off, s[0:3], s32 offset:1116 ; 4-byte Folded Spill
.LBB259_937:                            ;   in Loop: Header=BB259_11 Depth=1
	s_or_b32 exec_lo, exec_lo, s19
.LBB259_938:                            ;   in Loop: Header=BB259_11 Depth=1
	s_or_b32 exec_lo, exec_lo, s7
.LBB259_939:                            ;   in Loop: Header=BB259_11 Depth=1
	s_or_b32 exec_lo, exec_lo, s6
	flat_load_dword v2, v[0:1] offset:1540
	v_mov_b32_e32 v3, 0
	v_mov_b32_e32 v4, 0
	buffer_store_dword v3, off, s[0:3], s32 offset:1136 ; 4-byte Folded Spill
	buffer_store_dword v4, off, s[0:3], s32 offset:1140 ; 4-byte Folded Spill
	v_mov_b32_e32 v3, 0
	v_mov_b32_e32 v4, 0
	buffer_store_dword v3, off, s[0:3], s32 offset:1128 ; 4-byte Folded Spill
	buffer_store_dword v4, off, s[0:3], s32 offset:1132 ; 4-byte Folded Spill
	s_waitcnt vmcnt(0) lgkmcnt(0)
	v_cmp_ne_u16_sdwa s5, v2, v28 src0_sel:BYTE_0 src1_sel:DWORD
	s_and_saveexec_b32 s6, s5
	s_cbranch_execz .LBB259_947
; %bb.940:                              ;   in Loop: Header=BB259_11 Depth=1
	v_bfrev_b32_e32 v3, 1
	v_mov_b32_e32 v4, 0
	buffer_store_dword v3, off, s[0:3], s32 offset:1128 ; 4-byte Folded Spill
	buffer_store_dword v4, off, s[0:3], s32 offset:1132 ; 4-byte Folded Spill
	v_mov_b32_e32 v3, 0x80
	v_cmp_ne_u16_sdwa s5, v2, v3 src0_sel:BYTE_0 src1_sel:DWORD
	s_and_saveexec_b32 s7, s5
	s_cbranch_execz .LBB259_946
; %bb.941:                              ;   in Loop: Header=BB259_11 Depth=1
	v_mov_b32_e32 v8, 0x7f800001
	v_and_b32_e32 v4, 0x7f, v2
	v_mov_b32_e32 v9, 0
	s_mov_b32 s19, exec_lo
	buffer_store_dword v8, off, s[0:3], s32 offset:1128 ; 4-byte Folded Spill
	buffer_store_dword v9, off, s[0:3], s32 offset:1132 ; 4-byte Folded Spill
	v_cmpx_ne_u32_e32 0x7f, v4
	s_cbranch_execz .LBB259_945
; %bb.942:                              ;   in Loop: Header=BB259_11 Depth=1
	v_and_b32_e32 v27, 7, v2
	v_lshrrev_b32_e32 v3, 3, v4
	s_mov_b32 s22, exec_lo
	v_cmpx_gt_u32_e32 8, v4
; %bb.943:                              ;   in Loop: Header=BB259_11 Depth=1
	v_ffbh_u32_e32 v3, v27
	v_min_u32_e32 v3, 32, v3
	v_subrev_nc_u32_e32 v4, 28, v3
	v_sub_nc_u32_e32 v3, 29, v3
	v_lshlrev_b64 v[4:5], v4, v[27:28]
	v_and_b32_e32 v27, 7, v4
; %bb.944:                              ;   in Loop: Header=BB259_11 Depth=1
	s_or_b32 exec_lo, exec_lo, s22
	v_lshlrev_b32_e32 v4, 24, v2
	v_lshlrev_b32_e32 v5, 20, v27
	v_lshl_add_u32 v3, v3, 23, 0x3c000000
	v_and_b32_e32 v4, 0x80000000, v4
	v_or3_b32 v27, v5, v4, v3
	buffer_store_dword v27, off, s[0:3], s32 offset:1128 ; 4-byte Folded Spill
	buffer_store_dword v28, off, s[0:3], s32 offset:1132 ; 4-byte Folded Spill
.LBB259_945:                            ;   in Loop: Header=BB259_11 Depth=1
	s_or_b32 exec_lo, exec_lo, s19
.LBB259_946:                            ;   in Loop: Header=BB259_11 Depth=1
	s_or_b32 exec_lo, exec_lo, s7
.LBB259_947:                            ;   in Loop: Header=BB259_11 Depth=1
	s_or_b32 exec_lo, exec_lo, s6
	v_cmp_ne_u16_sdwa s5, v2, v28 src0_sel:BYTE_1 src1_sel:DWORD
	s_and_saveexec_b32 s6, s5
	s_cbranch_execz .LBB259_955
; %bb.948:                              ;   in Loop: Header=BB259_11 Depth=1
	v_mov_b32_e32 v3, 0x80
	v_mov_b32_e32 v98, v28
	buffer_store_dword v98, off, s[0:3], s32 offset:1136 ; 4-byte Folded Spill
	buffer_store_dword v99, off, s[0:3], s32 offset:1140 ; 4-byte Folded Spill
	v_cmp_ne_u16_sdwa s5, v2, v3 src0_sel:BYTE_1 src1_sel:DWORD
	s_and_saveexec_b32 s7, s5
	s_cbranch_execz .LBB259_954
; %bb.949:                              ;   in Loop: Header=BB259_11 Depth=1
	v_mov_b32_e32 v3, 0xffff
	v_mov_b32_e32 v116, v28
	s_mov_b32 s19, exec_lo
	buffer_store_dword v116, off, s[0:3], s32 offset:1136 ; 4-byte Folded Spill
	buffer_store_dword v117, off, s[0:3], s32 offset:1140 ; 4-byte Folded Spill
	v_and_b32_sdwa v3, v3, v2 dst_sel:DWORD dst_unused:UNUSED_PAD src0_sel:DWORD src1_sel:BYTE_1
	v_and_b32_e32 v4, 0x7f, v3
	v_cmpx_ne_u32_e32 0x7f, v4
	s_cbranch_execz .LBB259_953
; %bb.950:                              ;   in Loop: Header=BB259_11 Depth=1
	v_and_b32_e32 v27, 7, v3
	v_lshrrev_b32_e32 v3, 3, v4
	s_mov_b32 s22, exec_lo
	v_cmpx_gt_u32_e32 8, v4
; %bb.951:                              ;   in Loop: Header=BB259_11 Depth=1
	v_ffbh_u32_e32 v3, v27
	v_min_u32_e32 v3, 32, v3
	v_subrev_nc_u32_e32 v4, 28, v3
	v_sub_nc_u32_e32 v3, 29, v3
	v_lshlrev_b64 v[4:5], v4, v[27:28]
	v_and_b32_e32 v27, 7, v4
; %bb.952:                              ;   in Loop: Header=BB259_11 Depth=1
	s_or_b32 exec_lo, exec_lo, s22
	v_lshlrev_b32_e32 v4, 16, v2
	v_lshlrev_b32_e32 v5, 20, v27
	v_lshl_add_u32 v3, v3, 23, 0x3c000000
	v_and_b32_e32 v4, 0x80000000, v4
	v_or3_b32 v4, v5, v4, v3
	v_mov_b32_e32 v3, v28
	buffer_store_dword v3, off, s[0:3], s32 offset:1136 ; 4-byte Folded Spill
	buffer_store_dword v4, off, s[0:3], s32 offset:1140 ; 4-byte Folded Spill
.LBB259_953:                            ;   in Loop: Header=BB259_11 Depth=1
	s_or_b32 exec_lo, exec_lo, s19
.LBB259_954:                            ;   in Loop: Header=BB259_11 Depth=1
	s_or_b32 exec_lo, exec_lo, s7
.LBB259_955:                            ;   in Loop: Header=BB259_11 Depth=1
	s_or_b32 exec_lo, exec_lo, s6
	v_mov_b32_e32 v4, 0
	v_mov_b32_e32 v5, 0
	v_and_b32_sdwa v3, v2, v6 dst_sel:DWORD dst_unused:UNUSED_PAD src0_sel:WORD_1 src1_sel:DWORD
	s_mov_b32 s6, exec_lo
	buffer_store_dword v4, off, s[0:3], s32 offset:1144 ; 4-byte Folded Spill
	buffer_store_dword v5, off, s[0:3], s32 offset:1148 ; 4-byte Folded Spill
	v_mov_b32_e32 v4, 0
	v_mov_b32_e32 v5, 0
	buffer_store_dword v4, off, s[0:3], s32 offset:1152 ; 4-byte Folded Spill
	buffer_store_dword v5, off, s[0:3], s32 offset:1156 ; 4-byte Folded Spill
	v_cmpx_ne_u16_e32 0, v3
	s_cbranch_execz .LBB259_963
; %bb.956:                              ;   in Loop: Header=BB259_11 Depth=1
	v_cmp_ne_u16_e64 s5, 0x80, v3
	v_bfrev_b32_e32 v3, 1
	v_mov_b32_e32 v4, 0
	buffer_store_dword v3, off, s[0:3], s32 offset:1152 ; 4-byte Folded Spill
	buffer_store_dword v4, off, s[0:3], s32 offset:1156 ; 4-byte Folded Spill
	s_and_saveexec_b32 s7, s5
	s_cbranch_execz .LBB259_962
; %bb.957:                              ;   in Loop: Header=BB259_11 Depth=1
	v_mov_b32_e32 v8, 0x7f800001
	v_bfe_u32 v4, v2, 16, 7
	v_mov_b32_e32 v9, 0
	s_mov_b32 s19, exec_lo
	buffer_store_dword v8, off, s[0:3], s32 offset:1152 ; 4-byte Folded Spill
	buffer_store_dword v9, off, s[0:3], s32 offset:1156 ; 4-byte Folded Spill
	v_cmpx_ne_u32_e32 0x7f, v4
	s_cbranch_execz .LBB259_961
; %bb.958:                              ;   in Loop: Header=BB259_11 Depth=1
	v_mov_b32_e32 v3, 7
	s_mov_b32 s22, exec_lo
	v_and_b32_sdwa v27, v2, v3 dst_sel:DWORD dst_unused:UNUSED_PAD src0_sel:WORD_1 src1_sel:DWORD
	v_lshrrev_b32_e32 v3, 3, v4
	v_cmpx_gt_u32_e32 8, v4
; %bb.959:                              ;   in Loop: Header=BB259_11 Depth=1
	v_ffbh_u32_e32 v3, v27
	v_min_u32_e32 v3, 32, v3
	v_subrev_nc_u32_e32 v4, 28, v3
	v_sub_nc_u32_e32 v3, 29, v3
	v_lshlrev_b64 v[4:5], v4, v[27:28]
	v_and_b32_e32 v27, 7, v4
; %bb.960:                              ;   in Loop: Header=BB259_11 Depth=1
	s_or_b32 exec_lo, exec_lo, s22
	v_mov_b32_e32 v4, 24
	v_lshlrev_b32_e32 v5, 20, v27
	v_lshl_add_u32 v3, v3, 23, 0x3c000000
	v_lshlrev_b32_sdwa v4, v4, v2 dst_sel:DWORD dst_unused:UNUSED_PAD src0_sel:DWORD src1_sel:WORD_1
	v_and_b32_e32 v4, 0x80000000, v4
	v_or3_b32 v27, v5, v4, v3
	buffer_store_dword v27, off, s[0:3], s32 offset:1152 ; 4-byte Folded Spill
	buffer_store_dword v28, off, s[0:3], s32 offset:1156 ; 4-byte Folded Spill
.LBB259_961:                            ;   in Loop: Header=BB259_11 Depth=1
	s_or_b32 exec_lo, exec_lo, s19
.LBB259_962:                            ;   in Loop: Header=BB259_11 Depth=1
	s_or_b32 exec_lo, exec_lo, s7
.LBB259_963:                            ;   in Loop: Header=BB259_11 Depth=1
	s_or_b32 exec_lo, exec_lo, s6
	s_mov_b32 s6, exec_lo
	v_cmpx_lt_u32_e32 0xffffff, v2
	s_cbranch_execz .LBB259_971
; %bb.964:                              ;   in Loop: Header=BB259_11 Depth=1
	v_mov_b32_e32 v3, 0x80
	v_mov_b32_e32 v98, v28
	buffer_store_dword v98, off, s[0:3], s32 offset:1144 ; 4-byte Folded Spill
	buffer_store_dword v99, off, s[0:3], s32 offset:1148 ; 4-byte Folded Spill
	v_cmp_ne_u32_sdwa s5, v2, v3 src0_sel:BYTE_3 src1_sel:DWORD
	s_and_saveexec_b32 s7, s5
	s_cbranch_execz .LBB259_970
; %bb.965:                              ;   in Loop: Header=BB259_11 Depth=1
	v_bfe_u32 v4, v2, 24, 7
	v_mov_b32_e32 v116, v28
	s_mov_b32 s19, exec_lo
	buffer_store_dword v116, off, s[0:3], s32 offset:1144 ; 4-byte Folded Spill
	buffer_store_dword v117, off, s[0:3], s32 offset:1148 ; 4-byte Folded Spill
	v_cmpx_ne_u32_e32 0x7f, v4
	s_cbranch_execz .LBB259_969
; %bb.966:                              ;   in Loop: Header=BB259_11 Depth=1
	v_mov_b32_e32 v3, 7
	s_mov_b32 s22, exec_lo
	v_and_b32_sdwa v27, v2, v3 dst_sel:DWORD dst_unused:UNUSED_PAD src0_sel:BYTE_3 src1_sel:DWORD
	v_lshrrev_b32_e32 v3, 3, v4
	v_cmpx_gt_u32_e32 8, v4
; %bb.967:                              ;   in Loop: Header=BB259_11 Depth=1
	v_ffbh_u32_e32 v3, v27
	v_min_u32_e32 v3, 32, v3
	v_subrev_nc_u32_e32 v4, 28, v3
	v_sub_nc_u32_e32 v3, 29, v3
	v_lshlrev_b64 v[4:5], v4, v[27:28]
	v_and_b32_e32 v27, 7, v4
; %bb.968:                              ;   in Loop: Header=BB259_11 Depth=1
	s_or_b32 exec_lo, exec_lo, s22
	v_mov_b32_e32 v4, 24
	v_lshl_add_u32 v3, v3, 23, 0x3c000000
	v_lshlrev_b32_sdwa v2, v4, v2 dst_sel:DWORD dst_unused:UNUSED_PAD src0_sel:DWORD src1_sel:BYTE_3
	v_lshlrev_b32_e32 v4, 20, v27
	v_and_b32_e32 v2, 0x80000000, v2
	v_or3_b32 v3, v4, v2, v3
	v_mov_b32_e32 v2, v28
	buffer_store_dword v2, off, s[0:3], s32 offset:1144 ; 4-byte Folded Spill
	buffer_store_dword v3, off, s[0:3], s32 offset:1148 ; 4-byte Folded Spill
.LBB259_969:                            ;   in Loop: Header=BB259_11 Depth=1
	s_or_b32 exec_lo, exec_lo, s19
.LBB259_970:                            ;   in Loop: Header=BB259_11 Depth=1
	s_or_b32 exec_lo, exec_lo, s7
.LBB259_971:                            ;   in Loop: Header=BB259_11 Depth=1
	s_or_b32 exec_lo, exec_lo, s6
	flat_load_dword v2, v[0:1] offset:1544
	v_mov_b32_e32 v3, 0
	v_mov_b32_e32 v4, 0
	buffer_store_dword v3, off, s[0:3], s32 offset:1168 ; 4-byte Folded Spill
	buffer_store_dword v4, off, s[0:3], s32 offset:1172 ; 4-byte Folded Spill
	v_mov_b32_e32 v3, 0
	v_mov_b32_e32 v4, 0
	buffer_store_dword v3, off, s[0:3], s32 offset:1160 ; 4-byte Folded Spill
	buffer_store_dword v4, off, s[0:3], s32 offset:1164 ; 4-byte Folded Spill
	s_waitcnt vmcnt(0) lgkmcnt(0)
	v_cmp_ne_u16_sdwa s5, v2, v28 src0_sel:BYTE_0 src1_sel:DWORD
	s_and_saveexec_b32 s6, s5
	s_cbranch_execz .LBB259_979
; %bb.972:                              ;   in Loop: Header=BB259_11 Depth=1
	v_bfrev_b32_e32 v3, 1
	v_mov_b32_e32 v4, 0
	buffer_store_dword v3, off, s[0:3], s32 offset:1160 ; 4-byte Folded Spill
	buffer_store_dword v4, off, s[0:3], s32 offset:1164 ; 4-byte Folded Spill
	v_mov_b32_e32 v3, 0x80
	v_cmp_ne_u16_sdwa s5, v2, v3 src0_sel:BYTE_0 src1_sel:DWORD
	s_and_saveexec_b32 s7, s5
	s_cbranch_execz .LBB259_978
; %bb.973:                              ;   in Loop: Header=BB259_11 Depth=1
	v_mov_b32_e32 v8, 0x7f800001
	v_and_b32_e32 v4, 0x7f, v2
	v_mov_b32_e32 v9, 0
	s_mov_b32 s19, exec_lo
	buffer_store_dword v8, off, s[0:3], s32 offset:1160 ; 4-byte Folded Spill
	buffer_store_dword v9, off, s[0:3], s32 offset:1164 ; 4-byte Folded Spill
	v_cmpx_ne_u32_e32 0x7f, v4
	s_cbranch_execz .LBB259_977
; %bb.974:                              ;   in Loop: Header=BB259_11 Depth=1
	v_and_b32_e32 v27, 7, v2
	v_lshrrev_b32_e32 v3, 3, v4
	s_mov_b32 s22, exec_lo
	v_cmpx_gt_u32_e32 8, v4
; %bb.975:                              ;   in Loop: Header=BB259_11 Depth=1
	v_ffbh_u32_e32 v3, v27
	v_min_u32_e32 v3, 32, v3
	v_subrev_nc_u32_e32 v4, 28, v3
	v_sub_nc_u32_e32 v3, 29, v3
	v_lshlrev_b64 v[4:5], v4, v[27:28]
	v_and_b32_e32 v27, 7, v4
; %bb.976:                              ;   in Loop: Header=BB259_11 Depth=1
	s_or_b32 exec_lo, exec_lo, s22
	v_lshlrev_b32_e32 v4, 24, v2
	v_lshlrev_b32_e32 v5, 20, v27
	v_lshl_add_u32 v3, v3, 23, 0x3c000000
	v_and_b32_e32 v4, 0x80000000, v4
	v_or3_b32 v27, v5, v4, v3
	buffer_store_dword v27, off, s[0:3], s32 offset:1160 ; 4-byte Folded Spill
	buffer_store_dword v28, off, s[0:3], s32 offset:1164 ; 4-byte Folded Spill
.LBB259_977:                            ;   in Loop: Header=BB259_11 Depth=1
	s_or_b32 exec_lo, exec_lo, s19
.LBB259_978:                            ;   in Loop: Header=BB259_11 Depth=1
	s_or_b32 exec_lo, exec_lo, s7
.LBB259_979:                            ;   in Loop: Header=BB259_11 Depth=1
	s_or_b32 exec_lo, exec_lo, s6
	v_cmp_ne_u16_sdwa s5, v2, v28 src0_sel:BYTE_1 src1_sel:DWORD
	s_and_saveexec_b32 s6, s5
	s_cbranch_execz .LBB259_987
; %bb.980:                              ;   in Loop: Header=BB259_11 Depth=1
	v_mov_b32_e32 v3, 0x80
	v_mov_b32_e32 v98, v28
	buffer_store_dword v98, off, s[0:3], s32 offset:1168 ; 4-byte Folded Spill
	buffer_store_dword v99, off, s[0:3], s32 offset:1172 ; 4-byte Folded Spill
	v_cmp_ne_u16_sdwa s5, v2, v3 src0_sel:BYTE_1 src1_sel:DWORD
	s_and_saveexec_b32 s7, s5
	s_cbranch_execz .LBB259_986
; %bb.981:                              ;   in Loop: Header=BB259_11 Depth=1
	v_mov_b32_e32 v3, 0xffff
	v_mov_b32_e32 v116, v28
	s_mov_b32 s19, exec_lo
	buffer_store_dword v116, off, s[0:3], s32 offset:1168 ; 4-byte Folded Spill
	buffer_store_dword v117, off, s[0:3], s32 offset:1172 ; 4-byte Folded Spill
	v_and_b32_sdwa v3, v3, v2 dst_sel:DWORD dst_unused:UNUSED_PAD src0_sel:DWORD src1_sel:BYTE_1
	v_and_b32_e32 v4, 0x7f, v3
	v_cmpx_ne_u32_e32 0x7f, v4
	s_cbranch_execz .LBB259_985
; %bb.982:                              ;   in Loop: Header=BB259_11 Depth=1
	v_and_b32_e32 v27, 7, v3
	v_lshrrev_b32_e32 v3, 3, v4
	s_mov_b32 s22, exec_lo
	v_cmpx_gt_u32_e32 8, v4
; %bb.983:                              ;   in Loop: Header=BB259_11 Depth=1
	v_ffbh_u32_e32 v3, v27
	v_min_u32_e32 v3, 32, v3
	v_subrev_nc_u32_e32 v4, 28, v3
	v_sub_nc_u32_e32 v3, 29, v3
	v_lshlrev_b64 v[4:5], v4, v[27:28]
	v_and_b32_e32 v27, 7, v4
; %bb.984:                              ;   in Loop: Header=BB259_11 Depth=1
	s_or_b32 exec_lo, exec_lo, s22
	v_lshlrev_b32_e32 v4, 16, v2
	v_lshlrev_b32_e32 v5, 20, v27
	v_lshl_add_u32 v3, v3, 23, 0x3c000000
	v_and_b32_e32 v4, 0x80000000, v4
	v_or3_b32 v4, v5, v4, v3
	v_mov_b32_e32 v3, v28
	buffer_store_dword v3, off, s[0:3], s32 offset:1168 ; 4-byte Folded Spill
	buffer_store_dword v4, off, s[0:3], s32 offset:1172 ; 4-byte Folded Spill
.LBB259_985:                            ;   in Loop: Header=BB259_11 Depth=1
	s_or_b32 exec_lo, exec_lo, s19
.LBB259_986:                            ;   in Loop: Header=BB259_11 Depth=1
	s_or_b32 exec_lo, exec_lo, s7
.LBB259_987:                            ;   in Loop: Header=BB259_11 Depth=1
	s_or_b32 exec_lo, exec_lo, s6
	v_mov_b32_e32 v4, 0
	v_mov_b32_e32 v5, 0
	v_and_b32_sdwa v3, v2, v6 dst_sel:DWORD dst_unused:UNUSED_PAD src0_sel:WORD_1 src1_sel:DWORD
	s_mov_b32 s6, exec_lo
	buffer_store_dword v4, off, s[0:3], s32 offset:1176 ; 4-byte Folded Spill
	buffer_store_dword v5, off, s[0:3], s32 offset:1180 ; 4-byte Folded Spill
	v_mov_b32_e32 v4, 0
	v_mov_b32_e32 v5, 0
	buffer_store_dword v4, off, s[0:3], s32 offset:1184 ; 4-byte Folded Spill
	buffer_store_dword v5, off, s[0:3], s32 offset:1188 ; 4-byte Folded Spill
	v_cmpx_ne_u16_e32 0, v3
	s_cbranch_execz .LBB259_995
; %bb.988:                              ;   in Loop: Header=BB259_11 Depth=1
	v_cmp_ne_u16_e64 s5, 0x80, v3
	v_bfrev_b32_e32 v3, 1
	v_mov_b32_e32 v4, 0
	buffer_store_dword v3, off, s[0:3], s32 offset:1184 ; 4-byte Folded Spill
	buffer_store_dword v4, off, s[0:3], s32 offset:1188 ; 4-byte Folded Spill
	s_and_saveexec_b32 s7, s5
	s_cbranch_execz .LBB259_994
; %bb.989:                              ;   in Loop: Header=BB259_11 Depth=1
	v_mov_b32_e32 v8, 0x7f800001
	v_bfe_u32 v4, v2, 16, 7
	v_mov_b32_e32 v9, 0
	s_mov_b32 s19, exec_lo
	buffer_store_dword v8, off, s[0:3], s32 offset:1184 ; 4-byte Folded Spill
	buffer_store_dword v9, off, s[0:3], s32 offset:1188 ; 4-byte Folded Spill
	v_cmpx_ne_u32_e32 0x7f, v4
	s_cbranch_execz .LBB259_993
; %bb.990:                              ;   in Loop: Header=BB259_11 Depth=1
	v_mov_b32_e32 v3, 7
	s_mov_b32 s22, exec_lo
	v_and_b32_sdwa v27, v2, v3 dst_sel:DWORD dst_unused:UNUSED_PAD src0_sel:WORD_1 src1_sel:DWORD
	v_lshrrev_b32_e32 v3, 3, v4
	v_cmpx_gt_u32_e32 8, v4
; %bb.991:                              ;   in Loop: Header=BB259_11 Depth=1
	v_ffbh_u32_e32 v3, v27
	v_min_u32_e32 v3, 32, v3
	v_subrev_nc_u32_e32 v4, 28, v3
	v_sub_nc_u32_e32 v3, 29, v3
	v_lshlrev_b64 v[4:5], v4, v[27:28]
	v_and_b32_e32 v27, 7, v4
; %bb.992:                              ;   in Loop: Header=BB259_11 Depth=1
	s_or_b32 exec_lo, exec_lo, s22
	v_mov_b32_e32 v4, 24
	v_lshlrev_b32_e32 v5, 20, v27
	v_lshl_add_u32 v3, v3, 23, 0x3c000000
	v_lshlrev_b32_sdwa v4, v4, v2 dst_sel:DWORD dst_unused:UNUSED_PAD src0_sel:DWORD src1_sel:WORD_1
	v_and_b32_e32 v4, 0x80000000, v4
	v_or3_b32 v27, v5, v4, v3
	buffer_store_dword v27, off, s[0:3], s32 offset:1184 ; 4-byte Folded Spill
	buffer_store_dword v28, off, s[0:3], s32 offset:1188 ; 4-byte Folded Spill
.LBB259_993:                            ;   in Loop: Header=BB259_11 Depth=1
	s_or_b32 exec_lo, exec_lo, s19
.LBB259_994:                            ;   in Loop: Header=BB259_11 Depth=1
	s_or_b32 exec_lo, exec_lo, s7
.LBB259_995:                            ;   in Loop: Header=BB259_11 Depth=1
	s_or_b32 exec_lo, exec_lo, s6
	s_mov_b32 s6, exec_lo
	v_cmpx_lt_u32_e32 0xffffff, v2
	s_cbranch_execz .LBB259_1003
; %bb.996:                              ;   in Loop: Header=BB259_11 Depth=1
	v_mov_b32_e32 v3, 0x80
	v_mov_b32_e32 v98, v28
	buffer_store_dword v98, off, s[0:3], s32 offset:1176 ; 4-byte Folded Spill
	buffer_store_dword v99, off, s[0:3], s32 offset:1180 ; 4-byte Folded Spill
	v_cmp_ne_u32_sdwa s5, v2, v3 src0_sel:BYTE_3 src1_sel:DWORD
	s_and_saveexec_b32 s7, s5
	s_cbranch_execz .LBB259_1002
; %bb.997:                              ;   in Loop: Header=BB259_11 Depth=1
	v_bfe_u32 v4, v2, 24, 7
	v_mov_b32_e32 v116, v28
	s_mov_b32 s19, exec_lo
	buffer_store_dword v116, off, s[0:3], s32 offset:1176 ; 4-byte Folded Spill
	buffer_store_dword v117, off, s[0:3], s32 offset:1180 ; 4-byte Folded Spill
	v_cmpx_ne_u32_e32 0x7f, v4
	s_cbranch_execz .LBB259_1001
; %bb.998:                              ;   in Loop: Header=BB259_11 Depth=1
	v_mov_b32_e32 v3, 7
	s_mov_b32 s22, exec_lo
	v_and_b32_sdwa v27, v2, v3 dst_sel:DWORD dst_unused:UNUSED_PAD src0_sel:BYTE_3 src1_sel:DWORD
	v_lshrrev_b32_e32 v3, 3, v4
	v_cmpx_gt_u32_e32 8, v4
; %bb.999:                              ;   in Loop: Header=BB259_11 Depth=1
	v_ffbh_u32_e32 v3, v27
	v_min_u32_e32 v3, 32, v3
	v_subrev_nc_u32_e32 v4, 28, v3
	v_sub_nc_u32_e32 v3, 29, v3
	v_lshlrev_b64 v[4:5], v4, v[27:28]
	v_and_b32_e32 v27, 7, v4
; %bb.1000:                             ;   in Loop: Header=BB259_11 Depth=1
	s_or_b32 exec_lo, exec_lo, s22
	v_mov_b32_e32 v4, 24
	v_lshl_add_u32 v3, v3, 23, 0x3c000000
	v_lshlrev_b32_sdwa v2, v4, v2 dst_sel:DWORD dst_unused:UNUSED_PAD src0_sel:DWORD src1_sel:BYTE_3
	v_lshlrev_b32_e32 v4, 20, v27
	v_and_b32_e32 v2, 0x80000000, v2
	v_or3_b32 v3, v4, v2, v3
	v_mov_b32_e32 v2, v28
	buffer_store_dword v2, off, s[0:3], s32 offset:1176 ; 4-byte Folded Spill
	buffer_store_dword v3, off, s[0:3], s32 offset:1180 ; 4-byte Folded Spill
.LBB259_1001:                           ;   in Loop: Header=BB259_11 Depth=1
	s_or_b32 exec_lo, exec_lo, s19
.LBB259_1002:                           ;   in Loop: Header=BB259_11 Depth=1
	s_or_b32 exec_lo, exec_lo, s7
.LBB259_1003:                           ;   in Loop: Header=BB259_11 Depth=1
	s_or_b32 exec_lo, exec_lo, s6
	flat_load_dword v0, v[0:1] offset:1548
	v_mov_b32_e32 v1, 0
	v_mov_b32_e32 v2, 0
	buffer_store_dword v1, off, s[0:3], s32 offset:1200 ; 4-byte Folded Spill
	buffer_store_dword v2, off, s[0:3], s32 offset:1204 ; 4-byte Folded Spill
	v_mov_b32_e32 v1, 0
	v_mov_b32_e32 v2, 0
	buffer_store_dword v1, off, s[0:3], s32 offset:1192 ; 4-byte Folded Spill
	buffer_store_dword v2, off, s[0:3], s32 offset:1196 ; 4-byte Folded Spill
	s_waitcnt vmcnt(0) lgkmcnt(0)
	v_cmp_ne_u16_sdwa s5, v0, v28 src0_sel:BYTE_0 src1_sel:DWORD
	s_and_saveexec_b32 s6, s5
	s_cbranch_execz .LBB259_1011
; %bb.1004:                             ;   in Loop: Header=BB259_11 Depth=1
	v_bfrev_b32_e32 v1, 1
	v_mov_b32_e32 v2, 0
	buffer_store_dword v1, off, s[0:3], s32 offset:1192 ; 4-byte Folded Spill
	buffer_store_dword v2, off, s[0:3], s32 offset:1196 ; 4-byte Folded Spill
	v_mov_b32_e32 v1, 0x80
	v_cmp_ne_u16_sdwa s5, v0, v1 src0_sel:BYTE_0 src1_sel:DWORD
	s_and_saveexec_b32 s7, s5
	s_cbranch_execz .LBB259_1010
; %bb.1005:                             ;   in Loop: Header=BB259_11 Depth=1
	v_mov_b32_e32 v3, 0x7f800001
	v_and_b32_e32 v2, 0x7f, v0
	v_mov_b32_e32 v4, 0
	s_mov_b32 s19, exec_lo
	buffer_store_dword v3, off, s[0:3], s32 offset:1192 ; 4-byte Folded Spill
	buffer_store_dword v4, off, s[0:3], s32 offset:1196 ; 4-byte Folded Spill
	v_cmpx_ne_u32_e32 0x7f, v2
	s_cbranch_execz .LBB259_1009
; %bb.1006:                             ;   in Loop: Header=BB259_11 Depth=1
	v_and_b32_e32 v27, 7, v0
	v_lshrrev_b32_e32 v1, 3, v2
	s_mov_b32 s22, exec_lo
	v_cmpx_gt_u32_e32 8, v2
; %bb.1007:                             ;   in Loop: Header=BB259_11 Depth=1
	v_ffbh_u32_e32 v1, v27
	v_min_u32_e32 v1, 32, v1
	v_subrev_nc_u32_e32 v2, 28, v1
	v_sub_nc_u32_e32 v1, 29, v1
	v_lshlrev_b64 v[2:3], v2, v[27:28]
	v_and_b32_e32 v27, 7, v2
; %bb.1008:                             ;   in Loop: Header=BB259_11 Depth=1
	s_or_b32 exec_lo, exec_lo, s22
	v_lshlrev_b32_e32 v2, 24, v0
	v_lshlrev_b32_e32 v3, 20, v27
	v_lshl_add_u32 v1, v1, 23, 0x3c000000
	v_and_b32_e32 v2, 0x80000000, v2
	v_or3_b32 v27, v3, v2, v1
	buffer_store_dword v27, off, s[0:3], s32 offset:1192 ; 4-byte Folded Spill
	buffer_store_dword v28, off, s[0:3], s32 offset:1196 ; 4-byte Folded Spill
.LBB259_1009:                           ;   in Loop: Header=BB259_11 Depth=1
	s_or_b32 exec_lo, exec_lo, s19
.LBB259_1010:                           ;   in Loop: Header=BB259_11 Depth=1
	s_or_b32 exec_lo, exec_lo, s7
.LBB259_1011:                           ;   in Loop: Header=BB259_11 Depth=1
	s_or_b32 exec_lo, exec_lo, s6
	v_cmp_ne_u16_sdwa s5, v0, v28 src0_sel:BYTE_1 src1_sel:DWORD
	s_and_saveexec_b32 s6, s5
	s_cbranch_execz .LBB259_1019
; %bb.1012:                             ;   in Loop: Header=BB259_11 Depth=1
	v_mov_b32_e32 v1, 0x80
	v_mov_b32_e32 v98, v28
	buffer_store_dword v98, off, s[0:3], s32 offset:1200 ; 4-byte Folded Spill
	buffer_store_dword v99, off, s[0:3], s32 offset:1204 ; 4-byte Folded Spill
	v_cmp_ne_u16_sdwa s5, v0, v1 src0_sel:BYTE_1 src1_sel:DWORD
	s_and_saveexec_b32 s7, s5
	s_cbranch_execz .LBB259_1018
; %bb.1013:                             ;   in Loop: Header=BB259_11 Depth=1
	v_mov_b32_e32 v1, 0xffff
	v_mov_b32_e32 v116, v28
	s_mov_b32 s19, exec_lo
	buffer_store_dword v116, off, s[0:3], s32 offset:1200 ; 4-byte Folded Spill
	buffer_store_dword v117, off, s[0:3], s32 offset:1204 ; 4-byte Folded Spill
	v_and_b32_sdwa v1, v1, v0 dst_sel:DWORD dst_unused:UNUSED_PAD src0_sel:DWORD src1_sel:BYTE_1
	v_and_b32_e32 v2, 0x7f, v1
	v_cmpx_ne_u32_e32 0x7f, v2
	s_cbranch_execz .LBB259_1017
; %bb.1014:                             ;   in Loop: Header=BB259_11 Depth=1
	v_and_b32_e32 v27, 7, v1
	v_lshrrev_b32_e32 v1, 3, v2
	s_mov_b32 s22, exec_lo
	v_cmpx_gt_u32_e32 8, v2
; %bb.1015:                             ;   in Loop: Header=BB259_11 Depth=1
	v_ffbh_u32_e32 v1, v27
	v_min_u32_e32 v1, 32, v1
	v_subrev_nc_u32_e32 v2, 28, v1
	v_sub_nc_u32_e32 v1, 29, v1
	v_lshlrev_b64 v[2:3], v2, v[27:28]
	v_and_b32_e32 v27, 7, v2
; %bb.1016:                             ;   in Loop: Header=BB259_11 Depth=1
	s_or_b32 exec_lo, exec_lo, s22
	v_lshlrev_b32_e32 v2, 16, v0
	v_lshlrev_b32_e32 v3, 20, v27
	v_lshl_add_u32 v1, v1, 23, 0x3c000000
	v_and_b32_e32 v2, 0x80000000, v2
	v_or3_b32 v2, v3, v2, v1
	v_mov_b32_e32 v1, v28
	buffer_store_dword v1, off, s[0:3], s32 offset:1200 ; 4-byte Folded Spill
	buffer_store_dword v2, off, s[0:3], s32 offset:1204 ; 4-byte Folded Spill
.LBB259_1017:                           ;   in Loop: Header=BB259_11 Depth=1
	s_or_b32 exec_lo, exec_lo, s19
.LBB259_1018:                           ;   in Loop: Header=BB259_11 Depth=1
	s_or_b32 exec_lo, exec_lo, s7
.LBB259_1019:                           ;   in Loop: Header=BB259_11 Depth=1
	s_or_b32 exec_lo, exec_lo, s6
	v_mov_b32_e32 v2, 0
	v_mov_b32_e32 v3, 0
	v_and_b32_sdwa v1, v0, v6 dst_sel:DWORD dst_unused:UNUSED_PAD src0_sel:WORD_1 src1_sel:DWORD
	s_mov_b32 s6, exec_lo
	buffer_store_dword v2, off, s[0:3], s32 offset:1208 ; 4-byte Folded Spill
	buffer_store_dword v3, off, s[0:3], s32 offset:1212 ; 4-byte Folded Spill
	v_mov_b32_e32 v2, 0
	v_mov_b32_e32 v3, 0
	buffer_store_dword v2, off, s[0:3], s32 offset:1216 ; 4-byte Folded Spill
	buffer_store_dword v3, off, s[0:3], s32 offset:1220 ; 4-byte Folded Spill
	v_cmpx_ne_u16_e32 0, v1
	s_cbranch_execz .LBB259_1027
; %bb.1020:                             ;   in Loop: Header=BB259_11 Depth=1
	v_cmp_ne_u16_e64 s5, 0x80, v1
	v_bfrev_b32_e32 v1, 1
	v_mov_b32_e32 v2, 0
	buffer_store_dword v1, off, s[0:3], s32 offset:1216 ; 4-byte Folded Spill
	buffer_store_dword v2, off, s[0:3], s32 offset:1220 ; 4-byte Folded Spill
	s_and_saveexec_b32 s7, s5
	s_cbranch_execz .LBB259_1026
; %bb.1021:                             ;   in Loop: Header=BB259_11 Depth=1
	v_mov_b32_e32 v3, 0x7f800001
	v_bfe_u32 v2, v0, 16, 7
	v_mov_b32_e32 v4, 0
	s_mov_b32 s19, exec_lo
	buffer_store_dword v3, off, s[0:3], s32 offset:1216 ; 4-byte Folded Spill
	buffer_store_dword v4, off, s[0:3], s32 offset:1220 ; 4-byte Folded Spill
	v_cmpx_ne_u32_e32 0x7f, v2
	s_cbranch_execz .LBB259_1025
; %bb.1022:                             ;   in Loop: Header=BB259_11 Depth=1
	v_mov_b32_e32 v1, 7
	s_mov_b32 s22, exec_lo
	v_and_b32_sdwa v27, v0, v1 dst_sel:DWORD dst_unused:UNUSED_PAD src0_sel:WORD_1 src1_sel:DWORD
	v_lshrrev_b32_e32 v1, 3, v2
	v_cmpx_gt_u32_e32 8, v2
; %bb.1023:                             ;   in Loop: Header=BB259_11 Depth=1
	v_ffbh_u32_e32 v1, v27
	v_min_u32_e32 v1, 32, v1
	v_subrev_nc_u32_e32 v2, 28, v1
	v_sub_nc_u32_e32 v1, 29, v1
	v_lshlrev_b64 v[2:3], v2, v[27:28]
	v_and_b32_e32 v27, 7, v2
; %bb.1024:                             ;   in Loop: Header=BB259_11 Depth=1
	s_or_b32 exec_lo, exec_lo, s22
	v_mov_b32_e32 v2, 24
	v_lshlrev_b32_e32 v3, 20, v27
	v_lshl_add_u32 v1, v1, 23, 0x3c000000
	v_lshlrev_b32_sdwa v2, v2, v0 dst_sel:DWORD dst_unused:UNUSED_PAD src0_sel:DWORD src1_sel:WORD_1
	v_and_b32_e32 v2, 0x80000000, v2
	v_or3_b32 v27, v3, v2, v1
	buffer_store_dword v27, off, s[0:3], s32 offset:1216 ; 4-byte Folded Spill
	buffer_store_dword v28, off, s[0:3], s32 offset:1220 ; 4-byte Folded Spill
.LBB259_1025:                           ;   in Loop: Header=BB259_11 Depth=1
	s_or_b32 exec_lo, exec_lo, s19
.LBB259_1026:                           ;   in Loop: Header=BB259_11 Depth=1
	s_or_b32 exec_lo, exec_lo, s7
.LBB259_1027:                           ;   in Loop: Header=BB259_11 Depth=1
	s_or_b32 exec_lo, exec_lo, s6
	s_mov_b32 s6, exec_lo
	v_cmpx_lt_u32_e32 0xffffff, v0
	s_cbranch_execz .LBB259_1035
; %bb.1028:                             ;   in Loop: Header=BB259_11 Depth=1
	v_mov_b32_e32 v1, 0x80
	v_mov_b32_e32 v98, v28
	buffer_store_dword v98, off, s[0:3], s32 offset:1208 ; 4-byte Folded Spill
	buffer_store_dword v99, off, s[0:3], s32 offset:1212 ; 4-byte Folded Spill
	v_cmp_ne_u32_sdwa s5, v0, v1 src0_sel:BYTE_3 src1_sel:DWORD
	s_and_saveexec_b32 s7, s5
	s_cbranch_execz .LBB259_1034
; %bb.1029:                             ;   in Loop: Header=BB259_11 Depth=1
	v_bfe_u32 v2, v0, 24, 7
	v_mov_b32_e32 v116, v28
	s_mov_b32 s19, exec_lo
	buffer_store_dword v116, off, s[0:3], s32 offset:1208 ; 4-byte Folded Spill
	buffer_store_dword v117, off, s[0:3], s32 offset:1212 ; 4-byte Folded Spill
	v_cmpx_ne_u32_e32 0x7f, v2
	s_cbranch_execz .LBB259_1033
; %bb.1030:                             ;   in Loop: Header=BB259_11 Depth=1
	v_mov_b32_e32 v1, 7
	s_mov_b32 s22, exec_lo
	v_and_b32_sdwa v27, v0, v1 dst_sel:DWORD dst_unused:UNUSED_PAD src0_sel:BYTE_3 src1_sel:DWORD
	v_lshrrev_b32_e32 v1, 3, v2
	v_cmpx_gt_u32_e32 8, v2
; %bb.1031:                             ;   in Loop: Header=BB259_11 Depth=1
	v_ffbh_u32_e32 v1, v27
	v_min_u32_e32 v1, 32, v1
	v_subrev_nc_u32_e32 v2, 28, v1
	v_sub_nc_u32_e32 v1, 29, v1
	v_lshlrev_b64 v[2:3], v2, v[27:28]
	v_and_b32_e32 v27, 7, v2
; %bb.1032:                             ;   in Loop: Header=BB259_11 Depth=1
	s_or_b32 exec_lo, exec_lo, s22
	v_mov_b32_e32 v2, 24
	v_lshl_add_u32 v1, v1, 23, 0x3c000000
	v_lshlrev_b32_sdwa v0, v2, v0 dst_sel:DWORD dst_unused:UNUSED_PAD src0_sel:DWORD src1_sel:BYTE_3
	v_lshlrev_b32_e32 v2, 20, v27
	v_and_b32_e32 v0, 0x80000000, v0
	v_or3_b32 v1, v2, v0, v1
	v_mov_b32_e32 v0, v28
	buffer_store_dword v0, off, s[0:3], s32 offset:1208 ; 4-byte Folded Spill
	buffer_store_dword v1, off, s[0:3], s32 offset:1212 ; 4-byte Folded Spill
.LBB259_1033:                           ;   in Loop: Header=BB259_11 Depth=1
	s_or_b32 exec_lo, exec_lo, s19
.LBB259_1034:                           ;   in Loop: Header=BB259_11 Depth=1
	s_or_b32 exec_lo, exec_lo, s7
.LBB259_1035:                           ;   in Loop: Header=BB259_11 Depth=1
	s_or_b32 exec_lo, exec_lo, s6
	v_add_co_u32 v66, s5, 0x1000, v45
	v_add_co_ci_u32_e64 v67, null, 0, v46, s5
	v_mov_b32_e32 v1, 0
	v_mov_b32_e32 v2, 0
	flat_load_dword v0, v[66:67]
	buffer_store_dword v1, off, s[0:3], s32 offset:1232 ; 4-byte Folded Spill
	buffer_store_dword v2, off, s[0:3], s32 offset:1236 ; 4-byte Folded Spill
	v_mov_b32_e32 v1, 0
	v_mov_b32_e32 v2, 0
	buffer_store_dword v1, off, s[0:3], s32 offset:1224 ; 4-byte Folded Spill
	buffer_store_dword v2, off, s[0:3], s32 offset:1228 ; 4-byte Folded Spill
	s_waitcnt vmcnt(0) lgkmcnt(0)
	v_cmp_ne_u16_sdwa s5, v0, v28 src0_sel:BYTE_0 src1_sel:DWORD
	s_and_saveexec_b32 s6, s5
	s_cbranch_execz .LBB259_1043
; %bb.1036:                             ;   in Loop: Header=BB259_11 Depth=1
	v_bfrev_b32_e32 v1, 1
	v_mov_b32_e32 v2, 0
	buffer_store_dword v1, off, s[0:3], s32 offset:1224 ; 4-byte Folded Spill
	buffer_store_dword v2, off, s[0:3], s32 offset:1228 ; 4-byte Folded Spill
	v_mov_b32_e32 v1, 0x80
	v_cmp_ne_u16_sdwa s5, v0, v1 src0_sel:BYTE_0 src1_sel:DWORD
	s_and_saveexec_b32 s7, s5
	s_cbranch_execz .LBB259_1042
; %bb.1037:                             ;   in Loop: Header=BB259_11 Depth=1
	v_mov_b32_e32 v3, 0x7f800001
	v_and_b32_e32 v2, 0x7f, v0
	v_mov_b32_e32 v4, 0
	s_mov_b32 s19, exec_lo
	buffer_store_dword v3, off, s[0:3], s32 offset:1224 ; 4-byte Folded Spill
	buffer_store_dword v4, off, s[0:3], s32 offset:1228 ; 4-byte Folded Spill
	v_cmpx_ne_u32_e32 0x7f, v2
	s_cbranch_execz .LBB259_1041
; %bb.1038:                             ;   in Loop: Header=BB259_11 Depth=1
	v_and_b32_e32 v27, 7, v0
	v_lshrrev_b32_e32 v1, 3, v2
	s_mov_b32 s22, exec_lo
	v_cmpx_gt_u32_e32 8, v2
; %bb.1039:                             ;   in Loop: Header=BB259_11 Depth=1
	v_ffbh_u32_e32 v1, v27
	v_min_u32_e32 v1, 32, v1
	v_subrev_nc_u32_e32 v2, 28, v1
	v_sub_nc_u32_e32 v1, 29, v1
	v_lshlrev_b64 v[2:3], v2, v[27:28]
	v_and_b32_e32 v27, 7, v2
; %bb.1040:                             ;   in Loop: Header=BB259_11 Depth=1
	s_or_b32 exec_lo, exec_lo, s22
	v_lshlrev_b32_e32 v2, 24, v0
	v_lshlrev_b32_e32 v3, 20, v27
	v_lshl_add_u32 v1, v1, 23, 0x3c000000
	v_and_b32_e32 v2, 0x80000000, v2
	v_or3_b32 v27, v3, v2, v1
	buffer_store_dword v27, off, s[0:3], s32 offset:1224 ; 4-byte Folded Spill
	buffer_store_dword v28, off, s[0:3], s32 offset:1228 ; 4-byte Folded Spill
.LBB259_1041:                           ;   in Loop: Header=BB259_11 Depth=1
	s_or_b32 exec_lo, exec_lo, s19
.LBB259_1042:                           ;   in Loop: Header=BB259_11 Depth=1
	s_or_b32 exec_lo, exec_lo, s7
.LBB259_1043:                           ;   in Loop: Header=BB259_11 Depth=1
	s_or_b32 exec_lo, exec_lo, s6
	v_cmp_ne_u16_sdwa s5, v0, v28 src0_sel:BYTE_1 src1_sel:DWORD
	s_and_saveexec_b32 s6, s5
	s_cbranch_execz .LBB259_1051
; %bb.1044:                             ;   in Loop: Header=BB259_11 Depth=1
	v_mov_b32_e32 v1, 0x80
	v_mov_b32_e32 v98, v28
	buffer_store_dword v98, off, s[0:3], s32 offset:1232 ; 4-byte Folded Spill
	buffer_store_dword v99, off, s[0:3], s32 offset:1236 ; 4-byte Folded Spill
	v_cmp_ne_u16_sdwa s5, v0, v1 src0_sel:BYTE_1 src1_sel:DWORD
	s_and_saveexec_b32 s7, s5
	s_cbranch_execz .LBB259_1050
; %bb.1045:                             ;   in Loop: Header=BB259_11 Depth=1
	v_mov_b32_e32 v1, 0xffff
	v_mov_b32_e32 v116, v28
	s_mov_b32 s19, exec_lo
	buffer_store_dword v116, off, s[0:3], s32 offset:1232 ; 4-byte Folded Spill
	buffer_store_dword v117, off, s[0:3], s32 offset:1236 ; 4-byte Folded Spill
	v_and_b32_sdwa v1, v1, v0 dst_sel:DWORD dst_unused:UNUSED_PAD src0_sel:DWORD src1_sel:BYTE_1
	v_and_b32_e32 v2, 0x7f, v1
	v_cmpx_ne_u32_e32 0x7f, v2
	s_cbranch_execz .LBB259_1049
; %bb.1046:                             ;   in Loop: Header=BB259_11 Depth=1
	v_and_b32_e32 v27, 7, v1
	v_lshrrev_b32_e32 v1, 3, v2
	s_mov_b32 s22, exec_lo
	v_cmpx_gt_u32_e32 8, v2
; %bb.1047:                             ;   in Loop: Header=BB259_11 Depth=1
	v_ffbh_u32_e32 v1, v27
	v_min_u32_e32 v1, 32, v1
	v_subrev_nc_u32_e32 v2, 28, v1
	v_sub_nc_u32_e32 v1, 29, v1
	v_lshlrev_b64 v[2:3], v2, v[27:28]
	v_and_b32_e32 v27, 7, v2
; %bb.1048:                             ;   in Loop: Header=BB259_11 Depth=1
	s_or_b32 exec_lo, exec_lo, s22
	v_lshlrev_b32_e32 v2, 16, v0
	v_lshlrev_b32_e32 v3, 20, v27
	v_lshl_add_u32 v1, v1, 23, 0x3c000000
	v_and_b32_e32 v2, 0x80000000, v2
	v_or3_b32 v2, v3, v2, v1
	v_mov_b32_e32 v1, v28
	buffer_store_dword v1, off, s[0:3], s32 offset:1232 ; 4-byte Folded Spill
	buffer_store_dword v2, off, s[0:3], s32 offset:1236 ; 4-byte Folded Spill
.LBB259_1049:                           ;   in Loop: Header=BB259_11 Depth=1
	s_or_b32 exec_lo, exec_lo, s19
.LBB259_1050:                           ;   in Loop: Header=BB259_11 Depth=1
	s_or_b32 exec_lo, exec_lo, s7
.LBB259_1051:                           ;   in Loop: Header=BB259_11 Depth=1
	s_or_b32 exec_lo, exec_lo, s6
	v_mov_b32_e32 v2, 0
	v_mov_b32_e32 v3, 0
	v_and_b32_sdwa v1, v0, v6 dst_sel:DWORD dst_unused:UNUSED_PAD src0_sel:WORD_1 src1_sel:DWORD
	s_mov_b32 s6, exec_lo
	buffer_store_dword v2, off, s[0:3], s32 offset:1240 ; 4-byte Folded Spill
	buffer_store_dword v3, off, s[0:3], s32 offset:1244 ; 4-byte Folded Spill
	v_mov_b32_e32 v2, 0
	v_mov_b32_e32 v3, 0
	buffer_store_dword v2, off, s[0:3], s32 offset:1248 ; 4-byte Folded Spill
	buffer_store_dword v3, off, s[0:3], s32 offset:1252 ; 4-byte Folded Spill
	v_cmpx_ne_u16_e32 0, v1
	s_cbranch_execz .LBB259_1059
; %bb.1052:                             ;   in Loop: Header=BB259_11 Depth=1
	v_cmp_ne_u16_e64 s5, 0x80, v1
	v_bfrev_b32_e32 v1, 1
	v_mov_b32_e32 v2, 0
	buffer_store_dword v1, off, s[0:3], s32 offset:1248 ; 4-byte Folded Spill
	buffer_store_dword v2, off, s[0:3], s32 offset:1252 ; 4-byte Folded Spill
	s_and_saveexec_b32 s7, s5
	s_cbranch_execz .LBB259_1058
; %bb.1053:                             ;   in Loop: Header=BB259_11 Depth=1
	v_mov_b32_e32 v3, 0x7f800001
	v_bfe_u32 v2, v0, 16, 7
	v_mov_b32_e32 v4, 0
	s_mov_b32 s19, exec_lo
	buffer_store_dword v3, off, s[0:3], s32 offset:1248 ; 4-byte Folded Spill
	buffer_store_dword v4, off, s[0:3], s32 offset:1252 ; 4-byte Folded Spill
	v_cmpx_ne_u32_e32 0x7f, v2
	s_cbranch_execz .LBB259_1057
; %bb.1054:                             ;   in Loop: Header=BB259_11 Depth=1
	v_mov_b32_e32 v1, 7
	s_mov_b32 s22, exec_lo
	v_and_b32_sdwa v27, v0, v1 dst_sel:DWORD dst_unused:UNUSED_PAD src0_sel:WORD_1 src1_sel:DWORD
	v_lshrrev_b32_e32 v1, 3, v2
	v_cmpx_gt_u32_e32 8, v2
; %bb.1055:                             ;   in Loop: Header=BB259_11 Depth=1
	v_ffbh_u32_e32 v1, v27
	v_min_u32_e32 v1, 32, v1
	v_subrev_nc_u32_e32 v2, 28, v1
	v_sub_nc_u32_e32 v1, 29, v1
	v_lshlrev_b64 v[2:3], v2, v[27:28]
	v_and_b32_e32 v27, 7, v2
; %bb.1056:                             ;   in Loop: Header=BB259_11 Depth=1
	s_or_b32 exec_lo, exec_lo, s22
	v_mov_b32_e32 v2, 24
	v_lshlrev_b32_e32 v3, 20, v27
	v_lshl_add_u32 v1, v1, 23, 0x3c000000
	v_lshlrev_b32_sdwa v2, v2, v0 dst_sel:DWORD dst_unused:UNUSED_PAD src0_sel:DWORD src1_sel:WORD_1
	v_and_b32_e32 v2, 0x80000000, v2
	v_or3_b32 v27, v3, v2, v1
	buffer_store_dword v27, off, s[0:3], s32 offset:1248 ; 4-byte Folded Spill
	buffer_store_dword v28, off, s[0:3], s32 offset:1252 ; 4-byte Folded Spill
.LBB259_1057:                           ;   in Loop: Header=BB259_11 Depth=1
	s_or_b32 exec_lo, exec_lo, s19
.LBB259_1058:                           ;   in Loop: Header=BB259_11 Depth=1
	s_or_b32 exec_lo, exec_lo, s7
.LBB259_1059:                           ;   in Loop: Header=BB259_11 Depth=1
	s_or_b32 exec_lo, exec_lo, s6
	s_mov_b32 s6, exec_lo
	v_cmpx_lt_u32_e32 0xffffff, v0
	s_cbranch_execz .LBB259_1067
; %bb.1060:                             ;   in Loop: Header=BB259_11 Depth=1
	v_mov_b32_e32 v1, 0x80
	v_mov_b32_e32 v98, v28
	buffer_store_dword v98, off, s[0:3], s32 offset:1240 ; 4-byte Folded Spill
	buffer_store_dword v99, off, s[0:3], s32 offset:1244 ; 4-byte Folded Spill
	v_cmp_ne_u32_sdwa s5, v0, v1 src0_sel:BYTE_3 src1_sel:DWORD
	s_and_saveexec_b32 s7, s5
	s_cbranch_execz .LBB259_1066
; %bb.1061:                             ;   in Loop: Header=BB259_11 Depth=1
	v_bfe_u32 v2, v0, 24, 7
	v_mov_b32_e32 v116, v28
	s_mov_b32 s19, exec_lo
	buffer_store_dword v116, off, s[0:3], s32 offset:1240 ; 4-byte Folded Spill
	buffer_store_dword v117, off, s[0:3], s32 offset:1244 ; 4-byte Folded Spill
	v_cmpx_ne_u32_e32 0x7f, v2
	s_cbranch_execz .LBB259_1065
; %bb.1062:                             ;   in Loop: Header=BB259_11 Depth=1
	v_mov_b32_e32 v1, 7
	s_mov_b32 s22, exec_lo
	v_and_b32_sdwa v27, v0, v1 dst_sel:DWORD dst_unused:UNUSED_PAD src0_sel:BYTE_3 src1_sel:DWORD
	v_lshrrev_b32_e32 v1, 3, v2
	v_cmpx_gt_u32_e32 8, v2
; %bb.1063:                             ;   in Loop: Header=BB259_11 Depth=1
	v_ffbh_u32_e32 v1, v27
	v_min_u32_e32 v1, 32, v1
	v_subrev_nc_u32_e32 v2, 28, v1
	v_sub_nc_u32_e32 v1, 29, v1
	v_lshlrev_b64 v[2:3], v2, v[27:28]
	v_and_b32_e32 v27, 7, v2
; %bb.1064:                             ;   in Loop: Header=BB259_11 Depth=1
	s_or_b32 exec_lo, exec_lo, s22
	v_mov_b32_e32 v2, 24
	v_lshl_add_u32 v1, v1, 23, 0x3c000000
	v_lshlrev_b32_sdwa v0, v2, v0 dst_sel:DWORD dst_unused:UNUSED_PAD src0_sel:DWORD src1_sel:BYTE_3
	v_lshlrev_b32_e32 v2, 20, v27
	v_and_b32_e32 v0, 0x80000000, v0
	v_or3_b32 v1, v2, v0, v1
	v_mov_b32_e32 v0, v28
	buffer_store_dword v0, off, s[0:3], s32 offset:1240 ; 4-byte Folded Spill
	buffer_store_dword v1, off, s[0:3], s32 offset:1244 ; 4-byte Folded Spill
.LBB259_1065:                           ;   in Loop: Header=BB259_11 Depth=1
	s_or_b32 exec_lo, exec_lo, s19
.LBB259_1066:                           ;   in Loop: Header=BB259_11 Depth=1
	s_or_b32 exec_lo, exec_lo, s7
.LBB259_1067:                           ;   in Loop: Header=BB259_11 Depth=1
	s_or_b32 exec_lo, exec_lo, s6
	flat_load_dword v0, v[66:67] offset:4
	v_mov_b32_e32 v1, 0
	v_mov_b32_e32 v2, 0
	buffer_store_dword v1, off, s[0:3], s32 offset:1264 ; 4-byte Folded Spill
	buffer_store_dword v2, off, s[0:3], s32 offset:1268 ; 4-byte Folded Spill
	v_mov_b32_e32 v1, 0
	v_mov_b32_e32 v2, 0
	buffer_store_dword v1, off, s[0:3], s32 offset:1256 ; 4-byte Folded Spill
	buffer_store_dword v2, off, s[0:3], s32 offset:1260 ; 4-byte Folded Spill
	s_waitcnt vmcnt(0) lgkmcnt(0)
	v_cmp_ne_u16_sdwa s5, v0, v28 src0_sel:BYTE_0 src1_sel:DWORD
	s_and_saveexec_b32 s6, s5
	s_cbranch_execz .LBB259_1075
; %bb.1068:                             ;   in Loop: Header=BB259_11 Depth=1
	v_bfrev_b32_e32 v1, 1
	v_mov_b32_e32 v2, 0
	buffer_store_dword v1, off, s[0:3], s32 offset:1256 ; 4-byte Folded Spill
	buffer_store_dword v2, off, s[0:3], s32 offset:1260 ; 4-byte Folded Spill
	v_mov_b32_e32 v1, 0x80
	v_cmp_ne_u16_sdwa s5, v0, v1 src0_sel:BYTE_0 src1_sel:DWORD
	s_and_saveexec_b32 s7, s5
	s_cbranch_execz .LBB259_1074
; %bb.1069:                             ;   in Loop: Header=BB259_11 Depth=1
	v_mov_b32_e32 v3, 0x7f800001
	v_and_b32_e32 v2, 0x7f, v0
	v_mov_b32_e32 v4, 0
	s_mov_b32 s19, exec_lo
	buffer_store_dword v3, off, s[0:3], s32 offset:1256 ; 4-byte Folded Spill
	buffer_store_dword v4, off, s[0:3], s32 offset:1260 ; 4-byte Folded Spill
	v_cmpx_ne_u32_e32 0x7f, v2
	s_cbranch_execz .LBB259_1073
; %bb.1070:                             ;   in Loop: Header=BB259_11 Depth=1
	v_and_b32_e32 v27, 7, v0
	v_lshrrev_b32_e32 v1, 3, v2
	s_mov_b32 s22, exec_lo
	v_cmpx_gt_u32_e32 8, v2
; %bb.1071:                             ;   in Loop: Header=BB259_11 Depth=1
	v_ffbh_u32_e32 v1, v27
	v_min_u32_e32 v1, 32, v1
	v_subrev_nc_u32_e32 v2, 28, v1
	v_sub_nc_u32_e32 v1, 29, v1
	v_lshlrev_b64 v[2:3], v2, v[27:28]
	v_and_b32_e32 v27, 7, v2
; %bb.1072:                             ;   in Loop: Header=BB259_11 Depth=1
	s_or_b32 exec_lo, exec_lo, s22
	v_lshlrev_b32_e32 v2, 24, v0
	v_lshlrev_b32_e32 v3, 20, v27
	v_lshl_add_u32 v1, v1, 23, 0x3c000000
	v_and_b32_e32 v2, 0x80000000, v2
	v_or3_b32 v27, v3, v2, v1
	buffer_store_dword v27, off, s[0:3], s32 offset:1256 ; 4-byte Folded Spill
	buffer_store_dword v28, off, s[0:3], s32 offset:1260 ; 4-byte Folded Spill
.LBB259_1073:                           ;   in Loop: Header=BB259_11 Depth=1
	s_or_b32 exec_lo, exec_lo, s19
.LBB259_1074:                           ;   in Loop: Header=BB259_11 Depth=1
	s_or_b32 exec_lo, exec_lo, s7
.LBB259_1075:                           ;   in Loop: Header=BB259_11 Depth=1
	s_or_b32 exec_lo, exec_lo, s6
	v_cmp_ne_u16_sdwa s5, v0, v28 src0_sel:BYTE_1 src1_sel:DWORD
	s_and_saveexec_b32 s6, s5
	s_cbranch_execz .LBB259_1083
; %bb.1076:                             ;   in Loop: Header=BB259_11 Depth=1
	v_mov_b32_e32 v1, 0x80
	v_mov_b32_e32 v98, v28
	buffer_store_dword v98, off, s[0:3], s32 offset:1264 ; 4-byte Folded Spill
	buffer_store_dword v99, off, s[0:3], s32 offset:1268 ; 4-byte Folded Spill
	v_cmp_ne_u16_sdwa s5, v0, v1 src0_sel:BYTE_1 src1_sel:DWORD
	s_and_saveexec_b32 s7, s5
	s_cbranch_execz .LBB259_1082
; %bb.1077:                             ;   in Loop: Header=BB259_11 Depth=1
	v_mov_b32_e32 v1, 0xffff
	v_mov_b32_e32 v116, v28
	s_mov_b32 s19, exec_lo
	buffer_store_dword v116, off, s[0:3], s32 offset:1264 ; 4-byte Folded Spill
	buffer_store_dword v117, off, s[0:3], s32 offset:1268 ; 4-byte Folded Spill
	v_and_b32_sdwa v1, v1, v0 dst_sel:DWORD dst_unused:UNUSED_PAD src0_sel:DWORD src1_sel:BYTE_1
	v_and_b32_e32 v2, 0x7f, v1
	v_cmpx_ne_u32_e32 0x7f, v2
	s_cbranch_execz .LBB259_1081
; %bb.1078:                             ;   in Loop: Header=BB259_11 Depth=1
	v_and_b32_e32 v27, 7, v1
	v_lshrrev_b32_e32 v1, 3, v2
	s_mov_b32 s22, exec_lo
	v_cmpx_gt_u32_e32 8, v2
; %bb.1079:                             ;   in Loop: Header=BB259_11 Depth=1
	v_ffbh_u32_e32 v1, v27
	v_min_u32_e32 v1, 32, v1
	v_subrev_nc_u32_e32 v2, 28, v1
	v_sub_nc_u32_e32 v1, 29, v1
	v_lshlrev_b64 v[2:3], v2, v[27:28]
	v_and_b32_e32 v27, 7, v2
; %bb.1080:                             ;   in Loop: Header=BB259_11 Depth=1
	s_or_b32 exec_lo, exec_lo, s22
	v_lshlrev_b32_e32 v2, 16, v0
	v_lshlrev_b32_e32 v3, 20, v27
	v_lshl_add_u32 v1, v1, 23, 0x3c000000
	v_and_b32_e32 v2, 0x80000000, v2
	v_or3_b32 v2, v3, v2, v1
	v_mov_b32_e32 v1, v28
	buffer_store_dword v1, off, s[0:3], s32 offset:1264 ; 4-byte Folded Spill
	buffer_store_dword v2, off, s[0:3], s32 offset:1268 ; 4-byte Folded Spill
.LBB259_1081:                           ;   in Loop: Header=BB259_11 Depth=1
	s_or_b32 exec_lo, exec_lo, s19
.LBB259_1082:                           ;   in Loop: Header=BB259_11 Depth=1
	s_or_b32 exec_lo, exec_lo, s7
.LBB259_1083:                           ;   in Loop: Header=BB259_11 Depth=1
	s_or_b32 exec_lo, exec_lo, s6
	v_mov_b32_e32 v2, 0
	v_mov_b32_e32 v3, 0
	v_and_b32_sdwa v1, v0, v6 dst_sel:DWORD dst_unused:UNUSED_PAD src0_sel:WORD_1 src1_sel:DWORD
	s_mov_b32 s6, exec_lo
	buffer_store_dword v2, off, s[0:3], s32 offset:1272 ; 4-byte Folded Spill
	buffer_store_dword v3, off, s[0:3], s32 offset:1276 ; 4-byte Folded Spill
	v_mov_b32_e32 v2, 0
	v_mov_b32_e32 v3, 0
	buffer_store_dword v2, off, s[0:3], s32 offset:1280 ; 4-byte Folded Spill
	buffer_store_dword v3, off, s[0:3], s32 offset:1284 ; 4-byte Folded Spill
	v_cmpx_ne_u16_e32 0, v1
	s_cbranch_execz .LBB259_1091
; %bb.1084:                             ;   in Loop: Header=BB259_11 Depth=1
	v_cmp_ne_u16_e64 s5, 0x80, v1
	v_bfrev_b32_e32 v1, 1
	v_mov_b32_e32 v2, 0
	buffer_store_dword v1, off, s[0:3], s32 offset:1280 ; 4-byte Folded Spill
	buffer_store_dword v2, off, s[0:3], s32 offset:1284 ; 4-byte Folded Spill
	s_and_saveexec_b32 s7, s5
	s_cbranch_execz .LBB259_1090
; %bb.1085:                             ;   in Loop: Header=BB259_11 Depth=1
	v_mov_b32_e32 v3, 0x7f800001
	v_bfe_u32 v2, v0, 16, 7
	v_mov_b32_e32 v4, 0
	s_mov_b32 s19, exec_lo
	buffer_store_dword v3, off, s[0:3], s32 offset:1280 ; 4-byte Folded Spill
	buffer_store_dword v4, off, s[0:3], s32 offset:1284 ; 4-byte Folded Spill
	v_cmpx_ne_u32_e32 0x7f, v2
	s_cbranch_execz .LBB259_1089
; %bb.1086:                             ;   in Loop: Header=BB259_11 Depth=1
	v_mov_b32_e32 v1, 7
	s_mov_b32 s22, exec_lo
	v_and_b32_sdwa v27, v0, v1 dst_sel:DWORD dst_unused:UNUSED_PAD src0_sel:WORD_1 src1_sel:DWORD
	v_lshrrev_b32_e32 v1, 3, v2
	v_cmpx_gt_u32_e32 8, v2
; %bb.1087:                             ;   in Loop: Header=BB259_11 Depth=1
	v_ffbh_u32_e32 v1, v27
	v_min_u32_e32 v1, 32, v1
	v_subrev_nc_u32_e32 v2, 28, v1
	v_sub_nc_u32_e32 v1, 29, v1
	v_lshlrev_b64 v[2:3], v2, v[27:28]
	v_and_b32_e32 v27, 7, v2
; %bb.1088:                             ;   in Loop: Header=BB259_11 Depth=1
	s_or_b32 exec_lo, exec_lo, s22
	v_mov_b32_e32 v2, 24
	v_lshlrev_b32_e32 v3, 20, v27
	v_lshl_add_u32 v1, v1, 23, 0x3c000000
	v_lshlrev_b32_sdwa v2, v2, v0 dst_sel:DWORD dst_unused:UNUSED_PAD src0_sel:DWORD src1_sel:WORD_1
	v_and_b32_e32 v2, 0x80000000, v2
	v_or3_b32 v27, v3, v2, v1
	buffer_store_dword v27, off, s[0:3], s32 offset:1280 ; 4-byte Folded Spill
	buffer_store_dword v28, off, s[0:3], s32 offset:1284 ; 4-byte Folded Spill
.LBB259_1089:                           ;   in Loop: Header=BB259_11 Depth=1
	s_or_b32 exec_lo, exec_lo, s19
.LBB259_1090:                           ;   in Loop: Header=BB259_11 Depth=1
	s_or_b32 exec_lo, exec_lo, s7
.LBB259_1091:                           ;   in Loop: Header=BB259_11 Depth=1
	s_or_b32 exec_lo, exec_lo, s6
	s_mov_b32 s6, exec_lo
	v_cmpx_lt_u32_e32 0xffffff, v0
	s_cbranch_execz .LBB259_1099
; %bb.1092:                             ;   in Loop: Header=BB259_11 Depth=1
	v_mov_b32_e32 v1, 0x80
	v_mov_b32_e32 v98, v28
	buffer_store_dword v98, off, s[0:3], s32 offset:1272 ; 4-byte Folded Spill
	buffer_store_dword v99, off, s[0:3], s32 offset:1276 ; 4-byte Folded Spill
	v_cmp_ne_u32_sdwa s5, v0, v1 src0_sel:BYTE_3 src1_sel:DWORD
	s_and_saveexec_b32 s7, s5
	s_cbranch_execz .LBB259_1098
; %bb.1093:                             ;   in Loop: Header=BB259_11 Depth=1
	v_bfe_u32 v2, v0, 24, 7
	v_mov_b32_e32 v116, v28
	s_mov_b32 s19, exec_lo
	buffer_store_dword v116, off, s[0:3], s32 offset:1272 ; 4-byte Folded Spill
	buffer_store_dword v117, off, s[0:3], s32 offset:1276 ; 4-byte Folded Spill
	v_cmpx_ne_u32_e32 0x7f, v2
	s_cbranch_execz .LBB259_1097
; %bb.1094:                             ;   in Loop: Header=BB259_11 Depth=1
	v_mov_b32_e32 v1, 7
	s_mov_b32 s22, exec_lo
	v_and_b32_sdwa v27, v0, v1 dst_sel:DWORD dst_unused:UNUSED_PAD src0_sel:BYTE_3 src1_sel:DWORD
	v_lshrrev_b32_e32 v1, 3, v2
	v_cmpx_gt_u32_e32 8, v2
; %bb.1095:                             ;   in Loop: Header=BB259_11 Depth=1
	v_ffbh_u32_e32 v1, v27
	v_min_u32_e32 v1, 32, v1
	v_subrev_nc_u32_e32 v2, 28, v1
	v_sub_nc_u32_e32 v1, 29, v1
	v_lshlrev_b64 v[2:3], v2, v[27:28]
	v_and_b32_e32 v27, 7, v2
; %bb.1096:                             ;   in Loop: Header=BB259_11 Depth=1
	s_or_b32 exec_lo, exec_lo, s22
	v_mov_b32_e32 v2, 24
	v_lshl_add_u32 v1, v1, 23, 0x3c000000
	v_lshlrev_b32_sdwa v0, v2, v0 dst_sel:DWORD dst_unused:UNUSED_PAD src0_sel:DWORD src1_sel:BYTE_3
	v_lshlrev_b32_e32 v2, 20, v27
	v_and_b32_e32 v0, 0x80000000, v0
	v_or3_b32 v1, v2, v0, v1
	v_mov_b32_e32 v0, v28
	buffer_store_dword v0, off, s[0:3], s32 offset:1272 ; 4-byte Folded Spill
	buffer_store_dword v1, off, s[0:3], s32 offset:1276 ; 4-byte Folded Spill
.LBB259_1097:                           ;   in Loop: Header=BB259_11 Depth=1
	s_or_b32 exec_lo, exec_lo, s19
.LBB259_1098:                           ;   in Loop: Header=BB259_11 Depth=1
	s_or_b32 exec_lo, exec_lo, s7
.LBB259_1099:                           ;   in Loop: Header=BB259_11 Depth=1
	s_or_b32 exec_lo, exec_lo, s6
	flat_load_dword v0, v[66:67] offset:8
	v_mov_b32_e32 v1, 0
	v_mov_b32_e32 v2, 0
	buffer_store_dword v1, off, s[0:3], s32 offset:1296 ; 4-byte Folded Spill
	buffer_store_dword v2, off, s[0:3], s32 offset:1300 ; 4-byte Folded Spill
	v_mov_b32_e32 v1, 0
	v_mov_b32_e32 v2, 0
	buffer_store_dword v1, off, s[0:3], s32 offset:1288 ; 4-byte Folded Spill
	buffer_store_dword v2, off, s[0:3], s32 offset:1292 ; 4-byte Folded Spill
	s_waitcnt vmcnt(0) lgkmcnt(0)
	v_cmp_ne_u16_sdwa s5, v0, v28 src0_sel:BYTE_0 src1_sel:DWORD
	s_and_saveexec_b32 s6, s5
	s_cbranch_execz .LBB259_1107
; %bb.1100:                             ;   in Loop: Header=BB259_11 Depth=1
	v_bfrev_b32_e32 v1, 1
	v_mov_b32_e32 v2, 0
	buffer_store_dword v1, off, s[0:3], s32 offset:1288 ; 4-byte Folded Spill
	buffer_store_dword v2, off, s[0:3], s32 offset:1292 ; 4-byte Folded Spill
	v_mov_b32_e32 v1, 0x80
	v_cmp_ne_u16_sdwa s5, v0, v1 src0_sel:BYTE_0 src1_sel:DWORD
	s_and_saveexec_b32 s7, s5
	s_cbranch_execz .LBB259_1106
; %bb.1101:                             ;   in Loop: Header=BB259_11 Depth=1
	v_mov_b32_e32 v3, 0x7f800001
	v_and_b32_e32 v2, 0x7f, v0
	v_mov_b32_e32 v4, 0
	s_mov_b32 s19, exec_lo
	buffer_store_dword v3, off, s[0:3], s32 offset:1288 ; 4-byte Folded Spill
	buffer_store_dword v4, off, s[0:3], s32 offset:1292 ; 4-byte Folded Spill
	v_cmpx_ne_u32_e32 0x7f, v2
	s_cbranch_execz .LBB259_1105
; %bb.1102:                             ;   in Loop: Header=BB259_11 Depth=1
	v_and_b32_e32 v27, 7, v0
	v_lshrrev_b32_e32 v1, 3, v2
	s_mov_b32 s22, exec_lo
	v_cmpx_gt_u32_e32 8, v2
; %bb.1103:                             ;   in Loop: Header=BB259_11 Depth=1
	v_ffbh_u32_e32 v1, v27
	v_min_u32_e32 v1, 32, v1
	v_subrev_nc_u32_e32 v2, 28, v1
	v_sub_nc_u32_e32 v1, 29, v1
	v_lshlrev_b64 v[2:3], v2, v[27:28]
	v_and_b32_e32 v27, 7, v2
; %bb.1104:                             ;   in Loop: Header=BB259_11 Depth=1
	s_or_b32 exec_lo, exec_lo, s22
	v_lshlrev_b32_e32 v2, 24, v0
	v_lshlrev_b32_e32 v3, 20, v27
	v_lshl_add_u32 v1, v1, 23, 0x3c000000
	v_and_b32_e32 v2, 0x80000000, v2
	v_or3_b32 v27, v3, v2, v1
	buffer_store_dword v27, off, s[0:3], s32 offset:1288 ; 4-byte Folded Spill
	buffer_store_dword v28, off, s[0:3], s32 offset:1292 ; 4-byte Folded Spill
.LBB259_1105:                           ;   in Loop: Header=BB259_11 Depth=1
	s_or_b32 exec_lo, exec_lo, s19
.LBB259_1106:                           ;   in Loop: Header=BB259_11 Depth=1
	s_or_b32 exec_lo, exec_lo, s7
.LBB259_1107:                           ;   in Loop: Header=BB259_11 Depth=1
	s_or_b32 exec_lo, exec_lo, s6
	v_cmp_ne_u16_sdwa s5, v0, v28 src0_sel:BYTE_1 src1_sel:DWORD
	s_and_saveexec_b32 s6, s5
	s_cbranch_execz .LBB259_1115
; %bb.1108:                             ;   in Loop: Header=BB259_11 Depth=1
	v_mov_b32_e32 v1, 0x80
	v_mov_b32_e32 v98, v28
	buffer_store_dword v98, off, s[0:3], s32 offset:1296 ; 4-byte Folded Spill
	buffer_store_dword v99, off, s[0:3], s32 offset:1300 ; 4-byte Folded Spill
	v_cmp_ne_u16_sdwa s5, v0, v1 src0_sel:BYTE_1 src1_sel:DWORD
	s_and_saveexec_b32 s7, s5
	s_cbranch_execz .LBB259_1114
; %bb.1109:                             ;   in Loop: Header=BB259_11 Depth=1
	v_mov_b32_e32 v1, 0xffff
	v_mov_b32_e32 v116, v28
	s_mov_b32 s19, exec_lo
	buffer_store_dword v116, off, s[0:3], s32 offset:1296 ; 4-byte Folded Spill
	buffer_store_dword v117, off, s[0:3], s32 offset:1300 ; 4-byte Folded Spill
	v_and_b32_sdwa v1, v1, v0 dst_sel:DWORD dst_unused:UNUSED_PAD src0_sel:DWORD src1_sel:BYTE_1
	v_and_b32_e32 v2, 0x7f, v1
	v_cmpx_ne_u32_e32 0x7f, v2
	s_cbranch_execz .LBB259_1113
; %bb.1110:                             ;   in Loop: Header=BB259_11 Depth=1
	v_and_b32_e32 v27, 7, v1
	v_lshrrev_b32_e32 v1, 3, v2
	s_mov_b32 s22, exec_lo
	v_cmpx_gt_u32_e32 8, v2
; %bb.1111:                             ;   in Loop: Header=BB259_11 Depth=1
	v_ffbh_u32_e32 v1, v27
	v_min_u32_e32 v1, 32, v1
	v_subrev_nc_u32_e32 v2, 28, v1
	v_sub_nc_u32_e32 v1, 29, v1
	v_lshlrev_b64 v[2:3], v2, v[27:28]
	v_and_b32_e32 v27, 7, v2
; %bb.1112:                             ;   in Loop: Header=BB259_11 Depth=1
	s_or_b32 exec_lo, exec_lo, s22
	v_lshlrev_b32_e32 v2, 16, v0
	v_lshlrev_b32_e32 v3, 20, v27
	v_lshl_add_u32 v1, v1, 23, 0x3c000000
	v_and_b32_e32 v2, 0x80000000, v2
	v_or3_b32 v2, v3, v2, v1
	v_mov_b32_e32 v1, v28
	buffer_store_dword v1, off, s[0:3], s32 offset:1296 ; 4-byte Folded Spill
	buffer_store_dword v2, off, s[0:3], s32 offset:1300 ; 4-byte Folded Spill
.LBB259_1113:                           ;   in Loop: Header=BB259_11 Depth=1
	s_or_b32 exec_lo, exec_lo, s19
.LBB259_1114:                           ;   in Loop: Header=BB259_11 Depth=1
	s_or_b32 exec_lo, exec_lo, s7
.LBB259_1115:                           ;   in Loop: Header=BB259_11 Depth=1
	s_or_b32 exec_lo, exec_lo, s6
	v_mov_b32_e32 v2, 0
	v_mov_b32_e32 v3, 0
	v_and_b32_sdwa v1, v0, v6 dst_sel:DWORD dst_unused:UNUSED_PAD src0_sel:WORD_1 src1_sel:DWORD
	s_mov_b32 s6, exec_lo
	buffer_store_dword v2, off, s[0:3], s32 offset:1304 ; 4-byte Folded Spill
	buffer_store_dword v3, off, s[0:3], s32 offset:1308 ; 4-byte Folded Spill
	v_mov_b32_e32 v2, 0
	v_mov_b32_e32 v3, 0
	buffer_store_dword v2, off, s[0:3], s32 offset:1312 ; 4-byte Folded Spill
	buffer_store_dword v3, off, s[0:3], s32 offset:1316 ; 4-byte Folded Spill
	v_cmpx_ne_u16_e32 0, v1
	s_cbranch_execz .LBB259_1123
; %bb.1116:                             ;   in Loop: Header=BB259_11 Depth=1
	v_cmp_ne_u16_e64 s5, 0x80, v1
	v_bfrev_b32_e32 v1, 1
	v_mov_b32_e32 v2, 0
	buffer_store_dword v1, off, s[0:3], s32 offset:1312 ; 4-byte Folded Spill
	buffer_store_dword v2, off, s[0:3], s32 offset:1316 ; 4-byte Folded Spill
	s_and_saveexec_b32 s7, s5
	s_cbranch_execz .LBB259_1122
; %bb.1117:                             ;   in Loop: Header=BB259_11 Depth=1
	v_mov_b32_e32 v3, 0x7f800001
	v_bfe_u32 v2, v0, 16, 7
	v_mov_b32_e32 v4, 0
	s_mov_b32 s19, exec_lo
	buffer_store_dword v3, off, s[0:3], s32 offset:1312 ; 4-byte Folded Spill
	buffer_store_dword v4, off, s[0:3], s32 offset:1316 ; 4-byte Folded Spill
	v_cmpx_ne_u32_e32 0x7f, v2
	s_cbranch_execz .LBB259_1121
; %bb.1118:                             ;   in Loop: Header=BB259_11 Depth=1
	v_mov_b32_e32 v1, 7
	s_mov_b32 s22, exec_lo
	v_and_b32_sdwa v27, v0, v1 dst_sel:DWORD dst_unused:UNUSED_PAD src0_sel:WORD_1 src1_sel:DWORD
	v_lshrrev_b32_e32 v1, 3, v2
	v_cmpx_gt_u32_e32 8, v2
; %bb.1119:                             ;   in Loop: Header=BB259_11 Depth=1
	v_ffbh_u32_e32 v1, v27
	v_min_u32_e32 v1, 32, v1
	v_subrev_nc_u32_e32 v2, 28, v1
	v_sub_nc_u32_e32 v1, 29, v1
	v_lshlrev_b64 v[2:3], v2, v[27:28]
	v_and_b32_e32 v27, 7, v2
; %bb.1120:                             ;   in Loop: Header=BB259_11 Depth=1
	s_or_b32 exec_lo, exec_lo, s22
	v_mov_b32_e32 v2, 24
	v_lshlrev_b32_e32 v3, 20, v27
	v_lshl_add_u32 v1, v1, 23, 0x3c000000
	v_lshlrev_b32_sdwa v2, v2, v0 dst_sel:DWORD dst_unused:UNUSED_PAD src0_sel:DWORD src1_sel:WORD_1
	v_and_b32_e32 v2, 0x80000000, v2
	v_or3_b32 v27, v3, v2, v1
	buffer_store_dword v27, off, s[0:3], s32 offset:1312 ; 4-byte Folded Spill
	buffer_store_dword v28, off, s[0:3], s32 offset:1316 ; 4-byte Folded Spill
.LBB259_1121:                           ;   in Loop: Header=BB259_11 Depth=1
	s_or_b32 exec_lo, exec_lo, s19
.LBB259_1122:                           ;   in Loop: Header=BB259_11 Depth=1
	s_or_b32 exec_lo, exec_lo, s7
.LBB259_1123:                           ;   in Loop: Header=BB259_11 Depth=1
	s_or_b32 exec_lo, exec_lo, s6
	s_mov_b32 s6, exec_lo
	v_cmpx_lt_u32_e32 0xffffff, v0
	s_cbranch_execz .LBB259_1131
; %bb.1124:                             ;   in Loop: Header=BB259_11 Depth=1
	v_mov_b32_e32 v1, 0x80
	v_mov_b32_e32 v98, v28
	buffer_store_dword v98, off, s[0:3], s32 offset:1304 ; 4-byte Folded Spill
	buffer_store_dword v99, off, s[0:3], s32 offset:1308 ; 4-byte Folded Spill
	v_cmp_ne_u32_sdwa s5, v0, v1 src0_sel:BYTE_3 src1_sel:DWORD
	s_and_saveexec_b32 s7, s5
	s_cbranch_execz .LBB259_1130
; %bb.1125:                             ;   in Loop: Header=BB259_11 Depth=1
	v_bfe_u32 v2, v0, 24, 7
	v_mov_b32_e32 v116, v28
	s_mov_b32 s19, exec_lo
	buffer_store_dword v116, off, s[0:3], s32 offset:1304 ; 4-byte Folded Spill
	buffer_store_dword v117, off, s[0:3], s32 offset:1308 ; 4-byte Folded Spill
	v_cmpx_ne_u32_e32 0x7f, v2
	s_cbranch_execz .LBB259_1129
; %bb.1126:                             ;   in Loop: Header=BB259_11 Depth=1
	v_mov_b32_e32 v1, 7
	s_mov_b32 s22, exec_lo
	v_and_b32_sdwa v27, v0, v1 dst_sel:DWORD dst_unused:UNUSED_PAD src0_sel:BYTE_3 src1_sel:DWORD
	v_lshrrev_b32_e32 v1, 3, v2
	v_cmpx_gt_u32_e32 8, v2
; %bb.1127:                             ;   in Loop: Header=BB259_11 Depth=1
	v_ffbh_u32_e32 v1, v27
	v_min_u32_e32 v1, 32, v1
	v_subrev_nc_u32_e32 v2, 28, v1
	v_sub_nc_u32_e32 v1, 29, v1
	v_lshlrev_b64 v[2:3], v2, v[27:28]
	v_and_b32_e32 v27, 7, v2
; %bb.1128:                             ;   in Loop: Header=BB259_11 Depth=1
	s_or_b32 exec_lo, exec_lo, s22
	v_mov_b32_e32 v2, 24
	v_lshl_add_u32 v1, v1, 23, 0x3c000000
	v_lshlrev_b32_sdwa v0, v2, v0 dst_sel:DWORD dst_unused:UNUSED_PAD src0_sel:DWORD src1_sel:BYTE_3
	v_lshlrev_b32_e32 v2, 20, v27
	v_and_b32_e32 v0, 0x80000000, v0
	v_or3_b32 v1, v2, v0, v1
	v_mov_b32_e32 v0, v28
	buffer_store_dword v0, off, s[0:3], s32 offset:1304 ; 4-byte Folded Spill
	buffer_store_dword v1, off, s[0:3], s32 offset:1308 ; 4-byte Folded Spill
.LBB259_1129:                           ;   in Loop: Header=BB259_11 Depth=1
	s_or_b32 exec_lo, exec_lo, s19
.LBB259_1130:                           ;   in Loop: Header=BB259_11 Depth=1
	s_or_b32 exec_lo, exec_lo, s7
.LBB259_1131:                           ;   in Loop: Header=BB259_11 Depth=1
	s_or_b32 exec_lo, exec_lo, s6
	flat_load_dword v0, v[66:67] offset:12
	v_mov_b32_e32 v1, 0
	v_mov_b32_e32 v2, 0
	buffer_store_dword v1, off, s[0:3], s32 offset:1328 ; 4-byte Folded Spill
	buffer_store_dword v2, off, s[0:3], s32 offset:1332 ; 4-byte Folded Spill
	v_mov_b32_e32 v1, 0
	v_mov_b32_e32 v2, 0
	buffer_store_dword v1, off, s[0:3], s32 offset:1320 ; 4-byte Folded Spill
	buffer_store_dword v2, off, s[0:3], s32 offset:1324 ; 4-byte Folded Spill
	s_waitcnt vmcnt(0) lgkmcnt(0)
	v_cmp_ne_u16_sdwa s5, v0, v28 src0_sel:BYTE_0 src1_sel:DWORD
	s_and_saveexec_b32 s6, s5
	s_cbranch_execz .LBB259_1139
; %bb.1132:                             ;   in Loop: Header=BB259_11 Depth=1
	v_bfrev_b32_e32 v1, 1
	v_mov_b32_e32 v2, 0
	buffer_store_dword v1, off, s[0:3], s32 offset:1320 ; 4-byte Folded Spill
	buffer_store_dword v2, off, s[0:3], s32 offset:1324 ; 4-byte Folded Spill
	v_mov_b32_e32 v1, 0x80
	v_cmp_ne_u16_sdwa s5, v0, v1 src0_sel:BYTE_0 src1_sel:DWORD
	s_and_saveexec_b32 s7, s5
	s_cbranch_execz .LBB259_1138
; %bb.1133:                             ;   in Loop: Header=BB259_11 Depth=1
	v_mov_b32_e32 v3, 0x7f800001
	v_and_b32_e32 v2, 0x7f, v0
	v_mov_b32_e32 v4, 0
	s_mov_b32 s19, exec_lo
	buffer_store_dword v3, off, s[0:3], s32 offset:1320 ; 4-byte Folded Spill
	buffer_store_dword v4, off, s[0:3], s32 offset:1324 ; 4-byte Folded Spill
	v_cmpx_ne_u32_e32 0x7f, v2
	s_cbranch_execz .LBB259_1137
; %bb.1134:                             ;   in Loop: Header=BB259_11 Depth=1
	v_and_b32_e32 v27, 7, v0
	v_lshrrev_b32_e32 v1, 3, v2
	s_mov_b32 s22, exec_lo
	v_cmpx_gt_u32_e32 8, v2
; %bb.1135:                             ;   in Loop: Header=BB259_11 Depth=1
	v_ffbh_u32_e32 v1, v27
	v_min_u32_e32 v1, 32, v1
	v_subrev_nc_u32_e32 v2, 28, v1
	v_sub_nc_u32_e32 v1, 29, v1
	v_lshlrev_b64 v[2:3], v2, v[27:28]
	v_and_b32_e32 v27, 7, v2
; %bb.1136:                             ;   in Loop: Header=BB259_11 Depth=1
	s_or_b32 exec_lo, exec_lo, s22
	v_lshlrev_b32_e32 v2, 24, v0
	v_lshlrev_b32_e32 v3, 20, v27
	v_lshl_add_u32 v1, v1, 23, 0x3c000000
	v_and_b32_e32 v2, 0x80000000, v2
	v_or3_b32 v27, v3, v2, v1
	buffer_store_dword v27, off, s[0:3], s32 offset:1320 ; 4-byte Folded Spill
	buffer_store_dword v28, off, s[0:3], s32 offset:1324 ; 4-byte Folded Spill
.LBB259_1137:                           ;   in Loop: Header=BB259_11 Depth=1
	s_or_b32 exec_lo, exec_lo, s19
.LBB259_1138:                           ;   in Loop: Header=BB259_11 Depth=1
	s_or_b32 exec_lo, exec_lo, s7
.LBB259_1139:                           ;   in Loop: Header=BB259_11 Depth=1
	s_or_b32 exec_lo, exec_lo, s6
	v_cmp_ne_u16_sdwa s5, v0, v28 src0_sel:BYTE_1 src1_sel:DWORD
	s_and_saveexec_b32 s6, s5
	s_cbranch_execz .LBB259_1147
; %bb.1140:                             ;   in Loop: Header=BB259_11 Depth=1
	v_mov_b32_e32 v1, 0x80
	v_mov_b32_e32 v98, v28
	buffer_store_dword v98, off, s[0:3], s32 offset:1328 ; 4-byte Folded Spill
	buffer_store_dword v99, off, s[0:3], s32 offset:1332 ; 4-byte Folded Spill
	v_cmp_ne_u16_sdwa s5, v0, v1 src0_sel:BYTE_1 src1_sel:DWORD
	s_and_saveexec_b32 s7, s5
	s_cbranch_execz .LBB259_1146
; %bb.1141:                             ;   in Loop: Header=BB259_11 Depth=1
	v_mov_b32_e32 v1, 0xffff
	v_mov_b32_e32 v116, v28
	s_mov_b32 s19, exec_lo
	buffer_store_dword v116, off, s[0:3], s32 offset:1328 ; 4-byte Folded Spill
	buffer_store_dword v117, off, s[0:3], s32 offset:1332 ; 4-byte Folded Spill
	v_and_b32_sdwa v1, v1, v0 dst_sel:DWORD dst_unused:UNUSED_PAD src0_sel:DWORD src1_sel:BYTE_1
	v_and_b32_e32 v2, 0x7f, v1
	v_cmpx_ne_u32_e32 0x7f, v2
	s_cbranch_execz .LBB259_1145
; %bb.1142:                             ;   in Loop: Header=BB259_11 Depth=1
	v_and_b32_e32 v27, 7, v1
	v_lshrrev_b32_e32 v1, 3, v2
	s_mov_b32 s22, exec_lo
	v_cmpx_gt_u32_e32 8, v2
; %bb.1143:                             ;   in Loop: Header=BB259_11 Depth=1
	v_ffbh_u32_e32 v1, v27
	v_min_u32_e32 v1, 32, v1
	v_subrev_nc_u32_e32 v2, 28, v1
	v_sub_nc_u32_e32 v1, 29, v1
	v_lshlrev_b64 v[2:3], v2, v[27:28]
	v_and_b32_e32 v27, 7, v2
; %bb.1144:                             ;   in Loop: Header=BB259_11 Depth=1
	s_or_b32 exec_lo, exec_lo, s22
	v_lshlrev_b32_e32 v2, 16, v0
	v_lshlrev_b32_e32 v3, 20, v27
	v_lshl_add_u32 v1, v1, 23, 0x3c000000
	v_and_b32_e32 v2, 0x80000000, v2
	v_or3_b32 v2, v3, v2, v1
	v_mov_b32_e32 v1, v28
	buffer_store_dword v1, off, s[0:3], s32 offset:1328 ; 4-byte Folded Spill
	buffer_store_dword v2, off, s[0:3], s32 offset:1332 ; 4-byte Folded Spill
.LBB259_1145:                           ;   in Loop: Header=BB259_11 Depth=1
	s_or_b32 exec_lo, exec_lo, s19
.LBB259_1146:                           ;   in Loop: Header=BB259_11 Depth=1
	s_or_b32 exec_lo, exec_lo, s7
.LBB259_1147:                           ;   in Loop: Header=BB259_11 Depth=1
	s_or_b32 exec_lo, exec_lo, s6
	v_mov_b32_e32 v2, 0
	v_mov_b32_e32 v3, 0
	v_and_b32_sdwa v1, v0, v6 dst_sel:DWORD dst_unused:UNUSED_PAD src0_sel:WORD_1 src1_sel:DWORD
	s_mov_b32 s6, exec_lo
	buffer_store_dword v2, off, s[0:3], s32 offset:1336 ; 4-byte Folded Spill
	buffer_store_dword v3, off, s[0:3], s32 offset:1340 ; 4-byte Folded Spill
	v_mov_b32_e32 v2, 0
	v_mov_b32_e32 v3, 0
	buffer_store_dword v2, off, s[0:3], s32 offset:1344 ; 4-byte Folded Spill
	buffer_store_dword v3, off, s[0:3], s32 offset:1348 ; 4-byte Folded Spill
	v_cmpx_ne_u16_e32 0, v1
	s_cbranch_execz .LBB259_1155
; %bb.1148:                             ;   in Loop: Header=BB259_11 Depth=1
	v_cmp_ne_u16_e64 s5, 0x80, v1
	v_bfrev_b32_e32 v1, 1
	v_mov_b32_e32 v2, 0
	buffer_store_dword v1, off, s[0:3], s32 offset:1344 ; 4-byte Folded Spill
	buffer_store_dword v2, off, s[0:3], s32 offset:1348 ; 4-byte Folded Spill
	s_and_saveexec_b32 s7, s5
	s_cbranch_execz .LBB259_1154
; %bb.1149:                             ;   in Loop: Header=BB259_11 Depth=1
	v_mov_b32_e32 v3, 0x7f800001
	v_bfe_u32 v2, v0, 16, 7
	v_mov_b32_e32 v4, 0
	s_mov_b32 s19, exec_lo
	buffer_store_dword v3, off, s[0:3], s32 offset:1344 ; 4-byte Folded Spill
	buffer_store_dword v4, off, s[0:3], s32 offset:1348 ; 4-byte Folded Spill
	v_cmpx_ne_u32_e32 0x7f, v2
	s_cbranch_execz .LBB259_1153
; %bb.1150:                             ;   in Loop: Header=BB259_11 Depth=1
	v_mov_b32_e32 v1, 7
	s_mov_b32 s22, exec_lo
	v_and_b32_sdwa v27, v0, v1 dst_sel:DWORD dst_unused:UNUSED_PAD src0_sel:WORD_1 src1_sel:DWORD
	v_lshrrev_b32_e32 v1, 3, v2
	v_cmpx_gt_u32_e32 8, v2
; %bb.1151:                             ;   in Loop: Header=BB259_11 Depth=1
	v_ffbh_u32_e32 v1, v27
	v_min_u32_e32 v1, 32, v1
	v_subrev_nc_u32_e32 v2, 28, v1
	v_sub_nc_u32_e32 v1, 29, v1
	v_lshlrev_b64 v[2:3], v2, v[27:28]
	v_and_b32_e32 v27, 7, v2
; %bb.1152:                             ;   in Loop: Header=BB259_11 Depth=1
	s_or_b32 exec_lo, exec_lo, s22
	v_mov_b32_e32 v2, 24
	v_lshlrev_b32_e32 v3, 20, v27
	v_lshl_add_u32 v1, v1, 23, 0x3c000000
	v_lshlrev_b32_sdwa v2, v2, v0 dst_sel:DWORD dst_unused:UNUSED_PAD src0_sel:DWORD src1_sel:WORD_1
	v_and_b32_e32 v2, 0x80000000, v2
	v_or3_b32 v27, v3, v2, v1
	buffer_store_dword v27, off, s[0:3], s32 offset:1344 ; 4-byte Folded Spill
	buffer_store_dword v28, off, s[0:3], s32 offset:1348 ; 4-byte Folded Spill
.LBB259_1153:                           ;   in Loop: Header=BB259_11 Depth=1
	s_or_b32 exec_lo, exec_lo, s19
.LBB259_1154:                           ;   in Loop: Header=BB259_11 Depth=1
	s_or_b32 exec_lo, exec_lo, s7
.LBB259_1155:                           ;   in Loop: Header=BB259_11 Depth=1
	s_or_b32 exec_lo, exec_lo, s6
	s_mov_b32 s6, exec_lo
	v_cmpx_lt_u32_e32 0xffffff, v0
	s_cbranch_execz .LBB259_1163
; %bb.1156:                             ;   in Loop: Header=BB259_11 Depth=1
	v_mov_b32_e32 v1, 0x80
	v_mov_b32_e32 v98, v28
	buffer_store_dword v98, off, s[0:3], s32 offset:1336 ; 4-byte Folded Spill
	buffer_store_dword v99, off, s[0:3], s32 offset:1340 ; 4-byte Folded Spill
	v_cmp_ne_u32_sdwa s5, v0, v1 src0_sel:BYTE_3 src1_sel:DWORD
	s_and_saveexec_b32 s7, s5
	s_cbranch_execz .LBB259_1162
; %bb.1157:                             ;   in Loop: Header=BB259_11 Depth=1
	v_bfe_u32 v2, v0, 24, 7
	v_mov_b32_e32 v116, v28
	s_mov_b32 s19, exec_lo
	buffer_store_dword v116, off, s[0:3], s32 offset:1336 ; 4-byte Folded Spill
	buffer_store_dword v117, off, s[0:3], s32 offset:1340 ; 4-byte Folded Spill
	v_cmpx_ne_u32_e32 0x7f, v2
	s_cbranch_execz .LBB259_1161
; %bb.1158:                             ;   in Loop: Header=BB259_11 Depth=1
	v_mov_b32_e32 v1, 7
	s_mov_b32 s22, exec_lo
	v_and_b32_sdwa v27, v0, v1 dst_sel:DWORD dst_unused:UNUSED_PAD src0_sel:BYTE_3 src1_sel:DWORD
	v_lshrrev_b32_e32 v1, 3, v2
	v_cmpx_gt_u32_e32 8, v2
; %bb.1159:                             ;   in Loop: Header=BB259_11 Depth=1
	v_ffbh_u32_e32 v1, v27
	v_min_u32_e32 v1, 32, v1
	v_subrev_nc_u32_e32 v2, 28, v1
	v_sub_nc_u32_e32 v1, 29, v1
	v_lshlrev_b64 v[2:3], v2, v[27:28]
	v_and_b32_e32 v27, 7, v2
; %bb.1160:                             ;   in Loop: Header=BB259_11 Depth=1
	s_or_b32 exec_lo, exec_lo, s22
	v_mov_b32_e32 v2, 24
	v_lshl_add_u32 v1, v1, 23, 0x3c000000
	v_lshlrev_b32_sdwa v0, v2, v0 dst_sel:DWORD dst_unused:UNUSED_PAD src0_sel:DWORD src1_sel:BYTE_3
	v_lshlrev_b32_e32 v2, 20, v27
	v_and_b32_e32 v0, 0x80000000, v0
	v_or3_b32 v1, v2, v0, v1
	v_mov_b32_e32 v0, v28
	buffer_store_dword v0, off, s[0:3], s32 offset:1336 ; 4-byte Folded Spill
	buffer_store_dword v1, off, s[0:3], s32 offset:1340 ; 4-byte Folded Spill
.LBB259_1161:                           ;   in Loop: Header=BB259_11 Depth=1
	s_or_b32 exec_lo, exec_lo, s19
.LBB259_1162:                           ;   in Loop: Header=BB259_11 Depth=1
	s_or_b32 exec_lo, exec_lo, s7
.LBB259_1163:                           ;   in Loop: Header=BB259_11 Depth=1
	s_or_b32 exec_lo, exec_lo, s6
	flat_load_dword v0, v[66:67] offset:512
	v_mov_b32_e32 v1, 0
	v_mov_b32_e32 v2, 0
	buffer_store_dword v1, off, s[0:3], s32 offset:1360 ; 4-byte Folded Spill
	buffer_store_dword v2, off, s[0:3], s32 offset:1364 ; 4-byte Folded Spill
	v_mov_b32_e32 v1, 0
	v_mov_b32_e32 v2, 0
	buffer_store_dword v1, off, s[0:3], s32 offset:1352 ; 4-byte Folded Spill
	buffer_store_dword v2, off, s[0:3], s32 offset:1356 ; 4-byte Folded Spill
	s_waitcnt vmcnt(0) lgkmcnt(0)
	v_cmp_ne_u16_sdwa s5, v0, v28 src0_sel:BYTE_0 src1_sel:DWORD
	s_and_saveexec_b32 s6, s5
	s_cbranch_execz .LBB259_1171
; %bb.1164:                             ;   in Loop: Header=BB259_11 Depth=1
	v_bfrev_b32_e32 v1, 1
	v_mov_b32_e32 v2, 0
	buffer_store_dword v1, off, s[0:3], s32 offset:1352 ; 4-byte Folded Spill
	buffer_store_dword v2, off, s[0:3], s32 offset:1356 ; 4-byte Folded Spill
	v_mov_b32_e32 v1, 0x80
	v_cmp_ne_u16_sdwa s5, v0, v1 src0_sel:BYTE_0 src1_sel:DWORD
	s_and_saveexec_b32 s7, s5
	s_cbranch_execz .LBB259_1170
; %bb.1165:                             ;   in Loop: Header=BB259_11 Depth=1
	v_mov_b32_e32 v3, 0x7f800001
	v_and_b32_e32 v2, 0x7f, v0
	v_mov_b32_e32 v4, 0
	s_mov_b32 s19, exec_lo
	buffer_store_dword v3, off, s[0:3], s32 offset:1352 ; 4-byte Folded Spill
	buffer_store_dword v4, off, s[0:3], s32 offset:1356 ; 4-byte Folded Spill
	v_cmpx_ne_u32_e32 0x7f, v2
	s_cbranch_execz .LBB259_1169
; %bb.1166:                             ;   in Loop: Header=BB259_11 Depth=1
	v_and_b32_e32 v27, 7, v0
	v_lshrrev_b32_e32 v1, 3, v2
	s_mov_b32 s22, exec_lo
	v_cmpx_gt_u32_e32 8, v2
; %bb.1167:                             ;   in Loop: Header=BB259_11 Depth=1
	v_ffbh_u32_e32 v1, v27
	v_min_u32_e32 v1, 32, v1
	v_subrev_nc_u32_e32 v2, 28, v1
	v_sub_nc_u32_e32 v1, 29, v1
	v_lshlrev_b64 v[2:3], v2, v[27:28]
	v_and_b32_e32 v27, 7, v2
; %bb.1168:                             ;   in Loop: Header=BB259_11 Depth=1
	s_or_b32 exec_lo, exec_lo, s22
	v_lshlrev_b32_e32 v2, 24, v0
	v_lshlrev_b32_e32 v3, 20, v27
	v_lshl_add_u32 v1, v1, 23, 0x3c000000
	v_and_b32_e32 v2, 0x80000000, v2
	v_or3_b32 v27, v3, v2, v1
	buffer_store_dword v27, off, s[0:3], s32 offset:1352 ; 4-byte Folded Spill
	buffer_store_dword v28, off, s[0:3], s32 offset:1356 ; 4-byte Folded Spill
.LBB259_1169:                           ;   in Loop: Header=BB259_11 Depth=1
	s_or_b32 exec_lo, exec_lo, s19
.LBB259_1170:                           ;   in Loop: Header=BB259_11 Depth=1
	s_or_b32 exec_lo, exec_lo, s7
.LBB259_1171:                           ;   in Loop: Header=BB259_11 Depth=1
	s_or_b32 exec_lo, exec_lo, s6
	v_cmp_ne_u16_sdwa s5, v0, v28 src0_sel:BYTE_1 src1_sel:DWORD
	s_and_saveexec_b32 s6, s5
	s_cbranch_execz .LBB259_1179
; %bb.1172:                             ;   in Loop: Header=BB259_11 Depth=1
	v_mov_b32_e32 v1, 0x80
	v_mov_b32_e32 v98, v28
	buffer_store_dword v98, off, s[0:3], s32 offset:1360 ; 4-byte Folded Spill
	buffer_store_dword v99, off, s[0:3], s32 offset:1364 ; 4-byte Folded Spill
	v_cmp_ne_u16_sdwa s5, v0, v1 src0_sel:BYTE_1 src1_sel:DWORD
	s_and_saveexec_b32 s7, s5
	s_cbranch_execz .LBB259_1178
; %bb.1173:                             ;   in Loop: Header=BB259_11 Depth=1
	v_mov_b32_e32 v1, 0xffff
	v_mov_b32_e32 v116, v28
	s_mov_b32 s19, exec_lo
	buffer_store_dword v116, off, s[0:3], s32 offset:1360 ; 4-byte Folded Spill
	buffer_store_dword v117, off, s[0:3], s32 offset:1364 ; 4-byte Folded Spill
	v_and_b32_sdwa v1, v1, v0 dst_sel:DWORD dst_unused:UNUSED_PAD src0_sel:DWORD src1_sel:BYTE_1
	v_and_b32_e32 v2, 0x7f, v1
	v_cmpx_ne_u32_e32 0x7f, v2
	s_cbranch_execz .LBB259_1177
; %bb.1174:                             ;   in Loop: Header=BB259_11 Depth=1
	v_and_b32_e32 v27, 7, v1
	v_lshrrev_b32_e32 v1, 3, v2
	s_mov_b32 s22, exec_lo
	v_cmpx_gt_u32_e32 8, v2
; %bb.1175:                             ;   in Loop: Header=BB259_11 Depth=1
	v_ffbh_u32_e32 v1, v27
	v_min_u32_e32 v1, 32, v1
	v_subrev_nc_u32_e32 v2, 28, v1
	v_sub_nc_u32_e32 v1, 29, v1
	v_lshlrev_b64 v[2:3], v2, v[27:28]
	v_and_b32_e32 v27, 7, v2
; %bb.1176:                             ;   in Loop: Header=BB259_11 Depth=1
	s_or_b32 exec_lo, exec_lo, s22
	v_lshlrev_b32_e32 v2, 16, v0
	v_lshlrev_b32_e32 v3, 20, v27
	v_lshl_add_u32 v1, v1, 23, 0x3c000000
	v_and_b32_e32 v2, 0x80000000, v2
	v_or3_b32 v2, v3, v2, v1
	v_mov_b32_e32 v1, v28
	buffer_store_dword v1, off, s[0:3], s32 offset:1360 ; 4-byte Folded Spill
	buffer_store_dword v2, off, s[0:3], s32 offset:1364 ; 4-byte Folded Spill
.LBB259_1177:                           ;   in Loop: Header=BB259_11 Depth=1
	s_or_b32 exec_lo, exec_lo, s19
.LBB259_1178:                           ;   in Loop: Header=BB259_11 Depth=1
	s_or_b32 exec_lo, exec_lo, s7
.LBB259_1179:                           ;   in Loop: Header=BB259_11 Depth=1
	s_or_b32 exec_lo, exec_lo, s6
	v_mov_b32_e32 v2, 0
	v_mov_b32_e32 v3, 0
	v_and_b32_sdwa v1, v0, v6 dst_sel:DWORD dst_unused:UNUSED_PAD src0_sel:WORD_1 src1_sel:DWORD
	s_mov_b32 s6, exec_lo
	buffer_store_dword v2, off, s[0:3], s32 offset:1368 ; 4-byte Folded Spill
	buffer_store_dword v3, off, s[0:3], s32 offset:1372 ; 4-byte Folded Spill
	v_mov_b32_e32 v2, 0
	v_mov_b32_e32 v3, 0
	buffer_store_dword v2, off, s[0:3], s32 offset:1376 ; 4-byte Folded Spill
	buffer_store_dword v3, off, s[0:3], s32 offset:1380 ; 4-byte Folded Spill
	v_cmpx_ne_u16_e32 0, v1
	s_cbranch_execz .LBB259_1187
; %bb.1180:                             ;   in Loop: Header=BB259_11 Depth=1
	v_cmp_ne_u16_e64 s5, 0x80, v1
	v_bfrev_b32_e32 v1, 1
	v_mov_b32_e32 v2, 0
	buffer_store_dword v1, off, s[0:3], s32 offset:1376 ; 4-byte Folded Spill
	buffer_store_dword v2, off, s[0:3], s32 offset:1380 ; 4-byte Folded Spill
	s_and_saveexec_b32 s7, s5
	s_cbranch_execz .LBB259_1186
; %bb.1181:                             ;   in Loop: Header=BB259_11 Depth=1
	v_mov_b32_e32 v3, 0x7f800001
	v_bfe_u32 v2, v0, 16, 7
	v_mov_b32_e32 v4, 0
	s_mov_b32 s19, exec_lo
	buffer_store_dword v3, off, s[0:3], s32 offset:1376 ; 4-byte Folded Spill
	buffer_store_dword v4, off, s[0:3], s32 offset:1380 ; 4-byte Folded Spill
	v_cmpx_ne_u32_e32 0x7f, v2
	s_cbranch_execz .LBB259_1185
; %bb.1182:                             ;   in Loop: Header=BB259_11 Depth=1
	v_mov_b32_e32 v1, 7
	s_mov_b32 s22, exec_lo
	v_and_b32_sdwa v27, v0, v1 dst_sel:DWORD dst_unused:UNUSED_PAD src0_sel:WORD_1 src1_sel:DWORD
	v_lshrrev_b32_e32 v1, 3, v2
	v_cmpx_gt_u32_e32 8, v2
; %bb.1183:                             ;   in Loop: Header=BB259_11 Depth=1
	v_ffbh_u32_e32 v1, v27
	v_min_u32_e32 v1, 32, v1
	v_subrev_nc_u32_e32 v2, 28, v1
	v_sub_nc_u32_e32 v1, 29, v1
	v_lshlrev_b64 v[2:3], v2, v[27:28]
	v_and_b32_e32 v27, 7, v2
; %bb.1184:                             ;   in Loop: Header=BB259_11 Depth=1
	s_or_b32 exec_lo, exec_lo, s22
	v_mov_b32_e32 v2, 24
	v_lshlrev_b32_e32 v3, 20, v27
	v_lshl_add_u32 v1, v1, 23, 0x3c000000
	v_lshlrev_b32_sdwa v2, v2, v0 dst_sel:DWORD dst_unused:UNUSED_PAD src0_sel:DWORD src1_sel:WORD_1
	v_and_b32_e32 v2, 0x80000000, v2
	v_or3_b32 v27, v3, v2, v1
	buffer_store_dword v27, off, s[0:3], s32 offset:1376 ; 4-byte Folded Spill
	buffer_store_dword v28, off, s[0:3], s32 offset:1380 ; 4-byte Folded Spill
.LBB259_1185:                           ;   in Loop: Header=BB259_11 Depth=1
	s_or_b32 exec_lo, exec_lo, s19
.LBB259_1186:                           ;   in Loop: Header=BB259_11 Depth=1
	s_or_b32 exec_lo, exec_lo, s7
.LBB259_1187:                           ;   in Loop: Header=BB259_11 Depth=1
	s_or_b32 exec_lo, exec_lo, s6
	s_mov_b32 s6, exec_lo
	v_cmpx_lt_u32_e32 0xffffff, v0
	s_cbranch_execz .LBB259_1195
; %bb.1188:                             ;   in Loop: Header=BB259_11 Depth=1
	v_mov_b32_e32 v1, 0x80
	v_mov_b32_e32 v98, v28
	buffer_store_dword v98, off, s[0:3], s32 offset:1368 ; 4-byte Folded Spill
	buffer_store_dword v99, off, s[0:3], s32 offset:1372 ; 4-byte Folded Spill
	v_cmp_ne_u32_sdwa s5, v0, v1 src0_sel:BYTE_3 src1_sel:DWORD
	s_and_saveexec_b32 s7, s5
	s_cbranch_execz .LBB259_1194
; %bb.1189:                             ;   in Loop: Header=BB259_11 Depth=1
	v_bfe_u32 v2, v0, 24, 7
	v_mov_b32_e32 v116, v28
	s_mov_b32 s19, exec_lo
	buffer_store_dword v116, off, s[0:3], s32 offset:1368 ; 4-byte Folded Spill
	buffer_store_dword v117, off, s[0:3], s32 offset:1372 ; 4-byte Folded Spill
	v_cmpx_ne_u32_e32 0x7f, v2
	s_cbranch_execz .LBB259_1193
; %bb.1190:                             ;   in Loop: Header=BB259_11 Depth=1
	v_mov_b32_e32 v1, 7
	s_mov_b32 s22, exec_lo
	v_and_b32_sdwa v27, v0, v1 dst_sel:DWORD dst_unused:UNUSED_PAD src0_sel:BYTE_3 src1_sel:DWORD
	v_lshrrev_b32_e32 v1, 3, v2
	v_cmpx_gt_u32_e32 8, v2
; %bb.1191:                             ;   in Loop: Header=BB259_11 Depth=1
	v_ffbh_u32_e32 v1, v27
	v_min_u32_e32 v1, 32, v1
	v_subrev_nc_u32_e32 v2, 28, v1
	v_sub_nc_u32_e32 v1, 29, v1
	v_lshlrev_b64 v[2:3], v2, v[27:28]
	v_and_b32_e32 v27, 7, v2
; %bb.1192:                             ;   in Loop: Header=BB259_11 Depth=1
	s_or_b32 exec_lo, exec_lo, s22
	v_mov_b32_e32 v2, 24
	v_lshl_add_u32 v1, v1, 23, 0x3c000000
	v_lshlrev_b32_sdwa v0, v2, v0 dst_sel:DWORD dst_unused:UNUSED_PAD src0_sel:DWORD src1_sel:BYTE_3
	v_lshlrev_b32_e32 v2, 20, v27
	v_and_b32_e32 v0, 0x80000000, v0
	v_or3_b32 v1, v2, v0, v1
	v_mov_b32_e32 v0, v28
	buffer_store_dword v0, off, s[0:3], s32 offset:1368 ; 4-byte Folded Spill
	buffer_store_dword v1, off, s[0:3], s32 offset:1372 ; 4-byte Folded Spill
.LBB259_1193:                           ;   in Loop: Header=BB259_11 Depth=1
	s_or_b32 exec_lo, exec_lo, s19
.LBB259_1194:                           ;   in Loop: Header=BB259_11 Depth=1
	s_or_b32 exec_lo, exec_lo, s7
.LBB259_1195:                           ;   in Loop: Header=BB259_11 Depth=1
	s_or_b32 exec_lo, exec_lo, s6
	flat_load_dword v0, v[66:67] offset:516
	v_mov_b32_e32 v1, 0
	v_mov_b32_e32 v2, 0
	buffer_store_dword v1, off, s[0:3], s32 offset:1392 ; 4-byte Folded Spill
	buffer_store_dword v2, off, s[0:3], s32 offset:1396 ; 4-byte Folded Spill
	v_mov_b32_e32 v1, 0
	v_mov_b32_e32 v2, 0
	buffer_store_dword v1, off, s[0:3], s32 offset:1384 ; 4-byte Folded Spill
	buffer_store_dword v2, off, s[0:3], s32 offset:1388 ; 4-byte Folded Spill
	s_waitcnt vmcnt(0) lgkmcnt(0)
	v_cmp_ne_u16_sdwa s5, v0, v28 src0_sel:BYTE_0 src1_sel:DWORD
	s_and_saveexec_b32 s6, s5
	s_cbranch_execz .LBB259_1203
; %bb.1196:                             ;   in Loop: Header=BB259_11 Depth=1
	v_bfrev_b32_e32 v1, 1
	v_mov_b32_e32 v2, 0
	buffer_store_dword v1, off, s[0:3], s32 offset:1384 ; 4-byte Folded Spill
	buffer_store_dword v2, off, s[0:3], s32 offset:1388 ; 4-byte Folded Spill
	v_mov_b32_e32 v1, 0x80
	v_cmp_ne_u16_sdwa s5, v0, v1 src0_sel:BYTE_0 src1_sel:DWORD
	s_and_saveexec_b32 s7, s5
	s_cbranch_execz .LBB259_1202
; %bb.1197:                             ;   in Loop: Header=BB259_11 Depth=1
	v_mov_b32_e32 v3, 0x7f800001
	v_and_b32_e32 v2, 0x7f, v0
	v_mov_b32_e32 v4, 0
	s_mov_b32 s19, exec_lo
	buffer_store_dword v3, off, s[0:3], s32 offset:1384 ; 4-byte Folded Spill
	buffer_store_dword v4, off, s[0:3], s32 offset:1388 ; 4-byte Folded Spill
	v_cmpx_ne_u32_e32 0x7f, v2
	s_cbranch_execz .LBB259_1201
; %bb.1198:                             ;   in Loop: Header=BB259_11 Depth=1
	v_and_b32_e32 v27, 7, v0
	v_lshrrev_b32_e32 v1, 3, v2
	s_mov_b32 s22, exec_lo
	v_cmpx_gt_u32_e32 8, v2
; %bb.1199:                             ;   in Loop: Header=BB259_11 Depth=1
	v_ffbh_u32_e32 v1, v27
	v_min_u32_e32 v1, 32, v1
	v_subrev_nc_u32_e32 v2, 28, v1
	v_sub_nc_u32_e32 v1, 29, v1
	v_lshlrev_b64 v[2:3], v2, v[27:28]
	v_and_b32_e32 v27, 7, v2
; %bb.1200:                             ;   in Loop: Header=BB259_11 Depth=1
	s_or_b32 exec_lo, exec_lo, s22
	v_lshlrev_b32_e32 v2, 24, v0
	v_lshlrev_b32_e32 v3, 20, v27
	v_lshl_add_u32 v1, v1, 23, 0x3c000000
	v_and_b32_e32 v2, 0x80000000, v2
	v_or3_b32 v27, v3, v2, v1
	buffer_store_dword v27, off, s[0:3], s32 offset:1384 ; 4-byte Folded Spill
	buffer_store_dword v28, off, s[0:3], s32 offset:1388 ; 4-byte Folded Spill
.LBB259_1201:                           ;   in Loop: Header=BB259_11 Depth=1
	s_or_b32 exec_lo, exec_lo, s19
.LBB259_1202:                           ;   in Loop: Header=BB259_11 Depth=1
	s_or_b32 exec_lo, exec_lo, s7
.LBB259_1203:                           ;   in Loop: Header=BB259_11 Depth=1
	s_or_b32 exec_lo, exec_lo, s6
	v_cmp_ne_u16_sdwa s5, v0, v28 src0_sel:BYTE_1 src1_sel:DWORD
	s_and_saveexec_b32 s6, s5
	s_cbranch_execz .LBB259_1211
; %bb.1204:                             ;   in Loop: Header=BB259_11 Depth=1
	v_mov_b32_e32 v1, 0x80
	v_mov_b32_e32 v98, v28
	buffer_store_dword v98, off, s[0:3], s32 offset:1392 ; 4-byte Folded Spill
	buffer_store_dword v99, off, s[0:3], s32 offset:1396 ; 4-byte Folded Spill
	v_cmp_ne_u16_sdwa s5, v0, v1 src0_sel:BYTE_1 src1_sel:DWORD
	s_and_saveexec_b32 s7, s5
	s_cbranch_execz .LBB259_1210
; %bb.1205:                             ;   in Loop: Header=BB259_11 Depth=1
	v_mov_b32_e32 v1, 0xffff
	v_mov_b32_e32 v116, v28
	s_mov_b32 s19, exec_lo
	buffer_store_dword v116, off, s[0:3], s32 offset:1392 ; 4-byte Folded Spill
	buffer_store_dword v117, off, s[0:3], s32 offset:1396 ; 4-byte Folded Spill
	v_and_b32_sdwa v1, v1, v0 dst_sel:DWORD dst_unused:UNUSED_PAD src0_sel:DWORD src1_sel:BYTE_1
	v_and_b32_e32 v2, 0x7f, v1
	v_cmpx_ne_u32_e32 0x7f, v2
	s_cbranch_execz .LBB259_1209
; %bb.1206:                             ;   in Loop: Header=BB259_11 Depth=1
	v_and_b32_e32 v27, 7, v1
	v_lshrrev_b32_e32 v1, 3, v2
	s_mov_b32 s22, exec_lo
	v_cmpx_gt_u32_e32 8, v2
; %bb.1207:                             ;   in Loop: Header=BB259_11 Depth=1
	v_ffbh_u32_e32 v1, v27
	v_min_u32_e32 v1, 32, v1
	v_subrev_nc_u32_e32 v2, 28, v1
	v_sub_nc_u32_e32 v1, 29, v1
	v_lshlrev_b64 v[2:3], v2, v[27:28]
	v_and_b32_e32 v27, 7, v2
; %bb.1208:                             ;   in Loop: Header=BB259_11 Depth=1
	s_or_b32 exec_lo, exec_lo, s22
	v_lshlrev_b32_e32 v2, 16, v0
	v_lshlrev_b32_e32 v3, 20, v27
	v_lshl_add_u32 v1, v1, 23, 0x3c000000
	v_and_b32_e32 v2, 0x80000000, v2
	v_or3_b32 v2, v3, v2, v1
	v_mov_b32_e32 v1, v28
	buffer_store_dword v1, off, s[0:3], s32 offset:1392 ; 4-byte Folded Spill
	buffer_store_dword v2, off, s[0:3], s32 offset:1396 ; 4-byte Folded Spill
.LBB259_1209:                           ;   in Loop: Header=BB259_11 Depth=1
	s_or_b32 exec_lo, exec_lo, s19
.LBB259_1210:                           ;   in Loop: Header=BB259_11 Depth=1
	s_or_b32 exec_lo, exec_lo, s7
.LBB259_1211:                           ;   in Loop: Header=BB259_11 Depth=1
	s_or_b32 exec_lo, exec_lo, s6
	v_mov_b32_e32 v2, 0
	v_mov_b32_e32 v3, 0
	v_and_b32_sdwa v1, v0, v6 dst_sel:DWORD dst_unused:UNUSED_PAD src0_sel:WORD_1 src1_sel:DWORD
	s_mov_b32 s6, exec_lo
	buffer_store_dword v2, off, s[0:3], s32 offset:1400 ; 4-byte Folded Spill
	buffer_store_dword v3, off, s[0:3], s32 offset:1404 ; 4-byte Folded Spill
	v_mov_b32_e32 v2, 0
	v_mov_b32_e32 v3, 0
	buffer_store_dword v2, off, s[0:3], s32 offset:1408 ; 4-byte Folded Spill
	buffer_store_dword v3, off, s[0:3], s32 offset:1412 ; 4-byte Folded Spill
	v_cmpx_ne_u16_e32 0, v1
	s_cbranch_execz .LBB259_1219
; %bb.1212:                             ;   in Loop: Header=BB259_11 Depth=1
	v_cmp_ne_u16_e64 s5, 0x80, v1
	v_bfrev_b32_e32 v1, 1
	v_mov_b32_e32 v2, 0
	buffer_store_dword v1, off, s[0:3], s32 offset:1408 ; 4-byte Folded Spill
	buffer_store_dword v2, off, s[0:3], s32 offset:1412 ; 4-byte Folded Spill
	s_and_saveexec_b32 s7, s5
	s_cbranch_execz .LBB259_1218
; %bb.1213:                             ;   in Loop: Header=BB259_11 Depth=1
	v_mov_b32_e32 v3, 0x7f800001
	v_bfe_u32 v2, v0, 16, 7
	v_mov_b32_e32 v4, 0
	s_mov_b32 s19, exec_lo
	buffer_store_dword v3, off, s[0:3], s32 offset:1408 ; 4-byte Folded Spill
	buffer_store_dword v4, off, s[0:3], s32 offset:1412 ; 4-byte Folded Spill
	v_cmpx_ne_u32_e32 0x7f, v2
	s_cbranch_execz .LBB259_1217
; %bb.1214:                             ;   in Loop: Header=BB259_11 Depth=1
	v_mov_b32_e32 v1, 7
	s_mov_b32 s22, exec_lo
	v_and_b32_sdwa v27, v0, v1 dst_sel:DWORD dst_unused:UNUSED_PAD src0_sel:WORD_1 src1_sel:DWORD
	v_lshrrev_b32_e32 v1, 3, v2
	v_cmpx_gt_u32_e32 8, v2
; %bb.1215:                             ;   in Loop: Header=BB259_11 Depth=1
	v_ffbh_u32_e32 v1, v27
	v_min_u32_e32 v1, 32, v1
	v_subrev_nc_u32_e32 v2, 28, v1
	v_sub_nc_u32_e32 v1, 29, v1
	v_lshlrev_b64 v[2:3], v2, v[27:28]
	v_and_b32_e32 v27, 7, v2
; %bb.1216:                             ;   in Loop: Header=BB259_11 Depth=1
	s_or_b32 exec_lo, exec_lo, s22
	v_mov_b32_e32 v2, 24
	v_lshlrev_b32_e32 v3, 20, v27
	v_lshl_add_u32 v1, v1, 23, 0x3c000000
	v_lshlrev_b32_sdwa v2, v2, v0 dst_sel:DWORD dst_unused:UNUSED_PAD src0_sel:DWORD src1_sel:WORD_1
	v_and_b32_e32 v2, 0x80000000, v2
	v_or3_b32 v27, v3, v2, v1
	buffer_store_dword v27, off, s[0:3], s32 offset:1408 ; 4-byte Folded Spill
	buffer_store_dword v28, off, s[0:3], s32 offset:1412 ; 4-byte Folded Spill
.LBB259_1217:                           ;   in Loop: Header=BB259_11 Depth=1
	s_or_b32 exec_lo, exec_lo, s19
.LBB259_1218:                           ;   in Loop: Header=BB259_11 Depth=1
	s_or_b32 exec_lo, exec_lo, s7
.LBB259_1219:                           ;   in Loop: Header=BB259_11 Depth=1
	s_or_b32 exec_lo, exec_lo, s6
	s_mov_b32 s6, exec_lo
	v_cmpx_lt_u32_e32 0xffffff, v0
	s_cbranch_execz .LBB259_1227
; %bb.1220:                             ;   in Loop: Header=BB259_11 Depth=1
	v_mov_b32_e32 v1, 0x80
	v_mov_b32_e32 v98, v28
	buffer_store_dword v98, off, s[0:3], s32 offset:1400 ; 4-byte Folded Spill
	buffer_store_dword v99, off, s[0:3], s32 offset:1404 ; 4-byte Folded Spill
	v_cmp_ne_u32_sdwa s5, v0, v1 src0_sel:BYTE_3 src1_sel:DWORD
	s_and_saveexec_b32 s7, s5
	s_cbranch_execz .LBB259_1226
; %bb.1221:                             ;   in Loop: Header=BB259_11 Depth=1
	v_bfe_u32 v2, v0, 24, 7
	v_mov_b32_e32 v116, v28
	s_mov_b32 s19, exec_lo
	buffer_store_dword v116, off, s[0:3], s32 offset:1400 ; 4-byte Folded Spill
	buffer_store_dword v117, off, s[0:3], s32 offset:1404 ; 4-byte Folded Spill
	v_cmpx_ne_u32_e32 0x7f, v2
	s_cbranch_execz .LBB259_1225
; %bb.1222:                             ;   in Loop: Header=BB259_11 Depth=1
	v_mov_b32_e32 v1, 7
	s_mov_b32 s22, exec_lo
	v_and_b32_sdwa v27, v0, v1 dst_sel:DWORD dst_unused:UNUSED_PAD src0_sel:BYTE_3 src1_sel:DWORD
	v_lshrrev_b32_e32 v1, 3, v2
	v_cmpx_gt_u32_e32 8, v2
; %bb.1223:                             ;   in Loop: Header=BB259_11 Depth=1
	v_ffbh_u32_e32 v1, v27
	v_min_u32_e32 v1, 32, v1
	v_subrev_nc_u32_e32 v2, 28, v1
	v_sub_nc_u32_e32 v1, 29, v1
	v_lshlrev_b64 v[2:3], v2, v[27:28]
	v_and_b32_e32 v27, 7, v2
; %bb.1224:                             ;   in Loop: Header=BB259_11 Depth=1
	s_or_b32 exec_lo, exec_lo, s22
	v_mov_b32_e32 v2, 24
	v_lshl_add_u32 v1, v1, 23, 0x3c000000
	v_lshlrev_b32_sdwa v0, v2, v0 dst_sel:DWORD dst_unused:UNUSED_PAD src0_sel:DWORD src1_sel:BYTE_3
	v_lshlrev_b32_e32 v2, 20, v27
	v_and_b32_e32 v0, 0x80000000, v0
	v_or3_b32 v1, v2, v0, v1
	v_mov_b32_e32 v0, v28
	buffer_store_dword v0, off, s[0:3], s32 offset:1400 ; 4-byte Folded Spill
	buffer_store_dword v1, off, s[0:3], s32 offset:1404 ; 4-byte Folded Spill
.LBB259_1225:                           ;   in Loop: Header=BB259_11 Depth=1
	s_or_b32 exec_lo, exec_lo, s19
.LBB259_1226:                           ;   in Loop: Header=BB259_11 Depth=1
	s_or_b32 exec_lo, exec_lo, s7
.LBB259_1227:                           ;   in Loop: Header=BB259_11 Depth=1
	s_or_b32 exec_lo, exec_lo, s6
	flat_load_dword v0, v[66:67] offset:520
	v_mov_b32_e32 v1, 0
	v_mov_b32_e32 v2, 0
	buffer_store_dword v1, off, s[0:3], s32 offset:1424 ; 4-byte Folded Spill
	buffer_store_dword v2, off, s[0:3], s32 offset:1428 ; 4-byte Folded Spill
	v_mov_b32_e32 v1, 0
	v_mov_b32_e32 v2, 0
	buffer_store_dword v1, off, s[0:3], s32 offset:1416 ; 4-byte Folded Spill
	buffer_store_dword v2, off, s[0:3], s32 offset:1420 ; 4-byte Folded Spill
	s_waitcnt vmcnt(0) lgkmcnt(0)
	v_cmp_ne_u16_sdwa s5, v0, v28 src0_sel:BYTE_0 src1_sel:DWORD
	s_and_saveexec_b32 s6, s5
	s_cbranch_execz .LBB259_1235
; %bb.1228:                             ;   in Loop: Header=BB259_11 Depth=1
	v_bfrev_b32_e32 v1, 1
	v_mov_b32_e32 v2, 0
	buffer_store_dword v1, off, s[0:3], s32 offset:1416 ; 4-byte Folded Spill
	buffer_store_dword v2, off, s[0:3], s32 offset:1420 ; 4-byte Folded Spill
	v_mov_b32_e32 v1, 0x80
	v_cmp_ne_u16_sdwa s5, v0, v1 src0_sel:BYTE_0 src1_sel:DWORD
	s_and_saveexec_b32 s7, s5
	s_cbranch_execz .LBB259_1234
; %bb.1229:                             ;   in Loop: Header=BB259_11 Depth=1
	v_mov_b32_e32 v3, 0x7f800001
	v_and_b32_e32 v2, 0x7f, v0
	v_mov_b32_e32 v4, 0
	s_mov_b32 s19, exec_lo
	buffer_store_dword v3, off, s[0:3], s32 offset:1416 ; 4-byte Folded Spill
	buffer_store_dword v4, off, s[0:3], s32 offset:1420 ; 4-byte Folded Spill
	v_cmpx_ne_u32_e32 0x7f, v2
	s_cbranch_execz .LBB259_1233
; %bb.1230:                             ;   in Loop: Header=BB259_11 Depth=1
	v_and_b32_e32 v27, 7, v0
	v_lshrrev_b32_e32 v1, 3, v2
	s_mov_b32 s22, exec_lo
	v_cmpx_gt_u32_e32 8, v2
; %bb.1231:                             ;   in Loop: Header=BB259_11 Depth=1
	v_ffbh_u32_e32 v1, v27
	v_min_u32_e32 v1, 32, v1
	v_subrev_nc_u32_e32 v2, 28, v1
	v_sub_nc_u32_e32 v1, 29, v1
	v_lshlrev_b64 v[2:3], v2, v[27:28]
	v_and_b32_e32 v27, 7, v2
; %bb.1232:                             ;   in Loop: Header=BB259_11 Depth=1
	s_or_b32 exec_lo, exec_lo, s22
	v_lshlrev_b32_e32 v2, 24, v0
	v_lshlrev_b32_e32 v3, 20, v27
	v_lshl_add_u32 v1, v1, 23, 0x3c000000
	v_and_b32_e32 v2, 0x80000000, v2
	v_or3_b32 v27, v3, v2, v1
	buffer_store_dword v27, off, s[0:3], s32 offset:1416 ; 4-byte Folded Spill
	buffer_store_dword v28, off, s[0:3], s32 offset:1420 ; 4-byte Folded Spill
.LBB259_1233:                           ;   in Loop: Header=BB259_11 Depth=1
	s_or_b32 exec_lo, exec_lo, s19
.LBB259_1234:                           ;   in Loop: Header=BB259_11 Depth=1
	s_or_b32 exec_lo, exec_lo, s7
.LBB259_1235:                           ;   in Loop: Header=BB259_11 Depth=1
	s_or_b32 exec_lo, exec_lo, s6
	v_cmp_ne_u16_sdwa s5, v0, v28 src0_sel:BYTE_1 src1_sel:DWORD
	s_and_saveexec_b32 s6, s5
	s_cbranch_execz .LBB259_1243
; %bb.1236:                             ;   in Loop: Header=BB259_11 Depth=1
	v_mov_b32_e32 v1, 0x80
	v_mov_b32_e32 v98, v28
	buffer_store_dword v98, off, s[0:3], s32 offset:1424 ; 4-byte Folded Spill
	buffer_store_dword v99, off, s[0:3], s32 offset:1428 ; 4-byte Folded Spill
	v_cmp_ne_u16_sdwa s5, v0, v1 src0_sel:BYTE_1 src1_sel:DWORD
	s_and_saveexec_b32 s7, s5
	s_cbranch_execz .LBB259_1242
; %bb.1237:                             ;   in Loop: Header=BB259_11 Depth=1
	v_mov_b32_e32 v1, 0xffff
	v_mov_b32_e32 v116, v28
	s_mov_b32 s19, exec_lo
	buffer_store_dword v116, off, s[0:3], s32 offset:1424 ; 4-byte Folded Spill
	buffer_store_dword v117, off, s[0:3], s32 offset:1428 ; 4-byte Folded Spill
	v_and_b32_sdwa v1, v1, v0 dst_sel:DWORD dst_unused:UNUSED_PAD src0_sel:DWORD src1_sel:BYTE_1
	v_and_b32_e32 v2, 0x7f, v1
	v_cmpx_ne_u32_e32 0x7f, v2
	s_cbranch_execz .LBB259_1241
; %bb.1238:                             ;   in Loop: Header=BB259_11 Depth=1
	v_and_b32_e32 v27, 7, v1
	v_lshrrev_b32_e32 v1, 3, v2
	s_mov_b32 s22, exec_lo
	v_cmpx_gt_u32_e32 8, v2
; %bb.1239:                             ;   in Loop: Header=BB259_11 Depth=1
	v_ffbh_u32_e32 v1, v27
	v_min_u32_e32 v1, 32, v1
	v_subrev_nc_u32_e32 v2, 28, v1
	v_sub_nc_u32_e32 v1, 29, v1
	v_lshlrev_b64 v[2:3], v2, v[27:28]
	v_and_b32_e32 v27, 7, v2
; %bb.1240:                             ;   in Loop: Header=BB259_11 Depth=1
	s_or_b32 exec_lo, exec_lo, s22
	v_lshlrev_b32_e32 v2, 16, v0
	v_lshlrev_b32_e32 v3, 20, v27
	v_lshl_add_u32 v1, v1, 23, 0x3c000000
	v_and_b32_e32 v2, 0x80000000, v2
	v_or3_b32 v2, v3, v2, v1
	v_mov_b32_e32 v1, v28
	buffer_store_dword v1, off, s[0:3], s32 offset:1424 ; 4-byte Folded Spill
	buffer_store_dword v2, off, s[0:3], s32 offset:1428 ; 4-byte Folded Spill
.LBB259_1241:                           ;   in Loop: Header=BB259_11 Depth=1
	s_or_b32 exec_lo, exec_lo, s19
.LBB259_1242:                           ;   in Loop: Header=BB259_11 Depth=1
	s_or_b32 exec_lo, exec_lo, s7
.LBB259_1243:                           ;   in Loop: Header=BB259_11 Depth=1
	s_or_b32 exec_lo, exec_lo, s6
	v_mov_b32_e32 v2, 0
	v_mov_b32_e32 v3, 0
	v_and_b32_sdwa v1, v0, v6 dst_sel:DWORD dst_unused:UNUSED_PAD src0_sel:WORD_1 src1_sel:DWORD
	s_mov_b32 s6, exec_lo
	buffer_store_dword v2, off, s[0:3], s32 offset:1432 ; 4-byte Folded Spill
	buffer_store_dword v3, off, s[0:3], s32 offset:1436 ; 4-byte Folded Spill
	v_mov_b32_e32 v2, 0
	v_mov_b32_e32 v3, 0
	buffer_store_dword v2, off, s[0:3], s32 offset:1440 ; 4-byte Folded Spill
	buffer_store_dword v3, off, s[0:3], s32 offset:1444 ; 4-byte Folded Spill
	v_cmpx_ne_u16_e32 0, v1
	s_cbranch_execz .LBB259_1251
; %bb.1244:                             ;   in Loop: Header=BB259_11 Depth=1
	v_cmp_ne_u16_e64 s5, 0x80, v1
	v_bfrev_b32_e32 v1, 1
	v_mov_b32_e32 v2, 0
	buffer_store_dword v1, off, s[0:3], s32 offset:1440 ; 4-byte Folded Spill
	buffer_store_dword v2, off, s[0:3], s32 offset:1444 ; 4-byte Folded Spill
	s_and_saveexec_b32 s7, s5
	s_cbranch_execz .LBB259_1250
; %bb.1245:                             ;   in Loop: Header=BB259_11 Depth=1
	v_mov_b32_e32 v3, 0x7f800001
	v_bfe_u32 v2, v0, 16, 7
	v_mov_b32_e32 v4, 0
	s_mov_b32 s19, exec_lo
	buffer_store_dword v3, off, s[0:3], s32 offset:1440 ; 4-byte Folded Spill
	buffer_store_dword v4, off, s[0:3], s32 offset:1444 ; 4-byte Folded Spill
	v_cmpx_ne_u32_e32 0x7f, v2
	s_cbranch_execz .LBB259_1249
; %bb.1246:                             ;   in Loop: Header=BB259_11 Depth=1
	v_mov_b32_e32 v1, 7
	s_mov_b32 s22, exec_lo
	v_and_b32_sdwa v27, v0, v1 dst_sel:DWORD dst_unused:UNUSED_PAD src0_sel:WORD_1 src1_sel:DWORD
	v_lshrrev_b32_e32 v1, 3, v2
	v_cmpx_gt_u32_e32 8, v2
; %bb.1247:                             ;   in Loop: Header=BB259_11 Depth=1
	v_ffbh_u32_e32 v1, v27
	v_min_u32_e32 v1, 32, v1
	v_subrev_nc_u32_e32 v2, 28, v1
	v_sub_nc_u32_e32 v1, 29, v1
	v_lshlrev_b64 v[2:3], v2, v[27:28]
	v_and_b32_e32 v27, 7, v2
; %bb.1248:                             ;   in Loop: Header=BB259_11 Depth=1
	s_or_b32 exec_lo, exec_lo, s22
	v_mov_b32_e32 v2, 24
	v_lshlrev_b32_e32 v3, 20, v27
	v_lshl_add_u32 v1, v1, 23, 0x3c000000
	v_lshlrev_b32_sdwa v2, v2, v0 dst_sel:DWORD dst_unused:UNUSED_PAD src0_sel:DWORD src1_sel:WORD_1
	v_and_b32_e32 v2, 0x80000000, v2
	v_or3_b32 v27, v3, v2, v1
	buffer_store_dword v27, off, s[0:3], s32 offset:1440 ; 4-byte Folded Spill
	buffer_store_dword v28, off, s[0:3], s32 offset:1444 ; 4-byte Folded Spill
.LBB259_1249:                           ;   in Loop: Header=BB259_11 Depth=1
	s_or_b32 exec_lo, exec_lo, s19
.LBB259_1250:                           ;   in Loop: Header=BB259_11 Depth=1
	s_or_b32 exec_lo, exec_lo, s7
.LBB259_1251:                           ;   in Loop: Header=BB259_11 Depth=1
	s_or_b32 exec_lo, exec_lo, s6
	s_mov_b32 s6, exec_lo
	v_cmpx_lt_u32_e32 0xffffff, v0
	s_cbranch_execz .LBB259_1259
; %bb.1252:                             ;   in Loop: Header=BB259_11 Depth=1
	v_mov_b32_e32 v1, 0x80
	v_mov_b32_e32 v98, v28
	buffer_store_dword v98, off, s[0:3], s32 offset:1432 ; 4-byte Folded Spill
	buffer_store_dword v99, off, s[0:3], s32 offset:1436 ; 4-byte Folded Spill
	v_cmp_ne_u32_sdwa s5, v0, v1 src0_sel:BYTE_3 src1_sel:DWORD
	s_and_saveexec_b32 s7, s5
	s_cbranch_execz .LBB259_1258
; %bb.1253:                             ;   in Loop: Header=BB259_11 Depth=1
	v_bfe_u32 v2, v0, 24, 7
	v_mov_b32_e32 v116, v28
	s_mov_b32 s19, exec_lo
	buffer_store_dword v116, off, s[0:3], s32 offset:1432 ; 4-byte Folded Spill
	buffer_store_dword v117, off, s[0:3], s32 offset:1436 ; 4-byte Folded Spill
	v_cmpx_ne_u32_e32 0x7f, v2
	s_cbranch_execz .LBB259_1257
; %bb.1254:                             ;   in Loop: Header=BB259_11 Depth=1
	v_mov_b32_e32 v1, 7
	s_mov_b32 s22, exec_lo
	v_and_b32_sdwa v27, v0, v1 dst_sel:DWORD dst_unused:UNUSED_PAD src0_sel:BYTE_3 src1_sel:DWORD
	v_lshrrev_b32_e32 v1, 3, v2
	v_cmpx_gt_u32_e32 8, v2
; %bb.1255:                             ;   in Loop: Header=BB259_11 Depth=1
	v_ffbh_u32_e32 v1, v27
	v_min_u32_e32 v1, 32, v1
	v_subrev_nc_u32_e32 v2, 28, v1
	v_sub_nc_u32_e32 v1, 29, v1
	v_lshlrev_b64 v[2:3], v2, v[27:28]
	v_and_b32_e32 v27, 7, v2
; %bb.1256:                             ;   in Loop: Header=BB259_11 Depth=1
	s_or_b32 exec_lo, exec_lo, s22
	v_mov_b32_e32 v2, 24
	v_lshl_add_u32 v1, v1, 23, 0x3c000000
	v_lshlrev_b32_sdwa v0, v2, v0 dst_sel:DWORD dst_unused:UNUSED_PAD src0_sel:DWORD src1_sel:BYTE_3
	v_lshlrev_b32_e32 v2, 20, v27
	v_and_b32_e32 v0, 0x80000000, v0
	v_or3_b32 v1, v2, v0, v1
	v_mov_b32_e32 v0, v28
	buffer_store_dword v0, off, s[0:3], s32 offset:1432 ; 4-byte Folded Spill
	buffer_store_dword v1, off, s[0:3], s32 offset:1436 ; 4-byte Folded Spill
.LBB259_1257:                           ;   in Loop: Header=BB259_11 Depth=1
	s_or_b32 exec_lo, exec_lo, s19
.LBB259_1258:                           ;   in Loop: Header=BB259_11 Depth=1
	s_or_b32 exec_lo, exec_lo, s7
.LBB259_1259:                           ;   in Loop: Header=BB259_11 Depth=1
	s_or_b32 exec_lo, exec_lo, s6
	flat_load_dword v0, v[66:67] offset:524
	v_mov_b32_e32 v1, 0
	v_mov_b32_e32 v2, 0
	buffer_store_dword v1, off, s[0:3], s32 offset:1456 ; 4-byte Folded Spill
	buffer_store_dword v2, off, s[0:3], s32 offset:1460 ; 4-byte Folded Spill
	v_mov_b32_e32 v1, 0
	v_mov_b32_e32 v2, 0
	buffer_store_dword v1, off, s[0:3], s32 offset:1448 ; 4-byte Folded Spill
	buffer_store_dword v2, off, s[0:3], s32 offset:1452 ; 4-byte Folded Spill
	s_waitcnt vmcnt(0) lgkmcnt(0)
	v_cmp_ne_u16_sdwa s5, v0, v28 src0_sel:BYTE_0 src1_sel:DWORD
	s_and_saveexec_b32 s6, s5
	s_cbranch_execz .LBB259_1267
; %bb.1260:                             ;   in Loop: Header=BB259_11 Depth=1
	v_bfrev_b32_e32 v1, 1
	v_mov_b32_e32 v2, 0
	buffer_store_dword v1, off, s[0:3], s32 offset:1448 ; 4-byte Folded Spill
	buffer_store_dword v2, off, s[0:3], s32 offset:1452 ; 4-byte Folded Spill
	v_mov_b32_e32 v1, 0x80
	v_cmp_ne_u16_sdwa s5, v0, v1 src0_sel:BYTE_0 src1_sel:DWORD
	s_and_saveexec_b32 s7, s5
	s_cbranch_execz .LBB259_1266
; %bb.1261:                             ;   in Loop: Header=BB259_11 Depth=1
	v_mov_b32_e32 v3, 0x7f800001
	v_and_b32_e32 v2, 0x7f, v0
	v_mov_b32_e32 v4, 0
	s_mov_b32 s19, exec_lo
	buffer_store_dword v3, off, s[0:3], s32 offset:1448 ; 4-byte Folded Spill
	buffer_store_dword v4, off, s[0:3], s32 offset:1452 ; 4-byte Folded Spill
	v_cmpx_ne_u32_e32 0x7f, v2
	s_cbranch_execz .LBB259_1265
; %bb.1262:                             ;   in Loop: Header=BB259_11 Depth=1
	v_and_b32_e32 v27, 7, v0
	v_lshrrev_b32_e32 v1, 3, v2
	s_mov_b32 s22, exec_lo
	v_cmpx_gt_u32_e32 8, v2
; %bb.1263:                             ;   in Loop: Header=BB259_11 Depth=1
	v_ffbh_u32_e32 v1, v27
	v_min_u32_e32 v1, 32, v1
	v_subrev_nc_u32_e32 v2, 28, v1
	v_sub_nc_u32_e32 v1, 29, v1
	v_lshlrev_b64 v[2:3], v2, v[27:28]
	v_and_b32_e32 v27, 7, v2
; %bb.1264:                             ;   in Loop: Header=BB259_11 Depth=1
	s_or_b32 exec_lo, exec_lo, s22
	v_lshlrev_b32_e32 v2, 24, v0
	v_lshlrev_b32_e32 v3, 20, v27
	v_lshl_add_u32 v1, v1, 23, 0x3c000000
	v_and_b32_e32 v2, 0x80000000, v2
	v_or3_b32 v27, v3, v2, v1
	buffer_store_dword v27, off, s[0:3], s32 offset:1448 ; 4-byte Folded Spill
	buffer_store_dword v28, off, s[0:3], s32 offset:1452 ; 4-byte Folded Spill
.LBB259_1265:                           ;   in Loop: Header=BB259_11 Depth=1
	s_or_b32 exec_lo, exec_lo, s19
.LBB259_1266:                           ;   in Loop: Header=BB259_11 Depth=1
	s_or_b32 exec_lo, exec_lo, s7
.LBB259_1267:                           ;   in Loop: Header=BB259_11 Depth=1
	s_or_b32 exec_lo, exec_lo, s6
	v_cmp_ne_u16_sdwa s5, v0, v28 src0_sel:BYTE_1 src1_sel:DWORD
	s_and_saveexec_b32 s6, s5
	s_cbranch_execz .LBB259_1275
; %bb.1268:                             ;   in Loop: Header=BB259_11 Depth=1
	v_mov_b32_e32 v1, 0x80
	v_mov_b32_e32 v98, v28
	buffer_store_dword v98, off, s[0:3], s32 offset:1456 ; 4-byte Folded Spill
	buffer_store_dword v99, off, s[0:3], s32 offset:1460 ; 4-byte Folded Spill
	v_cmp_ne_u16_sdwa s5, v0, v1 src0_sel:BYTE_1 src1_sel:DWORD
	s_and_saveexec_b32 s7, s5
	s_cbranch_execz .LBB259_1274
; %bb.1269:                             ;   in Loop: Header=BB259_11 Depth=1
	v_mov_b32_e32 v1, 0xffff
	v_mov_b32_e32 v116, v28
	s_mov_b32 s19, exec_lo
	buffer_store_dword v116, off, s[0:3], s32 offset:1456 ; 4-byte Folded Spill
	buffer_store_dword v117, off, s[0:3], s32 offset:1460 ; 4-byte Folded Spill
	v_and_b32_sdwa v1, v1, v0 dst_sel:DWORD dst_unused:UNUSED_PAD src0_sel:DWORD src1_sel:BYTE_1
	v_and_b32_e32 v2, 0x7f, v1
	v_cmpx_ne_u32_e32 0x7f, v2
	s_cbranch_execz .LBB259_1273
; %bb.1270:                             ;   in Loop: Header=BB259_11 Depth=1
	v_and_b32_e32 v27, 7, v1
	v_lshrrev_b32_e32 v1, 3, v2
	s_mov_b32 s22, exec_lo
	v_cmpx_gt_u32_e32 8, v2
; %bb.1271:                             ;   in Loop: Header=BB259_11 Depth=1
	v_ffbh_u32_e32 v1, v27
	v_min_u32_e32 v1, 32, v1
	v_subrev_nc_u32_e32 v2, 28, v1
	v_sub_nc_u32_e32 v1, 29, v1
	v_lshlrev_b64 v[2:3], v2, v[27:28]
	v_and_b32_e32 v27, 7, v2
; %bb.1272:                             ;   in Loop: Header=BB259_11 Depth=1
	s_or_b32 exec_lo, exec_lo, s22
	v_lshlrev_b32_e32 v2, 16, v0
	v_lshlrev_b32_e32 v3, 20, v27
	v_lshl_add_u32 v1, v1, 23, 0x3c000000
	v_and_b32_e32 v2, 0x80000000, v2
	v_or3_b32 v2, v3, v2, v1
	v_mov_b32_e32 v1, v28
	buffer_store_dword v1, off, s[0:3], s32 offset:1456 ; 4-byte Folded Spill
	buffer_store_dword v2, off, s[0:3], s32 offset:1460 ; 4-byte Folded Spill
.LBB259_1273:                           ;   in Loop: Header=BB259_11 Depth=1
	s_or_b32 exec_lo, exec_lo, s19
.LBB259_1274:                           ;   in Loop: Header=BB259_11 Depth=1
	s_or_b32 exec_lo, exec_lo, s7
.LBB259_1275:                           ;   in Loop: Header=BB259_11 Depth=1
	s_or_b32 exec_lo, exec_lo, s6
	v_mov_b32_e32 v2, 0
	v_mov_b32_e32 v3, 0
	v_and_b32_sdwa v1, v0, v6 dst_sel:DWORD dst_unused:UNUSED_PAD src0_sel:WORD_1 src1_sel:DWORD
	s_mov_b32 s6, exec_lo
	buffer_store_dword v2, off, s[0:3], s32 offset:1464 ; 4-byte Folded Spill
	buffer_store_dword v3, off, s[0:3], s32 offset:1468 ; 4-byte Folded Spill
	v_mov_b32_e32 v2, 0
	v_mov_b32_e32 v3, 0
	buffer_store_dword v2, off, s[0:3], s32 offset:1472 ; 4-byte Folded Spill
	buffer_store_dword v3, off, s[0:3], s32 offset:1476 ; 4-byte Folded Spill
	v_cmpx_ne_u16_e32 0, v1
	s_cbranch_execz .LBB259_1283
; %bb.1276:                             ;   in Loop: Header=BB259_11 Depth=1
	v_cmp_ne_u16_e64 s5, 0x80, v1
	v_bfrev_b32_e32 v1, 1
	v_mov_b32_e32 v2, 0
	buffer_store_dword v1, off, s[0:3], s32 offset:1472 ; 4-byte Folded Spill
	buffer_store_dword v2, off, s[0:3], s32 offset:1476 ; 4-byte Folded Spill
	s_and_saveexec_b32 s7, s5
	s_cbranch_execz .LBB259_1282
; %bb.1277:                             ;   in Loop: Header=BB259_11 Depth=1
	v_mov_b32_e32 v3, 0x7f800001
	v_bfe_u32 v2, v0, 16, 7
	v_mov_b32_e32 v4, 0
	s_mov_b32 s19, exec_lo
	buffer_store_dword v3, off, s[0:3], s32 offset:1472 ; 4-byte Folded Spill
	buffer_store_dword v4, off, s[0:3], s32 offset:1476 ; 4-byte Folded Spill
	v_cmpx_ne_u32_e32 0x7f, v2
	s_cbranch_execz .LBB259_1281
; %bb.1278:                             ;   in Loop: Header=BB259_11 Depth=1
	v_mov_b32_e32 v1, 7
	s_mov_b32 s22, exec_lo
	v_and_b32_sdwa v27, v0, v1 dst_sel:DWORD dst_unused:UNUSED_PAD src0_sel:WORD_1 src1_sel:DWORD
	v_lshrrev_b32_e32 v1, 3, v2
	v_cmpx_gt_u32_e32 8, v2
; %bb.1279:                             ;   in Loop: Header=BB259_11 Depth=1
	v_ffbh_u32_e32 v1, v27
	v_min_u32_e32 v1, 32, v1
	v_subrev_nc_u32_e32 v2, 28, v1
	v_sub_nc_u32_e32 v1, 29, v1
	v_lshlrev_b64 v[2:3], v2, v[27:28]
	v_and_b32_e32 v27, 7, v2
; %bb.1280:                             ;   in Loop: Header=BB259_11 Depth=1
	s_or_b32 exec_lo, exec_lo, s22
	v_mov_b32_e32 v2, 24
	v_lshlrev_b32_e32 v3, 20, v27
	v_lshl_add_u32 v1, v1, 23, 0x3c000000
	v_lshlrev_b32_sdwa v2, v2, v0 dst_sel:DWORD dst_unused:UNUSED_PAD src0_sel:DWORD src1_sel:WORD_1
	v_and_b32_e32 v2, 0x80000000, v2
	v_or3_b32 v27, v3, v2, v1
	buffer_store_dword v27, off, s[0:3], s32 offset:1472 ; 4-byte Folded Spill
	buffer_store_dword v28, off, s[0:3], s32 offset:1476 ; 4-byte Folded Spill
.LBB259_1281:                           ;   in Loop: Header=BB259_11 Depth=1
	s_or_b32 exec_lo, exec_lo, s19
.LBB259_1282:                           ;   in Loop: Header=BB259_11 Depth=1
	s_or_b32 exec_lo, exec_lo, s7
.LBB259_1283:                           ;   in Loop: Header=BB259_11 Depth=1
	s_or_b32 exec_lo, exec_lo, s6
	s_mov_b32 s6, exec_lo
	v_cmpx_lt_u32_e32 0xffffff, v0
	s_cbranch_execz .LBB259_1291
; %bb.1284:                             ;   in Loop: Header=BB259_11 Depth=1
	v_mov_b32_e32 v1, 0x80
	v_mov_b32_e32 v98, v28
	buffer_store_dword v98, off, s[0:3], s32 offset:1464 ; 4-byte Folded Spill
	buffer_store_dword v99, off, s[0:3], s32 offset:1468 ; 4-byte Folded Spill
	v_cmp_ne_u32_sdwa s5, v0, v1 src0_sel:BYTE_3 src1_sel:DWORD
	s_and_saveexec_b32 s7, s5
	s_cbranch_execz .LBB259_1290
; %bb.1285:                             ;   in Loop: Header=BB259_11 Depth=1
	v_bfe_u32 v2, v0, 24, 7
	v_mov_b32_e32 v116, v28
	s_mov_b32 s19, exec_lo
	buffer_store_dword v116, off, s[0:3], s32 offset:1464 ; 4-byte Folded Spill
	buffer_store_dword v117, off, s[0:3], s32 offset:1468 ; 4-byte Folded Spill
	v_cmpx_ne_u32_e32 0x7f, v2
	s_cbranch_execz .LBB259_1289
; %bb.1286:                             ;   in Loop: Header=BB259_11 Depth=1
	v_mov_b32_e32 v1, 7
	s_mov_b32 s22, exec_lo
	v_and_b32_sdwa v27, v0, v1 dst_sel:DWORD dst_unused:UNUSED_PAD src0_sel:BYTE_3 src1_sel:DWORD
	v_lshrrev_b32_e32 v1, 3, v2
	v_cmpx_gt_u32_e32 8, v2
; %bb.1287:                             ;   in Loop: Header=BB259_11 Depth=1
	v_ffbh_u32_e32 v1, v27
	v_min_u32_e32 v1, 32, v1
	v_subrev_nc_u32_e32 v2, 28, v1
	v_sub_nc_u32_e32 v1, 29, v1
	v_lshlrev_b64 v[2:3], v2, v[27:28]
	v_and_b32_e32 v27, 7, v2
; %bb.1288:                             ;   in Loop: Header=BB259_11 Depth=1
	s_or_b32 exec_lo, exec_lo, s22
	v_mov_b32_e32 v2, 24
	v_lshl_add_u32 v1, v1, 23, 0x3c000000
	v_lshlrev_b32_sdwa v0, v2, v0 dst_sel:DWORD dst_unused:UNUSED_PAD src0_sel:DWORD src1_sel:BYTE_3
	v_lshlrev_b32_e32 v2, 20, v27
	v_and_b32_e32 v0, 0x80000000, v0
	v_or3_b32 v1, v2, v0, v1
	v_mov_b32_e32 v0, v28
	buffer_store_dword v0, off, s[0:3], s32 offset:1464 ; 4-byte Folded Spill
	buffer_store_dword v1, off, s[0:3], s32 offset:1468 ; 4-byte Folded Spill
.LBB259_1289:                           ;   in Loop: Header=BB259_11 Depth=1
	s_or_b32 exec_lo, exec_lo, s19
.LBB259_1290:                           ;   in Loop: Header=BB259_11 Depth=1
	s_or_b32 exec_lo, exec_lo, s7
.LBB259_1291:                           ;   in Loop: Header=BB259_11 Depth=1
	s_or_b32 exec_lo, exec_lo, s6
	flat_load_dword v0, v[66:67] offset:1024
	v_mov_b32_e32 v1, 0
	v_mov_b32_e32 v2, 0
	buffer_store_dword v1, off, s[0:3], s32 offset:1488 ; 4-byte Folded Spill
	buffer_store_dword v2, off, s[0:3], s32 offset:1492 ; 4-byte Folded Spill
	v_mov_b32_e32 v1, 0
	v_mov_b32_e32 v2, 0
	buffer_store_dword v1, off, s[0:3], s32 offset:1480 ; 4-byte Folded Spill
	buffer_store_dword v2, off, s[0:3], s32 offset:1484 ; 4-byte Folded Spill
	s_waitcnt vmcnt(0) lgkmcnt(0)
	v_cmp_ne_u16_sdwa s5, v0, v28 src0_sel:BYTE_0 src1_sel:DWORD
	s_and_saveexec_b32 s6, s5
	s_cbranch_execz .LBB259_1299
; %bb.1292:                             ;   in Loop: Header=BB259_11 Depth=1
	v_bfrev_b32_e32 v1, 1
	v_mov_b32_e32 v2, 0
	buffer_store_dword v1, off, s[0:3], s32 offset:1480 ; 4-byte Folded Spill
	buffer_store_dword v2, off, s[0:3], s32 offset:1484 ; 4-byte Folded Spill
	v_mov_b32_e32 v1, 0x80
	v_cmp_ne_u16_sdwa s5, v0, v1 src0_sel:BYTE_0 src1_sel:DWORD
	s_and_saveexec_b32 s7, s5
	s_cbranch_execz .LBB259_1298
; %bb.1293:                             ;   in Loop: Header=BB259_11 Depth=1
	v_mov_b32_e32 v3, 0x7f800001
	v_and_b32_e32 v2, 0x7f, v0
	v_mov_b32_e32 v4, 0
	s_mov_b32 s19, exec_lo
	buffer_store_dword v3, off, s[0:3], s32 offset:1480 ; 4-byte Folded Spill
	buffer_store_dword v4, off, s[0:3], s32 offset:1484 ; 4-byte Folded Spill
	v_cmpx_ne_u32_e32 0x7f, v2
	s_cbranch_execz .LBB259_1297
; %bb.1294:                             ;   in Loop: Header=BB259_11 Depth=1
	v_and_b32_e32 v27, 7, v0
	v_lshrrev_b32_e32 v1, 3, v2
	s_mov_b32 s22, exec_lo
	v_cmpx_gt_u32_e32 8, v2
; %bb.1295:                             ;   in Loop: Header=BB259_11 Depth=1
	v_ffbh_u32_e32 v1, v27
	v_min_u32_e32 v1, 32, v1
	v_subrev_nc_u32_e32 v2, 28, v1
	v_sub_nc_u32_e32 v1, 29, v1
	v_lshlrev_b64 v[2:3], v2, v[27:28]
	v_and_b32_e32 v27, 7, v2
; %bb.1296:                             ;   in Loop: Header=BB259_11 Depth=1
	s_or_b32 exec_lo, exec_lo, s22
	v_lshlrev_b32_e32 v2, 24, v0
	v_lshlrev_b32_e32 v3, 20, v27
	v_lshl_add_u32 v1, v1, 23, 0x3c000000
	v_and_b32_e32 v2, 0x80000000, v2
	v_or3_b32 v27, v3, v2, v1
	buffer_store_dword v27, off, s[0:3], s32 offset:1480 ; 4-byte Folded Spill
	buffer_store_dword v28, off, s[0:3], s32 offset:1484 ; 4-byte Folded Spill
.LBB259_1297:                           ;   in Loop: Header=BB259_11 Depth=1
	s_or_b32 exec_lo, exec_lo, s19
.LBB259_1298:                           ;   in Loop: Header=BB259_11 Depth=1
	s_or_b32 exec_lo, exec_lo, s7
.LBB259_1299:                           ;   in Loop: Header=BB259_11 Depth=1
	s_or_b32 exec_lo, exec_lo, s6
	v_cmp_ne_u16_sdwa s5, v0, v28 src0_sel:BYTE_1 src1_sel:DWORD
	s_and_saveexec_b32 s6, s5
	s_cbranch_execz .LBB259_1307
; %bb.1300:                             ;   in Loop: Header=BB259_11 Depth=1
	v_mov_b32_e32 v1, 0x80
	v_mov_b32_e32 v98, v28
	buffer_store_dword v98, off, s[0:3], s32 offset:1488 ; 4-byte Folded Spill
	buffer_store_dword v99, off, s[0:3], s32 offset:1492 ; 4-byte Folded Spill
	v_cmp_ne_u16_sdwa s5, v0, v1 src0_sel:BYTE_1 src1_sel:DWORD
	s_and_saveexec_b32 s7, s5
	s_cbranch_execz .LBB259_1306
; %bb.1301:                             ;   in Loop: Header=BB259_11 Depth=1
	v_mov_b32_e32 v1, 0xffff
	v_mov_b32_e32 v116, v28
	s_mov_b32 s19, exec_lo
	buffer_store_dword v116, off, s[0:3], s32 offset:1488 ; 4-byte Folded Spill
	buffer_store_dword v117, off, s[0:3], s32 offset:1492 ; 4-byte Folded Spill
	v_and_b32_sdwa v1, v1, v0 dst_sel:DWORD dst_unused:UNUSED_PAD src0_sel:DWORD src1_sel:BYTE_1
	v_and_b32_e32 v2, 0x7f, v1
	v_cmpx_ne_u32_e32 0x7f, v2
	s_cbranch_execz .LBB259_1305
; %bb.1302:                             ;   in Loop: Header=BB259_11 Depth=1
	v_and_b32_e32 v27, 7, v1
	v_lshrrev_b32_e32 v1, 3, v2
	s_mov_b32 s22, exec_lo
	v_cmpx_gt_u32_e32 8, v2
; %bb.1303:                             ;   in Loop: Header=BB259_11 Depth=1
	v_ffbh_u32_e32 v1, v27
	v_min_u32_e32 v1, 32, v1
	v_subrev_nc_u32_e32 v2, 28, v1
	v_sub_nc_u32_e32 v1, 29, v1
	v_lshlrev_b64 v[2:3], v2, v[27:28]
	v_and_b32_e32 v27, 7, v2
; %bb.1304:                             ;   in Loop: Header=BB259_11 Depth=1
	s_or_b32 exec_lo, exec_lo, s22
	v_lshlrev_b32_e32 v2, 16, v0
	v_lshlrev_b32_e32 v3, 20, v27
	v_lshl_add_u32 v1, v1, 23, 0x3c000000
	v_and_b32_e32 v2, 0x80000000, v2
	v_or3_b32 v2, v3, v2, v1
	v_mov_b32_e32 v1, v28
	buffer_store_dword v1, off, s[0:3], s32 offset:1488 ; 4-byte Folded Spill
	buffer_store_dword v2, off, s[0:3], s32 offset:1492 ; 4-byte Folded Spill
.LBB259_1305:                           ;   in Loop: Header=BB259_11 Depth=1
	s_or_b32 exec_lo, exec_lo, s19
.LBB259_1306:                           ;   in Loop: Header=BB259_11 Depth=1
	s_or_b32 exec_lo, exec_lo, s7
.LBB259_1307:                           ;   in Loop: Header=BB259_11 Depth=1
	s_or_b32 exec_lo, exec_lo, s6
	v_mov_b32_e32 v2, 0
	v_mov_b32_e32 v3, 0
	v_and_b32_sdwa v1, v0, v6 dst_sel:DWORD dst_unused:UNUSED_PAD src0_sel:WORD_1 src1_sel:DWORD
	s_mov_b32 s6, exec_lo
	buffer_store_dword v2, off, s[0:3], s32 offset:1496 ; 4-byte Folded Spill
	buffer_store_dword v3, off, s[0:3], s32 offset:1500 ; 4-byte Folded Spill
	v_mov_b32_e32 v2, 0
	v_mov_b32_e32 v3, 0
	buffer_store_dword v2, off, s[0:3], s32 offset:1504 ; 4-byte Folded Spill
	buffer_store_dword v3, off, s[0:3], s32 offset:1508 ; 4-byte Folded Spill
	v_cmpx_ne_u16_e32 0, v1
	s_cbranch_execz .LBB259_1315
; %bb.1308:                             ;   in Loop: Header=BB259_11 Depth=1
	v_cmp_ne_u16_e64 s5, 0x80, v1
	v_bfrev_b32_e32 v1, 1
	v_mov_b32_e32 v2, 0
	buffer_store_dword v1, off, s[0:3], s32 offset:1504 ; 4-byte Folded Spill
	buffer_store_dword v2, off, s[0:3], s32 offset:1508 ; 4-byte Folded Spill
	s_and_saveexec_b32 s7, s5
	s_cbranch_execz .LBB259_1314
; %bb.1309:                             ;   in Loop: Header=BB259_11 Depth=1
	v_mov_b32_e32 v3, 0x7f800001
	v_bfe_u32 v2, v0, 16, 7
	v_mov_b32_e32 v4, 0
	s_mov_b32 s19, exec_lo
	buffer_store_dword v3, off, s[0:3], s32 offset:1504 ; 4-byte Folded Spill
	buffer_store_dword v4, off, s[0:3], s32 offset:1508 ; 4-byte Folded Spill
	v_cmpx_ne_u32_e32 0x7f, v2
	s_cbranch_execz .LBB259_1313
; %bb.1310:                             ;   in Loop: Header=BB259_11 Depth=1
	v_mov_b32_e32 v1, 7
	s_mov_b32 s22, exec_lo
	v_and_b32_sdwa v27, v0, v1 dst_sel:DWORD dst_unused:UNUSED_PAD src0_sel:WORD_1 src1_sel:DWORD
	v_lshrrev_b32_e32 v1, 3, v2
	v_cmpx_gt_u32_e32 8, v2
; %bb.1311:                             ;   in Loop: Header=BB259_11 Depth=1
	v_ffbh_u32_e32 v1, v27
	v_min_u32_e32 v1, 32, v1
	v_subrev_nc_u32_e32 v2, 28, v1
	v_sub_nc_u32_e32 v1, 29, v1
	v_lshlrev_b64 v[2:3], v2, v[27:28]
	v_and_b32_e32 v27, 7, v2
; %bb.1312:                             ;   in Loop: Header=BB259_11 Depth=1
	s_or_b32 exec_lo, exec_lo, s22
	v_mov_b32_e32 v2, 24
	v_lshlrev_b32_e32 v3, 20, v27
	v_lshl_add_u32 v1, v1, 23, 0x3c000000
	v_lshlrev_b32_sdwa v2, v2, v0 dst_sel:DWORD dst_unused:UNUSED_PAD src0_sel:DWORD src1_sel:WORD_1
	v_and_b32_e32 v2, 0x80000000, v2
	v_or3_b32 v27, v3, v2, v1
	buffer_store_dword v27, off, s[0:3], s32 offset:1504 ; 4-byte Folded Spill
	buffer_store_dword v28, off, s[0:3], s32 offset:1508 ; 4-byte Folded Spill
.LBB259_1313:                           ;   in Loop: Header=BB259_11 Depth=1
	s_or_b32 exec_lo, exec_lo, s19
.LBB259_1314:                           ;   in Loop: Header=BB259_11 Depth=1
	s_or_b32 exec_lo, exec_lo, s7
.LBB259_1315:                           ;   in Loop: Header=BB259_11 Depth=1
	s_or_b32 exec_lo, exec_lo, s6
	s_mov_b32 s6, exec_lo
	v_cmpx_lt_u32_e32 0xffffff, v0
	s_cbranch_execz .LBB259_1323
; %bb.1316:                             ;   in Loop: Header=BB259_11 Depth=1
	v_mov_b32_e32 v1, 0x80
	v_mov_b32_e32 v98, v28
	buffer_store_dword v98, off, s[0:3], s32 offset:1496 ; 4-byte Folded Spill
	buffer_store_dword v99, off, s[0:3], s32 offset:1500 ; 4-byte Folded Spill
	v_cmp_ne_u32_sdwa s5, v0, v1 src0_sel:BYTE_3 src1_sel:DWORD
	s_and_saveexec_b32 s7, s5
	s_cbranch_execz .LBB259_1322
; %bb.1317:                             ;   in Loop: Header=BB259_11 Depth=1
	v_bfe_u32 v2, v0, 24, 7
	v_mov_b32_e32 v116, v28
	s_mov_b32 s19, exec_lo
	buffer_store_dword v116, off, s[0:3], s32 offset:1496 ; 4-byte Folded Spill
	buffer_store_dword v117, off, s[0:3], s32 offset:1500 ; 4-byte Folded Spill
	v_cmpx_ne_u32_e32 0x7f, v2
	s_cbranch_execz .LBB259_1321
; %bb.1318:                             ;   in Loop: Header=BB259_11 Depth=1
	v_mov_b32_e32 v1, 7
	s_mov_b32 s22, exec_lo
	v_and_b32_sdwa v27, v0, v1 dst_sel:DWORD dst_unused:UNUSED_PAD src0_sel:BYTE_3 src1_sel:DWORD
	v_lshrrev_b32_e32 v1, 3, v2
	v_cmpx_gt_u32_e32 8, v2
; %bb.1319:                             ;   in Loop: Header=BB259_11 Depth=1
	v_ffbh_u32_e32 v1, v27
	v_min_u32_e32 v1, 32, v1
	v_subrev_nc_u32_e32 v2, 28, v1
	v_sub_nc_u32_e32 v1, 29, v1
	v_lshlrev_b64 v[2:3], v2, v[27:28]
	v_and_b32_e32 v27, 7, v2
; %bb.1320:                             ;   in Loop: Header=BB259_11 Depth=1
	s_or_b32 exec_lo, exec_lo, s22
	v_mov_b32_e32 v2, 24
	v_lshl_add_u32 v1, v1, 23, 0x3c000000
	v_lshlrev_b32_sdwa v0, v2, v0 dst_sel:DWORD dst_unused:UNUSED_PAD src0_sel:DWORD src1_sel:BYTE_3
	v_lshlrev_b32_e32 v2, 20, v27
	v_and_b32_e32 v0, 0x80000000, v0
	v_or3_b32 v1, v2, v0, v1
	v_mov_b32_e32 v0, v28
	buffer_store_dword v0, off, s[0:3], s32 offset:1496 ; 4-byte Folded Spill
	buffer_store_dword v1, off, s[0:3], s32 offset:1500 ; 4-byte Folded Spill
.LBB259_1321:                           ;   in Loop: Header=BB259_11 Depth=1
	s_or_b32 exec_lo, exec_lo, s19
.LBB259_1322:                           ;   in Loop: Header=BB259_11 Depth=1
	s_or_b32 exec_lo, exec_lo, s7
.LBB259_1323:                           ;   in Loop: Header=BB259_11 Depth=1
	s_or_b32 exec_lo, exec_lo, s6
	flat_load_dword v2, v[66:67] offset:1028
	v_mov_b32_e32 v0, 0
	v_mov_b32_e32 v1, 0
	buffer_store_dword v0, off, s[0:3], s32 offset:1520 ; 4-byte Folded Spill
	buffer_store_dword v1, off, s[0:3], s32 offset:1524 ; 4-byte Folded Spill
	v_mov_b32_e32 v0, 0
	v_mov_b32_e32 v1, 0
	buffer_store_dword v0, off, s[0:3], s32 offset:1512 ; 4-byte Folded Spill
	buffer_store_dword v1, off, s[0:3], s32 offset:1516 ; 4-byte Folded Spill
	s_waitcnt vmcnt(0) lgkmcnt(0)
	v_cmp_ne_u16_sdwa s5, v2, v28 src0_sel:BYTE_0 src1_sel:DWORD
	s_and_saveexec_b32 s6, s5
	s_cbranch_execz .LBB259_1331
; %bb.1324:                             ;   in Loop: Header=BB259_11 Depth=1
	v_bfrev_b32_e32 v0, 1
	v_mov_b32_e32 v1, 0
	buffer_store_dword v0, off, s[0:3], s32 offset:1512 ; 4-byte Folded Spill
	buffer_store_dword v1, off, s[0:3], s32 offset:1516 ; 4-byte Folded Spill
	v_mov_b32_e32 v0, 0x80
	v_cmp_ne_u16_sdwa s5, v2, v0 src0_sel:BYTE_0 src1_sel:DWORD
	s_and_saveexec_b32 s7, s5
	s_cbranch_execz .LBB259_1330
; %bb.1325:                             ;   in Loop: Header=BB259_11 Depth=1
	v_mov_b32_e32 v3, 0x7f800001
	v_and_b32_e32 v1, 0x7f, v2
	v_mov_b32_e32 v4, 0
	s_mov_b32 s19, exec_lo
	buffer_store_dword v3, off, s[0:3], s32 offset:1512 ; 4-byte Folded Spill
	buffer_store_dword v4, off, s[0:3], s32 offset:1516 ; 4-byte Folded Spill
	v_cmpx_ne_u32_e32 0x7f, v1
	s_cbranch_execz .LBB259_1329
; %bb.1326:                             ;   in Loop: Header=BB259_11 Depth=1
	v_and_b32_e32 v27, 7, v2
	v_lshrrev_b32_e32 v0, 3, v1
	s_mov_b32 s22, exec_lo
	v_cmpx_gt_u32_e32 8, v1
; %bb.1327:                             ;   in Loop: Header=BB259_11 Depth=1
	v_ffbh_u32_e32 v0, v27
	v_min_u32_e32 v0, 32, v0
	v_subrev_nc_u32_e32 v1, 28, v0
	v_sub_nc_u32_e32 v0, 29, v0
	v_lshlrev_b64 v[3:4], v1, v[27:28]
	v_and_b32_e32 v27, 7, v3
; %bb.1328:                             ;   in Loop: Header=BB259_11 Depth=1
	s_or_b32 exec_lo, exec_lo, s22
	v_lshlrev_b32_e32 v1, 24, v2
	v_lshlrev_b32_e32 v3, 20, v27
	v_lshl_add_u32 v0, v0, 23, 0x3c000000
	v_and_b32_e32 v1, 0x80000000, v1
	v_or3_b32 v27, v3, v1, v0
	buffer_store_dword v27, off, s[0:3], s32 offset:1512 ; 4-byte Folded Spill
	buffer_store_dword v28, off, s[0:3], s32 offset:1516 ; 4-byte Folded Spill
.LBB259_1329:                           ;   in Loop: Header=BB259_11 Depth=1
	s_or_b32 exec_lo, exec_lo, s19
.LBB259_1330:                           ;   in Loop: Header=BB259_11 Depth=1
	s_or_b32 exec_lo, exec_lo, s7
.LBB259_1331:                           ;   in Loop: Header=BB259_11 Depth=1
	s_or_b32 exec_lo, exec_lo, s6
	v_cmp_ne_u16_sdwa s5, v2, v28 src0_sel:BYTE_1 src1_sel:DWORD
	s_and_saveexec_b32 s6, s5
	s_cbranch_execz .LBB259_1339
; %bb.1332:                             ;   in Loop: Header=BB259_11 Depth=1
	v_mov_b32_e32 v0, 0x80
	v_mov_b32_e32 v98, v28
	buffer_store_dword v98, off, s[0:3], s32 offset:1520 ; 4-byte Folded Spill
	buffer_store_dword v99, off, s[0:3], s32 offset:1524 ; 4-byte Folded Spill
	v_cmp_ne_u16_sdwa s5, v2, v0 src0_sel:BYTE_1 src1_sel:DWORD
	s_and_saveexec_b32 s7, s5
	s_cbranch_execz .LBB259_1338
; %bb.1333:                             ;   in Loop: Header=BB259_11 Depth=1
	v_mov_b32_e32 v0, 0xffff
	v_mov_b32_e32 v116, v28
	s_mov_b32 s19, exec_lo
	buffer_store_dword v116, off, s[0:3], s32 offset:1520 ; 4-byte Folded Spill
	buffer_store_dword v117, off, s[0:3], s32 offset:1524 ; 4-byte Folded Spill
	v_and_b32_sdwa v0, v0, v2 dst_sel:DWORD dst_unused:UNUSED_PAD src0_sel:DWORD src1_sel:BYTE_1
	v_and_b32_e32 v1, 0x7f, v0
	v_cmpx_ne_u32_e32 0x7f, v1
	s_cbranch_execz .LBB259_1337
; %bb.1334:                             ;   in Loop: Header=BB259_11 Depth=1
	v_and_b32_e32 v27, 7, v0
	v_lshrrev_b32_e32 v0, 3, v1
	s_mov_b32 s22, exec_lo
	v_cmpx_gt_u32_e32 8, v1
; %bb.1335:                             ;   in Loop: Header=BB259_11 Depth=1
	v_ffbh_u32_e32 v0, v27
	v_min_u32_e32 v0, 32, v0
	v_subrev_nc_u32_e32 v1, 28, v0
	v_sub_nc_u32_e32 v0, 29, v0
	v_lshlrev_b64 v[3:4], v1, v[27:28]
	v_and_b32_e32 v27, 7, v3
; %bb.1336:                             ;   in Loop: Header=BB259_11 Depth=1
	s_or_b32 exec_lo, exec_lo, s22
	v_lshlrev_b32_e32 v1, 16, v2
	v_lshlrev_b32_e32 v3, 20, v27
	v_lshl_add_u32 v0, v0, 23, 0x3c000000
	v_and_b32_e32 v1, 0x80000000, v1
	v_or3_b32 v1, v3, v1, v0
	v_mov_b32_e32 v0, v28
	buffer_store_dword v0, off, s[0:3], s32 offset:1520 ; 4-byte Folded Spill
	buffer_store_dword v1, off, s[0:3], s32 offset:1524 ; 4-byte Folded Spill
.LBB259_1337:                           ;   in Loop: Header=BB259_11 Depth=1
	s_or_b32 exec_lo, exec_lo, s19
.LBB259_1338:                           ;   in Loop: Header=BB259_11 Depth=1
	s_or_b32 exec_lo, exec_lo, s7
.LBB259_1339:                           ;   in Loop: Header=BB259_11 Depth=1
	s_or_b32 exec_lo, exec_lo, s6
	v_mov_b32_e32 v3, 0
	v_mov_b32_e32 v4, 0
	v_and_b32_sdwa v0, v2, v6 dst_sel:DWORD dst_unused:UNUSED_PAD src0_sel:WORD_1 src1_sel:DWORD
	s_mov_b32 s6, exec_lo
	buffer_store_dword v3, off, s[0:3], s32 offset:1528 ; 4-byte Folded Spill
	buffer_store_dword v4, off, s[0:3], s32 offset:1532 ; 4-byte Folded Spill
	v_mov_b32_e32 v3, 0
	v_mov_b32_e32 v4, 0
	buffer_store_dword v3, off, s[0:3], s32 offset:1536 ; 4-byte Folded Spill
	buffer_store_dword v4, off, s[0:3], s32 offset:1540 ; 4-byte Folded Spill
	v_cmpx_ne_u16_e32 0, v0
	s_cbranch_execz .LBB259_1347
; %bb.1340:                             ;   in Loop: Header=BB259_11 Depth=1
	v_cmp_ne_u16_e64 s5, 0x80, v0
	v_bfrev_b32_e32 v0, 1
	v_mov_b32_e32 v1, 0
	buffer_store_dword v0, off, s[0:3], s32 offset:1536 ; 4-byte Folded Spill
	buffer_store_dword v1, off, s[0:3], s32 offset:1540 ; 4-byte Folded Spill
	s_and_saveexec_b32 s7, s5
	s_cbranch_execz .LBB259_1346
; %bb.1341:                             ;   in Loop: Header=BB259_11 Depth=1
	v_mov_b32_e32 v3, 0x7f800001
	v_bfe_u32 v1, v2, 16, 7
	v_mov_b32_e32 v4, 0
	s_mov_b32 s19, exec_lo
	buffer_store_dword v3, off, s[0:3], s32 offset:1536 ; 4-byte Folded Spill
	buffer_store_dword v4, off, s[0:3], s32 offset:1540 ; 4-byte Folded Spill
	v_cmpx_ne_u32_e32 0x7f, v1
	s_cbranch_execz .LBB259_1345
; %bb.1342:                             ;   in Loop: Header=BB259_11 Depth=1
	v_mov_b32_e32 v0, 7
	s_mov_b32 s22, exec_lo
	v_and_b32_sdwa v27, v2, v0 dst_sel:DWORD dst_unused:UNUSED_PAD src0_sel:WORD_1 src1_sel:DWORD
	v_lshrrev_b32_e32 v0, 3, v1
	v_cmpx_gt_u32_e32 8, v1
; %bb.1343:                             ;   in Loop: Header=BB259_11 Depth=1
	v_ffbh_u32_e32 v0, v27
	v_min_u32_e32 v0, 32, v0
	v_subrev_nc_u32_e32 v1, 28, v0
	v_sub_nc_u32_e32 v0, 29, v0
	v_lshlrev_b64 v[3:4], v1, v[27:28]
	v_and_b32_e32 v27, 7, v3
; %bb.1344:                             ;   in Loop: Header=BB259_11 Depth=1
	s_or_b32 exec_lo, exec_lo, s22
	v_mov_b32_e32 v1, 24
	v_lshlrev_b32_e32 v3, 20, v27
	v_lshl_add_u32 v0, v0, 23, 0x3c000000
	v_lshlrev_b32_sdwa v1, v1, v2 dst_sel:DWORD dst_unused:UNUSED_PAD src0_sel:DWORD src1_sel:WORD_1
	v_and_b32_e32 v1, 0x80000000, v1
	v_or3_b32 v27, v3, v1, v0
	buffer_store_dword v27, off, s[0:3], s32 offset:1536 ; 4-byte Folded Spill
	buffer_store_dword v28, off, s[0:3], s32 offset:1540 ; 4-byte Folded Spill
.LBB259_1345:                           ;   in Loop: Header=BB259_11 Depth=1
	s_or_b32 exec_lo, exec_lo, s19
.LBB259_1346:                           ;   in Loop: Header=BB259_11 Depth=1
	s_or_b32 exec_lo, exec_lo, s7
.LBB259_1347:                           ;   in Loop: Header=BB259_11 Depth=1
	s_or_b32 exec_lo, exec_lo, s6
	s_mov_b32 s6, exec_lo
	v_cmpx_lt_u32_e32 0xffffff, v2
	s_cbranch_execz .LBB259_1355
; %bb.1348:                             ;   in Loop: Header=BB259_11 Depth=1
	v_mov_b32_e32 v0, 0x80
	v_mov_b32_e32 v98, v28
	buffer_store_dword v98, off, s[0:3], s32 offset:1528 ; 4-byte Folded Spill
	buffer_store_dword v99, off, s[0:3], s32 offset:1532 ; 4-byte Folded Spill
	v_cmp_ne_u32_sdwa s5, v2, v0 src0_sel:BYTE_3 src1_sel:DWORD
	s_and_saveexec_b32 s7, s5
	s_cbranch_execz .LBB259_1354
; %bb.1349:                             ;   in Loop: Header=BB259_11 Depth=1
	v_bfe_u32 v0, v2, 24, 7
	v_mov_b32_e32 v116, v28
	s_mov_b32 s19, exec_lo
	buffer_store_dword v116, off, s[0:3], s32 offset:1528 ; 4-byte Folded Spill
	buffer_store_dword v117, off, s[0:3], s32 offset:1532 ; 4-byte Folded Spill
	v_cmpx_ne_u32_e32 0x7f, v0
	s_cbranch_execz .LBB259_1353
; %bb.1350:                             ;   in Loop: Header=BB259_11 Depth=1
	v_mov_b32_e32 v1, 7
	v_lshrrev_b32_e32 v3, 3, v0
	v_cmp_gt_u32_e64 s5, 8, v0
	v_and_b32_sdwa v27, v2, v1 dst_sel:DWORD dst_unused:UNUSED_PAD src0_sel:BYTE_3 src1_sel:DWORD
	v_mov_b32_e32 v0, v27
	v_mov_b32_e32 v1, v28
	s_and_saveexec_b32 s22, s5
; %bb.1351:                             ;   in Loop: Header=BB259_11 Depth=1
	v_ffbh_u32_e32 v0, v27
	v_min_u32_e32 v3, 32, v0
	v_subrev_nc_u32_e32 v0, 28, v3
	v_sub_nc_u32_e32 v3, 29, v3
	v_lshlrev_b64 v[0:1], v0, v[27:28]
	v_and_b32_e32 v0, 7, v0
; %bb.1352:                             ;   in Loop: Header=BB259_11 Depth=1
	s_or_b32 exec_lo, exec_lo, s22
	v_mov_b32_e32 v1, 24
	v_lshlrev_b32_e32 v0, 20, v0
	v_lshlrev_b32_sdwa v1, v1, v2 dst_sel:DWORD dst_unused:UNUSED_PAD src0_sel:DWORD src1_sel:BYTE_3
	v_lshl_add_u32 v2, v3, 23, 0x3c000000
	v_and_b32_e32 v1, 0x80000000, v1
	v_or3_b32 v1, v0, v1, v2
	v_mov_b32_e32 v0, v28
	buffer_store_dword v0, off, s[0:3], s32 offset:1528 ; 4-byte Folded Spill
	buffer_store_dword v1, off, s[0:3], s32 offset:1532 ; 4-byte Folded Spill
.LBB259_1353:                           ;   in Loop: Header=BB259_11 Depth=1
	s_or_b32 exec_lo, exec_lo, s19
.LBB259_1354:                           ;   in Loop: Header=BB259_11 Depth=1
	s_or_b32 exec_lo, exec_lo, s7
.LBB259_1355:                           ;   in Loop: Header=BB259_11 Depth=1
	s_or_b32 exec_lo, exec_lo, s6
	flat_load_dword v2, v[66:67] offset:1032
	v_mov_b32_e32 v0, 0
	v_mov_b32_e32 v1, 0
	buffer_store_dword v0, off, s[0:3], s32 offset:1552 ; 4-byte Folded Spill
	buffer_store_dword v1, off, s[0:3], s32 offset:1556 ; 4-byte Folded Spill
	v_mov_b32_e32 v0, 0
	v_mov_b32_e32 v1, 0
	buffer_store_dword v0, off, s[0:3], s32 offset:1544 ; 4-byte Folded Spill
	buffer_store_dword v1, off, s[0:3], s32 offset:1548 ; 4-byte Folded Spill
	s_waitcnt vmcnt(0) lgkmcnt(0)
	v_cmp_ne_u16_sdwa s5, v2, v28 src0_sel:BYTE_0 src1_sel:DWORD
	s_and_saveexec_b32 s6, s5
	s_cbranch_execz .LBB259_1363
; %bb.1356:                             ;   in Loop: Header=BB259_11 Depth=1
	v_bfrev_b32_e32 v0, 1
	v_mov_b32_e32 v1, 0
	buffer_store_dword v0, off, s[0:3], s32 offset:1544 ; 4-byte Folded Spill
	buffer_store_dword v1, off, s[0:3], s32 offset:1548 ; 4-byte Folded Spill
	v_mov_b32_e32 v0, 0x80
	v_cmp_ne_u16_sdwa s5, v2, v0 src0_sel:BYTE_0 src1_sel:DWORD
	s_and_saveexec_b32 s7, s5
	s_cbranch_execz .LBB259_1362
; %bb.1357:                             ;   in Loop: Header=BB259_11 Depth=1
	v_mov_b32_e32 v3, 0x7f800001
	v_and_b32_e32 v0, 0x7f, v2
	v_mov_b32_e32 v4, 0
	s_mov_b32 s19, exec_lo
	buffer_store_dword v3, off, s[0:3], s32 offset:1544 ; 4-byte Folded Spill
	buffer_store_dword v4, off, s[0:3], s32 offset:1548 ; 4-byte Folded Spill
	v_cmpx_ne_u32_e32 0x7f, v0
	s_cbranch_execz .LBB259_1361
; %bb.1358:                             ;   in Loop: Header=BB259_11 Depth=1
	v_and_b32_e32 v27, 7, v2
	v_lshrrev_b32_e32 v3, 3, v0
	v_cmp_gt_u32_e64 s5, 8, v0
	v_mov_b32_e32 v0, v27
	v_mov_b32_e32 v1, v28
	s_and_saveexec_b32 s22, s5
; %bb.1359:                             ;   in Loop: Header=BB259_11 Depth=1
	v_ffbh_u32_e32 v0, v27
	v_min_u32_e32 v3, 32, v0
	v_subrev_nc_u32_e32 v0, 28, v3
	v_sub_nc_u32_e32 v3, 29, v3
	v_lshlrev_b64 v[0:1], v0, v[27:28]
	v_and_b32_e32 v0, 7, v0
; %bb.1360:                             ;   in Loop: Header=BB259_11 Depth=1
	s_or_b32 exec_lo, exec_lo, s22
	v_lshlrev_b32_e32 v1, 24, v2
	v_lshlrev_b32_e32 v0, 20, v0
	v_lshl_add_u32 v3, v3, 23, 0x3c000000
	v_and_b32_e32 v1, 0x80000000, v1
	v_or3_b32 v27, v0, v1, v3
	buffer_store_dword v27, off, s[0:3], s32 offset:1544 ; 4-byte Folded Spill
	buffer_store_dword v28, off, s[0:3], s32 offset:1548 ; 4-byte Folded Spill
.LBB259_1361:                           ;   in Loop: Header=BB259_11 Depth=1
	s_or_b32 exec_lo, exec_lo, s19
.LBB259_1362:                           ;   in Loop: Header=BB259_11 Depth=1
	s_or_b32 exec_lo, exec_lo, s7
.LBB259_1363:                           ;   in Loop: Header=BB259_11 Depth=1
	s_or_b32 exec_lo, exec_lo, s6
	v_cmp_ne_u16_sdwa s5, v2, v28 src0_sel:BYTE_1 src1_sel:DWORD
	s_and_saveexec_b32 s6, s5
	s_cbranch_execz .LBB259_1371
; %bb.1364:                             ;   in Loop: Header=BB259_11 Depth=1
	v_mov_b32_e32 v0, 0x80
	v_mov_b32_e32 v98, v28
	buffer_store_dword v98, off, s[0:3], s32 offset:1552 ; 4-byte Folded Spill
	buffer_store_dword v99, off, s[0:3], s32 offset:1556 ; 4-byte Folded Spill
	v_cmp_ne_u16_sdwa s5, v2, v0 src0_sel:BYTE_1 src1_sel:DWORD
	s_and_saveexec_b32 s7, s5
	s_cbranch_execz .LBB259_1370
; %bb.1365:                             ;   in Loop: Header=BB259_11 Depth=1
	v_mov_b32_e32 v0, 0xffff
	v_mov_b32_e32 v116, v28
	s_mov_b32 s19, exec_lo
	buffer_store_dword v116, off, s[0:3], s32 offset:1552 ; 4-byte Folded Spill
	buffer_store_dword v117, off, s[0:3], s32 offset:1556 ; 4-byte Folded Spill
	v_and_b32_sdwa v1, v0, v2 dst_sel:DWORD dst_unused:UNUSED_PAD src0_sel:DWORD src1_sel:BYTE_1
	v_and_b32_e32 v0, 0x7f, v1
	v_cmpx_ne_u32_e32 0x7f, v0
	s_cbranch_execz .LBB259_1369
; %bb.1366:                             ;   in Loop: Header=BB259_11 Depth=1
	v_and_b32_e32 v27, 7, v1
	v_lshrrev_b32_e32 v3, 3, v0
	v_cmp_gt_u32_e64 s5, 8, v0
	v_mov_b32_e32 v0, v27
	v_mov_b32_e32 v1, v28
	s_and_saveexec_b32 s22, s5
; %bb.1367:                             ;   in Loop: Header=BB259_11 Depth=1
	v_ffbh_u32_e32 v0, v27
	v_min_u32_e32 v3, 32, v0
	v_subrev_nc_u32_e32 v0, 28, v3
	v_sub_nc_u32_e32 v3, 29, v3
	v_lshlrev_b64 v[0:1], v0, v[27:28]
	v_and_b32_e32 v0, 7, v0
; %bb.1368:                             ;   in Loop: Header=BB259_11 Depth=1
	s_or_b32 exec_lo, exec_lo, s22
	v_lshlrev_b32_e32 v1, 16, v2
	v_lshlrev_b32_e32 v0, 20, v0
	v_lshl_add_u32 v3, v3, 23, 0x3c000000
	v_and_b32_e32 v1, 0x80000000, v1
	v_or3_b32 v1, v0, v1, v3
	v_mov_b32_e32 v0, v28
	buffer_store_dword v0, off, s[0:3], s32 offset:1552 ; 4-byte Folded Spill
	buffer_store_dword v1, off, s[0:3], s32 offset:1556 ; 4-byte Folded Spill
.LBB259_1369:                           ;   in Loop: Header=BB259_11 Depth=1
	s_or_b32 exec_lo, exec_lo, s19
.LBB259_1370:                           ;   in Loop: Header=BB259_11 Depth=1
	s_or_b32 exec_lo, exec_lo, s7
.LBB259_1371:                           ;   in Loop: Header=BB259_11 Depth=1
	s_or_b32 exec_lo, exec_lo, s6
	v_mov_b32_e32 v3, 0
	v_mov_b32_e32 v4, 0
	v_and_b32_sdwa v0, v2, v6 dst_sel:DWORD dst_unused:UNUSED_PAD src0_sel:WORD_1 src1_sel:DWORD
	s_mov_b32 s6, exec_lo
	buffer_store_dword v3, off, s[0:3], s32 offset:1560 ; 4-byte Folded Spill
	buffer_store_dword v4, off, s[0:3], s32 offset:1564 ; 4-byte Folded Spill
	v_mov_b32_e32 v3, 0
	v_mov_b32_e32 v4, 0
	buffer_store_dword v3, off, s[0:3], s32 offset:1568 ; 4-byte Folded Spill
	buffer_store_dword v4, off, s[0:3], s32 offset:1572 ; 4-byte Folded Spill
	v_cmpx_ne_u16_e32 0, v0
	s_cbranch_execz .LBB259_1379
; %bb.1372:                             ;   in Loop: Header=BB259_11 Depth=1
	v_cmp_ne_u16_e64 s5, 0x80, v0
	v_bfrev_b32_e32 v0, 1
	v_mov_b32_e32 v1, 0
	buffer_store_dword v0, off, s[0:3], s32 offset:1568 ; 4-byte Folded Spill
	buffer_store_dword v1, off, s[0:3], s32 offset:1572 ; 4-byte Folded Spill
	s_and_saveexec_b32 s7, s5
	s_cbranch_execz .LBB259_1378
; %bb.1373:                             ;   in Loop: Header=BB259_11 Depth=1
	v_mov_b32_e32 v3, 0x7f800001
	v_bfe_u32 v0, v2, 16, 7
	v_mov_b32_e32 v4, 0
	s_mov_b32 s19, exec_lo
	buffer_store_dword v3, off, s[0:3], s32 offset:1568 ; 4-byte Folded Spill
	buffer_store_dword v4, off, s[0:3], s32 offset:1572 ; 4-byte Folded Spill
	v_cmpx_ne_u32_e32 0x7f, v0
	s_cbranch_execz .LBB259_1377
; %bb.1374:                             ;   in Loop: Header=BB259_11 Depth=1
	v_mov_b32_e32 v1, 7
	v_lshrrev_b32_e32 v3, 3, v0
	v_cmp_gt_u32_e64 s5, 8, v0
	v_and_b32_sdwa v27, v2, v1 dst_sel:DWORD dst_unused:UNUSED_PAD src0_sel:WORD_1 src1_sel:DWORD
	v_mov_b32_e32 v0, v27
	v_mov_b32_e32 v1, v28
	s_and_saveexec_b32 s22, s5
; %bb.1375:                             ;   in Loop: Header=BB259_11 Depth=1
	v_ffbh_u32_e32 v0, v27
	v_min_u32_e32 v3, 32, v0
	v_subrev_nc_u32_e32 v0, 28, v3
	v_sub_nc_u32_e32 v3, 29, v3
	v_lshlrev_b64 v[0:1], v0, v[27:28]
	v_and_b32_e32 v0, 7, v0
; %bb.1376:                             ;   in Loop: Header=BB259_11 Depth=1
	s_or_b32 exec_lo, exec_lo, s22
	v_mov_b32_e32 v1, 24
	v_lshlrev_b32_e32 v0, 20, v0
	v_lshl_add_u32 v3, v3, 23, 0x3c000000
	v_lshlrev_b32_sdwa v1, v1, v2 dst_sel:DWORD dst_unused:UNUSED_PAD src0_sel:DWORD src1_sel:WORD_1
	v_and_b32_e32 v1, 0x80000000, v1
	v_or3_b32 v27, v0, v1, v3
	buffer_store_dword v27, off, s[0:3], s32 offset:1568 ; 4-byte Folded Spill
	buffer_store_dword v28, off, s[0:3], s32 offset:1572 ; 4-byte Folded Spill
.LBB259_1377:                           ;   in Loop: Header=BB259_11 Depth=1
	s_or_b32 exec_lo, exec_lo, s19
.LBB259_1378:                           ;   in Loop: Header=BB259_11 Depth=1
	s_or_b32 exec_lo, exec_lo, s7
.LBB259_1379:                           ;   in Loop: Header=BB259_11 Depth=1
	s_or_b32 exec_lo, exec_lo, s6
	s_mov_b32 s6, exec_lo
	v_cmpx_lt_u32_e32 0xffffff, v2
	s_cbranch_execz .LBB259_1387
; %bb.1380:                             ;   in Loop: Header=BB259_11 Depth=1
	v_mov_b32_e32 v0, 0x80
	v_mov_b32_e32 v98, v28
	buffer_store_dword v98, off, s[0:3], s32 offset:1560 ; 4-byte Folded Spill
	buffer_store_dword v99, off, s[0:3], s32 offset:1564 ; 4-byte Folded Spill
	v_cmp_ne_u32_sdwa s5, v2, v0 src0_sel:BYTE_3 src1_sel:DWORD
	s_and_saveexec_b32 s7, s5
	s_cbranch_execz .LBB259_1386
; %bb.1381:                             ;   in Loop: Header=BB259_11 Depth=1
	v_bfe_u32 v0, v2, 24, 7
	v_mov_b32_e32 v116, v28
	s_mov_b32 s19, exec_lo
	buffer_store_dword v116, off, s[0:3], s32 offset:1560 ; 4-byte Folded Spill
	buffer_store_dword v117, off, s[0:3], s32 offset:1564 ; 4-byte Folded Spill
	v_cmpx_ne_u32_e32 0x7f, v0
	s_cbranch_execz .LBB259_1385
; %bb.1382:                             ;   in Loop: Header=BB259_11 Depth=1
	v_mov_b32_e32 v1, 7
	v_lshrrev_b32_e32 v3, 3, v0
	v_cmp_gt_u32_e64 s5, 8, v0
	v_and_b32_sdwa v27, v2, v1 dst_sel:DWORD dst_unused:UNUSED_PAD src0_sel:BYTE_3 src1_sel:DWORD
	v_mov_b32_e32 v0, v27
	v_mov_b32_e32 v1, v28
	s_and_saveexec_b32 s22, s5
; %bb.1383:                             ;   in Loop: Header=BB259_11 Depth=1
	v_ffbh_u32_e32 v0, v27
	v_min_u32_e32 v3, 32, v0
	v_subrev_nc_u32_e32 v0, 28, v3
	v_sub_nc_u32_e32 v3, 29, v3
	v_lshlrev_b64 v[0:1], v0, v[27:28]
	v_and_b32_e32 v0, 7, v0
; %bb.1384:                             ;   in Loop: Header=BB259_11 Depth=1
	s_or_b32 exec_lo, exec_lo, s22
	v_mov_b32_e32 v1, 24
	v_lshlrev_b32_e32 v0, 20, v0
	v_lshlrev_b32_sdwa v1, v1, v2 dst_sel:DWORD dst_unused:UNUSED_PAD src0_sel:DWORD src1_sel:BYTE_3
	v_lshl_add_u32 v2, v3, 23, 0x3c000000
	v_and_b32_e32 v1, 0x80000000, v1
	v_or3_b32 v1, v0, v1, v2
	v_mov_b32_e32 v0, v28
	buffer_store_dword v0, off, s[0:3], s32 offset:1560 ; 4-byte Folded Spill
	buffer_store_dword v1, off, s[0:3], s32 offset:1564 ; 4-byte Folded Spill
.LBB259_1385:                           ;   in Loop: Header=BB259_11 Depth=1
	s_or_b32 exec_lo, exec_lo, s19
.LBB259_1386:                           ;   in Loop: Header=BB259_11 Depth=1
	s_or_b32 exec_lo, exec_lo, s7
.LBB259_1387:                           ;   in Loop: Header=BB259_11 Depth=1
	s_or_b32 exec_lo, exec_lo, s6
	flat_load_dword v2, v[66:67] offset:1036
	v_mov_b32_e32 v0, 0
	v_mov_b32_e32 v1, 0
	buffer_store_dword v0, off, s[0:3], s32 offset:1584 ; 4-byte Folded Spill
	buffer_store_dword v1, off, s[0:3], s32 offset:1588 ; 4-byte Folded Spill
	v_mov_b32_e32 v0, 0
	v_mov_b32_e32 v1, 0
	buffer_store_dword v0, off, s[0:3], s32 offset:1576 ; 4-byte Folded Spill
	buffer_store_dword v1, off, s[0:3], s32 offset:1580 ; 4-byte Folded Spill
	s_waitcnt vmcnt(0) lgkmcnt(0)
	v_cmp_ne_u16_sdwa s5, v2, v28 src0_sel:BYTE_0 src1_sel:DWORD
	s_and_saveexec_b32 s6, s5
	s_cbranch_execz .LBB259_1395
; %bb.1388:                             ;   in Loop: Header=BB259_11 Depth=1
	v_bfrev_b32_e32 v0, 1
	v_mov_b32_e32 v1, 0
	buffer_store_dword v0, off, s[0:3], s32 offset:1576 ; 4-byte Folded Spill
	buffer_store_dword v1, off, s[0:3], s32 offset:1580 ; 4-byte Folded Spill
	v_mov_b32_e32 v0, 0x80
	v_cmp_ne_u16_sdwa s5, v2, v0 src0_sel:BYTE_0 src1_sel:DWORD
	s_and_saveexec_b32 s7, s5
	s_cbranch_execz .LBB259_1394
; %bb.1389:                             ;   in Loop: Header=BB259_11 Depth=1
	v_mov_b32_e32 v3, 0x7f800001
	v_and_b32_e32 v0, 0x7f, v2
	v_mov_b32_e32 v4, 0
	s_mov_b32 s19, exec_lo
	buffer_store_dword v3, off, s[0:3], s32 offset:1576 ; 4-byte Folded Spill
	buffer_store_dword v4, off, s[0:3], s32 offset:1580 ; 4-byte Folded Spill
	v_cmpx_ne_u32_e32 0x7f, v0
	s_cbranch_execz .LBB259_1393
; %bb.1390:                             ;   in Loop: Header=BB259_11 Depth=1
	v_and_b32_e32 v27, 7, v2
	v_lshrrev_b32_e32 v3, 3, v0
	v_cmp_gt_u32_e64 s5, 8, v0
	v_mov_b32_e32 v0, v27
	v_mov_b32_e32 v1, v28
	s_and_saveexec_b32 s22, s5
; %bb.1391:                             ;   in Loop: Header=BB259_11 Depth=1
	v_ffbh_u32_e32 v0, v27
	v_min_u32_e32 v3, 32, v0
	v_subrev_nc_u32_e32 v0, 28, v3
	v_sub_nc_u32_e32 v3, 29, v3
	v_lshlrev_b64 v[0:1], v0, v[27:28]
	v_and_b32_e32 v0, 7, v0
; %bb.1392:                             ;   in Loop: Header=BB259_11 Depth=1
	s_or_b32 exec_lo, exec_lo, s22
	v_lshlrev_b32_e32 v1, 24, v2
	v_lshlrev_b32_e32 v0, 20, v0
	v_lshl_add_u32 v3, v3, 23, 0x3c000000
	v_and_b32_e32 v1, 0x80000000, v1
	v_or3_b32 v27, v0, v1, v3
	buffer_store_dword v27, off, s[0:3], s32 offset:1576 ; 4-byte Folded Spill
	buffer_store_dword v28, off, s[0:3], s32 offset:1580 ; 4-byte Folded Spill
.LBB259_1393:                           ;   in Loop: Header=BB259_11 Depth=1
	s_or_b32 exec_lo, exec_lo, s19
.LBB259_1394:                           ;   in Loop: Header=BB259_11 Depth=1
	s_or_b32 exec_lo, exec_lo, s7
.LBB259_1395:                           ;   in Loop: Header=BB259_11 Depth=1
	s_or_b32 exec_lo, exec_lo, s6
	v_cmp_ne_u16_sdwa s5, v2, v28 src0_sel:BYTE_1 src1_sel:DWORD
	s_and_saveexec_b32 s6, s5
	s_cbranch_execz .LBB259_1403
; %bb.1396:                             ;   in Loop: Header=BB259_11 Depth=1
	v_mov_b32_e32 v0, 0x80
	v_mov_b32_e32 v98, v28
	buffer_store_dword v98, off, s[0:3], s32 offset:1584 ; 4-byte Folded Spill
	buffer_store_dword v99, off, s[0:3], s32 offset:1588 ; 4-byte Folded Spill
	v_cmp_ne_u16_sdwa s5, v2, v0 src0_sel:BYTE_1 src1_sel:DWORD
	s_and_saveexec_b32 s7, s5
	s_cbranch_execz .LBB259_1402
; %bb.1397:                             ;   in Loop: Header=BB259_11 Depth=1
	v_mov_b32_e32 v0, 0xffff
	v_mov_b32_e32 v116, v28
	s_mov_b32 s19, exec_lo
	buffer_store_dword v116, off, s[0:3], s32 offset:1584 ; 4-byte Folded Spill
	buffer_store_dword v117, off, s[0:3], s32 offset:1588 ; 4-byte Folded Spill
	v_and_b32_sdwa v1, v0, v2 dst_sel:DWORD dst_unused:UNUSED_PAD src0_sel:DWORD src1_sel:BYTE_1
	v_and_b32_e32 v0, 0x7f, v1
	v_cmpx_ne_u32_e32 0x7f, v0
	s_cbranch_execz .LBB259_1401
; %bb.1398:                             ;   in Loop: Header=BB259_11 Depth=1
	v_and_b32_e32 v27, 7, v1
	v_lshrrev_b32_e32 v3, 3, v0
	v_cmp_gt_u32_e64 s5, 8, v0
	v_mov_b32_e32 v0, v27
	v_mov_b32_e32 v1, v28
	s_and_saveexec_b32 s22, s5
; %bb.1399:                             ;   in Loop: Header=BB259_11 Depth=1
	v_ffbh_u32_e32 v0, v27
	v_min_u32_e32 v3, 32, v0
	v_subrev_nc_u32_e32 v0, 28, v3
	v_sub_nc_u32_e32 v3, 29, v3
	v_lshlrev_b64 v[0:1], v0, v[27:28]
	v_and_b32_e32 v0, 7, v0
; %bb.1400:                             ;   in Loop: Header=BB259_11 Depth=1
	s_or_b32 exec_lo, exec_lo, s22
	v_lshlrev_b32_e32 v1, 16, v2
	v_lshlrev_b32_e32 v0, 20, v0
	v_lshl_add_u32 v3, v3, 23, 0x3c000000
	v_and_b32_e32 v1, 0x80000000, v1
	v_or3_b32 v1, v0, v1, v3
	v_mov_b32_e32 v0, v28
	buffer_store_dword v0, off, s[0:3], s32 offset:1584 ; 4-byte Folded Spill
	buffer_store_dword v1, off, s[0:3], s32 offset:1588 ; 4-byte Folded Spill
.LBB259_1401:                           ;   in Loop: Header=BB259_11 Depth=1
	s_or_b32 exec_lo, exec_lo, s19
.LBB259_1402:                           ;   in Loop: Header=BB259_11 Depth=1
	s_or_b32 exec_lo, exec_lo, s7
.LBB259_1403:                           ;   in Loop: Header=BB259_11 Depth=1
	s_or_b32 exec_lo, exec_lo, s6
	v_mov_b32_e32 v3, 0
	v_mov_b32_e32 v4, 0
	v_and_b32_sdwa v0, v2, v6 dst_sel:DWORD dst_unused:UNUSED_PAD src0_sel:WORD_1 src1_sel:DWORD
	s_mov_b32 s6, exec_lo
	buffer_store_dword v3, off, s[0:3], s32 offset:1592 ; 4-byte Folded Spill
	buffer_store_dword v4, off, s[0:3], s32 offset:1596 ; 4-byte Folded Spill
	v_mov_b32_e32 v3, 0
	v_mov_b32_e32 v4, 0
	buffer_store_dword v3, off, s[0:3], s32 offset:1600 ; 4-byte Folded Spill
	buffer_store_dword v4, off, s[0:3], s32 offset:1604 ; 4-byte Folded Spill
	v_cmpx_ne_u16_e32 0, v0
	s_cbranch_execz .LBB259_1411
; %bb.1404:                             ;   in Loop: Header=BB259_11 Depth=1
	v_cmp_ne_u16_e64 s5, 0x80, v0
	v_bfrev_b32_e32 v0, 1
	v_mov_b32_e32 v1, 0
	buffer_store_dword v0, off, s[0:3], s32 offset:1600 ; 4-byte Folded Spill
	buffer_store_dword v1, off, s[0:3], s32 offset:1604 ; 4-byte Folded Spill
	s_and_saveexec_b32 s7, s5
	s_cbranch_execz .LBB259_1410
; %bb.1405:                             ;   in Loop: Header=BB259_11 Depth=1
	v_mov_b32_e32 v3, 0x7f800001
	v_bfe_u32 v0, v2, 16, 7
	v_mov_b32_e32 v4, 0
	s_mov_b32 s19, exec_lo
	buffer_store_dword v3, off, s[0:3], s32 offset:1600 ; 4-byte Folded Spill
	buffer_store_dword v4, off, s[0:3], s32 offset:1604 ; 4-byte Folded Spill
	v_cmpx_ne_u32_e32 0x7f, v0
	s_cbranch_execz .LBB259_1409
; %bb.1406:                             ;   in Loop: Header=BB259_11 Depth=1
	v_mov_b32_e32 v1, 7
	v_lshrrev_b32_e32 v3, 3, v0
	v_cmp_gt_u32_e64 s5, 8, v0
	v_and_b32_sdwa v27, v2, v1 dst_sel:DWORD dst_unused:UNUSED_PAD src0_sel:WORD_1 src1_sel:DWORD
	v_mov_b32_e32 v0, v27
	v_mov_b32_e32 v1, v28
	s_and_saveexec_b32 s22, s5
; %bb.1407:                             ;   in Loop: Header=BB259_11 Depth=1
	v_ffbh_u32_e32 v0, v27
	v_min_u32_e32 v3, 32, v0
	v_subrev_nc_u32_e32 v0, 28, v3
	v_sub_nc_u32_e32 v3, 29, v3
	v_lshlrev_b64 v[0:1], v0, v[27:28]
	v_and_b32_e32 v0, 7, v0
; %bb.1408:                             ;   in Loop: Header=BB259_11 Depth=1
	s_or_b32 exec_lo, exec_lo, s22
	v_mov_b32_e32 v1, 24
	v_lshlrev_b32_e32 v0, 20, v0
	v_lshl_add_u32 v3, v3, 23, 0x3c000000
	v_lshlrev_b32_sdwa v1, v1, v2 dst_sel:DWORD dst_unused:UNUSED_PAD src0_sel:DWORD src1_sel:WORD_1
	v_and_b32_e32 v1, 0x80000000, v1
	v_or3_b32 v27, v0, v1, v3
	buffer_store_dword v27, off, s[0:3], s32 offset:1600 ; 4-byte Folded Spill
	buffer_store_dword v28, off, s[0:3], s32 offset:1604 ; 4-byte Folded Spill
.LBB259_1409:                           ;   in Loop: Header=BB259_11 Depth=1
	s_or_b32 exec_lo, exec_lo, s19
.LBB259_1410:                           ;   in Loop: Header=BB259_11 Depth=1
	s_or_b32 exec_lo, exec_lo, s7
.LBB259_1411:                           ;   in Loop: Header=BB259_11 Depth=1
	s_or_b32 exec_lo, exec_lo, s6
	s_mov_b32 s6, exec_lo
	v_cmpx_lt_u32_e32 0xffffff, v2
	s_cbranch_execz .LBB259_1419
; %bb.1412:                             ;   in Loop: Header=BB259_11 Depth=1
	v_mov_b32_e32 v0, 0x80
	v_mov_b32_e32 v98, v28
	buffer_store_dword v98, off, s[0:3], s32 offset:1592 ; 4-byte Folded Spill
	buffer_store_dword v99, off, s[0:3], s32 offset:1596 ; 4-byte Folded Spill
	v_cmp_ne_u32_sdwa s5, v2, v0 src0_sel:BYTE_3 src1_sel:DWORD
	s_and_saveexec_b32 s7, s5
	s_cbranch_execz .LBB259_1418
; %bb.1413:                             ;   in Loop: Header=BB259_11 Depth=1
	v_bfe_u32 v0, v2, 24, 7
	v_mov_b32_e32 v116, v28
	s_mov_b32 s19, exec_lo
	buffer_store_dword v116, off, s[0:3], s32 offset:1592 ; 4-byte Folded Spill
	buffer_store_dword v117, off, s[0:3], s32 offset:1596 ; 4-byte Folded Spill
	v_cmpx_ne_u32_e32 0x7f, v0
	s_cbranch_execz .LBB259_1417
; %bb.1414:                             ;   in Loop: Header=BB259_11 Depth=1
	v_mov_b32_e32 v1, 7
	v_lshrrev_b32_e32 v3, 3, v0
	v_cmp_gt_u32_e64 s5, 8, v0
	v_and_b32_sdwa v27, v2, v1 dst_sel:DWORD dst_unused:UNUSED_PAD src0_sel:BYTE_3 src1_sel:DWORD
	v_mov_b32_e32 v0, v27
	v_mov_b32_e32 v1, v28
	s_and_saveexec_b32 s22, s5
; %bb.1415:                             ;   in Loop: Header=BB259_11 Depth=1
	v_ffbh_u32_e32 v0, v27
	v_min_u32_e32 v3, 32, v0
	v_subrev_nc_u32_e32 v0, 28, v3
	v_sub_nc_u32_e32 v3, 29, v3
	v_lshlrev_b64 v[0:1], v0, v[27:28]
	v_and_b32_e32 v0, 7, v0
; %bb.1416:                             ;   in Loop: Header=BB259_11 Depth=1
	s_or_b32 exec_lo, exec_lo, s22
	v_mov_b32_e32 v1, 24
	v_lshlrev_b32_e32 v0, 20, v0
	v_lshlrev_b32_sdwa v1, v1, v2 dst_sel:DWORD dst_unused:UNUSED_PAD src0_sel:DWORD src1_sel:BYTE_3
	v_lshl_add_u32 v2, v3, 23, 0x3c000000
	v_and_b32_e32 v1, 0x80000000, v1
	v_or3_b32 v1, v0, v1, v2
	v_mov_b32_e32 v0, v28
	buffer_store_dword v0, off, s[0:3], s32 offset:1592 ; 4-byte Folded Spill
	buffer_store_dword v1, off, s[0:3], s32 offset:1596 ; 4-byte Folded Spill
.LBB259_1417:                           ;   in Loop: Header=BB259_11 Depth=1
	s_or_b32 exec_lo, exec_lo, s19
.LBB259_1418:                           ;   in Loop: Header=BB259_11 Depth=1
	s_or_b32 exec_lo, exec_lo, s7
.LBB259_1419:                           ;   in Loop: Header=BB259_11 Depth=1
	s_or_b32 exec_lo, exec_lo, s6
	flat_load_dword v2, v[66:67] offset:1536
	v_mov_b32_e32 v0, 0
	v_mov_b32_e32 v1, 0
	buffer_store_dword v0, off, s[0:3], s32 offset:1616 ; 4-byte Folded Spill
	buffer_store_dword v1, off, s[0:3], s32 offset:1620 ; 4-byte Folded Spill
	v_mov_b32_e32 v0, 0
	v_mov_b32_e32 v1, 0
	buffer_store_dword v0, off, s[0:3], s32 offset:1608 ; 4-byte Folded Spill
	buffer_store_dword v1, off, s[0:3], s32 offset:1612 ; 4-byte Folded Spill
	s_waitcnt vmcnt(0) lgkmcnt(0)
	v_cmp_ne_u16_sdwa s5, v2, v28 src0_sel:BYTE_0 src1_sel:DWORD
	s_and_saveexec_b32 s6, s5
	s_cbranch_execz .LBB259_1427
; %bb.1420:                             ;   in Loop: Header=BB259_11 Depth=1
	v_bfrev_b32_e32 v0, 1
	v_mov_b32_e32 v1, 0
	buffer_store_dword v0, off, s[0:3], s32 offset:1608 ; 4-byte Folded Spill
	buffer_store_dword v1, off, s[0:3], s32 offset:1612 ; 4-byte Folded Spill
	v_mov_b32_e32 v0, 0x80
	v_cmp_ne_u16_sdwa s5, v2, v0 src0_sel:BYTE_0 src1_sel:DWORD
	s_and_saveexec_b32 s7, s5
	s_cbranch_execz .LBB259_1426
; %bb.1421:                             ;   in Loop: Header=BB259_11 Depth=1
	v_mov_b32_e32 v3, 0x7f800001
	v_and_b32_e32 v0, 0x7f, v2
	v_mov_b32_e32 v4, 0
	s_mov_b32 s19, exec_lo
	buffer_store_dword v3, off, s[0:3], s32 offset:1608 ; 4-byte Folded Spill
	buffer_store_dword v4, off, s[0:3], s32 offset:1612 ; 4-byte Folded Spill
	v_cmpx_ne_u32_e32 0x7f, v0
	s_cbranch_execz .LBB259_1425
; %bb.1422:                             ;   in Loop: Header=BB259_11 Depth=1
	v_and_b32_e32 v27, 7, v2
	v_lshrrev_b32_e32 v3, 3, v0
	v_cmp_gt_u32_e64 s5, 8, v0
	v_mov_b32_e32 v0, v27
	v_mov_b32_e32 v1, v28
	s_and_saveexec_b32 s22, s5
; %bb.1423:                             ;   in Loop: Header=BB259_11 Depth=1
	v_ffbh_u32_e32 v0, v27
	v_min_u32_e32 v3, 32, v0
	v_subrev_nc_u32_e32 v0, 28, v3
	v_sub_nc_u32_e32 v3, 29, v3
	v_lshlrev_b64 v[0:1], v0, v[27:28]
	v_and_b32_e32 v0, 7, v0
; %bb.1424:                             ;   in Loop: Header=BB259_11 Depth=1
	s_or_b32 exec_lo, exec_lo, s22
	v_lshlrev_b32_e32 v1, 24, v2
	v_lshlrev_b32_e32 v0, 20, v0
	v_lshl_add_u32 v3, v3, 23, 0x3c000000
	v_and_b32_e32 v1, 0x80000000, v1
	v_or3_b32 v27, v0, v1, v3
	buffer_store_dword v27, off, s[0:3], s32 offset:1608 ; 4-byte Folded Spill
	buffer_store_dword v28, off, s[0:3], s32 offset:1612 ; 4-byte Folded Spill
.LBB259_1425:                           ;   in Loop: Header=BB259_11 Depth=1
	s_or_b32 exec_lo, exec_lo, s19
.LBB259_1426:                           ;   in Loop: Header=BB259_11 Depth=1
	s_or_b32 exec_lo, exec_lo, s7
.LBB259_1427:                           ;   in Loop: Header=BB259_11 Depth=1
	s_or_b32 exec_lo, exec_lo, s6
	v_cmp_ne_u16_sdwa s5, v2, v28 src0_sel:BYTE_1 src1_sel:DWORD
	s_and_saveexec_b32 s6, s5
	s_cbranch_execz .LBB259_1435
; %bb.1428:                             ;   in Loop: Header=BB259_11 Depth=1
	v_mov_b32_e32 v0, 0x80
	v_mov_b32_e32 v98, v28
	buffer_store_dword v98, off, s[0:3], s32 offset:1616 ; 4-byte Folded Spill
	buffer_store_dword v99, off, s[0:3], s32 offset:1620 ; 4-byte Folded Spill
	v_cmp_ne_u16_sdwa s5, v2, v0 src0_sel:BYTE_1 src1_sel:DWORD
	s_and_saveexec_b32 s7, s5
	s_cbranch_execz .LBB259_1434
; %bb.1429:                             ;   in Loop: Header=BB259_11 Depth=1
	v_mov_b32_e32 v0, 0xffff
	v_mov_b32_e32 v116, v28
	s_mov_b32 s19, exec_lo
	buffer_store_dword v116, off, s[0:3], s32 offset:1616 ; 4-byte Folded Spill
	buffer_store_dword v117, off, s[0:3], s32 offset:1620 ; 4-byte Folded Spill
	v_and_b32_sdwa v1, v0, v2 dst_sel:DWORD dst_unused:UNUSED_PAD src0_sel:DWORD src1_sel:BYTE_1
	v_and_b32_e32 v0, 0x7f, v1
	v_cmpx_ne_u32_e32 0x7f, v0
	s_cbranch_execz .LBB259_1433
; %bb.1430:                             ;   in Loop: Header=BB259_11 Depth=1
	v_and_b32_e32 v27, 7, v1
	v_lshrrev_b32_e32 v3, 3, v0
	v_cmp_gt_u32_e64 s5, 8, v0
	v_mov_b32_e32 v0, v27
	v_mov_b32_e32 v1, v28
	s_and_saveexec_b32 s22, s5
; %bb.1431:                             ;   in Loop: Header=BB259_11 Depth=1
	v_ffbh_u32_e32 v0, v27
	v_min_u32_e32 v3, 32, v0
	v_subrev_nc_u32_e32 v0, 28, v3
	v_sub_nc_u32_e32 v3, 29, v3
	v_lshlrev_b64 v[0:1], v0, v[27:28]
	v_and_b32_e32 v0, 7, v0
; %bb.1432:                             ;   in Loop: Header=BB259_11 Depth=1
	s_or_b32 exec_lo, exec_lo, s22
	v_lshlrev_b32_e32 v1, 16, v2
	v_lshlrev_b32_e32 v0, 20, v0
	v_lshl_add_u32 v3, v3, 23, 0x3c000000
	v_and_b32_e32 v1, 0x80000000, v1
	v_or3_b32 v1, v0, v1, v3
	v_mov_b32_e32 v0, v28
	buffer_store_dword v0, off, s[0:3], s32 offset:1616 ; 4-byte Folded Spill
	buffer_store_dword v1, off, s[0:3], s32 offset:1620 ; 4-byte Folded Spill
.LBB259_1433:                           ;   in Loop: Header=BB259_11 Depth=1
	s_or_b32 exec_lo, exec_lo, s19
.LBB259_1434:                           ;   in Loop: Header=BB259_11 Depth=1
	s_or_b32 exec_lo, exec_lo, s7
.LBB259_1435:                           ;   in Loop: Header=BB259_11 Depth=1
	s_or_b32 exec_lo, exec_lo, s6
	v_mov_b32_e32 v3, 0
	v_mov_b32_e32 v4, 0
	v_and_b32_sdwa v0, v2, v6 dst_sel:DWORD dst_unused:UNUSED_PAD src0_sel:WORD_1 src1_sel:DWORD
	s_mov_b32 s6, exec_lo
	buffer_store_dword v3, off, s[0:3], s32 offset:1624 ; 4-byte Folded Spill
	buffer_store_dword v4, off, s[0:3], s32 offset:1628 ; 4-byte Folded Spill
	v_mov_b32_e32 v3, 0
	v_mov_b32_e32 v4, 0
	buffer_store_dword v3, off, s[0:3], s32 offset:1632 ; 4-byte Folded Spill
	buffer_store_dword v4, off, s[0:3], s32 offset:1636 ; 4-byte Folded Spill
	v_cmpx_ne_u16_e32 0, v0
	s_cbranch_execz .LBB259_1443
; %bb.1436:                             ;   in Loop: Header=BB259_11 Depth=1
	v_cmp_ne_u16_e64 s5, 0x80, v0
	v_bfrev_b32_e32 v0, 1
	v_mov_b32_e32 v1, 0
	buffer_store_dword v0, off, s[0:3], s32 offset:1632 ; 4-byte Folded Spill
	buffer_store_dword v1, off, s[0:3], s32 offset:1636 ; 4-byte Folded Spill
	s_and_saveexec_b32 s7, s5
	s_cbranch_execz .LBB259_1442
; %bb.1437:                             ;   in Loop: Header=BB259_11 Depth=1
	v_mov_b32_e32 v3, 0x7f800001
	v_bfe_u32 v0, v2, 16, 7
	v_mov_b32_e32 v4, 0
	s_mov_b32 s19, exec_lo
	buffer_store_dword v3, off, s[0:3], s32 offset:1632 ; 4-byte Folded Spill
	buffer_store_dword v4, off, s[0:3], s32 offset:1636 ; 4-byte Folded Spill
	v_cmpx_ne_u32_e32 0x7f, v0
	s_cbranch_execz .LBB259_1441
; %bb.1438:                             ;   in Loop: Header=BB259_11 Depth=1
	v_mov_b32_e32 v1, 7
	v_lshrrev_b32_e32 v3, 3, v0
	v_cmp_gt_u32_e64 s5, 8, v0
	v_and_b32_sdwa v27, v2, v1 dst_sel:DWORD dst_unused:UNUSED_PAD src0_sel:WORD_1 src1_sel:DWORD
	v_mov_b32_e32 v0, v27
	v_mov_b32_e32 v1, v28
	s_and_saveexec_b32 s22, s5
; %bb.1439:                             ;   in Loop: Header=BB259_11 Depth=1
	v_ffbh_u32_e32 v0, v27
	v_min_u32_e32 v3, 32, v0
	v_subrev_nc_u32_e32 v0, 28, v3
	v_sub_nc_u32_e32 v3, 29, v3
	v_lshlrev_b64 v[0:1], v0, v[27:28]
	v_and_b32_e32 v0, 7, v0
; %bb.1440:                             ;   in Loop: Header=BB259_11 Depth=1
	s_or_b32 exec_lo, exec_lo, s22
	v_mov_b32_e32 v1, 24
	v_lshlrev_b32_e32 v0, 20, v0
	v_lshl_add_u32 v3, v3, 23, 0x3c000000
	v_lshlrev_b32_sdwa v1, v1, v2 dst_sel:DWORD dst_unused:UNUSED_PAD src0_sel:DWORD src1_sel:WORD_1
	v_and_b32_e32 v1, 0x80000000, v1
	v_or3_b32 v27, v0, v1, v3
	buffer_store_dword v27, off, s[0:3], s32 offset:1632 ; 4-byte Folded Spill
	buffer_store_dword v28, off, s[0:3], s32 offset:1636 ; 4-byte Folded Spill
.LBB259_1441:                           ;   in Loop: Header=BB259_11 Depth=1
	s_or_b32 exec_lo, exec_lo, s19
.LBB259_1442:                           ;   in Loop: Header=BB259_11 Depth=1
	s_or_b32 exec_lo, exec_lo, s7
.LBB259_1443:                           ;   in Loop: Header=BB259_11 Depth=1
	s_or_b32 exec_lo, exec_lo, s6
	s_mov_b32 s6, exec_lo
	v_cmpx_lt_u32_e32 0xffffff, v2
	s_cbranch_execz .LBB259_1451
; %bb.1444:                             ;   in Loop: Header=BB259_11 Depth=1
	v_mov_b32_e32 v0, 0x80
	v_mov_b32_e32 v98, v28
	buffer_store_dword v98, off, s[0:3], s32 offset:1624 ; 4-byte Folded Spill
	buffer_store_dword v99, off, s[0:3], s32 offset:1628 ; 4-byte Folded Spill
	v_cmp_ne_u32_sdwa s5, v2, v0 src0_sel:BYTE_3 src1_sel:DWORD
	s_and_saveexec_b32 s7, s5
	s_cbranch_execz .LBB259_1450
; %bb.1445:                             ;   in Loop: Header=BB259_11 Depth=1
	v_bfe_u32 v0, v2, 24, 7
	v_mov_b32_e32 v116, v28
	s_mov_b32 s19, exec_lo
	buffer_store_dword v116, off, s[0:3], s32 offset:1624 ; 4-byte Folded Spill
	buffer_store_dword v117, off, s[0:3], s32 offset:1628 ; 4-byte Folded Spill
	v_cmpx_ne_u32_e32 0x7f, v0
	s_cbranch_execz .LBB259_1449
; %bb.1446:                             ;   in Loop: Header=BB259_11 Depth=1
	v_mov_b32_e32 v1, 7
	v_lshrrev_b32_e32 v3, 3, v0
	v_cmp_gt_u32_e64 s5, 8, v0
	v_and_b32_sdwa v27, v2, v1 dst_sel:DWORD dst_unused:UNUSED_PAD src0_sel:BYTE_3 src1_sel:DWORD
	v_mov_b32_e32 v0, v27
	v_mov_b32_e32 v1, v28
	s_and_saveexec_b32 s22, s5
; %bb.1447:                             ;   in Loop: Header=BB259_11 Depth=1
	v_ffbh_u32_e32 v0, v27
	v_min_u32_e32 v3, 32, v0
	v_subrev_nc_u32_e32 v0, 28, v3
	v_sub_nc_u32_e32 v3, 29, v3
	v_lshlrev_b64 v[0:1], v0, v[27:28]
	v_and_b32_e32 v0, 7, v0
; %bb.1448:                             ;   in Loop: Header=BB259_11 Depth=1
	s_or_b32 exec_lo, exec_lo, s22
	v_mov_b32_e32 v1, 24
	v_lshlrev_b32_e32 v0, 20, v0
	v_lshlrev_b32_sdwa v1, v1, v2 dst_sel:DWORD dst_unused:UNUSED_PAD src0_sel:DWORD src1_sel:BYTE_3
	v_lshl_add_u32 v2, v3, 23, 0x3c000000
	v_and_b32_e32 v1, 0x80000000, v1
	v_or3_b32 v1, v0, v1, v2
	v_mov_b32_e32 v0, v28
	buffer_store_dword v0, off, s[0:3], s32 offset:1624 ; 4-byte Folded Spill
	buffer_store_dword v1, off, s[0:3], s32 offset:1628 ; 4-byte Folded Spill
.LBB259_1449:                           ;   in Loop: Header=BB259_11 Depth=1
	s_or_b32 exec_lo, exec_lo, s19
.LBB259_1450:                           ;   in Loop: Header=BB259_11 Depth=1
	s_or_b32 exec_lo, exec_lo, s7
.LBB259_1451:                           ;   in Loop: Header=BB259_11 Depth=1
	s_or_b32 exec_lo, exec_lo, s6
	flat_load_dword v2, v[66:67] offset:1540
	v_mov_b32_e32 v0, 0
	v_mov_b32_e32 v1, 0
	buffer_store_dword v0, off, s[0:3], s32 offset:1648 ; 4-byte Folded Spill
	buffer_store_dword v1, off, s[0:3], s32 offset:1652 ; 4-byte Folded Spill
	v_mov_b32_e32 v0, 0
	v_mov_b32_e32 v1, 0
	buffer_store_dword v0, off, s[0:3], s32 offset:1640 ; 4-byte Folded Spill
	buffer_store_dword v1, off, s[0:3], s32 offset:1644 ; 4-byte Folded Spill
	s_waitcnt vmcnt(0) lgkmcnt(0)
	v_cmp_ne_u16_sdwa s5, v2, v28 src0_sel:BYTE_0 src1_sel:DWORD
	s_and_saveexec_b32 s6, s5
	s_cbranch_execz .LBB259_1459
; %bb.1452:                             ;   in Loop: Header=BB259_11 Depth=1
	v_bfrev_b32_e32 v0, 1
	v_mov_b32_e32 v1, 0
	buffer_store_dword v0, off, s[0:3], s32 offset:1640 ; 4-byte Folded Spill
	buffer_store_dword v1, off, s[0:3], s32 offset:1644 ; 4-byte Folded Spill
	v_mov_b32_e32 v0, 0x80
	v_cmp_ne_u16_sdwa s5, v2, v0 src0_sel:BYTE_0 src1_sel:DWORD
	s_and_saveexec_b32 s7, s5
	s_cbranch_execz .LBB259_1458
; %bb.1453:                             ;   in Loop: Header=BB259_11 Depth=1
	v_mov_b32_e32 v3, 0x7f800001
	v_and_b32_e32 v0, 0x7f, v2
	v_mov_b32_e32 v4, 0
	s_mov_b32 s19, exec_lo
	buffer_store_dword v3, off, s[0:3], s32 offset:1640 ; 4-byte Folded Spill
	buffer_store_dword v4, off, s[0:3], s32 offset:1644 ; 4-byte Folded Spill
	v_cmpx_ne_u32_e32 0x7f, v0
	s_cbranch_execz .LBB259_1457
; %bb.1454:                             ;   in Loop: Header=BB259_11 Depth=1
	v_and_b32_e32 v27, 7, v2
	v_lshrrev_b32_e32 v3, 3, v0
	v_cmp_gt_u32_e64 s5, 8, v0
	v_mov_b32_e32 v0, v27
	v_mov_b32_e32 v1, v28
	s_and_saveexec_b32 s22, s5
; %bb.1455:                             ;   in Loop: Header=BB259_11 Depth=1
	v_ffbh_u32_e32 v0, v27
	v_min_u32_e32 v3, 32, v0
	v_subrev_nc_u32_e32 v0, 28, v3
	v_sub_nc_u32_e32 v3, 29, v3
	v_lshlrev_b64 v[0:1], v0, v[27:28]
	v_and_b32_e32 v0, 7, v0
; %bb.1456:                             ;   in Loop: Header=BB259_11 Depth=1
	s_or_b32 exec_lo, exec_lo, s22
	v_lshlrev_b32_e32 v1, 24, v2
	v_lshlrev_b32_e32 v0, 20, v0
	v_lshl_add_u32 v3, v3, 23, 0x3c000000
	v_and_b32_e32 v1, 0x80000000, v1
	v_or3_b32 v27, v0, v1, v3
	buffer_store_dword v27, off, s[0:3], s32 offset:1640 ; 4-byte Folded Spill
	buffer_store_dword v28, off, s[0:3], s32 offset:1644 ; 4-byte Folded Spill
.LBB259_1457:                           ;   in Loop: Header=BB259_11 Depth=1
	s_or_b32 exec_lo, exec_lo, s19
.LBB259_1458:                           ;   in Loop: Header=BB259_11 Depth=1
	s_or_b32 exec_lo, exec_lo, s7
.LBB259_1459:                           ;   in Loop: Header=BB259_11 Depth=1
	s_or_b32 exec_lo, exec_lo, s6
	v_cmp_ne_u16_sdwa s5, v2, v28 src0_sel:BYTE_1 src1_sel:DWORD
	s_and_saveexec_b32 s6, s5
	s_cbranch_execz .LBB259_1467
; %bb.1460:                             ;   in Loop: Header=BB259_11 Depth=1
	v_mov_b32_e32 v0, 0x80
	v_mov_b32_e32 v98, v28
	buffer_store_dword v98, off, s[0:3], s32 offset:1648 ; 4-byte Folded Spill
	buffer_store_dword v99, off, s[0:3], s32 offset:1652 ; 4-byte Folded Spill
	v_cmp_ne_u16_sdwa s5, v2, v0 src0_sel:BYTE_1 src1_sel:DWORD
	s_and_saveexec_b32 s7, s5
	s_cbranch_execz .LBB259_1466
; %bb.1461:                             ;   in Loop: Header=BB259_11 Depth=1
	v_mov_b32_e32 v0, 0xffff
	v_mov_b32_e32 v116, v28
	s_mov_b32 s19, exec_lo
	buffer_store_dword v116, off, s[0:3], s32 offset:1648 ; 4-byte Folded Spill
	buffer_store_dword v117, off, s[0:3], s32 offset:1652 ; 4-byte Folded Spill
	v_and_b32_sdwa v1, v0, v2 dst_sel:DWORD dst_unused:UNUSED_PAD src0_sel:DWORD src1_sel:BYTE_1
	v_and_b32_e32 v0, 0x7f, v1
	v_cmpx_ne_u32_e32 0x7f, v0
	s_cbranch_execz .LBB259_1465
; %bb.1462:                             ;   in Loop: Header=BB259_11 Depth=1
	v_and_b32_e32 v27, 7, v1
	v_lshrrev_b32_e32 v3, 3, v0
	v_cmp_gt_u32_e64 s5, 8, v0
	v_mov_b32_e32 v0, v27
	v_mov_b32_e32 v1, v28
	s_and_saveexec_b32 s22, s5
; %bb.1463:                             ;   in Loop: Header=BB259_11 Depth=1
	v_ffbh_u32_e32 v0, v27
	v_min_u32_e32 v3, 32, v0
	v_subrev_nc_u32_e32 v0, 28, v3
	v_sub_nc_u32_e32 v3, 29, v3
	v_lshlrev_b64 v[0:1], v0, v[27:28]
	v_and_b32_e32 v0, 7, v0
; %bb.1464:                             ;   in Loop: Header=BB259_11 Depth=1
	s_or_b32 exec_lo, exec_lo, s22
	v_lshlrev_b32_e32 v1, 16, v2
	v_lshlrev_b32_e32 v0, 20, v0
	v_lshl_add_u32 v3, v3, 23, 0x3c000000
	v_and_b32_e32 v1, 0x80000000, v1
	v_or3_b32 v1, v0, v1, v3
	v_mov_b32_e32 v0, v28
	buffer_store_dword v0, off, s[0:3], s32 offset:1648 ; 4-byte Folded Spill
	buffer_store_dword v1, off, s[0:3], s32 offset:1652 ; 4-byte Folded Spill
.LBB259_1465:                           ;   in Loop: Header=BB259_11 Depth=1
	s_or_b32 exec_lo, exec_lo, s19
.LBB259_1466:                           ;   in Loop: Header=BB259_11 Depth=1
	s_or_b32 exec_lo, exec_lo, s7
.LBB259_1467:                           ;   in Loop: Header=BB259_11 Depth=1
	s_or_b32 exec_lo, exec_lo, s6
	v_mov_b32_e32 v3, 0
	v_mov_b32_e32 v4, 0
	v_and_b32_sdwa v0, v2, v6 dst_sel:DWORD dst_unused:UNUSED_PAD src0_sel:WORD_1 src1_sel:DWORD
	s_mov_b32 s6, exec_lo
	buffer_store_dword v3, off, s[0:3], s32 offset:1656 ; 4-byte Folded Spill
	buffer_store_dword v4, off, s[0:3], s32 offset:1660 ; 4-byte Folded Spill
	v_mov_b32_e32 v3, 0
	v_mov_b32_e32 v4, 0
	buffer_store_dword v3, off, s[0:3], s32 offset:1664 ; 4-byte Folded Spill
	buffer_store_dword v4, off, s[0:3], s32 offset:1668 ; 4-byte Folded Spill
	v_cmpx_ne_u16_e32 0, v0
	s_cbranch_execz .LBB259_1475
; %bb.1468:                             ;   in Loop: Header=BB259_11 Depth=1
	v_cmp_ne_u16_e64 s5, 0x80, v0
	v_bfrev_b32_e32 v0, 1
	v_mov_b32_e32 v1, 0
	buffer_store_dword v0, off, s[0:3], s32 offset:1664 ; 4-byte Folded Spill
	buffer_store_dword v1, off, s[0:3], s32 offset:1668 ; 4-byte Folded Spill
	s_and_saveexec_b32 s7, s5
	s_cbranch_execz .LBB259_1474
; %bb.1469:                             ;   in Loop: Header=BB259_11 Depth=1
	v_mov_b32_e32 v3, 0x7f800001
	v_bfe_u32 v0, v2, 16, 7
	v_mov_b32_e32 v4, 0
	s_mov_b32 s19, exec_lo
	buffer_store_dword v3, off, s[0:3], s32 offset:1664 ; 4-byte Folded Spill
	buffer_store_dword v4, off, s[0:3], s32 offset:1668 ; 4-byte Folded Spill
	v_cmpx_ne_u32_e32 0x7f, v0
	s_cbranch_execz .LBB259_1473
; %bb.1470:                             ;   in Loop: Header=BB259_11 Depth=1
	v_mov_b32_e32 v1, 7
	v_lshrrev_b32_e32 v3, 3, v0
	v_cmp_gt_u32_e64 s5, 8, v0
	v_and_b32_sdwa v27, v2, v1 dst_sel:DWORD dst_unused:UNUSED_PAD src0_sel:WORD_1 src1_sel:DWORD
	v_mov_b32_e32 v0, v27
	v_mov_b32_e32 v1, v28
	s_and_saveexec_b32 s22, s5
; %bb.1471:                             ;   in Loop: Header=BB259_11 Depth=1
	v_ffbh_u32_e32 v0, v27
	v_min_u32_e32 v3, 32, v0
	v_subrev_nc_u32_e32 v0, 28, v3
	v_sub_nc_u32_e32 v3, 29, v3
	v_lshlrev_b64 v[0:1], v0, v[27:28]
	v_and_b32_e32 v0, 7, v0
; %bb.1472:                             ;   in Loop: Header=BB259_11 Depth=1
	s_or_b32 exec_lo, exec_lo, s22
	v_mov_b32_e32 v1, 24
	v_lshlrev_b32_e32 v0, 20, v0
	v_lshl_add_u32 v3, v3, 23, 0x3c000000
	v_lshlrev_b32_sdwa v1, v1, v2 dst_sel:DWORD dst_unused:UNUSED_PAD src0_sel:DWORD src1_sel:WORD_1
	v_and_b32_e32 v1, 0x80000000, v1
	v_or3_b32 v27, v0, v1, v3
	buffer_store_dword v27, off, s[0:3], s32 offset:1664 ; 4-byte Folded Spill
	buffer_store_dword v28, off, s[0:3], s32 offset:1668 ; 4-byte Folded Spill
.LBB259_1473:                           ;   in Loop: Header=BB259_11 Depth=1
	s_or_b32 exec_lo, exec_lo, s19
.LBB259_1474:                           ;   in Loop: Header=BB259_11 Depth=1
	s_or_b32 exec_lo, exec_lo, s7
.LBB259_1475:                           ;   in Loop: Header=BB259_11 Depth=1
	s_or_b32 exec_lo, exec_lo, s6
	s_mov_b32 s6, exec_lo
	v_cmpx_lt_u32_e32 0xffffff, v2
	s_cbranch_execz .LBB259_1483
; %bb.1476:                             ;   in Loop: Header=BB259_11 Depth=1
	v_mov_b32_e32 v0, 0x80
	v_mov_b32_e32 v98, v28
	buffer_store_dword v98, off, s[0:3], s32 offset:1656 ; 4-byte Folded Spill
	buffer_store_dword v99, off, s[0:3], s32 offset:1660 ; 4-byte Folded Spill
	v_cmp_ne_u32_sdwa s5, v2, v0 src0_sel:BYTE_3 src1_sel:DWORD
	s_and_saveexec_b32 s7, s5
	s_cbranch_execz .LBB259_1482
; %bb.1477:                             ;   in Loop: Header=BB259_11 Depth=1
	v_bfe_u32 v0, v2, 24, 7
	v_mov_b32_e32 v116, v28
	s_mov_b32 s19, exec_lo
	buffer_store_dword v116, off, s[0:3], s32 offset:1656 ; 4-byte Folded Spill
	buffer_store_dword v117, off, s[0:3], s32 offset:1660 ; 4-byte Folded Spill
	v_cmpx_ne_u32_e32 0x7f, v0
	s_cbranch_execz .LBB259_1481
; %bb.1478:                             ;   in Loop: Header=BB259_11 Depth=1
	v_mov_b32_e32 v1, 7
	v_lshrrev_b32_e32 v3, 3, v0
	v_cmp_gt_u32_e64 s5, 8, v0
	v_and_b32_sdwa v27, v2, v1 dst_sel:DWORD dst_unused:UNUSED_PAD src0_sel:BYTE_3 src1_sel:DWORD
	v_mov_b32_e32 v0, v27
	v_mov_b32_e32 v1, v28
	s_and_saveexec_b32 s22, s5
; %bb.1479:                             ;   in Loop: Header=BB259_11 Depth=1
	v_ffbh_u32_e32 v0, v27
	v_min_u32_e32 v3, 32, v0
	v_subrev_nc_u32_e32 v0, 28, v3
	v_sub_nc_u32_e32 v3, 29, v3
	v_lshlrev_b64 v[0:1], v0, v[27:28]
	v_and_b32_e32 v0, 7, v0
; %bb.1480:                             ;   in Loop: Header=BB259_11 Depth=1
	s_or_b32 exec_lo, exec_lo, s22
	v_mov_b32_e32 v1, 24
	v_lshlrev_b32_e32 v0, 20, v0
	v_lshlrev_b32_sdwa v1, v1, v2 dst_sel:DWORD dst_unused:UNUSED_PAD src0_sel:DWORD src1_sel:BYTE_3
	v_lshl_add_u32 v2, v3, 23, 0x3c000000
	v_and_b32_e32 v1, 0x80000000, v1
	v_or3_b32 v1, v0, v1, v2
	v_mov_b32_e32 v0, v28
	buffer_store_dword v0, off, s[0:3], s32 offset:1656 ; 4-byte Folded Spill
	buffer_store_dword v1, off, s[0:3], s32 offset:1660 ; 4-byte Folded Spill
.LBB259_1481:                           ;   in Loop: Header=BB259_11 Depth=1
	s_or_b32 exec_lo, exec_lo, s19
.LBB259_1482:                           ;   in Loop: Header=BB259_11 Depth=1
	s_or_b32 exec_lo, exec_lo, s7
.LBB259_1483:                           ;   in Loop: Header=BB259_11 Depth=1
	s_or_b32 exec_lo, exec_lo, s6
	flat_load_dword v2, v[66:67] offset:1544
	v_mov_b32_e32 v0, 0
	v_mov_b32_e32 v1, 0
	buffer_store_dword v0, off, s[0:3], s32 offset:1680 ; 4-byte Folded Spill
	buffer_store_dword v1, off, s[0:3], s32 offset:1684 ; 4-byte Folded Spill
	v_mov_b32_e32 v0, 0
	v_mov_b32_e32 v1, 0
	buffer_store_dword v0, off, s[0:3], s32 offset:1672 ; 4-byte Folded Spill
	buffer_store_dword v1, off, s[0:3], s32 offset:1676 ; 4-byte Folded Spill
	s_waitcnt vmcnt(0) lgkmcnt(0)
	v_cmp_ne_u16_sdwa s5, v2, v28 src0_sel:BYTE_0 src1_sel:DWORD
	s_and_saveexec_b32 s6, s5
	s_cbranch_execz .LBB259_1491
; %bb.1484:                             ;   in Loop: Header=BB259_11 Depth=1
	v_bfrev_b32_e32 v0, 1
	v_mov_b32_e32 v1, 0
	buffer_store_dword v0, off, s[0:3], s32 offset:1672 ; 4-byte Folded Spill
	buffer_store_dword v1, off, s[0:3], s32 offset:1676 ; 4-byte Folded Spill
	v_mov_b32_e32 v0, 0x80
	v_cmp_ne_u16_sdwa s5, v2, v0 src0_sel:BYTE_0 src1_sel:DWORD
	s_and_saveexec_b32 s7, s5
	s_cbranch_execz .LBB259_1490
; %bb.1485:                             ;   in Loop: Header=BB259_11 Depth=1
	v_mov_b32_e32 v3, 0x7f800001
	v_and_b32_e32 v0, 0x7f, v2
	v_mov_b32_e32 v4, 0
	s_mov_b32 s19, exec_lo
	buffer_store_dword v3, off, s[0:3], s32 offset:1672 ; 4-byte Folded Spill
	buffer_store_dword v4, off, s[0:3], s32 offset:1676 ; 4-byte Folded Spill
	v_cmpx_ne_u32_e32 0x7f, v0
	s_cbranch_execz .LBB259_1489
; %bb.1486:                             ;   in Loop: Header=BB259_11 Depth=1
	v_and_b32_e32 v27, 7, v2
	v_lshrrev_b32_e32 v3, 3, v0
	v_cmp_gt_u32_e64 s5, 8, v0
	v_mov_b32_e32 v0, v27
	v_mov_b32_e32 v1, v28
	s_and_saveexec_b32 s22, s5
; %bb.1487:                             ;   in Loop: Header=BB259_11 Depth=1
	v_ffbh_u32_e32 v0, v27
	v_min_u32_e32 v3, 32, v0
	v_subrev_nc_u32_e32 v0, 28, v3
	v_sub_nc_u32_e32 v3, 29, v3
	v_lshlrev_b64 v[0:1], v0, v[27:28]
	v_and_b32_e32 v0, 7, v0
; %bb.1488:                             ;   in Loop: Header=BB259_11 Depth=1
	s_or_b32 exec_lo, exec_lo, s22
	v_lshlrev_b32_e32 v1, 24, v2
	v_lshlrev_b32_e32 v0, 20, v0
	v_lshl_add_u32 v3, v3, 23, 0x3c000000
	v_and_b32_e32 v1, 0x80000000, v1
	v_or3_b32 v27, v0, v1, v3
	buffer_store_dword v27, off, s[0:3], s32 offset:1672 ; 4-byte Folded Spill
	buffer_store_dword v28, off, s[0:3], s32 offset:1676 ; 4-byte Folded Spill
.LBB259_1489:                           ;   in Loop: Header=BB259_11 Depth=1
	s_or_b32 exec_lo, exec_lo, s19
.LBB259_1490:                           ;   in Loop: Header=BB259_11 Depth=1
	s_or_b32 exec_lo, exec_lo, s7
.LBB259_1491:                           ;   in Loop: Header=BB259_11 Depth=1
	s_or_b32 exec_lo, exec_lo, s6
	v_cmp_ne_u16_sdwa s5, v2, v28 src0_sel:BYTE_1 src1_sel:DWORD
	s_and_saveexec_b32 s6, s5
	s_cbranch_execz .LBB259_1499
; %bb.1492:                             ;   in Loop: Header=BB259_11 Depth=1
	v_mov_b32_e32 v0, 0x80
	v_mov_b32_e32 v98, v28
	buffer_store_dword v98, off, s[0:3], s32 offset:1680 ; 4-byte Folded Spill
	buffer_store_dword v99, off, s[0:3], s32 offset:1684 ; 4-byte Folded Spill
	v_cmp_ne_u16_sdwa s5, v2, v0 src0_sel:BYTE_1 src1_sel:DWORD
	s_and_saveexec_b32 s7, s5
	s_cbranch_execz .LBB259_1498
; %bb.1493:                             ;   in Loop: Header=BB259_11 Depth=1
	v_mov_b32_e32 v0, 0xffff
	v_mov_b32_e32 v116, v28
	s_mov_b32 s19, exec_lo
	buffer_store_dword v116, off, s[0:3], s32 offset:1680 ; 4-byte Folded Spill
	buffer_store_dword v117, off, s[0:3], s32 offset:1684 ; 4-byte Folded Spill
	v_and_b32_sdwa v1, v0, v2 dst_sel:DWORD dst_unused:UNUSED_PAD src0_sel:DWORD src1_sel:BYTE_1
	v_and_b32_e32 v0, 0x7f, v1
	v_cmpx_ne_u32_e32 0x7f, v0
	s_cbranch_execz .LBB259_1497
; %bb.1494:                             ;   in Loop: Header=BB259_11 Depth=1
	v_and_b32_e32 v27, 7, v1
	v_lshrrev_b32_e32 v3, 3, v0
	v_cmp_gt_u32_e64 s5, 8, v0
	v_mov_b32_e32 v0, v27
	v_mov_b32_e32 v1, v28
	s_and_saveexec_b32 s22, s5
; %bb.1495:                             ;   in Loop: Header=BB259_11 Depth=1
	v_ffbh_u32_e32 v0, v27
	v_min_u32_e32 v3, 32, v0
	v_subrev_nc_u32_e32 v0, 28, v3
	v_sub_nc_u32_e32 v3, 29, v3
	v_lshlrev_b64 v[0:1], v0, v[27:28]
	v_and_b32_e32 v0, 7, v0
; %bb.1496:                             ;   in Loop: Header=BB259_11 Depth=1
	s_or_b32 exec_lo, exec_lo, s22
	v_lshlrev_b32_e32 v1, 16, v2
	v_lshlrev_b32_e32 v0, 20, v0
	v_lshl_add_u32 v3, v3, 23, 0x3c000000
	v_and_b32_e32 v1, 0x80000000, v1
	v_or3_b32 v1, v0, v1, v3
	v_mov_b32_e32 v0, v28
	buffer_store_dword v0, off, s[0:3], s32 offset:1680 ; 4-byte Folded Spill
	buffer_store_dword v1, off, s[0:3], s32 offset:1684 ; 4-byte Folded Spill
.LBB259_1497:                           ;   in Loop: Header=BB259_11 Depth=1
	s_or_b32 exec_lo, exec_lo, s19
.LBB259_1498:                           ;   in Loop: Header=BB259_11 Depth=1
	s_or_b32 exec_lo, exec_lo, s7
.LBB259_1499:                           ;   in Loop: Header=BB259_11 Depth=1
	s_or_b32 exec_lo, exec_lo, s6
	v_mov_b32_e32 v3, 0
	v_mov_b32_e32 v4, 0
	v_and_b32_sdwa v0, v2, v6 dst_sel:DWORD dst_unused:UNUSED_PAD src0_sel:WORD_1 src1_sel:DWORD
	s_mov_b32 s6, exec_lo
	buffer_store_dword v3, off, s[0:3], s32 offset:1688 ; 4-byte Folded Spill
	buffer_store_dword v4, off, s[0:3], s32 offset:1692 ; 4-byte Folded Spill
	v_mov_b32_e32 v3, 0
	v_mov_b32_e32 v4, 0
	buffer_store_dword v3, off, s[0:3], s32 offset:1696 ; 4-byte Folded Spill
	buffer_store_dword v4, off, s[0:3], s32 offset:1700 ; 4-byte Folded Spill
	v_cmpx_ne_u16_e32 0, v0
	s_cbranch_execz .LBB259_1507
; %bb.1500:                             ;   in Loop: Header=BB259_11 Depth=1
	v_cmp_ne_u16_e64 s5, 0x80, v0
	v_bfrev_b32_e32 v0, 1
	v_mov_b32_e32 v1, 0
	buffer_store_dword v0, off, s[0:3], s32 offset:1696 ; 4-byte Folded Spill
	buffer_store_dword v1, off, s[0:3], s32 offset:1700 ; 4-byte Folded Spill
	s_and_saveexec_b32 s7, s5
	s_cbranch_execz .LBB259_1506
; %bb.1501:                             ;   in Loop: Header=BB259_11 Depth=1
	v_mov_b32_e32 v3, 0x7f800001
	v_bfe_u32 v0, v2, 16, 7
	v_mov_b32_e32 v4, 0
	s_mov_b32 s19, exec_lo
	buffer_store_dword v3, off, s[0:3], s32 offset:1696 ; 4-byte Folded Spill
	buffer_store_dword v4, off, s[0:3], s32 offset:1700 ; 4-byte Folded Spill
	v_cmpx_ne_u32_e32 0x7f, v0
	s_cbranch_execz .LBB259_1505
; %bb.1502:                             ;   in Loop: Header=BB259_11 Depth=1
	v_mov_b32_e32 v1, 7
	v_lshrrev_b32_e32 v3, 3, v0
	v_cmp_gt_u32_e64 s5, 8, v0
	v_and_b32_sdwa v27, v2, v1 dst_sel:DWORD dst_unused:UNUSED_PAD src0_sel:WORD_1 src1_sel:DWORD
	v_mov_b32_e32 v0, v27
	v_mov_b32_e32 v1, v28
	s_and_saveexec_b32 s22, s5
; %bb.1503:                             ;   in Loop: Header=BB259_11 Depth=1
	v_ffbh_u32_e32 v0, v27
	v_min_u32_e32 v3, 32, v0
	v_subrev_nc_u32_e32 v0, 28, v3
	v_sub_nc_u32_e32 v3, 29, v3
	v_lshlrev_b64 v[0:1], v0, v[27:28]
	v_and_b32_e32 v0, 7, v0
; %bb.1504:                             ;   in Loop: Header=BB259_11 Depth=1
	s_or_b32 exec_lo, exec_lo, s22
	v_mov_b32_e32 v1, 24
	v_lshlrev_b32_e32 v0, 20, v0
	v_lshl_add_u32 v3, v3, 23, 0x3c000000
	v_lshlrev_b32_sdwa v1, v1, v2 dst_sel:DWORD dst_unused:UNUSED_PAD src0_sel:DWORD src1_sel:WORD_1
	v_and_b32_e32 v1, 0x80000000, v1
	v_or3_b32 v27, v0, v1, v3
	buffer_store_dword v27, off, s[0:3], s32 offset:1696 ; 4-byte Folded Spill
	buffer_store_dword v28, off, s[0:3], s32 offset:1700 ; 4-byte Folded Spill
.LBB259_1505:                           ;   in Loop: Header=BB259_11 Depth=1
	s_or_b32 exec_lo, exec_lo, s19
.LBB259_1506:                           ;   in Loop: Header=BB259_11 Depth=1
	s_or_b32 exec_lo, exec_lo, s7
.LBB259_1507:                           ;   in Loop: Header=BB259_11 Depth=1
	s_or_b32 exec_lo, exec_lo, s6
	s_mov_b32 s6, exec_lo
	v_cmpx_lt_u32_e32 0xffffff, v2
	s_cbranch_execz .LBB259_1515
; %bb.1508:                             ;   in Loop: Header=BB259_11 Depth=1
	v_mov_b32_e32 v0, 0x80
	v_mov_b32_e32 v98, v28
	buffer_store_dword v98, off, s[0:3], s32 offset:1688 ; 4-byte Folded Spill
	buffer_store_dword v99, off, s[0:3], s32 offset:1692 ; 4-byte Folded Spill
	v_cmp_ne_u32_sdwa s5, v2, v0 src0_sel:BYTE_3 src1_sel:DWORD
	s_and_saveexec_b32 s7, s5
	s_cbranch_execz .LBB259_1514
; %bb.1509:                             ;   in Loop: Header=BB259_11 Depth=1
	v_bfe_u32 v0, v2, 24, 7
	v_mov_b32_e32 v116, v28
	s_mov_b32 s19, exec_lo
	buffer_store_dword v116, off, s[0:3], s32 offset:1688 ; 4-byte Folded Spill
	buffer_store_dword v117, off, s[0:3], s32 offset:1692 ; 4-byte Folded Spill
	v_cmpx_ne_u32_e32 0x7f, v0
	s_cbranch_execz .LBB259_1513
; %bb.1510:                             ;   in Loop: Header=BB259_11 Depth=1
	v_mov_b32_e32 v1, 7
	v_lshrrev_b32_e32 v3, 3, v0
	v_cmp_gt_u32_e64 s5, 8, v0
	v_and_b32_sdwa v27, v2, v1 dst_sel:DWORD dst_unused:UNUSED_PAD src0_sel:BYTE_3 src1_sel:DWORD
	v_mov_b32_e32 v0, v27
	v_mov_b32_e32 v1, v28
	s_and_saveexec_b32 s22, s5
; %bb.1511:                             ;   in Loop: Header=BB259_11 Depth=1
	v_ffbh_u32_e32 v0, v27
	v_min_u32_e32 v3, 32, v0
	v_subrev_nc_u32_e32 v0, 28, v3
	v_sub_nc_u32_e32 v3, 29, v3
	v_lshlrev_b64 v[0:1], v0, v[27:28]
	v_and_b32_e32 v0, 7, v0
; %bb.1512:                             ;   in Loop: Header=BB259_11 Depth=1
	s_or_b32 exec_lo, exec_lo, s22
	v_mov_b32_e32 v1, 24
	v_lshlrev_b32_e32 v0, 20, v0
	v_lshlrev_b32_sdwa v1, v1, v2 dst_sel:DWORD dst_unused:UNUSED_PAD src0_sel:DWORD src1_sel:BYTE_3
	v_lshl_add_u32 v2, v3, 23, 0x3c000000
	v_and_b32_e32 v1, 0x80000000, v1
	v_or3_b32 v1, v0, v1, v2
	v_mov_b32_e32 v0, v28
	buffer_store_dword v0, off, s[0:3], s32 offset:1688 ; 4-byte Folded Spill
	buffer_store_dword v1, off, s[0:3], s32 offset:1692 ; 4-byte Folded Spill
.LBB259_1513:                           ;   in Loop: Header=BB259_11 Depth=1
	s_or_b32 exec_lo, exec_lo, s19
.LBB259_1514:                           ;   in Loop: Header=BB259_11 Depth=1
	s_or_b32 exec_lo, exec_lo, s7
.LBB259_1515:                           ;   in Loop: Header=BB259_11 Depth=1
	s_or_b32 exec_lo, exec_lo, s6
	flat_load_dword v2, v[66:67] offset:1548
	v_mov_b32_e32 v0, 0
	v_mov_b32_e32 v1, 0
	buffer_store_dword v0, off, s[0:3], s32 offset:1712 ; 4-byte Folded Spill
	buffer_store_dword v1, off, s[0:3], s32 offset:1716 ; 4-byte Folded Spill
	v_mov_b32_e32 v0, 0
	v_mov_b32_e32 v1, 0
	buffer_store_dword v0, off, s[0:3], s32 offset:1704 ; 4-byte Folded Spill
	buffer_store_dword v1, off, s[0:3], s32 offset:1708 ; 4-byte Folded Spill
	s_waitcnt vmcnt(0) lgkmcnt(0)
	v_cmp_ne_u16_sdwa s5, v2, v28 src0_sel:BYTE_0 src1_sel:DWORD
	s_and_saveexec_b32 s6, s5
	s_cbranch_execz .LBB259_1523
; %bb.1516:                             ;   in Loop: Header=BB259_11 Depth=1
	v_bfrev_b32_e32 v0, 1
	v_mov_b32_e32 v1, 0
	buffer_store_dword v0, off, s[0:3], s32 offset:1704 ; 4-byte Folded Spill
	buffer_store_dword v1, off, s[0:3], s32 offset:1708 ; 4-byte Folded Spill
	v_mov_b32_e32 v0, 0x80
	v_cmp_ne_u16_sdwa s5, v2, v0 src0_sel:BYTE_0 src1_sel:DWORD
	s_and_saveexec_b32 s7, s5
	s_cbranch_execz .LBB259_1522
; %bb.1517:                             ;   in Loop: Header=BB259_11 Depth=1
	v_mov_b32_e32 v3, 0x7f800001
	v_and_b32_e32 v0, 0x7f, v2
	v_mov_b32_e32 v4, 0
	s_mov_b32 s19, exec_lo
	buffer_store_dword v3, off, s[0:3], s32 offset:1704 ; 4-byte Folded Spill
	buffer_store_dword v4, off, s[0:3], s32 offset:1708 ; 4-byte Folded Spill
	v_cmpx_ne_u32_e32 0x7f, v0
	s_cbranch_execz .LBB259_1521
; %bb.1518:                             ;   in Loop: Header=BB259_11 Depth=1
	v_and_b32_e32 v27, 7, v2
	v_lshrrev_b32_e32 v3, 3, v0
	v_cmp_gt_u32_e64 s5, 8, v0
	v_mov_b32_e32 v0, v27
	v_mov_b32_e32 v1, v28
	s_and_saveexec_b32 s22, s5
; %bb.1519:                             ;   in Loop: Header=BB259_11 Depth=1
	v_ffbh_u32_e32 v0, v27
	v_min_u32_e32 v3, 32, v0
	v_subrev_nc_u32_e32 v0, 28, v3
	v_sub_nc_u32_e32 v3, 29, v3
	v_lshlrev_b64 v[0:1], v0, v[27:28]
	v_and_b32_e32 v0, 7, v0
; %bb.1520:                             ;   in Loop: Header=BB259_11 Depth=1
	s_or_b32 exec_lo, exec_lo, s22
	v_lshlrev_b32_e32 v1, 24, v2
	v_lshlrev_b32_e32 v0, 20, v0
	v_lshl_add_u32 v3, v3, 23, 0x3c000000
	v_and_b32_e32 v1, 0x80000000, v1
	v_or3_b32 v27, v0, v1, v3
	buffer_store_dword v27, off, s[0:3], s32 offset:1704 ; 4-byte Folded Spill
	buffer_store_dword v28, off, s[0:3], s32 offset:1708 ; 4-byte Folded Spill
.LBB259_1521:                           ;   in Loop: Header=BB259_11 Depth=1
	s_or_b32 exec_lo, exec_lo, s19
.LBB259_1522:                           ;   in Loop: Header=BB259_11 Depth=1
	s_or_b32 exec_lo, exec_lo, s7
.LBB259_1523:                           ;   in Loop: Header=BB259_11 Depth=1
	s_or_b32 exec_lo, exec_lo, s6
	v_cmp_ne_u16_sdwa s5, v2, v28 src0_sel:BYTE_1 src1_sel:DWORD
	s_and_saveexec_b32 s6, s5
	s_cbranch_execz .LBB259_1531
; %bb.1524:                             ;   in Loop: Header=BB259_11 Depth=1
	v_mov_b32_e32 v0, 0x80
	v_mov_b32_e32 v98, v28
	buffer_store_dword v98, off, s[0:3], s32 offset:1712 ; 4-byte Folded Spill
	buffer_store_dword v99, off, s[0:3], s32 offset:1716 ; 4-byte Folded Spill
	v_cmp_ne_u16_sdwa s5, v2, v0 src0_sel:BYTE_1 src1_sel:DWORD
	s_and_saveexec_b32 s7, s5
	s_cbranch_execz .LBB259_1530
; %bb.1525:                             ;   in Loop: Header=BB259_11 Depth=1
	v_mov_b32_e32 v0, 0xffff
	v_mov_b32_e32 v116, v28
	s_mov_b32 s19, exec_lo
	buffer_store_dword v116, off, s[0:3], s32 offset:1712 ; 4-byte Folded Spill
	buffer_store_dword v117, off, s[0:3], s32 offset:1716 ; 4-byte Folded Spill
	v_and_b32_sdwa v1, v0, v2 dst_sel:DWORD dst_unused:UNUSED_PAD src0_sel:DWORD src1_sel:BYTE_1
	v_and_b32_e32 v0, 0x7f, v1
	v_cmpx_ne_u32_e32 0x7f, v0
	s_cbranch_execz .LBB259_1529
; %bb.1526:                             ;   in Loop: Header=BB259_11 Depth=1
	v_and_b32_e32 v27, 7, v1
	v_lshrrev_b32_e32 v3, 3, v0
	v_cmp_gt_u32_e64 s5, 8, v0
	v_mov_b32_e32 v0, v27
	v_mov_b32_e32 v1, v28
	s_and_saveexec_b32 s22, s5
; %bb.1527:                             ;   in Loop: Header=BB259_11 Depth=1
	v_ffbh_u32_e32 v0, v27
	v_min_u32_e32 v3, 32, v0
	v_subrev_nc_u32_e32 v0, 28, v3
	v_sub_nc_u32_e32 v3, 29, v3
	v_lshlrev_b64 v[0:1], v0, v[27:28]
	v_and_b32_e32 v0, 7, v0
; %bb.1528:                             ;   in Loop: Header=BB259_11 Depth=1
	s_or_b32 exec_lo, exec_lo, s22
	v_lshlrev_b32_e32 v1, 16, v2
	v_lshlrev_b32_e32 v0, 20, v0
	v_lshl_add_u32 v3, v3, 23, 0x3c000000
	v_and_b32_e32 v1, 0x80000000, v1
	v_or3_b32 v1, v0, v1, v3
	v_mov_b32_e32 v0, v28
	buffer_store_dword v0, off, s[0:3], s32 offset:1712 ; 4-byte Folded Spill
	buffer_store_dword v1, off, s[0:3], s32 offset:1716 ; 4-byte Folded Spill
.LBB259_1529:                           ;   in Loop: Header=BB259_11 Depth=1
	s_or_b32 exec_lo, exec_lo, s19
.LBB259_1530:                           ;   in Loop: Header=BB259_11 Depth=1
	s_or_b32 exec_lo, exec_lo, s7
.LBB259_1531:                           ;   in Loop: Header=BB259_11 Depth=1
	s_or_b32 exec_lo, exec_lo, s6
	v_mov_b32_e32 v3, 0
	v_mov_b32_e32 v4, 0
	v_and_b32_sdwa v0, v2, v6 dst_sel:DWORD dst_unused:UNUSED_PAD src0_sel:WORD_1 src1_sel:DWORD
	s_mov_b32 s6, exec_lo
	buffer_store_dword v3, off, s[0:3], s32 offset:1720 ; 4-byte Folded Spill
	buffer_store_dword v4, off, s[0:3], s32 offset:1724 ; 4-byte Folded Spill
	v_mov_b32_e32 v3, 0
	v_mov_b32_e32 v4, 0
	buffer_store_dword v3, off, s[0:3], s32 offset:1728 ; 4-byte Folded Spill
	buffer_store_dword v4, off, s[0:3], s32 offset:1732 ; 4-byte Folded Spill
	v_cmpx_ne_u16_e32 0, v0
	s_cbranch_execz .LBB259_1539
; %bb.1532:                             ;   in Loop: Header=BB259_11 Depth=1
	v_cmp_ne_u16_e64 s5, 0x80, v0
	v_bfrev_b32_e32 v0, 1
	v_mov_b32_e32 v1, 0
	buffer_store_dword v0, off, s[0:3], s32 offset:1728 ; 4-byte Folded Spill
	buffer_store_dword v1, off, s[0:3], s32 offset:1732 ; 4-byte Folded Spill
	s_and_saveexec_b32 s7, s5
	s_cbranch_execz .LBB259_1538
; %bb.1533:                             ;   in Loop: Header=BB259_11 Depth=1
	v_mov_b32_e32 v3, 0x7f800001
	v_bfe_u32 v0, v2, 16, 7
	v_mov_b32_e32 v4, 0
	s_mov_b32 s19, exec_lo
	buffer_store_dword v3, off, s[0:3], s32 offset:1728 ; 4-byte Folded Spill
	buffer_store_dword v4, off, s[0:3], s32 offset:1732 ; 4-byte Folded Spill
	v_cmpx_ne_u32_e32 0x7f, v0
	s_cbranch_execz .LBB259_1537
; %bb.1534:                             ;   in Loop: Header=BB259_11 Depth=1
	v_mov_b32_e32 v1, 7
	v_lshrrev_b32_e32 v3, 3, v0
	v_cmp_gt_u32_e64 s5, 8, v0
	v_and_b32_sdwa v27, v2, v1 dst_sel:DWORD dst_unused:UNUSED_PAD src0_sel:WORD_1 src1_sel:DWORD
	v_mov_b32_e32 v0, v27
	v_mov_b32_e32 v1, v28
	s_and_saveexec_b32 s22, s5
; %bb.1535:                             ;   in Loop: Header=BB259_11 Depth=1
	v_ffbh_u32_e32 v0, v27
	v_min_u32_e32 v3, 32, v0
	v_subrev_nc_u32_e32 v0, 28, v3
	v_sub_nc_u32_e32 v3, 29, v3
	v_lshlrev_b64 v[0:1], v0, v[27:28]
	v_and_b32_e32 v0, 7, v0
; %bb.1536:                             ;   in Loop: Header=BB259_11 Depth=1
	s_or_b32 exec_lo, exec_lo, s22
	v_mov_b32_e32 v1, 24
	v_lshlrev_b32_e32 v0, 20, v0
	v_lshl_add_u32 v3, v3, 23, 0x3c000000
	v_lshlrev_b32_sdwa v1, v1, v2 dst_sel:DWORD dst_unused:UNUSED_PAD src0_sel:DWORD src1_sel:WORD_1
	v_and_b32_e32 v1, 0x80000000, v1
	v_or3_b32 v27, v0, v1, v3
	buffer_store_dword v27, off, s[0:3], s32 offset:1728 ; 4-byte Folded Spill
	buffer_store_dword v28, off, s[0:3], s32 offset:1732 ; 4-byte Folded Spill
.LBB259_1537:                           ;   in Loop: Header=BB259_11 Depth=1
	s_or_b32 exec_lo, exec_lo, s19
.LBB259_1538:                           ;   in Loop: Header=BB259_11 Depth=1
	s_or_b32 exec_lo, exec_lo, s7
.LBB259_1539:                           ;   in Loop: Header=BB259_11 Depth=1
	s_or_b32 exec_lo, exec_lo, s6
	s_mov_b32 s6, exec_lo
	v_cmpx_lt_u32_e32 0xffffff, v2
	s_cbranch_execz .LBB259_1547
; %bb.1540:                             ;   in Loop: Header=BB259_11 Depth=1
	v_mov_b32_e32 v0, 0x80
	v_mov_b32_e32 v98, v28
	buffer_store_dword v98, off, s[0:3], s32 offset:1720 ; 4-byte Folded Spill
	buffer_store_dword v99, off, s[0:3], s32 offset:1724 ; 4-byte Folded Spill
	v_cmp_ne_u32_sdwa s5, v2, v0 src0_sel:BYTE_3 src1_sel:DWORD
	s_and_saveexec_b32 s7, s5
	s_cbranch_execz .LBB259_1546
; %bb.1541:                             ;   in Loop: Header=BB259_11 Depth=1
	v_bfe_u32 v0, v2, 24, 7
	v_mov_b32_e32 v116, v28
	s_mov_b32 s19, exec_lo
	buffer_store_dword v116, off, s[0:3], s32 offset:1720 ; 4-byte Folded Spill
	buffer_store_dword v117, off, s[0:3], s32 offset:1724 ; 4-byte Folded Spill
	v_cmpx_ne_u32_e32 0x7f, v0
	s_cbranch_execz .LBB259_1545
; %bb.1542:                             ;   in Loop: Header=BB259_11 Depth=1
	v_mov_b32_e32 v1, 7
	v_lshrrev_b32_e32 v3, 3, v0
	v_cmp_gt_u32_e64 s5, 8, v0
	v_and_b32_sdwa v27, v2, v1 dst_sel:DWORD dst_unused:UNUSED_PAD src0_sel:BYTE_3 src1_sel:DWORD
	v_mov_b32_e32 v0, v27
	v_mov_b32_e32 v1, v28
	s_and_saveexec_b32 s22, s5
; %bb.1543:                             ;   in Loop: Header=BB259_11 Depth=1
	v_ffbh_u32_e32 v0, v27
	v_min_u32_e32 v3, 32, v0
	v_subrev_nc_u32_e32 v0, 28, v3
	v_sub_nc_u32_e32 v3, 29, v3
	v_lshlrev_b64 v[0:1], v0, v[27:28]
	v_and_b32_e32 v0, 7, v0
; %bb.1544:                             ;   in Loop: Header=BB259_11 Depth=1
	s_or_b32 exec_lo, exec_lo, s22
	v_mov_b32_e32 v1, 24
	v_lshlrev_b32_e32 v0, 20, v0
	v_lshlrev_b32_sdwa v1, v1, v2 dst_sel:DWORD dst_unused:UNUSED_PAD src0_sel:DWORD src1_sel:BYTE_3
	v_lshl_add_u32 v2, v3, 23, 0x3c000000
	v_and_b32_e32 v1, 0x80000000, v1
	v_or3_b32 v1, v0, v1, v2
	v_mov_b32_e32 v0, v28
	buffer_store_dword v0, off, s[0:3], s32 offset:1720 ; 4-byte Folded Spill
	buffer_store_dword v1, off, s[0:3], s32 offset:1724 ; 4-byte Folded Spill
.LBB259_1545:                           ;   in Loop: Header=BB259_11 Depth=1
	s_or_b32 exec_lo, exec_lo, s19
.LBB259_1546:                           ;   in Loop: Header=BB259_11 Depth=1
	s_or_b32 exec_lo, exec_lo, s7
.LBB259_1547:                           ;   in Loop: Header=BB259_11 Depth=1
	s_or_b32 exec_lo, exec_lo, s6
	v_add_co_u32 v76, s5, 0x1800, v45
	v_add_co_ci_u32_e64 v77, null, 0, v46, s5
	v_mov_b32_e32 v0, 0
	v_mov_b32_e32 v1, 0
	flat_load_dword v2, v[76:77]
	buffer_store_dword v0, off, s[0:3], s32 offset:1744 ; 4-byte Folded Spill
	buffer_store_dword v1, off, s[0:3], s32 offset:1748 ; 4-byte Folded Spill
	v_mov_b32_e32 v0, 0
	v_mov_b32_e32 v1, 0
	buffer_store_dword v0, off, s[0:3], s32 offset:1736 ; 4-byte Folded Spill
	buffer_store_dword v1, off, s[0:3], s32 offset:1740 ; 4-byte Folded Spill
	s_waitcnt vmcnt(0) lgkmcnt(0)
	v_cmp_ne_u16_sdwa s5, v2, v28 src0_sel:BYTE_0 src1_sel:DWORD
	s_and_saveexec_b32 s6, s5
	s_cbranch_execz .LBB259_1555
; %bb.1548:                             ;   in Loop: Header=BB259_11 Depth=1
	v_bfrev_b32_e32 v0, 1
	v_mov_b32_e32 v1, 0
	buffer_store_dword v0, off, s[0:3], s32 offset:1736 ; 4-byte Folded Spill
	buffer_store_dword v1, off, s[0:3], s32 offset:1740 ; 4-byte Folded Spill
	v_mov_b32_e32 v0, 0x80
	v_cmp_ne_u16_sdwa s5, v2, v0 src0_sel:BYTE_0 src1_sel:DWORD
	s_and_saveexec_b32 s7, s5
	s_cbranch_execz .LBB259_1554
; %bb.1549:                             ;   in Loop: Header=BB259_11 Depth=1
	v_mov_b32_e32 v3, 0x7f800001
	v_and_b32_e32 v0, 0x7f, v2
	v_mov_b32_e32 v4, 0
	s_mov_b32 s19, exec_lo
	buffer_store_dword v3, off, s[0:3], s32 offset:1736 ; 4-byte Folded Spill
	buffer_store_dword v4, off, s[0:3], s32 offset:1740 ; 4-byte Folded Spill
	v_cmpx_ne_u32_e32 0x7f, v0
	s_cbranch_execz .LBB259_1553
; %bb.1550:                             ;   in Loop: Header=BB259_11 Depth=1
	v_and_b32_e32 v27, 7, v2
	v_lshrrev_b32_e32 v3, 3, v0
	v_cmp_gt_u32_e64 s5, 8, v0
	v_mov_b32_e32 v0, v27
	v_mov_b32_e32 v1, v28
	s_and_saveexec_b32 s22, s5
; %bb.1551:                             ;   in Loop: Header=BB259_11 Depth=1
	v_ffbh_u32_e32 v0, v27
	v_min_u32_e32 v3, 32, v0
	v_subrev_nc_u32_e32 v0, 28, v3
	v_sub_nc_u32_e32 v3, 29, v3
	v_lshlrev_b64 v[0:1], v0, v[27:28]
	v_and_b32_e32 v0, 7, v0
; %bb.1552:                             ;   in Loop: Header=BB259_11 Depth=1
	s_or_b32 exec_lo, exec_lo, s22
	v_lshlrev_b32_e32 v1, 24, v2
	v_lshlrev_b32_e32 v0, 20, v0
	v_lshl_add_u32 v3, v3, 23, 0x3c000000
	v_and_b32_e32 v1, 0x80000000, v1
	v_or3_b32 v27, v0, v1, v3
	buffer_store_dword v27, off, s[0:3], s32 offset:1736 ; 4-byte Folded Spill
	buffer_store_dword v28, off, s[0:3], s32 offset:1740 ; 4-byte Folded Spill
.LBB259_1553:                           ;   in Loop: Header=BB259_11 Depth=1
	s_or_b32 exec_lo, exec_lo, s19
.LBB259_1554:                           ;   in Loop: Header=BB259_11 Depth=1
	s_or_b32 exec_lo, exec_lo, s7
.LBB259_1555:                           ;   in Loop: Header=BB259_11 Depth=1
	s_or_b32 exec_lo, exec_lo, s6
	v_cmp_ne_u16_sdwa s5, v2, v28 src0_sel:BYTE_1 src1_sel:DWORD
	s_and_saveexec_b32 s6, s5
	s_cbranch_execz .LBB259_1563
; %bb.1556:                             ;   in Loop: Header=BB259_11 Depth=1
	v_mov_b32_e32 v0, 0x80
	v_mov_b32_e32 v98, v28
	buffer_store_dword v98, off, s[0:3], s32 offset:1744 ; 4-byte Folded Spill
	buffer_store_dword v99, off, s[0:3], s32 offset:1748 ; 4-byte Folded Spill
	v_cmp_ne_u16_sdwa s5, v2, v0 src0_sel:BYTE_1 src1_sel:DWORD
	s_and_saveexec_b32 s7, s5
	s_cbranch_execz .LBB259_1562
; %bb.1557:                             ;   in Loop: Header=BB259_11 Depth=1
	v_mov_b32_e32 v0, 0xffff
	v_mov_b32_e32 v116, v28
	s_mov_b32 s19, exec_lo
	buffer_store_dword v116, off, s[0:3], s32 offset:1744 ; 4-byte Folded Spill
	buffer_store_dword v117, off, s[0:3], s32 offset:1748 ; 4-byte Folded Spill
	v_and_b32_sdwa v1, v0, v2 dst_sel:DWORD dst_unused:UNUSED_PAD src0_sel:DWORD src1_sel:BYTE_1
	v_and_b32_e32 v0, 0x7f, v1
	v_cmpx_ne_u32_e32 0x7f, v0
	s_cbranch_execz .LBB259_1561
; %bb.1558:                             ;   in Loop: Header=BB259_11 Depth=1
	v_and_b32_e32 v27, 7, v1
	v_lshrrev_b32_e32 v3, 3, v0
	v_cmp_gt_u32_e64 s5, 8, v0
	v_mov_b32_e32 v0, v27
	v_mov_b32_e32 v1, v28
	s_and_saveexec_b32 s22, s5
; %bb.1559:                             ;   in Loop: Header=BB259_11 Depth=1
	v_ffbh_u32_e32 v0, v27
	v_min_u32_e32 v3, 32, v0
	v_subrev_nc_u32_e32 v0, 28, v3
	v_sub_nc_u32_e32 v3, 29, v3
	v_lshlrev_b64 v[0:1], v0, v[27:28]
	v_and_b32_e32 v0, 7, v0
; %bb.1560:                             ;   in Loop: Header=BB259_11 Depth=1
	s_or_b32 exec_lo, exec_lo, s22
	v_lshlrev_b32_e32 v1, 16, v2
	v_lshlrev_b32_e32 v0, 20, v0
	v_lshl_add_u32 v3, v3, 23, 0x3c000000
	v_and_b32_e32 v1, 0x80000000, v1
	v_or3_b32 v1, v0, v1, v3
	v_mov_b32_e32 v0, v28
	buffer_store_dword v0, off, s[0:3], s32 offset:1744 ; 4-byte Folded Spill
	buffer_store_dword v1, off, s[0:3], s32 offset:1748 ; 4-byte Folded Spill
.LBB259_1561:                           ;   in Loop: Header=BB259_11 Depth=1
	s_or_b32 exec_lo, exec_lo, s19
.LBB259_1562:                           ;   in Loop: Header=BB259_11 Depth=1
	s_or_b32 exec_lo, exec_lo, s7
.LBB259_1563:                           ;   in Loop: Header=BB259_11 Depth=1
	s_or_b32 exec_lo, exec_lo, s6
	v_mov_b32_e32 v3, 0
	v_mov_b32_e32 v4, 0
	v_and_b32_sdwa v0, v2, v6 dst_sel:DWORD dst_unused:UNUSED_PAD src0_sel:WORD_1 src1_sel:DWORD
	s_mov_b32 s6, exec_lo
	buffer_store_dword v3, off, s[0:3], s32 offset:1752 ; 4-byte Folded Spill
	buffer_store_dword v4, off, s[0:3], s32 offset:1756 ; 4-byte Folded Spill
	v_mov_b32_e32 v3, 0
	v_mov_b32_e32 v4, 0
	buffer_store_dword v3, off, s[0:3], s32 offset:1760 ; 4-byte Folded Spill
	buffer_store_dword v4, off, s[0:3], s32 offset:1764 ; 4-byte Folded Spill
	v_cmpx_ne_u16_e32 0, v0
	s_cbranch_execz .LBB259_1571
; %bb.1564:                             ;   in Loop: Header=BB259_11 Depth=1
	v_cmp_ne_u16_e64 s5, 0x80, v0
	v_bfrev_b32_e32 v0, 1
	v_mov_b32_e32 v1, 0
	buffer_store_dword v0, off, s[0:3], s32 offset:1760 ; 4-byte Folded Spill
	buffer_store_dword v1, off, s[0:3], s32 offset:1764 ; 4-byte Folded Spill
	s_and_saveexec_b32 s7, s5
	s_cbranch_execz .LBB259_1570
; %bb.1565:                             ;   in Loop: Header=BB259_11 Depth=1
	v_mov_b32_e32 v3, 0x7f800001
	v_bfe_u32 v0, v2, 16, 7
	v_mov_b32_e32 v4, 0
	s_mov_b32 s19, exec_lo
	buffer_store_dword v3, off, s[0:3], s32 offset:1760 ; 4-byte Folded Spill
	buffer_store_dword v4, off, s[0:3], s32 offset:1764 ; 4-byte Folded Spill
	v_cmpx_ne_u32_e32 0x7f, v0
	s_cbranch_execz .LBB259_1569
; %bb.1566:                             ;   in Loop: Header=BB259_11 Depth=1
	v_mov_b32_e32 v1, 7
	v_lshrrev_b32_e32 v3, 3, v0
	v_cmp_gt_u32_e64 s5, 8, v0
	v_and_b32_sdwa v27, v2, v1 dst_sel:DWORD dst_unused:UNUSED_PAD src0_sel:WORD_1 src1_sel:DWORD
	v_mov_b32_e32 v0, v27
	v_mov_b32_e32 v1, v28
	s_and_saveexec_b32 s22, s5
; %bb.1567:                             ;   in Loop: Header=BB259_11 Depth=1
	v_ffbh_u32_e32 v0, v27
	v_min_u32_e32 v3, 32, v0
	v_subrev_nc_u32_e32 v0, 28, v3
	v_sub_nc_u32_e32 v3, 29, v3
	v_lshlrev_b64 v[0:1], v0, v[27:28]
	v_and_b32_e32 v0, 7, v0
; %bb.1568:                             ;   in Loop: Header=BB259_11 Depth=1
	s_or_b32 exec_lo, exec_lo, s22
	v_mov_b32_e32 v1, 24
	v_lshlrev_b32_e32 v0, 20, v0
	v_lshl_add_u32 v3, v3, 23, 0x3c000000
	v_lshlrev_b32_sdwa v1, v1, v2 dst_sel:DWORD dst_unused:UNUSED_PAD src0_sel:DWORD src1_sel:WORD_1
	v_and_b32_e32 v1, 0x80000000, v1
	v_or3_b32 v27, v0, v1, v3
	buffer_store_dword v27, off, s[0:3], s32 offset:1760 ; 4-byte Folded Spill
	buffer_store_dword v28, off, s[0:3], s32 offset:1764 ; 4-byte Folded Spill
.LBB259_1569:                           ;   in Loop: Header=BB259_11 Depth=1
	s_or_b32 exec_lo, exec_lo, s19
.LBB259_1570:                           ;   in Loop: Header=BB259_11 Depth=1
	s_or_b32 exec_lo, exec_lo, s7
.LBB259_1571:                           ;   in Loop: Header=BB259_11 Depth=1
	s_or_b32 exec_lo, exec_lo, s6
	s_mov_b32 s6, exec_lo
	v_cmpx_lt_u32_e32 0xffffff, v2
	s_cbranch_execz .LBB259_1579
; %bb.1572:                             ;   in Loop: Header=BB259_11 Depth=1
	v_mov_b32_e32 v0, 0x80
	v_mov_b32_e32 v98, v28
	buffer_store_dword v98, off, s[0:3], s32 offset:1752 ; 4-byte Folded Spill
	buffer_store_dword v99, off, s[0:3], s32 offset:1756 ; 4-byte Folded Spill
	v_cmp_ne_u32_sdwa s5, v2, v0 src0_sel:BYTE_3 src1_sel:DWORD
	s_and_saveexec_b32 s7, s5
	s_cbranch_execz .LBB259_1578
; %bb.1573:                             ;   in Loop: Header=BB259_11 Depth=1
	v_bfe_u32 v0, v2, 24, 7
	v_mov_b32_e32 v116, v28
	s_mov_b32 s19, exec_lo
	buffer_store_dword v116, off, s[0:3], s32 offset:1752 ; 4-byte Folded Spill
	buffer_store_dword v117, off, s[0:3], s32 offset:1756 ; 4-byte Folded Spill
	v_cmpx_ne_u32_e32 0x7f, v0
	s_cbranch_execz .LBB259_1577
; %bb.1574:                             ;   in Loop: Header=BB259_11 Depth=1
	v_mov_b32_e32 v1, 7
	v_lshrrev_b32_e32 v3, 3, v0
	v_cmp_gt_u32_e64 s5, 8, v0
	v_and_b32_sdwa v27, v2, v1 dst_sel:DWORD dst_unused:UNUSED_PAD src0_sel:BYTE_3 src1_sel:DWORD
	v_mov_b32_e32 v0, v27
	v_mov_b32_e32 v1, v28
	s_and_saveexec_b32 s22, s5
; %bb.1575:                             ;   in Loop: Header=BB259_11 Depth=1
	v_ffbh_u32_e32 v0, v27
	v_min_u32_e32 v3, 32, v0
	v_subrev_nc_u32_e32 v0, 28, v3
	v_sub_nc_u32_e32 v3, 29, v3
	v_lshlrev_b64 v[0:1], v0, v[27:28]
	v_and_b32_e32 v0, 7, v0
; %bb.1576:                             ;   in Loop: Header=BB259_11 Depth=1
	s_or_b32 exec_lo, exec_lo, s22
	v_mov_b32_e32 v1, 24
	v_lshlrev_b32_e32 v0, 20, v0
	v_lshlrev_b32_sdwa v1, v1, v2 dst_sel:DWORD dst_unused:UNUSED_PAD src0_sel:DWORD src1_sel:BYTE_3
	v_lshl_add_u32 v2, v3, 23, 0x3c000000
	v_and_b32_e32 v1, 0x80000000, v1
	v_or3_b32 v1, v0, v1, v2
	v_mov_b32_e32 v0, v28
	buffer_store_dword v0, off, s[0:3], s32 offset:1752 ; 4-byte Folded Spill
	buffer_store_dword v1, off, s[0:3], s32 offset:1756 ; 4-byte Folded Spill
.LBB259_1577:                           ;   in Loop: Header=BB259_11 Depth=1
	s_or_b32 exec_lo, exec_lo, s19
.LBB259_1578:                           ;   in Loop: Header=BB259_11 Depth=1
	s_or_b32 exec_lo, exec_lo, s7
.LBB259_1579:                           ;   in Loop: Header=BB259_11 Depth=1
	s_or_b32 exec_lo, exec_lo, s6
	flat_load_dword v2, v[76:77] offset:4
	v_mov_b32_e32 v0, 0
	v_mov_b32_e32 v1, 0
	buffer_store_dword v0, off, s[0:3], s32 offset:1776 ; 4-byte Folded Spill
	buffer_store_dword v1, off, s[0:3], s32 offset:1780 ; 4-byte Folded Spill
	v_mov_b32_e32 v0, 0
	v_mov_b32_e32 v1, 0
	buffer_store_dword v0, off, s[0:3], s32 offset:1768 ; 4-byte Folded Spill
	buffer_store_dword v1, off, s[0:3], s32 offset:1772 ; 4-byte Folded Spill
	s_waitcnt vmcnt(0) lgkmcnt(0)
	v_cmp_ne_u16_sdwa s5, v2, v28 src0_sel:BYTE_0 src1_sel:DWORD
	s_and_saveexec_b32 s6, s5
	s_cbranch_execz .LBB259_1587
; %bb.1580:                             ;   in Loop: Header=BB259_11 Depth=1
	v_bfrev_b32_e32 v0, 1
	v_mov_b32_e32 v1, 0
	buffer_store_dword v0, off, s[0:3], s32 offset:1768 ; 4-byte Folded Spill
	buffer_store_dword v1, off, s[0:3], s32 offset:1772 ; 4-byte Folded Spill
	v_mov_b32_e32 v0, 0x80
	v_cmp_ne_u16_sdwa s5, v2, v0 src0_sel:BYTE_0 src1_sel:DWORD
	s_and_saveexec_b32 s7, s5
	s_cbranch_execz .LBB259_1586
; %bb.1581:                             ;   in Loop: Header=BB259_11 Depth=1
	v_mov_b32_e32 v3, 0x7f800001
	v_and_b32_e32 v0, 0x7f, v2
	v_mov_b32_e32 v4, 0
	s_mov_b32 s19, exec_lo
	buffer_store_dword v3, off, s[0:3], s32 offset:1768 ; 4-byte Folded Spill
	buffer_store_dword v4, off, s[0:3], s32 offset:1772 ; 4-byte Folded Spill
	v_cmpx_ne_u32_e32 0x7f, v0
	s_cbranch_execz .LBB259_1585
; %bb.1582:                             ;   in Loop: Header=BB259_11 Depth=1
	v_and_b32_e32 v27, 7, v2
	v_lshrrev_b32_e32 v3, 3, v0
	v_cmp_gt_u32_e64 s5, 8, v0
	v_mov_b32_e32 v0, v27
	v_mov_b32_e32 v1, v28
	s_and_saveexec_b32 s22, s5
; %bb.1583:                             ;   in Loop: Header=BB259_11 Depth=1
	v_ffbh_u32_e32 v0, v27
	v_min_u32_e32 v3, 32, v0
	v_subrev_nc_u32_e32 v0, 28, v3
	v_sub_nc_u32_e32 v3, 29, v3
	v_lshlrev_b64 v[0:1], v0, v[27:28]
	v_and_b32_e32 v0, 7, v0
; %bb.1584:                             ;   in Loop: Header=BB259_11 Depth=1
	s_or_b32 exec_lo, exec_lo, s22
	v_lshlrev_b32_e32 v1, 24, v2
	v_lshlrev_b32_e32 v0, 20, v0
	v_lshl_add_u32 v3, v3, 23, 0x3c000000
	v_and_b32_e32 v1, 0x80000000, v1
	v_or3_b32 v27, v0, v1, v3
	buffer_store_dword v27, off, s[0:3], s32 offset:1768 ; 4-byte Folded Spill
	buffer_store_dword v28, off, s[0:3], s32 offset:1772 ; 4-byte Folded Spill
.LBB259_1585:                           ;   in Loop: Header=BB259_11 Depth=1
	s_or_b32 exec_lo, exec_lo, s19
.LBB259_1586:                           ;   in Loop: Header=BB259_11 Depth=1
	s_or_b32 exec_lo, exec_lo, s7
.LBB259_1587:                           ;   in Loop: Header=BB259_11 Depth=1
	s_or_b32 exec_lo, exec_lo, s6
	v_cmp_ne_u16_sdwa s5, v2, v28 src0_sel:BYTE_1 src1_sel:DWORD
	s_and_saveexec_b32 s6, s5
	s_cbranch_execz .LBB259_1595
; %bb.1588:                             ;   in Loop: Header=BB259_11 Depth=1
	v_mov_b32_e32 v0, 0x80
	v_mov_b32_e32 v98, v28
	buffer_store_dword v98, off, s[0:3], s32 offset:1776 ; 4-byte Folded Spill
	buffer_store_dword v99, off, s[0:3], s32 offset:1780 ; 4-byte Folded Spill
	v_cmp_ne_u16_sdwa s5, v2, v0 src0_sel:BYTE_1 src1_sel:DWORD
	s_and_saveexec_b32 s7, s5
	s_cbranch_execz .LBB259_1594
; %bb.1589:                             ;   in Loop: Header=BB259_11 Depth=1
	v_mov_b32_e32 v0, 0xffff
	v_mov_b32_e32 v116, v28
	s_mov_b32 s19, exec_lo
	buffer_store_dword v116, off, s[0:3], s32 offset:1776 ; 4-byte Folded Spill
	buffer_store_dword v117, off, s[0:3], s32 offset:1780 ; 4-byte Folded Spill
	v_and_b32_sdwa v1, v0, v2 dst_sel:DWORD dst_unused:UNUSED_PAD src0_sel:DWORD src1_sel:BYTE_1
	v_and_b32_e32 v0, 0x7f, v1
	v_cmpx_ne_u32_e32 0x7f, v0
	s_cbranch_execz .LBB259_1593
; %bb.1590:                             ;   in Loop: Header=BB259_11 Depth=1
	v_and_b32_e32 v27, 7, v1
	v_lshrrev_b32_e32 v3, 3, v0
	v_cmp_gt_u32_e64 s5, 8, v0
	v_mov_b32_e32 v0, v27
	v_mov_b32_e32 v1, v28
	s_and_saveexec_b32 s22, s5
; %bb.1591:                             ;   in Loop: Header=BB259_11 Depth=1
	v_ffbh_u32_e32 v0, v27
	v_min_u32_e32 v3, 32, v0
	v_subrev_nc_u32_e32 v0, 28, v3
	v_sub_nc_u32_e32 v3, 29, v3
	v_lshlrev_b64 v[0:1], v0, v[27:28]
	v_and_b32_e32 v0, 7, v0
; %bb.1592:                             ;   in Loop: Header=BB259_11 Depth=1
	s_or_b32 exec_lo, exec_lo, s22
	v_lshlrev_b32_e32 v1, 16, v2
	v_lshlrev_b32_e32 v0, 20, v0
	v_lshl_add_u32 v3, v3, 23, 0x3c000000
	v_and_b32_e32 v1, 0x80000000, v1
	v_or3_b32 v1, v0, v1, v3
	v_mov_b32_e32 v0, v28
	buffer_store_dword v0, off, s[0:3], s32 offset:1776 ; 4-byte Folded Spill
	buffer_store_dword v1, off, s[0:3], s32 offset:1780 ; 4-byte Folded Spill
.LBB259_1593:                           ;   in Loop: Header=BB259_11 Depth=1
	s_or_b32 exec_lo, exec_lo, s19
.LBB259_1594:                           ;   in Loop: Header=BB259_11 Depth=1
	s_or_b32 exec_lo, exec_lo, s7
.LBB259_1595:                           ;   in Loop: Header=BB259_11 Depth=1
	s_or_b32 exec_lo, exec_lo, s6
	v_mov_b32_e32 v3, 0
	v_mov_b32_e32 v4, 0
	v_and_b32_sdwa v0, v2, v6 dst_sel:DWORD dst_unused:UNUSED_PAD src0_sel:WORD_1 src1_sel:DWORD
	s_mov_b32 s6, exec_lo
	buffer_store_dword v3, off, s[0:3], s32 offset:1784 ; 4-byte Folded Spill
	buffer_store_dword v4, off, s[0:3], s32 offset:1788 ; 4-byte Folded Spill
	v_mov_b32_e32 v3, 0
	v_mov_b32_e32 v4, 0
	buffer_store_dword v3, off, s[0:3], s32 offset:1792 ; 4-byte Folded Spill
	buffer_store_dword v4, off, s[0:3], s32 offset:1796 ; 4-byte Folded Spill
	v_cmpx_ne_u16_e32 0, v0
	s_cbranch_execz .LBB259_1603
; %bb.1596:                             ;   in Loop: Header=BB259_11 Depth=1
	v_cmp_ne_u16_e64 s5, 0x80, v0
	v_bfrev_b32_e32 v0, 1
	v_mov_b32_e32 v1, 0
	buffer_store_dword v0, off, s[0:3], s32 offset:1792 ; 4-byte Folded Spill
	buffer_store_dword v1, off, s[0:3], s32 offset:1796 ; 4-byte Folded Spill
	s_and_saveexec_b32 s7, s5
	s_cbranch_execz .LBB259_1602
; %bb.1597:                             ;   in Loop: Header=BB259_11 Depth=1
	v_mov_b32_e32 v3, 0x7f800001
	v_bfe_u32 v0, v2, 16, 7
	v_mov_b32_e32 v4, 0
	s_mov_b32 s19, exec_lo
	buffer_store_dword v3, off, s[0:3], s32 offset:1792 ; 4-byte Folded Spill
	buffer_store_dword v4, off, s[0:3], s32 offset:1796 ; 4-byte Folded Spill
	v_cmpx_ne_u32_e32 0x7f, v0
	s_cbranch_execz .LBB259_1601
; %bb.1598:                             ;   in Loop: Header=BB259_11 Depth=1
	v_mov_b32_e32 v1, 7
	v_lshrrev_b32_e32 v3, 3, v0
	v_cmp_gt_u32_e64 s5, 8, v0
	v_and_b32_sdwa v27, v2, v1 dst_sel:DWORD dst_unused:UNUSED_PAD src0_sel:WORD_1 src1_sel:DWORD
	v_mov_b32_e32 v0, v27
	v_mov_b32_e32 v1, v28
	s_and_saveexec_b32 s22, s5
; %bb.1599:                             ;   in Loop: Header=BB259_11 Depth=1
	v_ffbh_u32_e32 v0, v27
	v_min_u32_e32 v3, 32, v0
	v_subrev_nc_u32_e32 v0, 28, v3
	v_sub_nc_u32_e32 v3, 29, v3
	v_lshlrev_b64 v[0:1], v0, v[27:28]
	v_and_b32_e32 v0, 7, v0
; %bb.1600:                             ;   in Loop: Header=BB259_11 Depth=1
	s_or_b32 exec_lo, exec_lo, s22
	v_mov_b32_e32 v1, 24
	v_lshlrev_b32_e32 v0, 20, v0
	v_lshl_add_u32 v3, v3, 23, 0x3c000000
	v_lshlrev_b32_sdwa v1, v1, v2 dst_sel:DWORD dst_unused:UNUSED_PAD src0_sel:DWORD src1_sel:WORD_1
	v_and_b32_e32 v1, 0x80000000, v1
	v_or3_b32 v27, v0, v1, v3
	buffer_store_dword v27, off, s[0:3], s32 offset:1792 ; 4-byte Folded Spill
	buffer_store_dword v28, off, s[0:3], s32 offset:1796 ; 4-byte Folded Spill
.LBB259_1601:                           ;   in Loop: Header=BB259_11 Depth=1
	s_or_b32 exec_lo, exec_lo, s19
.LBB259_1602:                           ;   in Loop: Header=BB259_11 Depth=1
	s_or_b32 exec_lo, exec_lo, s7
.LBB259_1603:                           ;   in Loop: Header=BB259_11 Depth=1
	s_or_b32 exec_lo, exec_lo, s6
	s_mov_b32 s6, exec_lo
	v_cmpx_lt_u32_e32 0xffffff, v2
	s_cbranch_execz .LBB259_1611
; %bb.1604:                             ;   in Loop: Header=BB259_11 Depth=1
	v_mov_b32_e32 v0, 0x80
	v_mov_b32_e32 v98, v28
	buffer_store_dword v98, off, s[0:3], s32 offset:1784 ; 4-byte Folded Spill
	buffer_store_dword v99, off, s[0:3], s32 offset:1788 ; 4-byte Folded Spill
	v_cmp_ne_u32_sdwa s5, v2, v0 src0_sel:BYTE_3 src1_sel:DWORD
	s_and_saveexec_b32 s7, s5
	s_cbranch_execz .LBB259_1610
; %bb.1605:                             ;   in Loop: Header=BB259_11 Depth=1
	v_bfe_u32 v0, v2, 24, 7
	v_mov_b32_e32 v116, v28
	s_mov_b32 s19, exec_lo
	buffer_store_dword v116, off, s[0:3], s32 offset:1784 ; 4-byte Folded Spill
	buffer_store_dword v117, off, s[0:3], s32 offset:1788 ; 4-byte Folded Spill
	v_cmpx_ne_u32_e32 0x7f, v0
	s_cbranch_execz .LBB259_1609
; %bb.1606:                             ;   in Loop: Header=BB259_11 Depth=1
	v_mov_b32_e32 v1, 7
	v_lshrrev_b32_e32 v3, 3, v0
	v_cmp_gt_u32_e64 s5, 8, v0
	v_and_b32_sdwa v27, v2, v1 dst_sel:DWORD dst_unused:UNUSED_PAD src0_sel:BYTE_3 src1_sel:DWORD
	v_mov_b32_e32 v0, v27
	v_mov_b32_e32 v1, v28
	s_and_saveexec_b32 s22, s5
; %bb.1607:                             ;   in Loop: Header=BB259_11 Depth=1
	v_ffbh_u32_e32 v0, v27
	v_min_u32_e32 v3, 32, v0
	v_subrev_nc_u32_e32 v0, 28, v3
	v_sub_nc_u32_e32 v3, 29, v3
	v_lshlrev_b64 v[0:1], v0, v[27:28]
	v_and_b32_e32 v0, 7, v0
; %bb.1608:                             ;   in Loop: Header=BB259_11 Depth=1
	s_or_b32 exec_lo, exec_lo, s22
	v_mov_b32_e32 v1, 24
	v_lshlrev_b32_e32 v0, 20, v0
	v_lshlrev_b32_sdwa v1, v1, v2 dst_sel:DWORD dst_unused:UNUSED_PAD src0_sel:DWORD src1_sel:BYTE_3
	v_lshl_add_u32 v2, v3, 23, 0x3c000000
	v_and_b32_e32 v1, 0x80000000, v1
	v_or3_b32 v1, v0, v1, v2
	v_mov_b32_e32 v0, v28
	buffer_store_dword v0, off, s[0:3], s32 offset:1784 ; 4-byte Folded Spill
	buffer_store_dword v1, off, s[0:3], s32 offset:1788 ; 4-byte Folded Spill
.LBB259_1609:                           ;   in Loop: Header=BB259_11 Depth=1
	s_or_b32 exec_lo, exec_lo, s19
.LBB259_1610:                           ;   in Loop: Header=BB259_11 Depth=1
	s_or_b32 exec_lo, exec_lo, s7
.LBB259_1611:                           ;   in Loop: Header=BB259_11 Depth=1
	s_or_b32 exec_lo, exec_lo, s6
	flat_load_dword v2, v[76:77] offset:8
	v_mov_b32_e32 v42, 0
	v_mov_b32_e32 v0, 0
	;; [unrolled: 1-line block ×4, first 2 shown]
	buffer_store_dword v0, off, s[0:3], s32 offset:1800 ; 4-byte Folded Spill
	buffer_store_dword v1, off, s[0:3], s32 offset:1804 ; 4-byte Folded Spill
	s_waitcnt vmcnt(0) lgkmcnt(0)
	v_cmp_ne_u16_sdwa s5, v2, v28 src0_sel:BYTE_0 src1_sel:DWORD
	s_and_saveexec_b32 s6, s5
	s_cbranch_execz .LBB259_1619
; %bb.1612:                             ;   in Loop: Header=BB259_11 Depth=1
	v_bfrev_b32_e32 v0, 1
	v_mov_b32_e32 v1, 0
	buffer_store_dword v0, off, s[0:3], s32 offset:1800 ; 4-byte Folded Spill
	buffer_store_dword v1, off, s[0:3], s32 offset:1804 ; 4-byte Folded Spill
	v_mov_b32_e32 v0, 0x80
	v_cmp_ne_u16_sdwa s5, v2, v0 src0_sel:BYTE_0 src1_sel:DWORD
	s_and_saveexec_b32 s7, s5
	s_cbranch_execz .LBB259_1618
; %bb.1613:                             ;   in Loop: Header=BB259_11 Depth=1
	v_mov_b32_e32 v3, 0x7f800001
	v_and_b32_e32 v0, 0x7f, v2
	v_mov_b32_e32 v4, 0
	s_mov_b32 s19, exec_lo
	buffer_store_dword v3, off, s[0:3], s32 offset:1800 ; 4-byte Folded Spill
	buffer_store_dword v4, off, s[0:3], s32 offset:1804 ; 4-byte Folded Spill
	v_cmpx_ne_u32_e32 0x7f, v0
	s_cbranch_execz .LBB259_1617
; %bb.1614:                             ;   in Loop: Header=BB259_11 Depth=1
	v_and_b32_e32 v27, 7, v2
	v_lshrrev_b32_e32 v3, 3, v0
	v_cmp_gt_u32_e64 s5, 8, v0
	v_mov_b32_e32 v0, v27
	v_mov_b32_e32 v1, v28
	s_and_saveexec_b32 s22, s5
; %bb.1615:                             ;   in Loop: Header=BB259_11 Depth=1
	v_ffbh_u32_e32 v0, v27
	v_min_u32_e32 v3, 32, v0
	v_subrev_nc_u32_e32 v0, 28, v3
	v_sub_nc_u32_e32 v3, 29, v3
	v_lshlrev_b64 v[0:1], v0, v[27:28]
	v_and_b32_e32 v0, 7, v0
; %bb.1616:                             ;   in Loop: Header=BB259_11 Depth=1
	s_or_b32 exec_lo, exec_lo, s22
	v_lshlrev_b32_e32 v1, 24, v2
	v_lshlrev_b32_e32 v0, 20, v0
	v_lshl_add_u32 v3, v3, 23, 0x3c000000
	v_and_b32_e32 v1, 0x80000000, v1
	v_or3_b32 v27, v0, v1, v3
	buffer_store_dword v27, off, s[0:3], s32 offset:1800 ; 4-byte Folded Spill
	buffer_store_dword v28, off, s[0:3], s32 offset:1804 ; 4-byte Folded Spill
.LBB259_1617:                           ;   in Loop: Header=BB259_11 Depth=1
	s_or_b32 exec_lo, exec_lo, s19
.LBB259_1618:                           ;   in Loop: Header=BB259_11 Depth=1
	s_or_b32 exec_lo, exec_lo, s7
.LBB259_1619:                           ;   in Loop: Header=BB259_11 Depth=1
	s_or_b32 exec_lo, exec_lo, s6
	v_cmp_ne_u16_sdwa s5, v2, v28 src0_sel:BYTE_1 src1_sel:DWORD
	s_and_saveexec_b32 s6, s5
	s_cbranch_execz .LBB259_1627
; %bb.1620:                             ;   in Loop: Header=BB259_11 Depth=1
	v_mov_b32_e32 v98, v28
	v_mov_b32_e32 v0, 0x80
	v_mov_b32_e32 v42, v98
	v_cmp_ne_u16_sdwa s5, v2, v0 src0_sel:BYTE_1 src1_sel:DWORD
	v_mov_b32_e32 v43, v99
	s_and_saveexec_b32 s7, s5
	s_cbranch_execz .LBB259_1626
; %bb.1621:                             ;   in Loop: Header=BB259_11 Depth=1
	v_mov_b32_e32 v0, 0xffff
	v_mov_b32_e32 v116, v28
	s_mov_b32 s19, exec_lo
	v_and_b32_sdwa v1, v0, v2 dst_sel:DWORD dst_unused:UNUSED_PAD src0_sel:DWORD src1_sel:BYTE_1
	v_mov_b32_e32 v42, v116
	v_mov_b32_e32 v43, v117
	v_and_b32_e32 v0, 0x7f, v1
	v_cmpx_ne_u32_e32 0x7f, v0
	s_cbranch_execz .LBB259_1625
; %bb.1622:                             ;   in Loop: Header=BB259_11 Depth=1
	v_and_b32_e32 v27, 7, v1
	v_lshrrev_b32_e32 v3, 3, v0
	v_cmp_gt_u32_e64 s5, 8, v0
	v_mov_b32_e32 v0, v27
	v_mov_b32_e32 v1, v28
	s_and_saveexec_b32 s22, s5
; %bb.1623:                             ;   in Loop: Header=BB259_11 Depth=1
	v_ffbh_u32_e32 v0, v27
	v_min_u32_e32 v3, 32, v0
	v_subrev_nc_u32_e32 v0, 28, v3
	v_sub_nc_u32_e32 v3, 29, v3
	v_lshlrev_b64 v[0:1], v0, v[27:28]
	v_and_b32_e32 v0, 7, v0
; %bb.1624:                             ;   in Loop: Header=BB259_11 Depth=1
	s_or_b32 exec_lo, exec_lo, s22
	v_lshlrev_b32_e32 v1, 16, v2
	v_lshlrev_b32_e32 v0, 20, v0
	v_lshl_add_u32 v3, v3, 23, 0x3c000000
	v_mov_b32_e32 v42, v28
	v_and_b32_e32 v1, 0x80000000, v1
	v_or3_b32 v43, v0, v1, v3
.LBB259_1625:                           ;   in Loop: Header=BB259_11 Depth=1
	s_or_b32 exec_lo, exec_lo, s19
.LBB259_1626:                           ;   in Loop: Header=BB259_11 Depth=1
	s_or_b32 exec_lo, exec_lo, s7
.LBB259_1627:                           ;   in Loop: Header=BB259_11 Depth=1
	s_or_b32 exec_lo, exec_lo, s6
	v_mov_b32_e32 v96, 0
	v_mov_b32_e32 v24, 0
	v_and_b32_sdwa v0, v2, v6 dst_sel:DWORD dst_unused:UNUSED_PAD src0_sel:WORD_1 src1_sel:DWORD
	v_mov_b32_e32 v97, 0
	v_mov_b32_e32 v25, 0
	s_mov_b32 s6, exec_lo
	v_cmpx_ne_u16_e32 0, v0
	s_cbranch_execz .LBB259_1635
; %bb.1628:                             ;   in Loop: Header=BB259_11 Depth=1
	v_bfrev_b32_e32 v24, 1
	v_mov_b32_e32 v25, 0
	s_mov_b32 s7, exec_lo
	v_cmpx_ne_u16_e32 0x80, v0
	s_cbranch_execz .LBB259_1634
; %bb.1629:                             ;   in Loop: Header=BB259_11 Depth=1
	v_mov_b32_e32 v24, 0x7f800001
	v_bfe_u32 v0, v2, 16, 7
	v_mov_b32_e32 v25, 0
	s_mov_b32 s19, exec_lo
	v_cmpx_ne_u32_e32 0x7f, v0
	s_cbranch_execz .LBB259_1633
; %bb.1630:                             ;   in Loop: Header=BB259_11 Depth=1
	v_mov_b32_e32 v1, 7
	v_lshrrev_b32_e32 v3, 3, v0
	v_cmp_gt_u32_e64 s5, 8, v0
	v_and_b32_sdwa v27, v2, v1 dst_sel:DWORD dst_unused:UNUSED_PAD src0_sel:WORD_1 src1_sel:DWORD
	v_mov_b32_e32 v0, v27
	v_mov_b32_e32 v1, v28
	s_and_saveexec_b32 s22, s5
; %bb.1631:                             ;   in Loop: Header=BB259_11 Depth=1
	v_ffbh_u32_e32 v0, v27
	v_min_u32_e32 v3, 32, v0
	v_subrev_nc_u32_e32 v0, 28, v3
	v_sub_nc_u32_e32 v3, 29, v3
	v_lshlrev_b64 v[0:1], v0, v[27:28]
	v_and_b32_e32 v0, 7, v0
; %bb.1632:                             ;   in Loop: Header=BB259_11 Depth=1
	s_or_b32 exec_lo, exec_lo, s22
	v_mov_b32_e32 v1, 24
	v_lshlrev_b32_e32 v0, 20, v0
	v_lshl_add_u32 v3, v3, 23, 0x3c000000
	v_lshlrev_b32_sdwa v1, v1, v2 dst_sel:DWORD dst_unused:UNUSED_PAD src0_sel:DWORD src1_sel:WORD_1
	v_and_b32_e32 v1, 0x80000000, v1
	v_or3_b32 v27, v0, v1, v3
	v_mov_b32_e32 v24, v27
	v_mov_b32_e32 v25, v28
.LBB259_1633:                           ;   in Loop: Header=BB259_11 Depth=1
	s_or_b32 exec_lo, exec_lo, s19
.LBB259_1634:                           ;   in Loop: Header=BB259_11 Depth=1
	s_or_b32 exec_lo, exec_lo, s7
.LBB259_1635:                           ;   in Loop: Header=BB259_11 Depth=1
	s_or_b32 exec_lo, exec_lo, s6
	s_mov_b32 s6, exec_lo
	v_cmpx_lt_u32_e32 0xffffff, v2
	s_cbranch_execz .LBB259_1643
; %bb.1636:                             ;   in Loop: Header=BB259_11 Depth=1
	v_mov_b32_e32 v98, v28
	v_mov_b32_e32 v0, 0x80
	v_mov_b32_e32 v96, v98
	v_cmp_ne_u32_sdwa s5, v2, v0 src0_sel:BYTE_3 src1_sel:DWORD
	v_mov_b32_e32 v97, v99
	s_and_saveexec_b32 s7, s5
	s_cbranch_execz .LBB259_1642
; %bb.1637:                             ;   in Loop: Header=BB259_11 Depth=1
	v_mov_b32_e32 v116, v28
	v_bfe_u32 v0, v2, 24, 7
	s_mov_b32 s19, exec_lo
	v_mov_b32_e32 v96, v116
	v_mov_b32_e32 v97, v117
	v_cmpx_ne_u32_e32 0x7f, v0
	s_cbranch_execz .LBB259_1641
; %bb.1638:                             ;   in Loop: Header=BB259_11 Depth=1
	v_mov_b32_e32 v1, 7
	v_lshrrev_b32_e32 v3, 3, v0
	v_cmp_gt_u32_e64 s5, 8, v0
	v_and_b32_sdwa v27, v2, v1 dst_sel:DWORD dst_unused:UNUSED_PAD src0_sel:BYTE_3 src1_sel:DWORD
	v_mov_b32_e32 v0, v27
	v_mov_b32_e32 v1, v28
	s_and_saveexec_b32 s22, s5
; %bb.1639:                             ;   in Loop: Header=BB259_11 Depth=1
	v_ffbh_u32_e32 v0, v27
	v_min_u32_e32 v3, 32, v0
	v_subrev_nc_u32_e32 v0, 28, v3
	v_sub_nc_u32_e32 v3, 29, v3
	v_lshlrev_b64 v[0:1], v0, v[27:28]
	v_and_b32_e32 v0, 7, v0
; %bb.1640:                             ;   in Loop: Header=BB259_11 Depth=1
	s_or_b32 exec_lo, exec_lo, s22
	v_mov_b32_e32 v1, 24
	v_lshlrev_b32_e32 v0, 20, v0
	v_mov_b32_e32 v96, v28
	v_lshlrev_b32_sdwa v1, v1, v2 dst_sel:DWORD dst_unused:UNUSED_PAD src0_sel:DWORD src1_sel:BYTE_3
	v_lshl_add_u32 v2, v3, 23, 0x3c000000
	v_and_b32_e32 v1, 0x80000000, v1
	v_or3_b32 v97, v0, v1, v2
.LBB259_1641:                           ;   in Loop: Header=BB259_11 Depth=1
	s_or_b32 exec_lo, exec_lo, s19
.LBB259_1642:                           ;   in Loop: Header=BB259_11 Depth=1
	s_or_b32 exec_lo, exec_lo, s7
.LBB259_1643:                           ;   in Loop: Header=BB259_11 Depth=1
	s_or_b32 exec_lo, exec_lo, s6
	flat_load_dword v2, v[76:77] offset:12
	v_mov_b32_e32 v74, 0
	v_mov_b32_e32 v64, 0
	;; [unrolled: 1-line block ×4, first 2 shown]
	s_waitcnt vmcnt(0) lgkmcnt(0)
	v_cmp_ne_u16_sdwa s5, v2, v28 src0_sel:BYTE_0 src1_sel:DWORD
	s_and_saveexec_b32 s6, s5
	s_cbranch_execz .LBB259_1651
; %bb.1644:                             ;   in Loop: Header=BB259_11 Depth=1
	v_mov_b32_e32 v0, 0x80
	v_bfrev_b32_e32 v64, 1
	v_mov_b32_e32 v65, 0
	v_cmp_ne_u16_sdwa s5, v2, v0 src0_sel:BYTE_0 src1_sel:DWORD
	s_and_saveexec_b32 s7, s5
	s_cbranch_execz .LBB259_1650
; %bb.1645:                             ;   in Loop: Header=BB259_11 Depth=1
	v_mov_b32_e32 v64, 0x7f800001
	v_and_b32_e32 v0, 0x7f, v2
	v_mov_b32_e32 v65, 0
	s_mov_b32 s19, exec_lo
	v_cmpx_ne_u32_e32 0x7f, v0
	s_cbranch_execz .LBB259_1649
; %bb.1646:                             ;   in Loop: Header=BB259_11 Depth=1
	v_and_b32_e32 v27, 7, v2
	v_lshrrev_b32_e32 v3, 3, v0
	v_cmp_gt_u32_e64 s5, 8, v0
	v_mov_b32_e32 v0, v27
	v_mov_b32_e32 v1, v28
	s_and_saveexec_b32 s22, s5
; %bb.1647:                             ;   in Loop: Header=BB259_11 Depth=1
	v_ffbh_u32_e32 v0, v27
	v_min_u32_e32 v3, 32, v0
	v_subrev_nc_u32_e32 v0, 28, v3
	v_sub_nc_u32_e32 v3, 29, v3
	v_lshlrev_b64 v[0:1], v0, v[27:28]
	v_and_b32_e32 v0, 7, v0
; %bb.1648:                             ;   in Loop: Header=BB259_11 Depth=1
	s_or_b32 exec_lo, exec_lo, s22
	v_lshlrev_b32_e32 v1, 24, v2
	v_lshlrev_b32_e32 v0, 20, v0
	v_lshl_add_u32 v3, v3, 23, 0x3c000000
	v_and_b32_e32 v1, 0x80000000, v1
	v_or3_b32 v27, v0, v1, v3
	v_mov_b32_e32 v65, v28
	v_mov_b32_e32 v64, v27
.LBB259_1649:                           ;   in Loop: Header=BB259_11 Depth=1
	s_or_b32 exec_lo, exec_lo, s19
.LBB259_1650:                           ;   in Loop: Header=BB259_11 Depth=1
	s_or_b32 exec_lo, exec_lo, s7
.LBB259_1651:                           ;   in Loop: Header=BB259_11 Depth=1
	s_or_b32 exec_lo, exec_lo, s6
	v_cmp_ne_u16_sdwa s5, v2, v28 src0_sel:BYTE_1 src1_sel:DWORD
	s_and_saveexec_b32 s6, s5
	s_cbranch_execz .LBB259_1659
; %bb.1652:                             ;   in Loop: Header=BB259_11 Depth=1
	v_mov_b32_e32 v98, v28
	v_mov_b32_e32 v0, 0x80
	;; [unrolled: 1-line block ×3, first 2 shown]
	v_cmp_ne_u16_sdwa s5, v2, v0 src0_sel:BYTE_1 src1_sel:DWORD
	v_mov_b32_e32 v75, v99
	s_and_saveexec_b32 s7, s5
	s_cbranch_execz .LBB259_1658
; %bb.1653:                             ;   in Loop: Header=BB259_11 Depth=1
	v_mov_b32_e32 v0, 0xffff
	v_mov_b32_e32 v116, v28
	s_mov_b32 s19, exec_lo
	v_and_b32_sdwa v1, v0, v2 dst_sel:DWORD dst_unused:UNUSED_PAD src0_sel:DWORD src1_sel:BYTE_1
	v_mov_b32_e32 v74, v116
	v_mov_b32_e32 v75, v117
	v_and_b32_e32 v0, 0x7f, v1
	v_cmpx_ne_u32_e32 0x7f, v0
	s_cbranch_execz .LBB259_1657
; %bb.1654:                             ;   in Loop: Header=BB259_11 Depth=1
	v_and_b32_e32 v27, 7, v1
	v_lshrrev_b32_e32 v3, 3, v0
	v_cmp_gt_u32_e64 s5, 8, v0
	v_mov_b32_e32 v0, v27
	v_mov_b32_e32 v1, v28
	s_and_saveexec_b32 s22, s5
; %bb.1655:                             ;   in Loop: Header=BB259_11 Depth=1
	v_ffbh_u32_e32 v0, v27
	v_min_u32_e32 v3, 32, v0
	v_subrev_nc_u32_e32 v0, 28, v3
	v_sub_nc_u32_e32 v3, 29, v3
	v_lshlrev_b64 v[0:1], v0, v[27:28]
	v_and_b32_e32 v0, 7, v0
; %bb.1656:                             ;   in Loop: Header=BB259_11 Depth=1
	s_or_b32 exec_lo, exec_lo, s22
	v_lshlrev_b32_e32 v1, 16, v2
	v_lshlrev_b32_e32 v0, 20, v0
	v_lshl_add_u32 v3, v3, 23, 0x3c000000
	v_mov_b32_e32 v74, v28
	v_and_b32_e32 v1, 0x80000000, v1
	v_or3_b32 v75, v0, v1, v3
.LBB259_1657:                           ;   in Loop: Header=BB259_11 Depth=1
	s_or_b32 exec_lo, exec_lo, s19
.LBB259_1658:                           ;   in Loop: Header=BB259_11 Depth=1
	s_or_b32 exec_lo, exec_lo, s7
.LBB259_1659:                           ;   in Loop: Header=BB259_11 Depth=1
	s_or_b32 exec_lo, exec_lo, s6
	v_mov_b32_e32 v31, 0
	v_mov_b32_e32 v88, 0
	v_and_b32_sdwa v0, v2, v6 dst_sel:DWORD dst_unused:UNUSED_PAD src0_sel:WORD_1 src1_sel:DWORD
	v_mov_b32_e32 v32, 0
	v_mov_b32_e32 v89, 0
	s_mov_b32 s6, exec_lo
	v_cmpx_ne_u16_e32 0, v0
	s_cbranch_execz .LBB259_1667
; %bb.1660:                             ;   in Loop: Header=BB259_11 Depth=1
	v_bfrev_b32_e32 v88, 1
	v_mov_b32_e32 v89, 0
	s_mov_b32 s7, exec_lo
	v_cmpx_ne_u16_e32 0x80, v0
	s_cbranch_execz .LBB259_1666
; %bb.1661:                             ;   in Loop: Header=BB259_11 Depth=1
	v_mov_b32_e32 v88, 0x7f800001
	v_bfe_u32 v0, v2, 16, 7
	v_mov_b32_e32 v89, 0
	s_mov_b32 s19, exec_lo
	v_cmpx_ne_u32_e32 0x7f, v0
	s_cbranch_execz .LBB259_1665
; %bb.1662:                             ;   in Loop: Header=BB259_11 Depth=1
	v_mov_b32_e32 v1, 7
	v_lshrrev_b32_e32 v3, 3, v0
	v_cmp_gt_u32_e64 s5, 8, v0
	v_and_b32_sdwa v27, v2, v1 dst_sel:DWORD dst_unused:UNUSED_PAD src0_sel:WORD_1 src1_sel:DWORD
	v_mov_b32_e32 v0, v27
	v_mov_b32_e32 v1, v28
	s_and_saveexec_b32 s22, s5
; %bb.1663:                             ;   in Loop: Header=BB259_11 Depth=1
	v_ffbh_u32_e32 v0, v27
	v_min_u32_e32 v3, 32, v0
	v_subrev_nc_u32_e32 v0, 28, v3
	v_sub_nc_u32_e32 v3, 29, v3
	v_lshlrev_b64 v[0:1], v0, v[27:28]
	v_and_b32_e32 v0, 7, v0
; %bb.1664:                             ;   in Loop: Header=BB259_11 Depth=1
	s_or_b32 exec_lo, exec_lo, s22
	v_mov_b32_e32 v1, 24
	v_lshlrev_b32_e32 v0, 20, v0
	v_lshl_add_u32 v3, v3, 23, 0x3c000000
	v_lshlrev_b32_sdwa v1, v1, v2 dst_sel:DWORD dst_unused:UNUSED_PAD src0_sel:DWORD src1_sel:WORD_1
	v_and_b32_e32 v1, 0x80000000, v1
	v_or3_b32 v27, v0, v1, v3
	v_mov_b32_e32 v89, v28
	v_mov_b32_e32 v88, v27
.LBB259_1665:                           ;   in Loop: Header=BB259_11 Depth=1
	s_or_b32 exec_lo, exec_lo, s19
.LBB259_1666:                           ;   in Loop: Header=BB259_11 Depth=1
	s_or_b32 exec_lo, exec_lo, s7
.LBB259_1667:                           ;   in Loop: Header=BB259_11 Depth=1
	s_or_b32 exec_lo, exec_lo, s6
	s_mov_b32 s6, exec_lo
	v_cmpx_lt_u32_e32 0xffffff, v2
	s_cbranch_execz .LBB259_1675
; %bb.1668:                             ;   in Loop: Header=BB259_11 Depth=1
	v_mov_b32_e32 v98, v28
	v_mov_b32_e32 v0, 0x80
	;; [unrolled: 1-line block ×3, first 2 shown]
	v_cmp_ne_u32_sdwa s5, v2, v0 src0_sel:BYTE_3 src1_sel:DWORD
	v_mov_b32_e32 v32, v99
	s_and_saveexec_b32 s7, s5
	s_cbranch_execz .LBB259_1674
; %bb.1669:                             ;   in Loop: Header=BB259_11 Depth=1
	v_mov_b32_e32 v116, v28
	v_bfe_u32 v0, v2, 24, 7
	s_mov_b32 s19, exec_lo
	v_mov_b32_e32 v31, v116
	v_mov_b32_e32 v32, v117
	v_cmpx_ne_u32_e32 0x7f, v0
	s_cbranch_execz .LBB259_1673
; %bb.1670:                             ;   in Loop: Header=BB259_11 Depth=1
	v_mov_b32_e32 v1, 7
	v_lshrrev_b32_e32 v3, 3, v0
	v_cmp_gt_u32_e64 s5, 8, v0
	v_and_b32_sdwa v27, v2, v1 dst_sel:DWORD dst_unused:UNUSED_PAD src0_sel:BYTE_3 src1_sel:DWORD
	v_mov_b32_e32 v0, v27
	v_mov_b32_e32 v1, v28
	s_and_saveexec_b32 s22, s5
; %bb.1671:                             ;   in Loop: Header=BB259_11 Depth=1
	v_ffbh_u32_e32 v0, v27
	v_min_u32_e32 v3, 32, v0
	v_subrev_nc_u32_e32 v0, 28, v3
	v_sub_nc_u32_e32 v3, 29, v3
	v_lshlrev_b64 v[0:1], v0, v[27:28]
	v_and_b32_e32 v0, 7, v0
; %bb.1672:                             ;   in Loop: Header=BB259_11 Depth=1
	s_or_b32 exec_lo, exec_lo, s22
	v_mov_b32_e32 v1, 24
	v_lshlrev_b32_e32 v0, 20, v0
	v_mov_b32_e32 v31, v28
	v_lshlrev_b32_sdwa v1, v1, v2 dst_sel:DWORD dst_unused:UNUSED_PAD src0_sel:DWORD src1_sel:BYTE_3
	v_lshl_add_u32 v2, v3, 23, 0x3c000000
	v_and_b32_e32 v1, 0x80000000, v1
	v_or3_b32 v32, v0, v1, v2
.LBB259_1673:                           ;   in Loop: Header=BB259_11 Depth=1
	s_or_b32 exec_lo, exec_lo, s19
.LBB259_1674:                           ;   in Loop: Header=BB259_11 Depth=1
	s_or_b32 exec_lo, exec_lo, s7
.LBB259_1675:                           ;   in Loop: Header=BB259_11 Depth=1
	s_or_b32 exec_lo, exec_lo, s6
	flat_load_dword v2, v[76:77] offset:512
	v_mov_b32_e32 v22, 0
	v_mov_b32_e32 v114, 0
	;; [unrolled: 1-line block ×4, first 2 shown]
	s_waitcnt vmcnt(0) lgkmcnt(0)
	v_cmp_ne_u16_sdwa s5, v2, v28 src0_sel:BYTE_0 src1_sel:DWORD
	s_and_saveexec_b32 s6, s5
	s_cbranch_execz .LBB259_1683
; %bb.1676:                             ;   in Loop: Header=BB259_11 Depth=1
	v_mov_b32_e32 v0, 0x80
	v_bfrev_b32_e32 v114, 1
	v_mov_b32_e32 v115, 0
	v_cmp_ne_u16_sdwa s5, v2, v0 src0_sel:BYTE_0 src1_sel:DWORD
	s_and_saveexec_b32 s7, s5
	s_cbranch_execz .LBB259_1682
; %bb.1677:                             ;   in Loop: Header=BB259_11 Depth=1
	v_mov_b32_e32 v114, 0x7f800001
	v_and_b32_e32 v0, 0x7f, v2
	v_mov_b32_e32 v115, 0
	s_mov_b32 s19, exec_lo
	v_cmpx_ne_u32_e32 0x7f, v0
	s_cbranch_execz .LBB259_1681
; %bb.1678:                             ;   in Loop: Header=BB259_11 Depth=1
	v_and_b32_e32 v27, 7, v2
	v_lshrrev_b32_e32 v3, 3, v0
	v_cmp_gt_u32_e64 s5, 8, v0
	v_mov_b32_e32 v0, v27
	v_mov_b32_e32 v1, v28
	s_and_saveexec_b32 s22, s5
; %bb.1679:                             ;   in Loop: Header=BB259_11 Depth=1
	v_ffbh_u32_e32 v0, v27
	v_min_u32_e32 v3, 32, v0
	v_subrev_nc_u32_e32 v0, 28, v3
	v_sub_nc_u32_e32 v3, 29, v3
	v_lshlrev_b64 v[0:1], v0, v[27:28]
	v_and_b32_e32 v0, 7, v0
; %bb.1680:                             ;   in Loop: Header=BB259_11 Depth=1
	s_or_b32 exec_lo, exec_lo, s22
	v_lshlrev_b32_e32 v1, 24, v2
	v_lshlrev_b32_e32 v0, 20, v0
	v_lshl_add_u32 v3, v3, 23, 0x3c000000
	v_and_b32_e32 v1, 0x80000000, v1
	v_or3_b32 v27, v0, v1, v3
	v_mov_b32_e32 v115, v28
	v_mov_b32_e32 v114, v27
.LBB259_1681:                           ;   in Loop: Header=BB259_11 Depth=1
	s_or_b32 exec_lo, exec_lo, s19
.LBB259_1682:                           ;   in Loop: Header=BB259_11 Depth=1
	s_or_b32 exec_lo, exec_lo, s7
.LBB259_1683:                           ;   in Loop: Header=BB259_11 Depth=1
	s_or_b32 exec_lo, exec_lo, s6
	v_cmp_ne_u16_sdwa s5, v2, v28 src0_sel:BYTE_1 src1_sel:DWORD
	s_and_saveexec_b32 s6, s5
	s_cbranch_execz .LBB259_1691
; %bb.1684:                             ;   in Loop: Header=BB259_11 Depth=1
	v_mov_b32_e32 v98, v28
	v_mov_b32_e32 v0, 0x80
	;; [unrolled: 1-line block ×3, first 2 shown]
	v_cmp_ne_u16_sdwa s5, v2, v0 src0_sel:BYTE_1 src1_sel:DWORD
	v_mov_b32_e32 v23, v99
	s_and_saveexec_b32 s7, s5
	s_cbranch_execz .LBB259_1690
; %bb.1685:                             ;   in Loop: Header=BB259_11 Depth=1
	v_mov_b32_e32 v0, 0xffff
	v_mov_b32_e32 v116, v28
	s_mov_b32 s19, exec_lo
	v_and_b32_sdwa v1, v0, v2 dst_sel:DWORD dst_unused:UNUSED_PAD src0_sel:DWORD src1_sel:BYTE_1
	v_mov_b32_e32 v22, v116
	v_mov_b32_e32 v23, v117
	v_and_b32_e32 v0, 0x7f, v1
	v_cmpx_ne_u32_e32 0x7f, v0
	s_cbranch_execz .LBB259_1689
; %bb.1686:                             ;   in Loop: Header=BB259_11 Depth=1
	v_and_b32_e32 v27, 7, v1
	v_lshrrev_b32_e32 v3, 3, v0
	v_cmp_gt_u32_e64 s5, 8, v0
	v_mov_b32_e32 v0, v27
	v_mov_b32_e32 v1, v28
	s_and_saveexec_b32 s22, s5
; %bb.1687:                             ;   in Loop: Header=BB259_11 Depth=1
	v_ffbh_u32_e32 v0, v27
	v_min_u32_e32 v3, 32, v0
	v_subrev_nc_u32_e32 v0, 28, v3
	v_sub_nc_u32_e32 v3, 29, v3
	v_lshlrev_b64 v[0:1], v0, v[27:28]
	v_and_b32_e32 v0, 7, v0
; %bb.1688:                             ;   in Loop: Header=BB259_11 Depth=1
	s_or_b32 exec_lo, exec_lo, s22
	v_lshlrev_b32_e32 v1, 16, v2
	v_lshlrev_b32_e32 v0, 20, v0
	v_lshl_add_u32 v3, v3, 23, 0x3c000000
	v_mov_b32_e32 v22, v28
	v_and_b32_e32 v1, 0x80000000, v1
	v_or3_b32 v23, v0, v1, v3
.LBB259_1689:                           ;   in Loop: Header=BB259_11 Depth=1
	s_or_b32 exec_lo, exec_lo, s19
.LBB259_1690:                           ;   in Loop: Header=BB259_11 Depth=1
	s_or_b32 exec_lo, exec_lo, s7
.LBB259_1691:                           ;   in Loop: Header=BB259_11 Depth=1
	s_or_b32 exec_lo, exec_lo, s6
	v_mov_b32_e32 v58, 0
	v_mov_b32_e32 v110, 0
	v_and_b32_sdwa v0, v2, v6 dst_sel:DWORD dst_unused:UNUSED_PAD src0_sel:WORD_1 src1_sel:DWORD
	v_mov_b32_e32 v59, 0
	v_mov_b32_e32 v111, 0
	s_mov_b32 s6, exec_lo
	v_cmpx_ne_u16_e32 0, v0
	s_cbranch_execz .LBB259_1699
; %bb.1692:                             ;   in Loop: Header=BB259_11 Depth=1
	v_bfrev_b32_e32 v110, 1
	v_mov_b32_e32 v111, 0
	s_mov_b32 s7, exec_lo
	v_cmpx_ne_u16_e32 0x80, v0
	s_cbranch_execz .LBB259_1698
; %bb.1693:                             ;   in Loop: Header=BB259_11 Depth=1
	v_mov_b32_e32 v110, 0x7f800001
	v_bfe_u32 v0, v2, 16, 7
	v_mov_b32_e32 v111, 0
	s_mov_b32 s19, exec_lo
	v_cmpx_ne_u32_e32 0x7f, v0
	s_cbranch_execz .LBB259_1697
; %bb.1694:                             ;   in Loop: Header=BB259_11 Depth=1
	v_mov_b32_e32 v1, 7
	v_lshrrev_b32_e32 v3, 3, v0
	v_cmp_gt_u32_e64 s5, 8, v0
	v_and_b32_sdwa v27, v2, v1 dst_sel:DWORD dst_unused:UNUSED_PAD src0_sel:WORD_1 src1_sel:DWORD
	v_mov_b32_e32 v0, v27
	v_mov_b32_e32 v1, v28
	s_and_saveexec_b32 s22, s5
; %bb.1695:                             ;   in Loop: Header=BB259_11 Depth=1
	v_ffbh_u32_e32 v0, v27
	v_min_u32_e32 v3, 32, v0
	v_subrev_nc_u32_e32 v0, 28, v3
	v_sub_nc_u32_e32 v3, 29, v3
	v_lshlrev_b64 v[0:1], v0, v[27:28]
	v_and_b32_e32 v0, 7, v0
; %bb.1696:                             ;   in Loop: Header=BB259_11 Depth=1
	s_or_b32 exec_lo, exec_lo, s22
	v_mov_b32_e32 v1, 24
	v_lshlrev_b32_e32 v0, 20, v0
	v_lshl_add_u32 v3, v3, 23, 0x3c000000
	v_lshlrev_b32_sdwa v1, v1, v2 dst_sel:DWORD dst_unused:UNUSED_PAD src0_sel:DWORD src1_sel:WORD_1
	v_and_b32_e32 v1, 0x80000000, v1
	v_or3_b32 v27, v0, v1, v3
	v_mov_b32_e32 v111, v28
	v_mov_b32_e32 v110, v27
.LBB259_1697:                           ;   in Loop: Header=BB259_11 Depth=1
	s_or_b32 exec_lo, exec_lo, s19
.LBB259_1698:                           ;   in Loop: Header=BB259_11 Depth=1
	s_or_b32 exec_lo, exec_lo, s7
.LBB259_1699:                           ;   in Loop: Header=BB259_11 Depth=1
	s_or_b32 exec_lo, exec_lo, s6
	s_mov_b32 s6, exec_lo
	v_cmpx_lt_u32_e32 0xffffff, v2
	s_cbranch_execz .LBB259_1707
; %bb.1700:                             ;   in Loop: Header=BB259_11 Depth=1
	v_mov_b32_e32 v98, v28
	v_mov_b32_e32 v0, 0x80
	;; [unrolled: 1-line block ×3, first 2 shown]
	v_cmp_ne_u32_sdwa s5, v2, v0 src0_sel:BYTE_3 src1_sel:DWORD
	v_mov_b32_e32 v59, v99
	s_and_saveexec_b32 s7, s5
	s_cbranch_execz .LBB259_1706
; %bb.1701:                             ;   in Loop: Header=BB259_11 Depth=1
	v_mov_b32_e32 v116, v28
	v_bfe_u32 v0, v2, 24, 7
	s_mov_b32 s19, exec_lo
	v_mov_b32_e32 v58, v116
	v_mov_b32_e32 v59, v117
	v_cmpx_ne_u32_e32 0x7f, v0
	s_cbranch_execz .LBB259_1705
; %bb.1702:                             ;   in Loop: Header=BB259_11 Depth=1
	v_mov_b32_e32 v1, 7
	v_lshrrev_b32_e32 v3, 3, v0
	v_cmp_gt_u32_e64 s5, 8, v0
	v_and_b32_sdwa v27, v2, v1 dst_sel:DWORD dst_unused:UNUSED_PAD src0_sel:BYTE_3 src1_sel:DWORD
	v_mov_b32_e32 v0, v27
	v_mov_b32_e32 v1, v28
	s_and_saveexec_b32 s22, s5
; %bb.1703:                             ;   in Loop: Header=BB259_11 Depth=1
	v_ffbh_u32_e32 v0, v27
	v_min_u32_e32 v3, 32, v0
	v_subrev_nc_u32_e32 v0, 28, v3
	v_sub_nc_u32_e32 v3, 29, v3
	v_lshlrev_b64 v[0:1], v0, v[27:28]
	v_and_b32_e32 v0, 7, v0
; %bb.1704:                             ;   in Loop: Header=BB259_11 Depth=1
	s_or_b32 exec_lo, exec_lo, s22
	v_mov_b32_e32 v1, 24
	v_lshlrev_b32_e32 v0, 20, v0
	v_mov_b32_e32 v58, v28
	v_lshlrev_b32_sdwa v1, v1, v2 dst_sel:DWORD dst_unused:UNUSED_PAD src0_sel:DWORD src1_sel:BYTE_3
	v_lshl_add_u32 v2, v3, 23, 0x3c000000
	v_and_b32_e32 v1, 0x80000000, v1
	v_or3_b32 v59, v0, v1, v2
.LBB259_1705:                           ;   in Loop: Header=BB259_11 Depth=1
	s_or_b32 exec_lo, exec_lo, s19
.LBB259_1706:                           ;   in Loop: Header=BB259_11 Depth=1
	s_or_b32 exec_lo, exec_lo, s7
.LBB259_1707:                           ;   in Loop: Header=BB259_11 Depth=1
	s_or_b32 exec_lo, exec_lo, s6
	flat_load_dword v2, v[76:77] offset:516
	v_mov_b32_e32 v20, 0
	v_mov_b32_e32 v124, 0
	v_mov_b32_e32 v21, 0
	v_mov_b32_e32 v125, 0
	s_waitcnt vmcnt(0) lgkmcnt(0)
	v_cmp_ne_u16_sdwa s5, v2, v28 src0_sel:BYTE_0 src1_sel:DWORD
	s_and_saveexec_b32 s6, s5
	s_cbranch_execz .LBB259_1715
; %bb.1708:                             ;   in Loop: Header=BB259_11 Depth=1
	v_mov_b32_e32 v0, 0x80
	v_bfrev_b32_e32 v124, 1
	v_mov_b32_e32 v125, 0
	v_cmp_ne_u16_sdwa s5, v2, v0 src0_sel:BYTE_0 src1_sel:DWORD
	s_and_saveexec_b32 s7, s5
	s_cbranch_execz .LBB259_1714
; %bb.1709:                             ;   in Loop: Header=BB259_11 Depth=1
	v_mov_b32_e32 v124, 0x7f800001
	v_and_b32_e32 v0, 0x7f, v2
	v_mov_b32_e32 v125, 0
	s_mov_b32 s19, exec_lo
	v_cmpx_ne_u32_e32 0x7f, v0
	s_cbranch_execz .LBB259_1713
; %bb.1710:                             ;   in Loop: Header=BB259_11 Depth=1
	v_and_b32_e32 v27, 7, v2
	v_lshrrev_b32_e32 v3, 3, v0
	v_cmp_gt_u32_e64 s5, 8, v0
	v_mov_b32_e32 v0, v27
	v_mov_b32_e32 v1, v28
	s_and_saveexec_b32 s22, s5
; %bb.1711:                             ;   in Loop: Header=BB259_11 Depth=1
	v_ffbh_u32_e32 v0, v27
	v_min_u32_e32 v3, 32, v0
	v_subrev_nc_u32_e32 v0, 28, v3
	v_sub_nc_u32_e32 v3, 29, v3
	v_lshlrev_b64 v[0:1], v0, v[27:28]
	v_and_b32_e32 v0, 7, v0
; %bb.1712:                             ;   in Loop: Header=BB259_11 Depth=1
	s_or_b32 exec_lo, exec_lo, s22
	v_lshlrev_b32_e32 v1, 24, v2
	v_lshlrev_b32_e32 v0, 20, v0
	v_lshl_add_u32 v3, v3, 23, 0x3c000000
	v_and_b32_e32 v1, 0x80000000, v1
	v_or3_b32 v27, v0, v1, v3
	v_mov_b32_e32 v125, v28
	v_mov_b32_e32 v124, v27
.LBB259_1713:                           ;   in Loop: Header=BB259_11 Depth=1
	s_or_b32 exec_lo, exec_lo, s19
.LBB259_1714:                           ;   in Loop: Header=BB259_11 Depth=1
	s_or_b32 exec_lo, exec_lo, s7
.LBB259_1715:                           ;   in Loop: Header=BB259_11 Depth=1
	s_or_b32 exec_lo, exec_lo, s6
	v_cmp_ne_u16_sdwa s5, v2, v28 src0_sel:BYTE_1 src1_sel:DWORD
	s_and_saveexec_b32 s6, s5
	s_cbranch_execz .LBB259_1723
; %bb.1716:                             ;   in Loop: Header=BB259_11 Depth=1
	v_mov_b32_e32 v98, v28
	v_mov_b32_e32 v0, 0x80
	;; [unrolled: 1-line block ×3, first 2 shown]
	v_cmp_ne_u16_sdwa s5, v2, v0 src0_sel:BYTE_1 src1_sel:DWORD
	v_mov_b32_e32 v21, v99
	s_and_saveexec_b32 s7, s5
	s_cbranch_execz .LBB259_1722
; %bb.1717:                             ;   in Loop: Header=BB259_11 Depth=1
	v_mov_b32_e32 v0, 0xffff
	v_mov_b32_e32 v116, v28
	s_mov_b32 s19, exec_lo
	v_and_b32_sdwa v1, v0, v2 dst_sel:DWORD dst_unused:UNUSED_PAD src0_sel:DWORD src1_sel:BYTE_1
	v_mov_b32_e32 v20, v116
	v_mov_b32_e32 v21, v117
	v_and_b32_e32 v0, 0x7f, v1
	v_cmpx_ne_u32_e32 0x7f, v0
	s_cbranch_execz .LBB259_1721
; %bb.1718:                             ;   in Loop: Header=BB259_11 Depth=1
	v_and_b32_e32 v27, 7, v1
	v_lshrrev_b32_e32 v3, 3, v0
	v_cmp_gt_u32_e64 s5, 8, v0
	v_mov_b32_e32 v0, v27
	v_mov_b32_e32 v1, v28
	s_and_saveexec_b32 s22, s5
; %bb.1719:                             ;   in Loop: Header=BB259_11 Depth=1
	v_ffbh_u32_e32 v0, v27
	v_min_u32_e32 v3, 32, v0
	v_subrev_nc_u32_e32 v0, 28, v3
	v_sub_nc_u32_e32 v3, 29, v3
	v_lshlrev_b64 v[0:1], v0, v[27:28]
	v_and_b32_e32 v0, 7, v0
; %bb.1720:                             ;   in Loop: Header=BB259_11 Depth=1
	s_or_b32 exec_lo, exec_lo, s22
	v_lshlrev_b32_e32 v1, 16, v2
	v_lshlrev_b32_e32 v0, 20, v0
	v_lshl_add_u32 v3, v3, 23, 0x3c000000
	v_mov_b32_e32 v20, v28
	v_and_b32_e32 v1, 0x80000000, v1
	v_or3_b32 v21, v0, v1, v3
.LBB259_1721:                           ;   in Loop: Header=BB259_11 Depth=1
	s_or_b32 exec_lo, exec_lo, s19
.LBB259_1722:                           ;   in Loop: Header=BB259_11 Depth=1
	s_or_b32 exec_lo, exec_lo, s7
.LBB259_1723:                           ;   in Loop: Header=BB259_11 Depth=1
	s_or_b32 exec_lo, exec_lo, s6
	v_mov_b32_e32 v106, 0
	v_mov_b32_e32 v90, 0
	v_and_b32_sdwa v0, v2, v6 dst_sel:DWORD dst_unused:UNUSED_PAD src0_sel:WORD_1 src1_sel:DWORD
	v_mov_b32_e32 v107, 0
	v_mov_b32_e32 v91, 0
	s_mov_b32 s6, exec_lo
	v_cmpx_ne_u16_e32 0, v0
	s_cbranch_execz .LBB259_1731
; %bb.1724:                             ;   in Loop: Header=BB259_11 Depth=1
	v_bfrev_b32_e32 v90, 1
	v_mov_b32_e32 v91, 0
	s_mov_b32 s7, exec_lo
	v_cmpx_ne_u16_e32 0x80, v0
	s_cbranch_execz .LBB259_1730
; %bb.1725:                             ;   in Loop: Header=BB259_11 Depth=1
	v_mov_b32_e32 v90, 0x7f800001
	v_bfe_u32 v0, v2, 16, 7
	v_mov_b32_e32 v91, 0
	s_mov_b32 s19, exec_lo
	v_cmpx_ne_u32_e32 0x7f, v0
	s_cbranch_execz .LBB259_1729
; %bb.1726:                             ;   in Loop: Header=BB259_11 Depth=1
	v_mov_b32_e32 v1, 7
	v_lshrrev_b32_e32 v3, 3, v0
	v_cmp_gt_u32_e64 s5, 8, v0
	v_and_b32_sdwa v27, v2, v1 dst_sel:DWORD dst_unused:UNUSED_PAD src0_sel:WORD_1 src1_sel:DWORD
	v_mov_b32_e32 v0, v27
	v_mov_b32_e32 v1, v28
	s_and_saveexec_b32 s22, s5
; %bb.1727:                             ;   in Loop: Header=BB259_11 Depth=1
	v_ffbh_u32_e32 v0, v27
	v_min_u32_e32 v3, 32, v0
	v_subrev_nc_u32_e32 v0, 28, v3
	v_sub_nc_u32_e32 v3, 29, v3
	v_lshlrev_b64 v[0:1], v0, v[27:28]
	v_and_b32_e32 v0, 7, v0
; %bb.1728:                             ;   in Loop: Header=BB259_11 Depth=1
	s_or_b32 exec_lo, exec_lo, s22
	v_mov_b32_e32 v1, 24
	v_lshlrev_b32_e32 v0, 20, v0
	v_lshl_add_u32 v3, v3, 23, 0x3c000000
	v_lshlrev_b32_sdwa v1, v1, v2 dst_sel:DWORD dst_unused:UNUSED_PAD src0_sel:DWORD src1_sel:WORD_1
	v_and_b32_e32 v1, 0x80000000, v1
	v_or3_b32 v27, v0, v1, v3
	v_mov_b32_e32 v91, v28
	v_mov_b32_e32 v90, v27
.LBB259_1729:                           ;   in Loop: Header=BB259_11 Depth=1
	s_or_b32 exec_lo, exec_lo, s19
.LBB259_1730:                           ;   in Loop: Header=BB259_11 Depth=1
	s_or_b32 exec_lo, exec_lo, s7
.LBB259_1731:                           ;   in Loop: Header=BB259_11 Depth=1
	s_or_b32 exec_lo, exec_lo, s6
	s_mov_b32 s6, exec_lo
	v_cmpx_lt_u32_e32 0xffffff, v2
	s_cbranch_execz .LBB259_1739
; %bb.1732:                             ;   in Loop: Header=BB259_11 Depth=1
	v_mov_b32_e32 v98, v28
	v_mov_b32_e32 v0, 0x80
	;; [unrolled: 1-line block ×4, first 2 shown]
	v_cmp_ne_u32_sdwa s5, v2, v0 src0_sel:BYTE_3 src1_sel:DWORD
	s_and_saveexec_b32 s7, s5
	s_cbranch_execz .LBB259_1738
; %bb.1733:                             ;   in Loop: Header=BB259_11 Depth=1
	v_mov_b32_e32 v116, v28
	v_bfe_u32 v0, v2, 24, 7
	s_mov_b32 s19, exec_lo
	v_mov_b32_e32 v106, v116
	v_mov_b32_e32 v107, v117
	v_cmpx_ne_u32_e32 0x7f, v0
	s_cbranch_execz .LBB259_1737
; %bb.1734:                             ;   in Loop: Header=BB259_11 Depth=1
	v_mov_b32_e32 v1, 7
	v_lshrrev_b32_e32 v3, 3, v0
	v_cmp_gt_u32_e64 s5, 8, v0
	v_and_b32_sdwa v27, v2, v1 dst_sel:DWORD dst_unused:UNUSED_PAD src0_sel:BYTE_3 src1_sel:DWORD
	v_mov_b32_e32 v0, v27
	v_mov_b32_e32 v1, v28
	s_and_saveexec_b32 s22, s5
; %bb.1735:                             ;   in Loop: Header=BB259_11 Depth=1
	v_ffbh_u32_e32 v0, v27
	v_min_u32_e32 v3, 32, v0
	v_subrev_nc_u32_e32 v0, 28, v3
	v_sub_nc_u32_e32 v3, 29, v3
	v_lshlrev_b64 v[0:1], v0, v[27:28]
	v_and_b32_e32 v0, 7, v0
; %bb.1736:                             ;   in Loop: Header=BB259_11 Depth=1
	s_or_b32 exec_lo, exec_lo, s22
	v_mov_b32_e32 v1, 24
	v_lshlrev_b32_e32 v0, 20, v0
	v_mov_b32_e32 v106, v28
	v_lshlrev_b32_sdwa v1, v1, v2 dst_sel:DWORD dst_unused:UNUSED_PAD src0_sel:DWORD src1_sel:BYTE_3
	v_lshl_add_u32 v2, v3, 23, 0x3c000000
	v_and_b32_e32 v1, 0x80000000, v1
	v_or3_b32 v107, v0, v1, v2
.LBB259_1737:                           ;   in Loop: Header=BB259_11 Depth=1
	s_or_b32 exec_lo, exec_lo, s19
.LBB259_1738:                           ;   in Loop: Header=BB259_11 Depth=1
	s_or_b32 exec_lo, exec_lo, s7
.LBB259_1739:                           ;   in Loop: Header=BB259_11 Depth=1
	s_or_b32 exec_lo, exec_lo, s6
	flat_load_dword v8, v[76:77] offset:520
	v_mov_b32_e32 v29, 0
	v_mov_b32_e32 v56, 0
	;; [unrolled: 1-line block ×4, first 2 shown]
	s_waitcnt vmcnt(0) lgkmcnt(0)
	v_cmp_ne_u16_sdwa s5, v8, v28 src0_sel:BYTE_0 src1_sel:DWORD
	s_and_saveexec_b32 s6, s5
	s_cbranch_execz .LBB259_1747
; %bb.1740:                             ;   in Loop: Header=BB259_11 Depth=1
	v_mov_b32_e32 v0, 0x80
	v_bfrev_b32_e32 v56, 1
	v_mov_b32_e32 v57, 0
	v_cmp_ne_u16_sdwa s5, v8, v0 src0_sel:BYTE_0 src1_sel:DWORD
	s_and_saveexec_b32 s7, s5
	s_cbranch_execz .LBB259_1746
; %bb.1741:                             ;   in Loop: Header=BB259_11 Depth=1
	v_mov_b32_e32 v56, 0x7f800001
	v_and_b32_e32 v0, 0x7f, v8
	v_mov_b32_e32 v57, 0
	s_mov_b32 s19, exec_lo
	v_cmpx_ne_u32_e32 0x7f, v0
	s_cbranch_execz .LBB259_1745
; %bb.1742:                             ;   in Loop: Header=BB259_11 Depth=1
	v_and_b32_e32 v27, 7, v8
	v_lshrrev_b32_e32 v2, 3, v0
	v_cmp_gt_u32_e64 s5, 8, v0
	v_mov_b32_e32 v0, v27
	v_mov_b32_e32 v1, v28
	s_and_saveexec_b32 s22, s5
; %bb.1743:                             ;   in Loop: Header=BB259_11 Depth=1
	v_ffbh_u32_e32 v0, v27
	v_min_u32_e32 v2, 32, v0
	v_subrev_nc_u32_e32 v0, 28, v2
	v_sub_nc_u32_e32 v2, 29, v2
	v_lshlrev_b64 v[0:1], v0, v[27:28]
	v_and_b32_e32 v0, 7, v0
; %bb.1744:                             ;   in Loop: Header=BB259_11 Depth=1
	s_or_b32 exec_lo, exec_lo, s22
	v_lshlrev_b32_e32 v1, 24, v8
	v_lshlrev_b32_e32 v0, 20, v0
	v_lshl_add_u32 v2, v2, 23, 0x3c000000
	v_and_b32_e32 v1, 0x80000000, v1
	v_or3_b32 v27, v0, v1, v2
	v_mov_b32_e32 v57, v28
	v_mov_b32_e32 v56, v27
.LBB259_1745:                           ;   in Loop: Header=BB259_11 Depth=1
	s_or_b32 exec_lo, exec_lo, s19
.LBB259_1746:                           ;   in Loop: Header=BB259_11 Depth=1
	s_or_b32 exec_lo, exec_lo, s7
.LBB259_1747:                           ;   in Loop: Header=BB259_11 Depth=1
	s_or_b32 exec_lo, exec_lo, s6
	v_cmp_ne_u16_sdwa s5, v8, v28 src0_sel:BYTE_1 src1_sel:DWORD
	s_and_saveexec_b32 s6, s5
	s_cbranch_execz .LBB259_1755
; %bb.1748:                             ;   in Loop: Header=BB259_11 Depth=1
	v_mov_b32_e32 v98, v28
	v_mov_b32_e32 v0, 0x80
	;; [unrolled: 1-line block ×3, first 2 shown]
	v_cmp_ne_u16_sdwa s5, v8, v0 src0_sel:BYTE_1 src1_sel:DWORD
	v_mov_b32_e32 v30, v99
	s_and_saveexec_b32 s7, s5
	s_cbranch_execz .LBB259_1754
; %bb.1749:                             ;   in Loop: Header=BB259_11 Depth=1
	v_mov_b32_e32 v0, 0xffff
	v_mov_b32_e32 v116, v28
	s_mov_b32 s19, exec_lo
	v_and_b32_sdwa v1, v0, v8 dst_sel:DWORD dst_unused:UNUSED_PAD src0_sel:DWORD src1_sel:BYTE_1
	v_mov_b32_e32 v29, v116
	v_mov_b32_e32 v30, v117
	v_and_b32_e32 v0, 0x7f, v1
	v_cmpx_ne_u32_e32 0x7f, v0
	s_cbranch_execz .LBB259_1753
; %bb.1750:                             ;   in Loop: Header=BB259_11 Depth=1
	v_and_b32_e32 v27, 7, v1
	v_lshrrev_b32_e32 v2, 3, v0
	v_cmp_gt_u32_e64 s5, 8, v0
	v_mov_b32_e32 v0, v27
	v_mov_b32_e32 v1, v28
	s_and_saveexec_b32 s22, s5
; %bb.1751:                             ;   in Loop: Header=BB259_11 Depth=1
	v_ffbh_u32_e32 v0, v27
	v_min_u32_e32 v2, 32, v0
	v_subrev_nc_u32_e32 v0, 28, v2
	v_sub_nc_u32_e32 v2, 29, v2
	v_lshlrev_b64 v[0:1], v0, v[27:28]
	v_and_b32_e32 v0, 7, v0
; %bb.1752:                             ;   in Loop: Header=BB259_11 Depth=1
	s_or_b32 exec_lo, exec_lo, s22
	v_lshlrev_b32_e32 v1, 16, v8
	v_lshlrev_b32_e32 v0, 20, v0
	v_lshl_add_u32 v2, v2, 23, 0x3c000000
	v_mov_b32_e32 v29, v28
	v_and_b32_e32 v1, 0x80000000, v1
	v_or3_b32 v30, v0, v1, v2
.LBB259_1753:                           ;   in Loop: Header=BB259_11 Depth=1
	s_or_b32 exec_lo, exec_lo, s19
.LBB259_1754:                           ;   in Loop: Header=BB259_11 Depth=1
	s_or_b32 exec_lo, exec_lo, s7
.LBB259_1755:                           ;   in Loop: Header=BB259_11 Depth=1
	s_or_b32 exec_lo, exec_lo, s6
	v_mov_b32_e32 v84, 0
	v_mov_b32_e32 v0, 0
	v_and_b32_sdwa v2, v8, v6 dst_sel:DWORD dst_unused:UNUSED_PAD src0_sel:WORD_1 src1_sel:DWORD
	v_mov_b32_e32 v85, 0
	v_mov_b32_e32 v1, 0
	s_mov_b32 s6, exec_lo
	v_cmpx_ne_u16_e32 0, v2
	s_cbranch_execz .LBB259_1763
; %bb.1756:                             ;   in Loop: Header=BB259_11 Depth=1
	v_bfrev_b32_e32 v0, 1
	v_mov_b32_e32 v1, 0
	s_mov_b32 s7, exec_lo
	v_cmpx_ne_u16_e32 0x80, v2
	s_cbranch_execz .LBB259_1762
; %bb.1757:                             ;   in Loop: Header=BB259_11 Depth=1
	v_mov_b32_e32 v0, 0x7f800001
	v_bfe_u32 v3, v8, 16, 7
	v_mov_b32_e32 v1, 0
	s_mov_b32 s19, exec_lo
	v_cmpx_ne_u32_e32 0x7f, v3
	s_cbranch_execz .LBB259_1761
; %bb.1758:                             ;   in Loop: Header=BB259_11 Depth=1
	v_mov_b32_e32 v0, 7
	v_lshrrev_b32_e32 v2, 3, v3
	s_mov_b32 s22, exec_lo
	v_and_b32_sdwa v27, v8, v0 dst_sel:DWORD dst_unused:UNUSED_PAD src0_sel:WORD_1 src1_sel:DWORD
	v_mov_b32_e32 v0, v27
	v_mov_b32_e32 v1, v28
	v_cmpx_gt_u32_e32 8, v3
; %bb.1759:                             ;   in Loop: Header=BB259_11 Depth=1
	v_ffbh_u32_e32 v0, v27
	v_min_u32_e32 v2, 32, v0
	v_subrev_nc_u32_e32 v0, 28, v2
	v_sub_nc_u32_e32 v2, 29, v2
	v_lshlrev_b64 v[0:1], v0, v[27:28]
	v_and_b32_e32 v0, 7, v0
; %bb.1760:                             ;   in Loop: Header=BB259_11 Depth=1
	s_or_b32 exec_lo, exec_lo, s22
	v_mov_b32_e32 v1, 24
	v_lshlrev_b32_e32 v0, 20, v0
	v_lshl_add_u32 v2, v2, 23, 0x3c000000
	v_lshlrev_b32_sdwa v1, v1, v8 dst_sel:DWORD dst_unused:UNUSED_PAD src0_sel:DWORD src1_sel:WORD_1
	v_and_b32_e32 v1, 0x80000000, v1
	v_or3_b32 v27, v0, v1, v2
	v_mov_b32_e32 v0, v27
	v_mov_b32_e32 v1, v28
.LBB259_1761:                           ;   in Loop: Header=BB259_11 Depth=1
	s_or_b32 exec_lo, exec_lo, s19
.LBB259_1762:                           ;   in Loop: Header=BB259_11 Depth=1
	s_or_b32 exec_lo, exec_lo, s7
.LBB259_1763:                           ;   in Loop: Header=BB259_11 Depth=1
	s_or_b32 exec_lo, exec_lo, s6
	s_mov_b32 s6, exec_lo
	v_cmpx_lt_u32_e32 0xffffff, v8
	s_cbranch_execz .LBB259_1771
; %bb.1764:                             ;   in Loop: Header=BB259_11 Depth=1
	v_mov_b32_e32 v98, v28
	v_mov_b32_e32 v2, 0x80
	;; [unrolled: 1-line block ×3, first 2 shown]
	v_cmp_ne_u32_sdwa s5, v8, v2 src0_sel:BYTE_3 src1_sel:DWORD
	v_mov_b32_e32 v85, v99
	s_and_saveexec_b32 s7, s5
	s_cbranch_execz .LBB259_1770
; %bb.1765:                             ;   in Loop: Header=BB259_11 Depth=1
	v_mov_b32_e32 v116, v28
	v_bfe_u32 v2, v8, 24, 7
	s_mov_b32 s19, exec_lo
	v_mov_b32_e32 v84, v116
	v_mov_b32_e32 v85, v117
	v_cmpx_ne_u32_e32 0x7f, v2
	s_cbranch_execz .LBB259_1769
; %bb.1766:                             ;   in Loop: Header=BB259_11 Depth=1
	v_mov_b32_e32 v3, 7
	v_lshrrev_b32_e32 v9, 3, v2
	v_cmp_gt_u32_e64 s5, 8, v2
	v_and_b32_sdwa v27, v8, v3 dst_sel:DWORD dst_unused:UNUSED_PAD src0_sel:BYTE_3 src1_sel:DWORD
	v_mov_b32_e32 v2, v27
	v_mov_b32_e32 v3, v28
	s_and_saveexec_b32 s22, s5
; %bb.1767:                             ;   in Loop: Header=BB259_11 Depth=1
	v_ffbh_u32_e32 v2, v27
	v_min_u32_e32 v9, 32, v2
	v_subrev_nc_u32_e32 v2, 28, v9
	v_sub_nc_u32_e32 v9, 29, v9
	v_lshlrev_b64 v[2:3], v2, v[27:28]
	v_and_b32_e32 v2, 7, v2
; %bb.1768:                             ;   in Loop: Header=BB259_11 Depth=1
	s_or_b32 exec_lo, exec_lo, s22
	v_mov_b32_e32 v3, 24
	v_lshlrev_b32_e32 v2, 20, v2
	v_mov_b32_e32 v84, v28
	v_lshlrev_b32_sdwa v3, v3, v8 dst_sel:DWORD dst_unused:UNUSED_PAD src0_sel:DWORD src1_sel:BYTE_3
	v_lshl_add_u32 v8, v9, 23, 0x3c000000
	v_and_b32_e32 v3, 0x80000000, v3
	v_or3_b32 v85, v2, v3, v8
.LBB259_1769:                           ;   in Loop: Header=BB259_11 Depth=1
	s_or_b32 exec_lo, exec_lo, s19
.LBB259_1770:                           ;   in Loop: Header=BB259_11 Depth=1
	s_or_b32 exec_lo, exec_lo, s7
.LBB259_1771:                           ;   in Loop: Header=BB259_11 Depth=1
	s_or_b32 exec_lo, exec_lo, s6
	flat_load_dword v8, v[76:77] offset:524
	v_mov_b32_e32 v10, 0
	v_mov_b32_e32 v126, 0
	;; [unrolled: 1-line block ×4, first 2 shown]
	s_waitcnt vmcnt(0) lgkmcnt(0)
	v_cmp_ne_u16_sdwa s5, v8, v28 src0_sel:BYTE_0 src1_sel:DWORD
	s_and_saveexec_b32 s6, s5
	s_cbranch_execz .LBB259_1779
; %bb.1772:                             ;   in Loop: Header=BB259_11 Depth=1
	v_mov_b32_e32 v2, 0x80
	v_bfrev_b32_e32 v126, 1
	v_mov_b32_e32 v127, 0
	v_cmp_ne_u16_sdwa s5, v8, v2 src0_sel:BYTE_0 src1_sel:DWORD
	s_and_saveexec_b32 s7, s5
	s_cbranch_execz .LBB259_1778
; %bb.1773:                             ;   in Loop: Header=BB259_11 Depth=1
	v_mov_b32_e32 v126, 0x7f800001
	v_and_b32_e32 v2, 0x7f, v8
	v_mov_b32_e32 v127, 0
	s_mov_b32 s19, exec_lo
	v_cmpx_ne_u32_e32 0x7f, v2
	s_cbranch_execz .LBB259_1777
; %bb.1774:                             ;   in Loop: Header=BB259_11 Depth=1
	v_and_b32_e32 v27, 7, v8
	v_lshrrev_b32_e32 v9, 3, v2
	v_cmp_gt_u32_e64 s5, 8, v2
	v_mov_b32_e32 v2, v27
	v_mov_b32_e32 v3, v28
	s_and_saveexec_b32 s22, s5
; %bb.1775:                             ;   in Loop: Header=BB259_11 Depth=1
	v_ffbh_u32_e32 v2, v27
	v_min_u32_e32 v9, 32, v2
	v_subrev_nc_u32_e32 v2, 28, v9
	v_sub_nc_u32_e32 v9, 29, v9
	v_lshlrev_b64 v[2:3], v2, v[27:28]
	v_and_b32_e32 v2, 7, v2
; %bb.1776:                             ;   in Loop: Header=BB259_11 Depth=1
	s_or_b32 exec_lo, exec_lo, s22
	v_lshlrev_b32_e32 v3, 24, v8
	v_lshlrev_b32_e32 v2, 20, v2
	v_lshl_add_u32 v9, v9, 23, 0x3c000000
	v_and_b32_e32 v3, 0x80000000, v3
	v_or3_b32 v27, v2, v3, v9
	v_mov_b32_e32 v127, v28
	v_mov_b32_e32 v126, v27
.LBB259_1777:                           ;   in Loop: Header=BB259_11 Depth=1
	s_or_b32 exec_lo, exec_lo, s19
.LBB259_1778:                           ;   in Loop: Header=BB259_11 Depth=1
	s_or_b32 exec_lo, exec_lo, s7
.LBB259_1779:                           ;   in Loop: Header=BB259_11 Depth=1
	s_or_b32 exec_lo, exec_lo, s6
	v_cmp_ne_u16_sdwa s5, v8, v28 src0_sel:BYTE_1 src1_sel:DWORD
	s_and_saveexec_b32 s6, s5
	s_cbranch_execz .LBB259_1787
; %bb.1780:                             ;   in Loop: Header=BB259_11 Depth=1
	v_mov_b32_e32 v98, v28
	v_mov_b32_e32 v2, 0x80
	;; [unrolled: 1-line block ×3, first 2 shown]
	v_cmp_ne_u16_sdwa s5, v8, v2 src0_sel:BYTE_1 src1_sel:DWORD
	v_mov_b32_e32 v11, v99
	s_and_saveexec_b32 s7, s5
	s_cbranch_execz .LBB259_1786
; %bb.1781:                             ;   in Loop: Header=BB259_11 Depth=1
	v_mov_b32_e32 v2, 0xffff
	v_mov_b32_e32 v116, v28
	s_mov_b32 s19, exec_lo
	v_and_b32_sdwa v3, v2, v8 dst_sel:DWORD dst_unused:UNUSED_PAD src0_sel:DWORD src1_sel:BYTE_1
	v_mov_b32_e32 v10, v116
	v_mov_b32_e32 v11, v117
	v_and_b32_e32 v2, 0x7f, v3
	v_cmpx_ne_u32_e32 0x7f, v2
	s_cbranch_execz .LBB259_1785
; %bb.1782:                             ;   in Loop: Header=BB259_11 Depth=1
	v_and_b32_e32 v27, 7, v3
	v_lshrrev_b32_e32 v9, 3, v2
	v_cmp_gt_u32_e64 s5, 8, v2
	v_mov_b32_e32 v2, v27
	v_mov_b32_e32 v3, v28
	s_and_saveexec_b32 s22, s5
; %bb.1783:                             ;   in Loop: Header=BB259_11 Depth=1
	v_ffbh_u32_e32 v2, v27
	v_min_u32_e32 v9, 32, v2
	v_subrev_nc_u32_e32 v2, 28, v9
	v_sub_nc_u32_e32 v9, 29, v9
	v_lshlrev_b64 v[2:3], v2, v[27:28]
	v_and_b32_e32 v2, 7, v2
; %bb.1784:                             ;   in Loop: Header=BB259_11 Depth=1
	s_or_b32 exec_lo, exec_lo, s22
	v_lshlrev_b32_e32 v3, 16, v8
	v_lshlrev_b32_e32 v2, 20, v2
	v_lshl_add_u32 v9, v9, 23, 0x3c000000
	v_mov_b32_e32 v10, v28
	v_and_b32_e32 v3, 0x80000000, v3
	v_or3_b32 v11, v2, v3, v9
.LBB259_1785:                           ;   in Loop: Header=BB259_11 Depth=1
	s_or_b32 exec_lo, exec_lo, s19
.LBB259_1786:                           ;   in Loop: Header=BB259_11 Depth=1
	s_or_b32 exec_lo, exec_lo, s7
.LBB259_1787:                           ;   in Loop: Header=BB259_11 Depth=1
	s_or_b32 exec_lo, exec_lo, s6
	v_mov_b32_e32 v112, 0
	v_mov_b32_e32 v120, 0
	v_and_b32_sdwa v2, v8, v6 dst_sel:DWORD dst_unused:UNUSED_PAD src0_sel:WORD_1 src1_sel:DWORD
	v_mov_b32_e32 v113, 0
	v_mov_b32_e32 v121, 0
	s_mov_b32 s6, exec_lo
	v_cmpx_ne_u16_e32 0, v2
	s_cbranch_execz .LBB259_1795
; %bb.1788:                             ;   in Loop: Header=BB259_11 Depth=1
	v_bfrev_b32_e32 v120, 1
	v_mov_b32_e32 v121, 0
	s_mov_b32 s7, exec_lo
	v_cmpx_ne_u16_e32 0x80, v2
	s_cbranch_execz .LBB259_1794
; %bb.1789:                             ;   in Loop: Header=BB259_11 Depth=1
	v_mov_b32_e32 v120, 0x7f800001
	v_bfe_u32 v2, v8, 16, 7
	v_mov_b32_e32 v121, 0
	s_mov_b32 s19, exec_lo
	v_cmpx_ne_u32_e32 0x7f, v2
	s_cbranch_execz .LBB259_1793
; %bb.1790:                             ;   in Loop: Header=BB259_11 Depth=1
	v_mov_b32_e32 v3, 7
	v_lshrrev_b32_e32 v9, 3, v2
	v_cmp_gt_u32_e64 s5, 8, v2
	v_and_b32_sdwa v27, v8, v3 dst_sel:DWORD dst_unused:UNUSED_PAD src0_sel:WORD_1 src1_sel:DWORD
	v_mov_b32_e32 v2, v27
	v_mov_b32_e32 v3, v28
	s_and_saveexec_b32 s22, s5
; %bb.1791:                             ;   in Loop: Header=BB259_11 Depth=1
	v_ffbh_u32_e32 v2, v27
	v_min_u32_e32 v9, 32, v2
	v_subrev_nc_u32_e32 v2, 28, v9
	v_sub_nc_u32_e32 v9, 29, v9
	v_lshlrev_b64 v[2:3], v2, v[27:28]
	v_and_b32_e32 v2, 7, v2
; %bb.1792:                             ;   in Loop: Header=BB259_11 Depth=1
	s_or_b32 exec_lo, exec_lo, s22
	v_mov_b32_e32 v3, 24
	v_lshlrev_b32_e32 v2, 20, v2
	v_lshl_add_u32 v9, v9, 23, 0x3c000000
	v_lshlrev_b32_sdwa v3, v3, v8 dst_sel:DWORD dst_unused:UNUSED_PAD src0_sel:DWORD src1_sel:WORD_1
	v_and_b32_e32 v3, 0x80000000, v3
	v_or3_b32 v27, v2, v3, v9
	v_mov_b32_e32 v121, v28
	v_mov_b32_e32 v120, v27
.LBB259_1793:                           ;   in Loop: Header=BB259_11 Depth=1
	s_or_b32 exec_lo, exec_lo, s19
.LBB259_1794:                           ;   in Loop: Header=BB259_11 Depth=1
	s_or_b32 exec_lo, exec_lo, s7
.LBB259_1795:                           ;   in Loop: Header=BB259_11 Depth=1
	s_or_b32 exec_lo, exec_lo, s6
	s_mov_b32 s6, exec_lo
	v_cmpx_lt_u32_e32 0xffffff, v8
	s_cbranch_execz .LBB259_1803
; %bb.1796:                             ;   in Loop: Header=BB259_11 Depth=1
	v_mov_b32_e32 v98, v28
	v_mov_b32_e32 v2, 0x80
	;; [unrolled: 1-line block ×4, first 2 shown]
	v_cmp_ne_u32_sdwa s5, v8, v2 src0_sel:BYTE_3 src1_sel:DWORD
	s_and_saveexec_b32 s7, s5
	s_cbranch_execz .LBB259_1802
; %bb.1797:                             ;   in Loop: Header=BB259_11 Depth=1
	v_mov_b32_e32 v116, v28
	v_bfe_u32 v2, v8, 24, 7
	s_mov_b32 s19, exec_lo
	v_mov_b32_e32 v112, v116
	v_mov_b32_e32 v113, v117
	v_cmpx_ne_u32_e32 0x7f, v2
	s_cbranch_execz .LBB259_1801
; %bb.1798:                             ;   in Loop: Header=BB259_11 Depth=1
	v_mov_b32_e32 v3, 7
	v_lshrrev_b32_e32 v9, 3, v2
	v_cmp_gt_u32_e64 s5, 8, v2
	v_and_b32_sdwa v27, v8, v3 dst_sel:DWORD dst_unused:UNUSED_PAD src0_sel:BYTE_3 src1_sel:DWORD
	v_mov_b32_e32 v2, v27
	v_mov_b32_e32 v3, v28
	s_and_saveexec_b32 s22, s5
; %bb.1799:                             ;   in Loop: Header=BB259_11 Depth=1
	v_ffbh_u32_e32 v2, v27
	v_min_u32_e32 v9, 32, v2
	v_subrev_nc_u32_e32 v2, 28, v9
	v_sub_nc_u32_e32 v9, 29, v9
	v_lshlrev_b64 v[2:3], v2, v[27:28]
	v_and_b32_e32 v2, 7, v2
; %bb.1800:                             ;   in Loop: Header=BB259_11 Depth=1
	s_or_b32 exec_lo, exec_lo, s22
	v_mov_b32_e32 v3, 24
	v_lshlrev_b32_e32 v2, 20, v2
	v_mov_b32_e32 v112, v28
	v_lshlrev_b32_sdwa v3, v3, v8 dst_sel:DWORD dst_unused:UNUSED_PAD src0_sel:DWORD src1_sel:BYTE_3
	v_lshl_add_u32 v8, v9, 23, 0x3c000000
	v_and_b32_e32 v3, 0x80000000, v3
	v_or3_b32 v113, v2, v3, v8
.LBB259_1801:                           ;   in Loop: Header=BB259_11 Depth=1
	s_or_b32 exec_lo, exec_lo, s19
.LBB259_1802:                           ;   in Loop: Header=BB259_11 Depth=1
	s_or_b32 exec_lo, exec_lo, s7
.LBB259_1803:                           ;   in Loop: Header=BB259_11 Depth=1
	s_or_b32 exec_lo, exec_lo, s6
	flat_load_dword v8, v[76:77] offset:1024
	v_mov_b32_e32 v52, 0
	v_mov_b32_e32 v18, 0
	;; [unrolled: 1-line block ×4, first 2 shown]
	s_waitcnt vmcnt(0) lgkmcnt(0)
	v_cmp_ne_u16_sdwa s5, v8, v28 src0_sel:BYTE_0 src1_sel:DWORD
	s_and_saveexec_b32 s6, s5
	s_cbranch_execz .LBB259_1811
; %bb.1804:                             ;   in Loop: Header=BB259_11 Depth=1
	v_mov_b32_e32 v2, 0x80
	v_bfrev_b32_e32 v18, 1
	v_mov_b32_e32 v19, 0
	v_cmp_ne_u16_sdwa s5, v8, v2 src0_sel:BYTE_0 src1_sel:DWORD
	s_and_saveexec_b32 s7, s5
	s_cbranch_execz .LBB259_1810
; %bb.1805:                             ;   in Loop: Header=BB259_11 Depth=1
	v_mov_b32_e32 v18, 0x7f800001
	v_and_b32_e32 v2, 0x7f, v8
	v_mov_b32_e32 v19, 0
	s_mov_b32 s19, exec_lo
	v_cmpx_ne_u32_e32 0x7f, v2
	s_cbranch_execz .LBB259_1809
; %bb.1806:                             ;   in Loop: Header=BB259_11 Depth=1
	v_and_b32_e32 v27, 7, v8
	v_lshrrev_b32_e32 v9, 3, v2
	v_cmp_gt_u32_e64 s5, 8, v2
	v_mov_b32_e32 v2, v27
	v_mov_b32_e32 v3, v28
	s_and_saveexec_b32 s22, s5
; %bb.1807:                             ;   in Loop: Header=BB259_11 Depth=1
	v_ffbh_u32_e32 v2, v27
	v_min_u32_e32 v9, 32, v2
	v_subrev_nc_u32_e32 v2, 28, v9
	v_sub_nc_u32_e32 v9, 29, v9
	v_lshlrev_b64 v[2:3], v2, v[27:28]
	v_and_b32_e32 v2, 7, v2
; %bb.1808:                             ;   in Loop: Header=BB259_11 Depth=1
	s_or_b32 exec_lo, exec_lo, s22
	v_lshlrev_b32_e32 v3, 24, v8
	v_lshlrev_b32_e32 v2, 20, v2
	v_lshl_add_u32 v9, v9, 23, 0x3c000000
	v_and_b32_e32 v3, 0x80000000, v3
	v_or3_b32 v27, v2, v3, v9
	v_mov_b32_e32 v18, v27
	v_mov_b32_e32 v19, v28
.LBB259_1809:                           ;   in Loop: Header=BB259_11 Depth=1
	s_or_b32 exec_lo, exec_lo, s19
.LBB259_1810:                           ;   in Loop: Header=BB259_11 Depth=1
	s_or_b32 exec_lo, exec_lo, s7
.LBB259_1811:                           ;   in Loop: Header=BB259_11 Depth=1
	s_or_b32 exec_lo, exec_lo, s6
	v_cmp_ne_u16_sdwa s5, v8, v28 src0_sel:BYTE_1 src1_sel:DWORD
	s_and_saveexec_b32 s6, s5
	s_cbranch_execz .LBB259_1819
; %bb.1812:                             ;   in Loop: Header=BB259_11 Depth=1
	v_mov_b32_e32 v98, v28
	v_mov_b32_e32 v2, 0x80
	v_mov_b32_e32 v52, v98
	v_cmp_ne_u16_sdwa s5, v8, v2 src0_sel:BYTE_1 src1_sel:DWORD
	v_mov_b32_e32 v53, v99
	s_and_saveexec_b32 s7, s5
	s_cbranch_execz .LBB259_1818
; %bb.1813:                             ;   in Loop: Header=BB259_11 Depth=1
	v_mov_b32_e32 v2, 0xffff
	v_mov_b32_e32 v116, v28
	s_mov_b32 s19, exec_lo
	v_and_b32_sdwa v3, v2, v8 dst_sel:DWORD dst_unused:UNUSED_PAD src0_sel:DWORD src1_sel:BYTE_1
	v_mov_b32_e32 v52, v116
	v_mov_b32_e32 v53, v117
	v_and_b32_e32 v2, 0x7f, v3
	v_cmpx_ne_u32_e32 0x7f, v2
	s_cbranch_execz .LBB259_1817
; %bb.1814:                             ;   in Loop: Header=BB259_11 Depth=1
	v_and_b32_e32 v27, 7, v3
	v_lshrrev_b32_e32 v9, 3, v2
	v_cmp_gt_u32_e64 s5, 8, v2
	v_mov_b32_e32 v2, v27
	v_mov_b32_e32 v3, v28
	s_and_saveexec_b32 s22, s5
; %bb.1815:                             ;   in Loop: Header=BB259_11 Depth=1
	v_ffbh_u32_e32 v2, v27
	v_min_u32_e32 v9, 32, v2
	v_subrev_nc_u32_e32 v2, 28, v9
	v_sub_nc_u32_e32 v9, 29, v9
	v_lshlrev_b64 v[2:3], v2, v[27:28]
	v_and_b32_e32 v2, 7, v2
; %bb.1816:                             ;   in Loop: Header=BB259_11 Depth=1
	s_or_b32 exec_lo, exec_lo, s22
	v_lshlrev_b32_e32 v3, 16, v8
	v_lshlrev_b32_e32 v2, 20, v2
	v_lshl_add_u32 v9, v9, 23, 0x3c000000
	v_mov_b32_e32 v52, v28
	v_and_b32_e32 v3, 0x80000000, v3
	v_or3_b32 v53, v2, v3, v9
.LBB259_1817:                           ;   in Loop: Header=BB259_11 Depth=1
	s_or_b32 exec_lo, exec_lo, s19
.LBB259_1818:                           ;   in Loop: Header=BB259_11 Depth=1
	s_or_b32 exec_lo, exec_lo, s7
.LBB259_1819:                           ;   in Loop: Header=BB259_11 Depth=1
	s_or_b32 exec_lo, exec_lo, s6
	v_mov_b32_e32 v92, 0
	v_mov_b32_e32 v39, 0
	v_and_b32_sdwa v2, v8, v6 dst_sel:DWORD dst_unused:UNUSED_PAD src0_sel:WORD_1 src1_sel:DWORD
	v_mov_b32_e32 v93, 0
	v_mov_b32_e32 v40, 0
	s_mov_b32 s6, exec_lo
	v_cmpx_ne_u16_e32 0, v2
	s_cbranch_execz .LBB259_1827
; %bb.1820:                             ;   in Loop: Header=BB259_11 Depth=1
	v_bfrev_b32_e32 v39, 1
	v_mov_b32_e32 v40, 0
	s_mov_b32 s7, exec_lo
	v_cmpx_ne_u16_e32 0x80, v2
	s_cbranch_execz .LBB259_1826
; %bb.1821:                             ;   in Loop: Header=BB259_11 Depth=1
	v_mov_b32_e32 v39, 0x7f800001
	v_bfe_u32 v2, v8, 16, 7
	v_mov_b32_e32 v40, 0
	s_mov_b32 s19, exec_lo
	v_cmpx_ne_u32_e32 0x7f, v2
	s_cbranch_execz .LBB259_1825
; %bb.1822:                             ;   in Loop: Header=BB259_11 Depth=1
	v_mov_b32_e32 v3, 7
	v_lshrrev_b32_e32 v9, 3, v2
	v_cmp_gt_u32_e64 s5, 8, v2
	v_and_b32_sdwa v27, v8, v3 dst_sel:DWORD dst_unused:UNUSED_PAD src0_sel:WORD_1 src1_sel:DWORD
	v_mov_b32_e32 v2, v27
	v_mov_b32_e32 v3, v28
	s_and_saveexec_b32 s22, s5
; %bb.1823:                             ;   in Loop: Header=BB259_11 Depth=1
	v_ffbh_u32_e32 v2, v27
	v_min_u32_e32 v9, 32, v2
	v_subrev_nc_u32_e32 v2, 28, v9
	v_sub_nc_u32_e32 v9, 29, v9
	v_lshlrev_b64 v[2:3], v2, v[27:28]
	v_and_b32_e32 v2, 7, v2
; %bb.1824:                             ;   in Loop: Header=BB259_11 Depth=1
	s_or_b32 exec_lo, exec_lo, s22
	v_mov_b32_e32 v3, 24
	v_lshlrev_b32_e32 v2, 20, v2
	v_lshl_add_u32 v9, v9, 23, 0x3c000000
	v_lshlrev_b32_sdwa v3, v3, v8 dst_sel:DWORD dst_unused:UNUSED_PAD src0_sel:DWORD src1_sel:WORD_1
	v_and_b32_e32 v3, 0x80000000, v3
	v_or3_b32 v27, v2, v3, v9
	v_mov_b32_e32 v40, v28
	v_mov_b32_e32 v39, v27
.LBB259_1825:                           ;   in Loop: Header=BB259_11 Depth=1
	s_or_b32 exec_lo, exec_lo, s19
.LBB259_1826:                           ;   in Loop: Header=BB259_11 Depth=1
	s_or_b32 exec_lo, exec_lo, s7
.LBB259_1827:                           ;   in Loop: Header=BB259_11 Depth=1
	s_or_b32 exec_lo, exec_lo, s6
	s_mov_b32 s6, exec_lo
	v_cmpx_lt_u32_e32 0xffffff, v8
	s_cbranch_execz .LBB259_1835
; %bb.1828:                             ;   in Loop: Header=BB259_11 Depth=1
	v_mov_b32_e32 v98, v28
	v_mov_b32_e32 v2, 0x80
	;; [unrolled: 1-line block ×3, first 2 shown]
	v_cmp_ne_u32_sdwa s5, v8, v2 src0_sel:BYTE_3 src1_sel:DWORD
	v_mov_b32_e32 v93, v99
	s_and_saveexec_b32 s7, s5
	s_cbranch_execz .LBB259_1834
; %bb.1829:                             ;   in Loop: Header=BB259_11 Depth=1
	v_mov_b32_e32 v116, v28
	v_bfe_u32 v2, v8, 24, 7
	s_mov_b32 s19, exec_lo
	v_mov_b32_e32 v92, v116
	v_mov_b32_e32 v93, v117
	v_cmpx_ne_u32_e32 0x7f, v2
	s_cbranch_execz .LBB259_1833
; %bb.1830:                             ;   in Loop: Header=BB259_11 Depth=1
	v_mov_b32_e32 v3, 7
	v_lshrrev_b32_e32 v9, 3, v2
	v_cmp_gt_u32_e64 s5, 8, v2
	v_and_b32_sdwa v27, v8, v3 dst_sel:DWORD dst_unused:UNUSED_PAD src0_sel:BYTE_3 src1_sel:DWORD
	v_mov_b32_e32 v2, v27
	v_mov_b32_e32 v3, v28
	s_and_saveexec_b32 s22, s5
; %bb.1831:                             ;   in Loop: Header=BB259_11 Depth=1
	v_ffbh_u32_e32 v2, v27
	v_min_u32_e32 v9, 32, v2
	v_subrev_nc_u32_e32 v2, 28, v9
	v_sub_nc_u32_e32 v9, 29, v9
	v_lshlrev_b64 v[2:3], v2, v[27:28]
	v_and_b32_e32 v2, 7, v2
; %bb.1832:                             ;   in Loop: Header=BB259_11 Depth=1
	s_or_b32 exec_lo, exec_lo, s22
	v_mov_b32_e32 v3, 24
	v_lshlrev_b32_e32 v2, 20, v2
	v_mov_b32_e32 v92, v28
	v_lshlrev_b32_sdwa v3, v3, v8 dst_sel:DWORD dst_unused:UNUSED_PAD src0_sel:DWORD src1_sel:BYTE_3
	v_lshl_add_u32 v8, v9, 23, 0x3c000000
	v_and_b32_e32 v3, 0x80000000, v3
	v_or3_b32 v93, v2, v3, v8
.LBB259_1833:                           ;   in Loop: Header=BB259_11 Depth=1
	s_or_b32 exec_lo, exec_lo, s19
.LBB259_1834:                           ;   in Loop: Header=BB259_11 Depth=1
	s_or_b32 exec_lo, exec_lo, s7
.LBB259_1835:                           ;   in Loop: Header=BB259_11 Depth=1
	s_or_b32 exec_lo, exec_lo, s6
	flat_load_dword v8, v[76:77] offset:1028
	v_mov_b32_e32 v108, 0
	v_mov_b32_e32 v94, 0
	;; [unrolled: 1-line block ×4, first 2 shown]
	s_waitcnt vmcnt(0) lgkmcnt(0)
	v_cmp_ne_u16_sdwa s5, v8, v28 src0_sel:BYTE_0 src1_sel:DWORD
	s_and_saveexec_b32 s6, s5
	s_cbranch_execz .LBB259_1843
; %bb.1836:                             ;   in Loop: Header=BB259_11 Depth=1
	v_mov_b32_e32 v2, 0x80
	v_bfrev_b32_e32 v94, 1
	v_mov_b32_e32 v95, 0
	v_cmp_ne_u16_sdwa s5, v8, v2 src0_sel:BYTE_0 src1_sel:DWORD
	s_and_saveexec_b32 s7, s5
	s_cbranch_execz .LBB259_1842
; %bb.1837:                             ;   in Loop: Header=BB259_11 Depth=1
	v_mov_b32_e32 v94, 0x7f800001
	v_and_b32_e32 v2, 0x7f, v8
	v_mov_b32_e32 v95, 0
	s_mov_b32 s19, exec_lo
	v_cmpx_ne_u32_e32 0x7f, v2
	s_cbranch_execz .LBB259_1841
; %bb.1838:                             ;   in Loop: Header=BB259_11 Depth=1
	v_and_b32_e32 v27, 7, v8
	v_lshrrev_b32_e32 v9, 3, v2
	v_cmp_gt_u32_e64 s5, 8, v2
	v_mov_b32_e32 v2, v27
	v_mov_b32_e32 v3, v28
	s_and_saveexec_b32 s22, s5
; %bb.1839:                             ;   in Loop: Header=BB259_11 Depth=1
	v_ffbh_u32_e32 v2, v27
	v_min_u32_e32 v9, 32, v2
	v_subrev_nc_u32_e32 v2, 28, v9
	v_sub_nc_u32_e32 v9, 29, v9
	v_lshlrev_b64 v[2:3], v2, v[27:28]
	v_and_b32_e32 v2, 7, v2
; %bb.1840:                             ;   in Loop: Header=BB259_11 Depth=1
	s_or_b32 exec_lo, exec_lo, s22
	v_lshlrev_b32_e32 v3, 24, v8
	v_lshlrev_b32_e32 v2, 20, v2
	v_lshl_add_u32 v9, v9, 23, 0x3c000000
	v_and_b32_e32 v3, 0x80000000, v3
	v_or3_b32 v27, v2, v3, v9
	v_mov_b32_e32 v95, v28
	v_mov_b32_e32 v94, v27
.LBB259_1841:                           ;   in Loop: Header=BB259_11 Depth=1
	s_or_b32 exec_lo, exec_lo, s19
.LBB259_1842:                           ;   in Loop: Header=BB259_11 Depth=1
	s_or_b32 exec_lo, exec_lo, s7
.LBB259_1843:                           ;   in Loop: Header=BB259_11 Depth=1
	s_or_b32 exec_lo, exec_lo, s6
	v_cmp_ne_u16_sdwa s5, v8, v28 src0_sel:BYTE_1 src1_sel:DWORD
	s_and_saveexec_b32 s6, s5
	s_cbranch_execz .LBB259_1851
; %bb.1844:                             ;   in Loop: Header=BB259_11 Depth=1
	v_mov_b32_e32 v98, v28
	v_mov_b32_e32 v2, 0x80
	;; [unrolled: 1-line block ×4, first 2 shown]
	v_cmp_ne_u16_sdwa s5, v8, v2 src0_sel:BYTE_1 src1_sel:DWORD
	s_and_saveexec_b32 s7, s5
	s_cbranch_execz .LBB259_1850
; %bb.1845:                             ;   in Loop: Header=BB259_11 Depth=1
	v_mov_b32_e32 v2, 0xffff
	v_mov_b32_e32 v116, v28
	s_mov_b32 s19, exec_lo
	v_and_b32_sdwa v3, v2, v8 dst_sel:DWORD dst_unused:UNUSED_PAD src0_sel:DWORD src1_sel:BYTE_1
	v_mov_b32_e32 v108, v116
	v_mov_b32_e32 v109, v117
	v_and_b32_e32 v2, 0x7f, v3
	v_cmpx_ne_u32_e32 0x7f, v2
	s_cbranch_execz .LBB259_1849
; %bb.1846:                             ;   in Loop: Header=BB259_11 Depth=1
	v_and_b32_e32 v27, 7, v3
	v_lshrrev_b32_e32 v9, 3, v2
	v_cmp_gt_u32_e64 s5, 8, v2
	v_mov_b32_e32 v2, v27
	v_mov_b32_e32 v3, v28
	s_and_saveexec_b32 s22, s5
; %bb.1847:                             ;   in Loop: Header=BB259_11 Depth=1
	v_ffbh_u32_e32 v2, v27
	v_min_u32_e32 v9, 32, v2
	v_subrev_nc_u32_e32 v2, 28, v9
	v_sub_nc_u32_e32 v9, 29, v9
	v_lshlrev_b64 v[2:3], v2, v[27:28]
	v_and_b32_e32 v2, 7, v2
; %bb.1848:                             ;   in Loop: Header=BB259_11 Depth=1
	s_or_b32 exec_lo, exec_lo, s22
	v_lshlrev_b32_e32 v3, 16, v8
	v_lshlrev_b32_e32 v2, 20, v2
	v_lshl_add_u32 v9, v9, 23, 0x3c000000
	v_mov_b32_e32 v108, v28
	v_and_b32_e32 v3, 0x80000000, v3
	v_or3_b32 v109, v2, v3, v9
.LBB259_1849:                           ;   in Loop: Header=BB259_11 Depth=1
	s_or_b32 exec_lo, exec_lo, s19
.LBB259_1850:                           ;   in Loop: Header=BB259_11 Depth=1
	s_or_b32 exec_lo, exec_lo, s7
.LBB259_1851:                           ;   in Loop: Header=BB259_11 Depth=1
	s_or_b32 exec_lo, exec_lo, s6
	v_mov_b32_e32 v122, 0
	v_mov_b32_e32 v33, 0
	v_and_b32_sdwa v2, v8, v6 dst_sel:DWORD dst_unused:UNUSED_PAD src0_sel:WORD_1 src1_sel:DWORD
	v_mov_b32_e32 v123, 0
	v_mov_b32_e32 v34, 0
	s_mov_b32 s6, exec_lo
	v_cmpx_ne_u16_e32 0, v2
	s_cbranch_execz .LBB259_1859
; %bb.1852:                             ;   in Loop: Header=BB259_11 Depth=1
	v_bfrev_b32_e32 v33, 1
	v_mov_b32_e32 v34, 0
	s_mov_b32 s7, exec_lo
	v_cmpx_ne_u16_e32 0x80, v2
	s_cbranch_execz .LBB259_1858
; %bb.1853:                             ;   in Loop: Header=BB259_11 Depth=1
	v_mov_b32_e32 v33, 0x7f800001
	v_bfe_u32 v2, v8, 16, 7
	v_mov_b32_e32 v34, 0
	s_mov_b32 s19, exec_lo
	v_cmpx_ne_u32_e32 0x7f, v2
	s_cbranch_execz .LBB259_1857
; %bb.1854:                             ;   in Loop: Header=BB259_11 Depth=1
	v_mov_b32_e32 v3, 7
	v_lshrrev_b32_e32 v9, 3, v2
	v_cmp_gt_u32_e64 s5, 8, v2
	v_and_b32_sdwa v27, v8, v3 dst_sel:DWORD dst_unused:UNUSED_PAD src0_sel:WORD_1 src1_sel:DWORD
	v_mov_b32_e32 v2, v27
	v_mov_b32_e32 v3, v28
	s_and_saveexec_b32 s22, s5
; %bb.1855:                             ;   in Loop: Header=BB259_11 Depth=1
	v_ffbh_u32_e32 v2, v27
	v_min_u32_e32 v9, 32, v2
	v_subrev_nc_u32_e32 v2, 28, v9
	v_sub_nc_u32_e32 v9, 29, v9
	v_lshlrev_b64 v[2:3], v2, v[27:28]
	v_and_b32_e32 v2, 7, v2
; %bb.1856:                             ;   in Loop: Header=BB259_11 Depth=1
	s_or_b32 exec_lo, exec_lo, s22
	v_mov_b32_e32 v3, 24
	v_lshlrev_b32_e32 v2, 20, v2
	v_lshl_add_u32 v9, v9, 23, 0x3c000000
	v_lshlrev_b32_sdwa v3, v3, v8 dst_sel:DWORD dst_unused:UNUSED_PAD src0_sel:DWORD src1_sel:WORD_1
	v_and_b32_e32 v3, 0x80000000, v3
	v_or3_b32 v27, v2, v3, v9
	v_mov_b32_e32 v34, v28
	v_mov_b32_e32 v33, v27
.LBB259_1857:                           ;   in Loop: Header=BB259_11 Depth=1
	s_or_b32 exec_lo, exec_lo, s19
.LBB259_1858:                           ;   in Loop: Header=BB259_11 Depth=1
	s_or_b32 exec_lo, exec_lo, s7
.LBB259_1859:                           ;   in Loop: Header=BB259_11 Depth=1
	s_or_b32 exec_lo, exec_lo, s6
	s_mov_b32 s6, exec_lo
	v_cmpx_lt_u32_e32 0xffffff, v8
	s_cbranch_execz .LBB259_1867
; %bb.1860:                             ;   in Loop: Header=BB259_11 Depth=1
	v_mov_b32_e32 v98, v28
	v_mov_b32_e32 v2, 0x80
	;; [unrolled: 1-line block ×4, first 2 shown]
	v_cmp_ne_u32_sdwa s5, v8, v2 src0_sel:BYTE_3 src1_sel:DWORD
	s_and_saveexec_b32 s7, s5
	s_cbranch_execz .LBB259_1866
; %bb.1861:                             ;   in Loop: Header=BB259_11 Depth=1
	v_mov_b32_e32 v116, v28
	v_mov_b32_e32 v123, v117
	v_bfe_u32 v2, v8, 24, 7
	s_mov_b32 s19, exec_lo
	v_mov_b32_e32 v122, v116
	v_cmpx_ne_u32_e32 0x7f, v2
	s_cbranch_execz .LBB259_1865
; %bb.1862:                             ;   in Loop: Header=BB259_11 Depth=1
	v_mov_b32_e32 v3, 7
	v_lshrrev_b32_e32 v9, 3, v2
	v_cmp_gt_u32_e64 s5, 8, v2
	v_and_b32_sdwa v27, v8, v3 dst_sel:DWORD dst_unused:UNUSED_PAD src0_sel:BYTE_3 src1_sel:DWORD
	v_mov_b32_e32 v2, v27
	v_mov_b32_e32 v3, v28
	s_and_saveexec_b32 s22, s5
; %bb.1863:                             ;   in Loop: Header=BB259_11 Depth=1
	v_ffbh_u32_e32 v2, v27
	v_min_u32_e32 v9, 32, v2
	v_subrev_nc_u32_e32 v2, 28, v9
	v_sub_nc_u32_e32 v9, 29, v9
	v_lshlrev_b64 v[2:3], v2, v[27:28]
	v_and_b32_e32 v2, 7, v2
; %bb.1864:                             ;   in Loop: Header=BB259_11 Depth=1
	s_or_b32 exec_lo, exec_lo, s22
	v_mov_b32_e32 v3, 24
	v_lshlrev_b32_e32 v2, 20, v2
	v_mov_b32_e32 v122, v28
	v_lshlrev_b32_sdwa v3, v3, v8 dst_sel:DWORD dst_unused:UNUSED_PAD src0_sel:DWORD src1_sel:BYTE_3
	v_lshl_add_u32 v8, v9, 23, 0x3c000000
	v_and_b32_e32 v3, 0x80000000, v3
	v_or3_b32 v123, v2, v3, v8
.LBB259_1865:                           ;   in Loop: Header=BB259_11 Depth=1
	s_or_b32 exec_lo, exec_lo, s19
.LBB259_1866:                           ;   in Loop: Header=BB259_11 Depth=1
	s_or_b32 exec_lo, exec_lo, s7
.LBB259_1867:                           ;   in Loop: Header=BB259_11 Depth=1
	s_or_b32 exec_lo, exec_lo, s6
	flat_load_dword v8, v[76:77] offset:1032
	v_mov_b32_e32 v72, 0
	v_mov_b32_e32 v104, 0
	;; [unrolled: 1-line block ×4, first 2 shown]
	s_waitcnt vmcnt(0) lgkmcnt(0)
	v_cmp_ne_u16_sdwa s5, v8, v28 src0_sel:BYTE_0 src1_sel:DWORD
	s_and_saveexec_b32 s6, s5
	s_cbranch_execz .LBB259_1875
; %bb.1868:                             ;   in Loop: Header=BB259_11 Depth=1
	v_mov_b32_e32 v2, 0x80
	v_bfrev_b32_e32 v104, 1
	v_mov_b32_e32 v105, 0
	v_cmp_ne_u16_sdwa s5, v8, v2 src0_sel:BYTE_0 src1_sel:DWORD
	s_and_saveexec_b32 s7, s5
	s_cbranch_execz .LBB259_1874
; %bb.1869:                             ;   in Loop: Header=BB259_11 Depth=1
	v_mov_b32_e32 v104, 0x7f800001
	v_and_b32_e32 v2, 0x7f, v8
	v_mov_b32_e32 v105, 0
	s_mov_b32 s19, exec_lo
	v_cmpx_ne_u32_e32 0x7f, v2
	s_cbranch_execz .LBB259_1873
; %bb.1870:                             ;   in Loop: Header=BB259_11 Depth=1
	v_and_b32_e32 v27, 7, v8
	v_lshrrev_b32_e32 v9, 3, v2
	v_cmp_gt_u32_e64 s5, 8, v2
	v_mov_b32_e32 v2, v27
	v_mov_b32_e32 v3, v28
	s_and_saveexec_b32 s22, s5
; %bb.1871:                             ;   in Loop: Header=BB259_11 Depth=1
	v_ffbh_u32_e32 v2, v27
	v_min_u32_e32 v9, 32, v2
	v_subrev_nc_u32_e32 v2, 28, v9
	v_sub_nc_u32_e32 v9, 29, v9
	v_lshlrev_b64 v[2:3], v2, v[27:28]
	v_and_b32_e32 v2, 7, v2
; %bb.1872:                             ;   in Loop: Header=BB259_11 Depth=1
	s_or_b32 exec_lo, exec_lo, s22
	v_lshlrev_b32_e32 v3, 24, v8
	v_lshlrev_b32_e32 v2, 20, v2
	v_lshl_add_u32 v9, v9, 23, 0x3c000000
	v_and_b32_e32 v3, 0x80000000, v3
	v_or3_b32 v27, v2, v3, v9
	v_mov_b32_e32 v105, v28
	v_mov_b32_e32 v104, v27
.LBB259_1873:                           ;   in Loop: Header=BB259_11 Depth=1
	s_or_b32 exec_lo, exec_lo, s19
.LBB259_1874:                           ;   in Loop: Header=BB259_11 Depth=1
	s_or_b32 exec_lo, exec_lo, s7
.LBB259_1875:                           ;   in Loop: Header=BB259_11 Depth=1
	s_or_b32 exec_lo, exec_lo, s6
	v_cmp_ne_u16_sdwa s5, v8, v28 src0_sel:BYTE_1 src1_sel:DWORD
	s_and_saveexec_b32 s6, s5
	s_cbranch_execz .LBB259_1883
; %bb.1876:                             ;   in Loop: Header=BB259_11 Depth=1
	v_mov_b32_e32 v98, v28
	v_mov_b32_e32 v2, 0x80
	;; [unrolled: 1-line block ×3, first 2 shown]
	v_cmp_ne_u16_sdwa s5, v8, v2 src0_sel:BYTE_1 src1_sel:DWORD
	v_mov_b32_e32 v73, v99
	s_and_saveexec_b32 s7, s5
	s_cbranch_execz .LBB259_1882
; %bb.1877:                             ;   in Loop: Header=BB259_11 Depth=1
	v_mov_b32_e32 v2, 0xffff
	v_mov_b32_e32 v116, v28
	s_mov_b32 s19, exec_lo
	v_and_b32_sdwa v3, v2, v8 dst_sel:DWORD dst_unused:UNUSED_PAD src0_sel:DWORD src1_sel:BYTE_1
	v_mov_b32_e32 v72, v116
	v_mov_b32_e32 v73, v117
	v_and_b32_e32 v2, 0x7f, v3
	v_cmpx_ne_u32_e32 0x7f, v2
	s_cbranch_execz .LBB259_1881
; %bb.1878:                             ;   in Loop: Header=BB259_11 Depth=1
	v_and_b32_e32 v27, 7, v3
	v_lshrrev_b32_e32 v9, 3, v2
	v_cmp_gt_u32_e64 s5, 8, v2
	v_mov_b32_e32 v2, v27
	v_mov_b32_e32 v3, v28
	s_and_saveexec_b32 s22, s5
; %bb.1879:                             ;   in Loop: Header=BB259_11 Depth=1
	v_ffbh_u32_e32 v2, v27
	v_min_u32_e32 v9, 32, v2
	v_subrev_nc_u32_e32 v2, 28, v9
	v_sub_nc_u32_e32 v9, 29, v9
	v_lshlrev_b64 v[2:3], v2, v[27:28]
	v_and_b32_e32 v2, 7, v2
; %bb.1880:                             ;   in Loop: Header=BB259_11 Depth=1
	s_or_b32 exec_lo, exec_lo, s22
	v_lshlrev_b32_e32 v3, 16, v8
	v_lshlrev_b32_e32 v2, 20, v2
	v_lshl_add_u32 v9, v9, 23, 0x3c000000
	v_mov_b32_e32 v72, v28
	v_and_b32_e32 v3, 0x80000000, v3
	v_or3_b32 v73, v2, v3, v9
.LBB259_1881:                           ;   in Loop: Header=BB259_11 Depth=1
	s_or_b32 exec_lo, exec_lo, s19
.LBB259_1882:                           ;   in Loop: Header=BB259_11 Depth=1
	s_or_b32 exec_lo, exec_lo, s7
.LBB259_1883:                           ;   in Loop: Header=BB259_11 Depth=1
	s_or_b32 exec_lo, exec_lo, s6
	v_mov_b32_e32 v12, 0
	v_mov_b32_e32 v2, 0
	v_and_b32_sdwa v9, v8, v6 dst_sel:DWORD dst_unused:UNUSED_PAD src0_sel:WORD_1 src1_sel:DWORD
	v_mov_b32_e32 v13, 0
	v_mov_b32_e32 v3, 0
	s_mov_b32 s6, exec_lo
	v_cmpx_ne_u16_e32 0, v9
	s_cbranch_execz .LBB259_1891
; %bb.1884:                             ;   in Loop: Header=BB259_11 Depth=1
	v_bfrev_b32_e32 v2, 1
	v_mov_b32_e32 v3, 0
	s_mov_b32 s7, exec_lo
	v_cmpx_ne_u16_e32 0x80, v9
	s_cbranch_execz .LBB259_1890
; %bb.1885:                             ;   in Loop: Header=BB259_11 Depth=1
	v_mov_b32_e32 v2, 0x7f800001
	v_bfe_u32 v14, v8, 16, 7
	v_mov_b32_e32 v3, 0
	s_mov_b32 s19, exec_lo
	v_cmpx_ne_u32_e32 0x7f, v14
	s_cbranch_execz .LBB259_1889
; %bb.1886:                             ;   in Loop: Header=BB259_11 Depth=1
	v_mov_b32_e32 v2, 7
	v_lshrrev_b32_e32 v9, 3, v14
	s_mov_b32 s22, exec_lo
	v_and_b32_sdwa v27, v8, v2 dst_sel:DWORD dst_unused:UNUSED_PAD src0_sel:WORD_1 src1_sel:DWORD
	v_mov_b32_e32 v2, v27
	v_mov_b32_e32 v3, v28
	v_cmpx_gt_u32_e32 8, v14
; %bb.1887:                             ;   in Loop: Header=BB259_11 Depth=1
	v_ffbh_u32_e32 v2, v27
	v_min_u32_e32 v9, 32, v2
	v_subrev_nc_u32_e32 v2, 28, v9
	v_sub_nc_u32_e32 v9, 29, v9
	v_lshlrev_b64 v[2:3], v2, v[27:28]
	v_and_b32_e32 v2, 7, v2
; %bb.1888:                             ;   in Loop: Header=BB259_11 Depth=1
	s_or_b32 exec_lo, exec_lo, s22
	v_mov_b32_e32 v3, 24
	v_lshlrev_b32_e32 v2, 20, v2
	v_lshl_add_u32 v9, v9, 23, 0x3c000000
	v_lshlrev_b32_sdwa v3, v3, v8 dst_sel:DWORD dst_unused:UNUSED_PAD src0_sel:DWORD src1_sel:WORD_1
	v_and_b32_e32 v3, 0x80000000, v3
	v_or3_b32 v27, v2, v3, v9
	v_mov_b32_e32 v2, v27
	v_mov_b32_e32 v3, v28
.LBB259_1889:                           ;   in Loop: Header=BB259_11 Depth=1
	s_or_b32 exec_lo, exec_lo, s19
.LBB259_1890:                           ;   in Loop: Header=BB259_11 Depth=1
	s_or_b32 exec_lo, exec_lo, s7
.LBB259_1891:                           ;   in Loop: Header=BB259_11 Depth=1
	s_or_b32 exec_lo, exec_lo, s6
	s_mov_b32 s6, exec_lo
	v_cmpx_lt_u32_e32 0xffffff, v8
	s_cbranch_execz .LBB259_1899
; %bb.1892:                             ;   in Loop: Header=BB259_11 Depth=1
	v_mov_b32_e32 v98, v28
	v_mov_b32_e32 v4, 0x80
	v_mov_b32_e32 v12, v98
	v_cmp_ne_u32_sdwa s5, v8, v4 src0_sel:BYTE_3 src1_sel:DWORD
	v_mov_b32_e32 v13, v99
	s_and_saveexec_b32 s7, s5
	s_cbranch_execz .LBB259_1898
; %bb.1893:                             ;   in Loop: Header=BB259_11 Depth=1
	v_mov_b32_e32 v116, v28
	v_bfe_u32 v14, v8, 24, 7
	s_mov_b32 s19, exec_lo
	v_mov_b32_e32 v12, v116
	v_mov_b32_e32 v13, v117
	v_cmpx_ne_u32_e32 0x7f, v14
	s_cbranch_execz .LBB259_1897
; %bb.1894:                             ;   in Loop: Header=BB259_11 Depth=1
	v_mov_b32_e32 v4, 7
	v_lshrrev_b32_e32 v9, 3, v14
	s_mov_b32 s22, exec_lo
	v_and_b32_sdwa v27, v8, v4 dst_sel:DWORD dst_unused:UNUSED_PAD src0_sel:BYTE_3 src1_sel:DWORD
	v_mov_b32_e32 v12, v27
	v_mov_b32_e32 v13, v28
	v_cmpx_gt_u32_e32 8, v14
; %bb.1895:                             ;   in Loop: Header=BB259_11 Depth=1
	v_ffbh_u32_e32 v9, v27
	v_min_u32_e32 v9, 32, v9
	v_subrev_nc_u32_e32 v12, 28, v9
	v_sub_nc_u32_e32 v9, 29, v9
	v_lshlrev_b64 v[12:13], v12, v[27:28]
	v_and_b32_e32 v12, 7, v12
; %bb.1896:                             ;   in Loop: Header=BB259_11 Depth=1
	s_or_b32 exec_lo, exec_lo, s22
	v_mov_b32_e32 v4, 24
	v_lshlrev_b32_e32 v12, 20, v12
	v_lshl_add_u32 v9, v9, 23, 0x3c000000
	v_lshlrev_b32_sdwa v8, v4, v8 dst_sel:DWORD dst_unused:UNUSED_PAD src0_sel:DWORD src1_sel:BYTE_3
	v_and_b32_e32 v8, 0x80000000, v8
	v_or3_b32 v13, v12, v8, v9
	v_mov_b32_e32 v12, v28
.LBB259_1897:                           ;   in Loop: Header=BB259_11 Depth=1
	s_or_b32 exec_lo, exec_lo, s19
.LBB259_1898:                           ;   in Loop: Header=BB259_11 Depth=1
	s_or_b32 exec_lo, exec_lo, s7
.LBB259_1899:                           ;   in Loop: Header=BB259_11 Depth=1
	s_or_b32 exec_lo, exec_lo, s6
	flat_load_dword v8, v[76:77] offset:1036
	v_mov_b32_e32 v70, 0
	v_mov_b32_e32 v80, 0
	;; [unrolled: 1-line block ×4, first 2 shown]
	s_waitcnt vmcnt(0) lgkmcnt(0)
	v_cmp_ne_u16_sdwa s5, v8, v28 src0_sel:BYTE_0 src1_sel:DWORD
	s_and_saveexec_b32 s6, s5
	s_cbranch_execz .LBB259_1907
; %bb.1900:                             ;   in Loop: Header=BB259_11 Depth=1
	v_mov_b32_e32 v4, 0x80
	v_bfrev_b32_e32 v80, 1
	v_mov_b32_e32 v81, 0
	v_cmp_ne_u16_sdwa s5, v8, v4 src0_sel:BYTE_0 src1_sel:DWORD
	s_and_saveexec_b32 s7, s5
	s_cbranch_execz .LBB259_1906
; %bb.1901:                             ;   in Loop: Header=BB259_11 Depth=1
	v_mov_b32_e32 v80, 0x7f800001
	v_and_b32_e32 v14, 0x7f, v8
	v_mov_b32_e32 v81, 0
	s_mov_b32 s19, exec_lo
	v_cmpx_ne_u32_e32 0x7f, v14
	s_cbranch_execz .LBB259_1905
; %bb.1902:                             ;   in Loop: Header=BB259_11 Depth=1
	v_and_b32_e32 v27, 7, v8
	v_lshrrev_b32_e32 v9, 3, v14
	v_cmp_gt_u32_e64 s5, 8, v14
	v_mov_b32_e32 v14, v27
	v_mov_b32_e32 v15, v28
	s_and_saveexec_b32 s22, s5
; %bb.1903:                             ;   in Loop: Header=BB259_11 Depth=1
	v_ffbh_u32_e32 v9, v27
	v_min_u32_e32 v9, 32, v9
	v_subrev_nc_u32_e32 v14, 28, v9
	v_sub_nc_u32_e32 v9, 29, v9
	v_lshlrev_b64 v[14:15], v14, v[27:28]
	v_and_b32_e32 v14, 7, v14
; %bb.1904:                             ;   in Loop: Header=BB259_11 Depth=1
	s_or_b32 exec_lo, exec_lo, s22
	v_lshlrev_b32_e32 v15, 24, v8
	v_lshlrev_b32_e32 v14, 20, v14
	v_lshl_add_u32 v9, v9, 23, 0x3c000000
	v_and_b32_e32 v15, 0x80000000, v15
	v_or3_b32 v27, v14, v15, v9
	v_mov_b32_e32 v81, v28
	v_mov_b32_e32 v80, v27
.LBB259_1905:                           ;   in Loop: Header=BB259_11 Depth=1
	s_or_b32 exec_lo, exec_lo, s19
.LBB259_1906:                           ;   in Loop: Header=BB259_11 Depth=1
	s_or_b32 exec_lo, exec_lo, s7
.LBB259_1907:                           ;   in Loop: Header=BB259_11 Depth=1
	s_or_b32 exec_lo, exec_lo, s6
	v_cmp_ne_u16_sdwa s5, v8, v28 src0_sel:BYTE_1 src1_sel:DWORD
	s_and_saveexec_b32 s6, s5
	s_cbranch_execz .LBB259_1915
; %bb.1908:                             ;   in Loop: Header=BB259_11 Depth=1
	v_mov_b32_e32 v98, v28
	v_mov_b32_e32 v4, 0x80
	;; [unrolled: 1-line block ×3, first 2 shown]
	v_cmp_ne_u16_sdwa s5, v8, v4 src0_sel:BYTE_1 src1_sel:DWORD
	v_mov_b32_e32 v71, v99
	s_and_saveexec_b32 s7, s5
	s_cbranch_execz .LBB259_1914
; %bb.1909:                             ;   in Loop: Header=BB259_11 Depth=1
	v_mov_b32_e32 v4, 0xffff
	v_mov_b32_e32 v116, v28
	s_mov_b32 s19, exec_lo
	v_and_b32_sdwa v9, v4, v8 dst_sel:DWORD dst_unused:UNUSED_PAD src0_sel:DWORD src1_sel:BYTE_1
	v_mov_b32_e32 v70, v116
	v_mov_b32_e32 v71, v117
	v_and_b32_e32 v14, 0x7f, v9
	v_cmpx_ne_u32_e32 0x7f, v14
	s_cbranch_execz .LBB259_1913
; %bb.1910:                             ;   in Loop: Header=BB259_11 Depth=1
	v_and_b32_e32 v27, 7, v9
	v_lshrrev_b32_e32 v9, 3, v14
	v_cmp_gt_u32_e64 s5, 8, v14
	v_mov_b32_e32 v14, v27
	v_mov_b32_e32 v15, v28
	s_and_saveexec_b32 s22, s5
; %bb.1911:                             ;   in Loop: Header=BB259_11 Depth=1
	v_ffbh_u32_e32 v9, v27
	v_min_u32_e32 v9, 32, v9
	v_subrev_nc_u32_e32 v14, 28, v9
	v_sub_nc_u32_e32 v9, 29, v9
	v_lshlrev_b64 v[14:15], v14, v[27:28]
	v_and_b32_e32 v14, 7, v14
; %bb.1912:                             ;   in Loop: Header=BB259_11 Depth=1
	s_or_b32 exec_lo, exec_lo, s22
	v_lshlrev_b32_e32 v15, 16, v8
	v_lshlrev_b32_e32 v14, 20, v14
	v_lshl_add_u32 v9, v9, 23, 0x3c000000
	v_mov_b32_e32 v70, v28
	v_and_b32_e32 v15, 0x80000000, v15
	v_or3_b32 v71, v14, v15, v9
.LBB259_1913:                           ;   in Loop: Header=BB259_11 Depth=1
	s_or_b32 exec_lo, exec_lo, s19
.LBB259_1914:                           ;   in Loop: Header=BB259_11 Depth=1
	s_or_b32 exec_lo, exec_lo, s7
.LBB259_1915:                           ;   in Loop: Header=BB259_11 Depth=1
	s_or_b32 exec_lo, exec_lo, s6
	v_mov_b32_e32 v62, 0
	v_mov_b32_e32 v48, 0
	v_and_b32_sdwa v9, v8, v6 dst_sel:DWORD dst_unused:UNUSED_PAD src0_sel:WORD_1 src1_sel:DWORD
	v_mov_b32_e32 v63, 0
	v_mov_b32_e32 v49, 0
	s_mov_b32 s6, exec_lo
	v_cmpx_ne_u16_e32 0, v9
	s_cbranch_execz .LBB259_1923
; %bb.1916:                             ;   in Loop: Header=BB259_11 Depth=1
	v_bfrev_b32_e32 v48, 1
	v_mov_b32_e32 v49, 0
	s_mov_b32 s7, exec_lo
	v_cmpx_ne_u16_e32 0x80, v9
	s_cbranch_execz .LBB259_1922
; %bb.1917:                             ;   in Loop: Header=BB259_11 Depth=1
	v_mov_b32_e32 v48, 0x7f800001
	v_bfe_u32 v14, v8, 16, 7
	v_mov_b32_e32 v49, 0
	s_mov_b32 s19, exec_lo
	v_cmpx_ne_u32_e32 0x7f, v14
	s_cbranch_execz .LBB259_1921
; %bb.1918:                             ;   in Loop: Header=BB259_11 Depth=1
	v_mov_b32_e32 v4, 7
	v_lshrrev_b32_e32 v9, 3, v14
	v_cmp_gt_u32_e64 s5, 8, v14
	v_and_b32_sdwa v27, v8, v4 dst_sel:DWORD dst_unused:UNUSED_PAD src0_sel:WORD_1 src1_sel:DWORD
	v_mov_b32_e32 v14, v27
	v_mov_b32_e32 v15, v28
	s_and_saveexec_b32 s22, s5
; %bb.1919:                             ;   in Loop: Header=BB259_11 Depth=1
	v_ffbh_u32_e32 v9, v27
	v_min_u32_e32 v9, 32, v9
	v_subrev_nc_u32_e32 v14, 28, v9
	v_sub_nc_u32_e32 v9, 29, v9
	v_lshlrev_b64 v[14:15], v14, v[27:28]
	v_and_b32_e32 v14, 7, v14
; %bb.1920:                             ;   in Loop: Header=BB259_11 Depth=1
	s_or_b32 exec_lo, exec_lo, s22
	v_mov_b32_e32 v4, 24
	v_lshlrev_b32_e32 v14, 20, v14
	v_lshl_add_u32 v9, v9, 23, 0x3c000000
	v_lshlrev_b32_sdwa v15, v4, v8 dst_sel:DWORD dst_unused:UNUSED_PAD src0_sel:DWORD src1_sel:WORD_1
	v_and_b32_e32 v15, 0x80000000, v15
	v_or3_b32 v27, v14, v15, v9
	v_mov_b32_e32 v49, v28
	v_mov_b32_e32 v48, v27
.LBB259_1921:                           ;   in Loop: Header=BB259_11 Depth=1
	s_or_b32 exec_lo, exec_lo, s19
.LBB259_1922:                           ;   in Loop: Header=BB259_11 Depth=1
	s_or_b32 exec_lo, exec_lo, s7
.LBB259_1923:                           ;   in Loop: Header=BB259_11 Depth=1
	s_or_b32 exec_lo, exec_lo, s6
	s_mov_b32 s6, exec_lo
	v_cmpx_lt_u32_e32 0xffffff, v8
	s_cbranch_execz .LBB259_1931
; %bb.1924:                             ;   in Loop: Header=BB259_11 Depth=1
	v_mov_b32_e32 v98, v28
	v_mov_b32_e32 v4, 0x80
	;; [unrolled: 1-line block ×3, first 2 shown]
	v_cmp_ne_u32_sdwa s5, v8, v4 src0_sel:BYTE_3 src1_sel:DWORD
	v_mov_b32_e32 v63, v99
	s_and_saveexec_b32 s7, s5
	s_cbranch_execz .LBB259_1930
; %bb.1925:                             ;   in Loop: Header=BB259_11 Depth=1
	v_mov_b32_e32 v116, v28
	v_bfe_u32 v14, v8, 24, 7
	s_mov_b32 s19, exec_lo
	v_mov_b32_e32 v62, v116
	v_mov_b32_e32 v63, v117
	v_cmpx_ne_u32_e32 0x7f, v14
	s_cbranch_execz .LBB259_1929
; %bb.1926:                             ;   in Loop: Header=BB259_11 Depth=1
	v_mov_b32_e32 v4, 7
	v_lshrrev_b32_e32 v9, 3, v14
	v_cmp_gt_u32_e64 s5, 8, v14
	v_and_b32_sdwa v27, v8, v4 dst_sel:DWORD dst_unused:UNUSED_PAD src0_sel:BYTE_3 src1_sel:DWORD
	v_mov_b32_e32 v14, v27
	v_mov_b32_e32 v15, v28
	s_and_saveexec_b32 s22, s5
; %bb.1927:                             ;   in Loop: Header=BB259_11 Depth=1
	v_ffbh_u32_e32 v9, v27
	v_min_u32_e32 v9, 32, v9
	v_subrev_nc_u32_e32 v14, 28, v9
	v_sub_nc_u32_e32 v9, 29, v9
	v_lshlrev_b64 v[14:15], v14, v[27:28]
	v_and_b32_e32 v14, 7, v14
; %bb.1928:                             ;   in Loop: Header=BB259_11 Depth=1
	s_or_b32 exec_lo, exec_lo, s22
	v_mov_b32_e32 v4, 24
	v_lshlrev_b32_e32 v14, 20, v14
	v_lshl_add_u32 v9, v9, 23, 0x3c000000
	v_mov_b32_e32 v62, v28
	v_lshlrev_b32_sdwa v8, v4, v8 dst_sel:DWORD dst_unused:UNUSED_PAD src0_sel:DWORD src1_sel:BYTE_3
	v_and_b32_e32 v8, 0x80000000, v8
	v_or3_b32 v63, v14, v8, v9
.LBB259_1929:                           ;   in Loop: Header=BB259_11 Depth=1
	s_or_b32 exec_lo, exec_lo, s19
.LBB259_1930:                           ;   in Loop: Header=BB259_11 Depth=1
	s_or_b32 exec_lo, exec_lo, s7
.LBB259_1931:                           ;   in Loop: Header=BB259_11 Depth=1
	s_or_b32 exec_lo, exec_lo, s6
	flat_load_dword v8, v[76:77] offset:1536
	v_mov_b32_e32 v86, 0
	v_mov_b32_e32 v50, 0
	;; [unrolled: 1-line block ×4, first 2 shown]
	s_waitcnt vmcnt(0) lgkmcnt(0)
	v_cmp_ne_u16_sdwa s5, v8, v28 src0_sel:BYTE_0 src1_sel:DWORD
	s_and_saveexec_b32 s6, s5
	s_cbranch_execz .LBB259_1939
; %bb.1932:                             ;   in Loop: Header=BB259_11 Depth=1
	v_mov_b32_e32 v4, 0x80
	v_bfrev_b32_e32 v50, 1
	v_mov_b32_e32 v51, 0
	v_cmp_ne_u16_sdwa s5, v8, v4 src0_sel:BYTE_0 src1_sel:DWORD
	s_and_saveexec_b32 s7, s5
	s_cbranch_execz .LBB259_1938
; %bb.1933:                             ;   in Loop: Header=BB259_11 Depth=1
	v_mov_b32_e32 v50, 0x7f800001
	v_and_b32_e32 v14, 0x7f, v8
	v_mov_b32_e32 v51, 0
	s_mov_b32 s19, exec_lo
	v_cmpx_ne_u32_e32 0x7f, v14
	s_cbranch_execz .LBB259_1937
; %bb.1934:                             ;   in Loop: Header=BB259_11 Depth=1
	v_and_b32_e32 v27, 7, v8
	v_lshrrev_b32_e32 v9, 3, v14
	v_cmp_gt_u32_e64 s5, 8, v14
	v_mov_b32_e32 v14, v27
	v_mov_b32_e32 v15, v28
	s_and_saveexec_b32 s22, s5
; %bb.1935:                             ;   in Loop: Header=BB259_11 Depth=1
	v_ffbh_u32_e32 v9, v27
	v_min_u32_e32 v9, 32, v9
	v_subrev_nc_u32_e32 v14, 28, v9
	v_sub_nc_u32_e32 v9, 29, v9
	v_lshlrev_b64 v[14:15], v14, v[27:28]
	v_and_b32_e32 v14, 7, v14
; %bb.1936:                             ;   in Loop: Header=BB259_11 Depth=1
	s_or_b32 exec_lo, exec_lo, s22
	v_lshlrev_b32_e32 v15, 24, v8
	v_lshlrev_b32_e32 v14, 20, v14
	v_lshl_add_u32 v9, v9, 23, 0x3c000000
	v_and_b32_e32 v15, 0x80000000, v15
	v_or3_b32 v27, v14, v15, v9
	v_mov_b32_e32 v51, v28
	v_mov_b32_e32 v50, v27
.LBB259_1937:                           ;   in Loop: Header=BB259_11 Depth=1
	s_or_b32 exec_lo, exec_lo, s19
.LBB259_1938:                           ;   in Loop: Header=BB259_11 Depth=1
	s_or_b32 exec_lo, exec_lo, s7
.LBB259_1939:                           ;   in Loop: Header=BB259_11 Depth=1
	s_or_b32 exec_lo, exec_lo, s6
	v_cmp_ne_u16_sdwa s5, v8, v28 src0_sel:BYTE_1 src1_sel:DWORD
	s_and_saveexec_b32 s6, s5
	s_cbranch_execz .LBB259_1947
; %bb.1940:                             ;   in Loop: Header=BB259_11 Depth=1
	v_mov_b32_e32 v98, v28
	v_mov_b32_e32 v4, 0x80
	;; [unrolled: 1-line block ×3, first 2 shown]
	v_cmp_ne_u16_sdwa s5, v8, v4 src0_sel:BYTE_1 src1_sel:DWORD
	v_mov_b32_e32 v87, v99
	s_and_saveexec_b32 s7, s5
	s_cbranch_execz .LBB259_1946
; %bb.1941:                             ;   in Loop: Header=BB259_11 Depth=1
	v_mov_b32_e32 v4, 0xffff
	v_mov_b32_e32 v116, v28
	s_mov_b32 s19, exec_lo
	v_and_b32_sdwa v9, v4, v8 dst_sel:DWORD dst_unused:UNUSED_PAD src0_sel:DWORD src1_sel:BYTE_1
	v_mov_b32_e32 v86, v116
	v_mov_b32_e32 v87, v117
	v_and_b32_e32 v14, 0x7f, v9
	v_cmpx_ne_u32_e32 0x7f, v14
	s_cbranch_execz .LBB259_1945
; %bb.1942:                             ;   in Loop: Header=BB259_11 Depth=1
	v_and_b32_e32 v27, 7, v9
	v_lshrrev_b32_e32 v9, 3, v14
	v_cmp_gt_u32_e64 s5, 8, v14
	v_mov_b32_e32 v14, v27
	v_mov_b32_e32 v15, v28
	s_and_saveexec_b32 s22, s5
; %bb.1943:                             ;   in Loop: Header=BB259_11 Depth=1
	v_ffbh_u32_e32 v9, v27
	v_min_u32_e32 v9, 32, v9
	v_subrev_nc_u32_e32 v14, 28, v9
	v_sub_nc_u32_e32 v9, 29, v9
	v_lshlrev_b64 v[14:15], v14, v[27:28]
	v_and_b32_e32 v14, 7, v14
; %bb.1944:                             ;   in Loop: Header=BB259_11 Depth=1
	s_or_b32 exec_lo, exec_lo, s22
	v_lshlrev_b32_e32 v15, 16, v8
	v_lshlrev_b32_e32 v14, 20, v14
	v_lshl_add_u32 v9, v9, 23, 0x3c000000
	v_mov_b32_e32 v86, v28
	v_and_b32_e32 v15, 0x80000000, v15
	v_or3_b32 v87, v14, v15, v9
.LBB259_1945:                           ;   in Loop: Header=BB259_11 Depth=1
	s_or_b32 exec_lo, exec_lo, s19
.LBB259_1946:                           ;   in Loop: Header=BB259_11 Depth=1
	s_or_b32 exec_lo, exec_lo, s7
.LBB259_1947:                           ;   in Loop: Header=BB259_11 Depth=1
	s_or_b32 exec_lo, exec_lo, s6
	v_mov_b32_e32 v68, 0
	v_mov_b32_e32 v37, 0
	v_and_b32_sdwa v9, v8, v6 dst_sel:DWORD dst_unused:UNUSED_PAD src0_sel:WORD_1 src1_sel:DWORD
	v_mov_b32_e32 v69, 0
	v_mov_b32_e32 v38, 0
	s_mov_b32 s6, exec_lo
	v_cmpx_ne_u16_e32 0, v9
	s_cbranch_execz .LBB259_1955
; %bb.1948:                             ;   in Loop: Header=BB259_11 Depth=1
	v_bfrev_b32_e32 v37, 1
	v_mov_b32_e32 v38, 0
	s_mov_b32 s7, exec_lo
	v_cmpx_ne_u16_e32 0x80, v9
	s_cbranch_execz .LBB259_1954
; %bb.1949:                             ;   in Loop: Header=BB259_11 Depth=1
	v_mov_b32_e32 v37, 0x7f800001
	v_bfe_u32 v14, v8, 16, 7
	v_mov_b32_e32 v38, 0
	s_mov_b32 s19, exec_lo
	v_cmpx_ne_u32_e32 0x7f, v14
	s_cbranch_execz .LBB259_1953
; %bb.1950:                             ;   in Loop: Header=BB259_11 Depth=1
	v_mov_b32_e32 v4, 7
	v_lshrrev_b32_e32 v9, 3, v14
	v_cmp_gt_u32_e64 s5, 8, v14
	v_and_b32_sdwa v27, v8, v4 dst_sel:DWORD dst_unused:UNUSED_PAD src0_sel:WORD_1 src1_sel:DWORD
	v_mov_b32_e32 v14, v27
	v_mov_b32_e32 v15, v28
	s_and_saveexec_b32 s22, s5
; %bb.1951:                             ;   in Loop: Header=BB259_11 Depth=1
	v_ffbh_u32_e32 v9, v27
	v_min_u32_e32 v9, 32, v9
	v_subrev_nc_u32_e32 v14, 28, v9
	v_sub_nc_u32_e32 v9, 29, v9
	v_lshlrev_b64 v[14:15], v14, v[27:28]
	v_and_b32_e32 v14, 7, v14
; %bb.1952:                             ;   in Loop: Header=BB259_11 Depth=1
	s_or_b32 exec_lo, exec_lo, s22
	v_mov_b32_e32 v4, 24
	v_lshlrev_b32_e32 v14, 20, v14
	v_lshl_add_u32 v9, v9, 23, 0x3c000000
	v_lshlrev_b32_sdwa v15, v4, v8 dst_sel:DWORD dst_unused:UNUSED_PAD src0_sel:DWORD src1_sel:WORD_1
	v_and_b32_e32 v15, 0x80000000, v15
	v_or3_b32 v27, v14, v15, v9
	v_mov_b32_e32 v38, v28
	v_mov_b32_e32 v37, v27
.LBB259_1953:                           ;   in Loop: Header=BB259_11 Depth=1
	s_or_b32 exec_lo, exec_lo, s19
.LBB259_1954:                           ;   in Loop: Header=BB259_11 Depth=1
	s_or_b32 exec_lo, exec_lo, s7
.LBB259_1955:                           ;   in Loop: Header=BB259_11 Depth=1
	s_or_b32 exec_lo, exec_lo, s6
	s_mov_b32 s6, exec_lo
	v_cmpx_lt_u32_e32 0xffffff, v8
	s_cbranch_execz .LBB259_1963
; %bb.1956:                             ;   in Loop: Header=BB259_11 Depth=1
	v_mov_b32_e32 v98, v28
	v_mov_b32_e32 v4, 0x80
	;; [unrolled: 1-line block ×3, first 2 shown]
	v_cmp_ne_u32_sdwa s5, v8, v4 src0_sel:BYTE_3 src1_sel:DWORD
	v_mov_b32_e32 v69, v99
	s_and_saveexec_b32 s7, s5
	s_cbranch_execz .LBB259_1962
; %bb.1957:                             ;   in Loop: Header=BB259_11 Depth=1
	v_mov_b32_e32 v116, v28
	v_bfe_u32 v14, v8, 24, 7
	s_mov_b32 s19, exec_lo
	v_mov_b32_e32 v68, v116
	v_mov_b32_e32 v69, v117
	v_cmpx_ne_u32_e32 0x7f, v14
	s_cbranch_execz .LBB259_1961
; %bb.1958:                             ;   in Loop: Header=BB259_11 Depth=1
	v_mov_b32_e32 v4, 7
	v_lshrrev_b32_e32 v9, 3, v14
	v_cmp_gt_u32_e64 s5, 8, v14
	v_and_b32_sdwa v27, v8, v4 dst_sel:DWORD dst_unused:UNUSED_PAD src0_sel:BYTE_3 src1_sel:DWORD
	v_mov_b32_e32 v14, v27
	v_mov_b32_e32 v15, v28
	s_and_saveexec_b32 s22, s5
; %bb.1959:                             ;   in Loop: Header=BB259_11 Depth=1
	v_ffbh_u32_e32 v9, v27
	v_min_u32_e32 v9, 32, v9
	v_subrev_nc_u32_e32 v14, 28, v9
	v_sub_nc_u32_e32 v9, 29, v9
	v_lshlrev_b64 v[14:15], v14, v[27:28]
	v_and_b32_e32 v14, 7, v14
; %bb.1960:                             ;   in Loop: Header=BB259_11 Depth=1
	s_or_b32 exec_lo, exec_lo, s22
	v_mov_b32_e32 v4, 24
	v_lshlrev_b32_e32 v14, 20, v14
	v_lshl_add_u32 v9, v9, 23, 0x3c000000
	v_mov_b32_e32 v68, v28
	v_lshlrev_b32_sdwa v8, v4, v8 dst_sel:DWORD dst_unused:UNUSED_PAD src0_sel:DWORD src1_sel:BYTE_3
	v_and_b32_e32 v8, 0x80000000, v8
	v_or3_b32 v69, v14, v8, v9
.LBB259_1961:                           ;   in Loop: Header=BB259_11 Depth=1
	s_or_b32 exec_lo, exec_lo, s19
.LBB259_1962:                           ;   in Loop: Header=BB259_11 Depth=1
	s_or_b32 exec_lo, exec_lo, s7
.LBB259_1963:                           ;   in Loop: Header=BB259_11 Depth=1
	s_or_b32 exec_lo, exec_lo, s6
	flat_load_dword v8, v[76:77] offset:1540
	v_mov_b32_e32 v35, 0
	v_mov_b32_e32 v66, 0
	;; [unrolled: 1-line block ×4, first 2 shown]
	s_waitcnt vmcnt(0) lgkmcnt(0)
	v_cmp_ne_u16_sdwa s5, v8, v28 src0_sel:BYTE_0 src1_sel:DWORD
	s_and_saveexec_b32 s6, s5
	s_cbranch_execz .LBB259_1971
; %bb.1964:                             ;   in Loop: Header=BB259_11 Depth=1
	v_mov_b32_e32 v4, 0x80
	v_bfrev_b32_e32 v66, 1
	v_mov_b32_e32 v67, 0
	v_cmp_ne_u16_sdwa s5, v8, v4 src0_sel:BYTE_0 src1_sel:DWORD
	s_and_saveexec_b32 s7, s5
	s_cbranch_execz .LBB259_1970
; %bb.1965:                             ;   in Loop: Header=BB259_11 Depth=1
	v_mov_b32_e32 v66, 0x7f800001
	v_and_b32_e32 v14, 0x7f, v8
	v_mov_b32_e32 v67, 0
	s_mov_b32 s19, exec_lo
	v_cmpx_ne_u32_e32 0x7f, v14
	s_cbranch_execz .LBB259_1969
; %bb.1966:                             ;   in Loop: Header=BB259_11 Depth=1
	v_and_b32_e32 v27, 7, v8
	v_lshrrev_b32_e32 v9, 3, v14
	v_cmp_gt_u32_e64 s5, 8, v14
	v_mov_b32_e32 v14, v27
	v_mov_b32_e32 v15, v28
	s_and_saveexec_b32 s22, s5
; %bb.1967:                             ;   in Loop: Header=BB259_11 Depth=1
	v_ffbh_u32_e32 v9, v27
	v_min_u32_e32 v9, 32, v9
	v_subrev_nc_u32_e32 v14, 28, v9
	v_sub_nc_u32_e32 v9, 29, v9
	v_lshlrev_b64 v[14:15], v14, v[27:28]
	v_and_b32_e32 v14, 7, v14
; %bb.1968:                             ;   in Loop: Header=BB259_11 Depth=1
	s_or_b32 exec_lo, exec_lo, s22
	v_lshlrev_b32_e32 v15, 24, v8
	v_lshlrev_b32_e32 v14, 20, v14
	v_lshl_add_u32 v9, v9, 23, 0x3c000000
	v_and_b32_e32 v15, 0x80000000, v15
	v_or3_b32 v27, v14, v15, v9
	v_mov_b32_e32 v67, v28
	v_mov_b32_e32 v66, v27
.LBB259_1969:                           ;   in Loop: Header=BB259_11 Depth=1
	s_or_b32 exec_lo, exec_lo, s19
.LBB259_1970:                           ;   in Loop: Header=BB259_11 Depth=1
	s_or_b32 exec_lo, exec_lo, s7
.LBB259_1971:                           ;   in Loop: Header=BB259_11 Depth=1
	s_or_b32 exec_lo, exec_lo, s6
	v_cmp_ne_u16_sdwa s5, v8, v28 src0_sel:BYTE_1 src1_sel:DWORD
	s_and_saveexec_b32 s6, s5
	s_cbranch_execz .LBB259_1979
; %bb.1972:                             ;   in Loop: Header=BB259_11 Depth=1
	v_mov_b32_e32 v98, v28
	v_mov_b32_e32 v4, 0x80
	;; [unrolled: 1-line block ×3, first 2 shown]
	v_cmp_ne_u16_sdwa s5, v8, v4 src0_sel:BYTE_1 src1_sel:DWORD
	v_mov_b32_e32 v36, v99
	s_and_saveexec_b32 s7, s5
	s_cbranch_execz .LBB259_1978
; %bb.1973:                             ;   in Loop: Header=BB259_11 Depth=1
	v_mov_b32_e32 v4, 0xffff
	v_mov_b32_e32 v116, v28
	s_mov_b32 s19, exec_lo
	v_and_b32_sdwa v9, v4, v8 dst_sel:DWORD dst_unused:UNUSED_PAD src0_sel:DWORD src1_sel:BYTE_1
	v_mov_b32_e32 v35, v116
	v_mov_b32_e32 v36, v117
	v_and_b32_e32 v14, 0x7f, v9
	v_cmpx_ne_u32_e32 0x7f, v14
	s_cbranch_execz .LBB259_1977
; %bb.1974:                             ;   in Loop: Header=BB259_11 Depth=1
	v_and_b32_e32 v27, 7, v9
	v_lshrrev_b32_e32 v9, 3, v14
	v_cmp_gt_u32_e64 s5, 8, v14
	v_mov_b32_e32 v14, v27
	v_mov_b32_e32 v15, v28
	s_and_saveexec_b32 s22, s5
; %bb.1975:                             ;   in Loop: Header=BB259_11 Depth=1
	v_ffbh_u32_e32 v9, v27
	v_min_u32_e32 v9, 32, v9
	v_subrev_nc_u32_e32 v14, 28, v9
	v_sub_nc_u32_e32 v9, 29, v9
	v_lshlrev_b64 v[14:15], v14, v[27:28]
	v_and_b32_e32 v14, 7, v14
; %bb.1976:                             ;   in Loop: Header=BB259_11 Depth=1
	s_or_b32 exec_lo, exec_lo, s22
	v_lshlrev_b32_e32 v15, 16, v8
	v_lshlrev_b32_e32 v14, 20, v14
	v_lshl_add_u32 v9, v9, 23, 0x3c000000
	v_mov_b32_e32 v35, v28
	v_and_b32_e32 v15, 0x80000000, v15
	v_or3_b32 v36, v14, v15, v9
.LBB259_1977:                           ;   in Loop: Header=BB259_11 Depth=1
	s_or_b32 exec_lo, exec_lo, s19
.LBB259_1978:                           ;   in Loop: Header=BB259_11 Depth=1
	s_or_b32 exec_lo, exec_lo, s7
.LBB259_1979:                           ;   in Loop: Header=BB259_11 Depth=1
	s_or_b32 exec_lo, exec_lo, s6
	v_mov_b32_e32 v118, 0
	v_mov_b32_e32 v45, 0
	v_and_b32_sdwa v9, v8, v6 dst_sel:DWORD dst_unused:UNUSED_PAD src0_sel:WORD_1 src1_sel:DWORD
	v_mov_b32_e32 v119, 0
	v_mov_b32_e32 v46, 0
	s_mov_b32 s6, exec_lo
	v_cmpx_ne_u16_e32 0, v9
	s_cbranch_execz .LBB259_1987
; %bb.1980:                             ;   in Loop: Header=BB259_11 Depth=1
	v_bfrev_b32_e32 v45, 1
	v_mov_b32_e32 v46, 0
	s_mov_b32 s7, exec_lo
	v_cmpx_ne_u16_e32 0x80, v9
	s_cbranch_execz .LBB259_1986
; %bb.1981:                             ;   in Loop: Header=BB259_11 Depth=1
	v_mov_b32_e32 v45, 0x7f800001
	v_bfe_u32 v14, v8, 16, 7
	v_mov_b32_e32 v46, 0
	s_mov_b32 s19, exec_lo
	v_cmpx_ne_u32_e32 0x7f, v14
	s_cbranch_execz .LBB259_1985
; %bb.1982:                             ;   in Loop: Header=BB259_11 Depth=1
	v_mov_b32_e32 v4, 7
	v_lshrrev_b32_e32 v9, 3, v14
	v_cmp_gt_u32_e64 s5, 8, v14
	v_and_b32_sdwa v27, v8, v4 dst_sel:DWORD dst_unused:UNUSED_PAD src0_sel:WORD_1 src1_sel:DWORD
	v_mov_b32_e32 v14, v27
	v_mov_b32_e32 v15, v28
	s_and_saveexec_b32 s22, s5
; %bb.1983:                             ;   in Loop: Header=BB259_11 Depth=1
	v_ffbh_u32_e32 v9, v27
	v_min_u32_e32 v9, 32, v9
	v_subrev_nc_u32_e32 v14, 28, v9
	v_sub_nc_u32_e32 v9, 29, v9
	v_lshlrev_b64 v[14:15], v14, v[27:28]
	v_and_b32_e32 v14, 7, v14
; %bb.1984:                             ;   in Loop: Header=BB259_11 Depth=1
	s_or_b32 exec_lo, exec_lo, s22
	v_mov_b32_e32 v4, 24
	v_lshlrev_b32_e32 v14, 20, v14
	v_lshl_add_u32 v9, v9, 23, 0x3c000000
	v_lshlrev_b32_sdwa v15, v4, v8 dst_sel:DWORD dst_unused:UNUSED_PAD src0_sel:DWORD src1_sel:WORD_1
	v_and_b32_e32 v15, 0x80000000, v15
	v_or3_b32 v27, v14, v15, v9
	v_mov_b32_e32 v46, v28
	v_mov_b32_e32 v45, v27
.LBB259_1985:                           ;   in Loop: Header=BB259_11 Depth=1
	s_or_b32 exec_lo, exec_lo, s19
.LBB259_1986:                           ;   in Loop: Header=BB259_11 Depth=1
	s_or_b32 exec_lo, exec_lo, s7
.LBB259_1987:                           ;   in Loop: Header=BB259_11 Depth=1
	s_or_b32 exec_lo, exec_lo, s6
	s_mov_b32 s6, exec_lo
	v_cmpx_lt_u32_e32 0xffffff, v8
	s_cbranch_execz .LBB259_1995
; %bb.1988:                             ;   in Loop: Header=BB259_11 Depth=1
	v_mov_b32_e32 v98, v28
	v_mov_b32_e32 v4, 0x80
	;; [unrolled: 1-line block ×4, first 2 shown]
	v_cmp_ne_u32_sdwa s5, v8, v4 src0_sel:BYTE_3 src1_sel:DWORD
	s_and_saveexec_b32 s7, s5
	s_cbranch_execz .LBB259_1994
; %bb.1989:                             ;   in Loop: Header=BB259_11 Depth=1
	v_mov_b32_e32 v116, v28
	v_mov_b32_e32 v119, v117
	v_bfe_u32 v14, v8, 24, 7
	s_mov_b32 s19, exec_lo
	v_mov_b32_e32 v118, v116
	v_cmpx_ne_u32_e32 0x7f, v14
	s_cbranch_execz .LBB259_1993
; %bb.1990:                             ;   in Loop: Header=BB259_11 Depth=1
	v_mov_b32_e32 v4, 7
	v_lshrrev_b32_e32 v9, 3, v14
	v_cmp_gt_u32_e64 s5, 8, v14
	v_and_b32_sdwa v27, v8, v4 dst_sel:DWORD dst_unused:UNUSED_PAD src0_sel:BYTE_3 src1_sel:DWORD
	v_mov_b32_e32 v14, v27
	v_mov_b32_e32 v15, v28
	s_and_saveexec_b32 s22, s5
; %bb.1991:                             ;   in Loop: Header=BB259_11 Depth=1
	v_ffbh_u32_e32 v9, v27
	v_min_u32_e32 v9, 32, v9
	v_subrev_nc_u32_e32 v14, 28, v9
	v_sub_nc_u32_e32 v9, 29, v9
	v_lshlrev_b64 v[14:15], v14, v[27:28]
	v_and_b32_e32 v14, 7, v14
; %bb.1992:                             ;   in Loop: Header=BB259_11 Depth=1
	s_or_b32 exec_lo, exec_lo, s22
	v_mov_b32_e32 v4, 24
	v_lshlrev_b32_e32 v14, 20, v14
	v_lshl_add_u32 v9, v9, 23, 0x3c000000
	v_mov_b32_e32 v118, v28
	v_lshlrev_b32_sdwa v8, v4, v8 dst_sel:DWORD dst_unused:UNUSED_PAD src0_sel:DWORD src1_sel:BYTE_3
	v_and_b32_e32 v8, 0x80000000, v8
	v_or3_b32 v119, v14, v8, v9
.LBB259_1993:                           ;   in Loop: Header=BB259_11 Depth=1
	s_or_b32 exec_lo, exec_lo, s19
.LBB259_1994:                           ;   in Loop: Header=BB259_11 Depth=1
	s_or_b32 exec_lo, exec_lo, s7
.LBB259_1995:                           ;   in Loop: Header=BB259_11 Depth=1
	s_or_b32 exec_lo, exec_lo, s6
	flat_load_dword v8, v[76:77] offset:1544
	v_mov_b32_e32 v78, 0
	v_mov_b32_e32 v82, 0
	;; [unrolled: 1-line block ×4, first 2 shown]
	s_waitcnt vmcnt(0) lgkmcnt(0)
	v_cmp_ne_u16_sdwa s5, v8, v28 src0_sel:BYTE_0 src1_sel:DWORD
	s_and_saveexec_b32 s6, s5
	s_cbranch_execz .LBB259_2003
; %bb.1996:                             ;   in Loop: Header=BB259_11 Depth=1
	v_mov_b32_e32 v4, 0x80
	v_bfrev_b32_e32 v82, 1
	v_mov_b32_e32 v83, 0
	v_cmp_ne_u16_sdwa s5, v8, v4 src0_sel:BYTE_0 src1_sel:DWORD
	s_and_saveexec_b32 s7, s5
	s_cbranch_execz .LBB259_2002
; %bb.1997:                             ;   in Loop: Header=BB259_11 Depth=1
	v_mov_b32_e32 v82, 0x7f800001
	v_and_b32_e32 v14, 0x7f, v8
	v_mov_b32_e32 v83, 0
	s_mov_b32 s19, exec_lo
	v_cmpx_ne_u32_e32 0x7f, v14
	s_cbranch_execz .LBB259_2001
; %bb.1998:                             ;   in Loop: Header=BB259_11 Depth=1
	v_and_b32_e32 v27, 7, v8
	v_lshrrev_b32_e32 v9, 3, v14
	v_cmp_gt_u32_e64 s5, 8, v14
	v_mov_b32_e32 v14, v27
	v_mov_b32_e32 v15, v28
	s_and_saveexec_b32 s22, s5
; %bb.1999:                             ;   in Loop: Header=BB259_11 Depth=1
	v_ffbh_u32_e32 v9, v27
	v_min_u32_e32 v9, 32, v9
	v_subrev_nc_u32_e32 v14, 28, v9
	v_sub_nc_u32_e32 v9, 29, v9
	v_lshlrev_b64 v[14:15], v14, v[27:28]
	v_and_b32_e32 v14, 7, v14
; %bb.2000:                             ;   in Loop: Header=BB259_11 Depth=1
	s_or_b32 exec_lo, exec_lo, s22
	v_lshlrev_b32_e32 v15, 24, v8
	v_lshlrev_b32_e32 v14, 20, v14
	v_lshl_add_u32 v9, v9, 23, 0x3c000000
	v_and_b32_e32 v15, 0x80000000, v15
	v_or3_b32 v27, v14, v15, v9
	v_mov_b32_e32 v83, v28
	v_mov_b32_e32 v82, v27
.LBB259_2001:                           ;   in Loop: Header=BB259_11 Depth=1
	s_or_b32 exec_lo, exec_lo, s19
.LBB259_2002:                           ;   in Loop: Header=BB259_11 Depth=1
	s_or_b32 exec_lo, exec_lo, s7
.LBB259_2003:                           ;   in Loop: Header=BB259_11 Depth=1
	s_or_b32 exec_lo, exec_lo, s6
	v_cmp_ne_u16_sdwa s5, v8, v28 src0_sel:BYTE_1 src1_sel:DWORD
	s_and_saveexec_b32 s6, s5
	s_cbranch_execz .LBB259_2011
; %bb.2004:                             ;   in Loop: Header=BB259_11 Depth=1
	v_mov_b32_e32 v98, v28
	v_mov_b32_e32 v4, 0x80
	;; [unrolled: 1-line block ×3, first 2 shown]
	v_cmp_ne_u16_sdwa s5, v8, v4 src0_sel:BYTE_1 src1_sel:DWORD
	v_mov_b32_e32 v79, v99
	s_and_saveexec_b32 s7, s5
	s_cbranch_execz .LBB259_2010
; %bb.2005:                             ;   in Loop: Header=BB259_11 Depth=1
	v_mov_b32_e32 v4, 0xffff
	v_mov_b32_e32 v116, v28
	s_mov_b32 s19, exec_lo
	v_and_b32_sdwa v9, v4, v8 dst_sel:DWORD dst_unused:UNUSED_PAD src0_sel:DWORD src1_sel:BYTE_1
	v_mov_b32_e32 v78, v116
	v_mov_b32_e32 v79, v117
	v_and_b32_e32 v14, 0x7f, v9
	v_cmpx_ne_u32_e32 0x7f, v14
	s_cbranch_execz .LBB259_2009
; %bb.2006:                             ;   in Loop: Header=BB259_11 Depth=1
	v_and_b32_e32 v27, 7, v9
	v_lshrrev_b32_e32 v9, 3, v14
	v_cmp_gt_u32_e64 s5, 8, v14
	v_mov_b32_e32 v14, v27
	v_mov_b32_e32 v15, v28
	s_and_saveexec_b32 s22, s5
; %bb.2007:                             ;   in Loop: Header=BB259_11 Depth=1
	v_ffbh_u32_e32 v9, v27
	v_min_u32_e32 v9, 32, v9
	v_subrev_nc_u32_e32 v14, 28, v9
	v_sub_nc_u32_e32 v9, 29, v9
	v_lshlrev_b64 v[14:15], v14, v[27:28]
	v_and_b32_e32 v14, 7, v14
; %bb.2008:                             ;   in Loop: Header=BB259_11 Depth=1
	s_or_b32 exec_lo, exec_lo, s22
	v_lshlrev_b32_e32 v15, 16, v8
	v_lshlrev_b32_e32 v14, 20, v14
	v_lshl_add_u32 v9, v9, 23, 0x3c000000
	v_mov_b32_e32 v78, v28
	v_and_b32_e32 v15, 0x80000000, v15
	v_or3_b32 v79, v14, v15, v9
.LBB259_2009:                           ;   in Loop: Header=BB259_11 Depth=1
	s_or_b32 exec_lo, exec_lo, s19
.LBB259_2010:                           ;   in Loop: Header=BB259_11 Depth=1
	s_or_b32 exec_lo, exec_lo, s7
.LBB259_2011:                           ;   in Loop: Header=BB259_11 Depth=1
	s_or_b32 exec_lo, exec_lo, s6
	v_mov_b32_e32 v14, 0
	v_mov_b32_e32 v60, 0
	v_and_b32_sdwa v9, v8, v6 dst_sel:DWORD dst_unused:UNUSED_PAD src0_sel:WORD_1 src1_sel:DWORD
	v_mov_b32_e32 v15, 0
	v_mov_b32_e32 v61, 0
	s_mov_b32 s6, exec_lo
	v_cmpx_ne_u16_e32 0, v9
	s_cbranch_execz .LBB259_2019
; %bb.2012:                             ;   in Loop: Header=BB259_11 Depth=1
	v_bfrev_b32_e32 v60, 1
	v_mov_b32_e32 v61, 0
	s_mov_b32 s7, exec_lo
	v_cmpx_ne_u16_e32 0x80, v9
	s_cbranch_execz .LBB259_2018
; %bb.2013:                             ;   in Loop: Header=BB259_11 Depth=1
	v_mov_b32_e32 v60, 0x7f800001
	v_bfe_u32 v16, v8, 16, 7
	v_mov_b32_e32 v61, 0
	s_mov_b32 s19, exec_lo
	v_cmpx_ne_u32_e32 0x7f, v16
	s_cbranch_execz .LBB259_2017
; %bb.2014:                             ;   in Loop: Header=BB259_11 Depth=1
	v_mov_b32_e32 v4, 7
	v_lshrrev_b32_e32 v9, 3, v16
	v_cmp_gt_u32_e64 s5, 8, v16
	v_and_b32_sdwa v27, v8, v4 dst_sel:DWORD dst_unused:UNUSED_PAD src0_sel:WORD_1 src1_sel:DWORD
	v_mov_b32_e32 v16, v27
	v_mov_b32_e32 v17, v28
	s_and_saveexec_b32 s22, s5
; %bb.2015:                             ;   in Loop: Header=BB259_11 Depth=1
	v_ffbh_u32_e32 v9, v27
	v_min_u32_e32 v9, 32, v9
	v_subrev_nc_u32_e32 v16, 28, v9
	v_sub_nc_u32_e32 v9, 29, v9
	v_lshlrev_b64 v[16:17], v16, v[27:28]
	v_and_b32_e32 v16, 7, v16
; %bb.2016:                             ;   in Loop: Header=BB259_11 Depth=1
	s_or_b32 exec_lo, exec_lo, s22
	v_mov_b32_e32 v4, 24
	v_lshlrev_b32_e32 v16, 20, v16
	v_lshl_add_u32 v9, v9, 23, 0x3c000000
	v_lshlrev_b32_sdwa v17, v4, v8 dst_sel:DWORD dst_unused:UNUSED_PAD src0_sel:DWORD src1_sel:WORD_1
	v_and_b32_e32 v17, 0x80000000, v17
	v_or3_b32 v27, v16, v17, v9
	v_mov_b32_e32 v61, v28
	v_mov_b32_e32 v60, v27
.LBB259_2017:                           ;   in Loop: Header=BB259_11 Depth=1
	s_or_b32 exec_lo, exec_lo, s19
.LBB259_2018:                           ;   in Loop: Header=BB259_11 Depth=1
	s_or_b32 exec_lo, exec_lo, s7
.LBB259_2019:                           ;   in Loop: Header=BB259_11 Depth=1
	s_or_b32 exec_lo, exec_lo, s6
	s_mov_b32 s6, exec_lo
	v_cmpx_lt_u32_e32 0xffffff, v8
	s_cbranch_execz .LBB259_2027
; %bb.2020:                             ;   in Loop: Header=BB259_11 Depth=1
	v_mov_b32_e32 v98, v28
	v_mov_b32_e32 v4, 0x80
	;; [unrolled: 1-line block ×3, first 2 shown]
	v_cmp_ne_u32_sdwa s5, v8, v4 src0_sel:BYTE_3 src1_sel:DWORD
	v_mov_b32_e32 v15, v99
	s_and_saveexec_b32 s7, s5
	s_cbranch_execz .LBB259_2026
; %bb.2021:                             ;   in Loop: Header=BB259_11 Depth=1
	v_mov_b32_e32 v116, v28
	v_bfe_u32 v16, v8, 24, 7
	s_mov_b32 s19, exec_lo
	v_mov_b32_e32 v14, v116
	v_mov_b32_e32 v15, v117
	v_cmpx_ne_u32_e32 0x7f, v16
	s_cbranch_execz .LBB259_2025
; %bb.2022:                             ;   in Loop: Header=BB259_11 Depth=1
	v_mov_b32_e32 v4, 7
	v_lshrrev_b32_e32 v9, 3, v16
	s_mov_b32 s22, exec_lo
	v_and_b32_sdwa v27, v8, v4 dst_sel:DWORD dst_unused:UNUSED_PAD src0_sel:BYTE_3 src1_sel:DWORD
	v_mov_b32_e32 v14, v27
	v_mov_b32_e32 v15, v28
	v_cmpx_gt_u32_e32 8, v16
; %bb.2023:                             ;   in Loop: Header=BB259_11 Depth=1
	v_ffbh_u32_e32 v9, v27
	v_min_u32_e32 v9, 32, v9
	v_subrev_nc_u32_e32 v14, 28, v9
	v_sub_nc_u32_e32 v9, 29, v9
	v_lshlrev_b64 v[14:15], v14, v[27:28]
	v_and_b32_e32 v14, 7, v14
; %bb.2024:                             ;   in Loop: Header=BB259_11 Depth=1
	s_or_b32 exec_lo, exec_lo, s22
	v_mov_b32_e32 v4, 24
	v_lshlrev_b32_e32 v14, 20, v14
	v_lshl_add_u32 v9, v9, 23, 0x3c000000
	v_lshlrev_b32_sdwa v8, v4, v8 dst_sel:DWORD dst_unused:UNUSED_PAD src0_sel:DWORD src1_sel:BYTE_3
	v_and_b32_e32 v8, 0x80000000, v8
	v_or3_b32 v15, v14, v8, v9
	v_mov_b32_e32 v14, v28
.LBB259_2025:                           ;   in Loop: Header=BB259_11 Depth=1
	s_or_b32 exec_lo, exec_lo, s19
.LBB259_2026:                           ;   in Loop: Header=BB259_11 Depth=1
	s_or_b32 exec_lo, exec_lo, s7
.LBB259_2027:                           ;   in Loop: Header=BB259_11 Depth=1
	s_or_b32 exec_lo, exec_lo, s6
	flat_load_dword v8, v[76:77] offset:1548
	v_mov_b32_e32 v102, 0
	v_mov_b32_e32 v76, 0
	;; [unrolled: 1-line block ×4, first 2 shown]
	s_waitcnt vmcnt(0) lgkmcnt(0)
	v_cmp_ne_u16_sdwa s5, v8, v28 src0_sel:BYTE_0 src1_sel:DWORD
	s_and_saveexec_b32 s6, s5
	s_cbranch_execz .LBB259_2035
; %bb.2028:                             ;   in Loop: Header=BB259_11 Depth=1
	v_mov_b32_e32 v4, 0x80
	v_bfrev_b32_e32 v76, 1
	v_mov_b32_e32 v77, 0
	v_cmp_ne_u16_sdwa s5, v8, v4 src0_sel:BYTE_0 src1_sel:DWORD
	s_and_saveexec_b32 s7, s5
	s_cbranch_execz .LBB259_2034
; %bb.2029:                             ;   in Loop: Header=BB259_11 Depth=1
	v_mov_b32_e32 v76, 0x7f800001
	v_and_b32_e32 v16, 0x7f, v8
	v_mov_b32_e32 v77, 0
	s_mov_b32 s19, exec_lo
	v_cmpx_ne_u32_e32 0x7f, v16
	s_cbranch_execz .LBB259_2033
; %bb.2030:                             ;   in Loop: Header=BB259_11 Depth=1
	v_and_b32_e32 v27, 7, v8
	v_lshrrev_b32_e32 v9, 3, v16
	v_cmp_gt_u32_e64 s5, 8, v16
	v_mov_b32_e32 v16, v27
	v_mov_b32_e32 v17, v28
	s_and_saveexec_b32 s22, s5
; %bb.2031:                             ;   in Loop: Header=BB259_11 Depth=1
	v_ffbh_u32_e32 v9, v27
	v_min_u32_e32 v9, 32, v9
	v_subrev_nc_u32_e32 v16, 28, v9
	v_sub_nc_u32_e32 v9, 29, v9
	v_lshlrev_b64 v[16:17], v16, v[27:28]
	v_and_b32_e32 v16, 7, v16
; %bb.2032:                             ;   in Loop: Header=BB259_11 Depth=1
	s_or_b32 exec_lo, exec_lo, s22
	v_lshlrev_b32_e32 v17, 24, v8
	v_lshlrev_b32_e32 v16, 20, v16
	v_lshl_add_u32 v9, v9, 23, 0x3c000000
	v_and_b32_e32 v17, 0x80000000, v17
	v_or3_b32 v27, v16, v17, v9
	v_mov_b32_e32 v77, v28
	v_mov_b32_e32 v76, v27
.LBB259_2033:                           ;   in Loop: Header=BB259_11 Depth=1
	s_or_b32 exec_lo, exec_lo, s19
.LBB259_2034:                           ;   in Loop: Header=BB259_11 Depth=1
	s_or_b32 exec_lo, exec_lo, s7
.LBB259_2035:                           ;   in Loop: Header=BB259_11 Depth=1
	s_or_b32 exec_lo, exec_lo, s6
	v_cmp_ne_u16_sdwa s5, v8, v28 src0_sel:BYTE_1 src1_sel:DWORD
	s_and_saveexec_b32 s6, s5
	s_cbranch_execz .LBB259_2043
; %bb.2036:                             ;   in Loop: Header=BB259_11 Depth=1
	v_mov_b32_e32 v98, v28
	v_mov_b32_e32 v4, 0x80
	;; [unrolled: 1-line block ×4, first 2 shown]
	v_cmp_ne_u16_sdwa s5, v8, v4 src0_sel:BYTE_1 src1_sel:DWORD
	s_and_saveexec_b32 s7, s5
	s_cbranch_execz .LBB259_2042
; %bb.2037:                             ;   in Loop: Header=BB259_11 Depth=1
	v_mov_b32_e32 v4, 0xffff
	v_mov_b32_e32 v116, v28
	s_mov_b32 s19, exec_lo
	v_and_b32_sdwa v9, v4, v8 dst_sel:DWORD dst_unused:UNUSED_PAD src0_sel:DWORD src1_sel:BYTE_1
	v_mov_b32_e32 v102, v116
	v_mov_b32_e32 v103, v117
	v_and_b32_e32 v16, 0x7f, v9
	v_cmpx_ne_u32_e32 0x7f, v16
	s_cbranch_execz .LBB259_2041
; %bb.2038:                             ;   in Loop: Header=BB259_11 Depth=1
	v_and_b32_e32 v27, 7, v9
	v_lshrrev_b32_e32 v9, 3, v16
	v_cmp_gt_u32_e64 s5, 8, v16
	v_mov_b32_e32 v16, v27
	v_mov_b32_e32 v17, v28
	s_and_saveexec_b32 s22, s5
; %bb.2039:                             ;   in Loop: Header=BB259_11 Depth=1
	v_ffbh_u32_e32 v9, v27
	v_min_u32_e32 v9, 32, v9
	v_subrev_nc_u32_e32 v16, 28, v9
	v_sub_nc_u32_e32 v9, 29, v9
	v_lshlrev_b64 v[16:17], v16, v[27:28]
	v_and_b32_e32 v16, 7, v16
; %bb.2040:                             ;   in Loop: Header=BB259_11 Depth=1
	s_or_b32 exec_lo, exec_lo, s22
	v_lshlrev_b32_e32 v17, 16, v8
	v_lshlrev_b32_e32 v16, 20, v16
	v_lshl_add_u32 v9, v9, 23, 0x3c000000
	v_mov_b32_e32 v102, v28
	v_and_b32_e32 v17, 0x80000000, v17
	v_or3_b32 v103, v16, v17, v9
.LBB259_2041:                           ;   in Loop: Header=BB259_11 Depth=1
	s_or_b32 exec_lo, exec_lo, s19
.LBB259_2042:                           ;   in Loop: Header=BB259_11 Depth=1
	s_or_b32 exec_lo, exec_lo, s7
.LBB259_2043:                           ;   in Loop: Header=BB259_11 Depth=1
	s_or_b32 exec_lo, exec_lo, s6
	v_and_b32_sdwa v9, v8, v6 dst_sel:DWORD dst_unused:UNUSED_PAD src0_sel:WORD_1 src1_sel:DWORD
	v_mov_b32_e32 v16, 0
	v_mov_b32_e32 v5, 0
	;; [unrolled: 1-line block ×4, first 2 shown]
	s_mov_b32 s6, exec_lo
	v_cmpx_ne_u16_e32 0, v9
	s_cbranch_execz .LBB259_2051
; %bb.2044:                             ;   in Loop: Header=BB259_11 Depth=1
	v_bfrev_b32_e32 v5, 1
	v_mov_b32_e32 v6, 0
	s_mov_b32 s7, exec_lo
	v_cmpx_ne_u16_e32 0x80, v9
	s_cbranch_execz .LBB259_2050
; %bb.2045:                             ;   in Loop: Header=BB259_11 Depth=1
	v_mov_b32_e32 v5, 0x7f800001
	v_bfe_u32 v26, v8, 16, 7
	v_mov_b32_e32 v6, 0
	s_mov_b32 s19, exec_lo
	v_cmpx_ne_u32_e32 0x7f, v26
	s_cbranch_execz .LBB259_2049
; %bb.2046:                             ;   in Loop: Header=BB259_11 Depth=1
	v_mov_b32_e32 v4, 7
	v_lshrrev_b32_e32 v9, 3, v26
	s_mov_b32 s22, exec_lo
	v_and_b32_sdwa v27, v8, v4 dst_sel:DWORD dst_unused:UNUSED_PAD src0_sel:WORD_1 src1_sel:DWORD
	v_mov_b32_e32 v55, v28
	v_mov_b32_e32 v54, v27
	v_cmpx_gt_u32_e32 8, v26
; %bb.2047:                             ;   in Loop: Header=BB259_11 Depth=1
	v_ffbh_u32_e32 v9, v27
	v_min_u32_e32 v9, 32, v9
	v_subrev_nc_u32_e32 v26, 28, v9
	v_sub_nc_u32_e32 v9, 29, v9
	v_lshlrev_b64 v[26:27], v26, v[27:28]
	v_and_b32_e32 v54, 7, v26
; %bb.2048:                             ;   in Loop: Header=BB259_11 Depth=1
	s_or_b32 exec_lo, exec_lo, s22
	v_mov_b32_e32 v4, 24
	v_lshlrev_b32_e32 v27, 20, v54
	v_lshl_add_u32 v9, v9, 23, 0x3c000000
	v_lshlrev_b32_sdwa v26, v4, v8 dst_sel:DWORD dst_unused:UNUSED_PAD src0_sel:DWORD src1_sel:WORD_1
	v_and_b32_e32 v26, 0x80000000, v26
	v_or3_b32 v27, v27, v26, v9
	v_mov_b32_e32 v5, v27
	v_mov_b32_e32 v6, v28
.LBB259_2049:                           ;   in Loop: Header=BB259_11 Depth=1
	s_or_b32 exec_lo, exec_lo, s19
.LBB259_2050:                           ;   in Loop: Header=BB259_11 Depth=1
	s_or_b32 exec_lo, exec_lo, s7
.LBB259_2051:                           ;   in Loop: Header=BB259_11 Depth=1
	s_or_b32 exec_lo, exec_lo, s6
	buffer_store_dword v76, off, s[0:3], s32 offset:2044 ; 4-byte Folded Spill
	buffer_store_dword v77, off, s[0:3], s32 offset:2048 ; 4-byte Folded Spill
	v_cmp_lt_u32_e64 s5, 0xffffff, v8
	s_mov_b32 s6, exec_lo
	v_mov_b32_e32 v100, v44
	v_mov_b32_e32 v98, v101
	s_and_b32 s5, s6, s5
	s_mov_b32 exec_lo, s5
	s_cbranch_execz .LBB259_10
; %bb.2052:                             ;   in Loop: Header=BB259_11 Depth=1
	v_mov_b32_e32 v98, v28
	v_mov_b32_e32 v4, 0x80
	;; [unrolled: 1-line block ×3, first 2 shown]
	v_cmp_ne_u32_sdwa s5, v8, v4 src0_sel:BYTE_3 src1_sel:DWORD
	v_mov_b32_e32 v17, v99
	s_and_saveexec_b32 s7, s5
	s_cbranch_execz .LBB259_9
; %bb.2053:                             ;   in Loop: Header=BB259_11 Depth=1
	v_mov_b32_e32 v116, v28
	v_bfe_u32 v26, v8, 24, 7
	s_mov_b32 s19, exec_lo
	v_mov_b32_e32 v16, v116
	v_mov_b32_e32 v17, v117
	v_cmpx_ne_u32_e32 0x7f, v26
	s_cbranch_execz .LBB259_8
; %bb.2054:                             ;   in Loop: Header=BB259_11 Depth=1
	v_mov_b32_e32 v4, 7
	v_lshrrev_b32_e32 v9, 3, v26
	s_mov_b32 s22, exec_lo
	v_and_b32_sdwa v27, v8, v4 dst_sel:DWORD dst_unused:UNUSED_PAD src0_sel:BYTE_3 src1_sel:DWORD
	v_mov_b32_e32 v16, v27
	v_mov_b32_e32 v17, v28
	v_cmpx_gt_u32_e32 8, v26
	s_cbranch_execz .LBB259_7
; %bb.2055:                             ;   in Loop: Header=BB259_11 Depth=1
	v_ffbh_u32_e32 v9, v27
	v_min_u32_e32 v9, 32, v9
	v_subrev_nc_u32_e32 v16, 28, v9
	v_sub_nc_u32_e32 v9, 29, v9
	v_lshlrev_b64 v[16:17], v16, v[27:28]
	v_and_b32_e32 v16, 7, v16
	s_branch .LBB259_7
.LBB259_2056:
	s_or_b32 exec_lo, exec_lo, s17
	s_clause 0xa
	buffer_load_dword v15, off, s[0:3], s32 offset:3144
	buffer_load_dword v14, off, s[0:3], s32 offset:3148
	;; [unrolled: 1-line block ×11, first 2 shown]
.LBB259_2057:
	s_or_b32 exec_lo, exec_lo, s15
	v_mbcnt_lo_u32_b32 v0, -1, 0
	v_max_f32_e32 v4, v13, v13
	s_lshr_b32 s13, s13, 16
	v_xor_b32_e32 v1, 16, v0
	v_xor_b32_e32 v3, 8, v0
	;; [unrolled: 1-line block ×3, first 2 shown]
	v_cmp_gt_i32_e32 vcc_lo, 32, v1
	v_cndmask_b32_e32 v1, v0, v1, vcc_lo
	v_cmp_gt_i32_e32 vcc_lo, 32, v3
	v_lshlrev_b32_e32 v2, 2, v1
	v_cndmask_b32_e32 v3, v0, v3, vcc_lo
	v_cmp_gt_i32_e32 vcc_lo, 32, v5
	ds_bpermute_b32 v1, v2, v13
	v_lshlrev_b32_e32 v3, 2, v3
	v_cndmask_b32_e32 v5, v0, v5, vcc_lo
	v_lshlrev_b32_e32 v112, 2, v5
	v_xor_b32_e32 v5, 2, v0
	v_cmp_gt_i32_e32 vcc_lo, 32, v5
	v_cndmask_b32_e32 v5, v0, v5, vcc_lo
	s_waitcnt lgkmcnt(0)
	v_max_f32_e32 v1, v1, v1
	v_lshlrev_b32_e32 v42, 2, v5
	v_xor_b32_e32 v5, 1, v0
	v_max_f32_e32 v1, v4, v1
	v_cmp_gt_i32_e32 vcc_lo, 32, v5
	ds_bpermute_b32 v4, v3, v1
	v_cndmask_b32_e32 v5, v0, v5, vcc_lo
	v_lshlrev_b32_e32 v58, 2, v5
	s_waitcnt lgkmcnt(0)
	v_max_f32_e32 v4, v4, v4
	v_max_f32_e32 v1, v1, v4
	ds_bpermute_b32 v4, v112, v1
	s_waitcnt lgkmcnt(0)
	v_max_f32_e32 v4, v4, v4
	v_max_f32_e32 v1, v1, v4
	ds_bpermute_b32 v4, v42, v1
	s_waitcnt lgkmcnt(0)
	v_max_f32_e32 v4, v4, v4
	v_max_f32_e32 v0, v1, v4
	buffer_load_dword v4, off, s[0:3], s32 offset:3104 ; 4-byte Folded Reload
	ds_bpermute_b32 v1, v58, v0
	s_waitcnt vmcnt(0)
	v_cmp_eq_u32_e32 vcc_lo, 0, v4
	buffer_load_dword v4, off, s[0:3], s32 offset:3108 ; 4-byte Folded Reload
	s_waitcnt vmcnt(0)
	v_lshlrev_b32_e32 v4, 2, v4
	s_mov_b32 s5, exec_lo
	buffer_load_dword v9, off, s[0:3], s32 offset:3100 ; 4-byte Folded Reload
	s_and_b32 s6, s5, vcc_lo
	s_mov_b32 exec_lo, s6
	s_cbranch_execz .LBB259_2059
; %bb.2058:
	s_waitcnt lgkmcnt(0)
	v_max_f32_e32 v1, v1, v1
	v_max_f32_e32 v0, v0, v0
	;; [unrolled: 1-line block ×3, first 2 shown]
	ds_write_b32 v4, v0 offset:1024
.LBB259_2059:
	s_or_b32 exec_lo, exec_lo, s5
	buffer_load_dword v0, off, s[0:3], s32 offset:3104 ; 4-byte Folded Reload
	s_waitcnt vmcnt(0) lgkmcnt(0)
	s_waitcnt_vscnt null, 0x0
	s_barrier
	buffer_gl0_inv
	v_cmp_gt_u32_e64 s5, 4, v0
	v_mov_b32_e32 v0, 0xff7fffff
	s_and_saveexec_b32 s6, s5
; %bb.2060:
	ds_read_b32 v0, v12 offset:1024
; %bb.2061:
	s_or_b32 exec_lo, exec_lo, s6
	buffer_load_dword v5, off, s[0:3], s32 offset:1816 ; 4-byte Folded Reload
	s_waitcnt lgkmcnt(0)
	ds_bpermute_b32 v1, v42, v0
	v_max_f32_e32 v0, v0, v0
	s_waitcnt lgkmcnt(0)
	v_max_f32_e32 v1, v1, v1
	v_max_f32_e32 v0, v0, v1
	ds_bpermute_b32 v1, v58, v0
	s_waitcnt lgkmcnt(0)
	v_max_f32_e32 v1, v1, v1
	v_max_f32_e32 v0, v0, v1
	s_waitcnt vmcnt(0)
	v_subrev_nc_u32_e32 v6, s9, v5
	v_mov_b32_e32 v5, 0
	v_lshl_add_u32 v1, v6, 5, s21
	buffer_load_dword v6, off, s[0:3], s32 offset:1808 ; 4-byte Folded Reload
	ds_bpermute_b32 v0, v5, v0
	s_waitcnt vmcnt(0)
	v_min_i32_e32 v1, v1, v6
	v_subrev_nc_u32_e32 v1, s21, v1
	v_cmp_lt_i32_e64 s6, v9, v1
	s_and_saveexec_b32 s9, s6
	s_cbranch_execz .LBB259_2065
; %bb.2062:
	s_getpc_b64 s[22:23]
	s_add_u32 s22, s22, llvm.amdgcn.dynlds.offset.table@rel32@lo+4
	s_addc_u32 s23, s23, llvm.amdgcn.dynlds.offset.table@rel32@hi+12
	s_ashr_i32 s19, s18, 31
	v_mov_b32_e32 v5, 0
	s_lshl_b64 s[24:25], s[18:19], 2
	v_mov_b32_e32 v7, v9
	s_add_u32 s22, s22, s24
	s_addc_u32 s23, s23, s25
	s_mov_b32 s15, 0
	s_load_dword s7, s[22:23], 0x0
	s_waitcnt lgkmcnt(0)
	v_lshl_add_u32 v6, v9, 2, s7
	.p2align	6
.LBB259_2063:                           ; =>This Inner Loop Header: Depth=1
	ds_read_b32 v8, v6
	v_add_nc_u32_e32 v7, 0x80, v7
	v_cmp_ge_i32_e64 s7, v7, v1
	s_or_b32 s15, s7, s15
	s_waitcnt lgkmcnt(0)
	v_sub_f32_e32 v8, v8, v0
	v_mul_f32_e32 v8, 0x3fb8aa3b, v8
	v_exp_f32_e32 v8, v8
	ds_write_b32 v6, v8
	v_add_f32_e32 v5, v5, v8
	v_add_nc_u32_e32 v6, 0x200, v6
	s_andn2_b32 exec_lo, exec_lo, s15
	s_cbranch_execnz .LBB259_2063
; %bb.2064:
	s_or_b32 exec_lo, exec_lo, s15
.LBB259_2065:
	s_or_b32 exec_lo, exec_lo, s9
	ds_bpermute_b32 v2, v2, v5
	s_waitcnt lgkmcnt(0)
	v_add_f32_e32 v2, v5, v2
	ds_bpermute_b32 v3, v3, v2
	s_waitcnt lgkmcnt(0)
	v_add_f32_e32 v2, v2, v3
	;; [unrolled: 3-line block ×5, first 2 shown]
	s_and_saveexec_b32 s7, vcc_lo
; %bb.2066:
	ds_write_b32 v4, v2 offset:1040
; %bb.2067:
	s_or_b32 exec_lo, exec_lo, s7
	s_waitcnt lgkmcnt(0)
	s_barrier
	buffer_gl0_inv
	s_and_saveexec_b32 s7, s5
; %bb.2068:
	ds_read_b32 v2, v12 offset:1040
; %bb.2069:
	s_or_b32 exec_lo, exec_lo, s7
	s_waitcnt lgkmcnt(0)
	ds_bpermute_b32 v3, v42, v2
	s_waitcnt lgkmcnt(0)
	v_add_f32_e32 v2, v2, v3
	ds_bpermute_b32 v3, v58, v2
	s_waitcnt lgkmcnt(0)
	v_add_f32_e32 v2, v2, v3
	v_mov_b32_e32 v3, 0
	ds_bpermute_b32 v2, v3, v2
	s_and_saveexec_b32 s5, s6
	s_cbranch_execz .LBB259_2072
; %bb.2070:
	s_waitcnt lgkmcnt(0)
	v_add_f32_e32 v4, 0x358637bd, v2
	s_getpc_b64 s[6:7]
	s_add_u32 s6, s6, llvm.amdgcn.dynlds.offset.table@rel32@lo+4
	s_addc_u32 s7, s7, llvm.amdgcn.dynlds.offset.table@rel32@hi+12
	s_ashr_i32 s19, s18, 31
	s_lshl_b64 s[22:23], s[18:19], 2
	v_div_scale_f32 v3, null, v4, v4, 1.0
	v_div_scale_f32 v7, vcc_lo, 1.0, v4, 1.0
	s_add_u32 s6, s6, s22
	v_rcp_f32_e32 v5, v3
	s_addc_u32 s7, s7, s23
	s_load_dword s6, s[6:7], 0x0
	v_fma_f32 v6, -v3, v5, 1.0
	v_fmac_f32_e32 v5, v6, v5
	v_mul_f32_e32 v6, v7, v5
	v_fma_f32 v8, -v3, v6, v7
	v_fmac_f32_e32 v6, v8, v5
	v_fma_f32 v3, -v3, v6, v7
	v_div_fmas_f32 v5, v3, v5, v6
	s_waitcnt lgkmcnt(0)
	v_lshl_add_u32 v3, v9, 2, s6
	s_mov_b32 s6, 0
	v_div_fixup_f32 v4, v5, v4, 1.0
	v_mov_b32_e32 v5, v9
.LBB259_2071:                           ; =>This Inner Loop Header: Depth=1
	ds_read_b32 v6, v3
	v_add_nc_u32_e32 v5, 0x80, v5
	v_cmp_ge_i32_e32 vcc_lo, v5, v1
	s_or_b32 s6, vcc_lo, s6
	s_waitcnt lgkmcnt(0)
	v_mul_f32_e32 v6, v4, v6
	ds_write_b32 v3, v6
	v_add_nc_u32_e32 v3, 0x200, v3
	s_andn2_b32 exec_lo, exec_lo, s6
	s_cbranch_execnz .LBB259_2071
.LBB259_2072:
	s_or_b32 exec_lo, exec_lo, s5
	s_and_b32 s5, 0xffff, s13
	s_waitcnt lgkmcnt(0)
	s_cmp_lg_u32 s5, 0
	s_barrier
	s_cselect_b32 s5, -1, 0
	buffer_gl0_inv
	s_cmp_lg_u32 s5, 0
	s_mov_b32 s5, exec_lo
	s_addc_u32 s9, s8, 0
	v_cmpx_eq_u32_e32 0, v9
	s_cbranch_execz .LBB259_2074
; %bb.2073:
	s_mul_i32 s6, s9, s10
	s_mul_i32 s12, s9, s12
	;; [unrolled: 1-line block ×3, first 2 shown]
	s_ashr_i32 s13, s12, 31
	s_ashr_i32 s7, s6, 31
	s_lshl_b64 s[12:13], s[12:13], 2
	s_lshl_b64 s[6:7], s[6:7], 2
	s_ashr_i32 s15, s14, 31
	v_add_co_u32 v1, vcc_lo, v28, s6
	v_add_co_ci_u32_e64 v3, null, s7, v25, vcc_lo
	v_add_co_u32 v1, vcc_lo, v1, s12
	v_add_co_ci_u32_e64 v4, null, s13, v3, vcc_lo
	;; [unrolled: 2-line block ×3, first 2 shown]
	s_lshl_b64 s[6:7], s[14:15], 2
	v_add_co_u32 v6, vcc_lo, v3, s12
	v_add_co_ci_u32_e64 v7, null, s13, v5, vcc_lo
	v_add_co_u32 v3, vcc_lo, v1, s6
	v_add_co_ci_u32_e64 v4, null, s7, v4, vcc_lo
	;; [unrolled: 2-line block ×3, first 2 shown]
	flat_store_dword v[3:4], v0
	flat_store_dword v[5:6], v2
.LBB259_2074:
	s_or_b32 exec_lo, exec_lo, s5
	s_and_saveexec_b32 s5, s4
	s_xor_b32 s4, exec_lo, s5
	s_cbranch_execz .LBB259_2076
; %bb.2075:
                                        ; implicit-def: $vgpr0
                                        ; kill: killed $vgpr0
	s_ashr_i32 s19, s18, 31
                                        ; implicit-def: $vgpr0
                                        ; kill: killed $vgpr0
                                        ; implicit-def: $vgpr10
                                        ; implicit-def: $vgpr11
                                        ; implicit-def: $vgpr14
                                        ; implicit-def: $vgpr15
                                        ; implicit-def: $vgpr26_vgpr27
                                        ; implicit-def: $vgpr0
                                        ; kill: killed $vgpr0
                                        ; implicit-def: $vgpr0
	buffer_store_dword v0, off, s[0:3], s32 offset:192 ; 4-byte Folded Spill
	buffer_store_dword v1, off, s[0:3], s32 offset:196 ; 4-byte Folded Spill
                                        ; implicit-def: $vgpr0
                                        ; kill: killed $vgpr0
                                        ; implicit-def: $vgpr0
                                        ; kill: killed $vgpr0
	;; [unrolled: 2-line block ×3, first 2 shown]
                                        ; implicit-def: $vgpr0_vgpr1
                                        ; kill: killed $vgpr0_vgpr1
                                        ; implicit-def: $vgpr0
                                        ; kill: killed $vgpr0
.LBB259_2076:
	s_or_saveexec_b32 s12, s4
	v_mov_b32_e32 v0, s18
	v_mov_b32_e32 v4, 0
	;; [unrolled: 1-line block ×3, first 2 shown]
	v_and_b32_e32 v59, 7, v9
	v_mov_b32_e32 v28, 0
	v_mov_b32_e32 v17, 0
	;; [unrolled: 1-line block ×63, first 2 shown]
	s_xor_b32 exec_lo, exec_lo, s12
	s_cbranch_execz .LBB259_4256
; %bb.2077:
	buffer_store_dword v112, off, s[0:3], s32 offset:1928 ; 4-byte Folded Spill
	buffer_store_dword v42, off, s[0:3], s32 offset:1924 ; 4-byte Folded Spill
	;; [unrolled: 1-line block ×3, first 2 shown]
	buffer_load_dword v0, off, s[0:3], s32 offset:3132 ; 4-byte Folded Reload
	flat_load_dword v73, v[26:27]
	v_lshlrev_b32_e32 v2, 2, v9
	s_ashr_i32 s19, s18, 31
	s_getpc_b64 s[4:5]
	s_add_u32 s4, s4, llvm.amdgcn.dynlds.offset.table@rel32@lo+4
	s_addc_u32 s5, s5, llvm.amdgcn.dynlds.offset.table@rel32@hi+12
	s_lshl_b64 s[6:7], s[18:19], 2
	v_mov_b32_e32 v7, 0
	v_and_b32_e32 v5, 0x7c, v2
	s_add_u32 s4, s4, s6
	s_addc_u32 s5, s5, s7
	v_mov_b32_e32 v75, 0x80
	v_bfrev_b32_e32 v9, 1
	v_mov_b32_e32 v76, 0xffff
	v_mov_b32_e32 v77, 0xff
	;; [unrolled: 1-line block ×6, first 2 shown]
	s_mov_b32 s13, 0
	s_waitcnt vmcnt(1)
	v_add_co_u32 v3, vcc_lo, v10, v0
	buffer_load_dword v0, off, s[0:3], s32 offset:3136 ; 4-byte Folded Reload
	s_waitcnt vmcnt(1) lgkmcnt(0)
	v_mov_b32_e32 v93, v73
	s_waitcnt vmcnt(0)
	v_add_co_ci_u32_e64 v4, null, v11, v0, vcc_lo
	v_mov_b32_e32 v11, 0x7f800001
	buffer_store_dword v3, off, s[0:3], s32 offset:1896 ; 4-byte Folded Spill
	buffer_store_dword v4, off, s[0:3], s32 offset:1900 ; 4-byte Folded Spill
	buffer_load_dword v0, off, s[0:3], s32 offset:3140 ; 4-byte Folded Reload
	v_mov_b32_e32 v4, 0
	v_lshlrev_b32_e32 v3, 4, v59
	s_waitcnt vmcnt(0)
	v_add_nc_u32_e32 v0, -1, v0
	buffer_store_dword v0, off, s[0:3], s32 offset:1904 ; 4-byte Folded Spill
	s_clause 0x1
	buffer_load_dword v0, off, s[0:3], s32 offset:192
	buffer_load_dword v1, off, s[0:3], s32 offset:196
	buffer_store_dword v4, off, s[0:3], s32 offset:1440 ; 4-byte Folded Spill
	v_mov_b32_e32 v4, 0
	buffer_store_dword v5, off, s[0:3], s32 offset:1908 ; 4-byte Folded Spill
	v_or_b32_e32 v5, 0xf80, v2
	buffer_store_dword v59, off, s[0:3], s32 offset:1932 ; 4-byte Folded Spill
	s_load_dword s4, s[4:5], 0x0
	buffer_store_dword v4, off, s[0:3], s32 offset:1448 ; 4-byte Folded Spill
	v_mov_b32_e32 v4, 0
	buffer_store_dword v5, off, s[0:3], s32 offset:1912 ; 4-byte Folded Spill
	buffer_store_dword v4, off, s[0:3], s32 offset:1456 ; 4-byte Folded Spill
	v_mov_b32_e32 v4, 0
	buffer_store_dword v4, off, s[0:3], s32 offset:1464 ; 4-byte Folded Spill
	v_mov_b32_e32 v4, 0
	;; [unrolled: 2-line block ×52, first 2 shown]
	s_waitcnt vmcnt(0)
	v_lshlrev_b64 v[0:1], 2, v[0:1]
	buffer_store_dword v4, off, s[0:3], s32 offset:1856 ; 4-byte Folded Spill
	v_mov_b32_e32 v4, 0
	buffer_store_dword v4, off, s[0:3], s32 offset:1860 ; 4-byte Folded Spill
	v_mov_b32_e32 v4, 0
	;; [unrolled: 2-line block ×6, first 2 shown]
	buffer_store_dword v4, off, s[0:3], s32 offset:1880 ; 4-byte Folded Spill
	v_and_b32_e32 v4, 28, v2
	v_or_b32_e32 v2, 0x1f80, v2
	buffer_store_dword v2, off, s[0:3], s32 offset:1916 ; 4-byte Folded Spill
	s_clause 0x2
	buffer_load_dword v2, off, s[0:3], s32 offset:3108
	buffer_load_dword v5, off, s[0:3], s32 offset:3124
	;; [unrolled: 1-line block ×3, first 2 shown]
	s_waitcnt vmcnt(2)
	v_lshl_or_b32 v2, v2, 7, v3
	buffer_load_dword v3, off, s[0:3], s32 offset:3120 ; 4-byte Folded Reload
	s_waitcnt vmcnt(2)
	v_add_co_u32 v0, vcc_lo, v5, v0
	s_waitcnt vmcnt(1)
	v_add_co_ci_u32_e64 v1, null, v6, v1, vcc_lo
	s_waitcnt lgkmcnt(0)
	v_add_nc_u32_e32 v2, s4, v2
	v_add_co_u32 v12, vcc_lo, v14, v0
	v_add_co_ci_u32_e64 v13, null, v15, v1, vcc_lo
	s_waitcnt vmcnt(0)
	v_add3_u32 v91, s21, v3, v4
	v_mov_b32_e32 v4, 0
	s_branch .LBB259_2079
.LBB259_2078:                           ;   in Loop: Header=BB259_2079 Depth=1
	s_or_b32 exec_lo, exec_lo, s8
	buffer_load_dword v16, off, s[0:3], s32 offset:1440 ; 4-byte Folded Reload
	v_mul_f32_e32 v15, v1, v121
	v_mul_f32_e32 v4, v1, v4
	v_add_co_u32 v12, vcc_lo, v12, 16
	v_add_co_ci_u32_e64 v13, null, 0, v13, vcc_lo
	v_fmac_f32_e32 v15, v0, v120
	v_fmac_f32_e32 v4, v0, v127
	v_add_nc_u32_e32 v91, 0x80, v91
	v_fmac_f32_e32 v15, v2, v23
	v_fmac_f32_e32 v4, v2, v126
	;; [unrolled: 1-line block ×4, first 2 shown]
	s_waitcnt vmcnt(0)
	v_add_f32_e32 v16, v16, v15
	v_mul_f32_e32 v15, v1, v29
	buffer_store_dword v16, off, s[0:3], s32 offset:1440 ; 4-byte Folded Spill
	buffer_load_dword v16, off, s[0:3], s32 offset:1448 ; 4-byte Folded Reload
	v_fmac_f32_e32 v15, v0, v28
	v_fmac_f32_e32 v15, v2, v25
	v_fmac_f32_e32 v15, v3, v24
	s_waitcnt vmcnt(0)
	v_add_f32_e32 v16, v16, v15
	v_mul_f32_e32 v15, v1, v111
	buffer_store_dword v16, off, s[0:3], s32 offset:1448 ; 4-byte Folded Spill
	buffer_load_dword v16, off, s[0:3], s32 offset:1456 ; 4-byte Folded Reload
	v_fmac_f32_e32 v15, v0, v110
	v_fmac_f32_e32 v15, v2, v109
	v_fmac_f32_e32 v15, v3, v108
	s_waitcnt vmcnt(0)
	v_add_f32_e32 v16, v16, v15
	v_mul_f32_e32 v15, v1, v92
	buffer_store_dword v16, off, s[0:3], s32 offset:1456 ; 4-byte Folded Spill
	buffer_load_dword v16, off, s[0:3], s32 offset:1464 ; 4-byte Folded Reload
	v_fmac_f32_e32 v15, v0, v107
	v_fmac_f32_e32 v15, v2, v106
	v_fmac_f32_e32 v15, v3, v105
	s_waitcnt vmcnt(0)
	v_add_f32_e32 v16, v16, v15
	v_mul_f32_e32 v15, v1, v30
	buffer_store_dword v16, off, s[0:3], s32 offset:1464 ; 4-byte Folded Spill
	buffer_load_dword v16, off, s[0:3], s32 offset:1472 ; 4-byte Folded Reload
	v_fmac_f32_e32 v15, v0, v104
	v_fmac_f32_e32 v15, v2, v95
	v_fmac_f32_e32 v15, v3, v94
	s_waitcnt vmcnt(0)
	v_add_f32_e32 v16, v16, v15
	v_mul_f32_e32 v15, v1, v47
	buffer_store_dword v16, off, s[0:3], s32 offset:1472 ; 4-byte Folded Spill
	v_fmac_f32_e32 v15, v0, v90
	buffer_load_dword v16, off, s[0:3], s32 offset:1884 ; 4-byte Folded Reload
	v_fmac_f32_e32 v15, v2, v89
	v_fmac_f32_e32 v15, v3, v5
	buffer_load_dword v5, off, s[0:3], s32 offset:1480 ; 4-byte Folded Reload
	s_waitcnt vmcnt(0)
	v_add_f32_e32 v5, v5, v15
	buffer_store_dword v5, off, s[0:3], s32 offset:1480 ; 4-byte Folded Spill
	buffer_load_dword v5, off, s[0:3], s32 offset:1488 ; 4-byte Folded Reload
	s_waitcnt vmcnt(0)
	v_add_f32_e32 v5, v5, v4
	v_mul_f32_e32 v4, v1, v74
	buffer_store_dword v5, off, s[0:3], s32 offset:1488 ; 4-byte Folded Spill
	buffer_load_dword v5, off, s[0:3], s32 offset:1496 ; 4-byte Folded Reload
	v_fmac_f32_e32 v4, v0, v72
	v_fmac_f32_e32 v4, v2, v63
	v_fmac_f32_e32 v4, v3, v62
	s_waitcnt vmcnt(0)
	v_add_f32_e32 v5, v5, v4
	v_mul_f32_e32 v4, v1, v61
	buffer_store_dword v5, off, s[0:3], s32 offset:1496 ; 4-byte Folded Spill
	buffer_load_dword v5, off, s[0:3], s32 offset:1504 ; 4-byte Folded Reload
	v_fmac_f32_e32 v4, v0, v60
	v_fmac_f32_e32 v4, v2, v59
	v_fmac_f32_e32 v4, v3, v58
	s_waitcnt vmcnt(0)
	v_add_f32_e32 v5, v5, v4
	v_mul_f32_e32 v4, v1, v57
	buffer_store_dword v5, off, s[0:3], s32 offset:1504 ; 4-byte Folded Spill
	buffer_load_dword v5, off, s[0:3], s32 offset:1512 ; 4-byte Folded Reload
	v_fmac_f32_e32 v4, v0, v56
	v_fmac_f32_e32 v4, v2, v46
	v_fmac_f32_e32 v4, v3, v45
	s_waitcnt vmcnt(0)
	v_add_f32_e32 v5, v5, v4
	v_mul_f32_e32 v4, v1, v44
	buffer_store_dword v5, off, s[0:3], s32 offset:1512 ; 4-byte Folded Spill
	buffer_load_dword v5, off, s[0:3], s32 offset:1520 ; 4-byte Folded Reload
	v_fmac_f32_e32 v4, v0, v43
	v_fmac_f32_e32 v4, v2, v42
	v_fmac_f32_e32 v4, v3, v41
	s_waitcnt vmcnt(0)
	v_add_f32_e32 v5, v5, v4
	v_mul_f32_e32 v4, v1, v40
	buffer_store_dword v5, off, s[0:3], s32 offset:1520 ; 4-byte Folded Spill
	buffer_load_dword v5, off, s[0:3], s32 offset:1528 ; 4-byte Folded Reload
	v_fmac_f32_e32 v4, v0, v119
	v_fmac_f32_e32 v4, v2, v118
	v_fmac_f32_e32 v4, v3, v117
	s_waitcnt vmcnt(0)
	v_add_f32_e32 v5, v5, v4
	v_mul_f32_e32 v4, v1, v116
	buffer_store_dword v5, off, s[0:3], s32 offset:1528 ; 4-byte Folded Spill
	buffer_load_dword v5, off, s[0:3], s32 offset:1536 ; 4-byte Folded Reload
	v_fmac_f32_e32 v4, v0, v115
	v_fmac_f32_e32 v4, v2, v114
	v_fmac_f32_e32 v4, v3, v113
	s_waitcnt vmcnt(0)
	v_add_f32_e32 v5, v5, v4
	v_mul_f32_e32 v4, v1, v112
	buffer_store_dword v5, off, s[0:3], s32 offset:1536 ; 4-byte Folded Spill
	buffer_load_dword v5, off, s[0:3], s32 offset:1544 ; 4-byte Folded Reload
	v_fmac_f32_e32 v4, v0, v103
	v_fmac_f32_e32 v4, v2, v102
	v_fmac_f32_e32 v4, v3, v101
	s_waitcnt vmcnt(0)
	v_add_f32_e32 v5, v5, v4
	v_mul_f32_e32 v4, v1, v100
	buffer_store_dword v5, off, s[0:3], s32 offset:1544 ; 4-byte Folded Spill
	buffer_load_dword v5, off, s[0:3], s32 offset:1552 ; 4-byte Folded Reload
	v_fmac_f32_e32 v4, v0, v99
	v_fmac_f32_e32 v4, v2, v125
	v_fmac_f32_e32 v4, v3, v124
	s_waitcnt vmcnt(0)
	v_add_f32_e32 v5, v5, v4
	v_mul_f32_e32 v4, v1, v123
	buffer_store_dword v5, off, s[0:3], s32 offset:1552 ; 4-byte Folded Spill
	buffer_load_dword v5, off, s[0:3], s32 offset:1560 ; 4-byte Folded Reload
	v_fmac_f32_e32 v4, v0, v31
	v_fmac_f32_e32 v4, v2, v98
	v_fmac_f32_e32 v4, v3, v97
	s_waitcnt vmcnt(0)
	v_add_f32_e32 v5, v5, v4
	v_mul_f32_e32 v4, v1, v96
	buffer_store_dword v5, off, s[0:3], s32 offset:1560 ; 4-byte Folded Spill
	buffer_load_dword v5, off, s[0:3], s32 offset:1568 ; 4-byte Folded Reload
	v_fmac_f32_e32 v4, v0, v87
	v_fmac_f32_e32 v4, v2, v27
	v_fmac_f32_e32 v4, v3, v26
	s_waitcnt vmcnt(0)
	v_add_f32_e32 v5, v5, v4
	v_mul_f32_e32 v4, v1, v86
	buffer_store_dword v5, off, s[0:3], s32 offset:1568 ; 4-byte Folded Spill
	buffer_load_dword v5, off, s[0:3], s32 offset:1576 ; 4-byte Folded Reload
	v_fmac_f32_e32 v4, v0, v85
	v_fmac_f32_e32 v4, v2, v84
	v_fmac_f32_e32 v4, v3, v83
	s_waitcnt vmcnt(0)
	v_add_f32_e32 v5, v5, v4
	v_mul_f32_e32 v4, v1, v82
	buffer_store_dword v5, off, s[0:3], s32 offset:1576 ; 4-byte Folded Spill
	buffer_load_dword v5, off, s[0:3], s32 offset:1584 ; 4-byte Folded Reload
	v_fmac_f32_e32 v4, v0, v81
	v_fmac_f32_e32 v4, v2, v80
	v_fmac_f32_e32 v4, v3, v71
	s_waitcnt vmcnt(0)
	v_add_f32_e32 v5, v5, v4
	v_mul_f32_e32 v4, v1, v70
	buffer_store_dword v5, off, s[0:3], s32 offset:1584 ; 4-byte Folded Spill
	buffer_load_dword v5, off, s[0:3], s32 offset:1592 ; 4-byte Folded Reload
	v_fmac_f32_e32 v4, v0, v69
	v_fmac_f32_e32 v4, v2, v68
	v_fmac_f32_e32 v4, v3, v67
	s_waitcnt vmcnt(0)
	v_add_f32_e32 v5, v5, v4
	v_mul_f32_e32 v4, v1, v66
	buffer_store_dword v5, off, s[0:3], s32 offset:1592 ; 4-byte Folded Spill
	buffer_load_dword v5, off, s[0:3], s32 offset:1600 ; 4-byte Folded Reload
	v_fmac_f32_e32 v4, v0, v65
	v_fmac_f32_e32 v4, v2, v64
	v_fmac_f32_e32 v4, v3, v55
	s_waitcnt vmcnt(0)
	v_add_f32_e32 v5, v5, v4
	v_mul_f32_e32 v4, v1, v54
	buffer_store_dword v5, off, s[0:3], s32 offset:1600 ; 4-byte Folded Spill
	buffer_load_dword v5, off, s[0:3], s32 offset:1608 ; 4-byte Folded Reload
	v_fmac_f32_e32 v4, v0, v53
	v_fmac_f32_e32 v4, v2, v52
	v_fmac_f32_e32 v4, v3, v51
	s_waitcnt vmcnt(0)
	v_add_f32_e32 v5, v5, v4
	v_mul_f32_e32 v4, v1, v50
	buffer_store_dword v5, off, s[0:3], s32 offset:1608 ; 4-byte Folded Spill
	buffer_load_dword v5, off, s[0:3], s32 offset:1616 ; 4-byte Folded Reload
	v_fmac_f32_e32 v4, v0, v49
	v_fmac_f32_e32 v4, v2, v48
	v_fmac_f32_e32 v4, v3, v39
	s_waitcnt vmcnt(0)
	v_add_f32_e32 v5, v5, v4
	v_mul_f32_e32 v4, v1, v38
	buffer_store_dword v5, off, s[0:3], s32 offset:1616 ; 4-byte Folded Spill
	buffer_load_dword v5, off, s[0:3], s32 offset:1624 ; 4-byte Folded Reload
	v_fmac_f32_e32 v4, v0, v37
	v_fmac_f32_e32 v4, v2, v36
	v_fmac_f32_e32 v4, v3, v35
	s_waitcnt vmcnt(0)
	v_add_f32_e32 v5, v5, v4
	v_mul_f32_e32 v4, v1, v34
	buffer_store_dword v5, off, s[0:3], s32 offset:1624 ; 4-byte Folded Spill
	buffer_load_dword v5, off, s[0:3], s32 offset:1432 ; 4-byte Folded Reload
	s_waitcnt vmcnt(0)
	v_fmac_f32_e32 v4, v0, v5
	buffer_load_dword v5, off, s[0:3], s32 offset:1424 ; 4-byte Folded Reload
	s_waitcnt vmcnt(0)
	v_fmac_f32_e32 v4, v2, v5
	;; [unrolled: 3-line block ×3, first 2 shown]
	buffer_load_dword v5, off, s[0:3], s32 offset:1632 ; 4-byte Folded Reload
	s_waitcnt vmcnt(0)
	v_add_f32_e32 v5, v5, v4
	buffer_load_dword v4, off, s[0:3], s32 offset:1408 ; 4-byte Folded Reload
	buffer_store_dword v5, off, s[0:3], s32 offset:1632 ; 4-byte Folded Spill
	buffer_load_dword v5, off, s[0:3], s32 offset:1400 ; 4-byte Folded Reload
	s_waitcnt vmcnt(1)
	v_mul_f32_e32 v4, v1, v4
	s_waitcnt vmcnt(0)
	v_fmac_f32_e32 v4, v0, v5
	buffer_load_dword v5, off, s[0:3], s32 offset:1392 ; 4-byte Folded Reload
	s_waitcnt vmcnt(0)
	v_fmac_f32_e32 v4, v2, v5
	buffer_load_dword v5, off, s[0:3], s32 offset:1384 ; 4-byte Folded Reload
	s_waitcnt vmcnt(0)
	v_fmac_f32_e32 v4, v3, v5
	buffer_load_dword v5, off, s[0:3], s32 offset:1640 ; 4-byte Folded Reload
	s_waitcnt vmcnt(0)
	v_add_f32_e32 v5, v5, v4
	buffer_load_dword v4, off, s[0:3], s32 offset:1376 ; 4-byte Folded Reload
	buffer_store_dword v5, off, s[0:3], s32 offset:1640 ; 4-byte Folded Spill
	buffer_load_dword v5, off, s[0:3], s32 offset:1368 ; 4-byte Folded Reload
	s_waitcnt vmcnt(1)
	v_mul_f32_e32 v4, v1, v4
	s_waitcnt vmcnt(0)
	v_fmac_f32_e32 v4, v0, v5
	buffer_load_dword v5, off, s[0:3], s32 offset:1360 ; 4-byte Folded Reload
	s_waitcnt vmcnt(0)
	v_fmac_f32_e32 v4, v2, v5
	buffer_load_dword v5, off, s[0:3], s32 offset:1352 ; 4-byte Folded Reload
	s_waitcnt vmcnt(0)
	v_fmac_f32_e32 v4, v3, v5
	;; [unrolled: 16-line block ×25, first 2 shown]
	buffer_load_dword v5, off, s[0:3], s32 offset:600 ; 4-byte Folded Reload
	v_add_f32_e32 v16, v16, v4
	buffer_load_dword v4, off, s[0:3], s32 offset:608 ; 4-byte Folded Reload
	s_waitcnt vmcnt(0)
	v_mul_f32_e32 v4, v1, v4
	v_fmac_f32_e32 v4, v0, v5
	buffer_load_dword v5, off, s[0:3], s32 offset:592 ; 4-byte Folded Reload
	s_waitcnt vmcnt(0)
	v_fmac_f32_e32 v4, v2, v5
	buffer_load_dword v5, off, s[0:3], s32 offset:584 ; 4-byte Folded Reload
	s_waitcnt vmcnt(0)
	v_fmac_f32_e32 v4, v3, v5
	buffer_load_dword v5, off, s[0:3], s32 offset:1836 ; 4-byte Folded Reload
	s_waitcnt vmcnt(0)
	v_add_f32_e32 v5, v5, v4
	buffer_load_dword v4, off, s[0:3], s32 offset:576 ; 4-byte Folded Reload
	buffer_store_dword v5, off, s[0:3], s32 offset:1836 ; 4-byte Folded Spill
	buffer_load_dword v5, off, s[0:3], s32 offset:568 ; 4-byte Folded Reload
	s_waitcnt vmcnt(1)
	v_mul_f32_e32 v4, v1, v4
	s_waitcnt vmcnt(0)
	v_fmac_f32_e32 v4, v0, v5
	buffer_load_dword v5, off, s[0:3], s32 offset:560 ; 4-byte Folded Reload
	s_waitcnt vmcnt(0)
	v_fmac_f32_e32 v4, v2, v5
	buffer_load_dword v5, off, s[0:3], s32 offset:552 ; 4-byte Folded Reload
	s_waitcnt vmcnt(0)
	v_fmac_f32_e32 v4, v3, v5
	buffer_load_dword v5, off, s[0:3], s32 offset:1840 ; 4-byte Folded Reload
	s_waitcnt vmcnt(0)
	v_add_f32_e32 v5, v5, v4
	buffer_load_dword v4, off, s[0:3], s32 offset:544 ; 4-byte Folded Reload
	buffer_store_dword v5, off, s[0:3], s32 offset:1840 ; 4-byte Folded Spill
	buffer_load_dword v5, off, s[0:3], s32 offset:536 ; 4-byte Folded Reload
	s_waitcnt vmcnt(1)
	v_mul_f32_e32 v4, v1, v4
	s_waitcnt vmcnt(0)
	;; [unrolled: 16-line block ×11, first 2 shown]
	v_fmac_f32_e32 v4, v0, v5
	buffer_load_dword v5, off, s[0:3], s32 offset:240 ; 4-byte Folded Reload
	s_waitcnt vmcnt(0)
	v_fmac_f32_e32 v4, v2, v5
	buffer_load_dword v5, off, s[0:3], s32 offset:232 ; 4-byte Folded Reload
	s_waitcnt vmcnt(0)
	;; [unrolled: 3-line block ×3, first 2 shown]
	v_add_f32_e32 v5, v5, v4
	buffer_load_dword v4, off, s[0:3], s32 offset:216 ; 4-byte Folded Reload
	buffer_store_dword v5, off, s[0:3], s32 offset:1880 ; 4-byte Folded Spill
	buffer_load_dword v5, off, s[0:3], s32 offset:224 ; 4-byte Folded Reload
	s_waitcnt vmcnt(1)
	v_mul_f32_e32 v4, v1, v4
	v_mul_f32_e32 v1, v1, v14
	s_waitcnt vmcnt(0)
	v_fmac_f32_e32 v4, v0, v5
	buffer_load_dword v5, off, s[0:3], s32 offset:208 ; 4-byte Folded Reload
	v_fmac_f32_e32 v1, v0, v10
	v_fmac_f32_e32 v1, v2, v8
	;; [unrolled: 1-line block ×3, first 2 shown]
	v_add_f32_e32 v122, v122, v1
	s_waitcnt vmcnt(0)
	v_fmac_f32_e32 v4, v2, v5
	buffer_load_dword v5, off, s[0:3], s32 offset:200 ; 4-byte Folded Reload
	s_waitcnt vmcnt(0)
	v_fmac_f32_e32 v4, v3, v5
	s_clause 0x3
	buffer_load_dword v5, off, s[0:3], s32 offset:1888
	buffer_load_dword v0, off, s[0:3], s32 offset:192
	;; [unrolled: 1-line block ×4, first 2 shown]
	s_waitcnt vmcnt(1)
	v_mov_b32_e32 v1, v0
	v_add_f32_e32 v4, v5, v4
	s_waitcnt vmcnt(0)
	v_add_nc_u32_e32 v2, 0x200, v2
	v_add_nc_u32_e32 v1, 4, v1
	v_mov_b32_e32 v0, v1
	buffer_store_dword v0, off, s[0:3], s32 offset:192 ; 4-byte Folded Spill
	buffer_store_dword v1, off, s[0:3], s32 offset:196 ; 4-byte Folded Spill
	buffer_load_dword v0, off, s[0:3], s32 offset:1816 ; 4-byte Folded Reload
	s_waitcnt vmcnt(0)
	v_cmp_ge_i32_e32 vcc_lo, v1, v0
	s_or_b32 s13, vcc_lo, s13
	s_andn2_b32 exec_lo, exec_lo, s13
	s_cbranch_execz .LBB259_4255
.LBB259_2079:                           ; =>This Inner Loop Header: Depth=1
	buffer_store_dword v4, off, s[0:3], s32 offset:1888 ; 4-byte Folded Spill
	buffer_store_dword v16, off, s[0:3], s32 offset:1884 ; 4-byte Folded Spill
	flat_load_dword v0, v[12:13]
	buffer_load_dword v1, off, s[0:3], s32 offset:1812 ; 4-byte Folded Reload
	v_mov_b32_e32 v5, v2
	s_clause 0x1
	buffer_load_dword v2, off, s[0:3], s32 offset:1896
	buffer_load_dword v3, off, s[0:3], s32 offset:1900
	v_mov_b32_e32 v20, 0
	v_mov_b32_e32 v18, 0
	;; [unrolled: 1-line block ×4, first 2 shown]
	buffer_store_dword v5, off, s[0:3], s32 offset:1892 ; 4-byte Folded Spill
	s_waitcnt vmcnt(0) lgkmcnt(0)
	v_mad_i64_i32 v[14:15], null, v0, v1, v[2:3]
	buffer_load_dword v0, off, s[0:3], s32 offset:1908 ; 4-byte Folded Reload
	s_waitcnt vmcnt(0)
	v_add_co_u32 v16, vcc_lo, v14, v0
	v_add_co_ci_u32_e64 v17, null, 0, v15, vcc_lo
	ds_read_b128 v[0:3], v5
	flat_load_dword v4, v[16:17]
	s_waitcnt vmcnt(0) lgkmcnt(0)
	v_cmp_ne_u16_sdwa s5, v4, v7 src0_sel:BYTE_0 src1_sel:DWORD
	s_and_saveexec_b32 s4, s5
	s_cbranch_execz .LBB259_2087
; %bb.2080:                             ;   in Loop: Header=BB259_2079 Depth=1
	v_bfrev_b32_e32 v18, 1
	v_mov_b32_e32 v19, 0
	v_cmp_ne_u16_sdwa s6, v4, v75 src0_sel:BYTE_0 src1_sel:DWORD
	s_and_saveexec_b32 s5, s6
	s_cbranch_execz .LBB259_2086
; %bb.2081:                             ;   in Loop: Header=BB259_2079 Depth=1
	v_mov_b32_e32 v18, 0x7f800001
	v_and_b32_e32 v8, 0x7f, v4
	v_mov_b32_e32 v19, 0
	s_mov_b32 s6, exec_lo
	v_cmpx_ne_u32_e32 0x7f, v8
	s_cbranch_execz .LBB259_2085
; %bb.2082:                             ;   in Loop: Header=BB259_2079 Depth=1
	v_and_b32_e32 v6, 7, v4
	v_lshrrev_b32_e32 v5, 3, v8
	s_mov_b32 s7, exec_lo
	v_cmpx_gt_u32_e32 8, v8
; %bb.2083:                             ;   in Loop: Header=BB259_2079 Depth=1
	v_ffbh_u32_e32 v5, v6
	v_min_u32_e32 v5, 32, v5
	v_subrev_nc_u32_e32 v8, 28, v5
	v_sub_nc_u32_e32 v5, 29, v5
	v_lshlrev_b64 v[18:19], v8, v[6:7]
	v_and_b32_e32 v6, 7, v18
; %bb.2084:                             ;   in Loop: Header=BB259_2079 Depth=1
	s_or_b32 exec_lo, exec_lo, s7
	v_lshlrev_b32_e32 v8, 24, v4
	v_lshlrev_b32_e32 v6, 20, v6
	v_lshl_add_u32 v5, v5, 23, 0x3c000000
	v_and_b32_e32 v8, 0x80000000, v8
	v_or3_b32 v6, v6, v8, v5
	v_mov_b32_e32 v19, v7
	v_mov_b32_e32 v18, v6
.LBB259_2085:                           ;   in Loop: Header=BB259_2079 Depth=1
	s_or_b32 exec_lo, exec_lo, s6
.LBB259_2086:                           ;   in Loop: Header=BB259_2079 Depth=1
	s_or_b32 exec_lo, exec_lo, s5
.LBB259_2087:                           ;   in Loop: Header=BB259_2079 Depth=1
	s_or_b32 exec_lo, exec_lo, s4
	v_cmp_ne_u16_sdwa s5, v4, v7 src0_sel:BYTE_1 src1_sel:DWORD
	s_and_saveexec_b32 s4, s5
	s_cbranch_execz .LBB259_2095
; %bb.2088:                             ;   in Loop: Header=BB259_2079 Depth=1
	v_mov_b32_e32 v8, v7
	v_mov_b32_e32 v21, v9
	v_cmp_ne_u16_sdwa s6, v4, v75 src0_sel:BYTE_1 src1_sel:DWORD
	v_mov_b32_e32 v20, v8
	s_and_saveexec_b32 s5, s6
	s_cbranch_execz .LBB259_2094
; %bb.2089:                             ;   in Loop: Header=BB259_2079 Depth=1
	v_and_b32_sdwa v5, v76, v4 dst_sel:DWORD dst_unused:UNUSED_PAD src0_sel:DWORD src1_sel:BYTE_1
	v_mov_b32_e32 v10, v7
	v_mov_b32_e32 v21, v11
	s_mov_b32 s6, exec_lo
	v_and_b32_e32 v8, 0x7f, v5
	v_mov_b32_e32 v20, v10
	v_cmpx_ne_u32_e32 0x7f, v8
	s_cbranch_execz .LBB259_2093
; %bb.2090:                             ;   in Loop: Header=BB259_2079 Depth=1
	v_and_b32_e32 v6, 7, v5
	v_lshrrev_b32_e32 v5, 3, v8
	s_mov_b32 s7, exec_lo
	v_cmpx_gt_u32_e32 8, v8
; %bb.2091:                             ;   in Loop: Header=BB259_2079 Depth=1
	v_ffbh_u32_e32 v5, v6
	v_min_u32_e32 v5, 32, v5
	v_subrev_nc_u32_e32 v8, 28, v5
	v_sub_nc_u32_e32 v5, 29, v5
	v_lshlrev_b64 v[20:21], v8, v[6:7]
	v_and_b32_e32 v6, 7, v20
; %bb.2092:                             ;   in Loop: Header=BB259_2079 Depth=1
	s_or_b32 exec_lo, exec_lo, s7
	v_lshlrev_b32_e32 v8, 16, v4
	v_lshlrev_b32_e32 v6, 20, v6
	v_lshl_add_u32 v5, v5, 23, 0x3c000000
	v_mov_b32_e32 v20, v7
	v_and_b32_e32 v8, 0x80000000, v8
	v_or3_b32 v21, v6, v8, v5
.LBB259_2093:                           ;   in Loop: Header=BB259_2079 Depth=1
	s_or_b32 exec_lo, exec_lo, s6
.LBB259_2094:                           ;   in Loop: Header=BB259_2079 Depth=1
	s_or_b32 exec_lo, exec_lo, s5
.LBB259_2095:                           ;   in Loop: Header=BB259_2079 Depth=1
	s_or_b32 exec_lo, exec_lo, s4
	v_mov_b32_e32 v24, 0
	v_mov_b32_e32 v22, 0
	v_and_b32_sdwa v5, v4, v77 dst_sel:DWORD dst_unused:UNUSED_PAD src0_sel:WORD_1 src1_sel:DWORD
	v_mov_b32_e32 v25, 0
	v_mov_b32_e32 v23, 0
	s_mov_b32 s4, exec_lo
	v_cmpx_ne_u16_e32 0, v5
	s_cbranch_execz .LBB259_2103
; %bb.2096:                             ;   in Loop: Header=BB259_2079 Depth=1
	v_bfrev_b32_e32 v22, 1
	v_mov_b32_e32 v23, 0
	s_mov_b32 s5, exec_lo
	v_cmpx_ne_u16_e32 0x80, v5
	s_cbranch_execz .LBB259_2102
; %bb.2097:                             ;   in Loop: Header=BB259_2079 Depth=1
	v_mov_b32_e32 v22, 0x7f800001
	v_bfe_u32 v8, v4, 16, 7
	v_mov_b32_e32 v23, 0
	s_mov_b32 s6, exec_lo
	v_cmpx_ne_u32_e32 0x7f, v8
	s_cbranch_execz .LBB259_2101
; %bb.2098:                             ;   in Loop: Header=BB259_2079 Depth=1
	v_and_b32_sdwa v6, v4, v78 dst_sel:DWORD dst_unused:UNUSED_PAD src0_sel:WORD_1 src1_sel:DWORD
	v_lshrrev_b32_e32 v5, 3, v8
	s_mov_b32 s7, exec_lo
	v_cmpx_gt_u32_e32 8, v8
; %bb.2099:                             ;   in Loop: Header=BB259_2079 Depth=1
	v_ffbh_u32_e32 v5, v6
	v_min_u32_e32 v5, 32, v5
	v_subrev_nc_u32_e32 v8, 28, v5
	v_sub_nc_u32_e32 v5, 29, v5
	v_lshlrev_b64 v[22:23], v8, v[6:7]
	v_and_b32_e32 v6, 7, v22
; %bb.2100:                             ;   in Loop: Header=BB259_2079 Depth=1
	s_or_b32 exec_lo, exec_lo, s7
	v_lshlrev_b32_sdwa v8, v79, v4 dst_sel:DWORD dst_unused:UNUSED_PAD src0_sel:DWORD src1_sel:WORD_1
	v_lshlrev_b32_e32 v6, 20, v6
	v_lshl_add_u32 v5, v5, 23, 0x3c000000
	v_and_b32_e32 v8, 0x80000000, v8
	v_or3_b32 v6, v6, v8, v5
	v_mov_b32_e32 v23, v7
	v_mov_b32_e32 v22, v6
.LBB259_2101:                           ;   in Loop: Header=BB259_2079 Depth=1
	s_or_b32 exec_lo, exec_lo, s6
.LBB259_2102:                           ;   in Loop: Header=BB259_2079 Depth=1
	s_or_b32 exec_lo, exec_lo, s5
.LBB259_2103:                           ;   in Loop: Header=BB259_2079 Depth=1
	s_or_b32 exec_lo, exec_lo, s4
	s_mov_b32 s4, exec_lo
	v_cmpx_lt_u32_e32 0xffffff, v4
	s_cbranch_execz .LBB259_2111
; %bb.2104:                             ;   in Loop: Header=BB259_2079 Depth=1
	v_mov_b32_e32 v8, v7
	v_mov_b32_e32 v25, v9
	v_cmp_ne_u32_sdwa s6, v4, v75 src0_sel:BYTE_3 src1_sel:DWORD
	v_mov_b32_e32 v24, v8
	s_and_saveexec_b32 s5, s6
	s_cbranch_execz .LBB259_2110
; %bb.2105:                             ;   in Loop: Header=BB259_2079 Depth=1
	v_mov_b32_e32 v10, v7
	v_mov_b32_e32 v25, v11
	v_bfe_u32 v8, v4, 24, 7
	s_mov_b32 s6, exec_lo
	v_mov_b32_e32 v24, v10
	v_cmpx_ne_u32_e32 0x7f, v8
	s_cbranch_execz .LBB259_2109
; %bb.2106:                             ;   in Loop: Header=BB259_2079 Depth=1
	v_and_b32_sdwa v6, v4, v78 dst_sel:DWORD dst_unused:UNUSED_PAD src0_sel:BYTE_3 src1_sel:DWORD
	v_lshrrev_b32_e32 v5, 3, v8
	s_mov_b32 s7, exec_lo
	v_cmpx_gt_u32_e32 8, v8
; %bb.2107:                             ;   in Loop: Header=BB259_2079 Depth=1
	v_ffbh_u32_e32 v5, v6
	v_min_u32_e32 v5, 32, v5
	v_subrev_nc_u32_e32 v8, 28, v5
	v_sub_nc_u32_e32 v5, 29, v5
	v_lshlrev_b64 v[24:25], v8, v[6:7]
	v_and_b32_e32 v6, 7, v24
; %bb.2108:                             ;   in Loop: Header=BB259_2079 Depth=1
	s_or_b32 exec_lo, exec_lo, s7
	v_lshlrev_b32_sdwa v4, v79, v4 dst_sel:DWORD dst_unused:UNUSED_PAD src0_sel:DWORD src1_sel:BYTE_3
	v_lshlrev_b32_e32 v6, 20, v6
	v_lshl_add_u32 v5, v5, 23, 0x3c000000
	v_mov_b32_e32 v24, v7
	v_and_b32_e32 v4, 0x80000000, v4
	v_or3_b32 v25, v6, v4, v5
.LBB259_2109:                           ;   in Loop: Header=BB259_2079 Depth=1
	s_or_b32 exec_lo, exec_lo, s6
.LBB259_2110:                           ;   in Loop: Header=BB259_2079 Depth=1
	s_or_b32 exec_lo, exec_lo, s5
.LBB259_2111:                           ;   in Loop: Header=BB259_2079 Depth=1
	s_or_b32 exec_lo, exec_lo, s4
	s_clause 0x2
	buffer_load_dword v26, off, s[0:3], s32 offset:192
	buffer_load_dword v27, off, s[0:3], s32 offset:196
	;; [unrolled: 1-line block ×3, first 2 shown]
	v_add_nc_u32_e32 v4, 1, v91
	v_add_nc_u32_e32 v5, 2, v91
	v_or_b32_e32 v8, v24, v22
	v_or_b32_e32 v10, v25, v23
	s_waitcnt vmcnt(0)
	v_cmp_eq_u32_e64 s6, v6, v26
	buffer_load_dword v26, off, s[0:3], s32 offset:1808 ; 4-byte Folded Reload
	v_or_b32_e32 v6, v20, v18
	s_waitcnt vmcnt(0)
	v_cmp_lt_i32_e64 s4, v4, v26
	v_cmp_lt_i32_e64 s5, v5, v26
	v_add_nc_u32_e32 v4, 3, v91
	v_or_b32_e32 v5, v21, v19
	v_cmp_lt_i32_e32 vcc_lo, v91, v26
	v_cmp_lt_i32_e64 s7, v4, v26
	v_mul_f32_e32 v4, v93, v5
	buffer_store_dword v4, off, s[0:3], s32 offset:216 ; 4-byte Folded Spill
	v_mul_f32_e32 v4, v73, v6
	buffer_store_dword v4, off, s[0:3], s32 offset:224 ; 4-byte Folded Spill
	;; [unrolled: 2-line block ×4, first 2 shown]
	s_and_saveexec_b32 s8, s6
	s_cbranch_execz .LBB259_2113
; %bb.2112:                             ;   in Loop: Header=BB259_2079 Depth=1
	buffer_load_dword v4, off, s[0:3], s32 offset:224 ; 4-byte Folded Reload
	s_waitcnt vmcnt(0)
	v_cndmask_b32_e32 v4, 0, v4, vcc_lo
	buffer_store_dword v4, off, s[0:3], s32 offset:224 ; 4-byte Folded Spill
	buffer_load_dword v4, off, s[0:3], s32 offset:216 ; 4-byte Folded Reload
	s_waitcnt vmcnt(0)
	v_cndmask_b32_e64 v4, 0, v4, s4
	buffer_store_dword v4, off, s[0:3], s32 offset:216 ; 4-byte Folded Spill
	buffer_load_dword v4, off, s[0:3], s32 offset:208 ; 4-byte Folded Reload
	s_waitcnt vmcnt(0)
	v_cndmask_b32_e64 v4, 0, v4, s5
	;; [unrolled: 4-line block ×3, first 2 shown]
	buffer_store_dword v4, off, s[0:3], s32 offset:200 ; 4-byte Folded Spill
.LBB259_2113:                           ;   in Loop: Header=BB259_2079 Depth=1
	s_or_b32 exec_lo, exec_lo, s8
	flat_load_dword v4, v[16:17] offset:128
	v_mov_b32_e32 v20, 0
	v_mov_b32_e32 v18, 0
	;; [unrolled: 1-line block ×4, first 2 shown]
	s_waitcnt vmcnt(0) lgkmcnt(0)
	v_cmp_ne_u16_sdwa s8, v4, v7 src0_sel:BYTE_0 src1_sel:DWORD
	s_and_saveexec_b32 s15, s8
	s_cbranch_execz .LBB259_2121
; %bb.2114:                             ;   in Loop: Header=BB259_2079 Depth=1
	v_bfrev_b32_e32 v18, 1
	v_mov_b32_e32 v19, 0
	v_cmp_ne_u16_sdwa s8, v4, v75 src0_sel:BYTE_0 src1_sel:DWORD
	s_and_saveexec_b32 s17, s8
	s_cbranch_execz .LBB259_2120
; %bb.2115:                             ;   in Loop: Header=BB259_2079 Depth=1
	v_mov_b32_e32 v18, 0x7f800001
	v_and_b32_e32 v8, 0x7f, v4
	v_mov_b32_e32 v19, 0
	s_mov_b32 s21, exec_lo
	v_cmpx_ne_u32_e32 0x7f, v8
	s_cbranch_execz .LBB259_2119
; %bb.2116:                             ;   in Loop: Header=BB259_2079 Depth=1
	v_and_b32_e32 v6, 7, v4
	v_lshrrev_b32_e32 v5, 3, v8
	s_mov_b32 s22, exec_lo
	v_cmpx_gt_u32_e32 8, v8
; %bb.2117:                             ;   in Loop: Header=BB259_2079 Depth=1
	v_ffbh_u32_e32 v5, v6
	v_min_u32_e32 v5, 32, v5
	v_subrev_nc_u32_e32 v8, 28, v5
	v_sub_nc_u32_e32 v5, 29, v5
	v_lshlrev_b64 v[18:19], v8, v[6:7]
	v_and_b32_e32 v6, 7, v18
; %bb.2118:                             ;   in Loop: Header=BB259_2079 Depth=1
	s_or_b32 exec_lo, exec_lo, s22
	v_lshlrev_b32_e32 v8, 24, v4
	v_lshlrev_b32_e32 v6, 20, v6
	v_lshl_add_u32 v5, v5, 23, 0x3c000000
	v_and_b32_e32 v8, 0x80000000, v8
	v_or3_b32 v6, v6, v8, v5
	v_mov_b32_e32 v19, v7
	v_mov_b32_e32 v18, v6
.LBB259_2119:                           ;   in Loop: Header=BB259_2079 Depth=1
	s_or_b32 exec_lo, exec_lo, s21
.LBB259_2120:                           ;   in Loop: Header=BB259_2079 Depth=1
	s_or_b32 exec_lo, exec_lo, s17
.LBB259_2121:                           ;   in Loop: Header=BB259_2079 Depth=1
	s_or_b32 exec_lo, exec_lo, s15
	v_cmp_ne_u16_sdwa s8, v4, v7 src0_sel:BYTE_1 src1_sel:DWORD
	s_and_saveexec_b32 s15, s8
	s_cbranch_execz .LBB259_2129
; %bb.2122:                             ;   in Loop: Header=BB259_2079 Depth=1
	v_mov_b32_e32 v8, v7
	v_mov_b32_e32 v21, v9
	v_cmp_ne_u16_sdwa s8, v4, v75 src0_sel:BYTE_1 src1_sel:DWORD
	v_mov_b32_e32 v20, v8
	s_and_saveexec_b32 s17, s8
	s_cbranch_execz .LBB259_2128
; %bb.2123:                             ;   in Loop: Header=BB259_2079 Depth=1
	v_and_b32_sdwa v5, v76, v4 dst_sel:DWORD dst_unused:UNUSED_PAD src0_sel:DWORD src1_sel:BYTE_1
	v_mov_b32_e32 v10, v7
	v_mov_b32_e32 v21, v11
	s_mov_b32 s21, exec_lo
	v_and_b32_e32 v8, 0x7f, v5
	v_mov_b32_e32 v20, v10
	v_cmpx_ne_u32_e32 0x7f, v8
	s_cbranch_execz .LBB259_2127
; %bb.2124:                             ;   in Loop: Header=BB259_2079 Depth=1
	v_and_b32_e32 v6, 7, v5
	v_lshrrev_b32_e32 v5, 3, v8
	s_mov_b32 s22, exec_lo
	v_cmpx_gt_u32_e32 8, v8
; %bb.2125:                             ;   in Loop: Header=BB259_2079 Depth=1
	v_ffbh_u32_e32 v5, v6
	v_min_u32_e32 v5, 32, v5
	v_subrev_nc_u32_e32 v8, 28, v5
	v_sub_nc_u32_e32 v5, 29, v5
	v_lshlrev_b64 v[20:21], v8, v[6:7]
	v_and_b32_e32 v6, 7, v20
; %bb.2126:                             ;   in Loop: Header=BB259_2079 Depth=1
	s_or_b32 exec_lo, exec_lo, s22
	v_lshlrev_b32_e32 v8, 16, v4
	v_lshlrev_b32_e32 v6, 20, v6
	v_lshl_add_u32 v5, v5, 23, 0x3c000000
	v_mov_b32_e32 v20, v7
	v_and_b32_e32 v8, 0x80000000, v8
	v_or3_b32 v21, v6, v8, v5
.LBB259_2127:                           ;   in Loop: Header=BB259_2079 Depth=1
	s_or_b32 exec_lo, exec_lo, s21
.LBB259_2128:                           ;   in Loop: Header=BB259_2079 Depth=1
	s_or_b32 exec_lo, exec_lo, s17
.LBB259_2129:                           ;   in Loop: Header=BB259_2079 Depth=1
	s_or_b32 exec_lo, exec_lo, s15
	v_mov_b32_e32 v24, 0
	v_mov_b32_e32 v22, 0
	v_and_b32_sdwa v5, v4, v77 dst_sel:DWORD dst_unused:UNUSED_PAD src0_sel:WORD_1 src1_sel:DWORD
	v_mov_b32_e32 v25, 0
	v_mov_b32_e32 v23, 0
	s_mov_b32 s15, exec_lo
	v_cmpx_ne_u16_e32 0, v5
	s_cbranch_execz .LBB259_2137
; %bb.2130:                             ;   in Loop: Header=BB259_2079 Depth=1
	v_bfrev_b32_e32 v22, 1
	v_mov_b32_e32 v23, 0
	s_mov_b32 s17, exec_lo
	v_cmpx_ne_u16_e32 0x80, v5
	s_cbranch_execz .LBB259_2136
; %bb.2131:                             ;   in Loop: Header=BB259_2079 Depth=1
	v_mov_b32_e32 v22, 0x7f800001
	v_bfe_u32 v8, v4, 16, 7
	v_mov_b32_e32 v23, 0
	s_mov_b32 s21, exec_lo
	v_cmpx_ne_u32_e32 0x7f, v8
	s_cbranch_execz .LBB259_2135
; %bb.2132:                             ;   in Loop: Header=BB259_2079 Depth=1
	v_and_b32_sdwa v6, v4, v78 dst_sel:DWORD dst_unused:UNUSED_PAD src0_sel:WORD_1 src1_sel:DWORD
	v_lshrrev_b32_e32 v5, 3, v8
	s_mov_b32 s22, exec_lo
	v_cmpx_gt_u32_e32 8, v8
; %bb.2133:                             ;   in Loop: Header=BB259_2079 Depth=1
	v_ffbh_u32_e32 v5, v6
	v_min_u32_e32 v5, 32, v5
	v_subrev_nc_u32_e32 v8, 28, v5
	v_sub_nc_u32_e32 v5, 29, v5
	v_lshlrev_b64 v[22:23], v8, v[6:7]
	v_and_b32_e32 v6, 7, v22
; %bb.2134:                             ;   in Loop: Header=BB259_2079 Depth=1
	s_or_b32 exec_lo, exec_lo, s22
	v_lshlrev_b32_sdwa v8, v79, v4 dst_sel:DWORD dst_unused:UNUSED_PAD src0_sel:DWORD src1_sel:WORD_1
	v_lshlrev_b32_e32 v6, 20, v6
	v_lshl_add_u32 v5, v5, 23, 0x3c000000
	v_and_b32_e32 v8, 0x80000000, v8
	v_or3_b32 v6, v6, v8, v5
	v_mov_b32_e32 v23, v7
	v_mov_b32_e32 v22, v6
.LBB259_2135:                           ;   in Loop: Header=BB259_2079 Depth=1
	s_or_b32 exec_lo, exec_lo, s21
.LBB259_2136:                           ;   in Loop: Header=BB259_2079 Depth=1
	s_or_b32 exec_lo, exec_lo, s17
.LBB259_2137:                           ;   in Loop: Header=BB259_2079 Depth=1
	s_or_b32 exec_lo, exec_lo, s15
	s_mov_b32 s15, exec_lo
	v_cmpx_lt_u32_e32 0xffffff, v4
	s_cbranch_execz .LBB259_2145
; %bb.2138:                             ;   in Loop: Header=BB259_2079 Depth=1
	v_mov_b32_e32 v8, v7
	v_mov_b32_e32 v25, v9
	v_cmp_ne_u32_sdwa s8, v4, v75 src0_sel:BYTE_3 src1_sel:DWORD
	v_mov_b32_e32 v24, v8
	s_and_saveexec_b32 s17, s8
	s_cbranch_execz .LBB259_2144
; %bb.2139:                             ;   in Loop: Header=BB259_2079 Depth=1
	v_mov_b32_e32 v10, v7
	v_mov_b32_e32 v25, v11
	v_bfe_u32 v8, v4, 24, 7
	s_mov_b32 s21, exec_lo
	v_mov_b32_e32 v24, v10
	v_cmpx_ne_u32_e32 0x7f, v8
	s_cbranch_execz .LBB259_2143
; %bb.2140:                             ;   in Loop: Header=BB259_2079 Depth=1
	v_and_b32_sdwa v6, v4, v78 dst_sel:DWORD dst_unused:UNUSED_PAD src0_sel:BYTE_3 src1_sel:DWORD
	v_lshrrev_b32_e32 v5, 3, v8
	s_mov_b32 s22, exec_lo
	v_cmpx_gt_u32_e32 8, v8
; %bb.2141:                             ;   in Loop: Header=BB259_2079 Depth=1
	v_ffbh_u32_e32 v5, v6
	v_min_u32_e32 v5, 32, v5
	v_subrev_nc_u32_e32 v8, 28, v5
	v_sub_nc_u32_e32 v5, 29, v5
	v_lshlrev_b64 v[24:25], v8, v[6:7]
	v_and_b32_e32 v6, 7, v24
; %bb.2142:                             ;   in Loop: Header=BB259_2079 Depth=1
	s_or_b32 exec_lo, exec_lo, s22
	v_lshlrev_b32_sdwa v4, v79, v4 dst_sel:DWORD dst_unused:UNUSED_PAD src0_sel:DWORD src1_sel:BYTE_3
	v_lshlrev_b32_e32 v6, 20, v6
	v_lshl_add_u32 v5, v5, 23, 0x3c000000
	v_mov_b32_e32 v24, v7
	v_and_b32_e32 v4, 0x80000000, v4
	v_or3_b32 v25, v6, v4, v5
.LBB259_2143:                           ;   in Loop: Header=BB259_2079 Depth=1
	s_or_b32 exec_lo, exec_lo, s21
.LBB259_2144:                           ;   in Loop: Header=BB259_2079 Depth=1
	s_or_b32 exec_lo, exec_lo, s17
.LBB259_2145:                           ;   in Loop: Header=BB259_2079 Depth=1
	s_or_b32 exec_lo, exec_lo, s15
	v_or_b32_e32 v4, v21, v19
	v_or_b32_e32 v5, v20, v18
	;; [unrolled: 1-line block ×4, first 2 shown]
	v_mul_f32_e32 v4, v93, v4
	buffer_store_dword v4, off, s[0:3], s32 offset:248 ; 4-byte Folded Spill
	v_mul_f32_e32 v4, v73, v5
	buffer_store_dword v4, off, s[0:3], s32 offset:256 ; 4-byte Folded Spill
	v_mul_f32_e32 v4, v73, v6
	buffer_store_dword v4, off, s[0:3], s32 offset:240 ; 4-byte Folded Spill
	v_mul_f32_e32 v4, v93, v8
	buffer_store_dword v4, off, s[0:3], s32 offset:232 ; 4-byte Folded Spill
	s_and_saveexec_b32 s8, s6
	s_cbranch_execz .LBB259_2147
; %bb.2146:                             ;   in Loop: Header=BB259_2079 Depth=1
	buffer_load_dword v4, off, s[0:3], s32 offset:256 ; 4-byte Folded Reload
	s_waitcnt vmcnt(0)
	v_cndmask_b32_e32 v4, 0, v4, vcc_lo
	buffer_store_dword v4, off, s[0:3], s32 offset:256 ; 4-byte Folded Spill
	buffer_load_dword v4, off, s[0:3], s32 offset:248 ; 4-byte Folded Reload
	s_waitcnt vmcnt(0)
	v_cndmask_b32_e64 v4, 0, v4, s4
	buffer_store_dword v4, off, s[0:3], s32 offset:248 ; 4-byte Folded Spill
	buffer_load_dword v4, off, s[0:3], s32 offset:240 ; 4-byte Folded Reload
	s_waitcnt vmcnt(0)
	v_cndmask_b32_e64 v4, 0, v4, s5
	;; [unrolled: 4-line block ×3, first 2 shown]
	buffer_store_dword v4, off, s[0:3], s32 offset:232 ; 4-byte Folded Spill
.LBB259_2147:                           ;   in Loop: Header=BB259_2079 Depth=1
	s_or_b32 exec_lo, exec_lo, s8
	flat_load_dword v4, v[16:17] offset:256
	v_mov_b32_e32 v20, 0
	v_mov_b32_e32 v18, 0
	;; [unrolled: 1-line block ×4, first 2 shown]
	s_waitcnt vmcnt(0) lgkmcnt(0)
	v_cmp_ne_u16_sdwa s8, v4, v7 src0_sel:BYTE_0 src1_sel:DWORD
	s_and_saveexec_b32 s15, s8
	s_cbranch_execz .LBB259_2155
; %bb.2148:                             ;   in Loop: Header=BB259_2079 Depth=1
	v_bfrev_b32_e32 v18, 1
	v_mov_b32_e32 v19, 0
	v_cmp_ne_u16_sdwa s8, v4, v75 src0_sel:BYTE_0 src1_sel:DWORD
	s_and_saveexec_b32 s17, s8
	s_cbranch_execz .LBB259_2154
; %bb.2149:                             ;   in Loop: Header=BB259_2079 Depth=1
	v_mov_b32_e32 v18, 0x7f800001
	v_and_b32_e32 v8, 0x7f, v4
	v_mov_b32_e32 v19, 0
	s_mov_b32 s21, exec_lo
	v_cmpx_ne_u32_e32 0x7f, v8
	s_cbranch_execz .LBB259_2153
; %bb.2150:                             ;   in Loop: Header=BB259_2079 Depth=1
	v_and_b32_e32 v6, 7, v4
	v_lshrrev_b32_e32 v5, 3, v8
	s_mov_b32 s22, exec_lo
	v_cmpx_gt_u32_e32 8, v8
; %bb.2151:                             ;   in Loop: Header=BB259_2079 Depth=1
	v_ffbh_u32_e32 v5, v6
	v_min_u32_e32 v5, 32, v5
	v_subrev_nc_u32_e32 v8, 28, v5
	v_sub_nc_u32_e32 v5, 29, v5
	v_lshlrev_b64 v[18:19], v8, v[6:7]
	v_and_b32_e32 v6, 7, v18
; %bb.2152:                             ;   in Loop: Header=BB259_2079 Depth=1
	s_or_b32 exec_lo, exec_lo, s22
	v_lshlrev_b32_e32 v8, 24, v4
	v_lshlrev_b32_e32 v6, 20, v6
	v_lshl_add_u32 v5, v5, 23, 0x3c000000
	v_and_b32_e32 v8, 0x80000000, v8
	v_or3_b32 v6, v6, v8, v5
	v_mov_b32_e32 v19, v7
	v_mov_b32_e32 v18, v6
.LBB259_2153:                           ;   in Loop: Header=BB259_2079 Depth=1
	s_or_b32 exec_lo, exec_lo, s21
.LBB259_2154:                           ;   in Loop: Header=BB259_2079 Depth=1
	s_or_b32 exec_lo, exec_lo, s17
.LBB259_2155:                           ;   in Loop: Header=BB259_2079 Depth=1
	s_or_b32 exec_lo, exec_lo, s15
	v_cmp_ne_u16_sdwa s8, v4, v7 src0_sel:BYTE_1 src1_sel:DWORD
	s_and_saveexec_b32 s15, s8
	s_cbranch_execz .LBB259_2163
; %bb.2156:                             ;   in Loop: Header=BB259_2079 Depth=1
	v_mov_b32_e32 v8, v7
	v_mov_b32_e32 v21, v9
	v_cmp_ne_u16_sdwa s8, v4, v75 src0_sel:BYTE_1 src1_sel:DWORD
	v_mov_b32_e32 v20, v8
	s_and_saveexec_b32 s17, s8
	s_cbranch_execz .LBB259_2162
; %bb.2157:                             ;   in Loop: Header=BB259_2079 Depth=1
	v_and_b32_sdwa v5, v76, v4 dst_sel:DWORD dst_unused:UNUSED_PAD src0_sel:DWORD src1_sel:BYTE_1
	v_mov_b32_e32 v10, v7
	v_mov_b32_e32 v21, v11
	s_mov_b32 s21, exec_lo
	v_and_b32_e32 v8, 0x7f, v5
	v_mov_b32_e32 v20, v10
	v_cmpx_ne_u32_e32 0x7f, v8
	s_cbranch_execz .LBB259_2161
; %bb.2158:                             ;   in Loop: Header=BB259_2079 Depth=1
	v_and_b32_e32 v6, 7, v5
	v_lshrrev_b32_e32 v5, 3, v8
	s_mov_b32 s22, exec_lo
	v_cmpx_gt_u32_e32 8, v8
; %bb.2159:                             ;   in Loop: Header=BB259_2079 Depth=1
	v_ffbh_u32_e32 v5, v6
	v_min_u32_e32 v5, 32, v5
	v_subrev_nc_u32_e32 v8, 28, v5
	v_sub_nc_u32_e32 v5, 29, v5
	v_lshlrev_b64 v[20:21], v8, v[6:7]
	v_and_b32_e32 v6, 7, v20
; %bb.2160:                             ;   in Loop: Header=BB259_2079 Depth=1
	s_or_b32 exec_lo, exec_lo, s22
	v_lshlrev_b32_e32 v8, 16, v4
	v_lshlrev_b32_e32 v6, 20, v6
	v_lshl_add_u32 v5, v5, 23, 0x3c000000
	v_mov_b32_e32 v20, v7
	v_and_b32_e32 v8, 0x80000000, v8
	v_or3_b32 v21, v6, v8, v5
.LBB259_2161:                           ;   in Loop: Header=BB259_2079 Depth=1
	s_or_b32 exec_lo, exec_lo, s21
.LBB259_2162:                           ;   in Loop: Header=BB259_2079 Depth=1
	s_or_b32 exec_lo, exec_lo, s17
.LBB259_2163:                           ;   in Loop: Header=BB259_2079 Depth=1
	s_or_b32 exec_lo, exec_lo, s15
	v_mov_b32_e32 v24, 0
	v_mov_b32_e32 v22, 0
	v_and_b32_sdwa v5, v4, v77 dst_sel:DWORD dst_unused:UNUSED_PAD src0_sel:WORD_1 src1_sel:DWORD
	v_mov_b32_e32 v25, 0
	v_mov_b32_e32 v23, 0
	s_mov_b32 s15, exec_lo
	v_cmpx_ne_u16_e32 0, v5
	s_cbranch_execz .LBB259_2171
; %bb.2164:                             ;   in Loop: Header=BB259_2079 Depth=1
	v_bfrev_b32_e32 v22, 1
	v_mov_b32_e32 v23, 0
	s_mov_b32 s17, exec_lo
	v_cmpx_ne_u16_e32 0x80, v5
	s_cbranch_execz .LBB259_2170
; %bb.2165:                             ;   in Loop: Header=BB259_2079 Depth=1
	v_mov_b32_e32 v22, 0x7f800001
	v_bfe_u32 v8, v4, 16, 7
	v_mov_b32_e32 v23, 0
	s_mov_b32 s21, exec_lo
	v_cmpx_ne_u32_e32 0x7f, v8
	s_cbranch_execz .LBB259_2169
; %bb.2166:                             ;   in Loop: Header=BB259_2079 Depth=1
	v_and_b32_sdwa v6, v4, v78 dst_sel:DWORD dst_unused:UNUSED_PAD src0_sel:WORD_1 src1_sel:DWORD
	v_lshrrev_b32_e32 v5, 3, v8
	s_mov_b32 s22, exec_lo
	v_cmpx_gt_u32_e32 8, v8
; %bb.2167:                             ;   in Loop: Header=BB259_2079 Depth=1
	v_ffbh_u32_e32 v5, v6
	v_min_u32_e32 v5, 32, v5
	v_subrev_nc_u32_e32 v8, 28, v5
	v_sub_nc_u32_e32 v5, 29, v5
	v_lshlrev_b64 v[22:23], v8, v[6:7]
	v_and_b32_e32 v6, 7, v22
; %bb.2168:                             ;   in Loop: Header=BB259_2079 Depth=1
	s_or_b32 exec_lo, exec_lo, s22
	v_lshlrev_b32_sdwa v8, v79, v4 dst_sel:DWORD dst_unused:UNUSED_PAD src0_sel:DWORD src1_sel:WORD_1
	v_lshlrev_b32_e32 v6, 20, v6
	v_lshl_add_u32 v5, v5, 23, 0x3c000000
	v_and_b32_e32 v8, 0x80000000, v8
	v_or3_b32 v6, v6, v8, v5
	v_mov_b32_e32 v23, v7
	v_mov_b32_e32 v22, v6
.LBB259_2169:                           ;   in Loop: Header=BB259_2079 Depth=1
	s_or_b32 exec_lo, exec_lo, s21
.LBB259_2170:                           ;   in Loop: Header=BB259_2079 Depth=1
	s_or_b32 exec_lo, exec_lo, s17
.LBB259_2171:                           ;   in Loop: Header=BB259_2079 Depth=1
	s_or_b32 exec_lo, exec_lo, s15
	s_mov_b32 s15, exec_lo
	v_cmpx_lt_u32_e32 0xffffff, v4
	s_cbranch_execz .LBB259_2179
; %bb.2172:                             ;   in Loop: Header=BB259_2079 Depth=1
	v_mov_b32_e32 v8, v7
	v_mov_b32_e32 v25, v9
	v_cmp_ne_u32_sdwa s8, v4, v75 src0_sel:BYTE_3 src1_sel:DWORD
	v_mov_b32_e32 v24, v8
	s_and_saveexec_b32 s17, s8
	s_cbranch_execz .LBB259_2178
; %bb.2173:                             ;   in Loop: Header=BB259_2079 Depth=1
	v_mov_b32_e32 v10, v7
	v_mov_b32_e32 v25, v11
	v_bfe_u32 v8, v4, 24, 7
	s_mov_b32 s21, exec_lo
	v_mov_b32_e32 v24, v10
	v_cmpx_ne_u32_e32 0x7f, v8
	s_cbranch_execz .LBB259_2177
; %bb.2174:                             ;   in Loop: Header=BB259_2079 Depth=1
	v_and_b32_sdwa v6, v4, v78 dst_sel:DWORD dst_unused:UNUSED_PAD src0_sel:BYTE_3 src1_sel:DWORD
	v_lshrrev_b32_e32 v5, 3, v8
	s_mov_b32 s22, exec_lo
	v_cmpx_gt_u32_e32 8, v8
; %bb.2175:                             ;   in Loop: Header=BB259_2079 Depth=1
	v_ffbh_u32_e32 v5, v6
	v_min_u32_e32 v5, 32, v5
	v_subrev_nc_u32_e32 v8, 28, v5
	v_sub_nc_u32_e32 v5, 29, v5
	v_lshlrev_b64 v[24:25], v8, v[6:7]
	v_and_b32_e32 v6, 7, v24
; %bb.2176:                             ;   in Loop: Header=BB259_2079 Depth=1
	s_or_b32 exec_lo, exec_lo, s22
	v_lshlrev_b32_sdwa v4, v79, v4 dst_sel:DWORD dst_unused:UNUSED_PAD src0_sel:DWORD src1_sel:BYTE_3
	v_lshlrev_b32_e32 v6, 20, v6
	v_lshl_add_u32 v5, v5, 23, 0x3c000000
	v_mov_b32_e32 v24, v7
	v_and_b32_e32 v4, 0x80000000, v4
	v_or3_b32 v25, v6, v4, v5
.LBB259_2177:                           ;   in Loop: Header=BB259_2079 Depth=1
	s_or_b32 exec_lo, exec_lo, s21
.LBB259_2178:                           ;   in Loop: Header=BB259_2079 Depth=1
	s_or_b32 exec_lo, exec_lo, s17
.LBB259_2179:                           ;   in Loop: Header=BB259_2079 Depth=1
	s_or_b32 exec_lo, exec_lo, s15
	v_or_b32_e32 v4, v21, v19
	v_or_b32_e32 v5, v20, v18
	;; [unrolled: 1-line block ×4, first 2 shown]
	v_mul_f32_e32 v4, v93, v4
	buffer_store_dword v4, off, s[0:3], s32 offset:280 ; 4-byte Folded Spill
	v_mul_f32_e32 v4, v73, v5
	buffer_store_dword v4, off, s[0:3], s32 offset:288 ; 4-byte Folded Spill
	;; [unrolled: 2-line block ×4, first 2 shown]
	s_and_saveexec_b32 s8, s6
	s_cbranch_execz .LBB259_2181
; %bb.2180:                             ;   in Loop: Header=BB259_2079 Depth=1
	buffer_load_dword v4, off, s[0:3], s32 offset:288 ; 4-byte Folded Reload
	s_waitcnt vmcnt(0)
	v_cndmask_b32_e32 v4, 0, v4, vcc_lo
	buffer_store_dword v4, off, s[0:3], s32 offset:288 ; 4-byte Folded Spill
	buffer_load_dword v4, off, s[0:3], s32 offset:280 ; 4-byte Folded Reload
	s_waitcnt vmcnt(0)
	v_cndmask_b32_e64 v4, 0, v4, s4
	buffer_store_dword v4, off, s[0:3], s32 offset:280 ; 4-byte Folded Spill
	buffer_load_dword v4, off, s[0:3], s32 offset:272 ; 4-byte Folded Reload
	s_waitcnt vmcnt(0)
	v_cndmask_b32_e64 v4, 0, v4, s5
	;; [unrolled: 4-line block ×3, first 2 shown]
	buffer_store_dword v4, off, s[0:3], s32 offset:264 ; 4-byte Folded Spill
.LBB259_2181:                           ;   in Loop: Header=BB259_2079 Depth=1
	s_or_b32 exec_lo, exec_lo, s8
	flat_load_dword v4, v[16:17] offset:384
	v_mov_b32_e32 v20, 0
	v_mov_b32_e32 v18, 0
	;; [unrolled: 1-line block ×4, first 2 shown]
	s_waitcnt vmcnt(0) lgkmcnt(0)
	v_cmp_ne_u16_sdwa s8, v4, v7 src0_sel:BYTE_0 src1_sel:DWORD
	s_and_saveexec_b32 s15, s8
	s_cbranch_execz .LBB259_2189
; %bb.2182:                             ;   in Loop: Header=BB259_2079 Depth=1
	v_bfrev_b32_e32 v18, 1
	v_mov_b32_e32 v19, 0
	v_cmp_ne_u16_sdwa s8, v4, v75 src0_sel:BYTE_0 src1_sel:DWORD
	s_and_saveexec_b32 s17, s8
	s_cbranch_execz .LBB259_2188
; %bb.2183:                             ;   in Loop: Header=BB259_2079 Depth=1
	v_mov_b32_e32 v18, 0x7f800001
	v_and_b32_e32 v8, 0x7f, v4
	v_mov_b32_e32 v19, 0
	s_mov_b32 s21, exec_lo
	v_cmpx_ne_u32_e32 0x7f, v8
	s_cbranch_execz .LBB259_2187
; %bb.2184:                             ;   in Loop: Header=BB259_2079 Depth=1
	v_and_b32_e32 v6, 7, v4
	v_lshrrev_b32_e32 v5, 3, v8
	s_mov_b32 s22, exec_lo
	v_cmpx_gt_u32_e32 8, v8
; %bb.2185:                             ;   in Loop: Header=BB259_2079 Depth=1
	v_ffbh_u32_e32 v5, v6
	v_min_u32_e32 v5, 32, v5
	v_subrev_nc_u32_e32 v8, 28, v5
	v_sub_nc_u32_e32 v5, 29, v5
	v_lshlrev_b64 v[18:19], v8, v[6:7]
	v_and_b32_e32 v6, 7, v18
; %bb.2186:                             ;   in Loop: Header=BB259_2079 Depth=1
	s_or_b32 exec_lo, exec_lo, s22
	v_lshlrev_b32_e32 v8, 24, v4
	v_lshlrev_b32_e32 v6, 20, v6
	v_lshl_add_u32 v5, v5, 23, 0x3c000000
	v_and_b32_e32 v8, 0x80000000, v8
	v_or3_b32 v6, v6, v8, v5
	v_mov_b32_e32 v19, v7
	v_mov_b32_e32 v18, v6
.LBB259_2187:                           ;   in Loop: Header=BB259_2079 Depth=1
	s_or_b32 exec_lo, exec_lo, s21
.LBB259_2188:                           ;   in Loop: Header=BB259_2079 Depth=1
	s_or_b32 exec_lo, exec_lo, s17
.LBB259_2189:                           ;   in Loop: Header=BB259_2079 Depth=1
	s_or_b32 exec_lo, exec_lo, s15
	v_cmp_ne_u16_sdwa s8, v4, v7 src0_sel:BYTE_1 src1_sel:DWORD
	s_and_saveexec_b32 s15, s8
	s_cbranch_execz .LBB259_2197
; %bb.2190:                             ;   in Loop: Header=BB259_2079 Depth=1
	v_mov_b32_e32 v8, v7
	v_mov_b32_e32 v21, v9
	v_cmp_ne_u16_sdwa s8, v4, v75 src0_sel:BYTE_1 src1_sel:DWORD
	v_mov_b32_e32 v20, v8
	s_and_saveexec_b32 s17, s8
	s_cbranch_execz .LBB259_2196
; %bb.2191:                             ;   in Loop: Header=BB259_2079 Depth=1
	v_and_b32_sdwa v5, v76, v4 dst_sel:DWORD dst_unused:UNUSED_PAD src0_sel:DWORD src1_sel:BYTE_1
	v_mov_b32_e32 v10, v7
	v_mov_b32_e32 v21, v11
	s_mov_b32 s21, exec_lo
	v_and_b32_e32 v8, 0x7f, v5
	v_mov_b32_e32 v20, v10
	v_cmpx_ne_u32_e32 0x7f, v8
	s_cbranch_execz .LBB259_2195
; %bb.2192:                             ;   in Loop: Header=BB259_2079 Depth=1
	v_and_b32_e32 v6, 7, v5
	v_lshrrev_b32_e32 v5, 3, v8
	s_mov_b32 s22, exec_lo
	v_cmpx_gt_u32_e32 8, v8
; %bb.2193:                             ;   in Loop: Header=BB259_2079 Depth=1
	v_ffbh_u32_e32 v5, v6
	v_min_u32_e32 v5, 32, v5
	v_subrev_nc_u32_e32 v8, 28, v5
	v_sub_nc_u32_e32 v5, 29, v5
	v_lshlrev_b64 v[20:21], v8, v[6:7]
	v_and_b32_e32 v6, 7, v20
; %bb.2194:                             ;   in Loop: Header=BB259_2079 Depth=1
	s_or_b32 exec_lo, exec_lo, s22
	v_lshlrev_b32_e32 v8, 16, v4
	v_lshlrev_b32_e32 v6, 20, v6
	v_lshl_add_u32 v5, v5, 23, 0x3c000000
	v_mov_b32_e32 v20, v7
	v_and_b32_e32 v8, 0x80000000, v8
	v_or3_b32 v21, v6, v8, v5
.LBB259_2195:                           ;   in Loop: Header=BB259_2079 Depth=1
	s_or_b32 exec_lo, exec_lo, s21
.LBB259_2196:                           ;   in Loop: Header=BB259_2079 Depth=1
	s_or_b32 exec_lo, exec_lo, s17
.LBB259_2197:                           ;   in Loop: Header=BB259_2079 Depth=1
	s_or_b32 exec_lo, exec_lo, s15
	v_mov_b32_e32 v24, 0
	v_mov_b32_e32 v22, 0
	v_and_b32_sdwa v5, v4, v77 dst_sel:DWORD dst_unused:UNUSED_PAD src0_sel:WORD_1 src1_sel:DWORD
	v_mov_b32_e32 v25, 0
	v_mov_b32_e32 v23, 0
	s_mov_b32 s15, exec_lo
	v_cmpx_ne_u16_e32 0, v5
	s_cbranch_execz .LBB259_2205
; %bb.2198:                             ;   in Loop: Header=BB259_2079 Depth=1
	v_bfrev_b32_e32 v22, 1
	v_mov_b32_e32 v23, 0
	s_mov_b32 s17, exec_lo
	v_cmpx_ne_u16_e32 0x80, v5
	s_cbranch_execz .LBB259_2204
; %bb.2199:                             ;   in Loop: Header=BB259_2079 Depth=1
	v_mov_b32_e32 v22, 0x7f800001
	v_bfe_u32 v8, v4, 16, 7
	v_mov_b32_e32 v23, 0
	s_mov_b32 s21, exec_lo
	v_cmpx_ne_u32_e32 0x7f, v8
	s_cbranch_execz .LBB259_2203
; %bb.2200:                             ;   in Loop: Header=BB259_2079 Depth=1
	v_and_b32_sdwa v6, v4, v78 dst_sel:DWORD dst_unused:UNUSED_PAD src0_sel:WORD_1 src1_sel:DWORD
	v_lshrrev_b32_e32 v5, 3, v8
	s_mov_b32 s22, exec_lo
	v_cmpx_gt_u32_e32 8, v8
; %bb.2201:                             ;   in Loop: Header=BB259_2079 Depth=1
	v_ffbh_u32_e32 v5, v6
	v_min_u32_e32 v5, 32, v5
	v_subrev_nc_u32_e32 v8, 28, v5
	v_sub_nc_u32_e32 v5, 29, v5
	v_lshlrev_b64 v[22:23], v8, v[6:7]
	v_and_b32_e32 v6, 7, v22
; %bb.2202:                             ;   in Loop: Header=BB259_2079 Depth=1
	s_or_b32 exec_lo, exec_lo, s22
	v_lshlrev_b32_sdwa v8, v79, v4 dst_sel:DWORD dst_unused:UNUSED_PAD src0_sel:DWORD src1_sel:WORD_1
	v_lshlrev_b32_e32 v6, 20, v6
	v_lshl_add_u32 v5, v5, 23, 0x3c000000
	v_and_b32_e32 v8, 0x80000000, v8
	v_or3_b32 v6, v6, v8, v5
	v_mov_b32_e32 v23, v7
	v_mov_b32_e32 v22, v6
.LBB259_2203:                           ;   in Loop: Header=BB259_2079 Depth=1
	s_or_b32 exec_lo, exec_lo, s21
.LBB259_2204:                           ;   in Loop: Header=BB259_2079 Depth=1
	s_or_b32 exec_lo, exec_lo, s17
.LBB259_2205:                           ;   in Loop: Header=BB259_2079 Depth=1
	s_or_b32 exec_lo, exec_lo, s15
	s_mov_b32 s15, exec_lo
	v_cmpx_lt_u32_e32 0xffffff, v4
	s_cbranch_execz .LBB259_2213
; %bb.2206:                             ;   in Loop: Header=BB259_2079 Depth=1
	v_mov_b32_e32 v8, v7
	v_mov_b32_e32 v25, v9
	v_cmp_ne_u32_sdwa s8, v4, v75 src0_sel:BYTE_3 src1_sel:DWORD
	v_mov_b32_e32 v24, v8
	s_and_saveexec_b32 s17, s8
	s_cbranch_execz .LBB259_2212
; %bb.2207:                             ;   in Loop: Header=BB259_2079 Depth=1
	v_mov_b32_e32 v10, v7
	v_mov_b32_e32 v25, v11
	v_bfe_u32 v8, v4, 24, 7
	s_mov_b32 s21, exec_lo
	v_mov_b32_e32 v24, v10
	v_cmpx_ne_u32_e32 0x7f, v8
	s_cbranch_execz .LBB259_2211
; %bb.2208:                             ;   in Loop: Header=BB259_2079 Depth=1
	v_and_b32_sdwa v6, v4, v78 dst_sel:DWORD dst_unused:UNUSED_PAD src0_sel:BYTE_3 src1_sel:DWORD
	v_lshrrev_b32_e32 v5, 3, v8
	s_mov_b32 s22, exec_lo
	v_cmpx_gt_u32_e32 8, v8
; %bb.2209:                             ;   in Loop: Header=BB259_2079 Depth=1
	v_ffbh_u32_e32 v5, v6
	v_min_u32_e32 v5, 32, v5
	v_subrev_nc_u32_e32 v8, 28, v5
	v_sub_nc_u32_e32 v5, 29, v5
	v_lshlrev_b64 v[24:25], v8, v[6:7]
	v_and_b32_e32 v6, 7, v24
; %bb.2210:                             ;   in Loop: Header=BB259_2079 Depth=1
	s_or_b32 exec_lo, exec_lo, s22
	v_lshlrev_b32_sdwa v4, v79, v4 dst_sel:DWORD dst_unused:UNUSED_PAD src0_sel:DWORD src1_sel:BYTE_3
	v_lshlrev_b32_e32 v6, 20, v6
	v_lshl_add_u32 v5, v5, 23, 0x3c000000
	v_mov_b32_e32 v24, v7
	v_and_b32_e32 v4, 0x80000000, v4
	v_or3_b32 v25, v6, v4, v5
.LBB259_2211:                           ;   in Loop: Header=BB259_2079 Depth=1
	s_or_b32 exec_lo, exec_lo, s21
.LBB259_2212:                           ;   in Loop: Header=BB259_2079 Depth=1
	s_or_b32 exec_lo, exec_lo, s17
.LBB259_2213:                           ;   in Loop: Header=BB259_2079 Depth=1
	s_or_b32 exec_lo, exec_lo, s15
	v_or_b32_e32 v4, v21, v19
	v_or_b32_e32 v5, v20, v18
	;; [unrolled: 1-line block ×4, first 2 shown]
	v_mul_f32_e32 v4, v93, v4
	buffer_store_dword v4, off, s[0:3], s32 offset:320 ; 4-byte Folded Spill
	v_mul_f32_e32 v4, v73, v5
	buffer_store_dword v4, off, s[0:3], s32 offset:312 ; 4-byte Folded Spill
	;; [unrolled: 2-line block ×4, first 2 shown]
	s_and_saveexec_b32 s8, s6
	s_cbranch_execz .LBB259_2215
; %bb.2214:                             ;   in Loop: Header=BB259_2079 Depth=1
	buffer_load_dword v4, off, s[0:3], s32 offset:312 ; 4-byte Folded Reload
	s_waitcnt vmcnt(0)
	v_cndmask_b32_e32 v4, 0, v4, vcc_lo
	buffer_store_dword v4, off, s[0:3], s32 offset:312 ; 4-byte Folded Spill
	buffer_load_dword v4, off, s[0:3], s32 offset:320 ; 4-byte Folded Reload
	s_waitcnt vmcnt(0)
	v_cndmask_b32_e64 v4, 0, v4, s4
	buffer_store_dword v4, off, s[0:3], s32 offset:320 ; 4-byte Folded Spill
	buffer_load_dword v4, off, s[0:3], s32 offset:304 ; 4-byte Folded Reload
	s_waitcnt vmcnt(0)
	v_cndmask_b32_e64 v4, 0, v4, s5
	;; [unrolled: 4-line block ×3, first 2 shown]
	buffer_store_dword v4, off, s[0:3], s32 offset:296 ; 4-byte Folded Spill
.LBB259_2215:                           ;   in Loop: Header=BB259_2079 Depth=1
	s_or_b32 exec_lo, exec_lo, s8
	flat_load_dword v4, v[16:17] offset:512
	v_mov_b32_e32 v20, 0
	v_mov_b32_e32 v18, 0
	;; [unrolled: 1-line block ×4, first 2 shown]
	s_waitcnt vmcnt(0) lgkmcnt(0)
	v_cmp_ne_u16_sdwa s8, v4, v7 src0_sel:BYTE_0 src1_sel:DWORD
	s_and_saveexec_b32 s15, s8
	s_cbranch_execz .LBB259_2223
; %bb.2216:                             ;   in Loop: Header=BB259_2079 Depth=1
	v_bfrev_b32_e32 v18, 1
	v_mov_b32_e32 v19, 0
	v_cmp_ne_u16_sdwa s8, v4, v75 src0_sel:BYTE_0 src1_sel:DWORD
	s_and_saveexec_b32 s17, s8
	s_cbranch_execz .LBB259_2222
; %bb.2217:                             ;   in Loop: Header=BB259_2079 Depth=1
	v_mov_b32_e32 v18, 0x7f800001
	v_and_b32_e32 v8, 0x7f, v4
	v_mov_b32_e32 v19, 0
	s_mov_b32 s21, exec_lo
	v_cmpx_ne_u32_e32 0x7f, v8
	s_cbranch_execz .LBB259_2221
; %bb.2218:                             ;   in Loop: Header=BB259_2079 Depth=1
	v_and_b32_e32 v6, 7, v4
	v_lshrrev_b32_e32 v5, 3, v8
	s_mov_b32 s22, exec_lo
	v_cmpx_gt_u32_e32 8, v8
; %bb.2219:                             ;   in Loop: Header=BB259_2079 Depth=1
	v_ffbh_u32_e32 v5, v6
	v_min_u32_e32 v5, 32, v5
	v_subrev_nc_u32_e32 v8, 28, v5
	v_sub_nc_u32_e32 v5, 29, v5
	v_lshlrev_b64 v[18:19], v8, v[6:7]
	v_and_b32_e32 v6, 7, v18
; %bb.2220:                             ;   in Loop: Header=BB259_2079 Depth=1
	s_or_b32 exec_lo, exec_lo, s22
	v_lshlrev_b32_e32 v8, 24, v4
	v_lshlrev_b32_e32 v6, 20, v6
	v_lshl_add_u32 v5, v5, 23, 0x3c000000
	v_and_b32_e32 v8, 0x80000000, v8
	v_or3_b32 v6, v6, v8, v5
	v_mov_b32_e32 v19, v7
	v_mov_b32_e32 v18, v6
.LBB259_2221:                           ;   in Loop: Header=BB259_2079 Depth=1
	s_or_b32 exec_lo, exec_lo, s21
.LBB259_2222:                           ;   in Loop: Header=BB259_2079 Depth=1
	s_or_b32 exec_lo, exec_lo, s17
.LBB259_2223:                           ;   in Loop: Header=BB259_2079 Depth=1
	s_or_b32 exec_lo, exec_lo, s15
	v_cmp_ne_u16_sdwa s8, v4, v7 src0_sel:BYTE_1 src1_sel:DWORD
	s_and_saveexec_b32 s15, s8
	s_cbranch_execz .LBB259_2231
; %bb.2224:                             ;   in Loop: Header=BB259_2079 Depth=1
	v_mov_b32_e32 v8, v7
	v_mov_b32_e32 v21, v9
	v_cmp_ne_u16_sdwa s8, v4, v75 src0_sel:BYTE_1 src1_sel:DWORD
	v_mov_b32_e32 v20, v8
	s_and_saveexec_b32 s17, s8
	s_cbranch_execz .LBB259_2230
; %bb.2225:                             ;   in Loop: Header=BB259_2079 Depth=1
	v_and_b32_sdwa v5, v76, v4 dst_sel:DWORD dst_unused:UNUSED_PAD src0_sel:DWORD src1_sel:BYTE_1
	v_mov_b32_e32 v10, v7
	v_mov_b32_e32 v21, v11
	s_mov_b32 s21, exec_lo
	v_and_b32_e32 v8, 0x7f, v5
	v_mov_b32_e32 v20, v10
	v_cmpx_ne_u32_e32 0x7f, v8
	s_cbranch_execz .LBB259_2229
; %bb.2226:                             ;   in Loop: Header=BB259_2079 Depth=1
	v_and_b32_e32 v6, 7, v5
	v_lshrrev_b32_e32 v5, 3, v8
	s_mov_b32 s22, exec_lo
	v_cmpx_gt_u32_e32 8, v8
; %bb.2227:                             ;   in Loop: Header=BB259_2079 Depth=1
	v_ffbh_u32_e32 v5, v6
	v_min_u32_e32 v5, 32, v5
	v_subrev_nc_u32_e32 v8, 28, v5
	v_sub_nc_u32_e32 v5, 29, v5
	v_lshlrev_b64 v[20:21], v8, v[6:7]
	v_and_b32_e32 v6, 7, v20
; %bb.2228:                             ;   in Loop: Header=BB259_2079 Depth=1
	s_or_b32 exec_lo, exec_lo, s22
	v_lshlrev_b32_e32 v8, 16, v4
	v_lshlrev_b32_e32 v6, 20, v6
	v_lshl_add_u32 v5, v5, 23, 0x3c000000
	v_mov_b32_e32 v20, v7
	v_and_b32_e32 v8, 0x80000000, v8
	v_or3_b32 v21, v6, v8, v5
.LBB259_2229:                           ;   in Loop: Header=BB259_2079 Depth=1
	s_or_b32 exec_lo, exec_lo, s21
.LBB259_2230:                           ;   in Loop: Header=BB259_2079 Depth=1
	s_or_b32 exec_lo, exec_lo, s17
.LBB259_2231:                           ;   in Loop: Header=BB259_2079 Depth=1
	s_or_b32 exec_lo, exec_lo, s15
	v_mov_b32_e32 v22, 0
	v_mov_b32_e32 v24, 0
	v_and_b32_sdwa v5, v4, v77 dst_sel:DWORD dst_unused:UNUSED_PAD src0_sel:WORD_1 src1_sel:DWORD
	v_mov_b32_e32 v23, 0
	v_mov_b32_e32 v25, 0
	s_mov_b32 s15, exec_lo
	v_cmpx_ne_u16_e32 0, v5
	s_cbranch_execz .LBB259_2239
; %bb.2232:                             ;   in Loop: Header=BB259_2079 Depth=1
	v_bfrev_b32_e32 v24, 1
	v_mov_b32_e32 v25, 0
	s_mov_b32 s17, exec_lo
	v_cmpx_ne_u16_e32 0x80, v5
	s_cbranch_execz .LBB259_2238
; %bb.2233:                             ;   in Loop: Header=BB259_2079 Depth=1
	v_mov_b32_e32 v24, 0x7f800001
	v_bfe_u32 v8, v4, 16, 7
	v_mov_b32_e32 v25, 0
	s_mov_b32 s21, exec_lo
	v_cmpx_ne_u32_e32 0x7f, v8
	s_cbranch_execz .LBB259_2237
; %bb.2234:                             ;   in Loop: Header=BB259_2079 Depth=1
	v_and_b32_sdwa v6, v4, v78 dst_sel:DWORD dst_unused:UNUSED_PAD src0_sel:WORD_1 src1_sel:DWORD
	v_lshrrev_b32_e32 v5, 3, v8
	s_mov_b32 s22, exec_lo
	v_cmpx_gt_u32_e32 8, v8
; %bb.2235:                             ;   in Loop: Header=BB259_2079 Depth=1
	v_ffbh_u32_e32 v5, v6
	v_min_u32_e32 v5, 32, v5
	v_subrev_nc_u32_e32 v8, 28, v5
	v_sub_nc_u32_e32 v5, 29, v5
	v_lshlrev_b64 v[24:25], v8, v[6:7]
	v_and_b32_e32 v6, 7, v24
; %bb.2236:                             ;   in Loop: Header=BB259_2079 Depth=1
	s_or_b32 exec_lo, exec_lo, s22
	v_lshlrev_b32_sdwa v8, v79, v4 dst_sel:DWORD dst_unused:UNUSED_PAD src0_sel:DWORD src1_sel:WORD_1
	v_lshlrev_b32_e32 v6, 20, v6
	v_lshl_add_u32 v5, v5, 23, 0x3c000000
	v_and_b32_e32 v8, 0x80000000, v8
	v_or3_b32 v6, v6, v8, v5
	v_mov_b32_e32 v25, v7
	v_mov_b32_e32 v24, v6
.LBB259_2237:                           ;   in Loop: Header=BB259_2079 Depth=1
	s_or_b32 exec_lo, exec_lo, s21
.LBB259_2238:                           ;   in Loop: Header=BB259_2079 Depth=1
	s_or_b32 exec_lo, exec_lo, s17
.LBB259_2239:                           ;   in Loop: Header=BB259_2079 Depth=1
	s_or_b32 exec_lo, exec_lo, s15
	s_mov_b32 s15, exec_lo
	v_cmpx_lt_u32_e32 0xffffff, v4
	s_cbranch_execz .LBB259_2247
; %bb.2240:                             ;   in Loop: Header=BB259_2079 Depth=1
	v_mov_b32_e32 v8, v7
	v_mov_b32_e32 v23, v9
	v_cmp_ne_u32_sdwa s8, v4, v75 src0_sel:BYTE_3 src1_sel:DWORD
	v_mov_b32_e32 v22, v8
	s_and_saveexec_b32 s17, s8
	s_cbranch_execz .LBB259_2246
; %bb.2241:                             ;   in Loop: Header=BB259_2079 Depth=1
	v_mov_b32_e32 v10, v7
	v_mov_b32_e32 v23, v11
	v_bfe_u32 v8, v4, 24, 7
	s_mov_b32 s21, exec_lo
	v_mov_b32_e32 v22, v10
	v_cmpx_ne_u32_e32 0x7f, v8
	s_cbranch_execz .LBB259_2245
; %bb.2242:                             ;   in Loop: Header=BB259_2079 Depth=1
	v_and_b32_sdwa v6, v4, v78 dst_sel:DWORD dst_unused:UNUSED_PAD src0_sel:BYTE_3 src1_sel:DWORD
	v_lshrrev_b32_e32 v5, 3, v8
	s_mov_b32 s22, exec_lo
	v_cmpx_gt_u32_e32 8, v8
; %bb.2243:                             ;   in Loop: Header=BB259_2079 Depth=1
	v_ffbh_u32_e32 v5, v6
	v_min_u32_e32 v5, 32, v5
	v_subrev_nc_u32_e32 v8, 28, v5
	v_sub_nc_u32_e32 v5, 29, v5
	v_lshlrev_b64 v[22:23], v8, v[6:7]
	v_and_b32_e32 v6, 7, v22
; %bb.2244:                             ;   in Loop: Header=BB259_2079 Depth=1
	s_or_b32 exec_lo, exec_lo, s22
	v_lshlrev_b32_sdwa v4, v79, v4 dst_sel:DWORD dst_unused:UNUSED_PAD src0_sel:DWORD src1_sel:BYTE_3
	v_lshlrev_b32_e32 v6, 20, v6
	v_lshl_add_u32 v5, v5, 23, 0x3c000000
	v_mov_b32_e32 v22, v7
	v_and_b32_e32 v4, 0x80000000, v4
	v_or3_b32 v23, v6, v4, v5
.LBB259_2245:                           ;   in Loop: Header=BB259_2079 Depth=1
	s_or_b32 exec_lo, exec_lo, s21
.LBB259_2246:                           ;   in Loop: Header=BB259_2079 Depth=1
	s_or_b32 exec_lo, exec_lo, s17
.LBB259_2247:                           ;   in Loop: Header=BB259_2079 Depth=1
	s_or_b32 exec_lo, exec_lo, s15
	v_or_b32_e32 v4, v21, v19
	v_or_b32_e32 v5, v20, v18
	;; [unrolled: 1-line block ×4, first 2 shown]
	v_mul_f32_e32 v4, v93, v4
	buffer_store_dword v4, off, s[0:3], s32 offset:352 ; 4-byte Folded Spill
	v_mul_f32_e32 v4, v73, v5
	buffer_store_dword v4, off, s[0:3], s32 offset:344 ; 4-byte Folded Spill
	;; [unrolled: 2-line block ×4, first 2 shown]
	s_and_saveexec_b32 s8, s6
	s_cbranch_execz .LBB259_2249
; %bb.2248:                             ;   in Loop: Header=BB259_2079 Depth=1
	buffer_load_dword v4, off, s[0:3], s32 offset:344 ; 4-byte Folded Reload
	s_waitcnt vmcnt(0)
	v_cndmask_b32_e32 v4, 0, v4, vcc_lo
	buffer_store_dword v4, off, s[0:3], s32 offset:344 ; 4-byte Folded Spill
	buffer_load_dword v4, off, s[0:3], s32 offset:352 ; 4-byte Folded Reload
	s_waitcnt vmcnt(0)
	v_cndmask_b32_e64 v4, 0, v4, s4
	buffer_store_dword v4, off, s[0:3], s32 offset:352 ; 4-byte Folded Spill
	buffer_load_dword v4, off, s[0:3], s32 offset:336 ; 4-byte Folded Reload
	s_waitcnt vmcnt(0)
	v_cndmask_b32_e64 v4, 0, v4, s5
	;; [unrolled: 4-line block ×3, first 2 shown]
	buffer_store_dword v4, off, s[0:3], s32 offset:328 ; 4-byte Folded Spill
.LBB259_2249:                           ;   in Loop: Header=BB259_2079 Depth=1
	s_or_b32 exec_lo, exec_lo, s8
	flat_load_dword v4, v[16:17] offset:640
	v_mov_b32_e32 v20, 0
	v_mov_b32_e32 v18, 0
	;; [unrolled: 1-line block ×4, first 2 shown]
	s_waitcnt vmcnt(0) lgkmcnt(0)
	v_cmp_ne_u16_sdwa s8, v4, v7 src0_sel:BYTE_0 src1_sel:DWORD
	s_and_saveexec_b32 s15, s8
	s_cbranch_execz .LBB259_2257
; %bb.2250:                             ;   in Loop: Header=BB259_2079 Depth=1
	v_bfrev_b32_e32 v18, 1
	v_mov_b32_e32 v19, 0
	v_cmp_ne_u16_sdwa s8, v4, v75 src0_sel:BYTE_0 src1_sel:DWORD
	s_and_saveexec_b32 s17, s8
	s_cbranch_execz .LBB259_2256
; %bb.2251:                             ;   in Loop: Header=BB259_2079 Depth=1
	v_mov_b32_e32 v18, 0x7f800001
	v_and_b32_e32 v8, 0x7f, v4
	v_mov_b32_e32 v19, 0
	s_mov_b32 s21, exec_lo
	v_cmpx_ne_u32_e32 0x7f, v8
	s_cbranch_execz .LBB259_2255
; %bb.2252:                             ;   in Loop: Header=BB259_2079 Depth=1
	v_and_b32_e32 v6, 7, v4
	v_lshrrev_b32_e32 v5, 3, v8
	s_mov_b32 s22, exec_lo
	v_cmpx_gt_u32_e32 8, v8
; %bb.2253:                             ;   in Loop: Header=BB259_2079 Depth=1
	v_ffbh_u32_e32 v5, v6
	v_min_u32_e32 v5, 32, v5
	v_subrev_nc_u32_e32 v8, 28, v5
	v_sub_nc_u32_e32 v5, 29, v5
	v_lshlrev_b64 v[18:19], v8, v[6:7]
	v_and_b32_e32 v6, 7, v18
; %bb.2254:                             ;   in Loop: Header=BB259_2079 Depth=1
	s_or_b32 exec_lo, exec_lo, s22
	v_lshlrev_b32_e32 v8, 24, v4
	v_lshlrev_b32_e32 v6, 20, v6
	v_lshl_add_u32 v5, v5, 23, 0x3c000000
	v_and_b32_e32 v8, 0x80000000, v8
	v_or3_b32 v6, v6, v8, v5
	v_mov_b32_e32 v19, v7
	v_mov_b32_e32 v18, v6
.LBB259_2255:                           ;   in Loop: Header=BB259_2079 Depth=1
	s_or_b32 exec_lo, exec_lo, s21
.LBB259_2256:                           ;   in Loop: Header=BB259_2079 Depth=1
	s_or_b32 exec_lo, exec_lo, s17
.LBB259_2257:                           ;   in Loop: Header=BB259_2079 Depth=1
	s_or_b32 exec_lo, exec_lo, s15
	v_cmp_ne_u16_sdwa s8, v4, v7 src0_sel:BYTE_1 src1_sel:DWORD
	s_and_saveexec_b32 s15, s8
	s_cbranch_execz .LBB259_2265
; %bb.2258:                             ;   in Loop: Header=BB259_2079 Depth=1
	v_mov_b32_e32 v8, v7
	v_mov_b32_e32 v21, v9
	v_cmp_ne_u16_sdwa s8, v4, v75 src0_sel:BYTE_1 src1_sel:DWORD
	v_mov_b32_e32 v20, v8
	s_and_saveexec_b32 s17, s8
	s_cbranch_execz .LBB259_2264
; %bb.2259:                             ;   in Loop: Header=BB259_2079 Depth=1
	v_and_b32_sdwa v5, v76, v4 dst_sel:DWORD dst_unused:UNUSED_PAD src0_sel:DWORD src1_sel:BYTE_1
	v_mov_b32_e32 v10, v7
	v_mov_b32_e32 v21, v11
	s_mov_b32 s21, exec_lo
	v_and_b32_e32 v8, 0x7f, v5
	v_mov_b32_e32 v20, v10
	v_cmpx_ne_u32_e32 0x7f, v8
	s_cbranch_execz .LBB259_2263
; %bb.2260:                             ;   in Loop: Header=BB259_2079 Depth=1
	v_and_b32_e32 v6, 7, v5
	v_lshrrev_b32_e32 v5, 3, v8
	s_mov_b32 s22, exec_lo
	v_cmpx_gt_u32_e32 8, v8
; %bb.2261:                             ;   in Loop: Header=BB259_2079 Depth=1
	v_ffbh_u32_e32 v5, v6
	v_min_u32_e32 v5, 32, v5
	v_subrev_nc_u32_e32 v8, 28, v5
	v_sub_nc_u32_e32 v5, 29, v5
	v_lshlrev_b64 v[20:21], v8, v[6:7]
	v_and_b32_e32 v6, 7, v20
; %bb.2262:                             ;   in Loop: Header=BB259_2079 Depth=1
	s_or_b32 exec_lo, exec_lo, s22
	v_lshlrev_b32_e32 v8, 16, v4
	v_lshlrev_b32_e32 v6, 20, v6
	v_lshl_add_u32 v5, v5, 23, 0x3c000000
	v_mov_b32_e32 v20, v7
	v_and_b32_e32 v8, 0x80000000, v8
	v_or3_b32 v21, v6, v8, v5
.LBB259_2263:                           ;   in Loop: Header=BB259_2079 Depth=1
	s_or_b32 exec_lo, exec_lo, s21
.LBB259_2264:                           ;   in Loop: Header=BB259_2079 Depth=1
	s_or_b32 exec_lo, exec_lo, s17
.LBB259_2265:                           ;   in Loop: Header=BB259_2079 Depth=1
	s_or_b32 exec_lo, exec_lo, s15
	v_mov_b32_e32 v22, 0
	v_mov_b32_e32 v24, 0
	v_and_b32_sdwa v5, v4, v77 dst_sel:DWORD dst_unused:UNUSED_PAD src0_sel:WORD_1 src1_sel:DWORD
	v_mov_b32_e32 v23, 0
	v_mov_b32_e32 v25, 0
	s_mov_b32 s15, exec_lo
	v_cmpx_ne_u16_e32 0, v5
	s_cbranch_execz .LBB259_2273
; %bb.2266:                             ;   in Loop: Header=BB259_2079 Depth=1
	v_bfrev_b32_e32 v24, 1
	v_mov_b32_e32 v25, 0
	s_mov_b32 s17, exec_lo
	v_cmpx_ne_u16_e32 0x80, v5
	s_cbranch_execz .LBB259_2272
; %bb.2267:                             ;   in Loop: Header=BB259_2079 Depth=1
	v_mov_b32_e32 v24, 0x7f800001
	v_bfe_u32 v8, v4, 16, 7
	v_mov_b32_e32 v25, 0
	s_mov_b32 s21, exec_lo
	v_cmpx_ne_u32_e32 0x7f, v8
	s_cbranch_execz .LBB259_2271
; %bb.2268:                             ;   in Loop: Header=BB259_2079 Depth=1
	v_and_b32_sdwa v6, v4, v78 dst_sel:DWORD dst_unused:UNUSED_PAD src0_sel:WORD_1 src1_sel:DWORD
	v_lshrrev_b32_e32 v5, 3, v8
	s_mov_b32 s22, exec_lo
	v_cmpx_gt_u32_e32 8, v8
; %bb.2269:                             ;   in Loop: Header=BB259_2079 Depth=1
	v_ffbh_u32_e32 v5, v6
	v_min_u32_e32 v5, 32, v5
	v_subrev_nc_u32_e32 v8, 28, v5
	v_sub_nc_u32_e32 v5, 29, v5
	v_lshlrev_b64 v[24:25], v8, v[6:7]
	v_and_b32_e32 v6, 7, v24
; %bb.2270:                             ;   in Loop: Header=BB259_2079 Depth=1
	s_or_b32 exec_lo, exec_lo, s22
	v_lshlrev_b32_sdwa v8, v79, v4 dst_sel:DWORD dst_unused:UNUSED_PAD src0_sel:DWORD src1_sel:WORD_1
	v_lshlrev_b32_e32 v6, 20, v6
	v_lshl_add_u32 v5, v5, 23, 0x3c000000
	v_and_b32_e32 v8, 0x80000000, v8
	v_or3_b32 v6, v6, v8, v5
	v_mov_b32_e32 v25, v7
	v_mov_b32_e32 v24, v6
.LBB259_2271:                           ;   in Loop: Header=BB259_2079 Depth=1
	s_or_b32 exec_lo, exec_lo, s21
.LBB259_2272:                           ;   in Loop: Header=BB259_2079 Depth=1
	s_or_b32 exec_lo, exec_lo, s17
.LBB259_2273:                           ;   in Loop: Header=BB259_2079 Depth=1
	s_or_b32 exec_lo, exec_lo, s15
	s_mov_b32 s15, exec_lo
	v_cmpx_lt_u32_e32 0xffffff, v4
	s_cbranch_execz .LBB259_2281
; %bb.2274:                             ;   in Loop: Header=BB259_2079 Depth=1
	v_mov_b32_e32 v8, v7
	v_mov_b32_e32 v23, v9
	v_cmp_ne_u32_sdwa s8, v4, v75 src0_sel:BYTE_3 src1_sel:DWORD
	v_mov_b32_e32 v22, v8
	s_and_saveexec_b32 s17, s8
	s_cbranch_execz .LBB259_2280
; %bb.2275:                             ;   in Loop: Header=BB259_2079 Depth=1
	v_mov_b32_e32 v10, v7
	v_mov_b32_e32 v23, v11
	v_bfe_u32 v8, v4, 24, 7
	s_mov_b32 s21, exec_lo
	v_mov_b32_e32 v22, v10
	v_cmpx_ne_u32_e32 0x7f, v8
	s_cbranch_execz .LBB259_2279
; %bb.2276:                             ;   in Loop: Header=BB259_2079 Depth=1
	v_and_b32_sdwa v6, v4, v78 dst_sel:DWORD dst_unused:UNUSED_PAD src0_sel:BYTE_3 src1_sel:DWORD
	v_lshrrev_b32_e32 v5, 3, v8
	s_mov_b32 s22, exec_lo
	v_cmpx_gt_u32_e32 8, v8
; %bb.2277:                             ;   in Loop: Header=BB259_2079 Depth=1
	v_ffbh_u32_e32 v5, v6
	v_min_u32_e32 v5, 32, v5
	v_subrev_nc_u32_e32 v8, 28, v5
	v_sub_nc_u32_e32 v5, 29, v5
	v_lshlrev_b64 v[22:23], v8, v[6:7]
	v_and_b32_e32 v6, 7, v22
; %bb.2278:                             ;   in Loop: Header=BB259_2079 Depth=1
	s_or_b32 exec_lo, exec_lo, s22
	v_lshlrev_b32_sdwa v4, v79, v4 dst_sel:DWORD dst_unused:UNUSED_PAD src0_sel:DWORD src1_sel:BYTE_3
	v_lshlrev_b32_e32 v6, 20, v6
	v_lshl_add_u32 v5, v5, 23, 0x3c000000
	v_mov_b32_e32 v22, v7
	v_and_b32_e32 v4, 0x80000000, v4
	v_or3_b32 v23, v6, v4, v5
.LBB259_2279:                           ;   in Loop: Header=BB259_2079 Depth=1
	s_or_b32 exec_lo, exec_lo, s21
.LBB259_2280:                           ;   in Loop: Header=BB259_2079 Depth=1
	s_or_b32 exec_lo, exec_lo, s17
.LBB259_2281:                           ;   in Loop: Header=BB259_2079 Depth=1
	s_or_b32 exec_lo, exec_lo, s15
	v_or_b32_e32 v4, v21, v19
	v_or_b32_e32 v5, v20, v18
	;; [unrolled: 1-line block ×4, first 2 shown]
	v_mul_f32_e32 v4, v93, v4
	buffer_store_dword v4, off, s[0:3], s32 offset:376 ; 4-byte Folded Spill
	v_mul_f32_e32 v4, v73, v5
	buffer_store_dword v4, off, s[0:3], s32 offset:384 ; 4-byte Folded Spill
	;; [unrolled: 2-line block ×4, first 2 shown]
	s_and_saveexec_b32 s8, s6
	s_cbranch_execz .LBB259_2283
; %bb.2282:                             ;   in Loop: Header=BB259_2079 Depth=1
	buffer_load_dword v4, off, s[0:3], s32 offset:384 ; 4-byte Folded Reload
	s_waitcnt vmcnt(0)
	v_cndmask_b32_e32 v4, 0, v4, vcc_lo
	buffer_store_dword v4, off, s[0:3], s32 offset:384 ; 4-byte Folded Spill
	buffer_load_dword v4, off, s[0:3], s32 offset:376 ; 4-byte Folded Reload
	s_waitcnt vmcnt(0)
	v_cndmask_b32_e64 v4, 0, v4, s4
	buffer_store_dword v4, off, s[0:3], s32 offset:376 ; 4-byte Folded Spill
	buffer_load_dword v4, off, s[0:3], s32 offset:368 ; 4-byte Folded Reload
	s_waitcnt vmcnt(0)
	v_cndmask_b32_e64 v4, 0, v4, s5
	;; [unrolled: 4-line block ×3, first 2 shown]
	buffer_store_dword v4, off, s[0:3], s32 offset:360 ; 4-byte Folded Spill
.LBB259_2283:                           ;   in Loop: Header=BB259_2079 Depth=1
	s_or_b32 exec_lo, exec_lo, s8
	flat_load_dword v4, v[16:17] offset:768
	v_mov_b32_e32 v20, 0
	v_mov_b32_e32 v18, 0
	;; [unrolled: 1-line block ×4, first 2 shown]
	s_waitcnt vmcnt(0) lgkmcnt(0)
	v_cmp_ne_u16_sdwa s8, v4, v7 src0_sel:BYTE_0 src1_sel:DWORD
	s_and_saveexec_b32 s15, s8
	s_cbranch_execz .LBB259_2291
; %bb.2284:                             ;   in Loop: Header=BB259_2079 Depth=1
	v_bfrev_b32_e32 v18, 1
	v_mov_b32_e32 v19, 0
	v_cmp_ne_u16_sdwa s8, v4, v75 src0_sel:BYTE_0 src1_sel:DWORD
	s_and_saveexec_b32 s17, s8
	s_cbranch_execz .LBB259_2290
; %bb.2285:                             ;   in Loop: Header=BB259_2079 Depth=1
	v_mov_b32_e32 v18, 0x7f800001
	v_and_b32_e32 v8, 0x7f, v4
	v_mov_b32_e32 v19, 0
	s_mov_b32 s21, exec_lo
	v_cmpx_ne_u32_e32 0x7f, v8
	s_cbranch_execz .LBB259_2289
; %bb.2286:                             ;   in Loop: Header=BB259_2079 Depth=1
	v_and_b32_e32 v6, 7, v4
	v_lshrrev_b32_e32 v5, 3, v8
	s_mov_b32 s22, exec_lo
	v_cmpx_gt_u32_e32 8, v8
; %bb.2287:                             ;   in Loop: Header=BB259_2079 Depth=1
	v_ffbh_u32_e32 v5, v6
	v_min_u32_e32 v5, 32, v5
	v_subrev_nc_u32_e32 v8, 28, v5
	v_sub_nc_u32_e32 v5, 29, v5
	v_lshlrev_b64 v[18:19], v8, v[6:7]
	v_and_b32_e32 v6, 7, v18
; %bb.2288:                             ;   in Loop: Header=BB259_2079 Depth=1
	s_or_b32 exec_lo, exec_lo, s22
	v_lshlrev_b32_e32 v8, 24, v4
	v_lshlrev_b32_e32 v6, 20, v6
	v_lshl_add_u32 v5, v5, 23, 0x3c000000
	v_and_b32_e32 v8, 0x80000000, v8
	v_or3_b32 v6, v6, v8, v5
	v_mov_b32_e32 v19, v7
	v_mov_b32_e32 v18, v6
.LBB259_2289:                           ;   in Loop: Header=BB259_2079 Depth=1
	s_or_b32 exec_lo, exec_lo, s21
.LBB259_2290:                           ;   in Loop: Header=BB259_2079 Depth=1
	s_or_b32 exec_lo, exec_lo, s17
.LBB259_2291:                           ;   in Loop: Header=BB259_2079 Depth=1
	s_or_b32 exec_lo, exec_lo, s15
	v_cmp_ne_u16_sdwa s8, v4, v7 src0_sel:BYTE_1 src1_sel:DWORD
	s_and_saveexec_b32 s15, s8
	s_cbranch_execz .LBB259_2299
; %bb.2292:                             ;   in Loop: Header=BB259_2079 Depth=1
	v_mov_b32_e32 v8, v7
	v_mov_b32_e32 v21, v9
	v_cmp_ne_u16_sdwa s8, v4, v75 src0_sel:BYTE_1 src1_sel:DWORD
	v_mov_b32_e32 v20, v8
	s_and_saveexec_b32 s17, s8
	s_cbranch_execz .LBB259_2298
; %bb.2293:                             ;   in Loop: Header=BB259_2079 Depth=1
	v_and_b32_sdwa v5, v76, v4 dst_sel:DWORD dst_unused:UNUSED_PAD src0_sel:DWORD src1_sel:BYTE_1
	v_mov_b32_e32 v10, v7
	v_mov_b32_e32 v21, v11
	s_mov_b32 s21, exec_lo
	v_and_b32_e32 v8, 0x7f, v5
	v_mov_b32_e32 v20, v10
	v_cmpx_ne_u32_e32 0x7f, v8
	s_cbranch_execz .LBB259_2297
; %bb.2294:                             ;   in Loop: Header=BB259_2079 Depth=1
	v_and_b32_e32 v6, 7, v5
	v_lshrrev_b32_e32 v5, 3, v8
	s_mov_b32 s22, exec_lo
	v_cmpx_gt_u32_e32 8, v8
; %bb.2295:                             ;   in Loop: Header=BB259_2079 Depth=1
	v_ffbh_u32_e32 v5, v6
	v_min_u32_e32 v5, 32, v5
	v_subrev_nc_u32_e32 v8, 28, v5
	v_sub_nc_u32_e32 v5, 29, v5
	v_lshlrev_b64 v[20:21], v8, v[6:7]
	v_and_b32_e32 v6, 7, v20
; %bb.2296:                             ;   in Loop: Header=BB259_2079 Depth=1
	s_or_b32 exec_lo, exec_lo, s22
	v_lshlrev_b32_e32 v8, 16, v4
	v_lshlrev_b32_e32 v6, 20, v6
	v_lshl_add_u32 v5, v5, 23, 0x3c000000
	v_mov_b32_e32 v20, v7
	v_and_b32_e32 v8, 0x80000000, v8
	v_or3_b32 v21, v6, v8, v5
.LBB259_2297:                           ;   in Loop: Header=BB259_2079 Depth=1
	s_or_b32 exec_lo, exec_lo, s21
.LBB259_2298:                           ;   in Loop: Header=BB259_2079 Depth=1
	s_or_b32 exec_lo, exec_lo, s17
.LBB259_2299:                           ;   in Loop: Header=BB259_2079 Depth=1
	s_or_b32 exec_lo, exec_lo, s15
	v_mov_b32_e32 v22, 0
	v_mov_b32_e32 v24, 0
	v_and_b32_sdwa v5, v4, v77 dst_sel:DWORD dst_unused:UNUSED_PAD src0_sel:WORD_1 src1_sel:DWORD
	v_mov_b32_e32 v23, 0
	v_mov_b32_e32 v25, 0
	s_mov_b32 s15, exec_lo
	v_cmpx_ne_u16_e32 0, v5
	s_cbranch_execz .LBB259_2307
; %bb.2300:                             ;   in Loop: Header=BB259_2079 Depth=1
	v_bfrev_b32_e32 v24, 1
	v_mov_b32_e32 v25, 0
	s_mov_b32 s17, exec_lo
	v_cmpx_ne_u16_e32 0x80, v5
	s_cbranch_execz .LBB259_2306
; %bb.2301:                             ;   in Loop: Header=BB259_2079 Depth=1
	v_mov_b32_e32 v24, 0x7f800001
	v_bfe_u32 v8, v4, 16, 7
	v_mov_b32_e32 v25, 0
	s_mov_b32 s21, exec_lo
	v_cmpx_ne_u32_e32 0x7f, v8
	s_cbranch_execz .LBB259_2305
; %bb.2302:                             ;   in Loop: Header=BB259_2079 Depth=1
	v_and_b32_sdwa v6, v4, v78 dst_sel:DWORD dst_unused:UNUSED_PAD src0_sel:WORD_1 src1_sel:DWORD
	v_lshrrev_b32_e32 v5, 3, v8
	s_mov_b32 s22, exec_lo
	v_cmpx_gt_u32_e32 8, v8
; %bb.2303:                             ;   in Loop: Header=BB259_2079 Depth=1
	v_ffbh_u32_e32 v5, v6
	v_min_u32_e32 v5, 32, v5
	v_subrev_nc_u32_e32 v8, 28, v5
	v_sub_nc_u32_e32 v5, 29, v5
	v_lshlrev_b64 v[24:25], v8, v[6:7]
	v_and_b32_e32 v6, 7, v24
; %bb.2304:                             ;   in Loop: Header=BB259_2079 Depth=1
	s_or_b32 exec_lo, exec_lo, s22
	v_lshlrev_b32_sdwa v8, v79, v4 dst_sel:DWORD dst_unused:UNUSED_PAD src0_sel:DWORD src1_sel:WORD_1
	v_lshlrev_b32_e32 v6, 20, v6
	v_lshl_add_u32 v5, v5, 23, 0x3c000000
	v_and_b32_e32 v8, 0x80000000, v8
	v_or3_b32 v6, v6, v8, v5
	v_mov_b32_e32 v25, v7
	v_mov_b32_e32 v24, v6
.LBB259_2305:                           ;   in Loop: Header=BB259_2079 Depth=1
	s_or_b32 exec_lo, exec_lo, s21
.LBB259_2306:                           ;   in Loop: Header=BB259_2079 Depth=1
	s_or_b32 exec_lo, exec_lo, s17
.LBB259_2307:                           ;   in Loop: Header=BB259_2079 Depth=1
	s_or_b32 exec_lo, exec_lo, s15
	s_mov_b32 s15, exec_lo
	v_cmpx_lt_u32_e32 0xffffff, v4
	s_cbranch_execz .LBB259_2315
; %bb.2308:                             ;   in Loop: Header=BB259_2079 Depth=1
	v_mov_b32_e32 v8, v7
	v_mov_b32_e32 v23, v9
	v_cmp_ne_u32_sdwa s8, v4, v75 src0_sel:BYTE_3 src1_sel:DWORD
	v_mov_b32_e32 v22, v8
	s_and_saveexec_b32 s17, s8
	s_cbranch_execz .LBB259_2314
; %bb.2309:                             ;   in Loop: Header=BB259_2079 Depth=1
	v_mov_b32_e32 v10, v7
	v_mov_b32_e32 v23, v11
	v_bfe_u32 v8, v4, 24, 7
	s_mov_b32 s21, exec_lo
	v_mov_b32_e32 v22, v10
	v_cmpx_ne_u32_e32 0x7f, v8
	s_cbranch_execz .LBB259_2313
; %bb.2310:                             ;   in Loop: Header=BB259_2079 Depth=1
	v_and_b32_sdwa v6, v4, v78 dst_sel:DWORD dst_unused:UNUSED_PAD src0_sel:BYTE_3 src1_sel:DWORD
	v_lshrrev_b32_e32 v5, 3, v8
	s_mov_b32 s22, exec_lo
	v_cmpx_gt_u32_e32 8, v8
; %bb.2311:                             ;   in Loop: Header=BB259_2079 Depth=1
	v_ffbh_u32_e32 v5, v6
	v_min_u32_e32 v5, 32, v5
	v_subrev_nc_u32_e32 v8, 28, v5
	v_sub_nc_u32_e32 v5, 29, v5
	v_lshlrev_b64 v[22:23], v8, v[6:7]
	v_and_b32_e32 v6, 7, v22
; %bb.2312:                             ;   in Loop: Header=BB259_2079 Depth=1
	s_or_b32 exec_lo, exec_lo, s22
	v_lshlrev_b32_sdwa v4, v79, v4 dst_sel:DWORD dst_unused:UNUSED_PAD src0_sel:DWORD src1_sel:BYTE_3
	v_lshlrev_b32_e32 v6, 20, v6
	v_lshl_add_u32 v5, v5, 23, 0x3c000000
	v_mov_b32_e32 v22, v7
	v_and_b32_e32 v4, 0x80000000, v4
	v_or3_b32 v23, v6, v4, v5
.LBB259_2313:                           ;   in Loop: Header=BB259_2079 Depth=1
	s_or_b32 exec_lo, exec_lo, s21
.LBB259_2314:                           ;   in Loop: Header=BB259_2079 Depth=1
	s_or_b32 exec_lo, exec_lo, s17
.LBB259_2315:                           ;   in Loop: Header=BB259_2079 Depth=1
	s_or_b32 exec_lo, exec_lo, s15
	v_or_b32_e32 v4, v21, v19
	v_or_b32_e32 v5, v20, v18
	;; [unrolled: 1-line block ×4, first 2 shown]
	v_mul_f32_e32 v4, v93, v4
	buffer_store_dword v4, off, s[0:3], s32 offset:408 ; 4-byte Folded Spill
	v_mul_f32_e32 v4, v73, v5
	buffer_store_dword v4, off, s[0:3], s32 offset:416 ; 4-byte Folded Spill
	;; [unrolled: 2-line block ×4, first 2 shown]
	s_and_saveexec_b32 s8, s6
	s_cbranch_execz .LBB259_2317
; %bb.2316:                             ;   in Loop: Header=BB259_2079 Depth=1
	buffer_load_dword v4, off, s[0:3], s32 offset:416 ; 4-byte Folded Reload
	s_waitcnt vmcnt(0)
	v_cndmask_b32_e32 v4, 0, v4, vcc_lo
	buffer_store_dword v4, off, s[0:3], s32 offset:416 ; 4-byte Folded Spill
	buffer_load_dword v4, off, s[0:3], s32 offset:408 ; 4-byte Folded Reload
	s_waitcnt vmcnt(0)
	v_cndmask_b32_e64 v4, 0, v4, s4
	buffer_store_dword v4, off, s[0:3], s32 offset:408 ; 4-byte Folded Spill
	buffer_load_dword v4, off, s[0:3], s32 offset:400 ; 4-byte Folded Reload
	s_waitcnt vmcnt(0)
	v_cndmask_b32_e64 v4, 0, v4, s5
	;; [unrolled: 4-line block ×3, first 2 shown]
	buffer_store_dword v4, off, s[0:3], s32 offset:392 ; 4-byte Folded Spill
.LBB259_2317:                           ;   in Loop: Header=BB259_2079 Depth=1
	s_or_b32 exec_lo, exec_lo, s8
	flat_load_dword v4, v[16:17] offset:896
	v_mov_b32_e32 v20, 0
	v_mov_b32_e32 v18, 0
	;; [unrolled: 1-line block ×4, first 2 shown]
	s_waitcnt vmcnt(0) lgkmcnt(0)
	v_cmp_ne_u16_sdwa s8, v4, v7 src0_sel:BYTE_0 src1_sel:DWORD
	s_and_saveexec_b32 s15, s8
	s_cbranch_execz .LBB259_2325
; %bb.2318:                             ;   in Loop: Header=BB259_2079 Depth=1
	v_bfrev_b32_e32 v18, 1
	v_mov_b32_e32 v19, 0
	v_cmp_ne_u16_sdwa s8, v4, v75 src0_sel:BYTE_0 src1_sel:DWORD
	s_and_saveexec_b32 s17, s8
	s_cbranch_execz .LBB259_2324
; %bb.2319:                             ;   in Loop: Header=BB259_2079 Depth=1
	v_mov_b32_e32 v18, 0x7f800001
	v_and_b32_e32 v8, 0x7f, v4
	v_mov_b32_e32 v19, 0
	s_mov_b32 s21, exec_lo
	v_cmpx_ne_u32_e32 0x7f, v8
	s_cbranch_execz .LBB259_2323
; %bb.2320:                             ;   in Loop: Header=BB259_2079 Depth=1
	v_and_b32_e32 v6, 7, v4
	v_lshrrev_b32_e32 v5, 3, v8
	s_mov_b32 s22, exec_lo
	v_cmpx_gt_u32_e32 8, v8
; %bb.2321:                             ;   in Loop: Header=BB259_2079 Depth=1
	v_ffbh_u32_e32 v5, v6
	v_min_u32_e32 v5, 32, v5
	v_subrev_nc_u32_e32 v8, 28, v5
	v_sub_nc_u32_e32 v5, 29, v5
	v_lshlrev_b64 v[18:19], v8, v[6:7]
	v_and_b32_e32 v6, 7, v18
; %bb.2322:                             ;   in Loop: Header=BB259_2079 Depth=1
	s_or_b32 exec_lo, exec_lo, s22
	v_lshlrev_b32_e32 v8, 24, v4
	v_lshlrev_b32_e32 v6, 20, v6
	v_lshl_add_u32 v5, v5, 23, 0x3c000000
	v_and_b32_e32 v8, 0x80000000, v8
	v_or3_b32 v6, v6, v8, v5
	v_mov_b32_e32 v19, v7
	v_mov_b32_e32 v18, v6
.LBB259_2323:                           ;   in Loop: Header=BB259_2079 Depth=1
	s_or_b32 exec_lo, exec_lo, s21
.LBB259_2324:                           ;   in Loop: Header=BB259_2079 Depth=1
	s_or_b32 exec_lo, exec_lo, s17
.LBB259_2325:                           ;   in Loop: Header=BB259_2079 Depth=1
	s_or_b32 exec_lo, exec_lo, s15
	v_cmp_ne_u16_sdwa s8, v4, v7 src0_sel:BYTE_1 src1_sel:DWORD
	s_and_saveexec_b32 s15, s8
	s_cbranch_execz .LBB259_2333
; %bb.2326:                             ;   in Loop: Header=BB259_2079 Depth=1
	v_mov_b32_e32 v8, v7
	v_mov_b32_e32 v21, v9
	v_cmp_ne_u16_sdwa s8, v4, v75 src0_sel:BYTE_1 src1_sel:DWORD
	v_mov_b32_e32 v20, v8
	s_and_saveexec_b32 s17, s8
	s_cbranch_execz .LBB259_2332
; %bb.2327:                             ;   in Loop: Header=BB259_2079 Depth=1
	v_and_b32_sdwa v5, v76, v4 dst_sel:DWORD dst_unused:UNUSED_PAD src0_sel:DWORD src1_sel:BYTE_1
	v_mov_b32_e32 v10, v7
	v_mov_b32_e32 v21, v11
	s_mov_b32 s21, exec_lo
	v_and_b32_e32 v8, 0x7f, v5
	v_mov_b32_e32 v20, v10
	v_cmpx_ne_u32_e32 0x7f, v8
	s_cbranch_execz .LBB259_2331
; %bb.2328:                             ;   in Loop: Header=BB259_2079 Depth=1
	v_and_b32_e32 v6, 7, v5
	v_lshrrev_b32_e32 v5, 3, v8
	s_mov_b32 s22, exec_lo
	v_cmpx_gt_u32_e32 8, v8
; %bb.2329:                             ;   in Loop: Header=BB259_2079 Depth=1
	v_ffbh_u32_e32 v5, v6
	v_min_u32_e32 v5, 32, v5
	v_subrev_nc_u32_e32 v8, 28, v5
	v_sub_nc_u32_e32 v5, 29, v5
	v_lshlrev_b64 v[20:21], v8, v[6:7]
	v_and_b32_e32 v6, 7, v20
; %bb.2330:                             ;   in Loop: Header=BB259_2079 Depth=1
	s_or_b32 exec_lo, exec_lo, s22
	v_lshlrev_b32_e32 v8, 16, v4
	v_lshlrev_b32_e32 v6, 20, v6
	v_lshl_add_u32 v5, v5, 23, 0x3c000000
	v_mov_b32_e32 v20, v7
	v_and_b32_e32 v8, 0x80000000, v8
	v_or3_b32 v21, v6, v8, v5
.LBB259_2331:                           ;   in Loop: Header=BB259_2079 Depth=1
	s_or_b32 exec_lo, exec_lo, s21
.LBB259_2332:                           ;   in Loop: Header=BB259_2079 Depth=1
	s_or_b32 exec_lo, exec_lo, s17
.LBB259_2333:                           ;   in Loop: Header=BB259_2079 Depth=1
	s_or_b32 exec_lo, exec_lo, s15
	v_mov_b32_e32 v22, 0
	v_mov_b32_e32 v24, 0
	v_and_b32_sdwa v5, v4, v77 dst_sel:DWORD dst_unused:UNUSED_PAD src0_sel:WORD_1 src1_sel:DWORD
	v_mov_b32_e32 v23, 0
	v_mov_b32_e32 v25, 0
	s_mov_b32 s15, exec_lo
	v_cmpx_ne_u16_e32 0, v5
	s_cbranch_execz .LBB259_2341
; %bb.2334:                             ;   in Loop: Header=BB259_2079 Depth=1
	v_bfrev_b32_e32 v24, 1
	v_mov_b32_e32 v25, 0
	s_mov_b32 s17, exec_lo
	v_cmpx_ne_u16_e32 0x80, v5
	s_cbranch_execz .LBB259_2340
; %bb.2335:                             ;   in Loop: Header=BB259_2079 Depth=1
	v_mov_b32_e32 v24, 0x7f800001
	v_bfe_u32 v8, v4, 16, 7
	v_mov_b32_e32 v25, 0
	s_mov_b32 s21, exec_lo
	v_cmpx_ne_u32_e32 0x7f, v8
	s_cbranch_execz .LBB259_2339
; %bb.2336:                             ;   in Loop: Header=BB259_2079 Depth=1
	v_and_b32_sdwa v6, v4, v78 dst_sel:DWORD dst_unused:UNUSED_PAD src0_sel:WORD_1 src1_sel:DWORD
	v_lshrrev_b32_e32 v5, 3, v8
	s_mov_b32 s22, exec_lo
	v_cmpx_gt_u32_e32 8, v8
; %bb.2337:                             ;   in Loop: Header=BB259_2079 Depth=1
	v_ffbh_u32_e32 v5, v6
	v_min_u32_e32 v5, 32, v5
	v_subrev_nc_u32_e32 v8, 28, v5
	v_sub_nc_u32_e32 v5, 29, v5
	v_lshlrev_b64 v[24:25], v8, v[6:7]
	v_and_b32_e32 v6, 7, v24
; %bb.2338:                             ;   in Loop: Header=BB259_2079 Depth=1
	s_or_b32 exec_lo, exec_lo, s22
	v_lshlrev_b32_sdwa v8, v79, v4 dst_sel:DWORD dst_unused:UNUSED_PAD src0_sel:DWORD src1_sel:WORD_1
	v_lshlrev_b32_e32 v6, 20, v6
	v_lshl_add_u32 v5, v5, 23, 0x3c000000
	v_and_b32_e32 v8, 0x80000000, v8
	v_or3_b32 v6, v6, v8, v5
	v_mov_b32_e32 v25, v7
	v_mov_b32_e32 v24, v6
.LBB259_2339:                           ;   in Loop: Header=BB259_2079 Depth=1
	s_or_b32 exec_lo, exec_lo, s21
.LBB259_2340:                           ;   in Loop: Header=BB259_2079 Depth=1
	s_or_b32 exec_lo, exec_lo, s17
.LBB259_2341:                           ;   in Loop: Header=BB259_2079 Depth=1
	s_or_b32 exec_lo, exec_lo, s15
	s_mov_b32 s15, exec_lo
	v_cmpx_lt_u32_e32 0xffffff, v4
	s_cbranch_execz .LBB259_2349
; %bb.2342:                             ;   in Loop: Header=BB259_2079 Depth=1
	v_mov_b32_e32 v8, v7
	v_mov_b32_e32 v23, v9
	v_cmp_ne_u32_sdwa s8, v4, v75 src0_sel:BYTE_3 src1_sel:DWORD
	v_mov_b32_e32 v22, v8
	s_and_saveexec_b32 s17, s8
	s_cbranch_execz .LBB259_2348
; %bb.2343:                             ;   in Loop: Header=BB259_2079 Depth=1
	v_mov_b32_e32 v10, v7
	v_mov_b32_e32 v23, v11
	v_bfe_u32 v8, v4, 24, 7
	s_mov_b32 s21, exec_lo
	v_mov_b32_e32 v22, v10
	v_cmpx_ne_u32_e32 0x7f, v8
	s_cbranch_execz .LBB259_2347
; %bb.2344:                             ;   in Loop: Header=BB259_2079 Depth=1
	v_and_b32_sdwa v6, v4, v78 dst_sel:DWORD dst_unused:UNUSED_PAD src0_sel:BYTE_3 src1_sel:DWORD
	v_lshrrev_b32_e32 v5, 3, v8
	s_mov_b32 s22, exec_lo
	v_cmpx_gt_u32_e32 8, v8
; %bb.2345:                             ;   in Loop: Header=BB259_2079 Depth=1
	v_ffbh_u32_e32 v5, v6
	v_min_u32_e32 v5, 32, v5
	v_subrev_nc_u32_e32 v8, 28, v5
	v_sub_nc_u32_e32 v5, 29, v5
	v_lshlrev_b64 v[22:23], v8, v[6:7]
	v_and_b32_e32 v6, 7, v22
; %bb.2346:                             ;   in Loop: Header=BB259_2079 Depth=1
	s_or_b32 exec_lo, exec_lo, s22
	v_lshlrev_b32_sdwa v4, v79, v4 dst_sel:DWORD dst_unused:UNUSED_PAD src0_sel:DWORD src1_sel:BYTE_3
	v_lshlrev_b32_e32 v6, 20, v6
	v_lshl_add_u32 v5, v5, 23, 0x3c000000
	v_mov_b32_e32 v22, v7
	v_and_b32_e32 v4, 0x80000000, v4
	v_or3_b32 v23, v6, v4, v5
.LBB259_2347:                           ;   in Loop: Header=BB259_2079 Depth=1
	s_or_b32 exec_lo, exec_lo, s21
.LBB259_2348:                           ;   in Loop: Header=BB259_2079 Depth=1
	s_or_b32 exec_lo, exec_lo, s17
.LBB259_2349:                           ;   in Loop: Header=BB259_2079 Depth=1
	s_or_b32 exec_lo, exec_lo, s15
	v_or_b32_e32 v4, v21, v19
	v_or_b32_e32 v5, v20, v18
	;; [unrolled: 1-line block ×4, first 2 shown]
	v_mul_f32_e32 v4, v93, v4
	buffer_store_dword v4, off, s[0:3], s32 offset:440 ; 4-byte Folded Spill
	v_mul_f32_e32 v4, v73, v5
	buffer_store_dword v4, off, s[0:3], s32 offset:448 ; 4-byte Folded Spill
	;; [unrolled: 2-line block ×4, first 2 shown]
	s_and_saveexec_b32 s8, s6
	s_cbranch_execz .LBB259_2351
; %bb.2350:                             ;   in Loop: Header=BB259_2079 Depth=1
	buffer_load_dword v4, off, s[0:3], s32 offset:448 ; 4-byte Folded Reload
	s_waitcnt vmcnt(0)
	v_cndmask_b32_e32 v4, 0, v4, vcc_lo
	buffer_store_dword v4, off, s[0:3], s32 offset:448 ; 4-byte Folded Spill
	buffer_load_dword v4, off, s[0:3], s32 offset:440 ; 4-byte Folded Reload
	s_waitcnt vmcnt(0)
	v_cndmask_b32_e64 v4, 0, v4, s4
	buffer_store_dword v4, off, s[0:3], s32 offset:440 ; 4-byte Folded Spill
	buffer_load_dword v4, off, s[0:3], s32 offset:432 ; 4-byte Folded Reload
	s_waitcnt vmcnt(0)
	v_cndmask_b32_e64 v4, 0, v4, s5
	;; [unrolled: 4-line block ×3, first 2 shown]
	buffer_store_dword v4, off, s[0:3], s32 offset:424 ; 4-byte Folded Spill
.LBB259_2351:                           ;   in Loop: Header=BB259_2079 Depth=1
	s_or_b32 exec_lo, exec_lo, s8
	flat_load_dword v4, v[16:17] offset:1024
	v_mov_b32_e32 v20, 0
	v_mov_b32_e32 v18, 0
	;; [unrolled: 1-line block ×4, first 2 shown]
	s_waitcnt vmcnt(0) lgkmcnt(0)
	v_cmp_ne_u16_sdwa s8, v4, v7 src0_sel:BYTE_0 src1_sel:DWORD
	s_and_saveexec_b32 s15, s8
	s_cbranch_execz .LBB259_2359
; %bb.2352:                             ;   in Loop: Header=BB259_2079 Depth=1
	v_bfrev_b32_e32 v18, 1
	v_mov_b32_e32 v19, 0
	v_cmp_ne_u16_sdwa s8, v4, v75 src0_sel:BYTE_0 src1_sel:DWORD
	s_and_saveexec_b32 s17, s8
	s_cbranch_execz .LBB259_2358
; %bb.2353:                             ;   in Loop: Header=BB259_2079 Depth=1
	v_mov_b32_e32 v18, 0x7f800001
	v_and_b32_e32 v8, 0x7f, v4
	v_mov_b32_e32 v19, 0
	s_mov_b32 s21, exec_lo
	v_cmpx_ne_u32_e32 0x7f, v8
	s_cbranch_execz .LBB259_2357
; %bb.2354:                             ;   in Loop: Header=BB259_2079 Depth=1
	v_and_b32_e32 v6, 7, v4
	v_lshrrev_b32_e32 v5, 3, v8
	s_mov_b32 s22, exec_lo
	v_cmpx_gt_u32_e32 8, v8
; %bb.2355:                             ;   in Loop: Header=BB259_2079 Depth=1
	v_ffbh_u32_e32 v5, v6
	v_min_u32_e32 v5, 32, v5
	v_subrev_nc_u32_e32 v8, 28, v5
	v_sub_nc_u32_e32 v5, 29, v5
	v_lshlrev_b64 v[18:19], v8, v[6:7]
	v_and_b32_e32 v6, 7, v18
; %bb.2356:                             ;   in Loop: Header=BB259_2079 Depth=1
	s_or_b32 exec_lo, exec_lo, s22
	v_lshlrev_b32_e32 v8, 24, v4
	v_lshlrev_b32_e32 v6, 20, v6
	v_lshl_add_u32 v5, v5, 23, 0x3c000000
	v_and_b32_e32 v8, 0x80000000, v8
	v_or3_b32 v6, v6, v8, v5
	v_mov_b32_e32 v19, v7
	v_mov_b32_e32 v18, v6
.LBB259_2357:                           ;   in Loop: Header=BB259_2079 Depth=1
	s_or_b32 exec_lo, exec_lo, s21
.LBB259_2358:                           ;   in Loop: Header=BB259_2079 Depth=1
	s_or_b32 exec_lo, exec_lo, s17
.LBB259_2359:                           ;   in Loop: Header=BB259_2079 Depth=1
	s_or_b32 exec_lo, exec_lo, s15
	v_cmp_ne_u16_sdwa s8, v4, v7 src0_sel:BYTE_1 src1_sel:DWORD
	s_and_saveexec_b32 s15, s8
	s_cbranch_execz .LBB259_2367
; %bb.2360:                             ;   in Loop: Header=BB259_2079 Depth=1
	v_mov_b32_e32 v8, v7
	v_mov_b32_e32 v21, v9
	v_cmp_ne_u16_sdwa s8, v4, v75 src0_sel:BYTE_1 src1_sel:DWORD
	v_mov_b32_e32 v20, v8
	s_and_saveexec_b32 s17, s8
	s_cbranch_execz .LBB259_2366
; %bb.2361:                             ;   in Loop: Header=BB259_2079 Depth=1
	v_and_b32_sdwa v5, v76, v4 dst_sel:DWORD dst_unused:UNUSED_PAD src0_sel:DWORD src1_sel:BYTE_1
	v_mov_b32_e32 v10, v7
	v_mov_b32_e32 v21, v11
	s_mov_b32 s21, exec_lo
	v_and_b32_e32 v8, 0x7f, v5
	v_mov_b32_e32 v20, v10
	v_cmpx_ne_u32_e32 0x7f, v8
	s_cbranch_execz .LBB259_2365
; %bb.2362:                             ;   in Loop: Header=BB259_2079 Depth=1
	v_and_b32_e32 v6, 7, v5
	v_lshrrev_b32_e32 v5, 3, v8
	s_mov_b32 s22, exec_lo
	v_cmpx_gt_u32_e32 8, v8
; %bb.2363:                             ;   in Loop: Header=BB259_2079 Depth=1
	v_ffbh_u32_e32 v5, v6
	v_min_u32_e32 v5, 32, v5
	v_subrev_nc_u32_e32 v8, 28, v5
	v_sub_nc_u32_e32 v5, 29, v5
	v_lshlrev_b64 v[20:21], v8, v[6:7]
	v_and_b32_e32 v6, 7, v20
; %bb.2364:                             ;   in Loop: Header=BB259_2079 Depth=1
	s_or_b32 exec_lo, exec_lo, s22
	v_lshlrev_b32_e32 v8, 16, v4
	v_lshlrev_b32_e32 v6, 20, v6
	v_lshl_add_u32 v5, v5, 23, 0x3c000000
	v_mov_b32_e32 v20, v7
	v_and_b32_e32 v8, 0x80000000, v8
	v_or3_b32 v21, v6, v8, v5
.LBB259_2365:                           ;   in Loop: Header=BB259_2079 Depth=1
	s_or_b32 exec_lo, exec_lo, s21
.LBB259_2366:                           ;   in Loop: Header=BB259_2079 Depth=1
	s_or_b32 exec_lo, exec_lo, s17
.LBB259_2367:                           ;   in Loop: Header=BB259_2079 Depth=1
	s_or_b32 exec_lo, exec_lo, s15
	v_mov_b32_e32 v22, 0
	v_mov_b32_e32 v24, 0
	v_and_b32_sdwa v5, v4, v77 dst_sel:DWORD dst_unused:UNUSED_PAD src0_sel:WORD_1 src1_sel:DWORD
	v_mov_b32_e32 v23, 0
	v_mov_b32_e32 v25, 0
	s_mov_b32 s15, exec_lo
	v_cmpx_ne_u16_e32 0, v5
	s_cbranch_execz .LBB259_2375
; %bb.2368:                             ;   in Loop: Header=BB259_2079 Depth=1
	v_bfrev_b32_e32 v24, 1
	v_mov_b32_e32 v25, 0
	s_mov_b32 s17, exec_lo
	v_cmpx_ne_u16_e32 0x80, v5
	s_cbranch_execz .LBB259_2374
; %bb.2369:                             ;   in Loop: Header=BB259_2079 Depth=1
	v_mov_b32_e32 v24, 0x7f800001
	v_bfe_u32 v8, v4, 16, 7
	v_mov_b32_e32 v25, 0
	s_mov_b32 s21, exec_lo
	v_cmpx_ne_u32_e32 0x7f, v8
	s_cbranch_execz .LBB259_2373
; %bb.2370:                             ;   in Loop: Header=BB259_2079 Depth=1
	v_and_b32_sdwa v6, v4, v78 dst_sel:DWORD dst_unused:UNUSED_PAD src0_sel:WORD_1 src1_sel:DWORD
	v_lshrrev_b32_e32 v5, 3, v8
	s_mov_b32 s22, exec_lo
	v_cmpx_gt_u32_e32 8, v8
; %bb.2371:                             ;   in Loop: Header=BB259_2079 Depth=1
	v_ffbh_u32_e32 v5, v6
	v_min_u32_e32 v5, 32, v5
	v_subrev_nc_u32_e32 v8, 28, v5
	v_sub_nc_u32_e32 v5, 29, v5
	v_lshlrev_b64 v[24:25], v8, v[6:7]
	v_and_b32_e32 v6, 7, v24
; %bb.2372:                             ;   in Loop: Header=BB259_2079 Depth=1
	s_or_b32 exec_lo, exec_lo, s22
	v_lshlrev_b32_sdwa v8, v79, v4 dst_sel:DWORD dst_unused:UNUSED_PAD src0_sel:DWORD src1_sel:WORD_1
	v_lshlrev_b32_e32 v6, 20, v6
	v_lshl_add_u32 v5, v5, 23, 0x3c000000
	v_and_b32_e32 v8, 0x80000000, v8
	v_or3_b32 v6, v6, v8, v5
	v_mov_b32_e32 v25, v7
	v_mov_b32_e32 v24, v6
.LBB259_2373:                           ;   in Loop: Header=BB259_2079 Depth=1
	s_or_b32 exec_lo, exec_lo, s21
.LBB259_2374:                           ;   in Loop: Header=BB259_2079 Depth=1
	s_or_b32 exec_lo, exec_lo, s17
.LBB259_2375:                           ;   in Loop: Header=BB259_2079 Depth=1
	s_or_b32 exec_lo, exec_lo, s15
	s_mov_b32 s15, exec_lo
	v_cmpx_lt_u32_e32 0xffffff, v4
	s_cbranch_execz .LBB259_2383
; %bb.2376:                             ;   in Loop: Header=BB259_2079 Depth=1
	v_mov_b32_e32 v8, v7
	v_mov_b32_e32 v23, v9
	v_cmp_ne_u32_sdwa s8, v4, v75 src0_sel:BYTE_3 src1_sel:DWORD
	v_mov_b32_e32 v22, v8
	s_and_saveexec_b32 s17, s8
	s_cbranch_execz .LBB259_2382
; %bb.2377:                             ;   in Loop: Header=BB259_2079 Depth=1
	v_mov_b32_e32 v10, v7
	v_mov_b32_e32 v23, v11
	v_bfe_u32 v8, v4, 24, 7
	s_mov_b32 s21, exec_lo
	v_mov_b32_e32 v22, v10
	v_cmpx_ne_u32_e32 0x7f, v8
	s_cbranch_execz .LBB259_2381
; %bb.2378:                             ;   in Loop: Header=BB259_2079 Depth=1
	v_and_b32_sdwa v6, v4, v78 dst_sel:DWORD dst_unused:UNUSED_PAD src0_sel:BYTE_3 src1_sel:DWORD
	v_lshrrev_b32_e32 v5, 3, v8
	s_mov_b32 s22, exec_lo
	v_cmpx_gt_u32_e32 8, v8
; %bb.2379:                             ;   in Loop: Header=BB259_2079 Depth=1
	v_ffbh_u32_e32 v5, v6
	v_min_u32_e32 v5, 32, v5
	v_subrev_nc_u32_e32 v8, 28, v5
	v_sub_nc_u32_e32 v5, 29, v5
	v_lshlrev_b64 v[22:23], v8, v[6:7]
	v_and_b32_e32 v6, 7, v22
; %bb.2380:                             ;   in Loop: Header=BB259_2079 Depth=1
	s_or_b32 exec_lo, exec_lo, s22
	v_lshlrev_b32_sdwa v4, v79, v4 dst_sel:DWORD dst_unused:UNUSED_PAD src0_sel:DWORD src1_sel:BYTE_3
	v_lshlrev_b32_e32 v6, 20, v6
	v_lshl_add_u32 v5, v5, 23, 0x3c000000
	v_mov_b32_e32 v22, v7
	v_and_b32_e32 v4, 0x80000000, v4
	v_or3_b32 v23, v6, v4, v5
.LBB259_2381:                           ;   in Loop: Header=BB259_2079 Depth=1
	s_or_b32 exec_lo, exec_lo, s21
.LBB259_2382:                           ;   in Loop: Header=BB259_2079 Depth=1
	s_or_b32 exec_lo, exec_lo, s17
.LBB259_2383:                           ;   in Loop: Header=BB259_2079 Depth=1
	s_or_b32 exec_lo, exec_lo, s15
	v_or_b32_e32 v4, v21, v19
	v_or_b32_e32 v5, v20, v18
	;; [unrolled: 1-line block ×4, first 2 shown]
	v_mul_f32_e32 v4, v93, v4
	buffer_store_dword v4, off, s[0:3], s32 offset:480 ; 4-byte Folded Spill
	v_mul_f32_e32 v4, v73, v5
	buffer_store_dword v4, off, s[0:3], s32 offset:472 ; 4-byte Folded Spill
	;; [unrolled: 2-line block ×4, first 2 shown]
	s_and_saveexec_b32 s8, s6
	s_cbranch_execz .LBB259_2385
; %bb.2384:                             ;   in Loop: Header=BB259_2079 Depth=1
	buffer_load_dword v4, off, s[0:3], s32 offset:472 ; 4-byte Folded Reload
	s_waitcnt vmcnt(0)
	v_cndmask_b32_e32 v4, 0, v4, vcc_lo
	buffer_store_dword v4, off, s[0:3], s32 offset:472 ; 4-byte Folded Spill
	buffer_load_dword v4, off, s[0:3], s32 offset:480 ; 4-byte Folded Reload
	s_waitcnt vmcnt(0)
	v_cndmask_b32_e64 v4, 0, v4, s4
	buffer_store_dword v4, off, s[0:3], s32 offset:480 ; 4-byte Folded Spill
	buffer_load_dword v4, off, s[0:3], s32 offset:464 ; 4-byte Folded Reload
	s_waitcnt vmcnt(0)
	v_cndmask_b32_e64 v4, 0, v4, s5
	;; [unrolled: 4-line block ×3, first 2 shown]
	buffer_store_dword v4, off, s[0:3], s32 offset:456 ; 4-byte Folded Spill
.LBB259_2385:                           ;   in Loop: Header=BB259_2079 Depth=1
	s_or_b32 exec_lo, exec_lo, s8
	flat_load_dword v4, v[16:17] offset:1152
	v_mov_b32_e32 v20, 0
	v_mov_b32_e32 v18, 0
	;; [unrolled: 1-line block ×4, first 2 shown]
	s_waitcnt vmcnt(0) lgkmcnt(0)
	v_cmp_ne_u16_sdwa s8, v4, v7 src0_sel:BYTE_0 src1_sel:DWORD
	s_and_saveexec_b32 s15, s8
	s_cbranch_execz .LBB259_2393
; %bb.2386:                             ;   in Loop: Header=BB259_2079 Depth=1
	v_bfrev_b32_e32 v18, 1
	v_mov_b32_e32 v19, 0
	v_cmp_ne_u16_sdwa s8, v4, v75 src0_sel:BYTE_0 src1_sel:DWORD
	s_and_saveexec_b32 s17, s8
	s_cbranch_execz .LBB259_2392
; %bb.2387:                             ;   in Loop: Header=BB259_2079 Depth=1
	v_mov_b32_e32 v18, 0x7f800001
	v_and_b32_e32 v8, 0x7f, v4
	v_mov_b32_e32 v19, 0
	s_mov_b32 s21, exec_lo
	v_cmpx_ne_u32_e32 0x7f, v8
	s_cbranch_execz .LBB259_2391
; %bb.2388:                             ;   in Loop: Header=BB259_2079 Depth=1
	v_and_b32_e32 v6, 7, v4
	v_lshrrev_b32_e32 v5, 3, v8
	s_mov_b32 s22, exec_lo
	v_cmpx_gt_u32_e32 8, v8
; %bb.2389:                             ;   in Loop: Header=BB259_2079 Depth=1
	v_ffbh_u32_e32 v5, v6
	v_min_u32_e32 v5, 32, v5
	v_subrev_nc_u32_e32 v8, 28, v5
	v_sub_nc_u32_e32 v5, 29, v5
	v_lshlrev_b64 v[18:19], v8, v[6:7]
	v_and_b32_e32 v6, 7, v18
; %bb.2390:                             ;   in Loop: Header=BB259_2079 Depth=1
	s_or_b32 exec_lo, exec_lo, s22
	v_lshlrev_b32_e32 v8, 24, v4
	v_lshlrev_b32_e32 v6, 20, v6
	v_lshl_add_u32 v5, v5, 23, 0x3c000000
	v_and_b32_e32 v8, 0x80000000, v8
	v_or3_b32 v6, v6, v8, v5
	v_mov_b32_e32 v19, v7
	v_mov_b32_e32 v18, v6
.LBB259_2391:                           ;   in Loop: Header=BB259_2079 Depth=1
	s_or_b32 exec_lo, exec_lo, s21
.LBB259_2392:                           ;   in Loop: Header=BB259_2079 Depth=1
	s_or_b32 exec_lo, exec_lo, s17
.LBB259_2393:                           ;   in Loop: Header=BB259_2079 Depth=1
	s_or_b32 exec_lo, exec_lo, s15
	v_cmp_ne_u16_sdwa s8, v4, v7 src0_sel:BYTE_1 src1_sel:DWORD
	s_and_saveexec_b32 s15, s8
	s_cbranch_execz .LBB259_2401
; %bb.2394:                             ;   in Loop: Header=BB259_2079 Depth=1
	v_mov_b32_e32 v8, v7
	v_mov_b32_e32 v21, v9
	v_cmp_ne_u16_sdwa s8, v4, v75 src0_sel:BYTE_1 src1_sel:DWORD
	v_mov_b32_e32 v20, v8
	s_and_saveexec_b32 s17, s8
	s_cbranch_execz .LBB259_2400
; %bb.2395:                             ;   in Loop: Header=BB259_2079 Depth=1
	v_and_b32_sdwa v5, v76, v4 dst_sel:DWORD dst_unused:UNUSED_PAD src0_sel:DWORD src1_sel:BYTE_1
	v_mov_b32_e32 v10, v7
	v_mov_b32_e32 v21, v11
	s_mov_b32 s21, exec_lo
	v_and_b32_e32 v8, 0x7f, v5
	v_mov_b32_e32 v20, v10
	v_cmpx_ne_u32_e32 0x7f, v8
	s_cbranch_execz .LBB259_2399
; %bb.2396:                             ;   in Loop: Header=BB259_2079 Depth=1
	v_and_b32_e32 v6, 7, v5
	v_lshrrev_b32_e32 v5, 3, v8
	s_mov_b32 s22, exec_lo
	v_cmpx_gt_u32_e32 8, v8
; %bb.2397:                             ;   in Loop: Header=BB259_2079 Depth=1
	v_ffbh_u32_e32 v5, v6
	v_min_u32_e32 v5, 32, v5
	v_subrev_nc_u32_e32 v8, 28, v5
	v_sub_nc_u32_e32 v5, 29, v5
	v_lshlrev_b64 v[20:21], v8, v[6:7]
	v_and_b32_e32 v6, 7, v20
; %bb.2398:                             ;   in Loop: Header=BB259_2079 Depth=1
	s_or_b32 exec_lo, exec_lo, s22
	v_lshlrev_b32_e32 v8, 16, v4
	v_lshlrev_b32_e32 v6, 20, v6
	v_lshl_add_u32 v5, v5, 23, 0x3c000000
	v_mov_b32_e32 v20, v7
	v_and_b32_e32 v8, 0x80000000, v8
	v_or3_b32 v21, v6, v8, v5
.LBB259_2399:                           ;   in Loop: Header=BB259_2079 Depth=1
	s_or_b32 exec_lo, exec_lo, s21
.LBB259_2400:                           ;   in Loop: Header=BB259_2079 Depth=1
	s_or_b32 exec_lo, exec_lo, s17
.LBB259_2401:                           ;   in Loop: Header=BB259_2079 Depth=1
	s_or_b32 exec_lo, exec_lo, s15
	v_mov_b32_e32 v22, 0
	v_mov_b32_e32 v24, 0
	v_and_b32_sdwa v5, v4, v77 dst_sel:DWORD dst_unused:UNUSED_PAD src0_sel:WORD_1 src1_sel:DWORD
	v_mov_b32_e32 v23, 0
	v_mov_b32_e32 v25, 0
	s_mov_b32 s15, exec_lo
	v_cmpx_ne_u16_e32 0, v5
	s_cbranch_execz .LBB259_2409
; %bb.2402:                             ;   in Loop: Header=BB259_2079 Depth=1
	v_bfrev_b32_e32 v24, 1
	v_mov_b32_e32 v25, 0
	s_mov_b32 s17, exec_lo
	v_cmpx_ne_u16_e32 0x80, v5
	s_cbranch_execz .LBB259_2408
; %bb.2403:                             ;   in Loop: Header=BB259_2079 Depth=1
	v_mov_b32_e32 v24, 0x7f800001
	v_bfe_u32 v8, v4, 16, 7
	v_mov_b32_e32 v25, 0
	s_mov_b32 s21, exec_lo
	v_cmpx_ne_u32_e32 0x7f, v8
	s_cbranch_execz .LBB259_2407
; %bb.2404:                             ;   in Loop: Header=BB259_2079 Depth=1
	v_and_b32_sdwa v6, v4, v78 dst_sel:DWORD dst_unused:UNUSED_PAD src0_sel:WORD_1 src1_sel:DWORD
	v_lshrrev_b32_e32 v5, 3, v8
	s_mov_b32 s22, exec_lo
	v_cmpx_gt_u32_e32 8, v8
; %bb.2405:                             ;   in Loop: Header=BB259_2079 Depth=1
	v_ffbh_u32_e32 v5, v6
	v_min_u32_e32 v5, 32, v5
	v_subrev_nc_u32_e32 v8, 28, v5
	v_sub_nc_u32_e32 v5, 29, v5
	v_lshlrev_b64 v[24:25], v8, v[6:7]
	v_and_b32_e32 v6, 7, v24
; %bb.2406:                             ;   in Loop: Header=BB259_2079 Depth=1
	s_or_b32 exec_lo, exec_lo, s22
	v_lshlrev_b32_sdwa v8, v79, v4 dst_sel:DWORD dst_unused:UNUSED_PAD src0_sel:DWORD src1_sel:WORD_1
	v_lshlrev_b32_e32 v6, 20, v6
	v_lshl_add_u32 v5, v5, 23, 0x3c000000
	v_and_b32_e32 v8, 0x80000000, v8
	v_or3_b32 v6, v6, v8, v5
	v_mov_b32_e32 v25, v7
	v_mov_b32_e32 v24, v6
.LBB259_2407:                           ;   in Loop: Header=BB259_2079 Depth=1
	s_or_b32 exec_lo, exec_lo, s21
.LBB259_2408:                           ;   in Loop: Header=BB259_2079 Depth=1
	s_or_b32 exec_lo, exec_lo, s17
.LBB259_2409:                           ;   in Loop: Header=BB259_2079 Depth=1
	s_or_b32 exec_lo, exec_lo, s15
	s_mov_b32 s15, exec_lo
	v_cmpx_lt_u32_e32 0xffffff, v4
	s_cbranch_execz .LBB259_2417
; %bb.2410:                             ;   in Loop: Header=BB259_2079 Depth=1
	v_mov_b32_e32 v8, v7
	v_mov_b32_e32 v23, v9
	v_cmp_ne_u32_sdwa s8, v4, v75 src0_sel:BYTE_3 src1_sel:DWORD
	v_mov_b32_e32 v22, v8
	s_and_saveexec_b32 s17, s8
	s_cbranch_execz .LBB259_2416
; %bb.2411:                             ;   in Loop: Header=BB259_2079 Depth=1
	v_mov_b32_e32 v10, v7
	v_mov_b32_e32 v23, v11
	v_bfe_u32 v8, v4, 24, 7
	s_mov_b32 s21, exec_lo
	v_mov_b32_e32 v22, v10
	v_cmpx_ne_u32_e32 0x7f, v8
	s_cbranch_execz .LBB259_2415
; %bb.2412:                             ;   in Loop: Header=BB259_2079 Depth=1
	v_and_b32_sdwa v6, v4, v78 dst_sel:DWORD dst_unused:UNUSED_PAD src0_sel:BYTE_3 src1_sel:DWORD
	v_lshrrev_b32_e32 v5, 3, v8
	s_mov_b32 s22, exec_lo
	v_cmpx_gt_u32_e32 8, v8
; %bb.2413:                             ;   in Loop: Header=BB259_2079 Depth=1
	v_ffbh_u32_e32 v5, v6
	v_min_u32_e32 v5, 32, v5
	v_subrev_nc_u32_e32 v8, 28, v5
	v_sub_nc_u32_e32 v5, 29, v5
	v_lshlrev_b64 v[22:23], v8, v[6:7]
	v_and_b32_e32 v6, 7, v22
; %bb.2414:                             ;   in Loop: Header=BB259_2079 Depth=1
	s_or_b32 exec_lo, exec_lo, s22
	v_lshlrev_b32_sdwa v4, v79, v4 dst_sel:DWORD dst_unused:UNUSED_PAD src0_sel:DWORD src1_sel:BYTE_3
	v_lshlrev_b32_e32 v6, 20, v6
	v_lshl_add_u32 v5, v5, 23, 0x3c000000
	v_mov_b32_e32 v22, v7
	v_and_b32_e32 v4, 0x80000000, v4
	v_or3_b32 v23, v6, v4, v5
.LBB259_2415:                           ;   in Loop: Header=BB259_2079 Depth=1
	s_or_b32 exec_lo, exec_lo, s21
.LBB259_2416:                           ;   in Loop: Header=BB259_2079 Depth=1
	s_or_b32 exec_lo, exec_lo, s17
.LBB259_2417:                           ;   in Loop: Header=BB259_2079 Depth=1
	s_or_b32 exec_lo, exec_lo, s15
	v_or_b32_e32 v4, v21, v19
	v_or_b32_e32 v5, v20, v18
	;; [unrolled: 1-line block ×4, first 2 shown]
	v_mul_f32_e32 v4, v93, v4
	buffer_store_dword v4, off, s[0:3], s32 offset:512 ; 4-byte Folded Spill
	v_mul_f32_e32 v4, v73, v5
	buffer_store_dword v4, off, s[0:3], s32 offset:504 ; 4-byte Folded Spill
	;; [unrolled: 2-line block ×4, first 2 shown]
	s_and_saveexec_b32 s8, s6
	s_cbranch_execz .LBB259_2419
; %bb.2418:                             ;   in Loop: Header=BB259_2079 Depth=1
	buffer_load_dword v4, off, s[0:3], s32 offset:504 ; 4-byte Folded Reload
	s_waitcnt vmcnt(0)
	v_cndmask_b32_e32 v4, 0, v4, vcc_lo
	buffer_store_dword v4, off, s[0:3], s32 offset:504 ; 4-byte Folded Spill
	buffer_load_dword v4, off, s[0:3], s32 offset:512 ; 4-byte Folded Reload
	s_waitcnt vmcnt(0)
	v_cndmask_b32_e64 v4, 0, v4, s4
	buffer_store_dword v4, off, s[0:3], s32 offset:512 ; 4-byte Folded Spill
	buffer_load_dword v4, off, s[0:3], s32 offset:496 ; 4-byte Folded Reload
	s_waitcnt vmcnt(0)
	v_cndmask_b32_e64 v4, 0, v4, s5
	;; [unrolled: 4-line block ×3, first 2 shown]
	buffer_store_dword v4, off, s[0:3], s32 offset:488 ; 4-byte Folded Spill
.LBB259_2419:                           ;   in Loop: Header=BB259_2079 Depth=1
	s_or_b32 exec_lo, exec_lo, s8
	flat_load_dword v4, v[16:17] offset:1280
	v_mov_b32_e32 v20, 0
	v_mov_b32_e32 v18, 0
	;; [unrolled: 1-line block ×4, first 2 shown]
	s_waitcnt vmcnt(0) lgkmcnt(0)
	v_cmp_ne_u16_sdwa s8, v4, v7 src0_sel:BYTE_0 src1_sel:DWORD
	s_and_saveexec_b32 s15, s8
	s_cbranch_execz .LBB259_2427
; %bb.2420:                             ;   in Loop: Header=BB259_2079 Depth=1
	v_bfrev_b32_e32 v18, 1
	v_mov_b32_e32 v19, 0
	v_cmp_ne_u16_sdwa s8, v4, v75 src0_sel:BYTE_0 src1_sel:DWORD
	s_and_saveexec_b32 s17, s8
	s_cbranch_execz .LBB259_2426
; %bb.2421:                             ;   in Loop: Header=BB259_2079 Depth=1
	v_mov_b32_e32 v18, 0x7f800001
	v_and_b32_e32 v8, 0x7f, v4
	v_mov_b32_e32 v19, 0
	s_mov_b32 s21, exec_lo
	v_cmpx_ne_u32_e32 0x7f, v8
	s_cbranch_execz .LBB259_2425
; %bb.2422:                             ;   in Loop: Header=BB259_2079 Depth=1
	v_and_b32_e32 v6, 7, v4
	v_lshrrev_b32_e32 v5, 3, v8
	s_mov_b32 s22, exec_lo
	v_cmpx_gt_u32_e32 8, v8
; %bb.2423:                             ;   in Loop: Header=BB259_2079 Depth=1
	v_ffbh_u32_e32 v5, v6
	v_min_u32_e32 v5, 32, v5
	v_subrev_nc_u32_e32 v8, 28, v5
	v_sub_nc_u32_e32 v5, 29, v5
	v_lshlrev_b64 v[18:19], v8, v[6:7]
	v_and_b32_e32 v6, 7, v18
; %bb.2424:                             ;   in Loop: Header=BB259_2079 Depth=1
	s_or_b32 exec_lo, exec_lo, s22
	v_lshlrev_b32_e32 v8, 24, v4
	v_lshlrev_b32_e32 v6, 20, v6
	v_lshl_add_u32 v5, v5, 23, 0x3c000000
	v_and_b32_e32 v8, 0x80000000, v8
	v_or3_b32 v6, v6, v8, v5
	v_mov_b32_e32 v19, v7
	v_mov_b32_e32 v18, v6
.LBB259_2425:                           ;   in Loop: Header=BB259_2079 Depth=1
	s_or_b32 exec_lo, exec_lo, s21
.LBB259_2426:                           ;   in Loop: Header=BB259_2079 Depth=1
	s_or_b32 exec_lo, exec_lo, s17
.LBB259_2427:                           ;   in Loop: Header=BB259_2079 Depth=1
	s_or_b32 exec_lo, exec_lo, s15
	v_cmp_ne_u16_sdwa s8, v4, v7 src0_sel:BYTE_1 src1_sel:DWORD
	s_and_saveexec_b32 s15, s8
	s_cbranch_execz .LBB259_2435
; %bb.2428:                             ;   in Loop: Header=BB259_2079 Depth=1
	v_mov_b32_e32 v8, v7
	v_mov_b32_e32 v21, v9
	v_cmp_ne_u16_sdwa s8, v4, v75 src0_sel:BYTE_1 src1_sel:DWORD
	v_mov_b32_e32 v20, v8
	s_and_saveexec_b32 s17, s8
	s_cbranch_execz .LBB259_2434
; %bb.2429:                             ;   in Loop: Header=BB259_2079 Depth=1
	v_and_b32_sdwa v5, v76, v4 dst_sel:DWORD dst_unused:UNUSED_PAD src0_sel:DWORD src1_sel:BYTE_1
	v_mov_b32_e32 v10, v7
	v_mov_b32_e32 v21, v11
	s_mov_b32 s21, exec_lo
	v_and_b32_e32 v8, 0x7f, v5
	v_mov_b32_e32 v20, v10
	v_cmpx_ne_u32_e32 0x7f, v8
	s_cbranch_execz .LBB259_2433
; %bb.2430:                             ;   in Loop: Header=BB259_2079 Depth=1
	v_and_b32_e32 v6, 7, v5
	v_lshrrev_b32_e32 v5, 3, v8
	s_mov_b32 s22, exec_lo
	v_cmpx_gt_u32_e32 8, v8
; %bb.2431:                             ;   in Loop: Header=BB259_2079 Depth=1
	v_ffbh_u32_e32 v5, v6
	v_min_u32_e32 v5, 32, v5
	v_subrev_nc_u32_e32 v8, 28, v5
	v_sub_nc_u32_e32 v5, 29, v5
	v_lshlrev_b64 v[20:21], v8, v[6:7]
	v_and_b32_e32 v6, 7, v20
; %bb.2432:                             ;   in Loop: Header=BB259_2079 Depth=1
	s_or_b32 exec_lo, exec_lo, s22
	v_lshlrev_b32_e32 v8, 16, v4
	v_lshlrev_b32_e32 v6, 20, v6
	v_lshl_add_u32 v5, v5, 23, 0x3c000000
	v_mov_b32_e32 v20, v7
	v_and_b32_e32 v8, 0x80000000, v8
	v_or3_b32 v21, v6, v8, v5
.LBB259_2433:                           ;   in Loop: Header=BB259_2079 Depth=1
	s_or_b32 exec_lo, exec_lo, s21
.LBB259_2434:                           ;   in Loop: Header=BB259_2079 Depth=1
	s_or_b32 exec_lo, exec_lo, s17
.LBB259_2435:                           ;   in Loop: Header=BB259_2079 Depth=1
	s_or_b32 exec_lo, exec_lo, s15
	v_mov_b32_e32 v22, 0
	v_mov_b32_e32 v24, 0
	v_and_b32_sdwa v5, v4, v77 dst_sel:DWORD dst_unused:UNUSED_PAD src0_sel:WORD_1 src1_sel:DWORD
	v_mov_b32_e32 v23, 0
	v_mov_b32_e32 v25, 0
	s_mov_b32 s15, exec_lo
	v_cmpx_ne_u16_e32 0, v5
	s_cbranch_execz .LBB259_2443
; %bb.2436:                             ;   in Loop: Header=BB259_2079 Depth=1
	v_bfrev_b32_e32 v24, 1
	v_mov_b32_e32 v25, 0
	s_mov_b32 s17, exec_lo
	v_cmpx_ne_u16_e32 0x80, v5
	s_cbranch_execz .LBB259_2442
; %bb.2437:                             ;   in Loop: Header=BB259_2079 Depth=1
	v_mov_b32_e32 v24, 0x7f800001
	v_bfe_u32 v8, v4, 16, 7
	v_mov_b32_e32 v25, 0
	s_mov_b32 s21, exec_lo
	v_cmpx_ne_u32_e32 0x7f, v8
	s_cbranch_execz .LBB259_2441
; %bb.2438:                             ;   in Loop: Header=BB259_2079 Depth=1
	v_and_b32_sdwa v6, v4, v78 dst_sel:DWORD dst_unused:UNUSED_PAD src0_sel:WORD_1 src1_sel:DWORD
	v_lshrrev_b32_e32 v5, 3, v8
	s_mov_b32 s22, exec_lo
	v_cmpx_gt_u32_e32 8, v8
; %bb.2439:                             ;   in Loop: Header=BB259_2079 Depth=1
	v_ffbh_u32_e32 v5, v6
	v_min_u32_e32 v5, 32, v5
	v_subrev_nc_u32_e32 v8, 28, v5
	v_sub_nc_u32_e32 v5, 29, v5
	v_lshlrev_b64 v[24:25], v8, v[6:7]
	v_and_b32_e32 v6, 7, v24
; %bb.2440:                             ;   in Loop: Header=BB259_2079 Depth=1
	s_or_b32 exec_lo, exec_lo, s22
	v_lshlrev_b32_sdwa v8, v79, v4 dst_sel:DWORD dst_unused:UNUSED_PAD src0_sel:DWORD src1_sel:WORD_1
	v_lshlrev_b32_e32 v6, 20, v6
	v_lshl_add_u32 v5, v5, 23, 0x3c000000
	v_and_b32_e32 v8, 0x80000000, v8
	v_or3_b32 v6, v6, v8, v5
	v_mov_b32_e32 v25, v7
	v_mov_b32_e32 v24, v6
.LBB259_2441:                           ;   in Loop: Header=BB259_2079 Depth=1
	s_or_b32 exec_lo, exec_lo, s21
.LBB259_2442:                           ;   in Loop: Header=BB259_2079 Depth=1
	s_or_b32 exec_lo, exec_lo, s17
.LBB259_2443:                           ;   in Loop: Header=BB259_2079 Depth=1
	s_or_b32 exec_lo, exec_lo, s15
	s_mov_b32 s15, exec_lo
	v_cmpx_lt_u32_e32 0xffffff, v4
	s_cbranch_execz .LBB259_2451
; %bb.2444:                             ;   in Loop: Header=BB259_2079 Depth=1
	v_mov_b32_e32 v8, v7
	v_mov_b32_e32 v23, v9
	v_cmp_ne_u32_sdwa s8, v4, v75 src0_sel:BYTE_3 src1_sel:DWORD
	v_mov_b32_e32 v22, v8
	s_and_saveexec_b32 s17, s8
	s_cbranch_execz .LBB259_2450
; %bb.2445:                             ;   in Loop: Header=BB259_2079 Depth=1
	v_mov_b32_e32 v10, v7
	v_mov_b32_e32 v23, v11
	v_bfe_u32 v8, v4, 24, 7
	s_mov_b32 s21, exec_lo
	v_mov_b32_e32 v22, v10
	v_cmpx_ne_u32_e32 0x7f, v8
	s_cbranch_execz .LBB259_2449
; %bb.2446:                             ;   in Loop: Header=BB259_2079 Depth=1
	v_and_b32_sdwa v6, v4, v78 dst_sel:DWORD dst_unused:UNUSED_PAD src0_sel:BYTE_3 src1_sel:DWORD
	v_lshrrev_b32_e32 v5, 3, v8
	s_mov_b32 s22, exec_lo
	v_cmpx_gt_u32_e32 8, v8
; %bb.2447:                             ;   in Loop: Header=BB259_2079 Depth=1
	v_ffbh_u32_e32 v5, v6
	v_min_u32_e32 v5, 32, v5
	v_subrev_nc_u32_e32 v8, 28, v5
	v_sub_nc_u32_e32 v5, 29, v5
	v_lshlrev_b64 v[22:23], v8, v[6:7]
	v_and_b32_e32 v6, 7, v22
; %bb.2448:                             ;   in Loop: Header=BB259_2079 Depth=1
	s_or_b32 exec_lo, exec_lo, s22
	v_lshlrev_b32_sdwa v4, v79, v4 dst_sel:DWORD dst_unused:UNUSED_PAD src0_sel:DWORD src1_sel:BYTE_3
	v_lshlrev_b32_e32 v6, 20, v6
	v_lshl_add_u32 v5, v5, 23, 0x3c000000
	v_mov_b32_e32 v22, v7
	v_and_b32_e32 v4, 0x80000000, v4
	v_or3_b32 v23, v6, v4, v5
.LBB259_2449:                           ;   in Loop: Header=BB259_2079 Depth=1
	s_or_b32 exec_lo, exec_lo, s21
.LBB259_2450:                           ;   in Loop: Header=BB259_2079 Depth=1
	s_or_b32 exec_lo, exec_lo, s17
.LBB259_2451:                           ;   in Loop: Header=BB259_2079 Depth=1
	s_or_b32 exec_lo, exec_lo, s15
	v_or_b32_e32 v4, v21, v19
	v_or_b32_e32 v5, v20, v18
	;; [unrolled: 1-line block ×4, first 2 shown]
	v_mul_f32_e32 v4, v93, v4
	buffer_store_dword v4, off, s[0:3], s32 offset:544 ; 4-byte Folded Spill
	v_mul_f32_e32 v4, v73, v5
	buffer_store_dword v4, off, s[0:3], s32 offset:536 ; 4-byte Folded Spill
	;; [unrolled: 2-line block ×4, first 2 shown]
	s_and_saveexec_b32 s8, s6
	s_cbranch_execz .LBB259_2453
; %bb.2452:                             ;   in Loop: Header=BB259_2079 Depth=1
	buffer_load_dword v4, off, s[0:3], s32 offset:536 ; 4-byte Folded Reload
	s_waitcnt vmcnt(0)
	v_cndmask_b32_e32 v4, 0, v4, vcc_lo
	buffer_store_dword v4, off, s[0:3], s32 offset:536 ; 4-byte Folded Spill
	buffer_load_dword v4, off, s[0:3], s32 offset:544 ; 4-byte Folded Reload
	s_waitcnt vmcnt(0)
	v_cndmask_b32_e64 v4, 0, v4, s4
	buffer_store_dword v4, off, s[0:3], s32 offset:544 ; 4-byte Folded Spill
	buffer_load_dword v4, off, s[0:3], s32 offset:528 ; 4-byte Folded Reload
	s_waitcnt vmcnt(0)
	v_cndmask_b32_e64 v4, 0, v4, s5
	;; [unrolled: 4-line block ×3, first 2 shown]
	buffer_store_dword v4, off, s[0:3], s32 offset:520 ; 4-byte Folded Spill
.LBB259_2453:                           ;   in Loop: Header=BB259_2079 Depth=1
	s_or_b32 exec_lo, exec_lo, s8
	flat_load_dword v4, v[16:17] offset:1408
	v_mov_b32_e32 v20, 0
	v_mov_b32_e32 v18, 0
	v_mov_b32_e32 v21, 0
	v_mov_b32_e32 v19, 0
	s_waitcnt vmcnt(0) lgkmcnt(0)
	v_cmp_ne_u16_sdwa s8, v4, v7 src0_sel:BYTE_0 src1_sel:DWORD
	s_and_saveexec_b32 s15, s8
	s_cbranch_execz .LBB259_2461
; %bb.2454:                             ;   in Loop: Header=BB259_2079 Depth=1
	v_bfrev_b32_e32 v18, 1
	v_mov_b32_e32 v19, 0
	v_cmp_ne_u16_sdwa s8, v4, v75 src0_sel:BYTE_0 src1_sel:DWORD
	s_and_saveexec_b32 s17, s8
	s_cbranch_execz .LBB259_2460
; %bb.2455:                             ;   in Loop: Header=BB259_2079 Depth=1
	v_mov_b32_e32 v18, 0x7f800001
	v_and_b32_e32 v8, 0x7f, v4
	v_mov_b32_e32 v19, 0
	s_mov_b32 s21, exec_lo
	v_cmpx_ne_u32_e32 0x7f, v8
	s_cbranch_execz .LBB259_2459
; %bb.2456:                             ;   in Loop: Header=BB259_2079 Depth=1
	v_and_b32_e32 v6, 7, v4
	v_lshrrev_b32_e32 v5, 3, v8
	s_mov_b32 s22, exec_lo
	v_cmpx_gt_u32_e32 8, v8
; %bb.2457:                             ;   in Loop: Header=BB259_2079 Depth=1
	v_ffbh_u32_e32 v5, v6
	v_min_u32_e32 v5, 32, v5
	v_subrev_nc_u32_e32 v8, 28, v5
	v_sub_nc_u32_e32 v5, 29, v5
	v_lshlrev_b64 v[18:19], v8, v[6:7]
	v_and_b32_e32 v6, 7, v18
; %bb.2458:                             ;   in Loop: Header=BB259_2079 Depth=1
	s_or_b32 exec_lo, exec_lo, s22
	v_lshlrev_b32_e32 v8, 24, v4
	v_lshlrev_b32_e32 v6, 20, v6
	v_lshl_add_u32 v5, v5, 23, 0x3c000000
	v_and_b32_e32 v8, 0x80000000, v8
	v_or3_b32 v6, v6, v8, v5
	v_mov_b32_e32 v19, v7
	v_mov_b32_e32 v18, v6
.LBB259_2459:                           ;   in Loop: Header=BB259_2079 Depth=1
	s_or_b32 exec_lo, exec_lo, s21
.LBB259_2460:                           ;   in Loop: Header=BB259_2079 Depth=1
	s_or_b32 exec_lo, exec_lo, s17
.LBB259_2461:                           ;   in Loop: Header=BB259_2079 Depth=1
	s_or_b32 exec_lo, exec_lo, s15
	v_cmp_ne_u16_sdwa s8, v4, v7 src0_sel:BYTE_1 src1_sel:DWORD
	s_and_saveexec_b32 s15, s8
	s_cbranch_execz .LBB259_2469
; %bb.2462:                             ;   in Loop: Header=BB259_2079 Depth=1
	v_mov_b32_e32 v8, v7
	v_mov_b32_e32 v21, v9
	v_cmp_ne_u16_sdwa s8, v4, v75 src0_sel:BYTE_1 src1_sel:DWORD
	v_mov_b32_e32 v20, v8
	s_and_saveexec_b32 s17, s8
	s_cbranch_execz .LBB259_2468
; %bb.2463:                             ;   in Loop: Header=BB259_2079 Depth=1
	v_and_b32_sdwa v5, v76, v4 dst_sel:DWORD dst_unused:UNUSED_PAD src0_sel:DWORD src1_sel:BYTE_1
	v_mov_b32_e32 v10, v7
	v_mov_b32_e32 v21, v11
	s_mov_b32 s21, exec_lo
	v_and_b32_e32 v8, 0x7f, v5
	v_mov_b32_e32 v20, v10
	v_cmpx_ne_u32_e32 0x7f, v8
	s_cbranch_execz .LBB259_2467
; %bb.2464:                             ;   in Loop: Header=BB259_2079 Depth=1
	v_and_b32_e32 v6, 7, v5
	v_lshrrev_b32_e32 v5, 3, v8
	s_mov_b32 s22, exec_lo
	v_cmpx_gt_u32_e32 8, v8
; %bb.2465:                             ;   in Loop: Header=BB259_2079 Depth=1
	v_ffbh_u32_e32 v5, v6
	v_min_u32_e32 v5, 32, v5
	v_subrev_nc_u32_e32 v8, 28, v5
	v_sub_nc_u32_e32 v5, 29, v5
	v_lshlrev_b64 v[20:21], v8, v[6:7]
	v_and_b32_e32 v6, 7, v20
; %bb.2466:                             ;   in Loop: Header=BB259_2079 Depth=1
	s_or_b32 exec_lo, exec_lo, s22
	v_lshlrev_b32_e32 v8, 16, v4
	v_lshlrev_b32_e32 v6, 20, v6
	v_lshl_add_u32 v5, v5, 23, 0x3c000000
	v_mov_b32_e32 v20, v7
	v_and_b32_e32 v8, 0x80000000, v8
	v_or3_b32 v21, v6, v8, v5
.LBB259_2467:                           ;   in Loop: Header=BB259_2079 Depth=1
	s_or_b32 exec_lo, exec_lo, s21
.LBB259_2468:                           ;   in Loop: Header=BB259_2079 Depth=1
	s_or_b32 exec_lo, exec_lo, s17
.LBB259_2469:                           ;   in Loop: Header=BB259_2079 Depth=1
	s_or_b32 exec_lo, exec_lo, s15
	v_mov_b32_e32 v22, 0
	v_mov_b32_e32 v24, 0
	v_and_b32_sdwa v5, v4, v77 dst_sel:DWORD dst_unused:UNUSED_PAD src0_sel:WORD_1 src1_sel:DWORD
	v_mov_b32_e32 v23, 0
	v_mov_b32_e32 v25, 0
	s_mov_b32 s15, exec_lo
	v_cmpx_ne_u16_e32 0, v5
	s_cbranch_execz .LBB259_2477
; %bb.2470:                             ;   in Loop: Header=BB259_2079 Depth=1
	v_bfrev_b32_e32 v24, 1
	v_mov_b32_e32 v25, 0
	s_mov_b32 s17, exec_lo
	v_cmpx_ne_u16_e32 0x80, v5
	s_cbranch_execz .LBB259_2476
; %bb.2471:                             ;   in Loop: Header=BB259_2079 Depth=1
	v_mov_b32_e32 v24, 0x7f800001
	v_bfe_u32 v8, v4, 16, 7
	v_mov_b32_e32 v25, 0
	s_mov_b32 s21, exec_lo
	v_cmpx_ne_u32_e32 0x7f, v8
	s_cbranch_execz .LBB259_2475
; %bb.2472:                             ;   in Loop: Header=BB259_2079 Depth=1
	v_and_b32_sdwa v6, v4, v78 dst_sel:DWORD dst_unused:UNUSED_PAD src0_sel:WORD_1 src1_sel:DWORD
	v_lshrrev_b32_e32 v5, 3, v8
	s_mov_b32 s22, exec_lo
	v_cmpx_gt_u32_e32 8, v8
; %bb.2473:                             ;   in Loop: Header=BB259_2079 Depth=1
	v_ffbh_u32_e32 v5, v6
	v_min_u32_e32 v5, 32, v5
	v_subrev_nc_u32_e32 v8, 28, v5
	v_sub_nc_u32_e32 v5, 29, v5
	v_lshlrev_b64 v[24:25], v8, v[6:7]
	v_and_b32_e32 v6, 7, v24
; %bb.2474:                             ;   in Loop: Header=BB259_2079 Depth=1
	s_or_b32 exec_lo, exec_lo, s22
	v_lshlrev_b32_sdwa v8, v79, v4 dst_sel:DWORD dst_unused:UNUSED_PAD src0_sel:DWORD src1_sel:WORD_1
	v_lshlrev_b32_e32 v6, 20, v6
	v_lshl_add_u32 v5, v5, 23, 0x3c000000
	v_and_b32_e32 v8, 0x80000000, v8
	v_or3_b32 v6, v6, v8, v5
	v_mov_b32_e32 v25, v7
	v_mov_b32_e32 v24, v6
.LBB259_2475:                           ;   in Loop: Header=BB259_2079 Depth=1
	s_or_b32 exec_lo, exec_lo, s21
.LBB259_2476:                           ;   in Loop: Header=BB259_2079 Depth=1
	s_or_b32 exec_lo, exec_lo, s17
.LBB259_2477:                           ;   in Loop: Header=BB259_2079 Depth=1
	s_or_b32 exec_lo, exec_lo, s15
	s_mov_b32 s15, exec_lo
	v_cmpx_lt_u32_e32 0xffffff, v4
	s_cbranch_execz .LBB259_2485
; %bb.2478:                             ;   in Loop: Header=BB259_2079 Depth=1
	v_mov_b32_e32 v8, v7
	v_mov_b32_e32 v23, v9
	v_cmp_ne_u32_sdwa s8, v4, v75 src0_sel:BYTE_3 src1_sel:DWORD
	v_mov_b32_e32 v22, v8
	s_and_saveexec_b32 s17, s8
	s_cbranch_execz .LBB259_2484
; %bb.2479:                             ;   in Loop: Header=BB259_2079 Depth=1
	v_mov_b32_e32 v10, v7
	v_mov_b32_e32 v23, v11
	v_bfe_u32 v8, v4, 24, 7
	s_mov_b32 s21, exec_lo
	v_mov_b32_e32 v22, v10
	v_cmpx_ne_u32_e32 0x7f, v8
	s_cbranch_execz .LBB259_2483
; %bb.2480:                             ;   in Loop: Header=BB259_2079 Depth=1
	v_and_b32_sdwa v6, v4, v78 dst_sel:DWORD dst_unused:UNUSED_PAD src0_sel:BYTE_3 src1_sel:DWORD
	v_lshrrev_b32_e32 v5, 3, v8
	s_mov_b32 s22, exec_lo
	v_cmpx_gt_u32_e32 8, v8
; %bb.2481:                             ;   in Loop: Header=BB259_2079 Depth=1
	v_ffbh_u32_e32 v5, v6
	v_min_u32_e32 v5, 32, v5
	v_subrev_nc_u32_e32 v8, 28, v5
	v_sub_nc_u32_e32 v5, 29, v5
	v_lshlrev_b64 v[22:23], v8, v[6:7]
	v_and_b32_e32 v6, 7, v22
; %bb.2482:                             ;   in Loop: Header=BB259_2079 Depth=1
	s_or_b32 exec_lo, exec_lo, s22
	v_lshlrev_b32_sdwa v4, v79, v4 dst_sel:DWORD dst_unused:UNUSED_PAD src0_sel:DWORD src1_sel:BYTE_3
	v_lshlrev_b32_e32 v6, 20, v6
	v_lshl_add_u32 v5, v5, 23, 0x3c000000
	v_mov_b32_e32 v22, v7
	v_and_b32_e32 v4, 0x80000000, v4
	v_or3_b32 v23, v6, v4, v5
.LBB259_2483:                           ;   in Loop: Header=BB259_2079 Depth=1
	s_or_b32 exec_lo, exec_lo, s21
.LBB259_2484:                           ;   in Loop: Header=BB259_2079 Depth=1
	s_or_b32 exec_lo, exec_lo, s17
.LBB259_2485:                           ;   in Loop: Header=BB259_2079 Depth=1
	s_or_b32 exec_lo, exec_lo, s15
	v_or_b32_e32 v4, v21, v19
	v_or_b32_e32 v5, v20, v18
	;; [unrolled: 1-line block ×4, first 2 shown]
	v_mul_f32_e32 v4, v93, v4
	buffer_store_dword v4, off, s[0:3], s32 offset:576 ; 4-byte Folded Spill
	v_mul_f32_e32 v4, v73, v5
	buffer_store_dword v4, off, s[0:3], s32 offset:568 ; 4-byte Folded Spill
	;; [unrolled: 2-line block ×4, first 2 shown]
	s_and_saveexec_b32 s8, s6
	s_cbranch_execz .LBB259_2487
; %bb.2486:                             ;   in Loop: Header=BB259_2079 Depth=1
	buffer_load_dword v4, off, s[0:3], s32 offset:568 ; 4-byte Folded Reload
	s_waitcnt vmcnt(0)
	v_cndmask_b32_e32 v4, 0, v4, vcc_lo
	buffer_store_dword v4, off, s[0:3], s32 offset:568 ; 4-byte Folded Spill
	buffer_load_dword v4, off, s[0:3], s32 offset:576 ; 4-byte Folded Reload
	s_waitcnt vmcnt(0)
	v_cndmask_b32_e64 v4, 0, v4, s4
	buffer_store_dword v4, off, s[0:3], s32 offset:576 ; 4-byte Folded Spill
	buffer_load_dword v4, off, s[0:3], s32 offset:560 ; 4-byte Folded Reload
	s_waitcnt vmcnt(0)
	v_cndmask_b32_e64 v4, 0, v4, s5
	;; [unrolled: 4-line block ×3, first 2 shown]
	buffer_store_dword v4, off, s[0:3], s32 offset:552 ; 4-byte Folded Spill
.LBB259_2487:                           ;   in Loop: Header=BB259_2079 Depth=1
	s_or_b32 exec_lo, exec_lo, s8
	flat_load_dword v4, v[16:17] offset:1536
	v_mov_b32_e32 v20, 0
	v_mov_b32_e32 v18, 0
	;; [unrolled: 1-line block ×4, first 2 shown]
	s_waitcnt vmcnt(0) lgkmcnt(0)
	v_cmp_ne_u16_sdwa s8, v4, v7 src0_sel:BYTE_0 src1_sel:DWORD
	s_and_saveexec_b32 s15, s8
	s_cbranch_execz .LBB259_2495
; %bb.2488:                             ;   in Loop: Header=BB259_2079 Depth=1
	v_bfrev_b32_e32 v18, 1
	v_mov_b32_e32 v19, 0
	v_cmp_ne_u16_sdwa s8, v4, v75 src0_sel:BYTE_0 src1_sel:DWORD
	s_and_saveexec_b32 s17, s8
	s_cbranch_execz .LBB259_2494
; %bb.2489:                             ;   in Loop: Header=BB259_2079 Depth=1
	v_mov_b32_e32 v18, 0x7f800001
	v_and_b32_e32 v8, 0x7f, v4
	v_mov_b32_e32 v19, 0
	s_mov_b32 s21, exec_lo
	v_cmpx_ne_u32_e32 0x7f, v8
	s_cbranch_execz .LBB259_2493
; %bb.2490:                             ;   in Loop: Header=BB259_2079 Depth=1
	v_and_b32_e32 v6, 7, v4
	v_lshrrev_b32_e32 v5, 3, v8
	s_mov_b32 s22, exec_lo
	v_cmpx_gt_u32_e32 8, v8
; %bb.2491:                             ;   in Loop: Header=BB259_2079 Depth=1
	v_ffbh_u32_e32 v5, v6
	v_min_u32_e32 v5, 32, v5
	v_subrev_nc_u32_e32 v8, 28, v5
	v_sub_nc_u32_e32 v5, 29, v5
	v_lshlrev_b64 v[18:19], v8, v[6:7]
	v_and_b32_e32 v6, 7, v18
; %bb.2492:                             ;   in Loop: Header=BB259_2079 Depth=1
	s_or_b32 exec_lo, exec_lo, s22
	v_lshlrev_b32_e32 v8, 24, v4
	v_lshlrev_b32_e32 v6, 20, v6
	v_lshl_add_u32 v5, v5, 23, 0x3c000000
	v_and_b32_e32 v8, 0x80000000, v8
	v_or3_b32 v6, v6, v8, v5
	v_mov_b32_e32 v19, v7
	v_mov_b32_e32 v18, v6
.LBB259_2493:                           ;   in Loop: Header=BB259_2079 Depth=1
	s_or_b32 exec_lo, exec_lo, s21
.LBB259_2494:                           ;   in Loop: Header=BB259_2079 Depth=1
	s_or_b32 exec_lo, exec_lo, s17
.LBB259_2495:                           ;   in Loop: Header=BB259_2079 Depth=1
	s_or_b32 exec_lo, exec_lo, s15
	v_cmp_ne_u16_sdwa s8, v4, v7 src0_sel:BYTE_1 src1_sel:DWORD
	s_and_saveexec_b32 s15, s8
	s_cbranch_execz .LBB259_2503
; %bb.2496:                             ;   in Loop: Header=BB259_2079 Depth=1
	v_mov_b32_e32 v8, v7
	v_mov_b32_e32 v21, v9
	v_cmp_ne_u16_sdwa s8, v4, v75 src0_sel:BYTE_1 src1_sel:DWORD
	v_mov_b32_e32 v20, v8
	s_and_saveexec_b32 s17, s8
	s_cbranch_execz .LBB259_2502
; %bb.2497:                             ;   in Loop: Header=BB259_2079 Depth=1
	v_and_b32_sdwa v5, v76, v4 dst_sel:DWORD dst_unused:UNUSED_PAD src0_sel:DWORD src1_sel:BYTE_1
	v_mov_b32_e32 v10, v7
	v_mov_b32_e32 v21, v11
	s_mov_b32 s21, exec_lo
	v_and_b32_e32 v8, 0x7f, v5
	v_mov_b32_e32 v20, v10
	v_cmpx_ne_u32_e32 0x7f, v8
	s_cbranch_execz .LBB259_2501
; %bb.2498:                             ;   in Loop: Header=BB259_2079 Depth=1
	v_and_b32_e32 v6, 7, v5
	v_lshrrev_b32_e32 v5, 3, v8
	s_mov_b32 s22, exec_lo
	v_cmpx_gt_u32_e32 8, v8
; %bb.2499:                             ;   in Loop: Header=BB259_2079 Depth=1
	v_ffbh_u32_e32 v5, v6
	v_min_u32_e32 v5, 32, v5
	v_subrev_nc_u32_e32 v8, 28, v5
	v_sub_nc_u32_e32 v5, 29, v5
	v_lshlrev_b64 v[20:21], v8, v[6:7]
	v_and_b32_e32 v6, 7, v20
; %bb.2500:                             ;   in Loop: Header=BB259_2079 Depth=1
	s_or_b32 exec_lo, exec_lo, s22
	v_lshlrev_b32_e32 v8, 16, v4
	v_lshlrev_b32_e32 v6, 20, v6
	v_lshl_add_u32 v5, v5, 23, 0x3c000000
	v_mov_b32_e32 v20, v7
	v_and_b32_e32 v8, 0x80000000, v8
	v_or3_b32 v21, v6, v8, v5
.LBB259_2501:                           ;   in Loop: Header=BB259_2079 Depth=1
	s_or_b32 exec_lo, exec_lo, s21
.LBB259_2502:                           ;   in Loop: Header=BB259_2079 Depth=1
	s_or_b32 exec_lo, exec_lo, s17
.LBB259_2503:                           ;   in Loop: Header=BB259_2079 Depth=1
	s_or_b32 exec_lo, exec_lo, s15
	v_mov_b32_e32 v22, 0
	v_mov_b32_e32 v24, 0
	v_and_b32_sdwa v5, v4, v77 dst_sel:DWORD dst_unused:UNUSED_PAD src0_sel:WORD_1 src1_sel:DWORD
	v_mov_b32_e32 v23, 0
	v_mov_b32_e32 v25, 0
	s_mov_b32 s15, exec_lo
	v_cmpx_ne_u16_e32 0, v5
	s_cbranch_execz .LBB259_2511
; %bb.2504:                             ;   in Loop: Header=BB259_2079 Depth=1
	v_bfrev_b32_e32 v24, 1
	v_mov_b32_e32 v25, 0
	s_mov_b32 s17, exec_lo
	v_cmpx_ne_u16_e32 0x80, v5
	s_cbranch_execz .LBB259_2510
; %bb.2505:                             ;   in Loop: Header=BB259_2079 Depth=1
	v_mov_b32_e32 v24, 0x7f800001
	v_bfe_u32 v8, v4, 16, 7
	v_mov_b32_e32 v25, 0
	s_mov_b32 s21, exec_lo
	v_cmpx_ne_u32_e32 0x7f, v8
	s_cbranch_execz .LBB259_2509
; %bb.2506:                             ;   in Loop: Header=BB259_2079 Depth=1
	v_and_b32_sdwa v6, v4, v78 dst_sel:DWORD dst_unused:UNUSED_PAD src0_sel:WORD_1 src1_sel:DWORD
	v_lshrrev_b32_e32 v5, 3, v8
	s_mov_b32 s22, exec_lo
	v_cmpx_gt_u32_e32 8, v8
; %bb.2507:                             ;   in Loop: Header=BB259_2079 Depth=1
	v_ffbh_u32_e32 v5, v6
	v_min_u32_e32 v5, 32, v5
	v_subrev_nc_u32_e32 v8, 28, v5
	v_sub_nc_u32_e32 v5, 29, v5
	v_lshlrev_b64 v[24:25], v8, v[6:7]
	v_and_b32_e32 v6, 7, v24
; %bb.2508:                             ;   in Loop: Header=BB259_2079 Depth=1
	s_or_b32 exec_lo, exec_lo, s22
	v_lshlrev_b32_sdwa v8, v79, v4 dst_sel:DWORD dst_unused:UNUSED_PAD src0_sel:DWORD src1_sel:WORD_1
	v_lshlrev_b32_e32 v6, 20, v6
	v_lshl_add_u32 v5, v5, 23, 0x3c000000
	v_and_b32_e32 v8, 0x80000000, v8
	v_or3_b32 v6, v6, v8, v5
	v_mov_b32_e32 v25, v7
	v_mov_b32_e32 v24, v6
.LBB259_2509:                           ;   in Loop: Header=BB259_2079 Depth=1
	s_or_b32 exec_lo, exec_lo, s21
.LBB259_2510:                           ;   in Loop: Header=BB259_2079 Depth=1
	s_or_b32 exec_lo, exec_lo, s17
.LBB259_2511:                           ;   in Loop: Header=BB259_2079 Depth=1
	s_or_b32 exec_lo, exec_lo, s15
	s_mov_b32 s15, exec_lo
	v_cmpx_lt_u32_e32 0xffffff, v4
	s_cbranch_execz .LBB259_2519
; %bb.2512:                             ;   in Loop: Header=BB259_2079 Depth=1
	v_mov_b32_e32 v8, v7
	v_mov_b32_e32 v23, v9
	v_cmp_ne_u32_sdwa s8, v4, v75 src0_sel:BYTE_3 src1_sel:DWORD
	v_mov_b32_e32 v22, v8
	s_and_saveexec_b32 s17, s8
	s_cbranch_execz .LBB259_2518
; %bb.2513:                             ;   in Loop: Header=BB259_2079 Depth=1
	v_mov_b32_e32 v10, v7
	v_mov_b32_e32 v23, v11
	v_bfe_u32 v8, v4, 24, 7
	s_mov_b32 s21, exec_lo
	v_mov_b32_e32 v22, v10
	v_cmpx_ne_u32_e32 0x7f, v8
	s_cbranch_execz .LBB259_2517
; %bb.2514:                             ;   in Loop: Header=BB259_2079 Depth=1
	v_and_b32_sdwa v6, v4, v78 dst_sel:DWORD dst_unused:UNUSED_PAD src0_sel:BYTE_3 src1_sel:DWORD
	v_lshrrev_b32_e32 v5, 3, v8
	s_mov_b32 s22, exec_lo
	v_cmpx_gt_u32_e32 8, v8
; %bb.2515:                             ;   in Loop: Header=BB259_2079 Depth=1
	v_ffbh_u32_e32 v5, v6
	v_min_u32_e32 v5, 32, v5
	v_subrev_nc_u32_e32 v8, 28, v5
	v_sub_nc_u32_e32 v5, 29, v5
	v_lshlrev_b64 v[22:23], v8, v[6:7]
	v_and_b32_e32 v6, 7, v22
; %bb.2516:                             ;   in Loop: Header=BB259_2079 Depth=1
	s_or_b32 exec_lo, exec_lo, s22
	v_lshlrev_b32_sdwa v4, v79, v4 dst_sel:DWORD dst_unused:UNUSED_PAD src0_sel:DWORD src1_sel:BYTE_3
	v_lshlrev_b32_e32 v6, 20, v6
	v_lshl_add_u32 v5, v5, 23, 0x3c000000
	v_mov_b32_e32 v22, v7
	v_and_b32_e32 v4, 0x80000000, v4
	v_or3_b32 v23, v6, v4, v5
.LBB259_2517:                           ;   in Loop: Header=BB259_2079 Depth=1
	s_or_b32 exec_lo, exec_lo, s21
.LBB259_2518:                           ;   in Loop: Header=BB259_2079 Depth=1
	s_or_b32 exec_lo, exec_lo, s17
.LBB259_2519:                           ;   in Loop: Header=BB259_2079 Depth=1
	s_or_b32 exec_lo, exec_lo, s15
	v_or_b32_e32 v4, v21, v19
	v_or_b32_e32 v5, v20, v18
	;; [unrolled: 1-line block ×4, first 2 shown]
	v_mul_f32_e32 v4, v93, v4
	buffer_store_dword v4, off, s[0:3], s32 offset:608 ; 4-byte Folded Spill
	v_mul_f32_e32 v4, v73, v5
	buffer_store_dword v4, off, s[0:3], s32 offset:600 ; 4-byte Folded Spill
	;; [unrolled: 2-line block ×4, first 2 shown]
	s_and_saveexec_b32 s8, s6
	s_cbranch_execz .LBB259_2521
; %bb.2520:                             ;   in Loop: Header=BB259_2079 Depth=1
	buffer_load_dword v4, off, s[0:3], s32 offset:600 ; 4-byte Folded Reload
	s_waitcnt vmcnt(0)
	v_cndmask_b32_e32 v4, 0, v4, vcc_lo
	buffer_store_dword v4, off, s[0:3], s32 offset:600 ; 4-byte Folded Spill
	buffer_load_dword v4, off, s[0:3], s32 offset:608 ; 4-byte Folded Reload
	s_waitcnt vmcnt(0)
	v_cndmask_b32_e64 v4, 0, v4, s4
	buffer_store_dword v4, off, s[0:3], s32 offset:608 ; 4-byte Folded Spill
	buffer_load_dword v4, off, s[0:3], s32 offset:592 ; 4-byte Folded Reload
	s_waitcnt vmcnt(0)
	v_cndmask_b32_e64 v4, 0, v4, s5
	;; [unrolled: 4-line block ×3, first 2 shown]
	buffer_store_dword v4, off, s[0:3], s32 offset:584 ; 4-byte Folded Spill
.LBB259_2521:                           ;   in Loop: Header=BB259_2079 Depth=1
	s_or_b32 exec_lo, exec_lo, s8
	flat_load_dword v4, v[16:17] offset:1664
	v_mov_b32_e32 v20, 0
	v_mov_b32_e32 v18, 0
	;; [unrolled: 1-line block ×4, first 2 shown]
	s_waitcnt vmcnt(0) lgkmcnt(0)
	v_cmp_ne_u16_sdwa s8, v4, v7 src0_sel:BYTE_0 src1_sel:DWORD
	s_and_saveexec_b32 s15, s8
	s_cbranch_execz .LBB259_2529
; %bb.2522:                             ;   in Loop: Header=BB259_2079 Depth=1
	v_bfrev_b32_e32 v18, 1
	v_mov_b32_e32 v19, 0
	v_cmp_ne_u16_sdwa s8, v4, v75 src0_sel:BYTE_0 src1_sel:DWORD
	s_and_saveexec_b32 s17, s8
	s_cbranch_execz .LBB259_2528
; %bb.2523:                             ;   in Loop: Header=BB259_2079 Depth=1
	v_mov_b32_e32 v18, 0x7f800001
	v_and_b32_e32 v8, 0x7f, v4
	v_mov_b32_e32 v19, 0
	s_mov_b32 s21, exec_lo
	v_cmpx_ne_u32_e32 0x7f, v8
	s_cbranch_execz .LBB259_2527
; %bb.2524:                             ;   in Loop: Header=BB259_2079 Depth=1
	v_and_b32_e32 v6, 7, v4
	v_lshrrev_b32_e32 v5, 3, v8
	s_mov_b32 s22, exec_lo
	v_cmpx_gt_u32_e32 8, v8
; %bb.2525:                             ;   in Loop: Header=BB259_2079 Depth=1
	v_ffbh_u32_e32 v5, v6
	v_min_u32_e32 v5, 32, v5
	v_subrev_nc_u32_e32 v8, 28, v5
	v_sub_nc_u32_e32 v5, 29, v5
	v_lshlrev_b64 v[18:19], v8, v[6:7]
	v_and_b32_e32 v6, 7, v18
; %bb.2526:                             ;   in Loop: Header=BB259_2079 Depth=1
	s_or_b32 exec_lo, exec_lo, s22
	v_lshlrev_b32_e32 v8, 24, v4
	v_lshlrev_b32_e32 v6, 20, v6
	v_lshl_add_u32 v5, v5, 23, 0x3c000000
	v_and_b32_e32 v8, 0x80000000, v8
	v_or3_b32 v6, v6, v8, v5
	v_mov_b32_e32 v19, v7
	v_mov_b32_e32 v18, v6
.LBB259_2527:                           ;   in Loop: Header=BB259_2079 Depth=1
	s_or_b32 exec_lo, exec_lo, s21
.LBB259_2528:                           ;   in Loop: Header=BB259_2079 Depth=1
	s_or_b32 exec_lo, exec_lo, s17
.LBB259_2529:                           ;   in Loop: Header=BB259_2079 Depth=1
	s_or_b32 exec_lo, exec_lo, s15
	v_cmp_ne_u16_sdwa s8, v4, v7 src0_sel:BYTE_1 src1_sel:DWORD
	s_and_saveexec_b32 s15, s8
	s_cbranch_execz .LBB259_2537
; %bb.2530:                             ;   in Loop: Header=BB259_2079 Depth=1
	v_mov_b32_e32 v8, v7
	v_mov_b32_e32 v21, v9
	v_cmp_ne_u16_sdwa s8, v4, v75 src0_sel:BYTE_1 src1_sel:DWORD
	v_mov_b32_e32 v20, v8
	s_and_saveexec_b32 s17, s8
	s_cbranch_execz .LBB259_2536
; %bb.2531:                             ;   in Loop: Header=BB259_2079 Depth=1
	v_and_b32_sdwa v5, v76, v4 dst_sel:DWORD dst_unused:UNUSED_PAD src0_sel:DWORD src1_sel:BYTE_1
	v_mov_b32_e32 v10, v7
	v_mov_b32_e32 v21, v11
	s_mov_b32 s21, exec_lo
	v_and_b32_e32 v8, 0x7f, v5
	v_mov_b32_e32 v20, v10
	v_cmpx_ne_u32_e32 0x7f, v8
	s_cbranch_execz .LBB259_2535
; %bb.2532:                             ;   in Loop: Header=BB259_2079 Depth=1
	v_and_b32_e32 v6, 7, v5
	v_lshrrev_b32_e32 v5, 3, v8
	s_mov_b32 s22, exec_lo
	v_cmpx_gt_u32_e32 8, v8
; %bb.2533:                             ;   in Loop: Header=BB259_2079 Depth=1
	v_ffbh_u32_e32 v5, v6
	v_min_u32_e32 v5, 32, v5
	v_subrev_nc_u32_e32 v8, 28, v5
	v_sub_nc_u32_e32 v5, 29, v5
	v_lshlrev_b64 v[20:21], v8, v[6:7]
	v_and_b32_e32 v6, 7, v20
; %bb.2534:                             ;   in Loop: Header=BB259_2079 Depth=1
	s_or_b32 exec_lo, exec_lo, s22
	v_lshlrev_b32_e32 v8, 16, v4
	v_lshlrev_b32_e32 v6, 20, v6
	v_lshl_add_u32 v5, v5, 23, 0x3c000000
	v_mov_b32_e32 v20, v7
	v_and_b32_e32 v8, 0x80000000, v8
	v_or3_b32 v21, v6, v8, v5
.LBB259_2535:                           ;   in Loop: Header=BB259_2079 Depth=1
	s_or_b32 exec_lo, exec_lo, s21
.LBB259_2536:                           ;   in Loop: Header=BB259_2079 Depth=1
	s_or_b32 exec_lo, exec_lo, s17
.LBB259_2537:                           ;   in Loop: Header=BB259_2079 Depth=1
	s_or_b32 exec_lo, exec_lo, s15
	v_mov_b32_e32 v22, 0
	v_mov_b32_e32 v24, 0
	v_and_b32_sdwa v5, v4, v77 dst_sel:DWORD dst_unused:UNUSED_PAD src0_sel:WORD_1 src1_sel:DWORD
	v_mov_b32_e32 v23, 0
	v_mov_b32_e32 v25, 0
	s_mov_b32 s15, exec_lo
	v_cmpx_ne_u16_e32 0, v5
	s_cbranch_execz .LBB259_2545
; %bb.2538:                             ;   in Loop: Header=BB259_2079 Depth=1
	v_bfrev_b32_e32 v24, 1
	v_mov_b32_e32 v25, 0
	s_mov_b32 s17, exec_lo
	v_cmpx_ne_u16_e32 0x80, v5
	s_cbranch_execz .LBB259_2544
; %bb.2539:                             ;   in Loop: Header=BB259_2079 Depth=1
	v_mov_b32_e32 v24, 0x7f800001
	v_bfe_u32 v8, v4, 16, 7
	v_mov_b32_e32 v25, 0
	s_mov_b32 s21, exec_lo
	v_cmpx_ne_u32_e32 0x7f, v8
	s_cbranch_execz .LBB259_2543
; %bb.2540:                             ;   in Loop: Header=BB259_2079 Depth=1
	v_and_b32_sdwa v6, v4, v78 dst_sel:DWORD dst_unused:UNUSED_PAD src0_sel:WORD_1 src1_sel:DWORD
	v_lshrrev_b32_e32 v5, 3, v8
	s_mov_b32 s22, exec_lo
	v_cmpx_gt_u32_e32 8, v8
; %bb.2541:                             ;   in Loop: Header=BB259_2079 Depth=1
	v_ffbh_u32_e32 v5, v6
	v_min_u32_e32 v5, 32, v5
	v_subrev_nc_u32_e32 v8, 28, v5
	v_sub_nc_u32_e32 v5, 29, v5
	v_lshlrev_b64 v[24:25], v8, v[6:7]
	v_and_b32_e32 v6, 7, v24
; %bb.2542:                             ;   in Loop: Header=BB259_2079 Depth=1
	s_or_b32 exec_lo, exec_lo, s22
	v_lshlrev_b32_sdwa v8, v79, v4 dst_sel:DWORD dst_unused:UNUSED_PAD src0_sel:DWORD src1_sel:WORD_1
	v_lshlrev_b32_e32 v6, 20, v6
	v_lshl_add_u32 v5, v5, 23, 0x3c000000
	v_and_b32_e32 v8, 0x80000000, v8
	v_or3_b32 v6, v6, v8, v5
	v_mov_b32_e32 v25, v7
	v_mov_b32_e32 v24, v6
.LBB259_2543:                           ;   in Loop: Header=BB259_2079 Depth=1
	s_or_b32 exec_lo, exec_lo, s21
.LBB259_2544:                           ;   in Loop: Header=BB259_2079 Depth=1
	s_or_b32 exec_lo, exec_lo, s17
.LBB259_2545:                           ;   in Loop: Header=BB259_2079 Depth=1
	s_or_b32 exec_lo, exec_lo, s15
	s_mov_b32 s15, exec_lo
	v_cmpx_lt_u32_e32 0xffffff, v4
	s_cbranch_execz .LBB259_2553
; %bb.2546:                             ;   in Loop: Header=BB259_2079 Depth=1
	v_mov_b32_e32 v8, v7
	v_mov_b32_e32 v23, v9
	v_cmp_ne_u32_sdwa s8, v4, v75 src0_sel:BYTE_3 src1_sel:DWORD
	v_mov_b32_e32 v22, v8
	s_and_saveexec_b32 s17, s8
	s_cbranch_execz .LBB259_2552
; %bb.2547:                             ;   in Loop: Header=BB259_2079 Depth=1
	v_mov_b32_e32 v10, v7
	v_mov_b32_e32 v23, v11
	v_bfe_u32 v8, v4, 24, 7
	s_mov_b32 s21, exec_lo
	v_mov_b32_e32 v22, v10
	v_cmpx_ne_u32_e32 0x7f, v8
	s_cbranch_execz .LBB259_2551
; %bb.2548:                             ;   in Loop: Header=BB259_2079 Depth=1
	v_and_b32_sdwa v6, v4, v78 dst_sel:DWORD dst_unused:UNUSED_PAD src0_sel:BYTE_3 src1_sel:DWORD
	v_lshrrev_b32_e32 v5, 3, v8
	s_mov_b32 s22, exec_lo
	v_cmpx_gt_u32_e32 8, v8
; %bb.2549:                             ;   in Loop: Header=BB259_2079 Depth=1
	v_ffbh_u32_e32 v5, v6
	v_min_u32_e32 v5, 32, v5
	v_subrev_nc_u32_e32 v8, 28, v5
	v_sub_nc_u32_e32 v5, 29, v5
	v_lshlrev_b64 v[22:23], v8, v[6:7]
	v_and_b32_e32 v6, 7, v22
; %bb.2550:                             ;   in Loop: Header=BB259_2079 Depth=1
	s_or_b32 exec_lo, exec_lo, s22
	v_lshlrev_b32_sdwa v4, v79, v4 dst_sel:DWORD dst_unused:UNUSED_PAD src0_sel:DWORD src1_sel:BYTE_3
	v_lshlrev_b32_e32 v6, 20, v6
	v_lshl_add_u32 v5, v5, 23, 0x3c000000
	v_mov_b32_e32 v22, v7
	v_and_b32_e32 v4, 0x80000000, v4
	v_or3_b32 v23, v6, v4, v5
.LBB259_2551:                           ;   in Loop: Header=BB259_2079 Depth=1
	s_or_b32 exec_lo, exec_lo, s21
.LBB259_2552:                           ;   in Loop: Header=BB259_2079 Depth=1
	s_or_b32 exec_lo, exec_lo, s17
.LBB259_2553:                           ;   in Loop: Header=BB259_2079 Depth=1
	s_or_b32 exec_lo, exec_lo, s15
	v_or_b32_e32 v4, v21, v19
	v_or_b32_e32 v5, v20, v18
	;; [unrolled: 1-line block ×4, first 2 shown]
	v_mul_f32_e32 v4, v93, v4
	buffer_store_dword v4, off, s[0:3], s32 offset:640 ; 4-byte Folded Spill
	v_mul_f32_e32 v4, v73, v5
	buffer_store_dword v4, off, s[0:3], s32 offset:632 ; 4-byte Folded Spill
	;; [unrolled: 2-line block ×4, first 2 shown]
	s_and_saveexec_b32 s8, s6
	s_cbranch_execz .LBB259_2555
; %bb.2554:                             ;   in Loop: Header=BB259_2079 Depth=1
	buffer_load_dword v4, off, s[0:3], s32 offset:632 ; 4-byte Folded Reload
	s_waitcnt vmcnt(0)
	v_cndmask_b32_e32 v4, 0, v4, vcc_lo
	buffer_store_dword v4, off, s[0:3], s32 offset:632 ; 4-byte Folded Spill
	buffer_load_dword v4, off, s[0:3], s32 offset:640 ; 4-byte Folded Reload
	s_waitcnt vmcnt(0)
	v_cndmask_b32_e64 v4, 0, v4, s4
	buffer_store_dword v4, off, s[0:3], s32 offset:640 ; 4-byte Folded Spill
	buffer_load_dword v4, off, s[0:3], s32 offset:624 ; 4-byte Folded Reload
	s_waitcnt vmcnt(0)
	v_cndmask_b32_e64 v4, 0, v4, s5
	;; [unrolled: 4-line block ×3, first 2 shown]
	buffer_store_dword v4, off, s[0:3], s32 offset:616 ; 4-byte Folded Spill
.LBB259_2555:                           ;   in Loop: Header=BB259_2079 Depth=1
	s_or_b32 exec_lo, exec_lo, s8
	flat_load_dword v4, v[16:17] offset:1792
	v_mov_b32_e32 v20, 0
	v_mov_b32_e32 v18, 0
	;; [unrolled: 1-line block ×4, first 2 shown]
	s_waitcnt vmcnt(0) lgkmcnt(0)
	v_cmp_ne_u16_sdwa s8, v4, v7 src0_sel:BYTE_0 src1_sel:DWORD
	s_and_saveexec_b32 s15, s8
	s_cbranch_execz .LBB259_2563
; %bb.2556:                             ;   in Loop: Header=BB259_2079 Depth=1
	v_bfrev_b32_e32 v18, 1
	v_mov_b32_e32 v19, 0
	v_cmp_ne_u16_sdwa s8, v4, v75 src0_sel:BYTE_0 src1_sel:DWORD
	s_and_saveexec_b32 s17, s8
	s_cbranch_execz .LBB259_2562
; %bb.2557:                             ;   in Loop: Header=BB259_2079 Depth=1
	v_mov_b32_e32 v18, 0x7f800001
	v_and_b32_e32 v8, 0x7f, v4
	v_mov_b32_e32 v19, 0
	s_mov_b32 s21, exec_lo
	v_cmpx_ne_u32_e32 0x7f, v8
	s_cbranch_execz .LBB259_2561
; %bb.2558:                             ;   in Loop: Header=BB259_2079 Depth=1
	v_and_b32_e32 v6, 7, v4
	v_lshrrev_b32_e32 v5, 3, v8
	s_mov_b32 s22, exec_lo
	v_cmpx_gt_u32_e32 8, v8
; %bb.2559:                             ;   in Loop: Header=BB259_2079 Depth=1
	v_ffbh_u32_e32 v5, v6
	v_min_u32_e32 v5, 32, v5
	v_subrev_nc_u32_e32 v8, 28, v5
	v_sub_nc_u32_e32 v5, 29, v5
	v_lshlrev_b64 v[18:19], v8, v[6:7]
	v_and_b32_e32 v6, 7, v18
; %bb.2560:                             ;   in Loop: Header=BB259_2079 Depth=1
	s_or_b32 exec_lo, exec_lo, s22
	v_lshlrev_b32_e32 v8, 24, v4
	v_lshlrev_b32_e32 v6, 20, v6
	v_lshl_add_u32 v5, v5, 23, 0x3c000000
	v_and_b32_e32 v8, 0x80000000, v8
	v_or3_b32 v6, v6, v8, v5
	v_mov_b32_e32 v19, v7
	v_mov_b32_e32 v18, v6
.LBB259_2561:                           ;   in Loop: Header=BB259_2079 Depth=1
	s_or_b32 exec_lo, exec_lo, s21
.LBB259_2562:                           ;   in Loop: Header=BB259_2079 Depth=1
	s_or_b32 exec_lo, exec_lo, s17
.LBB259_2563:                           ;   in Loop: Header=BB259_2079 Depth=1
	s_or_b32 exec_lo, exec_lo, s15
	v_cmp_ne_u16_sdwa s8, v4, v7 src0_sel:BYTE_1 src1_sel:DWORD
	s_and_saveexec_b32 s15, s8
	s_cbranch_execz .LBB259_2571
; %bb.2564:                             ;   in Loop: Header=BB259_2079 Depth=1
	v_mov_b32_e32 v8, v7
	v_mov_b32_e32 v21, v9
	v_cmp_ne_u16_sdwa s8, v4, v75 src0_sel:BYTE_1 src1_sel:DWORD
	v_mov_b32_e32 v20, v8
	s_and_saveexec_b32 s17, s8
	s_cbranch_execz .LBB259_2570
; %bb.2565:                             ;   in Loop: Header=BB259_2079 Depth=1
	v_and_b32_sdwa v5, v76, v4 dst_sel:DWORD dst_unused:UNUSED_PAD src0_sel:DWORD src1_sel:BYTE_1
	v_mov_b32_e32 v10, v7
	v_mov_b32_e32 v21, v11
	s_mov_b32 s21, exec_lo
	v_and_b32_e32 v8, 0x7f, v5
	v_mov_b32_e32 v20, v10
	v_cmpx_ne_u32_e32 0x7f, v8
	s_cbranch_execz .LBB259_2569
; %bb.2566:                             ;   in Loop: Header=BB259_2079 Depth=1
	v_and_b32_e32 v6, 7, v5
	v_lshrrev_b32_e32 v5, 3, v8
	s_mov_b32 s22, exec_lo
	v_cmpx_gt_u32_e32 8, v8
; %bb.2567:                             ;   in Loop: Header=BB259_2079 Depth=1
	v_ffbh_u32_e32 v5, v6
	v_min_u32_e32 v5, 32, v5
	v_subrev_nc_u32_e32 v8, 28, v5
	v_sub_nc_u32_e32 v5, 29, v5
	v_lshlrev_b64 v[20:21], v8, v[6:7]
	v_and_b32_e32 v6, 7, v20
; %bb.2568:                             ;   in Loop: Header=BB259_2079 Depth=1
	s_or_b32 exec_lo, exec_lo, s22
	v_lshlrev_b32_e32 v8, 16, v4
	v_lshlrev_b32_e32 v6, 20, v6
	v_lshl_add_u32 v5, v5, 23, 0x3c000000
	v_mov_b32_e32 v20, v7
	v_and_b32_e32 v8, 0x80000000, v8
	v_or3_b32 v21, v6, v8, v5
.LBB259_2569:                           ;   in Loop: Header=BB259_2079 Depth=1
	s_or_b32 exec_lo, exec_lo, s21
.LBB259_2570:                           ;   in Loop: Header=BB259_2079 Depth=1
	s_or_b32 exec_lo, exec_lo, s17
.LBB259_2571:                           ;   in Loop: Header=BB259_2079 Depth=1
	s_or_b32 exec_lo, exec_lo, s15
	v_mov_b32_e32 v22, 0
	v_mov_b32_e32 v24, 0
	v_and_b32_sdwa v5, v4, v77 dst_sel:DWORD dst_unused:UNUSED_PAD src0_sel:WORD_1 src1_sel:DWORD
	v_mov_b32_e32 v23, 0
	v_mov_b32_e32 v25, 0
	s_mov_b32 s15, exec_lo
	v_cmpx_ne_u16_e32 0, v5
	s_cbranch_execz .LBB259_2579
; %bb.2572:                             ;   in Loop: Header=BB259_2079 Depth=1
	v_bfrev_b32_e32 v24, 1
	v_mov_b32_e32 v25, 0
	s_mov_b32 s17, exec_lo
	v_cmpx_ne_u16_e32 0x80, v5
	s_cbranch_execz .LBB259_2578
; %bb.2573:                             ;   in Loop: Header=BB259_2079 Depth=1
	v_mov_b32_e32 v24, 0x7f800001
	v_bfe_u32 v8, v4, 16, 7
	v_mov_b32_e32 v25, 0
	s_mov_b32 s21, exec_lo
	v_cmpx_ne_u32_e32 0x7f, v8
	s_cbranch_execz .LBB259_2577
; %bb.2574:                             ;   in Loop: Header=BB259_2079 Depth=1
	v_and_b32_sdwa v6, v4, v78 dst_sel:DWORD dst_unused:UNUSED_PAD src0_sel:WORD_1 src1_sel:DWORD
	v_lshrrev_b32_e32 v5, 3, v8
	s_mov_b32 s22, exec_lo
	v_cmpx_gt_u32_e32 8, v8
; %bb.2575:                             ;   in Loop: Header=BB259_2079 Depth=1
	v_ffbh_u32_e32 v5, v6
	v_min_u32_e32 v5, 32, v5
	v_subrev_nc_u32_e32 v8, 28, v5
	v_sub_nc_u32_e32 v5, 29, v5
	v_lshlrev_b64 v[24:25], v8, v[6:7]
	v_and_b32_e32 v6, 7, v24
; %bb.2576:                             ;   in Loop: Header=BB259_2079 Depth=1
	s_or_b32 exec_lo, exec_lo, s22
	v_lshlrev_b32_sdwa v8, v79, v4 dst_sel:DWORD dst_unused:UNUSED_PAD src0_sel:DWORD src1_sel:WORD_1
	v_lshlrev_b32_e32 v6, 20, v6
	v_lshl_add_u32 v5, v5, 23, 0x3c000000
	v_and_b32_e32 v8, 0x80000000, v8
	v_or3_b32 v6, v6, v8, v5
	v_mov_b32_e32 v25, v7
	v_mov_b32_e32 v24, v6
.LBB259_2577:                           ;   in Loop: Header=BB259_2079 Depth=1
	s_or_b32 exec_lo, exec_lo, s21
.LBB259_2578:                           ;   in Loop: Header=BB259_2079 Depth=1
	s_or_b32 exec_lo, exec_lo, s17
.LBB259_2579:                           ;   in Loop: Header=BB259_2079 Depth=1
	s_or_b32 exec_lo, exec_lo, s15
	s_mov_b32 s15, exec_lo
	v_cmpx_lt_u32_e32 0xffffff, v4
	s_cbranch_execz .LBB259_2587
; %bb.2580:                             ;   in Loop: Header=BB259_2079 Depth=1
	v_mov_b32_e32 v8, v7
	v_mov_b32_e32 v23, v9
	v_cmp_ne_u32_sdwa s8, v4, v75 src0_sel:BYTE_3 src1_sel:DWORD
	v_mov_b32_e32 v22, v8
	s_and_saveexec_b32 s17, s8
	s_cbranch_execz .LBB259_2586
; %bb.2581:                             ;   in Loop: Header=BB259_2079 Depth=1
	v_mov_b32_e32 v10, v7
	v_mov_b32_e32 v23, v11
	v_bfe_u32 v8, v4, 24, 7
	s_mov_b32 s21, exec_lo
	v_mov_b32_e32 v22, v10
	v_cmpx_ne_u32_e32 0x7f, v8
	s_cbranch_execz .LBB259_2585
; %bb.2582:                             ;   in Loop: Header=BB259_2079 Depth=1
	v_and_b32_sdwa v6, v4, v78 dst_sel:DWORD dst_unused:UNUSED_PAD src0_sel:BYTE_3 src1_sel:DWORD
	v_lshrrev_b32_e32 v5, 3, v8
	s_mov_b32 s22, exec_lo
	v_cmpx_gt_u32_e32 8, v8
; %bb.2583:                             ;   in Loop: Header=BB259_2079 Depth=1
	v_ffbh_u32_e32 v5, v6
	v_min_u32_e32 v5, 32, v5
	v_subrev_nc_u32_e32 v8, 28, v5
	v_sub_nc_u32_e32 v5, 29, v5
	v_lshlrev_b64 v[22:23], v8, v[6:7]
	v_and_b32_e32 v6, 7, v22
; %bb.2584:                             ;   in Loop: Header=BB259_2079 Depth=1
	s_or_b32 exec_lo, exec_lo, s22
	v_lshlrev_b32_sdwa v4, v79, v4 dst_sel:DWORD dst_unused:UNUSED_PAD src0_sel:DWORD src1_sel:BYTE_3
	v_lshlrev_b32_e32 v6, 20, v6
	v_lshl_add_u32 v5, v5, 23, 0x3c000000
	v_mov_b32_e32 v22, v7
	v_and_b32_e32 v4, 0x80000000, v4
	v_or3_b32 v23, v6, v4, v5
.LBB259_2585:                           ;   in Loop: Header=BB259_2079 Depth=1
	s_or_b32 exec_lo, exec_lo, s21
.LBB259_2586:                           ;   in Loop: Header=BB259_2079 Depth=1
	s_or_b32 exec_lo, exec_lo, s17
.LBB259_2587:                           ;   in Loop: Header=BB259_2079 Depth=1
	s_or_b32 exec_lo, exec_lo, s15
	v_or_b32_e32 v4, v21, v19
	v_or_b32_e32 v5, v20, v18
	;; [unrolled: 1-line block ×4, first 2 shown]
	v_mul_f32_e32 v4, v93, v4
	buffer_store_dword v4, off, s[0:3], s32 offset:672 ; 4-byte Folded Spill
	v_mul_f32_e32 v4, v73, v5
	buffer_store_dword v4, off, s[0:3], s32 offset:664 ; 4-byte Folded Spill
	;; [unrolled: 2-line block ×4, first 2 shown]
	s_and_saveexec_b32 s8, s6
	s_cbranch_execz .LBB259_2589
; %bb.2588:                             ;   in Loop: Header=BB259_2079 Depth=1
	buffer_load_dword v4, off, s[0:3], s32 offset:664 ; 4-byte Folded Reload
	s_waitcnt vmcnt(0)
	v_cndmask_b32_e32 v4, 0, v4, vcc_lo
	buffer_store_dword v4, off, s[0:3], s32 offset:664 ; 4-byte Folded Spill
	buffer_load_dword v4, off, s[0:3], s32 offset:672 ; 4-byte Folded Reload
	s_waitcnt vmcnt(0)
	v_cndmask_b32_e64 v4, 0, v4, s4
	buffer_store_dword v4, off, s[0:3], s32 offset:672 ; 4-byte Folded Spill
	buffer_load_dword v4, off, s[0:3], s32 offset:656 ; 4-byte Folded Reload
	s_waitcnt vmcnt(0)
	v_cndmask_b32_e64 v4, 0, v4, s5
	;; [unrolled: 4-line block ×3, first 2 shown]
	buffer_store_dword v4, off, s[0:3], s32 offset:648 ; 4-byte Folded Spill
.LBB259_2589:                           ;   in Loop: Header=BB259_2079 Depth=1
	s_or_b32 exec_lo, exec_lo, s8
	flat_load_dword v4, v[16:17] offset:1920
	v_mov_b32_e32 v20, 0
	v_mov_b32_e32 v18, 0
	;; [unrolled: 1-line block ×4, first 2 shown]
	s_waitcnt vmcnt(0) lgkmcnt(0)
	v_cmp_ne_u16_sdwa s8, v4, v7 src0_sel:BYTE_0 src1_sel:DWORD
	s_and_saveexec_b32 s15, s8
	s_cbranch_execz .LBB259_2597
; %bb.2590:                             ;   in Loop: Header=BB259_2079 Depth=1
	v_bfrev_b32_e32 v18, 1
	v_mov_b32_e32 v19, 0
	v_cmp_ne_u16_sdwa s8, v4, v75 src0_sel:BYTE_0 src1_sel:DWORD
	s_and_saveexec_b32 s17, s8
	s_cbranch_execz .LBB259_2596
; %bb.2591:                             ;   in Loop: Header=BB259_2079 Depth=1
	v_mov_b32_e32 v18, 0x7f800001
	v_and_b32_e32 v8, 0x7f, v4
	v_mov_b32_e32 v19, 0
	s_mov_b32 s21, exec_lo
	v_cmpx_ne_u32_e32 0x7f, v8
	s_cbranch_execz .LBB259_2595
; %bb.2592:                             ;   in Loop: Header=BB259_2079 Depth=1
	v_and_b32_e32 v6, 7, v4
	v_lshrrev_b32_e32 v5, 3, v8
	s_mov_b32 s22, exec_lo
	v_cmpx_gt_u32_e32 8, v8
; %bb.2593:                             ;   in Loop: Header=BB259_2079 Depth=1
	v_ffbh_u32_e32 v5, v6
	v_min_u32_e32 v5, 32, v5
	v_subrev_nc_u32_e32 v8, 28, v5
	v_sub_nc_u32_e32 v5, 29, v5
	v_lshlrev_b64 v[18:19], v8, v[6:7]
	v_and_b32_e32 v6, 7, v18
; %bb.2594:                             ;   in Loop: Header=BB259_2079 Depth=1
	s_or_b32 exec_lo, exec_lo, s22
	v_lshlrev_b32_e32 v8, 24, v4
	v_lshlrev_b32_e32 v6, 20, v6
	v_lshl_add_u32 v5, v5, 23, 0x3c000000
	v_and_b32_e32 v8, 0x80000000, v8
	v_or3_b32 v6, v6, v8, v5
	v_mov_b32_e32 v19, v7
	v_mov_b32_e32 v18, v6
.LBB259_2595:                           ;   in Loop: Header=BB259_2079 Depth=1
	s_or_b32 exec_lo, exec_lo, s21
.LBB259_2596:                           ;   in Loop: Header=BB259_2079 Depth=1
	s_or_b32 exec_lo, exec_lo, s17
.LBB259_2597:                           ;   in Loop: Header=BB259_2079 Depth=1
	s_or_b32 exec_lo, exec_lo, s15
	v_cmp_ne_u16_sdwa s8, v4, v7 src0_sel:BYTE_1 src1_sel:DWORD
	s_and_saveexec_b32 s15, s8
	s_cbranch_execz .LBB259_2605
; %bb.2598:                             ;   in Loop: Header=BB259_2079 Depth=1
	v_mov_b32_e32 v8, v7
	v_mov_b32_e32 v21, v9
	v_cmp_ne_u16_sdwa s8, v4, v75 src0_sel:BYTE_1 src1_sel:DWORD
	v_mov_b32_e32 v20, v8
	s_and_saveexec_b32 s17, s8
	s_cbranch_execz .LBB259_2604
; %bb.2599:                             ;   in Loop: Header=BB259_2079 Depth=1
	v_and_b32_sdwa v5, v76, v4 dst_sel:DWORD dst_unused:UNUSED_PAD src0_sel:DWORD src1_sel:BYTE_1
	v_mov_b32_e32 v10, v7
	v_mov_b32_e32 v21, v11
	s_mov_b32 s21, exec_lo
	v_and_b32_e32 v8, 0x7f, v5
	v_mov_b32_e32 v20, v10
	v_cmpx_ne_u32_e32 0x7f, v8
	s_cbranch_execz .LBB259_2603
; %bb.2600:                             ;   in Loop: Header=BB259_2079 Depth=1
	v_and_b32_e32 v6, 7, v5
	v_lshrrev_b32_e32 v5, 3, v8
	s_mov_b32 s22, exec_lo
	v_cmpx_gt_u32_e32 8, v8
; %bb.2601:                             ;   in Loop: Header=BB259_2079 Depth=1
	v_ffbh_u32_e32 v5, v6
	v_min_u32_e32 v5, 32, v5
	v_subrev_nc_u32_e32 v8, 28, v5
	v_sub_nc_u32_e32 v5, 29, v5
	v_lshlrev_b64 v[20:21], v8, v[6:7]
	v_and_b32_e32 v6, 7, v20
; %bb.2602:                             ;   in Loop: Header=BB259_2079 Depth=1
	s_or_b32 exec_lo, exec_lo, s22
	v_lshlrev_b32_e32 v8, 16, v4
	v_lshlrev_b32_e32 v6, 20, v6
	v_lshl_add_u32 v5, v5, 23, 0x3c000000
	v_mov_b32_e32 v20, v7
	v_and_b32_e32 v8, 0x80000000, v8
	v_or3_b32 v21, v6, v8, v5
.LBB259_2603:                           ;   in Loop: Header=BB259_2079 Depth=1
	s_or_b32 exec_lo, exec_lo, s21
.LBB259_2604:                           ;   in Loop: Header=BB259_2079 Depth=1
	s_or_b32 exec_lo, exec_lo, s17
.LBB259_2605:                           ;   in Loop: Header=BB259_2079 Depth=1
	s_or_b32 exec_lo, exec_lo, s15
	v_mov_b32_e32 v22, 0
	v_mov_b32_e32 v24, 0
	v_and_b32_sdwa v5, v4, v77 dst_sel:DWORD dst_unused:UNUSED_PAD src0_sel:WORD_1 src1_sel:DWORD
	v_mov_b32_e32 v23, 0
	v_mov_b32_e32 v25, 0
	s_mov_b32 s15, exec_lo
	v_cmpx_ne_u16_e32 0, v5
	s_cbranch_execz .LBB259_2613
; %bb.2606:                             ;   in Loop: Header=BB259_2079 Depth=1
	v_bfrev_b32_e32 v24, 1
	v_mov_b32_e32 v25, 0
	s_mov_b32 s17, exec_lo
	v_cmpx_ne_u16_e32 0x80, v5
	s_cbranch_execz .LBB259_2612
; %bb.2607:                             ;   in Loop: Header=BB259_2079 Depth=1
	v_mov_b32_e32 v24, 0x7f800001
	v_bfe_u32 v8, v4, 16, 7
	v_mov_b32_e32 v25, 0
	s_mov_b32 s21, exec_lo
	v_cmpx_ne_u32_e32 0x7f, v8
	s_cbranch_execz .LBB259_2611
; %bb.2608:                             ;   in Loop: Header=BB259_2079 Depth=1
	v_and_b32_sdwa v6, v4, v78 dst_sel:DWORD dst_unused:UNUSED_PAD src0_sel:WORD_1 src1_sel:DWORD
	v_lshrrev_b32_e32 v5, 3, v8
	s_mov_b32 s22, exec_lo
	v_cmpx_gt_u32_e32 8, v8
; %bb.2609:                             ;   in Loop: Header=BB259_2079 Depth=1
	v_ffbh_u32_e32 v5, v6
	v_min_u32_e32 v5, 32, v5
	v_subrev_nc_u32_e32 v8, 28, v5
	v_sub_nc_u32_e32 v5, 29, v5
	v_lshlrev_b64 v[24:25], v8, v[6:7]
	v_and_b32_e32 v6, 7, v24
; %bb.2610:                             ;   in Loop: Header=BB259_2079 Depth=1
	s_or_b32 exec_lo, exec_lo, s22
	v_lshlrev_b32_sdwa v8, v79, v4 dst_sel:DWORD dst_unused:UNUSED_PAD src0_sel:DWORD src1_sel:WORD_1
	v_lshlrev_b32_e32 v6, 20, v6
	v_lshl_add_u32 v5, v5, 23, 0x3c000000
	v_and_b32_e32 v8, 0x80000000, v8
	v_or3_b32 v6, v6, v8, v5
	v_mov_b32_e32 v25, v7
	v_mov_b32_e32 v24, v6
.LBB259_2611:                           ;   in Loop: Header=BB259_2079 Depth=1
	s_or_b32 exec_lo, exec_lo, s21
.LBB259_2612:                           ;   in Loop: Header=BB259_2079 Depth=1
	s_or_b32 exec_lo, exec_lo, s17
.LBB259_2613:                           ;   in Loop: Header=BB259_2079 Depth=1
	s_or_b32 exec_lo, exec_lo, s15
	s_mov_b32 s15, exec_lo
	v_cmpx_lt_u32_e32 0xffffff, v4
	s_cbranch_execz .LBB259_2621
; %bb.2614:                             ;   in Loop: Header=BB259_2079 Depth=1
	v_mov_b32_e32 v8, v7
	v_mov_b32_e32 v23, v9
	v_cmp_ne_u32_sdwa s8, v4, v75 src0_sel:BYTE_3 src1_sel:DWORD
	v_mov_b32_e32 v22, v8
	s_and_saveexec_b32 s17, s8
	s_cbranch_execz .LBB259_2620
; %bb.2615:                             ;   in Loop: Header=BB259_2079 Depth=1
	v_mov_b32_e32 v10, v7
	v_mov_b32_e32 v23, v11
	v_bfe_u32 v8, v4, 24, 7
	s_mov_b32 s21, exec_lo
	v_mov_b32_e32 v22, v10
	v_cmpx_ne_u32_e32 0x7f, v8
	s_cbranch_execz .LBB259_2619
; %bb.2616:                             ;   in Loop: Header=BB259_2079 Depth=1
	v_and_b32_sdwa v6, v4, v78 dst_sel:DWORD dst_unused:UNUSED_PAD src0_sel:BYTE_3 src1_sel:DWORD
	v_lshrrev_b32_e32 v5, 3, v8
	s_mov_b32 s22, exec_lo
	v_cmpx_gt_u32_e32 8, v8
; %bb.2617:                             ;   in Loop: Header=BB259_2079 Depth=1
	v_ffbh_u32_e32 v5, v6
	v_min_u32_e32 v5, 32, v5
	v_subrev_nc_u32_e32 v8, 28, v5
	v_sub_nc_u32_e32 v5, 29, v5
	v_lshlrev_b64 v[22:23], v8, v[6:7]
	v_and_b32_e32 v6, 7, v22
; %bb.2618:                             ;   in Loop: Header=BB259_2079 Depth=1
	s_or_b32 exec_lo, exec_lo, s22
	v_lshlrev_b32_sdwa v4, v79, v4 dst_sel:DWORD dst_unused:UNUSED_PAD src0_sel:DWORD src1_sel:BYTE_3
	v_lshlrev_b32_e32 v6, 20, v6
	v_lshl_add_u32 v5, v5, 23, 0x3c000000
	v_mov_b32_e32 v22, v7
	v_and_b32_e32 v4, 0x80000000, v4
	v_or3_b32 v23, v6, v4, v5
.LBB259_2619:                           ;   in Loop: Header=BB259_2079 Depth=1
	s_or_b32 exec_lo, exec_lo, s21
.LBB259_2620:                           ;   in Loop: Header=BB259_2079 Depth=1
	s_or_b32 exec_lo, exec_lo, s17
.LBB259_2621:                           ;   in Loop: Header=BB259_2079 Depth=1
	s_or_b32 exec_lo, exec_lo, s15
	v_or_b32_e32 v4, v21, v19
	v_or_b32_e32 v5, v20, v18
	;; [unrolled: 1-line block ×4, first 2 shown]
	v_mul_f32_e32 v4, v93, v4
	buffer_store_dword v4, off, s[0:3], s32 offset:704 ; 4-byte Folded Spill
	v_mul_f32_e32 v4, v73, v5
	buffer_store_dword v4, off, s[0:3], s32 offset:696 ; 4-byte Folded Spill
	;; [unrolled: 2-line block ×4, first 2 shown]
	s_and_saveexec_b32 s8, s6
	s_cbranch_execz .LBB259_2623
; %bb.2622:                             ;   in Loop: Header=BB259_2079 Depth=1
	buffer_load_dword v4, off, s[0:3], s32 offset:696 ; 4-byte Folded Reload
	s_waitcnt vmcnt(0)
	v_cndmask_b32_e32 v4, 0, v4, vcc_lo
	buffer_store_dword v4, off, s[0:3], s32 offset:696 ; 4-byte Folded Spill
	buffer_load_dword v4, off, s[0:3], s32 offset:704 ; 4-byte Folded Reload
	s_waitcnt vmcnt(0)
	v_cndmask_b32_e64 v4, 0, v4, s4
	buffer_store_dword v4, off, s[0:3], s32 offset:704 ; 4-byte Folded Spill
	buffer_load_dword v4, off, s[0:3], s32 offset:688 ; 4-byte Folded Reload
	s_waitcnt vmcnt(0)
	v_cndmask_b32_e64 v4, 0, v4, s5
	;; [unrolled: 4-line block ×3, first 2 shown]
	buffer_store_dword v4, off, s[0:3], s32 offset:680 ; 4-byte Folded Spill
.LBB259_2623:                           ;   in Loop: Header=BB259_2079 Depth=1
	s_or_b32 exec_lo, exec_lo, s8
	v_add_co_u32 v18, s8, 0x800, v16
	v_add_co_ci_u32_e64 v19, null, 0, v17, s8
	v_mov_b32_e32 v22, 0
	v_mov_b32_e32 v20, 0
	;; [unrolled: 1-line block ×3, first 2 shown]
	flat_load_dword v4, v[18:19]
	v_mov_b32_e32 v21, 0
	s_waitcnt vmcnt(0) lgkmcnt(0)
	v_cmp_ne_u16_sdwa s8, v4, v7 src0_sel:BYTE_0 src1_sel:DWORD
	s_and_saveexec_b32 s15, s8
	s_cbranch_execz .LBB259_2631
; %bb.2624:                             ;   in Loop: Header=BB259_2079 Depth=1
	v_bfrev_b32_e32 v20, 1
	v_mov_b32_e32 v21, 0
	v_cmp_ne_u16_sdwa s8, v4, v75 src0_sel:BYTE_0 src1_sel:DWORD
	s_and_saveexec_b32 s17, s8
	s_cbranch_execz .LBB259_2630
; %bb.2625:                             ;   in Loop: Header=BB259_2079 Depth=1
	v_mov_b32_e32 v20, 0x7f800001
	v_and_b32_e32 v8, 0x7f, v4
	v_mov_b32_e32 v21, 0
	s_mov_b32 s21, exec_lo
	v_cmpx_ne_u32_e32 0x7f, v8
	s_cbranch_execz .LBB259_2629
; %bb.2626:                             ;   in Loop: Header=BB259_2079 Depth=1
	v_and_b32_e32 v6, 7, v4
	v_lshrrev_b32_e32 v5, 3, v8
	s_mov_b32 s22, exec_lo
	v_cmpx_gt_u32_e32 8, v8
; %bb.2627:                             ;   in Loop: Header=BB259_2079 Depth=1
	v_ffbh_u32_e32 v5, v6
	v_min_u32_e32 v5, 32, v5
	v_subrev_nc_u32_e32 v8, 28, v5
	v_sub_nc_u32_e32 v5, 29, v5
	v_lshlrev_b64 v[20:21], v8, v[6:7]
	v_and_b32_e32 v6, 7, v20
; %bb.2628:                             ;   in Loop: Header=BB259_2079 Depth=1
	s_or_b32 exec_lo, exec_lo, s22
	v_lshlrev_b32_e32 v8, 24, v4
	v_lshlrev_b32_e32 v6, 20, v6
	v_lshl_add_u32 v5, v5, 23, 0x3c000000
	v_and_b32_e32 v8, 0x80000000, v8
	v_or3_b32 v6, v6, v8, v5
	v_mov_b32_e32 v21, v7
	v_mov_b32_e32 v20, v6
.LBB259_2629:                           ;   in Loop: Header=BB259_2079 Depth=1
	s_or_b32 exec_lo, exec_lo, s21
.LBB259_2630:                           ;   in Loop: Header=BB259_2079 Depth=1
	s_or_b32 exec_lo, exec_lo, s17
.LBB259_2631:                           ;   in Loop: Header=BB259_2079 Depth=1
	s_or_b32 exec_lo, exec_lo, s15
	v_cmp_ne_u16_sdwa s8, v4, v7 src0_sel:BYTE_1 src1_sel:DWORD
	s_and_saveexec_b32 s15, s8
	s_cbranch_execz .LBB259_2639
; %bb.2632:                             ;   in Loop: Header=BB259_2079 Depth=1
	v_mov_b32_e32 v8, v7
	v_mov_b32_e32 v23, v9
	v_cmp_ne_u16_sdwa s8, v4, v75 src0_sel:BYTE_1 src1_sel:DWORD
	v_mov_b32_e32 v22, v8
	s_and_saveexec_b32 s17, s8
	s_cbranch_execz .LBB259_2638
; %bb.2633:                             ;   in Loop: Header=BB259_2079 Depth=1
	v_and_b32_sdwa v5, v76, v4 dst_sel:DWORD dst_unused:UNUSED_PAD src0_sel:DWORD src1_sel:BYTE_1
	v_mov_b32_e32 v10, v7
	v_mov_b32_e32 v23, v11
	s_mov_b32 s21, exec_lo
	v_and_b32_e32 v8, 0x7f, v5
	v_mov_b32_e32 v22, v10
	v_cmpx_ne_u32_e32 0x7f, v8
	s_cbranch_execz .LBB259_2637
; %bb.2634:                             ;   in Loop: Header=BB259_2079 Depth=1
	v_and_b32_e32 v6, 7, v5
	v_lshrrev_b32_e32 v5, 3, v8
	s_mov_b32 s22, exec_lo
	v_cmpx_gt_u32_e32 8, v8
; %bb.2635:                             ;   in Loop: Header=BB259_2079 Depth=1
	v_ffbh_u32_e32 v5, v6
	v_min_u32_e32 v5, 32, v5
	v_subrev_nc_u32_e32 v8, 28, v5
	v_sub_nc_u32_e32 v5, 29, v5
	v_lshlrev_b64 v[22:23], v8, v[6:7]
	v_and_b32_e32 v6, 7, v22
; %bb.2636:                             ;   in Loop: Header=BB259_2079 Depth=1
	s_or_b32 exec_lo, exec_lo, s22
	v_lshlrev_b32_e32 v8, 16, v4
	v_lshlrev_b32_e32 v6, 20, v6
	v_lshl_add_u32 v5, v5, 23, 0x3c000000
	v_mov_b32_e32 v22, v7
	v_and_b32_e32 v8, 0x80000000, v8
	v_or3_b32 v23, v6, v8, v5
.LBB259_2637:                           ;   in Loop: Header=BB259_2079 Depth=1
	s_or_b32 exec_lo, exec_lo, s21
.LBB259_2638:                           ;   in Loop: Header=BB259_2079 Depth=1
	s_or_b32 exec_lo, exec_lo, s17
.LBB259_2639:                           ;   in Loop: Header=BB259_2079 Depth=1
	s_or_b32 exec_lo, exec_lo, s15
	v_mov_b32_e32 v24, 0
	v_mov_b32_e32 v26, 0
	v_and_b32_sdwa v5, v4, v77 dst_sel:DWORD dst_unused:UNUSED_PAD src0_sel:WORD_1 src1_sel:DWORD
	v_mov_b32_e32 v25, 0
	v_mov_b32_e32 v27, 0
	s_mov_b32 s15, exec_lo
	v_cmpx_ne_u16_e32 0, v5
	s_cbranch_execz .LBB259_2647
; %bb.2640:                             ;   in Loop: Header=BB259_2079 Depth=1
	v_bfrev_b32_e32 v26, 1
	v_mov_b32_e32 v27, 0
	s_mov_b32 s17, exec_lo
	v_cmpx_ne_u16_e32 0x80, v5
	s_cbranch_execz .LBB259_2646
; %bb.2641:                             ;   in Loop: Header=BB259_2079 Depth=1
	v_mov_b32_e32 v26, 0x7f800001
	v_bfe_u32 v8, v4, 16, 7
	v_mov_b32_e32 v27, 0
	s_mov_b32 s21, exec_lo
	v_cmpx_ne_u32_e32 0x7f, v8
	s_cbranch_execz .LBB259_2645
; %bb.2642:                             ;   in Loop: Header=BB259_2079 Depth=1
	v_and_b32_sdwa v6, v4, v78 dst_sel:DWORD dst_unused:UNUSED_PAD src0_sel:WORD_1 src1_sel:DWORD
	v_lshrrev_b32_e32 v5, 3, v8
	s_mov_b32 s22, exec_lo
	v_cmpx_gt_u32_e32 8, v8
; %bb.2643:                             ;   in Loop: Header=BB259_2079 Depth=1
	v_ffbh_u32_e32 v5, v6
	v_min_u32_e32 v5, 32, v5
	v_subrev_nc_u32_e32 v8, 28, v5
	v_sub_nc_u32_e32 v5, 29, v5
	v_lshlrev_b64 v[26:27], v8, v[6:7]
	v_and_b32_e32 v6, 7, v26
; %bb.2644:                             ;   in Loop: Header=BB259_2079 Depth=1
	s_or_b32 exec_lo, exec_lo, s22
	v_lshlrev_b32_sdwa v8, v79, v4 dst_sel:DWORD dst_unused:UNUSED_PAD src0_sel:DWORD src1_sel:WORD_1
	v_lshlrev_b32_e32 v6, 20, v6
	v_lshl_add_u32 v5, v5, 23, 0x3c000000
	v_and_b32_e32 v8, 0x80000000, v8
	v_or3_b32 v6, v6, v8, v5
	v_mov_b32_e32 v27, v7
	v_mov_b32_e32 v26, v6
.LBB259_2645:                           ;   in Loop: Header=BB259_2079 Depth=1
	s_or_b32 exec_lo, exec_lo, s21
.LBB259_2646:                           ;   in Loop: Header=BB259_2079 Depth=1
	s_or_b32 exec_lo, exec_lo, s17
.LBB259_2647:                           ;   in Loop: Header=BB259_2079 Depth=1
	s_or_b32 exec_lo, exec_lo, s15
	s_mov_b32 s15, exec_lo
	v_cmpx_lt_u32_e32 0xffffff, v4
	s_cbranch_execz .LBB259_2655
; %bb.2648:                             ;   in Loop: Header=BB259_2079 Depth=1
	v_mov_b32_e32 v8, v7
	v_mov_b32_e32 v25, v9
	v_cmp_ne_u32_sdwa s8, v4, v75 src0_sel:BYTE_3 src1_sel:DWORD
	v_mov_b32_e32 v24, v8
	s_and_saveexec_b32 s17, s8
	s_cbranch_execz .LBB259_2654
; %bb.2649:                             ;   in Loop: Header=BB259_2079 Depth=1
	v_mov_b32_e32 v10, v7
	v_mov_b32_e32 v25, v11
	v_bfe_u32 v8, v4, 24, 7
	s_mov_b32 s21, exec_lo
	v_mov_b32_e32 v24, v10
	v_cmpx_ne_u32_e32 0x7f, v8
	s_cbranch_execz .LBB259_2653
; %bb.2650:                             ;   in Loop: Header=BB259_2079 Depth=1
	v_and_b32_sdwa v6, v4, v78 dst_sel:DWORD dst_unused:UNUSED_PAD src0_sel:BYTE_3 src1_sel:DWORD
	v_lshrrev_b32_e32 v5, 3, v8
	s_mov_b32 s22, exec_lo
	v_cmpx_gt_u32_e32 8, v8
; %bb.2651:                             ;   in Loop: Header=BB259_2079 Depth=1
	v_ffbh_u32_e32 v5, v6
	v_min_u32_e32 v5, 32, v5
	v_subrev_nc_u32_e32 v8, 28, v5
	v_sub_nc_u32_e32 v5, 29, v5
	v_lshlrev_b64 v[24:25], v8, v[6:7]
	v_and_b32_e32 v6, 7, v24
; %bb.2652:                             ;   in Loop: Header=BB259_2079 Depth=1
	s_or_b32 exec_lo, exec_lo, s22
	v_lshlrev_b32_sdwa v4, v79, v4 dst_sel:DWORD dst_unused:UNUSED_PAD src0_sel:DWORD src1_sel:BYTE_3
	v_lshlrev_b32_e32 v6, 20, v6
	v_lshl_add_u32 v5, v5, 23, 0x3c000000
	v_mov_b32_e32 v24, v7
	v_and_b32_e32 v4, 0x80000000, v4
	v_or3_b32 v25, v6, v4, v5
.LBB259_2653:                           ;   in Loop: Header=BB259_2079 Depth=1
	s_or_b32 exec_lo, exec_lo, s21
.LBB259_2654:                           ;   in Loop: Header=BB259_2079 Depth=1
	s_or_b32 exec_lo, exec_lo, s17
.LBB259_2655:                           ;   in Loop: Header=BB259_2079 Depth=1
	s_or_b32 exec_lo, exec_lo, s15
	v_or_b32_e32 v4, v23, v21
	v_or_b32_e32 v5, v22, v20
	;; [unrolled: 1-line block ×4, first 2 shown]
	v_mul_f32_e32 v4, v93, v4
	buffer_store_dword v4, off, s[0:3], s32 offset:736 ; 4-byte Folded Spill
	v_mul_f32_e32 v4, v73, v5
	buffer_store_dword v4, off, s[0:3], s32 offset:728 ; 4-byte Folded Spill
	;; [unrolled: 2-line block ×4, first 2 shown]
	s_and_saveexec_b32 s8, s6
	s_cbranch_execz .LBB259_2657
; %bb.2656:                             ;   in Loop: Header=BB259_2079 Depth=1
	buffer_load_dword v4, off, s[0:3], s32 offset:728 ; 4-byte Folded Reload
	s_waitcnt vmcnt(0)
	v_cndmask_b32_e32 v4, 0, v4, vcc_lo
	buffer_store_dword v4, off, s[0:3], s32 offset:728 ; 4-byte Folded Spill
	buffer_load_dword v4, off, s[0:3], s32 offset:736 ; 4-byte Folded Reload
	s_waitcnt vmcnt(0)
	v_cndmask_b32_e64 v4, 0, v4, s4
	buffer_store_dword v4, off, s[0:3], s32 offset:736 ; 4-byte Folded Spill
	buffer_load_dword v4, off, s[0:3], s32 offset:720 ; 4-byte Folded Reload
	s_waitcnt vmcnt(0)
	v_cndmask_b32_e64 v4, 0, v4, s5
	;; [unrolled: 4-line block ×3, first 2 shown]
	buffer_store_dword v4, off, s[0:3], s32 offset:712 ; 4-byte Folded Spill
.LBB259_2657:                           ;   in Loop: Header=BB259_2079 Depth=1
	s_or_b32 exec_lo, exec_lo, s8
	flat_load_dword v4, v[18:19] offset:128
	v_mov_b32_e32 v22, 0
	v_mov_b32_e32 v20, 0
	;; [unrolled: 1-line block ×4, first 2 shown]
	s_waitcnt vmcnt(0) lgkmcnt(0)
	v_cmp_ne_u16_sdwa s8, v4, v7 src0_sel:BYTE_0 src1_sel:DWORD
	s_and_saveexec_b32 s15, s8
	s_cbranch_execz .LBB259_2665
; %bb.2658:                             ;   in Loop: Header=BB259_2079 Depth=1
	v_bfrev_b32_e32 v20, 1
	v_mov_b32_e32 v21, 0
	v_cmp_ne_u16_sdwa s8, v4, v75 src0_sel:BYTE_0 src1_sel:DWORD
	s_and_saveexec_b32 s17, s8
	s_cbranch_execz .LBB259_2664
; %bb.2659:                             ;   in Loop: Header=BB259_2079 Depth=1
	v_mov_b32_e32 v20, 0x7f800001
	v_and_b32_e32 v8, 0x7f, v4
	v_mov_b32_e32 v21, 0
	s_mov_b32 s21, exec_lo
	v_cmpx_ne_u32_e32 0x7f, v8
	s_cbranch_execz .LBB259_2663
; %bb.2660:                             ;   in Loop: Header=BB259_2079 Depth=1
	v_and_b32_e32 v6, 7, v4
	v_lshrrev_b32_e32 v5, 3, v8
	s_mov_b32 s22, exec_lo
	v_cmpx_gt_u32_e32 8, v8
; %bb.2661:                             ;   in Loop: Header=BB259_2079 Depth=1
	v_ffbh_u32_e32 v5, v6
	v_min_u32_e32 v5, 32, v5
	v_subrev_nc_u32_e32 v8, 28, v5
	v_sub_nc_u32_e32 v5, 29, v5
	v_lshlrev_b64 v[20:21], v8, v[6:7]
	v_and_b32_e32 v6, 7, v20
; %bb.2662:                             ;   in Loop: Header=BB259_2079 Depth=1
	s_or_b32 exec_lo, exec_lo, s22
	v_lshlrev_b32_e32 v8, 24, v4
	v_lshlrev_b32_e32 v6, 20, v6
	v_lshl_add_u32 v5, v5, 23, 0x3c000000
	v_and_b32_e32 v8, 0x80000000, v8
	v_or3_b32 v6, v6, v8, v5
	v_mov_b32_e32 v21, v7
	v_mov_b32_e32 v20, v6
.LBB259_2663:                           ;   in Loop: Header=BB259_2079 Depth=1
	s_or_b32 exec_lo, exec_lo, s21
.LBB259_2664:                           ;   in Loop: Header=BB259_2079 Depth=1
	s_or_b32 exec_lo, exec_lo, s17
.LBB259_2665:                           ;   in Loop: Header=BB259_2079 Depth=1
	s_or_b32 exec_lo, exec_lo, s15
	v_cmp_ne_u16_sdwa s8, v4, v7 src0_sel:BYTE_1 src1_sel:DWORD
	s_and_saveexec_b32 s15, s8
	s_cbranch_execz .LBB259_2673
; %bb.2666:                             ;   in Loop: Header=BB259_2079 Depth=1
	v_mov_b32_e32 v8, v7
	v_mov_b32_e32 v23, v9
	v_cmp_ne_u16_sdwa s8, v4, v75 src0_sel:BYTE_1 src1_sel:DWORD
	v_mov_b32_e32 v22, v8
	s_and_saveexec_b32 s17, s8
	s_cbranch_execz .LBB259_2672
; %bb.2667:                             ;   in Loop: Header=BB259_2079 Depth=1
	v_and_b32_sdwa v5, v76, v4 dst_sel:DWORD dst_unused:UNUSED_PAD src0_sel:DWORD src1_sel:BYTE_1
	v_mov_b32_e32 v10, v7
	v_mov_b32_e32 v23, v11
	s_mov_b32 s21, exec_lo
	v_and_b32_e32 v8, 0x7f, v5
	v_mov_b32_e32 v22, v10
	v_cmpx_ne_u32_e32 0x7f, v8
	s_cbranch_execz .LBB259_2671
; %bb.2668:                             ;   in Loop: Header=BB259_2079 Depth=1
	v_and_b32_e32 v6, 7, v5
	v_lshrrev_b32_e32 v5, 3, v8
	s_mov_b32 s22, exec_lo
	v_cmpx_gt_u32_e32 8, v8
; %bb.2669:                             ;   in Loop: Header=BB259_2079 Depth=1
	v_ffbh_u32_e32 v5, v6
	v_min_u32_e32 v5, 32, v5
	v_subrev_nc_u32_e32 v8, 28, v5
	v_sub_nc_u32_e32 v5, 29, v5
	v_lshlrev_b64 v[22:23], v8, v[6:7]
	v_and_b32_e32 v6, 7, v22
; %bb.2670:                             ;   in Loop: Header=BB259_2079 Depth=1
	s_or_b32 exec_lo, exec_lo, s22
	v_lshlrev_b32_e32 v8, 16, v4
	v_lshlrev_b32_e32 v6, 20, v6
	v_lshl_add_u32 v5, v5, 23, 0x3c000000
	v_mov_b32_e32 v22, v7
	v_and_b32_e32 v8, 0x80000000, v8
	v_or3_b32 v23, v6, v8, v5
.LBB259_2671:                           ;   in Loop: Header=BB259_2079 Depth=1
	s_or_b32 exec_lo, exec_lo, s21
.LBB259_2672:                           ;   in Loop: Header=BB259_2079 Depth=1
	s_or_b32 exec_lo, exec_lo, s17
.LBB259_2673:                           ;   in Loop: Header=BB259_2079 Depth=1
	s_or_b32 exec_lo, exec_lo, s15
	v_mov_b32_e32 v24, 0
	v_mov_b32_e32 v26, 0
	v_and_b32_sdwa v5, v4, v77 dst_sel:DWORD dst_unused:UNUSED_PAD src0_sel:WORD_1 src1_sel:DWORD
	v_mov_b32_e32 v25, 0
	v_mov_b32_e32 v27, 0
	s_mov_b32 s15, exec_lo
	v_cmpx_ne_u16_e32 0, v5
	s_cbranch_execz .LBB259_2681
; %bb.2674:                             ;   in Loop: Header=BB259_2079 Depth=1
	v_bfrev_b32_e32 v26, 1
	v_mov_b32_e32 v27, 0
	s_mov_b32 s17, exec_lo
	v_cmpx_ne_u16_e32 0x80, v5
	s_cbranch_execz .LBB259_2680
; %bb.2675:                             ;   in Loop: Header=BB259_2079 Depth=1
	v_mov_b32_e32 v26, 0x7f800001
	v_bfe_u32 v8, v4, 16, 7
	v_mov_b32_e32 v27, 0
	s_mov_b32 s21, exec_lo
	v_cmpx_ne_u32_e32 0x7f, v8
	s_cbranch_execz .LBB259_2679
; %bb.2676:                             ;   in Loop: Header=BB259_2079 Depth=1
	v_and_b32_sdwa v6, v4, v78 dst_sel:DWORD dst_unused:UNUSED_PAD src0_sel:WORD_1 src1_sel:DWORD
	v_lshrrev_b32_e32 v5, 3, v8
	s_mov_b32 s22, exec_lo
	v_cmpx_gt_u32_e32 8, v8
; %bb.2677:                             ;   in Loop: Header=BB259_2079 Depth=1
	v_ffbh_u32_e32 v5, v6
	v_min_u32_e32 v5, 32, v5
	v_subrev_nc_u32_e32 v8, 28, v5
	v_sub_nc_u32_e32 v5, 29, v5
	v_lshlrev_b64 v[26:27], v8, v[6:7]
	v_and_b32_e32 v6, 7, v26
; %bb.2678:                             ;   in Loop: Header=BB259_2079 Depth=1
	s_or_b32 exec_lo, exec_lo, s22
	v_lshlrev_b32_sdwa v8, v79, v4 dst_sel:DWORD dst_unused:UNUSED_PAD src0_sel:DWORD src1_sel:WORD_1
	v_lshlrev_b32_e32 v6, 20, v6
	v_lshl_add_u32 v5, v5, 23, 0x3c000000
	v_and_b32_e32 v8, 0x80000000, v8
	v_or3_b32 v6, v6, v8, v5
	v_mov_b32_e32 v27, v7
	v_mov_b32_e32 v26, v6
.LBB259_2679:                           ;   in Loop: Header=BB259_2079 Depth=1
	s_or_b32 exec_lo, exec_lo, s21
.LBB259_2680:                           ;   in Loop: Header=BB259_2079 Depth=1
	s_or_b32 exec_lo, exec_lo, s17
.LBB259_2681:                           ;   in Loop: Header=BB259_2079 Depth=1
	s_or_b32 exec_lo, exec_lo, s15
	s_mov_b32 s15, exec_lo
	v_cmpx_lt_u32_e32 0xffffff, v4
	s_cbranch_execz .LBB259_2689
; %bb.2682:                             ;   in Loop: Header=BB259_2079 Depth=1
	v_mov_b32_e32 v8, v7
	v_mov_b32_e32 v25, v9
	v_cmp_ne_u32_sdwa s8, v4, v75 src0_sel:BYTE_3 src1_sel:DWORD
	v_mov_b32_e32 v24, v8
	s_and_saveexec_b32 s17, s8
	s_cbranch_execz .LBB259_2688
; %bb.2683:                             ;   in Loop: Header=BB259_2079 Depth=1
	v_mov_b32_e32 v10, v7
	v_mov_b32_e32 v25, v11
	v_bfe_u32 v8, v4, 24, 7
	s_mov_b32 s21, exec_lo
	v_mov_b32_e32 v24, v10
	v_cmpx_ne_u32_e32 0x7f, v8
	s_cbranch_execz .LBB259_2687
; %bb.2684:                             ;   in Loop: Header=BB259_2079 Depth=1
	v_and_b32_sdwa v6, v4, v78 dst_sel:DWORD dst_unused:UNUSED_PAD src0_sel:BYTE_3 src1_sel:DWORD
	v_lshrrev_b32_e32 v5, 3, v8
	s_mov_b32 s22, exec_lo
	v_cmpx_gt_u32_e32 8, v8
; %bb.2685:                             ;   in Loop: Header=BB259_2079 Depth=1
	v_ffbh_u32_e32 v5, v6
	v_min_u32_e32 v5, 32, v5
	v_subrev_nc_u32_e32 v8, 28, v5
	v_sub_nc_u32_e32 v5, 29, v5
	v_lshlrev_b64 v[24:25], v8, v[6:7]
	v_and_b32_e32 v6, 7, v24
; %bb.2686:                             ;   in Loop: Header=BB259_2079 Depth=1
	s_or_b32 exec_lo, exec_lo, s22
	v_lshlrev_b32_sdwa v4, v79, v4 dst_sel:DWORD dst_unused:UNUSED_PAD src0_sel:DWORD src1_sel:BYTE_3
	v_lshlrev_b32_e32 v6, 20, v6
	v_lshl_add_u32 v5, v5, 23, 0x3c000000
	v_mov_b32_e32 v24, v7
	v_and_b32_e32 v4, 0x80000000, v4
	v_or3_b32 v25, v6, v4, v5
.LBB259_2687:                           ;   in Loop: Header=BB259_2079 Depth=1
	s_or_b32 exec_lo, exec_lo, s21
.LBB259_2688:                           ;   in Loop: Header=BB259_2079 Depth=1
	s_or_b32 exec_lo, exec_lo, s17
.LBB259_2689:                           ;   in Loop: Header=BB259_2079 Depth=1
	s_or_b32 exec_lo, exec_lo, s15
	v_or_b32_e32 v4, v23, v21
	v_or_b32_e32 v5, v22, v20
	v_or_b32_e32 v6, v24, v26
	v_or_b32_e32 v8, v25, v27
	v_mul_f32_e32 v4, v93, v4
	buffer_store_dword v4, off, s[0:3], s32 offset:768 ; 4-byte Folded Spill
	v_mul_f32_e32 v4, v73, v5
	buffer_store_dword v4, off, s[0:3], s32 offset:760 ; 4-byte Folded Spill
	;; [unrolled: 2-line block ×4, first 2 shown]
	s_and_saveexec_b32 s8, s6
	s_cbranch_execz .LBB259_2691
; %bb.2690:                             ;   in Loop: Header=BB259_2079 Depth=1
	buffer_load_dword v4, off, s[0:3], s32 offset:760 ; 4-byte Folded Reload
	s_waitcnt vmcnt(0)
	v_cndmask_b32_e32 v4, 0, v4, vcc_lo
	buffer_store_dword v4, off, s[0:3], s32 offset:760 ; 4-byte Folded Spill
	buffer_load_dword v4, off, s[0:3], s32 offset:768 ; 4-byte Folded Reload
	s_waitcnt vmcnt(0)
	v_cndmask_b32_e64 v4, 0, v4, s4
	buffer_store_dword v4, off, s[0:3], s32 offset:768 ; 4-byte Folded Spill
	buffer_load_dword v4, off, s[0:3], s32 offset:752 ; 4-byte Folded Reload
	s_waitcnt vmcnt(0)
	v_cndmask_b32_e64 v4, 0, v4, s5
	;; [unrolled: 4-line block ×3, first 2 shown]
	buffer_store_dword v4, off, s[0:3], s32 offset:744 ; 4-byte Folded Spill
.LBB259_2691:                           ;   in Loop: Header=BB259_2079 Depth=1
	s_or_b32 exec_lo, exec_lo, s8
	flat_load_dword v4, v[18:19] offset:256
	v_mov_b32_e32 v22, 0
	v_mov_b32_e32 v20, 0
	;; [unrolled: 1-line block ×4, first 2 shown]
	s_waitcnt vmcnt(0) lgkmcnt(0)
	v_cmp_ne_u16_sdwa s8, v4, v7 src0_sel:BYTE_0 src1_sel:DWORD
	s_and_saveexec_b32 s15, s8
	s_cbranch_execz .LBB259_2699
; %bb.2692:                             ;   in Loop: Header=BB259_2079 Depth=1
	v_bfrev_b32_e32 v20, 1
	v_mov_b32_e32 v21, 0
	v_cmp_ne_u16_sdwa s8, v4, v75 src0_sel:BYTE_0 src1_sel:DWORD
	s_and_saveexec_b32 s17, s8
	s_cbranch_execz .LBB259_2698
; %bb.2693:                             ;   in Loop: Header=BB259_2079 Depth=1
	v_mov_b32_e32 v20, 0x7f800001
	v_and_b32_e32 v8, 0x7f, v4
	v_mov_b32_e32 v21, 0
	s_mov_b32 s21, exec_lo
	v_cmpx_ne_u32_e32 0x7f, v8
	s_cbranch_execz .LBB259_2697
; %bb.2694:                             ;   in Loop: Header=BB259_2079 Depth=1
	v_and_b32_e32 v6, 7, v4
	v_lshrrev_b32_e32 v5, 3, v8
	s_mov_b32 s22, exec_lo
	v_cmpx_gt_u32_e32 8, v8
; %bb.2695:                             ;   in Loop: Header=BB259_2079 Depth=1
	v_ffbh_u32_e32 v5, v6
	v_min_u32_e32 v5, 32, v5
	v_subrev_nc_u32_e32 v8, 28, v5
	v_sub_nc_u32_e32 v5, 29, v5
	v_lshlrev_b64 v[20:21], v8, v[6:7]
	v_and_b32_e32 v6, 7, v20
; %bb.2696:                             ;   in Loop: Header=BB259_2079 Depth=1
	s_or_b32 exec_lo, exec_lo, s22
	v_lshlrev_b32_e32 v8, 24, v4
	v_lshlrev_b32_e32 v6, 20, v6
	v_lshl_add_u32 v5, v5, 23, 0x3c000000
	v_and_b32_e32 v8, 0x80000000, v8
	v_or3_b32 v6, v6, v8, v5
	v_mov_b32_e32 v21, v7
	v_mov_b32_e32 v20, v6
.LBB259_2697:                           ;   in Loop: Header=BB259_2079 Depth=1
	s_or_b32 exec_lo, exec_lo, s21
.LBB259_2698:                           ;   in Loop: Header=BB259_2079 Depth=1
	s_or_b32 exec_lo, exec_lo, s17
.LBB259_2699:                           ;   in Loop: Header=BB259_2079 Depth=1
	s_or_b32 exec_lo, exec_lo, s15
	v_cmp_ne_u16_sdwa s8, v4, v7 src0_sel:BYTE_1 src1_sel:DWORD
	s_and_saveexec_b32 s15, s8
	s_cbranch_execz .LBB259_2707
; %bb.2700:                             ;   in Loop: Header=BB259_2079 Depth=1
	v_mov_b32_e32 v8, v7
	v_mov_b32_e32 v23, v9
	v_cmp_ne_u16_sdwa s8, v4, v75 src0_sel:BYTE_1 src1_sel:DWORD
	v_mov_b32_e32 v22, v8
	s_and_saveexec_b32 s17, s8
	s_cbranch_execz .LBB259_2706
; %bb.2701:                             ;   in Loop: Header=BB259_2079 Depth=1
	v_and_b32_sdwa v5, v76, v4 dst_sel:DWORD dst_unused:UNUSED_PAD src0_sel:DWORD src1_sel:BYTE_1
	v_mov_b32_e32 v10, v7
	v_mov_b32_e32 v23, v11
	s_mov_b32 s21, exec_lo
	v_and_b32_e32 v8, 0x7f, v5
	v_mov_b32_e32 v22, v10
	v_cmpx_ne_u32_e32 0x7f, v8
	s_cbranch_execz .LBB259_2705
; %bb.2702:                             ;   in Loop: Header=BB259_2079 Depth=1
	v_and_b32_e32 v6, 7, v5
	v_lshrrev_b32_e32 v5, 3, v8
	s_mov_b32 s22, exec_lo
	v_cmpx_gt_u32_e32 8, v8
; %bb.2703:                             ;   in Loop: Header=BB259_2079 Depth=1
	v_ffbh_u32_e32 v5, v6
	v_min_u32_e32 v5, 32, v5
	v_subrev_nc_u32_e32 v8, 28, v5
	v_sub_nc_u32_e32 v5, 29, v5
	v_lshlrev_b64 v[22:23], v8, v[6:7]
	v_and_b32_e32 v6, 7, v22
; %bb.2704:                             ;   in Loop: Header=BB259_2079 Depth=1
	s_or_b32 exec_lo, exec_lo, s22
	v_lshlrev_b32_e32 v8, 16, v4
	v_lshlrev_b32_e32 v6, 20, v6
	v_lshl_add_u32 v5, v5, 23, 0x3c000000
	v_mov_b32_e32 v22, v7
	v_and_b32_e32 v8, 0x80000000, v8
	v_or3_b32 v23, v6, v8, v5
.LBB259_2705:                           ;   in Loop: Header=BB259_2079 Depth=1
	s_or_b32 exec_lo, exec_lo, s21
.LBB259_2706:                           ;   in Loop: Header=BB259_2079 Depth=1
	s_or_b32 exec_lo, exec_lo, s17
.LBB259_2707:                           ;   in Loop: Header=BB259_2079 Depth=1
	s_or_b32 exec_lo, exec_lo, s15
	v_mov_b32_e32 v24, 0
	v_mov_b32_e32 v26, 0
	v_and_b32_sdwa v5, v4, v77 dst_sel:DWORD dst_unused:UNUSED_PAD src0_sel:WORD_1 src1_sel:DWORD
	v_mov_b32_e32 v25, 0
	v_mov_b32_e32 v27, 0
	s_mov_b32 s15, exec_lo
	v_cmpx_ne_u16_e32 0, v5
	s_cbranch_execz .LBB259_2715
; %bb.2708:                             ;   in Loop: Header=BB259_2079 Depth=1
	v_bfrev_b32_e32 v26, 1
	v_mov_b32_e32 v27, 0
	s_mov_b32 s17, exec_lo
	v_cmpx_ne_u16_e32 0x80, v5
	s_cbranch_execz .LBB259_2714
; %bb.2709:                             ;   in Loop: Header=BB259_2079 Depth=1
	v_mov_b32_e32 v26, 0x7f800001
	v_bfe_u32 v8, v4, 16, 7
	v_mov_b32_e32 v27, 0
	s_mov_b32 s21, exec_lo
	v_cmpx_ne_u32_e32 0x7f, v8
	s_cbranch_execz .LBB259_2713
; %bb.2710:                             ;   in Loop: Header=BB259_2079 Depth=1
	v_and_b32_sdwa v6, v4, v78 dst_sel:DWORD dst_unused:UNUSED_PAD src0_sel:WORD_1 src1_sel:DWORD
	v_lshrrev_b32_e32 v5, 3, v8
	s_mov_b32 s22, exec_lo
	v_cmpx_gt_u32_e32 8, v8
; %bb.2711:                             ;   in Loop: Header=BB259_2079 Depth=1
	v_ffbh_u32_e32 v5, v6
	v_min_u32_e32 v5, 32, v5
	v_subrev_nc_u32_e32 v8, 28, v5
	v_sub_nc_u32_e32 v5, 29, v5
	v_lshlrev_b64 v[26:27], v8, v[6:7]
	v_and_b32_e32 v6, 7, v26
; %bb.2712:                             ;   in Loop: Header=BB259_2079 Depth=1
	s_or_b32 exec_lo, exec_lo, s22
	v_lshlrev_b32_sdwa v8, v79, v4 dst_sel:DWORD dst_unused:UNUSED_PAD src0_sel:DWORD src1_sel:WORD_1
	v_lshlrev_b32_e32 v6, 20, v6
	v_lshl_add_u32 v5, v5, 23, 0x3c000000
	v_and_b32_e32 v8, 0x80000000, v8
	v_or3_b32 v6, v6, v8, v5
	v_mov_b32_e32 v27, v7
	v_mov_b32_e32 v26, v6
.LBB259_2713:                           ;   in Loop: Header=BB259_2079 Depth=1
	s_or_b32 exec_lo, exec_lo, s21
.LBB259_2714:                           ;   in Loop: Header=BB259_2079 Depth=1
	s_or_b32 exec_lo, exec_lo, s17
.LBB259_2715:                           ;   in Loop: Header=BB259_2079 Depth=1
	s_or_b32 exec_lo, exec_lo, s15
	s_mov_b32 s15, exec_lo
	v_cmpx_lt_u32_e32 0xffffff, v4
	s_cbranch_execz .LBB259_2723
; %bb.2716:                             ;   in Loop: Header=BB259_2079 Depth=1
	v_mov_b32_e32 v8, v7
	v_mov_b32_e32 v25, v9
	v_cmp_ne_u32_sdwa s8, v4, v75 src0_sel:BYTE_3 src1_sel:DWORD
	v_mov_b32_e32 v24, v8
	s_and_saveexec_b32 s17, s8
	s_cbranch_execz .LBB259_2722
; %bb.2717:                             ;   in Loop: Header=BB259_2079 Depth=1
	v_mov_b32_e32 v10, v7
	v_mov_b32_e32 v25, v11
	v_bfe_u32 v8, v4, 24, 7
	s_mov_b32 s21, exec_lo
	v_mov_b32_e32 v24, v10
	v_cmpx_ne_u32_e32 0x7f, v8
	s_cbranch_execz .LBB259_2721
; %bb.2718:                             ;   in Loop: Header=BB259_2079 Depth=1
	v_and_b32_sdwa v6, v4, v78 dst_sel:DWORD dst_unused:UNUSED_PAD src0_sel:BYTE_3 src1_sel:DWORD
	v_lshrrev_b32_e32 v5, 3, v8
	s_mov_b32 s22, exec_lo
	v_cmpx_gt_u32_e32 8, v8
; %bb.2719:                             ;   in Loop: Header=BB259_2079 Depth=1
	v_ffbh_u32_e32 v5, v6
	v_min_u32_e32 v5, 32, v5
	v_subrev_nc_u32_e32 v8, 28, v5
	v_sub_nc_u32_e32 v5, 29, v5
	v_lshlrev_b64 v[24:25], v8, v[6:7]
	v_and_b32_e32 v6, 7, v24
; %bb.2720:                             ;   in Loop: Header=BB259_2079 Depth=1
	s_or_b32 exec_lo, exec_lo, s22
	v_lshlrev_b32_sdwa v4, v79, v4 dst_sel:DWORD dst_unused:UNUSED_PAD src0_sel:DWORD src1_sel:BYTE_3
	v_lshlrev_b32_e32 v6, 20, v6
	v_lshl_add_u32 v5, v5, 23, 0x3c000000
	v_mov_b32_e32 v24, v7
	v_and_b32_e32 v4, 0x80000000, v4
	v_or3_b32 v25, v6, v4, v5
.LBB259_2721:                           ;   in Loop: Header=BB259_2079 Depth=1
	s_or_b32 exec_lo, exec_lo, s21
.LBB259_2722:                           ;   in Loop: Header=BB259_2079 Depth=1
	s_or_b32 exec_lo, exec_lo, s17
.LBB259_2723:                           ;   in Loop: Header=BB259_2079 Depth=1
	s_or_b32 exec_lo, exec_lo, s15
	v_or_b32_e32 v4, v23, v21
	v_or_b32_e32 v5, v22, v20
	;; [unrolled: 1-line block ×4, first 2 shown]
	v_mul_f32_e32 v4, v93, v4
	buffer_store_dword v4, off, s[0:3], s32 offset:800 ; 4-byte Folded Spill
	v_mul_f32_e32 v4, v73, v5
	buffer_store_dword v4, off, s[0:3], s32 offset:792 ; 4-byte Folded Spill
	;; [unrolled: 2-line block ×4, first 2 shown]
	s_and_saveexec_b32 s8, s6
	s_cbranch_execz .LBB259_2725
; %bb.2724:                             ;   in Loop: Header=BB259_2079 Depth=1
	buffer_load_dword v4, off, s[0:3], s32 offset:792 ; 4-byte Folded Reload
	s_waitcnt vmcnt(0)
	v_cndmask_b32_e32 v4, 0, v4, vcc_lo
	buffer_store_dword v4, off, s[0:3], s32 offset:792 ; 4-byte Folded Spill
	buffer_load_dword v4, off, s[0:3], s32 offset:800 ; 4-byte Folded Reload
	s_waitcnt vmcnt(0)
	v_cndmask_b32_e64 v4, 0, v4, s4
	buffer_store_dword v4, off, s[0:3], s32 offset:800 ; 4-byte Folded Spill
	buffer_load_dword v4, off, s[0:3], s32 offset:784 ; 4-byte Folded Reload
	s_waitcnt vmcnt(0)
	v_cndmask_b32_e64 v4, 0, v4, s5
	;; [unrolled: 4-line block ×3, first 2 shown]
	buffer_store_dword v4, off, s[0:3], s32 offset:776 ; 4-byte Folded Spill
.LBB259_2725:                           ;   in Loop: Header=BB259_2079 Depth=1
	s_or_b32 exec_lo, exec_lo, s8
	flat_load_dword v4, v[18:19] offset:384
	v_mov_b32_e32 v22, 0
	v_mov_b32_e32 v20, 0
	v_mov_b32_e32 v23, 0
	v_mov_b32_e32 v21, 0
	s_waitcnt vmcnt(0) lgkmcnt(0)
	v_cmp_ne_u16_sdwa s8, v4, v7 src0_sel:BYTE_0 src1_sel:DWORD
	s_and_saveexec_b32 s15, s8
	s_cbranch_execz .LBB259_2733
; %bb.2726:                             ;   in Loop: Header=BB259_2079 Depth=1
	v_bfrev_b32_e32 v20, 1
	v_mov_b32_e32 v21, 0
	v_cmp_ne_u16_sdwa s8, v4, v75 src0_sel:BYTE_0 src1_sel:DWORD
	s_and_saveexec_b32 s17, s8
	s_cbranch_execz .LBB259_2732
; %bb.2727:                             ;   in Loop: Header=BB259_2079 Depth=1
	v_mov_b32_e32 v20, 0x7f800001
	v_and_b32_e32 v8, 0x7f, v4
	v_mov_b32_e32 v21, 0
	s_mov_b32 s21, exec_lo
	v_cmpx_ne_u32_e32 0x7f, v8
	s_cbranch_execz .LBB259_2731
; %bb.2728:                             ;   in Loop: Header=BB259_2079 Depth=1
	v_and_b32_e32 v6, 7, v4
	v_lshrrev_b32_e32 v5, 3, v8
	s_mov_b32 s22, exec_lo
	v_cmpx_gt_u32_e32 8, v8
; %bb.2729:                             ;   in Loop: Header=BB259_2079 Depth=1
	v_ffbh_u32_e32 v5, v6
	v_min_u32_e32 v5, 32, v5
	v_subrev_nc_u32_e32 v8, 28, v5
	v_sub_nc_u32_e32 v5, 29, v5
	v_lshlrev_b64 v[20:21], v8, v[6:7]
	v_and_b32_e32 v6, 7, v20
; %bb.2730:                             ;   in Loop: Header=BB259_2079 Depth=1
	s_or_b32 exec_lo, exec_lo, s22
	v_lshlrev_b32_e32 v8, 24, v4
	v_lshlrev_b32_e32 v6, 20, v6
	v_lshl_add_u32 v5, v5, 23, 0x3c000000
	v_and_b32_e32 v8, 0x80000000, v8
	v_or3_b32 v6, v6, v8, v5
	v_mov_b32_e32 v21, v7
	v_mov_b32_e32 v20, v6
.LBB259_2731:                           ;   in Loop: Header=BB259_2079 Depth=1
	s_or_b32 exec_lo, exec_lo, s21
.LBB259_2732:                           ;   in Loop: Header=BB259_2079 Depth=1
	s_or_b32 exec_lo, exec_lo, s17
.LBB259_2733:                           ;   in Loop: Header=BB259_2079 Depth=1
	s_or_b32 exec_lo, exec_lo, s15
	v_cmp_ne_u16_sdwa s8, v4, v7 src0_sel:BYTE_1 src1_sel:DWORD
	s_and_saveexec_b32 s15, s8
	s_cbranch_execz .LBB259_2741
; %bb.2734:                             ;   in Loop: Header=BB259_2079 Depth=1
	v_mov_b32_e32 v8, v7
	v_mov_b32_e32 v23, v9
	v_cmp_ne_u16_sdwa s8, v4, v75 src0_sel:BYTE_1 src1_sel:DWORD
	v_mov_b32_e32 v22, v8
	s_and_saveexec_b32 s17, s8
	s_cbranch_execz .LBB259_2740
; %bb.2735:                             ;   in Loop: Header=BB259_2079 Depth=1
	v_and_b32_sdwa v5, v76, v4 dst_sel:DWORD dst_unused:UNUSED_PAD src0_sel:DWORD src1_sel:BYTE_1
	v_mov_b32_e32 v10, v7
	v_mov_b32_e32 v23, v11
	s_mov_b32 s21, exec_lo
	v_and_b32_e32 v8, 0x7f, v5
	v_mov_b32_e32 v22, v10
	v_cmpx_ne_u32_e32 0x7f, v8
	s_cbranch_execz .LBB259_2739
; %bb.2736:                             ;   in Loop: Header=BB259_2079 Depth=1
	v_and_b32_e32 v6, 7, v5
	v_lshrrev_b32_e32 v5, 3, v8
	s_mov_b32 s22, exec_lo
	v_cmpx_gt_u32_e32 8, v8
; %bb.2737:                             ;   in Loop: Header=BB259_2079 Depth=1
	v_ffbh_u32_e32 v5, v6
	v_min_u32_e32 v5, 32, v5
	v_subrev_nc_u32_e32 v8, 28, v5
	v_sub_nc_u32_e32 v5, 29, v5
	v_lshlrev_b64 v[22:23], v8, v[6:7]
	v_and_b32_e32 v6, 7, v22
; %bb.2738:                             ;   in Loop: Header=BB259_2079 Depth=1
	s_or_b32 exec_lo, exec_lo, s22
	v_lshlrev_b32_e32 v8, 16, v4
	v_lshlrev_b32_e32 v6, 20, v6
	v_lshl_add_u32 v5, v5, 23, 0x3c000000
	v_mov_b32_e32 v22, v7
	v_and_b32_e32 v8, 0x80000000, v8
	v_or3_b32 v23, v6, v8, v5
.LBB259_2739:                           ;   in Loop: Header=BB259_2079 Depth=1
	s_or_b32 exec_lo, exec_lo, s21
.LBB259_2740:                           ;   in Loop: Header=BB259_2079 Depth=1
	s_or_b32 exec_lo, exec_lo, s17
.LBB259_2741:                           ;   in Loop: Header=BB259_2079 Depth=1
	s_or_b32 exec_lo, exec_lo, s15
	v_mov_b32_e32 v24, 0
	v_mov_b32_e32 v26, 0
	v_and_b32_sdwa v5, v4, v77 dst_sel:DWORD dst_unused:UNUSED_PAD src0_sel:WORD_1 src1_sel:DWORD
	v_mov_b32_e32 v25, 0
	v_mov_b32_e32 v27, 0
	s_mov_b32 s15, exec_lo
	v_cmpx_ne_u16_e32 0, v5
	s_cbranch_execz .LBB259_2749
; %bb.2742:                             ;   in Loop: Header=BB259_2079 Depth=1
	v_bfrev_b32_e32 v26, 1
	v_mov_b32_e32 v27, 0
	s_mov_b32 s17, exec_lo
	v_cmpx_ne_u16_e32 0x80, v5
	s_cbranch_execz .LBB259_2748
; %bb.2743:                             ;   in Loop: Header=BB259_2079 Depth=1
	v_mov_b32_e32 v26, 0x7f800001
	v_bfe_u32 v8, v4, 16, 7
	v_mov_b32_e32 v27, 0
	s_mov_b32 s21, exec_lo
	v_cmpx_ne_u32_e32 0x7f, v8
	s_cbranch_execz .LBB259_2747
; %bb.2744:                             ;   in Loop: Header=BB259_2079 Depth=1
	v_and_b32_sdwa v6, v4, v78 dst_sel:DWORD dst_unused:UNUSED_PAD src0_sel:WORD_1 src1_sel:DWORD
	v_lshrrev_b32_e32 v5, 3, v8
	s_mov_b32 s22, exec_lo
	v_cmpx_gt_u32_e32 8, v8
; %bb.2745:                             ;   in Loop: Header=BB259_2079 Depth=1
	v_ffbh_u32_e32 v5, v6
	v_min_u32_e32 v5, 32, v5
	v_subrev_nc_u32_e32 v8, 28, v5
	v_sub_nc_u32_e32 v5, 29, v5
	v_lshlrev_b64 v[26:27], v8, v[6:7]
	v_and_b32_e32 v6, 7, v26
; %bb.2746:                             ;   in Loop: Header=BB259_2079 Depth=1
	s_or_b32 exec_lo, exec_lo, s22
	v_lshlrev_b32_sdwa v8, v79, v4 dst_sel:DWORD dst_unused:UNUSED_PAD src0_sel:DWORD src1_sel:WORD_1
	v_lshlrev_b32_e32 v6, 20, v6
	v_lshl_add_u32 v5, v5, 23, 0x3c000000
	v_and_b32_e32 v8, 0x80000000, v8
	v_or3_b32 v6, v6, v8, v5
	v_mov_b32_e32 v27, v7
	v_mov_b32_e32 v26, v6
.LBB259_2747:                           ;   in Loop: Header=BB259_2079 Depth=1
	s_or_b32 exec_lo, exec_lo, s21
.LBB259_2748:                           ;   in Loop: Header=BB259_2079 Depth=1
	s_or_b32 exec_lo, exec_lo, s17
.LBB259_2749:                           ;   in Loop: Header=BB259_2079 Depth=1
	s_or_b32 exec_lo, exec_lo, s15
	s_mov_b32 s15, exec_lo
	v_cmpx_lt_u32_e32 0xffffff, v4
	s_cbranch_execz .LBB259_2757
; %bb.2750:                             ;   in Loop: Header=BB259_2079 Depth=1
	v_mov_b32_e32 v8, v7
	v_mov_b32_e32 v25, v9
	v_cmp_ne_u32_sdwa s8, v4, v75 src0_sel:BYTE_3 src1_sel:DWORD
	v_mov_b32_e32 v24, v8
	s_and_saveexec_b32 s17, s8
	s_cbranch_execz .LBB259_2756
; %bb.2751:                             ;   in Loop: Header=BB259_2079 Depth=1
	v_mov_b32_e32 v10, v7
	v_mov_b32_e32 v25, v11
	v_bfe_u32 v8, v4, 24, 7
	s_mov_b32 s21, exec_lo
	v_mov_b32_e32 v24, v10
	v_cmpx_ne_u32_e32 0x7f, v8
	s_cbranch_execz .LBB259_2755
; %bb.2752:                             ;   in Loop: Header=BB259_2079 Depth=1
	v_and_b32_sdwa v6, v4, v78 dst_sel:DWORD dst_unused:UNUSED_PAD src0_sel:BYTE_3 src1_sel:DWORD
	v_lshrrev_b32_e32 v5, 3, v8
	s_mov_b32 s22, exec_lo
	v_cmpx_gt_u32_e32 8, v8
; %bb.2753:                             ;   in Loop: Header=BB259_2079 Depth=1
	v_ffbh_u32_e32 v5, v6
	v_min_u32_e32 v5, 32, v5
	v_subrev_nc_u32_e32 v8, 28, v5
	v_sub_nc_u32_e32 v5, 29, v5
	v_lshlrev_b64 v[24:25], v8, v[6:7]
	v_and_b32_e32 v6, 7, v24
; %bb.2754:                             ;   in Loop: Header=BB259_2079 Depth=1
	s_or_b32 exec_lo, exec_lo, s22
	v_lshlrev_b32_sdwa v4, v79, v4 dst_sel:DWORD dst_unused:UNUSED_PAD src0_sel:DWORD src1_sel:BYTE_3
	v_lshlrev_b32_e32 v6, 20, v6
	v_lshl_add_u32 v5, v5, 23, 0x3c000000
	v_mov_b32_e32 v24, v7
	v_and_b32_e32 v4, 0x80000000, v4
	v_or3_b32 v25, v6, v4, v5
.LBB259_2755:                           ;   in Loop: Header=BB259_2079 Depth=1
	s_or_b32 exec_lo, exec_lo, s21
.LBB259_2756:                           ;   in Loop: Header=BB259_2079 Depth=1
	s_or_b32 exec_lo, exec_lo, s17
.LBB259_2757:                           ;   in Loop: Header=BB259_2079 Depth=1
	s_or_b32 exec_lo, exec_lo, s15
	v_or_b32_e32 v4, v23, v21
	v_or_b32_e32 v5, v22, v20
	;; [unrolled: 1-line block ×4, first 2 shown]
	v_mul_f32_e32 v4, v93, v4
	buffer_store_dword v4, off, s[0:3], s32 offset:832 ; 4-byte Folded Spill
	v_mul_f32_e32 v4, v73, v5
	buffer_store_dword v4, off, s[0:3], s32 offset:824 ; 4-byte Folded Spill
	;; [unrolled: 2-line block ×4, first 2 shown]
	s_and_saveexec_b32 s8, s6
	s_cbranch_execz .LBB259_2759
; %bb.2758:                             ;   in Loop: Header=BB259_2079 Depth=1
	buffer_load_dword v4, off, s[0:3], s32 offset:824 ; 4-byte Folded Reload
	s_waitcnt vmcnt(0)
	v_cndmask_b32_e32 v4, 0, v4, vcc_lo
	buffer_store_dword v4, off, s[0:3], s32 offset:824 ; 4-byte Folded Spill
	buffer_load_dword v4, off, s[0:3], s32 offset:832 ; 4-byte Folded Reload
	s_waitcnt vmcnt(0)
	v_cndmask_b32_e64 v4, 0, v4, s4
	buffer_store_dword v4, off, s[0:3], s32 offset:832 ; 4-byte Folded Spill
	buffer_load_dword v4, off, s[0:3], s32 offset:816 ; 4-byte Folded Reload
	s_waitcnt vmcnt(0)
	v_cndmask_b32_e64 v4, 0, v4, s5
	;; [unrolled: 4-line block ×3, first 2 shown]
	buffer_store_dword v4, off, s[0:3], s32 offset:808 ; 4-byte Folded Spill
.LBB259_2759:                           ;   in Loop: Header=BB259_2079 Depth=1
	s_or_b32 exec_lo, exec_lo, s8
	flat_load_dword v4, v[18:19] offset:512
	v_mov_b32_e32 v22, 0
	v_mov_b32_e32 v20, 0
	;; [unrolled: 1-line block ×4, first 2 shown]
	s_waitcnt vmcnt(0) lgkmcnt(0)
	v_cmp_ne_u16_sdwa s8, v4, v7 src0_sel:BYTE_0 src1_sel:DWORD
	s_and_saveexec_b32 s15, s8
	s_cbranch_execz .LBB259_2767
; %bb.2760:                             ;   in Loop: Header=BB259_2079 Depth=1
	v_bfrev_b32_e32 v20, 1
	v_mov_b32_e32 v21, 0
	v_cmp_ne_u16_sdwa s8, v4, v75 src0_sel:BYTE_0 src1_sel:DWORD
	s_and_saveexec_b32 s17, s8
	s_cbranch_execz .LBB259_2766
; %bb.2761:                             ;   in Loop: Header=BB259_2079 Depth=1
	v_mov_b32_e32 v20, 0x7f800001
	v_and_b32_e32 v8, 0x7f, v4
	v_mov_b32_e32 v21, 0
	s_mov_b32 s21, exec_lo
	v_cmpx_ne_u32_e32 0x7f, v8
	s_cbranch_execz .LBB259_2765
; %bb.2762:                             ;   in Loop: Header=BB259_2079 Depth=1
	v_and_b32_e32 v6, 7, v4
	v_lshrrev_b32_e32 v5, 3, v8
	s_mov_b32 s22, exec_lo
	v_cmpx_gt_u32_e32 8, v8
; %bb.2763:                             ;   in Loop: Header=BB259_2079 Depth=1
	v_ffbh_u32_e32 v5, v6
	v_min_u32_e32 v5, 32, v5
	v_subrev_nc_u32_e32 v8, 28, v5
	v_sub_nc_u32_e32 v5, 29, v5
	v_lshlrev_b64 v[20:21], v8, v[6:7]
	v_and_b32_e32 v6, 7, v20
; %bb.2764:                             ;   in Loop: Header=BB259_2079 Depth=1
	s_or_b32 exec_lo, exec_lo, s22
	v_lshlrev_b32_e32 v8, 24, v4
	v_lshlrev_b32_e32 v6, 20, v6
	v_lshl_add_u32 v5, v5, 23, 0x3c000000
	v_and_b32_e32 v8, 0x80000000, v8
	v_or3_b32 v6, v6, v8, v5
	v_mov_b32_e32 v21, v7
	v_mov_b32_e32 v20, v6
.LBB259_2765:                           ;   in Loop: Header=BB259_2079 Depth=1
	s_or_b32 exec_lo, exec_lo, s21
.LBB259_2766:                           ;   in Loop: Header=BB259_2079 Depth=1
	s_or_b32 exec_lo, exec_lo, s17
.LBB259_2767:                           ;   in Loop: Header=BB259_2079 Depth=1
	s_or_b32 exec_lo, exec_lo, s15
	v_cmp_ne_u16_sdwa s8, v4, v7 src0_sel:BYTE_1 src1_sel:DWORD
	s_and_saveexec_b32 s15, s8
	s_cbranch_execz .LBB259_2775
; %bb.2768:                             ;   in Loop: Header=BB259_2079 Depth=1
	v_mov_b32_e32 v8, v7
	v_mov_b32_e32 v23, v9
	v_cmp_ne_u16_sdwa s8, v4, v75 src0_sel:BYTE_1 src1_sel:DWORD
	v_mov_b32_e32 v22, v8
	s_and_saveexec_b32 s17, s8
	s_cbranch_execz .LBB259_2774
; %bb.2769:                             ;   in Loop: Header=BB259_2079 Depth=1
	v_and_b32_sdwa v5, v76, v4 dst_sel:DWORD dst_unused:UNUSED_PAD src0_sel:DWORD src1_sel:BYTE_1
	v_mov_b32_e32 v10, v7
	v_mov_b32_e32 v23, v11
	s_mov_b32 s21, exec_lo
	v_and_b32_e32 v8, 0x7f, v5
	v_mov_b32_e32 v22, v10
	v_cmpx_ne_u32_e32 0x7f, v8
	s_cbranch_execz .LBB259_2773
; %bb.2770:                             ;   in Loop: Header=BB259_2079 Depth=1
	v_and_b32_e32 v6, 7, v5
	v_lshrrev_b32_e32 v5, 3, v8
	s_mov_b32 s22, exec_lo
	v_cmpx_gt_u32_e32 8, v8
; %bb.2771:                             ;   in Loop: Header=BB259_2079 Depth=1
	v_ffbh_u32_e32 v5, v6
	v_min_u32_e32 v5, 32, v5
	v_subrev_nc_u32_e32 v8, 28, v5
	v_sub_nc_u32_e32 v5, 29, v5
	v_lshlrev_b64 v[22:23], v8, v[6:7]
	v_and_b32_e32 v6, 7, v22
; %bb.2772:                             ;   in Loop: Header=BB259_2079 Depth=1
	s_or_b32 exec_lo, exec_lo, s22
	v_lshlrev_b32_e32 v8, 16, v4
	v_lshlrev_b32_e32 v6, 20, v6
	v_lshl_add_u32 v5, v5, 23, 0x3c000000
	v_mov_b32_e32 v22, v7
	v_and_b32_e32 v8, 0x80000000, v8
	v_or3_b32 v23, v6, v8, v5
.LBB259_2773:                           ;   in Loop: Header=BB259_2079 Depth=1
	s_or_b32 exec_lo, exec_lo, s21
.LBB259_2774:                           ;   in Loop: Header=BB259_2079 Depth=1
	s_or_b32 exec_lo, exec_lo, s17
.LBB259_2775:                           ;   in Loop: Header=BB259_2079 Depth=1
	s_or_b32 exec_lo, exec_lo, s15
	v_mov_b32_e32 v24, 0
	v_mov_b32_e32 v26, 0
	v_and_b32_sdwa v5, v4, v77 dst_sel:DWORD dst_unused:UNUSED_PAD src0_sel:WORD_1 src1_sel:DWORD
	v_mov_b32_e32 v25, 0
	v_mov_b32_e32 v27, 0
	s_mov_b32 s15, exec_lo
	v_cmpx_ne_u16_e32 0, v5
	s_cbranch_execz .LBB259_2783
; %bb.2776:                             ;   in Loop: Header=BB259_2079 Depth=1
	v_bfrev_b32_e32 v26, 1
	v_mov_b32_e32 v27, 0
	s_mov_b32 s17, exec_lo
	v_cmpx_ne_u16_e32 0x80, v5
	s_cbranch_execz .LBB259_2782
; %bb.2777:                             ;   in Loop: Header=BB259_2079 Depth=1
	v_mov_b32_e32 v26, 0x7f800001
	v_bfe_u32 v8, v4, 16, 7
	v_mov_b32_e32 v27, 0
	s_mov_b32 s21, exec_lo
	v_cmpx_ne_u32_e32 0x7f, v8
	s_cbranch_execz .LBB259_2781
; %bb.2778:                             ;   in Loop: Header=BB259_2079 Depth=1
	v_and_b32_sdwa v6, v4, v78 dst_sel:DWORD dst_unused:UNUSED_PAD src0_sel:WORD_1 src1_sel:DWORD
	v_lshrrev_b32_e32 v5, 3, v8
	s_mov_b32 s22, exec_lo
	v_cmpx_gt_u32_e32 8, v8
; %bb.2779:                             ;   in Loop: Header=BB259_2079 Depth=1
	v_ffbh_u32_e32 v5, v6
	v_min_u32_e32 v5, 32, v5
	v_subrev_nc_u32_e32 v8, 28, v5
	v_sub_nc_u32_e32 v5, 29, v5
	v_lshlrev_b64 v[26:27], v8, v[6:7]
	v_and_b32_e32 v6, 7, v26
; %bb.2780:                             ;   in Loop: Header=BB259_2079 Depth=1
	s_or_b32 exec_lo, exec_lo, s22
	v_lshlrev_b32_sdwa v8, v79, v4 dst_sel:DWORD dst_unused:UNUSED_PAD src0_sel:DWORD src1_sel:WORD_1
	v_lshlrev_b32_e32 v6, 20, v6
	v_lshl_add_u32 v5, v5, 23, 0x3c000000
	v_and_b32_e32 v8, 0x80000000, v8
	v_or3_b32 v6, v6, v8, v5
	v_mov_b32_e32 v27, v7
	v_mov_b32_e32 v26, v6
.LBB259_2781:                           ;   in Loop: Header=BB259_2079 Depth=1
	s_or_b32 exec_lo, exec_lo, s21
.LBB259_2782:                           ;   in Loop: Header=BB259_2079 Depth=1
	s_or_b32 exec_lo, exec_lo, s17
.LBB259_2783:                           ;   in Loop: Header=BB259_2079 Depth=1
	s_or_b32 exec_lo, exec_lo, s15
	s_mov_b32 s15, exec_lo
	v_cmpx_lt_u32_e32 0xffffff, v4
	s_cbranch_execz .LBB259_2791
; %bb.2784:                             ;   in Loop: Header=BB259_2079 Depth=1
	v_mov_b32_e32 v8, v7
	v_mov_b32_e32 v25, v9
	v_cmp_ne_u32_sdwa s8, v4, v75 src0_sel:BYTE_3 src1_sel:DWORD
	v_mov_b32_e32 v24, v8
	s_and_saveexec_b32 s17, s8
	s_cbranch_execz .LBB259_2790
; %bb.2785:                             ;   in Loop: Header=BB259_2079 Depth=1
	v_mov_b32_e32 v10, v7
	v_mov_b32_e32 v25, v11
	v_bfe_u32 v8, v4, 24, 7
	s_mov_b32 s21, exec_lo
	v_mov_b32_e32 v24, v10
	v_cmpx_ne_u32_e32 0x7f, v8
	s_cbranch_execz .LBB259_2789
; %bb.2786:                             ;   in Loop: Header=BB259_2079 Depth=1
	v_and_b32_sdwa v6, v4, v78 dst_sel:DWORD dst_unused:UNUSED_PAD src0_sel:BYTE_3 src1_sel:DWORD
	v_lshrrev_b32_e32 v5, 3, v8
	s_mov_b32 s22, exec_lo
	v_cmpx_gt_u32_e32 8, v8
; %bb.2787:                             ;   in Loop: Header=BB259_2079 Depth=1
	v_ffbh_u32_e32 v5, v6
	v_min_u32_e32 v5, 32, v5
	v_subrev_nc_u32_e32 v8, 28, v5
	v_sub_nc_u32_e32 v5, 29, v5
	v_lshlrev_b64 v[24:25], v8, v[6:7]
	v_and_b32_e32 v6, 7, v24
; %bb.2788:                             ;   in Loop: Header=BB259_2079 Depth=1
	s_or_b32 exec_lo, exec_lo, s22
	v_lshlrev_b32_sdwa v4, v79, v4 dst_sel:DWORD dst_unused:UNUSED_PAD src0_sel:DWORD src1_sel:BYTE_3
	v_lshlrev_b32_e32 v6, 20, v6
	v_lshl_add_u32 v5, v5, 23, 0x3c000000
	v_mov_b32_e32 v24, v7
	v_and_b32_e32 v4, 0x80000000, v4
	v_or3_b32 v25, v6, v4, v5
.LBB259_2789:                           ;   in Loop: Header=BB259_2079 Depth=1
	s_or_b32 exec_lo, exec_lo, s21
.LBB259_2790:                           ;   in Loop: Header=BB259_2079 Depth=1
	s_or_b32 exec_lo, exec_lo, s17
.LBB259_2791:                           ;   in Loop: Header=BB259_2079 Depth=1
	s_or_b32 exec_lo, exec_lo, s15
	v_or_b32_e32 v4, v23, v21
	v_or_b32_e32 v5, v22, v20
	;; [unrolled: 1-line block ×4, first 2 shown]
	v_mul_f32_e32 v4, v93, v4
	buffer_store_dword v4, off, s[0:3], s32 offset:864 ; 4-byte Folded Spill
	v_mul_f32_e32 v4, v73, v5
	buffer_store_dword v4, off, s[0:3], s32 offset:856 ; 4-byte Folded Spill
	;; [unrolled: 2-line block ×4, first 2 shown]
	s_and_saveexec_b32 s8, s6
	s_cbranch_execz .LBB259_2793
; %bb.2792:                             ;   in Loop: Header=BB259_2079 Depth=1
	buffer_load_dword v4, off, s[0:3], s32 offset:856 ; 4-byte Folded Reload
	s_waitcnt vmcnt(0)
	v_cndmask_b32_e32 v4, 0, v4, vcc_lo
	buffer_store_dword v4, off, s[0:3], s32 offset:856 ; 4-byte Folded Spill
	buffer_load_dword v4, off, s[0:3], s32 offset:864 ; 4-byte Folded Reload
	s_waitcnt vmcnt(0)
	v_cndmask_b32_e64 v4, 0, v4, s4
	buffer_store_dword v4, off, s[0:3], s32 offset:864 ; 4-byte Folded Spill
	buffer_load_dword v4, off, s[0:3], s32 offset:848 ; 4-byte Folded Reload
	s_waitcnt vmcnt(0)
	v_cndmask_b32_e64 v4, 0, v4, s5
	;; [unrolled: 4-line block ×3, first 2 shown]
	buffer_store_dword v4, off, s[0:3], s32 offset:840 ; 4-byte Folded Spill
.LBB259_2793:                           ;   in Loop: Header=BB259_2079 Depth=1
	s_or_b32 exec_lo, exec_lo, s8
	flat_load_dword v4, v[18:19] offset:640
	v_mov_b32_e32 v22, 0
	v_mov_b32_e32 v20, 0
	;; [unrolled: 1-line block ×4, first 2 shown]
	s_waitcnt vmcnt(0) lgkmcnt(0)
	v_cmp_ne_u16_sdwa s8, v4, v7 src0_sel:BYTE_0 src1_sel:DWORD
	s_and_saveexec_b32 s15, s8
	s_cbranch_execz .LBB259_2801
; %bb.2794:                             ;   in Loop: Header=BB259_2079 Depth=1
	v_bfrev_b32_e32 v20, 1
	v_mov_b32_e32 v21, 0
	v_cmp_ne_u16_sdwa s8, v4, v75 src0_sel:BYTE_0 src1_sel:DWORD
	s_and_saveexec_b32 s17, s8
	s_cbranch_execz .LBB259_2800
; %bb.2795:                             ;   in Loop: Header=BB259_2079 Depth=1
	v_mov_b32_e32 v20, 0x7f800001
	v_and_b32_e32 v8, 0x7f, v4
	v_mov_b32_e32 v21, 0
	s_mov_b32 s21, exec_lo
	v_cmpx_ne_u32_e32 0x7f, v8
	s_cbranch_execz .LBB259_2799
; %bb.2796:                             ;   in Loop: Header=BB259_2079 Depth=1
	v_and_b32_e32 v6, 7, v4
	v_lshrrev_b32_e32 v5, 3, v8
	s_mov_b32 s22, exec_lo
	v_cmpx_gt_u32_e32 8, v8
; %bb.2797:                             ;   in Loop: Header=BB259_2079 Depth=1
	v_ffbh_u32_e32 v5, v6
	v_min_u32_e32 v5, 32, v5
	v_subrev_nc_u32_e32 v8, 28, v5
	v_sub_nc_u32_e32 v5, 29, v5
	v_lshlrev_b64 v[20:21], v8, v[6:7]
	v_and_b32_e32 v6, 7, v20
; %bb.2798:                             ;   in Loop: Header=BB259_2079 Depth=1
	s_or_b32 exec_lo, exec_lo, s22
	v_lshlrev_b32_e32 v8, 24, v4
	v_lshlrev_b32_e32 v6, 20, v6
	v_lshl_add_u32 v5, v5, 23, 0x3c000000
	v_and_b32_e32 v8, 0x80000000, v8
	v_or3_b32 v6, v6, v8, v5
	v_mov_b32_e32 v21, v7
	v_mov_b32_e32 v20, v6
.LBB259_2799:                           ;   in Loop: Header=BB259_2079 Depth=1
	s_or_b32 exec_lo, exec_lo, s21
.LBB259_2800:                           ;   in Loop: Header=BB259_2079 Depth=1
	s_or_b32 exec_lo, exec_lo, s17
.LBB259_2801:                           ;   in Loop: Header=BB259_2079 Depth=1
	s_or_b32 exec_lo, exec_lo, s15
	v_cmp_ne_u16_sdwa s8, v4, v7 src0_sel:BYTE_1 src1_sel:DWORD
	s_and_saveexec_b32 s15, s8
	s_cbranch_execz .LBB259_2809
; %bb.2802:                             ;   in Loop: Header=BB259_2079 Depth=1
	v_mov_b32_e32 v8, v7
	v_mov_b32_e32 v23, v9
	v_cmp_ne_u16_sdwa s8, v4, v75 src0_sel:BYTE_1 src1_sel:DWORD
	v_mov_b32_e32 v22, v8
	s_and_saveexec_b32 s17, s8
	s_cbranch_execz .LBB259_2808
; %bb.2803:                             ;   in Loop: Header=BB259_2079 Depth=1
	v_and_b32_sdwa v5, v76, v4 dst_sel:DWORD dst_unused:UNUSED_PAD src0_sel:DWORD src1_sel:BYTE_1
	v_mov_b32_e32 v10, v7
	v_mov_b32_e32 v23, v11
	s_mov_b32 s21, exec_lo
	v_and_b32_e32 v8, 0x7f, v5
	v_mov_b32_e32 v22, v10
	v_cmpx_ne_u32_e32 0x7f, v8
	s_cbranch_execz .LBB259_2807
; %bb.2804:                             ;   in Loop: Header=BB259_2079 Depth=1
	v_and_b32_e32 v6, 7, v5
	v_lshrrev_b32_e32 v5, 3, v8
	s_mov_b32 s22, exec_lo
	v_cmpx_gt_u32_e32 8, v8
; %bb.2805:                             ;   in Loop: Header=BB259_2079 Depth=1
	v_ffbh_u32_e32 v5, v6
	v_min_u32_e32 v5, 32, v5
	v_subrev_nc_u32_e32 v8, 28, v5
	v_sub_nc_u32_e32 v5, 29, v5
	v_lshlrev_b64 v[22:23], v8, v[6:7]
	v_and_b32_e32 v6, 7, v22
; %bb.2806:                             ;   in Loop: Header=BB259_2079 Depth=1
	s_or_b32 exec_lo, exec_lo, s22
	v_lshlrev_b32_e32 v8, 16, v4
	v_lshlrev_b32_e32 v6, 20, v6
	v_lshl_add_u32 v5, v5, 23, 0x3c000000
	v_mov_b32_e32 v22, v7
	v_and_b32_e32 v8, 0x80000000, v8
	v_or3_b32 v23, v6, v8, v5
.LBB259_2807:                           ;   in Loop: Header=BB259_2079 Depth=1
	s_or_b32 exec_lo, exec_lo, s21
.LBB259_2808:                           ;   in Loop: Header=BB259_2079 Depth=1
	s_or_b32 exec_lo, exec_lo, s17
.LBB259_2809:                           ;   in Loop: Header=BB259_2079 Depth=1
	s_or_b32 exec_lo, exec_lo, s15
	v_mov_b32_e32 v24, 0
	v_mov_b32_e32 v26, 0
	v_and_b32_sdwa v5, v4, v77 dst_sel:DWORD dst_unused:UNUSED_PAD src0_sel:WORD_1 src1_sel:DWORD
	v_mov_b32_e32 v25, 0
	v_mov_b32_e32 v27, 0
	s_mov_b32 s15, exec_lo
	v_cmpx_ne_u16_e32 0, v5
	s_cbranch_execz .LBB259_2817
; %bb.2810:                             ;   in Loop: Header=BB259_2079 Depth=1
	v_bfrev_b32_e32 v26, 1
	v_mov_b32_e32 v27, 0
	s_mov_b32 s17, exec_lo
	v_cmpx_ne_u16_e32 0x80, v5
	s_cbranch_execz .LBB259_2816
; %bb.2811:                             ;   in Loop: Header=BB259_2079 Depth=1
	v_mov_b32_e32 v26, 0x7f800001
	v_bfe_u32 v8, v4, 16, 7
	v_mov_b32_e32 v27, 0
	s_mov_b32 s21, exec_lo
	v_cmpx_ne_u32_e32 0x7f, v8
	s_cbranch_execz .LBB259_2815
; %bb.2812:                             ;   in Loop: Header=BB259_2079 Depth=1
	v_and_b32_sdwa v6, v4, v78 dst_sel:DWORD dst_unused:UNUSED_PAD src0_sel:WORD_1 src1_sel:DWORD
	v_lshrrev_b32_e32 v5, 3, v8
	s_mov_b32 s22, exec_lo
	v_cmpx_gt_u32_e32 8, v8
; %bb.2813:                             ;   in Loop: Header=BB259_2079 Depth=1
	v_ffbh_u32_e32 v5, v6
	v_min_u32_e32 v5, 32, v5
	v_subrev_nc_u32_e32 v8, 28, v5
	v_sub_nc_u32_e32 v5, 29, v5
	v_lshlrev_b64 v[26:27], v8, v[6:7]
	v_and_b32_e32 v6, 7, v26
; %bb.2814:                             ;   in Loop: Header=BB259_2079 Depth=1
	s_or_b32 exec_lo, exec_lo, s22
	v_lshlrev_b32_sdwa v8, v79, v4 dst_sel:DWORD dst_unused:UNUSED_PAD src0_sel:DWORD src1_sel:WORD_1
	v_lshlrev_b32_e32 v6, 20, v6
	v_lshl_add_u32 v5, v5, 23, 0x3c000000
	v_and_b32_e32 v8, 0x80000000, v8
	v_or3_b32 v6, v6, v8, v5
	v_mov_b32_e32 v27, v7
	v_mov_b32_e32 v26, v6
.LBB259_2815:                           ;   in Loop: Header=BB259_2079 Depth=1
	s_or_b32 exec_lo, exec_lo, s21
.LBB259_2816:                           ;   in Loop: Header=BB259_2079 Depth=1
	s_or_b32 exec_lo, exec_lo, s17
.LBB259_2817:                           ;   in Loop: Header=BB259_2079 Depth=1
	s_or_b32 exec_lo, exec_lo, s15
	s_mov_b32 s15, exec_lo
	v_cmpx_lt_u32_e32 0xffffff, v4
	s_cbranch_execz .LBB259_2825
; %bb.2818:                             ;   in Loop: Header=BB259_2079 Depth=1
	v_mov_b32_e32 v8, v7
	v_mov_b32_e32 v25, v9
	v_cmp_ne_u32_sdwa s8, v4, v75 src0_sel:BYTE_3 src1_sel:DWORD
	v_mov_b32_e32 v24, v8
	s_and_saveexec_b32 s17, s8
	s_cbranch_execz .LBB259_2824
; %bb.2819:                             ;   in Loop: Header=BB259_2079 Depth=1
	v_mov_b32_e32 v10, v7
	v_mov_b32_e32 v25, v11
	v_bfe_u32 v8, v4, 24, 7
	s_mov_b32 s21, exec_lo
	v_mov_b32_e32 v24, v10
	v_cmpx_ne_u32_e32 0x7f, v8
	s_cbranch_execz .LBB259_2823
; %bb.2820:                             ;   in Loop: Header=BB259_2079 Depth=1
	v_and_b32_sdwa v6, v4, v78 dst_sel:DWORD dst_unused:UNUSED_PAD src0_sel:BYTE_3 src1_sel:DWORD
	v_lshrrev_b32_e32 v5, 3, v8
	s_mov_b32 s22, exec_lo
	v_cmpx_gt_u32_e32 8, v8
; %bb.2821:                             ;   in Loop: Header=BB259_2079 Depth=1
	v_ffbh_u32_e32 v5, v6
	v_min_u32_e32 v5, 32, v5
	v_subrev_nc_u32_e32 v8, 28, v5
	v_sub_nc_u32_e32 v5, 29, v5
	v_lshlrev_b64 v[24:25], v8, v[6:7]
	v_and_b32_e32 v6, 7, v24
; %bb.2822:                             ;   in Loop: Header=BB259_2079 Depth=1
	s_or_b32 exec_lo, exec_lo, s22
	v_lshlrev_b32_sdwa v4, v79, v4 dst_sel:DWORD dst_unused:UNUSED_PAD src0_sel:DWORD src1_sel:BYTE_3
	v_lshlrev_b32_e32 v6, 20, v6
	v_lshl_add_u32 v5, v5, 23, 0x3c000000
	v_mov_b32_e32 v24, v7
	v_and_b32_e32 v4, 0x80000000, v4
	v_or3_b32 v25, v6, v4, v5
.LBB259_2823:                           ;   in Loop: Header=BB259_2079 Depth=1
	s_or_b32 exec_lo, exec_lo, s21
.LBB259_2824:                           ;   in Loop: Header=BB259_2079 Depth=1
	s_or_b32 exec_lo, exec_lo, s17
.LBB259_2825:                           ;   in Loop: Header=BB259_2079 Depth=1
	s_or_b32 exec_lo, exec_lo, s15
	v_or_b32_e32 v4, v23, v21
	v_or_b32_e32 v5, v22, v20
	;; [unrolled: 1-line block ×4, first 2 shown]
	v_mul_f32_e32 v4, v93, v4
	buffer_store_dword v4, off, s[0:3], s32 offset:896 ; 4-byte Folded Spill
	v_mul_f32_e32 v4, v73, v5
	buffer_store_dword v4, off, s[0:3], s32 offset:888 ; 4-byte Folded Spill
	;; [unrolled: 2-line block ×4, first 2 shown]
	s_and_saveexec_b32 s8, s6
	s_cbranch_execz .LBB259_2827
; %bb.2826:                             ;   in Loop: Header=BB259_2079 Depth=1
	buffer_load_dword v4, off, s[0:3], s32 offset:888 ; 4-byte Folded Reload
	s_waitcnt vmcnt(0)
	v_cndmask_b32_e32 v4, 0, v4, vcc_lo
	buffer_store_dword v4, off, s[0:3], s32 offset:888 ; 4-byte Folded Spill
	buffer_load_dword v4, off, s[0:3], s32 offset:896 ; 4-byte Folded Reload
	s_waitcnt vmcnt(0)
	v_cndmask_b32_e64 v4, 0, v4, s4
	buffer_store_dword v4, off, s[0:3], s32 offset:896 ; 4-byte Folded Spill
	buffer_load_dword v4, off, s[0:3], s32 offset:880 ; 4-byte Folded Reload
	s_waitcnt vmcnt(0)
	v_cndmask_b32_e64 v4, 0, v4, s5
	;; [unrolled: 4-line block ×3, first 2 shown]
	buffer_store_dword v4, off, s[0:3], s32 offset:872 ; 4-byte Folded Spill
.LBB259_2827:                           ;   in Loop: Header=BB259_2079 Depth=1
	s_or_b32 exec_lo, exec_lo, s8
	flat_load_dword v4, v[18:19] offset:768
	v_mov_b32_e32 v22, 0
	v_mov_b32_e32 v20, 0
	;; [unrolled: 1-line block ×4, first 2 shown]
	s_waitcnt vmcnt(0) lgkmcnt(0)
	v_cmp_ne_u16_sdwa s8, v4, v7 src0_sel:BYTE_0 src1_sel:DWORD
	s_and_saveexec_b32 s15, s8
	s_cbranch_execz .LBB259_2835
; %bb.2828:                             ;   in Loop: Header=BB259_2079 Depth=1
	v_bfrev_b32_e32 v20, 1
	v_mov_b32_e32 v21, 0
	v_cmp_ne_u16_sdwa s8, v4, v75 src0_sel:BYTE_0 src1_sel:DWORD
	s_and_saveexec_b32 s17, s8
	s_cbranch_execz .LBB259_2834
; %bb.2829:                             ;   in Loop: Header=BB259_2079 Depth=1
	v_mov_b32_e32 v20, 0x7f800001
	v_and_b32_e32 v8, 0x7f, v4
	v_mov_b32_e32 v21, 0
	s_mov_b32 s21, exec_lo
	v_cmpx_ne_u32_e32 0x7f, v8
	s_cbranch_execz .LBB259_2833
; %bb.2830:                             ;   in Loop: Header=BB259_2079 Depth=1
	v_and_b32_e32 v6, 7, v4
	v_lshrrev_b32_e32 v5, 3, v8
	s_mov_b32 s22, exec_lo
	v_cmpx_gt_u32_e32 8, v8
; %bb.2831:                             ;   in Loop: Header=BB259_2079 Depth=1
	v_ffbh_u32_e32 v5, v6
	v_min_u32_e32 v5, 32, v5
	v_subrev_nc_u32_e32 v8, 28, v5
	v_sub_nc_u32_e32 v5, 29, v5
	v_lshlrev_b64 v[20:21], v8, v[6:7]
	v_and_b32_e32 v6, 7, v20
; %bb.2832:                             ;   in Loop: Header=BB259_2079 Depth=1
	s_or_b32 exec_lo, exec_lo, s22
	v_lshlrev_b32_e32 v8, 24, v4
	v_lshlrev_b32_e32 v6, 20, v6
	v_lshl_add_u32 v5, v5, 23, 0x3c000000
	v_and_b32_e32 v8, 0x80000000, v8
	v_or3_b32 v6, v6, v8, v5
	v_mov_b32_e32 v21, v7
	v_mov_b32_e32 v20, v6
.LBB259_2833:                           ;   in Loop: Header=BB259_2079 Depth=1
	s_or_b32 exec_lo, exec_lo, s21
.LBB259_2834:                           ;   in Loop: Header=BB259_2079 Depth=1
	s_or_b32 exec_lo, exec_lo, s17
.LBB259_2835:                           ;   in Loop: Header=BB259_2079 Depth=1
	s_or_b32 exec_lo, exec_lo, s15
	v_cmp_ne_u16_sdwa s8, v4, v7 src0_sel:BYTE_1 src1_sel:DWORD
	s_and_saveexec_b32 s15, s8
	s_cbranch_execz .LBB259_2843
; %bb.2836:                             ;   in Loop: Header=BB259_2079 Depth=1
	v_mov_b32_e32 v8, v7
	v_mov_b32_e32 v23, v9
	v_cmp_ne_u16_sdwa s8, v4, v75 src0_sel:BYTE_1 src1_sel:DWORD
	v_mov_b32_e32 v22, v8
	s_and_saveexec_b32 s17, s8
	s_cbranch_execz .LBB259_2842
; %bb.2837:                             ;   in Loop: Header=BB259_2079 Depth=1
	v_and_b32_sdwa v5, v76, v4 dst_sel:DWORD dst_unused:UNUSED_PAD src0_sel:DWORD src1_sel:BYTE_1
	v_mov_b32_e32 v10, v7
	v_mov_b32_e32 v23, v11
	s_mov_b32 s21, exec_lo
	v_and_b32_e32 v8, 0x7f, v5
	v_mov_b32_e32 v22, v10
	v_cmpx_ne_u32_e32 0x7f, v8
	s_cbranch_execz .LBB259_2841
; %bb.2838:                             ;   in Loop: Header=BB259_2079 Depth=1
	v_and_b32_e32 v6, 7, v5
	v_lshrrev_b32_e32 v5, 3, v8
	s_mov_b32 s22, exec_lo
	v_cmpx_gt_u32_e32 8, v8
; %bb.2839:                             ;   in Loop: Header=BB259_2079 Depth=1
	v_ffbh_u32_e32 v5, v6
	v_min_u32_e32 v5, 32, v5
	v_subrev_nc_u32_e32 v8, 28, v5
	v_sub_nc_u32_e32 v5, 29, v5
	v_lshlrev_b64 v[22:23], v8, v[6:7]
	v_and_b32_e32 v6, 7, v22
; %bb.2840:                             ;   in Loop: Header=BB259_2079 Depth=1
	s_or_b32 exec_lo, exec_lo, s22
	v_lshlrev_b32_e32 v8, 16, v4
	v_lshlrev_b32_e32 v6, 20, v6
	v_lshl_add_u32 v5, v5, 23, 0x3c000000
	v_mov_b32_e32 v22, v7
	v_and_b32_e32 v8, 0x80000000, v8
	v_or3_b32 v23, v6, v8, v5
.LBB259_2841:                           ;   in Loop: Header=BB259_2079 Depth=1
	s_or_b32 exec_lo, exec_lo, s21
.LBB259_2842:                           ;   in Loop: Header=BB259_2079 Depth=1
	s_or_b32 exec_lo, exec_lo, s17
.LBB259_2843:                           ;   in Loop: Header=BB259_2079 Depth=1
	s_or_b32 exec_lo, exec_lo, s15
	v_mov_b32_e32 v24, 0
	v_mov_b32_e32 v26, 0
	v_and_b32_sdwa v5, v4, v77 dst_sel:DWORD dst_unused:UNUSED_PAD src0_sel:WORD_1 src1_sel:DWORD
	v_mov_b32_e32 v25, 0
	v_mov_b32_e32 v27, 0
	s_mov_b32 s15, exec_lo
	v_cmpx_ne_u16_e32 0, v5
	s_cbranch_execz .LBB259_2851
; %bb.2844:                             ;   in Loop: Header=BB259_2079 Depth=1
	v_bfrev_b32_e32 v26, 1
	v_mov_b32_e32 v27, 0
	s_mov_b32 s17, exec_lo
	v_cmpx_ne_u16_e32 0x80, v5
	s_cbranch_execz .LBB259_2850
; %bb.2845:                             ;   in Loop: Header=BB259_2079 Depth=1
	v_mov_b32_e32 v26, 0x7f800001
	v_bfe_u32 v8, v4, 16, 7
	v_mov_b32_e32 v27, 0
	s_mov_b32 s21, exec_lo
	v_cmpx_ne_u32_e32 0x7f, v8
	s_cbranch_execz .LBB259_2849
; %bb.2846:                             ;   in Loop: Header=BB259_2079 Depth=1
	v_and_b32_sdwa v6, v4, v78 dst_sel:DWORD dst_unused:UNUSED_PAD src0_sel:WORD_1 src1_sel:DWORD
	v_lshrrev_b32_e32 v5, 3, v8
	s_mov_b32 s22, exec_lo
	v_cmpx_gt_u32_e32 8, v8
; %bb.2847:                             ;   in Loop: Header=BB259_2079 Depth=1
	v_ffbh_u32_e32 v5, v6
	v_min_u32_e32 v5, 32, v5
	v_subrev_nc_u32_e32 v8, 28, v5
	v_sub_nc_u32_e32 v5, 29, v5
	v_lshlrev_b64 v[26:27], v8, v[6:7]
	v_and_b32_e32 v6, 7, v26
; %bb.2848:                             ;   in Loop: Header=BB259_2079 Depth=1
	s_or_b32 exec_lo, exec_lo, s22
	v_lshlrev_b32_sdwa v8, v79, v4 dst_sel:DWORD dst_unused:UNUSED_PAD src0_sel:DWORD src1_sel:WORD_1
	v_lshlrev_b32_e32 v6, 20, v6
	v_lshl_add_u32 v5, v5, 23, 0x3c000000
	v_and_b32_e32 v8, 0x80000000, v8
	v_or3_b32 v6, v6, v8, v5
	v_mov_b32_e32 v27, v7
	v_mov_b32_e32 v26, v6
.LBB259_2849:                           ;   in Loop: Header=BB259_2079 Depth=1
	s_or_b32 exec_lo, exec_lo, s21
.LBB259_2850:                           ;   in Loop: Header=BB259_2079 Depth=1
	s_or_b32 exec_lo, exec_lo, s17
.LBB259_2851:                           ;   in Loop: Header=BB259_2079 Depth=1
	s_or_b32 exec_lo, exec_lo, s15
	s_mov_b32 s15, exec_lo
	v_cmpx_lt_u32_e32 0xffffff, v4
	s_cbranch_execz .LBB259_2859
; %bb.2852:                             ;   in Loop: Header=BB259_2079 Depth=1
	v_mov_b32_e32 v8, v7
	v_mov_b32_e32 v25, v9
	v_cmp_ne_u32_sdwa s8, v4, v75 src0_sel:BYTE_3 src1_sel:DWORD
	v_mov_b32_e32 v24, v8
	s_and_saveexec_b32 s17, s8
	s_cbranch_execz .LBB259_2858
; %bb.2853:                             ;   in Loop: Header=BB259_2079 Depth=1
	v_mov_b32_e32 v10, v7
	v_mov_b32_e32 v25, v11
	v_bfe_u32 v8, v4, 24, 7
	s_mov_b32 s21, exec_lo
	v_mov_b32_e32 v24, v10
	v_cmpx_ne_u32_e32 0x7f, v8
	s_cbranch_execz .LBB259_2857
; %bb.2854:                             ;   in Loop: Header=BB259_2079 Depth=1
	v_and_b32_sdwa v6, v4, v78 dst_sel:DWORD dst_unused:UNUSED_PAD src0_sel:BYTE_3 src1_sel:DWORD
	v_lshrrev_b32_e32 v5, 3, v8
	s_mov_b32 s22, exec_lo
	v_cmpx_gt_u32_e32 8, v8
; %bb.2855:                             ;   in Loop: Header=BB259_2079 Depth=1
	v_ffbh_u32_e32 v5, v6
	v_min_u32_e32 v5, 32, v5
	v_subrev_nc_u32_e32 v8, 28, v5
	v_sub_nc_u32_e32 v5, 29, v5
	v_lshlrev_b64 v[24:25], v8, v[6:7]
	v_and_b32_e32 v6, 7, v24
; %bb.2856:                             ;   in Loop: Header=BB259_2079 Depth=1
	s_or_b32 exec_lo, exec_lo, s22
	v_lshlrev_b32_sdwa v4, v79, v4 dst_sel:DWORD dst_unused:UNUSED_PAD src0_sel:DWORD src1_sel:BYTE_3
	v_lshlrev_b32_e32 v6, 20, v6
	v_lshl_add_u32 v5, v5, 23, 0x3c000000
	v_mov_b32_e32 v24, v7
	v_and_b32_e32 v4, 0x80000000, v4
	v_or3_b32 v25, v6, v4, v5
.LBB259_2857:                           ;   in Loop: Header=BB259_2079 Depth=1
	s_or_b32 exec_lo, exec_lo, s21
.LBB259_2858:                           ;   in Loop: Header=BB259_2079 Depth=1
	s_or_b32 exec_lo, exec_lo, s17
.LBB259_2859:                           ;   in Loop: Header=BB259_2079 Depth=1
	s_or_b32 exec_lo, exec_lo, s15
	v_or_b32_e32 v4, v23, v21
	v_or_b32_e32 v5, v22, v20
	;; [unrolled: 1-line block ×4, first 2 shown]
	v_mul_f32_e32 v4, v93, v4
	buffer_store_dword v4, off, s[0:3], s32 offset:928 ; 4-byte Folded Spill
	v_mul_f32_e32 v4, v73, v5
	buffer_store_dword v4, off, s[0:3], s32 offset:920 ; 4-byte Folded Spill
	v_mul_f32_e32 v4, v73, v6
	buffer_store_dword v4, off, s[0:3], s32 offset:912 ; 4-byte Folded Spill
	v_mul_f32_e32 v4, v93, v8
	buffer_store_dword v4, off, s[0:3], s32 offset:904 ; 4-byte Folded Spill
	s_and_saveexec_b32 s8, s6
	s_cbranch_execz .LBB259_2861
; %bb.2860:                             ;   in Loop: Header=BB259_2079 Depth=1
	buffer_load_dword v4, off, s[0:3], s32 offset:920 ; 4-byte Folded Reload
	s_waitcnt vmcnt(0)
	v_cndmask_b32_e32 v4, 0, v4, vcc_lo
	buffer_store_dword v4, off, s[0:3], s32 offset:920 ; 4-byte Folded Spill
	buffer_load_dword v4, off, s[0:3], s32 offset:928 ; 4-byte Folded Reload
	s_waitcnt vmcnt(0)
	v_cndmask_b32_e64 v4, 0, v4, s4
	buffer_store_dword v4, off, s[0:3], s32 offset:928 ; 4-byte Folded Spill
	buffer_load_dword v4, off, s[0:3], s32 offset:912 ; 4-byte Folded Reload
	s_waitcnt vmcnt(0)
	v_cndmask_b32_e64 v4, 0, v4, s5
	;; [unrolled: 4-line block ×3, first 2 shown]
	buffer_store_dword v4, off, s[0:3], s32 offset:904 ; 4-byte Folded Spill
.LBB259_2861:                           ;   in Loop: Header=BB259_2079 Depth=1
	s_or_b32 exec_lo, exec_lo, s8
	flat_load_dword v4, v[18:19] offset:896
	v_mov_b32_e32 v22, 0
	v_mov_b32_e32 v20, 0
	;; [unrolled: 1-line block ×4, first 2 shown]
	s_waitcnt vmcnt(0) lgkmcnt(0)
	v_cmp_ne_u16_sdwa s8, v4, v7 src0_sel:BYTE_0 src1_sel:DWORD
	s_and_saveexec_b32 s15, s8
	s_cbranch_execz .LBB259_2869
; %bb.2862:                             ;   in Loop: Header=BB259_2079 Depth=1
	v_bfrev_b32_e32 v20, 1
	v_mov_b32_e32 v21, 0
	v_cmp_ne_u16_sdwa s8, v4, v75 src0_sel:BYTE_0 src1_sel:DWORD
	s_and_saveexec_b32 s17, s8
	s_cbranch_execz .LBB259_2868
; %bb.2863:                             ;   in Loop: Header=BB259_2079 Depth=1
	v_mov_b32_e32 v20, 0x7f800001
	v_and_b32_e32 v8, 0x7f, v4
	v_mov_b32_e32 v21, 0
	s_mov_b32 s21, exec_lo
	v_cmpx_ne_u32_e32 0x7f, v8
	s_cbranch_execz .LBB259_2867
; %bb.2864:                             ;   in Loop: Header=BB259_2079 Depth=1
	v_and_b32_e32 v6, 7, v4
	v_lshrrev_b32_e32 v5, 3, v8
	s_mov_b32 s22, exec_lo
	v_cmpx_gt_u32_e32 8, v8
; %bb.2865:                             ;   in Loop: Header=BB259_2079 Depth=1
	v_ffbh_u32_e32 v5, v6
	v_min_u32_e32 v5, 32, v5
	v_subrev_nc_u32_e32 v8, 28, v5
	v_sub_nc_u32_e32 v5, 29, v5
	v_lshlrev_b64 v[20:21], v8, v[6:7]
	v_and_b32_e32 v6, 7, v20
; %bb.2866:                             ;   in Loop: Header=BB259_2079 Depth=1
	s_or_b32 exec_lo, exec_lo, s22
	v_lshlrev_b32_e32 v8, 24, v4
	v_lshlrev_b32_e32 v6, 20, v6
	v_lshl_add_u32 v5, v5, 23, 0x3c000000
	v_and_b32_e32 v8, 0x80000000, v8
	v_or3_b32 v6, v6, v8, v5
	v_mov_b32_e32 v21, v7
	v_mov_b32_e32 v20, v6
.LBB259_2867:                           ;   in Loop: Header=BB259_2079 Depth=1
	s_or_b32 exec_lo, exec_lo, s21
.LBB259_2868:                           ;   in Loop: Header=BB259_2079 Depth=1
	s_or_b32 exec_lo, exec_lo, s17
.LBB259_2869:                           ;   in Loop: Header=BB259_2079 Depth=1
	s_or_b32 exec_lo, exec_lo, s15
	v_cmp_ne_u16_sdwa s8, v4, v7 src0_sel:BYTE_1 src1_sel:DWORD
	s_and_saveexec_b32 s15, s8
	s_cbranch_execz .LBB259_2877
; %bb.2870:                             ;   in Loop: Header=BB259_2079 Depth=1
	v_mov_b32_e32 v8, v7
	v_mov_b32_e32 v23, v9
	v_cmp_ne_u16_sdwa s8, v4, v75 src0_sel:BYTE_1 src1_sel:DWORD
	v_mov_b32_e32 v22, v8
	s_and_saveexec_b32 s17, s8
	s_cbranch_execz .LBB259_2876
; %bb.2871:                             ;   in Loop: Header=BB259_2079 Depth=1
	v_and_b32_sdwa v5, v76, v4 dst_sel:DWORD dst_unused:UNUSED_PAD src0_sel:DWORD src1_sel:BYTE_1
	v_mov_b32_e32 v10, v7
	v_mov_b32_e32 v23, v11
	s_mov_b32 s21, exec_lo
	v_and_b32_e32 v8, 0x7f, v5
	v_mov_b32_e32 v22, v10
	v_cmpx_ne_u32_e32 0x7f, v8
	s_cbranch_execz .LBB259_2875
; %bb.2872:                             ;   in Loop: Header=BB259_2079 Depth=1
	v_and_b32_e32 v6, 7, v5
	v_lshrrev_b32_e32 v5, 3, v8
	s_mov_b32 s22, exec_lo
	v_cmpx_gt_u32_e32 8, v8
; %bb.2873:                             ;   in Loop: Header=BB259_2079 Depth=1
	v_ffbh_u32_e32 v5, v6
	v_min_u32_e32 v5, 32, v5
	v_subrev_nc_u32_e32 v8, 28, v5
	v_sub_nc_u32_e32 v5, 29, v5
	v_lshlrev_b64 v[22:23], v8, v[6:7]
	v_and_b32_e32 v6, 7, v22
; %bb.2874:                             ;   in Loop: Header=BB259_2079 Depth=1
	s_or_b32 exec_lo, exec_lo, s22
	v_lshlrev_b32_e32 v8, 16, v4
	v_lshlrev_b32_e32 v6, 20, v6
	v_lshl_add_u32 v5, v5, 23, 0x3c000000
	v_mov_b32_e32 v22, v7
	v_and_b32_e32 v8, 0x80000000, v8
	v_or3_b32 v23, v6, v8, v5
.LBB259_2875:                           ;   in Loop: Header=BB259_2079 Depth=1
	s_or_b32 exec_lo, exec_lo, s21
.LBB259_2876:                           ;   in Loop: Header=BB259_2079 Depth=1
	s_or_b32 exec_lo, exec_lo, s17
.LBB259_2877:                           ;   in Loop: Header=BB259_2079 Depth=1
	s_or_b32 exec_lo, exec_lo, s15
	v_mov_b32_e32 v24, 0
	v_mov_b32_e32 v26, 0
	v_and_b32_sdwa v5, v4, v77 dst_sel:DWORD dst_unused:UNUSED_PAD src0_sel:WORD_1 src1_sel:DWORD
	v_mov_b32_e32 v25, 0
	v_mov_b32_e32 v27, 0
	s_mov_b32 s15, exec_lo
	v_cmpx_ne_u16_e32 0, v5
	s_cbranch_execz .LBB259_2885
; %bb.2878:                             ;   in Loop: Header=BB259_2079 Depth=1
	v_bfrev_b32_e32 v26, 1
	v_mov_b32_e32 v27, 0
	s_mov_b32 s17, exec_lo
	v_cmpx_ne_u16_e32 0x80, v5
	s_cbranch_execz .LBB259_2884
; %bb.2879:                             ;   in Loop: Header=BB259_2079 Depth=1
	v_mov_b32_e32 v26, 0x7f800001
	v_bfe_u32 v8, v4, 16, 7
	v_mov_b32_e32 v27, 0
	s_mov_b32 s21, exec_lo
	v_cmpx_ne_u32_e32 0x7f, v8
	s_cbranch_execz .LBB259_2883
; %bb.2880:                             ;   in Loop: Header=BB259_2079 Depth=1
	v_and_b32_sdwa v6, v4, v78 dst_sel:DWORD dst_unused:UNUSED_PAD src0_sel:WORD_1 src1_sel:DWORD
	v_lshrrev_b32_e32 v5, 3, v8
	s_mov_b32 s22, exec_lo
	v_cmpx_gt_u32_e32 8, v8
; %bb.2881:                             ;   in Loop: Header=BB259_2079 Depth=1
	v_ffbh_u32_e32 v5, v6
	v_min_u32_e32 v5, 32, v5
	v_subrev_nc_u32_e32 v8, 28, v5
	v_sub_nc_u32_e32 v5, 29, v5
	v_lshlrev_b64 v[26:27], v8, v[6:7]
	v_and_b32_e32 v6, 7, v26
; %bb.2882:                             ;   in Loop: Header=BB259_2079 Depth=1
	s_or_b32 exec_lo, exec_lo, s22
	v_lshlrev_b32_sdwa v8, v79, v4 dst_sel:DWORD dst_unused:UNUSED_PAD src0_sel:DWORD src1_sel:WORD_1
	v_lshlrev_b32_e32 v6, 20, v6
	v_lshl_add_u32 v5, v5, 23, 0x3c000000
	v_and_b32_e32 v8, 0x80000000, v8
	v_or3_b32 v6, v6, v8, v5
	v_mov_b32_e32 v27, v7
	v_mov_b32_e32 v26, v6
.LBB259_2883:                           ;   in Loop: Header=BB259_2079 Depth=1
	s_or_b32 exec_lo, exec_lo, s21
.LBB259_2884:                           ;   in Loop: Header=BB259_2079 Depth=1
	s_or_b32 exec_lo, exec_lo, s17
.LBB259_2885:                           ;   in Loop: Header=BB259_2079 Depth=1
	s_or_b32 exec_lo, exec_lo, s15
	s_mov_b32 s15, exec_lo
	v_cmpx_lt_u32_e32 0xffffff, v4
	s_cbranch_execz .LBB259_2893
; %bb.2886:                             ;   in Loop: Header=BB259_2079 Depth=1
	v_mov_b32_e32 v8, v7
	v_mov_b32_e32 v25, v9
	v_cmp_ne_u32_sdwa s8, v4, v75 src0_sel:BYTE_3 src1_sel:DWORD
	v_mov_b32_e32 v24, v8
	s_and_saveexec_b32 s17, s8
	s_cbranch_execz .LBB259_2892
; %bb.2887:                             ;   in Loop: Header=BB259_2079 Depth=1
	v_mov_b32_e32 v10, v7
	v_mov_b32_e32 v25, v11
	v_bfe_u32 v8, v4, 24, 7
	s_mov_b32 s21, exec_lo
	v_mov_b32_e32 v24, v10
	v_cmpx_ne_u32_e32 0x7f, v8
	s_cbranch_execz .LBB259_2891
; %bb.2888:                             ;   in Loop: Header=BB259_2079 Depth=1
	v_and_b32_sdwa v6, v4, v78 dst_sel:DWORD dst_unused:UNUSED_PAD src0_sel:BYTE_3 src1_sel:DWORD
	v_lshrrev_b32_e32 v5, 3, v8
	s_mov_b32 s22, exec_lo
	v_cmpx_gt_u32_e32 8, v8
; %bb.2889:                             ;   in Loop: Header=BB259_2079 Depth=1
	v_ffbh_u32_e32 v5, v6
	v_min_u32_e32 v5, 32, v5
	v_subrev_nc_u32_e32 v8, 28, v5
	v_sub_nc_u32_e32 v5, 29, v5
	v_lshlrev_b64 v[24:25], v8, v[6:7]
	v_and_b32_e32 v6, 7, v24
; %bb.2890:                             ;   in Loop: Header=BB259_2079 Depth=1
	s_or_b32 exec_lo, exec_lo, s22
	v_lshlrev_b32_sdwa v4, v79, v4 dst_sel:DWORD dst_unused:UNUSED_PAD src0_sel:DWORD src1_sel:BYTE_3
	v_lshlrev_b32_e32 v6, 20, v6
	v_lshl_add_u32 v5, v5, 23, 0x3c000000
	v_mov_b32_e32 v24, v7
	v_and_b32_e32 v4, 0x80000000, v4
	v_or3_b32 v25, v6, v4, v5
.LBB259_2891:                           ;   in Loop: Header=BB259_2079 Depth=1
	s_or_b32 exec_lo, exec_lo, s21
.LBB259_2892:                           ;   in Loop: Header=BB259_2079 Depth=1
	s_or_b32 exec_lo, exec_lo, s17
.LBB259_2893:                           ;   in Loop: Header=BB259_2079 Depth=1
	s_or_b32 exec_lo, exec_lo, s15
	v_or_b32_e32 v4, v23, v21
	v_or_b32_e32 v5, v22, v20
	;; [unrolled: 1-line block ×4, first 2 shown]
	v_mul_f32_e32 v4, v93, v4
	buffer_store_dword v4, off, s[0:3], s32 offset:960 ; 4-byte Folded Spill
	v_mul_f32_e32 v4, v73, v5
	buffer_store_dword v4, off, s[0:3], s32 offset:952 ; 4-byte Folded Spill
	;; [unrolled: 2-line block ×4, first 2 shown]
	s_and_saveexec_b32 s8, s6
	s_cbranch_execz .LBB259_2895
; %bb.2894:                             ;   in Loop: Header=BB259_2079 Depth=1
	buffer_load_dword v4, off, s[0:3], s32 offset:952 ; 4-byte Folded Reload
	s_waitcnt vmcnt(0)
	v_cndmask_b32_e32 v4, 0, v4, vcc_lo
	buffer_store_dword v4, off, s[0:3], s32 offset:952 ; 4-byte Folded Spill
	buffer_load_dword v4, off, s[0:3], s32 offset:960 ; 4-byte Folded Reload
	s_waitcnt vmcnt(0)
	v_cndmask_b32_e64 v4, 0, v4, s4
	buffer_store_dword v4, off, s[0:3], s32 offset:960 ; 4-byte Folded Spill
	buffer_load_dword v4, off, s[0:3], s32 offset:944 ; 4-byte Folded Reload
	s_waitcnt vmcnt(0)
	v_cndmask_b32_e64 v4, 0, v4, s5
	;; [unrolled: 4-line block ×3, first 2 shown]
	buffer_store_dword v4, off, s[0:3], s32 offset:936 ; 4-byte Folded Spill
.LBB259_2895:                           ;   in Loop: Header=BB259_2079 Depth=1
	s_or_b32 exec_lo, exec_lo, s8
	flat_load_dword v4, v[18:19] offset:1024
	v_mov_b32_e32 v22, 0
	v_mov_b32_e32 v20, 0
	;; [unrolled: 1-line block ×4, first 2 shown]
	s_waitcnt vmcnt(0) lgkmcnt(0)
	v_cmp_ne_u16_sdwa s8, v4, v7 src0_sel:BYTE_0 src1_sel:DWORD
	s_and_saveexec_b32 s15, s8
	s_cbranch_execz .LBB259_2903
; %bb.2896:                             ;   in Loop: Header=BB259_2079 Depth=1
	v_bfrev_b32_e32 v20, 1
	v_mov_b32_e32 v21, 0
	v_cmp_ne_u16_sdwa s8, v4, v75 src0_sel:BYTE_0 src1_sel:DWORD
	s_and_saveexec_b32 s17, s8
	s_cbranch_execz .LBB259_2902
; %bb.2897:                             ;   in Loop: Header=BB259_2079 Depth=1
	v_mov_b32_e32 v20, 0x7f800001
	v_and_b32_e32 v8, 0x7f, v4
	v_mov_b32_e32 v21, 0
	s_mov_b32 s21, exec_lo
	v_cmpx_ne_u32_e32 0x7f, v8
	s_cbranch_execz .LBB259_2901
; %bb.2898:                             ;   in Loop: Header=BB259_2079 Depth=1
	v_and_b32_e32 v6, 7, v4
	v_lshrrev_b32_e32 v5, 3, v8
	s_mov_b32 s22, exec_lo
	v_cmpx_gt_u32_e32 8, v8
; %bb.2899:                             ;   in Loop: Header=BB259_2079 Depth=1
	v_ffbh_u32_e32 v5, v6
	v_min_u32_e32 v5, 32, v5
	v_subrev_nc_u32_e32 v8, 28, v5
	v_sub_nc_u32_e32 v5, 29, v5
	v_lshlrev_b64 v[20:21], v8, v[6:7]
	v_and_b32_e32 v6, 7, v20
; %bb.2900:                             ;   in Loop: Header=BB259_2079 Depth=1
	s_or_b32 exec_lo, exec_lo, s22
	v_lshlrev_b32_e32 v8, 24, v4
	v_lshlrev_b32_e32 v6, 20, v6
	v_lshl_add_u32 v5, v5, 23, 0x3c000000
	v_and_b32_e32 v8, 0x80000000, v8
	v_or3_b32 v6, v6, v8, v5
	v_mov_b32_e32 v21, v7
	v_mov_b32_e32 v20, v6
.LBB259_2901:                           ;   in Loop: Header=BB259_2079 Depth=1
	s_or_b32 exec_lo, exec_lo, s21
.LBB259_2902:                           ;   in Loop: Header=BB259_2079 Depth=1
	s_or_b32 exec_lo, exec_lo, s17
.LBB259_2903:                           ;   in Loop: Header=BB259_2079 Depth=1
	s_or_b32 exec_lo, exec_lo, s15
	v_cmp_ne_u16_sdwa s8, v4, v7 src0_sel:BYTE_1 src1_sel:DWORD
	s_and_saveexec_b32 s15, s8
	s_cbranch_execz .LBB259_2911
; %bb.2904:                             ;   in Loop: Header=BB259_2079 Depth=1
	v_mov_b32_e32 v8, v7
	v_mov_b32_e32 v23, v9
	v_cmp_ne_u16_sdwa s8, v4, v75 src0_sel:BYTE_1 src1_sel:DWORD
	v_mov_b32_e32 v22, v8
	s_and_saveexec_b32 s17, s8
	s_cbranch_execz .LBB259_2910
; %bb.2905:                             ;   in Loop: Header=BB259_2079 Depth=1
	v_and_b32_sdwa v5, v76, v4 dst_sel:DWORD dst_unused:UNUSED_PAD src0_sel:DWORD src1_sel:BYTE_1
	v_mov_b32_e32 v10, v7
	v_mov_b32_e32 v23, v11
	s_mov_b32 s21, exec_lo
	v_and_b32_e32 v8, 0x7f, v5
	v_mov_b32_e32 v22, v10
	v_cmpx_ne_u32_e32 0x7f, v8
	s_cbranch_execz .LBB259_2909
; %bb.2906:                             ;   in Loop: Header=BB259_2079 Depth=1
	v_and_b32_e32 v6, 7, v5
	v_lshrrev_b32_e32 v5, 3, v8
	s_mov_b32 s22, exec_lo
	v_cmpx_gt_u32_e32 8, v8
; %bb.2907:                             ;   in Loop: Header=BB259_2079 Depth=1
	v_ffbh_u32_e32 v5, v6
	v_min_u32_e32 v5, 32, v5
	v_subrev_nc_u32_e32 v8, 28, v5
	v_sub_nc_u32_e32 v5, 29, v5
	v_lshlrev_b64 v[22:23], v8, v[6:7]
	v_and_b32_e32 v6, 7, v22
; %bb.2908:                             ;   in Loop: Header=BB259_2079 Depth=1
	s_or_b32 exec_lo, exec_lo, s22
	v_lshlrev_b32_e32 v8, 16, v4
	v_lshlrev_b32_e32 v6, 20, v6
	v_lshl_add_u32 v5, v5, 23, 0x3c000000
	v_mov_b32_e32 v22, v7
	v_and_b32_e32 v8, 0x80000000, v8
	v_or3_b32 v23, v6, v8, v5
.LBB259_2909:                           ;   in Loop: Header=BB259_2079 Depth=1
	s_or_b32 exec_lo, exec_lo, s21
.LBB259_2910:                           ;   in Loop: Header=BB259_2079 Depth=1
	s_or_b32 exec_lo, exec_lo, s17
.LBB259_2911:                           ;   in Loop: Header=BB259_2079 Depth=1
	s_or_b32 exec_lo, exec_lo, s15
	v_mov_b32_e32 v24, 0
	v_mov_b32_e32 v26, 0
	v_and_b32_sdwa v5, v4, v77 dst_sel:DWORD dst_unused:UNUSED_PAD src0_sel:WORD_1 src1_sel:DWORD
	v_mov_b32_e32 v25, 0
	v_mov_b32_e32 v27, 0
	s_mov_b32 s15, exec_lo
	v_cmpx_ne_u16_e32 0, v5
	s_cbranch_execz .LBB259_2919
; %bb.2912:                             ;   in Loop: Header=BB259_2079 Depth=1
	v_bfrev_b32_e32 v26, 1
	v_mov_b32_e32 v27, 0
	s_mov_b32 s17, exec_lo
	v_cmpx_ne_u16_e32 0x80, v5
	s_cbranch_execz .LBB259_2918
; %bb.2913:                             ;   in Loop: Header=BB259_2079 Depth=1
	v_mov_b32_e32 v26, 0x7f800001
	v_bfe_u32 v8, v4, 16, 7
	v_mov_b32_e32 v27, 0
	s_mov_b32 s21, exec_lo
	v_cmpx_ne_u32_e32 0x7f, v8
	s_cbranch_execz .LBB259_2917
; %bb.2914:                             ;   in Loop: Header=BB259_2079 Depth=1
	v_and_b32_sdwa v6, v4, v78 dst_sel:DWORD dst_unused:UNUSED_PAD src0_sel:WORD_1 src1_sel:DWORD
	v_lshrrev_b32_e32 v5, 3, v8
	s_mov_b32 s22, exec_lo
	v_cmpx_gt_u32_e32 8, v8
; %bb.2915:                             ;   in Loop: Header=BB259_2079 Depth=1
	v_ffbh_u32_e32 v5, v6
	v_min_u32_e32 v5, 32, v5
	v_subrev_nc_u32_e32 v8, 28, v5
	v_sub_nc_u32_e32 v5, 29, v5
	v_lshlrev_b64 v[26:27], v8, v[6:7]
	v_and_b32_e32 v6, 7, v26
; %bb.2916:                             ;   in Loop: Header=BB259_2079 Depth=1
	s_or_b32 exec_lo, exec_lo, s22
	v_lshlrev_b32_sdwa v8, v79, v4 dst_sel:DWORD dst_unused:UNUSED_PAD src0_sel:DWORD src1_sel:WORD_1
	v_lshlrev_b32_e32 v6, 20, v6
	v_lshl_add_u32 v5, v5, 23, 0x3c000000
	v_and_b32_e32 v8, 0x80000000, v8
	v_or3_b32 v6, v6, v8, v5
	v_mov_b32_e32 v27, v7
	v_mov_b32_e32 v26, v6
.LBB259_2917:                           ;   in Loop: Header=BB259_2079 Depth=1
	s_or_b32 exec_lo, exec_lo, s21
.LBB259_2918:                           ;   in Loop: Header=BB259_2079 Depth=1
	s_or_b32 exec_lo, exec_lo, s17
.LBB259_2919:                           ;   in Loop: Header=BB259_2079 Depth=1
	s_or_b32 exec_lo, exec_lo, s15
	s_mov_b32 s15, exec_lo
	v_cmpx_lt_u32_e32 0xffffff, v4
	s_cbranch_execz .LBB259_2927
; %bb.2920:                             ;   in Loop: Header=BB259_2079 Depth=1
	v_mov_b32_e32 v8, v7
	v_mov_b32_e32 v25, v9
	v_cmp_ne_u32_sdwa s8, v4, v75 src0_sel:BYTE_3 src1_sel:DWORD
	v_mov_b32_e32 v24, v8
	s_and_saveexec_b32 s17, s8
	s_cbranch_execz .LBB259_2926
; %bb.2921:                             ;   in Loop: Header=BB259_2079 Depth=1
	v_mov_b32_e32 v10, v7
	v_mov_b32_e32 v25, v11
	v_bfe_u32 v8, v4, 24, 7
	s_mov_b32 s21, exec_lo
	v_mov_b32_e32 v24, v10
	v_cmpx_ne_u32_e32 0x7f, v8
	s_cbranch_execz .LBB259_2925
; %bb.2922:                             ;   in Loop: Header=BB259_2079 Depth=1
	v_and_b32_sdwa v6, v4, v78 dst_sel:DWORD dst_unused:UNUSED_PAD src0_sel:BYTE_3 src1_sel:DWORD
	v_lshrrev_b32_e32 v5, 3, v8
	s_mov_b32 s22, exec_lo
	v_cmpx_gt_u32_e32 8, v8
; %bb.2923:                             ;   in Loop: Header=BB259_2079 Depth=1
	v_ffbh_u32_e32 v5, v6
	v_min_u32_e32 v5, 32, v5
	v_subrev_nc_u32_e32 v8, 28, v5
	v_sub_nc_u32_e32 v5, 29, v5
	v_lshlrev_b64 v[24:25], v8, v[6:7]
	v_and_b32_e32 v6, 7, v24
; %bb.2924:                             ;   in Loop: Header=BB259_2079 Depth=1
	s_or_b32 exec_lo, exec_lo, s22
	v_lshlrev_b32_sdwa v4, v79, v4 dst_sel:DWORD dst_unused:UNUSED_PAD src0_sel:DWORD src1_sel:BYTE_3
	v_lshlrev_b32_e32 v6, 20, v6
	v_lshl_add_u32 v5, v5, 23, 0x3c000000
	v_mov_b32_e32 v24, v7
	v_and_b32_e32 v4, 0x80000000, v4
	v_or3_b32 v25, v6, v4, v5
.LBB259_2925:                           ;   in Loop: Header=BB259_2079 Depth=1
	s_or_b32 exec_lo, exec_lo, s21
.LBB259_2926:                           ;   in Loop: Header=BB259_2079 Depth=1
	s_or_b32 exec_lo, exec_lo, s17
.LBB259_2927:                           ;   in Loop: Header=BB259_2079 Depth=1
	s_or_b32 exec_lo, exec_lo, s15
	v_or_b32_e32 v4, v23, v21
	v_or_b32_e32 v5, v22, v20
	;; [unrolled: 1-line block ×4, first 2 shown]
	v_mul_f32_e32 v4, v93, v4
	buffer_store_dword v4, off, s[0:3], s32 offset:992 ; 4-byte Folded Spill
	v_mul_f32_e32 v4, v73, v5
	buffer_store_dword v4, off, s[0:3], s32 offset:984 ; 4-byte Folded Spill
	;; [unrolled: 2-line block ×4, first 2 shown]
	s_and_saveexec_b32 s8, s6
	s_cbranch_execz .LBB259_2929
; %bb.2928:                             ;   in Loop: Header=BB259_2079 Depth=1
	buffer_load_dword v4, off, s[0:3], s32 offset:984 ; 4-byte Folded Reload
	s_waitcnt vmcnt(0)
	v_cndmask_b32_e32 v4, 0, v4, vcc_lo
	buffer_store_dword v4, off, s[0:3], s32 offset:984 ; 4-byte Folded Spill
	buffer_load_dword v4, off, s[0:3], s32 offset:992 ; 4-byte Folded Reload
	s_waitcnt vmcnt(0)
	v_cndmask_b32_e64 v4, 0, v4, s4
	buffer_store_dword v4, off, s[0:3], s32 offset:992 ; 4-byte Folded Spill
	buffer_load_dword v4, off, s[0:3], s32 offset:976 ; 4-byte Folded Reload
	s_waitcnt vmcnt(0)
	v_cndmask_b32_e64 v4, 0, v4, s5
	;; [unrolled: 4-line block ×3, first 2 shown]
	buffer_store_dword v4, off, s[0:3], s32 offset:968 ; 4-byte Folded Spill
.LBB259_2929:                           ;   in Loop: Header=BB259_2079 Depth=1
	s_or_b32 exec_lo, exec_lo, s8
	flat_load_dword v4, v[18:19] offset:1152
	v_mov_b32_e32 v22, 0
	v_mov_b32_e32 v20, 0
	;; [unrolled: 1-line block ×4, first 2 shown]
	s_waitcnt vmcnt(0) lgkmcnt(0)
	v_cmp_ne_u16_sdwa s8, v4, v7 src0_sel:BYTE_0 src1_sel:DWORD
	s_and_saveexec_b32 s15, s8
	s_cbranch_execz .LBB259_2937
; %bb.2930:                             ;   in Loop: Header=BB259_2079 Depth=1
	v_bfrev_b32_e32 v20, 1
	v_mov_b32_e32 v21, 0
	v_cmp_ne_u16_sdwa s8, v4, v75 src0_sel:BYTE_0 src1_sel:DWORD
	s_and_saveexec_b32 s17, s8
	s_cbranch_execz .LBB259_2936
; %bb.2931:                             ;   in Loop: Header=BB259_2079 Depth=1
	v_mov_b32_e32 v20, 0x7f800001
	v_and_b32_e32 v8, 0x7f, v4
	v_mov_b32_e32 v21, 0
	s_mov_b32 s21, exec_lo
	v_cmpx_ne_u32_e32 0x7f, v8
	s_cbranch_execz .LBB259_2935
; %bb.2932:                             ;   in Loop: Header=BB259_2079 Depth=1
	v_and_b32_e32 v6, 7, v4
	v_lshrrev_b32_e32 v5, 3, v8
	s_mov_b32 s22, exec_lo
	v_cmpx_gt_u32_e32 8, v8
; %bb.2933:                             ;   in Loop: Header=BB259_2079 Depth=1
	v_ffbh_u32_e32 v5, v6
	v_min_u32_e32 v5, 32, v5
	v_subrev_nc_u32_e32 v8, 28, v5
	v_sub_nc_u32_e32 v5, 29, v5
	v_lshlrev_b64 v[20:21], v8, v[6:7]
	v_and_b32_e32 v6, 7, v20
; %bb.2934:                             ;   in Loop: Header=BB259_2079 Depth=1
	s_or_b32 exec_lo, exec_lo, s22
	v_lshlrev_b32_e32 v8, 24, v4
	v_lshlrev_b32_e32 v6, 20, v6
	v_lshl_add_u32 v5, v5, 23, 0x3c000000
	v_and_b32_e32 v8, 0x80000000, v8
	v_or3_b32 v6, v6, v8, v5
	v_mov_b32_e32 v21, v7
	v_mov_b32_e32 v20, v6
.LBB259_2935:                           ;   in Loop: Header=BB259_2079 Depth=1
	s_or_b32 exec_lo, exec_lo, s21
.LBB259_2936:                           ;   in Loop: Header=BB259_2079 Depth=1
	s_or_b32 exec_lo, exec_lo, s17
.LBB259_2937:                           ;   in Loop: Header=BB259_2079 Depth=1
	s_or_b32 exec_lo, exec_lo, s15
	v_cmp_ne_u16_sdwa s8, v4, v7 src0_sel:BYTE_1 src1_sel:DWORD
	s_and_saveexec_b32 s15, s8
	s_cbranch_execz .LBB259_2945
; %bb.2938:                             ;   in Loop: Header=BB259_2079 Depth=1
	v_mov_b32_e32 v8, v7
	v_mov_b32_e32 v23, v9
	v_cmp_ne_u16_sdwa s8, v4, v75 src0_sel:BYTE_1 src1_sel:DWORD
	v_mov_b32_e32 v22, v8
	s_and_saveexec_b32 s17, s8
	s_cbranch_execz .LBB259_2944
; %bb.2939:                             ;   in Loop: Header=BB259_2079 Depth=1
	v_and_b32_sdwa v5, v76, v4 dst_sel:DWORD dst_unused:UNUSED_PAD src0_sel:DWORD src1_sel:BYTE_1
	v_mov_b32_e32 v10, v7
	v_mov_b32_e32 v23, v11
	s_mov_b32 s21, exec_lo
	v_and_b32_e32 v8, 0x7f, v5
	v_mov_b32_e32 v22, v10
	v_cmpx_ne_u32_e32 0x7f, v8
	s_cbranch_execz .LBB259_2943
; %bb.2940:                             ;   in Loop: Header=BB259_2079 Depth=1
	v_and_b32_e32 v6, 7, v5
	v_lshrrev_b32_e32 v5, 3, v8
	s_mov_b32 s22, exec_lo
	v_cmpx_gt_u32_e32 8, v8
; %bb.2941:                             ;   in Loop: Header=BB259_2079 Depth=1
	v_ffbh_u32_e32 v5, v6
	v_min_u32_e32 v5, 32, v5
	v_subrev_nc_u32_e32 v8, 28, v5
	v_sub_nc_u32_e32 v5, 29, v5
	v_lshlrev_b64 v[22:23], v8, v[6:7]
	v_and_b32_e32 v6, 7, v22
; %bb.2942:                             ;   in Loop: Header=BB259_2079 Depth=1
	s_or_b32 exec_lo, exec_lo, s22
	v_lshlrev_b32_e32 v8, 16, v4
	v_lshlrev_b32_e32 v6, 20, v6
	v_lshl_add_u32 v5, v5, 23, 0x3c000000
	v_mov_b32_e32 v22, v7
	v_and_b32_e32 v8, 0x80000000, v8
	v_or3_b32 v23, v6, v8, v5
.LBB259_2943:                           ;   in Loop: Header=BB259_2079 Depth=1
	s_or_b32 exec_lo, exec_lo, s21
.LBB259_2944:                           ;   in Loop: Header=BB259_2079 Depth=1
	s_or_b32 exec_lo, exec_lo, s17
.LBB259_2945:                           ;   in Loop: Header=BB259_2079 Depth=1
	s_or_b32 exec_lo, exec_lo, s15
	v_mov_b32_e32 v24, 0
	v_mov_b32_e32 v26, 0
	v_and_b32_sdwa v5, v4, v77 dst_sel:DWORD dst_unused:UNUSED_PAD src0_sel:WORD_1 src1_sel:DWORD
	v_mov_b32_e32 v25, 0
	v_mov_b32_e32 v27, 0
	s_mov_b32 s15, exec_lo
	v_cmpx_ne_u16_e32 0, v5
	s_cbranch_execz .LBB259_2953
; %bb.2946:                             ;   in Loop: Header=BB259_2079 Depth=1
	v_bfrev_b32_e32 v26, 1
	v_mov_b32_e32 v27, 0
	s_mov_b32 s17, exec_lo
	v_cmpx_ne_u16_e32 0x80, v5
	s_cbranch_execz .LBB259_2952
; %bb.2947:                             ;   in Loop: Header=BB259_2079 Depth=1
	v_mov_b32_e32 v26, 0x7f800001
	v_bfe_u32 v8, v4, 16, 7
	v_mov_b32_e32 v27, 0
	s_mov_b32 s21, exec_lo
	v_cmpx_ne_u32_e32 0x7f, v8
	s_cbranch_execz .LBB259_2951
; %bb.2948:                             ;   in Loop: Header=BB259_2079 Depth=1
	v_and_b32_sdwa v6, v4, v78 dst_sel:DWORD dst_unused:UNUSED_PAD src0_sel:WORD_1 src1_sel:DWORD
	v_lshrrev_b32_e32 v5, 3, v8
	s_mov_b32 s22, exec_lo
	v_cmpx_gt_u32_e32 8, v8
; %bb.2949:                             ;   in Loop: Header=BB259_2079 Depth=1
	v_ffbh_u32_e32 v5, v6
	v_min_u32_e32 v5, 32, v5
	v_subrev_nc_u32_e32 v8, 28, v5
	v_sub_nc_u32_e32 v5, 29, v5
	v_lshlrev_b64 v[26:27], v8, v[6:7]
	v_and_b32_e32 v6, 7, v26
; %bb.2950:                             ;   in Loop: Header=BB259_2079 Depth=1
	s_or_b32 exec_lo, exec_lo, s22
	v_lshlrev_b32_sdwa v8, v79, v4 dst_sel:DWORD dst_unused:UNUSED_PAD src0_sel:DWORD src1_sel:WORD_1
	v_lshlrev_b32_e32 v6, 20, v6
	v_lshl_add_u32 v5, v5, 23, 0x3c000000
	v_and_b32_e32 v8, 0x80000000, v8
	v_or3_b32 v6, v6, v8, v5
	v_mov_b32_e32 v27, v7
	v_mov_b32_e32 v26, v6
.LBB259_2951:                           ;   in Loop: Header=BB259_2079 Depth=1
	s_or_b32 exec_lo, exec_lo, s21
.LBB259_2952:                           ;   in Loop: Header=BB259_2079 Depth=1
	s_or_b32 exec_lo, exec_lo, s17
.LBB259_2953:                           ;   in Loop: Header=BB259_2079 Depth=1
	s_or_b32 exec_lo, exec_lo, s15
	s_mov_b32 s15, exec_lo
	v_cmpx_lt_u32_e32 0xffffff, v4
	s_cbranch_execz .LBB259_2961
; %bb.2954:                             ;   in Loop: Header=BB259_2079 Depth=1
	v_mov_b32_e32 v8, v7
	v_mov_b32_e32 v25, v9
	v_cmp_ne_u32_sdwa s8, v4, v75 src0_sel:BYTE_3 src1_sel:DWORD
	v_mov_b32_e32 v24, v8
	s_and_saveexec_b32 s17, s8
	s_cbranch_execz .LBB259_2960
; %bb.2955:                             ;   in Loop: Header=BB259_2079 Depth=1
	v_mov_b32_e32 v10, v7
	v_mov_b32_e32 v25, v11
	v_bfe_u32 v8, v4, 24, 7
	s_mov_b32 s21, exec_lo
	v_mov_b32_e32 v24, v10
	v_cmpx_ne_u32_e32 0x7f, v8
	s_cbranch_execz .LBB259_2959
; %bb.2956:                             ;   in Loop: Header=BB259_2079 Depth=1
	v_and_b32_sdwa v6, v4, v78 dst_sel:DWORD dst_unused:UNUSED_PAD src0_sel:BYTE_3 src1_sel:DWORD
	v_lshrrev_b32_e32 v5, 3, v8
	s_mov_b32 s22, exec_lo
	v_cmpx_gt_u32_e32 8, v8
; %bb.2957:                             ;   in Loop: Header=BB259_2079 Depth=1
	v_ffbh_u32_e32 v5, v6
	v_min_u32_e32 v5, 32, v5
	v_subrev_nc_u32_e32 v8, 28, v5
	v_sub_nc_u32_e32 v5, 29, v5
	v_lshlrev_b64 v[24:25], v8, v[6:7]
	v_and_b32_e32 v6, 7, v24
; %bb.2958:                             ;   in Loop: Header=BB259_2079 Depth=1
	s_or_b32 exec_lo, exec_lo, s22
	v_lshlrev_b32_sdwa v4, v79, v4 dst_sel:DWORD dst_unused:UNUSED_PAD src0_sel:DWORD src1_sel:BYTE_3
	v_lshlrev_b32_e32 v6, 20, v6
	v_lshl_add_u32 v5, v5, 23, 0x3c000000
	v_mov_b32_e32 v24, v7
	v_and_b32_e32 v4, 0x80000000, v4
	v_or3_b32 v25, v6, v4, v5
.LBB259_2959:                           ;   in Loop: Header=BB259_2079 Depth=1
	s_or_b32 exec_lo, exec_lo, s21
.LBB259_2960:                           ;   in Loop: Header=BB259_2079 Depth=1
	s_or_b32 exec_lo, exec_lo, s17
.LBB259_2961:                           ;   in Loop: Header=BB259_2079 Depth=1
	s_or_b32 exec_lo, exec_lo, s15
	v_or_b32_e32 v4, v23, v21
	v_or_b32_e32 v5, v22, v20
	;; [unrolled: 1-line block ×4, first 2 shown]
	v_mul_f32_e32 v4, v93, v4
	buffer_store_dword v4, off, s[0:3], s32 offset:1024 ; 4-byte Folded Spill
	v_mul_f32_e32 v4, v73, v5
	buffer_store_dword v4, off, s[0:3], s32 offset:1016 ; 4-byte Folded Spill
	;; [unrolled: 2-line block ×4, first 2 shown]
	s_and_saveexec_b32 s8, s6
	s_cbranch_execz .LBB259_2963
; %bb.2962:                             ;   in Loop: Header=BB259_2079 Depth=1
	buffer_load_dword v4, off, s[0:3], s32 offset:1016 ; 4-byte Folded Reload
	s_waitcnt vmcnt(0)
	v_cndmask_b32_e32 v4, 0, v4, vcc_lo
	buffer_store_dword v4, off, s[0:3], s32 offset:1016 ; 4-byte Folded Spill
	buffer_load_dword v4, off, s[0:3], s32 offset:1024 ; 4-byte Folded Reload
	s_waitcnt vmcnt(0)
	v_cndmask_b32_e64 v4, 0, v4, s4
	buffer_store_dword v4, off, s[0:3], s32 offset:1024 ; 4-byte Folded Spill
	buffer_load_dword v4, off, s[0:3], s32 offset:1008 ; 4-byte Folded Reload
	s_waitcnt vmcnt(0)
	v_cndmask_b32_e64 v4, 0, v4, s5
	;; [unrolled: 4-line block ×3, first 2 shown]
	buffer_store_dword v4, off, s[0:3], s32 offset:1000 ; 4-byte Folded Spill
.LBB259_2963:                           ;   in Loop: Header=BB259_2079 Depth=1
	s_or_b32 exec_lo, exec_lo, s8
	flat_load_dword v4, v[18:19] offset:1280
	v_mov_b32_e32 v22, 0
	v_mov_b32_e32 v20, 0
	;; [unrolled: 1-line block ×4, first 2 shown]
	s_waitcnt vmcnt(0) lgkmcnt(0)
	v_cmp_ne_u16_sdwa s8, v4, v7 src0_sel:BYTE_0 src1_sel:DWORD
	s_and_saveexec_b32 s15, s8
	s_cbranch_execz .LBB259_2971
; %bb.2964:                             ;   in Loop: Header=BB259_2079 Depth=1
	v_bfrev_b32_e32 v20, 1
	v_mov_b32_e32 v21, 0
	v_cmp_ne_u16_sdwa s8, v4, v75 src0_sel:BYTE_0 src1_sel:DWORD
	s_and_saveexec_b32 s17, s8
	s_cbranch_execz .LBB259_2970
; %bb.2965:                             ;   in Loop: Header=BB259_2079 Depth=1
	v_mov_b32_e32 v20, 0x7f800001
	v_and_b32_e32 v8, 0x7f, v4
	v_mov_b32_e32 v21, 0
	s_mov_b32 s21, exec_lo
	v_cmpx_ne_u32_e32 0x7f, v8
	s_cbranch_execz .LBB259_2969
; %bb.2966:                             ;   in Loop: Header=BB259_2079 Depth=1
	v_and_b32_e32 v6, 7, v4
	v_lshrrev_b32_e32 v5, 3, v8
	s_mov_b32 s22, exec_lo
	v_cmpx_gt_u32_e32 8, v8
; %bb.2967:                             ;   in Loop: Header=BB259_2079 Depth=1
	v_ffbh_u32_e32 v5, v6
	v_min_u32_e32 v5, 32, v5
	v_subrev_nc_u32_e32 v8, 28, v5
	v_sub_nc_u32_e32 v5, 29, v5
	v_lshlrev_b64 v[20:21], v8, v[6:7]
	v_and_b32_e32 v6, 7, v20
; %bb.2968:                             ;   in Loop: Header=BB259_2079 Depth=1
	s_or_b32 exec_lo, exec_lo, s22
	v_lshlrev_b32_e32 v8, 24, v4
	v_lshlrev_b32_e32 v6, 20, v6
	v_lshl_add_u32 v5, v5, 23, 0x3c000000
	v_and_b32_e32 v8, 0x80000000, v8
	v_or3_b32 v6, v6, v8, v5
	v_mov_b32_e32 v21, v7
	v_mov_b32_e32 v20, v6
.LBB259_2969:                           ;   in Loop: Header=BB259_2079 Depth=1
	s_or_b32 exec_lo, exec_lo, s21
.LBB259_2970:                           ;   in Loop: Header=BB259_2079 Depth=1
	s_or_b32 exec_lo, exec_lo, s17
.LBB259_2971:                           ;   in Loop: Header=BB259_2079 Depth=1
	s_or_b32 exec_lo, exec_lo, s15
	v_cmp_ne_u16_sdwa s8, v4, v7 src0_sel:BYTE_1 src1_sel:DWORD
	s_and_saveexec_b32 s15, s8
	s_cbranch_execz .LBB259_2979
; %bb.2972:                             ;   in Loop: Header=BB259_2079 Depth=1
	v_mov_b32_e32 v8, v7
	v_mov_b32_e32 v23, v9
	v_cmp_ne_u16_sdwa s8, v4, v75 src0_sel:BYTE_1 src1_sel:DWORD
	v_mov_b32_e32 v22, v8
	s_and_saveexec_b32 s17, s8
	s_cbranch_execz .LBB259_2978
; %bb.2973:                             ;   in Loop: Header=BB259_2079 Depth=1
	v_and_b32_sdwa v5, v76, v4 dst_sel:DWORD dst_unused:UNUSED_PAD src0_sel:DWORD src1_sel:BYTE_1
	v_mov_b32_e32 v10, v7
	v_mov_b32_e32 v23, v11
	s_mov_b32 s21, exec_lo
	v_and_b32_e32 v8, 0x7f, v5
	v_mov_b32_e32 v22, v10
	v_cmpx_ne_u32_e32 0x7f, v8
	s_cbranch_execz .LBB259_2977
; %bb.2974:                             ;   in Loop: Header=BB259_2079 Depth=1
	v_and_b32_e32 v6, 7, v5
	v_lshrrev_b32_e32 v5, 3, v8
	s_mov_b32 s22, exec_lo
	v_cmpx_gt_u32_e32 8, v8
; %bb.2975:                             ;   in Loop: Header=BB259_2079 Depth=1
	v_ffbh_u32_e32 v5, v6
	v_min_u32_e32 v5, 32, v5
	v_subrev_nc_u32_e32 v8, 28, v5
	v_sub_nc_u32_e32 v5, 29, v5
	v_lshlrev_b64 v[22:23], v8, v[6:7]
	v_and_b32_e32 v6, 7, v22
; %bb.2976:                             ;   in Loop: Header=BB259_2079 Depth=1
	s_or_b32 exec_lo, exec_lo, s22
	v_lshlrev_b32_e32 v8, 16, v4
	v_lshlrev_b32_e32 v6, 20, v6
	v_lshl_add_u32 v5, v5, 23, 0x3c000000
	v_mov_b32_e32 v22, v7
	v_and_b32_e32 v8, 0x80000000, v8
	v_or3_b32 v23, v6, v8, v5
.LBB259_2977:                           ;   in Loop: Header=BB259_2079 Depth=1
	s_or_b32 exec_lo, exec_lo, s21
.LBB259_2978:                           ;   in Loop: Header=BB259_2079 Depth=1
	s_or_b32 exec_lo, exec_lo, s17
.LBB259_2979:                           ;   in Loop: Header=BB259_2079 Depth=1
	s_or_b32 exec_lo, exec_lo, s15
	v_mov_b32_e32 v24, 0
	v_mov_b32_e32 v26, 0
	v_and_b32_sdwa v5, v4, v77 dst_sel:DWORD dst_unused:UNUSED_PAD src0_sel:WORD_1 src1_sel:DWORD
	v_mov_b32_e32 v25, 0
	v_mov_b32_e32 v27, 0
	s_mov_b32 s15, exec_lo
	v_cmpx_ne_u16_e32 0, v5
	s_cbranch_execz .LBB259_2987
; %bb.2980:                             ;   in Loop: Header=BB259_2079 Depth=1
	v_bfrev_b32_e32 v26, 1
	v_mov_b32_e32 v27, 0
	s_mov_b32 s17, exec_lo
	v_cmpx_ne_u16_e32 0x80, v5
	s_cbranch_execz .LBB259_2986
; %bb.2981:                             ;   in Loop: Header=BB259_2079 Depth=1
	v_mov_b32_e32 v26, 0x7f800001
	v_bfe_u32 v8, v4, 16, 7
	v_mov_b32_e32 v27, 0
	s_mov_b32 s21, exec_lo
	v_cmpx_ne_u32_e32 0x7f, v8
	s_cbranch_execz .LBB259_2985
; %bb.2982:                             ;   in Loop: Header=BB259_2079 Depth=1
	v_and_b32_sdwa v6, v4, v78 dst_sel:DWORD dst_unused:UNUSED_PAD src0_sel:WORD_1 src1_sel:DWORD
	v_lshrrev_b32_e32 v5, 3, v8
	s_mov_b32 s22, exec_lo
	v_cmpx_gt_u32_e32 8, v8
; %bb.2983:                             ;   in Loop: Header=BB259_2079 Depth=1
	v_ffbh_u32_e32 v5, v6
	v_min_u32_e32 v5, 32, v5
	v_subrev_nc_u32_e32 v8, 28, v5
	v_sub_nc_u32_e32 v5, 29, v5
	v_lshlrev_b64 v[26:27], v8, v[6:7]
	v_and_b32_e32 v6, 7, v26
; %bb.2984:                             ;   in Loop: Header=BB259_2079 Depth=1
	s_or_b32 exec_lo, exec_lo, s22
	v_lshlrev_b32_sdwa v8, v79, v4 dst_sel:DWORD dst_unused:UNUSED_PAD src0_sel:DWORD src1_sel:WORD_1
	v_lshlrev_b32_e32 v6, 20, v6
	v_lshl_add_u32 v5, v5, 23, 0x3c000000
	v_and_b32_e32 v8, 0x80000000, v8
	v_or3_b32 v6, v6, v8, v5
	v_mov_b32_e32 v27, v7
	v_mov_b32_e32 v26, v6
.LBB259_2985:                           ;   in Loop: Header=BB259_2079 Depth=1
	s_or_b32 exec_lo, exec_lo, s21
.LBB259_2986:                           ;   in Loop: Header=BB259_2079 Depth=1
	s_or_b32 exec_lo, exec_lo, s17
.LBB259_2987:                           ;   in Loop: Header=BB259_2079 Depth=1
	s_or_b32 exec_lo, exec_lo, s15
	s_mov_b32 s15, exec_lo
	v_cmpx_lt_u32_e32 0xffffff, v4
	s_cbranch_execz .LBB259_2995
; %bb.2988:                             ;   in Loop: Header=BB259_2079 Depth=1
	v_mov_b32_e32 v8, v7
	v_mov_b32_e32 v25, v9
	v_cmp_ne_u32_sdwa s8, v4, v75 src0_sel:BYTE_3 src1_sel:DWORD
	v_mov_b32_e32 v24, v8
	s_and_saveexec_b32 s17, s8
	s_cbranch_execz .LBB259_2994
; %bb.2989:                             ;   in Loop: Header=BB259_2079 Depth=1
	v_mov_b32_e32 v10, v7
	v_mov_b32_e32 v25, v11
	v_bfe_u32 v8, v4, 24, 7
	s_mov_b32 s21, exec_lo
	v_mov_b32_e32 v24, v10
	v_cmpx_ne_u32_e32 0x7f, v8
	s_cbranch_execz .LBB259_2993
; %bb.2990:                             ;   in Loop: Header=BB259_2079 Depth=1
	v_and_b32_sdwa v6, v4, v78 dst_sel:DWORD dst_unused:UNUSED_PAD src0_sel:BYTE_3 src1_sel:DWORD
	v_lshrrev_b32_e32 v5, 3, v8
	s_mov_b32 s22, exec_lo
	v_cmpx_gt_u32_e32 8, v8
; %bb.2991:                             ;   in Loop: Header=BB259_2079 Depth=1
	v_ffbh_u32_e32 v5, v6
	v_min_u32_e32 v5, 32, v5
	v_subrev_nc_u32_e32 v8, 28, v5
	v_sub_nc_u32_e32 v5, 29, v5
	v_lshlrev_b64 v[24:25], v8, v[6:7]
	v_and_b32_e32 v6, 7, v24
; %bb.2992:                             ;   in Loop: Header=BB259_2079 Depth=1
	s_or_b32 exec_lo, exec_lo, s22
	v_lshlrev_b32_sdwa v4, v79, v4 dst_sel:DWORD dst_unused:UNUSED_PAD src0_sel:DWORD src1_sel:BYTE_3
	v_lshlrev_b32_e32 v6, 20, v6
	v_lshl_add_u32 v5, v5, 23, 0x3c000000
	v_mov_b32_e32 v24, v7
	v_and_b32_e32 v4, 0x80000000, v4
	v_or3_b32 v25, v6, v4, v5
.LBB259_2993:                           ;   in Loop: Header=BB259_2079 Depth=1
	s_or_b32 exec_lo, exec_lo, s21
.LBB259_2994:                           ;   in Loop: Header=BB259_2079 Depth=1
	s_or_b32 exec_lo, exec_lo, s17
.LBB259_2995:                           ;   in Loop: Header=BB259_2079 Depth=1
	s_or_b32 exec_lo, exec_lo, s15
	v_or_b32_e32 v4, v23, v21
	v_or_b32_e32 v5, v22, v20
	;; [unrolled: 1-line block ×4, first 2 shown]
	v_mul_f32_e32 v4, v93, v4
	buffer_store_dword v4, off, s[0:3], s32 offset:1056 ; 4-byte Folded Spill
	v_mul_f32_e32 v4, v73, v5
	buffer_store_dword v4, off, s[0:3], s32 offset:1048 ; 4-byte Folded Spill
	;; [unrolled: 2-line block ×4, first 2 shown]
	s_and_saveexec_b32 s8, s6
	s_cbranch_execz .LBB259_2997
; %bb.2996:                             ;   in Loop: Header=BB259_2079 Depth=1
	buffer_load_dword v4, off, s[0:3], s32 offset:1048 ; 4-byte Folded Reload
	s_waitcnt vmcnt(0)
	v_cndmask_b32_e32 v4, 0, v4, vcc_lo
	buffer_store_dword v4, off, s[0:3], s32 offset:1048 ; 4-byte Folded Spill
	buffer_load_dword v4, off, s[0:3], s32 offset:1056 ; 4-byte Folded Reload
	s_waitcnt vmcnt(0)
	v_cndmask_b32_e64 v4, 0, v4, s4
	buffer_store_dword v4, off, s[0:3], s32 offset:1056 ; 4-byte Folded Spill
	buffer_load_dword v4, off, s[0:3], s32 offset:1040 ; 4-byte Folded Reload
	s_waitcnt vmcnt(0)
	v_cndmask_b32_e64 v4, 0, v4, s5
	;; [unrolled: 4-line block ×3, first 2 shown]
	buffer_store_dword v4, off, s[0:3], s32 offset:1032 ; 4-byte Folded Spill
.LBB259_2997:                           ;   in Loop: Header=BB259_2079 Depth=1
	s_or_b32 exec_lo, exec_lo, s8
	flat_load_dword v4, v[18:19] offset:1408
	v_mov_b32_e32 v22, 0
	v_mov_b32_e32 v20, 0
	v_mov_b32_e32 v23, 0
	v_mov_b32_e32 v21, 0
	s_waitcnt vmcnt(0) lgkmcnt(0)
	v_cmp_ne_u16_sdwa s8, v4, v7 src0_sel:BYTE_0 src1_sel:DWORD
	s_and_saveexec_b32 s15, s8
	s_cbranch_execz .LBB259_3005
; %bb.2998:                             ;   in Loop: Header=BB259_2079 Depth=1
	v_bfrev_b32_e32 v20, 1
	v_mov_b32_e32 v21, 0
	v_cmp_ne_u16_sdwa s8, v4, v75 src0_sel:BYTE_0 src1_sel:DWORD
	s_and_saveexec_b32 s17, s8
	s_cbranch_execz .LBB259_3004
; %bb.2999:                             ;   in Loop: Header=BB259_2079 Depth=1
	v_mov_b32_e32 v20, 0x7f800001
	v_and_b32_e32 v8, 0x7f, v4
	v_mov_b32_e32 v21, 0
	s_mov_b32 s21, exec_lo
	v_cmpx_ne_u32_e32 0x7f, v8
	s_cbranch_execz .LBB259_3003
; %bb.3000:                             ;   in Loop: Header=BB259_2079 Depth=1
	v_and_b32_e32 v6, 7, v4
	v_lshrrev_b32_e32 v5, 3, v8
	s_mov_b32 s22, exec_lo
	v_cmpx_gt_u32_e32 8, v8
; %bb.3001:                             ;   in Loop: Header=BB259_2079 Depth=1
	v_ffbh_u32_e32 v5, v6
	v_min_u32_e32 v5, 32, v5
	v_subrev_nc_u32_e32 v8, 28, v5
	v_sub_nc_u32_e32 v5, 29, v5
	v_lshlrev_b64 v[20:21], v8, v[6:7]
	v_and_b32_e32 v6, 7, v20
; %bb.3002:                             ;   in Loop: Header=BB259_2079 Depth=1
	s_or_b32 exec_lo, exec_lo, s22
	v_lshlrev_b32_e32 v8, 24, v4
	v_lshlrev_b32_e32 v6, 20, v6
	v_lshl_add_u32 v5, v5, 23, 0x3c000000
	v_and_b32_e32 v8, 0x80000000, v8
	v_or3_b32 v6, v6, v8, v5
	v_mov_b32_e32 v21, v7
	v_mov_b32_e32 v20, v6
.LBB259_3003:                           ;   in Loop: Header=BB259_2079 Depth=1
	s_or_b32 exec_lo, exec_lo, s21
.LBB259_3004:                           ;   in Loop: Header=BB259_2079 Depth=1
	s_or_b32 exec_lo, exec_lo, s17
.LBB259_3005:                           ;   in Loop: Header=BB259_2079 Depth=1
	s_or_b32 exec_lo, exec_lo, s15
	v_cmp_ne_u16_sdwa s8, v4, v7 src0_sel:BYTE_1 src1_sel:DWORD
	s_and_saveexec_b32 s15, s8
	s_cbranch_execz .LBB259_3013
; %bb.3006:                             ;   in Loop: Header=BB259_2079 Depth=1
	v_mov_b32_e32 v8, v7
	v_mov_b32_e32 v23, v9
	v_cmp_ne_u16_sdwa s8, v4, v75 src0_sel:BYTE_1 src1_sel:DWORD
	v_mov_b32_e32 v22, v8
	s_and_saveexec_b32 s17, s8
	s_cbranch_execz .LBB259_3012
; %bb.3007:                             ;   in Loop: Header=BB259_2079 Depth=1
	v_and_b32_sdwa v5, v76, v4 dst_sel:DWORD dst_unused:UNUSED_PAD src0_sel:DWORD src1_sel:BYTE_1
	v_mov_b32_e32 v10, v7
	v_mov_b32_e32 v23, v11
	s_mov_b32 s21, exec_lo
	v_and_b32_e32 v8, 0x7f, v5
	v_mov_b32_e32 v22, v10
	v_cmpx_ne_u32_e32 0x7f, v8
	s_cbranch_execz .LBB259_3011
; %bb.3008:                             ;   in Loop: Header=BB259_2079 Depth=1
	v_and_b32_e32 v6, 7, v5
	v_lshrrev_b32_e32 v5, 3, v8
	s_mov_b32 s22, exec_lo
	v_cmpx_gt_u32_e32 8, v8
; %bb.3009:                             ;   in Loop: Header=BB259_2079 Depth=1
	v_ffbh_u32_e32 v5, v6
	v_min_u32_e32 v5, 32, v5
	v_subrev_nc_u32_e32 v8, 28, v5
	v_sub_nc_u32_e32 v5, 29, v5
	v_lshlrev_b64 v[22:23], v8, v[6:7]
	v_and_b32_e32 v6, 7, v22
; %bb.3010:                             ;   in Loop: Header=BB259_2079 Depth=1
	s_or_b32 exec_lo, exec_lo, s22
	v_lshlrev_b32_e32 v8, 16, v4
	v_lshlrev_b32_e32 v6, 20, v6
	v_lshl_add_u32 v5, v5, 23, 0x3c000000
	v_mov_b32_e32 v22, v7
	v_and_b32_e32 v8, 0x80000000, v8
	v_or3_b32 v23, v6, v8, v5
.LBB259_3011:                           ;   in Loop: Header=BB259_2079 Depth=1
	s_or_b32 exec_lo, exec_lo, s21
.LBB259_3012:                           ;   in Loop: Header=BB259_2079 Depth=1
	s_or_b32 exec_lo, exec_lo, s17
.LBB259_3013:                           ;   in Loop: Header=BB259_2079 Depth=1
	s_or_b32 exec_lo, exec_lo, s15
	v_mov_b32_e32 v24, 0
	v_mov_b32_e32 v26, 0
	v_and_b32_sdwa v5, v4, v77 dst_sel:DWORD dst_unused:UNUSED_PAD src0_sel:WORD_1 src1_sel:DWORD
	v_mov_b32_e32 v25, 0
	v_mov_b32_e32 v27, 0
	s_mov_b32 s15, exec_lo
	v_cmpx_ne_u16_e32 0, v5
	s_cbranch_execz .LBB259_3021
; %bb.3014:                             ;   in Loop: Header=BB259_2079 Depth=1
	v_bfrev_b32_e32 v26, 1
	v_mov_b32_e32 v27, 0
	s_mov_b32 s17, exec_lo
	v_cmpx_ne_u16_e32 0x80, v5
	s_cbranch_execz .LBB259_3020
; %bb.3015:                             ;   in Loop: Header=BB259_2079 Depth=1
	v_mov_b32_e32 v26, 0x7f800001
	v_bfe_u32 v8, v4, 16, 7
	v_mov_b32_e32 v27, 0
	s_mov_b32 s21, exec_lo
	v_cmpx_ne_u32_e32 0x7f, v8
	s_cbranch_execz .LBB259_3019
; %bb.3016:                             ;   in Loop: Header=BB259_2079 Depth=1
	v_and_b32_sdwa v6, v4, v78 dst_sel:DWORD dst_unused:UNUSED_PAD src0_sel:WORD_1 src1_sel:DWORD
	v_lshrrev_b32_e32 v5, 3, v8
	s_mov_b32 s22, exec_lo
	v_cmpx_gt_u32_e32 8, v8
; %bb.3017:                             ;   in Loop: Header=BB259_2079 Depth=1
	v_ffbh_u32_e32 v5, v6
	v_min_u32_e32 v5, 32, v5
	v_subrev_nc_u32_e32 v8, 28, v5
	v_sub_nc_u32_e32 v5, 29, v5
	v_lshlrev_b64 v[26:27], v8, v[6:7]
	v_and_b32_e32 v6, 7, v26
; %bb.3018:                             ;   in Loop: Header=BB259_2079 Depth=1
	s_or_b32 exec_lo, exec_lo, s22
	v_lshlrev_b32_sdwa v8, v79, v4 dst_sel:DWORD dst_unused:UNUSED_PAD src0_sel:DWORD src1_sel:WORD_1
	v_lshlrev_b32_e32 v6, 20, v6
	v_lshl_add_u32 v5, v5, 23, 0x3c000000
	v_and_b32_e32 v8, 0x80000000, v8
	v_or3_b32 v6, v6, v8, v5
	v_mov_b32_e32 v27, v7
	v_mov_b32_e32 v26, v6
.LBB259_3019:                           ;   in Loop: Header=BB259_2079 Depth=1
	s_or_b32 exec_lo, exec_lo, s21
.LBB259_3020:                           ;   in Loop: Header=BB259_2079 Depth=1
	s_or_b32 exec_lo, exec_lo, s17
.LBB259_3021:                           ;   in Loop: Header=BB259_2079 Depth=1
	s_or_b32 exec_lo, exec_lo, s15
	s_mov_b32 s15, exec_lo
	v_cmpx_lt_u32_e32 0xffffff, v4
	s_cbranch_execz .LBB259_3029
; %bb.3022:                             ;   in Loop: Header=BB259_2079 Depth=1
	v_mov_b32_e32 v8, v7
	v_mov_b32_e32 v25, v9
	v_cmp_ne_u32_sdwa s8, v4, v75 src0_sel:BYTE_3 src1_sel:DWORD
	v_mov_b32_e32 v24, v8
	s_and_saveexec_b32 s17, s8
	s_cbranch_execz .LBB259_3028
; %bb.3023:                             ;   in Loop: Header=BB259_2079 Depth=1
	v_mov_b32_e32 v10, v7
	v_mov_b32_e32 v25, v11
	v_bfe_u32 v8, v4, 24, 7
	s_mov_b32 s21, exec_lo
	v_mov_b32_e32 v24, v10
	v_cmpx_ne_u32_e32 0x7f, v8
	s_cbranch_execz .LBB259_3027
; %bb.3024:                             ;   in Loop: Header=BB259_2079 Depth=1
	v_and_b32_sdwa v6, v4, v78 dst_sel:DWORD dst_unused:UNUSED_PAD src0_sel:BYTE_3 src1_sel:DWORD
	v_lshrrev_b32_e32 v5, 3, v8
	s_mov_b32 s22, exec_lo
	v_cmpx_gt_u32_e32 8, v8
; %bb.3025:                             ;   in Loop: Header=BB259_2079 Depth=1
	v_ffbh_u32_e32 v5, v6
	v_min_u32_e32 v5, 32, v5
	v_subrev_nc_u32_e32 v8, 28, v5
	v_sub_nc_u32_e32 v5, 29, v5
	v_lshlrev_b64 v[24:25], v8, v[6:7]
	v_and_b32_e32 v6, 7, v24
; %bb.3026:                             ;   in Loop: Header=BB259_2079 Depth=1
	s_or_b32 exec_lo, exec_lo, s22
	v_lshlrev_b32_sdwa v4, v79, v4 dst_sel:DWORD dst_unused:UNUSED_PAD src0_sel:DWORD src1_sel:BYTE_3
	v_lshlrev_b32_e32 v6, 20, v6
	v_lshl_add_u32 v5, v5, 23, 0x3c000000
	v_mov_b32_e32 v24, v7
	v_and_b32_e32 v4, 0x80000000, v4
	v_or3_b32 v25, v6, v4, v5
.LBB259_3027:                           ;   in Loop: Header=BB259_2079 Depth=1
	s_or_b32 exec_lo, exec_lo, s21
.LBB259_3028:                           ;   in Loop: Header=BB259_2079 Depth=1
	s_or_b32 exec_lo, exec_lo, s17
.LBB259_3029:                           ;   in Loop: Header=BB259_2079 Depth=1
	s_or_b32 exec_lo, exec_lo, s15
	v_or_b32_e32 v4, v23, v21
	v_or_b32_e32 v5, v22, v20
	;; [unrolled: 1-line block ×4, first 2 shown]
	v_mul_f32_e32 v4, v93, v4
	buffer_store_dword v4, off, s[0:3], s32 offset:1088 ; 4-byte Folded Spill
	v_mul_f32_e32 v4, v73, v5
	buffer_store_dword v4, off, s[0:3], s32 offset:1080 ; 4-byte Folded Spill
	;; [unrolled: 2-line block ×4, first 2 shown]
	s_and_saveexec_b32 s8, s6
	s_cbranch_execz .LBB259_3031
; %bb.3030:                             ;   in Loop: Header=BB259_2079 Depth=1
	buffer_load_dword v4, off, s[0:3], s32 offset:1080 ; 4-byte Folded Reload
	s_waitcnt vmcnt(0)
	v_cndmask_b32_e32 v4, 0, v4, vcc_lo
	buffer_store_dword v4, off, s[0:3], s32 offset:1080 ; 4-byte Folded Spill
	buffer_load_dword v4, off, s[0:3], s32 offset:1088 ; 4-byte Folded Reload
	s_waitcnt vmcnt(0)
	v_cndmask_b32_e64 v4, 0, v4, s4
	buffer_store_dword v4, off, s[0:3], s32 offset:1088 ; 4-byte Folded Spill
	buffer_load_dword v4, off, s[0:3], s32 offset:1072 ; 4-byte Folded Reload
	s_waitcnt vmcnt(0)
	v_cndmask_b32_e64 v4, 0, v4, s5
	;; [unrolled: 4-line block ×3, first 2 shown]
	buffer_store_dword v4, off, s[0:3], s32 offset:1064 ; 4-byte Folded Spill
.LBB259_3031:                           ;   in Loop: Header=BB259_2079 Depth=1
	s_or_b32 exec_lo, exec_lo, s8
	flat_load_dword v4, v[18:19] offset:1536
	v_mov_b32_e32 v22, 0
	v_mov_b32_e32 v20, 0
	;; [unrolled: 1-line block ×4, first 2 shown]
	s_waitcnt vmcnt(0) lgkmcnt(0)
	v_cmp_ne_u16_sdwa s8, v4, v7 src0_sel:BYTE_0 src1_sel:DWORD
	s_and_saveexec_b32 s15, s8
	s_cbranch_execz .LBB259_3039
; %bb.3032:                             ;   in Loop: Header=BB259_2079 Depth=1
	v_bfrev_b32_e32 v20, 1
	v_mov_b32_e32 v21, 0
	v_cmp_ne_u16_sdwa s8, v4, v75 src0_sel:BYTE_0 src1_sel:DWORD
	s_and_saveexec_b32 s17, s8
	s_cbranch_execz .LBB259_3038
; %bb.3033:                             ;   in Loop: Header=BB259_2079 Depth=1
	v_mov_b32_e32 v20, 0x7f800001
	v_and_b32_e32 v8, 0x7f, v4
	v_mov_b32_e32 v21, 0
	s_mov_b32 s21, exec_lo
	v_cmpx_ne_u32_e32 0x7f, v8
	s_cbranch_execz .LBB259_3037
; %bb.3034:                             ;   in Loop: Header=BB259_2079 Depth=1
	v_and_b32_e32 v6, 7, v4
	v_lshrrev_b32_e32 v5, 3, v8
	s_mov_b32 s22, exec_lo
	v_cmpx_gt_u32_e32 8, v8
; %bb.3035:                             ;   in Loop: Header=BB259_2079 Depth=1
	v_ffbh_u32_e32 v5, v6
	v_min_u32_e32 v5, 32, v5
	v_subrev_nc_u32_e32 v8, 28, v5
	v_sub_nc_u32_e32 v5, 29, v5
	v_lshlrev_b64 v[20:21], v8, v[6:7]
	v_and_b32_e32 v6, 7, v20
; %bb.3036:                             ;   in Loop: Header=BB259_2079 Depth=1
	s_or_b32 exec_lo, exec_lo, s22
	v_lshlrev_b32_e32 v8, 24, v4
	v_lshlrev_b32_e32 v6, 20, v6
	v_lshl_add_u32 v5, v5, 23, 0x3c000000
	v_and_b32_e32 v8, 0x80000000, v8
	v_or3_b32 v6, v6, v8, v5
	v_mov_b32_e32 v21, v7
	v_mov_b32_e32 v20, v6
.LBB259_3037:                           ;   in Loop: Header=BB259_2079 Depth=1
	s_or_b32 exec_lo, exec_lo, s21
.LBB259_3038:                           ;   in Loop: Header=BB259_2079 Depth=1
	s_or_b32 exec_lo, exec_lo, s17
.LBB259_3039:                           ;   in Loop: Header=BB259_2079 Depth=1
	s_or_b32 exec_lo, exec_lo, s15
	v_cmp_ne_u16_sdwa s8, v4, v7 src0_sel:BYTE_1 src1_sel:DWORD
	s_and_saveexec_b32 s15, s8
	s_cbranch_execz .LBB259_3047
; %bb.3040:                             ;   in Loop: Header=BB259_2079 Depth=1
	v_mov_b32_e32 v8, v7
	v_mov_b32_e32 v23, v9
	v_cmp_ne_u16_sdwa s8, v4, v75 src0_sel:BYTE_1 src1_sel:DWORD
	v_mov_b32_e32 v22, v8
	s_and_saveexec_b32 s17, s8
	s_cbranch_execz .LBB259_3046
; %bb.3041:                             ;   in Loop: Header=BB259_2079 Depth=1
	v_and_b32_sdwa v5, v76, v4 dst_sel:DWORD dst_unused:UNUSED_PAD src0_sel:DWORD src1_sel:BYTE_1
	v_mov_b32_e32 v10, v7
	v_mov_b32_e32 v23, v11
	s_mov_b32 s21, exec_lo
	v_and_b32_e32 v8, 0x7f, v5
	v_mov_b32_e32 v22, v10
	v_cmpx_ne_u32_e32 0x7f, v8
	s_cbranch_execz .LBB259_3045
; %bb.3042:                             ;   in Loop: Header=BB259_2079 Depth=1
	v_and_b32_e32 v6, 7, v5
	v_lshrrev_b32_e32 v5, 3, v8
	s_mov_b32 s22, exec_lo
	v_cmpx_gt_u32_e32 8, v8
; %bb.3043:                             ;   in Loop: Header=BB259_2079 Depth=1
	v_ffbh_u32_e32 v5, v6
	v_min_u32_e32 v5, 32, v5
	v_subrev_nc_u32_e32 v8, 28, v5
	v_sub_nc_u32_e32 v5, 29, v5
	v_lshlrev_b64 v[22:23], v8, v[6:7]
	v_and_b32_e32 v6, 7, v22
; %bb.3044:                             ;   in Loop: Header=BB259_2079 Depth=1
	s_or_b32 exec_lo, exec_lo, s22
	v_lshlrev_b32_e32 v8, 16, v4
	v_lshlrev_b32_e32 v6, 20, v6
	v_lshl_add_u32 v5, v5, 23, 0x3c000000
	v_mov_b32_e32 v22, v7
	v_and_b32_e32 v8, 0x80000000, v8
	v_or3_b32 v23, v6, v8, v5
.LBB259_3045:                           ;   in Loop: Header=BB259_2079 Depth=1
	s_or_b32 exec_lo, exec_lo, s21
.LBB259_3046:                           ;   in Loop: Header=BB259_2079 Depth=1
	s_or_b32 exec_lo, exec_lo, s17
.LBB259_3047:                           ;   in Loop: Header=BB259_2079 Depth=1
	s_or_b32 exec_lo, exec_lo, s15
	v_mov_b32_e32 v24, 0
	v_mov_b32_e32 v26, 0
	v_and_b32_sdwa v5, v4, v77 dst_sel:DWORD dst_unused:UNUSED_PAD src0_sel:WORD_1 src1_sel:DWORD
	v_mov_b32_e32 v25, 0
	v_mov_b32_e32 v27, 0
	s_mov_b32 s15, exec_lo
	v_cmpx_ne_u16_e32 0, v5
	s_cbranch_execz .LBB259_3055
; %bb.3048:                             ;   in Loop: Header=BB259_2079 Depth=1
	v_bfrev_b32_e32 v26, 1
	v_mov_b32_e32 v27, 0
	s_mov_b32 s17, exec_lo
	v_cmpx_ne_u16_e32 0x80, v5
	s_cbranch_execz .LBB259_3054
; %bb.3049:                             ;   in Loop: Header=BB259_2079 Depth=1
	v_mov_b32_e32 v26, 0x7f800001
	v_bfe_u32 v8, v4, 16, 7
	v_mov_b32_e32 v27, 0
	s_mov_b32 s21, exec_lo
	v_cmpx_ne_u32_e32 0x7f, v8
	s_cbranch_execz .LBB259_3053
; %bb.3050:                             ;   in Loop: Header=BB259_2079 Depth=1
	v_and_b32_sdwa v6, v4, v78 dst_sel:DWORD dst_unused:UNUSED_PAD src0_sel:WORD_1 src1_sel:DWORD
	v_lshrrev_b32_e32 v5, 3, v8
	s_mov_b32 s22, exec_lo
	v_cmpx_gt_u32_e32 8, v8
; %bb.3051:                             ;   in Loop: Header=BB259_2079 Depth=1
	v_ffbh_u32_e32 v5, v6
	v_min_u32_e32 v5, 32, v5
	v_subrev_nc_u32_e32 v8, 28, v5
	v_sub_nc_u32_e32 v5, 29, v5
	v_lshlrev_b64 v[26:27], v8, v[6:7]
	v_and_b32_e32 v6, 7, v26
; %bb.3052:                             ;   in Loop: Header=BB259_2079 Depth=1
	s_or_b32 exec_lo, exec_lo, s22
	v_lshlrev_b32_sdwa v8, v79, v4 dst_sel:DWORD dst_unused:UNUSED_PAD src0_sel:DWORD src1_sel:WORD_1
	v_lshlrev_b32_e32 v6, 20, v6
	v_lshl_add_u32 v5, v5, 23, 0x3c000000
	v_and_b32_e32 v8, 0x80000000, v8
	v_or3_b32 v6, v6, v8, v5
	v_mov_b32_e32 v27, v7
	v_mov_b32_e32 v26, v6
.LBB259_3053:                           ;   in Loop: Header=BB259_2079 Depth=1
	s_or_b32 exec_lo, exec_lo, s21
.LBB259_3054:                           ;   in Loop: Header=BB259_2079 Depth=1
	s_or_b32 exec_lo, exec_lo, s17
.LBB259_3055:                           ;   in Loop: Header=BB259_2079 Depth=1
	s_or_b32 exec_lo, exec_lo, s15
	s_mov_b32 s15, exec_lo
	v_cmpx_lt_u32_e32 0xffffff, v4
	s_cbranch_execz .LBB259_3063
; %bb.3056:                             ;   in Loop: Header=BB259_2079 Depth=1
	v_mov_b32_e32 v8, v7
	v_mov_b32_e32 v25, v9
	v_cmp_ne_u32_sdwa s8, v4, v75 src0_sel:BYTE_3 src1_sel:DWORD
	v_mov_b32_e32 v24, v8
	s_and_saveexec_b32 s17, s8
	s_cbranch_execz .LBB259_3062
; %bb.3057:                             ;   in Loop: Header=BB259_2079 Depth=1
	v_mov_b32_e32 v10, v7
	v_mov_b32_e32 v25, v11
	v_bfe_u32 v8, v4, 24, 7
	s_mov_b32 s21, exec_lo
	v_mov_b32_e32 v24, v10
	v_cmpx_ne_u32_e32 0x7f, v8
	s_cbranch_execz .LBB259_3061
; %bb.3058:                             ;   in Loop: Header=BB259_2079 Depth=1
	v_and_b32_sdwa v6, v4, v78 dst_sel:DWORD dst_unused:UNUSED_PAD src0_sel:BYTE_3 src1_sel:DWORD
	v_lshrrev_b32_e32 v5, 3, v8
	s_mov_b32 s22, exec_lo
	v_cmpx_gt_u32_e32 8, v8
; %bb.3059:                             ;   in Loop: Header=BB259_2079 Depth=1
	v_ffbh_u32_e32 v5, v6
	v_min_u32_e32 v5, 32, v5
	v_subrev_nc_u32_e32 v8, 28, v5
	v_sub_nc_u32_e32 v5, 29, v5
	v_lshlrev_b64 v[24:25], v8, v[6:7]
	v_and_b32_e32 v6, 7, v24
; %bb.3060:                             ;   in Loop: Header=BB259_2079 Depth=1
	s_or_b32 exec_lo, exec_lo, s22
	v_lshlrev_b32_sdwa v4, v79, v4 dst_sel:DWORD dst_unused:UNUSED_PAD src0_sel:DWORD src1_sel:BYTE_3
	v_lshlrev_b32_e32 v6, 20, v6
	v_lshl_add_u32 v5, v5, 23, 0x3c000000
	v_mov_b32_e32 v24, v7
	v_and_b32_e32 v4, 0x80000000, v4
	v_or3_b32 v25, v6, v4, v5
.LBB259_3061:                           ;   in Loop: Header=BB259_2079 Depth=1
	s_or_b32 exec_lo, exec_lo, s21
.LBB259_3062:                           ;   in Loop: Header=BB259_2079 Depth=1
	s_or_b32 exec_lo, exec_lo, s17
.LBB259_3063:                           ;   in Loop: Header=BB259_2079 Depth=1
	s_or_b32 exec_lo, exec_lo, s15
	v_or_b32_e32 v4, v23, v21
	v_or_b32_e32 v5, v22, v20
	;; [unrolled: 1-line block ×4, first 2 shown]
	v_mul_f32_e32 v4, v93, v4
	buffer_store_dword v4, off, s[0:3], s32 offset:1120 ; 4-byte Folded Spill
	v_mul_f32_e32 v4, v73, v5
	buffer_store_dword v4, off, s[0:3], s32 offset:1112 ; 4-byte Folded Spill
	;; [unrolled: 2-line block ×4, first 2 shown]
	s_and_saveexec_b32 s8, s6
	s_cbranch_execz .LBB259_3065
; %bb.3064:                             ;   in Loop: Header=BB259_2079 Depth=1
	buffer_load_dword v4, off, s[0:3], s32 offset:1112 ; 4-byte Folded Reload
	s_waitcnt vmcnt(0)
	v_cndmask_b32_e32 v4, 0, v4, vcc_lo
	buffer_store_dword v4, off, s[0:3], s32 offset:1112 ; 4-byte Folded Spill
	buffer_load_dword v4, off, s[0:3], s32 offset:1120 ; 4-byte Folded Reload
	s_waitcnt vmcnt(0)
	v_cndmask_b32_e64 v4, 0, v4, s4
	buffer_store_dword v4, off, s[0:3], s32 offset:1120 ; 4-byte Folded Spill
	buffer_load_dword v4, off, s[0:3], s32 offset:1104 ; 4-byte Folded Reload
	s_waitcnt vmcnt(0)
	v_cndmask_b32_e64 v4, 0, v4, s5
	;; [unrolled: 4-line block ×3, first 2 shown]
	buffer_store_dword v4, off, s[0:3], s32 offset:1096 ; 4-byte Folded Spill
.LBB259_3065:                           ;   in Loop: Header=BB259_2079 Depth=1
	s_or_b32 exec_lo, exec_lo, s8
	flat_load_dword v4, v[18:19] offset:1664
	v_mov_b32_e32 v22, 0
	v_mov_b32_e32 v20, 0
	;; [unrolled: 1-line block ×4, first 2 shown]
	s_waitcnt vmcnt(0) lgkmcnt(0)
	v_cmp_ne_u16_sdwa s8, v4, v7 src0_sel:BYTE_0 src1_sel:DWORD
	s_and_saveexec_b32 s15, s8
	s_cbranch_execz .LBB259_3073
; %bb.3066:                             ;   in Loop: Header=BB259_2079 Depth=1
	v_bfrev_b32_e32 v20, 1
	v_mov_b32_e32 v21, 0
	v_cmp_ne_u16_sdwa s8, v4, v75 src0_sel:BYTE_0 src1_sel:DWORD
	s_and_saveexec_b32 s17, s8
	s_cbranch_execz .LBB259_3072
; %bb.3067:                             ;   in Loop: Header=BB259_2079 Depth=1
	v_mov_b32_e32 v20, 0x7f800001
	v_and_b32_e32 v8, 0x7f, v4
	v_mov_b32_e32 v21, 0
	s_mov_b32 s21, exec_lo
	v_cmpx_ne_u32_e32 0x7f, v8
	s_cbranch_execz .LBB259_3071
; %bb.3068:                             ;   in Loop: Header=BB259_2079 Depth=1
	v_and_b32_e32 v6, 7, v4
	v_lshrrev_b32_e32 v5, 3, v8
	s_mov_b32 s22, exec_lo
	v_cmpx_gt_u32_e32 8, v8
; %bb.3069:                             ;   in Loop: Header=BB259_2079 Depth=1
	v_ffbh_u32_e32 v5, v6
	v_min_u32_e32 v5, 32, v5
	v_subrev_nc_u32_e32 v8, 28, v5
	v_sub_nc_u32_e32 v5, 29, v5
	v_lshlrev_b64 v[20:21], v8, v[6:7]
	v_and_b32_e32 v6, 7, v20
; %bb.3070:                             ;   in Loop: Header=BB259_2079 Depth=1
	s_or_b32 exec_lo, exec_lo, s22
	v_lshlrev_b32_e32 v8, 24, v4
	v_lshlrev_b32_e32 v6, 20, v6
	v_lshl_add_u32 v5, v5, 23, 0x3c000000
	v_and_b32_e32 v8, 0x80000000, v8
	v_or3_b32 v6, v6, v8, v5
	v_mov_b32_e32 v21, v7
	v_mov_b32_e32 v20, v6
.LBB259_3071:                           ;   in Loop: Header=BB259_2079 Depth=1
	s_or_b32 exec_lo, exec_lo, s21
.LBB259_3072:                           ;   in Loop: Header=BB259_2079 Depth=1
	s_or_b32 exec_lo, exec_lo, s17
.LBB259_3073:                           ;   in Loop: Header=BB259_2079 Depth=1
	s_or_b32 exec_lo, exec_lo, s15
	v_cmp_ne_u16_sdwa s8, v4, v7 src0_sel:BYTE_1 src1_sel:DWORD
	s_and_saveexec_b32 s15, s8
	s_cbranch_execz .LBB259_3081
; %bb.3074:                             ;   in Loop: Header=BB259_2079 Depth=1
	v_mov_b32_e32 v8, v7
	v_mov_b32_e32 v23, v9
	v_cmp_ne_u16_sdwa s8, v4, v75 src0_sel:BYTE_1 src1_sel:DWORD
	v_mov_b32_e32 v22, v8
	s_and_saveexec_b32 s17, s8
	s_cbranch_execz .LBB259_3080
; %bb.3075:                             ;   in Loop: Header=BB259_2079 Depth=1
	v_and_b32_sdwa v5, v76, v4 dst_sel:DWORD dst_unused:UNUSED_PAD src0_sel:DWORD src1_sel:BYTE_1
	v_mov_b32_e32 v10, v7
	v_mov_b32_e32 v23, v11
	s_mov_b32 s21, exec_lo
	v_and_b32_e32 v8, 0x7f, v5
	v_mov_b32_e32 v22, v10
	v_cmpx_ne_u32_e32 0x7f, v8
	s_cbranch_execz .LBB259_3079
; %bb.3076:                             ;   in Loop: Header=BB259_2079 Depth=1
	v_and_b32_e32 v6, 7, v5
	v_lshrrev_b32_e32 v5, 3, v8
	s_mov_b32 s22, exec_lo
	v_cmpx_gt_u32_e32 8, v8
; %bb.3077:                             ;   in Loop: Header=BB259_2079 Depth=1
	v_ffbh_u32_e32 v5, v6
	v_min_u32_e32 v5, 32, v5
	v_subrev_nc_u32_e32 v8, 28, v5
	v_sub_nc_u32_e32 v5, 29, v5
	v_lshlrev_b64 v[22:23], v8, v[6:7]
	v_and_b32_e32 v6, 7, v22
; %bb.3078:                             ;   in Loop: Header=BB259_2079 Depth=1
	s_or_b32 exec_lo, exec_lo, s22
	v_lshlrev_b32_e32 v8, 16, v4
	v_lshlrev_b32_e32 v6, 20, v6
	v_lshl_add_u32 v5, v5, 23, 0x3c000000
	v_mov_b32_e32 v22, v7
	v_and_b32_e32 v8, 0x80000000, v8
	v_or3_b32 v23, v6, v8, v5
.LBB259_3079:                           ;   in Loop: Header=BB259_2079 Depth=1
	s_or_b32 exec_lo, exec_lo, s21
.LBB259_3080:                           ;   in Loop: Header=BB259_2079 Depth=1
	s_or_b32 exec_lo, exec_lo, s17
.LBB259_3081:                           ;   in Loop: Header=BB259_2079 Depth=1
	s_or_b32 exec_lo, exec_lo, s15
	v_mov_b32_e32 v24, 0
	v_mov_b32_e32 v26, 0
	v_and_b32_sdwa v5, v4, v77 dst_sel:DWORD dst_unused:UNUSED_PAD src0_sel:WORD_1 src1_sel:DWORD
	v_mov_b32_e32 v25, 0
	v_mov_b32_e32 v27, 0
	s_mov_b32 s15, exec_lo
	v_cmpx_ne_u16_e32 0, v5
	s_cbranch_execz .LBB259_3089
; %bb.3082:                             ;   in Loop: Header=BB259_2079 Depth=1
	v_bfrev_b32_e32 v26, 1
	v_mov_b32_e32 v27, 0
	s_mov_b32 s17, exec_lo
	v_cmpx_ne_u16_e32 0x80, v5
	s_cbranch_execz .LBB259_3088
; %bb.3083:                             ;   in Loop: Header=BB259_2079 Depth=1
	v_mov_b32_e32 v26, 0x7f800001
	v_bfe_u32 v8, v4, 16, 7
	v_mov_b32_e32 v27, 0
	s_mov_b32 s21, exec_lo
	v_cmpx_ne_u32_e32 0x7f, v8
	s_cbranch_execz .LBB259_3087
; %bb.3084:                             ;   in Loop: Header=BB259_2079 Depth=1
	v_and_b32_sdwa v6, v4, v78 dst_sel:DWORD dst_unused:UNUSED_PAD src0_sel:WORD_1 src1_sel:DWORD
	v_lshrrev_b32_e32 v5, 3, v8
	s_mov_b32 s22, exec_lo
	v_cmpx_gt_u32_e32 8, v8
; %bb.3085:                             ;   in Loop: Header=BB259_2079 Depth=1
	v_ffbh_u32_e32 v5, v6
	v_min_u32_e32 v5, 32, v5
	v_subrev_nc_u32_e32 v8, 28, v5
	v_sub_nc_u32_e32 v5, 29, v5
	v_lshlrev_b64 v[26:27], v8, v[6:7]
	v_and_b32_e32 v6, 7, v26
; %bb.3086:                             ;   in Loop: Header=BB259_2079 Depth=1
	s_or_b32 exec_lo, exec_lo, s22
	v_lshlrev_b32_sdwa v8, v79, v4 dst_sel:DWORD dst_unused:UNUSED_PAD src0_sel:DWORD src1_sel:WORD_1
	v_lshlrev_b32_e32 v6, 20, v6
	v_lshl_add_u32 v5, v5, 23, 0x3c000000
	v_and_b32_e32 v8, 0x80000000, v8
	v_or3_b32 v6, v6, v8, v5
	v_mov_b32_e32 v27, v7
	v_mov_b32_e32 v26, v6
.LBB259_3087:                           ;   in Loop: Header=BB259_2079 Depth=1
	s_or_b32 exec_lo, exec_lo, s21
.LBB259_3088:                           ;   in Loop: Header=BB259_2079 Depth=1
	s_or_b32 exec_lo, exec_lo, s17
.LBB259_3089:                           ;   in Loop: Header=BB259_2079 Depth=1
	s_or_b32 exec_lo, exec_lo, s15
	s_mov_b32 s15, exec_lo
	v_cmpx_lt_u32_e32 0xffffff, v4
	s_cbranch_execz .LBB259_3097
; %bb.3090:                             ;   in Loop: Header=BB259_2079 Depth=1
	v_mov_b32_e32 v8, v7
	v_mov_b32_e32 v25, v9
	v_cmp_ne_u32_sdwa s8, v4, v75 src0_sel:BYTE_3 src1_sel:DWORD
	v_mov_b32_e32 v24, v8
	s_and_saveexec_b32 s17, s8
	s_cbranch_execz .LBB259_3096
; %bb.3091:                             ;   in Loop: Header=BB259_2079 Depth=1
	v_mov_b32_e32 v10, v7
	v_mov_b32_e32 v25, v11
	v_bfe_u32 v8, v4, 24, 7
	s_mov_b32 s21, exec_lo
	v_mov_b32_e32 v24, v10
	v_cmpx_ne_u32_e32 0x7f, v8
	s_cbranch_execz .LBB259_3095
; %bb.3092:                             ;   in Loop: Header=BB259_2079 Depth=1
	v_and_b32_sdwa v6, v4, v78 dst_sel:DWORD dst_unused:UNUSED_PAD src0_sel:BYTE_3 src1_sel:DWORD
	v_lshrrev_b32_e32 v5, 3, v8
	s_mov_b32 s22, exec_lo
	v_cmpx_gt_u32_e32 8, v8
; %bb.3093:                             ;   in Loop: Header=BB259_2079 Depth=1
	v_ffbh_u32_e32 v5, v6
	v_min_u32_e32 v5, 32, v5
	v_subrev_nc_u32_e32 v8, 28, v5
	v_sub_nc_u32_e32 v5, 29, v5
	v_lshlrev_b64 v[24:25], v8, v[6:7]
	v_and_b32_e32 v6, 7, v24
; %bb.3094:                             ;   in Loop: Header=BB259_2079 Depth=1
	s_or_b32 exec_lo, exec_lo, s22
	v_lshlrev_b32_sdwa v4, v79, v4 dst_sel:DWORD dst_unused:UNUSED_PAD src0_sel:DWORD src1_sel:BYTE_3
	v_lshlrev_b32_e32 v6, 20, v6
	v_lshl_add_u32 v5, v5, 23, 0x3c000000
	v_mov_b32_e32 v24, v7
	v_and_b32_e32 v4, 0x80000000, v4
	v_or3_b32 v25, v6, v4, v5
.LBB259_3095:                           ;   in Loop: Header=BB259_2079 Depth=1
	s_or_b32 exec_lo, exec_lo, s21
.LBB259_3096:                           ;   in Loop: Header=BB259_2079 Depth=1
	s_or_b32 exec_lo, exec_lo, s17
.LBB259_3097:                           ;   in Loop: Header=BB259_2079 Depth=1
	s_or_b32 exec_lo, exec_lo, s15
	v_or_b32_e32 v4, v23, v21
	v_or_b32_e32 v5, v22, v20
	v_or_b32_e32 v6, v24, v26
	v_or_b32_e32 v8, v25, v27
	v_mul_f32_e32 v4, v93, v4
	buffer_store_dword v4, off, s[0:3], s32 offset:1152 ; 4-byte Folded Spill
	v_mul_f32_e32 v4, v73, v5
	buffer_store_dword v4, off, s[0:3], s32 offset:1144 ; 4-byte Folded Spill
	;; [unrolled: 2-line block ×4, first 2 shown]
	s_and_saveexec_b32 s8, s6
	s_cbranch_execz .LBB259_3099
; %bb.3098:                             ;   in Loop: Header=BB259_2079 Depth=1
	buffer_load_dword v4, off, s[0:3], s32 offset:1144 ; 4-byte Folded Reload
	s_waitcnt vmcnt(0)
	v_cndmask_b32_e32 v4, 0, v4, vcc_lo
	buffer_store_dword v4, off, s[0:3], s32 offset:1144 ; 4-byte Folded Spill
	buffer_load_dword v4, off, s[0:3], s32 offset:1152 ; 4-byte Folded Reload
	s_waitcnt vmcnt(0)
	v_cndmask_b32_e64 v4, 0, v4, s4
	buffer_store_dword v4, off, s[0:3], s32 offset:1152 ; 4-byte Folded Spill
	buffer_load_dword v4, off, s[0:3], s32 offset:1136 ; 4-byte Folded Reload
	s_waitcnt vmcnt(0)
	v_cndmask_b32_e64 v4, 0, v4, s5
	;; [unrolled: 4-line block ×3, first 2 shown]
	buffer_store_dword v4, off, s[0:3], s32 offset:1128 ; 4-byte Folded Spill
.LBB259_3099:                           ;   in Loop: Header=BB259_2079 Depth=1
	s_or_b32 exec_lo, exec_lo, s8
	flat_load_dword v4, v[18:19] offset:1792
	v_mov_b32_e32 v20, 0
	v_mov_b32_e32 v18, 0
	v_mov_b32_e32 v21, 0
	v_mov_b32_e32 v19, 0
	s_waitcnt vmcnt(0) lgkmcnt(0)
	v_cmp_ne_u16_sdwa s8, v4, v7 src0_sel:BYTE_0 src1_sel:DWORD
	s_and_saveexec_b32 s15, s8
	s_cbranch_execz .LBB259_3107
; %bb.3100:                             ;   in Loop: Header=BB259_2079 Depth=1
	v_bfrev_b32_e32 v18, 1
	v_mov_b32_e32 v19, 0
	v_cmp_ne_u16_sdwa s8, v4, v75 src0_sel:BYTE_0 src1_sel:DWORD
	s_and_saveexec_b32 s17, s8
	s_cbranch_execz .LBB259_3106
; %bb.3101:                             ;   in Loop: Header=BB259_2079 Depth=1
	v_mov_b32_e32 v18, 0x7f800001
	v_and_b32_e32 v8, 0x7f, v4
	v_mov_b32_e32 v19, 0
	s_mov_b32 s21, exec_lo
	v_cmpx_ne_u32_e32 0x7f, v8
	s_cbranch_execz .LBB259_3105
; %bb.3102:                             ;   in Loop: Header=BB259_2079 Depth=1
	v_and_b32_e32 v6, 7, v4
	v_lshrrev_b32_e32 v5, 3, v8
	s_mov_b32 s22, exec_lo
	v_cmpx_gt_u32_e32 8, v8
; %bb.3103:                             ;   in Loop: Header=BB259_2079 Depth=1
	v_ffbh_u32_e32 v5, v6
	v_min_u32_e32 v5, 32, v5
	v_subrev_nc_u32_e32 v8, 28, v5
	v_sub_nc_u32_e32 v5, 29, v5
	v_lshlrev_b64 v[18:19], v8, v[6:7]
	v_and_b32_e32 v6, 7, v18
; %bb.3104:                             ;   in Loop: Header=BB259_2079 Depth=1
	s_or_b32 exec_lo, exec_lo, s22
	v_lshlrev_b32_e32 v8, 24, v4
	v_lshlrev_b32_e32 v6, 20, v6
	v_lshl_add_u32 v5, v5, 23, 0x3c000000
	v_and_b32_e32 v8, 0x80000000, v8
	v_or3_b32 v6, v6, v8, v5
	v_mov_b32_e32 v19, v7
	v_mov_b32_e32 v18, v6
.LBB259_3105:                           ;   in Loop: Header=BB259_2079 Depth=1
	s_or_b32 exec_lo, exec_lo, s21
.LBB259_3106:                           ;   in Loop: Header=BB259_2079 Depth=1
	s_or_b32 exec_lo, exec_lo, s17
.LBB259_3107:                           ;   in Loop: Header=BB259_2079 Depth=1
	s_or_b32 exec_lo, exec_lo, s15
	v_cmp_ne_u16_sdwa s8, v4, v7 src0_sel:BYTE_1 src1_sel:DWORD
	s_and_saveexec_b32 s15, s8
	s_cbranch_execz .LBB259_3115
; %bb.3108:                             ;   in Loop: Header=BB259_2079 Depth=1
	v_mov_b32_e32 v8, v7
	v_mov_b32_e32 v21, v9
	v_cmp_ne_u16_sdwa s8, v4, v75 src0_sel:BYTE_1 src1_sel:DWORD
	v_mov_b32_e32 v20, v8
	s_and_saveexec_b32 s17, s8
	s_cbranch_execz .LBB259_3114
; %bb.3109:                             ;   in Loop: Header=BB259_2079 Depth=1
	v_and_b32_sdwa v5, v76, v4 dst_sel:DWORD dst_unused:UNUSED_PAD src0_sel:DWORD src1_sel:BYTE_1
	v_mov_b32_e32 v10, v7
	v_mov_b32_e32 v21, v11
	s_mov_b32 s21, exec_lo
	v_and_b32_e32 v8, 0x7f, v5
	v_mov_b32_e32 v20, v10
	v_cmpx_ne_u32_e32 0x7f, v8
	s_cbranch_execz .LBB259_3113
; %bb.3110:                             ;   in Loop: Header=BB259_2079 Depth=1
	v_and_b32_e32 v6, 7, v5
	v_lshrrev_b32_e32 v5, 3, v8
	s_mov_b32 s22, exec_lo
	v_cmpx_gt_u32_e32 8, v8
; %bb.3111:                             ;   in Loop: Header=BB259_2079 Depth=1
	v_ffbh_u32_e32 v5, v6
	v_min_u32_e32 v5, 32, v5
	v_subrev_nc_u32_e32 v8, 28, v5
	v_sub_nc_u32_e32 v5, 29, v5
	v_lshlrev_b64 v[20:21], v8, v[6:7]
	v_and_b32_e32 v6, 7, v20
; %bb.3112:                             ;   in Loop: Header=BB259_2079 Depth=1
	s_or_b32 exec_lo, exec_lo, s22
	v_lshlrev_b32_e32 v8, 16, v4
	v_lshlrev_b32_e32 v6, 20, v6
	v_lshl_add_u32 v5, v5, 23, 0x3c000000
	v_mov_b32_e32 v20, v7
	v_and_b32_e32 v8, 0x80000000, v8
	v_or3_b32 v21, v6, v8, v5
.LBB259_3113:                           ;   in Loop: Header=BB259_2079 Depth=1
	s_or_b32 exec_lo, exec_lo, s21
.LBB259_3114:                           ;   in Loop: Header=BB259_2079 Depth=1
	s_or_b32 exec_lo, exec_lo, s17
.LBB259_3115:                           ;   in Loop: Header=BB259_2079 Depth=1
	s_or_b32 exec_lo, exec_lo, s15
	v_mov_b32_e32 v22, 0
	v_mov_b32_e32 v24, 0
	v_and_b32_sdwa v5, v4, v77 dst_sel:DWORD dst_unused:UNUSED_PAD src0_sel:WORD_1 src1_sel:DWORD
	v_mov_b32_e32 v23, 0
	v_mov_b32_e32 v25, 0
	s_mov_b32 s15, exec_lo
	v_cmpx_ne_u16_e32 0, v5
	s_cbranch_execz .LBB259_3123
; %bb.3116:                             ;   in Loop: Header=BB259_2079 Depth=1
	v_bfrev_b32_e32 v24, 1
	v_mov_b32_e32 v25, 0
	s_mov_b32 s17, exec_lo
	v_cmpx_ne_u16_e32 0x80, v5
	s_cbranch_execz .LBB259_3122
; %bb.3117:                             ;   in Loop: Header=BB259_2079 Depth=1
	v_mov_b32_e32 v24, 0x7f800001
	v_bfe_u32 v8, v4, 16, 7
	v_mov_b32_e32 v25, 0
	s_mov_b32 s21, exec_lo
	v_cmpx_ne_u32_e32 0x7f, v8
	s_cbranch_execz .LBB259_3121
; %bb.3118:                             ;   in Loop: Header=BB259_2079 Depth=1
	v_and_b32_sdwa v6, v4, v78 dst_sel:DWORD dst_unused:UNUSED_PAD src0_sel:WORD_1 src1_sel:DWORD
	v_lshrrev_b32_e32 v5, 3, v8
	s_mov_b32 s22, exec_lo
	v_cmpx_gt_u32_e32 8, v8
; %bb.3119:                             ;   in Loop: Header=BB259_2079 Depth=1
	v_ffbh_u32_e32 v5, v6
	v_min_u32_e32 v5, 32, v5
	v_subrev_nc_u32_e32 v8, 28, v5
	v_sub_nc_u32_e32 v5, 29, v5
	v_lshlrev_b64 v[24:25], v8, v[6:7]
	v_and_b32_e32 v6, 7, v24
; %bb.3120:                             ;   in Loop: Header=BB259_2079 Depth=1
	s_or_b32 exec_lo, exec_lo, s22
	v_lshlrev_b32_sdwa v8, v79, v4 dst_sel:DWORD dst_unused:UNUSED_PAD src0_sel:DWORD src1_sel:WORD_1
	v_lshlrev_b32_e32 v6, 20, v6
	v_lshl_add_u32 v5, v5, 23, 0x3c000000
	v_and_b32_e32 v8, 0x80000000, v8
	v_or3_b32 v6, v6, v8, v5
	v_mov_b32_e32 v25, v7
	v_mov_b32_e32 v24, v6
.LBB259_3121:                           ;   in Loop: Header=BB259_2079 Depth=1
	s_or_b32 exec_lo, exec_lo, s21
.LBB259_3122:                           ;   in Loop: Header=BB259_2079 Depth=1
	s_or_b32 exec_lo, exec_lo, s17
.LBB259_3123:                           ;   in Loop: Header=BB259_2079 Depth=1
	s_or_b32 exec_lo, exec_lo, s15
	s_mov_b32 s15, exec_lo
	v_cmpx_lt_u32_e32 0xffffff, v4
	s_cbranch_execz .LBB259_3131
; %bb.3124:                             ;   in Loop: Header=BB259_2079 Depth=1
	v_mov_b32_e32 v8, v7
	v_mov_b32_e32 v23, v9
	v_cmp_ne_u32_sdwa s8, v4, v75 src0_sel:BYTE_3 src1_sel:DWORD
	v_mov_b32_e32 v22, v8
	s_and_saveexec_b32 s17, s8
	s_cbranch_execz .LBB259_3130
; %bb.3125:                             ;   in Loop: Header=BB259_2079 Depth=1
	v_mov_b32_e32 v10, v7
	v_mov_b32_e32 v23, v11
	v_bfe_u32 v8, v4, 24, 7
	s_mov_b32 s21, exec_lo
	v_mov_b32_e32 v22, v10
	v_cmpx_ne_u32_e32 0x7f, v8
	s_cbranch_execz .LBB259_3129
; %bb.3126:                             ;   in Loop: Header=BB259_2079 Depth=1
	v_and_b32_sdwa v6, v4, v78 dst_sel:DWORD dst_unused:UNUSED_PAD src0_sel:BYTE_3 src1_sel:DWORD
	v_lshrrev_b32_e32 v5, 3, v8
	s_mov_b32 s22, exec_lo
	v_cmpx_gt_u32_e32 8, v8
; %bb.3127:                             ;   in Loop: Header=BB259_2079 Depth=1
	v_ffbh_u32_e32 v5, v6
	v_min_u32_e32 v5, 32, v5
	v_subrev_nc_u32_e32 v8, 28, v5
	v_sub_nc_u32_e32 v5, 29, v5
	v_lshlrev_b64 v[22:23], v8, v[6:7]
	v_and_b32_e32 v6, 7, v22
; %bb.3128:                             ;   in Loop: Header=BB259_2079 Depth=1
	s_or_b32 exec_lo, exec_lo, s22
	v_lshlrev_b32_sdwa v4, v79, v4 dst_sel:DWORD dst_unused:UNUSED_PAD src0_sel:DWORD src1_sel:BYTE_3
	v_lshlrev_b32_e32 v6, 20, v6
	v_lshl_add_u32 v5, v5, 23, 0x3c000000
	v_mov_b32_e32 v22, v7
	v_and_b32_e32 v4, 0x80000000, v4
	v_or3_b32 v23, v6, v4, v5
.LBB259_3129:                           ;   in Loop: Header=BB259_2079 Depth=1
	s_or_b32 exec_lo, exec_lo, s21
.LBB259_3130:                           ;   in Loop: Header=BB259_2079 Depth=1
	s_or_b32 exec_lo, exec_lo, s17
.LBB259_3131:                           ;   in Loop: Header=BB259_2079 Depth=1
	s_or_b32 exec_lo, exec_lo, s15
	v_or_b32_e32 v4, v21, v19
	v_or_b32_e32 v5, v20, v18
	;; [unrolled: 1-line block ×4, first 2 shown]
	v_mul_f32_e32 v4, v93, v4
	buffer_store_dword v4, off, s[0:3], s32 offset:1184 ; 4-byte Folded Spill
	v_mul_f32_e32 v4, v73, v5
	buffer_store_dword v4, off, s[0:3], s32 offset:1176 ; 4-byte Folded Spill
	;; [unrolled: 2-line block ×4, first 2 shown]
	s_and_saveexec_b32 s8, s6
	s_cbranch_execz .LBB259_3133
; %bb.3132:                             ;   in Loop: Header=BB259_2079 Depth=1
	buffer_load_dword v4, off, s[0:3], s32 offset:1176 ; 4-byte Folded Reload
	s_waitcnt vmcnt(0)
	v_cndmask_b32_e32 v4, 0, v4, vcc_lo
	buffer_store_dword v4, off, s[0:3], s32 offset:1176 ; 4-byte Folded Spill
	buffer_load_dword v4, off, s[0:3], s32 offset:1184 ; 4-byte Folded Reload
	s_waitcnt vmcnt(0)
	v_cndmask_b32_e64 v4, 0, v4, s4
	buffer_store_dword v4, off, s[0:3], s32 offset:1184 ; 4-byte Folded Spill
	buffer_load_dword v4, off, s[0:3], s32 offset:1168 ; 4-byte Folded Reload
	s_waitcnt vmcnt(0)
	v_cndmask_b32_e64 v4, 0, v4, s5
	;; [unrolled: 4-line block ×3, first 2 shown]
	buffer_store_dword v4, off, s[0:3], s32 offset:1160 ; 4-byte Folded Spill
.LBB259_3133:                           ;   in Loop: Header=BB259_2079 Depth=1
	s_or_b32 exec_lo, exec_lo, s8
	buffer_load_dword v4, off, s[0:3], s32 offset:1912 ; 4-byte Folded Reload
	v_mov_b32_e32 v20, 0
	v_mov_b32_e32 v18, 0
	;; [unrolled: 1-line block ×4, first 2 shown]
	s_waitcnt vmcnt(0)
	v_add_co_u32 v4, s8, v14, v4
	v_add_co_ci_u32_e64 v5, null, 0, v15, s8
	flat_load_dword v4, v[4:5]
	s_waitcnt vmcnt(0) lgkmcnt(0)
	v_cmp_ne_u16_sdwa s8, v4, v7 src0_sel:BYTE_0 src1_sel:DWORD
	s_and_saveexec_b32 s15, s8
	s_cbranch_execz .LBB259_3141
; %bb.3134:                             ;   in Loop: Header=BB259_2079 Depth=1
	v_bfrev_b32_e32 v18, 1
	v_mov_b32_e32 v19, 0
	v_cmp_ne_u16_sdwa s8, v4, v75 src0_sel:BYTE_0 src1_sel:DWORD
	s_and_saveexec_b32 s17, s8
	s_cbranch_execz .LBB259_3140
; %bb.3135:                             ;   in Loop: Header=BB259_2079 Depth=1
	v_mov_b32_e32 v18, 0x7f800001
	v_and_b32_e32 v8, 0x7f, v4
	v_mov_b32_e32 v19, 0
	s_mov_b32 s21, exec_lo
	v_cmpx_ne_u32_e32 0x7f, v8
	s_cbranch_execz .LBB259_3139
; %bb.3136:                             ;   in Loop: Header=BB259_2079 Depth=1
	v_and_b32_e32 v6, 7, v4
	v_lshrrev_b32_e32 v5, 3, v8
	s_mov_b32 s22, exec_lo
	v_cmpx_gt_u32_e32 8, v8
; %bb.3137:                             ;   in Loop: Header=BB259_2079 Depth=1
	v_ffbh_u32_e32 v5, v6
	v_min_u32_e32 v5, 32, v5
	v_subrev_nc_u32_e32 v8, 28, v5
	v_sub_nc_u32_e32 v5, 29, v5
	v_lshlrev_b64 v[18:19], v8, v[6:7]
	v_and_b32_e32 v6, 7, v18
; %bb.3138:                             ;   in Loop: Header=BB259_2079 Depth=1
	s_or_b32 exec_lo, exec_lo, s22
	v_lshlrev_b32_e32 v8, 24, v4
	v_lshlrev_b32_e32 v6, 20, v6
	v_lshl_add_u32 v5, v5, 23, 0x3c000000
	v_and_b32_e32 v8, 0x80000000, v8
	v_or3_b32 v6, v6, v8, v5
	v_mov_b32_e32 v19, v7
	v_mov_b32_e32 v18, v6
.LBB259_3139:                           ;   in Loop: Header=BB259_2079 Depth=1
	s_or_b32 exec_lo, exec_lo, s21
.LBB259_3140:                           ;   in Loop: Header=BB259_2079 Depth=1
	s_or_b32 exec_lo, exec_lo, s17
.LBB259_3141:                           ;   in Loop: Header=BB259_2079 Depth=1
	s_or_b32 exec_lo, exec_lo, s15
	v_cmp_ne_u16_sdwa s8, v4, v7 src0_sel:BYTE_1 src1_sel:DWORD
	s_and_saveexec_b32 s15, s8
	s_cbranch_execz .LBB259_3149
; %bb.3142:                             ;   in Loop: Header=BB259_2079 Depth=1
	v_mov_b32_e32 v8, v7
	v_mov_b32_e32 v21, v9
	v_cmp_ne_u16_sdwa s8, v4, v75 src0_sel:BYTE_1 src1_sel:DWORD
	v_mov_b32_e32 v20, v8
	s_and_saveexec_b32 s17, s8
	s_cbranch_execz .LBB259_3148
; %bb.3143:                             ;   in Loop: Header=BB259_2079 Depth=1
	v_and_b32_sdwa v5, v76, v4 dst_sel:DWORD dst_unused:UNUSED_PAD src0_sel:DWORD src1_sel:BYTE_1
	v_mov_b32_e32 v10, v7
	v_mov_b32_e32 v21, v11
	s_mov_b32 s21, exec_lo
	v_and_b32_e32 v8, 0x7f, v5
	v_mov_b32_e32 v20, v10
	v_cmpx_ne_u32_e32 0x7f, v8
	s_cbranch_execz .LBB259_3147
; %bb.3144:                             ;   in Loop: Header=BB259_2079 Depth=1
	v_and_b32_e32 v6, 7, v5
	v_mov_b32_e32 v21, v7
	v_lshrrev_b32_e32 v5, 3, v8
	s_mov_b32 s22, exec_lo
	v_mov_b32_e32 v20, v6
	v_cmpx_gt_u32_e32 8, v8
; %bb.3145:                             ;   in Loop: Header=BB259_2079 Depth=1
	v_ffbh_u32_e32 v5, v6
	v_min_u32_e32 v5, 32, v5
	v_subrev_nc_u32_e32 v8, 28, v5
	v_sub_nc_u32_e32 v5, 29, v5
	v_lshlrev_b64 v[20:21], v8, v[6:7]
	v_and_b32_e32 v20, 7, v20
; %bb.3146:                             ;   in Loop: Header=BB259_2079 Depth=1
	s_or_b32 exec_lo, exec_lo, s22
	v_lshlrev_b32_e32 v6, 16, v4
	v_lshlrev_b32_e32 v8, 20, v20
	v_lshl_add_u32 v5, v5, 23, 0x3c000000
	v_mov_b32_e32 v20, v7
	v_and_b32_e32 v6, 0x80000000, v6
	v_or3_b32 v21, v8, v6, v5
.LBB259_3147:                           ;   in Loop: Header=BB259_2079 Depth=1
	s_or_b32 exec_lo, exec_lo, s21
.LBB259_3148:                           ;   in Loop: Header=BB259_2079 Depth=1
	s_or_b32 exec_lo, exec_lo, s17
.LBB259_3149:                           ;   in Loop: Header=BB259_2079 Depth=1
	s_or_b32 exec_lo, exec_lo, s15
	v_mov_b32_e32 v22, 0
	v_mov_b32_e32 v24, 0
	v_and_b32_sdwa v5, v4, v77 dst_sel:DWORD dst_unused:UNUSED_PAD src0_sel:WORD_1 src1_sel:DWORD
	v_mov_b32_e32 v23, 0
	v_mov_b32_e32 v25, 0
	s_mov_b32 s15, exec_lo
	v_cmpx_ne_u16_e32 0, v5
	s_cbranch_execz .LBB259_3157
; %bb.3150:                             ;   in Loop: Header=BB259_2079 Depth=1
	v_bfrev_b32_e32 v24, 1
	v_mov_b32_e32 v25, 0
	s_mov_b32 s17, exec_lo
	v_cmpx_ne_u16_e32 0x80, v5
	s_cbranch_execz .LBB259_3156
; %bb.3151:                             ;   in Loop: Header=BB259_2079 Depth=1
	v_mov_b32_e32 v24, 0x7f800001
	v_bfe_u32 v8, v4, 16, 7
	v_mov_b32_e32 v25, 0
	s_mov_b32 s21, exec_lo
	v_cmpx_ne_u32_e32 0x7f, v8
	s_cbranch_execz .LBB259_3155
; %bb.3152:                             ;   in Loop: Header=BB259_2079 Depth=1
	v_and_b32_sdwa v6, v4, v78 dst_sel:DWORD dst_unused:UNUSED_PAD src0_sel:WORD_1 src1_sel:DWORD
	v_mov_b32_e32 v25, v7
	v_lshrrev_b32_e32 v5, 3, v8
	s_mov_b32 s22, exec_lo
	v_mov_b32_e32 v24, v6
	v_cmpx_gt_u32_e32 8, v8
; %bb.3153:                             ;   in Loop: Header=BB259_2079 Depth=1
	v_ffbh_u32_e32 v5, v6
	v_min_u32_e32 v5, 32, v5
	v_subrev_nc_u32_e32 v8, 28, v5
	v_sub_nc_u32_e32 v5, 29, v5
	v_lshlrev_b64 v[24:25], v8, v[6:7]
	v_and_b32_e32 v24, 7, v24
; %bb.3154:                             ;   in Loop: Header=BB259_2079 Depth=1
	s_or_b32 exec_lo, exec_lo, s22
	v_lshlrev_b32_sdwa v6, v79, v4 dst_sel:DWORD dst_unused:UNUSED_PAD src0_sel:DWORD src1_sel:WORD_1
	v_lshlrev_b32_e32 v8, 20, v24
	v_lshl_add_u32 v5, v5, 23, 0x3c000000
	v_and_b32_e32 v6, 0x80000000, v6
	v_or3_b32 v6, v8, v6, v5
	v_mov_b32_e32 v25, v7
	v_mov_b32_e32 v24, v6
.LBB259_3155:                           ;   in Loop: Header=BB259_2079 Depth=1
	s_or_b32 exec_lo, exec_lo, s21
.LBB259_3156:                           ;   in Loop: Header=BB259_2079 Depth=1
	s_or_b32 exec_lo, exec_lo, s17
.LBB259_3157:                           ;   in Loop: Header=BB259_2079 Depth=1
	s_or_b32 exec_lo, exec_lo, s15
	s_mov_b32 s15, exec_lo
	v_cmpx_lt_u32_e32 0xffffff, v4
	s_cbranch_execz .LBB259_3165
; %bb.3158:                             ;   in Loop: Header=BB259_2079 Depth=1
	v_mov_b32_e32 v8, v7
	v_mov_b32_e32 v23, v9
	v_cmp_ne_u32_sdwa s8, v4, v75 src0_sel:BYTE_3 src1_sel:DWORD
	v_mov_b32_e32 v22, v8
	s_and_saveexec_b32 s17, s8
	s_cbranch_execz .LBB259_3164
; %bb.3159:                             ;   in Loop: Header=BB259_2079 Depth=1
	v_mov_b32_e32 v10, v7
	v_mov_b32_e32 v23, v11
	v_bfe_u32 v8, v4, 24, 7
	s_mov_b32 s21, exec_lo
	v_mov_b32_e32 v22, v10
	v_cmpx_ne_u32_e32 0x7f, v8
	s_cbranch_execz .LBB259_3163
; %bb.3160:                             ;   in Loop: Header=BB259_2079 Depth=1
	v_and_b32_sdwa v6, v4, v78 dst_sel:DWORD dst_unused:UNUSED_PAD src0_sel:BYTE_3 src1_sel:DWORD
	v_mov_b32_e32 v23, v7
	v_lshrrev_b32_e32 v5, 3, v8
	s_mov_b32 s22, exec_lo
	v_mov_b32_e32 v22, v6
	v_cmpx_gt_u32_e32 8, v8
; %bb.3161:                             ;   in Loop: Header=BB259_2079 Depth=1
	v_ffbh_u32_e32 v5, v6
	v_min_u32_e32 v5, 32, v5
	v_subrev_nc_u32_e32 v8, 28, v5
	v_sub_nc_u32_e32 v5, 29, v5
	v_lshlrev_b64 v[22:23], v8, v[6:7]
	v_and_b32_e32 v22, 7, v22
; %bb.3162:                             ;   in Loop: Header=BB259_2079 Depth=1
	s_or_b32 exec_lo, exec_lo, s22
	v_lshlrev_b32_sdwa v4, v79, v4 dst_sel:DWORD dst_unused:UNUSED_PAD src0_sel:DWORD src1_sel:BYTE_3
	v_lshlrev_b32_e32 v6, 20, v22
	v_lshl_add_u32 v5, v5, 23, 0x3c000000
	v_mov_b32_e32 v22, v7
	v_and_b32_e32 v4, 0x80000000, v4
	v_or3_b32 v23, v6, v4, v5
.LBB259_3163:                           ;   in Loop: Header=BB259_2079 Depth=1
	s_or_b32 exec_lo, exec_lo, s21
.LBB259_3164:                           ;   in Loop: Header=BB259_2079 Depth=1
	s_or_b32 exec_lo, exec_lo, s17
.LBB259_3165:                           ;   in Loop: Header=BB259_2079 Depth=1
	s_or_b32 exec_lo, exec_lo, s15
	v_or_b32_e32 v4, v21, v19
	v_or_b32_e32 v5, v20, v18
	;; [unrolled: 1-line block ×4, first 2 shown]
	v_mul_f32_e32 v4, v93, v4
	buffer_store_dword v4, off, s[0:3], s32 offset:1216 ; 4-byte Folded Spill
	v_mul_f32_e32 v4, v73, v5
	buffer_store_dword v4, off, s[0:3], s32 offset:1208 ; 4-byte Folded Spill
	;; [unrolled: 2-line block ×4, first 2 shown]
	s_and_saveexec_b32 s8, s6
	s_cbranch_execz .LBB259_3167
; %bb.3166:                             ;   in Loop: Header=BB259_2079 Depth=1
	buffer_load_dword v4, off, s[0:3], s32 offset:1208 ; 4-byte Folded Reload
	s_waitcnt vmcnt(0)
	v_cndmask_b32_e32 v4, 0, v4, vcc_lo
	buffer_store_dword v4, off, s[0:3], s32 offset:1208 ; 4-byte Folded Spill
	buffer_load_dword v4, off, s[0:3], s32 offset:1216 ; 4-byte Folded Reload
	s_waitcnt vmcnt(0)
	v_cndmask_b32_e64 v4, 0, v4, s4
	buffer_store_dword v4, off, s[0:3], s32 offset:1216 ; 4-byte Folded Spill
	buffer_load_dword v4, off, s[0:3], s32 offset:1200 ; 4-byte Folded Reload
	s_waitcnt vmcnt(0)
	v_cndmask_b32_e64 v4, 0, v4, s5
	;; [unrolled: 4-line block ×3, first 2 shown]
	buffer_store_dword v4, off, s[0:3], s32 offset:1192 ; 4-byte Folded Spill
.LBB259_3167:                           ;   in Loop: Header=BB259_2079 Depth=1
	s_or_b32 exec_lo, exec_lo, s8
	v_add_co_u32 v18, s8, 0x1000, v16
	v_add_co_ci_u32_e64 v19, null, 0, v17, s8
	v_mov_b32_e32 v22, 0
	v_mov_b32_e32 v20, 0
	;; [unrolled: 1-line block ×3, first 2 shown]
	flat_load_dword v4, v[18:19]
	v_mov_b32_e32 v21, 0
	s_waitcnt vmcnt(0) lgkmcnt(0)
	v_cmp_ne_u16_sdwa s8, v4, v7 src0_sel:BYTE_0 src1_sel:DWORD
	s_and_saveexec_b32 s15, s8
	s_cbranch_execz .LBB259_3175
; %bb.3168:                             ;   in Loop: Header=BB259_2079 Depth=1
	v_bfrev_b32_e32 v20, 1
	v_mov_b32_e32 v21, 0
	v_cmp_ne_u16_sdwa s8, v4, v75 src0_sel:BYTE_0 src1_sel:DWORD
	s_and_saveexec_b32 s17, s8
	s_cbranch_execz .LBB259_3174
; %bb.3169:                             ;   in Loop: Header=BB259_2079 Depth=1
	v_mov_b32_e32 v20, 0x7f800001
	v_and_b32_e32 v8, 0x7f, v4
	v_mov_b32_e32 v21, 0
	s_mov_b32 s21, exec_lo
	v_cmpx_ne_u32_e32 0x7f, v8
	s_cbranch_execz .LBB259_3173
; %bb.3170:                             ;   in Loop: Header=BB259_2079 Depth=1
	v_and_b32_e32 v6, 7, v4
	v_mov_b32_e32 v21, v7
	v_lshrrev_b32_e32 v5, 3, v8
	s_mov_b32 s22, exec_lo
	v_mov_b32_e32 v20, v6
	v_cmpx_gt_u32_e32 8, v8
; %bb.3171:                             ;   in Loop: Header=BB259_2079 Depth=1
	v_ffbh_u32_e32 v5, v6
	v_min_u32_e32 v5, 32, v5
	v_subrev_nc_u32_e32 v8, 28, v5
	v_sub_nc_u32_e32 v5, 29, v5
	v_lshlrev_b64 v[20:21], v8, v[6:7]
	v_and_b32_e32 v20, 7, v20
; %bb.3172:                             ;   in Loop: Header=BB259_2079 Depth=1
	s_or_b32 exec_lo, exec_lo, s22
	v_lshlrev_b32_e32 v6, 24, v4
	v_lshlrev_b32_e32 v8, 20, v20
	v_lshl_add_u32 v5, v5, 23, 0x3c000000
	v_and_b32_e32 v6, 0x80000000, v6
	v_or3_b32 v6, v8, v6, v5
	v_mov_b32_e32 v21, v7
	v_mov_b32_e32 v20, v6
.LBB259_3173:                           ;   in Loop: Header=BB259_2079 Depth=1
	s_or_b32 exec_lo, exec_lo, s21
.LBB259_3174:                           ;   in Loop: Header=BB259_2079 Depth=1
	s_or_b32 exec_lo, exec_lo, s17
.LBB259_3175:                           ;   in Loop: Header=BB259_2079 Depth=1
	s_or_b32 exec_lo, exec_lo, s15
	v_cmp_ne_u16_sdwa s8, v4, v7 src0_sel:BYTE_1 src1_sel:DWORD
	s_and_saveexec_b32 s15, s8
	s_cbranch_execz .LBB259_3183
; %bb.3176:                             ;   in Loop: Header=BB259_2079 Depth=1
	v_mov_b32_e32 v8, v7
	v_mov_b32_e32 v23, v9
	v_cmp_ne_u16_sdwa s8, v4, v75 src0_sel:BYTE_1 src1_sel:DWORD
	v_mov_b32_e32 v22, v8
	s_and_saveexec_b32 s17, s8
	s_cbranch_execz .LBB259_3182
; %bb.3177:                             ;   in Loop: Header=BB259_2079 Depth=1
	v_and_b32_sdwa v5, v76, v4 dst_sel:DWORD dst_unused:UNUSED_PAD src0_sel:DWORD src1_sel:BYTE_1
	v_mov_b32_e32 v10, v7
	v_mov_b32_e32 v23, v11
	s_mov_b32 s21, exec_lo
	v_and_b32_e32 v8, 0x7f, v5
	v_mov_b32_e32 v22, v10
	v_cmpx_ne_u32_e32 0x7f, v8
	s_cbranch_execz .LBB259_3181
; %bb.3178:                             ;   in Loop: Header=BB259_2079 Depth=1
	v_and_b32_e32 v6, 7, v5
	v_mov_b32_e32 v23, v7
	v_lshrrev_b32_e32 v5, 3, v8
	s_mov_b32 s22, exec_lo
	v_mov_b32_e32 v22, v6
	v_cmpx_gt_u32_e32 8, v8
; %bb.3179:                             ;   in Loop: Header=BB259_2079 Depth=1
	v_ffbh_u32_e32 v5, v6
	v_min_u32_e32 v5, 32, v5
	v_subrev_nc_u32_e32 v8, 28, v5
	v_sub_nc_u32_e32 v5, 29, v5
	v_lshlrev_b64 v[22:23], v8, v[6:7]
	v_and_b32_e32 v22, 7, v22
; %bb.3180:                             ;   in Loop: Header=BB259_2079 Depth=1
	s_or_b32 exec_lo, exec_lo, s22
	v_lshlrev_b32_e32 v6, 16, v4
	v_lshlrev_b32_e32 v8, 20, v22
	v_lshl_add_u32 v5, v5, 23, 0x3c000000
	v_mov_b32_e32 v22, v7
	v_and_b32_e32 v6, 0x80000000, v6
	v_or3_b32 v23, v8, v6, v5
.LBB259_3181:                           ;   in Loop: Header=BB259_2079 Depth=1
	s_or_b32 exec_lo, exec_lo, s21
.LBB259_3182:                           ;   in Loop: Header=BB259_2079 Depth=1
	s_or_b32 exec_lo, exec_lo, s17
.LBB259_3183:                           ;   in Loop: Header=BB259_2079 Depth=1
	s_or_b32 exec_lo, exec_lo, s15
	v_mov_b32_e32 v24, 0
	v_mov_b32_e32 v26, 0
	v_and_b32_sdwa v5, v4, v77 dst_sel:DWORD dst_unused:UNUSED_PAD src0_sel:WORD_1 src1_sel:DWORD
	v_mov_b32_e32 v25, 0
	v_mov_b32_e32 v27, 0
	s_mov_b32 s15, exec_lo
	v_cmpx_ne_u16_e32 0, v5
	s_cbranch_execz .LBB259_3191
; %bb.3184:                             ;   in Loop: Header=BB259_2079 Depth=1
	v_bfrev_b32_e32 v26, 1
	v_mov_b32_e32 v27, 0
	s_mov_b32 s17, exec_lo
	v_cmpx_ne_u16_e32 0x80, v5
	s_cbranch_execz .LBB259_3190
; %bb.3185:                             ;   in Loop: Header=BB259_2079 Depth=1
	v_mov_b32_e32 v26, 0x7f800001
	v_bfe_u32 v8, v4, 16, 7
	v_mov_b32_e32 v27, 0
	s_mov_b32 s21, exec_lo
	v_cmpx_ne_u32_e32 0x7f, v8
	s_cbranch_execz .LBB259_3189
; %bb.3186:                             ;   in Loop: Header=BB259_2079 Depth=1
	v_and_b32_sdwa v6, v4, v78 dst_sel:DWORD dst_unused:UNUSED_PAD src0_sel:WORD_1 src1_sel:DWORD
	v_mov_b32_e32 v27, v7
	v_lshrrev_b32_e32 v5, 3, v8
	s_mov_b32 s22, exec_lo
	v_mov_b32_e32 v26, v6
	v_cmpx_gt_u32_e32 8, v8
; %bb.3187:                             ;   in Loop: Header=BB259_2079 Depth=1
	v_ffbh_u32_e32 v5, v6
	v_min_u32_e32 v5, 32, v5
	v_subrev_nc_u32_e32 v8, 28, v5
	v_sub_nc_u32_e32 v5, 29, v5
	v_lshlrev_b64 v[26:27], v8, v[6:7]
	v_and_b32_e32 v26, 7, v26
; %bb.3188:                             ;   in Loop: Header=BB259_2079 Depth=1
	s_or_b32 exec_lo, exec_lo, s22
	v_lshlrev_b32_sdwa v6, v79, v4 dst_sel:DWORD dst_unused:UNUSED_PAD src0_sel:DWORD src1_sel:WORD_1
	v_lshlrev_b32_e32 v8, 20, v26
	v_lshl_add_u32 v5, v5, 23, 0x3c000000
	v_and_b32_e32 v6, 0x80000000, v6
	v_or3_b32 v6, v8, v6, v5
	v_mov_b32_e32 v27, v7
	v_mov_b32_e32 v26, v6
.LBB259_3189:                           ;   in Loop: Header=BB259_2079 Depth=1
	s_or_b32 exec_lo, exec_lo, s21
.LBB259_3190:                           ;   in Loop: Header=BB259_2079 Depth=1
	s_or_b32 exec_lo, exec_lo, s17
.LBB259_3191:                           ;   in Loop: Header=BB259_2079 Depth=1
	s_or_b32 exec_lo, exec_lo, s15
	s_mov_b32 s15, exec_lo
	v_cmpx_lt_u32_e32 0xffffff, v4
	s_cbranch_execz .LBB259_3199
; %bb.3192:                             ;   in Loop: Header=BB259_2079 Depth=1
	v_mov_b32_e32 v8, v7
	v_mov_b32_e32 v25, v9
	v_cmp_ne_u32_sdwa s8, v4, v75 src0_sel:BYTE_3 src1_sel:DWORD
	v_mov_b32_e32 v24, v8
	s_and_saveexec_b32 s17, s8
	s_cbranch_execz .LBB259_3198
; %bb.3193:                             ;   in Loop: Header=BB259_2079 Depth=1
	v_mov_b32_e32 v10, v7
	v_mov_b32_e32 v25, v11
	v_bfe_u32 v8, v4, 24, 7
	s_mov_b32 s21, exec_lo
	v_mov_b32_e32 v24, v10
	v_cmpx_ne_u32_e32 0x7f, v8
	s_cbranch_execz .LBB259_3197
; %bb.3194:                             ;   in Loop: Header=BB259_2079 Depth=1
	v_and_b32_sdwa v6, v4, v78 dst_sel:DWORD dst_unused:UNUSED_PAD src0_sel:BYTE_3 src1_sel:DWORD
	v_mov_b32_e32 v25, v7
	v_lshrrev_b32_e32 v5, 3, v8
	s_mov_b32 s22, exec_lo
	v_mov_b32_e32 v24, v6
	v_cmpx_gt_u32_e32 8, v8
; %bb.3195:                             ;   in Loop: Header=BB259_2079 Depth=1
	v_ffbh_u32_e32 v5, v6
	v_min_u32_e32 v5, 32, v5
	v_subrev_nc_u32_e32 v8, 28, v5
	v_sub_nc_u32_e32 v5, 29, v5
	v_lshlrev_b64 v[24:25], v8, v[6:7]
	v_and_b32_e32 v24, 7, v24
; %bb.3196:                             ;   in Loop: Header=BB259_2079 Depth=1
	s_or_b32 exec_lo, exec_lo, s22
	v_lshlrev_b32_sdwa v4, v79, v4 dst_sel:DWORD dst_unused:UNUSED_PAD src0_sel:DWORD src1_sel:BYTE_3
	v_lshlrev_b32_e32 v6, 20, v24
	v_lshl_add_u32 v5, v5, 23, 0x3c000000
	v_mov_b32_e32 v24, v7
	v_and_b32_e32 v4, 0x80000000, v4
	v_or3_b32 v25, v6, v4, v5
.LBB259_3197:                           ;   in Loop: Header=BB259_2079 Depth=1
	s_or_b32 exec_lo, exec_lo, s21
.LBB259_3198:                           ;   in Loop: Header=BB259_2079 Depth=1
	s_or_b32 exec_lo, exec_lo, s17
.LBB259_3199:                           ;   in Loop: Header=BB259_2079 Depth=1
	s_or_b32 exec_lo, exec_lo, s15
	v_or_b32_e32 v4, v23, v21
	v_or_b32_e32 v5, v22, v20
	;; [unrolled: 1-line block ×4, first 2 shown]
	v_mul_f32_e32 v4, v93, v4
	buffer_store_dword v4, off, s[0:3], s32 offset:1248 ; 4-byte Folded Spill
	v_mul_f32_e32 v4, v73, v5
	buffer_store_dword v4, off, s[0:3], s32 offset:1240 ; 4-byte Folded Spill
	;; [unrolled: 2-line block ×4, first 2 shown]
	s_and_saveexec_b32 s8, s6
	s_cbranch_execz .LBB259_3201
; %bb.3200:                             ;   in Loop: Header=BB259_2079 Depth=1
	buffer_load_dword v4, off, s[0:3], s32 offset:1240 ; 4-byte Folded Reload
	s_waitcnt vmcnt(0)
	v_cndmask_b32_e32 v4, 0, v4, vcc_lo
	buffer_store_dword v4, off, s[0:3], s32 offset:1240 ; 4-byte Folded Spill
	buffer_load_dword v4, off, s[0:3], s32 offset:1248 ; 4-byte Folded Reload
	s_waitcnt vmcnt(0)
	v_cndmask_b32_e64 v4, 0, v4, s4
	buffer_store_dword v4, off, s[0:3], s32 offset:1248 ; 4-byte Folded Spill
	buffer_load_dword v4, off, s[0:3], s32 offset:1232 ; 4-byte Folded Reload
	s_waitcnt vmcnt(0)
	v_cndmask_b32_e64 v4, 0, v4, s5
	;; [unrolled: 4-line block ×3, first 2 shown]
	buffer_store_dword v4, off, s[0:3], s32 offset:1224 ; 4-byte Folded Spill
.LBB259_3201:                           ;   in Loop: Header=BB259_2079 Depth=1
	s_or_b32 exec_lo, exec_lo, s8
	flat_load_dword v4, v[18:19] offset:128
	v_mov_b32_e32 v22, 0
	v_mov_b32_e32 v20, 0
	;; [unrolled: 1-line block ×4, first 2 shown]
	s_waitcnt vmcnt(0) lgkmcnt(0)
	v_cmp_ne_u16_sdwa s8, v4, v7 src0_sel:BYTE_0 src1_sel:DWORD
	s_and_saveexec_b32 s15, s8
	s_cbranch_execz .LBB259_3209
; %bb.3202:                             ;   in Loop: Header=BB259_2079 Depth=1
	v_bfrev_b32_e32 v20, 1
	v_mov_b32_e32 v21, 0
	v_cmp_ne_u16_sdwa s8, v4, v75 src0_sel:BYTE_0 src1_sel:DWORD
	s_and_saveexec_b32 s17, s8
	s_cbranch_execz .LBB259_3208
; %bb.3203:                             ;   in Loop: Header=BB259_2079 Depth=1
	v_mov_b32_e32 v20, 0x7f800001
	v_and_b32_e32 v8, 0x7f, v4
	v_mov_b32_e32 v21, 0
	s_mov_b32 s21, exec_lo
	v_cmpx_ne_u32_e32 0x7f, v8
	s_cbranch_execz .LBB259_3207
; %bb.3204:                             ;   in Loop: Header=BB259_2079 Depth=1
	v_and_b32_e32 v6, 7, v4
	v_mov_b32_e32 v21, v7
	v_lshrrev_b32_e32 v5, 3, v8
	s_mov_b32 s22, exec_lo
	v_mov_b32_e32 v20, v6
	v_cmpx_gt_u32_e32 8, v8
; %bb.3205:                             ;   in Loop: Header=BB259_2079 Depth=1
	v_ffbh_u32_e32 v5, v6
	v_min_u32_e32 v5, 32, v5
	v_subrev_nc_u32_e32 v8, 28, v5
	v_sub_nc_u32_e32 v5, 29, v5
	v_lshlrev_b64 v[20:21], v8, v[6:7]
	v_and_b32_e32 v20, 7, v20
; %bb.3206:                             ;   in Loop: Header=BB259_2079 Depth=1
	s_or_b32 exec_lo, exec_lo, s22
	v_lshlrev_b32_e32 v6, 24, v4
	v_lshlrev_b32_e32 v8, 20, v20
	v_lshl_add_u32 v5, v5, 23, 0x3c000000
	v_and_b32_e32 v6, 0x80000000, v6
	v_or3_b32 v6, v8, v6, v5
	v_mov_b32_e32 v21, v7
	v_mov_b32_e32 v20, v6
.LBB259_3207:                           ;   in Loop: Header=BB259_2079 Depth=1
	s_or_b32 exec_lo, exec_lo, s21
.LBB259_3208:                           ;   in Loop: Header=BB259_2079 Depth=1
	s_or_b32 exec_lo, exec_lo, s17
.LBB259_3209:                           ;   in Loop: Header=BB259_2079 Depth=1
	s_or_b32 exec_lo, exec_lo, s15
	v_cmp_ne_u16_sdwa s8, v4, v7 src0_sel:BYTE_1 src1_sel:DWORD
	s_and_saveexec_b32 s15, s8
	s_cbranch_execz .LBB259_3217
; %bb.3210:                             ;   in Loop: Header=BB259_2079 Depth=1
	v_mov_b32_e32 v8, v7
	v_mov_b32_e32 v23, v9
	v_cmp_ne_u16_sdwa s8, v4, v75 src0_sel:BYTE_1 src1_sel:DWORD
	v_mov_b32_e32 v22, v8
	s_and_saveexec_b32 s17, s8
	s_cbranch_execz .LBB259_3216
; %bb.3211:                             ;   in Loop: Header=BB259_2079 Depth=1
	v_and_b32_sdwa v5, v76, v4 dst_sel:DWORD dst_unused:UNUSED_PAD src0_sel:DWORD src1_sel:BYTE_1
	v_mov_b32_e32 v10, v7
	v_mov_b32_e32 v23, v11
	s_mov_b32 s21, exec_lo
	v_and_b32_e32 v8, 0x7f, v5
	v_mov_b32_e32 v22, v10
	v_cmpx_ne_u32_e32 0x7f, v8
	s_cbranch_execz .LBB259_3215
; %bb.3212:                             ;   in Loop: Header=BB259_2079 Depth=1
	v_and_b32_e32 v6, 7, v5
	v_mov_b32_e32 v23, v7
	v_lshrrev_b32_e32 v5, 3, v8
	s_mov_b32 s22, exec_lo
	v_mov_b32_e32 v22, v6
	v_cmpx_gt_u32_e32 8, v8
; %bb.3213:                             ;   in Loop: Header=BB259_2079 Depth=1
	v_ffbh_u32_e32 v5, v6
	v_min_u32_e32 v5, 32, v5
	v_subrev_nc_u32_e32 v8, 28, v5
	v_sub_nc_u32_e32 v5, 29, v5
	v_lshlrev_b64 v[22:23], v8, v[6:7]
	v_and_b32_e32 v22, 7, v22
; %bb.3214:                             ;   in Loop: Header=BB259_2079 Depth=1
	s_or_b32 exec_lo, exec_lo, s22
	v_lshlrev_b32_e32 v6, 16, v4
	v_lshlrev_b32_e32 v8, 20, v22
	v_lshl_add_u32 v5, v5, 23, 0x3c000000
	v_mov_b32_e32 v22, v7
	v_and_b32_e32 v6, 0x80000000, v6
	v_or3_b32 v23, v8, v6, v5
.LBB259_3215:                           ;   in Loop: Header=BB259_2079 Depth=1
	s_or_b32 exec_lo, exec_lo, s21
.LBB259_3216:                           ;   in Loop: Header=BB259_2079 Depth=1
	s_or_b32 exec_lo, exec_lo, s17
.LBB259_3217:                           ;   in Loop: Header=BB259_2079 Depth=1
	s_or_b32 exec_lo, exec_lo, s15
	v_mov_b32_e32 v24, 0
	v_mov_b32_e32 v26, 0
	v_and_b32_sdwa v5, v4, v77 dst_sel:DWORD dst_unused:UNUSED_PAD src0_sel:WORD_1 src1_sel:DWORD
	v_mov_b32_e32 v25, 0
	v_mov_b32_e32 v27, 0
	s_mov_b32 s15, exec_lo
	v_cmpx_ne_u16_e32 0, v5
	s_cbranch_execz .LBB259_3225
; %bb.3218:                             ;   in Loop: Header=BB259_2079 Depth=1
	v_bfrev_b32_e32 v26, 1
	v_mov_b32_e32 v27, 0
	s_mov_b32 s17, exec_lo
	v_cmpx_ne_u16_e32 0x80, v5
	s_cbranch_execz .LBB259_3224
; %bb.3219:                             ;   in Loop: Header=BB259_2079 Depth=1
	v_mov_b32_e32 v26, 0x7f800001
	v_bfe_u32 v8, v4, 16, 7
	v_mov_b32_e32 v27, 0
	s_mov_b32 s21, exec_lo
	v_cmpx_ne_u32_e32 0x7f, v8
	s_cbranch_execz .LBB259_3223
; %bb.3220:                             ;   in Loop: Header=BB259_2079 Depth=1
	v_and_b32_sdwa v6, v4, v78 dst_sel:DWORD dst_unused:UNUSED_PAD src0_sel:WORD_1 src1_sel:DWORD
	v_mov_b32_e32 v27, v7
	v_lshrrev_b32_e32 v5, 3, v8
	s_mov_b32 s22, exec_lo
	v_mov_b32_e32 v26, v6
	v_cmpx_gt_u32_e32 8, v8
; %bb.3221:                             ;   in Loop: Header=BB259_2079 Depth=1
	v_ffbh_u32_e32 v5, v6
	v_min_u32_e32 v5, 32, v5
	v_subrev_nc_u32_e32 v8, 28, v5
	v_sub_nc_u32_e32 v5, 29, v5
	v_lshlrev_b64 v[26:27], v8, v[6:7]
	v_and_b32_e32 v26, 7, v26
; %bb.3222:                             ;   in Loop: Header=BB259_2079 Depth=1
	s_or_b32 exec_lo, exec_lo, s22
	v_lshlrev_b32_sdwa v6, v79, v4 dst_sel:DWORD dst_unused:UNUSED_PAD src0_sel:DWORD src1_sel:WORD_1
	v_lshlrev_b32_e32 v8, 20, v26
	v_lshl_add_u32 v5, v5, 23, 0x3c000000
	v_and_b32_e32 v6, 0x80000000, v6
	v_or3_b32 v6, v8, v6, v5
	v_mov_b32_e32 v27, v7
	v_mov_b32_e32 v26, v6
.LBB259_3223:                           ;   in Loop: Header=BB259_2079 Depth=1
	s_or_b32 exec_lo, exec_lo, s21
.LBB259_3224:                           ;   in Loop: Header=BB259_2079 Depth=1
	s_or_b32 exec_lo, exec_lo, s17
.LBB259_3225:                           ;   in Loop: Header=BB259_2079 Depth=1
	s_or_b32 exec_lo, exec_lo, s15
	s_mov_b32 s15, exec_lo
	v_cmpx_lt_u32_e32 0xffffff, v4
	s_cbranch_execz .LBB259_3233
; %bb.3226:                             ;   in Loop: Header=BB259_2079 Depth=1
	v_mov_b32_e32 v8, v7
	v_mov_b32_e32 v25, v9
	v_cmp_ne_u32_sdwa s8, v4, v75 src0_sel:BYTE_3 src1_sel:DWORD
	v_mov_b32_e32 v24, v8
	s_and_saveexec_b32 s17, s8
	s_cbranch_execz .LBB259_3232
; %bb.3227:                             ;   in Loop: Header=BB259_2079 Depth=1
	v_mov_b32_e32 v10, v7
	v_mov_b32_e32 v25, v11
	v_bfe_u32 v8, v4, 24, 7
	s_mov_b32 s21, exec_lo
	v_mov_b32_e32 v24, v10
	v_cmpx_ne_u32_e32 0x7f, v8
	s_cbranch_execz .LBB259_3231
; %bb.3228:                             ;   in Loop: Header=BB259_2079 Depth=1
	v_and_b32_sdwa v6, v4, v78 dst_sel:DWORD dst_unused:UNUSED_PAD src0_sel:BYTE_3 src1_sel:DWORD
	v_mov_b32_e32 v25, v7
	v_lshrrev_b32_e32 v5, 3, v8
	s_mov_b32 s22, exec_lo
	v_mov_b32_e32 v24, v6
	v_cmpx_gt_u32_e32 8, v8
; %bb.3229:                             ;   in Loop: Header=BB259_2079 Depth=1
	v_ffbh_u32_e32 v5, v6
	v_min_u32_e32 v5, 32, v5
	v_subrev_nc_u32_e32 v8, 28, v5
	v_sub_nc_u32_e32 v5, 29, v5
	v_lshlrev_b64 v[24:25], v8, v[6:7]
	v_and_b32_e32 v24, 7, v24
; %bb.3230:                             ;   in Loop: Header=BB259_2079 Depth=1
	s_or_b32 exec_lo, exec_lo, s22
	v_lshlrev_b32_sdwa v4, v79, v4 dst_sel:DWORD dst_unused:UNUSED_PAD src0_sel:DWORD src1_sel:BYTE_3
	v_lshlrev_b32_e32 v6, 20, v24
	v_lshl_add_u32 v5, v5, 23, 0x3c000000
	v_mov_b32_e32 v24, v7
	v_and_b32_e32 v4, 0x80000000, v4
	v_or3_b32 v25, v6, v4, v5
.LBB259_3231:                           ;   in Loop: Header=BB259_2079 Depth=1
	s_or_b32 exec_lo, exec_lo, s21
.LBB259_3232:                           ;   in Loop: Header=BB259_2079 Depth=1
	s_or_b32 exec_lo, exec_lo, s17
.LBB259_3233:                           ;   in Loop: Header=BB259_2079 Depth=1
	s_or_b32 exec_lo, exec_lo, s15
	v_or_b32_e32 v4, v23, v21
	v_or_b32_e32 v5, v22, v20
	;; [unrolled: 1-line block ×4, first 2 shown]
	v_mul_f32_e32 v4, v93, v4
	buffer_store_dword v4, off, s[0:3], s32 offset:1280 ; 4-byte Folded Spill
	v_mul_f32_e32 v4, v73, v5
	buffer_store_dword v4, off, s[0:3], s32 offset:1272 ; 4-byte Folded Spill
	;; [unrolled: 2-line block ×4, first 2 shown]
	s_and_saveexec_b32 s8, s6
	s_cbranch_execz .LBB259_3235
; %bb.3234:                             ;   in Loop: Header=BB259_2079 Depth=1
	buffer_load_dword v4, off, s[0:3], s32 offset:1272 ; 4-byte Folded Reload
	s_waitcnt vmcnt(0)
	v_cndmask_b32_e32 v4, 0, v4, vcc_lo
	buffer_store_dword v4, off, s[0:3], s32 offset:1272 ; 4-byte Folded Spill
	buffer_load_dword v4, off, s[0:3], s32 offset:1280 ; 4-byte Folded Reload
	s_waitcnt vmcnt(0)
	v_cndmask_b32_e64 v4, 0, v4, s4
	buffer_store_dword v4, off, s[0:3], s32 offset:1280 ; 4-byte Folded Spill
	buffer_load_dword v4, off, s[0:3], s32 offset:1264 ; 4-byte Folded Reload
	s_waitcnt vmcnt(0)
	v_cndmask_b32_e64 v4, 0, v4, s5
	;; [unrolled: 4-line block ×3, first 2 shown]
	buffer_store_dword v4, off, s[0:3], s32 offset:1256 ; 4-byte Folded Spill
.LBB259_3235:                           ;   in Loop: Header=BB259_2079 Depth=1
	s_or_b32 exec_lo, exec_lo, s8
	flat_load_dword v4, v[18:19] offset:256
	v_mov_b32_e32 v22, 0
	v_mov_b32_e32 v20, 0
	v_mov_b32_e32 v23, 0
	v_mov_b32_e32 v21, 0
	s_waitcnt vmcnt(0) lgkmcnt(0)
	v_cmp_ne_u16_sdwa s8, v4, v7 src0_sel:BYTE_0 src1_sel:DWORD
	s_and_saveexec_b32 s15, s8
	s_cbranch_execz .LBB259_3243
; %bb.3236:                             ;   in Loop: Header=BB259_2079 Depth=1
	v_bfrev_b32_e32 v20, 1
	v_mov_b32_e32 v21, 0
	v_cmp_ne_u16_sdwa s8, v4, v75 src0_sel:BYTE_0 src1_sel:DWORD
	s_and_saveexec_b32 s17, s8
	s_cbranch_execz .LBB259_3242
; %bb.3237:                             ;   in Loop: Header=BB259_2079 Depth=1
	v_mov_b32_e32 v20, 0x7f800001
	v_and_b32_e32 v8, 0x7f, v4
	v_mov_b32_e32 v21, 0
	s_mov_b32 s21, exec_lo
	v_cmpx_ne_u32_e32 0x7f, v8
	s_cbranch_execz .LBB259_3241
; %bb.3238:                             ;   in Loop: Header=BB259_2079 Depth=1
	v_and_b32_e32 v6, 7, v4
	v_mov_b32_e32 v21, v7
	v_lshrrev_b32_e32 v5, 3, v8
	s_mov_b32 s22, exec_lo
	v_mov_b32_e32 v20, v6
	v_cmpx_gt_u32_e32 8, v8
; %bb.3239:                             ;   in Loop: Header=BB259_2079 Depth=1
	v_ffbh_u32_e32 v5, v6
	v_min_u32_e32 v5, 32, v5
	v_subrev_nc_u32_e32 v8, 28, v5
	v_sub_nc_u32_e32 v5, 29, v5
	v_lshlrev_b64 v[20:21], v8, v[6:7]
	v_and_b32_e32 v20, 7, v20
; %bb.3240:                             ;   in Loop: Header=BB259_2079 Depth=1
	s_or_b32 exec_lo, exec_lo, s22
	v_lshlrev_b32_e32 v6, 24, v4
	v_lshlrev_b32_e32 v8, 20, v20
	v_lshl_add_u32 v5, v5, 23, 0x3c000000
	v_and_b32_e32 v6, 0x80000000, v6
	v_or3_b32 v6, v8, v6, v5
	v_mov_b32_e32 v21, v7
	v_mov_b32_e32 v20, v6
.LBB259_3241:                           ;   in Loop: Header=BB259_2079 Depth=1
	s_or_b32 exec_lo, exec_lo, s21
.LBB259_3242:                           ;   in Loop: Header=BB259_2079 Depth=1
	s_or_b32 exec_lo, exec_lo, s17
.LBB259_3243:                           ;   in Loop: Header=BB259_2079 Depth=1
	s_or_b32 exec_lo, exec_lo, s15
	v_cmp_ne_u16_sdwa s8, v4, v7 src0_sel:BYTE_1 src1_sel:DWORD
	s_and_saveexec_b32 s15, s8
	s_cbranch_execz .LBB259_3251
; %bb.3244:                             ;   in Loop: Header=BB259_2079 Depth=1
	v_mov_b32_e32 v8, v7
	v_mov_b32_e32 v23, v9
	v_cmp_ne_u16_sdwa s8, v4, v75 src0_sel:BYTE_1 src1_sel:DWORD
	v_mov_b32_e32 v22, v8
	s_and_saveexec_b32 s17, s8
	s_cbranch_execz .LBB259_3250
; %bb.3245:                             ;   in Loop: Header=BB259_2079 Depth=1
	v_and_b32_sdwa v5, v76, v4 dst_sel:DWORD dst_unused:UNUSED_PAD src0_sel:DWORD src1_sel:BYTE_1
	v_mov_b32_e32 v10, v7
	v_mov_b32_e32 v23, v11
	s_mov_b32 s21, exec_lo
	v_and_b32_e32 v8, 0x7f, v5
	v_mov_b32_e32 v22, v10
	v_cmpx_ne_u32_e32 0x7f, v8
	s_cbranch_execz .LBB259_3249
; %bb.3246:                             ;   in Loop: Header=BB259_2079 Depth=1
	v_and_b32_e32 v6, 7, v5
	v_mov_b32_e32 v23, v7
	v_lshrrev_b32_e32 v5, 3, v8
	s_mov_b32 s22, exec_lo
	v_mov_b32_e32 v22, v6
	v_cmpx_gt_u32_e32 8, v8
; %bb.3247:                             ;   in Loop: Header=BB259_2079 Depth=1
	v_ffbh_u32_e32 v5, v6
	v_min_u32_e32 v5, 32, v5
	v_subrev_nc_u32_e32 v8, 28, v5
	v_sub_nc_u32_e32 v5, 29, v5
	v_lshlrev_b64 v[22:23], v8, v[6:7]
	v_and_b32_e32 v22, 7, v22
; %bb.3248:                             ;   in Loop: Header=BB259_2079 Depth=1
	s_or_b32 exec_lo, exec_lo, s22
	v_lshlrev_b32_e32 v6, 16, v4
	v_lshlrev_b32_e32 v8, 20, v22
	v_lshl_add_u32 v5, v5, 23, 0x3c000000
	v_mov_b32_e32 v22, v7
	v_and_b32_e32 v6, 0x80000000, v6
	v_or3_b32 v23, v8, v6, v5
.LBB259_3249:                           ;   in Loop: Header=BB259_2079 Depth=1
	s_or_b32 exec_lo, exec_lo, s21
.LBB259_3250:                           ;   in Loop: Header=BB259_2079 Depth=1
	s_or_b32 exec_lo, exec_lo, s17
.LBB259_3251:                           ;   in Loop: Header=BB259_2079 Depth=1
	s_or_b32 exec_lo, exec_lo, s15
	v_mov_b32_e32 v24, 0
	v_mov_b32_e32 v26, 0
	v_and_b32_sdwa v5, v4, v77 dst_sel:DWORD dst_unused:UNUSED_PAD src0_sel:WORD_1 src1_sel:DWORD
	v_mov_b32_e32 v25, 0
	v_mov_b32_e32 v27, 0
	s_mov_b32 s15, exec_lo
	v_cmpx_ne_u16_e32 0, v5
	s_cbranch_execz .LBB259_3259
; %bb.3252:                             ;   in Loop: Header=BB259_2079 Depth=1
	v_bfrev_b32_e32 v26, 1
	v_mov_b32_e32 v27, 0
	s_mov_b32 s17, exec_lo
	v_cmpx_ne_u16_e32 0x80, v5
	s_cbranch_execz .LBB259_3258
; %bb.3253:                             ;   in Loop: Header=BB259_2079 Depth=1
	v_mov_b32_e32 v26, 0x7f800001
	v_bfe_u32 v8, v4, 16, 7
	v_mov_b32_e32 v27, 0
	s_mov_b32 s21, exec_lo
	v_cmpx_ne_u32_e32 0x7f, v8
	s_cbranch_execz .LBB259_3257
; %bb.3254:                             ;   in Loop: Header=BB259_2079 Depth=1
	v_and_b32_sdwa v6, v4, v78 dst_sel:DWORD dst_unused:UNUSED_PAD src0_sel:WORD_1 src1_sel:DWORD
	v_mov_b32_e32 v27, v7
	v_lshrrev_b32_e32 v5, 3, v8
	s_mov_b32 s22, exec_lo
	v_mov_b32_e32 v26, v6
	v_cmpx_gt_u32_e32 8, v8
; %bb.3255:                             ;   in Loop: Header=BB259_2079 Depth=1
	v_ffbh_u32_e32 v5, v6
	v_min_u32_e32 v5, 32, v5
	v_subrev_nc_u32_e32 v8, 28, v5
	v_sub_nc_u32_e32 v5, 29, v5
	v_lshlrev_b64 v[26:27], v8, v[6:7]
	v_and_b32_e32 v26, 7, v26
; %bb.3256:                             ;   in Loop: Header=BB259_2079 Depth=1
	s_or_b32 exec_lo, exec_lo, s22
	v_lshlrev_b32_sdwa v6, v79, v4 dst_sel:DWORD dst_unused:UNUSED_PAD src0_sel:DWORD src1_sel:WORD_1
	v_lshlrev_b32_e32 v8, 20, v26
	v_lshl_add_u32 v5, v5, 23, 0x3c000000
	v_and_b32_e32 v6, 0x80000000, v6
	v_or3_b32 v6, v8, v6, v5
	v_mov_b32_e32 v27, v7
	v_mov_b32_e32 v26, v6
.LBB259_3257:                           ;   in Loop: Header=BB259_2079 Depth=1
	s_or_b32 exec_lo, exec_lo, s21
.LBB259_3258:                           ;   in Loop: Header=BB259_2079 Depth=1
	s_or_b32 exec_lo, exec_lo, s17
.LBB259_3259:                           ;   in Loop: Header=BB259_2079 Depth=1
	s_or_b32 exec_lo, exec_lo, s15
	s_mov_b32 s15, exec_lo
	v_cmpx_lt_u32_e32 0xffffff, v4
	s_cbranch_execz .LBB259_3267
; %bb.3260:                             ;   in Loop: Header=BB259_2079 Depth=1
	v_mov_b32_e32 v8, v7
	v_mov_b32_e32 v25, v9
	v_cmp_ne_u32_sdwa s8, v4, v75 src0_sel:BYTE_3 src1_sel:DWORD
	v_mov_b32_e32 v24, v8
	s_and_saveexec_b32 s17, s8
	s_cbranch_execz .LBB259_3266
; %bb.3261:                             ;   in Loop: Header=BB259_2079 Depth=1
	v_mov_b32_e32 v10, v7
	v_mov_b32_e32 v25, v11
	v_bfe_u32 v8, v4, 24, 7
	s_mov_b32 s21, exec_lo
	v_mov_b32_e32 v24, v10
	v_cmpx_ne_u32_e32 0x7f, v8
	s_cbranch_execz .LBB259_3265
; %bb.3262:                             ;   in Loop: Header=BB259_2079 Depth=1
	v_and_b32_sdwa v6, v4, v78 dst_sel:DWORD dst_unused:UNUSED_PAD src0_sel:BYTE_3 src1_sel:DWORD
	v_mov_b32_e32 v25, v7
	v_lshrrev_b32_e32 v5, 3, v8
	s_mov_b32 s22, exec_lo
	v_mov_b32_e32 v24, v6
	v_cmpx_gt_u32_e32 8, v8
; %bb.3263:                             ;   in Loop: Header=BB259_2079 Depth=1
	v_ffbh_u32_e32 v5, v6
	v_min_u32_e32 v5, 32, v5
	v_subrev_nc_u32_e32 v8, 28, v5
	v_sub_nc_u32_e32 v5, 29, v5
	v_lshlrev_b64 v[24:25], v8, v[6:7]
	v_and_b32_e32 v24, 7, v24
; %bb.3264:                             ;   in Loop: Header=BB259_2079 Depth=1
	s_or_b32 exec_lo, exec_lo, s22
	v_lshlrev_b32_sdwa v4, v79, v4 dst_sel:DWORD dst_unused:UNUSED_PAD src0_sel:DWORD src1_sel:BYTE_3
	v_lshlrev_b32_e32 v6, 20, v24
	v_lshl_add_u32 v5, v5, 23, 0x3c000000
	v_mov_b32_e32 v24, v7
	v_and_b32_e32 v4, 0x80000000, v4
	v_or3_b32 v25, v6, v4, v5
.LBB259_3265:                           ;   in Loop: Header=BB259_2079 Depth=1
	s_or_b32 exec_lo, exec_lo, s21
.LBB259_3266:                           ;   in Loop: Header=BB259_2079 Depth=1
	s_or_b32 exec_lo, exec_lo, s17
.LBB259_3267:                           ;   in Loop: Header=BB259_2079 Depth=1
	s_or_b32 exec_lo, exec_lo, s15
	v_or_b32_e32 v4, v23, v21
	v_or_b32_e32 v5, v22, v20
	;; [unrolled: 1-line block ×4, first 2 shown]
	v_mul_f32_e32 v4, v93, v4
	buffer_store_dword v4, off, s[0:3], s32 offset:1312 ; 4-byte Folded Spill
	v_mul_f32_e32 v4, v73, v5
	buffer_store_dword v4, off, s[0:3], s32 offset:1304 ; 4-byte Folded Spill
	;; [unrolled: 2-line block ×4, first 2 shown]
	s_and_saveexec_b32 s8, s6
	s_cbranch_execz .LBB259_3269
; %bb.3268:                             ;   in Loop: Header=BB259_2079 Depth=1
	buffer_load_dword v4, off, s[0:3], s32 offset:1304 ; 4-byte Folded Reload
	s_waitcnt vmcnt(0)
	v_cndmask_b32_e32 v4, 0, v4, vcc_lo
	buffer_store_dword v4, off, s[0:3], s32 offset:1304 ; 4-byte Folded Spill
	buffer_load_dword v4, off, s[0:3], s32 offset:1312 ; 4-byte Folded Reload
	s_waitcnt vmcnt(0)
	v_cndmask_b32_e64 v4, 0, v4, s4
	buffer_store_dword v4, off, s[0:3], s32 offset:1312 ; 4-byte Folded Spill
	buffer_load_dword v4, off, s[0:3], s32 offset:1296 ; 4-byte Folded Reload
	s_waitcnt vmcnt(0)
	v_cndmask_b32_e64 v4, 0, v4, s5
	;; [unrolled: 4-line block ×3, first 2 shown]
	buffer_store_dword v4, off, s[0:3], s32 offset:1288 ; 4-byte Folded Spill
.LBB259_3269:                           ;   in Loop: Header=BB259_2079 Depth=1
	s_or_b32 exec_lo, exec_lo, s8
	flat_load_dword v4, v[18:19] offset:384
	v_mov_b32_e32 v22, 0
	v_mov_b32_e32 v20, 0
	v_mov_b32_e32 v23, 0
	v_mov_b32_e32 v21, 0
	s_waitcnt vmcnt(0) lgkmcnt(0)
	v_cmp_ne_u16_sdwa s8, v4, v7 src0_sel:BYTE_0 src1_sel:DWORD
	s_and_saveexec_b32 s15, s8
	s_cbranch_execz .LBB259_3277
; %bb.3270:                             ;   in Loop: Header=BB259_2079 Depth=1
	v_bfrev_b32_e32 v20, 1
	v_mov_b32_e32 v21, 0
	v_cmp_ne_u16_sdwa s8, v4, v75 src0_sel:BYTE_0 src1_sel:DWORD
	s_and_saveexec_b32 s17, s8
	s_cbranch_execz .LBB259_3276
; %bb.3271:                             ;   in Loop: Header=BB259_2079 Depth=1
	v_mov_b32_e32 v20, 0x7f800001
	v_and_b32_e32 v8, 0x7f, v4
	v_mov_b32_e32 v21, 0
	s_mov_b32 s21, exec_lo
	v_cmpx_ne_u32_e32 0x7f, v8
	s_cbranch_execz .LBB259_3275
; %bb.3272:                             ;   in Loop: Header=BB259_2079 Depth=1
	v_and_b32_e32 v6, 7, v4
	v_mov_b32_e32 v21, v7
	v_lshrrev_b32_e32 v5, 3, v8
	s_mov_b32 s22, exec_lo
	v_mov_b32_e32 v20, v6
	v_cmpx_gt_u32_e32 8, v8
; %bb.3273:                             ;   in Loop: Header=BB259_2079 Depth=1
	v_ffbh_u32_e32 v5, v6
	v_min_u32_e32 v5, 32, v5
	v_subrev_nc_u32_e32 v8, 28, v5
	v_sub_nc_u32_e32 v5, 29, v5
	v_lshlrev_b64 v[20:21], v8, v[6:7]
	v_and_b32_e32 v20, 7, v20
; %bb.3274:                             ;   in Loop: Header=BB259_2079 Depth=1
	s_or_b32 exec_lo, exec_lo, s22
	v_lshlrev_b32_e32 v6, 24, v4
	v_lshlrev_b32_e32 v8, 20, v20
	v_lshl_add_u32 v5, v5, 23, 0x3c000000
	v_and_b32_e32 v6, 0x80000000, v6
	v_or3_b32 v6, v8, v6, v5
	v_mov_b32_e32 v21, v7
	v_mov_b32_e32 v20, v6
.LBB259_3275:                           ;   in Loop: Header=BB259_2079 Depth=1
	s_or_b32 exec_lo, exec_lo, s21
.LBB259_3276:                           ;   in Loop: Header=BB259_2079 Depth=1
	s_or_b32 exec_lo, exec_lo, s17
.LBB259_3277:                           ;   in Loop: Header=BB259_2079 Depth=1
	s_or_b32 exec_lo, exec_lo, s15
	v_cmp_ne_u16_sdwa s8, v4, v7 src0_sel:BYTE_1 src1_sel:DWORD
	s_and_saveexec_b32 s15, s8
	s_cbranch_execz .LBB259_3285
; %bb.3278:                             ;   in Loop: Header=BB259_2079 Depth=1
	v_mov_b32_e32 v8, v7
	v_mov_b32_e32 v23, v9
	v_cmp_ne_u16_sdwa s8, v4, v75 src0_sel:BYTE_1 src1_sel:DWORD
	v_mov_b32_e32 v22, v8
	s_and_saveexec_b32 s17, s8
	s_cbranch_execz .LBB259_3284
; %bb.3279:                             ;   in Loop: Header=BB259_2079 Depth=1
	v_and_b32_sdwa v5, v76, v4 dst_sel:DWORD dst_unused:UNUSED_PAD src0_sel:DWORD src1_sel:BYTE_1
	v_mov_b32_e32 v10, v7
	v_mov_b32_e32 v23, v11
	s_mov_b32 s21, exec_lo
	v_and_b32_e32 v8, 0x7f, v5
	v_mov_b32_e32 v22, v10
	v_cmpx_ne_u32_e32 0x7f, v8
	s_cbranch_execz .LBB259_3283
; %bb.3280:                             ;   in Loop: Header=BB259_2079 Depth=1
	v_and_b32_e32 v6, 7, v5
	v_mov_b32_e32 v23, v7
	v_lshrrev_b32_e32 v5, 3, v8
	s_mov_b32 s22, exec_lo
	v_mov_b32_e32 v22, v6
	v_cmpx_gt_u32_e32 8, v8
; %bb.3281:                             ;   in Loop: Header=BB259_2079 Depth=1
	v_ffbh_u32_e32 v5, v6
	v_min_u32_e32 v5, 32, v5
	v_subrev_nc_u32_e32 v8, 28, v5
	v_sub_nc_u32_e32 v5, 29, v5
	v_lshlrev_b64 v[22:23], v8, v[6:7]
	v_and_b32_e32 v22, 7, v22
; %bb.3282:                             ;   in Loop: Header=BB259_2079 Depth=1
	s_or_b32 exec_lo, exec_lo, s22
	v_lshlrev_b32_e32 v6, 16, v4
	v_lshlrev_b32_e32 v8, 20, v22
	v_lshl_add_u32 v5, v5, 23, 0x3c000000
	v_mov_b32_e32 v22, v7
	v_and_b32_e32 v6, 0x80000000, v6
	v_or3_b32 v23, v8, v6, v5
.LBB259_3283:                           ;   in Loop: Header=BB259_2079 Depth=1
	s_or_b32 exec_lo, exec_lo, s21
.LBB259_3284:                           ;   in Loop: Header=BB259_2079 Depth=1
	s_or_b32 exec_lo, exec_lo, s17
.LBB259_3285:                           ;   in Loop: Header=BB259_2079 Depth=1
	s_or_b32 exec_lo, exec_lo, s15
	v_mov_b32_e32 v24, 0
	v_mov_b32_e32 v26, 0
	v_and_b32_sdwa v5, v4, v77 dst_sel:DWORD dst_unused:UNUSED_PAD src0_sel:WORD_1 src1_sel:DWORD
	v_mov_b32_e32 v25, 0
	v_mov_b32_e32 v27, 0
	s_mov_b32 s15, exec_lo
	v_cmpx_ne_u16_e32 0, v5
	s_cbranch_execz .LBB259_3293
; %bb.3286:                             ;   in Loop: Header=BB259_2079 Depth=1
	v_bfrev_b32_e32 v26, 1
	v_mov_b32_e32 v27, 0
	s_mov_b32 s17, exec_lo
	v_cmpx_ne_u16_e32 0x80, v5
	s_cbranch_execz .LBB259_3292
; %bb.3287:                             ;   in Loop: Header=BB259_2079 Depth=1
	v_mov_b32_e32 v26, 0x7f800001
	v_bfe_u32 v8, v4, 16, 7
	v_mov_b32_e32 v27, 0
	s_mov_b32 s21, exec_lo
	v_cmpx_ne_u32_e32 0x7f, v8
	s_cbranch_execz .LBB259_3291
; %bb.3288:                             ;   in Loop: Header=BB259_2079 Depth=1
	v_and_b32_sdwa v6, v4, v78 dst_sel:DWORD dst_unused:UNUSED_PAD src0_sel:WORD_1 src1_sel:DWORD
	v_mov_b32_e32 v27, v7
	v_lshrrev_b32_e32 v5, 3, v8
	s_mov_b32 s22, exec_lo
	v_mov_b32_e32 v26, v6
	v_cmpx_gt_u32_e32 8, v8
; %bb.3289:                             ;   in Loop: Header=BB259_2079 Depth=1
	v_ffbh_u32_e32 v5, v6
	v_min_u32_e32 v5, 32, v5
	v_subrev_nc_u32_e32 v8, 28, v5
	v_sub_nc_u32_e32 v5, 29, v5
	v_lshlrev_b64 v[26:27], v8, v[6:7]
	v_and_b32_e32 v26, 7, v26
; %bb.3290:                             ;   in Loop: Header=BB259_2079 Depth=1
	s_or_b32 exec_lo, exec_lo, s22
	v_lshlrev_b32_sdwa v6, v79, v4 dst_sel:DWORD dst_unused:UNUSED_PAD src0_sel:DWORD src1_sel:WORD_1
	v_lshlrev_b32_e32 v8, 20, v26
	v_lshl_add_u32 v5, v5, 23, 0x3c000000
	v_and_b32_e32 v6, 0x80000000, v6
	v_or3_b32 v6, v8, v6, v5
	v_mov_b32_e32 v27, v7
	v_mov_b32_e32 v26, v6
.LBB259_3291:                           ;   in Loop: Header=BB259_2079 Depth=1
	s_or_b32 exec_lo, exec_lo, s21
.LBB259_3292:                           ;   in Loop: Header=BB259_2079 Depth=1
	s_or_b32 exec_lo, exec_lo, s17
.LBB259_3293:                           ;   in Loop: Header=BB259_2079 Depth=1
	s_or_b32 exec_lo, exec_lo, s15
	s_mov_b32 s15, exec_lo
	v_cmpx_lt_u32_e32 0xffffff, v4
	s_cbranch_execz .LBB259_3301
; %bb.3294:                             ;   in Loop: Header=BB259_2079 Depth=1
	v_mov_b32_e32 v8, v7
	v_mov_b32_e32 v25, v9
	v_cmp_ne_u32_sdwa s8, v4, v75 src0_sel:BYTE_3 src1_sel:DWORD
	v_mov_b32_e32 v24, v8
	s_and_saveexec_b32 s17, s8
	s_cbranch_execz .LBB259_3300
; %bb.3295:                             ;   in Loop: Header=BB259_2079 Depth=1
	v_mov_b32_e32 v10, v7
	v_mov_b32_e32 v25, v11
	v_bfe_u32 v8, v4, 24, 7
	s_mov_b32 s21, exec_lo
	v_mov_b32_e32 v24, v10
	v_cmpx_ne_u32_e32 0x7f, v8
	s_cbranch_execz .LBB259_3299
; %bb.3296:                             ;   in Loop: Header=BB259_2079 Depth=1
	v_and_b32_sdwa v6, v4, v78 dst_sel:DWORD dst_unused:UNUSED_PAD src0_sel:BYTE_3 src1_sel:DWORD
	v_mov_b32_e32 v25, v7
	v_lshrrev_b32_e32 v5, 3, v8
	s_mov_b32 s22, exec_lo
	v_mov_b32_e32 v24, v6
	v_cmpx_gt_u32_e32 8, v8
; %bb.3297:                             ;   in Loop: Header=BB259_2079 Depth=1
	v_ffbh_u32_e32 v5, v6
	v_min_u32_e32 v5, 32, v5
	v_subrev_nc_u32_e32 v8, 28, v5
	v_sub_nc_u32_e32 v5, 29, v5
	v_lshlrev_b64 v[24:25], v8, v[6:7]
	v_and_b32_e32 v24, 7, v24
; %bb.3298:                             ;   in Loop: Header=BB259_2079 Depth=1
	s_or_b32 exec_lo, exec_lo, s22
	v_lshlrev_b32_sdwa v4, v79, v4 dst_sel:DWORD dst_unused:UNUSED_PAD src0_sel:DWORD src1_sel:BYTE_3
	v_lshlrev_b32_e32 v6, 20, v24
	v_lshl_add_u32 v5, v5, 23, 0x3c000000
	v_mov_b32_e32 v24, v7
	v_and_b32_e32 v4, 0x80000000, v4
	v_or3_b32 v25, v6, v4, v5
.LBB259_3299:                           ;   in Loop: Header=BB259_2079 Depth=1
	s_or_b32 exec_lo, exec_lo, s21
.LBB259_3300:                           ;   in Loop: Header=BB259_2079 Depth=1
	s_or_b32 exec_lo, exec_lo, s17
.LBB259_3301:                           ;   in Loop: Header=BB259_2079 Depth=1
	s_or_b32 exec_lo, exec_lo, s15
	v_or_b32_e32 v4, v23, v21
	v_or_b32_e32 v5, v22, v20
	;; [unrolled: 1-line block ×4, first 2 shown]
	v_mul_f32_e32 v4, v93, v4
	buffer_store_dword v4, off, s[0:3], s32 offset:1344 ; 4-byte Folded Spill
	v_mul_f32_e32 v4, v73, v5
	buffer_store_dword v4, off, s[0:3], s32 offset:1336 ; 4-byte Folded Spill
	;; [unrolled: 2-line block ×4, first 2 shown]
	s_and_saveexec_b32 s8, s6
	s_cbranch_execz .LBB259_3303
; %bb.3302:                             ;   in Loop: Header=BB259_2079 Depth=1
	buffer_load_dword v4, off, s[0:3], s32 offset:1336 ; 4-byte Folded Reload
	s_waitcnt vmcnt(0)
	v_cndmask_b32_e32 v4, 0, v4, vcc_lo
	buffer_store_dword v4, off, s[0:3], s32 offset:1336 ; 4-byte Folded Spill
	buffer_load_dword v4, off, s[0:3], s32 offset:1344 ; 4-byte Folded Reload
	s_waitcnt vmcnt(0)
	v_cndmask_b32_e64 v4, 0, v4, s4
	buffer_store_dword v4, off, s[0:3], s32 offset:1344 ; 4-byte Folded Spill
	buffer_load_dword v4, off, s[0:3], s32 offset:1328 ; 4-byte Folded Reload
	s_waitcnt vmcnt(0)
	v_cndmask_b32_e64 v4, 0, v4, s5
	;; [unrolled: 4-line block ×3, first 2 shown]
	buffer_store_dword v4, off, s[0:3], s32 offset:1320 ; 4-byte Folded Spill
.LBB259_3303:                           ;   in Loop: Header=BB259_2079 Depth=1
	s_or_b32 exec_lo, exec_lo, s8
	flat_load_dword v4, v[18:19] offset:512
	v_mov_b32_e32 v22, 0
	v_mov_b32_e32 v20, 0
	v_mov_b32_e32 v23, 0
	v_mov_b32_e32 v21, 0
	s_waitcnt vmcnt(0) lgkmcnt(0)
	v_cmp_ne_u16_sdwa s8, v4, v7 src0_sel:BYTE_0 src1_sel:DWORD
	s_and_saveexec_b32 s15, s8
	s_cbranch_execz .LBB259_3311
; %bb.3304:                             ;   in Loop: Header=BB259_2079 Depth=1
	v_bfrev_b32_e32 v20, 1
	v_mov_b32_e32 v21, 0
	v_cmp_ne_u16_sdwa s8, v4, v75 src0_sel:BYTE_0 src1_sel:DWORD
	s_and_saveexec_b32 s17, s8
	s_cbranch_execz .LBB259_3310
; %bb.3305:                             ;   in Loop: Header=BB259_2079 Depth=1
	v_mov_b32_e32 v20, 0x7f800001
	v_and_b32_e32 v8, 0x7f, v4
	v_mov_b32_e32 v21, 0
	s_mov_b32 s21, exec_lo
	v_cmpx_ne_u32_e32 0x7f, v8
	s_cbranch_execz .LBB259_3309
; %bb.3306:                             ;   in Loop: Header=BB259_2079 Depth=1
	v_and_b32_e32 v6, 7, v4
	v_mov_b32_e32 v21, v7
	v_lshrrev_b32_e32 v5, 3, v8
	s_mov_b32 s22, exec_lo
	v_mov_b32_e32 v20, v6
	v_cmpx_gt_u32_e32 8, v8
; %bb.3307:                             ;   in Loop: Header=BB259_2079 Depth=1
	v_ffbh_u32_e32 v5, v6
	v_min_u32_e32 v5, 32, v5
	v_subrev_nc_u32_e32 v8, 28, v5
	v_sub_nc_u32_e32 v5, 29, v5
	v_lshlrev_b64 v[20:21], v8, v[6:7]
	v_and_b32_e32 v20, 7, v20
; %bb.3308:                             ;   in Loop: Header=BB259_2079 Depth=1
	s_or_b32 exec_lo, exec_lo, s22
	v_lshlrev_b32_e32 v6, 24, v4
	v_lshlrev_b32_e32 v8, 20, v20
	v_lshl_add_u32 v5, v5, 23, 0x3c000000
	v_and_b32_e32 v6, 0x80000000, v6
	v_or3_b32 v6, v8, v6, v5
	v_mov_b32_e32 v21, v7
	v_mov_b32_e32 v20, v6
.LBB259_3309:                           ;   in Loop: Header=BB259_2079 Depth=1
	s_or_b32 exec_lo, exec_lo, s21
.LBB259_3310:                           ;   in Loop: Header=BB259_2079 Depth=1
	s_or_b32 exec_lo, exec_lo, s17
.LBB259_3311:                           ;   in Loop: Header=BB259_2079 Depth=1
	s_or_b32 exec_lo, exec_lo, s15
	v_cmp_ne_u16_sdwa s8, v4, v7 src0_sel:BYTE_1 src1_sel:DWORD
	s_and_saveexec_b32 s15, s8
	s_cbranch_execz .LBB259_3319
; %bb.3312:                             ;   in Loop: Header=BB259_2079 Depth=1
	v_mov_b32_e32 v8, v7
	v_mov_b32_e32 v23, v9
	v_cmp_ne_u16_sdwa s8, v4, v75 src0_sel:BYTE_1 src1_sel:DWORD
	v_mov_b32_e32 v22, v8
	s_and_saveexec_b32 s17, s8
	s_cbranch_execz .LBB259_3318
; %bb.3313:                             ;   in Loop: Header=BB259_2079 Depth=1
	v_and_b32_sdwa v5, v76, v4 dst_sel:DWORD dst_unused:UNUSED_PAD src0_sel:DWORD src1_sel:BYTE_1
	v_mov_b32_e32 v10, v7
	v_mov_b32_e32 v23, v11
	s_mov_b32 s21, exec_lo
	v_and_b32_e32 v8, 0x7f, v5
	v_mov_b32_e32 v22, v10
	v_cmpx_ne_u32_e32 0x7f, v8
	s_cbranch_execz .LBB259_3317
; %bb.3314:                             ;   in Loop: Header=BB259_2079 Depth=1
	v_and_b32_e32 v6, 7, v5
	v_mov_b32_e32 v23, v7
	v_lshrrev_b32_e32 v5, 3, v8
	s_mov_b32 s22, exec_lo
	v_mov_b32_e32 v22, v6
	v_cmpx_gt_u32_e32 8, v8
; %bb.3315:                             ;   in Loop: Header=BB259_2079 Depth=1
	v_ffbh_u32_e32 v5, v6
	v_min_u32_e32 v5, 32, v5
	v_subrev_nc_u32_e32 v8, 28, v5
	v_sub_nc_u32_e32 v5, 29, v5
	v_lshlrev_b64 v[22:23], v8, v[6:7]
	v_and_b32_e32 v22, 7, v22
; %bb.3316:                             ;   in Loop: Header=BB259_2079 Depth=1
	s_or_b32 exec_lo, exec_lo, s22
	v_lshlrev_b32_e32 v6, 16, v4
	v_lshlrev_b32_e32 v8, 20, v22
	v_lshl_add_u32 v5, v5, 23, 0x3c000000
	v_mov_b32_e32 v22, v7
	v_and_b32_e32 v6, 0x80000000, v6
	v_or3_b32 v23, v8, v6, v5
.LBB259_3317:                           ;   in Loop: Header=BB259_2079 Depth=1
	s_or_b32 exec_lo, exec_lo, s21
.LBB259_3318:                           ;   in Loop: Header=BB259_2079 Depth=1
	s_or_b32 exec_lo, exec_lo, s17
.LBB259_3319:                           ;   in Loop: Header=BB259_2079 Depth=1
	s_or_b32 exec_lo, exec_lo, s15
	v_mov_b32_e32 v24, 0
	v_mov_b32_e32 v26, 0
	v_and_b32_sdwa v5, v4, v77 dst_sel:DWORD dst_unused:UNUSED_PAD src0_sel:WORD_1 src1_sel:DWORD
	v_mov_b32_e32 v25, 0
	v_mov_b32_e32 v27, 0
	s_mov_b32 s15, exec_lo
	v_cmpx_ne_u16_e32 0, v5
	s_cbranch_execz .LBB259_3327
; %bb.3320:                             ;   in Loop: Header=BB259_2079 Depth=1
	v_bfrev_b32_e32 v26, 1
	v_mov_b32_e32 v27, 0
	s_mov_b32 s17, exec_lo
	v_cmpx_ne_u16_e32 0x80, v5
	s_cbranch_execz .LBB259_3326
; %bb.3321:                             ;   in Loop: Header=BB259_2079 Depth=1
	v_mov_b32_e32 v26, 0x7f800001
	v_bfe_u32 v8, v4, 16, 7
	v_mov_b32_e32 v27, 0
	s_mov_b32 s21, exec_lo
	v_cmpx_ne_u32_e32 0x7f, v8
	s_cbranch_execz .LBB259_3325
; %bb.3322:                             ;   in Loop: Header=BB259_2079 Depth=1
	v_and_b32_sdwa v6, v4, v78 dst_sel:DWORD dst_unused:UNUSED_PAD src0_sel:WORD_1 src1_sel:DWORD
	v_mov_b32_e32 v27, v7
	v_lshrrev_b32_e32 v5, 3, v8
	s_mov_b32 s22, exec_lo
	v_mov_b32_e32 v26, v6
	v_cmpx_gt_u32_e32 8, v8
; %bb.3323:                             ;   in Loop: Header=BB259_2079 Depth=1
	v_ffbh_u32_e32 v5, v6
	v_min_u32_e32 v5, 32, v5
	v_subrev_nc_u32_e32 v8, 28, v5
	v_sub_nc_u32_e32 v5, 29, v5
	v_lshlrev_b64 v[26:27], v8, v[6:7]
	v_and_b32_e32 v26, 7, v26
; %bb.3324:                             ;   in Loop: Header=BB259_2079 Depth=1
	s_or_b32 exec_lo, exec_lo, s22
	v_lshlrev_b32_sdwa v6, v79, v4 dst_sel:DWORD dst_unused:UNUSED_PAD src0_sel:DWORD src1_sel:WORD_1
	v_lshlrev_b32_e32 v8, 20, v26
	v_lshl_add_u32 v5, v5, 23, 0x3c000000
	v_and_b32_e32 v6, 0x80000000, v6
	v_or3_b32 v6, v8, v6, v5
	v_mov_b32_e32 v27, v7
	v_mov_b32_e32 v26, v6
.LBB259_3325:                           ;   in Loop: Header=BB259_2079 Depth=1
	s_or_b32 exec_lo, exec_lo, s21
.LBB259_3326:                           ;   in Loop: Header=BB259_2079 Depth=1
	s_or_b32 exec_lo, exec_lo, s17
.LBB259_3327:                           ;   in Loop: Header=BB259_2079 Depth=1
	s_or_b32 exec_lo, exec_lo, s15
	s_mov_b32 s15, exec_lo
	v_cmpx_lt_u32_e32 0xffffff, v4
	s_cbranch_execz .LBB259_3335
; %bb.3328:                             ;   in Loop: Header=BB259_2079 Depth=1
	v_mov_b32_e32 v8, v7
	v_mov_b32_e32 v25, v9
	v_cmp_ne_u32_sdwa s8, v4, v75 src0_sel:BYTE_3 src1_sel:DWORD
	v_mov_b32_e32 v24, v8
	s_and_saveexec_b32 s17, s8
	s_cbranch_execz .LBB259_3334
; %bb.3329:                             ;   in Loop: Header=BB259_2079 Depth=1
	v_mov_b32_e32 v10, v7
	v_mov_b32_e32 v25, v11
	v_bfe_u32 v8, v4, 24, 7
	s_mov_b32 s21, exec_lo
	v_mov_b32_e32 v24, v10
	v_cmpx_ne_u32_e32 0x7f, v8
	s_cbranch_execz .LBB259_3333
; %bb.3330:                             ;   in Loop: Header=BB259_2079 Depth=1
	v_and_b32_sdwa v6, v4, v78 dst_sel:DWORD dst_unused:UNUSED_PAD src0_sel:BYTE_3 src1_sel:DWORD
	v_mov_b32_e32 v25, v7
	v_lshrrev_b32_e32 v5, 3, v8
	s_mov_b32 s22, exec_lo
	v_mov_b32_e32 v24, v6
	v_cmpx_gt_u32_e32 8, v8
; %bb.3331:                             ;   in Loop: Header=BB259_2079 Depth=1
	v_ffbh_u32_e32 v5, v6
	v_min_u32_e32 v5, 32, v5
	v_subrev_nc_u32_e32 v8, 28, v5
	v_sub_nc_u32_e32 v5, 29, v5
	v_lshlrev_b64 v[24:25], v8, v[6:7]
	v_and_b32_e32 v24, 7, v24
; %bb.3332:                             ;   in Loop: Header=BB259_2079 Depth=1
	s_or_b32 exec_lo, exec_lo, s22
	v_lshlrev_b32_sdwa v4, v79, v4 dst_sel:DWORD dst_unused:UNUSED_PAD src0_sel:DWORD src1_sel:BYTE_3
	v_lshlrev_b32_e32 v6, 20, v24
	v_lshl_add_u32 v5, v5, 23, 0x3c000000
	v_mov_b32_e32 v24, v7
	v_and_b32_e32 v4, 0x80000000, v4
	v_or3_b32 v25, v6, v4, v5
.LBB259_3333:                           ;   in Loop: Header=BB259_2079 Depth=1
	s_or_b32 exec_lo, exec_lo, s21
.LBB259_3334:                           ;   in Loop: Header=BB259_2079 Depth=1
	s_or_b32 exec_lo, exec_lo, s17
.LBB259_3335:                           ;   in Loop: Header=BB259_2079 Depth=1
	s_or_b32 exec_lo, exec_lo, s15
	v_or_b32_e32 v4, v23, v21
	v_or_b32_e32 v5, v22, v20
	;; [unrolled: 1-line block ×4, first 2 shown]
	v_mul_f32_e32 v4, v93, v4
	buffer_store_dword v4, off, s[0:3], s32 offset:1376 ; 4-byte Folded Spill
	v_mul_f32_e32 v4, v73, v5
	buffer_store_dword v4, off, s[0:3], s32 offset:1368 ; 4-byte Folded Spill
	;; [unrolled: 2-line block ×4, first 2 shown]
	s_and_saveexec_b32 s8, s6
	s_cbranch_execz .LBB259_3337
; %bb.3336:                             ;   in Loop: Header=BB259_2079 Depth=1
	buffer_load_dword v4, off, s[0:3], s32 offset:1368 ; 4-byte Folded Reload
	s_waitcnt vmcnt(0)
	v_cndmask_b32_e32 v4, 0, v4, vcc_lo
	buffer_store_dword v4, off, s[0:3], s32 offset:1368 ; 4-byte Folded Spill
	buffer_load_dword v4, off, s[0:3], s32 offset:1376 ; 4-byte Folded Reload
	s_waitcnt vmcnt(0)
	v_cndmask_b32_e64 v4, 0, v4, s4
	buffer_store_dword v4, off, s[0:3], s32 offset:1376 ; 4-byte Folded Spill
	buffer_load_dword v4, off, s[0:3], s32 offset:1360 ; 4-byte Folded Reload
	s_waitcnt vmcnt(0)
	v_cndmask_b32_e64 v4, 0, v4, s5
	buffer_store_dword v4, off, s[0:3], s32 offset:1360 ; 4-byte Folded Spill
	buffer_load_dword v4, off, s[0:3], s32 offset:1352 ; 4-byte Folded Reload
	s_waitcnt vmcnt(0)
	v_cndmask_b32_e64 v4, 0, v4, s7
	buffer_store_dword v4, off, s[0:3], s32 offset:1352 ; 4-byte Folded Spill
.LBB259_3337:                           ;   in Loop: Header=BB259_2079 Depth=1
	s_or_b32 exec_lo, exec_lo, s8
	flat_load_dword v4, v[18:19] offset:640
	v_mov_b32_e32 v22, 0
	v_mov_b32_e32 v20, 0
	;; [unrolled: 1-line block ×4, first 2 shown]
	s_waitcnt vmcnt(0) lgkmcnt(0)
	v_cmp_ne_u16_sdwa s8, v4, v7 src0_sel:BYTE_0 src1_sel:DWORD
	s_and_saveexec_b32 s15, s8
	s_cbranch_execz .LBB259_3345
; %bb.3338:                             ;   in Loop: Header=BB259_2079 Depth=1
	v_bfrev_b32_e32 v20, 1
	v_mov_b32_e32 v21, 0
	v_cmp_ne_u16_sdwa s8, v4, v75 src0_sel:BYTE_0 src1_sel:DWORD
	s_and_saveexec_b32 s17, s8
	s_cbranch_execz .LBB259_3344
; %bb.3339:                             ;   in Loop: Header=BB259_2079 Depth=1
	v_mov_b32_e32 v20, 0x7f800001
	v_and_b32_e32 v8, 0x7f, v4
	v_mov_b32_e32 v21, 0
	s_mov_b32 s21, exec_lo
	v_cmpx_ne_u32_e32 0x7f, v8
	s_cbranch_execz .LBB259_3343
; %bb.3340:                             ;   in Loop: Header=BB259_2079 Depth=1
	v_and_b32_e32 v6, 7, v4
	v_mov_b32_e32 v21, v7
	v_lshrrev_b32_e32 v5, 3, v8
	s_mov_b32 s22, exec_lo
	v_mov_b32_e32 v20, v6
	v_cmpx_gt_u32_e32 8, v8
; %bb.3341:                             ;   in Loop: Header=BB259_2079 Depth=1
	v_ffbh_u32_e32 v5, v6
	v_min_u32_e32 v5, 32, v5
	v_subrev_nc_u32_e32 v8, 28, v5
	v_sub_nc_u32_e32 v5, 29, v5
	v_lshlrev_b64 v[20:21], v8, v[6:7]
	v_and_b32_e32 v20, 7, v20
; %bb.3342:                             ;   in Loop: Header=BB259_2079 Depth=1
	s_or_b32 exec_lo, exec_lo, s22
	v_lshlrev_b32_e32 v6, 24, v4
	v_lshlrev_b32_e32 v8, 20, v20
	v_lshl_add_u32 v5, v5, 23, 0x3c000000
	v_and_b32_e32 v6, 0x80000000, v6
	v_or3_b32 v6, v8, v6, v5
	v_mov_b32_e32 v21, v7
	v_mov_b32_e32 v20, v6
.LBB259_3343:                           ;   in Loop: Header=BB259_2079 Depth=1
	s_or_b32 exec_lo, exec_lo, s21
.LBB259_3344:                           ;   in Loop: Header=BB259_2079 Depth=1
	s_or_b32 exec_lo, exec_lo, s17
.LBB259_3345:                           ;   in Loop: Header=BB259_2079 Depth=1
	s_or_b32 exec_lo, exec_lo, s15
	v_cmp_ne_u16_sdwa s8, v4, v7 src0_sel:BYTE_1 src1_sel:DWORD
	s_and_saveexec_b32 s15, s8
	s_cbranch_execz .LBB259_3353
; %bb.3346:                             ;   in Loop: Header=BB259_2079 Depth=1
	v_mov_b32_e32 v8, v7
	v_mov_b32_e32 v23, v9
	v_cmp_ne_u16_sdwa s8, v4, v75 src0_sel:BYTE_1 src1_sel:DWORD
	v_mov_b32_e32 v22, v8
	s_and_saveexec_b32 s17, s8
	s_cbranch_execz .LBB259_3352
; %bb.3347:                             ;   in Loop: Header=BB259_2079 Depth=1
	v_and_b32_sdwa v5, v76, v4 dst_sel:DWORD dst_unused:UNUSED_PAD src0_sel:DWORD src1_sel:BYTE_1
	v_mov_b32_e32 v10, v7
	v_mov_b32_e32 v23, v11
	s_mov_b32 s21, exec_lo
	v_and_b32_e32 v8, 0x7f, v5
	v_mov_b32_e32 v22, v10
	v_cmpx_ne_u32_e32 0x7f, v8
	s_cbranch_execz .LBB259_3351
; %bb.3348:                             ;   in Loop: Header=BB259_2079 Depth=1
	v_and_b32_e32 v6, 7, v5
	v_mov_b32_e32 v23, v7
	v_lshrrev_b32_e32 v5, 3, v8
	s_mov_b32 s22, exec_lo
	v_mov_b32_e32 v22, v6
	v_cmpx_gt_u32_e32 8, v8
; %bb.3349:                             ;   in Loop: Header=BB259_2079 Depth=1
	v_ffbh_u32_e32 v5, v6
	v_min_u32_e32 v5, 32, v5
	v_subrev_nc_u32_e32 v8, 28, v5
	v_sub_nc_u32_e32 v5, 29, v5
	v_lshlrev_b64 v[22:23], v8, v[6:7]
	v_and_b32_e32 v22, 7, v22
; %bb.3350:                             ;   in Loop: Header=BB259_2079 Depth=1
	s_or_b32 exec_lo, exec_lo, s22
	v_lshlrev_b32_e32 v6, 16, v4
	v_lshlrev_b32_e32 v8, 20, v22
	v_lshl_add_u32 v5, v5, 23, 0x3c000000
	v_mov_b32_e32 v22, v7
	v_and_b32_e32 v6, 0x80000000, v6
	v_or3_b32 v23, v8, v6, v5
.LBB259_3351:                           ;   in Loop: Header=BB259_2079 Depth=1
	s_or_b32 exec_lo, exec_lo, s21
.LBB259_3352:                           ;   in Loop: Header=BB259_2079 Depth=1
	s_or_b32 exec_lo, exec_lo, s17
.LBB259_3353:                           ;   in Loop: Header=BB259_2079 Depth=1
	s_or_b32 exec_lo, exec_lo, s15
	v_mov_b32_e32 v24, 0
	v_mov_b32_e32 v26, 0
	v_and_b32_sdwa v5, v4, v77 dst_sel:DWORD dst_unused:UNUSED_PAD src0_sel:WORD_1 src1_sel:DWORD
	v_mov_b32_e32 v25, 0
	v_mov_b32_e32 v27, 0
	s_mov_b32 s15, exec_lo
	v_cmpx_ne_u16_e32 0, v5
	s_cbranch_execz .LBB259_3361
; %bb.3354:                             ;   in Loop: Header=BB259_2079 Depth=1
	v_bfrev_b32_e32 v26, 1
	v_mov_b32_e32 v27, 0
	s_mov_b32 s17, exec_lo
	v_cmpx_ne_u16_e32 0x80, v5
	s_cbranch_execz .LBB259_3360
; %bb.3355:                             ;   in Loop: Header=BB259_2079 Depth=1
	v_mov_b32_e32 v26, 0x7f800001
	v_bfe_u32 v8, v4, 16, 7
	v_mov_b32_e32 v27, 0
	s_mov_b32 s21, exec_lo
	v_cmpx_ne_u32_e32 0x7f, v8
	s_cbranch_execz .LBB259_3359
; %bb.3356:                             ;   in Loop: Header=BB259_2079 Depth=1
	v_and_b32_sdwa v6, v4, v78 dst_sel:DWORD dst_unused:UNUSED_PAD src0_sel:WORD_1 src1_sel:DWORD
	v_mov_b32_e32 v27, v7
	v_lshrrev_b32_e32 v5, 3, v8
	s_mov_b32 s22, exec_lo
	v_mov_b32_e32 v26, v6
	v_cmpx_gt_u32_e32 8, v8
; %bb.3357:                             ;   in Loop: Header=BB259_2079 Depth=1
	v_ffbh_u32_e32 v5, v6
	v_min_u32_e32 v5, 32, v5
	v_subrev_nc_u32_e32 v8, 28, v5
	v_sub_nc_u32_e32 v5, 29, v5
	v_lshlrev_b64 v[26:27], v8, v[6:7]
	v_and_b32_e32 v26, 7, v26
; %bb.3358:                             ;   in Loop: Header=BB259_2079 Depth=1
	s_or_b32 exec_lo, exec_lo, s22
	v_lshlrev_b32_sdwa v6, v79, v4 dst_sel:DWORD dst_unused:UNUSED_PAD src0_sel:DWORD src1_sel:WORD_1
	v_lshlrev_b32_e32 v8, 20, v26
	v_lshl_add_u32 v5, v5, 23, 0x3c000000
	v_and_b32_e32 v6, 0x80000000, v6
	v_or3_b32 v6, v8, v6, v5
	v_mov_b32_e32 v27, v7
	v_mov_b32_e32 v26, v6
.LBB259_3359:                           ;   in Loop: Header=BB259_2079 Depth=1
	s_or_b32 exec_lo, exec_lo, s21
.LBB259_3360:                           ;   in Loop: Header=BB259_2079 Depth=1
	s_or_b32 exec_lo, exec_lo, s17
.LBB259_3361:                           ;   in Loop: Header=BB259_2079 Depth=1
	s_or_b32 exec_lo, exec_lo, s15
	s_mov_b32 s15, exec_lo
	v_cmpx_lt_u32_e32 0xffffff, v4
	s_cbranch_execz .LBB259_3369
; %bb.3362:                             ;   in Loop: Header=BB259_2079 Depth=1
	v_mov_b32_e32 v8, v7
	v_mov_b32_e32 v25, v9
	v_cmp_ne_u32_sdwa s8, v4, v75 src0_sel:BYTE_3 src1_sel:DWORD
	v_mov_b32_e32 v24, v8
	s_and_saveexec_b32 s17, s8
	s_cbranch_execz .LBB259_3368
; %bb.3363:                             ;   in Loop: Header=BB259_2079 Depth=1
	v_mov_b32_e32 v10, v7
	v_mov_b32_e32 v25, v11
	v_bfe_u32 v8, v4, 24, 7
	s_mov_b32 s21, exec_lo
	v_mov_b32_e32 v24, v10
	v_cmpx_ne_u32_e32 0x7f, v8
	s_cbranch_execz .LBB259_3367
; %bb.3364:                             ;   in Loop: Header=BB259_2079 Depth=1
	v_and_b32_sdwa v6, v4, v78 dst_sel:DWORD dst_unused:UNUSED_PAD src0_sel:BYTE_3 src1_sel:DWORD
	v_mov_b32_e32 v25, v7
	v_lshrrev_b32_e32 v5, 3, v8
	s_mov_b32 s22, exec_lo
	v_mov_b32_e32 v24, v6
	v_cmpx_gt_u32_e32 8, v8
; %bb.3365:                             ;   in Loop: Header=BB259_2079 Depth=1
	v_ffbh_u32_e32 v5, v6
	v_min_u32_e32 v5, 32, v5
	v_subrev_nc_u32_e32 v8, 28, v5
	v_sub_nc_u32_e32 v5, 29, v5
	v_lshlrev_b64 v[24:25], v8, v[6:7]
	v_and_b32_e32 v24, 7, v24
; %bb.3366:                             ;   in Loop: Header=BB259_2079 Depth=1
	s_or_b32 exec_lo, exec_lo, s22
	v_lshlrev_b32_sdwa v4, v79, v4 dst_sel:DWORD dst_unused:UNUSED_PAD src0_sel:DWORD src1_sel:BYTE_3
	v_lshlrev_b32_e32 v6, 20, v24
	v_lshl_add_u32 v5, v5, 23, 0x3c000000
	v_mov_b32_e32 v24, v7
	v_and_b32_e32 v4, 0x80000000, v4
	v_or3_b32 v25, v6, v4, v5
.LBB259_3367:                           ;   in Loop: Header=BB259_2079 Depth=1
	s_or_b32 exec_lo, exec_lo, s21
.LBB259_3368:                           ;   in Loop: Header=BB259_2079 Depth=1
	s_or_b32 exec_lo, exec_lo, s17
.LBB259_3369:                           ;   in Loop: Header=BB259_2079 Depth=1
	s_or_b32 exec_lo, exec_lo, s15
	v_or_b32_e32 v4, v23, v21
	v_or_b32_e32 v5, v22, v20
	;; [unrolled: 1-line block ×4, first 2 shown]
	v_mul_f32_e32 v4, v93, v4
	buffer_store_dword v4, off, s[0:3], s32 offset:1408 ; 4-byte Folded Spill
	v_mul_f32_e32 v4, v73, v5
	buffer_store_dword v4, off, s[0:3], s32 offset:1400 ; 4-byte Folded Spill
	;; [unrolled: 2-line block ×4, first 2 shown]
	s_and_saveexec_b32 s8, s6
	s_cbranch_execz .LBB259_3371
; %bb.3370:                             ;   in Loop: Header=BB259_2079 Depth=1
	buffer_load_dword v4, off, s[0:3], s32 offset:1400 ; 4-byte Folded Reload
	s_waitcnt vmcnt(0)
	v_cndmask_b32_e32 v4, 0, v4, vcc_lo
	buffer_store_dword v4, off, s[0:3], s32 offset:1400 ; 4-byte Folded Spill
	buffer_load_dword v4, off, s[0:3], s32 offset:1408 ; 4-byte Folded Reload
	s_waitcnt vmcnt(0)
	v_cndmask_b32_e64 v4, 0, v4, s4
	buffer_store_dword v4, off, s[0:3], s32 offset:1408 ; 4-byte Folded Spill
	buffer_load_dword v4, off, s[0:3], s32 offset:1392 ; 4-byte Folded Reload
	s_waitcnt vmcnt(0)
	v_cndmask_b32_e64 v4, 0, v4, s5
	;; [unrolled: 4-line block ×3, first 2 shown]
	buffer_store_dword v4, off, s[0:3], s32 offset:1384 ; 4-byte Folded Spill
.LBB259_3371:                           ;   in Loop: Header=BB259_2079 Depth=1
	s_or_b32 exec_lo, exec_lo, s8
	flat_load_dword v4, v[18:19] offset:768
	v_mov_b32_e32 v22, 0
	v_mov_b32_e32 v20, 0
	;; [unrolled: 1-line block ×4, first 2 shown]
	s_waitcnt vmcnt(0) lgkmcnt(0)
	v_cmp_ne_u16_sdwa s8, v4, v7 src0_sel:BYTE_0 src1_sel:DWORD
	s_and_saveexec_b32 s15, s8
	s_cbranch_execz .LBB259_3379
; %bb.3372:                             ;   in Loop: Header=BB259_2079 Depth=1
	v_bfrev_b32_e32 v20, 1
	v_mov_b32_e32 v21, 0
	v_cmp_ne_u16_sdwa s8, v4, v75 src0_sel:BYTE_0 src1_sel:DWORD
	s_and_saveexec_b32 s17, s8
	s_cbranch_execz .LBB259_3378
; %bb.3373:                             ;   in Loop: Header=BB259_2079 Depth=1
	v_mov_b32_e32 v20, 0x7f800001
	v_and_b32_e32 v8, 0x7f, v4
	v_mov_b32_e32 v21, 0
	s_mov_b32 s21, exec_lo
	v_cmpx_ne_u32_e32 0x7f, v8
	s_cbranch_execz .LBB259_3377
; %bb.3374:                             ;   in Loop: Header=BB259_2079 Depth=1
	v_and_b32_e32 v6, 7, v4
	v_mov_b32_e32 v21, v7
	v_lshrrev_b32_e32 v5, 3, v8
	s_mov_b32 s22, exec_lo
	v_mov_b32_e32 v20, v6
	v_cmpx_gt_u32_e32 8, v8
; %bb.3375:                             ;   in Loop: Header=BB259_2079 Depth=1
	v_ffbh_u32_e32 v5, v6
	v_min_u32_e32 v5, 32, v5
	v_subrev_nc_u32_e32 v8, 28, v5
	v_sub_nc_u32_e32 v5, 29, v5
	v_lshlrev_b64 v[20:21], v8, v[6:7]
	v_and_b32_e32 v20, 7, v20
; %bb.3376:                             ;   in Loop: Header=BB259_2079 Depth=1
	s_or_b32 exec_lo, exec_lo, s22
	v_lshlrev_b32_e32 v6, 24, v4
	v_lshlrev_b32_e32 v8, 20, v20
	v_lshl_add_u32 v5, v5, 23, 0x3c000000
	v_and_b32_e32 v6, 0x80000000, v6
	v_or3_b32 v6, v8, v6, v5
	v_mov_b32_e32 v21, v7
	v_mov_b32_e32 v20, v6
.LBB259_3377:                           ;   in Loop: Header=BB259_2079 Depth=1
	s_or_b32 exec_lo, exec_lo, s21
.LBB259_3378:                           ;   in Loop: Header=BB259_2079 Depth=1
	s_or_b32 exec_lo, exec_lo, s17
.LBB259_3379:                           ;   in Loop: Header=BB259_2079 Depth=1
	s_or_b32 exec_lo, exec_lo, s15
	v_cmp_ne_u16_sdwa s8, v4, v7 src0_sel:BYTE_1 src1_sel:DWORD
	s_and_saveexec_b32 s15, s8
	s_cbranch_execz .LBB259_3387
; %bb.3380:                             ;   in Loop: Header=BB259_2079 Depth=1
	v_mov_b32_e32 v8, v7
	v_mov_b32_e32 v23, v9
	v_cmp_ne_u16_sdwa s8, v4, v75 src0_sel:BYTE_1 src1_sel:DWORD
	v_mov_b32_e32 v22, v8
	s_and_saveexec_b32 s17, s8
	s_cbranch_execz .LBB259_3386
; %bb.3381:                             ;   in Loop: Header=BB259_2079 Depth=1
	v_and_b32_sdwa v5, v76, v4 dst_sel:DWORD dst_unused:UNUSED_PAD src0_sel:DWORD src1_sel:BYTE_1
	v_mov_b32_e32 v10, v7
	v_mov_b32_e32 v23, v11
	s_mov_b32 s21, exec_lo
	v_and_b32_e32 v8, 0x7f, v5
	v_mov_b32_e32 v22, v10
	v_cmpx_ne_u32_e32 0x7f, v8
	s_cbranch_execz .LBB259_3385
; %bb.3382:                             ;   in Loop: Header=BB259_2079 Depth=1
	v_and_b32_e32 v6, 7, v5
	v_mov_b32_e32 v23, v7
	v_lshrrev_b32_e32 v5, 3, v8
	s_mov_b32 s22, exec_lo
	v_mov_b32_e32 v22, v6
	v_cmpx_gt_u32_e32 8, v8
; %bb.3383:                             ;   in Loop: Header=BB259_2079 Depth=1
	v_ffbh_u32_e32 v5, v6
	v_min_u32_e32 v5, 32, v5
	v_subrev_nc_u32_e32 v8, 28, v5
	v_sub_nc_u32_e32 v5, 29, v5
	v_lshlrev_b64 v[22:23], v8, v[6:7]
	v_and_b32_e32 v22, 7, v22
; %bb.3384:                             ;   in Loop: Header=BB259_2079 Depth=1
	s_or_b32 exec_lo, exec_lo, s22
	v_lshlrev_b32_e32 v6, 16, v4
	v_lshlrev_b32_e32 v8, 20, v22
	v_lshl_add_u32 v5, v5, 23, 0x3c000000
	v_mov_b32_e32 v22, v7
	v_and_b32_e32 v6, 0x80000000, v6
	v_or3_b32 v23, v8, v6, v5
.LBB259_3385:                           ;   in Loop: Header=BB259_2079 Depth=1
	s_or_b32 exec_lo, exec_lo, s21
.LBB259_3386:                           ;   in Loop: Header=BB259_2079 Depth=1
	s_or_b32 exec_lo, exec_lo, s17
.LBB259_3387:                           ;   in Loop: Header=BB259_2079 Depth=1
	s_or_b32 exec_lo, exec_lo, s15
	v_mov_b32_e32 v24, 0
	v_mov_b32_e32 v26, 0
	v_and_b32_sdwa v5, v4, v77 dst_sel:DWORD dst_unused:UNUSED_PAD src0_sel:WORD_1 src1_sel:DWORD
	v_mov_b32_e32 v25, 0
	v_mov_b32_e32 v27, 0
	s_mov_b32 s15, exec_lo
	v_cmpx_ne_u16_e32 0, v5
	s_cbranch_execz .LBB259_3395
; %bb.3388:                             ;   in Loop: Header=BB259_2079 Depth=1
	v_bfrev_b32_e32 v26, 1
	v_mov_b32_e32 v27, 0
	s_mov_b32 s17, exec_lo
	v_cmpx_ne_u16_e32 0x80, v5
	s_cbranch_execz .LBB259_3394
; %bb.3389:                             ;   in Loop: Header=BB259_2079 Depth=1
	v_mov_b32_e32 v26, 0x7f800001
	v_bfe_u32 v8, v4, 16, 7
	v_mov_b32_e32 v27, 0
	s_mov_b32 s21, exec_lo
	v_cmpx_ne_u32_e32 0x7f, v8
	s_cbranch_execz .LBB259_3393
; %bb.3390:                             ;   in Loop: Header=BB259_2079 Depth=1
	v_and_b32_sdwa v6, v4, v78 dst_sel:DWORD dst_unused:UNUSED_PAD src0_sel:WORD_1 src1_sel:DWORD
	v_mov_b32_e32 v27, v7
	v_lshrrev_b32_e32 v5, 3, v8
	s_mov_b32 s22, exec_lo
	v_mov_b32_e32 v26, v6
	v_cmpx_gt_u32_e32 8, v8
; %bb.3391:                             ;   in Loop: Header=BB259_2079 Depth=1
	v_ffbh_u32_e32 v5, v6
	v_min_u32_e32 v5, 32, v5
	v_subrev_nc_u32_e32 v8, 28, v5
	v_sub_nc_u32_e32 v5, 29, v5
	v_lshlrev_b64 v[26:27], v8, v[6:7]
	v_and_b32_e32 v26, 7, v26
; %bb.3392:                             ;   in Loop: Header=BB259_2079 Depth=1
	s_or_b32 exec_lo, exec_lo, s22
	v_lshlrev_b32_sdwa v6, v79, v4 dst_sel:DWORD dst_unused:UNUSED_PAD src0_sel:DWORD src1_sel:WORD_1
	v_lshlrev_b32_e32 v8, 20, v26
	v_lshl_add_u32 v5, v5, 23, 0x3c000000
	v_and_b32_e32 v6, 0x80000000, v6
	v_or3_b32 v6, v8, v6, v5
	v_mov_b32_e32 v27, v7
	v_mov_b32_e32 v26, v6
.LBB259_3393:                           ;   in Loop: Header=BB259_2079 Depth=1
	s_or_b32 exec_lo, exec_lo, s21
.LBB259_3394:                           ;   in Loop: Header=BB259_2079 Depth=1
	s_or_b32 exec_lo, exec_lo, s17
.LBB259_3395:                           ;   in Loop: Header=BB259_2079 Depth=1
	s_or_b32 exec_lo, exec_lo, s15
	s_mov_b32 s15, exec_lo
	v_cmpx_lt_u32_e32 0xffffff, v4
	s_cbranch_execz .LBB259_3403
; %bb.3396:                             ;   in Loop: Header=BB259_2079 Depth=1
	v_mov_b32_e32 v8, v7
	v_mov_b32_e32 v25, v9
	v_cmp_ne_u32_sdwa s8, v4, v75 src0_sel:BYTE_3 src1_sel:DWORD
	v_mov_b32_e32 v24, v8
	s_and_saveexec_b32 s17, s8
	s_cbranch_execz .LBB259_3402
; %bb.3397:                             ;   in Loop: Header=BB259_2079 Depth=1
	v_mov_b32_e32 v10, v7
	v_mov_b32_e32 v25, v11
	v_bfe_u32 v8, v4, 24, 7
	s_mov_b32 s21, exec_lo
	v_mov_b32_e32 v24, v10
	v_cmpx_ne_u32_e32 0x7f, v8
	s_cbranch_execz .LBB259_3401
; %bb.3398:                             ;   in Loop: Header=BB259_2079 Depth=1
	v_and_b32_sdwa v6, v4, v78 dst_sel:DWORD dst_unused:UNUSED_PAD src0_sel:BYTE_3 src1_sel:DWORD
	v_mov_b32_e32 v25, v7
	v_lshrrev_b32_e32 v5, 3, v8
	s_mov_b32 s22, exec_lo
	v_mov_b32_e32 v24, v6
	v_cmpx_gt_u32_e32 8, v8
; %bb.3399:                             ;   in Loop: Header=BB259_2079 Depth=1
	v_ffbh_u32_e32 v5, v6
	v_min_u32_e32 v5, 32, v5
	v_subrev_nc_u32_e32 v8, 28, v5
	v_sub_nc_u32_e32 v5, 29, v5
	v_lshlrev_b64 v[24:25], v8, v[6:7]
	v_and_b32_e32 v24, 7, v24
; %bb.3400:                             ;   in Loop: Header=BB259_2079 Depth=1
	s_or_b32 exec_lo, exec_lo, s22
	v_lshlrev_b32_sdwa v4, v79, v4 dst_sel:DWORD dst_unused:UNUSED_PAD src0_sel:DWORD src1_sel:BYTE_3
	v_lshlrev_b32_e32 v6, 20, v24
	v_lshl_add_u32 v5, v5, 23, 0x3c000000
	v_mov_b32_e32 v24, v7
	v_and_b32_e32 v4, 0x80000000, v4
	v_or3_b32 v25, v6, v4, v5
.LBB259_3401:                           ;   in Loop: Header=BB259_2079 Depth=1
	s_or_b32 exec_lo, exec_lo, s21
.LBB259_3402:                           ;   in Loop: Header=BB259_2079 Depth=1
	s_or_b32 exec_lo, exec_lo, s17
.LBB259_3403:                           ;   in Loop: Header=BB259_2079 Depth=1
	s_or_b32 exec_lo, exec_lo, s15
	v_or_b32_e32 v4, v23, v21
	v_or_b32_e32 v5, v22, v20
	;; [unrolled: 1-line block ×4, first 2 shown]
	v_mul_f32_e32 v34, v93, v4
	v_mul_f32_e32 v4, v73, v5
	buffer_store_dword v4, off, s[0:3], s32 offset:1432 ; 4-byte Folded Spill
	v_mul_f32_e32 v4, v73, v6
	buffer_store_dword v4, off, s[0:3], s32 offset:1424 ; 4-byte Folded Spill
	;; [unrolled: 2-line block ×3, first 2 shown]
	s_and_saveexec_b32 s8, s6
	s_cbranch_execz .LBB259_3405
; %bb.3404:                             ;   in Loop: Header=BB259_2079 Depth=1
	buffer_load_dword v4, off, s[0:3], s32 offset:1432 ; 4-byte Folded Reload
	v_cndmask_b32_e64 v34, 0, v34, s4
	s_waitcnt vmcnt(0)
	v_cndmask_b32_e32 v4, 0, v4, vcc_lo
	buffer_store_dword v4, off, s[0:3], s32 offset:1432 ; 4-byte Folded Spill
	buffer_load_dword v4, off, s[0:3], s32 offset:1424 ; 4-byte Folded Reload
	s_waitcnt vmcnt(0)
	v_cndmask_b32_e64 v4, 0, v4, s5
	buffer_store_dword v4, off, s[0:3], s32 offset:1424 ; 4-byte Folded Spill
	buffer_load_dword v4, off, s[0:3], s32 offset:1416 ; 4-byte Folded Reload
	s_waitcnt vmcnt(0)
	v_cndmask_b32_e64 v4, 0, v4, s7
	buffer_store_dword v4, off, s[0:3], s32 offset:1416 ; 4-byte Folded Spill
.LBB259_3405:                           ;   in Loop: Header=BB259_2079 Depth=1
	s_or_b32 exec_lo, exec_lo, s8
	flat_load_dword v4, v[18:19] offset:896
	v_mov_b32_e32 v22, 0
	v_mov_b32_e32 v20, 0
	;; [unrolled: 1-line block ×4, first 2 shown]
	s_waitcnt vmcnt(0) lgkmcnt(0)
	v_cmp_ne_u16_sdwa s8, v4, v7 src0_sel:BYTE_0 src1_sel:DWORD
	s_and_saveexec_b32 s15, s8
	s_cbranch_execz .LBB259_3413
; %bb.3406:                             ;   in Loop: Header=BB259_2079 Depth=1
	v_bfrev_b32_e32 v20, 1
	v_mov_b32_e32 v21, 0
	v_cmp_ne_u16_sdwa s8, v4, v75 src0_sel:BYTE_0 src1_sel:DWORD
	s_and_saveexec_b32 s17, s8
	s_cbranch_execz .LBB259_3412
; %bb.3407:                             ;   in Loop: Header=BB259_2079 Depth=1
	v_mov_b32_e32 v20, 0x7f800001
	v_and_b32_e32 v8, 0x7f, v4
	v_mov_b32_e32 v21, 0
	s_mov_b32 s21, exec_lo
	v_cmpx_ne_u32_e32 0x7f, v8
	s_cbranch_execz .LBB259_3411
; %bb.3408:                             ;   in Loop: Header=BB259_2079 Depth=1
	v_and_b32_e32 v6, 7, v4
	v_mov_b32_e32 v21, v7
	v_lshrrev_b32_e32 v5, 3, v8
	s_mov_b32 s22, exec_lo
	v_mov_b32_e32 v20, v6
	v_cmpx_gt_u32_e32 8, v8
; %bb.3409:                             ;   in Loop: Header=BB259_2079 Depth=1
	v_ffbh_u32_e32 v5, v6
	v_min_u32_e32 v5, 32, v5
	v_subrev_nc_u32_e32 v8, 28, v5
	v_sub_nc_u32_e32 v5, 29, v5
	v_lshlrev_b64 v[20:21], v8, v[6:7]
	v_and_b32_e32 v20, 7, v20
; %bb.3410:                             ;   in Loop: Header=BB259_2079 Depth=1
	s_or_b32 exec_lo, exec_lo, s22
	v_lshlrev_b32_e32 v6, 24, v4
	v_lshlrev_b32_e32 v8, 20, v20
	v_lshl_add_u32 v5, v5, 23, 0x3c000000
	v_and_b32_e32 v6, 0x80000000, v6
	v_or3_b32 v6, v8, v6, v5
	v_mov_b32_e32 v21, v7
	v_mov_b32_e32 v20, v6
.LBB259_3411:                           ;   in Loop: Header=BB259_2079 Depth=1
	s_or_b32 exec_lo, exec_lo, s21
.LBB259_3412:                           ;   in Loop: Header=BB259_2079 Depth=1
	s_or_b32 exec_lo, exec_lo, s17
.LBB259_3413:                           ;   in Loop: Header=BB259_2079 Depth=1
	s_or_b32 exec_lo, exec_lo, s15
	v_cmp_ne_u16_sdwa s8, v4, v7 src0_sel:BYTE_1 src1_sel:DWORD
	s_and_saveexec_b32 s15, s8
	s_cbranch_execz .LBB259_3421
; %bb.3414:                             ;   in Loop: Header=BB259_2079 Depth=1
	v_mov_b32_e32 v8, v7
	v_mov_b32_e32 v23, v9
	v_cmp_ne_u16_sdwa s8, v4, v75 src0_sel:BYTE_1 src1_sel:DWORD
	v_mov_b32_e32 v22, v8
	s_and_saveexec_b32 s17, s8
	s_cbranch_execz .LBB259_3420
; %bb.3415:                             ;   in Loop: Header=BB259_2079 Depth=1
	v_and_b32_sdwa v5, v76, v4 dst_sel:DWORD dst_unused:UNUSED_PAD src0_sel:DWORD src1_sel:BYTE_1
	v_mov_b32_e32 v10, v7
	v_mov_b32_e32 v23, v11
	s_mov_b32 s21, exec_lo
	v_and_b32_e32 v8, 0x7f, v5
	v_mov_b32_e32 v22, v10
	v_cmpx_ne_u32_e32 0x7f, v8
	s_cbranch_execz .LBB259_3419
; %bb.3416:                             ;   in Loop: Header=BB259_2079 Depth=1
	v_and_b32_e32 v6, 7, v5
	v_mov_b32_e32 v23, v7
	v_lshrrev_b32_e32 v5, 3, v8
	s_mov_b32 s22, exec_lo
	v_mov_b32_e32 v22, v6
	v_cmpx_gt_u32_e32 8, v8
; %bb.3417:                             ;   in Loop: Header=BB259_2079 Depth=1
	v_ffbh_u32_e32 v5, v6
	v_min_u32_e32 v5, 32, v5
	v_subrev_nc_u32_e32 v8, 28, v5
	v_sub_nc_u32_e32 v5, 29, v5
	v_lshlrev_b64 v[22:23], v8, v[6:7]
	v_and_b32_e32 v22, 7, v22
; %bb.3418:                             ;   in Loop: Header=BB259_2079 Depth=1
	s_or_b32 exec_lo, exec_lo, s22
	v_lshlrev_b32_e32 v6, 16, v4
	v_lshlrev_b32_e32 v8, 20, v22
	v_lshl_add_u32 v5, v5, 23, 0x3c000000
	v_mov_b32_e32 v22, v7
	v_and_b32_e32 v6, 0x80000000, v6
	v_or3_b32 v23, v8, v6, v5
.LBB259_3419:                           ;   in Loop: Header=BB259_2079 Depth=1
	s_or_b32 exec_lo, exec_lo, s21
.LBB259_3420:                           ;   in Loop: Header=BB259_2079 Depth=1
	s_or_b32 exec_lo, exec_lo, s17
.LBB259_3421:                           ;   in Loop: Header=BB259_2079 Depth=1
	s_or_b32 exec_lo, exec_lo, s15
	v_mov_b32_e32 v24, 0
	v_mov_b32_e32 v26, 0
	v_and_b32_sdwa v5, v4, v77 dst_sel:DWORD dst_unused:UNUSED_PAD src0_sel:WORD_1 src1_sel:DWORD
	v_mov_b32_e32 v25, 0
	v_mov_b32_e32 v27, 0
	s_mov_b32 s15, exec_lo
	v_cmpx_ne_u16_e32 0, v5
	s_cbranch_execz .LBB259_3429
; %bb.3422:                             ;   in Loop: Header=BB259_2079 Depth=1
	v_bfrev_b32_e32 v26, 1
	v_mov_b32_e32 v27, 0
	s_mov_b32 s17, exec_lo
	v_cmpx_ne_u16_e32 0x80, v5
	s_cbranch_execz .LBB259_3428
; %bb.3423:                             ;   in Loop: Header=BB259_2079 Depth=1
	v_mov_b32_e32 v26, 0x7f800001
	v_bfe_u32 v8, v4, 16, 7
	v_mov_b32_e32 v27, 0
	s_mov_b32 s21, exec_lo
	v_cmpx_ne_u32_e32 0x7f, v8
	s_cbranch_execz .LBB259_3427
; %bb.3424:                             ;   in Loop: Header=BB259_2079 Depth=1
	v_and_b32_sdwa v6, v4, v78 dst_sel:DWORD dst_unused:UNUSED_PAD src0_sel:WORD_1 src1_sel:DWORD
	v_mov_b32_e32 v27, v7
	v_lshrrev_b32_e32 v5, 3, v8
	s_mov_b32 s22, exec_lo
	v_mov_b32_e32 v26, v6
	v_cmpx_gt_u32_e32 8, v8
; %bb.3425:                             ;   in Loop: Header=BB259_2079 Depth=1
	v_ffbh_u32_e32 v5, v6
	v_min_u32_e32 v5, 32, v5
	v_subrev_nc_u32_e32 v8, 28, v5
	v_sub_nc_u32_e32 v5, 29, v5
	v_lshlrev_b64 v[26:27], v8, v[6:7]
	v_and_b32_e32 v26, 7, v26
; %bb.3426:                             ;   in Loop: Header=BB259_2079 Depth=1
	s_or_b32 exec_lo, exec_lo, s22
	v_lshlrev_b32_sdwa v6, v79, v4 dst_sel:DWORD dst_unused:UNUSED_PAD src0_sel:DWORD src1_sel:WORD_1
	v_lshlrev_b32_e32 v8, 20, v26
	v_lshl_add_u32 v5, v5, 23, 0x3c000000
	v_and_b32_e32 v6, 0x80000000, v6
	v_or3_b32 v6, v8, v6, v5
	v_mov_b32_e32 v27, v7
	v_mov_b32_e32 v26, v6
.LBB259_3427:                           ;   in Loop: Header=BB259_2079 Depth=1
	s_or_b32 exec_lo, exec_lo, s21
.LBB259_3428:                           ;   in Loop: Header=BB259_2079 Depth=1
	s_or_b32 exec_lo, exec_lo, s17
.LBB259_3429:                           ;   in Loop: Header=BB259_2079 Depth=1
	s_or_b32 exec_lo, exec_lo, s15
	s_mov_b32 s15, exec_lo
	v_cmpx_lt_u32_e32 0xffffff, v4
	s_cbranch_execz .LBB259_3437
; %bb.3430:                             ;   in Loop: Header=BB259_2079 Depth=1
	v_mov_b32_e32 v8, v7
	v_mov_b32_e32 v25, v9
	v_cmp_ne_u32_sdwa s8, v4, v75 src0_sel:BYTE_3 src1_sel:DWORD
	v_mov_b32_e32 v24, v8
	s_and_saveexec_b32 s17, s8
	s_cbranch_execz .LBB259_3436
; %bb.3431:                             ;   in Loop: Header=BB259_2079 Depth=1
	v_mov_b32_e32 v10, v7
	v_mov_b32_e32 v25, v11
	v_bfe_u32 v8, v4, 24, 7
	s_mov_b32 s21, exec_lo
	v_mov_b32_e32 v24, v10
	v_cmpx_ne_u32_e32 0x7f, v8
	s_cbranch_execz .LBB259_3435
; %bb.3432:                             ;   in Loop: Header=BB259_2079 Depth=1
	v_and_b32_sdwa v6, v4, v78 dst_sel:DWORD dst_unused:UNUSED_PAD src0_sel:BYTE_3 src1_sel:DWORD
	v_mov_b32_e32 v25, v7
	v_lshrrev_b32_e32 v5, 3, v8
	s_mov_b32 s22, exec_lo
	v_mov_b32_e32 v24, v6
	v_cmpx_gt_u32_e32 8, v8
; %bb.3433:                             ;   in Loop: Header=BB259_2079 Depth=1
	v_ffbh_u32_e32 v5, v6
	v_min_u32_e32 v5, 32, v5
	v_subrev_nc_u32_e32 v8, 28, v5
	v_sub_nc_u32_e32 v5, 29, v5
	v_lshlrev_b64 v[24:25], v8, v[6:7]
	v_and_b32_e32 v24, 7, v24
; %bb.3434:                             ;   in Loop: Header=BB259_2079 Depth=1
	s_or_b32 exec_lo, exec_lo, s22
	v_lshlrev_b32_sdwa v4, v79, v4 dst_sel:DWORD dst_unused:UNUSED_PAD src0_sel:DWORD src1_sel:BYTE_3
	v_lshlrev_b32_e32 v6, 20, v24
	v_lshl_add_u32 v5, v5, 23, 0x3c000000
	v_mov_b32_e32 v24, v7
	v_and_b32_e32 v4, 0x80000000, v4
	v_or3_b32 v25, v6, v4, v5
.LBB259_3435:                           ;   in Loop: Header=BB259_2079 Depth=1
	s_or_b32 exec_lo, exec_lo, s21
.LBB259_3436:                           ;   in Loop: Header=BB259_2079 Depth=1
	s_or_b32 exec_lo, exec_lo, s17
.LBB259_3437:                           ;   in Loop: Header=BB259_2079 Depth=1
	s_or_b32 exec_lo, exec_lo, s15
	v_or_b32_e32 v4, v23, v21
	v_or_b32_e32 v5, v22, v20
	;; [unrolled: 1-line block ×4, first 2 shown]
	v_mul_f32_e32 v38, v93, v4
	v_mul_f32_e32 v37, v73, v5
	;; [unrolled: 1-line block ×4, first 2 shown]
	s_and_saveexec_b32 s8, s6
; %bb.3438:                             ;   in Loop: Header=BB259_2079 Depth=1
	v_cndmask_b32_e32 v37, 0, v37, vcc_lo
	v_cndmask_b32_e64 v38, 0, v38, s4
	v_cndmask_b32_e64 v36, 0, v36, s5
	;; [unrolled: 1-line block ×3, first 2 shown]
; %bb.3439:                             ;   in Loop: Header=BB259_2079 Depth=1
	s_or_b32 exec_lo, exec_lo, s8
	flat_load_dword v4, v[18:19] offset:1024
	v_mov_b32_e32 v22, 0
	v_mov_b32_e32 v20, 0
	;; [unrolled: 1-line block ×4, first 2 shown]
	s_waitcnt vmcnt(0) lgkmcnt(0)
	v_cmp_ne_u16_sdwa s8, v4, v7 src0_sel:BYTE_0 src1_sel:DWORD
	s_and_saveexec_b32 s15, s8
	s_cbranch_execz .LBB259_3447
; %bb.3440:                             ;   in Loop: Header=BB259_2079 Depth=1
	v_bfrev_b32_e32 v20, 1
	v_mov_b32_e32 v21, 0
	v_cmp_ne_u16_sdwa s8, v4, v75 src0_sel:BYTE_0 src1_sel:DWORD
	s_and_saveexec_b32 s17, s8
	s_cbranch_execz .LBB259_3446
; %bb.3441:                             ;   in Loop: Header=BB259_2079 Depth=1
	v_mov_b32_e32 v20, 0x7f800001
	v_and_b32_e32 v8, 0x7f, v4
	v_mov_b32_e32 v21, 0
	s_mov_b32 s21, exec_lo
	v_cmpx_ne_u32_e32 0x7f, v8
	s_cbranch_execz .LBB259_3445
; %bb.3442:                             ;   in Loop: Header=BB259_2079 Depth=1
	v_and_b32_e32 v6, 7, v4
	v_mov_b32_e32 v21, v7
	v_lshrrev_b32_e32 v5, 3, v8
	s_mov_b32 s22, exec_lo
	v_mov_b32_e32 v20, v6
	v_cmpx_gt_u32_e32 8, v8
; %bb.3443:                             ;   in Loop: Header=BB259_2079 Depth=1
	v_ffbh_u32_e32 v5, v6
	v_min_u32_e32 v5, 32, v5
	v_subrev_nc_u32_e32 v8, 28, v5
	v_sub_nc_u32_e32 v5, 29, v5
	v_lshlrev_b64 v[20:21], v8, v[6:7]
	v_and_b32_e32 v20, 7, v20
; %bb.3444:                             ;   in Loop: Header=BB259_2079 Depth=1
	s_or_b32 exec_lo, exec_lo, s22
	v_lshlrev_b32_e32 v6, 24, v4
	v_lshlrev_b32_e32 v8, 20, v20
	v_lshl_add_u32 v5, v5, 23, 0x3c000000
	v_and_b32_e32 v6, 0x80000000, v6
	v_or3_b32 v6, v8, v6, v5
	v_mov_b32_e32 v21, v7
	v_mov_b32_e32 v20, v6
.LBB259_3445:                           ;   in Loop: Header=BB259_2079 Depth=1
	s_or_b32 exec_lo, exec_lo, s21
.LBB259_3446:                           ;   in Loop: Header=BB259_2079 Depth=1
	s_or_b32 exec_lo, exec_lo, s17
.LBB259_3447:                           ;   in Loop: Header=BB259_2079 Depth=1
	s_or_b32 exec_lo, exec_lo, s15
	v_cmp_ne_u16_sdwa s8, v4, v7 src0_sel:BYTE_1 src1_sel:DWORD
	s_and_saveexec_b32 s15, s8
	s_cbranch_execz .LBB259_3455
; %bb.3448:                             ;   in Loop: Header=BB259_2079 Depth=1
	v_mov_b32_e32 v8, v7
	v_mov_b32_e32 v23, v9
	v_cmp_ne_u16_sdwa s8, v4, v75 src0_sel:BYTE_1 src1_sel:DWORD
	v_mov_b32_e32 v22, v8
	s_and_saveexec_b32 s17, s8
	s_cbranch_execz .LBB259_3454
; %bb.3449:                             ;   in Loop: Header=BB259_2079 Depth=1
	v_and_b32_sdwa v5, v76, v4 dst_sel:DWORD dst_unused:UNUSED_PAD src0_sel:DWORD src1_sel:BYTE_1
	v_mov_b32_e32 v10, v7
	v_mov_b32_e32 v23, v11
	s_mov_b32 s21, exec_lo
	v_and_b32_e32 v8, 0x7f, v5
	v_mov_b32_e32 v22, v10
	v_cmpx_ne_u32_e32 0x7f, v8
	s_cbranch_execz .LBB259_3453
; %bb.3450:                             ;   in Loop: Header=BB259_2079 Depth=1
	v_and_b32_e32 v6, 7, v5
	v_mov_b32_e32 v23, v7
	v_lshrrev_b32_e32 v5, 3, v8
	s_mov_b32 s22, exec_lo
	v_mov_b32_e32 v22, v6
	v_cmpx_gt_u32_e32 8, v8
; %bb.3451:                             ;   in Loop: Header=BB259_2079 Depth=1
	v_ffbh_u32_e32 v5, v6
	v_min_u32_e32 v5, 32, v5
	v_subrev_nc_u32_e32 v8, 28, v5
	v_sub_nc_u32_e32 v5, 29, v5
	v_lshlrev_b64 v[22:23], v8, v[6:7]
	v_and_b32_e32 v22, 7, v22
; %bb.3452:                             ;   in Loop: Header=BB259_2079 Depth=1
	s_or_b32 exec_lo, exec_lo, s22
	v_lshlrev_b32_e32 v6, 16, v4
	v_lshlrev_b32_e32 v8, 20, v22
	v_lshl_add_u32 v5, v5, 23, 0x3c000000
	v_mov_b32_e32 v22, v7
	v_and_b32_e32 v6, 0x80000000, v6
	v_or3_b32 v23, v8, v6, v5
.LBB259_3453:                           ;   in Loop: Header=BB259_2079 Depth=1
	s_or_b32 exec_lo, exec_lo, s21
.LBB259_3454:                           ;   in Loop: Header=BB259_2079 Depth=1
	s_or_b32 exec_lo, exec_lo, s17
.LBB259_3455:                           ;   in Loop: Header=BB259_2079 Depth=1
	s_or_b32 exec_lo, exec_lo, s15
	v_mov_b32_e32 v24, 0
	v_mov_b32_e32 v26, 0
	v_and_b32_sdwa v5, v4, v77 dst_sel:DWORD dst_unused:UNUSED_PAD src0_sel:WORD_1 src1_sel:DWORD
	v_mov_b32_e32 v25, 0
	v_mov_b32_e32 v27, 0
	s_mov_b32 s15, exec_lo
	v_cmpx_ne_u16_e32 0, v5
	s_cbranch_execz .LBB259_3463
; %bb.3456:                             ;   in Loop: Header=BB259_2079 Depth=1
	v_bfrev_b32_e32 v26, 1
	v_mov_b32_e32 v27, 0
	s_mov_b32 s17, exec_lo
	v_cmpx_ne_u16_e32 0x80, v5
	s_cbranch_execz .LBB259_3462
; %bb.3457:                             ;   in Loop: Header=BB259_2079 Depth=1
	v_mov_b32_e32 v26, 0x7f800001
	v_bfe_u32 v8, v4, 16, 7
	v_mov_b32_e32 v27, 0
	s_mov_b32 s21, exec_lo
	v_cmpx_ne_u32_e32 0x7f, v8
	s_cbranch_execz .LBB259_3461
; %bb.3458:                             ;   in Loop: Header=BB259_2079 Depth=1
	v_and_b32_sdwa v6, v4, v78 dst_sel:DWORD dst_unused:UNUSED_PAD src0_sel:WORD_1 src1_sel:DWORD
	v_mov_b32_e32 v27, v7
	v_lshrrev_b32_e32 v5, 3, v8
	s_mov_b32 s22, exec_lo
	v_mov_b32_e32 v26, v6
	v_cmpx_gt_u32_e32 8, v8
; %bb.3459:                             ;   in Loop: Header=BB259_2079 Depth=1
	v_ffbh_u32_e32 v5, v6
	v_min_u32_e32 v5, 32, v5
	v_subrev_nc_u32_e32 v8, 28, v5
	v_sub_nc_u32_e32 v5, 29, v5
	v_lshlrev_b64 v[26:27], v8, v[6:7]
	v_and_b32_e32 v26, 7, v26
; %bb.3460:                             ;   in Loop: Header=BB259_2079 Depth=1
	s_or_b32 exec_lo, exec_lo, s22
	v_lshlrev_b32_sdwa v6, v79, v4 dst_sel:DWORD dst_unused:UNUSED_PAD src0_sel:DWORD src1_sel:WORD_1
	v_lshlrev_b32_e32 v8, 20, v26
	v_lshl_add_u32 v5, v5, 23, 0x3c000000
	v_and_b32_e32 v6, 0x80000000, v6
	v_or3_b32 v6, v8, v6, v5
	v_mov_b32_e32 v27, v7
	v_mov_b32_e32 v26, v6
.LBB259_3461:                           ;   in Loop: Header=BB259_2079 Depth=1
	s_or_b32 exec_lo, exec_lo, s21
.LBB259_3462:                           ;   in Loop: Header=BB259_2079 Depth=1
	s_or_b32 exec_lo, exec_lo, s17
.LBB259_3463:                           ;   in Loop: Header=BB259_2079 Depth=1
	s_or_b32 exec_lo, exec_lo, s15
	s_mov_b32 s15, exec_lo
	v_cmpx_lt_u32_e32 0xffffff, v4
	s_cbranch_execz .LBB259_3471
; %bb.3464:                             ;   in Loop: Header=BB259_2079 Depth=1
	v_mov_b32_e32 v8, v7
	v_mov_b32_e32 v25, v9
	v_cmp_ne_u32_sdwa s8, v4, v75 src0_sel:BYTE_3 src1_sel:DWORD
	v_mov_b32_e32 v24, v8
	s_and_saveexec_b32 s17, s8
	s_cbranch_execz .LBB259_3470
; %bb.3465:                             ;   in Loop: Header=BB259_2079 Depth=1
	v_mov_b32_e32 v10, v7
	v_mov_b32_e32 v25, v11
	v_bfe_u32 v8, v4, 24, 7
	s_mov_b32 s21, exec_lo
	v_mov_b32_e32 v24, v10
	v_cmpx_ne_u32_e32 0x7f, v8
	s_cbranch_execz .LBB259_3469
; %bb.3466:                             ;   in Loop: Header=BB259_2079 Depth=1
	v_and_b32_sdwa v6, v4, v78 dst_sel:DWORD dst_unused:UNUSED_PAD src0_sel:BYTE_3 src1_sel:DWORD
	v_mov_b32_e32 v25, v7
	v_lshrrev_b32_e32 v5, 3, v8
	s_mov_b32 s22, exec_lo
	v_mov_b32_e32 v24, v6
	v_cmpx_gt_u32_e32 8, v8
; %bb.3467:                             ;   in Loop: Header=BB259_2079 Depth=1
	v_ffbh_u32_e32 v5, v6
	v_min_u32_e32 v5, 32, v5
	v_subrev_nc_u32_e32 v8, 28, v5
	v_sub_nc_u32_e32 v5, 29, v5
	v_lshlrev_b64 v[24:25], v8, v[6:7]
	v_and_b32_e32 v24, 7, v24
; %bb.3468:                             ;   in Loop: Header=BB259_2079 Depth=1
	s_or_b32 exec_lo, exec_lo, s22
	v_lshlrev_b32_sdwa v4, v79, v4 dst_sel:DWORD dst_unused:UNUSED_PAD src0_sel:DWORD src1_sel:BYTE_3
	v_lshlrev_b32_e32 v6, 20, v24
	v_lshl_add_u32 v5, v5, 23, 0x3c000000
	v_mov_b32_e32 v24, v7
	v_and_b32_e32 v4, 0x80000000, v4
	v_or3_b32 v25, v6, v4, v5
.LBB259_3469:                           ;   in Loop: Header=BB259_2079 Depth=1
	s_or_b32 exec_lo, exec_lo, s21
.LBB259_3470:                           ;   in Loop: Header=BB259_2079 Depth=1
	s_or_b32 exec_lo, exec_lo, s17
.LBB259_3471:                           ;   in Loop: Header=BB259_2079 Depth=1
	s_or_b32 exec_lo, exec_lo, s15
	v_or_b32_e32 v4, v23, v21
	v_or_b32_e32 v5, v22, v20
	;; [unrolled: 1-line block ×4, first 2 shown]
	v_mul_f32_e32 v50, v93, v4
	v_mul_f32_e32 v49, v73, v5
	;; [unrolled: 1-line block ×4, first 2 shown]
	s_and_saveexec_b32 s8, s6
; %bb.3472:                             ;   in Loop: Header=BB259_2079 Depth=1
	v_cndmask_b32_e32 v49, 0, v49, vcc_lo
	v_cndmask_b32_e64 v50, 0, v50, s4
	v_cndmask_b32_e64 v48, 0, v48, s5
	;; [unrolled: 1-line block ×3, first 2 shown]
; %bb.3473:                             ;   in Loop: Header=BB259_2079 Depth=1
	s_or_b32 exec_lo, exec_lo, s8
	flat_load_dword v4, v[18:19] offset:1152
	v_mov_b32_e32 v22, 0
	v_mov_b32_e32 v20, 0
	;; [unrolled: 1-line block ×4, first 2 shown]
	s_waitcnt vmcnt(0) lgkmcnt(0)
	v_cmp_ne_u16_sdwa s8, v4, v7 src0_sel:BYTE_0 src1_sel:DWORD
	s_and_saveexec_b32 s15, s8
	s_cbranch_execz .LBB259_3481
; %bb.3474:                             ;   in Loop: Header=BB259_2079 Depth=1
	v_bfrev_b32_e32 v20, 1
	v_mov_b32_e32 v21, 0
	v_cmp_ne_u16_sdwa s8, v4, v75 src0_sel:BYTE_0 src1_sel:DWORD
	s_and_saveexec_b32 s17, s8
	s_cbranch_execz .LBB259_3480
; %bb.3475:                             ;   in Loop: Header=BB259_2079 Depth=1
	v_mov_b32_e32 v20, 0x7f800001
	v_and_b32_e32 v8, 0x7f, v4
	v_mov_b32_e32 v21, 0
	s_mov_b32 s21, exec_lo
	v_cmpx_ne_u32_e32 0x7f, v8
	s_cbranch_execz .LBB259_3479
; %bb.3476:                             ;   in Loop: Header=BB259_2079 Depth=1
	v_and_b32_e32 v6, 7, v4
	v_mov_b32_e32 v21, v7
	v_lshrrev_b32_e32 v5, 3, v8
	s_mov_b32 s22, exec_lo
	v_mov_b32_e32 v20, v6
	v_cmpx_gt_u32_e32 8, v8
; %bb.3477:                             ;   in Loop: Header=BB259_2079 Depth=1
	v_ffbh_u32_e32 v5, v6
	v_min_u32_e32 v5, 32, v5
	v_subrev_nc_u32_e32 v8, 28, v5
	v_sub_nc_u32_e32 v5, 29, v5
	v_lshlrev_b64 v[20:21], v8, v[6:7]
	v_and_b32_e32 v20, 7, v20
; %bb.3478:                             ;   in Loop: Header=BB259_2079 Depth=1
	s_or_b32 exec_lo, exec_lo, s22
	v_lshlrev_b32_e32 v6, 24, v4
	v_lshlrev_b32_e32 v8, 20, v20
	v_lshl_add_u32 v5, v5, 23, 0x3c000000
	v_and_b32_e32 v6, 0x80000000, v6
	v_or3_b32 v6, v8, v6, v5
	v_mov_b32_e32 v21, v7
	v_mov_b32_e32 v20, v6
.LBB259_3479:                           ;   in Loop: Header=BB259_2079 Depth=1
	s_or_b32 exec_lo, exec_lo, s21
.LBB259_3480:                           ;   in Loop: Header=BB259_2079 Depth=1
	s_or_b32 exec_lo, exec_lo, s17
.LBB259_3481:                           ;   in Loop: Header=BB259_2079 Depth=1
	s_or_b32 exec_lo, exec_lo, s15
	v_cmp_ne_u16_sdwa s8, v4, v7 src0_sel:BYTE_1 src1_sel:DWORD
	s_and_saveexec_b32 s15, s8
	s_cbranch_execz .LBB259_3489
; %bb.3482:                             ;   in Loop: Header=BB259_2079 Depth=1
	v_mov_b32_e32 v8, v7
	v_mov_b32_e32 v23, v9
	v_cmp_ne_u16_sdwa s8, v4, v75 src0_sel:BYTE_1 src1_sel:DWORD
	v_mov_b32_e32 v22, v8
	s_and_saveexec_b32 s17, s8
	s_cbranch_execz .LBB259_3488
; %bb.3483:                             ;   in Loop: Header=BB259_2079 Depth=1
	v_and_b32_sdwa v5, v76, v4 dst_sel:DWORD dst_unused:UNUSED_PAD src0_sel:DWORD src1_sel:BYTE_1
	v_mov_b32_e32 v10, v7
	v_mov_b32_e32 v23, v11
	s_mov_b32 s21, exec_lo
	v_and_b32_e32 v8, 0x7f, v5
	v_mov_b32_e32 v22, v10
	v_cmpx_ne_u32_e32 0x7f, v8
	s_cbranch_execz .LBB259_3487
; %bb.3484:                             ;   in Loop: Header=BB259_2079 Depth=1
	v_and_b32_e32 v6, 7, v5
	v_mov_b32_e32 v23, v7
	v_lshrrev_b32_e32 v5, 3, v8
	s_mov_b32 s22, exec_lo
	v_mov_b32_e32 v22, v6
	v_cmpx_gt_u32_e32 8, v8
; %bb.3485:                             ;   in Loop: Header=BB259_2079 Depth=1
	v_ffbh_u32_e32 v5, v6
	v_min_u32_e32 v5, 32, v5
	v_subrev_nc_u32_e32 v8, 28, v5
	v_sub_nc_u32_e32 v5, 29, v5
	v_lshlrev_b64 v[22:23], v8, v[6:7]
	v_and_b32_e32 v22, 7, v22
; %bb.3486:                             ;   in Loop: Header=BB259_2079 Depth=1
	s_or_b32 exec_lo, exec_lo, s22
	v_lshlrev_b32_e32 v6, 16, v4
	v_lshlrev_b32_e32 v8, 20, v22
	v_lshl_add_u32 v5, v5, 23, 0x3c000000
	v_mov_b32_e32 v22, v7
	v_and_b32_e32 v6, 0x80000000, v6
	v_or3_b32 v23, v8, v6, v5
.LBB259_3487:                           ;   in Loop: Header=BB259_2079 Depth=1
	s_or_b32 exec_lo, exec_lo, s21
.LBB259_3488:                           ;   in Loop: Header=BB259_2079 Depth=1
	s_or_b32 exec_lo, exec_lo, s17
.LBB259_3489:                           ;   in Loop: Header=BB259_2079 Depth=1
	s_or_b32 exec_lo, exec_lo, s15
	v_mov_b32_e32 v24, 0
	v_mov_b32_e32 v26, 0
	v_and_b32_sdwa v5, v4, v77 dst_sel:DWORD dst_unused:UNUSED_PAD src0_sel:WORD_1 src1_sel:DWORD
	v_mov_b32_e32 v25, 0
	v_mov_b32_e32 v27, 0
	s_mov_b32 s15, exec_lo
	v_cmpx_ne_u16_e32 0, v5
	s_cbranch_execz .LBB259_3497
; %bb.3490:                             ;   in Loop: Header=BB259_2079 Depth=1
	v_bfrev_b32_e32 v26, 1
	v_mov_b32_e32 v27, 0
	s_mov_b32 s17, exec_lo
	v_cmpx_ne_u16_e32 0x80, v5
	s_cbranch_execz .LBB259_3496
; %bb.3491:                             ;   in Loop: Header=BB259_2079 Depth=1
	v_mov_b32_e32 v26, 0x7f800001
	v_bfe_u32 v8, v4, 16, 7
	v_mov_b32_e32 v27, 0
	s_mov_b32 s21, exec_lo
	v_cmpx_ne_u32_e32 0x7f, v8
	s_cbranch_execz .LBB259_3495
; %bb.3492:                             ;   in Loop: Header=BB259_2079 Depth=1
	v_and_b32_sdwa v6, v4, v78 dst_sel:DWORD dst_unused:UNUSED_PAD src0_sel:WORD_1 src1_sel:DWORD
	v_mov_b32_e32 v27, v7
	v_lshrrev_b32_e32 v5, 3, v8
	s_mov_b32 s22, exec_lo
	v_mov_b32_e32 v26, v6
	v_cmpx_gt_u32_e32 8, v8
; %bb.3493:                             ;   in Loop: Header=BB259_2079 Depth=1
	v_ffbh_u32_e32 v5, v6
	v_min_u32_e32 v5, 32, v5
	v_subrev_nc_u32_e32 v8, 28, v5
	v_sub_nc_u32_e32 v5, 29, v5
	v_lshlrev_b64 v[26:27], v8, v[6:7]
	v_and_b32_e32 v26, 7, v26
; %bb.3494:                             ;   in Loop: Header=BB259_2079 Depth=1
	s_or_b32 exec_lo, exec_lo, s22
	v_lshlrev_b32_sdwa v6, v79, v4 dst_sel:DWORD dst_unused:UNUSED_PAD src0_sel:DWORD src1_sel:WORD_1
	v_lshlrev_b32_e32 v8, 20, v26
	v_lshl_add_u32 v5, v5, 23, 0x3c000000
	v_and_b32_e32 v6, 0x80000000, v6
	v_or3_b32 v6, v8, v6, v5
	v_mov_b32_e32 v27, v7
	v_mov_b32_e32 v26, v6
.LBB259_3495:                           ;   in Loop: Header=BB259_2079 Depth=1
	s_or_b32 exec_lo, exec_lo, s21
.LBB259_3496:                           ;   in Loop: Header=BB259_2079 Depth=1
	s_or_b32 exec_lo, exec_lo, s17
.LBB259_3497:                           ;   in Loop: Header=BB259_2079 Depth=1
	s_or_b32 exec_lo, exec_lo, s15
	s_mov_b32 s15, exec_lo
	v_cmpx_lt_u32_e32 0xffffff, v4
	s_cbranch_execz .LBB259_3505
; %bb.3498:                             ;   in Loop: Header=BB259_2079 Depth=1
	v_mov_b32_e32 v8, v7
	v_mov_b32_e32 v25, v9
	v_cmp_ne_u32_sdwa s8, v4, v75 src0_sel:BYTE_3 src1_sel:DWORD
	v_mov_b32_e32 v24, v8
	s_and_saveexec_b32 s17, s8
	s_cbranch_execz .LBB259_3504
; %bb.3499:                             ;   in Loop: Header=BB259_2079 Depth=1
	v_mov_b32_e32 v10, v7
	v_mov_b32_e32 v25, v11
	v_bfe_u32 v8, v4, 24, 7
	s_mov_b32 s21, exec_lo
	v_mov_b32_e32 v24, v10
	v_cmpx_ne_u32_e32 0x7f, v8
	s_cbranch_execz .LBB259_3503
; %bb.3500:                             ;   in Loop: Header=BB259_2079 Depth=1
	v_and_b32_sdwa v6, v4, v78 dst_sel:DWORD dst_unused:UNUSED_PAD src0_sel:BYTE_3 src1_sel:DWORD
	v_mov_b32_e32 v25, v7
	v_lshrrev_b32_e32 v5, 3, v8
	s_mov_b32 s22, exec_lo
	v_mov_b32_e32 v24, v6
	v_cmpx_gt_u32_e32 8, v8
; %bb.3501:                             ;   in Loop: Header=BB259_2079 Depth=1
	v_ffbh_u32_e32 v5, v6
	v_min_u32_e32 v5, 32, v5
	v_subrev_nc_u32_e32 v8, 28, v5
	v_sub_nc_u32_e32 v5, 29, v5
	v_lshlrev_b64 v[24:25], v8, v[6:7]
	v_and_b32_e32 v24, 7, v24
; %bb.3502:                             ;   in Loop: Header=BB259_2079 Depth=1
	s_or_b32 exec_lo, exec_lo, s22
	v_lshlrev_b32_sdwa v4, v79, v4 dst_sel:DWORD dst_unused:UNUSED_PAD src0_sel:DWORD src1_sel:BYTE_3
	v_lshlrev_b32_e32 v6, 20, v24
	v_lshl_add_u32 v5, v5, 23, 0x3c000000
	v_mov_b32_e32 v24, v7
	v_and_b32_e32 v4, 0x80000000, v4
	v_or3_b32 v25, v6, v4, v5
.LBB259_3503:                           ;   in Loop: Header=BB259_2079 Depth=1
	s_or_b32 exec_lo, exec_lo, s21
.LBB259_3504:                           ;   in Loop: Header=BB259_2079 Depth=1
	s_or_b32 exec_lo, exec_lo, s17
.LBB259_3505:                           ;   in Loop: Header=BB259_2079 Depth=1
	s_or_b32 exec_lo, exec_lo, s15
	v_or_b32_e32 v4, v23, v21
	v_or_b32_e32 v5, v22, v20
	;; [unrolled: 1-line block ×4, first 2 shown]
	v_mul_f32_e32 v54, v93, v4
	v_mul_f32_e32 v53, v73, v5
	v_mul_f32_e32 v52, v73, v6
	v_mul_f32_e32 v51, v93, v8
	s_and_saveexec_b32 s8, s6
; %bb.3506:                             ;   in Loop: Header=BB259_2079 Depth=1
	v_cndmask_b32_e32 v53, 0, v53, vcc_lo
	v_cndmask_b32_e64 v54, 0, v54, s4
	v_cndmask_b32_e64 v52, 0, v52, s5
	;; [unrolled: 1-line block ×3, first 2 shown]
; %bb.3507:                             ;   in Loop: Header=BB259_2079 Depth=1
	s_or_b32 exec_lo, exec_lo, s8
	flat_load_dword v4, v[18:19] offset:1280
	v_mov_b32_e32 v22, 0
	v_mov_b32_e32 v20, 0
	;; [unrolled: 1-line block ×4, first 2 shown]
	s_waitcnt vmcnt(0) lgkmcnt(0)
	v_cmp_ne_u16_sdwa s8, v4, v7 src0_sel:BYTE_0 src1_sel:DWORD
	s_and_saveexec_b32 s15, s8
	s_cbranch_execz .LBB259_3515
; %bb.3508:                             ;   in Loop: Header=BB259_2079 Depth=1
	v_bfrev_b32_e32 v20, 1
	v_mov_b32_e32 v21, 0
	v_cmp_ne_u16_sdwa s8, v4, v75 src0_sel:BYTE_0 src1_sel:DWORD
	s_and_saveexec_b32 s17, s8
	s_cbranch_execz .LBB259_3514
; %bb.3509:                             ;   in Loop: Header=BB259_2079 Depth=1
	v_mov_b32_e32 v20, 0x7f800001
	v_and_b32_e32 v8, 0x7f, v4
	v_mov_b32_e32 v21, 0
	s_mov_b32 s21, exec_lo
	v_cmpx_ne_u32_e32 0x7f, v8
	s_cbranch_execz .LBB259_3513
; %bb.3510:                             ;   in Loop: Header=BB259_2079 Depth=1
	v_and_b32_e32 v6, 7, v4
	v_mov_b32_e32 v21, v7
	v_lshrrev_b32_e32 v5, 3, v8
	s_mov_b32 s22, exec_lo
	v_mov_b32_e32 v20, v6
	v_cmpx_gt_u32_e32 8, v8
; %bb.3511:                             ;   in Loop: Header=BB259_2079 Depth=1
	v_ffbh_u32_e32 v5, v6
	v_min_u32_e32 v5, 32, v5
	v_subrev_nc_u32_e32 v8, 28, v5
	v_sub_nc_u32_e32 v5, 29, v5
	v_lshlrev_b64 v[20:21], v8, v[6:7]
	v_and_b32_e32 v20, 7, v20
; %bb.3512:                             ;   in Loop: Header=BB259_2079 Depth=1
	s_or_b32 exec_lo, exec_lo, s22
	v_lshlrev_b32_e32 v6, 24, v4
	v_lshlrev_b32_e32 v8, 20, v20
	v_lshl_add_u32 v5, v5, 23, 0x3c000000
	v_and_b32_e32 v6, 0x80000000, v6
	v_or3_b32 v6, v8, v6, v5
	v_mov_b32_e32 v21, v7
	v_mov_b32_e32 v20, v6
.LBB259_3513:                           ;   in Loop: Header=BB259_2079 Depth=1
	s_or_b32 exec_lo, exec_lo, s21
.LBB259_3514:                           ;   in Loop: Header=BB259_2079 Depth=1
	s_or_b32 exec_lo, exec_lo, s17
.LBB259_3515:                           ;   in Loop: Header=BB259_2079 Depth=1
	s_or_b32 exec_lo, exec_lo, s15
	v_cmp_ne_u16_sdwa s8, v4, v7 src0_sel:BYTE_1 src1_sel:DWORD
	s_and_saveexec_b32 s15, s8
	s_cbranch_execz .LBB259_3523
; %bb.3516:                             ;   in Loop: Header=BB259_2079 Depth=1
	v_mov_b32_e32 v8, v7
	v_mov_b32_e32 v23, v9
	v_cmp_ne_u16_sdwa s8, v4, v75 src0_sel:BYTE_1 src1_sel:DWORD
	v_mov_b32_e32 v22, v8
	s_and_saveexec_b32 s17, s8
	s_cbranch_execz .LBB259_3522
; %bb.3517:                             ;   in Loop: Header=BB259_2079 Depth=1
	v_and_b32_sdwa v5, v76, v4 dst_sel:DWORD dst_unused:UNUSED_PAD src0_sel:DWORD src1_sel:BYTE_1
	v_mov_b32_e32 v10, v7
	v_mov_b32_e32 v23, v11
	s_mov_b32 s21, exec_lo
	v_and_b32_e32 v8, 0x7f, v5
	v_mov_b32_e32 v22, v10
	v_cmpx_ne_u32_e32 0x7f, v8
	s_cbranch_execz .LBB259_3521
; %bb.3518:                             ;   in Loop: Header=BB259_2079 Depth=1
	v_and_b32_e32 v6, 7, v5
	v_mov_b32_e32 v23, v7
	v_lshrrev_b32_e32 v5, 3, v8
	s_mov_b32 s22, exec_lo
	v_mov_b32_e32 v22, v6
	v_cmpx_gt_u32_e32 8, v8
; %bb.3519:                             ;   in Loop: Header=BB259_2079 Depth=1
	v_ffbh_u32_e32 v5, v6
	v_min_u32_e32 v5, 32, v5
	v_subrev_nc_u32_e32 v8, 28, v5
	v_sub_nc_u32_e32 v5, 29, v5
	v_lshlrev_b64 v[22:23], v8, v[6:7]
	v_and_b32_e32 v22, 7, v22
; %bb.3520:                             ;   in Loop: Header=BB259_2079 Depth=1
	s_or_b32 exec_lo, exec_lo, s22
	v_lshlrev_b32_e32 v6, 16, v4
	v_lshlrev_b32_e32 v8, 20, v22
	v_lshl_add_u32 v5, v5, 23, 0x3c000000
	v_mov_b32_e32 v22, v7
	v_and_b32_e32 v6, 0x80000000, v6
	v_or3_b32 v23, v8, v6, v5
.LBB259_3521:                           ;   in Loop: Header=BB259_2079 Depth=1
	s_or_b32 exec_lo, exec_lo, s21
.LBB259_3522:                           ;   in Loop: Header=BB259_2079 Depth=1
	s_or_b32 exec_lo, exec_lo, s17
.LBB259_3523:                           ;   in Loop: Header=BB259_2079 Depth=1
	s_or_b32 exec_lo, exec_lo, s15
	v_mov_b32_e32 v24, 0
	v_mov_b32_e32 v26, 0
	v_and_b32_sdwa v5, v4, v77 dst_sel:DWORD dst_unused:UNUSED_PAD src0_sel:WORD_1 src1_sel:DWORD
	v_mov_b32_e32 v25, 0
	v_mov_b32_e32 v27, 0
	s_mov_b32 s15, exec_lo
	v_cmpx_ne_u16_e32 0, v5
	s_cbranch_execz .LBB259_3531
; %bb.3524:                             ;   in Loop: Header=BB259_2079 Depth=1
	v_bfrev_b32_e32 v26, 1
	v_mov_b32_e32 v27, 0
	s_mov_b32 s17, exec_lo
	v_cmpx_ne_u16_e32 0x80, v5
	s_cbranch_execz .LBB259_3530
; %bb.3525:                             ;   in Loop: Header=BB259_2079 Depth=1
	v_mov_b32_e32 v26, 0x7f800001
	v_bfe_u32 v8, v4, 16, 7
	v_mov_b32_e32 v27, 0
	s_mov_b32 s21, exec_lo
	v_cmpx_ne_u32_e32 0x7f, v8
	s_cbranch_execz .LBB259_3529
; %bb.3526:                             ;   in Loop: Header=BB259_2079 Depth=1
	v_and_b32_sdwa v6, v4, v78 dst_sel:DWORD dst_unused:UNUSED_PAD src0_sel:WORD_1 src1_sel:DWORD
	v_mov_b32_e32 v27, v7
	v_lshrrev_b32_e32 v5, 3, v8
	s_mov_b32 s22, exec_lo
	v_mov_b32_e32 v26, v6
	v_cmpx_gt_u32_e32 8, v8
; %bb.3527:                             ;   in Loop: Header=BB259_2079 Depth=1
	v_ffbh_u32_e32 v5, v6
	v_min_u32_e32 v5, 32, v5
	v_subrev_nc_u32_e32 v8, 28, v5
	v_sub_nc_u32_e32 v5, 29, v5
	v_lshlrev_b64 v[26:27], v8, v[6:7]
	v_and_b32_e32 v26, 7, v26
; %bb.3528:                             ;   in Loop: Header=BB259_2079 Depth=1
	s_or_b32 exec_lo, exec_lo, s22
	v_lshlrev_b32_sdwa v6, v79, v4 dst_sel:DWORD dst_unused:UNUSED_PAD src0_sel:DWORD src1_sel:WORD_1
	v_lshlrev_b32_e32 v8, 20, v26
	v_lshl_add_u32 v5, v5, 23, 0x3c000000
	v_and_b32_e32 v6, 0x80000000, v6
	v_or3_b32 v6, v8, v6, v5
	v_mov_b32_e32 v27, v7
	v_mov_b32_e32 v26, v6
.LBB259_3529:                           ;   in Loop: Header=BB259_2079 Depth=1
	s_or_b32 exec_lo, exec_lo, s21
.LBB259_3530:                           ;   in Loop: Header=BB259_2079 Depth=1
	s_or_b32 exec_lo, exec_lo, s17
.LBB259_3531:                           ;   in Loop: Header=BB259_2079 Depth=1
	s_or_b32 exec_lo, exec_lo, s15
	s_mov_b32 s15, exec_lo
	v_cmpx_lt_u32_e32 0xffffff, v4
	s_cbranch_execz .LBB259_3539
; %bb.3532:                             ;   in Loop: Header=BB259_2079 Depth=1
	v_mov_b32_e32 v8, v7
	v_mov_b32_e32 v25, v9
	v_cmp_ne_u32_sdwa s8, v4, v75 src0_sel:BYTE_3 src1_sel:DWORD
	v_mov_b32_e32 v24, v8
	s_and_saveexec_b32 s17, s8
	s_cbranch_execz .LBB259_3538
; %bb.3533:                             ;   in Loop: Header=BB259_2079 Depth=1
	v_mov_b32_e32 v10, v7
	v_mov_b32_e32 v25, v11
	v_bfe_u32 v8, v4, 24, 7
	s_mov_b32 s21, exec_lo
	v_mov_b32_e32 v24, v10
	v_cmpx_ne_u32_e32 0x7f, v8
	s_cbranch_execz .LBB259_3537
; %bb.3534:                             ;   in Loop: Header=BB259_2079 Depth=1
	v_and_b32_sdwa v6, v4, v78 dst_sel:DWORD dst_unused:UNUSED_PAD src0_sel:BYTE_3 src1_sel:DWORD
	v_mov_b32_e32 v25, v7
	v_lshrrev_b32_e32 v5, 3, v8
	s_mov_b32 s22, exec_lo
	v_mov_b32_e32 v24, v6
	v_cmpx_gt_u32_e32 8, v8
; %bb.3535:                             ;   in Loop: Header=BB259_2079 Depth=1
	v_ffbh_u32_e32 v5, v6
	v_min_u32_e32 v5, 32, v5
	v_subrev_nc_u32_e32 v8, 28, v5
	v_sub_nc_u32_e32 v5, 29, v5
	v_lshlrev_b64 v[24:25], v8, v[6:7]
	v_and_b32_e32 v24, 7, v24
; %bb.3536:                             ;   in Loop: Header=BB259_2079 Depth=1
	s_or_b32 exec_lo, exec_lo, s22
	v_lshlrev_b32_sdwa v4, v79, v4 dst_sel:DWORD dst_unused:UNUSED_PAD src0_sel:DWORD src1_sel:BYTE_3
	v_lshlrev_b32_e32 v6, 20, v24
	v_lshl_add_u32 v5, v5, 23, 0x3c000000
	v_mov_b32_e32 v24, v7
	v_and_b32_e32 v4, 0x80000000, v4
	v_or3_b32 v25, v6, v4, v5
.LBB259_3537:                           ;   in Loop: Header=BB259_2079 Depth=1
	s_or_b32 exec_lo, exec_lo, s21
.LBB259_3538:                           ;   in Loop: Header=BB259_2079 Depth=1
	s_or_b32 exec_lo, exec_lo, s17
.LBB259_3539:                           ;   in Loop: Header=BB259_2079 Depth=1
	s_or_b32 exec_lo, exec_lo, s15
	v_or_b32_e32 v4, v23, v21
	v_or_b32_e32 v5, v22, v20
	;; [unrolled: 1-line block ×4, first 2 shown]
	v_mul_f32_e32 v66, v93, v4
	v_mul_f32_e32 v65, v73, v5
	;; [unrolled: 1-line block ×4, first 2 shown]
	s_and_saveexec_b32 s8, s6
; %bb.3540:                             ;   in Loop: Header=BB259_2079 Depth=1
	v_cndmask_b32_e32 v65, 0, v65, vcc_lo
	v_cndmask_b32_e64 v66, 0, v66, s4
	v_cndmask_b32_e64 v64, 0, v64, s5
	;; [unrolled: 1-line block ×3, first 2 shown]
; %bb.3541:                             ;   in Loop: Header=BB259_2079 Depth=1
	s_or_b32 exec_lo, exec_lo, s8
	flat_load_dword v4, v[18:19] offset:1408
	v_mov_b32_e32 v22, 0
	v_mov_b32_e32 v20, 0
	;; [unrolled: 1-line block ×4, first 2 shown]
	s_waitcnt vmcnt(0) lgkmcnt(0)
	v_cmp_ne_u16_sdwa s8, v4, v7 src0_sel:BYTE_0 src1_sel:DWORD
	s_and_saveexec_b32 s15, s8
	s_cbranch_execz .LBB259_3549
; %bb.3542:                             ;   in Loop: Header=BB259_2079 Depth=1
	v_bfrev_b32_e32 v20, 1
	v_mov_b32_e32 v21, 0
	v_cmp_ne_u16_sdwa s8, v4, v75 src0_sel:BYTE_0 src1_sel:DWORD
	s_and_saveexec_b32 s17, s8
	s_cbranch_execz .LBB259_3548
; %bb.3543:                             ;   in Loop: Header=BB259_2079 Depth=1
	v_mov_b32_e32 v20, 0x7f800001
	v_and_b32_e32 v8, 0x7f, v4
	v_mov_b32_e32 v21, 0
	s_mov_b32 s21, exec_lo
	v_cmpx_ne_u32_e32 0x7f, v8
	s_cbranch_execz .LBB259_3547
; %bb.3544:                             ;   in Loop: Header=BB259_2079 Depth=1
	v_and_b32_e32 v6, 7, v4
	v_mov_b32_e32 v21, v7
	v_lshrrev_b32_e32 v5, 3, v8
	s_mov_b32 s22, exec_lo
	v_mov_b32_e32 v20, v6
	v_cmpx_gt_u32_e32 8, v8
; %bb.3545:                             ;   in Loop: Header=BB259_2079 Depth=1
	v_ffbh_u32_e32 v5, v6
	v_min_u32_e32 v5, 32, v5
	v_subrev_nc_u32_e32 v8, 28, v5
	v_sub_nc_u32_e32 v5, 29, v5
	v_lshlrev_b64 v[20:21], v8, v[6:7]
	v_and_b32_e32 v20, 7, v20
; %bb.3546:                             ;   in Loop: Header=BB259_2079 Depth=1
	s_or_b32 exec_lo, exec_lo, s22
	v_lshlrev_b32_e32 v6, 24, v4
	v_lshlrev_b32_e32 v8, 20, v20
	v_lshl_add_u32 v5, v5, 23, 0x3c000000
	v_and_b32_e32 v6, 0x80000000, v6
	v_or3_b32 v6, v8, v6, v5
	v_mov_b32_e32 v21, v7
	v_mov_b32_e32 v20, v6
.LBB259_3547:                           ;   in Loop: Header=BB259_2079 Depth=1
	s_or_b32 exec_lo, exec_lo, s21
.LBB259_3548:                           ;   in Loop: Header=BB259_2079 Depth=1
	s_or_b32 exec_lo, exec_lo, s17
.LBB259_3549:                           ;   in Loop: Header=BB259_2079 Depth=1
	s_or_b32 exec_lo, exec_lo, s15
	v_cmp_ne_u16_sdwa s8, v4, v7 src0_sel:BYTE_1 src1_sel:DWORD
	s_and_saveexec_b32 s15, s8
	s_cbranch_execz .LBB259_3557
; %bb.3550:                             ;   in Loop: Header=BB259_2079 Depth=1
	v_mov_b32_e32 v8, v7
	v_mov_b32_e32 v23, v9
	v_cmp_ne_u16_sdwa s8, v4, v75 src0_sel:BYTE_1 src1_sel:DWORD
	v_mov_b32_e32 v22, v8
	s_and_saveexec_b32 s17, s8
	s_cbranch_execz .LBB259_3556
; %bb.3551:                             ;   in Loop: Header=BB259_2079 Depth=1
	v_and_b32_sdwa v5, v76, v4 dst_sel:DWORD dst_unused:UNUSED_PAD src0_sel:DWORD src1_sel:BYTE_1
	v_mov_b32_e32 v10, v7
	v_mov_b32_e32 v23, v11
	s_mov_b32 s21, exec_lo
	v_and_b32_e32 v8, 0x7f, v5
	v_mov_b32_e32 v22, v10
	v_cmpx_ne_u32_e32 0x7f, v8
	s_cbranch_execz .LBB259_3555
; %bb.3552:                             ;   in Loop: Header=BB259_2079 Depth=1
	v_and_b32_e32 v6, 7, v5
	v_mov_b32_e32 v23, v7
	v_lshrrev_b32_e32 v5, 3, v8
	s_mov_b32 s22, exec_lo
	v_mov_b32_e32 v22, v6
	v_cmpx_gt_u32_e32 8, v8
; %bb.3553:                             ;   in Loop: Header=BB259_2079 Depth=1
	v_ffbh_u32_e32 v5, v6
	v_min_u32_e32 v5, 32, v5
	v_subrev_nc_u32_e32 v8, 28, v5
	v_sub_nc_u32_e32 v5, 29, v5
	v_lshlrev_b64 v[22:23], v8, v[6:7]
	v_and_b32_e32 v22, 7, v22
; %bb.3554:                             ;   in Loop: Header=BB259_2079 Depth=1
	s_or_b32 exec_lo, exec_lo, s22
	v_lshlrev_b32_e32 v6, 16, v4
	v_lshlrev_b32_e32 v8, 20, v22
	v_lshl_add_u32 v5, v5, 23, 0x3c000000
	v_mov_b32_e32 v22, v7
	v_and_b32_e32 v6, 0x80000000, v6
	v_or3_b32 v23, v8, v6, v5
.LBB259_3555:                           ;   in Loop: Header=BB259_2079 Depth=1
	s_or_b32 exec_lo, exec_lo, s21
.LBB259_3556:                           ;   in Loop: Header=BB259_2079 Depth=1
	s_or_b32 exec_lo, exec_lo, s17
.LBB259_3557:                           ;   in Loop: Header=BB259_2079 Depth=1
	s_or_b32 exec_lo, exec_lo, s15
	v_mov_b32_e32 v24, 0
	v_mov_b32_e32 v26, 0
	v_and_b32_sdwa v5, v4, v77 dst_sel:DWORD dst_unused:UNUSED_PAD src0_sel:WORD_1 src1_sel:DWORD
	v_mov_b32_e32 v25, 0
	v_mov_b32_e32 v27, 0
	s_mov_b32 s15, exec_lo
	v_cmpx_ne_u16_e32 0, v5
	s_cbranch_execz .LBB259_3565
; %bb.3558:                             ;   in Loop: Header=BB259_2079 Depth=1
	v_bfrev_b32_e32 v26, 1
	v_mov_b32_e32 v27, 0
	s_mov_b32 s17, exec_lo
	v_cmpx_ne_u16_e32 0x80, v5
	s_cbranch_execz .LBB259_3564
; %bb.3559:                             ;   in Loop: Header=BB259_2079 Depth=1
	v_mov_b32_e32 v26, 0x7f800001
	v_bfe_u32 v8, v4, 16, 7
	v_mov_b32_e32 v27, 0
	s_mov_b32 s21, exec_lo
	v_cmpx_ne_u32_e32 0x7f, v8
	s_cbranch_execz .LBB259_3563
; %bb.3560:                             ;   in Loop: Header=BB259_2079 Depth=1
	v_and_b32_sdwa v6, v4, v78 dst_sel:DWORD dst_unused:UNUSED_PAD src0_sel:WORD_1 src1_sel:DWORD
	v_mov_b32_e32 v27, v7
	v_lshrrev_b32_e32 v5, 3, v8
	s_mov_b32 s22, exec_lo
	v_mov_b32_e32 v26, v6
	v_cmpx_gt_u32_e32 8, v8
; %bb.3561:                             ;   in Loop: Header=BB259_2079 Depth=1
	v_ffbh_u32_e32 v5, v6
	v_min_u32_e32 v5, 32, v5
	v_subrev_nc_u32_e32 v8, 28, v5
	v_sub_nc_u32_e32 v5, 29, v5
	v_lshlrev_b64 v[26:27], v8, v[6:7]
	v_and_b32_e32 v26, 7, v26
; %bb.3562:                             ;   in Loop: Header=BB259_2079 Depth=1
	s_or_b32 exec_lo, exec_lo, s22
	v_lshlrev_b32_sdwa v6, v79, v4 dst_sel:DWORD dst_unused:UNUSED_PAD src0_sel:DWORD src1_sel:WORD_1
	v_lshlrev_b32_e32 v8, 20, v26
	v_lshl_add_u32 v5, v5, 23, 0x3c000000
	v_and_b32_e32 v6, 0x80000000, v6
	v_or3_b32 v6, v8, v6, v5
	v_mov_b32_e32 v27, v7
	v_mov_b32_e32 v26, v6
.LBB259_3563:                           ;   in Loop: Header=BB259_2079 Depth=1
	s_or_b32 exec_lo, exec_lo, s21
.LBB259_3564:                           ;   in Loop: Header=BB259_2079 Depth=1
	s_or_b32 exec_lo, exec_lo, s17
.LBB259_3565:                           ;   in Loop: Header=BB259_2079 Depth=1
	s_or_b32 exec_lo, exec_lo, s15
	s_mov_b32 s15, exec_lo
	v_cmpx_lt_u32_e32 0xffffff, v4
	s_cbranch_execz .LBB259_3573
; %bb.3566:                             ;   in Loop: Header=BB259_2079 Depth=1
	v_mov_b32_e32 v8, v7
	v_mov_b32_e32 v25, v9
	v_cmp_ne_u32_sdwa s8, v4, v75 src0_sel:BYTE_3 src1_sel:DWORD
	v_mov_b32_e32 v24, v8
	s_and_saveexec_b32 s17, s8
	s_cbranch_execz .LBB259_3572
; %bb.3567:                             ;   in Loop: Header=BB259_2079 Depth=1
	v_mov_b32_e32 v10, v7
	v_mov_b32_e32 v25, v11
	v_bfe_u32 v8, v4, 24, 7
	s_mov_b32 s21, exec_lo
	v_mov_b32_e32 v24, v10
	v_cmpx_ne_u32_e32 0x7f, v8
	s_cbranch_execz .LBB259_3571
; %bb.3568:                             ;   in Loop: Header=BB259_2079 Depth=1
	v_and_b32_sdwa v6, v4, v78 dst_sel:DWORD dst_unused:UNUSED_PAD src0_sel:BYTE_3 src1_sel:DWORD
	v_mov_b32_e32 v25, v7
	v_lshrrev_b32_e32 v5, 3, v8
	s_mov_b32 s22, exec_lo
	v_mov_b32_e32 v24, v6
	v_cmpx_gt_u32_e32 8, v8
; %bb.3569:                             ;   in Loop: Header=BB259_2079 Depth=1
	v_ffbh_u32_e32 v5, v6
	v_min_u32_e32 v5, 32, v5
	v_subrev_nc_u32_e32 v8, 28, v5
	v_sub_nc_u32_e32 v5, 29, v5
	v_lshlrev_b64 v[24:25], v8, v[6:7]
	v_and_b32_e32 v24, 7, v24
; %bb.3570:                             ;   in Loop: Header=BB259_2079 Depth=1
	s_or_b32 exec_lo, exec_lo, s22
	v_lshlrev_b32_sdwa v4, v79, v4 dst_sel:DWORD dst_unused:UNUSED_PAD src0_sel:DWORD src1_sel:BYTE_3
	v_lshlrev_b32_e32 v6, 20, v24
	v_lshl_add_u32 v5, v5, 23, 0x3c000000
	v_mov_b32_e32 v24, v7
	v_and_b32_e32 v4, 0x80000000, v4
	v_or3_b32 v25, v6, v4, v5
.LBB259_3571:                           ;   in Loop: Header=BB259_2079 Depth=1
	s_or_b32 exec_lo, exec_lo, s21
.LBB259_3572:                           ;   in Loop: Header=BB259_2079 Depth=1
	s_or_b32 exec_lo, exec_lo, s17
.LBB259_3573:                           ;   in Loop: Header=BB259_2079 Depth=1
	s_or_b32 exec_lo, exec_lo, s15
	v_or_b32_e32 v4, v23, v21
	v_or_b32_e32 v5, v22, v20
	;; [unrolled: 1-line block ×4, first 2 shown]
	v_mul_f32_e32 v70, v93, v4
	v_mul_f32_e32 v69, v73, v5
	;; [unrolled: 1-line block ×4, first 2 shown]
	s_and_saveexec_b32 s8, s6
; %bb.3574:                             ;   in Loop: Header=BB259_2079 Depth=1
	v_cndmask_b32_e32 v69, 0, v69, vcc_lo
	v_cndmask_b32_e64 v70, 0, v70, s4
	v_cndmask_b32_e64 v68, 0, v68, s5
	;; [unrolled: 1-line block ×3, first 2 shown]
; %bb.3575:                             ;   in Loop: Header=BB259_2079 Depth=1
	s_or_b32 exec_lo, exec_lo, s8
	flat_load_dword v4, v[18:19] offset:1536
	v_mov_b32_e32 v22, 0
	v_mov_b32_e32 v20, 0
	;; [unrolled: 1-line block ×4, first 2 shown]
	s_waitcnt vmcnt(0) lgkmcnt(0)
	v_cmp_ne_u16_sdwa s8, v4, v7 src0_sel:BYTE_0 src1_sel:DWORD
	s_and_saveexec_b32 s15, s8
	s_cbranch_execz .LBB259_3583
; %bb.3576:                             ;   in Loop: Header=BB259_2079 Depth=1
	v_bfrev_b32_e32 v20, 1
	v_mov_b32_e32 v21, 0
	v_cmp_ne_u16_sdwa s8, v4, v75 src0_sel:BYTE_0 src1_sel:DWORD
	s_and_saveexec_b32 s17, s8
	s_cbranch_execz .LBB259_3582
; %bb.3577:                             ;   in Loop: Header=BB259_2079 Depth=1
	v_mov_b32_e32 v20, 0x7f800001
	v_and_b32_e32 v8, 0x7f, v4
	v_mov_b32_e32 v21, 0
	s_mov_b32 s21, exec_lo
	v_cmpx_ne_u32_e32 0x7f, v8
	s_cbranch_execz .LBB259_3581
; %bb.3578:                             ;   in Loop: Header=BB259_2079 Depth=1
	v_and_b32_e32 v6, 7, v4
	v_mov_b32_e32 v21, v7
	v_lshrrev_b32_e32 v5, 3, v8
	s_mov_b32 s22, exec_lo
	v_mov_b32_e32 v20, v6
	v_cmpx_gt_u32_e32 8, v8
; %bb.3579:                             ;   in Loop: Header=BB259_2079 Depth=1
	v_ffbh_u32_e32 v5, v6
	v_min_u32_e32 v5, 32, v5
	v_subrev_nc_u32_e32 v8, 28, v5
	v_sub_nc_u32_e32 v5, 29, v5
	v_lshlrev_b64 v[20:21], v8, v[6:7]
	v_and_b32_e32 v20, 7, v20
; %bb.3580:                             ;   in Loop: Header=BB259_2079 Depth=1
	s_or_b32 exec_lo, exec_lo, s22
	v_lshlrev_b32_e32 v6, 24, v4
	v_lshlrev_b32_e32 v8, 20, v20
	v_lshl_add_u32 v5, v5, 23, 0x3c000000
	v_and_b32_e32 v6, 0x80000000, v6
	v_or3_b32 v6, v8, v6, v5
	v_mov_b32_e32 v21, v7
	v_mov_b32_e32 v20, v6
.LBB259_3581:                           ;   in Loop: Header=BB259_2079 Depth=1
	s_or_b32 exec_lo, exec_lo, s21
.LBB259_3582:                           ;   in Loop: Header=BB259_2079 Depth=1
	s_or_b32 exec_lo, exec_lo, s17
.LBB259_3583:                           ;   in Loop: Header=BB259_2079 Depth=1
	s_or_b32 exec_lo, exec_lo, s15
	v_cmp_ne_u16_sdwa s8, v4, v7 src0_sel:BYTE_1 src1_sel:DWORD
	s_and_saveexec_b32 s15, s8
	s_cbranch_execz .LBB259_3591
; %bb.3584:                             ;   in Loop: Header=BB259_2079 Depth=1
	v_mov_b32_e32 v8, v7
	v_mov_b32_e32 v23, v9
	v_cmp_ne_u16_sdwa s8, v4, v75 src0_sel:BYTE_1 src1_sel:DWORD
	v_mov_b32_e32 v22, v8
	s_and_saveexec_b32 s17, s8
	s_cbranch_execz .LBB259_3590
; %bb.3585:                             ;   in Loop: Header=BB259_2079 Depth=1
	v_and_b32_sdwa v5, v76, v4 dst_sel:DWORD dst_unused:UNUSED_PAD src0_sel:DWORD src1_sel:BYTE_1
	v_mov_b32_e32 v10, v7
	v_mov_b32_e32 v23, v11
	s_mov_b32 s21, exec_lo
	v_and_b32_e32 v8, 0x7f, v5
	v_mov_b32_e32 v22, v10
	v_cmpx_ne_u32_e32 0x7f, v8
	s_cbranch_execz .LBB259_3589
; %bb.3586:                             ;   in Loop: Header=BB259_2079 Depth=1
	v_and_b32_e32 v6, 7, v5
	v_mov_b32_e32 v23, v7
	v_lshrrev_b32_e32 v5, 3, v8
	s_mov_b32 s22, exec_lo
	v_mov_b32_e32 v22, v6
	v_cmpx_gt_u32_e32 8, v8
; %bb.3587:                             ;   in Loop: Header=BB259_2079 Depth=1
	v_ffbh_u32_e32 v5, v6
	v_min_u32_e32 v5, 32, v5
	v_subrev_nc_u32_e32 v8, 28, v5
	v_sub_nc_u32_e32 v5, 29, v5
	v_lshlrev_b64 v[22:23], v8, v[6:7]
	v_and_b32_e32 v22, 7, v22
; %bb.3588:                             ;   in Loop: Header=BB259_2079 Depth=1
	s_or_b32 exec_lo, exec_lo, s22
	v_lshlrev_b32_e32 v6, 16, v4
	v_lshlrev_b32_e32 v8, 20, v22
	v_lshl_add_u32 v5, v5, 23, 0x3c000000
	v_mov_b32_e32 v22, v7
	v_and_b32_e32 v6, 0x80000000, v6
	v_or3_b32 v23, v8, v6, v5
.LBB259_3589:                           ;   in Loop: Header=BB259_2079 Depth=1
	s_or_b32 exec_lo, exec_lo, s21
.LBB259_3590:                           ;   in Loop: Header=BB259_2079 Depth=1
	s_or_b32 exec_lo, exec_lo, s17
.LBB259_3591:                           ;   in Loop: Header=BB259_2079 Depth=1
	s_or_b32 exec_lo, exec_lo, s15
	v_mov_b32_e32 v24, 0
	v_mov_b32_e32 v26, 0
	v_and_b32_sdwa v5, v4, v77 dst_sel:DWORD dst_unused:UNUSED_PAD src0_sel:WORD_1 src1_sel:DWORD
	v_mov_b32_e32 v25, 0
	v_mov_b32_e32 v27, 0
	s_mov_b32 s15, exec_lo
	v_cmpx_ne_u16_e32 0, v5
	s_cbranch_execz .LBB259_3599
; %bb.3592:                             ;   in Loop: Header=BB259_2079 Depth=1
	v_bfrev_b32_e32 v26, 1
	v_mov_b32_e32 v27, 0
	s_mov_b32 s17, exec_lo
	v_cmpx_ne_u16_e32 0x80, v5
	s_cbranch_execz .LBB259_3598
; %bb.3593:                             ;   in Loop: Header=BB259_2079 Depth=1
	v_mov_b32_e32 v26, 0x7f800001
	v_bfe_u32 v8, v4, 16, 7
	v_mov_b32_e32 v27, 0
	s_mov_b32 s21, exec_lo
	v_cmpx_ne_u32_e32 0x7f, v8
	s_cbranch_execz .LBB259_3597
; %bb.3594:                             ;   in Loop: Header=BB259_2079 Depth=1
	v_and_b32_sdwa v6, v4, v78 dst_sel:DWORD dst_unused:UNUSED_PAD src0_sel:WORD_1 src1_sel:DWORD
	v_mov_b32_e32 v27, v7
	v_lshrrev_b32_e32 v5, 3, v8
	s_mov_b32 s22, exec_lo
	v_mov_b32_e32 v26, v6
	v_cmpx_gt_u32_e32 8, v8
; %bb.3595:                             ;   in Loop: Header=BB259_2079 Depth=1
	v_ffbh_u32_e32 v5, v6
	v_min_u32_e32 v5, 32, v5
	v_subrev_nc_u32_e32 v8, 28, v5
	v_sub_nc_u32_e32 v5, 29, v5
	v_lshlrev_b64 v[26:27], v8, v[6:7]
	v_and_b32_e32 v26, 7, v26
; %bb.3596:                             ;   in Loop: Header=BB259_2079 Depth=1
	s_or_b32 exec_lo, exec_lo, s22
	v_lshlrev_b32_sdwa v6, v79, v4 dst_sel:DWORD dst_unused:UNUSED_PAD src0_sel:DWORD src1_sel:WORD_1
	v_lshlrev_b32_e32 v8, 20, v26
	v_lshl_add_u32 v5, v5, 23, 0x3c000000
	v_and_b32_e32 v6, 0x80000000, v6
	v_or3_b32 v6, v8, v6, v5
	v_mov_b32_e32 v27, v7
	v_mov_b32_e32 v26, v6
.LBB259_3597:                           ;   in Loop: Header=BB259_2079 Depth=1
	s_or_b32 exec_lo, exec_lo, s21
.LBB259_3598:                           ;   in Loop: Header=BB259_2079 Depth=1
	s_or_b32 exec_lo, exec_lo, s17
.LBB259_3599:                           ;   in Loop: Header=BB259_2079 Depth=1
	s_or_b32 exec_lo, exec_lo, s15
	s_mov_b32 s15, exec_lo
	v_cmpx_lt_u32_e32 0xffffff, v4
	s_cbranch_execz .LBB259_3607
; %bb.3600:                             ;   in Loop: Header=BB259_2079 Depth=1
	v_mov_b32_e32 v8, v7
	v_mov_b32_e32 v25, v9
	v_cmp_ne_u32_sdwa s8, v4, v75 src0_sel:BYTE_3 src1_sel:DWORD
	v_mov_b32_e32 v24, v8
	s_and_saveexec_b32 s17, s8
	s_cbranch_execz .LBB259_3606
; %bb.3601:                             ;   in Loop: Header=BB259_2079 Depth=1
	v_mov_b32_e32 v10, v7
	v_mov_b32_e32 v25, v11
	v_bfe_u32 v8, v4, 24, 7
	s_mov_b32 s21, exec_lo
	v_mov_b32_e32 v24, v10
	v_cmpx_ne_u32_e32 0x7f, v8
	s_cbranch_execz .LBB259_3605
; %bb.3602:                             ;   in Loop: Header=BB259_2079 Depth=1
	v_and_b32_sdwa v6, v4, v78 dst_sel:DWORD dst_unused:UNUSED_PAD src0_sel:BYTE_3 src1_sel:DWORD
	v_mov_b32_e32 v25, v7
	v_lshrrev_b32_e32 v5, 3, v8
	s_mov_b32 s22, exec_lo
	v_mov_b32_e32 v24, v6
	v_cmpx_gt_u32_e32 8, v8
; %bb.3603:                             ;   in Loop: Header=BB259_2079 Depth=1
	v_ffbh_u32_e32 v5, v6
	v_min_u32_e32 v5, 32, v5
	v_subrev_nc_u32_e32 v8, 28, v5
	v_sub_nc_u32_e32 v5, 29, v5
	v_lshlrev_b64 v[24:25], v8, v[6:7]
	v_and_b32_e32 v24, 7, v24
; %bb.3604:                             ;   in Loop: Header=BB259_2079 Depth=1
	s_or_b32 exec_lo, exec_lo, s22
	v_lshlrev_b32_sdwa v4, v79, v4 dst_sel:DWORD dst_unused:UNUSED_PAD src0_sel:DWORD src1_sel:BYTE_3
	v_lshlrev_b32_e32 v6, 20, v24
	v_lshl_add_u32 v5, v5, 23, 0x3c000000
	v_mov_b32_e32 v24, v7
	v_and_b32_e32 v4, 0x80000000, v4
	v_or3_b32 v25, v6, v4, v5
.LBB259_3605:                           ;   in Loop: Header=BB259_2079 Depth=1
	s_or_b32 exec_lo, exec_lo, s21
.LBB259_3606:                           ;   in Loop: Header=BB259_2079 Depth=1
	s_or_b32 exec_lo, exec_lo, s17
.LBB259_3607:                           ;   in Loop: Header=BB259_2079 Depth=1
	s_or_b32 exec_lo, exec_lo, s15
	v_or_b32_e32 v4, v23, v21
	v_or_b32_e32 v5, v22, v20
	;; [unrolled: 1-line block ×4, first 2 shown]
	v_mul_f32_e32 v82, v93, v4
	v_mul_f32_e32 v81, v73, v5
	v_mul_f32_e32 v80, v73, v6
	v_mul_f32_e32 v71, v93, v8
	s_and_saveexec_b32 s8, s6
; %bb.3608:                             ;   in Loop: Header=BB259_2079 Depth=1
	v_cndmask_b32_e32 v81, 0, v81, vcc_lo
	v_cndmask_b32_e64 v82, 0, v82, s4
	v_cndmask_b32_e64 v80, 0, v80, s5
	;; [unrolled: 1-line block ×3, first 2 shown]
; %bb.3609:                             ;   in Loop: Header=BB259_2079 Depth=1
	s_or_b32 exec_lo, exec_lo, s8
	flat_load_dword v4, v[18:19] offset:1664
	v_mov_b32_e32 v22, 0
	v_mov_b32_e32 v20, 0
	;; [unrolled: 1-line block ×4, first 2 shown]
	s_waitcnt vmcnt(0) lgkmcnt(0)
	v_cmp_ne_u16_sdwa s8, v4, v7 src0_sel:BYTE_0 src1_sel:DWORD
	s_and_saveexec_b32 s15, s8
	s_cbranch_execz .LBB259_3617
; %bb.3610:                             ;   in Loop: Header=BB259_2079 Depth=1
	v_bfrev_b32_e32 v20, 1
	v_mov_b32_e32 v21, 0
	v_cmp_ne_u16_sdwa s8, v4, v75 src0_sel:BYTE_0 src1_sel:DWORD
	s_and_saveexec_b32 s17, s8
	s_cbranch_execz .LBB259_3616
; %bb.3611:                             ;   in Loop: Header=BB259_2079 Depth=1
	v_mov_b32_e32 v20, 0x7f800001
	v_and_b32_e32 v8, 0x7f, v4
	v_mov_b32_e32 v21, 0
	s_mov_b32 s21, exec_lo
	v_cmpx_ne_u32_e32 0x7f, v8
	s_cbranch_execz .LBB259_3615
; %bb.3612:                             ;   in Loop: Header=BB259_2079 Depth=1
	v_and_b32_e32 v6, 7, v4
	v_mov_b32_e32 v21, v7
	v_lshrrev_b32_e32 v5, 3, v8
	s_mov_b32 s22, exec_lo
	v_mov_b32_e32 v20, v6
	v_cmpx_gt_u32_e32 8, v8
; %bb.3613:                             ;   in Loop: Header=BB259_2079 Depth=1
	v_ffbh_u32_e32 v5, v6
	v_min_u32_e32 v5, 32, v5
	v_subrev_nc_u32_e32 v8, 28, v5
	v_sub_nc_u32_e32 v5, 29, v5
	v_lshlrev_b64 v[20:21], v8, v[6:7]
	v_and_b32_e32 v20, 7, v20
; %bb.3614:                             ;   in Loop: Header=BB259_2079 Depth=1
	s_or_b32 exec_lo, exec_lo, s22
	v_lshlrev_b32_e32 v6, 24, v4
	v_lshlrev_b32_e32 v8, 20, v20
	v_lshl_add_u32 v5, v5, 23, 0x3c000000
	v_and_b32_e32 v6, 0x80000000, v6
	v_or3_b32 v6, v8, v6, v5
	v_mov_b32_e32 v21, v7
	v_mov_b32_e32 v20, v6
.LBB259_3615:                           ;   in Loop: Header=BB259_2079 Depth=1
	s_or_b32 exec_lo, exec_lo, s21
.LBB259_3616:                           ;   in Loop: Header=BB259_2079 Depth=1
	s_or_b32 exec_lo, exec_lo, s17
.LBB259_3617:                           ;   in Loop: Header=BB259_2079 Depth=1
	s_or_b32 exec_lo, exec_lo, s15
	v_cmp_ne_u16_sdwa s8, v4, v7 src0_sel:BYTE_1 src1_sel:DWORD
	s_and_saveexec_b32 s15, s8
	s_cbranch_execz .LBB259_3625
; %bb.3618:                             ;   in Loop: Header=BB259_2079 Depth=1
	v_mov_b32_e32 v8, v7
	v_mov_b32_e32 v23, v9
	v_cmp_ne_u16_sdwa s8, v4, v75 src0_sel:BYTE_1 src1_sel:DWORD
	v_mov_b32_e32 v22, v8
	s_and_saveexec_b32 s17, s8
	s_cbranch_execz .LBB259_3624
; %bb.3619:                             ;   in Loop: Header=BB259_2079 Depth=1
	v_and_b32_sdwa v5, v76, v4 dst_sel:DWORD dst_unused:UNUSED_PAD src0_sel:DWORD src1_sel:BYTE_1
	v_mov_b32_e32 v10, v7
	v_mov_b32_e32 v23, v11
	s_mov_b32 s21, exec_lo
	v_and_b32_e32 v8, 0x7f, v5
	v_mov_b32_e32 v22, v10
	v_cmpx_ne_u32_e32 0x7f, v8
	s_cbranch_execz .LBB259_3623
; %bb.3620:                             ;   in Loop: Header=BB259_2079 Depth=1
	v_and_b32_e32 v6, 7, v5
	v_mov_b32_e32 v23, v7
	v_lshrrev_b32_e32 v5, 3, v8
	s_mov_b32 s22, exec_lo
	v_mov_b32_e32 v22, v6
	v_cmpx_gt_u32_e32 8, v8
; %bb.3621:                             ;   in Loop: Header=BB259_2079 Depth=1
	v_ffbh_u32_e32 v5, v6
	v_min_u32_e32 v5, 32, v5
	v_subrev_nc_u32_e32 v8, 28, v5
	v_sub_nc_u32_e32 v5, 29, v5
	v_lshlrev_b64 v[22:23], v8, v[6:7]
	v_and_b32_e32 v22, 7, v22
; %bb.3622:                             ;   in Loop: Header=BB259_2079 Depth=1
	s_or_b32 exec_lo, exec_lo, s22
	v_lshlrev_b32_e32 v6, 16, v4
	v_lshlrev_b32_e32 v8, 20, v22
	v_lshl_add_u32 v5, v5, 23, 0x3c000000
	v_mov_b32_e32 v22, v7
	v_and_b32_e32 v6, 0x80000000, v6
	v_or3_b32 v23, v8, v6, v5
.LBB259_3623:                           ;   in Loop: Header=BB259_2079 Depth=1
	s_or_b32 exec_lo, exec_lo, s21
.LBB259_3624:                           ;   in Loop: Header=BB259_2079 Depth=1
	s_or_b32 exec_lo, exec_lo, s17
.LBB259_3625:                           ;   in Loop: Header=BB259_2079 Depth=1
	s_or_b32 exec_lo, exec_lo, s15
	v_mov_b32_e32 v24, 0
	v_mov_b32_e32 v26, 0
	v_and_b32_sdwa v5, v4, v77 dst_sel:DWORD dst_unused:UNUSED_PAD src0_sel:WORD_1 src1_sel:DWORD
	v_mov_b32_e32 v25, 0
	v_mov_b32_e32 v27, 0
	s_mov_b32 s15, exec_lo
	v_cmpx_ne_u16_e32 0, v5
	s_cbranch_execz .LBB259_3633
; %bb.3626:                             ;   in Loop: Header=BB259_2079 Depth=1
	v_bfrev_b32_e32 v26, 1
	v_mov_b32_e32 v27, 0
	s_mov_b32 s17, exec_lo
	v_cmpx_ne_u16_e32 0x80, v5
	s_cbranch_execz .LBB259_3632
; %bb.3627:                             ;   in Loop: Header=BB259_2079 Depth=1
	v_mov_b32_e32 v26, 0x7f800001
	v_bfe_u32 v8, v4, 16, 7
	v_mov_b32_e32 v27, 0
	s_mov_b32 s21, exec_lo
	v_cmpx_ne_u32_e32 0x7f, v8
	s_cbranch_execz .LBB259_3631
; %bb.3628:                             ;   in Loop: Header=BB259_2079 Depth=1
	v_and_b32_sdwa v6, v4, v78 dst_sel:DWORD dst_unused:UNUSED_PAD src0_sel:WORD_1 src1_sel:DWORD
	v_mov_b32_e32 v27, v7
	v_lshrrev_b32_e32 v5, 3, v8
	s_mov_b32 s22, exec_lo
	v_mov_b32_e32 v26, v6
	v_cmpx_gt_u32_e32 8, v8
; %bb.3629:                             ;   in Loop: Header=BB259_2079 Depth=1
	v_ffbh_u32_e32 v5, v6
	v_min_u32_e32 v5, 32, v5
	v_subrev_nc_u32_e32 v8, 28, v5
	v_sub_nc_u32_e32 v5, 29, v5
	v_lshlrev_b64 v[26:27], v8, v[6:7]
	v_and_b32_e32 v26, 7, v26
; %bb.3630:                             ;   in Loop: Header=BB259_2079 Depth=1
	s_or_b32 exec_lo, exec_lo, s22
	v_lshlrev_b32_sdwa v6, v79, v4 dst_sel:DWORD dst_unused:UNUSED_PAD src0_sel:DWORD src1_sel:WORD_1
	v_lshlrev_b32_e32 v8, 20, v26
	v_lshl_add_u32 v5, v5, 23, 0x3c000000
	v_and_b32_e32 v6, 0x80000000, v6
	v_or3_b32 v6, v8, v6, v5
	v_mov_b32_e32 v27, v7
	v_mov_b32_e32 v26, v6
.LBB259_3631:                           ;   in Loop: Header=BB259_2079 Depth=1
	s_or_b32 exec_lo, exec_lo, s21
.LBB259_3632:                           ;   in Loop: Header=BB259_2079 Depth=1
	s_or_b32 exec_lo, exec_lo, s17
.LBB259_3633:                           ;   in Loop: Header=BB259_2079 Depth=1
	s_or_b32 exec_lo, exec_lo, s15
	s_mov_b32 s15, exec_lo
	v_cmpx_lt_u32_e32 0xffffff, v4
	s_cbranch_execz .LBB259_3641
; %bb.3634:                             ;   in Loop: Header=BB259_2079 Depth=1
	v_mov_b32_e32 v8, v7
	v_mov_b32_e32 v25, v9
	v_cmp_ne_u32_sdwa s8, v4, v75 src0_sel:BYTE_3 src1_sel:DWORD
	v_mov_b32_e32 v24, v8
	s_and_saveexec_b32 s17, s8
	s_cbranch_execz .LBB259_3640
; %bb.3635:                             ;   in Loop: Header=BB259_2079 Depth=1
	v_mov_b32_e32 v10, v7
	v_mov_b32_e32 v25, v11
	v_bfe_u32 v8, v4, 24, 7
	s_mov_b32 s21, exec_lo
	v_mov_b32_e32 v24, v10
	v_cmpx_ne_u32_e32 0x7f, v8
	s_cbranch_execz .LBB259_3639
; %bb.3636:                             ;   in Loop: Header=BB259_2079 Depth=1
	v_and_b32_sdwa v6, v4, v78 dst_sel:DWORD dst_unused:UNUSED_PAD src0_sel:BYTE_3 src1_sel:DWORD
	v_mov_b32_e32 v25, v7
	v_lshrrev_b32_e32 v5, 3, v8
	s_mov_b32 s22, exec_lo
	v_mov_b32_e32 v24, v6
	v_cmpx_gt_u32_e32 8, v8
; %bb.3637:                             ;   in Loop: Header=BB259_2079 Depth=1
	v_ffbh_u32_e32 v5, v6
	v_min_u32_e32 v5, 32, v5
	v_subrev_nc_u32_e32 v8, 28, v5
	v_sub_nc_u32_e32 v5, 29, v5
	v_lshlrev_b64 v[24:25], v8, v[6:7]
	v_and_b32_e32 v24, 7, v24
; %bb.3638:                             ;   in Loop: Header=BB259_2079 Depth=1
	s_or_b32 exec_lo, exec_lo, s22
	v_lshlrev_b32_sdwa v4, v79, v4 dst_sel:DWORD dst_unused:UNUSED_PAD src0_sel:DWORD src1_sel:BYTE_3
	v_lshlrev_b32_e32 v6, 20, v24
	v_lshl_add_u32 v5, v5, 23, 0x3c000000
	v_mov_b32_e32 v24, v7
	v_and_b32_e32 v4, 0x80000000, v4
	v_or3_b32 v25, v6, v4, v5
.LBB259_3639:                           ;   in Loop: Header=BB259_2079 Depth=1
	s_or_b32 exec_lo, exec_lo, s21
.LBB259_3640:                           ;   in Loop: Header=BB259_2079 Depth=1
	s_or_b32 exec_lo, exec_lo, s17
.LBB259_3641:                           ;   in Loop: Header=BB259_2079 Depth=1
	s_or_b32 exec_lo, exec_lo, s15
	v_or_b32_e32 v4, v23, v21
	v_or_b32_e32 v5, v22, v20
	;; [unrolled: 1-line block ×4, first 2 shown]
	v_mul_f32_e32 v86, v93, v4
	v_mul_f32_e32 v85, v73, v5
	;; [unrolled: 1-line block ×4, first 2 shown]
	s_and_saveexec_b32 s8, s6
; %bb.3642:                             ;   in Loop: Header=BB259_2079 Depth=1
	v_cndmask_b32_e32 v85, 0, v85, vcc_lo
	v_cndmask_b32_e64 v86, 0, v86, s4
	v_cndmask_b32_e64 v84, 0, v84, s5
	;; [unrolled: 1-line block ×3, first 2 shown]
; %bb.3643:                             ;   in Loop: Header=BB259_2079 Depth=1
	s_or_b32 exec_lo, exec_lo, s8
	flat_load_dword v4, v[18:19] offset:1792
	v_mov_b32_e32 v22, 0
	v_mov_b32_e32 v20, 0
	;; [unrolled: 1-line block ×4, first 2 shown]
	s_waitcnt vmcnt(0) lgkmcnt(0)
	v_cmp_ne_u16_sdwa s8, v4, v7 src0_sel:BYTE_0 src1_sel:DWORD
	s_and_saveexec_b32 s15, s8
	s_cbranch_execz .LBB259_3651
; %bb.3644:                             ;   in Loop: Header=BB259_2079 Depth=1
	v_bfrev_b32_e32 v20, 1
	v_mov_b32_e32 v21, 0
	v_cmp_ne_u16_sdwa s8, v4, v75 src0_sel:BYTE_0 src1_sel:DWORD
	s_and_saveexec_b32 s17, s8
	s_cbranch_execz .LBB259_3650
; %bb.3645:                             ;   in Loop: Header=BB259_2079 Depth=1
	v_mov_b32_e32 v20, 0x7f800001
	v_and_b32_e32 v8, 0x7f, v4
	v_mov_b32_e32 v21, 0
	s_mov_b32 s21, exec_lo
	v_cmpx_ne_u32_e32 0x7f, v8
	s_cbranch_execz .LBB259_3649
; %bb.3646:                             ;   in Loop: Header=BB259_2079 Depth=1
	v_and_b32_e32 v6, 7, v4
	v_mov_b32_e32 v21, v7
	v_lshrrev_b32_e32 v5, 3, v8
	s_mov_b32 s22, exec_lo
	v_mov_b32_e32 v20, v6
	v_cmpx_gt_u32_e32 8, v8
; %bb.3647:                             ;   in Loop: Header=BB259_2079 Depth=1
	v_ffbh_u32_e32 v5, v6
	v_min_u32_e32 v5, 32, v5
	v_subrev_nc_u32_e32 v8, 28, v5
	v_sub_nc_u32_e32 v5, 29, v5
	v_lshlrev_b64 v[20:21], v8, v[6:7]
	v_and_b32_e32 v20, 7, v20
; %bb.3648:                             ;   in Loop: Header=BB259_2079 Depth=1
	s_or_b32 exec_lo, exec_lo, s22
	v_lshlrev_b32_e32 v6, 24, v4
	v_lshlrev_b32_e32 v8, 20, v20
	v_lshl_add_u32 v5, v5, 23, 0x3c000000
	v_and_b32_e32 v6, 0x80000000, v6
	v_or3_b32 v6, v8, v6, v5
	v_mov_b32_e32 v21, v7
	v_mov_b32_e32 v20, v6
.LBB259_3649:                           ;   in Loop: Header=BB259_2079 Depth=1
	s_or_b32 exec_lo, exec_lo, s21
.LBB259_3650:                           ;   in Loop: Header=BB259_2079 Depth=1
	s_or_b32 exec_lo, exec_lo, s17
.LBB259_3651:                           ;   in Loop: Header=BB259_2079 Depth=1
	s_or_b32 exec_lo, exec_lo, s15
	v_cmp_ne_u16_sdwa s8, v4, v7 src0_sel:BYTE_1 src1_sel:DWORD
	s_and_saveexec_b32 s15, s8
	s_cbranch_execz .LBB259_3659
; %bb.3652:                             ;   in Loop: Header=BB259_2079 Depth=1
	v_mov_b32_e32 v8, v7
	v_mov_b32_e32 v23, v9
	v_cmp_ne_u16_sdwa s8, v4, v75 src0_sel:BYTE_1 src1_sel:DWORD
	v_mov_b32_e32 v22, v8
	s_and_saveexec_b32 s17, s8
	s_cbranch_execz .LBB259_3658
; %bb.3653:                             ;   in Loop: Header=BB259_2079 Depth=1
	v_and_b32_sdwa v5, v76, v4 dst_sel:DWORD dst_unused:UNUSED_PAD src0_sel:DWORD src1_sel:BYTE_1
	v_mov_b32_e32 v10, v7
	v_mov_b32_e32 v23, v11
	s_mov_b32 s21, exec_lo
	v_and_b32_e32 v8, 0x7f, v5
	v_mov_b32_e32 v22, v10
	v_cmpx_ne_u32_e32 0x7f, v8
	s_cbranch_execz .LBB259_3657
; %bb.3654:                             ;   in Loop: Header=BB259_2079 Depth=1
	v_and_b32_e32 v6, 7, v5
	v_mov_b32_e32 v23, v7
	v_lshrrev_b32_e32 v5, 3, v8
	s_mov_b32 s22, exec_lo
	v_mov_b32_e32 v22, v6
	v_cmpx_gt_u32_e32 8, v8
; %bb.3655:                             ;   in Loop: Header=BB259_2079 Depth=1
	v_ffbh_u32_e32 v5, v6
	v_min_u32_e32 v5, 32, v5
	v_subrev_nc_u32_e32 v8, 28, v5
	v_sub_nc_u32_e32 v5, 29, v5
	v_lshlrev_b64 v[22:23], v8, v[6:7]
	v_and_b32_e32 v22, 7, v22
; %bb.3656:                             ;   in Loop: Header=BB259_2079 Depth=1
	s_or_b32 exec_lo, exec_lo, s22
	v_lshlrev_b32_e32 v6, 16, v4
	v_lshlrev_b32_e32 v8, 20, v22
	v_lshl_add_u32 v5, v5, 23, 0x3c000000
	v_mov_b32_e32 v22, v7
	v_and_b32_e32 v6, 0x80000000, v6
	v_or3_b32 v23, v8, v6, v5
.LBB259_3657:                           ;   in Loop: Header=BB259_2079 Depth=1
	s_or_b32 exec_lo, exec_lo, s21
.LBB259_3658:                           ;   in Loop: Header=BB259_2079 Depth=1
	s_or_b32 exec_lo, exec_lo, s17
.LBB259_3659:                           ;   in Loop: Header=BB259_2079 Depth=1
	s_or_b32 exec_lo, exec_lo, s15
	v_mov_b32_e32 v24, 0
	v_mov_b32_e32 v26, 0
	v_and_b32_sdwa v5, v4, v77 dst_sel:DWORD dst_unused:UNUSED_PAD src0_sel:WORD_1 src1_sel:DWORD
	v_mov_b32_e32 v25, 0
	v_mov_b32_e32 v27, 0
	s_mov_b32 s15, exec_lo
	v_cmpx_ne_u16_e32 0, v5
	s_cbranch_execz .LBB259_3667
; %bb.3660:                             ;   in Loop: Header=BB259_2079 Depth=1
	v_bfrev_b32_e32 v26, 1
	v_mov_b32_e32 v27, 0
	s_mov_b32 s17, exec_lo
	v_cmpx_ne_u16_e32 0x80, v5
	s_cbranch_execz .LBB259_3666
; %bb.3661:                             ;   in Loop: Header=BB259_2079 Depth=1
	v_mov_b32_e32 v26, 0x7f800001
	v_bfe_u32 v8, v4, 16, 7
	v_mov_b32_e32 v27, 0
	s_mov_b32 s21, exec_lo
	v_cmpx_ne_u32_e32 0x7f, v8
	s_cbranch_execz .LBB259_3665
; %bb.3662:                             ;   in Loop: Header=BB259_2079 Depth=1
	v_and_b32_sdwa v6, v4, v78 dst_sel:DWORD dst_unused:UNUSED_PAD src0_sel:WORD_1 src1_sel:DWORD
	v_mov_b32_e32 v27, v7
	v_lshrrev_b32_e32 v5, 3, v8
	s_mov_b32 s22, exec_lo
	v_mov_b32_e32 v26, v6
	v_cmpx_gt_u32_e32 8, v8
; %bb.3663:                             ;   in Loop: Header=BB259_2079 Depth=1
	v_ffbh_u32_e32 v5, v6
	v_min_u32_e32 v5, 32, v5
	v_subrev_nc_u32_e32 v8, 28, v5
	v_sub_nc_u32_e32 v5, 29, v5
	v_lshlrev_b64 v[26:27], v8, v[6:7]
	v_and_b32_e32 v26, 7, v26
; %bb.3664:                             ;   in Loop: Header=BB259_2079 Depth=1
	s_or_b32 exec_lo, exec_lo, s22
	v_lshlrev_b32_sdwa v6, v79, v4 dst_sel:DWORD dst_unused:UNUSED_PAD src0_sel:DWORD src1_sel:WORD_1
	v_lshlrev_b32_e32 v8, 20, v26
	v_lshl_add_u32 v5, v5, 23, 0x3c000000
	v_and_b32_e32 v6, 0x80000000, v6
	v_or3_b32 v6, v8, v6, v5
	v_mov_b32_e32 v27, v7
	v_mov_b32_e32 v26, v6
.LBB259_3665:                           ;   in Loop: Header=BB259_2079 Depth=1
	s_or_b32 exec_lo, exec_lo, s21
.LBB259_3666:                           ;   in Loop: Header=BB259_2079 Depth=1
	s_or_b32 exec_lo, exec_lo, s17
.LBB259_3667:                           ;   in Loop: Header=BB259_2079 Depth=1
	s_or_b32 exec_lo, exec_lo, s15
	s_mov_b32 s15, exec_lo
	v_cmpx_lt_u32_e32 0xffffff, v4
	s_cbranch_execz .LBB259_3675
; %bb.3668:                             ;   in Loop: Header=BB259_2079 Depth=1
	v_mov_b32_e32 v8, v7
	v_mov_b32_e32 v25, v9
	v_cmp_ne_u32_sdwa s8, v4, v75 src0_sel:BYTE_3 src1_sel:DWORD
	v_mov_b32_e32 v24, v8
	s_and_saveexec_b32 s17, s8
	s_cbranch_execz .LBB259_3674
; %bb.3669:                             ;   in Loop: Header=BB259_2079 Depth=1
	v_mov_b32_e32 v10, v7
	v_mov_b32_e32 v25, v11
	v_bfe_u32 v8, v4, 24, 7
	s_mov_b32 s21, exec_lo
	v_mov_b32_e32 v24, v10
	v_cmpx_ne_u32_e32 0x7f, v8
	s_cbranch_execz .LBB259_3673
; %bb.3670:                             ;   in Loop: Header=BB259_2079 Depth=1
	v_and_b32_sdwa v6, v4, v78 dst_sel:DWORD dst_unused:UNUSED_PAD src0_sel:BYTE_3 src1_sel:DWORD
	v_mov_b32_e32 v25, v7
	v_lshrrev_b32_e32 v5, 3, v8
	s_mov_b32 s22, exec_lo
	v_mov_b32_e32 v24, v6
	v_cmpx_gt_u32_e32 8, v8
; %bb.3671:                             ;   in Loop: Header=BB259_2079 Depth=1
	v_ffbh_u32_e32 v5, v6
	v_min_u32_e32 v5, 32, v5
	v_subrev_nc_u32_e32 v8, 28, v5
	v_sub_nc_u32_e32 v5, 29, v5
	v_lshlrev_b64 v[24:25], v8, v[6:7]
	v_and_b32_e32 v24, 7, v24
; %bb.3672:                             ;   in Loop: Header=BB259_2079 Depth=1
	s_or_b32 exec_lo, exec_lo, s22
	v_lshlrev_b32_sdwa v4, v79, v4 dst_sel:DWORD dst_unused:UNUSED_PAD src0_sel:DWORD src1_sel:BYTE_3
	v_lshlrev_b32_e32 v6, 20, v24
	v_lshl_add_u32 v5, v5, 23, 0x3c000000
	v_mov_b32_e32 v24, v7
	v_and_b32_e32 v4, 0x80000000, v4
	v_or3_b32 v25, v6, v4, v5
.LBB259_3673:                           ;   in Loop: Header=BB259_2079 Depth=1
	s_or_b32 exec_lo, exec_lo, s21
.LBB259_3674:                           ;   in Loop: Header=BB259_2079 Depth=1
	s_or_b32 exec_lo, exec_lo, s17
.LBB259_3675:                           ;   in Loop: Header=BB259_2079 Depth=1
	s_or_b32 exec_lo, exec_lo, s15
	v_or_b32_e32 v4, v23, v21
	v_or_b32_e32 v5, v22, v20
	;; [unrolled: 1-line block ×4, first 2 shown]
	v_mul_f32_e32 v96, v93, v4
	v_mul_f32_e32 v87, v73, v5
	;; [unrolled: 1-line block ×4, first 2 shown]
	s_and_saveexec_b32 s8, s6
; %bb.3676:                             ;   in Loop: Header=BB259_2079 Depth=1
	v_cndmask_b32_e32 v87, 0, v87, vcc_lo
	v_cndmask_b32_e64 v96, 0, v96, s4
	v_cndmask_b32_e64 v27, 0, v27, s5
	;; [unrolled: 1-line block ×3, first 2 shown]
; %bb.3677:                             ;   in Loop: Header=BB259_2079 Depth=1
	s_or_b32 exec_lo, exec_lo, s8
	flat_load_dword v4, v[18:19] offset:1920
	v_mov_b32_e32 v20, 0
	v_mov_b32_e32 v18, 0
	;; [unrolled: 1-line block ×4, first 2 shown]
	s_waitcnt vmcnt(0) lgkmcnt(0)
	v_cmp_ne_u16_sdwa s8, v4, v7 src0_sel:BYTE_0 src1_sel:DWORD
	s_and_saveexec_b32 s15, s8
	s_cbranch_execz .LBB259_3685
; %bb.3678:                             ;   in Loop: Header=BB259_2079 Depth=1
	v_bfrev_b32_e32 v18, 1
	v_mov_b32_e32 v19, 0
	v_cmp_ne_u16_sdwa s8, v4, v75 src0_sel:BYTE_0 src1_sel:DWORD
	s_and_saveexec_b32 s17, s8
	s_cbranch_execz .LBB259_3684
; %bb.3679:                             ;   in Loop: Header=BB259_2079 Depth=1
	v_mov_b32_e32 v18, 0x7f800001
	v_and_b32_e32 v8, 0x7f, v4
	v_mov_b32_e32 v19, 0
	s_mov_b32 s21, exec_lo
	v_cmpx_ne_u32_e32 0x7f, v8
	s_cbranch_execz .LBB259_3683
; %bb.3680:                             ;   in Loop: Header=BB259_2079 Depth=1
	v_and_b32_e32 v6, 7, v4
	v_mov_b32_e32 v19, v7
	v_lshrrev_b32_e32 v5, 3, v8
	s_mov_b32 s22, exec_lo
	v_mov_b32_e32 v18, v6
	v_cmpx_gt_u32_e32 8, v8
; %bb.3681:                             ;   in Loop: Header=BB259_2079 Depth=1
	v_ffbh_u32_e32 v5, v6
	v_min_u32_e32 v5, 32, v5
	v_subrev_nc_u32_e32 v8, 28, v5
	v_sub_nc_u32_e32 v5, 29, v5
	v_lshlrev_b64 v[18:19], v8, v[6:7]
	v_and_b32_e32 v18, 7, v18
; %bb.3682:                             ;   in Loop: Header=BB259_2079 Depth=1
	s_or_b32 exec_lo, exec_lo, s22
	v_lshlrev_b32_e32 v6, 24, v4
	v_lshlrev_b32_e32 v8, 20, v18
	v_lshl_add_u32 v5, v5, 23, 0x3c000000
	v_and_b32_e32 v6, 0x80000000, v6
	v_or3_b32 v6, v8, v6, v5
	v_mov_b32_e32 v19, v7
	v_mov_b32_e32 v18, v6
.LBB259_3683:                           ;   in Loop: Header=BB259_2079 Depth=1
	s_or_b32 exec_lo, exec_lo, s21
.LBB259_3684:                           ;   in Loop: Header=BB259_2079 Depth=1
	s_or_b32 exec_lo, exec_lo, s17
.LBB259_3685:                           ;   in Loop: Header=BB259_2079 Depth=1
	s_or_b32 exec_lo, exec_lo, s15
	v_cmp_ne_u16_sdwa s8, v4, v7 src0_sel:BYTE_1 src1_sel:DWORD
	s_and_saveexec_b32 s15, s8
	s_cbranch_execz .LBB259_3693
; %bb.3686:                             ;   in Loop: Header=BB259_2079 Depth=1
	v_mov_b32_e32 v8, v7
	v_mov_b32_e32 v21, v9
	v_cmp_ne_u16_sdwa s8, v4, v75 src0_sel:BYTE_1 src1_sel:DWORD
	v_mov_b32_e32 v20, v8
	s_and_saveexec_b32 s17, s8
	s_cbranch_execz .LBB259_3692
; %bb.3687:                             ;   in Loop: Header=BB259_2079 Depth=1
	v_and_b32_sdwa v5, v76, v4 dst_sel:DWORD dst_unused:UNUSED_PAD src0_sel:DWORD src1_sel:BYTE_1
	v_mov_b32_e32 v10, v7
	v_mov_b32_e32 v21, v11
	s_mov_b32 s21, exec_lo
	v_and_b32_e32 v8, 0x7f, v5
	v_mov_b32_e32 v20, v10
	v_cmpx_ne_u32_e32 0x7f, v8
	s_cbranch_execz .LBB259_3691
; %bb.3688:                             ;   in Loop: Header=BB259_2079 Depth=1
	v_and_b32_e32 v6, 7, v5
	v_mov_b32_e32 v21, v7
	v_lshrrev_b32_e32 v5, 3, v8
	s_mov_b32 s22, exec_lo
	v_mov_b32_e32 v20, v6
	v_cmpx_gt_u32_e32 8, v8
; %bb.3689:                             ;   in Loop: Header=BB259_2079 Depth=1
	v_ffbh_u32_e32 v5, v6
	v_min_u32_e32 v5, 32, v5
	v_subrev_nc_u32_e32 v8, 28, v5
	v_sub_nc_u32_e32 v5, 29, v5
	v_lshlrev_b64 v[20:21], v8, v[6:7]
	v_and_b32_e32 v20, 7, v20
; %bb.3690:                             ;   in Loop: Header=BB259_2079 Depth=1
	s_or_b32 exec_lo, exec_lo, s22
	v_lshlrev_b32_e32 v6, 16, v4
	v_lshlrev_b32_e32 v8, 20, v20
	v_lshl_add_u32 v5, v5, 23, 0x3c000000
	v_mov_b32_e32 v20, v7
	v_and_b32_e32 v6, 0x80000000, v6
	v_or3_b32 v21, v8, v6, v5
.LBB259_3691:                           ;   in Loop: Header=BB259_2079 Depth=1
	s_or_b32 exec_lo, exec_lo, s21
.LBB259_3692:                           ;   in Loop: Header=BB259_2079 Depth=1
	s_or_b32 exec_lo, exec_lo, s17
.LBB259_3693:                           ;   in Loop: Header=BB259_2079 Depth=1
	s_or_b32 exec_lo, exec_lo, s15
	v_mov_b32_e32 v22, 0
	v_mov_b32_e32 v24, 0
	v_and_b32_sdwa v5, v4, v77 dst_sel:DWORD dst_unused:UNUSED_PAD src0_sel:WORD_1 src1_sel:DWORD
	v_mov_b32_e32 v23, 0
	v_mov_b32_e32 v25, 0
	s_mov_b32 s15, exec_lo
	v_cmpx_ne_u16_e32 0, v5
	s_cbranch_execz .LBB259_3701
; %bb.3694:                             ;   in Loop: Header=BB259_2079 Depth=1
	v_bfrev_b32_e32 v24, 1
	v_mov_b32_e32 v25, 0
	s_mov_b32 s17, exec_lo
	v_cmpx_ne_u16_e32 0x80, v5
	s_cbranch_execz .LBB259_3700
; %bb.3695:                             ;   in Loop: Header=BB259_2079 Depth=1
	v_mov_b32_e32 v24, 0x7f800001
	v_bfe_u32 v8, v4, 16, 7
	v_mov_b32_e32 v25, 0
	s_mov_b32 s21, exec_lo
	v_cmpx_ne_u32_e32 0x7f, v8
	s_cbranch_execz .LBB259_3699
; %bb.3696:                             ;   in Loop: Header=BB259_2079 Depth=1
	v_and_b32_sdwa v6, v4, v78 dst_sel:DWORD dst_unused:UNUSED_PAD src0_sel:WORD_1 src1_sel:DWORD
	v_mov_b32_e32 v25, v7
	v_lshrrev_b32_e32 v5, 3, v8
	s_mov_b32 s22, exec_lo
	v_mov_b32_e32 v24, v6
	v_cmpx_gt_u32_e32 8, v8
; %bb.3697:                             ;   in Loop: Header=BB259_2079 Depth=1
	v_ffbh_u32_e32 v5, v6
	v_min_u32_e32 v5, 32, v5
	v_subrev_nc_u32_e32 v8, 28, v5
	v_sub_nc_u32_e32 v5, 29, v5
	v_lshlrev_b64 v[24:25], v8, v[6:7]
	v_and_b32_e32 v24, 7, v24
; %bb.3698:                             ;   in Loop: Header=BB259_2079 Depth=1
	s_or_b32 exec_lo, exec_lo, s22
	v_lshlrev_b32_sdwa v6, v79, v4 dst_sel:DWORD dst_unused:UNUSED_PAD src0_sel:DWORD src1_sel:WORD_1
	v_lshlrev_b32_e32 v8, 20, v24
	v_lshl_add_u32 v5, v5, 23, 0x3c000000
	v_and_b32_e32 v6, 0x80000000, v6
	v_or3_b32 v6, v8, v6, v5
	v_mov_b32_e32 v25, v7
	v_mov_b32_e32 v24, v6
.LBB259_3699:                           ;   in Loop: Header=BB259_2079 Depth=1
	s_or_b32 exec_lo, exec_lo, s21
.LBB259_3700:                           ;   in Loop: Header=BB259_2079 Depth=1
	s_or_b32 exec_lo, exec_lo, s17
.LBB259_3701:                           ;   in Loop: Header=BB259_2079 Depth=1
	s_or_b32 exec_lo, exec_lo, s15
	s_mov_b32 s15, exec_lo
	v_cmpx_lt_u32_e32 0xffffff, v4
	s_cbranch_execz .LBB259_3709
; %bb.3702:                             ;   in Loop: Header=BB259_2079 Depth=1
	v_mov_b32_e32 v8, v7
	v_mov_b32_e32 v23, v9
	v_cmp_ne_u32_sdwa s8, v4, v75 src0_sel:BYTE_3 src1_sel:DWORD
	v_mov_b32_e32 v22, v8
	s_and_saveexec_b32 s17, s8
	s_cbranch_execz .LBB259_3708
; %bb.3703:                             ;   in Loop: Header=BB259_2079 Depth=1
	v_mov_b32_e32 v10, v7
	v_mov_b32_e32 v23, v11
	v_bfe_u32 v8, v4, 24, 7
	s_mov_b32 s21, exec_lo
	v_mov_b32_e32 v22, v10
	v_cmpx_ne_u32_e32 0x7f, v8
	s_cbranch_execz .LBB259_3707
; %bb.3704:                             ;   in Loop: Header=BB259_2079 Depth=1
	v_and_b32_sdwa v6, v4, v78 dst_sel:DWORD dst_unused:UNUSED_PAD src0_sel:BYTE_3 src1_sel:DWORD
	v_mov_b32_e32 v23, v7
	v_lshrrev_b32_e32 v5, 3, v8
	s_mov_b32 s22, exec_lo
	v_mov_b32_e32 v22, v6
	v_cmpx_gt_u32_e32 8, v8
; %bb.3705:                             ;   in Loop: Header=BB259_2079 Depth=1
	v_ffbh_u32_e32 v5, v6
	v_min_u32_e32 v5, 32, v5
	v_subrev_nc_u32_e32 v8, 28, v5
	v_sub_nc_u32_e32 v5, 29, v5
	v_lshlrev_b64 v[22:23], v8, v[6:7]
	v_and_b32_e32 v22, 7, v22
; %bb.3706:                             ;   in Loop: Header=BB259_2079 Depth=1
	s_or_b32 exec_lo, exec_lo, s22
	v_lshlrev_b32_sdwa v4, v79, v4 dst_sel:DWORD dst_unused:UNUSED_PAD src0_sel:DWORD src1_sel:BYTE_3
	v_lshlrev_b32_e32 v6, 20, v22
	v_lshl_add_u32 v5, v5, 23, 0x3c000000
	v_mov_b32_e32 v22, v7
	v_and_b32_e32 v4, 0x80000000, v4
	v_or3_b32 v23, v6, v4, v5
.LBB259_3707:                           ;   in Loop: Header=BB259_2079 Depth=1
	s_or_b32 exec_lo, exec_lo, s21
.LBB259_3708:                           ;   in Loop: Header=BB259_2079 Depth=1
	s_or_b32 exec_lo, exec_lo, s17
.LBB259_3709:                           ;   in Loop: Header=BB259_2079 Depth=1
	s_or_b32 exec_lo, exec_lo, s15
	v_or_b32_e32 v4, v21, v19
	v_or_b32_e32 v5, v20, v18
	;; [unrolled: 1-line block ×4, first 2 shown]
	v_mul_f32_e32 v123, v93, v4
	v_mul_f32_e32 v31, v73, v5
	;; [unrolled: 1-line block ×4, first 2 shown]
	s_and_saveexec_b32 s8, s6
; %bb.3710:                             ;   in Loop: Header=BB259_2079 Depth=1
	v_cndmask_b32_e32 v31, 0, v31, vcc_lo
	v_cndmask_b32_e64 v123, 0, v123, s4
	v_cndmask_b32_e64 v98, 0, v98, s5
	;; [unrolled: 1-line block ×3, first 2 shown]
; %bb.3711:                             ;   in Loop: Header=BB259_2079 Depth=1
	s_or_b32 exec_lo, exec_lo, s8
	v_add_co_u32 v16, s8, 0x1800, v16
	v_add_co_ci_u32_e64 v17, null, 0, v17, s8
	v_mov_b32_e32 v20, 0
	v_mov_b32_e32 v18, 0
	;; [unrolled: 1-line block ×3, first 2 shown]
	flat_load_dword v4, v[16:17]
	v_mov_b32_e32 v19, 0
	s_waitcnt vmcnt(0) lgkmcnt(0)
	v_cmp_ne_u16_sdwa s8, v4, v7 src0_sel:BYTE_0 src1_sel:DWORD
	s_and_saveexec_b32 s15, s8
	s_cbranch_execz .LBB259_3719
; %bb.3712:                             ;   in Loop: Header=BB259_2079 Depth=1
	v_bfrev_b32_e32 v18, 1
	v_mov_b32_e32 v19, 0
	v_cmp_ne_u16_sdwa s8, v4, v75 src0_sel:BYTE_0 src1_sel:DWORD
	s_and_saveexec_b32 s17, s8
	s_cbranch_execz .LBB259_3718
; %bb.3713:                             ;   in Loop: Header=BB259_2079 Depth=1
	v_mov_b32_e32 v18, 0x7f800001
	v_and_b32_e32 v8, 0x7f, v4
	v_mov_b32_e32 v19, 0
	s_mov_b32 s21, exec_lo
	v_cmpx_ne_u32_e32 0x7f, v8
	s_cbranch_execz .LBB259_3717
; %bb.3714:                             ;   in Loop: Header=BB259_2079 Depth=1
	v_and_b32_e32 v6, 7, v4
	v_mov_b32_e32 v19, v7
	v_lshrrev_b32_e32 v5, 3, v8
	s_mov_b32 s22, exec_lo
	v_mov_b32_e32 v18, v6
	v_cmpx_gt_u32_e32 8, v8
; %bb.3715:                             ;   in Loop: Header=BB259_2079 Depth=1
	v_ffbh_u32_e32 v5, v6
	v_min_u32_e32 v5, 32, v5
	v_subrev_nc_u32_e32 v8, 28, v5
	v_sub_nc_u32_e32 v5, 29, v5
	v_lshlrev_b64 v[18:19], v8, v[6:7]
	v_and_b32_e32 v18, 7, v18
; %bb.3716:                             ;   in Loop: Header=BB259_2079 Depth=1
	s_or_b32 exec_lo, exec_lo, s22
	v_lshlrev_b32_e32 v6, 24, v4
	v_lshlrev_b32_e32 v8, 20, v18
	v_lshl_add_u32 v5, v5, 23, 0x3c000000
	v_and_b32_e32 v6, 0x80000000, v6
	v_or3_b32 v6, v8, v6, v5
	v_mov_b32_e32 v19, v7
	v_mov_b32_e32 v18, v6
.LBB259_3717:                           ;   in Loop: Header=BB259_2079 Depth=1
	s_or_b32 exec_lo, exec_lo, s21
.LBB259_3718:                           ;   in Loop: Header=BB259_2079 Depth=1
	s_or_b32 exec_lo, exec_lo, s17
.LBB259_3719:                           ;   in Loop: Header=BB259_2079 Depth=1
	s_or_b32 exec_lo, exec_lo, s15
	v_cmp_ne_u16_sdwa s8, v4, v7 src0_sel:BYTE_1 src1_sel:DWORD
	s_and_saveexec_b32 s15, s8
	s_cbranch_execz .LBB259_3727
; %bb.3720:                             ;   in Loop: Header=BB259_2079 Depth=1
	v_mov_b32_e32 v8, v7
	v_mov_b32_e32 v21, v9
	v_cmp_ne_u16_sdwa s8, v4, v75 src0_sel:BYTE_1 src1_sel:DWORD
	v_mov_b32_e32 v20, v8
	s_and_saveexec_b32 s17, s8
	s_cbranch_execz .LBB259_3726
; %bb.3721:                             ;   in Loop: Header=BB259_2079 Depth=1
	v_and_b32_sdwa v5, v76, v4 dst_sel:DWORD dst_unused:UNUSED_PAD src0_sel:DWORD src1_sel:BYTE_1
	v_mov_b32_e32 v10, v7
	v_mov_b32_e32 v21, v11
	s_mov_b32 s21, exec_lo
	v_and_b32_e32 v8, 0x7f, v5
	v_mov_b32_e32 v20, v10
	v_cmpx_ne_u32_e32 0x7f, v8
	s_cbranch_execz .LBB259_3725
; %bb.3722:                             ;   in Loop: Header=BB259_2079 Depth=1
	v_and_b32_e32 v6, 7, v5
	v_mov_b32_e32 v21, v7
	v_lshrrev_b32_e32 v5, 3, v8
	s_mov_b32 s22, exec_lo
	v_mov_b32_e32 v20, v6
	v_cmpx_gt_u32_e32 8, v8
; %bb.3723:                             ;   in Loop: Header=BB259_2079 Depth=1
	v_ffbh_u32_e32 v5, v6
	v_min_u32_e32 v5, 32, v5
	v_subrev_nc_u32_e32 v8, 28, v5
	v_sub_nc_u32_e32 v5, 29, v5
	v_lshlrev_b64 v[20:21], v8, v[6:7]
	v_and_b32_e32 v20, 7, v20
; %bb.3724:                             ;   in Loop: Header=BB259_2079 Depth=1
	s_or_b32 exec_lo, exec_lo, s22
	v_lshlrev_b32_e32 v6, 16, v4
	v_lshlrev_b32_e32 v8, 20, v20
	v_lshl_add_u32 v5, v5, 23, 0x3c000000
	v_mov_b32_e32 v20, v7
	v_and_b32_e32 v6, 0x80000000, v6
	v_or3_b32 v21, v8, v6, v5
.LBB259_3725:                           ;   in Loop: Header=BB259_2079 Depth=1
	s_or_b32 exec_lo, exec_lo, s21
.LBB259_3726:                           ;   in Loop: Header=BB259_2079 Depth=1
	s_or_b32 exec_lo, exec_lo, s17
.LBB259_3727:                           ;   in Loop: Header=BB259_2079 Depth=1
	s_or_b32 exec_lo, exec_lo, s15
	v_mov_b32_e32 v22, 0
	v_mov_b32_e32 v24, 0
	v_and_b32_sdwa v5, v4, v77 dst_sel:DWORD dst_unused:UNUSED_PAD src0_sel:WORD_1 src1_sel:DWORD
	v_mov_b32_e32 v23, 0
	v_mov_b32_e32 v25, 0
	s_mov_b32 s15, exec_lo
	v_cmpx_ne_u16_e32 0, v5
	s_cbranch_execz .LBB259_3735
; %bb.3728:                             ;   in Loop: Header=BB259_2079 Depth=1
	v_bfrev_b32_e32 v24, 1
	v_mov_b32_e32 v25, 0
	s_mov_b32 s17, exec_lo
	v_cmpx_ne_u16_e32 0x80, v5
	s_cbranch_execz .LBB259_3734
; %bb.3729:                             ;   in Loop: Header=BB259_2079 Depth=1
	v_mov_b32_e32 v24, 0x7f800001
	v_bfe_u32 v8, v4, 16, 7
	v_mov_b32_e32 v25, 0
	s_mov_b32 s21, exec_lo
	v_cmpx_ne_u32_e32 0x7f, v8
	s_cbranch_execz .LBB259_3733
; %bb.3730:                             ;   in Loop: Header=BB259_2079 Depth=1
	v_and_b32_sdwa v6, v4, v78 dst_sel:DWORD dst_unused:UNUSED_PAD src0_sel:WORD_1 src1_sel:DWORD
	v_mov_b32_e32 v25, v7
	v_lshrrev_b32_e32 v5, 3, v8
	s_mov_b32 s22, exec_lo
	v_mov_b32_e32 v24, v6
	v_cmpx_gt_u32_e32 8, v8
; %bb.3731:                             ;   in Loop: Header=BB259_2079 Depth=1
	v_ffbh_u32_e32 v5, v6
	v_min_u32_e32 v5, 32, v5
	v_subrev_nc_u32_e32 v8, 28, v5
	v_sub_nc_u32_e32 v5, 29, v5
	v_lshlrev_b64 v[24:25], v8, v[6:7]
	v_and_b32_e32 v24, 7, v24
; %bb.3732:                             ;   in Loop: Header=BB259_2079 Depth=1
	s_or_b32 exec_lo, exec_lo, s22
	v_lshlrev_b32_sdwa v6, v79, v4 dst_sel:DWORD dst_unused:UNUSED_PAD src0_sel:DWORD src1_sel:WORD_1
	v_lshlrev_b32_e32 v8, 20, v24
	v_lshl_add_u32 v5, v5, 23, 0x3c000000
	v_and_b32_e32 v6, 0x80000000, v6
	v_or3_b32 v6, v8, v6, v5
	v_mov_b32_e32 v25, v7
	v_mov_b32_e32 v24, v6
.LBB259_3733:                           ;   in Loop: Header=BB259_2079 Depth=1
	s_or_b32 exec_lo, exec_lo, s21
.LBB259_3734:                           ;   in Loop: Header=BB259_2079 Depth=1
	s_or_b32 exec_lo, exec_lo, s17
.LBB259_3735:                           ;   in Loop: Header=BB259_2079 Depth=1
	s_or_b32 exec_lo, exec_lo, s15
	s_mov_b32 s15, exec_lo
	v_cmpx_lt_u32_e32 0xffffff, v4
	s_cbranch_execz .LBB259_3743
; %bb.3736:                             ;   in Loop: Header=BB259_2079 Depth=1
	v_mov_b32_e32 v8, v7
	v_mov_b32_e32 v23, v9
	v_cmp_ne_u32_sdwa s8, v4, v75 src0_sel:BYTE_3 src1_sel:DWORD
	v_mov_b32_e32 v22, v8
	s_and_saveexec_b32 s17, s8
	s_cbranch_execz .LBB259_3742
; %bb.3737:                             ;   in Loop: Header=BB259_2079 Depth=1
	v_mov_b32_e32 v10, v7
	v_mov_b32_e32 v23, v11
	v_bfe_u32 v8, v4, 24, 7
	s_mov_b32 s21, exec_lo
	v_mov_b32_e32 v22, v10
	v_cmpx_ne_u32_e32 0x7f, v8
	s_cbranch_execz .LBB259_3741
; %bb.3738:                             ;   in Loop: Header=BB259_2079 Depth=1
	v_and_b32_sdwa v6, v4, v78 dst_sel:DWORD dst_unused:UNUSED_PAD src0_sel:BYTE_3 src1_sel:DWORD
	v_mov_b32_e32 v23, v7
	v_lshrrev_b32_e32 v5, 3, v8
	s_mov_b32 s22, exec_lo
	v_mov_b32_e32 v22, v6
	v_cmpx_gt_u32_e32 8, v8
; %bb.3739:                             ;   in Loop: Header=BB259_2079 Depth=1
	v_ffbh_u32_e32 v5, v6
	v_min_u32_e32 v5, 32, v5
	v_subrev_nc_u32_e32 v8, 28, v5
	v_sub_nc_u32_e32 v5, 29, v5
	v_lshlrev_b64 v[22:23], v8, v[6:7]
	v_and_b32_e32 v22, 7, v22
; %bb.3740:                             ;   in Loop: Header=BB259_2079 Depth=1
	s_or_b32 exec_lo, exec_lo, s22
	v_lshlrev_b32_sdwa v4, v79, v4 dst_sel:DWORD dst_unused:UNUSED_PAD src0_sel:DWORD src1_sel:BYTE_3
	v_lshlrev_b32_e32 v6, 20, v22
	v_lshl_add_u32 v5, v5, 23, 0x3c000000
	v_mov_b32_e32 v22, v7
	v_and_b32_e32 v4, 0x80000000, v4
	v_or3_b32 v23, v6, v4, v5
.LBB259_3741:                           ;   in Loop: Header=BB259_2079 Depth=1
	s_or_b32 exec_lo, exec_lo, s21
.LBB259_3742:                           ;   in Loop: Header=BB259_2079 Depth=1
	s_or_b32 exec_lo, exec_lo, s17
.LBB259_3743:                           ;   in Loop: Header=BB259_2079 Depth=1
	s_or_b32 exec_lo, exec_lo, s15
	v_or_b32_e32 v4, v21, v19
	v_or_b32_e32 v5, v20, v18
	;; [unrolled: 1-line block ×4, first 2 shown]
	v_mul_f32_e32 v100, v93, v4
	v_mul_f32_e32 v99, v73, v5
	;; [unrolled: 1-line block ×4, first 2 shown]
	s_and_saveexec_b32 s8, s6
; %bb.3744:                             ;   in Loop: Header=BB259_2079 Depth=1
	v_cndmask_b32_e32 v99, 0, v99, vcc_lo
	v_cndmask_b32_e64 v100, 0, v100, s4
	v_cndmask_b32_e64 v125, 0, v125, s5
	v_cndmask_b32_e64 v124, 0, v124, s7
; %bb.3745:                             ;   in Loop: Header=BB259_2079 Depth=1
	s_or_b32 exec_lo, exec_lo, s8
	flat_load_dword v4, v[16:17] offset:128
	v_mov_b32_e32 v20, 0
	v_mov_b32_e32 v18, 0
	;; [unrolled: 1-line block ×4, first 2 shown]
	s_waitcnt vmcnt(0) lgkmcnt(0)
	v_cmp_ne_u16_sdwa s8, v4, v7 src0_sel:BYTE_0 src1_sel:DWORD
	s_and_saveexec_b32 s15, s8
	s_cbranch_execz .LBB259_3753
; %bb.3746:                             ;   in Loop: Header=BB259_2079 Depth=1
	v_bfrev_b32_e32 v18, 1
	v_mov_b32_e32 v19, 0
	v_cmp_ne_u16_sdwa s8, v4, v75 src0_sel:BYTE_0 src1_sel:DWORD
	s_and_saveexec_b32 s17, s8
	s_cbranch_execz .LBB259_3752
; %bb.3747:                             ;   in Loop: Header=BB259_2079 Depth=1
	v_mov_b32_e32 v18, 0x7f800001
	v_and_b32_e32 v8, 0x7f, v4
	v_mov_b32_e32 v19, 0
	s_mov_b32 s21, exec_lo
	v_cmpx_ne_u32_e32 0x7f, v8
	s_cbranch_execz .LBB259_3751
; %bb.3748:                             ;   in Loop: Header=BB259_2079 Depth=1
	v_and_b32_e32 v6, 7, v4
	v_mov_b32_e32 v19, v7
	v_lshrrev_b32_e32 v5, 3, v8
	s_mov_b32 s22, exec_lo
	v_mov_b32_e32 v18, v6
	v_cmpx_gt_u32_e32 8, v8
; %bb.3749:                             ;   in Loop: Header=BB259_2079 Depth=1
	v_ffbh_u32_e32 v5, v6
	v_min_u32_e32 v5, 32, v5
	v_subrev_nc_u32_e32 v8, 28, v5
	v_sub_nc_u32_e32 v5, 29, v5
	v_lshlrev_b64 v[18:19], v8, v[6:7]
	v_and_b32_e32 v18, 7, v18
; %bb.3750:                             ;   in Loop: Header=BB259_2079 Depth=1
	s_or_b32 exec_lo, exec_lo, s22
	v_lshlrev_b32_e32 v6, 24, v4
	v_lshlrev_b32_e32 v8, 20, v18
	v_lshl_add_u32 v5, v5, 23, 0x3c000000
	v_and_b32_e32 v6, 0x80000000, v6
	v_or3_b32 v6, v8, v6, v5
	v_mov_b32_e32 v19, v7
	v_mov_b32_e32 v18, v6
.LBB259_3751:                           ;   in Loop: Header=BB259_2079 Depth=1
	s_or_b32 exec_lo, exec_lo, s21
.LBB259_3752:                           ;   in Loop: Header=BB259_2079 Depth=1
	s_or_b32 exec_lo, exec_lo, s17
.LBB259_3753:                           ;   in Loop: Header=BB259_2079 Depth=1
	s_or_b32 exec_lo, exec_lo, s15
	v_cmp_ne_u16_sdwa s8, v4, v7 src0_sel:BYTE_1 src1_sel:DWORD
	s_and_saveexec_b32 s15, s8
	s_cbranch_execz .LBB259_3761
; %bb.3754:                             ;   in Loop: Header=BB259_2079 Depth=1
	v_mov_b32_e32 v8, v7
	v_mov_b32_e32 v21, v9
	v_cmp_ne_u16_sdwa s8, v4, v75 src0_sel:BYTE_1 src1_sel:DWORD
	v_mov_b32_e32 v20, v8
	s_and_saveexec_b32 s17, s8
	s_cbranch_execz .LBB259_3760
; %bb.3755:                             ;   in Loop: Header=BB259_2079 Depth=1
	v_and_b32_sdwa v5, v76, v4 dst_sel:DWORD dst_unused:UNUSED_PAD src0_sel:DWORD src1_sel:BYTE_1
	v_mov_b32_e32 v10, v7
	v_mov_b32_e32 v21, v11
	s_mov_b32 s21, exec_lo
	v_and_b32_e32 v8, 0x7f, v5
	v_mov_b32_e32 v20, v10
	v_cmpx_ne_u32_e32 0x7f, v8
	s_cbranch_execz .LBB259_3759
; %bb.3756:                             ;   in Loop: Header=BB259_2079 Depth=1
	v_and_b32_e32 v6, 7, v5
	v_mov_b32_e32 v21, v7
	v_lshrrev_b32_e32 v5, 3, v8
	s_mov_b32 s22, exec_lo
	v_mov_b32_e32 v20, v6
	v_cmpx_gt_u32_e32 8, v8
; %bb.3757:                             ;   in Loop: Header=BB259_2079 Depth=1
	v_ffbh_u32_e32 v5, v6
	v_min_u32_e32 v5, 32, v5
	v_subrev_nc_u32_e32 v8, 28, v5
	v_sub_nc_u32_e32 v5, 29, v5
	v_lshlrev_b64 v[20:21], v8, v[6:7]
	v_and_b32_e32 v20, 7, v20
; %bb.3758:                             ;   in Loop: Header=BB259_2079 Depth=1
	s_or_b32 exec_lo, exec_lo, s22
	v_lshlrev_b32_e32 v6, 16, v4
	v_lshlrev_b32_e32 v8, 20, v20
	v_lshl_add_u32 v5, v5, 23, 0x3c000000
	v_mov_b32_e32 v20, v7
	v_and_b32_e32 v6, 0x80000000, v6
	v_or3_b32 v21, v8, v6, v5
.LBB259_3759:                           ;   in Loop: Header=BB259_2079 Depth=1
	s_or_b32 exec_lo, exec_lo, s21
.LBB259_3760:                           ;   in Loop: Header=BB259_2079 Depth=1
	s_or_b32 exec_lo, exec_lo, s17
.LBB259_3761:                           ;   in Loop: Header=BB259_2079 Depth=1
	s_or_b32 exec_lo, exec_lo, s15
	v_mov_b32_e32 v22, 0
	v_mov_b32_e32 v24, 0
	v_and_b32_sdwa v5, v4, v77 dst_sel:DWORD dst_unused:UNUSED_PAD src0_sel:WORD_1 src1_sel:DWORD
	v_mov_b32_e32 v23, 0
	v_mov_b32_e32 v25, 0
	s_mov_b32 s15, exec_lo
	v_cmpx_ne_u16_e32 0, v5
	s_cbranch_execz .LBB259_3769
; %bb.3762:                             ;   in Loop: Header=BB259_2079 Depth=1
	v_bfrev_b32_e32 v24, 1
	v_mov_b32_e32 v25, 0
	s_mov_b32 s17, exec_lo
	v_cmpx_ne_u16_e32 0x80, v5
	s_cbranch_execz .LBB259_3768
; %bb.3763:                             ;   in Loop: Header=BB259_2079 Depth=1
	v_mov_b32_e32 v24, 0x7f800001
	v_bfe_u32 v8, v4, 16, 7
	v_mov_b32_e32 v25, 0
	s_mov_b32 s21, exec_lo
	v_cmpx_ne_u32_e32 0x7f, v8
	s_cbranch_execz .LBB259_3767
; %bb.3764:                             ;   in Loop: Header=BB259_2079 Depth=1
	v_and_b32_sdwa v6, v4, v78 dst_sel:DWORD dst_unused:UNUSED_PAD src0_sel:WORD_1 src1_sel:DWORD
	v_mov_b32_e32 v25, v7
	v_lshrrev_b32_e32 v5, 3, v8
	s_mov_b32 s22, exec_lo
	v_mov_b32_e32 v24, v6
	v_cmpx_gt_u32_e32 8, v8
; %bb.3765:                             ;   in Loop: Header=BB259_2079 Depth=1
	v_ffbh_u32_e32 v5, v6
	v_min_u32_e32 v5, 32, v5
	v_subrev_nc_u32_e32 v8, 28, v5
	v_sub_nc_u32_e32 v5, 29, v5
	v_lshlrev_b64 v[24:25], v8, v[6:7]
	v_and_b32_e32 v24, 7, v24
; %bb.3766:                             ;   in Loop: Header=BB259_2079 Depth=1
	s_or_b32 exec_lo, exec_lo, s22
	v_lshlrev_b32_sdwa v6, v79, v4 dst_sel:DWORD dst_unused:UNUSED_PAD src0_sel:DWORD src1_sel:WORD_1
	v_lshlrev_b32_e32 v8, 20, v24
	v_lshl_add_u32 v5, v5, 23, 0x3c000000
	v_and_b32_e32 v6, 0x80000000, v6
	v_or3_b32 v6, v8, v6, v5
	v_mov_b32_e32 v25, v7
	v_mov_b32_e32 v24, v6
.LBB259_3767:                           ;   in Loop: Header=BB259_2079 Depth=1
	s_or_b32 exec_lo, exec_lo, s21
.LBB259_3768:                           ;   in Loop: Header=BB259_2079 Depth=1
	s_or_b32 exec_lo, exec_lo, s17
.LBB259_3769:                           ;   in Loop: Header=BB259_2079 Depth=1
	s_or_b32 exec_lo, exec_lo, s15
	s_mov_b32 s15, exec_lo
	v_cmpx_lt_u32_e32 0xffffff, v4
	s_cbranch_execz .LBB259_3777
; %bb.3770:                             ;   in Loop: Header=BB259_2079 Depth=1
	v_mov_b32_e32 v8, v7
	v_mov_b32_e32 v23, v9
	v_cmp_ne_u32_sdwa s8, v4, v75 src0_sel:BYTE_3 src1_sel:DWORD
	v_mov_b32_e32 v22, v8
	s_and_saveexec_b32 s17, s8
	s_cbranch_execz .LBB259_3776
; %bb.3771:                             ;   in Loop: Header=BB259_2079 Depth=1
	v_mov_b32_e32 v10, v7
	v_mov_b32_e32 v23, v11
	v_bfe_u32 v8, v4, 24, 7
	s_mov_b32 s21, exec_lo
	v_mov_b32_e32 v22, v10
	v_cmpx_ne_u32_e32 0x7f, v8
	s_cbranch_execz .LBB259_3775
; %bb.3772:                             ;   in Loop: Header=BB259_2079 Depth=1
	v_and_b32_sdwa v6, v4, v78 dst_sel:DWORD dst_unused:UNUSED_PAD src0_sel:BYTE_3 src1_sel:DWORD
	v_mov_b32_e32 v23, v7
	v_lshrrev_b32_e32 v5, 3, v8
	s_mov_b32 s22, exec_lo
	v_mov_b32_e32 v22, v6
	v_cmpx_gt_u32_e32 8, v8
; %bb.3773:                             ;   in Loop: Header=BB259_2079 Depth=1
	v_ffbh_u32_e32 v5, v6
	v_min_u32_e32 v5, 32, v5
	v_subrev_nc_u32_e32 v8, 28, v5
	v_sub_nc_u32_e32 v5, 29, v5
	v_lshlrev_b64 v[22:23], v8, v[6:7]
	v_and_b32_e32 v22, 7, v22
; %bb.3774:                             ;   in Loop: Header=BB259_2079 Depth=1
	s_or_b32 exec_lo, exec_lo, s22
	v_lshlrev_b32_sdwa v4, v79, v4 dst_sel:DWORD dst_unused:UNUSED_PAD src0_sel:DWORD src1_sel:BYTE_3
	v_lshlrev_b32_e32 v6, 20, v22
	v_lshl_add_u32 v5, v5, 23, 0x3c000000
	v_mov_b32_e32 v22, v7
	v_and_b32_e32 v4, 0x80000000, v4
	v_or3_b32 v23, v6, v4, v5
.LBB259_3775:                           ;   in Loop: Header=BB259_2079 Depth=1
	s_or_b32 exec_lo, exec_lo, s21
.LBB259_3776:                           ;   in Loop: Header=BB259_2079 Depth=1
	s_or_b32 exec_lo, exec_lo, s17
.LBB259_3777:                           ;   in Loop: Header=BB259_2079 Depth=1
	s_or_b32 exec_lo, exec_lo, s15
	v_or_b32_e32 v4, v21, v19
	v_or_b32_e32 v5, v20, v18
	v_or_b32_e32 v6, v22, v24
	v_or_b32_e32 v8, v23, v25
	v_mul_f32_e32 v112, v93, v4
	v_mul_f32_e32 v103, v73, v5
	;; [unrolled: 1-line block ×4, first 2 shown]
	s_and_saveexec_b32 s8, s6
; %bb.3778:                             ;   in Loop: Header=BB259_2079 Depth=1
	v_cndmask_b32_e32 v103, 0, v103, vcc_lo
	v_cndmask_b32_e64 v112, 0, v112, s4
	v_cndmask_b32_e64 v102, 0, v102, s5
	;; [unrolled: 1-line block ×3, first 2 shown]
; %bb.3779:                             ;   in Loop: Header=BB259_2079 Depth=1
	s_or_b32 exec_lo, exec_lo, s8
	flat_load_dword v4, v[16:17] offset:256
	v_mov_b32_e32 v20, 0
	v_mov_b32_e32 v18, 0
	;; [unrolled: 1-line block ×4, first 2 shown]
	s_waitcnt vmcnt(0) lgkmcnt(0)
	v_cmp_ne_u16_sdwa s8, v4, v7 src0_sel:BYTE_0 src1_sel:DWORD
	s_and_saveexec_b32 s15, s8
	s_cbranch_execz .LBB259_3787
; %bb.3780:                             ;   in Loop: Header=BB259_2079 Depth=1
	v_bfrev_b32_e32 v18, 1
	v_mov_b32_e32 v19, 0
	v_cmp_ne_u16_sdwa s8, v4, v75 src0_sel:BYTE_0 src1_sel:DWORD
	s_and_saveexec_b32 s17, s8
	s_cbranch_execz .LBB259_3786
; %bb.3781:                             ;   in Loop: Header=BB259_2079 Depth=1
	v_mov_b32_e32 v18, 0x7f800001
	v_and_b32_e32 v8, 0x7f, v4
	v_mov_b32_e32 v19, 0
	s_mov_b32 s21, exec_lo
	v_cmpx_ne_u32_e32 0x7f, v8
	s_cbranch_execz .LBB259_3785
; %bb.3782:                             ;   in Loop: Header=BB259_2079 Depth=1
	v_and_b32_e32 v6, 7, v4
	v_mov_b32_e32 v19, v7
	v_lshrrev_b32_e32 v5, 3, v8
	s_mov_b32 s22, exec_lo
	v_mov_b32_e32 v18, v6
	v_cmpx_gt_u32_e32 8, v8
; %bb.3783:                             ;   in Loop: Header=BB259_2079 Depth=1
	v_ffbh_u32_e32 v5, v6
	v_min_u32_e32 v5, 32, v5
	v_subrev_nc_u32_e32 v8, 28, v5
	v_sub_nc_u32_e32 v5, 29, v5
	v_lshlrev_b64 v[18:19], v8, v[6:7]
	v_and_b32_e32 v18, 7, v18
; %bb.3784:                             ;   in Loop: Header=BB259_2079 Depth=1
	s_or_b32 exec_lo, exec_lo, s22
	v_lshlrev_b32_e32 v6, 24, v4
	v_lshlrev_b32_e32 v8, 20, v18
	v_lshl_add_u32 v5, v5, 23, 0x3c000000
	v_and_b32_e32 v6, 0x80000000, v6
	v_or3_b32 v6, v8, v6, v5
	v_mov_b32_e32 v19, v7
	v_mov_b32_e32 v18, v6
.LBB259_3785:                           ;   in Loop: Header=BB259_2079 Depth=1
	s_or_b32 exec_lo, exec_lo, s21
.LBB259_3786:                           ;   in Loop: Header=BB259_2079 Depth=1
	s_or_b32 exec_lo, exec_lo, s17
.LBB259_3787:                           ;   in Loop: Header=BB259_2079 Depth=1
	s_or_b32 exec_lo, exec_lo, s15
	v_cmp_ne_u16_sdwa s8, v4, v7 src0_sel:BYTE_1 src1_sel:DWORD
	s_and_saveexec_b32 s15, s8
	s_cbranch_execz .LBB259_3795
; %bb.3788:                             ;   in Loop: Header=BB259_2079 Depth=1
	v_mov_b32_e32 v8, v7
	v_mov_b32_e32 v21, v9
	v_cmp_ne_u16_sdwa s8, v4, v75 src0_sel:BYTE_1 src1_sel:DWORD
	v_mov_b32_e32 v20, v8
	s_and_saveexec_b32 s17, s8
	s_cbranch_execz .LBB259_3794
; %bb.3789:                             ;   in Loop: Header=BB259_2079 Depth=1
	v_and_b32_sdwa v5, v76, v4 dst_sel:DWORD dst_unused:UNUSED_PAD src0_sel:DWORD src1_sel:BYTE_1
	v_mov_b32_e32 v10, v7
	v_mov_b32_e32 v21, v11
	s_mov_b32 s21, exec_lo
	v_and_b32_e32 v8, 0x7f, v5
	v_mov_b32_e32 v20, v10
	v_cmpx_ne_u32_e32 0x7f, v8
	s_cbranch_execz .LBB259_3793
; %bb.3790:                             ;   in Loop: Header=BB259_2079 Depth=1
	v_and_b32_e32 v6, 7, v5
	v_mov_b32_e32 v21, v7
	v_lshrrev_b32_e32 v5, 3, v8
	s_mov_b32 s22, exec_lo
	v_mov_b32_e32 v20, v6
	v_cmpx_gt_u32_e32 8, v8
; %bb.3791:                             ;   in Loop: Header=BB259_2079 Depth=1
	v_ffbh_u32_e32 v5, v6
	v_min_u32_e32 v5, 32, v5
	v_subrev_nc_u32_e32 v8, 28, v5
	v_sub_nc_u32_e32 v5, 29, v5
	v_lshlrev_b64 v[20:21], v8, v[6:7]
	v_and_b32_e32 v20, 7, v20
; %bb.3792:                             ;   in Loop: Header=BB259_2079 Depth=1
	s_or_b32 exec_lo, exec_lo, s22
	v_lshlrev_b32_e32 v6, 16, v4
	v_lshlrev_b32_e32 v8, 20, v20
	v_lshl_add_u32 v5, v5, 23, 0x3c000000
	v_mov_b32_e32 v20, v7
	v_and_b32_e32 v6, 0x80000000, v6
	v_or3_b32 v21, v8, v6, v5
.LBB259_3793:                           ;   in Loop: Header=BB259_2079 Depth=1
	s_or_b32 exec_lo, exec_lo, s21
.LBB259_3794:                           ;   in Loop: Header=BB259_2079 Depth=1
	s_or_b32 exec_lo, exec_lo, s17
.LBB259_3795:                           ;   in Loop: Header=BB259_2079 Depth=1
	s_or_b32 exec_lo, exec_lo, s15
	v_mov_b32_e32 v22, 0
	v_mov_b32_e32 v24, 0
	v_and_b32_sdwa v5, v4, v77 dst_sel:DWORD dst_unused:UNUSED_PAD src0_sel:WORD_1 src1_sel:DWORD
	v_mov_b32_e32 v23, 0
	v_mov_b32_e32 v25, 0
	s_mov_b32 s15, exec_lo
	v_cmpx_ne_u16_e32 0, v5
	s_cbranch_execz .LBB259_3803
; %bb.3796:                             ;   in Loop: Header=BB259_2079 Depth=1
	v_bfrev_b32_e32 v24, 1
	v_mov_b32_e32 v25, 0
	s_mov_b32 s17, exec_lo
	v_cmpx_ne_u16_e32 0x80, v5
	s_cbranch_execz .LBB259_3802
; %bb.3797:                             ;   in Loop: Header=BB259_2079 Depth=1
	v_mov_b32_e32 v24, 0x7f800001
	v_bfe_u32 v8, v4, 16, 7
	v_mov_b32_e32 v25, 0
	s_mov_b32 s21, exec_lo
	v_cmpx_ne_u32_e32 0x7f, v8
	s_cbranch_execz .LBB259_3801
; %bb.3798:                             ;   in Loop: Header=BB259_2079 Depth=1
	v_and_b32_sdwa v6, v4, v78 dst_sel:DWORD dst_unused:UNUSED_PAD src0_sel:WORD_1 src1_sel:DWORD
	v_mov_b32_e32 v25, v7
	v_lshrrev_b32_e32 v5, 3, v8
	s_mov_b32 s22, exec_lo
	v_mov_b32_e32 v24, v6
	v_cmpx_gt_u32_e32 8, v8
; %bb.3799:                             ;   in Loop: Header=BB259_2079 Depth=1
	v_ffbh_u32_e32 v5, v6
	v_min_u32_e32 v5, 32, v5
	v_subrev_nc_u32_e32 v8, 28, v5
	v_sub_nc_u32_e32 v5, 29, v5
	v_lshlrev_b64 v[24:25], v8, v[6:7]
	v_and_b32_e32 v24, 7, v24
; %bb.3800:                             ;   in Loop: Header=BB259_2079 Depth=1
	s_or_b32 exec_lo, exec_lo, s22
	v_lshlrev_b32_sdwa v6, v79, v4 dst_sel:DWORD dst_unused:UNUSED_PAD src0_sel:DWORD src1_sel:WORD_1
	v_lshlrev_b32_e32 v8, 20, v24
	v_lshl_add_u32 v5, v5, 23, 0x3c000000
	v_and_b32_e32 v6, 0x80000000, v6
	v_or3_b32 v6, v8, v6, v5
	v_mov_b32_e32 v25, v7
	v_mov_b32_e32 v24, v6
.LBB259_3801:                           ;   in Loop: Header=BB259_2079 Depth=1
	s_or_b32 exec_lo, exec_lo, s21
.LBB259_3802:                           ;   in Loop: Header=BB259_2079 Depth=1
	s_or_b32 exec_lo, exec_lo, s17
.LBB259_3803:                           ;   in Loop: Header=BB259_2079 Depth=1
	s_or_b32 exec_lo, exec_lo, s15
	s_mov_b32 s15, exec_lo
	v_cmpx_lt_u32_e32 0xffffff, v4
	s_cbranch_execz .LBB259_3811
; %bb.3804:                             ;   in Loop: Header=BB259_2079 Depth=1
	v_mov_b32_e32 v8, v7
	v_mov_b32_e32 v23, v9
	v_cmp_ne_u32_sdwa s8, v4, v75 src0_sel:BYTE_3 src1_sel:DWORD
	v_mov_b32_e32 v22, v8
	s_and_saveexec_b32 s17, s8
	s_cbranch_execz .LBB259_3810
; %bb.3805:                             ;   in Loop: Header=BB259_2079 Depth=1
	v_mov_b32_e32 v10, v7
	v_mov_b32_e32 v23, v11
	v_bfe_u32 v8, v4, 24, 7
	s_mov_b32 s21, exec_lo
	v_mov_b32_e32 v22, v10
	v_cmpx_ne_u32_e32 0x7f, v8
	s_cbranch_execz .LBB259_3809
; %bb.3806:                             ;   in Loop: Header=BB259_2079 Depth=1
	v_and_b32_sdwa v6, v4, v78 dst_sel:DWORD dst_unused:UNUSED_PAD src0_sel:BYTE_3 src1_sel:DWORD
	v_mov_b32_e32 v23, v7
	v_lshrrev_b32_e32 v5, 3, v8
	s_mov_b32 s22, exec_lo
	v_mov_b32_e32 v22, v6
	v_cmpx_gt_u32_e32 8, v8
; %bb.3807:                             ;   in Loop: Header=BB259_2079 Depth=1
	v_ffbh_u32_e32 v5, v6
	v_min_u32_e32 v5, 32, v5
	v_subrev_nc_u32_e32 v8, 28, v5
	v_sub_nc_u32_e32 v5, 29, v5
	v_lshlrev_b64 v[22:23], v8, v[6:7]
	v_and_b32_e32 v22, 7, v22
; %bb.3808:                             ;   in Loop: Header=BB259_2079 Depth=1
	s_or_b32 exec_lo, exec_lo, s22
	v_lshlrev_b32_sdwa v4, v79, v4 dst_sel:DWORD dst_unused:UNUSED_PAD src0_sel:DWORD src1_sel:BYTE_3
	v_lshlrev_b32_e32 v6, 20, v22
	v_lshl_add_u32 v5, v5, 23, 0x3c000000
	v_mov_b32_e32 v22, v7
	v_and_b32_e32 v4, 0x80000000, v4
	v_or3_b32 v23, v6, v4, v5
.LBB259_3809:                           ;   in Loop: Header=BB259_2079 Depth=1
	s_or_b32 exec_lo, exec_lo, s21
.LBB259_3810:                           ;   in Loop: Header=BB259_2079 Depth=1
	s_or_b32 exec_lo, exec_lo, s17
.LBB259_3811:                           ;   in Loop: Header=BB259_2079 Depth=1
	s_or_b32 exec_lo, exec_lo, s15
	v_or_b32_e32 v4, v21, v19
	v_or_b32_e32 v5, v20, v18
	;; [unrolled: 1-line block ×4, first 2 shown]
	v_mul_f32_e32 v116, v93, v4
	v_mul_f32_e32 v115, v73, v5
	;; [unrolled: 1-line block ×4, first 2 shown]
	s_and_saveexec_b32 s8, s6
; %bb.3812:                             ;   in Loop: Header=BB259_2079 Depth=1
	v_cndmask_b32_e32 v115, 0, v115, vcc_lo
	v_cndmask_b32_e64 v116, 0, v116, s4
	v_cndmask_b32_e64 v114, 0, v114, s5
	;; [unrolled: 1-line block ×3, first 2 shown]
; %bb.3813:                             ;   in Loop: Header=BB259_2079 Depth=1
	s_or_b32 exec_lo, exec_lo, s8
	flat_load_dword v4, v[16:17] offset:384
	v_mov_b32_e32 v20, 0
	v_mov_b32_e32 v18, 0
	;; [unrolled: 1-line block ×4, first 2 shown]
	s_waitcnt vmcnt(0) lgkmcnt(0)
	v_cmp_ne_u16_sdwa s8, v4, v7 src0_sel:BYTE_0 src1_sel:DWORD
	s_and_saveexec_b32 s15, s8
	s_cbranch_execz .LBB259_3821
; %bb.3814:                             ;   in Loop: Header=BB259_2079 Depth=1
	v_bfrev_b32_e32 v18, 1
	v_mov_b32_e32 v19, 0
	v_cmp_ne_u16_sdwa s8, v4, v75 src0_sel:BYTE_0 src1_sel:DWORD
	s_and_saveexec_b32 s17, s8
	s_cbranch_execz .LBB259_3820
; %bb.3815:                             ;   in Loop: Header=BB259_2079 Depth=1
	v_mov_b32_e32 v18, 0x7f800001
	v_and_b32_e32 v8, 0x7f, v4
	v_mov_b32_e32 v19, 0
	s_mov_b32 s21, exec_lo
	v_cmpx_ne_u32_e32 0x7f, v8
	s_cbranch_execz .LBB259_3819
; %bb.3816:                             ;   in Loop: Header=BB259_2079 Depth=1
	v_and_b32_e32 v6, 7, v4
	v_mov_b32_e32 v19, v7
	v_lshrrev_b32_e32 v5, 3, v8
	s_mov_b32 s22, exec_lo
	v_mov_b32_e32 v18, v6
	v_cmpx_gt_u32_e32 8, v8
; %bb.3817:                             ;   in Loop: Header=BB259_2079 Depth=1
	v_ffbh_u32_e32 v5, v6
	v_min_u32_e32 v5, 32, v5
	v_subrev_nc_u32_e32 v8, 28, v5
	v_sub_nc_u32_e32 v5, 29, v5
	v_lshlrev_b64 v[18:19], v8, v[6:7]
	v_and_b32_e32 v18, 7, v18
; %bb.3818:                             ;   in Loop: Header=BB259_2079 Depth=1
	s_or_b32 exec_lo, exec_lo, s22
	v_lshlrev_b32_e32 v6, 24, v4
	v_lshlrev_b32_e32 v8, 20, v18
	v_lshl_add_u32 v5, v5, 23, 0x3c000000
	v_and_b32_e32 v6, 0x80000000, v6
	v_or3_b32 v6, v8, v6, v5
	v_mov_b32_e32 v19, v7
	v_mov_b32_e32 v18, v6
.LBB259_3819:                           ;   in Loop: Header=BB259_2079 Depth=1
	s_or_b32 exec_lo, exec_lo, s21
.LBB259_3820:                           ;   in Loop: Header=BB259_2079 Depth=1
	s_or_b32 exec_lo, exec_lo, s17
.LBB259_3821:                           ;   in Loop: Header=BB259_2079 Depth=1
	s_or_b32 exec_lo, exec_lo, s15
	v_cmp_ne_u16_sdwa s8, v4, v7 src0_sel:BYTE_1 src1_sel:DWORD
	s_and_saveexec_b32 s15, s8
	s_cbranch_execz .LBB259_3829
; %bb.3822:                             ;   in Loop: Header=BB259_2079 Depth=1
	v_mov_b32_e32 v8, v7
	v_mov_b32_e32 v21, v9
	v_cmp_ne_u16_sdwa s8, v4, v75 src0_sel:BYTE_1 src1_sel:DWORD
	v_mov_b32_e32 v20, v8
	s_and_saveexec_b32 s17, s8
	s_cbranch_execz .LBB259_3828
; %bb.3823:                             ;   in Loop: Header=BB259_2079 Depth=1
	v_and_b32_sdwa v5, v76, v4 dst_sel:DWORD dst_unused:UNUSED_PAD src0_sel:DWORD src1_sel:BYTE_1
	v_mov_b32_e32 v10, v7
	v_mov_b32_e32 v21, v11
	s_mov_b32 s21, exec_lo
	v_and_b32_e32 v8, 0x7f, v5
	v_mov_b32_e32 v20, v10
	v_cmpx_ne_u32_e32 0x7f, v8
	s_cbranch_execz .LBB259_3827
; %bb.3824:                             ;   in Loop: Header=BB259_2079 Depth=1
	v_and_b32_e32 v6, 7, v5
	v_mov_b32_e32 v21, v7
	v_lshrrev_b32_e32 v5, 3, v8
	s_mov_b32 s22, exec_lo
	v_mov_b32_e32 v20, v6
	v_cmpx_gt_u32_e32 8, v8
; %bb.3825:                             ;   in Loop: Header=BB259_2079 Depth=1
	v_ffbh_u32_e32 v5, v6
	v_min_u32_e32 v5, 32, v5
	v_subrev_nc_u32_e32 v8, 28, v5
	v_sub_nc_u32_e32 v5, 29, v5
	v_lshlrev_b64 v[20:21], v8, v[6:7]
	v_and_b32_e32 v20, 7, v20
; %bb.3826:                             ;   in Loop: Header=BB259_2079 Depth=1
	s_or_b32 exec_lo, exec_lo, s22
	v_lshlrev_b32_e32 v6, 16, v4
	v_lshlrev_b32_e32 v8, 20, v20
	v_lshl_add_u32 v5, v5, 23, 0x3c000000
	v_mov_b32_e32 v20, v7
	v_and_b32_e32 v6, 0x80000000, v6
	v_or3_b32 v21, v8, v6, v5
.LBB259_3827:                           ;   in Loop: Header=BB259_2079 Depth=1
	s_or_b32 exec_lo, exec_lo, s21
.LBB259_3828:                           ;   in Loop: Header=BB259_2079 Depth=1
	s_or_b32 exec_lo, exec_lo, s17
.LBB259_3829:                           ;   in Loop: Header=BB259_2079 Depth=1
	s_or_b32 exec_lo, exec_lo, s15
	v_mov_b32_e32 v22, 0
	v_mov_b32_e32 v24, 0
	v_and_b32_sdwa v5, v4, v77 dst_sel:DWORD dst_unused:UNUSED_PAD src0_sel:WORD_1 src1_sel:DWORD
	v_mov_b32_e32 v23, 0
	v_mov_b32_e32 v25, 0
	s_mov_b32 s15, exec_lo
	v_cmpx_ne_u16_e32 0, v5
	s_cbranch_execz .LBB259_3837
; %bb.3830:                             ;   in Loop: Header=BB259_2079 Depth=1
	v_bfrev_b32_e32 v24, 1
	v_mov_b32_e32 v25, 0
	s_mov_b32 s17, exec_lo
	v_cmpx_ne_u16_e32 0x80, v5
	s_cbranch_execz .LBB259_3836
; %bb.3831:                             ;   in Loop: Header=BB259_2079 Depth=1
	v_mov_b32_e32 v24, 0x7f800001
	v_bfe_u32 v8, v4, 16, 7
	v_mov_b32_e32 v25, 0
	s_mov_b32 s21, exec_lo
	v_cmpx_ne_u32_e32 0x7f, v8
	s_cbranch_execz .LBB259_3835
; %bb.3832:                             ;   in Loop: Header=BB259_2079 Depth=1
	v_and_b32_sdwa v6, v4, v78 dst_sel:DWORD dst_unused:UNUSED_PAD src0_sel:WORD_1 src1_sel:DWORD
	v_mov_b32_e32 v25, v7
	v_lshrrev_b32_e32 v5, 3, v8
	s_mov_b32 s22, exec_lo
	v_mov_b32_e32 v24, v6
	v_cmpx_gt_u32_e32 8, v8
; %bb.3833:                             ;   in Loop: Header=BB259_2079 Depth=1
	v_ffbh_u32_e32 v5, v6
	v_min_u32_e32 v5, 32, v5
	v_subrev_nc_u32_e32 v8, 28, v5
	v_sub_nc_u32_e32 v5, 29, v5
	v_lshlrev_b64 v[24:25], v8, v[6:7]
	v_and_b32_e32 v24, 7, v24
; %bb.3834:                             ;   in Loop: Header=BB259_2079 Depth=1
	s_or_b32 exec_lo, exec_lo, s22
	v_lshlrev_b32_sdwa v6, v79, v4 dst_sel:DWORD dst_unused:UNUSED_PAD src0_sel:DWORD src1_sel:WORD_1
	v_lshlrev_b32_e32 v8, 20, v24
	v_lshl_add_u32 v5, v5, 23, 0x3c000000
	v_and_b32_e32 v6, 0x80000000, v6
	v_or3_b32 v6, v8, v6, v5
	v_mov_b32_e32 v25, v7
	v_mov_b32_e32 v24, v6
.LBB259_3835:                           ;   in Loop: Header=BB259_2079 Depth=1
	s_or_b32 exec_lo, exec_lo, s21
.LBB259_3836:                           ;   in Loop: Header=BB259_2079 Depth=1
	s_or_b32 exec_lo, exec_lo, s17
.LBB259_3837:                           ;   in Loop: Header=BB259_2079 Depth=1
	s_or_b32 exec_lo, exec_lo, s15
	s_mov_b32 s15, exec_lo
	v_cmpx_lt_u32_e32 0xffffff, v4
	s_cbranch_execz .LBB259_3845
; %bb.3838:                             ;   in Loop: Header=BB259_2079 Depth=1
	v_mov_b32_e32 v8, v7
	v_mov_b32_e32 v23, v9
	v_cmp_ne_u32_sdwa s8, v4, v75 src0_sel:BYTE_3 src1_sel:DWORD
	v_mov_b32_e32 v22, v8
	s_and_saveexec_b32 s17, s8
	s_cbranch_execz .LBB259_3844
; %bb.3839:                             ;   in Loop: Header=BB259_2079 Depth=1
	v_mov_b32_e32 v10, v7
	v_mov_b32_e32 v23, v11
	v_bfe_u32 v8, v4, 24, 7
	s_mov_b32 s21, exec_lo
	v_mov_b32_e32 v22, v10
	v_cmpx_ne_u32_e32 0x7f, v8
	s_cbranch_execz .LBB259_3843
; %bb.3840:                             ;   in Loop: Header=BB259_2079 Depth=1
	v_and_b32_sdwa v6, v4, v78 dst_sel:DWORD dst_unused:UNUSED_PAD src0_sel:BYTE_3 src1_sel:DWORD
	v_mov_b32_e32 v23, v7
	v_lshrrev_b32_e32 v5, 3, v8
	s_mov_b32 s22, exec_lo
	v_mov_b32_e32 v22, v6
	v_cmpx_gt_u32_e32 8, v8
; %bb.3841:                             ;   in Loop: Header=BB259_2079 Depth=1
	v_ffbh_u32_e32 v5, v6
	v_min_u32_e32 v5, 32, v5
	v_subrev_nc_u32_e32 v8, 28, v5
	v_sub_nc_u32_e32 v5, 29, v5
	v_lshlrev_b64 v[22:23], v8, v[6:7]
	v_and_b32_e32 v22, 7, v22
; %bb.3842:                             ;   in Loop: Header=BB259_2079 Depth=1
	s_or_b32 exec_lo, exec_lo, s22
	v_lshlrev_b32_sdwa v4, v79, v4 dst_sel:DWORD dst_unused:UNUSED_PAD src0_sel:DWORD src1_sel:BYTE_3
	v_lshlrev_b32_e32 v6, 20, v22
	v_lshl_add_u32 v5, v5, 23, 0x3c000000
	v_mov_b32_e32 v22, v7
	v_and_b32_e32 v4, 0x80000000, v4
	v_or3_b32 v23, v6, v4, v5
.LBB259_3843:                           ;   in Loop: Header=BB259_2079 Depth=1
	s_or_b32 exec_lo, exec_lo, s21
.LBB259_3844:                           ;   in Loop: Header=BB259_2079 Depth=1
	s_or_b32 exec_lo, exec_lo, s17
.LBB259_3845:                           ;   in Loop: Header=BB259_2079 Depth=1
	s_or_b32 exec_lo, exec_lo, s15
	v_or_b32_e32 v4, v21, v19
	v_or_b32_e32 v5, v20, v18
	;; [unrolled: 1-line block ×4, first 2 shown]
	v_mul_f32_e32 v40, v93, v4
	v_mul_f32_e32 v119, v73, v5
	;; [unrolled: 1-line block ×4, first 2 shown]
	s_and_saveexec_b32 s8, s6
; %bb.3846:                             ;   in Loop: Header=BB259_2079 Depth=1
	v_cndmask_b32_e32 v119, 0, v119, vcc_lo
	v_cndmask_b32_e64 v40, 0, v40, s4
	v_cndmask_b32_e64 v118, 0, v118, s5
	;; [unrolled: 1-line block ×3, first 2 shown]
; %bb.3847:                             ;   in Loop: Header=BB259_2079 Depth=1
	s_or_b32 exec_lo, exec_lo, s8
	flat_load_dword v4, v[16:17] offset:512
	v_mov_b32_e32 v20, 0
	v_mov_b32_e32 v18, 0
	;; [unrolled: 1-line block ×4, first 2 shown]
	s_waitcnt vmcnt(0) lgkmcnt(0)
	v_cmp_ne_u16_sdwa s8, v4, v7 src0_sel:BYTE_0 src1_sel:DWORD
	s_and_saveexec_b32 s15, s8
	s_cbranch_execz .LBB259_3855
; %bb.3848:                             ;   in Loop: Header=BB259_2079 Depth=1
	v_bfrev_b32_e32 v18, 1
	v_mov_b32_e32 v19, 0
	v_cmp_ne_u16_sdwa s8, v4, v75 src0_sel:BYTE_0 src1_sel:DWORD
	s_and_saveexec_b32 s17, s8
	s_cbranch_execz .LBB259_3854
; %bb.3849:                             ;   in Loop: Header=BB259_2079 Depth=1
	v_mov_b32_e32 v18, 0x7f800001
	v_and_b32_e32 v8, 0x7f, v4
	v_mov_b32_e32 v19, 0
	s_mov_b32 s21, exec_lo
	v_cmpx_ne_u32_e32 0x7f, v8
	s_cbranch_execz .LBB259_3853
; %bb.3850:                             ;   in Loop: Header=BB259_2079 Depth=1
	v_and_b32_e32 v6, 7, v4
	v_mov_b32_e32 v19, v7
	v_lshrrev_b32_e32 v5, 3, v8
	s_mov_b32 s22, exec_lo
	v_mov_b32_e32 v18, v6
	v_cmpx_gt_u32_e32 8, v8
; %bb.3851:                             ;   in Loop: Header=BB259_2079 Depth=1
	v_ffbh_u32_e32 v5, v6
	v_min_u32_e32 v5, 32, v5
	v_subrev_nc_u32_e32 v8, 28, v5
	v_sub_nc_u32_e32 v5, 29, v5
	v_lshlrev_b64 v[18:19], v8, v[6:7]
	v_and_b32_e32 v18, 7, v18
; %bb.3852:                             ;   in Loop: Header=BB259_2079 Depth=1
	s_or_b32 exec_lo, exec_lo, s22
	v_lshlrev_b32_e32 v6, 24, v4
	v_lshlrev_b32_e32 v8, 20, v18
	v_lshl_add_u32 v5, v5, 23, 0x3c000000
	v_and_b32_e32 v6, 0x80000000, v6
	v_or3_b32 v6, v8, v6, v5
	v_mov_b32_e32 v19, v7
	v_mov_b32_e32 v18, v6
.LBB259_3853:                           ;   in Loop: Header=BB259_2079 Depth=1
	s_or_b32 exec_lo, exec_lo, s21
.LBB259_3854:                           ;   in Loop: Header=BB259_2079 Depth=1
	s_or_b32 exec_lo, exec_lo, s17
.LBB259_3855:                           ;   in Loop: Header=BB259_2079 Depth=1
	s_or_b32 exec_lo, exec_lo, s15
	v_cmp_ne_u16_sdwa s8, v4, v7 src0_sel:BYTE_1 src1_sel:DWORD
	s_and_saveexec_b32 s15, s8
	s_cbranch_execz .LBB259_3863
; %bb.3856:                             ;   in Loop: Header=BB259_2079 Depth=1
	v_mov_b32_e32 v8, v7
	v_mov_b32_e32 v21, v9
	v_cmp_ne_u16_sdwa s8, v4, v75 src0_sel:BYTE_1 src1_sel:DWORD
	v_mov_b32_e32 v20, v8
	s_and_saveexec_b32 s17, s8
	s_cbranch_execz .LBB259_3862
; %bb.3857:                             ;   in Loop: Header=BB259_2079 Depth=1
	v_and_b32_sdwa v5, v76, v4 dst_sel:DWORD dst_unused:UNUSED_PAD src0_sel:DWORD src1_sel:BYTE_1
	v_mov_b32_e32 v10, v7
	v_mov_b32_e32 v21, v11
	s_mov_b32 s21, exec_lo
	v_and_b32_e32 v8, 0x7f, v5
	v_mov_b32_e32 v20, v10
	v_cmpx_ne_u32_e32 0x7f, v8
	s_cbranch_execz .LBB259_3861
; %bb.3858:                             ;   in Loop: Header=BB259_2079 Depth=1
	v_and_b32_e32 v6, 7, v5
	v_mov_b32_e32 v21, v7
	v_lshrrev_b32_e32 v5, 3, v8
	s_mov_b32 s22, exec_lo
	v_mov_b32_e32 v20, v6
	v_cmpx_gt_u32_e32 8, v8
; %bb.3859:                             ;   in Loop: Header=BB259_2079 Depth=1
	v_ffbh_u32_e32 v5, v6
	v_min_u32_e32 v5, 32, v5
	v_subrev_nc_u32_e32 v8, 28, v5
	v_sub_nc_u32_e32 v5, 29, v5
	v_lshlrev_b64 v[20:21], v8, v[6:7]
	v_and_b32_e32 v20, 7, v20
; %bb.3860:                             ;   in Loop: Header=BB259_2079 Depth=1
	s_or_b32 exec_lo, exec_lo, s22
	v_lshlrev_b32_e32 v6, 16, v4
	v_lshlrev_b32_e32 v8, 20, v20
	v_lshl_add_u32 v5, v5, 23, 0x3c000000
	v_mov_b32_e32 v20, v7
	v_and_b32_e32 v6, 0x80000000, v6
	v_or3_b32 v21, v8, v6, v5
.LBB259_3861:                           ;   in Loop: Header=BB259_2079 Depth=1
	s_or_b32 exec_lo, exec_lo, s21
.LBB259_3862:                           ;   in Loop: Header=BB259_2079 Depth=1
	s_or_b32 exec_lo, exec_lo, s17
.LBB259_3863:                           ;   in Loop: Header=BB259_2079 Depth=1
	s_or_b32 exec_lo, exec_lo, s15
	v_mov_b32_e32 v22, 0
	v_mov_b32_e32 v24, 0
	v_and_b32_sdwa v5, v4, v77 dst_sel:DWORD dst_unused:UNUSED_PAD src0_sel:WORD_1 src1_sel:DWORD
	v_mov_b32_e32 v23, 0
	v_mov_b32_e32 v25, 0
	s_mov_b32 s15, exec_lo
	v_cmpx_ne_u16_e32 0, v5
	s_cbranch_execz .LBB259_3871
; %bb.3864:                             ;   in Loop: Header=BB259_2079 Depth=1
	v_bfrev_b32_e32 v24, 1
	v_mov_b32_e32 v25, 0
	s_mov_b32 s17, exec_lo
	v_cmpx_ne_u16_e32 0x80, v5
	s_cbranch_execz .LBB259_3870
; %bb.3865:                             ;   in Loop: Header=BB259_2079 Depth=1
	v_mov_b32_e32 v24, 0x7f800001
	v_bfe_u32 v8, v4, 16, 7
	v_mov_b32_e32 v25, 0
	s_mov_b32 s21, exec_lo
	v_cmpx_ne_u32_e32 0x7f, v8
	s_cbranch_execz .LBB259_3869
; %bb.3866:                             ;   in Loop: Header=BB259_2079 Depth=1
	v_and_b32_sdwa v6, v4, v78 dst_sel:DWORD dst_unused:UNUSED_PAD src0_sel:WORD_1 src1_sel:DWORD
	v_mov_b32_e32 v25, v7
	v_lshrrev_b32_e32 v5, 3, v8
	s_mov_b32 s22, exec_lo
	v_mov_b32_e32 v24, v6
	v_cmpx_gt_u32_e32 8, v8
; %bb.3867:                             ;   in Loop: Header=BB259_2079 Depth=1
	v_ffbh_u32_e32 v5, v6
	v_min_u32_e32 v5, 32, v5
	v_subrev_nc_u32_e32 v8, 28, v5
	v_sub_nc_u32_e32 v5, 29, v5
	v_lshlrev_b64 v[24:25], v8, v[6:7]
	v_and_b32_e32 v24, 7, v24
; %bb.3868:                             ;   in Loop: Header=BB259_2079 Depth=1
	s_or_b32 exec_lo, exec_lo, s22
	v_lshlrev_b32_sdwa v6, v79, v4 dst_sel:DWORD dst_unused:UNUSED_PAD src0_sel:DWORD src1_sel:WORD_1
	v_lshlrev_b32_e32 v8, 20, v24
	v_lshl_add_u32 v5, v5, 23, 0x3c000000
	v_and_b32_e32 v6, 0x80000000, v6
	v_or3_b32 v6, v8, v6, v5
	v_mov_b32_e32 v25, v7
	v_mov_b32_e32 v24, v6
.LBB259_3869:                           ;   in Loop: Header=BB259_2079 Depth=1
	s_or_b32 exec_lo, exec_lo, s21
.LBB259_3870:                           ;   in Loop: Header=BB259_2079 Depth=1
	s_or_b32 exec_lo, exec_lo, s17
.LBB259_3871:                           ;   in Loop: Header=BB259_2079 Depth=1
	s_or_b32 exec_lo, exec_lo, s15
	s_mov_b32 s15, exec_lo
	v_cmpx_lt_u32_e32 0xffffff, v4
	s_cbranch_execz .LBB259_3879
; %bb.3872:                             ;   in Loop: Header=BB259_2079 Depth=1
	v_mov_b32_e32 v8, v7
	v_mov_b32_e32 v23, v9
	v_cmp_ne_u32_sdwa s8, v4, v75 src0_sel:BYTE_3 src1_sel:DWORD
	v_mov_b32_e32 v22, v8
	s_and_saveexec_b32 s17, s8
	s_cbranch_execz .LBB259_3878
; %bb.3873:                             ;   in Loop: Header=BB259_2079 Depth=1
	v_mov_b32_e32 v10, v7
	v_mov_b32_e32 v23, v11
	v_bfe_u32 v8, v4, 24, 7
	s_mov_b32 s21, exec_lo
	v_mov_b32_e32 v22, v10
	v_cmpx_ne_u32_e32 0x7f, v8
	s_cbranch_execz .LBB259_3877
; %bb.3874:                             ;   in Loop: Header=BB259_2079 Depth=1
	v_and_b32_sdwa v6, v4, v78 dst_sel:DWORD dst_unused:UNUSED_PAD src0_sel:BYTE_3 src1_sel:DWORD
	v_mov_b32_e32 v23, v7
	v_lshrrev_b32_e32 v5, 3, v8
	s_mov_b32 s22, exec_lo
	v_mov_b32_e32 v22, v6
	v_cmpx_gt_u32_e32 8, v8
; %bb.3875:                             ;   in Loop: Header=BB259_2079 Depth=1
	v_ffbh_u32_e32 v5, v6
	v_min_u32_e32 v5, 32, v5
	v_subrev_nc_u32_e32 v8, 28, v5
	v_sub_nc_u32_e32 v5, 29, v5
	v_lshlrev_b64 v[22:23], v8, v[6:7]
	v_and_b32_e32 v22, 7, v22
; %bb.3876:                             ;   in Loop: Header=BB259_2079 Depth=1
	s_or_b32 exec_lo, exec_lo, s22
	v_lshlrev_b32_sdwa v4, v79, v4 dst_sel:DWORD dst_unused:UNUSED_PAD src0_sel:DWORD src1_sel:BYTE_3
	v_lshlrev_b32_e32 v6, 20, v22
	v_lshl_add_u32 v5, v5, 23, 0x3c000000
	v_mov_b32_e32 v22, v7
	v_and_b32_e32 v4, 0x80000000, v4
	v_or3_b32 v23, v6, v4, v5
.LBB259_3877:                           ;   in Loop: Header=BB259_2079 Depth=1
	s_or_b32 exec_lo, exec_lo, s21
.LBB259_3878:                           ;   in Loop: Header=BB259_2079 Depth=1
	s_or_b32 exec_lo, exec_lo, s17
.LBB259_3879:                           ;   in Loop: Header=BB259_2079 Depth=1
	s_or_b32 exec_lo, exec_lo, s15
	v_or_b32_e32 v4, v21, v19
	v_or_b32_e32 v5, v20, v18
	;; [unrolled: 1-line block ×4, first 2 shown]
	v_mul_f32_e32 v44, v93, v4
	v_mul_f32_e32 v43, v73, v5
	;; [unrolled: 1-line block ×4, first 2 shown]
	s_and_saveexec_b32 s8, s6
; %bb.3880:                             ;   in Loop: Header=BB259_2079 Depth=1
	v_cndmask_b32_e32 v43, 0, v43, vcc_lo
	v_cndmask_b32_e64 v44, 0, v44, s4
	v_cndmask_b32_e64 v42, 0, v42, s5
	;; [unrolled: 1-line block ×3, first 2 shown]
; %bb.3881:                             ;   in Loop: Header=BB259_2079 Depth=1
	s_or_b32 exec_lo, exec_lo, s8
	flat_load_dword v4, v[16:17] offset:640
	v_mov_b32_e32 v20, 0
	v_mov_b32_e32 v18, 0
	;; [unrolled: 1-line block ×4, first 2 shown]
	s_waitcnt vmcnt(0) lgkmcnt(0)
	v_cmp_ne_u16_sdwa s8, v4, v7 src0_sel:BYTE_0 src1_sel:DWORD
	s_and_saveexec_b32 s15, s8
	s_cbranch_execz .LBB259_3889
; %bb.3882:                             ;   in Loop: Header=BB259_2079 Depth=1
	v_bfrev_b32_e32 v18, 1
	v_mov_b32_e32 v19, 0
	v_cmp_ne_u16_sdwa s8, v4, v75 src0_sel:BYTE_0 src1_sel:DWORD
	s_and_saveexec_b32 s17, s8
	s_cbranch_execz .LBB259_3888
; %bb.3883:                             ;   in Loop: Header=BB259_2079 Depth=1
	v_mov_b32_e32 v18, 0x7f800001
	v_and_b32_e32 v8, 0x7f, v4
	v_mov_b32_e32 v19, 0
	s_mov_b32 s21, exec_lo
	v_cmpx_ne_u32_e32 0x7f, v8
	s_cbranch_execz .LBB259_3887
; %bb.3884:                             ;   in Loop: Header=BB259_2079 Depth=1
	v_and_b32_e32 v6, 7, v4
	v_mov_b32_e32 v19, v7
	v_lshrrev_b32_e32 v5, 3, v8
	s_mov_b32 s22, exec_lo
	v_mov_b32_e32 v18, v6
	v_cmpx_gt_u32_e32 8, v8
; %bb.3885:                             ;   in Loop: Header=BB259_2079 Depth=1
	v_ffbh_u32_e32 v5, v6
	v_min_u32_e32 v5, 32, v5
	v_subrev_nc_u32_e32 v8, 28, v5
	v_sub_nc_u32_e32 v5, 29, v5
	v_lshlrev_b64 v[18:19], v8, v[6:7]
	v_and_b32_e32 v18, 7, v18
; %bb.3886:                             ;   in Loop: Header=BB259_2079 Depth=1
	s_or_b32 exec_lo, exec_lo, s22
	v_lshlrev_b32_e32 v6, 24, v4
	v_lshlrev_b32_e32 v8, 20, v18
	v_lshl_add_u32 v5, v5, 23, 0x3c000000
	v_and_b32_e32 v6, 0x80000000, v6
	v_or3_b32 v6, v8, v6, v5
	v_mov_b32_e32 v19, v7
	v_mov_b32_e32 v18, v6
.LBB259_3887:                           ;   in Loop: Header=BB259_2079 Depth=1
	s_or_b32 exec_lo, exec_lo, s21
.LBB259_3888:                           ;   in Loop: Header=BB259_2079 Depth=1
	s_or_b32 exec_lo, exec_lo, s17
.LBB259_3889:                           ;   in Loop: Header=BB259_2079 Depth=1
	s_or_b32 exec_lo, exec_lo, s15
	v_cmp_ne_u16_sdwa s8, v4, v7 src0_sel:BYTE_1 src1_sel:DWORD
	s_and_saveexec_b32 s15, s8
	s_cbranch_execz .LBB259_3897
; %bb.3890:                             ;   in Loop: Header=BB259_2079 Depth=1
	v_mov_b32_e32 v8, v7
	v_mov_b32_e32 v21, v9
	v_cmp_ne_u16_sdwa s8, v4, v75 src0_sel:BYTE_1 src1_sel:DWORD
	v_mov_b32_e32 v20, v8
	s_and_saveexec_b32 s17, s8
	s_cbranch_execz .LBB259_3896
; %bb.3891:                             ;   in Loop: Header=BB259_2079 Depth=1
	v_and_b32_sdwa v5, v76, v4 dst_sel:DWORD dst_unused:UNUSED_PAD src0_sel:DWORD src1_sel:BYTE_1
	v_mov_b32_e32 v10, v7
	v_mov_b32_e32 v21, v11
	s_mov_b32 s21, exec_lo
	v_and_b32_e32 v8, 0x7f, v5
	v_mov_b32_e32 v20, v10
	v_cmpx_ne_u32_e32 0x7f, v8
	s_cbranch_execz .LBB259_3895
; %bb.3892:                             ;   in Loop: Header=BB259_2079 Depth=1
	v_and_b32_e32 v6, 7, v5
	v_mov_b32_e32 v21, v7
	v_lshrrev_b32_e32 v5, 3, v8
	s_mov_b32 s22, exec_lo
	v_mov_b32_e32 v20, v6
	v_cmpx_gt_u32_e32 8, v8
; %bb.3893:                             ;   in Loop: Header=BB259_2079 Depth=1
	v_ffbh_u32_e32 v5, v6
	v_min_u32_e32 v5, 32, v5
	v_subrev_nc_u32_e32 v8, 28, v5
	v_sub_nc_u32_e32 v5, 29, v5
	v_lshlrev_b64 v[20:21], v8, v[6:7]
	v_and_b32_e32 v20, 7, v20
; %bb.3894:                             ;   in Loop: Header=BB259_2079 Depth=1
	s_or_b32 exec_lo, exec_lo, s22
	v_lshlrev_b32_e32 v6, 16, v4
	v_lshlrev_b32_e32 v8, 20, v20
	v_lshl_add_u32 v5, v5, 23, 0x3c000000
	v_mov_b32_e32 v20, v7
	v_and_b32_e32 v6, 0x80000000, v6
	v_or3_b32 v21, v8, v6, v5
.LBB259_3895:                           ;   in Loop: Header=BB259_2079 Depth=1
	s_or_b32 exec_lo, exec_lo, s21
.LBB259_3896:                           ;   in Loop: Header=BB259_2079 Depth=1
	s_or_b32 exec_lo, exec_lo, s17
.LBB259_3897:                           ;   in Loop: Header=BB259_2079 Depth=1
	s_or_b32 exec_lo, exec_lo, s15
	v_mov_b32_e32 v22, 0
	v_mov_b32_e32 v24, 0
	v_and_b32_sdwa v5, v4, v77 dst_sel:DWORD dst_unused:UNUSED_PAD src0_sel:WORD_1 src1_sel:DWORD
	v_mov_b32_e32 v23, 0
	v_mov_b32_e32 v25, 0
	s_mov_b32 s15, exec_lo
	v_cmpx_ne_u16_e32 0, v5
	s_cbranch_execz .LBB259_3905
; %bb.3898:                             ;   in Loop: Header=BB259_2079 Depth=1
	v_bfrev_b32_e32 v24, 1
	v_mov_b32_e32 v25, 0
	s_mov_b32 s17, exec_lo
	v_cmpx_ne_u16_e32 0x80, v5
	s_cbranch_execz .LBB259_3904
; %bb.3899:                             ;   in Loop: Header=BB259_2079 Depth=1
	v_mov_b32_e32 v24, 0x7f800001
	v_bfe_u32 v8, v4, 16, 7
	v_mov_b32_e32 v25, 0
	s_mov_b32 s21, exec_lo
	v_cmpx_ne_u32_e32 0x7f, v8
	s_cbranch_execz .LBB259_3903
; %bb.3900:                             ;   in Loop: Header=BB259_2079 Depth=1
	v_and_b32_sdwa v6, v4, v78 dst_sel:DWORD dst_unused:UNUSED_PAD src0_sel:WORD_1 src1_sel:DWORD
	v_mov_b32_e32 v25, v7
	v_lshrrev_b32_e32 v5, 3, v8
	s_mov_b32 s22, exec_lo
	v_mov_b32_e32 v24, v6
	v_cmpx_gt_u32_e32 8, v8
; %bb.3901:                             ;   in Loop: Header=BB259_2079 Depth=1
	v_ffbh_u32_e32 v5, v6
	v_min_u32_e32 v5, 32, v5
	v_subrev_nc_u32_e32 v8, 28, v5
	v_sub_nc_u32_e32 v5, 29, v5
	v_lshlrev_b64 v[24:25], v8, v[6:7]
	v_and_b32_e32 v24, 7, v24
; %bb.3902:                             ;   in Loop: Header=BB259_2079 Depth=1
	s_or_b32 exec_lo, exec_lo, s22
	v_lshlrev_b32_sdwa v6, v79, v4 dst_sel:DWORD dst_unused:UNUSED_PAD src0_sel:DWORD src1_sel:WORD_1
	v_lshlrev_b32_e32 v8, 20, v24
	v_lshl_add_u32 v5, v5, 23, 0x3c000000
	v_and_b32_e32 v6, 0x80000000, v6
	v_or3_b32 v6, v8, v6, v5
	v_mov_b32_e32 v25, v7
	v_mov_b32_e32 v24, v6
.LBB259_3903:                           ;   in Loop: Header=BB259_2079 Depth=1
	s_or_b32 exec_lo, exec_lo, s21
.LBB259_3904:                           ;   in Loop: Header=BB259_2079 Depth=1
	s_or_b32 exec_lo, exec_lo, s17
.LBB259_3905:                           ;   in Loop: Header=BB259_2079 Depth=1
	s_or_b32 exec_lo, exec_lo, s15
	s_mov_b32 s15, exec_lo
	v_cmpx_lt_u32_e32 0xffffff, v4
	s_cbranch_execz .LBB259_3913
; %bb.3906:                             ;   in Loop: Header=BB259_2079 Depth=1
	v_mov_b32_e32 v8, v7
	v_mov_b32_e32 v23, v9
	v_cmp_ne_u32_sdwa s8, v4, v75 src0_sel:BYTE_3 src1_sel:DWORD
	v_mov_b32_e32 v22, v8
	s_and_saveexec_b32 s17, s8
	s_cbranch_execz .LBB259_3912
; %bb.3907:                             ;   in Loop: Header=BB259_2079 Depth=1
	v_mov_b32_e32 v10, v7
	v_mov_b32_e32 v23, v11
	v_bfe_u32 v8, v4, 24, 7
	s_mov_b32 s21, exec_lo
	v_mov_b32_e32 v22, v10
	v_cmpx_ne_u32_e32 0x7f, v8
	s_cbranch_execz .LBB259_3911
; %bb.3908:                             ;   in Loop: Header=BB259_2079 Depth=1
	v_and_b32_sdwa v6, v4, v78 dst_sel:DWORD dst_unused:UNUSED_PAD src0_sel:BYTE_3 src1_sel:DWORD
	v_mov_b32_e32 v23, v7
	v_lshrrev_b32_e32 v5, 3, v8
	s_mov_b32 s22, exec_lo
	v_mov_b32_e32 v22, v6
	v_cmpx_gt_u32_e32 8, v8
; %bb.3909:                             ;   in Loop: Header=BB259_2079 Depth=1
	v_ffbh_u32_e32 v5, v6
	v_min_u32_e32 v5, 32, v5
	v_subrev_nc_u32_e32 v8, 28, v5
	v_sub_nc_u32_e32 v5, 29, v5
	v_lshlrev_b64 v[22:23], v8, v[6:7]
	v_and_b32_e32 v22, 7, v22
; %bb.3910:                             ;   in Loop: Header=BB259_2079 Depth=1
	s_or_b32 exec_lo, exec_lo, s22
	v_lshlrev_b32_sdwa v4, v79, v4 dst_sel:DWORD dst_unused:UNUSED_PAD src0_sel:DWORD src1_sel:BYTE_3
	v_lshlrev_b32_e32 v6, 20, v22
	v_lshl_add_u32 v5, v5, 23, 0x3c000000
	v_mov_b32_e32 v22, v7
	v_and_b32_e32 v4, 0x80000000, v4
	v_or3_b32 v23, v6, v4, v5
.LBB259_3911:                           ;   in Loop: Header=BB259_2079 Depth=1
	s_or_b32 exec_lo, exec_lo, s21
.LBB259_3912:                           ;   in Loop: Header=BB259_2079 Depth=1
	s_or_b32 exec_lo, exec_lo, s17
.LBB259_3913:                           ;   in Loop: Header=BB259_2079 Depth=1
	s_or_b32 exec_lo, exec_lo, s15
	v_or_b32_e32 v4, v21, v19
	v_or_b32_e32 v5, v20, v18
	;; [unrolled: 1-line block ×4, first 2 shown]
	v_mul_f32_e32 v57, v93, v4
	v_mul_f32_e32 v56, v73, v5
	;; [unrolled: 1-line block ×4, first 2 shown]
	s_and_saveexec_b32 s8, s6
; %bb.3914:                             ;   in Loop: Header=BB259_2079 Depth=1
	v_cndmask_b32_e32 v56, 0, v56, vcc_lo
	v_cndmask_b32_e64 v57, 0, v57, s4
	v_cndmask_b32_e64 v46, 0, v46, s5
	;; [unrolled: 1-line block ×3, first 2 shown]
; %bb.3915:                             ;   in Loop: Header=BB259_2079 Depth=1
	s_or_b32 exec_lo, exec_lo, s8
	flat_load_dword v4, v[16:17] offset:768
	v_mov_b32_e32 v20, 0
	v_mov_b32_e32 v18, 0
	;; [unrolled: 1-line block ×4, first 2 shown]
	s_waitcnt vmcnt(0) lgkmcnt(0)
	v_cmp_ne_u16_sdwa s8, v4, v7 src0_sel:BYTE_0 src1_sel:DWORD
	s_and_saveexec_b32 s15, s8
	s_cbranch_execz .LBB259_3923
; %bb.3916:                             ;   in Loop: Header=BB259_2079 Depth=1
	v_bfrev_b32_e32 v18, 1
	v_mov_b32_e32 v19, 0
	v_cmp_ne_u16_sdwa s8, v4, v75 src0_sel:BYTE_0 src1_sel:DWORD
	s_and_saveexec_b32 s17, s8
	s_cbranch_execz .LBB259_3922
; %bb.3917:                             ;   in Loop: Header=BB259_2079 Depth=1
	v_mov_b32_e32 v18, 0x7f800001
	v_and_b32_e32 v8, 0x7f, v4
	v_mov_b32_e32 v19, 0
	s_mov_b32 s21, exec_lo
	v_cmpx_ne_u32_e32 0x7f, v8
	s_cbranch_execz .LBB259_3921
; %bb.3918:                             ;   in Loop: Header=BB259_2079 Depth=1
	v_and_b32_e32 v6, 7, v4
	v_mov_b32_e32 v19, v7
	v_lshrrev_b32_e32 v5, 3, v8
	s_mov_b32 s22, exec_lo
	v_mov_b32_e32 v18, v6
	v_cmpx_gt_u32_e32 8, v8
; %bb.3919:                             ;   in Loop: Header=BB259_2079 Depth=1
	v_ffbh_u32_e32 v5, v6
	v_min_u32_e32 v5, 32, v5
	v_subrev_nc_u32_e32 v8, 28, v5
	v_sub_nc_u32_e32 v5, 29, v5
	v_lshlrev_b64 v[18:19], v8, v[6:7]
	v_and_b32_e32 v18, 7, v18
; %bb.3920:                             ;   in Loop: Header=BB259_2079 Depth=1
	s_or_b32 exec_lo, exec_lo, s22
	v_lshlrev_b32_e32 v6, 24, v4
	v_lshlrev_b32_e32 v8, 20, v18
	v_lshl_add_u32 v5, v5, 23, 0x3c000000
	v_and_b32_e32 v6, 0x80000000, v6
	v_or3_b32 v6, v8, v6, v5
	v_mov_b32_e32 v19, v7
	v_mov_b32_e32 v18, v6
.LBB259_3921:                           ;   in Loop: Header=BB259_2079 Depth=1
	s_or_b32 exec_lo, exec_lo, s21
.LBB259_3922:                           ;   in Loop: Header=BB259_2079 Depth=1
	s_or_b32 exec_lo, exec_lo, s17
.LBB259_3923:                           ;   in Loop: Header=BB259_2079 Depth=1
	s_or_b32 exec_lo, exec_lo, s15
	v_cmp_ne_u16_sdwa s8, v4, v7 src0_sel:BYTE_1 src1_sel:DWORD
	s_and_saveexec_b32 s15, s8
	s_cbranch_execz .LBB259_3931
; %bb.3924:                             ;   in Loop: Header=BB259_2079 Depth=1
	v_mov_b32_e32 v8, v7
	v_mov_b32_e32 v21, v9
	v_cmp_ne_u16_sdwa s8, v4, v75 src0_sel:BYTE_1 src1_sel:DWORD
	v_mov_b32_e32 v20, v8
	s_and_saveexec_b32 s17, s8
	s_cbranch_execz .LBB259_3930
; %bb.3925:                             ;   in Loop: Header=BB259_2079 Depth=1
	v_and_b32_sdwa v5, v76, v4 dst_sel:DWORD dst_unused:UNUSED_PAD src0_sel:DWORD src1_sel:BYTE_1
	v_mov_b32_e32 v10, v7
	v_mov_b32_e32 v21, v11
	s_mov_b32 s21, exec_lo
	v_and_b32_e32 v8, 0x7f, v5
	v_mov_b32_e32 v20, v10
	v_cmpx_ne_u32_e32 0x7f, v8
	s_cbranch_execz .LBB259_3929
; %bb.3926:                             ;   in Loop: Header=BB259_2079 Depth=1
	v_and_b32_e32 v6, 7, v5
	v_mov_b32_e32 v21, v7
	v_lshrrev_b32_e32 v5, 3, v8
	s_mov_b32 s22, exec_lo
	v_mov_b32_e32 v20, v6
	v_cmpx_gt_u32_e32 8, v8
; %bb.3927:                             ;   in Loop: Header=BB259_2079 Depth=1
	v_ffbh_u32_e32 v5, v6
	v_min_u32_e32 v5, 32, v5
	v_subrev_nc_u32_e32 v8, 28, v5
	v_sub_nc_u32_e32 v5, 29, v5
	v_lshlrev_b64 v[20:21], v8, v[6:7]
	v_and_b32_e32 v20, 7, v20
; %bb.3928:                             ;   in Loop: Header=BB259_2079 Depth=1
	s_or_b32 exec_lo, exec_lo, s22
	v_lshlrev_b32_e32 v6, 16, v4
	v_lshlrev_b32_e32 v8, 20, v20
	v_lshl_add_u32 v5, v5, 23, 0x3c000000
	v_mov_b32_e32 v20, v7
	v_and_b32_e32 v6, 0x80000000, v6
	v_or3_b32 v21, v8, v6, v5
.LBB259_3929:                           ;   in Loop: Header=BB259_2079 Depth=1
	s_or_b32 exec_lo, exec_lo, s21
.LBB259_3930:                           ;   in Loop: Header=BB259_2079 Depth=1
	s_or_b32 exec_lo, exec_lo, s17
.LBB259_3931:                           ;   in Loop: Header=BB259_2079 Depth=1
	s_or_b32 exec_lo, exec_lo, s15
	v_mov_b32_e32 v22, 0
	v_mov_b32_e32 v24, 0
	v_and_b32_sdwa v5, v4, v77 dst_sel:DWORD dst_unused:UNUSED_PAD src0_sel:WORD_1 src1_sel:DWORD
	v_mov_b32_e32 v23, 0
	v_mov_b32_e32 v25, 0
	s_mov_b32 s15, exec_lo
	v_cmpx_ne_u16_e32 0, v5
	s_cbranch_execz .LBB259_3939
; %bb.3932:                             ;   in Loop: Header=BB259_2079 Depth=1
	v_bfrev_b32_e32 v24, 1
	v_mov_b32_e32 v25, 0
	s_mov_b32 s17, exec_lo
	v_cmpx_ne_u16_e32 0x80, v5
	s_cbranch_execz .LBB259_3938
; %bb.3933:                             ;   in Loop: Header=BB259_2079 Depth=1
	v_mov_b32_e32 v24, 0x7f800001
	v_bfe_u32 v8, v4, 16, 7
	v_mov_b32_e32 v25, 0
	s_mov_b32 s21, exec_lo
	v_cmpx_ne_u32_e32 0x7f, v8
	s_cbranch_execz .LBB259_3937
; %bb.3934:                             ;   in Loop: Header=BB259_2079 Depth=1
	v_and_b32_sdwa v6, v4, v78 dst_sel:DWORD dst_unused:UNUSED_PAD src0_sel:WORD_1 src1_sel:DWORD
	v_mov_b32_e32 v25, v7
	v_lshrrev_b32_e32 v5, 3, v8
	s_mov_b32 s22, exec_lo
	v_mov_b32_e32 v24, v6
	v_cmpx_gt_u32_e32 8, v8
; %bb.3935:                             ;   in Loop: Header=BB259_2079 Depth=1
	v_ffbh_u32_e32 v5, v6
	v_min_u32_e32 v5, 32, v5
	v_subrev_nc_u32_e32 v8, 28, v5
	v_sub_nc_u32_e32 v5, 29, v5
	v_lshlrev_b64 v[24:25], v8, v[6:7]
	v_and_b32_e32 v24, 7, v24
; %bb.3936:                             ;   in Loop: Header=BB259_2079 Depth=1
	s_or_b32 exec_lo, exec_lo, s22
	v_lshlrev_b32_sdwa v6, v79, v4 dst_sel:DWORD dst_unused:UNUSED_PAD src0_sel:DWORD src1_sel:WORD_1
	v_lshlrev_b32_e32 v8, 20, v24
	v_lshl_add_u32 v5, v5, 23, 0x3c000000
	v_and_b32_e32 v6, 0x80000000, v6
	v_or3_b32 v6, v8, v6, v5
	v_mov_b32_e32 v25, v7
	v_mov_b32_e32 v24, v6
.LBB259_3937:                           ;   in Loop: Header=BB259_2079 Depth=1
	s_or_b32 exec_lo, exec_lo, s21
.LBB259_3938:                           ;   in Loop: Header=BB259_2079 Depth=1
	s_or_b32 exec_lo, exec_lo, s17
.LBB259_3939:                           ;   in Loop: Header=BB259_2079 Depth=1
	s_or_b32 exec_lo, exec_lo, s15
	s_mov_b32 s15, exec_lo
	v_cmpx_lt_u32_e32 0xffffff, v4
	s_cbranch_execz .LBB259_3947
; %bb.3940:                             ;   in Loop: Header=BB259_2079 Depth=1
	v_mov_b32_e32 v8, v7
	v_mov_b32_e32 v23, v9
	v_cmp_ne_u32_sdwa s8, v4, v75 src0_sel:BYTE_3 src1_sel:DWORD
	v_mov_b32_e32 v22, v8
	s_and_saveexec_b32 s17, s8
	s_cbranch_execz .LBB259_3946
; %bb.3941:                             ;   in Loop: Header=BB259_2079 Depth=1
	v_mov_b32_e32 v10, v7
	v_mov_b32_e32 v23, v11
	v_bfe_u32 v8, v4, 24, 7
	s_mov_b32 s21, exec_lo
	v_mov_b32_e32 v22, v10
	v_cmpx_ne_u32_e32 0x7f, v8
	s_cbranch_execz .LBB259_3945
; %bb.3942:                             ;   in Loop: Header=BB259_2079 Depth=1
	v_and_b32_sdwa v6, v4, v78 dst_sel:DWORD dst_unused:UNUSED_PAD src0_sel:BYTE_3 src1_sel:DWORD
	v_mov_b32_e32 v23, v7
	v_lshrrev_b32_e32 v5, 3, v8
	s_mov_b32 s22, exec_lo
	v_mov_b32_e32 v22, v6
	v_cmpx_gt_u32_e32 8, v8
; %bb.3943:                             ;   in Loop: Header=BB259_2079 Depth=1
	v_ffbh_u32_e32 v5, v6
	v_min_u32_e32 v5, 32, v5
	v_subrev_nc_u32_e32 v8, 28, v5
	v_sub_nc_u32_e32 v5, 29, v5
	v_lshlrev_b64 v[22:23], v8, v[6:7]
	v_and_b32_e32 v22, 7, v22
; %bb.3944:                             ;   in Loop: Header=BB259_2079 Depth=1
	s_or_b32 exec_lo, exec_lo, s22
	v_lshlrev_b32_sdwa v4, v79, v4 dst_sel:DWORD dst_unused:UNUSED_PAD src0_sel:DWORD src1_sel:BYTE_3
	v_lshlrev_b32_e32 v6, 20, v22
	v_lshl_add_u32 v5, v5, 23, 0x3c000000
	v_mov_b32_e32 v22, v7
	v_and_b32_e32 v4, 0x80000000, v4
	v_or3_b32 v23, v6, v4, v5
.LBB259_3945:                           ;   in Loop: Header=BB259_2079 Depth=1
	s_or_b32 exec_lo, exec_lo, s21
.LBB259_3946:                           ;   in Loop: Header=BB259_2079 Depth=1
	s_or_b32 exec_lo, exec_lo, s17
.LBB259_3947:                           ;   in Loop: Header=BB259_2079 Depth=1
	s_or_b32 exec_lo, exec_lo, s15
	v_or_b32_e32 v4, v21, v19
	v_or_b32_e32 v5, v20, v18
	;; [unrolled: 1-line block ×4, first 2 shown]
	v_mul_f32_e32 v61, v93, v4
	v_mul_f32_e32 v60, v73, v5
	;; [unrolled: 1-line block ×4, first 2 shown]
	s_and_saveexec_b32 s8, s6
; %bb.3948:                             ;   in Loop: Header=BB259_2079 Depth=1
	v_cndmask_b32_e32 v60, 0, v60, vcc_lo
	v_cndmask_b32_e64 v61, 0, v61, s4
	v_cndmask_b32_e64 v59, 0, v59, s5
	;; [unrolled: 1-line block ×3, first 2 shown]
; %bb.3949:                             ;   in Loop: Header=BB259_2079 Depth=1
	s_or_b32 exec_lo, exec_lo, s8
	flat_load_dword v4, v[16:17] offset:896
	v_mov_b32_e32 v20, 0
	v_mov_b32_e32 v18, 0
	;; [unrolled: 1-line block ×4, first 2 shown]
	s_waitcnt vmcnt(0) lgkmcnt(0)
	v_cmp_ne_u16_sdwa s8, v4, v7 src0_sel:BYTE_0 src1_sel:DWORD
	s_and_saveexec_b32 s15, s8
	s_cbranch_execz .LBB259_3957
; %bb.3950:                             ;   in Loop: Header=BB259_2079 Depth=1
	v_bfrev_b32_e32 v18, 1
	v_mov_b32_e32 v19, 0
	v_cmp_ne_u16_sdwa s8, v4, v75 src0_sel:BYTE_0 src1_sel:DWORD
	s_and_saveexec_b32 s17, s8
	s_cbranch_execz .LBB259_3956
; %bb.3951:                             ;   in Loop: Header=BB259_2079 Depth=1
	v_mov_b32_e32 v18, 0x7f800001
	v_and_b32_e32 v8, 0x7f, v4
	v_mov_b32_e32 v19, 0
	s_mov_b32 s21, exec_lo
	v_cmpx_ne_u32_e32 0x7f, v8
	s_cbranch_execz .LBB259_3955
; %bb.3952:                             ;   in Loop: Header=BB259_2079 Depth=1
	v_and_b32_e32 v6, 7, v4
	v_mov_b32_e32 v19, v7
	v_lshrrev_b32_e32 v5, 3, v8
	s_mov_b32 s22, exec_lo
	v_mov_b32_e32 v18, v6
	v_cmpx_gt_u32_e32 8, v8
; %bb.3953:                             ;   in Loop: Header=BB259_2079 Depth=1
	v_ffbh_u32_e32 v5, v6
	v_min_u32_e32 v5, 32, v5
	v_subrev_nc_u32_e32 v8, 28, v5
	v_sub_nc_u32_e32 v5, 29, v5
	v_lshlrev_b64 v[18:19], v8, v[6:7]
	v_and_b32_e32 v18, 7, v18
; %bb.3954:                             ;   in Loop: Header=BB259_2079 Depth=1
	s_or_b32 exec_lo, exec_lo, s22
	v_lshlrev_b32_e32 v6, 24, v4
	v_lshlrev_b32_e32 v8, 20, v18
	v_lshl_add_u32 v5, v5, 23, 0x3c000000
	v_and_b32_e32 v6, 0x80000000, v6
	v_or3_b32 v6, v8, v6, v5
	v_mov_b32_e32 v19, v7
	v_mov_b32_e32 v18, v6
.LBB259_3955:                           ;   in Loop: Header=BB259_2079 Depth=1
	s_or_b32 exec_lo, exec_lo, s21
.LBB259_3956:                           ;   in Loop: Header=BB259_2079 Depth=1
	s_or_b32 exec_lo, exec_lo, s17
.LBB259_3957:                           ;   in Loop: Header=BB259_2079 Depth=1
	s_or_b32 exec_lo, exec_lo, s15
	v_cmp_ne_u16_sdwa s8, v4, v7 src0_sel:BYTE_1 src1_sel:DWORD
	s_and_saveexec_b32 s15, s8
	s_cbranch_execz .LBB259_3965
; %bb.3958:                             ;   in Loop: Header=BB259_2079 Depth=1
	v_mov_b32_e32 v8, v7
	v_mov_b32_e32 v21, v9
	v_cmp_ne_u16_sdwa s8, v4, v75 src0_sel:BYTE_1 src1_sel:DWORD
	v_mov_b32_e32 v20, v8
	s_and_saveexec_b32 s17, s8
	s_cbranch_execz .LBB259_3964
; %bb.3959:                             ;   in Loop: Header=BB259_2079 Depth=1
	v_and_b32_sdwa v5, v76, v4 dst_sel:DWORD dst_unused:UNUSED_PAD src0_sel:DWORD src1_sel:BYTE_1
	v_mov_b32_e32 v10, v7
	v_mov_b32_e32 v21, v11
	s_mov_b32 s21, exec_lo
	v_and_b32_e32 v8, 0x7f, v5
	v_mov_b32_e32 v20, v10
	v_cmpx_ne_u32_e32 0x7f, v8
	s_cbranch_execz .LBB259_3963
; %bb.3960:                             ;   in Loop: Header=BB259_2079 Depth=1
	v_and_b32_e32 v6, 7, v5
	v_mov_b32_e32 v21, v7
	v_lshrrev_b32_e32 v5, 3, v8
	s_mov_b32 s22, exec_lo
	v_mov_b32_e32 v20, v6
	v_cmpx_gt_u32_e32 8, v8
; %bb.3961:                             ;   in Loop: Header=BB259_2079 Depth=1
	v_ffbh_u32_e32 v5, v6
	v_min_u32_e32 v5, 32, v5
	v_subrev_nc_u32_e32 v8, 28, v5
	v_sub_nc_u32_e32 v5, 29, v5
	v_lshlrev_b64 v[20:21], v8, v[6:7]
	v_and_b32_e32 v20, 7, v20
; %bb.3962:                             ;   in Loop: Header=BB259_2079 Depth=1
	s_or_b32 exec_lo, exec_lo, s22
	v_lshlrev_b32_e32 v6, 16, v4
	v_lshlrev_b32_e32 v8, 20, v20
	v_lshl_add_u32 v5, v5, 23, 0x3c000000
	v_mov_b32_e32 v20, v7
	v_and_b32_e32 v6, 0x80000000, v6
	v_or3_b32 v21, v8, v6, v5
.LBB259_3963:                           ;   in Loop: Header=BB259_2079 Depth=1
	s_or_b32 exec_lo, exec_lo, s21
.LBB259_3964:                           ;   in Loop: Header=BB259_2079 Depth=1
	s_or_b32 exec_lo, exec_lo, s17
.LBB259_3965:                           ;   in Loop: Header=BB259_2079 Depth=1
	s_or_b32 exec_lo, exec_lo, s15
	v_mov_b32_e32 v22, 0
	v_mov_b32_e32 v24, 0
	v_and_b32_sdwa v5, v4, v77 dst_sel:DWORD dst_unused:UNUSED_PAD src0_sel:WORD_1 src1_sel:DWORD
	v_mov_b32_e32 v23, 0
	v_mov_b32_e32 v25, 0
	s_mov_b32 s15, exec_lo
	v_cmpx_ne_u16_e32 0, v5
	s_cbranch_execz .LBB259_3973
; %bb.3966:                             ;   in Loop: Header=BB259_2079 Depth=1
	v_bfrev_b32_e32 v24, 1
	v_mov_b32_e32 v25, 0
	s_mov_b32 s17, exec_lo
	v_cmpx_ne_u16_e32 0x80, v5
	s_cbranch_execz .LBB259_3972
; %bb.3967:                             ;   in Loop: Header=BB259_2079 Depth=1
	v_mov_b32_e32 v24, 0x7f800001
	v_bfe_u32 v8, v4, 16, 7
	v_mov_b32_e32 v25, 0
	s_mov_b32 s21, exec_lo
	v_cmpx_ne_u32_e32 0x7f, v8
	s_cbranch_execz .LBB259_3971
; %bb.3968:                             ;   in Loop: Header=BB259_2079 Depth=1
	v_and_b32_sdwa v6, v4, v78 dst_sel:DWORD dst_unused:UNUSED_PAD src0_sel:WORD_1 src1_sel:DWORD
	v_mov_b32_e32 v25, v7
	v_lshrrev_b32_e32 v5, 3, v8
	s_mov_b32 s22, exec_lo
	v_mov_b32_e32 v24, v6
	v_cmpx_gt_u32_e32 8, v8
; %bb.3969:                             ;   in Loop: Header=BB259_2079 Depth=1
	v_ffbh_u32_e32 v5, v6
	v_min_u32_e32 v5, 32, v5
	v_subrev_nc_u32_e32 v8, 28, v5
	v_sub_nc_u32_e32 v5, 29, v5
	v_lshlrev_b64 v[24:25], v8, v[6:7]
	v_and_b32_e32 v24, 7, v24
; %bb.3970:                             ;   in Loop: Header=BB259_2079 Depth=1
	s_or_b32 exec_lo, exec_lo, s22
	v_lshlrev_b32_sdwa v6, v79, v4 dst_sel:DWORD dst_unused:UNUSED_PAD src0_sel:DWORD src1_sel:WORD_1
	v_lshlrev_b32_e32 v8, 20, v24
	v_lshl_add_u32 v5, v5, 23, 0x3c000000
	v_and_b32_e32 v6, 0x80000000, v6
	v_or3_b32 v6, v8, v6, v5
	v_mov_b32_e32 v25, v7
	v_mov_b32_e32 v24, v6
.LBB259_3971:                           ;   in Loop: Header=BB259_2079 Depth=1
	s_or_b32 exec_lo, exec_lo, s21
.LBB259_3972:                           ;   in Loop: Header=BB259_2079 Depth=1
	s_or_b32 exec_lo, exec_lo, s17
.LBB259_3973:                           ;   in Loop: Header=BB259_2079 Depth=1
	s_or_b32 exec_lo, exec_lo, s15
	s_mov_b32 s15, exec_lo
	v_cmpx_lt_u32_e32 0xffffff, v4
	s_cbranch_execz .LBB259_3981
; %bb.3974:                             ;   in Loop: Header=BB259_2079 Depth=1
	v_mov_b32_e32 v8, v7
	v_mov_b32_e32 v23, v9
	v_cmp_ne_u32_sdwa s8, v4, v75 src0_sel:BYTE_3 src1_sel:DWORD
	v_mov_b32_e32 v22, v8
	s_and_saveexec_b32 s17, s8
	s_cbranch_execz .LBB259_3980
; %bb.3975:                             ;   in Loop: Header=BB259_2079 Depth=1
	v_mov_b32_e32 v10, v7
	v_mov_b32_e32 v23, v11
	v_bfe_u32 v8, v4, 24, 7
	s_mov_b32 s21, exec_lo
	v_mov_b32_e32 v22, v10
	v_cmpx_ne_u32_e32 0x7f, v8
	s_cbranch_execz .LBB259_3979
; %bb.3976:                             ;   in Loop: Header=BB259_2079 Depth=1
	v_and_b32_sdwa v6, v4, v78 dst_sel:DWORD dst_unused:UNUSED_PAD src0_sel:BYTE_3 src1_sel:DWORD
	v_mov_b32_e32 v23, v7
	v_lshrrev_b32_e32 v5, 3, v8
	s_mov_b32 s22, exec_lo
	v_mov_b32_e32 v22, v6
	v_cmpx_gt_u32_e32 8, v8
; %bb.3977:                             ;   in Loop: Header=BB259_2079 Depth=1
	v_ffbh_u32_e32 v5, v6
	v_min_u32_e32 v5, 32, v5
	v_subrev_nc_u32_e32 v8, 28, v5
	v_sub_nc_u32_e32 v5, 29, v5
	v_lshlrev_b64 v[22:23], v8, v[6:7]
	v_and_b32_e32 v22, 7, v22
; %bb.3978:                             ;   in Loop: Header=BB259_2079 Depth=1
	s_or_b32 exec_lo, exec_lo, s22
	v_lshlrev_b32_sdwa v4, v79, v4 dst_sel:DWORD dst_unused:UNUSED_PAD src0_sel:DWORD src1_sel:BYTE_3
	v_lshlrev_b32_e32 v6, 20, v22
	v_lshl_add_u32 v5, v5, 23, 0x3c000000
	v_mov_b32_e32 v22, v7
	v_and_b32_e32 v4, 0x80000000, v4
	v_or3_b32 v23, v6, v4, v5
.LBB259_3979:                           ;   in Loop: Header=BB259_2079 Depth=1
	s_or_b32 exec_lo, exec_lo, s21
.LBB259_3980:                           ;   in Loop: Header=BB259_2079 Depth=1
	s_or_b32 exec_lo, exec_lo, s17
.LBB259_3981:                           ;   in Loop: Header=BB259_2079 Depth=1
	s_or_b32 exec_lo, exec_lo, s15
	v_or_b32_e32 v4, v21, v19
	v_or_b32_e32 v5, v20, v18
	;; [unrolled: 1-line block ×4, first 2 shown]
	v_mul_f32_e32 v74, v93, v4
	v_mul_f32_e32 v72, v73, v5
	;; [unrolled: 1-line block ×4, first 2 shown]
	s_and_saveexec_b32 s8, s6
; %bb.3982:                             ;   in Loop: Header=BB259_2079 Depth=1
	v_cndmask_b32_e32 v72, 0, v72, vcc_lo
	v_cndmask_b32_e64 v74, 0, v74, s4
	v_cndmask_b32_e64 v63, 0, v63, s5
	;; [unrolled: 1-line block ×3, first 2 shown]
; %bb.3983:                             ;   in Loop: Header=BB259_2079 Depth=1
	s_or_b32 exec_lo, exec_lo, s8
	flat_load_dword v4, v[16:17] offset:1024
	v_mov_b32_e32 v20, 0
	v_mov_b32_e32 v18, 0
	;; [unrolled: 1-line block ×4, first 2 shown]
	s_waitcnt vmcnt(0) lgkmcnt(0)
	v_cmp_ne_u16_sdwa s8, v4, v7 src0_sel:BYTE_0 src1_sel:DWORD
	s_and_saveexec_b32 s15, s8
	s_cbranch_execz .LBB259_3991
; %bb.3984:                             ;   in Loop: Header=BB259_2079 Depth=1
	v_bfrev_b32_e32 v18, 1
	v_mov_b32_e32 v19, 0
	v_cmp_ne_u16_sdwa s8, v4, v75 src0_sel:BYTE_0 src1_sel:DWORD
	s_and_saveexec_b32 s17, s8
	s_cbranch_execz .LBB259_3990
; %bb.3985:                             ;   in Loop: Header=BB259_2079 Depth=1
	v_mov_b32_e32 v18, 0x7f800001
	v_and_b32_e32 v8, 0x7f, v4
	v_mov_b32_e32 v19, 0
	s_mov_b32 s21, exec_lo
	v_cmpx_ne_u32_e32 0x7f, v8
	s_cbranch_execz .LBB259_3989
; %bb.3986:                             ;   in Loop: Header=BB259_2079 Depth=1
	v_and_b32_e32 v6, 7, v4
	v_mov_b32_e32 v19, v7
	v_lshrrev_b32_e32 v5, 3, v8
	s_mov_b32 s22, exec_lo
	v_mov_b32_e32 v18, v6
	v_cmpx_gt_u32_e32 8, v8
; %bb.3987:                             ;   in Loop: Header=BB259_2079 Depth=1
	v_ffbh_u32_e32 v5, v6
	v_min_u32_e32 v5, 32, v5
	v_subrev_nc_u32_e32 v8, 28, v5
	v_sub_nc_u32_e32 v5, 29, v5
	v_lshlrev_b64 v[18:19], v8, v[6:7]
	v_and_b32_e32 v18, 7, v18
; %bb.3988:                             ;   in Loop: Header=BB259_2079 Depth=1
	s_or_b32 exec_lo, exec_lo, s22
	v_lshlrev_b32_e32 v6, 24, v4
	v_lshlrev_b32_e32 v8, 20, v18
	v_lshl_add_u32 v5, v5, 23, 0x3c000000
	v_and_b32_e32 v6, 0x80000000, v6
	v_or3_b32 v6, v8, v6, v5
	v_mov_b32_e32 v19, v7
	v_mov_b32_e32 v18, v6
.LBB259_3989:                           ;   in Loop: Header=BB259_2079 Depth=1
	s_or_b32 exec_lo, exec_lo, s21
.LBB259_3990:                           ;   in Loop: Header=BB259_2079 Depth=1
	s_or_b32 exec_lo, exec_lo, s17
.LBB259_3991:                           ;   in Loop: Header=BB259_2079 Depth=1
	s_or_b32 exec_lo, exec_lo, s15
	v_cmp_ne_u16_sdwa s8, v4, v7 src0_sel:BYTE_1 src1_sel:DWORD
	s_and_saveexec_b32 s15, s8
	s_cbranch_execz .LBB259_3999
; %bb.3992:                             ;   in Loop: Header=BB259_2079 Depth=1
	v_mov_b32_e32 v8, v7
	v_mov_b32_e32 v21, v9
	v_cmp_ne_u16_sdwa s8, v4, v75 src0_sel:BYTE_1 src1_sel:DWORD
	v_mov_b32_e32 v20, v8
	s_and_saveexec_b32 s17, s8
	s_cbranch_execz .LBB259_3998
; %bb.3993:                             ;   in Loop: Header=BB259_2079 Depth=1
	v_and_b32_sdwa v5, v76, v4 dst_sel:DWORD dst_unused:UNUSED_PAD src0_sel:DWORD src1_sel:BYTE_1
	v_mov_b32_e32 v10, v7
	v_mov_b32_e32 v21, v11
	s_mov_b32 s21, exec_lo
	v_and_b32_e32 v8, 0x7f, v5
	v_mov_b32_e32 v20, v10
	v_cmpx_ne_u32_e32 0x7f, v8
	s_cbranch_execz .LBB259_3997
; %bb.3994:                             ;   in Loop: Header=BB259_2079 Depth=1
	v_and_b32_e32 v6, 7, v5
	v_mov_b32_e32 v21, v7
	v_lshrrev_b32_e32 v5, 3, v8
	s_mov_b32 s22, exec_lo
	v_mov_b32_e32 v20, v6
	v_cmpx_gt_u32_e32 8, v8
; %bb.3995:                             ;   in Loop: Header=BB259_2079 Depth=1
	v_ffbh_u32_e32 v5, v6
	v_min_u32_e32 v5, 32, v5
	v_subrev_nc_u32_e32 v8, 28, v5
	v_sub_nc_u32_e32 v5, 29, v5
	v_lshlrev_b64 v[20:21], v8, v[6:7]
	v_and_b32_e32 v20, 7, v20
; %bb.3996:                             ;   in Loop: Header=BB259_2079 Depth=1
	s_or_b32 exec_lo, exec_lo, s22
	v_lshlrev_b32_e32 v6, 16, v4
	v_lshlrev_b32_e32 v8, 20, v20
	v_lshl_add_u32 v5, v5, 23, 0x3c000000
	v_mov_b32_e32 v20, v7
	v_and_b32_e32 v6, 0x80000000, v6
	v_or3_b32 v21, v8, v6, v5
.LBB259_3997:                           ;   in Loop: Header=BB259_2079 Depth=1
	s_or_b32 exec_lo, exec_lo, s21
.LBB259_3998:                           ;   in Loop: Header=BB259_2079 Depth=1
	s_or_b32 exec_lo, exec_lo, s17
.LBB259_3999:                           ;   in Loop: Header=BB259_2079 Depth=1
	s_or_b32 exec_lo, exec_lo, s15
	v_mov_b32_e32 v22, 0
	v_mov_b32_e32 v24, 0
	v_and_b32_sdwa v5, v4, v77 dst_sel:DWORD dst_unused:UNUSED_PAD src0_sel:WORD_1 src1_sel:DWORD
	v_mov_b32_e32 v23, 0
	v_mov_b32_e32 v25, 0
	s_mov_b32 s15, exec_lo
	v_cmpx_ne_u16_e32 0, v5
	s_cbranch_execz .LBB259_4007
; %bb.4000:                             ;   in Loop: Header=BB259_2079 Depth=1
	v_bfrev_b32_e32 v24, 1
	v_mov_b32_e32 v25, 0
	s_mov_b32 s17, exec_lo
	v_cmpx_ne_u16_e32 0x80, v5
	s_cbranch_execz .LBB259_4006
; %bb.4001:                             ;   in Loop: Header=BB259_2079 Depth=1
	v_mov_b32_e32 v24, 0x7f800001
	v_bfe_u32 v8, v4, 16, 7
	v_mov_b32_e32 v25, 0
	s_mov_b32 s21, exec_lo
	v_cmpx_ne_u32_e32 0x7f, v8
	s_cbranch_execz .LBB259_4005
; %bb.4002:                             ;   in Loop: Header=BB259_2079 Depth=1
	v_and_b32_sdwa v6, v4, v78 dst_sel:DWORD dst_unused:UNUSED_PAD src0_sel:WORD_1 src1_sel:DWORD
	v_mov_b32_e32 v25, v7
	v_lshrrev_b32_e32 v5, 3, v8
	s_mov_b32 s22, exec_lo
	v_mov_b32_e32 v24, v6
	v_cmpx_gt_u32_e32 8, v8
; %bb.4003:                             ;   in Loop: Header=BB259_2079 Depth=1
	v_ffbh_u32_e32 v5, v6
	v_min_u32_e32 v5, 32, v5
	v_subrev_nc_u32_e32 v8, 28, v5
	v_sub_nc_u32_e32 v5, 29, v5
	v_lshlrev_b64 v[24:25], v8, v[6:7]
	v_and_b32_e32 v24, 7, v24
; %bb.4004:                             ;   in Loop: Header=BB259_2079 Depth=1
	s_or_b32 exec_lo, exec_lo, s22
	v_lshlrev_b32_sdwa v6, v79, v4 dst_sel:DWORD dst_unused:UNUSED_PAD src0_sel:DWORD src1_sel:WORD_1
	v_lshlrev_b32_e32 v8, 20, v24
	v_lshl_add_u32 v5, v5, 23, 0x3c000000
	v_and_b32_e32 v6, 0x80000000, v6
	v_or3_b32 v6, v8, v6, v5
	v_mov_b32_e32 v25, v7
	v_mov_b32_e32 v24, v6
.LBB259_4005:                           ;   in Loop: Header=BB259_2079 Depth=1
	s_or_b32 exec_lo, exec_lo, s21
.LBB259_4006:                           ;   in Loop: Header=BB259_2079 Depth=1
	s_or_b32 exec_lo, exec_lo, s17
.LBB259_4007:                           ;   in Loop: Header=BB259_2079 Depth=1
	s_or_b32 exec_lo, exec_lo, s15
	s_mov_b32 s15, exec_lo
	v_cmpx_lt_u32_e32 0xffffff, v4
	s_cbranch_execz .LBB259_4015
; %bb.4008:                             ;   in Loop: Header=BB259_2079 Depth=1
	v_mov_b32_e32 v8, v7
	v_mov_b32_e32 v23, v9
	v_cmp_ne_u32_sdwa s8, v4, v75 src0_sel:BYTE_3 src1_sel:DWORD
	v_mov_b32_e32 v22, v8
	s_and_saveexec_b32 s17, s8
	s_cbranch_execz .LBB259_4014
; %bb.4009:                             ;   in Loop: Header=BB259_2079 Depth=1
	v_mov_b32_e32 v10, v7
	v_mov_b32_e32 v23, v11
	v_bfe_u32 v8, v4, 24, 7
	s_mov_b32 s21, exec_lo
	v_mov_b32_e32 v22, v10
	v_cmpx_ne_u32_e32 0x7f, v8
	s_cbranch_execz .LBB259_4013
; %bb.4010:                             ;   in Loop: Header=BB259_2079 Depth=1
	v_and_b32_sdwa v6, v4, v78 dst_sel:DWORD dst_unused:UNUSED_PAD src0_sel:BYTE_3 src1_sel:DWORD
	v_mov_b32_e32 v23, v7
	v_lshrrev_b32_e32 v5, 3, v8
	s_mov_b32 s22, exec_lo
	v_mov_b32_e32 v22, v6
	v_cmpx_gt_u32_e32 8, v8
; %bb.4011:                             ;   in Loop: Header=BB259_2079 Depth=1
	v_ffbh_u32_e32 v5, v6
	v_min_u32_e32 v5, 32, v5
	v_subrev_nc_u32_e32 v8, 28, v5
	v_sub_nc_u32_e32 v5, 29, v5
	v_lshlrev_b64 v[22:23], v8, v[6:7]
	v_and_b32_e32 v22, 7, v22
; %bb.4012:                             ;   in Loop: Header=BB259_2079 Depth=1
	s_or_b32 exec_lo, exec_lo, s22
	v_lshlrev_b32_sdwa v4, v79, v4 dst_sel:DWORD dst_unused:UNUSED_PAD src0_sel:DWORD src1_sel:BYTE_3
	v_lshlrev_b32_e32 v6, 20, v22
	v_lshl_add_u32 v5, v5, 23, 0x3c000000
	v_mov_b32_e32 v22, v7
	v_and_b32_e32 v4, 0x80000000, v4
	v_or3_b32 v23, v6, v4, v5
.LBB259_4013:                           ;   in Loop: Header=BB259_2079 Depth=1
	s_or_b32 exec_lo, exec_lo, s21
.LBB259_4014:                           ;   in Loop: Header=BB259_2079 Depth=1
	s_or_b32 exec_lo, exec_lo, s17
.LBB259_4015:                           ;   in Loop: Header=BB259_2079 Depth=1
	s_or_b32 exec_lo, exec_lo, s15
	v_or_b32_e32 v4, v21, v19
	v_or_b32_e32 v5, v20, v18
	;; [unrolled: 1-line block ×4, first 2 shown]
	v_mul_f32_e32 v4, v93, v4
	v_mul_f32_e32 v127, v73, v5
	v_mul_f32_e32 v126, v73, v6
	v_mul_f32_e32 v88, v93, v8
	s_and_saveexec_b32 s8, s6
; %bb.4016:                             ;   in Loop: Header=BB259_2079 Depth=1
	v_cndmask_b32_e32 v127, 0, v127, vcc_lo
	v_cndmask_b32_e64 v4, 0, v4, s4
	v_cndmask_b32_e64 v126, 0, v126, s5
	;; [unrolled: 1-line block ×3, first 2 shown]
; %bb.4017:                             ;   in Loop: Header=BB259_2079 Depth=1
	s_or_b32 exec_lo, exec_lo, s8
	flat_load_dword v5, v[16:17] offset:1152
	v_mov_b32_e32 v20, 0
	v_mov_b32_e32 v18, 0
	;; [unrolled: 1-line block ×4, first 2 shown]
	s_waitcnt vmcnt(0) lgkmcnt(0)
	v_cmp_ne_u16_sdwa s8, v5, v7 src0_sel:BYTE_0 src1_sel:DWORD
	s_and_saveexec_b32 s15, s8
	s_cbranch_execz .LBB259_4025
; %bb.4018:                             ;   in Loop: Header=BB259_2079 Depth=1
	v_bfrev_b32_e32 v18, 1
	v_mov_b32_e32 v19, 0
	v_cmp_ne_u16_sdwa s8, v5, v75 src0_sel:BYTE_0 src1_sel:DWORD
	s_and_saveexec_b32 s17, s8
	s_cbranch_execz .LBB259_4024
; %bb.4019:                             ;   in Loop: Header=BB259_2079 Depth=1
	v_mov_b32_e32 v18, 0x7f800001
	v_and_b32_e32 v10, 0x7f, v5
	v_mov_b32_e32 v19, 0
	s_mov_b32 s21, exec_lo
	v_cmpx_ne_u32_e32 0x7f, v10
	s_cbranch_execz .LBB259_4023
; %bb.4020:                             ;   in Loop: Header=BB259_2079 Depth=1
	v_and_b32_e32 v6, 7, v5
	v_mov_b32_e32 v19, v7
	v_lshrrev_b32_e32 v8, 3, v10
	s_mov_b32 s22, exec_lo
	v_mov_b32_e32 v18, v6
	v_cmpx_gt_u32_e32 8, v10
; %bb.4021:                             ;   in Loop: Header=BB259_2079 Depth=1
	v_ffbh_u32_e32 v8, v6
	v_min_u32_e32 v8, 32, v8
	v_subrev_nc_u32_e32 v10, 28, v8
	v_sub_nc_u32_e32 v8, 29, v8
	v_lshlrev_b64 v[18:19], v10, v[6:7]
	v_and_b32_e32 v18, 7, v18
; %bb.4022:                             ;   in Loop: Header=BB259_2079 Depth=1
	s_or_b32 exec_lo, exec_lo, s22
	v_lshlrev_b32_e32 v6, 24, v5
	v_lshlrev_b32_e32 v10, 20, v18
	v_lshl_add_u32 v8, v8, 23, 0x3c000000
	v_and_b32_e32 v6, 0x80000000, v6
	v_or3_b32 v6, v10, v6, v8
	v_mov_b32_e32 v19, v7
	v_mov_b32_e32 v18, v6
.LBB259_4023:                           ;   in Loop: Header=BB259_2079 Depth=1
	s_or_b32 exec_lo, exec_lo, s21
.LBB259_4024:                           ;   in Loop: Header=BB259_2079 Depth=1
	s_or_b32 exec_lo, exec_lo, s17
.LBB259_4025:                           ;   in Loop: Header=BB259_2079 Depth=1
	s_or_b32 exec_lo, exec_lo, s15
	v_cmp_ne_u16_sdwa s8, v5, v7 src0_sel:BYTE_1 src1_sel:DWORD
	s_and_saveexec_b32 s15, s8
	s_cbranch_execz .LBB259_4033
; %bb.4026:                             ;   in Loop: Header=BB259_2079 Depth=1
	v_mov_b32_e32 v8, v7
	v_mov_b32_e32 v21, v9
	v_cmp_ne_u16_sdwa s8, v5, v75 src0_sel:BYTE_1 src1_sel:DWORD
	v_mov_b32_e32 v20, v8
	s_and_saveexec_b32 s17, s8
	s_cbranch_execz .LBB259_4032
; %bb.4027:                             ;   in Loop: Header=BB259_2079 Depth=1
	v_and_b32_sdwa v6, v76, v5 dst_sel:DWORD dst_unused:UNUSED_PAD src0_sel:DWORD src1_sel:BYTE_1
	v_mov_b32_e32 v10, v7
	v_mov_b32_e32 v21, v11
	s_mov_b32 s21, exec_lo
	v_and_b32_e32 v22, 0x7f, v6
	v_mov_b32_e32 v20, v10
	v_cmpx_ne_u32_e32 0x7f, v22
	s_cbranch_execz .LBB259_4031
; %bb.4028:                             ;   in Loop: Header=BB259_2079 Depth=1
	v_and_b32_e32 v6, 7, v6
	v_mov_b32_e32 v21, v7
	v_lshrrev_b32_e32 v8, 3, v22
	s_mov_b32 s22, exec_lo
	v_mov_b32_e32 v20, v6
	v_cmpx_gt_u32_e32 8, v22
; %bb.4029:                             ;   in Loop: Header=BB259_2079 Depth=1
	v_ffbh_u32_e32 v8, v6
	v_min_u32_e32 v8, 32, v8
	v_subrev_nc_u32_e32 v10, 28, v8
	v_sub_nc_u32_e32 v8, 29, v8
	v_lshlrev_b64 v[20:21], v10, v[6:7]
	v_and_b32_e32 v20, 7, v20
; %bb.4030:                             ;   in Loop: Header=BB259_2079 Depth=1
	s_or_b32 exec_lo, exec_lo, s22
	v_lshlrev_b32_e32 v6, 16, v5
	v_lshlrev_b32_e32 v10, 20, v20
	v_lshl_add_u32 v8, v8, 23, 0x3c000000
	v_mov_b32_e32 v20, v7
	v_and_b32_e32 v6, 0x80000000, v6
	v_or3_b32 v21, v10, v6, v8
.LBB259_4031:                           ;   in Loop: Header=BB259_2079 Depth=1
	s_or_b32 exec_lo, exec_lo, s21
.LBB259_4032:                           ;   in Loop: Header=BB259_2079 Depth=1
	s_or_b32 exec_lo, exec_lo, s17
.LBB259_4033:                           ;   in Loop: Header=BB259_2079 Depth=1
	s_or_b32 exec_lo, exec_lo, s15
	v_mov_b32_e32 v22, 0
	v_mov_b32_e32 v24, 0
	v_and_b32_sdwa v6, v5, v77 dst_sel:DWORD dst_unused:UNUSED_PAD src0_sel:WORD_1 src1_sel:DWORD
	v_mov_b32_e32 v23, 0
	v_mov_b32_e32 v25, 0
	s_mov_b32 s15, exec_lo
	v_cmpx_ne_u16_e32 0, v6
	s_cbranch_execz .LBB259_4041
; %bb.4034:                             ;   in Loop: Header=BB259_2079 Depth=1
	v_bfrev_b32_e32 v24, 1
	v_mov_b32_e32 v25, 0
	s_mov_b32 s17, exec_lo
	v_cmpx_ne_u16_e32 0x80, v6
	s_cbranch_execz .LBB259_4040
; %bb.4035:                             ;   in Loop: Header=BB259_2079 Depth=1
	v_mov_b32_e32 v24, 0x7f800001
	v_bfe_u32 v10, v5, 16, 7
	v_mov_b32_e32 v25, 0
	s_mov_b32 s21, exec_lo
	v_cmpx_ne_u32_e32 0x7f, v10
	s_cbranch_execz .LBB259_4039
; %bb.4036:                             ;   in Loop: Header=BB259_2079 Depth=1
	v_and_b32_sdwa v6, v5, v78 dst_sel:DWORD dst_unused:UNUSED_PAD src0_sel:WORD_1 src1_sel:DWORD
	v_mov_b32_e32 v25, v7
	v_lshrrev_b32_e32 v8, 3, v10
	s_mov_b32 s22, exec_lo
	v_mov_b32_e32 v24, v6
	v_cmpx_gt_u32_e32 8, v10
; %bb.4037:                             ;   in Loop: Header=BB259_2079 Depth=1
	v_ffbh_u32_e32 v8, v6
	v_min_u32_e32 v8, 32, v8
	v_subrev_nc_u32_e32 v10, 28, v8
	v_sub_nc_u32_e32 v8, 29, v8
	v_lshlrev_b64 v[24:25], v10, v[6:7]
	v_and_b32_e32 v24, 7, v24
; %bb.4038:                             ;   in Loop: Header=BB259_2079 Depth=1
	s_or_b32 exec_lo, exec_lo, s22
	v_lshlrev_b32_sdwa v6, v79, v5 dst_sel:DWORD dst_unused:UNUSED_PAD src0_sel:DWORD src1_sel:WORD_1
	v_lshlrev_b32_e32 v10, 20, v24
	v_lshl_add_u32 v8, v8, 23, 0x3c000000
	v_and_b32_e32 v6, 0x80000000, v6
	v_or3_b32 v6, v10, v6, v8
	v_mov_b32_e32 v25, v7
	v_mov_b32_e32 v24, v6
.LBB259_4039:                           ;   in Loop: Header=BB259_2079 Depth=1
	s_or_b32 exec_lo, exec_lo, s21
.LBB259_4040:                           ;   in Loop: Header=BB259_2079 Depth=1
	s_or_b32 exec_lo, exec_lo, s17
.LBB259_4041:                           ;   in Loop: Header=BB259_2079 Depth=1
	s_or_b32 exec_lo, exec_lo, s15
	s_mov_b32 s15, exec_lo
	v_cmpx_lt_u32_e32 0xffffff, v5
	s_cbranch_execz .LBB259_4049
; %bb.4042:                             ;   in Loop: Header=BB259_2079 Depth=1
	v_mov_b32_e32 v8, v7
	v_mov_b32_e32 v23, v9
	v_cmp_ne_u32_sdwa s8, v5, v75 src0_sel:BYTE_3 src1_sel:DWORD
	v_mov_b32_e32 v22, v8
	s_and_saveexec_b32 s17, s8
	s_cbranch_execz .LBB259_4048
; %bb.4043:                             ;   in Loop: Header=BB259_2079 Depth=1
	v_mov_b32_e32 v10, v7
	v_mov_b32_e32 v23, v11
	v_bfe_u32 v28, v5, 24, 7
	s_mov_b32 s21, exec_lo
	v_mov_b32_e32 v22, v10
	v_cmpx_ne_u32_e32 0x7f, v28
	s_cbranch_execz .LBB259_4047
; %bb.4044:                             ;   in Loop: Header=BB259_2079 Depth=1
	v_and_b32_sdwa v6, v5, v78 dst_sel:DWORD dst_unused:UNUSED_PAD src0_sel:BYTE_3 src1_sel:DWORD
	v_mov_b32_e32 v23, v7
	v_lshrrev_b32_e32 v8, 3, v28
	s_mov_b32 s22, exec_lo
	v_mov_b32_e32 v22, v6
	v_cmpx_gt_u32_e32 8, v28
; %bb.4045:                             ;   in Loop: Header=BB259_2079 Depth=1
	v_ffbh_u32_e32 v8, v6
	v_min_u32_e32 v8, 32, v8
	v_subrev_nc_u32_e32 v10, 28, v8
	v_sub_nc_u32_e32 v8, 29, v8
	v_lshlrev_b64 v[22:23], v10, v[6:7]
	v_and_b32_e32 v22, 7, v22
; %bb.4046:                             ;   in Loop: Header=BB259_2079 Depth=1
	s_or_b32 exec_lo, exec_lo, s22
	v_lshlrev_b32_sdwa v5, v79, v5 dst_sel:DWORD dst_unused:UNUSED_PAD src0_sel:DWORD src1_sel:BYTE_3
	v_lshlrev_b32_e32 v6, 20, v22
	v_lshl_add_u32 v8, v8, 23, 0x3c000000
	v_mov_b32_e32 v22, v7
	v_and_b32_e32 v5, 0x80000000, v5
	v_or3_b32 v23, v6, v5, v8
.LBB259_4047:                           ;   in Loop: Header=BB259_2079 Depth=1
	s_or_b32 exec_lo, exec_lo, s21
.LBB259_4048:                           ;   in Loop: Header=BB259_2079 Depth=1
	s_or_b32 exec_lo, exec_lo, s17
.LBB259_4049:                           ;   in Loop: Header=BB259_2079 Depth=1
	s_or_b32 exec_lo, exec_lo, s15
	v_or_b32_e32 v5, v21, v19
	v_or_b32_e32 v6, v20, v18
	;; [unrolled: 1-line block ×4, first 2 shown]
	v_mul_f32_e32 v47, v93, v5
	v_mul_f32_e32 v90, v73, v6
	;; [unrolled: 1-line block ×4, first 2 shown]
	s_and_saveexec_b32 s8, s6
; %bb.4050:                             ;   in Loop: Header=BB259_2079 Depth=1
	v_cndmask_b32_e32 v90, 0, v90, vcc_lo
	v_cndmask_b32_e64 v47, 0, v47, s4
	v_cndmask_b32_e64 v89, 0, v89, s5
	;; [unrolled: 1-line block ×3, first 2 shown]
; %bb.4051:                             ;   in Loop: Header=BB259_2079 Depth=1
	s_or_b32 exec_lo, exec_lo, s8
	flat_load_dword v28, v[16:17] offset:1280
	v_mov_b32_e32 v20, 0
	v_mov_b32_e32 v18, 0
	;; [unrolled: 1-line block ×4, first 2 shown]
	s_waitcnt vmcnt(0) lgkmcnt(0)
	v_cmp_ne_u16_sdwa s8, v28, v7 src0_sel:BYTE_0 src1_sel:DWORD
	s_and_saveexec_b32 s15, s8
	s_cbranch_execz .LBB259_4059
; %bb.4052:                             ;   in Loop: Header=BB259_2079 Depth=1
	v_bfrev_b32_e32 v18, 1
	v_mov_b32_e32 v19, 0
	v_cmp_ne_u16_sdwa s8, v28, v75 src0_sel:BYTE_0 src1_sel:DWORD
	s_and_saveexec_b32 s17, s8
	s_cbranch_execz .LBB259_4058
; %bb.4053:                             ;   in Loop: Header=BB259_2079 Depth=1
	v_mov_b32_e32 v18, 0x7f800001
	v_and_b32_e32 v10, 0x7f, v28
	v_mov_b32_e32 v19, 0
	s_mov_b32 s21, exec_lo
	v_cmpx_ne_u32_e32 0x7f, v10
	s_cbranch_execz .LBB259_4057
; %bb.4054:                             ;   in Loop: Header=BB259_2079 Depth=1
	v_and_b32_e32 v6, 7, v28
	v_mov_b32_e32 v19, v7
	v_lshrrev_b32_e32 v8, 3, v10
	s_mov_b32 s22, exec_lo
	v_mov_b32_e32 v18, v6
	v_cmpx_gt_u32_e32 8, v10
; %bb.4055:                             ;   in Loop: Header=BB259_2079 Depth=1
	v_ffbh_u32_e32 v8, v6
	v_min_u32_e32 v8, 32, v8
	v_subrev_nc_u32_e32 v10, 28, v8
	v_sub_nc_u32_e32 v8, 29, v8
	v_lshlrev_b64 v[18:19], v10, v[6:7]
	v_and_b32_e32 v18, 7, v18
; %bb.4056:                             ;   in Loop: Header=BB259_2079 Depth=1
	s_or_b32 exec_lo, exec_lo, s22
	v_lshlrev_b32_e32 v6, 24, v28
	v_lshlrev_b32_e32 v10, 20, v18
	v_lshl_add_u32 v8, v8, 23, 0x3c000000
	v_and_b32_e32 v6, 0x80000000, v6
	v_or3_b32 v6, v10, v6, v8
	v_mov_b32_e32 v19, v7
	v_mov_b32_e32 v18, v6
.LBB259_4057:                           ;   in Loop: Header=BB259_2079 Depth=1
	s_or_b32 exec_lo, exec_lo, s21
.LBB259_4058:                           ;   in Loop: Header=BB259_2079 Depth=1
	s_or_b32 exec_lo, exec_lo, s17
.LBB259_4059:                           ;   in Loop: Header=BB259_2079 Depth=1
	s_or_b32 exec_lo, exec_lo, s15
	v_cmp_ne_u16_sdwa s8, v28, v7 src0_sel:BYTE_1 src1_sel:DWORD
	s_and_saveexec_b32 s15, s8
	s_cbranch_execz .LBB259_4067
; %bb.4060:                             ;   in Loop: Header=BB259_2079 Depth=1
	v_mov_b32_e32 v8, v7
	v_mov_b32_e32 v21, v9
	v_cmp_ne_u16_sdwa s8, v28, v75 src0_sel:BYTE_1 src1_sel:DWORD
	v_mov_b32_e32 v20, v8
	s_and_saveexec_b32 s17, s8
	s_cbranch_execz .LBB259_4066
; %bb.4061:                             ;   in Loop: Header=BB259_2079 Depth=1
	v_and_b32_sdwa v6, v76, v28 dst_sel:DWORD dst_unused:UNUSED_PAD src0_sel:DWORD src1_sel:BYTE_1
	v_mov_b32_e32 v10, v7
	v_mov_b32_e32 v21, v11
	s_mov_b32 s21, exec_lo
	v_and_b32_e32 v22, 0x7f, v6
	v_mov_b32_e32 v20, v10
	v_cmpx_ne_u32_e32 0x7f, v22
	s_cbranch_execz .LBB259_4065
; %bb.4062:                             ;   in Loop: Header=BB259_2079 Depth=1
	v_and_b32_e32 v6, 7, v6
	v_mov_b32_e32 v21, v7
	v_lshrrev_b32_e32 v8, 3, v22
	s_mov_b32 s22, exec_lo
	v_mov_b32_e32 v20, v6
	v_cmpx_gt_u32_e32 8, v22
; %bb.4063:                             ;   in Loop: Header=BB259_2079 Depth=1
	v_ffbh_u32_e32 v8, v6
	v_min_u32_e32 v8, 32, v8
	v_subrev_nc_u32_e32 v10, 28, v8
	v_sub_nc_u32_e32 v8, 29, v8
	v_lshlrev_b64 v[20:21], v10, v[6:7]
	v_and_b32_e32 v20, 7, v20
; %bb.4064:                             ;   in Loop: Header=BB259_2079 Depth=1
	s_or_b32 exec_lo, exec_lo, s22
	v_lshlrev_b32_e32 v6, 16, v28
	v_lshlrev_b32_e32 v10, 20, v20
	v_lshl_add_u32 v8, v8, 23, 0x3c000000
	v_mov_b32_e32 v20, v7
	v_and_b32_e32 v6, 0x80000000, v6
	v_or3_b32 v21, v10, v6, v8
.LBB259_4065:                           ;   in Loop: Header=BB259_2079 Depth=1
	s_or_b32 exec_lo, exec_lo, s21
.LBB259_4066:                           ;   in Loop: Header=BB259_2079 Depth=1
	s_or_b32 exec_lo, exec_lo, s17
.LBB259_4067:                           ;   in Loop: Header=BB259_2079 Depth=1
	s_or_b32 exec_lo, exec_lo, s15
	v_mov_b32_e32 v22, 0
	v_mov_b32_e32 v24, 0
	v_and_b32_sdwa v6, v28, v77 dst_sel:DWORD dst_unused:UNUSED_PAD src0_sel:WORD_1 src1_sel:DWORD
	v_mov_b32_e32 v23, 0
	v_mov_b32_e32 v25, 0
	s_mov_b32 s15, exec_lo
	v_cmpx_ne_u16_e32 0, v6
	s_cbranch_execz .LBB259_4075
; %bb.4068:                             ;   in Loop: Header=BB259_2079 Depth=1
	v_bfrev_b32_e32 v24, 1
	v_mov_b32_e32 v25, 0
	s_mov_b32 s17, exec_lo
	v_cmpx_ne_u16_e32 0x80, v6
	s_cbranch_execz .LBB259_4074
; %bb.4069:                             ;   in Loop: Header=BB259_2079 Depth=1
	v_mov_b32_e32 v24, 0x7f800001
	v_bfe_u32 v10, v28, 16, 7
	v_mov_b32_e32 v25, 0
	s_mov_b32 s21, exec_lo
	v_cmpx_ne_u32_e32 0x7f, v10
	s_cbranch_execz .LBB259_4073
; %bb.4070:                             ;   in Loop: Header=BB259_2079 Depth=1
	v_and_b32_sdwa v6, v28, v78 dst_sel:DWORD dst_unused:UNUSED_PAD src0_sel:WORD_1 src1_sel:DWORD
	v_mov_b32_e32 v25, v7
	v_lshrrev_b32_e32 v8, 3, v10
	s_mov_b32 s22, exec_lo
	v_mov_b32_e32 v24, v6
	v_cmpx_gt_u32_e32 8, v10
; %bb.4071:                             ;   in Loop: Header=BB259_2079 Depth=1
	v_ffbh_u32_e32 v8, v6
	v_min_u32_e32 v8, 32, v8
	v_subrev_nc_u32_e32 v10, 28, v8
	v_sub_nc_u32_e32 v8, 29, v8
	v_lshlrev_b64 v[24:25], v10, v[6:7]
	v_and_b32_e32 v24, 7, v24
; %bb.4072:                             ;   in Loop: Header=BB259_2079 Depth=1
	s_or_b32 exec_lo, exec_lo, s22
	v_lshlrev_b32_sdwa v6, v79, v28 dst_sel:DWORD dst_unused:UNUSED_PAD src0_sel:DWORD src1_sel:WORD_1
	v_lshlrev_b32_e32 v10, 20, v24
	v_lshl_add_u32 v8, v8, 23, 0x3c000000
	v_and_b32_e32 v6, 0x80000000, v6
	v_or3_b32 v6, v10, v6, v8
	v_mov_b32_e32 v25, v7
	v_mov_b32_e32 v24, v6
.LBB259_4073:                           ;   in Loop: Header=BB259_2079 Depth=1
	s_or_b32 exec_lo, exec_lo, s21
.LBB259_4074:                           ;   in Loop: Header=BB259_2079 Depth=1
	s_or_b32 exec_lo, exec_lo, s17
.LBB259_4075:                           ;   in Loop: Header=BB259_2079 Depth=1
	s_or_b32 exec_lo, exec_lo, s15
	s_mov_b32 s15, exec_lo
	v_cmpx_lt_u32_e32 0xffffff, v28
	s_cbranch_execz .LBB259_4083
; %bb.4076:                             ;   in Loop: Header=BB259_2079 Depth=1
	v_mov_b32_e32 v8, v7
	v_mov_b32_e32 v23, v9
	v_cmp_ne_u32_sdwa s8, v28, v75 src0_sel:BYTE_3 src1_sel:DWORD
	v_mov_b32_e32 v22, v8
	s_and_saveexec_b32 s17, s8
	s_cbranch_execz .LBB259_4082
; %bb.4077:                             ;   in Loop: Header=BB259_2079 Depth=1
	v_mov_b32_e32 v10, v7
	v_mov_b32_e32 v23, v11
	v_bfe_u32 v29, v28, 24, 7
	s_mov_b32 s21, exec_lo
	v_mov_b32_e32 v22, v10
	v_cmpx_ne_u32_e32 0x7f, v29
	s_cbranch_execz .LBB259_4081
; %bb.4078:                             ;   in Loop: Header=BB259_2079 Depth=1
	v_and_b32_sdwa v6, v28, v78 dst_sel:DWORD dst_unused:UNUSED_PAD src0_sel:BYTE_3 src1_sel:DWORD
	v_mov_b32_e32 v23, v7
	v_lshrrev_b32_e32 v8, 3, v29
	s_mov_b32 s22, exec_lo
	v_mov_b32_e32 v22, v6
	v_cmpx_gt_u32_e32 8, v29
; %bb.4079:                             ;   in Loop: Header=BB259_2079 Depth=1
	v_ffbh_u32_e32 v8, v6
	v_min_u32_e32 v8, 32, v8
	v_subrev_nc_u32_e32 v10, 28, v8
	v_sub_nc_u32_e32 v8, 29, v8
	v_lshlrev_b64 v[22:23], v10, v[6:7]
	v_and_b32_e32 v22, 7, v22
; %bb.4080:                             ;   in Loop: Header=BB259_2079 Depth=1
	s_or_b32 exec_lo, exec_lo, s22
	v_lshlrev_b32_sdwa v6, v79, v28 dst_sel:DWORD dst_unused:UNUSED_PAD src0_sel:DWORD src1_sel:BYTE_3
	v_lshlrev_b32_e32 v10, 20, v22
	v_lshl_add_u32 v8, v8, 23, 0x3c000000
	v_mov_b32_e32 v22, v7
	v_and_b32_e32 v6, 0x80000000, v6
	v_or3_b32 v23, v10, v6, v8
.LBB259_4081:                           ;   in Loop: Header=BB259_2079 Depth=1
	s_or_b32 exec_lo, exec_lo, s21
.LBB259_4082:                           ;   in Loop: Header=BB259_2079 Depth=1
	s_or_b32 exec_lo, exec_lo, s17
.LBB259_4083:                           ;   in Loop: Header=BB259_2079 Depth=1
	s_or_b32 exec_lo, exec_lo, s15
	v_or_b32_e32 v6, v21, v19
	v_or_b32_e32 v8, v20, v18
	v_or_b32_e32 v10, v22, v24
	v_or_b32_e32 v18, v23, v25
	v_mul_f32_e32 v30, v93, v6
	v_mul_f32_e32 v104, v73, v8
	;; [unrolled: 1-line block ×4, first 2 shown]
	s_and_saveexec_b32 s8, s6
; %bb.4084:                             ;   in Loop: Header=BB259_2079 Depth=1
	v_cndmask_b32_e32 v104, 0, v104, vcc_lo
	v_cndmask_b32_e64 v30, 0, v30, s4
	v_cndmask_b32_e64 v95, 0, v95, s5
	;; [unrolled: 1-line block ×3, first 2 shown]
; %bb.4085:                             ;   in Loop: Header=BB259_2079 Depth=1
	s_or_b32 exec_lo, exec_lo, s8
	flat_load_dword v28, v[16:17] offset:1408
	v_mov_b32_e32 v20, 0
	v_mov_b32_e32 v18, 0
	;; [unrolled: 1-line block ×4, first 2 shown]
	s_waitcnt vmcnt(0) lgkmcnt(0)
	v_cmp_ne_u16_sdwa s8, v28, v7 src0_sel:BYTE_0 src1_sel:DWORD
	s_and_saveexec_b32 s15, s8
	s_cbranch_execz .LBB259_4093
; %bb.4086:                             ;   in Loop: Header=BB259_2079 Depth=1
	v_bfrev_b32_e32 v18, 1
	v_mov_b32_e32 v19, 0
	v_cmp_ne_u16_sdwa s8, v28, v75 src0_sel:BYTE_0 src1_sel:DWORD
	s_and_saveexec_b32 s17, s8
	s_cbranch_execz .LBB259_4092
; %bb.4087:                             ;   in Loop: Header=BB259_2079 Depth=1
	v_mov_b32_e32 v18, 0x7f800001
	v_and_b32_e32 v10, 0x7f, v28
	v_mov_b32_e32 v19, 0
	s_mov_b32 s21, exec_lo
	v_cmpx_ne_u32_e32 0x7f, v10
	s_cbranch_execz .LBB259_4091
; %bb.4088:                             ;   in Loop: Header=BB259_2079 Depth=1
	v_and_b32_e32 v6, 7, v28
	v_mov_b32_e32 v19, v7
	v_lshrrev_b32_e32 v8, 3, v10
	s_mov_b32 s22, exec_lo
	v_mov_b32_e32 v18, v6
	v_cmpx_gt_u32_e32 8, v10
; %bb.4089:                             ;   in Loop: Header=BB259_2079 Depth=1
	v_ffbh_u32_e32 v8, v6
	v_min_u32_e32 v8, 32, v8
	v_subrev_nc_u32_e32 v10, 28, v8
	v_sub_nc_u32_e32 v8, 29, v8
	v_lshlrev_b64 v[18:19], v10, v[6:7]
	v_and_b32_e32 v18, 7, v18
; %bb.4090:                             ;   in Loop: Header=BB259_2079 Depth=1
	s_or_b32 exec_lo, exec_lo, s22
	v_lshlrev_b32_e32 v6, 24, v28
	v_lshlrev_b32_e32 v10, 20, v18
	v_lshl_add_u32 v8, v8, 23, 0x3c000000
	v_and_b32_e32 v6, 0x80000000, v6
	v_or3_b32 v6, v10, v6, v8
	v_mov_b32_e32 v19, v7
	v_mov_b32_e32 v18, v6
.LBB259_4091:                           ;   in Loop: Header=BB259_2079 Depth=1
	s_or_b32 exec_lo, exec_lo, s21
.LBB259_4092:                           ;   in Loop: Header=BB259_2079 Depth=1
	s_or_b32 exec_lo, exec_lo, s17
.LBB259_4093:                           ;   in Loop: Header=BB259_2079 Depth=1
	s_or_b32 exec_lo, exec_lo, s15
	v_cmp_ne_u16_sdwa s8, v28, v7 src0_sel:BYTE_1 src1_sel:DWORD
	s_and_saveexec_b32 s15, s8
	s_cbranch_execz .LBB259_4101
; %bb.4094:                             ;   in Loop: Header=BB259_2079 Depth=1
	v_mov_b32_e32 v8, v7
	v_mov_b32_e32 v21, v9
	v_cmp_ne_u16_sdwa s8, v28, v75 src0_sel:BYTE_1 src1_sel:DWORD
	v_mov_b32_e32 v20, v8
	s_and_saveexec_b32 s17, s8
	s_cbranch_execz .LBB259_4100
; %bb.4095:                             ;   in Loop: Header=BB259_2079 Depth=1
	v_and_b32_sdwa v6, v76, v28 dst_sel:DWORD dst_unused:UNUSED_PAD src0_sel:DWORD src1_sel:BYTE_1
	v_mov_b32_e32 v10, v7
	v_mov_b32_e32 v21, v11
	s_mov_b32 s21, exec_lo
	v_and_b32_e32 v22, 0x7f, v6
	v_mov_b32_e32 v20, v10
	v_cmpx_ne_u32_e32 0x7f, v22
	s_cbranch_execz .LBB259_4099
; %bb.4096:                             ;   in Loop: Header=BB259_2079 Depth=1
	v_and_b32_e32 v6, 7, v6
	v_mov_b32_e32 v21, v7
	v_lshrrev_b32_e32 v8, 3, v22
	s_mov_b32 s22, exec_lo
	v_mov_b32_e32 v20, v6
	v_cmpx_gt_u32_e32 8, v22
; %bb.4097:                             ;   in Loop: Header=BB259_2079 Depth=1
	v_ffbh_u32_e32 v8, v6
	v_min_u32_e32 v8, 32, v8
	v_subrev_nc_u32_e32 v10, 28, v8
	v_sub_nc_u32_e32 v8, 29, v8
	v_lshlrev_b64 v[20:21], v10, v[6:7]
	v_and_b32_e32 v20, 7, v20
; %bb.4098:                             ;   in Loop: Header=BB259_2079 Depth=1
	s_or_b32 exec_lo, exec_lo, s22
	v_lshlrev_b32_e32 v6, 16, v28
	v_lshlrev_b32_e32 v10, 20, v20
	v_lshl_add_u32 v8, v8, 23, 0x3c000000
	v_mov_b32_e32 v20, v7
	v_and_b32_e32 v6, 0x80000000, v6
	v_or3_b32 v21, v10, v6, v8
.LBB259_4099:                           ;   in Loop: Header=BB259_2079 Depth=1
	s_or_b32 exec_lo, exec_lo, s21
.LBB259_4100:                           ;   in Loop: Header=BB259_2079 Depth=1
	s_or_b32 exec_lo, exec_lo, s17
.LBB259_4101:                           ;   in Loop: Header=BB259_2079 Depth=1
	s_or_b32 exec_lo, exec_lo, s15
	v_mov_b32_e32 v22, 0
	v_mov_b32_e32 v24, 0
	v_and_b32_sdwa v6, v28, v77 dst_sel:DWORD dst_unused:UNUSED_PAD src0_sel:WORD_1 src1_sel:DWORD
	v_mov_b32_e32 v23, 0
	v_mov_b32_e32 v25, 0
	s_mov_b32 s15, exec_lo
	v_cmpx_ne_u16_e32 0, v6
	s_cbranch_execz .LBB259_4109
; %bb.4102:                             ;   in Loop: Header=BB259_2079 Depth=1
	v_bfrev_b32_e32 v24, 1
	v_mov_b32_e32 v25, 0
	s_mov_b32 s17, exec_lo
	v_cmpx_ne_u16_e32 0x80, v6
	s_cbranch_execz .LBB259_4108
; %bb.4103:                             ;   in Loop: Header=BB259_2079 Depth=1
	v_mov_b32_e32 v24, 0x7f800001
	v_bfe_u32 v10, v28, 16, 7
	v_mov_b32_e32 v25, 0
	s_mov_b32 s21, exec_lo
	v_cmpx_ne_u32_e32 0x7f, v10
	s_cbranch_execz .LBB259_4107
; %bb.4104:                             ;   in Loop: Header=BB259_2079 Depth=1
	v_and_b32_sdwa v6, v28, v78 dst_sel:DWORD dst_unused:UNUSED_PAD src0_sel:WORD_1 src1_sel:DWORD
	v_mov_b32_e32 v25, v7
	v_lshrrev_b32_e32 v8, 3, v10
	s_mov_b32 s22, exec_lo
	v_mov_b32_e32 v24, v6
	v_cmpx_gt_u32_e32 8, v10
; %bb.4105:                             ;   in Loop: Header=BB259_2079 Depth=1
	v_ffbh_u32_e32 v8, v6
	v_min_u32_e32 v8, 32, v8
	v_subrev_nc_u32_e32 v10, 28, v8
	v_sub_nc_u32_e32 v8, 29, v8
	v_lshlrev_b64 v[24:25], v10, v[6:7]
	v_and_b32_e32 v24, 7, v24
; %bb.4106:                             ;   in Loop: Header=BB259_2079 Depth=1
	s_or_b32 exec_lo, exec_lo, s22
	v_lshlrev_b32_sdwa v6, v79, v28 dst_sel:DWORD dst_unused:UNUSED_PAD src0_sel:DWORD src1_sel:WORD_1
	v_lshlrev_b32_e32 v10, 20, v24
	v_lshl_add_u32 v8, v8, 23, 0x3c000000
	v_and_b32_e32 v6, 0x80000000, v6
	v_or3_b32 v6, v10, v6, v8
	v_mov_b32_e32 v25, v7
	v_mov_b32_e32 v24, v6
.LBB259_4107:                           ;   in Loop: Header=BB259_2079 Depth=1
	s_or_b32 exec_lo, exec_lo, s21
.LBB259_4108:                           ;   in Loop: Header=BB259_2079 Depth=1
	s_or_b32 exec_lo, exec_lo, s17
.LBB259_4109:                           ;   in Loop: Header=BB259_2079 Depth=1
	s_or_b32 exec_lo, exec_lo, s15
	s_mov_b32 s15, exec_lo
	v_cmpx_lt_u32_e32 0xffffff, v28
	s_cbranch_execz .LBB259_4117
; %bb.4110:                             ;   in Loop: Header=BB259_2079 Depth=1
	v_mov_b32_e32 v8, v7
	v_mov_b32_e32 v23, v9
	v_cmp_ne_u32_sdwa s8, v28, v75 src0_sel:BYTE_3 src1_sel:DWORD
	v_mov_b32_e32 v22, v8
	s_and_saveexec_b32 s17, s8
	s_cbranch_execz .LBB259_4116
; %bb.4111:                             ;   in Loop: Header=BB259_2079 Depth=1
	v_mov_b32_e32 v10, v7
	v_mov_b32_e32 v23, v11
	v_bfe_u32 v29, v28, 24, 7
	s_mov_b32 s21, exec_lo
	v_mov_b32_e32 v22, v10
	v_cmpx_ne_u32_e32 0x7f, v29
	s_cbranch_execz .LBB259_4115
; %bb.4112:                             ;   in Loop: Header=BB259_2079 Depth=1
	v_and_b32_sdwa v6, v28, v78 dst_sel:DWORD dst_unused:UNUSED_PAD src0_sel:BYTE_3 src1_sel:DWORD
	v_mov_b32_e32 v23, v7
	v_lshrrev_b32_e32 v8, 3, v29
	s_mov_b32 s22, exec_lo
	v_mov_b32_e32 v22, v6
	v_cmpx_gt_u32_e32 8, v29
; %bb.4113:                             ;   in Loop: Header=BB259_2079 Depth=1
	v_ffbh_u32_e32 v8, v6
	v_min_u32_e32 v8, 32, v8
	v_subrev_nc_u32_e32 v10, 28, v8
	v_sub_nc_u32_e32 v8, 29, v8
	v_lshlrev_b64 v[22:23], v10, v[6:7]
	v_and_b32_e32 v22, 7, v22
; %bb.4114:                             ;   in Loop: Header=BB259_2079 Depth=1
	s_or_b32 exec_lo, exec_lo, s22
	v_lshlrev_b32_sdwa v6, v79, v28 dst_sel:DWORD dst_unused:UNUSED_PAD src0_sel:DWORD src1_sel:BYTE_3
	v_lshlrev_b32_e32 v10, 20, v22
	v_lshl_add_u32 v8, v8, 23, 0x3c000000
	v_mov_b32_e32 v22, v7
	v_and_b32_e32 v6, 0x80000000, v6
	v_or3_b32 v23, v10, v6, v8
.LBB259_4115:                           ;   in Loop: Header=BB259_2079 Depth=1
	s_or_b32 exec_lo, exec_lo, s21
.LBB259_4116:                           ;   in Loop: Header=BB259_2079 Depth=1
	s_or_b32 exec_lo, exec_lo, s17
.LBB259_4117:                           ;   in Loop: Header=BB259_2079 Depth=1
	s_or_b32 exec_lo, exec_lo, s15
	v_or_b32_e32 v6, v21, v19
	v_or_b32_e32 v8, v20, v18
	;; [unrolled: 1-line block ×4, first 2 shown]
	v_mul_f32_e32 v92, v93, v6
	v_mul_f32_e32 v107, v73, v8
	;; [unrolled: 1-line block ×4, first 2 shown]
	s_and_saveexec_b32 s8, s6
; %bb.4118:                             ;   in Loop: Header=BB259_2079 Depth=1
	v_cndmask_b32_e32 v107, 0, v107, vcc_lo
	v_cndmask_b32_e64 v92, 0, v92, s4
	v_cndmask_b32_e64 v106, 0, v106, s5
	;; [unrolled: 1-line block ×3, first 2 shown]
; %bb.4119:                             ;   in Loop: Header=BB259_2079 Depth=1
	s_or_b32 exec_lo, exec_lo, s8
	flat_load_dword v28, v[16:17] offset:1536
	v_mov_b32_e32 v20, 0
	v_mov_b32_e32 v18, 0
	;; [unrolled: 1-line block ×4, first 2 shown]
	s_waitcnt vmcnt(0) lgkmcnt(0)
	v_cmp_ne_u16_sdwa s8, v28, v7 src0_sel:BYTE_0 src1_sel:DWORD
	s_and_saveexec_b32 s15, s8
	s_cbranch_execz .LBB259_4127
; %bb.4120:                             ;   in Loop: Header=BB259_2079 Depth=1
	v_bfrev_b32_e32 v18, 1
	v_mov_b32_e32 v19, 0
	v_cmp_ne_u16_sdwa s8, v28, v75 src0_sel:BYTE_0 src1_sel:DWORD
	s_and_saveexec_b32 s17, s8
	s_cbranch_execz .LBB259_4126
; %bb.4121:                             ;   in Loop: Header=BB259_2079 Depth=1
	v_mov_b32_e32 v18, 0x7f800001
	v_and_b32_e32 v10, 0x7f, v28
	v_mov_b32_e32 v19, 0
	s_mov_b32 s21, exec_lo
	v_cmpx_ne_u32_e32 0x7f, v10
	s_cbranch_execz .LBB259_4125
; %bb.4122:                             ;   in Loop: Header=BB259_2079 Depth=1
	v_and_b32_e32 v6, 7, v28
	v_mov_b32_e32 v19, v7
	v_lshrrev_b32_e32 v8, 3, v10
	s_mov_b32 s22, exec_lo
	v_mov_b32_e32 v18, v6
	v_cmpx_gt_u32_e32 8, v10
; %bb.4123:                             ;   in Loop: Header=BB259_2079 Depth=1
	v_ffbh_u32_e32 v8, v6
	v_min_u32_e32 v8, 32, v8
	v_subrev_nc_u32_e32 v10, 28, v8
	v_sub_nc_u32_e32 v8, 29, v8
	v_lshlrev_b64 v[18:19], v10, v[6:7]
	v_and_b32_e32 v18, 7, v18
; %bb.4124:                             ;   in Loop: Header=BB259_2079 Depth=1
	s_or_b32 exec_lo, exec_lo, s22
	v_lshlrev_b32_e32 v6, 24, v28
	v_lshlrev_b32_e32 v10, 20, v18
	v_lshl_add_u32 v8, v8, 23, 0x3c000000
	v_and_b32_e32 v6, 0x80000000, v6
	v_or3_b32 v6, v10, v6, v8
	v_mov_b32_e32 v19, v7
	v_mov_b32_e32 v18, v6
.LBB259_4125:                           ;   in Loop: Header=BB259_2079 Depth=1
	s_or_b32 exec_lo, exec_lo, s21
.LBB259_4126:                           ;   in Loop: Header=BB259_2079 Depth=1
	s_or_b32 exec_lo, exec_lo, s17
.LBB259_4127:                           ;   in Loop: Header=BB259_2079 Depth=1
	s_or_b32 exec_lo, exec_lo, s15
	v_cmp_ne_u16_sdwa s8, v28, v7 src0_sel:BYTE_1 src1_sel:DWORD
	s_and_saveexec_b32 s15, s8
	s_cbranch_execz .LBB259_4135
; %bb.4128:                             ;   in Loop: Header=BB259_2079 Depth=1
	v_mov_b32_e32 v8, v7
	v_mov_b32_e32 v21, v9
	v_cmp_ne_u16_sdwa s8, v28, v75 src0_sel:BYTE_1 src1_sel:DWORD
	v_mov_b32_e32 v20, v8
	s_and_saveexec_b32 s17, s8
	s_cbranch_execz .LBB259_4134
; %bb.4129:                             ;   in Loop: Header=BB259_2079 Depth=1
	v_and_b32_sdwa v6, v76, v28 dst_sel:DWORD dst_unused:UNUSED_PAD src0_sel:DWORD src1_sel:BYTE_1
	v_mov_b32_e32 v10, v7
	v_mov_b32_e32 v21, v11
	s_mov_b32 s21, exec_lo
	v_and_b32_e32 v22, 0x7f, v6
	v_mov_b32_e32 v20, v10
	v_cmpx_ne_u32_e32 0x7f, v22
	s_cbranch_execz .LBB259_4133
; %bb.4130:                             ;   in Loop: Header=BB259_2079 Depth=1
	v_and_b32_e32 v6, 7, v6
	v_mov_b32_e32 v21, v7
	v_lshrrev_b32_e32 v8, 3, v22
	s_mov_b32 s22, exec_lo
	v_mov_b32_e32 v20, v6
	v_cmpx_gt_u32_e32 8, v22
; %bb.4131:                             ;   in Loop: Header=BB259_2079 Depth=1
	v_ffbh_u32_e32 v8, v6
	v_min_u32_e32 v8, 32, v8
	v_subrev_nc_u32_e32 v10, 28, v8
	v_sub_nc_u32_e32 v8, 29, v8
	v_lshlrev_b64 v[20:21], v10, v[6:7]
	v_and_b32_e32 v20, 7, v20
; %bb.4132:                             ;   in Loop: Header=BB259_2079 Depth=1
	s_or_b32 exec_lo, exec_lo, s22
	v_lshlrev_b32_e32 v6, 16, v28
	v_lshlrev_b32_e32 v10, 20, v20
	v_lshl_add_u32 v8, v8, 23, 0x3c000000
	v_mov_b32_e32 v20, v7
	v_and_b32_e32 v6, 0x80000000, v6
	v_or3_b32 v21, v10, v6, v8
.LBB259_4133:                           ;   in Loop: Header=BB259_2079 Depth=1
	s_or_b32 exec_lo, exec_lo, s21
.LBB259_4134:                           ;   in Loop: Header=BB259_2079 Depth=1
	s_or_b32 exec_lo, exec_lo, s17
.LBB259_4135:                           ;   in Loop: Header=BB259_2079 Depth=1
	s_or_b32 exec_lo, exec_lo, s15
	v_mov_b32_e32 v22, 0
	v_mov_b32_e32 v24, 0
	v_and_b32_sdwa v6, v28, v77 dst_sel:DWORD dst_unused:UNUSED_PAD src0_sel:WORD_1 src1_sel:DWORD
	v_mov_b32_e32 v23, 0
	v_mov_b32_e32 v25, 0
	s_mov_b32 s15, exec_lo
	v_cmpx_ne_u16_e32 0, v6
	s_cbranch_execz .LBB259_4143
; %bb.4136:                             ;   in Loop: Header=BB259_2079 Depth=1
	v_bfrev_b32_e32 v24, 1
	v_mov_b32_e32 v25, 0
	s_mov_b32 s17, exec_lo
	v_cmpx_ne_u16_e32 0x80, v6
	s_cbranch_execz .LBB259_4142
; %bb.4137:                             ;   in Loop: Header=BB259_2079 Depth=1
	v_mov_b32_e32 v24, 0x7f800001
	v_bfe_u32 v10, v28, 16, 7
	v_mov_b32_e32 v25, 0
	s_mov_b32 s21, exec_lo
	v_cmpx_ne_u32_e32 0x7f, v10
	s_cbranch_execz .LBB259_4141
; %bb.4138:                             ;   in Loop: Header=BB259_2079 Depth=1
	v_and_b32_sdwa v6, v28, v78 dst_sel:DWORD dst_unused:UNUSED_PAD src0_sel:WORD_1 src1_sel:DWORD
	v_mov_b32_e32 v25, v7
	v_lshrrev_b32_e32 v8, 3, v10
	s_mov_b32 s22, exec_lo
	v_mov_b32_e32 v24, v6
	v_cmpx_gt_u32_e32 8, v10
; %bb.4139:                             ;   in Loop: Header=BB259_2079 Depth=1
	v_ffbh_u32_e32 v8, v6
	v_min_u32_e32 v8, 32, v8
	v_subrev_nc_u32_e32 v10, 28, v8
	v_sub_nc_u32_e32 v8, 29, v8
	v_lshlrev_b64 v[24:25], v10, v[6:7]
	v_and_b32_e32 v24, 7, v24
; %bb.4140:                             ;   in Loop: Header=BB259_2079 Depth=1
	s_or_b32 exec_lo, exec_lo, s22
	v_lshlrev_b32_sdwa v6, v79, v28 dst_sel:DWORD dst_unused:UNUSED_PAD src0_sel:DWORD src1_sel:WORD_1
	v_lshlrev_b32_e32 v10, 20, v24
	v_lshl_add_u32 v8, v8, 23, 0x3c000000
	v_and_b32_e32 v6, 0x80000000, v6
	v_or3_b32 v6, v10, v6, v8
	v_mov_b32_e32 v25, v7
	v_mov_b32_e32 v24, v6
.LBB259_4141:                           ;   in Loop: Header=BB259_2079 Depth=1
	s_or_b32 exec_lo, exec_lo, s21
.LBB259_4142:                           ;   in Loop: Header=BB259_2079 Depth=1
	s_or_b32 exec_lo, exec_lo, s17
.LBB259_4143:                           ;   in Loop: Header=BB259_2079 Depth=1
	s_or_b32 exec_lo, exec_lo, s15
	s_mov_b32 s15, exec_lo
	v_cmpx_lt_u32_e32 0xffffff, v28
	s_cbranch_execz .LBB259_4151
; %bb.4144:                             ;   in Loop: Header=BB259_2079 Depth=1
	v_mov_b32_e32 v8, v7
	v_mov_b32_e32 v23, v9
	v_cmp_ne_u32_sdwa s8, v28, v75 src0_sel:BYTE_3 src1_sel:DWORD
	v_mov_b32_e32 v22, v8
	s_and_saveexec_b32 s17, s8
	s_cbranch_execz .LBB259_4150
; %bb.4145:                             ;   in Loop: Header=BB259_2079 Depth=1
	v_mov_b32_e32 v10, v7
	v_mov_b32_e32 v23, v11
	v_bfe_u32 v29, v28, 24, 7
	s_mov_b32 s21, exec_lo
	v_mov_b32_e32 v22, v10
	v_cmpx_ne_u32_e32 0x7f, v29
	s_cbranch_execz .LBB259_4149
; %bb.4146:                             ;   in Loop: Header=BB259_2079 Depth=1
	v_and_b32_sdwa v6, v28, v78 dst_sel:DWORD dst_unused:UNUSED_PAD src0_sel:BYTE_3 src1_sel:DWORD
	v_mov_b32_e32 v23, v7
	v_lshrrev_b32_e32 v8, 3, v29
	s_mov_b32 s22, exec_lo
	v_mov_b32_e32 v22, v6
	v_cmpx_gt_u32_e32 8, v29
; %bb.4147:                             ;   in Loop: Header=BB259_2079 Depth=1
	v_ffbh_u32_e32 v8, v6
	v_min_u32_e32 v8, 32, v8
	v_subrev_nc_u32_e32 v10, 28, v8
	v_sub_nc_u32_e32 v8, 29, v8
	v_lshlrev_b64 v[22:23], v10, v[6:7]
	v_and_b32_e32 v22, 7, v22
; %bb.4148:                             ;   in Loop: Header=BB259_2079 Depth=1
	s_or_b32 exec_lo, exec_lo, s22
	v_lshlrev_b32_sdwa v6, v79, v28 dst_sel:DWORD dst_unused:UNUSED_PAD src0_sel:DWORD src1_sel:BYTE_3
	v_lshlrev_b32_e32 v10, 20, v22
	v_lshl_add_u32 v8, v8, 23, 0x3c000000
	v_mov_b32_e32 v22, v7
	v_and_b32_e32 v6, 0x80000000, v6
	v_or3_b32 v23, v10, v6, v8
.LBB259_4149:                           ;   in Loop: Header=BB259_2079 Depth=1
	s_or_b32 exec_lo, exec_lo, s21
.LBB259_4150:                           ;   in Loop: Header=BB259_2079 Depth=1
	s_or_b32 exec_lo, exec_lo, s17
.LBB259_4151:                           ;   in Loop: Header=BB259_2079 Depth=1
	s_or_b32 exec_lo, exec_lo, s15
	v_or_b32_e32 v6, v21, v19
	v_or_b32_e32 v8, v20, v18
	;; [unrolled: 1-line block ×4, first 2 shown]
	v_mul_f32_e32 v111, v93, v6
	v_mul_f32_e32 v110, v73, v8
	;; [unrolled: 1-line block ×4, first 2 shown]
	s_and_saveexec_b32 s8, s6
; %bb.4152:                             ;   in Loop: Header=BB259_2079 Depth=1
	v_cndmask_b32_e32 v110, 0, v110, vcc_lo
	v_cndmask_b32_e64 v111, 0, v111, s4
	v_cndmask_b32_e64 v109, 0, v109, s5
	;; [unrolled: 1-line block ×3, first 2 shown]
; %bb.4153:                             ;   in Loop: Header=BB259_2079 Depth=1
	s_or_b32 exec_lo, exec_lo, s8
	flat_load_dword v28, v[16:17] offset:1664
	v_mov_b32_e32 v20, 0
	v_mov_b32_e32 v18, 0
	;; [unrolled: 1-line block ×4, first 2 shown]
	s_waitcnt vmcnt(0) lgkmcnt(0)
	v_cmp_ne_u16_sdwa s8, v28, v7 src0_sel:BYTE_0 src1_sel:DWORD
	s_and_saveexec_b32 s15, s8
	s_cbranch_execz .LBB259_4161
; %bb.4154:                             ;   in Loop: Header=BB259_2079 Depth=1
	v_bfrev_b32_e32 v18, 1
	v_mov_b32_e32 v19, 0
	v_cmp_ne_u16_sdwa s8, v28, v75 src0_sel:BYTE_0 src1_sel:DWORD
	s_and_saveexec_b32 s17, s8
	s_cbranch_execz .LBB259_4160
; %bb.4155:                             ;   in Loop: Header=BB259_2079 Depth=1
	v_mov_b32_e32 v18, 0x7f800001
	v_and_b32_e32 v10, 0x7f, v28
	v_mov_b32_e32 v19, 0
	s_mov_b32 s21, exec_lo
	v_cmpx_ne_u32_e32 0x7f, v10
	s_cbranch_execz .LBB259_4159
; %bb.4156:                             ;   in Loop: Header=BB259_2079 Depth=1
	v_and_b32_e32 v6, 7, v28
	v_mov_b32_e32 v19, v7
	v_lshrrev_b32_e32 v8, 3, v10
	s_mov_b32 s22, exec_lo
	v_mov_b32_e32 v18, v6
	v_cmpx_gt_u32_e32 8, v10
; %bb.4157:                             ;   in Loop: Header=BB259_2079 Depth=1
	v_ffbh_u32_e32 v8, v6
	v_min_u32_e32 v8, 32, v8
	v_subrev_nc_u32_e32 v10, 28, v8
	v_sub_nc_u32_e32 v8, 29, v8
	v_lshlrev_b64 v[18:19], v10, v[6:7]
	v_and_b32_e32 v18, 7, v18
; %bb.4158:                             ;   in Loop: Header=BB259_2079 Depth=1
	s_or_b32 exec_lo, exec_lo, s22
	v_lshlrev_b32_e32 v6, 24, v28
	v_lshlrev_b32_e32 v10, 20, v18
	v_lshl_add_u32 v8, v8, 23, 0x3c000000
	v_and_b32_e32 v6, 0x80000000, v6
	v_or3_b32 v6, v10, v6, v8
	v_mov_b32_e32 v19, v7
	v_mov_b32_e32 v18, v6
.LBB259_4159:                           ;   in Loop: Header=BB259_2079 Depth=1
	s_or_b32 exec_lo, exec_lo, s21
.LBB259_4160:                           ;   in Loop: Header=BB259_2079 Depth=1
	s_or_b32 exec_lo, exec_lo, s17
.LBB259_4161:                           ;   in Loop: Header=BB259_2079 Depth=1
	s_or_b32 exec_lo, exec_lo, s15
	v_cmp_ne_u16_sdwa s8, v28, v7 src0_sel:BYTE_1 src1_sel:DWORD
	s_and_saveexec_b32 s15, s8
	s_cbranch_execz .LBB259_4169
; %bb.4162:                             ;   in Loop: Header=BB259_2079 Depth=1
	v_mov_b32_e32 v8, v7
	v_mov_b32_e32 v21, v9
	v_cmp_ne_u16_sdwa s8, v28, v75 src0_sel:BYTE_1 src1_sel:DWORD
	v_mov_b32_e32 v20, v8
	s_and_saveexec_b32 s17, s8
	s_cbranch_execz .LBB259_4168
; %bb.4163:                             ;   in Loop: Header=BB259_2079 Depth=1
	v_and_b32_sdwa v6, v76, v28 dst_sel:DWORD dst_unused:UNUSED_PAD src0_sel:DWORD src1_sel:BYTE_1
	v_mov_b32_e32 v10, v7
	v_mov_b32_e32 v21, v11
	s_mov_b32 s21, exec_lo
	v_and_b32_e32 v22, 0x7f, v6
	v_mov_b32_e32 v20, v10
	v_cmpx_ne_u32_e32 0x7f, v22
	s_cbranch_execz .LBB259_4167
; %bb.4164:                             ;   in Loop: Header=BB259_2079 Depth=1
	v_and_b32_e32 v6, 7, v6
	v_mov_b32_e32 v21, v7
	v_lshrrev_b32_e32 v8, 3, v22
	s_mov_b32 s22, exec_lo
	v_mov_b32_e32 v20, v6
	v_cmpx_gt_u32_e32 8, v22
; %bb.4165:                             ;   in Loop: Header=BB259_2079 Depth=1
	v_ffbh_u32_e32 v8, v6
	v_min_u32_e32 v8, 32, v8
	v_subrev_nc_u32_e32 v10, 28, v8
	v_sub_nc_u32_e32 v8, 29, v8
	v_lshlrev_b64 v[20:21], v10, v[6:7]
	v_and_b32_e32 v20, 7, v20
; %bb.4166:                             ;   in Loop: Header=BB259_2079 Depth=1
	s_or_b32 exec_lo, exec_lo, s22
	v_lshlrev_b32_e32 v6, 16, v28
	v_lshlrev_b32_e32 v10, 20, v20
	v_lshl_add_u32 v8, v8, 23, 0x3c000000
	v_mov_b32_e32 v20, v7
	v_and_b32_e32 v6, 0x80000000, v6
	v_or3_b32 v21, v10, v6, v8
.LBB259_4167:                           ;   in Loop: Header=BB259_2079 Depth=1
	s_or_b32 exec_lo, exec_lo, s21
.LBB259_4168:                           ;   in Loop: Header=BB259_2079 Depth=1
	s_or_b32 exec_lo, exec_lo, s17
.LBB259_4169:                           ;   in Loop: Header=BB259_2079 Depth=1
	s_or_b32 exec_lo, exec_lo, s15
	v_mov_b32_e32 v22, 0
	v_mov_b32_e32 v24, 0
	v_and_b32_sdwa v6, v28, v77 dst_sel:DWORD dst_unused:UNUSED_PAD src0_sel:WORD_1 src1_sel:DWORD
	v_mov_b32_e32 v23, 0
	v_mov_b32_e32 v25, 0
	s_mov_b32 s15, exec_lo
	v_cmpx_ne_u16_e32 0, v6
	s_cbranch_execz .LBB259_4177
; %bb.4170:                             ;   in Loop: Header=BB259_2079 Depth=1
	v_bfrev_b32_e32 v24, 1
	v_mov_b32_e32 v25, 0
	s_mov_b32 s17, exec_lo
	v_cmpx_ne_u16_e32 0x80, v6
	s_cbranch_execz .LBB259_4176
; %bb.4171:                             ;   in Loop: Header=BB259_2079 Depth=1
	v_mov_b32_e32 v24, 0x7f800001
	v_bfe_u32 v10, v28, 16, 7
	v_mov_b32_e32 v25, 0
	s_mov_b32 s21, exec_lo
	v_cmpx_ne_u32_e32 0x7f, v10
	s_cbranch_execz .LBB259_4175
; %bb.4172:                             ;   in Loop: Header=BB259_2079 Depth=1
	v_and_b32_sdwa v6, v28, v78 dst_sel:DWORD dst_unused:UNUSED_PAD src0_sel:WORD_1 src1_sel:DWORD
	v_mov_b32_e32 v25, v7
	v_lshrrev_b32_e32 v8, 3, v10
	s_mov_b32 s22, exec_lo
	v_mov_b32_e32 v24, v6
	v_cmpx_gt_u32_e32 8, v10
; %bb.4173:                             ;   in Loop: Header=BB259_2079 Depth=1
	v_ffbh_u32_e32 v8, v6
	v_min_u32_e32 v8, 32, v8
	v_subrev_nc_u32_e32 v10, 28, v8
	v_sub_nc_u32_e32 v8, 29, v8
	v_lshlrev_b64 v[24:25], v10, v[6:7]
	v_and_b32_e32 v24, 7, v24
; %bb.4174:                             ;   in Loop: Header=BB259_2079 Depth=1
	s_or_b32 exec_lo, exec_lo, s22
	v_lshlrev_b32_sdwa v6, v79, v28 dst_sel:DWORD dst_unused:UNUSED_PAD src0_sel:DWORD src1_sel:WORD_1
	v_lshlrev_b32_e32 v10, 20, v24
	v_lshl_add_u32 v8, v8, 23, 0x3c000000
	v_and_b32_e32 v6, 0x80000000, v6
	v_or3_b32 v6, v10, v6, v8
	v_mov_b32_e32 v25, v7
	v_mov_b32_e32 v24, v6
.LBB259_4175:                           ;   in Loop: Header=BB259_2079 Depth=1
	s_or_b32 exec_lo, exec_lo, s21
.LBB259_4176:                           ;   in Loop: Header=BB259_2079 Depth=1
	s_or_b32 exec_lo, exec_lo, s17
.LBB259_4177:                           ;   in Loop: Header=BB259_2079 Depth=1
	s_or_b32 exec_lo, exec_lo, s15
	s_mov_b32 s15, exec_lo
	v_cmpx_lt_u32_e32 0xffffff, v28
	s_cbranch_execz .LBB259_4185
; %bb.4178:                             ;   in Loop: Header=BB259_2079 Depth=1
	v_mov_b32_e32 v8, v7
	v_mov_b32_e32 v23, v9
	v_cmp_ne_u32_sdwa s8, v28, v75 src0_sel:BYTE_3 src1_sel:DWORD
	v_mov_b32_e32 v22, v8
	s_and_saveexec_b32 s17, s8
	s_cbranch_execz .LBB259_4184
; %bb.4179:                             ;   in Loop: Header=BB259_2079 Depth=1
	v_mov_b32_e32 v10, v7
	v_mov_b32_e32 v23, v11
	v_bfe_u32 v29, v28, 24, 7
	s_mov_b32 s21, exec_lo
	v_mov_b32_e32 v22, v10
	v_cmpx_ne_u32_e32 0x7f, v29
	s_cbranch_execz .LBB259_4183
; %bb.4180:                             ;   in Loop: Header=BB259_2079 Depth=1
	v_and_b32_sdwa v6, v28, v78 dst_sel:DWORD dst_unused:UNUSED_PAD src0_sel:BYTE_3 src1_sel:DWORD
	v_mov_b32_e32 v23, v7
	v_lshrrev_b32_e32 v8, 3, v29
	s_mov_b32 s22, exec_lo
	v_mov_b32_e32 v22, v6
	v_cmpx_gt_u32_e32 8, v29
; %bb.4181:                             ;   in Loop: Header=BB259_2079 Depth=1
	v_ffbh_u32_e32 v8, v6
	v_min_u32_e32 v8, 32, v8
	v_subrev_nc_u32_e32 v10, 28, v8
	v_sub_nc_u32_e32 v8, 29, v8
	v_lshlrev_b64 v[22:23], v10, v[6:7]
	v_and_b32_e32 v22, 7, v22
; %bb.4182:                             ;   in Loop: Header=BB259_2079 Depth=1
	s_or_b32 exec_lo, exec_lo, s22
	v_lshlrev_b32_sdwa v6, v79, v28 dst_sel:DWORD dst_unused:UNUSED_PAD src0_sel:DWORD src1_sel:BYTE_3
	v_lshlrev_b32_e32 v10, 20, v22
	v_lshl_add_u32 v8, v8, 23, 0x3c000000
	v_mov_b32_e32 v22, v7
	v_and_b32_e32 v6, 0x80000000, v6
	v_or3_b32 v23, v10, v6, v8
.LBB259_4183:                           ;   in Loop: Header=BB259_2079 Depth=1
	s_or_b32 exec_lo, exec_lo, s21
.LBB259_4184:                           ;   in Loop: Header=BB259_2079 Depth=1
	s_or_b32 exec_lo, exec_lo, s17
.LBB259_4185:                           ;   in Loop: Header=BB259_2079 Depth=1
	s_or_b32 exec_lo, exec_lo, s15
	v_or_b32_e32 v6, v21, v19
	v_or_b32_e32 v8, v20, v18
	;; [unrolled: 1-line block ×4, first 2 shown]
	v_mul_f32_e32 v29, v93, v6
	v_mul_f32_e32 v28, v73, v8
	;; [unrolled: 1-line block ×4, first 2 shown]
	s_and_saveexec_b32 s8, s6
; %bb.4186:                             ;   in Loop: Header=BB259_2079 Depth=1
	v_cndmask_b32_e32 v28, 0, v28, vcc_lo
	v_cndmask_b32_e64 v29, 0, v29, s4
	v_cndmask_b32_e64 v25, 0, v25, s5
	;; [unrolled: 1-line block ×3, first 2 shown]
; %bb.4187:                             ;   in Loop: Header=BB259_2079 Depth=1
	s_or_b32 exec_lo, exec_lo, s8
	flat_load_dword v120, v[16:17] offset:1792
	v_mov_b32_e32 v18, 0
	v_mov_b32_e32 v16, 0
	;; [unrolled: 1-line block ×4, first 2 shown]
	s_waitcnt vmcnt(0) lgkmcnt(0)
	v_cmp_ne_u16_sdwa s8, v120, v7 src0_sel:BYTE_0 src1_sel:DWORD
	s_and_saveexec_b32 s15, s8
	s_cbranch_execz .LBB259_4195
; %bb.4188:                             ;   in Loop: Header=BB259_2079 Depth=1
	v_bfrev_b32_e32 v16, 1
	v_mov_b32_e32 v17, 0
	v_cmp_ne_u16_sdwa s8, v120, v75 src0_sel:BYTE_0 src1_sel:DWORD
	s_and_saveexec_b32 s17, s8
	s_cbranch_execz .LBB259_4194
; %bb.4189:                             ;   in Loop: Header=BB259_2079 Depth=1
	v_mov_b32_e32 v16, 0x7f800001
	v_and_b32_e32 v10, 0x7f, v120
	v_mov_b32_e32 v17, 0
	s_mov_b32 s21, exec_lo
	v_cmpx_ne_u32_e32 0x7f, v10
	s_cbranch_execz .LBB259_4193
; %bb.4190:                             ;   in Loop: Header=BB259_2079 Depth=1
	v_and_b32_e32 v6, 7, v120
	v_mov_b32_e32 v17, v7
	v_lshrrev_b32_e32 v8, 3, v10
	s_mov_b32 s22, exec_lo
	v_mov_b32_e32 v16, v6
	v_cmpx_gt_u32_e32 8, v10
; %bb.4191:                             ;   in Loop: Header=BB259_2079 Depth=1
	v_ffbh_u32_e32 v8, v6
	v_min_u32_e32 v8, 32, v8
	v_subrev_nc_u32_e32 v10, 28, v8
	v_sub_nc_u32_e32 v8, 29, v8
	v_lshlrev_b64 v[16:17], v10, v[6:7]
	v_and_b32_e32 v16, 7, v16
; %bb.4192:                             ;   in Loop: Header=BB259_2079 Depth=1
	s_or_b32 exec_lo, exec_lo, s22
	v_lshlrev_b32_e32 v6, 24, v120
	v_lshlrev_b32_e32 v10, 20, v16
	v_lshl_add_u32 v8, v8, 23, 0x3c000000
	v_and_b32_e32 v6, 0x80000000, v6
	v_or3_b32 v6, v10, v6, v8
	v_mov_b32_e32 v17, v7
	v_mov_b32_e32 v16, v6
.LBB259_4193:                           ;   in Loop: Header=BB259_2079 Depth=1
	s_or_b32 exec_lo, exec_lo, s21
.LBB259_4194:                           ;   in Loop: Header=BB259_2079 Depth=1
	s_or_b32 exec_lo, exec_lo, s17
.LBB259_4195:                           ;   in Loop: Header=BB259_2079 Depth=1
	s_or_b32 exec_lo, exec_lo, s15
	v_cmp_ne_u16_sdwa s8, v120, v7 src0_sel:BYTE_1 src1_sel:DWORD
	s_and_saveexec_b32 s15, s8
	s_cbranch_execz .LBB259_4203
; %bb.4196:                             ;   in Loop: Header=BB259_2079 Depth=1
	v_mov_b32_e32 v8, v7
	v_mov_b32_e32 v19, v9
	v_cmp_ne_u16_sdwa s8, v120, v75 src0_sel:BYTE_1 src1_sel:DWORD
	v_mov_b32_e32 v18, v8
	s_and_saveexec_b32 s17, s8
	s_cbranch_execz .LBB259_4202
; %bb.4197:                             ;   in Loop: Header=BB259_2079 Depth=1
	v_and_b32_sdwa v6, v76, v120 dst_sel:DWORD dst_unused:UNUSED_PAD src0_sel:DWORD src1_sel:BYTE_1
	v_mov_b32_e32 v10, v7
	v_mov_b32_e32 v19, v11
	s_mov_b32 s21, exec_lo
	v_and_b32_e32 v20, 0x7f, v6
	v_mov_b32_e32 v18, v10
	v_cmpx_ne_u32_e32 0x7f, v20
	s_cbranch_execz .LBB259_4201
; %bb.4198:                             ;   in Loop: Header=BB259_2079 Depth=1
	v_and_b32_e32 v6, 7, v6
	v_mov_b32_e32 v19, v7
	v_lshrrev_b32_e32 v8, 3, v20
	s_mov_b32 s22, exec_lo
	v_mov_b32_e32 v18, v6
	v_cmpx_gt_u32_e32 8, v20
; %bb.4199:                             ;   in Loop: Header=BB259_2079 Depth=1
	v_ffbh_u32_e32 v8, v6
	v_min_u32_e32 v8, 32, v8
	v_subrev_nc_u32_e32 v10, 28, v8
	v_sub_nc_u32_e32 v8, 29, v8
	v_lshlrev_b64 v[18:19], v10, v[6:7]
	v_and_b32_e32 v18, 7, v18
; %bb.4200:                             ;   in Loop: Header=BB259_2079 Depth=1
	s_or_b32 exec_lo, exec_lo, s22
	v_lshlrev_b32_e32 v6, 16, v120
	v_lshlrev_b32_e32 v10, 20, v18
	v_lshl_add_u32 v8, v8, 23, 0x3c000000
	v_mov_b32_e32 v18, v7
	v_and_b32_e32 v6, 0x80000000, v6
	v_or3_b32 v19, v10, v6, v8
.LBB259_4201:                           ;   in Loop: Header=BB259_2079 Depth=1
	s_or_b32 exec_lo, exec_lo, s21
.LBB259_4202:                           ;   in Loop: Header=BB259_2079 Depth=1
	s_or_b32 exec_lo, exec_lo, s17
.LBB259_4203:                           ;   in Loop: Header=BB259_2079 Depth=1
	s_or_b32 exec_lo, exec_lo, s15
	v_mov_b32_e32 v20, 0
	v_mov_b32_e32 v22, 0
	v_and_b32_sdwa v6, v120, v77 dst_sel:DWORD dst_unused:UNUSED_PAD src0_sel:WORD_1 src1_sel:DWORD
	v_mov_b32_e32 v21, 0
	v_mov_b32_e32 v23, 0
	s_mov_b32 s15, exec_lo
	v_cmpx_ne_u16_e32 0, v6
	s_cbranch_execz .LBB259_4211
; %bb.4204:                             ;   in Loop: Header=BB259_2079 Depth=1
	v_bfrev_b32_e32 v22, 1
	v_mov_b32_e32 v23, 0
	s_mov_b32 s17, exec_lo
	v_cmpx_ne_u16_e32 0x80, v6
	s_cbranch_execz .LBB259_4210
; %bb.4205:                             ;   in Loop: Header=BB259_2079 Depth=1
	v_mov_b32_e32 v22, 0x7f800001
	v_bfe_u32 v10, v120, 16, 7
	v_mov_b32_e32 v23, 0
	s_mov_b32 s21, exec_lo
	v_cmpx_ne_u32_e32 0x7f, v10
	s_cbranch_execz .LBB259_4209
; %bb.4206:                             ;   in Loop: Header=BB259_2079 Depth=1
	v_and_b32_sdwa v6, v120, v78 dst_sel:DWORD dst_unused:UNUSED_PAD src0_sel:WORD_1 src1_sel:DWORD
	v_mov_b32_e32 v23, v7
	v_lshrrev_b32_e32 v8, 3, v10
	s_mov_b32 s22, exec_lo
	v_mov_b32_e32 v22, v6
	v_cmpx_gt_u32_e32 8, v10
; %bb.4207:                             ;   in Loop: Header=BB259_2079 Depth=1
	v_ffbh_u32_e32 v8, v6
	v_min_u32_e32 v8, 32, v8
	v_subrev_nc_u32_e32 v10, 28, v8
	v_sub_nc_u32_e32 v8, 29, v8
	v_lshlrev_b64 v[22:23], v10, v[6:7]
	v_and_b32_e32 v22, 7, v22
; %bb.4208:                             ;   in Loop: Header=BB259_2079 Depth=1
	s_or_b32 exec_lo, exec_lo, s22
	v_lshlrev_b32_sdwa v6, v79, v120 dst_sel:DWORD dst_unused:UNUSED_PAD src0_sel:DWORD src1_sel:WORD_1
	v_lshlrev_b32_e32 v10, 20, v22
	v_lshl_add_u32 v8, v8, 23, 0x3c000000
	v_and_b32_e32 v6, 0x80000000, v6
	v_or3_b32 v6, v10, v6, v8
	v_mov_b32_e32 v23, v7
	v_mov_b32_e32 v22, v6
.LBB259_4209:                           ;   in Loop: Header=BB259_2079 Depth=1
	s_or_b32 exec_lo, exec_lo, s21
.LBB259_4210:                           ;   in Loop: Header=BB259_2079 Depth=1
	s_or_b32 exec_lo, exec_lo, s17
.LBB259_4211:                           ;   in Loop: Header=BB259_2079 Depth=1
	s_or_b32 exec_lo, exec_lo, s15
	s_mov_b32 s15, exec_lo
	v_cmpx_lt_u32_e32 0xffffff, v120
	s_cbranch_execz .LBB259_4219
; %bb.4212:                             ;   in Loop: Header=BB259_2079 Depth=1
	v_mov_b32_e32 v8, v7
	v_mov_b32_e32 v21, v9
	v_cmp_ne_u32_sdwa s8, v120, v75 src0_sel:BYTE_3 src1_sel:DWORD
	v_mov_b32_e32 v20, v8
	s_and_saveexec_b32 s17, s8
	s_cbranch_execz .LBB259_4218
; %bb.4213:                             ;   in Loop: Header=BB259_2079 Depth=1
	v_mov_b32_e32 v10, v7
	v_mov_b32_e32 v21, v11
	v_bfe_u32 v32, v120, 24, 7
	s_mov_b32 s21, exec_lo
	v_mov_b32_e32 v20, v10
	v_cmpx_ne_u32_e32 0x7f, v32
	s_cbranch_execz .LBB259_4217
; %bb.4214:                             ;   in Loop: Header=BB259_2079 Depth=1
	v_and_b32_sdwa v6, v120, v78 dst_sel:DWORD dst_unused:UNUSED_PAD src0_sel:BYTE_3 src1_sel:DWORD
	v_mov_b32_e32 v21, v7
	v_lshrrev_b32_e32 v8, 3, v32
	s_mov_b32 s22, exec_lo
	v_mov_b32_e32 v20, v6
	v_cmpx_gt_u32_e32 8, v32
; %bb.4215:                             ;   in Loop: Header=BB259_2079 Depth=1
	v_ffbh_u32_e32 v8, v6
	v_min_u32_e32 v8, 32, v8
	v_subrev_nc_u32_e32 v10, 28, v8
	v_sub_nc_u32_e32 v8, 29, v8
	v_lshlrev_b64 v[20:21], v10, v[6:7]
	v_and_b32_e32 v20, 7, v20
; %bb.4216:                             ;   in Loop: Header=BB259_2079 Depth=1
	s_or_b32 exec_lo, exec_lo, s22
	v_lshlrev_b32_sdwa v6, v79, v120 dst_sel:DWORD dst_unused:UNUSED_PAD src0_sel:DWORD src1_sel:BYTE_3
	v_lshlrev_b32_e32 v10, 20, v20
	v_lshl_add_u32 v8, v8, 23, 0x3c000000
	v_mov_b32_e32 v20, v7
	v_and_b32_e32 v6, 0x80000000, v6
	v_or3_b32 v21, v10, v6, v8
.LBB259_4217:                           ;   in Loop: Header=BB259_2079 Depth=1
	s_or_b32 exec_lo, exec_lo, s21
.LBB259_4218:                           ;   in Loop: Header=BB259_2079 Depth=1
	s_or_b32 exec_lo, exec_lo, s17
.LBB259_4219:                           ;   in Loop: Header=BB259_2079 Depth=1
	s_or_b32 exec_lo, exec_lo, s15
	v_or_b32_e32 v6, v19, v17
	v_or_b32_e32 v8, v18, v16
	;; [unrolled: 1-line block ×4, first 2 shown]
	v_mul_f32_e32 v121, v93, v6
	v_mul_f32_e32 v120, v73, v8
	;; [unrolled: 1-line block ×4, first 2 shown]
	s_and_saveexec_b32 s8, s6
; %bb.4220:                             ;   in Loop: Header=BB259_2079 Depth=1
	v_cndmask_b32_e32 v120, 0, v120, vcc_lo
	v_cndmask_b32_e64 v121, 0, v121, s4
	v_cndmask_b32_e64 v23, 0, v23, s5
	;; [unrolled: 1-line block ×3, first 2 shown]
; %bb.4221:                             ;   in Loop: Header=BB259_2079 Depth=1
	s_or_b32 exec_lo, exec_lo, s8
	buffer_load_dword v6, off, s[0:3], s32 offset:1916 ; 4-byte Folded Reload
	v_mov_b32_e32 v16, 0
	v_mov_b32_e32 v17, 0
	s_waitcnt vmcnt(0)
	v_add_co_u32 v14, s8, v14, v6
	v_add_co_ci_u32_e64 v15, null, 0, v15, s8
	flat_load_dword v32, v[14:15]
	v_mov_b32_e32 v14, 0
	v_mov_b32_e32 v15, 0
	s_waitcnt vmcnt(0) lgkmcnt(0)
	v_cmp_ne_u16_sdwa s8, v32, v7 src0_sel:BYTE_0 src1_sel:DWORD
	s_and_saveexec_b32 s15, s8
	s_cbranch_execz .LBB259_4229
; %bb.4222:                             ;   in Loop: Header=BB259_2079 Depth=1
	v_bfrev_b32_e32 v14, 1
	v_mov_b32_e32 v15, 0
	v_cmp_ne_u16_sdwa s8, v32, v75 src0_sel:BYTE_0 src1_sel:DWORD
	s_and_saveexec_b32 s17, s8
	s_cbranch_execz .LBB259_4228
; %bb.4223:                             ;   in Loop: Header=BB259_2079 Depth=1
	v_mov_b32_e32 v14, 0x7f800001
	v_and_b32_e32 v10, 0x7f, v32
	v_mov_b32_e32 v15, 0
	s_mov_b32 s21, exec_lo
	v_cmpx_ne_u32_e32 0x7f, v10
	s_cbranch_execz .LBB259_4227
; %bb.4224:                             ;   in Loop: Header=BB259_2079 Depth=1
	v_and_b32_e32 v6, 7, v32
	v_mov_b32_e32 v15, v7
	v_lshrrev_b32_e32 v8, 3, v10
	s_mov_b32 s22, exec_lo
	v_mov_b32_e32 v14, v6
	v_cmpx_gt_u32_e32 8, v10
; %bb.4225:                             ;   in Loop: Header=BB259_2079 Depth=1
	v_ffbh_u32_e32 v8, v6
	v_min_u32_e32 v8, 32, v8
	v_subrev_nc_u32_e32 v10, 28, v8
	v_sub_nc_u32_e32 v8, 29, v8
	v_lshlrev_b64 v[14:15], v10, v[6:7]
	v_and_b32_e32 v14, 7, v14
; %bb.4226:                             ;   in Loop: Header=BB259_2079 Depth=1
	s_or_b32 exec_lo, exec_lo, s22
	v_lshlrev_b32_e32 v6, 24, v32
	v_lshlrev_b32_e32 v10, 20, v14
	v_lshl_add_u32 v8, v8, 23, 0x3c000000
	v_and_b32_e32 v6, 0x80000000, v6
	v_or3_b32 v6, v10, v6, v8
	v_mov_b32_e32 v15, v7
	v_mov_b32_e32 v14, v6
.LBB259_4227:                           ;   in Loop: Header=BB259_2079 Depth=1
	s_or_b32 exec_lo, exec_lo, s21
.LBB259_4228:                           ;   in Loop: Header=BB259_2079 Depth=1
	s_or_b32 exec_lo, exec_lo, s17
.LBB259_4229:                           ;   in Loop: Header=BB259_2079 Depth=1
	s_or_b32 exec_lo, exec_lo, s15
	v_cmp_ne_u16_sdwa s8, v32, v7 src0_sel:BYTE_1 src1_sel:DWORD
	s_and_saveexec_b32 s15, s8
	s_cbranch_execz .LBB259_4237
; %bb.4230:                             ;   in Loop: Header=BB259_2079 Depth=1
	v_mov_b32_e32 v8, v7
	v_mov_b32_e32 v17, v9
	v_cmp_ne_u16_sdwa s8, v32, v75 src0_sel:BYTE_1 src1_sel:DWORD
	v_mov_b32_e32 v16, v8
	s_and_saveexec_b32 s17, s8
	s_cbranch_execz .LBB259_4236
; %bb.4231:                             ;   in Loop: Header=BB259_2079 Depth=1
	v_and_b32_sdwa v6, v76, v32 dst_sel:DWORD dst_unused:UNUSED_PAD src0_sel:DWORD src1_sel:BYTE_1
	v_mov_b32_e32 v10, v7
	v_mov_b32_e32 v17, v11
	s_mov_b32 s21, exec_lo
	v_and_b32_e32 v18, 0x7f, v6
	v_mov_b32_e32 v16, v10
	v_cmpx_ne_u32_e32 0x7f, v18
	s_cbranch_execz .LBB259_4235
; %bb.4232:                             ;   in Loop: Header=BB259_2079 Depth=1
	v_and_b32_e32 v6, 7, v6
	v_mov_b32_e32 v17, v7
	v_lshrrev_b32_e32 v8, 3, v18
	s_mov_b32 s22, exec_lo
	v_mov_b32_e32 v16, v6
	v_cmpx_gt_u32_e32 8, v18
; %bb.4233:                             ;   in Loop: Header=BB259_2079 Depth=1
	v_ffbh_u32_e32 v8, v6
	v_min_u32_e32 v8, 32, v8
	v_subrev_nc_u32_e32 v10, 28, v8
	v_sub_nc_u32_e32 v8, 29, v8
	v_lshlrev_b64 v[16:17], v10, v[6:7]
	v_and_b32_e32 v16, 7, v16
; %bb.4234:                             ;   in Loop: Header=BB259_2079 Depth=1
	s_or_b32 exec_lo, exec_lo, s22
	v_lshlrev_b32_e32 v6, 16, v32
	v_lshlrev_b32_e32 v10, 20, v16
	v_lshl_add_u32 v8, v8, 23, 0x3c000000
	v_mov_b32_e32 v16, v7
	v_and_b32_e32 v6, 0x80000000, v6
	v_or3_b32 v17, v10, v6, v8
.LBB259_4235:                           ;   in Loop: Header=BB259_2079 Depth=1
	s_or_b32 exec_lo, exec_lo, s21
.LBB259_4236:                           ;   in Loop: Header=BB259_2079 Depth=1
	s_or_b32 exec_lo, exec_lo, s17
.LBB259_4237:                           ;   in Loop: Header=BB259_2079 Depth=1
	s_or_b32 exec_lo, exec_lo, s15
	v_mov_b32_e32 v18, 0
	v_mov_b32_e32 v20, 0
	v_and_b32_sdwa v6, v32, v77 dst_sel:DWORD dst_unused:UNUSED_PAD src0_sel:WORD_1 src1_sel:DWORD
	v_mov_b32_e32 v19, 0
	v_mov_b32_e32 v21, 0
	s_mov_b32 s15, exec_lo
	v_cmpx_ne_u16_e32 0, v6
	s_cbranch_execz .LBB259_4245
; %bb.4238:                             ;   in Loop: Header=BB259_2079 Depth=1
	v_bfrev_b32_e32 v20, 1
	v_mov_b32_e32 v21, 0
	s_mov_b32 s17, exec_lo
	v_cmpx_ne_u16_e32 0x80, v6
	s_cbranch_execz .LBB259_4244
; %bb.4239:                             ;   in Loop: Header=BB259_2079 Depth=1
	v_mov_b32_e32 v20, 0x7f800001
	v_bfe_u32 v10, v32, 16, 7
	v_mov_b32_e32 v21, 0
	s_mov_b32 s21, exec_lo
	v_cmpx_ne_u32_e32 0x7f, v10
	s_cbranch_execz .LBB259_4243
; %bb.4240:                             ;   in Loop: Header=BB259_2079 Depth=1
	v_and_b32_sdwa v6, v32, v78 dst_sel:DWORD dst_unused:UNUSED_PAD src0_sel:WORD_1 src1_sel:DWORD
	v_mov_b32_e32 v21, v7
	v_lshrrev_b32_e32 v8, 3, v10
	s_mov_b32 s22, exec_lo
	v_mov_b32_e32 v20, v6
	v_cmpx_gt_u32_e32 8, v10
; %bb.4241:                             ;   in Loop: Header=BB259_2079 Depth=1
	v_ffbh_u32_e32 v8, v6
	v_min_u32_e32 v8, 32, v8
	v_subrev_nc_u32_e32 v10, 28, v8
	v_sub_nc_u32_e32 v8, 29, v8
	v_lshlrev_b64 v[20:21], v10, v[6:7]
	v_and_b32_e32 v20, 7, v20
; %bb.4242:                             ;   in Loop: Header=BB259_2079 Depth=1
	s_or_b32 exec_lo, exec_lo, s22
	v_lshlrev_b32_sdwa v6, v79, v32 dst_sel:DWORD dst_unused:UNUSED_PAD src0_sel:DWORD src1_sel:WORD_1
	v_lshlrev_b32_e32 v10, 20, v20
	v_lshl_add_u32 v8, v8, 23, 0x3c000000
	v_and_b32_e32 v6, 0x80000000, v6
	v_or3_b32 v6, v10, v6, v8
	v_mov_b32_e32 v21, v7
	v_mov_b32_e32 v20, v6
.LBB259_4243:                           ;   in Loop: Header=BB259_2079 Depth=1
	s_or_b32 exec_lo, exec_lo, s21
.LBB259_4244:                           ;   in Loop: Header=BB259_2079 Depth=1
	s_or_b32 exec_lo, exec_lo, s17
.LBB259_4245:                           ;   in Loop: Header=BB259_2079 Depth=1
	s_or_b32 exec_lo, exec_lo, s15
	s_mov_b32 s15, exec_lo
	v_cmpx_lt_u32_e32 0xffffff, v32
	s_cbranch_execz .LBB259_4253
; %bb.4246:                             ;   in Loop: Header=BB259_2079 Depth=1
	v_mov_b32_e32 v8, v7
	v_mov_b32_e32 v19, v9
	v_cmp_ne_u32_sdwa s8, v32, v75 src0_sel:BYTE_3 src1_sel:DWORD
	v_mov_b32_e32 v18, v8
	s_and_saveexec_b32 s17, s8
	s_cbranch_execz .LBB259_4252
; %bb.4247:                             ;   in Loop: Header=BB259_2079 Depth=1
	v_mov_b32_e32 v10, v7
	v_mov_b32_e32 v19, v11
	;; [unrolled: 1-line block ×3, first 2 shown]
	v_bfe_u32 v122, v32, 24, 7
	s_mov_b32 s21, exec_lo
	v_mov_b32_e32 v18, v10
	v_cmpx_ne_u32_e32 0x7f, v122
	s_cbranch_execz .LBB259_4251
; %bb.4248:                             ;   in Loop: Header=BB259_2079 Depth=1
	v_and_b32_sdwa v6, v32, v78 dst_sel:DWORD dst_unused:UNUSED_PAD src0_sel:BYTE_3 src1_sel:DWORD
	v_mov_b32_e32 v19, v7
	v_lshrrev_b32_e32 v8, 3, v122
	s_mov_b32 s22, exec_lo
	v_mov_b32_e32 v18, v6
	v_cmpx_gt_u32_e32 8, v122
; %bb.4249:                             ;   in Loop: Header=BB259_2079 Depth=1
	v_ffbh_u32_e32 v8, v6
	v_min_u32_e32 v8, 32, v8
	v_subrev_nc_u32_e32 v10, 28, v8
	v_sub_nc_u32_e32 v8, 29, v8
	v_lshlrev_b64 v[18:19], v10, v[6:7]
	v_and_b32_e32 v18, 7, v18
; %bb.4250:                             ;   in Loop: Header=BB259_2079 Depth=1
	s_or_b32 exec_lo, exec_lo, s22
	v_lshlrev_b32_sdwa v6, v79, v32 dst_sel:DWORD dst_unused:UNUSED_PAD src0_sel:DWORD src1_sel:BYTE_3
	v_lshlrev_b32_e32 v10, 20, v18
	v_lshl_add_u32 v8, v8, 23, 0x3c000000
	v_mov_b32_e32 v18, v7
	v_and_b32_e32 v6, 0x80000000, v6
	v_or3_b32 v19, v10, v6, v8
.LBB259_4251:                           ;   in Loop: Header=BB259_2079 Depth=1
	s_or_b32 exec_lo, exec_lo, s21
	v_mov_b32_e32 v122, v33
.LBB259_4252:                           ;   in Loop: Header=BB259_2079 Depth=1
	s_or_b32 exec_lo, exec_lo, s17
.LBB259_4253:                           ;   in Loop: Header=BB259_2079 Depth=1
	s_or_b32 exec_lo, exec_lo, s15
	v_or_b32_e32 v6, v17, v15
	v_or_b32_e32 v8, v16, v14
	;; [unrolled: 1-line block ×4, first 2 shown]
	v_mul_f32_e32 v14, v93, v6
	v_mul_f32_e32 v10, v73, v8
	;; [unrolled: 1-line block ×4, first 2 shown]
	s_and_saveexec_b32 s8, s6
	s_cbranch_execz .LBB259_2078
; %bb.4254:                             ;   in Loop: Header=BB259_2079 Depth=1
	v_cndmask_b32_e32 v10, 0, v10, vcc_lo
	v_cndmask_b32_e64 v14, 0, v14, s4
	v_cndmask_b32_e64 v8, 0, v8, s5
	;; [unrolled: 1-line block ×3, first 2 shown]
	s_branch .LBB259_2078
.LBB259_4255:
	s_or_b32 exec_lo, exec_lo, s13
	s_clause 0x3e
	buffer_load_dword v58, off, s[0:3], s32 offset:1920
	buffer_load_dword v42, off, s[0:3], s32 offset:1924
	;; [unrolled: 1-line block ×63, first 2 shown]
	s_clause 0x1
	buffer_load_dword v17, off, s[0:3], s32 offset:1876
	buffer_load_dword v28, off, s[0:3], s32 offset:1880
	v_mov_b32_e32 v0, s18
	v_mov_b32_e32 v1, s19
.LBB259_4256:
	s_or_b32 exec_lo, exec_lo, s12
	s_waitcnt vmcnt(62)
	ds_bpermute_b32 v2, v112, v4
	s_waitcnt vmcnt(0)
	ds_bpermute_b32 v3, v112, v28
	v_mov_b32_e32 v15, v4
	ds_bpermute_b32 v4, v112, v17
	ds_bpermute_b32 v6, v112, v18
	;; [unrolled: 1-line block ×11, first 2 shown]
	v_mov_b32_e32 v56, v16
	ds_bpermute_b32 v30, v112, v32
	s_getpc_b64 s[4:5]
	s_add_u32 s4, s4, llvm.amdgcn.dynlds.offset.table@rel32@lo+4
	s_addc_u32 s5, s5, llvm.amdgcn.dynlds.offset.table@rel32@hi+12
	s_waitcnt lgkmcnt(0)
	s_waitcnt_vscnt null, 0x0
	s_barrier
	buffer_gl0_inv
	v_add_f32_e32 v15, v15, v2
	v_add_f32_e32 v16, v28, v3
	;; [unrolled: 1-line block ×5, first 2 shown]
	ds_bpermute_b32 v26, v42, v15
	ds_bpermute_b32 v27, v42, v16
	;; [unrolled: 1-line block ×5, first 2 shown]
	v_add_f32_e32 v3, v24, v9
	v_add_f32_e32 v2, v33, v8
	;; [unrolled: 1-line block ×5, first 2 shown]
	ds_bpermute_b32 v20, v42, v3
	v_add_f32_e32 v8, v19, v14
	ds_bpermute_b32 v19, v42, v2
	ds_bpermute_b32 v22, v42, v11
	v_add_f32_e32 v4, v23, v10
	ds_bpermute_b32 v23, v42, v12
	ds_bpermute_b32 v24, v42, v13
	;; [unrolled: 1-line block ×3, first 2 shown]
	v_add_f32_e32 v9, v32, v30
	ds_bpermute_b32 v21, v42, v4
	s_waitcnt lgkmcnt(11)
	v_add_f32_e32 v14, v15, v26
	s_waitcnt lgkmcnt(10)
	v_add_f32_e32 v15, v16, v27
	;; [unrolled: 2-line block ×5, first 2 shown]
	ds_bpermute_b32 v25, v58, v14
	ds_bpermute_b32 v26, v58, v15
	;; [unrolled: 1-line block ×5, first 2 shown]
	s_waitcnt lgkmcnt(11)
	v_add_f32_e32 v20, v3, v20
	v_lshlrev_b64 v[30:31], 2, v[0:1]
	ds_bpermute_b32 v7, v112, v46
	ds_bpermute_b32 v27, v58, v16
	;; [unrolled: 1-line block ×4, first 2 shown]
	s_waitcnt lgkmcnt(14)
	v_add_f32_e32 v19, v2, v19
	ds_bpermute_b32 v34, v58, v20
	s_waitcnt lgkmcnt(14)
	v_add_f32_e32 v22, v11, v22
	v_add_co_u32 v11, vcc_lo, s4, v30
	s_waitcnt lgkmcnt(13)
	v_add_f32_e32 v23, v12, v23
	s_waitcnt lgkmcnt(12)
	v_add_f32_e32 v13, v13, v24
	ds_bpermute_b32 v24, v58, v19
	v_add_co_ci_u32_e64 v12, null, s5, v31, vcc_lo
	s_waitcnt lgkmcnt(11)
	v_add_f32_e32 v21, v4, v21
	s_waitcnt lgkmcnt(10)
	v_add_f32_e32 v4, v14, v25
	ds_bpermute_b32 v14, v112, v44
	global_load_dword v96, v[11:12], off
	ds_bpermute_b32 v11, v112, v97
	ds_bpermute_b32 v35, v58, v21
	s_waitcnt lgkmcnt(12)
	v_add_f32_e32 v3, v15, v26
	s_waitcnt lgkmcnt(10)
	v_add_f32_e32 v1, v17, v28
	;; [unrolled: 2-line block ×3, first 2 shown]
	ds_bpermute_b32 v8, v58, v22
	ds_bpermute_b32 v15, v58, v23
	v_add_f32_e32 v17, v56, v5
	v_add_f32_e32 v25, v47, v6
	v_add_f32_e32 v31, v45, v10
	s_waitcnt lgkmcnt(9)
	v_add_f32_e32 v2, v16, v27
	s_waitcnt lgkmcnt(8)
	v_add_f32_e32 v0, v18, v29
	ds_bpermute_b32 v16, v58, v13
	ds_bpermute_b32 v26, v112, v38
	v_add_f32_e32 v27, v46, v7
	ds_bpermute_b32 v28, v42, v17
	s_waitcnt lgkmcnt(10)
	v_add_f32_e32 v29, v9, v33
	ds_bpermute_b32 v30, v42, v25
	s_waitcnt lgkmcnt(10)
	v_add_f32_e32 v6, v20, v34
	ds_bpermute_b32 v20, v42, v31
	ds_bpermute_b32 v18, v58, v12
	;; [unrolled: 1-line block ×3, first 2 shown]
	s_waitcnt lgkmcnt(12)
	v_add_f32_e32 v5, v19, v24
	ds_bpermute_b32 v19, v58, v29
	s_waitcnt lgkmcnt(12)
	v_add_f32_e32 v14, v44, v14
	s_waitcnt lgkmcnt(11)
	v_add_f32_e32 v24, v97, v11
	;; [unrolled: 2-line block ×5, first 2 shown]
	ds_bpermute_b32 v15, v42, v14
	ds_bpermute_b32 v21, v42, v24
	;; [unrolled: 1-line block ×4, first 2 shown]
	s_waitcnt lgkmcnt(10)
	v_add_f32_e32 v26, v38, v26
	v_add_f32_e32 v10, v13, v16
	s_waitcnt lgkmcnt(9)
	v_add_f32_e32 v13, v17, v28
	ds_bpermute_b32 v28, v112, v87
	s_waitcnt lgkmcnt(9)
	v_add_f32_e32 v16, v25, v30
	ds_bpermute_b32 v30, v112, v53
	s_waitcnt lgkmcnt(9)
	v_add_f32_e32 v20, v31, v20
	s_waitcnt lgkmcnt(8)
	v_add_f32_e32 v11, v12, v18
	ds_bpermute_b32 v17, v42, v26
	s_waitcnt lgkmcnt(8)
	v_add_f32_e32 v18, v27, v32
	ds_bpermute_b32 v25, v58, v13
	;; [unrolled: 3-line block ×3, first 2 shown]
	ds_bpermute_b32 v29, v112, v69
	ds_bpermute_b32 v31, v58, v20
	;; [unrolled: 1-line block ×3, first 2 shown]
	s_waitcnt lgkmcnt(11)
	v_add_f32_e32 v32, v14, v15
	s_waitcnt lgkmcnt(10)
	v_add_f32_e32 v21, v24, v21
	;; [unrolled: 2-line block ×4, first 2 shown]
	ds_bpermute_b32 v24, v112, v50
	ds_bpermute_b32 v33, v58, v32
	;; [unrolled: 1-line block ×6, first 2 shown]
	s_waitcnt lgkmcnt(13)
	v_add_f32_e32 v28, v87, v28
	s_waitcnt lgkmcnt(12)
	v_add_f32_e32 v30, v53, v30
	;; [unrolled: 2-line block ×3, first 2 shown]
	s_mov_b32 s5, exec_lo
	s_waitcnt lgkmcnt(10)
	v_add_f32_e32 v13, v13, v25
	ds_bpermute_b32 v25, v112, v48
	s_waitcnt lgkmcnt(10)
	v_add_f32_e32 v14, v16, v19
	ds_bpermute_b32 v19, v112, v39
	s_waitcnt lgkmcnt(10)
	v_add_f32_e32 v29, v69, v29
	s_waitcnt lgkmcnt(9)
	v_add_f32_e32 v15, v20, v31
	ds_bpermute_b32 v20, v42, v28
	ds_bpermute_b32 v31, v42, v30
	;; [unrolled: 1-line block ×3, first 2 shown]
	s_waitcnt lgkmcnt(11)
	v_add_f32_e32 v16, v18, v27
	ds_bpermute_b32 v27, v42, v29
	s_waitcnt lgkmcnt(11)
	v_add_f32_e32 v24, v50, v24
	s_waitcnt lgkmcnt(10)
	v_add_f32_e32 v18, v32, v33
	;; [unrolled: 2-line block ×5, first 2 shown]
	ds_bpermute_b32 v23, v42, v24
	s_waitcnt lgkmcnt(7)
	v_add_f32_e32 v32, v49, v37
	ds_bpermute_b32 v33, v112, v51
	ds_bpermute_b32 v34, v112, v52
	;; [unrolled: 1-line block ×3, first 2 shown]
	s_waitcnt lgkmcnt(9)
	v_add_f32_e32 v25, v48, v25
	ds_bpermute_b32 v36, v42, v32
	s_waitcnt lgkmcnt(9)
	v_add_f32_e32 v35, v39, v19
	ds_bpermute_b32 v48, v112, v55
	ds_bpermute_b32 v39, v58, v22
	s_waitcnt lgkmcnt(10)
	v_add_f32_e32 v28, v28, v20
	s_waitcnt lgkmcnt(9)
	v_add_f32_e32 v30, v30, v31
	ds_bpermute_b32 v31, v112, v68
	s_waitcnt lgkmcnt(9)
	v_add_f32_e32 v19, v26, v38
	ds_bpermute_b32 v26, v42, v25
	ds_bpermute_b32 v38, v42, v35
	s_waitcnt lgkmcnt(10)
	v_add_f32_e32 v27, v29, v27
	ds_bpermute_b32 v29, v112, v54
	ds_bpermute_b32 v49, v58, v28
	v_cmp_eq_u32_e32 vcc_lo, 0, v59
	s_waitcnt lgkmcnt(11)
	v_add_f32_e32 v23, v24, v23
	ds_bpermute_b32 v24, v58, v30
	s_waitcnt lgkmcnt(11)
	v_add_f32_e32 v33, v51, v33
	ds_bpermute_b32 v51, v112, v64
	;; [unrolled: 3-line block ×5, first 2 shown]
	ds_bpermute_b32 v53, v42, v34
	v_add_f32_e32 v20, v21, v37
	s_waitcnt lgkmcnt(10)
	v_add_f32_e32 v31, v68, v31
	ds_bpermute_b32 v37, v58, v32
	s_waitcnt lgkmcnt(10)
	v_add_f32_e32 v26, v25, v26
	s_waitcnt lgkmcnt(9)
	v_add_f32_e32 v35, v35, v38
	v_add_f32_e32 v21, v22, v39
	s_waitcnt lgkmcnt(8)
	v_add_f32_e32 v29, v54, v29
	s_waitcnt lgkmcnt(7)
	v_add_f32_e32 v22, v28, v49
	ds_bpermute_b32 v49, v42, v31
	ds_bpermute_b32 v55, v42, v48
	;; [unrolled: 1-line block ×5, first 2 shown]
	s_waitcnt lgkmcnt(10)
	v_add_f32_e32 v51, v64, v51
	v_add_f32_e32 v24, v30, v24
	s_waitcnt lgkmcnt(9)
	v_add_f32_e32 v23, v23, v52
	s_waitcnt lgkmcnt(8)
	v_add_f32_e32 v30, v33, v36
	ds_bpermute_b32 v36, v112, v67
	ds_bpermute_b32 v52, v112, v65
	s_waitcnt lgkmcnt(9)
	v_add_f32_e32 v25, v27, v50
	ds_bpermute_b32 v33, v42, v51
	s_waitcnt lgkmcnt(9)
	v_add_f32_e32 v34, v34, v53
	;; [unrolled: 3-line block ×3, first 2 shown]
	ds_bpermute_b32 v37, v112, v83
	ds_bpermute_b32 v32, v58, v30
	;; [unrolled: 1-line block ×3, first 2 shown]
	s_waitcnt lgkmcnt(11)
	v_add_f32_e32 v49, v31, v49
	s_waitcnt lgkmcnt(10)
	v_add_f32_e32 v48, v48, v55
	ds_bpermute_b32 v55, v112, v80
	s_waitcnt lgkmcnt(10)
	v_add_f32_e32 v27, v26, v38
	s_waitcnt lgkmcnt(9)
	v_add_f32_e32 v26, v35, v54
	ds_bpermute_b32 v35, v58, v34
	s_waitcnt lgkmcnt(9)
	v_add_f32_e32 v38, v29, v39
	ds_bpermute_b32 v39, v112, v82
	ds_bpermute_b32 v31, v112, v70
	;; [unrolled: 1-line block ×3, first 2 shown]
	s_waitcnt lgkmcnt(11)
	v_add_f32_e32 v36, v67, v36
	ds_bpermute_b32 v54, v58, v38
	s_waitcnt lgkmcnt(11)
	v_add_f32_e32 v52, v65, v52
	s_waitcnt lgkmcnt(10)
	v_add_f32_e32 v33, v51, v33
	ds_bpermute_b32 v51, v58, v48
	s_waitcnt lgkmcnt(10)
	v_add_f32_e32 v50, v66, v50
	ds_bpermute_b32 v67, v42, v36
	ds_bpermute_b32 v69, v42, v52
	s_waitcnt lgkmcnt(11)
	v_add_f32_e32 v37, v83, v37
	ds_bpermute_b32 v66, v112, v81
	ds_bpermute_b32 v68, v42, v50
	s_waitcnt lgkmcnt(12)
	v_add_f32_e32 v29, v30, v32
	s_waitcnt lgkmcnt(10)
	v_add_f32_e32 v55, v80, v55
	v_add_f32_e32 v53, v71, v53
	ds_bpermute_b32 v65, v58, v33
	s_waitcnt lgkmcnt(10)
	v_add_f32_e32 v30, v34, v35
	s_waitcnt lgkmcnt(9)
	v_add_f32_e32 v39, v82, v39
	;; [unrolled: 2-line block ×3, first 2 shown]
	ds_bpermute_b32 v70, v42, v37
	s_waitcnt lgkmcnt(8)
	v_add_f32_e32 v32, v49, v64
	ds_bpermute_b32 v49, v42, v55
	ds_bpermute_b32 v71, v42, v39
	s_waitcnt lgkmcnt(9)
	v_add_f32_e32 v31, v38, v54
	ds_bpermute_b32 v38, v42, v53
	s_waitcnt lgkmcnt(9)
	v_add_f32_e32 v34, v48, v51
	s_waitcnt lgkmcnt(8)
	v_add_f32_e32 v36, v36, v67
	;; [unrolled: 2-line block ×3, first 2 shown]
	ds_bpermute_b32 v80, v42, v35
	s_waitcnt lgkmcnt(7)
	v_add_f32_e32 v48, v81, v66
	s_waitcnt lgkmcnt(6)
	v_add_f32_e32 v50, v50, v68
	ds_bpermute_b32 v66, v58, v36
	ds_bpermute_b32 v68, v58, v51
	;; [unrolled: 1-line block ×6, first 2 shown]
	s_waitcnt lgkmcnt(11)
	v_add_f32_e32 v33, v33, v65
	ds_bpermute_b32 v65, v112, v84
	s_waitcnt lgkmcnt(11)
	v_add_f32_e32 v69, v37, v70
	ds_bpermute_b32 v37, v112, v100
	;; [unrolled: 3-line block ×3, first 2 shown]
	s_waitcnt lgkmcnt(11)
	v_add_f32_e32 v39, v39, v71
	s_waitcnt lgkmcnt(10)
	v_add_f32_e32 v53, v53, v38
	ds_bpermute_b32 v38, v112, v99
	ds_bpermute_b32 v71, v58, v69
	;; [unrolled: 1-line block ×3, first 2 shown]
	s_waitcnt lgkmcnt(12)
	v_add_f32_e32 v70, v35, v80
	ds_bpermute_b32 v82, v58, v53
	ds_bpermute_b32 v80, v58, v39
	s_waitcnt lgkmcnt(13)
	v_add_f32_e32 v35, v36, v66
	s_waitcnt lgkmcnt(11)
	v_add_f32_e32 v52, v86, v52
	;; [unrolled: 2-line block ×5, first 2 shown]
	ds_bpermute_b32 v81, v58, v70
	s_waitcnt lgkmcnt(8)
	v_add_f32_e32 v65, v84, v65
	ds_bpermute_b32 v84, v112, v113
	s_waitcnt lgkmcnt(8)
	v_add_f32_e32 v66, v100, v37
	v_add_f32_e32 v37, v51, v68
	s_waitcnt lgkmcnt(7)
	v_add_f32_e32 v68, v98, v49
	ds_bpermute_b32 v85, v42, v52
	ds_bpermute_b32 v86, v58, v54
	s_waitcnt lgkmcnt(8)
	v_add_f32_e32 v67, v99, v38
	ds_bpermute_b32 v99, v112, v103
	s_waitcnt lgkmcnt(8)
	v_add_f32_e32 v38, v69, v71
	ds_bpermute_b32 v69, v42, v68
	ds_bpermute_b32 v87, v42, v64
	s_waitcnt lgkmcnt(8)
	v_add_f32_e32 v48, v53, v82
	ds_bpermute_b32 v98, v42, v66
	s_waitcnt lgkmcnt(8)
	v_add_f32_e32 v50, v39, v80
	v_add_f32_e32 v39, v55, v83
	ds_bpermute_b32 v83, v112, v114
	ds_bpermute_b32 v100, v42, v67
	;; [unrolled: 1-line block ×3, first 2 shown]
	s_waitcnt lgkmcnt(10)
	v_add_f32_e32 v49, v70, v81
	ds_bpermute_b32 v70, v112, v101
	s_waitcnt lgkmcnt(10)
	v_add_f32_e32 v53, v113, v84
	ds_bpermute_b32 v97, v42, v65
	s_waitcnt lgkmcnt(10)
	v_add_f32_e32 v52, v52, v85
	s_waitcnt lgkmcnt(9)
	v_add_f32_e32 v51, v54, v86
	ds_bpermute_b32 v85, v112, v43
	s_waitcnt lgkmcnt(9)
	v_add_f32_e32 v82, v103, v99
	;; [unrolled: 5-line block ×3, first 2 shown]
	ds_bpermute_b32 v84, v42, v82
	ds_bpermute_b32 v87, v112, v41
	s_waitcnt lgkmcnt(9)
	v_add_f32_e32 v66, v66, v98
	ds_bpermute_b32 v98, v112, v116
	s_waitcnt lgkmcnt(9)
	v_add_f32_e32 v83, v114, v83
	ds_bpermute_b32 v99, v58, v68
	ds_bpermute_b32 v64, v42, v53
	;; [unrolled: 1-line block ×3, first 2 shown]
	s_waitcnt lgkmcnt(11)
	v_add_f32_e32 v67, v67, v100
	ds_bpermute_b32 v100, v112, v117
	s_waitcnt lgkmcnt(10)
	v_add_f32_e32 v70, v101, v70
	ds_bpermute_b32 v101, v112, v119
	v_add_f32_e32 v80, v102, v80
	ds_bpermute_b32 v102, v112, v40
	s_waitcnt lgkmcnt(11)
	v_add_f32_e32 v55, v65, v97
	ds_bpermute_b32 v113, v42, v70
	ds_bpermute_b32 v65, v58, v52
	;; [unrolled: 1-line block ×3, first 2 shown]
	s_waitcnt lgkmcnt(12)
	v_add_f32_e32 v69, v115, v69
	ds_bpermute_b32 v71, v58, v54
	s_waitcnt lgkmcnt(12)
	v_add_f32_e32 v115, v82, v84
	v_add_f32_e32 v82, v43, v85
	s_waitcnt lgkmcnt(11)
	v_add_f32_e32 v85, v41, v87
	ds_bpermute_b32 v87, v42, v69
	ds_bpermute_b32 v84, v42, v83
	s_waitcnt lgkmcnt(12)
	v_add_f32_e32 v98, v116, v98
	ds_bpermute_b32 v116, v42, v82
	s_waitcnt lgkmcnt(11)
	v_add_f32_e32 v64, v53, v64
	ds_bpermute_b32 v53, v112, v118
	ds_bpermute_b32 v112, v112, v122
	s_waitcnt lgkmcnt(11)
	v_add_f32_e32 v100, v117, v100
	s_waitcnt lgkmcnt(10)
	v_add_f32_e32 v101, v119, v101
	ds_bpermute_b32 v117, v42, v85
	s_waitcnt lgkmcnt(10)
	v_add_f32_e32 v102, v40, v102
	ds_bpermute_b32 v81, v58, v55
	ds_bpermute_b32 v119, v42, v100
	;; [unrolled: 1-line block ×3, first 2 shown]
	s_waitcnt lgkmcnt(12)
	v_add_f32_e32 v70, v70, v113
	ds_bpermute_b32 v113, v42, v102
	s_waitcnt lgkmcnt(11)
	v_add_f32_e32 v114, v80, v114
	ds_bpermute_b32 v97, v58, v67
	ds_bpermute_b32 v103, v58, v64
	;; [unrolled: 1-line block ×3, first 2 shown]
	s_waitcnt lgkmcnt(12)
	v_add_f32_e32 v87, v69, v87
	s_waitcnt lgkmcnt(11)
	v_add_f32_e32 v43, v83, v84
	v_add_f32_e32 v84, v66, v86
	buffer_load_dword v86, off, s[0:3], s32 offset:3104 ; 4-byte Folded Reload
	s_waitcnt lgkmcnt(10)
	v_add_f32_e32 v116, v82, v116
	ds_bpermute_b32 v46, v58, v87
	v_add_f32_e32 v82, v68, v99
	buffer_load_dword v99, off, s[0:3], s32 offset:3108 ; 4-byte Folded Reload
	s_waitcnt lgkmcnt(10)
	v_add_f32_e32 v53, v118, v53
	ds_bpermute_b32 v118, v42, v98
	s_waitcnt lgkmcnt(10)
	v_add_f32_e32 v112, v122, v112
	s_waitcnt lgkmcnt(9)
	v_add_f32_e32 v117, v85, v117
	;; [unrolled: 2-line block ×3, first 2 shown]
	ds_bpermute_b32 v40, v42, v53
	s_waitcnt lgkmcnt(7)
	v_add_f32_e32 v101, v101, v41
	ds_bpermute_b32 v80, v42, v112
	s_waitcnt lgkmcnt(7)
	v_add_f32_e32 v102, v102, v113
	ds_bpermute_b32 v42, v58, v115
	ds_bpermute_b32 v69, v58, v114
	;; [unrolled: 1-line block ×7, first 2 shown]
	v_add_f32_e32 v52, v52, v65
	s_waitcnt lgkmcnt(10)
	v_add_f32_e32 v68, v87, v46
	buffer_load_dword v87, off, s[0:3], s32 offset:3100 ; 4-byte Folded Reload
	v_add_f32_e32 v85, v55, v81
	v_add_f32_e32 v83, v67, v97
	s_waitcnt lgkmcnt(9)
	v_add_f32_e32 v98, v98, v118
	ds_bpermute_b32 v118, v58, v116
	v_add_f32_e32 v81, v64, v103
	s_waitcnt lgkmcnt(9)
	v_add_f32_e32 v40, v53, v40
	ds_bpermute_b32 v47, v58, v98
	s_waitcnt lgkmcnt(9)
	v_add_f32_e32 v112, v112, v80
	v_add_f32_e32 v53, v54, v71
	s_waitcnt lgkmcnt(8)
	v_add_f32_e32 v80, v115, v42
	ds_bpermute_b32 v113, v58, v40
	v_add_f32_e32 v71, v70, v44
	ds_bpermute_b32 v58, v58, v112
	s_waitcnt lgkmcnt(9)
	v_add_f32_e32 v70, v114, v69
	s_waitcnt lgkmcnt(8)
	v_add_f32_e32 v69, v43, v45
	;; [unrolled: 2-line block ×8, first 2 shown]
	s_waitcnt vmcnt(2)
	v_lshrrev_b32_e32 v98, 3, v86
	v_add_f32_e32 v86, v102, v57
	s_waitcnt vmcnt(1)
	v_lshlrev_b32_e32 v99, 10, v99
	v_lshl_add_u32 v97, v98, 2, v96
	s_waitcnt vmcnt(0)
	v_and_b32_e32 v100, 0x3c0, v87
	s_waitcnt lgkmcnt(0)
	v_add_f32_e32 v87, v112, v58
	v_cmpx_eq_u32_e32 64, v100
	s_cbranch_execz .LBB259_4259
; %bb.4257:
	s_and_b32 exec_lo, exec_lo, vcc_lo
	s_cbranch_execz .LBB259_4259
; %bb.4258:
	v_add_nc_u32_e32 v100, v97, v99
	v_add_nc_u32_e32 v101, 0xfffff800, v100
	;; [unrolled: 1-line block ×7, first 2 shown]
	ds_write_b32 v101, v4
	ds_write_b32 v102, v3
	;; [unrolled: 1-line block ×4, first 2 shown]
	v_add_nc_u32_e32 v101, 0xfffff860, v100
	v_add_nc_u32_e32 v102, 0xfffff870, v100
	v_add_nc_u32_e32 v103, 0xfffff880, v100
	ds_write_b32 v113, v0
	ds_write_b32 v114, v5
	ds_write_b32 v101, v6
	ds_write_b32 v102, v9
	ds_write_b32 v103, v8
	v_add_nc_u32_e32 v101, 0xfffff890, v100
	v_add_nc_u32_e32 v102, 0xfffff8a0, v100
	v_add_nc_u32_e32 v103, 0xfffff8b0, v100
	v_add_nc_u32_e32 v112, 0xfffff8c0, v100
	v_add_nc_u32_e32 v113, 0xfffff8d0, v100
	ds_write_b32 v101, v7
	ds_write_b32 v102, v10
	ds_write_b32 v103, v11
	ds_write_b32 v112, v12
	ds_write_b32 v113, v13
	v_add_nc_u32_e32 v101, 0xfffff8e0, v100
	v_add_nc_u32_e32 v102, 0xfffff8f0, v100
	;; [unrolled: 10-line block ×11, first 2 shown]
	v_add_nc_u32_e32 v103, 0xfffffbd0, v100
	v_add_nc_u32_e32 v112, 0xfffffbe0, v100
	;; [unrolled: 1-line block ×3, first 2 shown]
	ds_write_b32 v101, v64
	ds_write_b32 v102, v55
	;; [unrolled: 1-line block ×5, first 2 shown]
.LBB259_4259:
	s_or_b32 exec_lo, exec_lo, s5
	buffer_load_dword v100, off, s[0:3], s32 offset:3100 ; 4-byte Folded Reload
	v_lshlrev_b32_e32 v98, 2, v98
	s_mov_b32 s5, exec_lo
	s_waitcnt vmcnt(0) lgkmcnt(0)
	s_barrier
	buffer_gl0_inv
	v_add3_u32 v96, v96, v99, v98
	v_and_b32_e32 v100, 0x3c7, v100
	v_cmpx_eq_u32_e32 0, v100
	s_cbranch_execz .LBB259_4261
; %bb.4260:
	ds_read2_b32 v[98:99], v96 offset1:4
	ds_read2_b32 v[100:101], v96 offset0:8 offset1:12
	ds_read2_b32 v[102:103], v96 offset0:16 offset1:20
	;; [unrolled: 1-line block ×11, first 2 shown]
	s_waitcnt lgkmcnt(11)
	v_add_f32_e32 v4, v98, v4
	v_add_f32_e32 v3, v99, v3
	s_waitcnt lgkmcnt(10)
	v_add_f32_e32 v2, v100, v2
	v_add_f32_e32 v1, v101, v1
	ds_read2_b32 v[98:99], v96 offset0:96 offset1:100
	ds_read2_b32 v[100:101], v96 offset0:104 offset1:108
	s_waitcnt lgkmcnt(11)
	v_add_f32_e32 v0, v102, v0
	v_add_f32_e32 v5, v103, v5
	s_waitcnt lgkmcnt(10)
	v_add_f32_e32 v6, v112, v6
	v_add_f32_e32 v9, v113, v9
	;; [unrolled: 3-line block ×5, first 2 shown]
	ds_read2_b32 v[102:103], v96 offset0:112 offset1:116
	ds_read2_b32 v[112:113], v96 offset0:120 offset1:124
	ds_read2_b32 v[114:115], v96 offset0:128 offset1:132
	ds_read2_b32 v[116:117], v96 offset0:136 offset1:140
	ds_read2_b32 v[118:119], v96 offset0:144 offset1:148
	s_waitcnt lgkmcnt(11)
	v_add_f32_e32 v14, v40, v14
	v_add_f32_e32 v16, v41, v16
	s_waitcnt lgkmcnt(10)
	v_add_f32_e32 v15, v42, v15
	s_waitcnt lgkmcnt(6)
	v_add_f32_e32 v24, v98, v24
	v_add_f32_e32 v23, v99, v23
	ds_read2_b32 v[98:99], v96 offset0:152 offset1:156
	s_waitcnt lgkmcnt(6)
	v_add_f32_e32 v28, v100, v28
	v_add_f32_e32 v27, v101, v27
	ds_read2_b32 v[100:101], v96 offset0:160 offset1:164
	v_add_f32_e32 v18, v43, v18
	v_add_f32_e32 v17, v44, v17
	;; [unrolled: 1-line block ×5, first 2 shown]
	ds_read2_b32 v[40:41], v96 offset0:200 offset1:204
	s_waitcnt lgkmcnt(7)
	v_add_f32_e32 v26, v102, v26
	v_add_f32_e32 v29, v103, v29
	s_waitcnt lgkmcnt(6)
	v_add_f32_e32 v30, v112, v30
	v_add_f32_e32 v31, v113, v31
	ds_read2_b32 v[102:103], v96 offset0:168 offset1:172
	s_waitcnt lgkmcnt(6)
	v_add_f32_e32 v32, v114, v32
	v_add_f32_e32 v34, v115, v34
	ds_read2_b32 v[112:113], v96 offset0:176 offset1:180
	s_waitcnt lgkmcnt(6)
	v_add_f32_e32 v33, v116, v33
	ds_read2_b32 v[114:115], v96 offset0:184 offset1:188
	v_add_f32_e32 v35, v117, v35
	ds_read2_b32 v[116:117], v96 offset0:192 offset1:196
	s_waitcnt lgkmcnt(7)
	v_add_f32_e32 v36, v118, v36
	v_add_f32_e32 v37, v119, v37
	ds_read2_b32 v[118:119], v96 offset0:208 offset1:212
	s_waitcnt lgkmcnt(7)
	v_add_f32_e32 v38, v98, v38
	ds_read2_b32 v[42:43], v96 offset0:216 offset1:220
	v_add_f32_e32 v50, v99, v50
	ds_read2_b32 v[98:99], v96 offset0:224 offset1:228
	s_waitcnt lgkmcnt(8)
	v_add_f32_e32 v49, v100, v49
	ds_read2_b32 v[44:45], v96 offset0:232 offset1:236
	v_add_f32_e32 v48, v101, v48
	ds_read2_b32 v[100:101], v96 offset0:240 offset1:244
	ds_read2_b32 v[46:47], v96 offset0:248 offset1:252
	v_add_f32_e32 v22, v56, v22
	v_add_f32_e32 v25, v57, v25
	s_waitcnt lgkmcnt(9)
	v_add_f32_e32 v39, v102, v39
	v_add_f32_e32 v51, v103, v51
	s_waitcnt lgkmcnt(8)
	;; [unrolled: 3-line block ×4, first 2 shown]
	v_add_f32_e32 v83, v116, v83
	v_add_f32_e32 v82, v117, v82
	;; [unrolled: 1-line block ×4, first 2 shown]
	s_waitcnt lgkmcnt(5)
	v_add_f32_e32 v71, v118, v71
	v_add_f32_e32 v70, v119, v70
	s_waitcnt lgkmcnt(4)
	v_add_f32_e32 v69, v42, v69
	v_add_f32_e32 v68, v43, v68
	;; [unrolled: 3-line block ×6, first 2 shown]
.LBB259_4261:
	s_or_b32 exec_lo, exec_lo, s5
	buffer_load_dword v98, off, s[0:3], s32 offset:3100 ; 4-byte Folded Reload
	s_mov_b32 s5, exec_lo
	s_waitcnt vmcnt(0)
	s_barrier
	buffer_gl0_inv
	v_and_b32_e32 v98, 0x3e7, v98
	v_cmpx_eq_u32_e32 32, v98
	s_cbranch_execz .LBB259_4263
; %bb.4262:
	ds_write2_b32 v97, v4, v3 offset1:4
	ds_write2_b32 v97, v2, v1 offset0:8 offset1:12
	ds_write2_b32 v97, v0, v5 offset0:16 offset1:20
	ds_write2_b32 v97, v6, v9 offset0:24 offset1:28
	ds_write2_b32 v97, v8, v7 offset0:32 offset1:36
	ds_write2_b32 v97, v10, v11 offset0:40 offset1:44
	ds_write2_b32 v97, v12, v13 offset0:48 offset1:52
	ds_write2_b32 v97, v14, v16 offset0:56 offset1:60
	ds_write2_b32 v97, v15, v18 offset0:64 offset1:68
	ds_write2_b32 v97, v17, v19 offset0:72 offset1:76
	ds_write2_b32 v97, v20, v21 offset0:80 offset1:84
	ds_write2_b32 v97, v22, v25 offset0:88 offset1:92
	ds_write2_b32 v97, v24, v23 offset0:96 offset1:100
	ds_write2_b32 v97, v28, v27 offset0:104 offset1:108
	ds_write2_b32 v97, v26, v29 offset0:112 offset1:116
	ds_write2_b32 v97, v30, v31 offset0:120 offset1:124
	ds_write2_b32 v97, v32, v34 offset0:128 offset1:132
	ds_write2_b32 v97, v33, v35 offset0:136 offset1:140
	ds_write2_b32 v97, v36, v37 offset0:144 offset1:148
	ds_write2_b32 v97, v38, v50 offset0:152 offset1:156
	ds_write2_b32 v97, v49, v48 offset0:160 offset1:164
	ds_write2_b32 v97, v39, v51 offset0:168 offset1:172
	ds_write2_b32 v97, v52, v53 offset0:176 offset1:180
	ds_write2_b32 v97, v85, v84 offset0:184 offset1:188
	ds_write2_b32 v97, v83, v82 offset0:192 offset1:196
	ds_write2_b32 v97, v81, v80 offset0:200 offset1:204
	ds_write2_b32 v97, v71, v70 offset0:208 offset1:212
	ds_write2_b32 v97, v69, v68 offset0:216 offset1:220
	ds_write2_b32 v97, v67, v66 offset0:224 offset1:228
	ds_write2_b32 v97, v65, v64 offset0:232 offset1:236
	ds_write2_b32 v97, v55, v54 offset0:240 offset1:244
	ds_write2_b32 v97, v86, v87 offset0:248 offset1:252
.LBB259_4263:
	s_or_b32 exec_lo, exec_lo, s5
	s_mov_b32 s5, exec_lo
	s_waitcnt lgkmcnt(0)
	s_barrier
	buffer_gl0_inv
	v_cmpx_eq_u32_e32 0, v98
	s_cbranch_execz .LBB259_4265
; %bb.4264:
	ds_read2_b32 v[97:98], v96 offset1:4
	ds_read2_b32 v[99:100], v96 offset0:8 offset1:12
	ds_read2_b32 v[101:102], v96 offset0:16 offset1:20
	;; [unrolled: 1-line block ×11, first 2 shown]
	s_waitcnt lgkmcnt(11)
	v_add_f32_e32 v4, v97, v4
	v_add_f32_e32 v3, v98, v3
	s_waitcnt lgkmcnt(10)
	v_add_f32_e32 v2, v99, v2
	v_add_f32_e32 v1, v100, v1
	ds_read2_b32 v[97:98], v96 offset0:96 offset1:100
	ds_read2_b32 v[99:100], v96 offset0:104 offset1:108
	s_waitcnt lgkmcnt(11)
	v_add_f32_e32 v0, v101, v0
	v_add_f32_e32 v5, v102, v5
	s_waitcnt lgkmcnt(10)
	v_add_f32_e32 v6, v112, v6
	v_add_f32_e32 v9, v113, v9
	;; [unrolled: 3-line block ×5, first 2 shown]
	ds_read2_b32 v[101:102], v96 offset0:112 offset1:116
	ds_read2_b32 v[112:113], v96 offset0:120 offset1:124
	;; [unrolled: 1-line block ×5, first 2 shown]
	s_waitcnt lgkmcnt(11)
	v_add_f32_e32 v14, v40, v14
	v_add_f32_e32 v16, v41, v16
	s_waitcnt lgkmcnt(10)
	v_add_f32_e32 v15, v42, v15
	s_waitcnt lgkmcnt(6)
	v_add_f32_e32 v24, v97, v24
	v_add_f32_e32 v23, v98, v23
	ds_read2_b32 v[97:98], v96 offset0:152 offset1:156
	s_waitcnt lgkmcnt(6)
	v_add_f32_e32 v28, v99, v28
	v_add_f32_e32 v27, v100, v27
	ds_read2_b32 v[99:100], v96 offset0:160 offset1:164
	v_add_f32_e32 v18, v43, v18
	v_add_f32_e32 v17, v44, v17
	;; [unrolled: 1-line block ×5, first 2 shown]
	ds_read2_b32 v[40:41], v96 offset0:200 offset1:204
	s_waitcnt lgkmcnt(7)
	v_add_f32_e32 v26, v101, v26
	v_add_f32_e32 v29, v102, v29
	s_waitcnt lgkmcnt(6)
	v_add_f32_e32 v30, v112, v30
	v_add_f32_e32 v31, v113, v31
	ds_read2_b32 v[101:102], v96 offset0:168 offset1:172
	s_waitcnt lgkmcnt(6)
	v_add_f32_e32 v32, v114, v32
	v_add_f32_e32 v34, v115, v34
	ds_read2_b32 v[112:113], v96 offset0:176 offset1:180
	s_waitcnt lgkmcnt(6)
	v_add_f32_e32 v33, v116, v33
	ds_read2_b32 v[114:115], v96 offset0:184 offset1:188
	v_add_f32_e32 v35, v117, v35
	ds_read2_b32 v[116:117], v96 offset0:192 offset1:196
	s_waitcnt lgkmcnt(7)
	v_add_f32_e32 v36, v118, v36
	v_add_f32_e32 v37, v119, v37
	ds_read2_b32 v[118:119], v96 offset0:208 offset1:212
	s_waitcnt lgkmcnt(7)
	v_add_f32_e32 v38, v97, v38
	ds_read2_b32 v[42:43], v96 offset0:216 offset1:220
	v_add_f32_e32 v50, v98, v50
	ds_read2_b32 v[97:98], v96 offset0:224 offset1:228
	s_waitcnt lgkmcnt(8)
	v_add_f32_e32 v49, v99, v49
	ds_read2_b32 v[44:45], v96 offset0:232 offset1:236
	v_add_f32_e32 v48, v100, v48
	ds_read2_b32 v[99:100], v96 offset0:240 offset1:244
	ds_read2_b32 v[46:47], v96 offset0:248 offset1:252
	v_add_f32_e32 v22, v56, v22
	v_add_f32_e32 v25, v57, v25
	s_waitcnt lgkmcnt(9)
	v_add_f32_e32 v39, v101, v39
	v_add_f32_e32 v51, v102, v51
	s_waitcnt lgkmcnt(8)
	;; [unrolled: 3-line block ×4, first 2 shown]
	v_add_f32_e32 v83, v116, v83
	v_add_f32_e32 v82, v117, v82
	;; [unrolled: 1-line block ×4, first 2 shown]
	s_waitcnt lgkmcnt(5)
	v_add_f32_e32 v71, v118, v71
	v_add_f32_e32 v70, v119, v70
	s_waitcnt lgkmcnt(4)
	v_add_f32_e32 v69, v42, v69
	v_add_f32_e32 v68, v43, v68
	;; [unrolled: 3-line block ×6, first 2 shown]
.LBB259_4265:
	s_or_b32 exec_lo, exec_lo, s5
	buffer_load_dword v96, off, s[0:3], s32 offset:3100 ; 4-byte Folded Reload
	s_waitcnt vmcnt(0)
	s_barrier
	buffer_gl0_inv
	v_cmp_gt_u32_e64 s4, 32, v96
	s_and_b32 exec_lo, exec_lo, s4
	s_cbranch_execz .LBB259_4268
; %bb.4266:
	s_and_b32 exec_lo, exec_lo, vcc_lo
	s_cbranch_execz .LBB259_4268
; %bb.4267:
	s_clause 0x2
	buffer_load_dword v96, off, s[0:3], s32 offset:3116
	buffer_load_dword v97, off, s[0:3], s32 offset:3112
	;; [unrolled: 1-line block ×3, first 2 shown]
	s_mul_i32 s4, s9, s10
	s_mul_i32 s6, s16, s9
	;; [unrolled: 1-line block ×3, first 2 shown]
	s_ashr_i32 s7, s6, 31
	s_lshl_b32 s4, s4, 8
	s_lshl_b64 s[6:7], s[6:7], 2
	s_ashr_i32 s5, s4, 31
	s_lshl_b64 s[4:5], s[4:5], 2
	s_waitcnt vmcnt(2)
	v_add_co_u32 v96, vcc_lo, v96, s4
	s_waitcnt vmcnt(1)
	v_add_co_ci_u32_e64 v97, null, s5, v97, vcc_lo
	s_lshl_b32 s4, s14, 8
	s_waitcnt vmcnt(0)
	v_lshrrev_b32_e32 v98, 1, v98
	v_add_co_u32 v96, vcc_lo, v96, s6
	s_ashr_i32 s5, s4, 31
	v_add_co_ci_u32_e64 v97, null, s7, v97, vcc_lo
	s_lshl_b64 s[4:5], s[4:5], 2
	v_and_b32_e32 v98, 0x1fc, v98
	v_add_co_u32 v96, vcc_lo, v96, s4
	v_add_co_ci_u32_e64 v97, null, s5, v97, vcc_lo
	v_add_co_u32 v96, vcc_lo, v96, v98
	v_add_co_ci_u32_e64 v97, null, 0, v97, vcc_lo
	flat_store_dword v[96:97], v4
	flat_store_dword v[96:97], v3 offset:16
	flat_store_dword v[96:97], v2 offset:32
	;; [unrolled: 1-line block ×63, first 2 shown]
.LBB259_4268:
	s_or_b32 exec_lo, exec_lo, s11
	s_clause 0x2f
	buffer_load_dword v127, off, s[0:3], s32
	buffer_load_dword v126, off, s[0:3], s32 offset:4
	buffer_load_dword v125, off, s[0:3], s32 offset:8
	;; [unrolled: 1-line block ×47, first 2 shown]
	s_waitcnt vmcnt(0) lgkmcnt(0)
	s_setpc_b64 s[30:31]
.Lfunc_end259:
	.size	_ZN4vllm22paged_attention_kernelIfhLi256ELi32ELi128ELNS_18Fp8KVCacheDataTypeE1ELb0ELi512EEEvPfS2_PT_PKS3_PKT0_S9_ifPKiSB_iPKfiiiSD_SD_iiiii, .Lfunc_end259-_ZN4vllm22paged_attention_kernelIfhLi256ELi32ELi128ELNS_18Fp8KVCacheDataTypeE1ELb0ELi512EEEvPfS2_PT_PKS3_PKT0_S9_ifPKiSB_iPKfiiiSD_SD_iiiii
                                        ; -- End function
	.set .L_ZN4vllm22paged_attention_kernelIfhLi256ELi32ELi128ELNS_18Fp8KVCacheDataTypeE1ELb0ELi512EEEvPfS2_PT_PKS3_PKT0_S9_ifPKiSB_iPKfiiiSD_SD_iiiii.num_vgpr, 128
	.set .L_ZN4vllm22paged_attention_kernelIfhLi256ELi32ELi128ELNS_18Fp8KVCacheDataTypeE1ELb0ELi512EEEvPfS2_PT_PKS3_PKT0_S9_ifPKiSB_iPKfiiiSD_SD_iiiii.num_agpr, 0
	.set .L_ZN4vllm22paged_attention_kernelIfhLi256ELi32ELi128ELNS_18Fp8KVCacheDataTypeE1ELb0ELi512EEEvPfS2_PT_PKS3_PKT0_S9_ifPKiSB_iPKfiiiSD_SD_iiiii.numbered_sgpr, 33
	.set .L_ZN4vllm22paged_attention_kernelIfhLi256ELi32ELi128ELNS_18Fp8KVCacheDataTypeE1ELb0ELi512EEEvPfS2_PT_PKS3_PKT0_S9_ifPKiSB_iPKfiiiSD_SD_iiiii.num_named_barrier, 0
	.set .L_ZN4vllm22paged_attention_kernelIfhLi256ELi32ELi128ELNS_18Fp8KVCacheDataTypeE1ELb0ELi512EEEvPfS2_PT_PKS3_PKT0_S9_ifPKiSB_iPKfiiiSD_SD_iiiii.private_seg_size, 3192
	.set .L_ZN4vllm22paged_attention_kernelIfhLi256ELi32ELi128ELNS_18Fp8KVCacheDataTypeE1ELb0ELi512EEEvPfS2_PT_PKS3_PKT0_S9_ifPKiSB_iPKfiiiSD_SD_iiiii.uses_vcc, 1
	.set .L_ZN4vllm22paged_attention_kernelIfhLi256ELi32ELi128ELNS_18Fp8KVCacheDataTypeE1ELb0ELi512EEEvPfS2_PT_PKS3_PKT0_S9_ifPKiSB_iPKfiiiSD_SD_iiiii.uses_flat_scratch, 0
	.set .L_ZN4vllm22paged_attention_kernelIfhLi256ELi32ELi128ELNS_18Fp8KVCacheDataTypeE1ELb0ELi512EEEvPfS2_PT_PKS3_PKT0_S9_ifPKiSB_iPKfiiiSD_SD_iiiii.has_dyn_sized_stack, 0
	.set .L_ZN4vllm22paged_attention_kernelIfhLi256ELi32ELi128ELNS_18Fp8KVCacheDataTypeE1ELb0ELi512EEEvPfS2_PT_PKS3_PKT0_S9_ifPKiSB_iPKfiiiSD_SD_iiiii.has_recursion, 0
	.set .L_ZN4vllm22paged_attention_kernelIfhLi256ELi32ELi128ELNS_18Fp8KVCacheDataTypeE1ELb0ELi512EEEvPfS2_PT_PKS3_PKT0_S9_ifPKiSB_iPKfiiiSD_SD_iiiii.has_indirect_call, 0
	.section	.AMDGPU.csdata,"",@progbits
; Function info:
; codeLenInByte = 159248
; TotalNumSgprs: 35
; NumVgprs: 128
; ScratchSize: 3192
; MemoryBound: 0
	.section	.text._ZN4vllm25paged_attention_v2_kernelIfhLi256ELi32ELi128ELNS_18Fp8KVCacheDataTypeE1ELb0ELi512EEEvPfS2_PT_PKS3_PKT0_S9_ifPKiSB_iPKfiiiSD_SD_iiiii,"axG",@progbits,_ZN4vllm25paged_attention_v2_kernelIfhLi256ELi32ELi128ELNS_18Fp8KVCacheDataTypeE1ELb0ELi512EEEvPfS2_PT_PKS3_PKT0_S9_ifPKiSB_iPKfiiiSD_SD_iiiii,comdat
	.protected	_ZN4vllm25paged_attention_v2_kernelIfhLi256ELi32ELi128ELNS_18Fp8KVCacheDataTypeE1ELb0ELi512EEEvPfS2_PT_PKS3_PKT0_S9_ifPKiSB_iPKfiiiSD_SD_iiiii ; -- Begin function _ZN4vllm25paged_attention_v2_kernelIfhLi256ELi32ELi128ELNS_18Fp8KVCacheDataTypeE1ELb0ELi512EEEvPfS2_PT_PKS3_PKT0_S9_ifPKiSB_iPKfiiiSD_SD_iiiii
	.globl	_ZN4vllm25paged_attention_v2_kernelIfhLi256ELi32ELi128ELNS_18Fp8KVCacheDataTypeE1ELb0ELi512EEEvPfS2_PT_PKS3_PKT0_S9_ifPKiSB_iPKfiiiSD_SD_iiiii
	.p2align	8
	.type	_ZN4vllm25paged_attention_v2_kernelIfhLi256ELi32ELi128ELNS_18Fp8KVCacheDataTypeE1ELb0ELi512EEEvPfS2_PT_PKS3_PKT0_S9_ifPKiSB_iPKfiiiSD_SD_iiiii,@function
_ZN4vllm25paged_attention_v2_kernelIfhLi256ELi32ELi128ELNS_18Fp8KVCacheDataTypeE1ELb0ELi512EEEvPfS2_PT_PKS3_PKT0_S9_ifPKiSB_iPKfiiiSD_SD_iiiii: ; @_ZN4vllm25paged_attention_v2_kernelIfhLi256ELi32ELi128ELNS_18Fp8KVCacheDataTypeE1ELb0ELi512EEEvPfS2_PT_PKS3_PKT0_S9_ifPKiSB_iPKfiiiSD_SD_iiiii
; %bb.0:
	s_clause 0x5
	s_load_dwordx8 s[24:31], s[4:5], 0x0
	s_load_dwordx8 s[16:23], s[4:5], 0x20
	s_load_dwordx2 s[10:11], s[4:5], 0x40
	s_load_dwordx2 s[34:35], s[4:5], 0x50
	s_load_dword s13, s[4:5], 0x48
	s_load_dwordx8 s[36:43], s[4:5], 0x58
	s_add_u32 s0, s0, s9
	s_addc_u32 s1, s1, 0
	v_mov_b32_e32 v31, v0
	s_mov_b32 s14, s8
	s_add_u32 s8, s4, 0x90
	s_addc_u32 s9, s5, 0
	s_getpc_b64 s[4:5]
	s_add_u32 s4, s4, _ZN4vllm22paged_attention_kernelIfhLi256ELi32ELi128ELNS_18Fp8KVCacheDataTypeE1ELb0ELi512EEEvPfS2_PT_PKS3_PKT0_S9_ifPKiSB_iPKfiiiSD_SD_iiiii@rel32@lo+4
	s_addc_u32 s5, s5, _ZN4vllm22paged_attention_kernelIfhLi256ELi32ELi128ELNS_18Fp8KVCacheDataTypeE1ELb0ELi512EEEvPfS2_PT_PKS3_PKT0_S9_ifPKiSB_iPKfiiiSD_SD_iiiii@rel32@hi+12
	s_mov_b32 s12, s6
	s_mov_b32 s15, 28
	;; [unrolled: 1-line block ×3, first 2 shown]
	s_waitcnt lgkmcnt(0)
	v_mov_b32_e32 v0, s24
	v_mov_b32_e32 v1, s25
	;; [unrolled: 1-line block ×28, first 2 shown]
	s_mov_b32 s13, s7
	s_swappc_b64 s[30:31], s[4:5]
	s_endpgm
	.section	.rodata,"a",@progbits
	.p2align	6, 0x0
	.amdhsa_kernel _ZN4vllm25paged_attention_v2_kernelIfhLi256ELi32ELi128ELNS_18Fp8KVCacheDataTypeE1ELb0ELi512EEEvPfS2_PT_PKS3_PKT0_S9_ifPKiSB_iPKfiiiSD_SD_iiiii
		.amdhsa_group_segment_fixed_size 1056
		.amdhsa_private_segment_fixed_size 3192
		.amdhsa_kernarg_size 400
		.amdhsa_user_sgpr_count 6
		.amdhsa_user_sgpr_private_segment_buffer 1
		.amdhsa_user_sgpr_dispatch_ptr 0
		.amdhsa_user_sgpr_queue_ptr 0
		.amdhsa_user_sgpr_kernarg_segment_ptr 1
		.amdhsa_user_sgpr_dispatch_id 0
		.amdhsa_user_sgpr_flat_scratch_init 0
		.amdhsa_user_sgpr_private_segment_size 0
		.amdhsa_wavefront_size32 1
		.amdhsa_uses_dynamic_stack 0
		.amdhsa_system_sgpr_private_segment_wavefront_offset 1
		.amdhsa_system_sgpr_workgroup_id_x 1
		.amdhsa_system_sgpr_workgroup_id_y 1
		.amdhsa_system_sgpr_workgroup_id_z 1
		.amdhsa_system_sgpr_workgroup_info 0
		.amdhsa_system_vgpr_workitem_id 0
		.amdhsa_next_free_vgpr 128
		.amdhsa_next_free_sgpr 44
		.amdhsa_reserve_vcc 1
		.amdhsa_reserve_flat_scratch 0
		.amdhsa_float_round_mode_32 0
		.amdhsa_float_round_mode_16_64 0
		.amdhsa_float_denorm_mode_32 3
		.amdhsa_float_denorm_mode_16_64 3
		.amdhsa_dx10_clamp 1
		.amdhsa_ieee_mode 1
		.amdhsa_fp16_overflow 0
		.amdhsa_workgroup_processor_mode 1
		.amdhsa_memory_ordered 1
		.amdhsa_forward_progress 1
		.amdhsa_shared_vgpr_count 0
		.amdhsa_exception_fp_ieee_invalid_op 0
		.amdhsa_exception_fp_denorm_src 0
		.amdhsa_exception_fp_ieee_div_zero 0
		.amdhsa_exception_fp_ieee_overflow 0
		.amdhsa_exception_fp_ieee_underflow 0
		.amdhsa_exception_fp_ieee_inexact 0
		.amdhsa_exception_int_div_zero 0
	.end_amdhsa_kernel
	.section	.text._ZN4vllm25paged_attention_v2_kernelIfhLi256ELi32ELi128ELNS_18Fp8KVCacheDataTypeE1ELb0ELi512EEEvPfS2_PT_PKS3_PKT0_S9_ifPKiSB_iPKfiiiSD_SD_iiiii,"axG",@progbits,_ZN4vllm25paged_attention_v2_kernelIfhLi256ELi32ELi128ELNS_18Fp8KVCacheDataTypeE1ELb0ELi512EEEvPfS2_PT_PKS3_PKT0_S9_ifPKiSB_iPKfiiiSD_SD_iiiii,comdat
.Lfunc_end260:
	.size	_ZN4vllm25paged_attention_v2_kernelIfhLi256ELi32ELi128ELNS_18Fp8KVCacheDataTypeE1ELb0ELi512EEEvPfS2_PT_PKS3_PKT0_S9_ifPKiSB_iPKfiiiSD_SD_iiiii, .Lfunc_end260-_ZN4vllm25paged_attention_v2_kernelIfhLi256ELi32ELi128ELNS_18Fp8KVCacheDataTypeE1ELb0ELi512EEEvPfS2_PT_PKS3_PKT0_S9_ifPKiSB_iPKfiiiSD_SD_iiiii
                                        ; -- End function
	.set _ZN4vllm25paged_attention_v2_kernelIfhLi256ELi32ELi128ELNS_18Fp8KVCacheDataTypeE1ELb0ELi512EEEvPfS2_PT_PKS3_PKT0_S9_ifPKiSB_iPKfiiiSD_SD_iiiii.num_vgpr, max(32, .L_ZN4vllm22paged_attention_kernelIfhLi256ELi32ELi128ELNS_18Fp8KVCacheDataTypeE1ELb0ELi512EEEvPfS2_PT_PKS3_PKT0_S9_ifPKiSB_iPKfiiiSD_SD_iiiii.num_vgpr)
	.set _ZN4vllm25paged_attention_v2_kernelIfhLi256ELi32ELi128ELNS_18Fp8KVCacheDataTypeE1ELb0ELi512EEEvPfS2_PT_PKS3_PKT0_S9_ifPKiSB_iPKfiiiSD_SD_iiiii.num_agpr, max(0, .L_ZN4vllm22paged_attention_kernelIfhLi256ELi32ELi128ELNS_18Fp8KVCacheDataTypeE1ELb0ELi512EEEvPfS2_PT_PKS3_PKT0_S9_ifPKiSB_iPKfiiiSD_SD_iiiii.num_agpr)
	.set _ZN4vllm25paged_attention_v2_kernelIfhLi256ELi32ELi128ELNS_18Fp8KVCacheDataTypeE1ELb0ELi512EEEvPfS2_PT_PKS3_PKT0_S9_ifPKiSB_iPKfiiiSD_SD_iiiii.numbered_sgpr, max(44, .L_ZN4vllm22paged_attention_kernelIfhLi256ELi32ELi128ELNS_18Fp8KVCacheDataTypeE1ELb0ELi512EEEvPfS2_PT_PKS3_PKT0_S9_ifPKiSB_iPKfiiiSD_SD_iiiii.numbered_sgpr)
	.set _ZN4vllm25paged_attention_v2_kernelIfhLi256ELi32ELi128ELNS_18Fp8KVCacheDataTypeE1ELb0ELi512EEEvPfS2_PT_PKS3_PKT0_S9_ifPKiSB_iPKfiiiSD_SD_iiiii.num_named_barrier, max(0, .L_ZN4vllm22paged_attention_kernelIfhLi256ELi32ELi128ELNS_18Fp8KVCacheDataTypeE1ELb0ELi512EEEvPfS2_PT_PKS3_PKT0_S9_ifPKiSB_iPKfiiiSD_SD_iiiii.num_named_barrier)
	.set _ZN4vllm25paged_attention_v2_kernelIfhLi256ELi32ELi128ELNS_18Fp8KVCacheDataTypeE1ELb0ELi512EEEvPfS2_PT_PKS3_PKT0_S9_ifPKiSB_iPKfiiiSD_SD_iiiii.private_seg_size, 0+max(.L_ZN4vllm22paged_attention_kernelIfhLi256ELi32ELi128ELNS_18Fp8KVCacheDataTypeE1ELb0ELi512EEEvPfS2_PT_PKS3_PKT0_S9_ifPKiSB_iPKfiiiSD_SD_iiiii.private_seg_size)
	.set _ZN4vllm25paged_attention_v2_kernelIfhLi256ELi32ELi128ELNS_18Fp8KVCacheDataTypeE1ELb0ELi512EEEvPfS2_PT_PKS3_PKT0_S9_ifPKiSB_iPKfiiiSD_SD_iiiii.uses_vcc, or(1, .L_ZN4vllm22paged_attention_kernelIfhLi256ELi32ELi128ELNS_18Fp8KVCacheDataTypeE1ELb0ELi512EEEvPfS2_PT_PKS3_PKT0_S9_ifPKiSB_iPKfiiiSD_SD_iiiii.uses_vcc)
	.set _ZN4vllm25paged_attention_v2_kernelIfhLi256ELi32ELi128ELNS_18Fp8KVCacheDataTypeE1ELb0ELi512EEEvPfS2_PT_PKS3_PKT0_S9_ifPKiSB_iPKfiiiSD_SD_iiiii.uses_flat_scratch, or(0, .L_ZN4vllm22paged_attention_kernelIfhLi256ELi32ELi128ELNS_18Fp8KVCacheDataTypeE1ELb0ELi512EEEvPfS2_PT_PKS3_PKT0_S9_ifPKiSB_iPKfiiiSD_SD_iiiii.uses_flat_scratch)
	.set _ZN4vllm25paged_attention_v2_kernelIfhLi256ELi32ELi128ELNS_18Fp8KVCacheDataTypeE1ELb0ELi512EEEvPfS2_PT_PKS3_PKT0_S9_ifPKiSB_iPKfiiiSD_SD_iiiii.has_dyn_sized_stack, or(0, .L_ZN4vllm22paged_attention_kernelIfhLi256ELi32ELi128ELNS_18Fp8KVCacheDataTypeE1ELb0ELi512EEEvPfS2_PT_PKS3_PKT0_S9_ifPKiSB_iPKfiiiSD_SD_iiiii.has_dyn_sized_stack)
	.set _ZN4vllm25paged_attention_v2_kernelIfhLi256ELi32ELi128ELNS_18Fp8KVCacheDataTypeE1ELb0ELi512EEEvPfS2_PT_PKS3_PKT0_S9_ifPKiSB_iPKfiiiSD_SD_iiiii.has_recursion, or(0, .L_ZN4vllm22paged_attention_kernelIfhLi256ELi32ELi128ELNS_18Fp8KVCacheDataTypeE1ELb0ELi512EEEvPfS2_PT_PKS3_PKT0_S9_ifPKiSB_iPKfiiiSD_SD_iiiii.has_recursion)
	.set _ZN4vllm25paged_attention_v2_kernelIfhLi256ELi32ELi128ELNS_18Fp8KVCacheDataTypeE1ELb0ELi512EEEvPfS2_PT_PKS3_PKT0_S9_ifPKiSB_iPKfiiiSD_SD_iiiii.has_indirect_call, or(0, .L_ZN4vllm22paged_attention_kernelIfhLi256ELi32ELi128ELNS_18Fp8KVCacheDataTypeE1ELb0ELi512EEEvPfS2_PT_PKS3_PKT0_S9_ifPKiSB_iPKfiiiSD_SD_iiiii.has_indirect_call)
	.section	.AMDGPU.csdata,"",@progbits
; Kernel info:
; codeLenInByte = 240
; TotalNumSgprs: 46
; NumVgprs: 128
; ScratchSize: 3192
; MemoryBound: 0
; FloatMode: 240
; IeeeMode: 1
; LDSByteSize: 1056 bytes/workgroup (compile time only)
; SGPRBlocks: 0
; VGPRBlocks: 15
; NumSGPRsForWavesPerEU: 46
; NumVGPRsForWavesPerEU: 128
; Occupancy: 8
; WaveLimiterHint : 1
; COMPUTE_PGM_RSRC2:SCRATCH_EN: 1
; COMPUTE_PGM_RSRC2:USER_SGPR: 6
; COMPUTE_PGM_RSRC2:TRAP_HANDLER: 0
; COMPUTE_PGM_RSRC2:TGID_X_EN: 1
; COMPUTE_PGM_RSRC2:TGID_Y_EN: 1
; COMPUTE_PGM_RSRC2:TGID_Z_EN: 1
; COMPUTE_PGM_RSRC2:TIDIG_COMP_CNT: 0
	.section	.text._ZN4vllm25paged_attention_v2_kernelIthLi32ELi8ELi128ELNS_18Fp8KVCacheDataTypeE1ELb1ELi512EEEvPfS2_PT_PKS3_PKT0_S9_ifPKiSB_iPKfiiiSD_SD_iiiii,"axG",@progbits,_ZN4vllm25paged_attention_v2_kernelIthLi32ELi8ELi128ELNS_18Fp8KVCacheDataTypeE1ELb1ELi512EEEvPfS2_PT_PKS3_PKT0_S9_ifPKiSB_iPKfiiiSD_SD_iiiii,comdat
	.protected	_ZN4vllm25paged_attention_v2_kernelIthLi32ELi8ELi128ELNS_18Fp8KVCacheDataTypeE1ELb1ELi512EEEvPfS2_PT_PKS3_PKT0_S9_ifPKiSB_iPKfiiiSD_SD_iiiii ; -- Begin function _ZN4vllm25paged_attention_v2_kernelIthLi32ELi8ELi128ELNS_18Fp8KVCacheDataTypeE1ELb1ELi512EEEvPfS2_PT_PKS3_PKT0_S9_ifPKiSB_iPKfiiiSD_SD_iiiii
	.globl	_ZN4vllm25paged_attention_v2_kernelIthLi32ELi8ELi128ELNS_18Fp8KVCacheDataTypeE1ELb1ELi512EEEvPfS2_PT_PKS3_PKT0_S9_ifPKiSB_iPKfiiiSD_SD_iiiii
	.p2align	8
	.type	_ZN4vllm25paged_attention_v2_kernelIthLi32ELi8ELi128ELNS_18Fp8KVCacheDataTypeE1ELb1ELi512EEEvPfS2_PT_PKS3_PKT0_S9_ifPKiSB_iPKfiiiSD_SD_iiiii,@function
_ZN4vllm25paged_attention_v2_kernelIthLi32ELi8ELi128ELNS_18Fp8KVCacheDataTypeE1ELb1ELi512EEEvPfS2_PT_PKS3_PKT0_S9_ifPKiSB_iPKfiiiSD_SD_iiiii: ; @_ZN4vllm25paged_attention_v2_kernelIthLi32ELi8ELi128ELNS_18Fp8KVCacheDataTypeE1ELb1ELi512EEEvPfS2_PT_PKS3_PKT0_S9_ifPKiSB_iPKfiiiSD_SD_iiiii
; %bb.0:
	s_load_dwordx2 s[0:1], s[4:5], 0x40
	s_mov_b32 s30, s7
	s_ashr_i32 s31, s7, 31
	s_lshl_b64 s[2:3], s[30:31], 2
	s_waitcnt lgkmcnt(0)
	s_add_u32 s0, s0, s2
	s_addc_u32 s1, s1, s3
	s_lshl_b32 s33, s8, 9
	s_load_dword s31, s[0:1], 0x0
	s_waitcnt lgkmcnt(0)
	s_cmp_ge_i32 s33, s31
	s_cbranch_scc1 .LBB261_184
; %bb.1:
	s_clause 0x1
	s_load_dword s9, s[4:5], 0x90
	s_load_dwordx2 s[40:41], s[4:5], 0x30
	s_mov_b32 s43, 0
	s_waitcnt lgkmcnt(0)
	s_abs_i32 s3, s9
	s_abs_i32 s0, s40
	v_cvt_f32_u32_e32 v1, s0
	s_sub_i32 s2, 0, s0
	v_rcp_iflag_f32_e32 v1, v1
	v_mul_f32_e32 v1, 0x4f7ffffe, v1
	v_cvt_u32_f32_e32 v1, v1
	v_readfirstlane_b32 s1, v1
	s_mul_i32 s2, s2, s1
	s_mul_hi_u32 s2, s1, s2
	s_add_i32 s1, s1, s2
	s_xor_b32 s2, s9, s40
	s_mul_hi_u32 s1, s3, s1
	s_ashr_i32 s2, s2, 31
	s_mul_i32 s7, s1, s0
	s_sub_i32 s3, s3, s7
	s_add_i32 s7, s1, 1
	s_sub_i32 s10, s3, s0
	s_cmp_ge_u32 s3, s0
	s_cselect_b32 s1, s7, s1
	s_cselect_b32 s3, s10, s3
	s_add_i32 s7, s1, 1
	s_cmp_ge_u32 s3, s0
	s_cselect_b32 s0, s7, s1
	s_xor_b32 s0, s0, s2
	s_sub_i32 s10, s0, s2
	s_load_dwordx2 s[0:1], s[4:5], 0x50
	s_abs_i32 s2, s10
	v_cvt_f32_u32_e32 v1, s2
	s_sub_i32 s3, 0, s2
	v_rcp_iflag_f32_e32 v1, v1
	v_mul_f32_e32 v1, 0x4f7ffffe, v1
	v_cvt_u32_f32_e32 v1, v1
	v_readfirstlane_b32 s7, v1
	s_mul_i32 s3, s3, s7
	s_mul_hi_u32 s11, s7, s3
	s_abs_i32 s3, s6
	s_add_i32 s7, s7, s11
	s_waitcnt lgkmcnt(0)
	s_cmp_eq_u64 s[0:1], 0
	s_mul_hi_u32 s12, s3, s7
	s_cbranch_scc1 .LBB261_3
; %bb.2:
	s_ashr_i32 s7, s6, 31
	s_lshl_b64 s[14:15], s[6:7], 2
	s_add_u32 s0, s0, s14
	s_addc_u32 s1, s1, s15
	s_load_dword s43, s[0:1], 0x0
.LBB261_3:
	s_load_dwordx4 s[16:19], s[4:5], 0x58
	v_and_b32_e32 v3, 3, v0
	s_ashr_i32 s0, s6, 31
	s_ashr_i32 s1, s10, 31
	s_lshl_b32 s10, s6, 5
	s_mov_b32 s7, exec_lo
	v_cmpx_gt_u32_e32 16, v0
	s_cbranch_execz .LBB261_5
; %bb.4:
	s_load_dwordx2 s[14:15], s[4:5], 0x18
	s_waitcnt lgkmcnt(0)
	s_mul_i32 s20, s16, s30
	v_lshlrev_b32_e32 v1, 2, v0
	s_ashr_i32 s21, s20, 31
	v_and_b32_e32 v2, 0x3fc, v0
	s_lshl_b64 s[20:21], s[20:21], 1
	v_lshl_add_u32 v2, v3, 4, v2
	s_add_u32 s13, s14, s20
	s_addc_u32 s16, s15, s21
	s_ashr_i32 s11, s10, 31
	s_lshl_b64 s[14:15], s[10:11], 1
	s_add_u32 s14, s13, s14
	s_addc_u32 s15, s16, s15
	global_load_dword v1, v1, s[14:15]
	s_waitcnt vmcnt(0)
	ds_write_b32 v2, v1
.LBB261_5:
	s_or_b32 exec_lo, exec_lo, s7
	s_load_dwordx4 s[20:23], s[4:5], 0x78
	s_mul_i32 s7, s12, s2
	s_xor_b32 s0, s0, s1
	s_sub_i32 s1, s3, s7
	s_add_i32 s3, s12, 1
	s_sub_i32 s7, s1, s2
	s_cmp_ge_u32 s1, s2
                                        ; implicit-def: $sgpr19
	s_cselect_b32 s3, s3, s12
	s_cselect_b32 s1, s7, s1
	s_add_i32 s7, s3, 1
	s_cmp_ge_u32 s1, s2
	s_mov_b32 s12, -1
	s_cselect_b32 s1, s7, s3
	s_load_dword s3, s[4:5], 0x88
	s_xor_b32 s1, s1, s0
	s_add_i32 s7, s31, -1
	s_sub_i32 s1, s1, s0
	s_abs_i32 s2, s7
	s_waitcnt lgkmcnt(0)
	s_abs_i32 s11, s23
	s_barrier
	v_cvt_f32_u32_e32 v1, s11
	s_sub_i32 s0, 0, s11
	buffer_gl0_inv
	v_rcp_iflag_f32_e32 v1, v1
	v_mul_f32_e32 v1, 0x4f7ffffe, v1
	v_cvt_u32_f32_e32 v1, v1
	v_readfirstlane_b32 s16, v1
	s_mul_i32 s0, s0, s16
	s_mul_hi_u32 s0, s16, s0
	s_add_i32 s16, s16, s0
	s_cmp_lt_i32 s3, 0
	s_mul_hi_u32 s0, s2, s16
	s_cbranch_scc0 .LBB261_7
; %bb.6:
	s_mul_i32 s12, s20, s40
	s_add_i32 s12, s1, s12
	s_mul_i32 s12, s12, s3
	s_sub_i32 s19, 1, s12
	s_mov_b32 s12, 0
.LBB261_7:
	s_load_dwordx2 s[34:35], s[4:5], 0x38
	s_ashr_i32 s36, s7, 31
	s_andn2_b32 vcc_lo, exec_lo, s12
	s_ashr_i32 s23, s23, 31
	s_cbranch_vccnz .LBB261_9
; %bb.8:
	s_mul_i32 s7, s9, s20
	s_add_i32 s7, s7, s6
	s_mul_i32 s3, s7, s3
	s_add_i32 s19, s3, 1
.LBB261_9:
	s_clause 0x5
	s_load_dword s3, s[4:5], 0x48
	s_load_dwordx2 s[38:39], s[4:5], 0x28
	s_load_dwordx4 s[24:27], s[4:5], 0x0
	s_load_dwordx2 s[28:29], s[4:5], 0x10
	s_load_dword s7, s[4:5], 0x98
	s_load_dwordx4 s[12:15], s[4:5], 0x68
	s_mul_i32 s20, s0, s11
	s_xor_b32 s42, s36, s23
	s_sub_i32 s2, s2, s20
	s_add_i32 s40, s0, 1
	v_lshrrev_b32_e32 v11, 5, v0
	v_mov_b32_e32 v14, 0xff7fffff
	v_mbcnt_lo_u32_b32 v13, -1, 0
	s_mul_i32 s18, s1, s18
	v_lshl_add_u32 v12, v11, 3, s33
	s_waitcnt lgkmcnt(0)
	s_mul_i32 s36, s3, s30
	s_sub_i32 s3, s2, s11
	s_ashr_i32 s37, s36, 31
	s_cmp_ge_u32 s2, s11
	s_cselect_b32 s0, s40, s0
	s_cselect_b32 s2, s3, s2
	s_add_i32 s3, s0, 1
	s_cmp_ge_u32 s2, s11
	s_cselect_b32 s0, s3, s0
	s_add_i32 s2, s31, 7
	s_lshl_b32 s44, s8, 6
	s_ashr_i32 s3, s2, 31
	v_or_b32_e32 v1, s44, v11
	s_lshr_b32 s3, s3, 29
	s_add_i32 s2, s2, s3
	s_add_i32 s3, s44, 64
	s_ashr_i32 s40, s2, 3
	s_xor_b32 s2, s0, s42
	s_min_i32 s20, s3, s40
	v_ashrrev_i32_e32 v2, 31, v1
	v_cmp_gt_i32_e64 s0, s20, v1
	s_sub_i32 s42, s2, s42
	s_and_saveexec_b32 s45, s0
	s_cbranch_execz .LBB261_85
; %bb.10:
	s_load_dwordx2 s[2:3], s[4:5], 0x20
	s_sub_i32 s4, s42, s21
	s_ashr_i32 s1, s18, 31
	v_bfe_u32 v15, v0, 2, 3
	v_cmp_eq_u32_e32 vcc_lo, 0, v3
	v_lshlrev_b32_e32 v7, 1, v3
	v_lshlrev_b32_e32 v16, 4, v3
	v_mov_b32_e32 v4, 0
	v_lshlrev_b32_e32 v3, 2, v15
	v_subrev_nc_u32_e32 v9, s31, v15
	v_lshl_add_u32 v17, v11, 3, s33
	v_mov_b32_e32 v18, 0xff7fffff
	v_mov_b32_e32 v19, 0x80
	v_lshl_or_b32 v3, v11, 5, v3
	v_add_nc_u32_e32 v23, 1, v9
	v_mov_b32_e32 v20, 0x7f
	v_mov_b32_e32 v21, 7
	;; [unrolled: 1-line block ×3, first 2 shown]
	v_add_nc_u32_e32 v24, 0x60, v3
	v_mov_b32_e32 v14, 0xff7fffff
	s_waitcnt lgkmcnt(0)
	s_add_u32 s46, s2, s18
	s_addc_u32 s47, s3, s1
	s_abs_i32 s5, s22
	v_cmp_neq_f32_e64 s1, s43, 0
	v_cvt_f32_u32_e32 v5, s5
	s_sub_i32 s2, 0, s5
	v_mov_b32_e32 v26, v1
	v_rcp_iflag_f32_e32 v8, v5
	v_lshlrev_b64 v[5:6], 2, v[1:2]
	v_mul_f32_e32 v8, 0x4f7ffffe, v8
	v_cvt_u32_f32_e32 v10, v8
	v_lshlrev_b32_e32 v8, 4, v15
	v_mul_lo_u32 v3, s2, v10
	s_lshl_b64 s[2:3], s[36:37], 2
	v_add_co_u32 v8, s46, s46, v8
	s_add_u32 s2, s34, s2
	v_add_co_ci_u32_e64 v9, null, s47, 0, s46
	s_addc_u32 s3, s35, s3
	v_mul_hi_u32 v3, v10, v3
	v_add_co_u32 v5, s2, s2, v5
	v_add_co_ci_u32_e64 v6, null, s3, v6, s2
	v_add_co_u32 v7, s2, v8, v7
	v_add_co_ci_u32_e64 v8, null, 0, v9, s2
	v_add_nc_u32_e32 v25, v10, v3
	s_mov_b32 s46, 0
	s_mov_b32 s47, s17
	s_branch .LBB261_13
.LBB261_11:                             ;   in Loop: Header=BB261_13 Depth=1
	s_or_b32 exec_lo, exec_lo, s48
.LBB261_12:                             ;   in Loop: Header=BB261_13 Depth=1
	s_or_b32 exec_lo, exec_lo, s3
	v_add_nc_u32_e32 v26, 4, v26
	v_add_co_u32 v5, s3, v5, 16
	v_add_co_ci_u32_e64 v6, null, 0, v6, s3
	v_cmp_le_i32_e64 s2, s20, v26
	v_add_nc_u32_e32 v17, 32, v17
	v_add_nc_u32_e32 v24, 0x80, v24
	s_or_b32 s46, s2, s46
	s_andn2_b32 exec_lo, exec_lo, s46
	s_cbranch_execz .LBB261_84
.LBB261_13:                             ; =>This Inner Loop Header: Depth=1
	v_sub_nc_u32_e32 v3, 0, v17
	v_max_i32_e32 v3, v17, v3
	s_waitcnt lgkmcnt(0)
	v_mul_hi_u32 v9, v3, s16
	v_mul_lo_u32 v10, v9, s11
	v_sub_nc_u32_e32 v3, v3, v10
	v_add_nc_u32_e32 v10, 1, v9
	v_subrev_nc_u32_e32 v27, s11, v3
	v_cmp_le_u32_e64 s2, s11, v3
	v_cndmask_b32_e64 v9, v9, v10, s2
	v_cndmask_b32_e64 v3, v3, v27, s2
	v_ashrrev_i32_e32 v10, 31, v17
	v_add_nc_u32_e32 v27, 1, v9
	v_cmp_le_u32_e64 s2, s11, v3
	v_xor_b32_e32 v10, s23, v10
	v_cndmask_b32_e64 v3, v9, v27, s2
	v_xor_b32_e32 v3, v3, v10
	v_sub_nc_u32_e32 v3, v3, v10
	v_add_nc_u32_e32 v9, s19, v3
	v_cmp_ge_i32_e64 s3, s4, v3
	v_sub_nc_u32_e32 v10, 0, v9
	v_max_i32_e32 v10, v9, v10
	v_ashrrev_i32_e32 v9, 31, v9
	v_mul_hi_u32 v27, v10, v25
	v_mul_lo_u32 v27, v27, s5
	v_sub_nc_u32_e32 v10, v10, v27
	v_subrev_nc_u32_e32 v27, s5, v10
	v_cmp_le_u32_e64 s2, s5, v10
	v_cndmask_b32_e64 v10, v10, v27, s2
	v_subrev_nc_u32_e32 v27, s5, v10
	v_cmp_le_u32_e64 s2, s5, v10
	v_cndmask_b32_e64 v10, v10, v27, s2
	v_xor_b32_e32 v10, v10, v9
	v_sub_nc_u32_e32 v9, v10, v9
	v_cmp_ne_u32_e64 s2, 0, v9
	s_and_b32 s2, s2, s3
	s_and_saveexec_b32 s3, s2
	s_xor_b32 s2, exec_lo, s3
	s_cbranch_execz .LBB261_17
; %bb.14:                               ;   in Loop: Header=BB261_13 Depth=1
	s_and_saveexec_b32 s3, vcc_lo
; %bb.15:                               ;   in Loop: Header=BB261_13 Depth=1
	ds_write_b32 v24, v18
; %bb.16:                               ;   in Loop: Header=BB261_13 Depth=1
	s_or_b32 exec_lo, exec_lo, s3
.LBB261_17:                             ;   in Loop: Header=BB261_13 Depth=1
	s_andn2_saveexec_b32 s3, s2
	s_cbranch_execz .LBB261_12
; %bb.18:                               ;   in Loop: Header=BB261_13 Depth=1
	global_load_dword v3, v[5:6], off
	v_mov_b32_e32 v28, 0
	global_load_dword v27, v28, s[12:13]
	s_waitcnt vmcnt(1)
	v_mad_i64_i32 v[9:10], null, v3, s47, v[7:8]
	global_load_ushort v29, v[9:10], off
	s_waitcnt vmcnt(0)
	v_and_b32_e32 v3, 0xffff, v29
	v_cmp_ne_u16_sdwa s2, v29, v4 src0_sel:BYTE_0 src1_sel:DWORD
	v_mov_b32_e32 v29, 0
	s_and_saveexec_b32 s48, s2
	s_cbranch_execz .LBB261_26
; %bb.19:                               ;   in Loop: Header=BB261_13 Depth=1
	v_cmp_ne_u16_sdwa s2, v3, v19 src0_sel:BYTE_0 src1_sel:DWORD
	v_mov_b32_e32 v29, 0x8000
	s_and_saveexec_b32 s49, s2
	s_cbranch_execz .LBB261_25
; %bb.20:                               ;   in Loop: Header=BB261_13 Depth=1
	v_and_b32_e32 v31, 0x7f, v3
	v_mov_b32_e32 v29, 0x7c01
	s_mov_b32 s50, exec_lo
	v_cmpx_ne_u32_e32 0x7f, v31
	s_cbranch_execz .LBB261_24
; %bb.21:                               ;   in Loop: Header=BB261_13 Depth=1
	v_and_b32_e32 v29, 7, v3
	v_lshrrev_b32_e32 v30, 3, v31
	s_mov_b32 s51, exec_lo
	v_cmpx_gt_u32_e32 8, v31
; %bb.22:                               ;   in Loop: Header=BB261_13 Depth=1
	v_ffbh_u32_e32 v29, v29
	v_min_u32_e32 v31, 32, v29
	v_subrev_nc_u32_e32 v29, 28, v31
	v_lshlrev_b64 v[29:30], v29, v[3:4]
	v_sub_nc_u32_e32 v30, 29, v31
	v_and_b32_e32 v29, 7, v29
; %bb.23:                               ;   in Loop: Header=BB261_13 Depth=1
	s_or_b32 exec_lo, exec_lo, s51
	v_lshlrev_b32_e32 v31, 8, v3
	v_lshl_add_u32 v30, v30, 10, 0x2000
	v_lshlrev_b32_e32 v29, 7, v29
	v_and_b32_e32 v31, 0x8000, v31
	v_and_b32_e32 v30, 0xfc00, v30
	v_or3_b32 v29, v31, v30, v29
.LBB261_24:                             ;   in Loop: Header=BB261_13 Depth=1
	s_or_b32 exec_lo, exec_lo, s50
.LBB261_25:                             ;   in Loop: Header=BB261_13 Depth=1
	s_or_b32 exec_lo, exec_lo, s49
.LBB261_26:                             ;   in Loop: Header=BB261_13 Depth=1
	s_or_b32 exec_lo, exec_lo, s48
	v_lshrrev_b16 v3, 8, v3
	s_mov_b32 s48, exec_lo
	v_cmpx_ne_u16_e32 0, v3
	s_cbranch_execz .LBB261_34
; %bb.27:                               ;   in Loop: Header=BB261_13 Depth=1
	v_bfrev_b32_e32 v28, 1
	s_mov_b32 s49, exec_lo
	v_cmpx_ne_u16_e32 0x80, v3
	s_cbranch_execz .LBB261_33
; %bb.28:                               ;   in Loop: Header=BB261_13 Depth=1
	v_and_b32_sdwa v31, v3, v20 dst_sel:DWORD dst_unused:UNUSED_PAD src0_sel:WORD_0 src1_sel:DWORD
	v_mov_b32_e32 v28, 0x7c010000
	s_mov_b32 s50, exec_lo
	v_cmpx_ne_u32_e32 0x7f, v31
	s_cbranch_execz .LBB261_32
; %bb.29:                               ;   in Loop: Header=BB261_13 Depth=1
	v_and_b32_sdwa v28, v3, v21 dst_sel:DWORD dst_unused:UNUSED_PAD src0_sel:WORD_0 src1_sel:DWORD
	v_lshrrev_b32_e32 v30, 3, v31
	s_mov_b32 s51, exec_lo
	v_cmpx_gt_u32_e32 8, v31
; %bb.30:                               ;   in Loop: Header=BB261_13 Depth=1
	v_ffbh_u32_e32 v28, v28
	v_min_u32_e32 v28, 32, v28
	v_subrev_nc_u32_e32 v30, 28, v28
	v_lshlrev_b64 v[31:32], v30, v[3:4]
	v_sub_nc_u32_e32 v30, 29, v28
	v_and_b32_e32 v28, 7, v31
; %bb.31:                               ;   in Loop: Header=BB261_13 Depth=1
	s_or_b32 exec_lo, exec_lo, s51
	v_lshlrev_b32_sdwa v3, v22, v3 dst_sel:DWORD dst_unused:UNUSED_PAD src0_sel:DWORD src1_sel:WORD_0
	v_lshl_add_u32 v30, v30, 10, 0x2000
	v_lshlrev_b32_e32 v28, 23, v28
	v_and_or_b32 v3, 0x8000, v3, v30
	v_lshl_or_b32 v28, v3, 16, v28
.LBB261_32:                             ;   in Loop: Header=BB261_13 Depth=1
	s_or_b32 exec_lo, exec_lo, s50
.LBB261_33:                             ;   in Loop: Header=BB261_13 Depth=1
	s_or_b32 exec_lo, exec_lo, s49
.LBB261_34:                             ;   in Loop: Header=BB261_13 Depth=1
	s_or_b32 exec_lo, exec_lo, s48
	global_load_ushort v31, v[9:10], off offset:8
	v_mov_b32_e32 v30, 0
	s_waitcnt vmcnt(0)
	v_and_b32_e32 v3, 0xffff, v31
	v_cmp_ne_u16_sdwa s2, v31, v4 src0_sel:BYTE_0 src1_sel:DWORD
	v_mov_b32_e32 v31, 0
	s_and_saveexec_b32 s48, s2
	s_cbranch_execz .LBB261_42
; %bb.35:                               ;   in Loop: Header=BB261_13 Depth=1
	v_cmp_ne_u16_sdwa s2, v3, v19 src0_sel:BYTE_0 src1_sel:DWORD
	v_mov_b32_e32 v31, 0x8000
	s_and_saveexec_b32 s49, s2
	s_cbranch_execz .LBB261_41
; %bb.36:                               ;   in Loop: Header=BB261_13 Depth=1
	v_and_b32_e32 v33, 0x7f, v3
	v_mov_b32_e32 v31, 0x7c01
	s_mov_b32 s50, exec_lo
	v_cmpx_ne_u32_e32 0x7f, v33
	s_cbranch_execz .LBB261_40
; %bb.37:                               ;   in Loop: Header=BB261_13 Depth=1
	v_and_b32_e32 v31, 7, v3
	v_lshrrev_b32_e32 v32, 3, v33
	s_mov_b32 s51, exec_lo
	v_cmpx_gt_u32_e32 8, v33
; %bb.38:                               ;   in Loop: Header=BB261_13 Depth=1
	v_ffbh_u32_e32 v31, v31
	v_min_u32_e32 v33, 32, v31
	v_subrev_nc_u32_e32 v31, 28, v33
	v_lshlrev_b64 v[31:32], v31, v[3:4]
	v_sub_nc_u32_e32 v32, 29, v33
	v_and_b32_e32 v31, 7, v31
; %bb.39:                               ;   in Loop: Header=BB261_13 Depth=1
	s_or_b32 exec_lo, exec_lo, s51
	v_lshlrev_b32_e32 v33, 8, v3
	v_lshl_add_u32 v32, v32, 10, 0x2000
	v_lshlrev_b32_e32 v31, 7, v31
	v_and_b32_e32 v33, 0x8000, v33
	v_and_b32_e32 v32, 0xfc00, v32
	v_or3_b32 v31, v33, v32, v31
.LBB261_40:                             ;   in Loop: Header=BB261_13 Depth=1
	s_or_b32 exec_lo, exec_lo, s50
.LBB261_41:                             ;   in Loop: Header=BB261_13 Depth=1
	s_or_b32 exec_lo, exec_lo, s49
.LBB261_42:                             ;   in Loop: Header=BB261_13 Depth=1
	s_or_b32 exec_lo, exec_lo, s48
	v_lshrrev_b16 v3, 8, v3
	s_mov_b32 s48, exec_lo
	v_cmpx_ne_u16_e32 0, v3
	s_cbranch_execz .LBB261_50
; %bb.43:                               ;   in Loop: Header=BB261_13 Depth=1
	v_bfrev_b32_e32 v30, 1
	s_mov_b32 s49, exec_lo
	v_cmpx_ne_u16_e32 0x80, v3
	s_cbranch_execz .LBB261_49
; %bb.44:                               ;   in Loop: Header=BB261_13 Depth=1
	v_and_b32_sdwa v33, v3, v20 dst_sel:DWORD dst_unused:UNUSED_PAD src0_sel:WORD_0 src1_sel:DWORD
	v_mov_b32_e32 v30, 0x7c010000
	s_mov_b32 s50, exec_lo
	v_cmpx_ne_u32_e32 0x7f, v33
	s_cbranch_execz .LBB261_48
; %bb.45:                               ;   in Loop: Header=BB261_13 Depth=1
	v_and_b32_sdwa v30, v3, v21 dst_sel:DWORD dst_unused:UNUSED_PAD src0_sel:WORD_0 src1_sel:DWORD
	v_lshrrev_b32_e32 v32, 3, v33
	s_mov_b32 s51, exec_lo
	v_cmpx_gt_u32_e32 8, v33
; %bb.46:                               ;   in Loop: Header=BB261_13 Depth=1
	v_ffbh_u32_e32 v30, v30
	v_min_u32_e32 v30, 32, v30
	v_subrev_nc_u32_e32 v32, 28, v30
	v_lshlrev_b64 v[33:34], v32, v[3:4]
	v_sub_nc_u32_e32 v32, 29, v30
	v_and_b32_e32 v30, 7, v33
; %bb.47:                               ;   in Loop: Header=BB261_13 Depth=1
	s_or_b32 exec_lo, exec_lo, s51
	v_lshlrev_b32_sdwa v3, v22, v3 dst_sel:DWORD dst_unused:UNUSED_PAD src0_sel:DWORD src1_sel:WORD_0
	v_lshl_add_u32 v32, v32, 10, 0x2000
	v_lshlrev_b32_e32 v30, 23, v30
	v_and_or_b32 v3, 0x8000, v3, v32
	v_lshl_or_b32 v30, v3, 16, v30
.LBB261_48:                             ;   in Loop: Header=BB261_13 Depth=1
	s_or_b32 exec_lo, exec_lo, s50
.LBB261_49:                             ;   in Loop: Header=BB261_13 Depth=1
	s_or_b32 exec_lo, exec_lo, s49
.LBB261_50:                             ;   in Loop: Header=BB261_13 Depth=1
	s_or_b32 exec_lo, exec_lo, s48
	global_load_ushort v33, v[9:10], off offset:128
	v_mov_b32_e32 v32, 0
	s_waitcnt vmcnt(0)
	v_and_b32_e32 v3, 0xffff, v33
	v_cmp_ne_u16_sdwa s2, v33, v4 src0_sel:BYTE_0 src1_sel:DWORD
	v_mov_b32_e32 v33, 0
	s_and_saveexec_b32 s48, s2
	s_cbranch_execz .LBB261_58
; %bb.51:                               ;   in Loop: Header=BB261_13 Depth=1
	v_cmp_ne_u16_sdwa s2, v3, v19 src0_sel:BYTE_0 src1_sel:DWORD
	v_mov_b32_e32 v33, 0x8000
	s_and_saveexec_b32 s49, s2
	s_cbranch_execz .LBB261_57
; %bb.52:                               ;   in Loop: Header=BB261_13 Depth=1
	v_and_b32_e32 v35, 0x7f, v3
	v_mov_b32_e32 v33, 0x7c01
	s_mov_b32 s50, exec_lo
	v_cmpx_ne_u32_e32 0x7f, v35
	s_cbranch_execz .LBB261_56
; %bb.53:                               ;   in Loop: Header=BB261_13 Depth=1
	v_and_b32_e32 v33, 7, v3
	v_lshrrev_b32_e32 v34, 3, v35
	s_mov_b32 s51, exec_lo
	v_cmpx_gt_u32_e32 8, v35
; %bb.54:                               ;   in Loop: Header=BB261_13 Depth=1
	v_ffbh_u32_e32 v33, v33
	v_min_u32_e32 v35, 32, v33
	v_subrev_nc_u32_e32 v33, 28, v35
	v_lshlrev_b64 v[33:34], v33, v[3:4]
	v_sub_nc_u32_e32 v34, 29, v35
	v_and_b32_e32 v33, 7, v33
; %bb.55:                               ;   in Loop: Header=BB261_13 Depth=1
	s_or_b32 exec_lo, exec_lo, s51
	v_lshlrev_b32_e32 v35, 8, v3
	v_lshl_add_u32 v34, v34, 10, 0x2000
	v_lshlrev_b32_e32 v33, 7, v33
	v_and_b32_e32 v35, 0x8000, v35
	v_and_b32_e32 v34, 0xfc00, v34
	v_or3_b32 v33, v35, v34, v33
.LBB261_56:                             ;   in Loop: Header=BB261_13 Depth=1
	s_or_b32 exec_lo, exec_lo, s50
.LBB261_57:                             ;   in Loop: Header=BB261_13 Depth=1
	s_or_b32 exec_lo, exec_lo, s49
.LBB261_58:                             ;   in Loop: Header=BB261_13 Depth=1
	s_or_b32 exec_lo, exec_lo, s48
	v_lshrrev_b16 v3, 8, v3
	s_mov_b32 s48, exec_lo
	v_cmpx_ne_u16_e32 0, v3
	s_cbranch_execz .LBB261_66
; %bb.59:                               ;   in Loop: Header=BB261_13 Depth=1
	v_bfrev_b32_e32 v32, 1
	s_mov_b32 s49, exec_lo
	v_cmpx_ne_u16_e32 0x80, v3
	s_cbranch_execz .LBB261_65
; %bb.60:                               ;   in Loop: Header=BB261_13 Depth=1
	v_and_b32_sdwa v35, v3, v20 dst_sel:DWORD dst_unused:UNUSED_PAD src0_sel:WORD_0 src1_sel:DWORD
	v_mov_b32_e32 v32, 0x7c010000
	s_mov_b32 s50, exec_lo
	v_cmpx_ne_u32_e32 0x7f, v35
	s_cbranch_execz .LBB261_64
; %bb.61:                               ;   in Loop: Header=BB261_13 Depth=1
	v_and_b32_sdwa v32, v3, v21 dst_sel:DWORD dst_unused:UNUSED_PAD src0_sel:WORD_0 src1_sel:DWORD
	v_lshrrev_b32_e32 v34, 3, v35
	s_mov_b32 s51, exec_lo
	v_cmpx_gt_u32_e32 8, v35
; %bb.62:                               ;   in Loop: Header=BB261_13 Depth=1
	v_ffbh_u32_e32 v32, v32
	v_min_u32_e32 v32, 32, v32
	v_subrev_nc_u32_e32 v34, 28, v32
	v_lshlrev_b64 v[35:36], v34, v[3:4]
	v_sub_nc_u32_e32 v34, 29, v32
	v_and_b32_e32 v32, 7, v35
; %bb.63:                               ;   in Loop: Header=BB261_13 Depth=1
	s_or_b32 exec_lo, exec_lo, s51
	v_lshlrev_b32_sdwa v3, v22, v3 dst_sel:DWORD dst_unused:UNUSED_PAD src0_sel:DWORD src1_sel:WORD_0
	v_lshl_add_u32 v34, v34, 10, 0x2000
	v_lshlrev_b32_e32 v32, 23, v32
	v_and_or_b32 v3, 0x8000, v3, v34
	v_lshl_or_b32 v32, v3, 16, v32
.LBB261_64:                             ;   in Loop: Header=BB261_13 Depth=1
	s_or_b32 exec_lo, exec_lo, s50
.LBB261_65:                             ;   in Loop: Header=BB261_13 Depth=1
	s_or_b32 exec_lo, exec_lo, s49
.LBB261_66:                             ;   in Loop: Header=BB261_13 Depth=1
	s_or_b32 exec_lo, exec_lo, s48
	global_load_ushort v10, v[9:10], off offset:136
	v_mov_b32_e32 v9, 0
	s_waitcnt vmcnt(0)
	v_and_b32_e32 v3, 0xffff, v10
	v_cmp_ne_u16_sdwa s2, v10, v4 src0_sel:BYTE_0 src1_sel:DWORD
	v_mov_b32_e32 v10, 0
	s_and_saveexec_b32 s48, s2
	s_cbranch_execz .LBB261_74
; %bb.67:                               ;   in Loop: Header=BB261_13 Depth=1
	v_cmp_ne_u16_sdwa s2, v3, v19 src0_sel:BYTE_0 src1_sel:DWORD
	v_mov_b32_e32 v10, 0x8000
	s_and_saveexec_b32 s49, s2
	s_cbranch_execz .LBB261_73
; %bb.68:                               ;   in Loop: Header=BB261_13 Depth=1
	v_and_b32_e32 v35, 0x7f, v3
	v_mov_b32_e32 v10, 0x7c01
	s_mov_b32 s50, exec_lo
	v_cmpx_ne_u32_e32 0x7f, v35
	s_cbranch_execz .LBB261_72
; %bb.69:                               ;   in Loop: Header=BB261_13 Depth=1
	v_and_b32_e32 v10, 7, v3
	v_lshrrev_b32_e32 v34, 3, v35
	s_mov_b32 s51, exec_lo
	v_cmpx_gt_u32_e32 8, v35
; %bb.70:                               ;   in Loop: Header=BB261_13 Depth=1
	v_ffbh_u32_e32 v10, v10
	v_min_u32_e32 v10, 32, v10
	v_subrev_nc_u32_e32 v34, 28, v10
	v_lshlrev_b64 v[35:36], v34, v[3:4]
	v_sub_nc_u32_e32 v34, 29, v10
	v_and_b32_e32 v10, 7, v35
; %bb.71:                               ;   in Loop: Header=BB261_13 Depth=1
	s_or_b32 exec_lo, exec_lo, s51
	v_lshlrev_b32_e32 v35, 8, v3
	v_lshl_add_u32 v34, v34, 10, 0x2000
	v_lshlrev_b32_e32 v10, 7, v10
	v_and_b32_e32 v35, 0x8000, v35
	v_and_b32_e32 v34, 0xfc00, v34
	v_or3_b32 v10, v35, v34, v10
.LBB261_72:                             ;   in Loop: Header=BB261_13 Depth=1
	s_or_b32 exec_lo, exec_lo, s50
.LBB261_73:                             ;   in Loop: Header=BB261_13 Depth=1
	s_or_b32 exec_lo, exec_lo, s49
.LBB261_74:                             ;   in Loop: Header=BB261_13 Depth=1
	s_or_b32 exec_lo, exec_lo, s48
	v_lshrrev_b16 v3, 8, v3
	s_mov_b32 s48, exec_lo
	v_cmpx_ne_u16_e32 0, v3
	s_cbranch_execz .LBB261_82
; %bb.75:                               ;   in Loop: Header=BB261_13 Depth=1
	v_bfrev_b32_e32 v9, 1
	s_mov_b32 s49, exec_lo
	v_cmpx_ne_u16_e32 0x80, v3
	s_cbranch_execz .LBB261_81
; %bb.76:                               ;   in Loop: Header=BB261_13 Depth=1
	v_and_b32_sdwa v35, v3, v20 dst_sel:DWORD dst_unused:UNUSED_PAD src0_sel:WORD_0 src1_sel:DWORD
	v_mov_b32_e32 v9, 0x7c010000
	s_mov_b32 s50, exec_lo
	v_cmpx_ne_u32_e32 0x7f, v35
	s_cbranch_execz .LBB261_80
; %bb.77:                               ;   in Loop: Header=BB261_13 Depth=1
	v_and_b32_sdwa v9, v3, v21 dst_sel:DWORD dst_unused:UNUSED_PAD src0_sel:WORD_0 src1_sel:DWORD
	v_lshrrev_b32_e32 v34, 3, v35
	s_mov_b32 s51, exec_lo
	v_cmpx_gt_u32_e32 8, v35
; %bb.78:                               ;   in Loop: Header=BB261_13 Depth=1
	v_ffbh_u32_e32 v9, v9
	v_min_u32_e32 v9, 32, v9
	v_subrev_nc_u32_e32 v34, 28, v9
	v_lshlrev_b64 v[35:36], v34, v[3:4]
	v_sub_nc_u32_e32 v34, 29, v9
	v_and_b32_e32 v9, 7, v35
; %bb.79:                               ;   in Loop: Header=BB261_13 Depth=1
	s_or_b32 exec_lo, exec_lo, s51
	v_lshlrev_b32_sdwa v3, v22, v3 dst_sel:DWORD dst_unused:UNUSED_PAD src0_sel:DWORD src1_sel:WORD_0
	v_lshl_add_u32 v34, v34, 10, 0x2000
	v_lshlrev_b32_e32 v9, 23, v9
	v_and_or_b32 v3, 0x8000, v3, v34
	v_lshl_or_b32 v9, v3, 16, v9
.LBB261_80:                             ;   in Loop: Header=BB261_13 Depth=1
	s_or_b32 exec_lo, exec_lo, s50
.LBB261_81:                             ;   in Loop: Header=BB261_13 Depth=1
	s_or_b32 exec_lo, exec_lo, s49
.LBB261_82:                             ;   in Loop: Header=BB261_13 Depth=1
	s_or_b32 exec_lo, exec_lo, s48
	ds_read_b32 v3, v16
	v_or_b32_e32 v29, v28, v29
	v_fma_mixlo_f16 v28, v27, v28, 0 op_sel:[0,1,0] op_sel_hi:[0,1,0]
	v_or_b32_e32 v31, v30, v31
	v_fma_mixlo_f16 v30, v27, v30, 0 op_sel:[0,1,0] op_sel_hi:[0,1,0]
	v_or_b32_e32 v33, v32, v33
	v_fma_mixlo_f16 v29, v27, v29, 0 op_sel_hi:[0,1,0]
	v_and_b32_e32 v36, 0xffff, v28
	v_fma_mixlo_f16 v31, v27, v31, 0 op_sel_hi:[0,1,0]
	v_and_b32_e32 v38, 0xffff, v30
	;; [unrolled: 2-line block ×3, first 2 shown]
	v_fma_mixlo_f16 v32, v27, v32, 0 op_sel:[0,1,0] op_sel_hi:[0,1,0]
	v_and_b32_e32 v37, 0xffff, v31
	v_or_b32_e32 v10, v9, v10
	v_and_b32_e32 v39, 0xffff, v33
	v_fma_mixlo_f16 v9, v27, v9, 0 op_sel:[0,1,0] op_sel_hi:[0,1,0]
	v_and_b32_e32 v40, 0xffff, v32
	v_fma_mixlo_f16 v10, v27, v10, 0 op_sel_hi:[0,1,0]
	s_waitcnt lgkmcnt(0)
	v_and_b32_e32 v34, 0xffff, v3
	v_lshrrev_b32_e32 v35, 16, v3
	;;#ASMSTART
	v_cvt_f32_f16 v3, v34;
	;;#ASMEND
	;;#ASMSTART
	v_cvt_f32_f16 v28, v35;
	;;#ASMEND
	;; [unrolled: 3-line block ×4, first 2 shown]
	ds_read_b32 v35, v16 offset:4
	s_waitcnt lgkmcnt(0)
	v_and_b32_e32 v36, 0xffff, v35
	v_lshrrev_b32_e32 v35, 16, v35
	;;#ASMSTART
	v_cvt_f32_f16 v30, v36;
	;;#ASMEND
	;;#ASMSTART
	v_cvt_f32_f16 v31, v35;
	;;#ASMEND
	;; [unrolled: 3-line block ×4, first 2 shown]
	ds_read_b32 v37, v16 offset:8
	v_mul_f32_e32 v27, v30, v35
	v_mul_f32_e32 v30, v31, v36
	v_and_b32_e32 v31, 0xffff, v9
	v_fmac_f32_e32 v27, v3, v29
	v_fmac_f32_e32 v30, v28, v34
	v_and_b32_e32 v29, 0xffff, v10
	s_waitcnt lgkmcnt(0)
	v_and_b32_e32 v38, 0xffff, v37
	v_lshrrev_b32_e32 v37, 16, v37
	;;#ASMSTART
	v_cvt_f32_f16 v32, v38;
	;;#ASMEND
	;;#ASMSTART
	v_cvt_f32_f16 v33, v37;
	;;#ASMEND
	;; [unrolled: 3-line block ×4, first 2 shown]
	ds_read_b32 v39, v16 offset:12
	v_xor_b32_e32 v40, 2, v13
	v_fmac_f32_e32 v27, v32, v37
	v_fmac_f32_e32 v30, v33, v38
	v_cmp_gt_i32_e64 s2, 32, v40
	v_cndmask_b32_e64 v9, v13, v40, s2
	s_waitcnt lgkmcnt(0)
	v_and_b32_e32 v3, 0xffff, v39
	v_lshrrev_b32_e32 v28, 16, v39
	;;#ASMSTART
	v_cvt_f32_f16 v3, v3;
	;;#ASMEND
	;;#ASMSTART
	v_cvt_f32_f16 v10, v28;
	;;#ASMEND
	;; [unrolled: 3-line block ×4, first 2 shown]
	v_fmac_f32_e32 v27, v3, v28
	v_fmac_f32_e32 v30, v10, v29
	v_lshlrev_b32_e32 v3, 2, v9
	v_xor_b32_e32 v10, 1, v13
	v_add_f32_e32 v9, v27, v30
	v_cmp_gt_i32_e64 s2, 32, v10
	ds_bpermute_b32 v3, v3, v9
	v_cndmask_b32_e64 v10, v13, v10, s2
	s_waitcnt lgkmcnt(0)
	v_add_f32_e32 v3, v9, v3
	v_lshlrev_b32_e32 v9, 2, v10
	ds_bpermute_b32 v9, v9, v3
	s_and_saveexec_b32 s48, vcc_lo
	s_cbranch_execz .LBB261_11
; %bb.83:                               ;   in Loop: Header=BB261_13 Depth=1
	v_add_nc_u32_e32 v10, v23, v17
	s_waitcnt lgkmcnt(0)
	v_add_f32_e32 v3, v3, v9
	v_cvt_f32_i32_e32 v10, v10
	v_mul_f32_e32 v10, s43, v10
	v_cndmask_b32_e64 v9, 0, v10, s1
	v_max_f32_e32 v10, v14, v14
	v_fmac_f32_e32 v9, s41, v3
	v_add_nc_u32_e32 v3, v15, v17
	v_max_f32_e32 v10, v10, v9
	v_cmp_gt_i32_e64 s2, s31, v3
	v_cndmask_b32_e64 v3, 0, v9, s2
	v_cndmask_b32_e64 v14, v14, v10, s2
	ds_write_b32 v24, v3
	s_branch .LBB261_11
.LBB261_84:
	s_or_b32 exec_lo, exec_lo, s46
.LBB261_85:
	s_or_b32 exec_lo, exec_lo, s45
	v_xor_b32_e32 v3, 16, v13
	v_xor_b32_e32 v5, 8, v13
	v_max_f32_e32 v7, v14, v14
	v_and_b32_e32 v10, 31, v0
	v_cmp_gt_i32_e32 vcc_lo, 32, v3
	v_cndmask_b32_e32 v3, v13, v3, vcc_lo
	v_cmp_gt_i32_e32 vcc_lo, 32, v5
	v_lshlrev_b32_e32 v4, 2, v3
	v_cndmask_b32_e32 v5, v13, v5, vcc_lo
	ds_bpermute_b32 v3, v4, v14
	v_lshlrev_b32_e32 v6, 2, v5
	s_waitcnt lgkmcnt(0)
	v_max_f32_e32 v3, v3, v3
	v_max_f32_e32 v3, v7, v3
	v_xor_b32_e32 v7, 4, v13
	ds_bpermute_b32 v5, v6, v3
	v_cmp_gt_i32_e32 vcc_lo, 32, v7
	v_cndmask_b32_e32 v7, v13, v7, vcc_lo
	v_cmp_eq_u32_e32 vcc_lo, 0, v10
	v_lshlrev_b32_e32 v9, 2, v7
	v_lshlrev_b32_e32 v7, 2, v11
	s_waitcnt lgkmcnt(0)
	v_max_f32_e32 v5, v5, v5
	v_max_f32_e32 v3, v3, v5
	ds_bpermute_b32 v5, v9, v3
	s_and_saveexec_b32 s1, vcc_lo
	s_cbranch_execz .LBB261_87
; %bb.86:
	s_waitcnt lgkmcnt(0)
	v_max_f32_e32 v5, v5, v5
	v_max_f32_e32 v3, v3, v3
	;; [unrolled: 1-line block ×3, first 2 shown]
	ds_write_b32 v7, v3 offset:64
.LBB261_87:
	s_or_b32 exec_lo, exec_lo, s1
	v_cmp_gt_u32_e64 s1, 4, v10
	v_mov_b32_e32 v3, 0xff7fffff
	v_lshlrev_b32_e32 v8, 2, v10
	s_waitcnt lgkmcnt(0)
	s_barrier
	buffer_gl0_inv
	s_and_saveexec_b32 s2, s1
; %bb.88:
	ds_read_b32 v3, v8 offset:64
; %bb.89:
	s_or_b32 exec_lo, exec_lo, s2
	v_xor_b32_e32 v5, 2, v13
	v_xor_b32_e32 v15, 1, v13
	v_cmp_gt_i32_e64 s2, 32, v5
	v_cndmask_b32_e64 v5, v13, v5, s2
	v_cmp_gt_i32_e64 s2, 32, v15
	v_lshlrev_b32_e32 v14, 2, v5
	v_cndmask_b32_e64 v13, v13, v15, s2
	v_mov_b32_e32 v15, 0
	s_sub_i32 s2, s20, s44
	s_lshl_b32 s2, s2, 3
	s_waitcnt lgkmcnt(0)
	ds_bpermute_b32 v5, v14, v3
	v_max_f32_e32 v3, v3, v3
	v_lshlrev_b32_e32 v13, 2, v13
	s_add_i32 s2, s2, s33
	s_min_i32 s2, s2, s31
	s_sub_i32 s4, s2, s33
	v_cmp_gt_i32_e64 s2, s4, v0
	s_waitcnt lgkmcnt(0)
	v_max_f32_e32 v5, v5, v5
	v_max_f32_e32 v3, v3, v5
	ds_bpermute_b32 v5, v13, v3
	s_waitcnt lgkmcnt(0)
	v_max_f32_e32 v5, v5, v5
	v_max_f32_e32 v3, v3, v5
	v_lshl_add_u32 v5, v0, 2, 0x60
	ds_bpermute_b32 v3, v15, v3
	s_and_saveexec_b32 s5, s2
	s_cbranch_execz .LBB261_93
; %bb.90:
	v_lshl_add_u32 v16, v0, 2, 0x60
	v_mov_b32_e32 v15, 0
	v_mov_b32_e32 v17, v0
	s_mov_b32 s12, 0
	.p2align	6
.LBB261_91:                             ; =>This Inner Loop Header: Depth=1
	ds_read_b32 v18, v16
	v_add_nc_u32_e32 v17, 0x80, v17
	v_cmp_le_i32_e64 s3, s4, v17
	s_or_b32 s12, s3, s12
	s_waitcnt lgkmcnt(0)
	v_sub_f32_e32 v18, v18, v3
	v_mul_f32_e32 v18, 0x3fb8aa3b, v18
	v_exp_f32_e32 v18, v18
	ds_write_b32 v16, v18
	v_add_f32_e32 v15, v15, v18
	v_add_nc_u32_e32 v16, 0x200, v16
	s_andn2_b32 exec_lo, exec_lo, s12
	s_cbranch_execnz .LBB261_91
; %bb.92:
	s_or_b32 exec_lo, exec_lo, s12
.LBB261_93:
	s_or_b32 exec_lo, exec_lo, s5
	ds_bpermute_b32 v4, v4, v15
	s_waitcnt lgkmcnt(0)
	v_add_f32_e32 v4, v15, v4
	ds_bpermute_b32 v6, v6, v4
	s_waitcnt lgkmcnt(0)
	v_add_f32_e32 v4, v4, v6
	;; [unrolled: 3-line block ×5, first 2 shown]
	s_and_saveexec_b32 s3, vcc_lo
; %bb.94:
	ds_write_b32 v7, v4 offset:80
; %bb.95:
	s_or_b32 exec_lo, exec_lo, s3
	s_waitcnt lgkmcnt(0)
	s_barrier
	buffer_gl0_inv
	s_and_saveexec_b32 s3, s1
; %bb.96:
	ds_read_b32 v4, v8 offset:80
; %bb.97:
	s_or_b32 exec_lo, exec_lo, s3
	s_waitcnt lgkmcnt(0)
	ds_bpermute_b32 v6, v14, v4
	s_waitcnt lgkmcnt(0)
	v_add_f32_e32 v4, v4, v6
	ds_bpermute_b32 v6, v13, v4
	s_waitcnt lgkmcnt(0)
	v_add_f32_e32 v4, v4, v6
	v_mov_b32_e32 v6, 0
	ds_bpermute_b32 v4, v6, v4
	s_and_saveexec_b32 s1, s2
	s_cbranch_execz .LBB261_100
; %bb.98:
	s_waitcnt lgkmcnt(0)
	v_add_f32_e32 v6, 0x358637bd, v4
	s_mov_b32 s2, 0
	v_div_scale_f32 v7, null, v6, v6, 1.0
	v_div_scale_f32 v13, vcc_lo, 1.0, v6, 1.0
	v_rcp_f32_e32 v8, v7
	v_fma_f32 v9, -v7, v8, 1.0
	v_fmac_f32_e32 v8, v9, v8
	v_mul_f32_e32 v9, v13, v8
	v_fma_f32 v14, -v7, v9, v13
	v_fmac_f32_e32 v9, v14, v8
	v_fma_f32 v7, -v7, v9, v13
	v_div_fmas_f32 v7, v7, v8, v9
	v_div_fixup_f32 v6, v7, v6, 1.0
	v_mov_b32_e32 v7, v0
.LBB261_99:                             ; =>This Inner Loop Header: Depth=1
	ds_read_b32 v8, v5
	v_add_nc_u32_e32 v7, 0x80, v7
	v_cmp_le_i32_e32 vcc_lo, s4, v7
	s_or_b32 s2, vcc_lo, s2
	s_waitcnt lgkmcnt(0)
	v_mul_f32_e32 v8, v6, v8
	ds_write_b32 v5, v8
	v_add_nc_u32_e32 v5, 0x200, v5
	s_andn2_b32 exec_lo, exec_lo, s2
	s_cbranch_execnz .LBB261_99
.LBB261_100:
	s_or_b32 exec_lo, exec_lo, s1
	s_mul_i32 s1, s7, s30
	s_waitcnt lgkmcnt(0)
	s_mul_i32 s2, s1, s9
	s_mov_b32 s1, exec_lo
	s_barrier
	buffer_gl0_inv
	v_cmpx_eq_u32_e32 0, v0
	s_cbranch_execz .LBB261_102
; %bb.101:
	s_ashr_i32 s3, s2, 31
	s_mul_i32 s12, s7, s6
	s_lshl_b64 s[4:5], s[2:3], 2
	v_mov_b32_e32 v5, 0
	s_add_u32 s3, s26, s4
	s_addc_u32 s6, s27, s5
	s_ashr_i32 s13, s12, 31
	s_lshl_b64 s[12:13], s[12:13], 2
	s_add_u32 s3, s3, s12
	s_addc_u32 s6, s6, s13
	s_ashr_i32 s9, s8, 31
	s_lshl_b64 s[26:27], s[8:9], 2
	s_add_u32 s44, s3, s26
	s_addc_u32 s45, s6, s27
	s_add_u32 s3, s24, s4
	s_addc_u32 s4, s25, s5
	;; [unrolled: 2-line block ×4, first 2 shown]
	global_store_dword v5, v3, s[44:45]
	global_store_dword v5, v4, s[4:5]
.LBB261_102:
	s_or_b32 exec_lo, exec_lo, s1
	v_mov_b32_e32 v13, 0
	s_and_saveexec_b32 s3, s0
	s_cbranch_execz .LBB261_174
; %bb.103:
	s_sub_i32 s6, s42, s21
	s_ashr_i32 s0, s18, 31
	s_add_u32 s4, s38, s18
	s_addc_u32 s5, s39, s0
	s_abs_i32 s9, s22
	v_lshlrev_b64 v[6:7], 2, v[1:2]
	v_cvt_f32_u32_e32 v3, s9
	s_sub_i32 s0, 0, s9
	v_lshlrev_b32_e32 v5, 3, v10
	s_add_i32 s40, s40, -1
	v_lshl_add_u32 v14, v11, 5, 0x60
	v_rcp_iflag_f32_e32 v3, v3
	v_mov_b32_e32 v15, 0x7f
	v_mov_b32_e32 v16, 0x80
	;; [unrolled: 1-line block ×5, first 2 shown]
	v_bfrev_b32_e32 v20, 1
	v_mov_b32_e32 v13, 0
	s_mov_b32 s12, s17
	v_mul_f32_e32 v4, 0x4f7ffffe, v3
	v_mov_b32_e32 v3, 0
	v_cvt_u32_f32_e32 v8, v4
	v_add_co_u32 v4, s4, s4, v5
	v_add_co_ci_u32_e64 v5, null, s5, 0, s4
	v_mul_lo_u32 v2, s0, v8
	s_lshl_b64 s[0:1], s[36:37], 2
	s_mov_b32 s4, 0
	s_add_u32 s0, s34, s0
	s_addc_u32 s1, s35, s1
	v_add_co_u32 v6, vcc_lo, s0, v6
	v_add_co_ci_u32_e64 v7, null, s1, v7, vcc_lo
	v_mul_hi_u32 v2, v8, v2
	s_mov_b32 s5, 0x1000000
	s_mov_b32 s13, s4
	v_add_nc_u32_e32 v21, v8, v2
	s_branch .LBB261_106
.LBB261_104:                            ;   in Loop: Header=BB261_106 Depth=1
	s_or_b32 exec_lo, exec_lo, s0
	v_and_b32_e32 v2, 0xffff, v26
	v_and_b32_e32 v8, 0xffff, v27
	;; [unrolled: 1-line block ×4, first 2 shown]
	v_lshl_or_b32 v2, v22, 16, v2
	v_lshl_or_b32 v8, v23, 16, v8
	v_lshl_or_b32 v9, v24, 16, v9
	v_lshl_or_b32 v22, v25, 16, v26
	;;#ASMSTART
	v_pk_mul_f16 v2, v2, v37;

	;;#ASMEND
	;;#ASMSTART
	v_pk_mul_f16 v8, v8, v34;

	;;#ASMEND
	;; [unrolled: 4-line block ×4, first 2 shown]
	;;#ASMSTART
	v_pk_add_f16 v2, v2, v8;

	;;#ASMEND
	;;#ASMSTART
	v_pk_add_f16 v2, v2, v9;

	;;#ASMEND
	;; [unrolled: 4-line block ×3, first 2 shown]
	v_and_b32_e32 v8, 0xffff, v2
	v_lshrrev_b32_e32 v9, 16, v2
	;;#ASMSTART
	v_cvt_f32_f16 v2, v8;
	;;#ASMEND
	;;#ASMSTART
	v_cvt_f32_f16 v8, v9;
	;;#ASMEND
	v_add_f32_e32 v2, v2, v8
	v_add_f32_e32 v13, v13, v2
.LBB261_105:                            ;   in Loop: Header=BB261_106 Depth=1
	s_or_b32 exec_lo, exec_lo, s17
	v_add_nc_u32_e32 v1, 4, v1
	v_add_co_u32 v6, s0, v6, 16
	v_add_co_ci_u32_e64 v7, null, 0, v7, s0
	v_cmp_le_i32_e32 vcc_lo, s20, v1
	v_add_nc_u32_e32 v12, 32, v12
	v_add_nc_u32_e32 v14, 0x80, v14
	s_or_b32 s13, vcc_lo, s13
	s_andn2_b32 exec_lo, exec_lo, s13
	s_cbranch_execz .LBB261_173
.LBB261_106:                            ; =>This Inner Loop Header: Depth=1
	v_sub_nc_u32_e32 v2, 0, v12
	v_max_i32_e32 v2, v12, v2
	v_mul_hi_u32 v8, v2, s16
	v_mul_lo_u32 v9, v8, s11
	v_sub_nc_u32_e32 v2, v2, v9
	v_add_nc_u32_e32 v9, 1, v8
	v_subrev_nc_u32_e32 v22, s11, v2
	v_cmp_le_u32_e32 vcc_lo, s11, v2
	v_cndmask_b32_e32 v8, v8, v9, vcc_lo
	v_cndmask_b32_e32 v2, v2, v22, vcc_lo
	v_ashrrev_i32_e32 v9, 31, v12
	v_add_nc_u32_e32 v22, 1, v8
	v_cmp_le_u32_e32 vcc_lo, s11, v2
	v_xor_b32_e32 v9, s23, v9
	v_cndmask_b32_e32 v2, v8, v22, vcc_lo
	v_xor_b32_e32 v2, v2, v9
	v_sub_nc_u32_e32 v2, v2, v9
	v_add_nc_u32_e32 v8, s19, v2
	v_cmp_lt_i32_e64 s0, s6, v2
	v_sub_nc_u32_e32 v9, 0, v8
	v_max_i32_e32 v9, v8, v9
	v_ashrrev_i32_e32 v8, 31, v8
	v_mul_hi_u32 v22, v9, v21
	v_mul_lo_u32 v22, v22, s9
	v_sub_nc_u32_e32 v9, v9, v22
	v_subrev_nc_u32_e32 v22, s9, v9
	v_cmp_le_u32_e32 vcc_lo, s9, v9
	v_cndmask_b32_e32 v9, v9, v22, vcc_lo
	v_subrev_nc_u32_e32 v22, s9, v9
	v_cmp_le_u32_e32 vcc_lo, s9, v9
	v_cndmask_b32_e32 v9, v9, v22, vcc_lo
	v_xor_b32_e32 v9, v9, v8
	v_sub_nc_u32_e32 v8, v9, v8
	v_cmp_eq_u32_e32 vcc_lo, 0, v8
	s_or_b32 s0, vcc_lo, s0
	s_and_saveexec_b32 s17, s0
	s_cbranch_execz .LBB261_105
; %bb.107:                              ;   in Loop: Header=BB261_106 Depth=1
	ds_read2_b64 v[22:25], v14 offset1:1
	ds_read2_b64 v[28:31], v14 offset0:2 offset1:3
	s_mov_b32 s1, 0
	s_waitcnt lgkmcnt(1)
	;;#ASMSTART
	v_cvt_f16_f32 v26, v22;

	;;#ASMEND
	;;#ASMSTART
	v_cvt_f16_f32 v22, v23;

	;;#ASMEND
	;; [unrolled: 4-line block ×4, first 2 shown]
	s_waitcnt lgkmcnt(0)
	;;#ASMSTART
	v_cvt_f16_f32 v28, v28;

	;;#ASMEND
	;;#ASMSTART
	v_cvt_f16_f32 v24, v29;

	;;#ASMEND
	;;#ASMSTART
	v_cvt_f16_f32 v29, v30;

	;;#ASMEND
	;;#ASMSTART
	v_cvt_f16_f32 v25, v31;

	;;#ASMEND
	global_load_dword v2, v[6:7], off
	s_waitcnt vmcnt(0)
	v_mad_i64_i32 v[8:9], null, v2, s12, v[4:5]
	global_load_dwordx2 v[8:9], v[8:9], off
	global_load_dword v30, v3, s[14:15]
	s_waitcnt vmcnt(1)
	v_cmp_gt_i16_sdwa s0, v8, v15 src0_sel:BYTE_0 src1_sel:DWORD
	s_and_saveexec_b32 s18, s0
	s_xor_b32 s0, exec_lo, s18
	s_cbranch_execnz .LBB261_110
; %bb.108:                              ;   in Loop: Header=BB261_106 Depth=1
	s_or_saveexec_b32 s0, s0
	v_mov_b32_e32 v31, 0x8000
	s_xor_b32 exec_lo, exec_lo, s0
	s_cbranch_execnz .LBB261_113
.LBB261_109:                            ;   in Loop: Header=BB261_106 Depth=1
	s_or_b32 exec_lo, exec_lo, s0
	s_and_saveexec_b32 s0, s1
	s_cbranch_execnz .LBB261_114
	s_branch .LBB261_117
.LBB261_110:                            ;   in Loop: Header=BB261_106 Depth=1
	v_cmp_eq_u16_sdwa s21, v8, v16 src0_sel:BYTE_0 src1_sel:DWORD
	s_mov_b32 s1, -1
	s_and_saveexec_b32 s18, s21
; %bb.111:                              ;   in Loop: Header=BB261_106 Depth=1
	s_xor_b32 s1, exec_lo, -1
; %bb.112:                              ;   in Loop: Header=BB261_106 Depth=1
	s_or_b32 exec_lo, exec_lo, s18
	s_and_b32 s1, s1, exec_lo
	s_or_saveexec_b32 s0, s0
	v_mov_b32_e32 v31, 0x8000
	s_xor_b32 exec_lo, exec_lo, s0
	s_cbranch_execz .LBB261_109
.LBB261_113:                            ;   in Loop: Header=BB261_106 Depth=1
	v_cmp_ne_u16_sdwa s18, v8, v3 src0_sel:BYTE_0 src1_sel:DWORD
	v_and_b32_sdwa v31, v17, v8 dst_sel:DWORD dst_unused:UNUSED_PAD src0_sel:DWORD src1_sel:BYTE_0
	s_andn2_b32 s1, s1, exec_lo
	s_and_b32 s18, s18, exec_lo
	s_or_b32 s1, s1, s18
	s_or_b32 exec_lo, exec_lo, s0
	s_and_saveexec_b32 s0, s1
	s_cbranch_execz .LBB261_117
.LBB261_114:                            ;   in Loop: Header=BB261_106 Depth=1
	v_and_b32_e32 v2, 0x7f, v8
	v_mov_b32_e32 v31, 0x7c01
	s_mov_b32 s1, exec_lo
	v_cmpx_ne_u32_e32 0x7f, v2
	s_cbranch_execz .LBB261_116
; %bb.115:                              ;   in Loop: Header=BB261_106 Depth=1
	v_and_b32_e32 v33, 7, v8
	v_cmp_gt_u32_e32 vcc_lo, 8, v2
	v_ffbh_u32_e32 v31, v33
	v_min_u32_e32 v34, 32, v31
	v_subrev_nc_u32_e32 v31, 28, v34
	v_sub_nc_u32_e32 v34, 29, v34
	v_lshlrev_b64 v[31:32], v31, v[8:9]
	v_lshrrev_b32_e32 v32, 3, v2
	v_and_b32_e32 v31, 7, v31
	v_cndmask_b32_e32 v2, v33, v31, vcc_lo
	v_cndmask_b32_e32 v31, v32, v34, vcc_lo
	v_lshlrev_b32_e32 v32, 8, v8
	v_lshl_add_u32 v31, v31, 10, 0x2000
	v_and_b32_e32 v31, 0xfc00, v31
	v_and_or_b32 v31, 0x8000, v32, v31
	v_lshl_or_b32 v31, v2, 7, v31
.LBB261_116:                            ;   in Loop: Header=BB261_106 Depth=1
	s_or_b32 exec_lo, exec_lo, s1
.LBB261_117:                            ;   in Loop: Header=BB261_106 Depth=1
	s_or_b32 exec_lo, exec_lo, s0
	v_lshrrev_b16 v2, 8, v8
	s_mov_b32 s1, 0
	s_mov_b32 s0, exec_lo
	v_cmpx_lt_i16_e32 0x7f, v2
	s_xor_b32 s0, exec_lo, s0
	s_cbranch_execz .LBB261_121
; %bb.118:                              ;   in Loop: Header=BB261_106 Depth=1
	s_mov_b32 s1, -1
	s_mov_b32 s18, exec_lo
	v_cmpx_eq_u16_e32 0x80, v2
; %bb.119:                              ;   in Loop: Header=BB261_106 Depth=1
	s_xor_b32 s1, exec_lo, -1
; %bb.120:                              ;   in Loop: Header=BB261_106 Depth=1
	s_or_b32 exec_lo, exec_lo, s18
	s_and_b32 s1, s1, exec_lo
.LBB261_121:                            ;   in Loop: Header=BB261_106 Depth=1
	s_or_saveexec_b32 s0, s0
	v_bfrev_b32_e32 v32, 1
	v_and_b32_e32 v33, 0xffff, v2
	s_xor_b32 exec_lo, exec_lo, s0
; %bb.122:                              ;   in Loop: Header=BB261_106 Depth=1
	v_cmp_ne_u16_e32 vcc_lo, 0, v2
	v_mov_b32_e32 v32, v33
	s_andn2_b32 s1, s1, exec_lo
	s_and_b32 s18, vcc_lo, exec_lo
	s_or_b32 s1, s1, s18
; %bb.123:                              ;   in Loop: Header=BB261_106 Depth=1
	s_or_b32 exec_lo, exec_lo, s0
	s_and_saveexec_b32 s0, s1
	s_cbranch_execz .LBB261_127
; %bb.124:                              ;   in Loop: Header=BB261_106 Depth=1
	v_and_b32_sdwa v33, v2, v15 dst_sel:DWORD dst_unused:UNUSED_PAD src0_sel:WORD_0 src1_sel:DWORD
	v_mov_b32_e32 v32, 0x7c010000
	s_mov_b32 s1, exec_lo
	v_cmpx_ne_u32_e32 0x7f, v33
	s_cbranch_execz .LBB261_126
; %bb.125:                              ;   in Loop: Header=BB261_106 Depth=1
	v_and_b32_sdwa v32, v2, v18 dst_sel:DWORD dst_unused:UNUSED_PAD src0_sel:WORD_0 src1_sel:DWORD
	v_cmp_gt_u32_e32 vcc_lo, 8, v33
	v_ffbh_u32_e32 v34, v32
	v_min_u32_e32 v36, 32, v34
	v_subrev_nc_u32_e32 v34, 28, v36
	v_sub_nc_u32_e32 v36, 29, v36
	v_lshlrev_b64 v[34:35], v34, v[2:3]
	v_lshrrev_b32_e32 v35, 3, v33
	v_lshlrev_b32_sdwa v2, v19, v2 dst_sel:DWORD dst_unused:UNUSED_PAD src0_sel:DWORD src1_sel:WORD_0
	v_cndmask_b32_e32 v33, v35, v36, vcc_lo
	v_and_b32_e32 v34, 7, v34
	v_lshl_add_u32 v33, v33, 10, 0x2000
	v_cndmask_b32_e32 v32, v32, v34, vcc_lo
	v_and_or_b32 v2, 0x8000, v2, v33
	v_lshlrev_b32_e32 v2, 16, v2
	v_lshl_or_b32 v32, v32, 23, v2
.LBB261_126:                            ;   in Loop: Header=BB261_106 Depth=1
	s_or_b32 exec_lo, exec_lo, s1
.LBB261_127:                            ;   in Loop: Header=BB261_106 Depth=1
	s_or_b32 exec_lo, exec_lo, s0
	v_lshrrev_b32_e32 v2, 16, v8
	s_mov_b32 s1, 0
	v_cmp_gt_i16_sdwa s0, v2, v15 src0_sel:BYTE_0 src1_sel:DWORD
	s_and_saveexec_b32 s18, s0
	s_xor_b32 s0, exec_lo, s18
	s_cbranch_execnz .LBB261_130
; %bb.128:                              ;   in Loop: Header=BB261_106 Depth=1
	s_or_saveexec_b32 s0, s0
	v_mov_b32_e32 v33, 0x8000
	s_xor_b32 exec_lo, exec_lo, s0
	s_cbranch_execnz .LBB261_133
.LBB261_129:                            ;   in Loop: Header=BB261_106 Depth=1
	s_or_b32 exec_lo, exec_lo, s0
	s_and_saveexec_b32 s0, s1
	s_cbranch_execnz .LBB261_134
	s_branch .LBB261_137
.LBB261_130:                            ;   in Loop: Header=BB261_106 Depth=1
	v_cmp_eq_u16_sdwa s21, v2, v16 src0_sel:BYTE_0 src1_sel:DWORD
	s_mov_b32 s1, -1
	s_and_saveexec_b32 s18, s21
; %bb.131:                              ;   in Loop: Header=BB261_106 Depth=1
	s_xor_b32 s1, exec_lo, -1
; %bb.132:                              ;   in Loop: Header=BB261_106 Depth=1
	s_or_b32 exec_lo, exec_lo, s18
	s_and_b32 s1, s1, exec_lo
	s_or_saveexec_b32 s0, s0
	v_mov_b32_e32 v33, 0x8000
	s_xor_b32 exec_lo, exec_lo, s0
	s_cbranch_execz .LBB261_129
.LBB261_133:                            ;   in Loop: Header=BB261_106 Depth=1
	v_cmp_ne_u16_sdwa s18, v2, v3 src0_sel:BYTE_0 src1_sel:DWORD
	v_and_b32_sdwa v33, v17, v2 dst_sel:DWORD dst_unused:UNUSED_PAD src0_sel:DWORD src1_sel:BYTE_0
	s_andn2_b32 s1, s1, exec_lo
	s_and_b32 s18, s18, exec_lo
	s_or_b32 s1, s1, s18
	s_or_b32 exec_lo, exec_lo, s0
	s_and_saveexec_b32 s0, s1
	s_cbranch_execz .LBB261_137
.LBB261_134:                            ;   in Loop: Header=BB261_106 Depth=1
	v_and_b32_e32 v34, 0x7f, v2
	v_mov_b32_e32 v33, 0x7c01
	s_mov_b32 s1, exec_lo
	v_cmpx_ne_u32_e32 0x7f, v34
	s_cbranch_execz .LBB261_136
; %bb.135:                              ;   in Loop: Header=BB261_106 Depth=1
	v_and_b32_e32 v33, 7, v2
	v_cmp_gt_u32_e32 vcc_lo, 8, v34
	v_ffbh_u32_e32 v35, v33
	v_min_u32_e32 v37, 32, v35
	v_subrev_nc_u32_e32 v35, 28, v37
	v_sub_nc_u32_e32 v37, 29, v37
	v_lshlrev_b64 v[35:36], v35, v[2:3]
	v_lshrrev_b32_e32 v36, 3, v34
	v_lshlrev_b32_e32 v2, 8, v2
	v_cndmask_b32_e32 v34, v36, v37, vcc_lo
	v_and_b32_e32 v35, 7, v35
	v_lshl_add_u32 v34, v34, 10, 0x2000
	v_cndmask_b32_e32 v33, v33, v35, vcc_lo
	v_and_b32_e32 v34, 0xfc00, v34
	v_and_or_b32 v2, 0x8000, v2, v34
	v_lshl_or_b32 v33, v33, 7, v2
.LBB261_136:                            ;   in Loop: Header=BB261_106 Depth=1
	s_or_b32 exec_lo, exec_lo, s1
.LBB261_137:                            ;   in Loop: Header=BB261_106 Depth=1
	s_or_b32 exec_lo, exec_lo, s0
	v_lshrrev_b32_e32 v2, 24, v8
	v_bfe_u32 v35, v8, 24, 7
	v_cmp_gt_u32_e64 s1, 0x1000000, v8
	v_cmp_eq_u32_e32 vcc_lo, 0x80, v2
	v_cmp_eq_u32_e64 s0, 0x7f, v35
	v_cndmask_b32_e32 v34, 0x7c010000, v20, vcc_lo
	s_or_b32 s0, vcc_lo, s0
	v_cndmask_b32_e64 v34, v34, 0, s1
	s_nor_b32 s1, s1, s0
	s_and_saveexec_b32 s0, s1
	s_cbranch_execz .LBB261_139
; %bb.138:                              ;   in Loop: Header=BB261_106 Depth=1
	v_and_b32_e32 v34, 7, v2
	v_cmp_gt_u32_e32 vcc_lo, 8, v35
	v_ffbh_u32_e32 v36, v34
	v_min_u32_e32 v38, 32, v36
	v_subrev_nc_u32_e32 v36, 28, v38
	v_sub_nc_u32_e32 v38, 29, v38
	v_lshlrev_b64 v[36:37], v36, v[2:3]
	v_lshrrev_b32_e32 v37, 3, v35
	v_lshlrev_b32_e32 v2, 8, v2
	v_cndmask_b32_e32 v35, v37, v38, vcc_lo
	v_and_b32_e32 v36, 7, v36
	v_lshl_add_u32 v35, v35, 10, 0x2000
	v_cndmask_b32_e32 v34, v34, v36, vcc_lo
	v_and_or_b32 v2, 0x8000, v2, v35
	v_lshlrev_b32_e32 v2, 16, v2
	v_lshl_or_b32 v34, v34, 23, v2
.LBB261_139:                            ;   in Loop: Header=BB261_106 Depth=1
	s_or_b32 exec_lo, exec_lo, s0
	v_cmp_gt_i16_sdwa s0, v9, v15 src0_sel:BYTE_0 src1_sel:DWORD
	s_mov_b32 s1, 0
	s_and_saveexec_b32 s18, s0
	s_xor_b32 s0, exec_lo, s18
	s_cbranch_execnz .LBB261_142
; %bb.140:                              ;   in Loop: Header=BB261_106 Depth=1
	s_or_saveexec_b32 s0, s0
	v_mov_b32_e32 v35, 0x8000
	s_xor_b32 exec_lo, exec_lo, s0
	s_cbranch_execnz .LBB261_145
.LBB261_141:                            ;   in Loop: Header=BB261_106 Depth=1
	s_or_b32 exec_lo, exec_lo, s0
	v_mov_b32_e32 v2, v9
	s_and_saveexec_b32 s0, s1
	s_cbranch_execnz .LBB261_146
	s_branch .LBB261_149
.LBB261_142:                            ;   in Loop: Header=BB261_106 Depth=1
	v_cmp_eq_u16_sdwa s21, v9, v16 src0_sel:BYTE_0 src1_sel:DWORD
	s_mov_b32 s1, -1
	s_and_saveexec_b32 s18, s21
; %bb.143:                              ;   in Loop: Header=BB261_106 Depth=1
	s_xor_b32 s1, exec_lo, -1
; %bb.144:                              ;   in Loop: Header=BB261_106 Depth=1
	s_or_b32 exec_lo, exec_lo, s18
	s_and_b32 s1, s1, exec_lo
	s_or_saveexec_b32 s0, s0
	v_mov_b32_e32 v35, 0x8000
	s_xor_b32 exec_lo, exec_lo, s0
	s_cbranch_execz .LBB261_141
.LBB261_145:                            ;   in Loop: Header=BB261_106 Depth=1
	v_cmp_ne_u16_sdwa s18, v9, v3 src0_sel:BYTE_0 src1_sel:DWORD
	v_and_b32_sdwa v35, v17, v9 dst_sel:DWORD dst_unused:UNUSED_PAD src0_sel:DWORD src1_sel:BYTE_0
	s_andn2_b32 s1, s1, exec_lo
	s_and_b32 s18, s18, exec_lo
	s_or_b32 s1, s1, s18
	s_or_b32 exec_lo, exec_lo, s0
	v_mov_b32_e32 v2, v9
	s_and_saveexec_b32 s0, s1
	s_cbranch_execz .LBB261_149
.LBB261_146:                            ;   in Loop: Header=BB261_106 Depth=1
	v_and_b32_e32 v36, 0x7f, v9
	v_mov_b32_e32 v35, 0x7c01
	s_mov_b32 s1, exec_lo
	v_cmpx_ne_u32_e32 0x7f, v36
	s_cbranch_execz .LBB261_148
; %bb.147:                              ;   in Loop: Header=BB261_106 Depth=1
	v_and_b32_e32 v35, 7, v9
	v_cmp_gt_u32_e32 vcc_lo, 8, v36
	v_ffbh_u32_e32 v37, v35
	v_min_u32_e32 v39, 32, v37
	v_subrev_nc_u32_e32 v37, 28, v39
	v_sub_nc_u32_e32 v39, 29, v39
	v_lshlrev_b64 v[37:38], v37, v[2:3]
	v_lshrrev_b32_e32 v38, 3, v36
	v_cndmask_b32_e32 v36, v38, v39, vcc_lo
	v_and_b32_e32 v37, 7, v37
	v_lshl_add_u32 v36, v36, 10, 0x2000
	v_cndmask_b32_e32 v35, v35, v37, vcc_lo
	v_lshlrev_b32_e32 v37, 8, v9
	v_and_b32_e32 v36, 0xfc00, v36
	v_and_or_b32 v36, 0x8000, v37, v36
	v_lshl_or_b32 v35, v35, 7, v36
.LBB261_148:                            ;   in Loop: Header=BB261_106 Depth=1
	s_or_b32 exec_lo, exec_lo, s1
.LBB261_149:                            ;   in Loop: Header=BB261_106 Depth=1
	s_or_b32 exec_lo, exec_lo, s0
	v_lshrrev_b16 v2, 8, v2
	s_mov_b32 s1, 0
	s_mov_b32 s0, exec_lo
	v_cmpx_lt_i16_e32 0x7f, v2
	s_xor_b32 s0, exec_lo, s0
	s_cbranch_execz .LBB261_153
; %bb.150:                              ;   in Loop: Header=BB261_106 Depth=1
	s_mov_b32 s1, -1
	s_mov_b32 s18, exec_lo
	v_cmpx_eq_u16_e32 0x80, v2
; %bb.151:                              ;   in Loop: Header=BB261_106 Depth=1
	s_xor_b32 s1, exec_lo, -1
; %bb.152:                              ;   in Loop: Header=BB261_106 Depth=1
	s_or_b32 exec_lo, exec_lo, s18
	s_and_b32 s1, s1, exec_lo
.LBB261_153:                            ;   in Loop: Header=BB261_106 Depth=1
	s_or_saveexec_b32 s0, s0
	v_bfrev_b32_e32 v36, 1
	v_and_b32_e32 v37, 0xffff, v2
	s_xor_b32 exec_lo, exec_lo, s0
; %bb.154:                              ;   in Loop: Header=BB261_106 Depth=1
	v_cmp_ne_u16_e32 vcc_lo, 0, v2
	v_mov_b32_e32 v36, v37
	s_andn2_b32 s1, s1, exec_lo
	s_and_b32 s18, vcc_lo, exec_lo
	s_or_b32 s1, s1, s18
; %bb.155:                              ;   in Loop: Header=BB261_106 Depth=1
	s_or_b32 exec_lo, exec_lo, s0
	s_and_saveexec_b32 s0, s1
	s_cbranch_execz .LBB261_159
; %bb.156:                              ;   in Loop: Header=BB261_106 Depth=1
	v_and_b32_sdwa v37, v2, v15 dst_sel:DWORD dst_unused:UNUSED_PAD src0_sel:WORD_0 src1_sel:DWORD
	v_mov_b32_e32 v36, 0x7c010000
	s_mov_b32 s1, exec_lo
	v_cmpx_ne_u32_e32 0x7f, v37
	s_cbranch_execz .LBB261_158
; %bb.157:                              ;   in Loop: Header=BB261_106 Depth=1
	v_and_b32_sdwa v36, v2, v18 dst_sel:DWORD dst_unused:UNUSED_PAD src0_sel:WORD_0 src1_sel:DWORD
	v_cmp_gt_u32_e32 vcc_lo, 8, v37
	v_ffbh_u32_e32 v38, v36
	v_min_u32_e32 v40, 32, v38
	v_subrev_nc_u32_e32 v38, 28, v40
	v_sub_nc_u32_e32 v40, 29, v40
	v_lshlrev_b64 v[38:39], v38, v[2:3]
	v_lshrrev_b32_e32 v39, 3, v37
	v_lshlrev_b32_sdwa v2, v19, v2 dst_sel:DWORD dst_unused:UNUSED_PAD src0_sel:DWORD src1_sel:WORD_0
	v_cndmask_b32_e32 v37, v39, v40, vcc_lo
	v_and_b32_e32 v38, 7, v38
	v_lshl_add_u32 v37, v37, 10, 0x2000
	v_cndmask_b32_e32 v36, v36, v38, vcc_lo
	v_and_or_b32 v2, 0x8000, v2, v37
	v_lshlrev_b32_e32 v2, 16, v2
	v_lshl_or_b32 v36, v36, 23, v2
.LBB261_158:                            ;   in Loop: Header=BB261_106 Depth=1
	s_or_b32 exec_lo, exec_lo, s1
.LBB261_159:                            ;   in Loop: Header=BB261_106 Depth=1
	s_or_b32 exec_lo, exec_lo, s0
	v_lshrrev_b32_e32 v2, 16, v9
	s_mov_b32 s1, 0
	v_cmp_gt_i16_sdwa s0, v2, v15 src0_sel:BYTE_0 src1_sel:DWORD
	s_and_saveexec_b32 s18, s0
	s_xor_b32 s0, exec_lo, s18
	s_cbranch_execnz .LBB261_162
; %bb.160:                              ;   in Loop: Header=BB261_106 Depth=1
	s_or_saveexec_b32 s0, s0
	v_mov_b32_e32 v37, 0x8000
	s_xor_b32 exec_lo, exec_lo, s0
	s_cbranch_execnz .LBB261_165
.LBB261_161:                            ;   in Loop: Header=BB261_106 Depth=1
	s_or_b32 exec_lo, exec_lo, s0
	s_and_saveexec_b32 s0, s1
	s_cbranch_execnz .LBB261_166
	s_branch .LBB261_169
.LBB261_162:                            ;   in Loop: Header=BB261_106 Depth=1
	v_cmp_eq_u16_sdwa s21, v2, v16 src0_sel:BYTE_0 src1_sel:DWORD
	s_mov_b32 s1, -1
	s_and_saveexec_b32 s18, s21
; %bb.163:                              ;   in Loop: Header=BB261_106 Depth=1
	s_xor_b32 s1, exec_lo, -1
; %bb.164:                              ;   in Loop: Header=BB261_106 Depth=1
	s_or_b32 exec_lo, exec_lo, s18
	s_and_b32 s1, s1, exec_lo
	s_or_saveexec_b32 s0, s0
	v_mov_b32_e32 v37, 0x8000
	s_xor_b32 exec_lo, exec_lo, s0
	s_cbranch_execz .LBB261_161
.LBB261_165:                            ;   in Loop: Header=BB261_106 Depth=1
	v_cmp_ne_u16_sdwa s18, v2, v3 src0_sel:BYTE_0 src1_sel:DWORD
	v_and_b32_sdwa v37, v17, v2 dst_sel:DWORD dst_unused:UNUSED_PAD src0_sel:DWORD src1_sel:BYTE_0
	s_andn2_b32 s1, s1, exec_lo
	s_and_b32 s18, s18, exec_lo
	s_or_b32 s1, s1, s18
	s_or_b32 exec_lo, exec_lo, s0
	s_and_saveexec_b32 s0, s1
	s_cbranch_execz .LBB261_169
.LBB261_166:                            ;   in Loop: Header=BB261_106 Depth=1
	v_and_b32_e32 v38, 0x7f, v2
	v_mov_b32_e32 v37, 0x7c01
	s_mov_b32 s1, exec_lo
	v_cmpx_ne_u32_e32 0x7f, v38
	s_cbranch_execz .LBB261_168
; %bb.167:                              ;   in Loop: Header=BB261_106 Depth=1
	v_and_b32_e32 v37, 7, v2
	v_cmp_gt_u32_e32 vcc_lo, 8, v38
	v_ffbh_u32_e32 v39, v37
	v_min_u32_e32 v41, 32, v39
	v_subrev_nc_u32_e32 v39, 28, v41
	v_sub_nc_u32_e32 v41, 29, v41
	v_lshlrev_b64 v[39:40], v39, v[2:3]
	v_lshrrev_b32_e32 v40, 3, v38
	v_lshlrev_b32_e32 v2, 8, v2
	v_cndmask_b32_e32 v38, v40, v41, vcc_lo
	v_and_b32_e32 v39, 7, v39
	v_lshl_add_u32 v38, v38, 10, 0x2000
	v_cndmask_b32_e32 v37, v37, v39, vcc_lo
	v_and_b32_e32 v38, 0xfc00, v38
	v_and_or_b32 v2, 0x8000, v2, v38
	v_lshl_or_b32 v37, v37, 7, v2
.LBB261_168:                            ;   in Loop: Header=BB261_106 Depth=1
	s_or_b32 exec_lo, exec_lo, s1
.LBB261_169:                            ;   in Loop: Header=BB261_106 Depth=1
	s_or_b32 exec_lo, exec_lo, s0
	v_lshrrev_b32_e32 v2, 24, v9
	v_bfe_u32 v38, v9, 24, 7
	v_cmp_gt_u64_e64 s1, s[4:5], v[8:9]
	v_cmp_eq_u32_e32 vcc_lo, 0x80, v2
	v_cmp_eq_u32_e64 s0, 0x7f, v38
	v_cndmask_b32_e32 v39, 0x7c010000, v20, vcc_lo
	s_or_b32 s0, vcc_lo, s0
	v_cndmask_b32_e64 v8, v39, 0, s1
	s_nor_b32 s1, s1, s0
	s_and_saveexec_b32 s0, s1
	s_cbranch_execz .LBB261_171
; %bb.170:                              ;   in Loop: Header=BB261_106 Depth=1
	v_and_b32_e32 v39, 7, v2
	v_cmp_gt_u32_e32 vcc_lo, 8, v38
	v_ffbh_u32_e32 v8, v39
	v_min_u32_e32 v40, 32, v8
	v_subrev_nc_u32_e32 v8, 28, v40
	v_sub_nc_u32_e32 v40, 29, v40
	v_lshlrev_b64 v[8:9], v8, v[2:3]
	v_lshrrev_b32_e32 v9, 3, v38
	v_lshlrev_b32_e32 v2, 8, v2
	v_cndmask_b32_e32 v9, v9, v40, vcc_lo
	v_and_b32_e32 v8, 7, v8
	v_lshl_add_u32 v9, v9, 10, 0x2000
	v_cndmask_b32_e32 v8, v39, v8, vcc_lo
	v_and_or_b32 v2, 0x8000, v2, v9
	v_lshlrev_b32_e32 v2, 16, v2
	v_lshl_or_b32 v8, v8, 23, v2
.LBB261_171:                            ;   in Loop: Header=BB261_106 Depth=1
	s_or_b32 exec_lo, exec_lo, s0
	v_or_b32_e32 v2, v34, v33
	s_waitcnt vmcnt(0)
	v_fma_mixlo_f16 v9, v30, v34, 0 op_sel:[0,1,0] op_sel_hi:[0,1,0]
	v_or_b32_e32 v34, v32, v31
	v_fma_mixlo_f16 v32, v30, v32, 0 op_sel:[0,1,0] op_sel_hi:[0,1,0]
	v_or_b32_e32 v35, v36, v35
	v_fma_mixlo_f16 v2, v30, v2, 0 op_sel_hi:[0,1,0]
	v_or_b32_e32 v37, v8, v37
	v_lshlrev_b32_e32 v31, 16, v9
	v_lshlrev_b32_e32 v33, 16, v32
	v_fma_mixlo_f16 v9, v30, v34, 0 op_sel_hi:[0,1,0]
	v_and_b32_e32 v32, 0xffff, v2
	v_fma_mixlo_f16 v2, v30, v36, 0 op_sel:[0,1,0] op_sel_hi:[0,1,0]
	v_fma_mixlo_f16 v34, v30, v35, 0 op_sel_hi:[0,1,0]
	v_fma_mixlo_f16 v35, v30, v8, 0 op_sel:[0,1,0] op_sel_hi:[0,1,0]
	v_fma_mixlo_f16 v36, v30, v37, 0 op_sel_hi:[0,1,0]
	v_and_b32_e32 v38, 0xffff, v9
	v_lshlrev_b32_e32 v8, 16, v2
	v_and_b32_e32 v30, 0xffff, v34
	v_lshlrev_b32_e32 v2, 16, v35
	v_and_b32_e32 v9, 0xffff, v36
	v_or_b32_e32 v34, v31, v32
	v_or_b32_e32 v37, v33, v38
	;; [unrolled: 1-line block ×3, first 2 shown]
	s_mov_b32 s0, exec_lo
	v_or_b32_e32 v35, v2, v9
	v_cmpx_eq_u32_e64 s40, v1
	s_cbranch_execz .LBB261_104
; %bb.172:                              ;   in Loop: Header=BB261_106 Depth=1
	v_add_nc_u32_e32 v34, 1, v12
	v_cmp_gt_i32_e32 vcc_lo, s31, v12
	v_add_nc_u32_e32 v35, 2, v12
	v_add_nc_u32_e32 v37, 3, v12
	v_cndmask_b32_e32 v36, 0, v38, vcc_lo
	v_cmp_gt_i32_e32 vcc_lo, s31, v34
	v_add_nc_u32_e32 v34, 4, v12
	v_cndmask_b32_e32 v33, 0, v33, vcc_lo
	v_cmp_gt_i32_e32 vcc_lo, s31, v35
	v_add_nc_u32_e32 v35, 5, v12
	v_cndmask_b32_e32 v32, 0, v32, vcc_lo
	v_cmp_gt_i32_e32 vcc_lo, s31, v37
	v_add_nc_u32_e32 v37, 6, v12
	v_cndmask_b32_e32 v31, 0, v31, vcc_lo
	v_cmp_gt_i32_e32 vcc_lo, s31, v34
	v_add_nc_u32_e32 v34, 7, v12
	v_cndmask_b32_e32 v30, 0, v30, vcc_lo
	v_cmp_gt_i32_e32 vcc_lo, s31, v35
	v_cndmask_b32_e32 v8, 0, v8, vcc_lo
	v_cmp_gt_i32_e32 vcc_lo, s31, v37
	v_or_b32_e32 v37, v33, v36
	v_or_b32_e32 v36, v8, v30
	v_cndmask_b32_e32 v9, 0, v9, vcc_lo
	v_cmp_gt_i32_e32 vcc_lo, s31, v34
	v_or_b32_e32 v34, v31, v32
	v_cndmask_b32_e32 v2, 0, v2, vcc_lo
	v_or_b32_e32 v35, v2, v9
	s_branch .LBB261_104
.LBB261_173:
	s_or_b32 exec_lo, exec_lo, s13
.LBB261_174:
	s_or_b32 exec_lo, exec_lo, s3
	v_and_b32_e32 v2, 0x3c0, v0
	v_lshl_add_u32 v1, v10, 2, 0x60
	s_mov_b32 s0, exec_lo
	s_waitcnt_vscnt null, 0x0
	s_barrier
	buffer_gl0_inv
	v_cmpx_eq_u32_e32 64, v2
; %bb.175:
	v_lshlrev_b32_e32 v2, 7, v11
	v_add3_u32 v2, v1, v2, 0xffffff00
	ds_write_b32 v2, v13
; %bb.176:
	s_or_b32 exec_lo, exec_lo, s0
	v_and_b32_e32 v3, 0x3e0, v0
	s_mov_b32 s0, exec_lo
	s_waitcnt lgkmcnt(0)
	s_barrier
	buffer_gl0_inv
	v_lshl_add_u32 v2, v3, 2, v1
	v_cmpx_gt_u32_e32 64, v0
	s_cbranch_execz .LBB261_178
; %bb.177:
	ds_read_b32 v4, v2
	s_waitcnt lgkmcnt(0)
	v_add_f32_e32 v13, v13, v4
.LBB261_178:
	s_or_b32 exec_lo, exec_lo, s0
	s_mov_b32 s0, exec_lo
	s_barrier
	buffer_gl0_inv
	v_cmpx_eq_u32_e32 32, v3
; %bb.179:
	ds_write_b32 v1, v13
; %bb.180:
	s_or_b32 exec_lo, exec_lo, s0
	v_cmp_gt_u32_e32 vcc_lo, 32, v0
	s_waitcnt lgkmcnt(0)
	s_barrier
	buffer_gl0_inv
	s_and_saveexec_b32 s0, vcc_lo
	s_cbranch_execz .LBB261_182
; %bb.181:
	ds_read_b32 v0, v2
	s_waitcnt lgkmcnt(0)
	v_add_f32_e32 v13, v13, v0
.LBB261_182:
	s_or_b32 exec_lo, exec_lo, s0
	s_barrier
	buffer_gl0_inv
	s_and_saveexec_b32 s0, vcc_lo
	s_cbranch_execz .LBB261_184
; %bb.183:
	s_lshl_b32 s0, s2, 5
	s_mul_i32 s2, s7, s10
	s_ashr_i32 s1, s0, 31
	v_lshlrev_b32_e32 v0, 1, v10
	s_lshl_b64 s[0:1], s[0:1], 1
	;;#ASMSTART
	v_cvt_f16_f32 v1, v13;

	;;#ASMEND
	s_add_u32 s4, s28, s0
	s_addc_u32 s5, s29, s1
	s_ashr_i32 s3, s2, 31
	s_lshl_b64 s[0:1], s[2:3], 1
	s_add_u32 s2, s4, s0
	s_addc_u32 s3, s5, s1
	s_lshl_b32 s0, s8, 5
	s_ashr_i32 s1, s0, 31
	s_lshl_b64 s[0:1], s[0:1], 1
	s_add_u32 s0, s2, s0
	s_addc_u32 s1, s3, s1
	global_store_short v0, v1, s[0:1]
.LBB261_184:
	s_endpgm
	.section	.rodata,"a",@progbits
	.p2align	6, 0x0
	.amdhsa_kernel _ZN4vllm25paged_attention_v2_kernelIthLi32ELi8ELi128ELNS_18Fp8KVCacheDataTypeE1ELb1ELi512EEEvPfS2_PT_PKS3_PKT0_S9_ifPKiSB_iPKfiiiSD_SD_iiiii
		.amdhsa_group_segment_fixed_size 96
		.amdhsa_private_segment_fixed_size 0
		.amdhsa_kernarg_size 400
		.amdhsa_user_sgpr_count 6
		.amdhsa_user_sgpr_private_segment_buffer 1
		.amdhsa_user_sgpr_dispatch_ptr 0
		.amdhsa_user_sgpr_queue_ptr 0
		.amdhsa_user_sgpr_kernarg_segment_ptr 1
		.amdhsa_user_sgpr_dispatch_id 0
		.amdhsa_user_sgpr_flat_scratch_init 0
		.amdhsa_user_sgpr_private_segment_size 0
		.amdhsa_wavefront_size32 1
		.amdhsa_uses_dynamic_stack 0
		.amdhsa_system_sgpr_private_segment_wavefront_offset 0
		.amdhsa_system_sgpr_workgroup_id_x 1
		.amdhsa_system_sgpr_workgroup_id_y 1
		.amdhsa_system_sgpr_workgroup_id_z 1
		.amdhsa_system_sgpr_workgroup_info 0
		.amdhsa_system_vgpr_workitem_id 0
		.amdhsa_next_free_vgpr 42
		.amdhsa_next_free_sgpr 52
		.amdhsa_reserve_vcc 1
		.amdhsa_reserve_flat_scratch 0
		.amdhsa_float_round_mode_32 0
		.amdhsa_float_round_mode_16_64 0
		.amdhsa_float_denorm_mode_32 3
		.amdhsa_float_denorm_mode_16_64 3
		.amdhsa_dx10_clamp 1
		.amdhsa_ieee_mode 1
		.amdhsa_fp16_overflow 0
		.amdhsa_workgroup_processor_mode 1
		.amdhsa_memory_ordered 1
		.amdhsa_forward_progress 1
		.amdhsa_shared_vgpr_count 0
		.amdhsa_exception_fp_ieee_invalid_op 0
		.amdhsa_exception_fp_denorm_src 0
		.amdhsa_exception_fp_ieee_div_zero 0
		.amdhsa_exception_fp_ieee_overflow 0
		.amdhsa_exception_fp_ieee_underflow 0
		.amdhsa_exception_fp_ieee_inexact 0
		.amdhsa_exception_int_div_zero 0
	.end_amdhsa_kernel
	.section	.text._ZN4vllm25paged_attention_v2_kernelIthLi32ELi8ELi128ELNS_18Fp8KVCacheDataTypeE1ELb1ELi512EEEvPfS2_PT_PKS3_PKT0_S9_ifPKiSB_iPKfiiiSD_SD_iiiii,"axG",@progbits,_ZN4vllm25paged_attention_v2_kernelIthLi32ELi8ELi128ELNS_18Fp8KVCacheDataTypeE1ELb1ELi512EEEvPfS2_PT_PKS3_PKT0_S9_ifPKiSB_iPKfiiiSD_SD_iiiii,comdat
.Lfunc_end261:
	.size	_ZN4vllm25paged_attention_v2_kernelIthLi32ELi8ELi128ELNS_18Fp8KVCacheDataTypeE1ELb1ELi512EEEvPfS2_PT_PKS3_PKT0_S9_ifPKiSB_iPKfiiiSD_SD_iiiii, .Lfunc_end261-_ZN4vllm25paged_attention_v2_kernelIthLi32ELi8ELi128ELNS_18Fp8KVCacheDataTypeE1ELb1ELi512EEEvPfS2_PT_PKS3_PKT0_S9_ifPKiSB_iPKfiiiSD_SD_iiiii
                                        ; -- End function
	.set _ZN4vllm25paged_attention_v2_kernelIthLi32ELi8ELi128ELNS_18Fp8KVCacheDataTypeE1ELb1ELi512EEEvPfS2_PT_PKS3_PKT0_S9_ifPKiSB_iPKfiiiSD_SD_iiiii.num_vgpr, 42
	.set _ZN4vllm25paged_attention_v2_kernelIthLi32ELi8ELi128ELNS_18Fp8KVCacheDataTypeE1ELb1ELi512EEEvPfS2_PT_PKS3_PKT0_S9_ifPKiSB_iPKfiiiSD_SD_iiiii.num_agpr, 0
	.set _ZN4vllm25paged_attention_v2_kernelIthLi32ELi8ELi128ELNS_18Fp8KVCacheDataTypeE1ELb1ELi512EEEvPfS2_PT_PKS3_PKT0_S9_ifPKiSB_iPKfiiiSD_SD_iiiii.numbered_sgpr, 52
	.set _ZN4vllm25paged_attention_v2_kernelIthLi32ELi8ELi128ELNS_18Fp8KVCacheDataTypeE1ELb1ELi512EEEvPfS2_PT_PKS3_PKT0_S9_ifPKiSB_iPKfiiiSD_SD_iiiii.num_named_barrier, 0
	.set _ZN4vllm25paged_attention_v2_kernelIthLi32ELi8ELi128ELNS_18Fp8KVCacheDataTypeE1ELb1ELi512EEEvPfS2_PT_PKS3_PKT0_S9_ifPKiSB_iPKfiiiSD_SD_iiiii.private_seg_size, 0
	.set _ZN4vllm25paged_attention_v2_kernelIthLi32ELi8ELi128ELNS_18Fp8KVCacheDataTypeE1ELb1ELi512EEEvPfS2_PT_PKS3_PKT0_S9_ifPKiSB_iPKfiiiSD_SD_iiiii.uses_vcc, 1
	.set _ZN4vllm25paged_attention_v2_kernelIthLi32ELi8ELi128ELNS_18Fp8KVCacheDataTypeE1ELb1ELi512EEEvPfS2_PT_PKS3_PKT0_S9_ifPKiSB_iPKfiiiSD_SD_iiiii.uses_flat_scratch, 0
	.set _ZN4vllm25paged_attention_v2_kernelIthLi32ELi8ELi128ELNS_18Fp8KVCacheDataTypeE1ELb1ELi512EEEvPfS2_PT_PKS3_PKT0_S9_ifPKiSB_iPKfiiiSD_SD_iiiii.has_dyn_sized_stack, 0
	.set _ZN4vllm25paged_attention_v2_kernelIthLi32ELi8ELi128ELNS_18Fp8KVCacheDataTypeE1ELb1ELi512EEEvPfS2_PT_PKS3_PKT0_S9_ifPKiSB_iPKfiiiSD_SD_iiiii.has_recursion, 0
	.set _ZN4vllm25paged_attention_v2_kernelIthLi32ELi8ELi128ELNS_18Fp8KVCacheDataTypeE1ELb1ELi512EEEvPfS2_PT_PKS3_PKT0_S9_ifPKiSB_iPKfiiiSD_SD_iiiii.has_indirect_call, 0
	.section	.AMDGPU.csdata,"",@progbits
; Kernel info:
; codeLenInByte = 8224
; TotalNumSgprs: 54
; NumVgprs: 42
; ScratchSize: 0
; MemoryBound: 0
; FloatMode: 240
; IeeeMode: 1
; LDSByteSize: 96 bytes/workgroup (compile time only)
; SGPRBlocks: 0
; VGPRBlocks: 5
; NumSGPRsForWavesPerEU: 54
; NumVGPRsForWavesPerEU: 42
; Occupancy: 16
; WaveLimiterHint : 1
; COMPUTE_PGM_RSRC2:SCRATCH_EN: 0
; COMPUTE_PGM_RSRC2:USER_SGPR: 6
; COMPUTE_PGM_RSRC2:TRAP_HANDLER: 0
; COMPUTE_PGM_RSRC2:TGID_X_EN: 1
; COMPUTE_PGM_RSRC2:TGID_Y_EN: 1
; COMPUTE_PGM_RSRC2:TGID_Z_EN: 1
; COMPUTE_PGM_RSRC2:TIDIG_COMP_CNT: 0
	.section	.text._ZN4vllm25paged_attention_v2_kernelIthLi64ELi8ELi128ELNS_18Fp8KVCacheDataTypeE1ELb1ELi512EEEvPfS2_PT_PKS3_PKT0_S9_ifPKiSB_iPKfiiiSD_SD_iiiii,"axG",@progbits,_ZN4vllm25paged_attention_v2_kernelIthLi64ELi8ELi128ELNS_18Fp8KVCacheDataTypeE1ELb1ELi512EEEvPfS2_PT_PKS3_PKT0_S9_ifPKiSB_iPKfiiiSD_SD_iiiii,comdat
	.protected	_ZN4vllm25paged_attention_v2_kernelIthLi64ELi8ELi128ELNS_18Fp8KVCacheDataTypeE1ELb1ELi512EEEvPfS2_PT_PKS3_PKT0_S9_ifPKiSB_iPKfiiiSD_SD_iiiii ; -- Begin function _ZN4vllm25paged_attention_v2_kernelIthLi64ELi8ELi128ELNS_18Fp8KVCacheDataTypeE1ELb1ELi512EEEvPfS2_PT_PKS3_PKT0_S9_ifPKiSB_iPKfiiiSD_SD_iiiii
	.globl	_ZN4vllm25paged_attention_v2_kernelIthLi64ELi8ELi128ELNS_18Fp8KVCacheDataTypeE1ELb1ELi512EEEvPfS2_PT_PKS3_PKT0_S9_ifPKiSB_iPKfiiiSD_SD_iiiii
	.p2align	8
	.type	_ZN4vllm25paged_attention_v2_kernelIthLi64ELi8ELi128ELNS_18Fp8KVCacheDataTypeE1ELb1ELi512EEEvPfS2_PT_PKS3_PKT0_S9_ifPKiSB_iPKfiiiSD_SD_iiiii,@function
_ZN4vllm25paged_attention_v2_kernelIthLi64ELi8ELi128ELNS_18Fp8KVCacheDataTypeE1ELb1ELi512EEEvPfS2_PT_PKS3_PKT0_S9_ifPKiSB_iPKfiiiSD_SD_iiiii: ; @_ZN4vllm25paged_attention_v2_kernelIthLi64ELi8ELi128ELNS_18Fp8KVCacheDataTypeE1ELb1ELi512EEEvPfS2_PT_PKS3_PKT0_S9_ifPKiSB_iPKfiiiSD_SD_iiiii
; %bb.0:
	s_load_dwordx2 s[0:1], s[4:5], 0x40
	s_mov_b32 s30, s7
	s_ashr_i32 s31, s7, 31
	s_lshl_b64 s[2:3], s[30:31], 2
	s_waitcnt lgkmcnt(0)
	s_add_u32 s0, s0, s2
	s_addc_u32 s1, s1, s3
	s_lshl_b32 s42, s8, 9
	s_load_dword s31, s[0:1], 0x0
	s_waitcnt lgkmcnt(0)
	s_cmp_ge_i32 s42, s31
	s_cbranch_scc1 .LBB262_314
; %bb.1:
	s_clause 0x1
	s_load_dword s9, s[4:5], 0x90
	s_load_dwordx2 s[40:41], s[4:5], 0x30
	s_mov_b32 s44, 0
	s_waitcnt lgkmcnt(0)
	s_abs_i32 s3, s9
	s_abs_i32 s0, s40
	v_cvt_f32_u32_e32 v1, s0
	s_sub_i32 s2, 0, s0
	v_rcp_iflag_f32_e32 v1, v1
	v_mul_f32_e32 v1, 0x4f7ffffe, v1
	v_cvt_u32_f32_e32 v1, v1
	v_readfirstlane_b32 s1, v1
	s_mul_i32 s2, s2, s1
	s_mul_hi_u32 s2, s1, s2
	s_add_i32 s1, s1, s2
	s_xor_b32 s2, s9, s40
	s_mul_hi_u32 s1, s3, s1
	s_ashr_i32 s2, s2, 31
	s_mul_i32 s7, s1, s0
	s_sub_i32 s3, s3, s7
	s_add_i32 s7, s1, 1
	s_sub_i32 s10, s3, s0
	s_cmp_ge_u32 s3, s0
	s_cselect_b32 s1, s7, s1
	s_cselect_b32 s3, s10, s3
	s_add_i32 s7, s1, 1
	s_cmp_ge_u32 s3, s0
	s_cselect_b32 s0, s7, s1
	s_xor_b32 s0, s0, s2
	s_sub_i32 s10, s0, s2
	s_load_dwordx2 s[0:1], s[4:5], 0x50
	s_abs_i32 s2, s10
	v_cvt_f32_u32_e32 v1, s2
	s_sub_i32 s3, 0, s2
	v_rcp_iflag_f32_e32 v1, v1
	v_mul_f32_e32 v1, 0x4f7ffffe, v1
	v_cvt_u32_f32_e32 v1, v1
	v_readfirstlane_b32 s7, v1
	s_mul_i32 s3, s3, s7
	s_mul_hi_u32 s11, s7, s3
	s_abs_i32 s3, s6
	s_add_i32 s7, s7, s11
	s_waitcnt lgkmcnt(0)
	s_cmp_eq_u64 s[0:1], 0
	s_mul_hi_u32 s12, s3, s7
	s_cbranch_scc1 .LBB262_3
; %bb.2:
	s_ashr_i32 s7, s6, 31
	s_lshl_b64 s[14:15], s[6:7], 2
	s_add_u32 s0, s0, s14
	s_addc_u32 s1, s1, s15
	s_load_dword s44, s[0:1], 0x0
.LBB262_3:
	s_load_dwordx4 s[16:19], s[4:5], 0x58
	v_and_b32_e32 v3, 3, v0
	v_cmp_gt_u32_e64 s0, 32, v0
	s_ashr_i32 s1, s6, 31
	s_ashr_i32 s7, s10, 31
	s_lshl_b32 s10, s6, 6
	s_and_saveexec_b32 s13, s0
	s_cbranch_execz .LBB262_5
; %bb.4:
	s_load_dwordx2 s[14:15], s[4:5], 0x18
	s_waitcnt lgkmcnt(0)
	s_mul_i32 s20, s16, s30
	v_lshlrev_b32_e32 v1, 2, v0
	s_ashr_i32 s21, s20, 31
	v_and_b32_e32 v2, 0x3fc, v0
	s_lshl_b64 s[20:21], s[20:21], 1
	v_lshl_add_u32 v2, v3, 5, v2
	s_add_u32 s16, s14, s20
	s_addc_u32 s19, s15, s21
	s_ashr_i32 s11, s10, 31
	s_lshl_b64 s[14:15], s[10:11], 1
	s_add_u32 s14, s16, s14
	s_addc_u32 s15, s19, s15
	global_load_dword v1, v1, s[14:15]
	s_waitcnt vmcnt(0)
	ds_write_b32 v2, v1
.LBB262_5:
	s_or_b32 exec_lo, exec_lo, s13
	s_load_dwordx4 s[20:23], s[4:5], 0x78
	s_mul_i32 s11, s12, s2
	s_xor_b32 s1, s1, s7
	s_sub_i32 s3, s3, s11
	s_add_i32 s7, s12, 1
	s_sub_i32 s11, s3, s2
	s_cmp_ge_u32 s3, s2
	s_mov_b32 s13, -1
	s_cselect_b32 s7, s7, s12
	s_cselect_b32 s3, s11, s3
	s_add_i32 s11, s7, 1
	s_cmp_ge_u32 s3, s2
                                        ; implicit-def: $sgpr33
	s_cselect_b32 s2, s11, s7
	s_load_dword s7, s[4:5], 0x88
	s_xor_b32 s2, s2, s1
	s_add_i32 s12, s31, -1
	s_sub_i32 s2, s2, s1
	s_abs_i32 s3, s12
	s_waitcnt lgkmcnt(0)
	s_abs_i32 s11, s23
	s_barrier
	v_cvt_f32_u32_e32 v1, s11
	s_sub_i32 s1, 0, s11
	buffer_gl0_inv
	v_rcp_iflag_f32_e32 v1, v1
	v_mul_f32_e32 v1, 0x4f7ffffe, v1
	v_cvt_u32_f32_e32 v1, v1
	v_readfirstlane_b32 s19, v1
	s_mul_i32 s1, s1, s19
	s_mul_hi_u32 s1, s19, s1
	s_add_i32 s19, s19, s1
	s_cmp_lt_i32 s7, 0
	s_mul_hi_u32 s1, s3, s19
	s_cbranch_scc0 .LBB262_7
; %bb.6:
	s_mul_i32 s13, s20, s40
	s_add_i32 s13, s2, s13
	s_mul_i32 s13, s13, s7
	s_sub_i32 s33, 1, s13
	s_mov_b32 s13, 0
.LBB262_7:
	s_load_dwordx2 s[34:35], s[4:5], 0x38
	s_ashr_i32 s16, s12, 31
	s_andn2_b32 vcc_lo, exec_lo, s13
	s_ashr_i32 s23, s23, 31
	s_cbranch_vccnz .LBB262_9
; %bb.8:
	s_mul_i32 s12, s9, s20
	s_add_i32 s12, s12, s6
	s_mul_i32 s7, s12, s7
	s_add_i32 s33, s7, 1
.LBB262_9:
	s_clause 0x5
	s_load_dword s20, s[4:5], 0x48
	s_load_dwordx2 s[38:39], s[4:5], 0x28
	s_load_dwordx4 s[24:27], s[4:5], 0x0
	s_load_dwordx2 s[28:29], s[4:5], 0x10
	s_load_dword s7, s[4:5], 0x98
	s_load_dwordx4 s[12:15], s[4:5], 0x68
	s_xor_b32 s43, s16, s23
	s_mul_i32 s16, s1, s11
	s_add_i32 s40, s1, 1
	s_sub_i32 s3, s3, s16
	v_lshrrev_b32_e32 v12, 5, v0
	s_sub_i32 s16, s3, s11
	v_mov_b32_e32 v14, 0xff7fffff
	v_mbcnt_lo_u32_b32 v11, -1, 0
	s_mul_i32 s18, s2, s18
	v_lshl_add_u32 v13, v12, 3, s42
	s_waitcnt lgkmcnt(0)
	s_mul_i32 s36, s20, s30
	s_ashr_i32 s37, s36, 31
	s_cmp_ge_u32 s3, s11
	s_cselect_b32 s1, s40, s1
	s_cselect_b32 s3, s16, s3
	s_add_i32 s16, s1, 1
	s_cmp_ge_u32 s3, s11
	s_cselect_b32 s1, s16, s1
	s_add_i32 s3, s31, 7
	s_lshl_b32 s16, s8, 6
	s_ashr_i32 s20, s3, 31
	v_or_b32_e32 v1, s16, v12
	s_lshr_b32 s20, s20, 29
	s_add_i32 s3, s3, s20
	s_add_i32 s20, s16, 64
	s_ashr_i32 s40, s3, 3
	s_xor_b32 s3, s1, s43
	s_min_i32 s20, s20, s40
	v_ashrrev_i32_e32 v2, 31, v1
	v_cmp_gt_i32_e64 s1, s20, v1
	s_sub_i32 s43, s3, s43
	s_and_saveexec_b32 s45, s1
	s_cbranch_execz .LBB262_149
; %bb.10:
	s_load_dwordx2 s[2:3], s[4:5], 0x20
	s_sub_i32 s5, s43, s21
	s_ashr_i32 s4, s18, 31
	v_bfe_u32 v15, v0, 2, 3
	v_cmp_eq_u32_e32 vcc_lo, 0, v3
	v_lshlrev_b32_e32 v7, 1, v3
	v_lshlrev_b32_e32 v16, 5, v3
	v_mov_b32_e32 v4, 0
	v_lshlrev_b32_e32 v3, 2, v15
	v_subrev_nc_u32_e32 v9, s31, v15
	v_lshl_add_u32 v17, v12, 3, s42
	v_mov_b32_e32 v18, 0xff7fffff
	v_mov_b32_e32 v19, 0x80
	v_lshl_or_b32 v3, v12, 5, v3
	v_add_nc_u32_e32 v23, 1, v9
	v_mov_b32_e32 v20, 0x7f
	v_mov_b32_e32 v21, 7
	;; [unrolled: 1-line block ×3, first 2 shown]
	v_add_nc_u32_e32 v24, 0xa0, v3
	v_mov_b32_e32 v14, 0xff7fffff
	s_waitcnt lgkmcnt(0)
	s_add_u32 s47, s2, s18
	s_addc_u32 s3, s3, s4
	s_abs_i32 s46, s22
	s_lshl_b64 s[48:49], s[36:37], 2
	v_cvt_f32_u32_e32 v5, s46
	s_sub_i32 s4, 0, s46
	v_cmp_neq_f32_e64 s2, s44, 0
	v_mov_b32_e32 v26, v1
	v_rcp_iflag_f32_e32 v8, v5
	v_lshlrev_b64 v[5:6], 2, v[1:2]
	v_mul_f32_e32 v8, 0x4f7ffffe, v8
	v_cvt_u32_f32_e32 v10, v8
	v_lshlrev_b32_e32 v8, 4, v15
	v_mul_lo_u32 v3, s4, v10
	v_add_co_u32 v8, s4, s47, v8
	v_add_co_ci_u32_e64 v9, null, s3, 0, s4
	s_add_u32 s3, s34, s48
	s_addc_u32 s4, s35, s49
	v_add_co_u32 v5, s3, s3, v5
	v_mul_hi_u32 v3, v10, v3
	v_add_co_ci_u32_e64 v6, null, s4, v6, s3
	v_add_co_u32 v7, s3, v8, v7
	v_add_co_ci_u32_e64 v8, null, 0, v9, s3
	s_mov_b32 s47, 0
	v_add_nc_u32_e32 v25, v10, v3
	s_mov_b32 s48, s17
	s_branch .LBB262_13
.LBB262_11:                             ;   in Loop: Header=BB262_13 Depth=1
	s_or_b32 exec_lo, exec_lo, s49
.LBB262_12:                             ;   in Loop: Header=BB262_13 Depth=1
	s_or_b32 exec_lo, exec_lo, s4
	v_add_nc_u32_e32 v26, 4, v26
	v_add_co_u32 v5, s4, v5, 16
	v_add_co_ci_u32_e64 v6, null, 0, v6, s4
	v_cmp_le_i32_e64 s3, s20, v26
	v_add_nc_u32_e32 v17, 32, v17
	v_add_nc_u32_e32 v24, 0x80, v24
	s_or_b32 s47, s3, s47
	s_andn2_b32 exec_lo, exec_lo, s47
	s_cbranch_execz .LBB262_148
.LBB262_13:                             ; =>This Inner Loop Header: Depth=1
	v_sub_nc_u32_e32 v3, 0, v17
	v_max_i32_e32 v3, v17, v3
	s_waitcnt lgkmcnt(0)
	v_mul_hi_u32 v9, v3, s19
	v_mul_lo_u32 v10, v9, s11
	v_sub_nc_u32_e32 v3, v3, v10
	v_add_nc_u32_e32 v10, 1, v9
	v_subrev_nc_u32_e32 v27, s11, v3
	v_cmp_le_u32_e64 s3, s11, v3
	v_cndmask_b32_e64 v9, v9, v10, s3
	v_cndmask_b32_e64 v3, v3, v27, s3
	v_ashrrev_i32_e32 v10, 31, v17
	v_add_nc_u32_e32 v27, 1, v9
	v_cmp_le_u32_e64 s3, s11, v3
	v_xor_b32_e32 v10, s23, v10
	v_cndmask_b32_e64 v3, v9, v27, s3
	v_xor_b32_e32 v3, v3, v10
	v_sub_nc_u32_e32 v3, v3, v10
	v_add_nc_u32_e32 v9, s33, v3
	v_cmp_ge_i32_e64 s4, s5, v3
	v_sub_nc_u32_e32 v10, 0, v9
	v_max_i32_e32 v10, v9, v10
	v_ashrrev_i32_e32 v9, 31, v9
	v_mul_hi_u32 v27, v10, v25
	v_mul_lo_u32 v27, v27, s46
	v_sub_nc_u32_e32 v10, v10, v27
	v_subrev_nc_u32_e32 v27, s46, v10
	v_cmp_le_u32_e64 s3, s46, v10
	v_cndmask_b32_e64 v10, v10, v27, s3
	v_subrev_nc_u32_e32 v27, s46, v10
	v_cmp_le_u32_e64 s3, s46, v10
	v_cndmask_b32_e64 v10, v10, v27, s3
	v_xor_b32_e32 v10, v10, v9
	v_sub_nc_u32_e32 v9, v10, v9
	v_cmp_ne_u32_e64 s3, 0, v9
	s_and_b32 s3, s3, s4
	s_and_saveexec_b32 s4, s3
	s_xor_b32 s3, exec_lo, s4
	s_cbranch_execz .LBB262_17
; %bb.14:                               ;   in Loop: Header=BB262_13 Depth=1
	s_and_saveexec_b32 s4, vcc_lo
; %bb.15:                               ;   in Loop: Header=BB262_13 Depth=1
	ds_write_b32 v24, v18
; %bb.16:                               ;   in Loop: Header=BB262_13 Depth=1
	s_or_b32 exec_lo, exec_lo, s4
.LBB262_17:                             ;   in Loop: Header=BB262_13 Depth=1
	s_andn2_saveexec_b32 s4, s3
	s_cbranch_execz .LBB262_12
; %bb.18:                               ;   in Loop: Header=BB262_13 Depth=1
	global_load_dword v3, v[5:6], off
	v_mov_b32_e32 v28, 0
	global_load_dword v27, v28, s[12:13]
	s_waitcnt vmcnt(1)
	v_mad_i64_i32 v[9:10], null, v3, s48, v[7:8]
	global_load_ushort v29, v[9:10], off
	s_waitcnt vmcnt(0)
	v_and_b32_e32 v3, 0xffff, v29
	v_cmp_ne_u16_sdwa s3, v29, v4 src0_sel:BYTE_0 src1_sel:DWORD
	v_mov_b32_e32 v29, 0
	s_and_saveexec_b32 s49, s3
	s_cbranch_execz .LBB262_26
; %bb.19:                               ;   in Loop: Header=BB262_13 Depth=1
	v_cmp_ne_u16_sdwa s3, v3, v19 src0_sel:BYTE_0 src1_sel:DWORD
	v_mov_b32_e32 v29, 0x8000
	s_and_saveexec_b32 s50, s3
	s_cbranch_execz .LBB262_25
; %bb.20:                               ;   in Loop: Header=BB262_13 Depth=1
	v_and_b32_e32 v31, 0x7f, v3
	v_mov_b32_e32 v29, 0x7c01
	s_mov_b32 s51, exec_lo
	v_cmpx_ne_u32_e32 0x7f, v31
	s_cbranch_execz .LBB262_24
; %bb.21:                               ;   in Loop: Header=BB262_13 Depth=1
	v_and_b32_e32 v29, 7, v3
	v_lshrrev_b32_e32 v30, 3, v31
	s_mov_b32 s52, exec_lo
	v_cmpx_gt_u32_e32 8, v31
; %bb.22:                               ;   in Loop: Header=BB262_13 Depth=1
	v_ffbh_u32_e32 v29, v29
	v_min_u32_e32 v31, 32, v29
	v_subrev_nc_u32_e32 v29, 28, v31
	v_lshlrev_b64 v[29:30], v29, v[3:4]
	v_sub_nc_u32_e32 v30, 29, v31
	v_and_b32_e32 v29, 7, v29
; %bb.23:                               ;   in Loop: Header=BB262_13 Depth=1
	s_or_b32 exec_lo, exec_lo, s52
	v_lshlrev_b32_e32 v31, 8, v3
	v_lshl_add_u32 v30, v30, 10, 0x2000
	v_lshlrev_b32_e32 v29, 7, v29
	v_and_b32_e32 v31, 0x8000, v31
	v_and_b32_e32 v30, 0xfc00, v30
	v_or3_b32 v29, v31, v30, v29
.LBB262_24:                             ;   in Loop: Header=BB262_13 Depth=1
	s_or_b32 exec_lo, exec_lo, s51
.LBB262_25:                             ;   in Loop: Header=BB262_13 Depth=1
	s_or_b32 exec_lo, exec_lo, s50
.LBB262_26:                             ;   in Loop: Header=BB262_13 Depth=1
	s_or_b32 exec_lo, exec_lo, s49
	v_lshrrev_b16 v3, 8, v3
	s_mov_b32 s49, exec_lo
	v_cmpx_ne_u16_e32 0, v3
	s_cbranch_execz .LBB262_34
; %bb.27:                               ;   in Loop: Header=BB262_13 Depth=1
	v_bfrev_b32_e32 v28, 1
	s_mov_b32 s50, exec_lo
	v_cmpx_ne_u16_e32 0x80, v3
	s_cbranch_execz .LBB262_33
; %bb.28:                               ;   in Loop: Header=BB262_13 Depth=1
	v_and_b32_sdwa v31, v3, v20 dst_sel:DWORD dst_unused:UNUSED_PAD src0_sel:WORD_0 src1_sel:DWORD
	v_mov_b32_e32 v28, 0x7c010000
	s_mov_b32 s51, exec_lo
	v_cmpx_ne_u32_e32 0x7f, v31
	s_cbranch_execz .LBB262_32
; %bb.29:                               ;   in Loop: Header=BB262_13 Depth=1
	v_and_b32_sdwa v28, v3, v21 dst_sel:DWORD dst_unused:UNUSED_PAD src0_sel:WORD_0 src1_sel:DWORD
	v_lshrrev_b32_e32 v30, 3, v31
	s_mov_b32 s52, exec_lo
	v_cmpx_gt_u32_e32 8, v31
; %bb.30:                               ;   in Loop: Header=BB262_13 Depth=1
	v_ffbh_u32_e32 v28, v28
	v_min_u32_e32 v28, 32, v28
	v_subrev_nc_u32_e32 v30, 28, v28
	v_lshlrev_b64 v[31:32], v30, v[3:4]
	v_sub_nc_u32_e32 v30, 29, v28
	v_and_b32_e32 v28, 7, v31
; %bb.31:                               ;   in Loop: Header=BB262_13 Depth=1
	s_or_b32 exec_lo, exec_lo, s52
	v_lshlrev_b32_sdwa v3, v22, v3 dst_sel:DWORD dst_unused:UNUSED_PAD src0_sel:DWORD src1_sel:WORD_0
	v_lshl_add_u32 v30, v30, 10, 0x2000
	v_lshlrev_b32_e32 v28, 23, v28
	v_and_or_b32 v3, 0x8000, v3, v30
	v_lshl_or_b32 v28, v3, 16, v28
.LBB262_32:                             ;   in Loop: Header=BB262_13 Depth=1
	s_or_b32 exec_lo, exec_lo, s51
.LBB262_33:                             ;   in Loop: Header=BB262_13 Depth=1
	s_or_b32 exec_lo, exec_lo, s50
.LBB262_34:                             ;   in Loop: Header=BB262_13 Depth=1
	s_or_b32 exec_lo, exec_lo, s49
	global_load_ushort v31, v[9:10], off offset:8
	v_mov_b32_e32 v30, 0
	s_waitcnt vmcnt(0)
	v_and_b32_e32 v3, 0xffff, v31
	v_cmp_ne_u16_sdwa s3, v31, v4 src0_sel:BYTE_0 src1_sel:DWORD
	v_mov_b32_e32 v31, 0
	s_and_saveexec_b32 s49, s3
	s_cbranch_execz .LBB262_42
; %bb.35:                               ;   in Loop: Header=BB262_13 Depth=1
	v_cmp_ne_u16_sdwa s3, v3, v19 src0_sel:BYTE_0 src1_sel:DWORD
	v_mov_b32_e32 v31, 0x8000
	s_and_saveexec_b32 s50, s3
	s_cbranch_execz .LBB262_41
; %bb.36:                               ;   in Loop: Header=BB262_13 Depth=1
	v_and_b32_e32 v33, 0x7f, v3
	v_mov_b32_e32 v31, 0x7c01
	s_mov_b32 s51, exec_lo
	v_cmpx_ne_u32_e32 0x7f, v33
	s_cbranch_execz .LBB262_40
; %bb.37:                               ;   in Loop: Header=BB262_13 Depth=1
	v_and_b32_e32 v31, 7, v3
	v_lshrrev_b32_e32 v32, 3, v33
	s_mov_b32 s52, exec_lo
	v_cmpx_gt_u32_e32 8, v33
; %bb.38:                               ;   in Loop: Header=BB262_13 Depth=1
	v_ffbh_u32_e32 v31, v31
	v_min_u32_e32 v33, 32, v31
	v_subrev_nc_u32_e32 v31, 28, v33
	v_lshlrev_b64 v[31:32], v31, v[3:4]
	v_sub_nc_u32_e32 v32, 29, v33
	v_and_b32_e32 v31, 7, v31
; %bb.39:                               ;   in Loop: Header=BB262_13 Depth=1
	s_or_b32 exec_lo, exec_lo, s52
	v_lshlrev_b32_e32 v33, 8, v3
	v_lshl_add_u32 v32, v32, 10, 0x2000
	v_lshlrev_b32_e32 v31, 7, v31
	v_and_b32_e32 v33, 0x8000, v33
	v_and_b32_e32 v32, 0xfc00, v32
	v_or3_b32 v31, v33, v32, v31
.LBB262_40:                             ;   in Loop: Header=BB262_13 Depth=1
	s_or_b32 exec_lo, exec_lo, s51
.LBB262_41:                             ;   in Loop: Header=BB262_13 Depth=1
	s_or_b32 exec_lo, exec_lo, s50
.LBB262_42:                             ;   in Loop: Header=BB262_13 Depth=1
	s_or_b32 exec_lo, exec_lo, s49
	v_lshrrev_b16 v3, 8, v3
	s_mov_b32 s49, exec_lo
	v_cmpx_ne_u16_e32 0, v3
	s_cbranch_execz .LBB262_50
; %bb.43:                               ;   in Loop: Header=BB262_13 Depth=1
	v_bfrev_b32_e32 v30, 1
	s_mov_b32 s50, exec_lo
	v_cmpx_ne_u16_e32 0x80, v3
	s_cbranch_execz .LBB262_49
; %bb.44:                               ;   in Loop: Header=BB262_13 Depth=1
	v_and_b32_sdwa v33, v3, v20 dst_sel:DWORD dst_unused:UNUSED_PAD src0_sel:WORD_0 src1_sel:DWORD
	v_mov_b32_e32 v30, 0x7c010000
	s_mov_b32 s51, exec_lo
	v_cmpx_ne_u32_e32 0x7f, v33
	s_cbranch_execz .LBB262_48
; %bb.45:                               ;   in Loop: Header=BB262_13 Depth=1
	v_and_b32_sdwa v30, v3, v21 dst_sel:DWORD dst_unused:UNUSED_PAD src0_sel:WORD_0 src1_sel:DWORD
	v_lshrrev_b32_e32 v32, 3, v33
	s_mov_b32 s52, exec_lo
	v_cmpx_gt_u32_e32 8, v33
; %bb.46:                               ;   in Loop: Header=BB262_13 Depth=1
	v_ffbh_u32_e32 v30, v30
	v_min_u32_e32 v30, 32, v30
	v_subrev_nc_u32_e32 v32, 28, v30
	v_lshlrev_b64 v[33:34], v32, v[3:4]
	v_sub_nc_u32_e32 v32, 29, v30
	v_and_b32_e32 v30, 7, v33
; %bb.47:                               ;   in Loop: Header=BB262_13 Depth=1
	s_or_b32 exec_lo, exec_lo, s52
	v_lshlrev_b32_sdwa v3, v22, v3 dst_sel:DWORD dst_unused:UNUSED_PAD src0_sel:DWORD src1_sel:WORD_0
	v_lshl_add_u32 v32, v32, 10, 0x2000
	v_lshlrev_b32_e32 v30, 23, v30
	v_and_or_b32 v3, 0x8000, v3, v32
	v_lshl_or_b32 v30, v3, 16, v30
.LBB262_48:                             ;   in Loop: Header=BB262_13 Depth=1
	s_or_b32 exec_lo, exec_lo, s51
.LBB262_49:                             ;   in Loop: Header=BB262_13 Depth=1
	s_or_b32 exec_lo, exec_lo, s50
.LBB262_50:                             ;   in Loop: Header=BB262_13 Depth=1
	s_or_b32 exec_lo, exec_lo, s49
	global_load_ushort v33, v[9:10], off offset:128
	v_mov_b32_e32 v32, 0
	s_waitcnt vmcnt(0)
	v_and_b32_e32 v3, 0xffff, v33
	v_cmp_ne_u16_sdwa s3, v33, v4 src0_sel:BYTE_0 src1_sel:DWORD
	v_mov_b32_e32 v33, 0
	s_and_saveexec_b32 s49, s3
	s_cbranch_execz .LBB262_58
; %bb.51:                               ;   in Loop: Header=BB262_13 Depth=1
	v_cmp_ne_u16_sdwa s3, v3, v19 src0_sel:BYTE_0 src1_sel:DWORD
	v_mov_b32_e32 v33, 0x8000
	s_and_saveexec_b32 s50, s3
	s_cbranch_execz .LBB262_57
; %bb.52:                               ;   in Loop: Header=BB262_13 Depth=1
	v_and_b32_e32 v35, 0x7f, v3
	v_mov_b32_e32 v33, 0x7c01
	s_mov_b32 s51, exec_lo
	v_cmpx_ne_u32_e32 0x7f, v35
	s_cbranch_execz .LBB262_56
; %bb.53:                               ;   in Loop: Header=BB262_13 Depth=1
	v_and_b32_e32 v33, 7, v3
	v_lshrrev_b32_e32 v34, 3, v35
	s_mov_b32 s52, exec_lo
	v_cmpx_gt_u32_e32 8, v35
; %bb.54:                               ;   in Loop: Header=BB262_13 Depth=1
	v_ffbh_u32_e32 v33, v33
	v_min_u32_e32 v35, 32, v33
	v_subrev_nc_u32_e32 v33, 28, v35
	v_lshlrev_b64 v[33:34], v33, v[3:4]
	v_sub_nc_u32_e32 v34, 29, v35
	v_and_b32_e32 v33, 7, v33
; %bb.55:                               ;   in Loop: Header=BB262_13 Depth=1
	s_or_b32 exec_lo, exec_lo, s52
	v_lshlrev_b32_e32 v35, 8, v3
	v_lshl_add_u32 v34, v34, 10, 0x2000
	v_lshlrev_b32_e32 v33, 7, v33
	v_and_b32_e32 v35, 0x8000, v35
	v_and_b32_e32 v34, 0xfc00, v34
	v_or3_b32 v33, v35, v34, v33
.LBB262_56:                             ;   in Loop: Header=BB262_13 Depth=1
	s_or_b32 exec_lo, exec_lo, s51
.LBB262_57:                             ;   in Loop: Header=BB262_13 Depth=1
	s_or_b32 exec_lo, exec_lo, s50
.LBB262_58:                             ;   in Loop: Header=BB262_13 Depth=1
	s_or_b32 exec_lo, exec_lo, s49
	v_lshrrev_b16 v3, 8, v3
	s_mov_b32 s49, exec_lo
	v_cmpx_ne_u16_e32 0, v3
	s_cbranch_execz .LBB262_66
; %bb.59:                               ;   in Loop: Header=BB262_13 Depth=1
	v_bfrev_b32_e32 v32, 1
	s_mov_b32 s50, exec_lo
	v_cmpx_ne_u16_e32 0x80, v3
	s_cbranch_execz .LBB262_65
; %bb.60:                               ;   in Loop: Header=BB262_13 Depth=1
	v_and_b32_sdwa v35, v3, v20 dst_sel:DWORD dst_unused:UNUSED_PAD src0_sel:WORD_0 src1_sel:DWORD
	v_mov_b32_e32 v32, 0x7c010000
	s_mov_b32 s51, exec_lo
	v_cmpx_ne_u32_e32 0x7f, v35
	s_cbranch_execz .LBB262_64
; %bb.61:                               ;   in Loop: Header=BB262_13 Depth=1
	v_and_b32_sdwa v32, v3, v21 dst_sel:DWORD dst_unused:UNUSED_PAD src0_sel:WORD_0 src1_sel:DWORD
	v_lshrrev_b32_e32 v34, 3, v35
	s_mov_b32 s52, exec_lo
	v_cmpx_gt_u32_e32 8, v35
; %bb.62:                               ;   in Loop: Header=BB262_13 Depth=1
	v_ffbh_u32_e32 v32, v32
	v_min_u32_e32 v32, 32, v32
	v_subrev_nc_u32_e32 v34, 28, v32
	v_lshlrev_b64 v[35:36], v34, v[3:4]
	v_sub_nc_u32_e32 v34, 29, v32
	v_and_b32_e32 v32, 7, v35
; %bb.63:                               ;   in Loop: Header=BB262_13 Depth=1
	s_or_b32 exec_lo, exec_lo, s52
	v_lshlrev_b32_sdwa v3, v22, v3 dst_sel:DWORD dst_unused:UNUSED_PAD src0_sel:DWORD src1_sel:WORD_0
	v_lshl_add_u32 v34, v34, 10, 0x2000
	v_lshlrev_b32_e32 v32, 23, v32
	v_and_or_b32 v3, 0x8000, v3, v34
	v_lshl_or_b32 v32, v3, 16, v32
.LBB262_64:                             ;   in Loop: Header=BB262_13 Depth=1
	s_or_b32 exec_lo, exec_lo, s51
.LBB262_65:                             ;   in Loop: Header=BB262_13 Depth=1
	s_or_b32 exec_lo, exec_lo, s50
.LBB262_66:                             ;   in Loop: Header=BB262_13 Depth=1
	s_or_b32 exec_lo, exec_lo, s49
	global_load_ushort v35, v[9:10], off offset:136
	v_mov_b32_e32 v34, 0
	s_waitcnt vmcnt(0)
	v_and_b32_e32 v3, 0xffff, v35
	v_cmp_ne_u16_sdwa s3, v35, v4 src0_sel:BYTE_0 src1_sel:DWORD
	v_mov_b32_e32 v35, 0
	s_and_saveexec_b32 s49, s3
	s_cbranch_execz .LBB262_74
; %bb.67:                               ;   in Loop: Header=BB262_13 Depth=1
	v_cmp_ne_u16_sdwa s3, v3, v19 src0_sel:BYTE_0 src1_sel:DWORD
	v_mov_b32_e32 v35, 0x8000
	s_and_saveexec_b32 s50, s3
	s_cbranch_execz .LBB262_73
; %bb.68:                               ;   in Loop: Header=BB262_13 Depth=1
	v_and_b32_e32 v37, 0x7f, v3
	v_mov_b32_e32 v35, 0x7c01
	s_mov_b32 s51, exec_lo
	v_cmpx_ne_u32_e32 0x7f, v37
	s_cbranch_execz .LBB262_72
; %bb.69:                               ;   in Loop: Header=BB262_13 Depth=1
	v_and_b32_e32 v35, 7, v3
	v_lshrrev_b32_e32 v36, 3, v37
	s_mov_b32 s52, exec_lo
	v_cmpx_gt_u32_e32 8, v37
; %bb.70:                               ;   in Loop: Header=BB262_13 Depth=1
	v_ffbh_u32_e32 v35, v35
	v_min_u32_e32 v37, 32, v35
	v_subrev_nc_u32_e32 v35, 28, v37
	v_lshlrev_b64 v[35:36], v35, v[3:4]
	v_sub_nc_u32_e32 v36, 29, v37
	v_and_b32_e32 v35, 7, v35
; %bb.71:                               ;   in Loop: Header=BB262_13 Depth=1
	s_or_b32 exec_lo, exec_lo, s52
	v_lshlrev_b32_e32 v37, 8, v3
	v_lshl_add_u32 v36, v36, 10, 0x2000
	v_lshlrev_b32_e32 v35, 7, v35
	v_and_b32_e32 v37, 0x8000, v37
	v_and_b32_e32 v36, 0xfc00, v36
	v_or3_b32 v35, v37, v36, v35
.LBB262_72:                             ;   in Loop: Header=BB262_13 Depth=1
	s_or_b32 exec_lo, exec_lo, s51
.LBB262_73:                             ;   in Loop: Header=BB262_13 Depth=1
	s_or_b32 exec_lo, exec_lo, s50
.LBB262_74:                             ;   in Loop: Header=BB262_13 Depth=1
	s_or_b32 exec_lo, exec_lo, s49
	v_lshrrev_b16 v3, 8, v3
	s_mov_b32 s49, exec_lo
	v_cmpx_ne_u16_e32 0, v3
	s_cbranch_execz .LBB262_82
; %bb.75:                               ;   in Loop: Header=BB262_13 Depth=1
	v_bfrev_b32_e32 v34, 1
	s_mov_b32 s50, exec_lo
	v_cmpx_ne_u16_e32 0x80, v3
	s_cbranch_execz .LBB262_81
; %bb.76:                               ;   in Loop: Header=BB262_13 Depth=1
	v_and_b32_sdwa v37, v3, v20 dst_sel:DWORD dst_unused:UNUSED_PAD src0_sel:WORD_0 src1_sel:DWORD
	v_mov_b32_e32 v34, 0x7c010000
	s_mov_b32 s51, exec_lo
	v_cmpx_ne_u32_e32 0x7f, v37
	s_cbranch_execz .LBB262_80
; %bb.77:                               ;   in Loop: Header=BB262_13 Depth=1
	v_and_b32_sdwa v34, v3, v21 dst_sel:DWORD dst_unused:UNUSED_PAD src0_sel:WORD_0 src1_sel:DWORD
	v_lshrrev_b32_e32 v36, 3, v37
	s_mov_b32 s52, exec_lo
	v_cmpx_gt_u32_e32 8, v37
; %bb.78:                               ;   in Loop: Header=BB262_13 Depth=1
	v_ffbh_u32_e32 v34, v34
	v_min_u32_e32 v34, 32, v34
	v_subrev_nc_u32_e32 v36, 28, v34
	v_lshlrev_b64 v[37:38], v36, v[3:4]
	v_sub_nc_u32_e32 v36, 29, v34
	v_and_b32_e32 v34, 7, v37
; %bb.79:                               ;   in Loop: Header=BB262_13 Depth=1
	s_or_b32 exec_lo, exec_lo, s52
	v_lshlrev_b32_sdwa v3, v22, v3 dst_sel:DWORD dst_unused:UNUSED_PAD src0_sel:DWORD src1_sel:WORD_0
	v_lshl_add_u32 v36, v36, 10, 0x2000
	v_lshlrev_b32_e32 v34, 23, v34
	v_and_or_b32 v3, 0x8000, v3, v36
	v_lshl_or_b32 v34, v3, 16, v34
.LBB262_80:                             ;   in Loop: Header=BB262_13 Depth=1
	s_or_b32 exec_lo, exec_lo, s51
.LBB262_81:                             ;   in Loop: Header=BB262_13 Depth=1
	s_or_b32 exec_lo, exec_lo, s50
.LBB262_82:                             ;   in Loop: Header=BB262_13 Depth=1
	s_or_b32 exec_lo, exec_lo, s49
	global_load_ushort v37, v[9:10], off offset:256
	v_mov_b32_e32 v36, 0
	s_waitcnt vmcnt(0)
	v_and_b32_e32 v3, 0xffff, v37
	v_cmp_ne_u16_sdwa s3, v37, v4 src0_sel:BYTE_0 src1_sel:DWORD
	v_mov_b32_e32 v37, 0
	s_and_saveexec_b32 s49, s3
	s_cbranch_execz .LBB262_90
; %bb.83:                               ;   in Loop: Header=BB262_13 Depth=1
	v_cmp_ne_u16_sdwa s3, v3, v19 src0_sel:BYTE_0 src1_sel:DWORD
	v_mov_b32_e32 v37, 0x8000
	s_and_saveexec_b32 s50, s3
	s_cbranch_execz .LBB262_89
; %bb.84:                               ;   in Loop: Header=BB262_13 Depth=1
	v_and_b32_e32 v39, 0x7f, v3
	v_mov_b32_e32 v37, 0x7c01
	s_mov_b32 s51, exec_lo
	v_cmpx_ne_u32_e32 0x7f, v39
	s_cbranch_execz .LBB262_88
; %bb.85:                               ;   in Loop: Header=BB262_13 Depth=1
	v_and_b32_e32 v37, 7, v3
	v_lshrrev_b32_e32 v38, 3, v39
	s_mov_b32 s52, exec_lo
	v_cmpx_gt_u32_e32 8, v39
; %bb.86:                               ;   in Loop: Header=BB262_13 Depth=1
	v_ffbh_u32_e32 v37, v37
	v_min_u32_e32 v39, 32, v37
	v_subrev_nc_u32_e32 v37, 28, v39
	v_lshlrev_b64 v[37:38], v37, v[3:4]
	v_sub_nc_u32_e32 v38, 29, v39
	v_and_b32_e32 v37, 7, v37
; %bb.87:                               ;   in Loop: Header=BB262_13 Depth=1
	s_or_b32 exec_lo, exec_lo, s52
	v_lshlrev_b32_e32 v39, 8, v3
	v_lshl_add_u32 v38, v38, 10, 0x2000
	v_lshlrev_b32_e32 v37, 7, v37
	v_and_b32_e32 v39, 0x8000, v39
	v_and_b32_e32 v38, 0xfc00, v38
	v_or3_b32 v37, v39, v38, v37
.LBB262_88:                             ;   in Loop: Header=BB262_13 Depth=1
	s_or_b32 exec_lo, exec_lo, s51
.LBB262_89:                             ;   in Loop: Header=BB262_13 Depth=1
	s_or_b32 exec_lo, exec_lo, s50
.LBB262_90:                             ;   in Loop: Header=BB262_13 Depth=1
	s_or_b32 exec_lo, exec_lo, s49
	v_lshrrev_b16 v3, 8, v3
	s_mov_b32 s49, exec_lo
	v_cmpx_ne_u16_e32 0, v3
	s_cbranch_execz .LBB262_98
; %bb.91:                               ;   in Loop: Header=BB262_13 Depth=1
	v_bfrev_b32_e32 v36, 1
	s_mov_b32 s50, exec_lo
	v_cmpx_ne_u16_e32 0x80, v3
	s_cbranch_execz .LBB262_97
; %bb.92:                               ;   in Loop: Header=BB262_13 Depth=1
	v_and_b32_sdwa v39, v3, v20 dst_sel:DWORD dst_unused:UNUSED_PAD src0_sel:WORD_0 src1_sel:DWORD
	v_mov_b32_e32 v36, 0x7c010000
	s_mov_b32 s51, exec_lo
	v_cmpx_ne_u32_e32 0x7f, v39
	s_cbranch_execz .LBB262_96
; %bb.93:                               ;   in Loop: Header=BB262_13 Depth=1
	v_and_b32_sdwa v36, v3, v21 dst_sel:DWORD dst_unused:UNUSED_PAD src0_sel:WORD_0 src1_sel:DWORD
	v_lshrrev_b32_e32 v38, 3, v39
	s_mov_b32 s52, exec_lo
	v_cmpx_gt_u32_e32 8, v39
; %bb.94:                               ;   in Loop: Header=BB262_13 Depth=1
	v_ffbh_u32_e32 v36, v36
	v_min_u32_e32 v36, 32, v36
	v_subrev_nc_u32_e32 v38, 28, v36
	v_lshlrev_b64 v[39:40], v38, v[3:4]
	v_sub_nc_u32_e32 v38, 29, v36
	v_and_b32_e32 v36, 7, v39
; %bb.95:                               ;   in Loop: Header=BB262_13 Depth=1
	s_or_b32 exec_lo, exec_lo, s52
	v_lshlrev_b32_sdwa v3, v22, v3 dst_sel:DWORD dst_unused:UNUSED_PAD src0_sel:DWORD src1_sel:WORD_0
	v_lshl_add_u32 v38, v38, 10, 0x2000
	v_lshlrev_b32_e32 v36, 23, v36
	v_and_or_b32 v3, 0x8000, v3, v38
	v_lshl_or_b32 v36, v3, 16, v36
.LBB262_96:                             ;   in Loop: Header=BB262_13 Depth=1
	s_or_b32 exec_lo, exec_lo, s51
.LBB262_97:                             ;   in Loop: Header=BB262_13 Depth=1
	s_or_b32 exec_lo, exec_lo, s50
.LBB262_98:                             ;   in Loop: Header=BB262_13 Depth=1
	s_or_b32 exec_lo, exec_lo, s49
	global_load_ushort v39, v[9:10], off offset:264
	v_mov_b32_e32 v38, 0
	s_waitcnt vmcnt(0)
	v_and_b32_e32 v3, 0xffff, v39
	v_cmp_ne_u16_sdwa s3, v39, v4 src0_sel:BYTE_0 src1_sel:DWORD
	v_mov_b32_e32 v39, 0
	s_and_saveexec_b32 s49, s3
	s_cbranch_execz .LBB262_106
; %bb.99:                               ;   in Loop: Header=BB262_13 Depth=1
	v_cmp_ne_u16_sdwa s3, v3, v19 src0_sel:BYTE_0 src1_sel:DWORD
	v_mov_b32_e32 v39, 0x8000
	s_and_saveexec_b32 s50, s3
	s_cbranch_execz .LBB262_105
; %bb.100:                              ;   in Loop: Header=BB262_13 Depth=1
	v_and_b32_e32 v41, 0x7f, v3
	v_mov_b32_e32 v39, 0x7c01
	s_mov_b32 s51, exec_lo
	v_cmpx_ne_u32_e32 0x7f, v41
	s_cbranch_execz .LBB262_104
; %bb.101:                              ;   in Loop: Header=BB262_13 Depth=1
	v_and_b32_e32 v39, 7, v3
	v_lshrrev_b32_e32 v40, 3, v41
	s_mov_b32 s52, exec_lo
	v_cmpx_gt_u32_e32 8, v41
; %bb.102:                              ;   in Loop: Header=BB262_13 Depth=1
	v_ffbh_u32_e32 v39, v39
	v_min_u32_e32 v41, 32, v39
	v_subrev_nc_u32_e32 v39, 28, v41
	v_lshlrev_b64 v[39:40], v39, v[3:4]
	v_sub_nc_u32_e32 v40, 29, v41
	v_and_b32_e32 v39, 7, v39
; %bb.103:                              ;   in Loop: Header=BB262_13 Depth=1
	s_or_b32 exec_lo, exec_lo, s52
	v_lshlrev_b32_e32 v41, 8, v3
	v_lshl_add_u32 v40, v40, 10, 0x2000
	v_lshlrev_b32_e32 v39, 7, v39
	v_and_b32_e32 v41, 0x8000, v41
	v_and_b32_e32 v40, 0xfc00, v40
	v_or3_b32 v39, v41, v40, v39
.LBB262_104:                            ;   in Loop: Header=BB262_13 Depth=1
	s_or_b32 exec_lo, exec_lo, s51
.LBB262_105:                            ;   in Loop: Header=BB262_13 Depth=1
	s_or_b32 exec_lo, exec_lo, s50
.LBB262_106:                            ;   in Loop: Header=BB262_13 Depth=1
	s_or_b32 exec_lo, exec_lo, s49
	v_lshrrev_b16 v3, 8, v3
	s_mov_b32 s49, exec_lo
	v_cmpx_ne_u16_e32 0, v3
	s_cbranch_execz .LBB262_114
; %bb.107:                              ;   in Loop: Header=BB262_13 Depth=1
	v_bfrev_b32_e32 v38, 1
	s_mov_b32 s50, exec_lo
	v_cmpx_ne_u16_e32 0x80, v3
	s_cbranch_execz .LBB262_113
; %bb.108:                              ;   in Loop: Header=BB262_13 Depth=1
	v_and_b32_sdwa v41, v3, v20 dst_sel:DWORD dst_unused:UNUSED_PAD src0_sel:WORD_0 src1_sel:DWORD
	v_mov_b32_e32 v38, 0x7c010000
	s_mov_b32 s51, exec_lo
	v_cmpx_ne_u32_e32 0x7f, v41
	s_cbranch_execz .LBB262_112
; %bb.109:                              ;   in Loop: Header=BB262_13 Depth=1
	v_and_b32_sdwa v38, v3, v21 dst_sel:DWORD dst_unused:UNUSED_PAD src0_sel:WORD_0 src1_sel:DWORD
	v_lshrrev_b32_e32 v40, 3, v41
	s_mov_b32 s52, exec_lo
	v_cmpx_gt_u32_e32 8, v41
; %bb.110:                              ;   in Loop: Header=BB262_13 Depth=1
	v_ffbh_u32_e32 v38, v38
	v_min_u32_e32 v38, 32, v38
	v_subrev_nc_u32_e32 v40, 28, v38
	v_lshlrev_b64 v[41:42], v40, v[3:4]
	v_sub_nc_u32_e32 v40, 29, v38
	v_and_b32_e32 v38, 7, v41
; %bb.111:                              ;   in Loop: Header=BB262_13 Depth=1
	s_or_b32 exec_lo, exec_lo, s52
	v_lshlrev_b32_sdwa v3, v22, v3 dst_sel:DWORD dst_unused:UNUSED_PAD src0_sel:DWORD src1_sel:WORD_0
	v_lshl_add_u32 v40, v40, 10, 0x2000
	v_lshlrev_b32_e32 v38, 23, v38
	v_and_or_b32 v3, 0x8000, v3, v40
	v_lshl_or_b32 v38, v3, 16, v38
.LBB262_112:                            ;   in Loop: Header=BB262_13 Depth=1
	s_or_b32 exec_lo, exec_lo, s51
.LBB262_113:                            ;   in Loop: Header=BB262_13 Depth=1
	s_or_b32 exec_lo, exec_lo, s50
.LBB262_114:                            ;   in Loop: Header=BB262_13 Depth=1
	s_or_b32 exec_lo, exec_lo, s49
	global_load_ushort v41, v[9:10], off offset:384
	v_mov_b32_e32 v40, 0
	s_waitcnt vmcnt(0)
	v_and_b32_e32 v3, 0xffff, v41
	v_cmp_ne_u16_sdwa s3, v41, v4 src0_sel:BYTE_0 src1_sel:DWORD
	v_mov_b32_e32 v41, 0
	s_and_saveexec_b32 s49, s3
	s_cbranch_execz .LBB262_122
; %bb.115:                              ;   in Loop: Header=BB262_13 Depth=1
	v_cmp_ne_u16_sdwa s3, v3, v19 src0_sel:BYTE_0 src1_sel:DWORD
	v_mov_b32_e32 v41, 0x8000
	s_and_saveexec_b32 s50, s3
	s_cbranch_execz .LBB262_121
; %bb.116:                              ;   in Loop: Header=BB262_13 Depth=1
	v_and_b32_e32 v43, 0x7f, v3
	v_mov_b32_e32 v41, 0x7c01
	s_mov_b32 s51, exec_lo
	v_cmpx_ne_u32_e32 0x7f, v43
	s_cbranch_execz .LBB262_120
; %bb.117:                              ;   in Loop: Header=BB262_13 Depth=1
	v_and_b32_e32 v41, 7, v3
	v_lshrrev_b32_e32 v42, 3, v43
	s_mov_b32 s52, exec_lo
	v_cmpx_gt_u32_e32 8, v43
; %bb.118:                              ;   in Loop: Header=BB262_13 Depth=1
	v_ffbh_u32_e32 v41, v41
	v_min_u32_e32 v43, 32, v41
	v_subrev_nc_u32_e32 v41, 28, v43
	v_lshlrev_b64 v[41:42], v41, v[3:4]
	v_sub_nc_u32_e32 v42, 29, v43
	v_and_b32_e32 v41, 7, v41
; %bb.119:                              ;   in Loop: Header=BB262_13 Depth=1
	s_or_b32 exec_lo, exec_lo, s52
	v_lshlrev_b32_e32 v43, 8, v3
	v_lshl_add_u32 v42, v42, 10, 0x2000
	v_lshlrev_b32_e32 v41, 7, v41
	v_and_b32_e32 v43, 0x8000, v43
	v_and_b32_e32 v42, 0xfc00, v42
	v_or3_b32 v41, v43, v42, v41
.LBB262_120:                            ;   in Loop: Header=BB262_13 Depth=1
	s_or_b32 exec_lo, exec_lo, s51
.LBB262_121:                            ;   in Loop: Header=BB262_13 Depth=1
	s_or_b32 exec_lo, exec_lo, s50
.LBB262_122:                            ;   in Loop: Header=BB262_13 Depth=1
	s_or_b32 exec_lo, exec_lo, s49
	v_lshrrev_b16 v3, 8, v3
	s_mov_b32 s49, exec_lo
	v_cmpx_ne_u16_e32 0, v3
	s_cbranch_execz .LBB262_130
; %bb.123:                              ;   in Loop: Header=BB262_13 Depth=1
	v_bfrev_b32_e32 v40, 1
	s_mov_b32 s50, exec_lo
	v_cmpx_ne_u16_e32 0x80, v3
	s_cbranch_execz .LBB262_129
; %bb.124:                              ;   in Loop: Header=BB262_13 Depth=1
	v_and_b32_sdwa v43, v3, v20 dst_sel:DWORD dst_unused:UNUSED_PAD src0_sel:WORD_0 src1_sel:DWORD
	v_mov_b32_e32 v40, 0x7c010000
	s_mov_b32 s51, exec_lo
	v_cmpx_ne_u32_e32 0x7f, v43
	s_cbranch_execz .LBB262_128
; %bb.125:                              ;   in Loop: Header=BB262_13 Depth=1
	v_and_b32_sdwa v40, v3, v21 dst_sel:DWORD dst_unused:UNUSED_PAD src0_sel:WORD_0 src1_sel:DWORD
	v_lshrrev_b32_e32 v42, 3, v43
	s_mov_b32 s52, exec_lo
	v_cmpx_gt_u32_e32 8, v43
; %bb.126:                              ;   in Loop: Header=BB262_13 Depth=1
	v_ffbh_u32_e32 v40, v40
	v_min_u32_e32 v40, 32, v40
	v_subrev_nc_u32_e32 v42, 28, v40
	v_lshlrev_b64 v[43:44], v42, v[3:4]
	v_sub_nc_u32_e32 v42, 29, v40
	v_and_b32_e32 v40, 7, v43
; %bb.127:                              ;   in Loop: Header=BB262_13 Depth=1
	s_or_b32 exec_lo, exec_lo, s52
	v_lshlrev_b32_sdwa v3, v22, v3 dst_sel:DWORD dst_unused:UNUSED_PAD src0_sel:DWORD src1_sel:WORD_0
	v_lshl_add_u32 v42, v42, 10, 0x2000
	v_lshlrev_b32_e32 v40, 23, v40
	v_and_or_b32 v3, 0x8000, v3, v42
	v_lshl_or_b32 v40, v3, 16, v40
.LBB262_128:                            ;   in Loop: Header=BB262_13 Depth=1
	s_or_b32 exec_lo, exec_lo, s51
.LBB262_129:                            ;   in Loop: Header=BB262_13 Depth=1
	s_or_b32 exec_lo, exec_lo, s50
.LBB262_130:                            ;   in Loop: Header=BB262_13 Depth=1
	s_or_b32 exec_lo, exec_lo, s49
	global_load_ushort v10, v[9:10], off offset:392
	v_mov_b32_e32 v9, 0
	s_waitcnt vmcnt(0)
	v_and_b32_e32 v3, 0xffff, v10
	v_cmp_ne_u16_sdwa s3, v10, v4 src0_sel:BYTE_0 src1_sel:DWORD
	v_mov_b32_e32 v10, 0
	s_and_saveexec_b32 s49, s3
	s_cbranch_execz .LBB262_138
; %bb.131:                              ;   in Loop: Header=BB262_13 Depth=1
	v_cmp_ne_u16_sdwa s3, v3, v19 src0_sel:BYTE_0 src1_sel:DWORD
	v_mov_b32_e32 v10, 0x8000
	s_and_saveexec_b32 s50, s3
	s_cbranch_execz .LBB262_137
; %bb.132:                              ;   in Loop: Header=BB262_13 Depth=1
	v_and_b32_e32 v43, 0x7f, v3
	v_mov_b32_e32 v10, 0x7c01
	s_mov_b32 s51, exec_lo
	v_cmpx_ne_u32_e32 0x7f, v43
	s_cbranch_execz .LBB262_136
; %bb.133:                              ;   in Loop: Header=BB262_13 Depth=1
	v_and_b32_e32 v10, 7, v3
	v_lshrrev_b32_e32 v42, 3, v43
	s_mov_b32 s52, exec_lo
	v_cmpx_gt_u32_e32 8, v43
; %bb.134:                              ;   in Loop: Header=BB262_13 Depth=1
	v_ffbh_u32_e32 v10, v10
	v_min_u32_e32 v10, 32, v10
	v_subrev_nc_u32_e32 v42, 28, v10
	v_lshlrev_b64 v[43:44], v42, v[3:4]
	v_sub_nc_u32_e32 v42, 29, v10
	v_and_b32_e32 v10, 7, v43
; %bb.135:                              ;   in Loop: Header=BB262_13 Depth=1
	s_or_b32 exec_lo, exec_lo, s52
	v_lshlrev_b32_e32 v43, 8, v3
	v_lshl_add_u32 v42, v42, 10, 0x2000
	v_lshlrev_b32_e32 v10, 7, v10
	v_and_b32_e32 v43, 0x8000, v43
	v_and_b32_e32 v42, 0xfc00, v42
	v_or3_b32 v10, v43, v42, v10
.LBB262_136:                            ;   in Loop: Header=BB262_13 Depth=1
	s_or_b32 exec_lo, exec_lo, s51
.LBB262_137:                            ;   in Loop: Header=BB262_13 Depth=1
	s_or_b32 exec_lo, exec_lo, s50
.LBB262_138:                            ;   in Loop: Header=BB262_13 Depth=1
	s_or_b32 exec_lo, exec_lo, s49
	v_lshrrev_b16 v3, 8, v3
	s_mov_b32 s49, exec_lo
	v_cmpx_ne_u16_e32 0, v3
	s_cbranch_execz .LBB262_146
; %bb.139:                              ;   in Loop: Header=BB262_13 Depth=1
	v_bfrev_b32_e32 v9, 1
	s_mov_b32 s50, exec_lo
	v_cmpx_ne_u16_e32 0x80, v3
	s_cbranch_execz .LBB262_145
; %bb.140:                              ;   in Loop: Header=BB262_13 Depth=1
	v_and_b32_sdwa v43, v3, v20 dst_sel:DWORD dst_unused:UNUSED_PAD src0_sel:WORD_0 src1_sel:DWORD
	v_mov_b32_e32 v9, 0x7c010000
	s_mov_b32 s51, exec_lo
	v_cmpx_ne_u32_e32 0x7f, v43
	s_cbranch_execz .LBB262_144
; %bb.141:                              ;   in Loop: Header=BB262_13 Depth=1
	v_and_b32_sdwa v9, v3, v21 dst_sel:DWORD dst_unused:UNUSED_PAD src0_sel:WORD_0 src1_sel:DWORD
	v_lshrrev_b32_e32 v42, 3, v43
	s_mov_b32 s52, exec_lo
	v_cmpx_gt_u32_e32 8, v43
; %bb.142:                              ;   in Loop: Header=BB262_13 Depth=1
	v_ffbh_u32_e32 v9, v9
	v_min_u32_e32 v9, 32, v9
	v_subrev_nc_u32_e32 v42, 28, v9
	v_lshlrev_b64 v[43:44], v42, v[3:4]
	v_sub_nc_u32_e32 v42, 29, v9
	v_and_b32_e32 v9, 7, v43
; %bb.143:                              ;   in Loop: Header=BB262_13 Depth=1
	s_or_b32 exec_lo, exec_lo, s52
	v_lshlrev_b32_sdwa v3, v22, v3 dst_sel:DWORD dst_unused:UNUSED_PAD src0_sel:DWORD src1_sel:WORD_0
	v_lshl_add_u32 v42, v42, 10, 0x2000
	v_lshlrev_b32_e32 v9, 23, v9
	v_and_or_b32 v3, 0x8000, v3, v42
	v_lshl_or_b32 v9, v3, 16, v9
.LBB262_144:                            ;   in Loop: Header=BB262_13 Depth=1
	s_or_b32 exec_lo, exec_lo, s51
.LBB262_145:                            ;   in Loop: Header=BB262_13 Depth=1
	s_or_b32 exec_lo, exec_lo, s50
.LBB262_146:                            ;   in Loop: Header=BB262_13 Depth=1
	s_or_b32 exec_lo, exec_lo, s49
	ds_read_b32 v3, v16
	v_or_b32_e32 v29, v28, v29
	v_fma_mixlo_f16 v28, v27, v28, 0 op_sel:[0,1,0] op_sel_hi:[0,1,0]
	v_or_b32_e32 v31, v30, v31
	v_fma_mixlo_f16 v30, v27, v30, 0 op_sel:[0,1,0] op_sel_hi:[0,1,0]
	v_or_b32_e32 v33, v32, v33
	v_fma_mixlo_f16 v29, v27, v29, 0 op_sel_hi:[0,1,0]
	v_and_b32_e32 v44, 0xffff, v28
	v_fma_mixlo_f16 v31, v27, v31, 0 op_sel_hi:[0,1,0]
	v_and_b32_e32 v46, 0xffff, v30
	;; [unrolled: 2-line block ×3, first 2 shown]
	v_fma_mixlo_f16 v32, v27, v32, 0 op_sel:[0,1,0] op_sel_hi:[0,1,0]
	v_and_b32_e32 v45, 0xffff, v31
	v_or_b32_e32 v35, v34, v35
	v_and_b32_e32 v47, 0xffff, v33
	v_fma_mixlo_f16 v34, v27, v34, 0 op_sel:[0,1,0] op_sel_hi:[0,1,0]
	v_and_b32_e32 v48, 0xffff, v32
	v_or_b32_e32 v37, v36, v37
	v_fma_mixlo_f16 v35, v27, v35, 0 op_sel_hi:[0,1,0]
	s_waitcnt lgkmcnt(0)
	v_and_b32_e32 v42, 0xffff, v3
	v_lshrrev_b32_e32 v43, 16, v3
	;;#ASMSTART
	v_cvt_f32_f16 v3, v42;
	;;#ASMEND
	;;#ASMSTART
	v_cvt_f32_f16 v28, v43;
	;;#ASMEND
	;; [unrolled: 3-line block ×4, first 2 shown]
	ds_read_b32 v43, v16 offset:4
	v_and_b32_e32 v49, 0xffff, v35
	v_and_b32_e32 v50, 0xffff, v34
	v_fma_mixlo_f16 v37, v27, v37, 0 op_sel_hi:[0,1,0]
	v_fma_mixlo_f16 v36, v27, v36, 0 op_sel:[0,1,0] op_sel_hi:[0,1,0]
	v_or_b32_e32 v39, v38, v39
	v_fma_mixlo_f16 v38, v27, v38, 0 op_sel:[0,1,0] op_sel_hi:[0,1,0]
	v_or_b32_e32 v41, v40, v41
	v_and_b32_e32 v51, 0xffff, v37
	v_and_b32_e32 v52, 0xffff, v36
	v_fma_mixlo_f16 v39, v27, v39, 0 op_sel_hi:[0,1,0]
	v_and_b32_e32 v54, 0xffff, v38
	v_fma_mixlo_f16 v40, v27, v40, 0 op_sel:[0,1,0] op_sel_hi:[0,1,0]
	v_fma_mixlo_f16 v41, v27, v41, 0 op_sel_hi:[0,1,0]
	v_or_b32_e32 v10, v9, v10
	v_and_b32_e32 v53, 0xffff, v39
	v_fma_mixlo_f16 v9, v27, v9, 0 op_sel:[0,1,0] op_sel_hi:[0,1,0]
	v_and_b32_e32 v40, 0xffff, v40
	v_and_b32_e32 v41, 0xffff, v41
	v_fma_mixlo_f16 v10, v27, v10, 0 op_sel_hi:[0,1,0]
	s_waitcnt lgkmcnt(0)
	v_and_b32_e32 v44, 0xffff, v43
	v_lshrrev_b32_e32 v43, 16, v43
	;;#ASMSTART
	v_cvt_f32_f16 v30, v44;
	;;#ASMEND
	;;#ASMSTART
	v_cvt_f32_f16 v31, v43;
	;;#ASMEND
	;; [unrolled: 3-line block ×4, first 2 shown]
	ds_read_b32 v45, v16 offset:8
	v_mul_f32_e32 v30, v30, v43
	v_mul_f32_e32 v31, v31, v44
	v_fmac_f32_e32 v30, v3, v29
	v_fmac_f32_e32 v31, v28, v42
	s_waitcnt lgkmcnt(0)
	v_and_b32_e32 v46, 0xffff, v45
	v_lshrrev_b32_e32 v45, 16, v45
	;;#ASMSTART
	v_cvt_f32_f16 v32, v46;
	;;#ASMEND
	;;#ASMSTART
	v_cvt_f32_f16 v33, v45;
	;;#ASMEND
	;; [unrolled: 3-line block ×4, first 2 shown]
	ds_read_b32 v47, v16 offset:12
	v_fmac_f32_e32 v30, v32, v45
	v_fmac_f32_e32 v31, v33, v46
	v_xor_b32_e32 v32, 2, v11
	v_and_b32_e32 v33, 0xffff, v9
	v_cmp_gt_i32_e64 s3, 32, v32
	v_cndmask_b32_e64 v9, v11, v32, s3
	s_waitcnt lgkmcnt(0)
	v_and_b32_e32 v48, 0xffff, v47
	v_lshrrev_b32_e32 v47, 16, v47
	;;#ASMSTART
	v_cvt_f32_f16 v34, v48;
	;;#ASMEND
	;;#ASMSTART
	v_cvt_f32_f16 v35, v47;
	;;#ASMEND
	;; [unrolled: 3-line block ×4, first 2 shown]
	ds_read_b32 v49, v16 offset:16
	v_fmac_f32_e32 v30, v34, v47
	v_fmac_f32_e32 v31, v35, v48
	v_and_b32_e32 v34, 0xffff, v10
	s_waitcnt lgkmcnt(0)
	v_and_b32_e32 v50, 0xffff, v49
	v_lshrrev_b32_e32 v49, 16, v49
	;;#ASMSTART
	v_cvt_f32_f16 v36, v50;
	;;#ASMEND
	;;#ASMSTART
	v_cvt_f32_f16 v37, v49;
	;;#ASMEND
	;;#ASMSTART
	v_cvt_f32_f16 v49, v51;
	;;#ASMEND
	;;#ASMSTART
	v_cvt_f32_f16 v50, v52;
	;;#ASMEND
	ds_read_b32 v51, v16 offset:20
	v_fmac_f32_e32 v30, v36, v49
	v_fmac_f32_e32 v31, v37, v50
	s_waitcnt lgkmcnt(0)
	v_and_b32_e32 v52, 0xffff, v51
	v_lshrrev_b32_e32 v51, 16, v51
	;;#ASMSTART
	v_cvt_f32_f16 v38, v52;
	;;#ASMEND
	;;#ASMSTART
	v_cvt_f32_f16 v39, v51;
	;;#ASMEND
	;;#ASMSTART
	v_cvt_f32_f16 v51, v53;
	;;#ASMEND
	;;#ASMSTART
	v_cvt_f32_f16 v52, v54;
	;;#ASMEND
	ds_read_b32 v53, v16 offset:24
	v_fmac_f32_e32 v30, v38, v51
	v_fmac_f32_e32 v31, v39, v52
	;; [unrolled: 18-line block ×3, first 2 shown]
	s_waitcnt lgkmcnt(0)
	v_and_b32_e32 v27, 0xffff, v41
	v_lshrrev_b32_e32 v32, 16, v41
	;;#ASMSTART
	v_cvt_f32_f16 v3, v27;
	;;#ASMEND
	;;#ASMSTART
	v_cvt_f32_f16 v10, v32;
	;;#ASMEND
	;;#ASMSTART
	v_cvt_f32_f16 v27, v34;
	;;#ASMEND
	;;#ASMSTART
	v_cvt_f32_f16 v28, v33;
	;;#ASMEND
	v_fmac_f32_e32 v30, v3, v27
	v_fmac_f32_e32 v31, v10, v28
	v_lshlrev_b32_e32 v3, 2, v9
	v_xor_b32_e32 v10, 1, v11
	v_add_f32_e32 v9, v30, v31
	v_cmp_gt_i32_e64 s3, 32, v10
	ds_bpermute_b32 v3, v3, v9
	v_cndmask_b32_e64 v10, v11, v10, s3
	s_waitcnt lgkmcnt(0)
	v_add_f32_e32 v3, v9, v3
	v_lshlrev_b32_e32 v9, 2, v10
	ds_bpermute_b32 v9, v9, v3
	s_and_saveexec_b32 s49, vcc_lo
	s_cbranch_execz .LBB262_11
; %bb.147:                              ;   in Loop: Header=BB262_13 Depth=1
	v_add_nc_u32_e32 v10, v23, v17
	s_waitcnt lgkmcnt(0)
	v_add_f32_e32 v3, v3, v9
	v_cvt_f32_i32_e32 v10, v10
	v_mul_f32_e32 v10, s44, v10
	v_cndmask_b32_e64 v9, 0, v10, s2
	v_max_f32_e32 v10, v14, v14
	v_fmac_f32_e32 v9, s41, v3
	v_add_nc_u32_e32 v3, v15, v17
	v_max_f32_e32 v10, v10, v9
	v_cmp_gt_i32_e64 s3, s31, v3
	v_cndmask_b32_e64 v3, 0, v9, s3
	v_cndmask_b32_e64 v14, v14, v10, s3
	ds_write_b32 v24, v3
	s_branch .LBB262_11
.LBB262_148:
	s_or_b32 exec_lo, exec_lo, s47
.LBB262_149:
	s_or_b32 exec_lo, exec_lo, s45
	v_xor_b32_e32 v3, 16, v11
	v_xor_b32_e32 v5, 8, v11
	v_max_f32_e32 v7, v14, v14
	v_cmp_gt_i32_e32 vcc_lo, 32, v3
	v_cndmask_b32_e32 v3, v11, v3, vcc_lo
	v_cmp_gt_i32_e32 vcc_lo, 32, v5
	v_lshlrev_b32_e32 v4, 2, v3
	v_cndmask_b32_e32 v5, v11, v5, vcc_lo
	ds_bpermute_b32 v3, v4, v14
	v_lshlrev_b32_e32 v6, 2, v5
	v_and_b32_e32 v14, 31, v0
	s_waitcnt lgkmcnt(0)
	v_max_f32_e32 v3, v3, v3
	v_max_f32_e32 v3, v7, v3
	v_xor_b32_e32 v7, 4, v11
	ds_bpermute_b32 v5, v6, v3
	v_cmp_gt_i32_e32 vcc_lo, 32, v7
	v_cndmask_b32_e32 v7, v11, v7, vcc_lo
	v_cmp_eq_u32_e32 vcc_lo, 0, v14
	v_lshlrev_b32_e32 v9, 2, v7
	v_lshlrev_b32_e32 v7, 2, v12
	s_waitcnt lgkmcnt(0)
	v_max_f32_e32 v5, v5, v5
	v_max_f32_e32 v3, v3, v5
	ds_bpermute_b32 v5, v9, v3
	s_and_saveexec_b32 s2, vcc_lo
	s_cbranch_execz .LBB262_151
; %bb.150:
	s_waitcnt lgkmcnt(0)
	v_max_f32_e32 v5, v5, v5
	v_max_f32_e32 v3, v3, v3
	;; [unrolled: 1-line block ×3, first 2 shown]
	ds_write_b32 v7, v3 offset:128
.LBB262_151:
	s_or_b32 exec_lo, exec_lo, s2
	v_cmp_gt_u32_e64 s2, 4, v14
	v_mov_b32_e32 v3, 0xff7fffff
	v_lshlrev_b32_e32 v8, 2, v14
	s_waitcnt lgkmcnt(0)
	s_barrier
	buffer_gl0_inv
	s_and_saveexec_b32 s3, s2
; %bb.152:
	ds_read_b32 v3, v8 offset:128
; %bb.153:
	s_or_b32 exec_lo, exec_lo, s3
	v_xor_b32_e32 v5, 2, v11
	v_xor_b32_e32 v15, 1, v11
	v_cmp_gt_i32_e64 s3, 32, v5
	v_cndmask_b32_e64 v5, v11, v5, s3
	v_cmp_gt_i32_e64 s3, 32, v15
	v_lshlrev_b32_e32 v10, 2, v5
	v_cndmask_b32_e64 v11, v11, v15, s3
	v_mov_b32_e32 v15, 0
	s_sub_i32 s3, s20, s16
	s_lshl_b32 s3, s3, 3
	s_waitcnt lgkmcnt(0)
	ds_bpermute_b32 v5, v10, v3
	v_max_f32_e32 v3, v3, v3
	v_lshlrev_b32_e32 v11, 2, v11
	s_add_i32 s3, s3, s42
	s_min_i32 s3, s3, s31
	s_sub_i32 s5, s3, s42
	v_cmp_gt_i32_e64 s3, s5, v0
	s_waitcnt lgkmcnt(0)
	v_max_f32_e32 v5, v5, v5
	v_max_f32_e32 v3, v3, v5
	ds_bpermute_b32 v5, v11, v3
	s_waitcnt lgkmcnt(0)
	v_max_f32_e32 v5, v5, v5
	v_max_f32_e32 v3, v3, v5
	v_lshl_add_u32 v5, v0, 2, 0xa0
	ds_bpermute_b32 v3, v15, v3
	s_and_saveexec_b32 s12, s3
	s_cbranch_execz .LBB262_157
; %bb.154:
	v_lshl_add_u32 v16, v0, 2, 0xa0
	v_mov_b32_e32 v15, 0
	v_mov_b32_e32 v17, v0
	s_mov_b32 s13, 0
	.p2align	6
.LBB262_155:                            ; =>This Inner Loop Header: Depth=1
	ds_read_b32 v18, v16
	v_add_nc_u32_e32 v17, 0x80, v17
	v_cmp_le_i32_e64 s4, s5, v17
	s_or_b32 s13, s4, s13
	s_waitcnt lgkmcnt(0)
	v_sub_f32_e32 v18, v18, v3
	v_mul_f32_e32 v18, 0x3fb8aa3b, v18
	v_exp_f32_e32 v18, v18
	ds_write_b32 v16, v18
	v_add_f32_e32 v15, v15, v18
	v_add_nc_u32_e32 v16, 0x200, v16
	s_andn2_b32 exec_lo, exec_lo, s13
	s_cbranch_execnz .LBB262_155
; %bb.156:
	s_or_b32 exec_lo, exec_lo, s13
.LBB262_157:
	s_or_b32 exec_lo, exec_lo, s12
	ds_bpermute_b32 v4, v4, v15
	s_waitcnt lgkmcnt(0)
	v_add_f32_e32 v4, v15, v4
	ds_bpermute_b32 v6, v6, v4
	s_waitcnt lgkmcnt(0)
	v_add_f32_e32 v4, v4, v6
	;; [unrolled: 3-line block ×5, first 2 shown]
	s_and_saveexec_b32 s4, vcc_lo
; %bb.158:
	ds_write_b32 v7, v4 offset:144
; %bb.159:
	s_or_b32 exec_lo, exec_lo, s4
	s_waitcnt lgkmcnt(0)
	s_barrier
	buffer_gl0_inv
	s_and_saveexec_b32 s4, s2
; %bb.160:
	ds_read_b32 v4, v8 offset:144
; %bb.161:
	s_or_b32 exec_lo, exec_lo, s4
	s_waitcnt lgkmcnt(0)
	ds_bpermute_b32 v6, v10, v4
	s_waitcnt lgkmcnt(0)
	v_add_f32_e32 v4, v4, v6
	ds_bpermute_b32 v6, v11, v4
	s_waitcnt lgkmcnt(0)
	v_add_f32_e32 v4, v4, v6
	v_mov_b32_e32 v6, 0
	ds_bpermute_b32 v4, v6, v4
	s_and_saveexec_b32 s2, s3
	s_cbranch_execz .LBB262_164
; %bb.162:
	s_waitcnt lgkmcnt(0)
	v_add_f32_e32 v6, 0x358637bd, v4
	s_mov_b32 s3, 0
	v_div_scale_f32 v7, null, v6, v6, 1.0
	v_div_scale_f32 v10, vcc_lo, 1.0, v6, 1.0
	v_rcp_f32_e32 v8, v7
	v_fma_f32 v9, -v7, v8, 1.0
	v_fmac_f32_e32 v8, v9, v8
	v_mul_f32_e32 v9, v10, v8
	v_fma_f32 v11, -v7, v9, v10
	v_fmac_f32_e32 v9, v11, v8
	v_fma_f32 v7, -v7, v9, v10
	v_div_fmas_f32 v7, v7, v8, v9
	v_div_fixup_f32 v6, v7, v6, 1.0
	v_mov_b32_e32 v7, v0
.LBB262_163:                            ; =>This Inner Loop Header: Depth=1
	ds_read_b32 v8, v5
	v_add_nc_u32_e32 v7, 0x80, v7
	v_cmp_le_i32_e32 vcc_lo, s5, v7
	s_or_b32 s3, vcc_lo, s3
	s_waitcnt lgkmcnt(0)
	v_mul_f32_e32 v8, v6, v8
	ds_write_b32 v5, v8
	v_add_nc_u32_e32 v5, 0x200, v5
	s_andn2_b32 exec_lo, exec_lo, s3
	s_cbranch_execnz .LBB262_163
.LBB262_164:
	s_or_b32 exec_lo, exec_lo, s2
	s_mul_i32 s2, s7, s30
	s_mov_b32 s4, exec_lo
	s_mul_i32 s2, s2, s9
	s_waitcnt lgkmcnt(0)
	s_barrier
	buffer_gl0_inv
	v_cmpx_eq_u32_e32 0, v0
	s_cbranch_execz .LBB262_166
; %bb.165:
	s_ashr_i32 s3, s2, 31
	s_mul_i32 s44, s7, s6
	s_lshl_b64 s[12:13], s[2:3], 2
	v_mov_b32_e32 v5, 0
	s_add_u32 s3, s26, s12
	s_addc_u32 s5, s27, s13
	s_ashr_i32 s45, s44, 31
	s_lshl_b64 s[26:27], s[44:45], 2
	s_add_u32 s3, s3, s26
	s_addc_u32 s5, s5, s27
	s_ashr_i32 s9, s8, 31
	s_lshl_b64 s[8:9], s[8:9], 2
	s_add_u32 s44, s3, s8
	s_addc_u32 s45, s5, s9
	s_add_u32 s3, s24, s12
	s_addc_u32 s5, s25, s13
	;; [unrolled: 2-line block ×4, first 2 shown]
	global_store_dword v5, v3, s[44:45]
	global_store_dword v5, v4, s[8:9]
.LBB262_166:
	s_or_b32 exec_lo, exec_lo, s4
	v_mov_b32_e32 v16, 0
	v_mov_b32_e32 v15, 0
	s_and_saveexec_b32 s3, s1
	s_cbranch_execz .LBB262_304
; %bb.167:
	s_sub_i32 s6, s43, s21
	s_ashr_i32 s1, s18, 31
	s_add_u32 s12, s38, s18
	s_addc_u32 s1, s39, s1
	s_abs_i32 s8, s22
	v_lshlrev_b64 v[6:7], 2, v[1:2]
	v_cvt_f32_u32_e32 v3, s8
	s_sub_i32 s4, 0, s8
	v_lshlrev_b32_e32 v4, 3, v14
	s_add_i32 s40, s40, -1
	v_lshl_add_u32 v17, v12, 5, 0xa0
	v_rcp_iflag_f32_e32 v3, v3
	v_mov_b32_e32 v18, 0x80
	v_add_co_u32 v4, s12, s12, v4
	v_add_co_ci_u32_e64 v5, null, s1, 0, s12
	v_mov_b32_e32 v19, 0x7f
	v_mov_b32_e32 v20, 7
	;; [unrolled: 1-line block ×4, first 2 shown]
	v_mul_f32_e32 v3, 0x4f7ffffe, v3
	v_mov_b32_e32 v16, 0
	s_mov_b32 s9, s17
	s_mov_b32 s12, 0
	v_cvt_u32_f32_e32 v8, v3
	v_mov_b32_e32 v3, 0
	v_mul_lo_u32 v2, s4, v8
	s_lshl_b64 s[4:5], s[36:37], 2
	s_add_u32 s1, s34, s4
	s_addc_u32 s4, s35, s5
	v_add_co_u32 v6, vcc_lo, s1, v6
	v_add_co_ci_u32_e64 v7, null, s4, v7, vcc_lo
	v_mul_hi_u32 v2, v8, v2
	s_mov_b32 s4, -1
	s_mov_b32 s5, 0xffffff
	v_add_nc_u32_e32 v22, v8, v2
	s_branch .LBB262_170
.LBB262_168:                            ;   in Loop: Header=BB262_170 Depth=1
	s_or_b32 exec_lo, exec_lo, s1
	;;#ASMSTART
	v_pk_mul_f16 v2, v33, v40;

	;;#ASMEND
	;;#ASMSTART
	v_pk_mul_f16 v8, v32, v35;

	;;#ASMEND
	;; [unrolled: 4-line block ×4, first 2 shown]
	;;#ASMSTART
	v_pk_add_f16 v2, v2, v8;

	;;#ASMEND
	;;#ASMSTART
	v_pk_add_f16 v2, v2, v10;

	;;#ASMEND
	;; [unrolled: 4-line block ×3, first 2 shown]
	v_and_b32_e32 v8, 0xffff, v2
	v_lshrrev_b32_e32 v9, 16, v2
	;;#ASMSTART
	v_cvt_f32_f16 v8, v8;
	;;#ASMEND
	v_add_f32_e32 v2, v28, v30
	;;#ASMSTART
	v_cvt_f32_f16 v9, v9;
	;;#ASMEND
	v_add_f32_e32 v8, v8, v9
	v_add_f32_e32 v16, v16, v2
	;; [unrolled: 1-line block ×3, first 2 shown]
.LBB262_169:                            ;   in Loop: Header=BB262_170 Depth=1
	s_or_b32 exec_lo, exec_lo, s13
	v_add_nc_u32_e32 v1, 4, v1
	v_add_co_u32 v6, s1, v6, 16
	v_add_co_ci_u32_e64 v7, null, 0, v7, s1
	v_cmp_le_i32_e32 vcc_lo, s20, v1
	v_add_nc_u32_e32 v13, 32, v13
	v_add_nc_u32_e32 v17, 0x80, v17
	s_or_b32 s12, vcc_lo, s12
	s_andn2_b32 exec_lo, exec_lo, s12
	s_cbranch_execz .LBB262_303
.LBB262_170:                            ; =>This Inner Loop Header: Depth=1
	v_sub_nc_u32_e32 v2, 0, v13
	v_max_i32_e32 v2, v13, v2
	v_mul_hi_u32 v8, v2, s19
	v_mul_lo_u32 v9, v8, s11
	v_sub_nc_u32_e32 v2, v2, v9
	v_add_nc_u32_e32 v9, 1, v8
	v_subrev_nc_u32_e32 v10, s11, v2
	v_cmp_le_u32_e32 vcc_lo, s11, v2
	v_cndmask_b32_e32 v8, v8, v9, vcc_lo
	v_cndmask_b32_e32 v2, v2, v10, vcc_lo
	v_ashrrev_i32_e32 v9, 31, v13
	v_add_nc_u32_e32 v10, 1, v8
	v_cmp_le_u32_e32 vcc_lo, s11, v2
	v_xor_b32_e32 v9, s23, v9
	v_cndmask_b32_e32 v2, v8, v10, vcc_lo
	v_xor_b32_e32 v2, v2, v9
	v_sub_nc_u32_e32 v2, v2, v9
	v_add_nc_u32_e32 v8, s33, v2
	v_cmp_lt_i32_e64 s1, s6, v2
	v_sub_nc_u32_e32 v9, 0, v8
	v_max_i32_e32 v9, v8, v9
	v_ashrrev_i32_e32 v8, 31, v8
	v_mul_hi_u32 v10, v9, v22
	v_mul_lo_u32 v10, v10, s8
	v_sub_nc_u32_e32 v9, v9, v10
	v_subrev_nc_u32_e32 v10, s8, v9
	v_cmp_le_u32_e32 vcc_lo, s8, v9
	v_cndmask_b32_e32 v9, v9, v10, vcc_lo
	v_subrev_nc_u32_e32 v10, s8, v9
	v_cmp_le_u32_e32 vcc_lo, s8, v9
	v_cndmask_b32_e32 v9, v9, v10, vcc_lo
	v_xor_b32_e32 v9, v9, v8
	v_sub_nc_u32_e32 v8, v9, v8
	v_cmp_eq_u32_e32 vcc_lo, 0, v8
	s_or_b32 s1, vcc_lo, s1
	s_and_saveexec_b32 s13, s1
	s_cbranch_execz .LBB262_169
; %bb.171:                              ;   in Loop: Header=BB262_170 Depth=1
	global_load_dword v2, v[6:7], off
	ds_read2_b64 v[23:26], v17 offset1:1
	ds_read2_b64 v[33:36], v17 offset0:2 offset1:3
	s_waitcnt lgkmcnt(1)
	;;#ASMSTART
	v_cvt_f16_f32 v28, v23;

	;;#ASMEND
	;;#ASMSTART
	v_cvt_f16_f32 v29, v24;

	;;#ASMEND
	;; [unrolled: 4-line block ×4, first 2 shown]
	s_waitcnt lgkmcnt(0)
	;;#ASMSTART
	v_cvt_f16_f32 v33, v33;

	;;#ASMEND
	;;#ASMSTART
	v_cvt_f16_f32 v31, v34;

	;;#ASMEND
	;;#ASMSTART
	v_cvt_f16_f32 v35, v35;

	;;#ASMEND
	;;#ASMSTART
	v_cvt_f16_f32 v34, v36;

	;;#ASMEND
	v_mov_b32_e32 v24, 0
	v_mov_b32_e32 v25, 0
	global_load_dword v23, v24, s[14:15]
	s_waitcnt vmcnt(1)
	v_mad_i64_i32 v[8:9], null, v2, s9, v[4:5]
	global_load_dwordx2 v[10:11], v[8:9], off
	s_waitcnt vmcnt(0)
	v_cmp_ne_u16_sdwa s17, v10, v3 src0_sel:BYTE_0 src1_sel:DWORD
	s_and_saveexec_b32 s1, s17
	s_cbranch_execz .LBB262_179
; %bb.172:                              ;   in Loop: Header=BB262_170 Depth=1
	v_cmp_ne_u16_sdwa s18, v10, v18 src0_sel:BYTE_0 src1_sel:DWORD
	v_mov_b32_e32 v25, 0x8000
	s_and_saveexec_b32 s17, s18
	s_cbranch_execz .LBB262_178
; %bb.173:                              ;   in Loop: Header=BB262_170 Depth=1
	v_and_b32_e32 v26, 0x7f, v10
	v_mov_b32_e32 v25, 0x7c01
	s_mov_b32 s18, exec_lo
	v_cmpx_ne_u32_e32 0x7f, v26
	s_cbranch_execz .LBB262_177
; %bb.174:                              ;   in Loop: Header=BB262_170 Depth=1
	v_and_b32_e32 v2, 7, v10
	v_lshrrev_b32_e32 v25, 3, v26
	s_mov_b32 s21, exec_lo
	v_cmpx_gt_u32_e32 8, v26
; %bb.175:                              ;   in Loop: Header=BB262_170 Depth=1
	v_ffbh_u32_e32 v2, v2
	v_min_u32_e32 v2, 32, v2
	v_subrev_nc_u32_e32 v25, 28, v2
	v_lshlrev_b64 v[26:27], v25, v[10:11]
	v_sub_nc_u32_e32 v25, 29, v2
	v_and_b32_e32 v2, 7, v26
; %bb.176:                              ;   in Loop: Header=BB262_170 Depth=1
	s_or_b32 exec_lo, exec_lo, s21
	v_lshlrev_b32_e32 v26, 8, v10
	v_lshl_add_u32 v25, v25, 10, 0x2000
	v_lshlrev_b32_e32 v2, 7, v2
	v_and_b32_e32 v26, 0x8000, v26
	v_and_b32_e32 v25, 0xfc00, v25
	v_or3_b32 v25, v26, v25, v2
.LBB262_177:                            ;   in Loop: Header=BB262_170 Depth=1
	s_or_b32 exec_lo, exec_lo, s18
.LBB262_178:                            ;   in Loop: Header=BB262_170 Depth=1
	s_or_b32 exec_lo, exec_lo, s17
.LBB262_179:                            ;   in Loop: Header=BB262_170 Depth=1
	s_or_b32 exec_lo, exec_lo, s1
	v_lshrrev_b16 v2, 8, v10
	s_mov_b32 s1, exec_lo
	v_cmpx_ne_u16_e32 0, v2
	s_cbranch_execz .LBB262_187
; %bb.180:                              ;   in Loop: Header=BB262_170 Depth=1
	v_bfrev_b32_e32 v24, 1
	s_mov_b32 s17, exec_lo
	v_cmpx_ne_u16_e32 0x80, v2
	s_cbranch_execz .LBB262_186
; %bb.181:                              ;   in Loop: Header=BB262_170 Depth=1
	v_and_b32_sdwa v27, v2, v19 dst_sel:DWORD dst_unused:UNUSED_PAD src0_sel:WORD_0 src1_sel:DWORD
	v_mov_b32_e32 v24, 0x7c010000
	s_mov_b32 s18, exec_lo
	v_cmpx_ne_u32_e32 0x7f, v27
	s_cbranch_execz .LBB262_185
; %bb.182:                              ;   in Loop: Header=BB262_170 Depth=1
	v_and_b32_sdwa v24, v2, v20 dst_sel:DWORD dst_unused:UNUSED_PAD src0_sel:WORD_0 src1_sel:DWORD
	v_lshrrev_b32_e32 v26, 3, v27
	s_mov_b32 s21, exec_lo
	v_cmpx_gt_u32_e32 8, v27
; %bb.183:                              ;   in Loop: Header=BB262_170 Depth=1
	v_ffbh_u32_e32 v24, v24
	v_min_u32_e32 v24, 32, v24
	v_subrev_nc_u32_e32 v26, 28, v24
	v_lshlrev_b64 v[36:37], v26, v[2:3]
	v_sub_nc_u32_e32 v26, 29, v24
	v_and_b32_e32 v24, 7, v36
; %bb.184:                              ;   in Loop: Header=BB262_170 Depth=1
	s_or_b32 exec_lo, exec_lo, s21
	v_lshlrev_b32_sdwa v2, v21, v2 dst_sel:DWORD dst_unused:UNUSED_PAD src0_sel:DWORD src1_sel:WORD_0
	v_lshl_add_u32 v26, v26, 10, 0x2000
	v_lshlrev_b32_e32 v24, 23, v24
	v_and_or_b32 v2, 0x8000, v2, v26
	v_lshl_or_b32 v24, v2, 16, v24
.LBB262_185:                            ;   in Loop: Header=BB262_170 Depth=1
	s_or_b32 exec_lo, exec_lo, s18
.LBB262_186:                            ;   in Loop: Header=BB262_170 Depth=1
	s_or_b32 exec_lo, exec_lo, s17
.LBB262_187:                            ;   in Loop: Header=BB262_170 Depth=1
	s_or_b32 exec_lo, exec_lo, s1
	v_lshrrev_b32_e32 v2, 16, v10
	v_mov_b32_e32 v26, 0
	v_mov_b32_e32 v27, 0
	v_cmp_ne_u16_sdwa s17, v2, v3 src0_sel:BYTE_0 src1_sel:DWORD
	s_and_saveexec_b32 s1, s17
	s_cbranch_execz .LBB262_195
; %bb.188:                              ;   in Loop: Header=BB262_170 Depth=1
	v_cmp_ne_u16_sdwa s18, v2, v18 src0_sel:BYTE_0 src1_sel:DWORD
	v_mov_b32_e32 v27, 0x8000
	s_and_saveexec_b32 s17, s18
	s_cbranch_execz .LBB262_194
; %bb.189:                              ;   in Loop: Header=BB262_170 Depth=1
	v_bfe_u32 v37, v10, 16, 7
	v_mov_b32_e32 v27, 0x7c01
	s_mov_b32 s18, exec_lo
	v_cmpx_ne_u32_e32 0x7f, v37
	s_cbranch_execz .LBB262_193
; %bb.190:                              ;   in Loop: Header=BB262_170 Depth=1
	v_and_b32_e32 v27, 7, v2
	v_lshrrev_b32_e32 v36, 3, v37
	s_mov_b32 s21, exec_lo
	v_cmpx_gt_u32_e32 8, v37
; %bb.191:                              ;   in Loop: Header=BB262_170 Depth=1
	v_ffbh_u32_e32 v27, v27
	v_min_u32_e32 v27, 32, v27
	v_subrev_nc_u32_e32 v36, 28, v27
	v_lshlrev_b64 v[37:38], v36, v[2:3]
	v_sub_nc_u32_e32 v36, 29, v27
	v_and_b32_e32 v27, 7, v37
; %bb.192:                              ;   in Loop: Header=BB262_170 Depth=1
	s_or_b32 exec_lo, exec_lo, s21
	v_lshlrev_b32_e32 v2, 8, v2
	v_lshl_add_u32 v36, v36, 10, 0x2000
	v_lshlrev_b32_e32 v27, 7, v27
	v_and_b32_e32 v2, 0x8000, v2
	v_and_b32_e32 v36, 0xfc00, v36
	v_or3_b32 v27, v2, v36, v27
.LBB262_193:                            ;   in Loop: Header=BB262_170 Depth=1
	s_or_b32 exec_lo, exec_lo, s18
.LBB262_194:                            ;   in Loop: Header=BB262_170 Depth=1
	s_or_b32 exec_lo, exec_lo, s17
.LBB262_195:                            ;   in Loop: Header=BB262_170 Depth=1
	s_or_b32 exec_lo, exec_lo, s1
	s_mov_b32 s1, exec_lo
	v_cmpx_lt_u32_e32 0xffffff, v10
	s_cbranch_execz .LBB262_203
; %bb.196:                              ;   in Loop: Header=BB262_170 Depth=1
	v_lshrrev_b32_e32 v2, 24, v10
	v_bfrev_b32_e32 v26, 1
	s_mov_b32 s17, exec_lo
	v_cmpx_ne_u32_e32 0x80, v2
	s_cbranch_execz .LBB262_202
; %bb.197:                              ;   in Loop: Header=BB262_170 Depth=1
	v_and_b32_e32 v37, 0x7f, v2
	v_mov_b32_e32 v26, 0x7c010000
	s_mov_b32 s18, exec_lo
	v_cmpx_ne_u32_e32 0x7f, v37
	s_cbranch_execz .LBB262_201
; %bb.198:                              ;   in Loop: Header=BB262_170 Depth=1
	v_and_b32_e32 v26, 7, v2
	v_lshrrev_b32_e32 v36, 3, v37
	s_mov_b32 s21, exec_lo
	v_cmpx_gt_u32_e32 8, v37
; %bb.199:                              ;   in Loop: Header=BB262_170 Depth=1
	v_ffbh_u32_e32 v26, v26
	v_min_u32_e32 v26, 32, v26
	v_subrev_nc_u32_e32 v36, 28, v26
	v_lshlrev_b64 v[37:38], v36, v[2:3]
	v_sub_nc_u32_e32 v36, 29, v26
	v_and_b32_e32 v26, 7, v37
; %bb.200:                              ;   in Loop: Header=BB262_170 Depth=1
	s_or_b32 exec_lo, exec_lo, s21
	v_lshlrev_b32_e32 v2, 8, v2
	v_lshl_add_u32 v36, v36, 10, 0x2000
	v_lshlrev_b32_e32 v26, 23, v26
	v_and_or_b32 v2, 0x8000, v2, v36
	v_lshl_or_b32 v26, v2, 16, v26
.LBB262_201:                            ;   in Loop: Header=BB262_170 Depth=1
	s_or_b32 exec_lo, exec_lo, s18
.LBB262_202:                            ;   in Loop: Header=BB262_170 Depth=1
	s_or_b32 exec_lo, exec_lo, s17
.LBB262_203:                            ;   in Loop: Header=BB262_170 Depth=1
	s_or_b32 exec_lo, exec_lo, s1
	v_mov_b32_e32 v2, v11
	v_cmp_ne_u16_sdwa s17, v11, v3 src0_sel:BYTE_0 src1_sel:DWORD
	v_mov_b32_e32 v36, 0
	v_mov_b32_e32 v37, 0
	s_and_saveexec_b32 s1, s17
	s_cbranch_execz .LBB262_211
; %bb.204:                              ;   in Loop: Header=BB262_170 Depth=1
	v_cmp_ne_u16_sdwa s18, v11, v18 src0_sel:BYTE_0 src1_sel:DWORD
	v_mov_b32_e32 v37, 0x8000
	s_and_saveexec_b32 s17, s18
	s_cbranch_execz .LBB262_210
; %bb.205:                              ;   in Loop: Header=BB262_170 Depth=1
	v_and_b32_e32 v39, 0x7f, v11
	v_mov_b32_e32 v37, 0x7c01
	s_mov_b32 s18, exec_lo
	v_cmpx_ne_u32_e32 0x7f, v39
	s_cbranch_execz .LBB262_209
; %bb.206:                              ;   in Loop: Header=BB262_170 Depth=1
	v_and_b32_e32 v37, 7, v11
	v_lshrrev_b32_e32 v38, 3, v39
	s_mov_b32 s21, exec_lo
	v_cmpx_gt_u32_e32 8, v39
; %bb.207:                              ;   in Loop: Header=BB262_170 Depth=1
	v_ffbh_u32_e32 v37, v37
	v_min_u32_e32 v39, 32, v37
	v_subrev_nc_u32_e32 v37, 28, v39
	v_lshlrev_b64 v[37:38], v37, v[2:3]
	v_sub_nc_u32_e32 v38, 29, v39
	v_and_b32_e32 v37, 7, v37
; %bb.208:                              ;   in Loop: Header=BB262_170 Depth=1
	s_or_b32 exec_lo, exec_lo, s21
	v_lshlrev_b32_e32 v39, 8, v11
	v_lshl_add_u32 v38, v38, 10, 0x2000
	v_lshlrev_b32_e32 v37, 7, v37
	v_and_b32_e32 v39, 0x8000, v39
	v_and_b32_e32 v38, 0xfc00, v38
	v_or3_b32 v37, v39, v38, v37
.LBB262_209:                            ;   in Loop: Header=BB262_170 Depth=1
	s_or_b32 exec_lo, exec_lo, s18
.LBB262_210:                            ;   in Loop: Header=BB262_170 Depth=1
	s_or_b32 exec_lo, exec_lo, s17
.LBB262_211:                            ;   in Loop: Header=BB262_170 Depth=1
	s_or_b32 exec_lo, exec_lo, s1
	v_lshrrev_b16 v2, 8, v2
	v_mov_b32_e32 v38, 0
	s_mov_b32 s1, exec_lo
	v_cmpx_ne_u16_e32 0, v2
	s_cbranch_execz .LBB262_219
; %bb.212:                              ;   in Loop: Header=BB262_170 Depth=1
	v_bfrev_b32_e32 v38, 1
	s_mov_b32 s17, exec_lo
	v_cmpx_ne_u16_e32 0x80, v2
	s_cbranch_execz .LBB262_218
; %bb.213:                              ;   in Loop: Header=BB262_170 Depth=1
	v_and_b32_sdwa v40, v2, v19 dst_sel:DWORD dst_unused:UNUSED_PAD src0_sel:WORD_0 src1_sel:DWORD
	v_mov_b32_e32 v38, 0x7c010000
	s_mov_b32 s18, exec_lo
	v_cmpx_ne_u32_e32 0x7f, v40
	s_cbranch_execz .LBB262_217
; %bb.214:                              ;   in Loop: Header=BB262_170 Depth=1
	v_and_b32_sdwa v38, v2, v20 dst_sel:DWORD dst_unused:UNUSED_PAD src0_sel:WORD_0 src1_sel:DWORD
	v_lshrrev_b32_e32 v39, 3, v40
	s_mov_b32 s21, exec_lo
	v_cmpx_gt_u32_e32 8, v40
; %bb.215:                              ;   in Loop: Header=BB262_170 Depth=1
	v_ffbh_u32_e32 v38, v38
	v_min_u32_e32 v40, 32, v38
	v_subrev_nc_u32_e32 v38, 28, v40
	v_lshlrev_b64 v[38:39], v38, v[2:3]
	v_sub_nc_u32_e32 v39, 29, v40
	v_and_b32_e32 v38, 7, v38
; %bb.216:                              ;   in Loop: Header=BB262_170 Depth=1
	s_or_b32 exec_lo, exec_lo, s21
	v_lshlrev_b32_sdwa v2, v21, v2 dst_sel:DWORD dst_unused:UNUSED_PAD src0_sel:DWORD src1_sel:WORD_0
	v_lshl_add_u32 v39, v39, 10, 0x2000
	v_lshlrev_b32_e32 v38, 23, v38
	v_and_or_b32 v2, 0x8000, v2, v39
	v_lshl_or_b32 v38, v2, 16, v38
.LBB262_217:                            ;   in Loop: Header=BB262_170 Depth=1
	s_or_b32 exec_lo, exec_lo, s18
.LBB262_218:                            ;   in Loop: Header=BB262_170 Depth=1
	s_or_b32 exec_lo, exec_lo, s17
.LBB262_219:                            ;   in Loop: Header=BB262_170 Depth=1
	s_or_b32 exec_lo, exec_lo, s1
	v_lshrrev_b32_e32 v2, 16, v11
	v_cmp_ne_u16_sdwa s17, v2, v3 src0_sel:BYTE_0 src1_sel:DWORD
	s_and_saveexec_b32 s1, s17
	s_cbranch_execz .LBB262_227
; %bb.220:                              ;   in Loop: Header=BB262_170 Depth=1
	v_cmp_ne_u16_sdwa s18, v2, v18 src0_sel:BYTE_0 src1_sel:DWORD
	v_mov_b32_e32 v36, 0x8000
	s_and_saveexec_b32 s17, s18
	s_cbranch_execz .LBB262_226
; %bb.221:                              ;   in Loop: Header=BB262_170 Depth=1
	v_bfe_u32 v40, v11, 16, 7
	v_mov_b32_e32 v36, 0x7c01
	s_mov_b32 s18, exec_lo
	v_cmpx_ne_u32_e32 0x7f, v40
	s_cbranch_execz .LBB262_225
; %bb.222:                              ;   in Loop: Header=BB262_170 Depth=1
	v_and_b32_e32 v36, 7, v2
	v_lshrrev_b32_e32 v39, 3, v40
	s_mov_b32 s21, exec_lo
	v_cmpx_gt_u32_e32 8, v40
; %bb.223:                              ;   in Loop: Header=BB262_170 Depth=1
	v_ffbh_u32_e32 v36, v36
	v_min_u32_e32 v36, 32, v36
	v_subrev_nc_u32_e32 v39, 28, v36
	v_lshlrev_b64 v[40:41], v39, v[2:3]
	v_sub_nc_u32_e32 v39, 29, v36
	v_and_b32_e32 v36, 7, v40
; %bb.224:                              ;   in Loop: Header=BB262_170 Depth=1
	s_or_b32 exec_lo, exec_lo, s21
	v_lshlrev_b32_e32 v2, 8, v2
	v_lshl_add_u32 v39, v39, 10, 0x2000
	v_lshlrev_b32_e32 v36, 7, v36
	v_and_b32_e32 v2, 0x8000, v2
	v_and_b32_e32 v39, 0xfc00, v39
	v_or3_b32 v36, v2, v39, v36
.LBB262_225:                            ;   in Loop: Header=BB262_170 Depth=1
	s_or_b32 exec_lo, exec_lo, s18
.LBB262_226:                            ;   in Loop: Header=BB262_170 Depth=1
	s_or_b32 exec_lo, exec_lo, s17
.LBB262_227:                            ;   in Loop: Header=BB262_170 Depth=1
	s_or_b32 exec_lo, exec_lo, s1
	v_cmp_lt_u64_e32 vcc_lo, s[4:5], v[10:11]
	v_mov_b32_e32 v10, 0
	s_and_saveexec_b32 s1, vcc_lo
	s_cbranch_execz .LBB262_235
; %bb.228:                              ;   in Loop: Header=BB262_170 Depth=1
	v_lshrrev_b32_e32 v2, 24, v11
	v_bfrev_b32_e32 v10, 1
	s_mov_b32 s17, exec_lo
	v_cmpx_ne_u32_e32 0x80, v2
	s_cbranch_execz .LBB262_234
; %bb.229:                              ;   in Loop: Header=BB262_170 Depth=1
	v_and_b32_e32 v39, 0x7f, v2
	v_mov_b32_e32 v10, 0x7c010000
	s_mov_b32 s18, exec_lo
	v_cmpx_ne_u32_e32 0x7f, v39
	s_cbranch_execz .LBB262_233
; %bb.230:                              ;   in Loop: Header=BB262_170 Depth=1
	v_and_b32_e32 v10, 7, v2
	v_lshrrev_b32_e32 v11, 3, v39
	s_mov_b32 s21, exec_lo
	v_cmpx_gt_u32_e32 8, v39
; %bb.231:                              ;   in Loop: Header=BB262_170 Depth=1
	v_ffbh_u32_e32 v10, v10
	v_min_u32_e32 v39, 32, v10
	v_subrev_nc_u32_e32 v10, 28, v39
	v_lshlrev_b64 v[10:11], v10, v[2:3]
	v_sub_nc_u32_e32 v11, 29, v39
	v_and_b32_e32 v10, 7, v10
; %bb.232:                              ;   in Loop: Header=BB262_170 Depth=1
	s_or_b32 exec_lo, exec_lo, s21
	v_lshlrev_b32_e32 v2, 8, v2
	v_lshl_add_u32 v11, v11, 10, 0x2000
	v_lshlrev_b32_e32 v10, 23, v10
	v_and_or_b32 v2, 0x8000, v2, v11
	v_lshl_or_b32 v10, v2, 16, v10
.LBB262_233:                            ;   in Loop: Header=BB262_170 Depth=1
	s_or_b32 exec_lo, exec_lo, s18
.LBB262_234:                            ;   in Loop: Header=BB262_170 Depth=1
	s_or_b32 exec_lo, exec_lo, s17
.LBB262_235:                            ;   in Loop: Header=BB262_170 Depth=1
	s_or_b32 exec_lo, exec_lo, s1
	v_or_b32_e32 v2, v26, v27
	v_fma_mixlo_f16 v11, v23, v26, 0 op_sel:[0,1,0] op_sel_hi:[0,1,0]
	v_or_b32_e32 v25, v24, v25
	v_fma_mixlo_f16 v24, v23, v24, 0 op_sel:[0,1,0] op_sel_hi:[0,1,0]
	v_or_b32_e32 v26, v38, v37
	v_fma_mixlo_f16 v2, v23, v2, 0 op_sel_hi:[0,1,0]
	v_or_b32_e32 v27, v10, v36
	v_lshlrev_b32_e32 v36, 16, v11
	v_lshlrev_b32_e32 v44, 16, v24
	v_fma_mixlo_f16 v11, v23, v25, 0 op_sel_hi:[0,1,0]
	v_and_b32_e32 v41, 0xffff, v2
	v_fma_mixlo_f16 v2, v23, v38, 0 op_sel:[0,1,0] op_sel_hi:[0,1,0]
	v_fma_mixlo_f16 v24, v23, v26, 0 op_sel_hi:[0,1,0]
	v_fma_mixlo_f16 v10, v23, v10, 0 op_sel:[0,1,0] op_sel_hi:[0,1,0]
	v_fma_mixlo_f16 v23, v23, v27, 0 op_sel_hi:[0,1,0]
	v_and_b32_e32 v46, 0xffff, v11
	v_lshlrev_b32_e32 v42, 16, v2
	v_and_b32_e32 v45, 0xffff, v24
	v_lshlrev_b32_e32 v39, 16, v10
	v_and_b32_e32 v43, 0xffff, v23
	v_cmp_eq_u32_e32 vcc_lo, s40, v1
	v_or_b32_e32 v2, v36, v41
	v_or_b32_e32 v37, v44, v46
	;; [unrolled: 1-line block ×4, first 2 shown]
	v_add_nc_u32_e32 v27, 1, v13
	v_add_nc_u32_e32 v26, 2, v13
	;; [unrolled: 1-line block ×7, first 2 shown]
	s_and_saveexec_b32 s17, vcc_lo
	s_cbranch_execz .LBB262_237
; %bb.236:                              ;   in Loop: Header=BB262_170 Depth=1
	v_cmp_gt_i32_e64 s1, s31, v13
	v_cndmask_b32_e64 v2, 0, v46, s1
	v_cmp_gt_i32_e64 s1, s31, v27
	v_cndmask_b32_e64 v37, 0, v44, s1
	v_cmp_gt_i32_e64 s1, s31, v26
	v_or_b32_e32 v37, v37, v2
	v_cndmask_b32_e64 v38, 0, v41, s1
	v_cmp_gt_i32_e64 s1, s31, v25
	v_cndmask_b32_e64 v36, 0, v36, s1
	v_cmp_gt_i32_e64 s1, s31, v24
	v_or_b32_e32 v2, v36, v38
	;; [unrolled: 5-line block ×3, first 2 shown]
	v_cndmask_b32_e64 v42, 0, v43, s1
	v_cmp_gt_i32_e64 s1, s31, v10
	v_cndmask_b32_e64 v39, 0, v39, s1
	v_or_b32_e32 v40, v39, v42
.LBB262_237:                            ;   in Loop: Header=BB262_170 Depth=1
	s_or_b32 exec_lo, exec_lo, s17
	v_and_b32_e32 v28, 0xffff, v28
	v_and_b32_e32 v32, 0xffff, v32
	;; [unrolled: 1-line block ×4, first 2 shown]
	v_lshl_or_b32 v33, v29, 16, v28
	v_lshl_or_b32 v32, v30, 16, v32
	;;#ASMSTART
	v_pk_mul_f16 v28, v33, v37;

	;;#ASMEND
	;;#ASMSTART
	v_pk_mul_f16 v2, v32, v2;

	;;#ASMEND
	v_lshl_or_b32 v31, v31, 16, v36
	v_lshl_or_b32 v29, v34, 16, v35
	;;#ASMSTART
	v_pk_mul_f16 v30, v31, v38;

	;;#ASMEND
	;;#ASMSTART
	v_pk_mul_f16 v34, v29, v40;

	;;#ASMEND
	;;#ASMSTART
	v_pk_add_f16 v2, v28, v2;

	;;#ASMEND
	;;#ASMSTART
	v_pk_add_f16 v2, v2, v30;
	;; [unrolled: 4-line block ×3, first 2 shown]

	;;#ASMEND
	v_and_b32_e32 v28, 0xffff, v2
	v_lshrrev_b32_e32 v2, 16, v2
	;;#ASMSTART
	v_cvt_f32_f16 v28, v28;
	;;#ASMEND
	;;#ASMSTART
	v_cvt_f32_f16 v30, v2;
	;;#ASMEND
	global_load_dwordx2 v[8:9], v[8:9], off offset:256
	v_mov_b32_e32 v35, 0
	v_mov_b32_e32 v36, 0
	global_load_dword v34, v35, s[14:15]
	s_waitcnt vmcnt(1)
	v_cmp_ne_u16_sdwa s1, v8, v3 src0_sel:BYTE_0 src1_sel:DWORD
	s_and_saveexec_b32 s17, s1
	s_cbranch_execz .LBB262_245
; %bb.238:                              ;   in Loop: Header=BB262_170 Depth=1
	v_cmp_ne_u16_sdwa s1, v8, v18 src0_sel:BYTE_0 src1_sel:DWORD
	v_mov_b32_e32 v36, 0x8000
	s_and_saveexec_b32 s18, s1
	s_cbranch_execz .LBB262_244
; %bb.239:                              ;   in Loop: Header=BB262_170 Depth=1
	v_and_b32_e32 v37, 0x7f, v8
	v_mov_b32_e32 v36, 0x7c01
	s_mov_b32 s21, exec_lo
	v_cmpx_ne_u32_e32 0x7f, v37
	s_cbranch_execz .LBB262_243
; %bb.240:                              ;   in Loop: Header=BB262_170 Depth=1
	v_and_b32_e32 v2, 7, v8
	v_lshrrev_b32_e32 v36, 3, v37
	s_mov_b32 s22, exec_lo
	v_cmpx_gt_u32_e32 8, v37
; %bb.241:                              ;   in Loop: Header=BB262_170 Depth=1
	v_ffbh_u32_e32 v2, v2
	v_min_u32_e32 v2, 32, v2
	v_subrev_nc_u32_e32 v36, 28, v2
	v_lshlrev_b64 v[37:38], v36, v[8:9]
	v_sub_nc_u32_e32 v36, 29, v2
	v_and_b32_e32 v2, 7, v37
; %bb.242:                              ;   in Loop: Header=BB262_170 Depth=1
	s_or_b32 exec_lo, exec_lo, s22
	v_lshlrev_b32_e32 v37, 8, v8
	v_lshl_add_u32 v36, v36, 10, 0x2000
	v_lshlrev_b32_e32 v2, 7, v2
	v_and_b32_e32 v37, 0x8000, v37
	v_and_b32_e32 v36, 0xfc00, v36
	v_or3_b32 v36, v37, v36, v2
.LBB262_243:                            ;   in Loop: Header=BB262_170 Depth=1
	s_or_b32 exec_lo, exec_lo, s21
.LBB262_244:                            ;   in Loop: Header=BB262_170 Depth=1
	s_or_b32 exec_lo, exec_lo, s18
.LBB262_245:                            ;   in Loop: Header=BB262_170 Depth=1
	s_or_b32 exec_lo, exec_lo, s17
	v_lshrrev_b16 v2, 8, v8
	s_mov_b32 s17, exec_lo
	v_cmpx_ne_u16_e32 0, v2
	s_cbranch_execz .LBB262_253
; %bb.246:                              ;   in Loop: Header=BB262_170 Depth=1
	v_bfrev_b32_e32 v35, 1
	s_mov_b32 s18, exec_lo
	v_cmpx_ne_u16_e32 0x80, v2
	s_cbranch_execz .LBB262_252
; %bb.247:                              ;   in Loop: Header=BB262_170 Depth=1
	v_and_b32_sdwa v38, v2, v19 dst_sel:DWORD dst_unused:UNUSED_PAD src0_sel:WORD_0 src1_sel:DWORD
	v_mov_b32_e32 v35, 0x7c010000
	s_mov_b32 s21, exec_lo
	v_cmpx_ne_u32_e32 0x7f, v38
	s_cbranch_execz .LBB262_251
; %bb.248:                              ;   in Loop: Header=BB262_170 Depth=1
	v_and_b32_sdwa v35, v2, v20 dst_sel:DWORD dst_unused:UNUSED_PAD src0_sel:WORD_0 src1_sel:DWORD
	v_lshrrev_b32_e32 v37, 3, v38
	s_mov_b32 s22, exec_lo
	v_cmpx_gt_u32_e32 8, v38
; %bb.249:                              ;   in Loop: Header=BB262_170 Depth=1
	v_ffbh_u32_e32 v35, v35
	v_min_u32_e32 v35, 32, v35
	v_subrev_nc_u32_e32 v37, 28, v35
	v_lshlrev_b64 v[38:39], v37, v[2:3]
	v_sub_nc_u32_e32 v37, 29, v35
	v_and_b32_e32 v35, 7, v38
; %bb.250:                              ;   in Loop: Header=BB262_170 Depth=1
	s_or_b32 exec_lo, exec_lo, s22
	v_lshlrev_b32_sdwa v2, v21, v2 dst_sel:DWORD dst_unused:UNUSED_PAD src0_sel:DWORD src1_sel:WORD_0
	v_lshl_add_u32 v37, v37, 10, 0x2000
	v_lshlrev_b32_e32 v35, 23, v35
	v_and_or_b32 v2, 0x8000, v2, v37
	v_lshl_or_b32 v35, v2, 16, v35
.LBB262_251:                            ;   in Loop: Header=BB262_170 Depth=1
	s_or_b32 exec_lo, exec_lo, s21
.LBB262_252:                            ;   in Loop: Header=BB262_170 Depth=1
	s_or_b32 exec_lo, exec_lo, s18
.LBB262_253:                            ;   in Loop: Header=BB262_170 Depth=1
	s_or_b32 exec_lo, exec_lo, s17
	v_lshrrev_b32_e32 v2, 16, v8
	v_mov_b32_e32 v37, 0
	v_mov_b32_e32 v38, 0
	v_cmp_ne_u16_sdwa s1, v2, v3 src0_sel:BYTE_0 src1_sel:DWORD
	s_and_saveexec_b32 s17, s1
	s_cbranch_execz .LBB262_261
; %bb.254:                              ;   in Loop: Header=BB262_170 Depth=1
	v_cmp_ne_u16_sdwa s1, v2, v18 src0_sel:BYTE_0 src1_sel:DWORD
	v_mov_b32_e32 v38, 0x8000
	s_and_saveexec_b32 s18, s1
	s_cbranch_execz .LBB262_260
; %bb.255:                              ;   in Loop: Header=BB262_170 Depth=1
	v_bfe_u32 v40, v8, 16, 7
	v_mov_b32_e32 v38, 0x7c01
	s_mov_b32 s21, exec_lo
	v_cmpx_ne_u32_e32 0x7f, v40
	s_cbranch_execz .LBB262_259
; %bb.256:                              ;   in Loop: Header=BB262_170 Depth=1
	v_and_b32_e32 v38, 7, v2
	v_lshrrev_b32_e32 v39, 3, v40
	s_mov_b32 s22, exec_lo
	v_cmpx_gt_u32_e32 8, v40
; %bb.257:                              ;   in Loop: Header=BB262_170 Depth=1
	v_ffbh_u32_e32 v38, v38
	v_min_u32_e32 v40, 32, v38
	v_subrev_nc_u32_e32 v38, 28, v40
	v_lshlrev_b64 v[38:39], v38, v[2:3]
	v_sub_nc_u32_e32 v39, 29, v40
	v_and_b32_e32 v38, 7, v38
; %bb.258:                              ;   in Loop: Header=BB262_170 Depth=1
	s_or_b32 exec_lo, exec_lo, s22
	v_lshlrev_b32_e32 v2, 8, v2
	v_lshl_add_u32 v39, v39, 10, 0x2000
	v_lshlrev_b32_e32 v38, 7, v38
	v_and_b32_e32 v2, 0x8000, v2
	v_and_b32_e32 v39, 0xfc00, v39
	v_or3_b32 v38, v2, v39, v38
.LBB262_259:                            ;   in Loop: Header=BB262_170 Depth=1
	s_or_b32 exec_lo, exec_lo, s21
.LBB262_260:                            ;   in Loop: Header=BB262_170 Depth=1
	s_or_b32 exec_lo, exec_lo, s18
.LBB262_261:                            ;   in Loop: Header=BB262_170 Depth=1
	s_or_b32 exec_lo, exec_lo, s17
	s_mov_b32 s17, exec_lo
	v_cmpx_lt_u32_e32 0xffffff, v8
	s_cbranch_execz .LBB262_269
; %bb.262:                              ;   in Loop: Header=BB262_170 Depth=1
	v_lshrrev_b32_e32 v2, 24, v8
	v_bfrev_b32_e32 v37, 1
	s_mov_b32 s18, exec_lo
	v_cmpx_ne_u32_e32 0x80, v2
	s_cbranch_execz .LBB262_268
; %bb.263:                              ;   in Loop: Header=BB262_170 Depth=1
	v_and_b32_e32 v40, 0x7f, v2
	v_mov_b32_e32 v37, 0x7c010000
	s_mov_b32 s21, exec_lo
	v_cmpx_ne_u32_e32 0x7f, v40
	s_cbranch_execz .LBB262_267
; %bb.264:                              ;   in Loop: Header=BB262_170 Depth=1
	v_and_b32_e32 v37, 7, v2
	v_lshrrev_b32_e32 v39, 3, v40
	s_mov_b32 s22, exec_lo
	v_cmpx_gt_u32_e32 8, v40
; %bb.265:                              ;   in Loop: Header=BB262_170 Depth=1
	v_ffbh_u32_e32 v37, v37
	v_min_u32_e32 v37, 32, v37
	v_subrev_nc_u32_e32 v39, 28, v37
	v_lshlrev_b64 v[40:41], v39, v[2:3]
	v_sub_nc_u32_e32 v39, 29, v37
	v_and_b32_e32 v37, 7, v40
; %bb.266:                              ;   in Loop: Header=BB262_170 Depth=1
	s_or_b32 exec_lo, exec_lo, s22
	v_lshlrev_b32_e32 v2, 8, v2
	v_lshl_add_u32 v39, v39, 10, 0x2000
	v_lshlrev_b32_e32 v37, 23, v37
	v_and_or_b32 v2, 0x8000, v2, v39
	v_lshl_or_b32 v37, v2, 16, v37
.LBB262_267:                            ;   in Loop: Header=BB262_170 Depth=1
	s_or_b32 exec_lo, exec_lo, s21
.LBB262_268:                            ;   in Loop: Header=BB262_170 Depth=1
	s_or_b32 exec_lo, exec_lo, s18
.LBB262_269:                            ;   in Loop: Header=BB262_170 Depth=1
	s_or_b32 exec_lo, exec_lo, s17
	v_mov_b32_e32 v2, v9
	v_cmp_ne_u16_sdwa s1, v9, v3 src0_sel:BYTE_0 src1_sel:DWORD
	v_mov_b32_e32 v39, 0
	v_mov_b32_e32 v40, 0
	s_and_saveexec_b32 s17, s1
	s_cbranch_execz .LBB262_277
; %bb.270:                              ;   in Loop: Header=BB262_170 Depth=1
	v_cmp_ne_u16_sdwa s1, v9, v18 src0_sel:BYTE_0 src1_sel:DWORD
	v_mov_b32_e32 v40, 0x8000
	s_and_saveexec_b32 s18, s1
	s_cbranch_execz .LBB262_276
; %bb.271:                              ;   in Loop: Header=BB262_170 Depth=1
	v_and_b32_e32 v42, 0x7f, v9
	v_mov_b32_e32 v40, 0x7c01
	s_mov_b32 s21, exec_lo
	v_cmpx_ne_u32_e32 0x7f, v42
	s_cbranch_execz .LBB262_275
; %bb.272:                              ;   in Loop: Header=BB262_170 Depth=1
	v_and_b32_e32 v40, 7, v9
	v_lshrrev_b32_e32 v41, 3, v42
	s_mov_b32 s22, exec_lo
	v_cmpx_gt_u32_e32 8, v42
; %bb.273:                              ;   in Loop: Header=BB262_170 Depth=1
	v_ffbh_u32_e32 v40, v40
	v_min_u32_e32 v42, 32, v40
	v_subrev_nc_u32_e32 v40, 28, v42
	v_lshlrev_b64 v[40:41], v40, v[2:3]
	v_sub_nc_u32_e32 v41, 29, v42
	v_and_b32_e32 v40, 7, v40
; %bb.274:                              ;   in Loop: Header=BB262_170 Depth=1
	s_or_b32 exec_lo, exec_lo, s22
	v_lshlrev_b32_e32 v42, 8, v9
	v_lshl_add_u32 v41, v41, 10, 0x2000
	v_lshlrev_b32_e32 v40, 7, v40
	v_and_b32_e32 v42, 0x8000, v42
	v_and_b32_e32 v41, 0xfc00, v41
	v_or3_b32 v40, v42, v41, v40
.LBB262_275:                            ;   in Loop: Header=BB262_170 Depth=1
	s_or_b32 exec_lo, exec_lo, s21
.LBB262_276:                            ;   in Loop: Header=BB262_170 Depth=1
	s_or_b32 exec_lo, exec_lo, s18
.LBB262_277:                            ;   in Loop: Header=BB262_170 Depth=1
	s_or_b32 exec_lo, exec_lo, s17
	v_lshrrev_b16 v2, 8, v2
	v_mov_b32_e32 v41, 0
	s_mov_b32 s17, exec_lo
	v_cmpx_ne_u16_e32 0, v2
	s_cbranch_execz .LBB262_285
; %bb.278:                              ;   in Loop: Header=BB262_170 Depth=1
	v_bfrev_b32_e32 v41, 1
	s_mov_b32 s18, exec_lo
	v_cmpx_ne_u16_e32 0x80, v2
	s_cbranch_execz .LBB262_284
; %bb.279:                              ;   in Loop: Header=BB262_170 Depth=1
	v_and_b32_sdwa v43, v2, v19 dst_sel:DWORD dst_unused:UNUSED_PAD src0_sel:WORD_0 src1_sel:DWORD
	v_mov_b32_e32 v41, 0x7c010000
	s_mov_b32 s21, exec_lo
	v_cmpx_ne_u32_e32 0x7f, v43
	s_cbranch_execz .LBB262_283
; %bb.280:                              ;   in Loop: Header=BB262_170 Depth=1
	v_and_b32_sdwa v41, v2, v20 dst_sel:DWORD dst_unused:UNUSED_PAD src0_sel:WORD_0 src1_sel:DWORD
	v_lshrrev_b32_e32 v42, 3, v43
	s_mov_b32 s22, exec_lo
	v_cmpx_gt_u32_e32 8, v43
; %bb.281:                              ;   in Loop: Header=BB262_170 Depth=1
	v_ffbh_u32_e32 v41, v41
	v_min_u32_e32 v43, 32, v41
	v_subrev_nc_u32_e32 v41, 28, v43
	v_lshlrev_b64 v[41:42], v41, v[2:3]
	v_sub_nc_u32_e32 v42, 29, v43
	v_and_b32_e32 v41, 7, v41
; %bb.282:                              ;   in Loop: Header=BB262_170 Depth=1
	s_or_b32 exec_lo, exec_lo, s22
	v_lshlrev_b32_sdwa v2, v21, v2 dst_sel:DWORD dst_unused:UNUSED_PAD src0_sel:DWORD src1_sel:WORD_0
	v_lshl_add_u32 v42, v42, 10, 0x2000
	v_lshlrev_b32_e32 v41, 23, v41
	v_and_or_b32 v2, 0x8000, v2, v42
	v_lshl_or_b32 v41, v2, 16, v41
.LBB262_283:                            ;   in Loop: Header=BB262_170 Depth=1
	s_or_b32 exec_lo, exec_lo, s21
.LBB262_284:                            ;   in Loop: Header=BB262_170 Depth=1
	s_or_b32 exec_lo, exec_lo, s18
.LBB262_285:                            ;   in Loop: Header=BB262_170 Depth=1
	s_or_b32 exec_lo, exec_lo, s17
	v_lshrrev_b32_e32 v2, 16, v9
	v_cmp_ne_u16_sdwa s1, v2, v3 src0_sel:BYTE_0 src1_sel:DWORD
	s_and_saveexec_b32 s17, s1
	s_cbranch_execz .LBB262_293
; %bb.286:                              ;   in Loop: Header=BB262_170 Depth=1
	v_cmp_ne_u16_sdwa s1, v2, v18 src0_sel:BYTE_0 src1_sel:DWORD
	v_mov_b32_e32 v39, 0x8000
	s_and_saveexec_b32 s18, s1
	s_cbranch_execz .LBB262_292
; %bb.287:                              ;   in Loop: Header=BB262_170 Depth=1
	v_bfe_u32 v43, v9, 16, 7
	v_mov_b32_e32 v39, 0x7c01
	s_mov_b32 s21, exec_lo
	v_cmpx_ne_u32_e32 0x7f, v43
	s_cbranch_execz .LBB262_291
; %bb.288:                              ;   in Loop: Header=BB262_170 Depth=1
	v_and_b32_e32 v39, 7, v2
	v_lshrrev_b32_e32 v42, 3, v43
	s_mov_b32 s22, exec_lo
	v_cmpx_gt_u32_e32 8, v43
; %bb.289:                              ;   in Loop: Header=BB262_170 Depth=1
	v_ffbh_u32_e32 v39, v39
	v_min_u32_e32 v39, 32, v39
	v_subrev_nc_u32_e32 v42, 28, v39
	v_lshlrev_b64 v[43:44], v42, v[2:3]
	v_sub_nc_u32_e32 v42, 29, v39
	v_and_b32_e32 v39, 7, v43
; %bb.290:                              ;   in Loop: Header=BB262_170 Depth=1
	s_or_b32 exec_lo, exec_lo, s22
	v_lshlrev_b32_e32 v2, 8, v2
	v_lshl_add_u32 v42, v42, 10, 0x2000
	v_lshlrev_b32_e32 v39, 7, v39
	v_and_b32_e32 v2, 0x8000, v2
	v_and_b32_e32 v42, 0xfc00, v42
	v_or3_b32 v39, v2, v42, v39
.LBB262_291:                            ;   in Loop: Header=BB262_170 Depth=1
	s_or_b32 exec_lo, exec_lo, s21
.LBB262_292:                            ;   in Loop: Header=BB262_170 Depth=1
	s_or_b32 exec_lo, exec_lo, s18
.LBB262_293:                            ;   in Loop: Header=BB262_170 Depth=1
	s_or_b32 exec_lo, exec_lo, s17
	v_cmp_lt_u64_e64 s1, s[4:5], v[8:9]
	v_mov_b32_e32 v8, 0
	s_and_saveexec_b32 s17, s1
	s_cbranch_execz .LBB262_301
; %bb.294:                              ;   in Loop: Header=BB262_170 Depth=1
	v_lshrrev_b32_e32 v2, 24, v9
	v_bfrev_b32_e32 v8, 1
	s_mov_b32 s18, exec_lo
	v_cmpx_ne_u32_e32 0x80, v2
	s_cbranch_execz .LBB262_300
; %bb.295:                              ;   in Loop: Header=BB262_170 Depth=1
	v_and_b32_e32 v42, 0x7f, v2
	v_mov_b32_e32 v8, 0x7c010000
	s_mov_b32 s21, exec_lo
	v_cmpx_ne_u32_e32 0x7f, v42
	s_cbranch_execz .LBB262_299
; %bb.296:                              ;   in Loop: Header=BB262_170 Depth=1
	v_and_b32_e32 v8, 7, v2
	v_lshrrev_b32_e32 v9, 3, v42
	s_mov_b32 s22, exec_lo
	v_cmpx_gt_u32_e32 8, v42
; %bb.297:                              ;   in Loop: Header=BB262_170 Depth=1
	v_ffbh_u32_e32 v8, v8
	v_min_u32_e32 v42, 32, v8
	v_subrev_nc_u32_e32 v8, 28, v42
	v_lshlrev_b64 v[8:9], v8, v[2:3]
	v_sub_nc_u32_e32 v9, 29, v42
	v_and_b32_e32 v8, 7, v8
; %bb.298:                              ;   in Loop: Header=BB262_170 Depth=1
	s_or_b32 exec_lo, exec_lo, s22
	v_lshlrev_b32_e32 v2, 8, v2
	v_lshl_add_u32 v9, v9, 10, 0x2000
	v_lshlrev_b32_e32 v8, 23, v8
	v_and_or_b32 v2, 0x8000, v2, v9
	v_lshl_or_b32 v8, v2, 16, v8
.LBB262_299:                            ;   in Loop: Header=BB262_170 Depth=1
	s_or_b32 exec_lo, exec_lo, s21
.LBB262_300:                            ;   in Loop: Header=BB262_170 Depth=1
	s_or_b32 exec_lo, exec_lo, s18
.LBB262_301:                            ;   in Loop: Header=BB262_170 Depth=1
	s_or_b32 exec_lo, exec_lo, s17
	v_or_b32_e32 v2, v37, v38
	s_waitcnt vmcnt(0)
	v_fma_mixlo_f16 v9, v34, v37, 0 op_sel:[0,1,0] op_sel_hi:[0,1,0]
	v_or_b32_e32 v36, v35, v36
	v_fma_mixlo_f16 v35, v34, v35, 0 op_sel:[0,1,0] op_sel_hi:[0,1,0]
	v_or_b32_e32 v37, v41, v40
	v_fma_mixlo_f16 v38, v34, v2, 0 op_sel_hi:[0,1,0]
	v_or_b32_e32 v40, v8, v39
	v_lshlrev_b32_e32 v2, 16, v9
	v_lshlrev_b32_e32 v39, 16, v35
	v_fma_mixlo_f16 v9, v34, v36, 0 op_sel_hi:[0,1,0]
	v_and_b32_e32 v36, 0xffff, v38
	v_fma_mixlo_f16 v35, v34, v41, 0 op_sel:[0,1,0] op_sel_hi:[0,1,0]
	v_fma_mixlo_f16 v38, v34, v37, 0 op_sel_hi:[0,1,0]
	v_fma_mixlo_f16 v8, v34, v8, 0 op_sel:[0,1,0] op_sel_hi:[0,1,0]
	v_fma_mixlo_f16 v34, v34, v40, 0 op_sel_hi:[0,1,0]
	v_and_b32_e32 v42, 0xffff, v9
	v_lshlrev_b32_e32 v37, 16, v35
	v_and_b32_e32 v41, 0xffff, v38
	v_lshlrev_b32_e32 v8, 16, v8
	v_and_b32_e32 v38, 0xffff, v34
	v_or_b32_e32 v35, v2, v36
	v_or_b32_e32 v40, v39, v42
	;; [unrolled: 1-line block ×4, first 2 shown]
	s_and_saveexec_b32 s1, vcc_lo
	s_cbranch_execz .LBB262_168
; %bb.302:                              ;   in Loop: Header=BB262_170 Depth=1
	v_cmp_gt_i32_e32 vcc_lo, s31, v13
	v_cndmask_b32_e32 v9, 0, v42, vcc_lo
	v_cmp_gt_i32_e32 vcc_lo, s31, v27
	v_cndmask_b32_e32 v27, 0, v39, vcc_lo
	v_cmp_gt_i32_e32 vcc_lo, s31, v26
	v_or_b32_e32 v40, v27, v9
	v_cndmask_b32_e32 v26, 0, v36, vcc_lo
	v_cmp_gt_i32_e32 vcc_lo, s31, v25
	v_cndmask_b32_e32 v2, 0, v2, vcc_lo
	v_cmp_gt_i32_e32 vcc_lo, s31, v24
	v_or_b32_e32 v35, v2, v26
	;; [unrolled: 5-line block ×3, first 2 shown]
	v_cndmask_b32_e32 v11, 0, v38, vcc_lo
	v_cmp_gt_i32_e32 vcc_lo, s31, v10
	v_cndmask_b32_e32 v8, 0, v8, vcc_lo
	v_or_b32_e32 v9, v8, v11
	s_branch .LBB262_168
.LBB262_303:
	s_or_b32 exec_lo, exec_lo, s12
.LBB262_304:
	s_or_b32 exec_lo, exec_lo, s3
	v_lshl_add_u32 v2, v14, 2, 0xa0
	v_and_b32_e32 v3, 0x3c0, v0
	s_mov_b32 s1, exec_lo
	s_waitcnt_vscnt null, 0x0
	s_barrier
	v_lshl_add_u32 v1, v12, 8, v2
	buffer_gl0_inv
	v_cmpx_eq_u32_e32 64, v3
	s_cbranch_execz .LBB262_306
; %bb.305:
	v_add_nc_u32_e32 v3, 0xfffffe00, v1
	v_add_nc_u32_e32 v4, 0xfffffe80, v1
	ds_write_b32 v3, v16
	ds_write_b32 v4, v15
.LBB262_306:
	s_or_b32 exec_lo, exec_lo, s1
	s_mov_b32 s1, exec_lo
	s_waitcnt lgkmcnt(0)
	s_barrier
	buffer_gl0_inv
	v_cmpx_gt_u32_e32 64, v0
	s_cbranch_execz .LBB262_308
; %bb.307:
	ds_read2_b32 v[3:4], v1 offset1:32
	s_waitcnt lgkmcnt(0)
	v_add_f32_e32 v16, v16, v3
	v_add_f32_e32 v15, v15, v4
.LBB262_308:
	s_or_b32 exec_lo, exec_lo, s1
	v_and_b32_e32 v3, 0x3e0, v0
	s_mov_b32 s1, exec_lo
	s_barrier
	buffer_gl0_inv
	v_cmpx_eq_u32_e32 32, v3
; %bb.309:
	ds_write2_b32 v2, v16, v15 offset1:32
; %bb.310:
	s_or_b32 exec_lo, exec_lo, s1
	s_waitcnt lgkmcnt(0)
	s_barrier
	buffer_gl0_inv
	s_and_saveexec_b32 s1, s0
	s_cbranch_execz .LBB262_312
; %bb.311:
	ds_read2_b32 v[1:2], v1 offset1:32
	s_waitcnt lgkmcnt(0)
	v_add_f32_e32 v16, v16, v1
	v_add_f32_e32 v15, v15, v2
.LBB262_312:
	s_or_b32 exec_lo, exec_lo, s1
	s_barrier
	buffer_gl0_inv
	s_and_saveexec_b32 s1, s0
	s_cbranch_execz .LBB262_314
; %bb.313:
	s_lshl_b32 s0, s2, 6
	s_mul_i32 s2, s7, s10
	s_ashr_i32 s1, s0, 31
	v_lshlrev_b32_e32 v0, 1, v0
	s_lshl_b64 s[0:1], s[0:1], 1
	;;#ASMSTART
	v_cvt_f16_f32 v1, v16;

	;;#ASMEND
	s_add_u32 s4, s28, s0
	s_addc_u32 s5, s29, s1
	s_ashr_i32 s3, s2, 31
	s_lshl_b64 s[0:1], s[2:3], 1
	s_add_u32 s2, s4, s0
	s_addc_u32 s3, s5, s1
	s_ashr_i32 s17, s16, 31
	s_lshl_b64 s[0:1], s[16:17], 1
	s_add_u32 s0, s2, s0
	s_addc_u32 s1, s3, s1
	global_store_short v0, v1, s[0:1]
	;;#ASMSTART
	v_cvt_f16_f32 v1, v15;

	;;#ASMEND
	global_store_short v0, v1, s[0:1] offset:64
.LBB262_314:
	s_endpgm
	.section	.rodata,"a",@progbits
	.p2align	6, 0x0
	.amdhsa_kernel _ZN4vllm25paged_attention_v2_kernelIthLi64ELi8ELi128ELNS_18Fp8KVCacheDataTypeE1ELb1ELi512EEEvPfS2_PT_PKS3_PKT0_S9_ifPKiSB_iPKfiiiSD_SD_iiiii
		.amdhsa_group_segment_fixed_size 160
		.amdhsa_private_segment_fixed_size 0
		.amdhsa_kernarg_size 400
		.amdhsa_user_sgpr_count 6
		.amdhsa_user_sgpr_private_segment_buffer 1
		.amdhsa_user_sgpr_dispatch_ptr 0
		.amdhsa_user_sgpr_queue_ptr 0
		.amdhsa_user_sgpr_kernarg_segment_ptr 1
		.amdhsa_user_sgpr_dispatch_id 0
		.amdhsa_user_sgpr_flat_scratch_init 0
		.amdhsa_user_sgpr_private_segment_size 0
		.amdhsa_wavefront_size32 1
		.amdhsa_uses_dynamic_stack 0
		.amdhsa_system_sgpr_private_segment_wavefront_offset 0
		.amdhsa_system_sgpr_workgroup_id_x 1
		.amdhsa_system_sgpr_workgroup_id_y 1
		.amdhsa_system_sgpr_workgroup_id_z 1
		.amdhsa_system_sgpr_workgroup_info 0
		.amdhsa_system_vgpr_workitem_id 0
		.amdhsa_next_free_vgpr 55
		.amdhsa_next_free_sgpr 53
		.amdhsa_reserve_vcc 1
		.amdhsa_reserve_flat_scratch 0
		.amdhsa_float_round_mode_32 0
		.amdhsa_float_round_mode_16_64 0
		.amdhsa_float_denorm_mode_32 3
		.amdhsa_float_denorm_mode_16_64 3
		.amdhsa_dx10_clamp 1
		.amdhsa_ieee_mode 1
		.amdhsa_fp16_overflow 0
		.amdhsa_workgroup_processor_mode 1
		.amdhsa_memory_ordered 1
		.amdhsa_forward_progress 1
		.amdhsa_shared_vgpr_count 0
		.amdhsa_exception_fp_ieee_invalid_op 0
		.amdhsa_exception_fp_denorm_src 0
		.amdhsa_exception_fp_ieee_div_zero 0
		.amdhsa_exception_fp_ieee_overflow 0
		.amdhsa_exception_fp_ieee_underflow 0
		.amdhsa_exception_fp_ieee_inexact 0
		.amdhsa_exception_int_div_zero 0
	.end_amdhsa_kernel
	.section	.text._ZN4vllm25paged_attention_v2_kernelIthLi64ELi8ELi128ELNS_18Fp8KVCacheDataTypeE1ELb1ELi512EEEvPfS2_PT_PKS3_PKT0_S9_ifPKiSB_iPKfiiiSD_SD_iiiii,"axG",@progbits,_ZN4vllm25paged_attention_v2_kernelIthLi64ELi8ELi128ELNS_18Fp8KVCacheDataTypeE1ELb1ELi512EEEvPfS2_PT_PKS3_PKT0_S9_ifPKiSB_iPKfiiiSD_SD_iiiii,comdat
.Lfunc_end262:
	.size	_ZN4vllm25paged_attention_v2_kernelIthLi64ELi8ELi128ELNS_18Fp8KVCacheDataTypeE1ELb1ELi512EEEvPfS2_PT_PKS3_PKT0_S9_ifPKiSB_iPKfiiiSD_SD_iiiii, .Lfunc_end262-_ZN4vllm25paged_attention_v2_kernelIthLi64ELi8ELi128ELNS_18Fp8KVCacheDataTypeE1ELb1ELi512EEEvPfS2_PT_PKS3_PKT0_S9_ifPKiSB_iPKfiiiSD_SD_iiiii
                                        ; -- End function
	.set _ZN4vllm25paged_attention_v2_kernelIthLi64ELi8ELi128ELNS_18Fp8KVCacheDataTypeE1ELb1ELi512EEEvPfS2_PT_PKS3_PKT0_S9_ifPKiSB_iPKfiiiSD_SD_iiiii.num_vgpr, 55
	.set _ZN4vllm25paged_attention_v2_kernelIthLi64ELi8ELi128ELNS_18Fp8KVCacheDataTypeE1ELb1ELi512EEEvPfS2_PT_PKS3_PKT0_S9_ifPKiSB_iPKfiiiSD_SD_iiiii.num_agpr, 0
	.set _ZN4vllm25paged_attention_v2_kernelIthLi64ELi8ELi128ELNS_18Fp8KVCacheDataTypeE1ELb1ELi512EEEvPfS2_PT_PKS3_PKT0_S9_ifPKiSB_iPKfiiiSD_SD_iiiii.numbered_sgpr, 53
	.set _ZN4vllm25paged_attention_v2_kernelIthLi64ELi8ELi128ELNS_18Fp8KVCacheDataTypeE1ELb1ELi512EEEvPfS2_PT_PKS3_PKT0_S9_ifPKiSB_iPKfiiiSD_SD_iiiii.num_named_barrier, 0
	.set _ZN4vllm25paged_attention_v2_kernelIthLi64ELi8ELi128ELNS_18Fp8KVCacheDataTypeE1ELb1ELi512EEEvPfS2_PT_PKS3_PKT0_S9_ifPKiSB_iPKfiiiSD_SD_iiiii.private_seg_size, 0
	.set _ZN4vllm25paged_attention_v2_kernelIthLi64ELi8ELi128ELNS_18Fp8KVCacheDataTypeE1ELb1ELi512EEEvPfS2_PT_PKS3_PKT0_S9_ifPKiSB_iPKfiiiSD_SD_iiiii.uses_vcc, 1
	.set _ZN4vllm25paged_attention_v2_kernelIthLi64ELi8ELi128ELNS_18Fp8KVCacheDataTypeE1ELb1ELi512EEEvPfS2_PT_PKS3_PKT0_S9_ifPKiSB_iPKfiiiSD_SD_iiiii.uses_flat_scratch, 0
	.set _ZN4vllm25paged_attention_v2_kernelIthLi64ELi8ELi128ELNS_18Fp8KVCacheDataTypeE1ELb1ELi512EEEvPfS2_PT_PKS3_PKT0_S9_ifPKiSB_iPKfiiiSD_SD_iiiii.has_dyn_sized_stack, 0
	.set _ZN4vllm25paged_attention_v2_kernelIthLi64ELi8ELi128ELNS_18Fp8KVCacheDataTypeE1ELb1ELi512EEEvPfS2_PT_PKS3_PKT0_S9_ifPKiSB_iPKfiiiSD_SD_iiiii.has_recursion, 0
	.set _ZN4vllm25paged_attention_v2_kernelIthLi64ELi8ELi128ELNS_18Fp8KVCacheDataTypeE1ELb1ELi512EEEvPfS2_PT_PKS3_PKT0_S9_ifPKiSB_iPKfiiiSD_SD_iiiii.has_indirect_call, 0
	.section	.AMDGPU.csdata,"",@progbits
; Kernel info:
; codeLenInByte = 11824
; TotalNumSgprs: 55
; NumVgprs: 55
; ScratchSize: 0
; MemoryBound: 0
; FloatMode: 240
; IeeeMode: 1
; LDSByteSize: 160 bytes/workgroup (compile time only)
; SGPRBlocks: 0
; VGPRBlocks: 6
; NumSGPRsForWavesPerEU: 55
; NumVGPRsForWavesPerEU: 55
; Occupancy: 16
; WaveLimiterHint : 1
; COMPUTE_PGM_RSRC2:SCRATCH_EN: 0
; COMPUTE_PGM_RSRC2:USER_SGPR: 6
; COMPUTE_PGM_RSRC2:TRAP_HANDLER: 0
; COMPUTE_PGM_RSRC2:TGID_X_EN: 1
; COMPUTE_PGM_RSRC2:TGID_Y_EN: 1
; COMPUTE_PGM_RSRC2:TGID_Z_EN: 1
; COMPUTE_PGM_RSRC2:TIDIG_COMP_CNT: 0
	.section	.text._ZN4vllm25paged_attention_v2_kernelIthLi80ELi8ELi128ELNS_18Fp8KVCacheDataTypeE1ELb1ELi512EEEvPfS2_PT_PKS3_PKT0_S9_ifPKiSB_iPKfiiiSD_SD_iiiii,"axG",@progbits,_ZN4vllm25paged_attention_v2_kernelIthLi80ELi8ELi128ELNS_18Fp8KVCacheDataTypeE1ELb1ELi512EEEvPfS2_PT_PKS3_PKT0_S9_ifPKiSB_iPKfiiiSD_SD_iiiii,comdat
	.protected	_ZN4vllm25paged_attention_v2_kernelIthLi80ELi8ELi128ELNS_18Fp8KVCacheDataTypeE1ELb1ELi512EEEvPfS2_PT_PKS3_PKT0_S9_ifPKiSB_iPKfiiiSD_SD_iiiii ; -- Begin function _ZN4vllm25paged_attention_v2_kernelIthLi80ELi8ELi128ELNS_18Fp8KVCacheDataTypeE1ELb1ELi512EEEvPfS2_PT_PKS3_PKT0_S9_ifPKiSB_iPKfiiiSD_SD_iiiii
	.globl	_ZN4vllm25paged_attention_v2_kernelIthLi80ELi8ELi128ELNS_18Fp8KVCacheDataTypeE1ELb1ELi512EEEvPfS2_PT_PKS3_PKT0_S9_ifPKiSB_iPKfiiiSD_SD_iiiii
	.p2align	8
	.type	_ZN4vllm25paged_attention_v2_kernelIthLi80ELi8ELi128ELNS_18Fp8KVCacheDataTypeE1ELb1ELi512EEEvPfS2_PT_PKS3_PKT0_S9_ifPKiSB_iPKfiiiSD_SD_iiiii,@function
_ZN4vllm25paged_attention_v2_kernelIthLi80ELi8ELi128ELNS_18Fp8KVCacheDataTypeE1ELb1ELi512EEEvPfS2_PT_PKS3_PKT0_S9_ifPKiSB_iPKfiiiSD_SD_iiiii: ; @_ZN4vllm25paged_attention_v2_kernelIthLi80ELi8ELi128ELNS_18Fp8KVCacheDataTypeE1ELb1ELi512EEEvPfS2_PT_PKS3_PKT0_S9_ifPKiSB_iPKfiiiSD_SD_iiiii
; %bb.0:
	s_load_dwordx2 s[0:1], s[4:5], 0x40
	s_mov_b32 s30, s7
	s_ashr_i32 s31, s7, 31
	s_lshl_b64 s[2:3], s[30:31], 2
	s_waitcnt lgkmcnt(0)
	s_add_u32 s0, s0, s2
	s_addc_u32 s1, s1, s3
	s_lshl_b32 s42, s8, 9
	s_load_dword s31, s[0:1], 0x0
	s_waitcnt lgkmcnt(0)
	s_cmp_ge_i32 s42, s31
	s_cbranch_scc1 .LBB263_421
; %bb.1:
	s_clause 0x1
	s_load_dword s9, s[4:5], 0x90
	s_load_dwordx2 s[40:41], s[4:5], 0x30
	s_mov_b32 s43, 0
	s_waitcnt lgkmcnt(0)
	s_abs_i32 s3, s9
	s_abs_i32 s0, s40
	v_cvt_f32_u32_e32 v1, s0
	s_sub_i32 s2, 0, s0
	v_rcp_iflag_f32_e32 v1, v1
	v_mul_f32_e32 v1, 0x4f7ffffe, v1
	v_cvt_u32_f32_e32 v1, v1
	v_readfirstlane_b32 s1, v1
	s_mul_i32 s2, s2, s1
	s_mul_hi_u32 s2, s1, s2
	s_add_i32 s1, s1, s2
	s_xor_b32 s2, s9, s40
	s_mul_hi_u32 s1, s3, s1
	s_ashr_i32 s2, s2, 31
	s_mul_i32 s7, s1, s0
	s_sub_i32 s3, s3, s7
	s_add_i32 s7, s1, 1
	s_sub_i32 s10, s3, s0
	s_cmp_ge_u32 s3, s0
	s_cselect_b32 s1, s7, s1
	s_cselect_b32 s3, s10, s3
	s_add_i32 s7, s1, 1
	s_cmp_ge_u32 s3, s0
	s_cselect_b32 s0, s7, s1
	s_xor_b32 s0, s0, s2
	s_sub_i32 s10, s0, s2
	s_load_dwordx2 s[0:1], s[4:5], 0x50
	s_abs_i32 s2, s10
	v_cvt_f32_u32_e32 v1, s2
	s_sub_i32 s3, 0, s2
	v_rcp_iflag_f32_e32 v1, v1
	v_mul_f32_e32 v1, 0x4f7ffffe, v1
	v_cvt_u32_f32_e32 v1, v1
	v_readfirstlane_b32 s7, v1
	s_mul_i32 s3, s3, s7
	s_mul_hi_u32 s11, s7, s3
	s_abs_i32 s3, s6
	s_add_i32 s7, s7, s11
	s_waitcnt lgkmcnt(0)
	s_cmp_eq_u64 s[0:1], 0
	s_mul_hi_u32 s12, s3, s7
	s_cbranch_scc1 .LBB263_3
; %bb.2:
	s_ashr_i32 s7, s6, 31
	s_lshl_b64 s[14:15], s[6:7], 2
	s_add_u32 s0, s0, s14
	s_addc_u32 s1, s1, s15
	s_load_dword s43, s[0:1], 0x0
.LBB263_3:
	s_load_dwordx4 s[16:19], s[4:5], 0x58
	v_and_b32_e32 v3, 3, v0
	s_ashr_i32 s0, s6, 31
	s_ashr_i32 s1, s10, 31
	s_mul_i32 s10, s6, 0x50
	s_mov_b32 s7, exec_lo
	v_cmpx_gt_u32_e32 40, v0
	s_cbranch_execz .LBB263_5
; %bb.4:
	s_load_dwordx2 s[14:15], s[4:5], 0x18
	s_waitcnt lgkmcnt(0)
	s_mul_i32 s20, s16, s30
	v_lshlrev_b32_e32 v1, 2, v0
	s_ashr_i32 s21, s20, 31
	v_and_b32_e32 v2, 0x3fc, v0
	s_lshl_b64 s[20:21], s[20:21], 1
	v_mad_u32_u24 v2, v3, 40, v2
	s_add_u32 s13, s14, s20
	s_addc_u32 s16, s15, s21
	s_ashr_i32 s11, s10, 31
	s_lshl_b64 s[14:15], s[10:11], 1
	s_add_u32 s14, s13, s14
	s_addc_u32 s15, s16, s15
	global_load_dword v1, v1, s[14:15]
	s_waitcnt vmcnt(0)
	ds_write_b32 v2, v1
.LBB263_5:
	s_or_b32 exec_lo, exec_lo, s7
	s_load_dwordx4 s[20:23], s[4:5], 0x78
	s_mul_i32 s7, s12, s2
	s_xor_b32 s0, s0, s1
	s_sub_i32 s1, s3, s7
	s_add_i32 s3, s12, 1
	s_sub_i32 s7, s1, s2
	s_cmp_ge_u32 s1, s2
	s_mov_b32 s11, -1
	s_cselect_b32 s3, s3, s12
	s_cselect_b32 s1, s7, s1
	s_add_i32 s7, s3, 1
	s_cmp_ge_u32 s1, s2
                                        ; implicit-def: $sgpr33
	s_cselect_b32 s1, s7, s3
	s_load_dword s3, s[4:5], 0x88
	s_xor_b32 s1, s1, s0
	s_add_i32 s7, s31, -1
	s_sub_i32 s1, s1, s0
	s_abs_i32 s2, s7
	s_waitcnt lgkmcnt(0)
	s_abs_i32 s16, s23
	s_barrier
	v_cvt_f32_u32_e32 v1, s16
	s_sub_i32 s0, 0, s16
	buffer_gl0_inv
	v_rcp_iflag_f32_e32 v1, v1
	v_mul_f32_e32 v1, 0x4f7ffffe, v1
	v_cvt_u32_f32_e32 v1, v1
	v_readfirstlane_b32 s19, v1
	s_mul_i32 s0, s0, s19
	s_mul_hi_u32 s0, s19, s0
	s_add_i32 s19, s19, s0
	s_cmp_lt_i32 s3, 0
	s_mul_hi_u32 s0, s2, s19
	s_cbranch_scc0 .LBB263_7
; %bb.6:
	s_mul_i32 s11, s20, s40
	s_add_i32 s11, s1, s11
	s_mul_i32 s11, s11, s3
	s_sub_i32 s33, 1, s11
	s_mov_b32 s11, 0
.LBB263_7:
	s_load_dwordx2 s[34:35], s[4:5], 0x38
	s_ashr_i32 s7, s7, 31
	s_andn2_b32 vcc_lo, exec_lo, s11
	s_ashr_i32 s23, s23, 31
	s_cbranch_vccnz .LBB263_9
; %bb.8:
	s_mul_i32 s11, s9, s20
	s_add_i32 s11, s11, s6
	s_mul_i32 s3, s11, s3
	s_add_i32 s33, s3, 1
.LBB263_9:
	s_clause 0x5
	s_load_dword s3, s[4:5], 0x48
	s_load_dwordx2 s[38:39], s[4:5], 0x28
	s_load_dwordx4 s[24:27], s[4:5], 0x0
	s_load_dwordx2 s[28:29], s[4:5], 0x10
	s_load_dword s11, s[4:5], 0x98
	s_load_dwordx4 s[12:15], s[4:5], 0x68
	s_xor_b32 s40, s7, s23
	s_mul_i32 s7, s0, s16
	s_add_i32 s20, s0, 1
	s_sub_i32 s2, s2, s7
	v_lshrrev_b32_e32 v12, 5, v0
	v_mov_b32_e32 v14, 0xff7fffff
	v_mbcnt_lo_u32_b32 v11, -1, 0
	s_mul_i32 s18, s1, s18
	v_lshl_add_u32 v13, v12, 3, s42
	s_waitcnt lgkmcnt(0)
	s_mul_i32 s36, s3, s30
	s_sub_i32 s3, s2, s16
	s_ashr_i32 s37, s36, 31
	s_cmp_ge_u32 s2, s16
	s_cselect_b32 s0, s20, s0
	s_cselect_b32 s2, s3, s2
	s_add_i32 s3, s0, 1
	s_cmp_ge_u32 s2, s16
	s_cselect_b32 s0, s3, s0
	s_add_i32 s2, s31, 7
	s_lshl_b32 s44, s8, 6
	s_ashr_i32 s3, s2, 31
	v_or_b32_e32 v1, s44, v12
	s_lshr_b32 s3, s3, 29
	s_add_i32 s2, s2, s3
	s_add_i32 s3, s44, 64
	s_ashr_i32 s7, s2, 3
	s_xor_b32 s2, s0, s40
	s_min_i32 s20, s3, s7
	v_ashrrev_i32_e32 v2, 31, v1
	v_cmp_gt_i32_e64 s0, s20, v1
	s_sub_i32 s40, s2, s40
	s_and_saveexec_b32 s45, s0
	s_cbranch_execz .LBB263_181
; %bb.10:
	s_load_dwordx2 s[2:3], s[4:5], 0x20
	s_sub_i32 s4, s40, s21
	s_ashr_i32 s1, s18, 31
	v_bfe_u32 v15, v0, 2, 3
	v_cmp_eq_u32_e32 vcc_lo, 0, v3
	v_lshlrev_b32_e32 v7, 1, v3
	v_mul_u32_u24_e32 v16, 40, v3
	v_mov_b32_e32 v4, 0
	v_lshlrev_b32_e32 v3, 2, v15
	v_subrev_nc_u32_e32 v9, s31, v15
	v_lshl_add_u32 v17, v12, 3, s42
	v_mov_b32_e32 v18, 0xff7fffff
	v_mov_b32_e32 v19, 0x80
	v_lshl_or_b32 v3, v12, 5, v3
	v_add_nc_u32_e32 v23, 1, v9
	v_mov_b32_e32 v20, 0x7f
	v_mov_b32_e32 v21, 7
	;; [unrolled: 1-line block ×3, first 2 shown]
	v_add_nc_u32_e32 v24, 0xc0, v3
	v_mov_b32_e32 v14, 0xff7fffff
	s_waitcnt lgkmcnt(0)
	s_add_u32 s46, s2, s18
	s_addc_u32 s47, s3, s1
	s_abs_i32 s5, s22
	v_cmp_neq_f32_e64 s1, s43, 0
	v_cvt_f32_u32_e32 v5, s5
	s_sub_i32 s2, 0, s5
	v_mov_b32_e32 v26, v1
	v_rcp_iflag_f32_e32 v8, v5
	v_lshlrev_b64 v[5:6], 2, v[1:2]
	v_mul_f32_e32 v8, 0x4f7ffffe, v8
	v_cvt_u32_f32_e32 v10, v8
	v_lshlrev_b32_e32 v8, 4, v15
	v_mul_lo_u32 v3, s2, v10
	s_lshl_b64 s[2:3], s[36:37], 2
	v_add_co_u32 v8, s46, s46, v8
	s_add_u32 s2, s34, s2
	v_add_co_ci_u32_e64 v9, null, s47, 0, s46
	s_addc_u32 s3, s35, s3
	v_mul_hi_u32 v3, v10, v3
	v_add_co_u32 v5, s2, s2, v5
	v_add_co_ci_u32_e64 v6, null, s3, v6, s2
	v_add_co_u32 v7, s2, v8, v7
	v_add_co_ci_u32_e64 v8, null, 0, v9, s2
	v_add_nc_u32_e32 v25, v10, v3
	s_mov_b32 s46, 0
	s_mov_b32 s47, s17
	s_branch .LBB263_13
.LBB263_11:                             ;   in Loop: Header=BB263_13 Depth=1
	s_or_b32 exec_lo, exec_lo, s48
.LBB263_12:                             ;   in Loop: Header=BB263_13 Depth=1
	s_or_b32 exec_lo, exec_lo, s3
	v_add_nc_u32_e32 v26, 4, v26
	v_add_co_u32 v5, s3, v5, 16
	v_add_co_ci_u32_e64 v6, null, 0, v6, s3
	v_cmp_le_i32_e64 s2, s20, v26
	v_add_nc_u32_e32 v17, 32, v17
	v_add_nc_u32_e32 v24, 0x80, v24
	s_or_b32 s46, s2, s46
	s_andn2_b32 exec_lo, exec_lo, s46
	s_cbranch_execz .LBB263_180
.LBB263_13:                             ; =>This Inner Loop Header: Depth=1
	v_sub_nc_u32_e32 v3, 0, v17
	v_max_i32_e32 v3, v17, v3
	s_waitcnt lgkmcnt(0)
	v_mul_hi_u32 v9, v3, s19
	v_mul_lo_u32 v10, v9, s16
	v_sub_nc_u32_e32 v3, v3, v10
	v_add_nc_u32_e32 v10, 1, v9
	v_subrev_nc_u32_e32 v27, s16, v3
	v_cmp_le_u32_e64 s2, s16, v3
	v_cndmask_b32_e64 v9, v9, v10, s2
	v_cndmask_b32_e64 v3, v3, v27, s2
	v_ashrrev_i32_e32 v10, 31, v17
	v_add_nc_u32_e32 v27, 1, v9
	v_cmp_le_u32_e64 s2, s16, v3
	v_xor_b32_e32 v10, s23, v10
	v_cndmask_b32_e64 v3, v9, v27, s2
	v_xor_b32_e32 v3, v3, v10
	v_sub_nc_u32_e32 v3, v3, v10
	v_add_nc_u32_e32 v9, s33, v3
	v_cmp_ge_i32_e64 s3, s4, v3
	v_sub_nc_u32_e32 v10, 0, v9
	v_max_i32_e32 v10, v9, v10
	v_ashrrev_i32_e32 v9, 31, v9
	v_mul_hi_u32 v27, v10, v25
	v_mul_lo_u32 v27, v27, s5
	v_sub_nc_u32_e32 v10, v10, v27
	v_subrev_nc_u32_e32 v27, s5, v10
	v_cmp_le_u32_e64 s2, s5, v10
	v_cndmask_b32_e64 v10, v10, v27, s2
	v_subrev_nc_u32_e32 v27, s5, v10
	v_cmp_le_u32_e64 s2, s5, v10
	v_cndmask_b32_e64 v10, v10, v27, s2
	v_xor_b32_e32 v10, v10, v9
	v_sub_nc_u32_e32 v9, v10, v9
	v_cmp_ne_u32_e64 s2, 0, v9
	s_and_b32 s2, s2, s3
	s_and_saveexec_b32 s3, s2
	s_xor_b32 s2, exec_lo, s3
	s_cbranch_execz .LBB263_17
; %bb.14:                               ;   in Loop: Header=BB263_13 Depth=1
	s_and_saveexec_b32 s3, vcc_lo
; %bb.15:                               ;   in Loop: Header=BB263_13 Depth=1
	ds_write_b32 v24, v18
; %bb.16:                               ;   in Loop: Header=BB263_13 Depth=1
	s_or_b32 exec_lo, exec_lo, s3
.LBB263_17:                             ;   in Loop: Header=BB263_13 Depth=1
	s_andn2_saveexec_b32 s3, s2
	s_cbranch_execz .LBB263_12
; %bb.18:                               ;   in Loop: Header=BB263_13 Depth=1
	global_load_dword v3, v[5:6], off
	v_mov_b32_e32 v28, 0
	global_load_dword v27, v28, s[12:13]
	s_waitcnt vmcnt(1)
	v_mad_i64_i32 v[9:10], null, v3, s47, v[7:8]
	global_load_ushort v29, v[9:10], off
	s_waitcnt vmcnt(0)
	v_and_b32_e32 v3, 0xffff, v29
	v_cmp_ne_u16_sdwa s2, v29, v4 src0_sel:BYTE_0 src1_sel:DWORD
	v_mov_b32_e32 v29, 0
	s_and_saveexec_b32 s48, s2
	s_cbranch_execz .LBB263_26
; %bb.19:                               ;   in Loop: Header=BB263_13 Depth=1
	v_cmp_ne_u16_sdwa s2, v3, v19 src0_sel:BYTE_0 src1_sel:DWORD
	v_mov_b32_e32 v29, 0x8000
	s_and_saveexec_b32 s49, s2
	s_cbranch_execz .LBB263_25
; %bb.20:                               ;   in Loop: Header=BB263_13 Depth=1
	v_and_b32_e32 v31, 0x7f, v3
	v_mov_b32_e32 v29, 0x7c01
	s_mov_b32 s50, exec_lo
	v_cmpx_ne_u32_e32 0x7f, v31
	s_cbranch_execz .LBB263_24
; %bb.21:                               ;   in Loop: Header=BB263_13 Depth=1
	v_and_b32_e32 v29, 7, v3
	v_lshrrev_b32_e32 v30, 3, v31
	s_mov_b32 s51, exec_lo
	v_cmpx_gt_u32_e32 8, v31
; %bb.22:                               ;   in Loop: Header=BB263_13 Depth=1
	v_ffbh_u32_e32 v29, v29
	v_min_u32_e32 v31, 32, v29
	v_subrev_nc_u32_e32 v29, 28, v31
	v_lshlrev_b64 v[29:30], v29, v[3:4]
	v_sub_nc_u32_e32 v30, 29, v31
	v_and_b32_e32 v29, 7, v29
; %bb.23:                               ;   in Loop: Header=BB263_13 Depth=1
	s_or_b32 exec_lo, exec_lo, s51
	v_lshlrev_b32_e32 v31, 8, v3
	v_lshl_add_u32 v30, v30, 10, 0x2000
	v_lshlrev_b32_e32 v29, 7, v29
	v_and_b32_e32 v31, 0x8000, v31
	v_and_b32_e32 v30, 0xfc00, v30
	v_or3_b32 v29, v31, v30, v29
.LBB263_24:                             ;   in Loop: Header=BB263_13 Depth=1
	s_or_b32 exec_lo, exec_lo, s50
.LBB263_25:                             ;   in Loop: Header=BB263_13 Depth=1
	s_or_b32 exec_lo, exec_lo, s49
.LBB263_26:                             ;   in Loop: Header=BB263_13 Depth=1
	s_or_b32 exec_lo, exec_lo, s48
	v_lshrrev_b16 v3, 8, v3
	s_mov_b32 s48, exec_lo
	v_cmpx_ne_u16_e32 0, v3
	s_cbranch_execz .LBB263_34
; %bb.27:                               ;   in Loop: Header=BB263_13 Depth=1
	v_bfrev_b32_e32 v28, 1
	s_mov_b32 s49, exec_lo
	v_cmpx_ne_u16_e32 0x80, v3
	s_cbranch_execz .LBB263_33
; %bb.28:                               ;   in Loop: Header=BB263_13 Depth=1
	v_and_b32_sdwa v31, v3, v20 dst_sel:DWORD dst_unused:UNUSED_PAD src0_sel:WORD_0 src1_sel:DWORD
	v_mov_b32_e32 v28, 0x7c010000
	s_mov_b32 s50, exec_lo
	v_cmpx_ne_u32_e32 0x7f, v31
	s_cbranch_execz .LBB263_32
; %bb.29:                               ;   in Loop: Header=BB263_13 Depth=1
	v_and_b32_sdwa v28, v3, v21 dst_sel:DWORD dst_unused:UNUSED_PAD src0_sel:WORD_0 src1_sel:DWORD
	v_lshrrev_b32_e32 v30, 3, v31
	s_mov_b32 s51, exec_lo
	v_cmpx_gt_u32_e32 8, v31
; %bb.30:                               ;   in Loop: Header=BB263_13 Depth=1
	v_ffbh_u32_e32 v28, v28
	v_min_u32_e32 v28, 32, v28
	v_subrev_nc_u32_e32 v30, 28, v28
	v_lshlrev_b64 v[31:32], v30, v[3:4]
	v_sub_nc_u32_e32 v30, 29, v28
	v_and_b32_e32 v28, 7, v31
; %bb.31:                               ;   in Loop: Header=BB263_13 Depth=1
	s_or_b32 exec_lo, exec_lo, s51
	v_lshlrev_b32_sdwa v3, v22, v3 dst_sel:DWORD dst_unused:UNUSED_PAD src0_sel:DWORD src1_sel:WORD_0
	v_lshl_add_u32 v30, v30, 10, 0x2000
	v_lshlrev_b32_e32 v28, 23, v28
	v_and_or_b32 v3, 0x8000, v3, v30
	v_lshl_or_b32 v28, v3, 16, v28
.LBB263_32:                             ;   in Loop: Header=BB263_13 Depth=1
	s_or_b32 exec_lo, exec_lo, s50
.LBB263_33:                             ;   in Loop: Header=BB263_13 Depth=1
	s_or_b32 exec_lo, exec_lo, s49
.LBB263_34:                             ;   in Loop: Header=BB263_13 Depth=1
	s_or_b32 exec_lo, exec_lo, s48
	global_load_ushort v31, v[9:10], off offset:8
	v_mov_b32_e32 v30, 0
	s_waitcnt vmcnt(0)
	v_and_b32_e32 v3, 0xffff, v31
	v_cmp_ne_u16_sdwa s2, v31, v4 src0_sel:BYTE_0 src1_sel:DWORD
	v_mov_b32_e32 v31, 0
	s_and_saveexec_b32 s48, s2
	s_cbranch_execz .LBB263_42
; %bb.35:                               ;   in Loop: Header=BB263_13 Depth=1
	v_cmp_ne_u16_sdwa s2, v3, v19 src0_sel:BYTE_0 src1_sel:DWORD
	v_mov_b32_e32 v31, 0x8000
	s_and_saveexec_b32 s49, s2
	s_cbranch_execz .LBB263_41
; %bb.36:                               ;   in Loop: Header=BB263_13 Depth=1
	v_and_b32_e32 v33, 0x7f, v3
	v_mov_b32_e32 v31, 0x7c01
	s_mov_b32 s50, exec_lo
	v_cmpx_ne_u32_e32 0x7f, v33
	s_cbranch_execz .LBB263_40
; %bb.37:                               ;   in Loop: Header=BB263_13 Depth=1
	v_and_b32_e32 v31, 7, v3
	v_lshrrev_b32_e32 v32, 3, v33
	s_mov_b32 s51, exec_lo
	v_cmpx_gt_u32_e32 8, v33
; %bb.38:                               ;   in Loop: Header=BB263_13 Depth=1
	v_ffbh_u32_e32 v31, v31
	v_min_u32_e32 v33, 32, v31
	v_subrev_nc_u32_e32 v31, 28, v33
	v_lshlrev_b64 v[31:32], v31, v[3:4]
	v_sub_nc_u32_e32 v32, 29, v33
	v_and_b32_e32 v31, 7, v31
; %bb.39:                               ;   in Loop: Header=BB263_13 Depth=1
	s_or_b32 exec_lo, exec_lo, s51
	v_lshlrev_b32_e32 v33, 8, v3
	v_lshl_add_u32 v32, v32, 10, 0x2000
	v_lshlrev_b32_e32 v31, 7, v31
	v_and_b32_e32 v33, 0x8000, v33
	v_and_b32_e32 v32, 0xfc00, v32
	v_or3_b32 v31, v33, v32, v31
.LBB263_40:                             ;   in Loop: Header=BB263_13 Depth=1
	s_or_b32 exec_lo, exec_lo, s50
.LBB263_41:                             ;   in Loop: Header=BB263_13 Depth=1
	s_or_b32 exec_lo, exec_lo, s49
.LBB263_42:                             ;   in Loop: Header=BB263_13 Depth=1
	s_or_b32 exec_lo, exec_lo, s48
	v_lshrrev_b16 v3, 8, v3
	s_mov_b32 s48, exec_lo
	v_cmpx_ne_u16_e32 0, v3
	s_cbranch_execz .LBB263_50
; %bb.43:                               ;   in Loop: Header=BB263_13 Depth=1
	v_bfrev_b32_e32 v30, 1
	s_mov_b32 s49, exec_lo
	v_cmpx_ne_u16_e32 0x80, v3
	s_cbranch_execz .LBB263_49
; %bb.44:                               ;   in Loop: Header=BB263_13 Depth=1
	v_and_b32_sdwa v33, v3, v20 dst_sel:DWORD dst_unused:UNUSED_PAD src0_sel:WORD_0 src1_sel:DWORD
	v_mov_b32_e32 v30, 0x7c010000
	s_mov_b32 s50, exec_lo
	v_cmpx_ne_u32_e32 0x7f, v33
	s_cbranch_execz .LBB263_48
; %bb.45:                               ;   in Loop: Header=BB263_13 Depth=1
	v_and_b32_sdwa v30, v3, v21 dst_sel:DWORD dst_unused:UNUSED_PAD src0_sel:WORD_0 src1_sel:DWORD
	v_lshrrev_b32_e32 v32, 3, v33
	s_mov_b32 s51, exec_lo
	v_cmpx_gt_u32_e32 8, v33
; %bb.46:                               ;   in Loop: Header=BB263_13 Depth=1
	v_ffbh_u32_e32 v30, v30
	v_min_u32_e32 v30, 32, v30
	v_subrev_nc_u32_e32 v32, 28, v30
	v_lshlrev_b64 v[33:34], v32, v[3:4]
	v_sub_nc_u32_e32 v32, 29, v30
	v_and_b32_e32 v30, 7, v33
; %bb.47:                               ;   in Loop: Header=BB263_13 Depth=1
	s_or_b32 exec_lo, exec_lo, s51
	v_lshlrev_b32_sdwa v3, v22, v3 dst_sel:DWORD dst_unused:UNUSED_PAD src0_sel:DWORD src1_sel:WORD_0
	v_lshl_add_u32 v32, v32, 10, 0x2000
	v_lshlrev_b32_e32 v30, 23, v30
	v_and_or_b32 v3, 0x8000, v3, v32
	v_lshl_or_b32 v30, v3, 16, v30
.LBB263_48:                             ;   in Loop: Header=BB263_13 Depth=1
	s_or_b32 exec_lo, exec_lo, s50
.LBB263_49:                             ;   in Loop: Header=BB263_13 Depth=1
	s_or_b32 exec_lo, exec_lo, s49
.LBB263_50:                             ;   in Loop: Header=BB263_13 Depth=1
	s_or_b32 exec_lo, exec_lo, s48
	global_load_ushort v33, v[9:10], off offset:128
	v_mov_b32_e32 v32, 0
	s_waitcnt vmcnt(0)
	v_and_b32_e32 v3, 0xffff, v33
	v_cmp_ne_u16_sdwa s2, v33, v4 src0_sel:BYTE_0 src1_sel:DWORD
	v_mov_b32_e32 v33, 0
	s_and_saveexec_b32 s48, s2
	s_cbranch_execz .LBB263_58
; %bb.51:                               ;   in Loop: Header=BB263_13 Depth=1
	v_cmp_ne_u16_sdwa s2, v3, v19 src0_sel:BYTE_0 src1_sel:DWORD
	v_mov_b32_e32 v33, 0x8000
	s_and_saveexec_b32 s49, s2
	s_cbranch_execz .LBB263_57
; %bb.52:                               ;   in Loop: Header=BB263_13 Depth=1
	v_and_b32_e32 v35, 0x7f, v3
	v_mov_b32_e32 v33, 0x7c01
	s_mov_b32 s50, exec_lo
	v_cmpx_ne_u32_e32 0x7f, v35
	s_cbranch_execz .LBB263_56
; %bb.53:                               ;   in Loop: Header=BB263_13 Depth=1
	v_and_b32_e32 v33, 7, v3
	v_lshrrev_b32_e32 v34, 3, v35
	s_mov_b32 s51, exec_lo
	v_cmpx_gt_u32_e32 8, v35
; %bb.54:                               ;   in Loop: Header=BB263_13 Depth=1
	v_ffbh_u32_e32 v33, v33
	v_min_u32_e32 v35, 32, v33
	v_subrev_nc_u32_e32 v33, 28, v35
	v_lshlrev_b64 v[33:34], v33, v[3:4]
	v_sub_nc_u32_e32 v34, 29, v35
	v_and_b32_e32 v33, 7, v33
; %bb.55:                               ;   in Loop: Header=BB263_13 Depth=1
	s_or_b32 exec_lo, exec_lo, s51
	v_lshlrev_b32_e32 v35, 8, v3
	v_lshl_add_u32 v34, v34, 10, 0x2000
	v_lshlrev_b32_e32 v33, 7, v33
	v_and_b32_e32 v35, 0x8000, v35
	v_and_b32_e32 v34, 0xfc00, v34
	v_or3_b32 v33, v35, v34, v33
.LBB263_56:                             ;   in Loop: Header=BB263_13 Depth=1
	s_or_b32 exec_lo, exec_lo, s50
.LBB263_57:                             ;   in Loop: Header=BB263_13 Depth=1
	s_or_b32 exec_lo, exec_lo, s49
.LBB263_58:                             ;   in Loop: Header=BB263_13 Depth=1
	s_or_b32 exec_lo, exec_lo, s48
	v_lshrrev_b16 v3, 8, v3
	s_mov_b32 s48, exec_lo
	v_cmpx_ne_u16_e32 0, v3
	s_cbranch_execz .LBB263_66
; %bb.59:                               ;   in Loop: Header=BB263_13 Depth=1
	v_bfrev_b32_e32 v32, 1
	s_mov_b32 s49, exec_lo
	v_cmpx_ne_u16_e32 0x80, v3
	s_cbranch_execz .LBB263_65
; %bb.60:                               ;   in Loop: Header=BB263_13 Depth=1
	v_and_b32_sdwa v35, v3, v20 dst_sel:DWORD dst_unused:UNUSED_PAD src0_sel:WORD_0 src1_sel:DWORD
	v_mov_b32_e32 v32, 0x7c010000
	s_mov_b32 s50, exec_lo
	v_cmpx_ne_u32_e32 0x7f, v35
	s_cbranch_execz .LBB263_64
; %bb.61:                               ;   in Loop: Header=BB263_13 Depth=1
	v_and_b32_sdwa v32, v3, v21 dst_sel:DWORD dst_unused:UNUSED_PAD src0_sel:WORD_0 src1_sel:DWORD
	v_lshrrev_b32_e32 v34, 3, v35
	s_mov_b32 s51, exec_lo
	v_cmpx_gt_u32_e32 8, v35
; %bb.62:                               ;   in Loop: Header=BB263_13 Depth=1
	v_ffbh_u32_e32 v32, v32
	v_min_u32_e32 v32, 32, v32
	v_subrev_nc_u32_e32 v34, 28, v32
	v_lshlrev_b64 v[35:36], v34, v[3:4]
	v_sub_nc_u32_e32 v34, 29, v32
	v_and_b32_e32 v32, 7, v35
; %bb.63:                               ;   in Loop: Header=BB263_13 Depth=1
	s_or_b32 exec_lo, exec_lo, s51
	v_lshlrev_b32_sdwa v3, v22, v3 dst_sel:DWORD dst_unused:UNUSED_PAD src0_sel:DWORD src1_sel:WORD_0
	v_lshl_add_u32 v34, v34, 10, 0x2000
	v_lshlrev_b32_e32 v32, 23, v32
	v_and_or_b32 v3, 0x8000, v3, v34
	v_lshl_or_b32 v32, v3, 16, v32
.LBB263_64:                             ;   in Loop: Header=BB263_13 Depth=1
	s_or_b32 exec_lo, exec_lo, s50
.LBB263_65:                             ;   in Loop: Header=BB263_13 Depth=1
	s_or_b32 exec_lo, exec_lo, s49
.LBB263_66:                             ;   in Loop: Header=BB263_13 Depth=1
	s_or_b32 exec_lo, exec_lo, s48
	global_load_ushort v35, v[9:10], off offset:136
	v_mov_b32_e32 v34, 0
	s_waitcnt vmcnt(0)
	v_and_b32_e32 v3, 0xffff, v35
	v_cmp_ne_u16_sdwa s2, v35, v4 src0_sel:BYTE_0 src1_sel:DWORD
	v_mov_b32_e32 v35, 0
	s_and_saveexec_b32 s48, s2
	s_cbranch_execz .LBB263_74
; %bb.67:                               ;   in Loop: Header=BB263_13 Depth=1
	v_cmp_ne_u16_sdwa s2, v3, v19 src0_sel:BYTE_0 src1_sel:DWORD
	v_mov_b32_e32 v35, 0x8000
	s_and_saveexec_b32 s49, s2
	s_cbranch_execz .LBB263_73
; %bb.68:                               ;   in Loop: Header=BB263_13 Depth=1
	v_and_b32_e32 v37, 0x7f, v3
	v_mov_b32_e32 v35, 0x7c01
	s_mov_b32 s50, exec_lo
	v_cmpx_ne_u32_e32 0x7f, v37
	s_cbranch_execz .LBB263_72
; %bb.69:                               ;   in Loop: Header=BB263_13 Depth=1
	v_and_b32_e32 v35, 7, v3
	v_lshrrev_b32_e32 v36, 3, v37
	s_mov_b32 s51, exec_lo
	v_cmpx_gt_u32_e32 8, v37
; %bb.70:                               ;   in Loop: Header=BB263_13 Depth=1
	v_ffbh_u32_e32 v35, v35
	v_min_u32_e32 v37, 32, v35
	v_subrev_nc_u32_e32 v35, 28, v37
	v_lshlrev_b64 v[35:36], v35, v[3:4]
	v_sub_nc_u32_e32 v36, 29, v37
	v_and_b32_e32 v35, 7, v35
; %bb.71:                               ;   in Loop: Header=BB263_13 Depth=1
	s_or_b32 exec_lo, exec_lo, s51
	v_lshlrev_b32_e32 v37, 8, v3
	v_lshl_add_u32 v36, v36, 10, 0x2000
	v_lshlrev_b32_e32 v35, 7, v35
	v_and_b32_e32 v37, 0x8000, v37
	v_and_b32_e32 v36, 0xfc00, v36
	v_or3_b32 v35, v37, v36, v35
.LBB263_72:                             ;   in Loop: Header=BB263_13 Depth=1
	s_or_b32 exec_lo, exec_lo, s50
.LBB263_73:                             ;   in Loop: Header=BB263_13 Depth=1
	s_or_b32 exec_lo, exec_lo, s49
.LBB263_74:                             ;   in Loop: Header=BB263_13 Depth=1
	s_or_b32 exec_lo, exec_lo, s48
	v_lshrrev_b16 v3, 8, v3
	s_mov_b32 s48, exec_lo
	v_cmpx_ne_u16_e32 0, v3
	s_cbranch_execz .LBB263_82
; %bb.75:                               ;   in Loop: Header=BB263_13 Depth=1
	v_bfrev_b32_e32 v34, 1
	s_mov_b32 s49, exec_lo
	v_cmpx_ne_u16_e32 0x80, v3
	s_cbranch_execz .LBB263_81
; %bb.76:                               ;   in Loop: Header=BB263_13 Depth=1
	v_and_b32_sdwa v37, v3, v20 dst_sel:DWORD dst_unused:UNUSED_PAD src0_sel:WORD_0 src1_sel:DWORD
	v_mov_b32_e32 v34, 0x7c010000
	s_mov_b32 s50, exec_lo
	v_cmpx_ne_u32_e32 0x7f, v37
	s_cbranch_execz .LBB263_80
; %bb.77:                               ;   in Loop: Header=BB263_13 Depth=1
	v_and_b32_sdwa v34, v3, v21 dst_sel:DWORD dst_unused:UNUSED_PAD src0_sel:WORD_0 src1_sel:DWORD
	v_lshrrev_b32_e32 v36, 3, v37
	s_mov_b32 s51, exec_lo
	v_cmpx_gt_u32_e32 8, v37
; %bb.78:                               ;   in Loop: Header=BB263_13 Depth=1
	v_ffbh_u32_e32 v34, v34
	v_min_u32_e32 v34, 32, v34
	v_subrev_nc_u32_e32 v36, 28, v34
	v_lshlrev_b64 v[37:38], v36, v[3:4]
	v_sub_nc_u32_e32 v36, 29, v34
	v_and_b32_e32 v34, 7, v37
; %bb.79:                               ;   in Loop: Header=BB263_13 Depth=1
	s_or_b32 exec_lo, exec_lo, s51
	v_lshlrev_b32_sdwa v3, v22, v3 dst_sel:DWORD dst_unused:UNUSED_PAD src0_sel:DWORD src1_sel:WORD_0
	v_lshl_add_u32 v36, v36, 10, 0x2000
	v_lshlrev_b32_e32 v34, 23, v34
	v_and_or_b32 v3, 0x8000, v3, v36
	v_lshl_or_b32 v34, v3, 16, v34
.LBB263_80:                             ;   in Loop: Header=BB263_13 Depth=1
	s_or_b32 exec_lo, exec_lo, s50
.LBB263_81:                             ;   in Loop: Header=BB263_13 Depth=1
	s_or_b32 exec_lo, exec_lo, s49
.LBB263_82:                             ;   in Loop: Header=BB263_13 Depth=1
	s_or_b32 exec_lo, exec_lo, s48
	global_load_ushort v37, v[9:10], off offset:256
	v_mov_b32_e32 v36, 0
	s_waitcnt vmcnt(0)
	v_and_b32_e32 v3, 0xffff, v37
	v_cmp_ne_u16_sdwa s2, v37, v4 src0_sel:BYTE_0 src1_sel:DWORD
	v_mov_b32_e32 v37, 0
	s_and_saveexec_b32 s48, s2
	s_cbranch_execz .LBB263_90
; %bb.83:                               ;   in Loop: Header=BB263_13 Depth=1
	v_cmp_ne_u16_sdwa s2, v3, v19 src0_sel:BYTE_0 src1_sel:DWORD
	v_mov_b32_e32 v37, 0x8000
	s_and_saveexec_b32 s49, s2
	s_cbranch_execz .LBB263_89
; %bb.84:                               ;   in Loop: Header=BB263_13 Depth=1
	v_and_b32_e32 v39, 0x7f, v3
	v_mov_b32_e32 v37, 0x7c01
	s_mov_b32 s50, exec_lo
	v_cmpx_ne_u32_e32 0x7f, v39
	s_cbranch_execz .LBB263_88
; %bb.85:                               ;   in Loop: Header=BB263_13 Depth=1
	v_and_b32_e32 v37, 7, v3
	v_lshrrev_b32_e32 v38, 3, v39
	s_mov_b32 s51, exec_lo
	v_cmpx_gt_u32_e32 8, v39
; %bb.86:                               ;   in Loop: Header=BB263_13 Depth=1
	v_ffbh_u32_e32 v37, v37
	v_min_u32_e32 v39, 32, v37
	v_subrev_nc_u32_e32 v37, 28, v39
	v_lshlrev_b64 v[37:38], v37, v[3:4]
	v_sub_nc_u32_e32 v38, 29, v39
	v_and_b32_e32 v37, 7, v37
; %bb.87:                               ;   in Loop: Header=BB263_13 Depth=1
	s_or_b32 exec_lo, exec_lo, s51
	v_lshlrev_b32_e32 v39, 8, v3
	v_lshl_add_u32 v38, v38, 10, 0x2000
	v_lshlrev_b32_e32 v37, 7, v37
	v_and_b32_e32 v39, 0x8000, v39
	v_and_b32_e32 v38, 0xfc00, v38
	v_or3_b32 v37, v39, v38, v37
.LBB263_88:                             ;   in Loop: Header=BB263_13 Depth=1
	s_or_b32 exec_lo, exec_lo, s50
.LBB263_89:                             ;   in Loop: Header=BB263_13 Depth=1
	s_or_b32 exec_lo, exec_lo, s49
.LBB263_90:                             ;   in Loop: Header=BB263_13 Depth=1
	s_or_b32 exec_lo, exec_lo, s48
	v_lshrrev_b16 v3, 8, v3
	s_mov_b32 s48, exec_lo
	v_cmpx_ne_u16_e32 0, v3
	s_cbranch_execz .LBB263_98
; %bb.91:                               ;   in Loop: Header=BB263_13 Depth=1
	v_bfrev_b32_e32 v36, 1
	s_mov_b32 s49, exec_lo
	v_cmpx_ne_u16_e32 0x80, v3
	s_cbranch_execz .LBB263_97
; %bb.92:                               ;   in Loop: Header=BB263_13 Depth=1
	v_and_b32_sdwa v39, v3, v20 dst_sel:DWORD dst_unused:UNUSED_PAD src0_sel:WORD_0 src1_sel:DWORD
	v_mov_b32_e32 v36, 0x7c010000
	s_mov_b32 s50, exec_lo
	v_cmpx_ne_u32_e32 0x7f, v39
	s_cbranch_execz .LBB263_96
; %bb.93:                               ;   in Loop: Header=BB263_13 Depth=1
	v_and_b32_sdwa v36, v3, v21 dst_sel:DWORD dst_unused:UNUSED_PAD src0_sel:WORD_0 src1_sel:DWORD
	v_lshrrev_b32_e32 v38, 3, v39
	s_mov_b32 s51, exec_lo
	v_cmpx_gt_u32_e32 8, v39
; %bb.94:                               ;   in Loop: Header=BB263_13 Depth=1
	v_ffbh_u32_e32 v36, v36
	v_min_u32_e32 v36, 32, v36
	v_subrev_nc_u32_e32 v38, 28, v36
	v_lshlrev_b64 v[39:40], v38, v[3:4]
	v_sub_nc_u32_e32 v38, 29, v36
	v_and_b32_e32 v36, 7, v39
; %bb.95:                               ;   in Loop: Header=BB263_13 Depth=1
	s_or_b32 exec_lo, exec_lo, s51
	v_lshlrev_b32_sdwa v3, v22, v3 dst_sel:DWORD dst_unused:UNUSED_PAD src0_sel:DWORD src1_sel:WORD_0
	v_lshl_add_u32 v38, v38, 10, 0x2000
	v_lshlrev_b32_e32 v36, 23, v36
	v_and_or_b32 v3, 0x8000, v3, v38
	v_lshl_or_b32 v36, v3, 16, v36
.LBB263_96:                             ;   in Loop: Header=BB263_13 Depth=1
	s_or_b32 exec_lo, exec_lo, s50
.LBB263_97:                             ;   in Loop: Header=BB263_13 Depth=1
	s_or_b32 exec_lo, exec_lo, s49
.LBB263_98:                             ;   in Loop: Header=BB263_13 Depth=1
	s_or_b32 exec_lo, exec_lo, s48
	global_load_ushort v39, v[9:10], off offset:264
	v_mov_b32_e32 v38, 0
	s_waitcnt vmcnt(0)
	v_and_b32_e32 v3, 0xffff, v39
	v_cmp_ne_u16_sdwa s2, v39, v4 src0_sel:BYTE_0 src1_sel:DWORD
	v_mov_b32_e32 v39, 0
	s_and_saveexec_b32 s48, s2
	s_cbranch_execz .LBB263_106
; %bb.99:                               ;   in Loop: Header=BB263_13 Depth=1
	v_cmp_ne_u16_sdwa s2, v3, v19 src0_sel:BYTE_0 src1_sel:DWORD
	v_mov_b32_e32 v39, 0x8000
	s_and_saveexec_b32 s49, s2
	s_cbranch_execz .LBB263_105
; %bb.100:                              ;   in Loop: Header=BB263_13 Depth=1
	v_and_b32_e32 v41, 0x7f, v3
	v_mov_b32_e32 v39, 0x7c01
	s_mov_b32 s50, exec_lo
	v_cmpx_ne_u32_e32 0x7f, v41
	s_cbranch_execz .LBB263_104
; %bb.101:                              ;   in Loop: Header=BB263_13 Depth=1
	v_and_b32_e32 v39, 7, v3
	v_lshrrev_b32_e32 v40, 3, v41
	s_mov_b32 s51, exec_lo
	v_cmpx_gt_u32_e32 8, v41
; %bb.102:                              ;   in Loop: Header=BB263_13 Depth=1
	v_ffbh_u32_e32 v39, v39
	v_min_u32_e32 v41, 32, v39
	v_subrev_nc_u32_e32 v39, 28, v41
	v_lshlrev_b64 v[39:40], v39, v[3:4]
	v_sub_nc_u32_e32 v40, 29, v41
	v_and_b32_e32 v39, 7, v39
; %bb.103:                              ;   in Loop: Header=BB263_13 Depth=1
	s_or_b32 exec_lo, exec_lo, s51
	v_lshlrev_b32_e32 v41, 8, v3
	v_lshl_add_u32 v40, v40, 10, 0x2000
	v_lshlrev_b32_e32 v39, 7, v39
	v_and_b32_e32 v41, 0x8000, v41
	v_and_b32_e32 v40, 0xfc00, v40
	v_or3_b32 v39, v41, v40, v39
.LBB263_104:                            ;   in Loop: Header=BB263_13 Depth=1
	s_or_b32 exec_lo, exec_lo, s50
.LBB263_105:                            ;   in Loop: Header=BB263_13 Depth=1
	s_or_b32 exec_lo, exec_lo, s49
.LBB263_106:                            ;   in Loop: Header=BB263_13 Depth=1
	s_or_b32 exec_lo, exec_lo, s48
	v_lshrrev_b16 v3, 8, v3
	s_mov_b32 s48, exec_lo
	v_cmpx_ne_u16_e32 0, v3
	s_cbranch_execz .LBB263_114
; %bb.107:                              ;   in Loop: Header=BB263_13 Depth=1
	v_bfrev_b32_e32 v38, 1
	s_mov_b32 s49, exec_lo
	v_cmpx_ne_u16_e32 0x80, v3
	s_cbranch_execz .LBB263_113
; %bb.108:                              ;   in Loop: Header=BB263_13 Depth=1
	v_and_b32_sdwa v41, v3, v20 dst_sel:DWORD dst_unused:UNUSED_PAD src0_sel:WORD_0 src1_sel:DWORD
	v_mov_b32_e32 v38, 0x7c010000
	s_mov_b32 s50, exec_lo
	v_cmpx_ne_u32_e32 0x7f, v41
	s_cbranch_execz .LBB263_112
; %bb.109:                              ;   in Loop: Header=BB263_13 Depth=1
	v_and_b32_sdwa v38, v3, v21 dst_sel:DWORD dst_unused:UNUSED_PAD src0_sel:WORD_0 src1_sel:DWORD
	v_lshrrev_b32_e32 v40, 3, v41
	s_mov_b32 s51, exec_lo
	v_cmpx_gt_u32_e32 8, v41
; %bb.110:                              ;   in Loop: Header=BB263_13 Depth=1
	v_ffbh_u32_e32 v38, v38
	v_min_u32_e32 v38, 32, v38
	v_subrev_nc_u32_e32 v40, 28, v38
	v_lshlrev_b64 v[41:42], v40, v[3:4]
	v_sub_nc_u32_e32 v40, 29, v38
	v_and_b32_e32 v38, 7, v41
; %bb.111:                              ;   in Loop: Header=BB263_13 Depth=1
	s_or_b32 exec_lo, exec_lo, s51
	v_lshlrev_b32_sdwa v3, v22, v3 dst_sel:DWORD dst_unused:UNUSED_PAD src0_sel:DWORD src1_sel:WORD_0
	v_lshl_add_u32 v40, v40, 10, 0x2000
	v_lshlrev_b32_e32 v38, 23, v38
	v_and_or_b32 v3, 0x8000, v3, v40
	v_lshl_or_b32 v38, v3, 16, v38
.LBB263_112:                            ;   in Loop: Header=BB263_13 Depth=1
	s_or_b32 exec_lo, exec_lo, s50
.LBB263_113:                            ;   in Loop: Header=BB263_13 Depth=1
	s_or_b32 exec_lo, exec_lo, s49
.LBB263_114:                            ;   in Loop: Header=BB263_13 Depth=1
	s_or_b32 exec_lo, exec_lo, s48
	global_load_ushort v41, v[9:10], off offset:384
	v_mov_b32_e32 v40, 0
	s_waitcnt vmcnt(0)
	v_and_b32_e32 v3, 0xffff, v41
	v_cmp_ne_u16_sdwa s2, v41, v4 src0_sel:BYTE_0 src1_sel:DWORD
	v_mov_b32_e32 v41, 0
	s_and_saveexec_b32 s48, s2
	s_cbranch_execz .LBB263_122
; %bb.115:                              ;   in Loop: Header=BB263_13 Depth=1
	v_cmp_ne_u16_sdwa s2, v3, v19 src0_sel:BYTE_0 src1_sel:DWORD
	v_mov_b32_e32 v41, 0x8000
	s_and_saveexec_b32 s49, s2
	s_cbranch_execz .LBB263_121
; %bb.116:                              ;   in Loop: Header=BB263_13 Depth=1
	v_and_b32_e32 v43, 0x7f, v3
	v_mov_b32_e32 v41, 0x7c01
	s_mov_b32 s50, exec_lo
	v_cmpx_ne_u32_e32 0x7f, v43
	s_cbranch_execz .LBB263_120
; %bb.117:                              ;   in Loop: Header=BB263_13 Depth=1
	v_and_b32_e32 v41, 7, v3
	v_lshrrev_b32_e32 v42, 3, v43
	s_mov_b32 s51, exec_lo
	v_cmpx_gt_u32_e32 8, v43
; %bb.118:                              ;   in Loop: Header=BB263_13 Depth=1
	v_ffbh_u32_e32 v41, v41
	v_min_u32_e32 v43, 32, v41
	v_subrev_nc_u32_e32 v41, 28, v43
	v_lshlrev_b64 v[41:42], v41, v[3:4]
	v_sub_nc_u32_e32 v42, 29, v43
	v_and_b32_e32 v41, 7, v41
; %bb.119:                              ;   in Loop: Header=BB263_13 Depth=1
	s_or_b32 exec_lo, exec_lo, s51
	v_lshlrev_b32_e32 v43, 8, v3
	v_lshl_add_u32 v42, v42, 10, 0x2000
	v_lshlrev_b32_e32 v41, 7, v41
	v_and_b32_e32 v43, 0x8000, v43
	v_and_b32_e32 v42, 0xfc00, v42
	v_or3_b32 v41, v43, v42, v41
.LBB263_120:                            ;   in Loop: Header=BB263_13 Depth=1
	s_or_b32 exec_lo, exec_lo, s50
.LBB263_121:                            ;   in Loop: Header=BB263_13 Depth=1
	s_or_b32 exec_lo, exec_lo, s49
.LBB263_122:                            ;   in Loop: Header=BB263_13 Depth=1
	s_or_b32 exec_lo, exec_lo, s48
	v_lshrrev_b16 v3, 8, v3
	s_mov_b32 s48, exec_lo
	v_cmpx_ne_u16_e32 0, v3
	s_cbranch_execz .LBB263_130
; %bb.123:                              ;   in Loop: Header=BB263_13 Depth=1
	v_bfrev_b32_e32 v40, 1
	s_mov_b32 s49, exec_lo
	v_cmpx_ne_u16_e32 0x80, v3
	s_cbranch_execz .LBB263_129
; %bb.124:                              ;   in Loop: Header=BB263_13 Depth=1
	v_and_b32_sdwa v43, v3, v20 dst_sel:DWORD dst_unused:UNUSED_PAD src0_sel:WORD_0 src1_sel:DWORD
	v_mov_b32_e32 v40, 0x7c010000
	s_mov_b32 s50, exec_lo
	v_cmpx_ne_u32_e32 0x7f, v43
	s_cbranch_execz .LBB263_128
; %bb.125:                              ;   in Loop: Header=BB263_13 Depth=1
	v_and_b32_sdwa v40, v3, v21 dst_sel:DWORD dst_unused:UNUSED_PAD src0_sel:WORD_0 src1_sel:DWORD
	v_lshrrev_b32_e32 v42, 3, v43
	s_mov_b32 s51, exec_lo
	v_cmpx_gt_u32_e32 8, v43
; %bb.126:                              ;   in Loop: Header=BB263_13 Depth=1
	v_ffbh_u32_e32 v40, v40
	v_min_u32_e32 v40, 32, v40
	v_subrev_nc_u32_e32 v42, 28, v40
	v_lshlrev_b64 v[43:44], v42, v[3:4]
	v_sub_nc_u32_e32 v42, 29, v40
	v_and_b32_e32 v40, 7, v43
; %bb.127:                              ;   in Loop: Header=BB263_13 Depth=1
	s_or_b32 exec_lo, exec_lo, s51
	v_lshlrev_b32_sdwa v3, v22, v3 dst_sel:DWORD dst_unused:UNUSED_PAD src0_sel:DWORD src1_sel:WORD_0
	v_lshl_add_u32 v42, v42, 10, 0x2000
	v_lshlrev_b32_e32 v40, 23, v40
	v_and_or_b32 v3, 0x8000, v3, v42
	v_lshl_or_b32 v40, v3, 16, v40
.LBB263_128:                            ;   in Loop: Header=BB263_13 Depth=1
	s_or_b32 exec_lo, exec_lo, s50
.LBB263_129:                            ;   in Loop: Header=BB263_13 Depth=1
	s_or_b32 exec_lo, exec_lo, s49
.LBB263_130:                            ;   in Loop: Header=BB263_13 Depth=1
	s_or_b32 exec_lo, exec_lo, s48
	global_load_ushort v43, v[9:10], off offset:392
	v_mov_b32_e32 v42, 0
	s_waitcnt vmcnt(0)
	v_and_b32_e32 v3, 0xffff, v43
	v_cmp_ne_u16_sdwa s2, v43, v4 src0_sel:BYTE_0 src1_sel:DWORD
	v_mov_b32_e32 v43, 0
	s_and_saveexec_b32 s48, s2
	s_cbranch_execz .LBB263_138
; %bb.131:                              ;   in Loop: Header=BB263_13 Depth=1
	v_cmp_ne_u16_sdwa s2, v3, v19 src0_sel:BYTE_0 src1_sel:DWORD
	v_mov_b32_e32 v43, 0x8000
	s_and_saveexec_b32 s49, s2
	s_cbranch_execz .LBB263_137
; %bb.132:                              ;   in Loop: Header=BB263_13 Depth=1
	v_and_b32_e32 v45, 0x7f, v3
	v_mov_b32_e32 v43, 0x7c01
	s_mov_b32 s50, exec_lo
	v_cmpx_ne_u32_e32 0x7f, v45
	s_cbranch_execz .LBB263_136
; %bb.133:                              ;   in Loop: Header=BB263_13 Depth=1
	v_and_b32_e32 v43, 7, v3
	v_lshrrev_b32_e32 v44, 3, v45
	s_mov_b32 s51, exec_lo
	v_cmpx_gt_u32_e32 8, v45
; %bb.134:                              ;   in Loop: Header=BB263_13 Depth=1
	v_ffbh_u32_e32 v43, v43
	v_min_u32_e32 v45, 32, v43
	v_subrev_nc_u32_e32 v43, 28, v45
	v_lshlrev_b64 v[43:44], v43, v[3:4]
	v_sub_nc_u32_e32 v44, 29, v45
	v_and_b32_e32 v43, 7, v43
; %bb.135:                              ;   in Loop: Header=BB263_13 Depth=1
	s_or_b32 exec_lo, exec_lo, s51
	v_lshlrev_b32_e32 v45, 8, v3
	v_lshl_add_u32 v44, v44, 10, 0x2000
	v_lshlrev_b32_e32 v43, 7, v43
	v_and_b32_e32 v45, 0x8000, v45
	v_and_b32_e32 v44, 0xfc00, v44
	v_or3_b32 v43, v45, v44, v43
.LBB263_136:                            ;   in Loop: Header=BB263_13 Depth=1
	s_or_b32 exec_lo, exec_lo, s50
.LBB263_137:                            ;   in Loop: Header=BB263_13 Depth=1
	s_or_b32 exec_lo, exec_lo, s49
.LBB263_138:                            ;   in Loop: Header=BB263_13 Depth=1
	s_or_b32 exec_lo, exec_lo, s48
	v_lshrrev_b16 v3, 8, v3
	s_mov_b32 s48, exec_lo
	v_cmpx_ne_u16_e32 0, v3
	s_cbranch_execz .LBB263_146
; %bb.139:                              ;   in Loop: Header=BB263_13 Depth=1
	v_bfrev_b32_e32 v42, 1
	s_mov_b32 s49, exec_lo
	v_cmpx_ne_u16_e32 0x80, v3
	s_cbranch_execz .LBB263_145
; %bb.140:                              ;   in Loop: Header=BB263_13 Depth=1
	v_and_b32_sdwa v45, v3, v20 dst_sel:DWORD dst_unused:UNUSED_PAD src0_sel:WORD_0 src1_sel:DWORD
	v_mov_b32_e32 v42, 0x7c010000
	s_mov_b32 s50, exec_lo
	v_cmpx_ne_u32_e32 0x7f, v45
	s_cbranch_execz .LBB263_144
; %bb.141:                              ;   in Loop: Header=BB263_13 Depth=1
	v_and_b32_sdwa v42, v3, v21 dst_sel:DWORD dst_unused:UNUSED_PAD src0_sel:WORD_0 src1_sel:DWORD
	v_lshrrev_b32_e32 v44, 3, v45
	s_mov_b32 s51, exec_lo
	v_cmpx_gt_u32_e32 8, v45
; %bb.142:                              ;   in Loop: Header=BB263_13 Depth=1
	v_ffbh_u32_e32 v42, v42
	v_min_u32_e32 v42, 32, v42
	v_subrev_nc_u32_e32 v44, 28, v42
	v_lshlrev_b64 v[45:46], v44, v[3:4]
	v_sub_nc_u32_e32 v44, 29, v42
	v_and_b32_e32 v42, 7, v45
; %bb.143:                              ;   in Loop: Header=BB263_13 Depth=1
	s_or_b32 exec_lo, exec_lo, s51
	v_lshlrev_b32_sdwa v3, v22, v3 dst_sel:DWORD dst_unused:UNUSED_PAD src0_sel:DWORD src1_sel:WORD_0
	v_lshl_add_u32 v44, v44, 10, 0x2000
	v_lshlrev_b32_e32 v42, 23, v42
	v_and_or_b32 v3, 0x8000, v3, v44
	v_lshl_or_b32 v42, v3, 16, v42
.LBB263_144:                            ;   in Loop: Header=BB263_13 Depth=1
	s_or_b32 exec_lo, exec_lo, s50
.LBB263_145:                            ;   in Loop: Header=BB263_13 Depth=1
	s_or_b32 exec_lo, exec_lo, s49
.LBB263_146:                            ;   in Loop: Header=BB263_13 Depth=1
	s_or_b32 exec_lo, exec_lo, s48
	global_load_ushort v45, v[9:10], off offset:512
	v_mov_b32_e32 v44, 0
	s_waitcnt vmcnt(0)
	v_and_b32_e32 v3, 0xffff, v45
	v_cmp_ne_u16_sdwa s2, v45, v4 src0_sel:BYTE_0 src1_sel:DWORD
	v_mov_b32_e32 v45, 0
	s_and_saveexec_b32 s48, s2
	s_cbranch_execz .LBB263_154
; %bb.147:                              ;   in Loop: Header=BB263_13 Depth=1
	v_cmp_ne_u16_sdwa s2, v3, v19 src0_sel:BYTE_0 src1_sel:DWORD
	v_mov_b32_e32 v45, 0x8000
	s_and_saveexec_b32 s49, s2
	s_cbranch_execz .LBB263_153
; %bb.148:                              ;   in Loop: Header=BB263_13 Depth=1
	v_and_b32_e32 v47, 0x7f, v3
	v_mov_b32_e32 v45, 0x7c01
	s_mov_b32 s50, exec_lo
	v_cmpx_ne_u32_e32 0x7f, v47
	s_cbranch_execz .LBB263_152
; %bb.149:                              ;   in Loop: Header=BB263_13 Depth=1
	v_and_b32_e32 v45, 7, v3
	v_lshrrev_b32_e32 v46, 3, v47
	s_mov_b32 s51, exec_lo
	v_cmpx_gt_u32_e32 8, v47
; %bb.150:                              ;   in Loop: Header=BB263_13 Depth=1
	v_ffbh_u32_e32 v45, v45
	v_min_u32_e32 v47, 32, v45
	v_subrev_nc_u32_e32 v45, 28, v47
	v_lshlrev_b64 v[45:46], v45, v[3:4]
	v_sub_nc_u32_e32 v46, 29, v47
	v_and_b32_e32 v45, 7, v45
; %bb.151:                              ;   in Loop: Header=BB263_13 Depth=1
	s_or_b32 exec_lo, exec_lo, s51
	v_lshlrev_b32_e32 v47, 8, v3
	v_lshl_add_u32 v46, v46, 10, 0x2000
	v_lshlrev_b32_e32 v45, 7, v45
	v_and_b32_e32 v47, 0x8000, v47
	v_and_b32_e32 v46, 0xfc00, v46
	v_or3_b32 v45, v47, v46, v45
.LBB263_152:                            ;   in Loop: Header=BB263_13 Depth=1
	s_or_b32 exec_lo, exec_lo, s50
.LBB263_153:                            ;   in Loop: Header=BB263_13 Depth=1
	s_or_b32 exec_lo, exec_lo, s49
.LBB263_154:                            ;   in Loop: Header=BB263_13 Depth=1
	s_or_b32 exec_lo, exec_lo, s48
	v_lshrrev_b16 v3, 8, v3
	s_mov_b32 s48, exec_lo
	v_cmpx_ne_u16_e32 0, v3
	s_cbranch_execz .LBB263_162
; %bb.155:                              ;   in Loop: Header=BB263_13 Depth=1
	v_bfrev_b32_e32 v44, 1
	s_mov_b32 s49, exec_lo
	v_cmpx_ne_u16_e32 0x80, v3
	s_cbranch_execz .LBB263_161
; %bb.156:                              ;   in Loop: Header=BB263_13 Depth=1
	v_and_b32_sdwa v47, v3, v20 dst_sel:DWORD dst_unused:UNUSED_PAD src0_sel:WORD_0 src1_sel:DWORD
	v_mov_b32_e32 v44, 0x7c010000
	s_mov_b32 s50, exec_lo
	v_cmpx_ne_u32_e32 0x7f, v47
	s_cbranch_execz .LBB263_160
; %bb.157:                              ;   in Loop: Header=BB263_13 Depth=1
	v_and_b32_sdwa v44, v3, v21 dst_sel:DWORD dst_unused:UNUSED_PAD src0_sel:WORD_0 src1_sel:DWORD
	v_lshrrev_b32_e32 v46, 3, v47
	s_mov_b32 s51, exec_lo
	v_cmpx_gt_u32_e32 8, v47
; %bb.158:                              ;   in Loop: Header=BB263_13 Depth=1
	v_ffbh_u32_e32 v44, v44
	v_min_u32_e32 v44, 32, v44
	v_subrev_nc_u32_e32 v46, 28, v44
	v_lshlrev_b64 v[47:48], v46, v[3:4]
	v_sub_nc_u32_e32 v46, 29, v44
	v_and_b32_e32 v44, 7, v47
; %bb.159:                              ;   in Loop: Header=BB263_13 Depth=1
	s_or_b32 exec_lo, exec_lo, s51
	v_lshlrev_b32_sdwa v3, v22, v3 dst_sel:DWORD dst_unused:UNUSED_PAD src0_sel:DWORD src1_sel:WORD_0
	v_lshl_add_u32 v46, v46, 10, 0x2000
	v_lshlrev_b32_e32 v44, 23, v44
	v_and_or_b32 v3, 0x8000, v3, v46
	v_lshl_or_b32 v44, v3, 16, v44
.LBB263_160:                            ;   in Loop: Header=BB263_13 Depth=1
	s_or_b32 exec_lo, exec_lo, s50
.LBB263_161:                            ;   in Loop: Header=BB263_13 Depth=1
	s_or_b32 exec_lo, exec_lo, s49
.LBB263_162:                            ;   in Loop: Header=BB263_13 Depth=1
	s_or_b32 exec_lo, exec_lo, s48
	global_load_ushort v10, v[9:10], off offset:520
	v_mov_b32_e32 v9, 0
	s_waitcnt vmcnt(0)
	v_and_b32_e32 v3, 0xffff, v10
	v_cmp_ne_u16_sdwa s2, v10, v4 src0_sel:BYTE_0 src1_sel:DWORD
	v_mov_b32_e32 v10, 0
	s_and_saveexec_b32 s48, s2
	s_cbranch_execz .LBB263_170
; %bb.163:                              ;   in Loop: Header=BB263_13 Depth=1
	v_cmp_ne_u16_sdwa s2, v3, v19 src0_sel:BYTE_0 src1_sel:DWORD
	v_mov_b32_e32 v10, 0x8000
	s_and_saveexec_b32 s49, s2
	s_cbranch_execz .LBB263_169
; %bb.164:                              ;   in Loop: Header=BB263_13 Depth=1
	v_and_b32_e32 v47, 0x7f, v3
	v_mov_b32_e32 v10, 0x7c01
	s_mov_b32 s50, exec_lo
	v_cmpx_ne_u32_e32 0x7f, v47
	s_cbranch_execz .LBB263_168
; %bb.165:                              ;   in Loop: Header=BB263_13 Depth=1
	v_and_b32_e32 v10, 7, v3
	v_lshrrev_b32_e32 v46, 3, v47
	s_mov_b32 s51, exec_lo
	v_cmpx_gt_u32_e32 8, v47
; %bb.166:                              ;   in Loop: Header=BB263_13 Depth=1
	v_ffbh_u32_e32 v10, v10
	v_min_u32_e32 v10, 32, v10
	v_subrev_nc_u32_e32 v46, 28, v10
	v_lshlrev_b64 v[47:48], v46, v[3:4]
	v_sub_nc_u32_e32 v46, 29, v10
	v_and_b32_e32 v10, 7, v47
; %bb.167:                              ;   in Loop: Header=BB263_13 Depth=1
	s_or_b32 exec_lo, exec_lo, s51
	v_lshlrev_b32_e32 v47, 8, v3
	v_lshl_add_u32 v46, v46, 10, 0x2000
	v_lshlrev_b32_e32 v10, 7, v10
	v_and_b32_e32 v47, 0x8000, v47
	v_and_b32_e32 v46, 0xfc00, v46
	v_or3_b32 v10, v47, v46, v10
.LBB263_168:                            ;   in Loop: Header=BB263_13 Depth=1
	s_or_b32 exec_lo, exec_lo, s50
.LBB263_169:                            ;   in Loop: Header=BB263_13 Depth=1
	s_or_b32 exec_lo, exec_lo, s49
.LBB263_170:                            ;   in Loop: Header=BB263_13 Depth=1
	s_or_b32 exec_lo, exec_lo, s48
	v_lshrrev_b16 v3, 8, v3
	s_mov_b32 s48, exec_lo
	v_cmpx_ne_u16_e32 0, v3
	s_cbranch_execz .LBB263_178
; %bb.171:                              ;   in Loop: Header=BB263_13 Depth=1
	v_bfrev_b32_e32 v9, 1
	s_mov_b32 s49, exec_lo
	v_cmpx_ne_u16_e32 0x80, v3
	s_cbranch_execz .LBB263_177
; %bb.172:                              ;   in Loop: Header=BB263_13 Depth=1
	v_and_b32_sdwa v47, v3, v20 dst_sel:DWORD dst_unused:UNUSED_PAD src0_sel:WORD_0 src1_sel:DWORD
	v_mov_b32_e32 v9, 0x7c010000
	s_mov_b32 s50, exec_lo
	v_cmpx_ne_u32_e32 0x7f, v47
	s_cbranch_execz .LBB263_176
; %bb.173:                              ;   in Loop: Header=BB263_13 Depth=1
	v_and_b32_sdwa v9, v3, v21 dst_sel:DWORD dst_unused:UNUSED_PAD src0_sel:WORD_0 src1_sel:DWORD
	v_lshrrev_b32_e32 v46, 3, v47
	s_mov_b32 s51, exec_lo
	v_cmpx_gt_u32_e32 8, v47
; %bb.174:                              ;   in Loop: Header=BB263_13 Depth=1
	v_ffbh_u32_e32 v9, v9
	v_min_u32_e32 v9, 32, v9
	v_subrev_nc_u32_e32 v46, 28, v9
	v_lshlrev_b64 v[47:48], v46, v[3:4]
	v_sub_nc_u32_e32 v46, 29, v9
	v_and_b32_e32 v9, 7, v47
; %bb.175:                              ;   in Loop: Header=BB263_13 Depth=1
	s_or_b32 exec_lo, exec_lo, s51
	v_lshlrev_b32_sdwa v3, v22, v3 dst_sel:DWORD dst_unused:UNUSED_PAD src0_sel:DWORD src1_sel:WORD_0
	v_lshl_add_u32 v46, v46, 10, 0x2000
	v_lshlrev_b32_e32 v9, 23, v9
	v_and_or_b32 v3, 0x8000, v3, v46
	v_lshl_or_b32 v9, v3, 16, v9
.LBB263_176:                            ;   in Loop: Header=BB263_13 Depth=1
	s_or_b32 exec_lo, exec_lo, s50
.LBB263_177:                            ;   in Loop: Header=BB263_13 Depth=1
	s_or_b32 exec_lo, exec_lo, s49
.LBB263_178:                            ;   in Loop: Header=BB263_13 Depth=1
	s_or_b32 exec_lo, exec_lo, s48
	ds_read_b32 v3, v16
	v_or_b32_e32 v29, v28, v29
	v_fma_mixlo_f16 v28, v27, v28, 0 op_sel:[0,1,0] op_sel_hi:[0,1,0]
	v_or_b32_e32 v31, v30, v31
	v_fma_mixlo_f16 v30, v27, v30, 0 op_sel:[0,1,0] op_sel_hi:[0,1,0]
	v_or_b32_e32 v33, v32, v33
	v_fma_mixlo_f16 v29, v27, v29, 0 op_sel_hi:[0,1,0]
	v_and_b32_e32 v48, 0xffff, v28
	v_fma_mixlo_f16 v31, v27, v31, 0 op_sel_hi:[0,1,0]
	v_and_b32_e32 v50, 0xffff, v30
	;; [unrolled: 2-line block ×3, first 2 shown]
	v_fma_mixlo_f16 v32, v27, v32, 0 op_sel:[0,1,0] op_sel_hi:[0,1,0]
	v_and_b32_e32 v49, 0xffff, v31
	v_or_b32_e32 v35, v34, v35
	v_and_b32_e32 v51, 0xffff, v33
	v_fma_mixlo_f16 v34, v27, v34, 0 op_sel:[0,1,0] op_sel_hi:[0,1,0]
	v_and_b32_e32 v52, 0xffff, v32
	v_or_b32_e32 v37, v36, v37
	v_fma_mixlo_f16 v35, v27, v35, 0 op_sel_hi:[0,1,0]
	s_waitcnt lgkmcnt(0)
	v_and_b32_e32 v46, 0xffff, v3
	v_lshrrev_b32_e32 v47, 16, v3
	;;#ASMSTART
	v_cvt_f32_f16 v3, v46;
	;;#ASMEND
	;;#ASMSTART
	v_cvt_f32_f16 v28, v47;
	;;#ASMEND
	;; [unrolled: 3-line block ×4, first 2 shown]
	ds_read_b32 v47, v16 offset:4
	v_and_b32_e32 v53, 0xffff, v35
	v_and_b32_e32 v54, 0xffff, v34
	v_fma_mixlo_f16 v37, v27, v37, 0 op_sel_hi:[0,1,0]
	v_fma_mixlo_f16 v36, v27, v36, 0 op_sel:[0,1,0] op_sel_hi:[0,1,0]
	v_or_b32_e32 v39, v38, v39
	v_fma_mixlo_f16 v38, v27, v38, 0 op_sel:[0,1,0] op_sel_hi:[0,1,0]
	v_or_b32_e32 v41, v40, v41
	v_and_b32_e32 v55, 0xffff, v37
	v_and_b32_e32 v56, 0xffff, v36
	v_fma_mixlo_f16 v39, v27, v39, 0 op_sel_hi:[0,1,0]
	v_and_b32_e32 v58, 0xffff, v38
	v_fma_mixlo_f16 v41, v27, v41, 0 op_sel_hi:[0,1,0]
	v_fma_mixlo_f16 v40, v27, v40, 0 op_sel:[0,1,0] op_sel_hi:[0,1,0]
	v_or_b32_e32 v43, v42, v43
	v_and_b32_e32 v57, 0xffff, v39
	v_fma_mixlo_f16 v42, v27, v42, 0 op_sel:[0,1,0] op_sel_hi:[0,1,0]
	v_and_b32_e32 v59, 0xffff, v41
	v_and_b32_e32 v60, 0xffff, v40
	v_fma_mixlo_f16 v43, v27, v43, 0 op_sel_hi:[0,1,0]
	s_waitcnt lgkmcnt(0)
	v_and_b32_e32 v48, 0xffff, v47
	v_lshrrev_b32_e32 v47, 16, v47
	;;#ASMSTART
	v_cvt_f32_f16 v30, v48;
	;;#ASMEND
	;;#ASMSTART
	v_cvt_f32_f16 v31, v47;
	;;#ASMEND
	;; [unrolled: 3-line block ×4, first 2 shown]
	ds_read_b32 v49, v16 offset:8
	v_mul_f32_e32 v30, v30, v47
	v_mul_f32_e32 v31, v31, v48
	v_and_b32_e32 v61, 0xffff, v43
	v_and_b32_e32 v62, 0xffff, v42
	v_or_b32_e32 v45, v44, v45
	v_fmac_f32_e32 v30, v3, v29
	v_fmac_f32_e32 v31, v28, v46
	v_fma_mixlo_f16 v44, v27, v44, 0 op_sel:[0,1,0] op_sel_hi:[0,1,0]
	v_or_b32_e32 v10, v9, v10
	v_fma_mixlo_f16 v3, v27, v45, 0 op_sel_hi:[0,1,0]
	v_fma_mixlo_f16 v9, v27, v9, 0 op_sel:[0,1,0] op_sel_hi:[0,1,0]
	v_and_b32_e32 v44, 0xffff, v44
	v_fma_mixlo_f16 v10, v27, v10, 0 op_sel_hi:[0,1,0]
	s_waitcnt lgkmcnt(0)
	v_and_b32_e32 v50, 0xffff, v49
	v_lshrrev_b32_e32 v49, 16, v49
	;;#ASMSTART
	v_cvt_f32_f16 v32, v50;
	;;#ASMEND
	;;#ASMSTART
	v_cvt_f32_f16 v33, v49;
	;;#ASMEND
	;; [unrolled: 3-line block ×4, first 2 shown]
	ds_read_b32 v51, v16 offset:12
	v_fmac_f32_e32 v30, v32, v49
	v_fmac_f32_e32 v31, v33, v50
	v_and_b32_e32 v32, 0xffff, v3
	s_waitcnt lgkmcnt(0)
	v_and_b32_e32 v52, 0xffff, v51
	v_lshrrev_b32_e32 v51, 16, v51
	;;#ASMSTART
	v_cvt_f32_f16 v34, v52;
	;;#ASMEND
	;;#ASMSTART
	v_cvt_f32_f16 v35, v51;
	;;#ASMEND
	;; [unrolled: 3-line block ×4, first 2 shown]
	ds_read_b32 v53, v16 offset:16
	v_fmac_f32_e32 v30, v34, v51
	v_fmac_f32_e32 v31, v35, v52
	v_xor_b32_e32 v34, 2, v11
	v_and_b32_e32 v35, 0xffff, v9
	v_cmp_gt_i32_e64 s2, 32, v34
	v_cndmask_b32_e64 v9, v11, v34, s2
	v_and_b32_e32 v34, 0xffff, v10
	s_waitcnt lgkmcnt(0)
	v_and_b32_e32 v54, 0xffff, v53
	v_lshrrev_b32_e32 v53, 16, v53
	;;#ASMSTART
	v_cvt_f32_f16 v36, v54;
	;;#ASMEND
	;;#ASMSTART
	v_cvt_f32_f16 v37, v53;
	;;#ASMEND
	;;#ASMSTART
	v_cvt_f32_f16 v53, v55;
	;;#ASMEND
	;;#ASMSTART
	v_cvt_f32_f16 v54, v56;
	;;#ASMEND
	ds_read_b32 v55, v16 offset:20
	v_fmac_f32_e32 v30, v36, v53
	v_fmac_f32_e32 v31, v37, v54
	s_waitcnt lgkmcnt(0)
	v_and_b32_e32 v56, 0xffff, v55
	v_lshrrev_b32_e32 v55, 16, v55
	;;#ASMSTART
	v_cvt_f32_f16 v38, v56;
	;;#ASMEND
	;;#ASMSTART
	v_cvt_f32_f16 v39, v55;
	;;#ASMEND
	;;#ASMSTART
	v_cvt_f32_f16 v55, v57;
	;;#ASMEND
	;;#ASMSTART
	v_cvt_f32_f16 v56, v58;
	;;#ASMEND
	ds_read_b32 v57, v16 offset:24
	v_fmac_f32_e32 v30, v38, v55
	v_fmac_f32_e32 v31, v39, v56
	;; [unrolled: 18-line block ×5, first 2 shown]
	s_waitcnt lgkmcnt(0)
	v_and_b32_e32 v27, 0xffff, v33
	v_lshrrev_b32_e32 v33, 16, v33
	;;#ASMSTART
	v_cvt_f32_f16 v3, v27;
	;;#ASMEND
	;;#ASMSTART
	v_cvt_f32_f16 v10, v33;
	;;#ASMEND
	;; [unrolled: 3-line block ×4, first 2 shown]
	v_fmac_f32_e32 v30, v3, v27
	v_fmac_f32_e32 v31, v10, v28
	v_lshlrev_b32_e32 v3, 2, v9
	v_xor_b32_e32 v10, 1, v11
	v_add_f32_e32 v9, v30, v31
	v_cmp_gt_i32_e64 s2, 32, v10
	ds_bpermute_b32 v3, v3, v9
	v_cndmask_b32_e64 v10, v11, v10, s2
	s_waitcnt lgkmcnt(0)
	v_add_f32_e32 v3, v9, v3
	v_lshlrev_b32_e32 v9, 2, v10
	ds_bpermute_b32 v9, v9, v3
	s_and_saveexec_b32 s48, vcc_lo
	s_cbranch_execz .LBB263_11
; %bb.179:                              ;   in Loop: Header=BB263_13 Depth=1
	v_add_nc_u32_e32 v10, v23, v17
	s_waitcnt lgkmcnt(0)
	v_add_f32_e32 v3, v3, v9
	v_cvt_f32_i32_e32 v10, v10
	v_mul_f32_e32 v10, s43, v10
	v_cndmask_b32_e64 v9, 0, v10, s1
	v_max_f32_e32 v10, v14, v14
	v_fmac_f32_e32 v9, s41, v3
	v_add_nc_u32_e32 v3, v15, v17
	v_max_f32_e32 v10, v10, v9
	v_cmp_gt_i32_e64 s2, s31, v3
	v_cndmask_b32_e64 v3, 0, v9, s2
	v_cndmask_b32_e64 v14, v14, v10, s2
	ds_write_b32 v24, v3
	s_branch .LBB263_11
.LBB263_180:
	s_or_b32 exec_lo, exec_lo, s46
.LBB263_181:
	s_or_b32 exec_lo, exec_lo, s45
	v_xor_b32_e32 v3, 16, v11
	v_xor_b32_e32 v5, 8, v11
	v_max_f32_e32 v6, v14, v14
	v_xor_b32_e32 v7, 4, v11
	v_cmp_gt_i32_e32 vcc_lo, 32, v3
	v_cndmask_b32_e32 v3, v11, v3, vcc_lo
	v_cmp_gt_i32_e32 vcc_lo, 32, v5
	v_lshlrev_b32_e32 v4, 2, v3
	v_cndmask_b32_e32 v5, v11, v5, vcc_lo
	v_cmp_gt_i32_e32 vcc_lo, 32, v7
	ds_bpermute_b32 v3, v4, v14
	v_lshlrev_b32_e32 v5, 2, v5
	v_cndmask_b32_e32 v7, v11, v7, vcc_lo
	v_and_b32_e32 v14, 31, v0
	v_lshlrev_b32_e32 v8, 2, v7
	v_cmp_eq_u32_e32 vcc_lo, 0, v14
	s_waitcnt lgkmcnt(0)
	v_max_f32_e32 v3, v3, v3
	v_max_f32_e32 v3, v6, v3
	ds_bpermute_b32 v6, v5, v3
	s_waitcnt lgkmcnt(0)
	v_max_f32_e32 v6, v6, v6
	v_max_f32_e32 v3, v3, v6
	v_lshlrev_b32_e32 v6, 2, v12
	ds_bpermute_b32 v7, v8, v3
	s_and_saveexec_b32 s1, vcc_lo
	s_cbranch_execz .LBB263_183
; %bb.182:
	s_waitcnt lgkmcnt(0)
	v_max_f32_e32 v7, v7, v7
	v_max_f32_e32 v3, v3, v3
	;; [unrolled: 1-line block ×3, first 2 shown]
	ds_write_b32 v6, v3 offset:160
.LBB263_183:
	s_or_b32 exec_lo, exec_lo, s1
	v_cmp_gt_u32_e64 s1, 4, v14
	v_mov_b32_e32 v3, 0xff7fffff
	s_waitcnt lgkmcnt(0)
	v_lshlrev_b32_e32 v7, 2, v14
	s_barrier
	buffer_gl0_inv
	s_and_saveexec_b32 s2, s1
; %bb.184:
	ds_read_b32 v3, v7 offset:160
; %bb.185:
	s_or_b32 exec_lo, exec_lo, s2
	v_xor_b32_e32 v9, 2, v11
	v_xor_b32_e32 v15, 1, v11
	v_cmp_gt_i32_e64 s2, 32, v9
	v_cndmask_b32_e64 v9, v11, v9, s2
	v_cmp_gt_i32_e64 s2, 32, v15
	v_lshlrev_b32_e32 v9, 2, v9
	v_cndmask_b32_e64 v11, v11, v15, s2
	s_sub_i32 s2, s20, s44
	s_lshl_b32 s2, s2, 3
	s_waitcnt lgkmcnt(0)
	ds_bpermute_b32 v10, v9, v3
	v_max_f32_e32 v3, v3, v3
	s_add_i32 s2, s2, s42
	s_min_i32 s2, s2, s31
	s_sub_i32 s4, s2, s42
	v_cmp_gt_i32_e64 s2, s4, v0
	s_waitcnt lgkmcnt(0)
	v_max_f32_e32 v15, v10, v10
	v_lshlrev_b32_e32 v10, 2, v11
	v_max_f32_e32 v3, v3, v15
	v_lshl_add_u32 v15, v0, 2, 0xc0
	ds_bpermute_b32 v11, v10, v3
	s_waitcnt lgkmcnt(0)
	v_max_f32_e32 v11, v11, v11
	v_max_f32_e32 v3, v3, v11
	v_mov_b32_e32 v11, 0
	ds_bpermute_b32 v3, v11, v3
	s_and_saveexec_b32 s5, s2
	s_cbranch_execz .LBB263_189
; %bb.186:
	v_lshl_add_u32 v16, v0, 2, 0xc0
	v_mov_b32_e32 v11, 0
	v_mov_b32_e32 v17, v0
	s_mov_b32 s12, 0
	.p2align	6
.LBB263_187:                            ; =>This Inner Loop Header: Depth=1
	ds_read_b32 v18, v16
	v_add_nc_u32_e32 v17, 0x80, v17
	v_cmp_le_i32_e64 s3, s4, v17
	s_or_b32 s12, s3, s12
	s_waitcnt lgkmcnt(0)
	v_sub_f32_e32 v18, v18, v3
	v_mul_f32_e32 v18, 0x3fb8aa3b, v18
	v_exp_f32_e32 v18, v18
	ds_write_b32 v16, v18
	v_add_f32_e32 v11, v11, v18
	v_add_nc_u32_e32 v16, 0x200, v16
	s_andn2_b32 exec_lo, exec_lo, s12
	s_cbranch_execnz .LBB263_187
; %bb.188:
	s_or_b32 exec_lo, exec_lo, s12
.LBB263_189:
	s_or_b32 exec_lo, exec_lo, s5
	ds_bpermute_b32 v4, v4, v11
	s_waitcnt lgkmcnt(0)
	v_add_f32_e32 v4, v11, v4
	ds_bpermute_b32 v5, v5, v4
	s_waitcnt lgkmcnt(0)
	v_add_f32_e32 v4, v4, v5
	;; [unrolled: 3-line block ×5, first 2 shown]
	s_and_saveexec_b32 s3, vcc_lo
; %bb.190:
	ds_write_b32 v6, v4 offset:176
; %bb.191:
	s_or_b32 exec_lo, exec_lo, s3
	s_waitcnt lgkmcnt(0)
	s_barrier
	buffer_gl0_inv
	s_and_saveexec_b32 s3, s1
; %bb.192:
	ds_read_b32 v4, v7 offset:176
; %bb.193:
	s_or_b32 exec_lo, exec_lo, s3
	s_waitcnt lgkmcnt(0)
	ds_bpermute_b32 v5, v9, v4
	s_waitcnt lgkmcnt(0)
	v_add_f32_e32 v4, v4, v5
	ds_bpermute_b32 v5, v10, v4
	s_waitcnt lgkmcnt(0)
	v_add_f32_e32 v4, v4, v5
	v_mov_b32_e32 v5, 0
	ds_bpermute_b32 v4, v5, v4
	s_and_saveexec_b32 s1, s2
	s_cbranch_execz .LBB263_196
; %bb.194:
	s_waitcnt lgkmcnt(0)
	v_add_f32_e32 v6, 0x358637bd, v4
	s_mov_b32 s2, 0
	v_div_scale_f32 v5, null, v6, v6, 1.0
	v_div_scale_f32 v9, vcc_lo, 1.0, v6, 1.0
	v_rcp_f32_e32 v7, v5
	v_fma_f32 v8, -v5, v7, 1.0
	v_fmac_f32_e32 v7, v8, v7
	v_mul_f32_e32 v8, v9, v7
	v_fma_f32 v10, -v5, v8, v9
	v_fmac_f32_e32 v8, v10, v7
	v_fma_f32 v5, -v5, v8, v9
	v_div_fmas_f32 v7, v5, v7, v8
	v_mov_b32_e32 v5, v15
	v_div_fixup_f32 v6, v7, v6, 1.0
	v_mov_b32_e32 v7, v0
.LBB263_195:                            ; =>This Inner Loop Header: Depth=1
	ds_read_b32 v8, v5
	v_add_nc_u32_e32 v7, 0x80, v7
	v_cmp_le_i32_e32 vcc_lo, s4, v7
	s_or_b32 s2, vcc_lo, s2
	s_waitcnt lgkmcnt(0)
	v_mul_f32_e32 v8, v6, v8
	ds_write_b32 v5, v8
	v_add_nc_u32_e32 v5, 0x200, v5
	s_andn2_b32 exec_lo, exec_lo, s2
	s_cbranch_execnz .LBB263_195
.LBB263_196:
	s_or_b32 exec_lo, exec_lo, s1
	s_mul_i32 s1, s11, s30
	s_waitcnt lgkmcnt(0)
	s_mul_i32 s2, s1, s9
	s_mov_b32 s1, exec_lo
	s_barrier
	buffer_gl0_inv
	v_cmpx_eq_u32_e32 0, v0
	s_cbranch_execz .LBB263_198
; %bb.197:
	s_ashr_i32 s3, s2, 31
	s_mul_i32 s12, s11, s6
	s_lshl_b64 s[4:5], s[2:3], 2
	v_mov_b32_e32 v5, 0
	s_add_u32 s3, s26, s4
	s_addc_u32 s6, s27, s5
	s_ashr_i32 s13, s12, 31
	s_lshl_b64 s[12:13], s[12:13], 2
	s_add_u32 s3, s3, s12
	s_addc_u32 s6, s6, s13
	s_ashr_i32 s9, s8, 31
	s_lshl_b64 s[26:27], s[8:9], 2
	s_add_u32 s42, s3, s26
	s_addc_u32 s43, s6, s27
	s_add_u32 s3, s24, s4
	s_addc_u32 s4, s25, s5
	;; [unrolled: 2-line block ×4, first 2 shown]
	global_store_dword v5, v3, s[42:43]
	global_store_dword v5, v4, s[4:5]
.LBB263_198:
	s_or_b32 exec_lo, exec_lo, s1
	v_mov_b32_e32 v18, 0
	v_or_b32_e32 v19, 64, v14
	v_mov_b32_e32 v17, 0
	v_mov_b32_e32 v16, 0
	s_and_saveexec_b32 s3, s0
	s_cbranch_execz .LBB263_404
; %bb.199:
	s_sub_i32 s9, s40, s21
	s_ashr_i32 s0, s18, 31
	s_add_u32 s4, s38, s18
	s_addc_u32 s5, s39, s0
	s_abs_i32 s12, s22
	s_mov_b32 s13, s17
	v_cvt_f32_u32_e32 v3, s12
	s_sub_i32 s0, 0, s12
	s_add_i32 s17, s7, -1
	v_lshlrev_b32_e32 v20, 3, v14
	v_lshlrev_b32_e32 v21, 3, v19
	v_rcp_iflag_f32_e32 v3, v3
	v_lshl_add_u32 v22, v12, 5, 0xc0
	v_mov_b32_e32 v23, 0x80
	v_mov_b32_e32 v24, 0x7f
	;; [unrolled: 1-line block ×7, first 2 shown]
	s_mov_b32 s6, -1
	v_mul_f32_e32 v4, 0x4f7ffffe, v3
	v_mov_b32_e32 v3, 0
	s_mov_b32 s7, 0xffffff
	s_mov_b32 s18, 0
	v_cmp_gt_u32_e32 vcc_lo, 0x50, v19
	v_cvt_u32_f32_e32 v6, v4
	v_lshlrev_b64 v[4:5], 2, v[1:2]
	v_mul_lo_u32 v2, s0, v6
	s_lshl_b64 s[0:1], s[36:37], 2
	s_add_u32 s0, s34, s0
	s_addc_u32 s1, s35, s1
	v_add_co_u32 v4, s0, s0, v4
	v_add_co_ci_u32_e64 v5, null, s1, v5, s0
	v_mul_hi_u32 v2, v6, v2
	v_add_nc_u32_e32 v27, v6, v2
	s_branch .LBB263_203
.LBB263_200:                            ;   in Loop: Header=BB263_203 Depth=1
	s_or_b32 exec_lo, exec_lo, s1
	;;#ASMSTART
	v_pk_mul_f16 v2, v31, v39;

	;;#ASMEND
	;;#ASMSTART
	v_pk_mul_f16 v6, v30, v38;

	;;#ASMEND
	;; [unrolled: 4-line block ×4, first 2 shown]
	;;#ASMSTART
	v_pk_add_f16 v2, v2, v6;

	;;#ASMEND
	;;#ASMSTART
	v_pk_add_f16 v2, v2, v7;

	;;#ASMEND
	;;#ASMSTART
	v_pk_add_f16 v2, v2, v28;

	;;#ASMEND
	v_and_b32_e32 v6, 0xffff, v2
	v_lshrrev_b32_e32 v7, 16, v2
	;;#ASMSTART
	v_cvt_f32_f16 v2, v6;
	;;#ASMEND
	;;#ASMSTART
	v_cvt_f32_f16 v6, v7;
	;;#ASMEND
	v_add_f32_e32 v2, v2, v6
	v_add_f32_e32 v16, v16, v2
.LBB263_201:                            ;   in Loop: Header=BB263_203 Depth=1
	s_or_b32 exec_lo, exec_lo, s22
	v_add_f32_e32 v2, v10, v11
	v_add_f32_e32 v6, v8, v9
	;; [unrolled: 1-line block ×4, first 2 shown]
.LBB263_202:                            ;   in Loop: Header=BB263_203 Depth=1
	s_or_b32 exec_lo, exec_lo, s21
	v_add_nc_u32_e32 v1, 4, v1
	v_add_co_u32 v4, s1, v4, 16
	v_add_co_ci_u32_e64 v5, null, 0, v5, s1
	v_cmp_le_i32_e64 s0, s20, v1
	v_add_nc_u32_e32 v13, 32, v13
	v_add_nc_u32_e32 v22, 0x80, v22
	s_or_b32 s18, s0, s18
	s_andn2_b32 exec_lo, exec_lo, s18
	s_cbranch_execz .LBB263_403
.LBB263_203:                            ; =>This Inner Loop Header: Depth=1
	v_sub_nc_u32_e32 v2, 0, v13
	v_max_i32_e32 v2, v13, v2
	v_mul_hi_u32 v6, v2, s19
	v_mul_lo_u32 v7, v6, s16
	v_sub_nc_u32_e32 v2, v2, v7
	v_add_nc_u32_e32 v7, 1, v6
	v_subrev_nc_u32_e32 v8, s16, v2
	v_cmp_le_u32_e64 s0, s16, v2
	v_cndmask_b32_e64 v6, v6, v7, s0
	v_cndmask_b32_e64 v2, v2, v8, s0
	v_ashrrev_i32_e32 v7, 31, v13
	v_add_nc_u32_e32 v8, 1, v6
	v_cmp_le_u32_e64 s0, s16, v2
	v_xor_b32_e32 v7, s23, v7
	v_cndmask_b32_e64 v2, v6, v8, s0
	v_xor_b32_e32 v2, v2, v7
	v_sub_nc_u32_e32 v2, v2, v7
	v_add_nc_u32_e32 v6, s33, v2
	v_cmp_lt_i32_e64 s1, s9, v2
	v_sub_nc_u32_e32 v7, 0, v6
	v_max_i32_e32 v7, v6, v7
	v_ashrrev_i32_e32 v6, 31, v6
	v_mul_hi_u32 v8, v7, v27
	v_mul_lo_u32 v8, v8, s12
	v_sub_nc_u32_e32 v7, v7, v8
	v_subrev_nc_u32_e32 v8, s12, v7
	v_cmp_le_u32_e64 s0, s12, v7
	v_cndmask_b32_e64 v7, v7, v8, s0
	v_subrev_nc_u32_e32 v8, s12, v7
	v_cmp_le_u32_e64 s0, s12, v7
	v_cndmask_b32_e64 v7, v7, v8, s0
	v_xor_b32_e32 v7, v7, v6
	v_sub_nc_u32_e32 v6, v7, v6
	v_cmp_eq_u32_e64 s0, 0, v6
	s_or_b32 s0, s0, s1
	s_and_saveexec_b32 s21, s0
	s_cbranch_execz .LBB263_202
; %bb.204:                              ;   in Loop: Header=BB263_203 Depth=1
	global_load_dword v2, v[4:5], off
	ds_read2_b64 v[8:11], v22 offset1:1
	ds_read2_b64 v[34:37], v22 offset0:2 offset1:3
	v_mov_b32_e32 v38, 0
	s_waitcnt lgkmcnt(1)
	;;#ASMSTART
	v_cvt_f16_f32 v30, v8;

	;;#ASMEND
	;;#ASMSTART
	v_cvt_f16_f32 v28, v9;

	;;#ASMEND
	;; [unrolled: 4-line block ×4, first 2 shown]
	s_waitcnt lgkmcnt(0)
	;;#ASMSTART
	v_cvt_f16_f32 v34, v34;

	;;#ASMEND
	;;#ASMSTART
	v_cvt_f16_f32 v32, v35;

	;;#ASMEND
	;; [unrolled: 4-line block ×4, first 2 shown]
	v_mov_b32_e32 v37, 0
	global_load_dword v36, v37, s[14:15]
	s_waitcnt vmcnt(1)
	v_mad_i64_i32 v[6:7], null, v2, s13, s[4:5]
	v_add_co_u32 v8, s0, v6, v20
	v_add_co_ci_u32_e64 v9, null, 0, v7, s0
	global_load_dwordx2 v[10:11], v[8:9], off
	s_waitcnt vmcnt(0)
	v_cmp_ne_u16_sdwa s0, v10, v3 src0_sel:BYTE_0 src1_sel:DWORD
	s_and_saveexec_b32 s1, s0
	s_cbranch_execz .LBB263_212
; %bb.205:                              ;   in Loop: Header=BB263_203 Depth=1
	v_cmp_ne_u16_sdwa s0, v10, v23 src0_sel:BYTE_0 src1_sel:DWORD
	v_mov_b32_e32 v38, 0x8000
	s_and_saveexec_b32 s22, s0
	s_cbranch_execz .LBB263_211
; %bb.206:                              ;   in Loop: Header=BB263_203 Depth=1
	v_and_b32_e32 v39, 0x7f, v10
	v_mov_b32_e32 v38, 0x7c01
	s_mov_b32 s24, exec_lo
	v_cmpx_ne_u32_e32 0x7f, v39
	s_cbranch_execz .LBB263_210
; %bb.207:                              ;   in Loop: Header=BB263_203 Depth=1
	v_and_b32_e32 v2, 7, v10
	v_lshrrev_b32_e32 v38, 3, v39
	s_mov_b32 s25, exec_lo
	v_cmpx_gt_u32_e32 8, v39
; %bb.208:                              ;   in Loop: Header=BB263_203 Depth=1
	v_ffbh_u32_e32 v2, v2
	v_min_u32_e32 v2, 32, v2
	v_subrev_nc_u32_e32 v38, 28, v2
	v_lshlrev_b64 v[39:40], v38, v[10:11]
	v_sub_nc_u32_e32 v38, 29, v2
	v_and_b32_e32 v2, 7, v39
; %bb.209:                              ;   in Loop: Header=BB263_203 Depth=1
	s_or_b32 exec_lo, exec_lo, s25
	v_lshlrev_b32_e32 v39, 8, v10
	v_lshl_add_u32 v38, v38, 10, 0x2000
	v_lshlrev_b32_e32 v2, 7, v2
	v_and_b32_e32 v39, 0x8000, v39
	v_and_b32_e32 v38, 0xfc00, v38
	v_or3_b32 v38, v39, v38, v2
.LBB263_210:                            ;   in Loop: Header=BB263_203 Depth=1
	s_or_b32 exec_lo, exec_lo, s24
.LBB263_211:                            ;   in Loop: Header=BB263_203 Depth=1
	s_or_b32 exec_lo, exec_lo, s22
.LBB263_212:                            ;   in Loop: Header=BB263_203 Depth=1
	s_or_b32 exec_lo, exec_lo, s1
	v_lshrrev_b16 v2, 8, v10
	s_mov_b32 s1, exec_lo
	v_cmpx_ne_u16_e32 0, v2
	s_cbranch_execz .LBB263_220
; %bb.213:                              ;   in Loop: Header=BB263_203 Depth=1
	v_bfrev_b32_e32 v37, 1
	s_mov_b32 s22, exec_lo
	v_cmpx_ne_u16_e32 0x80, v2
	s_cbranch_execz .LBB263_219
; %bb.214:                              ;   in Loop: Header=BB263_203 Depth=1
	v_and_b32_sdwa v40, v2, v24 dst_sel:DWORD dst_unused:UNUSED_PAD src0_sel:WORD_0 src1_sel:DWORD
	v_mov_b32_e32 v37, 0x7c010000
	s_mov_b32 s24, exec_lo
	v_cmpx_ne_u32_e32 0x7f, v40
	s_cbranch_execz .LBB263_218
; %bb.215:                              ;   in Loop: Header=BB263_203 Depth=1
	v_and_b32_sdwa v37, v2, v25 dst_sel:DWORD dst_unused:UNUSED_PAD src0_sel:WORD_0 src1_sel:DWORD
	v_lshrrev_b32_e32 v39, 3, v40
	s_mov_b32 s25, exec_lo
	v_cmpx_gt_u32_e32 8, v40
; %bb.216:                              ;   in Loop: Header=BB263_203 Depth=1
	v_ffbh_u32_e32 v37, v37
	v_min_u32_e32 v37, 32, v37
	v_subrev_nc_u32_e32 v39, 28, v37
	v_lshlrev_b64 v[40:41], v39, v[2:3]
	v_sub_nc_u32_e32 v39, 29, v37
	v_and_b32_e32 v37, 7, v40
; %bb.217:                              ;   in Loop: Header=BB263_203 Depth=1
	s_or_b32 exec_lo, exec_lo, s25
	v_lshlrev_b32_sdwa v2, v26, v2 dst_sel:DWORD dst_unused:UNUSED_PAD src0_sel:DWORD src1_sel:WORD_0
	v_lshl_add_u32 v39, v39, 10, 0x2000
	v_lshlrev_b32_e32 v37, 23, v37
	v_and_or_b32 v2, 0x8000, v2, v39
	v_lshl_or_b32 v37, v2, 16, v37
.LBB263_218:                            ;   in Loop: Header=BB263_203 Depth=1
	s_or_b32 exec_lo, exec_lo, s24
.LBB263_219:                            ;   in Loop: Header=BB263_203 Depth=1
	s_or_b32 exec_lo, exec_lo, s22
.LBB263_220:                            ;   in Loop: Header=BB263_203 Depth=1
	s_or_b32 exec_lo, exec_lo, s1
	v_lshrrev_b32_e32 v2, 16, v10
	v_mov_b32_e32 v39, 0
	v_mov_b32_e32 v40, 0
	v_cmp_ne_u16_sdwa s0, v2, v3 src0_sel:BYTE_0 src1_sel:DWORD
	s_and_saveexec_b32 s1, s0
	s_cbranch_execz .LBB263_228
; %bb.221:                              ;   in Loop: Header=BB263_203 Depth=1
	v_cmp_ne_u16_sdwa s0, v2, v23 src0_sel:BYTE_0 src1_sel:DWORD
	v_mov_b32_e32 v40, 0x8000
	s_and_saveexec_b32 s22, s0
	s_cbranch_execz .LBB263_227
; %bb.222:                              ;   in Loop: Header=BB263_203 Depth=1
	v_bfe_u32 v42, v10, 16, 7
	v_mov_b32_e32 v40, 0x7c01
	s_mov_b32 s24, exec_lo
	v_cmpx_ne_u32_e32 0x7f, v42
	s_cbranch_execz .LBB263_226
; %bb.223:                              ;   in Loop: Header=BB263_203 Depth=1
	v_and_b32_e32 v40, 7, v2
	v_lshrrev_b32_e32 v41, 3, v42
	s_mov_b32 s25, exec_lo
	v_cmpx_gt_u32_e32 8, v42
; %bb.224:                              ;   in Loop: Header=BB263_203 Depth=1
	v_ffbh_u32_e32 v40, v40
	v_min_u32_e32 v42, 32, v40
	v_subrev_nc_u32_e32 v40, 28, v42
	v_lshlrev_b64 v[40:41], v40, v[2:3]
	v_sub_nc_u32_e32 v41, 29, v42
	v_and_b32_e32 v40, 7, v40
; %bb.225:                              ;   in Loop: Header=BB263_203 Depth=1
	s_or_b32 exec_lo, exec_lo, s25
	v_lshlrev_b32_e32 v2, 8, v2
	v_lshl_add_u32 v41, v41, 10, 0x2000
	v_lshlrev_b32_e32 v40, 7, v40
	v_and_b32_e32 v2, 0x8000, v2
	v_and_b32_e32 v41, 0xfc00, v41
	v_or3_b32 v40, v2, v41, v40
.LBB263_226:                            ;   in Loop: Header=BB263_203 Depth=1
	s_or_b32 exec_lo, exec_lo, s24
.LBB263_227:                            ;   in Loop: Header=BB263_203 Depth=1
	s_or_b32 exec_lo, exec_lo, s22
.LBB263_228:                            ;   in Loop: Header=BB263_203 Depth=1
	s_or_b32 exec_lo, exec_lo, s1
	s_mov_b32 s1, exec_lo
	v_cmpx_lt_u32_e32 0xffffff, v10
	s_cbranch_execz .LBB263_236
; %bb.229:                              ;   in Loop: Header=BB263_203 Depth=1
	v_lshrrev_b32_e32 v2, 24, v10
	v_bfrev_b32_e32 v39, 1
	s_mov_b32 s22, exec_lo
	v_cmpx_ne_u32_e32 0x80, v2
	s_cbranch_execz .LBB263_235
; %bb.230:                              ;   in Loop: Header=BB263_203 Depth=1
	v_and_b32_e32 v42, 0x7f, v2
	v_mov_b32_e32 v39, 0x7c010000
	s_mov_b32 s24, exec_lo
	v_cmpx_ne_u32_e32 0x7f, v42
	s_cbranch_execz .LBB263_234
; %bb.231:                              ;   in Loop: Header=BB263_203 Depth=1
	v_and_b32_e32 v39, 7, v2
	v_lshrrev_b32_e32 v41, 3, v42
	s_mov_b32 s25, exec_lo
	v_cmpx_gt_u32_e32 8, v42
; %bb.232:                              ;   in Loop: Header=BB263_203 Depth=1
	v_ffbh_u32_e32 v39, v39
	v_min_u32_e32 v39, 32, v39
	v_subrev_nc_u32_e32 v41, 28, v39
	v_lshlrev_b64 v[42:43], v41, v[2:3]
	v_sub_nc_u32_e32 v41, 29, v39
	v_and_b32_e32 v39, 7, v42
; %bb.233:                              ;   in Loop: Header=BB263_203 Depth=1
	s_or_b32 exec_lo, exec_lo, s25
	v_lshlrev_b32_e32 v2, 8, v2
	v_lshl_add_u32 v41, v41, 10, 0x2000
	v_lshlrev_b32_e32 v39, 23, v39
	v_and_or_b32 v2, 0x8000, v2, v41
	v_lshl_or_b32 v39, v2, 16, v39
.LBB263_234:                            ;   in Loop: Header=BB263_203 Depth=1
	s_or_b32 exec_lo, exec_lo, s24
.LBB263_235:                            ;   in Loop: Header=BB263_203 Depth=1
	s_or_b32 exec_lo, exec_lo, s22
.LBB263_236:                            ;   in Loop: Header=BB263_203 Depth=1
	s_or_b32 exec_lo, exec_lo, s1
	v_mov_b32_e32 v2, v11
	v_cmp_ne_u16_sdwa s0, v11, v3 src0_sel:BYTE_0 src1_sel:DWORD
	v_mov_b32_e32 v41, 0
	v_mov_b32_e32 v42, 0
	s_and_saveexec_b32 s1, s0
	s_cbranch_execz .LBB263_244
; %bb.237:                              ;   in Loop: Header=BB263_203 Depth=1
	v_cmp_ne_u16_sdwa s0, v11, v23 src0_sel:BYTE_0 src1_sel:DWORD
	v_mov_b32_e32 v42, 0x8000
	s_and_saveexec_b32 s22, s0
	s_cbranch_execz .LBB263_243
; %bb.238:                              ;   in Loop: Header=BB263_203 Depth=1
	v_and_b32_e32 v44, 0x7f, v11
	v_mov_b32_e32 v42, 0x7c01
	s_mov_b32 s24, exec_lo
	v_cmpx_ne_u32_e32 0x7f, v44
	s_cbranch_execz .LBB263_242
; %bb.239:                              ;   in Loop: Header=BB263_203 Depth=1
	v_and_b32_e32 v42, 7, v11
	v_lshrrev_b32_e32 v43, 3, v44
	s_mov_b32 s25, exec_lo
	v_cmpx_gt_u32_e32 8, v44
; %bb.240:                              ;   in Loop: Header=BB263_203 Depth=1
	v_ffbh_u32_e32 v42, v42
	v_min_u32_e32 v44, 32, v42
	v_subrev_nc_u32_e32 v42, 28, v44
	v_lshlrev_b64 v[42:43], v42, v[2:3]
	v_sub_nc_u32_e32 v43, 29, v44
	v_and_b32_e32 v42, 7, v42
; %bb.241:                              ;   in Loop: Header=BB263_203 Depth=1
	s_or_b32 exec_lo, exec_lo, s25
	v_lshlrev_b32_e32 v44, 8, v11
	v_lshl_add_u32 v43, v43, 10, 0x2000
	v_lshlrev_b32_e32 v42, 7, v42
	v_and_b32_e32 v44, 0x8000, v44
	v_and_b32_e32 v43, 0xfc00, v43
	v_or3_b32 v42, v44, v43, v42
.LBB263_242:                            ;   in Loop: Header=BB263_203 Depth=1
	s_or_b32 exec_lo, exec_lo, s24
.LBB263_243:                            ;   in Loop: Header=BB263_203 Depth=1
	s_or_b32 exec_lo, exec_lo, s22
.LBB263_244:                            ;   in Loop: Header=BB263_203 Depth=1
	s_or_b32 exec_lo, exec_lo, s1
	v_lshrrev_b16 v2, 8, v2
	v_mov_b32_e32 v43, 0
	s_mov_b32 s1, exec_lo
	v_cmpx_ne_u16_e32 0, v2
	s_cbranch_execz .LBB263_252
; %bb.245:                              ;   in Loop: Header=BB263_203 Depth=1
	v_bfrev_b32_e32 v43, 1
	s_mov_b32 s22, exec_lo
	v_cmpx_ne_u16_e32 0x80, v2
	s_cbranch_execz .LBB263_251
; %bb.246:                              ;   in Loop: Header=BB263_203 Depth=1
	v_and_b32_sdwa v45, v2, v24 dst_sel:DWORD dst_unused:UNUSED_PAD src0_sel:WORD_0 src1_sel:DWORD
	v_mov_b32_e32 v43, 0x7c010000
	s_mov_b32 s24, exec_lo
	v_cmpx_ne_u32_e32 0x7f, v45
	s_cbranch_execz .LBB263_250
; %bb.247:                              ;   in Loop: Header=BB263_203 Depth=1
	v_and_b32_sdwa v43, v2, v25 dst_sel:DWORD dst_unused:UNUSED_PAD src0_sel:WORD_0 src1_sel:DWORD
	v_lshrrev_b32_e32 v44, 3, v45
	s_mov_b32 s25, exec_lo
	v_cmpx_gt_u32_e32 8, v45
; %bb.248:                              ;   in Loop: Header=BB263_203 Depth=1
	v_ffbh_u32_e32 v43, v43
	v_min_u32_e32 v45, 32, v43
	v_subrev_nc_u32_e32 v43, 28, v45
	v_lshlrev_b64 v[43:44], v43, v[2:3]
	v_sub_nc_u32_e32 v44, 29, v45
	v_and_b32_e32 v43, 7, v43
; %bb.249:                              ;   in Loop: Header=BB263_203 Depth=1
	s_or_b32 exec_lo, exec_lo, s25
	v_lshlrev_b32_sdwa v2, v26, v2 dst_sel:DWORD dst_unused:UNUSED_PAD src0_sel:DWORD src1_sel:WORD_0
	v_lshl_add_u32 v44, v44, 10, 0x2000
	v_lshlrev_b32_e32 v43, 23, v43
	v_and_or_b32 v2, 0x8000, v2, v44
	v_lshl_or_b32 v43, v2, 16, v43
.LBB263_250:                            ;   in Loop: Header=BB263_203 Depth=1
	s_or_b32 exec_lo, exec_lo, s24
.LBB263_251:                            ;   in Loop: Header=BB263_203 Depth=1
	s_or_b32 exec_lo, exec_lo, s22
.LBB263_252:                            ;   in Loop: Header=BB263_203 Depth=1
	s_or_b32 exec_lo, exec_lo, s1
	v_lshrrev_b32_e32 v2, 16, v11
	v_cmp_ne_u16_sdwa s0, v2, v3 src0_sel:BYTE_0 src1_sel:DWORD
	s_and_saveexec_b32 s1, s0
	s_cbranch_execz .LBB263_260
; %bb.253:                              ;   in Loop: Header=BB263_203 Depth=1
	v_cmp_ne_u16_sdwa s0, v2, v23 src0_sel:BYTE_0 src1_sel:DWORD
	v_mov_b32_e32 v41, 0x8000
	s_and_saveexec_b32 s22, s0
	s_cbranch_execz .LBB263_259
; %bb.254:                              ;   in Loop: Header=BB263_203 Depth=1
	v_bfe_u32 v45, v11, 16, 7
	v_mov_b32_e32 v41, 0x7c01
	s_mov_b32 s24, exec_lo
	v_cmpx_ne_u32_e32 0x7f, v45
	s_cbranch_execz .LBB263_258
; %bb.255:                              ;   in Loop: Header=BB263_203 Depth=1
	v_and_b32_e32 v41, 7, v2
	v_lshrrev_b32_e32 v44, 3, v45
	s_mov_b32 s25, exec_lo
	v_cmpx_gt_u32_e32 8, v45
; %bb.256:                              ;   in Loop: Header=BB263_203 Depth=1
	v_ffbh_u32_e32 v41, v41
	v_min_u32_e32 v41, 32, v41
	v_subrev_nc_u32_e32 v44, 28, v41
	v_lshlrev_b64 v[45:46], v44, v[2:3]
	v_sub_nc_u32_e32 v44, 29, v41
	v_and_b32_e32 v41, 7, v45
; %bb.257:                              ;   in Loop: Header=BB263_203 Depth=1
	s_or_b32 exec_lo, exec_lo, s25
	v_lshlrev_b32_e32 v2, 8, v2
	v_lshl_add_u32 v44, v44, 10, 0x2000
	v_lshlrev_b32_e32 v41, 7, v41
	v_and_b32_e32 v2, 0x8000, v2
	v_and_b32_e32 v44, 0xfc00, v44
	v_or3_b32 v41, v2, v44, v41
.LBB263_258:                            ;   in Loop: Header=BB263_203 Depth=1
	s_or_b32 exec_lo, exec_lo, s24
.LBB263_259:                            ;   in Loop: Header=BB263_203 Depth=1
	s_or_b32 exec_lo, exec_lo, s22
.LBB263_260:                            ;   in Loop: Header=BB263_203 Depth=1
	s_or_b32 exec_lo, exec_lo, s1
	v_cmp_lt_u64_e64 s0, s[6:7], v[10:11]
	v_mov_b32_e32 v10, 0
	s_and_saveexec_b32 s1, s0
	s_cbranch_execz .LBB263_268
; %bb.261:                              ;   in Loop: Header=BB263_203 Depth=1
	v_lshrrev_b32_e32 v2, 24, v11
	v_bfrev_b32_e32 v10, 1
	s_mov_b32 s22, exec_lo
	v_cmpx_ne_u32_e32 0x80, v2
	s_cbranch_execz .LBB263_267
; %bb.262:                              ;   in Loop: Header=BB263_203 Depth=1
	v_and_b32_e32 v44, 0x7f, v2
	v_mov_b32_e32 v10, 0x7c010000
	s_mov_b32 s24, exec_lo
	v_cmpx_ne_u32_e32 0x7f, v44
	s_cbranch_execz .LBB263_266
; %bb.263:                              ;   in Loop: Header=BB263_203 Depth=1
	v_and_b32_e32 v10, 7, v2
	v_lshrrev_b32_e32 v11, 3, v44
	s_mov_b32 s25, exec_lo
	v_cmpx_gt_u32_e32 8, v44
; %bb.264:                              ;   in Loop: Header=BB263_203 Depth=1
	v_ffbh_u32_e32 v10, v10
	v_min_u32_e32 v44, 32, v10
	v_subrev_nc_u32_e32 v10, 28, v44
	v_lshlrev_b64 v[10:11], v10, v[2:3]
	v_sub_nc_u32_e32 v11, 29, v44
	v_and_b32_e32 v10, 7, v10
; %bb.265:                              ;   in Loop: Header=BB263_203 Depth=1
	s_or_b32 exec_lo, exec_lo, s25
	v_lshlrev_b32_e32 v2, 8, v2
	v_lshl_add_u32 v11, v11, 10, 0x2000
	v_lshlrev_b32_e32 v10, 23, v10
	v_and_or_b32 v2, 0x8000, v2, v11
	v_lshl_or_b32 v10, v2, 16, v10
.LBB263_266:                            ;   in Loop: Header=BB263_203 Depth=1
	s_or_b32 exec_lo, exec_lo, s24
.LBB263_267:                            ;   in Loop: Header=BB263_203 Depth=1
	s_or_b32 exec_lo, exec_lo, s22
.LBB263_268:                            ;   in Loop: Header=BB263_203 Depth=1
	s_or_b32 exec_lo, exec_lo, s1
	v_or_b32_e32 v2, v39, v40
	v_fma_mixlo_f16 v11, v36, v39, 0 op_sel:[0,1,0] op_sel_hi:[0,1,0]
	v_or_b32_e32 v38, v37, v38
	v_or_b32_e32 v40, v43, v42
	;; [unrolled: 1-line block ×3, first 2 shown]
	v_fma_mixlo_f16 v2, v36, v2, 0 op_sel_hi:[0,1,0]
	v_fma_mixlo_f16 v39, v36, v37, 0 op_sel:[0,1,0] op_sel_hi:[0,1,0]
	v_lshlrev_b32_e32 v37, 16, v11
	v_fma_mixlo_f16 v11, v36, v38, 0 op_sel_hi:[0,1,0]
	v_fma_mixlo_f16 v40, v36, v40, 0 op_sel_hi:[0,1,0]
	v_and_b32_e32 v38, 0xffff, v2
	v_fma_mixlo_f16 v2, v36, v43, 0 op_sel:[0,1,0] op_sel_hi:[0,1,0]
	v_fma_mixlo_f16 v42, v36, v10, 0 op_sel:[0,1,0] op_sel_hi:[0,1,0]
	v_fma_mixlo_f16 v41, v36, v41, 0 op_sel_hi:[0,1,0]
	v_lshlrev_b32_e32 v39, 16, v39
	v_and_b32_e32 v44, 0xffff, v11
	v_lshlrev_b32_e32 v10, 16, v2
	v_and_b32_e32 v36, 0xffff, v40
	;; [unrolled: 2-line block ×3, first 2 shown]
	v_cmp_eq_u32_e64 s0, s17, v1
	v_or_b32_e32 v40, v37, v38
	v_or_b32_e32 v41, v39, v44
	;; [unrolled: 1-line block ×4, first 2 shown]
	s_and_saveexec_b32 s22, s0
	s_cbranch_execz .LBB263_270
; %bb.269:                              ;   in Loop: Header=BB263_203 Depth=1
	v_add_nc_u32_e32 v40, 1, v13
	v_cmp_gt_i32_e64 s1, s31, v13
	v_add_nc_u32_e32 v41, 2, v13
	v_add_nc_u32_e32 v43, 3, v13
	v_cndmask_b32_e64 v42, 0, v44, s1
	v_cmp_gt_i32_e64 s1, s31, v40
	v_add_nc_u32_e32 v40, 4, v13
	v_cndmask_b32_e64 v39, 0, v39, s1
	v_cmp_gt_i32_e64 s1, s31, v41
	;; [unrolled: 3-line block ×5, first 2 shown]
	v_or_b32_e32 v41, v39, v42
	v_cndmask_b32_e64 v10, 0, v10, s1
	v_cmp_gt_i32_e64 s1, s31, v43
	v_or_b32_e32 v42, v10, v36
	v_cndmask_b32_e64 v11, 0, v11, s1
	v_cmp_gt_i32_e64 s1, s31, v40
	v_or_b32_e32 v40, v37, v38
	v_cndmask_b32_e64 v2, 0, v2, s1
	v_or_b32_e32 v43, v2, v11
.LBB263_270:                            ;   in Loop: Header=BB263_203 Depth=1
	s_or_b32 exec_lo, exec_lo, s22
	v_and_b32_e32 v2, 0xffff, v30
	v_and_b32_e32 v10, 0xffff, v31
	;; [unrolled: 1-line block ×4, first 2 shown]
	v_lshl_or_b32 v31, v28, 16, v2
	;;#ASMSTART
	v_pk_mul_f16 v2, v31, v41;

	;;#ASMEND
	v_lshl_or_b32 v30, v29, 16, v10
	v_lshl_or_b32 v29, v32, 16, v11
	;; [unrolled: 1-line block ×3, first 2 shown]
	;;#ASMSTART
	v_pk_mul_f16 v10, v30, v40;

	;;#ASMEND
	;;#ASMSTART
	v_pk_mul_f16 v11, v29, v42;

	;;#ASMEND
	;; [unrolled: 4-line block ×3, first 2 shown]
	;;#ASMSTART
	v_pk_add_f16 v2, v2, v10;

	;;#ASMEND
	;;#ASMSTART
	v_pk_add_f16 v2, v2, v11;

	;;#ASMEND
	;; [unrolled: 4-line block ×3, first 2 shown]
	v_and_b32_e32 v10, 0xffff, v2
	v_lshrrev_b32_e32 v2, 16, v2
	;;#ASMSTART
	v_cvt_f32_f16 v10, v10;
	;;#ASMEND
	;;#ASMSTART
	v_cvt_f32_f16 v11, v2;
	;;#ASMEND
	global_load_dwordx2 v[8:9], v[8:9], off offset:256
	v_mov_b32_e32 v33, 0
	v_mov_b32_e32 v34, 0
	global_load_dword v32, v33, s[14:15]
	s_waitcnt vmcnt(1)
	v_cmp_ne_u16_sdwa s1, v8, v3 src0_sel:BYTE_0 src1_sel:DWORD
	s_and_saveexec_b32 s22, s1
	s_cbranch_execz .LBB263_278
; %bb.271:                              ;   in Loop: Header=BB263_203 Depth=1
	v_cmp_ne_u16_sdwa s1, v8, v23 src0_sel:BYTE_0 src1_sel:DWORD
	v_mov_b32_e32 v34, 0x8000
	s_and_saveexec_b32 s24, s1
	s_cbranch_execz .LBB263_277
; %bb.272:                              ;   in Loop: Header=BB263_203 Depth=1
	v_and_b32_e32 v35, 0x7f, v8
	v_mov_b32_e32 v34, 0x7c01
	s_mov_b32 s25, exec_lo
	v_cmpx_ne_u32_e32 0x7f, v35
	s_cbranch_execz .LBB263_276
; %bb.273:                              ;   in Loop: Header=BB263_203 Depth=1
	v_and_b32_e32 v2, 7, v8
	v_lshrrev_b32_e32 v34, 3, v35
	s_mov_b32 s26, exec_lo
	v_cmpx_gt_u32_e32 8, v35
; %bb.274:                              ;   in Loop: Header=BB263_203 Depth=1
	v_ffbh_u32_e32 v2, v2
	v_min_u32_e32 v2, 32, v2
	v_subrev_nc_u32_e32 v34, 28, v2
	v_lshlrev_b64 v[35:36], v34, v[8:9]
	v_sub_nc_u32_e32 v34, 29, v2
	v_and_b32_e32 v2, 7, v35
; %bb.275:                              ;   in Loop: Header=BB263_203 Depth=1
	s_or_b32 exec_lo, exec_lo, s26
	v_lshlrev_b32_e32 v35, 8, v8
	v_lshl_add_u32 v34, v34, 10, 0x2000
	v_lshlrev_b32_e32 v2, 7, v2
	v_and_b32_e32 v35, 0x8000, v35
	v_and_b32_e32 v34, 0xfc00, v34
	v_or3_b32 v34, v35, v34, v2
.LBB263_276:                            ;   in Loop: Header=BB263_203 Depth=1
	s_or_b32 exec_lo, exec_lo, s25
.LBB263_277:                            ;   in Loop: Header=BB263_203 Depth=1
	s_or_b32 exec_lo, exec_lo, s24
.LBB263_278:                            ;   in Loop: Header=BB263_203 Depth=1
	s_or_b32 exec_lo, exec_lo, s22
	v_lshrrev_b16 v2, 8, v8
	s_mov_b32 s22, exec_lo
	v_cmpx_ne_u16_e32 0, v2
	s_cbranch_execz .LBB263_286
; %bb.279:                              ;   in Loop: Header=BB263_203 Depth=1
	v_bfrev_b32_e32 v33, 1
	s_mov_b32 s24, exec_lo
	v_cmpx_ne_u16_e32 0x80, v2
	s_cbranch_execz .LBB263_285
; %bb.280:                              ;   in Loop: Header=BB263_203 Depth=1
	v_and_b32_sdwa v36, v2, v24 dst_sel:DWORD dst_unused:UNUSED_PAD src0_sel:WORD_0 src1_sel:DWORD
	v_mov_b32_e32 v33, 0x7c010000
	s_mov_b32 s25, exec_lo
	v_cmpx_ne_u32_e32 0x7f, v36
	s_cbranch_execz .LBB263_284
; %bb.281:                              ;   in Loop: Header=BB263_203 Depth=1
	v_and_b32_sdwa v33, v2, v25 dst_sel:DWORD dst_unused:UNUSED_PAD src0_sel:WORD_0 src1_sel:DWORD
	v_lshrrev_b32_e32 v35, 3, v36
	s_mov_b32 s26, exec_lo
	v_cmpx_gt_u32_e32 8, v36
; %bb.282:                              ;   in Loop: Header=BB263_203 Depth=1
	v_ffbh_u32_e32 v33, v33
	v_min_u32_e32 v33, 32, v33
	v_subrev_nc_u32_e32 v35, 28, v33
	v_lshlrev_b64 v[36:37], v35, v[2:3]
	v_sub_nc_u32_e32 v35, 29, v33
	v_and_b32_e32 v33, 7, v36
; %bb.283:                              ;   in Loop: Header=BB263_203 Depth=1
	s_or_b32 exec_lo, exec_lo, s26
	v_lshlrev_b32_sdwa v2, v26, v2 dst_sel:DWORD dst_unused:UNUSED_PAD src0_sel:DWORD src1_sel:WORD_0
	v_lshl_add_u32 v35, v35, 10, 0x2000
	v_lshlrev_b32_e32 v33, 23, v33
	v_and_or_b32 v2, 0x8000, v2, v35
	v_lshl_or_b32 v33, v2, 16, v33
.LBB263_284:                            ;   in Loop: Header=BB263_203 Depth=1
	s_or_b32 exec_lo, exec_lo, s25
.LBB263_285:                            ;   in Loop: Header=BB263_203 Depth=1
	s_or_b32 exec_lo, exec_lo, s24
.LBB263_286:                            ;   in Loop: Header=BB263_203 Depth=1
	s_or_b32 exec_lo, exec_lo, s22
	v_lshrrev_b32_e32 v2, 16, v8
	v_mov_b32_e32 v35, 0
	v_mov_b32_e32 v36, 0
	v_cmp_ne_u16_sdwa s1, v2, v3 src0_sel:BYTE_0 src1_sel:DWORD
	s_and_saveexec_b32 s22, s1
	s_cbranch_execz .LBB263_294
; %bb.287:                              ;   in Loop: Header=BB263_203 Depth=1
	v_cmp_ne_u16_sdwa s1, v2, v23 src0_sel:BYTE_0 src1_sel:DWORD
	v_mov_b32_e32 v36, 0x8000
	s_and_saveexec_b32 s24, s1
	s_cbranch_execz .LBB263_293
; %bb.288:                              ;   in Loop: Header=BB263_203 Depth=1
	v_bfe_u32 v38, v8, 16, 7
	v_mov_b32_e32 v36, 0x7c01
	s_mov_b32 s25, exec_lo
	v_cmpx_ne_u32_e32 0x7f, v38
	s_cbranch_execz .LBB263_292
; %bb.289:                              ;   in Loop: Header=BB263_203 Depth=1
	v_and_b32_e32 v36, 7, v2
	v_lshrrev_b32_e32 v37, 3, v38
	s_mov_b32 s26, exec_lo
	v_cmpx_gt_u32_e32 8, v38
; %bb.290:                              ;   in Loop: Header=BB263_203 Depth=1
	v_ffbh_u32_e32 v36, v36
	v_min_u32_e32 v38, 32, v36
	v_subrev_nc_u32_e32 v36, 28, v38
	v_lshlrev_b64 v[36:37], v36, v[2:3]
	v_sub_nc_u32_e32 v37, 29, v38
	v_and_b32_e32 v36, 7, v36
; %bb.291:                              ;   in Loop: Header=BB263_203 Depth=1
	s_or_b32 exec_lo, exec_lo, s26
	v_lshlrev_b32_e32 v2, 8, v2
	v_lshl_add_u32 v37, v37, 10, 0x2000
	v_lshlrev_b32_e32 v36, 7, v36
	v_and_b32_e32 v2, 0x8000, v2
	v_and_b32_e32 v37, 0xfc00, v37
	v_or3_b32 v36, v2, v37, v36
.LBB263_292:                            ;   in Loop: Header=BB263_203 Depth=1
	s_or_b32 exec_lo, exec_lo, s25
.LBB263_293:                            ;   in Loop: Header=BB263_203 Depth=1
	s_or_b32 exec_lo, exec_lo, s24
.LBB263_294:                            ;   in Loop: Header=BB263_203 Depth=1
	s_or_b32 exec_lo, exec_lo, s22
	s_mov_b32 s22, exec_lo
	v_cmpx_lt_u32_e32 0xffffff, v8
	s_cbranch_execz .LBB263_302
; %bb.295:                              ;   in Loop: Header=BB263_203 Depth=1
	v_lshrrev_b32_e32 v2, 24, v8
	v_bfrev_b32_e32 v35, 1
	s_mov_b32 s24, exec_lo
	v_cmpx_ne_u32_e32 0x80, v2
	s_cbranch_execz .LBB263_301
; %bb.296:                              ;   in Loop: Header=BB263_203 Depth=1
	v_and_b32_e32 v38, 0x7f, v2
	v_mov_b32_e32 v35, 0x7c010000
	s_mov_b32 s25, exec_lo
	v_cmpx_ne_u32_e32 0x7f, v38
	s_cbranch_execz .LBB263_300
; %bb.297:                              ;   in Loop: Header=BB263_203 Depth=1
	v_and_b32_e32 v35, 7, v2
	v_lshrrev_b32_e32 v37, 3, v38
	s_mov_b32 s26, exec_lo
	v_cmpx_gt_u32_e32 8, v38
; %bb.298:                              ;   in Loop: Header=BB263_203 Depth=1
	v_ffbh_u32_e32 v35, v35
	v_min_u32_e32 v35, 32, v35
	v_subrev_nc_u32_e32 v37, 28, v35
	v_lshlrev_b64 v[38:39], v37, v[2:3]
	v_sub_nc_u32_e32 v37, 29, v35
	v_and_b32_e32 v35, 7, v38
; %bb.299:                              ;   in Loop: Header=BB263_203 Depth=1
	s_or_b32 exec_lo, exec_lo, s26
	v_lshlrev_b32_e32 v2, 8, v2
	v_lshl_add_u32 v37, v37, 10, 0x2000
	v_lshlrev_b32_e32 v35, 23, v35
	v_and_or_b32 v2, 0x8000, v2, v37
	v_lshl_or_b32 v35, v2, 16, v35
.LBB263_300:                            ;   in Loop: Header=BB263_203 Depth=1
	s_or_b32 exec_lo, exec_lo, s25
.LBB263_301:                            ;   in Loop: Header=BB263_203 Depth=1
	s_or_b32 exec_lo, exec_lo, s24
.LBB263_302:                            ;   in Loop: Header=BB263_203 Depth=1
	s_or_b32 exec_lo, exec_lo, s22
	v_mov_b32_e32 v2, v9
	v_cmp_ne_u16_sdwa s1, v9, v3 src0_sel:BYTE_0 src1_sel:DWORD
	v_mov_b32_e32 v37, 0
	v_mov_b32_e32 v38, 0
	s_and_saveexec_b32 s22, s1
	s_cbranch_execz .LBB263_310
; %bb.303:                              ;   in Loop: Header=BB263_203 Depth=1
	v_cmp_ne_u16_sdwa s1, v9, v23 src0_sel:BYTE_0 src1_sel:DWORD
	v_mov_b32_e32 v38, 0x8000
	s_and_saveexec_b32 s24, s1
	s_cbranch_execz .LBB263_309
; %bb.304:                              ;   in Loop: Header=BB263_203 Depth=1
	v_and_b32_e32 v40, 0x7f, v9
	v_mov_b32_e32 v38, 0x7c01
	s_mov_b32 s25, exec_lo
	v_cmpx_ne_u32_e32 0x7f, v40
	s_cbranch_execz .LBB263_308
; %bb.305:                              ;   in Loop: Header=BB263_203 Depth=1
	v_and_b32_e32 v38, 7, v9
	v_lshrrev_b32_e32 v39, 3, v40
	s_mov_b32 s26, exec_lo
	v_cmpx_gt_u32_e32 8, v40
; %bb.306:                              ;   in Loop: Header=BB263_203 Depth=1
	v_ffbh_u32_e32 v38, v38
	v_min_u32_e32 v40, 32, v38
	v_subrev_nc_u32_e32 v38, 28, v40
	v_lshlrev_b64 v[38:39], v38, v[2:3]
	v_sub_nc_u32_e32 v39, 29, v40
	v_and_b32_e32 v38, 7, v38
; %bb.307:                              ;   in Loop: Header=BB263_203 Depth=1
	s_or_b32 exec_lo, exec_lo, s26
	v_lshlrev_b32_e32 v40, 8, v9
	v_lshl_add_u32 v39, v39, 10, 0x2000
	v_lshlrev_b32_e32 v38, 7, v38
	v_and_b32_e32 v40, 0x8000, v40
	v_and_b32_e32 v39, 0xfc00, v39
	v_or3_b32 v38, v40, v39, v38
.LBB263_308:                            ;   in Loop: Header=BB263_203 Depth=1
	s_or_b32 exec_lo, exec_lo, s25
.LBB263_309:                            ;   in Loop: Header=BB263_203 Depth=1
	s_or_b32 exec_lo, exec_lo, s24
.LBB263_310:                            ;   in Loop: Header=BB263_203 Depth=1
	s_or_b32 exec_lo, exec_lo, s22
	v_lshrrev_b16 v2, 8, v2
	v_mov_b32_e32 v39, 0
	s_mov_b32 s22, exec_lo
	v_cmpx_ne_u16_e32 0, v2
	s_cbranch_execz .LBB263_318
; %bb.311:                              ;   in Loop: Header=BB263_203 Depth=1
	v_bfrev_b32_e32 v39, 1
	s_mov_b32 s24, exec_lo
	v_cmpx_ne_u16_e32 0x80, v2
	s_cbranch_execz .LBB263_317
; %bb.312:                              ;   in Loop: Header=BB263_203 Depth=1
	v_and_b32_sdwa v41, v2, v24 dst_sel:DWORD dst_unused:UNUSED_PAD src0_sel:WORD_0 src1_sel:DWORD
	v_mov_b32_e32 v39, 0x7c010000
	s_mov_b32 s25, exec_lo
	v_cmpx_ne_u32_e32 0x7f, v41
	s_cbranch_execz .LBB263_316
; %bb.313:                              ;   in Loop: Header=BB263_203 Depth=1
	v_and_b32_sdwa v39, v2, v25 dst_sel:DWORD dst_unused:UNUSED_PAD src0_sel:WORD_0 src1_sel:DWORD
	v_lshrrev_b32_e32 v40, 3, v41
	s_mov_b32 s26, exec_lo
	v_cmpx_gt_u32_e32 8, v41
; %bb.314:                              ;   in Loop: Header=BB263_203 Depth=1
	v_ffbh_u32_e32 v39, v39
	v_min_u32_e32 v41, 32, v39
	v_subrev_nc_u32_e32 v39, 28, v41
	v_lshlrev_b64 v[39:40], v39, v[2:3]
	v_sub_nc_u32_e32 v40, 29, v41
	v_and_b32_e32 v39, 7, v39
; %bb.315:                              ;   in Loop: Header=BB263_203 Depth=1
	s_or_b32 exec_lo, exec_lo, s26
	v_lshlrev_b32_sdwa v2, v26, v2 dst_sel:DWORD dst_unused:UNUSED_PAD src0_sel:DWORD src1_sel:WORD_0
	v_lshl_add_u32 v40, v40, 10, 0x2000
	v_lshlrev_b32_e32 v39, 23, v39
	v_and_or_b32 v2, 0x8000, v2, v40
	v_lshl_or_b32 v39, v2, 16, v39
.LBB263_316:                            ;   in Loop: Header=BB263_203 Depth=1
	s_or_b32 exec_lo, exec_lo, s25
.LBB263_317:                            ;   in Loop: Header=BB263_203 Depth=1
	s_or_b32 exec_lo, exec_lo, s24
.LBB263_318:                            ;   in Loop: Header=BB263_203 Depth=1
	s_or_b32 exec_lo, exec_lo, s22
	v_lshrrev_b32_e32 v2, 16, v9
	v_cmp_ne_u16_sdwa s1, v2, v3 src0_sel:BYTE_0 src1_sel:DWORD
	s_and_saveexec_b32 s22, s1
	s_cbranch_execz .LBB263_326
; %bb.319:                              ;   in Loop: Header=BB263_203 Depth=1
	v_cmp_ne_u16_sdwa s1, v2, v23 src0_sel:BYTE_0 src1_sel:DWORD
	v_mov_b32_e32 v37, 0x8000
	s_and_saveexec_b32 s24, s1
	s_cbranch_execz .LBB263_325
; %bb.320:                              ;   in Loop: Header=BB263_203 Depth=1
	v_bfe_u32 v41, v9, 16, 7
	v_mov_b32_e32 v37, 0x7c01
	s_mov_b32 s25, exec_lo
	v_cmpx_ne_u32_e32 0x7f, v41
	s_cbranch_execz .LBB263_324
; %bb.321:                              ;   in Loop: Header=BB263_203 Depth=1
	v_and_b32_e32 v37, 7, v2
	v_lshrrev_b32_e32 v40, 3, v41
	s_mov_b32 s26, exec_lo
	v_cmpx_gt_u32_e32 8, v41
; %bb.322:                              ;   in Loop: Header=BB263_203 Depth=1
	v_ffbh_u32_e32 v37, v37
	v_min_u32_e32 v37, 32, v37
	v_subrev_nc_u32_e32 v40, 28, v37
	v_lshlrev_b64 v[41:42], v40, v[2:3]
	v_sub_nc_u32_e32 v40, 29, v37
	v_and_b32_e32 v37, 7, v41
; %bb.323:                              ;   in Loop: Header=BB263_203 Depth=1
	s_or_b32 exec_lo, exec_lo, s26
	v_lshlrev_b32_e32 v2, 8, v2
	v_lshl_add_u32 v40, v40, 10, 0x2000
	v_lshlrev_b32_e32 v37, 7, v37
	v_and_b32_e32 v2, 0x8000, v2
	v_and_b32_e32 v40, 0xfc00, v40
	v_or3_b32 v37, v2, v40, v37
.LBB263_324:                            ;   in Loop: Header=BB263_203 Depth=1
	s_or_b32 exec_lo, exec_lo, s25
.LBB263_325:                            ;   in Loop: Header=BB263_203 Depth=1
	s_or_b32 exec_lo, exec_lo, s24
.LBB263_326:                            ;   in Loop: Header=BB263_203 Depth=1
	s_or_b32 exec_lo, exec_lo, s22
	v_cmp_lt_u64_e64 s1, s[6:7], v[8:9]
	v_mov_b32_e32 v8, 0
	s_and_saveexec_b32 s22, s1
	s_cbranch_execz .LBB263_334
; %bb.327:                              ;   in Loop: Header=BB263_203 Depth=1
	v_lshrrev_b32_e32 v2, 24, v9
	v_bfrev_b32_e32 v8, 1
	s_mov_b32 s24, exec_lo
	v_cmpx_ne_u32_e32 0x80, v2
	s_cbranch_execz .LBB263_333
; %bb.328:                              ;   in Loop: Header=BB263_203 Depth=1
	v_and_b32_e32 v40, 0x7f, v2
	v_mov_b32_e32 v8, 0x7c010000
	s_mov_b32 s25, exec_lo
	v_cmpx_ne_u32_e32 0x7f, v40
	s_cbranch_execz .LBB263_332
; %bb.329:                              ;   in Loop: Header=BB263_203 Depth=1
	v_and_b32_e32 v8, 7, v2
	v_lshrrev_b32_e32 v9, 3, v40
	s_mov_b32 s26, exec_lo
	v_cmpx_gt_u32_e32 8, v40
; %bb.330:                              ;   in Loop: Header=BB263_203 Depth=1
	v_ffbh_u32_e32 v8, v8
	v_min_u32_e32 v40, 32, v8
	v_subrev_nc_u32_e32 v8, 28, v40
	v_lshlrev_b64 v[8:9], v8, v[2:3]
	v_sub_nc_u32_e32 v9, 29, v40
	v_and_b32_e32 v8, 7, v8
; %bb.331:                              ;   in Loop: Header=BB263_203 Depth=1
	s_or_b32 exec_lo, exec_lo, s26
	v_lshlrev_b32_e32 v2, 8, v2
	v_lshl_add_u32 v9, v9, 10, 0x2000
	v_lshlrev_b32_e32 v8, 23, v8
	v_and_or_b32 v2, 0x8000, v2, v9
	v_lshl_or_b32 v8, v2, 16, v8
.LBB263_332:                            ;   in Loop: Header=BB263_203 Depth=1
	s_or_b32 exec_lo, exec_lo, s25
.LBB263_333:                            ;   in Loop: Header=BB263_203 Depth=1
	s_or_b32 exec_lo, exec_lo, s24
.LBB263_334:                            ;   in Loop: Header=BB263_203 Depth=1
	s_or_b32 exec_lo, exec_lo, s22
	v_or_b32_e32 v2, v35, v36
	s_waitcnt vmcnt(0)
	v_fma_mixlo_f16 v9, v32, v35, 0 op_sel:[0,1,0] op_sel_hi:[0,1,0]
	v_or_b32_e32 v34, v33, v34
	v_or_b32_e32 v36, v39, v38
	v_or_b32_e32 v37, v8, v37
	v_fma_mixlo_f16 v2, v32, v2, 0 op_sel_hi:[0,1,0]
	v_fma_mixlo_f16 v35, v32, v33, 0 op_sel:[0,1,0] op_sel_hi:[0,1,0]
	v_lshlrev_b32_e32 v33, 16, v9
	v_fma_mixlo_f16 v9, v32, v34, 0 op_sel_hi:[0,1,0]
	v_fma_mixlo_f16 v36, v32, v36, 0 op_sel_hi:[0,1,0]
	v_and_b32_e32 v34, 0xffff, v2
	v_fma_mixlo_f16 v2, v32, v39, 0 op_sel:[0,1,0] op_sel_hi:[0,1,0]
	v_fma_mixlo_f16 v38, v32, v8, 0 op_sel:[0,1,0] op_sel_hi:[0,1,0]
	v_fma_mixlo_f16 v37, v32, v37, 0 op_sel_hi:[0,1,0]
	v_lshlrev_b32_e32 v35, 16, v35
	v_and_b32_e32 v39, 0xffff, v9
	v_lshlrev_b32_e32 v8, 16, v2
	v_and_b32_e32 v32, 0xffff, v36
	;; [unrolled: 2-line block ×3, first 2 shown]
	v_or_b32_e32 v36, v33, v34
	v_or_b32_e32 v40, v35, v39
	;; [unrolled: 1-line block ×4, first 2 shown]
	s_and_saveexec_b32 s22, s0
	s_cbranch_execz .LBB263_336
; %bb.335:                              ;   in Loop: Header=BB263_203 Depth=1
	v_add_nc_u32_e32 v36, 1, v13
	v_cmp_gt_i32_e64 s1, s31, v13
	v_add_nc_u32_e32 v37, 2, v13
	v_cndmask_b32_e64 v38, 0, v39, s1
	v_cmp_gt_i32_e64 s1, s31, v36
	v_add_nc_u32_e32 v39, 3, v13
	v_add_nc_u32_e32 v36, 4, v13
	v_cndmask_b32_e64 v35, 0, v35, s1
	v_cmp_gt_i32_e64 s1, s31, v37
	v_add_nc_u32_e32 v37, 5, v13
	v_or_b32_e32 v40, v35, v38
	v_cndmask_b32_e64 v34, 0, v34, s1
	v_cmp_gt_i32_e64 s1, s31, v39
	v_add_nc_u32_e32 v39, 6, v13
	v_cndmask_b32_e64 v33, 0, v33, s1
	v_cmp_gt_i32_e64 s1, s31, v36
	v_add_nc_u32_e32 v36, 7, v13
	v_cndmask_b32_e64 v32, 0, v32, s1
	v_cmp_gt_i32_e64 s1, s31, v37
	v_cndmask_b32_e64 v8, 0, v8, s1
	v_cmp_gt_i32_e64 s1, s31, v39
	v_or_b32_e32 v38, v8, v32
	v_cndmask_b32_e64 v9, 0, v9, s1
	v_cmp_gt_i32_e64 s1, s31, v36
	v_or_b32_e32 v36, v33, v34
	v_cndmask_b32_e64 v2, 0, v2, s1
	v_or_b32_e32 v37, v2, v9
.LBB263_336:                            ;   in Loop: Header=BB263_203 Depth=1
	s_or_b32 exec_lo, exec_lo, s22
	;;#ASMSTART
	v_pk_mul_f16 v2, v31, v40;

	;;#ASMEND
	;;#ASMSTART
	v_pk_mul_f16 v8, v30, v36;

	;;#ASMEND
	;; [unrolled: 4-line block ×4, first 2 shown]
	;;#ASMSTART
	v_pk_add_f16 v2, v2, v8;

	;;#ASMEND
	;;#ASMSTART
	v_pk_add_f16 v2, v2, v9;

	;;#ASMEND
	;; [unrolled: 4-line block ×3, first 2 shown]
	v_and_b32_e32 v8, 0xffff, v2
	v_lshrrev_b32_e32 v2, 16, v2
	;;#ASMSTART
	v_cvt_f32_f16 v8, v8;
	;;#ASMEND
	;;#ASMSTART
	v_cvt_f32_f16 v9, v2;
	;;#ASMEND
	s_and_saveexec_b32 s22, vcc_lo
	s_cbranch_execz .LBB263_201
; %bb.337:                              ;   in Loop: Header=BB263_203 Depth=1
	v_add_co_u32 v6, s1, v6, v21
	v_add_co_ci_u32_e64 v7, null, 0, v7, s1
	v_mov_b32_e32 v33, 0
	v_mov_b32_e32 v34, 0
	global_load_dwordx2 v[6:7], v[6:7], off
	global_load_dword v32, v33, s[14:15]
	s_waitcnt vmcnt(1)
	v_cmp_ne_u16_sdwa s1, v6, v3 src0_sel:BYTE_0 src1_sel:DWORD
	s_and_saveexec_b32 s24, s1
	s_cbranch_execz .LBB263_345
; %bb.338:                              ;   in Loop: Header=BB263_203 Depth=1
	v_cmp_ne_u16_sdwa s1, v6, v23 src0_sel:BYTE_0 src1_sel:DWORD
	v_mov_b32_e32 v34, 0x8000
	s_and_saveexec_b32 s25, s1
	s_cbranch_execz .LBB263_344
; %bb.339:                              ;   in Loop: Header=BB263_203 Depth=1
	v_and_b32_e32 v35, 0x7f, v6
	v_mov_b32_e32 v34, 0x7c01
	s_mov_b32 s26, exec_lo
	v_cmpx_ne_u32_e32 0x7f, v35
	s_cbranch_execz .LBB263_343
; %bb.340:                              ;   in Loop: Header=BB263_203 Depth=1
	v_and_b32_e32 v2, 7, v6
	v_lshrrev_b32_e32 v34, 3, v35
	s_mov_b32 s27, exec_lo
	v_cmpx_gt_u32_e32 8, v35
; %bb.341:                              ;   in Loop: Header=BB263_203 Depth=1
	v_ffbh_u32_e32 v2, v2
	v_min_u32_e32 v2, 32, v2
	v_subrev_nc_u32_e32 v34, 28, v2
	v_lshlrev_b64 v[35:36], v34, v[6:7]
	v_sub_nc_u32_e32 v34, 29, v2
	v_and_b32_e32 v2, 7, v35
; %bb.342:                              ;   in Loop: Header=BB263_203 Depth=1
	s_or_b32 exec_lo, exec_lo, s27
	v_lshlrev_b32_e32 v35, 8, v6
	v_lshl_add_u32 v34, v34, 10, 0x2000
	v_lshlrev_b32_e32 v2, 7, v2
	v_and_b32_e32 v35, 0x8000, v35
	v_and_b32_e32 v34, 0xfc00, v34
	v_or3_b32 v34, v35, v34, v2
.LBB263_343:                            ;   in Loop: Header=BB263_203 Depth=1
	s_or_b32 exec_lo, exec_lo, s26
.LBB263_344:                            ;   in Loop: Header=BB263_203 Depth=1
	s_or_b32 exec_lo, exec_lo, s25
.LBB263_345:                            ;   in Loop: Header=BB263_203 Depth=1
	s_or_b32 exec_lo, exec_lo, s24
	v_lshrrev_b16 v2, 8, v6
	s_mov_b32 s24, exec_lo
	v_cmpx_ne_u16_e32 0, v2
	s_cbranch_execz .LBB263_353
; %bb.346:                              ;   in Loop: Header=BB263_203 Depth=1
	v_bfrev_b32_e32 v33, 1
	s_mov_b32 s25, exec_lo
	v_cmpx_ne_u16_e32 0x80, v2
	s_cbranch_execz .LBB263_352
; %bb.347:                              ;   in Loop: Header=BB263_203 Depth=1
	v_and_b32_sdwa v36, v2, v24 dst_sel:DWORD dst_unused:UNUSED_PAD src0_sel:WORD_0 src1_sel:DWORD
	v_mov_b32_e32 v33, 0x7c010000
	s_mov_b32 s26, exec_lo
	v_cmpx_ne_u32_e32 0x7f, v36
	s_cbranch_execz .LBB263_351
; %bb.348:                              ;   in Loop: Header=BB263_203 Depth=1
	v_and_b32_sdwa v33, v2, v25 dst_sel:DWORD dst_unused:UNUSED_PAD src0_sel:WORD_0 src1_sel:DWORD
	v_lshrrev_b32_e32 v35, 3, v36
	s_mov_b32 s27, exec_lo
	v_cmpx_gt_u32_e32 8, v36
; %bb.349:                              ;   in Loop: Header=BB263_203 Depth=1
	v_ffbh_u32_e32 v33, v33
	v_min_u32_e32 v33, 32, v33
	v_subrev_nc_u32_e32 v35, 28, v33
	v_lshlrev_b64 v[36:37], v35, v[2:3]
	v_sub_nc_u32_e32 v35, 29, v33
	v_and_b32_e32 v33, 7, v36
; %bb.350:                              ;   in Loop: Header=BB263_203 Depth=1
	s_or_b32 exec_lo, exec_lo, s27
	v_lshlrev_b32_sdwa v2, v26, v2 dst_sel:DWORD dst_unused:UNUSED_PAD src0_sel:DWORD src1_sel:WORD_0
	v_lshl_add_u32 v35, v35, 10, 0x2000
	v_lshlrev_b32_e32 v33, 23, v33
	v_and_or_b32 v2, 0x8000, v2, v35
	v_lshl_or_b32 v33, v2, 16, v33
.LBB263_351:                            ;   in Loop: Header=BB263_203 Depth=1
	s_or_b32 exec_lo, exec_lo, s26
.LBB263_352:                            ;   in Loop: Header=BB263_203 Depth=1
	s_or_b32 exec_lo, exec_lo, s25
.LBB263_353:                            ;   in Loop: Header=BB263_203 Depth=1
	s_or_b32 exec_lo, exec_lo, s24
	v_lshrrev_b32_e32 v2, 16, v6
	v_mov_b32_e32 v35, 0
	v_mov_b32_e32 v36, 0
	v_cmp_ne_u16_sdwa s1, v2, v3 src0_sel:BYTE_0 src1_sel:DWORD
	s_and_saveexec_b32 s24, s1
	s_cbranch_execz .LBB263_361
; %bb.354:                              ;   in Loop: Header=BB263_203 Depth=1
	v_cmp_ne_u16_sdwa s1, v2, v23 src0_sel:BYTE_0 src1_sel:DWORD
	v_mov_b32_e32 v36, 0x8000
	s_and_saveexec_b32 s25, s1
	s_cbranch_execz .LBB263_360
; %bb.355:                              ;   in Loop: Header=BB263_203 Depth=1
	v_bfe_u32 v38, v6, 16, 7
	v_mov_b32_e32 v36, 0x7c01
	s_mov_b32 s26, exec_lo
	v_cmpx_ne_u32_e32 0x7f, v38
	s_cbranch_execz .LBB263_359
; %bb.356:                              ;   in Loop: Header=BB263_203 Depth=1
	v_and_b32_e32 v36, 7, v2
	v_lshrrev_b32_e32 v37, 3, v38
	s_mov_b32 s27, exec_lo
	v_cmpx_gt_u32_e32 8, v38
; %bb.357:                              ;   in Loop: Header=BB263_203 Depth=1
	v_ffbh_u32_e32 v36, v36
	v_min_u32_e32 v38, 32, v36
	v_subrev_nc_u32_e32 v36, 28, v38
	v_lshlrev_b64 v[36:37], v36, v[2:3]
	v_sub_nc_u32_e32 v37, 29, v38
	v_and_b32_e32 v36, 7, v36
; %bb.358:                              ;   in Loop: Header=BB263_203 Depth=1
	s_or_b32 exec_lo, exec_lo, s27
	v_lshlrev_b32_e32 v2, 8, v2
	v_lshl_add_u32 v37, v37, 10, 0x2000
	v_lshlrev_b32_e32 v36, 7, v36
	v_and_b32_e32 v2, 0x8000, v2
	v_and_b32_e32 v37, 0xfc00, v37
	v_or3_b32 v36, v2, v37, v36
.LBB263_359:                            ;   in Loop: Header=BB263_203 Depth=1
	s_or_b32 exec_lo, exec_lo, s26
.LBB263_360:                            ;   in Loop: Header=BB263_203 Depth=1
	s_or_b32 exec_lo, exec_lo, s25
.LBB263_361:                            ;   in Loop: Header=BB263_203 Depth=1
	s_or_b32 exec_lo, exec_lo, s24
	s_mov_b32 s24, exec_lo
	v_cmpx_lt_u32_e32 0xffffff, v6
	s_cbranch_execz .LBB263_369
; %bb.362:                              ;   in Loop: Header=BB263_203 Depth=1
	v_lshrrev_b32_e32 v2, 24, v6
	v_bfrev_b32_e32 v35, 1
	s_mov_b32 s25, exec_lo
	v_cmpx_ne_u32_e32 0x80, v2
	s_cbranch_execz .LBB263_368
; %bb.363:                              ;   in Loop: Header=BB263_203 Depth=1
	v_and_b32_e32 v38, 0x7f, v2
	v_mov_b32_e32 v35, 0x7c010000
	s_mov_b32 s26, exec_lo
	v_cmpx_ne_u32_e32 0x7f, v38
	s_cbranch_execz .LBB263_367
; %bb.364:                              ;   in Loop: Header=BB263_203 Depth=1
	v_and_b32_e32 v35, 7, v2
	v_lshrrev_b32_e32 v37, 3, v38
	s_mov_b32 s27, exec_lo
	v_cmpx_gt_u32_e32 8, v38
; %bb.365:                              ;   in Loop: Header=BB263_203 Depth=1
	v_ffbh_u32_e32 v35, v35
	v_min_u32_e32 v35, 32, v35
	v_subrev_nc_u32_e32 v37, 28, v35
	v_lshlrev_b64 v[38:39], v37, v[2:3]
	v_sub_nc_u32_e32 v37, 29, v35
	v_and_b32_e32 v35, 7, v38
; %bb.366:                              ;   in Loop: Header=BB263_203 Depth=1
	s_or_b32 exec_lo, exec_lo, s27
	v_lshlrev_b32_e32 v2, 8, v2
	v_lshl_add_u32 v37, v37, 10, 0x2000
	v_lshlrev_b32_e32 v35, 23, v35
	v_and_or_b32 v2, 0x8000, v2, v37
	v_lshl_or_b32 v35, v2, 16, v35
.LBB263_367:                            ;   in Loop: Header=BB263_203 Depth=1
	s_or_b32 exec_lo, exec_lo, s26
.LBB263_368:                            ;   in Loop: Header=BB263_203 Depth=1
	s_or_b32 exec_lo, exec_lo, s25
.LBB263_369:                            ;   in Loop: Header=BB263_203 Depth=1
	s_or_b32 exec_lo, exec_lo, s24
	v_mov_b32_e32 v2, v7
	v_cmp_ne_u16_sdwa s1, v7, v3 src0_sel:BYTE_0 src1_sel:DWORD
	v_mov_b32_e32 v37, 0
	v_mov_b32_e32 v38, 0
	s_and_saveexec_b32 s24, s1
	s_cbranch_execz .LBB263_377
; %bb.370:                              ;   in Loop: Header=BB263_203 Depth=1
	v_cmp_ne_u16_sdwa s1, v7, v23 src0_sel:BYTE_0 src1_sel:DWORD
	v_mov_b32_e32 v38, 0x8000
	s_and_saveexec_b32 s25, s1
	s_cbranch_execz .LBB263_376
; %bb.371:                              ;   in Loop: Header=BB263_203 Depth=1
	v_and_b32_e32 v40, 0x7f, v7
	v_mov_b32_e32 v38, 0x7c01
	s_mov_b32 s26, exec_lo
	v_cmpx_ne_u32_e32 0x7f, v40
	s_cbranch_execz .LBB263_375
; %bb.372:                              ;   in Loop: Header=BB263_203 Depth=1
	v_and_b32_e32 v38, 7, v7
	v_lshrrev_b32_e32 v39, 3, v40
	s_mov_b32 s27, exec_lo
	v_cmpx_gt_u32_e32 8, v40
; %bb.373:                              ;   in Loop: Header=BB263_203 Depth=1
	v_ffbh_u32_e32 v38, v38
	v_min_u32_e32 v40, 32, v38
	v_subrev_nc_u32_e32 v38, 28, v40
	v_lshlrev_b64 v[38:39], v38, v[2:3]
	v_sub_nc_u32_e32 v39, 29, v40
	v_and_b32_e32 v38, 7, v38
; %bb.374:                              ;   in Loop: Header=BB263_203 Depth=1
	s_or_b32 exec_lo, exec_lo, s27
	v_lshlrev_b32_e32 v40, 8, v7
	v_lshl_add_u32 v39, v39, 10, 0x2000
	v_lshlrev_b32_e32 v38, 7, v38
	v_and_b32_e32 v40, 0x8000, v40
	v_and_b32_e32 v39, 0xfc00, v39
	v_or3_b32 v38, v40, v39, v38
.LBB263_375:                            ;   in Loop: Header=BB263_203 Depth=1
	s_or_b32 exec_lo, exec_lo, s26
.LBB263_376:                            ;   in Loop: Header=BB263_203 Depth=1
	s_or_b32 exec_lo, exec_lo, s25
.LBB263_377:                            ;   in Loop: Header=BB263_203 Depth=1
	s_or_b32 exec_lo, exec_lo, s24
	v_lshrrev_b16 v2, 8, v2
	v_mov_b32_e32 v39, 0
	s_mov_b32 s24, exec_lo
	v_cmpx_ne_u16_e32 0, v2
	s_cbranch_execz .LBB263_385
; %bb.378:                              ;   in Loop: Header=BB263_203 Depth=1
	v_bfrev_b32_e32 v39, 1
	s_mov_b32 s25, exec_lo
	v_cmpx_ne_u16_e32 0x80, v2
	s_cbranch_execz .LBB263_384
; %bb.379:                              ;   in Loop: Header=BB263_203 Depth=1
	v_and_b32_sdwa v41, v2, v24 dst_sel:DWORD dst_unused:UNUSED_PAD src0_sel:WORD_0 src1_sel:DWORD
	v_mov_b32_e32 v39, 0x7c010000
	s_mov_b32 s26, exec_lo
	v_cmpx_ne_u32_e32 0x7f, v41
	s_cbranch_execz .LBB263_383
; %bb.380:                              ;   in Loop: Header=BB263_203 Depth=1
	v_and_b32_sdwa v39, v2, v25 dst_sel:DWORD dst_unused:UNUSED_PAD src0_sel:WORD_0 src1_sel:DWORD
	v_lshrrev_b32_e32 v40, 3, v41
	s_mov_b32 s27, exec_lo
	v_cmpx_gt_u32_e32 8, v41
; %bb.381:                              ;   in Loop: Header=BB263_203 Depth=1
	v_ffbh_u32_e32 v39, v39
	v_min_u32_e32 v41, 32, v39
	v_subrev_nc_u32_e32 v39, 28, v41
	v_lshlrev_b64 v[39:40], v39, v[2:3]
	v_sub_nc_u32_e32 v40, 29, v41
	v_and_b32_e32 v39, 7, v39
; %bb.382:                              ;   in Loop: Header=BB263_203 Depth=1
	s_or_b32 exec_lo, exec_lo, s27
	v_lshlrev_b32_sdwa v2, v26, v2 dst_sel:DWORD dst_unused:UNUSED_PAD src0_sel:DWORD src1_sel:WORD_0
	v_lshl_add_u32 v40, v40, 10, 0x2000
	v_lshlrev_b32_e32 v39, 23, v39
	v_and_or_b32 v2, 0x8000, v2, v40
	v_lshl_or_b32 v39, v2, 16, v39
.LBB263_383:                            ;   in Loop: Header=BB263_203 Depth=1
	s_or_b32 exec_lo, exec_lo, s26
.LBB263_384:                            ;   in Loop: Header=BB263_203 Depth=1
	s_or_b32 exec_lo, exec_lo, s25
.LBB263_385:                            ;   in Loop: Header=BB263_203 Depth=1
	s_or_b32 exec_lo, exec_lo, s24
	v_lshrrev_b32_e32 v2, 16, v7
	v_cmp_ne_u16_sdwa s1, v2, v3 src0_sel:BYTE_0 src1_sel:DWORD
	s_and_saveexec_b32 s24, s1
	s_cbranch_execz .LBB263_393
; %bb.386:                              ;   in Loop: Header=BB263_203 Depth=1
	v_cmp_ne_u16_sdwa s1, v2, v23 src0_sel:BYTE_0 src1_sel:DWORD
	v_mov_b32_e32 v37, 0x8000
	s_and_saveexec_b32 s25, s1
	s_cbranch_execz .LBB263_392
; %bb.387:                              ;   in Loop: Header=BB263_203 Depth=1
	v_bfe_u32 v41, v7, 16, 7
	v_mov_b32_e32 v37, 0x7c01
	s_mov_b32 s26, exec_lo
	v_cmpx_ne_u32_e32 0x7f, v41
	s_cbranch_execz .LBB263_391
; %bb.388:                              ;   in Loop: Header=BB263_203 Depth=1
	v_and_b32_e32 v37, 7, v2
	v_lshrrev_b32_e32 v40, 3, v41
	s_mov_b32 s27, exec_lo
	v_cmpx_gt_u32_e32 8, v41
; %bb.389:                              ;   in Loop: Header=BB263_203 Depth=1
	v_ffbh_u32_e32 v37, v37
	v_min_u32_e32 v37, 32, v37
	v_subrev_nc_u32_e32 v40, 28, v37
	v_lshlrev_b64 v[41:42], v40, v[2:3]
	v_sub_nc_u32_e32 v40, 29, v37
	v_and_b32_e32 v37, 7, v41
; %bb.390:                              ;   in Loop: Header=BB263_203 Depth=1
	s_or_b32 exec_lo, exec_lo, s27
	v_lshlrev_b32_e32 v2, 8, v2
	v_lshl_add_u32 v40, v40, 10, 0x2000
	v_lshlrev_b32_e32 v37, 7, v37
	v_and_b32_e32 v2, 0x8000, v2
	v_and_b32_e32 v40, 0xfc00, v40
	v_or3_b32 v37, v2, v40, v37
.LBB263_391:                            ;   in Loop: Header=BB263_203 Depth=1
	s_or_b32 exec_lo, exec_lo, s26
.LBB263_392:                            ;   in Loop: Header=BB263_203 Depth=1
	s_or_b32 exec_lo, exec_lo, s25
.LBB263_393:                            ;   in Loop: Header=BB263_203 Depth=1
	s_or_b32 exec_lo, exec_lo, s24
	v_cmp_lt_u64_e64 s1, s[6:7], v[6:7]
	v_mov_b32_e32 v6, 0
	s_and_saveexec_b32 s24, s1
	s_cbranch_execz .LBB263_401
; %bb.394:                              ;   in Loop: Header=BB263_203 Depth=1
	v_lshrrev_b32_e32 v2, 24, v7
	v_bfrev_b32_e32 v6, 1
	s_mov_b32 s25, exec_lo
	v_cmpx_ne_u32_e32 0x80, v2
	s_cbranch_execz .LBB263_400
; %bb.395:                              ;   in Loop: Header=BB263_203 Depth=1
	v_and_b32_e32 v40, 0x7f, v2
	v_mov_b32_e32 v6, 0x7c010000
	s_mov_b32 s26, exec_lo
	v_cmpx_ne_u32_e32 0x7f, v40
	s_cbranch_execz .LBB263_399
; %bb.396:                              ;   in Loop: Header=BB263_203 Depth=1
	v_and_b32_e32 v6, 7, v2
	v_lshrrev_b32_e32 v7, 3, v40
	s_mov_b32 s27, exec_lo
	v_cmpx_gt_u32_e32 8, v40
; %bb.397:                              ;   in Loop: Header=BB263_203 Depth=1
	v_ffbh_u32_e32 v6, v6
	v_min_u32_e32 v40, 32, v6
	v_subrev_nc_u32_e32 v6, 28, v40
	v_lshlrev_b64 v[6:7], v6, v[2:3]
	v_sub_nc_u32_e32 v7, 29, v40
	v_and_b32_e32 v6, 7, v6
; %bb.398:                              ;   in Loop: Header=BB263_203 Depth=1
	s_or_b32 exec_lo, exec_lo, s27
	v_lshlrev_b32_e32 v2, 8, v2
	v_lshl_add_u32 v7, v7, 10, 0x2000
	v_lshlrev_b32_e32 v6, 23, v6
	v_and_or_b32 v2, 0x8000, v2, v7
	v_lshl_or_b32 v6, v2, 16, v6
.LBB263_399:                            ;   in Loop: Header=BB263_203 Depth=1
	s_or_b32 exec_lo, exec_lo, s26
.LBB263_400:                            ;   in Loop: Header=BB263_203 Depth=1
	s_or_b32 exec_lo, exec_lo, s25
.LBB263_401:                            ;   in Loop: Header=BB263_203 Depth=1
	s_or_b32 exec_lo, exec_lo, s24
	v_or_b32_e32 v2, v35, v36
	s_waitcnt vmcnt(0)
	v_fma_mixlo_f16 v7, v32, v35, 0 op_sel:[0,1,0] op_sel_hi:[0,1,0]
	v_or_b32_e32 v34, v33, v34
	v_or_b32_e32 v36, v39, v38
	;; [unrolled: 1-line block ×3, first 2 shown]
	v_fma_mixlo_f16 v2, v32, v2, 0 op_sel_hi:[0,1,0]
	v_fma_mixlo_f16 v35, v32, v33, 0 op_sel:[0,1,0] op_sel_hi:[0,1,0]
	v_lshlrev_b32_e32 v33, 16, v7
	v_fma_mixlo_f16 v7, v32, v34, 0 op_sel_hi:[0,1,0]
	v_fma_mixlo_f16 v36, v32, v36, 0 op_sel_hi:[0,1,0]
	v_and_b32_e32 v34, 0xffff, v2
	v_fma_mixlo_f16 v2, v32, v39, 0 op_sel:[0,1,0] op_sel_hi:[0,1,0]
	v_fma_mixlo_f16 v38, v32, v6, 0 op_sel:[0,1,0] op_sel_hi:[0,1,0]
	v_fma_mixlo_f16 v37, v32, v37, 0 op_sel_hi:[0,1,0]
	v_lshlrev_b32_e32 v35, 16, v35
	v_and_b32_e32 v40, 0xffff, v7
	v_lshlrev_b32_e32 v6, 16, v2
	v_and_b32_e32 v32, 0xffff, v36
	;; [unrolled: 2-line block ×3, first 2 shown]
	v_or_b32_e32 v38, v33, v34
	v_or_b32_e32 v39, v35, v40
	;; [unrolled: 1-line block ×4, first 2 shown]
	s_and_saveexec_b32 s1, s0
	s_cbranch_execz .LBB263_200
; %bb.402:                              ;   in Loop: Header=BB263_203 Depth=1
	v_add_nc_u32_e32 v36, 1, v13
	v_cmp_gt_i32_e64 s0, s31, v13
	v_add_nc_u32_e32 v37, 2, v13
	v_add_nc_u32_e32 v39, 3, v13
	v_cndmask_b32_e64 v38, 0, v40, s0
	v_cmp_gt_i32_e64 s0, s31, v36
	v_add_nc_u32_e32 v36, 4, v13
	v_cndmask_b32_e64 v35, 0, v35, s0
	v_cmp_gt_i32_e64 s0, s31, v37
	;; [unrolled: 3-line block ×5, first 2 shown]
	v_cndmask_b32_e64 v6, 0, v6, s0
	v_cmp_gt_i32_e64 s0, s31, v39
	v_or_b32_e32 v39, v35, v38
	v_or_b32_e32 v38, v33, v34
	;; [unrolled: 1-line block ×3, first 2 shown]
	v_cndmask_b32_e64 v7, 0, v7, s0
	v_cmp_gt_i32_e64 s0, s31, v36
	v_cndmask_b32_e64 v2, 0, v2, s0
	v_or_b32_e32 v36, v2, v7
	s_branch .LBB263_200
.LBB263_403:
	s_or_b32 exec_lo, exec_lo, s18
.LBB263_404:
	s_or_b32 exec_lo, exec_lo, s3
	s_movk_i32 s0, 0x140
	v_and_b32_e32 v2, 0x3c0, v0
	v_mad_u32_u24 v1, v12, s0, 0xc0
	s_mov_b32 s0, exec_lo
	s_waitcnt_vscnt null, 0x0
	s_barrier
	buffer_gl0_inv
	v_cmpx_eq_u32_e32 64, v2
	s_cbranch_execz .LBB263_407
; %bb.405:
	v_add_nc_u32_e32 v2, 0xfffffd80, v1
	v_cmp_gt_u32_e32 vcc_lo, 0x50, v19
	v_lshl_add_u32 v3, v14, 2, v2
	ds_write2_b32 v3, v18, v17 offset1:32
	s_and_b32 exec_lo, exec_lo, vcc_lo
; %bb.406:
	v_lshl_add_u32 v2, v19, 2, v2
	ds_write_b32 v2, v16
.LBB263_407:
	s_or_b32 exec_lo, exec_lo, s0
	v_lshl_add_u32 v2, v14, 2, v1
	s_mov_b32 s0, exec_lo
	s_waitcnt lgkmcnt(0)
	s_barrier
	buffer_gl0_inv
	v_cmpx_gt_u32_e32 64, v0
	s_cbranch_execz .LBB263_411
; %bb.408:
	v_lshl_or_b32 v3, v0, 2, 0x80
	s_mov_b32 s1, exec_lo
	v_add_nc_u32_e32 v4, v1, v3
	ds_read_b32 v3, v2
	ds_read_b32 v4, v4
	v_cmpx_gt_u32_e32 0x50, v19
	s_cbranch_execz .LBB263_410
; %bb.409:
	ds_read_b32 v5, v2 offset:256
	s_waitcnt lgkmcnt(0)
	v_add_f32_e32 v16, v16, v5
.LBB263_410:
	s_or_b32 exec_lo, exec_lo, s1
	s_waitcnt lgkmcnt(1)
	v_add_f32_e32 v18, v18, v3
	s_waitcnt lgkmcnt(0)
	v_add_f32_e32 v17, v17, v4
.LBB263_411:
	s_or_b32 exec_lo, exec_lo, s0
	v_and_b32_e32 v3, 0x3e0, v0
	s_mov_b32 s0, exec_lo
	s_barrier
	buffer_gl0_inv
	v_cmpx_eq_u32_e32 32, v3
	s_cbranch_execz .LBB263_414
; %bb.412:
	v_lshl_add_u32 v3, v14, 2, 0xc0
	v_cmp_gt_u32_e32 vcc_lo, 0x50, v19
	ds_write_b32 v3, v18
	ds_write_b32 v15, v17
	s_and_b32 exec_lo, exec_lo, vcc_lo
; %bb.413:
	ds_write_b32 v3, v16 offset:256
.LBB263_414:
	s_or_b32 exec_lo, exec_lo, s0
	v_cmp_gt_u32_e32 vcc_lo, 32, v0
	v_or_b32_e32 v3, 64, v0
	s_waitcnt lgkmcnt(0)
	s_barrier
	buffer_gl0_inv
	s_and_saveexec_b32 s1, vcc_lo
	s_cbranch_execz .LBB263_418
; %bb.415:
	v_lshl_add_u32 v4, v0, 2, v1
	s_mov_b32 s3, exec_lo
	ds_read_b32 v1, v2
	ds_read_b32 v2, v4 offset:128
	v_cmpx_gt_u32_e32 0x50, v3
	s_cbranch_execz .LBB263_417
; %bb.416:
	ds_read_b32 v4, v4 offset:256
	s_waitcnt lgkmcnt(0)
	v_add_f32_e32 v16, v16, v4
.LBB263_417:
	s_or_b32 exec_lo, exec_lo, s3
	s_waitcnt lgkmcnt(1)
	v_add_f32_e32 v18, v18, v1
	s_waitcnt lgkmcnt(0)
	v_add_f32_e32 v17, v17, v2
.LBB263_418:
	s_or_b32 exec_lo, exec_lo, s1
	s_barrier
	buffer_gl0_inv
	s_and_saveexec_b32 s0, vcc_lo
	s_cbranch_execz .LBB263_421
; %bb.419:
	s_mul_i32 s0, s2, 0x50
	s_mul_i32 s2, s11, s10
	s_ashr_i32 s1, s0, 31
	v_lshlrev_b32_e32 v0, 1, v0
	s_lshl_b64 s[0:1], s[0:1], 1
	v_cmp_gt_u32_e32 vcc_lo, 0x50, v3
	s_add_u32 s4, s28, s0
	s_addc_u32 s5, s29, s1
	s_ashr_i32 s3, s2, 31
	;;#ASMSTART
	v_cvt_f16_f32 v1, v18;

	;;#ASMEND
	s_lshl_b64 s[0:1], s[2:3], 1
	s_mul_i32 s2, s8, 0x50
	s_add_u32 s4, s4, s0
	s_addc_u32 s5, s5, s1
	s_ashr_i32 s3, s2, 31
	s_lshl_b64 s[0:1], s[2:3], 1
	s_add_u32 s0, s4, s0
	s_addc_u32 s1, s5, s1
	global_store_short v0, v1, s[0:1]
	;;#ASMSTART
	v_cvt_f16_f32 v1, v17;

	;;#ASMEND
	global_store_short v0, v1, s[0:1] offset:64
	s_and_b32 exec_lo, exec_lo, vcc_lo
	s_cbranch_execz .LBB263_421
; %bb.420:
	v_add_co_u32 v0, s0, s0, v0
	v_add_co_ci_u32_e64 v1, null, s1, 0, s0
	;;#ASMSTART
	v_cvt_f16_f32 v2, v16;

	;;#ASMEND
	global_store_short v[0:1], v2, off offset:128
.LBB263_421:
	s_endpgm
	.section	.rodata,"a",@progbits
	.p2align	6, 0x0
	.amdhsa_kernel _ZN4vllm25paged_attention_v2_kernelIthLi80ELi8ELi128ELNS_18Fp8KVCacheDataTypeE1ELb1ELi512EEEvPfS2_PT_PKS3_PKT0_S9_ifPKiSB_iPKfiiiSD_SD_iiiii
		.amdhsa_group_segment_fixed_size 192
		.amdhsa_private_segment_fixed_size 0
		.amdhsa_kernarg_size 400
		.amdhsa_user_sgpr_count 6
		.amdhsa_user_sgpr_private_segment_buffer 1
		.amdhsa_user_sgpr_dispatch_ptr 0
		.amdhsa_user_sgpr_queue_ptr 0
		.amdhsa_user_sgpr_kernarg_segment_ptr 1
		.amdhsa_user_sgpr_dispatch_id 0
		.amdhsa_user_sgpr_flat_scratch_init 0
		.amdhsa_user_sgpr_private_segment_size 0
		.amdhsa_wavefront_size32 1
		.amdhsa_uses_dynamic_stack 0
		.amdhsa_system_sgpr_private_segment_wavefront_offset 0
		.amdhsa_system_sgpr_workgroup_id_x 1
		.amdhsa_system_sgpr_workgroup_id_y 1
		.amdhsa_system_sgpr_workgroup_id_z 1
		.amdhsa_system_sgpr_workgroup_info 0
		.amdhsa_system_vgpr_workitem_id 0
		.amdhsa_next_free_vgpr 63
		.amdhsa_next_free_sgpr 52
		.amdhsa_reserve_vcc 1
		.amdhsa_reserve_flat_scratch 0
		.amdhsa_float_round_mode_32 0
		.amdhsa_float_round_mode_16_64 0
		.amdhsa_float_denorm_mode_32 3
		.amdhsa_float_denorm_mode_16_64 3
		.amdhsa_dx10_clamp 1
		.amdhsa_ieee_mode 1
		.amdhsa_fp16_overflow 0
		.amdhsa_workgroup_processor_mode 1
		.amdhsa_memory_ordered 1
		.amdhsa_forward_progress 1
		.amdhsa_shared_vgpr_count 0
		.amdhsa_exception_fp_ieee_invalid_op 0
		.amdhsa_exception_fp_denorm_src 0
		.amdhsa_exception_fp_ieee_div_zero 0
		.amdhsa_exception_fp_ieee_overflow 0
		.amdhsa_exception_fp_ieee_underflow 0
		.amdhsa_exception_fp_ieee_inexact 0
		.amdhsa_exception_int_div_zero 0
	.end_amdhsa_kernel
	.section	.text._ZN4vllm25paged_attention_v2_kernelIthLi80ELi8ELi128ELNS_18Fp8KVCacheDataTypeE1ELb1ELi512EEEvPfS2_PT_PKS3_PKT0_S9_ifPKiSB_iPKfiiiSD_SD_iiiii,"axG",@progbits,_ZN4vllm25paged_attention_v2_kernelIthLi80ELi8ELi128ELNS_18Fp8KVCacheDataTypeE1ELb1ELi512EEEvPfS2_PT_PKS3_PKT0_S9_ifPKiSB_iPKfiiiSD_SD_iiiii,comdat
.Lfunc_end263:
	.size	_ZN4vllm25paged_attention_v2_kernelIthLi80ELi8ELi128ELNS_18Fp8KVCacheDataTypeE1ELb1ELi512EEEvPfS2_PT_PKS3_PKT0_S9_ifPKiSB_iPKfiiiSD_SD_iiiii, .Lfunc_end263-_ZN4vllm25paged_attention_v2_kernelIthLi80ELi8ELi128ELNS_18Fp8KVCacheDataTypeE1ELb1ELi512EEEvPfS2_PT_PKS3_PKT0_S9_ifPKiSB_iPKfiiiSD_SD_iiiii
                                        ; -- End function
	.set _ZN4vllm25paged_attention_v2_kernelIthLi80ELi8ELi128ELNS_18Fp8KVCacheDataTypeE1ELb1ELi512EEEvPfS2_PT_PKS3_PKT0_S9_ifPKiSB_iPKfiiiSD_SD_iiiii.num_vgpr, 63
	.set _ZN4vllm25paged_attention_v2_kernelIthLi80ELi8ELi128ELNS_18Fp8KVCacheDataTypeE1ELb1ELi512EEEvPfS2_PT_PKS3_PKT0_S9_ifPKiSB_iPKfiiiSD_SD_iiiii.num_agpr, 0
	.set _ZN4vllm25paged_attention_v2_kernelIthLi80ELi8ELi128ELNS_18Fp8KVCacheDataTypeE1ELb1ELi512EEEvPfS2_PT_PKS3_PKT0_S9_ifPKiSB_iPKfiiiSD_SD_iiiii.numbered_sgpr, 52
	.set _ZN4vllm25paged_attention_v2_kernelIthLi80ELi8ELi128ELNS_18Fp8KVCacheDataTypeE1ELb1ELi512EEEvPfS2_PT_PKS3_PKT0_S9_ifPKiSB_iPKfiiiSD_SD_iiiii.num_named_barrier, 0
	.set _ZN4vllm25paged_attention_v2_kernelIthLi80ELi8ELi128ELNS_18Fp8KVCacheDataTypeE1ELb1ELi512EEEvPfS2_PT_PKS3_PKT0_S9_ifPKiSB_iPKfiiiSD_SD_iiiii.private_seg_size, 0
	.set _ZN4vllm25paged_attention_v2_kernelIthLi80ELi8ELi128ELNS_18Fp8KVCacheDataTypeE1ELb1ELi512EEEvPfS2_PT_PKS3_PKT0_S9_ifPKiSB_iPKfiiiSD_SD_iiiii.uses_vcc, 1
	.set _ZN4vllm25paged_attention_v2_kernelIthLi80ELi8ELi128ELNS_18Fp8KVCacheDataTypeE1ELb1ELi512EEEvPfS2_PT_PKS3_PKT0_S9_ifPKiSB_iPKfiiiSD_SD_iiiii.uses_flat_scratch, 0
	.set _ZN4vllm25paged_attention_v2_kernelIthLi80ELi8ELi128ELNS_18Fp8KVCacheDataTypeE1ELb1ELi512EEEvPfS2_PT_PKS3_PKT0_S9_ifPKiSB_iPKfiiiSD_SD_iiiii.has_dyn_sized_stack, 0
	.set _ZN4vllm25paged_attention_v2_kernelIthLi80ELi8ELi128ELNS_18Fp8KVCacheDataTypeE1ELb1ELi512EEEvPfS2_PT_PKS3_PKT0_S9_ifPKiSB_iPKfiiiSD_SD_iiiii.has_recursion, 0
	.set _ZN4vllm25paged_attention_v2_kernelIthLi80ELi8ELi128ELNS_18Fp8KVCacheDataTypeE1ELb1ELi512EEEvPfS2_PT_PKS3_PKT0_S9_ifPKiSB_iPKfiiiSD_SD_iiiii.has_indirect_call, 0
	.section	.AMDGPU.csdata,"",@progbits
; Kernel info:
; codeLenInByte = 15384
; TotalNumSgprs: 54
; NumVgprs: 63
; ScratchSize: 0
; MemoryBound: 0
; FloatMode: 240
; IeeeMode: 1
; LDSByteSize: 192 bytes/workgroup (compile time only)
; SGPRBlocks: 0
; VGPRBlocks: 7
; NumSGPRsForWavesPerEU: 54
; NumVGPRsForWavesPerEU: 63
; Occupancy: 16
; WaveLimiterHint : 1
; COMPUTE_PGM_RSRC2:SCRATCH_EN: 0
; COMPUTE_PGM_RSRC2:USER_SGPR: 6
; COMPUTE_PGM_RSRC2:TRAP_HANDLER: 0
; COMPUTE_PGM_RSRC2:TGID_X_EN: 1
; COMPUTE_PGM_RSRC2:TGID_Y_EN: 1
; COMPUTE_PGM_RSRC2:TGID_Z_EN: 1
; COMPUTE_PGM_RSRC2:TIDIG_COMP_CNT: 0
	.section	.text._ZN4vllm25paged_attention_v2_kernelIthLi96ELi8ELi128ELNS_18Fp8KVCacheDataTypeE1ELb1ELi512EEEvPfS2_PT_PKS3_PKT0_S9_ifPKiSB_iPKfiiiSD_SD_iiiii,"axG",@progbits,_ZN4vllm25paged_attention_v2_kernelIthLi96ELi8ELi128ELNS_18Fp8KVCacheDataTypeE1ELb1ELi512EEEvPfS2_PT_PKS3_PKT0_S9_ifPKiSB_iPKfiiiSD_SD_iiiii,comdat
	.protected	_ZN4vllm25paged_attention_v2_kernelIthLi96ELi8ELi128ELNS_18Fp8KVCacheDataTypeE1ELb1ELi512EEEvPfS2_PT_PKS3_PKT0_S9_ifPKiSB_iPKfiiiSD_SD_iiiii ; -- Begin function _ZN4vllm25paged_attention_v2_kernelIthLi96ELi8ELi128ELNS_18Fp8KVCacheDataTypeE1ELb1ELi512EEEvPfS2_PT_PKS3_PKT0_S9_ifPKiSB_iPKfiiiSD_SD_iiiii
	.globl	_ZN4vllm25paged_attention_v2_kernelIthLi96ELi8ELi128ELNS_18Fp8KVCacheDataTypeE1ELb1ELi512EEEvPfS2_PT_PKS3_PKT0_S9_ifPKiSB_iPKfiiiSD_SD_iiiii
	.p2align	8
	.type	_ZN4vllm25paged_attention_v2_kernelIthLi96ELi8ELi128ELNS_18Fp8KVCacheDataTypeE1ELb1ELi512EEEvPfS2_PT_PKS3_PKT0_S9_ifPKiSB_iPKfiiiSD_SD_iiiii,@function
_ZN4vllm25paged_attention_v2_kernelIthLi96ELi8ELi128ELNS_18Fp8KVCacheDataTypeE1ELb1ELi512EEEvPfS2_PT_PKS3_PKT0_S9_ifPKiSB_iPKfiiiSD_SD_iiiii: ; @_ZN4vllm25paged_attention_v2_kernelIthLi96ELi8ELi128ELNS_18Fp8KVCacheDataTypeE1ELb1ELi512EEEvPfS2_PT_PKS3_PKT0_S9_ifPKiSB_iPKfiiiSD_SD_iiiii
; %bb.0:
	s_load_dwordx2 s[0:1], s[4:5], 0x40
	s_mov_b32 s30, s7
	s_ashr_i32 s31, s7, 31
	s_lshl_b64 s[2:3], s[30:31], 2
	s_waitcnt lgkmcnt(0)
	s_add_u32 s0, s0, s2
	s_addc_u32 s1, s1, s3
	s_lshl_b32 s33, s8, 9
	s_load_dword s31, s[0:1], 0x0
	s_waitcnt lgkmcnt(0)
	s_cmp_ge_i32 s33, s31
	s_cbranch_scc1 .LBB264_444
; %bb.1:
	s_clause 0x1
	s_load_dword s9, s[4:5], 0x90
	s_load_dwordx2 s[40:41], s[4:5], 0x30
	s_mov_b32 s43, 0
	s_waitcnt lgkmcnt(0)
	s_abs_i32 s3, s9
	s_abs_i32 s0, s40
	v_cvt_f32_u32_e32 v1, s0
	s_sub_i32 s2, 0, s0
	v_rcp_iflag_f32_e32 v1, v1
	v_mul_f32_e32 v1, 0x4f7ffffe, v1
	v_cvt_u32_f32_e32 v1, v1
	v_readfirstlane_b32 s1, v1
	s_mul_i32 s2, s2, s1
	s_mul_hi_u32 s2, s1, s2
	s_add_i32 s1, s1, s2
	s_xor_b32 s2, s9, s40
	s_mul_hi_u32 s1, s3, s1
	s_ashr_i32 s2, s2, 31
	s_mul_i32 s7, s1, s0
	s_sub_i32 s3, s3, s7
	s_add_i32 s7, s1, 1
	s_sub_i32 s10, s3, s0
	s_cmp_ge_u32 s3, s0
	s_cselect_b32 s1, s7, s1
	s_cselect_b32 s3, s10, s3
	s_add_i32 s7, s1, 1
	s_cmp_ge_u32 s3, s0
	s_cselect_b32 s0, s7, s1
	s_xor_b32 s0, s0, s2
	s_sub_i32 s10, s0, s2
	s_load_dwordx2 s[0:1], s[4:5], 0x50
	s_abs_i32 s2, s10
	v_cvt_f32_u32_e32 v1, s2
	s_sub_i32 s3, 0, s2
	v_rcp_iflag_f32_e32 v1, v1
	v_mul_f32_e32 v1, 0x4f7ffffe, v1
	v_cvt_u32_f32_e32 v1, v1
	v_readfirstlane_b32 s7, v1
	s_mul_i32 s3, s3, s7
	s_mul_hi_u32 s11, s7, s3
	s_abs_i32 s3, s6
	s_add_i32 s7, s7, s11
	s_waitcnt lgkmcnt(0)
	s_cmp_eq_u64 s[0:1], 0
	s_mul_hi_u32 s12, s3, s7
	s_cbranch_scc1 .LBB264_3
; %bb.2:
	s_ashr_i32 s7, s6, 31
	s_lshl_b64 s[14:15], s[6:7], 2
	s_add_u32 s0, s0, s14
	s_addc_u32 s1, s1, s15
	s_load_dword s43, s[0:1], 0x0
.LBB264_3:
	s_load_dwordx4 s[16:19], s[4:5], 0x58
	v_and_b32_e32 v3, 3, v0
	s_ashr_i32 s0, s6, 31
	s_ashr_i32 s1, s10, 31
	s_mul_i32 s10, s6, 0x60
	s_mov_b32 s7, exec_lo
	v_cmpx_gt_u32_e32 48, v0
	s_cbranch_execz .LBB264_5
; %bb.4:
	s_load_dwordx2 s[14:15], s[4:5], 0x18
	s_waitcnt lgkmcnt(0)
	s_mul_i32 s20, s16, s30
	v_lshlrev_b32_e32 v1, 2, v0
	s_ashr_i32 s21, s20, 31
	v_and_b32_e32 v2, 0x3fc, v0
	s_lshl_b64 s[20:21], s[20:21], 1
	v_mad_u32_u24 v2, v3, 48, v2
	s_add_u32 s13, s14, s20
	s_addc_u32 s16, s15, s21
	s_ashr_i32 s11, s10, 31
	s_lshl_b64 s[14:15], s[10:11], 1
	s_add_u32 s14, s13, s14
	s_addc_u32 s15, s16, s15
	global_load_dword v1, v1, s[14:15]
	s_waitcnt vmcnt(0)
	ds_write_b32 v2, v1
.LBB264_5:
	s_or_b32 exec_lo, exec_lo, s7
	s_load_dwordx4 s[20:23], s[4:5], 0x78
	s_mul_i32 s7, s12, s2
	s_xor_b32 s0, s0, s1
	s_sub_i32 s1, s3, s7
	s_add_i32 s3, s12, 1
	s_sub_i32 s7, s1, s2
	s_cmp_ge_u32 s1, s2
                                        ; implicit-def: $sgpr19
	s_cselect_b32 s3, s3, s12
	s_cselect_b32 s1, s7, s1
	s_add_i32 s7, s3, 1
	s_cmp_ge_u32 s1, s2
	s_mov_b32 s12, -1
	s_cselect_b32 s1, s7, s3
	s_load_dword s3, s[4:5], 0x88
	s_xor_b32 s1, s1, s0
	s_add_i32 s7, s31, -1
	s_sub_i32 s1, s1, s0
	s_abs_i32 s2, s7
	s_waitcnt lgkmcnt(0)
	s_abs_i32 s11, s23
	s_barrier
	v_cvt_f32_u32_e32 v1, s11
	s_sub_i32 s0, 0, s11
	buffer_gl0_inv
	v_rcp_iflag_f32_e32 v1, v1
	v_mul_f32_e32 v1, 0x4f7ffffe, v1
	v_cvt_u32_f32_e32 v1, v1
	v_readfirstlane_b32 s16, v1
	s_mul_i32 s0, s0, s16
	s_mul_hi_u32 s0, s16, s0
	s_add_i32 s16, s16, s0
	s_cmp_lt_i32 s3, 0
	s_mul_hi_u32 s0, s2, s16
	s_cbranch_scc0 .LBB264_7
; %bb.6:
	s_mul_i32 s12, s20, s40
	s_add_i32 s12, s1, s12
	s_mul_i32 s12, s12, s3
	s_sub_i32 s19, 1, s12
	s_mov_b32 s12, 0
.LBB264_7:
	s_load_dwordx2 s[34:35], s[4:5], 0x38
	s_ashr_i32 s36, s7, 31
	s_andn2_b32 vcc_lo, exec_lo, s12
	s_ashr_i32 s23, s23, 31
	s_cbranch_vccnz .LBB264_9
; %bb.8:
	s_mul_i32 s7, s9, s20
	s_add_i32 s7, s7, s6
	s_mul_i32 s3, s7, s3
	s_add_i32 s19, s3, 1
.LBB264_9:
	s_clause 0x5
	s_load_dword s3, s[4:5], 0x48
	s_load_dwordx2 s[38:39], s[4:5], 0x28
	s_load_dwordx4 s[24:27], s[4:5], 0x0
	s_load_dwordx2 s[28:29], s[4:5], 0x10
	s_load_dword s7, s[4:5], 0x98
	s_load_dwordx4 s[12:15], s[4:5], 0x68
	s_mul_i32 s20, s0, s11
	s_xor_b32 s42, s36, s23
	s_sub_i32 s2, s2, s20
	s_add_i32 s40, s0, 1
	v_lshrrev_b32_e32 v12, 5, v0
	v_mov_b32_e32 v14, 0xff7fffff
	v_mbcnt_lo_u32_b32 v11, -1, 0
	s_mul_i32 s18, s1, s18
	v_lshl_add_u32 v13, v12, 3, s33
	s_waitcnt lgkmcnt(0)
	s_mul_i32 s36, s3, s30
	s_sub_i32 s3, s2, s11
	s_ashr_i32 s37, s36, 31
	s_cmp_ge_u32 s2, s11
	s_cselect_b32 s0, s40, s0
	s_cselect_b32 s2, s3, s2
	s_add_i32 s3, s0, 1
	s_cmp_ge_u32 s2, s11
	s_cselect_b32 s0, s3, s0
	s_add_i32 s2, s31, 7
	s_lshl_b32 s44, s8, 6
	s_ashr_i32 s3, s2, 31
	v_or_b32_e32 v1, s44, v12
	s_lshr_b32 s3, s3, 29
	s_add_i32 s2, s2, s3
	s_add_i32 s3, s44, 64
	s_ashr_i32 s40, s2, 3
	s_xor_b32 s2, s0, s42
	s_min_i32 s20, s3, s40
	v_ashrrev_i32_e32 v2, 31, v1
	v_cmp_gt_i32_e64 s0, s20, v1
	s_sub_i32 s42, s2, s42
	s_and_saveexec_b32 s45, s0
	s_cbranch_execz .LBB264_213
; %bb.10:
	s_load_dwordx2 s[2:3], s[4:5], 0x20
	s_sub_i32 s4, s42, s21
	s_ashr_i32 s1, s18, 31
	v_bfe_u32 v15, v0, 2, 3
	v_cmp_eq_u32_e32 vcc_lo, 0, v3
	v_lshlrev_b32_e32 v7, 1, v3
	v_mul_u32_u24_e32 v16, 48, v3
	v_mov_b32_e32 v4, 0
	v_lshlrev_b32_e32 v3, 2, v15
	v_subrev_nc_u32_e32 v9, s31, v15
	v_lshl_add_u32 v17, v12, 3, s33
	v_mov_b32_e32 v18, 0xff7fffff
	v_mov_b32_e32 v19, 0x80
	v_lshl_or_b32 v3, v12, 5, v3
	v_add_nc_u32_e32 v23, 1, v9
	v_mov_b32_e32 v20, 0x7f
	v_mov_b32_e32 v21, 7
	;; [unrolled: 1-line block ×3, first 2 shown]
	v_add_nc_u32_e32 v24, 0xe0, v3
	v_mov_b32_e32 v14, 0xff7fffff
	s_waitcnt lgkmcnt(0)
	s_add_u32 s46, s2, s18
	s_addc_u32 s47, s3, s1
	s_abs_i32 s5, s22
	v_cmp_neq_f32_e64 s1, s43, 0
	v_cvt_f32_u32_e32 v5, s5
	s_sub_i32 s2, 0, s5
	v_mov_b32_e32 v26, v1
	v_rcp_iflag_f32_e32 v8, v5
	v_lshlrev_b64 v[5:6], 2, v[1:2]
	v_mul_f32_e32 v8, 0x4f7ffffe, v8
	v_cvt_u32_f32_e32 v10, v8
	v_lshlrev_b32_e32 v8, 4, v15
	v_mul_lo_u32 v3, s2, v10
	s_lshl_b64 s[2:3], s[36:37], 2
	v_add_co_u32 v8, s46, s46, v8
	s_add_u32 s2, s34, s2
	v_add_co_ci_u32_e64 v9, null, s47, 0, s46
	s_addc_u32 s3, s35, s3
	v_mul_hi_u32 v3, v10, v3
	v_add_co_u32 v5, s2, s2, v5
	v_add_co_ci_u32_e64 v6, null, s3, v6, s2
	v_add_co_u32 v7, s2, v8, v7
	v_add_co_ci_u32_e64 v8, null, 0, v9, s2
	v_add_nc_u32_e32 v25, v10, v3
	s_mov_b32 s46, 0
	s_mov_b32 s47, s17
	s_branch .LBB264_13
.LBB264_11:                             ;   in Loop: Header=BB264_13 Depth=1
	s_or_b32 exec_lo, exec_lo, s48
.LBB264_12:                             ;   in Loop: Header=BB264_13 Depth=1
	s_or_b32 exec_lo, exec_lo, s3
	v_add_nc_u32_e32 v26, 4, v26
	v_add_co_u32 v5, s3, v5, 16
	v_add_co_ci_u32_e64 v6, null, 0, v6, s3
	v_cmp_le_i32_e64 s2, s20, v26
	v_add_nc_u32_e32 v17, 32, v17
	v_add_nc_u32_e32 v24, 0x80, v24
	s_or_b32 s46, s2, s46
	s_andn2_b32 exec_lo, exec_lo, s46
	s_cbranch_execz .LBB264_212
.LBB264_13:                             ; =>This Inner Loop Header: Depth=1
	v_sub_nc_u32_e32 v3, 0, v17
	v_max_i32_e32 v3, v17, v3
	s_waitcnt lgkmcnt(0)
	v_mul_hi_u32 v9, v3, s16
	v_mul_lo_u32 v10, v9, s11
	v_sub_nc_u32_e32 v3, v3, v10
	v_add_nc_u32_e32 v10, 1, v9
	v_subrev_nc_u32_e32 v27, s11, v3
	v_cmp_le_u32_e64 s2, s11, v3
	v_cndmask_b32_e64 v9, v9, v10, s2
	v_cndmask_b32_e64 v3, v3, v27, s2
	v_ashrrev_i32_e32 v10, 31, v17
	v_add_nc_u32_e32 v27, 1, v9
	v_cmp_le_u32_e64 s2, s11, v3
	v_xor_b32_e32 v10, s23, v10
	v_cndmask_b32_e64 v3, v9, v27, s2
	v_xor_b32_e32 v3, v3, v10
	v_sub_nc_u32_e32 v3, v3, v10
	v_add_nc_u32_e32 v9, s19, v3
	v_cmp_ge_i32_e64 s3, s4, v3
	v_sub_nc_u32_e32 v10, 0, v9
	v_max_i32_e32 v10, v9, v10
	v_ashrrev_i32_e32 v9, 31, v9
	v_mul_hi_u32 v27, v10, v25
	v_mul_lo_u32 v27, v27, s5
	v_sub_nc_u32_e32 v10, v10, v27
	v_subrev_nc_u32_e32 v27, s5, v10
	v_cmp_le_u32_e64 s2, s5, v10
	v_cndmask_b32_e64 v10, v10, v27, s2
	v_subrev_nc_u32_e32 v27, s5, v10
	v_cmp_le_u32_e64 s2, s5, v10
	v_cndmask_b32_e64 v10, v10, v27, s2
	v_xor_b32_e32 v10, v10, v9
	v_sub_nc_u32_e32 v9, v10, v9
	v_cmp_ne_u32_e64 s2, 0, v9
	s_and_b32 s2, s2, s3
	s_and_saveexec_b32 s3, s2
	s_xor_b32 s2, exec_lo, s3
	s_cbranch_execz .LBB264_17
; %bb.14:                               ;   in Loop: Header=BB264_13 Depth=1
	s_and_saveexec_b32 s3, vcc_lo
; %bb.15:                               ;   in Loop: Header=BB264_13 Depth=1
	ds_write_b32 v24, v18
; %bb.16:                               ;   in Loop: Header=BB264_13 Depth=1
	s_or_b32 exec_lo, exec_lo, s3
.LBB264_17:                             ;   in Loop: Header=BB264_13 Depth=1
	s_andn2_saveexec_b32 s3, s2
	s_cbranch_execz .LBB264_12
; %bb.18:                               ;   in Loop: Header=BB264_13 Depth=1
	global_load_dword v3, v[5:6], off
	v_mov_b32_e32 v28, 0
	global_load_dword v27, v28, s[12:13]
	s_waitcnt vmcnt(1)
	v_mad_i64_i32 v[9:10], null, v3, s47, v[7:8]
	global_load_ushort v29, v[9:10], off
	s_waitcnt vmcnt(0)
	v_and_b32_e32 v3, 0xffff, v29
	v_cmp_ne_u16_sdwa s2, v29, v4 src0_sel:BYTE_0 src1_sel:DWORD
	v_mov_b32_e32 v29, 0
	s_and_saveexec_b32 s48, s2
	s_cbranch_execz .LBB264_26
; %bb.19:                               ;   in Loop: Header=BB264_13 Depth=1
	v_cmp_ne_u16_sdwa s2, v3, v19 src0_sel:BYTE_0 src1_sel:DWORD
	v_mov_b32_e32 v29, 0x8000
	s_and_saveexec_b32 s49, s2
	s_cbranch_execz .LBB264_25
; %bb.20:                               ;   in Loop: Header=BB264_13 Depth=1
	v_and_b32_e32 v31, 0x7f, v3
	v_mov_b32_e32 v29, 0x7c01
	s_mov_b32 s50, exec_lo
	v_cmpx_ne_u32_e32 0x7f, v31
	s_cbranch_execz .LBB264_24
; %bb.21:                               ;   in Loop: Header=BB264_13 Depth=1
	v_and_b32_e32 v29, 7, v3
	v_lshrrev_b32_e32 v30, 3, v31
	s_mov_b32 s51, exec_lo
	v_cmpx_gt_u32_e32 8, v31
; %bb.22:                               ;   in Loop: Header=BB264_13 Depth=1
	v_ffbh_u32_e32 v29, v29
	v_min_u32_e32 v31, 32, v29
	v_subrev_nc_u32_e32 v29, 28, v31
	v_lshlrev_b64 v[29:30], v29, v[3:4]
	v_sub_nc_u32_e32 v30, 29, v31
	v_and_b32_e32 v29, 7, v29
; %bb.23:                               ;   in Loop: Header=BB264_13 Depth=1
	s_or_b32 exec_lo, exec_lo, s51
	v_lshlrev_b32_e32 v31, 8, v3
	v_lshl_add_u32 v30, v30, 10, 0x2000
	v_lshlrev_b32_e32 v29, 7, v29
	v_and_b32_e32 v31, 0x8000, v31
	v_and_b32_e32 v30, 0xfc00, v30
	v_or3_b32 v29, v31, v30, v29
.LBB264_24:                             ;   in Loop: Header=BB264_13 Depth=1
	s_or_b32 exec_lo, exec_lo, s50
.LBB264_25:                             ;   in Loop: Header=BB264_13 Depth=1
	s_or_b32 exec_lo, exec_lo, s49
.LBB264_26:                             ;   in Loop: Header=BB264_13 Depth=1
	s_or_b32 exec_lo, exec_lo, s48
	v_lshrrev_b16 v3, 8, v3
	s_mov_b32 s48, exec_lo
	v_cmpx_ne_u16_e32 0, v3
	s_cbranch_execz .LBB264_34
; %bb.27:                               ;   in Loop: Header=BB264_13 Depth=1
	v_bfrev_b32_e32 v28, 1
	s_mov_b32 s49, exec_lo
	v_cmpx_ne_u16_e32 0x80, v3
	s_cbranch_execz .LBB264_33
; %bb.28:                               ;   in Loop: Header=BB264_13 Depth=1
	v_and_b32_sdwa v31, v3, v20 dst_sel:DWORD dst_unused:UNUSED_PAD src0_sel:WORD_0 src1_sel:DWORD
	v_mov_b32_e32 v28, 0x7c010000
	s_mov_b32 s50, exec_lo
	v_cmpx_ne_u32_e32 0x7f, v31
	s_cbranch_execz .LBB264_32
; %bb.29:                               ;   in Loop: Header=BB264_13 Depth=1
	v_and_b32_sdwa v28, v3, v21 dst_sel:DWORD dst_unused:UNUSED_PAD src0_sel:WORD_0 src1_sel:DWORD
	v_lshrrev_b32_e32 v30, 3, v31
	s_mov_b32 s51, exec_lo
	v_cmpx_gt_u32_e32 8, v31
; %bb.30:                               ;   in Loop: Header=BB264_13 Depth=1
	v_ffbh_u32_e32 v28, v28
	v_min_u32_e32 v28, 32, v28
	v_subrev_nc_u32_e32 v30, 28, v28
	v_lshlrev_b64 v[31:32], v30, v[3:4]
	v_sub_nc_u32_e32 v30, 29, v28
	v_and_b32_e32 v28, 7, v31
; %bb.31:                               ;   in Loop: Header=BB264_13 Depth=1
	s_or_b32 exec_lo, exec_lo, s51
	v_lshlrev_b32_sdwa v3, v22, v3 dst_sel:DWORD dst_unused:UNUSED_PAD src0_sel:DWORD src1_sel:WORD_0
	v_lshl_add_u32 v30, v30, 10, 0x2000
	v_lshlrev_b32_e32 v28, 23, v28
	v_and_or_b32 v3, 0x8000, v3, v30
	v_lshl_or_b32 v28, v3, 16, v28
.LBB264_32:                             ;   in Loop: Header=BB264_13 Depth=1
	s_or_b32 exec_lo, exec_lo, s50
.LBB264_33:                             ;   in Loop: Header=BB264_13 Depth=1
	s_or_b32 exec_lo, exec_lo, s49
.LBB264_34:                             ;   in Loop: Header=BB264_13 Depth=1
	s_or_b32 exec_lo, exec_lo, s48
	global_load_ushort v31, v[9:10], off offset:8
	v_mov_b32_e32 v30, 0
	s_waitcnt vmcnt(0)
	v_and_b32_e32 v3, 0xffff, v31
	v_cmp_ne_u16_sdwa s2, v31, v4 src0_sel:BYTE_0 src1_sel:DWORD
	v_mov_b32_e32 v31, 0
	s_and_saveexec_b32 s48, s2
	s_cbranch_execz .LBB264_42
; %bb.35:                               ;   in Loop: Header=BB264_13 Depth=1
	v_cmp_ne_u16_sdwa s2, v3, v19 src0_sel:BYTE_0 src1_sel:DWORD
	v_mov_b32_e32 v31, 0x8000
	s_and_saveexec_b32 s49, s2
	s_cbranch_execz .LBB264_41
; %bb.36:                               ;   in Loop: Header=BB264_13 Depth=1
	v_and_b32_e32 v33, 0x7f, v3
	v_mov_b32_e32 v31, 0x7c01
	s_mov_b32 s50, exec_lo
	v_cmpx_ne_u32_e32 0x7f, v33
	s_cbranch_execz .LBB264_40
; %bb.37:                               ;   in Loop: Header=BB264_13 Depth=1
	v_and_b32_e32 v31, 7, v3
	v_lshrrev_b32_e32 v32, 3, v33
	s_mov_b32 s51, exec_lo
	v_cmpx_gt_u32_e32 8, v33
; %bb.38:                               ;   in Loop: Header=BB264_13 Depth=1
	v_ffbh_u32_e32 v31, v31
	v_min_u32_e32 v33, 32, v31
	v_subrev_nc_u32_e32 v31, 28, v33
	v_lshlrev_b64 v[31:32], v31, v[3:4]
	v_sub_nc_u32_e32 v32, 29, v33
	v_and_b32_e32 v31, 7, v31
; %bb.39:                               ;   in Loop: Header=BB264_13 Depth=1
	s_or_b32 exec_lo, exec_lo, s51
	v_lshlrev_b32_e32 v33, 8, v3
	v_lshl_add_u32 v32, v32, 10, 0x2000
	v_lshlrev_b32_e32 v31, 7, v31
	v_and_b32_e32 v33, 0x8000, v33
	v_and_b32_e32 v32, 0xfc00, v32
	v_or3_b32 v31, v33, v32, v31
.LBB264_40:                             ;   in Loop: Header=BB264_13 Depth=1
	s_or_b32 exec_lo, exec_lo, s50
.LBB264_41:                             ;   in Loop: Header=BB264_13 Depth=1
	s_or_b32 exec_lo, exec_lo, s49
.LBB264_42:                             ;   in Loop: Header=BB264_13 Depth=1
	s_or_b32 exec_lo, exec_lo, s48
	v_lshrrev_b16 v3, 8, v3
	s_mov_b32 s48, exec_lo
	v_cmpx_ne_u16_e32 0, v3
	s_cbranch_execz .LBB264_50
; %bb.43:                               ;   in Loop: Header=BB264_13 Depth=1
	v_bfrev_b32_e32 v30, 1
	s_mov_b32 s49, exec_lo
	v_cmpx_ne_u16_e32 0x80, v3
	s_cbranch_execz .LBB264_49
; %bb.44:                               ;   in Loop: Header=BB264_13 Depth=1
	v_and_b32_sdwa v33, v3, v20 dst_sel:DWORD dst_unused:UNUSED_PAD src0_sel:WORD_0 src1_sel:DWORD
	v_mov_b32_e32 v30, 0x7c010000
	s_mov_b32 s50, exec_lo
	v_cmpx_ne_u32_e32 0x7f, v33
	s_cbranch_execz .LBB264_48
; %bb.45:                               ;   in Loop: Header=BB264_13 Depth=1
	v_and_b32_sdwa v30, v3, v21 dst_sel:DWORD dst_unused:UNUSED_PAD src0_sel:WORD_0 src1_sel:DWORD
	v_lshrrev_b32_e32 v32, 3, v33
	s_mov_b32 s51, exec_lo
	v_cmpx_gt_u32_e32 8, v33
; %bb.46:                               ;   in Loop: Header=BB264_13 Depth=1
	v_ffbh_u32_e32 v30, v30
	v_min_u32_e32 v30, 32, v30
	v_subrev_nc_u32_e32 v32, 28, v30
	v_lshlrev_b64 v[33:34], v32, v[3:4]
	v_sub_nc_u32_e32 v32, 29, v30
	v_and_b32_e32 v30, 7, v33
; %bb.47:                               ;   in Loop: Header=BB264_13 Depth=1
	s_or_b32 exec_lo, exec_lo, s51
	v_lshlrev_b32_sdwa v3, v22, v3 dst_sel:DWORD dst_unused:UNUSED_PAD src0_sel:DWORD src1_sel:WORD_0
	v_lshl_add_u32 v32, v32, 10, 0x2000
	v_lshlrev_b32_e32 v30, 23, v30
	v_and_or_b32 v3, 0x8000, v3, v32
	v_lshl_or_b32 v30, v3, 16, v30
.LBB264_48:                             ;   in Loop: Header=BB264_13 Depth=1
	s_or_b32 exec_lo, exec_lo, s50
.LBB264_49:                             ;   in Loop: Header=BB264_13 Depth=1
	s_or_b32 exec_lo, exec_lo, s49
.LBB264_50:                             ;   in Loop: Header=BB264_13 Depth=1
	s_or_b32 exec_lo, exec_lo, s48
	global_load_ushort v33, v[9:10], off offset:128
	v_mov_b32_e32 v32, 0
	s_waitcnt vmcnt(0)
	v_and_b32_e32 v3, 0xffff, v33
	v_cmp_ne_u16_sdwa s2, v33, v4 src0_sel:BYTE_0 src1_sel:DWORD
	v_mov_b32_e32 v33, 0
	s_and_saveexec_b32 s48, s2
	s_cbranch_execz .LBB264_58
; %bb.51:                               ;   in Loop: Header=BB264_13 Depth=1
	v_cmp_ne_u16_sdwa s2, v3, v19 src0_sel:BYTE_0 src1_sel:DWORD
	v_mov_b32_e32 v33, 0x8000
	s_and_saveexec_b32 s49, s2
	s_cbranch_execz .LBB264_57
; %bb.52:                               ;   in Loop: Header=BB264_13 Depth=1
	v_and_b32_e32 v35, 0x7f, v3
	v_mov_b32_e32 v33, 0x7c01
	s_mov_b32 s50, exec_lo
	v_cmpx_ne_u32_e32 0x7f, v35
	s_cbranch_execz .LBB264_56
; %bb.53:                               ;   in Loop: Header=BB264_13 Depth=1
	v_and_b32_e32 v33, 7, v3
	v_lshrrev_b32_e32 v34, 3, v35
	s_mov_b32 s51, exec_lo
	v_cmpx_gt_u32_e32 8, v35
; %bb.54:                               ;   in Loop: Header=BB264_13 Depth=1
	v_ffbh_u32_e32 v33, v33
	v_min_u32_e32 v35, 32, v33
	v_subrev_nc_u32_e32 v33, 28, v35
	v_lshlrev_b64 v[33:34], v33, v[3:4]
	v_sub_nc_u32_e32 v34, 29, v35
	v_and_b32_e32 v33, 7, v33
; %bb.55:                               ;   in Loop: Header=BB264_13 Depth=1
	s_or_b32 exec_lo, exec_lo, s51
	v_lshlrev_b32_e32 v35, 8, v3
	v_lshl_add_u32 v34, v34, 10, 0x2000
	v_lshlrev_b32_e32 v33, 7, v33
	v_and_b32_e32 v35, 0x8000, v35
	v_and_b32_e32 v34, 0xfc00, v34
	v_or3_b32 v33, v35, v34, v33
.LBB264_56:                             ;   in Loop: Header=BB264_13 Depth=1
	s_or_b32 exec_lo, exec_lo, s50
.LBB264_57:                             ;   in Loop: Header=BB264_13 Depth=1
	s_or_b32 exec_lo, exec_lo, s49
.LBB264_58:                             ;   in Loop: Header=BB264_13 Depth=1
	s_or_b32 exec_lo, exec_lo, s48
	v_lshrrev_b16 v3, 8, v3
	s_mov_b32 s48, exec_lo
	v_cmpx_ne_u16_e32 0, v3
	s_cbranch_execz .LBB264_66
; %bb.59:                               ;   in Loop: Header=BB264_13 Depth=1
	v_bfrev_b32_e32 v32, 1
	s_mov_b32 s49, exec_lo
	v_cmpx_ne_u16_e32 0x80, v3
	s_cbranch_execz .LBB264_65
; %bb.60:                               ;   in Loop: Header=BB264_13 Depth=1
	v_and_b32_sdwa v35, v3, v20 dst_sel:DWORD dst_unused:UNUSED_PAD src0_sel:WORD_0 src1_sel:DWORD
	v_mov_b32_e32 v32, 0x7c010000
	s_mov_b32 s50, exec_lo
	v_cmpx_ne_u32_e32 0x7f, v35
	s_cbranch_execz .LBB264_64
; %bb.61:                               ;   in Loop: Header=BB264_13 Depth=1
	v_and_b32_sdwa v32, v3, v21 dst_sel:DWORD dst_unused:UNUSED_PAD src0_sel:WORD_0 src1_sel:DWORD
	v_lshrrev_b32_e32 v34, 3, v35
	s_mov_b32 s51, exec_lo
	v_cmpx_gt_u32_e32 8, v35
; %bb.62:                               ;   in Loop: Header=BB264_13 Depth=1
	v_ffbh_u32_e32 v32, v32
	v_min_u32_e32 v32, 32, v32
	v_subrev_nc_u32_e32 v34, 28, v32
	v_lshlrev_b64 v[35:36], v34, v[3:4]
	v_sub_nc_u32_e32 v34, 29, v32
	v_and_b32_e32 v32, 7, v35
; %bb.63:                               ;   in Loop: Header=BB264_13 Depth=1
	s_or_b32 exec_lo, exec_lo, s51
	v_lshlrev_b32_sdwa v3, v22, v3 dst_sel:DWORD dst_unused:UNUSED_PAD src0_sel:DWORD src1_sel:WORD_0
	v_lshl_add_u32 v34, v34, 10, 0x2000
	v_lshlrev_b32_e32 v32, 23, v32
	v_and_or_b32 v3, 0x8000, v3, v34
	v_lshl_or_b32 v32, v3, 16, v32
.LBB264_64:                             ;   in Loop: Header=BB264_13 Depth=1
	s_or_b32 exec_lo, exec_lo, s50
.LBB264_65:                             ;   in Loop: Header=BB264_13 Depth=1
	s_or_b32 exec_lo, exec_lo, s49
.LBB264_66:                             ;   in Loop: Header=BB264_13 Depth=1
	s_or_b32 exec_lo, exec_lo, s48
	global_load_ushort v35, v[9:10], off offset:136
	v_mov_b32_e32 v34, 0
	s_waitcnt vmcnt(0)
	v_and_b32_e32 v3, 0xffff, v35
	v_cmp_ne_u16_sdwa s2, v35, v4 src0_sel:BYTE_0 src1_sel:DWORD
	v_mov_b32_e32 v35, 0
	s_and_saveexec_b32 s48, s2
	s_cbranch_execz .LBB264_74
; %bb.67:                               ;   in Loop: Header=BB264_13 Depth=1
	v_cmp_ne_u16_sdwa s2, v3, v19 src0_sel:BYTE_0 src1_sel:DWORD
	v_mov_b32_e32 v35, 0x8000
	s_and_saveexec_b32 s49, s2
	s_cbranch_execz .LBB264_73
; %bb.68:                               ;   in Loop: Header=BB264_13 Depth=1
	v_and_b32_e32 v37, 0x7f, v3
	v_mov_b32_e32 v35, 0x7c01
	s_mov_b32 s50, exec_lo
	v_cmpx_ne_u32_e32 0x7f, v37
	s_cbranch_execz .LBB264_72
; %bb.69:                               ;   in Loop: Header=BB264_13 Depth=1
	v_and_b32_e32 v35, 7, v3
	v_lshrrev_b32_e32 v36, 3, v37
	s_mov_b32 s51, exec_lo
	v_cmpx_gt_u32_e32 8, v37
; %bb.70:                               ;   in Loop: Header=BB264_13 Depth=1
	v_ffbh_u32_e32 v35, v35
	v_min_u32_e32 v37, 32, v35
	v_subrev_nc_u32_e32 v35, 28, v37
	v_lshlrev_b64 v[35:36], v35, v[3:4]
	v_sub_nc_u32_e32 v36, 29, v37
	v_and_b32_e32 v35, 7, v35
; %bb.71:                               ;   in Loop: Header=BB264_13 Depth=1
	s_or_b32 exec_lo, exec_lo, s51
	v_lshlrev_b32_e32 v37, 8, v3
	v_lshl_add_u32 v36, v36, 10, 0x2000
	v_lshlrev_b32_e32 v35, 7, v35
	v_and_b32_e32 v37, 0x8000, v37
	v_and_b32_e32 v36, 0xfc00, v36
	v_or3_b32 v35, v37, v36, v35
.LBB264_72:                             ;   in Loop: Header=BB264_13 Depth=1
	s_or_b32 exec_lo, exec_lo, s50
.LBB264_73:                             ;   in Loop: Header=BB264_13 Depth=1
	s_or_b32 exec_lo, exec_lo, s49
.LBB264_74:                             ;   in Loop: Header=BB264_13 Depth=1
	s_or_b32 exec_lo, exec_lo, s48
	v_lshrrev_b16 v3, 8, v3
	s_mov_b32 s48, exec_lo
	v_cmpx_ne_u16_e32 0, v3
	s_cbranch_execz .LBB264_82
; %bb.75:                               ;   in Loop: Header=BB264_13 Depth=1
	v_bfrev_b32_e32 v34, 1
	s_mov_b32 s49, exec_lo
	v_cmpx_ne_u16_e32 0x80, v3
	s_cbranch_execz .LBB264_81
; %bb.76:                               ;   in Loop: Header=BB264_13 Depth=1
	v_and_b32_sdwa v37, v3, v20 dst_sel:DWORD dst_unused:UNUSED_PAD src0_sel:WORD_0 src1_sel:DWORD
	v_mov_b32_e32 v34, 0x7c010000
	s_mov_b32 s50, exec_lo
	v_cmpx_ne_u32_e32 0x7f, v37
	s_cbranch_execz .LBB264_80
; %bb.77:                               ;   in Loop: Header=BB264_13 Depth=1
	v_and_b32_sdwa v34, v3, v21 dst_sel:DWORD dst_unused:UNUSED_PAD src0_sel:WORD_0 src1_sel:DWORD
	v_lshrrev_b32_e32 v36, 3, v37
	s_mov_b32 s51, exec_lo
	v_cmpx_gt_u32_e32 8, v37
; %bb.78:                               ;   in Loop: Header=BB264_13 Depth=1
	v_ffbh_u32_e32 v34, v34
	v_min_u32_e32 v34, 32, v34
	v_subrev_nc_u32_e32 v36, 28, v34
	v_lshlrev_b64 v[37:38], v36, v[3:4]
	v_sub_nc_u32_e32 v36, 29, v34
	v_and_b32_e32 v34, 7, v37
; %bb.79:                               ;   in Loop: Header=BB264_13 Depth=1
	s_or_b32 exec_lo, exec_lo, s51
	v_lshlrev_b32_sdwa v3, v22, v3 dst_sel:DWORD dst_unused:UNUSED_PAD src0_sel:DWORD src1_sel:WORD_0
	v_lshl_add_u32 v36, v36, 10, 0x2000
	v_lshlrev_b32_e32 v34, 23, v34
	v_and_or_b32 v3, 0x8000, v3, v36
	v_lshl_or_b32 v34, v3, 16, v34
.LBB264_80:                             ;   in Loop: Header=BB264_13 Depth=1
	s_or_b32 exec_lo, exec_lo, s50
.LBB264_81:                             ;   in Loop: Header=BB264_13 Depth=1
	s_or_b32 exec_lo, exec_lo, s49
.LBB264_82:                             ;   in Loop: Header=BB264_13 Depth=1
	s_or_b32 exec_lo, exec_lo, s48
	global_load_ushort v37, v[9:10], off offset:256
	v_mov_b32_e32 v36, 0
	s_waitcnt vmcnt(0)
	v_and_b32_e32 v3, 0xffff, v37
	v_cmp_ne_u16_sdwa s2, v37, v4 src0_sel:BYTE_0 src1_sel:DWORD
	v_mov_b32_e32 v37, 0
	s_and_saveexec_b32 s48, s2
	s_cbranch_execz .LBB264_90
; %bb.83:                               ;   in Loop: Header=BB264_13 Depth=1
	v_cmp_ne_u16_sdwa s2, v3, v19 src0_sel:BYTE_0 src1_sel:DWORD
	v_mov_b32_e32 v37, 0x8000
	s_and_saveexec_b32 s49, s2
	s_cbranch_execz .LBB264_89
; %bb.84:                               ;   in Loop: Header=BB264_13 Depth=1
	v_and_b32_e32 v39, 0x7f, v3
	v_mov_b32_e32 v37, 0x7c01
	s_mov_b32 s50, exec_lo
	v_cmpx_ne_u32_e32 0x7f, v39
	s_cbranch_execz .LBB264_88
; %bb.85:                               ;   in Loop: Header=BB264_13 Depth=1
	v_and_b32_e32 v37, 7, v3
	v_lshrrev_b32_e32 v38, 3, v39
	s_mov_b32 s51, exec_lo
	v_cmpx_gt_u32_e32 8, v39
; %bb.86:                               ;   in Loop: Header=BB264_13 Depth=1
	v_ffbh_u32_e32 v37, v37
	v_min_u32_e32 v39, 32, v37
	v_subrev_nc_u32_e32 v37, 28, v39
	v_lshlrev_b64 v[37:38], v37, v[3:4]
	v_sub_nc_u32_e32 v38, 29, v39
	v_and_b32_e32 v37, 7, v37
; %bb.87:                               ;   in Loop: Header=BB264_13 Depth=1
	s_or_b32 exec_lo, exec_lo, s51
	v_lshlrev_b32_e32 v39, 8, v3
	v_lshl_add_u32 v38, v38, 10, 0x2000
	v_lshlrev_b32_e32 v37, 7, v37
	v_and_b32_e32 v39, 0x8000, v39
	v_and_b32_e32 v38, 0xfc00, v38
	v_or3_b32 v37, v39, v38, v37
.LBB264_88:                             ;   in Loop: Header=BB264_13 Depth=1
	s_or_b32 exec_lo, exec_lo, s50
.LBB264_89:                             ;   in Loop: Header=BB264_13 Depth=1
	s_or_b32 exec_lo, exec_lo, s49
.LBB264_90:                             ;   in Loop: Header=BB264_13 Depth=1
	s_or_b32 exec_lo, exec_lo, s48
	v_lshrrev_b16 v3, 8, v3
	s_mov_b32 s48, exec_lo
	v_cmpx_ne_u16_e32 0, v3
	s_cbranch_execz .LBB264_98
; %bb.91:                               ;   in Loop: Header=BB264_13 Depth=1
	v_bfrev_b32_e32 v36, 1
	s_mov_b32 s49, exec_lo
	v_cmpx_ne_u16_e32 0x80, v3
	s_cbranch_execz .LBB264_97
; %bb.92:                               ;   in Loop: Header=BB264_13 Depth=1
	v_and_b32_sdwa v39, v3, v20 dst_sel:DWORD dst_unused:UNUSED_PAD src0_sel:WORD_0 src1_sel:DWORD
	v_mov_b32_e32 v36, 0x7c010000
	s_mov_b32 s50, exec_lo
	v_cmpx_ne_u32_e32 0x7f, v39
	s_cbranch_execz .LBB264_96
; %bb.93:                               ;   in Loop: Header=BB264_13 Depth=1
	v_and_b32_sdwa v36, v3, v21 dst_sel:DWORD dst_unused:UNUSED_PAD src0_sel:WORD_0 src1_sel:DWORD
	v_lshrrev_b32_e32 v38, 3, v39
	s_mov_b32 s51, exec_lo
	v_cmpx_gt_u32_e32 8, v39
; %bb.94:                               ;   in Loop: Header=BB264_13 Depth=1
	v_ffbh_u32_e32 v36, v36
	v_min_u32_e32 v36, 32, v36
	v_subrev_nc_u32_e32 v38, 28, v36
	v_lshlrev_b64 v[39:40], v38, v[3:4]
	v_sub_nc_u32_e32 v38, 29, v36
	v_and_b32_e32 v36, 7, v39
; %bb.95:                               ;   in Loop: Header=BB264_13 Depth=1
	s_or_b32 exec_lo, exec_lo, s51
	v_lshlrev_b32_sdwa v3, v22, v3 dst_sel:DWORD dst_unused:UNUSED_PAD src0_sel:DWORD src1_sel:WORD_0
	v_lshl_add_u32 v38, v38, 10, 0x2000
	v_lshlrev_b32_e32 v36, 23, v36
	v_and_or_b32 v3, 0x8000, v3, v38
	v_lshl_or_b32 v36, v3, 16, v36
.LBB264_96:                             ;   in Loop: Header=BB264_13 Depth=1
	s_or_b32 exec_lo, exec_lo, s50
.LBB264_97:                             ;   in Loop: Header=BB264_13 Depth=1
	s_or_b32 exec_lo, exec_lo, s49
.LBB264_98:                             ;   in Loop: Header=BB264_13 Depth=1
	s_or_b32 exec_lo, exec_lo, s48
	global_load_ushort v39, v[9:10], off offset:264
	v_mov_b32_e32 v38, 0
	s_waitcnt vmcnt(0)
	v_and_b32_e32 v3, 0xffff, v39
	v_cmp_ne_u16_sdwa s2, v39, v4 src0_sel:BYTE_0 src1_sel:DWORD
	v_mov_b32_e32 v39, 0
	s_and_saveexec_b32 s48, s2
	s_cbranch_execz .LBB264_106
; %bb.99:                               ;   in Loop: Header=BB264_13 Depth=1
	v_cmp_ne_u16_sdwa s2, v3, v19 src0_sel:BYTE_0 src1_sel:DWORD
	v_mov_b32_e32 v39, 0x8000
	s_and_saveexec_b32 s49, s2
	s_cbranch_execz .LBB264_105
; %bb.100:                              ;   in Loop: Header=BB264_13 Depth=1
	v_and_b32_e32 v41, 0x7f, v3
	v_mov_b32_e32 v39, 0x7c01
	s_mov_b32 s50, exec_lo
	v_cmpx_ne_u32_e32 0x7f, v41
	s_cbranch_execz .LBB264_104
; %bb.101:                              ;   in Loop: Header=BB264_13 Depth=1
	v_and_b32_e32 v39, 7, v3
	v_lshrrev_b32_e32 v40, 3, v41
	s_mov_b32 s51, exec_lo
	v_cmpx_gt_u32_e32 8, v41
; %bb.102:                              ;   in Loop: Header=BB264_13 Depth=1
	v_ffbh_u32_e32 v39, v39
	v_min_u32_e32 v41, 32, v39
	v_subrev_nc_u32_e32 v39, 28, v41
	v_lshlrev_b64 v[39:40], v39, v[3:4]
	v_sub_nc_u32_e32 v40, 29, v41
	v_and_b32_e32 v39, 7, v39
; %bb.103:                              ;   in Loop: Header=BB264_13 Depth=1
	s_or_b32 exec_lo, exec_lo, s51
	v_lshlrev_b32_e32 v41, 8, v3
	v_lshl_add_u32 v40, v40, 10, 0x2000
	v_lshlrev_b32_e32 v39, 7, v39
	v_and_b32_e32 v41, 0x8000, v41
	v_and_b32_e32 v40, 0xfc00, v40
	v_or3_b32 v39, v41, v40, v39
.LBB264_104:                            ;   in Loop: Header=BB264_13 Depth=1
	s_or_b32 exec_lo, exec_lo, s50
.LBB264_105:                            ;   in Loop: Header=BB264_13 Depth=1
	s_or_b32 exec_lo, exec_lo, s49
.LBB264_106:                            ;   in Loop: Header=BB264_13 Depth=1
	s_or_b32 exec_lo, exec_lo, s48
	v_lshrrev_b16 v3, 8, v3
	s_mov_b32 s48, exec_lo
	v_cmpx_ne_u16_e32 0, v3
	s_cbranch_execz .LBB264_114
; %bb.107:                              ;   in Loop: Header=BB264_13 Depth=1
	v_bfrev_b32_e32 v38, 1
	s_mov_b32 s49, exec_lo
	v_cmpx_ne_u16_e32 0x80, v3
	s_cbranch_execz .LBB264_113
; %bb.108:                              ;   in Loop: Header=BB264_13 Depth=1
	v_and_b32_sdwa v41, v3, v20 dst_sel:DWORD dst_unused:UNUSED_PAD src0_sel:WORD_0 src1_sel:DWORD
	v_mov_b32_e32 v38, 0x7c010000
	s_mov_b32 s50, exec_lo
	v_cmpx_ne_u32_e32 0x7f, v41
	s_cbranch_execz .LBB264_112
; %bb.109:                              ;   in Loop: Header=BB264_13 Depth=1
	v_and_b32_sdwa v38, v3, v21 dst_sel:DWORD dst_unused:UNUSED_PAD src0_sel:WORD_0 src1_sel:DWORD
	v_lshrrev_b32_e32 v40, 3, v41
	s_mov_b32 s51, exec_lo
	v_cmpx_gt_u32_e32 8, v41
; %bb.110:                              ;   in Loop: Header=BB264_13 Depth=1
	v_ffbh_u32_e32 v38, v38
	v_min_u32_e32 v38, 32, v38
	v_subrev_nc_u32_e32 v40, 28, v38
	v_lshlrev_b64 v[41:42], v40, v[3:4]
	v_sub_nc_u32_e32 v40, 29, v38
	v_and_b32_e32 v38, 7, v41
; %bb.111:                              ;   in Loop: Header=BB264_13 Depth=1
	s_or_b32 exec_lo, exec_lo, s51
	v_lshlrev_b32_sdwa v3, v22, v3 dst_sel:DWORD dst_unused:UNUSED_PAD src0_sel:DWORD src1_sel:WORD_0
	v_lshl_add_u32 v40, v40, 10, 0x2000
	v_lshlrev_b32_e32 v38, 23, v38
	v_and_or_b32 v3, 0x8000, v3, v40
	v_lshl_or_b32 v38, v3, 16, v38
.LBB264_112:                            ;   in Loop: Header=BB264_13 Depth=1
	s_or_b32 exec_lo, exec_lo, s50
.LBB264_113:                            ;   in Loop: Header=BB264_13 Depth=1
	s_or_b32 exec_lo, exec_lo, s49
.LBB264_114:                            ;   in Loop: Header=BB264_13 Depth=1
	s_or_b32 exec_lo, exec_lo, s48
	global_load_ushort v41, v[9:10], off offset:384
	v_mov_b32_e32 v40, 0
	s_waitcnt vmcnt(0)
	v_and_b32_e32 v3, 0xffff, v41
	v_cmp_ne_u16_sdwa s2, v41, v4 src0_sel:BYTE_0 src1_sel:DWORD
	v_mov_b32_e32 v41, 0
	s_and_saveexec_b32 s48, s2
	s_cbranch_execz .LBB264_122
; %bb.115:                              ;   in Loop: Header=BB264_13 Depth=1
	v_cmp_ne_u16_sdwa s2, v3, v19 src0_sel:BYTE_0 src1_sel:DWORD
	v_mov_b32_e32 v41, 0x8000
	s_and_saveexec_b32 s49, s2
	s_cbranch_execz .LBB264_121
; %bb.116:                              ;   in Loop: Header=BB264_13 Depth=1
	v_and_b32_e32 v43, 0x7f, v3
	v_mov_b32_e32 v41, 0x7c01
	s_mov_b32 s50, exec_lo
	v_cmpx_ne_u32_e32 0x7f, v43
	s_cbranch_execz .LBB264_120
; %bb.117:                              ;   in Loop: Header=BB264_13 Depth=1
	v_and_b32_e32 v41, 7, v3
	v_lshrrev_b32_e32 v42, 3, v43
	s_mov_b32 s51, exec_lo
	v_cmpx_gt_u32_e32 8, v43
; %bb.118:                              ;   in Loop: Header=BB264_13 Depth=1
	v_ffbh_u32_e32 v41, v41
	v_min_u32_e32 v43, 32, v41
	v_subrev_nc_u32_e32 v41, 28, v43
	v_lshlrev_b64 v[41:42], v41, v[3:4]
	v_sub_nc_u32_e32 v42, 29, v43
	v_and_b32_e32 v41, 7, v41
; %bb.119:                              ;   in Loop: Header=BB264_13 Depth=1
	s_or_b32 exec_lo, exec_lo, s51
	v_lshlrev_b32_e32 v43, 8, v3
	v_lshl_add_u32 v42, v42, 10, 0x2000
	v_lshlrev_b32_e32 v41, 7, v41
	v_and_b32_e32 v43, 0x8000, v43
	v_and_b32_e32 v42, 0xfc00, v42
	v_or3_b32 v41, v43, v42, v41
.LBB264_120:                            ;   in Loop: Header=BB264_13 Depth=1
	s_or_b32 exec_lo, exec_lo, s50
.LBB264_121:                            ;   in Loop: Header=BB264_13 Depth=1
	s_or_b32 exec_lo, exec_lo, s49
.LBB264_122:                            ;   in Loop: Header=BB264_13 Depth=1
	s_or_b32 exec_lo, exec_lo, s48
	v_lshrrev_b16 v3, 8, v3
	s_mov_b32 s48, exec_lo
	v_cmpx_ne_u16_e32 0, v3
	s_cbranch_execz .LBB264_130
; %bb.123:                              ;   in Loop: Header=BB264_13 Depth=1
	v_bfrev_b32_e32 v40, 1
	s_mov_b32 s49, exec_lo
	v_cmpx_ne_u16_e32 0x80, v3
	s_cbranch_execz .LBB264_129
; %bb.124:                              ;   in Loop: Header=BB264_13 Depth=1
	v_and_b32_sdwa v43, v3, v20 dst_sel:DWORD dst_unused:UNUSED_PAD src0_sel:WORD_0 src1_sel:DWORD
	v_mov_b32_e32 v40, 0x7c010000
	s_mov_b32 s50, exec_lo
	v_cmpx_ne_u32_e32 0x7f, v43
	s_cbranch_execz .LBB264_128
; %bb.125:                              ;   in Loop: Header=BB264_13 Depth=1
	v_and_b32_sdwa v40, v3, v21 dst_sel:DWORD dst_unused:UNUSED_PAD src0_sel:WORD_0 src1_sel:DWORD
	v_lshrrev_b32_e32 v42, 3, v43
	s_mov_b32 s51, exec_lo
	v_cmpx_gt_u32_e32 8, v43
; %bb.126:                              ;   in Loop: Header=BB264_13 Depth=1
	v_ffbh_u32_e32 v40, v40
	v_min_u32_e32 v40, 32, v40
	v_subrev_nc_u32_e32 v42, 28, v40
	v_lshlrev_b64 v[43:44], v42, v[3:4]
	v_sub_nc_u32_e32 v42, 29, v40
	v_and_b32_e32 v40, 7, v43
; %bb.127:                              ;   in Loop: Header=BB264_13 Depth=1
	s_or_b32 exec_lo, exec_lo, s51
	v_lshlrev_b32_sdwa v3, v22, v3 dst_sel:DWORD dst_unused:UNUSED_PAD src0_sel:DWORD src1_sel:WORD_0
	v_lshl_add_u32 v42, v42, 10, 0x2000
	v_lshlrev_b32_e32 v40, 23, v40
	v_and_or_b32 v3, 0x8000, v3, v42
	v_lshl_or_b32 v40, v3, 16, v40
.LBB264_128:                            ;   in Loop: Header=BB264_13 Depth=1
	s_or_b32 exec_lo, exec_lo, s50
.LBB264_129:                            ;   in Loop: Header=BB264_13 Depth=1
	s_or_b32 exec_lo, exec_lo, s49
.LBB264_130:                            ;   in Loop: Header=BB264_13 Depth=1
	s_or_b32 exec_lo, exec_lo, s48
	global_load_ushort v43, v[9:10], off offset:392
	v_mov_b32_e32 v42, 0
	s_waitcnt vmcnt(0)
	v_and_b32_e32 v3, 0xffff, v43
	v_cmp_ne_u16_sdwa s2, v43, v4 src0_sel:BYTE_0 src1_sel:DWORD
	v_mov_b32_e32 v43, 0
	s_and_saveexec_b32 s48, s2
	s_cbranch_execz .LBB264_138
; %bb.131:                              ;   in Loop: Header=BB264_13 Depth=1
	v_cmp_ne_u16_sdwa s2, v3, v19 src0_sel:BYTE_0 src1_sel:DWORD
	v_mov_b32_e32 v43, 0x8000
	s_and_saveexec_b32 s49, s2
	s_cbranch_execz .LBB264_137
; %bb.132:                              ;   in Loop: Header=BB264_13 Depth=1
	v_and_b32_e32 v45, 0x7f, v3
	v_mov_b32_e32 v43, 0x7c01
	s_mov_b32 s50, exec_lo
	v_cmpx_ne_u32_e32 0x7f, v45
	s_cbranch_execz .LBB264_136
; %bb.133:                              ;   in Loop: Header=BB264_13 Depth=1
	v_and_b32_e32 v43, 7, v3
	v_lshrrev_b32_e32 v44, 3, v45
	s_mov_b32 s51, exec_lo
	v_cmpx_gt_u32_e32 8, v45
; %bb.134:                              ;   in Loop: Header=BB264_13 Depth=1
	v_ffbh_u32_e32 v43, v43
	v_min_u32_e32 v45, 32, v43
	v_subrev_nc_u32_e32 v43, 28, v45
	v_lshlrev_b64 v[43:44], v43, v[3:4]
	v_sub_nc_u32_e32 v44, 29, v45
	v_and_b32_e32 v43, 7, v43
; %bb.135:                              ;   in Loop: Header=BB264_13 Depth=1
	s_or_b32 exec_lo, exec_lo, s51
	v_lshlrev_b32_e32 v45, 8, v3
	v_lshl_add_u32 v44, v44, 10, 0x2000
	v_lshlrev_b32_e32 v43, 7, v43
	v_and_b32_e32 v45, 0x8000, v45
	v_and_b32_e32 v44, 0xfc00, v44
	v_or3_b32 v43, v45, v44, v43
.LBB264_136:                            ;   in Loop: Header=BB264_13 Depth=1
	s_or_b32 exec_lo, exec_lo, s50
.LBB264_137:                            ;   in Loop: Header=BB264_13 Depth=1
	s_or_b32 exec_lo, exec_lo, s49
.LBB264_138:                            ;   in Loop: Header=BB264_13 Depth=1
	s_or_b32 exec_lo, exec_lo, s48
	v_lshrrev_b16 v3, 8, v3
	s_mov_b32 s48, exec_lo
	v_cmpx_ne_u16_e32 0, v3
	s_cbranch_execz .LBB264_146
; %bb.139:                              ;   in Loop: Header=BB264_13 Depth=1
	v_bfrev_b32_e32 v42, 1
	s_mov_b32 s49, exec_lo
	v_cmpx_ne_u16_e32 0x80, v3
	s_cbranch_execz .LBB264_145
; %bb.140:                              ;   in Loop: Header=BB264_13 Depth=1
	v_and_b32_sdwa v45, v3, v20 dst_sel:DWORD dst_unused:UNUSED_PAD src0_sel:WORD_0 src1_sel:DWORD
	v_mov_b32_e32 v42, 0x7c010000
	s_mov_b32 s50, exec_lo
	v_cmpx_ne_u32_e32 0x7f, v45
	s_cbranch_execz .LBB264_144
; %bb.141:                              ;   in Loop: Header=BB264_13 Depth=1
	v_and_b32_sdwa v42, v3, v21 dst_sel:DWORD dst_unused:UNUSED_PAD src0_sel:WORD_0 src1_sel:DWORD
	v_lshrrev_b32_e32 v44, 3, v45
	s_mov_b32 s51, exec_lo
	v_cmpx_gt_u32_e32 8, v45
; %bb.142:                              ;   in Loop: Header=BB264_13 Depth=1
	v_ffbh_u32_e32 v42, v42
	v_min_u32_e32 v42, 32, v42
	v_subrev_nc_u32_e32 v44, 28, v42
	v_lshlrev_b64 v[45:46], v44, v[3:4]
	v_sub_nc_u32_e32 v44, 29, v42
	v_and_b32_e32 v42, 7, v45
; %bb.143:                              ;   in Loop: Header=BB264_13 Depth=1
	s_or_b32 exec_lo, exec_lo, s51
	v_lshlrev_b32_sdwa v3, v22, v3 dst_sel:DWORD dst_unused:UNUSED_PAD src0_sel:DWORD src1_sel:WORD_0
	v_lshl_add_u32 v44, v44, 10, 0x2000
	v_lshlrev_b32_e32 v42, 23, v42
	v_and_or_b32 v3, 0x8000, v3, v44
	v_lshl_or_b32 v42, v3, 16, v42
.LBB264_144:                            ;   in Loop: Header=BB264_13 Depth=1
	s_or_b32 exec_lo, exec_lo, s50
.LBB264_145:                            ;   in Loop: Header=BB264_13 Depth=1
	s_or_b32 exec_lo, exec_lo, s49
.LBB264_146:                            ;   in Loop: Header=BB264_13 Depth=1
	s_or_b32 exec_lo, exec_lo, s48
	global_load_ushort v45, v[9:10], off offset:512
	v_mov_b32_e32 v44, 0
	s_waitcnt vmcnt(0)
	v_and_b32_e32 v3, 0xffff, v45
	v_cmp_ne_u16_sdwa s2, v45, v4 src0_sel:BYTE_0 src1_sel:DWORD
	v_mov_b32_e32 v45, 0
	s_and_saveexec_b32 s48, s2
	s_cbranch_execz .LBB264_154
; %bb.147:                              ;   in Loop: Header=BB264_13 Depth=1
	v_cmp_ne_u16_sdwa s2, v3, v19 src0_sel:BYTE_0 src1_sel:DWORD
	v_mov_b32_e32 v45, 0x8000
	s_and_saveexec_b32 s49, s2
	s_cbranch_execz .LBB264_153
; %bb.148:                              ;   in Loop: Header=BB264_13 Depth=1
	v_and_b32_e32 v47, 0x7f, v3
	v_mov_b32_e32 v45, 0x7c01
	s_mov_b32 s50, exec_lo
	v_cmpx_ne_u32_e32 0x7f, v47
	s_cbranch_execz .LBB264_152
; %bb.149:                              ;   in Loop: Header=BB264_13 Depth=1
	v_and_b32_e32 v45, 7, v3
	v_lshrrev_b32_e32 v46, 3, v47
	s_mov_b32 s51, exec_lo
	v_cmpx_gt_u32_e32 8, v47
; %bb.150:                              ;   in Loop: Header=BB264_13 Depth=1
	v_ffbh_u32_e32 v45, v45
	v_min_u32_e32 v47, 32, v45
	v_subrev_nc_u32_e32 v45, 28, v47
	v_lshlrev_b64 v[45:46], v45, v[3:4]
	v_sub_nc_u32_e32 v46, 29, v47
	v_and_b32_e32 v45, 7, v45
; %bb.151:                              ;   in Loop: Header=BB264_13 Depth=1
	s_or_b32 exec_lo, exec_lo, s51
	v_lshlrev_b32_e32 v47, 8, v3
	v_lshl_add_u32 v46, v46, 10, 0x2000
	v_lshlrev_b32_e32 v45, 7, v45
	v_and_b32_e32 v47, 0x8000, v47
	v_and_b32_e32 v46, 0xfc00, v46
	v_or3_b32 v45, v47, v46, v45
.LBB264_152:                            ;   in Loop: Header=BB264_13 Depth=1
	s_or_b32 exec_lo, exec_lo, s50
.LBB264_153:                            ;   in Loop: Header=BB264_13 Depth=1
	s_or_b32 exec_lo, exec_lo, s49
.LBB264_154:                            ;   in Loop: Header=BB264_13 Depth=1
	s_or_b32 exec_lo, exec_lo, s48
	v_lshrrev_b16 v3, 8, v3
	s_mov_b32 s48, exec_lo
	v_cmpx_ne_u16_e32 0, v3
	s_cbranch_execz .LBB264_162
; %bb.155:                              ;   in Loop: Header=BB264_13 Depth=1
	v_bfrev_b32_e32 v44, 1
	s_mov_b32 s49, exec_lo
	v_cmpx_ne_u16_e32 0x80, v3
	s_cbranch_execz .LBB264_161
; %bb.156:                              ;   in Loop: Header=BB264_13 Depth=1
	v_and_b32_sdwa v47, v3, v20 dst_sel:DWORD dst_unused:UNUSED_PAD src0_sel:WORD_0 src1_sel:DWORD
	v_mov_b32_e32 v44, 0x7c010000
	s_mov_b32 s50, exec_lo
	v_cmpx_ne_u32_e32 0x7f, v47
	s_cbranch_execz .LBB264_160
; %bb.157:                              ;   in Loop: Header=BB264_13 Depth=1
	v_and_b32_sdwa v44, v3, v21 dst_sel:DWORD dst_unused:UNUSED_PAD src0_sel:WORD_0 src1_sel:DWORD
	v_lshrrev_b32_e32 v46, 3, v47
	s_mov_b32 s51, exec_lo
	v_cmpx_gt_u32_e32 8, v47
; %bb.158:                              ;   in Loop: Header=BB264_13 Depth=1
	v_ffbh_u32_e32 v44, v44
	v_min_u32_e32 v44, 32, v44
	v_subrev_nc_u32_e32 v46, 28, v44
	v_lshlrev_b64 v[47:48], v46, v[3:4]
	v_sub_nc_u32_e32 v46, 29, v44
	v_and_b32_e32 v44, 7, v47
; %bb.159:                              ;   in Loop: Header=BB264_13 Depth=1
	s_or_b32 exec_lo, exec_lo, s51
	v_lshlrev_b32_sdwa v3, v22, v3 dst_sel:DWORD dst_unused:UNUSED_PAD src0_sel:DWORD src1_sel:WORD_0
	v_lshl_add_u32 v46, v46, 10, 0x2000
	v_lshlrev_b32_e32 v44, 23, v44
	v_and_or_b32 v3, 0x8000, v3, v46
	v_lshl_or_b32 v44, v3, 16, v44
.LBB264_160:                            ;   in Loop: Header=BB264_13 Depth=1
	s_or_b32 exec_lo, exec_lo, s50
.LBB264_161:                            ;   in Loop: Header=BB264_13 Depth=1
	s_or_b32 exec_lo, exec_lo, s49
.LBB264_162:                            ;   in Loop: Header=BB264_13 Depth=1
	s_or_b32 exec_lo, exec_lo, s48
	global_load_ushort v47, v[9:10], off offset:520
	v_mov_b32_e32 v46, 0
	s_waitcnt vmcnt(0)
	v_and_b32_e32 v3, 0xffff, v47
	v_cmp_ne_u16_sdwa s2, v47, v4 src0_sel:BYTE_0 src1_sel:DWORD
	v_mov_b32_e32 v47, 0
	s_and_saveexec_b32 s48, s2
	s_cbranch_execz .LBB264_170
; %bb.163:                              ;   in Loop: Header=BB264_13 Depth=1
	v_cmp_ne_u16_sdwa s2, v3, v19 src0_sel:BYTE_0 src1_sel:DWORD
	v_mov_b32_e32 v47, 0x8000
	s_and_saveexec_b32 s49, s2
	s_cbranch_execz .LBB264_169
; %bb.164:                              ;   in Loop: Header=BB264_13 Depth=1
	v_and_b32_e32 v49, 0x7f, v3
	v_mov_b32_e32 v47, 0x7c01
	s_mov_b32 s50, exec_lo
	v_cmpx_ne_u32_e32 0x7f, v49
	s_cbranch_execz .LBB264_168
; %bb.165:                              ;   in Loop: Header=BB264_13 Depth=1
	v_and_b32_e32 v47, 7, v3
	v_lshrrev_b32_e32 v48, 3, v49
	s_mov_b32 s51, exec_lo
	v_cmpx_gt_u32_e32 8, v49
; %bb.166:                              ;   in Loop: Header=BB264_13 Depth=1
	v_ffbh_u32_e32 v47, v47
	v_min_u32_e32 v49, 32, v47
	v_subrev_nc_u32_e32 v47, 28, v49
	v_lshlrev_b64 v[47:48], v47, v[3:4]
	v_sub_nc_u32_e32 v48, 29, v49
	v_and_b32_e32 v47, 7, v47
; %bb.167:                              ;   in Loop: Header=BB264_13 Depth=1
	s_or_b32 exec_lo, exec_lo, s51
	v_lshlrev_b32_e32 v49, 8, v3
	v_lshl_add_u32 v48, v48, 10, 0x2000
	v_lshlrev_b32_e32 v47, 7, v47
	v_and_b32_e32 v49, 0x8000, v49
	v_and_b32_e32 v48, 0xfc00, v48
	v_or3_b32 v47, v49, v48, v47
.LBB264_168:                            ;   in Loop: Header=BB264_13 Depth=1
	s_or_b32 exec_lo, exec_lo, s50
.LBB264_169:                            ;   in Loop: Header=BB264_13 Depth=1
	s_or_b32 exec_lo, exec_lo, s49
.LBB264_170:                            ;   in Loop: Header=BB264_13 Depth=1
	s_or_b32 exec_lo, exec_lo, s48
	v_lshrrev_b16 v3, 8, v3
	s_mov_b32 s48, exec_lo
	v_cmpx_ne_u16_e32 0, v3
	s_cbranch_execz .LBB264_178
; %bb.171:                              ;   in Loop: Header=BB264_13 Depth=1
	v_bfrev_b32_e32 v46, 1
	s_mov_b32 s49, exec_lo
	v_cmpx_ne_u16_e32 0x80, v3
	s_cbranch_execz .LBB264_177
; %bb.172:                              ;   in Loop: Header=BB264_13 Depth=1
	v_and_b32_sdwa v49, v3, v20 dst_sel:DWORD dst_unused:UNUSED_PAD src0_sel:WORD_0 src1_sel:DWORD
	v_mov_b32_e32 v46, 0x7c010000
	s_mov_b32 s50, exec_lo
	v_cmpx_ne_u32_e32 0x7f, v49
	s_cbranch_execz .LBB264_176
; %bb.173:                              ;   in Loop: Header=BB264_13 Depth=1
	v_and_b32_sdwa v46, v3, v21 dst_sel:DWORD dst_unused:UNUSED_PAD src0_sel:WORD_0 src1_sel:DWORD
	v_lshrrev_b32_e32 v48, 3, v49
	s_mov_b32 s51, exec_lo
	v_cmpx_gt_u32_e32 8, v49
; %bb.174:                              ;   in Loop: Header=BB264_13 Depth=1
	v_ffbh_u32_e32 v46, v46
	v_min_u32_e32 v46, 32, v46
	v_subrev_nc_u32_e32 v48, 28, v46
	v_lshlrev_b64 v[49:50], v48, v[3:4]
	v_sub_nc_u32_e32 v48, 29, v46
	v_and_b32_e32 v46, 7, v49
; %bb.175:                              ;   in Loop: Header=BB264_13 Depth=1
	s_or_b32 exec_lo, exec_lo, s51
	v_lshlrev_b32_sdwa v3, v22, v3 dst_sel:DWORD dst_unused:UNUSED_PAD src0_sel:DWORD src1_sel:WORD_0
	v_lshl_add_u32 v48, v48, 10, 0x2000
	v_lshlrev_b32_e32 v46, 23, v46
	v_and_or_b32 v3, 0x8000, v3, v48
	v_lshl_or_b32 v46, v3, 16, v46
.LBB264_176:                            ;   in Loop: Header=BB264_13 Depth=1
	s_or_b32 exec_lo, exec_lo, s50
.LBB264_177:                            ;   in Loop: Header=BB264_13 Depth=1
	s_or_b32 exec_lo, exec_lo, s49
.LBB264_178:                            ;   in Loop: Header=BB264_13 Depth=1
	s_or_b32 exec_lo, exec_lo, s48
	global_load_ushort v49, v[9:10], off offset:640
	v_mov_b32_e32 v48, 0
	s_waitcnt vmcnt(0)
	v_and_b32_e32 v3, 0xffff, v49
	v_cmp_ne_u16_sdwa s2, v49, v4 src0_sel:BYTE_0 src1_sel:DWORD
	v_mov_b32_e32 v49, 0
	s_and_saveexec_b32 s48, s2
	s_cbranch_execz .LBB264_186
; %bb.179:                              ;   in Loop: Header=BB264_13 Depth=1
	v_cmp_ne_u16_sdwa s2, v3, v19 src0_sel:BYTE_0 src1_sel:DWORD
	v_mov_b32_e32 v49, 0x8000
	s_and_saveexec_b32 s49, s2
	s_cbranch_execz .LBB264_185
; %bb.180:                              ;   in Loop: Header=BB264_13 Depth=1
	v_and_b32_e32 v51, 0x7f, v3
	v_mov_b32_e32 v49, 0x7c01
	s_mov_b32 s50, exec_lo
	v_cmpx_ne_u32_e32 0x7f, v51
	s_cbranch_execz .LBB264_184
; %bb.181:                              ;   in Loop: Header=BB264_13 Depth=1
	v_and_b32_e32 v49, 7, v3
	v_lshrrev_b32_e32 v50, 3, v51
	s_mov_b32 s51, exec_lo
	v_cmpx_gt_u32_e32 8, v51
; %bb.182:                              ;   in Loop: Header=BB264_13 Depth=1
	v_ffbh_u32_e32 v49, v49
	v_min_u32_e32 v51, 32, v49
	v_subrev_nc_u32_e32 v49, 28, v51
	v_lshlrev_b64 v[49:50], v49, v[3:4]
	v_sub_nc_u32_e32 v50, 29, v51
	v_and_b32_e32 v49, 7, v49
; %bb.183:                              ;   in Loop: Header=BB264_13 Depth=1
	s_or_b32 exec_lo, exec_lo, s51
	v_lshlrev_b32_e32 v51, 8, v3
	v_lshl_add_u32 v50, v50, 10, 0x2000
	v_lshlrev_b32_e32 v49, 7, v49
	v_and_b32_e32 v51, 0x8000, v51
	v_and_b32_e32 v50, 0xfc00, v50
	v_or3_b32 v49, v51, v50, v49
.LBB264_184:                            ;   in Loop: Header=BB264_13 Depth=1
	s_or_b32 exec_lo, exec_lo, s50
.LBB264_185:                            ;   in Loop: Header=BB264_13 Depth=1
	s_or_b32 exec_lo, exec_lo, s49
.LBB264_186:                            ;   in Loop: Header=BB264_13 Depth=1
	s_or_b32 exec_lo, exec_lo, s48
	v_lshrrev_b16 v3, 8, v3
	s_mov_b32 s48, exec_lo
	v_cmpx_ne_u16_e32 0, v3
	s_cbranch_execz .LBB264_194
; %bb.187:                              ;   in Loop: Header=BB264_13 Depth=1
	v_bfrev_b32_e32 v48, 1
	s_mov_b32 s49, exec_lo
	v_cmpx_ne_u16_e32 0x80, v3
	s_cbranch_execz .LBB264_193
; %bb.188:                              ;   in Loop: Header=BB264_13 Depth=1
	v_and_b32_sdwa v51, v3, v20 dst_sel:DWORD dst_unused:UNUSED_PAD src0_sel:WORD_0 src1_sel:DWORD
	v_mov_b32_e32 v48, 0x7c010000
	s_mov_b32 s50, exec_lo
	v_cmpx_ne_u32_e32 0x7f, v51
	s_cbranch_execz .LBB264_192
; %bb.189:                              ;   in Loop: Header=BB264_13 Depth=1
	v_and_b32_sdwa v48, v3, v21 dst_sel:DWORD dst_unused:UNUSED_PAD src0_sel:WORD_0 src1_sel:DWORD
	v_lshrrev_b32_e32 v50, 3, v51
	s_mov_b32 s51, exec_lo
	v_cmpx_gt_u32_e32 8, v51
; %bb.190:                              ;   in Loop: Header=BB264_13 Depth=1
	v_ffbh_u32_e32 v48, v48
	v_min_u32_e32 v48, 32, v48
	v_subrev_nc_u32_e32 v50, 28, v48
	v_lshlrev_b64 v[51:52], v50, v[3:4]
	v_sub_nc_u32_e32 v50, 29, v48
	v_and_b32_e32 v48, 7, v51
; %bb.191:                              ;   in Loop: Header=BB264_13 Depth=1
	s_or_b32 exec_lo, exec_lo, s51
	v_lshlrev_b32_sdwa v3, v22, v3 dst_sel:DWORD dst_unused:UNUSED_PAD src0_sel:DWORD src1_sel:WORD_0
	v_lshl_add_u32 v50, v50, 10, 0x2000
	v_lshlrev_b32_e32 v48, 23, v48
	v_and_or_b32 v3, 0x8000, v3, v50
	v_lshl_or_b32 v48, v3, 16, v48
.LBB264_192:                            ;   in Loop: Header=BB264_13 Depth=1
	s_or_b32 exec_lo, exec_lo, s50
.LBB264_193:                            ;   in Loop: Header=BB264_13 Depth=1
	s_or_b32 exec_lo, exec_lo, s49
.LBB264_194:                            ;   in Loop: Header=BB264_13 Depth=1
	s_or_b32 exec_lo, exec_lo, s48
	global_load_ushort v10, v[9:10], off offset:648
	v_mov_b32_e32 v9, 0
	s_waitcnt vmcnt(0)
	v_and_b32_e32 v3, 0xffff, v10
	v_cmp_ne_u16_sdwa s2, v10, v4 src0_sel:BYTE_0 src1_sel:DWORD
	v_mov_b32_e32 v10, 0
	s_and_saveexec_b32 s48, s2
	s_cbranch_execz .LBB264_202
; %bb.195:                              ;   in Loop: Header=BB264_13 Depth=1
	v_cmp_ne_u16_sdwa s2, v3, v19 src0_sel:BYTE_0 src1_sel:DWORD
	v_mov_b32_e32 v10, 0x8000
	s_and_saveexec_b32 s49, s2
	s_cbranch_execz .LBB264_201
; %bb.196:                              ;   in Loop: Header=BB264_13 Depth=1
	v_and_b32_e32 v51, 0x7f, v3
	v_mov_b32_e32 v10, 0x7c01
	s_mov_b32 s50, exec_lo
	v_cmpx_ne_u32_e32 0x7f, v51
	s_cbranch_execz .LBB264_200
; %bb.197:                              ;   in Loop: Header=BB264_13 Depth=1
	v_and_b32_e32 v10, 7, v3
	v_lshrrev_b32_e32 v50, 3, v51
	s_mov_b32 s51, exec_lo
	v_cmpx_gt_u32_e32 8, v51
; %bb.198:                              ;   in Loop: Header=BB264_13 Depth=1
	v_ffbh_u32_e32 v10, v10
	v_min_u32_e32 v10, 32, v10
	v_subrev_nc_u32_e32 v50, 28, v10
	v_lshlrev_b64 v[51:52], v50, v[3:4]
	v_sub_nc_u32_e32 v50, 29, v10
	v_and_b32_e32 v10, 7, v51
; %bb.199:                              ;   in Loop: Header=BB264_13 Depth=1
	s_or_b32 exec_lo, exec_lo, s51
	v_lshlrev_b32_e32 v51, 8, v3
	v_lshl_add_u32 v50, v50, 10, 0x2000
	v_lshlrev_b32_e32 v10, 7, v10
	v_and_b32_e32 v51, 0x8000, v51
	v_and_b32_e32 v50, 0xfc00, v50
	v_or3_b32 v10, v51, v50, v10
.LBB264_200:                            ;   in Loop: Header=BB264_13 Depth=1
	s_or_b32 exec_lo, exec_lo, s50
.LBB264_201:                            ;   in Loop: Header=BB264_13 Depth=1
	s_or_b32 exec_lo, exec_lo, s49
.LBB264_202:                            ;   in Loop: Header=BB264_13 Depth=1
	s_or_b32 exec_lo, exec_lo, s48
	v_lshrrev_b16 v3, 8, v3
	s_mov_b32 s48, exec_lo
	v_cmpx_ne_u16_e32 0, v3
	s_cbranch_execz .LBB264_210
; %bb.203:                              ;   in Loop: Header=BB264_13 Depth=1
	v_bfrev_b32_e32 v9, 1
	s_mov_b32 s49, exec_lo
	v_cmpx_ne_u16_e32 0x80, v3
	s_cbranch_execz .LBB264_209
; %bb.204:                              ;   in Loop: Header=BB264_13 Depth=1
	v_and_b32_sdwa v51, v3, v20 dst_sel:DWORD dst_unused:UNUSED_PAD src0_sel:WORD_0 src1_sel:DWORD
	v_mov_b32_e32 v9, 0x7c010000
	s_mov_b32 s50, exec_lo
	v_cmpx_ne_u32_e32 0x7f, v51
	s_cbranch_execz .LBB264_208
; %bb.205:                              ;   in Loop: Header=BB264_13 Depth=1
	v_and_b32_sdwa v9, v3, v21 dst_sel:DWORD dst_unused:UNUSED_PAD src0_sel:WORD_0 src1_sel:DWORD
	v_lshrrev_b32_e32 v50, 3, v51
	s_mov_b32 s51, exec_lo
	v_cmpx_gt_u32_e32 8, v51
; %bb.206:                              ;   in Loop: Header=BB264_13 Depth=1
	v_ffbh_u32_e32 v9, v9
	v_min_u32_e32 v9, 32, v9
	v_subrev_nc_u32_e32 v50, 28, v9
	v_lshlrev_b64 v[51:52], v50, v[3:4]
	v_sub_nc_u32_e32 v50, 29, v9
	v_and_b32_e32 v9, 7, v51
; %bb.207:                              ;   in Loop: Header=BB264_13 Depth=1
	s_or_b32 exec_lo, exec_lo, s51
	v_lshlrev_b32_sdwa v3, v22, v3 dst_sel:DWORD dst_unused:UNUSED_PAD src0_sel:DWORD src1_sel:WORD_0
	v_lshl_add_u32 v50, v50, 10, 0x2000
	v_lshlrev_b32_e32 v9, 23, v9
	v_and_or_b32 v3, 0x8000, v3, v50
	v_lshl_or_b32 v9, v3, 16, v9
.LBB264_208:                            ;   in Loop: Header=BB264_13 Depth=1
	s_or_b32 exec_lo, exec_lo, s50
.LBB264_209:                            ;   in Loop: Header=BB264_13 Depth=1
	s_or_b32 exec_lo, exec_lo, s49
.LBB264_210:                            ;   in Loop: Header=BB264_13 Depth=1
	s_or_b32 exec_lo, exec_lo, s48
	ds_read_b32 v3, v16
	v_or_b32_e32 v29, v28, v29
	v_fma_mixlo_f16 v28, v27, v28, 0 op_sel:[0,1,0] op_sel_hi:[0,1,0]
	v_or_b32_e32 v31, v30, v31
	v_fma_mixlo_f16 v30, v27, v30, 0 op_sel:[0,1,0] op_sel_hi:[0,1,0]
	v_or_b32_e32 v33, v32, v33
	v_fma_mixlo_f16 v29, v27, v29, 0 op_sel_hi:[0,1,0]
	v_and_b32_e32 v52, 0xffff, v28
	v_fma_mixlo_f16 v31, v27, v31, 0 op_sel_hi:[0,1,0]
	v_and_b32_e32 v54, 0xffff, v30
	;; [unrolled: 2-line block ×3, first 2 shown]
	v_fma_mixlo_f16 v32, v27, v32, 0 op_sel:[0,1,0] op_sel_hi:[0,1,0]
	v_and_b32_e32 v53, 0xffff, v31
	v_or_b32_e32 v35, v34, v35
	v_and_b32_e32 v55, 0xffff, v33
	v_fma_mixlo_f16 v34, v27, v34, 0 op_sel:[0,1,0] op_sel_hi:[0,1,0]
	v_and_b32_e32 v56, 0xffff, v32
	v_or_b32_e32 v37, v36, v37
	v_fma_mixlo_f16 v35, v27, v35, 0 op_sel_hi:[0,1,0]
	s_waitcnt lgkmcnt(0)
	v_and_b32_e32 v50, 0xffff, v3
	v_lshrrev_b32_e32 v51, 16, v3
	;;#ASMSTART
	v_cvt_f32_f16 v3, v50;
	;;#ASMEND
	;;#ASMSTART
	v_cvt_f32_f16 v28, v51;
	;;#ASMEND
	;;#ASMSTART
	v_cvt_f32_f16 v29, v29;
	;;#ASMEND
	;;#ASMSTART
	v_cvt_f32_f16 v50, v52;
	;;#ASMEND
	ds_read_b32 v51, v16 offset:4
	v_and_b32_e32 v57, 0xffff, v35
	v_and_b32_e32 v58, 0xffff, v34
	v_fma_mixlo_f16 v37, v27, v37, 0 op_sel_hi:[0,1,0]
	v_fma_mixlo_f16 v36, v27, v36, 0 op_sel:[0,1,0] op_sel_hi:[0,1,0]
	v_or_b32_e32 v39, v38, v39
	v_fma_mixlo_f16 v38, v27, v38, 0 op_sel:[0,1,0] op_sel_hi:[0,1,0]
	v_or_b32_e32 v41, v40, v41
	v_and_b32_e32 v59, 0xffff, v37
	v_and_b32_e32 v60, 0xffff, v36
	v_fma_mixlo_f16 v39, v27, v39, 0 op_sel_hi:[0,1,0]
	v_and_b32_e32 v62, 0xffff, v38
	v_fma_mixlo_f16 v41, v27, v41, 0 op_sel_hi:[0,1,0]
	v_fma_mixlo_f16 v40, v27, v40, 0 op_sel:[0,1,0] op_sel_hi:[0,1,0]
	v_or_b32_e32 v43, v42, v43
	v_and_b32_e32 v61, 0xffff, v39
	v_fma_mixlo_f16 v42, v27, v42, 0 op_sel:[0,1,0] op_sel_hi:[0,1,0]
	v_and_b32_e32 v63, 0xffff, v41
	v_and_b32_e32 v64, 0xffff, v40
	v_fma_mixlo_f16 v43, v27, v43, 0 op_sel_hi:[0,1,0]
	s_waitcnt lgkmcnt(0)
	v_and_b32_e32 v52, 0xffff, v51
	v_lshrrev_b32_e32 v51, 16, v51
	;;#ASMSTART
	v_cvt_f32_f16 v30, v52;
	;;#ASMEND
	;;#ASMSTART
	v_cvt_f32_f16 v31, v51;
	;;#ASMEND
	;; [unrolled: 3-line block ×4, first 2 shown]
	ds_read_b32 v53, v16 offset:8
	v_and_b32_e32 v65, 0xffff, v43
	v_and_b32_e32 v66, 0xffff, v42
	v_or_b32_e32 v45, v44, v45
	v_fma_mixlo_f16 v44, v27, v44, 0 op_sel:[0,1,0] op_sel_hi:[0,1,0]
	v_mul_f32_e32 v30, v30, v51
	v_mul_f32_e32 v31, v31, v52
	v_or_b32_e32 v47, v46, v47
	v_fma_mixlo_f16 v45, v27, v45, 0 op_sel_hi:[0,1,0]
	v_and_b32_e32 v68, 0xffff, v44
	v_fmac_f32_e32 v30, v3, v29
	v_fmac_f32_e32 v31, v28, v50
	v_fma_mixlo_f16 v46, v27, v46, 0 op_sel:[0,1,0] op_sel_hi:[0,1,0]
	v_and_b32_e32 v67, 0xffff, v45
	v_fma_mixlo_f16 v47, v27, v47, 0 op_sel_hi:[0,1,0]
	v_or_b32_e32 v3, v48, v49
	v_fma_mixlo_f16 v28, v27, v48, 0 op_sel:[0,1,0] op_sel_hi:[0,1,0]
	v_or_b32_e32 v10, v9, v10
	v_fma_mixlo_f16 v9, v27, v9, 0 op_sel:[0,1,0] op_sel_hi:[0,1,0]
	v_and_b32_e32 v69, 0xffff, v47
	s_waitcnt lgkmcnt(0)
	v_and_b32_e32 v54, 0xffff, v53
	v_lshrrev_b32_e32 v53, 16, v53
	;;#ASMSTART
	v_cvt_f32_f16 v32, v54;
	;;#ASMEND
	;;#ASMSTART
	v_cvt_f32_f16 v33, v53;
	;;#ASMEND
	;; [unrolled: 3-line block ×4, first 2 shown]
	ds_read_b32 v55, v16 offset:12
	v_fmac_f32_e32 v30, v32, v53
	v_fmac_f32_e32 v31, v33, v54
	v_fma_mixlo_f16 v3, v27, v3, 0 op_sel_hi:[0,1,0]
	v_and_b32_e32 v32, 0xffff, v28
	v_fma_mixlo_f16 v10, v27, v10, 0 op_sel_hi:[0,1,0]
	v_and_b32_e32 v33, 0xffff, v3
	s_waitcnt lgkmcnt(0)
	v_and_b32_e32 v56, 0xffff, v55
	v_lshrrev_b32_e32 v55, 16, v55
	;;#ASMSTART
	v_cvt_f32_f16 v34, v56;
	;;#ASMEND
	;;#ASMSTART
	v_cvt_f32_f16 v35, v55;
	;;#ASMEND
	;; [unrolled: 3-line block ×4, first 2 shown]
	ds_read_b32 v57, v16 offset:16
	v_fmac_f32_e32 v30, v34, v55
	v_fmac_f32_e32 v31, v35, v56
	v_xor_b32_e32 v34, 2, v11
	v_and_b32_e32 v35, 0xffff, v9
	v_cmp_gt_i32_e64 s2, 32, v34
	v_cndmask_b32_e64 v9, v11, v34, s2
	v_and_b32_e32 v34, 0xffff, v10
	s_waitcnt lgkmcnt(0)
	v_and_b32_e32 v58, 0xffff, v57
	v_lshrrev_b32_e32 v57, 16, v57
	;;#ASMSTART
	v_cvt_f32_f16 v36, v58;
	;;#ASMEND
	;;#ASMSTART
	v_cvt_f32_f16 v37, v57;
	;;#ASMEND
	;;#ASMSTART
	v_cvt_f32_f16 v57, v59;
	;;#ASMEND
	;;#ASMSTART
	v_cvt_f32_f16 v58, v60;
	;;#ASMEND
	ds_read_b32 v59, v16 offset:20
	v_fmac_f32_e32 v30, v36, v57
	v_fmac_f32_e32 v31, v37, v58
	s_waitcnt lgkmcnt(0)
	v_and_b32_e32 v60, 0xffff, v59
	v_lshrrev_b32_e32 v59, 16, v59
	;;#ASMSTART
	v_cvt_f32_f16 v38, v60;
	;;#ASMEND
	;;#ASMSTART
	v_cvt_f32_f16 v39, v59;
	;;#ASMEND
	;;#ASMSTART
	v_cvt_f32_f16 v59, v61;
	;;#ASMEND
	;;#ASMSTART
	v_cvt_f32_f16 v60, v62;
	;;#ASMEND
	ds_read_b32 v61, v16 offset:24
	v_fmac_f32_e32 v30, v38, v59
	v_fmac_f32_e32 v31, v39, v60
	;; [unrolled: 18-line block ×4, first 2 shown]
	s_waitcnt lgkmcnt(0)
	v_and_b32_e32 v66, 0xffff, v65
	v_lshrrev_b32_e32 v65, 16, v65
	;;#ASMSTART
	v_cvt_f32_f16 v44, v66;
	;;#ASMEND
	;;#ASMSTART
	v_cvt_f32_f16 v45, v65;
	;;#ASMEND
	;; [unrolled: 3-line block ×4, first 2 shown]
	ds_read_b32 v67, v16 offset:36
	v_and_b32_e32 v68, 0xffff, v46
	v_fmac_f32_e32 v30, v44, v65
	v_fmac_f32_e32 v31, v45, v66
	s_waitcnt lgkmcnt(0)
	v_and_b32_e32 v46, 0xffff, v67
	v_lshrrev_b32_e32 v67, 16, v67
	;;#ASMSTART
	v_cvt_f32_f16 v46, v46;
	;;#ASMEND
	;;#ASMSTART
	v_cvt_f32_f16 v47, v67;
	;;#ASMEND
	;; [unrolled: 3-line block ×4, first 2 shown]
	ds_read_b32 v67, v16 offset:40
	v_fmac_f32_e32 v30, v46, v51
	v_fmac_f32_e32 v31, v47, v52
	s_waitcnt lgkmcnt(0)
	v_and_b32_e32 v28, 0xffff, v67
	v_lshrrev_b32_e32 v29, 16, v67
	;;#ASMSTART
	v_cvt_f32_f16 v3, v28;
	;;#ASMEND
	;;#ASMSTART
	v_cvt_f32_f16 v28, v29;
	;;#ASMEND
	;; [unrolled: 3-line block ×4, first 2 shown]
	ds_read_b32 v33, v16 offset:44
	v_fmac_f32_e32 v30, v3, v29
	v_fmac_f32_e32 v31, v28, v32
	s_waitcnt lgkmcnt(0)
	v_and_b32_e32 v27, 0xffff, v33
	v_lshrrev_b32_e32 v33, 16, v33
	;;#ASMSTART
	v_cvt_f32_f16 v3, v27;
	;;#ASMEND
	;;#ASMSTART
	v_cvt_f32_f16 v10, v33;
	;;#ASMEND
	;; [unrolled: 3-line block ×4, first 2 shown]
	v_fmac_f32_e32 v30, v3, v27
	v_fmac_f32_e32 v31, v10, v28
	v_lshlrev_b32_e32 v3, 2, v9
	v_xor_b32_e32 v10, 1, v11
	v_add_f32_e32 v9, v30, v31
	v_cmp_gt_i32_e64 s2, 32, v10
	ds_bpermute_b32 v3, v3, v9
	v_cndmask_b32_e64 v10, v11, v10, s2
	s_waitcnt lgkmcnt(0)
	v_add_f32_e32 v3, v9, v3
	v_lshlrev_b32_e32 v9, 2, v10
	ds_bpermute_b32 v9, v9, v3
	s_and_saveexec_b32 s48, vcc_lo
	s_cbranch_execz .LBB264_11
; %bb.211:                              ;   in Loop: Header=BB264_13 Depth=1
	v_add_nc_u32_e32 v10, v23, v17
	s_waitcnt lgkmcnt(0)
	v_add_f32_e32 v3, v3, v9
	v_cvt_f32_i32_e32 v10, v10
	v_mul_f32_e32 v10, s43, v10
	v_cndmask_b32_e64 v9, 0, v10, s1
	v_max_f32_e32 v10, v14, v14
	v_fmac_f32_e32 v9, s41, v3
	v_add_nc_u32_e32 v3, v15, v17
	v_max_f32_e32 v10, v10, v9
	v_cmp_gt_i32_e64 s2, s31, v3
	v_cndmask_b32_e64 v3, 0, v9, s2
	v_cndmask_b32_e64 v14, v14, v10, s2
	ds_write_b32 v24, v3
	s_branch .LBB264_11
.LBB264_212:
	s_or_b32 exec_lo, exec_lo, s46
.LBB264_213:
	s_or_b32 exec_lo, exec_lo, s45
	v_xor_b32_e32 v3, 16, v11
	v_xor_b32_e32 v5, 8, v11
	v_max_f32_e32 v7, v14, v14
	v_cmp_gt_i32_e32 vcc_lo, 32, v3
	v_cndmask_b32_e32 v3, v11, v3, vcc_lo
	v_cmp_gt_i32_e32 vcc_lo, 32, v5
	v_lshlrev_b32_e32 v4, 2, v3
	v_cndmask_b32_e32 v5, v11, v5, vcc_lo
	ds_bpermute_b32 v3, v4, v14
	v_lshlrev_b32_e32 v6, 2, v5
	v_and_b32_e32 v14, 31, v0
	s_waitcnt lgkmcnt(0)
	v_max_f32_e32 v3, v3, v3
	v_max_f32_e32 v3, v7, v3
	v_xor_b32_e32 v7, 4, v11
	ds_bpermute_b32 v5, v6, v3
	v_cmp_gt_i32_e32 vcc_lo, 32, v7
	v_cndmask_b32_e32 v7, v11, v7, vcc_lo
	v_cmp_eq_u32_e32 vcc_lo, 0, v14
	v_lshlrev_b32_e32 v9, 2, v7
	v_lshlrev_b32_e32 v7, 2, v12
	s_waitcnt lgkmcnt(0)
	v_max_f32_e32 v5, v5, v5
	v_max_f32_e32 v3, v3, v5
	ds_bpermute_b32 v5, v9, v3
	s_and_saveexec_b32 s1, vcc_lo
	s_cbranch_execz .LBB264_215
; %bb.214:
	s_waitcnt lgkmcnt(0)
	v_max_f32_e32 v5, v5, v5
	v_max_f32_e32 v3, v3, v3
	;; [unrolled: 1-line block ×3, first 2 shown]
	ds_write_b32 v7, v3 offset:192
.LBB264_215:
	s_or_b32 exec_lo, exec_lo, s1
	v_cmp_gt_u32_e64 s1, 4, v14
	v_mov_b32_e32 v3, 0xff7fffff
	v_lshlrev_b32_e32 v8, 2, v14
	s_waitcnt lgkmcnt(0)
	s_barrier
	buffer_gl0_inv
	s_and_saveexec_b32 s2, s1
; %bb.216:
	ds_read_b32 v3, v8 offset:192
; %bb.217:
	s_or_b32 exec_lo, exec_lo, s2
	v_xor_b32_e32 v5, 2, v11
	v_xor_b32_e32 v15, 1, v11
	v_cmp_gt_i32_e64 s2, 32, v5
	v_cndmask_b32_e64 v5, v11, v5, s2
	v_cmp_gt_i32_e64 s2, 32, v15
	v_lshlrev_b32_e32 v10, 2, v5
	v_cndmask_b32_e64 v11, v11, v15, s2
	v_mov_b32_e32 v15, 0
	s_sub_i32 s2, s20, s44
	s_lshl_b32 s2, s2, 3
	s_waitcnt lgkmcnt(0)
	ds_bpermute_b32 v5, v10, v3
	v_max_f32_e32 v3, v3, v3
	v_lshlrev_b32_e32 v11, 2, v11
	s_add_i32 s2, s2, s33
	s_min_i32 s2, s2, s31
	s_sub_i32 s4, s2, s33
	v_cmp_gt_i32_e64 s2, s4, v0
	s_waitcnt lgkmcnt(0)
	v_max_f32_e32 v5, v5, v5
	v_max_f32_e32 v3, v3, v5
	ds_bpermute_b32 v5, v11, v3
	s_waitcnt lgkmcnt(0)
	v_max_f32_e32 v5, v5, v5
	v_max_f32_e32 v3, v3, v5
	v_lshl_add_u32 v5, v0, 2, 0xe0
	ds_bpermute_b32 v3, v15, v3
	s_and_saveexec_b32 s5, s2
	s_cbranch_execz .LBB264_221
; %bb.218:
	v_lshl_add_u32 v16, v0, 2, 0xe0
	v_mov_b32_e32 v15, 0
	v_mov_b32_e32 v17, v0
	s_mov_b32 s12, 0
	.p2align	6
.LBB264_219:                            ; =>This Inner Loop Header: Depth=1
	ds_read_b32 v18, v16
	v_add_nc_u32_e32 v17, 0x80, v17
	v_cmp_le_i32_e64 s3, s4, v17
	s_or_b32 s12, s3, s12
	s_waitcnt lgkmcnt(0)
	v_sub_f32_e32 v18, v18, v3
	v_mul_f32_e32 v18, 0x3fb8aa3b, v18
	v_exp_f32_e32 v18, v18
	ds_write_b32 v16, v18
	v_add_f32_e32 v15, v15, v18
	v_add_nc_u32_e32 v16, 0x200, v16
	s_andn2_b32 exec_lo, exec_lo, s12
	s_cbranch_execnz .LBB264_219
; %bb.220:
	s_or_b32 exec_lo, exec_lo, s12
.LBB264_221:
	s_or_b32 exec_lo, exec_lo, s5
	ds_bpermute_b32 v4, v4, v15
	s_waitcnt lgkmcnt(0)
	v_add_f32_e32 v4, v15, v4
	ds_bpermute_b32 v6, v6, v4
	s_waitcnt lgkmcnt(0)
	v_add_f32_e32 v4, v4, v6
	ds_bpermute_b32 v6, v9, v4
	s_waitcnt lgkmcnt(0)
	v_add_f32_e32 v4, v4, v6
	ds_bpermute_b32 v6, v10, v4
	s_waitcnt lgkmcnt(0)
	v_add_f32_e32 v4, v4, v6
	ds_bpermute_b32 v6, v11, v4
	s_waitcnt lgkmcnt(0)
	v_add_f32_e32 v4, v4, v6
	s_and_saveexec_b32 s3, vcc_lo
; %bb.222:
	ds_write_b32 v7, v4 offset:208
; %bb.223:
	s_or_b32 exec_lo, exec_lo, s3
	s_waitcnt lgkmcnt(0)
	s_barrier
	buffer_gl0_inv
	s_and_saveexec_b32 s3, s1
; %bb.224:
	ds_read_b32 v4, v8 offset:208
; %bb.225:
	s_or_b32 exec_lo, exec_lo, s3
	s_waitcnt lgkmcnt(0)
	ds_bpermute_b32 v6, v10, v4
	s_waitcnt lgkmcnt(0)
	v_add_f32_e32 v4, v4, v6
	ds_bpermute_b32 v6, v11, v4
	s_waitcnt lgkmcnt(0)
	v_add_f32_e32 v4, v4, v6
	v_mov_b32_e32 v6, 0
	ds_bpermute_b32 v4, v6, v4
	s_and_saveexec_b32 s1, s2
	s_cbranch_execz .LBB264_228
; %bb.226:
	s_waitcnt lgkmcnt(0)
	v_add_f32_e32 v6, 0x358637bd, v4
	s_mov_b32 s2, 0
	v_div_scale_f32 v7, null, v6, v6, 1.0
	v_div_scale_f32 v10, vcc_lo, 1.0, v6, 1.0
	v_rcp_f32_e32 v8, v7
	v_fma_f32 v9, -v7, v8, 1.0
	v_fmac_f32_e32 v8, v9, v8
	v_mul_f32_e32 v9, v10, v8
	v_fma_f32 v11, -v7, v9, v10
	v_fmac_f32_e32 v9, v11, v8
	v_fma_f32 v7, -v7, v9, v10
	v_div_fmas_f32 v7, v7, v8, v9
	v_div_fixup_f32 v6, v7, v6, 1.0
	v_mov_b32_e32 v7, v0
.LBB264_227:                            ; =>This Inner Loop Header: Depth=1
	ds_read_b32 v8, v5
	v_add_nc_u32_e32 v7, 0x80, v7
	v_cmp_le_i32_e32 vcc_lo, s4, v7
	s_or_b32 s2, vcc_lo, s2
	s_waitcnt lgkmcnt(0)
	v_mul_f32_e32 v8, v6, v8
	ds_write_b32 v5, v8
	v_add_nc_u32_e32 v5, 0x200, v5
	s_andn2_b32 exec_lo, exec_lo, s2
	s_cbranch_execnz .LBB264_227
.LBB264_228:
	s_or_b32 exec_lo, exec_lo, s1
	s_mul_i32 s1, s7, s30
	s_waitcnt lgkmcnt(0)
	s_mul_i32 s2, s1, s9
	s_mov_b32 s1, exec_lo
	s_barrier
	buffer_gl0_inv
	v_cmpx_eq_u32_e32 0, v0
	s_cbranch_execz .LBB264_230
; %bb.229:
	s_ashr_i32 s3, s2, 31
	s_mul_i32 s12, s7, s6
	s_lshl_b64 s[4:5], s[2:3], 2
	v_mov_b32_e32 v5, 0
	s_add_u32 s3, s26, s4
	s_addc_u32 s6, s27, s5
	s_ashr_i32 s13, s12, 31
	s_lshl_b64 s[12:13], s[12:13], 2
	s_add_u32 s3, s3, s12
	s_addc_u32 s6, s6, s13
	s_ashr_i32 s9, s8, 31
	s_lshl_b64 s[26:27], s[8:9], 2
	s_add_u32 s44, s3, s26
	s_addc_u32 s45, s6, s27
	s_add_u32 s3, s24, s4
	s_addc_u32 s4, s25, s5
	s_add_u32 s3, s3, s12
	s_addc_u32 s5, s4, s13
	s_add_u32 s4, s3, s26
	s_addc_u32 s5, s5, s27
	global_store_dword v5, v3, s[44:45]
	global_store_dword v5, v4, s[4:5]
.LBB264_230:
	s_or_b32 exec_lo, exec_lo, s1
	v_mov_b32_e32 v17, 0
	v_mov_b32_e32 v16, 0
	;; [unrolled: 1-line block ×3, first 2 shown]
	s_and_saveexec_b32 s1, s0
	s_cbranch_execz .LBB264_434
; %bb.231:
	s_sub_i32 s3, s42, s21
	s_ashr_i32 s0, s18, 31
	s_add_u32 s12, s38, s18
	s_addc_u32 s0, s39, s0
	s_abs_i32 s6, s22
	v_lshlrev_b64 v[6:7], 2, v[1:2]
	v_cvt_f32_u32_e32 v3, s6
	s_sub_i32 s4, 0, s6
	v_lshlrev_b32_e32 v5, 3, v14
	s_add_i32 s40, s40, -1
	v_lshl_add_u32 v18, v12, 5, 0xe0
	v_rcp_iflag_f32_e32 v3, v3
	v_mov_b32_e32 v19, 0x80
	v_mov_b32_e32 v20, 0x7f
	;; [unrolled: 1-line block ×7, first 2 shown]
	s_mov_b32 s9, s17
	v_mul_f32_e32 v4, 0x4f7ffffe, v3
	v_mov_b32_e32 v3, 0
	v_cvt_u32_f32_e32 v8, v4
	v_add_co_u32 v4, s12, s12, v5
	v_add_co_ci_u32_e64 v5, null, s0, 0, s12
	v_mul_lo_u32 v2, s4, v8
	s_lshl_b64 s[4:5], s[36:37], 2
	s_mov_b32 s12, 0
	s_add_u32 s0, s34, s4
	s_addc_u32 s4, s35, s5
	v_add_co_u32 v6, vcc_lo, s0, v6
	v_add_co_ci_u32_e64 v7, null, s4, v7, vcc_lo
	v_mul_hi_u32 v2, v8, v2
	s_mov_b32 s4, -1
	s_mov_b32 s5, 0xffffff
	v_add_nc_u32_e32 v23, v8, v2
	s_branch .LBB264_234
.LBB264_232:                            ;   in Loop: Header=BB264_234 Depth=1
	s_or_b32 exec_lo, exec_lo, s0
	;;#ASMSTART
	v_pk_mul_f16 v2, v36, v39;

	;;#ASMEND
	;;#ASMSTART
	v_pk_mul_f16 v24, v35, v37;

	;;#ASMEND
	;; [unrolled: 4-line block ×4, first 2 shown]
	;;#ASMSTART
	v_pk_add_f16 v2, v2, v24;

	;;#ASMEND
	;;#ASMSTART
	v_pk_add_f16 v2, v2, v9;

	;;#ASMEND
	;; [unrolled: 4-line block ×3, first 2 shown]
	v_and_b32_e32 v9, 0xffff, v2
	;;#ASMSTART
	v_cvt_f32_f16 v9, v9;
	;;#ASMEND
	v_lshrrev_b32_e32 v24, 16, v2
	v_add_f32_e32 v2, v10, v11
	v_add_f32_e32 v8, v31, v32
	;;#ASMSTART
	v_cvt_f32_f16 v10, v24;
	;;#ASMEND
	v_add_f32_e32 v9, v9, v10
	v_add_f32_e32 v16, v16, v2
	;; [unrolled: 1-line block ×4, first 2 shown]
.LBB264_233:                            ;   in Loop: Header=BB264_234 Depth=1
	s_or_b32 exec_lo, exec_lo, s13
	v_add_nc_u32_e32 v1, 4, v1
	v_add_co_u32 v6, s0, v6, 16
	v_add_co_ci_u32_e64 v7, null, 0, v7, s0
	v_cmp_le_i32_e32 vcc_lo, s20, v1
	v_add_nc_u32_e32 v13, 32, v13
	v_add_nc_u32_e32 v18, 0x80, v18
	s_or_b32 s12, vcc_lo, s12
	s_andn2_b32 exec_lo, exec_lo, s12
	s_cbranch_execz .LBB264_433
.LBB264_234:                            ; =>This Inner Loop Header: Depth=1
	v_sub_nc_u32_e32 v2, 0, v13
	v_max_i32_e32 v2, v13, v2
	v_mul_hi_u32 v8, v2, s16
	v_mul_lo_u32 v9, v8, s11
	v_sub_nc_u32_e32 v2, v2, v9
	v_add_nc_u32_e32 v9, 1, v8
	v_subrev_nc_u32_e32 v10, s11, v2
	v_cmp_le_u32_e32 vcc_lo, s11, v2
	v_cndmask_b32_e32 v8, v8, v9, vcc_lo
	v_cndmask_b32_e32 v2, v2, v10, vcc_lo
	v_ashrrev_i32_e32 v9, 31, v13
	v_add_nc_u32_e32 v10, 1, v8
	v_cmp_le_u32_e32 vcc_lo, s11, v2
	v_xor_b32_e32 v9, s23, v9
	v_cndmask_b32_e32 v2, v8, v10, vcc_lo
	v_xor_b32_e32 v2, v2, v9
	v_sub_nc_u32_e32 v2, v2, v9
	v_add_nc_u32_e32 v8, s19, v2
	v_cmp_lt_i32_e64 s0, s3, v2
	v_sub_nc_u32_e32 v9, 0, v8
	v_max_i32_e32 v9, v8, v9
	v_ashrrev_i32_e32 v8, 31, v8
	v_mul_hi_u32 v10, v9, v23
	v_mul_lo_u32 v10, v10, s6
	v_sub_nc_u32_e32 v9, v9, v10
	v_subrev_nc_u32_e32 v10, s6, v9
	v_cmp_le_u32_e32 vcc_lo, s6, v9
	v_cndmask_b32_e32 v9, v9, v10, vcc_lo
	v_subrev_nc_u32_e32 v10, s6, v9
	v_cmp_le_u32_e32 vcc_lo, s6, v9
	v_cndmask_b32_e32 v9, v9, v10, vcc_lo
	v_xor_b32_e32 v9, v9, v8
	v_sub_nc_u32_e32 v8, v9, v8
	v_cmp_eq_u32_e32 vcc_lo, 0, v8
	s_or_b32 s0, vcc_lo, s0
	s_and_saveexec_b32 s13, s0
	s_cbranch_execz .LBB264_233
; %bb.235:                              ;   in Loop: Header=BB264_234 Depth=1
	global_load_dword v2, v[6:7], off
	ds_read2_b64 v[24:27], v18 offset1:1
	ds_read2_b64 v[36:39], v18 offset0:2 offset1:3
	s_waitcnt lgkmcnt(1)
	;;#ASMSTART
	v_cvt_f16_f32 v31, v24;

	;;#ASMEND
	;;#ASMSTART
	v_cvt_f16_f32 v32, v25;

	;;#ASMEND
	;; [unrolled: 4-line block ×4, first 2 shown]
	s_waitcnt lgkmcnt(0)
	;;#ASMSTART
	v_cvt_f16_f32 v36, v36;

	;;#ASMEND
	;;#ASMSTART
	v_cvt_f16_f32 v34, v37;

	;;#ASMEND
	;;#ASMSTART
	v_cvt_f16_f32 v38, v38;

	;;#ASMEND
	;;#ASMSTART
	v_cvt_f16_f32 v37, v39;

	;;#ASMEND
	v_mov_b32_e32 v25, 0
	v_mov_b32_e32 v26, 0
	global_load_dword v24, v25, s[14:15]
	s_waitcnt vmcnt(1)
	v_mad_i64_i32 v[8:9], null, v2, s9, v[4:5]
	global_load_dwordx2 v[10:11], v[8:9], off
	s_waitcnt vmcnt(0)
	v_cmp_ne_u16_sdwa s17, v10, v3 src0_sel:BYTE_0 src1_sel:DWORD
	s_and_saveexec_b32 s0, s17
	s_cbranch_execz .LBB264_243
; %bb.236:                              ;   in Loop: Header=BB264_234 Depth=1
	v_cmp_ne_u16_sdwa s18, v10, v19 src0_sel:BYTE_0 src1_sel:DWORD
	v_mov_b32_e32 v26, 0x8000
	s_and_saveexec_b32 s17, s18
	s_cbranch_execz .LBB264_242
; %bb.237:                              ;   in Loop: Header=BB264_234 Depth=1
	v_and_b32_e32 v27, 0x7f, v10
	v_mov_b32_e32 v26, 0x7c01
	s_mov_b32 s18, exec_lo
	v_cmpx_ne_u32_e32 0x7f, v27
	s_cbranch_execz .LBB264_241
; %bb.238:                              ;   in Loop: Header=BB264_234 Depth=1
	v_and_b32_e32 v2, 7, v10
	v_lshrrev_b32_e32 v26, 3, v27
	s_mov_b32 s21, exec_lo
	v_cmpx_gt_u32_e32 8, v27
; %bb.239:                              ;   in Loop: Header=BB264_234 Depth=1
	v_ffbh_u32_e32 v2, v2
	v_min_u32_e32 v2, 32, v2
	v_subrev_nc_u32_e32 v26, 28, v2
	v_lshlrev_b64 v[27:28], v26, v[10:11]
	v_sub_nc_u32_e32 v26, 29, v2
	v_and_b32_e32 v2, 7, v27
; %bb.240:                              ;   in Loop: Header=BB264_234 Depth=1
	s_or_b32 exec_lo, exec_lo, s21
	v_lshlrev_b32_e32 v27, 8, v10
	v_lshl_add_u32 v26, v26, 10, 0x2000
	v_lshlrev_b32_e32 v2, 7, v2
	v_and_b32_e32 v27, 0x8000, v27
	v_and_b32_e32 v26, 0xfc00, v26
	v_or3_b32 v26, v27, v26, v2
.LBB264_241:                            ;   in Loop: Header=BB264_234 Depth=1
	s_or_b32 exec_lo, exec_lo, s18
.LBB264_242:                            ;   in Loop: Header=BB264_234 Depth=1
	s_or_b32 exec_lo, exec_lo, s17
.LBB264_243:                            ;   in Loop: Header=BB264_234 Depth=1
	s_or_b32 exec_lo, exec_lo, s0
	v_lshrrev_b16 v2, 8, v10
	s_mov_b32 s0, exec_lo
	v_cmpx_ne_u16_e32 0, v2
	s_cbranch_execz .LBB264_251
; %bb.244:                              ;   in Loop: Header=BB264_234 Depth=1
	v_bfrev_b32_e32 v25, 1
	s_mov_b32 s17, exec_lo
	v_cmpx_ne_u16_e32 0x80, v2
	s_cbranch_execz .LBB264_250
; %bb.245:                              ;   in Loop: Header=BB264_234 Depth=1
	v_and_b32_sdwa v28, v2, v20 dst_sel:DWORD dst_unused:UNUSED_PAD src0_sel:WORD_0 src1_sel:DWORD
	v_mov_b32_e32 v25, 0x7c010000
	s_mov_b32 s18, exec_lo
	v_cmpx_ne_u32_e32 0x7f, v28
	s_cbranch_execz .LBB264_249
; %bb.246:                              ;   in Loop: Header=BB264_234 Depth=1
	v_and_b32_sdwa v25, v2, v21 dst_sel:DWORD dst_unused:UNUSED_PAD src0_sel:WORD_0 src1_sel:DWORD
	v_lshrrev_b32_e32 v27, 3, v28
	s_mov_b32 s21, exec_lo
	v_cmpx_gt_u32_e32 8, v28
; %bb.247:                              ;   in Loop: Header=BB264_234 Depth=1
	v_ffbh_u32_e32 v25, v25
	v_min_u32_e32 v25, 32, v25
	v_subrev_nc_u32_e32 v27, 28, v25
	v_lshlrev_b64 v[28:29], v27, v[2:3]
	v_sub_nc_u32_e32 v27, 29, v25
	v_and_b32_e32 v25, 7, v28
; %bb.248:                              ;   in Loop: Header=BB264_234 Depth=1
	s_or_b32 exec_lo, exec_lo, s21
	v_lshlrev_b32_sdwa v2, v22, v2 dst_sel:DWORD dst_unused:UNUSED_PAD src0_sel:DWORD src1_sel:WORD_0
	v_lshl_add_u32 v27, v27, 10, 0x2000
	v_lshlrev_b32_e32 v25, 23, v25
	v_and_or_b32 v2, 0x8000, v2, v27
	v_lshl_or_b32 v25, v2, 16, v25
.LBB264_249:                            ;   in Loop: Header=BB264_234 Depth=1
	s_or_b32 exec_lo, exec_lo, s18
.LBB264_250:                            ;   in Loop: Header=BB264_234 Depth=1
	s_or_b32 exec_lo, exec_lo, s17
.LBB264_251:                            ;   in Loop: Header=BB264_234 Depth=1
	s_or_b32 exec_lo, exec_lo, s0
	v_lshrrev_b32_e32 v2, 16, v10
	v_mov_b32_e32 v27, 0
	v_mov_b32_e32 v28, 0
	v_cmp_ne_u16_sdwa s17, v2, v3 src0_sel:BYTE_0 src1_sel:DWORD
	s_and_saveexec_b32 s0, s17
	s_cbranch_execz .LBB264_259
; %bb.252:                              ;   in Loop: Header=BB264_234 Depth=1
	v_cmp_ne_u16_sdwa s18, v2, v19 src0_sel:BYTE_0 src1_sel:DWORD
	v_mov_b32_e32 v28, 0x8000
	s_and_saveexec_b32 s17, s18
	s_cbranch_execz .LBB264_258
; %bb.253:                              ;   in Loop: Header=BB264_234 Depth=1
	v_bfe_u32 v30, v10, 16, 7
	v_mov_b32_e32 v28, 0x7c01
	s_mov_b32 s18, exec_lo
	v_cmpx_ne_u32_e32 0x7f, v30
	s_cbranch_execz .LBB264_257
; %bb.254:                              ;   in Loop: Header=BB264_234 Depth=1
	v_and_b32_e32 v28, 7, v2
	v_lshrrev_b32_e32 v29, 3, v30
	s_mov_b32 s21, exec_lo
	v_cmpx_gt_u32_e32 8, v30
; %bb.255:                              ;   in Loop: Header=BB264_234 Depth=1
	v_ffbh_u32_e32 v28, v28
	v_min_u32_e32 v30, 32, v28
	v_subrev_nc_u32_e32 v28, 28, v30
	v_lshlrev_b64 v[28:29], v28, v[2:3]
	v_sub_nc_u32_e32 v29, 29, v30
	v_and_b32_e32 v28, 7, v28
; %bb.256:                              ;   in Loop: Header=BB264_234 Depth=1
	s_or_b32 exec_lo, exec_lo, s21
	v_lshlrev_b32_e32 v2, 8, v2
	v_lshl_add_u32 v29, v29, 10, 0x2000
	v_lshlrev_b32_e32 v28, 7, v28
	v_and_b32_e32 v2, 0x8000, v2
	v_and_b32_e32 v29, 0xfc00, v29
	v_or3_b32 v28, v2, v29, v28
.LBB264_257:                            ;   in Loop: Header=BB264_234 Depth=1
	s_or_b32 exec_lo, exec_lo, s18
.LBB264_258:                            ;   in Loop: Header=BB264_234 Depth=1
	s_or_b32 exec_lo, exec_lo, s17
.LBB264_259:                            ;   in Loop: Header=BB264_234 Depth=1
	s_or_b32 exec_lo, exec_lo, s0
	s_mov_b32 s0, exec_lo
	v_cmpx_lt_u32_e32 0xffffff, v10
	s_cbranch_execz .LBB264_267
; %bb.260:                              ;   in Loop: Header=BB264_234 Depth=1
	v_lshrrev_b32_e32 v2, 24, v10
	v_bfrev_b32_e32 v27, 1
	s_mov_b32 s17, exec_lo
	v_cmpx_ne_u32_e32 0x80, v2
	s_cbranch_execz .LBB264_266
; %bb.261:                              ;   in Loop: Header=BB264_234 Depth=1
	v_and_b32_e32 v30, 0x7f, v2
	v_mov_b32_e32 v27, 0x7c010000
	s_mov_b32 s18, exec_lo
	v_cmpx_ne_u32_e32 0x7f, v30
	s_cbranch_execz .LBB264_265
; %bb.262:                              ;   in Loop: Header=BB264_234 Depth=1
	v_and_b32_e32 v27, 7, v2
	v_lshrrev_b32_e32 v29, 3, v30
	s_mov_b32 s21, exec_lo
	v_cmpx_gt_u32_e32 8, v30
; %bb.263:                              ;   in Loop: Header=BB264_234 Depth=1
	v_ffbh_u32_e32 v27, v27
	v_min_u32_e32 v27, 32, v27
	v_subrev_nc_u32_e32 v29, 28, v27
	v_lshlrev_b64 v[39:40], v29, v[2:3]
	v_sub_nc_u32_e32 v29, 29, v27
	v_and_b32_e32 v27, 7, v39
; %bb.264:                              ;   in Loop: Header=BB264_234 Depth=1
	s_or_b32 exec_lo, exec_lo, s21
	v_lshlrev_b32_e32 v2, 8, v2
	v_lshl_add_u32 v29, v29, 10, 0x2000
	v_lshlrev_b32_e32 v27, 23, v27
	v_and_or_b32 v2, 0x8000, v2, v29
	v_lshl_or_b32 v27, v2, 16, v27
.LBB264_265:                            ;   in Loop: Header=BB264_234 Depth=1
	s_or_b32 exec_lo, exec_lo, s18
.LBB264_266:                            ;   in Loop: Header=BB264_234 Depth=1
	s_or_b32 exec_lo, exec_lo, s17
.LBB264_267:                            ;   in Loop: Header=BB264_234 Depth=1
	s_or_b32 exec_lo, exec_lo, s0
	v_mov_b32_e32 v2, v11
	v_cmp_ne_u16_sdwa s17, v11, v3 src0_sel:BYTE_0 src1_sel:DWORD
	v_mov_b32_e32 v29, 0
	v_mov_b32_e32 v30, 0
	s_and_saveexec_b32 s0, s17
	s_cbranch_execz .LBB264_275
; %bb.268:                              ;   in Loop: Header=BB264_234 Depth=1
	v_cmp_ne_u16_sdwa s18, v11, v19 src0_sel:BYTE_0 src1_sel:DWORD
	v_mov_b32_e32 v30, 0x8000
	s_and_saveexec_b32 s17, s18
	s_cbranch_execz .LBB264_274
; %bb.269:                              ;   in Loop: Header=BB264_234 Depth=1
	v_and_b32_e32 v40, 0x7f, v11
	v_mov_b32_e32 v30, 0x7c01
	s_mov_b32 s18, exec_lo
	v_cmpx_ne_u32_e32 0x7f, v40
	s_cbranch_execz .LBB264_273
; %bb.270:                              ;   in Loop: Header=BB264_234 Depth=1
	v_and_b32_e32 v30, 7, v11
	v_lshrrev_b32_e32 v39, 3, v40
	s_mov_b32 s21, exec_lo
	v_cmpx_gt_u32_e32 8, v40
; %bb.271:                              ;   in Loop: Header=BB264_234 Depth=1
	v_ffbh_u32_e32 v30, v30
	v_min_u32_e32 v30, 32, v30
	v_subrev_nc_u32_e32 v39, 28, v30
	v_lshlrev_b64 v[40:41], v39, v[2:3]
	v_sub_nc_u32_e32 v39, 29, v30
	v_and_b32_e32 v30, 7, v40
; %bb.272:                              ;   in Loop: Header=BB264_234 Depth=1
	s_or_b32 exec_lo, exec_lo, s21
	v_lshlrev_b32_e32 v40, 8, v11
	v_lshl_add_u32 v39, v39, 10, 0x2000
	v_lshlrev_b32_e32 v30, 7, v30
	v_and_b32_e32 v40, 0x8000, v40
	v_and_b32_e32 v39, 0xfc00, v39
	v_or3_b32 v30, v40, v39, v30
.LBB264_273:                            ;   in Loop: Header=BB264_234 Depth=1
	s_or_b32 exec_lo, exec_lo, s18
.LBB264_274:                            ;   in Loop: Header=BB264_234 Depth=1
	s_or_b32 exec_lo, exec_lo, s17
.LBB264_275:                            ;   in Loop: Header=BB264_234 Depth=1
	s_or_b32 exec_lo, exec_lo, s0
	v_lshrrev_b16 v2, 8, v2
	v_mov_b32_e32 v39, 0
	s_mov_b32 s0, exec_lo
	v_cmpx_ne_u16_e32 0, v2
	s_cbranch_execz .LBB264_283
; %bb.276:                              ;   in Loop: Header=BB264_234 Depth=1
	v_bfrev_b32_e32 v39, 1
	s_mov_b32 s17, exec_lo
	v_cmpx_ne_u16_e32 0x80, v2
	s_cbranch_execz .LBB264_282
; %bb.277:                              ;   in Loop: Header=BB264_234 Depth=1
	v_and_b32_sdwa v41, v2, v20 dst_sel:DWORD dst_unused:UNUSED_PAD src0_sel:WORD_0 src1_sel:DWORD
	v_mov_b32_e32 v39, 0x7c010000
	s_mov_b32 s18, exec_lo
	v_cmpx_ne_u32_e32 0x7f, v41
	s_cbranch_execz .LBB264_281
; %bb.278:                              ;   in Loop: Header=BB264_234 Depth=1
	v_and_b32_sdwa v39, v2, v21 dst_sel:DWORD dst_unused:UNUSED_PAD src0_sel:WORD_0 src1_sel:DWORD
	v_lshrrev_b32_e32 v40, 3, v41
	s_mov_b32 s21, exec_lo
	v_cmpx_gt_u32_e32 8, v41
; %bb.279:                              ;   in Loop: Header=BB264_234 Depth=1
	v_ffbh_u32_e32 v39, v39
	v_min_u32_e32 v41, 32, v39
	v_subrev_nc_u32_e32 v39, 28, v41
	v_lshlrev_b64 v[39:40], v39, v[2:3]
	v_sub_nc_u32_e32 v40, 29, v41
	v_and_b32_e32 v39, 7, v39
; %bb.280:                              ;   in Loop: Header=BB264_234 Depth=1
	s_or_b32 exec_lo, exec_lo, s21
	v_lshlrev_b32_sdwa v2, v22, v2 dst_sel:DWORD dst_unused:UNUSED_PAD src0_sel:DWORD src1_sel:WORD_0
	v_lshl_add_u32 v40, v40, 10, 0x2000
	v_lshlrev_b32_e32 v39, 23, v39
	v_and_or_b32 v2, 0x8000, v2, v40
	v_lshl_or_b32 v39, v2, 16, v39
.LBB264_281:                            ;   in Loop: Header=BB264_234 Depth=1
	s_or_b32 exec_lo, exec_lo, s18
.LBB264_282:                            ;   in Loop: Header=BB264_234 Depth=1
	s_or_b32 exec_lo, exec_lo, s17
.LBB264_283:                            ;   in Loop: Header=BB264_234 Depth=1
	s_or_b32 exec_lo, exec_lo, s0
	v_lshrrev_b32_e32 v2, 16, v11
	v_cmp_ne_u16_sdwa s17, v2, v3 src0_sel:BYTE_0 src1_sel:DWORD
	s_and_saveexec_b32 s0, s17
	s_cbranch_execz .LBB264_291
; %bb.284:                              ;   in Loop: Header=BB264_234 Depth=1
	v_cmp_ne_u16_sdwa s18, v2, v19 src0_sel:BYTE_0 src1_sel:DWORD
	v_mov_b32_e32 v29, 0x8000
	s_and_saveexec_b32 s17, s18
	s_cbranch_execz .LBB264_290
; %bb.285:                              ;   in Loop: Header=BB264_234 Depth=1
	v_bfe_u32 v41, v11, 16, 7
	v_mov_b32_e32 v29, 0x7c01
	s_mov_b32 s18, exec_lo
	v_cmpx_ne_u32_e32 0x7f, v41
	s_cbranch_execz .LBB264_289
; %bb.286:                              ;   in Loop: Header=BB264_234 Depth=1
	v_and_b32_e32 v29, 7, v2
	v_lshrrev_b32_e32 v40, 3, v41
	s_mov_b32 s21, exec_lo
	v_cmpx_gt_u32_e32 8, v41
; %bb.287:                              ;   in Loop: Header=BB264_234 Depth=1
	v_ffbh_u32_e32 v29, v29
	v_min_u32_e32 v29, 32, v29
	v_subrev_nc_u32_e32 v40, 28, v29
	v_lshlrev_b64 v[41:42], v40, v[2:3]
	v_sub_nc_u32_e32 v40, 29, v29
	v_and_b32_e32 v29, 7, v41
; %bb.288:                              ;   in Loop: Header=BB264_234 Depth=1
	s_or_b32 exec_lo, exec_lo, s21
	v_lshlrev_b32_e32 v2, 8, v2
	v_lshl_add_u32 v40, v40, 10, 0x2000
	v_lshlrev_b32_e32 v29, 7, v29
	v_and_b32_e32 v2, 0x8000, v2
	v_and_b32_e32 v40, 0xfc00, v40
	v_or3_b32 v29, v2, v40, v29
.LBB264_289:                            ;   in Loop: Header=BB264_234 Depth=1
	s_or_b32 exec_lo, exec_lo, s18
.LBB264_290:                            ;   in Loop: Header=BB264_234 Depth=1
	s_or_b32 exec_lo, exec_lo, s17
.LBB264_291:                            ;   in Loop: Header=BB264_234 Depth=1
	s_or_b32 exec_lo, exec_lo, s0
	v_cmp_lt_u64_e32 vcc_lo, s[4:5], v[10:11]
	v_mov_b32_e32 v10, 0
	s_and_saveexec_b32 s0, vcc_lo
	s_cbranch_execz .LBB264_299
; %bb.292:                              ;   in Loop: Header=BB264_234 Depth=1
	v_lshrrev_b32_e32 v2, 24, v11
	v_bfrev_b32_e32 v10, 1
	s_mov_b32 s17, exec_lo
	v_cmpx_ne_u32_e32 0x80, v2
	s_cbranch_execz .LBB264_298
; %bb.293:                              ;   in Loop: Header=BB264_234 Depth=1
	v_and_b32_e32 v40, 0x7f, v2
	v_mov_b32_e32 v10, 0x7c010000
	s_mov_b32 s18, exec_lo
	v_cmpx_ne_u32_e32 0x7f, v40
	s_cbranch_execz .LBB264_297
; %bb.294:                              ;   in Loop: Header=BB264_234 Depth=1
	v_and_b32_e32 v10, 7, v2
	v_lshrrev_b32_e32 v11, 3, v40
	s_mov_b32 s21, exec_lo
	v_cmpx_gt_u32_e32 8, v40
; %bb.295:                              ;   in Loop: Header=BB264_234 Depth=1
	v_ffbh_u32_e32 v10, v10
	v_min_u32_e32 v40, 32, v10
	v_subrev_nc_u32_e32 v10, 28, v40
	v_lshlrev_b64 v[10:11], v10, v[2:3]
	v_sub_nc_u32_e32 v11, 29, v40
	v_and_b32_e32 v10, 7, v10
; %bb.296:                              ;   in Loop: Header=BB264_234 Depth=1
	s_or_b32 exec_lo, exec_lo, s21
	v_lshlrev_b32_e32 v2, 8, v2
	v_lshl_add_u32 v11, v11, 10, 0x2000
	v_lshlrev_b32_e32 v10, 23, v10
	v_and_or_b32 v2, 0x8000, v2, v11
	v_lshl_or_b32 v10, v2, 16, v10
.LBB264_297:                            ;   in Loop: Header=BB264_234 Depth=1
	s_or_b32 exec_lo, exec_lo, s18
.LBB264_298:                            ;   in Loop: Header=BB264_234 Depth=1
	s_or_b32 exec_lo, exec_lo, s17
.LBB264_299:                            ;   in Loop: Header=BB264_234 Depth=1
	s_or_b32 exec_lo, exec_lo, s0
	v_or_b32_e32 v2, v27, v28
	v_fma_mixlo_f16 v11, v24, v27, 0 op_sel:[0,1,0] op_sel_hi:[0,1,0]
	v_or_b32_e32 v26, v25, v26
	v_fma_mixlo_f16 v25, v24, v25, 0 op_sel:[0,1,0] op_sel_hi:[0,1,0]
	v_or_b32_e32 v27, v39, v30
	v_fma_mixlo_f16 v2, v24, v2, 0 op_sel_hi:[0,1,0]
	v_or_b32_e32 v28, v10, v29
	v_fma_mixlo_f16 v10, v24, v10, 0 op_sel:[0,1,0] op_sel_hi:[0,1,0]
	v_lshlrev_b32_e32 v45, 16, v25
	v_fma_mixlo_f16 v25, v24, v26, 0 op_sel_hi:[0,1,0]
	v_and_b32_e32 v42, 0xffff, v2
	v_fma_mixlo_f16 v2, v24, v39, 0 op_sel:[0,1,0] op_sel_hi:[0,1,0]
	v_fma_mixlo_f16 v26, v24, v27, 0 op_sel_hi:[0,1,0]
	v_fma_mixlo_f16 v24, v24, v28, 0 op_sel_hi:[0,1,0]
	v_lshlrev_b32_e32 v11, 16, v11
	v_and_b32_e32 v47, 0xffff, v25
	v_lshlrev_b32_e32 v43, 16, v2
	v_and_b32_e32 v46, 0xffff, v26
	;; [unrolled: 2-line block ×3, first 2 shown]
	v_cmp_eq_u32_e32 vcc_lo, s40, v1
	v_or_b32_e32 v2, v11, v42
	v_or_b32_e32 v10, v45, v47
	;; [unrolled: 1-line block ×4, first 2 shown]
	v_add_nc_u32_e32 v30, 1, v13
	v_add_nc_u32_e32 v29, 2, v13
	;; [unrolled: 1-line block ×7, first 2 shown]
	s_and_saveexec_b32 s17, vcc_lo
	s_cbranch_execz .LBB264_301
; %bb.300:                              ;   in Loop: Header=BB264_234 Depth=1
	v_cmp_gt_i32_e64 s0, s31, v13
	v_cndmask_b32_e64 v2, 0, v47, s0
	v_cmp_gt_i32_e64 s0, s31, v30
	v_cndmask_b32_e64 v10, 0, v45, s0
	v_cmp_gt_i32_e64 s0, s31, v29
	v_or_b32_e32 v10, v10, v2
	v_cndmask_b32_e64 v39, 0, v42, s0
	v_cmp_gt_i32_e64 s0, s31, v28
	v_cndmask_b32_e64 v11, 0, v11, s0
	v_cmp_gt_i32_e64 s0, s31, v27
	v_or_b32_e32 v2, v11, v39
	;; [unrolled: 5-line block ×3, first 2 shown]
	v_cndmask_b32_e64 v43, 0, v44, s0
	v_cmp_gt_i32_e64 s0, s31, v24
	v_cndmask_b32_e64 v40, 0, v40, s0
	v_or_b32_e32 v41, v40, v43
.LBB264_301:                            ;   in Loop: Header=BB264_234 Depth=1
	s_or_b32 exec_lo, exec_lo, s17
	v_and_b32_e32 v11, 0xffff, v31
	v_and_b32_e32 v31, 0xffff, v35
	;; [unrolled: 1-line block ×4, first 2 shown]
	v_lshl_or_b32 v36, v32, 16, v11
	v_lshl_or_b32 v35, v33, 16, v31
	;;#ASMSTART
	v_pk_mul_f16 v10, v36, v10;

	;;#ASMEND
	;;#ASMSTART
	v_pk_mul_f16 v2, v35, v2;

	;;#ASMEND
	v_lshl_or_b32 v34, v34, 16, v40
	v_lshl_or_b32 v33, v37, 16, v38
	;;#ASMSTART
	v_pk_mul_f16 v11, v34, v39;

	;;#ASMEND
	;;#ASMSTART
	v_pk_mul_f16 v31, v33, v41;

	;;#ASMEND
	;;#ASMSTART
	v_pk_add_f16 v2, v10, v2;

	;;#ASMEND
	;;#ASMSTART
	v_pk_add_f16 v2, v2, v11;
	;; [unrolled: 4-line block ×3, first 2 shown]

	;;#ASMEND
	v_and_b32_e32 v10, 0xffff, v2
	v_lshrrev_b32_e32 v2, 16, v2
	;;#ASMSTART
	v_cvt_f32_f16 v31, v10;
	;;#ASMEND
	;;#ASMSTART
	v_cvt_f32_f16 v32, v2;
	;;#ASMEND
	global_load_dwordx2 v[10:11], v[8:9], off offset:256
	v_mov_b32_e32 v38, 0
	v_mov_b32_e32 v39, 0
	global_load_dword v37, v38, s[14:15]
	s_waitcnt vmcnt(1)
	v_cmp_ne_u16_sdwa s0, v10, v3 src0_sel:BYTE_0 src1_sel:DWORD
	s_and_saveexec_b32 s17, s0
	s_cbranch_execz .LBB264_309
; %bb.302:                              ;   in Loop: Header=BB264_234 Depth=1
	v_cmp_ne_u16_sdwa s0, v10, v19 src0_sel:BYTE_0 src1_sel:DWORD
	v_mov_b32_e32 v39, 0x8000
	s_and_saveexec_b32 s18, s0
	s_cbranch_execz .LBB264_308
; %bb.303:                              ;   in Loop: Header=BB264_234 Depth=1
	v_and_b32_e32 v40, 0x7f, v10
	v_mov_b32_e32 v39, 0x7c01
	s_mov_b32 s21, exec_lo
	v_cmpx_ne_u32_e32 0x7f, v40
	s_cbranch_execz .LBB264_307
; %bb.304:                              ;   in Loop: Header=BB264_234 Depth=1
	v_and_b32_e32 v2, 7, v10
	v_lshrrev_b32_e32 v39, 3, v40
	s_mov_b32 s22, exec_lo
	v_cmpx_gt_u32_e32 8, v40
; %bb.305:                              ;   in Loop: Header=BB264_234 Depth=1
	v_ffbh_u32_e32 v2, v2
	v_min_u32_e32 v2, 32, v2
	v_subrev_nc_u32_e32 v39, 28, v2
	v_lshlrev_b64 v[40:41], v39, v[10:11]
	v_sub_nc_u32_e32 v39, 29, v2
	v_and_b32_e32 v2, 7, v40
; %bb.306:                              ;   in Loop: Header=BB264_234 Depth=1
	s_or_b32 exec_lo, exec_lo, s22
	v_lshlrev_b32_e32 v40, 8, v10
	v_lshl_add_u32 v39, v39, 10, 0x2000
	v_lshlrev_b32_e32 v2, 7, v2
	v_and_b32_e32 v40, 0x8000, v40
	v_and_b32_e32 v39, 0xfc00, v39
	v_or3_b32 v39, v40, v39, v2
.LBB264_307:                            ;   in Loop: Header=BB264_234 Depth=1
	s_or_b32 exec_lo, exec_lo, s21
.LBB264_308:                            ;   in Loop: Header=BB264_234 Depth=1
	s_or_b32 exec_lo, exec_lo, s18
.LBB264_309:                            ;   in Loop: Header=BB264_234 Depth=1
	s_or_b32 exec_lo, exec_lo, s17
	v_lshrrev_b16 v2, 8, v10
	s_mov_b32 s17, exec_lo
	v_cmpx_ne_u16_e32 0, v2
	s_cbranch_execz .LBB264_317
; %bb.310:                              ;   in Loop: Header=BB264_234 Depth=1
	v_bfrev_b32_e32 v38, 1
	s_mov_b32 s18, exec_lo
	v_cmpx_ne_u16_e32 0x80, v2
	s_cbranch_execz .LBB264_316
; %bb.311:                              ;   in Loop: Header=BB264_234 Depth=1
	v_and_b32_sdwa v41, v2, v20 dst_sel:DWORD dst_unused:UNUSED_PAD src0_sel:WORD_0 src1_sel:DWORD
	v_mov_b32_e32 v38, 0x7c010000
	s_mov_b32 s21, exec_lo
	v_cmpx_ne_u32_e32 0x7f, v41
	s_cbranch_execz .LBB264_315
; %bb.312:                              ;   in Loop: Header=BB264_234 Depth=1
	v_and_b32_sdwa v38, v2, v21 dst_sel:DWORD dst_unused:UNUSED_PAD src0_sel:WORD_0 src1_sel:DWORD
	v_lshrrev_b32_e32 v40, 3, v41
	s_mov_b32 s22, exec_lo
	v_cmpx_gt_u32_e32 8, v41
; %bb.313:                              ;   in Loop: Header=BB264_234 Depth=1
	v_ffbh_u32_e32 v38, v38
	v_min_u32_e32 v38, 32, v38
	v_subrev_nc_u32_e32 v40, 28, v38
	v_lshlrev_b64 v[41:42], v40, v[2:3]
	v_sub_nc_u32_e32 v40, 29, v38
	v_and_b32_e32 v38, 7, v41
; %bb.314:                              ;   in Loop: Header=BB264_234 Depth=1
	s_or_b32 exec_lo, exec_lo, s22
	v_lshlrev_b32_sdwa v2, v22, v2 dst_sel:DWORD dst_unused:UNUSED_PAD src0_sel:DWORD src1_sel:WORD_0
	v_lshl_add_u32 v40, v40, 10, 0x2000
	v_lshlrev_b32_e32 v38, 23, v38
	v_and_or_b32 v2, 0x8000, v2, v40
	v_lshl_or_b32 v38, v2, 16, v38
.LBB264_315:                            ;   in Loop: Header=BB264_234 Depth=1
	s_or_b32 exec_lo, exec_lo, s21
.LBB264_316:                            ;   in Loop: Header=BB264_234 Depth=1
	s_or_b32 exec_lo, exec_lo, s18
.LBB264_317:                            ;   in Loop: Header=BB264_234 Depth=1
	s_or_b32 exec_lo, exec_lo, s17
	v_lshrrev_b32_e32 v2, 16, v10
	v_mov_b32_e32 v40, 0
	v_mov_b32_e32 v41, 0
	v_cmp_ne_u16_sdwa s0, v2, v3 src0_sel:BYTE_0 src1_sel:DWORD
	s_and_saveexec_b32 s17, s0
	s_cbranch_execz .LBB264_325
; %bb.318:                              ;   in Loop: Header=BB264_234 Depth=1
	v_cmp_ne_u16_sdwa s0, v2, v19 src0_sel:BYTE_0 src1_sel:DWORD
	v_mov_b32_e32 v41, 0x8000
	s_and_saveexec_b32 s18, s0
	s_cbranch_execz .LBB264_324
; %bb.319:                              ;   in Loop: Header=BB264_234 Depth=1
	v_bfe_u32 v43, v10, 16, 7
	v_mov_b32_e32 v41, 0x7c01
	s_mov_b32 s21, exec_lo
	v_cmpx_ne_u32_e32 0x7f, v43
	s_cbranch_execz .LBB264_323
; %bb.320:                              ;   in Loop: Header=BB264_234 Depth=1
	v_and_b32_e32 v41, 7, v2
	v_lshrrev_b32_e32 v42, 3, v43
	s_mov_b32 s22, exec_lo
	v_cmpx_gt_u32_e32 8, v43
; %bb.321:                              ;   in Loop: Header=BB264_234 Depth=1
	v_ffbh_u32_e32 v41, v41
	v_min_u32_e32 v43, 32, v41
	v_subrev_nc_u32_e32 v41, 28, v43
	v_lshlrev_b64 v[41:42], v41, v[2:3]
	v_sub_nc_u32_e32 v42, 29, v43
	v_and_b32_e32 v41, 7, v41
; %bb.322:                              ;   in Loop: Header=BB264_234 Depth=1
	s_or_b32 exec_lo, exec_lo, s22
	v_lshlrev_b32_e32 v2, 8, v2
	v_lshl_add_u32 v42, v42, 10, 0x2000
	v_lshlrev_b32_e32 v41, 7, v41
	v_and_b32_e32 v2, 0x8000, v2
	v_and_b32_e32 v42, 0xfc00, v42
	v_or3_b32 v41, v2, v42, v41
.LBB264_323:                            ;   in Loop: Header=BB264_234 Depth=1
	s_or_b32 exec_lo, exec_lo, s21
.LBB264_324:                            ;   in Loop: Header=BB264_234 Depth=1
	s_or_b32 exec_lo, exec_lo, s18
.LBB264_325:                            ;   in Loop: Header=BB264_234 Depth=1
	s_or_b32 exec_lo, exec_lo, s17
	s_mov_b32 s17, exec_lo
	v_cmpx_lt_u32_e32 0xffffff, v10
	s_cbranch_execz .LBB264_333
; %bb.326:                              ;   in Loop: Header=BB264_234 Depth=1
	v_lshrrev_b32_e32 v2, 24, v10
	v_bfrev_b32_e32 v40, 1
	s_mov_b32 s18, exec_lo
	v_cmpx_ne_u32_e32 0x80, v2
	s_cbranch_execz .LBB264_332
; %bb.327:                              ;   in Loop: Header=BB264_234 Depth=1
	v_and_b32_e32 v43, 0x7f, v2
	v_mov_b32_e32 v40, 0x7c010000
	s_mov_b32 s21, exec_lo
	v_cmpx_ne_u32_e32 0x7f, v43
	s_cbranch_execz .LBB264_331
; %bb.328:                              ;   in Loop: Header=BB264_234 Depth=1
	v_and_b32_e32 v40, 7, v2
	v_lshrrev_b32_e32 v42, 3, v43
	s_mov_b32 s22, exec_lo
	v_cmpx_gt_u32_e32 8, v43
; %bb.329:                              ;   in Loop: Header=BB264_234 Depth=1
	v_ffbh_u32_e32 v40, v40
	v_min_u32_e32 v40, 32, v40
	v_subrev_nc_u32_e32 v42, 28, v40
	v_lshlrev_b64 v[43:44], v42, v[2:3]
	v_sub_nc_u32_e32 v42, 29, v40
	v_and_b32_e32 v40, 7, v43
; %bb.330:                              ;   in Loop: Header=BB264_234 Depth=1
	s_or_b32 exec_lo, exec_lo, s22
	v_lshlrev_b32_e32 v2, 8, v2
	v_lshl_add_u32 v42, v42, 10, 0x2000
	v_lshlrev_b32_e32 v40, 23, v40
	v_and_or_b32 v2, 0x8000, v2, v42
	v_lshl_or_b32 v40, v2, 16, v40
.LBB264_331:                            ;   in Loop: Header=BB264_234 Depth=1
	s_or_b32 exec_lo, exec_lo, s21
.LBB264_332:                            ;   in Loop: Header=BB264_234 Depth=1
	s_or_b32 exec_lo, exec_lo, s18
.LBB264_333:                            ;   in Loop: Header=BB264_234 Depth=1
	s_or_b32 exec_lo, exec_lo, s17
	v_mov_b32_e32 v2, v11
	v_cmp_ne_u16_sdwa s0, v11, v3 src0_sel:BYTE_0 src1_sel:DWORD
	v_mov_b32_e32 v42, 0
	v_mov_b32_e32 v43, 0
	s_and_saveexec_b32 s17, s0
	s_cbranch_execz .LBB264_341
; %bb.334:                              ;   in Loop: Header=BB264_234 Depth=1
	v_cmp_ne_u16_sdwa s0, v11, v19 src0_sel:BYTE_0 src1_sel:DWORD
	v_mov_b32_e32 v43, 0x8000
	s_and_saveexec_b32 s18, s0
	s_cbranch_execz .LBB264_340
; %bb.335:                              ;   in Loop: Header=BB264_234 Depth=1
	v_and_b32_e32 v45, 0x7f, v11
	v_mov_b32_e32 v43, 0x7c01
	s_mov_b32 s21, exec_lo
	v_cmpx_ne_u32_e32 0x7f, v45
	s_cbranch_execz .LBB264_339
; %bb.336:                              ;   in Loop: Header=BB264_234 Depth=1
	v_and_b32_e32 v43, 7, v11
	v_lshrrev_b32_e32 v44, 3, v45
	s_mov_b32 s22, exec_lo
	v_cmpx_gt_u32_e32 8, v45
; %bb.337:                              ;   in Loop: Header=BB264_234 Depth=1
	v_ffbh_u32_e32 v43, v43
	v_min_u32_e32 v45, 32, v43
	v_subrev_nc_u32_e32 v43, 28, v45
	v_lshlrev_b64 v[43:44], v43, v[2:3]
	v_sub_nc_u32_e32 v44, 29, v45
	v_and_b32_e32 v43, 7, v43
; %bb.338:                              ;   in Loop: Header=BB264_234 Depth=1
	s_or_b32 exec_lo, exec_lo, s22
	v_lshlrev_b32_e32 v45, 8, v11
	v_lshl_add_u32 v44, v44, 10, 0x2000
	v_lshlrev_b32_e32 v43, 7, v43
	v_and_b32_e32 v45, 0x8000, v45
	v_and_b32_e32 v44, 0xfc00, v44
	v_or3_b32 v43, v45, v44, v43
.LBB264_339:                            ;   in Loop: Header=BB264_234 Depth=1
	s_or_b32 exec_lo, exec_lo, s21
.LBB264_340:                            ;   in Loop: Header=BB264_234 Depth=1
	s_or_b32 exec_lo, exec_lo, s18
.LBB264_341:                            ;   in Loop: Header=BB264_234 Depth=1
	s_or_b32 exec_lo, exec_lo, s17
	v_lshrrev_b16 v2, 8, v2
	v_mov_b32_e32 v44, 0
	s_mov_b32 s17, exec_lo
	v_cmpx_ne_u16_e32 0, v2
	s_cbranch_execz .LBB264_349
; %bb.342:                              ;   in Loop: Header=BB264_234 Depth=1
	v_bfrev_b32_e32 v44, 1
	s_mov_b32 s18, exec_lo
	v_cmpx_ne_u16_e32 0x80, v2
	s_cbranch_execz .LBB264_348
; %bb.343:                              ;   in Loop: Header=BB264_234 Depth=1
	v_and_b32_sdwa v46, v2, v20 dst_sel:DWORD dst_unused:UNUSED_PAD src0_sel:WORD_0 src1_sel:DWORD
	v_mov_b32_e32 v44, 0x7c010000
	s_mov_b32 s21, exec_lo
	v_cmpx_ne_u32_e32 0x7f, v46
	s_cbranch_execz .LBB264_347
; %bb.344:                              ;   in Loop: Header=BB264_234 Depth=1
	v_and_b32_sdwa v44, v2, v21 dst_sel:DWORD dst_unused:UNUSED_PAD src0_sel:WORD_0 src1_sel:DWORD
	v_lshrrev_b32_e32 v45, 3, v46
	s_mov_b32 s22, exec_lo
	v_cmpx_gt_u32_e32 8, v46
; %bb.345:                              ;   in Loop: Header=BB264_234 Depth=1
	v_ffbh_u32_e32 v44, v44
	v_min_u32_e32 v46, 32, v44
	v_subrev_nc_u32_e32 v44, 28, v46
	v_lshlrev_b64 v[44:45], v44, v[2:3]
	v_sub_nc_u32_e32 v45, 29, v46
	v_and_b32_e32 v44, 7, v44
; %bb.346:                              ;   in Loop: Header=BB264_234 Depth=1
	s_or_b32 exec_lo, exec_lo, s22
	v_lshlrev_b32_sdwa v2, v22, v2 dst_sel:DWORD dst_unused:UNUSED_PAD src0_sel:DWORD src1_sel:WORD_0
	v_lshl_add_u32 v45, v45, 10, 0x2000
	v_lshlrev_b32_e32 v44, 23, v44
	v_and_or_b32 v2, 0x8000, v2, v45
	v_lshl_or_b32 v44, v2, 16, v44
.LBB264_347:                            ;   in Loop: Header=BB264_234 Depth=1
	s_or_b32 exec_lo, exec_lo, s21
.LBB264_348:                            ;   in Loop: Header=BB264_234 Depth=1
	s_or_b32 exec_lo, exec_lo, s18
.LBB264_349:                            ;   in Loop: Header=BB264_234 Depth=1
	s_or_b32 exec_lo, exec_lo, s17
	v_lshrrev_b32_e32 v2, 16, v11
	v_cmp_ne_u16_sdwa s0, v2, v3 src0_sel:BYTE_0 src1_sel:DWORD
	s_and_saveexec_b32 s17, s0
	s_cbranch_execz .LBB264_357
; %bb.350:                              ;   in Loop: Header=BB264_234 Depth=1
	v_cmp_ne_u16_sdwa s0, v2, v19 src0_sel:BYTE_0 src1_sel:DWORD
	v_mov_b32_e32 v42, 0x8000
	s_and_saveexec_b32 s18, s0
	s_cbranch_execz .LBB264_356
; %bb.351:                              ;   in Loop: Header=BB264_234 Depth=1
	v_bfe_u32 v46, v11, 16, 7
	v_mov_b32_e32 v42, 0x7c01
	s_mov_b32 s21, exec_lo
	v_cmpx_ne_u32_e32 0x7f, v46
	s_cbranch_execz .LBB264_355
; %bb.352:                              ;   in Loop: Header=BB264_234 Depth=1
	v_and_b32_e32 v42, 7, v2
	v_lshrrev_b32_e32 v45, 3, v46
	s_mov_b32 s22, exec_lo
	v_cmpx_gt_u32_e32 8, v46
; %bb.353:                              ;   in Loop: Header=BB264_234 Depth=1
	v_ffbh_u32_e32 v42, v42
	v_min_u32_e32 v42, 32, v42
	v_subrev_nc_u32_e32 v45, 28, v42
	v_lshlrev_b64 v[46:47], v45, v[2:3]
	v_sub_nc_u32_e32 v45, 29, v42
	v_and_b32_e32 v42, 7, v46
; %bb.354:                              ;   in Loop: Header=BB264_234 Depth=1
	s_or_b32 exec_lo, exec_lo, s22
	v_lshlrev_b32_e32 v2, 8, v2
	v_lshl_add_u32 v45, v45, 10, 0x2000
	v_lshlrev_b32_e32 v42, 7, v42
	v_and_b32_e32 v2, 0x8000, v2
	v_and_b32_e32 v45, 0xfc00, v45
	v_or3_b32 v42, v2, v45, v42
.LBB264_355:                            ;   in Loop: Header=BB264_234 Depth=1
	s_or_b32 exec_lo, exec_lo, s21
.LBB264_356:                            ;   in Loop: Header=BB264_234 Depth=1
	s_or_b32 exec_lo, exec_lo, s18
.LBB264_357:                            ;   in Loop: Header=BB264_234 Depth=1
	s_or_b32 exec_lo, exec_lo, s17
	v_cmp_lt_u64_e64 s0, s[4:5], v[10:11]
	v_mov_b32_e32 v10, 0
	s_and_saveexec_b32 s17, s0
	s_cbranch_execz .LBB264_365
; %bb.358:                              ;   in Loop: Header=BB264_234 Depth=1
	v_lshrrev_b32_e32 v2, 24, v11
	v_bfrev_b32_e32 v10, 1
	s_mov_b32 s18, exec_lo
	v_cmpx_ne_u32_e32 0x80, v2
	s_cbranch_execz .LBB264_364
; %bb.359:                              ;   in Loop: Header=BB264_234 Depth=1
	v_and_b32_e32 v45, 0x7f, v2
	v_mov_b32_e32 v10, 0x7c010000
	s_mov_b32 s21, exec_lo
	v_cmpx_ne_u32_e32 0x7f, v45
	s_cbranch_execz .LBB264_363
; %bb.360:                              ;   in Loop: Header=BB264_234 Depth=1
	v_and_b32_e32 v10, 7, v2
	v_lshrrev_b32_e32 v11, 3, v45
	s_mov_b32 s22, exec_lo
	v_cmpx_gt_u32_e32 8, v45
; %bb.361:                              ;   in Loop: Header=BB264_234 Depth=1
	v_ffbh_u32_e32 v10, v10
	v_min_u32_e32 v45, 32, v10
	v_subrev_nc_u32_e32 v10, 28, v45
	v_lshlrev_b64 v[10:11], v10, v[2:3]
	v_sub_nc_u32_e32 v11, 29, v45
	v_and_b32_e32 v10, 7, v10
; %bb.362:                              ;   in Loop: Header=BB264_234 Depth=1
	s_or_b32 exec_lo, exec_lo, s22
	v_lshlrev_b32_e32 v2, 8, v2
	v_lshl_add_u32 v11, v11, 10, 0x2000
	v_lshlrev_b32_e32 v10, 23, v10
	v_and_or_b32 v2, 0x8000, v2, v11
	v_lshl_or_b32 v10, v2, 16, v10
.LBB264_363:                            ;   in Loop: Header=BB264_234 Depth=1
	s_or_b32 exec_lo, exec_lo, s21
.LBB264_364:                            ;   in Loop: Header=BB264_234 Depth=1
	s_or_b32 exec_lo, exec_lo, s18
.LBB264_365:                            ;   in Loop: Header=BB264_234 Depth=1
	s_or_b32 exec_lo, exec_lo, s17
	v_or_b32_e32 v2, v40, v41
	s_waitcnt vmcnt(0)
	v_fma_mixlo_f16 v11, v37, v40, 0 op_sel:[0,1,0] op_sel_hi:[0,1,0]
	v_or_b32_e32 v40, v38, v39
	v_fma_mixlo_f16 v38, v37, v38, 0 op_sel:[0,1,0] op_sel_hi:[0,1,0]
	v_or_b32_e32 v41, v44, v43
	v_or_b32_e32 v42, v10, v42
	v_fma_mixlo_f16 v43, v37, v2, 0 op_sel_hi:[0,1,0]
	v_fma_mixlo_f16 v10, v37, v10, 0 op_sel:[0,1,0] op_sel_hi:[0,1,0]
	v_lshlrev_b32_e32 v39, 16, v38
	v_fma_mixlo_f16 v38, v37, v40, 0 op_sel_hi:[0,1,0]
	v_fma_mixlo_f16 v40, v37, v44, 0 op_sel:[0,1,0] op_sel_hi:[0,1,0]
	v_fma_mixlo_f16 v41, v37, v41, 0 op_sel_hi:[0,1,0]
	v_fma_mixlo_f16 v42, v37, v42, 0 op_sel_hi:[0,1,0]
	v_lshlrev_b32_e32 v2, 16, v11
	v_and_b32_e32 v11, 0xffff, v43
	v_and_b32_e32 v45, 0xffff, v38
	v_lshlrev_b32_e32 v37, 16, v40
	v_and_b32_e32 v41, 0xffff, v41
	v_lshlrev_b32_e32 v10, 16, v10
	v_and_b32_e32 v38, 0xffff, v42
	v_or_b32_e32 v40, v2, v11
	v_or_b32_e32 v44, v39, v45
	;; [unrolled: 1-line block ×4, first 2 shown]
	s_and_saveexec_b32 s17, vcc_lo
	s_cbranch_execz .LBB264_367
; %bb.366:                              ;   in Loop: Header=BB264_234 Depth=1
	v_cmp_gt_i32_e64 s0, s31, v13
	v_cndmask_b32_e64 v40, 0, v45, s0
	v_cmp_gt_i32_e64 s0, s31, v30
	v_cndmask_b32_e64 v39, 0, v39, s0
	v_cmp_gt_i32_e64 s0, s31, v29
	v_or_b32_e32 v44, v39, v40
	v_cndmask_b32_e64 v11, 0, v11, s0
	v_cmp_gt_i32_e64 s0, s31, v28
	v_cndmask_b32_e64 v2, 0, v2, s0
	v_cmp_gt_i32_e64 s0, s31, v27
	v_or_b32_e32 v40, v2, v11
	;; [unrolled: 5-line block ×3, first 2 shown]
	v_cndmask_b32_e64 v38, 0, v38, s0
	v_cmp_gt_i32_e64 s0, s31, v24
	v_cndmask_b32_e64 v10, 0, v10, s0
	v_or_b32_e32 v42, v10, v38
.LBB264_367:                            ;   in Loop: Header=BB264_234 Depth=1
	s_or_b32 exec_lo, exec_lo, s17
	;;#ASMSTART
	v_pk_mul_f16 v2, v36, v44;

	;;#ASMEND
	;;#ASMSTART
	v_pk_mul_f16 v10, v35, v40;

	;;#ASMEND
	;; [unrolled: 4-line block ×4, first 2 shown]
	;;#ASMSTART
	v_pk_add_f16 v2, v2, v10;

	;;#ASMEND
	;;#ASMSTART
	v_pk_add_f16 v2, v2, v11;

	;;#ASMEND
	;; [unrolled: 4-line block ×3, first 2 shown]
	v_and_b32_e32 v10, 0xffff, v2
	v_lshrrev_b32_e32 v2, 16, v2
	;;#ASMSTART
	v_cvt_f32_f16 v10, v10;
	;;#ASMEND
	;;#ASMSTART
	v_cvt_f32_f16 v11, v2;
	;;#ASMEND
	global_load_dwordx2 v[8:9], v[8:9], off offset:512
	v_mov_b32_e32 v38, 0
	v_mov_b32_e32 v39, 0
	global_load_dword v37, v38, s[14:15]
	s_waitcnt vmcnt(1)
	v_cmp_ne_u16_sdwa s0, v8, v3 src0_sel:BYTE_0 src1_sel:DWORD
	s_and_saveexec_b32 s17, s0
	s_cbranch_execz .LBB264_375
; %bb.368:                              ;   in Loop: Header=BB264_234 Depth=1
	v_cmp_ne_u16_sdwa s0, v8, v19 src0_sel:BYTE_0 src1_sel:DWORD
	v_mov_b32_e32 v39, 0x8000
	s_and_saveexec_b32 s18, s0
	s_cbranch_execz .LBB264_374
; %bb.369:                              ;   in Loop: Header=BB264_234 Depth=1
	v_and_b32_e32 v40, 0x7f, v8
	v_mov_b32_e32 v39, 0x7c01
	s_mov_b32 s21, exec_lo
	v_cmpx_ne_u32_e32 0x7f, v40
	s_cbranch_execz .LBB264_373
; %bb.370:                              ;   in Loop: Header=BB264_234 Depth=1
	v_and_b32_e32 v2, 7, v8
	v_lshrrev_b32_e32 v39, 3, v40
	s_mov_b32 s22, exec_lo
	v_cmpx_gt_u32_e32 8, v40
; %bb.371:                              ;   in Loop: Header=BB264_234 Depth=1
	v_ffbh_u32_e32 v2, v2
	v_min_u32_e32 v2, 32, v2
	v_subrev_nc_u32_e32 v39, 28, v2
	v_lshlrev_b64 v[40:41], v39, v[8:9]
	v_sub_nc_u32_e32 v39, 29, v2
	v_and_b32_e32 v2, 7, v40
; %bb.372:                              ;   in Loop: Header=BB264_234 Depth=1
	s_or_b32 exec_lo, exec_lo, s22
	v_lshlrev_b32_e32 v40, 8, v8
	v_lshl_add_u32 v39, v39, 10, 0x2000
	v_lshlrev_b32_e32 v2, 7, v2
	v_and_b32_e32 v40, 0x8000, v40
	v_and_b32_e32 v39, 0xfc00, v39
	v_or3_b32 v39, v40, v39, v2
.LBB264_373:                            ;   in Loop: Header=BB264_234 Depth=1
	s_or_b32 exec_lo, exec_lo, s21
.LBB264_374:                            ;   in Loop: Header=BB264_234 Depth=1
	s_or_b32 exec_lo, exec_lo, s18
.LBB264_375:                            ;   in Loop: Header=BB264_234 Depth=1
	s_or_b32 exec_lo, exec_lo, s17
	v_lshrrev_b16 v2, 8, v8
	s_mov_b32 s17, exec_lo
	v_cmpx_ne_u16_e32 0, v2
	s_cbranch_execz .LBB264_383
; %bb.376:                              ;   in Loop: Header=BB264_234 Depth=1
	v_bfrev_b32_e32 v38, 1
	s_mov_b32 s18, exec_lo
	v_cmpx_ne_u16_e32 0x80, v2
	s_cbranch_execz .LBB264_382
; %bb.377:                              ;   in Loop: Header=BB264_234 Depth=1
	v_and_b32_sdwa v41, v2, v20 dst_sel:DWORD dst_unused:UNUSED_PAD src0_sel:WORD_0 src1_sel:DWORD
	v_mov_b32_e32 v38, 0x7c010000
	s_mov_b32 s21, exec_lo
	v_cmpx_ne_u32_e32 0x7f, v41
	s_cbranch_execz .LBB264_381
; %bb.378:                              ;   in Loop: Header=BB264_234 Depth=1
	v_and_b32_sdwa v38, v2, v21 dst_sel:DWORD dst_unused:UNUSED_PAD src0_sel:WORD_0 src1_sel:DWORD
	v_lshrrev_b32_e32 v40, 3, v41
	s_mov_b32 s22, exec_lo
	v_cmpx_gt_u32_e32 8, v41
; %bb.379:                              ;   in Loop: Header=BB264_234 Depth=1
	v_ffbh_u32_e32 v38, v38
	v_min_u32_e32 v38, 32, v38
	v_subrev_nc_u32_e32 v40, 28, v38
	v_lshlrev_b64 v[41:42], v40, v[2:3]
	v_sub_nc_u32_e32 v40, 29, v38
	v_and_b32_e32 v38, 7, v41
; %bb.380:                              ;   in Loop: Header=BB264_234 Depth=1
	s_or_b32 exec_lo, exec_lo, s22
	v_lshlrev_b32_sdwa v2, v22, v2 dst_sel:DWORD dst_unused:UNUSED_PAD src0_sel:DWORD src1_sel:WORD_0
	v_lshl_add_u32 v40, v40, 10, 0x2000
	v_lshlrev_b32_e32 v38, 23, v38
	v_and_or_b32 v2, 0x8000, v2, v40
	v_lshl_or_b32 v38, v2, 16, v38
.LBB264_381:                            ;   in Loop: Header=BB264_234 Depth=1
	s_or_b32 exec_lo, exec_lo, s21
.LBB264_382:                            ;   in Loop: Header=BB264_234 Depth=1
	s_or_b32 exec_lo, exec_lo, s18
.LBB264_383:                            ;   in Loop: Header=BB264_234 Depth=1
	s_or_b32 exec_lo, exec_lo, s17
	v_lshrrev_b32_e32 v2, 16, v8
	v_mov_b32_e32 v40, 0
	v_mov_b32_e32 v41, 0
	v_cmp_ne_u16_sdwa s0, v2, v3 src0_sel:BYTE_0 src1_sel:DWORD
	s_and_saveexec_b32 s17, s0
	s_cbranch_execz .LBB264_391
; %bb.384:                              ;   in Loop: Header=BB264_234 Depth=1
	v_cmp_ne_u16_sdwa s0, v2, v19 src0_sel:BYTE_0 src1_sel:DWORD
	v_mov_b32_e32 v41, 0x8000
	s_and_saveexec_b32 s18, s0
	s_cbranch_execz .LBB264_390
; %bb.385:                              ;   in Loop: Header=BB264_234 Depth=1
	v_bfe_u32 v43, v8, 16, 7
	v_mov_b32_e32 v41, 0x7c01
	s_mov_b32 s21, exec_lo
	v_cmpx_ne_u32_e32 0x7f, v43
	s_cbranch_execz .LBB264_389
; %bb.386:                              ;   in Loop: Header=BB264_234 Depth=1
	v_and_b32_e32 v41, 7, v2
	v_lshrrev_b32_e32 v42, 3, v43
	s_mov_b32 s22, exec_lo
	v_cmpx_gt_u32_e32 8, v43
; %bb.387:                              ;   in Loop: Header=BB264_234 Depth=1
	v_ffbh_u32_e32 v41, v41
	v_min_u32_e32 v43, 32, v41
	v_subrev_nc_u32_e32 v41, 28, v43
	v_lshlrev_b64 v[41:42], v41, v[2:3]
	v_sub_nc_u32_e32 v42, 29, v43
	v_and_b32_e32 v41, 7, v41
; %bb.388:                              ;   in Loop: Header=BB264_234 Depth=1
	s_or_b32 exec_lo, exec_lo, s22
	v_lshlrev_b32_e32 v2, 8, v2
	v_lshl_add_u32 v42, v42, 10, 0x2000
	v_lshlrev_b32_e32 v41, 7, v41
	v_and_b32_e32 v2, 0x8000, v2
	v_and_b32_e32 v42, 0xfc00, v42
	v_or3_b32 v41, v2, v42, v41
.LBB264_389:                            ;   in Loop: Header=BB264_234 Depth=1
	s_or_b32 exec_lo, exec_lo, s21
.LBB264_390:                            ;   in Loop: Header=BB264_234 Depth=1
	s_or_b32 exec_lo, exec_lo, s18
.LBB264_391:                            ;   in Loop: Header=BB264_234 Depth=1
	s_or_b32 exec_lo, exec_lo, s17
	s_mov_b32 s17, exec_lo
	v_cmpx_lt_u32_e32 0xffffff, v8
	s_cbranch_execz .LBB264_399
; %bb.392:                              ;   in Loop: Header=BB264_234 Depth=1
	v_lshrrev_b32_e32 v2, 24, v8
	v_bfrev_b32_e32 v40, 1
	s_mov_b32 s18, exec_lo
	v_cmpx_ne_u32_e32 0x80, v2
	s_cbranch_execz .LBB264_398
; %bb.393:                              ;   in Loop: Header=BB264_234 Depth=1
	v_and_b32_e32 v43, 0x7f, v2
	v_mov_b32_e32 v40, 0x7c010000
	s_mov_b32 s21, exec_lo
	v_cmpx_ne_u32_e32 0x7f, v43
	s_cbranch_execz .LBB264_397
; %bb.394:                              ;   in Loop: Header=BB264_234 Depth=1
	v_and_b32_e32 v40, 7, v2
	v_lshrrev_b32_e32 v42, 3, v43
	s_mov_b32 s22, exec_lo
	v_cmpx_gt_u32_e32 8, v43
; %bb.395:                              ;   in Loop: Header=BB264_234 Depth=1
	v_ffbh_u32_e32 v40, v40
	v_min_u32_e32 v40, 32, v40
	v_subrev_nc_u32_e32 v42, 28, v40
	v_lshlrev_b64 v[43:44], v42, v[2:3]
	v_sub_nc_u32_e32 v42, 29, v40
	v_and_b32_e32 v40, 7, v43
; %bb.396:                              ;   in Loop: Header=BB264_234 Depth=1
	s_or_b32 exec_lo, exec_lo, s22
	v_lshlrev_b32_e32 v2, 8, v2
	v_lshl_add_u32 v42, v42, 10, 0x2000
	v_lshlrev_b32_e32 v40, 23, v40
	v_and_or_b32 v2, 0x8000, v2, v42
	v_lshl_or_b32 v40, v2, 16, v40
.LBB264_397:                            ;   in Loop: Header=BB264_234 Depth=1
	s_or_b32 exec_lo, exec_lo, s21
.LBB264_398:                            ;   in Loop: Header=BB264_234 Depth=1
	s_or_b32 exec_lo, exec_lo, s18
.LBB264_399:                            ;   in Loop: Header=BB264_234 Depth=1
	s_or_b32 exec_lo, exec_lo, s17
	v_mov_b32_e32 v2, v9
	v_cmp_ne_u16_sdwa s0, v9, v3 src0_sel:BYTE_0 src1_sel:DWORD
	v_mov_b32_e32 v42, 0
	v_mov_b32_e32 v43, 0
	s_and_saveexec_b32 s17, s0
	s_cbranch_execz .LBB264_407
; %bb.400:                              ;   in Loop: Header=BB264_234 Depth=1
	v_cmp_ne_u16_sdwa s0, v9, v19 src0_sel:BYTE_0 src1_sel:DWORD
	v_mov_b32_e32 v43, 0x8000
	s_and_saveexec_b32 s18, s0
	s_cbranch_execz .LBB264_406
; %bb.401:                              ;   in Loop: Header=BB264_234 Depth=1
	v_and_b32_e32 v45, 0x7f, v9
	v_mov_b32_e32 v43, 0x7c01
	s_mov_b32 s21, exec_lo
	v_cmpx_ne_u32_e32 0x7f, v45
	s_cbranch_execz .LBB264_405
; %bb.402:                              ;   in Loop: Header=BB264_234 Depth=1
	v_and_b32_e32 v43, 7, v9
	v_lshrrev_b32_e32 v44, 3, v45
	s_mov_b32 s22, exec_lo
	v_cmpx_gt_u32_e32 8, v45
; %bb.403:                              ;   in Loop: Header=BB264_234 Depth=1
	v_ffbh_u32_e32 v43, v43
	v_min_u32_e32 v45, 32, v43
	v_subrev_nc_u32_e32 v43, 28, v45
	v_lshlrev_b64 v[43:44], v43, v[2:3]
	v_sub_nc_u32_e32 v44, 29, v45
	v_and_b32_e32 v43, 7, v43
; %bb.404:                              ;   in Loop: Header=BB264_234 Depth=1
	s_or_b32 exec_lo, exec_lo, s22
	v_lshlrev_b32_e32 v45, 8, v9
	v_lshl_add_u32 v44, v44, 10, 0x2000
	v_lshlrev_b32_e32 v43, 7, v43
	v_and_b32_e32 v45, 0x8000, v45
	v_and_b32_e32 v44, 0xfc00, v44
	v_or3_b32 v43, v45, v44, v43
.LBB264_405:                            ;   in Loop: Header=BB264_234 Depth=1
	s_or_b32 exec_lo, exec_lo, s21
.LBB264_406:                            ;   in Loop: Header=BB264_234 Depth=1
	s_or_b32 exec_lo, exec_lo, s18
.LBB264_407:                            ;   in Loop: Header=BB264_234 Depth=1
	s_or_b32 exec_lo, exec_lo, s17
	v_lshrrev_b16 v2, 8, v2
	v_mov_b32_e32 v44, 0
	s_mov_b32 s17, exec_lo
	v_cmpx_ne_u16_e32 0, v2
	s_cbranch_execz .LBB264_415
; %bb.408:                              ;   in Loop: Header=BB264_234 Depth=1
	v_bfrev_b32_e32 v44, 1
	s_mov_b32 s18, exec_lo
	v_cmpx_ne_u16_e32 0x80, v2
	s_cbranch_execz .LBB264_414
; %bb.409:                              ;   in Loop: Header=BB264_234 Depth=1
	v_and_b32_sdwa v46, v2, v20 dst_sel:DWORD dst_unused:UNUSED_PAD src0_sel:WORD_0 src1_sel:DWORD
	v_mov_b32_e32 v44, 0x7c010000
	s_mov_b32 s21, exec_lo
	v_cmpx_ne_u32_e32 0x7f, v46
	s_cbranch_execz .LBB264_413
; %bb.410:                              ;   in Loop: Header=BB264_234 Depth=1
	v_and_b32_sdwa v44, v2, v21 dst_sel:DWORD dst_unused:UNUSED_PAD src0_sel:WORD_0 src1_sel:DWORD
	v_lshrrev_b32_e32 v45, 3, v46
	s_mov_b32 s22, exec_lo
	v_cmpx_gt_u32_e32 8, v46
; %bb.411:                              ;   in Loop: Header=BB264_234 Depth=1
	v_ffbh_u32_e32 v44, v44
	v_min_u32_e32 v46, 32, v44
	v_subrev_nc_u32_e32 v44, 28, v46
	v_lshlrev_b64 v[44:45], v44, v[2:3]
	v_sub_nc_u32_e32 v45, 29, v46
	v_and_b32_e32 v44, 7, v44
; %bb.412:                              ;   in Loop: Header=BB264_234 Depth=1
	s_or_b32 exec_lo, exec_lo, s22
	v_lshlrev_b32_sdwa v2, v22, v2 dst_sel:DWORD dst_unused:UNUSED_PAD src0_sel:DWORD src1_sel:WORD_0
	v_lshl_add_u32 v45, v45, 10, 0x2000
	v_lshlrev_b32_e32 v44, 23, v44
	v_and_or_b32 v2, 0x8000, v2, v45
	v_lshl_or_b32 v44, v2, 16, v44
.LBB264_413:                            ;   in Loop: Header=BB264_234 Depth=1
	s_or_b32 exec_lo, exec_lo, s21
.LBB264_414:                            ;   in Loop: Header=BB264_234 Depth=1
	s_or_b32 exec_lo, exec_lo, s18
.LBB264_415:                            ;   in Loop: Header=BB264_234 Depth=1
	s_or_b32 exec_lo, exec_lo, s17
	v_lshrrev_b32_e32 v2, 16, v9
	v_cmp_ne_u16_sdwa s0, v2, v3 src0_sel:BYTE_0 src1_sel:DWORD
	s_and_saveexec_b32 s17, s0
	s_cbranch_execz .LBB264_423
; %bb.416:                              ;   in Loop: Header=BB264_234 Depth=1
	v_cmp_ne_u16_sdwa s0, v2, v19 src0_sel:BYTE_0 src1_sel:DWORD
	v_mov_b32_e32 v42, 0x8000
	s_and_saveexec_b32 s18, s0
	s_cbranch_execz .LBB264_422
; %bb.417:                              ;   in Loop: Header=BB264_234 Depth=1
	v_bfe_u32 v46, v9, 16, 7
	v_mov_b32_e32 v42, 0x7c01
	s_mov_b32 s21, exec_lo
	v_cmpx_ne_u32_e32 0x7f, v46
	s_cbranch_execz .LBB264_421
; %bb.418:                              ;   in Loop: Header=BB264_234 Depth=1
	v_and_b32_e32 v42, 7, v2
	v_lshrrev_b32_e32 v45, 3, v46
	s_mov_b32 s22, exec_lo
	v_cmpx_gt_u32_e32 8, v46
; %bb.419:                              ;   in Loop: Header=BB264_234 Depth=1
	v_ffbh_u32_e32 v42, v42
	v_min_u32_e32 v42, 32, v42
	v_subrev_nc_u32_e32 v45, 28, v42
	v_lshlrev_b64 v[46:47], v45, v[2:3]
	v_sub_nc_u32_e32 v45, 29, v42
	v_and_b32_e32 v42, 7, v46
; %bb.420:                              ;   in Loop: Header=BB264_234 Depth=1
	s_or_b32 exec_lo, exec_lo, s22
	v_lshlrev_b32_e32 v2, 8, v2
	v_lshl_add_u32 v45, v45, 10, 0x2000
	v_lshlrev_b32_e32 v42, 7, v42
	v_and_b32_e32 v2, 0x8000, v2
	v_and_b32_e32 v45, 0xfc00, v45
	v_or3_b32 v42, v2, v45, v42
.LBB264_421:                            ;   in Loop: Header=BB264_234 Depth=1
	s_or_b32 exec_lo, exec_lo, s21
.LBB264_422:                            ;   in Loop: Header=BB264_234 Depth=1
	s_or_b32 exec_lo, exec_lo, s18
.LBB264_423:                            ;   in Loop: Header=BB264_234 Depth=1
	s_or_b32 exec_lo, exec_lo, s17
	v_cmp_lt_u64_e64 s0, s[4:5], v[8:9]
	v_mov_b32_e32 v8, 0
	s_and_saveexec_b32 s17, s0
	s_cbranch_execz .LBB264_431
; %bb.424:                              ;   in Loop: Header=BB264_234 Depth=1
	v_lshrrev_b32_e32 v2, 24, v9
	v_bfrev_b32_e32 v8, 1
	s_mov_b32 s18, exec_lo
	v_cmpx_ne_u32_e32 0x80, v2
	s_cbranch_execz .LBB264_430
; %bb.425:                              ;   in Loop: Header=BB264_234 Depth=1
	v_and_b32_e32 v45, 0x7f, v2
	v_mov_b32_e32 v8, 0x7c010000
	s_mov_b32 s21, exec_lo
	v_cmpx_ne_u32_e32 0x7f, v45
	s_cbranch_execz .LBB264_429
; %bb.426:                              ;   in Loop: Header=BB264_234 Depth=1
	v_and_b32_e32 v8, 7, v2
	v_lshrrev_b32_e32 v9, 3, v45
	s_mov_b32 s22, exec_lo
	v_cmpx_gt_u32_e32 8, v45
; %bb.427:                              ;   in Loop: Header=BB264_234 Depth=1
	v_ffbh_u32_e32 v8, v8
	v_min_u32_e32 v45, 32, v8
	v_subrev_nc_u32_e32 v8, 28, v45
	v_lshlrev_b64 v[8:9], v8, v[2:3]
	v_sub_nc_u32_e32 v9, 29, v45
	v_and_b32_e32 v8, 7, v8
; %bb.428:                              ;   in Loop: Header=BB264_234 Depth=1
	s_or_b32 exec_lo, exec_lo, s22
	v_lshlrev_b32_e32 v2, 8, v2
	v_lshl_add_u32 v9, v9, 10, 0x2000
	v_lshlrev_b32_e32 v8, 23, v8
	v_and_or_b32 v2, 0x8000, v2, v9
	v_lshl_or_b32 v8, v2, 16, v8
.LBB264_429:                            ;   in Loop: Header=BB264_234 Depth=1
	s_or_b32 exec_lo, exec_lo, s21
.LBB264_430:                            ;   in Loop: Header=BB264_234 Depth=1
	s_or_b32 exec_lo, exec_lo, s18
.LBB264_431:                            ;   in Loop: Header=BB264_234 Depth=1
	s_or_b32 exec_lo, exec_lo, s17
	v_or_b32_e32 v2, v40, v41
	s_waitcnt vmcnt(0)
	v_fma_mixlo_f16 v9, v37, v40, 0 op_sel:[0,1,0] op_sel_hi:[0,1,0]
	v_or_b32_e32 v39, v38, v39
	v_fma_mixlo_f16 v38, v37, v38, 0 op_sel:[0,1,0] op_sel_hi:[0,1,0]
	v_or_b32_e32 v41, v44, v43
	v_or_b32_e32 v42, v8, v42
	v_fma_mixlo_f16 v40, v37, v2, 0 op_sel_hi:[0,1,0]
	v_lshlrev_b32_e32 v2, 16, v9
	v_lshlrev_b32_e32 v43, 16, v38
	v_fma_mixlo_f16 v9, v37, v39, 0 op_sel_hi:[0,1,0]
	v_fma_mixlo_f16 v38, v37, v44, 0 op_sel:[0,1,0] op_sel_hi:[0,1,0]
	v_fma_mixlo_f16 v39, v37, v41, 0 op_sel_hi:[0,1,0]
	v_fma_mixlo_f16 v8, v37, v8, 0 op_sel:[0,1,0] op_sel_hi:[0,1,0]
	v_fma_mixlo_f16 v37, v37, v42, 0 op_sel_hi:[0,1,0]
	v_and_b32_e32 v40, 0xffff, v40
	v_and_b32_e32 v45, 0xffff, v9
	v_lshlrev_b32_e32 v41, 16, v38
	v_and_b32_e32 v44, 0xffff, v39
	v_lshlrev_b32_e32 v38, 16, v8
	v_and_b32_e32 v42, 0xffff, v37
	v_or_b32_e32 v37, v2, v40
	v_or_b32_e32 v39, v43, v45
	;; [unrolled: 1-line block ×4, first 2 shown]
	s_and_saveexec_b32 s0, vcc_lo
	s_cbranch_execz .LBB264_232
; %bb.432:                              ;   in Loop: Header=BB264_234 Depth=1
	v_cmp_gt_i32_e32 vcc_lo, s31, v13
	v_cndmask_b32_e32 v8, 0, v45, vcc_lo
	v_cmp_gt_i32_e32 vcc_lo, s31, v30
	v_cndmask_b32_e32 v9, 0, v43, vcc_lo
	v_cmp_gt_i32_e32 vcc_lo, s31, v29
	v_or_b32_e32 v39, v9, v8
	v_cndmask_b32_e32 v29, 0, v40, vcc_lo
	v_cmp_gt_i32_e32 vcc_lo, s31, v28
	v_cndmask_b32_e32 v2, 0, v2, vcc_lo
	v_cmp_gt_i32_e32 vcc_lo, s31, v27
	v_or_b32_e32 v37, v2, v29
	;; [unrolled: 5-line block ×3, first 2 shown]
	v_cndmask_b32_e32 v25, 0, v42, vcc_lo
	v_cmp_gt_i32_e32 vcc_lo, s31, v24
	v_cndmask_b32_e32 v24, 0, v38, vcc_lo
	v_or_b32_e32 v8, v24, v25
	s_branch .LBB264_232
.LBB264_433:
	s_or_b32 exec_lo, exec_lo, s12
.LBB264_434:
	s_or_b32 exec_lo, exec_lo, s1
	v_lshl_add_u32 v2, v14, 2, 0xe0
	v_and_b32_e32 v3, 0x3c0, v0
	s_mov_b32 s0, exec_lo
	s_waitcnt_vscnt null, 0x0
	s_barrier
	v_mad_u32_u24 v1, 0x180, v12, v2
	buffer_gl0_inv
	v_cmpx_eq_u32_e32 64, v3
	s_cbranch_execz .LBB264_436
; %bb.435:
	v_add_nc_u32_e32 v3, 0xfffffd00, v1
	v_add_nc_u32_e32 v4, 0xfffffd80, v1
	;; [unrolled: 1-line block ×3, first 2 shown]
	ds_write_b32 v3, v17
	ds_write_b32 v4, v16
	;; [unrolled: 1-line block ×3, first 2 shown]
.LBB264_436:
	s_or_b32 exec_lo, exec_lo, s0
	s_mov_b32 s0, exec_lo
	s_waitcnt lgkmcnt(0)
	s_barrier
	buffer_gl0_inv
	v_cmpx_gt_u32_e32 64, v0
	s_cbranch_execz .LBB264_438
; %bb.437:
	ds_read2_b32 v[3:4], v1 offset1:32
	ds_read_b32 v5, v1 offset:256
	s_waitcnt lgkmcnt(1)
	v_add_f32_e32 v17, v17, v3
	v_add_f32_e32 v16, v16, v4
	s_waitcnt lgkmcnt(0)
	v_add_f32_e32 v15, v15, v5
.LBB264_438:
	s_or_b32 exec_lo, exec_lo, s0
	v_and_b32_e32 v3, 0x3e0, v0
	s_mov_b32 s0, exec_lo
	s_barrier
	buffer_gl0_inv
	v_cmpx_eq_u32_e32 32, v3
	s_cbranch_execz .LBB264_440
; %bb.439:
	ds_write2_b32 v2, v17, v16 offset1:32
	ds_write_b32 v2, v15 offset:256
.LBB264_440:
	s_or_b32 exec_lo, exec_lo, s0
	v_cmp_gt_u32_e32 vcc_lo, 32, v0
	s_waitcnt lgkmcnt(0)
	s_barrier
	buffer_gl0_inv
	s_and_saveexec_b32 s0, vcc_lo
	s_cbranch_execz .LBB264_442
; %bb.441:
	ds_read2_b32 v[2:3], v1 offset1:32
	ds_read_b32 v1, v1 offset:256
	s_waitcnt lgkmcnt(1)
	v_add_f32_e32 v17, v17, v2
	v_add_f32_e32 v16, v16, v3
	s_waitcnt lgkmcnt(0)
	v_add_f32_e32 v15, v15, v1
.LBB264_442:
	s_or_b32 exec_lo, exec_lo, s0
	s_barrier
	buffer_gl0_inv
	s_and_saveexec_b32 s0, vcc_lo
	s_cbranch_execz .LBB264_444
; %bb.443:
	s_mul_i32 s0, s2, 0x60
	s_mul_i32 s2, s7, s10
	s_ashr_i32 s1, s0, 31
	v_lshlrev_b32_e32 v0, 1, v0
	s_lshl_b64 s[0:1], s[0:1], 1
	;;#ASMSTART
	v_cvt_f16_f32 v1, v17;

	;;#ASMEND
	s_add_u32 s4, s28, s0
	s_addc_u32 s5, s29, s1
	s_ashr_i32 s3, s2, 31
	s_lshl_b64 s[0:1], s[2:3], 1
	s_mul_i32 s2, s8, 0x60
	s_add_u32 s4, s4, s0
	s_addc_u32 s5, s5, s1
	s_ashr_i32 s3, s2, 31
	s_lshl_b64 s[0:1], s[2:3], 1
	s_add_u32 s0, s4, s0
	s_addc_u32 s1, s5, s1
	global_store_short v0, v1, s[0:1]
	;;#ASMSTART
	v_cvt_f16_f32 v1, v16;

	;;#ASMEND
	global_store_short v0, v1, s[0:1] offset:64
	;;#ASMSTART
	v_cvt_f16_f32 v1, v15;

	;;#ASMEND
	global_store_short v0, v1, s[0:1] offset:128
.LBB264_444:
	s_endpgm
	.section	.rodata,"a",@progbits
	.p2align	6, 0x0
	.amdhsa_kernel _ZN4vllm25paged_attention_v2_kernelIthLi96ELi8ELi128ELNS_18Fp8KVCacheDataTypeE1ELb1ELi512EEEvPfS2_PT_PKS3_PKT0_S9_ifPKiSB_iPKfiiiSD_SD_iiiii
		.amdhsa_group_segment_fixed_size 224
		.amdhsa_private_segment_fixed_size 0
		.amdhsa_kernarg_size 400
		.amdhsa_user_sgpr_count 6
		.amdhsa_user_sgpr_private_segment_buffer 1
		.amdhsa_user_sgpr_dispatch_ptr 0
		.amdhsa_user_sgpr_queue_ptr 0
		.amdhsa_user_sgpr_kernarg_segment_ptr 1
		.amdhsa_user_sgpr_dispatch_id 0
		.amdhsa_user_sgpr_flat_scratch_init 0
		.amdhsa_user_sgpr_private_segment_size 0
		.amdhsa_wavefront_size32 1
		.amdhsa_uses_dynamic_stack 0
		.amdhsa_system_sgpr_private_segment_wavefront_offset 0
		.amdhsa_system_sgpr_workgroup_id_x 1
		.amdhsa_system_sgpr_workgroup_id_y 1
		.amdhsa_system_sgpr_workgroup_id_z 1
		.amdhsa_system_sgpr_workgroup_info 0
		.amdhsa_system_vgpr_workitem_id 0
		.amdhsa_next_free_vgpr 70
		.amdhsa_next_free_sgpr 52
		.amdhsa_reserve_vcc 1
		.amdhsa_reserve_flat_scratch 0
		.amdhsa_float_round_mode_32 0
		.amdhsa_float_round_mode_16_64 0
		.amdhsa_float_denorm_mode_32 3
		.amdhsa_float_denorm_mode_16_64 3
		.amdhsa_dx10_clamp 1
		.amdhsa_ieee_mode 1
		.amdhsa_fp16_overflow 0
		.amdhsa_workgroup_processor_mode 1
		.amdhsa_memory_ordered 1
		.amdhsa_forward_progress 1
		.amdhsa_shared_vgpr_count 0
		.amdhsa_exception_fp_ieee_invalid_op 0
		.amdhsa_exception_fp_denorm_src 0
		.amdhsa_exception_fp_ieee_div_zero 0
		.amdhsa_exception_fp_ieee_overflow 0
		.amdhsa_exception_fp_ieee_underflow 0
		.amdhsa_exception_fp_ieee_inexact 0
		.amdhsa_exception_int_div_zero 0
	.end_amdhsa_kernel
	.section	.text._ZN4vllm25paged_attention_v2_kernelIthLi96ELi8ELi128ELNS_18Fp8KVCacheDataTypeE1ELb1ELi512EEEvPfS2_PT_PKS3_PKT0_S9_ifPKiSB_iPKfiiiSD_SD_iiiii,"axG",@progbits,_ZN4vllm25paged_attention_v2_kernelIthLi96ELi8ELi128ELNS_18Fp8KVCacheDataTypeE1ELb1ELi512EEEvPfS2_PT_PKS3_PKT0_S9_ifPKiSB_iPKfiiiSD_SD_iiiii,comdat
.Lfunc_end264:
	.size	_ZN4vllm25paged_attention_v2_kernelIthLi96ELi8ELi128ELNS_18Fp8KVCacheDataTypeE1ELb1ELi512EEEvPfS2_PT_PKS3_PKT0_S9_ifPKiSB_iPKfiiiSD_SD_iiiii, .Lfunc_end264-_ZN4vllm25paged_attention_v2_kernelIthLi96ELi8ELi128ELNS_18Fp8KVCacheDataTypeE1ELb1ELi512EEEvPfS2_PT_PKS3_PKT0_S9_ifPKiSB_iPKfiiiSD_SD_iiiii
                                        ; -- End function
	.set _ZN4vllm25paged_attention_v2_kernelIthLi96ELi8ELi128ELNS_18Fp8KVCacheDataTypeE1ELb1ELi512EEEvPfS2_PT_PKS3_PKT0_S9_ifPKiSB_iPKfiiiSD_SD_iiiii.num_vgpr, 70
	.set _ZN4vllm25paged_attention_v2_kernelIthLi96ELi8ELi128ELNS_18Fp8KVCacheDataTypeE1ELb1ELi512EEEvPfS2_PT_PKS3_PKT0_S9_ifPKiSB_iPKfiiiSD_SD_iiiii.num_agpr, 0
	.set _ZN4vllm25paged_attention_v2_kernelIthLi96ELi8ELi128ELNS_18Fp8KVCacheDataTypeE1ELb1ELi512EEEvPfS2_PT_PKS3_PKT0_S9_ifPKiSB_iPKfiiiSD_SD_iiiii.numbered_sgpr, 52
	.set _ZN4vllm25paged_attention_v2_kernelIthLi96ELi8ELi128ELNS_18Fp8KVCacheDataTypeE1ELb1ELi512EEEvPfS2_PT_PKS3_PKT0_S9_ifPKiSB_iPKfiiiSD_SD_iiiii.num_named_barrier, 0
	.set _ZN4vllm25paged_attention_v2_kernelIthLi96ELi8ELi128ELNS_18Fp8KVCacheDataTypeE1ELb1ELi512EEEvPfS2_PT_PKS3_PKT0_S9_ifPKiSB_iPKfiiiSD_SD_iiiii.private_seg_size, 0
	.set _ZN4vllm25paged_attention_v2_kernelIthLi96ELi8ELi128ELNS_18Fp8KVCacheDataTypeE1ELb1ELi512EEEvPfS2_PT_PKS3_PKT0_S9_ifPKiSB_iPKfiiiSD_SD_iiiii.uses_vcc, 1
	.set _ZN4vllm25paged_attention_v2_kernelIthLi96ELi8ELi128ELNS_18Fp8KVCacheDataTypeE1ELb1ELi512EEEvPfS2_PT_PKS3_PKT0_S9_ifPKiSB_iPKfiiiSD_SD_iiiii.uses_flat_scratch, 0
	.set _ZN4vllm25paged_attention_v2_kernelIthLi96ELi8ELi128ELNS_18Fp8KVCacheDataTypeE1ELb1ELi512EEEvPfS2_PT_PKS3_PKT0_S9_ifPKiSB_iPKfiiiSD_SD_iiiii.has_dyn_sized_stack, 0
	.set _ZN4vllm25paged_attention_v2_kernelIthLi96ELi8ELi128ELNS_18Fp8KVCacheDataTypeE1ELb1ELi512EEEvPfS2_PT_PKS3_PKT0_S9_ifPKiSB_iPKfiiiSD_SD_iiiii.has_recursion, 0
	.set _ZN4vllm25paged_attention_v2_kernelIthLi96ELi8ELi128ELNS_18Fp8KVCacheDataTypeE1ELb1ELi512EEEvPfS2_PT_PKS3_PKT0_S9_ifPKiSB_iPKfiiiSD_SD_iiiii.has_indirect_call, 0
	.section	.AMDGPU.csdata,"",@progbits
; Kernel info:
; codeLenInByte = 16028
; TotalNumSgprs: 54
; NumVgprs: 70
; ScratchSize: 0
; MemoryBound: 0
; FloatMode: 240
; IeeeMode: 1
; LDSByteSize: 224 bytes/workgroup (compile time only)
; SGPRBlocks: 0
; VGPRBlocks: 8
; NumSGPRsForWavesPerEU: 54
; NumVGPRsForWavesPerEU: 70
; Occupancy: 12
; WaveLimiterHint : 1
; COMPUTE_PGM_RSRC2:SCRATCH_EN: 0
; COMPUTE_PGM_RSRC2:USER_SGPR: 6
; COMPUTE_PGM_RSRC2:TRAP_HANDLER: 0
; COMPUTE_PGM_RSRC2:TGID_X_EN: 1
; COMPUTE_PGM_RSRC2:TGID_Y_EN: 1
; COMPUTE_PGM_RSRC2:TGID_Z_EN: 1
; COMPUTE_PGM_RSRC2:TIDIG_COMP_CNT: 0
	.section	.text._ZN4vllm25paged_attention_v2_kernelIthLi112ELi8ELi128ELNS_18Fp8KVCacheDataTypeE1ELb1ELi512EEEvPfS2_PT_PKS3_PKT0_S9_ifPKiSB_iPKfiiiSD_SD_iiiii,"axG",@progbits,_ZN4vllm25paged_attention_v2_kernelIthLi112ELi8ELi128ELNS_18Fp8KVCacheDataTypeE1ELb1ELi512EEEvPfS2_PT_PKS3_PKT0_S9_ifPKiSB_iPKfiiiSD_SD_iiiii,comdat
	.protected	_ZN4vllm25paged_attention_v2_kernelIthLi112ELi8ELi128ELNS_18Fp8KVCacheDataTypeE1ELb1ELi512EEEvPfS2_PT_PKS3_PKT0_S9_ifPKiSB_iPKfiiiSD_SD_iiiii ; -- Begin function _ZN4vllm25paged_attention_v2_kernelIthLi112ELi8ELi128ELNS_18Fp8KVCacheDataTypeE1ELb1ELi512EEEvPfS2_PT_PKS3_PKT0_S9_ifPKiSB_iPKfiiiSD_SD_iiiii
	.globl	_ZN4vllm25paged_attention_v2_kernelIthLi112ELi8ELi128ELNS_18Fp8KVCacheDataTypeE1ELb1ELi512EEEvPfS2_PT_PKS3_PKT0_S9_ifPKiSB_iPKfiiiSD_SD_iiiii
	.p2align	8
	.type	_ZN4vllm25paged_attention_v2_kernelIthLi112ELi8ELi128ELNS_18Fp8KVCacheDataTypeE1ELb1ELi512EEEvPfS2_PT_PKS3_PKT0_S9_ifPKiSB_iPKfiiiSD_SD_iiiii,@function
_ZN4vllm25paged_attention_v2_kernelIthLi112ELi8ELi128ELNS_18Fp8KVCacheDataTypeE1ELb1ELi512EEEvPfS2_PT_PKS3_PKT0_S9_ifPKiSB_iPKfiiiSD_SD_iiiii: ; @_ZN4vllm25paged_attention_v2_kernelIthLi112ELi8ELi128ELNS_18Fp8KVCacheDataTypeE1ELb1ELi512EEEvPfS2_PT_PKS3_PKT0_S9_ifPKiSB_iPKfiiiSD_SD_iiiii
; %bb.0:
	s_load_dwordx2 s[0:1], s[4:5], 0x40
	s_mov_b32 s30, s7
	s_ashr_i32 s31, s7, 31
	s_lshl_b64 s[2:3], s[30:31], 2
	s_waitcnt lgkmcnt(0)
	s_add_u32 s0, s0, s2
	s_addc_u32 s1, s1, s3
	s_lshl_b32 s42, s8, 9
	s_load_dword s31, s[0:1], 0x0
	s_waitcnt lgkmcnt(0)
	s_cmp_ge_i32 s42, s31
	s_cbranch_scc1 .LBB265_551
; %bb.1:
	s_clause 0x1
	s_load_dword s9, s[4:5], 0x90
	s_load_dwordx2 s[40:41], s[4:5], 0x30
	s_mov_b32 s43, 0
	s_waitcnt lgkmcnt(0)
	s_abs_i32 s3, s9
	s_abs_i32 s0, s40
	v_cvt_f32_u32_e32 v1, s0
	s_sub_i32 s2, 0, s0
	v_rcp_iflag_f32_e32 v1, v1
	v_mul_f32_e32 v1, 0x4f7ffffe, v1
	v_cvt_u32_f32_e32 v1, v1
	v_readfirstlane_b32 s1, v1
	s_mul_i32 s2, s2, s1
	s_mul_hi_u32 s2, s1, s2
	s_add_i32 s1, s1, s2
	s_xor_b32 s2, s9, s40
	s_mul_hi_u32 s1, s3, s1
	s_ashr_i32 s2, s2, 31
	s_mul_i32 s7, s1, s0
	s_sub_i32 s3, s3, s7
	s_add_i32 s7, s1, 1
	s_sub_i32 s10, s3, s0
	s_cmp_ge_u32 s3, s0
	s_cselect_b32 s1, s7, s1
	s_cselect_b32 s3, s10, s3
	s_add_i32 s7, s1, 1
	s_cmp_ge_u32 s3, s0
	s_cselect_b32 s0, s7, s1
	s_xor_b32 s0, s0, s2
	s_sub_i32 s10, s0, s2
	s_load_dwordx2 s[0:1], s[4:5], 0x50
	s_abs_i32 s2, s10
	v_cvt_f32_u32_e32 v1, s2
	s_sub_i32 s3, 0, s2
	v_rcp_iflag_f32_e32 v1, v1
	v_mul_f32_e32 v1, 0x4f7ffffe, v1
	v_cvt_u32_f32_e32 v1, v1
	v_readfirstlane_b32 s7, v1
	s_mul_i32 s3, s3, s7
	s_mul_hi_u32 s11, s7, s3
	s_abs_i32 s3, s6
	s_add_i32 s7, s7, s11
	s_waitcnt lgkmcnt(0)
	s_cmp_eq_u64 s[0:1], 0
	s_mul_hi_u32 s12, s3, s7
	s_cbranch_scc1 .LBB265_3
; %bb.2:
	s_ashr_i32 s7, s6, 31
	s_lshl_b64 s[14:15], s[6:7], 2
	s_add_u32 s0, s0, s14
	s_addc_u32 s1, s1, s15
	s_load_dword s43, s[0:1], 0x0
.LBB265_3:
	s_load_dwordx4 s[16:19], s[4:5], 0x58
	v_and_b32_e32 v3, 3, v0
	s_ashr_i32 s0, s6, 31
	s_ashr_i32 s1, s10, 31
	s_mul_i32 s10, s6, 0x70
	s_mov_b32 s7, exec_lo
	v_cmpx_gt_u32_e32 56, v0
	s_cbranch_execz .LBB265_5
; %bb.4:
	s_load_dwordx2 s[14:15], s[4:5], 0x18
	s_waitcnt lgkmcnt(0)
	s_mul_i32 s20, s16, s30
	v_lshlrev_b32_e32 v1, 2, v0
	s_ashr_i32 s21, s20, 31
	v_and_b32_e32 v2, 0x3fc, v0
	s_lshl_b64 s[20:21], s[20:21], 1
	v_mad_u32_u24 v2, v3, 56, v2
	s_add_u32 s13, s14, s20
	s_addc_u32 s16, s15, s21
	s_ashr_i32 s11, s10, 31
	s_lshl_b64 s[14:15], s[10:11], 1
	s_add_u32 s14, s13, s14
	s_addc_u32 s15, s16, s15
	global_load_dword v1, v1, s[14:15]
	s_waitcnt vmcnt(0)
	ds_write_b32 v2, v1
.LBB265_5:
	s_or_b32 exec_lo, exec_lo, s7
	s_load_dwordx4 s[20:23], s[4:5], 0x78
	s_mul_i32 s7, s12, s2
	s_xor_b32 s0, s0, s1
	s_sub_i32 s1, s3, s7
	s_add_i32 s3, s12, 1
	s_sub_i32 s7, s1, s2
	s_cmp_ge_u32 s1, s2
	s_mov_b32 s11, -1
	s_cselect_b32 s3, s3, s12
	s_cselect_b32 s1, s7, s1
	s_add_i32 s7, s3, 1
	s_cmp_ge_u32 s1, s2
                                        ; implicit-def: $sgpr33
	s_cselect_b32 s1, s7, s3
	s_load_dword s3, s[4:5], 0x88
	s_xor_b32 s1, s1, s0
	s_add_i32 s7, s31, -1
	s_sub_i32 s1, s1, s0
	s_abs_i32 s2, s7
	s_waitcnt lgkmcnt(0)
	s_abs_i32 s16, s23
	s_barrier
	v_cvt_f32_u32_e32 v1, s16
	s_sub_i32 s0, 0, s16
	buffer_gl0_inv
	v_rcp_iflag_f32_e32 v1, v1
	v_mul_f32_e32 v1, 0x4f7ffffe, v1
	v_cvt_u32_f32_e32 v1, v1
	v_readfirstlane_b32 s19, v1
	s_mul_i32 s0, s0, s19
	s_mul_hi_u32 s0, s19, s0
	s_add_i32 s19, s19, s0
	s_cmp_lt_i32 s3, 0
	s_mul_hi_u32 s0, s2, s19
	s_cbranch_scc0 .LBB265_7
; %bb.6:
	s_mul_i32 s11, s20, s40
	s_add_i32 s11, s1, s11
	s_mul_i32 s11, s11, s3
	s_sub_i32 s33, 1, s11
	s_mov_b32 s11, 0
.LBB265_7:
	s_load_dwordx2 s[34:35], s[4:5], 0x38
	s_ashr_i32 s7, s7, 31
	s_andn2_b32 vcc_lo, exec_lo, s11
	s_ashr_i32 s23, s23, 31
	s_cbranch_vccnz .LBB265_9
; %bb.8:
	s_mul_i32 s11, s9, s20
	s_add_i32 s11, s11, s6
	s_mul_i32 s3, s11, s3
	s_add_i32 s33, s3, 1
.LBB265_9:
	s_clause 0x5
	s_load_dword s3, s[4:5], 0x48
	s_load_dwordx2 s[38:39], s[4:5], 0x28
	s_load_dwordx4 s[24:27], s[4:5], 0x0
	s_load_dwordx2 s[28:29], s[4:5], 0x10
	s_load_dword s11, s[4:5], 0x98
	s_load_dwordx4 s[12:15], s[4:5], 0x68
	s_xor_b32 s40, s7, s23
	s_mul_i32 s7, s0, s16
	s_add_i32 s20, s0, 1
	s_sub_i32 s2, s2, s7
	v_lshrrev_b32_e32 v12, 5, v0
	v_mov_b32_e32 v14, 0xff7fffff
	v_mbcnt_lo_u32_b32 v11, -1, 0
	s_mul_i32 s18, s1, s18
	v_lshl_add_u32 v13, v12, 3, s42
	s_waitcnt lgkmcnt(0)
	s_mul_i32 s36, s3, s30
	s_sub_i32 s3, s2, s16
	s_ashr_i32 s37, s36, 31
	s_cmp_ge_u32 s2, s16
	s_cselect_b32 s0, s20, s0
	s_cselect_b32 s2, s3, s2
	s_add_i32 s3, s0, 1
	s_cmp_ge_u32 s2, s16
	s_cselect_b32 s0, s3, s0
	s_add_i32 s2, s31, 7
	s_lshl_b32 s44, s8, 6
	s_ashr_i32 s3, s2, 31
	v_or_b32_e32 v1, s44, v12
	s_lshr_b32 s3, s3, 29
	s_add_i32 s2, s2, s3
	s_add_i32 s3, s44, 64
	s_ashr_i32 s7, s2, 3
	s_xor_b32 s2, s0, s40
	s_min_i32 s20, s3, s7
	v_ashrrev_i32_e32 v2, 31, v1
	v_cmp_gt_i32_e64 s0, s20, v1
	s_sub_i32 s40, s2, s40
	s_and_saveexec_b32 s45, s0
	s_cbranch_execz .LBB265_245
; %bb.10:
	s_load_dwordx2 s[2:3], s[4:5], 0x20
	s_sub_i32 s4, s40, s21
	s_ashr_i32 s1, s18, 31
	v_bfe_u32 v15, v0, 2, 3
	v_cmp_eq_u32_e32 vcc_lo, 0, v3
	v_lshlrev_b32_e32 v7, 1, v3
	v_mul_u32_u24_e32 v16, 56, v3
	v_mov_b32_e32 v4, 0
	v_lshlrev_b32_e32 v3, 2, v15
	v_subrev_nc_u32_e32 v9, s31, v15
	v_lshl_add_u32 v17, v12, 3, s42
	v_mov_b32_e32 v18, 0xff7fffff
	v_mov_b32_e32 v19, 0x80
	v_lshl_or_b32 v3, v12, 5, v3
	v_add_nc_u32_e32 v23, 1, v9
	v_mov_b32_e32 v20, 0x7f
	v_mov_b32_e32 v21, 7
	;; [unrolled: 1-line block ×3, first 2 shown]
	v_add_nc_u32_e32 v24, 0x100, v3
	v_mov_b32_e32 v14, 0xff7fffff
	s_waitcnt lgkmcnt(0)
	s_add_u32 s46, s2, s18
	s_addc_u32 s47, s3, s1
	s_abs_i32 s5, s22
	v_cmp_neq_f32_e64 s1, s43, 0
	v_cvt_f32_u32_e32 v5, s5
	s_sub_i32 s2, 0, s5
	v_mov_b32_e32 v26, v1
	v_rcp_iflag_f32_e32 v8, v5
	v_lshlrev_b64 v[5:6], 2, v[1:2]
	v_mul_f32_e32 v8, 0x4f7ffffe, v8
	v_cvt_u32_f32_e32 v10, v8
	v_lshlrev_b32_e32 v8, 4, v15
	v_mul_lo_u32 v3, s2, v10
	s_lshl_b64 s[2:3], s[36:37], 2
	v_add_co_u32 v8, s46, s46, v8
	s_add_u32 s2, s34, s2
	v_add_co_ci_u32_e64 v9, null, s47, 0, s46
	s_addc_u32 s3, s35, s3
	v_mul_hi_u32 v3, v10, v3
	v_add_co_u32 v5, s2, s2, v5
	v_add_co_ci_u32_e64 v6, null, s3, v6, s2
	v_add_co_u32 v7, s2, v8, v7
	v_add_co_ci_u32_e64 v8, null, 0, v9, s2
	v_add_nc_u32_e32 v25, v10, v3
	s_mov_b32 s46, 0
	s_mov_b32 s47, s17
	s_branch .LBB265_13
.LBB265_11:                             ;   in Loop: Header=BB265_13 Depth=1
	s_or_b32 exec_lo, exec_lo, s48
.LBB265_12:                             ;   in Loop: Header=BB265_13 Depth=1
	s_or_b32 exec_lo, exec_lo, s3
	v_add_nc_u32_e32 v26, 4, v26
	v_add_co_u32 v5, s3, v5, 16
	v_add_co_ci_u32_e64 v6, null, 0, v6, s3
	v_cmp_le_i32_e64 s2, s20, v26
	v_add_nc_u32_e32 v17, 32, v17
	v_add_nc_u32_e32 v24, 0x80, v24
	s_or_b32 s46, s2, s46
	s_andn2_b32 exec_lo, exec_lo, s46
	s_cbranch_execz .LBB265_244
.LBB265_13:                             ; =>This Inner Loop Header: Depth=1
	v_sub_nc_u32_e32 v3, 0, v17
	v_max_i32_e32 v3, v17, v3
	s_waitcnt lgkmcnt(0)
	v_mul_hi_u32 v9, v3, s19
	v_mul_lo_u32 v10, v9, s16
	v_sub_nc_u32_e32 v3, v3, v10
	v_add_nc_u32_e32 v10, 1, v9
	v_subrev_nc_u32_e32 v27, s16, v3
	v_cmp_le_u32_e64 s2, s16, v3
	v_cndmask_b32_e64 v9, v9, v10, s2
	v_cndmask_b32_e64 v3, v3, v27, s2
	v_ashrrev_i32_e32 v10, 31, v17
	v_add_nc_u32_e32 v27, 1, v9
	v_cmp_le_u32_e64 s2, s16, v3
	v_xor_b32_e32 v10, s23, v10
	v_cndmask_b32_e64 v3, v9, v27, s2
	v_xor_b32_e32 v3, v3, v10
	v_sub_nc_u32_e32 v3, v3, v10
	v_add_nc_u32_e32 v9, s33, v3
	v_cmp_ge_i32_e64 s3, s4, v3
	v_sub_nc_u32_e32 v10, 0, v9
	v_max_i32_e32 v10, v9, v10
	v_ashrrev_i32_e32 v9, 31, v9
	v_mul_hi_u32 v27, v10, v25
	v_mul_lo_u32 v27, v27, s5
	v_sub_nc_u32_e32 v10, v10, v27
	v_subrev_nc_u32_e32 v27, s5, v10
	v_cmp_le_u32_e64 s2, s5, v10
	v_cndmask_b32_e64 v10, v10, v27, s2
	v_subrev_nc_u32_e32 v27, s5, v10
	v_cmp_le_u32_e64 s2, s5, v10
	v_cndmask_b32_e64 v10, v10, v27, s2
	v_xor_b32_e32 v10, v10, v9
	v_sub_nc_u32_e32 v9, v10, v9
	v_cmp_ne_u32_e64 s2, 0, v9
	s_and_b32 s2, s2, s3
	s_and_saveexec_b32 s3, s2
	s_xor_b32 s2, exec_lo, s3
	s_cbranch_execz .LBB265_17
; %bb.14:                               ;   in Loop: Header=BB265_13 Depth=1
	s_and_saveexec_b32 s3, vcc_lo
; %bb.15:                               ;   in Loop: Header=BB265_13 Depth=1
	ds_write_b32 v24, v18
; %bb.16:                               ;   in Loop: Header=BB265_13 Depth=1
	s_or_b32 exec_lo, exec_lo, s3
.LBB265_17:                             ;   in Loop: Header=BB265_13 Depth=1
	s_andn2_saveexec_b32 s3, s2
	s_cbranch_execz .LBB265_12
; %bb.18:                               ;   in Loop: Header=BB265_13 Depth=1
	global_load_dword v3, v[5:6], off
	v_mov_b32_e32 v28, 0
	global_load_dword v27, v28, s[12:13]
	s_waitcnt vmcnt(1)
	v_mad_i64_i32 v[9:10], null, v3, s47, v[7:8]
	global_load_ushort v29, v[9:10], off
	s_waitcnt vmcnt(0)
	v_and_b32_e32 v3, 0xffff, v29
	v_cmp_ne_u16_sdwa s2, v29, v4 src0_sel:BYTE_0 src1_sel:DWORD
	v_mov_b32_e32 v29, 0
	s_and_saveexec_b32 s48, s2
	s_cbranch_execz .LBB265_26
; %bb.19:                               ;   in Loop: Header=BB265_13 Depth=1
	v_cmp_ne_u16_sdwa s2, v3, v19 src0_sel:BYTE_0 src1_sel:DWORD
	v_mov_b32_e32 v29, 0x8000
	s_and_saveexec_b32 s49, s2
	s_cbranch_execz .LBB265_25
; %bb.20:                               ;   in Loop: Header=BB265_13 Depth=1
	v_and_b32_e32 v31, 0x7f, v3
	v_mov_b32_e32 v29, 0x7c01
	s_mov_b32 s50, exec_lo
	v_cmpx_ne_u32_e32 0x7f, v31
	s_cbranch_execz .LBB265_24
; %bb.21:                               ;   in Loop: Header=BB265_13 Depth=1
	v_and_b32_e32 v29, 7, v3
	v_lshrrev_b32_e32 v30, 3, v31
	s_mov_b32 s51, exec_lo
	v_cmpx_gt_u32_e32 8, v31
; %bb.22:                               ;   in Loop: Header=BB265_13 Depth=1
	v_ffbh_u32_e32 v29, v29
	v_min_u32_e32 v31, 32, v29
	v_subrev_nc_u32_e32 v29, 28, v31
	v_lshlrev_b64 v[29:30], v29, v[3:4]
	v_sub_nc_u32_e32 v30, 29, v31
	v_and_b32_e32 v29, 7, v29
; %bb.23:                               ;   in Loop: Header=BB265_13 Depth=1
	s_or_b32 exec_lo, exec_lo, s51
	v_lshlrev_b32_e32 v31, 8, v3
	v_lshl_add_u32 v30, v30, 10, 0x2000
	v_lshlrev_b32_e32 v29, 7, v29
	v_and_b32_e32 v31, 0x8000, v31
	v_and_b32_e32 v30, 0xfc00, v30
	v_or3_b32 v29, v31, v30, v29
.LBB265_24:                             ;   in Loop: Header=BB265_13 Depth=1
	s_or_b32 exec_lo, exec_lo, s50
.LBB265_25:                             ;   in Loop: Header=BB265_13 Depth=1
	s_or_b32 exec_lo, exec_lo, s49
.LBB265_26:                             ;   in Loop: Header=BB265_13 Depth=1
	s_or_b32 exec_lo, exec_lo, s48
	v_lshrrev_b16 v3, 8, v3
	s_mov_b32 s48, exec_lo
	v_cmpx_ne_u16_e32 0, v3
	s_cbranch_execz .LBB265_34
; %bb.27:                               ;   in Loop: Header=BB265_13 Depth=1
	v_bfrev_b32_e32 v28, 1
	s_mov_b32 s49, exec_lo
	v_cmpx_ne_u16_e32 0x80, v3
	s_cbranch_execz .LBB265_33
; %bb.28:                               ;   in Loop: Header=BB265_13 Depth=1
	v_and_b32_sdwa v31, v3, v20 dst_sel:DWORD dst_unused:UNUSED_PAD src0_sel:WORD_0 src1_sel:DWORD
	v_mov_b32_e32 v28, 0x7c010000
	s_mov_b32 s50, exec_lo
	v_cmpx_ne_u32_e32 0x7f, v31
	s_cbranch_execz .LBB265_32
; %bb.29:                               ;   in Loop: Header=BB265_13 Depth=1
	v_and_b32_sdwa v28, v3, v21 dst_sel:DWORD dst_unused:UNUSED_PAD src0_sel:WORD_0 src1_sel:DWORD
	v_lshrrev_b32_e32 v30, 3, v31
	s_mov_b32 s51, exec_lo
	v_cmpx_gt_u32_e32 8, v31
; %bb.30:                               ;   in Loop: Header=BB265_13 Depth=1
	v_ffbh_u32_e32 v28, v28
	v_min_u32_e32 v28, 32, v28
	v_subrev_nc_u32_e32 v30, 28, v28
	v_lshlrev_b64 v[31:32], v30, v[3:4]
	v_sub_nc_u32_e32 v30, 29, v28
	v_and_b32_e32 v28, 7, v31
; %bb.31:                               ;   in Loop: Header=BB265_13 Depth=1
	s_or_b32 exec_lo, exec_lo, s51
	v_lshlrev_b32_sdwa v3, v22, v3 dst_sel:DWORD dst_unused:UNUSED_PAD src0_sel:DWORD src1_sel:WORD_0
	v_lshl_add_u32 v30, v30, 10, 0x2000
	v_lshlrev_b32_e32 v28, 23, v28
	v_and_or_b32 v3, 0x8000, v3, v30
	v_lshl_or_b32 v28, v3, 16, v28
.LBB265_32:                             ;   in Loop: Header=BB265_13 Depth=1
	s_or_b32 exec_lo, exec_lo, s50
.LBB265_33:                             ;   in Loop: Header=BB265_13 Depth=1
	s_or_b32 exec_lo, exec_lo, s49
.LBB265_34:                             ;   in Loop: Header=BB265_13 Depth=1
	s_or_b32 exec_lo, exec_lo, s48
	global_load_ushort v31, v[9:10], off offset:8
	v_mov_b32_e32 v30, 0
	s_waitcnt vmcnt(0)
	v_and_b32_e32 v3, 0xffff, v31
	v_cmp_ne_u16_sdwa s2, v31, v4 src0_sel:BYTE_0 src1_sel:DWORD
	v_mov_b32_e32 v31, 0
	s_and_saveexec_b32 s48, s2
	s_cbranch_execz .LBB265_42
; %bb.35:                               ;   in Loop: Header=BB265_13 Depth=1
	v_cmp_ne_u16_sdwa s2, v3, v19 src0_sel:BYTE_0 src1_sel:DWORD
	v_mov_b32_e32 v31, 0x8000
	s_and_saveexec_b32 s49, s2
	s_cbranch_execz .LBB265_41
; %bb.36:                               ;   in Loop: Header=BB265_13 Depth=1
	v_and_b32_e32 v33, 0x7f, v3
	v_mov_b32_e32 v31, 0x7c01
	s_mov_b32 s50, exec_lo
	v_cmpx_ne_u32_e32 0x7f, v33
	s_cbranch_execz .LBB265_40
; %bb.37:                               ;   in Loop: Header=BB265_13 Depth=1
	v_and_b32_e32 v31, 7, v3
	v_lshrrev_b32_e32 v32, 3, v33
	s_mov_b32 s51, exec_lo
	v_cmpx_gt_u32_e32 8, v33
; %bb.38:                               ;   in Loop: Header=BB265_13 Depth=1
	v_ffbh_u32_e32 v31, v31
	v_min_u32_e32 v33, 32, v31
	v_subrev_nc_u32_e32 v31, 28, v33
	v_lshlrev_b64 v[31:32], v31, v[3:4]
	v_sub_nc_u32_e32 v32, 29, v33
	v_and_b32_e32 v31, 7, v31
; %bb.39:                               ;   in Loop: Header=BB265_13 Depth=1
	s_or_b32 exec_lo, exec_lo, s51
	v_lshlrev_b32_e32 v33, 8, v3
	v_lshl_add_u32 v32, v32, 10, 0x2000
	v_lshlrev_b32_e32 v31, 7, v31
	v_and_b32_e32 v33, 0x8000, v33
	v_and_b32_e32 v32, 0xfc00, v32
	v_or3_b32 v31, v33, v32, v31
.LBB265_40:                             ;   in Loop: Header=BB265_13 Depth=1
	s_or_b32 exec_lo, exec_lo, s50
.LBB265_41:                             ;   in Loop: Header=BB265_13 Depth=1
	s_or_b32 exec_lo, exec_lo, s49
.LBB265_42:                             ;   in Loop: Header=BB265_13 Depth=1
	s_or_b32 exec_lo, exec_lo, s48
	v_lshrrev_b16 v3, 8, v3
	s_mov_b32 s48, exec_lo
	v_cmpx_ne_u16_e32 0, v3
	s_cbranch_execz .LBB265_50
; %bb.43:                               ;   in Loop: Header=BB265_13 Depth=1
	v_bfrev_b32_e32 v30, 1
	s_mov_b32 s49, exec_lo
	v_cmpx_ne_u16_e32 0x80, v3
	s_cbranch_execz .LBB265_49
; %bb.44:                               ;   in Loop: Header=BB265_13 Depth=1
	v_and_b32_sdwa v33, v3, v20 dst_sel:DWORD dst_unused:UNUSED_PAD src0_sel:WORD_0 src1_sel:DWORD
	v_mov_b32_e32 v30, 0x7c010000
	s_mov_b32 s50, exec_lo
	v_cmpx_ne_u32_e32 0x7f, v33
	s_cbranch_execz .LBB265_48
; %bb.45:                               ;   in Loop: Header=BB265_13 Depth=1
	v_and_b32_sdwa v30, v3, v21 dst_sel:DWORD dst_unused:UNUSED_PAD src0_sel:WORD_0 src1_sel:DWORD
	v_lshrrev_b32_e32 v32, 3, v33
	s_mov_b32 s51, exec_lo
	v_cmpx_gt_u32_e32 8, v33
; %bb.46:                               ;   in Loop: Header=BB265_13 Depth=1
	v_ffbh_u32_e32 v30, v30
	v_min_u32_e32 v30, 32, v30
	v_subrev_nc_u32_e32 v32, 28, v30
	v_lshlrev_b64 v[33:34], v32, v[3:4]
	v_sub_nc_u32_e32 v32, 29, v30
	v_and_b32_e32 v30, 7, v33
; %bb.47:                               ;   in Loop: Header=BB265_13 Depth=1
	s_or_b32 exec_lo, exec_lo, s51
	v_lshlrev_b32_sdwa v3, v22, v3 dst_sel:DWORD dst_unused:UNUSED_PAD src0_sel:DWORD src1_sel:WORD_0
	v_lshl_add_u32 v32, v32, 10, 0x2000
	v_lshlrev_b32_e32 v30, 23, v30
	v_and_or_b32 v3, 0x8000, v3, v32
	v_lshl_or_b32 v30, v3, 16, v30
.LBB265_48:                             ;   in Loop: Header=BB265_13 Depth=1
	s_or_b32 exec_lo, exec_lo, s50
.LBB265_49:                             ;   in Loop: Header=BB265_13 Depth=1
	s_or_b32 exec_lo, exec_lo, s49
.LBB265_50:                             ;   in Loop: Header=BB265_13 Depth=1
	s_or_b32 exec_lo, exec_lo, s48
	global_load_ushort v33, v[9:10], off offset:128
	v_mov_b32_e32 v32, 0
	s_waitcnt vmcnt(0)
	v_and_b32_e32 v3, 0xffff, v33
	v_cmp_ne_u16_sdwa s2, v33, v4 src0_sel:BYTE_0 src1_sel:DWORD
	v_mov_b32_e32 v33, 0
	s_and_saveexec_b32 s48, s2
	s_cbranch_execz .LBB265_58
; %bb.51:                               ;   in Loop: Header=BB265_13 Depth=1
	v_cmp_ne_u16_sdwa s2, v3, v19 src0_sel:BYTE_0 src1_sel:DWORD
	v_mov_b32_e32 v33, 0x8000
	s_and_saveexec_b32 s49, s2
	s_cbranch_execz .LBB265_57
; %bb.52:                               ;   in Loop: Header=BB265_13 Depth=1
	v_and_b32_e32 v35, 0x7f, v3
	v_mov_b32_e32 v33, 0x7c01
	s_mov_b32 s50, exec_lo
	v_cmpx_ne_u32_e32 0x7f, v35
	s_cbranch_execz .LBB265_56
; %bb.53:                               ;   in Loop: Header=BB265_13 Depth=1
	v_and_b32_e32 v33, 7, v3
	v_lshrrev_b32_e32 v34, 3, v35
	s_mov_b32 s51, exec_lo
	v_cmpx_gt_u32_e32 8, v35
; %bb.54:                               ;   in Loop: Header=BB265_13 Depth=1
	v_ffbh_u32_e32 v33, v33
	v_min_u32_e32 v35, 32, v33
	v_subrev_nc_u32_e32 v33, 28, v35
	v_lshlrev_b64 v[33:34], v33, v[3:4]
	v_sub_nc_u32_e32 v34, 29, v35
	v_and_b32_e32 v33, 7, v33
; %bb.55:                               ;   in Loop: Header=BB265_13 Depth=1
	s_or_b32 exec_lo, exec_lo, s51
	v_lshlrev_b32_e32 v35, 8, v3
	v_lshl_add_u32 v34, v34, 10, 0x2000
	v_lshlrev_b32_e32 v33, 7, v33
	v_and_b32_e32 v35, 0x8000, v35
	v_and_b32_e32 v34, 0xfc00, v34
	v_or3_b32 v33, v35, v34, v33
.LBB265_56:                             ;   in Loop: Header=BB265_13 Depth=1
	s_or_b32 exec_lo, exec_lo, s50
.LBB265_57:                             ;   in Loop: Header=BB265_13 Depth=1
	s_or_b32 exec_lo, exec_lo, s49
.LBB265_58:                             ;   in Loop: Header=BB265_13 Depth=1
	s_or_b32 exec_lo, exec_lo, s48
	v_lshrrev_b16 v3, 8, v3
	s_mov_b32 s48, exec_lo
	v_cmpx_ne_u16_e32 0, v3
	s_cbranch_execz .LBB265_66
; %bb.59:                               ;   in Loop: Header=BB265_13 Depth=1
	v_bfrev_b32_e32 v32, 1
	s_mov_b32 s49, exec_lo
	v_cmpx_ne_u16_e32 0x80, v3
	s_cbranch_execz .LBB265_65
; %bb.60:                               ;   in Loop: Header=BB265_13 Depth=1
	v_and_b32_sdwa v35, v3, v20 dst_sel:DWORD dst_unused:UNUSED_PAD src0_sel:WORD_0 src1_sel:DWORD
	v_mov_b32_e32 v32, 0x7c010000
	s_mov_b32 s50, exec_lo
	v_cmpx_ne_u32_e32 0x7f, v35
	s_cbranch_execz .LBB265_64
; %bb.61:                               ;   in Loop: Header=BB265_13 Depth=1
	v_and_b32_sdwa v32, v3, v21 dst_sel:DWORD dst_unused:UNUSED_PAD src0_sel:WORD_0 src1_sel:DWORD
	v_lshrrev_b32_e32 v34, 3, v35
	s_mov_b32 s51, exec_lo
	v_cmpx_gt_u32_e32 8, v35
; %bb.62:                               ;   in Loop: Header=BB265_13 Depth=1
	v_ffbh_u32_e32 v32, v32
	v_min_u32_e32 v32, 32, v32
	v_subrev_nc_u32_e32 v34, 28, v32
	v_lshlrev_b64 v[35:36], v34, v[3:4]
	v_sub_nc_u32_e32 v34, 29, v32
	v_and_b32_e32 v32, 7, v35
; %bb.63:                               ;   in Loop: Header=BB265_13 Depth=1
	s_or_b32 exec_lo, exec_lo, s51
	v_lshlrev_b32_sdwa v3, v22, v3 dst_sel:DWORD dst_unused:UNUSED_PAD src0_sel:DWORD src1_sel:WORD_0
	v_lshl_add_u32 v34, v34, 10, 0x2000
	v_lshlrev_b32_e32 v32, 23, v32
	v_and_or_b32 v3, 0x8000, v3, v34
	v_lshl_or_b32 v32, v3, 16, v32
.LBB265_64:                             ;   in Loop: Header=BB265_13 Depth=1
	s_or_b32 exec_lo, exec_lo, s50
.LBB265_65:                             ;   in Loop: Header=BB265_13 Depth=1
	s_or_b32 exec_lo, exec_lo, s49
.LBB265_66:                             ;   in Loop: Header=BB265_13 Depth=1
	s_or_b32 exec_lo, exec_lo, s48
	global_load_ushort v35, v[9:10], off offset:136
	v_mov_b32_e32 v34, 0
	s_waitcnt vmcnt(0)
	v_and_b32_e32 v3, 0xffff, v35
	v_cmp_ne_u16_sdwa s2, v35, v4 src0_sel:BYTE_0 src1_sel:DWORD
	v_mov_b32_e32 v35, 0
	s_and_saveexec_b32 s48, s2
	s_cbranch_execz .LBB265_74
; %bb.67:                               ;   in Loop: Header=BB265_13 Depth=1
	v_cmp_ne_u16_sdwa s2, v3, v19 src0_sel:BYTE_0 src1_sel:DWORD
	v_mov_b32_e32 v35, 0x8000
	s_and_saveexec_b32 s49, s2
	s_cbranch_execz .LBB265_73
; %bb.68:                               ;   in Loop: Header=BB265_13 Depth=1
	v_and_b32_e32 v37, 0x7f, v3
	v_mov_b32_e32 v35, 0x7c01
	s_mov_b32 s50, exec_lo
	v_cmpx_ne_u32_e32 0x7f, v37
	s_cbranch_execz .LBB265_72
; %bb.69:                               ;   in Loop: Header=BB265_13 Depth=1
	v_and_b32_e32 v35, 7, v3
	v_lshrrev_b32_e32 v36, 3, v37
	s_mov_b32 s51, exec_lo
	v_cmpx_gt_u32_e32 8, v37
; %bb.70:                               ;   in Loop: Header=BB265_13 Depth=1
	v_ffbh_u32_e32 v35, v35
	v_min_u32_e32 v37, 32, v35
	v_subrev_nc_u32_e32 v35, 28, v37
	v_lshlrev_b64 v[35:36], v35, v[3:4]
	v_sub_nc_u32_e32 v36, 29, v37
	v_and_b32_e32 v35, 7, v35
; %bb.71:                               ;   in Loop: Header=BB265_13 Depth=1
	s_or_b32 exec_lo, exec_lo, s51
	v_lshlrev_b32_e32 v37, 8, v3
	v_lshl_add_u32 v36, v36, 10, 0x2000
	v_lshlrev_b32_e32 v35, 7, v35
	v_and_b32_e32 v37, 0x8000, v37
	v_and_b32_e32 v36, 0xfc00, v36
	v_or3_b32 v35, v37, v36, v35
.LBB265_72:                             ;   in Loop: Header=BB265_13 Depth=1
	s_or_b32 exec_lo, exec_lo, s50
.LBB265_73:                             ;   in Loop: Header=BB265_13 Depth=1
	s_or_b32 exec_lo, exec_lo, s49
.LBB265_74:                             ;   in Loop: Header=BB265_13 Depth=1
	s_or_b32 exec_lo, exec_lo, s48
	v_lshrrev_b16 v3, 8, v3
	s_mov_b32 s48, exec_lo
	v_cmpx_ne_u16_e32 0, v3
	s_cbranch_execz .LBB265_82
; %bb.75:                               ;   in Loop: Header=BB265_13 Depth=1
	v_bfrev_b32_e32 v34, 1
	s_mov_b32 s49, exec_lo
	v_cmpx_ne_u16_e32 0x80, v3
	s_cbranch_execz .LBB265_81
; %bb.76:                               ;   in Loop: Header=BB265_13 Depth=1
	v_and_b32_sdwa v37, v3, v20 dst_sel:DWORD dst_unused:UNUSED_PAD src0_sel:WORD_0 src1_sel:DWORD
	v_mov_b32_e32 v34, 0x7c010000
	s_mov_b32 s50, exec_lo
	v_cmpx_ne_u32_e32 0x7f, v37
	s_cbranch_execz .LBB265_80
; %bb.77:                               ;   in Loop: Header=BB265_13 Depth=1
	v_and_b32_sdwa v34, v3, v21 dst_sel:DWORD dst_unused:UNUSED_PAD src0_sel:WORD_0 src1_sel:DWORD
	v_lshrrev_b32_e32 v36, 3, v37
	s_mov_b32 s51, exec_lo
	v_cmpx_gt_u32_e32 8, v37
; %bb.78:                               ;   in Loop: Header=BB265_13 Depth=1
	v_ffbh_u32_e32 v34, v34
	v_min_u32_e32 v34, 32, v34
	v_subrev_nc_u32_e32 v36, 28, v34
	v_lshlrev_b64 v[37:38], v36, v[3:4]
	v_sub_nc_u32_e32 v36, 29, v34
	v_and_b32_e32 v34, 7, v37
; %bb.79:                               ;   in Loop: Header=BB265_13 Depth=1
	s_or_b32 exec_lo, exec_lo, s51
	v_lshlrev_b32_sdwa v3, v22, v3 dst_sel:DWORD dst_unused:UNUSED_PAD src0_sel:DWORD src1_sel:WORD_0
	v_lshl_add_u32 v36, v36, 10, 0x2000
	v_lshlrev_b32_e32 v34, 23, v34
	v_and_or_b32 v3, 0x8000, v3, v36
	v_lshl_or_b32 v34, v3, 16, v34
.LBB265_80:                             ;   in Loop: Header=BB265_13 Depth=1
	s_or_b32 exec_lo, exec_lo, s50
.LBB265_81:                             ;   in Loop: Header=BB265_13 Depth=1
	s_or_b32 exec_lo, exec_lo, s49
.LBB265_82:                             ;   in Loop: Header=BB265_13 Depth=1
	s_or_b32 exec_lo, exec_lo, s48
	global_load_ushort v37, v[9:10], off offset:256
	v_mov_b32_e32 v36, 0
	s_waitcnt vmcnt(0)
	v_and_b32_e32 v3, 0xffff, v37
	v_cmp_ne_u16_sdwa s2, v37, v4 src0_sel:BYTE_0 src1_sel:DWORD
	v_mov_b32_e32 v37, 0
	s_and_saveexec_b32 s48, s2
	s_cbranch_execz .LBB265_90
; %bb.83:                               ;   in Loop: Header=BB265_13 Depth=1
	v_cmp_ne_u16_sdwa s2, v3, v19 src0_sel:BYTE_0 src1_sel:DWORD
	v_mov_b32_e32 v37, 0x8000
	s_and_saveexec_b32 s49, s2
	s_cbranch_execz .LBB265_89
; %bb.84:                               ;   in Loop: Header=BB265_13 Depth=1
	v_and_b32_e32 v39, 0x7f, v3
	v_mov_b32_e32 v37, 0x7c01
	s_mov_b32 s50, exec_lo
	v_cmpx_ne_u32_e32 0x7f, v39
	s_cbranch_execz .LBB265_88
; %bb.85:                               ;   in Loop: Header=BB265_13 Depth=1
	v_and_b32_e32 v37, 7, v3
	v_lshrrev_b32_e32 v38, 3, v39
	s_mov_b32 s51, exec_lo
	v_cmpx_gt_u32_e32 8, v39
; %bb.86:                               ;   in Loop: Header=BB265_13 Depth=1
	v_ffbh_u32_e32 v37, v37
	v_min_u32_e32 v39, 32, v37
	v_subrev_nc_u32_e32 v37, 28, v39
	v_lshlrev_b64 v[37:38], v37, v[3:4]
	v_sub_nc_u32_e32 v38, 29, v39
	v_and_b32_e32 v37, 7, v37
; %bb.87:                               ;   in Loop: Header=BB265_13 Depth=1
	s_or_b32 exec_lo, exec_lo, s51
	v_lshlrev_b32_e32 v39, 8, v3
	v_lshl_add_u32 v38, v38, 10, 0x2000
	v_lshlrev_b32_e32 v37, 7, v37
	v_and_b32_e32 v39, 0x8000, v39
	v_and_b32_e32 v38, 0xfc00, v38
	v_or3_b32 v37, v39, v38, v37
.LBB265_88:                             ;   in Loop: Header=BB265_13 Depth=1
	s_or_b32 exec_lo, exec_lo, s50
.LBB265_89:                             ;   in Loop: Header=BB265_13 Depth=1
	s_or_b32 exec_lo, exec_lo, s49
.LBB265_90:                             ;   in Loop: Header=BB265_13 Depth=1
	s_or_b32 exec_lo, exec_lo, s48
	v_lshrrev_b16 v3, 8, v3
	s_mov_b32 s48, exec_lo
	v_cmpx_ne_u16_e32 0, v3
	s_cbranch_execz .LBB265_98
; %bb.91:                               ;   in Loop: Header=BB265_13 Depth=1
	v_bfrev_b32_e32 v36, 1
	s_mov_b32 s49, exec_lo
	v_cmpx_ne_u16_e32 0x80, v3
	s_cbranch_execz .LBB265_97
; %bb.92:                               ;   in Loop: Header=BB265_13 Depth=1
	v_and_b32_sdwa v39, v3, v20 dst_sel:DWORD dst_unused:UNUSED_PAD src0_sel:WORD_0 src1_sel:DWORD
	v_mov_b32_e32 v36, 0x7c010000
	s_mov_b32 s50, exec_lo
	v_cmpx_ne_u32_e32 0x7f, v39
	s_cbranch_execz .LBB265_96
; %bb.93:                               ;   in Loop: Header=BB265_13 Depth=1
	v_and_b32_sdwa v36, v3, v21 dst_sel:DWORD dst_unused:UNUSED_PAD src0_sel:WORD_0 src1_sel:DWORD
	v_lshrrev_b32_e32 v38, 3, v39
	s_mov_b32 s51, exec_lo
	v_cmpx_gt_u32_e32 8, v39
; %bb.94:                               ;   in Loop: Header=BB265_13 Depth=1
	v_ffbh_u32_e32 v36, v36
	v_min_u32_e32 v36, 32, v36
	v_subrev_nc_u32_e32 v38, 28, v36
	v_lshlrev_b64 v[39:40], v38, v[3:4]
	v_sub_nc_u32_e32 v38, 29, v36
	v_and_b32_e32 v36, 7, v39
; %bb.95:                               ;   in Loop: Header=BB265_13 Depth=1
	s_or_b32 exec_lo, exec_lo, s51
	v_lshlrev_b32_sdwa v3, v22, v3 dst_sel:DWORD dst_unused:UNUSED_PAD src0_sel:DWORD src1_sel:WORD_0
	v_lshl_add_u32 v38, v38, 10, 0x2000
	v_lshlrev_b32_e32 v36, 23, v36
	v_and_or_b32 v3, 0x8000, v3, v38
	v_lshl_or_b32 v36, v3, 16, v36
.LBB265_96:                             ;   in Loop: Header=BB265_13 Depth=1
	s_or_b32 exec_lo, exec_lo, s50
.LBB265_97:                             ;   in Loop: Header=BB265_13 Depth=1
	s_or_b32 exec_lo, exec_lo, s49
.LBB265_98:                             ;   in Loop: Header=BB265_13 Depth=1
	s_or_b32 exec_lo, exec_lo, s48
	global_load_ushort v39, v[9:10], off offset:264
	v_mov_b32_e32 v38, 0
	s_waitcnt vmcnt(0)
	v_and_b32_e32 v3, 0xffff, v39
	v_cmp_ne_u16_sdwa s2, v39, v4 src0_sel:BYTE_0 src1_sel:DWORD
	v_mov_b32_e32 v39, 0
	s_and_saveexec_b32 s48, s2
	s_cbranch_execz .LBB265_106
; %bb.99:                               ;   in Loop: Header=BB265_13 Depth=1
	v_cmp_ne_u16_sdwa s2, v3, v19 src0_sel:BYTE_0 src1_sel:DWORD
	v_mov_b32_e32 v39, 0x8000
	s_and_saveexec_b32 s49, s2
	s_cbranch_execz .LBB265_105
; %bb.100:                              ;   in Loop: Header=BB265_13 Depth=1
	v_and_b32_e32 v41, 0x7f, v3
	v_mov_b32_e32 v39, 0x7c01
	s_mov_b32 s50, exec_lo
	v_cmpx_ne_u32_e32 0x7f, v41
	s_cbranch_execz .LBB265_104
; %bb.101:                              ;   in Loop: Header=BB265_13 Depth=1
	v_and_b32_e32 v39, 7, v3
	v_lshrrev_b32_e32 v40, 3, v41
	s_mov_b32 s51, exec_lo
	v_cmpx_gt_u32_e32 8, v41
; %bb.102:                              ;   in Loop: Header=BB265_13 Depth=1
	v_ffbh_u32_e32 v39, v39
	v_min_u32_e32 v41, 32, v39
	v_subrev_nc_u32_e32 v39, 28, v41
	v_lshlrev_b64 v[39:40], v39, v[3:4]
	v_sub_nc_u32_e32 v40, 29, v41
	v_and_b32_e32 v39, 7, v39
; %bb.103:                              ;   in Loop: Header=BB265_13 Depth=1
	s_or_b32 exec_lo, exec_lo, s51
	v_lshlrev_b32_e32 v41, 8, v3
	v_lshl_add_u32 v40, v40, 10, 0x2000
	v_lshlrev_b32_e32 v39, 7, v39
	v_and_b32_e32 v41, 0x8000, v41
	v_and_b32_e32 v40, 0xfc00, v40
	v_or3_b32 v39, v41, v40, v39
.LBB265_104:                            ;   in Loop: Header=BB265_13 Depth=1
	s_or_b32 exec_lo, exec_lo, s50
.LBB265_105:                            ;   in Loop: Header=BB265_13 Depth=1
	s_or_b32 exec_lo, exec_lo, s49
.LBB265_106:                            ;   in Loop: Header=BB265_13 Depth=1
	s_or_b32 exec_lo, exec_lo, s48
	v_lshrrev_b16 v3, 8, v3
	s_mov_b32 s48, exec_lo
	v_cmpx_ne_u16_e32 0, v3
	s_cbranch_execz .LBB265_114
; %bb.107:                              ;   in Loop: Header=BB265_13 Depth=1
	v_bfrev_b32_e32 v38, 1
	s_mov_b32 s49, exec_lo
	v_cmpx_ne_u16_e32 0x80, v3
	s_cbranch_execz .LBB265_113
; %bb.108:                              ;   in Loop: Header=BB265_13 Depth=1
	v_and_b32_sdwa v41, v3, v20 dst_sel:DWORD dst_unused:UNUSED_PAD src0_sel:WORD_0 src1_sel:DWORD
	v_mov_b32_e32 v38, 0x7c010000
	s_mov_b32 s50, exec_lo
	v_cmpx_ne_u32_e32 0x7f, v41
	s_cbranch_execz .LBB265_112
; %bb.109:                              ;   in Loop: Header=BB265_13 Depth=1
	v_and_b32_sdwa v38, v3, v21 dst_sel:DWORD dst_unused:UNUSED_PAD src0_sel:WORD_0 src1_sel:DWORD
	v_lshrrev_b32_e32 v40, 3, v41
	s_mov_b32 s51, exec_lo
	v_cmpx_gt_u32_e32 8, v41
; %bb.110:                              ;   in Loop: Header=BB265_13 Depth=1
	v_ffbh_u32_e32 v38, v38
	v_min_u32_e32 v38, 32, v38
	v_subrev_nc_u32_e32 v40, 28, v38
	v_lshlrev_b64 v[41:42], v40, v[3:4]
	v_sub_nc_u32_e32 v40, 29, v38
	v_and_b32_e32 v38, 7, v41
; %bb.111:                              ;   in Loop: Header=BB265_13 Depth=1
	s_or_b32 exec_lo, exec_lo, s51
	v_lshlrev_b32_sdwa v3, v22, v3 dst_sel:DWORD dst_unused:UNUSED_PAD src0_sel:DWORD src1_sel:WORD_0
	v_lshl_add_u32 v40, v40, 10, 0x2000
	v_lshlrev_b32_e32 v38, 23, v38
	v_and_or_b32 v3, 0x8000, v3, v40
	v_lshl_or_b32 v38, v3, 16, v38
.LBB265_112:                            ;   in Loop: Header=BB265_13 Depth=1
	s_or_b32 exec_lo, exec_lo, s50
.LBB265_113:                            ;   in Loop: Header=BB265_13 Depth=1
	s_or_b32 exec_lo, exec_lo, s49
.LBB265_114:                            ;   in Loop: Header=BB265_13 Depth=1
	s_or_b32 exec_lo, exec_lo, s48
	global_load_ushort v41, v[9:10], off offset:384
	v_mov_b32_e32 v40, 0
	s_waitcnt vmcnt(0)
	v_and_b32_e32 v3, 0xffff, v41
	v_cmp_ne_u16_sdwa s2, v41, v4 src0_sel:BYTE_0 src1_sel:DWORD
	v_mov_b32_e32 v41, 0
	s_and_saveexec_b32 s48, s2
	s_cbranch_execz .LBB265_122
; %bb.115:                              ;   in Loop: Header=BB265_13 Depth=1
	v_cmp_ne_u16_sdwa s2, v3, v19 src0_sel:BYTE_0 src1_sel:DWORD
	v_mov_b32_e32 v41, 0x8000
	s_and_saveexec_b32 s49, s2
	s_cbranch_execz .LBB265_121
; %bb.116:                              ;   in Loop: Header=BB265_13 Depth=1
	v_and_b32_e32 v43, 0x7f, v3
	v_mov_b32_e32 v41, 0x7c01
	s_mov_b32 s50, exec_lo
	v_cmpx_ne_u32_e32 0x7f, v43
	s_cbranch_execz .LBB265_120
; %bb.117:                              ;   in Loop: Header=BB265_13 Depth=1
	v_and_b32_e32 v41, 7, v3
	v_lshrrev_b32_e32 v42, 3, v43
	s_mov_b32 s51, exec_lo
	v_cmpx_gt_u32_e32 8, v43
; %bb.118:                              ;   in Loop: Header=BB265_13 Depth=1
	v_ffbh_u32_e32 v41, v41
	v_min_u32_e32 v43, 32, v41
	v_subrev_nc_u32_e32 v41, 28, v43
	v_lshlrev_b64 v[41:42], v41, v[3:4]
	v_sub_nc_u32_e32 v42, 29, v43
	v_and_b32_e32 v41, 7, v41
; %bb.119:                              ;   in Loop: Header=BB265_13 Depth=1
	s_or_b32 exec_lo, exec_lo, s51
	v_lshlrev_b32_e32 v43, 8, v3
	v_lshl_add_u32 v42, v42, 10, 0x2000
	v_lshlrev_b32_e32 v41, 7, v41
	v_and_b32_e32 v43, 0x8000, v43
	v_and_b32_e32 v42, 0xfc00, v42
	v_or3_b32 v41, v43, v42, v41
.LBB265_120:                            ;   in Loop: Header=BB265_13 Depth=1
	s_or_b32 exec_lo, exec_lo, s50
.LBB265_121:                            ;   in Loop: Header=BB265_13 Depth=1
	s_or_b32 exec_lo, exec_lo, s49
.LBB265_122:                            ;   in Loop: Header=BB265_13 Depth=1
	s_or_b32 exec_lo, exec_lo, s48
	v_lshrrev_b16 v3, 8, v3
	s_mov_b32 s48, exec_lo
	v_cmpx_ne_u16_e32 0, v3
	s_cbranch_execz .LBB265_130
; %bb.123:                              ;   in Loop: Header=BB265_13 Depth=1
	v_bfrev_b32_e32 v40, 1
	s_mov_b32 s49, exec_lo
	v_cmpx_ne_u16_e32 0x80, v3
	s_cbranch_execz .LBB265_129
; %bb.124:                              ;   in Loop: Header=BB265_13 Depth=1
	v_and_b32_sdwa v43, v3, v20 dst_sel:DWORD dst_unused:UNUSED_PAD src0_sel:WORD_0 src1_sel:DWORD
	v_mov_b32_e32 v40, 0x7c010000
	s_mov_b32 s50, exec_lo
	v_cmpx_ne_u32_e32 0x7f, v43
	s_cbranch_execz .LBB265_128
; %bb.125:                              ;   in Loop: Header=BB265_13 Depth=1
	v_and_b32_sdwa v40, v3, v21 dst_sel:DWORD dst_unused:UNUSED_PAD src0_sel:WORD_0 src1_sel:DWORD
	v_lshrrev_b32_e32 v42, 3, v43
	s_mov_b32 s51, exec_lo
	v_cmpx_gt_u32_e32 8, v43
; %bb.126:                              ;   in Loop: Header=BB265_13 Depth=1
	v_ffbh_u32_e32 v40, v40
	v_min_u32_e32 v40, 32, v40
	v_subrev_nc_u32_e32 v42, 28, v40
	v_lshlrev_b64 v[43:44], v42, v[3:4]
	v_sub_nc_u32_e32 v42, 29, v40
	v_and_b32_e32 v40, 7, v43
; %bb.127:                              ;   in Loop: Header=BB265_13 Depth=1
	s_or_b32 exec_lo, exec_lo, s51
	v_lshlrev_b32_sdwa v3, v22, v3 dst_sel:DWORD dst_unused:UNUSED_PAD src0_sel:DWORD src1_sel:WORD_0
	v_lshl_add_u32 v42, v42, 10, 0x2000
	v_lshlrev_b32_e32 v40, 23, v40
	v_and_or_b32 v3, 0x8000, v3, v42
	v_lshl_or_b32 v40, v3, 16, v40
.LBB265_128:                            ;   in Loop: Header=BB265_13 Depth=1
	s_or_b32 exec_lo, exec_lo, s50
.LBB265_129:                            ;   in Loop: Header=BB265_13 Depth=1
	s_or_b32 exec_lo, exec_lo, s49
.LBB265_130:                            ;   in Loop: Header=BB265_13 Depth=1
	s_or_b32 exec_lo, exec_lo, s48
	global_load_ushort v43, v[9:10], off offset:392
	v_mov_b32_e32 v42, 0
	s_waitcnt vmcnt(0)
	v_and_b32_e32 v3, 0xffff, v43
	v_cmp_ne_u16_sdwa s2, v43, v4 src0_sel:BYTE_0 src1_sel:DWORD
	v_mov_b32_e32 v43, 0
	s_and_saveexec_b32 s48, s2
	s_cbranch_execz .LBB265_138
; %bb.131:                              ;   in Loop: Header=BB265_13 Depth=1
	v_cmp_ne_u16_sdwa s2, v3, v19 src0_sel:BYTE_0 src1_sel:DWORD
	v_mov_b32_e32 v43, 0x8000
	s_and_saveexec_b32 s49, s2
	s_cbranch_execz .LBB265_137
; %bb.132:                              ;   in Loop: Header=BB265_13 Depth=1
	v_and_b32_e32 v45, 0x7f, v3
	v_mov_b32_e32 v43, 0x7c01
	s_mov_b32 s50, exec_lo
	v_cmpx_ne_u32_e32 0x7f, v45
	s_cbranch_execz .LBB265_136
; %bb.133:                              ;   in Loop: Header=BB265_13 Depth=1
	v_and_b32_e32 v43, 7, v3
	v_lshrrev_b32_e32 v44, 3, v45
	s_mov_b32 s51, exec_lo
	v_cmpx_gt_u32_e32 8, v45
; %bb.134:                              ;   in Loop: Header=BB265_13 Depth=1
	v_ffbh_u32_e32 v43, v43
	v_min_u32_e32 v45, 32, v43
	v_subrev_nc_u32_e32 v43, 28, v45
	v_lshlrev_b64 v[43:44], v43, v[3:4]
	v_sub_nc_u32_e32 v44, 29, v45
	v_and_b32_e32 v43, 7, v43
; %bb.135:                              ;   in Loop: Header=BB265_13 Depth=1
	s_or_b32 exec_lo, exec_lo, s51
	v_lshlrev_b32_e32 v45, 8, v3
	v_lshl_add_u32 v44, v44, 10, 0x2000
	v_lshlrev_b32_e32 v43, 7, v43
	v_and_b32_e32 v45, 0x8000, v45
	v_and_b32_e32 v44, 0xfc00, v44
	v_or3_b32 v43, v45, v44, v43
.LBB265_136:                            ;   in Loop: Header=BB265_13 Depth=1
	s_or_b32 exec_lo, exec_lo, s50
.LBB265_137:                            ;   in Loop: Header=BB265_13 Depth=1
	s_or_b32 exec_lo, exec_lo, s49
.LBB265_138:                            ;   in Loop: Header=BB265_13 Depth=1
	s_or_b32 exec_lo, exec_lo, s48
	v_lshrrev_b16 v3, 8, v3
	s_mov_b32 s48, exec_lo
	v_cmpx_ne_u16_e32 0, v3
	s_cbranch_execz .LBB265_146
; %bb.139:                              ;   in Loop: Header=BB265_13 Depth=1
	v_bfrev_b32_e32 v42, 1
	s_mov_b32 s49, exec_lo
	v_cmpx_ne_u16_e32 0x80, v3
	s_cbranch_execz .LBB265_145
; %bb.140:                              ;   in Loop: Header=BB265_13 Depth=1
	v_and_b32_sdwa v45, v3, v20 dst_sel:DWORD dst_unused:UNUSED_PAD src0_sel:WORD_0 src1_sel:DWORD
	v_mov_b32_e32 v42, 0x7c010000
	s_mov_b32 s50, exec_lo
	v_cmpx_ne_u32_e32 0x7f, v45
	s_cbranch_execz .LBB265_144
; %bb.141:                              ;   in Loop: Header=BB265_13 Depth=1
	v_and_b32_sdwa v42, v3, v21 dst_sel:DWORD dst_unused:UNUSED_PAD src0_sel:WORD_0 src1_sel:DWORD
	v_lshrrev_b32_e32 v44, 3, v45
	s_mov_b32 s51, exec_lo
	v_cmpx_gt_u32_e32 8, v45
; %bb.142:                              ;   in Loop: Header=BB265_13 Depth=1
	v_ffbh_u32_e32 v42, v42
	v_min_u32_e32 v42, 32, v42
	v_subrev_nc_u32_e32 v44, 28, v42
	v_lshlrev_b64 v[45:46], v44, v[3:4]
	v_sub_nc_u32_e32 v44, 29, v42
	v_and_b32_e32 v42, 7, v45
; %bb.143:                              ;   in Loop: Header=BB265_13 Depth=1
	s_or_b32 exec_lo, exec_lo, s51
	v_lshlrev_b32_sdwa v3, v22, v3 dst_sel:DWORD dst_unused:UNUSED_PAD src0_sel:DWORD src1_sel:WORD_0
	v_lshl_add_u32 v44, v44, 10, 0x2000
	v_lshlrev_b32_e32 v42, 23, v42
	v_and_or_b32 v3, 0x8000, v3, v44
	v_lshl_or_b32 v42, v3, 16, v42
.LBB265_144:                            ;   in Loop: Header=BB265_13 Depth=1
	s_or_b32 exec_lo, exec_lo, s50
.LBB265_145:                            ;   in Loop: Header=BB265_13 Depth=1
	s_or_b32 exec_lo, exec_lo, s49
.LBB265_146:                            ;   in Loop: Header=BB265_13 Depth=1
	s_or_b32 exec_lo, exec_lo, s48
	global_load_ushort v45, v[9:10], off offset:512
	v_mov_b32_e32 v44, 0
	s_waitcnt vmcnt(0)
	v_and_b32_e32 v3, 0xffff, v45
	v_cmp_ne_u16_sdwa s2, v45, v4 src0_sel:BYTE_0 src1_sel:DWORD
	v_mov_b32_e32 v45, 0
	s_and_saveexec_b32 s48, s2
	s_cbranch_execz .LBB265_154
; %bb.147:                              ;   in Loop: Header=BB265_13 Depth=1
	v_cmp_ne_u16_sdwa s2, v3, v19 src0_sel:BYTE_0 src1_sel:DWORD
	v_mov_b32_e32 v45, 0x8000
	s_and_saveexec_b32 s49, s2
	s_cbranch_execz .LBB265_153
; %bb.148:                              ;   in Loop: Header=BB265_13 Depth=1
	v_and_b32_e32 v47, 0x7f, v3
	v_mov_b32_e32 v45, 0x7c01
	s_mov_b32 s50, exec_lo
	v_cmpx_ne_u32_e32 0x7f, v47
	s_cbranch_execz .LBB265_152
; %bb.149:                              ;   in Loop: Header=BB265_13 Depth=1
	v_and_b32_e32 v45, 7, v3
	v_lshrrev_b32_e32 v46, 3, v47
	s_mov_b32 s51, exec_lo
	v_cmpx_gt_u32_e32 8, v47
; %bb.150:                              ;   in Loop: Header=BB265_13 Depth=1
	v_ffbh_u32_e32 v45, v45
	v_min_u32_e32 v47, 32, v45
	v_subrev_nc_u32_e32 v45, 28, v47
	v_lshlrev_b64 v[45:46], v45, v[3:4]
	v_sub_nc_u32_e32 v46, 29, v47
	v_and_b32_e32 v45, 7, v45
; %bb.151:                              ;   in Loop: Header=BB265_13 Depth=1
	s_or_b32 exec_lo, exec_lo, s51
	v_lshlrev_b32_e32 v47, 8, v3
	v_lshl_add_u32 v46, v46, 10, 0x2000
	v_lshlrev_b32_e32 v45, 7, v45
	v_and_b32_e32 v47, 0x8000, v47
	v_and_b32_e32 v46, 0xfc00, v46
	v_or3_b32 v45, v47, v46, v45
.LBB265_152:                            ;   in Loop: Header=BB265_13 Depth=1
	s_or_b32 exec_lo, exec_lo, s50
.LBB265_153:                            ;   in Loop: Header=BB265_13 Depth=1
	s_or_b32 exec_lo, exec_lo, s49
.LBB265_154:                            ;   in Loop: Header=BB265_13 Depth=1
	s_or_b32 exec_lo, exec_lo, s48
	v_lshrrev_b16 v3, 8, v3
	s_mov_b32 s48, exec_lo
	v_cmpx_ne_u16_e32 0, v3
	s_cbranch_execz .LBB265_162
; %bb.155:                              ;   in Loop: Header=BB265_13 Depth=1
	v_bfrev_b32_e32 v44, 1
	s_mov_b32 s49, exec_lo
	v_cmpx_ne_u16_e32 0x80, v3
	s_cbranch_execz .LBB265_161
; %bb.156:                              ;   in Loop: Header=BB265_13 Depth=1
	v_and_b32_sdwa v47, v3, v20 dst_sel:DWORD dst_unused:UNUSED_PAD src0_sel:WORD_0 src1_sel:DWORD
	v_mov_b32_e32 v44, 0x7c010000
	s_mov_b32 s50, exec_lo
	v_cmpx_ne_u32_e32 0x7f, v47
	s_cbranch_execz .LBB265_160
; %bb.157:                              ;   in Loop: Header=BB265_13 Depth=1
	v_and_b32_sdwa v44, v3, v21 dst_sel:DWORD dst_unused:UNUSED_PAD src0_sel:WORD_0 src1_sel:DWORD
	v_lshrrev_b32_e32 v46, 3, v47
	s_mov_b32 s51, exec_lo
	v_cmpx_gt_u32_e32 8, v47
; %bb.158:                              ;   in Loop: Header=BB265_13 Depth=1
	v_ffbh_u32_e32 v44, v44
	v_min_u32_e32 v44, 32, v44
	v_subrev_nc_u32_e32 v46, 28, v44
	v_lshlrev_b64 v[47:48], v46, v[3:4]
	v_sub_nc_u32_e32 v46, 29, v44
	v_and_b32_e32 v44, 7, v47
; %bb.159:                              ;   in Loop: Header=BB265_13 Depth=1
	s_or_b32 exec_lo, exec_lo, s51
	v_lshlrev_b32_sdwa v3, v22, v3 dst_sel:DWORD dst_unused:UNUSED_PAD src0_sel:DWORD src1_sel:WORD_0
	v_lshl_add_u32 v46, v46, 10, 0x2000
	v_lshlrev_b32_e32 v44, 23, v44
	v_and_or_b32 v3, 0x8000, v3, v46
	v_lshl_or_b32 v44, v3, 16, v44
.LBB265_160:                            ;   in Loop: Header=BB265_13 Depth=1
	s_or_b32 exec_lo, exec_lo, s50
.LBB265_161:                            ;   in Loop: Header=BB265_13 Depth=1
	s_or_b32 exec_lo, exec_lo, s49
.LBB265_162:                            ;   in Loop: Header=BB265_13 Depth=1
	s_or_b32 exec_lo, exec_lo, s48
	global_load_ushort v47, v[9:10], off offset:520
	v_mov_b32_e32 v46, 0
	s_waitcnt vmcnt(0)
	v_and_b32_e32 v3, 0xffff, v47
	v_cmp_ne_u16_sdwa s2, v47, v4 src0_sel:BYTE_0 src1_sel:DWORD
	v_mov_b32_e32 v47, 0
	s_and_saveexec_b32 s48, s2
	s_cbranch_execz .LBB265_170
; %bb.163:                              ;   in Loop: Header=BB265_13 Depth=1
	v_cmp_ne_u16_sdwa s2, v3, v19 src0_sel:BYTE_0 src1_sel:DWORD
	v_mov_b32_e32 v47, 0x8000
	s_and_saveexec_b32 s49, s2
	s_cbranch_execz .LBB265_169
; %bb.164:                              ;   in Loop: Header=BB265_13 Depth=1
	v_and_b32_e32 v49, 0x7f, v3
	v_mov_b32_e32 v47, 0x7c01
	s_mov_b32 s50, exec_lo
	v_cmpx_ne_u32_e32 0x7f, v49
	s_cbranch_execz .LBB265_168
; %bb.165:                              ;   in Loop: Header=BB265_13 Depth=1
	v_and_b32_e32 v47, 7, v3
	v_lshrrev_b32_e32 v48, 3, v49
	s_mov_b32 s51, exec_lo
	v_cmpx_gt_u32_e32 8, v49
; %bb.166:                              ;   in Loop: Header=BB265_13 Depth=1
	v_ffbh_u32_e32 v47, v47
	v_min_u32_e32 v49, 32, v47
	v_subrev_nc_u32_e32 v47, 28, v49
	v_lshlrev_b64 v[47:48], v47, v[3:4]
	v_sub_nc_u32_e32 v48, 29, v49
	v_and_b32_e32 v47, 7, v47
; %bb.167:                              ;   in Loop: Header=BB265_13 Depth=1
	s_or_b32 exec_lo, exec_lo, s51
	v_lshlrev_b32_e32 v49, 8, v3
	v_lshl_add_u32 v48, v48, 10, 0x2000
	v_lshlrev_b32_e32 v47, 7, v47
	v_and_b32_e32 v49, 0x8000, v49
	v_and_b32_e32 v48, 0xfc00, v48
	v_or3_b32 v47, v49, v48, v47
.LBB265_168:                            ;   in Loop: Header=BB265_13 Depth=1
	s_or_b32 exec_lo, exec_lo, s50
.LBB265_169:                            ;   in Loop: Header=BB265_13 Depth=1
	s_or_b32 exec_lo, exec_lo, s49
.LBB265_170:                            ;   in Loop: Header=BB265_13 Depth=1
	s_or_b32 exec_lo, exec_lo, s48
	v_lshrrev_b16 v3, 8, v3
	s_mov_b32 s48, exec_lo
	v_cmpx_ne_u16_e32 0, v3
	s_cbranch_execz .LBB265_178
; %bb.171:                              ;   in Loop: Header=BB265_13 Depth=1
	v_bfrev_b32_e32 v46, 1
	s_mov_b32 s49, exec_lo
	v_cmpx_ne_u16_e32 0x80, v3
	s_cbranch_execz .LBB265_177
; %bb.172:                              ;   in Loop: Header=BB265_13 Depth=1
	v_and_b32_sdwa v49, v3, v20 dst_sel:DWORD dst_unused:UNUSED_PAD src0_sel:WORD_0 src1_sel:DWORD
	v_mov_b32_e32 v46, 0x7c010000
	s_mov_b32 s50, exec_lo
	v_cmpx_ne_u32_e32 0x7f, v49
	s_cbranch_execz .LBB265_176
; %bb.173:                              ;   in Loop: Header=BB265_13 Depth=1
	v_and_b32_sdwa v46, v3, v21 dst_sel:DWORD dst_unused:UNUSED_PAD src0_sel:WORD_0 src1_sel:DWORD
	v_lshrrev_b32_e32 v48, 3, v49
	s_mov_b32 s51, exec_lo
	v_cmpx_gt_u32_e32 8, v49
; %bb.174:                              ;   in Loop: Header=BB265_13 Depth=1
	v_ffbh_u32_e32 v46, v46
	v_min_u32_e32 v46, 32, v46
	v_subrev_nc_u32_e32 v48, 28, v46
	v_lshlrev_b64 v[49:50], v48, v[3:4]
	v_sub_nc_u32_e32 v48, 29, v46
	v_and_b32_e32 v46, 7, v49
; %bb.175:                              ;   in Loop: Header=BB265_13 Depth=1
	s_or_b32 exec_lo, exec_lo, s51
	v_lshlrev_b32_sdwa v3, v22, v3 dst_sel:DWORD dst_unused:UNUSED_PAD src0_sel:DWORD src1_sel:WORD_0
	v_lshl_add_u32 v48, v48, 10, 0x2000
	v_lshlrev_b32_e32 v46, 23, v46
	v_and_or_b32 v3, 0x8000, v3, v48
	v_lshl_or_b32 v46, v3, 16, v46
.LBB265_176:                            ;   in Loop: Header=BB265_13 Depth=1
	s_or_b32 exec_lo, exec_lo, s50
.LBB265_177:                            ;   in Loop: Header=BB265_13 Depth=1
	s_or_b32 exec_lo, exec_lo, s49
.LBB265_178:                            ;   in Loop: Header=BB265_13 Depth=1
	s_or_b32 exec_lo, exec_lo, s48
	global_load_ushort v49, v[9:10], off offset:640
	v_mov_b32_e32 v48, 0
	s_waitcnt vmcnt(0)
	v_and_b32_e32 v3, 0xffff, v49
	v_cmp_ne_u16_sdwa s2, v49, v4 src0_sel:BYTE_0 src1_sel:DWORD
	v_mov_b32_e32 v49, 0
	s_and_saveexec_b32 s48, s2
	s_cbranch_execz .LBB265_186
; %bb.179:                              ;   in Loop: Header=BB265_13 Depth=1
	v_cmp_ne_u16_sdwa s2, v3, v19 src0_sel:BYTE_0 src1_sel:DWORD
	v_mov_b32_e32 v49, 0x8000
	s_and_saveexec_b32 s49, s2
	s_cbranch_execz .LBB265_185
; %bb.180:                              ;   in Loop: Header=BB265_13 Depth=1
	v_and_b32_e32 v51, 0x7f, v3
	v_mov_b32_e32 v49, 0x7c01
	s_mov_b32 s50, exec_lo
	v_cmpx_ne_u32_e32 0x7f, v51
	s_cbranch_execz .LBB265_184
; %bb.181:                              ;   in Loop: Header=BB265_13 Depth=1
	v_and_b32_e32 v49, 7, v3
	v_lshrrev_b32_e32 v50, 3, v51
	s_mov_b32 s51, exec_lo
	v_cmpx_gt_u32_e32 8, v51
; %bb.182:                              ;   in Loop: Header=BB265_13 Depth=1
	v_ffbh_u32_e32 v49, v49
	v_min_u32_e32 v51, 32, v49
	v_subrev_nc_u32_e32 v49, 28, v51
	v_lshlrev_b64 v[49:50], v49, v[3:4]
	v_sub_nc_u32_e32 v50, 29, v51
	v_and_b32_e32 v49, 7, v49
; %bb.183:                              ;   in Loop: Header=BB265_13 Depth=1
	s_or_b32 exec_lo, exec_lo, s51
	v_lshlrev_b32_e32 v51, 8, v3
	v_lshl_add_u32 v50, v50, 10, 0x2000
	v_lshlrev_b32_e32 v49, 7, v49
	v_and_b32_e32 v51, 0x8000, v51
	v_and_b32_e32 v50, 0xfc00, v50
	v_or3_b32 v49, v51, v50, v49
.LBB265_184:                            ;   in Loop: Header=BB265_13 Depth=1
	s_or_b32 exec_lo, exec_lo, s50
.LBB265_185:                            ;   in Loop: Header=BB265_13 Depth=1
	s_or_b32 exec_lo, exec_lo, s49
.LBB265_186:                            ;   in Loop: Header=BB265_13 Depth=1
	s_or_b32 exec_lo, exec_lo, s48
	v_lshrrev_b16 v3, 8, v3
	s_mov_b32 s48, exec_lo
	v_cmpx_ne_u16_e32 0, v3
	s_cbranch_execz .LBB265_194
; %bb.187:                              ;   in Loop: Header=BB265_13 Depth=1
	v_bfrev_b32_e32 v48, 1
	s_mov_b32 s49, exec_lo
	v_cmpx_ne_u16_e32 0x80, v3
	s_cbranch_execz .LBB265_193
; %bb.188:                              ;   in Loop: Header=BB265_13 Depth=1
	v_and_b32_sdwa v51, v3, v20 dst_sel:DWORD dst_unused:UNUSED_PAD src0_sel:WORD_0 src1_sel:DWORD
	v_mov_b32_e32 v48, 0x7c010000
	s_mov_b32 s50, exec_lo
	v_cmpx_ne_u32_e32 0x7f, v51
	s_cbranch_execz .LBB265_192
; %bb.189:                              ;   in Loop: Header=BB265_13 Depth=1
	v_and_b32_sdwa v48, v3, v21 dst_sel:DWORD dst_unused:UNUSED_PAD src0_sel:WORD_0 src1_sel:DWORD
	v_lshrrev_b32_e32 v50, 3, v51
	s_mov_b32 s51, exec_lo
	v_cmpx_gt_u32_e32 8, v51
; %bb.190:                              ;   in Loop: Header=BB265_13 Depth=1
	v_ffbh_u32_e32 v48, v48
	v_min_u32_e32 v48, 32, v48
	v_subrev_nc_u32_e32 v50, 28, v48
	v_lshlrev_b64 v[51:52], v50, v[3:4]
	v_sub_nc_u32_e32 v50, 29, v48
	v_and_b32_e32 v48, 7, v51
; %bb.191:                              ;   in Loop: Header=BB265_13 Depth=1
	s_or_b32 exec_lo, exec_lo, s51
	v_lshlrev_b32_sdwa v3, v22, v3 dst_sel:DWORD dst_unused:UNUSED_PAD src0_sel:DWORD src1_sel:WORD_0
	v_lshl_add_u32 v50, v50, 10, 0x2000
	v_lshlrev_b32_e32 v48, 23, v48
	v_and_or_b32 v3, 0x8000, v3, v50
	v_lshl_or_b32 v48, v3, 16, v48
.LBB265_192:                            ;   in Loop: Header=BB265_13 Depth=1
	s_or_b32 exec_lo, exec_lo, s50
.LBB265_193:                            ;   in Loop: Header=BB265_13 Depth=1
	s_or_b32 exec_lo, exec_lo, s49
.LBB265_194:                            ;   in Loop: Header=BB265_13 Depth=1
	s_or_b32 exec_lo, exec_lo, s48
	global_load_ushort v51, v[9:10], off offset:648
	v_mov_b32_e32 v50, 0
	s_waitcnt vmcnt(0)
	v_and_b32_e32 v3, 0xffff, v51
	v_cmp_ne_u16_sdwa s2, v51, v4 src0_sel:BYTE_0 src1_sel:DWORD
	v_mov_b32_e32 v51, 0
	s_and_saveexec_b32 s48, s2
	s_cbranch_execz .LBB265_202
; %bb.195:                              ;   in Loop: Header=BB265_13 Depth=1
	v_cmp_ne_u16_sdwa s2, v3, v19 src0_sel:BYTE_0 src1_sel:DWORD
	v_mov_b32_e32 v51, 0x8000
	s_and_saveexec_b32 s49, s2
	s_cbranch_execz .LBB265_201
; %bb.196:                              ;   in Loop: Header=BB265_13 Depth=1
	v_and_b32_e32 v53, 0x7f, v3
	v_mov_b32_e32 v51, 0x7c01
	s_mov_b32 s50, exec_lo
	v_cmpx_ne_u32_e32 0x7f, v53
	s_cbranch_execz .LBB265_200
; %bb.197:                              ;   in Loop: Header=BB265_13 Depth=1
	v_and_b32_e32 v51, 7, v3
	v_lshrrev_b32_e32 v52, 3, v53
	s_mov_b32 s51, exec_lo
	v_cmpx_gt_u32_e32 8, v53
; %bb.198:                              ;   in Loop: Header=BB265_13 Depth=1
	v_ffbh_u32_e32 v51, v51
	v_min_u32_e32 v53, 32, v51
	v_subrev_nc_u32_e32 v51, 28, v53
	v_lshlrev_b64 v[51:52], v51, v[3:4]
	v_sub_nc_u32_e32 v52, 29, v53
	v_and_b32_e32 v51, 7, v51
; %bb.199:                              ;   in Loop: Header=BB265_13 Depth=1
	s_or_b32 exec_lo, exec_lo, s51
	v_lshlrev_b32_e32 v53, 8, v3
	v_lshl_add_u32 v52, v52, 10, 0x2000
	v_lshlrev_b32_e32 v51, 7, v51
	v_and_b32_e32 v53, 0x8000, v53
	v_and_b32_e32 v52, 0xfc00, v52
	v_or3_b32 v51, v53, v52, v51
.LBB265_200:                            ;   in Loop: Header=BB265_13 Depth=1
	s_or_b32 exec_lo, exec_lo, s50
.LBB265_201:                            ;   in Loop: Header=BB265_13 Depth=1
	s_or_b32 exec_lo, exec_lo, s49
.LBB265_202:                            ;   in Loop: Header=BB265_13 Depth=1
	s_or_b32 exec_lo, exec_lo, s48
	v_lshrrev_b16 v3, 8, v3
	s_mov_b32 s48, exec_lo
	v_cmpx_ne_u16_e32 0, v3
	s_cbranch_execz .LBB265_210
; %bb.203:                              ;   in Loop: Header=BB265_13 Depth=1
	v_bfrev_b32_e32 v50, 1
	s_mov_b32 s49, exec_lo
	v_cmpx_ne_u16_e32 0x80, v3
	s_cbranch_execz .LBB265_209
; %bb.204:                              ;   in Loop: Header=BB265_13 Depth=1
	v_and_b32_sdwa v53, v3, v20 dst_sel:DWORD dst_unused:UNUSED_PAD src0_sel:WORD_0 src1_sel:DWORD
	v_mov_b32_e32 v50, 0x7c010000
	s_mov_b32 s50, exec_lo
	v_cmpx_ne_u32_e32 0x7f, v53
	s_cbranch_execz .LBB265_208
; %bb.205:                              ;   in Loop: Header=BB265_13 Depth=1
	v_and_b32_sdwa v50, v3, v21 dst_sel:DWORD dst_unused:UNUSED_PAD src0_sel:WORD_0 src1_sel:DWORD
	v_lshrrev_b32_e32 v52, 3, v53
	s_mov_b32 s51, exec_lo
	v_cmpx_gt_u32_e32 8, v53
; %bb.206:                              ;   in Loop: Header=BB265_13 Depth=1
	v_ffbh_u32_e32 v50, v50
	v_min_u32_e32 v50, 32, v50
	v_subrev_nc_u32_e32 v52, 28, v50
	v_lshlrev_b64 v[53:54], v52, v[3:4]
	v_sub_nc_u32_e32 v52, 29, v50
	v_and_b32_e32 v50, 7, v53
; %bb.207:                              ;   in Loop: Header=BB265_13 Depth=1
	s_or_b32 exec_lo, exec_lo, s51
	v_lshlrev_b32_sdwa v3, v22, v3 dst_sel:DWORD dst_unused:UNUSED_PAD src0_sel:DWORD src1_sel:WORD_0
	v_lshl_add_u32 v52, v52, 10, 0x2000
	v_lshlrev_b32_e32 v50, 23, v50
	v_and_or_b32 v3, 0x8000, v3, v52
	v_lshl_or_b32 v50, v3, 16, v50
.LBB265_208:                            ;   in Loop: Header=BB265_13 Depth=1
	s_or_b32 exec_lo, exec_lo, s50
.LBB265_209:                            ;   in Loop: Header=BB265_13 Depth=1
	s_or_b32 exec_lo, exec_lo, s49
.LBB265_210:                            ;   in Loop: Header=BB265_13 Depth=1
	s_or_b32 exec_lo, exec_lo, s48
	global_load_ushort v53, v[9:10], off offset:768
	v_mov_b32_e32 v52, 0
	s_waitcnt vmcnt(0)
	v_and_b32_e32 v3, 0xffff, v53
	v_cmp_ne_u16_sdwa s2, v53, v4 src0_sel:BYTE_0 src1_sel:DWORD
	v_mov_b32_e32 v53, 0
	s_and_saveexec_b32 s48, s2
	s_cbranch_execz .LBB265_218
; %bb.211:                              ;   in Loop: Header=BB265_13 Depth=1
	v_cmp_ne_u16_sdwa s2, v3, v19 src0_sel:BYTE_0 src1_sel:DWORD
	v_mov_b32_e32 v53, 0x8000
	s_and_saveexec_b32 s49, s2
	s_cbranch_execz .LBB265_217
; %bb.212:                              ;   in Loop: Header=BB265_13 Depth=1
	v_and_b32_e32 v55, 0x7f, v3
	v_mov_b32_e32 v53, 0x7c01
	s_mov_b32 s50, exec_lo
	v_cmpx_ne_u32_e32 0x7f, v55
	s_cbranch_execz .LBB265_216
; %bb.213:                              ;   in Loop: Header=BB265_13 Depth=1
	v_and_b32_e32 v53, 7, v3
	v_lshrrev_b32_e32 v54, 3, v55
	s_mov_b32 s51, exec_lo
	v_cmpx_gt_u32_e32 8, v55
; %bb.214:                              ;   in Loop: Header=BB265_13 Depth=1
	v_ffbh_u32_e32 v53, v53
	v_min_u32_e32 v55, 32, v53
	v_subrev_nc_u32_e32 v53, 28, v55
	v_lshlrev_b64 v[53:54], v53, v[3:4]
	v_sub_nc_u32_e32 v54, 29, v55
	v_and_b32_e32 v53, 7, v53
; %bb.215:                              ;   in Loop: Header=BB265_13 Depth=1
	s_or_b32 exec_lo, exec_lo, s51
	v_lshlrev_b32_e32 v55, 8, v3
	v_lshl_add_u32 v54, v54, 10, 0x2000
	v_lshlrev_b32_e32 v53, 7, v53
	v_and_b32_e32 v55, 0x8000, v55
	v_and_b32_e32 v54, 0xfc00, v54
	v_or3_b32 v53, v55, v54, v53
.LBB265_216:                            ;   in Loop: Header=BB265_13 Depth=1
	s_or_b32 exec_lo, exec_lo, s50
.LBB265_217:                            ;   in Loop: Header=BB265_13 Depth=1
	s_or_b32 exec_lo, exec_lo, s49
.LBB265_218:                            ;   in Loop: Header=BB265_13 Depth=1
	s_or_b32 exec_lo, exec_lo, s48
	v_lshrrev_b16 v3, 8, v3
	s_mov_b32 s48, exec_lo
	v_cmpx_ne_u16_e32 0, v3
	s_cbranch_execz .LBB265_226
; %bb.219:                              ;   in Loop: Header=BB265_13 Depth=1
	v_bfrev_b32_e32 v52, 1
	s_mov_b32 s49, exec_lo
	v_cmpx_ne_u16_e32 0x80, v3
	s_cbranch_execz .LBB265_225
; %bb.220:                              ;   in Loop: Header=BB265_13 Depth=1
	v_and_b32_sdwa v55, v3, v20 dst_sel:DWORD dst_unused:UNUSED_PAD src0_sel:WORD_0 src1_sel:DWORD
	v_mov_b32_e32 v52, 0x7c010000
	s_mov_b32 s50, exec_lo
	v_cmpx_ne_u32_e32 0x7f, v55
	s_cbranch_execz .LBB265_224
; %bb.221:                              ;   in Loop: Header=BB265_13 Depth=1
	v_and_b32_sdwa v52, v3, v21 dst_sel:DWORD dst_unused:UNUSED_PAD src0_sel:WORD_0 src1_sel:DWORD
	v_lshrrev_b32_e32 v54, 3, v55
	s_mov_b32 s51, exec_lo
	v_cmpx_gt_u32_e32 8, v55
; %bb.222:                              ;   in Loop: Header=BB265_13 Depth=1
	v_ffbh_u32_e32 v52, v52
	v_min_u32_e32 v52, 32, v52
	v_subrev_nc_u32_e32 v54, 28, v52
	v_lshlrev_b64 v[55:56], v54, v[3:4]
	v_sub_nc_u32_e32 v54, 29, v52
	v_and_b32_e32 v52, 7, v55
; %bb.223:                              ;   in Loop: Header=BB265_13 Depth=1
	s_or_b32 exec_lo, exec_lo, s51
	v_lshlrev_b32_sdwa v3, v22, v3 dst_sel:DWORD dst_unused:UNUSED_PAD src0_sel:DWORD src1_sel:WORD_0
	v_lshl_add_u32 v54, v54, 10, 0x2000
	v_lshlrev_b32_e32 v52, 23, v52
	v_and_or_b32 v3, 0x8000, v3, v54
	v_lshl_or_b32 v52, v3, 16, v52
.LBB265_224:                            ;   in Loop: Header=BB265_13 Depth=1
	s_or_b32 exec_lo, exec_lo, s50
.LBB265_225:                            ;   in Loop: Header=BB265_13 Depth=1
	s_or_b32 exec_lo, exec_lo, s49
.LBB265_226:                            ;   in Loop: Header=BB265_13 Depth=1
	s_or_b32 exec_lo, exec_lo, s48
	global_load_ushort v10, v[9:10], off offset:776
	v_mov_b32_e32 v9, 0
	s_waitcnt vmcnt(0)
	v_and_b32_e32 v3, 0xffff, v10
	v_cmp_ne_u16_sdwa s2, v10, v4 src0_sel:BYTE_0 src1_sel:DWORD
	v_mov_b32_e32 v10, 0
	s_and_saveexec_b32 s48, s2
	s_cbranch_execz .LBB265_234
; %bb.227:                              ;   in Loop: Header=BB265_13 Depth=1
	v_cmp_ne_u16_sdwa s2, v3, v19 src0_sel:BYTE_0 src1_sel:DWORD
	v_mov_b32_e32 v10, 0x8000
	s_and_saveexec_b32 s49, s2
	s_cbranch_execz .LBB265_233
; %bb.228:                              ;   in Loop: Header=BB265_13 Depth=1
	v_and_b32_e32 v55, 0x7f, v3
	v_mov_b32_e32 v10, 0x7c01
	s_mov_b32 s50, exec_lo
	v_cmpx_ne_u32_e32 0x7f, v55
	s_cbranch_execz .LBB265_232
; %bb.229:                              ;   in Loop: Header=BB265_13 Depth=1
	v_and_b32_e32 v10, 7, v3
	v_lshrrev_b32_e32 v54, 3, v55
	s_mov_b32 s51, exec_lo
	v_cmpx_gt_u32_e32 8, v55
; %bb.230:                              ;   in Loop: Header=BB265_13 Depth=1
	v_ffbh_u32_e32 v10, v10
	v_min_u32_e32 v10, 32, v10
	v_subrev_nc_u32_e32 v54, 28, v10
	v_lshlrev_b64 v[55:56], v54, v[3:4]
	v_sub_nc_u32_e32 v54, 29, v10
	v_and_b32_e32 v10, 7, v55
; %bb.231:                              ;   in Loop: Header=BB265_13 Depth=1
	s_or_b32 exec_lo, exec_lo, s51
	v_lshlrev_b32_e32 v55, 8, v3
	v_lshl_add_u32 v54, v54, 10, 0x2000
	v_lshlrev_b32_e32 v10, 7, v10
	v_and_b32_e32 v55, 0x8000, v55
	v_and_b32_e32 v54, 0xfc00, v54
	v_or3_b32 v10, v55, v54, v10
.LBB265_232:                            ;   in Loop: Header=BB265_13 Depth=1
	s_or_b32 exec_lo, exec_lo, s50
.LBB265_233:                            ;   in Loop: Header=BB265_13 Depth=1
	s_or_b32 exec_lo, exec_lo, s49
.LBB265_234:                            ;   in Loop: Header=BB265_13 Depth=1
	s_or_b32 exec_lo, exec_lo, s48
	v_lshrrev_b16 v3, 8, v3
	s_mov_b32 s48, exec_lo
	v_cmpx_ne_u16_e32 0, v3
	s_cbranch_execz .LBB265_242
; %bb.235:                              ;   in Loop: Header=BB265_13 Depth=1
	v_bfrev_b32_e32 v9, 1
	s_mov_b32 s49, exec_lo
	v_cmpx_ne_u16_e32 0x80, v3
	s_cbranch_execz .LBB265_241
; %bb.236:                              ;   in Loop: Header=BB265_13 Depth=1
	v_and_b32_sdwa v55, v3, v20 dst_sel:DWORD dst_unused:UNUSED_PAD src0_sel:WORD_0 src1_sel:DWORD
	v_mov_b32_e32 v9, 0x7c010000
	s_mov_b32 s50, exec_lo
	v_cmpx_ne_u32_e32 0x7f, v55
	s_cbranch_execz .LBB265_240
; %bb.237:                              ;   in Loop: Header=BB265_13 Depth=1
	v_and_b32_sdwa v9, v3, v21 dst_sel:DWORD dst_unused:UNUSED_PAD src0_sel:WORD_0 src1_sel:DWORD
	v_lshrrev_b32_e32 v54, 3, v55
	s_mov_b32 s51, exec_lo
	v_cmpx_gt_u32_e32 8, v55
; %bb.238:                              ;   in Loop: Header=BB265_13 Depth=1
	v_ffbh_u32_e32 v9, v9
	v_min_u32_e32 v9, 32, v9
	v_subrev_nc_u32_e32 v54, 28, v9
	v_lshlrev_b64 v[55:56], v54, v[3:4]
	v_sub_nc_u32_e32 v54, 29, v9
	v_and_b32_e32 v9, 7, v55
; %bb.239:                              ;   in Loop: Header=BB265_13 Depth=1
	s_or_b32 exec_lo, exec_lo, s51
	v_lshlrev_b32_sdwa v3, v22, v3 dst_sel:DWORD dst_unused:UNUSED_PAD src0_sel:DWORD src1_sel:WORD_0
	v_lshl_add_u32 v54, v54, 10, 0x2000
	v_lshlrev_b32_e32 v9, 23, v9
	v_and_or_b32 v3, 0x8000, v3, v54
	v_lshl_or_b32 v9, v3, 16, v9
.LBB265_240:                            ;   in Loop: Header=BB265_13 Depth=1
	s_or_b32 exec_lo, exec_lo, s50
.LBB265_241:                            ;   in Loop: Header=BB265_13 Depth=1
	s_or_b32 exec_lo, exec_lo, s49
.LBB265_242:                            ;   in Loop: Header=BB265_13 Depth=1
	s_or_b32 exec_lo, exec_lo, s48
	ds_read_b32 v3, v16
	v_or_b32_e32 v29, v28, v29
	v_fma_mixlo_f16 v28, v27, v28, 0 op_sel:[0,1,0] op_sel_hi:[0,1,0]
	v_or_b32_e32 v31, v30, v31
	v_fma_mixlo_f16 v30, v27, v30, 0 op_sel:[0,1,0] op_sel_hi:[0,1,0]
	v_or_b32_e32 v33, v32, v33
	v_fma_mixlo_f16 v29, v27, v29, 0 op_sel_hi:[0,1,0]
	v_and_b32_e32 v56, 0xffff, v28
	v_fma_mixlo_f16 v31, v27, v31, 0 op_sel_hi:[0,1,0]
	v_and_b32_e32 v58, 0xffff, v30
	;; [unrolled: 2-line block ×3, first 2 shown]
	v_fma_mixlo_f16 v32, v27, v32, 0 op_sel:[0,1,0] op_sel_hi:[0,1,0]
	v_and_b32_e32 v57, 0xffff, v31
	v_or_b32_e32 v35, v34, v35
	v_and_b32_e32 v59, 0xffff, v33
	v_fma_mixlo_f16 v34, v27, v34, 0 op_sel:[0,1,0] op_sel_hi:[0,1,0]
	v_and_b32_e32 v60, 0xffff, v32
	v_or_b32_e32 v37, v36, v37
	v_fma_mixlo_f16 v35, v27, v35, 0 op_sel_hi:[0,1,0]
	s_waitcnt lgkmcnt(0)
	v_and_b32_e32 v54, 0xffff, v3
	v_lshrrev_b32_e32 v55, 16, v3
	;;#ASMSTART
	v_cvt_f32_f16 v3, v54;
	;;#ASMEND
	;;#ASMSTART
	v_cvt_f32_f16 v28, v55;
	;;#ASMEND
	;;#ASMSTART
	v_cvt_f32_f16 v29, v29;
	;;#ASMEND
	;;#ASMSTART
	v_cvt_f32_f16 v54, v56;
	;;#ASMEND
	ds_read_b32 v55, v16 offset:4
	v_and_b32_e32 v61, 0xffff, v35
	v_and_b32_e32 v62, 0xffff, v34
	v_fma_mixlo_f16 v37, v27, v37, 0 op_sel_hi:[0,1,0]
	v_fma_mixlo_f16 v36, v27, v36, 0 op_sel:[0,1,0] op_sel_hi:[0,1,0]
	v_or_b32_e32 v39, v38, v39
	v_fma_mixlo_f16 v38, v27, v38, 0 op_sel:[0,1,0] op_sel_hi:[0,1,0]
	v_or_b32_e32 v41, v40, v41
	v_and_b32_e32 v63, 0xffff, v37
	v_and_b32_e32 v64, 0xffff, v36
	v_fma_mixlo_f16 v39, v27, v39, 0 op_sel_hi:[0,1,0]
	v_and_b32_e32 v66, 0xffff, v38
	v_fma_mixlo_f16 v41, v27, v41, 0 op_sel_hi:[0,1,0]
	v_fma_mixlo_f16 v40, v27, v40, 0 op_sel:[0,1,0] op_sel_hi:[0,1,0]
	v_or_b32_e32 v43, v42, v43
	v_and_b32_e32 v65, 0xffff, v39
	v_fma_mixlo_f16 v42, v27, v42, 0 op_sel:[0,1,0] op_sel_hi:[0,1,0]
	v_and_b32_e32 v67, 0xffff, v41
	v_and_b32_e32 v68, 0xffff, v40
	v_fma_mixlo_f16 v43, v27, v43, 0 op_sel_hi:[0,1,0]
	s_waitcnt lgkmcnt(0)
	v_and_b32_e32 v56, 0xffff, v55
	v_lshrrev_b32_e32 v55, 16, v55
	;;#ASMSTART
	v_cvt_f32_f16 v30, v56;
	;;#ASMEND
	;;#ASMSTART
	v_cvt_f32_f16 v31, v55;
	;;#ASMEND
	;; [unrolled: 3-line block ×4, first 2 shown]
	ds_read_b32 v57, v16 offset:8
	v_and_b32_e32 v69, 0xffff, v43
	v_and_b32_e32 v70, 0xffff, v42
	v_or_b32_e32 v45, v44, v45
	v_fma_mixlo_f16 v44, v27, v44, 0 op_sel:[0,1,0] op_sel_hi:[0,1,0]
	v_or_b32_e32 v47, v46, v47
	v_fma_mixlo_f16 v46, v27, v46, 0 op_sel:[0,1,0] op_sel_hi:[0,1,0]
	v_or_b32_e32 v49, v48, v49
	v_fma_mixlo_f16 v45, v27, v45, 0 op_sel_hi:[0,1,0]
	v_and_b32_e32 v72, 0xffff, v44
	v_fma_mixlo_f16 v47, v27, v47, 0 op_sel_hi:[0,1,0]
	v_and_b32_e32 v74, 0xffff, v46
	;; [unrolled: 2-line block ×3, first 2 shown]
	v_fma_mixlo_f16 v48, v27, v48, 0 op_sel:[0,1,0] op_sel_hi:[0,1,0]
	v_and_b32_e32 v73, 0xffff, v47
	v_mul_f32_e32 v30, v30, v55
	v_mul_f32_e32 v31, v31, v56
	v_and_b32_e32 v75, 0xffff, v49
	v_and_b32_e32 v76, 0xffff, v48
	s_waitcnt lgkmcnt(0)
	v_and_b32_e32 v58, 0xffff, v57
	v_lshrrev_b32_e32 v57, 16, v57
	;;#ASMSTART
	v_cvt_f32_f16 v32, v58;
	;;#ASMEND
	;;#ASMSTART
	v_cvt_f32_f16 v33, v57;
	;;#ASMEND
	;; [unrolled: 3-line block ×4, first 2 shown]
	ds_read_b32 v59, v16 offset:12
	v_fmac_f32_e32 v30, v3, v29
	v_fmac_f32_e32 v31, v28, v54
	v_or_b32_e32 v51, v50, v51
	v_fma_mixlo_f16 v50, v27, v50, 0 op_sel:[0,1,0] op_sel_hi:[0,1,0]
	v_or_b32_e32 v10, v9, v10
	v_fmac_f32_e32 v30, v32, v57
	v_fmac_f32_e32 v31, v33, v58
	v_fma_mixlo_f16 v51, v27, v51, 0 op_sel_hi:[0,1,0]
	v_and_b32_e32 v50, 0xffff, v50
	v_fma_mixlo_f16 v10, v27, v10, 0 op_sel_hi:[0,1,0]
	v_fma_mixlo_f16 v9, v27, v9, 0 op_sel:[0,1,0] op_sel_hi:[0,1,0]
	v_and_b32_e32 v29, 0xffff, v51
	s_waitcnt lgkmcnt(0)
	v_and_b32_e32 v60, 0xffff, v59
	v_lshrrev_b32_e32 v59, 16, v59
	;;#ASMSTART
	v_cvt_f32_f16 v34, v60;
	;;#ASMEND
	;;#ASMSTART
	v_cvt_f32_f16 v35, v59;
	;;#ASMEND
	;; [unrolled: 3-line block ×4, first 2 shown]
	ds_read_b32 v61, v16 offset:16
	v_fmac_f32_e32 v30, v34, v59
	v_fmac_f32_e32 v31, v35, v60
	v_or_b32_e32 v34, v52, v53
	v_fma_mixlo_f16 v35, v27, v52, 0 op_sel:[0,1,0] op_sel_hi:[0,1,0]
	v_fma_mixlo_f16 v34, v27, v34, 0 op_sel_hi:[0,1,0]
	s_waitcnt lgkmcnt(0)
	v_and_b32_e32 v62, 0xffff, v61
	v_lshrrev_b32_e32 v61, 16, v61
	;;#ASMSTART
	v_cvt_f32_f16 v36, v62;
	;;#ASMEND
	;;#ASMSTART
	v_cvt_f32_f16 v37, v61;
	;;#ASMEND
	;; [unrolled: 3-line block ×4, first 2 shown]
	ds_read_b32 v63, v16 offset:20
	v_fmac_f32_e32 v30, v36, v61
	v_fmac_f32_e32 v31, v37, v62
	v_and_b32_e32 v36, 0xffff, v35
	s_waitcnt lgkmcnt(0)
	v_and_b32_e32 v64, 0xffff, v63
	v_lshrrev_b32_e32 v63, 16, v63
	;;#ASMSTART
	v_cvt_f32_f16 v38, v64;
	;;#ASMEND
	;;#ASMSTART
	v_cvt_f32_f16 v39, v63;
	;;#ASMEND
	;; [unrolled: 3-line block ×4, first 2 shown]
	ds_read_b32 v65, v16 offset:24
	v_fmac_f32_e32 v30, v38, v63
	v_fmac_f32_e32 v31, v39, v64
	v_and_b32_e32 v38, 0xffff, v34
	v_and_b32_e32 v39, 0xffff, v9
	s_waitcnt lgkmcnt(0)
	v_and_b32_e32 v66, 0xffff, v65
	v_lshrrev_b32_e32 v65, 16, v65
	;;#ASMSTART
	v_cvt_f32_f16 v40, v66;
	;;#ASMEND
	;;#ASMSTART
	v_cvt_f32_f16 v41, v65;
	;;#ASMEND
	;;#ASMSTART
	v_cvt_f32_f16 v65, v67;
	;;#ASMEND
	;;#ASMSTART
	v_cvt_f32_f16 v66, v68;
	;;#ASMEND
	ds_read_b32 v67, v16 offset:28
	v_fmac_f32_e32 v30, v40, v65
	v_fmac_f32_e32 v31, v41, v66
	s_waitcnt lgkmcnt(0)
	v_and_b32_e32 v68, 0xffff, v67
	v_lshrrev_b32_e32 v67, 16, v67
	;;#ASMSTART
	v_cvt_f32_f16 v42, v68;
	;;#ASMEND
	;;#ASMSTART
	v_cvt_f32_f16 v43, v67;
	;;#ASMEND
	;;#ASMSTART
	v_cvt_f32_f16 v67, v69;
	;;#ASMEND
	;;#ASMSTART
	v_cvt_f32_f16 v68, v70;
	;;#ASMEND
	ds_read_b32 v69, v16 offset:32
	v_fmac_f32_e32 v30, v42, v67
	v_fmac_f32_e32 v31, v43, v68
	;; [unrolled: 18-line block ×6, first 2 shown]
	v_and_b32_e32 v28, 0xffff, v10
	s_waitcnt lgkmcnt(0)
	v_and_b32_e32 v35, 0xffff, v33
	v_lshrrev_b32_e32 v37, 16, v33
	;;#ASMSTART
	v_cvt_f32_f16 v33, v35;
	;;#ASMEND
	;;#ASMSTART
	v_cvt_f32_f16 v34, v37;
	;;#ASMEND
	;; [unrolled: 3-line block ×4, first 2 shown]
	ds_read_b32 v37, v16 offset:52
	v_xor_b32_e32 v38, 2, v11
	v_fmac_f32_e32 v30, v33, v35
	v_fmac_f32_e32 v31, v34, v36
	v_cmp_gt_i32_e64 s2, 32, v38
	v_cndmask_b32_e64 v9, v11, v38, s2
	s_waitcnt lgkmcnt(0)
	v_and_b32_e32 v3, 0xffff, v37
	v_lshrrev_b32_e32 v27, 16, v37
	;;#ASMSTART
	v_cvt_f32_f16 v3, v3;
	;;#ASMEND
	;;#ASMSTART
	v_cvt_f32_f16 v10, v27;
	;;#ASMEND
	;; [unrolled: 3-line block ×4, first 2 shown]
	v_fmac_f32_e32 v30, v3, v27
	v_fmac_f32_e32 v31, v10, v28
	v_lshlrev_b32_e32 v3, 2, v9
	v_xor_b32_e32 v10, 1, v11
	v_add_f32_e32 v9, v30, v31
	v_cmp_gt_i32_e64 s2, 32, v10
	ds_bpermute_b32 v3, v3, v9
	v_cndmask_b32_e64 v10, v11, v10, s2
	s_waitcnt lgkmcnt(0)
	v_add_f32_e32 v3, v9, v3
	v_lshlrev_b32_e32 v9, 2, v10
	ds_bpermute_b32 v9, v9, v3
	s_and_saveexec_b32 s48, vcc_lo
	s_cbranch_execz .LBB265_11
; %bb.243:                              ;   in Loop: Header=BB265_13 Depth=1
	v_add_nc_u32_e32 v10, v23, v17
	s_waitcnt lgkmcnt(0)
	v_add_f32_e32 v3, v3, v9
	v_cvt_f32_i32_e32 v10, v10
	v_mul_f32_e32 v10, s43, v10
	v_cndmask_b32_e64 v9, 0, v10, s1
	v_max_f32_e32 v10, v14, v14
	v_fmac_f32_e32 v9, s41, v3
	v_add_nc_u32_e32 v3, v15, v17
	v_max_f32_e32 v10, v10, v9
	v_cmp_gt_i32_e64 s2, s31, v3
	v_cndmask_b32_e64 v3, 0, v9, s2
	v_cndmask_b32_e64 v14, v14, v10, s2
	ds_write_b32 v24, v3
	s_branch .LBB265_11
.LBB265_244:
	s_or_b32 exec_lo, exec_lo, s46
.LBB265_245:
	s_or_b32 exec_lo, exec_lo, s45
	v_xor_b32_e32 v3, 16, v11
	v_xor_b32_e32 v5, 8, v11
	v_max_f32_e32 v6, v14, v14
	v_xor_b32_e32 v7, 4, v11
	v_cmp_gt_i32_e32 vcc_lo, 32, v3
	v_cndmask_b32_e32 v3, v11, v3, vcc_lo
	v_cmp_gt_i32_e32 vcc_lo, 32, v5
	v_lshlrev_b32_e32 v4, 2, v3
	v_cndmask_b32_e32 v5, v11, v5, vcc_lo
	v_cmp_gt_i32_e32 vcc_lo, 32, v7
	ds_bpermute_b32 v3, v4, v14
	v_lshlrev_b32_e32 v5, 2, v5
	v_cndmask_b32_e32 v7, v11, v7, vcc_lo
	v_and_b32_e32 v14, 31, v0
	v_lshlrev_b32_e32 v8, 2, v7
	v_cmp_eq_u32_e32 vcc_lo, 0, v14
	s_waitcnt lgkmcnt(0)
	v_max_f32_e32 v3, v3, v3
	v_max_f32_e32 v3, v6, v3
	ds_bpermute_b32 v6, v5, v3
	s_waitcnt lgkmcnt(0)
	v_max_f32_e32 v6, v6, v6
	v_max_f32_e32 v3, v3, v6
	v_lshlrev_b32_e32 v6, 2, v12
	ds_bpermute_b32 v7, v8, v3
	s_and_saveexec_b32 s1, vcc_lo
	s_cbranch_execz .LBB265_247
; %bb.246:
	s_waitcnt lgkmcnt(0)
	v_max_f32_e32 v7, v7, v7
	v_max_f32_e32 v3, v3, v3
	;; [unrolled: 1-line block ×3, first 2 shown]
	ds_write_b32 v6, v3 offset:224
.LBB265_247:
	s_or_b32 exec_lo, exec_lo, s1
	v_cmp_gt_u32_e64 s1, 4, v14
	v_mov_b32_e32 v3, 0xff7fffff
	s_waitcnt lgkmcnt(0)
	v_lshlrev_b32_e32 v7, 2, v14
	s_barrier
	buffer_gl0_inv
	s_and_saveexec_b32 s2, s1
; %bb.248:
	ds_read_b32 v3, v7 offset:224
; %bb.249:
	s_or_b32 exec_lo, exec_lo, s2
	v_xor_b32_e32 v9, 2, v11
	v_xor_b32_e32 v15, 1, v11
	v_cmp_gt_i32_e64 s2, 32, v9
	v_cndmask_b32_e64 v9, v11, v9, s2
	v_cmp_gt_i32_e64 s2, 32, v15
	v_lshlrev_b32_e32 v9, 2, v9
	v_cndmask_b32_e64 v11, v11, v15, s2
	s_sub_i32 s2, s20, s44
	s_lshl_b32 s2, s2, 3
	s_waitcnt lgkmcnt(0)
	ds_bpermute_b32 v10, v9, v3
	v_max_f32_e32 v3, v3, v3
	s_add_i32 s2, s2, s42
	s_min_i32 s2, s2, s31
	s_sub_i32 s4, s2, s42
	v_cmp_gt_i32_e64 s2, s4, v0
	s_waitcnt lgkmcnt(0)
	v_max_f32_e32 v15, v10, v10
	v_lshlrev_b32_e32 v10, 2, v11
	v_max_f32_e32 v3, v3, v15
	v_lshl_add_u32 v15, v0, 2, 0x100
	ds_bpermute_b32 v11, v10, v3
	s_waitcnt lgkmcnt(0)
	v_max_f32_e32 v11, v11, v11
	v_max_f32_e32 v3, v3, v11
	v_mov_b32_e32 v11, 0
	ds_bpermute_b32 v3, v11, v3
	s_and_saveexec_b32 s5, s2
	s_cbranch_execz .LBB265_253
; %bb.250:
	v_lshl_add_u32 v16, v0, 2, 0x100
	v_mov_b32_e32 v11, 0
	v_mov_b32_e32 v17, v0
	s_mov_b32 s12, 0
	.p2align	6
.LBB265_251:                            ; =>This Inner Loop Header: Depth=1
	ds_read_b32 v18, v16
	v_add_nc_u32_e32 v17, 0x80, v17
	v_cmp_le_i32_e64 s3, s4, v17
	s_or_b32 s12, s3, s12
	s_waitcnt lgkmcnt(0)
	v_sub_f32_e32 v18, v18, v3
	v_mul_f32_e32 v18, 0x3fb8aa3b, v18
	v_exp_f32_e32 v18, v18
	ds_write_b32 v16, v18
	v_add_f32_e32 v11, v11, v18
	v_add_nc_u32_e32 v16, 0x200, v16
	s_andn2_b32 exec_lo, exec_lo, s12
	s_cbranch_execnz .LBB265_251
; %bb.252:
	s_or_b32 exec_lo, exec_lo, s12
.LBB265_253:
	s_or_b32 exec_lo, exec_lo, s5
	ds_bpermute_b32 v4, v4, v11
	s_waitcnt lgkmcnt(0)
	v_add_f32_e32 v4, v11, v4
	ds_bpermute_b32 v5, v5, v4
	s_waitcnt lgkmcnt(0)
	v_add_f32_e32 v4, v4, v5
	;; [unrolled: 3-line block ×5, first 2 shown]
	s_and_saveexec_b32 s3, vcc_lo
; %bb.254:
	ds_write_b32 v6, v4 offset:240
; %bb.255:
	s_or_b32 exec_lo, exec_lo, s3
	s_waitcnt lgkmcnt(0)
	s_barrier
	buffer_gl0_inv
	s_and_saveexec_b32 s3, s1
; %bb.256:
	ds_read_b32 v4, v7 offset:240
; %bb.257:
	s_or_b32 exec_lo, exec_lo, s3
	s_waitcnt lgkmcnt(0)
	ds_bpermute_b32 v5, v9, v4
	s_waitcnt lgkmcnt(0)
	v_add_f32_e32 v4, v4, v5
	ds_bpermute_b32 v5, v10, v4
	s_waitcnt lgkmcnt(0)
	v_add_f32_e32 v4, v4, v5
	v_mov_b32_e32 v5, 0
	ds_bpermute_b32 v4, v5, v4
	s_and_saveexec_b32 s1, s2
	s_cbranch_execz .LBB265_260
; %bb.258:
	s_waitcnt lgkmcnt(0)
	v_add_f32_e32 v6, 0x358637bd, v4
	s_mov_b32 s2, 0
	v_div_scale_f32 v5, null, v6, v6, 1.0
	v_div_scale_f32 v9, vcc_lo, 1.0, v6, 1.0
	v_rcp_f32_e32 v7, v5
	v_fma_f32 v8, -v5, v7, 1.0
	v_fmac_f32_e32 v7, v8, v7
	v_mul_f32_e32 v8, v9, v7
	v_fma_f32 v10, -v5, v8, v9
	v_fmac_f32_e32 v8, v10, v7
	v_fma_f32 v5, -v5, v8, v9
	v_div_fmas_f32 v7, v5, v7, v8
	v_mov_b32_e32 v5, v15
	v_div_fixup_f32 v6, v7, v6, 1.0
	v_mov_b32_e32 v7, v0
.LBB265_259:                            ; =>This Inner Loop Header: Depth=1
	ds_read_b32 v8, v5
	v_add_nc_u32_e32 v7, 0x80, v7
	v_cmp_le_i32_e32 vcc_lo, s4, v7
	s_or_b32 s2, vcc_lo, s2
	s_waitcnt lgkmcnt(0)
	v_mul_f32_e32 v8, v6, v8
	ds_write_b32 v5, v8
	v_add_nc_u32_e32 v5, 0x200, v5
	s_andn2_b32 exec_lo, exec_lo, s2
	s_cbranch_execnz .LBB265_259
.LBB265_260:
	s_or_b32 exec_lo, exec_lo, s1
	s_mul_i32 s1, s11, s30
	s_waitcnt lgkmcnt(0)
	s_mul_i32 s2, s1, s9
	s_mov_b32 s1, exec_lo
	s_barrier
	buffer_gl0_inv
	v_cmpx_eq_u32_e32 0, v0
	s_cbranch_execz .LBB265_262
; %bb.261:
	s_ashr_i32 s3, s2, 31
	s_mul_i32 s12, s11, s6
	s_lshl_b64 s[4:5], s[2:3], 2
	v_mov_b32_e32 v5, 0
	s_add_u32 s3, s26, s4
	s_addc_u32 s6, s27, s5
	s_ashr_i32 s13, s12, 31
	s_lshl_b64 s[12:13], s[12:13], 2
	s_add_u32 s3, s3, s12
	s_addc_u32 s6, s6, s13
	s_ashr_i32 s9, s8, 31
	s_lshl_b64 s[26:27], s[8:9], 2
	s_add_u32 s42, s3, s26
	s_addc_u32 s43, s6, s27
	s_add_u32 s3, s24, s4
	s_addc_u32 s4, s25, s5
	s_add_u32 s3, s3, s12
	s_addc_u32 s5, s4, s13
	s_add_u32 s4, s3, s26
	s_addc_u32 s5, s5, s27
	global_store_dword v5, v3, s[42:43]
	global_store_dword v5, v4, s[4:5]
.LBB265_262:
	s_or_b32 exec_lo, exec_lo, s1
	v_mov_b32_e32 v19, 0
	v_mov_b32_e32 v18, 0
	;; [unrolled: 1-line block ×4, first 2 shown]
	s_and_saveexec_b32 s3, s0
	s_cbranch_execz .LBB265_534
; %bb.263:
	s_sub_i32 s9, s40, s21
	s_ashr_i32 s0, s18, 31
	s_add_u32 s4, s38, s18
	s_addc_u32 s5, s39, s0
	s_abs_i32 s12, s22
	v_lshlrev_b64 v[4:5], 2, v[1:2]
	v_cvt_f32_u32_e32 v3, s12
	s_sub_i32 s0, 0, s12
	s_mov_b32 s13, s17
	v_or_b32_e32 v7, 0x60, v14
	s_add_i32 s17, s7, -1
	v_rcp_iflag_f32_e32 v3, v3
	v_lshlrev_b32_e32 v20, 3, v14
	v_lshl_add_u32 v21, v12, 5, 0x100
	v_mov_b32_e32 v22, 0x80
	v_mov_b32_e32 v23, 0x7f
	;; [unrolled: 1-line block ×7, first 2 shown]
	v_mul_f32_e32 v6, 0x4f7ffffe, v3
	v_mov_b32_e32 v3, 0
	v_lshlrev_b32_e32 v26, 3, v7
	v_mov_b32_e32 v19, 0
	s_mov_b32 s6, -1
	v_cvt_u32_f32_e32 v2, v6
	s_mov_b32 s7, 0xffffff
	s_mov_b32 s18, 0
	v_cmp_gt_u32_e32 vcc_lo, 0x70, v7
	v_mul_lo_u32 v6, s0, v2
	s_lshl_b64 s[0:1], s[36:37], 2
	s_add_u32 s0, s34, s0
	s_addc_u32 s1, s35, s1
	v_add_co_u32 v4, s0, s0, v4
	v_add_co_ci_u32_e64 v5, null, s1, v5, s0
	v_mul_hi_u32 v6, v2, v6
	v_add_nc_u32_e32 v27, v2, v6
	s_branch .LBB265_267
.LBB265_264:                            ;   in Loop: Header=BB265_267 Depth=1
	s_or_b32 exec_lo, exec_lo, s1
	;;#ASMSTART
	v_pk_mul_f16 v2, v33, v41;

	;;#ASMEND
	;;#ASMSTART
	v_pk_mul_f16 v6, v32, v40;

	;;#ASMEND
	;; [unrolled: 4-line block ×4, first 2 shown]
	;;#ASMSTART
	v_pk_add_f16 v2, v2, v6;

	;;#ASMEND
	;;#ASMSTART
	v_pk_add_f16 v2, v2, v7;

	;;#ASMEND
	;; [unrolled: 4-line block ×3, first 2 shown]
	v_and_b32_e32 v6, 0xffff, v2
	v_lshrrev_b32_e32 v7, 16, v2
	;;#ASMSTART
	v_cvt_f32_f16 v2, v6;
	;;#ASMEND
	;;#ASMSTART
	v_cvt_f32_f16 v6, v7;
	;;#ASMEND
	v_add_f32_e32 v2, v2, v6
	v_add_f32_e32 v16, v16, v2
.LBB265_265:                            ;   in Loop: Header=BB265_267 Depth=1
	s_or_b32 exec_lo, exec_lo, s22
	v_add_f32_e32 v2, v10, v11
	v_add_f32_e32 v6, v28, v29
	;; [unrolled: 1-line block ×6, first 2 shown]
.LBB265_266:                            ;   in Loop: Header=BB265_267 Depth=1
	s_or_b32 exec_lo, exec_lo, s21
	v_add_nc_u32_e32 v1, 4, v1
	v_add_co_u32 v4, s1, v4, 16
	v_add_co_ci_u32_e64 v5, null, 0, v5, s1
	v_cmp_le_i32_e64 s0, s20, v1
	v_add_nc_u32_e32 v13, 32, v13
	v_add_nc_u32_e32 v21, 0x80, v21
	s_or_b32 s18, s0, s18
	s_andn2_b32 exec_lo, exec_lo, s18
	s_cbranch_execz .LBB265_533
.LBB265_267:                            ; =>This Inner Loop Header: Depth=1
	v_sub_nc_u32_e32 v2, 0, v13
	v_max_i32_e32 v2, v13, v2
	v_mul_hi_u32 v6, v2, s19
	v_mul_lo_u32 v7, v6, s16
	v_sub_nc_u32_e32 v2, v2, v7
	v_add_nc_u32_e32 v7, 1, v6
	v_subrev_nc_u32_e32 v8, s16, v2
	v_cmp_le_u32_e64 s0, s16, v2
	v_cndmask_b32_e64 v6, v6, v7, s0
	v_cndmask_b32_e64 v2, v2, v8, s0
	v_ashrrev_i32_e32 v7, 31, v13
	v_add_nc_u32_e32 v8, 1, v6
	v_cmp_le_u32_e64 s0, s16, v2
	v_xor_b32_e32 v7, s23, v7
	v_cndmask_b32_e64 v2, v6, v8, s0
	v_xor_b32_e32 v2, v2, v7
	v_sub_nc_u32_e32 v2, v2, v7
	v_add_nc_u32_e32 v6, s33, v2
	v_cmp_lt_i32_e64 s1, s9, v2
	v_sub_nc_u32_e32 v7, 0, v6
	v_max_i32_e32 v7, v6, v7
	v_ashrrev_i32_e32 v6, 31, v6
	v_mul_hi_u32 v8, v7, v27
	v_mul_lo_u32 v8, v8, s12
	v_sub_nc_u32_e32 v7, v7, v8
	v_subrev_nc_u32_e32 v8, s12, v7
	v_cmp_le_u32_e64 s0, s12, v7
	v_cndmask_b32_e64 v7, v7, v8, s0
	v_subrev_nc_u32_e32 v8, s12, v7
	v_cmp_le_u32_e64 s0, s12, v7
	v_cndmask_b32_e64 v7, v7, v8, s0
	v_xor_b32_e32 v7, v7, v6
	v_sub_nc_u32_e32 v6, v7, v6
	v_cmp_eq_u32_e64 s0, 0, v6
	s_or_b32 s0, s0, s1
	s_and_saveexec_b32 s21, s0
	s_cbranch_execz .LBB265_266
; %bb.268:                              ;   in Loop: Header=BB265_267 Depth=1
	global_load_dword v2, v[4:5], off
	ds_read2_b64 v[8:11], v21 offset1:1
	ds_read2_b64 v[33:36], v21 offset0:2 offset1:3
	v_mov_b32_e32 v37, 0
	v_mov_b32_e32 v38, 0
	s_waitcnt lgkmcnt(1)
	;;#ASMSTART
	v_cvt_f16_f32 v31, v8;

	;;#ASMEND
	;;#ASMSTART
	v_cvt_f16_f32 v28, v9;

	;;#ASMEND
	;; [unrolled: 4-line block ×4, first 2 shown]
	s_waitcnt lgkmcnt(0)
	;;#ASMSTART
	v_cvt_f16_f32 v33, v33;

	;;#ASMEND
	;;#ASMSTART
	v_cvt_f16_f32 v30, v34;

	;;#ASMEND
	;; [unrolled: 4-line block ×4, first 2 shown]
	global_load_dword v36, v37, s[14:15]
	s_waitcnt vmcnt(1)
	v_mad_i64_i32 v[6:7], null, v2, s13, s[4:5]
	v_add_co_u32 v8, s0, v6, v20
	v_add_co_ci_u32_e64 v9, null, 0, v7, s0
	global_load_dwordx2 v[10:11], v[8:9], off
	s_waitcnt vmcnt(0)
	v_cmp_ne_u16_sdwa s0, v10, v3 src0_sel:BYTE_0 src1_sel:DWORD
	s_and_saveexec_b32 s1, s0
	s_cbranch_execz .LBB265_276
; %bb.269:                              ;   in Loop: Header=BB265_267 Depth=1
	v_cmp_ne_u16_sdwa s0, v10, v22 src0_sel:BYTE_0 src1_sel:DWORD
	v_mov_b32_e32 v38, 0x8000
	s_and_saveexec_b32 s22, s0
	s_cbranch_execz .LBB265_275
; %bb.270:                              ;   in Loop: Header=BB265_267 Depth=1
	v_and_b32_e32 v39, 0x7f, v10
	v_mov_b32_e32 v38, 0x7c01
	s_mov_b32 s24, exec_lo
	v_cmpx_ne_u32_e32 0x7f, v39
	s_cbranch_execz .LBB265_274
; %bb.271:                              ;   in Loop: Header=BB265_267 Depth=1
	v_and_b32_e32 v2, 7, v10
	v_lshrrev_b32_e32 v38, 3, v39
	s_mov_b32 s25, exec_lo
	v_cmpx_gt_u32_e32 8, v39
; %bb.272:                              ;   in Loop: Header=BB265_267 Depth=1
	v_ffbh_u32_e32 v2, v2
	v_min_u32_e32 v2, 32, v2
	v_subrev_nc_u32_e32 v38, 28, v2
	v_lshlrev_b64 v[39:40], v38, v[10:11]
	v_sub_nc_u32_e32 v38, 29, v2
	v_and_b32_e32 v2, 7, v39
; %bb.273:                              ;   in Loop: Header=BB265_267 Depth=1
	s_or_b32 exec_lo, exec_lo, s25
	v_lshlrev_b32_e32 v39, 8, v10
	v_lshl_add_u32 v38, v38, 10, 0x2000
	v_lshlrev_b32_e32 v2, 7, v2
	v_and_b32_e32 v39, 0x8000, v39
	v_and_b32_e32 v38, 0xfc00, v38
	v_or3_b32 v38, v39, v38, v2
.LBB265_274:                            ;   in Loop: Header=BB265_267 Depth=1
	s_or_b32 exec_lo, exec_lo, s24
.LBB265_275:                            ;   in Loop: Header=BB265_267 Depth=1
	s_or_b32 exec_lo, exec_lo, s22
.LBB265_276:                            ;   in Loop: Header=BB265_267 Depth=1
	s_or_b32 exec_lo, exec_lo, s1
	v_lshrrev_b16 v2, 8, v10
	s_mov_b32 s1, exec_lo
	v_cmpx_ne_u16_e32 0, v2
	s_cbranch_execz .LBB265_284
; %bb.277:                              ;   in Loop: Header=BB265_267 Depth=1
	v_bfrev_b32_e32 v37, 1
	s_mov_b32 s22, exec_lo
	v_cmpx_ne_u16_e32 0x80, v2
	s_cbranch_execz .LBB265_283
; %bb.278:                              ;   in Loop: Header=BB265_267 Depth=1
	v_and_b32_sdwa v40, v2, v23 dst_sel:DWORD dst_unused:UNUSED_PAD src0_sel:WORD_0 src1_sel:DWORD
	v_mov_b32_e32 v37, 0x7c010000
	s_mov_b32 s24, exec_lo
	v_cmpx_ne_u32_e32 0x7f, v40
	s_cbranch_execz .LBB265_282
; %bb.279:                              ;   in Loop: Header=BB265_267 Depth=1
	v_and_b32_sdwa v37, v2, v24 dst_sel:DWORD dst_unused:UNUSED_PAD src0_sel:WORD_0 src1_sel:DWORD
	v_lshrrev_b32_e32 v39, 3, v40
	s_mov_b32 s25, exec_lo
	v_cmpx_gt_u32_e32 8, v40
; %bb.280:                              ;   in Loop: Header=BB265_267 Depth=1
	v_ffbh_u32_e32 v37, v37
	v_min_u32_e32 v37, 32, v37
	v_subrev_nc_u32_e32 v39, 28, v37
	v_lshlrev_b64 v[40:41], v39, v[2:3]
	v_sub_nc_u32_e32 v39, 29, v37
	v_and_b32_e32 v37, 7, v40
; %bb.281:                              ;   in Loop: Header=BB265_267 Depth=1
	s_or_b32 exec_lo, exec_lo, s25
	v_lshlrev_b32_sdwa v2, v25, v2 dst_sel:DWORD dst_unused:UNUSED_PAD src0_sel:DWORD src1_sel:WORD_0
	v_lshl_add_u32 v39, v39, 10, 0x2000
	v_lshlrev_b32_e32 v37, 23, v37
	v_and_or_b32 v2, 0x8000, v2, v39
	v_lshl_or_b32 v37, v2, 16, v37
.LBB265_282:                            ;   in Loop: Header=BB265_267 Depth=1
	s_or_b32 exec_lo, exec_lo, s24
.LBB265_283:                            ;   in Loop: Header=BB265_267 Depth=1
	s_or_b32 exec_lo, exec_lo, s22
.LBB265_284:                            ;   in Loop: Header=BB265_267 Depth=1
	s_or_b32 exec_lo, exec_lo, s1
	v_lshrrev_b32_e32 v2, 16, v10
	v_mov_b32_e32 v39, 0
	v_mov_b32_e32 v40, 0
	v_cmp_ne_u16_sdwa s0, v2, v3 src0_sel:BYTE_0 src1_sel:DWORD
	s_and_saveexec_b32 s1, s0
	s_cbranch_execz .LBB265_292
; %bb.285:                              ;   in Loop: Header=BB265_267 Depth=1
	v_cmp_ne_u16_sdwa s0, v2, v22 src0_sel:BYTE_0 src1_sel:DWORD
	v_mov_b32_e32 v40, 0x8000
	s_and_saveexec_b32 s22, s0
	s_cbranch_execz .LBB265_291
; %bb.286:                              ;   in Loop: Header=BB265_267 Depth=1
	v_bfe_u32 v42, v10, 16, 7
	v_mov_b32_e32 v40, 0x7c01
	s_mov_b32 s24, exec_lo
	v_cmpx_ne_u32_e32 0x7f, v42
	s_cbranch_execz .LBB265_290
; %bb.287:                              ;   in Loop: Header=BB265_267 Depth=1
	v_and_b32_e32 v40, 7, v2
	v_lshrrev_b32_e32 v41, 3, v42
	s_mov_b32 s25, exec_lo
	v_cmpx_gt_u32_e32 8, v42
; %bb.288:                              ;   in Loop: Header=BB265_267 Depth=1
	v_ffbh_u32_e32 v40, v40
	v_min_u32_e32 v42, 32, v40
	v_subrev_nc_u32_e32 v40, 28, v42
	v_lshlrev_b64 v[40:41], v40, v[2:3]
	v_sub_nc_u32_e32 v41, 29, v42
	v_and_b32_e32 v40, 7, v40
; %bb.289:                              ;   in Loop: Header=BB265_267 Depth=1
	s_or_b32 exec_lo, exec_lo, s25
	v_lshlrev_b32_e32 v2, 8, v2
	v_lshl_add_u32 v41, v41, 10, 0x2000
	v_lshlrev_b32_e32 v40, 7, v40
	v_and_b32_e32 v2, 0x8000, v2
	v_and_b32_e32 v41, 0xfc00, v41
	v_or3_b32 v40, v2, v41, v40
.LBB265_290:                            ;   in Loop: Header=BB265_267 Depth=1
	s_or_b32 exec_lo, exec_lo, s24
.LBB265_291:                            ;   in Loop: Header=BB265_267 Depth=1
	s_or_b32 exec_lo, exec_lo, s22
.LBB265_292:                            ;   in Loop: Header=BB265_267 Depth=1
	s_or_b32 exec_lo, exec_lo, s1
	s_mov_b32 s1, exec_lo
	v_cmpx_lt_u32_e32 0xffffff, v10
	s_cbranch_execz .LBB265_300
; %bb.293:                              ;   in Loop: Header=BB265_267 Depth=1
	v_lshrrev_b32_e32 v2, 24, v10
	v_bfrev_b32_e32 v39, 1
	s_mov_b32 s22, exec_lo
	v_cmpx_ne_u32_e32 0x80, v2
	s_cbranch_execz .LBB265_299
; %bb.294:                              ;   in Loop: Header=BB265_267 Depth=1
	v_and_b32_e32 v42, 0x7f, v2
	v_mov_b32_e32 v39, 0x7c010000
	s_mov_b32 s24, exec_lo
	v_cmpx_ne_u32_e32 0x7f, v42
	s_cbranch_execz .LBB265_298
; %bb.295:                              ;   in Loop: Header=BB265_267 Depth=1
	v_and_b32_e32 v39, 7, v2
	v_lshrrev_b32_e32 v41, 3, v42
	s_mov_b32 s25, exec_lo
	v_cmpx_gt_u32_e32 8, v42
; %bb.296:                              ;   in Loop: Header=BB265_267 Depth=1
	v_ffbh_u32_e32 v39, v39
	v_min_u32_e32 v39, 32, v39
	v_subrev_nc_u32_e32 v41, 28, v39
	v_lshlrev_b64 v[42:43], v41, v[2:3]
	v_sub_nc_u32_e32 v41, 29, v39
	v_and_b32_e32 v39, 7, v42
; %bb.297:                              ;   in Loop: Header=BB265_267 Depth=1
	s_or_b32 exec_lo, exec_lo, s25
	v_lshlrev_b32_e32 v2, 8, v2
	v_lshl_add_u32 v41, v41, 10, 0x2000
	v_lshlrev_b32_e32 v39, 23, v39
	v_and_or_b32 v2, 0x8000, v2, v41
	v_lshl_or_b32 v39, v2, 16, v39
.LBB265_298:                            ;   in Loop: Header=BB265_267 Depth=1
	s_or_b32 exec_lo, exec_lo, s24
.LBB265_299:                            ;   in Loop: Header=BB265_267 Depth=1
	s_or_b32 exec_lo, exec_lo, s22
.LBB265_300:                            ;   in Loop: Header=BB265_267 Depth=1
	s_or_b32 exec_lo, exec_lo, s1
	v_mov_b32_e32 v2, v11
	v_cmp_ne_u16_sdwa s0, v11, v3 src0_sel:BYTE_0 src1_sel:DWORD
	v_mov_b32_e32 v41, 0
	v_mov_b32_e32 v42, 0
	s_and_saveexec_b32 s1, s0
	s_cbranch_execz .LBB265_308
; %bb.301:                              ;   in Loop: Header=BB265_267 Depth=1
	v_cmp_ne_u16_sdwa s0, v11, v22 src0_sel:BYTE_0 src1_sel:DWORD
	v_mov_b32_e32 v42, 0x8000
	s_and_saveexec_b32 s22, s0
	s_cbranch_execz .LBB265_307
; %bb.302:                              ;   in Loop: Header=BB265_267 Depth=1
	v_and_b32_e32 v44, 0x7f, v11
	v_mov_b32_e32 v42, 0x7c01
	s_mov_b32 s24, exec_lo
	v_cmpx_ne_u32_e32 0x7f, v44
	s_cbranch_execz .LBB265_306
; %bb.303:                              ;   in Loop: Header=BB265_267 Depth=1
	v_and_b32_e32 v42, 7, v11
	v_lshrrev_b32_e32 v43, 3, v44
	s_mov_b32 s25, exec_lo
	v_cmpx_gt_u32_e32 8, v44
; %bb.304:                              ;   in Loop: Header=BB265_267 Depth=1
	v_ffbh_u32_e32 v42, v42
	v_min_u32_e32 v44, 32, v42
	v_subrev_nc_u32_e32 v42, 28, v44
	v_lshlrev_b64 v[42:43], v42, v[2:3]
	v_sub_nc_u32_e32 v43, 29, v44
	v_and_b32_e32 v42, 7, v42
; %bb.305:                              ;   in Loop: Header=BB265_267 Depth=1
	s_or_b32 exec_lo, exec_lo, s25
	v_lshlrev_b32_e32 v44, 8, v11
	v_lshl_add_u32 v43, v43, 10, 0x2000
	v_lshlrev_b32_e32 v42, 7, v42
	v_and_b32_e32 v44, 0x8000, v44
	v_and_b32_e32 v43, 0xfc00, v43
	v_or3_b32 v42, v44, v43, v42
.LBB265_306:                            ;   in Loop: Header=BB265_267 Depth=1
	s_or_b32 exec_lo, exec_lo, s24
.LBB265_307:                            ;   in Loop: Header=BB265_267 Depth=1
	s_or_b32 exec_lo, exec_lo, s22
.LBB265_308:                            ;   in Loop: Header=BB265_267 Depth=1
	s_or_b32 exec_lo, exec_lo, s1
	v_lshrrev_b16 v2, 8, v2
	v_mov_b32_e32 v43, 0
	s_mov_b32 s1, exec_lo
	v_cmpx_ne_u16_e32 0, v2
	s_cbranch_execz .LBB265_316
; %bb.309:                              ;   in Loop: Header=BB265_267 Depth=1
	v_bfrev_b32_e32 v43, 1
	s_mov_b32 s22, exec_lo
	v_cmpx_ne_u16_e32 0x80, v2
	s_cbranch_execz .LBB265_315
; %bb.310:                              ;   in Loop: Header=BB265_267 Depth=1
	v_and_b32_sdwa v45, v2, v23 dst_sel:DWORD dst_unused:UNUSED_PAD src0_sel:WORD_0 src1_sel:DWORD
	v_mov_b32_e32 v43, 0x7c010000
	s_mov_b32 s24, exec_lo
	v_cmpx_ne_u32_e32 0x7f, v45
	s_cbranch_execz .LBB265_314
; %bb.311:                              ;   in Loop: Header=BB265_267 Depth=1
	v_and_b32_sdwa v43, v2, v24 dst_sel:DWORD dst_unused:UNUSED_PAD src0_sel:WORD_0 src1_sel:DWORD
	v_lshrrev_b32_e32 v44, 3, v45
	s_mov_b32 s25, exec_lo
	v_cmpx_gt_u32_e32 8, v45
; %bb.312:                              ;   in Loop: Header=BB265_267 Depth=1
	v_ffbh_u32_e32 v43, v43
	v_min_u32_e32 v45, 32, v43
	v_subrev_nc_u32_e32 v43, 28, v45
	v_lshlrev_b64 v[43:44], v43, v[2:3]
	v_sub_nc_u32_e32 v44, 29, v45
	v_and_b32_e32 v43, 7, v43
; %bb.313:                              ;   in Loop: Header=BB265_267 Depth=1
	s_or_b32 exec_lo, exec_lo, s25
	v_lshlrev_b32_sdwa v2, v25, v2 dst_sel:DWORD dst_unused:UNUSED_PAD src0_sel:DWORD src1_sel:WORD_0
	v_lshl_add_u32 v44, v44, 10, 0x2000
	v_lshlrev_b32_e32 v43, 23, v43
	v_and_or_b32 v2, 0x8000, v2, v44
	v_lshl_or_b32 v43, v2, 16, v43
.LBB265_314:                            ;   in Loop: Header=BB265_267 Depth=1
	s_or_b32 exec_lo, exec_lo, s24
.LBB265_315:                            ;   in Loop: Header=BB265_267 Depth=1
	s_or_b32 exec_lo, exec_lo, s22
.LBB265_316:                            ;   in Loop: Header=BB265_267 Depth=1
	s_or_b32 exec_lo, exec_lo, s1
	v_lshrrev_b32_e32 v2, 16, v11
	v_cmp_ne_u16_sdwa s0, v2, v3 src0_sel:BYTE_0 src1_sel:DWORD
	s_and_saveexec_b32 s1, s0
	s_cbranch_execz .LBB265_324
; %bb.317:                              ;   in Loop: Header=BB265_267 Depth=1
	v_cmp_ne_u16_sdwa s0, v2, v22 src0_sel:BYTE_0 src1_sel:DWORD
	v_mov_b32_e32 v41, 0x8000
	s_and_saveexec_b32 s22, s0
	s_cbranch_execz .LBB265_323
; %bb.318:                              ;   in Loop: Header=BB265_267 Depth=1
	v_bfe_u32 v45, v11, 16, 7
	v_mov_b32_e32 v41, 0x7c01
	s_mov_b32 s24, exec_lo
	v_cmpx_ne_u32_e32 0x7f, v45
	s_cbranch_execz .LBB265_322
; %bb.319:                              ;   in Loop: Header=BB265_267 Depth=1
	v_and_b32_e32 v41, 7, v2
	v_lshrrev_b32_e32 v44, 3, v45
	s_mov_b32 s25, exec_lo
	v_cmpx_gt_u32_e32 8, v45
; %bb.320:                              ;   in Loop: Header=BB265_267 Depth=1
	v_ffbh_u32_e32 v41, v41
	v_min_u32_e32 v41, 32, v41
	v_subrev_nc_u32_e32 v44, 28, v41
	v_lshlrev_b64 v[45:46], v44, v[2:3]
	v_sub_nc_u32_e32 v44, 29, v41
	v_and_b32_e32 v41, 7, v45
; %bb.321:                              ;   in Loop: Header=BB265_267 Depth=1
	s_or_b32 exec_lo, exec_lo, s25
	v_lshlrev_b32_e32 v2, 8, v2
	v_lshl_add_u32 v44, v44, 10, 0x2000
	v_lshlrev_b32_e32 v41, 7, v41
	v_and_b32_e32 v2, 0x8000, v2
	v_and_b32_e32 v44, 0xfc00, v44
	v_or3_b32 v41, v2, v44, v41
.LBB265_322:                            ;   in Loop: Header=BB265_267 Depth=1
	s_or_b32 exec_lo, exec_lo, s24
.LBB265_323:                            ;   in Loop: Header=BB265_267 Depth=1
	s_or_b32 exec_lo, exec_lo, s22
.LBB265_324:                            ;   in Loop: Header=BB265_267 Depth=1
	s_or_b32 exec_lo, exec_lo, s1
	v_cmp_lt_u64_e64 s0, s[6:7], v[10:11]
	v_mov_b32_e32 v10, 0
	s_and_saveexec_b32 s1, s0
	s_cbranch_execz .LBB265_332
; %bb.325:                              ;   in Loop: Header=BB265_267 Depth=1
	v_lshrrev_b32_e32 v2, 24, v11
	v_bfrev_b32_e32 v10, 1
	s_mov_b32 s22, exec_lo
	v_cmpx_ne_u32_e32 0x80, v2
	s_cbranch_execz .LBB265_331
; %bb.326:                              ;   in Loop: Header=BB265_267 Depth=1
	v_and_b32_e32 v44, 0x7f, v2
	v_mov_b32_e32 v10, 0x7c010000
	s_mov_b32 s24, exec_lo
	v_cmpx_ne_u32_e32 0x7f, v44
	s_cbranch_execz .LBB265_330
; %bb.327:                              ;   in Loop: Header=BB265_267 Depth=1
	v_and_b32_e32 v10, 7, v2
	v_lshrrev_b32_e32 v11, 3, v44
	s_mov_b32 s25, exec_lo
	v_cmpx_gt_u32_e32 8, v44
; %bb.328:                              ;   in Loop: Header=BB265_267 Depth=1
	v_ffbh_u32_e32 v10, v10
	v_min_u32_e32 v44, 32, v10
	v_subrev_nc_u32_e32 v10, 28, v44
	v_lshlrev_b64 v[10:11], v10, v[2:3]
	v_sub_nc_u32_e32 v11, 29, v44
	v_and_b32_e32 v10, 7, v10
; %bb.329:                              ;   in Loop: Header=BB265_267 Depth=1
	s_or_b32 exec_lo, exec_lo, s25
	v_lshlrev_b32_e32 v2, 8, v2
	v_lshl_add_u32 v11, v11, 10, 0x2000
	v_lshlrev_b32_e32 v10, 23, v10
	v_and_or_b32 v2, 0x8000, v2, v11
	v_lshl_or_b32 v10, v2, 16, v10
.LBB265_330:                            ;   in Loop: Header=BB265_267 Depth=1
	s_or_b32 exec_lo, exec_lo, s24
.LBB265_331:                            ;   in Loop: Header=BB265_267 Depth=1
	s_or_b32 exec_lo, exec_lo, s22
.LBB265_332:                            ;   in Loop: Header=BB265_267 Depth=1
	s_or_b32 exec_lo, exec_lo, s1
	v_or_b32_e32 v2, v39, v40
	v_fma_mixlo_f16 v11, v36, v39, 0 op_sel:[0,1,0] op_sel_hi:[0,1,0]
	v_or_b32_e32 v38, v37, v38
	v_or_b32_e32 v40, v43, v42
	v_or_b32_e32 v41, v10, v41
	v_fma_mixlo_f16 v2, v36, v2, 0 op_sel_hi:[0,1,0]
	v_fma_mixlo_f16 v39, v36, v37, 0 op_sel:[0,1,0] op_sel_hi:[0,1,0]
	v_lshlrev_b32_e32 v37, 16, v11
	v_fma_mixlo_f16 v11, v36, v38, 0 op_sel_hi:[0,1,0]
	v_fma_mixlo_f16 v40, v36, v40, 0 op_sel_hi:[0,1,0]
	v_and_b32_e32 v38, 0xffff, v2
	v_fma_mixlo_f16 v2, v36, v43, 0 op_sel:[0,1,0] op_sel_hi:[0,1,0]
	v_fma_mixlo_f16 v42, v36, v10, 0 op_sel:[0,1,0] op_sel_hi:[0,1,0]
	v_fma_mixlo_f16 v41, v36, v41, 0 op_sel_hi:[0,1,0]
	v_lshlrev_b32_e32 v39, 16, v39
	v_and_b32_e32 v44, 0xffff, v11
	v_lshlrev_b32_e32 v10, 16, v2
	v_and_b32_e32 v36, 0xffff, v40
	;; [unrolled: 2-line block ×3, first 2 shown]
	v_cmp_eq_u32_e64 s0, s17, v1
	v_or_b32_e32 v40, v37, v38
	v_or_b32_e32 v41, v39, v44
	;; [unrolled: 1-line block ×4, first 2 shown]
	s_and_saveexec_b32 s22, s0
	s_cbranch_execz .LBB265_334
; %bb.333:                              ;   in Loop: Header=BB265_267 Depth=1
	v_add_nc_u32_e32 v40, 1, v13
	v_cmp_gt_i32_e64 s1, s31, v13
	v_add_nc_u32_e32 v41, 2, v13
	v_add_nc_u32_e32 v43, 3, v13
	v_cndmask_b32_e64 v42, 0, v44, s1
	v_cmp_gt_i32_e64 s1, s31, v40
	v_add_nc_u32_e32 v40, 4, v13
	v_cndmask_b32_e64 v39, 0, v39, s1
	v_cmp_gt_i32_e64 s1, s31, v41
	;; [unrolled: 3-line block ×5, first 2 shown]
	v_or_b32_e32 v41, v39, v42
	v_cndmask_b32_e64 v10, 0, v10, s1
	v_cmp_gt_i32_e64 s1, s31, v43
	v_or_b32_e32 v42, v10, v36
	v_cndmask_b32_e64 v11, 0, v11, s1
	v_cmp_gt_i32_e64 s1, s31, v40
	v_or_b32_e32 v40, v37, v38
	v_cndmask_b32_e64 v2, 0, v2, s1
	v_or_b32_e32 v43, v2, v11
.LBB265_334:                            ;   in Loop: Header=BB265_267 Depth=1
	s_or_b32 exec_lo, exec_lo, s22
	v_and_b32_e32 v2, 0xffff, v31
	v_and_b32_e32 v10, 0xffff, v32
	;; [unrolled: 1-line block ×4, first 2 shown]
	v_mov_b32_e32 v36, 0
	v_lshl_or_b32 v33, v28, 16, v2
	;;#ASMSTART
	v_pk_mul_f16 v2, v33, v41;

	;;#ASMEND
	v_lshl_or_b32 v32, v29, 16, v10
	v_lshl_or_b32 v31, v30, 16, v11
	;; [unrolled: 1-line block ×3, first 2 shown]
	;;#ASMSTART
	v_pk_mul_f16 v10, v32, v40;

	;;#ASMEND
	;;#ASMSTART
	v_pk_mul_f16 v11, v31, v42;

	;;#ASMEND
	;; [unrolled: 4-line block ×3, first 2 shown]
	;;#ASMSTART
	v_pk_add_f16 v2, v2, v10;

	;;#ASMEND
	;;#ASMSTART
	v_pk_add_f16 v2, v2, v11;

	;;#ASMEND
	;; [unrolled: 4-line block ×3, first 2 shown]
	v_and_b32_e32 v10, 0xffff, v2
	v_lshrrev_b32_e32 v2, 16, v2
	;;#ASMSTART
	v_cvt_f32_f16 v28, v10;
	;;#ASMEND
	;;#ASMSTART
	v_cvt_f32_f16 v29, v2;
	;;#ASMEND
	global_load_dwordx2 v[10:11], v[8:9], off offset:256
	v_mov_b32_e32 v35, 0
	global_load_dword v34, v35, s[14:15]
	s_waitcnt vmcnt(1)
	v_cmp_ne_u16_sdwa s1, v10, v3 src0_sel:BYTE_0 src1_sel:DWORD
	s_and_saveexec_b32 s22, s1
	s_cbranch_execz .LBB265_342
; %bb.335:                              ;   in Loop: Header=BB265_267 Depth=1
	v_cmp_ne_u16_sdwa s1, v10, v22 src0_sel:BYTE_0 src1_sel:DWORD
	v_mov_b32_e32 v36, 0x8000
	s_and_saveexec_b32 s24, s1
	s_cbranch_execz .LBB265_341
; %bb.336:                              ;   in Loop: Header=BB265_267 Depth=1
	v_and_b32_e32 v37, 0x7f, v10
	v_mov_b32_e32 v36, 0x7c01
	s_mov_b32 s25, exec_lo
	v_cmpx_ne_u32_e32 0x7f, v37
	s_cbranch_execz .LBB265_340
; %bb.337:                              ;   in Loop: Header=BB265_267 Depth=1
	v_and_b32_e32 v2, 7, v10
	v_lshrrev_b32_e32 v36, 3, v37
	s_mov_b32 s26, exec_lo
	v_cmpx_gt_u32_e32 8, v37
; %bb.338:                              ;   in Loop: Header=BB265_267 Depth=1
	v_ffbh_u32_e32 v2, v2
	v_min_u32_e32 v2, 32, v2
	v_subrev_nc_u32_e32 v36, 28, v2
	v_lshlrev_b64 v[37:38], v36, v[10:11]
	v_sub_nc_u32_e32 v36, 29, v2
	v_and_b32_e32 v2, 7, v37
; %bb.339:                              ;   in Loop: Header=BB265_267 Depth=1
	s_or_b32 exec_lo, exec_lo, s26
	v_lshlrev_b32_e32 v37, 8, v10
	v_lshl_add_u32 v36, v36, 10, 0x2000
	v_lshlrev_b32_e32 v2, 7, v2
	v_and_b32_e32 v37, 0x8000, v37
	v_and_b32_e32 v36, 0xfc00, v36
	v_or3_b32 v36, v37, v36, v2
.LBB265_340:                            ;   in Loop: Header=BB265_267 Depth=1
	s_or_b32 exec_lo, exec_lo, s25
.LBB265_341:                            ;   in Loop: Header=BB265_267 Depth=1
	s_or_b32 exec_lo, exec_lo, s24
.LBB265_342:                            ;   in Loop: Header=BB265_267 Depth=1
	s_or_b32 exec_lo, exec_lo, s22
	v_lshrrev_b16 v2, 8, v10
	s_mov_b32 s22, exec_lo
	v_cmpx_ne_u16_e32 0, v2
	s_cbranch_execz .LBB265_350
; %bb.343:                              ;   in Loop: Header=BB265_267 Depth=1
	v_bfrev_b32_e32 v35, 1
	s_mov_b32 s24, exec_lo
	v_cmpx_ne_u16_e32 0x80, v2
	s_cbranch_execz .LBB265_349
; %bb.344:                              ;   in Loop: Header=BB265_267 Depth=1
	v_and_b32_sdwa v38, v2, v23 dst_sel:DWORD dst_unused:UNUSED_PAD src0_sel:WORD_0 src1_sel:DWORD
	v_mov_b32_e32 v35, 0x7c010000
	s_mov_b32 s25, exec_lo
	v_cmpx_ne_u32_e32 0x7f, v38
	s_cbranch_execz .LBB265_348
; %bb.345:                              ;   in Loop: Header=BB265_267 Depth=1
	v_and_b32_sdwa v35, v2, v24 dst_sel:DWORD dst_unused:UNUSED_PAD src0_sel:WORD_0 src1_sel:DWORD
	v_lshrrev_b32_e32 v37, 3, v38
	s_mov_b32 s26, exec_lo
	v_cmpx_gt_u32_e32 8, v38
; %bb.346:                              ;   in Loop: Header=BB265_267 Depth=1
	v_ffbh_u32_e32 v35, v35
	v_min_u32_e32 v35, 32, v35
	v_subrev_nc_u32_e32 v37, 28, v35
	v_lshlrev_b64 v[38:39], v37, v[2:3]
	v_sub_nc_u32_e32 v37, 29, v35
	v_and_b32_e32 v35, 7, v38
; %bb.347:                              ;   in Loop: Header=BB265_267 Depth=1
	s_or_b32 exec_lo, exec_lo, s26
	v_lshlrev_b32_sdwa v2, v25, v2 dst_sel:DWORD dst_unused:UNUSED_PAD src0_sel:DWORD src1_sel:WORD_0
	v_lshl_add_u32 v37, v37, 10, 0x2000
	v_lshlrev_b32_e32 v35, 23, v35
	v_and_or_b32 v2, 0x8000, v2, v37
	v_lshl_or_b32 v35, v2, 16, v35
.LBB265_348:                            ;   in Loop: Header=BB265_267 Depth=1
	s_or_b32 exec_lo, exec_lo, s25
.LBB265_349:                            ;   in Loop: Header=BB265_267 Depth=1
	s_or_b32 exec_lo, exec_lo, s24
.LBB265_350:                            ;   in Loop: Header=BB265_267 Depth=1
	s_or_b32 exec_lo, exec_lo, s22
	v_lshrrev_b32_e32 v2, 16, v10
	v_mov_b32_e32 v37, 0
	v_mov_b32_e32 v38, 0
	v_cmp_ne_u16_sdwa s1, v2, v3 src0_sel:BYTE_0 src1_sel:DWORD
	s_and_saveexec_b32 s22, s1
	s_cbranch_execz .LBB265_358
; %bb.351:                              ;   in Loop: Header=BB265_267 Depth=1
	v_cmp_ne_u16_sdwa s1, v2, v22 src0_sel:BYTE_0 src1_sel:DWORD
	v_mov_b32_e32 v38, 0x8000
	s_and_saveexec_b32 s24, s1
	s_cbranch_execz .LBB265_357
; %bb.352:                              ;   in Loop: Header=BB265_267 Depth=1
	v_bfe_u32 v40, v10, 16, 7
	v_mov_b32_e32 v38, 0x7c01
	s_mov_b32 s25, exec_lo
	v_cmpx_ne_u32_e32 0x7f, v40
	s_cbranch_execz .LBB265_356
; %bb.353:                              ;   in Loop: Header=BB265_267 Depth=1
	v_and_b32_e32 v38, 7, v2
	v_lshrrev_b32_e32 v39, 3, v40
	s_mov_b32 s26, exec_lo
	v_cmpx_gt_u32_e32 8, v40
; %bb.354:                              ;   in Loop: Header=BB265_267 Depth=1
	v_ffbh_u32_e32 v38, v38
	v_min_u32_e32 v40, 32, v38
	v_subrev_nc_u32_e32 v38, 28, v40
	v_lshlrev_b64 v[38:39], v38, v[2:3]
	v_sub_nc_u32_e32 v39, 29, v40
	v_and_b32_e32 v38, 7, v38
; %bb.355:                              ;   in Loop: Header=BB265_267 Depth=1
	s_or_b32 exec_lo, exec_lo, s26
	v_lshlrev_b32_e32 v2, 8, v2
	v_lshl_add_u32 v39, v39, 10, 0x2000
	v_lshlrev_b32_e32 v38, 7, v38
	v_and_b32_e32 v2, 0x8000, v2
	v_and_b32_e32 v39, 0xfc00, v39
	v_or3_b32 v38, v2, v39, v38
.LBB265_356:                            ;   in Loop: Header=BB265_267 Depth=1
	s_or_b32 exec_lo, exec_lo, s25
.LBB265_357:                            ;   in Loop: Header=BB265_267 Depth=1
	s_or_b32 exec_lo, exec_lo, s24
.LBB265_358:                            ;   in Loop: Header=BB265_267 Depth=1
	s_or_b32 exec_lo, exec_lo, s22
	s_mov_b32 s22, exec_lo
	v_cmpx_lt_u32_e32 0xffffff, v10
	s_cbranch_execz .LBB265_366
; %bb.359:                              ;   in Loop: Header=BB265_267 Depth=1
	v_lshrrev_b32_e32 v2, 24, v10
	v_bfrev_b32_e32 v37, 1
	s_mov_b32 s24, exec_lo
	v_cmpx_ne_u32_e32 0x80, v2
	s_cbranch_execz .LBB265_365
; %bb.360:                              ;   in Loop: Header=BB265_267 Depth=1
	v_and_b32_e32 v40, 0x7f, v2
	v_mov_b32_e32 v37, 0x7c010000
	s_mov_b32 s25, exec_lo
	v_cmpx_ne_u32_e32 0x7f, v40
	s_cbranch_execz .LBB265_364
; %bb.361:                              ;   in Loop: Header=BB265_267 Depth=1
	v_and_b32_e32 v37, 7, v2
	v_lshrrev_b32_e32 v39, 3, v40
	s_mov_b32 s26, exec_lo
	v_cmpx_gt_u32_e32 8, v40
; %bb.362:                              ;   in Loop: Header=BB265_267 Depth=1
	v_ffbh_u32_e32 v37, v37
	v_min_u32_e32 v37, 32, v37
	v_subrev_nc_u32_e32 v39, 28, v37
	v_lshlrev_b64 v[40:41], v39, v[2:3]
	v_sub_nc_u32_e32 v39, 29, v37
	v_and_b32_e32 v37, 7, v40
; %bb.363:                              ;   in Loop: Header=BB265_267 Depth=1
	s_or_b32 exec_lo, exec_lo, s26
	v_lshlrev_b32_e32 v2, 8, v2
	v_lshl_add_u32 v39, v39, 10, 0x2000
	v_lshlrev_b32_e32 v37, 23, v37
	v_and_or_b32 v2, 0x8000, v2, v39
	v_lshl_or_b32 v37, v2, 16, v37
.LBB265_364:                            ;   in Loop: Header=BB265_267 Depth=1
	s_or_b32 exec_lo, exec_lo, s25
.LBB265_365:                            ;   in Loop: Header=BB265_267 Depth=1
	s_or_b32 exec_lo, exec_lo, s24
.LBB265_366:                            ;   in Loop: Header=BB265_267 Depth=1
	s_or_b32 exec_lo, exec_lo, s22
	v_mov_b32_e32 v2, v11
	v_cmp_ne_u16_sdwa s1, v11, v3 src0_sel:BYTE_0 src1_sel:DWORD
	v_mov_b32_e32 v39, 0
	v_mov_b32_e32 v40, 0
	s_and_saveexec_b32 s22, s1
	s_cbranch_execz .LBB265_374
; %bb.367:                              ;   in Loop: Header=BB265_267 Depth=1
	v_cmp_ne_u16_sdwa s1, v11, v22 src0_sel:BYTE_0 src1_sel:DWORD
	v_mov_b32_e32 v40, 0x8000
	s_and_saveexec_b32 s24, s1
	s_cbranch_execz .LBB265_373
; %bb.368:                              ;   in Loop: Header=BB265_267 Depth=1
	v_and_b32_e32 v42, 0x7f, v11
	v_mov_b32_e32 v40, 0x7c01
	s_mov_b32 s25, exec_lo
	v_cmpx_ne_u32_e32 0x7f, v42
	s_cbranch_execz .LBB265_372
; %bb.369:                              ;   in Loop: Header=BB265_267 Depth=1
	v_and_b32_e32 v40, 7, v11
	v_lshrrev_b32_e32 v41, 3, v42
	s_mov_b32 s26, exec_lo
	v_cmpx_gt_u32_e32 8, v42
; %bb.370:                              ;   in Loop: Header=BB265_267 Depth=1
	v_ffbh_u32_e32 v40, v40
	v_min_u32_e32 v42, 32, v40
	v_subrev_nc_u32_e32 v40, 28, v42
	v_lshlrev_b64 v[40:41], v40, v[2:3]
	v_sub_nc_u32_e32 v41, 29, v42
	v_and_b32_e32 v40, 7, v40
; %bb.371:                              ;   in Loop: Header=BB265_267 Depth=1
	s_or_b32 exec_lo, exec_lo, s26
	v_lshlrev_b32_e32 v42, 8, v11
	v_lshl_add_u32 v41, v41, 10, 0x2000
	v_lshlrev_b32_e32 v40, 7, v40
	v_and_b32_e32 v42, 0x8000, v42
	v_and_b32_e32 v41, 0xfc00, v41
	v_or3_b32 v40, v42, v41, v40
.LBB265_372:                            ;   in Loop: Header=BB265_267 Depth=1
	s_or_b32 exec_lo, exec_lo, s25
.LBB265_373:                            ;   in Loop: Header=BB265_267 Depth=1
	s_or_b32 exec_lo, exec_lo, s24
.LBB265_374:                            ;   in Loop: Header=BB265_267 Depth=1
	s_or_b32 exec_lo, exec_lo, s22
	v_lshrrev_b16 v2, 8, v2
	v_mov_b32_e32 v41, 0
	s_mov_b32 s22, exec_lo
	v_cmpx_ne_u16_e32 0, v2
	s_cbranch_execz .LBB265_382
; %bb.375:                              ;   in Loop: Header=BB265_267 Depth=1
	v_bfrev_b32_e32 v41, 1
	s_mov_b32 s24, exec_lo
	v_cmpx_ne_u16_e32 0x80, v2
	s_cbranch_execz .LBB265_381
; %bb.376:                              ;   in Loop: Header=BB265_267 Depth=1
	v_and_b32_sdwa v43, v2, v23 dst_sel:DWORD dst_unused:UNUSED_PAD src0_sel:WORD_0 src1_sel:DWORD
	v_mov_b32_e32 v41, 0x7c010000
	s_mov_b32 s25, exec_lo
	v_cmpx_ne_u32_e32 0x7f, v43
	s_cbranch_execz .LBB265_380
; %bb.377:                              ;   in Loop: Header=BB265_267 Depth=1
	v_and_b32_sdwa v41, v2, v24 dst_sel:DWORD dst_unused:UNUSED_PAD src0_sel:WORD_0 src1_sel:DWORD
	v_lshrrev_b32_e32 v42, 3, v43
	s_mov_b32 s26, exec_lo
	v_cmpx_gt_u32_e32 8, v43
; %bb.378:                              ;   in Loop: Header=BB265_267 Depth=1
	v_ffbh_u32_e32 v41, v41
	v_min_u32_e32 v43, 32, v41
	v_subrev_nc_u32_e32 v41, 28, v43
	v_lshlrev_b64 v[41:42], v41, v[2:3]
	v_sub_nc_u32_e32 v42, 29, v43
	v_and_b32_e32 v41, 7, v41
; %bb.379:                              ;   in Loop: Header=BB265_267 Depth=1
	s_or_b32 exec_lo, exec_lo, s26
	v_lshlrev_b32_sdwa v2, v25, v2 dst_sel:DWORD dst_unused:UNUSED_PAD src0_sel:DWORD src1_sel:WORD_0
	v_lshl_add_u32 v42, v42, 10, 0x2000
	v_lshlrev_b32_e32 v41, 23, v41
	v_and_or_b32 v2, 0x8000, v2, v42
	v_lshl_or_b32 v41, v2, 16, v41
.LBB265_380:                            ;   in Loop: Header=BB265_267 Depth=1
	s_or_b32 exec_lo, exec_lo, s25
.LBB265_381:                            ;   in Loop: Header=BB265_267 Depth=1
	s_or_b32 exec_lo, exec_lo, s24
.LBB265_382:                            ;   in Loop: Header=BB265_267 Depth=1
	s_or_b32 exec_lo, exec_lo, s22
	v_lshrrev_b32_e32 v2, 16, v11
	v_cmp_ne_u16_sdwa s1, v2, v3 src0_sel:BYTE_0 src1_sel:DWORD
	s_and_saveexec_b32 s22, s1
	s_cbranch_execz .LBB265_390
; %bb.383:                              ;   in Loop: Header=BB265_267 Depth=1
	v_cmp_ne_u16_sdwa s1, v2, v22 src0_sel:BYTE_0 src1_sel:DWORD
	v_mov_b32_e32 v39, 0x8000
	s_and_saveexec_b32 s24, s1
	s_cbranch_execz .LBB265_389
; %bb.384:                              ;   in Loop: Header=BB265_267 Depth=1
	v_bfe_u32 v43, v11, 16, 7
	v_mov_b32_e32 v39, 0x7c01
	s_mov_b32 s25, exec_lo
	v_cmpx_ne_u32_e32 0x7f, v43
	s_cbranch_execz .LBB265_388
; %bb.385:                              ;   in Loop: Header=BB265_267 Depth=1
	v_and_b32_e32 v39, 7, v2
	v_lshrrev_b32_e32 v42, 3, v43
	s_mov_b32 s26, exec_lo
	v_cmpx_gt_u32_e32 8, v43
; %bb.386:                              ;   in Loop: Header=BB265_267 Depth=1
	v_ffbh_u32_e32 v39, v39
	v_min_u32_e32 v39, 32, v39
	v_subrev_nc_u32_e32 v42, 28, v39
	v_lshlrev_b64 v[43:44], v42, v[2:3]
	v_sub_nc_u32_e32 v42, 29, v39
	v_and_b32_e32 v39, 7, v43
; %bb.387:                              ;   in Loop: Header=BB265_267 Depth=1
	s_or_b32 exec_lo, exec_lo, s26
	v_lshlrev_b32_e32 v2, 8, v2
	v_lshl_add_u32 v42, v42, 10, 0x2000
	v_lshlrev_b32_e32 v39, 7, v39
	v_and_b32_e32 v2, 0x8000, v2
	v_and_b32_e32 v42, 0xfc00, v42
	v_or3_b32 v39, v2, v42, v39
.LBB265_388:                            ;   in Loop: Header=BB265_267 Depth=1
	s_or_b32 exec_lo, exec_lo, s25
.LBB265_389:                            ;   in Loop: Header=BB265_267 Depth=1
	s_or_b32 exec_lo, exec_lo, s24
.LBB265_390:                            ;   in Loop: Header=BB265_267 Depth=1
	s_or_b32 exec_lo, exec_lo, s22
	v_cmp_lt_u64_e64 s1, s[6:7], v[10:11]
	v_mov_b32_e32 v10, 0
	s_and_saveexec_b32 s22, s1
	s_cbranch_execz .LBB265_398
; %bb.391:                              ;   in Loop: Header=BB265_267 Depth=1
	v_lshrrev_b32_e32 v2, 24, v11
	v_bfrev_b32_e32 v10, 1
	s_mov_b32 s24, exec_lo
	v_cmpx_ne_u32_e32 0x80, v2
	s_cbranch_execz .LBB265_397
; %bb.392:                              ;   in Loop: Header=BB265_267 Depth=1
	v_and_b32_e32 v42, 0x7f, v2
	v_mov_b32_e32 v10, 0x7c010000
	s_mov_b32 s25, exec_lo
	v_cmpx_ne_u32_e32 0x7f, v42
	s_cbranch_execz .LBB265_396
; %bb.393:                              ;   in Loop: Header=BB265_267 Depth=1
	v_and_b32_e32 v10, 7, v2
	v_lshrrev_b32_e32 v11, 3, v42
	s_mov_b32 s26, exec_lo
	v_cmpx_gt_u32_e32 8, v42
; %bb.394:                              ;   in Loop: Header=BB265_267 Depth=1
	v_ffbh_u32_e32 v10, v10
	v_min_u32_e32 v42, 32, v10
	v_subrev_nc_u32_e32 v10, 28, v42
	v_lshlrev_b64 v[10:11], v10, v[2:3]
	v_sub_nc_u32_e32 v11, 29, v42
	v_and_b32_e32 v10, 7, v10
; %bb.395:                              ;   in Loop: Header=BB265_267 Depth=1
	s_or_b32 exec_lo, exec_lo, s26
	v_lshlrev_b32_e32 v2, 8, v2
	v_lshl_add_u32 v11, v11, 10, 0x2000
	v_lshlrev_b32_e32 v10, 23, v10
	v_and_or_b32 v2, 0x8000, v2, v11
	v_lshl_or_b32 v10, v2, 16, v10
.LBB265_396:                            ;   in Loop: Header=BB265_267 Depth=1
	s_or_b32 exec_lo, exec_lo, s25
.LBB265_397:                            ;   in Loop: Header=BB265_267 Depth=1
	s_or_b32 exec_lo, exec_lo, s24
.LBB265_398:                            ;   in Loop: Header=BB265_267 Depth=1
	s_or_b32 exec_lo, exec_lo, s22
	v_or_b32_e32 v2, v37, v38
	s_waitcnt vmcnt(0)
	v_fma_mixlo_f16 v11, v34, v37, 0 op_sel:[0,1,0] op_sel_hi:[0,1,0]
	v_or_b32_e32 v36, v35, v36
	v_or_b32_e32 v38, v41, v40
	;; [unrolled: 1-line block ×3, first 2 shown]
	v_fma_mixlo_f16 v2, v34, v2, 0 op_sel_hi:[0,1,0]
	v_fma_mixlo_f16 v37, v34, v35, 0 op_sel:[0,1,0] op_sel_hi:[0,1,0]
	v_lshlrev_b32_e32 v35, 16, v11
	v_fma_mixlo_f16 v11, v34, v36, 0 op_sel_hi:[0,1,0]
	v_fma_mixlo_f16 v38, v34, v38, 0 op_sel_hi:[0,1,0]
	v_and_b32_e32 v36, 0xffff, v2
	v_fma_mixlo_f16 v2, v34, v41, 0 op_sel:[0,1,0] op_sel_hi:[0,1,0]
	v_fma_mixlo_f16 v40, v34, v10, 0 op_sel:[0,1,0] op_sel_hi:[0,1,0]
	v_fma_mixlo_f16 v39, v34, v39, 0 op_sel_hi:[0,1,0]
	v_lshlrev_b32_e32 v37, 16, v37
	v_and_b32_e32 v41, 0xffff, v11
	v_lshlrev_b32_e32 v10, 16, v2
	v_and_b32_e32 v34, 0xffff, v38
	;; [unrolled: 2-line block ×3, first 2 shown]
	v_or_b32_e32 v38, v35, v36
	v_or_b32_e32 v42, v37, v41
	;; [unrolled: 1-line block ×4, first 2 shown]
	s_and_saveexec_b32 s22, s0
	s_cbranch_execz .LBB265_400
; %bb.399:                              ;   in Loop: Header=BB265_267 Depth=1
	v_add_nc_u32_e32 v38, 1, v13
	v_cmp_gt_i32_e64 s1, s31, v13
	v_add_nc_u32_e32 v39, 2, v13
	v_cndmask_b32_e64 v40, 0, v41, s1
	v_cmp_gt_i32_e64 s1, s31, v38
	v_add_nc_u32_e32 v41, 3, v13
	v_add_nc_u32_e32 v38, 4, v13
	v_cndmask_b32_e64 v37, 0, v37, s1
	v_cmp_gt_i32_e64 s1, s31, v39
	v_add_nc_u32_e32 v39, 5, v13
	v_or_b32_e32 v42, v37, v40
	v_cndmask_b32_e64 v36, 0, v36, s1
	v_cmp_gt_i32_e64 s1, s31, v41
	v_add_nc_u32_e32 v41, 6, v13
	v_cndmask_b32_e64 v35, 0, v35, s1
	v_cmp_gt_i32_e64 s1, s31, v38
	v_add_nc_u32_e32 v38, 7, v13
	v_cndmask_b32_e64 v34, 0, v34, s1
	v_cmp_gt_i32_e64 s1, s31, v39
	v_cndmask_b32_e64 v10, 0, v10, s1
	v_cmp_gt_i32_e64 s1, s31, v41
	v_or_b32_e32 v40, v10, v34
	v_cndmask_b32_e64 v11, 0, v11, s1
	v_cmp_gt_i32_e64 s1, s31, v38
	v_or_b32_e32 v38, v35, v36
	v_cndmask_b32_e64 v2, 0, v2, s1
	v_or_b32_e32 v39, v2, v11
.LBB265_400:                            ;   in Loop: Header=BB265_267 Depth=1
	s_or_b32 exec_lo, exec_lo, s22
	;;#ASMSTART
	v_pk_mul_f16 v2, v33, v42;

	;;#ASMEND
	;;#ASMSTART
	v_pk_mul_f16 v10, v32, v38;

	;;#ASMEND
	;; [unrolled: 4-line block ×4, first 2 shown]
	;;#ASMSTART
	v_pk_add_f16 v2, v2, v10;

	;;#ASMEND
	;;#ASMSTART
	v_pk_add_f16 v2, v2, v11;

	;;#ASMEND
	;; [unrolled: 4-line block ×3, first 2 shown]
	v_and_b32_e32 v10, 0xffff, v2
	v_lshrrev_b32_e32 v2, 16, v2
	;;#ASMSTART
	v_cvt_f32_f16 v10, v10;
	;;#ASMEND
	;;#ASMSTART
	v_cvt_f32_f16 v11, v2;
	;;#ASMEND
	global_load_dwordx2 v[8:9], v[8:9], off offset:512
	v_mov_b32_e32 v35, 0
	v_mov_b32_e32 v36, 0
	global_load_dword v34, v35, s[14:15]
	s_waitcnt vmcnt(1)
	v_cmp_ne_u16_sdwa s1, v8, v3 src0_sel:BYTE_0 src1_sel:DWORD
	s_and_saveexec_b32 s22, s1
	s_cbranch_execz .LBB265_408
; %bb.401:                              ;   in Loop: Header=BB265_267 Depth=1
	v_cmp_ne_u16_sdwa s1, v8, v22 src0_sel:BYTE_0 src1_sel:DWORD
	v_mov_b32_e32 v36, 0x8000
	s_and_saveexec_b32 s24, s1
	s_cbranch_execz .LBB265_407
; %bb.402:                              ;   in Loop: Header=BB265_267 Depth=1
	v_and_b32_e32 v37, 0x7f, v8
	v_mov_b32_e32 v36, 0x7c01
	s_mov_b32 s25, exec_lo
	v_cmpx_ne_u32_e32 0x7f, v37
	s_cbranch_execz .LBB265_406
; %bb.403:                              ;   in Loop: Header=BB265_267 Depth=1
	v_and_b32_e32 v2, 7, v8
	v_lshrrev_b32_e32 v36, 3, v37
	s_mov_b32 s26, exec_lo
	v_cmpx_gt_u32_e32 8, v37
; %bb.404:                              ;   in Loop: Header=BB265_267 Depth=1
	v_ffbh_u32_e32 v2, v2
	v_min_u32_e32 v2, 32, v2
	v_subrev_nc_u32_e32 v36, 28, v2
	v_lshlrev_b64 v[37:38], v36, v[8:9]
	v_sub_nc_u32_e32 v36, 29, v2
	v_and_b32_e32 v2, 7, v37
; %bb.405:                              ;   in Loop: Header=BB265_267 Depth=1
	s_or_b32 exec_lo, exec_lo, s26
	v_lshlrev_b32_e32 v37, 8, v8
	v_lshl_add_u32 v36, v36, 10, 0x2000
	v_lshlrev_b32_e32 v2, 7, v2
	v_and_b32_e32 v37, 0x8000, v37
	v_and_b32_e32 v36, 0xfc00, v36
	v_or3_b32 v36, v37, v36, v2
.LBB265_406:                            ;   in Loop: Header=BB265_267 Depth=1
	s_or_b32 exec_lo, exec_lo, s25
.LBB265_407:                            ;   in Loop: Header=BB265_267 Depth=1
	s_or_b32 exec_lo, exec_lo, s24
.LBB265_408:                            ;   in Loop: Header=BB265_267 Depth=1
	s_or_b32 exec_lo, exec_lo, s22
	v_lshrrev_b16 v2, 8, v8
	s_mov_b32 s22, exec_lo
	v_cmpx_ne_u16_e32 0, v2
	s_cbranch_execz .LBB265_416
; %bb.409:                              ;   in Loop: Header=BB265_267 Depth=1
	v_bfrev_b32_e32 v35, 1
	s_mov_b32 s24, exec_lo
	v_cmpx_ne_u16_e32 0x80, v2
	s_cbranch_execz .LBB265_415
; %bb.410:                              ;   in Loop: Header=BB265_267 Depth=1
	v_and_b32_sdwa v38, v2, v23 dst_sel:DWORD dst_unused:UNUSED_PAD src0_sel:WORD_0 src1_sel:DWORD
	v_mov_b32_e32 v35, 0x7c010000
	s_mov_b32 s25, exec_lo
	v_cmpx_ne_u32_e32 0x7f, v38
	s_cbranch_execz .LBB265_414
; %bb.411:                              ;   in Loop: Header=BB265_267 Depth=1
	v_and_b32_sdwa v35, v2, v24 dst_sel:DWORD dst_unused:UNUSED_PAD src0_sel:WORD_0 src1_sel:DWORD
	v_lshrrev_b32_e32 v37, 3, v38
	s_mov_b32 s26, exec_lo
	v_cmpx_gt_u32_e32 8, v38
; %bb.412:                              ;   in Loop: Header=BB265_267 Depth=1
	v_ffbh_u32_e32 v35, v35
	v_min_u32_e32 v35, 32, v35
	v_subrev_nc_u32_e32 v37, 28, v35
	v_lshlrev_b64 v[38:39], v37, v[2:3]
	v_sub_nc_u32_e32 v37, 29, v35
	v_and_b32_e32 v35, 7, v38
; %bb.413:                              ;   in Loop: Header=BB265_267 Depth=1
	s_or_b32 exec_lo, exec_lo, s26
	v_lshlrev_b32_sdwa v2, v25, v2 dst_sel:DWORD dst_unused:UNUSED_PAD src0_sel:DWORD src1_sel:WORD_0
	v_lshl_add_u32 v37, v37, 10, 0x2000
	v_lshlrev_b32_e32 v35, 23, v35
	v_and_or_b32 v2, 0x8000, v2, v37
	v_lshl_or_b32 v35, v2, 16, v35
.LBB265_414:                            ;   in Loop: Header=BB265_267 Depth=1
	s_or_b32 exec_lo, exec_lo, s25
.LBB265_415:                            ;   in Loop: Header=BB265_267 Depth=1
	s_or_b32 exec_lo, exec_lo, s24
.LBB265_416:                            ;   in Loop: Header=BB265_267 Depth=1
	s_or_b32 exec_lo, exec_lo, s22
	v_lshrrev_b32_e32 v2, 16, v8
	v_mov_b32_e32 v37, 0
	v_mov_b32_e32 v38, 0
	v_cmp_ne_u16_sdwa s1, v2, v3 src0_sel:BYTE_0 src1_sel:DWORD
	s_and_saveexec_b32 s22, s1
	s_cbranch_execz .LBB265_424
; %bb.417:                              ;   in Loop: Header=BB265_267 Depth=1
	v_cmp_ne_u16_sdwa s1, v2, v22 src0_sel:BYTE_0 src1_sel:DWORD
	v_mov_b32_e32 v38, 0x8000
	s_and_saveexec_b32 s24, s1
	s_cbranch_execz .LBB265_423
; %bb.418:                              ;   in Loop: Header=BB265_267 Depth=1
	v_bfe_u32 v40, v8, 16, 7
	v_mov_b32_e32 v38, 0x7c01
	s_mov_b32 s25, exec_lo
	v_cmpx_ne_u32_e32 0x7f, v40
	s_cbranch_execz .LBB265_422
; %bb.419:                              ;   in Loop: Header=BB265_267 Depth=1
	v_and_b32_e32 v38, 7, v2
	v_lshrrev_b32_e32 v39, 3, v40
	s_mov_b32 s26, exec_lo
	v_cmpx_gt_u32_e32 8, v40
; %bb.420:                              ;   in Loop: Header=BB265_267 Depth=1
	v_ffbh_u32_e32 v38, v38
	v_min_u32_e32 v40, 32, v38
	v_subrev_nc_u32_e32 v38, 28, v40
	v_lshlrev_b64 v[38:39], v38, v[2:3]
	v_sub_nc_u32_e32 v39, 29, v40
	v_and_b32_e32 v38, 7, v38
; %bb.421:                              ;   in Loop: Header=BB265_267 Depth=1
	s_or_b32 exec_lo, exec_lo, s26
	v_lshlrev_b32_e32 v2, 8, v2
	v_lshl_add_u32 v39, v39, 10, 0x2000
	v_lshlrev_b32_e32 v38, 7, v38
	v_and_b32_e32 v2, 0x8000, v2
	v_and_b32_e32 v39, 0xfc00, v39
	v_or3_b32 v38, v2, v39, v38
.LBB265_422:                            ;   in Loop: Header=BB265_267 Depth=1
	s_or_b32 exec_lo, exec_lo, s25
.LBB265_423:                            ;   in Loop: Header=BB265_267 Depth=1
	s_or_b32 exec_lo, exec_lo, s24
.LBB265_424:                            ;   in Loop: Header=BB265_267 Depth=1
	s_or_b32 exec_lo, exec_lo, s22
	s_mov_b32 s22, exec_lo
	v_cmpx_lt_u32_e32 0xffffff, v8
	s_cbranch_execz .LBB265_432
; %bb.425:                              ;   in Loop: Header=BB265_267 Depth=1
	v_lshrrev_b32_e32 v2, 24, v8
	v_bfrev_b32_e32 v37, 1
	s_mov_b32 s24, exec_lo
	v_cmpx_ne_u32_e32 0x80, v2
	s_cbranch_execz .LBB265_431
; %bb.426:                              ;   in Loop: Header=BB265_267 Depth=1
	v_and_b32_e32 v40, 0x7f, v2
	v_mov_b32_e32 v37, 0x7c010000
	s_mov_b32 s25, exec_lo
	v_cmpx_ne_u32_e32 0x7f, v40
	s_cbranch_execz .LBB265_430
; %bb.427:                              ;   in Loop: Header=BB265_267 Depth=1
	v_and_b32_e32 v37, 7, v2
	v_lshrrev_b32_e32 v39, 3, v40
	s_mov_b32 s26, exec_lo
	v_cmpx_gt_u32_e32 8, v40
; %bb.428:                              ;   in Loop: Header=BB265_267 Depth=1
	v_ffbh_u32_e32 v37, v37
	v_min_u32_e32 v37, 32, v37
	v_subrev_nc_u32_e32 v39, 28, v37
	v_lshlrev_b64 v[40:41], v39, v[2:3]
	v_sub_nc_u32_e32 v39, 29, v37
	v_and_b32_e32 v37, 7, v40
; %bb.429:                              ;   in Loop: Header=BB265_267 Depth=1
	s_or_b32 exec_lo, exec_lo, s26
	v_lshlrev_b32_e32 v2, 8, v2
	v_lshl_add_u32 v39, v39, 10, 0x2000
	v_lshlrev_b32_e32 v37, 23, v37
	v_and_or_b32 v2, 0x8000, v2, v39
	v_lshl_or_b32 v37, v2, 16, v37
.LBB265_430:                            ;   in Loop: Header=BB265_267 Depth=1
	s_or_b32 exec_lo, exec_lo, s25
.LBB265_431:                            ;   in Loop: Header=BB265_267 Depth=1
	s_or_b32 exec_lo, exec_lo, s24
.LBB265_432:                            ;   in Loop: Header=BB265_267 Depth=1
	s_or_b32 exec_lo, exec_lo, s22
	v_mov_b32_e32 v2, v9
	v_cmp_ne_u16_sdwa s1, v9, v3 src0_sel:BYTE_0 src1_sel:DWORD
	v_mov_b32_e32 v39, 0
	v_mov_b32_e32 v40, 0
	s_and_saveexec_b32 s22, s1
	s_cbranch_execz .LBB265_440
; %bb.433:                              ;   in Loop: Header=BB265_267 Depth=1
	v_cmp_ne_u16_sdwa s1, v9, v22 src0_sel:BYTE_0 src1_sel:DWORD
	v_mov_b32_e32 v40, 0x8000
	s_and_saveexec_b32 s24, s1
	s_cbranch_execz .LBB265_439
; %bb.434:                              ;   in Loop: Header=BB265_267 Depth=1
	v_and_b32_e32 v42, 0x7f, v9
	v_mov_b32_e32 v40, 0x7c01
	s_mov_b32 s25, exec_lo
	v_cmpx_ne_u32_e32 0x7f, v42
	s_cbranch_execz .LBB265_438
; %bb.435:                              ;   in Loop: Header=BB265_267 Depth=1
	v_and_b32_e32 v40, 7, v9
	v_lshrrev_b32_e32 v41, 3, v42
	s_mov_b32 s26, exec_lo
	v_cmpx_gt_u32_e32 8, v42
; %bb.436:                              ;   in Loop: Header=BB265_267 Depth=1
	v_ffbh_u32_e32 v40, v40
	v_min_u32_e32 v42, 32, v40
	v_subrev_nc_u32_e32 v40, 28, v42
	v_lshlrev_b64 v[40:41], v40, v[2:3]
	v_sub_nc_u32_e32 v41, 29, v42
	v_and_b32_e32 v40, 7, v40
; %bb.437:                              ;   in Loop: Header=BB265_267 Depth=1
	s_or_b32 exec_lo, exec_lo, s26
	v_lshlrev_b32_e32 v42, 8, v9
	v_lshl_add_u32 v41, v41, 10, 0x2000
	v_lshlrev_b32_e32 v40, 7, v40
	v_and_b32_e32 v42, 0x8000, v42
	v_and_b32_e32 v41, 0xfc00, v41
	v_or3_b32 v40, v42, v41, v40
.LBB265_438:                            ;   in Loop: Header=BB265_267 Depth=1
	s_or_b32 exec_lo, exec_lo, s25
.LBB265_439:                            ;   in Loop: Header=BB265_267 Depth=1
	s_or_b32 exec_lo, exec_lo, s24
.LBB265_440:                            ;   in Loop: Header=BB265_267 Depth=1
	s_or_b32 exec_lo, exec_lo, s22
	v_lshrrev_b16 v2, 8, v2
	v_mov_b32_e32 v41, 0
	s_mov_b32 s22, exec_lo
	v_cmpx_ne_u16_e32 0, v2
	s_cbranch_execz .LBB265_448
; %bb.441:                              ;   in Loop: Header=BB265_267 Depth=1
	v_bfrev_b32_e32 v41, 1
	s_mov_b32 s24, exec_lo
	v_cmpx_ne_u16_e32 0x80, v2
	s_cbranch_execz .LBB265_447
; %bb.442:                              ;   in Loop: Header=BB265_267 Depth=1
	v_and_b32_sdwa v43, v2, v23 dst_sel:DWORD dst_unused:UNUSED_PAD src0_sel:WORD_0 src1_sel:DWORD
	v_mov_b32_e32 v41, 0x7c010000
	s_mov_b32 s25, exec_lo
	v_cmpx_ne_u32_e32 0x7f, v43
	s_cbranch_execz .LBB265_446
; %bb.443:                              ;   in Loop: Header=BB265_267 Depth=1
	v_and_b32_sdwa v41, v2, v24 dst_sel:DWORD dst_unused:UNUSED_PAD src0_sel:WORD_0 src1_sel:DWORD
	v_lshrrev_b32_e32 v42, 3, v43
	s_mov_b32 s26, exec_lo
	v_cmpx_gt_u32_e32 8, v43
; %bb.444:                              ;   in Loop: Header=BB265_267 Depth=1
	v_ffbh_u32_e32 v41, v41
	v_min_u32_e32 v43, 32, v41
	v_subrev_nc_u32_e32 v41, 28, v43
	v_lshlrev_b64 v[41:42], v41, v[2:3]
	v_sub_nc_u32_e32 v42, 29, v43
	v_and_b32_e32 v41, 7, v41
; %bb.445:                              ;   in Loop: Header=BB265_267 Depth=1
	s_or_b32 exec_lo, exec_lo, s26
	v_lshlrev_b32_sdwa v2, v25, v2 dst_sel:DWORD dst_unused:UNUSED_PAD src0_sel:DWORD src1_sel:WORD_0
	v_lshl_add_u32 v42, v42, 10, 0x2000
	v_lshlrev_b32_e32 v41, 23, v41
	v_and_or_b32 v2, 0x8000, v2, v42
	v_lshl_or_b32 v41, v2, 16, v41
.LBB265_446:                            ;   in Loop: Header=BB265_267 Depth=1
	s_or_b32 exec_lo, exec_lo, s25
.LBB265_447:                            ;   in Loop: Header=BB265_267 Depth=1
	s_or_b32 exec_lo, exec_lo, s24
.LBB265_448:                            ;   in Loop: Header=BB265_267 Depth=1
	s_or_b32 exec_lo, exec_lo, s22
	v_lshrrev_b32_e32 v2, 16, v9
	v_cmp_ne_u16_sdwa s1, v2, v3 src0_sel:BYTE_0 src1_sel:DWORD
	s_and_saveexec_b32 s22, s1
	s_cbranch_execz .LBB265_456
; %bb.449:                              ;   in Loop: Header=BB265_267 Depth=1
	v_cmp_ne_u16_sdwa s1, v2, v22 src0_sel:BYTE_0 src1_sel:DWORD
	v_mov_b32_e32 v39, 0x8000
	s_and_saveexec_b32 s24, s1
	s_cbranch_execz .LBB265_455
; %bb.450:                              ;   in Loop: Header=BB265_267 Depth=1
	v_bfe_u32 v43, v9, 16, 7
	v_mov_b32_e32 v39, 0x7c01
	s_mov_b32 s25, exec_lo
	v_cmpx_ne_u32_e32 0x7f, v43
	s_cbranch_execz .LBB265_454
; %bb.451:                              ;   in Loop: Header=BB265_267 Depth=1
	v_and_b32_e32 v39, 7, v2
	v_lshrrev_b32_e32 v42, 3, v43
	s_mov_b32 s26, exec_lo
	v_cmpx_gt_u32_e32 8, v43
; %bb.452:                              ;   in Loop: Header=BB265_267 Depth=1
	v_ffbh_u32_e32 v39, v39
	v_min_u32_e32 v39, 32, v39
	v_subrev_nc_u32_e32 v42, 28, v39
	v_lshlrev_b64 v[43:44], v42, v[2:3]
	v_sub_nc_u32_e32 v42, 29, v39
	v_and_b32_e32 v39, 7, v43
; %bb.453:                              ;   in Loop: Header=BB265_267 Depth=1
	s_or_b32 exec_lo, exec_lo, s26
	v_lshlrev_b32_e32 v2, 8, v2
	v_lshl_add_u32 v42, v42, 10, 0x2000
	v_lshlrev_b32_e32 v39, 7, v39
	v_and_b32_e32 v2, 0x8000, v2
	v_and_b32_e32 v42, 0xfc00, v42
	v_or3_b32 v39, v2, v42, v39
.LBB265_454:                            ;   in Loop: Header=BB265_267 Depth=1
	s_or_b32 exec_lo, exec_lo, s25
.LBB265_455:                            ;   in Loop: Header=BB265_267 Depth=1
	s_or_b32 exec_lo, exec_lo, s24
.LBB265_456:                            ;   in Loop: Header=BB265_267 Depth=1
	s_or_b32 exec_lo, exec_lo, s22
	v_cmp_lt_u64_e64 s1, s[6:7], v[8:9]
	v_mov_b32_e32 v8, 0
	s_and_saveexec_b32 s22, s1
	s_cbranch_execz .LBB265_464
; %bb.457:                              ;   in Loop: Header=BB265_267 Depth=1
	v_lshrrev_b32_e32 v2, 24, v9
	v_bfrev_b32_e32 v8, 1
	s_mov_b32 s24, exec_lo
	v_cmpx_ne_u32_e32 0x80, v2
	s_cbranch_execz .LBB265_463
; %bb.458:                              ;   in Loop: Header=BB265_267 Depth=1
	v_and_b32_e32 v42, 0x7f, v2
	v_mov_b32_e32 v8, 0x7c010000
	s_mov_b32 s25, exec_lo
	v_cmpx_ne_u32_e32 0x7f, v42
	s_cbranch_execz .LBB265_462
; %bb.459:                              ;   in Loop: Header=BB265_267 Depth=1
	v_and_b32_e32 v8, 7, v2
	v_lshrrev_b32_e32 v9, 3, v42
	s_mov_b32 s26, exec_lo
	v_cmpx_gt_u32_e32 8, v42
; %bb.460:                              ;   in Loop: Header=BB265_267 Depth=1
	v_ffbh_u32_e32 v8, v8
	v_min_u32_e32 v42, 32, v8
	v_subrev_nc_u32_e32 v8, 28, v42
	v_lshlrev_b64 v[8:9], v8, v[2:3]
	v_sub_nc_u32_e32 v9, 29, v42
	v_and_b32_e32 v8, 7, v8
; %bb.461:                              ;   in Loop: Header=BB265_267 Depth=1
	s_or_b32 exec_lo, exec_lo, s26
	v_lshlrev_b32_e32 v2, 8, v2
	v_lshl_add_u32 v9, v9, 10, 0x2000
	v_lshlrev_b32_e32 v8, 23, v8
	v_and_or_b32 v2, 0x8000, v2, v9
	v_lshl_or_b32 v8, v2, 16, v8
.LBB265_462:                            ;   in Loop: Header=BB265_267 Depth=1
	s_or_b32 exec_lo, exec_lo, s25
.LBB265_463:                            ;   in Loop: Header=BB265_267 Depth=1
	s_or_b32 exec_lo, exec_lo, s24
.LBB265_464:                            ;   in Loop: Header=BB265_267 Depth=1
	s_or_b32 exec_lo, exec_lo, s22
	v_or_b32_e32 v2, v37, v38
	s_waitcnt vmcnt(0)
	v_fma_mixlo_f16 v9, v34, v37, 0 op_sel:[0,1,0] op_sel_hi:[0,1,0]
	v_or_b32_e32 v36, v35, v36
	v_or_b32_e32 v38, v41, v40
	;; [unrolled: 1-line block ×3, first 2 shown]
	v_fma_mixlo_f16 v2, v34, v2, 0 op_sel_hi:[0,1,0]
	v_fma_mixlo_f16 v37, v34, v35, 0 op_sel:[0,1,0] op_sel_hi:[0,1,0]
	v_lshlrev_b32_e32 v35, 16, v9
	v_fma_mixlo_f16 v9, v34, v36, 0 op_sel_hi:[0,1,0]
	v_fma_mixlo_f16 v38, v34, v38, 0 op_sel_hi:[0,1,0]
	v_and_b32_e32 v36, 0xffff, v2
	v_fma_mixlo_f16 v2, v34, v41, 0 op_sel:[0,1,0] op_sel_hi:[0,1,0]
	v_fma_mixlo_f16 v40, v34, v8, 0 op_sel:[0,1,0] op_sel_hi:[0,1,0]
	v_fma_mixlo_f16 v39, v34, v39, 0 op_sel_hi:[0,1,0]
	v_lshlrev_b32_e32 v37, 16, v37
	v_and_b32_e32 v41, 0xffff, v9
	v_lshlrev_b32_e32 v8, 16, v2
	v_and_b32_e32 v34, 0xffff, v38
	;; [unrolled: 2-line block ×3, first 2 shown]
	v_or_b32_e32 v38, v35, v36
	v_or_b32_e32 v42, v37, v41
	;; [unrolled: 1-line block ×4, first 2 shown]
	s_and_saveexec_b32 s22, s0
	s_cbranch_execz .LBB265_466
; %bb.465:                              ;   in Loop: Header=BB265_267 Depth=1
	v_add_nc_u32_e32 v38, 1, v13
	v_cmp_gt_i32_e64 s1, s31, v13
	v_add_nc_u32_e32 v39, 2, v13
	v_cndmask_b32_e64 v40, 0, v41, s1
	v_cmp_gt_i32_e64 s1, s31, v38
	v_add_nc_u32_e32 v41, 3, v13
	v_add_nc_u32_e32 v38, 4, v13
	v_cndmask_b32_e64 v37, 0, v37, s1
	v_cmp_gt_i32_e64 s1, s31, v39
	v_add_nc_u32_e32 v39, 5, v13
	v_or_b32_e32 v42, v37, v40
	v_cndmask_b32_e64 v36, 0, v36, s1
	v_cmp_gt_i32_e64 s1, s31, v41
	v_add_nc_u32_e32 v41, 6, v13
	v_cndmask_b32_e64 v35, 0, v35, s1
	v_cmp_gt_i32_e64 s1, s31, v38
	v_add_nc_u32_e32 v38, 7, v13
	v_cndmask_b32_e64 v34, 0, v34, s1
	v_cmp_gt_i32_e64 s1, s31, v39
	v_cndmask_b32_e64 v8, 0, v8, s1
	v_cmp_gt_i32_e64 s1, s31, v41
	v_or_b32_e32 v40, v8, v34
	v_cndmask_b32_e64 v9, 0, v9, s1
	v_cmp_gt_i32_e64 s1, s31, v38
	v_or_b32_e32 v38, v35, v36
	v_cndmask_b32_e64 v2, 0, v2, s1
	v_or_b32_e32 v39, v2, v9
.LBB265_466:                            ;   in Loop: Header=BB265_267 Depth=1
	s_or_b32 exec_lo, exec_lo, s22
	;;#ASMSTART
	v_pk_mul_f16 v2, v33, v42;

	;;#ASMEND
	;;#ASMSTART
	v_pk_mul_f16 v8, v32, v38;

	;;#ASMEND
	;; [unrolled: 4-line block ×4, first 2 shown]
	;;#ASMSTART
	v_pk_add_f16 v2, v2, v8;

	;;#ASMEND
	;;#ASMSTART
	v_pk_add_f16 v2, v2, v9;

	;;#ASMEND
	;; [unrolled: 4-line block ×3, first 2 shown]
	v_and_b32_e32 v8, 0xffff, v2
	v_lshrrev_b32_e32 v2, 16, v2
	;;#ASMSTART
	v_cvt_f32_f16 v8, v8;
	;;#ASMEND
	;;#ASMSTART
	v_cvt_f32_f16 v9, v2;
	;;#ASMEND
	s_and_saveexec_b32 s22, vcc_lo
	s_cbranch_execz .LBB265_265
; %bb.467:                              ;   in Loop: Header=BB265_267 Depth=1
	v_add_co_u32 v6, s1, v6, v26
	v_add_co_ci_u32_e64 v7, null, 0, v7, s1
	v_mov_b32_e32 v35, 0
	v_mov_b32_e32 v36, 0
	global_load_dwordx2 v[6:7], v[6:7], off
	global_load_dword v34, v35, s[14:15]
	s_waitcnt vmcnt(1)
	v_cmp_ne_u16_sdwa s1, v6, v3 src0_sel:BYTE_0 src1_sel:DWORD
	s_and_saveexec_b32 s24, s1
	s_cbranch_execz .LBB265_475
; %bb.468:                              ;   in Loop: Header=BB265_267 Depth=1
	v_cmp_ne_u16_sdwa s1, v6, v22 src0_sel:BYTE_0 src1_sel:DWORD
	v_mov_b32_e32 v36, 0x8000
	s_and_saveexec_b32 s25, s1
	s_cbranch_execz .LBB265_474
; %bb.469:                              ;   in Loop: Header=BB265_267 Depth=1
	v_and_b32_e32 v37, 0x7f, v6
	v_mov_b32_e32 v36, 0x7c01
	s_mov_b32 s26, exec_lo
	v_cmpx_ne_u32_e32 0x7f, v37
	s_cbranch_execz .LBB265_473
; %bb.470:                              ;   in Loop: Header=BB265_267 Depth=1
	v_and_b32_e32 v2, 7, v6
	v_lshrrev_b32_e32 v36, 3, v37
	s_mov_b32 s27, exec_lo
	v_cmpx_gt_u32_e32 8, v37
; %bb.471:                              ;   in Loop: Header=BB265_267 Depth=1
	v_ffbh_u32_e32 v2, v2
	v_min_u32_e32 v2, 32, v2
	v_subrev_nc_u32_e32 v36, 28, v2
	v_lshlrev_b64 v[37:38], v36, v[6:7]
	v_sub_nc_u32_e32 v36, 29, v2
	v_and_b32_e32 v2, 7, v37
; %bb.472:                              ;   in Loop: Header=BB265_267 Depth=1
	s_or_b32 exec_lo, exec_lo, s27
	v_lshlrev_b32_e32 v37, 8, v6
	v_lshl_add_u32 v36, v36, 10, 0x2000
	v_lshlrev_b32_e32 v2, 7, v2
	v_and_b32_e32 v37, 0x8000, v37
	v_and_b32_e32 v36, 0xfc00, v36
	v_or3_b32 v36, v37, v36, v2
.LBB265_473:                            ;   in Loop: Header=BB265_267 Depth=1
	s_or_b32 exec_lo, exec_lo, s26
.LBB265_474:                            ;   in Loop: Header=BB265_267 Depth=1
	s_or_b32 exec_lo, exec_lo, s25
.LBB265_475:                            ;   in Loop: Header=BB265_267 Depth=1
	s_or_b32 exec_lo, exec_lo, s24
	v_lshrrev_b16 v2, 8, v6
	s_mov_b32 s24, exec_lo
	v_cmpx_ne_u16_e32 0, v2
	s_cbranch_execz .LBB265_483
; %bb.476:                              ;   in Loop: Header=BB265_267 Depth=1
	v_bfrev_b32_e32 v35, 1
	s_mov_b32 s25, exec_lo
	v_cmpx_ne_u16_e32 0x80, v2
	s_cbranch_execz .LBB265_482
; %bb.477:                              ;   in Loop: Header=BB265_267 Depth=1
	v_and_b32_sdwa v38, v2, v23 dst_sel:DWORD dst_unused:UNUSED_PAD src0_sel:WORD_0 src1_sel:DWORD
	v_mov_b32_e32 v35, 0x7c010000
	s_mov_b32 s26, exec_lo
	v_cmpx_ne_u32_e32 0x7f, v38
	s_cbranch_execz .LBB265_481
; %bb.478:                              ;   in Loop: Header=BB265_267 Depth=1
	v_and_b32_sdwa v35, v2, v24 dst_sel:DWORD dst_unused:UNUSED_PAD src0_sel:WORD_0 src1_sel:DWORD
	v_lshrrev_b32_e32 v37, 3, v38
	s_mov_b32 s27, exec_lo
	v_cmpx_gt_u32_e32 8, v38
; %bb.479:                              ;   in Loop: Header=BB265_267 Depth=1
	v_ffbh_u32_e32 v35, v35
	v_min_u32_e32 v35, 32, v35
	v_subrev_nc_u32_e32 v37, 28, v35
	v_lshlrev_b64 v[38:39], v37, v[2:3]
	v_sub_nc_u32_e32 v37, 29, v35
	v_and_b32_e32 v35, 7, v38
; %bb.480:                              ;   in Loop: Header=BB265_267 Depth=1
	s_or_b32 exec_lo, exec_lo, s27
	v_lshlrev_b32_sdwa v2, v25, v2 dst_sel:DWORD dst_unused:UNUSED_PAD src0_sel:DWORD src1_sel:WORD_0
	v_lshl_add_u32 v37, v37, 10, 0x2000
	v_lshlrev_b32_e32 v35, 23, v35
	v_and_or_b32 v2, 0x8000, v2, v37
	v_lshl_or_b32 v35, v2, 16, v35
.LBB265_481:                            ;   in Loop: Header=BB265_267 Depth=1
	s_or_b32 exec_lo, exec_lo, s26
.LBB265_482:                            ;   in Loop: Header=BB265_267 Depth=1
	s_or_b32 exec_lo, exec_lo, s25
.LBB265_483:                            ;   in Loop: Header=BB265_267 Depth=1
	s_or_b32 exec_lo, exec_lo, s24
	v_lshrrev_b32_e32 v2, 16, v6
	v_mov_b32_e32 v37, 0
	v_mov_b32_e32 v38, 0
	v_cmp_ne_u16_sdwa s1, v2, v3 src0_sel:BYTE_0 src1_sel:DWORD
	s_and_saveexec_b32 s24, s1
	s_cbranch_execz .LBB265_491
; %bb.484:                              ;   in Loop: Header=BB265_267 Depth=1
	v_cmp_ne_u16_sdwa s1, v2, v22 src0_sel:BYTE_0 src1_sel:DWORD
	v_mov_b32_e32 v38, 0x8000
	s_and_saveexec_b32 s25, s1
	s_cbranch_execz .LBB265_490
; %bb.485:                              ;   in Loop: Header=BB265_267 Depth=1
	v_bfe_u32 v40, v6, 16, 7
	v_mov_b32_e32 v38, 0x7c01
	s_mov_b32 s26, exec_lo
	v_cmpx_ne_u32_e32 0x7f, v40
	s_cbranch_execz .LBB265_489
; %bb.486:                              ;   in Loop: Header=BB265_267 Depth=1
	v_and_b32_e32 v38, 7, v2
	v_lshrrev_b32_e32 v39, 3, v40
	s_mov_b32 s27, exec_lo
	v_cmpx_gt_u32_e32 8, v40
; %bb.487:                              ;   in Loop: Header=BB265_267 Depth=1
	v_ffbh_u32_e32 v38, v38
	v_min_u32_e32 v40, 32, v38
	v_subrev_nc_u32_e32 v38, 28, v40
	v_lshlrev_b64 v[38:39], v38, v[2:3]
	v_sub_nc_u32_e32 v39, 29, v40
	v_and_b32_e32 v38, 7, v38
; %bb.488:                              ;   in Loop: Header=BB265_267 Depth=1
	s_or_b32 exec_lo, exec_lo, s27
	v_lshlrev_b32_e32 v2, 8, v2
	v_lshl_add_u32 v39, v39, 10, 0x2000
	v_lshlrev_b32_e32 v38, 7, v38
	v_and_b32_e32 v2, 0x8000, v2
	v_and_b32_e32 v39, 0xfc00, v39
	v_or3_b32 v38, v2, v39, v38
.LBB265_489:                            ;   in Loop: Header=BB265_267 Depth=1
	s_or_b32 exec_lo, exec_lo, s26
.LBB265_490:                            ;   in Loop: Header=BB265_267 Depth=1
	s_or_b32 exec_lo, exec_lo, s25
.LBB265_491:                            ;   in Loop: Header=BB265_267 Depth=1
	s_or_b32 exec_lo, exec_lo, s24
	s_mov_b32 s24, exec_lo
	v_cmpx_lt_u32_e32 0xffffff, v6
	s_cbranch_execz .LBB265_499
; %bb.492:                              ;   in Loop: Header=BB265_267 Depth=1
	v_lshrrev_b32_e32 v2, 24, v6
	v_bfrev_b32_e32 v37, 1
	s_mov_b32 s25, exec_lo
	v_cmpx_ne_u32_e32 0x80, v2
	s_cbranch_execz .LBB265_498
; %bb.493:                              ;   in Loop: Header=BB265_267 Depth=1
	v_and_b32_e32 v40, 0x7f, v2
	v_mov_b32_e32 v37, 0x7c010000
	s_mov_b32 s26, exec_lo
	v_cmpx_ne_u32_e32 0x7f, v40
	s_cbranch_execz .LBB265_497
; %bb.494:                              ;   in Loop: Header=BB265_267 Depth=1
	v_and_b32_e32 v37, 7, v2
	v_lshrrev_b32_e32 v39, 3, v40
	s_mov_b32 s27, exec_lo
	v_cmpx_gt_u32_e32 8, v40
; %bb.495:                              ;   in Loop: Header=BB265_267 Depth=1
	v_ffbh_u32_e32 v37, v37
	v_min_u32_e32 v37, 32, v37
	v_subrev_nc_u32_e32 v39, 28, v37
	v_lshlrev_b64 v[40:41], v39, v[2:3]
	v_sub_nc_u32_e32 v39, 29, v37
	v_and_b32_e32 v37, 7, v40
; %bb.496:                              ;   in Loop: Header=BB265_267 Depth=1
	s_or_b32 exec_lo, exec_lo, s27
	v_lshlrev_b32_e32 v2, 8, v2
	v_lshl_add_u32 v39, v39, 10, 0x2000
	v_lshlrev_b32_e32 v37, 23, v37
	v_and_or_b32 v2, 0x8000, v2, v39
	v_lshl_or_b32 v37, v2, 16, v37
.LBB265_497:                            ;   in Loop: Header=BB265_267 Depth=1
	s_or_b32 exec_lo, exec_lo, s26
.LBB265_498:                            ;   in Loop: Header=BB265_267 Depth=1
	s_or_b32 exec_lo, exec_lo, s25
.LBB265_499:                            ;   in Loop: Header=BB265_267 Depth=1
	s_or_b32 exec_lo, exec_lo, s24
	v_mov_b32_e32 v2, v7
	v_cmp_ne_u16_sdwa s1, v7, v3 src0_sel:BYTE_0 src1_sel:DWORD
	v_mov_b32_e32 v39, 0
	v_mov_b32_e32 v40, 0
	s_and_saveexec_b32 s24, s1
	s_cbranch_execz .LBB265_507
; %bb.500:                              ;   in Loop: Header=BB265_267 Depth=1
	v_cmp_ne_u16_sdwa s1, v7, v22 src0_sel:BYTE_0 src1_sel:DWORD
	v_mov_b32_e32 v40, 0x8000
	s_and_saveexec_b32 s25, s1
	s_cbranch_execz .LBB265_506
; %bb.501:                              ;   in Loop: Header=BB265_267 Depth=1
	v_and_b32_e32 v42, 0x7f, v7
	v_mov_b32_e32 v40, 0x7c01
	s_mov_b32 s26, exec_lo
	v_cmpx_ne_u32_e32 0x7f, v42
	s_cbranch_execz .LBB265_505
; %bb.502:                              ;   in Loop: Header=BB265_267 Depth=1
	v_and_b32_e32 v40, 7, v7
	v_lshrrev_b32_e32 v41, 3, v42
	s_mov_b32 s27, exec_lo
	v_cmpx_gt_u32_e32 8, v42
; %bb.503:                              ;   in Loop: Header=BB265_267 Depth=1
	v_ffbh_u32_e32 v40, v40
	v_min_u32_e32 v42, 32, v40
	v_subrev_nc_u32_e32 v40, 28, v42
	v_lshlrev_b64 v[40:41], v40, v[2:3]
	v_sub_nc_u32_e32 v41, 29, v42
	v_and_b32_e32 v40, 7, v40
; %bb.504:                              ;   in Loop: Header=BB265_267 Depth=1
	s_or_b32 exec_lo, exec_lo, s27
	v_lshlrev_b32_e32 v42, 8, v7
	v_lshl_add_u32 v41, v41, 10, 0x2000
	v_lshlrev_b32_e32 v40, 7, v40
	v_and_b32_e32 v42, 0x8000, v42
	v_and_b32_e32 v41, 0xfc00, v41
	v_or3_b32 v40, v42, v41, v40
.LBB265_505:                            ;   in Loop: Header=BB265_267 Depth=1
	s_or_b32 exec_lo, exec_lo, s26
.LBB265_506:                            ;   in Loop: Header=BB265_267 Depth=1
	s_or_b32 exec_lo, exec_lo, s25
.LBB265_507:                            ;   in Loop: Header=BB265_267 Depth=1
	s_or_b32 exec_lo, exec_lo, s24
	v_lshrrev_b16 v2, 8, v2
	v_mov_b32_e32 v41, 0
	s_mov_b32 s24, exec_lo
	v_cmpx_ne_u16_e32 0, v2
	s_cbranch_execz .LBB265_515
; %bb.508:                              ;   in Loop: Header=BB265_267 Depth=1
	v_bfrev_b32_e32 v41, 1
	s_mov_b32 s25, exec_lo
	v_cmpx_ne_u16_e32 0x80, v2
	s_cbranch_execz .LBB265_514
; %bb.509:                              ;   in Loop: Header=BB265_267 Depth=1
	v_and_b32_sdwa v43, v2, v23 dst_sel:DWORD dst_unused:UNUSED_PAD src0_sel:WORD_0 src1_sel:DWORD
	v_mov_b32_e32 v41, 0x7c010000
	s_mov_b32 s26, exec_lo
	v_cmpx_ne_u32_e32 0x7f, v43
	s_cbranch_execz .LBB265_513
; %bb.510:                              ;   in Loop: Header=BB265_267 Depth=1
	v_and_b32_sdwa v41, v2, v24 dst_sel:DWORD dst_unused:UNUSED_PAD src0_sel:WORD_0 src1_sel:DWORD
	v_lshrrev_b32_e32 v42, 3, v43
	s_mov_b32 s27, exec_lo
	v_cmpx_gt_u32_e32 8, v43
; %bb.511:                              ;   in Loop: Header=BB265_267 Depth=1
	v_ffbh_u32_e32 v41, v41
	v_min_u32_e32 v43, 32, v41
	v_subrev_nc_u32_e32 v41, 28, v43
	v_lshlrev_b64 v[41:42], v41, v[2:3]
	v_sub_nc_u32_e32 v42, 29, v43
	v_and_b32_e32 v41, 7, v41
; %bb.512:                              ;   in Loop: Header=BB265_267 Depth=1
	s_or_b32 exec_lo, exec_lo, s27
	v_lshlrev_b32_sdwa v2, v25, v2 dst_sel:DWORD dst_unused:UNUSED_PAD src0_sel:DWORD src1_sel:WORD_0
	v_lshl_add_u32 v42, v42, 10, 0x2000
	v_lshlrev_b32_e32 v41, 23, v41
	v_and_or_b32 v2, 0x8000, v2, v42
	v_lshl_or_b32 v41, v2, 16, v41
.LBB265_513:                            ;   in Loop: Header=BB265_267 Depth=1
	s_or_b32 exec_lo, exec_lo, s26
.LBB265_514:                            ;   in Loop: Header=BB265_267 Depth=1
	s_or_b32 exec_lo, exec_lo, s25
.LBB265_515:                            ;   in Loop: Header=BB265_267 Depth=1
	s_or_b32 exec_lo, exec_lo, s24
	v_lshrrev_b32_e32 v2, 16, v7
	v_cmp_ne_u16_sdwa s1, v2, v3 src0_sel:BYTE_0 src1_sel:DWORD
	s_and_saveexec_b32 s24, s1
	s_cbranch_execz .LBB265_523
; %bb.516:                              ;   in Loop: Header=BB265_267 Depth=1
	v_cmp_ne_u16_sdwa s1, v2, v22 src0_sel:BYTE_0 src1_sel:DWORD
	v_mov_b32_e32 v39, 0x8000
	s_and_saveexec_b32 s25, s1
	s_cbranch_execz .LBB265_522
; %bb.517:                              ;   in Loop: Header=BB265_267 Depth=1
	v_bfe_u32 v43, v7, 16, 7
	v_mov_b32_e32 v39, 0x7c01
	s_mov_b32 s26, exec_lo
	v_cmpx_ne_u32_e32 0x7f, v43
	s_cbranch_execz .LBB265_521
; %bb.518:                              ;   in Loop: Header=BB265_267 Depth=1
	v_and_b32_e32 v39, 7, v2
	v_lshrrev_b32_e32 v42, 3, v43
	s_mov_b32 s27, exec_lo
	v_cmpx_gt_u32_e32 8, v43
; %bb.519:                              ;   in Loop: Header=BB265_267 Depth=1
	v_ffbh_u32_e32 v39, v39
	v_min_u32_e32 v39, 32, v39
	v_subrev_nc_u32_e32 v42, 28, v39
	v_lshlrev_b64 v[43:44], v42, v[2:3]
	v_sub_nc_u32_e32 v42, 29, v39
	v_and_b32_e32 v39, 7, v43
; %bb.520:                              ;   in Loop: Header=BB265_267 Depth=1
	s_or_b32 exec_lo, exec_lo, s27
	v_lshlrev_b32_e32 v2, 8, v2
	v_lshl_add_u32 v42, v42, 10, 0x2000
	v_lshlrev_b32_e32 v39, 7, v39
	v_and_b32_e32 v2, 0x8000, v2
	v_and_b32_e32 v42, 0xfc00, v42
	v_or3_b32 v39, v2, v42, v39
.LBB265_521:                            ;   in Loop: Header=BB265_267 Depth=1
	s_or_b32 exec_lo, exec_lo, s26
.LBB265_522:                            ;   in Loop: Header=BB265_267 Depth=1
	s_or_b32 exec_lo, exec_lo, s25
.LBB265_523:                            ;   in Loop: Header=BB265_267 Depth=1
	s_or_b32 exec_lo, exec_lo, s24
	v_cmp_lt_u64_e64 s1, s[6:7], v[6:7]
	v_mov_b32_e32 v6, 0
	s_and_saveexec_b32 s24, s1
	s_cbranch_execz .LBB265_531
; %bb.524:                              ;   in Loop: Header=BB265_267 Depth=1
	v_lshrrev_b32_e32 v2, 24, v7
	v_bfrev_b32_e32 v6, 1
	s_mov_b32 s25, exec_lo
	v_cmpx_ne_u32_e32 0x80, v2
	s_cbranch_execz .LBB265_530
; %bb.525:                              ;   in Loop: Header=BB265_267 Depth=1
	v_and_b32_e32 v42, 0x7f, v2
	v_mov_b32_e32 v6, 0x7c010000
	s_mov_b32 s26, exec_lo
	v_cmpx_ne_u32_e32 0x7f, v42
	s_cbranch_execz .LBB265_529
; %bb.526:                              ;   in Loop: Header=BB265_267 Depth=1
	v_and_b32_e32 v6, 7, v2
	v_lshrrev_b32_e32 v7, 3, v42
	s_mov_b32 s27, exec_lo
	v_cmpx_gt_u32_e32 8, v42
; %bb.527:                              ;   in Loop: Header=BB265_267 Depth=1
	v_ffbh_u32_e32 v6, v6
	v_min_u32_e32 v42, 32, v6
	v_subrev_nc_u32_e32 v6, 28, v42
	v_lshlrev_b64 v[6:7], v6, v[2:3]
	v_sub_nc_u32_e32 v7, 29, v42
	v_and_b32_e32 v6, 7, v6
; %bb.528:                              ;   in Loop: Header=BB265_267 Depth=1
	s_or_b32 exec_lo, exec_lo, s27
	v_lshlrev_b32_e32 v2, 8, v2
	v_lshl_add_u32 v7, v7, 10, 0x2000
	v_lshlrev_b32_e32 v6, 23, v6
	v_and_or_b32 v2, 0x8000, v2, v7
	v_lshl_or_b32 v6, v2, 16, v6
.LBB265_529:                            ;   in Loop: Header=BB265_267 Depth=1
	s_or_b32 exec_lo, exec_lo, s26
.LBB265_530:                            ;   in Loop: Header=BB265_267 Depth=1
	s_or_b32 exec_lo, exec_lo, s25
.LBB265_531:                            ;   in Loop: Header=BB265_267 Depth=1
	s_or_b32 exec_lo, exec_lo, s24
	v_or_b32_e32 v2, v37, v38
	s_waitcnt vmcnt(0)
	v_fma_mixlo_f16 v7, v34, v37, 0 op_sel:[0,1,0] op_sel_hi:[0,1,0]
	v_or_b32_e32 v36, v35, v36
	v_or_b32_e32 v38, v41, v40
	v_or_b32_e32 v39, v6, v39
	v_fma_mixlo_f16 v2, v34, v2, 0 op_sel_hi:[0,1,0]
	v_fma_mixlo_f16 v37, v34, v35, 0 op_sel:[0,1,0] op_sel_hi:[0,1,0]
	v_lshlrev_b32_e32 v35, 16, v7
	v_fma_mixlo_f16 v7, v34, v36, 0 op_sel_hi:[0,1,0]
	v_fma_mixlo_f16 v38, v34, v38, 0 op_sel_hi:[0,1,0]
	v_and_b32_e32 v36, 0xffff, v2
	v_fma_mixlo_f16 v2, v34, v41, 0 op_sel:[0,1,0] op_sel_hi:[0,1,0]
	v_fma_mixlo_f16 v40, v34, v6, 0 op_sel:[0,1,0] op_sel_hi:[0,1,0]
	v_fma_mixlo_f16 v39, v34, v39, 0 op_sel_hi:[0,1,0]
	v_lshlrev_b32_e32 v37, 16, v37
	v_and_b32_e32 v42, 0xffff, v7
	v_lshlrev_b32_e32 v6, 16, v2
	v_and_b32_e32 v34, 0xffff, v38
	;; [unrolled: 2-line block ×3, first 2 shown]
	v_or_b32_e32 v40, v35, v36
	v_or_b32_e32 v41, v37, v42
	;; [unrolled: 1-line block ×4, first 2 shown]
	s_and_saveexec_b32 s1, s0
	s_cbranch_execz .LBB265_264
; %bb.532:                              ;   in Loop: Header=BB265_267 Depth=1
	v_add_nc_u32_e32 v38, 1, v13
	v_cmp_gt_i32_e64 s0, s31, v13
	v_add_nc_u32_e32 v39, 2, v13
	v_add_nc_u32_e32 v41, 3, v13
	v_cndmask_b32_e64 v40, 0, v42, s0
	v_cmp_gt_i32_e64 s0, s31, v38
	v_add_nc_u32_e32 v38, 4, v13
	v_cndmask_b32_e64 v37, 0, v37, s0
	v_cmp_gt_i32_e64 s0, s31, v39
	;; [unrolled: 3-line block ×5, first 2 shown]
	v_cndmask_b32_e64 v6, 0, v6, s0
	v_cmp_gt_i32_e64 s0, s31, v41
	v_or_b32_e32 v41, v37, v40
	v_or_b32_e32 v40, v35, v36
	;; [unrolled: 1-line block ×3, first 2 shown]
	v_cndmask_b32_e64 v7, 0, v7, s0
	v_cmp_gt_i32_e64 s0, s31, v38
	v_cndmask_b32_e64 v2, 0, v2, s0
	v_or_b32_e32 v38, v2, v7
	s_branch .LBB265_264
.LBB265_533:
	s_or_b32 exec_lo, exec_lo, s18
.LBB265_534:
	s_or_b32 exec_lo, exec_lo, s3
	s_movk_i32 s0, 0x1c0
	v_and_b32_e32 v1, 0x3c0, v0
	v_mad_u32_u24 v4, v12, s0, 0x100
	v_or_b32_e32 v3, 0x60, v0
	s_mov_b32 s0, exec_lo
	s_waitcnt_vscnt null, 0x0
	s_barrier
	buffer_gl0_inv
	v_cmpx_eq_u32_e32 64, v1
	s_cbranch_execz .LBB265_537
; %bb.535:
	v_add_nc_u32_e32 v1, 0xfffffc80, v4
	v_cmp_gt_u32_e32 vcc_lo, 0x70, v3
	v_lshl_add_u32 v2, v14, 2, v1
	ds_write2_b32 v2, v19, v18 offset1:32
	ds_write_b32 v2, v17 offset:256
	s_and_b32 exec_lo, exec_lo, vcc_lo
; %bb.536:
	v_lshl_add_u32 v1, v3, 2, v1
	ds_write_b32 v1, v16
.LBB265_537:
	s_or_b32 exec_lo, exec_lo, s0
	v_lshl_add_u32 v5, v14, 2, v4
	s_mov_b32 s0, exec_lo
	s_waitcnt lgkmcnt(0)
	s_barrier
	buffer_gl0_inv
	v_cmpx_gt_u32_e32 64, v0
	s_cbranch_execz .LBB265_541
; %bb.538:
	v_lshl_or_b32 v1, v0, 2, 0x80
	s_mov_b32 s1, exec_lo
	v_add_nc_u32_e32 v6, v4, v1
	ds_read2st64_b32 v[1:2], v5 offset1:1
	ds_read_b32 v6, v6
	v_cmpx_gt_u32_e32 0x70, v3
	s_cbranch_execz .LBB265_540
; %bb.539:
	v_lshl_add_u32 v7, v3, 2, v4
	ds_read_b32 v7, v7
	s_waitcnt lgkmcnt(0)
	v_add_f32_e32 v16, v16, v7
.LBB265_540:
	s_or_b32 exec_lo, exec_lo, s1
	s_waitcnt lgkmcnt(1)
	v_add_f32_e32 v19, v19, v1
	s_waitcnt lgkmcnt(0)
	v_add_f32_e32 v18, v18, v6
	v_add_f32_e32 v17, v17, v2
.LBB265_541:
	s_or_b32 exec_lo, exec_lo, s0
	v_and_b32_e32 v1, 0x3e0, v0
	s_mov_b32 s0, exec_lo
	s_barrier
	buffer_gl0_inv
	v_cmpx_eq_u32_e32 32, v1
	s_cbranch_execz .LBB265_544
; %bb.542:
	v_lshl_add_u32 v1, v14, 2, 0x100
	v_cmp_gt_u32_e32 vcc_lo, 0x70, v3
	ds_write_b32 v1, v19
	ds_write_b32 v15, v18
	ds_write_b32 v1, v17 offset:256
	s_and_b32 exec_lo, exec_lo, vcc_lo
; %bb.543:
	v_lshl_add_u32 v1, v3, 2, 0x100
	ds_write_b32 v1, v16
.LBB265_544:
	s_or_b32 exec_lo, exec_lo, s0
	v_cmp_gt_u32_e32 vcc_lo, 32, v0
	s_waitcnt lgkmcnt(0)
	s_barrier
	buffer_gl0_inv
	s_and_saveexec_b32 s1, vcc_lo
	s_cbranch_execz .LBB265_548
; %bb.545:
	v_lshl_add_u32 v6, v0, 2, v4
	s_mov_b32 s3, exec_lo
	ds_read_b32 v4, v5
	ds_read2_b32 v[1:2], v6 offset0:32 offset1:64
	v_cmpx_gt_u32_e32 0x70, v3
	s_cbranch_execz .LBB265_547
; %bb.546:
	ds_read_b32 v5, v6 offset:384
	s_waitcnt lgkmcnt(0)
	v_add_f32_e32 v16, v16, v5
.LBB265_547:
	s_or_b32 exec_lo, exec_lo, s3
	s_waitcnt lgkmcnt(1)
	v_add_f32_e32 v19, v19, v4
	s_waitcnt lgkmcnt(0)
	v_add_f32_e32 v18, v18, v1
	v_add_f32_e32 v17, v17, v2
.LBB265_548:
	s_or_b32 exec_lo, exec_lo, s1
	s_barrier
	buffer_gl0_inv
	s_and_saveexec_b32 s0, vcc_lo
	s_cbranch_execz .LBB265_551
; %bb.549:
	s_mul_i32 s0, s2, 0x70
	s_mul_i32 s2, s11, s10
	s_ashr_i32 s1, s0, 31
	v_lshlrev_b32_e32 v0, 1, v0
	s_lshl_b64 s[0:1], s[0:1], 1
	v_cmp_gt_u32_e32 vcc_lo, 0x70, v3
	s_add_u32 s4, s28, s0
	s_addc_u32 s5, s29, s1
	s_ashr_i32 s3, s2, 31
	;;#ASMSTART
	v_cvt_f16_f32 v1, v19;

	;;#ASMEND
	s_lshl_b64 s[0:1], s[2:3], 1
	s_mul_i32 s2, s8, 0x70
	s_add_u32 s4, s4, s0
	s_addc_u32 s5, s5, s1
	s_ashr_i32 s3, s2, 31
	s_lshl_b64 s[0:1], s[2:3], 1
	s_add_u32 s0, s4, s0
	s_addc_u32 s1, s5, s1
	global_store_short v0, v1, s[0:1]
	;;#ASMSTART
	v_cvt_f16_f32 v1, v18;

	;;#ASMEND
	global_store_short v0, v1, s[0:1] offset:64
	;;#ASMSTART
	v_cvt_f16_f32 v1, v17;

	;;#ASMEND
	global_store_short v0, v1, s[0:1] offset:128
	s_and_b32 exec_lo, exec_lo, vcc_lo
	s_cbranch_execz .LBB265_551
; %bb.550:
	v_add_co_u32 v0, s0, s0, v0
	v_add_co_ci_u32_e64 v1, null, s1, 0, s0
	;;#ASMSTART
	v_cvt_f16_f32 v2, v16;

	;;#ASMEND
	global_store_short v[0:1], v2, off offset:192
.LBB265_551:
	s_endpgm
	.section	.rodata,"a",@progbits
	.p2align	6, 0x0
	.amdhsa_kernel _ZN4vllm25paged_attention_v2_kernelIthLi112ELi8ELi128ELNS_18Fp8KVCacheDataTypeE1ELb1ELi512EEEvPfS2_PT_PKS3_PKT0_S9_ifPKiSB_iPKfiiiSD_SD_iiiii
		.amdhsa_group_segment_fixed_size 256
		.amdhsa_private_segment_fixed_size 0
		.amdhsa_kernarg_size 400
		.amdhsa_user_sgpr_count 6
		.amdhsa_user_sgpr_private_segment_buffer 1
		.amdhsa_user_sgpr_dispatch_ptr 0
		.amdhsa_user_sgpr_queue_ptr 0
		.amdhsa_user_sgpr_kernarg_segment_ptr 1
		.amdhsa_user_sgpr_dispatch_id 0
		.amdhsa_user_sgpr_flat_scratch_init 0
		.amdhsa_user_sgpr_private_segment_size 0
		.amdhsa_wavefront_size32 1
		.amdhsa_uses_dynamic_stack 0
		.amdhsa_system_sgpr_private_segment_wavefront_offset 0
		.amdhsa_system_sgpr_workgroup_id_x 1
		.amdhsa_system_sgpr_workgroup_id_y 1
		.amdhsa_system_sgpr_workgroup_id_z 1
		.amdhsa_system_sgpr_workgroup_info 0
		.amdhsa_system_vgpr_workitem_id 0
		.amdhsa_next_free_vgpr 77
		.amdhsa_next_free_sgpr 52
		.amdhsa_reserve_vcc 1
		.amdhsa_reserve_flat_scratch 0
		.amdhsa_float_round_mode_32 0
		.amdhsa_float_round_mode_16_64 0
		.amdhsa_float_denorm_mode_32 3
		.amdhsa_float_denorm_mode_16_64 3
		.amdhsa_dx10_clamp 1
		.amdhsa_ieee_mode 1
		.amdhsa_fp16_overflow 0
		.amdhsa_workgroup_processor_mode 1
		.amdhsa_memory_ordered 1
		.amdhsa_forward_progress 1
		.amdhsa_shared_vgpr_count 0
		.amdhsa_exception_fp_ieee_invalid_op 0
		.amdhsa_exception_fp_denorm_src 0
		.amdhsa_exception_fp_ieee_div_zero 0
		.amdhsa_exception_fp_ieee_overflow 0
		.amdhsa_exception_fp_ieee_underflow 0
		.amdhsa_exception_fp_ieee_inexact 0
		.amdhsa_exception_int_div_zero 0
	.end_amdhsa_kernel
	.section	.text._ZN4vllm25paged_attention_v2_kernelIthLi112ELi8ELi128ELNS_18Fp8KVCacheDataTypeE1ELb1ELi512EEEvPfS2_PT_PKS3_PKT0_S9_ifPKiSB_iPKfiiiSD_SD_iiiii,"axG",@progbits,_ZN4vllm25paged_attention_v2_kernelIthLi112ELi8ELi128ELNS_18Fp8KVCacheDataTypeE1ELb1ELi512EEEvPfS2_PT_PKS3_PKT0_S9_ifPKiSB_iPKfiiiSD_SD_iiiii,comdat
.Lfunc_end265:
	.size	_ZN4vllm25paged_attention_v2_kernelIthLi112ELi8ELi128ELNS_18Fp8KVCacheDataTypeE1ELb1ELi512EEEvPfS2_PT_PKS3_PKT0_S9_ifPKiSB_iPKfiiiSD_SD_iiiii, .Lfunc_end265-_ZN4vllm25paged_attention_v2_kernelIthLi112ELi8ELi128ELNS_18Fp8KVCacheDataTypeE1ELb1ELi512EEEvPfS2_PT_PKS3_PKT0_S9_ifPKiSB_iPKfiiiSD_SD_iiiii
                                        ; -- End function
	.set _ZN4vllm25paged_attention_v2_kernelIthLi112ELi8ELi128ELNS_18Fp8KVCacheDataTypeE1ELb1ELi512EEEvPfS2_PT_PKS3_PKT0_S9_ifPKiSB_iPKfiiiSD_SD_iiiii.num_vgpr, 77
	.set _ZN4vllm25paged_attention_v2_kernelIthLi112ELi8ELi128ELNS_18Fp8KVCacheDataTypeE1ELb1ELi512EEEvPfS2_PT_PKS3_PKT0_S9_ifPKiSB_iPKfiiiSD_SD_iiiii.num_agpr, 0
	.set _ZN4vllm25paged_attention_v2_kernelIthLi112ELi8ELi128ELNS_18Fp8KVCacheDataTypeE1ELb1ELi512EEEvPfS2_PT_PKS3_PKT0_S9_ifPKiSB_iPKfiiiSD_SD_iiiii.numbered_sgpr, 52
	.set _ZN4vllm25paged_attention_v2_kernelIthLi112ELi8ELi128ELNS_18Fp8KVCacheDataTypeE1ELb1ELi512EEEvPfS2_PT_PKS3_PKT0_S9_ifPKiSB_iPKfiiiSD_SD_iiiii.num_named_barrier, 0
	.set _ZN4vllm25paged_attention_v2_kernelIthLi112ELi8ELi128ELNS_18Fp8KVCacheDataTypeE1ELb1ELi512EEEvPfS2_PT_PKS3_PKT0_S9_ifPKiSB_iPKfiiiSD_SD_iiiii.private_seg_size, 0
	.set _ZN4vllm25paged_attention_v2_kernelIthLi112ELi8ELi128ELNS_18Fp8KVCacheDataTypeE1ELb1ELi512EEEvPfS2_PT_PKS3_PKT0_S9_ifPKiSB_iPKfiiiSD_SD_iiiii.uses_vcc, 1
	.set _ZN4vllm25paged_attention_v2_kernelIthLi112ELi8ELi128ELNS_18Fp8KVCacheDataTypeE1ELb1ELi512EEEvPfS2_PT_PKS3_PKT0_S9_ifPKiSB_iPKfiiiSD_SD_iiiii.uses_flat_scratch, 0
	.set _ZN4vllm25paged_attention_v2_kernelIthLi112ELi8ELi128ELNS_18Fp8KVCacheDataTypeE1ELb1ELi512EEEvPfS2_PT_PKS3_PKT0_S9_ifPKiSB_iPKfiiiSD_SD_iiiii.has_dyn_sized_stack, 0
	.set _ZN4vllm25paged_attention_v2_kernelIthLi112ELi8ELi128ELNS_18Fp8KVCacheDataTypeE1ELb1ELi512EEEvPfS2_PT_PKS3_PKT0_S9_ifPKiSB_iPKfiiiSD_SD_iiiii.has_recursion, 0
	.set _ZN4vllm25paged_attention_v2_kernelIthLi112ELi8ELi128ELNS_18Fp8KVCacheDataTypeE1ELb1ELi512EEEvPfS2_PT_PKS3_PKT0_S9_ifPKiSB_iPKfiiiSD_SD_iiiii.has_indirect_call, 0
	.section	.AMDGPU.csdata,"",@progbits
; Kernel info:
; codeLenInByte = 19588
; TotalNumSgprs: 54
; NumVgprs: 77
; ScratchSize: 0
; MemoryBound: 0
; FloatMode: 240
; IeeeMode: 1
; LDSByteSize: 256 bytes/workgroup (compile time only)
; SGPRBlocks: 0
; VGPRBlocks: 9
; NumSGPRsForWavesPerEU: 54
; NumVGPRsForWavesPerEU: 77
; Occupancy: 12
; WaveLimiterHint : 1
; COMPUTE_PGM_RSRC2:SCRATCH_EN: 0
; COMPUTE_PGM_RSRC2:USER_SGPR: 6
; COMPUTE_PGM_RSRC2:TRAP_HANDLER: 0
; COMPUTE_PGM_RSRC2:TGID_X_EN: 1
; COMPUTE_PGM_RSRC2:TGID_Y_EN: 1
; COMPUTE_PGM_RSRC2:TGID_Z_EN: 1
; COMPUTE_PGM_RSRC2:TIDIG_COMP_CNT: 0
	.section	.text._ZN4vllm25paged_attention_v2_kernelIthLi120ELi8ELi128ELNS_18Fp8KVCacheDataTypeE1ELb1ELi512EEEvPfS2_PT_PKS3_PKT0_S9_ifPKiSB_iPKfiiiSD_SD_iiiii,"axG",@progbits,_ZN4vllm25paged_attention_v2_kernelIthLi120ELi8ELi128ELNS_18Fp8KVCacheDataTypeE1ELb1ELi512EEEvPfS2_PT_PKS3_PKT0_S9_ifPKiSB_iPKfiiiSD_SD_iiiii,comdat
	.protected	_ZN4vllm25paged_attention_v2_kernelIthLi120ELi8ELi128ELNS_18Fp8KVCacheDataTypeE1ELb1ELi512EEEvPfS2_PT_PKS3_PKT0_S9_ifPKiSB_iPKfiiiSD_SD_iiiii ; -- Begin function _ZN4vllm25paged_attention_v2_kernelIthLi120ELi8ELi128ELNS_18Fp8KVCacheDataTypeE1ELb1ELi512EEEvPfS2_PT_PKS3_PKT0_S9_ifPKiSB_iPKfiiiSD_SD_iiiii
	.globl	_ZN4vllm25paged_attention_v2_kernelIthLi120ELi8ELi128ELNS_18Fp8KVCacheDataTypeE1ELb1ELi512EEEvPfS2_PT_PKS3_PKT0_S9_ifPKiSB_iPKfiiiSD_SD_iiiii
	.p2align	8
	.type	_ZN4vllm25paged_attention_v2_kernelIthLi120ELi8ELi128ELNS_18Fp8KVCacheDataTypeE1ELb1ELi512EEEvPfS2_PT_PKS3_PKT0_S9_ifPKiSB_iPKfiiiSD_SD_iiiii,@function
_ZN4vllm25paged_attention_v2_kernelIthLi120ELi8ELi128ELNS_18Fp8KVCacheDataTypeE1ELb1ELi512EEEvPfS2_PT_PKS3_PKT0_S9_ifPKiSB_iPKfiiiSD_SD_iiiii: ; @_ZN4vllm25paged_attention_v2_kernelIthLi120ELi8ELi128ELNS_18Fp8KVCacheDataTypeE1ELb1ELi512EEEvPfS2_PT_PKS3_PKT0_S9_ifPKiSB_iPKfiiiSD_SD_iiiii
; %bb.0:
	s_load_dwordx2 s[0:1], s[4:5], 0x40
	s_mov_b32 s30, s7
	s_ashr_i32 s31, s7, 31
	s_lshl_b64 s[2:3], s[30:31], 2
	s_waitcnt lgkmcnt(0)
	s_add_u32 s0, s0, s2
	s_addc_u32 s1, s1, s3
	s_lshl_b32 s42, s8, 9
	s_load_dword s31, s[0:1], 0x0
	s_waitcnt lgkmcnt(0)
	s_cmp_ge_i32 s42, s31
	s_cbranch_scc1 .LBB266_567
; %bb.1:
	s_clause 0x1
	s_load_dword s9, s[4:5], 0x90
	s_load_dwordx2 s[40:41], s[4:5], 0x30
	s_mov_b32 s43, 0
	s_waitcnt lgkmcnt(0)
	s_abs_i32 s3, s9
	s_abs_i32 s0, s40
	v_cvt_f32_u32_e32 v1, s0
	s_sub_i32 s2, 0, s0
	v_rcp_iflag_f32_e32 v1, v1
	v_mul_f32_e32 v1, 0x4f7ffffe, v1
	v_cvt_u32_f32_e32 v1, v1
	v_readfirstlane_b32 s1, v1
	s_mul_i32 s2, s2, s1
	s_mul_hi_u32 s2, s1, s2
	s_add_i32 s1, s1, s2
	s_xor_b32 s2, s9, s40
	s_mul_hi_u32 s1, s3, s1
	s_ashr_i32 s2, s2, 31
	s_mul_i32 s7, s1, s0
	s_sub_i32 s3, s3, s7
	s_add_i32 s7, s1, 1
	s_sub_i32 s10, s3, s0
	s_cmp_ge_u32 s3, s0
	s_cselect_b32 s1, s7, s1
	s_cselect_b32 s3, s10, s3
	s_add_i32 s7, s1, 1
	s_cmp_ge_u32 s3, s0
	s_cselect_b32 s0, s7, s1
	s_xor_b32 s0, s0, s2
	s_sub_i32 s10, s0, s2
	s_load_dwordx2 s[0:1], s[4:5], 0x50
	s_abs_i32 s2, s10
	v_cvt_f32_u32_e32 v1, s2
	s_sub_i32 s3, 0, s2
	v_rcp_iflag_f32_e32 v1, v1
	v_mul_f32_e32 v1, 0x4f7ffffe, v1
	v_cvt_u32_f32_e32 v1, v1
	v_readfirstlane_b32 s7, v1
	s_mul_i32 s3, s3, s7
	s_mul_hi_u32 s11, s7, s3
	s_abs_i32 s3, s6
	s_add_i32 s7, s7, s11
	s_waitcnt lgkmcnt(0)
	s_cmp_eq_u64 s[0:1], 0
	s_mul_hi_u32 s12, s3, s7
	s_cbranch_scc1 .LBB266_3
; %bb.2:
	s_ashr_i32 s7, s6, 31
	s_lshl_b64 s[14:15], s[6:7], 2
	s_add_u32 s0, s0, s14
	s_addc_u32 s1, s1, s15
	s_load_dword s43, s[0:1], 0x0
.LBB266_3:
	s_load_dwordx4 s[16:19], s[4:5], 0x58
	v_and_b32_e32 v3, 3, v0
	s_ashr_i32 s0, s6, 31
	s_ashr_i32 s1, s10, 31
	s_mul_i32 s10, s6, 0x78
	s_mov_b32 s7, exec_lo
	v_cmpx_gt_u32_e32 60, v0
	s_cbranch_execz .LBB266_5
; %bb.4:
	s_load_dwordx2 s[14:15], s[4:5], 0x18
	s_waitcnt lgkmcnt(0)
	s_mul_i32 s20, s16, s30
	v_lshlrev_b32_e32 v1, 2, v0
	s_ashr_i32 s21, s20, 31
	v_and_b32_e32 v2, 0x3fc, v0
	s_lshl_b64 s[20:21], s[20:21], 1
	v_mad_u32_u24 v2, v3, 60, v2
	s_add_u32 s13, s14, s20
	s_addc_u32 s16, s15, s21
	s_ashr_i32 s11, s10, 31
	s_lshl_b64 s[14:15], s[10:11], 1
	s_add_u32 s14, s13, s14
	s_addc_u32 s15, s16, s15
	global_load_dword v1, v1, s[14:15]
	s_waitcnt vmcnt(0)
	ds_write_b32 v2, v1
.LBB266_5:
	s_or_b32 exec_lo, exec_lo, s7
	s_load_dwordx4 s[20:23], s[4:5], 0x78
	s_mul_i32 s7, s12, s2
	s_xor_b32 s0, s0, s1
	s_sub_i32 s1, s3, s7
	s_add_i32 s3, s12, 1
	s_sub_i32 s7, s1, s2
	s_cmp_ge_u32 s1, s2
	s_mov_b32 s11, -1
	s_cselect_b32 s3, s3, s12
	s_cselect_b32 s1, s7, s1
	s_add_i32 s7, s3, 1
	s_cmp_ge_u32 s1, s2
                                        ; implicit-def: $sgpr33
	s_cselect_b32 s1, s7, s3
	s_load_dword s3, s[4:5], 0x88
	s_xor_b32 s1, s1, s0
	s_add_i32 s7, s31, -1
	s_sub_i32 s1, s1, s0
	s_abs_i32 s2, s7
	s_waitcnt lgkmcnt(0)
	s_abs_i32 s16, s23
	s_barrier
	v_cvt_f32_u32_e32 v1, s16
	s_sub_i32 s0, 0, s16
	buffer_gl0_inv
	v_rcp_iflag_f32_e32 v1, v1
	v_mul_f32_e32 v1, 0x4f7ffffe, v1
	v_cvt_u32_f32_e32 v1, v1
	v_readfirstlane_b32 s19, v1
	s_mul_i32 s0, s0, s19
	s_mul_hi_u32 s0, s19, s0
	s_add_i32 s19, s19, s0
	s_cmp_lt_i32 s3, 0
	s_mul_hi_u32 s0, s2, s19
	s_cbranch_scc0 .LBB266_7
; %bb.6:
	s_mul_i32 s11, s20, s40
	s_add_i32 s11, s1, s11
	s_mul_i32 s11, s11, s3
	s_sub_i32 s33, 1, s11
	s_mov_b32 s11, 0
.LBB266_7:
	s_load_dwordx2 s[34:35], s[4:5], 0x38
	s_ashr_i32 s7, s7, 31
	s_andn2_b32 vcc_lo, exec_lo, s11
	s_ashr_i32 s23, s23, 31
	s_cbranch_vccnz .LBB266_9
; %bb.8:
	s_mul_i32 s11, s9, s20
	s_add_i32 s11, s11, s6
	s_mul_i32 s3, s11, s3
	s_add_i32 s33, s3, 1
.LBB266_9:
	s_clause 0x5
	s_load_dword s3, s[4:5], 0x48
	s_load_dwordx2 s[38:39], s[4:5], 0x28
	s_load_dwordx4 s[24:27], s[4:5], 0x0
	s_load_dwordx2 s[28:29], s[4:5], 0x10
	s_load_dword s11, s[4:5], 0x98
	s_load_dwordx4 s[12:15], s[4:5], 0x68
	s_xor_b32 s40, s7, s23
	s_mul_i32 s7, s0, s16
	s_add_i32 s20, s0, 1
	s_sub_i32 s2, s2, s7
	v_lshrrev_b32_e32 v12, 5, v0
	v_mov_b32_e32 v14, 0xff7fffff
	v_mbcnt_lo_u32_b32 v11, -1, 0
	s_mul_i32 s18, s1, s18
	v_lshl_add_u32 v13, v12, 3, s42
	s_waitcnt lgkmcnt(0)
	s_mul_i32 s36, s3, s30
	s_sub_i32 s3, s2, s16
	s_ashr_i32 s37, s36, 31
	s_cmp_ge_u32 s2, s16
	s_cselect_b32 s0, s20, s0
	s_cselect_b32 s2, s3, s2
	s_add_i32 s3, s0, 1
	s_cmp_ge_u32 s2, s16
	s_cselect_b32 s0, s3, s0
	s_add_i32 s2, s31, 7
	s_lshl_b32 s44, s8, 6
	s_ashr_i32 s3, s2, 31
	v_or_b32_e32 v1, s44, v12
	s_lshr_b32 s3, s3, 29
	s_add_i32 s2, s2, s3
	s_add_i32 s3, s44, 64
	s_ashr_i32 s7, s2, 3
	s_xor_b32 s2, s0, s40
	s_min_i32 s20, s3, s7
	v_ashrrev_i32_e32 v2, 31, v1
	v_cmp_gt_i32_e64 s0, s20, v1
	s_sub_i32 s40, s2, s40
	s_and_saveexec_b32 s45, s0
	s_cbranch_execz .LBB266_261
; %bb.10:
	s_load_dwordx2 s[2:3], s[4:5], 0x20
	s_sub_i32 s4, s40, s21
	s_ashr_i32 s1, s18, 31
	v_bfe_u32 v15, v0, 2, 3
	v_cmp_eq_u32_e32 vcc_lo, 0, v3
	v_lshlrev_b32_e32 v8, 1, v3
	v_mul_u32_u24_e32 v16, 60, v3
	v_mov_b32_e32 v4, 0
	v_lshlrev_b32_e32 v3, 2, v15
	v_subrev_nc_u32_e32 v9, s31, v15
	v_lshl_add_u32 v17, v12, 3, s42
	v_mov_b32_e32 v18, 0x80
	v_mov_b32_e32 v19, 0x7f
	v_lshl_or_b32 v3, v12, 5, v3
	v_add_nc_u32_e32 v22, 1, v9
	v_mov_b32_e32 v20, 7
	v_mov_b32_e32 v21, 8
	;; [unrolled: 1-line block ×3, first 2 shown]
	v_add_nc_u32_e32 v23, 0x110, v3
	v_mov_b32_e32 v25, v1
	s_waitcnt lgkmcnt(0)
	s_add_u32 s46, s2, s18
	s_addc_u32 s47, s3, s1
	s_abs_i32 s5, s22
	v_cmp_neq_f32_e64 s1, s43, 0
	v_cvt_f32_u32_e32 v5, s5
	s_sub_i32 s2, 0, s5
	v_rcp_iflag_f32_e32 v7, v5
	v_lshlrev_b64 v[5:6], 2, v[1:2]
	v_mul_f32_e32 v7, 0x4f7ffffe, v7
	v_cvt_u32_f32_e32 v10, v7
	v_lshlrev_b32_e32 v7, 4, v15
	v_mul_lo_u32 v3, s2, v10
	s_lshl_b64 s[2:3], s[36:37], 2
	v_add_co_u32 v7, s46, s46, v7
	s_add_u32 s2, s34, s2
	v_add_co_ci_u32_e64 v9, null, s47, 0, s46
	s_addc_u32 s3, s35, s3
	v_mul_hi_u32 v3, v10, v3
	v_add_co_u32 v5, s2, s2, v5
	v_add_co_ci_u32_e64 v6, null, s3, v6, s2
	v_add_co_u32 v7, s2, v7, v8
	v_add_co_ci_u32_e64 v8, null, 0, v9, s2
	v_add_nc_u32_e32 v24, v10, v3
	s_mov_b32 s46, 0
	s_mov_b32 s47, s17
	s_branch .LBB266_13
.LBB266_11:                             ;   in Loop: Header=BB266_13 Depth=1
	s_or_b32 exec_lo, exec_lo, s48
.LBB266_12:                             ;   in Loop: Header=BB266_13 Depth=1
	s_or_b32 exec_lo, exec_lo, s3
	v_add_nc_u32_e32 v25, 4, v25
	v_add_co_u32 v5, s3, v5, 16
	v_add_co_ci_u32_e64 v6, null, 0, v6, s3
	v_cmp_le_i32_e64 s2, s20, v25
	v_add_nc_u32_e32 v17, 32, v17
	v_add_nc_u32_e32 v23, 0x80, v23
	s_or_b32 s46, s2, s46
	s_andn2_b32 exec_lo, exec_lo, s46
	s_cbranch_execz .LBB266_260
.LBB266_13:                             ; =>This Inner Loop Header: Depth=1
	v_sub_nc_u32_e32 v3, 0, v17
	v_max_i32_e32 v3, v17, v3
	s_waitcnt lgkmcnt(0)
	v_mul_hi_u32 v9, v3, s19
	v_mul_lo_u32 v10, v9, s16
	v_sub_nc_u32_e32 v3, v3, v10
	v_add_nc_u32_e32 v10, 1, v9
	v_subrev_nc_u32_e32 v26, s16, v3
	v_cmp_le_u32_e64 s2, s16, v3
	v_cndmask_b32_e64 v9, v9, v10, s2
	v_cndmask_b32_e64 v3, v3, v26, s2
	v_ashrrev_i32_e32 v10, 31, v17
	v_add_nc_u32_e32 v26, 1, v9
	v_cmp_le_u32_e64 s2, s16, v3
	v_xor_b32_e32 v10, s23, v10
	v_cndmask_b32_e64 v3, v9, v26, s2
	v_xor_b32_e32 v3, v3, v10
	v_sub_nc_u32_e32 v3, v3, v10
	v_add_nc_u32_e32 v9, s33, v3
	v_cmp_ge_i32_e64 s3, s4, v3
	v_sub_nc_u32_e32 v10, 0, v9
	v_max_i32_e32 v10, v9, v10
	v_ashrrev_i32_e32 v9, 31, v9
	v_mul_hi_u32 v26, v10, v24
	v_mul_lo_u32 v26, v26, s5
	v_sub_nc_u32_e32 v10, v10, v26
	v_subrev_nc_u32_e32 v26, s5, v10
	v_cmp_le_u32_e64 s2, s5, v10
	v_cndmask_b32_e64 v10, v10, v26, s2
	v_subrev_nc_u32_e32 v26, s5, v10
	v_cmp_le_u32_e64 s2, s5, v10
	v_cndmask_b32_e64 v10, v10, v26, s2
	v_xor_b32_e32 v10, v10, v9
	v_sub_nc_u32_e32 v9, v10, v9
	v_cmp_ne_u32_e64 s2, 0, v9
	s_and_b32 s2, s2, s3
	s_and_saveexec_b32 s3, s2
	s_xor_b32 s2, exec_lo, s3
	s_cbranch_execz .LBB266_17
; %bb.14:                               ;   in Loop: Header=BB266_13 Depth=1
	s_and_saveexec_b32 s3, vcc_lo
; %bb.15:                               ;   in Loop: Header=BB266_13 Depth=1
	v_mov_b32_e32 v3, 0xff7fffff
	ds_write_b32 v23, v3
; %bb.16:                               ;   in Loop: Header=BB266_13 Depth=1
	s_or_b32 exec_lo, exec_lo, s3
.LBB266_17:                             ;   in Loop: Header=BB266_13 Depth=1
	s_andn2_saveexec_b32 s3, s2
	s_cbranch_execz .LBB266_12
; %bb.18:                               ;   in Loop: Header=BB266_13 Depth=1
	global_load_dword v3, v[5:6], off
	v_mov_b32_e32 v27, 0
	global_load_dword v26, v27, s[12:13]
	s_waitcnt vmcnt(1)
	v_mad_i64_i32 v[9:10], null, v3, s47, v[7:8]
	global_load_ushort v28, v[9:10], off
	s_waitcnt vmcnt(0)
	v_and_b32_e32 v3, 0xffff, v28
	v_cmp_ne_u16_sdwa s2, v28, v4 src0_sel:BYTE_0 src1_sel:DWORD
	v_mov_b32_e32 v28, 0
	s_and_saveexec_b32 s48, s2
	s_cbranch_execz .LBB266_26
; %bb.19:                               ;   in Loop: Header=BB266_13 Depth=1
	v_cmp_ne_u16_sdwa s2, v3, v18 src0_sel:BYTE_0 src1_sel:DWORD
	v_mov_b32_e32 v28, 0x8000
	s_and_saveexec_b32 s49, s2
	s_cbranch_execz .LBB266_25
; %bb.20:                               ;   in Loop: Header=BB266_13 Depth=1
	v_and_b32_e32 v30, 0x7f, v3
	v_mov_b32_e32 v28, 0x7c01
	s_mov_b32 s50, exec_lo
	v_cmpx_ne_u32_e32 0x7f, v30
	s_cbranch_execz .LBB266_24
; %bb.21:                               ;   in Loop: Header=BB266_13 Depth=1
	v_and_b32_e32 v28, 7, v3
	v_lshrrev_b32_e32 v29, 3, v30
	s_mov_b32 s51, exec_lo
	v_cmpx_gt_u32_e32 8, v30
; %bb.22:                               ;   in Loop: Header=BB266_13 Depth=1
	v_ffbh_u32_e32 v28, v28
	v_min_u32_e32 v30, 32, v28
	v_subrev_nc_u32_e32 v28, 28, v30
	v_lshlrev_b64 v[28:29], v28, v[3:4]
	v_sub_nc_u32_e32 v29, 29, v30
	v_and_b32_e32 v28, 7, v28
; %bb.23:                               ;   in Loop: Header=BB266_13 Depth=1
	s_or_b32 exec_lo, exec_lo, s51
	v_lshlrev_b32_e32 v30, 8, v3
	v_lshl_add_u32 v29, v29, 10, 0x2000
	v_lshlrev_b32_e32 v28, 7, v28
	v_and_b32_e32 v30, 0x8000, v30
	v_and_b32_e32 v29, 0xfc00, v29
	v_or3_b32 v28, v30, v29, v28
.LBB266_24:                             ;   in Loop: Header=BB266_13 Depth=1
	s_or_b32 exec_lo, exec_lo, s50
.LBB266_25:                             ;   in Loop: Header=BB266_13 Depth=1
	s_or_b32 exec_lo, exec_lo, s49
.LBB266_26:                             ;   in Loop: Header=BB266_13 Depth=1
	s_or_b32 exec_lo, exec_lo, s48
	v_lshrrev_b16 v3, 8, v3
	s_mov_b32 s48, exec_lo
	v_cmpx_ne_u16_e32 0, v3
	s_cbranch_execz .LBB266_34
; %bb.27:                               ;   in Loop: Header=BB266_13 Depth=1
	v_bfrev_b32_e32 v27, 1
	s_mov_b32 s49, exec_lo
	v_cmpx_ne_u16_e32 0x80, v3
	s_cbranch_execz .LBB266_33
; %bb.28:                               ;   in Loop: Header=BB266_13 Depth=1
	v_and_b32_sdwa v30, v3, v19 dst_sel:DWORD dst_unused:UNUSED_PAD src0_sel:WORD_0 src1_sel:DWORD
	v_mov_b32_e32 v27, 0x7c010000
	s_mov_b32 s50, exec_lo
	v_cmpx_ne_u32_e32 0x7f, v30
	s_cbranch_execz .LBB266_32
; %bb.29:                               ;   in Loop: Header=BB266_13 Depth=1
	v_and_b32_sdwa v27, v3, v20 dst_sel:DWORD dst_unused:UNUSED_PAD src0_sel:WORD_0 src1_sel:DWORD
	v_lshrrev_b32_e32 v29, 3, v30
	s_mov_b32 s51, exec_lo
	v_cmpx_gt_u32_e32 8, v30
; %bb.30:                               ;   in Loop: Header=BB266_13 Depth=1
	v_ffbh_u32_e32 v27, v27
	v_min_u32_e32 v27, 32, v27
	v_subrev_nc_u32_e32 v29, 28, v27
	v_lshlrev_b64 v[30:31], v29, v[3:4]
	v_sub_nc_u32_e32 v29, 29, v27
	v_and_b32_e32 v27, 7, v30
; %bb.31:                               ;   in Loop: Header=BB266_13 Depth=1
	s_or_b32 exec_lo, exec_lo, s51
	v_lshlrev_b32_sdwa v3, v21, v3 dst_sel:DWORD dst_unused:UNUSED_PAD src0_sel:DWORD src1_sel:WORD_0
	v_lshl_add_u32 v29, v29, 10, 0x2000
	v_lshlrev_b32_e32 v27, 23, v27
	v_and_or_b32 v3, 0x8000, v3, v29
	v_lshl_or_b32 v27, v3, 16, v27
.LBB266_32:                             ;   in Loop: Header=BB266_13 Depth=1
	s_or_b32 exec_lo, exec_lo, s50
.LBB266_33:                             ;   in Loop: Header=BB266_13 Depth=1
	s_or_b32 exec_lo, exec_lo, s49
.LBB266_34:                             ;   in Loop: Header=BB266_13 Depth=1
	s_or_b32 exec_lo, exec_lo, s48
	global_load_ushort v30, v[9:10], off offset:8
	v_mov_b32_e32 v29, 0
	s_waitcnt vmcnt(0)
	v_and_b32_e32 v3, 0xffff, v30
	v_cmp_ne_u16_sdwa s2, v30, v4 src0_sel:BYTE_0 src1_sel:DWORD
	v_mov_b32_e32 v30, 0
	s_and_saveexec_b32 s48, s2
	s_cbranch_execz .LBB266_42
; %bb.35:                               ;   in Loop: Header=BB266_13 Depth=1
	v_cmp_ne_u16_sdwa s2, v3, v18 src0_sel:BYTE_0 src1_sel:DWORD
	v_mov_b32_e32 v30, 0x8000
	s_and_saveexec_b32 s49, s2
	s_cbranch_execz .LBB266_41
; %bb.36:                               ;   in Loop: Header=BB266_13 Depth=1
	v_and_b32_e32 v32, 0x7f, v3
	v_mov_b32_e32 v30, 0x7c01
	s_mov_b32 s50, exec_lo
	v_cmpx_ne_u32_e32 0x7f, v32
	s_cbranch_execz .LBB266_40
; %bb.37:                               ;   in Loop: Header=BB266_13 Depth=1
	v_and_b32_e32 v30, 7, v3
	v_lshrrev_b32_e32 v31, 3, v32
	s_mov_b32 s51, exec_lo
	v_cmpx_gt_u32_e32 8, v32
; %bb.38:                               ;   in Loop: Header=BB266_13 Depth=1
	v_ffbh_u32_e32 v30, v30
	v_min_u32_e32 v32, 32, v30
	v_subrev_nc_u32_e32 v30, 28, v32
	v_lshlrev_b64 v[30:31], v30, v[3:4]
	v_sub_nc_u32_e32 v31, 29, v32
	v_and_b32_e32 v30, 7, v30
; %bb.39:                               ;   in Loop: Header=BB266_13 Depth=1
	s_or_b32 exec_lo, exec_lo, s51
	v_lshlrev_b32_e32 v32, 8, v3
	v_lshl_add_u32 v31, v31, 10, 0x2000
	v_lshlrev_b32_e32 v30, 7, v30
	v_and_b32_e32 v32, 0x8000, v32
	v_and_b32_e32 v31, 0xfc00, v31
	v_or3_b32 v30, v32, v31, v30
.LBB266_40:                             ;   in Loop: Header=BB266_13 Depth=1
	s_or_b32 exec_lo, exec_lo, s50
.LBB266_41:                             ;   in Loop: Header=BB266_13 Depth=1
	s_or_b32 exec_lo, exec_lo, s49
.LBB266_42:                             ;   in Loop: Header=BB266_13 Depth=1
	s_or_b32 exec_lo, exec_lo, s48
	v_lshrrev_b16 v3, 8, v3
	s_mov_b32 s48, exec_lo
	v_cmpx_ne_u16_e32 0, v3
	s_cbranch_execz .LBB266_50
; %bb.43:                               ;   in Loop: Header=BB266_13 Depth=1
	v_bfrev_b32_e32 v29, 1
	s_mov_b32 s49, exec_lo
	v_cmpx_ne_u16_e32 0x80, v3
	s_cbranch_execz .LBB266_49
; %bb.44:                               ;   in Loop: Header=BB266_13 Depth=1
	v_and_b32_sdwa v32, v3, v19 dst_sel:DWORD dst_unused:UNUSED_PAD src0_sel:WORD_0 src1_sel:DWORD
	v_mov_b32_e32 v29, 0x7c010000
	s_mov_b32 s50, exec_lo
	v_cmpx_ne_u32_e32 0x7f, v32
	s_cbranch_execz .LBB266_48
; %bb.45:                               ;   in Loop: Header=BB266_13 Depth=1
	v_and_b32_sdwa v29, v3, v20 dst_sel:DWORD dst_unused:UNUSED_PAD src0_sel:WORD_0 src1_sel:DWORD
	v_lshrrev_b32_e32 v31, 3, v32
	s_mov_b32 s51, exec_lo
	v_cmpx_gt_u32_e32 8, v32
; %bb.46:                               ;   in Loop: Header=BB266_13 Depth=1
	v_ffbh_u32_e32 v29, v29
	v_min_u32_e32 v29, 32, v29
	v_subrev_nc_u32_e32 v31, 28, v29
	v_lshlrev_b64 v[32:33], v31, v[3:4]
	v_sub_nc_u32_e32 v31, 29, v29
	v_and_b32_e32 v29, 7, v32
; %bb.47:                               ;   in Loop: Header=BB266_13 Depth=1
	s_or_b32 exec_lo, exec_lo, s51
	v_lshlrev_b32_sdwa v3, v21, v3 dst_sel:DWORD dst_unused:UNUSED_PAD src0_sel:DWORD src1_sel:WORD_0
	v_lshl_add_u32 v31, v31, 10, 0x2000
	v_lshlrev_b32_e32 v29, 23, v29
	v_and_or_b32 v3, 0x8000, v3, v31
	v_lshl_or_b32 v29, v3, 16, v29
.LBB266_48:                             ;   in Loop: Header=BB266_13 Depth=1
	s_or_b32 exec_lo, exec_lo, s50
.LBB266_49:                             ;   in Loop: Header=BB266_13 Depth=1
	s_or_b32 exec_lo, exec_lo, s49
.LBB266_50:                             ;   in Loop: Header=BB266_13 Depth=1
	s_or_b32 exec_lo, exec_lo, s48
	global_load_ushort v32, v[9:10], off offset:128
	v_mov_b32_e32 v31, 0
	s_waitcnt vmcnt(0)
	v_and_b32_e32 v3, 0xffff, v32
	v_cmp_ne_u16_sdwa s2, v32, v4 src0_sel:BYTE_0 src1_sel:DWORD
	v_mov_b32_e32 v32, 0
	s_and_saveexec_b32 s48, s2
	s_cbranch_execz .LBB266_58
; %bb.51:                               ;   in Loop: Header=BB266_13 Depth=1
	v_cmp_ne_u16_sdwa s2, v3, v18 src0_sel:BYTE_0 src1_sel:DWORD
	v_mov_b32_e32 v32, 0x8000
	s_and_saveexec_b32 s49, s2
	s_cbranch_execz .LBB266_57
; %bb.52:                               ;   in Loop: Header=BB266_13 Depth=1
	v_and_b32_e32 v34, 0x7f, v3
	v_mov_b32_e32 v32, 0x7c01
	s_mov_b32 s50, exec_lo
	v_cmpx_ne_u32_e32 0x7f, v34
	s_cbranch_execz .LBB266_56
; %bb.53:                               ;   in Loop: Header=BB266_13 Depth=1
	v_and_b32_e32 v32, 7, v3
	v_lshrrev_b32_e32 v33, 3, v34
	s_mov_b32 s51, exec_lo
	v_cmpx_gt_u32_e32 8, v34
; %bb.54:                               ;   in Loop: Header=BB266_13 Depth=1
	v_ffbh_u32_e32 v32, v32
	v_min_u32_e32 v34, 32, v32
	v_subrev_nc_u32_e32 v32, 28, v34
	v_lshlrev_b64 v[32:33], v32, v[3:4]
	v_sub_nc_u32_e32 v33, 29, v34
	v_and_b32_e32 v32, 7, v32
; %bb.55:                               ;   in Loop: Header=BB266_13 Depth=1
	s_or_b32 exec_lo, exec_lo, s51
	v_lshlrev_b32_e32 v34, 8, v3
	v_lshl_add_u32 v33, v33, 10, 0x2000
	v_lshlrev_b32_e32 v32, 7, v32
	v_and_b32_e32 v34, 0x8000, v34
	v_and_b32_e32 v33, 0xfc00, v33
	v_or3_b32 v32, v34, v33, v32
.LBB266_56:                             ;   in Loop: Header=BB266_13 Depth=1
	s_or_b32 exec_lo, exec_lo, s50
.LBB266_57:                             ;   in Loop: Header=BB266_13 Depth=1
	s_or_b32 exec_lo, exec_lo, s49
.LBB266_58:                             ;   in Loop: Header=BB266_13 Depth=1
	s_or_b32 exec_lo, exec_lo, s48
	v_lshrrev_b16 v3, 8, v3
	s_mov_b32 s48, exec_lo
	v_cmpx_ne_u16_e32 0, v3
	s_cbranch_execz .LBB266_66
; %bb.59:                               ;   in Loop: Header=BB266_13 Depth=1
	v_bfrev_b32_e32 v31, 1
	s_mov_b32 s49, exec_lo
	v_cmpx_ne_u16_e32 0x80, v3
	s_cbranch_execz .LBB266_65
; %bb.60:                               ;   in Loop: Header=BB266_13 Depth=1
	v_and_b32_sdwa v34, v3, v19 dst_sel:DWORD dst_unused:UNUSED_PAD src0_sel:WORD_0 src1_sel:DWORD
	v_mov_b32_e32 v31, 0x7c010000
	s_mov_b32 s50, exec_lo
	v_cmpx_ne_u32_e32 0x7f, v34
	s_cbranch_execz .LBB266_64
; %bb.61:                               ;   in Loop: Header=BB266_13 Depth=1
	v_and_b32_sdwa v31, v3, v20 dst_sel:DWORD dst_unused:UNUSED_PAD src0_sel:WORD_0 src1_sel:DWORD
	v_lshrrev_b32_e32 v33, 3, v34
	s_mov_b32 s51, exec_lo
	v_cmpx_gt_u32_e32 8, v34
; %bb.62:                               ;   in Loop: Header=BB266_13 Depth=1
	v_ffbh_u32_e32 v31, v31
	v_min_u32_e32 v31, 32, v31
	v_subrev_nc_u32_e32 v33, 28, v31
	v_lshlrev_b64 v[34:35], v33, v[3:4]
	v_sub_nc_u32_e32 v33, 29, v31
	v_and_b32_e32 v31, 7, v34
; %bb.63:                               ;   in Loop: Header=BB266_13 Depth=1
	s_or_b32 exec_lo, exec_lo, s51
	v_lshlrev_b32_sdwa v3, v21, v3 dst_sel:DWORD dst_unused:UNUSED_PAD src0_sel:DWORD src1_sel:WORD_0
	v_lshl_add_u32 v33, v33, 10, 0x2000
	v_lshlrev_b32_e32 v31, 23, v31
	v_and_or_b32 v3, 0x8000, v3, v33
	v_lshl_or_b32 v31, v3, 16, v31
.LBB266_64:                             ;   in Loop: Header=BB266_13 Depth=1
	s_or_b32 exec_lo, exec_lo, s50
.LBB266_65:                             ;   in Loop: Header=BB266_13 Depth=1
	s_or_b32 exec_lo, exec_lo, s49
.LBB266_66:                             ;   in Loop: Header=BB266_13 Depth=1
	s_or_b32 exec_lo, exec_lo, s48
	global_load_ushort v34, v[9:10], off offset:136
	v_mov_b32_e32 v33, 0
	s_waitcnt vmcnt(0)
	v_and_b32_e32 v3, 0xffff, v34
	v_cmp_ne_u16_sdwa s2, v34, v4 src0_sel:BYTE_0 src1_sel:DWORD
	v_mov_b32_e32 v34, 0
	s_and_saveexec_b32 s48, s2
	s_cbranch_execz .LBB266_74
; %bb.67:                               ;   in Loop: Header=BB266_13 Depth=1
	v_cmp_ne_u16_sdwa s2, v3, v18 src0_sel:BYTE_0 src1_sel:DWORD
	v_mov_b32_e32 v34, 0x8000
	s_and_saveexec_b32 s49, s2
	s_cbranch_execz .LBB266_73
; %bb.68:                               ;   in Loop: Header=BB266_13 Depth=1
	v_and_b32_e32 v36, 0x7f, v3
	v_mov_b32_e32 v34, 0x7c01
	s_mov_b32 s50, exec_lo
	v_cmpx_ne_u32_e32 0x7f, v36
	s_cbranch_execz .LBB266_72
; %bb.69:                               ;   in Loop: Header=BB266_13 Depth=1
	v_and_b32_e32 v34, 7, v3
	v_lshrrev_b32_e32 v35, 3, v36
	s_mov_b32 s51, exec_lo
	v_cmpx_gt_u32_e32 8, v36
; %bb.70:                               ;   in Loop: Header=BB266_13 Depth=1
	v_ffbh_u32_e32 v34, v34
	v_min_u32_e32 v36, 32, v34
	v_subrev_nc_u32_e32 v34, 28, v36
	v_lshlrev_b64 v[34:35], v34, v[3:4]
	v_sub_nc_u32_e32 v35, 29, v36
	v_and_b32_e32 v34, 7, v34
; %bb.71:                               ;   in Loop: Header=BB266_13 Depth=1
	s_or_b32 exec_lo, exec_lo, s51
	v_lshlrev_b32_e32 v36, 8, v3
	v_lshl_add_u32 v35, v35, 10, 0x2000
	v_lshlrev_b32_e32 v34, 7, v34
	v_and_b32_e32 v36, 0x8000, v36
	v_and_b32_e32 v35, 0xfc00, v35
	v_or3_b32 v34, v36, v35, v34
.LBB266_72:                             ;   in Loop: Header=BB266_13 Depth=1
	s_or_b32 exec_lo, exec_lo, s50
.LBB266_73:                             ;   in Loop: Header=BB266_13 Depth=1
	s_or_b32 exec_lo, exec_lo, s49
.LBB266_74:                             ;   in Loop: Header=BB266_13 Depth=1
	s_or_b32 exec_lo, exec_lo, s48
	v_lshrrev_b16 v3, 8, v3
	s_mov_b32 s48, exec_lo
	v_cmpx_ne_u16_e32 0, v3
	s_cbranch_execz .LBB266_82
; %bb.75:                               ;   in Loop: Header=BB266_13 Depth=1
	v_bfrev_b32_e32 v33, 1
	s_mov_b32 s49, exec_lo
	v_cmpx_ne_u16_e32 0x80, v3
	s_cbranch_execz .LBB266_81
; %bb.76:                               ;   in Loop: Header=BB266_13 Depth=1
	v_and_b32_sdwa v36, v3, v19 dst_sel:DWORD dst_unused:UNUSED_PAD src0_sel:WORD_0 src1_sel:DWORD
	v_mov_b32_e32 v33, 0x7c010000
	s_mov_b32 s50, exec_lo
	v_cmpx_ne_u32_e32 0x7f, v36
	s_cbranch_execz .LBB266_80
; %bb.77:                               ;   in Loop: Header=BB266_13 Depth=1
	v_and_b32_sdwa v33, v3, v20 dst_sel:DWORD dst_unused:UNUSED_PAD src0_sel:WORD_0 src1_sel:DWORD
	v_lshrrev_b32_e32 v35, 3, v36
	s_mov_b32 s51, exec_lo
	v_cmpx_gt_u32_e32 8, v36
; %bb.78:                               ;   in Loop: Header=BB266_13 Depth=1
	v_ffbh_u32_e32 v33, v33
	v_min_u32_e32 v33, 32, v33
	v_subrev_nc_u32_e32 v35, 28, v33
	v_lshlrev_b64 v[36:37], v35, v[3:4]
	v_sub_nc_u32_e32 v35, 29, v33
	v_and_b32_e32 v33, 7, v36
; %bb.79:                               ;   in Loop: Header=BB266_13 Depth=1
	s_or_b32 exec_lo, exec_lo, s51
	v_lshlrev_b32_sdwa v3, v21, v3 dst_sel:DWORD dst_unused:UNUSED_PAD src0_sel:DWORD src1_sel:WORD_0
	v_lshl_add_u32 v35, v35, 10, 0x2000
	v_lshlrev_b32_e32 v33, 23, v33
	v_and_or_b32 v3, 0x8000, v3, v35
	v_lshl_or_b32 v33, v3, 16, v33
.LBB266_80:                             ;   in Loop: Header=BB266_13 Depth=1
	s_or_b32 exec_lo, exec_lo, s50
.LBB266_81:                             ;   in Loop: Header=BB266_13 Depth=1
	s_or_b32 exec_lo, exec_lo, s49
.LBB266_82:                             ;   in Loop: Header=BB266_13 Depth=1
	s_or_b32 exec_lo, exec_lo, s48
	global_load_ushort v36, v[9:10], off offset:256
	v_mov_b32_e32 v35, 0
	s_waitcnt vmcnt(0)
	v_and_b32_e32 v3, 0xffff, v36
	v_cmp_ne_u16_sdwa s2, v36, v4 src0_sel:BYTE_0 src1_sel:DWORD
	v_mov_b32_e32 v36, 0
	s_and_saveexec_b32 s48, s2
	s_cbranch_execz .LBB266_90
; %bb.83:                               ;   in Loop: Header=BB266_13 Depth=1
	v_cmp_ne_u16_sdwa s2, v3, v18 src0_sel:BYTE_0 src1_sel:DWORD
	v_mov_b32_e32 v36, 0x8000
	s_and_saveexec_b32 s49, s2
	s_cbranch_execz .LBB266_89
; %bb.84:                               ;   in Loop: Header=BB266_13 Depth=1
	v_and_b32_e32 v38, 0x7f, v3
	v_mov_b32_e32 v36, 0x7c01
	s_mov_b32 s50, exec_lo
	v_cmpx_ne_u32_e32 0x7f, v38
	s_cbranch_execz .LBB266_88
; %bb.85:                               ;   in Loop: Header=BB266_13 Depth=1
	v_and_b32_e32 v36, 7, v3
	v_lshrrev_b32_e32 v37, 3, v38
	s_mov_b32 s51, exec_lo
	v_cmpx_gt_u32_e32 8, v38
; %bb.86:                               ;   in Loop: Header=BB266_13 Depth=1
	v_ffbh_u32_e32 v36, v36
	v_min_u32_e32 v38, 32, v36
	v_subrev_nc_u32_e32 v36, 28, v38
	v_lshlrev_b64 v[36:37], v36, v[3:4]
	v_sub_nc_u32_e32 v37, 29, v38
	v_and_b32_e32 v36, 7, v36
; %bb.87:                               ;   in Loop: Header=BB266_13 Depth=1
	s_or_b32 exec_lo, exec_lo, s51
	v_lshlrev_b32_e32 v38, 8, v3
	v_lshl_add_u32 v37, v37, 10, 0x2000
	v_lshlrev_b32_e32 v36, 7, v36
	v_and_b32_e32 v38, 0x8000, v38
	v_and_b32_e32 v37, 0xfc00, v37
	v_or3_b32 v36, v38, v37, v36
.LBB266_88:                             ;   in Loop: Header=BB266_13 Depth=1
	s_or_b32 exec_lo, exec_lo, s50
.LBB266_89:                             ;   in Loop: Header=BB266_13 Depth=1
	s_or_b32 exec_lo, exec_lo, s49
.LBB266_90:                             ;   in Loop: Header=BB266_13 Depth=1
	s_or_b32 exec_lo, exec_lo, s48
	v_lshrrev_b16 v3, 8, v3
	s_mov_b32 s48, exec_lo
	v_cmpx_ne_u16_e32 0, v3
	s_cbranch_execz .LBB266_98
; %bb.91:                               ;   in Loop: Header=BB266_13 Depth=1
	v_bfrev_b32_e32 v35, 1
	s_mov_b32 s49, exec_lo
	v_cmpx_ne_u16_e32 0x80, v3
	s_cbranch_execz .LBB266_97
; %bb.92:                               ;   in Loop: Header=BB266_13 Depth=1
	v_and_b32_sdwa v38, v3, v19 dst_sel:DWORD dst_unused:UNUSED_PAD src0_sel:WORD_0 src1_sel:DWORD
	v_mov_b32_e32 v35, 0x7c010000
	s_mov_b32 s50, exec_lo
	v_cmpx_ne_u32_e32 0x7f, v38
	s_cbranch_execz .LBB266_96
; %bb.93:                               ;   in Loop: Header=BB266_13 Depth=1
	v_and_b32_sdwa v35, v3, v20 dst_sel:DWORD dst_unused:UNUSED_PAD src0_sel:WORD_0 src1_sel:DWORD
	v_lshrrev_b32_e32 v37, 3, v38
	s_mov_b32 s51, exec_lo
	v_cmpx_gt_u32_e32 8, v38
; %bb.94:                               ;   in Loop: Header=BB266_13 Depth=1
	v_ffbh_u32_e32 v35, v35
	v_min_u32_e32 v35, 32, v35
	v_subrev_nc_u32_e32 v37, 28, v35
	v_lshlrev_b64 v[38:39], v37, v[3:4]
	v_sub_nc_u32_e32 v37, 29, v35
	v_and_b32_e32 v35, 7, v38
; %bb.95:                               ;   in Loop: Header=BB266_13 Depth=1
	s_or_b32 exec_lo, exec_lo, s51
	v_lshlrev_b32_sdwa v3, v21, v3 dst_sel:DWORD dst_unused:UNUSED_PAD src0_sel:DWORD src1_sel:WORD_0
	v_lshl_add_u32 v37, v37, 10, 0x2000
	v_lshlrev_b32_e32 v35, 23, v35
	v_and_or_b32 v3, 0x8000, v3, v37
	v_lshl_or_b32 v35, v3, 16, v35
.LBB266_96:                             ;   in Loop: Header=BB266_13 Depth=1
	s_or_b32 exec_lo, exec_lo, s50
.LBB266_97:                             ;   in Loop: Header=BB266_13 Depth=1
	s_or_b32 exec_lo, exec_lo, s49
.LBB266_98:                             ;   in Loop: Header=BB266_13 Depth=1
	s_or_b32 exec_lo, exec_lo, s48
	global_load_ushort v38, v[9:10], off offset:264
	v_mov_b32_e32 v37, 0
	s_waitcnt vmcnt(0)
	v_and_b32_e32 v3, 0xffff, v38
	v_cmp_ne_u16_sdwa s2, v38, v4 src0_sel:BYTE_0 src1_sel:DWORD
	v_mov_b32_e32 v38, 0
	s_and_saveexec_b32 s48, s2
	s_cbranch_execz .LBB266_106
; %bb.99:                               ;   in Loop: Header=BB266_13 Depth=1
	v_cmp_ne_u16_sdwa s2, v3, v18 src0_sel:BYTE_0 src1_sel:DWORD
	v_mov_b32_e32 v38, 0x8000
	s_and_saveexec_b32 s49, s2
	s_cbranch_execz .LBB266_105
; %bb.100:                              ;   in Loop: Header=BB266_13 Depth=1
	v_and_b32_e32 v40, 0x7f, v3
	v_mov_b32_e32 v38, 0x7c01
	s_mov_b32 s50, exec_lo
	v_cmpx_ne_u32_e32 0x7f, v40
	s_cbranch_execz .LBB266_104
; %bb.101:                              ;   in Loop: Header=BB266_13 Depth=1
	v_and_b32_e32 v38, 7, v3
	v_lshrrev_b32_e32 v39, 3, v40
	s_mov_b32 s51, exec_lo
	v_cmpx_gt_u32_e32 8, v40
; %bb.102:                              ;   in Loop: Header=BB266_13 Depth=1
	v_ffbh_u32_e32 v38, v38
	v_min_u32_e32 v40, 32, v38
	v_subrev_nc_u32_e32 v38, 28, v40
	v_lshlrev_b64 v[38:39], v38, v[3:4]
	v_sub_nc_u32_e32 v39, 29, v40
	v_and_b32_e32 v38, 7, v38
; %bb.103:                              ;   in Loop: Header=BB266_13 Depth=1
	s_or_b32 exec_lo, exec_lo, s51
	v_lshlrev_b32_e32 v40, 8, v3
	v_lshl_add_u32 v39, v39, 10, 0x2000
	v_lshlrev_b32_e32 v38, 7, v38
	v_and_b32_e32 v40, 0x8000, v40
	v_and_b32_e32 v39, 0xfc00, v39
	v_or3_b32 v38, v40, v39, v38
.LBB266_104:                            ;   in Loop: Header=BB266_13 Depth=1
	s_or_b32 exec_lo, exec_lo, s50
.LBB266_105:                            ;   in Loop: Header=BB266_13 Depth=1
	s_or_b32 exec_lo, exec_lo, s49
.LBB266_106:                            ;   in Loop: Header=BB266_13 Depth=1
	s_or_b32 exec_lo, exec_lo, s48
	v_lshrrev_b16 v3, 8, v3
	s_mov_b32 s48, exec_lo
	v_cmpx_ne_u16_e32 0, v3
	s_cbranch_execz .LBB266_114
; %bb.107:                              ;   in Loop: Header=BB266_13 Depth=1
	v_bfrev_b32_e32 v37, 1
	s_mov_b32 s49, exec_lo
	v_cmpx_ne_u16_e32 0x80, v3
	s_cbranch_execz .LBB266_113
; %bb.108:                              ;   in Loop: Header=BB266_13 Depth=1
	v_and_b32_sdwa v40, v3, v19 dst_sel:DWORD dst_unused:UNUSED_PAD src0_sel:WORD_0 src1_sel:DWORD
	v_mov_b32_e32 v37, 0x7c010000
	s_mov_b32 s50, exec_lo
	v_cmpx_ne_u32_e32 0x7f, v40
	s_cbranch_execz .LBB266_112
; %bb.109:                              ;   in Loop: Header=BB266_13 Depth=1
	v_and_b32_sdwa v37, v3, v20 dst_sel:DWORD dst_unused:UNUSED_PAD src0_sel:WORD_0 src1_sel:DWORD
	v_lshrrev_b32_e32 v39, 3, v40
	s_mov_b32 s51, exec_lo
	v_cmpx_gt_u32_e32 8, v40
; %bb.110:                              ;   in Loop: Header=BB266_13 Depth=1
	v_ffbh_u32_e32 v37, v37
	v_min_u32_e32 v37, 32, v37
	v_subrev_nc_u32_e32 v39, 28, v37
	v_lshlrev_b64 v[40:41], v39, v[3:4]
	v_sub_nc_u32_e32 v39, 29, v37
	v_and_b32_e32 v37, 7, v40
; %bb.111:                              ;   in Loop: Header=BB266_13 Depth=1
	s_or_b32 exec_lo, exec_lo, s51
	v_lshlrev_b32_sdwa v3, v21, v3 dst_sel:DWORD dst_unused:UNUSED_PAD src0_sel:DWORD src1_sel:WORD_0
	v_lshl_add_u32 v39, v39, 10, 0x2000
	v_lshlrev_b32_e32 v37, 23, v37
	v_and_or_b32 v3, 0x8000, v3, v39
	v_lshl_or_b32 v37, v3, 16, v37
.LBB266_112:                            ;   in Loop: Header=BB266_13 Depth=1
	s_or_b32 exec_lo, exec_lo, s50
.LBB266_113:                            ;   in Loop: Header=BB266_13 Depth=1
	s_or_b32 exec_lo, exec_lo, s49
.LBB266_114:                            ;   in Loop: Header=BB266_13 Depth=1
	s_or_b32 exec_lo, exec_lo, s48
	global_load_ushort v40, v[9:10], off offset:384
	v_mov_b32_e32 v39, 0
	s_waitcnt vmcnt(0)
	v_and_b32_e32 v3, 0xffff, v40
	v_cmp_ne_u16_sdwa s2, v40, v4 src0_sel:BYTE_0 src1_sel:DWORD
	v_mov_b32_e32 v40, 0
	s_and_saveexec_b32 s48, s2
	s_cbranch_execz .LBB266_122
; %bb.115:                              ;   in Loop: Header=BB266_13 Depth=1
	v_cmp_ne_u16_sdwa s2, v3, v18 src0_sel:BYTE_0 src1_sel:DWORD
	v_mov_b32_e32 v40, 0x8000
	s_and_saveexec_b32 s49, s2
	s_cbranch_execz .LBB266_121
; %bb.116:                              ;   in Loop: Header=BB266_13 Depth=1
	v_and_b32_e32 v42, 0x7f, v3
	v_mov_b32_e32 v40, 0x7c01
	s_mov_b32 s50, exec_lo
	v_cmpx_ne_u32_e32 0x7f, v42
	s_cbranch_execz .LBB266_120
; %bb.117:                              ;   in Loop: Header=BB266_13 Depth=1
	v_and_b32_e32 v40, 7, v3
	v_lshrrev_b32_e32 v41, 3, v42
	s_mov_b32 s51, exec_lo
	v_cmpx_gt_u32_e32 8, v42
; %bb.118:                              ;   in Loop: Header=BB266_13 Depth=1
	v_ffbh_u32_e32 v40, v40
	v_min_u32_e32 v42, 32, v40
	v_subrev_nc_u32_e32 v40, 28, v42
	v_lshlrev_b64 v[40:41], v40, v[3:4]
	v_sub_nc_u32_e32 v41, 29, v42
	v_and_b32_e32 v40, 7, v40
; %bb.119:                              ;   in Loop: Header=BB266_13 Depth=1
	s_or_b32 exec_lo, exec_lo, s51
	v_lshlrev_b32_e32 v42, 8, v3
	v_lshl_add_u32 v41, v41, 10, 0x2000
	v_lshlrev_b32_e32 v40, 7, v40
	v_and_b32_e32 v42, 0x8000, v42
	v_and_b32_e32 v41, 0xfc00, v41
	v_or3_b32 v40, v42, v41, v40
.LBB266_120:                            ;   in Loop: Header=BB266_13 Depth=1
	s_or_b32 exec_lo, exec_lo, s50
.LBB266_121:                            ;   in Loop: Header=BB266_13 Depth=1
	s_or_b32 exec_lo, exec_lo, s49
.LBB266_122:                            ;   in Loop: Header=BB266_13 Depth=1
	s_or_b32 exec_lo, exec_lo, s48
	v_lshrrev_b16 v3, 8, v3
	s_mov_b32 s48, exec_lo
	v_cmpx_ne_u16_e32 0, v3
	s_cbranch_execz .LBB266_130
; %bb.123:                              ;   in Loop: Header=BB266_13 Depth=1
	v_bfrev_b32_e32 v39, 1
	s_mov_b32 s49, exec_lo
	v_cmpx_ne_u16_e32 0x80, v3
	s_cbranch_execz .LBB266_129
; %bb.124:                              ;   in Loop: Header=BB266_13 Depth=1
	v_and_b32_sdwa v42, v3, v19 dst_sel:DWORD dst_unused:UNUSED_PAD src0_sel:WORD_0 src1_sel:DWORD
	v_mov_b32_e32 v39, 0x7c010000
	s_mov_b32 s50, exec_lo
	v_cmpx_ne_u32_e32 0x7f, v42
	s_cbranch_execz .LBB266_128
; %bb.125:                              ;   in Loop: Header=BB266_13 Depth=1
	v_and_b32_sdwa v39, v3, v20 dst_sel:DWORD dst_unused:UNUSED_PAD src0_sel:WORD_0 src1_sel:DWORD
	v_lshrrev_b32_e32 v41, 3, v42
	s_mov_b32 s51, exec_lo
	v_cmpx_gt_u32_e32 8, v42
; %bb.126:                              ;   in Loop: Header=BB266_13 Depth=1
	v_ffbh_u32_e32 v39, v39
	v_min_u32_e32 v39, 32, v39
	v_subrev_nc_u32_e32 v41, 28, v39
	v_lshlrev_b64 v[42:43], v41, v[3:4]
	v_sub_nc_u32_e32 v41, 29, v39
	v_and_b32_e32 v39, 7, v42
; %bb.127:                              ;   in Loop: Header=BB266_13 Depth=1
	s_or_b32 exec_lo, exec_lo, s51
	v_lshlrev_b32_sdwa v3, v21, v3 dst_sel:DWORD dst_unused:UNUSED_PAD src0_sel:DWORD src1_sel:WORD_0
	v_lshl_add_u32 v41, v41, 10, 0x2000
	v_lshlrev_b32_e32 v39, 23, v39
	v_and_or_b32 v3, 0x8000, v3, v41
	v_lshl_or_b32 v39, v3, 16, v39
.LBB266_128:                            ;   in Loop: Header=BB266_13 Depth=1
	s_or_b32 exec_lo, exec_lo, s50
.LBB266_129:                            ;   in Loop: Header=BB266_13 Depth=1
	s_or_b32 exec_lo, exec_lo, s49
.LBB266_130:                            ;   in Loop: Header=BB266_13 Depth=1
	s_or_b32 exec_lo, exec_lo, s48
	global_load_ushort v42, v[9:10], off offset:392
	v_mov_b32_e32 v41, 0
	s_waitcnt vmcnt(0)
	v_and_b32_e32 v3, 0xffff, v42
	v_cmp_ne_u16_sdwa s2, v42, v4 src0_sel:BYTE_0 src1_sel:DWORD
	v_mov_b32_e32 v42, 0
	s_and_saveexec_b32 s48, s2
	s_cbranch_execz .LBB266_138
; %bb.131:                              ;   in Loop: Header=BB266_13 Depth=1
	v_cmp_ne_u16_sdwa s2, v3, v18 src0_sel:BYTE_0 src1_sel:DWORD
	v_mov_b32_e32 v42, 0x8000
	s_and_saveexec_b32 s49, s2
	s_cbranch_execz .LBB266_137
; %bb.132:                              ;   in Loop: Header=BB266_13 Depth=1
	v_and_b32_e32 v44, 0x7f, v3
	v_mov_b32_e32 v42, 0x7c01
	s_mov_b32 s50, exec_lo
	v_cmpx_ne_u32_e32 0x7f, v44
	s_cbranch_execz .LBB266_136
; %bb.133:                              ;   in Loop: Header=BB266_13 Depth=1
	v_and_b32_e32 v42, 7, v3
	v_lshrrev_b32_e32 v43, 3, v44
	s_mov_b32 s51, exec_lo
	v_cmpx_gt_u32_e32 8, v44
; %bb.134:                              ;   in Loop: Header=BB266_13 Depth=1
	v_ffbh_u32_e32 v42, v42
	v_min_u32_e32 v44, 32, v42
	v_subrev_nc_u32_e32 v42, 28, v44
	v_lshlrev_b64 v[42:43], v42, v[3:4]
	v_sub_nc_u32_e32 v43, 29, v44
	v_and_b32_e32 v42, 7, v42
; %bb.135:                              ;   in Loop: Header=BB266_13 Depth=1
	s_or_b32 exec_lo, exec_lo, s51
	v_lshlrev_b32_e32 v44, 8, v3
	v_lshl_add_u32 v43, v43, 10, 0x2000
	v_lshlrev_b32_e32 v42, 7, v42
	v_and_b32_e32 v44, 0x8000, v44
	v_and_b32_e32 v43, 0xfc00, v43
	v_or3_b32 v42, v44, v43, v42
.LBB266_136:                            ;   in Loop: Header=BB266_13 Depth=1
	s_or_b32 exec_lo, exec_lo, s50
.LBB266_137:                            ;   in Loop: Header=BB266_13 Depth=1
	s_or_b32 exec_lo, exec_lo, s49
.LBB266_138:                            ;   in Loop: Header=BB266_13 Depth=1
	s_or_b32 exec_lo, exec_lo, s48
	v_lshrrev_b16 v3, 8, v3
	s_mov_b32 s48, exec_lo
	v_cmpx_ne_u16_e32 0, v3
	s_cbranch_execz .LBB266_146
; %bb.139:                              ;   in Loop: Header=BB266_13 Depth=1
	v_bfrev_b32_e32 v41, 1
	s_mov_b32 s49, exec_lo
	v_cmpx_ne_u16_e32 0x80, v3
	s_cbranch_execz .LBB266_145
; %bb.140:                              ;   in Loop: Header=BB266_13 Depth=1
	v_and_b32_sdwa v44, v3, v19 dst_sel:DWORD dst_unused:UNUSED_PAD src0_sel:WORD_0 src1_sel:DWORD
	v_mov_b32_e32 v41, 0x7c010000
	s_mov_b32 s50, exec_lo
	v_cmpx_ne_u32_e32 0x7f, v44
	s_cbranch_execz .LBB266_144
; %bb.141:                              ;   in Loop: Header=BB266_13 Depth=1
	v_and_b32_sdwa v41, v3, v20 dst_sel:DWORD dst_unused:UNUSED_PAD src0_sel:WORD_0 src1_sel:DWORD
	v_lshrrev_b32_e32 v43, 3, v44
	s_mov_b32 s51, exec_lo
	v_cmpx_gt_u32_e32 8, v44
; %bb.142:                              ;   in Loop: Header=BB266_13 Depth=1
	v_ffbh_u32_e32 v41, v41
	v_min_u32_e32 v41, 32, v41
	v_subrev_nc_u32_e32 v43, 28, v41
	v_lshlrev_b64 v[44:45], v43, v[3:4]
	v_sub_nc_u32_e32 v43, 29, v41
	v_and_b32_e32 v41, 7, v44
; %bb.143:                              ;   in Loop: Header=BB266_13 Depth=1
	s_or_b32 exec_lo, exec_lo, s51
	v_lshlrev_b32_sdwa v3, v21, v3 dst_sel:DWORD dst_unused:UNUSED_PAD src0_sel:DWORD src1_sel:WORD_0
	v_lshl_add_u32 v43, v43, 10, 0x2000
	v_lshlrev_b32_e32 v41, 23, v41
	v_and_or_b32 v3, 0x8000, v3, v43
	v_lshl_or_b32 v41, v3, 16, v41
.LBB266_144:                            ;   in Loop: Header=BB266_13 Depth=1
	s_or_b32 exec_lo, exec_lo, s50
.LBB266_145:                            ;   in Loop: Header=BB266_13 Depth=1
	s_or_b32 exec_lo, exec_lo, s49
.LBB266_146:                            ;   in Loop: Header=BB266_13 Depth=1
	s_or_b32 exec_lo, exec_lo, s48
	global_load_ushort v44, v[9:10], off offset:512
	v_mov_b32_e32 v43, 0
	s_waitcnt vmcnt(0)
	v_and_b32_e32 v3, 0xffff, v44
	v_cmp_ne_u16_sdwa s2, v44, v4 src0_sel:BYTE_0 src1_sel:DWORD
	v_mov_b32_e32 v44, 0
	s_and_saveexec_b32 s48, s2
	s_cbranch_execz .LBB266_154
; %bb.147:                              ;   in Loop: Header=BB266_13 Depth=1
	v_cmp_ne_u16_sdwa s2, v3, v18 src0_sel:BYTE_0 src1_sel:DWORD
	v_mov_b32_e32 v44, 0x8000
	s_and_saveexec_b32 s49, s2
	s_cbranch_execz .LBB266_153
; %bb.148:                              ;   in Loop: Header=BB266_13 Depth=1
	v_and_b32_e32 v46, 0x7f, v3
	v_mov_b32_e32 v44, 0x7c01
	s_mov_b32 s50, exec_lo
	v_cmpx_ne_u32_e32 0x7f, v46
	s_cbranch_execz .LBB266_152
; %bb.149:                              ;   in Loop: Header=BB266_13 Depth=1
	v_and_b32_e32 v44, 7, v3
	v_lshrrev_b32_e32 v45, 3, v46
	s_mov_b32 s51, exec_lo
	v_cmpx_gt_u32_e32 8, v46
; %bb.150:                              ;   in Loop: Header=BB266_13 Depth=1
	v_ffbh_u32_e32 v44, v44
	v_min_u32_e32 v46, 32, v44
	v_subrev_nc_u32_e32 v44, 28, v46
	v_lshlrev_b64 v[44:45], v44, v[3:4]
	v_sub_nc_u32_e32 v45, 29, v46
	v_and_b32_e32 v44, 7, v44
; %bb.151:                              ;   in Loop: Header=BB266_13 Depth=1
	s_or_b32 exec_lo, exec_lo, s51
	v_lshlrev_b32_e32 v46, 8, v3
	v_lshl_add_u32 v45, v45, 10, 0x2000
	v_lshlrev_b32_e32 v44, 7, v44
	v_and_b32_e32 v46, 0x8000, v46
	v_and_b32_e32 v45, 0xfc00, v45
	v_or3_b32 v44, v46, v45, v44
.LBB266_152:                            ;   in Loop: Header=BB266_13 Depth=1
	s_or_b32 exec_lo, exec_lo, s50
.LBB266_153:                            ;   in Loop: Header=BB266_13 Depth=1
	s_or_b32 exec_lo, exec_lo, s49
.LBB266_154:                            ;   in Loop: Header=BB266_13 Depth=1
	s_or_b32 exec_lo, exec_lo, s48
	v_lshrrev_b16 v3, 8, v3
	s_mov_b32 s48, exec_lo
	v_cmpx_ne_u16_e32 0, v3
	s_cbranch_execz .LBB266_162
; %bb.155:                              ;   in Loop: Header=BB266_13 Depth=1
	v_bfrev_b32_e32 v43, 1
	s_mov_b32 s49, exec_lo
	v_cmpx_ne_u16_e32 0x80, v3
	s_cbranch_execz .LBB266_161
; %bb.156:                              ;   in Loop: Header=BB266_13 Depth=1
	v_and_b32_sdwa v46, v3, v19 dst_sel:DWORD dst_unused:UNUSED_PAD src0_sel:WORD_0 src1_sel:DWORD
	v_mov_b32_e32 v43, 0x7c010000
	s_mov_b32 s50, exec_lo
	v_cmpx_ne_u32_e32 0x7f, v46
	s_cbranch_execz .LBB266_160
; %bb.157:                              ;   in Loop: Header=BB266_13 Depth=1
	v_and_b32_sdwa v43, v3, v20 dst_sel:DWORD dst_unused:UNUSED_PAD src0_sel:WORD_0 src1_sel:DWORD
	v_lshrrev_b32_e32 v45, 3, v46
	s_mov_b32 s51, exec_lo
	v_cmpx_gt_u32_e32 8, v46
; %bb.158:                              ;   in Loop: Header=BB266_13 Depth=1
	v_ffbh_u32_e32 v43, v43
	v_min_u32_e32 v43, 32, v43
	v_subrev_nc_u32_e32 v45, 28, v43
	v_lshlrev_b64 v[46:47], v45, v[3:4]
	v_sub_nc_u32_e32 v45, 29, v43
	v_and_b32_e32 v43, 7, v46
; %bb.159:                              ;   in Loop: Header=BB266_13 Depth=1
	s_or_b32 exec_lo, exec_lo, s51
	v_lshlrev_b32_sdwa v3, v21, v3 dst_sel:DWORD dst_unused:UNUSED_PAD src0_sel:DWORD src1_sel:WORD_0
	v_lshl_add_u32 v45, v45, 10, 0x2000
	v_lshlrev_b32_e32 v43, 23, v43
	v_and_or_b32 v3, 0x8000, v3, v45
	v_lshl_or_b32 v43, v3, 16, v43
.LBB266_160:                            ;   in Loop: Header=BB266_13 Depth=1
	s_or_b32 exec_lo, exec_lo, s50
.LBB266_161:                            ;   in Loop: Header=BB266_13 Depth=1
	s_or_b32 exec_lo, exec_lo, s49
.LBB266_162:                            ;   in Loop: Header=BB266_13 Depth=1
	s_or_b32 exec_lo, exec_lo, s48
	global_load_ushort v46, v[9:10], off offset:520
	v_mov_b32_e32 v45, 0
	s_waitcnt vmcnt(0)
	v_and_b32_e32 v3, 0xffff, v46
	v_cmp_ne_u16_sdwa s2, v46, v4 src0_sel:BYTE_0 src1_sel:DWORD
	v_mov_b32_e32 v46, 0
	s_and_saveexec_b32 s48, s2
	s_cbranch_execz .LBB266_170
; %bb.163:                              ;   in Loop: Header=BB266_13 Depth=1
	v_cmp_ne_u16_sdwa s2, v3, v18 src0_sel:BYTE_0 src1_sel:DWORD
	v_mov_b32_e32 v46, 0x8000
	s_and_saveexec_b32 s49, s2
	s_cbranch_execz .LBB266_169
; %bb.164:                              ;   in Loop: Header=BB266_13 Depth=1
	v_and_b32_e32 v48, 0x7f, v3
	v_mov_b32_e32 v46, 0x7c01
	s_mov_b32 s50, exec_lo
	v_cmpx_ne_u32_e32 0x7f, v48
	s_cbranch_execz .LBB266_168
; %bb.165:                              ;   in Loop: Header=BB266_13 Depth=1
	v_and_b32_e32 v46, 7, v3
	v_lshrrev_b32_e32 v47, 3, v48
	s_mov_b32 s51, exec_lo
	v_cmpx_gt_u32_e32 8, v48
; %bb.166:                              ;   in Loop: Header=BB266_13 Depth=1
	v_ffbh_u32_e32 v46, v46
	v_min_u32_e32 v48, 32, v46
	v_subrev_nc_u32_e32 v46, 28, v48
	v_lshlrev_b64 v[46:47], v46, v[3:4]
	v_sub_nc_u32_e32 v47, 29, v48
	v_and_b32_e32 v46, 7, v46
; %bb.167:                              ;   in Loop: Header=BB266_13 Depth=1
	s_or_b32 exec_lo, exec_lo, s51
	v_lshlrev_b32_e32 v48, 8, v3
	v_lshl_add_u32 v47, v47, 10, 0x2000
	v_lshlrev_b32_e32 v46, 7, v46
	v_and_b32_e32 v48, 0x8000, v48
	v_and_b32_e32 v47, 0xfc00, v47
	v_or3_b32 v46, v48, v47, v46
.LBB266_168:                            ;   in Loop: Header=BB266_13 Depth=1
	s_or_b32 exec_lo, exec_lo, s50
.LBB266_169:                            ;   in Loop: Header=BB266_13 Depth=1
	s_or_b32 exec_lo, exec_lo, s49
.LBB266_170:                            ;   in Loop: Header=BB266_13 Depth=1
	s_or_b32 exec_lo, exec_lo, s48
	v_lshrrev_b16 v3, 8, v3
	s_mov_b32 s48, exec_lo
	v_cmpx_ne_u16_e32 0, v3
	s_cbranch_execz .LBB266_178
; %bb.171:                              ;   in Loop: Header=BB266_13 Depth=1
	v_bfrev_b32_e32 v45, 1
	s_mov_b32 s49, exec_lo
	v_cmpx_ne_u16_e32 0x80, v3
	s_cbranch_execz .LBB266_177
; %bb.172:                              ;   in Loop: Header=BB266_13 Depth=1
	v_and_b32_sdwa v48, v3, v19 dst_sel:DWORD dst_unused:UNUSED_PAD src0_sel:WORD_0 src1_sel:DWORD
	v_mov_b32_e32 v45, 0x7c010000
	s_mov_b32 s50, exec_lo
	v_cmpx_ne_u32_e32 0x7f, v48
	s_cbranch_execz .LBB266_176
; %bb.173:                              ;   in Loop: Header=BB266_13 Depth=1
	v_and_b32_sdwa v45, v3, v20 dst_sel:DWORD dst_unused:UNUSED_PAD src0_sel:WORD_0 src1_sel:DWORD
	v_lshrrev_b32_e32 v47, 3, v48
	s_mov_b32 s51, exec_lo
	v_cmpx_gt_u32_e32 8, v48
; %bb.174:                              ;   in Loop: Header=BB266_13 Depth=1
	v_ffbh_u32_e32 v45, v45
	v_min_u32_e32 v45, 32, v45
	v_subrev_nc_u32_e32 v47, 28, v45
	v_lshlrev_b64 v[48:49], v47, v[3:4]
	v_sub_nc_u32_e32 v47, 29, v45
	v_and_b32_e32 v45, 7, v48
; %bb.175:                              ;   in Loop: Header=BB266_13 Depth=1
	s_or_b32 exec_lo, exec_lo, s51
	v_lshlrev_b32_sdwa v3, v21, v3 dst_sel:DWORD dst_unused:UNUSED_PAD src0_sel:DWORD src1_sel:WORD_0
	v_lshl_add_u32 v47, v47, 10, 0x2000
	v_lshlrev_b32_e32 v45, 23, v45
	v_and_or_b32 v3, 0x8000, v3, v47
	v_lshl_or_b32 v45, v3, 16, v45
.LBB266_176:                            ;   in Loop: Header=BB266_13 Depth=1
	s_or_b32 exec_lo, exec_lo, s50
.LBB266_177:                            ;   in Loop: Header=BB266_13 Depth=1
	s_or_b32 exec_lo, exec_lo, s49
.LBB266_178:                            ;   in Loop: Header=BB266_13 Depth=1
	s_or_b32 exec_lo, exec_lo, s48
	global_load_ushort v48, v[9:10], off offset:640
	v_mov_b32_e32 v47, 0
	s_waitcnt vmcnt(0)
	v_and_b32_e32 v3, 0xffff, v48
	v_cmp_ne_u16_sdwa s2, v48, v4 src0_sel:BYTE_0 src1_sel:DWORD
	v_mov_b32_e32 v48, 0
	s_and_saveexec_b32 s48, s2
	s_cbranch_execz .LBB266_186
; %bb.179:                              ;   in Loop: Header=BB266_13 Depth=1
	v_cmp_ne_u16_sdwa s2, v3, v18 src0_sel:BYTE_0 src1_sel:DWORD
	v_mov_b32_e32 v48, 0x8000
	s_and_saveexec_b32 s49, s2
	s_cbranch_execz .LBB266_185
; %bb.180:                              ;   in Loop: Header=BB266_13 Depth=1
	v_and_b32_e32 v50, 0x7f, v3
	v_mov_b32_e32 v48, 0x7c01
	s_mov_b32 s50, exec_lo
	v_cmpx_ne_u32_e32 0x7f, v50
	s_cbranch_execz .LBB266_184
; %bb.181:                              ;   in Loop: Header=BB266_13 Depth=1
	v_and_b32_e32 v48, 7, v3
	v_lshrrev_b32_e32 v49, 3, v50
	s_mov_b32 s51, exec_lo
	v_cmpx_gt_u32_e32 8, v50
; %bb.182:                              ;   in Loop: Header=BB266_13 Depth=1
	v_ffbh_u32_e32 v48, v48
	v_min_u32_e32 v50, 32, v48
	v_subrev_nc_u32_e32 v48, 28, v50
	v_lshlrev_b64 v[48:49], v48, v[3:4]
	v_sub_nc_u32_e32 v49, 29, v50
	v_and_b32_e32 v48, 7, v48
; %bb.183:                              ;   in Loop: Header=BB266_13 Depth=1
	s_or_b32 exec_lo, exec_lo, s51
	v_lshlrev_b32_e32 v50, 8, v3
	v_lshl_add_u32 v49, v49, 10, 0x2000
	v_lshlrev_b32_e32 v48, 7, v48
	v_and_b32_e32 v50, 0x8000, v50
	v_and_b32_e32 v49, 0xfc00, v49
	v_or3_b32 v48, v50, v49, v48
.LBB266_184:                            ;   in Loop: Header=BB266_13 Depth=1
	s_or_b32 exec_lo, exec_lo, s50
.LBB266_185:                            ;   in Loop: Header=BB266_13 Depth=1
	s_or_b32 exec_lo, exec_lo, s49
.LBB266_186:                            ;   in Loop: Header=BB266_13 Depth=1
	s_or_b32 exec_lo, exec_lo, s48
	v_lshrrev_b16 v3, 8, v3
	s_mov_b32 s48, exec_lo
	v_cmpx_ne_u16_e32 0, v3
	s_cbranch_execz .LBB266_194
; %bb.187:                              ;   in Loop: Header=BB266_13 Depth=1
	v_bfrev_b32_e32 v47, 1
	s_mov_b32 s49, exec_lo
	v_cmpx_ne_u16_e32 0x80, v3
	s_cbranch_execz .LBB266_193
; %bb.188:                              ;   in Loop: Header=BB266_13 Depth=1
	v_and_b32_sdwa v50, v3, v19 dst_sel:DWORD dst_unused:UNUSED_PAD src0_sel:WORD_0 src1_sel:DWORD
	v_mov_b32_e32 v47, 0x7c010000
	s_mov_b32 s50, exec_lo
	v_cmpx_ne_u32_e32 0x7f, v50
	s_cbranch_execz .LBB266_192
; %bb.189:                              ;   in Loop: Header=BB266_13 Depth=1
	v_and_b32_sdwa v47, v3, v20 dst_sel:DWORD dst_unused:UNUSED_PAD src0_sel:WORD_0 src1_sel:DWORD
	v_lshrrev_b32_e32 v49, 3, v50
	s_mov_b32 s51, exec_lo
	v_cmpx_gt_u32_e32 8, v50
; %bb.190:                              ;   in Loop: Header=BB266_13 Depth=1
	v_ffbh_u32_e32 v47, v47
	v_min_u32_e32 v47, 32, v47
	v_subrev_nc_u32_e32 v49, 28, v47
	v_lshlrev_b64 v[50:51], v49, v[3:4]
	v_sub_nc_u32_e32 v49, 29, v47
	v_and_b32_e32 v47, 7, v50
; %bb.191:                              ;   in Loop: Header=BB266_13 Depth=1
	s_or_b32 exec_lo, exec_lo, s51
	v_lshlrev_b32_sdwa v3, v21, v3 dst_sel:DWORD dst_unused:UNUSED_PAD src0_sel:DWORD src1_sel:WORD_0
	v_lshl_add_u32 v49, v49, 10, 0x2000
	v_lshlrev_b32_e32 v47, 23, v47
	v_and_or_b32 v3, 0x8000, v3, v49
	v_lshl_or_b32 v47, v3, 16, v47
.LBB266_192:                            ;   in Loop: Header=BB266_13 Depth=1
	s_or_b32 exec_lo, exec_lo, s50
.LBB266_193:                            ;   in Loop: Header=BB266_13 Depth=1
	s_or_b32 exec_lo, exec_lo, s49
.LBB266_194:                            ;   in Loop: Header=BB266_13 Depth=1
	s_or_b32 exec_lo, exec_lo, s48
	global_load_ushort v50, v[9:10], off offset:648
	v_mov_b32_e32 v49, 0
	s_waitcnt vmcnt(0)
	v_and_b32_e32 v3, 0xffff, v50
	v_cmp_ne_u16_sdwa s2, v50, v4 src0_sel:BYTE_0 src1_sel:DWORD
	v_mov_b32_e32 v50, 0
	s_and_saveexec_b32 s48, s2
	s_cbranch_execz .LBB266_202
; %bb.195:                              ;   in Loop: Header=BB266_13 Depth=1
	v_cmp_ne_u16_sdwa s2, v3, v18 src0_sel:BYTE_0 src1_sel:DWORD
	v_mov_b32_e32 v50, 0x8000
	s_and_saveexec_b32 s49, s2
	s_cbranch_execz .LBB266_201
; %bb.196:                              ;   in Loop: Header=BB266_13 Depth=1
	v_and_b32_e32 v52, 0x7f, v3
	v_mov_b32_e32 v50, 0x7c01
	s_mov_b32 s50, exec_lo
	v_cmpx_ne_u32_e32 0x7f, v52
	s_cbranch_execz .LBB266_200
; %bb.197:                              ;   in Loop: Header=BB266_13 Depth=1
	v_and_b32_e32 v50, 7, v3
	v_lshrrev_b32_e32 v51, 3, v52
	s_mov_b32 s51, exec_lo
	v_cmpx_gt_u32_e32 8, v52
; %bb.198:                              ;   in Loop: Header=BB266_13 Depth=1
	v_ffbh_u32_e32 v50, v50
	v_min_u32_e32 v52, 32, v50
	v_subrev_nc_u32_e32 v50, 28, v52
	v_lshlrev_b64 v[50:51], v50, v[3:4]
	v_sub_nc_u32_e32 v51, 29, v52
	v_and_b32_e32 v50, 7, v50
; %bb.199:                              ;   in Loop: Header=BB266_13 Depth=1
	s_or_b32 exec_lo, exec_lo, s51
	v_lshlrev_b32_e32 v52, 8, v3
	v_lshl_add_u32 v51, v51, 10, 0x2000
	v_lshlrev_b32_e32 v50, 7, v50
	v_and_b32_e32 v52, 0x8000, v52
	v_and_b32_e32 v51, 0xfc00, v51
	v_or3_b32 v50, v52, v51, v50
.LBB266_200:                            ;   in Loop: Header=BB266_13 Depth=1
	s_or_b32 exec_lo, exec_lo, s50
.LBB266_201:                            ;   in Loop: Header=BB266_13 Depth=1
	s_or_b32 exec_lo, exec_lo, s49
.LBB266_202:                            ;   in Loop: Header=BB266_13 Depth=1
	s_or_b32 exec_lo, exec_lo, s48
	v_lshrrev_b16 v3, 8, v3
	s_mov_b32 s48, exec_lo
	v_cmpx_ne_u16_e32 0, v3
	s_cbranch_execz .LBB266_210
; %bb.203:                              ;   in Loop: Header=BB266_13 Depth=1
	v_bfrev_b32_e32 v49, 1
	s_mov_b32 s49, exec_lo
	v_cmpx_ne_u16_e32 0x80, v3
	s_cbranch_execz .LBB266_209
; %bb.204:                              ;   in Loop: Header=BB266_13 Depth=1
	v_and_b32_sdwa v52, v3, v19 dst_sel:DWORD dst_unused:UNUSED_PAD src0_sel:WORD_0 src1_sel:DWORD
	v_mov_b32_e32 v49, 0x7c010000
	s_mov_b32 s50, exec_lo
	v_cmpx_ne_u32_e32 0x7f, v52
	s_cbranch_execz .LBB266_208
; %bb.205:                              ;   in Loop: Header=BB266_13 Depth=1
	v_and_b32_sdwa v49, v3, v20 dst_sel:DWORD dst_unused:UNUSED_PAD src0_sel:WORD_0 src1_sel:DWORD
	v_lshrrev_b32_e32 v51, 3, v52
	s_mov_b32 s51, exec_lo
	v_cmpx_gt_u32_e32 8, v52
; %bb.206:                              ;   in Loop: Header=BB266_13 Depth=1
	v_ffbh_u32_e32 v49, v49
	v_min_u32_e32 v49, 32, v49
	v_subrev_nc_u32_e32 v51, 28, v49
	v_lshlrev_b64 v[52:53], v51, v[3:4]
	v_sub_nc_u32_e32 v51, 29, v49
	v_and_b32_e32 v49, 7, v52
; %bb.207:                              ;   in Loop: Header=BB266_13 Depth=1
	s_or_b32 exec_lo, exec_lo, s51
	v_lshlrev_b32_sdwa v3, v21, v3 dst_sel:DWORD dst_unused:UNUSED_PAD src0_sel:DWORD src1_sel:WORD_0
	v_lshl_add_u32 v51, v51, 10, 0x2000
	v_lshlrev_b32_e32 v49, 23, v49
	v_and_or_b32 v3, 0x8000, v3, v51
	v_lshl_or_b32 v49, v3, 16, v49
.LBB266_208:                            ;   in Loop: Header=BB266_13 Depth=1
	s_or_b32 exec_lo, exec_lo, s50
.LBB266_209:                            ;   in Loop: Header=BB266_13 Depth=1
	s_or_b32 exec_lo, exec_lo, s49
.LBB266_210:                            ;   in Loop: Header=BB266_13 Depth=1
	s_or_b32 exec_lo, exec_lo, s48
	global_load_ushort v52, v[9:10], off offset:768
	v_mov_b32_e32 v51, 0
	s_waitcnt vmcnt(0)
	v_and_b32_e32 v3, 0xffff, v52
	v_cmp_ne_u16_sdwa s2, v52, v4 src0_sel:BYTE_0 src1_sel:DWORD
	v_mov_b32_e32 v52, 0
	s_and_saveexec_b32 s48, s2
	s_cbranch_execz .LBB266_218
; %bb.211:                              ;   in Loop: Header=BB266_13 Depth=1
	v_cmp_ne_u16_sdwa s2, v3, v18 src0_sel:BYTE_0 src1_sel:DWORD
	v_mov_b32_e32 v52, 0x8000
	s_and_saveexec_b32 s49, s2
	s_cbranch_execz .LBB266_217
; %bb.212:                              ;   in Loop: Header=BB266_13 Depth=1
	v_and_b32_e32 v54, 0x7f, v3
	v_mov_b32_e32 v52, 0x7c01
	s_mov_b32 s50, exec_lo
	v_cmpx_ne_u32_e32 0x7f, v54
	s_cbranch_execz .LBB266_216
; %bb.213:                              ;   in Loop: Header=BB266_13 Depth=1
	v_and_b32_e32 v52, 7, v3
	v_lshrrev_b32_e32 v53, 3, v54
	s_mov_b32 s51, exec_lo
	v_cmpx_gt_u32_e32 8, v54
; %bb.214:                              ;   in Loop: Header=BB266_13 Depth=1
	v_ffbh_u32_e32 v52, v52
	v_min_u32_e32 v54, 32, v52
	v_subrev_nc_u32_e32 v52, 28, v54
	v_lshlrev_b64 v[52:53], v52, v[3:4]
	v_sub_nc_u32_e32 v53, 29, v54
	v_and_b32_e32 v52, 7, v52
; %bb.215:                              ;   in Loop: Header=BB266_13 Depth=1
	s_or_b32 exec_lo, exec_lo, s51
	v_lshlrev_b32_e32 v54, 8, v3
	v_lshl_add_u32 v53, v53, 10, 0x2000
	v_lshlrev_b32_e32 v52, 7, v52
	v_and_b32_e32 v54, 0x8000, v54
	v_and_b32_e32 v53, 0xfc00, v53
	v_or3_b32 v52, v54, v53, v52
.LBB266_216:                            ;   in Loop: Header=BB266_13 Depth=1
	s_or_b32 exec_lo, exec_lo, s50
.LBB266_217:                            ;   in Loop: Header=BB266_13 Depth=1
	s_or_b32 exec_lo, exec_lo, s49
.LBB266_218:                            ;   in Loop: Header=BB266_13 Depth=1
	s_or_b32 exec_lo, exec_lo, s48
	v_lshrrev_b16 v3, 8, v3
	s_mov_b32 s48, exec_lo
	v_cmpx_ne_u16_e32 0, v3
	s_cbranch_execz .LBB266_226
; %bb.219:                              ;   in Loop: Header=BB266_13 Depth=1
	v_bfrev_b32_e32 v51, 1
	s_mov_b32 s49, exec_lo
	v_cmpx_ne_u16_e32 0x80, v3
	s_cbranch_execz .LBB266_225
; %bb.220:                              ;   in Loop: Header=BB266_13 Depth=1
	v_and_b32_sdwa v54, v3, v19 dst_sel:DWORD dst_unused:UNUSED_PAD src0_sel:WORD_0 src1_sel:DWORD
	v_mov_b32_e32 v51, 0x7c010000
	s_mov_b32 s50, exec_lo
	v_cmpx_ne_u32_e32 0x7f, v54
	s_cbranch_execz .LBB266_224
; %bb.221:                              ;   in Loop: Header=BB266_13 Depth=1
	v_and_b32_sdwa v51, v3, v20 dst_sel:DWORD dst_unused:UNUSED_PAD src0_sel:WORD_0 src1_sel:DWORD
	v_lshrrev_b32_e32 v53, 3, v54
	s_mov_b32 s51, exec_lo
	v_cmpx_gt_u32_e32 8, v54
; %bb.222:                              ;   in Loop: Header=BB266_13 Depth=1
	v_ffbh_u32_e32 v51, v51
	v_min_u32_e32 v51, 32, v51
	v_subrev_nc_u32_e32 v53, 28, v51
	v_lshlrev_b64 v[54:55], v53, v[3:4]
	v_sub_nc_u32_e32 v53, 29, v51
	v_and_b32_e32 v51, 7, v54
; %bb.223:                              ;   in Loop: Header=BB266_13 Depth=1
	s_or_b32 exec_lo, exec_lo, s51
	v_lshlrev_b32_sdwa v3, v21, v3 dst_sel:DWORD dst_unused:UNUSED_PAD src0_sel:DWORD src1_sel:WORD_0
	v_lshl_add_u32 v53, v53, 10, 0x2000
	v_lshlrev_b32_e32 v51, 23, v51
	v_and_or_b32 v3, 0x8000, v3, v53
	v_lshl_or_b32 v51, v3, 16, v51
.LBB266_224:                            ;   in Loop: Header=BB266_13 Depth=1
	s_or_b32 exec_lo, exec_lo, s50
.LBB266_225:                            ;   in Loop: Header=BB266_13 Depth=1
	s_or_b32 exec_lo, exec_lo, s49
.LBB266_226:                            ;   in Loop: Header=BB266_13 Depth=1
	s_or_b32 exec_lo, exec_lo, s48
	global_load_ushort v54, v[9:10], off offset:776
	v_mov_b32_e32 v53, 0
	s_waitcnt vmcnt(0)
	v_and_b32_e32 v3, 0xffff, v54
	v_cmp_ne_u16_sdwa s2, v54, v4 src0_sel:BYTE_0 src1_sel:DWORD
	v_mov_b32_e32 v54, 0
	s_and_saveexec_b32 s48, s2
	s_cbranch_execz .LBB266_234
; %bb.227:                              ;   in Loop: Header=BB266_13 Depth=1
	v_cmp_ne_u16_sdwa s2, v3, v18 src0_sel:BYTE_0 src1_sel:DWORD
	v_mov_b32_e32 v54, 0x8000
	s_and_saveexec_b32 s49, s2
	s_cbranch_execz .LBB266_233
; %bb.228:                              ;   in Loop: Header=BB266_13 Depth=1
	v_and_b32_e32 v56, 0x7f, v3
	v_mov_b32_e32 v54, 0x7c01
	s_mov_b32 s50, exec_lo
	v_cmpx_ne_u32_e32 0x7f, v56
	s_cbranch_execz .LBB266_232
; %bb.229:                              ;   in Loop: Header=BB266_13 Depth=1
	v_and_b32_e32 v54, 7, v3
	v_lshrrev_b32_e32 v55, 3, v56
	s_mov_b32 s51, exec_lo
	v_cmpx_gt_u32_e32 8, v56
; %bb.230:                              ;   in Loop: Header=BB266_13 Depth=1
	v_ffbh_u32_e32 v54, v54
	v_min_u32_e32 v56, 32, v54
	v_subrev_nc_u32_e32 v54, 28, v56
	v_lshlrev_b64 v[54:55], v54, v[3:4]
	v_sub_nc_u32_e32 v55, 29, v56
	v_and_b32_e32 v54, 7, v54
; %bb.231:                              ;   in Loop: Header=BB266_13 Depth=1
	s_or_b32 exec_lo, exec_lo, s51
	v_lshlrev_b32_e32 v56, 8, v3
	v_lshl_add_u32 v55, v55, 10, 0x2000
	v_lshlrev_b32_e32 v54, 7, v54
	v_and_b32_e32 v56, 0x8000, v56
	v_and_b32_e32 v55, 0xfc00, v55
	v_or3_b32 v54, v56, v55, v54
.LBB266_232:                            ;   in Loop: Header=BB266_13 Depth=1
	s_or_b32 exec_lo, exec_lo, s50
.LBB266_233:                            ;   in Loop: Header=BB266_13 Depth=1
	s_or_b32 exec_lo, exec_lo, s49
.LBB266_234:                            ;   in Loop: Header=BB266_13 Depth=1
	s_or_b32 exec_lo, exec_lo, s48
	v_lshrrev_b16 v3, 8, v3
	s_mov_b32 s48, exec_lo
	v_cmpx_ne_u16_e32 0, v3
	s_cbranch_execz .LBB266_242
; %bb.235:                              ;   in Loop: Header=BB266_13 Depth=1
	v_bfrev_b32_e32 v53, 1
	s_mov_b32 s49, exec_lo
	v_cmpx_ne_u16_e32 0x80, v3
	s_cbranch_execz .LBB266_241
; %bb.236:                              ;   in Loop: Header=BB266_13 Depth=1
	v_and_b32_sdwa v56, v3, v19 dst_sel:DWORD dst_unused:UNUSED_PAD src0_sel:WORD_0 src1_sel:DWORD
	v_mov_b32_e32 v53, 0x7c010000
	s_mov_b32 s50, exec_lo
	v_cmpx_ne_u32_e32 0x7f, v56
	s_cbranch_execz .LBB266_240
; %bb.237:                              ;   in Loop: Header=BB266_13 Depth=1
	v_and_b32_sdwa v53, v3, v20 dst_sel:DWORD dst_unused:UNUSED_PAD src0_sel:WORD_0 src1_sel:DWORD
	v_lshrrev_b32_e32 v55, 3, v56
	s_mov_b32 s51, exec_lo
	v_cmpx_gt_u32_e32 8, v56
; %bb.238:                              ;   in Loop: Header=BB266_13 Depth=1
	v_ffbh_u32_e32 v53, v53
	v_min_u32_e32 v53, 32, v53
	v_subrev_nc_u32_e32 v55, 28, v53
	v_lshlrev_b64 v[56:57], v55, v[3:4]
	v_sub_nc_u32_e32 v55, 29, v53
	v_and_b32_e32 v53, 7, v56
; %bb.239:                              ;   in Loop: Header=BB266_13 Depth=1
	s_or_b32 exec_lo, exec_lo, s51
	v_lshlrev_b32_sdwa v3, v21, v3 dst_sel:DWORD dst_unused:UNUSED_PAD src0_sel:DWORD src1_sel:WORD_0
	v_lshl_add_u32 v55, v55, 10, 0x2000
	v_lshlrev_b32_e32 v53, 23, v53
	v_and_or_b32 v3, 0x8000, v3, v55
	v_lshl_or_b32 v53, v3, 16, v53
.LBB266_240:                            ;   in Loop: Header=BB266_13 Depth=1
	s_or_b32 exec_lo, exec_lo, s50
.LBB266_241:                            ;   in Loop: Header=BB266_13 Depth=1
	s_or_b32 exec_lo, exec_lo, s49
.LBB266_242:                            ;   in Loop: Header=BB266_13 Depth=1
	s_or_b32 exec_lo, exec_lo, s48
	global_load_ushort v10, v[9:10], off offset:896
	v_mov_b32_e32 v9, 0
	s_waitcnt vmcnt(0)
	v_and_b32_e32 v3, 0xffff, v10
	v_cmp_ne_u16_sdwa s2, v10, v4 src0_sel:BYTE_0 src1_sel:DWORD
	v_mov_b32_e32 v10, 0
	s_and_saveexec_b32 s48, s2
	s_cbranch_execz .LBB266_250
; %bb.243:                              ;   in Loop: Header=BB266_13 Depth=1
	v_cmp_ne_u16_sdwa s2, v3, v18 src0_sel:BYTE_0 src1_sel:DWORD
	v_mov_b32_e32 v10, 0x8000
	s_and_saveexec_b32 s49, s2
	s_cbranch_execz .LBB266_249
; %bb.244:                              ;   in Loop: Header=BB266_13 Depth=1
	v_and_b32_e32 v56, 0x7f, v3
	v_mov_b32_e32 v10, 0x7c01
	s_mov_b32 s50, exec_lo
	v_cmpx_ne_u32_e32 0x7f, v56
	s_cbranch_execz .LBB266_248
; %bb.245:                              ;   in Loop: Header=BB266_13 Depth=1
	v_and_b32_e32 v10, 7, v3
	v_lshrrev_b32_e32 v55, 3, v56
	s_mov_b32 s51, exec_lo
	v_cmpx_gt_u32_e32 8, v56
; %bb.246:                              ;   in Loop: Header=BB266_13 Depth=1
	v_ffbh_u32_e32 v10, v10
	v_min_u32_e32 v10, 32, v10
	v_subrev_nc_u32_e32 v55, 28, v10
	v_lshlrev_b64 v[56:57], v55, v[3:4]
	v_sub_nc_u32_e32 v55, 29, v10
	v_and_b32_e32 v10, 7, v56
; %bb.247:                              ;   in Loop: Header=BB266_13 Depth=1
	s_or_b32 exec_lo, exec_lo, s51
	v_lshlrev_b32_e32 v56, 8, v3
	v_lshl_add_u32 v55, v55, 10, 0x2000
	v_lshlrev_b32_e32 v10, 7, v10
	v_and_b32_e32 v56, 0x8000, v56
	v_and_b32_e32 v55, 0xfc00, v55
	v_or3_b32 v10, v56, v55, v10
.LBB266_248:                            ;   in Loop: Header=BB266_13 Depth=1
	s_or_b32 exec_lo, exec_lo, s50
.LBB266_249:                            ;   in Loop: Header=BB266_13 Depth=1
	s_or_b32 exec_lo, exec_lo, s49
.LBB266_250:                            ;   in Loop: Header=BB266_13 Depth=1
	s_or_b32 exec_lo, exec_lo, s48
	v_lshrrev_b16 v3, 8, v3
	s_mov_b32 s48, exec_lo
	v_cmpx_ne_u16_e32 0, v3
	s_cbranch_execz .LBB266_258
; %bb.251:                              ;   in Loop: Header=BB266_13 Depth=1
	v_bfrev_b32_e32 v9, 1
	s_mov_b32 s49, exec_lo
	v_cmpx_ne_u16_e32 0x80, v3
	s_cbranch_execz .LBB266_257
; %bb.252:                              ;   in Loop: Header=BB266_13 Depth=1
	v_and_b32_sdwa v56, v3, v19 dst_sel:DWORD dst_unused:UNUSED_PAD src0_sel:WORD_0 src1_sel:DWORD
	v_mov_b32_e32 v9, 0x7c010000
	s_mov_b32 s50, exec_lo
	v_cmpx_ne_u32_e32 0x7f, v56
	s_cbranch_execz .LBB266_256
; %bb.253:                              ;   in Loop: Header=BB266_13 Depth=1
	v_and_b32_sdwa v9, v3, v20 dst_sel:DWORD dst_unused:UNUSED_PAD src0_sel:WORD_0 src1_sel:DWORD
	v_lshrrev_b32_e32 v55, 3, v56
	s_mov_b32 s51, exec_lo
	v_cmpx_gt_u32_e32 8, v56
; %bb.254:                              ;   in Loop: Header=BB266_13 Depth=1
	v_ffbh_u32_e32 v9, v9
	v_min_u32_e32 v9, 32, v9
	v_subrev_nc_u32_e32 v55, 28, v9
	v_lshlrev_b64 v[56:57], v55, v[3:4]
	v_sub_nc_u32_e32 v55, 29, v9
	v_and_b32_e32 v9, 7, v56
; %bb.255:                              ;   in Loop: Header=BB266_13 Depth=1
	s_or_b32 exec_lo, exec_lo, s51
	v_lshlrev_b32_sdwa v3, v21, v3 dst_sel:DWORD dst_unused:UNUSED_PAD src0_sel:DWORD src1_sel:WORD_0
	v_lshl_add_u32 v55, v55, 10, 0x2000
	v_lshlrev_b32_e32 v9, 23, v9
	v_and_or_b32 v3, 0x8000, v3, v55
	v_lshl_or_b32 v9, v3, 16, v9
.LBB266_256:                            ;   in Loop: Header=BB266_13 Depth=1
	s_or_b32 exec_lo, exec_lo, s50
.LBB266_257:                            ;   in Loop: Header=BB266_13 Depth=1
	s_or_b32 exec_lo, exec_lo, s49
.LBB266_258:                            ;   in Loop: Header=BB266_13 Depth=1
	s_or_b32 exec_lo, exec_lo, s48
	ds_read_b32 v3, v16
	v_or_b32_e32 v28, v27, v28
	v_fma_mixlo_f16 v27, v26, v27, 0 op_sel:[0,1,0] op_sel_hi:[0,1,0]
	v_or_b32_e32 v30, v29, v30
	v_fma_mixlo_f16 v29, v26, v29, 0 op_sel:[0,1,0] op_sel_hi:[0,1,0]
	v_or_b32_e32 v32, v31, v32
	v_fma_mixlo_f16 v28, v26, v28, 0 op_sel_hi:[0,1,0]
	v_and_b32_e32 v57, 0xffff, v27
	v_fma_mixlo_f16 v30, v26, v30, 0 op_sel_hi:[0,1,0]
	v_and_b32_e32 v59, 0xffff, v29
	;; [unrolled: 2-line block ×3, first 2 shown]
	v_fma_mixlo_f16 v31, v26, v31, 0 op_sel:[0,1,0] op_sel_hi:[0,1,0]
	v_and_b32_e32 v58, 0xffff, v30
	v_or_b32_e32 v34, v33, v34
	v_and_b32_e32 v60, 0xffff, v32
	v_fma_mixlo_f16 v33, v26, v33, 0 op_sel:[0,1,0] op_sel_hi:[0,1,0]
	v_and_b32_e32 v61, 0xffff, v31
	v_or_b32_e32 v36, v35, v36
	v_fma_mixlo_f16 v34, v26, v34, 0 op_sel_hi:[0,1,0]
	s_waitcnt lgkmcnt(0)
	v_and_b32_e32 v55, 0xffff, v3
	v_lshrrev_b32_e32 v56, 16, v3
	;;#ASMSTART
	v_cvt_f32_f16 v3, v55;
	;;#ASMEND
	;;#ASMSTART
	v_cvt_f32_f16 v27, v56;
	;;#ASMEND
	;; [unrolled: 3-line block ×4, first 2 shown]
	ds_read_b32 v56, v16 offset:4
	v_and_b32_e32 v62, 0xffff, v34
	v_and_b32_e32 v63, 0xffff, v33
	v_fma_mixlo_f16 v36, v26, v36, 0 op_sel_hi:[0,1,0]
	v_fma_mixlo_f16 v35, v26, v35, 0 op_sel:[0,1,0] op_sel_hi:[0,1,0]
	v_or_b32_e32 v38, v37, v38
	v_fma_mixlo_f16 v37, v26, v37, 0 op_sel:[0,1,0] op_sel_hi:[0,1,0]
	v_or_b32_e32 v40, v39, v40
	v_and_b32_e32 v64, 0xffff, v36
	v_and_b32_e32 v65, 0xffff, v35
	v_fma_mixlo_f16 v38, v26, v38, 0 op_sel_hi:[0,1,0]
	v_and_b32_e32 v67, 0xffff, v37
	v_fma_mixlo_f16 v40, v26, v40, 0 op_sel_hi:[0,1,0]
	v_fma_mixlo_f16 v39, v26, v39, 0 op_sel:[0,1,0] op_sel_hi:[0,1,0]
	v_or_b32_e32 v42, v41, v42
	v_and_b32_e32 v66, 0xffff, v38
	v_fma_mixlo_f16 v41, v26, v41, 0 op_sel:[0,1,0] op_sel_hi:[0,1,0]
	v_and_b32_e32 v68, 0xffff, v40
	v_and_b32_e32 v69, 0xffff, v39
	v_fma_mixlo_f16 v42, v26, v42, 0 op_sel_hi:[0,1,0]
	s_waitcnt lgkmcnt(0)
	v_and_b32_e32 v57, 0xffff, v56
	v_lshrrev_b32_e32 v56, 16, v56
	;;#ASMSTART
	v_cvt_f32_f16 v29, v57;
	;;#ASMEND
	;;#ASMSTART
	v_cvt_f32_f16 v30, v56;
	;;#ASMEND
	;; [unrolled: 3-line block ×4, first 2 shown]
	ds_read_b32 v58, v16 offset:8
	v_and_b32_e32 v70, 0xffff, v42
	v_and_b32_e32 v71, 0xffff, v41
	v_or_b32_e32 v44, v43, v44
	v_fma_mixlo_f16 v43, v26, v43, 0 op_sel:[0,1,0] op_sel_hi:[0,1,0]
	v_or_b32_e32 v46, v45, v46
	v_fma_mixlo_f16 v45, v26, v45, 0 op_sel:[0,1,0] op_sel_hi:[0,1,0]
	v_or_b32_e32 v48, v47, v48
	v_fma_mixlo_f16 v44, v26, v44, 0 op_sel_hi:[0,1,0]
	v_and_b32_e32 v73, 0xffff, v43
	v_fma_mixlo_f16 v46, v26, v46, 0 op_sel_hi:[0,1,0]
	v_and_b32_e32 v75, 0xffff, v45
	;; [unrolled: 2-line block ×3, first 2 shown]
	v_fma_mixlo_f16 v47, v26, v47, 0 op_sel:[0,1,0] op_sel_hi:[0,1,0]
	v_and_b32_e32 v74, 0xffff, v46
	v_or_b32_e32 v50, v49, v50
	v_and_b32_e32 v76, 0xffff, v48
	v_mul_f32_e32 v29, v29, v56
	v_and_b32_e32 v77, 0xffff, v47
	s_waitcnt lgkmcnt(0)
	v_and_b32_e32 v59, 0xffff, v58
	v_lshrrev_b32_e32 v58, 16, v58
	;;#ASMSTART
	v_cvt_f32_f16 v31, v59;
	;;#ASMEND
	;;#ASMSTART
	v_cvt_f32_f16 v32, v58;
	;;#ASMEND
	;; [unrolled: 3-line block ×4, first 2 shown]
	ds_read_b32 v60, v16 offset:12
	v_mul_f32_e32 v30, v30, v57
	v_fma_mixlo_f16 v50, v26, v50, 0 op_sel_hi:[0,1,0]
	v_fma_mixlo_f16 v49, v26, v49, 0 op_sel:[0,1,0] op_sel_hi:[0,1,0]
	v_fmac_f32_e32 v29, v3, v28
	v_or_b32_e32 v52, v51, v52
	v_fmac_f32_e32 v30, v27, v55
	v_and_b32_e32 v78, 0xffff, v50
	v_and_b32_e32 v79, 0xffff, v49
	v_fmac_f32_e32 v29, v31, v58
	v_fma_mixlo_f16 v3, v26, v52, 0 op_sel_hi:[0,1,0]
	v_fmac_f32_e32 v30, v32, v59
	v_fma_mixlo_f16 v51, v26, v51, 0 op_sel:[0,1,0] op_sel_hi:[0,1,0]
	v_or_b32_e32 v10, v9, v10
	v_fma_mixlo_f16 v9, v26, v9, 0 op_sel:[0,1,0] op_sel_hi:[0,1,0]
	v_and_b32_e32 v31, 0xffff, v3
	v_and_b32_e32 v51, 0xffff, v51
	v_fma_mixlo_f16 v10, v26, v10, 0 op_sel_hi:[0,1,0]
	s_waitcnt lgkmcnt(0)
	v_and_b32_e32 v61, 0xffff, v60
	v_lshrrev_b32_e32 v60, 16, v60
	;;#ASMSTART
	v_cvt_f32_f16 v33, v61;
	;;#ASMEND
	;;#ASMSTART
	v_cvt_f32_f16 v34, v60;
	;;#ASMEND
	;; [unrolled: 3-line block ×4, first 2 shown]
	ds_read_b32 v62, v16 offset:16
	v_fmac_f32_e32 v29, v33, v60
	v_fmac_f32_e32 v30, v34, v61
	v_or_b32_e32 v33, v53, v54
	v_fma_mixlo_f16 v34, v26, v53, 0 op_sel:[0,1,0] op_sel_hi:[0,1,0]
	v_fma_mixlo_f16 v33, v26, v33, 0 op_sel_hi:[0,1,0]
	s_waitcnt lgkmcnt(0)
	v_and_b32_e32 v63, 0xffff, v62
	v_lshrrev_b32_e32 v62, 16, v62
	;;#ASMSTART
	v_cvt_f32_f16 v35, v63;
	;;#ASMEND
	;;#ASMSTART
	v_cvt_f32_f16 v36, v62;
	;;#ASMEND
	;; [unrolled: 3-line block ×4, first 2 shown]
	ds_read_b32 v64, v16 offset:20
	v_fmac_f32_e32 v29, v35, v62
	v_fmac_f32_e32 v30, v36, v63
	v_and_b32_e32 v35, 0xffff, v34
	s_waitcnt lgkmcnt(0)
	v_and_b32_e32 v65, 0xffff, v64
	v_lshrrev_b32_e32 v64, 16, v64
	;;#ASMSTART
	v_cvt_f32_f16 v37, v65;
	;;#ASMEND
	;;#ASMSTART
	v_cvt_f32_f16 v38, v64;
	;;#ASMEND
	;; [unrolled: 3-line block ×4, first 2 shown]
	ds_read_b32 v66, v16 offset:24
	v_fmac_f32_e32 v29, v37, v64
	v_fmac_f32_e32 v30, v38, v65
	v_and_b32_e32 v37, 0xffff, v33
	v_and_b32_e32 v38, 0xffff, v9
	s_waitcnt lgkmcnt(0)
	v_and_b32_e32 v67, 0xffff, v66
	v_lshrrev_b32_e32 v66, 16, v66
	;;#ASMSTART
	v_cvt_f32_f16 v39, v67;
	;;#ASMEND
	;;#ASMSTART
	v_cvt_f32_f16 v40, v66;
	;;#ASMEND
	;;#ASMSTART
	v_cvt_f32_f16 v66, v68;
	;;#ASMEND
	;;#ASMSTART
	v_cvt_f32_f16 v67, v69;
	;;#ASMEND
	ds_read_b32 v68, v16 offset:28
	v_fmac_f32_e32 v29, v39, v66
	v_fmac_f32_e32 v30, v40, v67
	s_waitcnt lgkmcnt(0)
	v_and_b32_e32 v69, 0xffff, v68
	v_lshrrev_b32_e32 v68, 16, v68
	;;#ASMSTART
	v_cvt_f32_f16 v41, v69;
	;;#ASMEND
	;;#ASMSTART
	v_cvt_f32_f16 v42, v68;
	;;#ASMEND
	;;#ASMSTART
	v_cvt_f32_f16 v68, v70;
	;;#ASMEND
	;;#ASMSTART
	v_cvt_f32_f16 v69, v71;
	;;#ASMEND
	ds_read_b32 v70, v16 offset:32
	v_fmac_f32_e32 v29, v41, v68
	v_fmac_f32_e32 v30, v42, v69
	;; [unrolled: 18-line block ×7, first 2 shown]
	v_and_b32_e32 v27, 0xffff, v10
	s_waitcnt lgkmcnt(0)
	v_and_b32_e32 v34, 0xffff, v32
	v_lshrrev_b32_e32 v36, 16, v32
	;;#ASMSTART
	v_cvt_f32_f16 v32, v34;
	;;#ASMEND
	;;#ASMSTART
	v_cvt_f32_f16 v33, v36;
	;;#ASMEND
	;; [unrolled: 3-line block ×4, first 2 shown]
	ds_read_b32 v36, v16 offset:56
	v_xor_b32_e32 v37, 2, v11
	v_fmac_f32_e32 v29, v32, v34
	v_fmac_f32_e32 v30, v33, v35
	v_cmp_gt_i32_e64 s2, 32, v37
	v_cndmask_b32_e64 v9, v11, v37, s2
	s_waitcnt lgkmcnt(0)
	v_and_b32_e32 v3, 0xffff, v36
	v_lshrrev_b32_e32 v26, 16, v36
	;;#ASMSTART
	v_cvt_f32_f16 v3, v3;
	;;#ASMEND
	;;#ASMSTART
	v_cvt_f32_f16 v10, v26;
	;;#ASMEND
	;; [unrolled: 3-line block ×4, first 2 shown]
	v_fmac_f32_e32 v29, v3, v26
	v_fmac_f32_e32 v30, v10, v27
	v_lshlrev_b32_e32 v3, 2, v9
	v_xor_b32_e32 v10, 1, v11
	v_add_f32_e32 v9, v29, v30
	v_cmp_gt_i32_e64 s2, 32, v10
	ds_bpermute_b32 v3, v3, v9
	v_cndmask_b32_e64 v10, v11, v10, s2
	s_waitcnt lgkmcnt(0)
	v_add_f32_e32 v3, v9, v3
	v_lshlrev_b32_e32 v9, 2, v10
	ds_bpermute_b32 v9, v9, v3
	s_and_saveexec_b32 s48, vcc_lo
	s_cbranch_execz .LBB266_11
; %bb.259:                              ;   in Loop: Header=BB266_13 Depth=1
	v_add_nc_u32_e32 v10, v22, v17
	s_waitcnt lgkmcnt(0)
	v_add_f32_e32 v3, v3, v9
	v_cvt_f32_i32_e32 v10, v10
	v_mul_f32_e32 v10, s43, v10
	v_cndmask_b32_e64 v9, 0, v10, s1
	v_max_f32_e32 v10, v14, v14
	v_fmac_f32_e32 v9, s41, v3
	v_add_nc_u32_e32 v3, v15, v17
	v_max_f32_e32 v10, v10, v9
	v_cmp_gt_i32_e64 s2, s31, v3
	v_cndmask_b32_e64 v3, 0, v9, s2
	v_cndmask_b32_e64 v14, v14, v10, s2
	ds_write_b32 v23, v3
	s_branch .LBB266_11
.LBB266_260:
	s_or_b32 exec_lo, exec_lo, s46
.LBB266_261:
	s_or_b32 exec_lo, exec_lo, s45
	v_xor_b32_e32 v3, 16, v11
	v_xor_b32_e32 v5, 8, v11
	v_max_f32_e32 v6, v14, v14
	v_xor_b32_e32 v7, 4, v11
	v_cmp_gt_i32_e32 vcc_lo, 32, v3
	v_cndmask_b32_e32 v3, v11, v3, vcc_lo
	v_cmp_gt_i32_e32 vcc_lo, 32, v5
	v_lshlrev_b32_e32 v4, 2, v3
	v_cndmask_b32_e32 v5, v11, v5, vcc_lo
	v_cmp_gt_i32_e32 vcc_lo, 32, v7
	ds_bpermute_b32 v3, v4, v14
	v_lshlrev_b32_e32 v5, 2, v5
	v_cndmask_b32_e32 v7, v11, v7, vcc_lo
	v_and_b32_e32 v14, 31, v0
	v_lshlrev_b32_e32 v8, 2, v7
	v_cmp_eq_u32_e32 vcc_lo, 0, v14
	s_waitcnt lgkmcnt(0)
	v_max_f32_e32 v3, v3, v3
	v_max_f32_e32 v3, v6, v3
	ds_bpermute_b32 v6, v5, v3
	s_waitcnt lgkmcnt(0)
	v_max_f32_e32 v6, v6, v6
	v_max_f32_e32 v3, v3, v6
	v_lshlrev_b32_e32 v6, 2, v12
	ds_bpermute_b32 v7, v8, v3
	s_and_saveexec_b32 s1, vcc_lo
	s_cbranch_execz .LBB266_263
; %bb.262:
	s_waitcnt lgkmcnt(0)
	v_max_f32_e32 v7, v7, v7
	v_max_f32_e32 v3, v3, v3
	;; [unrolled: 1-line block ×3, first 2 shown]
	ds_write_b32 v6, v3 offset:240
.LBB266_263:
	s_or_b32 exec_lo, exec_lo, s1
	v_cmp_gt_u32_e64 s1, 4, v14
	v_mov_b32_e32 v3, 0xff7fffff
	s_waitcnt lgkmcnt(0)
	v_lshlrev_b32_e32 v7, 2, v14
	s_barrier
	buffer_gl0_inv
	s_and_saveexec_b32 s2, s1
; %bb.264:
	ds_read_b32 v3, v7 offset:240
; %bb.265:
	s_or_b32 exec_lo, exec_lo, s2
	v_xor_b32_e32 v9, 2, v11
	v_xor_b32_e32 v15, 1, v11
	v_cmp_gt_i32_e64 s2, 32, v9
	v_cndmask_b32_e64 v9, v11, v9, s2
	v_cmp_gt_i32_e64 s2, 32, v15
	v_lshlrev_b32_e32 v9, 2, v9
	v_cndmask_b32_e64 v11, v11, v15, s2
	s_sub_i32 s2, s20, s44
	s_lshl_b32 s2, s2, 3
	s_waitcnt lgkmcnt(0)
	ds_bpermute_b32 v10, v9, v3
	v_max_f32_e32 v3, v3, v3
	s_add_i32 s2, s2, s42
	s_min_i32 s2, s2, s31
	s_sub_i32 s4, s2, s42
	v_cmp_gt_i32_e64 s2, s4, v0
	s_waitcnt lgkmcnt(0)
	v_max_f32_e32 v15, v10, v10
	v_lshlrev_b32_e32 v10, 2, v11
	v_max_f32_e32 v3, v3, v15
	v_lshl_add_u32 v15, v0, 2, 0x110
	ds_bpermute_b32 v11, v10, v3
	s_waitcnt lgkmcnt(0)
	v_max_f32_e32 v11, v11, v11
	v_max_f32_e32 v3, v3, v11
	v_mov_b32_e32 v11, 0
	ds_bpermute_b32 v3, v11, v3
	s_and_saveexec_b32 s5, s2
	s_cbranch_execz .LBB266_269
; %bb.266:
	v_lshl_add_u32 v16, v0, 2, 0x110
	v_mov_b32_e32 v11, 0
	v_mov_b32_e32 v17, v0
	s_mov_b32 s12, 0
	.p2align	6
.LBB266_267:                            ; =>This Inner Loop Header: Depth=1
	ds_read_b32 v18, v16
	v_add_nc_u32_e32 v17, 0x80, v17
	v_cmp_le_i32_e64 s3, s4, v17
	s_or_b32 s12, s3, s12
	s_waitcnt lgkmcnt(0)
	v_sub_f32_e32 v18, v18, v3
	v_mul_f32_e32 v18, 0x3fb8aa3b, v18
	v_exp_f32_e32 v18, v18
	ds_write_b32 v16, v18
	v_add_f32_e32 v11, v11, v18
	v_add_nc_u32_e32 v16, 0x200, v16
	s_andn2_b32 exec_lo, exec_lo, s12
	s_cbranch_execnz .LBB266_267
; %bb.268:
	s_or_b32 exec_lo, exec_lo, s12
.LBB266_269:
	s_or_b32 exec_lo, exec_lo, s5
	ds_bpermute_b32 v4, v4, v11
	s_waitcnt lgkmcnt(0)
	v_add_f32_e32 v4, v11, v4
	ds_bpermute_b32 v5, v5, v4
	s_waitcnt lgkmcnt(0)
	v_add_f32_e32 v4, v4, v5
	;; [unrolled: 3-line block ×5, first 2 shown]
	s_and_saveexec_b32 s3, vcc_lo
; %bb.270:
	ds_write_b32 v6, v4 offset:256
; %bb.271:
	s_or_b32 exec_lo, exec_lo, s3
	s_waitcnt lgkmcnt(0)
	s_barrier
	buffer_gl0_inv
	s_and_saveexec_b32 s3, s1
; %bb.272:
	ds_read_b32 v4, v7 offset:256
; %bb.273:
	s_or_b32 exec_lo, exec_lo, s3
	s_waitcnt lgkmcnt(0)
	ds_bpermute_b32 v5, v9, v4
	s_waitcnt lgkmcnt(0)
	v_add_f32_e32 v4, v4, v5
	ds_bpermute_b32 v5, v10, v4
	s_waitcnt lgkmcnt(0)
	v_add_f32_e32 v4, v4, v5
	v_mov_b32_e32 v5, 0
	ds_bpermute_b32 v4, v5, v4
	s_and_saveexec_b32 s1, s2
	s_cbranch_execz .LBB266_276
; %bb.274:
	s_waitcnt lgkmcnt(0)
	v_add_f32_e32 v6, 0x358637bd, v4
	s_mov_b32 s2, 0
	v_div_scale_f32 v5, null, v6, v6, 1.0
	v_div_scale_f32 v9, vcc_lo, 1.0, v6, 1.0
	v_rcp_f32_e32 v7, v5
	v_fma_f32 v8, -v5, v7, 1.0
	v_fmac_f32_e32 v7, v8, v7
	v_mul_f32_e32 v8, v9, v7
	v_fma_f32 v10, -v5, v8, v9
	v_fmac_f32_e32 v8, v10, v7
	v_fma_f32 v5, -v5, v8, v9
	v_div_fmas_f32 v7, v5, v7, v8
	v_mov_b32_e32 v5, v15
	v_div_fixup_f32 v6, v7, v6, 1.0
	v_mov_b32_e32 v7, v0
.LBB266_275:                            ; =>This Inner Loop Header: Depth=1
	ds_read_b32 v8, v5
	v_add_nc_u32_e32 v7, 0x80, v7
	v_cmp_le_i32_e32 vcc_lo, s4, v7
	s_or_b32 s2, vcc_lo, s2
	s_waitcnt lgkmcnt(0)
	v_mul_f32_e32 v8, v6, v8
	ds_write_b32 v5, v8
	v_add_nc_u32_e32 v5, 0x200, v5
	s_andn2_b32 exec_lo, exec_lo, s2
	s_cbranch_execnz .LBB266_275
.LBB266_276:
	s_or_b32 exec_lo, exec_lo, s1
	s_mul_i32 s1, s11, s30
	s_waitcnt lgkmcnt(0)
	s_mul_i32 s2, s1, s9
	s_mov_b32 s1, exec_lo
	s_barrier
	buffer_gl0_inv
	v_cmpx_eq_u32_e32 0, v0
	s_cbranch_execz .LBB266_278
; %bb.277:
	s_ashr_i32 s3, s2, 31
	s_mul_i32 s12, s11, s6
	s_lshl_b64 s[4:5], s[2:3], 2
	v_mov_b32_e32 v5, 0
	s_add_u32 s3, s26, s4
	s_addc_u32 s6, s27, s5
	s_ashr_i32 s13, s12, 31
	s_lshl_b64 s[12:13], s[12:13], 2
	s_add_u32 s3, s3, s12
	s_addc_u32 s6, s6, s13
	s_ashr_i32 s9, s8, 31
	s_lshl_b64 s[26:27], s[8:9], 2
	s_add_u32 s42, s3, s26
	s_addc_u32 s43, s6, s27
	s_add_u32 s3, s24, s4
	s_addc_u32 s4, s25, s5
	;; [unrolled: 2-line block ×4, first 2 shown]
	global_store_dword v5, v3, s[42:43]
	global_store_dword v5, v4, s[4:5]
.LBB266_278:
	s_or_b32 exec_lo, exec_lo, s1
	v_mov_b32_e32 v19, 0
	v_mov_b32_e32 v18, 0
	;; [unrolled: 1-line block ×4, first 2 shown]
	s_and_saveexec_b32 s3, s0
	s_cbranch_execz .LBB266_550
; %bb.279:
	s_sub_i32 s9, s40, s21
	s_ashr_i32 s0, s18, 31
	s_add_u32 s4, s38, s18
	s_addc_u32 s5, s39, s0
	s_abs_i32 s12, s22
	v_lshlrev_b64 v[4:5], 2, v[1:2]
	v_cvt_f32_u32_e32 v3, s12
	s_sub_i32 s0, 0, s12
	s_mov_b32 s13, s17
	v_or_b32_e32 v7, 0x60, v14
	s_add_i32 s17, s7, -1
	v_rcp_iflag_f32_e32 v3, v3
	v_lshlrev_b32_e32 v20, 3, v14
	v_lshl_add_u32 v21, v12, 5, 0x110
	v_mov_b32_e32 v22, 0x80
	v_mov_b32_e32 v23, 0x7f
	;; [unrolled: 1-line block ×7, first 2 shown]
	v_mul_f32_e32 v6, 0x4f7ffffe, v3
	v_mov_b32_e32 v3, 0
	v_lshlrev_b32_e32 v26, 3, v7
	v_mov_b32_e32 v19, 0
	s_mov_b32 s6, -1
	v_cvt_u32_f32_e32 v2, v6
	s_mov_b32 s7, 0xffffff
	s_mov_b32 s18, 0
	v_cmp_gt_u32_e32 vcc_lo, 0x78, v7
	v_mul_lo_u32 v6, s0, v2
	s_lshl_b64 s[0:1], s[36:37], 2
	s_add_u32 s0, s34, s0
	s_addc_u32 s1, s35, s1
	v_add_co_u32 v4, s0, s0, v4
	v_add_co_ci_u32_e64 v5, null, s1, v5, s0
	v_mul_hi_u32 v6, v2, v6
	v_add_nc_u32_e32 v27, v2, v6
	s_branch .LBB266_283
.LBB266_280:                            ;   in Loop: Header=BB266_283 Depth=1
	s_or_b32 exec_lo, exec_lo, s1
	;;#ASMSTART
	v_pk_mul_f16 v2, v33, v41;

	;;#ASMEND
	;;#ASMSTART
	v_pk_mul_f16 v6, v32, v40;

	;;#ASMEND
	;; [unrolled: 4-line block ×4, first 2 shown]
	;;#ASMSTART
	v_pk_add_f16 v2, v2, v6;

	;;#ASMEND
	;;#ASMSTART
	v_pk_add_f16 v2, v2, v7;

	;;#ASMEND
	;; [unrolled: 4-line block ×3, first 2 shown]
	v_and_b32_e32 v6, 0xffff, v2
	v_lshrrev_b32_e32 v7, 16, v2
	;;#ASMSTART
	v_cvt_f32_f16 v2, v6;
	;;#ASMEND
	;;#ASMSTART
	v_cvt_f32_f16 v6, v7;
	;;#ASMEND
	v_add_f32_e32 v2, v2, v6
	v_add_f32_e32 v16, v16, v2
.LBB266_281:                            ;   in Loop: Header=BB266_283 Depth=1
	s_or_b32 exec_lo, exec_lo, s22
	v_add_f32_e32 v2, v10, v11
	v_add_f32_e32 v6, v28, v29
	;; [unrolled: 1-line block ×6, first 2 shown]
.LBB266_282:                            ;   in Loop: Header=BB266_283 Depth=1
	s_or_b32 exec_lo, exec_lo, s21
	v_add_nc_u32_e32 v1, 4, v1
	v_add_co_u32 v4, s1, v4, 16
	v_add_co_ci_u32_e64 v5, null, 0, v5, s1
	v_cmp_le_i32_e64 s0, s20, v1
	v_add_nc_u32_e32 v13, 32, v13
	v_add_nc_u32_e32 v21, 0x80, v21
	s_or_b32 s18, s0, s18
	s_andn2_b32 exec_lo, exec_lo, s18
	s_cbranch_execz .LBB266_549
.LBB266_283:                            ; =>This Inner Loop Header: Depth=1
	v_sub_nc_u32_e32 v2, 0, v13
	v_max_i32_e32 v2, v13, v2
	v_mul_hi_u32 v6, v2, s19
	v_mul_lo_u32 v7, v6, s16
	v_sub_nc_u32_e32 v2, v2, v7
	v_add_nc_u32_e32 v7, 1, v6
	v_subrev_nc_u32_e32 v8, s16, v2
	v_cmp_le_u32_e64 s0, s16, v2
	v_cndmask_b32_e64 v6, v6, v7, s0
	v_cndmask_b32_e64 v2, v2, v8, s0
	v_ashrrev_i32_e32 v7, 31, v13
	v_add_nc_u32_e32 v8, 1, v6
	v_cmp_le_u32_e64 s0, s16, v2
	v_xor_b32_e32 v7, s23, v7
	v_cndmask_b32_e64 v2, v6, v8, s0
	v_xor_b32_e32 v2, v2, v7
	v_sub_nc_u32_e32 v2, v2, v7
	v_add_nc_u32_e32 v6, s33, v2
	v_cmp_lt_i32_e64 s1, s9, v2
	v_sub_nc_u32_e32 v7, 0, v6
	v_max_i32_e32 v7, v6, v7
	v_ashrrev_i32_e32 v6, 31, v6
	v_mul_hi_u32 v8, v7, v27
	v_mul_lo_u32 v8, v8, s12
	v_sub_nc_u32_e32 v7, v7, v8
	v_subrev_nc_u32_e32 v8, s12, v7
	v_cmp_le_u32_e64 s0, s12, v7
	v_cndmask_b32_e64 v7, v7, v8, s0
	v_subrev_nc_u32_e32 v8, s12, v7
	v_cmp_le_u32_e64 s0, s12, v7
	v_cndmask_b32_e64 v7, v7, v8, s0
	v_xor_b32_e32 v7, v7, v6
	v_sub_nc_u32_e32 v6, v7, v6
	v_cmp_eq_u32_e64 s0, 0, v6
	s_or_b32 s0, s0, s1
	s_and_saveexec_b32 s21, s0
	s_cbranch_execz .LBB266_282
; %bb.284:                              ;   in Loop: Header=BB266_283 Depth=1
	global_load_dword v2, v[4:5], off
	ds_read2_b64 v[8:11], v21 offset1:1
	ds_read2_b64 v[33:36], v21 offset0:2 offset1:3
	v_mov_b32_e32 v37, 0
	v_mov_b32_e32 v38, 0
	s_waitcnt lgkmcnt(1)
	;;#ASMSTART
	v_cvt_f16_f32 v31, v8;

	;;#ASMEND
	;;#ASMSTART
	v_cvt_f16_f32 v28, v9;

	;;#ASMEND
	;; [unrolled: 4-line block ×4, first 2 shown]
	s_waitcnt lgkmcnt(0)
	;;#ASMSTART
	v_cvt_f16_f32 v33, v33;

	;;#ASMEND
	;;#ASMSTART
	v_cvt_f16_f32 v30, v34;

	;;#ASMEND
	;;#ASMSTART
	v_cvt_f16_f32 v35, v35;

	;;#ASMEND
	;;#ASMSTART
	v_cvt_f16_f32 v34, v36;

	;;#ASMEND
	global_load_dword v36, v37, s[14:15]
	s_waitcnt vmcnt(1)
	v_mad_i64_i32 v[6:7], null, v2, s13, s[4:5]
	v_add_co_u32 v8, s0, v6, v20
	v_add_co_ci_u32_e64 v9, null, 0, v7, s0
	global_load_dwordx2 v[10:11], v[8:9], off
	s_waitcnt vmcnt(0)
	v_cmp_ne_u16_sdwa s0, v10, v3 src0_sel:BYTE_0 src1_sel:DWORD
	s_and_saveexec_b32 s1, s0
	s_cbranch_execz .LBB266_292
; %bb.285:                              ;   in Loop: Header=BB266_283 Depth=1
	v_cmp_ne_u16_sdwa s0, v10, v22 src0_sel:BYTE_0 src1_sel:DWORD
	v_mov_b32_e32 v38, 0x8000
	s_and_saveexec_b32 s22, s0
	s_cbranch_execz .LBB266_291
; %bb.286:                              ;   in Loop: Header=BB266_283 Depth=1
	v_and_b32_e32 v39, 0x7f, v10
	v_mov_b32_e32 v38, 0x7c01
	s_mov_b32 s24, exec_lo
	v_cmpx_ne_u32_e32 0x7f, v39
	s_cbranch_execz .LBB266_290
; %bb.287:                              ;   in Loop: Header=BB266_283 Depth=1
	v_and_b32_e32 v2, 7, v10
	v_lshrrev_b32_e32 v38, 3, v39
	s_mov_b32 s25, exec_lo
	v_cmpx_gt_u32_e32 8, v39
; %bb.288:                              ;   in Loop: Header=BB266_283 Depth=1
	v_ffbh_u32_e32 v2, v2
	v_min_u32_e32 v2, 32, v2
	v_subrev_nc_u32_e32 v38, 28, v2
	v_lshlrev_b64 v[39:40], v38, v[10:11]
	v_sub_nc_u32_e32 v38, 29, v2
	v_and_b32_e32 v2, 7, v39
; %bb.289:                              ;   in Loop: Header=BB266_283 Depth=1
	s_or_b32 exec_lo, exec_lo, s25
	v_lshlrev_b32_e32 v39, 8, v10
	v_lshl_add_u32 v38, v38, 10, 0x2000
	v_lshlrev_b32_e32 v2, 7, v2
	v_and_b32_e32 v39, 0x8000, v39
	v_and_b32_e32 v38, 0xfc00, v38
	v_or3_b32 v38, v39, v38, v2
.LBB266_290:                            ;   in Loop: Header=BB266_283 Depth=1
	s_or_b32 exec_lo, exec_lo, s24
.LBB266_291:                            ;   in Loop: Header=BB266_283 Depth=1
	s_or_b32 exec_lo, exec_lo, s22
.LBB266_292:                            ;   in Loop: Header=BB266_283 Depth=1
	s_or_b32 exec_lo, exec_lo, s1
	v_lshrrev_b16 v2, 8, v10
	s_mov_b32 s1, exec_lo
	v_cmpx_ne_u16_e32 0, v2
	s_cbranch_execz .LBB266_300
; %bb.293:                              ;   in Loop: Header=BB266_283 Depth=1
	v_bfrev_b32_e32 v37, 1
	s_mov_b32 s22, exec_lo
	v_cmpx_ne_u16_e32 0x80, v2
	s_cbranch_execz .LBB266_299
; %bb.294:                              ;   in Loop: Header=BB266_283 Depth=1
	v_and_b32_sdwa v40, v2, v23 dst_sel:DWORD dst_unused:UNUSED_PAD src0_sel:WORD_0 src1_sel:DWORD
	v_mov_b32_e32 v37, 0x7c010000
	s_mov_b32 s24, exec_lo
	v_cmpx_ne_u32_e32 0x7f, v40
	s_cbranch_execz .LBB266_298
; %bb.295:                              ;   in Loop: Header=BB266_283 Depth=1
	v_and_b32_sdwa v37, v2, v24 dst_sel:DWORD dst_unused:UNUSED_PAD src0_sel:WORD_0 src1_sel:DWORD
	v_lshrrev_b32_e32 v39, 3, v40
	s_mov_b32 s25, exec_lo
	v_cmpx_gt_u32_e32 8, v40
; %bb.296:                              ;   in Loop: Header=BB266_283 Depth=1
	v_ffbh_u32_e32 v37, v37
	v_min_u32_e32 v37, 32, v37
	v_subrev_nc_u32_e32 v39, 28, v37
	v_lshlrev_b64 v[40:41], v39, v[2:3]
	v_sub_nc_u32_e32 v39, 29, v37
	v_and_b32_e32 v37, 7, v40
; %bb.297:                              ;   in Loop: Header=BB266_283 Depth=1
	s_or_b32 exec_lo, exec_lo, s25
	v_lshlrev_b32_sdwa v2, v25, v2 dst_sel:DWORD dst_unused:UNUSED_PAD src0_sel:DWORD src1_sel:WORD_0
	v_lshl_add_u32 v39, v39, 10, 0x2000
	v_lshlrev_b32_e32 v37, 23, v37
	v_and_or_b32 v2, 0x8000, v2, v39
	v_lshl_or_b32 v37, v2, 16, v37
.LBB266_298:                            ;   in Loop: Header=BB266_283 Depth=1
	s_or_b32 exec_lo, exec_lo, s24
.LBB266_299:                            ;   in Loop: Header=BB266_283 Depth=1
	s_or_b32 exec_lo, exec_lo, s22
.LBB266_300:                            ;   in Loop: Header=BB266_283 Depth=1
	s_or_b32 exec_lo, exec_lo, s1
	v_lshrrev_b32_e32 v2, 16, v10
	v_mov_b32_e32 v39, 0
	v_mov_b32_e32 v40, 0
	v_cmp_ne_u16_sdwa s0, v2, v3 src0_sel:BYTE_0 src1_sel:DWORD
	s_and_saveexec_b32 s1, s0
	s_cbranch_execz .LBB266_308
; %bb.301:                              ;   in Loop: Header=BB266_283 Depth=1
	v_cmp_ne_u16_sdwa s0, v2, v22 src0_sel:BYTE_0 src1_sel:DWORD
	v_mov_b32_e32 v40, 0x8000
	s_and_saveexec_b32 s22, s0
	s_cbranch_execz .LBB266_307
; %bb.302:                              ;   in Loop: Header=BB266_283 Depth=1
	v_bfe_u32 v42, v10, 16, 7
	v_mov_b32_e32 v40, 0x7c01
	s_mov_b32 s24, exec_lo
	v_cmpx_ne_u32_e32 0x7f, v42
	s_cbranch_execz .LBB266_306
; %bb.303:                              ;   in Loop: Header=BB266_283 Depth=1
	v_and_b32_e32 v40, 7, v2
	v_lshrrev_b32_e32 v41, 3, v42
	s_mov_b32 s25, exec_lo
	v_cmpx_gt_u32_e32 8, v42
; %bb.304:                              ;   in Loop: Header=BB266_283 Depth=1
	v_ffbh_u32_e32 v40, v40
	v_min_u32_e32 v42, 32, v40
	v_subrev_nc_u32_e32 v40, 28, v42
	v_lshlrev_b64 v[40:41], v40, v[2:3]
	v_sub_nc_u32_e32 v41, 29, v42
	v_and_b32_e32 v40, 7, v40
; %bb.305:                              ;   in Loop: Header=BB266_283 Depth=1
	s_or_b32 exec_lo, exec_lo, s25
	v_lshlrev_b32_e32 v2, 8, v2
	v_lshl_add_u32 v41, v41, 10, 0x2000
	v_lshlrev_b32_e32 v40, 7, v40
	v_and_b32_e32 v2, 0x8000, v2
	v_and_b32_e32 v41, 0xfc00, v41
	v_or3_b32 v40, v2, v41, v40
.LBB266_306:                            ;   in Loop: Header=BB266_283 Depth=1
	s_or_b32 exec_lo, exec_lo, s24
.LBB266_307:                            ;   in Loop: Header=BB266_283 Depth=1
	s_or_b32 exec_lo, exec_lo, s22
.LBB266_308:                            ;   in Loop: Header=BB266_283 Depth=1
	s_or_b32 exec_lo, exec_lo, s1
	s_mov_b32 s1, exec_lo
	v_cmpx_lt_u32_e32 0xffffff, v10
	s_cbranch_execz .LBB266_316
; %bb.309:                              ;   in Loop: Header=BB266_283 Depth=1
	v_lshrrev_b32_e32 v2, 24, v10
	v_bfrev_b32_e32 v39, 1
	s_mov_b32 s22, exec_lo
	v_cmpx_ne_u32_e32 0x80, v2
	s_cbranch_execz .LBB266_315
; %bb.310:                              ;   in Loop: Header=BB266_283 Depth=1
	v_and_b32_e32 v42, 0x7f, v2
	v_mov_b32_e32 v39, 0x7c010000
	s_mov_b32 s24, exec_lo
	v_cmpx_ne_u32_e32 0x7f, v42
	s_cbranch_execz .LBB266_314
; %bb.311:                              ;   in Loop: Header=BB266_283 Depth=1
	v_and_b32_e32 v39, 7, v2
	v_lshrrev_b32_e32 v41, 3, v42
	s_mov_b32 s25, exec_lo
	v_cmpx_gt_u32_e32 8, v42
; %bb.312:                              ;   in Loop: Header=BB266_283 Depth=1
	v_ffbh_u32_e32 v39, v39
	v_min_u32_e32 v39, 32, v39
	v_subrev_nc_u32_e32 v41, 28, v39
	v_lshlrev_b64 v[42:43], v41, v[2:3]
	v_sub_nc_u32_e32 v41, 29, v39
	v_and_b32_e32 v39, 7, v42
; %bb.313:                              ;   in Loop: Header=BB266_283 Depth=1
	s_or_b32 exec_lo, exec_lo, s25
	v_lshlrev_b32_e32 v2, 8, v2
	v_lshl_add_u32 v41, v41, 10, 0x2000
	v_lshlrev_b32_e32 v39, 23, v39
	v_and_or_b32 v2, 0x8000, v2, v41
	v_lshl_or_b32 v39, v2, 16, v39
.LBB266_314:                            ;   in Loop: Header=BB266_283 Depth=1
	s_or_b32 exec_lo, exec_lo, s24
.LBB266_315:                            ;   in Loop: Header=BB266_283 Depth=1
	s_or_b32 exec_lo, exec_lo, s22
.LBB266_316:                            ;   in Loop: Header=BB266_283 Depth=1
	s_or_b32 exec_lo, exec_lo, s1
	v_mov_b32_e32 v2, v11
	v_cmp_ne_u16_sdwa s0, v11, v3 src0_sel:BYTE_0 src1_sel:DWORD
	v_mov_b32_e32 v41, 0
	v_mov_b32_e32 v42, 0
	s_and_saveexec_b32 s1, s0
	s_cbranch_execz .LBB266_324
; %bb.317:                              ;   in Loop: Header=BB266_283 Depth=1
	v_cmp_ne_u16_sdwa s0, v11, v22 src0_sel:BYTE_0 src1_sel:DWORD
	v_mov_b32_e32 v42, 0x8000
	s_and_saveexec_b32 s22, s0
	s_cbranch_execz .LBB266_323
; %bb.318:                              ;   in Loop: Header=BB266_283 Depth=1
	v_and_b32_e32 v44, 0x7f, v11
	v_mov_b32_e32 v42, 0x7c01
	s_mov_b32 s24, exec_lo
	v_cmpx_ne_u32_e32 0x7f, v44
	s_cbranch_execz .LBB266_322
; %bb.319:                              ;   in Loop: Header=BB266_283 Depth=1
	v_and_b32_e32 v42, 7, v11
	v_lshrrev_b32_e32 v43, 3, v44
	s_mov_b32 s25, exec_lo
	v_cmpx_gt_u32_e32 8, v44
; %bb.320:                              ;   in Loop: Header=BB266_283 Depth=1
	v_ffbh_u32_e32 v42, v42
	v_min_u32_e32 v44, 32, v42
	v_subrev_nc_u32_e32 v42, 28, v44
	v_lshlrev_b64 v[42:43], v42, v[2:3]
	v_sub_nc_u32_e32 v43, 29, v44
	v_and_b32_e32 v42, 7, v42
; %bb.321:                              ;   in Loop: Header=BB266_283 Depth=1
	s_or_b32 exec_lo, exec_lo, s25
	v_lshlrev_b32_e32 v44, 8, v11
	v_lshl_add_u32 v43, v43, 10, 0x2000
	v_lshlrev_b32_e32 v42, 7, v42
	v_and_b32_e32 v44, 0x8000, v44
	v_and_b32_e32 v43, 0xfc00, v43
	v_or3_b32 v42, v44, v43, v42
.LBB266_322:                            ;   in Loop: Header=BB266_283 Depth=1
	s_or_b32 exec_lo, exec_lo, s24
.LBB266_323:                            ;   in Loop: Header=BB266_283 Depth=1
	s_or_b32 exec_lo, exec_lo, s22
.LBB266_324:                            ;   in Loop: Header=BB266_283 Depth=1
	s_or_b32 exec_lo, exec_lo, s1
	v_lshrrev_b16 v2, 8, v2
	v_mov_b32_e32 v43, 0
	s_mov_b32 s1, exec_lo
	v_cmpx_ne_u16_e32 0, v2
	s_cbranch_execz .LBB266_332
; %bb.325:                              ;   in Loop: Header=BB266_283 Depth=1
	v_bfrev_b32_e32 v43, 1
	s_mov_b32 s22, exec_lo
	v_cmpx_ne_u16_e32 0x80, v2
	s_cbranch_execz .LBB266_331
; %bb.326:                              ;   in Loop: Header=BB266_283 Depth=1
	v_and_b32_sdwa v45, v2, v23 dst_sel:DWORD dst_unused:UNUSED_PAD src0_sel:WORD_0 src1_sel:DWORD
	v_mov_b32_e32 v43, 0x7c010000
	s_mov_b32 s24, exec_lo
	v_cmpx_ne_u32_e32 0x7f, v45
	s_cbranch_execz .LBB266_330
; %bb.327:                              ;   in Loop: Header=BB266_283 Depth=1
	v_and_b32_sdwa v43, v2, v24 dst_sel:DWORD dst_unused:UNUSED_PAD src0_sel:WORD_0 src1_sel:DWORD
	v_lshrrev_b32_e32 v44, 3, v45
	s_mov_b32 s25, exec_lo
	v_cmpx_gt_u32_e32 8, v45
; %bb.328:                              ;   in Loop: Header=BB266_283 Depth=1
	v_ffbh_u32_e32 v43, v43
	v_min_u32_e32 v45, 32, v43
	v_subrev_nc_u32_e32 v43, 28, v45
	v_lshlrev_b64 v[43:44], v43, v[2:3]
	v_sub_nc_u32_e32 v44, 29, v45
	v_and_b32_e32 v43, 7, v43
; %bb.329:                              ;   in Loop: Header=BB266_283 Depth=1
	s_or_b32 exec_lo, exec_lo, s25
	v_lshlrev_b32_sdwa v2, v25, v2 dst_sel:DWORD dst_unused:UNUSED_PAD src0_sel:DWORD src1_sel:WORD_0
	v_lshl_add_u32 v44, v44, 10, 0x2000
	v_lshlrev_b32_e32 v43, 23, v43
	v_and_or_b32 v2, 0x8000, v2, v44
	v_lshl_or_b32 v43, v2, 16, v43
.LBB266_330:                            ;   in Loop: Header=BB266_283 Depth=1
	s_or_b32 exec_lo, exec_lo, s24
.LBB266_331:                            ;   in Loop: Header=BB266_283 Depth=1
	s_or_b32 exec_lo, exec_lo, s22
.LBB266_332:                            ;   in Loop: Header=BB266_283 Depth=1
	s_or_b32 exec_lo, exec_lo, s1
	v_lshrrev_b32_e32 v2, 16, v11
	v_cmp_ne_u16_sdwa s0, v2, v3 src0_sel:BYTE_0 src1_sel:DWORD
	s_and_saveexec_b32 s1, s0
	s_cbranch_execz .LBB266_340
; %bb.333:                              ;   in Loop: Header=BB266_283 Depth=1
	v_cmp_ne_u16_sdwa s0, v2, v22 src0_sel:BYTE_0 src1_sel:DWORD
	v_mov_b32_e32 v41, 0x8000
	s_and_saveexec_b32 s22, s0
	s_cbranch_execz .LBB266_339
; %bb.334:                              ;   in Loop: Header=BB266_283 Depth=1
	v_bfe_u32 v45, v11, 16, 7
	v_mov_b32_e32 v41, 0x7c01
	s_mov_b32 s24, exec_lo
	v_cmpx_ne_u32_e32 0x7f, v45
	s_cbranch_execz .LBB266_338
; %bb.335:                              ;   in Loop: Header=BB266_283 Depth=1
	v_and_b32_e32 v41, 7, v2
	v_lshrrev_b32_e32 v44, 3, v45
	s_mov_b32 s25, exec_lo
	v_cmpx_gt_u32_e32 8, v45
; %bb.336:                              ;   in Loop: Header=BB266_283 Depth=1
	v_ffbh_u32_e32 v41, v41
	v_min_u32_e32 v41, 32, v41
	v_subrev_nc_u32_e32 v44, 28, v41
	v_lshlrev_b64 v[45:46], v44, v[2:3]
	v_sub_nc_u32_e32 v44, 29, v41
	v_and_b32_e32 v41, 7, v45
; %bb.337:                              ;   in Loop: Header=BB266_283 Depth=1
	s_or_b32 exec_lo, exec_lo, s25
	v_lshlrev_b32_e32 v2, 8, v2
	v_lshl_add_u32 v44, v44, 10, 0x2000
	v_lshlrev_b32_e32 v41, 7, v41
	v_and_b32_e32 v2, 0x8000, v2
	v_and_b32_e32 v44, 0xfc00, v44
	v_or3_b32 v41, v2, v44, v41
.LBB266_338:                            ;   in Loop: Header=BB266_283 Depth=1
	s_or_b32 exec_lo, exec_lo, s24
.LBB266_339:                            ;   in Loop: Header=BB266_283 Depth=1
	s_or_b32 exec_lo, exec_lo, s22
.LBB266_340:                            ;   in Loop: Header=BB266_283 Depth=1
	s_or_b32 exec_lo, exec_lo, s1
	v_cmp_lt_u64_e64 s0, s[6:7], v[10:11]
	v_mov_b32_e32 v10, 0
	s_and_saveexec_b32 s1, s0
	s_cbranch_execz .LBB266_348
; %bb.341:                              ;   in Loop: Header=BB266_283 Depth=1
	v_lshrrev_b32_e32 v2, 24, v11
	v_bfrev_b32_e32 v10, 1
	s_mov_b32 s22, exec_lo
	v_cmpx_ne_u32_e32 0x80, v2
	s_cbranch_execz .LBB266_347
; %bb.342:                              ;   in Loop: Header=BB266_283 Depth=1
	v_and_b32_e32 v44, 0x7f, v2
	v_mov_b32_e32 v10, 0x7c010000
	s_mov_b32 s24, exec_lo
	v_cmpx_ne_u32_e32 0x7f, v44
	s_cbranch_execz .LBB266_346
; %bb.343:                              ;   in Loop: Header=BB266_283 Depth=1
	v_and_b32_e32 v10, 7, v2
	v_lshrrev_b32_e32 v11, 3, v44
	s_mov_b32 s25, exec_lo
	v_cmpx_gt_u32_e32 8, v44
; %bb.344:                              ;   in Loop: Header=BB266_283 Depth=1
	v_ffbh_u32_e32 v10, v10
	v_min_u32_e32 v44, 32, v10
	v_subrev_nc_u32_e32 v10, 28, v44
	v_lshlrev_b64 v[10:11], v10, v[2:3]
	v_sub_nc_u32_e32 v11, 29, v44
	v_and_b32_e32 v10, 7, v10
; %bb.345:                              ;   in Loop: Header=BB266_283 Depth=1
	s_or_b32 exec_lo, exec_lo, s25
	v_lshlrev_b32_e32 v2, 8, v2
	v_lshl_add_u32 v11, v11, 10, 0x2000
	v_lshlrev_b32_e32 v10, 23, v10
	v_and_or_b32 v2, 0x8000, v2, v11
	v_lshl_or_b32 v10, v2, 16, v10
.LBB266_346:                            ;   in Loop: Header=BB266_283 Depth=1
	s_or_b32 exec_lo, exec_lo, s24
.LBB266_347:                            ;   in Loop: Header=BB266_283 Depth=1
	s_or_b32 exec_lo, exec_lo, s22
.LBB266_348:                            ;   in Loop: Header=BB266_283 Depth=1
	s_or_b32 exec_lo, exec_lo, s1
	v_or_b32_e32 v2, v39, v40
	v_fma_mixlo_f16 v11, v36, v39, 0 op_sel:[0,1,0] op_sel_hi:[0,1,0]
	v_or_b32_e32 v38, v37, v38
	v_or_b32_e32 v40, v43, v42
	;; [unrolled: 1-line block ×3, first 2 shown]
	v_fma_mixlo_f16 v2, v36, v2, 0 op_sel_hi:[0,1,0]
	v_fma_mixlo_f16 v39, v36, v37, 0 op_sel:[0,1,0] op_sel_hi:[0,1,0]
	v_lshlrev_b32_e32 v37, 16, v11
	v_fma_mixlo_f16 v11, v36, v38, 0 op_sel_hi:[0,1,0]
	v_fma_mixlo_f16 v40, v36, v40, 0 op_sel_hi:[0,1,0]
	v_and_b32_e32 v38, 0xffff, v2
	v_fma_mixlo_f16 v2, v36, v43, 0 op_sel:[0,1,0] op_sel_hi:[0,1,0]
	v_fma_mixlo_f16 v42, v36, v10, 0 op_sel:[0,1,0] op_sel_hi:[0,1,0]
	v_fma_mixlo_f16 v41, v36, v41, 0 op_sel_hi:[0,1,0]
	v_lshlrev_b32_e32 v39, 16, v39
	v_and_b32_e32 v44, 0xffff, v11
	v_lshlrev_b32_e32 v10, 16, v2
	v_and_b32_e32 v36, 0xffff, v40
	;; [unrolled: 2-line block ×3, first 2 shown]
	v_cmp_eq_u32_e64 s0, s17, v1
	v_or_b32_e32 v40, v37, v38
	v_or_b32_e32 v41, v39, v44
	;; [unrolled: 1-line block ×4, first 2 shown]
	s_and_saveexec_b32 s22, s0
	s_cbranch_execz .LBB266_350
; %bb.349:                              ;   in Loop: Header=BB266_283 Depth=1
	v_add_nc_u32_e32 v40, 1, v13
	v_cmp_gt_i32_e64 s1, s31, v13
	v_add_nc_u32_e32 v41, 2, v13
	v_add_nc_u32_e32 v43, 3, v13
	v_cndmask_b32_e64 v42, 0, v44, s1
	v_cmp_gt_i32_e64 s1, s31, v40
	v_add_nc_u32_e32 v40, 4, v13
	v_cndmask_b32_e64 v39, 0, v39, s1
	v_cmp_gt_i32_e64 s1, s31, v41
	;; [unrolled: 3-line block ×5, first 2 shown]
	v_or_b32_e32 v41, v39, v42
	v_cndmask_b32_e64 v10, 0, v10, s1
	v_cmp_gt_i32_e64 s1, s31, v43
	v_or_b32_e32 v42, v10, v36
	v_cndmask_b32_e64 v11, 0, v11, s1
	v_cmp_gt_i32_e64 s1, s31, v40
	v_or_b32_e32 v40, v37, v38
	v_cndmask_b32_e64 v2, 0, v2, s1
	v_or_b32_e32 v43, v2, v11
.LBB266_350:                            ;   in Loop: Header=BB266_283 Depth=1
	s_or_b32 exec_lo, exec_lo, s22
	v_and_b32_e32 v2, 0xffff, v31
	v_and_b32_e32 v10, 0xffff, v32
	;; [unrolled: 1-line block ×4, first 2 shown]
	v_mov_b32_e32 v36, 0
	v_lshl_or_b32 v33, v28, 16, v2
	;;#ASMSTART
	v_pk_mul_f16 v2, v33, v41;

	;;#ASMEND
	v_lshl_or_b32 v32, v29, 16, v10
	v_lshl_or_b32 v31, v30, 16, v11
	;; [unrolled: 1-line block ×3, first 2 shown]
	;;#ASMSTART
	v_pk_mul_f16 v10, v32, v40;

	;;#ASMEND
	;;#ASMSTART
	v_pk_mul_f16 v11, v31, v42;

	;;#ASMEND
	;; [unrolled: 4-line block ×3, first 2 shown]
	;;#ASMSTART
	v_pk_add_f16 v2, v2, v10;

	;;#ASMEND
	;;#ASMSTART
	v_pk_add_f16 v2, v2, v11;

	;;#ASMEND
	;; [unrolled: 4-line block ×3, first 2 shown]
	v_and_b32_e32 v10, 0xffff, v2
	v_lshrrev_b32_e32 v2, 16, v2
	;;#ASMSTART
	v_cvt_f32_f16 v28, v10;
	;;#ASMEND
	;;#ASMSTART
	v_cvt_f32_f16 v29, v2;
	;;#ASMEND
	global_load_dwordx2 v[10:11], v[8:9], off offset:256
	v_mov_b32_e32 v35, 0
	global_load_dword v34, v35, s[14:15]
	s_waitcnt vmcnt(1)
	v_cmp_ne_u16_sdwa s1, v10, v3 src0_sel:BYTE_0 src1_sel:DWORD
	s_and_saveexec_b32 s22, s1
	s_cbranch_execz .LBB266_358
; %bb.351:                              ;   in Loop: Header=BB266_283 Depth=1
	v_cmp_ne_u16_sdwa s1, v10, v22 src0_sel:BYTE_0 src1_sel:DWORD
	v_mov_b32_e32 v36, 0x8000
	s_and_saveexec_b32 s24, s1
	s_cbranch_execz .LBB266_357
; %bb.352:                              ;   in Loop: Header=BB266_283 Depth=1
	v_and_b32_e32 v37, 0x7f, v10
	v_mov_b32_e32 v36, 0x7c01
	s_mov_b32 s25, exec_lo
	v_cmpx_ne_u32_e32 0x7f, v37
	s_cbranch_execz .LBB266_356
; %bb.353:                              ;   in Loop: Header=BB266_283 Depth=1
	v_and_b32_e32 v2, 7, v10
	v_lshrrev_b32_e32 v36, 3, v37
	s_mov_b32 s26, exec_lo
	v_cmpx_gt_u32_e32 8, v37
; %bb.354:                              ;   in Loop: Header=BB266_283 Depth=1
	v_ffbh_u32_e32 v2, v2
	v_min_u32_e32 v2, 32, v2
	v_subrev_nc_u32_e32 v36, 28, v2
	v_lshlrev_b64 v[37:38], v36, v[10:11]
	v_sub_nc_u32_e32 v36, 29, v2
	v_and_b32_e32 v2, 7, v37
; %bb.355:                              ;   in Loop: Header=BB266_283 Depth=1
	s_or_b32 exec_lo, exec_lo, s26
	v_lshlrev_b32_e32 v37, 8, v10
	v_lshl_add_u32 v36, v36, 10, 0x2000
	v_lshlrev_b32_e32 v2, 7, v2
	v_and_b32_e32 v37, 0x8000, v37
	v_and_b32_e32 v36, 0xfc00, v36
	v_or3_b32 v36, v37, v36, v2
.LBB266_356:                            ;   in Loop: Header=BB266_283 Depth=1
	s_or_b32 exec_lo, exec_lo, s25
.LBB266_357:                            ;   in Loop: Header=BB266_283 Depth=1
	s_or_b32 exec_lo, exec_lo, s24
.LBB266_358:                            ;   in Loop: Header=BB266_283 Depth=1
	s_or_b32 exec_lo, exec_lo, s22
	v_lshrrev_b16 v2, 8, v10
	s_mov_b32 s22, exec_lo
	v_cmpx_ne_u16_e32 0, v2
	s_cbranch_execz .LBB266_366
; %bb.359:                              ;   in Loop: Header=BB266_283 Depth=1
	v_bfrev_b32_e32 v35, 1
	s_mov_b32 s24, exec_lo
	v_cmpx_ne_u16_e32 0x80, v2
	s_cbranch_execz .LBB266_365
; %bb.360:                              ;   in Loop: Header=BB266_283 Depth=1
	v_and_b32_sdwa v38, v2, v23 dst_sel:DWORD dst_unused:UNUSED_PAD src0_sel:WORD_0 src1_sel:DWORD
	v_mov_b32_e32 v35, 0x7c010000
	s_mov_b32 s25, exec_lo
	v_cmpx_ne_u32_e32 0x7f, v38
	s_cbranch_execz .LBB266_364
; %bb.361:                              ;   in Loop: Header=BB266_283 Depth=1
	v_and_b32_sdwa v35, v2, v24 dst_sel:DWORD dst_unused:UNUSED_PAD src0_sel:WORD_0 src1_sel:DWORD
	v_lshrrev_b32_e32 v37, 3, v38
	s_mov_b32 s26, exec_lo
	v_cmpx_gt_u32_e32 8, v38
; %bb.362:                              ;   in Loop: Header=BB266_283 Depth=1
	v_ffbh_u32_e32 v35, v35
	v_min_u32_e32 v35, 32, v35
	v_subrev_nc_u32_e32 v37, 28, v35
	v_lshlrev_b64 v[38:39], v37, v[2:3]
	v_sub_nc_u32_e32 v37, 29, v35
	v_and_b32_e32 v35, 7, v38
; %bb.363:                              ;   in Loop: Header=BB266_283 Depth=1
	s_or_b32 exec_lo, exec_lo, s26
	v_lshlrev_b32_sdwa v2, v25, v2 dst_sel:DWORD dst_unused:UNUSED_PAD src0_sel:DWORD src1_sel:WORD_0
	v_lshl_add_u32 v37, v37, 10, 0x2000
	v_lshlrev_b32_e32 v35, 23, v35
	v_and_or_b32 v2, 0x8000, v2, v37
	v_lshl_or_b32 v35, v2, 16, v35
.LBB266_364:                            ;   in Loop: Header=BB266_283 Depth=1
	s_or_b32 exec_lo, exec_lo, s25
.LBB266_365:                            ;   in Loop: Header=BB266_283 Depth=1
	s_or_b32 exec_lo, exec_lo, s24
.LBB266_366:                            ;   in Loop: Header=BB266_283 Depth=1
	s_or_b32 exec_lo, exec_lo, s22
	v_lshrrev_b32_e32 v2, 16, v10
	v_mov_b32_e32 v37, 0
	v_mov_b32_e32 v38, 0
	v_cmp_ne_u16_sdwa s1, v2, v3 src0_sel:BYTE_0 src1_sel:DWORD
	s_and_saveexec_b32 s22, s1
	s_cbranch_execz .LBB266_374
; %bb.367:                              ;   in Loop: Header=BB266_283 Depth=1
	v_cmp_ne_u16_sdwa s1, v2, v22 src0_sel:BYTE_0 src1_sel:DWORD
	v_mov_b32_e32 v38, 0x8000
	s_and_saveexec_b32 s24, s1
	s_cbranch_execz .LBB266_373
; %bb.368:                              ;   in Loop: Header=BB266_283 Depth=1
	v_bfe_u32 v40, v10, 16, 7
	v_mov_b32_e32 v38, 0x7c01
	s_mov_b32 s25, exec_lo
	v_cmpx_ne_u32_e32 0x7f, v40
	s_cbranch_execz .LBB266_372
; %bb.369:                              ;   in Loop: Header=BB266_283 Depth=1
	v_and_b32_e32 v38, 7, v2
	v_lshrrev_b32_e32 v39, 3, v40
	s_mov_b32 s26, exec_lo
	v_cmpx_gt_u32_e32 8, v40
; %bb.370:                              ;   in Loop: Header=BB266_283 Depth=1
	v_ffbh_u32_e32 v38, v38
	v_min_u32_e32 v40, 32, v38
	v_subrev_nc_u32_e32 v38, 28, v40
	v_lshlrev_b64 v[38:39], v38, v[2:3]
	v_sub_nc_u32_e32 v39, 29, v40
	v_and_b32_e32 v38, 7, v38
; %bb.371:                              ;   in Loop: Header=BB266_283 Depth=1
	s_or_b32 exec_lo, exec_lo, s26
	v_lshlrev_b32_e32 v2, 8, v2
	v_lshl_add_u32 v39, v39, 10, 0x2000
	v_lshlrev_b32_e32 v38, 7, v38
	v_and_b32_e32 v2, 0x8000, v2
	v_and_b32_e32 v39, 0xfc00, v39
	v_or3_b32 v38, v2, v39, v38
.LBB266_372:                            ;   in Loop: Header=BB266_283 Depth=1
	s_or_b32 exec_lo, exec_lo, s25
.LBB266_373:                            ;   in Loop: Header=BB266_283 Depth=1
	s_or_b32 exec_lo, exec_lo, s24
.LBB266_374:                            ;   in Loop: Header=BB266_283 Depth=1
	s_or_b32 exec_lo, exec_lo, s22
	s_mov_b32 s22, exec_lo
	v_cmpx_lt_u32_e32 0xffffff, v10
	s_cbranch_execz .LBB266_382
; %bb.375:                              ;   in Loop: Header=BB266_283 Depth=1
	v_lshrrev_b32_e32 v2, 24, v10
	v_bfrev_b32_e32 v37, 1
	s_mov_b32 s24, exec_lo
	v_cmpx_ne_u32_e32 0x80, v2
	s_cbranch_execz .LBB266_381
; %bb.376:                              ;   in Loop: Header=BB266_283 Depth=1
	v_and_b32_e32 v40, 0x7f, v2
	v_mov_b32_e32 v37, 0x7c010000
	s_mov_b32 s25, exec_lo
	v_cmpx_ne_u32_e32 0x7f, v40
	s_cbranch_execz .LBB266_380
; %bb.377:                              ;   in Loop: Header=BB266_283 Depth=1
	v_and_b32_e32 v37, 7, v2
	v_lshrrev_b32_e32 v39, 3, v40
	s_mov_b32 s26, exec_lo
	v_cmpx_gt_u32_e32 8, v40
; %bb.378:                              ;   in Loop: Header=BB266_283 Depth=1
	v_ffbh_u32_e32 v37, v37
	v_min_u32_e32 v37, 32, v37
	v_subrev_nc_u32_e32 v39, 28, v37
	v_lshlrev_b64 v[40:41], v39, v[2:3]
	v_sub_nc_u32_e32 v39, 29, v37
	v_and_b32_e32 v37, 7, v40
; %bb.379:                              ;   in Loop: Header=BB266_283 Depth=1
	s_or_b32 exec_lo, exec_lo, s26
	v_lshlrev_b32_e32 v2, 8, v2
	v_lshl_add_u32 v39, v39, 10, 0x2000
	v_lshlrev_b32_e32 v37, 23, v37
	v_and_or_b32 v2, 0x8000, v2, v39
	v_lshl_or_b32 v37, v2, 16, v37
.LBB266_380:                            ;   in Loop: Header=BB266_283 Depth=1
	s_or_b32 exec_lo, exec_lo, s25
.LBB266_381:                            ;   in Loop: Header=BB266_283 Depth=1
	s_or_b32 exec_lo, exec_lo, s24
.LBB266_382:                            ;   in Loop: Header=BB266_283 Depth=1
	s_or_b32 exec_lo, exec_lo, s22
	v_mov_b32_e32 v2, v11
	v_cmp_ne_u16_sdwa s1, v11, v3 src0_sel:BYTE_0 src1_sel:DWORD
	v_mov_b32_e32 v39, 0
	v_mov_b32_e32 v40, 0
	s_and_saveexec_b32 s22, s1
	s_cbranch_execz .LBB266_390
; %bb.383:                              ;   in Loop: Header=BB266_283 Depth=1
	v_cmp_ne_u16_sdwa s1, v11, v22 src0_sel:BYTE_0 src1_sel:DWORD
	v_mov_b32_e32 v40, 0x8000
	s_and_saveexec_b32 s24, s1
	s_cbranch_execz .LBB266_389
; %bb.384:                              ;   in Loop: Header=BB266_283 Depth=1
	v_and_b32_e32 v42, 0x7f, v11
	v_mov_b32_e32 v40, 0x7c01
	s_mov_b32 s25, exec_lo
	v_cmpx_ne_u32_e32 0x7f, v42
	s_cbranch_execz .LBB266_388
; %bb.385:                              ;   in Loop: Header=BB266_283 Depth=1
	v_and_b32_e32 v40, 7, v11
	v_lshrrev_b32_e32 v41, 3, v42
	s_mov_b32 s26, exec_lo
	v_cmpx_gt_u32_e32 8, v42
; %bb.386:                              ;   in Loop: Header=BB266_283 Depth=1
	v_ffbh_u32_e32 v40, v40
	v_min_u32_e32 v42, 32, v40
	v_subrev_nc_u32_e32 v40, 28, v42
	v_lshlrev_b64 v[40:41], v40, v[2:3]
	v_sub_nc_u32_e32 v41, 29, v42
	v_and_b32_e32 v40, 7, v40
; %bb.387:                              ;   in Loop: Header=BB266_283 Depth=1
	s_or_b32 exec_lo, exec_lo, s26
	v_lshlrev_b32_e32 v42, 8, v11
	v_lshl_add_u32 v41, v41, 10, 0x2000
	v_lshlrev_b32_e32 v40, 7, v40
	v_and_b32_e32 v42, 0x8000, v42
	v_and_b32_e32 v41, 0xfc00, v41
	v_or3_b32 v40, v42, v41, v40
.LBB266_388:                            ;   in Loop: Header=BB266_283 Depth=1
	s_or_b32 exec_lo, exec_lo, s25
.LBB266_389:                            ;   in Loop: Header=BB266_283 Depth=1
	s_or_b32 exec_lo, exec_lo, s24
.LBB266_390:                            ;   in Loop: Header=BB266_283 Depth=1
	s_or_b32 exec_lo, exec_lo, s22
	v_lshrrev_b16 v2, 8, v2
	v_mov_b32_e32 v41, 0
	s_mov_b32 s22, exec_lo
	v_cmpx_ne_u16_e32 0, v2
	s_cbranch_execz .LBB266_398
; %bb.391:                              ;   in Loop: Header=BB266_283 Depth=1
	v_bfrev_b32_e32 v41, 1
	s_mov_b32 s24, exec_lo
	v_cmpx_ne_u16_e32 0x80, v2
	s_cbranch_execz .LBB266_397
; %bb.392:                              ;   in Loop: Header=BB266_283 Depth=1
	v_and_b32_sdwa v43, v2, v23 dst_sel:DWORD dst_unused:UNUSED_PAD src0_sel:WORD_0 src1_sel:DWORD
	v_mov_b32_e32 v41, 0x7c010000
	s_mov_b32 s25, exec_lo
	v_cmpx_ne_u32_e32 0x7f, v43
	s_cbranch_execz .LBB266_396
; %bb.393:                              ;   in Loop: Header=BB266_283 Depth=1
	v_and_b32_sdwa v41, v2, v24 dst_sel:DWORD dst_unused:UNUSED_PAD src0_sel:WORD_0 src1_sel:DWORD
	v_lshrrev_b32_e32 v42, 3, v43
	s_mov_b32 s26, exec_lo
	v_cmpx_gt_u32_e32 8, v43
; %bb.394:                              ;   in Loop: Header=BB266_283 Depth=1
	v_ffbh_u32_e32 v41, v41
	v_min_u32_e32 v43, 32, v41
	v_subrev_nc_u32_e32 v41, 28, v43
	v_lshlrev_b64 v[41:42], v41, v[2:3]
	v_sub_nc_u32_e32 v42, 29, v43
	v_and_b32_e32 v41, 7, v41
; %bb.395:                              ;   in Loop: Header=BB266_283 Depth=1
	s_or_b32 exec_lo, exec_lo, s26
	v_lshlrev_b32_sdwa v2, v25, v2 dst_sel:DWORD dst_unused:UNUSED_PAD src0_sel:DWORD src1_sel:WORD_0
	v_lshl_add_u32 v42, v42, 10, 0x2000
	v_lshlrev_b32_e32 v41, 23, v41
	v_and_or_b32 v2, 0x8000, v2, v42
	v_lshl_or_b32 v41, v2, 16, v41
.LBB266_396:                            ;   in Loop: Header=BB266_283 Depth=1
	s_or_b32 exec_lo, exec_lo, s25
.LBB266_397:                            ;   in Loop: Header=BB266_283 Depth=1
	s_or_b32 exec_lo, exec_lo, s24
.LBB266_398:                            ;   in Loop: Header=BB266_283 Depth=1
	s_or_b32 exec_lo, exec_lo, s22
	v_lshrrev_b32_e32 v2, 16, v11
	v_cmp_ne_u16_sdwa s1, v2, v3 src0_sel:BYTE_0 src1_sel:DWORD
	s_and_saveexec_b32 s22, s1
	s_cbranch_execz .LBB266_406
; %bb.399:                              ;   in Loop: Header=BB266_283 Depth=1
	v_cmp_ne_u16_sdwa s1, v2, v22 src0_sel:BYTE_0 src1_sel:DWORD
	v_mov_b32_e32 v39, 0x8000
	s_and_saveexec_b32 s24, s1
	s_cbranch_execz .LBB266_405
; %bb.400:                              ;   in Loop: Header=BB266_283 Depth=1
	v_bfe_u32 v43, v11, 16, 7
	v_mov_b32_e32 v39, 0x7c01
	s_mov_b32 s25, exec_lo
	v_cmpx_ne_u32_e32 0x7f, v43
	s_cbranch_execz .LBB266_404
; %bb.401:                              ;   in Loop: Header=BB266_283 Depth=1
	v_and_b32_e32 v39, 7, v2
	v_lshrrev_b32_e32 v42, 3, v43
	s_mov_b32 s26, exec_lo
	v_cmpx_gt_u32_e32 8, v43
; %bb.402:                              ;   in Loop: Header=BB266_283 Depth=1
	v_ffbh_u32_e32 v39, v39
	v_min_u32_e32 v39, 32, v39
	v_subrev_nc_u32_e32 v42, 28, v39
	v_lshlrev_b64 v[43:44], v42, v[2:3]
	v_sub_nc_u32_e32 v42, 29, v39
	v_and_b32_e32 v39, 7, v43
; %bb.403:                              ;   in Loop: Header=BB266_283 Depth=1
	s_or_b32 exec_lo, exec_lo, s26
	v_lshlrev_b32_e32 v2, 8, v2
	v_lshl_add_u32 v42, v42, 10, 0x2000
	v_lshlrev_b32_e32 v39, 7, v39
	v_and_b32_e32 v2, 0x8000, v2
	v_and_b32_e32 v42, 0xfc00, v42
	v_or3_b32 v39, v2, v42, v39
.LBB266_404:                            ;   in Loop: Header=BB266_283 Depth=1
	s_or_b32 exec_lo, exec_lo, s25
.LBB266_405:                            ;   in Loop: Header=BB266_283 Depth=1
	s_or_b32 exec_lo, exec_lo, s24
.LBB266_406:                            ;   in Loop: Header=BB266_283 Depth=1
	s_or_b32 exec_lo, exec_lo, s22
	v_cmp_lt_u64_e64 s1, s[6:7], v[10:11]
	v_mov_b32_e32 v10, 0
	s_and_saveexec_b32 s22, s1
	s_cbranch_execz .LBB266_414
; %bb.407:                              ;   in Loop: Header=BB266_283 Depth=1
	v_lshrrev_b32_e32 v2, 24, v11
	v_bfrev_b32_e32 v10, 1
	s_mov_b32 s24, exec_lo
	v_cmpx_ne_u32_e32 0x80, v2
	s_cbranch_execz .LBB266_413
; %bb.408:                              ;   in Loop: Header=BB266_283 Depth=1
	v_and_b32_e32 v42, 0x7f, v2
	v_mov_b32_e32 v10, 0x7c010000
	s_mov_b32 s25, exec_lo
	v_cmpx_ne_u32_e32 0x7f, v42
	s_cbranch_execz .LBB266_412
; %bb.409:                              ;   in Loop: Header=BB266_283 Depth=1
	v_and_b32_e32 v10, 7, v2
	v_lshrrev_b32_e32 v11, 3, v42
	s_mov_b32 s26, exec_lo
	v_cmpx_gt_u32_e32 8, v42
; %bb.410:                              ;   in Loop: Header=BB266_283 Depth=1
	v_ffbh_u32_e32 v10, v10
	v_min_u32_e32 v42, 32, v10
	v_subrev_nc_u32_e32 v10, 28, v42
	v_lshlrev_b64 v[10:11], v10, v[2:3]
	v_sub_nc_u32_e32 v11, 29, v42
	v_and_b32_e32 v10, 7, v10
; %bb.411:                              ;   in Loop: Header=BB266_283 Depth=1
	s_or_b32 exec_lo, exec_lo, s26
	v_lshlrev_b32_e32 v2, 8, v2
	v_lshl_add_u32 v11, v11, 10, 0x2000
	v_lshlrev_b32_e32 v10, 23, v10
	v_and_or_b32 v2, 0x8000, v2, v11
	v_lshl_or_b32 v10, v2, 16, v10
.LBB266_412:                            ;   in Loop: Header=BB266_283 Depth=1
	s_or_b32 exec_lo, exec_lo, s25
.LBB266_413:                            ;   in Loop: Header=BB266_283 Depth=1
	s_or_b32 exec_lo, exec_lo, s24
.LBB266_414:                            ;   in Loop: Header=BB266_283 Depth=1
	s_or_b32 exec_lo, exec_lo, s22
	v_or_b32_e32 v2, v37, v38
	s_waitcnt vmcnt(0)
	v_fma_mixlo_f16 v11, v34, v37, 0 op_sel:[0,1,0] op_sel_hi:[0,1,0]
	v_or_b32_e32 v36, v35, v36
	v_or_b32_e32 v38, v41, v40
	;; [unrolled: 1-line block ×3, first 2 shown]
	v_fma_mixlo_f16 v2, v34, v2, 0 op_sel_hi:[0,1,0]
	v_fma_mixlo_f16 v37, v34, v35, 0 op_sel:[0,1,0] op_sel_hi:[0,1,0]
	v_lshlrev_b32_e32 v35, 16, v11
	v_fma_mixlo_f16 v11, v34, v36, 0 op_sel_hi:[0,1,0]
	v_fma_mixlo_f16 v38, v34, v38, 0 op_sel_hi:[0,1,0]
	v_and_b32_e32 v36, 0xffff, v2
	v_fma_mixlo_f16 v2, v34, v41, 0 op_sel:[0,1,0] op_sel_hi:[0,1,0]
	v_fma_mixlo_f16 v40, v34, v10, 0 op_sel:[0,1,0] op_sel_hi:[0,1,0]
	v_fma_mixlo_f16 v39, v34, v39, 0 op_sel_hi:[0,1,0]
	v_lshlrev_b32_e32 v37, 16, v37
	v_and_b32_e32 v41, 0xffff, v11
	v_lshlrev_b32_e32 v10, 16, v2
	v_and_b32_e32 v34, 0xffff, v38
	;; [unrolled: 2-line block ×3, first 2 shown]
	v_or_b32_e32 v38, v35, v36
	v_or_b32_e32 v42, v37, v41
	;; [unrolled: 1-line block ×4, first 2 shown]
	s_and_saveexec_b32 s22, s0
	s_cbranch_execz .LBB266_416
; %bb.415:                              ;   in Loop: Header=BB266_283 Depth=1
	v_add_nc_u32_e32 v38, 1, v13
	v_cmp_gt_i32_e64 s1, s31, v13
	v_add_nc_u32_e32 v39, 2, v13
	v_cndmask_b32_e64 v40, 0, v41, s1
	v_cmp_gt_i32_e64 s1, s31, v38
	v_add_nc_u32_e32 v41, 3, v13
	v_add_nc_u32_e32 v38, 4, v13
	v_cndmask_b32_e64 v37, 0, v37, s1
	v_cmp_gt_i32_e64 s1, s31, v39
	v_add_nc_u32_e32 v39, 5, v13
	v_or_b32_e32 v42, v37, v40
	v_cndmask_b32_e64 v36, 0, v36, s1
	v_cmp_gt_i32_e64 s1, s31, v41
	v_add_nc_u32_e32 v41, 6, v13
	v_cndmask_b32_e64 v35, 0, v35, s1
	v_cmp_gt_i32_e64 s1, s31, v38
	v_add_nc_u32_e32 v38, 7, v13
	v_cndmask_b32_e64 v34, 0, v34, s1
	v_cmp_gt_i32_e64 s1, s31, v39
	v_cndmask_b32_e64 v10, 0, v10, s1
	v_cmp_gt_i32_e64 s1, s31, v41
	v_or_b32_e32 v40, v10, v34
	v_cndmask_b32_e64 v11, 0, v11, s1
	v_cmp_gt_i32_e64 s1, s31, v38
	v_or_b32_e32 v38, v35, v36
	v_cndmask_b32_e64 v2, 0, v2, s1
	v_or_b32_e32 v39, v2, v11
.LBB266_416:                            ;   in Loop: Header=BB266_283 Depth=1
	s_or_b32 exec_lo, exec_lo, s22
	;;#ASMSTART
	v_pk_mul_f16 v2, v33, v42;

	;;#ASMEND
	;;#ASMSTART
	v_pk_mul_f16 v10, v32, v38;

	;;#ASMEND
	;; [unrolled: 4-line block ×4, first 2 shown]
	;;#ASMSTART
	v_pk_add_f16 v2, v2, v10;

	;;#ASMEND
	;;#ASMSTART
	v_pk_add_f16 v2, v2, v11;

	;;#ASMEND
	;;#ASMSTART
	v_pk_add_f16 v2, v2, v34;

	;;#ASMEND
	v_and_b32_e32 v10, 0xffff, v2
	v_lshrrev_b32_e32 v2, 16, v2
	;;#ASMSTART
	v_cvt_f32_f16 v10, v10;
	;;#ASMEND
	;;#ASMSTART
	v_cvt_f32_f16 v11, v2;
	;;#ASMEND
	global_load_dwordx2 v[8:9], v[8:9], off offset:512
	v_mov_b32_e32 v35, 0
	v_mov_b32_e32 v36, 0
	global_load_dword v34, v35, s[14:15]
	s_waitcnt vmcnt(1)
	v_cmp_ne_u16_sdwa s1, v8, v3 src0_sel:BYTE_0 src1_sel:DWORD
	s_and_saveexec_b32 s22, s1
	s_cbranch_execz .LBB266_424
; %bb.417:                              ;   in Loop: Header=BB266_283 Depth=1
	v_cmp_ne_u16_sdwa s1, v8, v22 src0_sel:BYTE_0 src1_sel:DWORD
	v_mov_b32_e32 v36, 0x8000
	s_and_saveexec_b32 s24, s1
	s_cbranch_execz .LBB266_423
; %bb.418:                              ;   in Loop: Header=BB266_283 Depth=1
	v_and_b32_e32 v37, 0x7f, v8
	v_mov_b32_e32 v36, 0x7c01
	s_mov_b32 s25, exec_lo
	v_cmpx_ne_u32_e32 0x7f, v37
	s_cbranch_execz .LBB266_422
; %bb.419:                              ;   in Loop: Header=BB266_283 Depth=1
	v_and_b32_e32 v2, 7, v8
	v_lshrrev_b32_e32 v36, 3, v37
	s_mov_b32 s26, exec_lo
	v_cmpx_gt_u32_e32 8, v37
; %bb.420:                              ;   in Loop: Header=BB266_283 Depth=1
	v_ffbh_u32_e32 v2, v2
	v_min_u32_e32 v2, 32, v2
	v_subrev_nc_u32_e32 v36, 28, v2
	v_lshlrev_b64 v[37:38], v36, v[8:9]
	v_sub_nc_u32_e32 v36, 29, v2
	v_and_b32_e32 v2, 7, v37
; %bb.421:                              ;   in Loop: Header=BB266_283 Depth=1
	s_or_b32 exec_lo, exec_lo, s26
	v_lshlrev_b32_e32 v37, 8, v8
	v_lshl_add_u32 v36, v36, 10, 0x2000
	v_lshlrev_b32_e32 v2, 7, v2
	v_and_b32_e32 v37, 0x8000, v37
	v_and_b32_e32 v36, 0xfc00, v36
	v_or3_b32 v36, v37, v36, v2
.LBB266_422:                            ;   in Loop: Header=BB266_283 Depth=1
	s_or_b32 exec_lo, exec_lo, s25
.LBB266_423:                            ;   in Loop: Header=BB266_283 Depth=1
	s_or_b32 exec_lo, exec_lo, s24
.LBB266_424:                            ;   in Loop: Header=BB266_283 Depth=1
	s_or_b32 exec_lo, exec_lo, s22
	v_lshrrev_b16 v2, 8, v8
	s_mov_b32 s22, exec_lo
	v_cmpx_ne_u16_e32 0, v2
	s_cbranch_execz .LBB266_432
; %bb.425:                              ;   in Loop: Header=BB266_283 Depth=1
	v_bfrev_b32_e32 v35, 1
	s_mov_b32 s24, exec_lo
	v_cmpx_ne_u16_e32 0x80, v2
	s_cbranch_execz .LBB266_431
; %bb.426:                              ;   in Loop: Header=BB266_283 Depth=1
	v_and_b32_sdwa v38, v2, v23 dst_sel:DWORD dst_unused:UNUSED_PAD src0_sel:WORD_0 src1_sel:DWORD
	v_mov_b32_e32 v35, 0x7c010000
	s_mov_b32 s25, exec_lo
	v_cmpx_ne_u32_e32 0x7f, v38
	s_cbranch_execz .LBB266_430
; %bb.427:                              ;   in Loop: Header=BB266_283 Depth=1
	v_and_b32_sdwa v35, v2, v24 dst_sel:DWORD dst_unused:UNUSED_PAD src0_sel:WORD_0 src1_sel:DWORD
	v_lshrrev_b32_e32 v37, 3, v38
	s_mov_b32 s26, exec_lo
	v_cmpx_gt_u32_e32 8, v38
; %bb.428:                              ;   in Loop: Header=BB266_283 Depth=1
	v_ffbh_u32_e32 v35, v35
	v_min_u32_e32 v35, 32, v35
	v_subrev_nc_u32_e32 v37, 28, v35
	v_lshlrev_b64 v[38:39], v37, v[2:3]
	v_sub_nc_u32_e32 v37, 29, v35
	v_and_b32_e32 v35, 7, v38
; %bb.429:                              ;   in Loop: Header=BB266_283 Depth=1
	s_or_b32 exec_lo, exec_lo, s26
	v_lshlrev_b32_sdwa v2, v25, v2 dst_sel:DWORD dst_unused:UNUSED_PAD src0_sel:DWORD src1_sel:WORD_0
	v_lshl_add_u32 v37, v37, 10, 0x2000
	v_lshlrev_b32_e32 v35, 23, v35
	v_and_or_b32 v2, 0x8000, v2, v37
	v_lshl_or_b32 v35, v2, 16, v35
.LBB266_430:                            ;   in Loop: Header=BB266_283 Depth=1
	s_or_b32 exec_lo, exec_lo, s25
.LBB266_431:                            ;   in Loop: Header=BB266_283 Depth=1
	s_or_b32 exec_lo, exec_lo, s24
.LBB266_432:                            ;   in Loop: Header=BB266_283 Depth=1
	s_or_b32 exec_lo, exec_lo, s22
	v_lshrrev_b32_e32 v2, 16, v8
	v_mov_b32_e32 v37, 0
	v_mov_b32_e32 v38, 0
	v_cmp_ne_u16_sdwa s1, v2, v3 src0_sel:BYTE_0 src1_sel:DWORD
	s_and_saveexec_b32 s22, s1
	s_cbranch_execz .LBB266_440
; %bb.433:                              ;   in Loop: Header=BB266_283 Depth=1
	v_cmp_ne_u16_sdwa s1, v2, v22 src0_sel:BYTE_0 src1_sel:DWORD
	v_mov_b32_e32 v38, 0x8000
	s_and_saveexec_b32 s24, s1
	s_cbranch_execz .LBB266_439
; %bb.434:                              ;   in Loop: Header=BB266_283 Depth=1
	v_bfe_u32 v40, v8, 16, 7
	v_mov_b32_e32 v38, 0x7c01
	s_mov_b32 s25, exec_lo
	v_cmpx_ne_u32_e32 0x7f, v40
	s_cbranch_execz .LBB266_438
; %bb.435:                              ;   in Loop: Header=BB266_283 Depth=1
	v_and_b32_e32 v38, 7, v2
	v_lshrrev_b32_e32 v39, 3, v40
	s_mov_b32 s26, exec_lo
	v_cmpx_gt_u32_e32 8, v40
; %bb.436:                              ;   in Loop: Header=BB266_283 Depth=1
	v_ffbh_u32_e32 v38, v38
	v_min_u32_e32 v40, 32, v38
	v_subrev_nc_u32_e32 v38, 28, v40
	v_lshlrev_b64 v[38:39], v38, v[2:3]
	v_sub_nc_u32_e32 v39, 29, v40
	v_and_b32_e32 v38, 7, v38
; %bb.437:                              ;   in Loop: Header=BB266_283 Depth=1
	s_or_b32 exec_lo, exec_lo, s26
	v_lshlrev_b32_e32 v2, 8, v2
	v_lshl_add_u32 v39, v39, 10, 0x2000
	v_lshlrev_b32_e32 v38, 7, v38
	v_and_b32_e32 v2, 0x8000, v2
	v_and_b32_e32 v39, 0xfc00, v39
	v_or3_b32 v38, v2, v39, v38
.LBB266_438:                            ;   in Loop: Header=BB266_283 Depth=1
	s_or_b32 exec_lo, exec_lo, s25
.LBB266_439:                            ;   in Loop: Header=BB266_283 Depth=1
	s_or_b32 exec_lo, exec_lo, s24
.LBB266_440:                            ;   in Loop: Header=BB266_283 Depth=1
	s_or_b32 exec_lo, exec_lo, s22
	s_mov_b32 s22, exec_lo
	v_cmpx_lt_u32_e32 0xffffff, v8
	s_cbranch_execz .LBB266_448
; %bb.441:                              ;   in Loop: Header=BB266_283 Depth=1
	v_lshrrev_b32_e32 v2, 24, v8
	v_bfrev_b32_e32 v37, 1
	s_mov_b32 s24, exec_lo
	v_cmpx_ne_u32_e32 0x80, v2
	s_cbranch_execz .LBB266_447
; %bb.442:                              ;   in Loop: Header=BB266_283 Depth=1
	v_and_b32_e32 v40, 0x7f, v2
	v_mov_b32_e32 v37, 0x7c010000
	s_mov_b32 s25, exec_lo
	v_cmpx_ne_u32_e32 0x7f, v40
	s_cbranch_execz .LBB266_446
; %bb.443:                              ;   in Loop: Header=BB266_283 Depth=1
	v_and_b32_e32 v37, 7, v2
	v_lshrrev_b32_e32 v39, 3, v40
	s_mov_b32 s26, exec_lo
	v_cmpx_gt_u32_e32 8, v40
; %bb.444:                              ;   in Loop: Header=BB266_283 Depth=1
	v_ffbh_u32_e32 v37, v37
	v_min_u32_e32 v37, 32, v37
	v_subrev_nc_u32_e32 v39, 28, v37
	v_lshlrev_b64 v[40:41], v39, v[2:3]
	v_sub_nc_u32_e32 v39, 29, v37
	v_and_b32_e32 v37, 7, v40
; %bb.445:                              ;   in Loop: Header=BB266_283 Depth=1
	s_or_b32 exec_lo, exec_lo, s26
	v_lshlrev_b32_e32 v2, 8, v2
	v_lshl_add_u32 v39, v39, 10, 0x2000
	v_lshlrev_b32_e32 v37, 23, v37
	v_and_or_b32 v2, 0x8000, v2, v39
	v_lshl_or_b32 v37, v2, 16, v37
.LBB266_446:                            ;   in Loop: Header=BB266_283 Depth=1
	s_or_b32 exec_lo, exec_lo, s25
.LBB266_447:                            ;   in Loop: Header=BB266_283 Depth=1
	s_or_b32 exec_lo, exec_lo, s24
.LBB266_448:                            ;   in Loop: Header=BB266_283 Depth=1
	s_or_b32 exec_lo, exec_lo, s22
	v_mov_b32_e32 v2, v9
	v_cmp_ne_u16_sdwa s1, v9, v3 src0_sel:BYTE_0 src1_sel:DWORD
	v_mov_b32_e32 v39, 0
	v_mov_b32_e32 v40, 0
	s_and_saveexec_b32 s22, s1
	s_cbranch_execz .LBB266_456
; %bb.449:                              ;   in Loop: Header=BB266_283 Depth=1
	v_cmp_ne_u16_sdwa s1, v9, v22 src0_sel:BYTE_0 src1_sel:DWORD
	v_mov_b32_e32 v40, 0x8000
	s_and_saveexec_b32 s24, s1
	s_cbranch_execz .LBB266_455
; %bb.450:                              ;   in Loop: Header=BB266_283 Depth=1
	v_and_b32_e32 v42, 0x7f, v9
	v_mov_b32_e32 v40, 0x7c01
	s_mov_b32 s25, exec_lo
	v_cmpx_ne_u32_e32 0x7f, v42
	s_cbranch_execz .LBB266_454
; %bb.451:                              ;   in Loop: Header=BB266_283 Depth=1
	v_and_b32_e32 v40, 7, v9
	v_lshrrev_b32_e32 v41, 3, v42
	s_mov_b32 s26, exec_lo
	v_cmpx_gt_u32_e32 8, v42
; %bb.452:                              ;   in Loop: Header=BB266_283 Depth=1
	v_ffbh_u32_e32 v40, v40
	v_min_u32_e32 v42, 32, v40
	v_subrev_nc_u32_e32 v40, 28, v42
	v_lshlrev_b64 v[40:41], v40, v[2:3]
	v_sub_nc_u32_e32 v41, 29, v42
	v_and_b32_e32 v40, 7, v40
; %bb.453:                              ;   in Loop: Header=BB266_283 Depth=1
	s_or_b32 exec_lo, exec_lo, s26
	v_lshlrev_b32_e32 v42, 8, v9
	v_lshl_add_u32 v41, v41, 10, 0x2000
	v_lshlrev_b32_e32 v40, 7, v40
	v_and_b32_e32 v42, 0x8000, v42
	v_and_b32_e32 v41, 0xfc00, v41
	v_or3_b32 v40, v42, v41, v40
.LBB266_454:                            ;   in Loop: Header=BB266_283 Depth=1
	s_or_b32 exec_lo, exec_lo, s25
.LBB266_455:                            ;   in Loop: Header=BB266_283 Depth=1
	s_or_b32 exec_lo, exec_lo, s24
.LBB266_456:                            ;   in Loop: Header=BB266_283 Depth=1
	s_or_b32 exec_lo, exec_lo, s22
	v_lshrrev_b16 v2, 8, v2
	v_mov_b32_e32 v41, 0
	s_mov_b32 s22, exec_lo
	v_cmpx_ne_u16_e32 0, v2
	s_cbranch_execz .LBB266_464
; %bb.457:                              ;   in Loop: Header=BB266_283 Depth=1
	v_bfrev_b32_e32 v41, 1
	s_mov_b32 s24, exec_lo
	v_cmpx_ne_u16_e32 0x80, v2
	s_cbranch_execz .LBB266_463
; %bb.458:                              ;   in Loop: Header=BB266_283 Depth=1
	v_and_b32_sdwa v43, v2, v23 dst_sel:DWORD dst_unused:UNUSED_PAD src0_sel:WORD_0 src1_sel:DWORD
	v_mov_b32_e32 v41, 0x7c010000
	s_mov_b32 s25, exec_lo
	v_cmpx_ne_u32_e32 0x7f, v43
	s_cbranch_execz .LBB266_462
; %bb.459:                              ;   in Loop: Header=BB266_283 Depth=1
	v_and_b32_sdwa v41, v2, v24 dst_sel:DWORD dst_unused:UNUSED_PAD src0_sel:WORD_0 src1_sel:DWORD
	v_lshrrev_b32_e32 v42, 3, v43
	s_mov_b32 s26, exec_lo
	v_cmpx_gt_u32_e32 8, v43
; %bb.460:                              ;   in Loop: Header=BB266_283 Depth=1
	v_ffbh_u32_e32 v41, v41
	v_min_u32_e32 v43, 32, v41
	v_subrev_nc_u32_e32 v41, 28, v43
	v_lshlrev_b64 v[41:42], v41, v[2:3]
	v_sub_nc_u32_e32 v42, 29, v43
	v_and_b32_e32 v41, 7, v41
; %bb.461:                              ;   in Loop: Header=BB266_283 Depth=1
	s_or_b32 exec_lo, exec_lo, s26
	v_lshlrev_b32_sdwa v2, v25, v2 dst_sel:DWORD dst_unused:UNUSED_PAD src0_sel:DWORD src1_sel:WORD_0
	v_lshl_add_u32 v42, v42, 10, 0x2000
	v_lshlrev_b32_e32 v41, 23, v41
	v_and_or_b32 v2, 0x8000, v2, v42
	v_lshl_or_b32 v41, v2, 16, v41
.LBB266_462:                            ;   in Loop: Header=BB266_283 Depth=1
	s_or_b32 exec_lo, exec_lo, s25
.LBB266_463:                            ;   in Loop: Header=BB266_283 Depth=1
	s_or_b32 exec_lo, exec_lo, s24
.LBB266_464:                            ;   in Loop: Header=BB266_283 Depth=1
	s_or_b32 exec_lo, exec_lo, s22
	v_lshrrev_b32_e32 v2, 16, v9
	v_cmp_ne_u16_sdwa s1, v2, v3 src0_sel:BYTE_0 src1_sel:DWORD
	s_and_saveexec_b32 s22, s1
	s_cbranch_execz .LBB266_472
; %bb.465:                              ;   in Loop: Header=BB266_283 Depth=1
	v_cmp_ne_u16_sdwa s1, v2, v22 src0_sel:BYTE_0 src1_sel:DWORD
	v_mov_b32_e32 v39, 0x8000
	s_and_saveexec_b32 s24, s1
	s_cbranch_execz .LBB266_471
; %bb.466:                              ;   in Loop: Header=BB266_283 Depth=1
	v_bfe_u32 v43, v9, 16, 7
	v_mov_b32_e32 v39, 0x7c01
	s_mov_b32 s25, exec_lo
	v_cmpx_ne_u32_e32 0x7f, v43
	s_cbranch_execz .LBB266_470
; %bb.467:                              ;   in Loop: Header=BB266_283 Depth=1
	v_and_b32_e32 v39, 7, v2
	v_lshrrev_b32_e32 v42, 3, v43
	s_mov_b32 s26, exec_lo
	v_cmpx_gt_u32_e32 8, v43
; %bb.468:                              ;   in Loop: Header=BB266_283 Depth=1
	v_ffbh_u32_e32 v39, v39
	v_min_u32_e32 v39, 32, v39
	v_subrev_nc_u32_e32 v42, 28, v39
	v_lshlrev_b64 v[43:44], v42, v[2:3]
	v_sub_nc_u32_e32 v42, 29, v39
	v_and_b32_e32 v39, 7, v43
; %bb.469:                              ;   in Loop: Header=BB266_283 Depth=1
	s_or_b32 exec_lo, exec_lo, s26
	v_lshlrev_b32_e32 v2, 8, v2
	v_lshl_add_u32 v42, v42, 10, 0x2000
	v_lshlrev_b32_e32 v39, 7, v39
	v_and_b32_e32 v2, 0x8000, v2
	v_and_b32_e32 v42, 0xfc00, v42
	v_or3_b32 v39, v2, v42, v39
.LBB266_470:                            ;   in Loop: Header=BB266_283 Depth=1
	s_or_b32 exec_lo, exec_lo, s25
.LBB266_471:                            ;   in Loop: Header=BB266_283 Depth=1
	s_or_b32 exec_lo, exec_lo, s24
.LBB266_472:                            ;   in Loop: Header=BB266_283 Depth=1
	s_or_b32 exec_lo, exec_lo, s22
	v_cmp_lt_u64_e64 s1, s[6:7], v[8:9]
	v_mov_b32_e32 v8, 0
	s_and_saveexec_b32 s22, s1
	s_cbranch_execz .LBB266_480
; %bb.473:                              ;   in Loop: Header=BB266_283 Depth=1
	v_lshrrev_b32_e32 v2, 24, v9
	v_bfrev_b32_e32 v8, 1
	s_mov_b32 s24, exec_lo
	v_cmpx_ne_u32_e32 0x80, v2
	s_cbranch_execz .LBB266_479
; %bb.474:                              ;   in Loop: Header=BB266_283 Depth=1
	v_and_b32_e32 v42, 0x7f, v2
	v_mov_b32_e32 v8, 0x7c010000
	s_mov_b32 s25, exec_lo
	v_cmpx_ne_u32_e32 0x7f, v42
	s_cbranch_execz .LBB266_478
; %bb.475:                              ;   in Loop: Header=BB266_283 Depth=1
	v_and_b32_e32 v8, 7, v2
	v_lshrrev_b32_e32 v9, 3, v42
	s_mov_b32 s26, exec_lo
	v_cmpx_gt_u32_e32 8, v42
; %bb.476:                              ;   in Loop: Header=BB266_283 Depth=1
	v_ffbh_u32_e32 v8, v8
	v_min_u32_e32 v42, 32, v8
	v_subrev_nc_u32_e32 v8, 28, v42
	v_lshlrev_b64 v[8:9], v8, v[2:3]
	v_sub_nc_u32_e32 v9, 29, v42
	v_and_b32_e32 v8, 7, v8
; %bb.477:                              ;   in Loop: Header=BB266_283 Depth=1
	s_or_b32 exec_lo, exec_lo, s26
	v_lshlrev_b32_e32 v2, 8, v2
	v_lshl_add_u32 v9, v9, 10, 0x2000
	v_lshlrev_b32_e32 v8, 23, v8
	v_and_or_b32 v2, 0x8000, v2, v9
	v_lshl_or_b32 v8, v2, 16, v8
.LBB266_478:                            ;   in Loop: Header=BB266_283 Depth=1
	s_or_b32 exec_lo, exec_lo, s25
.LBB266_479:                            ;   in Loop: Header=BB266_283 Depth=1
	s_or_b32 exec_lo, exec_lo, s24
.LBB266_480:                            ;   in Loop: Header=BB266_283 Depth=1
	s_or_b32 exec_lo, exec_lo, s22
	v_or_b32_e32 v2, v37, v38
	s_waitcnt vmcnt(0)
	v_fma_mixlo_f16 v9, v34, v37, 0 op_sel:[0,1,0] op_sel_hi:[0,1,0]
	v_or_b32_e32 v36, v35, v36
	v_or_b32_e32 v38, v41, v40
	;; [unrolled: 1-line block ×3, first 2 shown]
	v_fma_mixlo_f16 v2, v34, v2, 0 op_sel_hi:[0,1,0]
	v_fma_mixlo_f16 v37, v34, v35, 0 op_sel:[0,1,0] op_sel_hi:[0,1,0]
	v_lshlrev_b32_e32 v35, 16, v9
	v_fma_mixlo_f16 v9, v34, v36, 0 op_sel_hi:[0,1,0]
	v_fma_mixlo_f16 v38, v34, v38, 0 op_sel_hi:[0,1,0]
	v_and_b32_e32 v36, 0xffff, v2
	v_fma_mixlo_f16 v2, v34, v41, 0 op_sel:[0,1,0] op_sel_hi:[0,1,0]
	v_fma_mixlo_f16 v40, v34, v8, 0 op_sel:[0,1,0] op_sel_hi:[0,1,0]
	v_fma_mixlo_f16 v39, v34, v39, 0 op_sel_hi:[0,1,0]
	v_lshlrev_b32_e32 v37, 16, v37
	v_and_b32_e32 v41, 0xffff, v9
	v_lshlrev_b32_e32 v8, 16, v2
	v_and_b32_e32 v34, 0xffff, v38
	;; [unrolled: 2-line block ×3, first 2 shown]
	v_or_b32_e32 v38, v35, v36
	v_or_b32_e32 v42, v37, v41
	;; [unrolled: 1-line block ×4, first 2 shown]
	s_and_saveexec_b32 s22, s0
	s_cbranch_execz .LBB266_482
; %bb.481:                              ;   in Loop: Header=BB266_283 Depth=1
	v_add_nc_u32_e32 v38, 1, v13
	v_cmp_gt_i32_e64 s1, s31, v13
	v_add_nc_u32_e32 v39, 2, v13
	v_cndmask_b32_e64 v40, 0, v41, s1
	v_cmp_gt_i32_e64 s1, s31, v38
	v_add_nc_u32_e32 v41, 3, v13
	v_add_nc_u32_e32 v38, 4, v13
	v_cndmask_b32_e64 v37, 0, v37, s1
	v_cmp_gt_i32_e64 s1, s31, v39
	v_add_nc_u32_e32 v39, 5, v13
	v_or_b32_e32 v42, v37, v40
	v_cndmask_b32_e64 v36, 0, v36, s1
	v_cmp_gt_i32_e64 s1, s31, v41
	v_add_nc_u32_e32 v41, 6, v13
	v_cndmask_b32_e64 v35, 0, v35, s1
	v_cmp_gt_i32_e64 s1, s31, v38
	v_add_nc_u32_e32 v38, 7, v13
	v_cndmask_b32_e64 v34, 0, v34, s1
	v_cmp_gt_i32_e64 s1, s31, v39
	v_cndmask_b32_e64 v8, 0, v8, s1
	v_cmp_gt_i32_e64 s1, s31, v41
	v_or_b32_e32 v40, v8, v34
	v_cndmask_b32_e64 v9, 0, v9, s1
	v_cmp_gt_i32_e64 s1, s31, v38
	v_or_b32_e32 v38, v35, v36
	v_cndmask_b32_e64 v2, 0, v2, s1
	v_or_b32_e32 v39, v2, v9
.LBB266_482:                            ;   in Loop: Header=BB266_283 Depth=1
	s_or_b32 exec_lo, exec_lo, s22
	;;#ASMSTART
	v_pk_mul_f16 v2, v33, v42;

	;;#ASMEND
	;;#ASMSTART
	v_pk_mul_f16 v8, v32, v38;

	;;#ASMEND
	;; [unrolled: 4-line block ×4, first 2 shown]
	;;#ASMSTART
	v_pk_add_f16 v2, v2, v8;

	;;#ASMEND
	;;#ASMSTART
	v_pk_add_f16 v2, v2, v9;

	;;#ASMEND
	;; [unrolled: 4-line block ×3, first 2 shown]
	v_and_b32_e32 v8, 0xffff, v2
	v_lshrrev_b32_e32 v2, 16, v2
	;;#ASMSTART
	v_cvt_f32_f16 v8, v8;
	;;#ASMEND
	;;#ASMSTART
	v_cvt_f32_f16 v9, v2;
	;;#ASMEND
	s_and_saveexec_b32 s22, vcc_lo
	s_cbranch_execz .LBB266_281
; %bb.483:                              ;   in Loop: Header=BB266_283 Depth=1
	v_add_co_u32 v6, s1, v6, v26
	v_add_co_ci_u32_e64 v7, null, 0, v7, s1
	v_mov_b32_e32 v35, 0
	v_mov_b32_e32 v36, 0
	global_load_dwordx2 v[6:7], v[6:7], off
	global_load_dword v34, v35, s[14:15]
	s_waitcnt vmcnt(1)
	v_cmp_ne_u16_sdwa s1, v6, v3 src0_sel:BYTE_0 src1_sel:DWORD
	s_and_saveexec_b32 s24, s1
	s_cbranch_execz .LBB266_491
; %bb.484:                              ;   in Loop: Header=BB266_283 Depth=1
	v_cmp_ne_u16_sdwa s1, v6, v22 src0_sel:BYTE_0 src1_sel:DWORD
	v_mov_b32_e32 v36, 0x8000
	s_and_saveexec_b32 s25, s1
	s_cbranch_execz .LBB266_490
; %bb.485:                              ;   in Loop: Header=BB266_283 Depth=1
	v_and_b32_e32 v37, 0x7f, v6
	v_mov_b32_e32 v36, 0x7c01
	s_mov_b32 s26, exec_lo
	v_cmpx_ne_u32_e32 0x7f, v37
	s_cbranch_execz .LBB266_489
; %bb.486:                              ;   in Loop: Header=BB266_283 Depth=1
	v_and_b32_e32 v2, 7, v6
	v_lshrrev_b32_e32 v36, 3, v37
	s_mov_b32 s27, exec_lo
	v_cmpx_gt_u32_e32 8, v37
; %bb.487:                              ;   in Loop: Header=BB266_283 Depth=1
	v_ffbh_u32_e32 v2, v2
	v_min_u32_e32 v2, 32, v2
	v_subrev_nc_u32_e32 v36, 28, v2
	v_lshlrev_b64 v[37:38], v36, v[6:7]
	v_sub_nc_u32_e32 v36, 29, v2
	v_and_b32_e32 v2, 7, v37
; %bb.488:                              ;   in Loop: Header=BB266_283 Depth=1
	s_or_b32 exec_lo, exec_lo, s27
	v_lshlrev_b32_e32 v37, 8, v6
	v_lshl_add_u32 v36, v36, 10, 0x2000
	v_lshlrev_b32_e32 v2, 7, v2
	v_and_b32_e32 v37, 0x8000, v37
	v_and_b32_e32 v36, 0xfc00, v36
	v_or3_b32 v36, v37, v36, v2
.LBB266_489:                            ;   in Loop: Header=BB266_283 Depth=1
	s_or_b32 exec_lo, exec_lo, s26
.LBB266_490:                            ;   in Loop: Header=BB266_283 Depth=1
	s_or_b32 exec_lo, exec_lo, s25
.LBB266_491:                            ;   in Loop: Header=BB266_283 Depth=1
	s_or_b32 exec_lo, exec_lo, s24
	v_lshrrev_b16 v2, 8, v6
	s_mov_b32 s24, exec_lo
	v_cmpx_ne_u16_e32 0, v2
	s_cbranch_execz .LBB266_499
; %bb.492:                              ;   in Loop: Header=BB266_283 Depth=1
	v_bfrev_b32_e32 v35, 1
	s_mov_b32 s25, exec_lo
	v_cmpx_ne_u16_e32 0x80, v2
	s_cbranch_execz .LBB266_498
; %bb.493:                              ;   in Loop: Header=BB266_283 Depth=1
	v_and_b32_sdwa v38, v2, v23 dst_sel:DWORD dst_unused:UNUSED_PAD src0_sel:WORD_0 src1_sel:DWORD
	v_mov_b32_e32 v35, 0x7c010000
	s_mov_b32 s26, exec_lo
	v_cmpx_ne_u32_e32 0x7f, v38
	s_cbranch_execz .LBB266_497
; %bb.494:                              ;   in Loop: Header=BB266_283 Depth=1
	v_and_b32_sdwa v35, v2, v24 dst_sel:DWORD dst_unused:UNUSED_PAD src0_sel:WORD_0 src1_sel:DWORD
	v_lshrrev_b32_e32 v37, 3, v38
	s_mov_b32 s27, exec_lo
	v_cmpx_gt_u32_e32 8, v38
; %bb.495:                              ;   in Loop: Header=BB266_283 Depth=1
	v_ffbh_u32_e32 v35, v35
	v_min_u32_e32 v35, 32, v35
	v_subrev_nc_u32_e32 v37, 28, v35
	v_lshlrev_b64 v[38:39], v37, v[2:3]
	v_sub_nc_u32_e32 v37, 29, v35
	v_and_b32_e32 v35, 7, v38
; %bb.496:                              ;   in Loop: Header=BB266_283 Depth=1
	s_or_b32 exec_lo, exec_lo, s27
	v_lshlrev_b32_sdwa v2, v25, v2 dst_sel:DWORD dst_unused:UNUSED_PAD src0_sel:DWORD src1_sel:WORD_0
	v_lshl_add_u32 v37, v37, 10, 0x2000
	v_lshlrev_b32_e32 v35, 23, v35
	v_and_or_b32 v2, 0x8000, v2, v37
	v_lshl_or_b32 v35, v2, 16, v35
.LBB266_497:                            ;   in Loop: Header=BB266_283 Depth=1
	s_or_b32 exec_lo, exec_lo, s26
.LBB266_498:                            ;   in Loop: Header=BB266_283 Depth=1
	s_or_b32 exec_lo, exec_lo, s25
.LBB266_499:                            ;   in Loop: Header=BB266_283 Depth=1
	s_or_b32 exec_lo, exec_lo, s24
	v_lshrrev_b32_e32 v2, 16, v6
	v_mov_b32_e32 v37, 0
	v_mov_b32_e32 v38, 0
	v_cmp_ne_u16_sdwa s1, v2, v3 src0_sel:BYTE_0 src1_sel:DWORD
	s_and_saveexec_b32 s24, s1
	s_cbranch_execz .LBB266_507
; %bb.500:                              ;   in Loop: Header=BB266_283 Depth=1
	v_cmp_ne_u16_sdwa s1, v2, v22 src0_sel:BYTE_0 src1_sel:DWORD
	v_mov_b32_e32 v38, 0x8000
	s_and_saveexec_b32 s25, s1
	s_cbranch_execz .LBB266_506
; %bb.501:                              ;   in Loop: Header=BB266_283 Depth=1
	v_bfe_u32 v40, v6, 16, 7
	v_mov_b32_e32 v38, 0x7c01
	s_mov_b32 s26, exec_lo
	v_cmpx_ne_u32_e32 0x7f, v40
	s_cbranch_execz .LBB266_505
; %bb.502:                              ;   in Loop: Header=BB266_283 Depth=1
	v_and_b32_e32 v38, 7, v2
	v_lshrrev_b32_e32 v39, 3, v40
	s_mov_b32 s27, exec_lo
	v_cmpx_gt_u32_e32 8, v40
; %bb.503:                              ;   in Loop: Header=BB266_283 Depth=1
	v_ffbh_u32_e32 v38, v38
	v_min_u32_e32 v40, 32, v38
	v_subrev_nc_u32_e32 v38, 28, v40
	v_lshlrev_b64 v[38:39], v38, v[2:3]
	v_sub_nc_u32_e32 v39, 29, v40
	v_and_b32_e32 v38, 7, v38
; %bb.504:                              ;   in Loop: Header=BB266_283 Depth=1
	s_or_b32 exec_lo, exec_lo, s27
	v_lshlrev_b32_e32 v2, 8, v2
	v_lshl_add_u32 v39, v39, 10, 0x2000
	v_lshlrev_b32_e32 v38, 7, v38
	v_and_b32_e32 v2, 0x8000, v2
	v_and_b32_e32 v39, 0xfc00, v39
	v_or3_b32 v38, v2, v39, v38
.LBB266_505:                            ;   in Loop: Header=BB266_283 Depth=1
	s_or_b32 exec_lo, exec_lo, s26
.LBB266_506:                            ;   in Loop: Header=BB266_283 Depth=1
	s_or_b32 exec_lo, exec_lo, s25
.LBB266_507:                            ;   in Loop: Header=BB266_283 Depth=1
	s_or_b32 exec_lo, exec_lo, s24
	s_mov_b32 s24, exec_lo
	v_cmpx_lt_u32_e32 0xffffff, v6
	s_cbranch_execz .LBB266_515
; %bb.508:                              ;   in Loop: Header=BB266_283 Depth=1
	v_lshrrev_b32_e32 v2, 24, v6
	v_bfrev_b32_e32 v37, 1
	s_mov_b32 s25, exec_lo
	v_cmpx_ne_u32_e32 0x80, v2
	s_cbranch_execz .LBB266_514
; %bb.509:                              ;   in Loop: Header=BB266_283 Depth=1
	v_and_b32_e32 v40, 0x7f, v2
	v_mov_b32_e32 v37, 0x7c010000
	s_mov_b32 s26, exec_lo
	v_cmpx_ne_u32_e32 0x7f, v40
	s_cbranch_execz .LBB266_513
; %bb.510:                              ;   in Loop: Header=BB266_283 Depth=1
	v_and_b32_e32 v37, 7, v2
	v_lshrrev_b32_e32 v39, 3, v40
	s_mov_b32 s27, exec_lo
	v_cmpx_gt_u32_e32 8, v40
; %bb.511:                              ;   in Loop: Header=BB266_283 Depth=1
	v_ffbh_u32_e32 v37, v37
	v_min_u32_e32 v37, 32, v37
	v_subrev_nc_u32_e32 v39, 28, v37
	v_lshlrev_b64 v[40:41], v39, v[2:3]
	v_sub_nc_u32_e32 v39, 29, v37
	v_and_b32_e32 v37, 7, v40
; %bb.512:                              ;   in Loop: Header=BB266_283 Depth=1
	s_or_b32 exec_lo, exec_lo, s27
	v_lshlrev_b32_e32 v2, 8, v2
	v_lshl_add_u32 v39, v39, 10, 0x2000
	v_lshlrev_b32_e32 v37, 23, v37
	v_and_or_b32 v2, 0x8000, v2, v39
	v_lshl_or_b32 v37, v2, 16, v37
.LBB266_513:                            ;   in Loop: Header=BB266_283 Depth=1
	s_or_b32 exec_lo, exec_lo, s26
.LBB266_514:                            ;   in Loop: Header=BB266_283 Depth=1
	s_or_b32 exec_lo, exec_lo, s25
.LBB266_515:                            ;   in Loop: Header=BB266_283 Depth=1
	s_or_b32 exec_lo, exec_lo, s24
	v_mov_b32_e32 v2, v7
	v_cmp_ne_u16_sdwa s1, v7, v3 src0_sel:BYTE_0 src1_sel:DWORD
	v_mov_b32_e32 v39, 0
	v_mov_b32_e32 v40, 0
	s_and_saveexec_b32 s24, s1
	s_cbranch_execz .LBB266_523
; %bb.516:                              ;   in Loop: Header=BB266_283 Depth=1
	v_cmp_ne_u16_sdwa s1, v7, v22 src0_sel:BYTE_0 src1_sel:DWORD
	v_mov_b32_e32 v40, 0x8000
	s_and_saveexec_b32 s25, s1
	s_cbranch_execz .LBB266_522
; %bb.517:                              ;   in Loop: Header=BB266_283 Depth=1
	v_and_b32_e32 v42, 0x7f, v7
	v_mov_b32_e32 v40, 0x7c01
	s_mov_b32 s26, exec_lo
	v_cmpx_ne_u32_e32 0x7f, v42
	s_cbranch_execz .LBB266_521
; %bb.518:                              ;   in Loop: Header=BB266_283 Depth=1
	v_and_b32_e32 v40, 7, v7
	v_lshrrev_b32_e32 v41, 3, v42
	s_mov_b32 s27, exec_lo
	v_cmpx_gt_u32_e32 8, v42
; %bb.519:                              ;   in Loop: Header=BB266_283 Depth=1
	v_ffbh_u32_e32 v40, v40
	v_min_u32_e32 v42, 32, v40
	v_subrev_nc_u32_e32 v40, 28, v42
	v_lshlrev_b64 v[40:41], v40, v[2:3]
	v_sub_nc_u32_e32 v41, 29, v42
	v_and_b32_e32 v40, 7, v40
; %bb.520:                              ;   in Loop: Header=BB266_283 Depth=1
	s_or_b32 exec_lo, exec_lo, s27
	v_lshlrev_b32_e32 v42, 8, v7
	v_lshl_add_u32 v41, v41, 10, 0x2000
	v_lshlrev_b32_e32 v40, 7, v40
	v_and_b32_e32 v42, 0x8000, v42
	v_and_b32_e32 v41, 0xfc00, v41
	v_or3_b32 v40, v42, v41, v40
.LBB266_521:                            ;   in Loop: Header=BB266_283 Depth=1
	s_or_b32 exec_lo, exec_lo, s26
.LBB266_522:                            ;   in Loop: Header=BB266_283 Depth=1
	s_or_b32 exec_lo, exec_lo, s25
.LBB266_523:                            ;   in Loop: Header=BB266_283 Depth=1
	s_or_b32 exec_lo, exec_lo, s24
	v_lshrrev_b16 v2, 8, v2
	v_mov_b32_e32 v41, 0
	s_mov_b32 s24, exec_lo
	v_cmpx_ne_u16_e32 0, v2
	s_cbranch_execz .LBB266_531
; %bb.524:                              ;   in Loop: Header=BB266_283 Depth=1
	v_bfrev_b32_e32 v41, 1
	s_mov_b32 s25, exec_lo
	v_cmpx_ne_u16_e32 0x80, v2
	s_cbranch_execz .LBB266_530
; %bb.525:                              ;   in Loop: Header=BB266_283 Depth=1
	v_and_b32_sdwa v43, v2, v23 dst_sel:DWORD dst_unused:UNUSED_PAD src0_sel:WORD_0 src1_sel:DWORD
	v_mov_b32_e32 v41, 0x7c010000
	s_mov_b32 s26, exec_lo
	v_cmpx_ne_u32_e32 0x7f, v43
	s_cbranch_execz .LBB266_529
; %bb.526:                              ;   in Loop: Header=BB266_283 Depth=1
	v_and_b32_sdwa v41, v2, v24 dst_sel:DWORD dst_unused:UNUSED_PAD src0_sel:WORD_0 src1_sel:DWORD
	v_lshrrev_b32_e32 v42, 3, v43
	s_mov_b32 s27, exec_lo
	v_cmpx_gt_u32_e32 8, v43
; %bb.527:                              ;   in Loop: Header=BB266_283 Depth=1
	v_ffbh_u32_e32 v41, v41
	v_min_u32_e32 v43, 32, v41
	v_subrev_nc_u32_e32 v41, 28, v43
	v_lshlrev_b64 v[41:42], v41, v[2:3]
	v_sub_nc_u32_e32 v42, 29, v43
	v_and_b32_e32 v41, 7, v41
; %bb.528:                              ;   in Loop: Header=BB266_283 Depth=1
	s_or_b32 exec_lo, exec_lo, s27
	v_lshlrev_b32_sdwa v2, v25, v2 dst_sel:DWORD dst_unused:UNUSED_PAD src0_sel:DWORD src1_sel:WORD_0
	v_lshl_add_u32 v42, v42, 10, 0x2000
	v_lshlrev_b32_e32 v41, 23, v41
	v_and_or_b32 v2, 0x8000, v2, v42
	v_lshl_or_b32 v41, v2, 16, v41
.LBB266_529:                            ;   in Loop: Header=BB266_283 Depth=1
	s_or_b32 exec_lo, exec_lo, s26
.LBB266_530:                            ;   in Loop: Header=BB266_283 Depth=1
	s_or_b32 exec_lo, exec_lo, s25
.LBB266_531:                            ;   in Loop: Header=BB266_283 Depth=1
	s_or_b32 exec_lo, exec_lo, s24
	v_lshrrev_b32_e32 v2, 16, v7
	v_cmp_ne_u16_sdwa s1, v2, v3 src0_sel:BYTE_0 src1_sel:DWORD
	s_and_saveexec_b32 s24, s1
	s_cbranch_execz .LBB266_539
; %bb.532:                              ;   in Loop: Header=BB266_283 Depth=1
	v_cmp_ne_u16_sdwa s1, v2, v22 src0_sel:BYTE_0 src1_sel:DWORD
	v_mov_b32_e32 v39, 0x8000
	s_and_saveexec_b32 s25, s1
	s_cbranch_execz .LBB266_538
; %bb.533:                              ;   in Loop: Header=BB266_283 Depth=1
	v_bfe_u32 v43, v7, 16, 7
	v_mov_b32_e32 v39, 0x7c01
	s_mov_b32 s26, exec_lo
	v_cmpx_ne_u32_e32 0x7f, v43
	s_cbranch_execz .LBB266_537
; %bb.534:                              ;   in Loop: Header=BB266_283 Depth=1
	v_and_b32_e32 v39, 7, v2
	v_lshrrev_b32_e32 v42, 3, v43
	s_mov_b32 s27, exec_lo
	v_cmpx_gt_u32_e32 8, v43
; %bb.535:                              ;   in Loop: Header=BB266_283 Depth=1
	v_ffbh_u32_e32 v39, v39
	v_min_u32_e32 v39, 32, v39
	v_subrev_nc_u32_e32 v42, 28, v39
	v_lshlrev_b64 v[43:44], v42, v[2:3]
	v_sub_nc_u32_e32 v42, 29, v39
	v_and_b32_e32 v39, 7, v43
; %bb.536:                              ;   in Loop: Header=BB266_283 Depth=1
	s_or_b32 exec_lo, exec_lo, s27
	v_lshlrev_b32_e32 v2, 8, v2
	v_lshl_add_u32 v42, v42, 10, 0x2000
	v_lshlrev_b32_e32 v39, 7, v39
	v_and_b32_e32 v2, 0x8000, v2
	v_and_b32_e32 v42, 0xfc00, v42
	v_or3_b32 v39, v2, v42, v39
.LBB266_537:                            ;   in Loop: Header=BB266_283 Depth=1
	s_or_b32 exec_lo, exec_lo, s26
.LBB266_538:                            ;   in Loop: Header=BB266_283 Depth=1
	s_or_b32 exec_lo, exec_lo, s25
.LBB266_539:                            ;   in Loop: Header=BB266_283 Depth=1
	s_or_b32 exec_lo, exec_lo, s24
	v_cmp_lt_u64_e64 s1, s[6:7], v[6:7]
	v_mov_b32_e32 v6, 0
	s_and_saveexec_b32 s24, s1
	s_cbranch_execz .LBB266_547
; %bb.540:                              ;   in Loop: Header=BB266_283 Depth=1
	v_lshrrev_b32_e32 v2, 24, v7
	v_bfrev_b32_e32 v6, 1
	s_mov_b32 s25, exec_lo
	v_cmpx_ne_u32_e32 0x80, v2
	s_cbranch_execz .LBB266_546
; %bb.541:                              ;   in Loop: Header=BB266_283 Depth=1
	v_and_b32_e32 v42, 0x7f, v2
	v_mov_b32_e32 v6, 0x7c010000
	s_mov_b32 s26, exec_lo
	v_cmpx_ne_u32_e32 0x7f, v42
	s_cbranch_execz .LBB266_545
; %bb.542:                              ;   in Loop: Header=BB266_283 Depth=1
	v_and_b32_e32 v6, 7, v2
	v_lshrrev_b32_e32 v7, 3, v42
	s_mov_b32 s27, exec_lo
	v_cmpx_gt_u32_e32 8, v42
; %bb.543:                              ;   in Loop: Header=BB266_283 Depth=1
	v_ffbh_u32_e32 v6, v6
	v_min_u32_e32 v42, 32, v6
	v_subrev_nc_u32_e32 v6, 28, v42
	v_lshlrev_b64 v[6:7], v6, v[2:3]
	v_sub_nc_u32_e32 v7, 29, v42
	v_and_b32_e32 v6, 7, v6
; %bb.544:                              ;   in Loop: Header=BB266_283 Depth=1
	s_or_b32 exec_lo, exec_lo, s27
	v_lshlrev_b32_e32 v2, 8, v2
	v_lshl_add_u32 v7, v7, 10, 0x2000
	v_lshlrev_b32_e32 v6, 23, v6
	v_and_or_b32 v2, 0x8000, v2, v7
	v_lshl_or_b32 v6, v2, 16, v6
.LBB266_545:                            ;   in Loop: Header=BB266_283 Depth=1
	s_or_b32 exec_lo, exec_lo, s26
.LBB266_546:                            ;   in Loop: Header=BB266_283 Depth=1
	s_or_b32 exec_lo, exec_lo, s25
.LBB266_547:                            ;   in Loop: Header=BB266_283 Depth=1
	s_or_b32 exec_lo, exec_lo, s24
	v_or_b32_e32 v2, v37, v38
	s_waitcnt vmcnt(0)
	v_fma_mixlo_f16 v7, v34, v37, 0 op_sel:[0,1,0] op_sel_hi:[0,1,0]
	v_or_b32_e32 v36, v35, v36
	v_or_b32_e32 v38, v41, v40
	;; [unrolled: 1-line block ×3, first 2 shown]
	v_fma_mixlo_f16 v2, v34, v2, 0 op_sel_hi:[0,1,0]
	v_fma_mixlo_f16 v37, v34, v35, 0 op_sel:[0,1,0] op_sel_hi:[0,1,0]
	v_lshlrev_b32_e32 v35, 16, v7
	v_fma_mixlo_f16 v7, v34, v36, 0 op_sel_hi:[0,1,0]
	v_fma_mixlo_f16 v38, v34, v38, 0 op_sel_hi:[0,1,0]
	v_and_b32_e32 v36, 0xffff, v2
	v_fma_mixlo_f16 v2, v34, v41, 0 op_sel:[0,1,0] op_sel_hi:[0,1,0]
	v_fma_mixlo_f16 v40, v34, v6, 0 op_sel:[0,1,0] op_sel_hi:[0,1,0]
	v_fma_mixlo_f16 v39, v34, v39, 0 op_sel_hi:[0,1,0]
	v_lshlrev_b32_e32 v37, 16, v37
	v_and_b32_e32 v42, 0xffff, v7
	v_lshlrev_b32_e32 v6, 16, v2
	v_and_b32_e32 v34, 0xffff, v38
	;; [unrolled: 2-line block ×3, first 2 shown]
	v_or_b32_e32 v40, v35, v36
	v_or_b32_e32 v41, v37, v42
	;; [unrolled: 1-line block ×4, first 2 shown]
	s_and_saveexec_b32 s1, s0
	s_cbranch_execz .LBB266_280
; %bb.548:                              ;   in Loop: Header=BB266_283 Depth=1
	v_add_nc_u32_e32 v38, 1, v13
	v_cmp_gt_i32_e64 s0, s31, v13
	v_add_nc_u32_e32 v39, 2, v13
	v_add_nc_u32_e32 v41, 3, v13
	v_cndmask_b32_e64 v40, 0, v42, s0
	v_cmp_gt_i32_e64 s0, s31, v38
	v_add_nc_u32_e32 v38, 4, v13
	v_cndmask_b32_e64 v37, 0, v37, s0
	v_cmp_gt_i32_e64 s0, s31, v39
	;; [unrolled: 3-line block ×5, first 2 shown]
	v_cndmask_b32_e64 v6, 0, v6, s0
	v_cmp_gt_i32_e64 s0, s31, v41
	v_or_b32_e32 v41, v37, v40
	v_or_b32_e32 v40, v35, v36
	;; [unrolled: 1-line block ×3, first 2 shown]
	v_cndmask_b32_e64 v7, 0, v7, s0
	v_cmp_gt_i32_e64 s0, s31, v38
	v_cndmask_b32_e64 v2, 0, v2, s0
	v_or_b32_e32 v38, v2, v7
	s_branch .LBB266_280
.LBB266_549:
	s_or_b32 exec_lo, exec_lo, s18
.LBB266_550:
	s_or_b32 exec_lo, exec_lo, s3
	s_movk_i32 s0, 0x1e0
	v_and_b32_e32 v1, 0x3c0, v0
	v_mad_u32_u24 v4, v12, s0, 0x110
	v_or_b32_e32 v3, 0x60, v0
	s_mov_b32 s0, exec_lo
	s_waitcnt_vscnt null, 0x0
	s_barrier
	buffer_gl0_inv
	v_cmpx_eq_u32_e32 64, v1
	s_cbranch_execz .LBB266_553
; %bb.551:
	v_add_nc_u32_e32 v1, 0xfffffc40, v4
	v_cmp_gt_u32_e32 vcc_lo, 0x78, v3
	v_lshl_add_u32 v2, v14, 2, v1
	ds_write2_b32 v2, v19, v18 offset1:32
	ds_write_b32 v2, v17 offset:256
	s_and_b32 exec_lo, exec_lo, vcc_lo
; %bb.552:
	v_lshl_add_u32 v1, v3, 2, v1
	ds_write_b32 v1, v16
.LBB266_553:
	s_or_b32 exec_lo, exec_lo, s0
	v_lshl_add_u32 v5, v14, 2, v4
	s_mov_b32 s0, exec_lo
	s_waitcnt lgkmcnt(0)
	s_barrier
	buffer_gl0_inv
	v_cmpx_gt_u32_e32 64, v0
	s_cbranch_execz .LBB266_557
; %bb.554:
	v_lshl_or_b32 v1, v0, 2, 0x80
	s_mov_b32 s1, exec_lo
	v_add_nc_u32_e32 v6, v4, v1
	ds_read2st64_b32 v[1:2], v5 offset1:1
	ds_read_b32 v6, v6
	v_cmpx_gt_u32_e32 0x78, v3
	s_cbranch_execz .LBB266_556
; %bb.555:
	v_lshl_add_u32 v7, v3, 2, v4
	ds_read_b32 v7, v7
	s_waitcnt lgkmcnt(0)
	v_add_f32_e32 v16, v16, v7
.LBB266_556:
	s_or_b32 exec_lo, exec_lo, s1
	s_waitcnt lgkmcnt(1)
	v_add_f32_e32 v19, v19, v1
	s_waitcnt lgkmcnt(0)
	v_add_f32_e32 v18, v18, v6
	v_add_f32_e32 v17, v17, v2
.LBB266_557:
	s_or_b32 exec_lo, exec_lo, s0
	v_and_b32_e32 v1, 0x3e0, v0
	s_mov_b32 s0, exec_lo
	s_barrier
	buffer_gl0_inv
	v_cmpx_eq_u32_e32 32, v1
	s_cbranch_execz .LBB266_560
; %bb.558:
	v_lshl_add_u32 v1, v14, 2, 0x110
	v_cmp_gt_u32_e32 vcc_lo, 0x78, v3
	ds_write_b32 v1, v19
	ds_write_b32 v15, v18
	ds_write_b32 v1, v17 offset:256
	s_and_b32 exec_lo, exec_lo, vcc_lo
; %bb.559:
	v_lshl_add_u32 v1, v3, 2, 0x110
	ds_write_b32 v1, v16
.LBB266_560:
	s_or_b32 exec_lo, exec_lo, s0
	v_cmp_gt_u32_e32 vcc_lo, 32, v0
	s_waitcnt lgkmcnt(0)
	s_barrier
	buffer_gl0_inv
	s_and_saveexec_b32 s1, vcc_lo
	s_cbranch_execz .LBB266_564
; %bb.561:
	v_lshl_add_u32 v6, v0, 2, v4
	s_mov_b32 s3, exec_lo
	ds_read_b32 v4, v5
	ds_read2_b32 v[1:2], v6 offset0:32 offset1:64
	v_cmpx_gt_u32_e32 0x78, v3
	s_cbranch_execz .LBB266_563
; %bb.562:
	ds_read_b32 v5, v6 offset:384
	s_waitcnt lgkmcnt(0)
	v_add_f32_e32 v16, v16, v5
.LBB266_563:
	s_or_b32 exec_lo, exec_lo, s3
	s_waitcnt lgkmcnt(1)
	v_add_f32_e32 v19, v19, v4
	s_waitcnt lgkmcnt(0)
	v_add_f32_e32 v18, v18, v1
	v_add_f32_e32 v17, v17, v2
.LBB266_564:
	s_or_b32 exec_lo, exec_lo, s1
	s_barrier
	buffer_gl0_inv
	s_and_saveexec_b32 s0, vcc_lo
	s_cbranch_execz .LBB266_567
; %bb.565:
	s_mul_i32 s0, s2, 0x78
	s_mul_i32 s2, s11, s10
	s_ashr_i32 s1, s0, 31
	v_lshlrev_b32_e32 v0, 1, v0
	s_lshl_b64 s[0:1], s[0:1], 1
	v_cmp_gt_u32_e32 vcc_lo, 0x78, v3
	s_add_u32 s4, s28, s0
	s_addc_u32 s5, s29, s1
	s_ashr_i32 s3, s2, 31
	;;#ASMSTART
	v_cvt_f16_f32 v1, v19;

	;;#ASMEND
	s_lshl_b64 s[0:1], s[2:3], 1
	s_mul_i32 s2, s8, 0x78
	s_add_u32 s4, s4, s0
	s_addc_u32 s5, s5, s1
	s_ashr_i32 s3, s2, 31
	s_lshl_b64 s[0:1], s[2:3], 1
	s_add_u32 s0, s4, s0
	s_addc_u32 s1, s5, s1
	global_store_short v0, v1, s[0:1]
	;;#ASMSTART
	v_cvt_f16_f32 v1, v18;

	;;#ASMEND
	global_store_short v0, v1, s[0:1] offset:64
	;;#ASMSTART
	v_cvt_f16_f32 v1, v17;

	;;#ASMEND
	global_store_short v0, v1, s[0:1] offset:128
	s_and_b32 exec_lo, exec_lo, vcc_lo
	s_cbranch_execz .LBB266_567
; %bb.566:
	v_add_co_u32 v0, s0, s0, v0
	v_add_co_ci_u32_e64 v1, null, s1, 0, s0
	;;#ASMSTART
	v_cvt_f16_f32 v2, v16;

	;;#ASMEND
	global_store_short v[0:1], v2, off offset:192
.LBB266_567:
	s_endpgm
	.section	.rodata,"a",@progbits
	.p2align	6, 0x0
	.amdhsa_kernel _ZN4vllm25paged_attention_v2_kernelIthLi120ELi8ELi128ELNS_18Fp8KVCacheDataTypeE1ELb1ELi512EEEvPfS2_PT_PKS3_PKT0_S9_ifPKiSB_iPKfiiiSD_SD_iiiii
		.amdhsa_group_segment_fixed_size 272
		.amdhsa_private_segment_fixed_size 0
		.amdhsa_kernarg_size 400
		.amdhsa_user_sgpr_count 6
		.amdhsa_user_sgpr_private_segment_buffer 1
		.amdhsa_user_sgpr_dispatch_ptr 0
		.amdhsa_user_sgpr_queue_ptr 0
		.amdhsa_user_sgpr_kernarg_segment_ptr 1
		.amdhsa_user_sgpr_dispatch_id 0
		.amdhsa_user_sgpr_flat_scratch_init 0
		.amdhsa_user_sgpr_private_segment_size 0
		.amdhsa_wavefront_size32 1
		.amdhsa_uses_dynamic_stack 0
		.amdhsa_system_sgpr_private_segment_wavefront_offset 0
		.amdhsa_system_sgpr_workgroup_id_x 1
		.amdhsa_system_sgpr_workgroup_id_y 1
		.amdhsa_system_sgpr_workgroup_id_z 1
		.amdhsa_system_sgpr_workgroup_info 0
		.amdhsa_system_vgpr_workitem_id 0
		.amdhsa_next_free_vgpr 80
		.amdhsa_next_free_sgpr 52
		.amdhsa_reserve_vcc 1
		.amdhsa_reserve_flat_scratch 0
		.amdhsa_float_round_mode_32 0
		.amdhsa_float_round_mode_16_64 0
		.amdhsa_float_denorm_mode_32 3
		.amdhsa_float_denorm_mode_16_64 3
		.amdhsa_dx10_clamp 1
		.amdhsa_ieee_mode 1
		.amdhsa_fp16_overflow 0
		.amdhsa_workgroup_processor_mode 1
		.amdhsa_memory_ordered 1
		.amdhsa_forward_progress 1
		.amdhsa_shared_vgpr_count 0
		.amdhsa_exception_fp_ieee_invalid_op 0
		.amdhsa_exception_fp_denorm_src 0
		.amdhsa_exception_fp_ieee_div_zero 0
		.amdhsa_exception_fp_ieee_overflow 0
		.amdhsa_exception_fp_ieee_underflow 0
		.amdhsa_exception_fp_ieee_inexact 0
		.amdhsa_exception_int_div_zero 0
	.end_amdhsa_kernel
	.section	.text._ZN4vllm25paged_attention_v2_kernelIthLi120ELi8ELi128ELNS_18Fp8KVCacheDataTypeE1ELb1ELi512EEEvPfS2_PT_PKS3_PKT0_S9_ifPKiSB_iPKfiiiSD_SD_iiiii,"axG",@progbits,_ZN4vllm25paged_attention_v2_kernelIthLi120ELi8ELi128ELNS_18Fp8KVCacheDataTypeE1ELb1ELi512EEEvPfS2_PT_PKS3_PKT0_S9_ifPKiSB_iPKfiiiSD_SD_iiiii,comdat
.Lfunc_end266:
	.size	_ZN4vllm25paged_attention_v2_kernelIthLi120ELi8ELi128ELNS_18Fp8KVCacheDataTypeE1ELb1ELi512EEEvPfS2_PT_PKS3_PKT0_S9_ifPKiSB_iPKfiiiSD_SD_iiiii, .Lfunc_end266-_ZN4vllm25paged_attention_v2_kernelIthLi120ELi8ELi128ELNS_18Fp8KVCacheDataTypeE1ELb1ELi512EEEvPfS2_PT_PKS3_PKT0_S9_ifPKiSB_iPKfiiiSD_SD_iiiii
                                        ; -- End function
	.set _ZN4vllm25paged_attention_v2_kernelIthLi120ELi8ELi128ELNS_18Fp8KVCacheDataTypeE1ELb1ELi512EEEvPfS2_PT_PKS3_PKT0_S9_ifPKiSB_iPKfiiiSD_SD_iiiii.num_vgpr, 80
	.set _ZN4vllm25paged_attention_v2_kernelIthLi120ELi8ELi128ELNS_18Fp8KVCacheDataTypeE1ELb1ELi512EEEvPfS2_PT_PKS3_PKT0_S9_ifPKiSB_iPKfiiiSD_SD_iiiii.num_agpr, 0
	.set _ZN4vllm25paged_attention_v2_kernelIthLi120ELi8ELi128ELNS_18Fp8KVCacheDataTypeE1ELb1ELi512EEEvPfS2_PT_PKS3_PKT0_S9_ifPKiSB_iPKfiiiSD_SD_iiiii.numbered_sgpr, 52
	.set _ZN4vllm25paged_attention_v2_kernelIthLi120ELi8ELi128ELNS_18Fp8KVCacheDataTypeE1ELb1ELi512EEEvPfS2_PT_PKS3_PKT0_S9_ifPKiSB_iPKfiiiSD_SD_iiiii.num_named_barrier, 0
	.set _ZN4vllm25paged_attention_v2_kernelIthLi120ELi8ELi128ELNS_18Fp8KVCacheDataTypeE1ELb1ELi512EEEvPfS2_PT_PKS3_PKT0_S9_ifPKiSB_iPKfiiiSD_SD_iiiii.private_seg_size, 0
	.set _ZN4vllm25paged_attention_v2_kernelIthLi120ELi8ELi128ELNS_18Fp8KVCacheDataTypeE1ELb1ELi512EEEvPfS2_PT_PKS3_PKT0_S9_ifPKiSB_iPKfiiiSD_SD_iiiii.uses_vcc, 1
	.set _ZN4vllm25paged_attention_v2_kernelIthLi120ELi8ELi128ELNS_18Fp8KVCacheDataTypeE1ELb1ELi512EEEvPfS2_PT_PKS3_PKT0_S9_ifPKiSB_iPKfiiiSD_SD_iiiii.uses_flat_scratch, 0
	.set _ZN4vllm25paged_attention_v2_kernelIthLi120ELi8ELi128ELNS_18Fp8KVCacheDataTypeE1ELb1ELi512EEEvPfS2_PT_PKS3_PKT0_S9_ifPKiSB_iPKfiiiSD_SD_iiiii.has_dyn_sized_stack, 0
	.set _ZN4vllm25paged_attention_v2_kernelIthLi120ELi8ELi128ELNS_18Fp8KVCacheDataTypeE1ELb1ELi512EEEvPfS2_PT_PKS3_PKT0_S9_ifPKiSB_iPKfiiiSD_SD_iiiii.has_recursion, 0
	.set _ZN4vllm25paged_attention_v2_kernelIthLi120ELi8ELi128ELNS_18Fp8KVCacheDataTypeE1ELb1ELi512EEEvPfS2_PT_PKS3_PKT0_S9_ifPKiSB_iPKfiiiSD_SD_iiiii.has_indirect_call, 0
	.section	.AMDGPU.csdata,"",@progbits
; Kernel info:
; codeLenInByte = 20100
; TotalNumSgprs: 54
; NumVgprs: 80
; ScratchSize: 0
; MemoryBound: 0
; FloatMode: 240
; IeeeMode: 1
; LDSByteSize: 272 bytes/workgroup (compile time only)
; SGPRBlocks: 0
; VGPRBlocks: 9
; NumSGPRsForWavesPerEU: 54
; NumVGPRsForWavesPerEU: 80
; Occupancy: 12
; WaveLimiterHint : 1
; COMPUTE_PGM_RSRC2:SCRATCH_EN: 0
; COMPUTE_PGM_RSRC2:USER_SGPR: 6
; COMPUTE_PGM_RSRC2:TRAP_HANDLER: 0
; COMPUTE_PGM_RSRC2:TGID_X_EN: 1
; COMPUTE_PGM_RSRC2:TGID_Y_EN: 1
; COMPUTE_PGM_RSRC2:TGID_Z_EN: 1
; COMPUTE_PGM_RSRC2:TIDIG_COMP_CNT: 0
	.section	.text._ZN4vllm25paged_attention_v2_kernelIthLi128ELi8ELi128ELNS_18Fp8KVCacheDataTypeE1ELb1ELi512EEEvPfS2_PT_PKS3_PKT0_S9_ifPKiSB_iPKfiiiSD_SD_iiiii,"axG",@progbits,_ZN4vllm25paged_attention_v2_kernelIthLi128ELi8ELi128ELNS_18Fp8KVCacheDataTypeE1ELb1ELi512EEEvPfS2_PT_PKS3_PKT0_S9_ifPKiSB_iPKfiiiSD_SD_iiiii,comdat
	.protected	_ZN4vllm25paged_attention_v2_kernelIthLi128ELi8ELi128ELNS_18Fp8KVCacheDataTypeE1ELb1ELi512EEEvPfS2_PT_PKS3_PKT0_S9_ifPKiSB_iPKfiiiSD_SD_iiiii ; -- Begin function _ZN4vllm25paged_attention_v2_kernelIthLi128ELi8ELi128ELNS_18Fp8KVCacheDataTypeE1ELb1ELi512EEEvPfS2_PT_PKS3_PKT0_S9_ifPKiSB_iPKfiiiSD_SD_iiiii
	.globl	_ZN4vllm25paged_attention_v2_kernelIthLi128ELi8ELi128ELNS_18Fp8KVCacheDataTypeE1ELb1ELi512EEEvPfS2_PT_PKS3_PKT0_S9_ifPKiSB_iPKfiiiSD_SD_iiiii
	.p2align	8
	.type	_ZN4vllm25paged_attention_v2_kernelIthLi128ELi8ELi128ELNS_18Fp8KVCacheDataTypeE1ELb1ELi512EEEvPfS2_PT_PKS3_PKT0_S9_ifPKiSB_iPKfiiiSD_SD_iiiii,@function
_ZN4vllm25paged_attention_v2_kernelIthLi128ELi8ELi128ELNS_18Fp8KVCacheDataTypeE1ELb1ELi512EEEvPfS2_PT_PKS3_PKT0_S9_ifPKiSB_iPKfiiiSD_SD_iiiii: ; @_ZN4vllm25paged_attention_v2_kernelIthLi128ELi8ELi128ELNS_18Fp8KVCacheDataTypeE1ELb1ELi512EEEvPfS2_PT_PKS3_PKT0_S9_ifPKiSB_iPKfiiiSD_SD_iiiii
; %bb.0:
	s_load_dwordx2 s[0:1], s[4:5], 0x40
	s_mov_b32 s30, s7
	s_ashr_i32 s31, s7, 31
	s_lshl_b64 s[2:3], s[30:31], 2
	s_waitcnt lgkmcnt(0)
	s_add_u32 s0, s0, s2
	s_addc_u32 s1, s1, s3
	s_lshl_b32 s33, s8, 9
	s_load_dword s31, s[0:1], 0x0
	s_waitcnt lgkmcnt(0)
	s_cmp_ge_i32 s33, s31
	s_cbranch_scc1 .LBB267_574
; %bb.1:
	s_clause 0x1
	s_load_dword s9, s[4:5], 0x90
	s_load_dwordx2 s[40:41], s[4:5], 0x30
	s_mov_b32 s43, 0
	s_waitcnt lgkmcnt(0)
	s_abs_i32 s3, s9
	s_abs_i32 s0, s40
	v_cvt_f32_u32_e32 v1, s0
	s_sub_i32 s2, 0, s0
	v_rcp_iflag_f32_e32 v1, v1
	v_mul_f32_e32 v1, 0x4f7ffffe, v1
	v_cvt_u32_f32_e32 v1, v1
	v_readfirstlane_b32 s1, v1
	s_mul_i32 s2, s2, s1
	s_mul_hi_u32 s2, s1, s2
	s_add_i32 s1, s1, s2
	s_xor_b32 s2, s9, s40
	s_mul_hi_u32 s1, s3, s1
	s_ashr_i32 s2, s2, 31
	s_mul_i32 s7, s1, s0
	s_sub_i32 s3, s3, s7
	s_add_i32 s7, s1, 1
	s_sub_i32 s10, s3, s0
	s_cmp_ge_u32 s3, s0
	s_cselect_b32 s1, s7, s1
	s_cselect_b32 s3, s10, s3
	s_add_i32 s7, s1, 1
	s_cmp_ge_u32 s3, s0
	s_cselect_b32 s0, s7, s1
	s_xor_b32 s0, s0, s2
	s_sub_i32 s10, s0, s2
	s_load_dwordx2 s[0:1], s[4:5], 0x50
	s_abs_i32 s2, s10
	v_cvt_f32_u32_e32 v1, s2
	s_sub_i32 s3, 0, s2
	v_rcp_iflag_f32_e32 v1, v1
	v_mul_f32_e32 v1, 0x4f7ffffe, v1
	v_cvt_u32_f32_e32 v1, v1
	v_readfirstlane_b32 s7, v1
	s_mul_i32 s3, s3, s7
	s_mul_hi_u32 s11, s7, s3
	s_abs_i32 s3, s6
	s_add_i32 s7, s7, s11
	s_waitcnt lgkmcnt(0)
	s_cmp_eq_u64 s[0:1], 0
	s_mul_hi_u32 s12, s3, s7
	s_cbranch_scc1 .LBB267_3
; %bb.2:
	s_ashr_i32 s7, s6, 31
	s_lshl_b64 s[14:15], s[6:7], 2
	s_add_u32 s0, s0, s14
	s_addc_u32 s1, s1, s15
	s_load_dword s43, s[0:1], 0x0
.LBB267_3:
	s_load_dwordx4 s[16:19], s[4:5], 0x58
	v_and_b32_e32 v3, 3, v0
	v_cmp_gt_u32_e64 s0, 64, v0
	s_ashr_i32 s1, s6, 31
	s_ashr_i32 s7, s10, 31
	s_lshl_b32 s10, s6, 7
	s_and_saveexec_b32 s13, s0
	s_cbranch_execz .LBB267_5
; %bb.4:
	s_load_dwordx2 s[14:15], s[4:5], 0x18
	s_waitcnt lgkmcnt(0)
	s_mul_i32 s20, s16, s30
	v_lshlrev_b32_e32 v1, 2, v0
	s_ashr_i32 s21, s20, 31
	v_and_b32_e32 v2, 0x3fc, v0
	s_lshl_b64 s[20:21], s[20:21], 1
	v_lshl_add_u32 v2, v3, 6, v2
	s_add_u32 s16, s14, s20
	s_addc_u32 s19, s15, s21
	s_ashr_i32 s11, s10, 31
	s_lshl_b64 s[14:15], s[10:11], 1
	s_add_u32 s14, s16, s14
	s_addc_u32 s15, s19, s15
	global_load_dword v1, v1, s[14:15]
	s_waitcnt vmcnt(0)
	ds_write_b32 v2, v1
.LBB267_5:
	s_or_b32 exec_lo, exec_lo, s13
	s_load_dwordx4 s[20:23], s[4:5], 0x78
	s_mul_i32 s11, s12, s2
	s_xor_b32 s1, s1, s7
	s_sub_i32 s3, s3, s11
	s_add_i32 s7, s12, 1
	s_sub_i32 s11, s3, s2
	s_cmp_ge_u32 s3, s2
	s_mov_b32 s13, -1
	s_cselect_b32 s7, s7, s12
	s_cselect_b32 s3, s11, s3
	s_add_i32 s11, s7, 1
	s_cmp_ge_u32 s3, s2
                                        ; implicit-def: $sgpr19
	s_cselect_b32 s2, s11, s7
	s_load_dword s7, s[4:5], 0x88
	s_xor_b32 s2, s2, s1
	s_add_i32 s12, s31, -1
	s_sub_i32 s2, s2, s1
	s_abs_i32 s3, s12
	s_waitcnt lgkmcnt(0)
	s_abs_i32 s11, s23
	s_barrier
	v_cvt_f32_u32_e32 v1, s11
	s_sub_i32 s1, 0, s11
	buffer_gl0_inv
	v_rcp_iflag_f32_e32 v1, v1
	v_mul_f32_e32 v1, 0x4f7ffffe, v1
	v_cvt_u32_f32_e32 v1, v1
	v_readfirstlane_b32 s16, v1
	s_mul_i32 s1, s1, s16
	s_mul_hi_u32 s1, s16, s1
	s_add_i32 s16, s16, s1
	s_cmp_lt_i32 s7, 0
	s_mul_hi_u32 s1, s3, s16
	s_cbranch_scc0 .LBB267_7
; %bb.6:
	s_mul_i32 s13, s20, s40
	s_add_i32 s13, s2, s13
	s_mul_i32 s13, s13, s7
	s_sub_i32 s19, 1, s13
	s_mov_b32 s13, 0
.LBB267_7:
	s_load_dwordx2 s[34:35], s[4:5], 0x38
	s_ashr_i32 s36, s12, 31
	s_andn2_b32 vcc_lo, exec_lo, s13
	s_ashr_i32 s23, s23, 31
	s_cbranch_vccnz .LBB267_9
; %bb.8:
	s_mul_i32 s12, s9, s20
	s_add_i32 s12, s12, s6
	s_mul_i32 s7, s12, s7
	s_add_i32 s19, s7, 1
.LBB267_9:
	s_clause 0x5
	s_load_dword s20, s[4:5], 0x48
	s_load_dwordx2 s[38:39], s[4:5], 0x28
	s_load_dwordx4 s[24:27], s[4:5], 0x0
	s_load_dwordx2 s[28:29], s[4:5], 0x10
	s_load_dword s7, s[4:5], 0x98
	s_load_dwordx4 s[12:15], s[4:5], 0x68
	s_xor_b32 s42, s36, s23
	s_mul_i32 s36, s1, s11
	s_add_i32 s40, s1, 1
	s_sub_i32 s3, s3, s36
	v_lshrrev_b32_e32 v12, 5, v0
	v_mov_b32_e32 v14, 0xff7fffff
	v_mbcnt_lo_u32_b32 v11, -1, 0
	s_mul_i32 s18, s2, s18
	v_lshl_add_u32 v13, v12, 3, s33
	s_waitcnt lgkmcnt(0)
	s_mul_i32 s36, s20, s30
	s_sub_i32 s20, s3, s11
	s_ashr_i32 s37, s36, 31
	s_cmp_ge_u32 s3, s11
	s_cselect_b32 s1, s40, s1
	s_cselect_b32 s3, s20, s3
	s_add_i32 s20, s1, 1
	s_cmp_ge_u32 s3, s11
	s_cselect_b32 s1, s20, s1
	s_add_i32 s3, s31, 7
	s_lshl_b32 s44, s8, 6
	s_ashr_i32 s20, s3, 31
	v_or_b32_e32 v1, s44, v12
	s_lshr_b32 s20, s20, 29
	s_add_i32 s3, s3, s20
	s_add_i32 s20, s44, 64
	s_ashr_i32 s40, s3, 3
	s_xor_b32 s3, s1, s42
	s_min_i32 s20, s20, s40
	v_ashrrev_i32_e32 v2, 31, v1
	v_cmp_gt_i32_e64 s1, s20, v1
	s_sub_i32 s42, s3, s42
	s_and_saveexec_b32 s45, s1
	s_cbranch_execz .LBB267_277
; %bb.10:
	s_load_dwordx2 s[2:3], s[4:5], 0x20
	s_sub_i32 s5, s42, s21
	s_ashr_i32 s4, s18, 31
	v_bfe_u32 v15, v0, 2, 3
	v_cmp_eq_u32_e32 vcc_lo, 0, v3
	v_lshlrev_b32_e32 v7, 1, v3
	v_lshlrev_b32_e32 v16, 6, v3
	v_mov_b32_e32 v4, 0
	v_lshlrev_b32_e32 v3, 2, v15
	v_subrev_nc_u32_e32 v9, s31, v15
	v_lshl_add_u32 v17, v12, 3, s33
	v_mov_b32_e32 v18, 0xff7fffff
	v_mov_b32_e32 v19, 0x80
	v_lshl_or_b32 v3, v12, 5, v3
	v_add_nc_u32_e32 v23, 1, v9
	v_mov_b32_e32 v20, 0x7f
	v_mov_b32_e32 v21, 7
	;; [unrolled: 1-line block ×3, first 2 shown]
	v_add_nc_u32_e32 v24, 0x120, v3
	v_mov_b32_e32 v14, 0xff7fffff
	s_waitcnt lgkmcnt(0)
	s_add_u32 s47, s2, s18
	s_addc_u32 s3, s3, s4
	s_abs_i32 s46, s22
	s_lshl_b64 s[48:49], s[36:37], 2
	v_cvt_f32_u32_e32 v5, s46
	s_sub_i32 s4, 0, s46
	v_cmp_neq_f32_e64 s2, s43, 0
	v_mov_b32_e32 v26, v1
	v_rcp_iflag_f32_e32 v8, v5
	v_lshlrev_b64 v[5:6], 2, v[1:2]
	v_mul_f32_e32 v8, 0x4f7ffffe, v8
	v_cvt_u32_f32_e32 v10, v8
	v_lshlrev_b32_e32 v8, 4, v15
	v_mul_lo_u32 v3, s4, v10
	v_add_co_u32 v8, s4, s47, v8
	v_add_co_ci_u32_e64 v9, null, s3, 0, s4
	s_add_u32 s3, s34, s48
	s_addc_u32 s4, s35, s49
	v_add_co_u32 v5, s3, s3, v5
	v_mul_hi_u32 v3, v10, v3
	v_add_co_ci_u32_e64 v6, null, s4, v6, s3
	v_add_co_u32 v7, s3, v8, v7
	v_add_co_ci_u32_e64 v8, null, 0, v9, s3
	s_mov_b32 s47, 0
	v_add_nc_u32_e32 v25, v10, v3
	s_mov_b32 s48, s17
	s_branch .LBB267_13
.LBB267_11:                             ;   in Loop: Header=BB267_13 Depth=1
	s_or_b32 exec_lo, exec_lo, s49
.LBB267_12:                             ;   in Loop: Header=BB267_13 Depth=1
	s_or_b32 exec_lo, exec_lo, s4
	v_add_nc_u32_e32 v26, 4, v26
	v_add_co_u32 v5, s4, v5, 16
	v_add_co_ci_u32_e64 v6, null, 0, v6, s4
	v_cmp_le_i32_e64 s3, s20, v26
	v_add_nc_u32_e32 v17, 32, v17
	v_add_nc_u32_e32 v24, 0x80, v24
	s_or_b32 s47, s3, s47
	s_andn2_b32 exec_lo, exec_lo, s47
	s_cbranch_execz .LBB267_276
.LBB267_13:                             ; =>This Inner Loop Header: Depth=1
	v_sub_nc_u32_e32 v3, 0, v17
	v_max_i32_e32 v3, v17, v3
	s_waitcnt lgkmcnt(0)
	v_mul_hi_u32 v9, v3, s16
	v_mul_lo_u32 v10, v9, s11
	v_sub_nc_u32_e32 v3, v3, v10
	v_add_nc_u32_e32 v10, 1, v9
	v_subrev_nc_u32_e32 v27, s11, v3
	v_cmp_le_u32_e64 s3, s11, v3
	v_cndmask_b32_e64 v9, v9, v10, s3
	v_cndmask_b32_e64 v3, v3, v27, s3
	v_ashrrev_i32_e32 v10, 31, v17
	v_add_nc_u32_e32 v27, 1, v9
	v_cmp_le_u32_e64 s3, s11, v3
	v_xor_b32_e32 v10, s23, v10
	v_cndmask_b32_e64 v3, v9, v27, s3
	v_xor_b32_e32 v3, v3, v10
	v_sub_nc_u32_e32 v3, v3, v10
	v_add_nc_u32_e32 v9, s19, v3
	v_cmp_ge_i32_e64 s4, s5, v3
	v_sub_nc_u32_e32 v10, 0, v9
	v_max_i32_e32 v10, v9, v10
	v_ashrrev_i32_e32 v9, 31, v9
	v_mul_hi_u32 v27, v10, v25
	v_mul_lo_u32 v27, v27, s46
	v_sub_nc_u32_e32 v10, v10, v27
	v_subrev_nc_u32_e32 v27, s46, v10
	v_cmp_le_u32_e64 s3, s46, v10
	v_cndmask_b32_e64 v10, v10, v27, s3
	v_subrev_nc_u32_e32 v27, s46, v10
	v_cmp_le_u32_e64 s3, s46, v10
	v_cndmask_b32_e64 v10, v10, v27, s3
	v_xor_b32_e32 v10, v10, v9
	v_sub_nc_u32_e32 v9, v10, v9
	v_cmp_ne_u32_e64 s3, 0, v9
	s_and_b32 s3, s3, s4
	s_and_saveexec_b32 s4, s3
	s_xor_b32 s3, exec_lo, s4
	s_cbranch_execz .LBB267_17
; %bb.14:                               ;   in Loop: Header=BB267_13 Depth=1
	s_and_saveexec_b32 s4, vcc_lo
; %bb.15:                               ;   in Loop: Header=BB267_13 Depth=1
	ds_write_b32 v24, v18
; %bb.16:                               ;   in Loop: Header=BB267_13 Depth=1
	s_or_b32 exec_lo, exec_lo, s4
.LBB267_17:                             ;   in Loop: Header=BB267_13 Depth=1
	s_andn2_saveexec_b32 s4, s3
	s_cbranch_execz .LBB267_12
; %bb.18:                               ;   in Loop: Header=BB267_13 Depth=1
	global_load_dword v3, v[5:6], off
	v_mov_b32_e32 v28, 0
	global_load_dword v27, v28, s[12:13]
	s_waitcnt vmcnt(1)
	v_mad_i64_i32 v[9:10], null, v3, s48, v[7:8]
	global_load_ushort v29, v[9:10], off
	s_waitcnt vmcnt(0)
	v_and_b32_e32 v3, 0xffff, v29
	v_cmp_ne_u16_sdwa s3, v29, v4 src0_sel:BYTE_0 src1_sel:DWORD
	v_mov_b32_e32 v29, 0
	s_and_saveexec_b32 s49, s3
	s_cbranch_execz .LBB267_26
; %bb.19:                               ;   in Loop: Header=BB267_13 Depth=1
	v_cmp_ne_u16_sdwa s3, v3, v19 src0_sel:BYTE_0 src1_sel:DWORD
	v_mov_b32_e32 v29, 0x8000
	s_and_saveexec_b32 s50, s3
	s_cbranch_execz .LBB267_25
; %bb.20:                               ;   in Loop: Header=BB267_13 Depth=1
	v_and_b32_e32 v31, 0x7f, v3
	v_mov_b32_e32 v29, 0x7c01
	s_mov_b32 s51, exec_lo
	v_cmpx_ne_u32_e32 0x7f, v31
	s_cbranch_execz .LBB267_24
; %bb.21:                               ;   in Loop: Header=BB267_13 Depth=1
	v_and_b32_e32 v29, 7, v3
	v_lshrrev_b32_e32 v30, 3, v31
	s_mov_b32 s52, exec_lo
	v_cmpx_gt_u32_e32 8, v31
; %bb.22:                               ;   in Loop: Header=BB267_13 Depth=1
	v_ffbh_u32_e32 v29, v29
	v_min_u32_e32 v31, 32, v29
	v_subrev_nc_u32_e32 v29, 28, v31
	v_lshlrev_b64 v[29:30], v29, v[3:4]
	v_sub_nc_u32_e32 v30, 29, v31
	v_and_b32_e32 v29, 7, v29
; %bb.23:                               ;   in Loop: Header=BB267_13 Depth=1
	s_or_b32 exec_lo, exec_lo, s52
	v_lshlrev_b32_e32 v31, 8, v3
	v_lshl_add_u32 v30, v30, 10, 0x2000
	v_lshlrev_b32_e32 v29, 7, v29
	v_and_b32_e32 v31, 0x8000, v31
	v_and_b32_e32 v30, 0xfc00, v30
	v_or3_b32 v29, v31, v30, v29
.LBB267_24:                             ;   in Loop: Header=BB267_13 Depth=1
	s_or_b32 exec_lo, exec_lo, s51
.LBB267_25:                             ;   in Loop: Header=BB267_13 Depth=1
	s_or_b32 exec_lo, exec_lo, s50
.LBB267_26:                             ;   in Loop: Header=BB267_13 Depth=1
	s_or_b32 exec_lo, exec_lo, s49
	v_lshrrev_b16 v3, 8, v3
	s_mov_b32 s49, exec_lo
	v_cmpx_ne_u16_e32 0, v3
	s_cbranch_execz .LBB267_34
; %bb.27:                               ;   in Loop: Header=BB267_13 Depth=1
	v_bfrev_b32_e32 v28, 1
	s_mov_b32 s50, exec_lo
	v_cmpx_ne_u16_e32 0x80, v3
	s_cbranch_execz .LBB267_33
; %bb.28:                               ;   in Loop: Header=BB267_13 Depth=1
	v_and_b32_sdwa v31, v3, v20 dst_sel:DWORD dst_unused:UNUSED_PAD src0_sel:WORD_0 src1_sel:DWORD
	v_mov_b32_e32 v28, 0x7c010000
	s_mov_b32 s51, exec_lo
	v_cmpx_ne_u32_e32 0x7f, v31
	s_cbranch_execz .LBB267_32
; %bb.29:                               ;   in Loop: Header=BB267_13 Depth=1
	v_and_b32_sdwa v28, v3, v21 dst_sel:DWORD dst_unused:UNUSED_PAD src0_sel:WORD_0 src1_sel:DWORD
	v_lshrrev_b32_e32 v30, 3, v31
	s_mov_b32 s52, exec_lo
	v_cmpx_gt_u32_e32 8, v31
; %bb.30:                               ;   in Loop: Header=BB267_13 Depth=1
	v_ffbh_u32_e32 v28, v28
	v_min_u32_e32 v28, 32, v28
	v_subrev_nc_u32_e32 v30, 28, v28
	v_lshlrev_b64 v[31:32], v30, v[3:4]
	v_sub_nc_u32_e32 v30, 29, v28
	v_and_b32_e32 v28, 7, v31
; %bb.31:                               ;   in Loop: Header=BB267_13 Depth=1
	s_or_b32 exec_lo, exec_lo, s52
	v_lshlrev_b32_sdwa v3, v22, v3 dst_sel:DWORD dst_unused:UNUSED_PAD src0_sel:DWORD src1_sel:WORD_0
	v_lshl_add_u32 v30, v30, 10, 0x2000
	v_lshlrev_b32_e32 v28, 23, v28
	v_and_or_b32 v3, 0x8000, v3, v30
	v_lshl_or_b32 v28, v3, 16, v28
.LBB267_32:                             ;   in Loop: Header=BB267_13 Depth=1
	s_or_b32 exec_lo, exec_lo, s51
.LBB267_33:                             ;   in Loop: Header=BB267_13 Depth=1
	s_or_b32 exec_lo, exec_lo, s50
.LBB267_34:                             ;   in Loop: Header=BB267_13 Depth=1
	s_or_b32 exec_lo, exec_lo, s49
	global_load_ushort v31, v[9:10], off offset:8
	v_mov_b32_e32 v30, 0
	s_waitcnt vmcnt(0)
	v_and_b32_e32 v3, 0xffff, v31
	v_cmp_ne_u16_sdwa s3, v31, v4 src0_sel:BYTE_0 src1_sel:DWORD
	v_mov_b32_e32 v31, 0
	s_and_saveexec_b32 s49, s3
	s_cbranch_execz .LBB267_42
; %bb.35:                               ;   in Loop: Header=BB267_13 Depth=1
	v_cmp_ne_u16_sdwa s3, v3, v19 src0_sel:BYTE_0 src1_sel:DWORD
	v_mov_b32_e32 v31, 0x8000
	s_and_saveexec_b32 s50, s3
	s_cbranch_execz .LBB267_41
; %bb.36:                               ;   in Loop: Header=BB267_13 Depth=1
	v_and_b32_e32 v33, 0x7f, v3
	v_mov_b32_e32 v31, 0x7c01
	s_mov_b32 s51, exec_lo
	v_cmpx_ne_u32_e32 0x7f, v33
	s_cbranch_execz .LBB267_40
; %bb.37:                               ;   in Loop: Header=BB267_13 Depth=1
	v_and_b32_e32 v31, 7, v3
	v_lshrrev_b32_e32 v32, 3, v33
	s_mov_b32 s52, exec_lo
	v_cmpx_gt_u32_e32 8, v33
; %bb.38:                               ;   in Loop: Header=BB267_13 Depth=1
	v_ffbh_u32_e32 v31, v31
	v_min_u32_e32 v33, 32, v31
	v_subrev_nc_u32_e32 v31, 28, v33
	v_lshlrev_b64 v[31:32], v31, v[3:4]
	v_sub_nc_u32_e32 v32, 29, v33
	v_and_b32_e32 v31, 7, v31
; %bb.39:                               ;   in Loop: Header=BB267_13 Depth=1
	s_or_b32 exec_lo, exec_lo, s52
	v_lshlrev_b32_e32 v33, 8, v3
	v_lshl_add_u32 v32, v32, 10, 0x2000
	v_lshlrev_b32_e32 v31, 7, v31
	v_and_b32_e32 v33, 0x8000, v33
	v_and_b32_e32 v32, 0xfc00, v32
	v_or3_b32 v31, v33, v32, v31
.LBB267_40:                             ;   in Loop: Header=BB267_13 Depth=1
	s_or_b32 exec_lo, exec_lo, s51
.LBB267_41:                             ;   in Loop: Header=BB267_13 Depth=1
	s_or_b32 exec_lo, exec_lo, s50
.LBB267_42:                             ;   in Loop: Header=BB267_13 Depth=1
	s_or_b32 exec_lo, exec_lo, s49
	v_lshrrev_b16 v3, 8, v3
	s_mov_b32 s49, exec_lo
	v_cmpx_ne_u16_e32 0, v3
	s_cbranch_execz .LBB267_50
; %bb.43:                               ;   in Loop: Header=BB267_13 Depth=1
	v_bfrev_b32_e32 v30, 1
	s_mov_b32 s50, exec_lo
	v_cmpx_ne_u16_e32 0x80, v3
	s_cbranch_execz .LBB267_49
; %bb.44:                               ;   in Loop: Header=BB267_13 Depth=1
	v_and_b32_sdwa v33, v3, v20 dst_sel:DWORD dst_unused:UNUSED_PAD src0_sel:WORD_0 src1_sel:DWORD
	v_mov_b32_e32 v30, 0x7c010000
	s_mov_b32 s51, exec_lo
	v_cmpx_ne_u32_e32 0x7f, v33
	s_cbranch_execz .LBB267_48
; %bb.45:                               ;   in Loop: Header=BB267_13 Depth=1
	v_and_b32_sdwa v30, v3, v21 dst_sel:DWORD dst_unused:UNUSED_PAD src0_sel:WORD_0 src1_sel:DWORD
	v_lshrrev_b32_e32 v32, 3, v33
	s_mov_b32 s52, exec_lo
	v_cmpx_gt_u32_e32 8, v33
; %bb.46:                               ;   in Loop: Header=BB267_13 Depth=1
	v_ffbh_u32_e32 v30, v30
	v_min_u32_e32 v30, 32, v30
	v_subrev_nc_u32_e32 v32, 28, v30
	v_lshlrev_b64 v[33:34], v32, v[3:4]
	v_sub_nc_u32_e32 v32, 29, v30
	v_and_b32_e32 v30, 7, v33
; %bb.47:                               ;   in Loop: Header=BB267_13 Depth=1
	s_or_b32 exec_lo, exec_lo, s52
	v_lshlrev_b32_sdwa v3, v22, v3 dst_sel:DWORD dst_unused:UNUSED_PAD src0_sel:DWORD src1_sel:WORD_0
	v_lshl_add_u32 v32, v32, 10, 0x2000
	v_lshlrev_b32_e32 v30, 23, v30
	v_and_or_b32 v3, 0x8000, v3, v32
	v_lshl_or_b32 v30, v3, 16, v30
.LBB267_48:                             ;   in Loop: Header=BB267_13 Depth=1
	s_or_b32 exec_lo, exec_lo, s51
.LBB267_49:                             ;   in Loop: Header=BB267_13 Depth=1
	s_or_b32 exec_lo, exec_lo, s50
.LBB267_50:                             ;   in Loop: Header=BB267_13 Depth=1
	s_or_b32 exec_lo, exec_lo, s49
	global_load_ushort v33, v[9:10], off offset:128
	v_mov_b32_e32 v32, 0
	s_waitcnt vmcnt(0)
	v_and_b32_e32 v3, 0xffff, v33
	v_cmp_ne_u16_sdwa s3, v33, v4 src0_sel:BYTE_0 src1_sel:DWORD
	v_mov_b32_e32 v33, 0
	s_and_saveexec_b32 s49, s3
	s_cbranch_execz .LBB267_58
; %bb.51:                               ;   in Loop: Header=BB267_13 Depth=1
	v_cmp_ne_u16_sdwa s3, v3, v19 src0_sel:BYTE_0 src1_sel:DWORD
	v_mov_b32_e32 v33, 0x8000
	s_and_saveexec_b32 s50, s3
	s_cbranch_execz .LBB267_57
; %bb.52:                               ;   in Loop: Header=BB267_13 Depth=1
	v_and_b32_e32 v35, 0x7f, v3
	v_mov_b32_e32 v33, 0x7c01
	s_mov_b32 s51, exec_lo
	v_cmpx_ne_u32_e32 0x7f, v35
	s_cbranch_execz .LBB267_56
; %bb.53:                               ;   in Loop: Header=BB267_13 Depth=1
	v_and_b32_e32 v33, 7, v3
	v_lshrrev_b32_e32 v34, 3, v35
	s_mov_b32 s52, exec_lo
	v_cmpx_gt_u32_e32 8, v35
; %bb.54:                               ;   in Loop: Header=BB267_13 Depth=1
	v_ffbh_u32_e32 v33, v33
	v_min_u32_e32 v35, 32, v33
	v_subrev_nc_u32_e32 v33, 28, v35
	v_lshlrev_b64 v[33:34], v33, v[3:4]
	v_sub_nc_u32_e32 v34, 29, v35
	v_and_b32_e32 v33, 7, v33
; %bb.55:                               ;   in Loop: Header=BB267_13 Depth=1
	s_or_b32 exec_lo, exec_lo, s52
	v_lshlrev_b32_e32 v35, 8, v3
	v_lshl_add_u32 v34, v34, 10, 0x2000
	v_lshlrev_b32_e32 v33, 7, v33
	v_and_b32_e32 v35, 0x8000, v35
	v_and_b32_e32 v34, 0xfc00, v34
	v_or3_b32 v33, v35, v34, v33
.LBB267_56:                             ;   in Loop: Header=BB267_13 Depth=1
	s_or_b32 exec_lo, exec_lo, s51
.LBB267_57:                             ;   in Loop: Header=BB267_13 Depth=1
	s_or_b32 exec_lo, exec_lo, s50
.LBB267_58:                             ;   in Loop: Header=BB267_13 Depth=1
	s_or_b32 exec_lo, exec_lo, s49
	v_lshrrev_b16 v3, 8, v3
	s_mov_b32 s49, exec_lo
	v_cmpx_ne_u16_e32 0, v3
	s_cbranch_execz .LBB267_66
; %bb.59:                               ;   in Loop: Header=BB267_13 Depth=1
	v_bfrev_b32_e32 v32, 1
	s_mov_b32 s50, exec_lo
	v_cmpx_ne_u16_e32 0x80, v3
	s_cbranch_execz .LBB267_65
; %bb.60:                               ;   in Loop: Header=BB267_13 Depth=1
	v_and_b32_sdwa v35, v3, v20 dst_sel:DWORD dst_unused:UNUSED_PAD src0_sel:WORD_0 src1_sel:DWORD
	v_mov_b32_e32 v32, 0x7c010000
	s_mov_b32 s51, exec_lo
	v_cmpx_ne_u32_e32 0x7f, v35
	s_cbranch_execz .LBB267_64
; %bb.61:                               ;   in Loop: Header=BB267_13 Depth=1
	v_and_b32_sdwa v32, v3, v21 dst_sel:DWORD dst_unused:UNUSED_PAD src0_sel:WORD_0 src1_sel:DWORD
	v_lshrrev_b32_e32 v34, 3, v35
	s_mov_b32 s52, exec_lo
	v_cmpx_gt_u32_e32 8, v35
; %bb.62:                               ;   in Loop: Header=BB267_13 Depth=1
	v_ffbh_u32_e32 v32, v32
	v_min_u32_e32 v32, 32, v32
	v_subrev_nc_u32_e32 v34, 28, v32
	v_lshlrev_b64 v[35:36], v34, v[3:4]
	v_sub_nc_u32_e32 v34, 29, v32
	v_and_b32_e32 v32, 7, v35
; %bb.63:                               ;   in Loop: Header=BB267_13 Depth=1
	s_or_b32 exec_lo, exec_lo, s52
	v_lshlrev_b32_sdwa v3, v22, v3 dst_sel:DWORD dst_unused:UNUSED_PAD src0_sel:DWORD src1_sel:WORD_0
	v_lshl_add_u32 v34, v34, 10, 0x2000
	v_lshlrev_b32_e32 v32, 23, v32
	v_and_or_b32 v3, 0x8000, v3, v34
	v_lshl_or_b32 v32, v3, 16, v32
.LBB267_64:                             ;   in Loop: Header=BB267_13 Depth=1
	s_or_b32 exec_lo, exec_lo, s51
.LBB267_65:                             ;   in Loop: Header=BB267_13 Depth=1
	s_or_b32 exec_lo, exec_lo, s50
.LBB267_66:                             ;   in Loop: Header=BB267_13 Depth=1
	s_or_b32 exec_lo, exec_lo, s49
	global_load_ushort v35, v[9:10], off offset:136
	v_mov_b32_e32 v34, 0
	s_waitcnt vmcnt(0)
	v_and_b32_e32 v3, 0xffff, v35
	v_cmp_ne_u16_sdwa s3, v35, v4 src0_sel:BYTE_0 src1_sel:DWORD
	v_mov_b32_e32 v35, 0
	s_and_saveexec_b32 s49, s3
	s_cbranch_execz .LBB267_74
; %bb.67:                               ;   in Loop: Header=BB267_13 Depth=1
	v_cmp_ne_u16_sdwa s3, v3, v19 src0_sel:BYTE_0 src1_sel:DWORD
	v_mov_b32_e32 v35, 0x8000
	s_and_saveexec_b32 s50, s3
	s_cbranch_execz .LBB267_73
; %bb.68:                               ;   in Loop: Header=BB267_13 Depth=1
	v_and_b32_e32 v37, 0x7f, v3
	v_mov_b32_e32 v35, 0x7c01
	s_mov_b32 s51, exec_lo
	v_cmpx_ne_u32_e32 0x7f, v37
	s_cbranch_execz .LBB267_72
; %bb.69:                               ;   in Loop: Header=BB267_13 Depth=1
	v_and_b32_e32 v35, 7, v3
	v_lshrrev_b32_e32 v36, 3, v37
	s_mov_b32 s52, exec_lo
	v_cmpx_gt_u32_e32 8, v37
; %bb.70:                               ;   in Loop: Header=BB267_13 Depth=1
	v_ffbh_u32_e32 v35, v35
	v_min_u32_e32 v37, 32, v35
	v_subrev_nc_u32_e32 v35, 28, v37
	v_lshlrev_b64 v[35:36], v35, v[3:4]
	v_sub_nc_u32_e32 v36, 29, v37
	v_and_b32_e32 v35, 7, v35
; %bb.71:                               ;   in Loop: Header=BB267_13 Depth=1
	s_or_b32 exec_lo, exec_lo, s52
	v_lshlrev_b32_e32 v37, 8, v3
	v_lshl_add_u32 v36, v36, 10, 0x2000
	v_lshlrev_b32_e32 v35, 7, v35
	v_and_b32_e32 v37, 0x8000, v37
	v_and_b32_e32 v36, 0xfc00, v36
	v_or3_b32 v35, v37, v36, v35
.LBB267_72:                             ;   in Loop: Header=BB267_13 Depth=1
	s_or_b32 exec_lo, exec_lo, s51
.LBB267_73:                             ;   in Loop: Header=BB267_13 Depth=1
	s_or_b32 exec_lo, exec_lo, s50
.LBB267_74:                             ;   in Loop: Header=BB267_13 Depth=1
	s_or_b32 exec_lo, exec_lo, s49
	v_lshrrev_b16 v3, 8, v3
	s_mov_b32 s49, exec_lo
	v_cmpx_ne_u16_e32 0, v3
	s_cbranch_execz .LBB267_82
; %bb.75:                               ;   in Loop: Header=BB267_13 Depth=1
	v_bfrev_b32_e32 v34, 1
	s_mov_b32 s50, exec_lo
	v_cmpx_ne_u16_e32 0x80, v3
	s_cbranch_execz .LBB267_81
; %bb.76:                               ;   in Loop: Header=BB267_13 Depth=1
	v_and_b32_sdwa v37, v3, v20 dst_sel:DWORD dst_unused:UNUSED_PAD src0_sel:WORD_0 src1_sel:DWORD
	v_mov_b32_e32 v34, 0x7c010000
	s_mov_b32 s51, exec_lo
	v_cmpx_ne_u32_e32 0x7f, v37
	s_cbranch_execz .LBB267_80
; %bb.77:                               ;   in Loop: Header=BB267_13 Depth=1
	v_and_b32_sdwa v34, v3, v21 dst_sel:DWORD dst_unused:UNUSED_PAD src0_sel:WORD_0 src1_sel:DWORD
	v_lshrrev_b32_e32 v36, 3, v37
	s_mov_b32 s52, exec_lo
	v_cmpx_gt_u32_e32 8, v37
; %bb.78:                               ;   in Loop: Header=BB267_13 Depth=1
	v_ffbh_u32_e32 v34, v34
	v_min_u32_e32 v34, 32, v34
	v_subrev_nc_u32_e32 v36, 28, v34
	v_lshlrev_b64 v[37:38], v36, v[3:4]
	v_sub_nc_u32_e32 v36, 29, v34
	v_and_b32_e32 v34, 7, v37
; %bb.79:                               ;   in Loop: Header=BB267_13 Depth=1
	s_or_b32 exec_lo, exec_lo, s52
	v_lshlrev_b32_sdwa v3, v22, v3 dst_sel:DWORD dst_unused:UNUSED_PAD src0_sel:DWORD src1_sel:WORD_0
	v_lshl_add_u32 v36, v36, 10, 0x2000
	v_lshlrev_b32_e32 v34, 23, v34
	v_and_or_b32 v3, 0x8000, v3, v36
	v_lshl_or_b32 v34, v3, 16, v34
.LBB267_80:                             ;   in Loop: Header=BB267_13 Depth=1
	s_or_b32 exec_lo, exec_lo, s51
.LBB267_81:                             ;   in Loop: Header=BB267_13 Depth=1
	s_or_b32 exec_lo, exec_lo, s50
.LBB267_82:                             ;   in Loop: Header=BB267_13 Depth=1
	s_or_b32 exec_lo, exec_lo, s49
	global_load_ushort v37, v[9:10], off offset:256
	v_mov_b32_e32 v36, 0
	s_waitcnt vmcnt(0)
	v_and_b32_e32 v3, 0xffff, v37
	v_cmp_ne_u16_sdwa s3, v37, v4 src0_sel:BYTE_0 src1_sel:DWORD
	v_mov_b32_e32 v37, 0
	s_and_saveexec_b32 s49, s3
	s_cbranch_execz .LBB267_90
; %bb.83:                               ;   in Loop: Header=BB267_13 Depth=1
	v_cmp_ne_u16_sdwa s3, v3, v19 src0_sel:BYTE_0 src1_sel:DWORD
	v_mov_b32_e32 v37, 0x8000
	s_and_saveexec_b32 s50, s3
	s_cbranch_execz .LBB267_89
; %bb.84:                               ;   in Loop: Header=BB267_13 Depth=1
	v_and_b32_e32 v39, 0x7f, v3
	v_mov_b32_e32 v37, 0x7c01
	s_mov_b32 s51, exec_lo
	v_cmpx_ne_u32_e32 0x7f, v39
	s_cbranch_execz .LBB267_88
; %bb.85:                               ;   in Loop: Header=BB267_13 Depth=1
	v_and_b32_e32 v37, 7, v3
	v_lshrrev_b32_e32 v38, 3, v39
	s_mov_b32 s52, exec_lo
	v_cmpx_gt_u32_e32 8, v39
; %bb.86:                               ;   in Loop: Header=BB267_13 Depth=1
	v_ffbh_u32_e32 v37, v37
	v_min_u32_e32 v39, 32, v37
	v_subrev_nc_u32_e32 v37, 28, v39
	v_lshlrev_b64 v[37:38], v37, v[3:4]
	v_sub_nc_u32_e32 v38, 29, v39
	v_and_b32_e32 v37, 7, v37
; %bb.87:                               ;   in Loop: Header=BB267_13 Depth=1
	s_or_b32 exec_lo, exec_lo, s52
	v_lshlrev_b32_e32 v39, 8, v3
	v_lshl_add_u32 v38, v38, 10, 0x2000
	v_lshlrev_b32_e32 v37, 7, v37
	v_and_b32_e32 v39, 0x8000, v39
	v_and_b32_e32 v38, 0xfc00, v38
	v_or3_b32 v37, v39, v38, v37
.LBB267_88:                             ;   in Loop: Header=BB267_13 Depth=1
	s_or_b32 exec_lo, exec_lo, s51
.LBB267_89:                             ;   in Loop: Header=BB267_13 Depth=1
	s_or_b32 exec_lo, exec_lo, s50
.LBB267_90:                             ;   in Loop: Header=BB267_13 Depth=1
	s_or_b32 exec_lo, exec_lo, s49
	v_lshrrev_b16 v3, 8, v3
	s_mov_b32 s49, exec_lo
	v_cmpx_ne_u16_e32 0, v3
	s_cbranch_execz .LBB267_98
; %bb.91:                               ;   in Loop: Header=BB267_13 Depth=1
	v_bfrev_b32_e32 v36, 1
	s_mov_b32 s50, exec_lo
	v_cmpx_ne_u16_e32 0x80, v3
	s_cbranch_execz .LBB267_97
; %bb.92:                               ;   in Loop: Header=BB267_13 Depth=1
	v_and_b32_sdwa v39, v3, v20 dst_sel:DWORD dst_unused:UNUSED_PAD src0_sel:WORD_0 src1_sel:DWORD
	v_mov_b32_e32 v36, 0x7c010000
	s_mov_b32 s51, exec_lo
	v_cmpx_ne_u32_e32 0x7f, v39
	s_cbranch_execz .LBB267_96
; %bb.93:                               ;   in Loop: Header=BB267_13 Depth=1
	v_and_b32_sdwa v36, v3, v21 dst_sel:DWORD dst_unused:UNUSED_PAD src0_sel:WORD_0 src1_sel:DWORD
	v_lshrrev_b32_e32 v38, 3, v39
	s_mov_b32 s52, exec_lo
	v_cmpx_gt_u32_e32 8, v39
; %bb.94:                               ;   in Loop: Header=BB267_13 Depth=1
	v_ffbh_u32_e32 v36, v36
	v_min_u32_e32 v36, 32, v36
	v_subrev_nc_u32_e32 v38, 28, v36
	v_lshlrev_b64 v[39:40], v38, v[3:4]
	v_sub_nc_u32_e32 v38, 29, v36
	v_and_b32_e32 v36, 7, v39
; %bb.95:                               ;   in Loop: Header=BB267_13 Depth=1
	s_or_b32 exec_lo, exec_lo, s52
	v_lshlrev_b32_sdwa v3, v22, v3 dst_sel:DWORD dst_unused:UNUSED_PAD src0_sel:DWORD src1_sel:WORD_0
	v_lshl_add_u32 v38, v38, 10, 0x2000
	v_lshlrev_b32_e32 v36, 23, v36
	v_and_or_b32 v3, 0x8000, v3, v38
	v_lshl_or_b32 v36, v3, 16, v36
.LBB267_96:                             ;   in Loop: Header=BB267_13 Depth=1
	s_or_b32 exec_lo, exec_lo, s51
.LBB267_97:                             ;   in Loop: Header=BB267_13 Depth=1
	s_or_b32 exec_lo, exec_lo, s50
.LBB267_98:                             ;   in Loop: Header=BB267_13 Depth=1
	s_or_b32 exec_lo, exec_lo, s49
	global_load_ushort v39, v[9:10], off offset:264
	v_mov_b32_e32 v38, 0
	s_waitcnt vmcnt(0)
	v_and_b32_e32 v3, 0xffff, v39
	v_cmp_ne_u16_sdwa s3, v39, v4 src0_sel:BYTE_0 src1_sel:DWORD
	v_mov_b32_e32 v39, 0
	s_and_saveexec_b32 s49, s3
	s_cbranch_execz .LBB267_106
; %bb.99:                               ;   in Loop: Header=BB267_13 Depth=1
	v_cmp_ne_u16_sdwa s3, v3, v19 src0_sel:BYTE_0 src1_sel:DWORD
	v_mov_b32_e32 v39, 0x8000
	s_and_saveexec_b32 s50, s3
	s_cbranch_execz .LBB267_105
; %bb.100:                              ;   in Loop: Header=BB267_13 Depth=1
	v_and_b32_e32 v41, 0x7f, v3
	v_mov_b32_e32 v39, 0x7c01
	s_mov_b32 s51, exec_lo
	v_cmpx_ne_u32_e32 0x7f, v41
	s_cbranch_execz .LBB267_104
; %bb.101:                              ;   in Loop: Header=BB267_13 Depth=1
	v_and_b32_e32 v39, 7, v3
	v_lshrrev_b32_e32 v40, 3, v41
	s_mov_b32 s52, exec_lo
	v_cmpx_gt_u32_e32 8, v41
; %bb.102:                              ;   in Loop: Header=BB267_13 Depth=1
	v_ffbh_u32_e32 v39, v39
	v_min_u32_e32 v41, 32, v39
	v_subrev_nc_u32_e32 v39, 28, v41
	v_lshlrev_b64 v[39:40], v39, v[3:4]
	v_sub_nc_u32_e32 v40, 29, v41
	v_and_b32_e32 v39, 7, v39
; %bb.103:                              ;   in Loop: Header=BB267_13 Depth=1
	s_or_b32 exec_lo, exec_lo, s52
	v_lshlrev_b32_e32 v41, 8, v3
	v_lshl_add_u32 v40, v40, 10, 0x2000
	v_lshlrev_b32_e32 v39, 7, v39
	v_and_b32_e32 v41, 0x8000, v41
	v_and_b32_e32 v40, 0xfc00, v40
	v_or3_b32 v39, v41, v40, v39
.LBB267_104:                            ;   in Loop: Header=BB267_13 Depth=1
	s_or_b32 exec_lo, exec_lo, s51
.LBB267_105:                            ;   in Loop: Header=BB267_13 Depth=1
	s_or_b32 exec_lo, exec_lo, s50
.LBB267_106:                            ;   in Loop: Header=BB267_13 Depth=1
	s_or_b32 exec_lo, exec_lo, s49
	v_lshrrev_b16 v3, 8, v3
	s_mov_b32 s49, exec_lo
	v_cmpx_ne_u16_e32 0, v3
	s_cbranch_execz .LBB267_114
; %bb.107:                              ;   in Loop: Header=BB267_13 Depth=1
	v_bfrev_b32_e32 v38, 1
	s_mov_b32 s50, exec_lo
	v_cmpx_ne_u16_e32 0x80, v3
	s_cbranch_execz .LBB267_113
; %bb.108:                              ;   in Loop: Header=BB267_13 Depth=1
	v_and_b32_sdwa v41, v3, v20 dst_sel:DWORD dst_unused:UNUSED_PAD src0_sel:WORD_0 src1_sel:DWORD
	v_mov_b32_e32 v38, 0x7c010000
	s_mov_b32 s51, exec_lo
	v_cmpx_ne_u32_e32 0x7f, v41
	s_cbranch_execz .LBB267_112
; %bb.109:                              ;   in Loop: Header=BB267_13 Depth=1
	v_and_b32_sdwa v38, v3, v21 dst_sel:DWORD dst_unused:UNUSED_PAD src0_sel:WORD_0 src1_sel:DWORD
	v_lshrrev_b32_e32 v40, 3, v41
	s_mov_b32 s52, exec_lo
	v_cmpx_gt_u32_e32 8, v41
; %bb.110:                              ;   in Loop: Header=BB267_13 Depth=1
	v_ffbh_u32_e32 v38, v38
	v_min_u32_e32 v38, 32, v38
	v_subrev_nc_u32_e32 v40, 28, v38
	v_lshlrev_b64 v[41:42], v40, v[3:4]
	v_sub_nc_u32_e32 v40, 29, v38
	v_and_b32_e32 v38, 7, v41
; %bb.111:                              ;   in Loop: Header=BB267_13 Depth=1
	s_or_b32 exec_lo, exec_lo, s52
	v_lshlrev_b32_sdwa v3, v22, v3 dst_sel:DWORD dst_unused:UNUSED_PAD src0_sel:DWORD src1_sel:WORD_0
	v_lshl_add_u32 v40, v40, 10, 0x2000
	v_lshlrev_b32_e32 v38, 23, v38
	v_and_or_b32 v3, 0x8000, v3, v40
	v_lshl_or_b32 v38, v3, 16, v38
.LBB267_112:                            ;   in Loop: Header=BB267_13 Depth=1
	s_or_b32 exec_lo, exec_lo, s51
.LBB267_113:                            ;   in Loop: Header=BB267_13 Depth=1
	s_or_b32 exec_lo, exec_lo, s50
.LBB267_114:                            ;   in Loop: Header=BB267_13 Depth=1
	s_or_b32 exec_lo, exec_lo, s49
	global_load_ushort v41, v[9:10], off offset:384
	v_mov_b32_e32 v40, 0
	s_waitcnt vmcnt(0)
	v_and_b32_e32 v3, 0xffff, v41
	v_cmp_ne_u16_sdwa s3, v41, v4 src0_sel:BYTE_0 src1_sel:DWORD
	v_mov_b32_e32 v41, 0
	s_and_saveexec_b32 s49, s3
	s_cbranch_execz .LBB267_122
; %bb.115:                              ;   in Loop: Header=BB267_13 Depth=1
	v_cmp_ne_u16_sdwa s3, v3, v19 src0_sel:BYTE_0 src1_sel:DWORD
	v_mov_b32_e32 v41, 0x8000
	s_and_saveexec_b32 s50, s3
	s_cbranch_execz .LBB267_121
; %bb.116:                              ;   in Loop: Header=BB267_13 Depth=1
	v_and_b32_e32 v43, 0x7f, v3
	v_mov_b32_e32 v41, 0x7c01
	s_mov_b32 s51, exec_lo
	v_cmpx_ne_u32_e32 0x7f, v43
	s_cbranch_execz .LBB267_120
; %bb.117:                              ;   in Loop: Header=BB267_13 Depth=1
	v_and_b32_e32 v41, 7, v3
	v_lshrrev_b32_e32 v42, 3, v43
	s_mov_b32 s52, exec_lo
	v_cmpx_gt_u32_e32 8, v43
; %bb.118:                              ;   in Loop: Header=BB267_13 Depth=1
	v_ffbh_u32_e32 v41, v41
	v_min_u32_e32 v43, 32, v41
	v_subrev_nc_u32_e32 v41, 28, v43
	v_lshlrev_b64 v[41:42], v41, v[3:4]
	v_sub_nc_u32_e32 v42, 29, v43
	v_and_b32_e32 v41, 7, v41
; %bb.119:                              ;   in Loop: Header=BB267_13 Depth=1
	s_or_b32 exec_lo, exec_lo, s52
	v_lshlrev_b32_e32 v43, 8, v3
	v_lshl_add_u32 v42, v42, 10, 0x2000
	v_lshlrev_b32_e32 v41, 7, v41
	v_and_b32_e32 v43, 0x8000, v43
	v_and_b32_e32 v42, 0xfc00, v42
	v_or3_b32 v41, v43, v42, v41
.LBB267_120:                            ;   in Loop: Header=BB267_13 Depth=1
	s_or_b32 exec_lo, exec_lo, s51
.LBB267_121:                            ;   in Loop: Header=BB267_13 Depth=1
	s_or_b32 exec_lo, exec_lo, s50
.LBB267_122:                            ;   in Loop: Header=BB267_13 Depth=1
	s_or_b32 exec_lo, exec_lo, s49
	v_lshrrev_b16 v3, 8, v3
	s_mov_b32 s49, exec_lo
	v_cmpx_ne_u16_e32 0, v3
	s_cbranch_execz .LBB267_130
; %bb.123:                              ;   in Loop: Header=BB267_13 Depth=1
	v_bfrev_b32_e32 v40, 1
	s_mov_b32 s50, exec_lo
	v_cmpx_ne_u16_e32 0x80, v3
	s_cbranch_execz .LBB267_129
; %bb.124:                              ;   in Loop: Header=BB267_13 Depth=1
	v_and_b32_sdwa v43, v3, v20 dst_sel:DWORD dst_unused:UNUSED_PAD src0_sel:WORD_0 src1_sel:DWORD
	v_mov_b32_e32 v40, 0x7c010000
	s_mov_b32 s51, exec_lo
	v_cmpx_ne_u32_e32 0x7f, v43
	s_cbranch_execz .LBB267_128
; %bb.125:                              ;   in Loop: Header=BB267_13 Depth=1
	v_and_b32_sdwa v40, v3, v21 dst_sel:DWORD dst_unused:UNUSED_PAD src0_sel:WORD_0 src1_sel:DWORD
	v_lshrrev_b32_e32 v42, 3, v43
	s_mov_b32 s52, exec_lo
	v_cmpx_gt_u32_e32 8, v43
; %bb.126:                              ;   in Loop: Header=BB267_13 Depth=1
	v_ffbh_u32_e32 v40, v40
	v_min_u32_e32 v40, 32, v40
	v_subrev_nc_u32_e32 v42, 28, v40
	v_lshlrev_b64 v[43:44], v42, v[3:4]
	v_sub_nc_u32_e32 v42, 29, v40
	v_and_b32_e32 v40, 7, v43
; %bb.127:                              ;   in Loop: Header=BB267_13 Depth=1
	s_or_b32 exec_lo, exec_lo, s52
	v_lshlrev_b32_sdwa v3, v22, v3 dst_sel:DWORD dst_unused:UNUSED_PAD src0_sel:DWORD src1_sel:WORD_0
	v_lshl_add_u32 v42, v42, 10, 0x2000
	v_lshlrev_b32_e32 v40, 23, v40
	v_and_or_b32 v3, 0x8000, v3, v42
	v_lshl_or_b32 v40, v3, 16, v40
.LBB267_128:                            ;   in Loop: Header=BB267_13 Depth=1
	s_or_b32 exec_lo, exec_lo, s51
.LBB267_129:                            ;   in Loop: Header=BB267_13 Depth=1
	s_or_b32 exec_lo, exec_lo, s50
.LBB267_130:                            ;   in Loop: Header=BB267_13 Depth=1
	s_or_b32 exec_lo, exec_lo, s49
	global_load_ushort v43, v[9:10], off offset:392
	v_mov_b32_e32 v42, 0
	s_waitcnt vmcnt(0)
	v_and_b32_e32 v3, 0xffff, v43
	v_cmp_ne_u16_sdwa s3, v43, v4 src0_sel:BYTE_0 src1_sel:DWORD
	v_mov_b32_e32 v43, 0
	s_and_saveexec_b32 s49, s3
	s_cbranch_execz .LBB267_138
; %bb.131:                              ;   in Loop: Header=BB267_13 Depth=1
	v_cmp_ne_u16_sdwa s3, v3, v19 src0_sel:BYTE_0 src1_sel:DWORD
	v_mov_b32_e32 v43, 0x8000
	s_and_saveexec_b32 s50, s3
	s_cbranch_execz .LBB267_137
; %bb.132:                              ;   in Loop: Header=BB267_13 Depth=1
	v_and_b32_e32 v45, 0x7f, v3
	v_mov_b32_e32 v43, 0x7c01
	s_mov_b32 s51, exec_lo
	v_cmpx_ne_u32_e32 0x7f, v45
	s_cbranch_execz .LBB267_136
; %bb.133:                              ;   in Loop: Header=BB267_13 Depth=1
	v_and_b32_e32 v43, 7, v3
	v_lshrrev_b32_e32 v44, 3, v45
	s_mov_b32 s52, exec_lo
	v_cmpx_gt_u32_e32 8, v45
; %bb.134:                              ;   in Loop: Header=BB267_13 Depth=1
	v_ffbh_u32_e32 v43, v43
	v_min_u32_e32 v45, 32, v43
	v_subrev_nc_u32_e32 v43, 28, v45
	v_lshlrev_b64 v[43:44], v43, v[3:4]
	v_sub_nc_u32_e32 v44, 29, v45
	v_and_b32_e32 v43, 7, v43
; %bb.135:                              ;   in Loop: Header=BB267_13 Depth=1
	s_or_b32 exec_lo, exec_lo, s52
	v_lshlrev_b32_e32 v45, 8, v3
	v_lshl_add_u32 v44, v44, 10, 0x2000
	v_lshlrev_b32_e32 v43, 7, v43
	v_and_b32_e32 v45, 0x8000, v45
	v_and_b32_e32 v44, 0xfc00, v44
	v_or3_b32 v43, v45, v44, v43
.LBB267_136:                            ;   in Loop: Header=BB267_13 Depth=1
	s_or_b32 exec_lo, exec_lo, s51
.LBB267_137:                            ;   in Loop: Header=BB267_13 Depth=1
	s_or_b32 exec_lo, exec_lo, s50
.LBB267_138:                            ;   in Loop: Header=BB267_13 Depth=1
	s_or_b32 exec_lo, exec_lo, s49
	v_lshrrev_b16 v3, 8, v3
	s_mov_b32 s49, exec_lo
	v_cmpx_ne_u16_e32 0, v3
	s_cbranch_execz .LBB267_146
; %bb.139:                              ;   in Loop: Header=BB267_13 Depth=1
	v_bfrev_b32_e32 v42, 1
	s_mov_b32 s50, exec_lo
	v_cmpx_ne_u16_e32 0x80, v3
	s_cbranch_execz .LBB267_145
; %bb.140:                              ;   in Loop: Header=BB267_13 Depth=1
	v_and_b32_sdwa v45, v3, v20 dst_sel:DWORD dst_unused:UNUSED_PAD src0_sel:WORD_0 src1_sel:DWORD
	v_mov_b32_e32 v42, 0x7c010000
	s_mov_b32 s51, exec_lo
	v_cmpx_ne_u32_e32 0x7f, v45
	s_cbranch_execz .LBB267_144
; %bb.141:                              ;   in Loop: Header=BB267_13 Depth=1
	v_and_b32_sdwa v42, v3, v21 dst_sel:DWORD dst_unused:UNUSED_PAD src0_sel:WORD_0 src1_sel:DWORD
	v_lshrrev_b32_e32 v44, 3, v45
	s_mov_b32 s52, exec_lo
	v_cmpx_gt_u32_e32 8, v45
; %bb.142:                              ;   in Loop: Header=BB267_13 Depth=1
	v_ffbh_u32_e32 v42, v42
	v_min_u32_e32 v42, 32, v42
	v_subrev_nc_u32_e32 v44, 28, v42
	v_lshlrev_b64 v[45:46], v44, v[3:4]
	v_sub_nc_u32_e32 v44, 29, v42
	v_and_b32_e32 v42, 7, v45
; %bb.143:                              ;   in Loop: Header=BB267_13 Depth=1
	s_or_b32 exec_lo, exec_lo, s52
	v_lshlrev_b32_sdwa v3, v22, v3 dst_sel:DWORD dst_unused:UNUSED_PAD src0_sel:DWORD src1_sel:WORD_0
	v_lshl_add_u32 v44, v44, 10, 0x2000
	v_lshlrev_b32_e32 v42, 23, v42
	v_and_or_b32 v3, 0x8000, v3, v44
	v_lshl_or_b32 v42, v3, 16, v42
.LBB267_144:                            ;   in Loop: Header=BB267_13 Depth=1
	s_or_b32 exec_lo, exec_lo, s51
.LBB267_145:                            ;   in Loop: Header=BB267_13 Depth=1
	s_or_b32 exec_lo, exec_lo, s50
.LBB267_146:                            ;   in Loop: Header=BB267_13 Depth=1
	s_or_b32 exec_lo, exec_lo, s49
	global_load_ushort v45, v[9:10], off offset:512
	v_mov_b32_e32 v44, 0
	s_waitcnt vmcnt(0)
	v_and_b32_e32 v3, 0xffff, v45
	v_cmp_ne_u16_sdwa s3, v45, v4 src0_sel:BYTE_0 src1_sel:DWORD
	v_mov_b32_e32 v45, 0
	s_and_saveexec_b32 s49, s3
	s_cbranch_execz .LBB267_154
; %bb.147:                              ;   in Loop: Header=BB267_13 Depth=1
	v_cmp_ne_u16_sdwa s3, v3, v19 src0_sel:BYTE_0 src1_sel:DWORD
	v_mov_b32_e32 v45, 0x8000
	s_and_saveexec_b32 s50, s3
	s_cbranch_execz .LBB267_153
; %bb.148:                              ;   in Loop: Header=BB267_13 Depth=1
	v_and_b32_e32 v47, 0x7f, v3
	v_mov_b32_e32 v45, 0x7c01
	s_mov_b32 s51, exec_lo
	v_cmpx_ne_u32_e32 0x7f, v47
	s_cbranch_execz .LBB267_152
; %bb.149:                              ;   in Loop: Header=BB267_13 Depth=1
	v_and_b32_e32 v45, 7, v3
	v_lshrrev_b32_e32 v46, 3, v47
	s_mov_b32 s52, exec_lo
	v_cmpx_gt_u32_e32 8, v47
; %bb.150:                              ;   in Loop: Header=BB267_13 Depth=1
	v_ffbh_u32_e32 v45, v45
	v_min_u32_e32 v47, 32, v45
	v_subrev_nc_u32_e32 v45, 28, v47
	v_lshlrev_b64 v[45:46], v45, v[3:4]
	v_sub_nc_u32_e32 v46, 29, v47
	v_and_b32_e32 v45, 7, v45
; %bb.151:                              ;   in Loop: Header=BB267_13 Depth=1
	s_or_b32 exec_lo, exec_lo, s52
	v_lshlrev_b32_e32 v47, 8, v3
	v_lshl_add_u32 v46, v46, 10, 0x2000
	v_lshlrev_b32_e32 v45, 7, v45
	v_and_b32_e32 v47, 0x8000, v47
	v_and_b32_e32 v46, 0xfc00, v46
	v_or3_b32 v45, v47, v46, v45
.LBB267_152:                            ;   in Loop: Header=BB267_13 Depth=1
	s_or_b32 exec_lo, exec_lo, s51
.LBB267_153:                            ;   in Loop: Header=BB267_13 Depth=1
	s_or_b32 exec_lo, exec_lo, s50
.LBB267_154:                            ;   in Loop: Header=BB267_13 Depth=1
	s_or_b32 exec_lo, exec_lo, s49
	v_lshrrev_b16 v3, 8, v3
	s_mov_b32 s49, exec_lo
	v_cmpx_ne_u16_e32 0, v3
	s_cbranch_execz .LBB267_162
; %bb.155:                              ;   in Loop: Header=BB267_13 Depth=1
	v_bfrev_b32_e32 v44, 1
	s_mov_b32 s50, exec_lo
	v_cmpx_ne_u16_e32 0x80, v3
	s_cbranch_execz .LBB267_161
; %bb.156:                              ;   in Loop: Header=BB267_13 Depth=1
	v_and_b32_sdwa v47, v3, v20 dst_sel:DWORD dst_unused:UNUSED_PAD src0_sel:WORD_0 src1_sel:DWORD
	v_mov_b32_e32 v44, 0x7c010000
	s_mov_b32 s51, exec_lo
	v_cmpx_ne_u32_e32 0x7f, v47
	s_cbranch_execz .LBB267_160
; %bb.157:                              ;   in Loop: Header=BB267_13 Depth=1
	v_and_b32_sdwa v44, v3, v21 dst_sel:DWORD dst_unused:UNUSED_PAD src0_sel:WORD_0 src1_sel:DWORD
	v_lshrrev_b32_e32 v46, 3, v47
	s_mov_b32 s52, exec_lo
	v_cmpx_gt_u32_e32 8, v47
; %bb.158:                              ;   in Loop: Header=BB267_13 Depth=1
	v_ffbh_u32_e32 v44, v44
	v_min_u32_e32 v44, 32, v44
	v_subrev_nc_u32_e32 v46, 28, v44
	v_lshlrev_b64 v[47:48], v46, v[3:4]
	v_sub_nc_u32_e32 v46, 29, v44
	v_and_b32_e32 v44, 7, v47
; %bb.159:                              ;   in Loop: Header=BB267_13 Depth=1
	s_or_b32 exec_lo, exec_lo, s52
	v_lshlrev_b32_sdwa v3, v22, v3 dst_sel:DWORD dst_unused:UNUSED_PAD src0_sel:DWORD src1_sel:WORD_0
	v_lshl_add_u32 v46, v46, 10, 0x2000
	v_lshlrev_b32_e32 v44, 23, v44
	v_and_or_b32 v3, 0x8000, v3, v46
	v_lshl_or_b32 v44, v3, 16, v44
.LBB267_160:                            ;   in Loop: Header=BB267_13 Depth=1
	s_or_b32 exec_lo, exec_lo, s51
.LBB267_161:                            ;   in Loop: Header=BB267_13 Depth=1
	s_or_b32 exec_lo, exec_lo, s50
.LBB267_162:                            ;   in Loop: Header=BB267_13 Depth=1
	s_or_b32 exec_lo, exec_lo, s49
	global_load_ushort v47, v[9:10], off offset:520
	v_mov_b32_e32 v46, 0
	s_waitcnt vmcnt(0)
	v_and_b32_e32 v3, 0xffff, v47
	v_cmp_ne_u16_sdwa s3, v47, v4 src0_sel:BYTE_0 src1_sel:DWORD
	v_mov_b32_e32 v47, 0
	s_and_saveexec_b32 s49, s3
	s_cbranch_execz .LBB267_170
; %bb.163:                              ;   in Loop: Header=BB267_13 Depth=1
	v_cmp_ne_u16_sdwa s3, v3, v19 src0_sel:BYTE_0 src1_sel:DWORD
	v_mov_b32_e32 v47, 0x8000
	s_and_saveexec_b32 s50, s3
	s_cbranch_execz .LBB267_169
; %bb.164:                              ;   in Loop: Header=BB267_13 Depth=1
	v_and_b32_e32 v49, 0x7f, v3
	v_mov_b32_e32 v47, 0x7c01
	s_mov_b32 s51, exec_lo
	v_cmpx_ne_u32_e32 0x7f, v49
	s_cbranch_execz .LBB267_168
; %bb.165:                              ;   in Loop: Header=BB267_13 Depth=1
	v_and_b32_e32 v47, 7, v3
	v_lshrrev_b32_e32 v48, 3, v49
	s_mov_b32 s52, exec_lo
	v_cmpx_gt_u32_e32 8, v49
; %bb.166:                              ;   in Loop: Header=BB267_13 Depth=1
	v_ffbh_u32_e32 v47, v47
	v_min_u32_e32 v49, 32, v47
	v_subrev_nc_u32_e32 v47, 28, v49
	v_lshlrev_b64 v[47:48], v47, v[3:4]
	v_sub_nc_u32_e32 v48, 29, v49
	v_and_b32_e32 v47, 7, v47
; %bb.167:                              ;   in Loop: Header=BB267_13 Depth=1
	s_or_b32 exec_lo, exec_lo, s52
	v_lshlrev_b32_e32 v49, 8, v3
	v_lshl_add_u32 v48, v48, 10, 0x2000
	v_lshlrev_b32_e32 v47, 7, v47
	v_and_b32_e32 v49, 0x8000, v49
	v_and_b32_e32 v48, 0xfc00, v48
	v_or3_b32 v47, v49, v48, v47
.LBB267_168:                            ;   in Loop: Header=BB267_13 Depth=1
	s_or_b32 exec_lo, exec_lo, s51
.LBB267_169:                            ;   in Loop: Header=BB267_13 Depth=1
	s_or_b32 exec_lo, exec_lo, s50
.LBB267_170:                            ;   in Loop: Header=BB267_13 Depth=1
	s_or_b32 exec_lo, exec_lo, s49
	v_lshrrev_b16 v3, 8, v3
	s_mov_b32 s49, exec_lo
	v_cmpx_ne_u16_e32 0, v3
	s_cbranch_execz .LBB267_178
; %bb.171:                              ;   in Loop: Header=BB267_13 Depth=1
	v_bfrev_b32_e32 v46, 1
	s_mov_b32 s50, exec_lo
	v_cmpx_ne_u16_e32 0x80, v3
	s_cbranch_execz .LBB267_177
; %bb.172:                              ;   in Loop: Header=BB267_13 Depth=1
	v_and_b32_sdwa v49, v3, v20 dst_sel:DWORD dst_unused:UNUSED_PAD src0_sel:WORD_0 src1_sel:DWORD
	v_mov_b32_e32 v46, 0x7c010000
	s_mov_b32 s51, exec_lo
	v_cmpx_ne_u32_e32 0x7f, v49
	s_cbranch_execz .LBB267_176
; %bb.173:                              ;   in Loop: Header=BB267_13 Depth=1
	v_and_b32_sdwa v46, v3, v21 dst_sel:DWORD dst_unused:UNUSED_PAD src0_sel:WORD_0 src1_sel:DWORD
	v_lshrrev_b32_e32 v48, 3, v49
	s_mov_b32 s52, exec_lo
	v_cmpx_gt_u32_e32 8, v49
; %bb.174:                              ;   in Loop: Header=BB267_13 Depth=1
	v_ffbh_u32_e32 v46, v46
	v_min_u32_e32 v46, 32, v46
	v_subrev_nc_u32_e32 v48, 28, v46
	v_lshlrev_b64 v[49:50], v48, v[3:4]
	v_sub_nc_u32_e32 v48, 29, v46
	v_and_b32_e32 v46, 7, v49
; %bb.175:                              ;   in Loop: Header=BB267_13 Depth=1
	s_or_b32 exec_lo, exec_lo, s52
	v_lshlrev_b32_sdwa v3, v22, v3 dst_sel:DWORD dst_unused:UNUSED_PAD src0_sel:DWORD src1_sel:WORD_0
	v_lshl_add_u32 v48, v48, 10, 0x2000
	v_lshlrev_b32_e32 v46, 23, v46
	v_and_or_b32 v3, 0x8000, v3, v48
	v_lshl_or_b32 v46, v3, 16, v46
.LBB267_176:                            ;   in Loop: Header=BB267_13 Depth=1
	s_or_b32 exec_lo, exec_lo, s51
.LBB267_177:                            ;   in Loop: Header=BB267_13 Depth=1
	s_or_b32 exec_lo, exec_lo, s50
.LBB267_178:                            ;   in Loop: Header=BB267_13 Depth=1
	s_or_b32 exec_lo, exec_lo, s49
	global_load_ushort v49, v[9:10], off offset:640
	v_mov_b32_e32 v48, 0
	s_waitcnt vmcnt(0)
	v_and_b32_e32 v3, 0xffff, v49
	v_cmp_ne_u16_sdwa s3, v49, v4 src0_sel:BYTE_0 src1_sel:DWORD
	v_mov_b32_e32 v49, 0
	s_and_saveexec_b32 s49, s3
	s_cbranch_execz .LBB267_186
; %bb.179:                              ;   in Loop: Header=BB267_13 Depth=1
	v_cmp_ne_u16_sdwa s3, v3, v19 src0_sel:BYTE_0 src1_sel:DWORD
	v_mov_b32_e32 v49, 0x8000
	s_and_saveexec_b32 s50, s3
	s_cbranch_execz .LBB267_185
; %bb.180:                              ;   in Loop: Header=BB267_13 Depth=1
	v_and_b32_e32 v51, 0x7f, v3
	v_mov_b32_e32 v49, 0x7c01
	s_mov_b32 s51, exec_lo
	v_cmpx_ne_u32_e32 0x7f, v51
	s_cbranch_execz .LBB267_184
; %bb.181:                              ;   in Loop: Header=BB267_13 Depth=1
	v_and_b32_e32 v49, 7, v3
	v_lshrrev_b32_e32 v50, 3, v51
	s_mov_b32 s52, exec_lo
	v_cmpx_gt_u32_e32 8, v51
; %bb.182:                              ;   in Loop: Header=BB267_13 Depth=1
	v_ffbh_u32_e32 v49, v49
	v_min_u32_e32 v51, 32, v49
	v_subrev_nc_u32_e32 v49, 28, v51
	v_lshlrev_b64 v[49:50], v49, v[3:4]
	v_sub_nc_u32_e32 v50, 29, v51
	v_and_b32_e32 v49, 7, v49
; %bb.183:                              ;   in Loop: Header=BB267_13 Depth=1
	s_or_b32 exec_lo, exec_lo, s52
	v_lshlrev_b32_e32 v51, 8, v3
	v_lshl_add_u32 v50, v50, 10, 0x2000
	v_lshlrev_b32_e32 v49, 7, v49
	v_and_b32_e32 v51, 0x8000, v51
	v_and_b32_e32 v50, 0xfc00, v50
	v_or3_b32 v49, v51, v50, v49
.LBB267_184:                            ;   in Loop: Header=BB267_13 Depth=1
	s_or_b32 exec_lo, exec_lo, s51
.LBB267_185:                            ;   in Loop: Header=BB267_13 Depth=1
	s_or_b32 exec_lo, exec_lo, s50
.LBB267_186:                            ;   in Loop: Header=BB267_13 Depth=1
	s_or_b32 exec_lo, exec_lo, s49
	v_lshrrev_b16 v3, 8, v3
	s_mov_b32 s49, exec_lo
	v_cmpx_ne_u16_e32 0, v3
	s_cbranch_execz .LBB267_194
; %bb.187:                              ;   in Loop: Header=BB267_13 Depth=1
	v_bfrev_b32_e32 v48, 1
	s_mov_b32 s50, exec_lo
	v_cmpx_ne_u16_e32 0x80, v3
	s_cbranch_execz .LBB267_193
; %bb.188:                              ;   in Loop: Header=BB267_13 Depth=1
	v_and_b32_sdwa v51, v3, v20 dst_sel:DWORD dst_unused:UNUSED_PAD src0_sel:WORD_0 src1_sel:DWORD
	v_mov_b32_e32 v48, 0x7c010000
	s_mov_b32 s51, exec_lo
	v_cmpx_ne_u32_e32 0x7f, v51
	s_cbranch_execz .LBB267_192
; %bb.189:                              ;   in Loop: Header=BB267_13 Depth=1
	v_and_b32_sdwa v48, v3, v21 dst_sel:DWORD dst_unused:UNUSED_PAD src0_sel:WORD_0 src1_sel:DWORD
	v_lshrrev_b32_e32 v50, 3, v51
	s_mov_b32 s52, exec_lo
	v_cmpx_gt_u32_e32 8, v51
; %bb.190:                              ;   in Loop: Header=BB267_13 Depth=1
	v_ffbh_u32_e32 v48, v48
	v_min_u32_e32 v48, 32, v48
	v_subrev_nc_u32_e32 v50, 28, v48
	v_lshlrev_b64 v[51:52], v50, v[3:4]
	v_sub_nc_u32_e32 v50, 29, v48
	v_and_b32_e32 v48, 7, v51
; %bb.191:                              ;   in Loop: Header=BB267_13 Depth=1
	s_or_b32 exec_lo, exec_lo, s52
	v_lshlrev_b32_sdwa v3, v22, v3 dst_sel:DWORD dst_unused:UNUSED_PAD src0_sel:DWORD src1_sel:WORD_0
	v_lshl_add_u32 v50, v50, 10, 0x2000
	v_lshlrev_b32_e32 v48, 23, v48
	v_and_or_b32 v3, 0x8000, v3, v50
	v_lshl_or_b32 v48, v3, 16, v48
.LBB267_192:                            ;   in Loop: Header=BB267_13 Depth=1
	s_or_b32 exec_lo, exec_lo, s51
.LBB267_193:                            ;   in Loop: Header=BB267_13 Depth=1
	s_or_b32 exec_lo, exec_lo, s50
.LBB267_194:                            ;   in Loop: Header=BB267_13 Depth=1
	s_or_b32 exec_lo, exec_lo, s49
	global_load_ushort v51, v[9:10], off offset:648
	v_mov_b32_e32 v50, 0
	s_waitcnt vmcnt(0)
	v_and_b32_e32 v3, 0xffff, v51
	v_cmp_ne_u16_sdwa s3, v51, v4 src0_sel:BYTE_0 src1_sel:DWORD
	v_mov_b32_e32 v51, 0
	s_and_saveexec_b32 s49, s3
	s_cbranch_execz .LBB267_202
; %bb.195:                              ;   in Loop: Header=BB267_13 Depth=1
	v_cmp_ne_u16_sdwa s3, v3, v19 src0_sel:BYTE_0 src1_sel:DWORD
	v_mov_b32_e32 v51, 0x8000
	s_and_saveexec_b32 s50, s3
	s_cbranch_execz .LBB267_201
; %bb.196:                              ;   in Loop: Header=BB267_13 Depth=1
	v_and_b32_e32 v53, 0x7f, v3
	v_mov_b32_e32 v51, 0x7c01
	s_mov_b32 s51, exec_lo
	v_cmpx_ne_u32_e32 0x7f, v53
	s_cbranch_execz .LBB267_200
; %bb.197:                              ;   in Loop: Header=BB267_13 Depth=1
	v_and_b32_e32 v51, 7, v3
	v_lshrrev_b32_e32 v52, 3, v53
	s_mov_b32 s52, exec_lo
	v_cmpx_gt_u32_e32 8, v53
; %bb.198:                              ;   in Loop: Header=BB267_13 Depth=1
	v_ffbh_u32_e32 v51, v51
	v_min_u32_e32 v53, 32, v51
	v_subrev_nc_u32_e32 v51, 28, v53
	v_lshlrev_b64 v[51:52], v51, v[3:4]
	v_sub_nc_u32_e32 v52, 29, v53
	v_and_b32_e32 v51, 7, v51
; %bb.199:                              ;   in Loop: Header=BB267_13 Depth=1
	s_or_b32 exec_lo, exec_lo, s52
	v_lshlrev_b32_e32 v53, 8, v3
	v_lshl_add_u32 v52, v52, 10, 0x2000
	v_lshlrev_b32_e32 v51, 7, v51
	v_and_b32_e32 v53, 0x8000, v53
	v_and_b32_e32 v52, 0xfc00, v52
	v_or3_b32 v51, v53, v52, v51
.LBB267_200:                            ;   in Loop: Header=BB267_13 Depth=1
	s_or_b32 exec_lo, exec_lo, s51
.LBB267_201:                            ;   in Loop: Header=BB267_13 Depth=1
	s_or_b32 exec_lo, exec_lo, s50
.LBB267_202:                            ;   in Loop: Header=BB267_13 Depth=1
	s_or_b32 exec_lo, exec_lo, s49
	v_lshrrev_b16 v3, 8, v3
	s_mov_b32 s49, exec_lo
	v_cmpx_ne_u16_e32 0, v3
	s_cbranch_execz .LBB267_210
; %bb.203:                              ;   in Loop: Header=BB267_13 Depth=1
	v_bfrev_b32_e32 v50, 1
	s_mov_b32 s50, exec_lo
	v_cmpx_ne_u16_e32 0x80, v3
	s_cbranch_execz .LBB267_209
; %bb.204:                              ;   in Loop: Header=BB267_13 Depth=1
	v_and_b32_sdwa v53, v3, v20 dst_sel:DWORD dst_unused:UNUSED_PAD src0_sel:WORD_0 src1_sel:DWORD
	v_mov_b32_e32 v50, 0x7c010000
	s_mov_b32 s51, exec_lo
	v_cmpx_ne_u32_e32 0x7f, v53
	s_cbranch_execz .LBB267_208
; %bb.205:                              ;   in Loop: Header=BB267_13 Depth=1
	v_and_b32_sdwa v50, v3, v21 dst_sel:DWORD dst_unused:UNUSED_PAD src0_sel:WORD_0 src1_sel:DWORD
	v_lshrrev_b32_e32 v52, 3, v53
	s_mov_b32 s52, exec_lo
	v_cmpx_gt_u32_e32 8, v53
; %bb.206:                              ;   in Loop: Header=BB267_13 Depth=1
	v_ffbh_u32_e32 v50, v50
	v_min_u32_e32 v50, 32, v50
	v_subrev_nc_u32_e32 v52, 28, v50
	v_lshlrev_b64 v[53:54], v52, v[3:4]
	v_sub_nc_u32_e32 v52, 29, v50
	v_and_b32_e32 v50, 7, v53
; %bb.207:                              ;   in Loop: Header=BB267_13 Depth=1
	s_or_b32 exec_lo, exec_lo, s52
	v_lshlrev_b32_sdwa v3, v22, v3 dst_sel:DWORD dst_unused:UNUSED_PAD src0_sel:DWORD src1_sel:WORD_0
	v_lshl_add_u32 v52, v52, 10, 0x2000
	v_lshlrev_b32_e32 v50, 23, v50
	v_and_or_b32 v3, 0x8000, v3, v52
	v_lshl_or_b32 v50, v3, 16, v50
.LBB267_208:                            ;   in Loop: Header=BB267_13 Depth=1
	s_or_b32 exec_lo, exec_lo, s51
.LBB267_209:                            ;   in Loop: Header=BB267_13 Depth=1
	s_or_b32 exec_lo, exec_lo, s50
.LBB267_210:                            ;   in Loop: Header=BB267_13 Depth=1
	s_or_b32 exec_lo, exec_lo, s49
	global_load_ushort v53, v[9:10], off offset:768
	v_mov_b32_e32 v52, 0
	s_waitcnt vmcnt(0)
	v_and_b32_e32 v3, 0xffff, v53
	v_cmp_ne_u16_sdwa s3, v53, v4 src0_sel:BYTE_0 src1_sel:DWORD
	v_mov_b32_e32 v53, 0
	s_and_saveexec_b32 s49, s3
	s_cbranch_execz .LBB267_218
; %bb.211:                              ;   in Loop: Header=BB267_13 Depth=1
	v_cmp_ne_u16_sdwa s3, v3, v19 src0_sel:BYTE_0 src1_sel:DWORD
	v_mov_b32_e32 v53, 0x8000
	s_and_saveexec_b32 s50, s3
	s_cbranch_execz .LBB267_217
; %bb.212:                              ;   in Loop: Header=BB267_13 Depth=1
	v_and_b32_e32 v55, 0x7f, v3
	v_mov_b32_e32 v53, 0x7c01
	s_mov_b32 s51, exec_lo
	v_cmpx_ne_u32_e32 0x7f, v55
	s_cbranch_execz .LBB267_216
; %bb.213:                              ;   in Loop: Header=BB267_13 Depth=1
	v_and_b32_e32 v53, 7, v3
	v_lshrrev_b32_e32 v54, 3, v55
	s_mov_b32 s52, exec_lo
	v_cmpx_gt_u32_e32 8, v55
; %bb.214:                              ;   in Loop: Header=BB267_13 Depth=1
	v_ffbh_u32_e32 v53, v53
	v_min_u32_e32 v55, 32, v53
	v_subrev_nc_u32_e32 v53, 28, v55
	v_lshlrev_b64 v[53:54], v53, v[3:4]
	v_sub_nc_u32_e32 v54, 29, v55
	v_and_b32_e32 v53, 7, v53
; %bb.215:                              ;   in Loop: Header=BB267_13 Depth=1
	s_or_b32 exec_lo, exec_lo, s52
	v_lshlrev_b32_e32 v55, 8, v3
	v_lshl_add_u32 v54, v54, 10, 0x2000
	v_lshlrev_b32_e32 v53, 7, v53
	v_and_b32_e32 v55, 0x8000, v55
	v_and_b32_e32 v54, 0xfc00, v54
	v_or3_b32 v53, v55, v54, v53
.LBB267_216:                            ;   in Loop: Header=BB267_13 Depth=1
	s_or_b32 exec_lo, exec_lo, s51
.LBB267_217:                            ;   in Loop: Header=BB267_13 Depth=1
	s_or_b32 exec_lo, exec_lo, s50
.LBB267_218:                            ;   in Loop: Header=BB267_13 Depth=1
	s_or_b32 exec_lo, exec_lo, s49
	v_lshrrev_b16 v3, 8, v3
	s_mov_b32 s49, exec_lo
	v_cmpx_ne_u16_e32 0, v3
	s_cbranch_execz .LBB267_226
; %bb.219:                              ;   in Loop: Header=BB267_13 Depth=1
	v_bfrev_b32_e32 v52, 1
	s_mov_b32 s50, exec_lo
	v_cmpx_ne_u16_e32 0x80, v3
	s_cbranch_execz .LBB267_225
; %bb.220:                              ;   in Loop: Header=BB267_13 Depth=1
	v_and_b32_sdwa v55, v3, v20 dst_sel:DWORD dst_unused:UNUSED_PAD src0_sel:WORD_0 src1_sel:DWORD
	v_mov_b32_e32 v52, 0x7c010000
	s_mov_b32 s51, exec_lo
	v_cmpx_ne_u32_e32 0x7f, v55
	s_cbranch_execz .LBB267_224
; %bb.221:                              ;   in Loop: Header=BB267_13 Depth=1
	v_and_b32_sdwa v52, v3, v21 dst_sel:DWORD dst_unused:UNUSED_PAD src0_sel:WORD_0 src1_sel:DWORD
	v_lshrrev_b32_e32 v54, 3, v55
	s_mov_b32 s52, exec_lo
	v_cmpx_gt_u32_e32 8, v55
; %bb.222:                              ;   in Loop: Header=BB267_13 Depth=1
	v_ffbh_u32_e32 v52, v52
	v_min_u32_e32 v52, 32, v52
	v_subrev_nc_u32_e32 v54, 28, v52
	v_lshlrev_b64 v[55:56], v54, v[3:4]
	v_sub_nc_u32_e32 v54, 29, v52
	v_and_b32_e32 v52, 7, v55
; %bb.223:                              ;   in Loop: Header=BB267_13 Depth=1
	s_or_b32 exec_lo, exec_lo, s52
	v_lshlrev_b32_sdwa v3, v22, v3 dst_sel:DWORD dst_unused:UNUSED_PAD src0_sel:DWORD src1_sel:WORD_0
	v_lshl_add_u32 v54, v54, 10, 0x2000
	v_lshlrev_b32_e32 v52, 23, v52
	v_and_or_b32 v3, 0x8000, v3, v54
	v_lshl_or_b32 v52, v3, 16, v52
.LBB267_224:                            ;   in Loop: Header=BB267_13 Depth=1
	s_or_b32 exec_lo, exec_lo, s51
.LBB267_225:                            ;   in Loop: Header=BB267_13 Depth=1
	s_or_b32 exec_lo, exec_lo, s50
.LBB267_226:                            ;   in Loop: Header=BB267_13 Depth=1
	s_or_b32 exec_lo, exec_lo, s49
	global_load_ushort v55, v[9:10], off offset:776
	v_mov_b32_e32 v54, 0
	s_waitcnt vmcnt(0)
	v_and_b32_e32 v3, 0xffff, v55
	v_cmp_ne_u16_sdwa s3, v55, v4 src0_sel:BYTE_0 src1_sel:DWORD
	v_mov_b32_e32 v55, 0
	s_and_saveexec_b32 s49, s3
	s_cbranch_execz .LBB267_234
; %bb.227:                              ;   in Loop: Header=BB267_13 Depth=1
	v_cmp_ne_u16_sdwa s3, v3, v19 src0_sel:BYTE_0 src1_sel:DWORD
	v_mov_b32_e32 v55, 0x8000
	s_and_saveexec_b32 s50, s3
	s_cbranch_execz .LBB267_233
; %bb.228:                              ;   in Loop: Header=BB267_13 Depth=1
	v_and_b32_e32 v57, 0x7f, v3
	v_mov_b32_e32 v55, 0x7c01
	s_mov_b32 s51, exec_lo
	v_cmpx_ne_u32_e32 0x7f, v57
	s_cbranch_execz .LBB267_232
; %bb.229:                              ;   in Loop: Header=BB267_13 Depth=1
	v_and_b32_e32 v55, 7, v3
	v_lshrrev_b32_e32 v56, 3, v57
	s_mov_b32 s52, exec_lo
	v_cmpx_gt_u32_e32 8, v57
; %bb.230:                              ;   in Loop: Header=BB267_13 Depth=1
	v_ffbh_u32_e32 v55, v55
	v_min_u32_e32 v57, 32, v55
	v_subrev_nc_u32_e32 v55, 28, v57
	v_lshlrev_b64 v[55:56], v55, v[3:4]
	v_sub_nc_u32_e32 v56, 29, v57
	v_and_b32_e32 v55, 7, v55
; %bb.231:                              ;   in Loop: Header=BB267_13 Depth=1
	s_or_b32 exec_lo, exec_lo, s52
	v_lshlrev_b32_e32 v57, 8, v3
	v_lshl_add_u32 v56, v56, 10, 0x2000
	v_lshlrev_b32_e32 v55, 7, v55
	v_and_b32_e32 v57, 0x8000, v57
	v_and_b32_e32 v56, 0xfc00, v56
	v_or3_b32 v55, v57, v56, v55
.LBB267_232:                            ;   in Loop: Header=BB267_13 Depth=1
	s_or_b32 exec_lo, exec_lo, s51
.LBB267_233:                            ;   in Loop: Header=BB267_13 Depth=1
	s_or_b32 exec_lo, exec_lo, s50
.LBB267_234:                            ;   in Loop: Header=BB267_13 Depth=1
	s_or_b32 exec_lo, exec_lo, s49
	v_lshrrev_b16 v3, 8, v3
	s_mov_b32 s49, exec_lo
	v_cmpx_ne_u16_e32 0, v3
	s_cbranch_execz .LBB267_242
; %bb.235:                              ;   in Loop: Header=BB267_13 Depth=1
	v_bfrev_b32_e32 v54, 1
	s_mov_b32 s50, exec_lo
	v_cmpx_ne_u16_e32 0x80, v3
	s_cbranch_execz .LBB267_241
; %bb.236:                              ;   in Loop: Header=BB267_13 Depth=1
	v_and_b32_sdwa v57, v3, v20 dst_sel:DWORD dst_unused:UNUSED_PAD src0_sel:WORD_0 src1_sel:DWORD
	v_mov_b32_e32 v54, 0x7c010000
	s_mov_b32 s51, exec_lo
	v_cmpx_ne_u32_e32 0x7f, v57
	s_cbranch_execz .LBB267_240
; %bb.237:                              ;   in Loop: Header=BB267_13 Depth=1
	v_and_b32_sdwa v54, v3, v21 dst_sel:DWORD dst_unused:UNUSED_PAD src0_sel:WORD_0 src1_sel:DWORD
	v_lshrrev_b32_e32 v56, 3, v57
	s_mov_b32 s52, exec_lo
	v_cmpx_gt_u32_e32 8, v57
; %bb.238:                              ;   in Loop: Header=BB267_13 Depth=1
	v_ffbh_u32_e32 v54, v54
	v_min_u32_e32 v54, 32, v54
	v_subrev_nc_u32_e32 v56, 28, v54
	v_lshlrev_b64 v[57:58], v56, v[3:4]
	v_sub_nc_u32_e32 v56, 29, v54
	v_and_b32_e32 v54, 7, v57
; %bb.239:                              ;   in Loop: Header=BB267_13 Depth=1
	s_or_b32 exec_lo, exec_lo, s52
	v_lshlrev_b32_sdwa v3, v22, v3 dst_sel:DWORD dst_unused:UNUSED_PAD src0_sel:DWORD src1_sel:WORD_0
	v_lshl_add_u32 v56, v56, 10, 0x2000
	v_lshlrev_b32_e32 v54, 23, v54
	v_and_or_b32 v3, 0x8000, v3, v56
	v_lshl_or_b32 v54, v3, 16, v54
.LBB267_240:                            ;   in Loop: Header=BB267_13 Depth=1
	s_or_b32 exec_lo, exec_lo, s51
.LBB267_241:                            ;   in Loop: Header=BB267_13 Depth=1
	s_or_b32 exec_lo, exec_lo, s50
.LBB267_242:                            ;   in Loop: Header=BB267_13 Depth=1
	s_or_b32 exec_lo, exec_lo, s49
	global_load_ushort v57, v[9:10], off offset:896
	v_mov_b32_e32 v56, 0
	s_waitcnt vmcnt(0)
	v_and_b32_e32 v3, 0xffff, v57
	v_cmp_ne_u16_sdwa s3, v57, v4 src0_sel:BYTE_0 src1_sel:DWORD
	v_mov_b32_e32 v57, 0
	s_and_saveexec_b32 s49, s3
	s_cbranch_execz .LBB267_250
; %bb.243:                              ;   in Loop: Header=BB267_13 Depth=1
	v_cmp_ne_u16_sdwa s3, v3, v19 src0_sel:BYTE_0 src1_sel:DWORD
	v_mov_b32_e32 v57, 0x8000
	s_and_saveexec_b32 s50, s3
	s_cbranch_execz .LBB267_249
; %bb.244:                              ;   in Loop: Header=BB267_13 Depth=1
	v_and_b32_e32 v59, 0x7f, v3
	v_mov_b32_e32 v57, 0x7c01
	s_mov_b32 s51, exec_lo
	v_cmpx_ne_u32_e32 0x7f, v59
	s_cbranch_execz .LBB267_248
; %bb.245:                              ;   in Loop: Header=BB267_13 Depth=1
	v_and_b32_e32 v57, 7, v3
	v_lshrrev_b32_e32 v58, 3, v59
	s_mov_b32 s52, exec_lo
	v_cmpx_gt_u32_e32 8, v59
; %bb.246:                              ;   in Loop: Header=BB267_13 Depth=1
	v_ffbh_u32_e32 v57, v57
	v_min_u32_e32 v59, 32, v57
	v_subrev_nc_u32_e32 v57, 28, v59
	v_lshlrev_b64 v[57:58], v57, v[3:4]
	v_sub_nc_u32_e32 v58, 29, v59
	v_and_b32_e32 v57, 7, v57
; %bb.247:                              ;   in Loop: Header=BB267_13 Depth=1
	s_or_b32 exec_lo, exec_lo, s52
	v_lshlrev_b32_e32 v59, 8, v3
	v_lshl_add_u32 v58, v58, 10, 0x2000
	v_lshlrev_b32_e32 v57, 7, v57
	v_and_b32_e32 v59, 0x8000, v59
	v_and_b32_e32 v58, 0xfc00, v58
	v_or3_b32 v57, v59, v58, v57
.LBB267_248:                            ;   in Loop: Header=BB267_13 Depth=1
	s_or_b32 exec_lo, exec_lo, s51
.LBB267_249:                            ;   in Loop: Header=BB267_13 Depth=1
	s_or_b32 exec_lo, exec_lo, s50
.LBB267_250:                            ;   in Loop: Header=BB267_13 Depth=1
	s_or_b32 exec_lo, exec_lo, s49
	v_lshrrev_b16 v3, 8, v3
	s_mov_b32 s49, exec_lo
	v_cmpx_ne_u16_e32 0, v3
	s_cbranch_execz .LBB267_258
; %bb.251:                              ;   in Loop: Header=BB267_13 Depth=1
	v_bfrev_b32_e32 v56, 1
	s_mov_b32 s50, exec_lo
	v_cmpx_ne_u16_e32 0x80, v3
	s_cbranch_execz .LBB267_257
; %bb.252:                              ;   in Loop: Header=BB267_13 Depth=1
	v_and_b32_sdwa v59, v3, v20 dst_sel:DWORD dst_unused:UNUSED_PAD src0_sel:WORD_0 src1_sel:DWORD
	v_mov_b32_e32 v56, 0x7c010000
	s_mov_b32 s51, exec_lo
	v_cmpx_ne_u32_e32 0x7f, v59
	s_cbranch_execz .LBB267_256
; %bb.253:                              ;   in Loop: Header=BB267_13 Depth=1
	v_and_b32_sdwa v56, v3, v21 dst_sel:DWORD dst_unused:UNUSED_PAD src0_sel:WORD_0 src1_sel:DWORD
	v_lshrrev_b32_e32 v58, 3, v59
	s_mov_b32 s52, exec_lo
	v_cmpx_gt_u32_e32 8, v59
; %bb.254:                              ;   in Loop: Header=BB267_13 Depth=1
	v_ffbh_u32_e32 v56, v56
	v_min_u32_e32 v56, 32, v56
	v_subrev_nc_u32_e32 v58, 28, v56
	v_lshlrev_b64 v[59:60], v58, v[3:4]
	v_sub_nc_u32_e32 v58, 29, v56
	v_and_b32_e32 v56, 7, v59
; %bb.255:                              ;   in Loop: Header=BB267_13 Depth=1
	s_or_b32 exec_lo, exec_lo, s52
	v_lshlrev_b32_sdwa v3, v22, v3 dst_sel:DWORD dst_unused:UNUSED_PAD src0_sel:DWORD src1_sel:WORD_0
	v_lshl_add_u32 v58, v58, 10, 0x2000
	v_lshlrev_b32_e32 v56, 23, v56
	v_and_or_b32 v3, 0x8000, v3, v58
	v_lshl_or_b32 v56, v3, 16, v56
.LBB267_256:                            ;   in Loop: Header=BB267_13 Depth=1
	s_or_b32 exec_lo, exec_lo, s51
.LBB267_257:                            ;   in Loop: Header=BB267_13 Depth=1
	s_or_b32 exec_lo, exec_lo, s50
.LBB267_258:                            ;   in Loop: Header=BB267_13 Depth=1
	s_or_b32 exec_lo, exec_lo, s49
	global_load_ushort v10, v[9:10], off offset:904
	v_mov_b32_e32 v9, 0
	s_waitcnt vmcnt(0)
	v_and_b32_e32 v3, 0xffff, v10
	v_cmp_ne_u16_sdwa s3, v10, v4 src0_sel:BYTE_0 src1_sel:DWORD
	v_mov_b32_e32 v10, 0
	s_and_saveexec_b32 s49, s3
	s_cbranch_execz .LBB267_266
; %bb.259:                              ;   in Loop: Header=BB267_13 Depth=1
	v_cmp_ne_u16_sdwa s3, v3, v19 src0_sel:BYTE_0 src1_sel:DWORD
	v_mov_b32_e32 v10, 0x8000
	s_and_saveexec_b32 s50, s3
	s_cbranch_execz .LBB267_265
; %bb.260:                              ;   in Loop: Header=BB267_13 Depth=1
	v_and_b32_e32 v59, 0x7f, v3
	v_mov_b32_e32 v10, 0x7c01
	s_mov_b32 s51, exec_lo
	v_cmpx_ne_u32_e32 0x7f, v59
	s_cbranch_execz .LBB267_264
; %bb.261:                              ;   in Loop: Header=BB267_13 Depth=1
	v_and_b32_e32 v10, 7, v3
	v_lshrrev_b32_e32 v58, 3, v59
	s_mov_b32 s52, exec_lo
	v_cmpx_gt_u32_e32 8, v59
; %bb.262:                              ;   in Loop: Header=BB267_13 Depth=1
	v_ffbh_u32_e32 v10, v10
	v_min_u32_e32 v10, 32, v10
	v_subrev_nc_u32_e32 v58, 28, v10
	v_lshlrev_b64 v[59:60], v58, v[3:4]
	v_sub_nc_u32_e32 v58, 29, v10
	v_and_b32_e32 v10, 7, v59
; %bb.263:                              ;   in Loop: Header=BB267_13 Depth=1
	s_or_b32 exec_lo, exec_lo, s52
	v_lshlrev_b32_e32 v59, 8, v3
	v_lshl_add_u32 v58, v58, 10, 0x2000
	v_lshlrev_b32_e32 v10, 7, v10
	v_and_b32_e32 v59, 0x8000, v59
	v_and_b32_e32 v58, 0xfc00, v58
	v_or3_b32 v10, v59, v58, v10
.LBB267_264:                            ;   in Loop: Header=BB267_13 Depth=1
	s_or_b32 exec_lo, exec_lo, s51
.LBB267_265:                            ;   in Loop: Header=BB267_13 Depth=1
	s_or_b32 exec_lo, exec_lo, s50
.LBB267_266:                            ;   in Loop: Header=BB267_13 Depth=1
	s_or_b32 exec_lo, exec_lo, s49
	v_lshrrev_b16 v3, 8, v3
	s_mov_b32 s49, exec_lo
	v_cmpx_ne_u16_e32 0, v3
	s_cbranch_execz .LBB267_274
; %bb.267:                              ;   in Loop: Header=BB267_13 Depth=1
	v_bfrev_b32_e32 v9, 1
	s_mov_b32 s50, exec_lo
	v_cmpx_ne_u16_e32 0x80, v3
	s_cbranch_execz .LBB267_273
; %bb.268:                              ;   in Loop: Header=BB267_13 Depth=1
	v_and_b32_sdwa v59, v3, v20 dst_sel:DWORD dst_unused:UNUSED_PAD src0_sel:WORD_0 src1_sel:DWORD
	v_mov_b32_e32 v9, 0x7c010000
	s_mov_b32 s51, exec_lo
	v_cmpx_ne_u32_e32 0x7f, v59
	s_cbranch_execz .LBB267_272
; %bb.269:                              ;   in Loop: Header=BB267_13 Depth=1
	v_and_b32_sdwa v9, v3, v21 dst_sel:DWORD dst_unused:UNUSED_PAD src0_sel:WORD_0 src1_sel:DWORD
	v_lshrrev_b32_e32 v58, 3, v59
	s_mov_b32 s52, exec_lo
	v_cmpx_gt_u32_e32 8, v59
; %bb.270:                              ;   in Loop: Header=BB267_13 Depth=1
	v_ffbh_u32_e32 v9, v9
	v_min_u32_e32 v9, 32, v9
	v_subrev_nc_u32_e32 v58, 28, v9
	v_lshlrev_b64 v[59:60], v58, v[3:4]
	v_sub_nc_u32_e32 v58, 29, v9
	v_and_b32_e32 v9, 7, v59
; %bb.271:                              ;   in Loop: Header=BB267_13 Depth=1
	s_or_b32 exec_lo, exec_lo, s52
	v_lshlrev_b32_sdwa v3, v22, v3 dst_sel:DWORD dst_unused:UNUSED_PAD src0_sel:DWORD src1_sel:WORD_0
	v_lshl_add_u32 v58, v58, 10, 0x2000
	v_lshlrev_b32_e32 v9, 23, v9
	v_and_or_b32 v3, 0x8000, v3, v58
	v_lshl_or_b32 v9, v3, 16, v9
.LBB267_272:                            ;   in Loop: Header=BB267_13 Depth=1
	s_or_b32 exec_lo, exec_lo, s51
.LBB267_273:                            ;   in Loop: Header=BB267_13 Depth=1
	s_or_b32 exec_lo, exec_lo, s50
.LBB267_274:                            ;   in Loop: Header=BB267_13 Depth=1
	s_or_b32 exec_lo, exec_lo, s49
	ds_read_b32 v3, v16
	v_or_b32_e32 v29, v28, v29
	v_fma_mixlo_f16 v28, v27, v28, 0 op_sel:[0,1,0] op_sel_hi:[0,1,0]
	v_or_b32_e32 v31, v30, v31
	v_fma_mixlo_f16 v30, v27, v30, 0 op_sel:[0,1,0] op_sel_hi:[0,1,0]
	v_or_b32_e32 v33, v32, v33
	v_fma_mixlo_f16 v29, v27, v29, 0 op_sel_hi:[0,1,0]
	v_and_b32_e32 v60, 0xffff, v28
	v_fma_mixlo_f16 v31, v27, v31, 0 op_sel_hi:[0,1,0]
	v_and_b32_e32 v62, 0xffff, v30
	;; [unrolled: 2-line block ×3, first 2 shown]
	v_fma_mixlo_f16 v32, v27, v32, 0 op_sel:[0,1,0] op_sel_hi:[0,1,0]
	v_and_b32_e32 v61, 0xffff, v31
	v_or_b32_e32 v35, v34, v35
	v_and_b32_e32 v63, 0xffff, v33
	v_fma_mixlo_f16 v34, v27, v34, 0 op_sel:[0,1,0] op_sel_hi:[0,1,0]
	v_and_b32_e32 v64, 0xffff, v32
	v_or_b32_e32 v37, v36, v37
	v_fma_mixlo_f16 v35, v27, v35, 0 op_sel_hi:[0,1,0]
	s_waitcnt lgkmcnt(0)
	v_and_b32_e32 v58, 0xffff, v3
	v_lshrrev_b32_e32 v59, 16, v3
	;;#ASMSTART
	v_cvt_f32_f16 v3, v58;
	;;#ASMEND
	;;#ASMSTART
	v_cvt_f32_f16 v28, v59;
	;;#ASMEND
	;;#ASMSTART
	v_cvt_f32_f16 v29, v29;
	;;#ASMEND
	;;#ASMSTART
	v_cvt_f32_f16 v58, v60;
	;;#ASMEND
	ds_read_b32 v59, v16 offset:4
	v_and_b32_e32 v65, 0xffff, v35
	v_and_b32_e32 v66, 0xffff, v34
	v_fma_mixlo_f16 v37, v27, v37, 0 op_sel_hi:[0,1,0]
	v_fma_mixlo_f16 v36, v27, v36, 0 op_sel:[0,1,0] op_sel_hi:[0,1,0]
	v_or_b32_e32 v39, v38, v39
	v_fma_mixlo_f16 v38, v27, v38, 0 op_sel:[0,1,0] op_sel_hi:[0,1,0]
	v_or_b32_e32 v41, v40, v41
	v_and_b32_e32 v67, 0xffff, v37
	v_and_b32_e32 v68, 0xffff, v36
	v_fma_mixlo_f16 v39, v27, v39, 0 op_sel_hi:[0,1,0]
	v_and_b32_e32 v70, 0xffff, v38
	v_fma_mixlo_f16 v41, v27, v41, 0 op_sel_hi:[0,1,0]
	v_fma_mixlo_f16 v40, v27, v40, 0 op_sel:[0,1,0] op_sel_hi:[0,1,0]
	v_or_b32_e32 v43, v42, v43
	v_and_b32_e32 v69, 0xffff, v39
	v_fma_mixlo_f16 v42, v27, v42, 0 op_sel:[0,1,0] op_sel_hi:[0,1,0]
	v_and_b32_e32 v71, 0xffff, v41
	v_and_b32_e32 v72, 0xffff, v40
	v_fma_mixlo_f16 v43, v27, v43, 0 op_sel_hi:[0,1,0]
	s_waitcnt lgkmcnt(0)
	v_and_b32_e32 v60, 0xffff, v59
	v_lshrrev_b32_e32 v59, 16, v59
	;;#ASMSTART
	v_cvt_f32_f16 v30, v60;
	;;#ASMEND
	;;#ASMSTART
	v_cvt_f32_f16 v31, v59;
	;;#ASMEND
	;;#ASMSTART
	v_cvt_f32_f16 v59, v61;
	;;#ASMEND
	;;#ASMSTART
	v_cvt_f32_f16 v60, v62;
	;;#ASMEND
	ds_read_b32 v61, v16 offset:8
	v_and_b32_e32 v73, 0xffff, v43
	v_and_b32_e32 v74, 0xffff, v42
	v_or_b32_e32 v45, v44, v45
	v_fma_mixlo_f16 v44, v27, v44, 0 op_sel:[0,1,0] op_sel_hi:[0,1,0]
	v_or_b32_e32 v47, v46, v47
	v_fma_mixlo_f16 v46, v27, v46, 0 op_sel:[0,1,0] op_sel_hi:[0,1,0]
	v_or_b32_e32 v49, v48, v49
	v_fma_mixlo_f16 v45, v27, v45, 0 op_sel_hi:[0,1,0]
	v_and_b32_e32 v76, 0xffff, v44
	v_fma_mixlo_f16 v47, v27, v47, 0 op_sel_hi:[0,1,0]
	v_and_b32_e32 v78, 0xffff, v46
	;; [unrolled: 2-line block ×3, first 2 shown]
	v_fma_mixlo_f16 v48, v27, v48, 0 op_sel:[0,1,0] op_sel_hi:[0,1,0]
	v_and_b32_e32 v77, 0xffff, v47
	v_or_b32_e32 v51, v50, v51
	v_and_b32_e32 v79, 0xffff, v49
	v_fma_mixlo_f16 v50, v27, v50, 0 op_sel:[0,1,0] op_sel_hi:[0,1,0]
	v_and_b32_e32 v80, 0xffff, v48
	s_waitcnt lgkmcnt(0)
	v_and_b32_e32 v62, 0xffff, v61
	v_lshrrev_b32_e32 v61, 16, v61
	;;#ASMSTART
	v_cvt_f32_f16 v32, v62;
	;;#ASMEND
	;;#ASMSTART
	v_cvt_f32_f16 v33, v61;
	;;#ASMEND
	;; [unrolled: 3-line block ×4, first 2 shown]
	ds_read_b32 v63, v16 offset:12
	v_fma_mixlo_f16 v51, v27, v51, 0 op_sel_hi:[0,1,0]
	v_and_b32_e32 v82, 0xffff, v50
	v_mul_f32_e32 v30, v30, v59
	v_mul_f32_e32 v31, v31, v60
	v_or_b32_e32 v53, v52, v53
	v_and_b32_e32 v81, 0xffff, v51
	v_fma_mixlo_f16 v52, v27, v52, 0 op_sel:[0,1,0] op_sel_hi:[0,1,0]
	v_fmac_f32_e32 v30, v3, v29
	v_fmac_f32_e32 v31, v28, v58
	v_fma_mixlo_f16 v53, v27, v53, 0 op_sel_hi:[0,1,0]
	v_or_b32_e32 v3, v54, v55
	v_and_b32_e32 v84, 0xffff, v52
	v_fmac_f32_e32 v30, v32, v61
	v_fmac_f32_e32 v31, v33, v62
	v_and_b32_e32 v83, 0xffff, v53
	v_fma_mixlo_f16 v28, v27, v54, 0 op_sel:[0,1,0] op_sel_hi:[0,1,0]
	v_fma_mixlo_f16 v3, v27, v3, 0 op_sel_hi:[0,1,0]
	v_or_b32_e32 v10, v9, v10
	v_fma_mixlo_f16 v9, v27, v9, 0 op_sel:[0,1,0] op_sel_hi:[0,1,0]
	s_waitcnt lgkmcnt(0)
	v_and_b32_e32 v64, 0xffff, v63
	v_lshrrev_b32_e32 v63, 16, v63
	;;#ASMSTART
	v_cvt_f32_f16 v34, v64;
	;;#ASMEND
	;;#ASMSTART
	v_cvt_f32_f16 v35, v63;
	;;#ASMEND
	;; [unrolled: 3-line block ×4, first 2 shown]
	ds_read_b32 v65, v16 offset:16
	v_fmac_f32_e32 v30, v34, v63
	v_fmac_f32_e32 v31, v35, v64
	v_and_b32_e32 v32, 0xffff, v28
	v_and_b32_e32 v33, 0xffff, v3
	v_or_b32_e32 v34, v56, v57
	v_fma_mixlo_f16 v35, v27, v56, 0 op_sel:[0,1,0] op_sel_hi:[0,1,0]
	v_fma_mixlo_f16 v10, v27, v10, 0 op_sel_hi:[0,1,0]
	v_fma_mixlo_f16 v34, v27, v34, 0 op_sel_hi:[0,1,0]
	s_waitcnt lgkmcnt(0)
	v_and_b32_e32 v66, 0xffff, v65
	v_lshrrev_b32_e32 v65, 16, v65
	;;#ASMSTART
	v_cvt_f32_f16 v36, v66;
	;;#ASMEND
	;;#ASMSTART
	v_cvt_f32_f16 v37, v65;
	;;#ASMEND
	;; [unrolled: 3-line block ×4, first 2 shown]
	ds_read_b32 v67, v16 offset:20
	v_fmac_f32_e32 v30, v36, v65
	v_fmac_f32_e32 v31, v37, v66
	v_and_b32_e32 v36, 0xffff, v35
	s_waitcnt lgkmcnt(0)
	v_and_b32_e32 v68, 0xffff, v67
	v_lshrrev_b32_e32 v67, 16, v67
	;;#ASMSTART
	v_cvt_f32_f16 v38, v68;
	;;#ASMEND
	;;#ASMSTART
	v_cvt_f32_f16 v39, v67;
	;;#ASMEND
	;; [unrolled: 3-line block ×4, first 2 shown]
	ds_read_b32 v69, v16 offset:24
	v_fmac_f32_e32 v30, v38, v67
	v_fmac_f32_e32 v31, v39, v68
	v_and_b32_e32 v38, 0xffff, v34
	v_and_b32_e32 v39, 0xffff, v9
	s_waitcnt lgkmcnt(0)
	v_and_b32_e32 v70, 0xffff, v69
	v_lshrrev_b32_e32 v69, 16, v69
	;;#ASMSTART
	v_cvt_f32_f16 v40, v70;
	;;#ASMEND
	;;#ASMSTART
	v_cvt_f32_f16 v41, v69;
	;;#ASMEND
	;;#ASMSTART
	v_cvt_f32_f16 v69, v71;
	;;#ASMEND
	;;#ASMSTART
	v_cvt_f32_f16 v70, v72;
	;;#ASMEND
	ds_read_b32 v71, v16 offset:28
	v_fmac_f32_e32 v30, v40, v69
	v_fmac_f32_e32 v31, v41, v70
	s_waitcnt lgkmcnt(0)
	v_and_b32_e32 v72, 0xffff, v71
	v_lshrrev_b32_e32 v71, 16, v71
	;;#ASMSTART
	v_cvt_f32_f16 v42, v72;
	;;#ASMEND
	;;#ASMSTART
	v_cvt_f32_f16 v43, v71;
	;;#ASMEND
	;;#ASMSTART
	v_cvt_f32_f16 v71, v73;
	;;#ASMEND
	;;#ASMSTART
	v_cvt_f32_f16 v72, v74;
	;;#ASMEND
	ds_read_b32 v73, v16 offset:32
	v_fmac_f32_e32 v30, v42, v71
	v_fmac_f32_e32 v31, v43, v72
	;; [unrolled: 18-line block ×8, first 2 shown]
	v_and_b32_e32 v28, 0xffff, v10
	s_waitcnt lgkmcnt(0)
	v_and_b32_e32 v35, 0xffff, v33
	v_lshrrev_b32_e32 v37, 16, v33
	;;#ASMSTART
	v_cvt_f32_f16 v33, v35;
	;;#ASMEND
	;;#ASMSTART
	v_cvt_f32_f16 v34, v37;
	;;#ASMEND
	;;#ASMSTART
	v_cvt_f32_f16 v35, v38;
	;;#ASMEND
	;;#ASMSTART
	v_cvt_f32_f16 v36, v36;
	;;#ASMEND
	ds_read_b32 v37, v16 offset:60
	v_xor_b32_e32 v38, 2, v11
	v_fmac_f32_e32 v30, v33, v35
	v_fmac_f32_e32 v31, v34, v36
	v_cmp_gt_i32_e64 s3, 32, v38
	v_cndmask_b32_e64 v9, v11, v38, s3
	s_waitcnt lgkmcnt(0)
	v_and_b32_e32 v3, 0xffff, v37
	v_lshrrev_b32_e32 v27, 16, v37
	;;#ASMSTART
	v_cvt_f32_f16 v3, v3;
	;;#ASMEND
	;;#ASMSTART
	v_cvt_f32_f16 v10, v27;
	;;#ASMEND
	;; [unrolled: 3-line block ×4, first 2 shown]
	v_fmac_f32_e32 v30, v3, v27
	v_fmac_f32_e32 v31, v10, v28
	v_lshlrev_b32_e32 v3, 2, v9
	v_xor_b32_e32 v10, 1, v11
	v_add_f32_e32 v9, v30, v31
	v_cmp_gt_i32_e64 s3, 32, v10
	ds_bpermute_b32 v3, v3, v9
	v_cndmask_b32_e64 v10, v11, v10, s3
	s_waitcnt lgkmcnt(0)
	v_add_f32_e32 v3, v9, v3
	v_lshlrev_b32_e32 v9, 2, v10
	ds_bpermute_b32 v9, v9, v3
	s_and_saveexec_b32 s49, vcc_lo
	s_cbranch_execz .LBB267_11
; %bb.275:                              ;   in Loop: Header=BB267_13 Depth=1
	v_add_nc_u32_e32 v10, v23, v17
	s_waitcnt lgkmcnt(0)
	v_add_f32_e32 v3, v3, v9
	v_cvt_f32_i32_e32 v10, v10
	v_mul_f32_e32 v10, s43, v10
	v_cndmask_b32_e64 v9, 0, v10, s2
	v_max_f32_e32 v10, v14, v14
	v_fmac_f32_e32 v9, s41, v3
	v_add_nc_u32_e32 v3, v15, v17
	v_max_f32_e32 v10, v10, v9
	v_cmp_gt_i32_e64 s3, s31, v3
	v_cndmask_b32_e64 v3, 0, v9, s3
	v_cndmask_b32_e64 v14, v14, v10, s3
	ds_write_b32 v24, v3
	s_branch .LBB267_11
.LBB267_276:
	s_or_b32 exec_lo, exec_lo, s47
.LBB267_277:
	s_or_b32 exec_lo, exec_lo, s45
	v_xor_b32_e32 v3, 16, v11
	v_xor_b32_e32 v5, 8, v11
	v_max_f32_e32 v7, v14, v14
	v_cmp_gt_i32_e32 vcc_lo, 32, v3
	v_cndmask_b32_e32 v3, v11, v3, vcc_lo
	v_cmp_gt_i32_e32 vcc_lo, 32, v5
	v_lshlrev_b32_e32 v4, 2, v3
	v_cndmask_b32_e32 v5, v11, v5, vcc_lo
	ds_bpermute_b32 v3, v4, v14
	v_lshlrev_b32_e32 v6, 2, v5
	v_and_b32_e32 v14, 31, v0
	s_waitcnt lgkmcnt(0)
	v_max_f32_e32 v3, v3, v3
	v_max_f32_e32 v3, v7, v3
	v_xor_b32_e32 v7, 4, v11
	ds_bpermute_b32 v5, v6, v3
	v_cmp_gt_i32_e32 vcc_lo, 32, v7
	v_cndmask_b32_e32 v7, v11, v7, vcc_lo
	v_cmp_eq_u32_e32 vcc_lo, 0, v14
	v_lshlrev_b32_e32 v9, 2, v7
	v_lshlrev_b32_e32 v7, 2, v12
	s_waitcnt lgkmcnt(0)
	v_max_f32_e32 v5, v5, v5
	v_max_f32_e32 v3, v3, v5
	ds_bpermute_b32 v5, v9, v3
	s_and_saveexec_b32 s2, vcc_lo
	s_cbranch_execz .LBB267_279
; %bb.278:
	s_waitcnt lgkmcnt(0)
	v_max_f32_e32 v5, v5, v5
	v_max_f32_e32 v3, v3, v3
	v_max_f32_e32 v3, v3, v5
	ds_write_b32 v7, v3 offset:256
.LBB267_279:
	s_or_b32 exec_lo, exec_lo, s2
	v_cmp_gt_u32_e64 s2, 4, v14
	v_mov_b32_e32 v3, 0xff7fffff
	v_lshlrev_b32_e32 v8, 2, v14
	s_waitcnt lgkmcnt(0)
	s_barrier
	buffer_gl0_inv
	s_and_saveexec_b32 s3, s2
; %bb.280:
	ds_read_b32 v3, v8 offset:256
; %bb.281:
	s_or_b32 exec_lo, exec_lo, s3
	v_xor_b32_e32 v5, 2, v11
	v_xor_b32_e32 v15, 1, v11
	v_cmp_gt_i32_e64 s3, 32, v5
	v_cndmask_b32_e64 v5, v11, v5, s3
	v_cmp_gt_i32_e64 s3, 32, v15
	v_lshlrev_b32_e32 v10, 2, v5
	v_cndmask_b32_e64 v11, v11, v15, s3
	v_mov_b32_e32 v15, 0
	s_sub_i32 s3, s20, s44
	s_lshl_b32 s3, s3, 3
	s_waitcnt lgkmcnt(0)
	ds_bpermute_b32 v5, v10, v3
	v_max_f32_e32 v3, v3, v3
	v_lshlrev_b32_e32 v11, 2, v11
	s_add_i32 s3, s3, s33
	s_min_i32 s3, s3, s31
	s_sub_i32 s5, s3, s33
	v_cmp_gt_i32_e64 s3, s5, v0
	s_waitcnt lgkmcnt(0)
	v_max_f32_e32 v5, v5, v5
	v_max_f32_e32 v3, v3, v5
	ds_bpermute_b32 v5, v11, v3
	s_waitcnt lgkmcnt(0)
	v_max_f32_e32 v5, v5, v5
	v_max_f32_e32 v3, v3, v5
	v_lshl_add_u32 v5, v0, 2, 0x120
	ds_bpermute_b32 v3, v15, v3
	s_and_saveexec_b32 s12, s3
	s_cbranch_execz .LBB267_285
; %bb.282:
	v_lshl_add_u32 v16, v0, 2, 0x120
	v_mov_b32_e32 v15, 0
	v_mov_b32_e32 v17, v0
	s_mov_b32 s13, 0
	.p2align	6
.LBB267_283:                            ; =>This Inner Loop Header: Depth=1
	ds_read_b32 v18, v16
	v_add_nc_u32_e32 v17, 0x80, v17
	v_cmp_le_i32_e64 s4, s5, v17
	s_or_b32 s13, s4, s13
	s_waitcnt lgkmcnt(0)
	v_sub_f32_e32 v18, v18, v3
	v_mul_f32_e32 v18, 0x3fb8aa3b, v18
	v_exp_f32_e32 v18, v18
	ds_write_b32 v16, v18
	v_add_f32_e32 v15, v15, v18
	v_add_nc_u32_e32 v16, 0x200, v16
	s_andn2_b32 exec_lo, exec_lo, s13
	s_cbranch_execnz .LBB267_283
; %bb.284:
	s_or_b32 exec_lo, exec_lo, s13
.LBB267_285:
	s_or_b32 exec_lo, exec_lo, s12
	ds_bpermute_b32 v4, v4, v15
	s_waitcnt lgkmcnt(0)
	v_add_f32_e32 v4, v15, v4
	ds_bpermute_b32 v6, v6, v4
	s_waitcnt lgkmcnt(0)
	v_add_f32_e32 v4, v4, v6
	;; [unrolled: 3-line block ×5, first 2 shown]
	s_and_saveexec_b32 s4, vcc_lo
; %bb.286:
	ds_write_b32 v7, v4 offset:272
; %bb.287:
	s_or_b32 exec_lo, exec_lo, s4
	s_waitcnt lgkmcnt(0)
	s_barrier
	buffer_gl0_inv
	s_and_saveexec_b32 s4, s2
; %bb.288:
	ds_read_b32 v4, v8 offset:272
; %bb.289:
	s_or_b32 exec_lo, exec_lo, s4
	s_waitcnt lgkmcnt(0)
	ds_bpermute_b32 v6, v10, v4
	s_waitcnt lgkmcnt(0)
	v_add_f32_e32 v4, v4, v6
	ds_bpermute_b32 v6, v11, v4
	s_waitcnt lgkmcnt(0)
	v_add_f32_e32 v4, v4, v6
	v_mov_b32_e32 v6, 0
	ds_bpermute_b32 v4, v6, v4
	s_and_saveexec_b32 s2, s3
	s_cbranch_execz .LBB267_292
; %bb.290:
	s_waitcnt lgkmcnt(0)
	v_add_f32_e32 v6, 0x358637bd, v4
	s_mov_b32 s3, 0
	v_div_scale_f32 v7, null, v6, v6, 1.0
	v_div_scale_f32 v10, vcc_lo, 1.0, v6, 1.0
	v_rcp_f32_e32 v8, v7
	v_fma_f32 v9, -v7, v8, 1.0
	v_fmac_f32_e32 v8, v9, v8
	v_mul_f32_e32 v9, v10, v8
	v_fma_f32 v11, -v7, v9, v10
	v_fmac_f32_e32 v9, v11, v8
	v_fma_f32 v7, -v7, v9, v10
	v_div_fmas_f32 v7, v7, v8, v9
	v_div_fixup_f32 v6, v7, v6, 1.0
	v_mov_b32_e32 v7, v0
.LBB267_291:                            ; =>This Inner Loop Header: Depth=1
	ds_read_b32 v8, v5
	v_add_nc_u32_e32 v7, 0x80, v7
	v_cmp_le_i32_e32 vcc_lo, s5, v7
	s_or_b32 s3, vcc_lo, s3
	s_waitcnt lgkmcnt(0)
	v_mul_f32_e32 v8, v6, v8
	ds_write_b32 v5, v8
	v_add_nc_u32_e32 v5, 0x200, v5
	s_andn2_b32 exec_lo, exec_lo, s3
	s_cbranch_execnz .LBB267_291
.LBB267_292:
	s_or_b32 exec_lo, exec_lo, s2
	s_mul_i32 s2, s7, s30
	s_mov_b32 s4, exec_lo
	s_mul_i32 s2, s2, s9
	s_waitcnt lgkmcnt(0)
	s_barrier
	buffer_gl0_inv
	v_cmpx_eq_u32_e32 0, v0
	s_cbranch_execz .LBB267_294
; %bb.293:
	s_ashr_i32 s3, s2, 31
	s_mul_i32 s44, s7, s6
	s_lshl_b64 s[12:13], s[2:3], 2
	v_mov_b32_e32 v5, 0
	s_add_u32 s3, s26, s12
	s_addc_u32 s5, s27, s13
	s_ashr_i32 s45, s44, 31
	s_lshl_b64 s[26:27], s[44:45], 2
	s_add_u32 s3, s3, s26
	s_addc_u32 s5, s5, s27
	s_ashr_i32 s9, s8, 31
	s_lshl_b64 s[44:45], s[8:9], 2
	s_add_u32 s46, s3, s44
	s_addc_u32 s47, s5, s45
	s_add_u32 s3, s24, s12
	s_addc_u32 s5, s25, s13
	s_add_u32 s3, s3, s26
	s_addc_u32 s5, s5, s27
	s_add_u32 s12, s3, s44
	s_addc_u32 s13, s5, s45
	global_store_dword v5, v3, s[46:47]
	global_store_dword v5, v4, s[12:13]
.LBB267_294:
	s_or_b32 exec_lo, exec_lo, s4
	v_mov_b32_e32 v18, 0
	v_mov_b32_e32 v17, 0
	;; [unrolled: 1-line block ×4, first 2 shown]
	s_and_saveexec_b32 s3, s1
	s_cbranch_execz .LBB267_564
; %bb.295:
	s_sub_i32 s6, s42, s21
	s_ashr_i32 s1, s18, 31
	s_add_u32 s13, s38, s18
	s_addc_u32 s1, s39, s1
	s_abs_i32 s9, s22
	v_lshlrev_b64 v[6:7], 2, v[1:2]
	v_cvt_f32_u32_e32 v3, s9
	s_sub_i32 s4, 0, s9
	v_lshlrev_b32_e32 v5, 3, v14
	s_add_i32 s40, s40, -1
	v_lshl_add_u32 v19, v12, 5, 0x120
	v_rcp_iflag_f32_e32 v3, v3
	v_mov_b32_e32 v20, 0x80
	v_mov_b32_e32 v21, 0x7f
	;; [unrolled: 1-line block ×8, first 2 shown]
	s_mov_b32 s12, s17
	v_mul_f32_e32 v4, 0x4f7ffffe, v3
	v_mov_b32_e32 v3, 0
	v_cvt_u32_f32_e32 v2, v4
	v_mul_lo_u32 v4, s4, v2
	s_lshl_b64 s[4:5], s[36:37], 2
	v_mul_hi_u32 v8, v2, v4
	v_add_co_u32 v4, s13, s13, v5
	v_add_co_ci_u32_e64 v5, null, s1, 0, s13
	s_add_u32 s1, s34, s4
	s_addc_u32 s4, s35, s5
	v_add_co_u32 v6, vcc_lo, s1, v6
	v_add_co_ci_u32_e64 v7, null, s4, v7, vcc_lo
	v_add_nc_u32_e32 v24, v2, v8
	s_mov_b32 s4, -1
	s_mov_b32 s5, 0xffffff
	s_mov_b32 s13, 0
	s_branch .LBB267_298
.LBB267_296:                            ;   in Loop: Header=BB267_298 Depth=1
	s_or_b32 exec_lo, exec_lo, s1
	;;#ASMSTART
	v_pk_mul_f16 v25, v37, v42;

	;;#ASMEND
	;;#ASMSTART
	v_pk_mul_f16 v9, v36, v9;

	;;#ASMEND
	;; [unrolled: 4-line block ×4, first 2 shown]
	;;#ASMSTART
	v_pk_add_f16 v9, v25, v9;

	;;#ASMEND
	;;#ASMSTART
	v_pk_add_f16 v8, v9, v8;

	;;#ASMEND
	;; [unrolled: 4-line block ×3, first 2 shown]
	v_and_b32_e32 v25, 0xffff, v2
	v_lshrrev_b32_e32 v26, 16, v2
	v_add_f32_e32 v2, v10, v11
	;;#ASMSTART
	v_cvt_f32_f16 v10, v25;
	;;#ASMEND
	v_add_f32_e32 v8, v38, v39
	v_add_f32_e32 v9, v32, v33
	;;#ASMSTART
	v_cvt_f32_f16 v11, v26;
	;;#ASMEND
	v_add_f32_e32 v10, v10, v11
	v_add_f32_e32 v16, v16, v2
	;; [unrolled: 1-line block ×5, first 2 shown]
.LBB267_297:                            ;   in Loop: Header=BB267_298 Depth=1
	s_or_b32 exec_lo, exec_lo, s17
	v_add_nc_u32_e32 v1, 4, v1
	v_add_co_u32 v6, s1, v6, 16
	v_add_co_ci_u32_e64 v7, null, 0, v7, s1
	v_cmp_le_i32_e32 vcc_lo, s20, v1
	v_add_nc_u32_e32 v13, 32, v13
	v_add_nc_u32_e32 v19, 0x80, v19
	s_or_b32 s13, vcc_lo, s13
	s_andn2_b32 exec_lo, exec_lo, s13
	s_cbranch_execz .LBB267_563
.LBB267_298:                            ; =>This Inner Loop Header: Depth=1
	v_sub_nc_u32_e32 v2, 0, v13
	v_max_i32_e32 v2, v13, v2
	v_mul_hi_u32 v8, v2, s16
	v_mul_lo_u32 v9, v8, s11
	v_sub_nc_u32_e32 v2, v2, v9
	v_add_nc_u32_e32 v9, 1, v8
	v_subrev_nc_u32_e32 v10, s11, v2
	v_cmp_le_u32_e32 vcc_lo, s11, v2
	v_cndmask_b32_e32 v8, v8, v9, vcc_lo
	v_cndmask_b32_e32 v2, v2, v10, vcc_lo
	v_ashrrev_i32_e32 v9, 31, v13
	v_add_nc_u32_e32 v10, 1, v8
	v_cmp_le_u32_e32 vcc_lo, s11, v2
	v_xor_b32_e32 v9, s23, v9
	v_cndmask_b32_e32 v2, v8, v10, vcc_lo
	v_xor_b32_e32 v2, v2, v9
	v_sub_nc_u32_e32 v2, v2, v9
	v_add_nc_u32_e32 v8, s19, v2
	v_cmp_lt_i32_e64 s1, s6, v2
	v_sub_nc_u32_e32 v9, 0, v8
	v_max_i32_e32 v9, v8, v9
	v_ashrrev_i32_e32 v8, 31, v8
	v_mul_hi_u32 v10, v9, v24
	v_mul_lo_u32 v10, v10, s9
	v_sub_nc_u32_e32 v9, v9, v10
	v_subrev_nc_u32_e32 v10, s9, v9
	v_cmp_le_u32_e32 vcc_lo, s9, v9
	v_cndmask_b32_e32 v9, v9, v10, vcc_lo
	v_subrev_nc_u32_e32 v10, s9, v9
	v_cmp_le_u32_e32 vcc_lo, s9, v9
	v_cndmask_b32_e32 v9, v9, v10, vcc_lo
	v_xor_b32_e32 v9, v9, v8
	v_sub_nc_u32_e32 v8, v9, v8
	v_cmp_eq_u32_e32 vcc_lo, 0, v8
	s_or_b32 s1, vcc_lo, s1
	s_and_saveexec_b32 s17, s1
	s_cbranch_execz .LBB267_297
; %bb.299:                              ;   in Loop: Header=BB267_298 Depth=1
	global_load_dword v2, v[6:7], off
	ds_read2_b64 v[25:28], v19 offset1:1
	ds_read2_b64 v[37:40], v19 offset0:2 offset1:3
	s_waitcnt lgkmcnt(1)
	;;#ASMSTART
	v_cvt_f16_f32 v32, v25;

	;;#ASMEND
	;;#ASMSTART
	v_cvt_f16_f32 v33, v26;

	;;#ASMEND
	;; [unrolled: 4-line block ×4, first 2 shown]
	s_waitcnt lgkmcnt(0)
	;;#ASMSTART
	v_cvt_f16_f32 v37, v37;

	;;#ASMEND
	;;#ASMSTART
	v_cvt_f16_f32 v35, v38;

	;;#ASMEND
	;; [unrolled: 4-line block ×4, first 2 shown]
	v_mov_b32_e32 v26, 0
	v_mov_b32_e32 v27, 0
	global_load_dword v25, v26, s[14:15]
	s_waitcnt vmcnt(1)
	v_mad_i64_i32 v[8:9], null, v2, s12, v[4:5]
	global_load_dwordx2 v[10:11], v[8:9], off
	s_waitcnt vmcnt(0)
	v_cmp_ne_u16_sdwa s18, v10, v3 src0_sel:BYTE_0 src1_sel:DWORD
	s_and_saveexec_b32 s1, s18
	s_cbranch_execz .LBB267_307
; %bb.300:                              ;   in Loop: Header=BB267_298 Depth=1
	v_cmp_ne_u16_sdwa s21, v10, v20 src0_sel:BYTE_0 src1_sel:DWORD
	v_mov_b32_e32 v27, 0x8000
	s_and_saveexec_b32 s18, s21
	s_cbranch_execz .LBB267_306
; %bb.301:                              ;   in Loop: Header=BB267_298 Depth=1
	v_and_b32_e32 v28, 0x7f, v10
	v_mov_b32_e32 v27, 0x7c01
	s_mov_b32 s21, exec_lo
	v_cmpx_ne_u32_e32 0x7f, v28
	s_cbranch_execz .LBB267_305
; %bb.302:                              ;   in Loop: Header=BB267_298 Depth=1
	v_and_b32_e32 v2, 7, v10
	v_lshrrev_b32_e32 v27, 3, v28
	s_mov_b32 s22, exec_lo
	v_cmpx_gt_u32_e32 8, v28
; %bb.303:                              ;   in Loop: Header=BB267_298 Depth=1
	v_ffbh_u32_e32 v2, v2
	v_min_u32_e32 v2, 32, v2
	v_subrev_nc_u32_e32 v27, 28, v2
	v_lshlrev_b64 v[28:29], v27, v[10:11]
	v_sub_nc_u32_e32 v27, 29, v2
	v_and_b32_e32 v2, 7, v28
; %bb.304:                              ;   in Loop: Header=BB267_298 Depth=1
	s_or_b32 exec_lo, exec_lo, s22
	v_lshlrev_b32_e32 v28, 8, v10
	v_lshl_add_u32 v27, v27, 10, 0x2000
	v_lshlrev_b32_e32 v2, 7, v2
	v_and_b32_e32 v28, 0x8000, v28
	v_and_b32_e32 v27, 0xfc00, v27
	v_or3_b32 v27, v28, v27, v2
.LBB267_305:                            ;   in Loop: Header=BB267_298 Depth=1
	s_or_b32 exec_lo, exec_lo, s21
.LBB267_306:                            ;   in Loop: Header=BB267_298 Depth=1
	s_or_b32 exec_lo, exec_lo, s18
.LBB267_307:                            ;   in Loop: Header=BB267_298 Depth=1
	s_or_b32 exec_lo, exec_lo, s1
	v_lshrrev_b16 v2, 8, v10
	s_mov_b32 s1, exec_lo
	v_cmpx_ne_u16_e32 0, v2
	s_cbranch_execz .LBB267_315
; %bb.308:                              ;   in Loop: Header=BB267_298 Depth=1
	v_bfrev_b32_e32 v26, 1
	s_mov_b32 s18, exec_lo
	v_cmpx_ne_u16_e32 0x80, v2
	s_cbranch_execz .LBB267_314
; %bb.309:                              ;   in Loop: Header=BB267_298 Depth=1
	v_and_b32_sdwa v29, v2, v21 dst_sel:DWORD dst_unused:UNUSED_PAD src0_sel:WORD_0 src1_sel:DWORD
	v_mov_b32_e32 v26, 0x7c010000
	s_mov_b32 s21, exec_lo
	v_cmpx_ne_u32_e32 0x7f, v29
	s_cbranch_execz .LBB267_313
; %bb.310:                              ;   in Loop: Header=BB267_298 Depth=1
	v_and_b32_sdwa v26, v2, v22 dst_sel:DWORD dst_unused:UNUSED_PAD src0_sel:WORD_0 src1_sel:DWORD
	v_lshrrev_b32_e32 v28, 3, v29
	s_mov_b32 s22, exec_lo
	v_cmpx_gt_u32_e32 8, v29
; %bb.311:                              ;   in Loop: Header=BB267_298 Depth=1
	v_ffbh_u32_e32 v26, v26
	v_min_u32_e32 v26, 32, v26
	v_subrev_nc_u32_e32 v28, 28, v26
	v_lshlrev_b64 v[29:30], v28, v[2:3]
	v_sub_nc_u32_e32 v28, 29, v26
	v_and_b32_e32 v26, 7, v29
; %bb.312:                              ;   in Loop: Header=BB267_298 Depth=1
	s_or_b32 exec_lo, exec_lo, s22
	v_lshlrev_b32_sdwa v2, v23, v2 dst_sel:DWORD dst_unused:UNUSED_PAD src0_sel:DWORD src1_sel:WORD_0
	v_lshl_add_u32 v28, v28, 10, 0x2000
	v_lshlrev_b32_e32 v26, 23, v26
	v_and_or_b32 v2, 0x8000, v2, v28
	v_lshl_or_b32 v26, v2, 16, v26
.LBB267_313:                            ;   in Loop: Header=BB267_298 Depth=1
	s_or_b32 exec_lo, exec_lo, s21
.LBB267_314:                            ;   in Loop: Header=BB267_298 Depth=1
	s_or_b32 exec_lo, exec_lo, s18
.LBB267_315:                            ;   in Loop: Header=BB267_298 Depth=1
	s_or_b32 exec_lo, exec_lo, s1
	v_lshrrev_b32_e32 v2, 16, v10
	v_mov_b32_e32 v28, 0
	v_mov_b32_e32 v29, 0
	v_cmp_ne_u16_sdwa s18, v2, v3 src0_sel:BYTE_0 src1_sel:DWORD
	s_and_saveexec_b32 s1, s18
	s_cbranch_execz .LBB267_323
; %bb.316:                              ;   in Loop: Header=BB267_298 Depth=1
	v_cmp_ne_u16_sdwa s21, v2, v20 src0_sel:BYTE_0 src1_sel:DWORD
	v_mov_b32_e32 v29, 0x8000
	s_and_saveexec_b32 s18, s21
	s_cbranch_execz .LBB267_322
; %bb.317:                              ;   in Loop: Header=BB267_298 Depth=1
	v_bfe_u32 v31, v10, 16, 7
	v_mov_b32_e32 v29, 0x7c01
	s_mov_b32 s21, exec_lo
	v_cmpx_ne_u32_e32 0x7f, v31
	s_cbranch_execz .LBB267_321
; %bb.318:                              ;   in Loop: Header=BB267_298 Depth=1
	v_and_b32_e32 v29, 7, v2
	v_lshrrev_b32_e32 v30, 3, v31
	s_mov_b32 s22, exec_lo
	v_cmpx_gt_u32_e32 8, v31
; %bb.319:                              ;   in Loop: Header=BB267_298 Depth=1
	v_ffbh_u32_e32 v29, v29
	v_min_u32_e32 v31, 32, v29
	v_subrev_nc_u32_e32 v29, 28, v31
	v_lshlrev_b64 v[29:30], v29, v[2:3]
	v_sub_nc_u32_e32 v30, 29, v31
	v_and_b32_e32 v29, 7, v29
; %bb.320:                              ;   in Loop: Header=BB267_298 Depth=1
	s_or_b32 exec_lo, exec_lo, s22
	v_lshlrev_b32_e32 v2, 8, v2
	v_lshl_add_u32 v30, v30, 10, 0x2000
	v_lshlrev_b32_e32 v29, 7, v29
	v_and_b32_e32 v2, 0x8000, v2
	v_and_b32_e32 v30, 0xfc00, v30
	v_or3_b32 v29, v2, v30, v29
.LBB267_321:                            ;   in Loop: Header=BB267_298 Depth=1
	s_or_b32 exec_lo, exec_lo, s21
.LBB267_322:                            ;   in Loop: Header=BB267_298 Depth=1
	s_or_b32 exec_lo, exec_lo, s18
.LBB267_323:                            ;   in Loop: Header=BB267_298 Depth=1
	s_or_b32 exec_lo, exec_lo, s1
	s_mov_b32 s1, exec_lo
	v_cmpx_lt_u32_e32 0xffffff, v10
	s_cbranch_execz .LBB267_331
; %bb.324:                              ;   in Loop: Header=BB267_298 Depth=1
	v_lshrrev_b32_e32 v2, 24, v10
	v_bfrev_b32_e32 v28, 1
	s_mov_b32 s18, exec_lo
	v_cmpx_ne_u32_e32 0x80, v2
	s_cbranch_execz .LBB267_330
; %bb.325:                              ;   in Loop: Header=BB267_298 Depth=1
	v_and_b32_e32 v31, 0x7f, v2
	v_mov_b32_e32 v28, 0x7c010000
	s_mov_b32 s21, exec_lo
	v_cmpx_ne_u32_e32 0x7f, v31
	s_cbranch_execz .LBB267_329
; %bb.326:                              ;   in Loop: Header=BB267_298 Depth=1
	v_and_b32_e32 v28, 7, v2
	v_lshrrev_b32_e32 v30, 3, v31
	s_mov_b32 s22, exec_lo
	v_cmpx_gt_u32_e32 8, v31
; %bb.327:                              ;   in Loop: Header=BB267_298 Depth=1
	v_ffbh_u32_e32 v28, v28
	v_min_u32_e32 v28, 32, v28
	v_subrev_nc_u32_e32 v30, 28, v28
	v_lshlrev_b64 v[40:41], v30, v[2:3]
	v_sub_nc_u32_e32 v30, 29, v28
	v_and_b32_e32 v28, 7, v40
; %bb.328:                              ;   in Loop: Header=BB267_298 Depth=1
	s_or_b32 exec_lo, exec_lo, s22
	v_lshlrev_b32_e32 v2, 8, v2
	v_lshl_add_u32 v30, v30, 10, 0x2000
	v_lshlrev_b32_e32 v28, 23, v28
	v_and_or_b32 v2, 0x8000, v2, v30
	v_lshl_or_b32 v28, v2, 16, v28
.LBB267_329:                            ;   in Loop: Header=BB267_298 Depth=1
	s_or_b32 exec_lo, exec_lo, s21
.LBB267_330:                            ;   in Loop: Header=BB267_298 Depth=1
	s_or_b32 exec_lo, exec_lo, s18
.LBB267_331:                            ;   in Loop: Header=BB267_298 Depth=1
	s_or_b32 exec_lo, exec_lo, s1
	v_mov_b32_e32 v2, v11
	v_cmp_ne_u16_sdwa s18, v11, v3 src0_sel:BYTE_0 src1_sel:DWORD
	v_mov_b32_e32 v30, 0
	v_mov_b32_e32 v31, 0
	s_and_saveexec_b32 s1, s18
	s_cbranch_execz .LBB267_339
; %bb.332:                              ;   in Loop: Header=BB267_298 Depth=1
	v_cmp_ne_u16_sdwa s21, v11, v20 src0_sel:BYTE_0 src1_sel:DWORD
	v_mov_b32_e32 v31, 0x8000
	s_and_saveexec_b32 s18, s21
	s_cbranch_execz .LBB267_338
; %bb.333:                              ;   in Loop: Header=BB267_298 Depth=1
	v_and_b32_e32 v41, 0x7f, v11
	v_mov_b32_e32 v31, 0x7c01
	s_mov_b32 s21, exec_lo
	v_cmpx_ne_u32_e32 0x7f, v41
	s_cbranch_execz .LBB267_337
; %bb.334:                              ;   in Loop: Header=BB267_298 Depth=1
	v_and_b32_e32 v31, 7, v11
	v_lshrrev_b32_e32 v40, 3, v41
	s_mov_b32 s22, exec_lo
	v_cmpx_gt_u32_e32 8, v41
; %bb.335:                              ;   in Loop: Header=BB267_298 Depth=1
	v_ffbh_u32_e32 v31, v31
	v_min_u32_e32 v31, 32, v31
	v_subrev_nc_u32_e32 v40, 28, v31
	v_lshlrev_b64 v[41:42], v40, v[2:3]
	v_sub_nc_u32_e32 v40, 29, v31
	v_and_b32_e32 v31, 7, v41
; %bb.336:                              ;   in Loop: Header=BB267_298 Depth=1
	s_or_b32 exec_lo, exec_lo, s22
	v_lshlrev_b32_e32 v41, 8, v11
	v_lshl_add_u32 v40, v40, 10, 0x2000
	v_lshlrev_b32_e32 v31, 7, v31
	v_and_b32_e32 v41, 0x8000, v41
	v_and_b32_e32 v40, 0xfc00, v40
	v_or3_b32 v31, v41, v40, v31
.LBB267_337:                            ;   in Loop: Header=BB267_298 Depth=1
	s_or_b32 exec_lo, exec_lo, s21
.LBB267_338:                            ;   in Loop: Header=BB267_298 Depth=1
	s_or_b32 exec_lo, exec_lo, s18
.LBB267_339:                            ;   in Loop: Header=BB267_298 Depth=1
	s_or_b32 exec_lo, exec_lo, s1
	v_lshrrev_b16 v2, 8, v2
	v_mov_b32_e32 v40, 0
	s_mov_b32 s1, exec_lo
	v_cmpx_ne_u16_e32 0, v2
	s_cbranch_execz .LBB267_347
; %bb.340:                              ;   in Loop: Header=BB267_298 Depth=1
	v_bfrev_b32_e32 v40, 1
	s_mov_b32 s18, exec_lo
	v_cmpx_ne_u16_e32 0x80, v2
	s_cbranch_execz .LBB267_346
; %bb.341:                              ;   in Loop: Header=BB267_298 Depth=1
	v_and_b32_sdwa v42, v2, v21 dst_sel:DWORD dst_unused:UNUSED_PAD src0_sel:WORD_0 src1_sel:DWORD
	v_mov_b32_e32 v40, 0x7c010000
	s_mov_b32 s21, exec_lo
	v_cmpx_ne_u32_e32 0x7f, v42
	s_cbranch_execz .LBB267_345
; %bb.342:                              ;   in Loop: Header=BB267_298 Depth=1
	v_and_b32_sdwa v40, v2, v22 dst_sel:DWORD dst_unused:UNUSED_PAD src0_sel:WORD_0 src1_sel:DWORD
	v_lshrrev_b32_e32 v41, 3, v42
	s_mov_b32 s22, exec_lo
	v_cmpx_gt_u32_e32 8, v42
; %bb.343:                              ;   in Loop: Header=BB267_298 Depth=1
	v_ffbh_u32_e32 v40, v40
	v_min_u32_e32 v42, 32, v40
	v_subrev_nc_u32_e32 v40, 28, v42
	v_lshlrev_b64 v[40:41], v40, v[2:3]
	v_sub_nc_u32_e32 v41, 29, v42
	v_and_b32_e32 v40, 7, v40
; %bb.344:                              ;   in Loop: Header=BB267_298 Depth=1
	s_or_b32 exec_lo, exec_lo, s22
	v_lshlrev_b32_sdwa v2, v23, v2 dst_sel:DWORD dst_unused:UNUSED_PAD src0_sel:DWORD src1_sel:WORD_0
	v_lshl_add_u32 v41, v41, 10, 0x2000
	v_lshlrev_b32_e32 v40, 23, v40
	v_and_or_b32 v2, 0x8000, v2, v41
	v_lshl_or_b32 v40, v2, 16, v40
.LBB267_345:                            ;   in Loop: Header=BB267_298 Depth=1
	s_or_b32 exec_lo, exec_lo, s21
.LBB267_346:                            ;   in Loop: Header=BB267_298 Depth=1
	s_or_b32 exec_lo, exec_lo, s18
.LBB267_347:                            ;   in Loop: Header=BB267_298 Depth=1
	s_or_b32 exec_lo, exec_lo, s1
	v_lshrrev_b32_e32 v2, 16, v11
	v_cmp_ne_u16_sdwa s18, v2, v3 src0_sel:BYTE_0 src1_sel:DWORD
	s_and_saveexec_b32 s1, s18
	s_cbranch_execz .LBB267_355
; %bb.348:                              ;   in Loop: Header=BB267_298 Depth=1
	v_cmp_ne_u16_sdwa s21, v2, v20 src0_sel:BYTE_0 src1_sel:DWORD
	v_mov_b32_e32 v30, 0x8000
	s_and_saveexec_b32 s18, s21
	s_cbranch_execz .LBB267_354
; %bb.349:                              ;   in Loop: Header=BB267_298 Depth=1
	v_bfe_u32 v42, v11, 16, 7
	v_mov_b32_e32 v30, 0x7c01
	s_mov_b32 s21, exec_lo
	v_cmpx_ne_u32_e32 0x7f, v42
	s_cbranch_execz .LBB267_353
; %bb.350:                              ;   in Loop: Header=BB267_298 Depth=1
	v_and_b32_e32 v30, 7, v2
	v_lshrrev_b32_e32 v41, 3, v42
	s_mov_b32 s22, exec_lo
	v_cmpx_gt_u32_e32 8, v42
; %bb.351:                              ;   in Loop: Header=BB267_298 Depth=1
	v_ffbh_u32_e32 v30, v30
	v_min_u32_e32 v30, 32, v30
	v_subrev_nc_u32_e32 v41, 28, v30
	v_lshlrev_b64 v[42:43], v41, v[2:3]
	v_sub_nc_u32_e32 v41, 29, v30
	v_and_b32_e32 v30, 7, v42
; %bb.352:                              ;   in Loop: Header=BB267_298 Depth=1
	s_or_b32 exec_lo, exec_lo, s22
	v_lshlrev_b32_e32 v2, 8, v2
	v_lshl_add_u32 v41, v41, 10, 0x2000
	v_lshlrev_b32_e32 v30, 7, v30
	v_and_b32_e32 v2, 0x8000, v2
	v_and_b32_e32 v41, 0xfc00, v41
	v_or3_b32 v30, v2, v41, v30
.LBB267_353:                            ;   in Loop: Header=BB267_298 Depth=1
	s_or_b32 exec_lo, exec_lo, s21
.LBB267_354:                            ;   in Loop: Header=BB267_298 Depth=1
	s_or_b32 exec_lo, exec_lo, s18
.LBB267_355:                            ;   in Loop: Header=BB267_298 Depth=1
	s_or_b32 exec_lo, exec_lo, s1
	v_cmp_lt_u64_e32 vcc_lo, s[4:5], v[10:11]
	v_mov_b32_e32 v10, 0
	s_and_saveexec_b32 s1, vcc_lo
	s_cbranch_execz .LBB267_363
; %bb.356:                              ;   in Loop: Header=BB267_298 Depth=1
	v_lshrrev_b32_e32 v2, 24, v11
	v_bfrev_b32_e32 v10, 1
	s_mov_b32 s18, exec_lo
	v_cmpx_ne_u32_e32 0x80, v2
	s_cbranch_execz .LBB267_362
; %bb.357:                              ;   in Loop: Header=BB267_298 Depth=1
	v_and_b32_e32 v41, 0x7f, v2
	v_mov_b32_e32 v10, 0x7c010000
	s_mov_b32 s21, exec_lo
	v_cmpx_ne_u32_e32 0x7f, v41
	s_cbranch_execz .LBB267_361
; %bb.358:                              ;   in Loop: Header=BB267_298 Depth=1
	v_and_b32_e32 v10, 7, v2
	v_lshrrev_b32_e32 v11, 3, v41
	s_mov_b32 s22, exec_lo
	v_cmpx_gt_u32_e32 8, v41
; %bb.359:                              ;   in Loop: Header=BB267_298 Depth=1
	v_ffbh_u32_e32 v10, v10
	v_min_u32_e32 v41, 32, v10
	v_subrev_nc_u32_e32 v10, 28, v41
	v_lshlrev_b64 v[10:11], v10, v[2:3]
	v_sub_nc_u32_e32 v11, 29, v41
	v_and_b32_e32 v10, 7, v10
; %bb.360:                              ;   in Loop: Header=BB267_298 Depth=1
	s_or_b32 exec_lo, exec_lo, s22
	v_lshlrev_b32_e32 v2, 8, v2
	v_lshl_add_u32 v11, v11, 10, 0x2000
	v_lshlrev_b32_e32 v10, 23, v10
	v_and_or_b32 v2, 0x8000, v2, v11
	v_lshl_or_b32 v10, v2, 16, v10
.LBB267_361:                            ;   in Loop: Header=BB267_298 Depth=1
	s_or_b32 exec_lo, exec_lo, s21
.LBB267_362:                            ;   in Loop: Header=BB267_298 Depth=1
	s_or_b32 exec_lo, exec_lo, s18
.LBB267_363:                            ;   in Loop: Header=BB267_298 Depth=1
	s_or_b32 exec_lo, exec_lo, s1
	v_or_b32_e32 v2, v28, v29
	v_fma_mixlo_f16 v11, v25, v28, 0 op_sel:[0,1,0] op_sel_hi:[0,1,0]
	v_or_b32_e32 v27, v26, v27
	v_fma_mixlo_f16 v26, v25, v26, 0 op_sel:[0,1,0] op_sel_hi:[0,1,0]
	v_or_b32_e32 v28, v40, v31
	v_fma_mixlo_f16 v2, v25, v2, 0 op_sel_hi:[0,1,0]
	v_or_b32_e32 v29, v10, v30
	v_fma_mixlo_f16 v10, v25, v10, 0 op_sel:[0,1,0] op_sel_hi:[0,1,0]
	v_lshlrev_b32_e32 v46, 16, v26
	v_fma_mixlo_f16 v26, v25, v27, 0 op_sel_hi:[0,1,0]
	v_and_b32_e32 v43, 0xffff, v2
	v_fma_mixlo_f16 v2, v25, v40, 0 op_sel:[0,1,0] op_sel_hi:[0,1,0]
	v_fma_mixlo_f16 v27, v25, v28, 0 op_sel_hi:[0,1,0]
	v_fma_mixlo_f16 v25, v25, v29, 0 op_sel_hi:[0,1,0]
	v_lshlrev_b32_e32 v11, 16, v11
	v_and_b32_e32 v48, 0xffff, v26
	v_lshlrev_b32_e32 v44, 16, v2
	v_and_b32_e32 v47, 0xffff, v27
	;; [unrolled: 2-line block ×3, first 2 shown]
	v_cmp_eq_u32_e32 vcc_lo, s40, v1
	v_or_b32_e32 v2, v11, v43
	v_or_b32_e32 v10, v46, v48
	;; [unrolled: 1-line block ×4, first 2 shown]
	v_add_nc_u32_e32 v31, 1, v13
	v_add_nc_u32_e32 v30, 2, v13
	;; [unrolled: 1-line block ×7, first 2 shown]
	s_and_saveexec_b32 s18, vcc_lo
	s_cbranch_execz .LBB267_365
; %bb.364:                              ;   in Loop: Header=BB267_298 Depth=1
	v_cmp_gt_i32_e64 s1, s31, v13
	v_cndmask_b32_e64 v2, 0, v48, s1
	v_cmp_gt_i32_e64 s1, s31, v31
	v_cndmask_b32_e64 v10, 0, v46, s1
	v_cmp_gt_i32_e64 s1, s31, v30
	v_or_b32_e32 v10, v10, v2
	v_cndmask_b32_e64 v40, 0, v43, s1
	v_cmp_gt_i32_e64 s1, s31, v29
	v_cndmask_b32_e64 v11, 0, v11, s1
	v_cmp_gt_i32_e64 s1, s31, v28
	v_or_b32_e32 v2, v11, v40
	;; [unrolled: 5-line block ×3, first 2 shown]
	v_cndmask_b32_e64 v44, 0, v45, s1
	v_cmp_gt_i32_e64 s1, s31, v25
	v_cndmask_b32_e64 v41, 0, v41, s1
	v_or_b32_e32 v42, v41, v44
.LBB267_365:                            ;   in Loop: Header=BB267_298 Depth=1
	s_or_b32 exec_lo, exec_lo, s18
	v_and_b32_e32 v11, 0xffff, v32
	v_and_b32_e32 v32, 0xffff, v36
	;; [unrolled: 1-line block ×4, first 2 shown]
	v_lshl_or_b32 v37, v33, 16, v11
	v_lshl_or_b32 v36, v34, 16, v32
	;;#ASMSTART
	v_pk_mul_f16 v10, v37, v10;

	;;#ASMEND
	;;#ASMSTART
	v_pk_mul_f16 v2, v36, v2;

	;;#ASMEND
	v_lshl_or_b32 v35, v35, 16, v41
	v_lshl_or_b32 v34, v38, 16, v39
	;;#ASMSTART
	v_pk_mul_f16 v11, v35, v40;

	;;#ASMEND
	;;#ASMSTART
	v_pk_mul_f16 v32, v34, v42;

	;;#ASMEND
	;;#ASMSTART
	v_pk_add_f16 v2, v10, v2;

	;;#ASMEND
	;;#ASMSTART
	v_pk_add_f16 v2, v2, v11;
	;; [unrolled: 4-line block ×3, first 2 shown]

	;;#ASMEND
	v_and_b32_e32 v10, 0xffff, v2
	v_lshrrev_b32_e32 v2, 16, v2
	;;#ASMSTART
	v_cvt_f32_f16 v32, v10;
	;;#ASMEND
	;;#ASMSTART
	v_cvt_f32_f16 v33, v2;
	;;#ASMEND
	global_load_dwordx2 v[10:11], v[8:9], off offset:256
	v_mov_b32_e32 v39, 0
	v_mov_b32_e32 v40, 0
	global_load_dword v38, v39, s[14:15]
	s_waitcnt vmcnt(1)
	v_cmp_ne_u16_sdwa s1, v10, v3 src0_sel:BYTE_0 src1_sel:DWORD
	s_and_saveexec_b32 s18, s1
	s_cbranch_execz .LBB267_373
; %bb.366:                              ;   in Loop: Header=BB267_298 Depth=1
	v_cmp_ne_u16_sdwa s1, v10, v20 src0_sel:BYTE_0 src1_sel:DWORD
	v_mov_b32_e32 v40, 0x8000
	s_and_saveexec_b32 s21, s1
	s_cbranch_execz .LBB267_372
; %bb.367:                              ;   in Loop: Header=BB267_298 Depth=1
	v_and_b32_e32 v41, 0x7f, v10
	v_mov_b32_e32 v40, 0x7c01
	s_mov_b32 s22, exec_lo
	v_cmpx_ne_u32_e32 0x7f, v41
	s_cbranch_execz .LBB267_371
; %bb.368:                              ;   in Loop: Header=BB267_298 Depth=1
	v_and_b32_e32 v2, 7, v10
	v_lshrrev_b32_e32 v40, 3, v41
	s_mov_b32 s24, exec_lo
	v_cmpx_gt_u32_e32 8, v41
; %bb.369:                              ;   in Loop: Header=BB267_298 Depth=1
	v_ffbh_u32_e32 v2, v2
	v_min_u32_e32 v2, 32, v2
	v_subrev_nc_u32_e32 v40, 28, v2
	v_lshlrev_b64 v[41:42], v40, v[10:11]
	v_sub_nc_u32_e32 v40, 29, v2
	v_and_b32_e32 v2, 7, v41
; %bb.370:                              ;   in Loop: Header=BB267_298 Depth=1
	s_or_b32 exec_lo, exec_lo, s24
	v_lshlrev_b32_e32 v41, 8, v10
	v_lshl_add_u32 v40, v40, 10, 0x2000
	v_lshlrev_b32_e32 v2, 7, v2
	v_and_b32_e32 v41, 0x8000, v41
	v_and_b32_e32 v40, 0xfc00, v40
	v_or3_b32 v40, v41, v40, v2
.LBB267_371:                            ;   in Loop: Header=BB267_298 Depth=1
	s_or_b32 exec_lo, exec_lo, s22
.LBB267_372:                            ;   in Loop: Header=BB267_298 Depth=1
	s_or_b32 exec_lo, exec_lo, s21
.LBB267_373:                            ;   in Loop: Header=BB267_298 Depth=1
	s_or_b32 exec_lo, exec_lo, s18
	v_lshrrev_b16 v2, 8, v10
	s_mov_b32 s18, exec_lo
	v_cmpx_ne_u16_e32 0, v2
	s_cbranch_execz .LBB267_381
; %bb.374:                              ;   in Loop: Header=BB267_298 Depth=1
	v_bfrev_b32_e32 v39, 1
	s_mov_b32 s21, exec_lo
	v_cmpx_ne_u16_e32 0x80, v2
	s_cbranch_execz .LBB267_380
; %bb.375:                              ;   in Loop: Header=BB267_298 Depth=1
	v_and_b32_sdwa v42, v2, v21 dst_sel:DWORD dst_unused:UNUSED_PAD src0_sel:WORD_0 src1_sel:DWORD
	v_mov_b32_e32 v39, 0x7c010000
	s_mov_b32 s22, exec_lo
	v_cmpx_ne_u32_e32 0x7f, v42
	s_cbranch_execz .LBB267_379
; %bb.376:                              ;   in Loop: Header=BB267_298 Depth=1
	v_and_b32_sdwa v39, v2, v22 dst_sel:DWORD dst_unused:UNUSED_PAD src0_sel:WORD_0 src1_sel:DWORD
	v_lshrrev_b32_e32 v41, 3, v42
	s_mov_b32 s24, exec_lo
	v_cmpx_gt_u32_e32 8, v42
; %bb.377:                              ;   in Loop: Header=BB267_298 Depth=1
	v_ffbh_u32_e32 v39, v39
	v_min_u32_e32 v39, 32, v39
	v_subrev_nc_u32_e32 v41, 28, v39
	v_lshlrev_b64 v[42:43], v41, v[2:3]
	v_sub_nc_u32_e32 v41, 29, v39
	v_and_b32_e32 v39, 7, v42
; %bb.378:                              ;   in Loop: Header=BB267_298 Depth=1
	s_or_b32 exec_lo, exec_lo, s24
	v_lshlrev_b32_sdwa v2, v23, v2 dst_sel:DWORD dst_unused:UNUSED_PAD src0_sel:DWORD src1_sel:WORD_0
	v_lshl_add_u32 v41, v41, 10, 0x2000
	v_lshlrev_b32_e32 v39, 23, v39
	v_and_or_b32 v2, 0x8000, v2, v41
	v_lshl_or_b32 v39, v2, 16, v39
.LBB267_379:                            ;   in Loop: Header=BB267_298 Depth=1
	s_or_b32 exec_lo, exec_lo, s22
.LBB267_380:                            ;   in Loop: Header=BB267_298 Depth=1
	s_or_b32 exec_lo, exec_lo, s21
.LBB267_381:                            ;   in Loop: Header=BB267_298 Depth=1
	s_or_b32 exec_lo, exec_lo, s18
	v_lshrrev_b32_e32 v2, 16, v10
	v_mov_b32_e32 v41, 0
	v_mov_b32_e32 v42, 0
	v_cmp_ne_u16_sdwa s1, v2, v3 src0_sel:BYTE_0 src1_sel:DWORD
	s_and_saveexec_b32 s18, s1
	s_cbranch_execz .LBB267_389
; %bb.382:                              ;   in Loop: Header=BB267_298 Depth=1
	v_cmp_ne_u16_sdwa s1, v2, v20 src0_sel:BYTE_0 src1_sel:DWORD
	v_mov_b32_e32 v42, 0x8000
	s_and_saveexec_b32 s21, s1
	s_cbranch_execz .LBB267_388
; %bb.383:                              ;   in Loop: Header=BB267_298 Depth=1
	v_bfe_u32 v44, v10, 16, 7
	v_mov_b32_e32 v42, 0x7c01
	s_mov_b32 s22, exec_lo
	v_cmpx_ne_u32_e32 0x7f, v44
	s_cbranch_execz .LBB267_387
; %bb.384:                              ;   in Loop: Header=BB267_298 Depth=1
	v_and_b32_e32 v42, 7, v2
	v_lshrrev_b32_e32 v43, 3, v44
	s_mov_b32 s24, exec_lo
	v_cmpx_gt_u32_e32 8, v44
; %bb.385:                              ;   in Loop: Header=BB267_298 Depth=1
	v_ffbh_u32_e32 v42, v42
	v_min_u32_e32 v44, 32, v42
	v_subrev_nc_u32_e32 v42, 28, v44
	v_lshlrev_b64 v[42:43], v42, v[2:3]
	v_sub_nc_u32_e32 v43, 29, v44
	v_and_b32_e32 v42, 7, v42
; %bb.386:                              ;   in Loop: Header=BB267_298 Depth=1
	s_or_b32 exec_lo, exec_lo, s24
	v_lshlrev_b32_e32 v2, 8, v2
	v_lshl_add_u32 v43, v43, 10, 0x2000
	v_lshlrev_b32_e32 v42, 7, v42
	v_and_b32_e32 v2, 0x8000, v2
	v_and_b32_e32 v43, 0xfc00, v43
	v_or3_b32 v42, v2, v43, v42
.LBB267_387:                            ;   in Loop: Header=BB267_298 Depth=1
	s_or_b32 exec_lo, exec_lo, s22
.LBB267_388:                            ;   in Loop: Header=BB267_298 Depth=1
	s_or_b32 exec_lo, exec_lo, s21
.LBB267_389:                            ;   in Loop: Header=BB267_298 Depth=1
	s_or_b32 exec_lo, exec_lo, s18
	s_mov_b32 s18, exec_lo
	v_cmpx_lt_u32_e32 0xffffff, v10
	s_cbranch_execz .LBB267_397
; %bb.390:                              ;   in Loop: Header=BB267_298 Depth=1
	v_lshrrev_b32_e32 v2, 24, v10
	v_bfrev_b32_e32 v41, 1
	s_mov_b32 s21, exec_lo
	v_cmpx_ne_u32_e32 0x80, v2
	s_cbranch_execz .LBB267_396
; %bb.391:                              ;   in Loop: Header=BB267_298 Depth=1
	v_and_b32_e32 v44, 0x7f, v2
	v_mov_b32_e32 v41, 0x7c010000
	s_mov_b32 s22, exec_lo
	v_cmpx_ne_u32_e32 0x7f, v44
	s_cbranch_execz .LBB267_395
; %bb.392:                              ;   in Loop: Header=BB267_298 Depth=1
	v_and_b32_e32 v41, 7, v2
	v_lshrrev_b32_e32 v43, 3, v44
	s_mov_b32 s24, exec_lo
	v_cmpx_gt_u32_e32 8, v44
; %bb.393:                              ;   in Loop: Header=BB267_298 Depth=1
	v_ffbh_u32_e32 v41, v41
	v_min_u32_e32 v41, 32, v41
	v_subrev_nc_u32_e32 v43, 28, v41
	v_lshlrev_b64 v[44:45], v43, v[2:3]
	v_sub_nc_u32_e32 v43, 29, v41
	v_and_b32_e32 v41, 7, v44
; %bb.394:                              ;   in Loop: Header=BB267_298 Depth=1
	s_or_b32 exec_lo, exec_lo, s24
	v_lshlrev_b32_e32 v2, 8, v2
	v_lshl_add_u32 v43, v43, 10, 0x2000
	v_lshlrev_b32_e32 v41, 23, v41
	v_and_or_b32 v2, 0x8000, v2, v43
	v_lshl_or_b32 v41, v2, 16, v41
.LBB267_395:                            ;   in Loop: Header=BB267_298 Depth=1
	s_or_b32 exec_lo, exec_lo, s22
.LBB267_396:                            ;   in Loop: Header=BB267_298 Depth=1
	s_or_b32 exec_lo, exec_lo, s21
.LBB267_397:                            ;   in Loop: Header=BB267_298 Depth=1
	s_or_b32 exec_lo, exec_lo, s18
	v_mov_b32_e32 v2, v11
	v_cmp_ne_u16_sdwa s1, v11, v3 src0_sel:BYTE_0 src1_sel:DWORD
	v_mov_b32_e32 v43, 0
	v_mov_b32_e32 v44, 0
	s_and_saveexec_b32 s18, s1
	s_cbranch_execz .LBB267_405
; %bb.398:                              ;   in Loop: Header=BB267_298 Depth=1
	v_cmp_ne_u16_sdwa s1, v11, v20 src0_sel:BYTE_0 src1_sel:DWORD
	v_mov_b32_e32 v44, 0x8000
	s_and_saveexec_b32 s21, s1
	s_cbranch_execz .LBB267_404
; %bb.399:                              ;   in Loop: Header=BB267_298 Depth=1
	v_and_b32_e32 v46, 0x7f, v11
	v_mov_b32_e32 v44, 0x7c01
	s_mov_b32 s22, exec_lo
	v_cmpx_ne_u32_e32 0x7f, v46
	s_cbranch_execz .LBB267_403
; %bb.400:                              ;   in Loop: Header=BB267_298 Depth=1
	v_and_b32_e32 v44, 7, v11
	v_lshrrev_b32_e32 v45, 3, v46
	s_mov_b32 s24, exec_lo
	v_cmpx_gt_u32_e32 8, v46
; %bb.401:                              ;   in Loop: Header=BB267_298 Depth=1
	v_ffbh_u32_e32 v44, v44
	v_min_u32_e32 v46, 32, v44
	v_subrev_nc_u32_e32 v44, 28, v46
	v_lshlrev_b64 v[44:45], v44, v[2:3]
	v_sub_nc_u32_e32 v45, 29, v46
	v_and_b32_e32 v44, 7, v44
; %bb.402:                              ;   in Loop: Header=BB267_298 Depth=1
	s_or_b32 exec_lo, exec_lo, s24
	v_lshlrev_b32_e32 v46, 8, v11
	v_lshl_add_u32 v45, v45, 10, 0x2000
	v_lshlrev_b32_e32 v44, 7, v44
	v_and_b32_e32 v46, 0x8000, v46
	v_and_b32_e32 v45, 0xfc00, v45
	v_or3_b32 v44, v46, v45, v44
.LBB267_403:                            ;   in Loop: Header=BB267_298 Depth=1
	s_or_b32 exec_lo, exec_lo, s22
.LBB267_404:                            ;   in Loop: Header=BB267_298 Depth=1
	s_or_b32 exec_lo, exec_lo, s21
.LBB267_405:                            ;   in Loop: Header=BB267_298 Depth=1
	s_or_b32 exec_lo, exec_lo, s18
	v_lshrrev_b16 v2, 8, v2
	v_mov_b32_e32 v45, 0
	s_mov_b32 s18, exec_lo
	v_cmpx_ne_u16_e32 0, v2
	s_cbranch_execz .LBB267_413
; %bb.406:                              ;   in Loop: Header=BB267_298 Depth=1
	v_bfrev_b32_e32 v45, 1
	s_mov_b32 s21, exec_lo
	v_cmpx_ne_u16_e32 0x80, v2
	s_cbranch_execz .LBB267_412
; %bb.407:                              ;   in Loop: Header=BB267_298 Depth=1
	v_and_b32_sdwa v47, v2, v21 dst_sel:DWORD dst_unused:UNUSED_PAD src0_sel:WORD_0 src1_sel:DWORD
	v_mov_b32_e32 v45, 0x7c010000
	s_mov_b32 s22, exec_lo
	v_cmpx_ne_u32_e32 0x7f, v47
	s_cbranch_execz .LBB267_411
; %bb.408:                              ;   in Loop: Header=BB267_298 Depth=1
	v_and_b32_sdwa v45, v2, v22 dst_sel:DWORD dst_unused:UNUSED_PAD src0_sel:WORD_0 src1_sel:DWORD
	v_lshrrev_b32_e32 v46, 3, v47
	s_mov_b32 s24, exec_lo
	v_cmpx_gt_u32_e32 8, v47
; %bb.409:                              ;   in Loop: Header=BB267_298 Depth=1
	v_ffbh_u32_e32 v45, v45
	v_min_u32_e32 v47, 32, v45
	v_subrev_nc_u32_e32 v45, 28, v47
	v_lshlrev_b64 v[45:46], v45, v[2:3]
	v_sub_nc_u32_e32 v46, 29, v47
	v_and_b32_e32 v45, 7, v45
; %bb.410:                              ;   in Loop: Header=BB267_298 Depth=1
	s_or_b32 exec_lo, exec_lo, s24
	v_lshlrev_b32_sdwa v2, v23, v2 dst_sel:DWORD dst_unused:UNUSED_PAD src0_sel:DWORD src1_sel:WORD_0
	v_lshl_add_u32 v46, v46, 10, 0x2000
	v_lshlrev_b32_e32 v45, 23, v45
	v_and_or_b32 v2, 0x8000, v2, v46
	v_lshl_or_b32 v45, v2, 16, v45
.LBB267_411:                            ;   in Loop: Header=BB267_298 Depth=1
	s_or_b32 exec_lo, exec_lo, s22
.LBB267_412:                            ;   in Loop: Header=BB267_298 Depth=1
	s_or_b32 exec_lo, exec_lo, s21
.LBB267_413:                            ;   in Loop: Header=BB267_298 Depth=1
	s_or_b32 exec_lo, exec_lo, s18
	v_lshrrev_b32_e32 v2, 16, v11
	v_cmp_ne_u16_sdwa s1, v2, v3 src0_sel:BYTE_0 src1_sel:DWORD
	s_and_saveexec_b32 s18, s1
	s_cbranch_execz .LBB267_421
; %bb.414:                              ;   in Loop: Header=BB267_298 Depth=1
	v_cmp_ne_u16_sdwa s1, v2, v20 src0_sel:BYTE_0 src1_sel:DWORD
	v_mov_b32_e32 v43, 0x8000
	s_and_saveexec_b32 s21, s1
	s_cbranch_execz .LBB267_420
; %bb.415:                              ;   in Loop: Header=BB267_298 Depth=1
	v_bfe_u32 v47, v11, 16, 7
	v_mov_b32_e32 v43, 0x7c01
	s_mov_b32 s22, exec_lo
	v_cmpx_ne_u32_e32 0x7f, v47
	s_cbranch_execz .LBB267_419
; %bb.416:                              ;   in Loop: Header=BB267_298 Depth=1
	v_and_b32_e32 v43, 7, v2
	v_lshrrev_b32_e32 v46, 3, v47
	s_mov_b32 s24, exec_lo
	v_cmpx_gt_u32_e32 8, v47
; %bb.417:                              ;   in Loop: Header=BB267_298 Depth=1
	v_ffbh_u32_e32 v43, v43
	v_min_u32_e32 v43, 32, v43
	v_subrev_nc_u32_e32 v46, 28, v43
	v_lshlrev_b64 v[47:48], v46, v[2:3]
	v_sub_nc_u32_e32 v46, 29, v43
	v_and_b32_e32 v43, 7, v47
; %bb.418:                              ;   in Loop: Header=BB267_298 Depth=1
	s_or_b32 exec_lo, exec_lo, s24
	v_lshlrev_b32_e32 v2, 8, v2
	v_lshl_add_u32 v46, v46, 10, 0x2000
	v_lshlrev_b32_e32 v43, 7, v43
	v_and_b32_e32 v2, 0x8000, v2
	v_and_b32_e32 v46, 0xfc00, v46
	v_or3_b32 v43, v2, v46, v43
.LBB267_419:                            ;   in Loop: Header=BB267_298 Depth=1
	s_or_b32 exec_lo, exec_lo, s22
.LBB267_420:                            ;   in Loop: Header=BB267_298 Depth=1
	s_or_b32 exec_lo, exec_lo, s21
.LBB267_421:                            ;   in Loop: Header=BB267_298 Depth=1
	s_or_b32 exec_lo, exec_lo, s18
	v_cmp_lt_u64_e64 s1, s[4:5], v[10:11]
	v_mov_b32_e32 v10, 0
	s_and_saveexec_b32 s18, s1
	s_cbranch_execz .LBB267_429
; %bb.422:                              ;   in Loop: Header=BB267_298 Depth=1
	v_lshrrev_b32_e32 v2, 24, v11
	v_bfrev_b32_e32 v10, 1
	s_mov_b32 s21, exec_lo
	v_cmpx_ne_u32_e32 0x80, v2
	s_cbranch_execz .LBB267_428
; %bb.423:                              ;   in Loop: Header=BB267_298 Depth=1
	v_and_b32_e32 v46, 0x7f, v2
	v_mov_b32_e32 v10, 0x7c010000
	s_mov_b32 s22, exec_lo
	v_cmpx_ne_u32_e32 0x7f, v46
	s_cbranch_execz .LBB267_427
; %bb.424:                              ;   in Loop: Header=BB267_298 Depth=1
	v_and_b32_e32 v10, 7, v2
	v_lshrrev_b32_e32 v11, 3, v46
	s_mov_b32 s24, exec_lo
	v_cmpx_gt_u32_e32 8, v46
; %bb.425:                              ;   in Loop: Header=BB267_298 Depth=1
	v_ffbh_u32_e32 v10, v10
	v_min_u32_e32 v46, 32, v10
	v_subrev_nc_u32_e32 v10, 28, v46
	v_lshlrev_b64 v[10:11], v10, v[2:3]
	v_sub_nc_u32_e32 v11, 29, v46
	v_and_b32_e32 v10, 7, v10
; %bb.426:                              ;   in Loop: Header=BB267_298 Depth=1
	s_or_b32 exec_lo, exec_lo, s24
	v_lshlrev_b32_e32 v2, 8, v2
	v_lshl_add_u32 v11, v11, 10, 0x2000
	v_lshlrev_b32_e32 v10, 23, v10
	v_and_or_b32 v2, 0x8000, v2, v11
	v_lshl_or_b32 v10, v2, 16, v10
.LBB267_427:                            ;   in Loop: Header=BB267_298 Depth=1
	s_or_b32 exec_lo, exec_lo, s22
.LBB267_428:                            ;   in Loop: Header=BB267_298 Depth=1
	s_or_b32 exec_lo, exec_lo, s21
.LBB267_429:                            ;   in Loop: Header=BB267_298 Depth=1
	s_or_b32 exec_lo, exec_lo, s18
	v_or_b32_e32 v2, v41, v42
	s_waitcnt vmcnt(0)
	v_fma_mixlo_f16 v11, v38, v41, 0 op_sel:[0,1,0] op_sel_hi:[0,1,0]
	v_or_b32_e32 v41, v39, v40
	v_fma_mixlo_f16 v39, v38, v39, 0 op_sel:[0,1,0] op_sel_hi:[0,1,0]
	v_or_b32_e32 v42, v45, v44
	v_or_b32_e32 v43, v10, v43
	v_fma_mixlo_f16 v44, v38, v2, 0 op_sel_hi:[0,1,0]
	v_fma_mixlo_f16 v10, v38, v10, 0 op_sel:[0,1,0] op_sel_hi:[0,1,0]
	v_lshlrev_b32_e32 v40, 16, v39
	v_fma_mixlo_f16 v39, v38, v41, 0 op_sel_hi:[0,1,0]
	v_fma_mixlo_f16 v41, v38, v45, 0 op_sel:[0,1,0] op_sel_hi:[0,1,0]
	v_fma_mixlo_f16 v42, v38, v42, 0 op_sel_hi:[0,1,0]
	v_fma_mixlo_f16 v43, v38, v43, 0 op_sel_hi:[0,1,0]
	v_lshlrev_b32_e32 v2, 16, v11
	v_and_b32_e32 v11, 0xffff, v44
	v_and_b32_e32 v46, 0xffff, v39
	v_lshlrev_b32_e32 v38, 16, v41
	v_and_b32_e32 v42, 0xffff, v42
	v_lshlrev_b32_e32 v10, 16, v10
	v_and_b32_e32 v39, 0xffff, v43
	v_or_b32_e32 v41, v2, v11
	v_or_b32_e32 v45, v40, v46
	;; [unrolled: 1-line block ×4, first 2 shown]
	s_and_saveexec_b32 s18, vcc_lo
	s_cbranch_execz .LBB267_431
; %bb.430:                              ;   in Loop: Header=BB267_298 Depth=1
	v_cmp_gt_i32_e64 s1, s31, v13
	v_cndmask_b32_e64 v41, 0, v46, s1
	v_cmp_gt_i32_e64 s1, s31, v31
	v_cndmask_b32_e64 v40, 0, v40, s1
	v_cmp_gt_i32_e64 s1, s31, v30
	v_or_b32_e32 v45, v40, v41
	v_cndmask_b32_e64 v11, 0, v11, s1
	v_cmp_gt_i32_e64 s1, s31, v29
	v_cndmask_b32_e64 v2, 0, v2, s1
	v_cmp_gt_i32_e64 s1, s31, v28
	v_or_b32_e32 v41, v2, v11
	;; [unrolled: 5-line block ×3, first 2 shown]
	v_cndmask_b32_e64 v39, 0, v39, s1
	v_cmp_gt_i32_e64 s1, s31, v25
	v_cndmask_b32_e64 v10, 0, v10, s1
	v_or_b32_e32 v43, v10, v39
.LBB267_431:                            ;   in Loop: Header=BB267_298 Depth=1
	s_or_b32 exec_lo, exec_lo, s18
	;;#ASMSTART
	v_pk_mul_f16 v2, v37, v45;

	;;#ASMEND
	;;#ASMSTART
	v_pk_mul_f16 v10, v36, v41;

	;;#ASMEND
	;; [unrolled: 4-line block ×4, first 2 shown]
	;;#ASMSTART
	v_pk_add_f16 v2, v2, v10;

	;;#ASMEND
	;;#ASMSTART
	v_pk_add_f16 v2, v2, v11;

	;;#ASMEND
	;; [unrolled: 4-line block ×3, first 2 shown]
	v_and_b32_e32 v10, 0xffff, v2
	v_lshrrev_b32_e32 v2, 16, v2
	;;#ASMSTART
	v_cvt_f32_f16 v38, v10;
	;;#ASMEND
	;;#ASMSTART
	v_cvt_f32_f16 v39, v2;
	;;#ASMEND
	global_load_dwordx2 v[10:11], v[8:9], off offset:512
	v_mov_b32_e32 v41, 0
	v_mov_b32_e32 v42, 0
	global_load_dword v40, v41, s[14:15]
	s_waitcnt vmcnt(1)
	v_cmp_ne_u16_sdwa s1, v10, v3 src0_sel:BYTE_0 src1_sel:DWORD
	s_and_saveexec_b32 s18, s1
	s_cbranch_execz .LBB267_439
; %bb.432:                              ;   in Loop: Header=BB267_298 Depth=1
	v_cmp_ne_u16_sdwa s1, v10, v20 src0_sel:BYTE_0 src1_sel:DWORD
	v_mov_b32_e32 v42, 0x8000
	s_and_saveexec_b32 s21, s1
	s_cbranch_execz .LBB267_438
; %bb.433:                              ;   in Loop: Header=BB267_298 Depth=1
	v_and_b32_e32 v43, 0x7f, v10
	v_mov_b32_e32 v42, 0x7c01
	s_mov_b32 s22, exec_lo
	v_cmpx_ne_u32_e32 0x7f, v43
	s_cbranch_execz .LBB267_437
; %bb.434:                              ;   in Loop: Header=BB267_298 Depth=1
	v_and_b32_e32 v2, 7, v10
	v_lshrrev_b32_e32 v42, 3, v43
	s_mov_b32 s24, exec_lo
	v_cmpx_gt_u32_e32 8, v43
; %bb.435:                              ;   in Loop: Header=BB267_298 Depth=1
	v_ffbh_u32_e32 v2, v2
	v_min_u32_e32 v2, 32, v2
	v_subrev_nc_u32_e32 v42, 28, v2
	v_lshlrev_b64 v[43:44], v42, v[10:11]
	v_sub_nc_u32_e32 v42, 29, v2
	v_and_b32_e32 v2, 7, v43
; %bb.436:                              ;   in Loop: Header=BB267_298 Depth=1
	s_or_b32 exec_lo, exec_lo, s24
	v_lshlrev_b32_e32 v43, 8, v10
	v_lshl_add_u32 v42, v42, 10, 0x2000
	v_lshlrev_b32_e32 v2, 7, v2
	v_and_b32_e32 v43, 0x8000, v43
	v_and_b32_e32 v42, 0xfc00, v42
	v_or3_b32 v42, v43, v42, v2
.LBB267_437:                            ;   in Loop: Header=BB267_298 Depth=1
	s_or_b32 exec_lo, exec_lo, s22
.LBB267_438:                            ;   in Loop: Header=BB267_298 Depth=1
	s_or_b32 exec_lo, exec_lo, s21
.LBB267_439:                            ;   in Loop: Header=BB267_298 Depth=1
	s_or_b32 exec_lo, exec_lo, s18
	v_lshrrev_b16 v2, 8, v10
	s_mov_b32 s18, exec_lo
	v_cmpx_ne_u16_e32 0, v2
	s_cbranch_execz .LBB267_447
; %bb.440:                              ;   in Loop: Header=BB267_298 Depth=1
	v_bfrev_b32_e32 v41, 1
	s_mov_b32 s21, exec_lo
	v_cmpx_ne_u16_e32 0x80, v2
	s_cbranch_execz .LBB267_446
; %bb.441:                              ;   in Loop: Header=BB267_298 Depth=1
	v_and_b32_sdwa v44, v2, v21 dst_sel:DWORD dst_unused:UNUSED_PAD src0_sel:WORD_0 src1_sel:DWORD
	v_mov_b32_e32 v41, 0x7c010000
	s_mov_b32 s22, exec_lo
	v_cmpx_ne_u32_e32 0x7f, v44
	s_cbranch_execz .LBB267_445
; %bb.442:                              ;   in Loop: Header=BB267_298 Depth=1
	v_and_b32_sdwa v41, v2, v22 dst_sel:DWORD dst_unused:UNUSED_PAD src0_sel:WORD_0 src1_sel:DWORD
	v_lshrrev_b32_e32 v43, 3, v44
	s_mov_b32 s24, exec_lo
	v_cmpx_gt_u32_e32 8, v44
; %bb.443:                              ;   in Loop: Header=BB267_298 Depth=1
	v_ffbh_u32_e32 v41, v41
	v_min_u32_e32 v41, 32, v41
	v_subrev_nc_u32_e32 v43, 28, v41
	v_lshlrev_b64 v[44:45], v43, v[2:3]
	v_sub_nc_u32_e32 v43, 29, v41
	v_and_b32_e32 v41, 7, v44
; %bb.444:                              ;   in Loop: Header=BB267_298 Depth=1
	s_or_b32 exec_lo, exec_lo, s24
	v_lshlrev_b32_sdwa v2, v23, v2 dst_sel:DWORD dst_unused:UNUSED_PAD src0_sel:DWORD src1_sel:WORD_0
	v_lshl_add_u32 v43, v43, 10, 0x2000
	v_lshlrev_b32_e32 v41, 23, v41
	v_and_or_b32 v2, 0x8000, v2, v43
	v_lshl_or_b32 v41, v2, 16, v41
.LBB267_445:                            ;   in Loop: Header=BB267_298 Depth=1
	s_or_b32 exec_lo, exec_lo, s22
.LBB267_446:                            ;   in Loop: Header=BB267_298 Depth=1
	s_or_b32 exec_lo, exec_lo, s21
.LBB267_447:                            ;   in Loop: Header=BB267_298 Depth=1
	s_or_b32 exec_lo, exec_lo, s18
	v_lshrrev_b32_e32 v2, 16, v10
	v_mov_b32_e32 v43, 0
	v_mov_b32_e32 v44, 0
	v_cmp_ne_u16_sdwa s1, v2, v3 src0_sel:BYTE_0 src1_sel:DWORD
	s_and_saveexec_b32 s18, s1
	s_cbranch_execz .LBB267_455
; %bb.448:                              ;   in Loop: Header=BB267_298 Depth=1
	v_cmp_ne_u16_sdwa s1, v2, v20 src0_sel:BYTE_0 src1_sel:DWORD
	v_mov_b32_e32 v44, 0x8000
	s_and_saveexec_b32 s21, s1
	s_cbranch_execz .LBB267_454
; %bb.449:                              ;   in Loop: Header=BB267_298 Depth=1
	v_bfe_u32 v46, v10, 16, 7
	v_mov_b32_e32 v44, 0x7c01
	s_mov_b32 s22, exec_lo
	v_cmpx_ne_u32_e32 0x7f, v46
	s_cbranch_execz .LBB267_453
; %bb.450:                              ;   in Loop: Header=BB267_298 Depth=1
	v_and_b32_e32 v44, 7, v2
	v_lshrrev_b32_e32 v45, 3, v46
	s_mov_b32 s24, exec_lo
	v_cmpx_gt_u32_e32 8, v46
; %bb.451:                              ;   in Loop: Header=BB267_298 Depth=1
	v_ffbh_u32_e32 v44, v44
	v_min_u32_e32 v46, 32, v44
	v_subrev_nc_u32_e32 v44, 28, v46
	v_lshlrev_b64 v[44:45], v44, v[2:3]
	v_sub_nc_u32_e32 v45, 29, v46
	v_and_b32_e32 v44, 7, v44
; %bb.452:                              ;   in Loop: Header=BB267_298 Depth=1
	s_or_b32 exec_lo, exec_lo, s24
	v_lshlrev_b32_e32 v2, 8, v2
	v_lshl_add_u32 v45, v45, 10, 0x2000
	v_lshlrev_b32_e32 v44, 7, v44
	v_and_b32_e32 v2, 0x8000, v2
	v_and_b32_e32 v45, 0xfc00, v45
	v_or3_b32 v44, v2, v45, v44
.LBB267_453:                            ;   in Loop: Header=BB267_298 Depth=1
	s_or_b32 exec_lo, exec_lo, s22
.LBB267_454:                            ;   in Loop: Header=BB267_298 Depth=1
	s_or_b32 exec_lo, exec_lo, s21
.LBB267_455:                            ;   in Loop: Header=BB267_298 Depth=1
	s_or_b32 exec_lo, exec_lo, s18
	s_mov_b32 s18, exec_lo
	v_cmpx_lt_u32_e32 0xffffff, v10
	s_cbranch_execz .LBB267_463
; %bb.456:                              ;   in Loop: Header=BB267_298 Depth=1
	v_lshrrev_b32_e32 v2, 24, v10
	v_bfrev_b32_e32 v43, 1
	s_mov_b32 s21, exec_lo
	v_cmpx_ne_u32_e32 0x80, v2
	s_cbranch_execz .LBB267_462
; %bb.457:                              ;   in Loop: Header=BB267_298 Depth=1
	v_and_b32_e32 v46, 0x7f, v2
	v_mov_b32_e32 v43, 0x7c010000
	s_mov_b32 s22, exec_lo
	v_cmpx_ne_u32_e32 0x7f, v46
	s_cbranch_execz .LBB267_461
; %bb.458:                              ;   in Loop: Header=BB267_298 Depth=1
	v_and_b32_e32 v43, 7, v2
	v_lshrrev_b32_e32 v45, 3, v46
	s_mov_b32 s24, exec_lo
	v_cmpx_gt_u32_e32 8, v46
; %bb.459:                              ;   in Loop: Header=BB267_298 Depth=1
	v_ffbh_u32_e32 v43, v43
	v_min_u32_e32 v43, 32, v43
	v_subrev_nc_u32_e32 v45, 28, v43
	v_lshlrev_b64 v[46:47], v45, v[2:3]
	v_sub_nc_u32_e32 v45, 29, v43
	v_and_b32_e32 v43, 7, v46
; %bb.460:                              ;   in Loop: Header=BB267_298 Depth=1
	s_or_b32 exec_lo, exec_lo, s24
	v_lshlrev_b32_e32 v2, 8, v2
	v_lshl_add_u32 v45, v45, 10, 0x2000
	v_lshlrev_b32_e32 v43, 23, v43
	v_and_or_b32 v2, 0x8000, v2, v45
	v_lshl_or_b32 v43, v2, 16, v43
.LBB267_461:                            ;   in Loop: Header=BB267_298 Depth=1
	s_or_b32 exec_lo, exec_lo, s22
.LBB267_462:                            ;   in Loop: Header=BB267_298 Depth=1
	s_or_b32 exec_lo, exec_lo, s21
.LBB267_463:                            ;   in Loop: Header=BB267_298 Depth=1
	s_or_b32 exec_lo, exec_lo, s18
	v_mov_b32_e32 v2, v11
	v_cmp_ne_u16_sdwa s1, v11, v3 src0_sel:BYTE_0 src1_sel:DWORD
	v_mov_b32_e32 v45, 0
	v_mov_b32_e32 v46, 0
	s_and_saveexec_b32 s18, s1
	s_cbranch_execz .LBB267_471
; %bb.464:                              ;   in Loop: Header=BB267_298 Depth=1
	v_cmp_ne_u16_sdwa s1, v11, v20 src0_sel:BYTE_0 src1_sel:DWORD
	v_mov_b32_e32 v46, 0x8000
	s_and_saveexec_b32 s21, s1
	s_cbranch_execz .LBB267_470
; %bb.465:                              ;   in Loop: Header=BB267_298 Depth=1
	v_and_b32_e32 v48, 0x7f, v11
	v_mov_b32_e32 v46, 0x7c01
	s_mov_b32 s22, exec_lo
	v_cmpx_ne_u32_e32 0x7f, v48
	s_cbranch_execz .LBB267_469
; %bb.466:                              ;   in Loop: Header=BB267_298 Depth=1
	v_and_b32_e32 v46, 7, v11
	v_lshrrev_b32_e32 v47, 3, v48
	s_mov_b32 s24, exec_lo
	v_cmpx_gt_u32_e32 8, v48
; %bb.467:                              ;   in Loop: Header=BB267_298 Depth=1
	v_ffbh_u32_e32 v46, v46
	v_min_u32_e32 v48, 32, v46
	v_subrev_nc_u32_e32 v46, 28, v48
	v_lshlrev_b64 v[46:47], v46, v[2:3]
	v_sub_nc_u32_e32 v47, 29, v48
	v_and_b32_e32 v46, 7, v46
; %bb.468:                              ;   in Loop: Header=BB267_298 Depth=1
	s_or_b32 exec_lo, exec_lo, s24
	v_lshlrev_b32_e32 v48, 8, v11
	v_lshl_add_u32 v47, v47, 10, 0x2000
	v_lshlrev_b32_e32 v46, 7, v46
	v_and_b32_e32 v48, 0x8000, v48
	v_and_b32_e32 v47, 0xfc00, v47
	v_or3_b32 v46, v48, v47, v46
.LBB267_469:                            ;   in Loop: Header=BB267_298 Depth=1
	s_or_b32 exec_lo, exec_lo, s22
.LBB267_470:                            ;   in Loop: Header=BB267_298 Depth=1
	s_or_b32 exec_lo, exec_lo, s21
.LBB267_471:                            ;   in Loop: Header=BB267_298 Depth=1
	s_or_b32 exec_lo, exec_lo, s18
	v_lshrrev_b16 v2, 8, v2
	v_mov_b32_e32 v47, 0
	s_mov_b32 s18, exec_lo
	v_cmpx_ne_u16_e32 0, v2
	s_cbranch_execz .LBB267_479
; %bb.472:                              ;   in Loop: Header=BB267_298 Depth=1
	v_bfrev_b32_e32 v47, 1
	s_mov_b32 s21, exec_lo
	v_cmpx_ne_u16_e32 0x80, v2
	s_cbranch_execz .LBB267_478
; %bb.473:                              ;   in Loop: Header=BB267_298 Depth=1
	v_and_b32_sdwa v49, v2, v21 dst_sel:DWORD dst_unused:UNUSED_PAD src0_sel:WORD_0 src1_sel:DWORD
	v_mov_b32_e32 v47, 0x7c010000
	s_mov_b32 s22, exec_lo
	v_cmpx_ne_u32_e32 0x7f, v49
	s_cbranch_execz .LBB267_477
; %bb.474:                              ;   in Loop: Header=BB267_298 Depth=1
	v_and_b32_sdwa v47, v2, v22 dst_sel:DWORD dst_unused:UNUSED_PAD src0_sel:WORD_0 src1_sel:DWORD
	v_lshrrev_b32_e32 v48, 3, v49
	s_mov_b32 s24, exec_lo
	v_cmpx_gt_u32_e32 8, v49
; %bb.475:                              ;   in Loop: Header=BB267_298 Depth=1
	v_ffbh_u32_e32 v47, v47
	v_min_u32_e32 v49, 32, v47
	v_subrev_nc_u32_e32 v47, 28, v49
	v_lshlrev_b64 v[47:48], v47, v[2:3]
	v_sub_nc_u32_e32 v48, 29, v49
	v_and_b32_e32 v47, 7, v47
; %bb.476:                              ;   in Loop: Header=BB267_298 Depth=1
	s_or_b32 exec_lo, exec_lo, s24
	v_lshlrev_b32_sdwa v2, v23, v2 dst_sel:DWORD dst_unused:UNUSED_PAD src0_sel:DWORD src1_sel:WORD_0
	v_lshl_add_u32 v48, v48, 10, 0x2000
	v_lshlrev_b32_e32 v47, 23, v47
	v_and_or_b32 v2, 0x8000, v2, v48
	v_lshl_or_b32 v47, v2, 16, v47
.LBB267_477:                            ;   in Loop: Header=BB267_298 Depth=1
	s_or_b32 exec_lo, exec_lo, s22
.LBB267_478:                            ;   in Loop: Header=BB267_298 Depth=1
	s_or_b32 exec_lo, exec_lo, s21
.LBB267_479:                            ;   in Loop: Header=BB267_298 Depth=1
	s_or_b32 exec_lo, exec_lo, s18
	v_lshrrev_b32_e32 v2, 16, v11
	v_cmp_ne_u16_sdwa s1, v2, v3 src0_sel:BYTE_0 src1_sel:DWORD
	s_and_saveexec_b32 s18, s1
	s_cbranch_execz .LBB267_487
; %bb.480:                              ;   in Loop: Header=BB267_298 Depth=1
	v_cmp_ne_u16_sdwa s1, v2, v20 src0_sel:BYTE_0 src1_sel:DWORD
	v_mov_b32_e32 v45, 0x8000
	s_and_saveexec_b32 s21, s1
	s_cbranch_execz .LBB267_486
; %bb.481:                              ;   in Loop: Header=BB267_298 Depth=1
	v_bfe_u32 v49, v11, 16, 7
	v_mov_b32_e32 v45, 0x7c01
	s_mov_b32 s22, exec_lo
	v_cmpx_ne_u32_e32 0x7f, v49
	s_cbranch_execz .LBB267_485
; %bb.482:                              ;   in Loop: Header=BB267_298 Depth=1
	v_and_b32_e32 v45, 7, v2
	v_lshrrev_b32_e32 v48, 3, v49
	s_mov_b32 s24, exec_lo
	v_cmpx_gt_u32_e32 8, v49
; %bb.483:                              ;   in Loop: Header=BB267_298 Depth=1
	v_ffbh_u32_e32 v45, v45
	v_min_u32_e32 v45, 32, v45
	v_subrev_nc_u32_e32 v48, 28, v45
	v_lshlrev_b64 v[49:50], v48, v[2:3]
	v_sub_nc_u32_e32 v48, 29, v45
	v_and_b32_e32 v45, 7, v49
; %bb.484:                              ;   in Loop: Header=BB267_298 Depth=1
	s_or_b32 exec_lo, exec_lo, s24
	v_lshlrev_b32_e32 v2, 8, v2
	v_lshl_add_u32 v48, v48, 10, 0x2000
	v_lshlrev_b32_e32 v45, 7, v45
	v_and_b32_e32 v2, 0x8000, v2
	v_and_b32_e32 v48, 0xfc00, v48
	v_or3_b32 v45, v2, v48, v45
.LBB267_485:                            ;   in Loop: Header=BB267_298 Depth=1
	s_or_b32 exec_lo, exec_lo, s22
.LBB267_486:                            ;   in Loop: Header=BB267_298 Depth=1
	s_or_b32 exec_lo, exec_lo, s21
.LBB267_487:                            ;   in Loop: Header=BB267_298 Depth=1
	s_or_b32 exec_lo, exec_lo, s18
	v_cmp_lt_u64_e64 s1, s[4:5], v[10:11]
	v_mov_b32_e32 v10, 0
	s_and_saveexec_b32 s18, s1
	s_cbranch_execz .LBB267_495
; %bb.488:                              ;   in Loop: Header=BB267_298 Depth=1
	v_lshrrev_b32_e32 v2, 24, v11
	v_bfrev_b32_e32 v10, 1
	s_mov_b32 s21, exec_lo
	v_cmpx_ne_u32_e32 0x80, v2
	s_cbranch_execz .LBB267_494
; %bb.489:                              ;   in Loop: Header=BB267_298 Depth=1
	v_and_b32_e32 v48, 0x7f, v2
	v_mov_b32_e32 v10, 0x7c010000
	s_mov_b32 s22, exec_lo
	v_cmpx_ne_u32_e32 0x7f, v48
	s_cbranch_execz .LBB267_493
; %bb.490:                              ;   in Loop: Header=BB267_298 Depth=1
	v_and_b32_e32 v10, 7, v2
	v_lshrrev_b32_e32 v11, 3, v48
	s_mov_b32 s24, exec_lo
	v_cmpx_gt_u32_e32 8, v48
; %bb.491:                              ;   in Loop: Header=BB267_298 Depth=1
	v_ffbh_u32_e32 v10, v10
	v_min_u32_e32 v48, 32, v10
	v_subrev_nc_u32_e32 v10, 28, v48
	v_lshlrev_b64 v[10:11], v10, v[2:3]
	v_sub_nc_u32_e32 v11, 29, v48
	v_and_b32_e32 v10, 7, v10
; %bb.492:                              ;   in Loop: Header=BB267_298 Depth=1
	s_or_b32 exec_lo, exec_lo, s24
	v_lshlrev_b32_e32 v2, 8, v2
	v_lshl_add_u32 v11, v11, 10, 0x2000
	v_lshlrev_b32_e32 v10, 23, v10
	v_and_or_b32 v2, 0x8000, v2, v11
	v_lshl_or_b32 v10, v2, 16, v10
.LBB267_493:                            ;   in Loop: Header=BB267_298 Depth=1
	s_or_b32 exec_lo, exec_lo, s22
.LBB267_494:                            ;   in Loop: Header=BB267_298 Depth=1
	s_or_b32 exec_lo, exec_lo, s21
.LBB267_495:                            ;   in Loop: Header=BB267_298 Depth=1
	s_or_b32 exec_lo, exec_lo, s18
	v_or_b32_e32 v2, v43, v44
	s_waitcnt vmcnt(0)
	v_fma_mixlo_f16 v11, v40, v43, 0 op_sel:[0,1,0] op_sel_hi:[0,1,0]
	v_or_b32_e32 v43, v41, v42
	v_fma_mixlo_f16 v41, v40, v41, 0 op_sel:[0,1,0] op_sel_hi:[0,1,0]
	v_or_b32_e32 v44, v47, v46
	v_or_b32_e32 v45, v10, v45
	v_fma_mixlo_f16 v46, v40, v2, 0 op_sel_hi:[0,1,0]
	v_fma_mixlo_f16 v10, v40, v10, 0 op_sel:[0,1,0] op_sel_hi:[0,1,0]
	v_lshlrev_b32_e32 v42, 16, v41
	v_fma_mixlo_f16 v41, v40, v43, 0 op_sel_hi:[0,1,0]
	v_fma_mixlo_f16 v43, v40, v47, 0 op_sel:[0,1,0] op_sel_hi:[0,1,0]
	v_fma_mixlo_f16 v44, v40, v44, 0 op_sel_hi:[0,1,0]
	v_fma_mixlo_f16 v45, v40, v45, 0 op_sel_hi:[0,1,0]
	v_lshlrev_b32_e32 v2, 16, v11
	v_and_b32_e32 v11, 0xffff, v46
	v_and_b32_e32 v48, 0xffff, v41
	v_lshlrev_b32_e32 v40, 16, v43
	v_and_b32_e32 v44, 0xffff, v44
	v_lshlrev_b32_e32 v10, 16, v10
	v_and_b32_e32 v41, 0xffff, v45
	v_or_b32_e32 v43, v2, v11
	v_or_b32_e32 v47, v42, v48
	;; [unrolled: 1-line block ×4, first 2 shown]
	s_and_saveexec_b32 s18, vcc_lo
	s_cbranch_execz .LBB267_497
; %bb.496:                              ;   in Loop: Header=BB267_298 Depth=1
	v_cmp_gt_i32_e64 s1, s31, v13
	v_cndmask_b32_e64 v43, 0, v48, s1
	v_cmp_gt_i32_e64 s1, s31, v31
	v_cndmask_b32_e64 v42, 0, v42, s1
	v_cmp_gt_i32_e64 s1, s31, v30
	v_or_b32_e32 v47, v42, v43
	v_cndmask_b32_e64 v11, 0, v11, s1
	v_cmp_gt_i32_e64 s1, s31, v29
	v_cndmask_b32_e64 v2, 0, v2, s1
	v_cmp_gt_i32_e64 s1, s31, v28
	v_or_b32_e32 v43, v2, v11
	;; [unrolled: 5-line block ×3, first 2 shown]
	v_cndmask_b32_e64 v41, 0, v41, s1
	v_cmp_gt_i32_e64 s1, s31, v25
	v_cndmask_b32_e64 v10, 0, v10, s1
	v_or_b32_e32 v45, v10, v41
.LBB267_497:                            ;   in Loop: Header=BB267_298 Depth=1
	s_or_b32 exec_lo, exec_lo, s18
	;;#ASMSTART
	v_pk_mul_f16 v2, v37, v47;

	;;#ASMEND
	;;#ASMSTART
	v_pk_mul_f16 v10, v36, v43;

	;;#ASMEND
	;; [unrolled: 4-line block ×4, first 2 shown]
	;;#ASMSTART
	v_pk_add_f16 v2, v2, v10;

	;;#ASMEND
	;;#ASMSTART
	v_pk_add_f16 v2, v2, v11;

	;;#ASMEND
	;; [unrolled: 4-line block ×3, first 2 shown]
	v_and_b32_e32 v10, 0xffff, v2
	v_lshrrev_b32_e32 v2, 16, v2
	;;#ASMSTART
	v_cvt_f32_f16 v10, v10;
	;;#ASMEND
	;;#ASMSTART
	v_cvt_f32_f16 v11, v2;
	;;#ASMEND
	global_load_dwordx2 v[8:9], v[8:9], off offset:768
	v_mov_b32_e32 v41, 0
	v_mov_b32_e32 v42, 0
	global_load_dword v40, v41, s[14:15]
	s_waitcnt vmcnt(1)
	v_cmp_ne_u16_sdwa s1, v8, v3 src0_sel:BYTE_0 src1_sel:DWORD
	s_and_saveexec_b32 s18, s1
	s_cbranch_execz .LBB267_505
; %bb.498:                              ;   in Loop: Header=BB267_298 Depth=1
	v_cmp_ne_u16_sdwa s1, v8, v20 src0_sel:BYTE_0 src1_sel:DWORD
	v_mov_b32_e32 v42, 0x8000
	s_and_saveexec_b32 s21, s1
	s_cbranch_execz .LBB267_504
; %bb.499:                              ;   in Loop: Header=BB267_298 Depth=1
	v_and_b32_e32 v43, 0x7f, v8
	v_mov_b32_e32 v42, 0x7c01
	s_mov_b32 s22, exec_lo
	v_cmpx_ne_u32_e32 0x7f, v43
	s_cbranch_execz .LBB267_503
; %bb.500:                              ;   in Loop: Header=BB267_298 Depth=1
	v_and_b32_e32 v2, 7, v8
	v_lshrrev_b32_e32 v42, 3, v43
	s_mov_b32 s24, exec_lo
	v_cmpx_gt_u32_e32 8, v43
; %bb.501:                              ;   in Loop: Header=BB267_298 Depth=1
	v_ffbh_u32_e32 v2, v2
	v_min_u32_e32 v2, 32, v2
	v_subrev_nc_u32_e32 v42, 28, v2
	v_lshlrev_b64 v[43:44], v42, v[8:9]
	v_sub_nc_u32_e32 v42, 29, v2
	v_and_b32_e32 v2, 7, v43
; %bb.502:                              ;   in Loop: Header=BB267_298 Depth=1
	s_or_b32 exec_lo, exec_lo, s24
	v_lshlrev_b32_e32 v43, 8, v8
	v_lshl_add_u32 v42, v42, 10, 0x2000
	v_lshlrev_b32_e32 v2, 7, v2
	v_and_b32_e32 v43, 0x8000, v43
	v_and_b32_e32 v42, 0xfc00, v42
	v_or3_b32 v42, v43, v42, v2
.LBB267_503:                            ;   in Loop: Header=BB267_298 Depth=1
	s_or_b32 exec_lo, exec_lo, s22
.LBB267_504:                            ;   in Loop: Header=BB267_298 Depth=1
	s_or_b32 exec_lo, exec_lo, s21
.LBB267_505:                            ;   in Loop: Header=BB267_298 Depth=1
	s_or_b32 exec_lo, exec_lo, s18
	v_lshrrev_b16 v2, 8, v8
	s_mov_b32 s18, exec_lo
	v_cmpx_ne_u16_e32 0, v2
	s_cbranch_execz .LBB267_513
; %bb.506:                              ;   in Loop: Header=BB267_298 Depth=1
	v_bfrev_b32_e32 v41, 1
	s_mov_b32 s21, exec_lo
	v_cmpx_ne_u16_e32 0x80, v2
	s_cbranch_execz .LBB267_512
; %bb.507:                              ;   in Loop: Header=BB267_298 Depth=1
	v_and_b32_sdwa v44, v2, v21 dst_sel:DWORD dst_unused:UNUSED_PAD src0_sel:WORD_0 src1_sel:DWORD
	v_mov_b32_e32 v41, 0x7c010000
	s_mov_b32 s22, exec_lo
	v_cmpx_ne_u32_e32 0x7f, v44
	s_cbranch_execz .LBB267_511
; %bb.508:                              ;   in Loop: Header=BB267_298 Depth=1
	v_and_b32_sdwa v41, v2, v22 dst_sel:DWORD dst_unused:UNUSED_PAD src0_sel:WORD_0 src1_sel:DWORD
	v_lshrrev_b32_e32 v43, 3, v44
	s_mov_b32 s24, exec_lo
	v_cmpx_gt_u32_e32 8, v44
; %bb.509:                              ;   in Loop: Header=BB267_298 Depth=1
	v_ffbh_u32_e32 v41, v41
	v_min_u32_e32 v41, 32, v41
	v_subrev_nc_u32_e32 v43, 28, v41
	v_lshlrev_b64 v[44:45], v43, v[2:3]
	v_sub_nc_u32_e32 v43, 29, v41
	v_and_b32_e32 v41, 7, v44
; %bb.510:                              ;   in Loop: Header=BB267_298 Depth=1
	s_or_b32 exec_lo, exec_lo, s24
	v_lshlrev_b32_sdwa v2, v23, v2 dst_sel:DWORD dst_unused:UNUSED_PAD src0_sel:DWORD src1_sel:WORD_0
	v_lshl_add_u32 v43, v43, 10, 0x2000
	v_lshlrev_b32_e32 v41, 23, v41
	v_and_or_b32 v2, 0x8000, v2, v43
	v_lshl_or_b32 v41, v2, 16, v41
.LBB267_511:                            ;   in Loop: Header=BB267_298 Depth=1
	s_or_b32 exec_lo, exec_lo, s22
.LBB267_512:                            ;   in Loop: Header=BB267_298 Depth=1
	s_or_b32 exec_lo, exec_lo, s21
.LBB267_513:                            ;   in Loop: Header=BB267_298 Depth=1
	s_or_b32 exec_lo, exec_lo, s18
	v_lshrrev_b32_e32 v2, 16, v8
	v_mov_b32_e32 v43, 0
	v_mov_b32_e32 v44, 0
	v_cmp_ne_u16_sdwa s1, v2, v3 src0_sel:BYTE_0 src1_sel:DWORD
	s_and_saveexec_b32 s18, s1
	s_cbranch_execz .LBB267_521
; %bb.514:                              ;   in Loop: Header=BB267_298 Depth=1
	v_cmp_ne_u16_sdwa s1, v2, v20 src0_sel:BYTE_0 src1_sel:DWORD
	v_mov_b32_e32 v44, 0x8000
	s_and_saveexec_b32 s21, s1
	s_cbranch_execz .LBB267_520
; %bb.515:                              ;   in Loop: Header=BB267_298 Depth=1
	v_bfe_u32 v46, v8, 16, 7
	v_mov_b32_e32 v44, 0x7c01
	s_mov_b32 s22, exec_lo
	v_cmpx_ne_u32_e32 0x7f, v46
	s_cbranch_execz .LBB267_519
; %bb.516:                              ;   in Loop: Header=BB267_298 Depth=1
	v_and_b32_e32 v44, 7, v2
	v_lshrrev_b32_e32 v45, 3, v46
	s_mov_b32 s24, exec_lo
	v_cmpx_gt_u32_e32 8, v46
; %bb.517:                              ;   in Loop: Header=BB267_298 Depth=1
	v_ffbh_u32_e32 v44, v44
	v_min_u32_e32 v46, 32, v44
	v_subrev_nc_u32_e32 v44, 28, v46
	v_lshlrev_b64 v[44:45], v44, v[2:3]
	v_sub_nc_u32_e32 v45, 29, v46
	v_and_b32_e32 v44, 7, v44
; %bb.518:                              ;   in Loop: Header=BB267_298 Depth=1
	s_or_b32 exec_lo, exec_lo, s24
	v_lshlrev_b32_e32 v2, 8, v2
	v_lshl_add_u32 v45, v45, 10, 0x2000
	v_lshlrev_b32_e32 v44, 7, v44
	v_and_b32_e32 v2, 0x8000, v2
	v_and_b32_e32 v45, 0xfc00, v45
	v_or3_b32 v44, v2, v45, v44
.LBB267_519:                            ;   in Loop: Header=BB267_298 Depth=1
	s_or_b32 exec_lo, exec_lo, s22
.LBB267_520:                            ;   in Loop: Header=BB267_298 Depth=1
	s_or_b32 exec_lo, exec_lo, s21
.LBB267_521:                            ;   in Loop: Header=BB267_298 Depth=1
	s_or_b32 exec_lo, exec_lo, s18
	s_mov_b32 s18, exec_lo
	v_cmpx_lt_u32_e32 0xffffff, v8
	s_cbranch_execz .LBB267_529
; %bb.522:                              ;   in Loop: Header=BB267_298 Depth=1
	v_lshrrev_b32_e32 v2, 24, v8
	v_bfrev_b32_e32 v43, 1
	s_mov_b32 s21, exec_lo
	v_cmpx_ne_u32_e32 0x80, v2
	s_cbranch_execz .LBB267_528
; %bb.523:                              ;   in Loop: Header=BB267_298 Depth=1
	v_and_b32_e32 v46, 0x7f, v2
	v_mov_b32_e32 v43, 0x7c010000
	s_mov_b32 s22, exec_lo
	v_cmpx_ne_u32_e32 0x7f, v46
	s_cbranch_execz .LBB267_527
; %bb.524:                              ;   in Loop: Header=BB267_298 Depth=1
	v_and_b32_e32 v43, 7, v2
	v_lshrrev_b32_e32 v45, 3, v46
	s_mov_b32 s24, exec_lo
	v_cmpx_gt_u32_e32 8, v46
; %bb.525:                              ;   in Loop: Header=BB267_298 Depth=1
	v_ffbh_u32_e32 v43, v43
	v_min_u32_e32 v43, 32, v43
	v_subrev_nc_u32_e32 v45, 28, v43
	v_lshlrev_b64 v[46:47], v45, v[2:3]
	v_sub_nc_u32_e32 v45, 29, v43
	v_and_b32_e32 v43, 7, v46
; %bb.526:                              ;   in Loop: Header=BB267_298 Depth=1
	s_or_b32 exec_lo, exec_lo, s24
	v_lshlrev_b32_e32 v2, 8, v2
	v_lshl_add_u32 v45, v45, 10, 0x2000
	v_lshlrev_b32_e32 v43, 23, v43
	v_and_or_b32 v2, 0x8000, v2, v45
	v_lshl_or_b32 v43, v2, 16, v43
.LBB267_527:                            ;   in Loop: Header=BB267_298 Depth=1
	s_or_b32 exec_lo, exec_lo, s22
.LBB267_528:                            ;   in Loop: Header=BB267_298 Depth=1
	s_or_b32 exec_lo, exec_lo, s21
.LBB267_529:                            ;   in Loop: Header=BB267_298 Depth=1
	s_or_b32 exec_lo, exec_lo, s18
	v_mov_b32_e32 v2, v9
	v_cmp_ne_u16_sdwa s1, v9, v3 src0_sel:BYTE_0 src1_sel:DWORD
	v_mov_b32_e32 v45, 0
	v_mov_b32_e32 v46, 0
	s_and_saveexec_b32 s18, s1
	s_cbranch_execz .LBB267_537
; %bb.530:                              ;   in Loop: Header=BB267_298 Depth=1
	v_cmp_ne_u16_sdwa s1, v9, v20 src0_sel:BYTE_0 src1_sel:DWORD
	v_mov_b32_e32 v46, 0x8000
	s_and_saveexec_b32 s21, s1
	s_cbranch_execz .LBB267_536
; %bb.531:                              ;   in Loop: Header=BB267_298 Depth=1
	v_and_b32_e32 v48, 0x7f, v9
	v_mov_b32_e32 v46, 0x7c01
	s_mov_b32 s22, exec_lo
	v_cmpx_ne_u32_e32 0x7f, v48
	s_cbranch_execz .LBB267_535
; %bb.532:                              ;   in Loop: Header=BB267_298 Depth=1
	v_and_b32_e32 v46, 7, v9
	v_lshrrev_b32_e32 v47, 3, v48
	s_mov_b32 s24, exec_lo
	v_cmpx_gt_u32_e32 8, v48
; %bb.533:                              ;   in Loop: Header=BB267_298 Depth=1
	v_ffbh_u32_e32 v46, v46
	v_min_u32_e32 v48, 32, v46
	v_subrev_nc_u32_e32 v46, 28, v48
	v_lshlrev_b64 v[46:47], v46, v[2:3]
	v_sub_nc_u32_e32 v47, 29, v48
	v_and_b32_e32 v46, 7, v46
; %bb.534:                              ;   in Loop: Header=BB267_298 Depth=1
	s_or_b32 exec_lo, exec_lo, s24
	v_lshlrev_b32_e32 v48, 8, v9
	v_lshl_add_u32 v47, v47, 10, 0x2000
	v_lshlrev_b32_e32 v46, 7, v46
	v_and_b32_e32 v48, 0x8000, v48
	v_and_b32_e32 v47, 0xfc00, v47
	v_or3_b32 v46, v48, v47, v46
.LBB267_535:                            ;   in Loop: Header=BB267_298 Depth=1
	s_or_b32 exec_lo, exec_lo, s22
.LBB267_536:                            ;   in Loop: Header=BB267_298 Depth=1
	s_or_b32 exec_lo, exec_lo, s21
.LBB267_537:                            ;   in Loop: Header=BB267_298 Depth=1
	s_or_b32 exec_lo, exec_lo, s18
	v_lshrrev_b16 v2, 8, v2
	v_mov_b32_e32 v47, 0
	s_mov_b32 s18, exec_lo
	v_cmpx_ne_u16_e32 0, v2
	s_cbranch_execz .LBB267_545
; %bb.538:                              ;   in Loop: Header=BB267_298 Depth=1
	v_bfrev_b32_e32 v47, 1
	s_mov_b32 s21, exec_lo
	v_cmpx_ne_u16_e32 0x80, v2
	s_cbranch_execz .LBB267_544
; %bb.539:                              ;   in Loop: Header=BB267_298 Depth=1
	v_and_b32_sdwa v49, v2, v21 dst_sel:DWORD dst_unused:UNUSED_PAD src0_sel:WORD_0 src1_sel:DWORD
	v_mov_b32_e32 v47, 0x7c010000
	s_mov_b32 s22, exec_lo
	v_cmpx_ne_u32_e32 0x7f, v49
	s_cbranch_execz .LBB267_543
; %bb.540:                              ;   in Loop: Header=BB267_298 Depth=1
	v_and_b32_sdwa v47, v2, v22 dst_sel:DWORD dst_unused:UNUSED_PAD src0_sel:WORD_0 src1_sel:DWORD
	v_lshrrev_b32_e32 v48, 3, v49
	s_mov_b32 s24, exec_lo
	v_cmpx_gt_u32_e32 8, v49
; %bb.541:                              ;   in Loop: Header=BB267_298 Depth=1
	v_ffbh_u32_e32 v47, v47
	v_min_u32_e32 v49, 32, v47
	v_subrev_nc_u32_e32 v47, 28, v49
	v_lshlrev_b64 v[47:48], v47, v[2:3]
	v_sub_nc_u32_e32 v48, 29, v49
	v_and_b32_e32 v47, 7, v47
; %bb.542:                              ;   in Loop: Header=BB267_298 Depth=1
	s_or_b32 exec_lo, exec_lo, s24
	v_lshlrev_b32_sdwa v2, v23, v2 dst_sel:DWORD dst_unused:UNUSED_PAD src0_sel:DWORD src1_sel:WORD_0
	v_lshl_add_u32 v48, v48, 10, 0x2000
	v_lshlrev_b32_e32 v47, 23, v47
	v_and_or_b32 v2, 0x8000, v2, v48
	v_lshl_or_b32 v47, v2, 16, v47
.LBB267_543:                            ;   in Loop: Header=BB267_298 Depth=1
	s_or_b32 exec_lo, exec_lo, s22
.LBB267_544:                            ;   in Loop: Header=BB267_298 Depth=1
	s_or_b32 exec_lo, exec_lo, s21
.LBB267_545:                            ;   in Loop: Header=BB267_298 Depth=1
	s_or_b32 exec_lo, exec_lo, s18
	v_lshrrev_b32_e32 v2, 16, v9
	v_cmp_ne_u16_sdwa s1, v2, v3 src0_sel:BYTE_0 src1_sel:DWORD
	s_and_saveexec_b32 s18, s1
	s_cbranch_execz .LBB267_553
; %bb.546:                              ;   in Loop: Header=BB267_298 Depth=1
	v_cmp_ne_u16_sdwa s1, v2, v20 src0_sel:BYTE_0 src1_sel:DWORD
	v_mov_b32_e32 v45, 0x8000
	s_and_saveexec_b32 s21, s1
	s_cbranch_execz .LBB267_552
; %bb.547:                              ;   in Loop: Header=BB267_298 Depth=1
	v_bfe_u32 v49, v9, 16, 7
	v_mov_b32_e32 v45, 0x7c01
	s_mov_b32 s22, exec_lo
	v_cmpx_ne_u32_e32 0x7f, v49
	s_cbranch_execz .LBB267_551
; %bb.548:                              ;   in Loop: Header=BB267_298 Depth=1
	v_and_b32_e32 v45, 7, v2
	v_lshrrev_b32_e32 v48, 3, v49
	s_mov_b32 s24, exec_lo
	v_cmpx_gt_u32_e32 8, v49
; %bb.549:                              ;   in Loop: Header=BB267_298 Depth=1
	v_ffbh_u32_e32 v45, v45
	v_min_u32_e32 v45, 32, v45
	v_subrev_nc_u32_e32 v48, 28, v45
	v_lshlrev_b64 v[49:50], v48, v[2:3]
	v_sub_nc_u32_e32 v48, 29, v45
	v_and_b32_e32 v45, 7, v49
; %bb.550:                              ;   in Loop: Header=BB267_298 Depth=1
	s_or_b32 exec_lo, exec_lo, s24
	v_lshlrev_b32_e32 v2, 8, v2
	v_lshl_add_u32 v48, v48, 10, 0x2000
	v_lshlrev_b32_e32 v45, 7, v45
	v_and_b32_e32 v2, 0x8000, v2
	v_and_b32_e32 v48, 0xfc00, v48
	v_or3_b32 v45, v2, v48, v45
.LBB267_551:                            ;   in Loop: Header=BB267_298 Depth=1
	s_or_b32 exec_lo, exec_lo, s22
.LBB267_552:                            ;   in Loop: Header=BB267_298 Depth=1
	s_or_b32 exec_lo, exec_lo, s21
.LBB267_553:                            ;   in Loop: Header=BB267_298 Depth=1
	s_or_b32 exec_lo, exec_lo, s18
	v_cmp_lt_u64_e64 s1, s[4:5], v[8:9]
	v_mov_b32_e32 v8, 0
	s_and_saveexec_b32 s18, s1
	s_cbranch_execz .LBB267_561
; %bb.554:                              ;   in Loop: Header=BB267_298 Depth=1
	v_lshrrev_b32_e32 v2, 24, v9
	v_bfrev_b32_e32 v8, 1
	s_mov_b32 s21, exec_lo
	v_cmpx_ne_u32_e32 0x80, v2
	s_cbranch_execz .LBB267_560
; %bb.555:                              ;   in Loop: Header=BB267_298 Depth=1
	v_and_b32_e32 v48, 0x7f, v2
	v_mov_b32_e32 v8, 0x7c010000
	s_mov_b32 s22, exec_lo
	v_cmpx_ne_u32_e32 0x7f, v48
	s_cbranch_execz .LBB267_559
; %bb.556:                              ;   in Loop: Header=BB267_298 Depth=1
	v_and_b32_e32 v8, 7, v2
	v_lshrrev_b32_e32 v9, 3, v48
	s_mov_b32 s24, exec_lo
	v_cmpx_gt_u32_e32 8, v48
; %bb.557:                              ;   in Loop: Header=BB267_298 Depth=1
	v_ffbh_u32_e32 v8, v8
	v_min_u32_e32 v48, 32, v8
	v_subrev_nc_u32_e32 v8, 28, v48
	v_lshlrev_b64 v[8:9], v8, v[2:3]
	v_sub_nc_u32_e32 v9, 29, v48
	v_and_b32_e32 v8, 7, v8
; %bb.558:                              ;   in Loop: Header=BB267_298 Depth=1
	s_or_b32 exec_lo, exec_lo, s24
	v_lshlrev_b32_e32 v2, 8, v2
	v_lshl_add_u32 v9, v9, 10, 0x2000
	v_lshlrev_b32_e32 v8, 23, v8
	v_and_or_b32 v2, 0x8000, v2, v9
	v_lshl_or_b32 v8, v2, 16, v8
.LBB267_559:                            ;   in Loop: Header=BB267_298 Depth=1
	s_or_b32 exec_lo, exec_lo, s22
.LBB267_560:                            ;   in Loop: Header=BB267_298 Depth=1
	s_or_b32 exec_lo, exec_lo, s21
.LBB267_561:                            ;   in Loop: Header=BB267_298 Depth=1
	s_or_b32 exec_lo, exec_lo, s18
	v_or_b32_e32 v2, v43, v44
	s_waitcnt vmcnt(0)
	v_fma_mixlo_f16 v9, v40, v43, 0 op_sel:[0,1,0] op_sel_hi:[0,1,0]
	v_or_b32_e32 v42, v41, v42
	v_fma_mixlo_f16 v43, v40, v41, 0 op_sel:[0,1,0] op_sel_hi:[0,1,0]
	v_or_b32_e32 v44, v47, v46
	v_fma_mixlo_f16 v2, v40, v2, 0 op_sel_hi:[0,1,0]
	v_or_b32_e32 v45, v8, v45
	v_lshlrev_b32_e32 v41, 16, v9
	v_lshlrev_b32_e32 v46, 16, v43
	v_fma_mixlo_f16 v9, v40, v42, 0 op_sel_hi:[0,1,0]
	v_and_b32_e32 v43, 0xffff, v2
	v_fma_mixlo_f16 v2, v40, v47, 0 op_sel:[0,1,0] op_sel_hi:[0,1,0]
	v_fma_mixlo_f16 v42, v40, v44, 0 op_sel_hi:[0,1,0]
	v_fma_mixlo_f16 v8, v40, v8, 0 op_sel:[0,1,0] op_sel_hi:[0,1,0]
	v_fma_mixlo_f16 v45, v40, v45, 0 op_sel_hi:[0,1,0]
	v_and_b32_e32 v48, 0xffff, v9
	v_lshlrev_b32_e32 v44, 16, v2
	v_and_b32_e32 v47, 0xffff, v42
	v_lshlrev_b32_e32 v40, 16, v8
	v_and_b32_e32 v45, 0xffff, v45
	v_or_b32_e32 v9, v41, v43
	v_or_b32_e32 v42, v46, v48
	v_or_b32_e32 v8, v44, v47
	v_or_b32_e32 v2, v40, v45
	s_and_saveexec_b32 s1, vcc_lo
	s_cbranch_execz .LBB267_296
; %bb.562:                              ;   in Loop: Header=BB267_298 Depth=1
	v_cmp_gt_i32_e32 vcc_lo, s31, v13
	v_cndmask_b32_e32 v2, 0, v48, vcc_lo
	v_cmp_gt_i32_e32 vcc_lo, s31, v31
	v_cndmask_b32_e32 v8, 0, v46, vcc_lo
	v_cmp_gt_i32_e32 vcc_lo, s31, v30
	v_or_b32_e32 v42, v8, v2
	v_cndmask_b32_e32 v9, 0, v43, vcc_lo
	v_cmp_gt_i32_e32 vcc_lo, s31, v29
	v_cndmask_b32_e32 v29, 0, v41, vcc_lo
	v_cmp_gt_i32_e32 vcc_lo, s31, v28
	v_or_b32_e32 v9, v29, v9
	v_cndmask_b32_e32 v28, 0, v47, vcc_lo
	v_cmp_gt_i32_e32 vcc_lo, s31, v27
	v_cndmask_b32_e32 v27, 0, v44, vcc_lo
	v_cmp_gt_i32_e32 vcc_lo, s31, v26
	v_or_b32_e32 v8, v27, v28
	v_cndmask_b32_e32 v26, 0, v45, vcc_lo
	v_cmp_gt_i32_e32 vcc_lo, s31, v25
	v_cndmask_b32_e32 v25, 0, v40, vcc_lo
	v_or_b32_e32 v2, v25, v26
	s_branch .LBB267_296
.LBB267_563:
	s_or_b32 exec_lo, exec_lo, s13
.LBB267_564:
	s_or_b32 exec_lo, exec_lo, s3
	v_lshl_add_u32 v2, v14, 2, 0x120
	v_and_b32_e32 v3, 0x3c0, v0
	s_mov_b32 s1, exec_lo
	s_waitcnt_vscnt null, 0x0
	s_barrier
	v_lshl_add_u32 v1, v12, 9, v2
	buffer_gl0_inv
	v_cmpx_eq_u32_e32 64, v3
	s_cbranch_execz .LBB267_566
; %bb.565:
	v_add_nc_u32_e32 v3, 0xfffffc00, v1
	v_add_nc_u32_e32 v4, 0xfffffc80, v1
	;; [unrolled: 1-line block ×4, first 2 shown]
	ds_write_b32 v3, v18
	ds_write_b32 v4, v17
	;; [unrolled: 1-line block ×4, first 2 shown]
.LBB267_566:
	s_or_b32 exec_lo, exec_lo, s1
	s_waitcnt lgkmcnt(0)
	s_barrier
	buffer_gl0_inv
	s_and_saveexec_b32 s1, s0
	s_cbranch_execz .LBB267_568
; %bb.567:
	ds_read2_b32 v[3:4], v1 offset1:32
	ds_read2_b32 v[5:6], v1 offset0:64 offset1:96
	s_waitcnt lgkmcnt(1)
	v_add_f32_e32 v18, v18, v3
	v_add_f32_e32 v17, v17, v4
	s_waitcnt lgkmcnt(0)
	v_add_f32_e32 v16, v16, v5
	v_add_f32_e32 v15, v15, v6
.LBB267_568:
	s_or_b32 exec_lo, exec_lo, s1
	v_and_b32_e32 v3, 0x3e0, v0
	s_mov_b32 s0, exec_lo
	s_barrier
	buffer_gl0_inv
	v_cmpx_eq_u32_e32 32, v3
	s_cbranch_execz .LBB267_570
; %bb.569:
	ds_write2_b32 v2, v18, v17 offset1:32
	ds_write2_b32 v2, v16, v15 offset0:64 offset1:96
.LBB267_570:
	s_or_b32 exec_lo, exec_lo, s0
	v_cmp_gt_u32_e32 vcc_lo, 32, v0
	s_waitcnt lgkmcnt(0)
	s_barrier
	buffer_gl0_inv
	s_and_saveexec_b32 s0, vcc_lo
	s_cbranch_execz .LBB267_572
; %bb.571:
	ds_read2_b32 v[2:3], v1 offset1:32
	ds_read2_b32 v[4:5], v1 offset0:64 offset1:96
	s_waitcnt lgkmcnt(1)
	v_add_f32_e32 v18, v18, v2
	v_add_f32_e32 v17, v17, v3
	s_waitcnt lgkmcnt(0)
	v_add_f32_e32 v16, v16, v4
	v_add_f32_e32 v15, v15, v5
.LBB267_572:
	s_or_b32 exec_lo, exec_lo, s0
	s_barrier
	buffer_gl0_inv
	s_and_saveexec_b32 s0, vcc_lo
	s_cbranch_execz .LBB267_574
; %bb.573:
	s_lshl_b32 s0, s2, 7
	s_mul_i32 s2, s7, s10
	s_ashr_i32 s1, s0, 31
	v_lshlrev_b32_e32 v0, 1, v0
	s_lshl_b64 s[0:1], s[0:1], 1
	;;#ASMSTART
	v_cvt_f16_f32 v1, v18;

	;;#ASMEND
	s_add_u32 s4, s28, s0
	s_addc_u32 s5, s29, s1
	s_ashr_i32 s3, s2, 31
	s_lshl_b64 s[0:1], s[2:3], 1
	s_add_u32 s2, s4, s0
	s_addc_u32 s3, s5, s1
	s_lshl_b32 s0, s8, 7
	s_ashr_i32 s1, s0, 31
	s_lshl_b64 s[0:1], s[0:1], 1
	s_add_u32 s0, s2, s0
	s_addc_u32 s1, s3, s1
	global_store_short v0, v1, s[0:1]
	;;#ASMSTART
	v_cvt_f16_f32 v1, v17;

	;;#ASMEND
	global_store_short v0, v1, s[0:1] offset:64
	;;#ASMSTART
	v_cvt_f16_f32 v1, v16;

	;;#ASMEND
	global_store_short v0, v1, s[0:1] offset:128
	;; [unrolled: 5-line block ×3, first 2 shown]
.LBB267_574:
	s_endpgm
	.section	.rodata,"a",@progbits
	.p2align	6, 0x0
	.amdhsa_kernel _ZN4vllm25paged_attention_v2_kernelIthLi128ELi8ELi128ELNS_18Fp8KVCacheDataTypeE1ELb1ELi512EEEvPfS2_PT_PKS3_PKT0_S9_ifPKiSB_iPKfiiiSD_SD_iiiii
		.amdhsa_group_segment_fixed_size 288
		.amdhsa_private_segment_fixed_size 0
		.amdhsa_kernarg_size 400
		.amdhsa_user_sgpr_count 6
		.amdhsa_user_sgpr_private_segment_buffer 1
		.amdhsa_user_sgpr_dispatch_ptr 0
		.amdhsa_user_sgpr_queue_ptr 0
		.amdhsa_user_sgpr_kernarg_segment_ptr 1
		.amdhsa_user_sgpr_dispatch_id 0
		.amdhsa_user_sgpr_flat_scratch_init 0
		.amdhsa_user_sgpr_private_segment_size 0
		.amdhsa_wavefront_size32 1
		.amdhsa_uses_dynamic_stack 0
		.amdhsa_system_sgpr_private_segment_wavefront_offset 0
		.amdhsa_system_sgpr_workgroup_id_x 1
		.amdhsa_system_sgpr_workgroup_id_y 1
		.amdhsa_system_sgpr_workgroup_id_z 1
		.amdhsa_system_sgpr_workgroup_info 0
		.amdhsa_system_vgpr_workitem_id 0
		.amdhsa_next_free_vgpr 85
		.amdhsa_next_free_sgpr 53
		.amdhsa_reserve_vcc 1
		.amdhsa_reserve_flat_scratch 0
		.amdhsa_float_round_mode_32 0
		.amdhsa_float_round_mode_16_64 0
		.amdhsa_float_denorm_mode_32 3
		.amdhsa_float_denorm_mode_16_64 3
		.amdhsa_dx10_clamp 1
		.amdhsa_ieee_mode 1
		.amdhsa_fp16_overflow 0
		.amdhsa_workgroup_processor_mode 1
		.amdhsa_memory_ordered 1
		.amdhsa_forward_progress 1
		.amdhsa_shared_vgpr_count 0
		.amdhsa_exception_fp_ieee_invalid_op 0
		.amdhsa_exception_fp_denorm_src 0
		.amdhsa_exception_fp_ieee_div_zero 0
		.amdhsa_exception_fp_ieee_overflow 0
		.amdhsa_exception_fp_ieee_underflow 0
		.amdhsa_exception_fp_ieee_inexact 0
		.amdhsa_exception_int_div_zero 0
	.end_amdhsa_kernel
	.section	.text._ZN4vllm25paged_attention_v2_kernelIthLi128ELi8ELi128ELNS_18Fp8KVCacheDataTypeE1ELb1ELi512EEEvPfS2_PT_PKS3_PKT0_S9_ifPKiSB_iPKfiiiSD_SD_iiiii,"axG",@progbits,_ZN4vllm25paged_attention_v2_kernelIthLi128ELi8ELi128ELNS_18Fp8KVCacheDataTypeE1ELb1ELi512EEEvPfS2_PT_PKS3_PKT0_S9_ifPKiSB_iPKfiiiSD_SD_iiiii,comdat
.Lfunc_end267:
	.size	_ZN4vllm25paged_attention_v2_kernelIthLi128ELi8ELi128ELNS_18Fp8KVCacheDataTypeE1ELb1ELi512EEEvPfS2_PT_PKS3_PKT0_S9_ifPKiSB_iPKfiiiSD_SD_iiiii, .Lfunc_end267-_ZN4vllm25paged_attention_v2_kernelIthLi128ELi8ELi128ELNS_18Fp8KVCacheDataTypeE1ELb1ELi512EEEvPfS2_PT_PKS3_PKT0_S9_ifPKiSB_iPKfiiiSD_SD_iiiii
                                        ; -- End function
	.set _ZN4vllm25paged_attention_v2_kernelIthLi128ELi8ELi128ELNS_18Fp8KVCacheDataTypeE1ELb1ELi512EEEvPfS2_PT_PKS3_PKT0_S9_ifPKiSB_iPKfiiiSD_SD_iiiii.num_vgpr, 85
	.set _ZN4vllm25paged_attention_v2_kernelIthLi128ELi8ELi128ELNS_18Fp8KVCacheDataTypeE1ELb1ELi512EEEvPfS2_PT_PKS3_PKT0_S9_ifPKiSB_iPKfiiiSD_SD_iiiii.num_agpr, 0
	.set _ZN4vllm25paged_attention_v2_kernelIthLi128ELi8ELi128ELNS_18Fp8KVCacheDataTypeE1ELb1ELi512EEEvPfS2_PT_PKS3_PKT0_S9_ifPKiSB_iPKfiiiSD_SD_iiiii.numbered_sgpr, 53
	.set _ZN4vllm25paged_attention_v2_kernelIthLi128ELi8ELi128ELNS_18Fp8KVCacheDataTypeE1ELb1ELi512EEEvPfS2_PT_PKS3_PKT0_S9_ifPKiSB_iPKfiiiSD_SD_iiiii.num_named_barrier, 0
	.set _ZN4vllm25paged_attention_v2_kernelIthLi128ELi8ELi128ELNS_18Fp8KVCacheDataTypeE1ELb1ELi512EEEvPfS2_PT_PKS3_PKT0_S9_ifPKiSB_iPKfiiiSD_SD_iiiii.private_seg_size, 0
	.set _ZN4vllm25paged_attention_v2_kernelIthLi128ELi8ELi128ELNS_18Fp8KVCacheDataTypeE1ELb1ELi512EEEvPfS2_PT_PKS3_PKT0_S9_ifPKiSB_iPKfiiiSD_SD_iiiii.uses_vcc, 1
	.set _ZN4vllm25paged_attention_v2_kernelIthLi128ELi8ELi128ELNS_18Fp8KVCacheDataTypeE1ELb1ELi512EEEvPfS2_PT_PKS3_PKT0_S9_ifPKiSB_iPKfiiiSD_SD_iiiii.uses_flat_scratch, 0
	.set _ZN4vllm25paged_attention_v2_kernelIthLi128ELi8ELi128ELNS_18Fp8KVCacheDataTypeE1ELb1ELi512EEEvPfS2_PT_PKS3_PKT0_S9_ifPKiSB_iPKfiiiSD_SD_iiiii.has_dyn_sized_stack, 0
	.set _ZN4vllm25paged_attention_v2_kernelIthLi128ELi8ELi128ELNS_18Fp8KVCacheDataTypeE1ELb1ELi512EEEvPfS2_PT_PKS3_PKT0_S9_ifPKiSB_iPKfiiiSD_SD_iiiii.has_recursion, 0
	.set _ZN4vllm25paged_attention_v2_kernelIthLi128ELi8ELi128ELNS_18Fp8KVCacheDataTypeE1ELb1ELi512EEEvPfS2_PT_PKS3_PKT0_S9_ifPKiSB_iPKfiiiSD_SD_iiiii.has_indirect_call, 0
	.section	.AMDGPU.csdata,"",@progbits
; Kernel info:
; codeLenInByte = 20224
; TotalNumSgprs: 55
; NumVgprs: 85
; ScratchSize: 0
; MemoryBound: 0
; FloatMode: 240
; IeeeMode: 1
; LDSByteSize: 288 bytes/workgroup (compile time only)
; SGPRBlocks: 0
; VGPRBlocks: 10
; NumSGPRsForWavesPerEU: 55
; NumVGPRsForWavesPerEU: 85
; Occupancy: 10
; WaveLimiterHint : 1
; COMPUTE_PGM_RSRC2:SCRATCH_EN: 0
; COMPUTE_PGM_RSRC2:USER_SGPR: 6
; COMPUTE_PGM_RSRC2:TRAP_HANDLER: 0
; COMPUTE_PGM_RSRC2:TGID_X_EN: 1
; COMPUTE_PGM_RSRC2:TGID_Y_EN: 1
; COMPUTE_PGM_RSRC2:TGID_Z_EN: 1
; COMPUTE_PGM_RSRC2:TIDIG_COMP_CNT: 0
	.section	.text._ZN4vllm25paged_attention_v2_kernelIthLi192ELi8ELi128ELNS_18Fp8KVCacheDataTypeE1ELb1ELi512EEEvPfS2_PT_PKS3_PKT0_S9_ifPKiSB_iPKfiiiSD_SD_iiiii,"axG",@progbits,_ZN4vllm25paged_attention_v2_kernelIthLi192ELi8ELi128ELNS_18Fp8KVCacheDataTypeE1ELb1ELi512EEEvPfS2_PT_PKS3_PKT0_S9_ifPKiSB_iPKfiiiSD_SD_iiiii,comdat
	.protected	_ZN4vllm25paged_attention_v2_kernelIthLi192ELi8ELi128ELNS_18Fp8KVCacheDataTypeE1ELb1ELi512EEEvPfS2_PT_PKS3_PKT0_S9_ifPKiSB_iPKfiiiSD_SD_iiiii ; -- Begin function _ZN4vllm25paged_attention_v2_kernelIthLi192ELi8ELi128ELNS_18Fp8KVCacheDataTypeE1ELb1ELi512EEEvPfS2_PT_PKS3_PKT0_S9_ifPKiSB_iPKfiiiSD_SD_iiiii
	.globl	_ZN4vllm25paged_attention_v2_kernelIthLi192ELi8ELi128ELNS_18Fp8KVCacheDataTypeE1ELb1ELi512EEEvPfS2_PT_PKS3_PKT0_S9_ifPKiSB_iPKfiiiSD_SD_iiiii
	.p2align	8
	.type	_ZN4vllm25paged_attention_v2_kernelIthLi192ELi8ELi128ELNS_18Fp8KVCacheDataTypeE1ELb1ELi512EEEvPfS2_PT_PKS3_PKT0_S9_ifPKiSB_iPKfiiiSD_SD_iiiii,@function
_ZN4vllm25paged_attention_v2_kernelIthLi192ELi8ELi128ELNS_18Fp8KVCacheDataTypeE1ELb1ELi512EEEvPfS2_PT_PKS3_PKT0_S9_ifPKiSB_iPKfiiiSD_SD_iiiii: ; @_ZN4vllm25paged_attention_v2_kernelIthLi192ELi8ELi128ELNS_18Fp8KVCacheDataTypeE1ELb1ELi512EEEvPfS2_PT_PKS3_PKT0_S9_ifPKiSB_iPKfiiiSD_SD_iiiii
; %bb.0:
	s_load_dwordx2 s[0:1], s[4:5], 0x40
	s_mov_b32 s30, s7
	s_ashr_i32 s31, s7, 31
	s_lshl_b64 s[2:3], s[30:31], 2
	s_waitcnt lgkmcnt(0)
	s_add_u32 s0, s0, s2
	s_addc_u32 s1, s1, s3
	s_lshl_b32 s33, s8, 9
	s_load_dword s31, s[0:1], 0x0
	s_waitcnt lgkmcnt(0)
	s_cmp_ge_i32 s33, s31
	s_cbranch_scc1 .LBB268_834
; %bb.1:
	s_clause 0x1
	s_load_dword s9, s[4:5], 0x90
	s_load_dwordx2 s[40:41], s[4:5], 0x30
	s_mov_b32 s43, 0
	s_waitcnt lgkmcnt(0)
	s_abs_i32 s3, s9
	s_abs_i32 s0, s40
	v_cvt_f32_u32_e32 v1, s0
	s_sub_i32 s2, 0, s0
	v_rcp_iflag_f32_e32 v1, v1
	v_mul_f32_e32 v1, 0x4f7ffffe, v1
	v_cvt_u32_f32_e32 v1, v1
	v_readfirstlane_b32 s1, v1
	s_mul_i32 s2, s2, s1
	s_mul_hi_u32 s2, s1, s2
	s_add_i32 s1, s1, s2
	s_xor_b32 s2, s9, s40
	s_mul_hi_u32 s1, s3, s1
	s_ashr_i32 s2, s2, 31
	s_mul_i32 s7, s1, s0
	s_sub_i32 s3, s3, s7
	s_add_i32 s7, s1, 1
	s_sub_i32 s10, s3, s0
	s_cmp_ge_u32 s3, s0
	s_cselect_b32 s1, s7, s1
	s_cselect_b32 s3, s10, s3
	s_add_i32 s7, s1, 1
	s_cmp_ge_u32 s3, s0
	s_cselect_b32 s0, s7, s1
	s_xor_b32 s0, s0, s2
	s_sub_i32 s10, s0, s2
	s_load_dwordx2 s[0:1], s[4:5], 0x50
	s_abs_i32 s2, s10
	v_cvt_f32_u32_e32 v1, s2
	s_sub_i32 s3, 0, s2
	v_rcp_iflag_f32_e32 v1, v1
	v_mul_f32_e32 v1, 0x4f7ffffe, v1
	v_cvt_u32_f32_e32 v1, v1
	v_readfirstlane_b32 s7, v1
	s_mul_i32 s3, s3, s7
	s_mul_hi_u32 s11, s7, s3
	s_abs_i32 s3, s6
	s_add_i32 s7, s7, s11
	s_waitcnt lgkmcnt(0)
	s_cmp_eq_u64 s[0:1], 0
	s_mul_hi_u32 s12, s3, s7
	s_cbranch_scc1 .LBB268_3
; %bb.2:
	s_ashr_i32 s7, s6, 31
	s_lshl_b64 s[14:15], s[6:7], 2
	s_add_u32 s0, s0, s14
	s_addc_u32 s1, s1, s15
	s_load_dword s43, s[0:1], 0x0
.LBB268_3:
	s_load_dwordx4 s[16:19], s[4:5], 0x58
	v_and_b32_e32 v3, 3, v0
	s_ashr_i32 s0, s6, 31
	s_ashr_i32 s1, s10, 31
	s_mul_i32 s10, s6, 0xc0
	s_mov_b32 s7, exec_lo
	v_cmpx_gt_u32_e32 0x60, v0
	s_cbranch_execz .LBB268_5
; %bb.4:
	s_load_dwordx2 s[14:15], s[4:5], 0x18
	s_waitcnt lgkmcnt(0)
	s_mul_i32 s20, s16, s30
	v_lshlrev_b32_e32 v1, 2, v0
	s_ashr_i32 s21, s20, 31
	v_and_b32_e32 v2, 0x3fc, v0
	s_lshl_b64 s[20:21], s[20:21], 1
	v_mad_u32_u24 v2, 0x60, v3, v2
	s_add_u32 s13, s14, s20
	s_addc_u32 s16, s15, s21
	s_ashr_i32 s11, s10, 31
	s_lshl_b64 s[14:15], s[10:11], 1
	s_add_u32 s14, s13, s14
	s_addc_u32 s15, s16, s15
	global_load_dword v1, v1, s[14:15]
	s_waitcnt vmcnt(0)
	ds_write_b32 v2, v1
.LBB268_5:
	s_or_b32 exec_lo, exec_lo, s7
	s_load_dwordx4 s[20:23], s[4:5], 0x78
	s_mul_i32 s7, s12, s2
	s_xor_b32 s0, s0, s1
	s_sub_i32 s1, s3, s7
	s_add_i32 s3, s12, 1
	s_sub_i32 s7, s1, s2
	s_cmp_ge_u32 s1, s2
                                        ; implicit-def: $sgpr19
	s_cselect_b32 s3, s3, s12
	s_cselect_b32 s1, s7, s1
	s_add_i32 s7, s3, 1
	s_cmp_ge_u32 s1, s2
	s_mov_b32 s12, -1
	s_cselect_b32 s1, s7, s3
	s_load_dword s3, s[4:5], 0x88
	s_xor_b32 s1, s1, s0
	s_add_i32 s7, s31, -1
	s_sub_i32 s1, s1, s0
	s_abs_i32 s2, s7
	s_waitcnt lgkmcnt(0)
	s_abs_i32 s11, s23
	s_barrier
	v_cvt_f32_u32_e32 v1, s11
	s_sub_i32 s0, 0, s11
	buffer_gl0_inv
	v_rcp_iflag_f32_e32 v1, v1
	v_mul_f32_e32 v1, 0x4f7ffffe, v1
	v_cvt_u32_f32_e32 v1, v1
	v_readfirstlane_b32 s16, v1
	s_mul_i32 s0, s0, s16
	s_mul_hi_u32 s0, s16, s0
	s_add_i32 s16, s16, s0
	s_cmp_lt_i32 s3, 0
	s_mul_hi_u32 s0, s2, s16
	s_cbranch_scc0 .LBB268_7
; %bb.6:
	s_mul_i32 s12, s20, s40
	s_add_i32 s12, s1, s12
	s_mul_i32 s12, s12, s3
	s_sub_i32 s19, 1, s12
	s_mov_b32 s12, 0
.LBB268_7:
	s_load_dwordx2 s[34:35], s[4:5], 0x38
	s_ashr_i32 s36, s7, 31
	s_andn2_b32 vcc_lo, exec_lo, s12
	s_ashr_i32 s23, s23, 31
	s_cbranch_vccnz .LBB268_9
; %bb.8:
	s_mul_i32 s7, s9, s20
	s_add_i32 s7, s7, s6
	s_mul_i32 s3, s7, s3
	s_add_i32 s19, s3, 1
.LBB268_9:
	s_clause 0x5
	s_load_dword s3, s[4:5], 0x48
	s_load_dwordx2 s[38:39], s[4:5], 0x28
	s_load_dwordx4 s[24:27], s[4:5], 0x0
	s_load_dwordx2 s[28:29], s[4:5], 0x10
	s_load_dword s7, s[4:5], 0x98
	s_load_dwordx4 s[12:15], s[4:5], 0x68
	s_mul_i32 s20, s0, s11
	s_xor_b32 s42, s36, s23
	s_sub_i32 s2, s2, s20
	s_add_i32 s40, s0, 1
	v_lshrrev_b32_e32 v12, 5, v0
	v_mov_b32_e32 v14, 0xff7fffff
	v_mbcnt_lo_u32_b32 v11, -1, 0
	s_mul_i32 s18, s1, s18
	v_lshl_add_u32 v13, v12, 3, s33
	s_waitcnt lgkmcnt(0)
	s_mul_i32 s36, s3, s30
	s_sub_i32 s3, s2, s11
	s_ashr_i32 s37, s36, 31
	s_cmp_ge_u32 s2, s11
	s_cselect_b32 s0, s40, s0
	s_cselect_b32 s2, s3, s2
	s_add_i32 s3, s0, 1
	s_cmp_ge_u32 s2, s11
	s_cselect_b32 s0, s3, s0
	s_add_i32 s2, s31, 7
	s_lshl_b32 s44, s8, 6
	s_ashr_i32 s3, s2, 31
	v_or_b32_e32 v1, s44, v12
	s_lshr_b32 s3, s3, 29
	s_add_i32 s2, s2, s3
	s_add_i32 s3, s44, 64
	s_ashr_i32 s40, s2, 3
	s_xor_b32 s2, s0, s42
	s_min_i32 s20, s3, s40
	v_ashrrev_i32_e32 v2, 31, v1
	v_cmp_gt_i32_e64 s0, s20, v1
	s_sub_i32 s42, s2, s42
	s_and_saveexec_b32 s45, s0
	s_cbranch_execz .LBB268_405
; %bb.10:
	s_load_dwordx2 s[2:3], s[4:5], 0x20
	s_sub_i32 s4, s42, s21
	s_ashr_i32 s1, s18, 31
	v_bfe_u32 v15, v0, 2, 3
	v_cmp_eq_u32_e32 vcc_lo, 0, v3
	v_lshlrev_b32_e32 v8, 1, v3
	v_mul_u32_u24_e32 v16, 0x60, v3
	v_mov_b32_e32 v4, 0
	v_lshlrev_b32_e32 v3, 2, v15
	v_subrev_nc_u32_e32 v9, s31, v15
	v_lshl_add_u32 v17, v12, 3, s33
	v_mov_b32_e32 v18, 0x80
	v_mov_b32_e32 v19, 0x7f
	v_lshl_or_b32 v3, v12, 5, v3
	v_add_nc_u32_e32 v22, 1, v9
	v_mov_b32_e32 v20, 7
	v_mov_b32_e32 v21, 8
	;; [unrolled: 1-line block ×3, first 2 shown]
	v_add_nc_u32_e32 v23, 0x1a0, v3
	v_mov_b32_e32 v25, v1
	s_waitcnt lgkmcnt(0)
	s_add_u32 s46, s2, s18
	s_addc_u32 s47, s3, s1
	s_abs_i32 s5, s22
	v_cmp_neq_f32_e64 s1, s43, 0
	v_cvt_f32_u32_e32 v5, s5
	s_sub_i32 s2, 0, s5
	v_rcp_iflag_f32_e32 v7, v5
	v_lshlrev_b64 v[5:6], 2, v[1:2]
	v_mul_f32_e32 v7, 0x4f7ffffe, v7
	v_cvt_u32_f32_e32 v10, v7
	v_lshlrev_b32_e32 v7, 4, v15
	v_mul_lo_u32 v3, s2, v10
	s_lshl_b64 s[2:3], s[36:37], 2
	v_add_co_u32 v7, s46, s46, v7
	s_add_u32 s2, s34, s2
	v_add_co_ci_u32_e64 v9, null, s47, 0, s46
	s_addc_u32 s3, s35, s3
	v_mul_hi_u32 v3, v10, v3
	v_add_co_u32 v5, s2, s2, v5
	v_add_co_ci_u32_e64 v6, null, s3, v6, s2
	v_add_co_u32 v7, s2, v7, v8
	v_add_co_ci_u32_e64 v8, null, 0, v9, s2
	v_add_nc_u32_e32 v24, v10, v3
	s_mov_b32 s46, 0
	s_mov_b32 s47, s17
	s_branch .LBB268_13
.LBB268_11:                             ;   in Loop: Header=BB268_13 Depth=1
	s_or_b32 exec_lo, exec_lo, s48
.LBB268_12:                             ;   in Loop: Header=BB268_13 Depth=1
	s_or_b32 exec_lo, exec_lo, s3
	v_add_nc_u32_e32 v25, 4, v25
	v_add_co_u32 v5, s3, v5, 16
	v_add_co_ci_u32_e64 v6, null, 0, v6, s3
	v_cmp_le_i32_e64 s2, s20, v25
	v_add_nc_u32_e32 v17, 32, v17
	v_add_nc_u32_e32 v23, 0x80, v23
	s_or_b32 s46, s2, s46
	s_andn2_b32 exec_lo, exec_lo, s46
	s_cbranch_execz .LBB268_404
.LBB268_13:                             ; =>This Inner Loop Header: Depth=1
	v_sub_nc_u32_e32 v3, 0, v17
	v_max_i32_e32 v3, v17, v3
	s_waitcnt lgkmcnt(0)
	v_mul_hi_u32 v9, v3, s16
	v_mul_lo_u32 v10, v9, s11
	v_sub_nc_u32_e32 v3, v3, v10
	v_add_nc_u32_e32 v10, 1, v9
	v_subrev_nc_u32_e32 v26, s11, v3
	v_cmp_le_u32_e64 s2, s11, v3
	v_cndmask_b32_e64 v9, v9, v10, s2
	v_cndmask_b32_e64 v3, v3, v26, s2
	v_ashrrev_i32_e32 v10, 31, v17
	v_add_nc_u32_e32 v26, 1, v9
	v_cmp_le_u32_e64 s2, s11, v3
	v_xor_b32_e32 v10, s23, v10
	v_cndmask_b32_e64 v3, v9, v26, s2
	v_xor_b32_e32 v3, v3, v10
	v_sub_nc_u32_e32 v3, v3, v10
	v_add_nc_u32_e32 v9, s19, v3
	v_cmp_ge_i32_e64 s3, s4, v3
	v_sub_nc_u32_e32 v10, 0, v9
	v_max_i32_e32 v10, v9, v10
	v_ashrrev_i32_e32 v9, 31, v9
	v_mul_hi_u32 v26, v10, v24
	v_mul_lo_u32 v26, v26, s5
	v_sub_nc_u32_e32 v10, v10, v26
	v_subrev_nc_u32_e32 v26, s5, v10
	v_cmp_le_u32_e64 s2, s5, v10
	v_cndmask_b32_e64 v10, v10, v26, s2
	v_subrev_nc_u32_e32 v26, s5, v10
	v_cmp_le_u32_e64 s2, s5, v10
	v_cndmask_b32_e64 v10, v10, v26, s2
	v_xor_b32_e32 v10, v10, v9
	v_sub_nc_u32_e32 v9, v10, v9
	v_cmp_ne_u32_e64 s2, 0, v9
	s_and_b32 s2, s2, s3
	s_and_saveexec_b32 s3, s2
	s_xor_b32 s2, exec_lo, s3
	s_cbranch_execz .LBB268_17
; %bb.14:                               ;   in Loop: Header=BB268_13 Depth=1
	s_and_saveexec_b32 s3, vcc_lo
; %bb.15:                               ;   in Loop: Header=BB268_13 Depth=1
	v_mov_b32_e32 v3, 0xff7fffff
	ds_write_b32 v23, v3
; %bb.16:                               ;   in Loop: Header=BB268_13 Depth=1
	s_or_b32 exec_lo, exec_lo, s3
.LBB268_17:                             ;   in Loop: Header=BB268_13 Depth=1
	s_andn2_saveexec_b32 s3, s2
	s_cbranch_execz .LBB268_12
; %bb.18:                               ;   in Loop: Header=BB268_13 Depth=1
	global_load_dword v3, v[5:6], off
	v_mov_b32_e32 v27, 0
	global_load_dword v26, v27, s[12:13]
	s_waitcnt vmcnt(1)
	v_mad_i64_i32 v[9:10], null, v3, s47, v[7:8]
	global_load_ushort v28, v[9:10], off
	s_waitcnt vmcnt(0)
	v_and_b32_e32 v3, 0xffff, v28
	v_cmp_ne_u16_sdwa s2, v28, v4 src0_sel:BYTE_0 src1_sel:DWORD
	v_mov_b32_e32 v28, 0
	s_and_saveexec_b32 s48, s2
	s_cbranch_execz .LBB268_26
; %bb.19:                               ;   in Loop: Header=BB268_13 Depth=1
	v_cmp_ne_u16_sdwa s2, v3, v18 src0_sel:BYTE_0 src1_sel:DWORD
	v_mov_b32_e32 v28, 0x8000
	s_and_saveexec_b32 s49, s2
	s_cbranch_execz .LBB268_25
; %bb.20:                               ;   in Loop: Header=BB268_13 Depth=1
	v_and_b32_e32 v30, 0x7f, v3
	v_mov_b32_e32 v28, 0x7c01
	s_mov_b32 s50, exec_lo
	v_cmpx_ne_u32_e32 0x7f, v30
	s_cbranch_execz .LBB268_24
; %bb.21:                               ;   in Loop: Header=BB268_13 Depth=1
	v_and_b32_e32 v28, 7, v3
	v_lshrrev_b32_e32 v29, 3, v30
	s_mov_b32 s51, exec_lo
	v_cmpx_gt_u32_e32 8, v30
; %bb.22:                               ;   in Loop: Header=BB268_13 Depth=1
	v_ffbh_u32_e32 v28, v28
	v_min_u32_e32 v30, 32, v28
	v_subrev_nc_u32_e32 v28, 28, v30
	v_lshlrev_b64 v[28:29], v28, v[3:4]
	v_sub_nc_u32_e32 v29, 29, v30
	v_and_b32_e32 v28, 7, v28
; %bb.23:                               ;   in Loop: Header=BB268_13 Depth=1
	s_or_b32 exec_lo, exec_lo, s51
	v_lshlrev_b32_e32 v30, 8, v3
	v_lshl_add_u32 v29, v29, 10, 0x2000
	v_lshlrev_b32_e32 v28, 7, v28
	v_and_b32_e32 v30, 0x8000, v30
	v_and_b32_e32 v29, 0xfc00, v29
	v_or3_b32 v28, v30, v29, v28
.LBB268_24:                             ;   in Loop: Header=BB268_13 Depth=1
	s_or_b32 exec_lo, exec_lo, s50
.LBB268_25:                             ;   in Loop: Header=BB268_13 Depth=1
	s_or_b32 exec_lo, exec_lo, s49
.LBB268_26:                             ;   in Loop: Header=BB268_13 Depth=1
	s_or_b32 exec_lo, exec_lo, s48
	v_lshrrev_b16 v3, 8, v3
	s_mov_b32 s48, exec_lo
	v_cmpx_ne_u16_e32 0, v3
	s_cbranch_execz .LBB268_34
; %bb.27:                               ;   in Loop: Header=BB268_13 Depth=1
	v_bfrev_b32_e32 v27, 1
	s_mov_b32 s49, exec_lo
	v_cmpx_ne_u16_e32 0x80, v3
	s_cbranch_execz .LBB268_33
; %bb.28:                               ;   in Loop: Header=BB268_13 Depth=1
	v_and_b32_sdwa v30, v3, v19 dst_sel:DWORD dst_unused:UNUSED_PAD src0_sel:WORD_0 src1_sel:DWORD
	v_mov_b32_e32 v27, 0x7c010000
	s_mov_b32 s50, exec_lo
	v_cmpx_ne_u32_e32 0x7f, v30
	s_cbranch_execz .LBB268_32
; %bb.29:                               ;   in Loop: Header=BB268_13 Depth=1
	v_and_b32_sdwa v27, v3, v20 dst_sel:DWORD dst_unused:UNUSED_PAD src0_sel:WORD_0 src1_sel:DWORD
	v_lshrrev_b32_e32 v29, 3, v30
	s_mov_b32 s51, exec_lo
	v_cmpx_gt_u32_e32 8, v30
; %bb.30:                               ;   in Loop: Header=BB268_13 Depth=1
	v_ffbh_u32_e32 v27, v27
	v_min_u32_e32 v27, 32, v27
	v_subrev_nc_u32_e32 v29, 28, v27
	v_lshlrev_b64 v[30:31], v29, v[3:4]
	v_sub_nc_u32_e32 v29, 29, v27
	v_and_b32_e32 v27, 7, v30
; %bb.31:                               ;   in Loop: Header=BB268_13 Depth=1
	s_or_b32 exec_lo, exec_lo, s51
	v_lshlrev_b32_sdwa v3, v21, v3 dst_sel:DWORD dst_unused:UNUSED_PAD src0_sel:DWORD src1_sel:WORD_0
	v_lshl_add_u32 v29, v29, 10, 0x2000
	v_lshlrev_b32_e32 v27, 23, v27
	v_and_or_b32 v3, 0x8000, v3, v29
	v_lshl_or_b32 v27, v3, 16, v27
.LBB268_32:                             ;   in Loop: Header=BB268_13 Depth=1
	s_or_b32 exec_lo, exec_lo, s50
.LBB268_33:                             ;   in Loop: Header=BB268_13 Depth=1
	s_or_b32 exec_lo, exec_lo, s49
.LBB268_34:                             ;   in Loop: Header=BB268_13 Depth=1
	s_or_b32 exec_lo, exec_lo, s48
	global_load_ushort v30, v[9:10], off offset:8
	v_mov_b32_e32 v29, 0
	s_waitcnt vmcnt(0)
	v_and_b32_e32 v3, 0xffff, v30
	v_cmp_ne_u16_sdwa s2, v30, v4 src0_sel:BYTE_0 src1_sel:DWORD
	v_mov_b32_e32 v30, 0
	s_and_saveexec_b32 s48, s2
	s_cbranch_execz .LBB268_42
; %bb.35:                               ;   in Loop: Header=BB268_13 Depth=1
	v_cmp_ne_u16_sdwa s2, v3, v18 src0_sel:BYTE_0 src1_sel:DWORD
	v_mov_b32_e32 v30, 0x8000
	s_and_saveexec_b32 s49, s2
	s_cbranch_execz .LBB268_41
; %bb.36:                               ;   in Loop: Header=BB268_13 Depth=1
	v_and_b32_e32 v32, 0x7f, v3
	v_mov_b32_e32 v30, 0x7c01
	s_mov_b32 s50, exec_lo
	v_cmpx_ne_u32_e32 0x7f, v32
	s_cbranch_execz .LBB268_40
; %bb.37:                               ;   in Loop: Header=BB268_13 Depth=1
	v_and_b32_e32 v30, 7, v3
	v_lshrrev_b32_e32 v31, 3, v32
	s_mov_b32 s51, exec_lo
	v_cmpx_gt_u32_e32 8, v32
; %bb.38:                               ;   in Loop: Header=BB268_13 Depth=1
	v_ffbh_u32_e32 v30, v30
	v_min_u32_e32 v32, 32, v30
	v_subrev_nc_u32_e32 v30, 28, v32
	v_lshlrev_b64 v[30:31], v30, v[3:4]
	v_sub_nc_u32_e32 v31, 29, v32
	v_and_b32_e32 v30, 7, v30
; %bb.39:                               ;   in Loop: Header=BB268_13 Depth=1
	s_or_b32 exec_lo, exec_lo, s51
	v_lshlrev_b32_e32 v32, 8, v3
	v_lshl_add_u32 v31, v31, 10, 0x2000
	v_lshlrev_b32_e32 v30, 7, v30
	v_and_b32_e32 v32, 0x8000, v32
	v_and_b32_e32 v31, 0xfc00, v31
	v_or3_b32 v30, v32, v31, v30
.LBB268_40:                             ;   in Loop: Header=BB268_13 Depth=1
	s_or_b32 exec_lo, exec_lo, s50
.LBB268_41:                             ;   in Loop: Header=BB268_13 Depth=1
	s_or_b32 exec_lo, exec_lo, s49
.LBB268_42:                             ;   in Loop: Header=BB268_13 Depth=1
	s_or_b32 exec_lo, exec_lo, s48
	v_lshrrev_b16 v3, 8, v3
	s_mov_b32 s48, exec_lo
	v_cmpx_ne_u16_e32 0, v3
	s_cbranch_execz .LBB268_50
; %bb.43:                               ;   in Loop: Header=BB268_13 Depth=1
	v_bfrev_b32_e32 v29, 1
	s_mov_b32 s49, exec_lo
	v_cmpx_ne_u16_e32 0x80, v3
	s_cbranch_execz .LBB268_49
; %bb.44:                               ;   in Loop: Header=BB268_13 Depth=1
	v_and_b32_sdwa v32, v3, v19 dst_sel:DWORD dst_unused:UNUSED_PAD src0_sel:WORD_0 src1_sel:DWORD
	v_mov_b32_e32 v29, 0x7c010000
	s_mov_b32 s50, exec_lo
	v_cmpx_ne_u32_e32 0x7f, v32
	s_cbranch_execz .LBB268_48
; %bb.45:                               ;   in Loop: Header=BB268_13 Depth=1
	v_and_b32_sdwa v29, v3, v20 dst_sel:DWORD dst_unused:UNUSED_PAD src0_sel:WORD_0 src1_sel:DWORD
	v_lshrrev_b32_e32 v31, 3, v32
	s_mov_b32 s51, exec_lo
	v_cmpx_gt_u32_e32 8, v32
; %bb.46:                               ;   in Loop: Header=BB268_13 Depth=1
	v_ffbh_u32_e32 v29, v29
	v_min_u32_e32 v29, 32, v29
	v_subrev_nc_u32_e32 v31, 28, v29
	v_lshlrev_b64 v[32:33], v31, v[3:4]
	v_sub_nc_u32_e32 v31, 29, v29
	v_and_b32_e32 v29, 7, v32
; %bb.47:                               ;   in Loop: Header=BB268_13 Depth=1
	s_or_b32 exec_lo, exec_lo, s51
	v_lshlrev_b32_sdwa v3, v21, v3 dst_sel:DWORD dst_unused:UNUSED_PAD src0_sel:DWORD src1_sel:WORD_0
	v_lshl_add_u32 v31, v31, 10, 0x2000
	v_lshlrev_b32_e32 v29, 23, v29
	v_and_or_b32 v3, 0x8000, v3, v31
	v_lshl_or_b32 v29, v3, 16, v29
.LBB268_48:                             ;   in Loop: Header=BB268_13 Depth=1
	s_or_b32 exec_lo, exec_lo, s50
.LBB268_49:                             ;   in Loop: Header=BB268_13 Depth=1
	s_or_b32 exec_lo, exec_lo, s49
.LBB268_50:                             ;   in Loop: Header=BB268_13 Depth=1
	s_or_b32 exec_lo, exec_lo, s48
	global_load_ushort v32, v[9:10], off offset:128
	v_mov_b32_e32 v31, 0
	s_waitcnt vmcnt(0)
	v_and_b32_e32 v3, 0xffff, v32
	v_cmp_ne_u16_sdwa s2, v32, v4 src0_sel:BYTE_0 src1_sel:DWORD
	v_mov_b32_e32 v32, 0
	s_and_saveexec_b32 s48, s2
	s_cbranch_execz .LBB268_58
; %bb.51:                               ;   in Loop: Header=BB268_13 Depth=1
	v_cmp_ne_u16_sdwa s2, v3, v18 src0_sel:BYTE_0 src1_sel:DWORD
	v_mov_b32_e32 v32, 0x8000
	s_and_saveexec_b32 s49, s2
	s_cbranch_execz .LBB268_57
; %bb.52:                               ;   in Loop: Header=BB268_13 Depth=1
	v_and_b32_e32 v34, 0x7f, v3
	v_mov_b32_e32 v32, 0x7c01
	s_mov_b32 s50, exec_lo
	v_cmpx_ne_u32_e32 0x7f, v34
	s_cbranch_execz .LBB268_56
; %bb.53:                               ;   in Loop: Header=BB268_13 Depth=1
	v_and_b32_e32 v32, 7, v3
	v_lshrrev_b32_e32 v33, 3, v34
	s_mov_b32 s51, exec_lo
	v_cmpx_gt_u32_e32 8, v34
; %bb.54:                               ;   in Loop: Header=BB268_13 Depth=1
	v_ffbh_u32_e32 v32, v32
	v_min_u32_e32 v34, 32, v32
	v_subrev_nc_u32_e32 v32, 28, v34
	v_lshlrev_b64 v[32:33], v32, v[3:4]
	v_sub_nc_u32_e32 v33, 29, v34
	v_and_b32_e32 v32, 7, v32
; %bb.55:                               ;   in Loop: Header=BB268_13 Depth=1
	s_or_b32 exec_lo, exec_lo, s51
	v_lshlrev_b32_e32 v34, 8, v3
	v_lshl_add_u32 v33, v33, 10, 0x2000
	v_lshlrev_b32_e32 v32, 7, v32
	v_and_b32_e32 v34, 0x8000, v34
	v_and_b32_e32 v33, 0xfc00, v33
	v_or3_b32 v32, v34, v33, v32
.LBB268_56:                             ;   in Loop: Header=BB268_13 Depth=1
	s_or_b32 exec_lo, exec_lo, s50
.LBB268_57:                             ;   in Loop: Header=BB268_13 Depth=1
	s_or_b32 exec_lo, exec_lo, s49
.LBB268_58:                             ;   in Loop: Header=BB268_13 Depth=1
	s_or_b32 exec_lo, exec_lo, s48
	v_lshrrev_b16 v3, 8, v3
	s_mov_b32 s48, exec_lo
	v_cmpx_ne_u16_e32 0, v3
	s_cbranch_execz .LBB268_66
; %bb.59:                               ;   in Loop: Header=BB268_13 Depth=1
	v_bfrev_b32_e32 v31, 1
	s_mov_b32 s49, exec_lo
	v_cmpx_ne_u16_e32 0x80, v3
	s_cbranch_execz .LBB268_65
; %bb.60:                               ;   in Loop: Header=BB268_13 Depth=1
	v_and_b32_sdwa v34, v3, v19 dst_sel:DWORD dst_unused:UNUSED_PAD src0_sel:WORD_0 src1_sel:DWORD
	v_mov_b32_e32 v31, 0x7c010000
	s_mov_b32 s50, exec_lo
	v_cmpx_ne_u32_e32 0x7f, v34
	s_cbranch_execz .LBB268_64
; %bb.61:                               ;   in Loop: Header=BB268_13 Depth=1
	v_and_b32_sdwa v31, v3, v20 dst_sel:DWORD dst_unused:UNUSED_PAD src0_sel:WORD_0 src1_sel:DWORD
	v_lshrrev_b32_e32 v33, 3, v34
	s_mov_b32 s51, exec_lo
	v_cmpx_gt_u32_e32 8, v34
; %bb.62:                               ;   in Loop: Header=BB268_13 Depth=1
	v_ffbh_u32_e32 v31, v31
	v_min_u32_e32 v31, 32, v31
	v_subrev_nc_u32_e32 v33, 28, v31
	v_lshlrev_b64 v[34:35], v33, v[3:4]
	v_sub_nc_u32_e32 v33, 29, v31
	v_and_b32_e32 v31, 7, v34
; %bb.63:                               ;   in Loop: Header=BB268_13 Depth=1
	s_or_b32 exec_lo, exec_lo, s51
	v_lshlrev_b32_sdwa v3, v21, v3 dst_sel:DWORD dst_unused:UNUSED_PAD src0_sel:DWORD src1_sel:WORD_0
	v_lshl_add_u32 v33, v33, 10, 0x2000
	v_lshlrev_b32_e32 v31, 23, v31
	v_and_or_b32 v3, 0x8000, v3, v33
	v_lshl_or_b32 v31, v3, 16, v31
.LBB268_64:                             ;   in Loop: Header=BB268_13 Depth=1
	s_or_b32 exec_lo, exec_lo, s50
.LBB268_65:                             ;   in Loop: Header=BB268_13 Depth=1
	s_or_b32 exec_lo, exec_lo, s49
.LBB268_66:                             ;   in Loop: Header=BB268_13 Depth=1
	s_or_b32 exec_lo, exec_lo, s48
	global_load_ushort v34, v[9:10], off offset:136
	v_mov_b32_e32 v33, 0
	s_waitcnt vmcnt(0)
	v_and_b32_e32 v3, 0xffff, v34
	v_cmp_ne_u16_sdwa s2, v34, v4 src0_sel:BYTE_0 src1_sel:DWORD
	v_mov_b32_e32 v34, 0
	s_and_saveexec_b32 s48, s2
	s_cbranch_execz .LBB268_74
; %bb.67:                               ;   in Loop: Header=BB268_13 Depth=1
	v_cmp_ne_u16_sdwa s2, v3, v18 src0_sel:BYTE_0 src1_sel:DWORD
	v_mov_b32_e32 v34, 0x8000
	s_and_saveexec_b32 s49, s2
	s_cbranch_execz .LBB268_73
; %bb.68:                               ;   in Loop: Header=BB268_13 Depth=1
	v_and_b32_e32 v36, 0x7f, v3
	v_mov_b32_e32 v34, 0x7c01
	s_mov_b32 s50, exec_lo
	v_cmpx_ne_u32_e32 0x7f, v36
	s_cbranch_execz .LBB268_72
; %bb.69:                               ;   in Loop: Header=BB268_13 Depth=1
	v_and_b32_e32 v34, 7, v3
	v_lshrrev_b32_e32 v35, 3, v36
	s_mov_b32 s51, exec_lo
	v_cmpx_gt_u32_e32 8, v36
; %bb.70:                               ;   in Loop: Header=BB268_13 Depth=1
	v_ffbh_u32_e32 v34, v34
	v_min_u32_e32 v36, 32, v34
	v_subrev_nc_u32_e32 v34, 28, v36
	v_lshlrev_b64 v[34:35], v34, v[3:4]
	v_sub_nc_u32_e32 v35, 29, v36
	v_and_b32_e32 v34, 7, v34
; %bb.71:                               ;   in Loop: Header=BB268_13 Depth=1
	s_or_b32 exec_lo, exec_lo, s51
	v_lshlrev_b32_e32 v36, 8, v3
	v_lshl_add_u32 v35, v35, 10, 0x2000
	v_lshlrev_b32_e32 v34, 7, v34
	v_and_b32_e32 v36, 0x8000, v36
	v_and_b32_e32 v35, 0xfc00, v35
	v_or3_b32 v34, v36, v35, v34
.LBB268_72:                             ;   in Loop: Header=BB268_13 Depth=1
	s_or_b32 exec_lo, exec_lo, s50
.LBB268_73:                             ;   in Loop: Header=BB268_13 Depth=1
	s_or_b32 exec_lo, exec_lo, s49
.LBB268_74:                             ;   in Loop: Header=BB268_13 Depth=1
	s_or_b32 exec_lo, exec_lo, s48
	v_lshrrev_b16 v3, 8, v3
	s_mov_b32 s48, exec_lo
	v_cmpx_ne_u16_e32 0, v3
	s_cbranch_execz .LBB268_82
; %bb.75:                               ;   in Loop: Header=BB268_13 Depth=1
	v_bfrev_b32_e32 v33, 1
	s_mov_b32 s49, exec_lo
	v_cmpx_ne_u16_e32 0x80, v3
	s_cbranch_execz .LBB268_81
; %bb.76:                               ;   in Loop: Header=BB268_13 Depth=1
	v_and_b32_sdwa v36, v3, v19 dst_sel:DWORD dst_unused:UNUSED_PAD src0_sel:WORD_0 src1_sel:DWORD
	v_mov_b32_e32 v33, 0x7c010000
	s_mov_b32 s50, exec_lo
	v_cmpx_ne_u32_e32 0x7f, v36
	s_cbranch_execz .LBB268_80
; %bb.77:                               ;   in Loop: Header=BB268_13 Depth=1
	v_and_b32_sdwa v33, v3, v20 dst_sel:DWORD dst_unused:UNUSED_PAD src0_sel:WORD_0 src1_sel:DWORD
	v_lshrrev_b32_e32 v35, 3, v36
	s_mov_b32 s51, exec_lo
	v_cmpx_gt_u32_e32 8, v36
; %bb.78:                               ;   in Loop: Header=BB268_13 Depth=1
	v_ffbh_u32_e32 v33, v33
	v_min_u32_e32 v33, 32, v33
	v_subrev_nc_u32_e32 v35, 28, v33
	v_lshlrev_b64 v[36:37], v35, v[3:4]
	v_sub_nc_u32_e32 v35, 29, v33
	v_and_b32_e32 v33, 7, v36
; %bb.79:                               ;   in Loop: Header=BB268_13 Depth=1
	s_or_b32 exec_lo, exec_lo, s51
	v_lshlrev_b32_sdwa v3, v21, v3 dst_sel:DWORD dst_unused:UNUSED_PAD src0_sel:DWORD src1_sel:WORD_0
	v_lshl_add_u32 v35, v35, 10, 0x2000
	v_lshlrev_b32_e32 v33, 23, v33
	v_and_or_b32 v3, 0x8000, v3, v35
	v_lshl_or_b32 v33, v3, 16, v33
.LBB268_80:                             ;   in Loop: Header=BB268_13 Depth=1
	s_or_b32 exec_lo, exec_lo, s50
.LBB268_81:                             ;   in Loop: Header=BB268_13 Depth=1
	s_or_b32 exec_lo, exec_lo, s49
.LBB268_82:                             ;   in Loop: Header=BB268_13 Depth=1
	s_or_b32 exec_lo, exec_lo, s48
	global_load_ushort v36, v[9:10], off offset:256
	v_mov_b32_e32 v35, 0
	s_waitcnt vmcnt(0)
	v_and_b32_e32 v3, 0xffff, v36
	v_cmp_ne_u16_sdwa s2, v36, v4 src0_sel:BYTE_0 src1_sel:DWORD
	v_mov_b32_e32 v36, 0
	s_and_saveexec_b32 s48, s2
	s_cbranch_execz .LBB268_90
; %bb.83:                               ;   in Loop: Header=BB268_13 Depth=1
	v_cmp_ne_u16_sdwa s2, v3, v18 src0_sel:BYTE_0 src1_sel:DWORD
	v_mov_b32_e32 v36, 0x8000
	s_and_saveexec_b32 s49, s2
	s_cbranch_execz .LBB268_89
; %bb.84:                               ;   in Loop: Header=BB268_13 Depth=1
	v_and_b32_e32 v38, 0x7f, v3
	v_mov_b32_e32 v36, 0x7c01
	s_mov_b32 s50, exec_lo
	v_cmpx_ne_u32_e32 0x7f, v38
	s_cbranch_execz .LBB268_88
; %bb.85:                               ;   in Loop: Header=BB268_13 Depth=1
	v_and_b32_e32 v36, 7, v3
	v_lshrrev_b32_e32 v37, 3, v38
	s_mov_b32 s51, exec_lo
	v_cmpx_gt_u32_e32 8, v38
; %bb.86:                               ;   in Loop: Header=BB268_13 Depth=1
	v_ffbh_u32_e32 v36, v36
	v_min_u32_e32 v38, 32, v36
	v_subrev_nc_u32_e32 v36, 28, v38
	v_lshlrev_b64 v[36:37], v36, v[3:4]
	v_sub_nc_u32_e32 v37, 29, v38
	v_and_b32_e32 v36, 7, v36
; %bb.87:                               ;   in Loop: Header=BB268_13 Depth=1
	s_or_b32 exec_lo, exec_lo, s51
	v_lshlrev_b32_e32 v38, 8, v3
	v_lshl_add_u32 v37, v37, 10, 0x2000
	v_lshlrev_b32_e32 v36, 7, v36
	v_and_b32_e32 v38, 0x8000, v38
	v_and_b32_e32 v37, 0xfc00, v37
	v_or3_b32 v36, v38, v37, v36
.LBB268_88:                             ;   in Loop: Header=BB268_13 Depth=1
	s_or_b32 exec_lo, exec_lo, s50
.LBB268_89:                             ;   in Loop: Header=BB268_13 Depth=1
	s_or_b32 exec_lo, exec_lo, s49
.LBB268_90:                             ;   in Loop: Header=BB268_13 Depth=1
	s_or_b32 exec_lo, exec_lo, s48
	v_lshrrev_b16 v3, 8, v3
	s_mov_b32 s48, exec_lo
	v_cmpx_ne_u16_e32 0, v3
	s_cbranch_execz .LBB268_98
; %bb.91:                               ;   in Loop: Header=BB268_13 Depth=1
	v_bfrev_b32_e32 v35, 1
	s_mov_b32 s49, exec_lo
	v_cmpx_ne_u16_e32 0x80, v3
	s_cbranch_execz .LBB268_97
; %bb.92:                               ;   in Loop: Header=BB268_13 Depth=1
	v_and_b32_sdwa v38, v3, v19 dst_sel:DWORD dst_unused:UNUSED_PAD src0_sel:WORD_0 src1_sel:DWORD
	v_mov_b32_e32 v35, 0x7c010000
	s_mov_b32 s50, exec_lo
	v_cmpx_ne_u32_e32 0x7f, v38
	s_cbranch_execz .LBB268_96
; %bb.93:                               ;   in Loop: Header=BB268_13 Depth=1
	v_and_b32_sdwa v35, v3, v20 dst_sel:DWORD dst_unused:UNUSED_PAD src0_sel:WORD_0 src1_sel:DWORD
	v_lshrrev_b32_e32 v37, 3, v38
	s_mov_b32 s51, exec_lo
	v_cmpx_gt_u32_e32 8, v38
; %bb.94:                               ;   in Loop: Header=BB268_13 Depth=1
	v_ffbh_u32_e32 v35, v35
	v_min_u32_e32 v35, 32, v35
	v_subrev_nc_u32_e32 v37, 28, v35
	v_lshlrev_b64 v[38:39], v37, v[3:4]
	v_sub_nc_u32_e32 v37, 29, v35
	v_and_b32_e32 v35, 7, v38
; %bb.95:                               ;   in Loop: Header=BB268_13 Depth=1
	s_or_b32 exec_lo, exec_lo, s51
	v_lshlrev_b32_sdwa v3, v21, v3 dst_sel:DWORD dst_unused:UNUSED_PAD src0_sel:DWORD src1_sel:WORD_0
	v_lshl_add_u32 v37, v37, 10, 0x2000
	v_lshlrev_b32_e32 v35, 23, v35
	v_and_or_b32 v3, 0x8000, v3, v37
	v_lshl_or_b32 v35, v3, 16, v35
.LBB268_96:                             ;   in Loop: Header=BB268_13 Depth=1
	s_or_b32 exec_lo, exec_lo, s50
.LBB268_97:                             ;   in Loop: Header=BB268_13 Depth=1
	s_or_b32 exec_lo, exec_lo, s49
.LBB268_98:                             ;   in Loop: Header=BB268_13 Depth=1
	s_or_b32 exec_lo, exec_lo, s48
	global_load_ushort v38, v[9:10], off offset:264
	v_mov_b32_e32 v37, 0
	s_waitcnt vmcnt(0)
	v_and_b32_e32 v3, 0xffff, v38
	v_cmp_ne_u16_sdwa s2, v38, v4 src0_sel:BYTE_0 src1_sel:DWORD
	v_mov_b32_e32 v38, 0
	s_and_saveexec_b32 s48, s2
	s_cbranch_execz .LBB268_106
; %bb.99:                               ;   in Loop: Header=BB268_13 Depth=1
	v_cmp_ne_u16_sdwa s2, v3, v18 src0_sel:BYTE_0 src1_sel:DWORD
	v_mov_b32_e32 v38, 0x8000
	s_and_saveexec_b32 s49, s2
	s_cbranch_execz .LBB268_105
; %bb.100:                              ;   in Loop: Header=BB268_13 Depth=1
	v_and_b32_e32 v40, 0x7f, v3
	v_mov_b32_e32 v38, 0x7c01
	s_mov_b32 s50, exec_lo
	v_cmpx_ne_u32_e32 0x7f, v40
	s_cbranch_execz .LBB268_104
; %bb.101:                              ;   in Loop: Header=BB268_13 Depth=1
	v_and_b32_e32 v38, 7, v3
	v_lshrrev_b32_e32 v39, 3, v40
	s_mov_b32 s51, exec_lo
	v_cmpx_gt_u32_e32 8, v40
; %bb.102:                              ;   in Loop: Header=BB268_13 Depth=1
	v_ffbh_u32_e32 v38, v38
	v_min_u32_e32 v40, 32, v38
	v_subrev_nc_u32_e32 v38, 28, v40
	v_lshlrev_b64 v[38:39], v38, v[3:4]
	v_sub_nc_u32_e32 v39, 29, v40
	v_and_b32_e32 v38, 7, v38
; %bb.103:                              ;   in Loop: Header=BB268_13 Depth=1
	s_or_b32 exec_lo, exec_lo, s51
	v_lshlrev_b32_e32 v40, 8, v3
	v_lshl_add_u32 v39, v39, 10, 0x2000
	v_lshlrev_b32_e32 v38, 7, v38
	v_and_b32_e32 v40, 0x8000, v40
	v_and_b32_e32 v39, 0xfc00, v39
	v_or3_b32 v38, v40, v39, v38
.LBB268_104:                            ;   in Loop: Header=BB268_13 Depth=1
	s_or_b32 exec_lo, exec_lo, s50
.LBB268_105:                            ;   in Loop: Header=BB268_13 Depth=1
	s_or_b32 exec_lo, exec_lo, s49
.LBB268_106:                            ;   in Loop: Header=BB268_13 Depth=1
	s_or_b32 exec_lo, exec_lo, s48
	v_lshrrev_b16 v3, 8, v3
	s_mov_b32 s48, exec_lo
	v_cmpx_ne_u16_e32 0, v3
	s_cbranch_execz .LBB268_114
; %bb.107:                              ;   in Loop: Header=BB268_13 Depth=1
	v_bfrev_b32_e32 v37, 1
	s_mov_b32 s49, exec_lo
	v_cmpx_ne_u16_e32 0x80, v3
	s_cbranch_execz .LBB268_113
; %bb.108:                              ;   in Loop: Header=BB268_13 Depth=1
	v_and_b32_sdwa v40, v3, v19 dst_sel:DWORD dst_unused:UNUSED_PAD src0_sel:WORD_0 src1_sel:DWORD
	v_mov_b32_e32 v37, 0x7c010000
	s_mov_b32 s50, exec_lo
	v_cmpx_ne_u32_e32 0x7f, v40
	s_cbranch_execz .LBB268_112
; %bb.109:                              ;   in Loop: Header=BB268_13 Depth=1
	v_and_b32_sdwa v37, v3, v20 dst_sel:DWORD dst_unused:UNUSED_PAD src0_sel:WORD_0 src1_sel:DWORD
	v_lshrrev_b32_e32 v39, 3, v40
	s_mov_b32 s51, exec_lo
	v_cmpx_gt_u32_e32 8, v40
; %bb.110:                              ;   in Loop: Header=BB268_13 Depth=1
	v_ffbh_u32_e32 v37, v37
	v_min_u32_e32 v37, 32, v37
	v_subrev_nc_u32_e32 v39, 28, v37
	v_lshlrev_b64 v[40:41], v39, v[3:4]
	v_sub_nc_u32_e32 v39, 29, v37
	v_and_b32_e32 v37, 7, v40
; %bb.111:                              ;   in Loop: Header=BB268_13 Depth=1
	s_or_b32 exec_lo, exec_lo, s51
	v_lshlrev_b32_sdwa v3, v21, v3 dst_sel:DWORD dst_unused:UNUSED_PAD src0_sel:DWORD src1_sel:WORD_0
	v_lshl_add_u32 v39, v39, 10, 0x2000
	v_lshlrev_b32_e32 v37, 23, v37
	v_and_or_b32 v3, 0x8000, v3, v39
	v_lshl_or_b32 v37, v3, 16, v37
.LBB268_112:                            ;   in Loop: Header=BB268_13 Depth=1
	s_or_b32 exec_lo, exec_lo, s50
.LBB268_113:                            ;   in Loop: Header=BB268_13 Depth=1
	s_or_b32 exec_lo, exec_lo, s49
.LBB268_114:                            ;   in Loop: Header=BB268_13 Depth=1
	s_or_b32 exec_lo, exec_lo, s48
	global_load_ushort v40, v[9:10], off offset:384
	v_mov_b32_e32 v39, 0
	s_waitcnt vmcnt(0)
	v_and_b32_e32 v3, 0xffff, v40
	v_cmp_ne_u16_sdwa s2, v40, v4 src0_sel:BYTE_0 src1_sel:DWORD
	v_mov_b32_e32 v40, 0
	s_and_saveexec_b32 s48, s2
	s_cbranch_execz .LBB268_122
; %bb.115:                              ;   in Loop: Header=BB268_13 Depth=1
	v_cmp_ne_u16_sdwa s2, v3, v18 src0_sel:BYTE_0 src1_sel:DWORD
	v_mov_b32_e32 v40, 0x8000
	s_and_saveexec_b32 s49, s2
	s_cbranch_execz .LBB268_121
; %bb.116:                              ;   in Loop: Header=BB268_13 Depth=1
	v_and_b32_e32 v42, 0x7f, v3
	v_mov_b32_e32 v40, 0x7c01
	s_mov_b32 s50, exec_lo
	v_cmpx_ne_u32_e32 0x7f, v42
	s_cbranch_execz .LBB268_120
; %bb.117:                              ;   in Loop: Header=BB268_13 Depth=1
	v_and_b32_e32 v40, 7, v3
	v_lshrrev_b32_e32 v41, 3, v42
	s_mov_b32 s51, exec_lo
	v_cmpx_gt_u32_e32 8, v42
; %bb.118:                              ;   in Loop: Header=BB268_13 Depth=1
	v_ffbh_u32_e32 v40, v40
	v_min_u32_e32 v42, 32, v40
	v_subrev_nc_u32_e32 v40, 28, v42
	v_lshlrev_b64 v[40:41], v40, v[3:4]
	v_sub_nc_u32_e32 v41, 29, v42
	v_and_b32_e32 v40, 7, v40
; %bb.119:                              ;   in Loop: Header=BB268_13 Depth=1
	s_or_b32 exec_lo, exec_lo, s51
	v_lshlrev_b32_e32 v42, 8, v3
	v_lshl_add_u32 v41, v41, 10, 0x2000
	v_lshlrev_b32_e32 v40, 7, v40
	v_and_b32_e32 v42, 0x8000, v42
	v_and_b32_e32 v41, 0xfc00, v41
	v_or3_b32 v40, v42, v41, v40
.LBB268_120:                            ;   in Loop: Header=BB268_13 Depth=1
	s_or_b32 exec_lo, exec_lo, s50
.LBB268_121:                            ;   in Loop: Header=BB268_13 Depth=1
	s_or_b32 exec_lo, exec_lo, s49
.LBB268_122:                            ;   in Loop: Header=BB268_13 Depth=1
	s_or_b32 exec_lo, exec_lo, s48
	v_lshrrev_b16 v3, 8, v3
	s_mov_b32 s48, exec_lo
	v_cmpx_ne_u16_e32 0, v3
	s_cbranch_execz .LBB268_130
; %bb.123:                              ;   in Loop: Header=BB268_13 Depth=1
	v_bfrev_b32_e32 v39, 1
	s_mov_b32 s49, exec_lo
	v_cmpx_ne_u16_e32 0x80, v3
	s_cbranch_execz .LBB268_129
; %bb.124:                              ;   in Loop: Header=BB268_13 Depth=1
	v_and_b32_sdwa v42, v3, v19 dst_sel:DWORD dst_unused:UNUSED_PAD src0_sel:WORD_0 src1_sel:DWORD
	v_mov_b32_e32 v39, 0x7c010000
	s_mov_b32 s50, exec_lo
	v_cmpx_ne_u32_e32 0x7f, v42
	s_cbranch_execz .LBB268_128
; %bb.125:                              ;   in Loop: Header=BB268_13 Depth=1
	v_and_b32_sdwa v39, v3, v20 dst_sel:DWORD dst_unused:UNUSED_PAD src0_sel:WORD_0 src1_sel:DWORD
	v_lshrrev_b32_e32 v41, 3, v42
	s_mov_b32 s51, exec_lo
	v_cmpx_gt_u32_e32 8, v42
; %bb.126:                              ;   in Loop: Header=BB268_13 Depth=1
	v_ffbh_u32_e32 v39, v39
	v_min_u32_e32 v39, 32, v39
	v_subrev_nc_u32_e32 v41, 28, v39
	v_lshlrev_b64 v[42:43], v41, v[3:4]
	v_sub_nc_u32_e32 v41, 29, v39
	v_and_b32_e32 v39, 7, v42
; %bb.127:                              ;   in Loop: Header=BB268_13 Depth=1
	s_or_b32 exec_lo, exec_lo, s51
	v_lshlrev_b32_sdwa v3, v21, v3 dst_sel:DWORD dst_unused:UNUSED_PAD src0_sel:DWORD src1_sel:WORD_0
	v_lshl_add_u32 v41, v41, 10, 0x2000
	v_lshlrev_b32_e32 v39, 23, v39
	v_and_or_b32 v3, 0x8000, v3, v41
	v_lshl_or_b32 v39, v3, 16, v39
.LBB268_128:                            ;   in Loop: Header=BB268_13 Depth=1
	s_or_b32 exec_lo, exec_lo, s50
.LBB268_129:                            ;   in Loop: Header=BB268_13 Depth=1
	s_or_b32 exec_lo, exec_lo, s49
.LBB268_130:                            ;   in Loop: Header=BB268_13 Depth=1
	s_or_b32 exec_lo, exec_lo, s48
	global_load_ushort v42, v[9:10], off offset:392
	v_mov_b32_e32 v41, 0
	s_waitcnt vmcnt(0)
	v_and_b32_e32 v3, 0xffff, v42
	v_cmp_ne_u16_sdwa s2, v42, v4 src0_sel:BYTE_0 src1_sel:DWORD
	v_mov_b32_e32 v42, 0
	s_and_saveexec_b32 s48, s2
	s_cbranch_execz .LBB268_138
; %bb.131:                              ;   in Loop: Header=BB268_13 Depth=1
	v_cmp_ne_u16_sdwa s2, v3, v18 src0_sel:BYTE_0 src1_sel:DWORD
	v_mov_b32_e32 v42, 0x8000
	s_and_saveexec_b32 s49, s2
	s_cbranch_execz .LBB268_137
; %bb.132:                              ;   in Loop: Header=BB268_13 Depth=1
	v_and_b32_e32 v44, 0x7f, v3
	v_mov_b32_e32 v42, 0x7c01
	s_mov_b32 s50, exec_lo
	v_cmpx_ne_u32_e32 0x7f, v44
	s_cbranch_execz .LBB268_136
; %bb.133:                              ;   in Loop: Header=BB268_13 Depth=1
	v_and_b32_e32 v42, 7, v3
	v_lshrrev_b32_e32 v43, 3, v44
	s_mov_b32 s51, exec_lo
	v_cmpx_gt_u32_e32 8, v44
; %bb.134:                              ;   in Loop: Header=BB268_13 Depth=1
	v_ffbh_u32_e32 v42, v42
	v_min_u32_e32 v44, 32, v42
	v_subrev_nc_u32_e32 v42, 28, v44
	v_lshlrev_b64 v[42:43], v42, v[3:4]
	v_sub_nc_u32_e32 v43, 29, v44
	v_and_b32_e32 v42, 7, v42
; %bb.135:                              ;   in Loop: Header=BB268_13 Depth=1
	s_or_b32 exec_lo, exec_lo, s51
	v_lshlrev_b32_e32 v44, 8, v3
	v_lshl_add_u32 v43, v43, 10, 0x2000
	v_lshlrev_b32_e32 v42, 7, v42
	v_and_b32_e32 v44, 0x8000, v44
	v_and_b32_e32 v43, 0xfc00, v43
	v_or3_b32 v42, v44, v43, v42
.LBB268_136:                            ;   in Loop: Header=BB268_13 Depth=1
	s_or_b32 exec_lo, exec_lo, s50
.LBB268_137:                            ;   in Loop: Header=BB268_13 Depth=1
	s_or_b32 exec_lo, exec_lo, s49
.LBB268_138:                            ;   in Loop: Header=BB268_13 Depth=1
	s_or_b32 exec_lo, exec_lo, s48
	v_lshrrev_b16 v3, 8, v3
	s_mov_b32 s48, exec_lo
	v_cmpx_ne_u16_e32 0, v3
	s_cbranch_execz .LBB268_146
; %bb.139:                              ;   in Loop: Header=BB268_13 Depth=1
	v_bfrev_b32_e32 v41, 1
	s_mov_b32 s49, exec_lo
	v_cmpx_ne_u16_e32 0x80, v3
	s_cbranch_execz .LBB268_145
; %bb.140:                              ;   in Loop: Header=BB268_13 Depth=1
	v_and_b32_sdwa v44, v3, v19 dst_sel:DWORD dst_unused:UNUSED_PAD src0_sel:WORD_0 src1_sel:DWORD
	v_mov_b32_e32 v41, 0x7c010000
	s_mov_b32 s50, exec_lo
	v_cmpx_ne_u32_e32 0x7f, v44
	s_cbranch_execz .LBB268_144
; %bb.141:                              ;   in Loop: Header=BB268_13 Depth=1
	v_and_b32_sdwa v41, v3, v20 dst_sel:DWORD dst_unused:UNUSED_PAD src0_sel:WORD_0 src1_sel:DWORD
	v_lshrrev_b32_e32 v43, 3, v44
	s_mov_b32 s51, exec_lo
	v_cmpx_gt_u32_e32 8, v44
; %bb.142:                              ;   in Loop: Header=BB268_13 Depth=1
	v_ffbh_u32_e32 v41, v41
	v_min_u32_e32 v41, 32, v41
	v_subrev_nc_u32_e32 v43, 28, v41
	v_lshlrev_b64 v[44:45], v43, v[3:4]
	v_sub_nc_u32_e32 v43, 29, v41
	v_and_b32_e32 v41, 7, v44
; %bb.143:                              ;   in Loop: Header=BB268_13 Depth=1
	s_or_b32 exec_lo, exec_lo, s51
	v_lshlrev_b32_sdwa v3, v21, v3 dst_sel:DWORD dst_unused:UNUSED_PAD src0_sel:DWORD src1_sel:WORD_0
	v_lshl_add_u32 v43, v43, 10, 0x2000
	v_lshlrev_b32_e32 v41, 23, v41
	v_and_or_b32 v3, 0x8000, v3, v43
	v_lshl_or_b32 v41, v3, 16, v41
.LBB268_144:                            ;   in Loop: Header=BB268_13 Depth=1
	s_or_b32 exec_lo, exec_lo, s50
.LBB268_145:                            ;   in Loop: Header=BB268_13 Depth=1
	s_or_b32 exec_lo, exec_lo, s49
.LBB268_146:                            ;   in Loop: Header=BB268_13 Depth=1
	s_or_b32 exec_lo, exec_lo, s48
	global_load_ushort v44, v[9:10], off offset:512
	v_mov_b32_e32 v43, 0
	s_waitcnt vmcnt(0)
	v_and_b32_e32 v3, 0xffff, v44
	v_cmp_ne_u16_sdwa s2, v44, v4 src0_sel:BYTE_0 src1_sel:DWORD
	v_mov_b32_e32 v44, 0
	s_and_saveexec_b32 s48, s2
	s_cbranch_execz .LBB268_154
; %bb.147:                              ;   in Loop: Header=BB268_13 Depth=1
	v_cmp_ne_u16_sdwa s2, v3, v18 src0_sel:BYTE_0 src1_sel:DWORD
	v_mov_b32_e32 v44, 0x8000
	s_and_saveexec_b32 s49, s2
	s_cbranch_execz .LBB268_153
; %bb.148:                              ;   in Loop: Header=BB268_13 Depth=1
	v_and_b32_e32 v46, 0x7f, v3
	v_mov_b32_e32 v44, 0x7c01
	s_mov_b32 s50, exec_lo
	v_cmpx_ne_u32_e32 0x7f, v46
	s_cbranch_execz .LBB268_152
; %bb.149:                              ;   in Loop: Header=BB268_13 Depth=1
	v_and_b32_e32 v44, 7, v3
	v_lshrrev_b32_e32 v45, 3, v46
	s_mov_b32 s51, exec_lo
	v_cmpx_gt_u32_e32 8, v46
; %bb.150:                              ;   in Loop: Header=BB268_13 Depth=1
	v_ffbh_u32_e32 v44, v44
	v_min_u32_e32 v46, 32, v44
	v_subrev_nc_u32_e32 v44, 28, v46
	v_lshlrev_b64 v[44:45], v44, v[3:4]
	v_sub_nc_u32_e32 v45, 29, v46
	v_and_b32_e32 v44, 7, v44
; %bb.151:                              ;   in Loop: Header=BB268_13 Depth=1
	s_or_b32 exec_lo, exec_lo, s51
	v_lshlrev_b32_e32 v46, 8, v3
	v_lshl_add_u32 v45, v45, 10, 0x2000
	v_lshlrev_b32_e32 v44, 7, v44
	v_and_b32_e32 v46, 0x8000, v46
	v_and_b32_e32 v45, 0xfc00, v45
	v_or3_b32 v44, v46, v45, v44
.LBB268_152:                            ;   in Loop: Header=BB268_13 Depth=1
	s_or_b32 exec_lo, exec_lo, s50
.LBB268_153:                            ;   in Loop: Header=BB268_13 Depth=1
	s_or_b32 exec_lo, exec_lo, s49
.LBB268_154:                            ;   in Loop: Header=BB268_13 Depth=1
	s_or_b32 exec_lo, exec_lo, s48
	v_lshrrev_b16 v3, 8, v3
	s_mov_b32 s48, exec_lo
	v_cmpx_ne_u16_e32 0, v3
	s_cbranch_execz .LBB268_162
; %bb.155:                              ;   in Loop: Header=BB268_13 Depth=1
	v_bfrev_b32_e32 v43, 1
	s_mov_b32 s49, exec_lo
	v_cmpx_ne_u16_e32 0x80, v3
	s_cbranch_execz .LBB268_161
; %bb.156:                              ;   in Loop: Header=BB268_13 Depth=1
	v_and_b32_sdwa v46, v3, v19 dst_sel:DWORD dst_unused:UNUSED_PAD src0_sel:WORD_0 src1_sel:DWORD
	v_mov_b32_e32 v43, 0x7c010000
	s_mov_b32 s50, exec_lo
	v_cmpx_ne_u32_e32 0x7f, v46
	s_cbranch_execz .LBB268_160
; %bb.157:                              ;   in Loop: Header=BB268_13 Depth=1
	v_and_b32_sdwa v43, v3, v20 dst_sel:DWORD dst_unused:UNUSED_PAD src0_sel:WORD_0 src1_sel:DWORD
	v_lshrrev_b32_e32 v45, 3, v46
	s_mov_b32 s51, exec_lo
	v_cmpx_gt_u32_e32 8, v46
; %bb.158:                              ;   in Loop: Header=BB268_13 Depth=1
	v_ffbh_u32_e32 v43, v43
	v_min_u32_e32 v43, 32, v43
	v_subrev_nc_u32_e32 v45, 28, v43
	v_lshlrev_b64 v[46:47], v45, v[3:4]
	v_sub_nc_u32_e32 v45, 29, v43
	v_and_b32_e32 v43, 7, v46
; %bb.159:                              ;   in Loop: Header=BB268_13 Depth=1
	s_or_b32 exec_lo, exec_lo, s51
	v_lshlrev_b32_sdwa v3, v21, v3 dst_sel:DWORD dst_unused:UNUSED_PAD src0_sel:DWORD src1_sel:WORD_0
	v_lshl_add_u32 v45, v45, 10, 0x2000
	v_lshlrev_b32_e32 v43, 23, v43
	v_and_or_b32 v3, 0x8000, v3, v45
	v_lshl_or_b32 v43, v3, 16, v43
.LBB268_160:                            ;   in Loop: Header=BB268_13 Depth=1
	s_or_b32 exec_lo, exec_lo, s50
.LBB268_161:                            ;   in Loop: Header=BB268_13 Depth=1
	s_or_b32 exec_lo, exec_lo, s49
.LBB268_162:                            ;   in Loop: Header=BB268_13 Depth=1
	s_or_b32 exec_lo, exec_lo, s48
	global_load_ushort v46, v[9:10], off offset:520
	v_mov_b32_e32 v45, 0
	s_waitcnt vmcnt(0)
	v_and_b32_e32 v3, 0xffff, v46
	v_cmp_ne_u16_sdwa s2, v46, v4 src0_sel:BYTE_0 src1_sel:DWORD
	v_mov_b32_e32 v46, 0
	s_and_saveexec_b32 s48, s2
	s_cbranch_execz .LBB268_170
; %bb.163:                              ;   in Loop: Header=BB268_13 Depth=1
	v_cmp_ne_u16_sdwa s2, v3, v18 src0_sel:BYTE_0 src1_sel:DWORD
	v_mov_b32_e32 v46, 0x8000
	s_and_saveexec_b32 s49, s2
	s_cbranch_execz .LBB268_169
; %bb.164:                              ;   in Loop: Header=BB268_13 Depth=1
	v_and_b32_e32 v48, 0x7f, v3
	v_mov_b32_e32 v46, 0x7c01
	s_mov_b32 s50, exec_lo
	v_cmpx_ne_u32_e32 0x7f, v48
	s_cbranch_execz .LBB268_168
; %bb.165:                              ;   in Loop: Header=BB268_13 Depth=1
	v_and_b32_e32 v46, 7, v3
	v_lshrrev_b32_e32 v47, 3, v48
	s_mov_b32 s51, exec_lo
	v_cmpx_gt_u32_e32 8, v48
; %bb.166:                              ;   in Loop: Header=BB268_13 Depth=1
	v_ffbh_u32_e32 v46, v46
	v_min_u32_e32 v48, 32, v46
	v_subrev_nc_u32_e32 v46, 28, v48
	v_lshlrev_b64 v[46:47], v46, v[3:4]
	v_sub_nc_u32_e32 v47, 29, v48
	v_and_b32_e32 v46, 7, v46
; %bb.167:                              ;   in Loop: Header=BB268_13 Depth=1
	s_or_b32 exec_lo, exec_lo, s51
	v_lshlrev_b32_e32 v48, 8, v3
	v_lshl_add_u32 v47, v47, 10, 0x2000
	v_lshlrev_b32_e32 v46, 7, v46
	v_and_b32_e32 v48, 0x8000, v48
	v_and_b32_e32 v47, 0xfc00, v47
	v_or3_b32 v46, v48, v47, v46
.LBB268_168:                            ;   in Loop: Header=BB268_13 Depth=1
	s_or_b32 exec_lo, exec_lo, s50
.LBB268_169:                            ;   in Loop: Header=BB268_13 Depth=1
	s_or_b32 exec_lo, exec_lo, s49
.LBB268_170:                            ;   in Loop: Header=BB268_13 Depth=1
	s_or_b32 exec_lo, exec_lo, s48
	v_lshrrev_b16 v3, 8, v3
	s_mov_b32 s48, exec_lo
	v_cmpx_ne_u16_e32 0, v3
	s_cbranch_execz .LBB268_178
; %bb.171:                              ;   in Loop: Header=BB268_13 Depth=1
	v_bfrev_b32_e32 v45, 1
	s_mov_b32 s49, exec_lo
	v_cmpx_ne_u16_e32 0x80, v3
	s_cbranch_execz .LBB268_177
; %bb.172:                              ;   in Loop: Header=BB268_13 Depth=1
	v_and_b32_sdwa v48, v3, v19 dst_sel:DWORD dst_unused:UNUSED_PAD src0_sel:WORD_0 src1_sel:DWORD
	v_mov_b32_e32 v45, 0x7c010000
	s_mov_b32 s50, exec_lo
	v_cmpx_ne_u32_e32 0x7f, v48
	s_cbranch_execz .LBB268_176
; %bb.173:                              ;   in Loop: Header=BB268_13 Depth=1
	v_and_b32_sdwa v45, v3, v20 dst_sel:DWORD dst_unused:UNUSED_PAD src0_sel:WORD_0 src1_sel:DWORD
	v_lshrrev_b32_e32 v47, 3, v48
	s_mov_b32 s51, exec_lo
	v_cmpx_gt_u32_e32 8, v48
; %bb.174:                              ;   in Loop: Header=BB268_13 Depth=1
	v_ffbh_u32_e32 v45, v45
	v_min_u32_e32 v45, 32, v45
	v_subrev_nc_u32_e32 v47, 28, v45
	v_lshlrev_b64 v[48:49], v47, v[3:4]
	v_sub_nc_u32_e32 v47, 29, v45
	v_and_b32_e32 v45, 7, v48
; %bb.175:                              ;   in Loop: Header=BB268_13 Depth=1
	s_or_b32 exec_lo, exec_lo, s51
	v_lshlrev_b32_sdwa v3, v21, v3 dst_sel:DWORD dst_unused:UNUSED_PAD src0_sel:DWORD src1_sel:WORD_0
	v_lshl_add_u32 v47, v47, 10, 0x2000
	v_lshlrev_b32_e32 v45, 23, v45
	v_and_or_b32 v3, 0x8000, v3, v47
	v_lshl_or_b32 v45, v3, 16, v45
.LBB268_176:                            ;   in Loop: Header=BB268_13 Depth=1
	s_or_b32 exec_lo, exec_lo, s50
.LBB268_177:                            ;   in Loop: Header=BB268_13 Depth=1
	s_or_b32 exec_lo, exec_lo, s49
.LBB268_178:                            ;   in Loop: Header=BB268_13 Depth=1
	s_or_b32 exec_lo, exec_lo, s48
	global_load_ushort v48, v[9:10], off offset:640
	v_mov_b32_e32 v47, 0
	s_waitcnt vmcnt(0)
	v_and_b32_e32 v3, 0xffff, v48
	v_cmp_ne_u16_sdwa s2, v48, v4 src0_sel:BYTE_0 src1_sel:DWORD
	v_mov_b32_e32 v48, 0
	s_and_saveexec_b32 s48, s2
	s_cbranch_execz .LBB268_186
; %bb.179:                              ;   in Loop: Header=BB268_13 Depth=1
	v_cmp_ne_u16_sdwa s2, v3, v18 src0_sel:BYTE_0 src1_sel:DWORD
	v_mov_b32_e32 v48, 0x8000
	s_and_saveexec_b32 s49, s2
	s_cbranch_execz .LBB268_185
; %bb.180:                              ;   in Loop: Header=BB268_13 Depth=1
	v_and_b32_e32 v50, 0x7f, v3
	v_mov_b32_e32 v48, 0x7c01
	s_mov_b32 s50, exec_lo
	v_cmpx_ne_u32_e32 0x7f, v50
	s_cbranch_execz .LBB268_184
; %bb.181:                              ;   in Loop: Header=BB268_13 Depth=1
	v_and_b32_e32 v48, 7, v3
	v_lshrrev_b32_e32 v49, 3, v50
	s_mov_b32 s51, exec_lo
	v_cmpx_gt_u32_e32 8, v50
; %bb.182:                              ;   in Loop: Header=BB268_13 Depth=1
	v_ffbh_u32_e32 v48, v48
	v_min_u32_e32 v50, 32, v48
	v_subrev_nc_u32_e32 v48, 28, v50
	v_lshlrev_b64 v[48:49], v48, v[3:4]
	v_sub_nc_u32_e32 v49, 29, v50
	v_and_b32_e32 v48, 7, v48
; %bb.183:                              ;   in Loop: Header=BB268_13 Depth=1
	s_or_b32 exec_lo, exec_lo, s51
	v_lshlrev_b32_e32 v50, 8, v3
	v_lshl_add_u32 v49, v49, 10, 0x2000
	v_lshlrev_b32_e32 v48, 7, v48
	v_and_b32_e32 v50, 0x8000, v50
	v_and_b32_e32 v49, 0xfc00, v49
	v_or3_b32 v48, v50, v49, v48
.LBB268_184:                            ;   in Loop: Header=BB268_13 Depth=1
	s_or_b32 exec_lo, exec_lo, s50
.LBB268_185:                            ;   in Loop: Header=BB268_13 Depth=1
	s_or_b32 exec_lo, exec_lo, s49
.LBB268_186:                            ;   in Loop: Header=BB268_13 Depth=1
	s_or_b32 exec_lo, exec_lo, s48
	v_lshrrev_b16 v3, 8, v3
	s_mov_b32 s48, exec_lo
	v_cmpx_ne_u16_e32 0, v3
	s_cbranch_execz .LBB268_194
; %bb.187:                              ;   in Loop: Header=BB268_13 Depth=1
	v_bfrev_b32_e32 v47, 1
	s_mov_b32 s49, exec_lo
	v_cmpx_ne_u16_e32 0x80, v3
	s_cbranch_execz .LBB268_193
; %bb.188:                              ;   in Loop: Header=BB268_13 Depth=1
	v_and_b32_sdwa v50, v3, v19 dst_sel:DWORD dst_unused:UNUSED_PAD src0_sel:WORD_0 src1_sel:DWORD
	v_mov_b32_e32 v47, 0x7c010000
	s_mov_b32 s50, exec_lo
	v_cmpx_ne_u32_e32 0x7f, v50
	s_cbranch_execz .LBB268_192
; %bb.189:                              ;   in Loop: Header=BB268_13 Depth=1
	v_and_b32_sdwa v47, v3, v20 dst_sel:DWORD dst_unused:UNUSED_PAD src0_sel:WORD_0 src1_sel:DWORD
	v_lshrrev_b32_e32 v49, 3, v50
	s_mov_b32 s51, exec_lo
	v_cmpx_gt_u32_e32 8, v50
; %bb.190:                              ;   in Loop: Header=BB268_13 Depth=1
	v_ffbh_u32_e32 v47, v47
	v_min_u32_e32 v47, 32, v47
	v_subrev_nc_u32_e32 v49, 28, v47
	v_lshlrev_b64 v[50:51], v49, v[3:4]
	v_sub_nc_u32_e32 v49, 29, v47
	v_and_b32_e32 v47, 7, v50
; %bb.191:                              ;   in Loop: Header=BB268_13 Depth=1
	s_or_b32 exec_lo, exec_lo, s51
	v_lshlrev_b32_sdwa v3, v21, v3 dst_sel:DWORD dst_unused:UNUSED_PAD src0_sel:DWORD src1_sel:WORD_0
	v_lshl_add_u32 v49, v49, 10, 0x2000
	v_lshlrev_b32_e32 v47, 23, v47
	v_and_or_b32 v3, 0x8000, v3, v49
	v_lshl_or_b32 v47, v3, 16, v47
.LBB268_192:                            ;   in Loop: Header=BB268_13 Depth=1
	s_or_b32 exec_lo, exec_lo, s50
.LBB268_193:                            ;   in Loop: Header=BB268_13 Depth=1
	s_or_b32 exec_lo, exec_lo, s49
.LBB268_194:                            ;   in Loop: Header=BB268_13 Depth=1
	s_or_b32 exec_lo, exec_lo, s48
	global_load_ushort v50, v[9:10], off offset:648
	v_mov_b32_e32 v49, 0
	s_waitcnt vmcnt(0)
	v_and_b32_e32 v3, 0xffff, v50
	v_cmp_ne_u16_sdwa s2, v50, v4 src0_sel:BYTE_0 src1_sel:DWORD
	v_mov_b32_e32 v50, 0
	s_and_saveexec_b32 s48, s2
	s_cbranch_execz .LBB268_202
; %bb.195:                              ;   in Loop: Header=BB268_13 Depth=1
	v_cmp_ne_u16_sdwa s2, v3, v18 src0_sel:BYTE_0 src1_sel:DWORD
	v_mov_b32_e32 v50, 0x8000
	s_and_saveexec_b32 s49, s2
	s_cbranch_execz .LBB268_201
; %bb.196:                              ;   in Loop: Header=BB268_13 Depth=1
	v_and_b32_e32 v52, 0x7f, v3
	v_mov_b32_e32 v50, 0x7c01
	s_mov_b32 s50, exec_lo
	v_cmpx_ne_u32_e32 0x7f, v52
	s_cbranch_execz .LBB268_200
; %bb.197:                              ;   in Loop: Header=BB268_13 Depth=1
	v_and_b32_e32 v50, 7, v3
	v_lshrrev_b32_e32 v51, 3, v52
	s_mov_b32 s51, exec_lo
	v_cmpx_gt_u32_e32 8, v52
; %bb.198:                              ;   in Loop: Header=BB268_13 Depth=1
	v_ffbh_u32_e32 v50, v50
	v_min_u32_e32 v52, 32, v50
	v_subrev_nc_u32_e32 v50, 28, v52
	v_lshlrev_b64 v[50:51], v50, v[3:4]
	v_sub_nc_u32_e32 v51, 29, v52
	v_and_b32_e32 v50, 7, v50
; %bb.199:                              ;   in Loop: Header=BB268_13 Depth=1
	s_or_b32 exec_lo, exec_lo, s51
	v_lshlrev_b32_e32 v52, 8, v3
	v_lshl_add_u32 v51, v51, 10, 0x2000
	v_lshlrev_b32_e32 v50, 7, v50
	v_and_b32_e32 v52, 0x8000, v52
	v_and_b32_e32 v51, 0xfc00, v51
	v_or3_b32 v50, v52, v51, v50
.LBB268_200:                            ;   in Loop: Header=BB268_13 Depth=1
	s_or_b32 exec_lo, exec_lo, s50
.LBB268_201:                            ;   in Loop: Header=BB268_13 Depth=1
	s_or_b32 exec_lo, exec_lo, s49
.LBB268_202:                            ;   in Loop: Header=BB268_13 Depth=1
	s_or_b32 exec_lo, exec_lo, s48
	v_lshrrev_b16 v3, 8, v3
	s_mov_b32 s48, exec_lo
	v_cmpx_ne_u16_e32 0, v3
	s_cbranch_execz .LBB268_210
; %bb.203:                              ;   in Loop: Header=BB268_13 Depth=1
	v_bfrev_b32_e32 v49, 1
	s_mov_b32 s49, exec_lo
	v_cmpx_ne_u16_e32 0x80, v3
	s_cbranch_execz .LBB268_209
; %bb.204:                              ;   in Loop: Header=BB268_13 Depth=1
	v_and_b32_sdwa v52, v3, v19 dst_sel:DWORD dst_unused:UNUSED_PAD src0_sel:WORD_0 src1_sel:DWORD
	v_mov_b32_e32 v49, 0x7c010000
	s_mov_b32 s50, exec_lo
	v_cmpx_ne_u32_e32 0x7f, v52
	s_cbranch_execz .LBB268_208
; %bb.205:                              ;   in Loop: Header=BB268_13 Depth=1
	v_and_b32_sdwa v49, v3, v20 dst_sel:DWORD dst_unused:UNUSED_PAD src0_sel:WORD_0 src1_sel:DWORD
	v_lshrrev_b32_e32 v51, 3, v52
	s_mov_b32 s51, exec_lo
	v_cmpx_gt_u32_e32 8, v52
; %bb.206:                              ;   in Loop: Header=BB268_13 Depth=1
	v_ffbh_u32_e32 v49, v49
	v_min_u32_e32 v49, 32, v49
	v_subrev_nc_u32_e32 v51, 28, v49
	v_lshlrev_b64 v[52:53], v51, v[3:4]
	v_sub_nc_u32_e32 v51, 29, v49
	v_and_b32_e32 v49, 7, v52
; %bb.207:                              ;   in Loop: Header=BB268_13 Depth=1
	s_or_b32 exec_lo, exec_lo, s51
	v_lshlrev_b32_sdwa v3, v21, v3 dst_sel:DWORD dst_unused:UNUSED_PAD src0_sel:DWORD src1_sel:WORD_0
	v_lshl_add_u32 v51, v51, 10, 0x2000
	v_lshlrev_b32_e32 v49, 23, v49
	v_and_or_b32 v3, 0x8000, v3, v51
	v_lshl_or_b32 v49, v3, 16, v49
.LBB268_208:                            ;   in Loop: Header=BB268_13 Depth=1
	s_or_b32 exec_lo, exec_lo, s50
.LBB268_209:                            ;   in Loop: Header=BB268_13 Depth=1
	s_or_b32 exec_lo, exec_lo, s49
.LBB268_210:                            ;   in Loop: Header=BB268_13 Depth=1
	s_or_b32 exec_lo, exec_lo, s48
	global_load_ushort v51, v[9:10], off offset:768
	v_mov_b32_e32 v53, 0
	v_mov_b32_e32 v54, 0
	s_waitcnt vmcnt(0)
	v_and_b32_e32 v3, 0xffff, v51
	v_cmp_ne_u16_sdwa s2, v51, v4 src0_sel:BYTE_0 src1_sel:DWORD
	s_and_saveexec_b32 s48, s2
	s_cbranch_execz .LBB268_218
; %bb.211:                              ;   in Loop: Header=BB268_13 Depth=1
	v_cmp_ne_u16_sdwa s2, v3, v18 src0_sel:BYTE_0 src1_sel:DWORD
	v_mov_b32_e32 v54, 0x8000
	s_and_saveexec_b32 s49, s2
	s_cbranch_execz .LBB268_217
; %bb.212:                              ;   in Loop: Header=BB268_13 Depth=1
	v_and_b32_e32 v55, 0x7f, v3
	v_mov_b32_e32 v54, 0x7c01
	s_mov_b32 s50, exec_lo
	v_cmpx_ne_u32_e32 0x7f, v55
	s_cbranch_execz .LBB268_216
; %bb.213:                              ;   in Loop: Header=BB268_13 Depth=1
	v_and_b32_e32 v51, 7, v3
	v_lshrrev_b32_e32 v52, 3, v55
	s_mov_b32 s51, exec_lo
	v_cmpx_gt_u32_e32 8, v55
; %bb.214:                              ;   in Loop: Header=BB268_13 Depth=1
	v_ffbh_u32_e32 v51, v51
	v_min_u32_e32 v54, 32, v51
	v_subrev_nc_u32_e32 v51, 28, v54
	v_lshlrev_b64 v[51:52], v51, v[3:4]
	v_sub_nc_u32_e32 v52, 29, v54
	v_and_b32_e32 v51, 7, v51
; %bb.215:                              ;   in Loop: Header=BB268_13 Depth=1
	s_or_b32 exec_lo, exec_lo, s51
	v_lshlrev_b32_e32 v54, 8, v3
	v_lshl_add_u32 v52, v52, 10, 0x2000
	v_lshlrev_b32_e32 v51, 7, v51
	v_and_b32_e32 v54, 0x8000, v54
	v_and_b32_e32 v52, 0xfc00, v52
	v_or3_b32 v54, v54, v52, v51
.LBB268_216:                            ;   in Loop: Header=BB268_13 Depth=1
	s_or_b32 exec_lo, exec_lo, s50
.LBB268_217:                            ;   in Loop: Header=BB268_13 Depth=1
	s_or_b32 exec_lo, exec_lo, s49
.LBB268_218:                            ;   in Loop: Header=BB268_13 Depth=1
	s_or_b32 exec_lo, exec_lo, s48
	v_lshrrev_b16 v3, 8, v3
	s_mov_b32 s48, exec_lo
	v_cmpx_ne_u16_e32 0, v3
	s_cbranch_execz .LBB268_226
; %bb.219:                              ;   in Loop: Header=BB268_13 Depth=1
	v_bfrev_b32_e32 v53, 1
	s_mov_b32 s49, exec_lo
	v_cmpx_ne_u16_e32 0x80, v3
	s_cbranch_execz .LBB268_225
; %bb.220:                              ;   in Loop: Header=BB268_13 Depth=1
	v_and_b32_sdwa v55, v3, v19 dst_sel:DWORD dst_unused:UNUSED_PAD src0_sel:WORD_0 src1_sel:DWORD
	v_mov_b32_e32 v53, 0x7c010000
	s_mov_b32 s50, exec_lo
	v_cmpx_ne_u32_e32 0x7f, v55
	s_cbranch_execz .LBB268_224
; %bb.221:                              ;   in Loop: Header=BB268_13 Depth=1
	v_and_b32_sdwa v51, v3, v20 dst_sel:DWORD dst_unused:UNUSED_PAD src0_sel:WORD_0 src1_sel:DWORD
	v_lshrrev_b32_e32 v52, 3, v55
	s_mov_b32 s51, exec_lo
	v_cmpx_gt_u32_e32 8, v55
; %bb.222:                              ;   in Loop: Header=BB268_13 Depth=1
	v_ffbh_u32_e32 v51, v51
	v_min_u32_e32 v53, 32, v51
	v_subrev_nc_u32_e32 v51, 28, v53
	v_lshlrev_b64 v[51:52], v51, v[3:4]
	v_sub_nc_u32_e32 v52, 29, v53
	v_and_b32_e32 v51, 7, v51
; %bb.223:                              ;   in Loop: Header=BB268_13 Depth=1
	s_or_b32 exec_lo, exec_lo, s51
	v_lshlrev_b32_sdwa v3, v21, v3 dst_sel:DWORD dst_unused:UNUSED_PAD src0_sel:DWORD src1_sel:WORD_0
	v_lshl_add_u32 v52, v52, 10, 0x2000
	v_lshlrev_b32_e32 v51, 23, v51
	v_and_or_b32 v3, 0x8000, v3, v52
	v_lshl_or_b32 v53, v3, 16, v51
.LBB268_224:                            ;   in Loop: Header=BB268_13 Depth=1
	s_or_b32 exec_lo, exec_lo, s50
.LBB268_225:                            ;   in Loop: Header=BB268_13 Depth=1
	s_or_b32 exec_lo, exec_lo, s49
.LBB268_226:                            ;   in Loop: Header=BB268_13 Depth=1
	s_or_b32 exec_lo, exec_lo, s48
	global_load_ushort v52, v[9:10], off offset:776
	v_mov_b32_e32 v51, 0
	s_waitcnt vmcnt(0)
	v_and_b32_e32 v3, 0xffff, v52
	v_cmp_ne_u16_sdwa s2, v52, v4 src0_sel:BYTE_0 src1_sel:DWORD
	v_mov_b32_e32 v52, 0
	s_and_saveexec_b32 s48, s2
	s_cbranch_execz .LBB268_234
; %bb.227:                              ;   in Loop: Header=BB268_13 Depth=1
	v_cmp_ne_u16_sdwa s2, v3, v18 src0_sel:BYTE_0 src1_sel:DWORD
	v_mov_b32_e32 v52, 0x8000
	s_and_saveexec_b32 s49, s2
	s_cbranch_execz .LBB268_233
; %bb.228:                              ;   in Loop: Header=BB268_13 Depth=1
	v_and_b32_e32 v56, 0x7f, v3
	v_mov_b32_e32 v52, 0x7c01
	s_mov_b32 s50, exec_lo
	v_cmpx_ne_u32_e32 0x7f, v56
	s_cbranch_execz .LBB268_232
; %bb.229:                              ;   in Loop: Header=BB268_13 Depth=1
	v_and_b32_e32 v52, 7, v3
	v_lshrrev_b32_e32 v55, 3, v56
	s_mov_b32 s51, exec_lo
	v_cmpx_gt_u32_e32 8, v56
; %bb.230:                              ;   in Loop: Header=BB268_13 Depth=1
	v_ffbh_u32_e32 v52, v52
	v_min_u32_e32 v52, 32, v52
	v_subrev_nc_u32_e32 v55, 28, v52
	v_lshlrev_b64 v[56:57], v55, v[3:4]
	v_sub_nc_u32_e32 v55, 29, v52
	v_and_b32_e32 v52, 7, v56
; %bb.231:                              ;   in Loop: Header=BB268_13 Depth=1
	s_or_b32 exec_lo, exec_lo, s51
	v_lshlrev_b32_e32 v56, 8, v3
	v_lshl_add_u32 v55, v55, 10, 0x2000
	v_lshlrev_b32_e32 v52, 7, v52
	v_and_b32_e32 v56, 0x8000, v56
	v_and_b32_e32 v55, 0xfc00, v55
	v_or3_b32 v52, v56, v55, v52
.LBB268_232:                            ;   in Loop: Header=BB268_13 Depth=1
	s_or_b32 exec_lo, exec_lo, s50
.LBB268_233:                            ;   in Loop: Header=BB268_13 Depth=1
	s_or_b32 exec_lo, exec_lo, s49
.LBB268_234:                            ;   in Loop: Header=BB268_13 Depth=1
	s_or_b32 exec_lo, exec_lo, s48
	v_lshrrev_b16 v3, 8, v3
	s_mov_b32 s48, exec_lo
	v_cmpx_ne_u16_e32 0, v3
	s_cbranch_execz .LBB268_242
; %bb.235:                              ;   in Loop: Header=BB268_13 Depth=1
	v_bfrev_b32_e32 v51, 1
	s_mov_b32 s49, exec_lo
	v_cmpx_ne_u16_e32 0x80, v3
	s_cbranch_execz .LBB268_241
; %bb.236:                              ;   in Loop: Header=BB268_13 Depth=1
	v_and_b32_sdwa v56, v3, v19 dst_sel:DWORD dst_unused:UNUSED_PAD src0_sel:WORD_0 src1_sel:DWORD
	v_mov_b32_e32 v51, 0x7c010000
	s_mov_b32 s50, exec_lo
	v_cmpx_ne_u32_e32 0x7f, v56
	s_cbranch_execz .LBB268_240
; %bb.237:                              ;   in Loop: Header=BB268_13 Depth=1
	v_and_b32_sdwa v51, v3, v20 dst_sel:DWORD dst_unused:UNUSED_PAD src0_sel:WORD_0 src1_sel:DWORD
	v_lshrrev_b32_e32 v55, 3, v56
	s_mov_b32 s51, exec_lo
	v_cmpx_gt_u32_e32 8, v56
; %bb.238:                              ;   in Loop: Header=BB268_13 Depth=1
	v_ffbh_u32_e32 v51, v51
	v_min_u32_e32 v51, 32, v51
	v_subrev_nc_u32_e32 v55, 28, v51
	v_lshlrev_b64 v[56:57], v55, v[3:4]
	v_sub_nc_u32_e32 v55, 29, v51
	v_and_b32_e32 v51, 7, v56
; %bb.239:                              ;   in Loop: Header=BB268_13 Depth=1
	s_or_b32 exec_lo, exec_lo, s51
	v_lshlrev_b32_sdwa v3, v21, v3 dst_sel:DWORD dst_unused:UNUSED_PAD src0_sel:DWORD src1_sel:WORD_0
	v_lshl_add_u32 v55, v55, 10, 0x2000
	v_lshlrev_b32_e32 v51, 23, v51
	v_and_or_b32 v3, 0x8000, v3, v55
	v_lshl_or_b32 v51, v3, 16, v51
.LBB268_240:                            ;   in Loop: Header=BB268_13 Depth=1
	s_or_b32 exec_lo, exec_lo, s50
.LBB268_241:                            ;   in Loop: Header=BB268_13 Depth=1
	s_or_b32 exec_lo, exec_lo, s49
.LBB268_242:                            ;   in Loop: Header=BB268_13 Depth=1
	s_or_b32 exec_lo, exec_lo, s48
	global_load_ushort v56, v[9:10], off offset:896
	v_mov_b32_e32 v55, 0
	s_waitcnt vmcnt(0)
	v_and_b32_e32 v3, 0xffff, v56
	v_cmp_ne_u16_sdwa s2, v56, v4 src0_sel:BYTE_0 src1_sel:DWORD
	v_mov_b32_e32 v56, 0
	s_and_saveexec_b32 s48, s2
	s_cbranch_execz .LBB268_250
; %bb.243:                              ;   in Loop: Header=BB268_13 Depth=1
	v_cmp_ne_u16_sdwa s2, v3, v18 src0_sel:BYTE_0 src1_sel:DWORD
	v_mov_b32_e32 v56, 0x8000
	s_and_saveexec_b32 s49, s2
	s_cbranch_execz .LBB268_249
; %bb.244:                              ;   in Loop: Header=BB268_13 Depth=1
	v_and_b32_e32 v58, 0x7f, v3
	v_mov_b32_e32 v56, 0x7c01
	s_mov_b32 s50, exec_lo
	v_cmpx_ne_u32_e32 0x7f, v58
	s_cbranch_execz .LBB268_248
; %bb.245:                              ;   in Loop: Header=BB268_13 Depth=1
	v_and_b32_e32 v56, 7, v3
	v_lshrrev_b32_e32 v57, 3, v58
	s_mov_b32 s51, exec_lo
	v_cmpx_gt_u32_e32 8, v58
; %bb.246:                              ;   in Loop: Header=BB268_13 Depth=1
	v_ffbh_u32_e32 v56, v56
	v_min_u32_e32 v58, 32, v56
	v_subrev_nc_u32_e32 v56, 28, v58
	v_lshlrev_b64 v[56:57], v56, v[3:4]
	v_sub_nc_u32_e32 v57, 29, v58
	v_and_b32_e32 v56, 7, v56
; %bb.247:                              ;   in Loop: Header=BB268_13 Depth=1
	s_or_b32 exec_lo, exec_lo, s51
	v_lshlrev_b32_e32 v58, 8, v3
	v_lshl_add_u32 v57, v57, 10, 0x2000
	v_lshlrev_b32_e32 v56, 7, v56
	v_and_b32_e32 v58, 0x8000, v58
	v_and_b32_e32 v57, 0xfc00, v57
	v_or3_b32 v56, v58, v57, v56
.LBB268_248:                            ;   in Loop: Header=BB268_13 Depth=1
	s_or_b32 exec_lo, exec_lo, s50
.LBB268_249:                            ;   in Loop: Header=BB268_13 Depth=1
	s_or_b32 exec_lo, exec_lo, s49
.LBB268_250:                            ;   in Loop: Header=BB268_13 Depth=1
	s_or_b32 exec_lo, exec_lo, s48
	v_lshrrev_b16 v3, 8, v3
	s_mov_b32 s48, exec_lo
	v_cmpx_ne_u16_e32 0, v3
	s_cbranch_execz .LBB268_258
; %bb.251:                              ;   in Loop: Header=BB268_13 Depth=1
	v_bfrev_b32_e32 v55, 1
	s_mov_b32 s49, exec_lo
	v_cmpx_ne_u16_e32 0x80, v3
	s_cbranch_execz .LBB268_257
; %bb.252:                              ;   in Loop: Header=BB268_13 Depth=1
	v_and_b32_sdwa v58, v3, v19 dst_sel:DWORD dst_unused:UNUSED_PAD src0_sel:WORD_0 src1_sel:DWORD
	v_mov_b32_e32 v55, 0x7c010000
	s_mov_b32 s50, exec_lo
	v_cmpx_ne_u32_e32 0x7f, v58
	s_cbranch_execz .LBB268_256
; %bb.253:                              ;   in Loop: Header=BB268_13 Depth=1
	v_and_b32_sdwa v55, v3, v20 dst_sel:DWORD dst_unused:UNUSED_PAD src0_sel:WORD_0 src1_sel:DWORD
	v_lshrrev_b32_e32 v57, 3, v58
	s_mov_b32 s51, exec_lo
	v_cmpx_gt_u32_e32 8, v58
; %bb.254:                              ;   in Loop: Header=BB268_13 Depth=1
	v_ffbh_u32_e32 v55, v55
	v_min_u32_e32 v55, 32, v55
	v_subrev_nc_u32_e32 v57, 28, v55
	v_lshlrev_b64 v[58:59], v57, v[3:4]
	v_sub_nc_u32_e32 v57, 29, v55
	v_and_b32_e32 v55, 7, v58
; %bb.255:                              ;   in Loop: Header=BB268_13 Depth=1
	s_or_b32 exec_lo, exec_lo, s51
	v_lshlrev_b32_sdwa v3, v21, v3 dst_sel:DWORD dst_unused:UNUSED_PAD src0_sel:DWORD src1_sel:WORD_0
	v_lshl_add_u32 v57, v57, 10, 0x2000
	v_lshlrev_b32_e32 v55, 23, v55
	v_and_or_b32 v3, 0x8000, v3, v57
	v_lshl_or_b32 v55, v3, 16, v55
.LBB268_256:                            ;   in Loop: Header=BB268_13 Depth=1
	s_or_b32 exec_lo, exec_lo, s50
.LBB268_257:                            ;   in Loop: Header=BB268_13 Depth=1
	s_or_b32 exec_lo, exec_lo, s49
.LBB268_258:                            ;   in Loop: Header=BB268_13 Depth=1
	s_or_b32 exec_lo, exec_lo, s48
	global_load_ushort v58, v[9:10], off offset:904
	v_mov_b32_e32 v57, 0
	s_waitcnt vmcnt(0)
	v_and_b32_e32 v3, 0xffff, v58
	v_cmp_ne_u16_sdwa s2, v58, v4 src0_sel:BYTE_0 src1_sel:DWORD
	v_mov_b32_e32 v58, 0
	s_and_saveexec_b32 s48, s2
	s_cbranch_execz .LBB268_266
; %bb.259:                              ;   in Loop: Header=BB268_13 Depth=1
	v_cmp_ne_u16_sdwa s2, v3, v18 src0_sel:BYTE_0 src1_sel:DWORD
	v_mov_b32_e32 v58, 0x8000
	s_and_saveexec_b32 s49, s2
	s_cbranch_execz .LBB268_265
; %bb.260:                              ;   in Loop: Header=BB268_13 Depth=1
	v_and_b32_e32 v60, 0x7f, v3
	v_mov_b32_e32 v58, 0x7c01
	s_mov_b32 s50, exec_lo
	v_cmpx_ne_u32_e32 0x7f, v60
	s_cbranch_execz .LBB268_264
; %bb.261:                              ;   in Loop: Header=BB268_13 Depth=1
	v_and_b32_e32 v58, 7, v3
	v_lshrrev_b32_e32 v59, 3, v60
	s_mov_b32 s51, exec_lo
	v_cmpx_gt_u32_e32 8, v60
; %bb.262:                              ;   in Loop: Header=BB268_13 Depth=1
	v_ffbh_u32_e32 v58, v58
	v_min_u32_e32 v60, 32, v58
	v_subrev_nc_u32_e32 v58, 28, v60
	v_lshlrev_b64 v[58:59], v58, v[3:4]
	v_sub_nc_u32_e32 v59, 29, v60
	v_and_b32_e32 v58, 7, v58
; %bb.263:                              ;   in Loop: Header=BB268_13 Depth=1
	s_or_b32 exec_lo, exec_lo, s51
	v_lshlrev_b32_e32 v60, 8, v3
	v_lshl_add_u32 v59, v59, 10, 0x2000
	v_lshlrev_b32_e32 v58, 7, v58
	v_and_b32_e32 v60, 0x8000, v60
	v_and_b32_e32 v59, 0xfc00, v59
	v_or3_b32 v58, v60, v59, v58
.LBB268_264:                            ;   in Loop: Header=BB268_13 Depth=1
	s_or_b32 exec_lo, exec_lo, s50
.LBB268_265:                            ;   in Loop: Header=BB268_13 Depth=1
	s_or_b32 exec_lo, exec_lo, s49
.LBB268_266:                            ;   in Loop: Header=BB268_13 Depth=1
	s_or_b32 exec_lo, exec_lo, s48
	v_lshrrev_b16 v3, 8, v3
	s_mov_b32 s48, exec_lo
	v_cmpx_ne_u16_e32 0, v3
	s_cbranch_execz .LBB268_274
; %bb.267:                              ;   in Loop: Header=BB268_13 Depth=1
	v_bfrev_b32_e32 v57, 1
	s_mov_b32 s49, exec_lo
	v_cmpx_ne_u16_e32 0x80, v3
	s_cbranch_execz .LBB268_273
; %bb.268:                              ;   in Loop: Header=BB268_13 Depth=1
	v_and_b32_sdwa v60, v3, v19 dst_sel:DWORD dst_unused:UNUSED_PAD src0_sel:WORD_0 src1_sel:DWORD
	v_mov_b32_e32 v57, 0x7c010000
	s_mov_b32 s50, exec_lo
	v_cmpx_ne_u32_e32 0x7f, v60
	s_cbranch_execz .LBB268_272
; %bb.269:                              ;   in Loop: Header=BB268_13 Depth=1
	v_and_b32_sdwa v57, v3, v20 dst_sel:DWORD dst_unused:UNUSED_PAD src0_sel:WORD_0 src1_sel:DWORD
	v_lshrrev_b32_e32 v59, 3, v60
	s_mov_b32 s51, exec_lo
	v_cmpx_gt_u32_e32 8, v60
; %bb.270:                              ;   in Loop: Header=BB268_13 Depth=1
	v_ffbh_u32_e32 v57, v57
	v_min_u32_e32 v57, 32, v57
	v_subrev_nc_u32_e32 v59, 28, v57
	v_lshlrev_b64 v[60:61], v59, v[3:4]
	v_sub_nc_u32_e32 v59, 29, v57
	v_and_b32_e32 v57, 7, v60
; %bb.271:                              ;   in Loop: Header=BB268_13 Depth=1
	s_or_b32 exec_lo, exec_lo, s51
	v_lshlrev_b32_sdwa v3, v21, v3 dst_sel:DWORD dst_unused:UNUSED_PAD src0_sel:DWORD src1_sel:WORD_0
	v_lshl_add_u32 v59, v59, 10, 0x2000
	v_lshlrev_b32_e32 v57, 23, v57
	v_and_or_b32 v3, 0x8000, v3, v59
	v_lshl_or_b32 v57, v3, 16, v57
.LBB268_272:                            ;   in Loop: Header=BB268_13 Depth=1
	s_or_b32 exec_lo, exec_lo, s50
.LBB268_273:                            ;   in Loop: Header=BB268_13 Depth=1
	s_or_b32 exec_lo, exec_lo, s49
.LBB268_274:                            ;   in Loop: Header=BB268_13 Depth=1
	s_or_b32 exec_lo, exec_lo, s48
	global_load_ushort v60, v[9:10], off offset:1024
	v_mov_b32_e32 v59, 0
	s_waitcnt vmcnt(0)
	v_and_b32_e32 v3, 0xffff, v60
	v_cmp_ne_u16_sdwa s2, v60, v4 src0_sel:BYTE_0 src1_sel:DWORD
	v_mov_b32_e32 v60, 0
	s_and_saveexec_b32 s48, s2
	s_cbranch_execz .LBB268_282
; %bb.275:                              ;   in Loop: Header=BB268_13 Depth=1
	v_cmp_ne_u16_sdwa s2, v3, v18 src0_sel:BYTE_0 src1_sel:DWORD
	v_mov_b32_e32 v60, 0x8000
	s_and_saveexec_b32 s49, s2
	s_cbranch_execz .LBB268_281
; %bb.276:                              ;   in Loop: Header=BB268_13 Depth=1
	v_and_b32_e32 v62, 0x7f, v3
	v_mov_b32_e32 v60, 0x7c01
	s_mov_b32 s50, exec_lo
	v_cmpx_ne_u32_e32 0x7f, v62
	s_cbranch_execz .LBB268_280
; %bb.277:                              ;   in Loop: Header=BB268_13 Depth=1
	v_and_b32_e32 v60, 7, v3
	v_lshrrev_b32_e32 v61, 3, v62
	s_mov_b32 s51, exec_lo
	v_cmpx_gt_u32_e32 8, v62
; %bb.278:                              ;   in Loop: Header=BB268_13 Depth=1
	v_ffbh_u32_e32 v60, v60
	v_min_u32_e32 v62, 32, v60
	v_subrev_nc_u32_e32 v60, 28, v62
	v_lshlrev_b64 v[60:61], v60, v[3:4]
	v_sub_nc_u32_e32 v61, 29, v62
	v_and_b32_e32 v60, 7, v60
; %bb.279:                              ;   in Loop: Header=BB268_13 Depth=1
	s_or_b32 exec_lo, exec_lo, s51
	v_lshlrev_b32_e32 v62, 8, v3
	v_lshl_add_u32 v61, v61, 10, 0x2000
	v_lshlrev_b32_e32 v60, 7, v60
	v_and_b32_e32 v62, 0x8000, v62
	v_and_b32_e32 v61, 0xfc00, v61
	v_or3_b32 v60, v62, v61, v60
.LBB268_280:                            ;   in Loop: Header=BB268_13 Depth=1
	s_or_b32 exec_lo, exec_lo, s50
.LBB268_281:                            ;   in Loop: Header=BB268_13 Depth=1
	s_or_b32 exec_lo, exec_lo, s49
.LBB268_282:                            ;   in Loop: Header=BB268_13 Depth=1
	s_or_b32 exec_lo, exec_lo, s48
	v_lshrrev_b16 v3, 8, v3
	s_mov_b32 s48, exec_lo
	v_cmpx_ne_u16_e32 0, v3
	s_cbranch_execz .LBB268_290
; %bb.283:                              ;   in Loop: Header=BB268_13 Depth=1
	v_bfrev_b32_e32 v59, 1
	s_mov_b32 s49, exec_lo
	v_cmpx_ne_u16_e32 0x80, v3
	s_cbranch_execz .LBB268_289
; %bb.284:                              ;   in Loop: Header=BB268_13 Depth=1
	v_and_b32_sdwa v62, v3, v19 dst_sel:DWORD dst_unused:UNUSED_PAD src0_sel:WORD_0 src1_sel:DWORD
	v_mov_b32_e32 v59, 0x7c010000
	s_mov_b32 s50, exec_lo
	v_cmpx_ne_u32_e32 0x7f, v62
	s_cbranch_execz .LBB268_288
; %bb.285:                              ;   in Loop: Header=BB268_13 Depth=1
	v_and_b32_sdwa v59, v3, v20 dst_sel:DWORD dst_unused:UNUSED_PAD src0_sel:WORD_0 src1_sel:DWORD
	v_lshrrev_b32_e32 v61, 3, v62
	s_mov_b32 s51, exec_lo
	v_cmpx_gt_u32_e32 8, v62
; %bb.286:                              ;   in Loop: Header=BB268_13 Depth=1
	v_ffbh_u32_e32 v59, v59
	v_min_u32_e32 v59, 32, v59
	v_subrev_nc_u32_e32 v61, 28, v59
	v_lshlrev_b64 v[62:63], v61, v[3:4]
	v_sub_nc_u32_e32 v61, 29, v59
	v_and_b32_e32 v59, 7, v62
; %bb.287:                              ;   in Loop: Header=BB268_13 Depth=1
	s_or_b32 exec_lo, exec_lo, s51
	v_lshlrev_b32_sdwa v3, v21, v3 dst_sel:DWORD dst_unused:UNUSED_PAD src0_sel:DWORD src1_sel:WORD_0
	v_lshl_add_u32 v61, v61, 10, 0x2000
	v_lshlrev_b32_e32 v59, 23, v59
	v_and_or_b32 v3, 0x8000, v3, v61
	v_lshl_or_b32 v59, v3, 16, v59
.LBB268_288:                            ;   in Loop: Header=BB268_13 Depth=1
	s_or_b32 exec_lo, exec_lo, s50
.LBB268_289:                            ;   in Loop: Header=BB268_13 Depth=1
	s_or_b32 exec_lo, exec_lo, s49
.LBB268_290:                            ;   in Loop: Header=BB268_13 Depth=1
	s_or_b32 exec_lo, exec_lo, s48
	global_load_ushort v62, v[9:10], off offset:1032
	v_mov_b32_e32 v61, 0
	s_waitcnt vmcnt(0)
	v_and_b32_e32 v3, 0xffff, v62
	v_cmp_ne_u16_sdwa s2, v62, v4 src0_sel:BYTE_0 src1_sel:DWORD
	v_mov_b32_e32 v62, 0
	s_and_saveexec_b32 s48, s2
	s_cbranch_execz .LBB268_298
; %bb.291:                              ;   in Loop: Header=BB268_13 Depth=1
	v_cmp_ne_u16_sdwa s2, v3, v18 src0_sel:BYTE_0 src1_sel:DWORD
	v_mov_b32_e32 v62, 0x8000
	s_and_saveexec_b32 s49, s2
	s_cbranch_execz .LBB268_297
; %bb.292:                              ;   in Loop: Header=BB268_13 Depth=1
	v_and_b32_e32 v64, 0x7f, v3
	v_mov_b32_e32 v62, 0x7c01
	s_mov_b32 s50, exec_lo
	v_cmpx_ne_u32_e32 0x7f, v64
	s_cbranch_execz .LBB268_296
; %bb.293:                              ;   in Loop: Header=BB268_13 Depth=1
	v_and_b32_e32 v62, 7, v3
	v_lshrrev_b32_e32 v63, 3, v64
	s_mov_b32 s51, exec_lo
	v_cmpx_gt_u32_e32 8, v64
; %bb.294:                              ;   in Loop: Header=BB268_13 Depth=1
	v_ffbh_u32_e32 v62, v62
	v_min_u32_e32 v64, 32, v62
	v_subrev_nc_u32_e32 v62, 28, v64
	v_lshlrev_b64 v[62:63], v62, v[3:4]
	v_sub_nc_u32_e32 v63, 29, v64
	v_and_b32_e32 v62, 7, v62
; %bb.295:                              ;   in Loop: Header=BB268_13 Depth=1
	s_or_b32 exec_lo, exec_lo, s51
	v_lshlrev_b32_e32 v64, 8, v3
	v_lshl_add_u32 v63, v63, 10, 0x2000
	v_lshlrev_b32_e32 v62, 7, v62
	v_and_b32_e32 v64, 0x8000, v64
	v_and_b32_e32 v63, 0xfc00, v63
	v_or3_b32 v62, v64, v63, v62
.LBB268_296:                            ;   in Loop: Header=BB268_13 Depth=1
	s_or_b32 exec_lo, exec_lo, s50
.LBB268_297:                            ;   in Loop: Header=BB268_13 Depth=1
	s_or_b32 exec_lo, exec_lo, s49
.LBB268_298:                            ;   in Loop: Header=BB268_13 Depth=1
	s_or_b32 exec_lo, exec_lo, s48
	v_lshrrev_b16 v3, 8, v3
	s_mov_b32 s48, exec_lo
	v_cmpx_ne_u16_e32 0, v3
	s_cbranch_execz .LBB268_306
; %bb.299:                              ;   in Loop: Header=BB268_13 Depth=1
	v_bfrev_b32_e32 v61, 1
	s_mov_b32 s49, exec_lo
	v_cmpx_ne_u16_e32 0x80, v3
	s_cbranch_execz .LBB268_305
; %bb.300:                              ;   in Loop: Header=BB268_13 Depth=1
	v_and_b32_sdwa v64, v3, v19 dst_sel:DWORD dst_unused:UNUSED_PAD src0_sel:WORD_0 src1_sel:DWORD
	v_mov_b32_e32 v61, 0x7c010000
	s_mov_b32 s50, exec_lo
	v_cmpx_ne_u32_e32 0x7f, v64
	s_cbranch_execz .LBB268_304
; %bb.301:                              ;   in Loop: Header=BB268_13 Depth=1
	v_and_b32_sdwa v61, v3, v20 dst_sel:DWORD dst_unused:UNUSED_PAD src0_sel:WORD_0 src1_sel:DWORD
	v_lshrrev_b32_e32 v63, 3, v64
	s_mov_b32 s51, exec_lo
	v_cmpx_gt_u32_e32 8, v64
; %bb.302:                              ;   in Loop: Header=BB268_13 Depth=1
	v_ffbh_u32_e32 v61, v61
	v_min_u32_e32 v61, 32, v61
	v_subrev_nc_u32_e32 v63, 28, v61
	v_lshlrev_b64 v[64:65], v63, v[3:4]
	v_sub_nc_u32_e32 v63, 29, v61
	v_and_b32_e32 v61, 7, v64
; %bb.303:                              ;   in Loop: Header=BB268_13 Depth=1
	s_or_b32 exec_lo, exec_lo, s51
	v_lshlrev_b32_sdwa v3, v21, v3 dst_sel:DWORD dst_unused:UNUSED_PAD src0_sel:DWORD src1_sel:WORD_0
	v_lshl_add_u32 v63, v63, 10, 0x2000
	v_lshlrev_b32_e32 v61, 23, v61
	v_and_or_b32 v3, 0x8000, v3, v63
	v_lshl_or_b32 v61, v3, 16, v61
.LBB268_304:                            ;   in Loop: Header=BB268_13 Depth=1
	s_or_b32 exec_lo, exec_lo, s50
.LBB268_305:                            ;   in Loop: Header=BB268_13 Depth=1
	s_or_b32 exec_lo, exec_lo, s49
.LBB268_306:                            ;   in Loop: Header=BB268_13 Depth=1
	s_or_b32 exec_lo, exec_lo, s48
	global_load_ushort v64, v[9:10], off offset:1152
	v_mov_b32_e32 v63, 0
	s_waitcnt vmcnt(0)
	v_and_b32_e32 v3, 0xffff, v64
	v_cmp_ne_u16_sdwa s2, v64, v4 src0_sel:BYTE_0 src1_sel:DWORD
	v_mov_b32_e32 v64, 0
	s_and_saveexec_b32 s48, s2
	s_cbranch_execz .LBB268_314
; %bb.307:                              ;   in Loop: Header=BB268_13 Depth=1
	v_cmp_ne_u16_sdwa s2, v3, v18 src0_sel:BYTE_0 src1_sel:DWORD
	v_mov_b32_e32 v64, 0x8000
	s_and_saveexec_b32 s49, s2
	s_cbranch_execz .LBB268_313
; %bb.308:                              ;   in Loop: Header=BB268_13 Depth=1
	v_and_b32_e32 v66, 0x7f, v3
	v_mov_b32_e32 v64, 0x7c01
	s_mov_b32 s50, exec_lo
	v_cmpx_ne_u32_e32 0x7f, v66
	s_cbranch_execz .LBB268_312
; %bb.309:                              ;   in Loop: Header=BB268_13 Depth=1
	v_and_b32_e32 v64, 7, v3
	v_lshrrev_b32_e32 v65, 3, v66
	s_mov_b32 s51, exec_lo
	v_cmpx_gt_u32_e32 8, v66
; %bb.310:                              ;   in Loop: Header=BB268_13 Depth=1
	v_ffbh_u32_e32 v64, v64
	v_min_u32_e32 v66, 32, v64
	v_subrev_nc_u32_e32 v64, 28, v66
	v_lshlrev_b64 v[64:65], v64, v[3:4]
	v_sub_nc_u32_e32 v65, 29, v66
	v_and_b32_e32 v64, 7, v64
; %bb.311:                              ;   in Loop: Header=BB268_13 Depth=1
	s_or_b32 exec_lo, exec_lo, s51
	v_lshlrev_b32_e32 v66, 8, v3
	v_lshl_add_u32 v65, v65, 10, 0x2000
	v_lshlrev_b32_e32 v64, 7, v64
	v_and_b32_e32 v66, 0x8000, v66
	v_and_b32_e32 v65, 0xfc00, v65
	v_or3_b32 v64, v66, v65, v64
.LBB268_312:                            ;   in Loop: Header=BB268_13 Depth=1
	s_or_b32 exec_lo, exec_lo, s50
.LBB268_313:                            ;   in Loop: Header=BB268_13 Depth=1
	s_or_b32 exec_lo, exec_lo, s49
.LBB268_314:                            ;   in Loop: Header=BB268_13 Depth=1
	s_or_b32 exec_lo, exec_lo, s48
	v_lshrrev_b16 v3, 8, v3
	s_mov_b32 s48, exec_lo
	v_cmpx_ne_u16_e32 0, v3
	s_cbranch_execz .LBB268_322
; %bb.315:                              ;   in Loop: Header=BB268_13 Depth=1
	v_bfrev_b32_e32 v63, 1
	s_mov_b32 s49, exec_lo
	v_cmpx_ne_u16_e32 0x80, v3
	s_cbranch_execz .LBB268_321
; %bb.316:                              ;   in Loop: Header=BB268_13 Depth=1
	v_and_b32_sdwa v66, v3, v19 dst_sel:DWORD dst_unused:UNUSED_PAD src0_sel:WORD_0 src1_sel:DWORD
	v_mov_b32_e32 v63, 0x7c010000
	s_mov_b32 s50, exec_lo
	v_cmpx_ne_u32_e32 0x7f, v66
	s_cbranch_execz .LBB268_320
; %bb.317:                              ;   in Loop: Header=BB268_13 Depth=1
	v_and_b32_sdwa v63, v3, v20 dst_sel:DWORD dst_unused:UNUSED_PAD src0_sel:WORD_0 src1_sel:DWORD
	v_lshrrev_b32_e32 v65, 3, v66
	s_mov_b32 s51, exec_lo
	v_cmpx_gt_u32_e32 8, v66
; %bb.318:                              ;   in Loop: Header=BB268_13 Depth=1
	v_ffbh_u32_e32 v63, v63
	v_min_u32_e32 v63, 32, v63
	v_subrev_nc_u32_e32 v65, 28, v63
	v_lshlrev_b64 v[66:67], v65, v[3:4]
	v_sub_nc_u32_e32 v65, 29, v63
	v_and_b32_e32 v63, 7, v66
; %bb.319:                              ;   in Loop: Header=BB268_13 Depth=1
	s_or_b32 exec_lo, exec_lo, s51
	v_lshlrev_b32_sdwa v3, v21, v3 dst_sel:DWORD dst_unused:UNUSED_PAD src0_sel:DWORD src1_sel:WORD_0
	v_lshl_add_u32 v65, v65, 10, 0x2000
	v_lshlrev_b32_e32 v63, 23, v63
	v_and_or_b32 v3, 0x8000, v3, v65
	v_lshl_or_b32 v63, v3, 16, v63
.LBB268_320:                            ;   in Loop: Header=BB268_13 Depth=1
	s_or_b32 exec_lo, exec_lo, s50
.LBB268_321:                            ;   in Loop: Header=BB268_13 Depth=1
	s_or_b32 exec_lo, exec_lo, s49
.LBB268_322:                            ;   in Loop: Header=BB268_13 Depth=1
	s_or_b32 exec_lo, exec_lo, s48
	global_load_ushort v66, v[9:10], off offset:1160
	v_mov_b32_e32 v65, 0
	s_waitcnt vmcnt(0)
	v_and_b32_e32 v3, 0xffff, v66
	v_cmp_ne_u16_sdwa s2, v66, v4 src0_sel:BYTE_0 src1_sel:DWORD
	v_mov_b32_e32 v66, 0
	s_and_saveexec_b32 s48, s2
	s_cbranch_execz .LBB268_330
; %bb.323:                              ;   in Loop: Header=BB268_13 Depth=1
	v_cmp_ne_u16_sdwa s2, v3, v18 src0_sel:BYTE_0 src1_sel:DWORD
	v_mov_b32_e32 v66, 0x8000
	s_and_saveexec_b32 s49, s2
	s_cbranch_execz .LBB268_329
; %bb.324:                              ;   in Loop: Header=BB268_13 Depth=1
	v_and_b32_e32 v68, 0x7f, v3
	v_mov_b32_e32 v66, 0x7c01
	s_mov_b32 s50, exec_lo
	v_cmpx_ne_u32_e32 0x7f, v68
	s_cbranch_execz .LBB268_328
; %bb.325:                              ;   in Loop: Header=BB268_13 Depth=1
	v_and_b32_e32 v66, 7, v3
	v_lshrrev_b32_e32 v67, 3, v68
	s_mov_b32 s51, exec_lo
	v_cmpx_gt_u32_e32 8, v68
; %bb.326:                              ;   in Loop: Header=BB268_13 Depth=1
	v_ffbh_u32_e32 v66, v66
	v_min_u32_e32 v68, 32, v66
	v_subrev_nc_u32_e32 v66, 28, v68
	v_lshlrev_b64 v[66:67], v66, v[3:4]
	v_sub_nc_u32_e32 v67, 29, v68
	v_and_b32_e32 v66, 7, v66
; %bb.327:                              ;   in Loop: Header=BB268_13 Depth=1
	s_or_b32 exec_lo, exec_lo, s51
	v_lshlrev_b32_e32 v68, 8, v3
	v_lshl_add_u32 v67, v67, 10, 0x2000
	v_lshlrev_b32_e32 v66, 7, v66
	v_and_b32_e32 v68, 0x8000, v68
	v_and_b32_e32 v67, 0xfc00, v67
	v_or3_b32 v66, v68, v67, v66
.LBB268_328:                            ;   in Loop: Header=BB268_13 Depth=1
	s_or_b32 exec_lo, exec_lo, s50
.LBB268_329:                            ;   in Loop: Header=BB268_13 Depth=1
	s_or_b32 exec_lo, exec_lo, s49
.LBB268_330:                            ;   in Loop: Header=BB268_13 Depth=1
	s_or_b32 exec_lo, exec_lo, s48
	v_lshrrev_b16 v3, 8, v3
	s_mov_b32 s48, exec_lo
	v_cmpx_ne_u16_e32 0, v3
	s_cbranch_execz .LBB268_338
; %bb.331:                              ;   in Loop: Header=BB268_13 Depth=1
	v_bfrev_b32_e32 v65, 1
	s_mov_b32 s49, exec_lo
	v_cmpx_ne_u16_e32 0x80, v3
	s_cbranch_execz .LBB268_337
; %bb.332:                              ;   in Loop: Header=BB268_13 Depth=1
	v_and_b32_sdwa v68, v3, v19 dst_sel:DWORD dst_unused:UNUSED_PAD src0_sel:WORD_0 src1_sel:DWORD
	v_mov_b32_e32 v65, 0x7c010000
	s_mov_b32 s50, exec_lo
	v_cmpx_ne_u32_e32 0x7f, v68
	s_cbranch_execz .LBB268_336
; %bb.333:                              ;   in Loop: Header=BB268_13 Depth=1
	v_and_b32_sdwa v65, v3, v20 dst_sel:DWORD dst_unused:UNUSED_PAD src0_sel:WORD_0 src1_sel:DWORD
	v_lshrrev_b32_e32 v67, 3, v68
	s_mov_b32 s51, exec_lo
	v_cmpx_gt_u32_e32 8, v68
; %bb.334:                              ;   in Loop: Header=BB268_13 Depth=1
	v_ffbh_u32_e32 v65, v65
	v_min_u32_e32 v65, 32, v65
	v_subrev_nc_u32_e32 v67, 28, v65
	v_lshlrev_b64 v[68:69], v67, v[3:4]
	v_sub_nc_u32_e32 v67, 29, v65
	v_and_b32_e32 v65, 7, v68
; %bb.335:                              ;   in Loop: Header=BB268_13 Depth=1
	s_or_b32 exec_lo, exec_lo, s51
	v_lshlrev_b32_sdwa v3, v21, v3 dst_sel:DWORD dst_unused:UNUSED_PAD src0_sel:DWORD src1_sel:WORD_0
	v_lshl_add_u32 v67, v67, 10, 0x2000
	v_lshlrev_b32_e32 v65, 23, v65
	v_and_or_b32 v3, 0x8000, v3, v67
	v_lshl_or_b32 v65, v3, 16, v65
.LBB268_336:                            ;   in Loop: Header=BB268_13 Depth=1
	s_or_b32 exec_lo, exec_lo, s50
.LBB268_337:                            ;   in Loop: Header=BB268_13 Depth=1
	s_or_b32 exec_lo, exec_lo, s49
.LBB268_338:                            ;   in Loop: Header=BB268_13 Depth=1
	s_or_b32 exec_lo, exec_lo, s48
	global_load_ushort v68, v[9:10], off offset:1280
	v_mov_b32_e32 v67, 0
	s_waitcnt vmcnt(0)
	v_and_b32_e32 v3, 0xffff, v68
	v_cmp_ne_u16_sdwa s2, v68, v4 src0_sel:BYTE_0 src1_sel:DWORD
	v_mov_b32_e32 v68, 0
	s_and_saveexec_b32 s48, s2
	s_cbranch_execz .LBB268_346
; %bb.339:                              ;   in Loop: Header=BB268_13 Depth=1
	v_cmp_ne_u16_sdwa s2, v3, v18 src0_sel:BYTE_0 src1_sel:DWORD
	v_mov_b32_e32 v68, 0x8000
	s_and_saveexec_b32 s49, s2
	s_cbranch_execz .LBB268_345
; %bb.340:                              ;   in Loop: Header=BB268_13 Depth=1
	v_and_b32_e32 v70, 0x7f, v3
	v_mov_b32_e32 v68, 0x7c01
	s_mov_b32 s50, exec_lo
	v_cmpx_ne_u32_e32 0x7f, v70
	s_cbranch_execz .LBB268_344
; %bb.341:                              ;   in Loop: Header=BB268_13 Depth=1
	v_and_b32_e32 v68, 7, v3
	v_lshrrev_b32_e32 v69, 3, v70
	s_mov_b32 s51, exec_lo
	v_cmpx_gt_u32_e32 8, v70
; %bb.342:                              ;   in Loop: Header=BB268_13 Depth=1
	v_ffbh_u32_e32 v68, v68
	v_min_u32_e32 v70, 32, v68
	v_subrev_nc_u32_e32 v68, 28, v70
	v_lshlrev_b64 v[68:69], v68, v[3:4]
	v_sub_nc_u32_e32 v69, 29, v70
	v_and_b32_e32 v68, 7, v68
; %bb.343:                              ;   in Loop: Header=BB268_13 Depth=1
	s_or_b32 exec_lo, exec_lo, s51
	v_lshlrev_b32_e32 v70, 8, v3
	v_lshl_add_u32 v69, v69, 10, 0x2000
	v_lshlrev_b32_e32 v68, 7, v68
	v_and_b32_e32 v70, 0x8000, v70
	v_and_b32_e32 v69, 0xfc00, v69
	v_or3_b32 v68, v70, v69, v68
.LBB268_344:                            ;   in Loop: Header=BB268_13 Depth=1
	s_or_b32 exec_lo, exec_lo, s50
.LBB268_345:                            ;   in Loop: Header=BB268_13 Depth=1
	s_or_b32 exec_lo, exec_lo, s49
.LBB268_346:                            ;   in Loop: Header=BB268_13 Depth=1
	s_or_b32 exec_lo, exec_lo, s48
	v_lshrrev_b16 v3, 8, v3
	s_mov_b32 s48, exec_lo
	v_cmpx_ne_u16_e32 0, v3
	s_cbranch_execz .LBB268_354
; %bb.347:                              ;   in Loop: Header=BB268_13 Depth=1
	v_bfrev_b32_e32 v67, 1
	s_mov_b32 s49, exec_lo
	v_cmpx_ne_u16_e32 0x80, v3
	s_cbranch_execz .LBB268_353
; %bb.348:                              ;   in Loop: Header=BB268_13 Depth=1
	v_and_b32_sdwa v70, v3, v19 dst_sel:DWORD dst_unused:UNUSED_PAD src0_sel:WORD_0 src1_sel:DWORD
	v_mov_b32_e32 v67, 0x7c010000
	s_mov_b32 s50, exec_lo
	v_cmpx_ne_u32_e32 0x7f, v70
	s_cbranch_execz .LBB268_352
; %bb.349:                              ;   in Loop: Header=BB268_13 Depth=1
	v_and_b32_sdwa v67, v3, v20 dst_sel:DWORD dst_unused:UNUSED_PAD src0_sel:WORD_0 src1_sel:DWORD
	v_lshrrev_b32_e32 v69, 3, v70
	s_mov_b32 s51, exec_lo
	v_cmpx_gt_u32_e32 8, v70
; %bb.350:                              ;   in Loop: Header=BB268_13 Depth=1
	v_ffbh_u32_e32 v67, v67
	v_min_u32_e32 v67, 32, v67
	v_subrev_nc_u32_e32 v69, 28, v67
	v_lshlrev_b64 v[70:71], v69, v[3:4]
	v_sub_nc_u32_e32 v69, 29, v67
	v_and_b32_e32 v67, 7, v70
; %bb.351:                              ;   in Loop: Header=BB268_13 Depth=1
	s_or_b32 exec_lo, exec_lo, s51
	v_lshlrev_b32_sdwa v3, v21, v3 dst_sel:DWORD dst_unused:UNUSED_PAD src0_sel:DWORD src1_sel:WORD_0
	v_lshl_add_u32 v69, v69, 10, 0x2000
	v_lshlrev_b32_e32 v67, 23, v67
	v_and_or_b32 v3, 0x8000, v3, v69
	v_lshl_or_b32 v67, v3, 16, v67
.LBB268_352:                            ;   in Loop: Header=BB268_13 Depth=1
	s_or_b32 exec_lo, exec_lo, s50
.LBB268_353:                            ;   in Loop: Header=BB268_13 Depth=1
	s_or_b32 exec_lo, exec_lo, s49
.LBB268_354:                            ;   in Loop: Header=BB268_13 Depth=1
	s_or_b32 exec_lo, exec_lo, s48
	global_load_ushort v70, v[9:10], off offset:1288
	v_mov_b32_e32 v69, 0
	s_waitcnt vmcnt(0)
	v_and_b32_e32 v3, 0xffff, v70
	v_cmp_ne_u16_sdwa s2, v70, v4 src0_sel:BYTE_0 src1_sel:DWORD
	v_mov_b32_e32 v70, 0
	s_and_saveexec_b32 s48, s2
	s_cbranch_execz .LBB268_362
; %bb.355:                              ;   in Loop: Header=BB268_13 Depth=1
	v_cmp_ne_u16_sdwa s2, v3, v18 src0_sel:BYTE_0 src1_sel:DWORD
	v_mov_b32_e32 v70, 0x8000
	s_and_saveexec_b32 s49, s2
	s_cbranch_execz .LBB268_361
; %bb.356:                              ;   in Loop: Header=BB268_13 Depth=1
	v_and_b32_e32 v72, 0x7f, v3
	v_mov_b32_e32 v70, 0x7c01
	s_mov_b32 s50, exec_lo
	v_cmpx_ne_u32_e32 0x7f, v72
	s_cbranch_execz .LBB268_360
; %bb.357:                              ;   in Loop: Header=BB268_13 Depth=1
	v_and_b32_e32 v70, 7, v3
	v_lshrrev_b32_e32 v71, 3, v72
	s_mov_b32 s51, exec_lo
	v_cmpx_gt_u32_e32 8, v72
; %bb.358:                              ;   in Loop: Header=BB268_13 Depth=1
	v_ffbh_u32_e32 v70, v70
	v_min_u32_e32 v72, 32, v70
	v_subrev_nc_u32_e32 v70, 28, v72
	v_lshlrev_b64 v[70:71], v70, v[3:4]
	v_sub_nc_u32_e32 v71, 29, v72
	v_and_b32_e32 v70, 7, v70
; %bb.359:                              ;   in Loop: Header=BB268_13 Depth=1
	s_or_b32 exec_lo, exec_lo, s51
	v_lshlrev_b32_e32 v72, 8, v3
	v_lshl_add_u32 v71, v71, 10, 0x2000
	v_lshlrev_b32_e32 v70, 7, v70
	v_and_b32_e32 v72, 0x8000, v72
	v_and_b32_e32 v71, 0xfc00, v71
	v_or3_b32 v70, v72, v71, v70
.LBB268_360:                            ;   in Loop: Header=BB268_13 Depth=1
	s_or_b32 exec_lo, exec_lo, s50
.LBB268_361:                            ;   in Loop: Header=BB268_13 Depth=1
	s_or_b32 exec_lo, exec_lo, s49
.LBB268_362:                            ;   in Loop: Header=BB268_13 Depth=1
	s_or_b32 exec_lo, exec_lo, s48
	v_lshrrev_b16 v3, 8, v3
	s_mov_b32 s48, exec_lo
	v_cmpx_ne_u16_e32 0, v3
	s_cbranch_execz .LBB268_370
; %bb.363:                              ;   in Loop: Header=BB268_13 Depth=1
	v_bfrev_b32_e32 v69, 1
	s_mov_b32 s49, exec_lo
	v_cmpx_ne_u16_e32 0x80, v3
	s_cbranch_execz .LBB268_369
; %bb.364:                              ;   in Loop: Header=BB268_13 Depth=1
	v_and_b32_sdwa v72, v3, v19 dst_sel:DWORD dst_unused:UNUSED_PAD src0_sel:WORD_0 src1_sel:DWORD
	v_mov_b32_e32 v69, 0x7c010000
	s_mov_b32 s50, exec_lo
	v_cmpx_ne_u32_e32 0x7f, v72
	s_cbranch_execz .LBB268_368
; %bb.365:                              ;   in Loop: Header=BB268_13 Depth=1
	v_and_b32_sdwa v69, v3, v20 dst_sel:DWORD dst_unused:UNUSED_PAD src0_sel:WORD_0 src1_sel:DWORD
	v_lshrrev_b32_e32 v71, 3, v72
	s_mov_b32 s51, exec_lo
	v_cmpx_gt_u32_e32 8, v72
; %bb.366:                              ;   in Loop: Header=BB268_13 Depth=1
	v_ffbh_u32_e32 v69, v69
	v_min_u32_e32 v69, 32, v69
	v_subrev_nc_u32_e32 v71, 28, v69
	v_lshlrev_b64 v[72:73], v71, v[3:4]
	v_sub_nc_u32_e32 v71, 29, v69
	v_and_b32_e32 v69, 7, v72
; %bb.367:                              ;   in Loop: Header=BB268_13 Depth=1
	s_or_b32 exec_lo, exec_lo, s51
	v_lshlrev_b32_sdwa v3, v21, v3 dst_sel:DWORD dst_unused:UNUSED_PAD src0_sel:DWORD src1_sel:WORD_0
	v_lshl_add_u32 v71, v71, 10, 0x2000
	v_lshlrev_b32_e32 v69, 23, v69
	v_and_or_b32 v3, 0x8000, v3, v71
	v_lshl_or_b32 v69, v3, 16, v69
.LBB268_368:                            ;   in Loop: Header=BB268_13 Depth=1
	s_or_b32 exec_lo, exec_lo, s50
.LBB268_369:                            ;   in Loop: Header=BB268_13 Depth=1
	s_or_b32 exec_lo, exec_lo, s49
.LBB268_370:                            ;   in Loop: Header=BB268_13 Depth=1
	s_or_b32 exec_lo, exec_lo, s48
	global_load_ushort v72, v[9:10], off offset:1408
	v_mov_b32_e32 v71, 0
	s_waitcnt vmcnt(0)
	v_and_b32_e32 v3, 0xffff, v72
	v_cmp_ne_u16_sdwa s2, v72, v4 src0_sel:BYTE_0 src1_sel:DWORD
	v_mov_b32_e32 v72, 0
	s_and_saveexec_b32 s48, s2
	s_cbranch_execz .LBB268_378
; %bb.371:                              ;   in Loop: Header=BB268_13 Depth=1
	v_cmp_ne_u16_sdwa s2, v3, v18 src0_sel:BYTE_0 src1_sel:DWORD
	v_mov_b32_e32 v72, 0x8000
	s_and_saveexec_b32 s49, s2
	s_cbranch_execz .LBB268_377
; %bb.372:                              ;   in Loop: Header=BB268_13 Depth=1
	v_and_b32_e32 v74, 0x7f, v3
	v_mov_b32_e32 v72, 0x7c01
	s_mov_b32 s50, exec_lo
	v_cmpx_ne_u32_e32 0x7f, v74
	s_cbranch_execz .LBB268_376
; %bb.373:                              ;   in Loop: Header=BB268_13 Depth=1
	v_and_b32_e32 v72, 7, v3
	v_lshrrev_b32_e32 v73, 3, v74
	s_mov_b32 s51, exec_lo
	v_cmpx_gt_u32_e32 8, v74
; %bb.374:                              ;   in Loop: Header=BB268_13 Depth=1
	v_ffbh_u32_e32 v72, v72
	v_min_u32_e32 v74, 32, v72
	v_subrev_nc_u32_e32 v72, 28, v74
	v_lshlrev_b64 v[72:73], v72, v[3:4]
	v_sub_nc_u32_e32 v73, 29, v74
	v_and_b32_e32 v72, 7, v72
; %bb.375:                              ;   in Loop: Header=BB268_13 Depth=1
	s_or_b32 exec_lo, exec_lo, s51
	v_lshlrev_b32_e32 v74, 8, v3
	v_lshl_add_u32 v73, v73, 10, 0x2000
	v_lshlrev_b32_e32 v72, 7, v72
	v_and_b32_e32 v74, 0x8000, v74
	v_and_b32_e32 v73, 0xfc00, v73
	v_or3_b32 v72, v74, v73, v72
.LBB268_376:                            ;   in Loop: Header=BB268_13 Depth=1
	s_or_b32 exec_lo, exec_lo, s50
.LBB268_377:                            ;   in Loop: Header=BB268_13 Depth=1
	s_or_b32 exec_lo, exec_lo, s49
.LBB268_378:                            ;   in Loop: Header=BB268_13 Depth=1
	s_or_b32 exec_lo, exec_lo, s48
	v_lshrrev_b16 v3, 8, v3
	s_mov_b32 s48, exec_lo
	v_cmpx_ne_u16_e32 0, v3
	s_cbranch_execz .LBB268_386
; %bb.379:                              ;   in Loop: Header=BB268_13 Depth=1
	v_bfrev_b32_e32 v71, 1
	s_mov_b32 s49, exec_lo
	v_cmpx_ne_u16_e32 0x80, v3
	s_cbranch_execz .LBB268_385
; %bb.380:                              ;   in Loop: Header=BB268_13 Depth=1
	v_and_b32_sdwa v74, v3, v19 dst_sel:DWORD dst_unused:UNUSED_PAD src0_sel:WORD_0 src1_sel:DWORD
	v_mov_b32_e32 v71, 0x7c010000
	s_mov_b32 s50, exec_lo
	v_cmpx_ne_u32_e32 0x7f, v74
	s_cbranch_execz .LBB268_384
; %bb.381:                              ;   in Loop: Header=BB268_13 Depth=1
	v_and_b32_sdwa v71, v3, v20 dst_sel:DWORD dst_unused:UNUSED_PAD src0_sel:WORD_0 src1_sel:DWORD
	v_lshrrev_b32_e32 v73, 3, v74
	s_mov_b32 s51, exec_lo
	v_cmpx_gt_u32_e32 8, v74
; %bb.382:                              ;   in Loop: Header=BB268_13 Depth=1
	v_ffbh_u32_e32 v71, v71
	v_min_u32_e32 v71, 32, v71
	v_subrev_nc_u32_e32 v73, 28, v71
	v_lshlrev_b64 v[74:75], v73, v[3:4]
	v_sub_nc_u32_e32 v73, 29, v71
	v_and_b32_e32 v71, 7, v74
; %bb.383:                              ;   in Loop: Header=BB268_13 Depth=1
	s_or_b32 exec_lo, exec_lo, s51
	v_lshlrev_b32_sdwa v3, v21, v3 dst_sel:DWORD dst_unused:UNUSED_PAD src0_sel:DWORD src1_sel:WORD_0
	v_lshl_add_u32 v73, v73, 10, 0x2000
	v_lshlrev_b32_e32 v71, 23, v71
	v_and_or_b32 v3, 0x8000, v3, v73
	v_lshl_or_b32 v71, v3, 16, v71
.LBB268_384:                            ;   in Loop: Header=BB268_13 Depth=1
	s_or_b32 exec_lo, exec_lo, s50
.LBB268_385:                            ;   in Loop: Header=BB268_13 Depth=1
	s_or_b32 exec_lo, exec_lo, s49
.LBB268_386:                            ;   in Loop: Header=BB268_13 Depth=1
	s_or_b32 exec_lo, exec_lo, s48
	global_load_ushort v10, v[9:10], off offset:1416
	v_mov_b32_e32 v9, 0
	s_waitcnt vmcnt(0)
	v_and_b32_e32 v3, 0xffff, v10
	v_cmp_ne_u16_sdwa s2, v10, v4 src0_sel:BYTE_0 src1_sel:DWORD
	v_mov_b32_e32 v10, 0
	s_and_saveexec_b32 s48, s2
	s_cbranch_execz .LBB268_394
; %bb.387:                              ;   in Loop: Header=BB268_13 Depth=1
	v_cmp_ne_u16_sdwa s2, v3, v18 src0_sel:BYTE_0 src1_sel:DWORD
	v_mov_b32_e32 v10, 0x8000
	s_and_saveexec_b32 s49, s2
	s_cbranch_execz .LBB268_393
; %bb.388:                              ;   in Loop: Header=BB268_13 Depth=1
	v_and_b32_e32 v74, 0x7f, v3
	v_mov_b32_e32 v10, 0x7c01
	s_mov_b32 s50, exec_lo
	v_cmpx_ne_u32_e32 0x7f, v74
	s_cbranch_execz .LBB268_392
; %bb.389:                              ;   in Loop: Header=BB268_13 Depth=1
	v_and_b32_e32 v10, 7, v3
	v_lshrrev_b32_e32 v73, 3, v74
	s_mov_b32 s51, exec_lo
	v_cmpx_gt_u32_e32 8, v74
; %bb.390:                              ;   in Loop: Header=BB268_13 Depth=1
	v_ffbh_u32_e32 v10, v10
	v_min_u32_e32 v10, 32, v10
	v_subrev_nc_u32_e32 v73, 28, v10
	v_lshlrev_b64 v[74:75], v73, v[3:4]
	v_sub_nc_u32_e32 v73, 29, v10
	v_and_b32_e32 v10, 7, v74
; %bb.391:                              ;   in Loop: Header=BB268_13 Depth=1
	s_or_b32 exec_lo, exec_lo, s51
	v_lshlrev_b32_e32 v74, 8, v3
	v_lshl_add_u32 v73, v73, 10, 0x2000
	v_lshlrev_b32_e32 v10, 7, v10
	v_and_b32_e32 v74, 0x8000, v74
	v_and_b32_e32 v73, 0xfc00, v73
	v_or3_b32 v10, v74, v73, v10
.LBB268_392:                            ;   in Loop: Header=BB268_13 Depth=1
	s_or_b32 exec_lo, exec_lo, s50
.LBB268_393:                            ;   in Loop: Header=BB268_13 Depth=1
	s_or_b32 exec_lo, exec_lo, s49
.LBB268_394:                            ;   in Loop: Header=BB268_13 Depth=1
	s_or_b32 exec_lo, exec_lo, s48
	v_lshrrev_b16 v3, 8, v3
	s_mov_b32 s48, exec_lo
	v_cmpx_ne_u16_e32 0, v3
	s_cbranch_execz .LBB268_402
; %bb.395:                              ;   in Loop: Header=BB268_13 Depth=1
	v_bfrev_b32_e32 v9, 1
	s_mov_b32 s49, exec_lo
	v_cmpx_ne_u16_e32 0x80, v3
	s_cbranch_execz .LBB268_401
; %bb.396:                              ;   in Loop: Header=BB268_13 Depth=1
	v_and_b32_sdwa v74, v3, v19 dst_sel:DWORD dst_unused:UNUSED_PAD src0_sel:WORD_0 src1_sel:DWORD
	v_mov_b32_e32 v9, 0x7c010000
	s_mov_b32 s50, exec_lo
	v_cmpx_ne_u32_e32 0x7f, v74
	s_cbranch_execz .LBB268_400
; %bb.397:                              ;   in Loop: Header=BB268_13 Depth=1
	v_and_b32_sdwa v9, v3, v20 dst_sel:DWORD dst_unused:UNUSED_PAD src0_sel:WORD_0 src1_sel:DWORD
	v_lshrrev_b32_e32 v73, 3, v74
	s_mov_b32 s51, exec_lo
	v_cmpx_gt_u32_e32 8, v74
; %bb.398:                              ;   in Loop: Header=BB268_13 Depth=1
	v_ffbh_u32_e32 v9, v9
	v_min_u32_e32 v9, 32, v9
	v_subrev_nc_u32_e32 v73, 28, v9
	v_lshlrev_b64 v[74:75], v73, v[3:4]
	v_sub_nc_u32_e32 v73, 29, v9
	v_and_b32_e32 v9, 7, v74
; %bb.399:                              ;   in Loop: Header=BB268_13 Depth=1
	s_or_b32 exec_lo, exec_lo, s51
	v_lshlrev_b32_sdwa v3, v21, v3 dst_sel:DWORD dst_unused:UNUSED_PAD src0_sel:DWORD src1_sel:WORD_0
	v_lshl_add_u32 v73, v73, 10, 0x2000
	v_lshlrev_b32_e32 v9, 23, v9
	v_and_or_b32 v3, 0x8000, v3, v73
	v_lshl_or_b32 v9, v3, 16, v9
.LBB268_400:                            ;   in Loop: Header=BB268_13 Depth=1
	s_or_b32 exec_lo, exec_lo, s50
.LBB268_401:                            ;   in Loop: Header=BB268_13 Depth=1
	s_or_b32 exec_lo, exec_lo, s49
.LBB268_402:                            ;   in Loop: Header=BB268_13 Depth=1
	s_or_b32 exec_lo, exec_lo, s48
	ds_read_b32 v3, v16
	v_or_b32_e32 v28, v27, v28
	v_fma_mixlo_f16 v27, v26, v27, 0 op_sel:[0,1,0] op_sel_hi:[0,1,0]
	v_or_b32_e32 v30, v29, v30
	v_fma_mixlo_f16 v29, v26, v29, 0 op_sel:[0,1,0] op_sel_hi:[0,1,0]
	v_or_b32_e32 v40, v39, v40
	v_fma_mixlo_f16 v28, v26, v28, 0 op_sel_hi:[0,1,0]
	v_and_b32_e32 v27, 0xffff, v27
	v_fma_mixlo_f16 v30, v26, v30, 0 op_sel_hi:[0,1,0]
	v_and_b32_e32 v29, 0xffff, v29
	;; [unrolled: 2-line block ×3, first 2 shown]
	v_fma_mixlo_f16 v39, v26, v39, 0 op_sel:[0,1,0] op_sel_hi:[0,1,0]
	v_and_b32_e32 v30, 0xffff, v30
	v_or_b32_e32 v42, v41, v42
	v_fma_mixlo_f16 v41, v26, v41, 0 op_sel:[0,1,0] op_sel_hi:[0,1,0]
	v_or_b32_e32 v44, v43, v44
	v_and_b32_e32 v85, 0xffff, v39
	v_fma_mixlo_f16 v43, v26, v43, 0 op_sel:[0,1,0] op_sel_hi:[0,1,0]
	v_fma_mixlo_f16 v42, v26, v42, 0 op_sel_hi:[0,1,0]
	s_waitcnt lgkmcnt(0)
	v_and_b32_e32 v73, 0xffff, v3
	v_lshrrev_b32_e32 v3, 16, v3
	;;#ASMSTART
	v_cvt_f32_f16 v76, v73;
	;;#ASMEND
	;;#ASMSTART
	v_cvt_f32_f16 v3, v3;
	;;#ASMEND
	;; [unrolled: 3-line block ×4, first 2 shown]
	ds_read_b32 v28, v16 offset:4
	v_and_b32_e32 v88, 0xffff, v42
	v_and_b32_e32 v89, 0xffff, v41
	v_fma_mixlo_f16 v44, v26, v44, 0 op_sel_hi:[0,1,0]
	v_and_b32_e32 v91, 0xffff, v43
	v_or_b32_e32 v46, v45, v46
	v_fma_mixlo_f16 v45, v26, v45, 0 op_sel:[0,1,0] op_sel_hi:[0,1,0]
	v_or_b32_e32 v48, v47, v48
	v_and_b32_e32 v90, 0xffff, v44
	v_fma_mixlo_f16 v47, v26, v47, 0 op_sel:[0,1,0] op_sel_hi:[0,1,0]
	v_fma_mixlo_f16 v46, v26, v46, 0 op_sel_hi:[0,1,0]
	v_and_b32_e32 v93, 0xffff, v45
	v_fma_mixlo_f16 v48, v26, v48, 0 op_sel_hi:[0,1,0]
	v_or_b32_e32 v50, v49, v50
	v_and_b32_e32 v95, 0xffff, v47
	v_and_b32_e32 v92, 0xffff, v46
	v_fma_mixlo_f16 v49, v26, v49, 0 op_sel:[0,1,0] op_sel_hi:[0,1,0]
	v_and_b32_e32 v94, 0xffff, v48
	v_fma_mixlo_f16 v50, v26, v50, 0 op_sel_hi:[0,1,0]
	v_or_b32_e32 v54, v53, v54
	s_waitcnt lgkmcnt(0)
	v_and_b32_e32 v73, 0xffff, v28
	v_lshrrev_b32_e32 v28, 16, v28
	;;#ASMSTART
	v_cvt_f32_f16 v86, v73;
	;;#ASMEND
	;;#ASMSTART
	v_cvt_f32_f16 v78, v28;
	;;#ASMEND
	;; [unrolled: 3-line block ×4, first 2 shown]
	ds_read_b32 v28, v16 offset:8
	v_or_b32_e32 v29, v31, v32
	v_fma_mixlo_f16 v30, v26, v31, 0 op_sel:[0,1,0] op_sel_hi:[0,1,0]
	v_fma_mixlo_f16 v32, v26, v35, 0 op_sel:[0,1,0] op_sel_hi:[0,1,0]
	v_and_b32_e32 v96, 0xffff, v50
	v_and_b32_e32 v97, 0xffff, v49
	v_fma_mixlo_f16 v29, v26, v29, 0 op_sel_hi:[0,1,0]
	v_and_b32_e32 v30, 0xffff, v30
	v_fma_mixlo_f16 v54, v26, v54, 0 op_sel_hi:[0,1,0]
	v_or_b32_e32 v52, v51, v52
	v_fma_mixlo_f16 v51, v26, v51, 0 op_sel:[0,1,0] op_sel_hi:[0,1,0]
	v_and_b32_e32 v29, 0xffff, v29
	v_or_b32_e32 v56, v55, v56
	v_fma_mixlo_f16 v55, v26, v55, 0 op_sel:[0,1,0] op_sel_hi:[0,1,0]
	v_fma_mixlo_f16 v52, v26, v52, 0 op_sel_hi:[0,1,0]
	v_and_b32_e32 v98, 0xffff, v51
	v_mul_f32_e32 v51, v78, v81
	v_fma_mixlo_f16 v56, v26, v56, 0 op_sel_hi:[0,1,0]
	v_or_b32_e32 v58, v57, v58
	v_fma_mixlo_f16 v57, v26, v57, 0 op_sel:[0,1,0] op_sel_hi:[0,1,0]
	s_waitcnt lgkmcnt(0)
	v_and_b32_e32 v31, 0xffff, v28
	v_lshrrev_b32_e32 v28, 16, v28
	;;#ASMSTART
	v_cvt_f32_f16 v79, v31;
	;;#ASMEND
	;;#ASMSTART
	v_cvt_f32_f16 v73, v28;
	;;#ASMEND
	;; [unrolled: 3-line block ×4, first 2 shown]
	ds_read_b32 v28, v16 offset:12
	v_or_b32_e32 v29, v33, v34
	v_fma_mixlo_f16 v30, v26, v33, 0 op_sel:[0,1,0] op_sel_hi:[0,1,0]
	v_fmac_f32_e32 v51, v3, v27
	v_and_b32_e32 v56, 0xffff, v56
	v_fma_mixlo_f16 v58, v26, v58, 0 op_sel_hi:[0,1,0]
	v_fma_mixlo_f16 v29, v26, v29, 0 op_sel_hi:[0,1,0]
	v_and_b32_e32 v30, 0xffff, v30
	v_or_b32_e32 v60, v59, v60
	v_fma_mixlo_f16 v59, v26, v59, 0 op_sel:[0,1,0] op_sel_hi:[0,1,0]
	v_fmac_f32_e32 v51, v73, v75
	v_and_b32_e32 v29, 0xffff, v29
	v_or_b32_e32 v62, v61, v62
	v_fma_mixlo_f16 v60, v26, v60, 0 op_sel_hi:[0,1,0]
	v_fma_mixlo_f16 v61, v26, v61, 0 op_sel:[0,1,0] op_sel_hi:[0,1,0]
	v_or_b32_e32 v64, v63, v64
	v_fma_mixlo_f16 v63, v26, v63, 0 op_sel:[0,1,0] op_sel_hi:[0,1,0]
	v_fma_mixlo_f16 v62, v26, v62, 0 op_sel_hi:[0,1,0]
	v_or_b32_e32 v66, v65, v66
	v_fma_mixlo_f16 v65, v26, v65, 0 op_sel:[0,1,0] op_sel_hi:[0,1,0]
	s_waitcnt lgkmcnt(0)
	v_and_b32_e32 v31, 0xffff, v28
	v_lshrrev_b32_e32 v28, 16, v28
	;;#ASMSTART
	v_cvt_f32_f16 v33, v31;
	;;#ASMEND
	;;#ASMSTART
	v_cvt_f32_f16 v28, v28;
	;;#ASMEND
	;; [unrolled: 3-line block ×4, first 2 shown]
	ds_read_b32 v29, v16 offset:16
	v_or_b32_e32 v31, v35, v36
	v_and_b32_e32 v35, 0xffff, v32
	v_or_b32_e32 v36, v37, v38
	v_fma_mixlo_f16 v37, v26, v37, 0 op_sel:[0,1,0] op_sel_hi:[0,1,0]
	v_and_b32_e32 v62, 0xffff, v62
	v_fma_mixlo_f16 v31, v26, v31, 0 op_sel_hi:[0,1,0]
	v_fma_mixlo_f16 v64, v26, v64, 0 op_sel_hi:[0,1,0]
	;; [unrolled: 1-line block ×3, first 2 shown]
	v_and_b32_e32 v84, 0xffff, v37
	v_fmac_f32_e32 v51, v28, v30
	v_and_b32_e32 v31, 0xffff, v31
	v_and_b32_e32 v64, 0xffff, v64
	;; [unrolled: 1-line block ×3, first 2 shown]
	v_fma_mixlo_f16 v66, v26, v66, 0 op_sel_hi:[0,1,0]
	v_or_b32_e32 v10, v9, v10
	v_fma_mixlo_f16 v9, v26, v9, 0 op_sel:[0,1,0] op_sel_hi:[0,1,0]
	v_and_b32_e32 v66, 0xffff, v66
	s_waitcnt lgkmcnt(0)
	v_and_b32_e32 v34, 0xffff, v29
	v_lshrrev_b32_e32 v29, 16, v29
	;;#ASMSTART
	v_cvt_f32_f16 v32, v34;
	;;#ASMEND
	;;#ASMSTART
	v_cvt_f32_f16 v29, v29;
	;;#ASMEND
	;; [unrolled: 3-line block ×4, first 2 shown]
	ds_read_b32 v35, v16 offset:20
	v_fmac_f32_e32 v51, v29, v31
	v_or_b32_e32 v29, v67, v68
	v_fma_mixlo_f16 v31, v26, v67, 0 op_sel:[0,1,0] op_sel_hi:[0,1,0]
	v_fma_mixlo_f16 v10, v26, v10, 0 op_sel_hi:[0,1,0]
	v_fma_mixlo_f16 v29, v26, v29, 0 op_sel_hi:[0,1,0]
	s_waitcnt lgkmcnt(0)
	v_and_b32_e32 v38, 0xffff, v35
	v_lshrrev_b32_e32 v82, 16, v35
	;;#ASMSTART
	v_cvt_f32_f16 v35, v38;
	;;#ASMEND
	;;#ASMSTART
	v_cvt_f32_f16 v36, v82;
	;;#ASMEND
	;; [unrolled: 3-line block ×4, first 2 shown]
	ds_read_b32 v82, v16 offset:24
	v_and_b32_e32 v84, 0xffff, v40
	v_fmac_f32_e32 v51, v36, v38
	v_and_b32_e32 v36, 0xffff, v31
	v_or_b32_e32 v38, v69, v70
	v_fma_mixlo_f16 v38, v26, v38, 0 op_sel_hi:[0,1,0]
	s_waitcnt lgkmcnt(0)
	v_and_b32_e32 v83, 0xffff, v82
	v_lshrrev_b32_e32 v82, 16, v82
	;;#ASMSTART
	v_cvt_f32_f16 v39, v83;
	;;#ASMEND
	;;#ASMSTART
	v_cvt_f32_f16 v40, v82;
	;;#ASMEND
	;; [unrolled: 3-line block ×4, first 2 shown]
	ds_read_b32 v84, v16 offset:28
	v_fmac_f32_e32 v51, v40, v83
	s_waitcnt lgkmcnt(0)
	v_and_b32_e32 v85, 0xffff, v84
	v_lshrrev_b32_e32 v84, 16, v84
	;;#ASMSTART
	v_cvt_f32_f16 v41, v85;
	;;#ASMEND
	;;#ASMSTART
	v_cvt_f32_f16 v42, v84;
	;;#ASMEND
	;; [unrolled: 3-line block ×4, first 2 shown]
	ds_read_b32 v88, v16 offset:32
	v_fmac_f32_e32 v51, v42, v85
	v_and_b32_e32 v42, 0xffff, v38
	s_waitcnt lgkmcnt(0)
	v_and_b32_e32 v89, 0xffff, v88
	v_lshrrev_b32_e32 v88, 16, v88
	;;#ASMSTART
	v_cvt_f32_f16 v43, v89;
	;;#ASMEND
	;;#ASMSTART
	v_cvt_f32_f16 v44, v88;
	;;#ASMEND
	;;#ASMSTART
	v_cvt_f32_f16 v88, v90;
	;;#ASMEND
	;;#ASMSTART
	v_cvt_f32_f16 v89, v91;
	;;#ASMEND
	ds_read_b32 v90, v16 offset:36
	v_fmac_f32_e32 v51, v44, v89
	s_waitcnt lgkmcnt(0)
	v_and_b32_e32 v91, 0xffff, v90
	v_lshrrev_b32_e32 v90, 16, v90
	;;#ASMSTART
	v_cvt_f32_f16 v45, v91;
	;;#ASMEND
	;;#ASMSTART
	v_cvt_f32_f16 v46, v90;
	;;#ASMEND
	;;#ASMSTART
	v_cvt_f32_f16 v90, v92;
	;;#ASMEND
	;;#ASMSTART
	v_cvt_f32_f16 v91, v93;
	;;#ASMEND
	ds_read_b32 v92, v16 offset:40
	v_fmac_f32_e32 v51, v46, v91
	;; [unrolled: 17-line block ×3, first 2 shown]
	s_waitcnt lgkmcnt(0)
	v_and_b32_e32 v95, 0xffff, v94
	v_lshrrev_b32_e32 v94, 16, v94
	;;#ASMSTART
	v_cvt_f32_f16 v49, v95;
	;;#ASMEND
	;;#ASMSTART
	v_cvt_f32_f16 v50, v94;
	;;#ASMEND
	;; [unrolled: 3-line block ×4, first 2 shown]
	ds_read_b32 v96, v16 offset:48
	v_fma_mixlo_f16 v97, v26, v53, 0 op_sel:[0,1,0] op_sel_hi:[0,1,0]
	v_mul_f32_e32 v53, v86, v87
	v_fmac_f32_e32 v51, v50, v95
	v_and_b32_e32 v97, 0xffff, v97
	v_fmac_f32_e32 v53, v76, v77
	v_fmac_f32_e32 v53, v79, v80
	;; [unrolled: 1-line block ×3, first 2 shown]
	s_waitcnt lgkmcnt(0)
	v_and_b32_e32 v86, 0xffff, v96
	v_lshrrev_b32_e32 v87, 16, v96
	v_and_b32_e32 v96, 0xffff, v54
	;;#ASMSTART
	v_cvt_f32_f16 v54, v86;
	;;#ASMEND
	;;#ASMSTART
	v_cvt_f32_f16 v76, v87;
	;;#ASMEND
	;; [unrolled: 3-line block ×4, first 2 shown]
	ds_read_b32 v87, v16 offset:52
	v_and_b32_e32 v97, 0xffff, v52
	v_fmac_f32_e32 v53, v32, v34
	v_fmac_f32_e32 v51, v76, v86
	;; [unrolled: 1-line block ×3, first 2 shown]
	v_and_b32_e32 v37, 0xffff, v29
	v_fmac_f32_e32 v53, v39, v82
	v_fma_mixlo_f16 v39, v26, v69, 0 op_sel:[0,1,0] op_sel_hi:[0,1,0]
	v_fmac_f32_e32 v53, v41, v84
	v_and_b32_e32 v40, 0xffff, v39
	s_waitcnt lgkmcnt(0)
	v_and_b32_e32 v96, 0xffff, v87
	v_lshrrev_b32_e32 v87, 16, v87
	;;#ASMSTART
	v_cvt_f32_f16 v52, v96;
	;;#ASMEND
	;;#ASMSTART
	v_cvt_f32_f16 v78, v87;
	;;#ASMEND
	;; [unrolled: 3-line block ×4, first 2 shown]
	ds_read_b32 v96, v16 offset:56
	v_and_b32_e32 v97, 0xffff, v57
	v_fmac_f32_e32 v53, v43, v88
	v_fmac_f32_e32 v51, v78, v87
	;; [unrolled: 1-line block ×5, first 2 shown]
	s_waitcnt lgkmcnt(0)
	v_and_b32_e32 v3, 0xffff, v96
	v_lshrrev_b32_e32 v27, 16, v96
	v_and_b32_e32 v96, 0xffff, v55
	;;#ASMSTART
	v_cvt_f32_f16 v3, v3;
	;;#ASMEND
	;;#ASMSTART
	v_cvt_f32_f16 v27, v27;
	;;#ASMEND
	;;#ASMSTART
	v_cvt_f32_f16 v55, v56;
	;;#ASMEND
	;;#ASMSTART
	v_cvt_f32_f16 v56, v96;
	;;#ASMEND
	ds_read_b32 v96, v16 offset:60
	v_fmac_f32_e32 v53, v54, v77
	v_fmac_f32_e32 v51, v27, v56
	v_fma_mixlo_f16 v27, v26, v71, 0 op_sel:[0,1,0] op_sel_hi:[0,1,0]
	v_fmac_f32_e32 v53, v52, v81
	v_fmac_f32_e32 v53, v3, v55
	v_or_b32_e32 v3, v71, v72
	v_fma_mixlo_f16 v3, v26, v3, 0 op_sel_hi:[0,1,0]
	s_waitcnt lgkmcnt(0)
	v_and_b32_e32 v79, 0xffff, v96
	v_lshrrev_b32_e32 v80, 16, v96
	v_and_b32_e32 v96, 0xffff, v58
	;;#ASMSTART
	v_cvt_f32_f16 v57, v79;
	;;#ASMEND
	;;#ASMSTART
	v_cvt_f32_f16 v58, v80;
	;;#ASMEND
	;; [unrolled: 3-line block ×4, first 2 shown]
	ds_read_b32 v96, v16 offset:64
	v_and_b32_e32 v97, 0xffff, v59
	v_fmac_f32_e32 v53, v57, v79
	v_fmac_f32_e32 v51, v58, v80
	v_and_b32_e32 v43, 0xffff, v3
	s_waitcnt lgkmcnt(0)
	v_and_b32_e32 v73, 0xffff, v96
	v_lshrrev_b32_e32 v75, 16, v96
	v_and_b32_e32 v96, 0xffff, v60
	;;#ASMSTART
	v_cvt_f32_f16 v59, v73;
	;;#ASMEND
	;;#ASMSTART
	v_cvt_f32_f16 v60, v75;
	;;#ASMEND
	;;#ASMSTART
	v_cvt_f32_f16 v73, v96;
	;;#ASMEND
	;;#ASMSTART
	v_cvt_f32_f16 v75, v97;
	;;#ASMEND
	ds_read_b32 v96, v16 offset:68
	v_fmac_f32_e32 v53, v59, v73
	v_fmac_f32_e32 v51, v60, v75
	s_waitcnt lgkmcnt(0)
	v_and_b32_e32 v33, 0xffff, v96
	v_lshrrev_b32_e32 v74, 16, v96
	v_and_b32_e32 v96, 0xffff, v61
	;;#ASMSTART
	v_cvt_f32_f16 v33, v33;
	;;#ASMEND
	;;#ASMSTART
	v_cvt_f32_f16 v61, v74;
	;;#ASMEND
	;;#ASMSTART
	v_cvt_f32_f16 v62, v62;
	;;#ASMEND
	;;#ASMSTART
	v_cvt_f32_f16 v74, v96;
	;;#ASMEND
	ds_read_b32 v96, v16 offset:72
	v_fmac_f32_e32 v53, v33, v62
	v_fmac_f32_e32 v51, v61, v74
	;; [unrolled: 19-line block ×3, first 2 shown]
	v_xor_b32_e32 v28, 2, v11
	v_and_b32_e32 v30, 0xffff, v10
	v_cmp_gt_i32_e64 s2, 32, v28
	s_waitcnt lgkmcnt(0)
	v_and_b32_e32 v32, 0xffff, v96
	v_lshrrev_b32_e32 v34, 16, v96
	v_and_b32_e32 v96, 0xffff, v65
	;;#ASMSTART
	v_cvt_f32_f16 v32, v32;
	;;#ASMEND
	;;#ASMSTART
	v_cvt_f32_f16 v34, v34;
	;;#ASMEND
	;; [unrolled: 3-line block ×4, first 2 shown]
	ds_read_b32 v96, v16 offset:80
	v_fmac_f32_e32 v53, v32, v65
	v_fmac_f32_e32 v51, v34, v66
	s_waitcnt lgkmcnt(0)
	v_and_b32_e32 v31, 0xffff, v96
	v_lshrrev_b32_e32 v35, 16, v96
	;;#ASMSTART
	v_cvt_f32_f16 v29, v31;
	;;#ASMEND
	;;#ASMSTART
	v_cvt_f32_f16 v31, v35;
	;;#ASMEND
	;; [unrolled: 3-line block ×4, first 2 shown]
	ds_read_b32 v37, v16 offset:84
	v_fmac_f32_e32 v53, v29, v35
	v_fmac_f32_e32 v51, v31, v36
	v_and_b32_e32 v29, 0xffff, v9
	v_cndmask_b32_e64 v9, v11, v28, s2
	s_waitcnt lgkmcnt(0)
	v_and_b32_e32 v39, 0xffff, v37
	v_lshrrev_b32_e32 v41, 16, v37
	;;#ASMSTART
	v_cvt_f32_f16 v37, v39;
	;;#ASMEND
	;;#ASMSTART
	v_cvt_f32_f16 v38, v41;
	;;#ASMEND
	;; [unrolled: 3-line block ×4, first 2 shown]
	ds_read_b32 v41, v16 offset:88
	v_and_b32_e32 v42, 0xffff, v27
	v_fmac_f32_e32 v53, v37, v39
	v_fmac_f32_e32 v51, v38, v40
	s_waitcnt lgkmcnt(0)
	v_and_b32_e32 v27, 0xffff, v41
	v_lshrrev_b32_e32 v41, 16, v41
	;;#ASMSTART
	v_cvt_f32_f16 v3, v27;
	;;#ASMEND
	;;#ASMSTART
	v_cvt_f32_f16 v27, v41;
	;;#ASMEND
	;; [unrolled: 3-line block ×4, first 2 shown]
	ds_read_b32 v42, v16 offset:92
	v_fmac_f32_e32 v53, v3, v33
	v_fmac_f32_e32 v51, v27, v41
	s_waitcnt lgkmcnt(0)
	v_and_b32_e32 v26, 0xffff, v42
	v_lshrrev_b32_e32 v28, 16, v42
	;;#ASMSTART
	v_cvt_f32_f16 v3, v26;
	;;#ASMEND
	;;#ASMSTART
	v_cvt_f32_f16 v10, v28;
	;;#ASMEND
	;; [unrolled: 3-line block ×4, first 2 shown]
	v_fmac_f32_e32 v53, v3, v26
	v_fmac_f32_e32 v51, v10, v27
	v_lshlrev_b32_e32 v3, 2, v9
	v_xor_b32_e32 v10, 1, v11
	v_add_f32_e32 v9, v53, v51
	v_cmp_gt_i32_e64 s2, 32, v10
	ds_bpermute_b32 v3, v3, v9
	v_cndmask_b32_e64 v10, v11, v10, s2
	s_waitcnt lgkmcnt(0)
	v_add_f32_e32 v3, v9, v3
	v_lshlrev_b32_e32 v9, 2, v10
	ds_bpermute_b32 v9, v9, v3
	s_and_saveexec_b32 s48, vcc_lo
	s_cbranch_execz .LBB268_11
; %bb.403:                              ;   in Loop: Header=BB268_13 Depth=1
	v_add_nc_u32_e32 v10, v22, v17
	s_waitcnt lgkmcnt(0)
	v_add_f32_e32 v3, v3, v9
	v_cvt_f32_i32_e32 v10, v10
	v_mul_f32_e32 v10, s43, v10
	v_cndmask_b32_e64 v9, 0, v10, s1
	v_max_f32_e32 v10, v14, v14
	v_fmac_f32_e32 v9, s41, v3
	v_add_nc_u32_e32 v3, v15, v17
	v_max_f32_e32 v10, v10, v9
	v_cmp_gt_i32_e64 s2, s31, v3
	v_cndmask_b32_e64 v3, 0, v9, s2
	v_cndmask_b32_e64 v14, v14, v10, s2
	ds_write_b32 v23, v3
	s_branch .LBB268_11
.LBB268_404:
	s_or_b32 exec_lo, exec_lo, s46
.LBB268_405:
	s_or_b32 exec_lo, exec_lo, s45
	v_xor_b32_e32 v3, 16, v11
	v_xor_b32_e32 v5, 8, v11
	v_max_f32_e32 v7, v14, v14
	v_cmp_gt_i32_e32 vcc_lo, 32, v3
	v_cndmask_b32_e32 v3, v11, v3, vcc_lo
	v_cmp_gt_i32_e32 vcc_lo, 32, v5
	v_lshlrev_b32_e32 v4, 2, v3
	v_cndmask_b32_e32 v5, v11, v5, vcc_lo
	ds_bpermute_b32 v3, v4, v14
	v_lshlrev_b32_e32 v6, 2, v5
	v_and_b32_e32 v14, 31, v0
	s_waitcnt lgkmcnt(0)
	v_max_f32_e32 v3, v3, v3
	v_max_f32_e32 v3, v7, v3
	v_xor_b32_e32 v7, 4, v11
	ds_bpermute_b32 v5, v6, v3
	v_cmp_gt_i32_e32 vcc_lo, 32, v7
	v_cndmask_b32_e32 v7, v11, v7, vcc_lo
	v_cmp_eq_u32_e32 vcc_lo, 0, v14
	v_lshlrev_b32_e32 v9, 2, v7
	v_lshlrev_b32_e32 v7, 2, v12
	s_waitcnt lgkmcnt(0)
	v_max_f32_e32 v5, v5, v5
	v_max_f32_e32 v3, v3, v5
	ds_bpermute_b32 v5, v9, v3
	s_and_saveexec_b32 s1, vcc_lo
	s_cbranch_execz .LBB268_407
; %bb.406:
	s_waitcnt lgkmcnt(0)
	v_max_f32_e32 v5, v5, v5
	v_max_f32_e32 v3, v3, v3
	;; [unrolled: 1-line block ×3, first 2 shown]
	ds_write_b32 v7, v3 offset:384
.LBB268_407:
	s_or_b32 exec_lo, exec_lo, s1
	v_cmp_gt_u32_e64 s1, 4, v14
	v_mov_b32_e32 v3, 0xff7fffff
	v_lshlrev_b32_e32 v8, 2, v14
	s_waitcnt lgkmcnt(0)
	s_barrier
	buffer_gl0_inv
	s_and_saveexec_b32 s2, s1
; %bb.408:
	ds_read_b32 v3, v8 offset:384
; %bb.409:
	s_or_b32 exec_lo, exec_lo, s2
	v_xor_b32_e32 v5, 2, v11
	v_xor_b32_e32 v15, 1, v11
	v_cmp_gt_i32_e64 s2, 32, v5
	v_cndmask_b32_e64 v5, v11, v5, s2
	v_cmp_gt_i32_e64 s2, 32, v15
	v_lshlrev_b32_e32 v10, 2, v5
	v_cndmask_b32_e64 v11, v11, v15, s2
	v_mov_b32_e32 v15, 0
	s_sub_i32 s2, s20, s44
	s_lshl_b32 s2, s2, 3
	s_waitcnt lgkmcnt(0)
	ds_bpermute_b32 v5, v10, v3
	v_max_f32_e32 v3, v3, v3
	v_lshlrev_b32_e32 v11, 2, v11
	s_add_i32 s2, s2, s33
	s_min_i32 s2, s2, s31
	s_sub_i32 s4, s2, s33
	v_cmp_gt_i32_e64 s2, s4, v0
	s_waitcnt lgkmcnt(0)
	v_max_f32_e32 v5, v5, v5
	v_max_f32_e32 v3, v3, v5
	ds_bpermute_b32 v5, v11, v3
	s_waitcnt lgkmcnt(0)
	v_max_f32_e32 v5, v5, v5
	v_max_f32_e32 v3, v3, v5
	v_lshl_add_u32 v5, v0, 2, 0x1a0
	ds_bpermute_b32 v3, v15, v3
	s_and_saveexec_b32 s5, s2
	s_cbranch_execz .LBB268_413
; %bb.410:
	v_lshl_add_u32 v16, v0, 2, 0x1a0
	v_mov_b32_e32 v15, 0
	v_mov_b32_e32 v17, v0
	s_mov_b32 s12, 0
	.p2align	6
.LBB268_411:                            ; =>This Inner Loop Header: Depth=1
	ds_read_b32 v18, v16
	v_add_nc_u32_e32 v17, 0x80, v17
	v_cmp_le_i32_e64 s3, s4, v17
	s_or_b32 s12, s3, s12
	s_waitcnt lgkmcnt(0)
	v_sub_f32_e32 v18, v18, v3
	v_mul_f32_e32 v18, 0x3fb8aa3b, v18
	v_exp_f32_e32 v18, v18
	ds_write_b32 v16, v18
	v_add_f32_e32 v15, v15, v18
	v_add_nc_u32_e32 v16, 0x200, v16
	s_andn2_b32 exec_lo, exec_lo, s12
	s_cbranch_execnz .LBB268_411
; %bb.412:
	s_or_b32 exec_lo, exec_lo, s12
.LBB268_413:
	s_or_b32 exec_lo, exec_lo, s5
	ds_bpermute_b32 v4, v4, v15
	s_waitcnt lgkmcnt(0)
	v_add_f32_e32 v4, v15, v4
	ds_bpermute_b32 v6, v6, v4
	s_waitcnt lgkmcnt(0)
	v_add_f32_e32 v4, v4, v6
	;; [unrolled: 3-line block ×5, first 2 shown]
	s_and_saveexec_b32 s3, vcc_lo
; %bb.414:
	ds_write_b32 v7, v4 offset:400
; %bb.415:
	s_or_b32 exec_lo, exec_lo, s3
	s_waitcnt lgkmcnt(0)
	s_barrier
	buffer_gl0_inv
	s_and_saveexec_b32 s3, s1
; %bb.416:
	ds_read_b32 v4, v8 offset:400
; %bb.417:
	s_or_b32 exec_lo, exec_lo, s3
	s_waitcnt lgkmcnt(0)
	ds_bpermute_b32 v6, v10, v4
	s_waitcnt lgkmcnt(0)
	v_add_f32_e32 v4, v4, v6
	ds_bpermute_b32 v6, v11, v4
	s_waitcnt lgkmcnt(0)
	v_add_f32_e32 v4, v4, v6
	v_mov_b32_e32 v6, 0
	ds_bpermute_b32 v4, v6, v4
	s_and_saveexec_b32 s1, s2
	s_cbranch_execz .LBB268_420
; %bb.418:
	s_waitcnt lgkmcnt(0)
	v_add_f32_e32 v6, 0x358637bd, v4
	s_mov_b32 s2, 0
	v_div_scale_f32 v7, null, v6, v6, 1.0
	v_div_scale_f32 v10, vcc_lo, 1.0, v6, 1.0
	v_rcp_f32_e32 v8, v7
	v_fma_f32 v9, -v7, v8, 1.0
	v_fmac_f32_e32 v8, v9, v8
	v_mul_f32_e32 v9, v10, v8
	v_fma_f32 v11, -v7, v9, v10
	v_fmac_f32_e32 v9, v11, v8
	v_fma_f32 v7, -v7, v9, v10
	v_div_fmas_f32 v7, v7, v8, v9
	v_div_fixup_f32 v6, v7, v6, 1.0
	v_mov_b32_e32 v7, v0
.LBB268_419:                            ; =>This Inner Loop Header: Depth=1
	ds_read_b32 v8, v5
	v_add_nc_u32_e32 v7, 0x80, v7
	v_cmp_le_i32_e32 vcc_lo, s4, v7
	s_or_b32 s2, vcc_lo, s2
	s_waitcnt lgkmcnt(0)
	v_mul_f32_e32 v8, v6, v8
	ds_write_b32 v5, v8
	v_add_nc_u32_e32 v5, 0x200, v5
	s_andn2_b32 exec_lo, exec_lo, s2
	s_cbranch_execnz .LBB268_419
.LBB268_420:
	s_or_b32 exec_lo, exec_lo, s1
	s_mul_i32 s1, s7, s30
	s_waitcnt lgkmcnt(0)
	s_mul_i32 s2, s1, s9
	s_mov_b32 s1, exec_lo
	s_barrier
	buffer_gl0_inv
	v_cmpx_eq_u32_e32 0, v0
	s_cbranch_execz .LBB268_422
; %bb.421:
	s_ashr_i32 s3, s2, 31
	s_mul_i32 s12, s7, s6
	s_lshl_b64 s[4:5], s[2:3], 2
	v_mov_b32_e32 v5, 0
	s_add_u32 s3, s26, s4
	s_addc_u32 s6, s27, s5
	s_ashr_i32 s13, s12, 31
	s_lshl_b64 s[12:13], s[12:13], 2
	s_add_u32 s3, s3, s12
	s_addc_u32 s6, s6, s13
	s_ashr_i32 s9, s8, 31
	s_lshl_b64 s[26:27], s[8:9], 2
	s_add_u32 s44, s3, s26
	s_addc_u32 s45, s6, s27
	s_add_u32 s3, s24, s4
	s_addc_u32 s4, s25, s5
	;; [unrolled: 2-line block ×4, first 2 shown]
	global_store_dword v5, v3, s[44:45]
	global_store_dword v5, v4, s[4:5]
.LBB268_422:
	s_or_b32 exec_lo, exec_lo, s1
	v_mov_b32_e32 v20, 0
	v_mov_b32_e32 v19, 0
	;; [unrolled: 1-line block ×6, first 2 shown]
	s_and_saveexec_b32 s1, s0
	s_cbranch_execz .LBB268_824
; %bb.423:
	s_sub_i32 s3, s42, s21
	s_ashr_i32 s0, s18, 31
	s_add_u32 s12, s38, s18
	s_addc_u32 s0, s39, s0
	s_abs_i32 s6, s22
	v_lshlrev_b64 v[6:7], 2, v[1:2]
	v_cvt_f32_u32_e32 v3, s6
	s_sub_i32 s4, 0, s6
	v_lshlrev_b32_e32 v4, 3, v14
	s_add_i32 s40, s40, -1
	v_lshl_add_u32 v21, v12, 5, 0x1a0
	v_rcp_iflag_f32_e32 v3, v3
	v_mov_b32_e32 v22, 0x80
	v_add_co_u32 v4, s12, s12, v4
	v_mov_b32_e32 v23, 0x7f
	v_mov_b32_e32 v24, 7
	;; [unrolled: 1-line block ×6, first 2 shown]
	v_mul_f32_e32 v5, 0x4f7ffffe, v3
	v_mov_b32_e32 v3, 0
	v_mov_b32_e32 v18, 0
	v_mov_b32_e32 v19, 0
	v_mov_b32_e32 v20, 0
	v_cvt_u32_f32_e32 v2, v5
	s_mov_b32 s9, s17
	v_mul_lo_u32 v5, s4, v2
	s_lshl_b64 s[4:5], s[36:37], 2
	v_mul_hi_u32 v8, v2, v5
	v_add_co_ci_u32_e64 v5, null, s0, 0, s12
	s_add_u32 s0, s34, s4
	s_addc_u32 s4, s35, s5
	v_add_co_u32 v6, vcc_lo, s0, v6
	v_add_co_ci_u32_e64 v7, null, s4, v7, vcc_lo
	v_add_nc_u32_e32 v26, v2, v8
	s_mov_b32 s4, -1
	s_mov_b32 s5, 0xffffff
	s_mov_b32 s12, 0
	s_branch .LBB268_426
.LBB268_424:                            ;   in Loop: Header=BB268_426 Depth=1
	s_or_b32 exec_lo, exec_lo, s0
	v_add_f32_e32 v10, v10, v11
	;;#ASMSTART
	v_pk_mul_f16 v27, v39, v46;

	;;#ASMEND
	;;#ASMSTART
	v_pk_mul_f16 v9, v38, v9;

	;;#ASMEND
	;;#ASMSTART
	v_pk_mul_f16 v8, v37, v8;

	;;#ASMEND
	;;#ASMSTART
	v_pk_mul_f16 v2, v36, v2;

	;;#ASMEND
	v_add_f32_e32 v16, v16, v10
	;;#ASMSTART
	v_pk_add_f16 v9, v27, v9;

	;;#ASMEND
	;;#ASMSTART
	v_pk_add_f16 v8, v9, v8;

	;;#ASMEND
	;;#ASMSTART
	v_pk_add_f16 v2, v8, v2;

	;;#ASMEND
	v_and_b32_e32 v10, 0xffff, v2
	v_lshrrev_b32_e32 v27, 16, v2
	;;#ASMSTART
	v_cvt_f32_f16 v10, v10;
	;;#ASMEND
	v_add_f32_e32 v11, v44, v45
	v_add_f32_e32 v2, v42, v43
	;; [unrolled: 1-line block ×4, first 2 shown]
	;;#ASMSTART
	v_cvt_f32_f16 v27, v27;
	;;#ASMEND
	v_add_f32_e32 v10, v10, v27
	v_add_f32_e32 v17, v17, v11
	;; [unrolled: 1-line block ×6, first 2 shown]
.LBB268_425:                            ;   in Loop: Header=BB268_426 Depth=1
	s_or_b32 exec_lo, exec_lo, s13
	v_add_nc_u32_e32 v1, 4, v1
	v_add_co_u32 v6, s0, v6, 16
	v_add_co_ci_u32_e64 v7, null, 0, v7, s0
	v_cmp_le_i32_e32 vcc_lo, s20, v1
	v_add_nc_u32_e32 v13, 32, v13
	v_add_nc_u32_e32 v21, 0x80, v21
	s_or_b32 s12, vcc_lo, s12
	s_andn2_b32 exec_lo, exec_lo, s12
	s_cbranch_execz .LBB268_823
.LBB268_426:                            ; =>This Inner Loop Header: Depth=1
	v_sub_nc_u32_e32 v2, 0, v13
	v_max_i32_e32 v2, v13, v2
	v_mul_hi_u32 v8, v2, s16
	v_mul_lo_u32 v9, v8, s11
	v_sub_nc_u32_e32 v2, v2, v9
	v_add_nc_u32_e32 v9, 1, v8
	v_subrev_nc_u32_e32 v10, s11, v2
	v_cmp_le_u32_e32 vcc_lo, s11, v2
	v_cndmask_b32_e32 v8, v8, v9, vcc_lo
	v_cndmask_b32_e32 v2, v2, v10, vcc_lo
	v_ashrrev_i32_e32 v9, 31, v13
	v_add_nc_u32_e32 v10, 1, v8
	v_cmp_le_u32_e32 vcc_lo, s11, v2
	v_xor_b32_e32 v9, s23, v9
	v_cndmask_b32_e32 v2, v8, v10, vcc_lo
	v_xor_b32_e32 v2, v2, v9
	v_sub_nc_u32_e32 v2, v2, v9
	v_add_nc_u32_e32 v8, s19, v2
	v_cmp_lt_i32_e64 s0, s3, v2
	v_sub_nc_u32_e32 v9, 0, v8
	v_max_i32_e32 v9, v8, v9
	v_ashrrev_i32_e32 v8, 31, v8
	v_mul_hi_u32 v10, v9, v26
	v_mul_lo_u32 v10, v10, s6
	v_sub_nc_u32_e32 v9, v9, v10
	v_subrev_nc_u32_e32 v10, s6, v9
	v_cmp_le_u32_e32 vcc_lo, s6, v9
	v_cndmask_b32_e32 v9, v9, v10, vcc_lo
	v_subrev_nc_u32_e32 v10, s6, v9
	v_cmp_le_u32_e32 vcc_lo, s6, v9
	v_cndmask_b32_e32 v9, v9, v10, vcc_lo
	v_xor_b32_e32 v9, v9, v8
	v_sub_nc_u32_e32 v8, v9, v8
	v_cmp_eq_u32_e32 vcc_lo, 0, v8
	s_or_b32 s0, vcc_lo, s0
	s_and_saveexec_b32 s13, s0
	s_cbranch_execz .LBB268_425
; %bb.427:                              ;   in Loop: Header=BB268_426 Depth=1
	global_load_dword v2, v[6:7], off
	ds_read2_b64 v[27:30], v21 offset1:1
	ds_read2_b64 v[39:42], v21 offset0:2 offset1:3
	s_waitcnt lgkmcnt(1)
	;;#ASMSTART
	v_cvt_f16_f32 v34, v27;

	;;#ASMEND
	;;#ASMSTART
	v_cvt_f16_f32 v35, v28;

	;;#ASMEND
	;; [unrolled: 4-line block ×4, first 2 shown]
	s_waitcnt lgkmcnt(0)
	;;#ASMSTART
	v_cvt_f16_f32 v39, v39;

	;;#ASMEND
	;;#ASMSTART
	v_cvt_f16_f32 v37, v40;

	;;#ASMEND
	;; [unrolled: 4-line block ×4, first 2 shown]
	v_mov_b32_e32 v28, 0
	v_mov_b32_e32 v29, 0
	global_load_dword v27, v28, s[14:15]
	s_waitcnt vmcnt(1)
	v_mad_i64_i32 v[8:9], null, v2, s9, v[4:5]
	global_load_dwordx2 v[10:11], v[8:9], off
	s_waitcnt vmcnt(0)
	v_cmp_ne_u16_sdwa s17, v10, v3 src0_sel:BYTE_0 src1_sel:DWORD
	s_and_saveexec_b32 s0, s17
	s_cbranch_execz .LBB268_435
; %bb.428:                              ;   in Loop: Header=BB268_426 Depth=1
	v_cmp_ne_u16_sdwa s18, v10, v22 src0_sel:BYTE_0 src1_sel:DWORD
	v_mov_b32_e32 v29, 0x8000
	s_and_saveexec_b32 s17, s18
	s_cbranch_execz .LBB268_434
; %bb.429:                              ;   in Loop: Header=BB268_426 Depth=1
	v_and_b32_e32 v30, 0x7f, v10
	v_mov_b32_e32 v29, 0x7c01
	s_mov_b32 s18, exec_lo
	v_cmpx_ne_u32_e32 0x7f, v30
	s_cbranch_execz .LBB268_433
; %bb.430:                              ;   in Loop: Header=BB268_426 Depth=1
	v_and_b32_e32 v2, 7, v10
	v_lshrrev_b32_e32 v29, 3, v30
	s_mov_b32 s21, exec_lo
	v_cmpx_gt_u32_e32 8, v30
; %bb.431:                              ;   in Loop: Header=BB268_426 Depth=1
	v_ffbh_u32_e32 v2, v2
	v_min_u32_e32 v2, 32, v2
	v_subrev_nc_u32_e32 v29, 28, v2
	v_lshlrev_b64 v[30:31], v29, v[10:11]
	v_sub_nc_u32_e32 v29, 29, v2
	v_and_b32_e32 v2, 7, v30
; %bb.432:                              ;   in Loop: Header=BB268_426 Depth=1
	s_or_b32 exec_lo, exec_lo, s21
	v_lshlrev_b32_e32 v30, 8, v10
	v_lshl_add_u32 v29, v29, 10, 0x2000
	v_lshlrev_b32_e32 v2, 7, v2
	v_and_b32_e32 v30, 0x8000, v30
	v_and_b32_e32 v29, 0xfc00, v29
	v_or3_b32 v29, v30, v29, v2
.LBB268_433:                            ;   in Loop: Header=BB268_426 Depth=1
	s_or_b32 exec_lo, exec_lo, s18
.LBB268_434:                            ;   in Loop: Header=BB268_426 Depth=1
	s_or_b32 exec_lo, exec_lo, s17
.LBB268_435:                            ;   in Loop: Header=BB268_426 Depth=1
	s_or_b32 exec_lo, exec_lo, s0
	v_lshrrev_b16 v2, 8, v10
	s_mov_b32 s0, exec_lo
	v_cmpx_ne_u16_e32 0, v2
	s_cbranch_execz .LBB268_443
; %bb.436:                              ;   in Loop: Header=BB268_426 Depth=1
	v_bfrev_b32_e32 v28, 1
	s_mov_b32 s17, exec_lo
	v_cmpx_ne_u16_e32 0x80, v2
	s_cbranch_execz .LBB268_442
; %bb.437:                              ;   in Loop: Header=BB268_426 Depth=1
	v_and_b32_sdwa v31, v2, v23 dst_sel:DWORD dst_unused:UNUSED_PAD src0_sel:WORD_0 src1_sel:DWORD
	v_mov_b32_e32 v28, 0x7c010000
	s_mov_b32 s18, exec_lo
	v_cmpx_ne_u32_e32 0x7f, v31
	s_cbranch_execz .LBB268_441
; %bb.438:                              ;   in Loop: Header=BB268_426 Depth=1
	v_and_b32_sdwa v28, v2, v24 dst_sel:DWORD dst_unused:UNUSED_PAD src0_sel:WORD_0 src1_sel:DWORD
	v_lshrrev_b32_e32 v30, 3, v31
	s_mov_b32 s21, exec_lo
	v_cmpx_gt_u32_e32 8, v31
; %bb.439:                              ;   in Loop: Header=BB268_426 Depth=1
	v_ffbh_u32_e32 v28, v28
	v_min_u32_e32 v28, 32, v28
	v_subrev_nc_u32_e32 v30, 28, v28
	v_lshlrev_b64 v[31:32], v30, v[2:3]
	v_sub_nc_u32_e32 v30, 29, v28
	v_and_b32_e32 v28, 7, v31
; %bb.440:                              ;   in Loop: Header=BB268_426 Depth=1
	s_or_b32 exec_lo, exec_lo, s21
	v_lshlrev_b32_sdwa v2, v25, v2 dst_sel:DWORD dst_unused:UNUSED_PAD src0_sel:DWORD src1_sel:WORD_0
	v_lshl_add_u32 v30, v30, 10, 0x2000
	v_lshlrev_b32_e32 v28, 23, v28
	v_and_or_b32 v2, 0x8000, v2, v30
	v_lshl_or_b32 v28, v2, 16, v28
.LBB268_441:                            ;   in Loop: Header=BB268_426 Depth=1
	s_or_b32 exec_lo, exec_lo, s18
.LBB268_442:                            ;   in Loop: Header=BB268_426 Depth=1
	s_or_b32 exec_lo, exec_lo, s17
.LBB268_443:                            ;   in Loop: Header=BB268_426 Depth=1
	s_or_b32 exec_lo, exec_lo, s0
	v_lshrrev_b32_e32 v2, 16, v10
	v_mov_b32_e32 v30, 0
	v_mov_b32_e32 v31, 0
	v_cmp_ne_u16_sdwa s17, v2, v3 src0_sel:BYTE_0 src1_sel:DWORD
	s_and_saveexec_b32 s0, s17
	s_cbranch_execz .LBB268_451
; %bb.444:                              ;   in Loop: Header=BB268_426 Depth=1
	v_cmp_ne_u16_sdwa s18, v2, v22 src0_sel:BYTE_0 src1_sel:DWORD
	v_mov_b32_e32 v31, 0x8000
	s_and_saveexec_b32 s17, s18
	s_cbranch_execz .LBB268_450
; %bb.445:                              ;   in Loop: Header=BB268_426 Depth=1
	v_bfe_u32 v33, v10, 16, 7
	v_mov_b32_e32 v31, 0x7c01
	s_mov_b32 s18, exec_lo
	v_cmpx_ne_u32_e32 0x7f, v33
	s_cbranch_execz .LBB268_449
; %bb.446:                              ;   in Loop: Header=BB268_426 Depth=1
	v_and_b32_e32 v31, 7, v2
	v_lshrrev_b32_e32 v32, 3, v33
	s_mov_b32 s21, exec_lo
	v_cmpx_gt_u32_e32 8, v33
; %bb.447:                              ;   in Loop: Header=BB268_426 Depth=1
	v_ffbh_u32_e32 v31, v31
	v_min_u32_e32 v33, 32, v31
	v_subrev_nc_u32_e32 v31, 28, v33
	v_lshlrev_b64 v[31:32], v31, v[2:3]
	v_sub_nc_u32_e32 v32, 29, v33
	v_and_b32_e32 v31, 7, v31
; %bb.448:                              ;   in Loop: Header=BB268_426 Depth=1
	s_or_b32 exec_lo, exec_lo, s21
	v_lshlrev_b32_e32 v2, 8, v2
	v_lshl_add_u32 v32, v32, 10, 0x2000
	v_lshlrev_b32_e32 v31, 7, v31
	v_and_b32_e32 v2, 0x8000, v2
	v_and_b32_e32 v32, 0xfc00, v32
	v_or3_b32 v31, v2, v32, v31
.LBB268_449:                            ;   in Loop: Header=BB268_426 Depth=1
	s_or_b32 exec_lo, exec_lo, s18
.LBB268_450:                            ;   in Loop: Header=BB268_426 Depth=1
	s_or_b32 exec_lo, exec_lo, s17
.LBB268_451:                            ;   in Loop: Header=BB268_426 Depth=1
	s_or_b32 exec_lo, exec_lo, s0
	s_mov_b32 s0, exec_lo
	v_cmpx_lt_u32_e32 0xffffff, v10
	s_cbranch_execz .LBB268_459
; %bb.452:                              ;   in Loop: Header=BB268_426 Depth=1
	v_lshrrev_b32_e32 v2, 24, v10
	v_bfrev_b32_e32 v30, 1
	s_mov_b32 s17, exec_lo
	v_cmpx_ne_u32_e32 0x80, v2
	s_cbranch_execz .LBB268_458
; %bb.453:                              ;   in Loop: Header=BB268_426 Depth=1
	v_and_b32_e32 v33, 0x7f, v2
	v_mov_b32_e32 v30, 0x7c010000
	s_mov_b32 s18, exec_lo
	v_cmpx_ne_u32_e32 0x7f, v33
	s_cbranch_execz .LBB268_457
; %bb.454:                              ;   in Loop: Header=BB268_426 Depth=1
	v_and_b32_e32 v30, 7, v2
	v_lshrrev_b32_e32 v32, 3, v33
	s_mov_b32 s21, exec_lo
	v_cmpx_gt_u32_e32 8, v33
; %bb.455:                              ;   in Loop: Header=BB268_426 Depth=1
	v_ffbh_u32_e32 v30, v30
	v_min_u32_e32 v30, 32, v30
	v_subrev_nc_u32_e32 v32, 28, v30
	v_lshlrev_b64 v[42:43], v32, v[2:3]
	v_sub_nc_u32_e32 v32, 29, v30
	v_and_b32_e32 v30, 7, v42
; %bb.456:                              ;   in Loop: Header=BB268_426 Depth=1
	s_or_b32 exec_lo, exec_lo, s21
	v_lshlrev_b32_e32 v2, 8, v2
	v_lshl_add_u32 v32, v32, 10, 0x2000
	v_lshlrev_b32_e32 v30, 23, v30
	v_and_or_b32 v2, 0x8000, v2, v32
	v_lshl_or_b32 v30, v2, 16, v30
.LBB268_457:                            ;   in Loop: Header=BB268_426 Depth=1
	s_or_b32 exec_lo, exec_lo, s18
.LBB268_458:                            ;   in Loop: Header=BB268_426 Depth=1
	s_or_b32 exec_lo, exec_lo, s17
.LBB268_459:                            ;   in Loop: Header=BB268_426 Depth=1
	s_or_b32 exec_lo, exec_lo, s0
	v_mov_b32_e32 v2, v11
	v_cmp_ne_u16_sdwa s17, v11, v3 src0_sel:BYTE_0 src1_sel:DWORD
	v_mov_b32_e32 v32, 0
	v_mov_b32_e32 v33, 0
	s_and_saveexec_b32 s0, s17
	s_cbranch_execz .LBB268_467
; %bb.460:                              ;   in Loop: Header=BB268_426 Depth=1
	v_cmp_ne_u16_sdwa s18, v11, v22 src0_sel:BYTE_0 src1_sel:DWORD
	v_mov_b32_e32 v33, 0x8000
	s_and_saveexec_b32 s17, s18
	s_cbranch_execz .LBB268_466
; %bb.461:                              ;   in Loop: Header=BB268_426 Depth=1
	v_and_b32_e32 v43, 0x7f, v11
	v_mov_b32_e32 v33, 0x7c01
	s_mov_b32 s18, exec_lo
	v_cmpx_ne_u32_e32 0x7f, v43
	s_cbranch_execz .LBB268_465
; %bb.462:                              ;   in Loop: Header=BB268_426 Depth=1
	v_and_b32_e32 v33, 7, v11
	v_lshrrev_b32_e32 v42, 3, v43
	s_mov_b32 s21, exec_lo
	v_cmpx_gt_u32_e32 8, v43
; %bb.463:                              ;   in Loop: Header=BB268_426 Depth=1
	v_ffbh_u32_e32 v33, v33
	v_min_u32_e32 v33, 32, v33
	v_subrev_nc_u32_e32 v42, 28, v33
	v_lshlrev_b64 v[43:44], v42, v[2:3]
	v_sub_nc_u32_e32 v42, 29, v33
	v_and_b32_e32 v33, 7, v43
; %bb.464:                              ;   in Loop: Header=BB268_426 Depth=1
	s_or_b32 exec_lo, exec_lo, s21
	v_lshlrev_b32_e32 v43, 8, v11
	v_lshl_add_u32 v42, v42, 10, 0x2000
	v_lshlrev_b32_e32 v33, 7, v33
	v_and_b32_e32 v43, 0x8000, v43
	v_and_b32_e32 v42, 0xfc00, v42
	v_or3_b32 v33, v43, v42, v33
.LBB268_465:                            ;   in Loop: Header=BB268_426 Depth=1
	s_or_b32 exec_lo, exec_lo, s18
.LBB268_466:                            ;   in Loop: Header=BB268_426 Depth=1
	s_or_b32 exec_lo, exec_lo, s17
.LBB268_467:                            ;   in Loop: Header=BB268_426 Depth=1
	s_or_b32 exec_lo, exec_lo, s0
	v_lshrrev_b16 v2, 8, v2
	v_mov_b32_e32 v42, 0
	s_mov_b32 s0, exec_lo
	v_cmpx_ne_u16_e32 0, v2
	s_cbranch_execz .LBB268_475
; %bb.468:                              ;   in Loop: Header=BB268_426 Depth=1
	v_bfrev_b32_e32 v42, 1
	s_mov_b32 s17, exec_lo
	v_cmpx_ne_u16_e32 0x80, v2
	s_cbranch_execz .LBB268_474
; %bb.469:                              ;   in Loop: Header=BB268_426 Depth=1
	v_and_b32_sdwa v44, v2, v23 dst_sel:DWORD dst_unused:UNUSED_PAD src0_sel:WORD_0 src1_sel:DWORD
	v_mov_b32_e32 v42, 0x7c010000
	s_mov_b32 s18, exec_lo
	v_cmpx_ne_u32_e32 0x7f, v44
	s_cbranch_execz .LBB268_473
; %bb.470:                              ;   in Loop: Header=BB268_426 Depth=1
	v_and_b32_sdwa v42, v2, v24 dst_sel:DWORD dst_unused:UNUSED_PAD src0_sel:WORD_0 src1_sel:DWORD
	v_lshrrev_b32_e32 v43, 3, v44
	s_mov_b32 s21, exec_lo
	v_cmpx_gt_u32_e32 8, v44
; %bb.471:                              ;   in Loop: Header=BB268_426 Depth=1
	v_ffbh_u32_e32 v42, v42
	v_min_u32_e32 v44, 32, v42
	v_subrev_nc_u32_e32 v42, 28, v44
	v_lshlrev_b64 v[42:43], v42, v[2:3]
	v_sub_nc_u32_e32 v43, 29, v44
	v_and_b32_e32 v42, 7, v42
; %bb.472:                              ;   in Loop: Header=BB268_426 Depth=1
	s_or_b32 exec_lo, exec_lo, s21
	v_lshlrev_b32_sdwa v2, v25, v2 dst_sel:DWORD dst_unused:UNUSED_PAD src0_sel:DWORD src1_sel:WORD_0
	v_lshl_add_u32 v43, v43, 10, 0x2000
	v_lshlrev_b32_e32 v42, 23, v42
	v_and_or_b32 v2, 0x8000, v2, v43
	v_lshl_or_b32 v42, v2, 16, v42
.LBB268_473:                            ;   in Loop: Header=BB268_426 Depth=1
	s_or_b32 exec_lo, exec_lo, s18
.LBB268_474:                            ;   in Loop: Header=BB268_426 Depth=1
	s_or_b32 exec_lo, exec_lo, s17
.LBB268_475:                            ;   in Loop: Header=BB268_426 Depth=1
	s_or_b32 exec_lo, exec_lo, s0
	v_lshrrev_b32_e32 v2, 16, v11
	v_cmp_ne_u16_sdwa s17, v2, v3 src0_sel:BYTE_0 src1_sel:DWORD
	s_and_saveexec_b32 s0, s17
	s_cbranch_execz .LBB268_483
; %bb.476:                              ;   in Loop: Header=BB268_426 Depth=1
	v_cmp_ne_u16_sdwa s18, v2, v22 src0_sel:BYTE_0 src1_sel:DWORD
	v_mov_b32_e32 v32, 0x8000
	s_and_saveexec_b32 s17, s18
	s_cbranch_execz .LBB268_482
; %bb.477:                              ;   in Loop: Header=BB268_426 Depth=1
	v_bfe_u32 v44, v11, 16, 7
	v_mov_b32_e32 v32, 0x7c01
	s_mov_b32 s18, exec_lo
	v_cmpx_ne_u32_e32 0x7f, v44
	s_cbranch_execz .LBB268_481
; %bb.478:                              ;   in Loop: Header=BB268_426 Depth=1
	v_and_b32_e32 v32, 7, v2
	v_lshrrev_b32_e32 v43, 3, v44
	s_mov_b32 s21, exec_lo
	v_cmpx_gt_u32_e32 8, v44
; %bb.479:                              ;   in Loop: Header=BB268_426 Depth=1
	v_ffbh_u32_e32 v32, v32
	v_min_u32_e32 v32, 32, v32
	v_subrev_nc_u32_e32 v43, 28, v32
	v_lshlrev_b64 v[44:45], v43, v[2:3]
	v_sub_nc_u32_e32 v43, 29, v32
	v_and_b32_e32 v32, 7, v44
; %bb.480:                              ;   in Loop: Header=BB268_426 Depth=1
	s_or_b32 exec_lo, exec_lo, s21
	v_lshlrev_b32_e32 v2, 8, v2
	v_lshl_add_u32 v43, v43, 10, 0x2000
	v_lshlrev_b32_e32 v32, 7, v32
	v_and_b32_e32 v2, 0x8000, v2
	v_and_b32_e32 v43, 0xfc00, v43
	v_or3_b32 v32, v2, v43, v32
.LBB268_481:                            ;   in Loop: Header=BB268_426 Depth=1
	s_or_b32 exec_lo, exec_lo, s18
.LBB268_482:                            ;   in Loop: Header=BB268_426 Depth=1
	s_or_b32 exec_lo, exec_lo, s17
.LBB268_483:                            ;   in Loop: Header=BB268_426 Depth=1
	s_or_b32 exec_lo, exec_lo, s0
	v_cmp_lt_u64_e32 vcc_lo, s[4:5], v[10:11]
	v_mov_b32_e32 v10, 0
	s_and_saveexec_b32 s0, vcc_lo
	s_cbranch_execz .LBB268_491
; %bb.484:                              ;   in Loop: Header=BB268_426 Depth=1
	v_lshrrev_b32_e32 v2, 24, v11
	v_bfrev_b32_e32 v10, 1
	s_mov_b32 s17, exec_lo
	v_cmpx_ne_u32_e32 0x80, v2
	s_cbranch_execz .LBB268_490
; %bb.485:                              ;   in Loop: Header=BB268_426 Depth=1
	v_and_b32_e32 v43, 0x7f, v2
	v_mov_b32_e32 v10, 0x7c010000
	s_mov_b32 s18, exec_lo
	v_cmpx_ne_u32_e32 0x7f, v43
	s_cbranch_execz .LBB268_489
; %bb.486:                              ;   in Loop: Header=BB268_426 Depth=1
	v_and_b32_e32 v10, 7, v2
	v_lshrrev_b32_e32 v11, 3, v43
	s_mov_b32 s21, exec_lo
	v_cmpx_gt_u32_e32 8, v43
; %bb.487:                              ;   in Loop: Header=BB268_426 Depth=1
	v_ffbh_u32_e32 v10, v10
	v_min_u32_e32 v43, 32, v10
	v_subrev_nc_u32_e32 v10, 28, v43
	v_lshlrev_b64 v[10:11], v10, v[2:3]
	v_sub_nc_u32_e32 v11, 29, v43
	v_and_b32_e32 v10, 7, v10
; %bb.488:                              ;   in Loop: Header=BB268_426 Depth=1
	s_or_b32 exec_lo, exec_lo, s21
	v_lshlrev_b32_e32 v2, 8, v2
	v_lshl_add_u32 v11, v11, 10, 0x2000
	v_lshlrev_b32_e32 v10, 23, v10
	v_and_or_b32 v2, 0x8000, v2, v11
	v_lshl_or_b32 v10, v2, 16, v10
.LBB268_489:                            ;   in Loop: Header=BB268_426 Depth=1
	s_or_b32 exec_lo, exec_lo, s18
.LBB268_490:                            ;   in Loop: Header=BB268_426 Depth=1
	s_or_b32 exec_lo, exec_lo, s17
.LBB268_491:                            ;   in Loop: Header=BB268_426 Depth=1
	s_or_b32 exec_lo, exec_lo, s0
	v_or_b32_e32 v2, v30, v31
	v_fma_mixlo_f16 v11, v27, v30, 0 op_sel:[0,1,0] op_sel_hi:[0,1,0]
	v_or_b32_e32 v29, v28, v29
	v_fma_mixlo_f16 v28, v27, v28, 0 op_sel:[0,1,0] op_sel_hi:[0,1,0]
	v_or_b32_e32 v30, v42, v33
	v_fma_mixlo_f16 v2, v27, v2, 0 op_sel_hi:[0,1,0]
	v_or_b32_e32 v31, v10, v32
	v_fma_mixlo_f16 v10, v27, v10, 0 op_sel:[0,1,0] op_sel_hi:[0,1,0]
	v_lshlrev_b32_e32 v48, 16, v28
	v_fma_mixlo_f16 v28, v27, v29, 0 op_sel_hi:[0,1,0]
	v_and_b32_e32 v45, 0xffff, v2
	v_fma_mixlo_f16 v2, v27, v42, 0 op_sel:[0,1,0] op_sel_hi:[0,1,0]
	v_fma_mixlo_f16 v29, v27, v30, 0 op_sel_hi:[0,1,0]
	v_fma_mixlo_f16 v27, v27, v31, 0 op_sel_hi:[0,1,0]
	v_lshlrev_b32_e32 v11, 16, v11
	v_and_b32_e32 v50, 0xffff, v28
	v_lshlrev_b32_e32 v46, 16, v2
	v_and_b32_e32 v49, 0xffff, v29
	;; [unrolled: 2-line block ×3, first 2 shown]
	v_cmp_eq_u32_e32 vcc_lo, s40, v1
	v_or_b32_e32 v2, v11, v45
	v_or_b32_e32 v10, v48, v50
	;; [unrolled: 1-line block ×4, first 2 shown]
	v_add_nc_u32_e32 v33, 1, v13
	v_add_nc_u32_e32 v32, 2, v13
	;; [unrolled: 1-line block ×7, first 2 shown]
	s_and_saveexec_b32 s17, vcc_lo
	s_cbranch_execz .LBB268_493
; %bb.492:                              ;   in Loop: Header=BB268_426 Depth=1
	v_cmp_gt_i32_e64 s0, s31, v13
	v_cndmask_b32_e64 v2, 0, v50, s0
	v_cmp_gt_i32_e64 s0, s31, v33
	v_cndmask_b32_e64 v10, 0, v48, s0
	v_cmp_gt_i32_e64 s0, s31, v32
	v_or_b32_e32 v10, v10, v2
	v_cndmask_b32_e64 v42, 0, v45, s0
	v_cmp_gt_i32_e64 s0, s31, v31
	v_cndmask_b32_e64 v11, 0, v11, s0
	v_cmp_gt_i32_e64 s0, s31, v30
	v_or_b32_e32 v2, v11, v42
	;; [unrolled: 5-line block ×3, first 2 shown]
	v_cndmask_b32_e64 v46, 0, v47, s0
	v_cmp_gt_i32_e64 s0, s31, v27
	v_cndmask_b32_e64 v43, 0, v43, s0
	v_or_b32_e32 v44, v43, v46
.LBB268_493:                            ;   in Loop: Header=BB268_426 Depth=1
	s_or_b32 exec_lo, exec_lo, s17
	v_and_b32_e32 v11, 0xffff, v34
	v_and_b32_e32 v34, 0xffff, v38
	;; [unrolled: 1-line block ×4, first 2 shown]
	v_lshl_or_b32 v39, v35, 16, v11
	v_lshl_or_b32 v38, v36, 16, v34
	;;#ASMSTART
	v_pk_mul_f16 v10, v39, v10;

	;;#ASMEND
	;;#ASMSTART
	v_pk_mul_f16 v2, v38, v2;

	;;#ASMEND
	v_lshl_or_b32 v37, v37, 16, v43
	v_lshl_or_b32 v36, v40, 16, v41
	;;#ASMSTART
	v_pk_mul_f16 v11, v37, v42;

	;;#ASMEND
	;;#ASMSTART
	v_pk_mul_f16 v34, v36, v44;

	;;#ASMEND
	;;#ASMSTART
	v_pk_add_f16 v2, v10, v2;

	;;#ASMEND
	;;#ASMSTART
	v_pk_add_f16 v2, v2, v11;
	;; [unrolled: 4-line block ×3, first 2 shown]

	;;#ASMEND
	v_and_b32_e32 v10, 0xffff, v2
	v_lshrrev_b32_e32 v2, 16, v2
	;;#ASMSTART
	v_cvt_f32_f16 v34, v10;
	;;#ASMEND
	;;#ASMSTART
	v_cvt_f32_f16 v35, v2;
	;;#ASMEND
	global_load_dwordx2 v[10:11], v[8:9], off offset:256
	v_mov_b32_e32 v41, 0
	v_mov_b32_e32 v42, 0
	global_load_dword v40, v41, s[14:15]
	s_waitcnt vmcnt(1)
	v_cmp_ne_u16_sdwa s0, v10, v3 src0_sel:BYTE_0 src1_sel:DWORD
	s_and_saveexec_b32 s17, s0
	s_cbranch_execz .LBB268_501
; %bb.494:                              ;   in Loop: Header=BB268_426 Depth=1
	v_cmp_ne_u16_sdwa s0, v10, v22 src0_sel:BYTE_0 src1_sel:DWORD
	v_mov_b32_e32 v42, 0x8000
	s_and_saveexec_b32 s18, s0
	s_cbranch_execz .LBB268_500
; %bb.495:                              ;   in Loop: Header=BB268_426 Depth=1
	v_and_b32_e32 v43, 0x7f, v10
	v_mov_b32_e32 v42, 0x7c01
	s_mov_b32 s21, exec_lo
	v_cmpx_ne_u32_e32 0x7f, v43
	s_cbranch_execz .LBB268_499
; %bb.496:                              ;   in Loop: Header=BB268_426 Depth=1
	v_and_b32_e32 v2, 7, v10
	v_lshrrev_b32_e32 v42, 3, v43
	s_mov_b32 s22, exec_lo
	v_cmpx_gt_u32_e32 8, v43
; %bb.497:                              ;   in Loop: Header=BB268_426 Depth=1
	v_ffbh_u32_e32 v2, v2
	v_min_u32_e32 v2, 32, v2
	v_subrev_nc_u32_e32 v42, 28, v2
	v_lshlrev_b64 v[43:44], v42, v[10:11]
	v_sub_nc_u32_e32 v42, 29, v2
	v_and_b32_e32 v2, 7, v43
; %bb.498:                              ;   in Loop: Header=BB268_426 Depth=1
	s_or_b32 exec_lo, exec_lo, s22
	v_lshlrev_b32_e32 v43, 8, v10
	v_lshl_add_u32 v42, v42, 10, 0x2000
	v_lshlrev_b32_e32 v2, 7, v2
	v_and_b32_e32 v43, 0x8000, v43
	v_and_b32_e32 v42, 0xfc00, v42
	v_or3_b32 v42, v43, v42, v2
.LBB268_499:                            ;   in Loop: Header=BB268_426 Depth=1
	s_or_b32 exec_lo, exec_lo, s21
.LBB268_500:                            ;   in Loop: Header=BB268_426 Depth=1
	s_or_b32 exec_lo, exec_lo, s18
.LBB268_501:                            ;   in Loop: Header=BB268_426 Depth=1
	s_or_b32 exec_lo, exec_lo, s17
	v_lshrrev_b16 v2, 8, v10
	s_mov_b32 s17, exec_lo
	v_cmpx_ne_u16_e32 0, v2
	s_cbranch_execz .LBB268_509
; %bb.502:                              ;   in Loop: Header=BB268_426 Depth=1
	v_bfrev_b32_e32 v41, 1
	s_mov_b32 s18, exec_lo
	v_cmpx_ne_u16_e32 0x80, v2
	s_cbranch_execz .LBB268_508
; %bb.503:                              ;   in Loop: Header=BB268_426 Depth=1
	v_and_b32_sdwa v44, v2, v23 dst_sel:DWORD dst_unused:UNUSED_PAD src0_sel:WORD_0 src1_sel:DWORD
	v_mov_b32_e32 v41, 0x7c010000
	s_mov_b32 s21, exec_lo
	v_cmpx_ne_u32_e32 0x7f, v44
	s_cbranch_execz .LBB268_507
; %bb.504:                              ;   in Loop: Header=BB268_426 Depth=1
	v_and_b32_sdwa v41, v2, v24 dst_sel:DWORD dst_unused:UNUSED_PAD src0_sel:WORD_0 src1_sel:DWORD
	v_lshrrev_b32_e32 v43, 3, v44
	s_mov_b32 s22, exec_lo
	v_cmpx_gt_u32_e32 8, v44
; %bb.505:                              ;   in Loop: Header=BB268_426 Depth=1
	v_ffbh_u32_e32 v41, v41
	v_min_u32_e32 v41, 32, v41
	v_subrev_nc_u32_e32 v43, 28, v41
	v_lshlrev_b64 v[44:45], v43, v[2:3]
	v_sub_nc_u32_e32 v43, 29, v41
	v_and_b32_e32 v41, 7, v44
; %bb.506:                              ;   in Loop: Header=BB268_426 Depth=1
	s_or_b32 exec_lo, exec_lo, s22
	v_lshlrev_b32_sdwa v2, v25, v2 dst_sel:DWORD dst_unused:UNUSED_PAD src0_sel:DWORD src1_sel:WORD_0
	v_lshl_add_u32 v43, v43, 10, 0x2000
	v_lshlrev_b32_e32 v41, 23, v41
	v_and_or_b32 v2, 0x8000, v2, v43
	v_lshl_or_b32 v41, v2, 16, v41
.LBB268_507:                            ;   in Loop: Header=BB268_426 Depth=1
	s_or_b32 exec_lo, exec_lo, s21
.LBB268_508:                            ;   in Loop: Header=BB268_426 Depth=1
	s_or_b32 exec_lo, exec_lo, s18
.LBB268_509:                            ;   in Loop: Header=BB268_426 Depth=1
	s_or_b32 exec_lo, exec_lo, s17
	v_lshrrev_b32_e32 v2, 16, v10
	v_mov_b32_e32 v43, 0
	v_mov_b32_e32 v44, 0
	v_cmp_ne_u16_sdwa s0, v2, v3 src0_sel:BYTE_0 src1_sel:DWORD
	s_and_saveexec_b32 s17, s0
	s_cbranch_execz .LBB268_517
; %bb.510:                              ;   in Loop: Header=BB268_426 Depth=1
	v_cmp_ne_u16_sdwa s0, v2, v22 src0_sel:BYTE_0 src1_sel:DWORD
	v_mov_b32_e32 v44, 0x8000
	s_and_saveexec_b32 s18, s0
	s_cbranch_execz .LBB268_516
; %bb.511:                              ;   in Loop: Header=BB268_426 Depth=1
	v_bfe_u32 v46, v10, 16, 7
	v_mov_b32_e32 v44, 0x7c01
	s_mov_b32 s21, exec_lo
	v_cmpx_ne_u32_e32 0x7f, v46
	s_cbranch_execz .LBB268_515
; %bb.512:                              ;   in Loop: Header=BB268_426 Depth=1
	v_and_b32_e32 v44, 7, v2
	v_lshrrev_b32_e32 v45, 3, v46
	s_mov_b32 s22, exec_lo
	v_cmpx_gt_u32_e32 8, v46
; %bb.513:                              ;   in Loop: Header=BB268_426 Depth=1
	v_ffbh_u32_e32 v44, v44
	v_min_u32_e32 v46, 32, v44
	v_subrev_nc_u32_e32 v44, 28, v46
	v_lshlrev_b64 v[44:45], v44, v[2:3]
	v_sub_nc_u32_e32 v45, 29, v46
	v_and_b32_e32 v44, 7, v44
; %bb.514:                              ;   in Loop: Header=BB268_426 Depth=1
	s_or_b32 exec_lo, exec_lo, s22
	v_lshlrev_b32_e32 v2, 8, v2
	v_lshl_add_u32 v45, v45, 10, 0x2000
	v_lshlrev_b32_e32 v44, 7, v44
	v_and_b32_e32 v2, 0x8000, v2
	v_and_b32_e32 v45, 0xfc00, v45
	v_or3_b32 v44, v2, v45, v44
.LBB268_515:                            ;   in Loop: Header=BB268_426 Depth=1
	s_or_b32 exec_lo, exec_lo, s21
.LBB268_516:                            ;   in Loop: Header=BB268_426 Depth=1
	s_or_b32 exec_lo, exec_lo, s18
.LBB268_517:                            ;   in Loop: Header=BB268_426 Depth=1
	s_or_b32 exec_lo, exec_lo, s17
	s_mov_b32 s17, exec_lo
	v_cmpx_lt_u32_e32 0xffffff, v10
	s_cbranch_execz .LBB268_525
; %bb.518:                              ;   in Loop: Header=BB268_426 Depth=1
	v_lshrrev_b32_e32 v2, 24, v10
	v_bfrev_b32_e32 v43, 1
	s_mov_b32 s18, exec_lo
	v_cmpx_ne_u32_e32 0x80, v2
	s_cbranch_execz .LBB268_524
; %bb.519:                              ;   in Loop: Header=BB268_426 Depth=1
	v_and_b32_e32 v46, 0x7f, v2
	v_mov_b32_e32 v43, 0x7c010000
	s_mov_b32 s21, exec_lo
	v_cmpx_ne_u32_e32 0x7f, v46
	s_cbranch_execz .LBB268_523
; %bb.520:                              ;   in Loop: Header=BB268_426 Depth=1
	v_and_b32_e32 v43, 7, v2
	v_lshrrev_b32_e32 v45, 3, v46
	s_mov_b32 s22, exec_lo
	v_cmpx_gt_u32_e32 8, v46
; %bb.521:                              ;   in Loop: Header=BB268_426 Depth=1
	v_ffbh_u32_e32 v43, v43
	v_min_u32_e32 v43, 32, v43
	v_subrev_nc_u32_e32 v45, 28, v43
	v_lshlrev_b64 v[46:47], v45, v[2:3]
	v_sub_nc_u32_e32 v45, 29, v43
	v_and_b32_e32 v43, 7, v46
; %bb.522:                              ;   in Loop: Header=BB268_426 Depth=1
	s_or_b32 exec_lo, exec_lo, s22
	v_lshlrev_b32_e32 v2, 8, v2
	v_lshl_add_u32 v45, v45, 10, 0x2000
	v_lshlrev_b32_e32 v43, 23, v43
	v_and_or_b32 v2, 0x8000, v2, v45
	v_lshl_or_b32 v43, v2, 16, v43
.LBB268_523:                            ;   in Loop: Header=BB268_426 Depth=1
	s_or_b32 exec_lo, exec_lo, s21
.LBB268_524:                            ;   in Loop: Header=BB268_426 Depth=1
	s_or_b32 exec_lo, exec_lo, s18
.LBB268_525:                            ;   in Loop: Header=BB268_426 Depth=1
	s_or_b32 exec_lo, exec_lo, s17
	v_mov_b32_e32 v2, v11
	v_cmp_ne_u16_sdwa s0, v11, v3 src0_sel:BYTE_0 src1_sel:DWORD
	v_mov_b32_e32 v45, 0
	v_mov_b32_e32 v46, 0
	s_and_saveexec_b32 s17, s0
	s_cbranch_execz .LBB268_533
; %bb.526:                              ;   in Loop: Header=BB268_426 Depth=1
	v_cmp_ne_u16_sdwa s0, v11, v22 src0_sel:BYTE_0 src1_sel:DWORD
	v_mov_b32_e32 v46, 0x8000
	s_and_saveexec_b32 s18, s0
	s_cbranch_execz .LBB268_532
; %bb.527:                              ;   in Loop: Header=BB268_426 Depth=1
	v_and_b32_e32 v48, 0x7f, v11
	v_mov_b32_e32 v46, 0x7c01
	s_mov_b32 s21, exec_lo
	v_cmpx_ne_u32_e32 0x7f, v48
	s_cbranch_execz .LBB268_531
; %bb.528:                              ;   in Loop: Header=BB268_426 Depth=1
	v_and_b32_e32 v46, 7, v11
	v_lshrrev_b32_e32 v47, 3, v48
	s_mov_b32 s22, exec_lo
	v_cmpx_gt_u32_e32 8, v48
; %bb.529:                              ;   in Loop: Header=BB268_426 Depth=1
	v_ffbh_u32_e32 v46, v46
	v_min_u32_e32 v48, 32, v46
	v_subrev_nc_u32_e32 v46, 28, v48
	v_lshlrev_b64 v[46:47], v46, v[2:3]
	v_sub_nc_u32_e32 v47, 29, v48
	v_and_b32_e32 v46, 7, v46
; %bb.530:                              ;   in Loop: Header=BB268_426 Depth=1
	s_or_b32 exec_lo, exec_lo, s22
	v_lshlrev_b32_e32 v48, 8, v11
	v_lshl_add_u32 v47, v47, 10, 0x2000
	v_lshlrev_b32_e32 v46, 7, v46
	v_and_b32_e32 v48, 0x8000, v48
	v_and_b32_e32 v47, 0xfc00, v47
	v_or3_b32 v46, v48, v47, v46
.LBB268_531:                            ;   in Loop: Header=BB268_426 Depth=1
	s_or_b32 exec_lo, exec_lo, s21
.LBB268_532:                            ;   in Loop: Header=BB268_426 Depth=1
	s_or_b32 exec_lo, exec_lo, s18
.LBB268_533:                            ;   in Loop: Header=BB268_426 Depth=1
	s_or_b32 exec_lo, exec_lo, s17
	v_lshrrev_b16 v2, 8, v2
	v_mov_b32_e32 v47, 0
	s_mov_b32 s17, exec_lo
	v_cmpx_ne_u16_e32 0, v2
	s_cbranch_execz .LBB268_541
; %bb.534:                              ;   in Loop: Header=BB268_426 Depth=1
	v_bfrev_b32_e32 v47, 1
	s_mov_b32 s18, exec_lo
	v_cmpx_ne_u16_e32 0x80, v2
	s_cbranch_execz .LBB268_540
; %bb.535:                              ;   in Loop: Header=BB268_426 Depth=1
	v_and_b32_sdwa v49, v2, v23 dst_sel:DWORD dst_unused:UNUSED_PAD src0_sel:WORD_0 src1_sel:DWORD
	v_mov_b32_e32 v47, 0x7c010000
	s_mov_b32 s21, exec_lo
	v_cmpx_ne_u32_e32 0x7f, v49
	s_cbranch_execz .LBB268_539
; %bb.536:                              ;   in Loop: Header=BB268_426 Depth=1
	v_and_b32_sdwa v47, v2, v24 dst_sel:DWORD dst_unused:UNUSED_PAD src0_sel:WORD_0 src1_sel:DWORD
	v_lshrrev_b32_e32 v48, 3, v49
	s_mov_b32 s22, exec_lo
	v_cmpx_gt_u32_e32 8, v49
; %bb.537:                              ;   in Loop: Header=BB268_426 Depth=1
	v_ffbh_u32_e32 v47, v47
	v_min_u32_e32 v49, 32, v47
	v_subrev_nc_u32_e32 v47, 28, v49
	v_lshlrev_b64 v[47:48], v47, v[2:3]
	v_sub_nc_u32_e32 v48, 29, v49
	v_and_b32_e32 v47, 7, v47
; %bb.538:                              ;   in Loop: Header=BB268_426 Depth=1
	s_or_b32 exec_lo, exec_lo, s22
	v_lshlrev_b32_sdwa v2, v25, v2 dst_sel:DWORD dst_unused:UNUSED_PAD src0_sel:DWORD src1_sel:WORD_0
	v_lshl_add_u32 v48, v48, 10, 0x2000
	v_lshlrev_b32_e32 v47, 23, v47
	v_and_or_b32 v2, 0x8000, v2, v48
	v_lshl_or_b32 v47, v2, 16, v47
.LBB268_539:                            ;   in Loop: Header=BB268_426 Depth=1
	s_or_b32 exec_lo, exec_lo, s21
.LBB268_540:                            ;   in Loop: Header=BB268_426 Depth=1
	s_or_b32 exec_lo, exec_lo, s18
.LBB268_541:                            ;   in Loop: Header=BB268_426 Depth=1
	s_or_b32 exec_lo, exec_lo, s17
	v_lshrrev_b32_e32 v2, 16, v11
	v_cmp_ne_u16_sdwa s0, v2, v3 src0_sel:BYTE_0 src1_sel:DWORD
	s_and_saveexec_b32 s17, s0
	s_cbranch_execz .LBB268_549
; %bb.542:                              ;   in Loop: Header=BB268_426 Depth=1
	v_cmp_ne_u16_sdwa s0, v2, v22 src0_sel:BYTE_0 src1_sel:DWORD
	v_mov_b32_e32 v45, 0x8000
	s_and_saveexec_b32 s18, s0
	s_cbranch_execz .LBB268_548
; %bb.543:                              ;   in Loop: Header=BB268_426 Depth=1
	v_bfe_u32 v49, v11, 16, 7
	v_mov_b32_e32 v45, 0x7c01
	s_mov_b32 s21, exec_lo
	v_cmpx_ne_u32_e32 0x7f, v49
	s_cbranch_execz .LBB268_547
; %bb.544:                              ;   in Loop: Header=BB268_426 Depth=1
	v_and_b32_e32 v45, 7, v2
	v_lshrrev_b32_e32 v48, 3, v49
	s_mov_b32 s22, exec_lo
	v_cmpx_gt_u32_e32 8, v49
; %bb.545:                              ;   in Loop: Header=BB268_426 Depth=1
	v_ffbh_u32_e32 v45, v45
	v_min_u32_e32 v45, 32, v45
	v_subrev_nc_u32_e32 v48, 28, v45
	v_lshlrev_b64 v[49:50], v48, v[2:3]
	v_sub_nc_u32_e32 v48, 29, v45
	v_and_b32_e32 v45, 7, v49
; %bb.546:                              ;   in Loop: Header=BB268_426 Depth=1
	s_or_b32 exec_lo, exec_lo, s22
	v_lshlrev_b32_e32 v2, 8, v2
	v_lshl_add_u32 v48, v48, 10, 0x2000
	v_lshlrev_b32_e32 v45, 7, v45
	v_and_b32_e32 v2, 0x8000, v2
	v_and_b32_e32 v48, 0xfc00, v48
	v_or3_b32 v45, v2, v48, v45
.LBB268_547:                            ;   in Loop: Header=BB268_426 Depth=1
	s_or_b32 exec_lo, exec_lo, s21
.LBB268_548:                            ;   in Loop: Header=BB268_426 Depth=1
	s_or_b32 exec_lo, exec_lo, s18
.LBB268_549:                            ;   in Loop: Header=BB268_426 Depth=1
	s_or_b32 exec_lo, exec_lo, s17
	v_cmp_lt_u64_e64 s0, s[4:5], v[10:11]
	v_mov_b32_e32 v10, 0
	s_and_saveexec_b32 s17, s0
	s_cbranch_execz .LBB268_557
; %bb.550:                              ;   in Loop: Header=BB268_426 Depth=1
	v_lshrrev_b32_e32 v2, 24, v11
	v_bfrev_b32_e32 v10, 1
	s_mov_b32 s18, exec_lo
	v_cmpx_ne_u32_e32 0x80, v2
	s_cbranch_execz .LBB268_556
; %bb.551:                              ;   in Loop: Header=BB268_426 Depth=1
	v_and_b32_e32 v48, 0x7f, v2
	v_mov_b32_e32 v10, 0x7c010000
	s_mov_b32 s21, exec_lo
	v_cmpx_ne_u32_e32 0x7f, v48
	s_cbranch_execz .LBB268_555
; %bb.552:                              ;   in Loop: Header=BB268_426 Depth=1
	v_and_b32_e32 v10, 7, v2
	v_lshrrev_b32_e32 v11, 3, v48
	s_mov_b32 s22, exec_lo
	v_cmpx_gt_u32_e32 8, v48
; %bb.553:                              ;   in Loop: Header=BB268_426 Depth=1
	v_ffbh_u32_e32 v10, v10
	v_min_u32_e32 v48, 32, v10
	v_subrev_nc_u32_e32 v10, 28, v48
	v_lshlrev_b64 v[10:11], v10, v[2:3]
	v_sub_nc_u32_e32 v11, 29, v48
	v_and_b32_e32 v10, 7, v10
; %bb.554:                              ;   in Loop: Header=BB268_426 Depth=1
	s_or_b32 exec_lo, exec_lo, s22
	v_lshlrev_b32_e32 v2, 8, v2
	v_lshl_add_u32 v11, v11, 10, 0x2000
	v_lshlrev_b32_e32 v10, 23, v10
	v_and_or_b32 v2, 0x8000, v2, v11
	v_lshl_or_b32 v10, v2, 16, v10
.LBB268_555:                            ;   in Loop: Header=BB268_426 Depth=1
	s_or_b32 exec_lo, exec_lo, s21
.LBB268_556:                            ;   in Loop: Header=BB268_426 Depth=1
	s_or_b32 exec_lo, exec_lo, s18
.LBB268_557:                            ;   in Loop: Header=BB268_426 Depth=1
	s_or_b32 exec_lo, exec_lo, s17
	v_or_b32_e32 v2, v43, v44
	s_waitcnt vmcnt(0)
	v_fma_mixlo_f16 v11, v40, v43, 0 op_sel:[0,1,0] op_sel_hi:[0,1,0]
	v_or_b32_e32 v43, v41, v42
	v_fma_mixlo_f16 v41, v40, v41, 0 op_sel:[0,1,0] op_sel_hi:[0,1,0]
	v_or_b32_e32 v44, v47, v46
	v_or_b32_e32 v45, v10, v45
	v_fma_mixlo_f16 v46, v40, v2, 0 op_sel_hi:[0,1,0]
	v_fma_mixlo_f16 v10, v40, v10, 0 op_sel:[0,1,0] op_sel_hi:[0,1,0]
	v_lshlrev_b32_e32 v42, 16, v41
	v_fma_mixlo_f16 v41, v40, v43, 0 op_sel_hi:[0,1,0]
	v_fma_mixlo_f16 v43, v40, v47, 0 op_sel:[0,1,0] op_sel_hi:[0,1,0]
	v_fma_mixlo_f16 v44, v40, v44, 0 op_sel_hi:[0,1,0]
	v_fma_mixlo_f16 v45, v40, v45, 0 op_sel_hi:[0,1,0]
	v_lshlrev_b32_e32 v2, 16, v11
	v_and_b32_e32 v11, 0xffff, v46
	v_and_b32_e32 v48, 0xffff, v41
	v_lshlrev_b32_e32 v40, 16, v43
	v_and_b32_e32 v44, 0xffff, v44
	v_lshlrev_b32_e32 v10, 16, v10
	v_and_b32_e32 v41, 0xffff, v45
	v_or_b32_e32 v43, v2, v11
	v_or_b32_e32 v47, v42, v48
	;; [unrolled: 1-line block ×4, first 2 shown]
	s_and_saveexec_b32 s17, vcc_lo
	s_cbranch_execz .LBB268_559
; %bb.558:                              ;   in Loop: Header=BB268_426 Depth=1
	v_cmp_gt_i32_e64 s0, s31, v13
	v_cndmask_b32_e64 v43, 0, v48, s0
	v_cmp_gt_i32_e64 s0, s31, v33
	v_cndmask_b32_e64 v42, 0, v42, s0
	v_cmp_gt_i32_e64 s0, s31, v32
	v_or_b32_e32 v47, v42, v43
	v_cndmask_b32_e64 v11, 0, v11, s0
	v_cmp_gt_i32_e64 s0, s31, v31
	v_cndmask_b32_e64 v2, 0, v2, s0
	v_cmp_gt_i32_e64 s0, s31, v30
	v_or_b32_e32 v43, v2, v11
	;; [unrolled: 5-line block ×3, first 2 shown]
	v_cndmask_b32_e64 v41, 0, v41, s0
	v_cmp_gt_i32_e64 s0, s31, v27
	v_cndmask_b32_e64 v10, 0, v10, s0
	v_or_b32_e32 v45, v10, v41
.LBB268_559:                            ;   in Loop: Header=BB268_426 Depth=1
	s_or_b32 exec_lo, exec_lo, s17
	;;#ASMSTART
	v_pk_mul_f16 v2, v39, v47;

	;;#ASMEND
	;;#ASMSTART
	v_pk_mul_f16 v10, v38, v43;

	;;#ASMEND
	;; [unrolled: 4-line block ×4, first 2 shown]
	;;#ASMSTART
	v_pk_add_f16 v2, v2, v10;

	;;#ASMEND
	;;#ASMSTART
	v_pk_add_f16 v2, v2, v11;

	;;#ASMEND
	;; [unrolled: 4-line block ×3, first 2 shown]
	v_and_b32_e32 v10, 0xffff, v2
	v_lshrrev_b32_e32 v2, 16, v2
	;;#ASMSTART
	v_cvt_f32_f16 v40, v10;
	;;#ASMEND
	;;#ASMSTART
	v_cvt_f32_f16 v41, v2;
	;;#ASMEND
	global_load_dwordx2 v[10:11], v[8:9], off offset:512
	v_mov_b32_e32 v43, 0
	v_mov_b32_e32 v44, 0
	global_load_dword v42, v43, s[14:15]
	s_waitcnt vmcnt(1)
	v_cmp_ne_u16_sdwa s0, v10, v3 src0_sel:BYTE_0 src1_sel:DWORD
	s_and_saveexec_b32 s17, s0
	s_cbranch_execz .LBB268_567
; %bb.560:                              ;   in Loop: Header=BB268_426 Depth=1
	v_cmp_ne_u16_sdwa s0, v10, v22 src0_sel:BYTE_0 src1_sel:DWORD
	v_mov_b32_e32 v44, 0x8000
	s_and_saveexec_b32 s18, s0
	s_cbranch_execz .LBB268_566
; %bb.561:                              ;   in Loop: Header=BB268_426 Depth=1
	v_and_b32_e32 v45, 0x7f, v10
	v_mov_b32_e32 v44, 0x7c01
	s_mov_b32 s21, exec_lo
	v_cmpx_ne_u32_e32 0x7f, v45
	s_cbranch_execz .LBB268_565
; %bb.562:                              ;   in Loop: Header=BB268_426 Depth=1
	v_and_b32_e32 v2, 7, v10
	v_lshrrev_b32_e32 v44, 3, v45
	s_mov_b32 s22, exec_lo
	v_cmpx_gt_u32_e32 8, v45
; %bb.563:                              ;   in Loop: Header=BB268_426 Depth=1
	v_ffbh_u32_e32 v2, v2
	v_min_u32_e32 v2, 32, v2
	v_subrev_nc_u32_e32 v44, 28, v2
	v_lshlrev_b64 v[45:46], v44, v[10:11]
	v_sub_nc_u32_e32 v44, 29, v2
	v_and_b32_e32 v2, 7, v45
; %bb.564:                              ;   in Loop: Header=BB268_426 Depth=1
	s_or_b32 exec_lo, exec_lo, s22
	v_lshlrev_b32_e32 v45, 8, v10
	v_lshl_add_u32 v44, v44, 10, 0x2000
	v_lshlrev_b32_e32 v2, 7, v2
	v_and_b32_e32 v45, 0x8000, v45
	v_and_b32_e32 v44, 0xfc00, v44
	v_or3_b32 v44, v45, v44, v2
.LBB268_565:                            ;   in Loop: Header=BB268_426 Depth=1
	s_or_b32 exec_lo, exec_lo, s21
.LBB268_566:                            ;   in Loop: Header=BB268_426 Depth=1
	s_or_b32 exec_lo, exec_lo, s18
.LBB268_567:                            ;   in Loop: Header=BB268_426 Depth=1
	s_or_b32 exec_lo, exec_lo, s17
	v_lshrrev_b16 v2, 8, v10
	s_mov_b32 s17, exec_lo
	v_cmpx_ne_u16_e32 0, v2
	s_cbranch_execz .LBB268_575
; %bb.568:                              ;   in Loop: Header=BB268_426 Depth=1
	v_bfrev_b32_e32 v43, 1
	s_mov_b32 s18, exec_lo
	v_cmpx_ne_u16_e32 0x80, v2
	s_cbranch_execz .LBB268_574
; %bb.569:                              ;   in Loop: Header=BB268_426 Depth=1
	v_and_b32_sdwa v46, v2, v23 dst_sel:DWORD dst_unused:UNUSED_PAD src0_sel:WORD_0 src1_sel:DWORD
	v_mov_b32_e32 v43, 0x7c010000
	s_mov_b32 s21, exec_lo
	v_cmpx_ne_u32_e32 0x7f, v46
	s_cbranch_execz .LBB268_573
; %bb.570:                              ;   in Loop: Header=BB268_426 Depth=1
	v_and_b32_sdwa v43, v2, v24 dst_sel:DWORD dst_unused:UNUSED_PAD src0_sel:WORD_0 src1_sel:DWORD
	v_lshrrev_b32_e32 v45, 3, v46
	s_mov_b32 s22, exec_lo
	v_cmpx_gt_u32_e32 8, v46
; %bb.571:                              ;   in Loop: Header=BB268_426 Depth=1
	v_ffbh_u32_e32 v43, v43
	v_min_u32_e32 v43, 32, v43
	v_subrev_nc_u32_e32 v45, 28, v43
	v_lshlrev_b64 v[46:47], v45, v[2:3]
	v_sub_nc_u32_e32 v45, 29, v43
	v_and_b32_e32 v43, 7, v46
; %bb.572:                              ;   in Loop: Header=BB268_426 Depth=1
	s_or_b32 exec_lo, exec_lo, s22
	v_lshlrev_b32_sdwa v2, v25, v2 dst_sel:DWORD dst_unused:UNUSED_PAD src0_sel:DWORD src1_sel:WORD_0
	v_lshl_add_u32 v45, v45, 10, 0x2000
	v_lshlrev_b32_e32 v43, 23, v43
	v_and_or_b32 v2, 0x8000, v2, v45
	v_lshl_or_b32 v43, v2, 16, v43
.LBB268_573:                            ;   in Loop: Header=BB268_426 Depth=1
	s_or_b32 exec_lo, exec_lo, s21
.LBB268_574:                            ;   in Loop: Header=BB268_426 Depth=1
	s_or_b32 exec_lo, exec_lo, s18
.LBB268_575:                            ;   in Loop: Header=BB268_426 Depth=1
	s_or_b32 exec_lo, exec_lo, s17
	v_lshrrev_b32_e32 v2, 16, v10
	v_mov_b32_e32 v45, 0
	v_mov_b32_e32 v46, 0
	v_cmp_ne_u16_sdwa s0, v2, v3 src0_sel:BYTE_0 src1_sel:DWORD
	s_and_saveexec_b32 s17, s0
	s_cbranch_execz .LBB268_583
; %bb.576:                              ;   in Loop: Header=BB268_426 Depth=1
	v_cmp_ne_u16_sdwa s0, v2, v22 src0_sel:BYTE_0 src1_sel:DWORD
	v_mov_b32_e32 v46, 0x8000
	s_and_saveexec_b32 s18, s0
	s_cbranch_execz .LBB268_582
; %bb.577:                              ;   in Loop: Header=BB268_426 Depth=1
	v_bfe_u32 v48, v10, 16, 7
	v_mov_b32_e32 v46, 0x7c01
	s_mov_b32 s21, exec_lo
	v_cmpx_ne_u32_e32 0x7f, v48
	s_cbranch_execz .LBB268_581
; %bb.578:                              ;   in Loop: Header=BB268_426 Depth=1
	v_and_b32_e32 v46, 7, v2
	v_lshrrev_b32_e32 v47, 3, v48
	s_mov_b32 s22, exec_lo
	v_cmpx_gt_u32_e32 8, v48
; %bb.579:                              ;   in Loop: Header=BB268_426 Depth=1
	v_ffbh_u32_e32 v46, v46
	v_min_u32_e32 v48, 32, v46
	v_subrev_nc_u32_e32 v46, 28, v48
	v_lshlrev_b64 v[46:47], v46, v[2:3]
	v_sub_nc_u32_e32 v47, 29, v48
	v_and_b32_e32 v46, 7, v46
; %bb.580:                              ;   in Loop: Header=BB268_426 Depth=1
	s_or_b32 exec_lo, exec_lo, s22
	v_lshlrev_b32_e32 v2, 8, v2
	v_lshl_add_u32 v47, v47, 10, 0x2000
	v_lshlrev_b32_e32 v46, 7, v46
	v_and_b32_e32 v2, 0x8000, v2
	v_and_b32_e32 v47, 0xfc00, v47
	v_or3_b32 v46, v2, v47, v46
.LBB268_581:                            ;   in Loop: Header=BB268_426 Depth=1
	s_or_b32 exec_lo, exec_lo, s21
.LBB268_582:                            ;   in Loop: Header=BB268_426 Depth=1
	s_or_b32 exec_lo, exec_lo, s18
.LBB268_583:                            ;   in Loop: Header=BB268_426 Depth=1
	s_or_b32 exec_lo, exec_lo, s17
	s_mov_b32 s17, exec_lo
	v_cmpx_lt_u32_e32 0xffffff, v10
	s_cbranch_execz .LBB268_591
; %bb.584:                              ;   in Loop: Header=BB268_426 Depth=1
	v_lshrrev_b32_e32 v2, 24, v10
	v_bfrev_b32_e32 v45, 1
	s_mov_b32 s18, exec_lo
	v_cmpx_ne_u32_e32 0x80, v2
	s_cbranch_execz .LBB268_590
; %bb.585:                              ;   in Loop: Header=BB268_426 Depth=1
	v_and_b32_e32 v48, 0x7f, v2
	v_mov_b32_e32 v45, 0x7c010000
	s_mov_b32 s21, exec_lo
	v_cmpx_ne_u32_e32 0x7f, v48
	s_cbranch_execz .LBB268_589
; %bb.586:                              ;   in Loop: Header=BB268_426 Depth=1
	v_and_b32_e32 v45, 7, v2
	v_lshrrev_b32_e32 v47, 3, v48
	s_mov_b32 s22, exec_lo
	v_cmpx_gt_u32_e32 8, v48
; %bb.587:                              ;   in Loop: Header=BB268_426 Depth=1
	v_ffbh_u32_e32 v45, v45
	v_min_u32_e32 v45, 32, v45
	v_subrev_nc_u32_e32 v47, 28, v45
	v_lshlrev_b64 v[48:49], v47, v[2:3]
	v_sub_nc_u32_e32 v47, 29, v45
	v_and_b32_e32 v45, 7, v48
; %bb.588:                              ;   in Loop: Header=BB268_426 Depth=1
	s_or_b32 exec_lo, exec_lo, s22
	v_lshlrev_b32_e32 v2, 8, v2
	v_lshl_add_u32 v47, v47, 10, 0x2000
	v_lshlrev_b32_e32 v45, 23, v45
	v_and_or_b32 v2, 0x8000, v2, v47
	v_lshl_or_b32 v45, v2, 16, v45
.LBB268_589:                            ;   in Loop: Header=BB268_426 Depth=1
	s_or_b32 exec_lo, exec_lo, s21
.LBB268_590:                            ;   in Loop: Header=BB268_426 Depth=1
	s_or_b32 exec_lo, exec_lo, s18
.LBB268_591:                            ;   in Loop: Header=BB268_426 Depth=1
	s_or_b32 exec_lo, exec_lo, s17
	v_mov_b32_e32 v2, v11
	v_cmp_ne_u16_sdwa s0, v11, v3 src0_sel:BYTE_0 src1_sel:DWORD
	v_mov_b32_e32 v47, 0
	v_mov_b32_e32 v48, 0
	s_and_saveexec_b32 s17, s0
	s_cbranch_execz .LBB268_599
; %bb.592:                              ;   in Loop: Header=BB268_426 Depth=1
	v_cmp_ne_u16_sdwa s0, v11, v22 src0_sel:BYTE_0 src1_sel:DWORD
	v_mov_b32_e32 v48, 0x8000
	s_and_saveexec_b32 s18, s0
	s_cbranch_execz .LBB268_598
; %bb.593:                              ;   in Loop: Header=BB268_426 Depth=1
	v_and_b32_e32 v50, 0x7f, v11
	v_mov_b32_e32 v48, 0x7c01
	s_mov_b32 s21, exec_lo
	v_cmpx_ne_u32_e32 0x7f, v50
	s_cbranch_execz .LBB268_597
; %bb.594:                              ;   in Loop: Header=BB268_426 Depth=1
	v_and_b32_e32 v48, 7, v11
	v_lshrrev_b32_e32 v49, 3, v50
	s_mov_b32 s22, exec_lo
	v_cmpx_gt_u32_e32 8, v50
; %bb.595:                              ;   in Loop: Header=BB268_426 Depth=1
	v_ffbh_u32_e32 v48, v48
	v_min_u32_e32 v50, 32, v48
	v_subrev_nc_u32_e32 v48, 28, v50
	v_lshlrev_b64 v[48:49], v48, v[2:3]
	v_sub_nc_u32_e32 v49, 29, v50
	v_and_b32_e32 v48, 7, v48
; %bb.596:                              ;   in Loop: Header=BB268_426 Depth=1
	s_or_b32 exec_lo, exec_lo, s22
	v_lshlrev_b32_e32 v50, 8, v11
	v_lshl_add_u32 v49, v49, 10, 0x2000
	v_lshlrev_b32_e32 v48, 7, v48
	v_and_b32_e32 v50, 0x8000, v50
	v_and_b32_e32 v49, 0xfc00, v49
	v_or3_b32 v48, v50, v49, v48
.LBB268_597:                            ;   in Loop: Header=BB268_426 Depth=1
	s_or_b32 exec_lo, exec_lo, s21
.LBB268_598:                            ;   in Loop: Header=BB268_426 Depth=1
	s_or_b32 exec_lo, exec_lo, s18
.LBB268_599:                            ;   in Loop: Header=BB268_426 Depth=1
	s_or_b32 exec_lo, exec_lo, s17
	v_lshrrev_b16 v2, 8, v2
	v_mov_b32_e32 v49, 0
	s_mov_b32 s17, exec_lo
	v_cmpx_ne_u16_e32 0, v2
	s_cbranch_execz .LBB268_607
; %bb.600:                              ;   in Loop: Header=BB268_426 Depth=1
	v_bfrev_b32_e32 v49, 1
	s_mov_b32 s18, exec_lo
	v_cmpx_ne_u16_e32 0x80, v2
	s_cbranch_execz .LBB268_606
; %bb.601:                              ;   in Loop: Header=BB268_426 Depth=1
	v_and_b32_sdwa v51, v2, v23 dst_sel:DWORD dst_unused:UNUSED_PAD src0_sel:WORD_0 src1_sel:DWORD
	v_mov_b32_e32 v49, 0x7c010000
	s_mov_b32 s21, exec_lo
	v_cmpx_ne_u32_e32 0x7f, v51
	s_cbranch_execz .LBB268_605
; %bb.602:                              ;   in Loop: Header=BB268_426 Depth=1
	v_and_b32_sdwa v49, v2, v24 dst_sel:DWORD dst_unused:UNUSED_PAD src0_sel:WORD_0 src1_sel:DWORD
	v_lshrrev_b32_e32 v50, 3, v51
	s_mov_b32 s22, exec_lo
	v_cmpx_gt_u32_e32 8, v51
; %bb.603:                              ;   in Loop: Header=BB268_426 Depth=1
	v_ffbh_u32_e32 v49, v49
	v_min_u32_e32 v51, 32, v49
	v_subrev_nc_u32_e32 v49, 28, v51
	v_lshlrev_b64 v[49:50], v49, v[2:3]
	v_sub_nc_u32_e32 v50, 29, v51
	v_and_b32_e32 v49, 7, v49
; %bb.604:                              ;   in Loop: Header=BB268_426 Depth=1
	s_or_b32 exec_lo, exec_lo, s22
	v_lshlrev_b32_sdwa v2, v25, v2 dst_sel:DWORD dst_unused:UNUSED_PAD src0_sel:DWORD src1_sel:WORD_0
	v_lshl_add_u32 v50, v50, 10, 0x2000
	v_lshlrev_b32_e32 v49, 23, v49
	v_and_or_b32 v2, 0x8000, v2, v50
	v_lshl_or_b32 v49, v2, 16, v49
.LBB268_605:                            ;   in Loop: Header=BB268_426 Depth=1
	s_or_b32 exec_lo, exec_lo, s21
.LBB268_606:                            ;   in Loop: Header=BB268_426 Depth=1
	s_or_b32 exec_lo, exec_lo, s18
.LBB268_607:                            ;   in Loop: Header=BB268_426 Depth=1
	s_or_b32 exec_lo, exec_lo, s17
	v_lshrrev_b32_e32 v2, 16, v11
	v_cmp_ne_u16_sdwa s0, v2, v3 src0_sel:BYTE_0 src1_sel:DWORD
	s_and_saveexec_b32 s17, s0
	s_cbranch_execz .LBB268_615
; %bb.608:                              ;   in Loop: Header=BB268_426 Depth=1
	v_cmp_ne_u16_sdwa s0, v2, v22 src0_sel:BYTE_0 src1_sel:DWORD
	v_mov_b32_e32 v47, 0x8000
	s_and_saveexec_b32 s18, s0
	s_cbranch_execz .LBB268_614
; %bb.609:                              ;   in Loop: Header=BB268_426 Depth=1
	v_bfe_u32 v51, v11, 16, 7
	v_mov_b32_e32 v47, 0x7c01
	s_mov_b32 s21, exec_lo
	v_cmpx_ne_u32_e32 0x7f, v51
	s_cbranch_execz .LBB268_613
; %bb.610:                              ;   in Loop: Header=BB268_426 Depth=1
	v_and_b32_e32 v47, 7, v2
	v_lshrrev_b32_e32 v50, 3, v51
	s_mov_b32 s22, exec_lo
	v_cmpx_gt_u32_e32 8, v51
; %bb.611:                              ;   in Loop: Header=BB268_426 Depth=1
	v_ffbh_u32_e32 v47, v47
	v_min_u32_e32 v47, 32, v47
	v_subrev_nc_u32_e32 v50, 28, v47
	v_lshlrev_b64 v[51:52], v50, v[2:3]
	v_sub_nc_u32_e32 v50, 29, v47
	v_and_b32_e32 v47, 7, v51
; %bb.612:                              ;   in Loop: Header=BB268_426 Depth=1
	s_or_b32 exec_lo, exec_lo, s22
	v_lshlrev_b32_e32 v2, 8, v2
	v_lshl_add_u32 v50, v50, 10, 0x2000
	v_lshlrev_b32_e32 v47, 7, v47
	v_and_b32_e32 v2, 0x8000, v2
	v_and_b32_e32 v50, 0xfc00, v50
	v_or3_b32 v47, v2, v50, v47
.LBB268_613:                            ;   in Loop: Header=BB268_426 Depth=1
	s_or_b32 exec_lo, exec_lo, s21
.LBB268_614:                            ;   in Loop: Header=BB268_426 Depth=1
	s_or_b32 exec_lo, exec_lo, s18
.LBB268_615:                            ;   in Loop: Header=BB268_426 Depth=1
	s_or_b32 exec_lo, exec_lo, s17
	v_cmp_lt_u64_e64 s0, s[4:5], v[10:11]
	v_mov_b32_e32 v10, 0
	s_and_saveexec_b32 s17, s0
	s_cbranch_execz .LBB268_623
; %bb.616:                              ;   in Loop: Header=BB268_426 Depth=1
	v_lshrrev_b32_e32 v2, 24, v11
	v_bfrev_b32_e32 v10, 1
	s_mov_b32 s18, exec_lo
	v_cmpx_ne_u32_e32 0x80, v2
	s_cbranch_execz .LBB268_622
; %bb.617:                              ;   in Loop: Header=BB268_426 Depth=1
	v_and_b32_e32 v50, 0x7f, v2
	v_mov_b32_e32 v10, 0x7c010000
	s_mov_b32 s21, exec_lo
	v_cmpx_ne_u32_e32 0x7f, v50
	s_cbranch_execz .LBB268_621
; %bb.618:                              ;   in Loop: Header=BB268_426 Depth=1
	v_and_b32_e32 v10, 7, v2
	v_lshrrev_b32_e32 v11, 3, v50
	s_mov_b32 s22, exec_lo
	v_cmpx_gt_u32_e32 8, v50
; %bb.619:                              ;   in Loop: Header=BB268_426 Depth=1
	v_ffbh_u32_e32 v10, v10
	v_min_u32_e32 v50, 32, v10
	v_subrev_nc_u32_e32 v10, 28, v50
	v_lshlrev_b64 v[10:11], v10, v[2:3]
	v_sub_nc_u32_e32 v11, 29, v50
	v_and_b32_e32 v10, 7, v10
; %bb.620:                              ;   in Loop: Header=BB268_426 Depth=1
	s_or_b32 exec_lo, exec_lo, s22
	v_lshlrev_b32_e32 v2, 8, v2
	v_lshl_add_u32 v11, v11, 10, 0x2000
	v_lshlrev_b32_e32 v10, 23, v10
	v_and_or_b32 v2, 0x8000, v2, v11
	v_lshl_or_b32 v10, v2, 16, v10
.LBB268_621:                            ;   in Loop: Header=BB268_426 Depth=1
	s_or_b32 exec_lo, exec_lo, s21
.LBB268_622:                            ;   in Loop: Header=BB268_426 Depth=1
	s_or_b32 exec_lo, exec_lo, s18
.LBB268_623:                            ;   in Loop: Header=BB268_426 Depth=1
	s_or_b32 exec_lo, exec_lo, s17
	v_or_b32_e32 v2, v45, v46
	s_waitcnt vmcnt(0)
	v_fma_mixlo_f16 v11, v42, v45, 0 op_sel:[0,1,0] op_sel_hi:[0,1,0]
	v_or_b32_e32 v45, v43, v44
	v_fma_mixlo_f16 v43, v42, v43, 0 op_sel:[0,1,0] op_sel_hi:[0,1,0]
	v_or_b32_e32 v46, v49, v48
	v_or_b32_e32 v47, v10, v47
	v_fma_mixlo_f16 v48, v42, v2, 0 op_sel_hi:[0,1,0]
	v_fma_mixlo_f16 v10, v42, v10, 0 op_sel:[0,1,0] op_sel_hi:[0,1,0]
	v_lshlrev_b32_e32 v44, 16, v43
	v_fma_mixlo_f16 v43, v42, v45, 0 op_sel_hi:[0,1,0]
	v_fma_mixlo_f16 v45, v42, v49, 0 op_sel:[0,1,0] op_sel_hi:[0,1,0]
	v_fma_mixlo_f16 v46, v42, v46, 0 op_sel_hi:[0,1,0]
	v_fma_mixlo_f16 v47, v42, v47, 0 op_sel_hi:[0,1,0]
	v_lshlrev_b32_e32 v2, 16, v11
	v_and_b32_e32 v11, 0xffff, v48
	v_and_b32_e32 v50, 0xffff, v43
	v_lshlrev_b32_e32 v42, 16, v45
	v_and_b32_e32 v46, 0xffff, v46
	v_lshlrev_b32_e32 v10, 16, v10
	v_and_b32_e32 v43, 0xffff, v47
	v_or_b32_e32 v45, v2, v11
	v_or_b32_e32 v49, v44, v50
	;; [unrolled: 1-line block ×4, first 2 shown]
	s_and_saveexec_b32 s17, vcc_lo
	s_cbranch_execz .LBB268_625
; %bb.624:                              ;   in Loop: Header=BB268_426 Depth=1
	v_cmp_gt_i32_e64 s0, s31, v13
	v_cndmask_b32_e64 v45, 0, v50, s0
	v_cmp_gt_i32_e64 s0, s31, v33
	v_cndmask_b32_e64 v44, 0, v44, s0
	v_cmp_gt_i32_e64 s0, s31, v32
	v_or_b32_e32 v49, v44, v45
	v_cndmask_b32_e64 v11, 0, v11, s0
	v_cmp_gt_i32_e64 s0, s31, v31
	v_cndmask_b32_e64 v2, 0, v2, s0
	v_cmp_gt_i32_e64 s0, s31, v30
	v_or_b32_e32 v45, v2, v11
	v_cndmask_b32_e64 v46, 0, v46, s0
	v_cmp_gt_i32_e64 s0, s31, v29
	v_cndmask_b32_e64 v42, 0, v42, s0
	v_cmp_gt_i32_e64 s0, s31, v28
	v_or_b32_e32 v48, v42, v46
	v_cndmask_b32_e64 v43, 0, v43, s0
	v_cmp_gt_i32_e64 s0, s31, v27
	v_cndmask_b32_e64 v10, 0, v10, s0
	v_or_b32_e32 v47, v10, v43
.LBB268_625:                            ;   in Loop: Header=BB268_426 Depth=1
	s_or_b32 exec_lo, exec_lo, s17
	;;#ASMSTART
	v_pk_mul_f16 v2, v39, v49;

	;;#ASMEND
	;;#ASMSTART
	v_pk_mul_f16 v10, v38, v45;

	;;#ASMEND
	;; [unrolled: 4-line block ×4, first 2 shown]
	;;#ASMSTART
	v_pk_add_f16 v2, v2, v10;

	;;#ASMEND
	;;#ASMSTART
	v_pk_add_f16 v2, v2, v11;

	;;#ASMEND
	;; [unrolled: 4-line block ×3, first 2 shown]
	v_and_b32_e32 v10, 0xffff, v2
	v_lshrrev_b32_e32 v2, 16, v2
	;;#ASMSTART
	v_cvt_f32_f16 v42, v10;
	;;#ASMEND
	;;#ASMSTART
	v_cvt_f32_f16 v43, v2;
	;;#ASMEND
	global_load_dwordx2 v[10:11], v[8:9], off offset:768
	v_mov_b32_e32 v45, 0
	v_mov_b32_e32 v46, 0
	global_load_dword v44, v45, s[14:15]
	s_waitcnt vmcnt(1)
	v_cmp_ne_u16_sdwa s0, v10, v3 src0_sel:BYTE_0 src1_sel:DWORD
	s_and_saveexec_b32 s17, s0
	s_cbranch_execz .LBB268_633
; %bb.626:                              ;   in Loop: Header=BB268_426 Depth=1
	v_cmp_ne_u16_sdwa s0, v10, v22 src0_sel:BYTE_0 src1_sel:DWORD
	v_mov_b32_e32 v46, 0x8000
	s_and_saveexec_b32 s18, s0
	s_cbranch_execz .LBB268_632
; %bb.627:                              ;   in Loop: Header=BB268_426 Depth=1
	v_and_b32_e32 v47, 0x7f, v10
	v_mov_b32_e32 v46, 0x7c01
	s_mov_b32 s21, exec_lo
	v_cmpx_ne_u32_e32 0x7f, v47
	s_cbranch_execz .LBB268_631
; %bb.628:                              ;   in Loop: Header=BB268_426 Depth=1
	v_and_b32_e32 v2, 7, v10
	v_lshrrev_b32_e32 v46, 3, v47
	s_mov_b32 s22, exec_lo
	v_cmpx_gt_u32_e32 8, v47
; %bb.629:                              ;   in Loop: Header=BB268_426 Depth=1
	v_ffbh_u32_e32 v2, v2
	v_min_u32_e32 v2, 32, v2
	v_subrev_nc_u32_e32 v46, 28, v2
	v_lshlrev_b64 v[47:48], v46, v[10:11]
	v_sub_nc_u32_e32 v46, 29, v2
	v_and_b32_e32 v2, 7, v47
; %bb.630:                              ;   in Loop: Header=BB268_426 Depth=1
	s_or_b32 exec_lo, exec_lo, s22
	v_lshlrev_b32_e32 v47, 8, v10
	v_lshl_add_u32 v46, v46, 10, 0x2000
	v_lshlrev_b32_e32 v2, 7, v2
	v_and_b32_e32 v47, 0x8000, v47
	v_and_b32_e32 v46, 0xfc00, v46
	v_or3_b32 v46, v47, v46, v2
.LBB268_631:                            ;   in Loop: Header=BB268_426 Depth=1
	s_or_b32 exec_lo, exec_lo, s21
.LBB268_632:                            ;   in Loop: Header=BB268_426 Depth=1
	s_or_b32 exec_lo, exec_lo, s18
.LBB268_633:                            ;   in Loop: Header=BB268_426 Depth=1
	s_or_b32 exec_lo, exec_lo, s17
	v_lshrrev_b16 v2, 8, v10
	s_mov_b32 s17, exec_lo
	v_cmpx_ne_u16_e32 0, v2
	s_cbranch_execz .LBB268_641
; %bb.634:                              ;   in Loop: Header=BB268_426 Depth=1
	v_bfrev_b32_e32 v45, 1
	s_mov_b32 s18, exec_lo
	v_cmpx_ne_u16_e32 0x80, v2
	s_cbranch_execz .LBB268_640
; %bb.635:                              ;   in Loop: Header=BB268_426 Depth=1
	v_and_b32_sdwa v48, v2, v23 dst_sel:DWORD dst_unused:UNUSED_PAD src0_sel:WORD_0 src1_sel:DWORD
	v_mov_b32_e32 v45, 0x7c010000
	s_mov_b32 s21, exec_lo
	v_cmpx_ne_u32_e32 0x7f, v48
	s_cbranch_execz .LBB268_639
; %bb.636:                              ;   in Loop: Header=BB268_426 Depth=1
	v_and_b32_sdwa v45, v2, v24 dst_sel:DWORD dst_unused:UNUSED_PAD src0_sel:WORD_0 src1_sel:DWORD
	v_lshrrev_b32_e32 v47, 3, v48
	s_mov_b32 s22, exec_lo
	v_cmpx_gt_u32_e32 8, v48
; %bb.637:                              ;   in Loop: Header=BB268_426 Depth=1
	v_ffbh_u32_e32 v45, v45
	v_min_u32_e32 v45, 32, v45
	v_subrev_nc_u32_e32 v47, 28, v45
	v_lshlrev_b64 v[48:49], v47, v[2:3]
	v_sub_nc_u32_e32 v47, 29, v45
	v_and_b32_e32 v45, 7, v48
; %bb.638:                              ;   in Loop: Header=BB268_426 Depth=1
	s_or_b32 exec_lo, exec_lo, s22
	v_lshlrev_b32_sdwa v2, v25, v2 dst_sel:DWORD dst_unused:UNUSED_PAD src0_sel:DWORD src1_sel:WORD_0
	v_lshl_add_u32 v47, v47, 10, 0x2000
	v_lshlrev_b32_e32 v45, 23, v45
	v_and_or_b32 v2, 0x8000, v2, v47
	v_lshl_or_b32 v45, v2, 16, v45
.LBB268_639:                            ;   in Loop: Header=BB268_426 Depth=1
	s_or_b32 exec_lo, exec_lo, s21
.LBB268_640:                            ;   in Loop: Header=BB268_426 Depth=1
	s_or_b32 exec_lo, exec_lo, s18
.LBB268_641:                            ;   in Loop: Header=BB268_426 Depth=1
	s_or_b32 exec_lo, exec_lo, s17
	v_lshrrev_b32_e32 v2, 16, v10
	v_mov_b32_e32 v47, 0
	v_mov_b32_e32 v48, 0
	v_cmp_ne_u16_sdwa s0, v2, v3 src0_sel:BYTE_0 src1_sel:DWORD
	s_and_saveexec_b32 s17, s0
	s_cbranch_execz .LBB268_649
; %bb.642:                              ;   in Loop: Header=BB268_426 Depth=1
	v_cmp_ne_u16_sdwa s0, v2, v22 src0_sel:BYTE_0 src1_sel:DWORD
	v_mov_b32_e32 v48, 0x8000
	s_and_saveexec_b32 s18, s0
	s_cbranch_execz .LBB268_648
; %bb.643:                              ;   in Loop: Header=BB268_426 Depth=1
	v_bfe_u32 v50, v10, 16, 7
	v_mov_b32_e32 v48, 0x7c01
	s_mov_b32 s21, exec_lo
	v_cmpx_ne_u32_e32 0x7f, v50
	s_cbranch_execz .LBB268_647
; %bb.644:                              ;   in Loop: Header=BB268_426 Depth=1
	v_and_b32_e32 v48, 7, v2
	v_lshrrev_b32_e32 v49, 3, v50
	s_mov_b32 s22, exec_lo
	v_cmpx_gt_u32_e32 8, v50
; %bb.645:                              ;   in Loop: Header=BB268_426 Depth=1
	v_ffbh_u32_e32 v48, v48
	v_min_u32_e32 v50, 32, v48
	v_subrev_nc_u32_e32 v48, 28, v50
	v_lshlrev_b64 v[48:49], v48, v[2:3]
	v_sub_nc_u32_e32 v49, 29, v50
	v_and_b32_e32 v48, 7, v48
; %bb.646:                              ;   in Loop: Header=BB268_426 Depth=1
	s_or_b32 exec_lo, exec_lo, s22
	v_lshlrev_b32_e32 v2, 8, v2
	v_lshl_add_u32 v49, v49, 10, 0x2000
	v_lshlrev_b32_e32 v48, 7, v48
	v_and_b32_e32 v2, 0x8000, v2
	v_and_b32_e32 v49, 0xfc00, v49
	v_or3_b32 v48, v2, v49, v48
.LBB268_647:                            ;   in Loop: Header=BB268_426 Depth=1
	s_or_b32 exec_lo, exec_lo, s21
.LBB268_648:                            ;   in Loop: Header=BB268_426 Depth=1
	s_or_b32 exec_lo, exec_lo, s18
.LBB268_649:                            ;   in Loop: Header=BB268_426 Depth=1
	s_or_b32 exec_lo, exec_lo, s17
	s_mov_b32 s17, exec_lo
	v_cmpx_lt_u32_e32 0xffffff, v10
	s_cbranch_execz .LBB268_657
; %bb.650:                              ;   in Loop: Header=BB268_426 Depth=1
	v_lshrrev_b32_e32 v2, 24, v10
	v_bfrev_b32_e32 v47, 1
	s_mov_b32 s18, exec_lo
	v_cmpx_ne_u32_e32 0x80, v2
	s_cbranch_execz .LBB268_656
; %bb.651:                              ;   in Loop: Header=BB268_426 Depth=1
	v_and_b32_e32 v50, 0x7f, v2
	v_mov_b32_e32 v47, 0x7c010000
	s_mov_b32 s21, exec_lo
	v_cmpx_ne_u32_e32 0x7f, v50
	s_cbranch_execz .LBB268_655
; %bb.652:                              ;   in Loop: Header=BB268_426 Depth=1
	v_and_b32_e32 v47, 7, v2
	v_lshrrev_b32_e32 v49, 3, v50
	s_mov_b32 s22, exec_lo
	v_cmpx_gt_u32_e32 8, v50
; %bb.653:                              ;   in Loop: Header=BB268_426 Depth=1
	v_ffbh_u32_e32 v47, v47
	v_min_u32_e32 v47, 32, v47
	v_subrev_nc_u32_e32 v49, 28, v47
	v_lshlrev_b64 v[50:51], v49, v[2:3]
	v_sub_nc_u32_e32 v49, 29, v47
	v_and_b32_e32 v47, 7, v50
; %bb.654:                              ;   in Loop: Header=BB268_426 Depth=1
	s_or_b32 exec_lo, exec_lo, s22
	v_lshlrev_b32_e32 v2, 8, v2
	v_lshl_add_u32 v49, v49, 10, 0x2000
	v_lshlrev_b32_e32 v47, 23, v47
	v_and_or_b32 v2, 0x8000, v2, v49
	v_lshl_or_b32 v47, v2, 16, v47
.LBB268_655:                            ;   in Loop: Header=BB268_426 Depth=1
	s_or_b32 exec_lo, exec_lo, s21
.LBB268_656:                            ;   in Loop: Header=BB268_426 Depth=1
	s_or_b32 exec_lo, exec_lo, s18
.LBB268_657:                            ;   in Loop: Header=BB268_426 Depth=1
	s_or_b32 exec_lo, exec_lo, s17
	v_mov_b32_e32 v2, v11
	v_cmp_ne_u16_sdwa s0, v11, v3 src0_sel:BYTE_0 src1_sel:DWORD
	v_mov_b32_e32 v49, 0
	v_mov_b32_e32 v50, 0
	s_and_saveexec_b32 s17, s0
	s_cbranch_execz .LBB268_665
; %bb.658:                              ;   in Loop: Header=BB268_426 Depth=1
	v_cmp_ne_u16_sdwa s0, v11, v22 src0_sel:BYTE_0 src1_sel:DWORD
	v_mov_b32_e32 v50, 0x8000
	s_and_saveexec_b32 s18, s0
	s_cbranch_execz .LBB268_664
; %bb.659:                              ;   in Loop: Header=BB268_426 Depth=1
	v_and_b32_e32 v52, 0x7f, v11
	v_mov_b32_e32 v50, 0x7c01
	s_mov_b32 s21, exec_lo
	v_cmpx_ne_u32_e32 0x7f, v52
	s_cbranch_execz .LBB268_663
; %bb.660:                              ;   in Loop: Header=BB268_426 Depth=1
	v_and_b32_e32 v50, 7, v11
	v_lshrrev_b32_e32 v51, 3, v52
	s_mov_b32 s22, exec_lo
	v_cmpx_gt_u32_e32 8, v52
; %bb.661:                              ;   in Loop: Header=BB268_426 Depth=1
	v_ffbh_u32_e32 v50, v50
	v_min_u32_e32 v52, 32, v50
	v_subrev_nc_u32_e32 v50, 28, v52
	v_lshlrev_b64 v[50:51], v50, v[2:3]
	v_sub_nc_u32_e32 v51, 29, v52
	v_and_b32_e32 v50, 7, v50
; %bb.662:                              ;   in Loop: Header=BB268_426 Depth=1
	s_or_b32 exec_lo, exec_lo, s22
	v_lshlrev_b32_e32 v52, 8, v11
	v_lshl_add_u32 v51, v51, 10, 0x2000
	v_lshlrev_b32_e32 v50, 7, v50
	v_and_b32_e32 v52, 0x8000, v52
	v_and_b32_e32 v51, 0xfc00, v51
	v_or3_b32 v50, v52, v51, v50
.LBB268_663:                            ;   in Loop: Header=BB268_426 Depth=1
	s_or_b32 exec_lo, exec_lo, s21
.LBB268_664:                            ;   in Loop: Header=BB268_426 Depth=1
	s_or_b32 exec_lo, exec_lo, s18
.LBB268_665:                            ;   in Loop: Header=BB268_426 Depth=1
	s_or_b32 exec_lo, exec_lo, s17
	v_lshrrev_b16 v2, 8, v2
	v_mov_b32_e32 v51, 0
	s_mov_b32 s17, exec_lo
	v_cmpx_ne_u16_e32 0, v2
	s_cbranch_execz .LBB268_673
; %bb.666:                              ;   in Loop: Header=BB268_426 Depth=1
	v_bfrev_b32_e32 v51, 1
	s_mov_b32 s18, exec_lo
	v_cmpx_ne_u16_e32 0x80, v2
	s_cbranch_execz .LBB268_672
; %bb.667:                              ;   in Loop: Header=BB268_426 Depth=1
	v_and_b32_sdwa v53, v2, v23 dst_sel:DWORD dst_unused:UNUSED_PAD src0_sel:WORD_0 src1_sel:DWORD
	v_mov_b32_e32 v51, 0x7c010000
	s_mov_b32 s21, exec_lo
	v_cmpx_ne_u32_e32 0x7f, v53
	s_cbranch_execz .LBB268_671
; %bb.668:                              ;   in Loop: Header=BB268_426 Depth=1
	v_and_b32_sdwa v51, v2, v24 dst_sel:DWORD dst_unused:UNUSED_PAD src0_sel:WORD_0 src1_sel:DWORD
	v_lshrrev_b32_e32 v52, 3, v53
	s_mov_b32 s22, exec_lo
	v_cmpx_gt_u32_e32 8, v53
; %bb.669:                              ;   in Loop: Header=BB268_426 Depth=1
	v_ffbh_u32_e32 v51, v51
	v_min_u32_e32 v53, 32, v51
	v_subrev_nc_u32_e32 v51, 28, v53
	v_lshlrev_b64 v[51:52], v51, v[2:3]
	v_sub_nc_u32_e32 v52, 29, v53
	v_and_b32_e32 v51, 7, v51
; %bb.670:                              ;   in Loop: Header=BB268_426 Depth=1
	s_or_b32 exec_lo, exec_lo, s22
	v_lshlrev_b32_sdwa v2, v25, v2 dst_sel:DWORD dst_unused:UNUSED_PAD src0_sel:DWORD src1_sel:WORD_0
	v_lshl_add_u32 v52, v52, 10, 0x2000
	v_lshlrev_b32_e32 v51, 23, v51
	v_and_or_b32 v2, 0x8000, v2, v52
	v_lshl_or_b32 v51, v2, 16, v51
.LBB268_671:                            ;   in Loop: Header=BB268_426 Depth=1
	s_or_b32 exec_lo, exec_lo, s21
.LBB268_672:                            ;   in Loop: Header=BB268_426 Depth=1
	s_or_b32 exec_lo, exec_lo, s18
.LBB268_673:                            ;   in Loop: Header=BB268_426 Depth=1
	s_or_b32 exec_lo, exec_lo, s17
	v_lshrrev_b32_e32 v2, 16, v11
	v_cmp_ne_u16_sdwa s0, v2, v3 src0_sel:BYTE_0 src1_sel:DWORD
	s_and_saveexec_b32 s17, s0
	s_cbranch_execz .LBB268_681
; %bb.674:                              ;   in Loop: Header=BB268_426 Depth=1
	v_cmp_ne_u16_sdwa s0, v2, v22 src0_sel:BYTE_0 src1_sel:DWORD
	v_mov_b32_e32 v49, 0x8000
	s_and_saveexec_b32 s18, s0
	s_cbranch_execz .LBB268_680
; %bb.675:                              ;   in Loop: Header=BB268_426 Depth=1
	v_bfe_u32 v53, v11, 16, 7
	v_mov_b32_e32 v49, 0x7c01
	s_mov_b32 s21, exec_lo
	v_cmpx_ne_u32_e32 0x7f, v53
	s_cbranch_execz .LBB268_679
; %bb.676:                              ;   in Loop: Header=BB268_426 Depth=1
	v_and_b32_e32 v49, 7, v2
	v_lshrrev_b32_e32 v52, 3, v53
	s_mov_b32 s22, exec_lo
	v_cmpx_gt_u32_e32 8, v53
; %bb.677:                              ;   in Loop: Header=BB268_426 Depth=1
	v_ffbh_u32_e32 v49, v49
	v_min_u32_e32 v49, 32, v49
	v_subrev_nc_u32_e32 v52, 28, v49
	v_lshlrev_b64 v[53:54], v52, v[2:3]
	v_sub_nc_u32_e32 v52, 29, v49
	v_and_b32_e32 v49, 7, v53
; %bb.678:                              ;   in Loop: Header=BB268_426 Depth=1
	s_or_b32 exec_lo, exec_lo, s22
	v_lshlrev_b32_e32 v2, 8, v2
	v_lshl_add_u32 v52, v52, 10, 0x2000
	v_lshlrev_b32_e32 v49, 7, v49
	v_and_b32_e32 v2, 0x8000, v2
	v_and_b32_e32 v52, 0xfc00, v52
	v_or3_b32 v49, v2, v52, v49
.LBB268_679:                            ;   in Loop: Header=BB268_426 Depth=1
	s_or_b32 exec_lo, exec_lo, s21
.LBB268_680:                            ;   in Loop: Header=BB268_426 Depth=1
	s_or_b32 exec_lo, exec_lo, s18
.LBB268_681:                            ;   in Loop: Header=BB268_426 Depth=1
	s_or_b32 exec_lo, exec_lo, s17
	v_cmp_lt_u64_e64 s0, s[4:5], v[10:11]
	v_mov_b32_e32 v10, 0
	s_and_saveexec_b32 s17, s0
	s_cbranch_execz .LBB268_689
; %bb.682:                              ;   in Loop: Header=BB268_426 Depth=1
	v_lshrrev_b32_e32 v2, 24, v11
	v_bfrev_b32_e32 v10, 1
	s_mov_b32 s18, exec_lo
	v_cmpx_ne_u32_e32 0x80, v2
	s_cbranch_execz .LBB268_688
; %bb.683:                              ;   in Loop: Header=BB268_426 Depth=1
	v_and_b32_e32 v52, 0x7f, v2
	v_mov_b32_e32 v10, 0x7c010000
	s_mov_b32 s21, exec_lo
	v_cmpx_ne_u32_e32 0x7f, v52
	s_cbranch_execz .LBB268_687
; %bb.684:                              ;   in Loop: Header=BB268_426 Depth=1
	v_and_b32_e32 v10, 7, v2
	v_lshrrev_b32_e32 v11, 3, v52
	s_mov_b32 s22, exec_lo
	v_cmpx_gt_u32_e32 8, v52
; %bb.685:                              ;   in Loop: Header=BB268_426 Depth=1
	v_ffbh_u32_e32 v10, v10
	v_min_u32_e32 v52, 32, v10
	v_subrev_nc_u32_e32 v10, 28, v52
	v_lshlrev_b64 v[10:11], v10, v[2:3]
	v_sub_nc_u32_e32 v11, 29, v52
	v_and_b32_e32 v10, 7, v10
; %bb.686:                              ;   in Loop: Header=BB268_426 Depth=1
	s_or_b32 exec_lo, exec_lo, s22
	v_lshlrev_b32_e32 v2, 8, v2
	v_lshl_add_u32 v11, v11, 10, 0x2000
	v_lshlrev_b32_e32 v10, 23, v10
	v_and_or_b32 v2, 0x8000, v2, v11
	v_lshl_or_b32 v10, v2, 16, v10
.LBB268_687:                            ;   in Loop: Header=BB268_426 Depth=1
	s_or_b32 exec_lo, exec_lo, s21
.LBB268_688:                            ;   in Loop: Header=BB268_426 Depth=1
	s_or_b32 exec_lo, exec_lo, s18
.LBB268_689:                            ;   in Loop: Header=BB268_426 Depth=1
	s_or_b32 exec_lo, exec_lo, s17
	v_or_b32_e32 v2, v47, v48
	s_waitcnt vmcnt(0)
	v_fma_mixlo_f16 v11, v44, v47, 0 op_sel:[0,1,0] op_sel_hi:[0,1,0]
	v_or_b32_e32 v47, v45, v46
	v_fma_mixlo_f16 v45, v44, v45, 0 op_sel:[0,1,0] op_sel_hi:[0,1,0]
	v_or_b32_e32 v48, v51, v50
	v_or_b32_e32 v49, v10, v49
	v_fma_mixlo_f16 v50, v44, v2, 0 op_sel_hi:[0,1,0]
	v_fma_mixlo_f16 v10, v44, v10, 0 op_sel:[0,1,0] op_sel_hi:[0,1,0]
	v_lshlrev_b32_e32 v46, 16, v45
	v_fma_mixlo_f16 v45, v44, v47, 0 op_sel_hi:[0,1,0]
	v_fma_mixlo_f16 v47, v44, v51, 0 op_sel:[0,1,0] op_sel_hi:[0,1,0]
	v_fma_mixlo_f16 v48, v44, v48, 0 op_sel_hi:[0,1,0]
	v_fma_mixlo_f16 v49, v44, v49, 0 op_sel_hi:[0,1,0]
	v_lshlrev_b32_e32 v2, 16, v11
	v_and_b32_e32 v11, 0xffff, v50
	v_and_b32_e32 v52, 0xffff, v45
	v_lshlrev_b32_e32 v44, 16, v47
	v_and_b32_e32 v48, 0xffff, v48
	v_lshlrev_b32_e32 v10, 16, v10
	v_and_b32_e32 v45, 0xffff, v49
	v_or_b32_e32 v47, v2, v11
	v_or_b32_e32 v51, v46, v52
	;; [unrolled: 1-line block ×4, first 2 shown]
	s_and_saveexec_b32 s17, vcc_lo
	s_cbranch_execz .LBB268_691
; %bb.690:                              ;   in Loop: Header=BB268_426 Depth=1
	v_cmp_gt_i32_e64 s0, s31, v13
	v_cndmask_b32_e64 v47, 0, v52, s0
	v_cmp_gt_i32_e64 s0, s31, v33
	v_cndmask_b32_e64 v46, 0, v46, s0
	v_cmp_gt_i32_e64 s0, s31, v32
	v_or_b32_e32 v51, v46, v47
	v_cndmask_b32_e64 v11, 0, v11, s0
	v_cmp_gt_i32_e64 s0, s31, v31
	v_cndmask_b32_e64 v2, 0, v2, s0
	v_cmp_gt_i32_e64 s0, s31, v30
	v_or_b32_e32 v47, v2, v11
	;; [unrolled: 5-line block ×3, first 2 shown]
	v_cndmask_b32_e64 v45, 0, v45, s0
	v_cmp_gt_i32_e64 s0, s31, v27
	v_cndmask_b32_e64 v10, 0, v10, s0
	v_or_b32_e32 v49, v10, v45
.LBB268_691:                            ;   in Loop: Header=BB268_426 Depth=1
	s_or_b32 exec_lo, exec_lo, s17
	;;#ASMSTART
	v_pk_mul_f16 v2, v39, v51;

	;;#ASMEND
	;;#ASMSTART
	v_pk_mul_f16 v10, v38, v47;

	;;#ASMEND
	;; [unrolled: 4-line block ×4, first 2 shown]
	;;#ASMSTART
	v_pk_add_f16 v2, v2, v10;

	;;#ASMEND
	;;#ASMSTART
	v_pk_add_f16 v2, v2, v11;

	;;#ASMEND
	;; [unrolled: 4-line block ×3, first 2 shown]
	v_and_b32_e32 v10, 0xffff, v2
	v_lshrrev_b32_e32 v2, 16, v2
	;;#ASMSTART
	v_cvt_f32_f16 v44, v10;
	;;#ASMEND
	;;#ASMSTART
	v_cvt_f32_f16 v45, v2;
	;;#ASMEND
	global_load_dwordx2 v[10:11], v[8:9], off offset:1024
	v_mov_b32_e32 v47, 0
	v_mov_b32_e32 v48, 0
	global_load_dword v46, v47, s[14:15]
	s_waitcnt vmcnt(1)
	v_cmp_ne_u16_sdwa s0, v10, v3 src0_sel:BYTE_0 src1_sel:DWORD
	s_and_saveexec_b32 s17, s0
	s_cbranch_execz .LBB268_699
; %bb.692:                              ;   in Loop: Header=BB268_426 Depth=1
	v_cmp_ne_u16_sdwa s0, v10, v22 src0_sel:BYTE_0 src1_sel:DWORD
	v_mov_b32_e32 v48, 0x8000
	s_and_saveexec_b32 s18, s0
	s_cbranch_execz .LBB268_698
; %bb.693:                              ;   in Loop: Header=BB268_426 Depth=1
	v_and_b32_e32 v49, 0x7f, v10
	v_mov_b32_e32 v48, 0x7c01
	s_mov_b32 s21, exec_lo
	v_cmpx_ne_u32_e32 0x7f, v49
	s_cbranch_execz .LBB268_697
; %bb.694:                              ;   in Loop: Header=BB268_426 Depth=1
	v_and_b32_e32 v2, 7, v10
	v_lshrrev_b32_e32 v48, 3, v49
	s_mov_b32 s22, exec_lo
	v_cmpx_gt_u32_e32 8, v49
; %bb.695:                              ;   in Loop: Header=BB268_426 Depth=1
	v_ffbh_u32_e32 v2, v2
	v_min_u32_e32 v2, 32, v2
	v_subrev_nc_u32_e32 v48, 28, v2
	v_lshlrev_b64 v[49:50], v48, v[10:11]
	v_sub_nc_u32_e32 v48, 29, v2
	v_and_b32_e32 v2, 7, v49
; %bb.696:                              ;   in Loop: Header=BB268_426 Depth=1
	s_or_b32 exec_lo, exec_lo, s22
	v_lshlrev_b32_e32 v49, 8, v10
	v_lshl_add_u32 v48, v48, 10, 0x2000
	v_lshlrev_b32_e32 v2, 7, v2
	v_and_b32_e32 v49, 0x8000, v49
	v_and_b32_e32 v48, 0xfc00, v48
	v_or3_b32 v48, v49, v48, v2
.LBB268_697:                            ;   in Loop: Header=BB268_426 Depth=1
	s_or_b32 exec_lo, exec_lo, s21
.LBB268_698:                            ;   in Loop: Header=BB268_426 Depth=1
	s_or_b32 exec_lo, exec_lo, s18
.LBB268_699:                            ;   in Loop: Header=BB268_426 Depth=1
	s_or_b32 exec_lo, exec_lo, s17
	v_lshrrev_b16 v2, 8, v10
	s_mov_b32 s17, exec_lo
	v_cmpx_ne_u16_e32 0, v2
	s_cbranch_execz .LBB268_707
; %bb.700:                              ;   in Loop: Header=BB268_426 Depth=1
	v_bfrev_b32_e32 v47, 1
	s_mov_b32 s18, exec_lo
	v_cmpx_ne_u16_e32 0x80, v2
	s_cbranch_execz .LBB268_706
; %bb.701:                              ;   in Loop: Header=BB268_426 Depth=1
	v_and_b32_sdwa v50, v2, v23 dst_sel:DWORD dst_unused:UNUSED_PAD src0_sel:WORD_0 src1_sel:DWORD
	v_mov_b32_e32 v47, 0x7c010000
	s_mov_b32 s21, exec_lo
	v_cmpx_ne_u32_e32 0x7f, v50
	s_cbranch_execz .LBB268_705
; %bb.702:                              ;   in Loop: Header=BB268_426 Depth=1
	v_and_b32_sdwa v47, v2, v24 dst_sel:DWORD dst_unused:UNUSED_PAD src0_sel:WORD_0 src1_sel:DWORD
	v_lshrrev_b32_e32 v49, 3, v50
	s_mov_b32 s22, exec_lo
	v_cmpx_gt_u32_e32 8, v50
; %bb.703:                              ;   in Loop: Header=BB268_426 Depth=1
	v_ffbh_u32_e32 v47, v47
	v_min_u32_e32 v47, 32, v47
	v_subrev_nc_u32_e32 v49, 28, v47
	v_lshlrev_b64 v[50:51], v49, v[2:3]
	v_sub_nc_u32_e32 v49, 29, v47
	v_and_b32_e32 v47, 7, v50
; %bb.704:                              ;   in Loop: Header=BB268_426 Depth=1
	s_or_b32 exec_lo, exec_lo, s22
	v_lshlrev_b32_sdwa v2, v25, v2 dst_sel:DWORD dst_unused:UNUSED_PAD src0_sel:DWORD src1_sel:WORD_0
	v_lshl_add_u32 v49, v49, 10, 0x2000
	v_lshlrev_b32_e32 v47, 23, v47
	v_and_or_b32 v2, 0x8000, v2, v49
	v_lshl_or_b32 v47, v2, 16, v47
.LBB268_705:                            ;   in Loop: Header=BB268_426 Depth=1
	s_or_b32 exec_lo, exec_lo, s21
.LBB268_706:                            ;   in Loop: Header=BB268_426 Depth=1
	s_or_b32 exec_lo, exec_lo, s18
.LBB268_707:                            ;   in Loop: Header=BB268_426 Depth=1
	s_or_b32 exec_lo, exec_lo, s17
	v_lshrrev_b32_e32 v2, 16, v10
	v_mov_b32_e32 v49, 0
	v_mov_b32_e32 v50, 0
	v_cmp_ne_u16_sdwa s0, v2, v3 src0_sel:BYTE_0 src1_sel:DWORD
	s_and_saveexec_b32 s17, s0
	s_cbranch_execz .LBB268_715
; %bb.708:                              ;   in Loop: Header=BB268_426 Depth=1
	v_cmp_ne_u16_sdwa s0, v2, v22 src0_sel:BYTE_0 src1_sel:DWORD
	v_mov_b32_e32 v50, 0x8000
	s_and_saveexec_b32 s18, s0
	s_cbranch_execz .LBB268_714
; %bb.709:                              ;   in Loop: Header=BB268_426 Depth=1
	v_bfe_u32 v52, v10, 16, 7
	v_mov_b32_e32 v50, 0x7c01
	s_mov_b32 s21, exec_lo
	v_cmpx_ne_u32_e32 0x7f, v52
	s_cbranch_execz .LBB268_713
; %bb.710:                              ;   in Loop: Header=BB268_426 Depth=1
	v_and_b32_e32 v50, 7, v2
	v_lshrrev_b32_e32 v51, 3, v52
	s_mov_b32 s22, exec_lo
	v_cmpx_gt_u32_e32 8, v52
; %bb.711:                              ;   in Loop: Header=BB268_426 Depth=1
	v_ffbh_u32_e32 v50, v50
	v_min_u32_e32 v52, 32, v50
	v_subrev_nc_u32_e32 v50, 28, v52
	v_lshlrev_b64 v[50:51], v50, v[2:3]
	v_sub_nc_u32_e32 v51, 29, v52
	v_and_b32_e32 v50, 7, v50
; %bb.712:                              ;   in Loop: Header=BB268_426 Depth=1
	s_or_b32 exec_lo, exec_lo, s22
	v_lshlrev_b32_e32 v2, 8, v2
	v_lshl_add_u32 v51, v51, 10, 0x2000
	v_lshlrev_b32_e32 v50, 7, v50
	v_and_b32_e32 v2, 0x8000, v2
	v_and_b32_e32 v51, 0xfc00, v51
	v_or3_b32 v50, v2, v51, v50
.LBB268_713:                            ;   in Loop: Header=BB268_426 Depth=1
	s_or_b32 exec_lo, exec_lo, s21
.LBB268_714:                            ;   in Loop: Header=BB268_426 Depth=1
	s_or_b32 exec_lo, exec_lo, s18
.LBB268_715:                            ;   in Loop: Header=BB268_426 Depth=1
	s_or_b32 exec_lo, exec_lo, s17
	s_mov_b32 s17, exec_lo
	v_cmpx_lt_u32_e32 0xffffff, v10
	s_cbranch_execz .LBB268_723
; %bb.716:                              ;   in Loop: Header=BB268_426 Depth=1
	v_lshrrev_b32_e32 v2, 24, v10
	v_bfrev_b32_e32 v49, 1
	s_mov_b32 s18, exec_lo
	v_cmpx_ne_u32_e32 0x80, v2
	s_cbranch_execz .LBB268_722
; %bb.717:                              ;   in Loop: Header=BB268_426 Depth=1
	v_and_b32_e32 v52, 0x7f, v2
	v_mov_b32_e32 v49, 0x7c010000
	s_mov_b32 s21, exec_lo
	v_cmpx_ne_u32_e32 0x7f, v52
	s_cbranch_execz .LBB268_721
; %bb.718:                              ;   in Loop: Header=BB268_426 Depth=1
	v_and_b32_e32 v49, 7, v2
	v_lshrrev_b32_e32 v51, 3, v52
	s_mov_b32 s22, exec_lo
	v_cmpx_gt_u32_e32 8, v52
; %bb.719:                              ;   in Loop: Header=BB268_426 Depth=1
	v_ffbh_u32_e32 v49, v49
	v_min_u32_e32 v49, 32, v49
	v_subrev_nc_u32_e32 v51, 28, v49
	v_lshlrev_b64 v[52:53], v51, v[2:3]
	v_sub_nc_u32_e32 v51, 29, v49
	v_and_b32_e32 v49, 7, v52
; %bb.720:                              ;   in Loop: Header=BB268_426 Depth=1
	s_or_b32 exec_lo, exec_lo, s22
	v_lshlrev_b32_e32 v2, 8, v2
	v_lshl_add_u32 v51, v51, 10, 0x2000
	v_lshlrev_b32_e32 v49, 23, v49
	v_and_or_b32 v2, 0x8000, v2, v51
	v_lshl_or_b32 v49, v2, 16, v49
.LBB268_721:                            ;   in Loop: Header=BB268_426 Depth=1
	s_or_b32 exec_lo, exec_lo, s21
.LBB268_722:                            ;   in Loop: Header=BB268_426 Depth=1
	s_or_b32 exec_lo, exec_lo, s18
.LBB268_723:                            ;   in Loop: Header=BB268_426 Depth=1
	s_or_b32 exec_lo, exec_lo, s17
	v_mov_b32_e32 v2, v11
	v_cmp_ne_u16_sdwa s0, v11, v3 src0_sel:BYTE_0 src1_sel:DWORD
	v_mov_b32_e32 v51, 0
	v_mov_b32_e32 v52, 0
	s_and_saveexec_b32 s17, s0
	s_cbranch_execz .LBB268_731
; %bb.724:                              ;   in Loop: Header=BB268_426 Depth=1
	v_cmp_ne_u16_sdwa s0, v11, v22 src0_sel:BYTE_0 src1_sel:DWORD
	v_mov_b32_e32 v52, 0x8000
	s_and_saveexec_b32 s18, s0
	s_cbranch_execz .LBB268_730
; %bb.725:                              ;   in Loop: Header=BB268_426 Depth=1
	v_and_b32_e32 v54, 0x7f, v11
	v_mov_b32_e32 v52, 0x7c01
	s_mov_b32 s21, exec_lo
	v_cmpx_ne_u32_e32 0x7f, v54
	s_cbranch_execz .LBB268_729
; %bb.726:                              ;   in Loop: Header=BB268_426 Depth=1
	v_and_b32_e32 v52, 7, v11
	v_lshrrev_b32_e32 v53, 3, v54
	s_mov_b32 s22, exec_lo
	v_cmpx_gt_u32_e32 8, v54
; %bb.727:                              ;   in Loop: Header=BB268_426 Depth=1
	v_ffbh_u32_e32 v52, v52
	v_min_u32_e32 v54, 32, v52
	v_subrev_nc_u32_e32 v52, 28, v54
	v_lshlrev_b64 v[52:53], v52, v[2:3]
	v_sub_nc_u32_e32 v53, 29, v54
	v_and_b32_e32 v52, 7, v52
; %bb.728:                              ;   in Loop: Header=BB268_426 Depth=1
	s_or_b32 exec_lo, exec_lo, s22
	v_lshlrev_b32_e32 v54, 8, v11
	v_lshl_add_u32 v53, v53, 10, 0x2000
	v_lshlrev_b32_e32 v52, 7, v52
	v_and_b32_e32 v54, 0x8000, v54
	v_and_b32_e32 v53, 0xfc00, v53
	v_or3_b32 v52, v54, v53, v52
.LBB268_729:                            ;   in Loop: Header=BB268_426 Depth=1
	s_or_b32 exec_lo, exec_lo, s21
.LBB268_730:                            ;   in Loop: Header=BB268_426 Depth=1
	s_or_b32 exec_lo, exec_lo, s18
.LBB268_731:                            ;   in Loop: Header=BB268_426 Depth=1
	s_or_b32 exec_lo, exec_lo, s17
	v_lshrrev_b16 v2, 8, v2
	v_mov_b32_e32 v53, 0
	s_mov_b32 s17, exec_lo
	v_cmpx_ne_u16_e32 0, v2
	s_cbranch_execz .LBB268_739
; %bb.732:                              ;   in Loop: Header=BB268_426 Depth=1
	v_bfrev_b32_e32 v53, 1
	s_mov_b32 s18, exec_lo
	v_cmpx_ne_u16_e32 0x80, v2
	s_cbranch_execz .LBB268_738
; %bb.733:                              ;   in Loop: Header=BB268_426 Depth=1
	v_and_b32_sdwa v55, v2, v23 dst_sel:DWORD dst_unused:UNUSED_PAD src0_sel:WORD_0 src1_sel:DWORD
	v_mov_b32_e32 v53, 0x7c010000
	s_mov_b32 s21, exec_lo
	v_cmpx_ne_u32_e32 0x7f, v55
	s_cbranch_execz .LBB268_737
; %bb.734:                              ;   in Loop: Header=BB268_426 Depth=1
	v_and_b32_sdwa v53, v2, v24 dst_sel:DWORD dst_unused:UNUSED_PAD src0_sel:WORD_0 src1_sel:DWORD
	v_lshrrev_b32_e32 v54, 3, v55
	s_mov_b32 s22, exec_lo
	v_cmpx_gt_u32_e32 8, v55
; %bb.735:                              ;   in Loop: Header=BB268_426 Depth=1
	v_ffbh_u32_e32 v53, v53
	v_min_u32_e32 v55, 32, v53
	v_subrev_nc_u32_e32 v53, 28, v55
	v_lshlrev_b64 v[53:54], v53, v[2:3]
	v_sub_nc_u32_e32 v54, 29, v55
	v_and_b32_e32 v53, 7, v53
; %bb.736:                              ;   in Loop: Header=BB268_426 Depth=1
	s_or_b32 exec_lo, exec_lo, s22
	v_lshlrev_b32_sdwa v2, v25, v2 dst_sel:DWORD dst_unused:UNUSED_PAD src0_sel:DWORD src1_sel:WORD_0
	v_lshl_add_u32 v54, v54, 10, 0x2000
	v_lshlrev_b32_e32 v53, 23, v53
	v_and_or_b32 v2, 0x8000, v2, v54
	v_lshl_or_b32 v53, v2, 16, v53
.LBB268_737:                            ;   in Loop: Header=BB268_426 Depth=1
	s_or_b32 exec_lo, exec_lo, s21
.LBB268_738:                            ;   in Loop: Header=BB268_426 Depth=1
	s_or_b32 exec_lo, exec_lo, s18
.LBB268_739:                            ;   in Loop: Header=BB268_426 Depth=1
	s_or_b32 exec_lo, exec_lo, s17
	v_lshrrev_b32_e32 v2, 16, v11
	v_cmp_ne_u16_sdwa s0, v2, v3 src0_sel:BYTE_0 src1_sel:DWORD
	s_and_saveexec_b32 s17, s0
	s_cbranch_execz .LBB268_747
; %bb.740:                              ;   in Loop: Header=BB268_426 Depth=1
	v_cmp_ne_u16_sdwa s0, v2, v22 src0_sel:BYTE_0 src1_sel:DWORD
	v_mov_b32_e32 v51, 0x8000
	s_and_saveexec_b32 s18, s0
	s_cbranch_execz .LBB268_746
; %bb.741:                              ;   in Loop: Header=BB268_426 Depth=1
	v_bfe_u32 v55, v11, 16, 7
	v_mov_b32_e32 v51, 0x7c01
	s_mov_b32 s21, exec_lo
	v_cmpx_ne_u32_e32 0x7f, v55
	s_cbranch_execz .LBB268_745
; %bb.742:                              ;   in Loop: Header=BB268_426 Depth=1
	v_and_b32_e32 v51, 7, v2
	v_lshrrev_b32_e32 v54, 3, v55
	s_mov_b32 s22, exec_lo
	v_cmpx_gt_u32_e32 8, v55
; %bb.743:                              ;   in Loop: Header=BB268_426 Depth=1
	v_ffbh_u32_e32 v51, v51
	v_min_u32_e32 v51, 32, v51
	v_subrev_nc_u32_e32 v54, 28, v51
	v_lshlrev_b64 v[55:56], v54, v[2:3]
	v_sub_nc_u32_e32 v54, 29, v51
	v_and_b32_e32 v51, 7, v55
; %bb.744:                              ;   in Loop: Header=BB268_426 Depth=1
	s_or_b32 exec_lo, exec_lo, s22
	v_lshlrev_b32_e32 v2, 8, v2
	v_lshl_add_u32 v54, v54, 10, 0x2000
	v_lshlrev_b32_e32 v51, 7, v51
	v_and_b32_e32 v2, 0x8000, v2
	v_and_b32_e32 v54, 0xfc00, v54
	v_or3_b32 v51, v2, v54, v51
.LBB268_745:                            ;   in Loop: Header=BB268_426 Depth=1
	s_or_b32 exec_lo, exec_lo, s21
.LBB268_746:                            ;   in Loop: Header=BB268_426 Depth=1
	s_or_b32 exec_lo, exec_lo, s18
.LBB268_747:                            ;   in Loop: Header=BB268_426 Depth=1
	s_or_b32 exec_lo, exec_lo, s17
	v_cmp_lt_u64_e64 s0, s[4:5], v[10:11]
	v_mov_b32_e32 v10, 0
	s_and_saveexec_b32 s17, s0
	s_cbranch_execz .LBB268_755
; %bb.748:                              ;   in Loop: Header=BB268_426 Depth=1
	v_lshrrev_b32_e32 v2, 24, v11
	v_bfrev_b32_e32 v10, 1
	s_mov_b32 s18, exec_lo
	v_cmpx_ne_u32_e32 0x80, v2
	s_cbranch_execz .LBB268_754
; %bb.749:                              ;   in Loop: Header=BB268_426 Depth=1
	v_and_b32_e32 v54, 0x7f, v2
	v_mov_b32_e32 v10, 0x7c010000
	s_mov_b32 s21, exec_lo
	v_cmpx_ne_u32_e32 0x7f, v54
	s_cbranch_execz .LBB268_753
; %bb.750:                              ;   in Loop: Header=BB268_426 Depth=1
	v_and_b32_e32 v10, 7, v2
	v_lshrrev_b32_e32 v11, 3, v54
	s_mov_b32 s22, exec_lo
	v_cmpx_gt_u32_e32 8, v54
; %bb.751:                              ;   in Loop: Header=BB268_426 Depth=1
	v_ffbh_u32_e32 v10, v10
	v_min_u32_e32 v54, 32, v10
	v_subrev_nc_u32_e32 v10, 28, v54
	v_lshlrev_b64 v[10:11], v10, v[2:3]
	v_sub_nc_u32_e32 v11, 29, v54
	v_and_b32_e32 v10, 7, v10
; %bb.752:                              ;   in Loop: Header=BB268_426 Depth=1
	s_or_b32 exec_lo, exec_lo, s22
	v_lshlrev_b32_e32 v2, 8, v2
	v_lshl_add_u32 v11, v11, 10, 0x2000
	v_lshlrev_b32_e32 v10, 23, v10
	v_and_or_b32 v2, 0x8000, v2, v11
	v_lshl_or_b32 v10, v2, 16, v10
.LBB268_753:                            ;   in Loop: Header=BB268_426 Depth=1
	s_or_b32 exec_lo, exec_lo, s21
.LBB268_754:                            ;   in Loop: Header=BB268_426 Depth=1
	s_or_b32 exec_lo, exec_lo, s18
.LBB268_755:                            ;   in Loop: Header=BB268_426 Depth=1
	s_or_b32 exec_lo, exec_lo, s17
	v_or_b32_e32 v2, v49, v50
	s_waitcnt vmcnt(0)
	v_fma_mixlo_f16 v11, v46, v49, 0 op_sel:[0,1,0] op_sel_hi:[0,1,0]
	v_or_b32_e32 v49, v47, v48
	v_fma_mixlo_f16 v47, v46, v47, 0 op_sel:[0,1,0] op_sel_hi:[0,1,0]
	v_or_b32_e32 v50, v53, v52
	v_or_b32_e32 v51, v10, v51
	v_fma_mixlo_f16 v52, v46, v2, 0 op_sel_hi:[0,1,0]
	v_fma_mixlo_f16 v10, v46, v10, 0 op_sel:[0,1,0] op_sel_hi:[0,1,0]
	v_lshlrev_b32_e32 v48, 16, v47
	v_fma_mixlo_f16 v47, v46, v49, 0 op_sel_hi:[0,1,0]
	v_fma_mixlo_f16 v49, v46, v53, 0 op_sel:[0,1,0] op_sel_hi:[0,1,0]
	v_fma_mixlo_f16 v50, v46, v50, 0 op_sel_hi:[0,1,0]
	v_fma_mixlo_f16 v51, v46, v51, 0 op_sel_hi:[0,1,0]
	v_lshlrev_b32_e32 v2, 16, v11
	v_and_b32_e32 v11, 0xffff, v52
	v_and_b32_e32 v54, 0xffff, v47
	v_lshlrev_b32_e32 v46, 16, v49
	v_and_b32_e32 v50, 0xffff, v50
	v_lshlrev_b32_e32 v10, 16, v10
	v_and_b32_e32 v47, 0xffff, v51
	v_or_b32_e32 v49, v2, v11
	v_or_b32_e32 v53, v48, v54
	;; [unrolled: 1-line block ×4, first 2 shown]
	s_and_saveexec_b32 s17, vcc_lo
	s_cbranch_execz .LBB268_757
; %bb.756:                              ;   in Loop: Header=BB268_426 Depth=1
	v_cmp_gt_i32_e64 s0, s31, v13
	v_cndmask_b32_e64 v49, 0, v54, s0
	v_cmp_gt_i32_e64 s0, s31, v33
	v_cndmask_b32_e64 v48, 0, v48, s0
	v_cmp_gt_i32_e64 s0, s31, v32
	v_or_b32_e32 v53, v48, v49
	v_cndmask_b32_e64 v11, 0, v11, s0
	v_cmp_gt_i32_e64 s0, s31, v31
	v_cndmask_b32_e64 v2, 0, v2, s0
	v_cmp_gt_i32_e64 s0, s31, v30
	v_or_b32_e32 v49, v2, v11
	;; [unrolled: 5-line block ×3, first 2 shown]
	v_cndmask_b32_e64 v47, 0, v47, s0
	v_cmp_gt_i32_e64 s0, s31, v27
	v_cndmask_b32_e64 v10, 0, v10, s0
	v_or_b32_e32 v51, v10, v47
.LBB268_757:                            ;   in Loop: Header=BB268_426 Depth=1
	s_or_b32 exec_lo, exec_lo, s17
	;;#ASMSTART
	v_pk_mul_f16 v2, v39, v53;

	;;#ASMEND
	;;#ASMSTART
	v_pk_mul_f16 v10, v38, v49;

	;;#ASMEND
	;;#ASMSTART
	v_pk_mul_f16 v11, v37, v52;

	;;#ASMEND
	;;#ASMSTART
	v_pk_mul_f16 v46, v36, v51;

	;;#ASMEND
	;;#ASMSTART
	v_pk_add_f16 v2, v2, v10;

	;;#ASMEND
	;;#ASMSTART
	v_pk_add_f16 v2, v2, v11;

	;;#ASMEND
	;; [unrolled: 4-line block ×3, first 2 shown]
	v_and_b32_e32 v10, 0xffff, v2
	v_lshrrev_b32_e32 v2, 16, v2
	;;#ASMSTART
	v_cvt_f32_f16 v10, v10;
	;;#ASMEND
	;;#ASMSTART
	v_cvt_f32_f16 v11, v2;
	;;#ASMEND
	global_load_dwordx2 v[8:9], v[8:9], off offset:1280
	v_mov_b32_e32 v47, 0
	v_mov_b32_e32 v48, 0
	global_load_dword v46, v47, s[14:15]
	s_waitcnt vmcnt(1)
	v_cmp_ne_u16_sdwa s0, v8, v3 src0_sel:BYTE_0 src1_sel:DWORD
	s_and_saveexec_b32 s17, s0
	s_cbranch_execz .LBB268_765
; %bb.758:                              ;   in Loop: Header=BB268_426 Depth=1
	v_cmp_ne_u16_sdwa s0, v8, v22 src0_sel:BYTE_0 src1_sel:DWORD
	v_mov_b32_e32 v48, 0x8000
	s_and_saveexec_b32 s18, s0
	s_cbranch_execz .LBB268_764
; %bb.759:                              ;   in Loop: Header=BB268_426 Depth=1
	v_and_b32_e32 v49, 0x7f, v8
	v_mov_b32_e32 v48, 0x7c01
	s_mov_b32 s21, exec_lo
	v_cmpx_ne_u32_e32 0x7f, v49
	s_cbranch_execz .LBB268_763
; %bb.760:                              ;   in Loop: Header=BB268_426 Depth=1
	v_and_b32_e32 v2, 7, v8
	v_lshrrev_b32_e32 v48, 3, v49
	s_mov_b32 s22, exec_lo
	v_cmpx_gt_u32_e32 8, v49
; %bb.761:                              ;   in Loop: Header=BB268_426 Depth=1
	v_ffbh_u32_e32 v2, v2
	v_min_u32_e32 v2, 32, v2
	v_subrev_nc_u32_e32 v48, 28, v2
	v_lshlrev_b64 v[49:50], v48, v[8:9]
	v_sub_nc_u32_e32 v48, 29, v2
	v_and_b32_e32 v2, 7, v49
; %bb.762:                              ;   in Loop: Header=BB268_426 Depth=1
	s_or_b32 exec_lo, exec_lo, s22
	v_lshlrev_b32_e32 v49, 8, v8
	v_lshl_add_u32 v48, v48, 10, 0x2000
	v_lshlrev_b32_e32 v2, 7, v2
	v_and_b32_e32 v49, 0x8000, v49
	v_and_b32_e32 v48, 0xfc00, v48
	v_or3_b32 v48, v49, v48, v2
.LBB268_763:                            ;   in Loop: Header=BB268_426 Depth=1
	s_or_b32 exec_lo, exec_lo, s21
.LBB268_764:                            ;   in Loop: Header=BB268_426 Depth=1
	s_or_b32 exec_lo, exec_lo, s18
.LBB268_765:                            ;   in Loop: Header=BB268_426 Depth=1
	s_or_b32 exec_lo, exec_lo, s17
	v_lshrrev_b16 v2, 8, v8
	s_mov_b32 s17, exec_lo
	v_cmpx_ne_u16_e32 0, v2
	s_cbranch_execz .LBB268_773
; %bb.766:                              ;   in Loop: Header=BB268_426 Depth=1
	v_bfrev_b32_e32 v47, 1
	s_mov_b32 s18, exec_lo
	v_cmpx_ne_u16_e32 0x80, v2
	s_cbranch_execz .LBB268_772
; %bb.767:                              ;   in Loop: Header=BB268_426 Depth=1
	v_and_b32_sdwa v50, v2, v23 dst_sel:DWORD dst_unused:UNUSED_PAD src0_sel:WORD_0 src1_sel:DWORD
	v_mov_b32_e32 v47, 0x7c010000
	s_mov_b32 s21, exec_lo
	v_cmpx_ne_u32_e32 0x7f, v50
	s_cbranch_execz .LBB268_771
; %bb.768:                              ;   in Loop: Header=BB268_426 Depth=1
	v_and_b32_sdwa v47, v2, v24 dst_sel:DWORD dst_unused:UNUSED_PAD src0_sel:WORD_0 src1_sel:DWORD
	v_lshrrev_b32_e32 v49, 3, v50
	s_mov_b32 s22, exec_lo
	v_cmpx_gt_u32_e32 8, v50
; %bb.769:                              ;   in Loop: Header=BB268_426 Depth=1
	v_ffbh_u32_e32 v47, v47
	v_min_u32_e32 v47, 32, v47
	v_subrev_nc_u32_e32 v49, 28, v47
	v_lshlrev_b64 v[50:51], v49, v[2:3]
	v_sub_nc_u32_e32 v49, 29, v47
	v_and_b32_e32 v47, 7, v50
; %bb.770:                              ;   in Loop: Header=BB268_426 Depth=1
	s_or_b32 exec_lo, exec_lo, s22
	v_lshlrev_b32_sdwa v2, v25, v2 dst_sel:DWORD dst_unused:UNUSED_PAD src0_sel:DWORD src1_sel:WORD_0
	v_lshl_add_u32 v49, v49, 10, 0x2000
	v_lshlrev_b32_e32 v47, 23, v47
	v_and_or_b32 v2, 0x8000, v2, v49
	v_lshl_or_b32 v47, v2, 16, v47
.LBB268_771:                            ;   in Loop: Header=BB268_426 Depth=1
	s_or_b32 exec_lo, exec_lo, s21
.LBB268_772:                            ;   in Loop: Header=BB268_426 Depth=1
	s_or_b32 exec_lo, exec_lo, s18
.LBB268_773:                            ;   in Loop: Header=BB268_426 Depth=1
	s_or_b32 exec_lo, exec_lo, s17
	v_lshrrev_b32_e32 v2, 16, v8
	v_mov_b32_e32 v49, 0
	v_mov_b32_e32 v50, 0
	v_cmp_ne_u16_sdwa s0, v2, v3 src0_sel:BYTE_0 src1_sel:DWORD
	s_and_saveexec_b32 s17, s0
	s_cbranch_execz .LBB268_781
; %bb.774:                              ;   in Loop: Header=BB268_426 Depth=1
	v_cmp_ne_u16_sdwa s0, v2, v22 src0_sel:BYTE_0 src1_sel:DWORD
	v_mov_b32_e32 v50, 0x8000
	s_and_saveexec_b32 s18, s0
	s_cbranch_execz .LBB268_780
; %bb.775:                              ;   in Loop: Header=BB268_426 Depth=1
	v_bfe_u32 v52, v8, 16, 7
	v_mov_b32_e32 v50, 0x7c01
	s_mov_b32 s21, exec_lo
	v_cmpx_ne_u32_e32 0x7f, v52
	s_cbranch_execz .LBB268_779
; %bb.776:                              ;   in Loop: Header=BB268_426 Depth=1
	v_and_b32_e32 v50, 7, v2
	v_lshrrev_b32_e32 v51, 3, v52
	s_mov_b32 s22, exec_lo
	v_cmpx_gt_u32_e32 8, v52
; %bb.777:                              ;   in Loop: Header=BB268_426 Depth=1
	v_ffbh_u32_e32 v50, v50
	v_min_u32_e32 v52, 32, v50
	v_subrev_nc_u32_e32 v50, 28, v52
	v_lshlrev_b64 v[50:51], v50, v[2:3]
	v_sub_nc_u32_e32 v51, 29, v52
	v_and_b32_e32 v50, 7, v50
; %bb.778:                              ;   in Loop: Header=BB268_426 Depth=1
	s_or_b32 exec_lo, exec_lo, s22
	v_lshlrev_b32_e32 v2, 8, v2
	v_lshl_add_u32 v51, v51, 10, 0x2000
	v_lshlrev_b32_e32 v50, 7, v50
	v_and_b32_e32 v2, 0x8000, v2
	v_and_b32_e32 v51, 0xfc00, v51
	v_or3_b32 v50, v2, v51, v50
.LBB268_779:                            ;   in Loop: Header=BB268_426 Depth=1
	s_or_b32 exec_lo, exec_lo, s21
.LBB268_780:                            ;   in Loop: Header=BB268_426 Depth=1
	s_or_b32 exec_lo, exec_lo, s18
.LBB268_781:                            ;   in Loop: Header=BB268_426 Depth=1
	s_or_b32 exec_lo, exec_lo, s17
	s_mov_b32 s17, exec_lo
	v_cmpx_lt_u32_e32 0xffffff, v8
	s_cbranch_execz .LBB268_789
; %bb.782:                              ;   in Loop: Header=BB268_426 Depth=1
	v_lshrrev_b32_e32 v2, 24, v8
	v_bfrev_b32_e32 v49, 1
	s_mov_b32 s18, exec_lo
	v_cmpx_ne_u32_e32 0x80, v2
	s_cbranch_execz .LBB268_788
; %bb.783:                              ;   in Loop: Header=BB268_426 Depth=1
	v_and_b32_e32 v52, 0x7f, v2
	v_mov_b32_e32 v49, 0x7c010000
	s_mov_b32 s21, exec_lo
	v_cmpx_ne_u32_e32 0x7f, v52
	s_cbranch_execz .LBB268_787
; %bb.784:                              ;   in Loop: Header=BB268_426 Depth=1
	v_and_b32_e32 v49, 7, v2
	v_lshrrev_b32_e32 v51, 3, v52
	s_mov_b32 s22, exec_lo
	v_cmpx_gt_u32_e32 8, v52
; %bb.785:                              ;   in Loop: Header=BB268_426 Depth=1
	v_ffbh_u32_e32 v49, v49
	v_min_u32_e32 v49, 32, v49
	v_subrev_nc_u32_e32 v51, 28, v49
	v_lshlrev_b64 v[52:53], v51, v[2:3]
	v_sub_nc_u32_e32 v51, 29, v49
	v_and_b32_e32 v49, 7, v52
; %bb.786:                              ;   in Loop: Header=BB268_426 Depth=1
	s_or_b32 exec_lo, exec_lo, s22
	v_lshlrev_b32_e32 v2, 8, v2
	v_lshl_add_u32 v51, v51, 10, 0x2000
	v_lshlrev_b32_e32 v49, 23, v49
	v_and_or_b32 v2, 0x8000, v2, v51
	v_lshl_or_b32 v49, v2, 16, v49
.LBB268_787:                            ;   in Loop: Header=BB268_426 Depth=1
	s_or_b32 exec_lo, exec_lo, s21
.LBB268_788:                            ;   in Loop: Header=BB268_426 Depth=1
	s_or_b32 exec_lo, exec_lo, s18
.LBB268_789:                            ;   in Loop: Header=BB268_426 Depth=1
	s_or_b32 exec_lo, exec_lo, s17
	v_mov_b32_e32 v2, v9
	v_cmp_ne_u16_sdwa s0, v9, v3 src0_sel:BYTE_0 src1_sel:DWORD
	v_mov_b32_e32 v51, 0
	v_mov_b32_e32 v52, 0
	s_and_saveexec_b32 s17, s0
	s_cbranch_execz .LBB268_797
; %bb.790:                              ;   in Loop: Header=BB268_426 Depth=1
	v_cmp_ne_u16_sdwa s0, v9, v22 src0_sel:BYTE_0 src1_sel:DWORD
	v_mov_b32_e32 v52, 0x8000
	s_and_saveexec_b32 s18, s0
	s_cbranch_execz .LBB268_796
; %bb.791:                              ;   in Loop: Header=BB268_426 Depth=1
	v_and_b32_e32 v54, 0x7f, v9
	v_mov_b32_e32 v52, 0x7c01
	s_mov_b32 s21, exec_lo
	v_cmpx_ne_u32_e32 0x7f, v54
	s_cbranch_execz .LBB268_795
; %bb.792:                              ;   in Loop: Header=BB268_426 Depth=1
	v_and_b32_e32 v52, 7, v9
	v_lshrrev_b32_e32 v53, 3, v54
	s_mov_b32 s22, exec_lo
	v_cmpx_gt_u32_e32 8, v54
; %bb.793:                              ;   in Loop: Header=BB268_426 Depth=1
	v_ffbh_u32_e32 v52, v52
	v_min_u32_e32 v54, 32, v52
	v_subrev_nc_u32_e32 v52, 28, v54
	v_lshlrev_b64 v[52:53], v52, v[2:3]
	v_sub_nc_u32_e32 v53, 29, v54
	v_and_b32_e32 v52, 7, v52
; %bb.794:                              ;   in Loop: Header=BB268_426 Depth=1
	s_or_b32 exec_lo, exec_lo, s22
	v_lshlrev_b32_e32 v54, 8, v9
	v_lshl_add_u32 v53, v53, 10, 0x2000
	v_lshlrev_b32_e32 v52, 7, v52
	v_and_b32_e32 v54, 0x8000, v54
	v_and_b32_e32 v53, 0xfc00, v53
	v_or3_b32 v52, v54, v53, v52
.LBB268_795:                            ;   in Loop: Header=BB268_426 Depth=1
	s_or_b32 exec_lo, exec_lo, s21
.LBB268_796:                            ;   in Loop: Header=BB268_426 Depth=1
	s_or_b32 exec_lo, exec_lo, s18
.LBB268_797:                            ;   in Loop: Header=BB268_426 Depth=1
	s_or_b32 exec_lo, exec_lo, s17
	v_lshrrev_b16 v2, 8, v2
	v_mov_b32_e32 v53, 0
	s_mov_b32 s17, exec_lo
	v_cmpx_ne_u16_e32 0, v2
	s_cbranch_execz .LBB268_805
; %bb.798:                              ;   in Loop: Header=BB268_426 Depth=1
	v_bfrev_b32_e32 v53, 1
	s_mov_b32 s18, exec_lo
	v_cmpx_ne_u16_e32 0x80, v2
	s_cbranch_execz .LBB268_804
; %bb.799:                              ;   in Loop: Header=BB268_426 Depth=1
	v_and_b32_sdwa v55, v2, v23 dst_sel:DWORD dst_unused:UNUSED_PAD src0_sel:WORD_0 src1_sel:DWORD
	v_mov_b32_e32 v53, 0x7c010000
	s_mov_b32 s21, exec_lo
	v_cmpx_ne_u32_e32 0x7f, v55
	s_cbranch_execz .LBB268_803
; %bb.800:                              ;   in Loop: Header=BB268_426 Depth=1
	v_and_b32_sdwa v53, v2, v24 dst_sel:DWORD dst_unused:UNUSED_PAD src0_sel:WORD_0 src1_sel:DWORD
	v_lshrrev_b32_e32 v54, 3, v55
	s_mov_b32 s22, exec_lo
	v_cmpx_gt_u32_e32 8, v55
; %bb.801:                              ;   in Loop: Header=BB268_426 Depth=1
	v_ffbh_u32_e32 v53, v53
	v_min_u32_e32 v55, 32, v53
	v_subrev_nc_u32_e32 v53, 28, v55
	v_lshlrev_b64 v[53:54], v53, v[2:3]
	v_sub_nc_u32_e32 v54, 29, v55
	v_and_b32_e32 v53, 7, v53
; %bb.802:                              ;   in Loop: Header=BB268_426 Depth=1
	s_or_b32 exec_lo, exec_lo, s22
	v_lshlrev_b32_sdwa v2, v25, v2 dst_sel:DWORD dst_unused:UNUSED_PAD src0_sel:DWORD src1_sel:WORD_0
	v_lshl_add_u32 v54, v54, 10, 0x2000
	v_lshlrev_b32_e32 v53, 23, v53
	v_and_or_b32 v2, 0x8000, v2, v54
	v_lshl_or_b32 v53, v2, 16, v53
.LBB268_803:                            ;   in Loop: Header=BB268_426 Depth=1
	s_or_b32 exec_lo, exec_lo, s21
.LBB268_804:                            ;   in Loop: Header=BB268_426 Depth=1
	s_or_b32 exec_lo, exec_lo, s18
.LBB268_805:                            ;   in Loop: Header=BB268_426 Depth=1
	s_or_b32 exec_lo, exec_lo, s17
	v_lshrrev_b32_e32 v2, 16, v9
	v_cmp_ne_u16_sdwa s0, v2, v3 src0_sel:BYTE_0 src1_sel:DWORD
	s_and_saveexec_b32 s17, s0
	s_cbranch_execz .LBB268_813
; %bb.806:                              ;   in Loop: Header=BB268_426 Depth=1
	v_cmp_ne_u16_sdwa s0, v2, v22 src0_sel:BYTE_0 src1_sel:DWORD
	v_mov_b32_e32 v51, 0x8000
	s_and_saveexec_b32 s18, s0
	s_cbranch_execz .LBB268_812
; %bb.807:                              ;   in Loop: Header=BB268_426 Depth=1
	v_bfe_u32 v55, v9, 16, 7
	v_mov_b32_e32 v51, 0x7c01
	s_mov_b32 s21, exec_lo
	v_cmpx_ne_u32_e32 0x7f, v55
	s_cbranch_execz .LBB268_811
; %bb.808:                              ;   in Loop: Header=BB268_426 Depth=1
	v_and_b32_e32 v51, 7, v2
	v_lshrrev_b32_e32 v54, 3, v55
	s_mov_b32 s22, exec_lo
	v_cmpx_gt_u32_e32 8, v55
; %bb.809:                              ;   in Loop: Header=BB268_426 Depth=1
	v_ffbh_u32_e32 v51, v51
	v_min_u32_e32 v51, 32, v51
	v_subrev_nc_u32_e32 v54, 28, v51
	v_lshlrev_b64 v[55:56], v54, v[2:3]
	v_sub_nc_u32_e32 v54, 29, v51
	v_and_b32_e32 v51, 7, v55
; %bb.810:                              ;   in Loop: Header=BB268_426 Depth=1
	s_or_b32 exec_lo, exec_lo, s22
	v_lshlrev_b32_e32 v2, 8, v2
	v_lshl_add_u32 v54, v54, 10, 0x2000
	v_lshlrev_b32_e32 v51, 7, v51
	v_and_b32_e32 v2, 0x8000, v2
	v_and_b32_e32 v54, 0xfc00, v54
	v_or3_b32 v51, v2, v54, v51
.LBB268_811:                            ;   in Loop: Header=BB268_426 Depth=1
	s_or_b32 exec_lo, exec_lo, s21
.LBB268_812:                            ;   in Loop: Header=BB268_426 Depth=1
	s_or_b32 exec_lo, exec_lo, s18
.LBB268_813:                            ;   in Loop: Header=BB268_426 Depth=1
	s_or_b32 exec_lo, exec_lo, s17
	v_cmp_lt_u64_e64 s0, s[4:5], v[8:9]
	v_mov_b32_e32 v8, 0
	s_and_saveexec_b32 s17, s0
	s_cbranch_execz .LBB268_821
; %bb.814:                              ;   in Loop: Header=BB268_426 Depth=1
	v_lshrrev_b32_e32 v2, 24, v9
	v_bfrev_b32_e32 v8, 1
	s_mov_b32 s18, exec_lo
	v_cmpx_ne_u32_e32 0x80, v2
	s_cbranch_execz .LBB268_820
; %bb.815:                              ;   in Loop: Header=BB268_426 Depth=1
	v_and_b32_e32 v54, 0x7f, v2
	v_mov_b32_e32 v8, 0x7c010000
	s_mov_b32 s21, exec_lo
	v_cmpx_ne_u32_e32 0x7f, v54
	s_cbranch_execz .LBB268_819
; %bb.816:                              ;   in Loop: Header=BB268_426 Depth=1
	v_and_b32_e32 v8, 7, v2
	v_lshrrev_b32_e32 v9, 3, v54
	s_mov_b32 s22, exec_lo
	v_cmpx_gt_u32_e32 8, v54
; %bb.817:                              ;   in Loop: Header=BB268_426 Depth=1
	v_ffbh_u32_e32 v8, v8
	v_min_u32_e32 v54, 32, v8
	v_subrev_nc_u32_e32 v8, 28, v54
	v_lshlrev_b64 v[8:9], v8, v[2:3]
	v_sub_nc_u32_e32 v9, 29, v54
	v_and_b32_e32 v8, 7, v8
; %bb.818:                              ;   in Loop: Header=BB268_426 Depth=1
	s_or_b32 exec_lo, exec_lo, s22
	v_lshlrev_b32_e32 v2, 8, v2
	v_lshl_add_u32 v9, v9, 10, 0x2000
	v_lshlrev_b32_e32 v8, 23, v8
	v_and_or_b32 v2, 0x8000, v2, v9
	v_lshl_or_b32 v8, v2, 16, v8
.LBB268_819:                            ;   in Loop: Header=BB268_426 Depth=1
	s_or_b32 exec_lo, exec_lo, s21
.LBB268_820:                            ;   in Loop: Header=BB268_426 Depth=1
	s_or_b32 exec_lo, exec_lo, s18
.LBB268_821:                            ;   in Loop: Header=BB268_426 Depth=1
	s_or_b32 exec_lo, exec_lo, s17
	v_or_b32_e32 v2, v49, v50
	s_waitcnt vmcnt(0)
	v_fma_mixlo_f16 v9, v46, v49, 0 op_sel:[0,1,0] op_sel_hi:[0,1,0]
	v_or_b32_e32 v48, v47, v48
	v_fma_mixlo_f16 v49, v46, v47, 0 op_sel:[0,1,0] op_sel_hi:[0,1,0]
	v_or_b32_e32 v50, v53, v52
	v_fma_mixlo_f16 v2, v46, v2, 0 op_sel_hi:[0,1,0]
	v_or_b32_e32 v51, v8, v51
	v_lshlrev_b32_e32 v47, 16, v9
	v_lshlrev_b32_e32 v52, 16, v49
	v_fma_mixlo_f16 v9, v46, v48, 0 op_sel_hi:[0,1,0]
	v_and_b32_e32 v49, 0xffff, v2
	v_fma_mixlo_f16 v2, v46, v53, 0 op_sel:[0,1,0] op_sel_hi:[0,1,0]
	v_fma_mixlo_f16 v48, v46, v50, 0 op_sel_hi:[0,1,0]
	v_fma_mixlo_f16 v8, v46, v8, 0 op_sel:[0,1,0] op_sel_hi:[0,1,0]
	v_fma_mixlo_f16 v46, v46, v51, 0 op_sel_hi:[0,1,0]
	v_and_b32_e32 v54, 0xffff, v9
	v_lshlrev_b32_e32 v50, 16, v2
	v_and_b32_e32 v53, 0xffff, v48
	v_lshlrev_b32_e32 v48, 16, v8
	v_and_b32_e32 v51, 0xffff, v46
	v_or_b32_e32 v9, v47, v49
	v_or_b32_e32 v46, v52, v54
	;; [unrolled: 1-line block ×4, first 2 shown]
	s_and_saveexec_b32 s0, vcc_lo
	s_cbranch_execz .LBB268_424
; %bb.822:                              ;   in Loop: Header=BB268_426 Depth=1
	v_cmp_gt_i32_e32 vcc_lo, s31, v13
	v_cndmask_b32_e32 v2, 0, v54, vcc_lo
	v_cmp_gt_i32_e32 vcc_lo, s31, v33
	v_cndmask_b32_e32 v8, 0, v52, vcc_lo
	v_cmp_gt_i32_e32 vcc_lo, s31, v32
	v_or_b32_e32 v46, v8, v2
	v_cndmask_b32_e32 v9, 0, v49, vcc_lo
	v_cmp_gt_i32_e32 vcc_lo, s31, v31
	v_cndmask_b32_e32 v31, 0, v47, vcc_lo
	v_cmp_gt_i32_e32 vcc_lo, s31, v30
	v_or_b32_e32 v9, v31, v9
	;; [unrolled: 5-line block ×3, first 2 shown]
	v_cndmask_b32_e32 v28, 0, v51, vcc_lo
	v_cmp_gt_i32_e32 vcc_lo, s31, v27
	v_cndmask_b32_e32 v27, 0, v48, vcc_lo
	v_or_b32_e32 v2, v27, v28
	s_branch .LBB268_424
.LBB268_823:
	s_or_b32 exec_lo, exec_lo, s12
.LBB268_824:
	s_or_b32 exec_lo, exec_lo, s1
	v_lshl_add_u32 v2, v14, 2, 0x1a0
	v_and_b32_e32 v3, 0x3c0, v0
	s_mov_b32 s0, exec_lo
	s_waitcnt_vscnt null, 0x0
	s_barrier
	v_mad_u32_u24 v1, 0x300, v12, v2
	buffer_gl0_inv
	v_cmpx_eq_u32_e32 64, v3
	s_cbranch_execz .LBB268_826
; %bb.825:
	v_add_nc_u32_e32 v3, 0xfffffa00, v1
	v_add_nc_u32_e32 v4, 0xfffffa80, v1
	;; [unrolled: 1-line block ×5, first 2 shown]
	ds_write_b32 v3, v20
	v_add_nc_u32_e32 v3, 0xfffffc80, v1
	ds_write_b32 v4, v19
	ds_write_b32 v5, v18
	;; [unrolled: 1-line block ×5, first 2 shown]
.LBB268_826:
	s_or_b32 exec_lo, exec_lo, s0
	s_mov_b32 s0, exec_lo
	s_waitcnt lgkmcnt(0)
	s_barrier
	buffer_gl0_inv
	v_cmpx_gt_u32_e32 64, v0
	s_cbranch_execz .LBB268_828
; %bb.827:
	ds_read2_b32 v[3:4], v1 offset1:32
	ds_read2_b32 v[5:6], v1 offset0:64 offset1:96
	ds_read2_b32 v[7:8], v1 offset0:128 offset1:160
	s_waitcnt lgkmcnt(2)
	v_add_f32_e32 v20, v20, v3
	v_add_f32_e32 v19, v19, v4
	s_waitcnt lgkmcnt(1)
	v_add_f32_e32 v18, v18, v5
	v_add_f32_e32 v17, v17, v6
	;; [unrolled: 3-line block ×3, first 2 shown]
.LBB268_828:
	s_or_b32 exec_lo, exec_lo, s0
	v_and_b32_e32 v3, 0x3e0, v0
	s_mov_b32 s0, exec_lo
	s_barrier
	buffer_gl0_inv
	v_cmpx_eq_u32_e32 32, v3
	s_cbranch_execz .LBB268_830
; %bb.829:
	ds_write2_b32 v2, v20, v19 offset1:32
	ds_write2_b32 v2, v18, v17 offset0:64 offset1:96
	ds_write2_b32 v2, v16, v15 offset0:128 offset1:160
.LBB268_830:
	s_or_b32 exec_lo, exec_lo, s0
	v_cmp_gt_u32_e32 vcc_lo, 32, v0
	s_waitcnt lgkmcnt(0)
	s_barrier
	buffer_gl0_inv
	s_and_saveexec_b32 s0, vcc_lo
	s_cbranch_execz .LBB268_832
; %bb.831:
	ds_read2_b32 v[2:3], v1 offset1:32
	ds_read2_b32 v[4:5], v1 offset0:64 offset1:96
	ds_read2_b32 v[6:7], v1 offset0:128 offset1:160
	s_waitcnt lgkmcnt(2)
	v_add_f32_e32 v20, v20, v2
	v_add_f32_e32 v19, v19, v3
	s_waitcnt lgkmcnt(1)
	v_add_f32_e32 v18, v18, v4
	v_add_f32_e32 v17, v17, v5
	;; [unrolled: 3-line block ×3, first 2 shown]
.LBB268_832:
	s_or_b32 exec_lo, exec_lo, s0
	s_barrier
	buffer_gl0_inv
	s_and_saveexec_b32 s0, vcc_lo
	s_cbranch_execz .LBB268_834
; %bb.833:
	s_mul_i32 s0, s2, 0xc0
	s_mul_i32 s2, s7, s10
	s_ashr_i32 s1, s0, 31
	v_lshlrev_b32_e32 v0, 1, v0
	s_lshl_b64 s[0:1], s[0:1], 1
	;;#ASMSTART
	v_cvt_f16_f32 v1, v20;

	;;#ASMEND
	s_add_u32 s4, s28, s0
	s_addc_u32 s5, s29, s1
	s_ashr_i32 s3, s2, 31
	s_lshl_b64 s[0:1], s[2:3], 1
	s_mul_i32 s2, s8, 0xc0
	s_add_u32 s4, s4, s0
	s_addc_u32 s5, s5, s1
	s_ashr_i32 s3, s2, 31
	s_lshl_b64 s[0:1], s[2:3], 1
	s_add_u32 s0, s4, s0
	s_addc_u32 s1, s5, s1
	global_store_short v0, v1, s[0:1]
	;;#ASMSTART
	v_cvt_f16_f32 v1, v19;

	;;#ASMEND
	global_store_short v0, v1, s[0:1] offset:64
	;;#ASMSTART
	v_cvt_f16_f32 v1, v18;

	;;#ASMEND
	global_store_short v0, v1, s[0:1] offset:128
	;;#ASMSTART
	v_cvt_f16_f32 v1, v17;

	;;#ASMEND
	global_store_short v0, v1, s[0:1] offset:192
	;;#ASMSTART
	v_cvt_f16_f32 v1, v16;

	;;#ASMEND
	global_store_short v0, v1, s[0:1] offset:256
	;;#ASMSTART
	v_cvt_f16_f32 v1, v15;

	;;#ASMEND
	global_store_short v0, v1, s[0:1] offset:320
.LBB268_834:
	s_endpgm
	.section	.rodata,"a",@progbits
	.p2align	6, 0x0
	.amdhsa_kernel _ZN4vllm25paged_attention_v2_kernelIthLi192ELi8ELi128ELNS_18Fp8KVCacheDataTypeE1ELb1ELi512EEEvPfS2_PT_PKS3_PKT0_S9_ifPKiSB_iPKfiiiSD_SD_iiiii
		.amdhsa_group_segment_fixed_size 416
		.amdhsa_private_segment_fixed_size 0
		.amdhsa_kernarg_size 400
		.amdhsa_user_sgpr_count 6
		.amdhsa_user_sgpr_private_segment_buffer 1
		.amdhsa_user_sgpr_dispatch_ptr 0
		.amdhsa_user_sgpr_queue_ptr 0
		.amdhsa_user_sgpr_kernarg_segment_ptr 1
		.amdhsa_user_sgpr_dispatch_id 0
		.amdhsa_user_sgpr_flat_scratch_init 0
		.amdhsa_user_sgpr_private_segment_size 0
		.amdhsa_wavefront_size32 1
		.amdhsa_uses_dynamic_stack 0
		.amdhsa_system_sgpr_private_segment_wavefront_offset 0
		.amdhsa_system_sgpr_workgroup_id_x 1
		.amdhsa_system_sgpr_workgroup_id_y 1
		.amdhsa_system_sgpr_workgroup_id_z 1
		.amdhsa_system_sgpr_workgroup_info 0
		.amdhsa_system_vgpr_workitem_id 0
		.amdhsa_next_free_vgpr 99
		.amdhsa_next_free_sgpr 52
		.amdhsa_reserve_vcc 1
		.amdhsa_reserve_flat_scratch 0
		.amdhsa_float_round_mode_32 0
		.amdhsa_float_round_mode_16_64 0
		.amdhsa_float_denorm_mode_32 3
		.amdhsa_float_denorm_mode_16_64 3
		.amdhsa_dx10_clamp 1
		.amdhsa_ieee_mode 1
		.amdhsa_fp16_overflow 0
		.amdhsa_workgroup_processor_mode 1
		.amdhsa_memory_ordered 1
		.amdhsa_forward_progress 1
		.amdhsa_shared_vgpr_count 0
		.amdhsa_exception_fp_ieee_invalid_op 0
		.amdhsa_exception_fp_denorm_src 0
		.amdhsa_exception_fp_ieee_div_zero 0
		.amdhsa_exception_fp_ieee_overflow 0
		.amdhsa_exception_fp_ieee_underflow 0
		.amdhsa_exception_fp_ieee_inexact 0
		.amdhsa_exception_int_div_zero 0
	.end_amdhsa_kernel
	.section	.text._ZN4vllm25paged_attention_v2_kernelIthLi192ELi8ELi128ELNS_18Fp8KVCacheDataTypeE1ELb1ELi512EEEvPfS2_PT_PKS3_PKT0_S9_ifPKiSB_iPKfiiiSD_SD_iiiii,"axG",@progbits,_ZN4vllm25paged_attention_v2_kernelIthLi192ELi8ELi128ELNS_18Fp8KVCacheDataTypeE1ELb1ELi512EEEvPfS2_PT_PKS3_PKT0_S9_ifPKiSB_iPKfiiiSD_SD_iiiii,comdat
.Lfunc_end268:
	.size	_ZN4vllm25paged_attention_v2_kernelIthLi192ELi8ELi128ELNS_18Fp8KVCacheDataTypeE1ELb1ELi512EEEvPfS2_PT_PKS3_PKT0_S9_ifPKiSB_iPKfiiiSD_SD_iiiii, .Lfunc_end268-_ZN4vllm25paged_attention_v2_kernelIthLi192ELi8ELi128ELNS_18Fp8KVCacheDataTypeE1ELb1ELi512EEEvPfS2_PT_PKS3_PKT0_S9_ifPKiSB_iPKfiiiSD_SD_iiiii
                                        ; -- End function
	.set _ZN4vllm25paged_attention_v2_kernelIthLi192ELi8ELi128ELNS_18Fp8KVCacheDataTypeE1ELb1ELi512EEEvPfS2_PT_PKS3_PKT0_S9_ifPKiSB_iPKfiiiSD_SD_iiiii.num_vgpr, 99
	.set _ZN4vllm25paged_attention_v2_kernelIthLi192ELi8ELi128ELNS_18Fp8KVCacheDataTypeE1ELb1ELi512EEEvPfS2_PT_PKS3_PKT0_S9_ifPKiSB_iPKfiiiSD_SD_iiiii.num_agpr, 0
	.set _ZN4vllm25paged_attention_v2_kernelIthLi192ELi8ELi128ELNS_18Fp8KVCacheDataTypeE1ELb1ELi512EEEvPfS2_PT_PKS3_PKT0_S9_ifPKiSB_iPKfiiiSD_SD_iiiii.numbered_sgpr, 52
	.set _ZN4vllm25paged_attention_v2_kernelIthLi192ELi8ELi128ELNS_18Fp8KVCacheDataTypeE1ELb1ELi512EEEvPfS2_PT_PKS3_PKT0_S9_ifPKiSB_iPKfiiiSD_SD_iiiii.num_named_barrier, 0
	.set _ZN4vllm25paged_attention_v2_kernelIthLi192ELi8ELi128ELNS_18Fp8KVCacheDataTypeE1ELb1ELi512EEEvPfS2_PT_PKS3_PKT0_S9_ifPKiSB_iPKfiiiSD_SD_iiiii.private_seg_size, 0
	.set _ZN4vllm25paged_attention_v2_kernelIthLi192ELi8ELi128ELNS_18Fp8KVCacheDataTypeE1ELb1ELi512EEEvPfS2_PT_PKS3_PKT0_S9_ifPKiSB_iPKfiiiSD_SD_iiiii.uses_vcc, 1
	.set _ZN4vllm25paged_attention_v2_kernelIthLi192ELi8ELi128ELNS_18Fp8KVCacheDataTypeE1ELb1ELi512EEEvPfS2_PT_PKS3_PKT0_S9_ifPKiSB_iPKfiiiSD_SD_iiiii.uses_flat_scratch, 0
	.set _ZN4vllm25paged_attention_v2_kernelIthLi192ELi8ELi128ELNS_18Fp8KVCacheDataTypeE1ELb1ELi512EEEvPfS2_PT_PKS3_PKT0_S9_ifPKiSB_iPKfiiiSD_SD_iiiii.has_dyn_sized_stack, 0
	.set _ZN4vllm25paged_attention_v2_kernelIthLi192ELi8ELi128ELNS_18Fp8KVCacheDataTypeE1ELb1ELi512EEEvPfS2_PT_PKS3_PKT0_S9_ifPKiSB_iPKfiiiSD_SD_iiiii.has_recursion, 0
	.set _ZN4vllm25paged_attention_v2_kernelIthLi192ELi8ELi128ELNS_18Fp8KVCacheDataTypeE1ELb1ELi512EEEvPfS2_PT_PKS3_PKT0_S9_ifPKiSB_iPKfiiiSD_SD_iiiii.has_indirect_call, 0
	.section	.AMDGPU.csdata,"",@progbits
; Kernel info:
; codeLenInByte = 28568
; TotalNumSgprs: 54
; NumVgprs: 99
; ScratchSize: 0
; MemoryBound: 0
; FloatMode: 240
; IeeeMode: 1
; LDSByteSize: 416 bytes/workgroup (compile time only)
; SGPRBlocks: 0
; VGPRBlocks: 12
; NumSGPRsForWavesPerEU: 54
; NumVGPRsForWavesPerEU: 99
; Occupancy: 9
; WaveLimiterHint : 1
; COMPUTE_PGM_RSRC2:SCRATCH_EN: 0
; COMPUTE_PGM_RSRC2:USER_SGPR: 6
; COMPUTE_PGM_RSRC2:TRAP_HANDLER: 0
; COMPUTE_PGM_RSRC2:TGID_X_EN: 1
; COMPUTE_PGM_RSRC2:TGID_Y_EN: 1
; COMPUTE_PGM_RSRC2:TGID_Z_EN: 1
; COMPUTE_PGM_RSRC2:TIDIG_COMP_CNT: 0
	.section	.text._ZN4vllm25paged_attention_v2_kernelIthLi256ELi8ELi128ELNS_18Fp8KVCacheDataTypeE1ELb1ELi512EEEvPfS2_PT_PKS3_PKT0_S9_ifPKiSB_iPKfiiiSD_SD_iiiii,"axG",@progbits,_ZN4vllm25paged_attention_v2_kernelIthLi256ELi8ELi128ELNS_18Fp8KVCacheDataTypeE1ELb1ELi512EEEvPfS2_PT_PKS3_PKT0_S9_ifPKiSB_iPKfiiiSD_SD_iiiii,comdat
	.protected	_ZN4vllm25paged_attention_v2_kernelIthLi256ELi8ELi128ELNS_18Fp8KVCacheDataTypeE1ELb1ELi512EEEvPfS2_PT_PKS3_PKT0_S9_ifPKiSB_iPKfiiiSD_SD_iiiii ; -- Begin function _ZN4vllm25paged_attention_v2_kernelIthLi256ELi8ELi128ELNS_18Fp8KVCacheDataTypeE1ELb1ELi512EEEvPfS2_PT_PKS3_PKT0_S9_ifPKiSB_iPKfiiiSD_SD_iiiii
	.globl	_ZN4vllm25paged_attention_v2_kernelIthLi256ELi8ELi128ELNS_18Fp8KVCacheDataTypeE1ELb1ELi512EEEvPfS2_PT_PKS3_PKT0_S9_ifPKiSB_iPKfiiiSD_SD_iiiii
	.p2align	8
	.type	_ZN4vllm25paged_attention_v2_kernelIthLi256ELi8ELi128ELNS_18Fp8KVCacheDataTypeE1ELb1ELi512EEEvPfS2_PT_PKS3_PKT0_S9_ifPKiSB_iPKfiiiSD_SD_iiiii,@function
_ZN4vllm25paged_attention_v2_kernelIthLi256ELi8ELi128ELNS_18Fp8KVCacheDataTypeE1ELb1ELi512EEEvPfS2_PT_PKS3_PKT0_S9_ifPKiSB_iPKfiiiSD_SD_iiiii: ; @_ZN4vllm25paged_attention_v2_kernelIthLi256ELi8ELi128ELNS_18Fp8KVCacheDataTypeE1ELb1ELi512EEEvPfS2_PT_PKS3_PKT0_S9_ifPKiSB_iPKfiiiSD_SD_iiiii
; %bb.0:
	s_load_dwordx2 s[0:1], s[4:5], 0x40
	s_mov_b32 s30, s7
	s_ashr_i32 s31, s7, 31
	s_lshl_b64 s[2:3], s[30:31], 2
	s_waitcnt lgkmcnt(0)
	s_add_u32 s0, s0, s2
	s_addc_u32 s1, s1, s3
	s_lshl_b32 s42, s8, 9
	s_load_dword s31, s[0:1], 0x0
	s_waitcnt lgkmcnt(0)
	s_cmp_ge_i32 s42, s31
	s_cbranch_scc1 .LBB269_1094
; %bb.1:
	s_clause 0x1
	s_load_dword s9, s[4:5], 0x90
	s_load_dwordx2 s[40:41], s[4:5], 0x30
	s_mov_b32 s43, 0
	s_waitcnt lgkmcnt(0)
	s_abs_i32 s3, s9
	s_abs_i32 s0, s40
	v_cvt_f32_u32_e32 v1, s0
	s_sub_i32 s2, 0, s0
	v_rcp_iflag_f32_e32 v1, v1
	v_mul_f32_e32 v1, 0x4f7ffffe, v1
	v_cvt_u32_f32_e32 v1, v1
	v_readfirstlane_b32 s1, v1
	s_mul_i32 s2, s2, s1
	s_mul_hi_u32 s2, s1, s2
	s_add_i32 s1, s1, s2
	s_xor_b32 s2, s9, s40
	s_mul_hi_u32 s1, s3, s1
	s_ashr_i32 s2, s2, 31
	s_mul_i32 s7, s1, s0
	s_sub_i32 s3, s3, s7
	s_add_i32 s7, s1, 1
	s_sub_i32 s10, s3, s0
	s_cmp_ge_u32 s3, s0
	s_cselect_b32 s1, s7, s1
	s_cselect_b32 s3, s10, s3
	s_add_i32 s7, s1, 1
	s_cmp_ge_u32 s3, s0
	s_cselect_b32 s0, s7, s1
	s_xor_b32 s0, s0, s2
	s_sub_i32 s10, s0, s2
	s_load_dwordx2 s[0:1], s[4:5], 0x50
	s_abs_i32 s2, s10
	v_cvt_f32_u32_e32 v1, s2
	s_sub_i32 s3, 0, s2
	v_rcp_iflag_f32_e32 v1, v1
	v_mul_f32_e32 v1, 0x4f7ffffe, v1
	v_cvt_u32_f32_e32 v1, v1
	v_readfirstlane_b32 s7, v1
	s_mul_i32 s3, s3, s7
	s_mul_hi_u32 s11, s7, s3
	s_abs_i32 s3, s6
	s_add_i32 s7, s7, s11
	s_waitcnt lgkmcnt(0)
	s_cmp_eq_u64 s[0:1], 0
	s_mul_hi_u32 s12, s3, s7
	s_cbranch_scc1 .LBB269_3
; %bb.2:
	s_ashr_i32 s7, s6, 31
	s_lshl_b64 s[14:15], s[6:7], 2
	s_add_u32 s0, s0, s14
	s_addc_u32 s1, s1, s15
	s_load_dword s43, s[0:1], 0x0
.LBB269_3:
	s_load_dwordx4 s[16:19], s[4:5], 0x58
	v_and_b32_e32 v3, 3, v0
	s_ashr_i32 s0, s6, 31
	s_ashr_i32 s1, s10, 31
	s_lshl_b32 s10, s6, 8
	s_mov_b32 s7, exec_lo
	v_cmpx_gt_u32_e32 0x80, v0
	s_cbranch_execz .LBB269_5
; %bb.4:
	s_load_dwordx2 s[14:15], s[4:5], 0x18
	s_waitcnt lgkmcnt(0)
	s_mul_i32 s20, s16, s30
	v_lshlrev_b32_e32 v1, 2, v0
	s_ashr_i32 s21, s20, 31
	v_and_b32_e32 v2, 0x3fc, v0
	s_lshl_b64 s[20:21], s[20:21], 1
	v_lshl_add_u32 v2, v3, 7, v2
	s_add_u32 s13, s14, s20
	s_addc_u32 s16, s15, s21
	s_ashr_i32 s11, s10, 31
	s_lshl_b64 s[14:15], s[10:11], 1
	s_add_u32 s14, s13, s14
	s_addc_u32 s15, s16, s15
	global_load_dword v1, v1, s[14:15]
	s_waitcnt vmcnt(0)
	ds_write_b32 v2, v1
.LBB269_5:
	s_or_b32 exec_lo, exec_lo, s7
	s_load_dwordx4 s[20:23], s[4:5], 0x78
	s_mul_i32 s7, s12, s2
	s_xor_b32 s0, s0, s1
	s_sub_i32 s1, s3, s7
	s_add_i32 s3, s12, 1
	s_sub_i32 s7, s1, s2
	s_cmp_ge_u32 s1, s2
                                        ; implicit-def: $sgpr19
	s_cselect_b32 s3, s3, s12
	s_cselect_b32 s1, s7, s1
	s_add_i32 s7, s3, 1
	s_cmp_ge_u32 s1, s2
	s_mov_b32 s12, -1
	s_cselect_b32 s1, s7, s3
	s_load_dword s3, s[4:5], 0x88
	s_xor_b32 s1, s1, s0
	s_add_i32 s7, s31, -1
	s_sub_i32 s1, s1, s0
	s_abs_i32 s2, s7
	s_waitcnt lgkmcnt(0)
	s_abs_i32 s11, s23
	s_barrier
	v_cvt_f32_u32_e32 v1, s11
	s_sub_i32 s0, 0, s11
	buffer_gl0_inv
	v_rcp_iflag_f32_e32 v1, v1
	v_mul_f32_e32 v1, 0x4f7ffffe, v1
	v_cvt_u32_f32_e32 v1, v1
	v_readfirstlane_b32 s16, v1
	s_mul_i32 s0, s0, s16
	s_mul_hi_u32 s0, s16, s0
	s_add_i32 s16, s16, s0
	s_cmp_lt_i32 s3, 0
	s_mul_hi_u32 s0, s2, s16
	s_cbranch_scc0 .LBB269_7
; %bb.6:
	s_mul_i32 s12, s20, s40
	s_add_i32 s12, s1, s12
	s_mul_i32 s12, s12, s3
	s_sub_i32 s19, 1, s12
	s_mov_b32 s12, 0
.LBB269_7:
	s_load_dwordx2 s[34:35], s[4:5], 0x38
	s_ashr_i32 s33, s7, 31
	s_andn2_b32 vcc_lo, exec_lo, s12
	s_ashr_i32 s23, s23, 31
	s_cbranch_vccnz .LBB269_9
; %bb.8:
	s_mul_i32 s7, s9, s20
	s_add_i32 s7, s7, s6
	s_mul_i32 s3, s7, s3
	s_add_i32 s19, s3, 1
.LBB269_9:
	s_clause 0x5
	s_load_dword s3, s[4:5], 0x48
	s_load_dwordx2 s[38:39], s[4:5], 0x28
	s_load_dwordx4 s[24:27], s[4:5], 0x0
	s_load_dwordx2 s[28:29], s[4:5], 0x10
	s_load_dword s7, s[4:5], 0x98
	s_load_dwordx4 s[12:15], s[4:5], 0x68
	s_mul_i32 s20, s0, s11
	s_xor_b32 s40, s33, s23
	s_sub_i32 s2, s2, s20
	s_add_i32 s33, s0, 1
	v_lshrrev_b32_e32 v12, 5, v0
	v_mov_b32_e32 v14, 0xff7fffff
	v_mbcnt_lo_u32_b32 v11, -1, 0
	s_mul_i32 s18, s1, s18
	v_lshl_add_u32 v13, v12, 3, s42
	s_waitcnt lgkmcnt(0)
	s_mul_i32 s36, s3, s30
	s_sub_i32 s3, s2, s11
	s_ashr_i32 s37, s36, 31
	s_cmp_ge_u32 s2, s11
	s_cselect_b32 s0, s33, s0
	s_cselect_b32 s2, s3, s2
	s_add_i32 s3, s0, 1
	s_cmp_ge_u32 s2, s11
	s_cselect_b32 s0, s3, s0
	s_add_i32 s2, s31, 7
	s_lshl_b32 s44, s8, 6
	s_ashr_i32 s3, s2, 31
	v_or_b32_e32 v1, s44, v12
	s_lshr_b32 s3, s3, 29
	s_add_i32 s2, s2, s3
	s_add_i32 s3, s44, 64
	s_ashr_i32 s33, s2, 3
	s_xor_b32 s2, s0, s40
	s_min_i32 s20, s3, s33
	v_ashrrev_i32_e32 v2, 31, v1
	v_cmp_gt_i32_e64 s0, s20, v1
	s_sub_i32 s40, s2, s40
	s_and_saveexec_b32 s45, s0
	s_cbranch_execz .LBB269_533
; %bb.10:
	s_load_dwordx2 s[2:3], s[4:5], 0x20
	s_sub_i32 s4, s40, s21
	s_ashr_i32 s1, s18, 31
	v_bfe_u32 v15, v0, 2, 3
	v_cmp_eq_u32_e32 vcc_lo, 0, v3
	v_lshlrev_b32_e32 v7, 1, v3
	v_lshlrev_b32_e32 v16, 7, v3
	v_mov_b32_e32 v4, 0
	v_lshlrev_b32_e32 v3, 2, v15
	v_subrev_nc_u32_e32 v9, s31, v15
	v_lshl_add_u32 v17, v12, 3, s42
	v_mov_b32_e32 v18, 0xff7fffff
	v_mov_b32_e32 v19, 0x80
	v_lshl_or_b32 v3, v12, 5, v3
	v_add_nc_u32_e32 v23, 1, v9
	v_mov_b32_e32 v20, 0x7f
	v_mov_b32_e32 v21, 7
	;; [unrolled: 1-line block ×3, first 2 shown]
	v_add_nc_u32_e32 v24, 0x220, v3
	v_mov_b32_e32 v14, 0xff7fffff
	s_waitcnt lgkmcnt(0)
	s_add_u32 s46, s2, s18
	s_addc_u32 s47, s3, s1
	s_abs_i32 s5, s22
	v_cmp_neq_f32_e64 s1, s43, 0
	v_cvt_f32_u32_e32 v5, s5
	s_sub_i32 s2, 0, s5
	v_mov_b32_e32 v26, v1
	v_rcp_iflag_f32_e32 v8, v5
	v_lshlrev_b64 v[5:6], 2, v[1:2]
	v_mul_f32_e32 v8, 0x4f7ffffe, v8
	v_cvt_u32_f32_e32 v10, v8
	v_lshlrev_b32_e32 v8, 4, v15
	v_mul_lo_u32 v3, s2, v10
	s_lshl_b64 s[2:3], s[36:37], 2
	v_add_co_u32 v8, s46, s46, v8
	s_add_u32 s2, s34, s2
	v_add_co_ci_u32_e64 v9, null, s47, 0, s46
	s_addc_u32 s3, s35, s3
	v_mul_hi_u32 v3, v10, v3
	v_add_co_u32 v5, s2, s2, v5
	v_add_co_ci_u32_e64 v6, null, s3, v6, s2
	v_add_co_u32 v7, s2, v8, v7
	v_add_co_ci_u32_e64 v8, null, 0, v9, s2
	v_add_nc_u32_e32 v25, v10, v3
	s_mov_b32 s46, 0
	s_mov_b32 s47, s17
	s_branch .LBB269_13
.LBB269_11:                             ;   in Loop: Header=BB269_13 Depth=1
	s_or_b32 exec_lo, exec_lo, s48
.LBB269_12:                             ;   in Loop: Header=BB269_13 Depth=1
	s_or_b32 exec_lo, exec_lo, s3
	v_add_nc_u32_e32 v26, 4, v26
	v_add_co_u32 v5, s3, v5, 16
	v_add_co_ci_u32_e64 v6, null, 0, v6, s3
	v_cmp_le_i32_e64 s2, s20, v26
	v_add_nc_u32_e32 v17, 32, v17
	v_add_nc_u32_e32 v24, 0x80, v24
	s_or_b32 s46, s2, s46
	s_andn2_b32 exec_lo, exec_lo, s46
	s_cbranch_execz .LBB269_532
.LBB269_13:                             ; =>This Inner Loop Header: Depth=1
	v_sub_nc_u32_e32 v3, 0, v17
	v_max_i32_e32 v3, v17, v3
	s_waitcnt lgkmcnt(0)
	v_mul_hi_u32 v9, v3, s16
	v_mul_lo_u32 v10, v9, s11
	v_sub_nc_u32_e32 v3, v3, v10
	v_add_nc_u32_e32 v10, 1, v9
	v_subrev_nc_u32_e32 v27, s11, v3
	v_cmp_le_u32_e64 s2, s11, v3
	v_cndmask_b32_e64 v9, v9, v10, s2
	v_cndmask_b32_e64 v3, v3, v27, s2
	v_ashrrev_i32_e32 v10, 31, v17
	v_add_nc_u32_e32 v27, 1, v9
	v_cmp_le_u32_e64 s2, s11, v3
	v_xor_b32_e32 v10, s23, v10
	v_cndmask_b32_e64 v3, v9, v27, s2
	v_xor_b32_e32 v3, v3, v10
	v_sub_nc_u32_e32 v3, v3, v10
	v_add_nc_u32_e32 v9, s19, v3
	v_cmp_ge_i32_e64 s3, s4, v3
	v_sub_nc_u32_e32 v10, 0, v9
	v_max_i32_e32 v10, v9, v10
	v_ashrrev_i32_e32 v9, 31, v9
	v_mul_hi_u32 v27, v10, v25
	v_mul_lo_u32 v27, v27, s5
	v_sub_nc_u32_e32 v10, v10, v27
	v_subrev_nc_u32_e32 v27, s5, v10
	v_cmp_le_u32_e64 s2, s5, v10
	v_cndmask_b32_e64 v10, v10, v27, s2
	v_subrev_nc_u32_e32 v27, s5, v10
	v_cmp_le_u32_e64 s2, s5, v10
	v_cndmask_b32_e64 v10, v10, v27, s2
	v_xor_b32_e32 v10, v10, v9
	v_sub_nc_u32_e32 v9, v10, v9
	v_cmp_ne_u32_e64 s2, 0, v9
	s_and_b32 s2, s2, s3
	s_and_saveexec_b32 s3, s2
	s_xor_b32 s2, exec_lo, s3
	s_cbranch_execz .LBB269_17
; %bb.14:                               ;   in Loop: Header=BB269_13 Depth=1
	s_and_saveexec_b32 s3, vcc_lo
; %bb.15:                               ;   in Loop: Header=BB269_13 Depth=1
	ds_write_b32 v24, v18
; %bb.16:                               ;   in Loop: Header=BB269_13 Depth=1
	s_or_b32 exec_lo, exec_lo, s3
.LBB269_17:                             ;   in Loop: Header=BB269_13 Depth=1
	s_andn2_saveexec_b32 s3, s2
	s_cbranch_execz .LBB269_12
; %bb.18:                               ;   in Loop: Header=BB269_13 Depth=1
	global_load_dword v3, v[5:6], off
	v_mov_b32_e32 v28, 0
	global_load_dword v27, v28, s[12:13]
	s_waitcnt vmcnt(1)
	v_mad_i64_i32 v[9:10], null, v3, s47, v[7:8]
	global_load_ushort v29, v[9:10], off
	s_waitcnt vmcnt(0)
	v_and_b32_e32 v3, 0xffff, v29
	v_cmp_ne_u16_sdwa s2, v29, v4 src0_sel:BYTE_0 src1_sel:DWORD
	v_mov_b32_e32 v29, 0
	s_and_saveexec_b32 s48, s2
	s_cbranch_execz .LBB269_26
; %bb.19:                               ;   in Loop: Header=BB269_13 Depth=1
	v_cmp_ne_u16_sdwa s2, v3, v19 src0_sel:BYTE_0 src1_sel:DWORD
	v_mov_b32_e32 v29, 0x8000
	s_and_saveexec_b32 s49, s2
	s_cbranch_execz .LBB269_25
; %bb.20:                               ;   in Loop: Header=BB269_13 Depth=1
	v_and_b32_e32 v31, 0x7f, v3
	v_mov_b32_e32 v29, 0x7c01
	s_mov_b32 s50, exec_lo
	v_cmpx_ne_u32_e32 0x7f, v31
	s_cbranch_execz .LBB269_24
; %bb.21:                               ;   in Loop: Header=BB269_13 Depth=1
	v_and_b32_e32 v29, 7, v3
	v_lshrrev_b32_e32 v30, 3, v31
	s_mov_b32 s51, exec_lo
	v_cmpx_gt_u32_e32 8, v31
; %bb.22:                               ;   in Loop: Header=BB269_13 Depth=1
	v_ffbh_u32_e32 v29, v29
	v_min_u32_e32 v31, 32, v29
	v_subrev_nc_u32_e32 v29, 28, v31
	v_lshlrev_b64 v[29:30], v29, v[3:4]
	v_sub_nc_u32_e32 v30, 29, v31
	v_and_b32_e32 v29, 7, v29
; %bb.23:                               ;   in Loop: Header=BB269_13 Depth=1
	s_or_b32 exec_lo, exec_lo, s51
	v_lshlrev_b32_e32 v31, 8, v3
	v_lshl_add_u32 v30, v30, 10, 0x2000
	v_lshlrev_b32_e32 v29, 7, v29
	v_and_b32_e32 v31, 0x8000, v31
	v_and_b32_e32 v30, 0xfc00, v30
	v_or3_b32 v29, v31, v30, v29
.LBB269_24:                             ;   in Loop: Header=BB269_13 Depth=1
	s_or_b32 exec_lo, exec_lo, s50
.LBB269_25:                             ;   in Loop: Header=BB269_13 Depth=1
	s_or_b32 exec_lo, exec_lo, s49
.LBB269_26:                             ;   in Loop: Header=BB269_13 Depth=1
	s_or_b32 exec_lo, exec_lo, s48
	v_lshrrev_b16 v3, 8, v3
	s_mov_b32 s48, exec_lo
	v_cmpx_ne_u16_e32 0, v3
	s_cbranch_execz .LBB269_34
; %bb.27:                               ;   in Loop: Header=BB269_13 Depth=1
	v_bfrev_b32_e32 v28, 1
	s_mov_b32 s49, exec_lo
	v_cmpx_ne_u16_e32 0x80, v3
	s_cbranch_execz .LBB269_33
; %bb.28:                               ;   in Loop: Header=BB269_13 Depth=1
	v_and_b32_sdwa v31, v3, v20 dst_sel:DWORD dst_unused:UNUSED_PAD src0_sel:WORD_0 src1_sel:DWORD
	v_mov_b32_e32 v28, 0x7c010000
	s_mov_b32 s50, exec_lo
	v_cmpx_ne_u32_e32 0x7f, v31
	s_cbranch_execz .LBB269_32
; %bb.29:                               ;   in Loop: Header=BB269_13 Depth=1
	v_and_b32_sdwa v28, v3, v21 dst_sel:DWORD dst_unused:UNUSED_PAD src0_sel:WORD_0 src1_sel:DWORD
	v_lshrrev_b32_e32 v30, 3, v31
	s_mov_b32 s51, exec_lo
	v_cmpx_gt_u32_e32 8, v31
; %bb.30:                               ;   in Loop: Header=BB269_13 Depth=1
	v_ffbh_u32_e32 v28, v28
	v_min_u32_e32 v28, 32, v28
	v_subrev_nc_u32_e32 v30, 28, v28
	v_lshlrev_b64 v[31:32], v30, v[3:4]
	v_sub_nc_u32_e32 v30, 29, v28
	v_and_b32_e32 v28, 7, v31
; %bb.31:                               ;   in Loop: Header=BB269_13 Depth=1
	s_or_b32 exec_lo, exec_lo, s51
	v_lshlrev_b32_sdwa v3, v22, v3 dst_sel:DWORD dst_unused:UNUSED_PAD src0_sel:DWORD src1_sel:WORD_0
	v_lshl_add_u32 v30, v30, 10, 0x2000
	v_lshlrev_b32_e32 v28, 23, v28
	v_and_or_b32 v3, 0x8000, v3, v30
	v_lshl_or_b32 v28, v3, 16, v28
.LBB269_32:                             ;   in Loop: Header=BB269_13 Depth=1
	s_or_b32 exec_lo, exec_lo, s50
.LBB269_33:                             ;   in Loop: Header=BB269_13 Depth=1
	s_or_b32 exec_lo, exec_lo, s49
.LBB269_34:                             ;   in Loop: Header=BB269_13 Depth=1
	s_or_b32 exec_lo, exec_lo, s48
	global_load_ushort v31, v[9:10], off offset:8
	v_mov_b32_e32 v30, 0
	s_waitcnt vmcnt(0)
	v_and_b32_e32 v3, 0xffff, v31
	v_cmp_ne_u16_sdwa s2, v31, v4 src0_sel:BYTE_0 src1_sel:DWORD
	v_mov_b32_e32 v31, 0
	s_and_saveexec_b32 s48, s2
	s_cbranch_execz .LBB269_42
; %bb.35:                               ;   in Loop: Header=BB269_13 Depth=1
	v_cmp_ne_u16_sdwa s2, v3, v19 src0_sel:BYTE_0 src1_sel:DWORD
	v_mov_b32_e32 v31, 0x8000
	s_and_saveexec_b32 s49, s2
	s_cbranch_execz .LBB269_41
; %bb.36:                               ;   in Loop: Header=BB269_13 Depth=1
	v_and_b32_e32 v33, 0x7f, v3
	v_mov_b32_e32 v31, 0x7c01
	s_mov_b32 s50, exec_lo
	v_cmpx_ne_u32_e32 0x7f, v33
	s_cbranch_execz .LBB269_40
; %bb.37:                               ;   in Loop: Header=BB269_13 Depth=1
	v_and_b32_e32 v31, 7, v3
	v_lshrrev_b32_e32 v32, 3, v33
	s_mov_b32 s51, exec_lo
	v_cmpx_gt_u32_e32 8, v33
; %bb.38:                               ;   in Loop: Header=BB269_13 Depth=1
	v_ffbh_u32_e32 v31, v31
	v_min_u32_e32 v33, 32, v31
	v_subrev_nc_u32_e32 v31, 28, v33
	v_lshlrev_b64 v[31:32], v31, v[3:4]
	v_sub_nc_u32_e32 v32, 29, v33
	v_and_b32_e32 v31, 7, v31
; %bb.39:                               ;   in Loop: Header=BB269_13 Depth=1
	s_or_b32 exec_lo, exec_lo, s51
	v_lshlrev_b32_e32 v33, 8, v3
	v_lshl_add_u32 v32, v32, 10, 0x2000
	v_lshlrev_b32_e32 v31, 7, v31
	v_and_b32_e32 v33, 0x8000, v33
	v_and_b32_e32 v32, 0xfc00, v32
	v_or3_b32 v31, v33, v32, v31
.LBB269_40:                             ;   in Loop: Header=BB269_13 Depth=1
	s_or_b32 exec_lo, exec_lo, s50
.LBB269_41:                             ;   in Loop: Header=BB269_13 Depth=1
	s_or_b32 exec_lo, exec_lo, s49
.LBB269_42:                             ;   in Loop: Header=BB269_13 Depth=1
	s_or_b32 exec_lo, exec_lo, s48
	v_lshrrev_b16 v3, 8, v3
	s_mov_b32 s48, exec_lo
	v_cmpx_ne_u16_e32 0, v3
	s_cbranch_execz .LBB269_50
; %bb.43:                               ;   in Loop: Header=BB269_13 Depth=1
	v_bfrev_b32_e32 v30, 1
	s_mov_b32 s49, exec_lo
	v_cmpx_ne_u16_e32 0x80, v3
	s_cbranch_execz .LBB269_49
; %bb.44:                               ;   in Loop: Header=BB269_13 Depth=1
	v_and_b32_sdwa v33, v3, v20 dst_sel:DWORD dst_unused:UNUSED_PAD src0_sel:WORD_0 src1_sel:DWORD
	v_mov_b32_e32 v30, 0x7c010000
	s_mov_b32 s50, exec_lo
	v_cmpx_ne_u32_e32 0x7f, v33
	s_cbranch_execz .LBB269_48
; %bb.45:                               ;   in Loop: Header=BB269_13 Depth=1
	v_and_b32_sdwa v30, v3, v21 dst_sel:DWORD dst_unused:UNUSED_PAD src0_sel:WORD_0 src1_sel:DWORD
	v_lshrrev_b32_e32 v32, 3, v33
	s_mov_b32 s51, exec_lo
	v_cmpx_gt_u32_e32 8, v33
; %bb.46:                               ;   in Loop: Header=BB269_13 Depth=1
	v_ffbh_u32_e32 v30, v30
	v_min_u32_e32 v30, 32, v30
	v_subrev_nc_u32_e32 v32, 28, v30
	v_lshlrev_b64 v[33:34], v32, v[3:4]
	v_sub_nc_u32_e32 v32, 29, v30
	v_and_b32_e32 v30, 7, v33
; %bb.47:                               ;   in Loop: Header=BB269_13 Depth=1
	s_or_b32 exec_lo, exec_lo, s51
	v_lshlrev_b32_sdwa v3, v22, v3 dst_sel:DWORD dst_unused:UNUSED_PAD src0_sel:DWORD src1_sel:WORD_0
	v_lshl_add_u32 v32, v32, 10, 0x2000
	v_lshlrev_b32_e32 v30, 23, v30
	v_and_or_b32 v3, 0x8000, v3, v32
	v_lshl_or_b32 v30, v3, 16, v30
.LBB269_48:                             ;   in Loop: Header=BB269_13 Depth=1
	s_or_b32 exec_lo, exec_lo, s50
.LBB269_49:                             ;   in Loop: Header=BB269_13 Depth=1
	s_or_b32 exec_lo, exec_lo, s49
.LBB269_50:                             ;   in Loop: Header=BB269_13 Depth=1
	s_or_b32 exec_lo, exec_lo, s48
	global_load_ushort v33, v[9:10], off offset:128
	v_mov_b32_e32 v32, 0
	s_waitcnt vmcnt(0)
	v_and_b32_e32 v3, 0xffff, v33
	v_cmp_ne_u16_sdwa s2, v33, v4 src0_sel:BYTE_0 src1_sel:DWORD
	v_mov_b32_e32 v33, 0
	s_and_saveexec_b32 s48, s2
	s_cbranch_execz .LBB269_58
; %bb.51:                               ;   in Loop: Header=BB269_13 Depth=1
	v_cmp_ne_u16_sdwa s2, v3, v19 src0_sel:BYTE_0 src1_sel:DWORD
	v_mov_b32_e32 v33, 0x8000
	s_and_saveexec_b32 s49, s2
	s_cbranch_execz .LBB269_57
; %bb.52:                               ;   in Loop: Header=BB269_13 Depth=1
	v_and_b32_e32 v35, 0x7f, v3
	v_mov_b32_e32 v33, 0x7c01
	s_mov_b32 s50, exec_lo
	v_cmpx_ne_u32_e32 0x7f, v35
	s_cbranch_execz .LBB269_56
; %bb.53:                               ;   in Loop: Header=BB269_13 Depth=1
	v_and_b32_e32 v33, 7, v3
	v_lshrrev_b32_e32 v34, 3, v35
	s_mov_b32 s51, exec_lo
	v_cmpx_gt_u32_e32 8, v35
; %bb.54:                               ;   in Loop: Header=BB269_13 Depth=1
	v_ffbh_u32_e32 v33, v33
	v_min_u32_e32 v35, 32, v33
	v_subrev_nc_u32_e32 v33, 28, v35
	v_lshlrev_b64 v[33:34], v33, v[3:4]
	v_sub_nc_u32_e32 v34, 29, v35
	v_and_b32_e32 v33, 7, v33
; %bb.55:                               ;   in Loop: Header=BB269_13 Depth=1
	s_or_b32 exec_lo, exec_lo, s51
	v_lshlrev_b32_e32 v35, 8, v3
	v_lshl_add_u32 v34, v34, 10, 0x2000
	v_lshlrev_b32_e32 v33, 7, v33
	v_and_b32_e32 v35, 0x8000, v35
	v_and_b32_e32 v34, 0xfc00, v34
	v_or3_b32 v33, v35, v34, v33
.LBB269_56:                             ;   in Loop: Header=BB269_13 Depth=1
	s_or_b32 exec_lo, exec_lo, s50
.LBB269_57:                             ;   in Loop: Header=BB269_13 Depth=1
	s_or_b32 exec_lo, exec_lo, s49
.LBB269_58:                             ;   in Loop: Header=BB269_13 Depth=1
	s_or_b32 exec_lo, exec_lo, s48
	v_lshrrev_b16 v3, 8, v3
	s_mov_b32 s48, exec_lo
	v_cmpx_ne_u16_e32 0, v3
	s_cbranch_execz .LBB269_66
; %bb.59:                               ;   in Loop: Header=BB269_13 Depth=1
	v_bfrev_b32_e32 v32, 1
	s_mov_b32 s49, exec_lo
	v_cmpx_ne_u16_e32 0x80, v3
	s_cbranch_execz .LBB269_65
; %bb.60:                               ;   in Loop: Header=BB269_13 Depth=1
	v_and_b32_sdwa v35, v3, v20 dst_sel:DWORD dst_unused:UNUSED_PAD src0_sel:WORD_0 src1_sel:DWORD
	v_mov_b32_e32 v32, 0x7c010000
	s_mov_b32 s50, exec_lo
	v_cmpx_ne_u32_e32 0x7f, v35
	s_cbranch_execz .LBB269_64
; %bb.61:                               ;   in Loop: Header=BB269_13 Depth=1
	v_and_b32_sdwa v32, v3, v21 dst_sel:DWORD dst_unused:UNUSED_PAD src0_sel:WORD_0 src1_sel:DWORD
	v_lshrrev_b32_e32 v34, 3, v35
	s_mov_b32 s51, exec_lo
	v_cmpx_gt_u32_e32 8, v35
; %bb.62:                               ;   in Loop: Header=BB269_13 Depth=1
	v_ffbh_u32_e32 v32, v32
	v_min_u32_e32 v32, 32, v32
	v_subrev_nc_u32_e32 v34, 28, v32
	v_lshlrev_b64 v[35:36], v34, v[3:4]
	v_sub_nc_u32_e32 v34, 29, v32
	v_and_b32_e32 v32, 7, v35
; %bb.63:                               ;   in Loop: Header=BB269_13 Depth=1
	s_or_b32 exec_lo, exec_lo, s51
	v_lshlrev_b32_sdwa v3, v22, v3 dst_sel:DWORD dst_unused:UNUSED_PAD src0_sel:DWORD src1_sel:WORD_0
	v_lshl_add_u32 v34, v34, 10, 0x2000
	v_lshlrev_b32_e32 v32, 23, v32
	v_and_or_b32 v3, 0x8000, v3, v34
	v_lshl_or_b32 v32, v3, 16, v32
.LBB269_64:                             ;   in Loop: Header=BB269_13 Depth=1
	s_or_b32 exec_lo, exec_lo, s50
.LBB269_65:                             ;   in Loop: Header=BB269_13 Depth=1
	s_or_b32 exec_lo, exec_lo, s49
.LBB269_66:                             ;   in Loop: Header=BB269_13 Depth=1
	s_or_b32 exec_lo, exec_lo, s48
	global_load_ushort v35, v[9:10], off offset:136
	v_mov_b32_e32 v34, 0
	s_waitcnt vmcnt(0)
	v_and_b32_e32 v3, 0xffff, v35
	v_cmp_ne_u16_sdwa s2, v35, v4 src0_sel:BYTE_0 src1_sel:DWORD
	v_mov_b32_e32 v35, 0
	s_and_saveexec_b32 s48, s2
	s_cbranch_execz .LBB269_74
; %bb.67:                               ;   in Loop: Header=BB269_13 Depth=1
	v_cmp_ne_u16_sdwa s2, v3, v19 src0_sel:BYTE_0 src1_sel:DWORD
	v_mov_b32_e32 v35, 0x8000
	s_and_saveexec_b32 s49, s2
	s_cbranch_execz .LBB269_73
; %bb.68:                               ;   in Loop: Header=BB269_13 Depth=1
	v_and_b32_e32 v37, 0x7f, v3
	v_mov_b32_e32 v35, 0x7c01
	s_mov_b32 s50, exec_lo
	v_cmpx_ne_u32_e32 0x7f, v37
	s_cbranch_execz .LBB269_72
; %bb.69:                               ;   in Loop: Header=BB269_13 Depth=1
	v_and_b32_e32 v35, 7, v3
	v_lshrrev_b32_e32 v36, 3, v37
	s_mov_b32 s51, exec_lo
	v_cmpx_gt_u32_e32 8, v37
; %bb.70:                               ;   in Loop: Header=BB269_13 Depth=1
	v_ffbh_u32_e32 v35, v35
	v_min_u32_e32 v37, 32, v35
	v_subrev_nc_u32_e32 v35, 28, v37
	v_lshlrev_b64 v[35:36], v35, v[3:4]
	v_sub_nc_u32_e32 v36, 29, v37
	v_and_b32_e32 v35, 7, v35
; %bb.71:                               ;   in Loop: Header=BB269_13 Depth=1
	s_or_b32 exec_lo, exec_lo, s51
	v_lshlrev_b32_e32 v37, 8, v3
	v_lshl_add_u32 v36, v36, 10, 0x2000
	v_lshlrev_b32_e32 v35, 7, v35
	v_and_b32_e32 v37, 0x8000, v37
	v_and_b32_e32 v36, 0xfc00, v36
	v_or3_b32 v35, v37, v36, v35
.LBB269_72:                             ;   in Loop: Header=BB269_13 Depth=1
	s_or_b32 exec_lo, exec_lo, s50
.LBB269_73:                             ;   in Loop: Header=BB269_13 Depth=1
	s_or_b32 exec_lo, exec_lo, s49
.LBB269_74:                             ;   in Loop: Header=BB269_13 Depth=1
	s_or_b32 exec_lo, exec_lo, s48
	v_lshrrev_b16 v3, 8, v3
	s_mov_b32 s48, exec_lo
	v_cmpx_ne_u16_e32 0, v3
	s_cbranch_execz .LBB269_82
; %bb.75:                               ;   in Loop: Header=BB269_13 Depth=1
	v_bfrev_b32_e32 v34, 1
	s_mov_b32 s49, exec_lo
	v_cmpx_ne_u16_e32 0x80, v3
	s_cbranch_execz .LBB269_81
; %bb.76:                               ;   in Loop: Header=BB269_13 Depth=1
	v_and_b32_sdwa v37, v3, v20 dst_sel:DWORD dst_unused:UNUSED_PAD src0_sel:WORD_0 src1_sel:DWORD
	v_mov_b32_e32 v34, 0x7c010000
	s_mov_b32 s50, exec_lo
	v_cmpx_ne_u32_e32 0x7f, v37
	s_cbranch_execz .LBB269_80
; %bb.77:                               ;   in Loop: Header=BB269_13 Depth=1
	v_and_b32_sdwa v34, v3, v21 dst_sel:DWORD dst_unused:UNUSED_PAD src0_sel:WORD_0 src1_sel:DWORD
	v_lshrrev_b32_e32 v36, 3, v37
	s_mov_b32 s51, exec_lo
	v_cmpx_gt_u32_e32 8, v37
; %bb.78:                               ;   in Loop: Header=BB269_13 Depth=1
	v_ffbh_u32_e32 v34, v34
	v_min_u32_e32 v34, 32, v34
	v_subrev_nc_u32_e32 v36, 28, v34
	v_lshlrev_b64 v[37:38], v36, v[3:4]
	v_sub_nc_u32_e32 v36, 29, v34
	v_and_b32_e32 v34, 7, v37
; %bb.79:                               ;   in Loop: Header=BB269_13 Depth=1
	s_or_b32 exec_lo, exec_lo, s51
	v_lshlrev_b32_sdwa v3, v22, v3 dst_sel:DWORD dst_unused:UNUSED_PAD src0_sel:DWORD src1_sel:WORD_0
	v_lshl_add_u32 v36, v36, 10, 0x2000
	v_lshlrev_b32_e32 v34, 23, v34
	v_and_or_b32 v3, 0x8000, v3, v36
	v_lshl_or_b32 v34, v3, 16, v34
.LBB269_80:                             ;   in Loop: Header=BB269_13 Depth=1
	s_or_b32 exec_lo, exec_lo, s50
.LBB269_81:                             ;   in Loop: Header=BB269_13 Depth=1
	s_or_b32 exec_lo, exec_lo, s49
.LBB269_82:                             ;   in Loop: Header=BB269_13 Depth=1
	s_or_b32 exec_lo, exec_lo, s48
	global_load_ushort v37, v[9:10], off offset:256
	v_mov_b32_e32 v36, 0
	s_waitcnt vmcnt(0)
	v_and_b32_e32 v3, 0xffff, v37
	v_cmp_ne_u16_sdwa s2, v37, v4 src0_sel:BYTE_0 src1_sel:DWORD
	v_mov_b32_e32 v37, 0
	s_and_saveexec_b32 s48, s2
	s_cbranch_execz .LBB269_90
; %bb.83:                               ;   in Loop: Header=BB269_13 Depth=1
	v_cmp_ne_u16_sdwa s2, v3, v19 src0_sel:BYTE_0 src1_sel:DWORD
	v_mov_b32_e32 v37, 0x8000
	s_and_saveexec_b32 s49, s2
	s_cbranch_execz .LBB269_89
; %bb.84:                               ;   in Loop: Header=BB269_13 Depth=1
	v_and_b32_e32 v39, 0x7f, v3
	v_mov_b32_e32 v37, 0x7c01
	s_mov_b32 s50, exec_lo
	v_cmpx_ne_u32_e32 0x7f, v39
	s_cbranch_execz .LBB269_88
; %bb.85:                               ;   in Loop: Header=BB269_13 Depth=1
	v_and_b32_e32 v37, 7, v3
	v_lshrrev_b32_e32 v38, 3, v39
	s_mov_b32 s51, exec_lo
	v_cmpx_gt_u32_e32 8, v39
; %bb.86:                               ;   in Loop: Header=BB269_13 Depth=1
	v_ffbh_u32_e32 v37, v37
	v_min_u32_e32 v39, 32, v37
	v_subrev_nc_u32_e32 v37, 28, v39
	v_lshlrev_b64 v[37:38], v37, v[3:4]
	v_sub_nc_u32_e32 v38, 29, v39
	v_and_b32_e32 v37, 7, v37
; %bb.87:                               ;   in Loop: Header=BB269_13 Depth=1
	s_or_b32 exec_lo, exec_lo, s51
	v_lshlrev_b32_e32 v39, 8, v3
	v_lshl_add_u32 v38, v38, 10, 0x2000
	v_lshlrev_b32_e32 v37, 7, v37
	v_and_b32_e32 v39, 0x8000, v39
	v_and_b32_e32 v38, 0xfc00, v38
	v_or3_b32 v37, v39, v38, v37
.LBB269_88:                             ;   in Loop: Header=BB269_13 Depth=1
	s_or_b32 exec_lo, exec_lo, s50
.LBB269_89:                             ;   in Loop: Header=BB269_13 Depth=1
	s_or_b32 exec_lo, exec_lo, s49
.LBB269_90:                             ;   in Loop: Header=BB269_13 Depth=1
	s_or_b32 exec_lo, exec_lo, s48
	v_lshrrev_b16 v3, 8, v3
	s_mov_b32 s48, exec_lo
	v_cmpx_ne_u16_e32 0, v3
	s_cbranch_execz .LBB269_98
; %bb.91:                               ;   in Loop: Header=BB269_13 Depth=1
	v_bfrev_b32_e32 v36, 1
	s_mov_b32 s49, exec_lo
	v_cmpx_ne_u16_e32 0x80, v3
	s_cbranch_execz .LBB269_97
; %bb.92:                               ;   in Loop: Header=BB269_13 Depth=1
	v_and_b32_sdwa v39, v3, v20 dst_sel:DWORD dst_unused:UNUSED_PAD src0_sel:WORD_0 src1_sel:DWORD
	v_mov_b32_e32 v36, 0x7c010000
	s_mov_b32 s50, exec_lo
	v_cmpx_ne_u32_e32 0x7f, v39
	s_cbranch_execz .LBB269_96
; %bb.93:                               ;   in Loop: Header=BB269_13 Depth=1
	v_and_b32_sdwa v36, v3, v21 dst_sel:DWORD dst_unused:UNUSED_PAD src0_sel:WORD_0 src1_sel:DWORD
	v_lshrrev_b32_e32 v38, 3, v39
	s_mov_b32 s51, exec_lo
	v_cmpx_gt_u32_e32 8, v39
; %bb.94:                               ;   in Loop: Header=BB269_13 Depth=1
	v_ffbh_u32_e32 v36, v36
	v_min_u32_e32 v36, 32, v36
	v_subrev_nc_u32_e32 v38, 28, v36
	v_lshlrev_b64 v[39:40], v38, v[3:4]
	v_sub_nc_u32_e32 v38, 29, v36
	v_and_b32_e32 v36, 7, v39
; %bb.95:                               ;   in Loop: Header=BB269_13 Depth=1
	s_or_b32 exec_lo, exec_lo, s51
	v_lshlrev_b32_sdwa v3, v22, v3 dst_sel:DWORD dst_unused:UNUSED_PAD src0_sel:DWORD src1_sel:WORD_0
	v_lshl_add_u32 v38, v38, 10, 0x2000
	v_lshlrev_b32_e32 v36, 23, v36
	v_and_or_b32 v3, 0x8000, v3, v38
	v_lshl_or_b32 v36, v3, 16, v36
.LBB269_96:                             ;   in Loop: Header=BB269_13 Depth=1
	s_or_b32 exec_lo, exec_lo, s50
.LBB269_97:                             ;   in Loop: Header=BB269_13 Depth=1
	s_or_b32 exec_lo, exec_lo, s49
.LBB269_98:                             ;   in Loop: Header=BB269_13 Depth=1
	s_or_b32 exec_lo, exec_lo, s48
	global_load_ushort v39, v[9:10], off offset:264
	v_mov_b32_e32 v38, 0
	s_waitcnt vmcnt(0)
	v_and_b32_e32 v3, 0xffff, v39
	v_cmp_ne_u16_sdwa s2, v39, v4 src0_sel:BYTE_0 src1_sel:DWORD
	v_mov_b32_e32 v39, 0
	s_and_saveexec_b32 s48, s2
	s_cbranch_execz .LBB269_106
; %bb.99:                               ;   in Loop: Header=BB269_13 Depth=1
	v_cmp_ne_u16_sdwa s2, v3, v19 src0_sel:BYTE_0 src1_sel:DWORD
	v_mov_b32_e32 v39, 0x8000
	s_and_saveexec_b32 s49, s2
	s_cbranch_execz .LBB269_105
; %bb.100:                              ;   in Loop: Header=BB269_13 Depth=1
	v_and_b32_e32 v41, 0x7f, v3
	v_mov_b32_e32 v39, 0x7c01
	s_mov_b32 s50, exec_lo
	v_cmpx_ne_u32_e32 0x7f, v41
	s_cbranch_execz .LBB269_104
; %bb.101:                              ;   in Loop: Header=BB269_13 Depth=1
	v_and_b32_e32 v39, 7, v3
	v_lshrrev_b32_e32 v40, 3, v41
	s_mov_b32 s51, exec_lo
	v_cmpx_gt_u32_e32 8, v41
; %bb.102:                              ;   in Loop: Header=BB269_13 Depth=1
	v_ffbh_u32_e32 v39, v39
	v_min_u32_e32 v41, 32, v39
	v_subrev_nc_u32_e32 v39, 28, v41
	v_lshlrev_b64 v[39:40], v39, v[3:4]
	v_sub_nc_u32_e32 v40, 29, v41
	v_and_b32_e32 v39, 7, v39
; %bb.103:                              ;   in Loop: Header=BB269_13 Depth=1
	s_or_b32 exec_lo, exec_lo, s51
	v_lshlrev_b32_e32 v41, 8, v3
	v_lshl_add_u32 v40, v40, 10, 0x2000
	v_lshlrev_b32_e32 v39, 7, v39
	v_and_b32_e32 v41, 0x8000, v41
	v_and_b32_e32 v40, 0xfc00, v40
	v_or3_b32 v39, v41, v40, v39
.LBB269_104:                            ;   in Loop: Header=BB269_13 Depth=1
	s_or_b32 exec_lo, exec_lo, s50
.LBB269_105:                            ;   in Loop: Header=BB269_13 Depth=1
	s_or_b32 exec_lo, exec_lo, s49
.LBB269_106:                            ;   in Loop: Header=BB269_13 Depth=1
	s_or_b32 exec_lo, exec_lo, s48
	v_lshrrev_b16 v3, 8, v3
	s_mov_b32 s48, exec_lo
	v_cmpx_ne_u16_e32 0, v3
	s_cbranch_execz .LBB269_114
; %bb.107:                              ;   in Loop: Header=BB269_13 Depth=1
	v_bfrev_b32_e32 v38, 1
	s_mov_b32 s49, exec_lo
	v_cmpx_ne_u16_e32 0x80, v3
	s_cbranch_execz .LBB269_113
; %bb.108:                              ;   in Loop: Header=BB269_13 Depth=1
	v_and_b32_sdwa v41, v3, v20 dst_sel:DWORD dst_unused:UNUSED_PAD src0_sel:WORD_0 src1_sel:DWORD
	v_mov_b32_e32 v38, 0x7c010000
	s_mov_b32 s50, exec_lo
	v_cmpx_ne_u32_e32 0x7f, v41
	s_cbranch_execz .LBB269_112
; %bb.109:                              ;   in Loop: Header=BB269_13 Depth=1
	v_and_b32_sdwa v38, v3, v21 dst_sel:DWORD dst_unused:UNUSED_PAD src0_sel:WORD_0 src1_sel:DWORD
	v_lshrrev_b32_e32 v40, 3, v41
	s_mov_b32 s51, exec_lo
	v_cmpx_gt_u32_e32 8, v41
; %bb.110:                              ;   in Loop: Header=BB269_13 Depth=1
	v_ffbh_u32_e32 v38, v38
	v_min_u32_e32 v38, 32, v38
	v_subrev_nc_u32_e32 v40, 28, v38
	v_lshlrev_b64 v[41:42], v40, v[3:4]
	v_sub_nc_u32_e32 v40, 29, v38
	v_and_b32_e32 v38, 7, v41
; %bb.111:                              ;   in Loop: Header=BB269_13 Depth=1
	s_or_b32 exec_lo, exec_lo, s51
	v_lshlrev_b32_sdwa v3, v22, v3 dst_sel:DWORD dst_unused:UNUSED_PAD src0_sel:DWORD src1_sel:WORD_0
	v_lshl_add_u32 v40, v40, 10, 0x2000
	v_lshlrev_b32_e32 v38, 23, v38
	v_and_or_b32 v3, 0x8000, v3, v40
	v_lshl_or_b32 v38, v3, 16, v38
.LBB269_112:                            ;   in Loop: Header=BB269_13 Depth=1
	s_or_b32 exec_lo, exec_lo, s50
.LBB269_113:                            ;   in Loop: Header=BB269_13 Depth=1
	s_or_b32 exec_lo, exec_lo, s49
.LBB269_114:                            ;   in Loop: Header=BB269_13 Depth=1
	s_or_b32 exec_lo, exec_lo, s48
	global_load_ushort v41, v[9:10], off offset:384
	v_mov_b32_e32 v40, 0
	s_waitcnt vmcnt(0)
	v_and_b32_e32 v3, 0xffff, v41
	v_cmp_ne_u16_sdwa s2, v41, v4 src0_sel:BYTE_0 src1_sel:DWORD
	v_mov_b32_e32 v41, 0
	s_and_saveexec_b32 s48, s2
	s_cbranch_execz .LBB269_122
; %bb.115:                              ;   in Loop: Header=BB269_13 Depth=1
	v_cmp_ne_u16_sdwa s2, v3, v19 src0_sel:BYTE_0 src1_sel:DWORD
	v_mov_b32_e32 v41, 0x8000
	s_and_saveexec_b32 s49, s2
	s_cbranch_execz .LBB269_121
; %bb.116:                              ;   in Loop: Header=BB269_13 Depth=1
	v_and_b32_e32 v43, 0x7f, v3
	v_mov_b32_e32 v41, 0x7c01
	s_mov_b32 s50, exec_lo
	v_cmpx_ne_u32_e32 0x7f, v43
	s_cbranch_execz .LBB269_120
; %bb.117:                              ;   in Loop: Header=BB269_13 Depth=1
	v_and_b32_e32 v41, 7, v3
	v_lshrrev_b32_e32 v42, 3, v43
	s_mov_b32 s51, exec_lo
	v_cmpx_gt_u32_e32 8, v43
; %bb.118:                              ;   in Loop: Header=BB269_13 Depth=1
	v_ffbh_u32_e32 v41, v41
	v_min_u32_e32 v43, 32, v41
	v_subrev_nc_u32_e32 v41, 28, v43
	v_lshlrev_b64 v[41:42], v41, v[3:4]
	v_sub_nc_u32_e32 v42, 29, v43
	v_and_b32_e32 v41, 7, v41
; %bb.119:                              ;   in Loop: Header=BB269_13 Depth=1
	s_or_b32 exec_lo, exec_lo, s51
	v_lshlrev_b32_e32 v43, 8, v3
	v_lshl_add_u32 v42, v42, 10, 0x2000
	v_lshlrev_b32_e32 v41, 7, v41
	v_and_b32_e32 v43, 0x8000, v43
	v_and_b32_e32 v42, 0xfc00, v42
	v_or3_b32 v41, v43, v42, v41
.LBB269_120:                            ;   in Loop: Header=BB269_13 Depth=1
	s_or_b32 exec_lo, exec_lo, s50
.LBB269_121:                            ;   in Loop: Header=BB269_13 Depth=1
	s_or_b32 exec_lo, exec_lo, s49
.LBB269_122:                            ;   in Loop: Header=BB269_13 Depth=1
	s_or_b32 exec_lo, exec_lo, s48
	v_lshrrev_b16 v3, 8, v3
	s_mov_b32 s48, exec_lo
	v_cmpx_ne_u16_e32 0, v3
	s_cbranch_execz .LBB269_130
; %bb.123:                              ;   in Loop: Header=BB269_13 Depth=1
	v_bfrev_b32_e32 v40, 1
	s_mov_b32 s49, exec_lo
	v_cmpx_ne_u16_e32 0x80, v3
	s_cbranch_execz .LBB269_129
; %bb.124:                              ;   in Loop: Header=BB269_13 Depth=1
	v_and_b32_sdwa v43, v3, v20 dst_sel:DWORD dst_unused:UNUSED_PAD src0_sel:WORD_0 src1_sel:DWORD
	v_mov_b32_e32 v40, 0x7c010000
	s_mov_b32 s50, exec_lo
	v_cmpx_ne_u32_e32 0x7f, v43
	s_cbranch_execz .LBB269_128
; %bb.125:                              ;   in Loop: Header=BB269_13 Depth=1
	v_and_b32_sdwa v40, v3, v21 dst_sel:DWORD dst_unused:UNUSED_PAD src0_sel:WORD_0 src1_sel:DWORD
	v_lshrrev_b32_e32 v42, 3, v43
	s_mov_b32 s51, exec_lo
	v_cmpx_gt_u32_e32 8, v43
; %bb.126:                              ;   in Loop: Header=BB269_13 Depth=1
	v_ffbh_u32_e32 v40, v40
	v_min_u32_e32 v40, 32, v40
	v_subrev_nc_u32_e32 v42, 28, v40
	v_lshlrev_b64 v[43:44], v42, v[3:4]
	v_sub_nc_u32_e32 v42, 29, v40
	v_and_b32_e32 v40, 7, v43
; %bb.127:                              ;   in Loop: Header=BB269_13 Depth=1
	s_or_b32 exec_lo, exec_lo, s51
	v_lshlrev_b32_sdwa v3, v22, v3 dst_sel:DWORD dst_unused:UNUSED_PAD src0_sel:DWORD src1_sel:WORD_0
	v_lshl_add_u32 v42, v42, 10, 0x2000
	v_lshlrev_b32_e32 v40, 23, v40
	v_and_or_b32 v3, 0x8000, v3, v42
	v_lshl_or_b32 v40, v3, 16, v40
.LBB269_128:                            ;   in Loop: Header=BB269_13 Depth=1
	s_or_b32 exec_lo, exec_lo, s50
.LBB269_129:                            ;   in Loop: Header=BB269_13 Depth=1
	s_or_b32 exec_lo, exec_lo, s49
.LBB269_130:                            ;   in Loop: Header=BB269_13 Depth=1
	s_or_b32 exec_lo, exec_lo, s48
	global_load_ushort v43, v[9:10], off offset:392
	v_mov_b32_e32 v42, 0
	s_waitcnt vmcnt(0)
	v_and_b32_e32 v3, 0xffff, v43
	v_cmp_ne_u16_sdwa s2, v43, v4 src0_sel:BYTE_0 src1_sel:DWORD
	v_mov_b32_e32 v43, 0
	s_and_saveexec_b32 s48, s2
	s_cbranch_execz .LBB269_138
; %bb.131:                              ;   in Loop: Header=BB269_13 Depth=1
	v_cmp_ne_u16_sdwa s2, v3, v19 src0_sel:BYTE_0 src1_sel:DWORD
	v_mov_b32_e32 v43, 0x8000
	s_and_saveexec_b32 s49, s2
	s_cbranch_execz .LBB269_137
; %bb.132:                              ;   in Loop: Header=BB269_13 Depth=1
	v_and_b32_e32 v45, 0x7f, v3
	v_mov_b32_e32 v43, 0x7c01
	s_mov_b32 s50, exec_lo
	v_cmpx_ne_u32_e32 0x7f, v45
	s_cbranch_execz .LBB269_136
; %bb.133:                              ;   in Loop: Header=BB269_13 Depth=1
	v_and_b32_e32 v43, 7, v3
	v_lshrrev_b32_e32 v44, 3, v45
	s_mov_b32 s51, exec_lo
	v_cmpx_gt_u32_e32 8, v45
; %bb.134:                              ;   in Loop: Header=BB269_13 Depth=1
	v_ffbh_u32_e32 v43, v43
	v_min_u32_e32 v45, 32, v43
	v_subrev_nc_u32_e32 v43, 28, v45
	v_lshlrev_b64 v[43:44], v43, v[3:4]
	v_sub_nc_u32_e32 v44, 29, v45
	v_and_b32_e32 v43, 7, v43
; %bb.135:                              ;   in Loop: Header=BB269_13 Depth=1
	s_or_b32 exec_lo, exec_lo, s51
	v_lshlrev_b32_e32 v45, 8, v3
	v_lshl_add_u32 v44, v44, 10, 0x2000
	v_lshlrev_b32_e32 v43, 7, v43
	v_and_b32_e32 v45, 0x8000, v45
	v_and_b32_e32 v44, 0xfc00, v44
	v_or3_b32 v43, v45, v44, v43
.LBB269_136:                            ;   in Loop: Header=BB269_13 Depth=1
	s_or_b32 exec_lo, exec_lo, s50
.LBB269_137:                            ;   in Loop: Header=BB269_13 Depth=1
	s_or_b32 exec_lo, exec_lo, s49
.LBB269_138:                            ;   in Loop: Header=BB269_13 Depth=1
	s_or_b32 exec_lo, exec_lo, s48
	v_lshrrev_b16 v3, 8, v3
	s_mov_b32 s48, exec_lo
	v_cmpx_ne_u16_e32 0, v3
	s_cbranch_execz .LBB269_146
; %bb.139:                              ;   in Loop: Header=BB269_13 Depth=1
	v_bfrev_b32_e32 v42, 1
	s_mov_b32 s49, exec_lo
	v_cmpx_ne_u16_e32 0x80, v3
	s_cbranch_execz .LBB269_145
; %bb.140:                              ;   in Loop: Header=BB269_13 Depth=1
	v_and_b32_sdwa v45, v3, v20 dst_sel:DWORD dst_unused:UNUSED_PAD src0_sel:WORD_0 src1_sel:DWORD
	v_mov_b32_e32 v42, 0x7c010000
	s_mov_b32 s50, exec_lo
	v_cmpx_ne_u32_e32 0x7f, v45
	s_cbranch_execz .LBB269_144
; %bb.141:                              ;   in Loop: Header=BB269_13 Depth=1
	v_and_b32_sdwa v42, v3, v21 dst_sel:DWORD dst_unused:UNUSED_PAD src0_sel:WORD_0 src1_sel:DWORD
	v_lshrrev_b32_e32 v44, 3, v45
	s_mov_b32 s51, exec_lo
	v_cmpx_gt_u32_e32 8, v45
; %bb.142:                              ;   in Loop: Header=BB269_13 Depth=1
	v_ffbh_u32_e32 v42, v42
	v_min_u32_e32 v42, 32, v42
	v_subrev_nc_u32_e32 v44, 28, v42
	v_lshlrev_b64 v[45:46], v44, v[3:4]
	v_sub_nc_u32_e32 v44, 29, v42
	v_and_b32_e32 v42, 7, v45
; %bb.143:                              ;   in Loop: Header=BB269_13 Depth=1
	s_or_b32 exec_lo, exec_lo, s51
	v_lshlrev_b32_sdwa v3, v22, v3 dst_sel:DWORD dst_unused:UNUSED_PAD src0_sel:DWORD src1_sel:WORD_0
	v_lshl_add_u32 v44, v44, 10, 0x2000
	v_lshlrev_b32_e32 v42, 23, v42
	v_and_or_b32 v3, 0x8000, v3, v44
	v_lshl_or_b32 v42, v3, 16, v42
.LBB269_144:                            ;   in Loop: Header=BB269_13 Depth=1
	s_or_b32 exec_lo, exec_lo, s50
.LBB269_145:                            ;   in Loop: Header=BB269_13 Depth=1
	s_or_b32 exec_lo, exec_lo, s49
.LBB269_146:                            ;   in Loop: Header=BB269_13 Depth=1
	s_or_b32 exec_lo, exec_lo, s48
	global_load_ushort v45, v[9:10], off offset:512
	v_mov_b32_e32 v44, 0
	s_waitcnt vmcnt(0)
	v_and_b32_e32 v3, 0xffff, v45
	v_cmp_ne_u16_sdwa s2, v45, v4 src0_sel:BYTE_0 src1_sel:DWORD
	v_mov_b32_e32 v45, 0
	s_and_saveexec_b32 s48, s2
	s_cbranch_execz .LBB269_154
; %bb.147:                              ;   in Loop: Header=BB269_13 Depth=1
	v_cmp_ne_u16_sdwa s2, v3, v19 src0_sel:BYTE_0 src1_sel:DWORD
	v_mov_b32_e32 v45, 0x8000
	s_and_saveexec_b32 s49, s2
	s_cbranch_execz .LBB269_153
; %bb.148:                              ;   in Loop: Header=BB269_13 Depth=1
	v_and_b32_e32 v47, 0x7f, v3
	v_mov_b32_e32 v45, 0x7c01
	s_mov_b32 s50, exec_lo
	v_cmpx_ne_u32_e32 0x7f, v47
	s_cbranch_execz .LBB269_152
; %bb.149:                              ;   in Loop: Header=BB269_13 Depth=1
	v_and_b32_e32 v45, 7, v3
	v_lshrrev_b32_e32 v46, 3, v47
	s_mov_b32 s51, exec_lo
	v_cmpx_gt_u32_e32 8, v47
; %bb.150:                              ;   in Loop: Header=BB269_13 Depth=1
	v_ffbh_u32_e32 v45, v45
	v_min_u32_e32 v47, 32, v45
	v_subrev_nc_u32_e32 v45, 28, v47
	v_lshlrev_b64 v[45:46], v45, v[3:4]
	v_sub_nc_u32_e32 v46, 29, v47
	v_and_b32_e32 v45, 7, v45
; %bb.151:                              ;   in Loop: Header=BB269_13 Depth=1
	s_or_b32 exec_lo, exec_lo, s51
	v_lshlrev_b32_e32 v47, 8, v3
	v_lshl_add_u32 v46, v46, 10, 0x2000
	v_lshlrev_b32_e32 v45, 7, v45
	v_and_b32_e32 v47, 0x8000, v47
	v_and_b32_e32 v46, 0xfc00, v46
	v_or3_b32 v45, v47, v46, v45
.LBB269_152:                            ;   in Loop: Header=BB269_13 Depth=1
	s_or_b32 exec_lo, exec_lo, s50
.LBB269_153:                            ;   in Loop: Header=BB269_13 Depth=1
	s_or_b32 exec_lo, exec_lo, s49
.LBB269_154:                            ;   in Loop: Header=BB269_13 Depth=1
	s_or_b32 exec_lo, exec_lo, s48
	v_lshrrev_b16 v3, 8, v3
	s_mov_b32 s48, exec_lo
	v_cmpx_ne_u16_e32 0, v3
	s_cbranch_execz .LBB269_162
; %bb.155:                              ;   in Loop: Header=BB269_13 Depth=1
	v_bfrev_b32_e32 v44, 1
	s_mov_b32 s49, exec_lo
	v_cmpx_ne_u16_e32 0x80, v3
	s_cbranch_execz .LBB269_161
; %bb.156:                              ;   in Loop: Header=BB269_13 Depth=1
	v_and_b32_sdwa v47, v3, v20 dst_sel:DWORD dst_unused:UNUSED_PAD src0_sel:WORD_0 src1_sel:DWORD
	v_mov_b32_e32 v44, 0x7c010000
	s_mov_b32 s50, exec_lo
	v_cmpx_ne_u32_e32 0x7f, v47
	s_cbranch_execz .LBB269_160
; %bb.157:                              ;   in Loop: Header=BB269_13 Depth=1
	v_and_b32_sdwa v44, v3, v21 dst_sel:DWORD dst_unused:UNUSED_PAD src0_sel:WORD_0 src1_sel:DWORD
	v_lshrrev_b32_e32 v46, 3, v47
	s_mov_b32 s51, exec_lo
	v_cmpx_gt_u32_e32 8, v47
; %bb.158:                              ;   in Loop: Header=BB269_13 Depth=1
	v_ffbh_u32_e32 v44, v44
	v_min_u32_e32 v44, 32, v44
	v_subrev_nc_u32_e32 v46, 28, v44
	v_lshlrev_b64 v[47:48], v46, v[3:4]
	v_sub_nc_u32_e32 v46, 29, v44
	v_and_b32_e32 v44, 7, v47
; %bb.159:                              ;   in Loop: Header=BB269_13 Depth=1
	s_or_b32 exec_lo, exec_lo, s51
	v_lshlrev_b32_sdwa v3, v22, v3 dst_sel:DWORD dst_unused:UNUSED_PAD src0_sel:DWORD src1_sel:WORD_0
	v_lshl_add_u32 v46, v46, 10, 0x2000
	v_lshlrev_b32_e32 v44, 23, v44
	v_and_or_b32 v3, 0x8000, v3, v46
	v_lshl_or_b32 v44, v3, 16, v44
.LBB269_160:                            ;   in Loop: Header=BB269_13 Depth=1
	s_or_b32 exec_lo, exec_lo, s50
.LBB269_161:                            ;   in Loop: Header=BB269_13 Depth=1
	s_or_b32 exec_lo, exec_lo, s49
.LBB269_162:                            ;   in Loop: Header=BB269_13 Depth=1
	s_or_b32 exec_lo, exec_lo, s48
	global_load_ushort v47, v[9:10], off offset:520
	v_mov_b32_e32 v46, 0
	s_waitcnt vmcnt(0)
	v_and_b32_e32 v3, 0xffff, v47
	v_cmp_ne_u16_sdwa s2, v47, v4 src0_sel:BYTE_0 src1_sel:DWORD
	v_mov_b32_e32 v47, 0
	s_and_saveexec_b32 s48, s2
	s_cbranch_execz .LBB269_170
; %bb.163:                              ;   in Loop: Header=BB269_13 Depth=1
	v_cmp_ne_u16_sdwa s2, v3, v19 src0_sel:BYTE_0 src1_sel:DWORD
	v_mov_b32_e32 v47, 0x8000
	s_and_saveexec_b32 s49, s2
	s_cbranch_execz .LBB269_169
; %bb.164:                              ;   in Loop: Header=BB269_13 Depth=1
	v_and_b32_e32 v49, 0x7f, v3
	v_mov_b32_e32 v47, 0x7c01
	s_mov_b32 s50, exec_lo
	v_cmpx_ne_u32_e32 0x7f, v49
	s_cbranch_execz .LBB269_168
; %bb.165:                              ;   in Loop: Header=BB269_13 Depth=1
	v_and_b32_e32 v47, 7, v3
	v_lshrrev_b32_e32 v48, 3, v49
	s_mov_b32 s51, exec_lo
	v_cmpx_gt_u32_e32 8, v49
; %bb.166:                              ;   in Loop: Header=BB269_13 Depth=1
	v_ffbh_u32_e32 v47, v47
	v_min_u32_e32 v49, 32, v47
	v_subrev_nc_u32_e32 v47, 28, v49
	v_lshlrev_b64 v[47:48], v47, v[3:4]
	v_sub_nc_u32_e32 v48, 29, v49
	v_and_b32_e32 v47, 7, v47
; %bb.167:                              ;   in Loop: Header=BB269_13 Depth=1
	s_or_b32 exec_lo, exec_lo, s51
	v_lshlrev_b32_e32 v49, 8, v3
	v_lshl_add_u32 v48, v48, 10, 0x2000
	v_lshlrev_b32_e32 v47, 7, v47
	v_and_b32_e32 v49, 0x8000, v49
	v_and_b32_e32 v48, 0xfc00, v48
	v_or3_b32 v47, v49, v48, v47
.LBB269_168:                            ;   in Loop: Header=BB269_13 Depth=1
	s_or_b32 exec_lo, exec_lo, s50
.LBB269_169:                            ;   in Loop: Header=BB269_13 Depth=1
	s_or_b32 exec_lo, exec_lo, s49
.LBB269_170:                            ;   in Loop: Header=BB269_13 Depth=1
	s_or_b32 exec_lo, exec_lo, s48
	v_lshrrev_b16 v3, 8, v3
	s_mov_b32 s48, exec_lo
	v_cmpx_ne_u16_e32 0, v3
	s_cbranch_execz .LBB269_178
; %bb.171:                              ;   in Loop: Header=BB269_13 Depth=1
	v_bfrev_b32_e32 v46, 1
	s_mov_b32 s49, exec_lo
	v_cmpx_ne_u16_e32 0x80, v3
	s_cbranch_execz .LBB269_177
; %bb.172:                              ;   in Loop: Header=BB269_13 Depth=1
	v_and_b32_sdwa v49, v3, v20 dst_sel:DWORD dst_unused:UNUSED_PAD src0_sel:WORD_0 src1_sel:DWORD
	v_mov_b32_e32 v46, 0x7c010000
	s_mov_b32 s50, exec_lo
	v_cmpx_ne_u32_e32 0x7f, v49
	s_cbranch_execz .LBB269_176
; %bb.173:                              ;   in Loop: Header=BB269_13 Depth=1
	v_and_b32_sdwa v46, v3, v21 dst_sel:DWORD dst_unused:UNUSED_PAD src0_sel:WORD_0 src1_sel:DWORD
	v_lshrrev_b32_e32 v48, 3, v49
	s_mov_b32 s51, exec_lo
	v_cmpx_gt_u32_e32 8, v49
; %bb.174:                              ;   in Loop: Header=BB269_13 Depth=1
	v_ffbh_u32_e32 v46, v46
	v_min_u32_e32 v46, 32, v46
	v_subrev_nc_u32_e32 v48, 28, v46
	v_lshlrev_b64 v[49:50], v48, v[3:4]
	v_sub_nc_u32_e32 v48, 29, v46
	v_and_b32_e32 v46, 7, v49
; %bb.175:                              ;   in Loop: Header=BB269_13 Depth=1
	s_or_b32 exec_lo, exec_lo, s51
	v_lshlrev_b32_sdwa v3, v22, v3 dst_sel:DWORD dst_unused:UNUSED_PAD src0_sel:DWORD src1_sel:WORD_0
	v_lshl_add_u32 v48, v48, 10, 0x2000
	v_lshlrev_b32_e32 v46, 23, v46
	v_and_or_b32 v3, 0x8000, v3, v48
	v_lshl_or_b32 v46, v3, 16, v46
.LBB269_176:                            ;   in Loop: Header=BB269_13 Depth=1
	s_or_b32 exec_lo, exec_lo, s50
.LBB269_177:                            ;   in Loop: Header=BB269_13 Depth=1
	s_or_b32 exec_lo, exec_lo, s49
.LBB269_178:                            ;   in Loop: Header=BB269_13 Depth=1
	s_or_b32 exec_lo, exec_lo, s48
	global_load_ushort v49, v[9:10], off offset:640
	v_mov_b32_e32 v48, 0
	s_waitcnt vmcnt(0)
	v_and_b32_e32 v3, 0xffff, v49
	v_cmp_ne_u16_sdwa s2, v49, v4 src0_sel:BYTE_0 src1_sel:DWORD
	v_mov_b32_e32 v49, 0
	s_and_saveexec_b32 s48, s2
	s_cbranch_execz .LBB269_186
; %bb.179:                              ;   in Loop: Header=BB269_13 Depth=1
	v_cmp_ne_u16_sdwa s2, v3, v19 src0_sel:BYTE_0 src1_sel:DWORD
	v_mov_b32_e32 v49, 0x8000
	s_and_saveexec_b32 s49, s2
	s_cbranch_execz .LBB269_185
; %bb.180:                              ;   in Loop: Header=BB269_13 Depth=1
	v_and_b32_e32 v51, 0x7f, v3
	v_mov_b32_e32 v49, 0x7c01
	s_mov_b32 s50, exec_lo
	v_cmpx_ne_u32_e32 0x7f, v51
	s_cbranch_execz .LBB269_184
; %bb.181:                              ;   in Loop: Header=BB269_13 Depth=1
	v_and_b32_e32 v49, 7, v3
	v_lshrrev_b32_e32 v50, 3, v51
	s_mov_b32 s51, exec_lo
	v_cmpx_gt_u32_e32 8, v51
; %bb.182:                              ;   in Loop: Header=BB269_13 Depth=1
	v_ffbh_u32_e32 v49, v49
	v_min_u32_e32 v51, 32, v49
	v_subrev_nc_u32_e32 v49, 28, v51
	v_lshlrev_b64 v[49:50], v49, v[3:4]
	v_sub_nc_u32_e32 v50, 29, v51
	v_and_b32_e32 v49, 7, v49
; %bb.183:                              ;   in Loop: Header=BB269_13 Depth=1
	s_or_b32 exec_lo, exec_lo, s51
	v_lshlrev_b32_e32 v51, 8, v3
	v_lshl_add_u32 v50, v50, 10, 0x2000
	v_lshlrev_b32_e32 v49, 7, v49
	v_and_b32_e32 v51, 0x8000, v51
	v_and_b32_e32 v50, 0xfc00, v50
	v_or3_b32 v49, v51, v50, v49
.LBB269_184:                            ;   in Loop: Header=BB269_13 Depth=1
	s_or_b32 exec_lo, exec_lo, s50
.LBB269_185:                            ;   in Loop: Header=BB269_13 Depth=1
	s_or_b32 exec_lo, exec_lo, s49
.LBB269_186:                            ;   in Loop: Header=BB269_13 Depth=1
	s_or_b32 exec_lo, exec_lo, s48
	v_lshrrev_b16 v3, 8, v3
	s_mov_b32 s48, exec_lo
	v_cmpx_ne_u16_e32 0, v3
	s_cbranch_execz .LBB269_194
; %bb.187:                              ;   in Loop: Header=BB269_13 Depth=1
	v_bfrev_b32_e32 v48, 1
	s_mov_b32 s49, exec_lo
	v_cmpx_ne_u16_e32 0x80, v3
	s_cbranch_execz .LBB269_193
; %bb.188:                              ;   in Loop: Header=BB269_13 Depth=1
	v_and_b32_sdwa v51, v3, v20 dst_sel:DWORD dst_unused:UNUSED_PAD src0_sel:WORD_0 src1_sel:DWORD
	v_mov_b32_e32 v48, 0x7c010000
	s_mov_b32 s50, exec_lo
	v_cmpx_ne_u32_e32 0x7f, v51
	s_cbranch_execz .LBB269_192
; %bb.189:                              ;   in Loop: Header=BB269_13 Depth=1
	v_and_b32_sdwa v48, v3, v21 dst_sel:DWORD dst_unused:UNUSED_PAD src0_sel:WORD_0 src1_sel:DWORD
	v_lshrrev_b32_e32 v50, 3, v51
	s_mov_b32 s51, exec_lo
	v_cmpx_gt_u32_e32 8, v51
; %bb.190:                              ;   in Loop: Header=BB269_13 Depth=1
	v_ffbh_u32_e32 v48, v48
	v_min_u32_e32 v48, 32, v48
	v_subrev_nc_u32_e32 v50, 28, v48
	v_lshlrev_b64 v[51:52], v50, v[3:4]
	v_sub_nc_u32_e32 v50, 29, v48
	v_and_b32_e32 v48, 7, v51
; %bb.191:                              ;   in Loop: Header=BB269_13 Depth=1
	s_or_b32 exec_lo, exec_lo, s51
	v_lshlrev_b32_sdwa v3, v22, v3 dst_sel:DWORD dst_unused:UNUSED_PAD src0_sel:DWORD src1_sel:WORD_0
	v_lshl_add_u32 v50, v50, 10, 0x2000
	v_lshlrev_b32_e32 v48, 23, v48
	v_and_or_b32 v3, 0x8000, v3, v50
	v_lshl_or_b32 v48, v3, 16, v48
.LBB269_192:                            ;   in Loop: Header=BB269_13 Depth=1
	s_or_b32 exec_lo, exec_lo, s50
.LBB269_193:                            ;   in Loop: Header=BB269_13 Depth=1
	s_or_b32 exec_lo, exec_lo, s49
.LBB269_194:                            ;   in Loop: Header=BB269_13 Depth=1
	s_or_b32 exec_lo, exec_lo, s48
	global_load_ushort v51, v[9:10], off offset:648
	v_mov_b32_e32 v50, 0
	s_waitcnt vmcnt(0)
	v_and_b32_e32 v3, 0xffff, v51
	v_cmp_ne_u16_sdwa s2, v51, v4 src0_sel:BYTE_0 src1_sel:DWORD
	v_mov_b32_e32 v51, 0
	s_and_saveexec_b32 s48, s2
	s_cbranch_execz .LBB269_202
; %bb.195:                              ;   in Loop: Header=BB269_13 Depth=1
	v_cmp_ne_u16_sdwa s2, v3, v19 src0_sel:BYTE_0 src1_sel:DWORD
	v_mov_b32_e32 v51, 0x8000
	s_and_saveexec_b32 s49, s2
	s_cbranch_execz .LBB269_201
; %bb.196:                              ;   in Loop: Header=BB269_13 Depth=1
	v_and_b32_e32 v53, 0x7f, v3
	v_mov_b32_e32 v51, 0x7c01
	s_mov_b32 s50, exec_lo
	v_cmpx_ne_u32_e32 0x7f, v53
	s_cbranch_execz .LBB269_200
; %bb.197:                              ;   in Loop: Header=BB269_13 Depth=1
	v_and_b32_e32 v51, 7, v3
	v_lshrrev_b32_e32 v52, 3, v53
	s_mov_b32 s51, exec_lo
	v_cmpx_gt_u32_e32 8, v53
; %bb.198:                              ;   in Loop: Header=BB269_13 Depth=1
	v_ffbh_u32_e32 v51, v51
	v_min_u32_e32 v53, 32, v51
	v_subrev_nc_u32_e32 v51, 28, v53
	v_lshlrev_b64 v[51:52], v51, v[3:4]
	v_sub_nc_u32_e32 v52, 29, v53
	v_and_b32_e32 v51, 7, v51
; %bb.199:                              ;   in Loop: Header=BB269_13 Depth=1
	s_or_b32 exec_lo, exec_lo, s51
	v_lshlrev_b32_e32 v53, 8, v3
	v_lshl_add_u32 v52, v52, 10, 0x2000
	v_lshlrev_b32_e32 v51, 7, v51
	v_and_b32_e32 v53, 0x8000, v53
	v_and_b32_e32 v52, 0xfc00, v52
	v_or3_b32 v51, v53, v52, v51
.LBB269_200:                            ;   in Loop: Header=BB269_13 Depth=1
	s_or_b32 exec_lo, exec_lo, s50
.LBB269_201:                            ;   in Loop: Header=BB269_13 Depth=1
	s_or_b32 exec_lo, exec_lo, s49
.LBB269_202:                            ;   in Loop: Header=BB269_13 Depth=1
	s_or_b32 exec_lo, exec_lo, s48
	v_lshrrev_b16 v3, 8, v3
	s_mov_b32 s48, exec_lo
	v_cmpx_ne_u16_e32 0, v3
	s_cbranch_execz .LBB269_210
; %bb.203:                              ;   in Loop: Header=BB269_13 Depth=1
	v_bfrev_b32_e32 v50, 1
	s_mov_b32 s49, exec_lo
	v_cmpx_ne_u16_e32 0x80, v3
	s_cbranch_execz .LBB269_209
; %bb.204:                              ;   in Loop: Header=BB269_13 Depth=1
	v_and_b32_sdwa v53, v3, v20 dst_sel:DWORD dst_unused:UNUSED_PAD src0_sel:WORD_0 src1_sel:DWORD
	v_mov_b32_e32 v50, 0x7c010000
	s_mov_b32 s50, exec_lo
	v_cmpx_ne_u32_e32 0x7f, v53
	s_cbranch_execz .LBB269_208
; %bb.205:                              ;   in Loop: Header=BB269_13 Depth=1
	v_and_b32_sdwa v50, v3, v21 dst_sel:DWORD dst_unused:UNUSED_PAD src0_sel:WORD_0 src1_sel:DWORD
	v_lshrrev_b32_e32 v52, 3, v53
	s_mov_b32 s51, exec_lo
	v_cmpx_gt_u32_e32 8, v53
; %bb.206:                              ;   in Loop: Header=BB269_13 Depth=1
	v_ffbh_u32_e32 v50, v50
	v_min_u32_e32 v50, 32, v50
	v_subrev_nc_u32_e32 v52, 28, v50
	v_lshlrev_b64 v[53:54], v52, v[3:4]
	v_sub_nc_u32_e32 v52, 29, v50
	v_and_b32_e32 v50, 7, v53
; %bb.207:                              ;   in Loop: Header=BB269_13 Depth=1
	s_or_b32 exec_lo, exec_lo, s51
	v_lshlrev_b32_sdwa v3, v22, v3 dst_sel:DWORD dst_unused:UNUSED_PAD src0_sel:DWORD src1_sel:WORD_0
	v_lshl_add_u32 v52, v52, 10, 0x2000
	v_lshlrev_b32_e32 v50, 23, v50
	v_and_or_b32 v3, 0x8000, v3, v52
	v_lshl_or_b32 v50, v3, 16, v50
.LBB269_208:                            ;   in Loop: Header=BB269_13 Depth=1
	s_or_b32 exec_lo, exec_lo, s50
.LBB269_209:                            ;   in Loop: Header=BB269_13 Depth=1
	s_or_b32 exec_lo, exec_lo, s49
.LBB269_210:                            ;   in Loop: Header=BB269_13 Depth=1
	s_or_b32 exec_lo, exec_lo, s48
	global_load_ushort v53, v[9:10], off offset:768
	v_mov_b32_e32 v52, 0
	s_waitcnt vmcnt(0)
	v_and_b32_e32 v3, 0xffff, v53
	v_cmp_ne_u16_sdwa s2, v53, v4 src0_sel:BYTE_0 src1_sel:DWORD
	v_mov_b32_e32 v53, 0
	s_and_saveexec_b32 s48, s2
	s_cbranch_execz .LBB269_218
; %bb.211:                              ;   in Loop: Header=BB269_13 Depth=1
	v_cmp_ne_u16_sdwa s2, v3, v19 src0_sel:BYTE_0 src1_sel:DWORD
	v_mov_b32_e32 v53, 0x8000
	s_and_saveexec_b32 s49, s2
	s_cbranch_execz .LBB269_217
; %bb.212:                              ;   in Loop: Header=BB269_13 Depth=1
	v_and_b32_e32 v55, 0x7f, v3
	v_mov_b32_e32 v53, 0x7c01
	s_mov_b32 s50, exec_lo
	v_cmpx_ne_u32_e32 0x7f, v55
	s_cbranch_execz .LBB269_216
; %bb.213:                              ;   in Loop: Header=BB269_13 Depth=1
	v_and_b32_e32 v53, 7, v3
	v_lshrrev_b32_e32 v54, 3, v55
	s_mov_b32 s51, exec_lo
	v_cmpx_gt_u32_e32 8, v55
; %bb.214:                              ;   in Loop: Header=BB269_13 Depth=1
	v_ffbh_u32_e32 v53, v53
	v_min_u32_e32 v55, 32, v53
	v_subrev_nc_u32_e32 v53, 28, v55
	v_lshlrev_b64 v[53:54], v53, v[3:4]
	v_sub_nc_u32_e32 v54, 29, v55
	v_and_b32_e32 v53, 7, v53
; %bb.215:                              ;   in Loop: Header=BB269_13 Depth=1
	s_or_b32 exec_lo, exec_lo, s51
	v_lshlrev_b32_e32 v55, 8, v3
	v_lshl_add_u32 v54, v54, 10, 0x2000
	v_lshlrev_b32_e32 v53, 7, v53
	v_and_b32_e32 v55, 0x8000, v55
	v_and_b32_e32 v54, 0xfc00, v54
	v_or3_b32 v53, v55, v54, v53
.LBB269_216:                            ;   in Loop: Header=BB269_13 Depth=1
	s_or_b32 exec_lo, exec_lo, s50
.LBB269_217:                            ;   in Loop: Header=BB269_13 Depth=1
	s_or_b32 exec_lo, exec_lo, s49
.LBB269_218:                            ;   in Loop: Header=BB269_13 Depth=1
	s_or_b32 exec_lo, exec_lo, s48
	v_lshrrev_b16 v3, 8, v3
	s_mov_b32 s48, exec_lo
	v_cmpx_ne_u16_e32 0, v3
	s_cbranch_execz .LBB269_226
; %bb.219:                              ;   in Loop: Header=BB269_13 Depth=1
	v_bfrev_b32_e32 v52, 1
	s_mov_b32 s49, exec_lo
	v_cmpx_ne_u16_e32 0x80, v3
	s_cbranch_execz .LBB269_225
; %bb.220:                              ;   in Loop: Header=BB269_13 Depth=1
	v_and_b32_sdwa v55, v3, v20 dst_sel:DWORD dst_unused:UNUSED_PAD src0_sel:WORD_0 src1_sel:DWORD
	v_mov_b32_e32 v52, 0x7c010000
	s_mov_b32 s50, exec_lo
	v_cmpx_ne_u32_e32 0x7f, v55
	s_cbranch_execz .LBB269_224
; %bb.221:                              ;   in Loop: Header=BB269_13 Depth=1
	v_and_b32_sdwa v52, v3, v21 dst_sel:DWORD dst_unused:UNUSED_PAD src0_sel:WORD_0 src1_sel:DWORD
	v_lshrrev_b32_e32 v54, 3, v55
	s_mov_b32 s51, exec_lo
	v_cmpx_gt_u32_e32 8, v55
; %bb.222:                              ;   in Loop: Header=BB269_13 Depth=1
	v_ffbh_u32_e32 v52, v52
	v_min_u32_e32 v52, 32, v52
	v_subrev_nc_u32_e32 v54, 28, v52
	v_lshlrev_b64 v[55:56], v54, v[3:4]
	v_sub_nc_u32_e32 v54, 29, v52
	v_and_b32_e32 v52, 7, v55
; %bb.223:                              ;   in Loop: Header=BB269_13 Depth=1
	s_or_b32 exec_lo, exec_lo, s51
	v_lshlrev_b32_sdwa v3, v22, v3 dst_sel:DWORD dst_unused:UNUSED_PAD src0_sel:DWORD src1_sel:WORD_0
	v_lshl_add_u32 v54, v54, 10, 0x2000
	v_lshlrev_b32_e32 v52, 23, v52
	v_and_or_b32 v3, 0x8000, v3, v54
	v_lshl_or_b32 v52, v3, 16, v52
.LBB269_224:                            ;   in Loop: Header=BB269_13 Depth=1
	s_or_b32 exec_lo, exec_lo, s50
.LBB269_225:                            ;   in Loop: Header=BB269_13 Depth=1
	s_or_b32 exec_lo, exec_lo, s49
.LBB269_226:                            ;   in Loop: Header=BB269_13 Depth=1
	s_or_b32 exec_lo, exec_lo, s48
	global_load_ushort v55, v[9:10], off offset:776
	v_mov_b32_e32 v54, 0
	s_waitcnt vmcnt(0)
	v_and_b32_e32 v3, 0xffff, v55
	v_cmp_ne_u16_sdwa s2, v55, v4 src0_sel:BYTE_0 src1_sel:DWORD
	v_mov_b32_e32 v55, 0
	s_and_saveexec_b32 s48, s2
	s_cbranch_execz .LBB269_234
; %bb.227:                              ;   in Loop: Header=BB269_13 Depth=1
	v_cmp_ne_u16_sdwa s2, v3, v19 src0_sel:BYTE_0 src1_sel:DWORD
	v_mov_b32_e32 v55, 0x8000
	s_and_saveexec_b32 s49, s2
	s_cbranch_execz .LBB269_233
; %bb.228:                              ;   in Loop: Header=BB269_13 Depth=1
	v_and_b32_e32 v57, 0x7f, v3
	v_mov_b32_e32 v55, 0x7c01
	s_mov_b32 s50, exec_lo
	v_cmpx_ne_u32_e32 0x7f, v57
	s_cbranch_execz .LBB269_232
; %bb.229:                              ;   in Loop: Header=BB269_13 Depth=1
	v_and_b32_e32 v55, 7, v3
	v_lshrrev_b32_e32 v56, 3, v57
	s_mov_b32 s51, exec_lo
	v_cmpx_gt_u32_e32 8, v57
; %bb.230:                              ;   in Loop: Header=BB269_13 Depth=1
	v_ffbh_u32_e32 v55, v55
	v_min_u32_e32 v57, 32, v55
	v_subrev_nc_u32_e32 v55, 28, v57
	v_lshlrev_b64 v[55:56], v55, v[3:4]
	v_sub_nc_u32_e32 v56, 29, v57
	v_and_b32_e32 v55, 7, v55
; %bb.231:                              ;   in Loop: Header=BB269_13 Depth=1
	s_or_b32 exec_lo, exec_lo, s51
	v_lshlrev_b32_e32 v57, 8, v3
	v_lshl_add_u32 v56, v56, 10, 0x2000
	v_lshlrev_b32_e32 v55, 7, v55
	v_and_b32_e32 v57, 0x8000, v57
	v_and_b32_e32 v56, 0xfc00, v56
	v_or3_b32 v55, v57, v56, v55
.LBB269_232:                            ;   in Loop: Header=BB269_13 Depth=1
	s_or_b32 exec_lo, exec_lo, s50
.LBB269_233:                            ;   in Loop: Header=BB269_13 Depth=1
	s_or_b32 exec_lo, exec_lo, s49
.LBB269_234:                            ;   in Loop: Header=BB269_13 Depth=1
	s_or_b32 exec_lo, exec_lo, s48
	v_lshrrev_b16 v3, 8, v3
	s_mov_b32 s48, exec_lo
	v_cmpx_ne_u16_e32 0, v3
	s_cbranch_execz .LBB269_242
; %bb.235:                              ;   in Loop: Header=BB269_13 Depth=1
	v_bfrev_b32_e32 v54, 1
	s_mov_b32 s49, exec_lo
	v_cmpx_ne_u16_e32 0x80, v3
	s_cbranch_execz .LBB269_241
; %bb.236:                              ;   in Loop: Header=BB269_13 Depth=1
	v_and_b32_sdwa v57, v3, v20 dst_sel:DWORD dst_unused:UNUSED_PAD src0_sel:WORD_0 src1_sel:DWORD
	v_mov_b32_e32 v54, 0x7c010000
	s_mov_b32 s50, exec_lo
	v_cmpx_ne_u32_e32 0x7f, v57
	s_cbranch_execz .LBB269_240
; %bb.237:                              ;   in Loop: Header=BB269_13 Depth=1
	v_and_b32_sdwa v54, v3, v21 dst_sel:DWORD dst_unused:UNUSED_PAD src0_sel:WORD_0 src1_sel:DWORD
	v_lshrrev_b32_e32 v56, 3, v57
	s_mov_b32 s51, exec_lo
	v_cmpx_gt_u32_e32 8, v57
; %bb.238:                              ;   in Loop: Header=BB269_13 Depth=1
	v_ffbh_u32_e32 v54, v54
	v_min_u32_e32 v54, 32, v54
	v_subrev_nc_u32_e32 v56, 28, v54
	v_lshlrev_b64 v[57:58], v56, v[3:4]
	v_sub_nc_u32_e32 v56, 29, v54
	v_and_b32_e32 v54, 7, v57
; %bb.239:                              ;   in Loop: Header=BB269_13 Depth=1
	s_or_b32 exec_lo, exec_lo, s51
	v_lshlrev_b32_sdwa v3, v22, v3 dst_sel:DWORD dst_unused:UNUSED_PAD src0_sel:DWORD src1_sel:WORD_0
	v_lshl_add_u32 v56, v56, 10, 0x2000
	v_lshlrev_b32_e32 v54, 23, v54
	v_and_or_b32 v3, 0x8000, v3, v56
	v_lshl_or_b32 v54, v3, 16, v54
.LBB269_240:                            ;   in Loop: Header=BB269_13 Depth=1
	s_or_b32 exec_lo, exec_lo, s50
.LBB269_241:                            ;   in Loop: Header=BB269_13 Depth=1
	s_or_b32 exec_lo, exec_lo, s49
.LBB269_242:                            ;   in Loop: Header=BB269_13 Depth=1
	s_or_b32 exec_lo, exec_lo, s48
	global_load_ushort v57, v[9:10], off offset:896
	v_mov_b32_e32 v56, 0
	s_waitcnt vmcnt(0)
	v_and_b32_e32 v3, 0xffff, v57
	v_cmp_ne_u16_sdwa s2, v57, v4 src0_sel:BYTE_0 src1_sel:DWORD
	v_mov_b32_e32 v57, 0
	s_and_saveexec_b32 s48, s2
	s_cbranch_execz .LBB269_250
; %bb.243:                              ;   in Loop: Header=BB269_13 Depth=1
	v_cmp_ne_u16_sdwa s2, v3, v19 src0_sel:BYTE_0 src1_sel:DWORD
	v_mov_b32_e32 v57, 0x8000
	s_and_saveexec_b32 s49, s2
	s_cbranch_execz .LBB269_249
; %bb.244:                              ;   in Loop: Header=BB269_13 Depth=1
	v_and_b32_e32 v59, 0x7f, v3
	v_mov_b32_e32 v57, 0x7c01
	s_mov_b32 s50, exec_lo
	v_cmpx_ne_u32_e32 0x7f, v59
	s_cbranch_execz .LBB269_248
; %bb.245:                              ;   in Loop: Header=BB269_13 Depth=1
	v_and_b32_e32 v57, 7, v3
	v_lshrrev_b32_e32 v58, 3, v59
	s_mov_b32 s51, exec_lo
	v_cmpx_gt_u32_e32 8, v59
; %bb.246:                              ;   in Loop: Header=BB269_13 Depth=1
	v_ffbh_u32_e32 v57, v57
	v_min_u32_e32 v59, 32, v57
	v_subrev_nc_u32_e32 v57, 28, v59
	v_lshlrev_b64 v[57:58], v57, v[3:4]
	v_sub_nc_u32_e32 v58, 29, v59
	v_and_b32_e32 v57, 7, v57
; %bb.247:                              ;   in Loop: Header=BB269_13 Depth=1
	s_or_b32 exec_lo, exec_lo, s51
	v_lshlrev_b32_e32 v59, 8, v3
	v_lshl_add_u32 v58, v58, 10, 0x2000
	v_lshlrev_b32_e32 v57, 7, v57
	v_and_b32_e32 v59, 0x8000, v59
	v_and_b32_e32 v58, 0xfc00, v58
	v_or3_b32 v57, v59, v58, v57
.LBB269_248:                            ;   in Loop: Header=BB269_13 Depth=1
	s_or_b32 exec_lo, exec_lo, s50
.LBB269_249:                            ;   in Loop: Header=BB269_13 Depth=1
	s_or_b32 exec_lo, exec_lo, s49
.LBB269_250:                            ;   in Loop: Header=BB269_13 Depth=1
	s_or_b32 exec_lo, exec_lo, s48
	v_lshrrev_b16 v3, 8, v3
	s_mov_b32 s48, exec_lo
	v_cmpx_ne_u16_e32 0, v3
	s_cbranch_execz .LBB269_258
; %bb.251:                              ;   in Loop: Header=BB269_13 Depth=1
	v_bfrev_b32_e32 v56, 1
	s_mov_b32 s49, exec_lo
	v_cmpx_ne_u16_e32 0x80, v3
	s_cbranch_execz .LBB269_257
; %bb.252:                              ;   in Loop: Header=BB269_13 Depth=1
	v_and_b32_sdwa v59, v3, v20 dst_sel:DWORD dst_unused:UNUSED_PAD src0_sel:WORD_0 src1_sel:DWORD
	v_mov_b32_e32 v56, 0x7c010000
	s_mov_b32 s50, exec_lo
	v_cmpx_ne_u32_e32 0x7f, v59
	s_cbranch_execz .LBB269_256
; %bb.253:                              ;   in Loop: Header=BB269_13 Depth=1
	v_and_b32_sdwa v56, v3, v21 dst_sel:DWORD dst_unused:UNUSED_PAD src0_sel:WORD_0 src1_sel:DWORD
	v_lshrrev_b32_e32 v58, 3, v59
	s_mov_b32 s51, exec_lo
	v_cmpx_gt_u32_e32 8, v59
; %bb.254:                              ;   in Loop: Header=BB269_13 Depth=1
	v_ffbh_u32_e32 v56, v56
	v_min_u32_e32 v56, 32, v56
	v_subrev_nc_u32_e32 v58, 28, v56
	v_lshlrev_b64 v[59:60], v58, v[3:4]
	v_sub_nc_u32_e32 v58, 29, v56
	v_and_b32_e32 v56, 7, v59
; %bb.255:                              ;   in Loop: Header=BB269_13 Depth=1
	s_or_b32 exec_lo, exec_lo, s51
	v_lshlrev_b32_sdwa v3, v22, v3 dst_sel:DWORD dst_unused:UNUSED_PAD src0_sel:DWORD src1_sel:WORD_0
	v_lshl_add_u32 v58, v58, 10, 0x2000
	v_lshlrev_b32_e32 v56, 23, v56
	v_and_or_b32 v3, 0x8000, v3, v58
	v_lshl_or_b32 v56, v3, 16, v56
.LBB269_256:                            ;   in Loop: Header=BB269_13 Depth=1
	s_or_b32 exec_lo, exec_lo, s50
.LBB269_257:                            ;   in Loop: Header=BB269_13 Depth=1
	s_or_b32 exec_lo, exec_lo, s49
.LBB269_258:                            ;   in Loop: Header=BB269_13 Depth=1
	s_or_b32 exec_lo, exec_lo, s48
	global_load_ushort v59, v[9:10], off offset:904
	v_mov_b32_e32 v58, 0
	s_waitcnt vmcnt(0)
	v_and_b32_e32 v3, 0xffff, v59
	v_cmp_ne_u16_sdwa s2, v59, v4 src0_sel:BYTE_0 src1_sel:DWORD
	v_mov_b32_e32 v59, 0
	s_and_saveexec_b32 s48, s2
	s_cbranch_execz .LBB269_266
; %bb.259:                              ;   in Loop: Header=BB269_13 Depth=1
	v_cmp_ne_u16_sdwa s2, v3, v19 src0_sel:BYTE_0 src1_sel:DWORD
	v_mov_b32_e32 v59, 0x8000
	s_and_saveexec_b32 s49, s2
	s_cbranch_execz .LBB269_265
; %bb.260:                              ;   in Loop: Header=BB269_13 Depth=1
	v_and_b32_e32 v61, 0x7f, v3
	v_mov_b32_e32 v59, 0x7c01
	s_mov_b32 s50, exec_lo
	v_cmpx_ne_u32_e32 0x7f, v61
	s_cbranch_execz .LBB269_264
; %bb.261:                              ;   in Loop: Header=BB269_13 Depth=1
	v_and_b32_e32 v59, 7, v3
	v_lshrrev_b32_e32 v60, 3, v61
	s_mov_b32 s51, exec_lo
	v_cmpx_gt_u32_e32 8, v61
; %bb.262:                              ;   in Loop: Header=BB269_13 Depth=1
	v_ffbh_u32_e32 v59, v59
	v_min_u32_e32 v61, 32, v59
	v_subrev_nc_u32_e32 v59, 28, v61
	v_lshlrev_b64 v[59:60], v59, v[3:4]
	v_sub_nc_u32_e32 v60, 29, v61
	v_and_b32_e32 v59, 7, v59
; %bb.263:                              ;   in Loop: Header=BB269_13 Depth=1
	s_or_b32 exec_lo, exec_lo, s51
	v_lshlrev_b32_e32 v61, 8, v3
	v_lshl_add_u32 v60, v60, 10, 0x2000
	v_lshlrev_b32_e32 v59, 7, v59
	v_and_b32_e32 v61, 0x8000, v61
	v_and_b32_e32 v60, 0xfc00, v60
	v_or3_b32 v59, v61, v60, v59
.LBB269_264:                            ;   in Loop: Header=BB269_13 Depth=1
	s_or_b32 exec_lo, exec_lo, s50
.LBB269_265:                            ;   in Loop: Header=BB269_13 Depth=1
	s_or_b32 exec_lo, exec_lo, s49
.LBB269_266:                            ;   in Loop: Header=BB269_13 Depth=1
	s_or_b32 exec_lo, exec_lo, s48
	v_lshrrev_b16 v3, 8, v3
	s_mov_b32 s48, exec_lo
	v_cmpx_ne_u16_e32 0, v3
	s_cbranch_execz .LBB269_274
; %bb.267:                              ;   in Loop: Header=BB269_13 Depth=1
	v_bfrev_b32_e32 v58, 1
	s_mov_b32 s49, exec_lo
	v_cmpx_ne_u16_e32 0x80, v3
	s_cbranch_execz .LBB269_273
; %bb.268:                              ;   in Loop: Header=BB269_13 Depth=1
	v_and_b32_sdwa v61, v3, v20 dst_sel:DWORD dst_unused:UNUSED_PAD src0_sel:WORD_0 src1_sel:DWORD
	v_mov_b32_e32 v58, 0x7c010000
	s_mov_b32 s50, exec_lo
	v_cmpx_ne_u32_e32 0x7f, v61
	s_cbranch_execz .LBB269_272
; %bb.269:                              ;   in Loop: Header=BB269_13 Depth=1
	v_and_b32_sdwa v58, v3, v21 dst_sel:DWORD dst_unused:UNUSED_PAD src0_sel:WORD_0 src1_sel:DWORD
	v_lshrrev_b32_e32 v60, 3, v61
	s_mov_b32 s51, exec_lo
	v_cmpx_gt_u32_e32 8, v61
; %bb.270:                              ;   in Loop: Header=BB269_13 Depth=1
	v_ffbh_u32_e32 v58, v58
	v_min_u32_e32 v58, 32, v58
	v_subrev_nc_u32_e32 v60, 28, v58
	v_lshlrev_b64 v[61:62], v60, v[3:4]
	v_sub_nc_u32_e32 v60, 29, v58
	v_and_b32_e32 v58, 7, v61
; %bb.271:                              ;   in Loop: Header=BB269_13 Depth=1
	s_or_b32 exec_lo, exec_lo, s51
	v_lshlrev_b32_sdwa v3, v22, v3 dst_sel:DWORD dst_unused:UNUSED_PAD src0_sel:DWORD src1_sel:WORD_0
	v_lshl_add_u32 v60, v60, 10, 0x2000
	v_lshlrev_b32_e32 v58, 23, v58
	v_and_or_b32 v3, 0x8000, v3, v60
	v_lshl_or_b32 v58, v3, 16, v58
.LBB269_272:                            ;   in Loop: Header=BB269_13 Depth=1
	s_or_b32 exec_lo, exec_lo, s50
.LBB269_273:                            ;   in Loop: Header=BB269_13 Depth=1
	s_or_b32 exec_lo, exec_lo, s49
.LBB269_274:                            ;   in Loop: Header=BB269_13 Depth=1
	s_or_b32 exec_lo, exec_lo, s48
	global_load_ushort v61, v[9:10], off offset:1024
	v_mov_b32_e32 v60, 0
	s_waitcnt vmcnt(0)
	v_and_b32_e32 v3, 0xffff, v61
	v_cmp_ne_u16_sdwa s2, v61, v4 src0_sel:BYTE_0 src1_sel:DWORD
	v_mov_b32_e32 v61, 0
	s_and_saveexec_b32 s48, s2
	s_cbranch_execz .LBB269_282
; %bb.275:                              ;   in Loop: Header=BB269_13 Depth=1
	v_cmp_ne_u16_sdwa s2, v3, v19 src0_sel:BYTE_0 src1_sel:DWORD
	v_mov_b32_e32 v61, 0x8000
	s_and_saveexec_b32 s49, s2
	s_cbranch_execz .LBB269_281
; %bb.276:                              ;   in Loop: Header=BB269_13 Depth=1
	v_and_b32_e32 v63, 0x7f, v3
	v_mov_b32_e32 v61, 0x7c01
	s_mov_b32 s50, exec_lo
	v_cmpx_ne_u32_e32 0x7f, v63
	s_cbranch_execz .LBB269_280
; %bb.277:                              ;   in Loop: Header=BB269_13 Depth=1
	v_and_b32_e32 v61, 7, v3
	v_lshrrev_b32_e32 v62, 3, v63
	s_mov_b32 s51, exec_lo
	v_cmpx_gt_u32_e32 8, v63
; %bb.278:                              ;   in Loop: Header=BB269_13 Depth=1
	v_ffbh_u32_e32 v61, v61
	v_min_u32_e32 v63, 32, v61
	v_subrev_nc_u32_e32 v61, 28, v63
	v_lshlrev_b64 v[61:62], v61, v[3:4]
	v_sub_nc_u32_e32 v62, 29, v63
	v_and_b32_e32 v61, 7, v61
; %bb.279:                              ;   in Loop: Header=BB269_13 Depth=1
	s_or_b32 exec_lo, exec_lo, s51
	v_lshlrev_b32_e32 v63, 8, v3
	v_lshl_add_u32 v62, v62, 10, 0x2000
	v_lshlrev_b32_e32 v61, 7, v61
	v_and_b32_e32 v63, 0x8000, v63
	v_and_b32_e32 v62, 0xfc00, v62
	v_or3_b32 v61, v63, v62, v61
.LBB269_280:                            ;   in Loop: Header=BB269_13 Depth=1
	s_or_b32 exec_lo, exec_lo, s50
.LBB269_281:                            ;   in Loop: Header=BB269_13 Depth=1
	s_or_b32 exec_lo, exec_lo, s49
.LBB269_282:                            ;   in Loop: Header=BB269_13 Depth=1
	s_or_b32 exec_lo, exec_lo, s48
	v_lshrrev_b16 v3, 8, v3
	s_mov_b32 s48, exec_lo
	v_cmpx_ne_u16_e32 0, v3
	s_cbranch_execz .LBB269_290
; %bb.283:                              ;   in Loop: Header=BB269_13 Depth=1
	v_bfrev_b32_e32 v60, 1
	s_mov_b32 s49, exec_lo
	v_cmpx_ne_u16_e32 0x80, v3
	s_cbranch_execz .LBB269_289
; %bb.284:                              ;   in Loop: Header=BB269_13 Depth=1
	v_and_b32_sdwa v63, v3, v20 dst_sel:DWORD dst_unused:UNUSED_PAD src0_sel:WORD_0 src1_sel:DWORD
	v_mov_b32_e32 v60, 0x7c010000
	s_mov_b32 s50, exec_lo
	v_cmpx_ne_u32_e32 0x7f, v63
	s_cbranch_execz .LBB269_288
; %bb.285:                              ;   in Loop: Header=BB269_13 Depth=1
	v_and_b32_sdwa v60, v3, v21 dst_sel:DWORD dst_unused:UNUSED_PAD src0_sel:WORD_0 src1_sel:DWORD
	v_lshrrev_b32_e32 v62, 3, v63
	s_mov_b32 s51, exec_lo
	v_cmpx_gt_u32_e32 8, v63
; %bb.286:                              ;   in Loop: Header=BB269_13 Depth=1
	v_ffbh_u32_e32 v60, v60
	v_min_u32_e32 v60, 32, v60
	v_subrev_nc_u32_e32 v62, 28, v60
	v_lshlrev_b64 v[63:64], v62, v[3:4]
	v_sub_nc_u32_e32 v62, 29, v60
	v_and_b32_e32 v60, 7, v63
; %bb.287:                              ;   in Loop: Header=BB269_13 Depth=1
	s_or_b32 exec_lo, exec_lo, s51
	v_lshlrev_b32_sdwa v3, v22, v3 dst_sel:DWORD dst_unused:UNUSED_PAD src0_sel:DWORD src1_sel:WORD_0
	v_lshl_add_u32 v62, v62, 10, 0x2000
	v_lshlrev_b32_e32 v60, 23, v60
	v_and_or_b32 v3, 0x8000, v3, v62
	v_lshl_or_b32 v60, v3, 16, v60
.LBB269_288:                            ;   in Loop: Header=BB269_13 Depth=1
	s_or_b32 exec_lo, exec_lo, s50
.LBB269_289:                            ;   in Loop: Header=BB269_13 Depth=1
	s_or_b32 exec_lo, exec_lo, s49
.LBB269_290:                            ;   in Loop: Header=BB269_13 Depth=1
	s_or_b32 exec_lo, exec_lo, s48
	global_load_ushort v63, v[9:10], off offset:1032
	v_mov_b32_e32 v62, 0
	s_waitcnt vmcnt(0)
	v_and_b32_e32 v3, 0xffff, v63
	v_cmp_ne_u16_sdwa s2, v63, v4 src0_sel:BYTE_0 src1_sel:DWORD
	v_mov_b32_e32 v63, 0
	s_and_saveexec_b32 s48, s2
	s_cbranch_execz .LBB269_298
; %bb.291:                              ;   in Loop: Header=BB269_13 Depth=1
	v_cmp_ne_u16_sdwa s2, v3, v19 src0_sel:BYTE_0 src1_sel:DWORD
	v_mov_b32_e32 v63, 0x8000
	s_and_saveexec_b32 s49, s2
	s_cbranch_execz .LBB269_297
; %bb.292:                              ;   in Loop: Header=BB269_13 Depth=1
	v_and_b32_e32 v65, 0x7f, v3
	v_mov_b32_e32 v63, 0x7c01
	s_mov_b32 s50, exec_lo
	v_cmpx_ne_u32_e32 0x7f, v65
	s_cbranch_execz .LBB269_296
; %bb.293:                              ;   in Loop: Header=BB269_13 Depth=1
	v_and_b32_e32 v63, 7, v3
	v_lshrrev_b32_e32 v64, 3, v65
	s_mov_b32 s51, exec_lo
	v_cmpx_gt_u32_e32 8, v65
; %bb.294:                              ;   in Loop: Header=BB269_13 Depth=1
	v_ffbh_u32_e32 v63, v63
	v_min_u32_e32 v65, 32, v63
	v_subrev_nc_u32_e32 v63, 28, v65
	v_lshlrev_b64 v[63:64], v63, v[3:4]
	v_sub_nc_u32_e32 v64, 29, v65
	v_and_b32_e32 v63, 7, v63
; %bb.295:                              ;   in Loop: Header=BB269_13 Depth=1
	s_or_b32 exec_lo, exec_lo, s51
	v_lshlrev_b32_e32 v65, 8, v3
	v_lshl_add_u32 v64, v64, 10, 0x2000
	v_lshlrev_b32_e32 v63, 7, v63
	v_and_b32_e32 v65, 0x8000, v65
	v_and_b32_e32 v64, 0xfc00, v64
	v_or3_b32 v63, v65, v64, v63
.LBB269_296:                            ;   in Loop: Header=BB269_13 Depth=1
	s_or_b32 exec_lo, exec_lo, s50
.LBB269_297:                            ;   in Loop: Header=BB269_13 Depth=1
	s_or_b32 exec_lo, exec_lo, s49
.LBB269_298:                            ;   in Loop: Header=BB269_13 Depth=1
	s_or_b32 exec_lo, exec_lo, s48
	v_lshrrev_b16 v3, 8, v3
	s_mov_b32 s48, exec_lo
	v_cmpx_ne_u16_e32 0, v3
	s_cbranch_execz .LBB269_306
; %bb.299:                              ;   in Loop: Header=BB269_13 Depth=1
	v_bfrev_b32_e32 v62, 1
	s_mov_b32 s49, exec_lo
	v_cmpx_ne_u16_e32 0x80, v3
	s_cbranch_execz .LBB269_305
; %bb.300:                              ;   in Loop: Header=BB269_13 Depth=1
	v_and_b32_sdwa v65, v3, v20 dst_sel:DWORD dst_unused:UNUSED_PAD src0_sel:WORD_0 src1_sel:DWORD
	v_mov_b32_e32 v62, 0x7c010000
	s_mov_b32 s50, exec_lo
	v_cmpx_ne_u32_e32 0x7f, v65
	s_cbranch_execz .LBB269_304
; %bb.301:                              ;   in Loop: Header=BB269_13 Depth=1
	v_and_b32_sdwa v62, v3, v21 dst_sel:DWORD dst_unused:UNUSED_PAD src0_sel:WORD_0 src1_sel:DWORD
	v_lshrrev_b32_e32 v64, 3, v65
	s_mov_b32 s51, exec_lo
	v_cmpx_gt_u32_e32 8, v65
; %bb.302:                              ;   in Loop: Header=BB269_13 Depth=1
	v_ffbh_u32_e32 v62, v62
	v_min_u32_e32 v62, 32, v62
	v_subrev_nc_u32_e32 v64, 28, v62
	v_lshlrev_b64 v[65:66], v64, v[3:4]
	v_sub_nc_u32_e32 v64, 29, v62
	v_and_b32_e32 v62, 7, v65
; %bb.303:                              ;   in Loop: Header=BB269_13 Depth=1
	s_or_b32 exec_lo, exec_lo, s51
	v_lshlrev_b32_sdwa v3, v22, v3 dst_sel:DWORD dst_unused:UNUSED_PAD src0_sel:DWORD src1_sel:WORD_0
	v_lshl_add_u32 v64, v64, 10, 0x2000
	v_lshlrev_b32_e32 v62, 23, v62
	v_and_or_b32 v3, 0x8000, v3, v64
	v_lshl_or_b32 v62, v3, 16, v62
.LBB269_304:                            ;   in Loop: Header=BB269_13 Depth=1
	s_or_b32 exec_lo, exec_lo, s50
.LBB269_305:                            ;   in Loop: Header=BB269_13 Depth=1
	s_or_b32 exec_lo, exec_lo, s49
.LBB269_306:                            ;   in Loop: Header=BB269_13 Depth=1
	s_or_b32 exec_lo, exec_lo, s48
	global_load_ushort v65, v[9:10], off offset:1152
	v_mov_b32_e32 v64, 0
	s_waitcnt vmcnt(0)
	v_and_b32_e32 v3, 0xffff, v65
	v_cmp_ne_u16_sdwa s2, v65, v4 src0_sel:BYTE_0 src1_sel:DWORD
	v_mov_b32_e32 v65, 0
	s_and_saveexec_b32 s48, s2
	s_cbranch_execz .LBB269_314
; %bb.307:                              ;   in Loop: Header=BB269_13 Depth=1
	v_cmp_ne_u16_sdwa s2, v3, v19 src0_sel:BYTE_0 src1_sel:DWORD
	v_mov_b32_e32 v65, 0x8000
	s_and_saveexec_b32 s49, s2
	s_cbranch_execz .LBB269_313
; %bb.308:                              ;   in Loop: Header=BB269_13 Depth=1
	v_and_b32_e32 v67, 0x7f, v3
	v_mov_b32_e32 v65, 0x7c01
	s_mov_b32 s50, exec_lo
	v_cmpx_ne_u32_e32 0x7f, v67
	s_cbranch_execz .LBB269_312
; %bb.309:                              ;   in Loop: Header=BB269_13 Depth=1
	v_and_b32_e32 v65, 7, v3
	v_lshrrev_b32_e32 v66, 3, v67
	s_mov_b32 s51, exec_lo
	v_cmpx_gt_u32_e32 8, v67
; %bb.310:                              ;   in Loop: Header=BB269_13 Depth=1
	v_ffbh_u32_e32 v65, v65
	v_min_u32_e32 v67, 32, v65
	v_subrev_nc_u32_e32 v65, 28, v67
	v_lshlrev_b64 v[65:66], v65, v[3:4]
	v_sub_nc_u32_e32 v66, 29, v67
	v_and_b32_e32 v65, 7, v65
; %bb.311:                              ;   in Loop: Header=BB269_13 Depth=1
	s_or_b32 exec_lo, exec_lo, s51
	v_lshlrev_b32_e32 v67, 8, v3
	v_lshl_add_u32 v66, v66, 10, 0x2000
	v_lshlrev_b32_e32 v65, 7, v65
	v_and_b32_e32 v67, 0x8000, v67
	v_and_b32_e32 v66, 0xfc00, v66
	v_or3_b32 v65, v67, v66, v65
.LBB269_312:                            ;   in Loop: Header=BB269_13 Depth=1
	s_or_b32 exec_lo, exec_lo, s50
.LBB269_313:                            ;   in Loop: Header=BB269_13 Depth=1
	s_or_b32 exec_lo, exec_lo, s49
.LBB269_314:                            ;   in Loop: Header=BB269_13 Depth=1
	s_or_b32 exec_lo, exec_lo, s48
	v_lshrrev_b16 v3, 8, v3
	s_mov_b32 s48, exec_lo
	v_cmpx_ne_u16_e32 0, v3
	s_cbranch_execz .LBB269_322
; %bb.315:                              ;   in Loop: Header=BB269_13 Depth=1
	v_bfrev_b32_e32 v64, 1
	s_mov_b32 s49, exec_lo
	v_cmpx_ne_u16_e32 0x80, v3
	s_cbranch_execz .LBB269_321
; %bb.316:                              ;   in Loop: Header=BB269_13 Depth=1
	v_and_b32_sdwa v67, v3, v20 dst_sel:DWORD dst_unused:UNUSED_PAD src0_sel:WORD_0 src1_sel:DWORD
	v_mov_b32_e32 v64, 0x7c010000
	s_mov_b32 s50, exec_lo
	v_cmpx_ne_u32_e32 0x7f, v67
	s_cbranch_execz .LBB269_320
; %bb.317:                              ;   in Loop: Header=BB269_13 Depth=1
	v_and_b32_sdwa v64, v3, v21 dst_sel:DWORD dst_unused:UNUSED_PAD src0_sel:WORD_0 src1_sel:DWORD
	v_lshrrev_b32_e32 v66, 3, v67
	s_mov_b32 s51, exec_lo
	v_cmpx_gt_u32_e32 8, v67
; %bb.318:                              ;   in Loop: Header=BB269_13 Depth=1
	v_ffbh_u32_e32 v64, v64
	v_min_u32_e32 v64, 32, v64
	v_subrev_nc_u32_e32 v66, 28, v64
	v_lshlrev_b64 v[67:68], v66, v[3:4]
	v_sub_nc_u32_e32 v66, 29, v64
	v_and_b32_e32 v64, 7, v67
; %bb.319:                              ;   in Loop: Header=BB269_13 Depth=1
	s_or_b32 exec_lo, exec_lo, s51
	v_lshlrev_b32_sdwa v3, v22, v3 dst_sel:DWORD dst_unused:UNUSED_PAD src0_sel:DWORD src1_sel:WORD_0
	v_lshl_add_u32 v66, v66, 10, 0x2000
	v_lshlrev_b32_e32 v64, 23, v64
	v_and_or_b32 v3, 0x8000, v3, v66
	v_lshl_or_b32 v64, v3, 16, v64
.LBB269_320:                            ;   in Loop: Header=BB269_13 Depth=1
	s_or_b32 exec_lo, exec_lo, s50
.LBB269_321:                            ;   in Loop: Header=BB269_13 Depth=1
	s_or_b32 exec_lo, exec_lo, s49
.LBB269_322:                            ;   in Loop: Header=BB269_13 Depth=1
	s_or_b32 exec_lo, exec_lo, s48
	global_load_ushort v67, v[9:10], off offset:1160
	v_mov_b32_e32 v66, 0
	s_waitcnt vmcnt(0)
	v_and_b32_e32 v3, 0xffff, v67
	v_cmp_ne_u16_sdwa s2, v67, v4 src0_sel:BYTE_0 src1_sel:DWORD
	v_mov_b32_e32 v67, 0
	s_and_saveexec_b32 s48, s2
	s_cbranch_execz .LBB269_330
; %bb.323:                              ;   in Loop: Header=BB269_13 Depth=1
	v_cmp_ne_u16_sdwa s2, v3, v19 src0_sel:BYTE_0 src1_sel:DWORD
	v_mov_b32_e32 v67, 0x8000
	s_and_saveexec_b32 s49, s2
	s_cbranch_execz .LBB269_329
; %bb.324:                              ;   in Loop: Header=BB269_13 Depth=1
	v_and_b32_e32 v69, 0x7f, v3
	v_mov_b32_e32 v67, 0x7c01
	s_mov_b32 s50, exec_lo
	v_cmpx_ne_u32_e32 0x7f, v69
	s_cbranch_execz .LBB269_328
; %bb.325:                              ;   in Loop: Header=BB269_13 Depth=1
	v_and_b32_e32 v67, 7, v3
	v_lshrrev_b32_e32 v68, 3, v69
	s_mov_b32 s51, exec_lo
	v_cmpx_gt_u32_e32 8, v69
; %bb.326:                              ;   in Loop: Header=BB269_13 Depth=1
	v_ffbh_u32_e32 v67, v67
	v_min_u32_e32 v69, 32, v67
	v_subrev_nc_u32_e32 v67, 28, v69
	v_lshlrev_b64 v[67:68], v67, v[3:4]
	v_sub_nc_u32_e32 v68, 29, v69
	v_and_b32_e32 v67, 7, v67
; %bb.327:                              ;   in Loop: Header=BB269_13 Depth=1
	s_or_b32 exec_lo, exec_lo, s51
	v_lshlrev_b32_e32 v69, 8, v3
	v_lshl_add_u32 v68, v68, 10, 0x2000
	v_lshlrev_b32_e32 v67, 7, v67
	v_and_b32_e32 v69, 0x8000, v69
	v_and_b32_e32 v68, 0xfc00, v68
	v_or3_b32 v67, v69, v68, v67
.LBB269_328:                            ;   in Loop: Header=BB269_13 Depth=1
	s_or_b32 exec_lo, exec_lo, s50
.LBB269_329:                            ;   in Loop: Header=BB269_13 Depth=1
	s_or_b32 exec_lo, exec_lo, s49
.LBB269_330:                            ;   in Loop: Header=BB269_13 Depth=1
	s_or_b32 exec_lo, exec_lo, s48
	v_lshrrev_b16 v3, 8, v3
	s_mov_b32 s48, exec_lo
	v_cmpx_ne_u16_e32 0, v3
	s_cbranch_execz .LBB269_338
; %bb.331:                              ;   in Loop: Header=BB269_13 Depth=1
	v_bfrev_b32_e32 v66, 1
	s_mov_b32 s49, exec_lo
	v_cmpx_ne_u16_e32 0x80, v3
	s_cbranch_execz .LBB269_337
; %bb.332:                              ;   in Loop: Header=BB269_13 Depth=1
	v_and_b32_sdwa v69, v3, v20 dst_sel:DWORD dst_unused:UNUSED_PAD src0_sel:WORD_0 src1_sel:DWORD
	v_mov_b32_e32 v66, 0x7c010000
	s_mov_b32 s50, exec_lo
	v_cmpx_ne_u32_e32 0x7f, v69
	s_cbranch_execz .LBB269_336
; %bb.333:                              ;   in Loop: Header=BB269_13 Depth=1
	v_and_b32_sdwa v66, v3, v21 dst_sel:DWORD dst_unused:UNUSED_PAD src0_sel:WORD_0 src1_sel:DWORD
	v_lshrrev_b32_e32 v68, 3, v69
	s_mov_b32 s51, exec_lo
	v_cmpx_gt_u32_e32 8, v69
; %bb.334:                              ;   in Loop: Header=BB269_13 Depth=1
	v_ffbh_u32_e32 v66, v66
	v_min_u32_e32 v66, 32, v66
	v_subrev_nc_u32_e32 v68, 28, v66
	v_lshlrev_b64 v[69:70], v68, v[3:4]
	v_sub_nc_u32_e32 v68, 29, v66
	v_and_b32_e32 v66, 7, v69
; %bb.335:                              ;   in Loop: Header=BB269_13 Depth=1
	s_or_b32 exec_lo, exec_lo, s51
	v_lshlrev_b32_sdwa v3, v22, v3 dst_sel:DWORD dst_unused:UNUSED_PAD src0_sel:DWORD src1_sel:WORD_0
	v_lshl_add_u32 v68, v68, 10, 0x2000
	v_lshlrev_b32_e32 v66, 23, v66
	v_and_or_b32 v3, 0x8000, v3, v68
	v_lshl_or_b32 v66, v3, 16, v66
.LBB269_336:                            ;   in Loop: Header=BB269_13 Depth=1
	s_or_b32 exec_lo, exec_lo, s50
.LBB269_337:                            ;   in Loop: Header=BB269_13 Depth=1
	s_or_b32 exec_lo, exec_lo, s49
.LBB269_338:                            ;   in Loop: Header=BB269_13 Depth=1
	s_or_b32 exec_lo, exec_lo, s48
	global_load_ushort v69, v[9:10], off offset:1280
	v_mov_b32_e32 v68, 0
	s_waitcnt vmcnt(0)
	v_and_b32_e32 v3, 0xffff, v69
	v_cmp_ne_u16_sdwa s2, v69, v4 src0_sel:BYTE_0 src1_sel:DWORD
	v_mov_b32_e32 v69, 0
	s_and_saveexec_b32 s48, s2
	s_cbranch_execz .LBB269_346
; %bb.339:                              ;   in Loop: Header=BB269_13 Depth=1
	v_cmp_ne_u16_sdwa s2, v3, v19 src0_sel:BYTE_0 src1_sel:DWORD
	v_mov_b32_e32 v69, 0x8000
	s_and_saveexec_b32 s49, s2
	s_cbranch_execz .LBB269_345
; %bb.340:                              ;   in Loop: Header=BB269_13 Depth=1
	v_and_b32_e32 v71, 0x7f, v3
	v_mov_b32_e32 v69, 0x7c01
	s_mov_b32 s50, exec_lo
	v_cmpx_ne_u32_e32 0x7f, v71
	s_cbranch_execz .LBB269_344
; %bb.341:                              ;   in Loop: Header=BB269_13 Depth=1
	v_and_b32_e32 v69, 7, v3
	v_lshrrev_b32_e32 v70, 3, v71
	s_mov_b32 s51, exec_lo
	v_cmpx_gt_u32_e32 8, v71
; %bb.342:                              ;   in Loop: Header=BB269_13 Depth=1
	v_ffbh_u32_e32 v69, v69
	v_min_u32_e32 v71, 32, v69
	v_subrev_nc_u32_e32 v69, 28, v71
	v_lshlrev_b64 v[69:70], v69, v[3:4]
	v_sub_nc_u32_e32 v70, 29, v71
	v_and_b32_e32 v69, 7, v69
; %bb.343:                              ;   in Loop: Header=BB269_13 Depth=1
	s_or_b32 exec_lo, exec_lo, s51
	v_lshlrev_b32_e32 v71, 8, v3
	v_lshl_add_u32 v70, v70, 10, 0x2000
	v_lshlrev_b32_e32 v69, 7, v69
	v_and_b32_e32 v71, 0x8000, v71
	v_and_b32_e32 v70, 0xfc00, v70
	v_or3_b32 v69, v71, v70, v69
.LBB269_344:                            ;   in Loop: Header=BB269_13 Depth=1
	s_or_b32 exec_lo, exec_lo, s50
.LBB269_345:                            ;   in Loop: Header=BB269_13 Depth=1
	s_or_b32 exec_lo, exec_lo, s49
.LBB269_346:                            ;   in Loop: Header=BB269_13 Depth=1
	s_or_b32 exec_lo, exec_lo, s48
	v_lshrrev_b16 v3, 8, v3
	s_mov_b32 s48, exec_lo
	v_cmpx_ne_u16_e32 0, v3
	s_cbranch_execz .LBB269_354
; %bb.347:                              ;   in Loop: Header=BB269_13 Depth=1
	v_bfrev_b32_e32 v68, 1
	s_mov_b32 s49, exec_lo
	v_cmpx_ne_u16_e32 0x80, v3
	s_cbranch_execz .LBB269_353
; %bb.348:                              ;   in Loop: Header=BB269_13 Depth=1
	v_and_b32_sdwa v71, v3, v20 dst_sel:DWORD dst_unused:UNUSED_PAD src0_sel:WORD_0 src1_sel:DWORD
	v_mov_b32_e32 v68, 0x7c010000
	s_mov_b32 s50, exec_lo
	v_cmpx_ne_u32_e32 0x7f, v71
	s_cbranch_execz .LBB269_352
; %bb.349:                              ;   in Loop: Header=BB269_13 Depth=1
	v_and_b32_sdwa v68, v3, v21 dst_sel:DWORD dst_unused:UNUSED_PAD src0_sel:WORD_0 src1_sel:DWORD
	v_lshrrev_b32_e32 v70, 3, v71
	s_mov_b32 s51, exec_lo
	v_cmpx_gt_u32_e32 8, v71
; %bb.350:                              ;   in Loop: Header=BB269_13 Depth=1
	v_ffbh_u32_e32 v68, v68
	v_min_u32_e32 v68, 32, v68
	v_subrev_nc_u32_e32 v70, 28, v68
	v_lshlrev_b64 v[71:72], v70, v[3:4]
	v_sub_nc_u32_e32 v70, 29, v68
	v_and_b32_e32 v68, 7, v71
; %bb.351:                              ;   in Loop: Header=BB269_13 Depth=1
	s_or_b32 exec_lo, exec_lo, s51
	v_lshlrev_b32_sdwa v3, v22, v3 dst_sel:DWORD dst_unused:UNUSED_PAD src0_sel:DWORD src1_sel:WORD_0
	v_lshl_add_u32 v70, v70, 10, 0x2000
	v_lshlrev_b32_e32 v68, 23, v68
	v_and_or_b32 v3, 0x8000, v3, v70
	v_lshl_or_b32 v68, v3, 16, v68
.LBB269_352:                            ;   in Loop: Header=BB269_13 Depth=1
	s_or_b32 exec_lo, exec_lo, s50
.LBB269_353:                            ;   in Loop: Header=BB269_13 Depth=1
	s_or_b32 exec_lo, exec_lo, s49
.LBB269_354:                            ;   in Loop: Header=BB269_13 Depth=1
	s_or_b32 exec_lo, exec_lo, s48
	global_load_ushort v71, v[9:10], off offset:1288
	v_mov_b32_e32 v70, 0
	s_waitcnt vmcnt(0)
	v_and_b32_e32 v3, 0xffff, v71
	v_cmp_ne_u16_sdwa s2, v71, v4 src0_sel:BYTE_0 src1_sel:DWORD
	v_mov_b32_e32 v71, 0
	s_and_saveexec_b32 s48, s2
	s_cbranch_execz .LBB269_362
; %bb.355:                              ;   in Loop: Header=BB269_13 Depth=1
	v_cmp_ne_u16_sdwa s2, v3, v19 src0_sel:BYTE_0 src1_sel:DWORD
	v_mov_b32_e32 v71, 0x8000
	s_and_saveexec_b32 s49, s2
	s_cbranch_execz .LBB269_361
; %bb.356:                              ;   in Loop: Header=BB269_13 Depth=1
	v_and_b32_e32 v73, 0x7f, v3
	v_mov_b32_e32 v71, 0x7c01
	s_mov_b32 s50, exec_lo
	v_cmpx_ne_u32_e32 0x7f, v73
	s_cbranch_execz .LBB269_360
; %bb.357:                              ;   in Loop: Header=BB269_13 Depth=1
	v_and_b32_e32 v71, 7, v3
	v_lshrrev_b32_e32 v72, 3, v73
	s_mov_b32 s51, exec_lo
	v_cmpx_gt_u32_e32 8, v73
; %bb.358:                              ;   in Loop: Header=BB269_13 Depth=1
	v_ffbh_u32_e32 v71, v71
	v_min_u32_e32 v73, 32, v71
	v_subrev_nc_u32_e32 v71, 28, v73
	v_lshlrev_b64 v[71:72], v71, v[3:4]
	v_sub_nc_u32_e32 v72, 29, v73
	v_and_b32_e32 v71, 7, v71
; %bb.359:                              ;   in Loop: Header=BB269_13 Depth=1
	s_or_b32 exec_lo, exec_lo, s51
	v_lshlrev_b32_e32 v73, 8, v3
	v_lshl_add_u32 v72, v72, 10, 0x2000
	v_lshlrev_b32_e32 v71, 7, v71
	v_and_b32_e32 v73, 0x8000, v73
	v_and_b32_e32 v72, 0xfc00, v72
	v_or3_b32 v71, v73, v72, v71
.LBB269_360:                            ;   in Loop: Header=BB269_13 Depth=1
	s_or_b32 exec_lo, exec_lo, s50
.LBB269_361:                            ;   in Loop: Header=BB269_13 Depth=1
	s_or_b32 exec_lo, exec_lo, s49
.LBB269_362:                            ;   in Loop: Header=BB269_13 Depth=1
	s_or_b32 exec_lo, exec_lo, s48
	v_lshrrev_b16 v3, 8, v3
	s_mov_b32 s48, exec_lo
	v_cmpx_ne_u16_e32 0, v3
	s_cbranch_execz .LBB269_370
; %bb.363:                              ;   in Loop: Header=BB269_13 Depth=1
	v_bfrev_b32_e32 v70, 1
	s_mov_b32 s49, exec_lo
	v_cmpx_ne_u16_e32 0x80, v3
	s_cbranch_execz .LBB269_369
; %bb.364:                              ;   in Loop: Header=BB269_13 Depth=1
	v_and_b32_sdwa v73, v3, v20 dst_sel:DWORD dst_unused:UNUSED_PAD src0_sel:WORD_0 src1_sel:DWORD
	v_mov_b32_e32 v70, 0x7c010000
	s_mov_b32 s50, exec_lo
	v_cmpx_ne_u32_e32 0x7f, v73
	s_cbranch_execz .LBB269_368
; %bb.365:                              ;   in Loop: Header=BB269_13 Depth=1
	v_and_b32_sdwa v70, v3, v21 dst_sel:DWORD dst_unused:UNUSED_PAD src0_sel:WORD_0 src1_sel:DWORD
	v_lshrrev_b32_e32 v72, 3, v73
	s_mov_b32 s51, exec_lo
	v_cmpx_gt_u32_e32 8, v73
; %bb.366:                              ;   in Loop: Header=BB269_13 Depth=1
	v_ffbh_u32_e32 v70, v70
	v_min_u32_e32 v70, 32, v70
	v_subrev_nc_u32_e32 v72, 28, v70
	v_lshlrev_b64 v[73:74], v72, v[3:4]
	v_sub_nc_u32_e32 v72, 29, v70
	v_and_b32_e32 v70, 7, v73
; %bb.367:                              ;   in Loop: Header=BB269_13 Depth=1
	s_or_b32 exec_lo, exec_lo, s51
	v_lshlrev_b32_sdwa v3, v22, v3 dst_sel:DWORD dst_unused:UNUSED_PAD src0_sel:DWORD src1_sel:WORD_0
	v_lshl_add_u32 v72, v72, 10, 0x2000
	v_lshlrev_b32_e32 v70, 23, v70
	v_and_or_b32 v3, 0x8000, v3, v72
	v_lshl_or_b32 v70, v3, 16, v70
.LBB269_368:                            ;   in Loop: Header=BB269_13 Depth=1
	s_or_b32 exec_lo, exec_lo, s50
.LBB269_369:                            ;   in Loop: Header=BB269_13 Depth=1
	s_or_b32 exec_lo, exec_lo, s49
.LBB269_370:                            ;   in Loop: Header=BB269_13 Depth=1
	s_or_b32 exec_lo, exec_lo, s48
	global_load_ushort v73, v[9:10], off offset:1408
	v_mov_b32_e32 v72, 0
	s_waitcnt vmcnt(0)
	v_and_b32_e32 v3, 0xffff, v73
	v_cmp_ne_u16_sdwa s2, v73, v4 src0_sel:BYTE_0 src1_sel:DWORD
	v_mov_b32_e32 v73, 0
	s_and_saveexec_b32 s48, s2
	s_cbranch_execz .LBB269_378
; %bb.371:                              ;   in Loop: Header=BB269_13 Depth=1
	v_cmp_ne_u16_sdwa s2, v3, v19 src0_sel:BYTE_0 src1_sel:DWORD
	v_mov_b32_e32 v73, 0x8000
	s_and_saveexec_b32 s49, s2
	s_cbranch_execz .LBB269_377
; %bb.372:                              ;   in Loop: Header=BB269_13 Depth=1
	v_and_b32_e32 v75, 0x7f, v3
	v_mov_b32_e32 v73, 0x7c01
	s_mov_b32 s50, exec_lo
	v_cmpx_ne_u32_e32 0x7f, v75
	s_cbranch_execz .LBB269_376
; %bb.373:                              ;   in Loop: Header=BB269_13 Depth=1
	v_and_b32_e32 v73, 7, v3
	v_lshrrev_b32_e32 v74, 3, v75
	s_mov_b32 s51, exec_lo
	v_cmpx_gt_u32_e32 8, v75
; %bb.374:                              ;   in Loop: Header=BB269_13 Depth=1
	v_ffbh_u32_e32 v73, v73
	v_min_u32_e32 v75, 32, v73
	v_subrev_nc_u32_e32 v73, 28, v75
	v_lshlrev_b64 v[73:74], v73, v[3:4]
	v_sub_nc_u32_e32 v74, 29, v75
	v_and_b32_e32 v73, 7, v73
; %bb.375:                              ;   in Loop: Header=BB269_13 Depth=1
	s_or_b32 exec_lo, exec_lo, s51
	v_lshlrev_b32_e32 v75, 8, v3
	v_lshl_add_u32 v74, v74, 10, 0x2000
	v_lshlrev_b32_e32 v73, 7, v73
	v_and_b32_e32 v75, 0x8000, v75
	v_and_b32_e32 v74, 0xfc00, v74
	v_or3_b32 v73, v75, v74, v73
.LBB269_376:                            ;   in Loop: Header=BB269_13 Depth=1
	s_or_b32 exec_lo, exec_lo, s50
.LBB269_377:                            ;   in Loop: Header=BB269_13 Depth=1
	s_or_b32 exec_lo, exec_lo, s49
.LBB269_378:                            ;   in Loop: Header=BB269_13 Depth=1
	s_or_b32 exec_lo, exec_lo, s48
	v_lshrrev_b16 v3, 8, v3
	s_mov_b32 s48, exec_lo
	v_cmpx_ne_u16_e32 0, v3
	s_cbranch_execz .LBB269_386
; %bb.379:                              ;   in Loop: Header=BB269_13 Depth=1
	v_bfrev_b32_e32 v72, 1
	s_mov_b32 s49, exec_lo
	v_cmpx_ne_u16_e32 0x80, v3
	s_cbranch_execz .LBB269_385
; %bb.380:                              ;   in Loop: Header=BB269_13 Depth=1
	v_and_b32_sdwa v75, v3, v20 dst_sel:DWORD dst_unused:UNUSED_PAD src0_sel:WORD_0 src1_sel:DWORD
	v_mov_b32_e32 v72, 0x7c010000
	s_mov_b32 s50, exec_lo
	v_cmpx_ne_u32_e32 0x7f, v75
	s_cbranch_execz .LBB269_384
; %bb.381:                              ;   in Loop: Header=BB269_13 Depth=1
	v_and_b32_sdwa v72, v3, v21 dst_sel:DWORD dst_unused:UNUSED_PAD src0_sel:WORD_0 src1_sel:DWORD
	v_lshrrev_b32_e32 v74, 3, v75
	s_mov_b32 s51, exec_lo
	v_cmpx_gt_u32_e32 8, v75
; %bb.382:                              ;   in Loop: Header=BB269_13 Depth=1
	v_ffbh_u32_e32 v72, v72
	v_min_u32_e32 v72, 32, v72
	v_subrev_nc_u32_e32 v74, 28, v72
	v_lshlrev_b64 v[75:76], v74, v[3:4]
	v_sub_nc_u32_e32 v74, 29, v72
	v_and_b32_e32 v72, 7, v75
; %bb.383:                              ;   in Loop: Header=BB269_13 Depth=1
	s_or_b32 exec_lo, exec_lo, s51
	v_lshlrev_b32_sdwa v3, v22, v3 dst_sel:DWORD dst_unused:UNUSED_PAD src0_sel:DWORD src1_sel:WORD_0
	v_lshl_add_u32 v74, v74, 10, 0x2000
	v_lshlrev_b32_e32 v72, 23, v72
	v_and_or_b32 v3, 0x8000, v3, v74
	v_lshl_or_b32 v72, v3, 16, v72
.LBB269_384:                            ;   in Loop: Header=BB269_13 Depth=1
	s_or_b32 exec_lo, exec_lo, s50
.LBB269_385:                            ;   in Loop: Header=BB269_13 Depth=1
	s_or_b32 exec_lo, exec_lo, s49
.LBB269_386:                            ;   in Loop: Header=BB269_13 Depth=1
	s_or_b32 exec_lo, exec_lo, s48
	global_load_ushort v75, v[9:10], off offset:1416
	v_mov_b32_e32 v74, 0
	s_waitcnt vmcnt(0)
	v_and_b32_e32 v3, 0xffff, v75
	v_cmp_ne_u16_sdwa s2, v75, v4 src0_sel:BYTE_0 src1_sel:DWORD
	v_mov_b32_e32 v75, 0
	s_and_saveexec_b32 s48, s2
	s_cbranch_execz .LBB269_394
; %bb.387:                              ;   in Loop: Header=BB269_13 Depth=1
	v_cmp_ne_u16_sdwa s2, v3, v19 src0_sel:BYTE_0 src1_sel:DWORD
	v_mov_b32_e32 v75, 0x8000
	s_and_saveexec_b32 s49, s2
	s_cbranch_execz .LBB269_393
; %bb.388:                              ;   in Loop: Header=BB269_13 Depth=1
	v_and_b32_e32 v77, 0x7f, v3
	v_mov_b32_e32 v75, 0x7c01
	s_mov_b32 s50, exec_lo
	v_cmpx_ne_u32_e32 0x7f, v77
	s_cbranch_execz .LBB269_392
; %bb.389:                              ;   in Loop: Header=BB269_13 Depth=1
	v_and_b32_e32 v75, 7, v3
	v_lshrrev_b32_e32 v76, 3, v77
	s_mov_b32 s51, exec_lo
	v_cmpx_gt_u32_e32 8, v77
; %bb.390:                              ;   in Loop: Header=BB269_13 Depth=1
	v_ffbh_u32_e32 v75, v75
	v_min_u32_e32 v77, 32, v75
	v_subrev_nc_u32_e32 v75, 28, v77
	v_lshlrev_b64 v[75:76], v75, v[3:4]
	v_sub_nc_u32_e32 v76, 29, v77
	v_and_b32_e32 v75, 7, v75
; %bb.391:                              ;   in Loop: Header=BB269_13 Depth=1
	s_or_b32 exec_lo, exec_lo, s51
	v_lshlrev_b32_e32 v77, 8, v3
	v_lshl_add_u32 v76, v76, 10, 0x2000
	v_lshlrev_b32_e32 v75, 7, v75
	v_and_b32_e32 v77, 0x8000, v77
	v_and_b32_e32 v76, 0xfc00, v76
	v_or3_b32 v75, v77, v76, v75
.LBB269_392:                            ;   in Loop: Header=BB269_13 Depth=1
	s_or_b32 exec_lo, exec_lo, s50
.LBB269_393:                            ;   in Loop: Header=BB269_13 Depth=1
	s_or_b32 exec_lo, exec_lo, s49
.LBB269_394:                            ;   in Loop: Header=BB269_13 Depth=1
	s_or_b32 exec_lo, exec_lo, s48
	v_lshrrev_b16 v3, 8, v3
	s_mov_b32 s48, exec_lo
	v_cmpx_ne_u16_e32 0, v3
	s_cbranch_execz .LBB269_402
; %bb.395:                              ;   in Loop: Header=BB269_13 Depth=1
	v_bfrev_b32_e32 v74, 1
	s_mov_b32 s49, exec_lo
	v_cmpx_ne_u16_e32 0x80, v3
	s_cbranch_execz .LBB269_401
; %bb.396:                              ;   in Loop: Header=BB269_13 Depth=1
	v_and_b32_sdwa v77, v3, v20 dst_sel:DWORD dst_unused:UNUSED_PAD src0_sel:WORD_0 src1_sel:DWORD
	v_mov_b32_e32 v74, 0x7c010000
	s_mov_b32 s50, exec_lo
	v_cmpx_ne_u32_e32 0x7f, v77
	s_cbranch_execz .LBB269_400
; %bb.397:                              ;   in Loop: Header=BB269_13 Depth=1
	v_and_b32_sdwa v74, v3, v21 dst_sel:DWORD dst_unused:UNUSED_PAD src0_sel:WORD_0 src1_sel:DWORD
	v_lshrrev_b32_e32 v76, 3, v77
	s_mov_b32 s51, exec_lo
	v_cmpx_gt_u32_e32 8, v77
; %bb.398:                              ;   in Loop: Header=BB269_13 Depth=1
	v_ffbh_u32_e32 v74, v74
	v_min_u32_e32 v74, 32, v74
	v_subrev_nc_u32_e32 v76, 28, v74
	v_lshlrev_b64 v[77:78], v76, v[3:4]
	v_sub_nc_u32_e32 v76, 29, v74
	v_and_b32_e32 v74, 7, v77
; %bb.399:                              ;   in Loop: Header=BB269_13 Depth=1
	s_or_b32 exec_lo, exec_lo, s51
	v_lshlrev_b32_sdwa v3, v22, v3 dst_sel:DWORD dst_unused:UNUSED_PAD src0_sel:DWORD src1_sel:WORD_0
	v_lshl_add_u32 v76, v76, 10, 0x2000
	v_lshlrev_b32_e32 v74, 23, v74
	v_and_or_b32 v3, 0x8000, v3, v76
	v_lshl_or_b32 v74, v3, 16, v74
.LBB269_400:                            ;   in Loop: Header=BB269_13 Depth=1
	s_or_b32 exec_lo, exec_lo, s50
.LBB269_401:                            ;   in Loop: Header=BB269_13 Depth=1
	s_or_b32 exec_lo, exec_lo, s49
.LBB269_402:                            ;   in Loop: Header=BB269_13 Depth=1
	s_or_b32 exec_lo, exec_lo, s48
	global_load_ushort v77, v[9:10], off offset:1536
	v_mov_b32_e32 v76, 0
	s_waitcnt vmcnt(0)
	v_and_b32_e32 v3, 0xffff, v77
	v_cmp_ne_u16_sdwa s2, v77, v4 src0_sel:BYTE_0 src1_sel:DWORD
	v_mov_b32_e32 v77, 0
	s_and_saveexec_b32 s48, s2
	s_cbranch_execz .LBB269_410
; %bb.403:                              ;   in Loop: Header=BB269_13 Depth=1
	v_cmp_ne_u16_sdwa s2, v3, v19 src0_sel:BYTE_0 src1_sel:DWORD
	v_mov_b32_e32 v77, 0x8000
	s_and_saveexec_b32 s49, s2
	s_cbranch_execz .LBB269_409
; %bb.404:                              ;   in Loop: Header=BB269_13 Depth=1
	v_and_b32_e32 v79, 0x7f, v3
	v_mov_b32_e32 v77, 0x7c01
	s_mov_b32 s50, exec_lo
	v_cmpx_ne_u32_e32 0x7f, v79
	s_cbranch_execz .LBB269_408
; %bb.405:                              ;   in Loop: Header=BB269_13 Depth=1
	v_and_b32_e32 v77, 7, v3
	v_lshrrev_b32_e32 v78, 3, v79
	s_mov_b32 s51, exec_lo
	v_cmpx_gt_u32_e32 8, v79
; %bb.406:                              ;   in Loop: Header=BB269_13 Depth=1
	v_ffbh_u32_e32 v77, v77
	v_min_u32_e32 v79, 32, v77
	v_subrev_nc_u32_e32 v77, 28, v79
	v_lshlrev_b64 v[77:78], v77, v[3:4]
	v_sub_nc_u32_e32 v78, 29, v79
	v_and_b32_e32 v77, 7, v77
; %bb.407:                              ;   in Loop: Header=BB269_13 Depth=1
	s_or_b32 exec_lo, exec_lo, s51
	v_lshlrev_b32_e32 v79, 8, v3
	v_lshl_add_u32 v78, v78, 10, 0x2000
	v_lshlrev_b32_e32 v77, 7, v77
	v_and_b32_e32 v79, 0x8000, v79
	v_and_b32_e32 v78, 0xfc00, v78
	v_or3_b32 v77, v79, v78, v77
.LBB269_408:                            ;   in Loop: Header=BB269_13 Depth=1
	s_or_b32 exec_lo, exec_lo, s50
.LBB269_409:                            ;   in Loop: Header=BB269_13 Depth=1
	s_or_b32 exec_lo, exec_lo, s49
.LBB269_410:                            ;   in Loop: Header=BB269_13 Depth=1
	s_or_b32 exec_lo, exec_lo, s48
	v_lshrrev_b16 v3, 8, v3
	s_mov_b32 s48, exec_lo
	v_cmpx_ne_u16_e32 0, v3
	s_cbranch_execz .LBB269_418
; %bb.411:                              ;   in Loop: Header=BB269_13 Depth=1
	v_bfrev_b32_e32 v76, 1
	s_mov_b32 s49, exec_lo
	v_cmpx_ne_u16_e32 0x80, v3
	s_cbranch_execz .LBB269_417
; %bb.412:                              ;   in Loop: Header=BB269_13 Depth=1
	v_and_b32_sdwa v79, v3, v20 dst_sel:DWORD dst_unused:UNUSED_PAD src0_sel:WORD_0 src1_sel:DWORD
	v_mov_b32_e32 v76, 0x7c010000
	s_mov_b32 s50, exec_lo
	v_cmpx_ne_u32_e32 0x7f, v79
	s_cbranch_execz .LBB269_416
; %bb.413:                              ;   in Loop: Header=BB269_13 Depth=1
	v_and_b32_sdwa v76, v3, v21 dst_sel:DWORD dst_unused:UNUSED_PAD src0_sel:WORD_0 src1_sel:DWORD
	v_lshrrev_b32_e32 v78, 3, v79
	s_mov_b32 s51, exec_lo
	v_cmpx_gt_u32_e32 8, v79
; %bb.414:                              ;   in Loop: Header=BB269_13 Depth=1
	v_ffbh_u32_e32 v76, v76
	v_min_u32_e32 v76, 32, v76
	v_subrev_nc_u32_e32 v78, 28, v76
	v_lshlrev_b64 v[79:80], v78, v[3:4]
	v_sub_nc_u32_e32 v78, 29, v76
	v_and_b32_e32 v76, 7, v79
; %bb.415:                              ;   in Loop: Header=BB269_13 Depth=1
	s_or_b32 exec_lo, exec_lo, s51
	v_lshlrev_b32_sdwa v3, v22, v3 dst_sel:DWORD dst_unused:UNUSED_PAD src0_sel:DWORD src1_sel:WORD_0
	v_lshl_add_u32 v78, v78, 10, 0x2000
	v_lshlrev_b32_e32 v76, 23, v76
	v_and_or_b32 v3, 0x8000, v3, v78
	v_lshl_or_b32 v76, v3, 16, v76
.LBB269_416:                            ;   in Loop: Header=BB269_13 Depth=1
	s_or_b32 exec_lo, exec_lo, s50
.LBB269_417:                            ;   in Loop: Header=BB269_13 Depth=1
	s_or_b32 exec_lo, exec_lo, s49
.LBB269_418:                            ;   in Loop: Header=BB269_13 Depth=1
	s_or_b32 exec_lo, exec_lo, s48
	global_load_ushort v79, v[9:10], off offset:1544
	v_mov_b32_e32 v78, 0
	s_waitcnt vmcnt(0)
	v_and_b32_e32 v3, 0xffff, v79
	v_cmp_ne_u16_sdwa s2, v79, v4 src0_sel:BYTE_0 src1_sel:DWORD
	v_mov_b32_e32 v79, 0
	s_and_saveexec_b32 s48, s2
	s_cbranch_execz .LBB269_426
; %bb.419:                              ;   in Loop: Header=BB269_13 Depth=1
	v_cmp_ne_u16_sdwa s2, v3, v19 src0_sel:BYTE_0 src1_sel:DWORD
	v_mov_b32_e32 v79, 0x8000
	s_and_saveexec_b32 s49, s2
	s_cbranch_execz .LBB269_425
; %bb.420:                              ;   in Loop: Header=BB269_13 Depth=1
	v_and_b32_e32 v81, 0x7f, v3
	v_mov_b32_e32 v79, 0x7c01
	s_mov_b32 s50, exec_lo
	v_cmpx_ne_u32_e32 0x7f, v81
	s_cbranch_execz .LBB269_424
; %bb.421:                              ;   in Loop: Header=BB269_13 Depth=1
	v_and_b32_e32 v79, 7, v3
	v_lshrrev_b32_e32 v80, 3, v81
	s_mov_b32 s51, exec_lo
	v_cmpx_gt_u32_e32 8, v81
; %bb.422:                              ;   in Loop: Header=BB269_13 Depth=1
	v_ffbh_u32_e32 v79, v79
	v_min_u32_e32 v81, 32, v79
	v_subrev_nc_u32_e32 v79, 28, v81
	v_lshlrev_b64 v[79:80], v79, v[3:4]
	v_sub_nc_u32_e32 v80, 29, v81
	v_and_b32_e32 v79, 7, v79
; %bb.423:                              ;   in Loop: Header=BB269_13 Depth=1
	s_or_b32 exec_lo, exec_lo, s51
	v_lshlrev_b32_e32 v81, 8, v3
	v_lshl_add_u32 v80, v80, 10, 0x2000
	v_lshlrev_b32_e32 v79, 7, v79
	v_and_b32_e32 v81, 0x8000, v81
	v_and_b32_e32 v80, 0xfc00, v80
	v_or3_b32 v79, v81, v80, v79
.LBB269_424:                            ;   in Loop: Header=BB269_13 Depth=1
	s_or_b32 exec_lo, exec_lo, s50
.LBB269_425:                            ;   in Loop: Header=BB269_13 Depth=1
	s_or_b32 exec_lo, exec_lo, s49
.LBB269_426:                            ;   in Loop: Header=BB269_13 Depth=1
	s_or_b32 exec_lo, exec_lo, s48
	v_lshrrev_b16 v3, 8, v3
	s_mov_b32 s48, exec_lo
	v_cmpx_ne_u16_e32 0, v3
	s_cbranch_execz .LBB269_434
; %bb.427:                              ;   in Loop: Header=BB269_13 Depth=1
	v_bfrev_b32_e32 v78, 1
	s_mov_b32 s49, exec_lo
	v_cmpx_ne_u16_e32 0x80, v3
	s_cbranch_execz .LBB269_433
; %bb.428:                              ;   in Loop: Header=BB269_13 Depth=1
	v_and_b32_sdwa v81, v3, v20 dst_sel:DWORD dst_unused:UNUSED_PAD src0_sel:WORD_0 src1_sel:DWORD
	v_mov_b32_e32 v78, 0x7c010000
	s_mov_b32 s50, exec_lo
	v_cmpx_ne_u32_e32 0x7f, v81
	s_cbranch_execz .LBB269_432
; %bb.429:                              ;   in Loop: Header=BB269_13 Depth=1
	v_and_b32_sdwa v78, v3, v21 dst_sel:DWORD dst_unused:UNUSED_PAD src0_sel:WORD_0 src1_sel:DWORD
	v_lshrrev_b32_e32 v80, 3, v81
	s_mov_b32 s51, exec_lo
	v_cmpx_gt_u32_e32 8, v81
; %bb.430:                              ;   in Loop: Header=BB269_13 Depth=1
	v_ffbh_u32_e32 v78, v78
	v_min_u32_e32 v78, 32, v78
	v_subrev_nc_u32_e32 v80, 28, v78
	v_lshlrev_b64 v[81:82], v80, v[3:4]
	v_sub_nc_u32_e32 v80, 29, v78
	v_and_b32_e32 v78, 7, v81
; %bb.431:                              ;   in Loop: Header=BB269_13 Depth=1
	s_or_b32 exec_lo, exec_lo, s51
	v_lshlrev_b32_sdwa v3, v22, v3 dst_sel:DWORD dst_unused:UNUSED_PAD src0_sel:DWORD src1_sel:WORD_0
	v_lshl_add_u32 v80, v80, 10, 0x2000
	v_lshlrev_b32_e32 v78, 23, v78
	v_and_or_b32 v3, 0x8000, v3, v80
	v_lshl_or_b32 v78, v3, 16, v78
.LBB269_432:                            ;   in Loop: Header=BB269_13 Depth=1
	s_or_b32 exec_lo, exec_lo, s50
.LBB269_433:                            ;   in Loop: Header=BB269_13 Depth=1
	s_or_b32 exec_lo, exec_lo, s49
.LBB269_434:                            ;   in Loop: Header=BB269_13 Depth=1
	s_or_b32 exec_lo, exec_lo, s48
	global_load_ushort v81, v[9:10], off offset:1664
	v_mov_b32_e32 v80, 0
	s_waitcnt vmcnt(0)
	v_and_b32_e32 v3, 0xffff, v81
	v_cmp_ne_u16_sdwa s2, v81, v4 src0_sel:BYTE_0 src1_sel:DWORD
	v_mov_b32_e32 v81, 0
	s_and_saveexec_b32 s48, s2
	s_cbranch_execz .LBB269_442
; %bb.435:                              ;   in Loop: Header=BB269_13 Depth=1
	v_cmp_ne_u16_sdwa s2, v3, v19 src0_sel:BYTE_0 src1_sel:DWORD
	v_mov_b32_e32 v81, 0x8000
	s_and_saveexec_b32 s49, s2
	s_cbranch_execz .LBB269_441
; %bb.436:                              ;   in Loop: Header=BB269_13 Depth=1
	v_and_b32_e32 v83, 0x7f, v3
	v_mov_b32_e32 v81, 0x7c01
	s_mov_b32 s50, exec_lo
	v_cmpx_ne_u32_e32 0x7f, v83
	s_cbranch_execz .LBB269_440
; %bb.437:                              ;   in Loop: Header=BB269_13 Depth=1
	v_and_b32_e32 v81, 7, v3
	v_lshrrev_b32_e32 v82, 3, v83
	s_mov_b32 s51, exec_lo
	v_cmpx_gt_u32_e32 8, v83
; %bb.438:                              ;   in Loop: Header=BB269_13 Depth=1
	v_ffbh_u32_e32 v81, v81
	v_min_u32_e32 v83, 32, v81
	v_subrev_nc_u32_e32 v81, 28, v83
	v_lshlrev_b64 v[81:82], v81, v[3:4]
	v_sub_nc_u32_e32 v82, 29, v83
	v_and_b32_e32 v81, 7, v81
; %bb.439:                              ;   in Loop: Header=BB269_13 Depth=1
	s_or_b32 exec_lo, exec_lo, s51
	v_lshlrev_b32_e32 v83, 8, v3
	v_lshl_add_u32 v82, v82, 10, 0x2000
	v_lshlrev_b32_e32 v81, 7, v81
	v_and_b32_e32 v83, 0x8000, v83
	v_and_b32_e32 v82, 0xfc00, v82
	v_or3_b32 v81, v83, v82, v81
.LBB269_440:                            ;   in Loop: Header=BB269_13 Depth=1
	s_or_b32 exec_lo, exec_lo, s50
.LBB269_441:                            ;   in Loop: Header=BB269_13 Depth=1
	s_or_b32 exec_lo, exec_lo, s49
.LBB269_442:                            ;   in Loop: Header=BB269_13 Depth=1
	s_or_b32 exec_lo, exec_lo, s48
	v_lshrrev_b16 v3, 8, v3
	s_mov_b32 s48, exec_lo
	v_cmpx_ne_u16_e32 0, v3
	s_cbranch_execz .LBB269_450
; %bb.443:                              ;   in Loop: Header=BB269_13 Depth=1
	v_bfrev_b32_e32 v80, 1
	s_mov_b32 s49, exec_lo
	v_cmpx_ne_u16_e32 0x80, v3
	s_cbranch_execz .LBB269_449
; %bb.444:                              ;   in Loop: Header=BB269_13 Depth=1
	v_and_b32_sdwa v83, v3, v20 dst_sel:DWORD dst_unused:UNUSED_PAD src0_sel:WORD_0 src1_sel:DWORD
	v_mov_b32_e32 v80, 0x7c010000
	s_mov_b32 s50, exec_lo
	v_cmpx_ne_u32_e32 0x7f, v83
	s_cbranch_execz .LBB269_448
; %bb.445:                              ;   in Loop: Header=BB269_13 Depth=1
	v_and_b32_sdwa v80, v3, v21 dst_sel:DWORD dst_unused:UNUSED_PAD src0_sel:WORD_0 src1_sel:DWORD
	v_lshrrev_b32_e32 v82, 3, v83
	s_mov_b32 s51, exec_lo
	v_cmpx_gt_u32_e32 8, v83
; %bb.446:                              ;   in Loop: Header=BB269_13 Depth=1
	v_ffbh_u32_e32 v80, v80
	v_min_u32_e32 v80, 32, v80
	v_subrev_nc_u32_e32 v82, 28, v80
	v_lshlrev_b64 v[83:84], v82, v[3:4]
	v_sub_nc_u32_e32 v82, 29, v80
	v_and_b32_e32 v80, 7, v83
; %bb.447:                              ;   in Loop: Header=BB269_13 Depth=1
	s_or_b32 exec_lo, exec_lo, s51
	v_lshlrev_b32_sdwa v3, v22, v3 dst_sel:DWORD dst_unused:UNUSED_PAD src0_sel:DWORD src1_sel:WORD_0
	v_lshl_add_u32 v82, v82, 10, 0x2000
	v_lshlrev_b32_e32 v80, 23, v80
	v_and_or_b32 v3, 0x8000, v3, v82
	v_lshl_or_b32 v80, v3, 16, v80
.LBB269_448:                            ;   in Loop: Header=BB269_13 Depth=1
	s_or_b32 exec_lo, exec_lo, s50
.LBB269_449:                            ;   in Loop: Header=BB269_13 Depth=1
	s_or_b32 exec_lo, exec_lo, s49
.LBB269_450:                            ;   in Loop: Header=BB269_13 Depth=1
	s_or_b32 exec_lo, exec_lo, s48
	global_load_ushort v83, v[9:10], off offset:1672
	v_mov_b32_e32 v82, 0
	s_waitcnt vmcnt(0)
	v_and_b32_e32 v3, 0xffff, v83
	v_cmp_ne_u16_sdwa s2, v83, v4 src0_sel:BYTE_0 src1_sel:DWORD
	v_mov_b32_e32 v83, 0
	s_and_saveexec_b32 s48, s2
	s_cbranch_execz .LBB269_458
; %bb.451:                              ;   in Loop: Header=BB269_13 Depth=1
	v_cmp_ne_u16_sdwa s2, v3, v19 src0_sel:BYTE_0 src1_sel:DWORD
	v_mov_b32_e32 v83, 0x8000
	s_and_saveexec_b32 s49, s2
	s_cbranch_execz .LBB269_457
; %bb.452:                              ;   in Loop: Header=BB269_13 Depth=1
	v_and_b32_e32 v85, 0x7f, v3
	v_mov_b32_e32 v83, 0x7c01
	s_mov_b32 s50, exec_lo
	v_cmpx_ne_u32_e32 0x7f, v85
	s_cbranch_execz .LBB269_456
; %bb.453:                              ;   in Loop: Header=BB269_13 Depth=1
	v_and_b32_e32 v83, 7, v3
	v_lshrrev_b32_e32 v84, 3, v85
	s_mov_b32 s51, exec_lo
	v_cmpx_gt_u32_e32 8, v85
; %bb.454:                              ;   in Loop: Header=BB269_13 Depth=1
	v_ffbh_u32_e32 v83, v83
	v_min_u32_e32 v85, 32, v83
	v_subrev_nc_u32_e32 v83, 28, v85
	v_lshlrev_b64 v[83:84], v83, v[3:4]
	v_sub_nc_u32_e32 v84, 29, v85
	v_and_b32_e32 v83, 7, v83
; %bb.455:                              ;   in Loop: Header=BB269_13 Depth=1
	s_or_b32 exec_lo, exec_lo, s51
	v_lshlrev_b32_e32 v85, 8, v3
	v_lshl_add_u32 v84, v84, 10, 0x2000
	v_lshlrev_b32_e32 v83, 7, v83
	v_and_b32_e32 v85, 0x8000, v85
	v_and_b32_e32 v84, 0xfc00, v84
	v_or3_b32 v83, v85, v84, v83
.LBB269_456:                            ;   in Loop: Header=BB269_13 Depth=1
	s_or_b32 exec_lo, exec_lo, s50
.LBB269_457:                            ;   in Loop: Header=BB269_13 Depth=1
	s_or_b32 exec_lo, exec_lo, s49
.LBB269_458:                            ;   in Loop: Header=BB269_13 Depth=1
	s_or_b32 exec_lo, exec_lo, s48
	v_lshrrev_b16 v3, 8, v3
	s_mov_b32 s48, exec_lo
	v_cmpx_ne_u16_e32 0, v3
	s_cbranch_execz .LBB269_466
; %bb.459:                              ;   in Loop: Header=BB269_13 Depth=1
	v_bfrev_b32_e32 v82, 1
	s_mov_b32 s49, exec_lo
	v_cmpx_ne_u16_e32 0x80, v3
	s_cbranch_execz .LBB269_465
; %bb.460:                              ;   in Loop: Header=BB269_13 Depth=1
	v_and_b32_sdwa v85, v3, v20 dst_sel:DWORD dst_unused:UNUSED_PAD src0_sel:WORD_0 src1_sel:DWORD
	v_mov_b32_e32 v82, 0x7c010000
	s_mov_b32 s50, exec_lo
	v_cmpx_ne_u32_e32 0x7f, v85
	s_cbranch_execz .LBB269_464
; %bb.461:                              ;   in Loop: Header=BB269_13 Depth=1
	v_and_b32_sdwa v82, v3, v21 dst_sel:DWORD dst_unused:UNUSED_PAD src0_sel:WORD_0 src1_sel:DWORD
	v_lshrrev_b32_e32 v84, 3, v85
	s_mov_b32 s51, exec_lo
	v_cmpx_gt_u32_e32 8, v85
; %bb.462:                              ;   in Loop: Header=BB269_13 Depth=1
	v_ffbh_u32_e32 v82, v82
	v_min_u32_e32 v82, 32, v82
	v_subrev_nc_u32_e32 v84, 28, v82
	v_lshlrev_b64 v[85:86], v84, v[3:4]
	v_sub_nc_u32_e32 v84, 29, v82
	v_and_b32_e32 v82, 7, v85
; %bb.463:                              ;   in Loop: Header=BB269_13 Depth=1
	s_or_b32 exec_lo, exec_lo, s51
	v_lshlrev_b32_sdwa v3, v22, v3 dst_sel:DWORD dst_unused:UNUSED_PAD src0_sel:DWORD src1_sel:WORD_0
	v_lshl_add_u32 v84, v84, 10, 0x2000
	v_lshlrev_b32_e32 v82, 23, v82
	v_and_or_b32 v3, 0x8000, v3, v84
	v_lshl_or_b32 v82, v3, 16, v82
.LBB269_464:                            ;   in Loop: Header=BB269_13 Depth=1
	s_or_b32 exec_lo, exec_lo, s50
.LBB269_465:                            ;   in Loop: Header=BB269_13 Depth=1
	s_or_b32 exec_lo, exec_lo, s49
.LBB269_466:                            ;   in Loop: Header=BB269_13 Depth=1
	s_or_b32 exec_lo, exec_lo, s48
	global_load_ushort v85, v[9:10], off offset:1792
	v_mov_b32_e32 v84, 0
	s_waitcnt vmcnt(0)
	v_and_b32_e32 v3, 0xffff, v85
	v_cmp_ne_u16_sdwa s2, v85, v4 src0_sel:BYTE_0 src1_sel:DWORD
	v_mov_b32_e32 v85, 0
	s_and_saveexec_b32 s48, s2
	s_cbranch_execz .LBB269_474
; %bb.467:                              ;   in Loop: Header=BB269_13 Depth=1
	v_cmp_ne_u16_sdwa s2, v3, v19 src0_sel:BYTE_0 src1_sel:DWORD
	v_mov_b32_e32 v85, 0x8000
	s_and_saveexec_b32 s49, s2
	s_cbranch_execz .LBB269_473
; %bb.468:                              ;   in Loop: Header=BB269_13 Depth=1
	v_and_b32_e32 v87, 0x7f, v3
	v_mov_b32_e32 v85, 0x7c01
	s_mov_b32 s50, exec_lo
	v_cmpx_ne_u32_e32 0x7f, v87
	s_cbranch_execz .LBB269_472
; %bb.469:                              ;   in Loop: Header=BB269_13 Depth=1
	v_and_b32_e32 v85, 7, v3
	v_lshrrev_b32_e32 v86, 3, v87
	s_mov_b32 s51, exec_lo
	v_cmpx_gt_u32_e32 8, v87
; %bb.470:                              ;   in Loop: Header=BB269_13 Depth=1
	v_ffbh_u32_e32 v85, v85
	v_min_u32_e32 v87, 32, v85
	v_subrev_nc_u32_e32 v85, 28, v87
	v_lshlrev_b64 v[85:86], v85, v[3:4]
	v_sub_nc_u32_e32 v86, 29, v87
	v_and_b32_e32 v85, 7, v85
; %bb.471:                              ;   in Loop: Header=BB269_13 Depth=1
	s_or_b32 exec_lo, exec_lo, s51
	v_lshlrev_b32_e32 v87, 8, v3
	v_lshl_add_u32 v86, v86, 10, 0x2000
	v_lshlrev_b32_e32 v85, 7, v85
	v_and_b32_e32 v87, 0x8000, v87
	v_and_b32_e32 v86, 0xfc00, v86
	v_or3_b32 v85, v87, v86, v85
.LBB269_472:                            ;   in Loop: Header=BB269_13 Depth=1
	s_or_b32 exec_lo, exec_lo, s50
.LBB269_473:                            ;   in Loop: Header=BB269_13 Depth=1
	s_or_b32 exec_lo, exec_lo, s49
.LBB269_474:                            ;   in Loop: Header=BB269_13 Depth=1
	s_or_b32 exec_lo, exec_lo, s48
	v_lshrrev_b16 v3, 8, v3
	s_mov_b32 s48, exec_lo
	v_cmpx_ne_u16_e32 0, v3
	s_cbranch_execz .LBB269_482
; %bb.475:                              ;   in Loop: Header=BB269_13 Depth=1
	v_bfrev_b32_e32 v84, 1
	s_mov_b32 s49, exec_lo
	v_cmpx_ne_u16_e32 0x80, v3
	s_cbranch_execz .LBB269_481
; %bb.476:                              ;   in Loop: Header=BB269_13 Depth=1
	v_and_b32_sdwa v87, v3, v20 dst_sel:DWORD dst_unused:UNUSED_PAD src0_sel:WORD_0 src1_sel:DWORD
	v_mov_b32_e32 v84, 0x7c010000
	s_mov_b32 s50, exec_lo
	v_cmpx_ne_u32_e32 0x7f, v87
	s_cbranch_execz .LBB269_480
; %bb.477:                              ;   in Loop: Header=BB269_13 Depth=1
	v_and_b32_sdwa v84, v3, v21 dst_sel:DWORD dst_unused:UNUSED_PAD src0_sel:WORD_0 src1_sel:DWORD
	v_lshrrev_b32_e32 v86, 3, v87
	s_mov_b32 s51, exec_lo
	v_cmpx_gt_u32_e32 8, v87
; %bb.478:                              ;   in Loop: Header=BB269_13 Depth=1
	v_ffbh_u32_e32 v84, v84
	v_min_u32_e32 v84, 32, v84
	v_subrev_nc_u32_e32 v86, 28, v84
	v_lshlrev_b64 v[87:88], v86, v[3:4]
	v_sub_nc_u32_e32 v86, 29, v84
	v_and_b32_e32 v84, 7, v87
; %bb.479:                              ;   in Loop: Header=BB269_13 Depth=1
	s_or_b32 exec_lo, exec_lo, s51
	v_lshlrev_b32_sdwa v3, v22, v3 dst_sel:DWORD dst_unused:UNUSED_PAD src0_sel:DWORD src1_sel:WORD_0
	v_lshl_add_u32 v86, v86, 10, 0x2000
	v_lshlrev_b32_e32 v84, 23, v84
	v_and_or_b32 v3, 0x8000, v3, v86
	v_lshl_or_b32 v84, v3, 16, v84
.LBB269_480:                            ;   in Loop: Header=BB269_13 Depth=1
	s_or_b32 exec_lo, exec_lo, s50
.LBB269_481:                            ;   in Loop: Header=BB269_13 Depth=1
	s_or_b32 exec_lo, exec_lo, s49
.LBB269_482:                            ;   in Loop: Header=BB269_13 Depth=1
	s_or_b32 exec_lo, exec_lo, s48
	global_load_ushort v87, v[9:10], off offset:1800
	v_mov_b32_e32 v86, 0
	s_waitcnt vmcnt(0)
	v_and_b32_e32 v3, 0xffff, v87
	v_cmp_ne_u16_sdwa s2, v87, v4 src0_sel:BYTE_0 src1_sel:DWORD
	v_mov_b32_e32 v87, 0
	s_and_saveexec_b32 s48, s2
	s_cbranch_execz .LBB269_490
; %bb.483:                              ;   in Loop: Header=BB269_13 Depth=1
	v_cmp_ne_u16_sdwa s2, v3, v19 src0_sel:BYTE_0 src1_sel:DWORD
	v_mov_b32_e32 v87, 0x8000
	s_and_saveexec_b32 s49, s2
	s_cbranch_execz .LBB269_489
; %bb.484:                              ;   in Loop: Header=BB269_13 Depth=1
	v_and_b32_e32 v89, 0x7f, v3
	v_mov_b32_e32 v87, 0x7c01
	s_mov_b32 s50, exec_lo
	v_cmpx_ne_u32_e32 0x7f, v89
	s_cbranch_execz .LBB269_488
; %bb.485:                              ;   in Loop: Header=BB269_13 Depth=1
	v_and_b32_e32 v87, 7, v3
	v_lshrrev_b32_e32 v88, 3, v89
	s_mov_b32 s51, exec_lo
	v_cmpx_gt_u32_e32 8, v89
; %bb.486:                              ;   in Loop: Header=BB269_13 Depth=1
	v_ffbh_u32_e32 v87, v87
	v_min_u32_e32 v89, 32, v87
	v_subrev_nc_u32_e32 v87, 28, v89
	v_lshlrev_b64 v[87:88], v87, v[3:4]
	v_sub_nc_u32_e32 v88, 29, v89
	v_and_b32_e32 v87, 7, v87
; %bb.487:                              ;   in Loop: Header=BB269_13 Depth=1
	s_or_b32 exec_lo, exec_lo, s51
	v_lshlrev_b32_e32 v89, 8, v3
	v_lshl_add_u32 v88, v88, 10, 0x2000
	v_lshlrev_b32_e32 v87, 7, v87
	v_and_b32_e32 v89, 0x8000, v89
	v_and_b32_e32 v88, 0xfc00, v88
	v_or3_b32 v87, v89, v88, v87
.LBB269_488:                            ;   in Loop: Header=BB269_13 Depth=1
	s_or_b32 exec_lo, exec_lo, s50
.LBB269_489:                            ;   in Loop: Header=BB269_13 Depth=1
	s_or_b32 exec_lo, exec_lo, s49
.LBB269_490:                            ;   in Loop: Header=BB269_13 Depth=1
	s_or_b32 exec_lo, exec_lo, s48
	v_lshrrev_b16 v3, 8, v3
	s_mov_b32 s48, exec_lo
	v_cmpx_ne_u16_e32 0, v3
	s_cbranch_execz .LBB269_498
; %bb.491:                              ;   in Loop: Header=BB269_13 Depth=1
	v_bfrev_b32_e32 v86, 1
	s_mov_b32 s49, exec_lo
	v_cmpx_ne_u16_e32 0x80, v3
	s_cbranch_execz .LBB269_497
; %bb.492:                              ;   in Loop: Header=BB269_13 Depth=1
	v_and_b32_sdwa v89, v3, v20 dst_sel:DWORD dst_unused:UNUSED_PAD src0_sel:WORD_0 src1_sel:DWORD
	v_mov_b32_e32 v86, 0x7c010000
	s_mov_b32 s50, exec_lo
	v_cmpx_ne_u32_e32 0x7f, v89
	s_cbranch_execz .LBB269_496
; %bb.493:                              ;   in Loop: Header=BB269_13 Depth=1
	v_and_b32_sdwa v86, v3, v21 dst_sel:DWORD dst_unused:UNUSED_PAD src0_sel:WORD_0 src1_sel:DWORD
	v_lshrrev_b32_e32 v88, 3, v89
	s_mov_b32 s51, exec_lo
	v_cmpx_gt_u32_e32 8, v89
; %bb.494:                              ;   in Loop: Header=BB269_13 Depth=1
	v_ffbh_u32_e32 v86, v86
	v_min_u32_e32 v86, 32, v86
	v_subrev_nc_u32_e32 v88, 28, v86
	v_lshlrev_b64 v[89:90], v88, v[3:4]
	v_sub_nc_u32_e32 v88, 29, v86
	v_and_b32_e32 v86, 7, v89
; %bb.495:                              ;   in Loop: Header=BB269_13 Depth=1
	s_or_b32 exec_lo, exec_lo, s51
	v_lshlrev_b32_sdwa v3, v22, v3 dst_sel:DWORD dst_unused:UNUSED_PAD src0_sel:DWORD src1_sel:WORD_0
	v_lshl_add_u32 v88, v88, 10, 0x2000
	v_lshlrev_b32_e32 v86, 23, v86
	v_and_or_b32 v3, 0x8000, v3, v88
	v_lshl_or_b32 v86, v3, 16, v86
.LBB269_496:                            ;   in Loop: Header=BB269_13 Depth=1
	s_or_b32 exec_lo, exec_lo, s50
.LBB269_497:                            ;   in Loop: Header=BB269_13 Depth=1
	s_or_b32 exec_lo, exec_lo, s49
.LBB269_498:                            ;   in Loop: Header=BB269_13 Depth=1
	s_or_b32 exec_lo, exec_lo, s48
	global_load_ushort v89, v[9:10], off offset:1920
	v_mov_b32_e32 v88, 0
	s_waitcnt vmcnt(0)
	v_and_b32_e32 v3, 0xffff, v89
	v_cmp_ne_u16_sdwa s2, v89, v4 src0_sel:BYTE_0 src1_sel:DWORD
	v_mov_b32_e32 v89, 0
	s_and_saveexec_b32 s48, s2
	s_cbranch_execz .LBB269_506
; %bb.499:                              ;   in Loop: Header=BB269_13 Depth=1
	v_cmp_ne_u16_sdwa s2, v3, v19 src0_sel:BYTE_0 src1_sel:DWORD
	v_mov_b32_e32 v89, 0x8000
	s_and_saveexec_b32 s49, s2
	s_cbranch_execz .LBB269_505
; %bb.500:                              ;   in Loop: Header=BB269_13 Depth=1
	v_and_b32_e32 v91, 0x7f, v3
	v_mov_b32_e32 v89, 0x7c01
	s_mov_b32 s50, exec_lo
	v_cmpx_ne_u32_e32 0x7f, v91
	s_cbranch_execz .LBB269_504
; %bb.501:                              ;   in Loop: Header=BB269_13 Depth=1
	v_and_b32_e32 v89, 7, v3
	v_lshrrev_b32_e32 v90, 3, v91
	s_mov_b32 s51, exec_lo
	v_cmpx_gt_u32_e32 8, v91
; %bb.502:                              ;   in Loop: Header=BB269_13 Depth=1
	v_ffbh_u32_e32 v89, v89
	v_min_u32_e32 v91, 32, v89
	v_subrev_nc_u32_e32 v89, 28, v91
	v_lshlrev_b64 v[89:90], v89, v[3:4]
	v_sub_nc_u32_e32 v90, 29, v91
	v_and_b32_e32 v89, 7, v89
; %bb.503:                              ;   in Loop: Header=BB269_13 Depth=1
	s_or_b32 exec_lo, exec_lo, s51
	v_lshlrev_b32_e32 v91, 8, v3
	v_lshl_add_u32 v90, v90, 10, 0x2000
	v_lshlrev_b32_e32 v89, 7, v89
	v_and_b32_e32 v91, 0x8000, v91
	v_and_b32_e32 v90, 0xfc00, v90
	v_or3_b32 v89, v91, v90, v89
.LBB269_504:                            ;   in Loop: Header=BB269_13 Depth=1
	s_or_b32 exec_lo, exec_lo, s50
.LBB269_505:                            ;   in Loop: Header=BB269_13 Depth=1
	s_or_b32 exec_lo, exec_lo, s49
.LBB269_506:                            ;   in Loop: Header=BB269_13 Depth=1
	s_or_b32 exec_lo, exec_lo, s48
	v_lshrrev_b16 v3, 8, v3
	s_mov_b32 s48, exec_lo
	v_cmpx_ne_u16_e32 0, v3
	s_cbranch_execz .LBB269_514
; %bb.507:                              ;   in Loop: Header=BB269_13 Depth=1
	v_bfrev_b32_e32 v88, 1
	s_mov_b32 s49, exec_lo
	v_cmpx_ne_u16_e32 0x80, v3
	s_cbranch_execz .LBB269_513
; %bb.508:                              ;   in Loop: Header=BB269_13 Depth=1
	v_and_b32_sdwa v91, v3, v20 dst_sel:DWORD dst_unused:UNUSED_PAD src0_sel:WORD_0 src1_sel:DWORD
	v_mov_b32_e32 v88, 0x7c010000
	s_mov_b32 s50, exec_lo
	v_cmpx_ne_u32_e32 0x7f, v91
	s_cbranch_execz .LBB269_512
; %bb.509:                              ;   in Loop: Header=BB269_13 Depth=1
	v_and_b32_sdwa v88, v3, v21 dst_sel:DWORD dst_unused:UNUSED_PAD src0_sel:WORD_0 src1_sel:DWORD
	v_lshrrev_b32_e32 v90, 3, v91
	s_mov_b32 s51, exec_lo
	v_cmpx_gt_u32_e32 8, v91
; %bb.510:                              ;   in Loop: Header=BB269_13 Depth=1
	v_ffbh_u32_e32 v88, v88
	v_min_u32_e32 v88, 32, v88
	v_subrev_nc_u32_e32 v90, 28, v88
	v_lshlrev_b64 v[91:92], v90, v[3:4]
	v_sub_nc_u32_e32 v90, 29, v88
	v_and_b32_e32 v88, 7, v91
; %bb.511:                              ;   in Loop: Header=BB269_13 Depth=1
	s_or_b32 exec_lo, exec_lo, s51
	v_lshlrev_b32_sdwa v3, v22, v3 dst_sel:DWORD dst_unused:UNUSED_PAD src0_sel:DWORD src1_sel:WORD_0
	v_lshl_add_u32 v90, v90, 10, 0x2000
	v_lshlrev_b32_e32 v88, 23, v88
	v_and_or_b32 v3, 0x8000, v3, v90
	v_lshl_or_b32 v88, v3, 16, v88
.LBB269_512:                            ;   in Loop: Header=BB269_13 Depth=1
	s_or_b32 exec_lo, exec_lo, s50
.LBB269_513:                            ;   in Loop: Header=BB269_13 Depth=1
	s_or_b32 exec_lo, exec_lo, s49
.LBB269_514:                            ;   in Loop: Header=BB269_13 Depth=1
	s_or_b32 exec_lo, exec_lo, s48
	global_load_ushort v10, v[9:10], off offset:1928
	v_mov_b32_e32 v9, 0
	s_waitcnt vmcnt(0)
	v_and_b32_e32 v3, 0xffff, v10
	v_cmp_ne_u16_sdwa s2, v10, v4 src0_sel:BYTE_0 src1_sel:DWORD
	v_mov_b32_e32 v10, 0
	s_and_saveexec_b32 s48, s2
	s_cbranch_execz .LBB269_522
; %bb.515:                              ;   in Loop: Header=BB269_13 Depth=1
	v_cmp_ne_u16_sdwa s2, v3, v19 src0_sel:BYTE_0 src1_sel:DWORD
	v_mov_b32_e32 v10, 0x8000
	s_and_saveexec_b32 s49, s2
	s_cbranch_execz .LBB269_521
; %bb.516:                              ;   in Loop: Header=BB269_13 Depth=1
	v_and_b32_e32 v91, 0x7f, v3
	v_mov_b32_e32 v10, 0x7c01
	s_mov_b32 s50, exec_lo
	v_cmpx_ne_u32_e32 0x7f, v91
	s_cbranch_execz .LBB269_520
; %bb.517:                              ;   in Loop: Header=BB269_13 Depth=1
	v_and_b32_e32 v10, 7, v3
	v_lshrrev_b32_e32 v90, 3, v91
	s_mov_b32 s51, exec_lo
	v_cmpx_gt_u32_e32 8, v91
; %bb.518:                              ;   in Loop: Header=BB269_13 Depth=1
	v_ffbh_u32_e32 v10, v10
	v_min_u32_e32 v10, 32, v10
	v_subrev_nc_u32_e32 v90, 28, v10
	v_lshlrev_b64 v[91:92], v90, v[3:4]
	v_sub_nc_u32_e32 v90, 29, v10
	v_and_b32_e32 v10, 7, v91
; %bb.519:                              ;   in Loop: Header=BB269_13 Depth=1
	s_or_b32 exec_lo, exec_lo, s51
	v_lshlrev_b32_e32 v91, 8, v3
	v_lshl_add_u32 v90, v90, 10, 0x2000
	v_lshlrev_b32_e32 v10, 7, v10
	v_and_b32_e32 v91, 0x8000, v91
	v_and_b32_e32 v90, 0xfc00, v90
	v_or3_b32 v10, v91, v90, v10
.LBB269_520:                            ;   in Loop: Header=BB269_13 Depth=1
	s_or_b32 exec_lo, exec_lo, s50
.LBB269_521:                            ;   in Loop: Header=BB269_13 Depth=1
	s_or_b32 exec_lo, exec_lo, s49
.LBB269_522:                            ;   in Loop: Header=BB269_13 Depth=1
	s_or_b32 exec_lo, exec_lo, s48
	v_lshrrev_b16 v3, 8, v3
	s_mov_b32 s48, exec_lo
	v_cmpx_ne_u16_e32 0, v3
	s_cbranch_execz .LBB269_530
; %bb.523:                              ;   in Loop: Header=BB269_13 Depth=1
	v_bfrev_b32_e32 v9, 1
	s_mov_b32 s49, exec_lo
	v_cmpx_ne_u16_e32 0x80, v3
	s_cbranch_execz .LBB269_529
; %bb.524:                              ;   in Loop: Header=BB269_13 Depth=1
	v_and_b32_sdwa v91, v3, v20 dst_sel:DWORD dst_unused:UNUSED_PAD src0_sel:WORD_0 src1_sel:DWORD
	v_mov_b32_e32 v9, 0x7c010000
	s_mov_b32 s50, exec_lo
	v_cmpx_ne_u32_e32 0x7f, v91
	s_cbranch_execz .LBB269_528
; %bb.525:                              ;   in Loop: Header=BB269_13 Depth=1
	v_and_b32_sdwa v9, v3, v21 dst_sel:DWORD dst_unused:UNUSED_PAD src0_sel:WORD_0 src1_sel:DWORD
	v_lshrrev_b32_e32 v90, 3, v91
	s_mov_b32 s51, exec_lo
	v_cmpx_gt_u32_e32 8, v91
; %bb.526:                              ;   in Loop: Header=BB269_13 Depth=1
	v_ffbh_u32_e32 v9, v9
	v_min_u32_e32 v9, 32, v9
	v_subrev_nc_u32_e32 v90, 28, v9
	v_lshlrev_b64 v[91:92], v90, v[3:4]
	v_sub_nc_u32_e32 v90, 29, v9
	v_and_b32_e32 v9, 7, v91
; %bb.527:                              ;   in Loop: Header=BB269_13 Depth=1
	s_or_b32 exec_lo, exec_lo, s51
	v_lshlrev_b32_sdwa v3, v22, v3 dst_sel:DWORD dst_unused:UNUSED_PAD src0_sel:DWORD src1_sel:WORD_0
	v_lshl_add_u32 v90, v90, 10, 0x2000
	v_lshlrev_b32_e32 v9, 23, v9
	v_and_or_b32 v3, 0x8000, v3, v90
	v_lshl_or_b32 v9, v3, 16, v9
.LBB269_528:                            ;   in Loop: Header=BB269_13 Depth=1
	s_or_b32 exec_lo, exec_lo, s50
.LBB269_529:                            ;   in Loop: Header=BB269_13 Depth=1
	s_or_b32 exec_lo, exec_lo, s49
.LBB269_530:                            ;   in Loop: Header=BB269_13 Depth=1
	s_or_b32 exec_lo, exec_lo, s48
	ds_read_b32 v3, v16
	v_or_b32_e32 v29, v28, v29
	v_fma_mixlo_f16 v28, v27, v28, 0 op_sel:[0,1,0] op_sel_hi:[0,1,0]
	v_or_b32_e32 v49, v48, v49
	v_fma_mixlo_f16 v48, v27, v48, 0 op_sel:[0,1,0] op_sel_hi:[0,1,0]
	v_or_b32_e32 v51, v50, v51
	v_fma_mixlo_f16 v29, v27, v29, 0 op_sel_hi:[0,1,0]
	v_and_b32_e32 v28, 0xffff, v28
	v_fma_mixlo_f16 v49, v27, v49, 0 op_sel_hi:[0,1,0]
	v_and_b32_e32 v98, 0xffff, v48
	;; [unrolled: 2-line block ×3, first 2 shown]
	v_fma_mixlo_f16 v50, v27, v50, 0 op_sel:[0,1,0] op_sel_hi:[0,1,0]
	v_and_b32_e32 v96, 0xffff, v49
	v_or_b32_e32 v63, v62, v63
	v_and_b32_e32 v99, 0xffff, v51
	v_fma_mixlo_f16 v62, v27, v62, 0 op_sel:[0,1,0] op_sel_hi:[0,1,0]
	v_and_b32_e32 v50, 0xffff, v50
	v_or_b32_e32 v67, v66, v67
	v_fma_mixlo_f16 v63, v27, v63, 0 op_sel_hi:[0,1,0]
	s_waitcnt lgkmcnt(0)
	v_and_b32_e32 v90, 0xffff, v3
	v_lshrrev_b32_e32 v3, 16, v3
	;;#ASMSTART
	v_cvt_f32_f16 v117, v90;
	;;#ASMEND
	;;#ASMSTART
	v_cvt_f32_f16 v107, v3;
	;;#ASMEND
	;; [unrolled: 3-line block ×4, first 2 shown]
	ds_read_b32 v3, v16 offset:4
	v_or_b32_e32 v28, v30, v31
	v_fma_mixlo_f16 v29, v27, v30, 0 op_sel:[0,1,0] op_sel_hi:[0,1,0]
	v_fma_mixlo_f16 v31, v27, v40, 0 op_sel:[0,1,0] op_sel_hi:[0,1,0]
	v_fma_mixlo_f16 v67, v27, v67, 0 op_sel_hi:[0,1,0]
	v_fma_mixlo_f16 v66, v27, v66, 0 op_sel:[0,1,0] op_sel_hi:[0,1,0]
	v_fma_mixlo_f16 v28, v27, v28, 0 op_sel_hi:[0,1,0]
	v_and_b32_e32 v29, 0xffff, v29
	v_or_b32_e32 v69, v68, v69
	v_fma_mixlo_f16 v68, v27, v68, 0 op_sel:[0,1,0] op_sel_hi:[0,1,0]
	v_or_b32_e32 v71, v70, v71
	v_and_b32_e32 v28, 0xffff, v28
	v_fma_mixlo_f16 v70, v27, v70, 0 op_sel:[0,1,0] op_sel_hi:[0,1,0]
	v_fma_mixlo_f16 v69, v27, v69, 0 op_sel_hi:[0,1,0]
	v_or_b32_e32 v73, v72, v73
	v_fma_mixlo_f16 v71, v27, v71, 0 op_sel_hi:[0,1,0]
	v_fma_mixlo_f16 v72, v27, v72, 0 op_sel:[0,1,0] op_sel_hi:[0,1,0]
	v_or_b32_e32 v75, v74, v75
	v_fma_mixlo_f16 v74, v27, v74, 0 op_sel:[0,1,0] op_sel_hi:[0,1,0]
	v_fma_mixlo_f16 v73, v27, v73, 0 op_sel_hi:[0,1,0]
	s_waitcnt lgkmcnt(0)
	v_and_b32_e32 v30, 0xffff, v3
	v_lshrrev_b32_e32 v3, 16, v3
	;;#ASMSTART
	v_cvt_f32_f16 v121, v30;
	;;#ASMEND
	;;#ASMSTART
	v_cvt_f32_f16 v115, v3;
	;;#ASMEND
	;; [unrolled: 3-line block ×4, first 2 shown]
	ds_read_b32 v3, v16 offset:8
	v_or_b32_e32 v28, v32, v33
	v_fma_mixlo_f16 v29, v27, v32, 0 op_sel:[0,1,0] op_sel_hi:[0,1,0]
	v_fma_mixlo_f16 v75, v27, v75, 0 op_sel_hi:[0,1,0]
	v_or_b32_e32 v77, v76, v77
	v_fma_mixlo_f16 v76, v27, v76, 0 op_sel:[0,1,0] op_sel_hi:[0,1,0]
	v_fma_mixlo_f16 v28, v27, v28, 0 op_sel_hi:[0,1,0]
	v_and_b32_e32 v29, 0xffff, v29
	v_or_b32_e32 v79, v78, v79
	v_fma_mixlo_f16 v77, v27, v77, 0 op_sel_hi:[0,1,0]
	v_fma_mixlo_f16 v78, v27, v78, 0 op_sel:[0,1,0] op_sel_hi:[0,1,0]
	v_and_b32_e32 v28, 0xffff, v28
	v_or_b32_e32 v81, v80, v81
	v_fma_mixlo_f16 v79, v27, v79, 0 op_sel_hi:[0,1,0]
	v_fma_mixlo_f16 v80, v27, v80, 0 op_sel:[0,1,0] op_sel_hi:[0,1,0]
	v_or_b32_e32 v10, v9, v10
	v_fma_mixlo_f16 v9, v27, v9, 0 op_sel:[0,1,0] op_sel_hi:[0,1,0]
	v_fma_mixlo_f16 v81, v27, v81, 0 op_sel_hi:[0,1,0]
	v_and_b32_e32 v79, 0xffff, v79
	s_waitcnt lgkmcnt(0)
	v_and_b32_e32 v30, 0xffff, v3
	v_lshrrev_b32_e32 v3, 16, v3
	;;#ASMSTART
	v_cvt_f32_f16 v109, v30;
	;;#ASMEND
	;;#ASMSTART
	v_cvt_f32_f16 v103, v3;
	;;#ASMEND
	;; [unrolled: 3-line block ×4, first 2 shown]
	ds_read_b32 v3, v16 offset:12
	v_or_b32_e32 v28, v34, v35
	v_fma_mixlo_f16 v29, v27, v34, 0 op_sel:[0,1,0] op_sel_hi:[0,1,0]
	v_and_b32_e32 v35, 0xffff, v31
	v_and_b32_e32 v81, 0xffff, v81
	v_fma_mixlo_f16 v10, v27, v10, 0 op_sel_hi:[0,1,0]
	v_fma_mixlo_f16 v28, v27, v28, 0 op_sel_hi:[0,1,0]
	v_and_b32_e32 v29, 0xffff, v29
	v_and_b32_e32 v28, 0xffff, v28
	s_waitcnt lgkmcnt(0)
	v_and_b32_e32 v30, 0xffff, v3
	v_lshrrev_b32_e32 v3, 16, v3
	;;#ASMSTART
	v_cvt_f32_f16 v101, v30;
	;;#ASMEND
	;;#ASMSTART
	v_cvt_f32_f16 v95, v3;
	;;#ASMEND
	;; [unrolled: 3-line block ×4, first 2 shown]
	ds_read_b32 v3, v16 offset:16
	v_or_b32_e32 v28, v36, v37
	v_fma_mixlo_f16 v29, v27, v36, 0 op_sel:[0,1,0] op_sel_hi:[0,1,0]
	v_fma_mixlo_f16 v28, v27, v28, 0 op_sel_hi:[0,1,0]
	v_and_b32_e32 v29, 0xffff, v29
	v_and_b32_e32 v28, 0xffff, v28
	s_waitcnt lgkmcnt(0)
	v_and_b32_e32 v30, 0xffff, v3
	v_lshrrev_b32_e32 v3, 16, v3
	;;#ASMSTART
	v_cvt_f32_f16 v92, v30;
	;;#ASMEND
	;;#ASMSTART
	v_cvt_f32_f16 v90, v3;
	;;#ASMEND
	;; [unrolled: 3-line block ×4, first 2 shown]
	ds_read_b32 v3, v16 offset:20
	v_or_b32_e32 v28, v38, v39
	v_fma_mixlo_f16 v29, v27, v38, 0 op_sel:[0,1,0] op_sel_hi:[0,1,0]
	v_fma_mixlo_f16 v28, v27, v28, 0 op_sel_hi:[0,1,0]
	v_and_b32_e32 v29, 0xffff, v29
	v_and_b32_e32 v28, 0xffff, v28
	s_waitcnt lgkmcnt(0)
	v_and_b32_e32 v30, 0xffff, v3
	v_lshrrev_b32_e32 v3, 16, v3
	;;#ASMSTART
	v_cvt_f32_f16 v37, v30;
	;;#ASMEND
	;;#ASMSTART
	v_cvt_f32_f16 v3, v3;
	;;#ASMEND
	;; [unrolled: 3-line block ×4, first 2 shown]
	ds_read_b32 v29, v16 offset:24
	v_or_b32_e32 v30, v40, v41
	v_fma_mixlo_f16 v30, v27, v30, 0 op_sel_hi:[0,1,0]
	v_and_b32_e32 v34, 0xffff, v30
	s_waitcnt lgkmcnt(0)
	v_and_b32_e32 v32, 0xffff, v29
	v_lshrrev_b32_e32 v33, 16, v29
	;;#ASMSTART
	v_cvt_f32_f16 v29, v32;
	;;#ASMEND
	;;#ASMSTART
	v_cvt_f32_f16 v30, v33;
	;;#ASMEND
	;; [unrolled: 3-line block ×4, first 2 shown]
	ds_read_b32 v33, v16 offset:28
	v_or_b32_e32 v34, v42, v43
	v_fma_mixlo_f16 v35, v27, v42, 0 op_sel:[0,1,0] op_sel_hi:[0,1,0]
	v_fma_mixlo_f16 v34, v27, v34, 0 op_sel_hi:[0,1,0]
	v_and_b32_e32 v41, 0xffff, v35
	v_and_b32_e32 v40, 0xffff, v34
	s_waitcnt lgkmcnt(0)
	v_and_b32_e32 v36, 0xffff, v33
	v_lshrrev_b32_e32 v39, 16, v33
	;;#ASMSTART
	v_cvt_f32_f16 v33, v36;
	;;#ASMEND
	;;#ASMSTART
	v_cvt_f32_f16 v34, v39;
	;;#ASMEND
	;; [unrolled: 3-line block ×4, first 2 shown]
	ds_read_b32 v39, v16 offset:32
	v_or_b32_e32 v40, v44, v45
	v_fma_mixlo_f16 v41, v27, v44, 0 op_sel:[0,1,0] op_sel_hi:[0,1,0]
	v_fma_mixlo_f16 v45, v27, v46, 0 op_sel:[0,1,0] op_sel_hi:[0,1,0]
	v_fma_mixlo_f16 v40, v27, v40, 0 op_sel_hi:[0,1,0]
	v_and_b32_e32 v44, 0xffff, v41
	v_and_b32_e32 v94, 0xffff, v45
	;; [unrolled: 1-line block ×3, first 2 shown]
	s_waitcnt lgkmcnt(0)
	v_and_b32_e32 v42, 0xffff, v39
	v_lshrrev_b32_e32 v39, 16, v39
	;;#ASMSTART
	v_cvt_f32_f16 v40, v42;
	;;#ASMEND
	;;#ASMSTART
	v_cvt_f32_f16 v41, v39;
	;;#ASMEND
	;; [unrolled: 3-line block ×4, first 2 shown]
	ds_read_b32 v39, v16 offset:36
	v_or_b32_e32 v44, v46, v47
	v_fma_mixlo_f16 v44, v27, v44, 0 op_sel_hi:[0,1,0]
	v_and_b32_e32 v47, 0xffff, v44
	s_waitcnt lgkmcnt(0)
	v_and_b32_e32 v46, 0xffff, v39
	v_lshrrev_b32_e32 v39, 16, v39
	;;#ASMSTART
	v_cvt_f32_f16 v44, v46;
	;;#ASMEND
	;;#ASMSTART
	v_cvt_f32_f16 v45, v39;
	;;#ASMEND
	;;#ASMSTART
	v_cvt_f32_f16 v46, v47;
	;;#ASMEND
	;;#ASMSTART
	v_cvt_f32_f16 v47, v94;
	;;#ASMEND
	ds_read_b32 v39, v16 offset:40
	s_waitcnt lgkmcnt(0)
	v_and_b32_e32 v94, 0xffff, v39
	v_lshrrev_b32_e32 v39, 16, v39
	;;#ASMSTART
	v_cvt_f32_f16 v48, v94;
	;;#ASMEND
	;;#ASMSTART
	v_cvt_f32_f16 v49, v39;
	;;#ASMEND
	;;#ASMSTART
	v_cvt_f32_f16 v94, v96;
	;;#ASMEND
	;;#ASMSTART
	v_cvt_f32_f16 v96, v98;
	;;#ASMEND
	ds_read_b32 v39, v16 offset:44
	;; [unrolled: 16-line block ×3, first 2 shown]
	v_or_b32_e32 v50, v52, v53
	v_fma_mixlo_f16 v52, v27, v52, 0 op_sel:[0,1,0] op_sel_hi:[0,1,0]
	v_fma_mixlo_f16 v50, v27, v50, 0 op_sel_hi:[0,1,0]
	v_and_b32_e32 v106, 0xffff, v52
	v_and_b32_e32 v50, 0xffff, v50
	s_waitcnt lgkmcnt(0)
	v_and_b32_e32 v53, 0xffff, v39
	v_lshrrev_b32_e32 v39, 16, v39
	;;#ASMSTART
	v_cvt_f32_f16 v52, v53;
	;;#ASMEND
	;;#ASMSTART
	v_cvt_f32_f16 v53, v39;
	;;#ASMEND
	;;#ASMSTART
	v_cvt_f32_f16 v105, v50;
	;;#ASMEND
	;;#ASMSTART
	v_cvt_f32_f16 v106, v106;
	;;#ASMEND
	ds_read_b32 v39, v16 offset:52
	v_or_b32_e32 v50, v54, v55
	v_fma_mixlo_f16 v54, v27, v54, 0 op_sel:[0,1,0] op_sel_hi:[0,1,0]
	v_fma_mixlo_f16 v50, v27, v50, 0 op_sel_hi:[0,1,0]
	v_and_b32_e32 v111, 0xffff, v54
	v_and_b32_e32 v50, 0xffff, v50
	s_waitcnt lgkmcnt(0)
	v_and_b32_e32 v55, 0xffff, v39
	v_lshrrev_b32_e32 v39, 16, v39
	;;#ASMSTART
	v_cvt_f32_f16 v54, v55;
	;;#ASMEND
	;;#ASMSTART
	v_cvt_f32_f16 v55, v39;
	;;#ASMEND
	;;#ASMSTART
	v_cvt_f32_f16 v110, v50;
	;;#ASMEND
	;;#ASMSTART
	v_cvt_f32_f16 v111, v111;
	;;#ASMEND
	ds_read_b32 v39, v16 offset:56
	;; [unrolled: 21-line block ×4, first 2 shown]
	v_or_b32_e32 v50, v60, v61
	v_fma_mixlo_f16 v60, v27, v60, 0 op_sel:[0,1,0] op_sel_hi:[0,1,0]
	v_fma_mixlo_f16 v50, v27, v50, 0 op_sel_hi:[0,1,0]
	v_and_b32_e32 v124, 0xffff, v60
	v_and_b32_e32 v50, 0xffff, v50
	s_waitcnt lgkmcnt(0)
	v_and_b32_e32 v61, 0xffff, v39
	v_lshrrev_b32_e32 v123, 16, v39
	v_mul_f32_e32 v39, v121, v122
	;;#ASMSTART
	v_cvt_f32_f16 v60, v61;
	;;#ASMEND
	;;#ASMSTART
	v_cvt_f32_f16 v61, v123;
	;;#ASMEND
	;; [unrolled: 3-line block ×4, first 2 shown]
	ds_read_b32 v50, v16 offset:68
	v_fmac_f32_e32 v39, v117, v118
	v_and_b32_e32 v118, 0xffff, v63
	v_and_b32_e32 v123, 0xffff, v62
	v_fmac_f32_e32 v39, v109, v112
	v_fmac_f32_e32 v39, v101, v102
	;; [unrolled: 1-line block ×3, first 2 shown]
	s_waitcnt lgkmcnt(0)
	v_and_b32_e32 v117, 0xffff, v50
	v_lshrrev_b32_e32 v50, 16, v50
	;;#ASMSTART
	v_cvt_f32_f16 v62, v117;
	;;#ASMEND
	;;#ASMSTART
	v_cvt_f32_f16 v63, v50;
	;;#ASMEND
	;; [unrolled: 3-line block ×4, first 2 shown]
	ds_read_b32 v123, v16 offset:72
	v_or_b32_e32 v50, v64, v65
	v_fma_mixlo_f16 v64, v27, v64, 0 op_sel:[0,1,0] op_sel_hi:[0,1,0]
	v_fmac_f32_e32 v39, v37, v38
	v_fma_mixlo_f16 v65, v27, v50, 0 op_sel_hi:[0,1,0]
	v_mul_f32_e32 v50, v115, v116
	v_and_b32_e32 v124, 0xffff, v64
	v_fmac_f32_e32 v39, v29, v31
	v_or_b32_e32 v29, v82, v83
	v_fmac_f32_e32 v50, v107, v108
	v_fmac_f32_e32 v39, v33, v35
	v_fma_mixlo_f16 v29, v27, v29, 0 op_sel_hi:[0,1,0]
	v_fma_mixlo_f16 v35, v27, v84, 0 op_sel:[0,1,0] op_sel_hi:[0,1,0]
	v_fmac_f32_e32 v50, v103, v104
	v_fmac_f32_e32 v39, v40, v42
	s_waitcnt lgkmcnt(0)
	v_and_b32_e32 v115, 0xffff, v123
	v_lshrrev_b32_e32 v116, 16, v123
	v_and_b32_e32 v123, 0xffff, v65
	;;#ASMSTART
	v_cvt_f32_f16 v64, v115;
	;;#ASMEND
	;;#ASMSTART
	v_cvt_f32_f16 v65, v116;
	;;#ASMEND
	;; [unrolled: 3-line block ×4, first 2 shown]
	ds_read_b32 v115, v16 offset:76
	v_and_b32_e32 v123, 0xffff, v67
	v_and_b32_e32 v124, 0xffff, v66
	v_fmac_f32_e32 v50, v95, v97
	v_fmac_f32_e32 v39, v44, v46
	v_and_b32_e32 v33, 0xffff, v29
	v_fma_mixlo_f16 v42, v27, v86, 0 op_sel:[0,1,0] op_sel_hi:[0,1,0]
	v_fma_mixlo_f16 v46, v27, v88, 0 op_sel:[0,1,0] op_sel_hi:[0,1,0]
	v_fmac_f32_e32 v50, v90, v91
	v_fmac_f32_e32 v39, v48, v94
	v_and_b32_e32 v46, 0xffff, v46
	v_fmac_f32_e32 v50, v3, v28
	v_fmac_f32_e32 v39, v51, v99
	;; [unrolled: 1-line block ×4, first 2 shown]
	s_waitcnt lgkmcnt(0)
	v_and_b32_e32 v116, 0xffff, v115
	v_lshrrev_b32_e32 v115, 16, v115
	;;#ASMSTART
	v_cvt_f32_f16 v66, v116;
	;;#ASMEND
	;;#ASMSTART
	v_cvt_f32_f16 v67, v115;
	;;#ASMEND
	;; [unrolled: 3-line block ×4, first 2 shown]
	ds_read_b32 v115, v16 offset:80
	v_and_b32_e32 v123, 0xffff, v69
	v_and_b32_e32 v124, 0xffff, v68
	v_fmac_f32_e32 v50, v34, v36
	v_fma_mixlo_f16 v30, v27, v82, 0 op_sel:[0,1,0] op_sel_hi:[0,1,0]
	v_fmac_f32_e32 v39, v54, v110
	v_or_b32_e32 v34, v84, v85
	v_and_b32_e32 v36, 0xffff, v35
	v_fmac_f32_e32 v50, v41, v43
	v_and_b32_e32 v32, 0xffff, v30
	v_fmac_f32_e32 v39, v56, v113
	v_fma_mixlo_f16 v34, v27, v34, 0 op_sel_hi:[0,1,0]
	v_and_b32_e32 v43, 0xffff, v42
	v_fmac_f32_e32 v50, v45, v47
	v_fmac_f32_e32 v39, v58, v119
	v_and_b32_e32 v41, 0xffff, v34
	v_fmac_f32_e32 v50, v49, v96
	s_waitcnt lgkmcnt(0)
	v_and_b32_e32 v116, 0xffff, v115
	v_lshrrev_b32_e32 v115, 16, v115
	;;#ASMSTART
	v_cvt_f32_f16 v68, v116;
	;;#ASMEND
	;;#ASMSTART
	v_cvt_f32_f16 v69, v115;
	;;#ASMEND
	;;#ASMSTART
	v_cvt_f32_f16 v103, v123;
	;;#ASMEND
	;;#ASMSTART
	v_cvt_f32_f16 v104, v124;
	;;#ASMEND
	ds_read_b32 v115, v16 offset:84
	v_and_b32_e32 v123, 0xffff, v71
	v_and_b32_e32 v124, 0xffff, v70
	v_fmac_f32_e32 v50, v98, v100
	v_fmac_f32_e32 v39, v60, v121
	;; [unrolled: 1-line block ×8, first 2 shown]
	s_waitcnt lgkmcnt(0)
	v_and_b32_e32 v116, 0xffff, v115
	v_lshrrev_b32_e32 v115, 16, v115
	;;#ASMSTART
	v_cvt_f32_f16 v70, v116;
	;;#ASMEND
	;;#ASMSTART
	v_cvt_f32_f16 v71, v115;
	;;#ASMEND
	;; [unrolled: 3-line block ×4, first 2 shown]
	ds_read_b32 v115, v16 offset:88
	v_and_b32_e32 v123, 0xffff, v73
	v_and_b32_e32 v124, 0xffff, v72
	v_fmac_f32_e32 v50, v59, v120
	v_fmac_f32_e32 v39, v68, v103
	;; [unrolled: 1-line block ×6, first 2 shown]
	s_waitcnt lgkmcnt(0)
	v_and_b32_e32 v116, 0xffff, v115
	v_lshrrev_b32_e32 v115, 16, v115
	;;#ASMSTART
	v_cvt_f32_f16 v72, v116;
	;;#ASMEND
	;;#ASMSTART
	v_cvt_f32_f16 v73, v115;
	;;#ASMEND
	;; [unrolled: 3-line block ×4, first 2 shown]
	ds_read_b32 v115, v16 offset:92
	v_and_b32_e32 v123, 0xffff, v75
	v_and_b32_e32 v124, 0xffff, v74
	v_fmac_f32_e32 v50, v67, v112
	v_fmac_f32_e32 v39, v72, v95
	;; [unrolled: 1-line block ×5, first 2 shown]
	s_waitcnt lgkmcnt(0)
	v_and_b32_e32 v116, 0xffff, v115
	v_lshrrev_b32_e32 v115, 16, v115
	;;#ASMSTART
	v_cvt_f32_f16 v74, v116;
	;;#ASMEND
	;;#ASMSTART
	v_cvt_f32_f16 v75, v115;
	;;#ASMEND
	;; [unrolled: 3-line block ×4, first 2 shown]
	ds_read_b32 v115, v16 offset:96
	v_and_b32_e32 v123, 0xffff, v77
	v_and_b32_e32 v124, 0xffff, v76
	v_fmac_f32_e32 v39, v74, v92
	v_fmac_f32_e32 v50, v75, v93
	s_waitcnt lgkmcnt(0)
	v_and_b32_e32 v116, 0xffff, v115
	v_lshrrev_b32_e32 v115, 16, v115
	;;#ASMSTART
	v_cvt_f32_f16 v76, v116;
	;;#ASMEND
	;;#ASMSTART
	v_cvt_f32_f16 v77, v115;
	;;#ASMEND
	;;#ASMSTART
	v_cvt_f32_f16 v90, v123;
	;;#ASMEND
	;;#ASMSTART
	v_cvt_f32_f16 v91, v124;
	;;#ASMEND
	ds_read_b32 v115, v16 offset:100
	v_and_b32_e32 v123, 0xffff, v78
	v_fmac_f32_e32 v39, v76, v90
	v_fmac_f32_e32 v50, v77, v91
	s_waitcnt lgkmcnt(0)
	v_and_b32_e32 v116, 0xffff, v115
	v_lshrrev_b32_e32 v115, 16, v115
	;;#ASMSTART
	v_cvt_f32_f16 v37, v116;
	;;#ASMEND
	;;#ASMSTART
	v_cvt_f32_f16 v38, v115;
	;;#ASMEND
	;;#ASMSTART
	v_cvt_f32_f16 v78, v79;
	;;#ASMEND
	;;#ASMSTART
	v_cvt_f32_f16 v79, v123;
	;;#ASMEND
	ds_read_b32 v115, v16 offset:104
	;; [unrolled: 19-line block ×3, first 2 shown]
	v_fmac_f32_e32 v39, v3, v80
	v_fmac_f32_e32 v50, v28, v81
	v_xor_b32_e32 v3, 2, v11
	v_and_b32_e32 v28, 0xffff, v9
	v_cmp_gt_i32_e64 s2, 32, v3
	v_cndmask_b32_e64 v3, v11, v3, s2
	v_lshlrev_b32_e32 v3, 2, v3
	s_waitcnt lgkmcnt(0)
	v_and_b32_e32 v30, 0xffff, v115
	v_lshrrev_b32_e32 v31, 16, v115
	;;#ASMSTART
	v_cvt_f32_f16 v29, v30;
	;;#ASMEND
	;;#ASMSTART
	v_cvt_f32_f16 v30, v31;
	;;#ASMEND
	;; [unrolled: 3-line block ×4, first 2 shown]
	ds_read_b32 v33, v16 offset:112
	v_fmac_f32_e32 v39, v29, v31
	v_fmac_f32_e32 v50, v30, v32
	v_and_b32_e32 v29, 0xffff, v10
	s_waitcnt lgkmcnt(0)
	v_and_b32_e32 v35, 0xffff, v33
	v_lshrrev_b32_e32 v40, 16, v33
	;;#ASMSTART
	v_cvt_f32_f16 v33, v35;
	;;#ASMEND
	;;#ASMSTART
	v_cvt_f32_f16 v34, v40;
	;;#ASMEND
	;; [unrolled: 3-line block ×4, first 2 shown]
	ds_read_b32 v40, v16 offset:116
	v_or_b32_e32 v41, v86, v87
	v_fmac_f32_e32 v39, v33, v35
	v_fmac_f32_e32 v50, v34, v36
	v_fma_mixlo_f16 v41, v27, v41, 0 op_sel_hi:[0,1,0]
	v_and_b32_e32 v45, 0xffff, v41
	s_waitcnt lgkmcnt(0)
	v_and_b32_e32 v42, 0xffff, v40
	v_lshrrev_b32_e32 v44, 16, v40
	;;#ASMSTART
	v_cvt_f32_f16 v40, v42;
	;;#ASMEND
	;;#ASMSTART
	v_cvt_f32_f16 v41, v44;
	;;#ASMEND
	;; [unrolled: 3-line block ×4, first 2 shown]
	ds_read_b32 v44, v16 offset:120
	v_or_b32_e32 v45, v88, v89
	v_fmac_f32_e32 v39, v40, v42
	v_fmac_f32_e32 v50, v41, v43
	v_fma_mixlo_f16 v45, v27, v45, 0 op_sel_hi:[0,1,0]
	v_and_b32_e32 v45, 0xffff, v45
	s_waitcnt lgkmcnt(0)
	v_and_b32_e32 v47, 0xffff, v44
	v_lshrrev_b32_e32 v44, 16, v44
	;;#ASMSTART
	v_cvt_f32_f16 v37, v47;
	;;#ASMEND
	;;#ASMSTART
	v_cvt_f32_f16 v38, v44;
	;;#ASMEND
	;;#ASMSTART
	v_cvt_f32_f16 v44, v45;
	;;#ASMEND
	;;#ASMSTART
	v_cvt_f32_f16 v45, v46;
	;;#ASMEND
	ds_read_b32 v46, v16 offset:124
	v_fmac_f32_e32 v39, v37, v44
	v_fmac_f32_e32 v50, v38, v45
	s_waitcnt lgkmcnt(0)
	v_and_b32_e32 v9, 0xffff, v46
	v_lshrrev_b32_e32 v27, 16, v46
	;;#ASMSTART
	v_cvt_f32_f16 v9, v9;
	;;#ASMEND
	;;#ASMSTART
	v_cvt_f32_f16 v10, v27;
	;;#ASMEND
	;; [unrolled: 3-line block ×4, first 2 shown]
	v_fmac_f32_e32 v39, v9, v27
	v_fmac_f32_e32 v50, v10, v28
	v_xor_b32_e32 v10, 1, v11
	v_add_f32_e32 v9, v39, v50
	v_cmp_gt_i32_e64 s2, 32, v10
	ds_bpermute_b32 v3, v3, v9
	v_cndmask_b32_e64 v10, v11, v10, s2
	s_waitcnt lgkmcnt(0)
	v_add_f32_e32 v3, v9, v3
	v_lshlrev_b32_e32 v9, 2, v10
	ds_bpermute_b32 v9, v9, v3
	s_and_saveexec_b32 s48, vcc_lo
	s_cbranch_execz .LBB269_11
; %bb.531:                              ;   in Loop: Header=BB269_13 Depth=1
	v_add_nc_u32_e32 v10, v23, v17
	s_waitcnt lgkmcnt(0)
	v_add_f32_e32 v3, v3, v9
	v_cvt_f32_i32_e32 v10, v10
	v_mul_f32_e32 v10, s43, v10
	v_cndmask_b32_e64 v9, 0, v10, s1
	v_max_f32_e32 v10, v14, v14
	v_fmac_f32_e32 v9, s41, v3
	v_add_nc_u32_e32 v3, v15, v17
	v_max_f32_e32 v10, v10, v9
	v_cmp_gt_i32_e64 s2, s31, v3
	v_cndmask_b32_e64 v3, 0, v9, s2
	v_cndmask_b32_e64 v14, v14, v10, s2
	ds_write_b32 v24, v3
	s_branch .LBB269_11
.LBB269_532:
	s_or_b32 exec_lo, exec_lo, s46
.LBB269_533:
	s_or_b32 exec_lo, exec_lo, s45
	v_xor_b32_e32 v3, 16, v11
	v_xor_b32_e32 v5, 8, v11
	v_max_f32_e32 v7, v14, v14
	v_cmp_gt_i32_e32 vcc_lo, 32, v3
	v_cndmask_b32_e32 v3, v11, v3, vcc_lo
	v_cmp_gt_i32_e32 vcc_lo, 32, v5
	v_lshlrev_b32_e32 v4, 2, v3
	v_cndmask_b32_e32 v5, v11, v5, vcc_lo
	ds_bpermute_b32 v3, v4, v14
	v_lshlrev_b32_e32 v6, 2, v5
	v_and_b32_e32 v14, 31, v0
	s_waitcnt lgkmcnt(0)
	v_max_f32_e32 v3, v3, v3
	v_max_f32_e32 v3, v7, v3
	v_xor_b32_e32 v7, 4, v11
	ds_bpermute_b32 v5, v6, v3
	v_cmp_gt_i32_e32 vcc_lo, 32, v7
	v_cndmask_b32_e32 v7, v11, v7, vcc_lo
	v_cmp_eq_u32_e32 vcc_lo, 0, v14
	v_lshlrev_b32_e32 v9, 2, v7
	v_lshlrev_b32_e32 v7, 2, v12
	s_waitcnt lgkmcnt(0)
	v_max_f32_e32 v5, v5, v5
	v_max_f32_e32 v3, v3, v5
	ds_bpermute_b32 v5, v9, v3
	s_and_saveexec_b32 s1, vcc_lo
	s_cbranch_execz .LBB269_535
; %bb.534:
	s_waitcnt lgkmcnt(0)
	v_max_f32_e32 v5, v5, v5
	v_max_f32_e32 v3, v3, v3
	v_max_f32_e32 v3, v3, v5
	ds_write_b32 v7, v3 offset:512
.LBB269_535:
	s_or_b32 exec_lo, exec_lo, s1
	v_cmp_gt_u32_e64 s1, 4, v14
	v_mov_b32_e32 v3, 0xff7fffff
	v_lshlrev_b32_e32 v8, 2, v14
	s_waitcnt lgkmcnt(0)
	s_barrier
	buffer_gl0_inv
	s_and_saveexec_b32 s2, s1
; %bb.536:
	ds_read_b32 v3, v8 offset:512
; %bb.537:
	s_or_b32 exec_lo, exec_lo, s2
	v_xor_b32_e32 v5, 2, v11
	v_xor_b32_e32 v15, 1, v11
	v_cmp_gt_i32_e64 s2, 32, v5
	v_cndmask_b32_e64 v5, v11, v5, s2
	v_cmp_gt_i32_e64 s2, 32, v15
	v_lshlrev_b32_e32 v10, 2, v5
	v_cndmask_b32_e64 v11, v11, v15, s2
	v_mov_b32_e32 v15, 0
	s_sub_i32 s2, s20, s44
	s_lshl_b32 s2, s2, 3
	s_waitcnt lgkmcnt(0)
	ds_bpermute_b32 v5, v10, v3
	v_max_f32_e32 v3, v3, v3
	v_lshlrev_b32_e32 v11, 2, v11
	s_add_i32 s2, s2, s42
	s_min_i32 s2, s2, s31
	s_sub_i32 s4, s2, s42
	v_cmp_gt_i32_e64 s2, s4, v0
	s_waitcnt lgkmcnt(0)
	v_max_f32_e32 v5, v5, v5
	v_max_f32_e32 v3, v3, v5
	ds_bpermute_b32 v5, v11, v3
	s_waitcnt lgkmcnt(0)
	v_max_f32_e32 v5, v5, v5
	v_max_f32_e32 v3, v3, v5
	v_lshl_add_u32 v5, v0, 2, 0x220
	ds_bpermute_b32 v3, v15, v3
	s_and_saveexec_b32 s5, s2
	s_cbranch_execz .LBB269_541
; %bb.538:
	v_lshl_add_u32 v16, v0, 2, 0x220
	v_mov_b32_e32 v15, 0
	v_mov_b32_e32 v17, v0
	s_mov_b32 s12, 0
	.p2align	6
.LBB269_539:                            ; =>This Inner Loop Header: Depth=1
	ds_read_b32 v18, v16
	v_add_nc_u32_e32 v17, 0x80, v17
	v_cmp_le_i32_e64 s3, s4, v17
	s_or_b32 s12, s3, s12
	s_waitcnt lgkmcnt(0)
	v_sub_f32_e32 v18, v18, v3
	v_mul_f32_e32 v18, 0x3fb8aa3b, v18
	v_exp_f32_e32 v18, v18
	ds_write_b32 v16, v18
	v_add_f32_e32 v15, v15, v18
	v_add_nc_u32_e32 v16, 0x200, v16
	s_andn2_b32 exec_lo, exec_lo, s12
	s_cbranch_execnz .LBB269_539
; %bb.540:
	s_or_b32 exec_lo, exec_lo, s12
.LBB269_541:
	s_or_b32 exec_lo, exec_lo, s5
	ds_bpermute_b32 v4, v4, v15
	s_waitcnt lgkmcnt(0)
	v_add_f32_e32 v4, v15, v4
	ds_bpermute_b32 v6, v6, v4
	s_waitcnt lgkmcnt(0)
	v_add_f32_e32 v4, v4, v6
	;; [unrolled: 3-line block ×5, first 2 shown]
	s_and_saveexec_b32 s3, vcc_lo
; %bb.542:
	ds_write_b32 v7, v4 offset:528
; %bb.543:
	s_or_b32 exec_lo, exec_lo, s3
	s_waitcnt lgkmcnt(0)
	s_barrier
	buffer_gl0_inv
	s_and_saveexec_b32 s3, s1
; %bb.544:
	ds_read_b32 v4, v8 offset:528
; %bb.545:
	s_or_b32 exec_lo, exec_lo, s3
	s_waitcnt lgkmcnt(0)
	ds_bpermute_b32 v6, v10, v4
	s_waitcnt lgkmcnt(0)
	v_add_f32_e32 v4, v4, v6
	ds_bpermute_b32 v6, v11, v4
	s_waitcnt lgkmcnt(0)
	v_add_f32_e32 v4, v4, v6
	v_mov_b32_e32 v6, 0
	ds_bpermute_b32 v4, v6, v4
	s_and_saveexec_b32 s1, s2
	s_cbranch_execz .LBB269_548
; %bb.546:
	s_waitcnt lgkmcnt(0)
	v_add_f32_e32 v6, 0x358637bd, v4
	s_mov_b32 s2, 0
	v_div_scale_f32 v7, null, v6, v6, 1.0
	v_div_scale_f32 v10, vcc_lo, 1.0, v6, 1.0
	v_rcp_f32_e32 v8, v7
	v_fma_f32 v9, -v7, v8, 1.0
	v_fmac_f32_e32 v8, v9, v8
	v_mul_f32_e32 v9, v10, v8
	v_fma_f32 v11, -v7, v9, v10
	v_fmac_f32_e32 v9, v11, v8
	v_fma_f32 v7, -v7, v9, v10
	v_div_fmas_f32 v7, v7, v8, v9
	v_div_fixup_f32 v6, v7, v6, 1.0
	v_mov_b32_e32 v7, v0
.LBB269_547:                            ; =>This Inner Loop Header: Depth=1
	ds_read_b32 v8, v5
	v_add_nc_u32_e32 v7, 0x80, v7
	v_cmp_le_i32_e32 vcc_lo, s4, v7
	s_or_b32 s2, vcc_lo, s2
	s_waitcnt lgkmcnt(0)
	v_mul_f32_e32 v8, v6, v8
	ds_write_b32 v5, v8
	v_add_nc_u32_e32 v5, 0x200, v5
	s_andn2_b32 exec_lo, exec_lo, s2
	s_cbranch_execnz .LBB269_547
.LBB269_548:
	s_or_b32 exec_lo, exec_lo, s1
	s_mul_i32 s1, s7, s30
	s_waitcnt lgkmcnt(0)
	s_mul_i32 s2, s1, s9
	s_mov_b32 s1, exec_lo
	s_barrier
	buffer_gl0_inv
	v_cmpx_eq_u32_e32 0, v0
	s_cbranch_execz .LBB269_550
; %bb.549:
	s_ashr_i32 s3, s2, 31
	s_mul_i32 s12, s7, s6
	s_lshl_b64 s[4:5], s[2:3], 2
	v_mov_b32_e32 v5, 0
	s_add_u32 s3, s26, s4
	s_addc_u32 s6, s27, s5
	s_ashr_i32 s13, s12, 31
	s_lshl_b64 s[12:13], s[12:13], 2
	s_add_u32 s3, s3, s12
	s_addc_u32 s6, s6, s13
	s_ashr_i32 s9, s8, 31
	s_lshl_b64 s[26:27], s[8:9], 2
	s_add_u32 s42, s3, s26
	s_addc_u32 s43, s6, s27
	s_add_u32 s3, s24, s4
	s_addc_u32 s4, s25, s5
	;; [unrolled: 2-line block ×4, first 2 shown]
	global_store_dword v5, v3, s[42:43]
	global_store_dword v5, v4, s[4:5]
.LBB269_550:
	s_or_b32 exec_lo, exec_lo, s1
	v_mov_b32_e32 v22, 0
	v_mov_b32_e32 v21, 0
	;; [unrolled: 1-line block ×8, first 2 shown]
	s_and_saveexec_b32 s1, s0
	s_cbranch_execz .LBB269_1084
; %bb.551:
	s_sub_i32 s3, s40, s21
	s_ashr_i32 s0, s18, 31
	s_add_u32 s12, s38, s18
	s_addc_u32 s0, s39, s0
	s_abs_i32 s6, s22
	v_lshlrev_b64 v[6:7], 2, v[1:2]
	v_cvt_f32_u32_e32 v3, s6
	s_sub_i32 s4, 0, s6
	v_lshlrev_b32_e32 v5, 3, v14
	s_add_i32 s33, s33, -1
	v_lshl_add_u32 v23, v12, 5, 0x220
	v_rcp_iflag_f32_e32 v4, v3
	v_mov_b32_e32 v3, 0
	v_mov_b32_e32 v24, 0x80
	;; [unrolled: 1-line block ×9, first 2 shown]
	v_mul_f32_e32 v2, 0x4f7ffffe, v4
	v_mov_b32_e32 v19, 0
	v_mov_b32_e32 v20, 0
	;; [unrolled: 1-line block ×4, first 2 shown]
	v_cvt_u32_f32_e32 v2, v2
	s_mov_b32 s9, s17
	v_mul_lo_u32 v4, s4, v2
	s_lshl_b64 s[4:5], s[36:37], 2
	v_mul_hi_u32 v8, v2, v4
	v_add_co_u32 v4, s12, s12, v5
	v_add_co_ci_u32_e64 v5, null, s0, 0, s12
	s_add_u32 s0, s34, s4
	s_addc_u32 s4, s35, s5
	v_add_co_u32 v6, vcc_lo, s0, v6
	v_add_co_ci_u32_e64 v7, null, s4, v7, vcc_lo
	v_add_nc_u32_e32 v28, v2, v8
	s_mov_b32 s4, -1
	s_mov_b32 s5, 0xffffff
	s_mov_b32 s12, 0
	s_branch .LBB269_554
.LBB269_552:                            ;   in Loop: Header=BB269_554 Depth=1
	s_or_b32 exec_lo, exec_lo, s0
	v_add_f32_e32 v10, v10, v11
	v_add_f32_e32 v11, v50, v51
	v_add_f32_e32 v29, v48, v49
	v_add_f32_e32 v16, v16, v10
	v_add_f32_e32 v17, v17, v11
	;;#ASMSTART
	v_pk_mul_f16 v11, v41, v52;

	;;#ASMEND
	;;#ASMSTART
	v_pk_mul_f16 v9, v40, v9;

	;;#ASMEND
	;; [unrolled: 4-line block ×4, first 2 shown]
	;;#ASMSTART
	v_pk_add_f16 v9, v11, v9;

	;;#ASMEND
	;;#ASMSTART
	v_pk_add_f16 v8, v9, v8;

	;;#ASMEND
	;; [unrolled: 4-line block ×3, first 2 shown]
	v_and_b32_e32 v11, 0xffff, v2
	v_add_f32_e32 v18, v18, v29
	v_lshrrev_b32_e32 v29, 16, v2
	;;#ASMSTART
	v_cvt_f32_f16 v11, v11;
	;;#ASMEND
	v_add_f32_e32 v10, v46, v47
	v_add_f32_e32 v2, v44, v45
	;; [unrolled: 1-line block ×4, first 2 shown]
	;;#ASMSTART
	v_cvt_f32_f16 v29, v29;
	;;#ASMEND
	v_add_f32_e32 v11, v11, v29
	v_add_f32_e32 v19, v19, v10
	;; [unrolled: 1-line block ×6, first 2 shown]
.LBB269_553:                            ;   in Loop: Header=BB269_554 Depth=1
	s_or_b32 exec_lo, exec_lo, s13
	v_add_nc_u32_e32 v1, 4, v1
	v_add_co_u32 v6, s0, v6, 16
	v_add_co_ci_u32_e64 v7, null, 0, v7, s0
	v_cmp_le_i32_e32 vcc_lo, s20, v1
	v_add_nc_u32_e32 v13, 32, v13
	v_add_nc_u32_e32 v23, 0x80, v23
	s_or_b32 s12, vcc_lo, s12
	s_andn2_b32 exec_lo, exec_lo, s12
	s_cbranch_execz .LBB269_1083
.LBB269_554:                            ; =>This Inner Loop Header: Depth=1
	v_sub_nc_u32_e32 v2, 0, v13
	v_max_i32_e32 v2, v13, v2
	v_mul_hi_u32 v8, v2, s16
	v_mul_lo_u32 v9, v8, s11
	v_sub_nc_u32_e32 v2, v2, v9
	v_add_nc_u32_e32 v9, 1, v8
	v_subrev_nc_u32_e32 v10, s11, v2
	v_cmp_le_u32_e32 vcc_lo, s11, v2
	v_cndmask_b32_e32 v8, v8, v9, vcc_lo
	v_cndmask_b32_e32 v2, v2, v10, vcc_lo
	v_ashrrev_i32_e32 v9, 31, v13
	v_add_nc_u32_e32 v10, 1, v8
	v_cmp_le_u32_e32 vcc_lo, s11, v2
	v_xor_b32_e32 v9, s23, v9
	v_cndmask_b32_e32 v2, v8, v10, vcc_lo
	v_xor_b32_e32 v2, v2, v9
	v_sub_nc_u32_e32 v2, v2, v9
	v_add_nc_u32_e32 v8, s19, v2
	v_cmp_lt_i32_e64 s0, s3, v2
	v_sub_nc_u32_e32 v9, 0, v8
	v_max_i32_e32 v9, v8, v9
	v_ashrrev_i32_e32 v8, 31, v8
	v_mul_hi_u32 v10, v9, v28
	v_mul_lo_u32 v10, v10, s6
	v_sub_nc_u32_e32 v9, v9, v10
	v_subrev_nc_u32_e32 v10, s6, v9
	v_cmp_le_u32_e32 vcc_lo, s6, v9
	v_cndmask_b32_e32 v9, v9, v10, vcc_lo
	v_subrev_nc_u32_e32 v10, s6, v9
	v_cmp_le_u32_e32 vcc_lo, s6, v9
	v_cndmask_b32_e32 v9, v9, v10, vcc_lo
	v_xor_b32_e32 v9, v9, v8
	v_sub_nc_u32_e32 v8, v9, v8
	v_cmp_eq_u32_e32 vcc_lo, 0, v8
	s_or_b32 s0, vcc_lo, s0
	s_and_saveexec_b32 s13, s0
	s_cbranch_execz .LBB269_553
; %bb.555:                              ;   in Loop: Header=BB269_554 Depth=1
	global_load_dword v2, v[6:7], off
	ds_read2_b64 v[29:32], v23 offset1:1
	ds_read2_b64 v[41:44], v23 offset0:2 offset1:3
	s_waitcnt lgkmcnt(1)
	;;#ASMSTART
	v_cvt_f16_f32 v35, v29;

	;;#ASMEND
	;;#ASMSTART
	v_cvt_f16_f32 v37, v30;

	;;#ASMEND
	;; [unrolled: 4-line block ×4, first 2 shown]
	s_waitcnt lgkmcnt(0)
	;;#ASMSTART
	v_cvt_f16_f32 v41, v41;

	;;#ASMEND
	;;#ASMSTART
	v_cvt_f16_f32 v39, v42;

	;;#ASMEND
	;; [unrolled: 4-line block ×4, first 2 shown]
	v_mov_b32_e32 v30, 0
	v_mov_b32_e32 v31, 0
	global_load_dword v29, v30, s[14:15]
	s_waitcnt vmcnt(1)
	v_mad_i64_i32 v[8:9], null, v2, s9, v[4:5]
	global_load_dwordx2 v[10:11], v[8:9], off
	s_waitcnt vmcnt(0)
	v_cmp_ne_u16_sdwa s17, v10, v3 src0_sel:BYTE_0 src1_sel:DWORD
	s_and_saveexec_b32 s0, s17
	s_cbranch_execz .LBB269_563
; %bb.556:                              ;   in Loop: Header=BB269_554 Depth=1
	v_cmp_ne_u16_sdwa s18, v10, v24 src0_sel:BYTE_0 src1_sel:DWORD
	v_mov_b32_e32 v31, 0x8000
	s_and_saveexec_b32 s17, s18
	s_cbranch_execz .LBB269_562
; %bb.557:                              ;   in Loop: Header=BB269_554 Depth=1
	v_and_b32_e32 v32, 0x7f, v10
	v_mov_b32_e32 v31, 0x7c01
	s_mov_b32 s18, exec_lo
	v_cmpx_ne_u32_e32 0x7f, v32
	s_cbranch_execz .LBB269_561
; %bb.558:                              ;   in Loop: Header=BB269_554 Depth=1
	v_and_b32_e32 v2, 7, v10
	v_lshrrev_b32_e32 v31, 3, v32
	s_mov_b32 s21, exec_lo
	v_cmpx_gt_u32_e32 8, v32
; %bb.559:                              ;   in Loop: Header=BB269_554 Depth=1
	v_ffbh_u32_e32 v2, v2
	v_min_u32_e32 v2, 32, v2
	v_subrev_nc_u32_e32 v31, 28, v2
	v_lshlrev_b64 v[32:33], v31, v[10:11]
	v_sub_nc_u32_e32 v31, 29, v2
	v_and_b32_e32 v2, 7, v32
; %bb.560:                              ;   in Loop: Header=BB269_554 Depth=1
	s_or_b32 exec_lo, exec_lo, s21
	v_lshlrev_b32_e32 v32, 8, v10
	v_lshl_add_u32 v31, v31, 10, 0x2000
	v_lshlrev_b32_e32 v2, 7, v2
	v_and_b32_e32 v32, 0x8000, v32
	v_and_b32_e32 v31, 0xfc00, v31
	v_or3_b32 v31, v32, v31, v2
.LBB269_561:                            ;   in Loop: Header=BB269_554 Depth=1
	s_or_b32 exec_lo, exec_lo, s18
.LBB269_562:                            ;   in Loop: Header=BB269_554 Depth=1
	s_or_b32 exec_lo, exec_lo, s17
.LBB269_563:                            ;   in Loop: Header=BB269_554 Depth=1
	s_or_b32 exec_lo, exec_lo, s0
	v_lshrrev_b16 v2, 8, v10
	s_mov_b32 s0, exec_lo
	v_cmpx_ne_u16_e32 0, v2
	s_cbranch_execz .LBB269_571
; %bb.564:                              ;   in Loop: Header=BB269_554 Depth=1
	v_bfrev_b32_e32 v30, 1
	s_mov_b32 s17, exec_lo
	v_cmpx_ne_u16_e32 0x80, v2
	s_cbranch_execz .LBB269_570
; %bb.565:                              ;   in Loop: Header=BB269_554 Depth=1
	v_and_b32_sdwa v33, v2, v25 dst_sel:DWORD dst_unused:UNUSED_PAD src0_sel:WORD_0 src1_sel:DWORD
	v_mov_b32_e32 v30, 0x7c010000
	s_mov_b32 s18, exec_lo
	v_cmpx_ne_u32_e32 0x7f, v33
	s_cbranch_execz .LBB269_569
; %bb.566:                              ;   in Loop: Header=BB269_554 Depth=1
	v_and_b32_sdwa v30, v2, v26 dst_sel:DWORD dst_unused:UNUSED_PAD src0_sel:WORD_0 src1_sel:DWORD
	v_lshrrev_b32_e32 v32, 3, v33
	s_mov_b32 s21, exec_lo
	v_cmpx_gt_u32_e32 8, v33
; %bb.567:                              ;   in Loop: Header=BB269_554 Depth=1
	v_ffbh_u32_e32 v30, v30
	v_min_u32_e32 v30, 32, v30
	v_subrev_nc_u32_e32 v32, 28, v30
	v_lshlrev_b64 v[33:34], v32, v[2:3]
	v_sub_nc_u32_e32 v32, 29, v30
	v_and_b32_e32 v30, 7, v33
; %bb.568:                              ;   in Loop: Header=BB269_554 Depth=1
	s_or_b32 exec_lo, exec_lo, s21
	v_lshlrev_b32_sdwa v2, v27, v2 dst_sel:DWORD dst_unused:UNUSED_PAD src0_sel:DWORD src1_sel:WORD_0
	v_lshl_add_u32 v32, v32, 10, 0x2000
	v_lshlrev_b32_e32 v30, 23, v30
	v_and_or_b32 v2, 0x8000, v2, v32
	v_lshl_or_b32 v30, v2, 16, v30
.LBB269_569:                            ;   in Loop: Header=BB269_554 Depth=1
	s_or_b32 exec_lo, exec_lo, s18
.LBB269_570:                            ;   in Loop: Header=BB269_554 Depth=1
	s_or_b32 exec_lo, exec_lo, s17
.LBB269_571:                            ;   in Loop: Header=BB269_554 Depth=1
	s_or_b32 exec_lo, exec_lo, s0
	v_lshrrev_b32_e32 v2, 16, v10
	v_mov_b32_e32 v32, 0
	v_mov_b32_e32 v33, 0
	v_cmp_ne_u16_sdwa s17, v2, v3 src0_sel:BYTE_0 src1_sel:DWORD
	s_and_saveexec_b32 s0, s17
	s_cbranch_execz .LBB269_579
; %bb.572:                              ;   in Loop: Header=BB269_554 Depth=1
	v_cmp_ne_u16_sdwa s18, v2, v24 src0_sel:BYTE_0 src1_sel:DWORD
	v_mov_b32_e32 v33, 0x8000
	s_and_saveexec_b32 s17, s18
	s_cbranch_execz .LBB269_578
; %bb.573:                              ;   in Loop: Header=BB269_554 Depth=1
	v_bfe_u32 v36, v10, 16, 7
	v_mov_b32_e32 v33, 0x7c01
	s_mov_b32 s18, exec_lo
	v_cmpx_ne_u32_e32 0x7f, v36
	s_cbranch_execz .LBB269_577
; %bb.574:                              ;   in Loop: Header=BB269_554 Depth=1
	v_and_b32_e32 v33, 7, v2
	v_lshrrev_b32_e32 v34, 3, v36
	s_mov_b32 s21, exec_lo
	v_cmpx_gt_u32_e32 8, v36
; %bb.575:                              ;   in Loop: Header=BB269_554 Depth=1
	v_ffbh_u32_e32 v33, v33
	v_min_u32_e32 v36, 32, v33
	v_subrev_nc_u32_e32 v33, 28, v36
	v_lshlrev_b64 v[33:34], v33, v[2:3]
	v_sub_nc_u32_e32 v34, 29, v36
	v_and_b32_e32 v33, 7, v33
; %bb.576:                              ;   in Loop: Header=BB269_554 Depth=1
	s_or_b32 exec_lo, exec_lo, s21
	v_lshlrev_b32_e32 v2, 8, v2
	v_lshl_add_u32 v34, v34, 10, 0x2000
	v_lshlrev_b32_e32 v33, 7, v33
	v_and_b32_e32 v2, 0x8000, v2
	v_and_b32_e32 v34, 0xfc00, v34
	v_or3_b32 v33, v2, v34, v33
.LBB269_577:                            ;   in Loop: Header=BB269_554 Depth=1
	s_or_b32 exec_lo, exec_lo, s18
.LBB269_578:                            ;   in Loop: Header=BB269_554 Depth=1
	s_or_b32 exec_lo, exec_lo, s17
.LBB269_579:                            ;   in Loop: Header=BB269_554 Depth=1
	s_or_b32 exec_lo, exec_lo, s0
	s_mov_b32 s0, exec_lo
	v_cmpx_lt_u32_e32 0xffffff, v10
	s_cbranch_execz .LBB269_587
; %bb.580:                              ;   in Loop: Header=BB269_554 Depth=1
	v_lshrrev_b32_e32 v2, 24, v10
	v_bfrev_b32_e32 v32, 1
	s_mov_b32 s17, exec_lo
	v_cmpx_ne_u32_e32 0x80, v2
	s_cbranch_execz .LBB269_586
; %bb.581:                              ;   in Loop: Header=BB269_554 Depth=1
	v_and_b32_e32 v36, 0x7f, v2
	v_mov_b32_e32 v32, 0x7c010000
	s_mov_b32 s18, exec_lo
	v_cmpx_ne_u32_e32 0x7f, v36
	s_cbranch_execz .LBB269_585
; %bb.582:                              ;   in Loop: Header=BB269_554 Depth=1
	v_and_b32_e32 v32, 7, v2
	v_lshrrev_b32_e32 v34, 3, v36
	s_mov_b32 s21, exec_lo
	v_cmpx_gt_u32_e32 8, v36
; %bb.583:                              ;   in Loop: Header=BB269_554 Depth=1
	v_ffbh_u32_e32 v32, v32
	v_min_u32_e32 v32, 32, v32
	v_subrev_nc_u32_e32 v34, 28, v32
	v_lshlrev_b64 v[44:45], v34, v[2:3]
	v_sub_nc_u32_e32 v34, 29, v32
	v_and_b32_e32 v32, 7, v44
; %bb.584:                              ;   in Loop: Header=BB269_554 Depth=1
	s_or_b32 exec_lo, exec_lo, s21
	v_lshlrev_b32_e32 v2, 8, v2
	v_lshl_add_u32 v34, v34, 10, 0x2000
	v_lshlrev_b32_e32 v32, 23, v32
	v_and_or_b32 v2, 0x8000, v2, v34
	v_lshl_or_b32 v32, v2, 16, v32
.LBB269_585:                            ;   in Loop: Header=BB269_554 Depth=1
	s_or_b32 exec_lo, exec_lo, s18
.LBB269_586:                            ;   in Loop: Header=BB269_554 Depth=1
	s_or_b32 exec_lo, exec_lo, s17
.LBB269_587:                            ;   in Loop: Header=BB269_554 Depth=1
	s_or_b32 exec_lo, exec_lo, s0
	v_mov_b32_e32 v2, v11
	v_cmp_ne_u16_sdwa s17, v11, v3 src0_sel:BYTE_0 src1_sel:DWORD
	v_mov_b32_e32 v34, 0
	v_mov_b32_e32 v36, 0
	s_and_saveexec_b32 s0, s17
	s_cbranch_execz .LBB269_595
; %bb.588:                              ;   in Loop: Header=BB269_554 Depth=1
	v_cmp_ne_u16_sdwa s18, v11, v24 src0_sel:BYTE_0 src1_sel:DWORD
	v_mov_b32_e32 v36, 0x8000
	s_and_saveexec_b32 s17, s18
	s_cbranch_execz .LBB269_594
; %bb.589:                              ;   in Loop: Header=BB269_554 Depth=1
	v_and_b32_e32 v45, 0x7f, v11
	v_mov_b32_e32 v36, 0x7c01
	s_mov_b32 s18, exec_lo
	v_cmpx_ne_u32_e32 0x7f, v45
	s_cbranch_execz .LBB269_593
; %bb.590:                              ;   in Loop: Header=BB269_554 Depth=1
	v_and_b32_e32 v36, 7, v11
	v_lshrrev_b32_e32 v44, 3, v45
	s_mov_b32 s21, exec_lo
	v_cmpx_gt_u32_e32 8, v45
; %bb.591:                              ;   in Loop: Header=BB269_554 Depth=1
	v_ffbh_u32_e32 v36, v36
	v_min_u32_e32 v36, 32, v36
	v_subrev_nc_u32_e32 v44, 28, v36
	v_lshlrev_b64 v[45:46], v44, v[2:3]
	v_sub_nc_u32_e32 v44, 29, v36
	v_and_b32_e32 v36, 7, v45
; %bb.592:                              ;   in Loop: Header=BB269_554 Depth=1
	s_or_b32 exec_lo, exec_lo, s21
	v_lshlrev_b32_e32 v45, 8, v11
	v_lshl_add_u32 v44, v44, 10, 0x2000
	v_lshlrev_b32_e32 v36, 7, v36
	v_and_b32_e32 v45, 0x8000, v45
	v_and_b32_e32 v44, 0xfc00, v44
	v_or3_b32 v36, v45, v44, v36
.LBB269_593:                            ;   in Loop: Header=BB269_554 Depth=1
	s_or_b32 exec_lo, exec_lo, s18
.LBB269_594:                            ;   in Loop: Header=BB269_554 Depth=1
	s_or_b32 exec_lo, exec_lo, s17
.LBB269_595:                            ;   in Loop: Header=BB269_554 Depth=1
	s_or_b32 exec_lo, exec_lo, s0
	v_lshrrev_b16 v2, 8, v2
	v_mov_b32_e32 v44, 0
	s_mov_b32 s0, exec_lo
	v_cmpx_ne_u16_e32 0, v2
	s_cbranch_execz .LBB269_603
; %bb.596:                              ;   in Loop: Header=BB269_554 Depth=1
	v_bfrev_b32_e32 v44, 1
	s_mov_b32 s17, exec_lo
	v_cmpx_ne_u16_e32 0x80, v2
	s_cbranch_execz .LBB269_602
; %bb.597:                              ;   in Loop: Header=BB269_554 Depth=1
	v_and_b32_sdwa v46, v2, v25 dst_sel:DWORD dst_unused:UNUSED_PAD src0_sel:WORD_0 src1_sel:DWORD
	v_mov_b32_e32 v44, 0x7c010000
	s_mov_b32 s18, exec_lo
	v_cmpx_ne_u32_e32 0x7f, v46
	s_cbranch_execz .LBB269_601
; %bb.598:                              ;   in Loop: Header=BB269_554 Depth=1
	v_and_b32_sdwa v44, v2, v26 dst_sel:DWORD dst_unused:UNUSED_PAD src0_sel:WORD_0 src1_sel:DWORD
	v_lshrrev_b32_e32 v45, 3, v46
	s_mov_b32 s21, exec_lo
	v_cmpx_gt_u32_e32 8, v46
; %bb.599:                              ;   in Loop: Header=BB269_554 Depth=1
	v_ffbh_u32_e32 v44, v44
	v_min_u32_e32 v46, 32, v44
	v_subrev_nc_u32_e32 v44, 28, v46
	v_lshlrev_b64 v[44:45], v44, v[2:3]
	v_sub_nc_u32_e32 v45, 29, v46
	v_and_b32_e32 v44, 7, v44
; %bb.600:                              ;   in Loop: Header=BB269_554 Depth=1
	s_or_b32 exec_lo, exec_lo, s21
	v_lshlrev_b32_sdwa v2, v27, v2 dst_sel:DWORD dst_unused:UNUSED_PAD src0_sel:DWORD src1_sel:WORD_0
	v_lshl_add_u32 v45, v45, 10, 0x2000
	v_lshlrev_b32_e32 v44, 23, v44
	v_and_or_b32 v2, 0x8000, v2, v45
	v_lshl_or_b32 v44, v2, 16, v44
.LBB269_601:                            ;   in Loop: Header=BB269_554 Depth=1
	s_or_b32 exec_lo, exec_lo, s18
.LBB269_602:                            ;   in Loop: Header=BB269_554 Depth=1
	s_or_b32 exec_lo, exec_lo, s17
.LBB269_603:                            ;   in Loop: Header=BB269_554 Depth=1
	s_or_b32 exec_lo, exec_lo, s0
	v_lshrrev_b32_e32 v2, 16, v11
	v_cmp_ne_u16_sdwa s17, v2, v3 src0_sel:BYTE_0 src1_sel:DWORD
	s_and_saveexec_b32 s0, s17
	s_cbranch_execz .LBB269_611
; %bb.604:                              ;   in Loop: Header=BB269_554 Depth=1
	v_cmp_ne_u16_sdwa s18, v2, v24 src0_sel:BYTE_0 src1_sel:DWORD
	v_mov_b32_e32 v34, 0x8000
	s_and_saveexec_b32 s17, s18
	s_cbranch_execz .LBB269_610
; %bb.605:                              ;   in Loop: Header=BB269_554 Depth=1
	v_bfe_u32 v46, v11, 16, 7
	v_mov_b32_e32 v34, 0x7c01
	s_mov_b32 s18, exec_lo
	v_cmpx_ne_u32_e32 0x7f, v46
	s_cbranch_execz .LBB269_609
; %bb.606:                              ;   in Loop: Header=BB269_554 Depth=1
	v_and_b32_e32 v34, 7, v2
	v_lshrrev_b32_e32 v45, 3, v46
	s_mov_b32 s21, exec_lo
	v_cmpx_gt_u32_e32 8, v46
; %bb.607:                              ;   in Loop: Header=BB269_554 Depth=1
	v_ffbh_u32_e32 v34, v34
	v_min_u32_e32 v34, 32, v34
	v_subrev_nc_u32_e32 v45, 28, v34
	v_lshlrev_b64 v[46:47], v45, v[2:3]
	v_sub_nc_u32_e32 v45, 29, v34
	v_and_b32_e32 v34, 7, v46
; %bb.608:                              ;   in Loop: Header=BB269_554 Depth=1
	s_or_b32 exec_lo, exec_lo, s21
	v_lshlrev_b32_e32 v2, 8, v2
	v_lshl_add_u32 v45, v45, 10, 0x2000
	v_lshlrev_b32_e32 v34, 7, v34
	v_and_b32_e32 v2, 0x8000, v2
	v_and_b32_e32 v45, 0xfc00, v45
	v_or3_b32 v34, v2, v45, v34
.LBB269_609:                            ;   in Loop: Header=BB269_554 Depth=1
	s_or_b32 exec_lo, exec_lo, s18
.LBB269_610:                            ;   in Loop: Header=BB269_554 Depth=1
	s_or_b32 exec_lo, exec_lo, s17
.LBB269_611:                            ;   in Loop: Header=BB269_554 Depth=1
	s_or_b32 exec_lo, exec_lo, s0
	v_cmp_lt_u64_e32 vcc_lo, s[4:5], v[10:11]
	v_mov_b32_e32 v10, 0
	s_and_saveexec_b32 s0, vcc_lo
	s_cbranch_execz .LBB269_619
; %bb.612:                              ;   in Loop: Header=BB269_554 Depth=1
	v_lshrrev_b32_e32 v2, 24, v11
	v_bfrev_b32_e32 v10, 1
	s_mov_b32 s17, exec_lo
	v_cmpx_ne_u32_e32 0x80, v2
	s_cbranch_execz .LBB269_618
; %bb.613:                              ;   in Loop: Header=BB269_554 Depth=1
	v_and_b32_e32 v45, 0x7f, v2
	v_mov_b32_e32 v10, 0x7c010000
	s_mov_b32 s18, exec_lo
	v_cmpx_ne_u32_e32 0x7f, v45
	s_cbranch_execz .LBB269_617
; %bb.614:                              ;   in Loop: Header=BB269_554 Depth=1
	v_and_b32_e32 v10, 7, v2
	v_lshrrev_b32_e32 v11, 3, v45
	s_mov_b32 s21, exec_lo
	v_cmpx_gt_u32_e32 8, v45
; %bb.615:                              ;   in Loop: Header=BB269_554 Depth=1
	v_ffbh_u32_e32 v10, v10
	v_min_u32_e32 v45, 32, v10
	v_subrev_nc_u32_e32 v10, 28, v45
	v_lshlrev_b64 v[10:11], v10, v[2:3]
	v_sub_nc_u32_e32 v11, 29, v45
	v_and_b32_e32 v10, 7, v10
; %bb.616:                              ;   in Loop: Header=BB269_554 Depth=1
	s_or_b32 exec_lo, exec_lo, s21
	v_lshlrev_b32_e32 v2, 8, v2
	v_lshl_add_u32 v11, v11, 10, 0x2000
	v_lshlrev_b32_e32 v10, 23, v10
	v_and_or_b32 v2, 0x8000, v2, v11
	v_lshl_or_b32 v10, v2, 16, v10
.LBB269_617:                            ;   in Loop: Header=BB269_554 Depth=1
	s_or_b32 exec_lo, exec_lo, s18
.LBB269_618:                            ;   in Loop: Header=BB269_554 Depth=1
	s_or_b32 exec_lo, exec_lo, s17
.LBB269_619:                            ;   in Loop: Header=BB269_554 Depth=1
	s_or_b32 exec_lo, exec_lo, s0
	v_or_b32_e32 v2, v32, v33
	v_fma_mixlo_f16 v11, v29, v32, 0 op_sel:[0,1,0] op_sel_hi:[0,1,0]
	v_or_b32_e32 v31, v30, v31
	v_fma_mixlo_f16 v30, v29, v30, 0 op_sel:[0,1,0] op_sel_hi:[0,1,0]
	v_or_b32_e32 v32, v44, v36
	v_fma_mixlo_f16 v2, v29, v2, 0 op_sel_hi:[0,1,0]
	v_or_b32_e32 v33, v10, v34
	v_fma_mixlo_f16 v10, v29, v10, 0 op_sel:[0,1,0] op_sel_hi:[0,1,0]
	v_lshlrev_b32_e32 v50, 16, v30
	v_fma_mixlo_f16 v30, v29, v31, 0 op_sel_hi:[0,1,0]
	v_and_b32_e32 v47, 0xffff, v2
	v_fma_mixlo_f16 v2, v29, v44, 0 op_sel:[0,1,0] op_sel_hi:[0,1,0]
	v_fma_mixlo_f16 v31, v29, v32, 0 op_sel_hi:[0,1,0]
	v_fma_mixlo_f16 v29, v29, v33, 0 op_sel_hi:[0,1,0]
	v_lshlrev_b32_e32 v11, 16, v11
	v_and_b32_e32 v52, 0xffff, v30
	v_lshlrev_b32_e32 v48, 16, v2
	v_and_b32_e32 v51, 0xffff, v31
	;; [unrolled: 2-line block ×3, first 2 shown]
	v_cmp_eq_u32_e32 vcc_lo, s33, v1
	v_or_b32_e32 v2, v11, v47
	v_or_b32_e32 v10, v50, v52
	;; [unrolled: 1-line block ×4, first 2 shown]
	v_add_nc_u32_e32 v36, 1, v13
	v_add_nc_u32_e32 v34, 2, v13
	;; [unrolled: 1-line block ×7, first 2 shown]
	s_and_saveexec_b32 s17, vcc_lo
	s_cbranch_execz .LBB269_621
; %bb.620:                              ;   in Loop: Header=BB269_554 Depth=1
	v_cmp_gt_i32_e64 s0, s31, v13
	v_cndmask_b32_e64 v2, 0, v52, s0
	v_cmp_gt_i32_e64 s0, s31, v36
	v_cndmask_b32_e64 v10, 0, v50, s0
	v_cmp_gt_i32_e64 s0, s31, v34
	v_or_b32_e32 v10, v10, v2
	v_cndmask_b32_e64 v44, 0, v47, s0
	v_cmp_gt_i32_e64 s0, s31, v33
	v_cndmask_b32_e64 v11, 0, v11, s0
	v_cmp_gt_i32_e64 s0, s31, v32
	v_or_b32_e32 v2, v11, v44
	;; [unrolled: 5-line block ×3, first 2 shown]
	v_cndmask_b32_e64 v48, 0, v49, s0
	v_cmp_gt_i32_e64 s0, s31, v29
	v_cndmask_b32_e64 v45, 0, v45, s0
	v_or_b32_e32 v46, v45, v48
.LBB269_621:                            ;   in Loop: Header=BB269_554 Depth=1
	s_or_b32 exec_lo, exec_lo, s17
	v_and_b32_e32 v11, 0xffff, v35
	v_and_b32_e32 v35, 0xffff, v40
	;; [unrolled: 1-line block ×4, first 2 shown]
	v_lshl_or_b32 v41, v37, 16, v11
	v_lshl_or_b32 v40, v38, 16, v35
	;;#ASMSTART
	v_pk_mul_f16 v10, v41, v10;

	;;#ASMEND
	;;#ASMSTART
	v_pk_mul_f16 v2, v40, v2;

	;;#ASMEND
	v_lshl_or_b32 v39, v39, 16, v45
	v_lshl_or_b32 v38, v42, 16, v43
	;;#ASMSTART
	v_pk_mul_f16 v11, v39, v44;

	;;#ASMEND
	;;#ASMSTART
	v_pk_mul_f16 v35, v38, v46;

	;;#ASMEND
	;;#ASMSTART
	v_pk_add_f16 v2, v10, v2;

	;;#ASMEND
	;;#ASMSTART
	v_pk_add_f16 v2, v2, v11;
	;; [unrolled: 4-line block ×3, first 2 shown]

	;;#ASMEND
	v_and_b32_e32 v10, 0xffff, v2
	v_lshrrev_b32_e32 v2, 16, v2
	;;#ASMSTART
	v_cvt_f32_f16 v35, v10;
	;;#ASMEND
	;;#ASMSTART
	v_cvt_f32_f16 v37, v2;
	;;#ASMEND
	global_load_dwordx2 v[10:11], v[8:9], off offset:256
	v_mov_b32_e32 v43, 0
	v_mov_b32_e32 v44, 0
	global_load_dword v42, v43, s[14:15]
	s_waitcnt vmcnt(1)
	v_cmp_ne_u16_sdwa s0, v10, v3 src0_sel:BYTE_0 src1_sel:DWORD
	s_and_saveexec_b32 s17, s0
	s_cbranch_execz .LBB269_629
; %bb.622:                              ;   in Loop: Header=BB269_554 Depth=1
	v_cmp_ne_u16_sdwa s0, v10, v24 src0_sel:BYTE_0 src1_sel:DWORD
	v_mov_b32_e32 v44, 0x8000
	s_and_saveexec_b32 s18, s0
	s_cbranch_execz .LBB269_628
; %bb.623:                              ;   in Loop: Header=BB269_554 Depth=1
	v_and_b32_e32 v45, 0x7f, v10
	v_mov_b32_e32 v44, 0x7c01
	s_mov_b32 s21, exec_lo
	v_cmpx_ne_u32_e32 0x7f, v45
	s_cbranch_execz .LBB269_627
; %bb.624:                              ;   in Loop: Header=BB269_554 Depth=1
	v_and_b32_e32 v2, 7, v10
	v_lshrrev_b32_e32 v44, 3, v45
	s_mov_b32 s22, exec_lo
	v_cmpx_gt_u32_e32 8, v45
; %bb.625:                              ;   in Loop: Header=BB269_554 Depth=1
	v_ffbh_u32_e32 v2, v2
	v_min_u32_e32 v2, 32, v2
	v_subrev_nc_u32_e32 v44, 28, v2
	v_lshlrev_b64 v[45:46], v44, v[10:11]
	v_sub_nc_u32_e32 v44, 29, v2
	v_and_b32_e32 v2, 7, v45
; %bb.626:                              ;   in Loop: Header=BB269_554 Depth=1
	s_or_b32 exec_lo, exec_lo, s22
	v_lshlrev_b32_e32 v45, 8, v10
	v_lshl_add_u32 v44, v44, 10, 0x2000
	v_lshlrev_b32_e32 v2, 7, v2
	v_and_b32_e32 v45, 0x8000, v45
	v_and_b32_e32 v44, 0xfc00, v44
	v_or3_b32 v44, v45, v44, v2
.LBB269_627:                            ;   in Loop: Header=BB269_554 Depth=1
	s_or_b32 exec_lo, exec_lo, s21
.LBB269_628:                            ;   in Loop: Header=BB269_554 Depth=1
	s_or_b32 exec_lo, exec_lo, s18
.LBB269_629:                            ;   in Loop: Header=BB269_554 Depth=1
	s_or_b32 exec_lo, exec_lo, s17
	v_lshrrev_b16 v2, 8, v10
	s_mov_b32 s17, exec_lo
	v_cmpx_ne_u16_e32 0, v2
	s_cbranch_execz .LBB269_637
; %bb.630:                              ;   in Loop: Header=BB269_554 Depth=1
	v_bfrev_b32_e32 v43, 1
	s_mov_b32 s18, exec_lo
	v_cmpx_ne_u16_e32 0x80, v2
	s_cbranch_execz .LBB269_636
; %bb.631:                              ;   in Loop: Header=BB269_554 Depth=1
	v_and_b32_sdwa v46, v2, v25 dst_sel:DWORD dst_unused:UNUSED_PAD src0_sel:WORD_0 src1_sel:DWORD
	v_mov_b32_e32 v43, 0x7c010000
	s_mov_b32 s21, exec_lo
	v_cmpx_ne_u32_e32 0x7f, v46
	s_cbranch_execz .LBB269_635
; %bb.632:                              ;   in Loop: Header=BB269_554 Depth=1
	v_and_b32_sdwa v43, v2, v26 dst_sel:DWORD dst_unused:UNUSED_PAD src0_sel:WORD_0 src1_sel:DWORD
	v_lshrrev_b32_e32 v45, 3, v46
	s_mov_b32 s22, exec_lo
	v_cmpx_gt_u32_e32 8, v46
; %bb.633:                              ;   in Loop: Header=BB269_554 Depth=1
	v_ffbh_u32_e32 v43, v43
	v_min_u32_e32 v43, 32, v43
	v_subrev_nc_u32_e32 v45, 28, v43
	v_lshlrev_b64 v[46:47], v45, v[2:3]
	v_sub_nc_u32_e32 v45, 29, v43
	v_and_b32_e32 v43, 7, v46
; %bb.634:                              ;   in Loop: Header=BB269_554 Depth=1
	s_or_b32 exec_lo, exec_lo, s22
	v_lshlrev_b32_sdwa v2, v27, v2 dst_sel:DWORD dst_unused:UNUSED_PAD src0_sel:DWORD src1_sel:WORD_0
	v_lshl_add_u32 v45, v45, 10, 0x2000
	v_lshlrev_b32_e32 v43, 23, v43
	v_and_or_b32 v2, 0x8000, v2, v45
	v_lshl_or_b32 v43, v2, 16, v43
.LBB269_635:                            ;   in Loop: Header=BB269_554 Depth=1
	s_or_b32 exec_lo, exec_lo, s21
.LBB269_636:                            ;   in Loop: Header=BB269_554 Depth=1
	s_or_b32 exec_lo, exec_lo, s18
.LBB269_637:                            ;   in Loop: Header=BB269_554 Depth=1
	s_or_b32 exec_lo, exec_lo, s17
	v_lshrrev_b32_e32 v2, 16, v10
	v_mov_b32_e32 v45, 0
	v_mov_b32_e32 v46, 0
	v_cmp_ne_u16_sdwa s0, v2, v3 src0_sel:BYTE_0 src1_sel:DWORD
	s_and_saveexec_b32 s17, s0
	s_cbranch_execz .LBB269_645
; %bb.638:                              ;   in Loop: Header=BB269_554 Depth=1
	v_cmp_ne_u16_sdwa s0, v2, v24 src0_sel:BYTE_0 src1_sel:DWORD
	v_mov_b32_e32 v46, 0x8000
	s_and_saveexec_b32 s18, s0
	s_cbranch_execz .LBB269_644
; %bb.639:                              ;   in Loop: Header=BB269_554 Depth=1
	v_bfe_u32 v48, v10, 16, 7
	v_mov_b32_e32 v46, 0x7c01
	s_mov_b32 s21, exec_lo
	v_cmpx_ne_u32_e32 0x7f, v48
	s_cbranch_execz .LBB269_643
; %bb.640:                              ;   in Loop: Header=BB269_554 Depth=1
	v_and_b32_e32 v46, 7, v2
	v_lshrrev_b32_e32 v47, 3, v48
	s_mov_b32 s22, exec_lo
	v_cmpx_gt_u32_e32 8, v48
; %bb.641:                              ;   in Loop: Header=BB269_554 Depth=1
	v_ffbh_u32_e32 v46, v46
	v_min_u32_e32 v48, 32, v46
	v_subrev_nc_u32_e32 v46, 28, v48
	v_lshlrev_b64 v[46:47], v46, v[2:3]
	v_sub_nc_u32_e32 v47, 29, v48
	v_and_b32_e32 v46, 7, v46
; %bb.642:                              ;   in Loop: Header=BB269_554 Depth=1
	s_or_b32 exec_lo, exec_lo, s22
	v_lshlrev_b32_e32 v2, 8, v2
	v_lshl_add_u32 v47, v47, 10, 0x2000
	v_lshlrev_b32_e32 v46, 7, v46
	v_and_b32_e32 v2, 0x8000, v2
	v_and_b32_e32 v47, 0xfc00, v47
	v_or3_b32 v46, v2, v47, v46
.LBB269_643:                            ;   in Loop: Header=BB269_554 Depth=1
	s_or_b32 exec_lo, exec_lo, s21
.LBB269_644:                            ;   in Loop: Header=BB269_554 Depth=1
	s_or_b32 exec_lo, exec_lo, s18
.LBB269_645:                            ;   in Loop: Header=BB269_554 Depth=1
	s_or_b32 exec_lo, exec_lo, s17
	s_mov_b32 s17, exec_lo
	v_cmpx_lt_u32_e32 0xffffff, v10
	s_cbranch_execz .LBB269_653
; %bb.646:                              ;   in Loop: Header=BB269_554 Depth=1
	v_lshrrev_b32_e32 v2, 24, v10
	v_bfrev_b32_e32 v45, 1
	s_mov_b32 s18, exec_lo
	v_cmpx_ne_u32_e32 0x80, v2
	s_cbranch_execz .LBB269_652
; %bb.647:                              ;   in Loop: Header=BB269_554 Depth=1
	v_and_b32_e32 v48, 0x7f, v2
	v_mov_b32_e32 v45, 0x7c010000
	s_mov_b32 s21, exec_lo
	v_cmpx_ne_u32_e32 0x7f, v48
	s_cbranch_execz .LBB269_651
; %bb.648:                              ;   in Loop: Header=BB269_554 Depth=1
	v_and_b32_e32 v45, 7, v2
	v_lshrrev_b32_e32 v47, 3, v48
	s_mov_b32 s22, exec_lo
	v_cmpx_gt_u32_e32 8, v48
; %bb.649:                              ;   in Loop: Header=BB269_554 Depth=1
	v_ffbh_u32_e32 v45, v45
	v_min_u32_e32 v45, 32, v45
	v_subrev_nc_u32_e32 v47, 28, v45
	v_lshlrev_b64 v[48:49], v47, v[2:3]
	v_sub_nc_u32_e32 v47, 29, v45
	v_and_b32_e32 v45, 7, v48
; %bb.650:                              ;   in Loop: Header=BB269_554 Depth=1
	s_or_b32 exec_lo, exec_lo, s22
	v_lshlrev_b32_e32 v2, 8, v2
	v_lshl_add_u32 v47, v47, 10, 0x2000
	v_lshlrev_b32_e32 v45, 23, v45
	v_and_or_b32 v2, 0x8000, v2, v47
	v_lshl_or_b32 v45, v2, 16, v45
.LBB269_651:                            ;   in Loop: Header=BB269_554 Depth=1
	s_or_b32 exec_lo, exec_lo, s21
.LBB269_652:                            ;   in Loop: Header=BB269_554 Depth=1
	s_or_b32 exec_lo, exec_lo, s18
.LBB269_653:                            ;   in Loop: Header=BB269_554 Depth=1
	s_or_b32 exec_lo, exec_lo, s17
	v_mov_b32_e32 v2, v11
	v_cmp_ne_u16_sdwa s0, v11, v3 src0_sel:BYTE_0 src1_sel:DWORD
	v_mov_b32_e32 v47, 0
	v_mov_b32_e32 v48, 0
	s_and_saveexec_b32 s17, s0
	s_cbranch_execz .LBB269_661
; %bb.654:                              ;   in Loop: Header=BB269_554 Depth=1
	v_cmp_ne_u16_sdwa s0, v11, v24 src0_sel:BYTE_0 src1_sel:DWORD
	v_mov_b32_e32 v48, 0x8000
	s_and_saveexec_b32 s18, s0
	s_cbranch_execz .LBB269_660
; %bb.655:                              ;   in Loop: Header=BB269_554 Depth=1
	v_and_b32_e32 v50, 0x7f, v11
	v_mov_b32_e32 v48, 0x7c01
	s_mov_b32 s21, exec_lo
	v_cmpx_ne_u32_e32 0x7f, v50
	s_cbranch_execz .LBB269_659
; %bb.656:                              ;   in Loop: Header=BB269_554 Depth=1
	v_and_b32_e32 v48, 7, v11
	v_lshrrev_b32_e32 v49, 3, v50
	s_mov_b32 s22, exec_lo
	v_cmpx_gt_u32_e32 8, v50
; %bb.657:                              ;   in Loop: Header=BB269_554 Depth=1
	v_ffbh_u32_e32 v48, v48
	v_min_u32_e32 v50, 32, v48
	v_subrev_nc_u32_e32 v48, 28, v50
	v_lshlrev_b64 v[48:49], v48, v[2:3]
	v_sub_nc_u32_e32 v49, 29, v50
	v_and_b32_e32 v48, 7, v48
; %bb.658:                              ;   in Loop: Header=BB269_554 Depth=1
	s_or_b32 exec_lo, exec_lo, s22
	v_lshlrev_b32_e32 v50, 8, v11
	v_lshl_add_u32 v49, v49, 10, 0x2000
	v_lshlrev_b32_e32 v48, 7, v48
	v_and_b32_e32 v50, 0x8000, v50
	v_and_b32_e32 v49, 0xfc00, v49
	v_or3_b32 v48, v50, v49, v48
.LBB269_659:                            ;   in Loop: Header=BB269_554 Depth=1
	s_or_b32 exec_lo, exec_lo, s21
.LBB269_660:                            ;   in Loop: Header=BB269_554 Depth=1
	s_or_b32 exec_lo, exec_lo, s18
.LBB269_661:                            ;   in Loop: Header=BB269_554 Depth=1
	s_or_b32 exec_lo, exec_lo, s17
	v_lshrrev_b16 v2, 8, v2
	v_mov_b32_e32 v49, 0
	s_mov_b32 s17, exec_lo
	v_cmpx_ne_u16_e32 0, v2
	s_cbranch_execz .LBB269_669
; %bb.662:                              ;   in Loop: Header=BB269_554 Depth=1
	v_bfrev_b32_e32 v49, 1
	s_mov_b32 s18, exec_lo
	v_cmpx_ne_u16_e32 0x80, v2
	s_cbranch_execz .LBB269_668
; %bb.663:                              ;   in Loop: Header=BB269_554 Depth=1
	v_and_b32_sdwa v51, v2, v25 dst_sel:DWORD dst_unused:UNUSED_PAD src0_sel:WORD_0 src1_sel:DWORD
	v_mov_b32_e32 v49, 0x7c010000
	s_mov_b32 s21, exec_lo
	v_cmpx_ne_u32_e32 0x7f, v51
	s_cbranch_execz .LBB269_667
; %bb.664:                              ;   in Loop: Header=BB269_554 Depth=1
	v_and_b32_sdwa v49, v2, v26 dst_sel:DWORD dst_unused:UNUSED_PAD src0_sel:WORD_0 src1_sel:DWORD
	v_lshrrev_b32_e32 v50, 3, v51
	s_mov_b32 s22, exec_lo
	v_cmpx_gt_u32_e32 8, v51
; %bb.665:                              ;   in Loop: Header=BB269_554 Depth=1
	v_ffbh_u32_e32 v49, v49
	v_min_u32_e32 v51, 32, v49
	v_subrev_nc_u32_e32 v49, 28, v51
	v_lshlrev_b64 v[49:50], v49, v[2:3]
	v_sub_nc_u32_e32 v50, 29, v51
	v_and_b32_e32 v49, 7, v49
; %bb.666:                              ;   in Loop: Header=BB269_554 Depth=1
	s_or_b32 exec_lo, exec_lo, s22
	v_lshlrev_b32_sdwa v2, v27, v2 dst_sel:DWORD dst_unused:UNUSED_PAD src0_sel:DWORD src1_sel:WORD_0
	v_lshl_add_u32 v50, v50, 10, 0x2000
	v_lshlrev_b32_e32 v49, 23, v49
	v_and_or_b32 v2, 0x8000, v2, v50
	v_lshl_or_b32 v49, v2, 16, v49
.LBB269_667:                            ;   in Loop: Header=BB269_554 Depth=1
	s_or_b32 exec_lo, exec_lo, s21
.LBB269_668:                            ;   in Loop: Header=BB269_554 Depth=1
	s_or_b32 exec_lo, exec_lo, s18
.LBB269_669:                            ;   in Loop: Header=BB269_554 Depth=1
	s_or_b32 exec_lo, exec_lo, s17
	v_lshrrev_b32_e32 v2, 16, v11
	v_cmp_ne_u16_sdwa s0, v2, v3 src0_sel:BYTE_0 src1_sel:DWORD
	s_and_saveexec_b32 s17, s0
	s_cbranch_execz .LBB269_677
; %bb.670:                              ;   in Loop: Header=BB269_554 Depth=1
	v_cmp_ne_u16_sdwa s0, v2, v24 src0_sel:BYTE_0 src1_sel:DWORD
	v_mov_b32_e32 v47, 0x8000
	s_and_saveexec_b32 s18, s0
	s_cbranch_execz .LBB269_676
; %bb.671:                              ;   in Loop: Header=BB269_554 Depth=1
	v_bfe_u32 v51, v11, 16, 7
	v_mov_b32_e32 v47, 0x7c01
	s_mov_b32 s21, exec_lo
	v_cmpx_ne_u32_e32 0x7f, v51
	s_cbranch_execz .LBB269_675
; %bb.672:                              ;   in Loop: Header=BB269_554 Depth=1
	v_and_b32_e32 v47, 7, v2
	v_lshrrev_b32_e32 v50, 3, v51
	s_mov_b32 s22, exec_lo
	v_cmpx_gt_u32_e32 8, v51
; %bb.673:                              ;   in Loop: Header=BB269_554 Depth=1
	v_ffbh_u32_e32 v47, v47
	v_min_u32_e32 v47, 32, v47
	v_subrev_nc_u32_e32 v50, 28, v47
	v_lshlrev_b64 v[51:52], v50, v[2:3]
	v_sub_nc_u32_e32 v50, 29, v47
	v_and_b32_e32 v47, 7, v51
; %bb.674:                              ;   in Loop: Header=BB269_554 Depth=1
	s_or_b32 exec_lo, exec_lo, s22
	v_lshlrev_b32_e32 v2, 8, v2
	v_lshl_add_u32 v50, v50, 10, 0x2000
	v_lshlrev_b32_e32 v47, 7, v47
	v_and_b32_e32 v2, 0x8000, v2
	v_and_b32_e32 v50, 0xfc00, v50
	v_or3_b32 v47, v2, v50, v47
.LBB269_675:                            ;   in Loop: Header=BB269_554 Depth=1
	s_or_b32 exec_lo, exec_lo, s21
.LBB269_676:                            ;   in Loop: Header=BB269_554 Depth=1
	s_or_b32 exec_lo, exec_lo, s18
.LBB269_677:                            ;   in Loop: Header=BB269_554 Depth=1
	s_or_b32 exec_lo, exec_lo, s17
	v_cmp_lt_u64_e64 s0, s[4:5], v[10:11]
	v_mov_b32_e32 v10, 0
	s_and_saveexec_b32 s17, s0
	s_cbranch_execz .LBB269_685
; %bb.678:                              ;   in Loop: Header=BB269_554 Depth=1
	v_lshrrev_b32_e32 v2, 24, v11
	v_bfrev_b32_e32 v10, 1
	s_mov_b32 s18, exec_lo
	v_cmpx_ne_u32_e32 0x80, v2
	s_cbranch_execz .LBB269_684
; %bb.679:                              ;   in Loop: Header=BB269_554 Depth=1
	v_and_b32_e32 v50, 0x7f, v2
	v_mov_b32_e32 v10, 0x7c010000
	s_mov_b32 s21, exec_lo
	v_cmpx_ne_u32_e32 0x7f, v50
	s_cbranch_execz .LBB269_683
; %bb.680:                              ;   in Loop: Header=BB269_554 Depth=1
	v_and_b32_e32 v10, 7, v2
	v_lshrrev_b32_e32 v11, 3, v50
	s_mov_b32 s22, exec_lo
	v_cmpx_gt_u32_e32 8, v50
; %bb.681:                              ;   in Loop: Header=BB269_554 Depth=1
	v_ffbh_u32_e32 v10, v10
	v_min_u32_e32 v50, 32, v10
	v_subrev_nc_u32_e32 v10, 28, v50
	v_lshlrev_b64 v[10:11], v10, v[2:3]
	v_sub_nc_u32_e32 v11, 29, v50
	v_and_b32_e32 v10, 7, v10
; %bb.682:                              ;   in Loop: Header=BB269_554 Depth=1
	s_or_b32 exec_lo, exec_lo, s22
	v_lshlrev_b32_e32 v2, 8, v2
	v_lshl_add_u32 v11, v11, 10, 0x2000
	v_lshlrev_b32_e32 v10, 23, v10
	v_and_or_b32 v2, 0x8000, v2, v11
	v_lshl_or_b32 v10, v2, 16, v10
.LBB269_683:                            ;   in Loop: Header=BB269_554 Depth=1
	s_or_b32 exec_lo, exec_lo, s21
.LBB269_684:                            ;   in Loop: Header=BB269_554 Depth=1
	s_or_b32 exec_lo, exec_lo, s18
.LBB269_685:                            ;   in Loop: Header=BB269_554 Depth=1
	s_or_b32 exec_lo, exec_lo, s17
	v_or_b32_e32 v2, v45, v46
	s_waitcnt vmcnt(0)
	v_fma_mixlo_f16 v11, v42, v45, 0 op_sel:[0,1,0] op_sel_hi:[0,1,0]
	v_or_b32_e32 v45, v43, v44
	v_fma_mixlo_f16 v43, v42, v43, 0 op_sel:[0,1,0] op_sel_hi:[0,1,0]
	v_or_b32_e32 v46, v49, v48
	v_or_b32_e32 v47, v10, v47
	v_fma_mixlo_f16 v48, v42, v2, 0 op_sel_hi:[0,1,0]
	v_fma_mixlo_f16 v10, v42, v10, 0 op_sel:[0,1,0] op_sel_hi:[0,1,0]
	v_lshlrev_b32_e32 v44, 16, v43
	v_fma_mixlo_f16 v43, v42, v45, 0 op_sel_hi:[0,1,0]
	v_fma_mixlo_f16 v45, v42, v49, 0 op_sel:[0,1,0] op_sel_hi:[0,1,0]
	v_fma_mixlo_f16 v46, v42, v46, 0 op_sel_hi:[0,1,0]
	v_fma_mixlo_f16 v47, v42, v47, 0 op_sel_hi:[0,1,0]
	v_lshlrev_b32_e32 v2, 16, v11
	v_and_b32_e32 v11, 0xffff, v48
	v_and_b32_e32 v50, 0xffff, v43
	v_lshlrev_b32_e32 v42, 16, v45
	v_and_b32_e32 v46, 0xffff, v46
	v_lshlrev_b32_e32 v10, 16, v10
	v_and_b32_e32 v43, 0xffff, v47
	v_or_b32_e32 v45, v2, v11
	v_or_b32_e32 v49, v44, v50
	v_or_b32_e32 v48, v42, v46
	v_or_b32_e32 v47, v10, v43
	s_and_saveexec_b32 s17, vcc_lo
	s_cbranch_execz .LBB269_687
; %bb.686:                              ;   in Loop: Header=BB269_554 Depth=1
	v_cmp_gt_i32_e64 s0, s31, v13
	v_cndmask_b32_e64 v45, 0, v50, s0
	v_cmp_gt_i32_e64 s0, s31, v36
	v_cndmask_b32_e64 v44, 0, v44, s0
	v_cmp_gt_i32_e64 s0, s31, v34
	v_or_b32_e32 v49, v44, v45
	v_cndmask_b32_e64 v11, 0, v11, s0
	v_cmp_gt_i32_e64 s0, s31, v33
	v_cndmask_b32_e64 v2, 0, v2, s0
	v_cmp_gt_i32_e64 s0, s31, v32
	v_or_b32_e32 v45, v2, v11
	;; [unrolled: 5-line block ×3, first 2 shown]
	v_cndmask_b32_e64 v43, 0, v43, s0
	v_cmp_gt_i32_e64 s0, s31, v29
	v_cndmask_b32_e64 v10, 0, v10, s0
	v_or_b32_e32 v47, v10, v43
.LBB269_687:                            ;   in Loop: Header=BB269_554 Depth=1
	s_or_b32 exec_lo, exec_lo, s17
	;;#ASMSTART
	v_pk_mul_f16 v2, v41, v49;

	;;#ASMEND
	;;#ASMSTART
	v_pk_mul_f16 v10, v40, v45;

	;;#ASMEND
	;; [unrolled: 4-line block ×4, first 2 shown]
	;;#ASMSTART
	v_pk_add_f16 v2, v2, v10;

	;;#ASMEND
	;;#ASMSTART
	v_pk_add_f16 v2, v2, v11;

	;;#ASMEND
	;; [unrolled: 4-line block ×3, first 2 shown]
	v_and_b32_e32 v10, 0xffff, v2
	v_lshrrev_b32_e32 v2, 16, v2
	;;#ASMSTART
	v_cvt_f32_f16 v42, v10;
	;;#ASMEND
	;;#ASMSTART
	v_cvt_f32_f16 v43, v2;
	;;#ASMEND
	global_load_dwordx2 v[10:11], v[8:9], off offset:512
	v_mov_b32_e32 v45, 0
	v_mov_b32_e32 v46, 0
	global_load_dword v44, v45, s[14:15]
	s_waitcnt vmcnt(1)
	v_cmp_ne_u16_sdwa s0, v10, v3 src0_sel:BYTE_0 src1_sel:DWORD
	s_and_saveexec_b32 s17, s0
	s_cbranch_execz .LBB269_695
; %bb.688:                              ;   in Loop: Header=BB269_554 Depth=1
	v_cmp_ne_u16_sdwa s0, v10, v24 src0_sel:BYTE_0 src1_sel:DWORD
	v_mov_b32_e32 v46, 0x8000
	s_and_saveexec_b32 s18, s0
	s_cbranch_execz .LBB269_694
; %bb.689:                              ;   in Loop: Header=BB269_554 Depth=1
	v_and_b32_e32 v47, 0x7f, v10
	v_mov_b32_e32 v46, 0x7c01
	s_mov_b32 s21, exec_lo
	v_cmpx_ne_u32_e32 0x7f, v47
	s_cbranch_execz .LBB269_693
; %bb.690:                              ;   in Loop: Header=BB269_554 Depth=1
	v_and_b32_e32 v2, 7, v10
	v_lshrrev_b32_e32 v46, 3, v47
	s_mov_b32 s22, exec_lo
	v_cmpx_gt_u32_e32 8, v47
; %bb.691:                              ;   in Loop: Header=BB269_554 Depth=1
	v_ffbh_u32_e32 v2, v2
	v_min_u32_e32 v2, 32, v2
	v_subrev_nc_u32_e32 v46, 28, v2
	v_lshlrev_b64 v[47:48], v46, v[10:11]
	v_sub_nc_u32_e32 v46, 29, v2
	v_and_b32_e32 v2, 7, v47
; %bb.692:                              ;   in Loop: Header=BB269_554 Depth=1
	s_or_b32 exec_lo, exec_lo, s22
	v_lshlrev_b32_e32 v47, 8, v10
	v_lshl_add_u32 v46, v46, 10, 0x2000
	v_lshlrev_b32_e32 v2, 7, v2
	v_and_b32_e32 v47, 0x8000, v47
	v_and_b32_e32 v46, 0xfc00, v46
	v_or3_b32 v46, v47, v46, v2
.LBB269_693:                            ;   in Loop: Header=BB269_554 Depth=1
	s_or_b32 exec_lo, exec_lo, s21
.LBB269_694:                            ;   in Loop: Header=BB269_554 Depth=1
	s_or_b32 exec_lo, exec_lo, s18
.LBB269_695:                            ;   in Loop: Header=BB269_554 Depth=1
	s_or_b32 exec_lo, exec_lo, s17
	v_lshrrev_b16 v2, 8, v10
	s_mov_b32 s17, exec_lo
	v_cmpx_ne_u16_e32 0, v2
	s_cbranch_execz .LBB269_703
; %bb.696:                              ;   in Loop: Header=BB269_554 Depth=1
	v_bfrev_b32_e32 v45, 1
	s_mov_b32 s18, exec_lo
	v_cmpx_ne_u16_e32 0x80, v2
	s_cbranch_execz .LBB269_702
; %bb.697:                              ;   in Loop: Header=BB269_554 Depth=1
	v_and_b32_sdwa v48, v2, v25 dst_sel:DWORD dst_unused:UNUSED_PAD src0_sel:WORD_0 src1_sel:DWORD
	v_mov_b32_e32 v45, 0x7c010000
	s_mov_b32 s21, exec_lo
	v_cmpx_ne_u32_e32 0x7f, v48
	s_cbranch_execz .LBB269_701
; %bb.698:                              ;   in Loop: Header=BB269_554 Depth=1
	v_and_b32_sdwa v45, v2, v26 dst_sel:DWORD dst_unused:UNUSED_PAD src0_sel:WORD_0 src1_sel:DWORD
	v_lshrrev_b32_e32 v47, 3, v48
	s_mov_b32 s22, exec_lo
	v_cmpx_gt_u32_e32 8, v48
; %bb.699:                              ;   in Loop: Header=BB269_554 Depth=1
	v_ffbh_u32_e32 v45, v45
	v_min_u32_e32 v45, 32, v45
	v_subrev_nc_u32_e32 v47, 28, v45
	v_lshlrev_b64 v[48:49], v47, v[2:3]
	v_sub_nc_u32_e32 v47, 29, v45
	v_and_b32_e32 v45, 7, v48
; %bb.700:                              ;   in Loop: Header=BB269_554 Depth=1
	s_or_b32 exec_lo, exec_lo, s22
	v_lshlrev_b32_sdwa v2, v27, v2 dst_sel:DWORD dst_unused:UNUSED_PAD src0_sel:DWORD src1_sel:WORD_0
	v_lshl_add_u32 v47, v47, 10, 0x2000
	v_lshlrev_b32_e32 v45, 23, v45
	v_and_or_b32 v2, 0x8000, v2, v47
	v_lshl_or_b32 v45, v2, 16, v45
.LBB269_701:                            ;   in Loop: Header=BB269_554 Depth=1
	s_or_b32 exec_lo, exec_lo, s21
.LBB269_702:                            ;   in Loop: Header=BB269_554 Depth=1
	s_or_b32 exec_lo, exec_lo, s18
.LBB269_703:                            ;   in Loop: Header=BB269_554 Depth=1
	s_or_b32 exec_lo, exec_lo, s17
	v_lshrrev_b32_e32 v2, 16, v10
	v_mov_b32_e32 v47, 0
	v_mov_b32_e32 v48, 0
	v_cmp_ne_u16_sdwa s0, v2, v3 src0_sel:BYTE_0 src1_sel:DWORD
	s_and_saveexec_b32 s17, s0
	s_cbranch_execz .LBB269_711
; %bb.704:                              ;   in Loop: Header=BB269_554 Depth=1
	v_cmp_ne_u16_sdwa s0, v2, v24 src0_sel:BYTE_0 src1_sel:DWORD
	v_mov_b32_e32 v48, 0x8000
	s_and_saveexec_b32 s18, s0
	s_cbranch_execz .LBB269_710
; %bb.705:                              ;   in Loop: Header=BB269_554 Depth=1
	v_bfe_u32 v50, v10, 16, 7
	v_mov_b32_e32 v48, 0x7c01
	s_mov_b32 s21, exec_lo
	v_cmpx_ne_u32_e32 0x7f, v50
	s_cbranch_execz .LBB269_709
; %bb.706:                              ;   in Loop: Header=BB269_554 Depth=1
	v_and_b32_e32 v48, 7, v2
	v_lshrrev_b32_e32 v49, 3, v50
	s_mov_b32 s22, exec_lo
	v_cmpx_gt_u32_e32 8, v50
; %bb.707:                              ;   in Loop: Header=BB269_554 Depth=1
	v_ffbh_u32_e32 v48, v48
	v_min_u32_e32 v50, 32, v48
	v_subrev_nc_u32_e32 v48, 28, v50
	v_lshlrev_b64 v[48:49], v48, v[2:3]
	v_sub_nc_u32_e32 v49, 29, v50
	v_and_b32_e32 v48, 7, v48
; %bb.708:                              ;   in Loop: Header=BB269_554 Depth=1
	s_or_b32 exec_lo, exec_lo, s22
	v_lshlrev_b32_e32 v2, 8, v2
	v_lshl_add_u32 v49, v49, 10, 0x2000
	v_lshlrev_b32_e32 v48, 7, v48
	v_and_b32_e32 v2, 0x8000, v2
	v_and_b32_e32 v49, 0xfc00, v49
	v_or3_b32 v48, v2, v49, v48
.LBB269_709:                            ;   in Loop: Header=BB269_554 Depth=1
	s_or_b32 exec_lo, exec_lo, s21
.LBB269_710:                            ;   in Loop: Header=BB269_554 Depth=1
	s_or_b32 exec_lo, exec_lo, s18
.LBB269_711:                            ;   in Loop: Header=BB269_554 Depth=1
	s_or_b32 exec_lo, exec_lo, s17
	s_mov_b32 s17, exec_lo
	v_cmpx_lt_u32_e32 0xffffff, v10
	s_cbranch_execz .LBB269_719
; %bb.712:                              ;   in Loop: Header=BB269_554 Depth=1
	v_lshrrev_b32_e32 v2, 24, v10
	v_bfrev_b32_e32 v47, 1
	s_mov_b32 s18, exec_lo
	v_cmpx_ne_u32_e32 0x80, v2
	s_cbranch_execz .LBB269_718
; %bb.713:                              ;   in Loop: Header=BB269_554 Depth=1
	v_and_b32_e32 v50, 0x7f, v2
	v_mov_b32_e32 v47, 0x7c010000
	s_mov_b32 s21, exec_lo
	v_cmpx_ne_u32_e32 0x7f, v50
	s_cbranch_execz .LBB269_717
; %bb.714:                              ;   in Loop: Header=BB269_554 Depth=1
	v_and_b32_e32 v47, 7, v2
	v_lshrrev_b32_e32 v49, 3, v50
	s_mov_b32 s22, exec_lo
	v_cmpx_gt_u32_e32 8, v50
; %bb.715:                              ;   in Loop: Header=BB269_554 Depth=1
	v_ffbh_u32_e32 v47, v47
	v_min_u32_e32 v47, 32, v47
	v_subrev_nc_u32_e32 v49, 28, v47
	v_lshlrev_b64 v[50:51], v49, v[2:3]
	v_sub_nc_u32_e32 v49, 29, v47
	v_and_b32_e32 v47, 7, v50
; %bb.716:                              ;   in Loop: Header=BB269_554 Depth=1
	s_or_b32 exec_lo, exec_lo, s22
	v_lshlrev_b32_e32 v2, 8, v2
	v_lshl_add_u32 v49, v49, 10, 0x2000
	v_lshlrev_b32_e32 v47, 23, v47
	v_and_or_b32 v2, 0x8000, v2, v49
	v_lshl_or_b32 v47, v2, 16, v47
.LBB269_717:                            ;   in Loop: Header=BB269_554 Depth=1
	s_or_b32 exec_lo, exec_lo, s21
.LBB269_718:                            ;   in Loop: Header=BB269_554 Depth=1
	s_or_b32 exec_lo, exec_lo, s18
.LBB269_719:                            ;   in Loop: Header=BB269_554 Depth=1
	s_or_b32 exec_lo, exec_lo, s17
	v_mov_b32_e32 v2, v11
	v_cmp_ne_u16_sdwa s0, v11, v3 src0_sel:BYTE_0 src1_sel:DWORD
	v_mov_b32_e32 v49, 0
	v_mov_b32_e32 v50, 0
	s_and_saveexec_b32 s17, s0
	s_cbranch_execz .LBB269_727
; %bb.720:                              ;   in Loop: Header=BB269_554 Depth=1
	v_cmp_ne_u16_sdwa s0, v11, v24 src0_sel:BYTE_0 src1_sel:DWORD
	v_mov_b32_e32 v50, 0x8000
	s_and_saveexec_b32 s18, s0
	s_cbranch_execz .LBB269_726
; %bb.721:                              ;   in Loop: Header=BB269_554 Depth=1
	v_and_b32_e32 v52, 0x7f, v11
	v_mov_b32_e32 v50, 0x7c01
	s_mov_b32 s21, exec_lo
	v_cmpx_ne_u32_e32 0x7f, v52
	s_cbranch_execz .LBB269_725
; %bb.722:                              ;   in Loop: Header=BB269_554 Depth=1
	v_and_b32_e32 v50, 7, v11
	v_lshrrev_b32_e32 v51, 3, v52
	s_mov_b32 s22, exec_lo
	v_cmpx_gt_u32_e32 8, v52
; %bb.723:                              ;   in Loop: Header=BB269_554 Depth=1
	v_ffbh_u32_e32 v50, v50
	v_min_u32_e32 v52, 32, v50
	v_subrev_nc_u32_e32 v50, 28, v52
	v_lshlrev_b64 v[50:51], v50, v[2:3]
	v_sub_nc_u32_e32 v51, 29, v52
	v_and_b32_e32 v50, 7, v50
; %bb.724:                              ;   in Loop: Header=BB269_554 Depth=1
	s_or_b32 exec_lo, exec_lo, s22
	v_lshlrev_b32_e32 v52, 8, v11
	v_lshl_add_u32 v51, v51, 10, 0x2000
	v_lshlrev_b32_e32 v50, 7, v50
	v_and_b32_e32 v52, 0x8000, v52
	v_and_b32_e32 v51, 0xfc00, v51
	v_or3_b32 v50, v52, v51, v50
.LBB269_725:                            ;   in Loop: Header=BB269_554 Depth=1
	s_or_b32 exec_lo, exec_lo, s21
.LBB269_726:                            ;   in Loop: Header=BB269_554 Depth=1
	s_or_b32 exec_lo, exec_lo, s18
.LBB269_727:                            ;   in Loop: Header=BB269_554 Depth=1
	s_or_b32 exec_lo, exec_lo, s17
	v_lshrrev_b16 v2, 8, v2
	v_mov_b32_e32 v51, 0
	s_mov_b32 s17, exec_lo
	v_cmpx_ne_u16_e32 0, v2
	s_cbranch_execz .LBB269_735
; %bb.728:                              ;   in Loop: Header=BB269_554 Depth=1
	v_bfrev_b32_e32 v51, 1
	s_mov_b32 s18, exec_lo
	v_cmpx_ne_u16_e32 0x80, v2
	s_cbranch_execz .LBB269_734
; %bb.729:                              ;   in Loop: Header=BB269_554 Depth=1
	v_and_b32_sdwa v53, v2, v25 dst_sel:DWORD dst_unused:UNUSED_PAD src0_sel:WORD_0 src1_sel:DWORD
	v_mov_b32_e32 v51, 0x7c010000
	s_mov_b32 s21, exec_lo
	v_cmpx_ne_u32_e32 0x7f, v53
	s_cbranch_execz .LBB269_733
; %bb.730:                              ;   in Loop: Header=BB269_554 Depth=1
	v_and_b32_sdwa v51, v2, v26 dst_sel:DWORD dst_unused:UNUSED_PAD src0_sel:WORD_0 src1_sel:DWORD
	v_lshrrev_b32_e32 v52, 3, v53
	s_mov_b32 s22, exec_lo
	v_cmpx_gt_u32_e32 8, v53
; %bb.731:                              ;   in Loop: Header=BB269_554 Depth=1
	v_ffbh_u32_e32 v51, v51
	v_min_u32_e32 v53, 32, v51
	v_subrev_nc_u32_e32 v51, 28, v53
	v_lshlrev_b64 v[51:52], v51, v[2:3]
	v_sub_nc_u32_e32 v52, 29, v53
	v_and_b32_e32 v51, 7, v51
; %bb.732:                              ;   in Loop: Header=BB269_554 Depth=1
	s_or_b32 exec_lo, exec_lo, s22
	v_lshlrev_b32_sdwa v2, v27, v2 dst_sel:DWORD dst_unused:UNUSED_PAD src0_sel:DWORD src1_sel:WORD_0
	v_lshl_add_u32 v52, v52, 10, 0x2000
	v_lshlrev_b32_e32 v51, 23, v51
	v_and_or_b32 v2, 0x8000, v2, v52
	v_lshl_or_b32 v51, v2, 16, v51
.LBB269_733:                            ;   in Loop: Header=BB269_554 Depth=1
	s_or_b32 exec_lo, exec_lo, s21
.LBB269_734:                            ;   in Loop: Header=BB269_554 Depth=1
	s_or_b32 exec_lo, exec_lo, s18
.LBB269_735:                            ;   in Loop: Header=BB269_554 Depth=1
	s_or_b32 exec_lo, exec_lo, s17
	v_lshrrev_b32_e32 v2, 16, v11
	v_cmp_ne_u16_sdwa s0, v2, v3 src0_sel:BYTE_0 src1_sel:DWORD
	s_and_saveexec_b32 s17, s0
	s_cbranch_execz .LBB269_743
; %bb.736:                              ;   in Loop: Header=BB269_554 Depth=1
	v_cmp_ne_u16_sdwa s0, v2, v24 src0_sel:BYTE_0 src1_sel:DWORD
	v_mov_b32_e32 v49, 0x8000
	s_and_saveexec_b32 s18, s0
	s_cbranch_execz .LBB269_742
; %bb.737:                              ;   in Loop: Header=BB269_554 Depth=1
	v_bfe_u32 v53, v11, 16, 7
	v_mov_b32_e32 v49, 0x7c01
	s_mov_b32 s21, exec_lo
	v_cmpx_ne_u32_e32 0x7f, v53
	s_cbranch_execz .LBB269_741
; %bb.738:                              ;   in Loop: Header=BB269_554 Depth=1
	v_and_b32_e32 v49, 7, v2
	v_lshrrev_b32_e32 v52, 3, v53
	s_mov_b32 s22, exec_lo
	v_cmpx_gt_u32_e32 8, v53
; %bb.739:                              ;   in Loop: Header=BB269_554 Depth=1
	v_ffbh_u32_e32 v49, v49
	v_min_u32_e32 v49, 32, v49
	v_subrev_nc_u32_e32 v52, 28, v49
	v_lshlrev_b64 v[53:54], v52, v[2:3]
	v_sub_nc_u32_e32 v52, 29, v49
	v_and_b32_e32 v49, 7, v53
; %bb.740:                              ;   in Loop: Header=BB269_554 Depth=1
	s_or_b32 exec_lo, exec_lo, s22
	v_lshlrev_b32_e32 v2, 8, v2
	v_lshl_add_u32 v52, v52, 10, 0x2000
	v_lshlrev_b32_e32 v49, 7, v49
	v_and_b32_e32 v2, 0x8000, v2
	v_and_b32_e32 v52, 0xfc00, v52
	v_or3_b32 v49, v2, v52, v49
.LBB269_741:                            ;   in Loop: Header=BB269_554 Depth=1
	s_or_b32 exec_lo, exec_lo, s21
.LBB269_742:                            ;   in Loop: Header=BB269_554 Depth=1
	s_or_b32 exec_lo, exec_lo, s18
.LBB269_743:                            ;   in Loop: Header=BB269_554 Depth=1
	s_or_b32 exec_lo, exec_lo, s17
	v_cmp_lt_u64_e64 s0, s[4:5], v[10:11]
	v_mov_b32_e32 v10, 0
	s_and_saveexec_b32 s17, s0
	s_cbranch_execz .LBB269_751
; %bb.744:                              ;   in Loop: Header=BB269_554 Depth=1
	v_lshrrev_b32_e32 v2, 24, v11
	v_bfrev_b32_e32 v10, 1
	s_mov_b32 s18, exec_lo
	v_cmpx_ne_u32_e32 0x80, v2
	s_cbranch_execz .LBB269_750
; %bb.745:                              ;   in Loop: Header=BB269_554 Depth=1
	v_and_b32_e32 v52, 0x7f, v2
	v_mov_b32_e32 v10, 0x7c010000
	s_mov_b32 s21, exec_lo
	v_cmpx_ne_u32_e32 0x7f, v52
	s_cbranch_execz .LBB269_749
; %bb.746:                              ;   in Loop: Header=BB269_554 Depth=1
	v_and_b32_e32 v10, 7, v2
	v_lshrrev_b32_e32 v11, 3, v52
	s_mov_b32 s22, exec_lo
	v_cmpx_gt_u32_e32 8, v52
; %bb.747:                              ;   in Loop: Header=BB269_554 Depth=1
	v_ffbh_u32_e32 v10, v10
	v_min_u32_e32 v52, 32, v10
	v_subrev_nc_u32_e32 v10, 28, v52
	v_lshlrev_b64 v[10:11], v10, v[2:3]
	v_sub_nc_u32_e32 v11, 29, v52
	v_and_b32_e32 v10, 7, v10
; %bb.748:                              ;   in Loop: Header=BB269_554 Depth=1
	s_or_b32 exec_lo, exec_lo, s22
	v_lshlrev_b32_e32 v2, 8, v2
	v_lshl_add_u32 v11, v11, 10, 0x2000
	v_lshlrev_b32_e32 v10, 23, v10
	v_and_or_b32 v2, 0x8000, v2, v11
	v_lshl_or_b32 v10, v2, 16, v10
.LBB269_749:                            ;   in Loop: Header=BB269_554 Depth=1
	s_or_b32 exec_lo, exec_lo, s21
.LBB269_750:                            ;   in Loop: Header=BB269_554 Depth=1
	s_or_b32 exec_lo, exec_lo, s18
.LBB269_751:                            ;   in Loop: Header=BB269_554 Depth=1
	s_or_b32 exec_lo, exec_lo, s17
	v_or_b32_e32 v2, v47, v48
	s_waitcnt vmcnt(0)
	v_fma_mixlo_f16 v11, v44, v47, 0 op_sel:[0,1,0] op_sel_hi:[0,1,0]
	v_or_b32_e32 v47, v45, v46
	v_fma_mixlo_f16 v45, v44, v45, 0 op_sel:[0,1,0] op_sel_hi:[0,1,0]
	v_or_b32_e32 v48, v51, v50
	v_or_b32_e32 v49, v10, v49
	v_fma_mixlo_f16 v50, v44, v2, 0 op_sel_hi:[0,1,0]
	v_fma_mixlo_f16 v10, v44, v10, 0 op_sel:[0,1,0] op_sel_hi:[0,1,0]
	v_lshlrev_b32_e32 v46, 16, v45
	v_fma_mixlo_f16 v45, v44, v47, 0 op_sel_hi:[0,1,0]
	v_fma_mixlo_f16 v47, v44, v51, 0 op_sel:[0,1,0] op_sel_hi:[0,1,0]
	v_fma_mixlo_f16 v48, v44, v48, 0 op_sel_hi:[0,1,0]
	v_fma_mixlo_f16 v49, v44, v49, 0 op_sel_hi:[0,1,0]
	v_lshlrev_b32_e32 v2, 16, v11
	v_and_b32_e32 v11, 0xffff, v50
	v_and_b32_e32 v52, 0xffff, v45
	v_lshlrev_b32_e32 v44, 16, v47
	v_and_b32_e32 v48, 0xffff, v48
	v_lshlrev_b32_e32 v10, 16, v10
	v_and_b32_e32 v45, 0xffff, v49
	v_or_b32_e32 v47, v2, v11
	v_or_b32_e32 v51, v46, v52
	;; [unrolled: 1-line block ×4, first 2 shown]
	s_and_saveexec_b32 s17, vcc_lo
	s_cbranch_execz .LBB269_753
; %bb.752:                              ;   in Loop: Header=BB269_554 Depth=1
	v_cmp_gt_i32_e64 s0, s31, v13
	v_cndmask_b32_e64 v47, 0, v52, s0
	v_cmp_gt_i32_e64 s0, s31, v36
	v_cndmask_b32_e64 v46, 0, v46, s0
	v_cmp_gt_i32_e64 s0, s31, v34
	v_or_b32_e32 v51, v46, v47
	v_cndmask_b32_e64 v11, 0, v11, s0
	v_cmp_gt_i32_e64 s0, s31, v33
	v_cndmask_b32_e64 v2, 0, v2, s0
	v_cmp_gt_i32_e64 s0, s31, v32
	v_or_b32_e32 v47, v2, v11
	;; [unrolled: 5-line block ×3, first 2 shown]
	v_cndmask_b32_e64 v45, 0, v45, s0
	v_cmp_gt_i32_e64 s0, s31, v29
	v_cndmask_b32_e64 v10, 0, v10, s0
	v_or_b32_e32 v49, v10, v45
.LBB269_753:                            ;   in Loop: Header=BB269_554 Depth=1
	s_or_b32 exec_lo, exec_lo, s17
	;;#ASMSTART
	v_pk_mul_f16 v2, v41, v51;

	;;#ASMEND
	;;#ASMSTART
	v_pk_mul_f16 v10, v40, v47;

	;;#ASMEND
	;; [unrolled: 4-line block ×4, first 2 shown]
	;;#ASMSTART
	v_pk_add_f16 v2, v2, v10;

	;;#ASMEND
	;;#ASMSTART
	v_pk_add_f16 v2, v2, v11;

	;;#ASMEND
	;; [unrolled: 4-line block ×3, first 2 shown]
	v_and_b32_e32 v10, 0xffff, v2
	v_lshrrev_b32_e32 v2, 16, v2
	;;#ASMSTART
	v_cvt_f32_f16 v44, v10;
	;;#ASMEND
	;;#ASMSTART
	v_cvt_f32_f16 v45, v2;
	;;#ASMEND
	global_load_dwordx2 v[10:11], v[8:9], off offset:768
	v_mov_b32_e32 v47, 0
	v_mov_b32_e32 v48, 0
	global_load_dword v46, v47, s[14:15]
	s_waitcnt vmcnt(1)
	v_cmp_ne_u16_sdwa s0, v10, v3 src0_sel:BYTE_0 src1_sel:DWORD
	s_and_saveexec_b32 s17, s0
	s_cbranch_execz .LBB269_761
; %bb.754:                              ;   in Loop: Header=BB269_554 Depth=1
	v_cmp_ne_u16_sdwa s0, v10, v24 src0_sel:BYTE_0 src1_sel:DWORD
	v_mov_b32_e32 v48, 0x8000
	s_and_saveexec_b32 s18, s0
	s_cbranch_execz .LBB269_760
; %bb.755:                              ;   in Loop: Header=BB269_554 Depth=1
	v_and_b32_e32 v49, 0x7f, v10
	v_mov_b32_e32 v48, 0x7c01
	s_mov_b32 s21, exec_lo
	v_cmpx_ne_u32_e32 0x7f, v49
	s_cbranch_execz .LBB269_759
; %bb.756:                              ;   in Loop: Header=BB269_554 Depth=1
	v_and_b32_e32 v2, 7, v10
	v_lshrrev_b32_e32 v48, 3, v49
	s_mov_b32 s22, exec_lo
	v_cmpx_gt_u32_e32 8, v49
; %bb.757:                              ;   in Loop: Header=BB269_554 Depth=1
	v_ffbh_u32_e32 v2, v2
	v_min_u32_e32 v2, 32, v2
	v_subrev_nc_u32_e32 v48, 28, v2
	v_lshlrev_b64 v[49:50], v48, v[10:11]
	v_sub_nc_u32_e32 v48, 29, v2
	v_and_b32_e32 v2, 7, v49
; %bb.758:                              ;   in Loop: Header=BB269_554 Depth=1
	s_or_b32 exec_lo, exec_lo, s22
	v_lshlrev_b32_e32 v49, 8, v10
	v_lshl_add_u32 v48, v48, 10, 0x2000
	v_lshlrev_b32_e32 v2, 7, v2
	v_and_b32_e32 v49, 0x8000, v49
	v_and_b32_e32 v48, 0xfc00, v48
	v_or3_b32 v48, v49, v48, v2
.LBB269_759:                            ;   in Loop: Header=BB269_554 Depth=1
	s_or_b32 exec_lo, exec_lo, s21
.LBB269_760:                            ;   in Loop: Header=BB269_554 Depth=1
	s_or_b32 exec_lo, exec_lo, s18
.LBB269_761:                            ;   in Loop: Header=BB269_554 Depth=1
	s_or_b32 exec_lo, exec_lo, s17
	v_lshrrev_b16 v2, 8, v10
	s_mov_b32 s17, exec_lo
	v_cmpx_ne_u16_e32 0, v2
	s_cbranch_execz .LBB269_769
; %bb.762:                              ;   in Loop: Header=BB269_554 Depth=1
	v_bfrev_b32_e32 v47, 1
	s_mov_b32 s18, exec_lo
	v_cmpx_ne_u16_e32 0x80, v2
	s_cbranch_execz .LBB269_768
; %bb.763:                              ;   in Loop: Header=BB269_554 Depth=1
	v_and_b32_sdwa v50, v2, v25 dst_sel:DWORD dst_unused:UNUSED_PAD src0_sel:WORD_0 src1_sel:DWORD
	v_mov_b32_e32 v47, 0x7c010000
	s_mov_b32 s21, exec_lo
	v_cmpx_ne_u32_e32 0x7f, v50
	s_cbranch_execz .LBB269_767
; %bb.764:                              ;   in Loop: Header=BB269_554 Depth=1
	v_and_b32_sdwa v47, v2, v26 dst_sel:DWORD dst_unused:UNUSED_PAD src0_sel:WORD_0 src1_sel:DWORD
	v_lshrrev_b32_e32 v49, 3, v50
	s_mov_b32 s22, exec_lo
	v_cmpx_gt_u32_e32 8, v50
; %bb.765:                              ;   in Loop: Header=BB269_554 Depth=1
	v_ffbh_u32_e32 v47, v47
	v_min_u32_e32 v47, 32, v47
	v_subrev_nc_u32_e32 v49, 28, v47
	v_lshlrev_b64 v[50:51], v49, v[2:3]
	v_sub_nc_u32_e32 v49, 29, v47
	v_and_b32_e32 v47, 7, v50
; %bb.766:                              ;   in Loop: Header=BB269_554 Depth=1
	s_or_b32 exec_lo, exec_lo, s22
	v_lshlrev_b32_sdwa v2, v27, v2 dst_sel:DWORD dst_unused:UNUSED_PAD src0_sel:DWORD src1_sel:WORD_0
	v_lshl_add_u32 v49, v49, 10, 0x2000
	v_lshlrev_b32_e32 v47, 23, v47
	v_and_or_b32 v2, 0x8000, v2, v49
	v_lshl_or_b32 v47, v2, 16, v47
.LBB269_767:                            ;   in Loop: Header=BB269_554 Depth=1
	s_or_b32 exec_lo, exec_lo, s21
.LBB269_768:                            ;   in Loop: Header=BB269_554 Depth=1
	s_or_b32 exec_lo, exec_lo, s18
.LBB269_769:                            ;   in Loop: Header=BB269_554 Depth=1
	s_or_b32 exec_lo, exec_lo, s17
	v_lshrrev_b32_e32 v2, 16, v10
	v_mov_b32_e32 v49, 0
	v_mov_b32_e32 v50, 0
	v_cmp_ne_u16_sdwa s0, v2, v3 src0_sel:BYTE_0 src1_sel:DWORD
	s_and_saveexec_b32 s17, s0
	s_cbranch_execz .LBB269_777
; %bb.770:                              ;   in Loop: Header=BB269_554 Depth=1
	v_cmp_ne_u16_sdwa s0, v2, v24 src0_sel:BYTE_0 src1_sel:DWORD
	v_mov_b32_e32 v50, 0x8000
	s_and_saveexec_b32 s18, s0
	s_cbranch_execz .LBB269_776
; %bb.771:                              ;   in Loop: Header=BB269_554 Depth=1
	v_bfe_u32 v52, v10, 16, 7
	v_mov_b32_e32 v50, 0x7c01
	s_mov_b32 s21, exec_lo
	v_cmpx_ne_u32_e32 0x7f, v52
	s_cbranch_execz .LBB269_775
; %bb.772:                              ;   in Loop: Header=BB269_554 Depth=1
	v_and_b32_e32 v50, 7, v2
	v_lshrrev_b32_e32 v51, 3, v52
	s_mov_b32 s22, exec_lo
	v_cmpx_gt_u32_e32 8, v52
; %bb.773:                              ;   in Loop: Header=BB269_554 Depth=1
	v_ffbh_u32_e32 v50, v50
	v_min_u32_e32 v52, 32, v50
	v_subrev_nc_u32_e32 v50, 28, v52
	v_lshlrev_b64 v[50:51], v50, v[2:3]
	v_sub_nc_u32_e32 v51, 29, v52
	v_and_b32_e32 v50, 7, v50
; %bb.774:                              ;   in Loop: Header=BB269_554 Depth=1
	s_or_b32 exec_lo, exec_lo, s22
	v_lshlrev_b32_e32 v2, 8, v2
	v_lshl_add_u32 v51, v51, 10, 0x2000
	v_lshlrev_b32_e32 v50, 7, v50
	v_and_b32_e32 v2, 0x8000, v2
	v_and_b32_e32 v51, 0xfc00, v51
	v_or3_b32 v50, v2, v51, v50
.LBB269_775:                            ;   in Loop: Header=BB269_554 Depth=1
	s_or_b32 exec_lo, exec_lo, s21
.LBB269_776:                            ;   in Loop: Header=BB269_554 Depth=1
	s_or_b32 exec_lo, exec_lo, s18
.LBB269_777:                            ;   in Loop: Header=BB269_554 Depth=1
	s_or_b32 exec_lo, exec_lo, s17
	s_mov_b32 s17, exec_lo
	v_cmpx_lt_u32_e32 0xffffff, v10
	s_cbranch_execz .LBB269_785
; %bb.778:                              ;   in Loop: Header=BB269_554 Depth=1
	v_lshrrev_b32_e32 v2, 24, v10
	v_bfrev_b32_e32 v49, 1
	s_mov_b32 s18, exec_lo
	v_cmpx_ne_u32_e32 0x80, v2
	s_cbranch_execz .LBB269_784
; %bb.779:                              ;   in Loop: Header=BB269_554 Depth=1
	v_and_b32_e32 v52, 0x7f, v2
	v_mov_b32_e32 v49, 0x7c010000
	s_mov_b32 s21, exec_lo
	v_cmpx_ne_u32_e32 0x7f, v52
	s_cbranch_execz .LBB269_783
; %bb.780:                              ;   in Loop: Header=BB269_554 Depth=1
	v_and_b32_e32 v49, 7, v2
	v_lshrrev_b32_e32 v51, 3, v52
	s_mov_b32 s22, exec_lo
	v_cmpx_gt_u32_e32 8, v52
; %bb.781:                              ;   in Loop: Header=BB269_554 Depth=1
	v_ffbh_u32_e32 v49, v49
	v_min_u32_e32 v49, 32, v49
	v_subrev_nc_u32_e32 v51, 28, v49
	v_lshlrev_b64 v[52:53], v51, v[2:3]
	v_sub_nc_u32_e32 v51, 29, v49
	v_and_b32_e32 v49, 7, v52
; %bb.782:                              ;   in Loop: Header=BB269_554 Depth=1
	s_or_b32 exec_lo, exec_lo, s22
	v_lshlrev_b32_e32 v2, 8, v2
	v_lshl_add_u32 v51, v51, 10, 0x2000
	v_lshlrev_b32_e32 v49, 23, v49
	v_and_or_b32 v2, 0x8000, v2, v51
	v_lshl_or_b32 v49, v2, 16, v49
.LBB269_783:                            ;   in Loop: Header=BB269_554 Depth=1
	s_or_b32 exec_lo, exec_lo, s21
.LBB269_784:                            ;   in Loop: Header=BB269_554 Depth=1
	s_or_b32 exec_lo, exec_lo, s18
.LBB269_785:                            ;   in Loop: Header=BB269_554 Depth=1
	s_or_b32 exec_lo, exec_lo, s17
	v_mov_b32_e32 v2, v11
	v_cmp_ne_u16_sdwa s0, v11, v3 src0_sel:BYTE_0 src1_sel:DWORD
	v_mov_b32_e32 v51, 0
	v_mov_b32_e32 v52, 0
	s_and_saveexec_b32 s17, s0
	s_cbranch_execz .LBB269_793
; %bb.786:                              ;   in Loop: Header=BB269_554 Depth=1
	v_cmp_ne_u16_sdwa s0, v11, v24 src0_sel:BYTE_0 src1_sel:DWORD
	v_mov_b32_e32 v52, 0x8000
	s_and_saveexec_b32 s18, s0
	s_cbranch_execz .LBB269_792
; %bb.787:                              ;   in Loop: Header=BB269_554 Depth=1
	v_and_b32_e32 v54, 0x7f, v11
	v_mov_b32_e32 v52, 0x7c01
	s_mov_b32 s21, exec_lo
	v_cmpx_ne_u32_e32 0x7f, v54
	s_cbranch_execz .LBB269_791
; %bb.788:                              ;   in Loop: Header=BB269_554 Depth=1
	v_and_b32_e32 v52, 7, v11
	v_lshrrev_b32_e32 v53, 3, v54
	s_mov_b32 s22, exec_lo
	v_cmpx_gt_u32_e32 8, v54
; %bb.789:                              ;   in Loop: Header=BB269_554 Depth=1
	v_ffbh_u32_e32 v52, v52
	v_min_u32_e32 v54, 32, v52
	v_subrev_nc_u32_e32 v52, 28, v54
	v_lshlrev_b64 v[52:53], v52, v[2:3]
	v_sub_nc_u32_e32 v53, 29, v54
	v_and_b32_e32 v52, 7, v52
; %bb.790:                              ;   in Loop: Header=BB269_554 Depth=1
	s_or_b32 exec_lo, exec_lo, s22
	v_lshlrev_b32_e32 v54, 8, v11
	v_lshl_add_u32 v53, v53, 10, 0x2000
	v_lshlrev_b32_e32 v52, 7, v52
	v_and_b32_e32 v54, 0x8000, v54
	v_and_b32_e32 v53, 0xfc00, v53
	v_or3_b32 v52, v54, v53, v52
.LBB269_791:                            ;   in Loop: Header=BB269_554 Depth=1
	s_or_b32 exec_lo, exec_lo, s21
.LBB269_792:                            ;   in Loop: Header=BB269_554 Depth=1
	s_or_b32 exec_lo, exec_lo, s18
.LBB269_793:                            ;   in Loop: Header=BB269_554 Depth=1
	s_or_b32 exec_lo, exec_lo, s17
	v_lshrrev_b16 v2, 8, v2
	v_mov_b32_e32 v53, 0
	s_mov_b32 s17, exec_lo
	v_cmpx_ne_u16_e32 0, v2
	s_cbranch_execz .LBB269_801
; %bb.794:                              ;   in Loop: Header=BB269_554 Depth=1
	v_bfrev_b32_e32 v53, 1
	s_mov_b32 s18, exec_lo
	v_cmpx_ne_u16_e32 0x80, v2
	s_cbranch_execz .LBB269_800
; %bb.795:                              ;   in Loop: Header=BB269_554 Depth=1
	v_and_b32_sdwa v55, v2, v25 dst_sel:DWORD dst_unused:UNUSED_PAD src0_sel:WORD_0 src1_sel:DWORD
	v_mov_b32_e32 v53, 0x7c010000
	s_mov_b32 s21, exec_lo
	v_cmpx_ne_u32_e32 0x7f, v55
	s_cbranch_execz .LBB269_799
; %bb.796:                              ;   in Loop: Header=BB269_554 Depth=1
	v_and_b32_sdwa v53, v2, v26 dst_sel:DWORD dst_unused:UNUSED_PAD src0_sel:WORD_0 src1_sel:DWORD
	v_lshrrev_b32_e32 v54, 3, v55
	s_mov_b32 s22, exec_lo
	v_cmpx_gt_u32_e32 8, v55
; %bb.797:                              ;   in Loop: Header=BB269_554 Depth=1
	v_ffbh_u32_e32 v53, v53
	v_min_u32_e32 v55, 32, v53
	v_subrev_nc_u32_e32 v53, 28, v55
	v_lshlrev_b64 v[53:54], v53, v[2:3]
	v_sub_nc_u32_e32 v54, 29, v55
	v_and_b32_e32 v53, 7, v53
; %bb.798:                              ;   in Loop: Header=BB269_554 Depth=1
	s_or_b32 exec_lo, exec_lo, s22
	v_lshlrev_b32_sdwa v2, v27, v2 dst_sel:DWORD dst_unused:UNUSED_PAD src0_sel:DWORD src1_sel:WORD_0
	v_lshl_add_u32 v54, v54, 10, 0x2000
	v_lshlrev_b32_e32 v53, 23, v53
	v_and_or_b32 v2, 0x8000, v2, v54
	v_lshl_or_b32 v53, v2, 16, v53
.LBB269_799:                            ;   in Loop: Header=BB269_554 Depth=1
	s_or_b32 exec_lo, exec_lo, s21
.LBB269_800:                            ;   in Loop: Header=BB269_554 Depth=1
	s_or_b32 exec_lo, exec_lo, s18
.LBB269_801:                            ;   in Loop: Header=BB269_554 Depth=1
	s_or_b32 exec_lo, exec_lo, s17
	v_lshrrev_b32_e32 v2, 16, v11
	v_cmp_ne_u16_sdwa s0, v2, v3 src0_sel:BYTE_0 src1_sel:DWORD
	s_and_saveexec_b32 s17, s0
	s_cbranch_execz .LBB269_809
; %bb.802:                              ;   in Loop: Header=BB269_554 Depth=1
	v_cmp_ne_u16_sdwa s0, v2, v24 src0_sel:BYTE_0 src1_sel:DWORD
	v_mov_b32_e32 v51, 0x8000
	s_and_saveexec_b32 s18, s0
	s_cbranch_execz .LBB269_808
; %bb.803:                              ;   in Loop: Header=BB269_554 Depth=1
	v_bfe_u32 v55, v11, 16, 7
	v_mov_b32_e32 v51, 0x7c01
	s_mov_b32 s21, exec_lo
	v_cmpx_ne_u32_e32 0x7f, v55
	s_cbranch_execz .LBB269_807
; %bb.804:                              ;   in Loop: Header=BB269_554 Depth=1
	v_and_b32_e32 v51, 7, v2
	v_lshrrev_b32_e32 v54, 3, v55
	s_mov_b32 s22, exec_lo
	v_cmpx_gt_u32_e32 8, v55
; %bb.805:                              ;   in Loop: Header=BB269_554 Depth=1
	v_ffbh_u32_e32 v51, v51
	v_min_u32_e32 v51, 32, v51
	v_subrev_nc_u32_e32 v54, 28, v51
	v_lshlrev_b64 v[55:56], v54, v[2:3]
	v_sub_nc_u32_e32 v54, 29, v51
	v_and_b32_e32 v51, 7, v55
; %bb.806:                              ;   in Loop: Header=BB269_554 Depth=1
	s_or_b32 exec_lo, exec_lo, s22
	v_lshlrev_b32_e32 v2, 8, v2
	v_lshl_add_u32 v54, v54, 10, 0x2000
	v_lshlrev_b32_e32 v51, 7, v51
	v_and_b32_e32 v2, 0x8000, v2
	v_and_b32_e32 v54, 0xfc00, v54
	v_or3_b32 v51, v2, v54, v51
.LBB269_807:                            ;   in Loop: Header=BB269_554 Depth=1
	s_or_b32 exec_lo, exec_lo, s21
.LBB269_808:                            ;   in Loop: Header=BB269_554 Depth=1
	s_or_b32 exec_lo, exec_lo, s18
.LBB269_809:                            ;   in Loop: Header=BB269_554 Depth=1
	s_or_b32 exec_lo, exec_lo, s17
	v_cmp_lt_u64_e64 s0, s[4:5], v[10:11]
	v_mov_b32_e32 v10, 0
	s_and_saveexec_b32 s17, s0
	s_cbranch_execz .LBB269_817
; %bb.810:                              ;   in Loop: Header=BB269_554 Depth=1
	v_lshrrev_b32_e32 v2, 24, v11
	v_bfrev_b32_e32 v10, 1
	s_mov_b32 s18, exec_lo
	v_cmpx_ne_u32_e32 0x80, v2
	s_cbranch_execz .LBB269_816
; %bb.811:                              ;   in Loop: Header=BB269_554 Depth=1
	v_and_b32_e32 v54, 0x7f, v2
	v_mov_b32_e32 v10, 0x7c010000
	s_mov_b32 s21, exec_lo
	v_cmpx_ne_u32_e32 0x7f, v54
	s_cbranch_execz .LBB269_815
; %bb.812:                              ;   in Loop: Header=BB269_554 Depth=1
	v_and_b32_e32 v10, 7, v2
	v_lshrrev_b32_e32 v11, 3, v54
	s_mov_b32 s22, exec_lo
	v_cmpx_gt_u32_e32 8, v54
; %bb.813:                              ;   in Loop: Header=BB269_554 Depth=1
	v_ffbh_u32_e32 v10, v10
	v_min_u32_e32 v54, 32, v10
	v_subrev_nc_u32_e32 v10, 28, v54
	v_lshlrev_b64 v[10:11], v10, v[2:3]
	v_sub_nc_u32_e32 v11, 29, v54
	v_and_b32_e32 v10, 7, v10
; %bb.814:                              ;   in Loop: Header=BB269_554 Depth=1
	s_or_b32 exec_lo, exec_lo, s22
	v_lshlrev_b32_e32 v2, 8, v2
	v_lshl_add_u32 v11, v11, 10, 0x2000
	v_lshlrev_b32_e32 v10, 23, v10
	v_and_or_b32 v2, 0x8000, v2, v11
	v_lshl_or_b32 v10, v2, 16, v10
.LBB269_815:                            ;   in Loop: Header=BB269_554 Depth=1
	s_or_b32 exec_lo, exec_lo, s21
.LBB269_816:                            ;   in Loop: Header=BB269_554 Depth=1
	s_or_b32 exec_lo, exec_lo, s18
.LBB269_817:                            ;   in Loop: Header=BB269_554 Depth=1
	s_or_b32 exec_lo, exec_lo, s17
	v_or_b32_e32 v2, v49, v50
	s_waitcnt vmcnt(0)
	v_fma_mixlo_f16 v11, v46, v49, 0 op_sel:[0,1,0] op_sel_hi:[0,1,0]
	v_or_b32_e32 v49, v47, v48
	v_fma_mixlo_f16 v47, v46, v47, 0 op_sel:[0,1,0] op_sel_hi:[0,1,0]
	v_or_b32_e32 v50, v53, v52
	v_or_b32_e32 v51, v10, v51
	v_fma_mixlo_f16 v52, v46, v2, 0 op_sel_hi:[0,1,0]
	v_fma_mixlo_f16 v10, v46, v10, 0 op_sel:[0,1,0] op_sel_hi:[0,1,0]
	v_lshlrev_b32_e32 v48, 16, v47
	v_fma_mixlo_f16 v47, v46, v49, 0 op_sel_hi:[0,1,0]
	v_fma_mixlo_f16 v49, v46, v53, 0 op_sel:[0,1,0] op_sel_hi:[0,1,0]
	v_fma_mixlo_f16 v50, v46, v50, 0 op_sel_hi:[0,1,0]
	v_fma_mixlo_f16 v51, v46, v51, 0 op_sel_hi:[0,1,0]
	v_lshlrev_b32_e32 v2, 16, v11
	v_and_b32_e32 v11, 0xffff, v52
	v_and_b32_e32 v54, 0xffff, v47
	v_lshlrev_b32_e32 v46, 16, v49
	v_and_b32_e32 v50, 0xffff, v50
	v_lshlrev_b32_e32 v10, 16, v10
	v_and_b32_e32 v47, 0xffff, v51
	v_or_b32_e32 v49, v2, v11
	v_or_b32_e32 v53, v48, v54
	;; [unrolled: 1-line block ×4, first 2 shown]
	s_and_saveexec_b32 s17, vcc_lo
	s_cbranch_execz .LBB269_819
; %bb.818:                              ;   in Loop: Header=BB269_554 Depth=1
	v_cmp_gt_i32_e64 s0, s31, v13
	v_cndmask_b32_e64 v49, 0, v54, s0
	v_cmp_gt_i32_e64 s0, s31, v36
	v_cndmask_b32_e64 v48, 0, v48, s0
	v_cmp_gt_i32_e64 s0, s31, v34
	v_or_b32_e32 v53, v48, v49
	v_cndmask_b32_e64 v11, 0, v11, s0
	v_cmp_gt_i32_e64 s0, s31, v33
	v_cndmask_b32_e64 v2, 0, v2, s0
	v_cmp_gt_i32_e64 s0, s31, v32
	v_or_b32_e32 v49, v2, v11
	;; [unrolled: 5-line block ×3, first 2 shown]
	v_cndmask_b32_e64 v47, 0, v47, s0
	v_cmp_gt_i32_e64 s0, s31, v29
	v_cndmask_b32_e64 v10, 0, v10, s0
	v_or_b32_e32 v51, v10, v47
.LBB269_819:                            ;   in Loop: Header=BB269_554 Depth=1
	s_or_b32 exec_lo, exec_lo, s17
	;;#ASMSTART
	v_pk_mul_f16 v2, v41, v53;

	;;#ASMEND
	;;#ASMSTART
	v_pk_mul_f16 v10, v40, v49;

	;;#ASMEND
	;; [unrolled: 4-line block ×4, first 2 shown]
	;;#ASMSTART
	v_pk_add_f16 v2, v2, v10;

	;;#ASMEND
	;;#ASMSTART
	v_pk_add_f16 v2, v2, v11;

	;;#ASMEND
	;; [unrolled: 4-line block ×3, first 2 shown]
	v_and_b32_e32 v10, 0xffff, v2
	v_lshrrev_b32_e32 v2, 16, v2
	;;#ASMSTART
	v_cvt_f32_f16 v46, v10;
	;;#ASMEND
	;;#ASMSTART
	v_cvt_f32_f16 v47, v2;
	;;#ASMEND
	global_load_dwordx2 v[10:11], v[8:9], off offset:1024
	v_mov_b32_e32 v49, 0
	v_mov_b32_e32 v50, 0
	global_load_dword v48, v49, s[14:15]
	s_waitcnt vmcnt(1)
	v_cmp_ne_u16_sdwa s0, v10, v3 src0_sel:BYTE_0 src1_sel:DWORD
	s_and_saveexec_b32 s17, s0
	s_cbranch_execz .LBB269_827
; %bb.820:                              ;   in Loop: Header=BB269_554 Depth=1
	v_cmp_ne_u16_sdwa s0, v10, v24 src0_sel:BYTE_0 src1_sel:DWORD
	v_mov_b32_e32 v50, 0x8000
	s_and_saveexec_b32 s18, s0
	s_cbranch_execz .LBB269_826
; %bb.821:                              ;   in Loop: Header=BB269_554 Depth=1
	v_and_b32_e32 v51, 0x7f, v10
	v_mov_b32_e32 v50, 0x7c01
	s_mov_b32 s21, exec_lo
	v_cmpx_ne_u32_e32 0x7f, v51
	s_cbranch_execz .LBB269_825
; %bb.822:                              ;   in Loop: Header=BB269_554 Depth=1
	v_and_b32_e32 v2, 7, v10
	v_lshrrev_b32_e32 v50, 3, v51
	s_mov_b32 s22, exec_lo
	v_cmpx_gt_u32_e32 8, v51
; %bb.823:                              ;   in Loop: Header=BB269_554 Depth=1
	v_ffbh_u32_e32 v2, v2
	v_min_u32_e32 v2, 32, v2
	v_subrev_nc_u32_e32 v50, 28, v2
	v_lshlrev_b64 v[51:52], v50, v[10:11]
	v_sub_nc_u32_e32 v50, 29, v2
	v_and_b32_e32 v2, 7, v51
; %bb.824:                              ;   in Loop: Header=BB269_554 Depth=1
	s_or_b32 exec_lo, exec_lo, s22
	v_lshlrev_b32_e32 v51, 8, v10
	v_lshl_add_u32 v50, v50, 10, 0x2000
	v_lshlrev_b32_e32 v2, 7, v2
	v_and_b32_e32 v51, 0x8000, v51
	v_and_b32_e32 v50, 0xfc00, v50
	v_or3_b32 v50, v51, v50, v2
.LBB269_825:                            ;   in Loop: Header=BB269_554 Depth=1
	s_or_b32 exec_lo, exec_lo, s21
.LBB269_826:                            ;   in Loop: Header=BB269_554 Depth=1
	s_or_b32 exec_lo, exec_lo, s18
.LBB269_827:                            ;   in Loop: Header=BB269_554 Depth=1
	s_or_b32 exec_lo, exec_lo, s17
	v_lshrrev_b16 v2, 8, v10
	s_mov_b32 s17, exec_lo
	v_cmpx_ne_u16_e32 0, v2
	s_cbranch_execz .LBB269_835
; %bb.828:                              ;   in Loop: Header=BB269_554 Depth=1
	v_bfrev_b32_e32 v49, 1
	s_mov_b32 s18, exec_lo
	v_cmpx_ne_u16_e32 0x80, v2
	s_cbranch_execz .LBB269_834
; %bb.829:                              ;   in Loop: Header=BB269_554 Depth=1
	v_and_b32_sdwa v52, v2, v25 dst_sel:DWORD dst_unused:UNUSED_PAD src0_sel:WORD_0 src1_sel:DWORD
	v_mov_b32_e32 v49, 0x7c010000
	s_mov_b32 s21, exec_lo
	v_cmpx_ne_u32_e32 0x7f, v52
	s_cbranch_execz .LBB269_833
; %bb.830:                              ;   in Loop: Header=BB269_554 Depth=1
	v_and_b32_sdwa v49, v2, v26 dst_sel:DWORD dst_unused:UNUSED_PAD src0_sel:WORD_0 src1_sel:DWORD
	v_lshrrev_b32_e32 v51, 3, v52
	s_mov_b32 s22, exec_lo
	v_cmpx_gt_u32_e32 8, v52
; %bb.831:                              ;   in Loop: Header=BB269_554 Depth=1
	v_ffbh_u32_e32 v49, v49
	v_min_u32_e32 v49, 32, v49
	v_subrev_nc_u32_e32 v51, 28, v49
	v_lshlrev_b64 v[52:53], v51, v[2:3]
	v_sub_nc_u32_e32 v51, 29, v49
	v_and_b32_e32 v49, 7, v52
; %bb.832:                              ;   in Loop: Header=BB269_554 Depth=1
	s_or_b32 exec_lo, exec_lo, s22
	v_lshlrev_b32_sdwa v2, v27, v2 dst_sel:DWORD dst_unused:UNUSED_PAD src0_sel:DWORD src1_sel:WORD_0
	v_lshl_add_u32 v51, v51, 10, 0x2000
	v_lshlrev_b32_e32 v49, 23, v49
	v_and_or_b32 v2, 0x8000, v2, v51
	v_lshl_or_b32 v49, v2, 16, v49
.LBB269_833:                            ;   in Loop: Header=BB269_554 Depth=1
	s_or_b32 exec_lo, exec_lo, s21
.LBB269_834:                            ;   in Loop: Header=BB269_554 Depth=1
	s_or_b32 exec_lo, exec_lo, s18
.LBB269_835:                            ;   in Loop: Header=BB269_554 Depth=1
	s_or_b32 exec_lo, exec_lo, s17
	v_lshrrev_b32_e32 v2, 16, v10
	v_mov_b32_e32 v51, 0
	v_mov_b32_e32 v52, 0
	v_cmp_ne_u16_sdwa s0, v2, v3 src0_sel:BYTE_0 src1_sel:DWORD
	s_and_saveexec_b32 s17, s0
	s_cbranch_execz .LBB269_843
; %bb.836:                              ;   in Loop: Header=BB269_554 Depth=1
	v_cmp_ne_u16_sdwa s0, v2, v24 src0_sel:BYTE_0 src1_sel:DWORD
	v_mov_b32_e32 v52, 0x8000
	s_and_saveexec_b32 s18, s0
	s_cbranch_execz .LBB269_842
; %bb.837:                              ;   in Loop: Header=BB269_554 Depth=1
	v_bfe_u32 v54, v10, 16, 7
	v_mov_b32_e32 v52, 0x7c01
	s_mov_b32 s21, exec_lo
	v_cmpx_ne_u32_e32 0x7f, v54
	s_cbranch_execz .LBB269_841
; %bb.838:                              ;   in Loop: Header=BB269_554 Depth=1
	v_and_b32_e32 v52, 7, v2
	v_lshrrev_b32_e32 v53, 3, v54
	s_mov_b32 s22, exec_lo
	v_cmpx_gt_u32_e32 8, v54
; %bb.839:                              ;   in Loop: Header=BB269_554 Depth=1
	v_ffbh_u32_e32 v52, v52
	v_min_u32_e32 v54, 32, v52
	v_subrev_nc_u32_e32 v52, 28, v54
	v_lshlrev_b64 v[52:53], v52, v[2:3]
	v_sub_nc_u32_e32 v53, 29, v54
	v_and_b32_e32 v52, 7, v52
; %bb.840:                              ;   in Loop: Header=BB269_554 Depth=1
	s_or_b32 exec_lo, exec_lo, s22
	v_lshlrev_b32_e32 v2, 8, v2
	v_lshl_add_u32 v53, v53, 10, 0x2000
	v_lshlrev_b32_e32 v52, 7, v52
	v_and_b32_e32 v2, 0x8000, v2
	v_and_b32_e32 v53, 0xfc00, v53
	v_or3_b32 v52, v2, v53, v52
.LBB269_841:                            ;   in Loop: Header=BB269_554 Depth=1
	s_or_b32 exec_lo, exec_lo, s21
.LBB269_842:                            ;   in Loop: Header=BB269_554 Depth=1
	s_or_b32 exec_lo, exec_lo, s18
.LBB269_843:                            ;   in Loop: Header=BB269_554 Depth=1
	s_or_b32 exec_lo, exec_lo, s17
	s_mov_b32 s17, exec_lo
	v_cmpx_lt_u32_e32 0xffffff, v10
	s_cbranch_execz .LBB269_851
; %bb.844:                              ;   in Loop: Header=BB269_554 Depth=1
	v_lshrrev_b32_e32 v2, 24, v10
	v_bfrev_b32_e32 v51, 1
	s_mov_b32 s18, exec_lo
	v_cmpx_ne_u32_e32 0x80, v2
	s_cbranch_execz .LBB269_850
; %bb.845:                              ;   in Loop: Header=BB269_554 Depth=1
	v_and_b32_e32 v54, 0x7f, v2
	v_mov_b32_e32 v51, 0x7c010000
	s_mov_b32 s21, exec_lo
	v_cmpx_ne_u32_e32 0x7f, v54
	s_cbranch_execz .LBB269_849
; %bb.846:                              ;   in Loop: Header=BB269_554 Depth=1
	v_and_b32_e32 v51, 7, v2
	v_lshrrev_b32_e32 v53, 3, v54
	s_mov_b32 s22, exec_lo
	v_cmpx_gt_u32_e32 8, v54
; %bb.847:                              ;   in Loop: Header=BB269_554 Depth=1
	v_ffbh_u32_e32 v51, v51
	v_min_u32_e32 v51, 32, v51
	v_subrev_nc_u32_e32 v53, 28, v51
	v_lshlrev_b64 v[54:55], v53, v[2:3]
	v_sub_nc_u32_e32 v53, 29, v51
	v_and_b32_e32 v51, 7, v54
; %bb.848:                              ;   in Loop: Header=BB269_554 Depth=1
	s_or_b32 exec_lo, exec_lo, s22
	v_lshlrev_b32_e32 v2, 8, v2
	v_lshl_add_u32 v53, v53, 10, 0x2000
	v_lshlrev_b32_e32 v51, 23, v51
	v_and_or_b32 v2, 0x8000, v2, v53
	v_lshl_or_b32 v51, v2, 16, v51
.LBB269_849:                            ;   in Loop: Header=BB269_554 Depth=1
	s_or_b32 exec_lo, exec_lo, s21
.LBB269_850:                            ;   in Loop: Header=BB269_554 Depth=1
	s_or_b32 exec_lo, exec_lo, s18
.LBB269_851:                            ;   in Loop: Header=BB269_554 Depth=1
	s_or_b32 exec_lo, exec_lo, s17
	v_mov_b32_e32 v2, v11
	v_cmp_ne_u16_sdwa s0, v11, v3 src0_sel:BYTE_0 src1_sel:DWORD
	v_mov_b32_e32 v53, 0
	v_mov_b32_e32 v54, 0
	s_and_saveexec_b32 s17, s0
	s_cbranch_execz .LBB269_859
; %bb.852:                              ;   in Loop: Header=BB269_554 Depth=1
	v_cmp_ne_u16_sdwa s0, v11, v24 src0_sel:BYTE_0 src1_sel:DWORD
	v_mov_b32_e32 v54, 0x8000
	s_and_saveexec_b32 s18, s0
	s_cbranch_execz .LBB269_858
; %bb.853:                              ;   in Loop: Header=BB269_554 Depth=1
	v_and_b32_e32 v56, 0x7f, v11
	v_mov_b32_e32 v54, 0x7c01
	s_mov_b32 s21, exec_lo
	v_cmpx_ne_u32_e32 0x7f, v56
	s_cbranch_execz .LBB269_857
; %bb.854:                              ;   in Loop: Header=BB269_554 Depth=1
	v_and_b32_e32 v54, 7, v11
	v_lshrrev_b32_e32 v55, 3, v56
	s_mov_b32 s22, exec_lo
	v_cmpx_gt_u32_e32 8, v56
; %bb.855:                              ;   in Loop: Header=BB269_554 Depth=1
	v_ffbh_u32_e32 v54, v54
	v_min_u32_e32 v56, 32, v54
	v_subrev_nc_u32_e32 v54, 28, v56
	v_lshlrev_b64 v[54:55], v54, v[2:3]
	v_sub_nc_u32_e32 v55, 29, v56
	v_and_b32_e32 v54, 7, v54
; %bb.856:                              ;   in Loop: Header=BB269_554 Depth=1
	s_or_b32 exec_lo, exec_lo, s22
	v_lshlrev_b32_e32 v56, 8, v11
	v_lshl_add_u32 v55, v55, 10, 0x2000
	v_lshlrev_b32_e32 v54, 7, v54
	v_and_b32_e32 v56, 0x8000, v56
	v_and_b32_e32 v55, 0xfc00, v55
	v_or3_b32 v54, v56, v55, v54
.LBB269_857:                            ;   in Loop: Header=BB269_554 Depth=1
	s_or_b32 exec_lo, exec_lo, s21
.LBB269_858:                            ;   in Loop: Header=BB269_554 Depth=1
	s_or_b32 exec_lo, exec_lo, s18
.LBB269_859:                            ;   in Loop: Header=BB269_554 Depth=1
	s_or_b32 exec_lo, exec_lo, s17
	v_lshrrev_b16 v2, 8, v2
	v_mov_b32_e32 v55, 0
	s_mov_b32 s17, exec_lo
	v_cmpx_ne_u16_e32 0, v2
	s_cbranch_execz .LBB269_867
; %bb.860:                              ;   in Loop: Header=BB269_554 Depth=1
	v_bfrev_b32_e32 v55, 1
	s_mov_b32 s18, exec_lo
	v_cmpx_ne_u16_e32 0x80, v2
	s_cbranch_execz .LBB269_866
; %bb.861:                              ;   in Loop: Header=BB269_554 Depth=1
	v_and_b32_sdwa v57, v2, v25 dst_sel:DWORD dst_unused:UNUSED_PAD src0_sel:WORD_0 src1_sel:DWORD
	v_mov_b32_e32 v55, 0x7c010000
	s_mov_b32 s21, exec_lo
	v_cmpx_ne_u32_e32 0x7f, v57
	s_cbranch_execz .LBB269_865
; %bb.862:                              ;   in Loop: Header=BB269_554 Depth=1
	v_and_b32_sdwa v55, v2, v26 dst_sel:DWORD dst_unused:UNUSED_PAD src0_sel:WORD_0 src1_sel:DWORD
	v_lshrrev_b32_e32 v56, 3, v57
	s_mov_b32 s22, exec_lo
	v_cmpx_gt_u32_e32 8, v57
; %bb.863:                              ;   in Loop: Header=BB269_554 Depth=1
	v_ffbh_u32_e32 v55, v55
	v_min_u32_e32 v57, 32, v55
	v_subrev_nc_u32_e32 v55, 28, v57
	v_lshlrev_b64 v[55:56], v55, v[2:3]
	v_sub_nc_u32_e32 v56, 29, v57
	v_and_b32_e32 v55, 7, v55
; %bb.864:                              ;   in Loop: Header=BB269_554 Depth=1
	s_or_b32 exec_lo, exec_lo, s22
	v_lshlrev_b32_sdwa v2, v27, v2 dst_sel:DWORD dst_unused:UNUSED_PAD src0_sel:DWORD src1_sel:WORD_0
	v_lshl_add_u32 v56, v56, 10, 0x2000
	v_lshlrev_b32_e32 v55, 23, v55
	v_and_or_b32 v2, 0x8000, v2, v56
	v_lshl_or_b32 v55, v2, 16, v55
.LBB269_865:                            ;   in Loop: Header=BB269_554 Depth=1
	s_or_b32 exec_lo, exec_lo, s21
.LBB269_866:                            ;   in Loop: Header=BB269_554 Depth=1
	s_or_b32 exec_lo, exec_lo, s18
.LBB269_867:                            ;   in Loop: Header=BB269_554 Depth=1
	s_or_b32 exec_lo, exec_lo, s17
	v_lshrrev_b32_e32 v2, 16, v11
	v_cmp_ne_u16_sdwa s0, v2, v3 src0_sel:BYTE_0 src1_sel:DWORD
	s_and_saveexec_b32 s17, s0
	s_cbranch_execz .LBB269_875
; %bb.868:                              ;   in Loop: Header=BB269_554 Depth=1
	v_cmp_ne_u16_sdwa s0, v2, v24 src0_sel:BYTE_0 src1_sel:DWORD
	v_mov_b32_e32 v53, 0x8000
	s_and_saveexec_b32 s18, s0
	s_cbranch_execz .LBB269_874
; %bb.869:                              ;   in Loop: Header=BB269_554 Depth=1
	v_bfe_u32 v57, v11, 16, 7
	v_mov_b32_e32 v53, 0x7c01
	s_mov_b32 s21, exec_lo
	v_cmpx_ne_u32_e32 0x7f, v57
	s_cbranch_execz .LBB269_873
; %bb.870:                              ;   in Loop: Header=BB269_554 Depth=1
	v_and_b32_e32 v53, 7, v2
	v_lshrrev_b32_e32 v56, 3, v57
	s_mov_b32 s22, exec_lo
	v_cmpx_gt_u32_e32 8, v57
; %bb.871:                              ;   in Loop: Header=BB269_554 Depth=1
	v_ffbh_u32_e32 v53, v53
	v_min_u32_e32 v53, 32, v53
	v_subrev_nc_u32_e32 v56, 28, v53
	v_lshlrev_b64 v[57:58], v56, v[2:3]
	v_sub_nc_u32_e32 v56, 29, v53
	v_and_b32_e32 v53, 7, v57
; %bb.872:                              ;   in Loop: Header=BB269_554 Depth=1
	s_or_b32 exec_lo, exec_lo, s22
	v_lshlrev_b32_e32 v2, 8, v2
	v_lshl_add_u32 v56, v56, 10, 0x2000
	v_lshlrev_b32_e32 v53, 7, v53
	v_and_b32_e32 v2, 0x8000, v2
	v_and_b32_e32 v56, 0xfc00, v56
	v_or3_b32 v53, v2, v56, v53
.LBB269_873:                            ;   in Loop: Header=BB269_554 Depth=1
	s_or_b32 exec_lo, exec_lo, s21
.LBB269_874:                            ;   in Loop: Header=BB269_554 Depth=1
	s_or_b32 exec_lo, exec_lo, s18
.LBB269_875:                            ;   in Loop: Header=BB269_554 Depth=1
	s_or_b32 exec_lo, exec_lo, s17
	v_cmp_lt_u64_e64 s0, s[4:5], v[10:11]
	v_mov_b32_e32 v10, 0
	s_and_saveexec_b32 s17, s0
	s_cbranch_execz .LBB269_883
; %bb.876:                              ;   in Loop: Header=BB269_554 Depth=1
	v_lshrrev_b32_e32 v2, 24, v11
	v_bfrev_b32_e32 v10, 1
	s_mov_b32 s18, exec_lo
	v_cmpx_ne_u32_e32 0x80, v2
	s_cbranch_execz .LBB269_882
; %bb.877:                              ;   in Loop: Header=BB269_554 Depth=1
	v_and_b32_e32 v56, 0x7f, v2
	v_mov_b32_e32 v10, 0x7c010000
	s_mov_b32 s21, exec_lo
	v_cmpx_ne_u32_e32 0x7f, v56
	s_cbranch_execz .LBB269_881
; %bb.878:                              ;   in Loop: Header=BB269_554 Depth=1
	v_and_b32_e32 v10, 7, v2
	v_lshrrev_b32_e32 v11, 3, v56
	s_mov_b32 s22, exec_lo
	v_cmpx_gt_u32_e32 8, v56
; %bb.879:                              ;   in Loop: Header=BB269_554 Depth=1
	v_ffbh_u32_e32 v10, v10
	v_min_u32_e32 v56, 32, v10
	v_subrev_nc_u32_e32 v10, 28, v56
	v_lshlrev_b64 v[10:11], v10, v[2:3]
	v_sub_nc_u32_e32 v11, 29, v56
	v_and_b32_e32 v10, 7, v10
; %bb.880:                              ;   in Loop: Header=BB269_554 Depth=1
	s_or_b32 exec_lo, exec_lo, s22
	v_lshlrev_b32_e32 v2, 8, v2
	v_lshl_add_u32 v11, v11, 10, 0x2000
	v_lshlrev_b32_e32 v10, 23, v10
	v_and_or_b32 v2, 0x8000, v2, v11
	v_lshl_or_b32 v10, v2, 16, v10
.LBB269_881:                            ;   in Loop: Header=BB269_554 Depth=1
	s_or_b32 exec_lo, exec_lo, s21
.LBB269_882:                            ;   in Loop: Header=BB269_554 Depth=1
	s_or_b32 exec_lo, exec_lo, s18
.LBB269_883:                            ;   in Loop: Header=BB269_554 Depth=1
	s_or_b32 exec_lo, exec_lo, s17
	v_or_b32_e32 v2, v51, v52
	s_waitcnt vmcnt(0)
	v_fma_mixlo_f16 v11, v48, v51, 0 op_sel:[0,1,0] op_sel_hi:[0,1,0]
	v_or_b32_e32 v51, v49, v50
	v_fma_mixlo_f16 v49, v48, v49, 0 op_sel:[0,1,0] op_sel_hi:[0,1,0]
	v_or_b32_e32 v52, v55, v54
	v_or_b32_e32 v53, v10, v53
	v_fma_mixlo_f16 v54, v48, v2, 0 op_sel_hi:[0,1,0]
	v_fma_mixlo_f16 v10, v48, v10, 0 op_sel:[0,1,0] op_sel_hi:[0,1,0]
	v_lshlrev_b32_e32 v50, 16, v49
	v_fma_mixlo_f16 v49, v48, v51, 0 op_sel_hi:[0,1,0]
	v_fma_mixlo_f16 v51, v48, v55, 0 op_sel:[0,1,0] op_sel_hi:[0,1,0]
	v_fma_mixlo_f16 v52, v48, v52, 0 op_sel_hi:[0,1,0]
	v_fma_mixlo_f16 v53, v48, v53, 0 op_sel_hi:[0,1,0]
	v_lshlrev_b32_e32 v2, 16, v11
	v_and_b32_e32 v11, 0xffff, v54
	v_and_b32_e32 v56, 0xffff, v49
	v_lshlrev_b32_e32 v48, 16, v51
	v_and_b32_e32 v52, 0xffff, v52
	v_lshlrev_b32_e32 v10, 16, v10
	v_and_b32_e32 v49, 0xffff, v53
	v_or_b32_e32 v51, v2, v11
	v_or_b32_e32 v55, v50, v56
	v_or_b32_e32 v54, v48, v52
	v_or_b32_e32 v53, v10, v49
	s_and_saveexec_b32 s17, vcc_lo
	s_cbranch_execz .LBB269_885
; %bb.884:                              ;   in Loop: Header=BB269_554 Depth=1
	v_cmp_gt_i32_e64 s0, s31, v13
	v_cndmask_b32_e64 v51, 0, v56, s0
	v_cmp_gt_i32_e64 s0, s31, v36
	v_cndmask_b32_e64 v50, 0, v50, s0
	v_cmp_gt_i32_e64 s0, s31, v34
	v_or_b32_e32 v55, v50, v51
	v_cndmask_b32_e64 v11, 0, v11, s0
	v_cmp_gt_i32_e64 s0, s31, v33
	v_cndmask_b32_e64 v2, 0, v2, s0
	v_cmp_gt_i32_e64 s0, s31, v32
	v_or_b32_e32 v51, v2, v11
	;; [unrolled: 5-line block ×3, first 2 shown]
	v_cndmask_b32_e64 v49, 0, v49, s0
	v_cmp_gt_i32_e64 s0, s31, v29
	v_cndmask_b32_e64 v10, 0, v10, s0
	v_or_b32_e32 v53, v10, v49
.LBB269_885:                            ;   in Loop: Header=BB269_554 Depth=1
	s_or_b32 exec_lo, exec_lo, s17
	;;#ASMSTART
	v_pk_mul_f16 v2, v41, v55;

	;;#ASMEND
	;;#ASMSTART
	v_pk_mul_f16 v10, v40, v51;

	;;#ASMEND
	;; [unrolled: 4-line block ×4, first 2 shown]
	;;#ASMSTART
	v_pk_add_f16 v2, v2, v10;

	;;#ASMEND
	;;#ASMSTART
	v_pk_add_f16 v2, v2, v11;

	;;#ASMEND
	;; [unrolled: 4-line block ×3, first 2 shown]
	v_and_b32_e32 v10, 0xffff, v2
	v_lshrrev_b32_e32 v2, 16, v2
	;;#ASMSTART
	v_cvt_f32_f16 v48, v10;
	;;#ASMEND
	;;#ASMSTART
	v_cvt_f32_f16 v49, v2;
	;;#ASMEND
	global_load_dwordx2 v[10:11], v[8:9], off offset:1280
	v_mov_b32_e32 v51, 0
	v_mov_b32_e32 v52, 0
	global_load_dword v50, v51, s[14:15]
	s_waitcnt vmcnt(1)
	v_cmp_ne_u16_sdwa s0, v10, v3 src0_sel:BYTE_0 src1_sel:DWORD
	s_and_saveexec_b32 s17, s0
	s_cbranch_execz .LBB269_893
; %bb.886:                              ;   in Loop: Header=BB269_554 Depth=1
	v_cmp_ne_u16_sdwa s0, v10, v24 src0_sel:BYTE_0 src1_sel:DWORD
	v_mov_b32_e32 v52, 0x8000
	s_and_saveexec_b32 s18, s0
	s_cbranch_execz .LBB269_892
; %bb.887:                              ;   in Loop: Header=BB269_554 Depth=1
	v_and_b32_e32 v53, 0x7f, v10
	v_mov_b32_e32 v52, 0x7c01
	s_mov_b32 s21, exec_lo
	v_cmpx_ne_u32_e32 0x7f, v53
	s_cbranch_execz .LBB269_891
; %bb.888:                              ;   in Loop: Header=BB269_554 Depth=1
	v_and_b32_e32 v2, 7, v10
	v_lshrrev_b32_e32 v52, 3, v53
	s_mov_b32 s22, exec_lo
	v_cmpx_gt_u32_e32 8, v53
; %bb.889:                              ;   in Loop: Header=BB269_554 Depth=1
	v_ffbh_u32_e32 v2, v2
	v_min_u32_e32 v2, 32, v2
	v_subrev_nc_u32_e32 v52, 28, v2
	v_lshlrev_b64 v[53:54], v52, v[10:11]
	v_sub_nc_u32_e32 v52, 29, v2
	v_and_b32_e32 v2, 7, v53
; %bb.890:                              ;   in Loop: Header=BB269_554 Depth=1
	s_or_b32 exec_lo, exec_lo, s22
	v_lshlrev_b32_e32 v53, 8, v10
	v_lshl_add_u32 v52, v52, 10, 0x2000
	v_lshlrev_b32_e32 v2, 7, v2
	v_and_b32_e32 v53, 0x8000, v53
	v_and_b32_e32 v52, 0xfc00, v52
	v_or3_b32 v52, v53, v52, v2
.LBB269_891:                            ;   in Loop: Header=BB269_554 Depth=1
	s_or_b32 exec_lo, exec_lo, s21
.LBB269_892:                            ;   in Loop: Header=BB269_554 Depth=1
	s_or_b32 exec_lo, exec_lo, s18
.LBB269_893:                            ;   in Loop: Header=BB269_554 Depth=1
	s_or_b32 exec_lo, exec_lo, s17
	v_lshrrev_b16 v2, 8, v10
	s_mov_b32 s17, exec_lo
	v_cmpx_ne_u16_e32 0, v2
	s_cbranch_execz .LBB269_901
; %bb.894:                              ;   in Loop: Header=BB269_554 Depth=1
	v_bfrev_b32_e32 v51, 1
	s_mov_b32 s18, exec_lo
	v_cmpx_ne_u16_e32 0x80, v2
	s_cbranch_execz .LBB269_900
; %bb.895:                              ;   in Loop: Header=BB269_554 Depth=1
	v_and_b32_sdwa v54, v2, v25 dst_sel:DWORD dst_unused:UNUSED_PAD src0_sel:WORD_0 src1_sel:DWORD
	v_mov_b32_e32 v51, 0x7c010000
	s_mov_b32 s21, exec_lo
	v_cmpx_ne_u32_e32 0x7f, v54
	s_cbranch_execz .LBB269_899
; %bb.896:                              ;   in Loop: Header=BB269_554 Depth=1
	v_and_b32_sdwa v51, v2, v26 dst_sel:DWORD dst_unused:UNUSED_PAD src0_sel:WORD_0 src1_sel:DWORD
	v_lshrrev_b32_e32 v53, 3, v54
	s_mov_b32 s22, exec_lo
	v_cmpx_gt_u32_e32 8, v54
; %bb.897:                              ;   in Loop: Header=BB269_554 Depth=1
	v_ffbh_u32_e32 v51, v51
	v_min_u32_e32 v51, 32, v51
	v_subrev_nc_u32_e32 v53, 28, v51
	v_lshlrev_b64 v[54:55], v53, v[2:3]
	v_sub_nc_u32_e32 v53, 29, v51
	v_and_b32_e32 v51, 7, v54
; %bb.898:                              ;   in Loop: Header=BB269_554 Depth=1
	s_or_b32 exec_lo, exec_lo, s22
	v_lshlrev_b32_sdwa v2, v27, v2 dst_sel:DWORD dst_unused:UNUSED_PAD src0_sel:DWORD src1_sel:WORD_0
	v_lshl_add_u32 v53, v53, 10, 0x2000
	v_lshlrev_b32_e32 v51, 23, v51
	v_and_or_b32 v2, 0x8000, v2, v53
	v_lshl_or_b32 v51, v2, 16, v51
.LBB269_899:                            ;   in Loop: Header=BB269_554 Depth=1
	s_or_b32 exec_lo, exec_lo, s21
.LBB269_900:                            ;   in Loop: Header=BB269_554 Depth=1
	s_or_b32 exec_lo, exec_lo, s18
.LBB269_901:                            ;   in Loop: Header=BB269_554 Depth=1
	s_or_b32 exec_lo, exec_lo, s17
	v_lshrrev_b32_e32 v2, 16, v10
	v_mov_b32_e32 v53, 0
	v_mov_b32_e32 v54, 0
	v_cmp_ne_u16_sdwa s0, v2, v3 src0_sel:BYTE_0 src1_sel:DWORD
	s_and_saveexec_b32 s17, s0
	s_cbranch_execz .LBB269_909
; %bb.902:                              ;   in Loop: Header=BB269_554 Depth=1
	v_cmp_ne_u16_sdwa s0, v2, v24 src0_sel:BYTE_0 src1_sel:DWORD
	v_mov_b32_e32 v54, 0x8000
	s_and_saveexec_b32 s18, s0
	s_cbranch_execz .LBB269_908
; %bb.903:                              ;   in Loop: Header=BB269_554 Depth=1
	v_bfe_u32 v56, v10, 16, 7
	v_mov_b32_e32 v54, 0x7c01
	s_mov_b32 s21, exec_lo
	v_cmpx_ne_u32_e32 0x7f, v56
	s_cbranch_execz .LBB269_907
; %bb.904:                              ;   in Loop: Header=BB269_554 Depth=1
	v_and_b32_e32 v54, 7, v2
	v_lshrrev_b32_e32 v55, 3, v56
	s_mov_b32 s22, exec_lo
	v_cmpx_gt_u32_e32 8, v56
; %bb.905:                              ;   in Loop: Header=BB269_554 Depth=1
	v_ffbh_u32_e32 v54, v54
	v_min_u32_e32 v56, 32, v54
	v_subrev_nc_u32_e32 v54, 28, v56
	v_lshlrev_b64 v[54:55], v54, v[2:3]
	v_sub_nc_u32_e32 v55, 29, v56
	v_and_b32_e32 v54, 7, v54
; %bb.906:                              ;   in Loop: Header=BB269_554 Depth=1
	s_or_b32 exec_lo, exec_lo, s22
	v_lshlrev_b32_e32 v2, 8, v2
	v_lshl_add_u32 v55, v55, 10, 0x2000
	v_lshlrev_b32_e32 v54, 7, v54
	v_and_b32_e32 v2, 0x8000, v2
	v_and_b32_e32 v55, 0xfc00, v55
	v_or3_b32 v54, v2, v55, v54
.LBB269_907:                            ;   in Loop: Header=BB269_554 Depth=1
	s_or_b32 exec_lo, exec_lo, s21
.LBB269_908:                            ;   in Loop: Header=BB269_554 Depth=1
	s_or_b32 exec_lo, exec_lo, s18
.LBB269_909:                            ;   in Loop: Header=BB269_554 Depth=1
	s_or_b32 exec_lo, exec_lo, s17
	s_mov_b32 s17, exec_lo
	v_cmpx_lt_u32_e32 0xffffff, v10
	s_cbranch_execz .LBB269_917
; %bb.910:                              ;   in Loop: Header=BB269_554 Depth=1
	v_lshrrev_b32_e32 v2, 24, v10
	v_bfrev_b32_e32 v53, 1
	s_mov_b32 s18, exec_lo
	v_cmpx_ne_u32_e32 0x80, v2
	s_cbranch_execz .LBB269_916
; %bb.911:                              ;   in Loop: Header=BB269_554 Depth=1
	v_and_b32_e32 v56, 0x7f, v2
	v_mov_b32_e32 v53, 0x7c010000
	s_mov_b32 s21, exec_lo
	v_cmpx_ne_u32_e32 0x7f, v56
	s_cbranch_execz .LBB269_915
; %bb.912:                              ;   in Loop: Header=BB269_554 Depth=1
	v_and_b32_e32 v53, 7, v2
	v_lshrrev_b32_e32 v55, 3, v56
	s_mov_b32 s22, exec_lo
	v_cmpx_gt_u32_e32 8, v56
; %bb.913:                              ;   in Loop: Header=BB269_554 Depth=1
	v_ffbh_u32_e32 v53, v53
	v_min_u32_e32 v53, 32, v53
	v_subrev_nc_u32_e32 v55, 28, v53
	v_lshlrev_b64 v[56:57], v55, v[2:3]
	v_sub_nc_u32_e32 v55, 29, v53
	v_and_b32_e32 v53, 7, v56
; %bb.914:                              ;   in Loop: Header=BB269_554 Depth=1
	s_or_b32 exec_lo, exec_lo, s22
	v_lshlrev_b32_e32 v2, 8, v2
	v_lshl_add_u32 v55, v55, 10, 0x2000
	v_lshlrev_b32_e32 v53, 23, v53
	v_and_or_b32 v2, 0x8000, v2, v55
	v_lshl_or_b32 v53, v2, 16, v53
.LBB269_915:                            ;   in Loop: Header=BB269_554 Depth=1
	s_or_b32 exec_lo, exec_lo, s21
.LBB269_916:                            ;   in Loop: Header=BB269_554 Depth=1
	s_or_b32 exec_lo, exec_lo, s18
.LBB269_917:                            ;   in Loop: Header=BB269_554 Depth=1
	s_or_b32 exec_lo, exec_lo, s17
	v_mov_b32_e32 v2, v11
	v_cmp_ne_u16_sdwa s0, v11, v3 src0_sel:BYTE_0 src1_sel:DWORD
	v_mov_b32_e32 v55, 0
	v_mov_b32_e32 v56, 0
	s_and_saveexec_b32 s17, s0
	s_cbranch_execz .LBB269_925
; %bb.918:                              ;   in Loop: Header=BB269_554 Depth=1
	v_cmp_ne_u16_sdwa s0, v11, v24 src0_sel:BYTE_0 src1_sel:DWORD
	v_mov_b32_e32 v56, 0x8000
	s_and_saveexec_b32 s18, s0
	s_cbranch_execz .LBB269_924
; %bb.919:                              ;   in Loop: Header=BB269_554 Depth=1
	v_and_b32_e32 v58, 0x7f, v11
	v_mov_b32_e32 v56, 0x7c01
	s_mov_b32 s21, exec_lo
	v_cmpx_ne_u32_e32 0x7f, v58
	s_cbranch_execz .LBB269_923
; %bb.920:                              ;   in Loop: Header=BB269_554 Depth=1
	v_and_b32_e32 v56, 7, v11
	v_lshrrev_b32_e32 v57, 3, v58
	s_mov_b32 s22, exec_lo
	v_cmpx_gt_u32_e32 8, v58
; %bb.921:                              ;   in Loop: Header=BB269_554 Depth=1
	v_ffbh_u32_e32 v56, v56
	v_min_u32_e32 v58, 32, v56
	v_subrev_nc_u32_e32 v56, 28, v58
	v_lshlrev_b64 v[56:57], v56, v[2:3]
	v_sub_nc_u32_e32 v57, 29, v58
	v_and_b32_e32 v56, 7, v56
; %bb.922:                              ;   in Loop: Header=BB269_554 Depth=1
	s_or_b32 exec_lo, exec_lo, s22
	v_lshlrev_b32_e32 v58, 8, v11
	v_lshl_add_u32 v57, v57, 10, 0x2000
	v_lshlrev_b32_e32 v56, 7, v56
	v_and_b32_e32 v58, 0x8000, v58
	v_and_b32_e32 v57, 0xfc00, v57
	v_or3_b32 v56, v58, v57, v56
.LBB269_923:                            ;   in Loop: Header=BB269_554 Depth=1
	s_or_b32 exec_lo, exec_lo, s21
.LBB269_924:                            ;   in Loop: Header=BB269_554 Depth=1
	s_or_b32 exec_lo, exec_lo, s18
.LBB269_925:                            ;   in Loop: Header=BB269_554 Depth=1
	s_or_b32 exec_lo, exec_lo, s17
	v_lshrrev_b16 v2, 8, v2
	v_mov_b32_e32 v57, 0
	s_mov_b32 s17, exec_lo
	v_cmpx_ne_u16_e32 0, v2
	s_cbranch_execz .LBB269_933
; %bb.926:                              ;   in Loop: Header=BB269_554 Depth=1
	v_bfrev_b32_e32 v57, 1
	s_mov_b32 s18, exec_lo
	v_cmpx_ne_u16_e32 0x80, v2
	s_cbranch_execz .LBB269_932
; %bb.927:                              ;   in Loop: Header=BB269_554 Depth=1
	v_and_b32_sdwa v59, v2, v25 dst_sel:DWORD dst_unused:UNUSED_PAD src0_sel:WORD_0 src1_sel:DWORD
	v_mov_b32_e32 v57, 0x7c010000
	s_mov_b32 s21, exec_lo
	v_cmpx_ne_u32_e32 0x7f, v59
	s_cbranch_execz .LBB269_931
; %bb.928:                              ;   in Loop: Header=BB269_554 Depth=1
	v_and_b32_sdwa v57, v2, v26 dst_sel:DWORD dst_unused:UNUSED_PAD src0_sel:WORD_0 src1_sel:DWORD
	v_lshrrev_b32_e32 v58, 3, v59
	s_mov_b32 s22, exec_lo
	v_cmpx_gt_u32_e32 8, v59
; %bb.929:                              ;   in Loop: Header=BB269_554 Depth=1
	v_ffbh_u32_e32 v57, v57
	v_min_u32_e32 v59, 32, v57
	v_subrev_nc_u32_e32 v57, 28, v59
	v_lshlrev_b64 v[57:58], v57, v[2:3]
	v_sub_nc_u32_e32 v58, 29, v59
	v_and_b32_e32 v57, 7, v57
; %bb.930:                              ;   in Loop: Header=BB269_554 Depth=1
	s_or_b32 exec_lo, exec_lo, s22
	v_lshlrev_b32_sdwa v2, v27, v2 dst_sel:DWORD dst_unused:UNUSED_PAD src0_sel:DWORD src1_sel:WORD_0
	v_lshl_add_u32 v58, v58, 10, 0x2000
	v_lshlrev_b32_e32 v57, 23, v57
	v_and_or_b32 v2, 0x8000, v2, v58
	v_lshl_or_b32 v57, v2, 16, v57
.LBB269_931:                            ;   in Loop: Header=BB269_554 Depth=1
	s_or_b32 exec_lo, exec_lo, s21
.LBB269_932:                            ;   in Loop: Header=BB269_554 Depth=1
	s_or_b32 exec_lo, exec_lo, s18
.LBB269_933:                            ;   in Loop: Header=BB269_554 Depth=1
	s_or_b32 exec_lo, exec_lo, s17
	v_lshrrev_b32_e32 v2, 16, v11
	v_cmp_ne_u16_sdwa s0, v2, v3 src0_sel:BYTE_0 src1_sel:DWORD
	s_and_saveexec_b32 s17, s0
	s_cbranch_execz .LBB269_941
; %bb.934:                              ;   in Loop: Header=BB269_554 Depth=1
	v_cmp_ne_u16_sdwa s0, v2, v24 src0_sel:BYTE_0 src1_sel:DWORD
	v_mov_b32_e32 v55, 0x8000
	s_and_saveexec_b32 s18, s0
	s_cbranch_execz .LBB269_940
; %bb.935:                              ;   in Loop: Header=BB269_554 Depth=1
	v_bfe_u32 v59, v11, 16, 7
	v_mov_b32_e32 v55, 0x7c01
	s_mov_b32 s21, exec_lo
	v_cmpx_ne_u32_e32 0x7f, v59
	s_cbranch_execz .LBB269_939
; %bb.936:                              ;   in Loop: Header=BB269_554 Depth=1
	v_and_b32_e32 v55, 7, v2
	v_lshrrev_b32_e32 v58, 3, v59
	s_mov_b32 s22, exec_lo
	v_cmpx_gt_u32_e32 8, v59
; %bb.937:                              ;   in Loop: Header=BB269_554 Depth=1
	v_ffbh_u32_e32 v55, v55
	v_min_u32_e32 v55, 32, v55
	v_subrev_nc_u32_e32 v58, 28, v55
	v_lshlrev_b64 v[59:60], v58, v[2:3]
	v_sub_nc_u32_e32 v58, 29, v55
	v_and_b32_e32 v55, 7, v59
; %bb.938:                              ;   in Loop: Header=BB269_554 Depth=1
	s_or_b32 exec_lo, exec_lo, s22
	v_lshlrev_b32_e32 v2, 8, v2
	v_lshl_add_u32 v58, v58, 10, 0x2000
	v_lshlrev_b32_e32 v55, 7, v55
	v_and_b32_e32 v2, 0x8000, v2
	v_and_b32_e32 v58, 0xfc00, v58
	v_or3_b32 v55, v2, v58, v55
.LBB269_939:                            ;   in Loop: Header=BB269_554 Depth=1
	s_or_b32 exec_lo, exec_lo, s21
.LBB269_940:                            ;   in Loop: Header=BB269_554 Depth=1
	s_or_b32 exec_lo, exec_lo, s18
.LBB269_941:                            ;   in Loop: Header=BB269_554 Depth=1
	s_or_b32 exec_lo, exec_lo, s17
	v_cmp_lt_u64_e64 s0, s[4:5], v[10:11]
	v_mov_b32_e32 v10, 0
	s_and_saveexec_b32 s17, s0
	s_cbranch_execz .LBB269_949
; %bb.942:                              ;   in Loop: Header=BB269_554 Depth=1
	v_lshrrev_b32_e32 v2, 24, v11
	v_bfrev_b32_e32 v10, 1
	s_mov_b32 s18, exec_lo
	v_cmpx_ne_u32_e32 0x80, v2
	s_cbranch_execz .LBB269_948
; %bb.943:                              ;   in Loop: Header=BB269_554 Depth=1
	v_and_b32_e32 v58, 0x7f, v2
	v_mov_b32_e32 v10, 0x7c010000
	s_mov_b32 s21, exec_lo
	v_cmpx_ne_u32_e32 0x7f, v58
	s_cbranch_execz .LBB269_947
; %bb.944:                              ;   in Loop: Header=BB269_554 Depth=1
	v_and_b32_e32 v10, 7, v2
	v_lshrrev_b32_e32 v11, 3, v58
	s_mov_b32 s22, exec_lo
	v_cmpx_gt_u32_e32 8, v58
; %bb.945:                              ;   in Loop: Header=BB269_554 Depth=1
	v_ffbh_u32_e32 v10, v10
	v_min_u32_e32 v58, 32, v10
	v_subrev_nc_u32_e32 v10, 28, v58
	v_lshlrev_b64 v[10:11], v10, v[2:3]
	v_sub_nc_u32_e32 v11, 29, v58
	v_and_b32_e32 v10, 7, v10
; %bb.946:                              ;   in Loop: Header=BB269_554 Depth=1
	s_or_b32 exec_lo, exec_lo, s22
	v_lshlrev_b32_e32 v2, 8, v2
	v_lshl_add_u32 v11, v11, 10, 0x2000
	v_lshlrev_b32_e32 v10, 23, v10
	v_and_or_b32 v2, 0x8000, v2, v11
	v_lshl_or_b32 v10, v2, 16, v10
.LBB269_947:                            ;   in Loop: Header=BB269_554 Depth=1
	s_or_b32 exec_lo, exec_lo, s21
.LBB269_948:                            ;   in Loop: Header=BB269_554 Depth=1
	s_or_b32 exec_lo, exec_lo, s18
.LBB269_949:                            ;   in Loop: Header=BB269_554 Depth=1
	s_or_b32 exec_lo, exec_lo, s17
	v_or_b32_e32 v2, v53, v54
	s_waitcnt vmcnt(0)
	v_fma_mixlo_f16 v11, v50, v53, 0 op_sel:[0,1,0] op_sel_hi:[0,1,0]
	v_or_b32_e32 v53, v51, v52
	v_fma_mixlo_f16 v51, v50, v51, 0 op_sel:[0,1,0] op_sel_hi:[0,1,0]
	v_or_b32_e32 v54, v57, v56
	v_or_b32_e32 v55, v10, v55
	v_fma_mixlo_f16 v56, v50, v2, 0 op_sel_hi:[0,1,0]
	v_fma_mixlo_f16 v10, v50, v10, 0 op_sel:[0,1,0] op_sel_hi:[0,1,0]
	v_lshlrev_b32_e32 v52, 16, v51
	v_fma_mixlo_f16 v51, v50, v53, 0 op_sel_hi:[0,1,0]
	v_fma_mixlo_f16 v53, v50, v57, 0 op_sel:[0,1,0] op_sel_hi:[0,1,0]
	v_fma_mixlo_f16 v54, v50, v54, 0 op_sel_hi:[0,1,0]
	v_fma_mixlo_f16 v55, v50, v55, 0 op_sel_hi:[0,1,0]
	v_lshlrev_b32_e32 v2, 16, v11
	v_and_b32_e32 v11, 0xffff, v56
	v_and_b32_e32 v58, 0xffff, v51
	v_lshlrev_b32_e32 v50, 16, v53
	v_and_b32_e32 v54, 0xffff, v54
	v_lshlrev_b32_e32 v10, 16, v10
	v_and_b32_e32 v51, 0xffff, v55
	v_or_b32_e32 v53, v2, v11
	v_or_b32_e32 v57, v52, v58
	;; [unrolled: 1-line block ×4, first 2 shown]
	s_and_saveexec_b32 s17, vcc_lo
	s_cbranch_execz .LBB269_951
; %bb.950:                              ;   in Loop: Header=BB269_554 Depth=1
	v_cmp_gt_i32_e64 s0, s31, v13
	v_cndmask_b32_e64 v53, 0, v58, s0
	v_cmp_gt_i32_e64 s0, s31, v36
	v_cndmask_b32_e64 v52, 0, v52, s0
	v_cmp_gt_i32_e64 s0, s31, v34
	v_or_b32_e32 v57, v52, v53
	v_cndmask_b32_e64 v11, 0, v11, s0
	v_cmp_gt_i32_e64 s0, s31, v33
	v_cndmask_b32_e64 v2, 0, v2, s0
	v_cmp_gt_i32_e64 s0, s31, v32
	v_or_b32_e32 v53, v2, v11
	v_cndmask_b32_e64 v54, 0, v54, s0
	v_cmp_gt_i32_e64 s0, s31, v31
	v_cndmask_b32_e64 v50, 0, v50, s0
	v_cmp_gt_i32_e64 s0, s31, v30
	v_or_b32_e32 v56, v50, v54
	v_cndmask_b32_e64 v51, 0, v51, s0
	v_cmp_gt_i32_e64 s0, s31, v29
	v_cndmask_b32_e64 v10, 0, v10, s0
	v_or_b32_e32 v55, v10, v51
.LBB269_951:                            ;   in Loop: Header=BB269_554 Depth=1
	s_or_b32 exec_lo, exec_lo, s17
	;;#ASMSTART
	v_pk_mul_f16 v2, v41, v57;

	;;#ASMEND
	;;#ASMSTART
	v_pk_mul_f16 v10, v40, v53;

	;;#ASMEND
	;; [unrolled: 4-line block ×4, first 2 shown]
	;;#ASMSTART
	v_pk_add_f16 v2, v2, v10;

	;;#ASMEND
	;;#ASMSTART
	v_pk_add_f16 v2, v2, v11;

	;;#ASMEND
	;; [unrolled: 4-line block ×3, first 2 shown]
	v_and_b32_e32 v10, 0xffff, v2
	v_lshrrev_b32_e32 v2, 16, v2
	;;#ASMSTART
	v_cvt_f32_f16 v50, v10;
	;;#ASMEND
	;;#ASMSTART
	v_cvt_f32_f16 v51, v2;
	;;#ASMEND
	global_load_dwordx2 v[10:11], v[8:9], off offset:1536
	v_mov_b32_e32 v53, 0
	v_mov_b32_e32 v54, 0
	global_load_dword v52, v53, s[14:15]
	s_waitcnt vmcnt(1)
	v_cmp_ne_u16_sdwa s0, v10, v3 src0_sel:BYTE_0 src1_sel:DWORD
	s_and_saveexec_b32 s17, s0
	s_cbranch_execz .LBB269_959
; %bb.952:                              ;   in Loop: Header=BB269_554 Depth=1
	v_cmp_ne_u16_sdwa s0, v10, v24 src0_sel:BYTE_0 src1_sel:DWORD
	v_mov_b32_e32 v54, 0x8000
	s_and_saveexec_b32 s18, s0
	s_cbranch_execz .LBB269_958
; %bb.953:                              ;   in Loop: Header=BB269_554 Depth=1
	v_and_b32_e32 v55, 0x7f, v10
	v_mov_b32_e32 v54, 0x7c01
	s_mov_b32 s21, exec_lo
	v_cmpx_ne_u32_e32 0x7f, v55
	s_cbranch_execz .LBB269_957
; %bb.954:                              ;   in Loop: Header=BB269_554 Depth=1
	v_and_b32_e32 v2, 7, v10
	v_lshrrev_b32_e32 v54, 3, v55
	s_mov_b32 s22, exec_lo
	v_cmpx_gt_u32_e32 8, v55
; %bb.955:                              ;   in Loop: Header=BB269_554 Depth=1
	v_ffbh_u32_e32 v2, v2
	v_min_u32_e32 v2, 32, v2
	v_subrev_nc_u32_e32 v54, 28, v2
	v_lshlrev_b64 v[55:56], v54, v[10:11]
	v_sub_nc_u32_e32 v54, 29, v2
	v_and_b32_e32 v2, 7, v55
; %bb.956:                              ;   in Loop: Header=BB269_554 Depth=1
	s_or_b32 exec_lo, exec_lo, s22
	v_lshlrev_b32_e32 v55, 8, v10
	v_lshl_add_u32 v54, v54, 10, 0x2000
	v_lshlrev_b32_e32 v2, 7, v2
	v_and_b32_e32 v55, 0x8000, v55
	v_and_b32_e32 v54, 0xfc00, v54
	v_or3_b32 v54, v55, v54, v2
.LBB269_957:                            ;   in Loop: Header=BB269_554 Depth=1
	s_or_b32 exec_lo, exec_lo, s21
.LBB269_958:                            ;   in Loop: Header=BB269_554 Depth=1
	s_or_b32 exec_lo, exec_lo, s18
.LBB269_959:                            ;   in Loop: Header=BB269_554 Depth=1
	s_or_b32 exec_lo, exec_lo, s17
	v_lshrrev_b16 v2, 8, v10
	s_mov_b32 s17, exec_lo
	v_cmpx_ne_u16_e32 0, v2
	s_cbranch_execz .LBB269_967
; %bb.960:                              ;   in Loop: Header=BB269_554 Depth=1
	v_bfrev_b32_e32 v53, 1
	s_mov_b32 s18, exec_lo
	v_cmpx_ne_u16_e32 0x80, v2
	s_cbranch_execz .LBB269_966
; %bb.961:                              ;   in Loop: Header=BB269_554 Depth=1
	v_and_b32_sdwa v56, v2, v25 dst_sel:DWORD dst_unused:UNUSED_PAD src0_sel:WORD_0 src1_sel:DWORD
	v_mov_b32_e32 v53, 0x7c010000
	s_mov_b32 s21, exec_lo
	v_cmpx_ne_u32_e32 0x7f, v56
	s_cbranch_execz .LBB269_965
; %bb.962:                              ;   in Loop: Header=BB269_554 Depth=1
	v_and_b32_sdwa v53, v2, v26 dst_sel:DWORD dst_unused:UNUSED_PAD src0_sel:WORD_0 src1_sel:DWORD
	v_lshrrev_b32_e32 v55, 3, v56
	s_mov_b32 s22, exec_lo
	v_cmpx_gt_u32_e32 8, v56
; %bb.963:                              ;   in Loop: Header=BB269_554 Depth=1
	v_ffbh_u32_e32 v53, v53
	v_min_u32_e32 v53, 32, v53
	v_subrev_nc_u32_e32 v55, 28, v53
	v_lshlrev_b64 v[56:57], v55, v[2:3]
	v_sub_nc_u32_e32 v55, 29, v53
	v_and_b32_e32 v53, 7, v56
; %bb.964:                              ;   in Loop: Header=BB269_554 Depth=1
	s_or_b32 exec_lo, exec_lo, s22
	v_lshlrev_b32_sdwa v2, v27, v2 dst_sel:DWORD dst_unused:UNUSED_PAD src0_sel:DWORD src1_sel:WORD_0
	v_lshl_add_u32 v55, v55, 10, 0x2000
	v_lshlrev_b32_e32 v53, 23, v53
	v_and_or_b32 v2, 0x8000, v2, v55
	v_lshl_or_b32 v53, v2, 16, v53
.LBB269_965:                            ;   in Loop: Header=BB269_554 Depth=1
	s_or_b32 exec_lo, exec_lo, s21
.LBB269_966:                            ;   in Loop: Header=BB269_554 Depth=1
	s_or_b32 exec_lo, exec_lo, s18
.LBB269_967:                            ;   in Loop: Header=BB269_554 Depth=1
	s_or_b32 exec_lo, exec_lo, s17
	v_lshrrev_b32_e32 v2, 16, v10
	v_mov_b32_e32 v55, 0
	v_mov_b32_e32 v56, 0
	v_cmp_ne_u16_sdwa s0, v2, v3 src0_sel:BYTE_0 src1_sel:DWORD
	s_and_saveexec_b32 s17, s0
	s_cbranch_execz .LBB269_975
; %bb.968:                              ;   in Loop: Header=BB269_554 Depth=1
	v_cmp_ne_u16_sdwa s0, v2, v24 src0_sel:BYTE_0 src1_sel:DWORD
	v_mov_b32_e32 v56, 0x8000
	s_and_saveexec_b32 s18, s0
	s_cbranch_execz .LBB269_974
; %bb.969:                              ;   in Loop: Header=BB269_554 Depth=1
	v_bfe_u32 v58, v10, 16, 7
	v_mov_b32_e32 v56, 0x7c01
	s_mov_b32 s21, exec_lo
	v_cmpx_ne_u32_e32 0x7f, v58
	s_cbranch_execz .LBB269_973
; %bb.970:                              ;   in Loop: Header=BB269_554 Depth=1
	v_and_b32_e32 v56, 7, v2
	v_lshrrev_b32_e32 v57, 3, v58
	s_mov_b32 s22, exec_lo
	v_cmpx_gt_u32_e32 8, v58
; %bb.971:                              ;   in Loop: Header=BB269_554 Depth=1
	v_ffbh_u32_e32 v56, v56
	v_min_u32_e32 v58, 32, v56
	v_subrev_nc_u32_e32 v56, 28, v58
	v_lshlrev_b64 v[56:57], v56, v[2:3]
	v_sub_nc_u32_e32 v57, 29, v58
	v_and_b32_e32 v56, 7, v56
; %bb.972:                              ;   in Loop: Header=BB269_554 Depth=1
	s_or_b32 exec_lo, exec_lo, s22
	v_lshlrev_b32_e32 v2, 8, v2
	v_lshl_add_u32 v57, v57, 10, 0x2000
	v_lshlrev_b32_e32 v56, 7, v56
	v_and_b32_e32 v2, 0x8000, v2
	v_and_b32_e32 v57, 0xfc00, v57
	v_or3_b32 v56, v2, v57, v56
.LBB269_973:                            ;   in Loop: Header=BB269_554 Depth=1
	s_or_b32 exec_lo, exec_lo, s21
.LBB269_974:                            ;   in Loop: Header=BB269_554 Depth=1
	s_or_b32 exec_lo, exec_lo, s18
.LBB269_975:                            ;   in Loop: Header=BB269_554 Depth=1
	s_or_b32 exec_lo, exec_lo, s17
	s_mov_b32 s17, exec_lo
	v_cmpx_lt_u32_e32 0xffffff, v10
	s_cbranch_execz .LBB269_983
; %bb.976:                              ;   in Loop: Header=BB269_554 Depth=1
	v_lshrrev_b32_e32 v2, 24, v10
	v_bfrev_b32_e32 v55, 1
	s_mov_b32 s18, exec_lo
	v_cmpx_ne_u32_e32 0x80, v2
	s_cbranch_execz .LBB269_982
; %bb.977:                              ;   in Loop: Header=BB269_554 Depth=1
	v_and_b32_e32 v58, 0x7f, v2
	v_mov_b32_e32 v55, 0x7c010000
	s_mov_b32 s21, exec_lo
	v_cmpx_ne_u32_e32 0x7f, v58
	s_cbranch_execz .LBB269_981
; %bb.978:                              ;   in Loop: Header=BB269_554 Depth=1
	v_and_b32_e32 v55, 7, v2
	v_lshrrev_b32_e32 v57, 3, v58
	s_mov_b32 s22, exec_lo
	v_cmpx_gt_u32_e32 8, v58
; %bb.979:                              ;   in Loop: Header=BB269_554 Depth=1
	v_ffbh_u32_e32 v55, v55
	v_min_u32_e32 v55, 32, v55
	v_subrev_nc_u32_e32 v57, 28, v55
	v_lshlrev_b64 v[58:59], v57, v[2:3]
	v_sub_nc_u32_e32 v57, 29, v55
	v_and_b32_e32 v55, 7, v58
; %bb.980:                              ;   in Loop: Header=BB269_554 Depth=1
	s_or_b32 exec_lo, exec_lo, s22
	v_lshlrev_b32_e32 v2, 8, v2
	v_lshl_add_u32 v57, v57, 10, 0x2000
	v_lshlrev_b32_e32 v55, 23, v55
	v_and_or_b32 v2, 0x8000, v2, v57
	v_lshl_or_b32 v55, v2, 16, v55
.LBB269_981:                            ;   in Loop: Header=BB269_554 Depth=1
	s_or_b32 exec_lo, exec_lo, s21
.LBB269_982:                            ;   in Loop: Header=BB269_554 Depth=1
	s_or_b32 exec_lo, exec_lo, s18
.LBB269_983:                            ;   in Loop: Header=BB269_554 Depth=1
	s_or_b32 exec_lo, exec_lo, s17
	v_mov_b32_e32 v2, v11
	v_cmp_ne_u16_sdwa s0, v11, v3 src0_sel:BYTE_0 src1_sel:DWORD
	v_mov_b32_e32 v57, 0
	v_mov_b32_e32 v58, 0
	s_and_saveexec_b32 s17, s0
	s_cbranch_execz .LBB269_991
; %bb.984:                              ;   in Loop: Header=BB269_554 Depth=1
	v_cmp_ne_u16_sdwa s0, v11, v24 src0_sel:BYTE_0 src1_sel:DWORD
	v_mov_b32_e32 v58, 0x8000
	s_and_saveexec_b32 s18, s0
	s_cbranch_execz .LBB269_990
; %bb.985:                              ;   in Loop: Header=BB269_554 Depth=1
	v_and_b32_e32 v60, 0x7f, v11
	v_mov_b32_e32 v58, 0x7c01
	s_mov_b32 s21, exec_lo
	v_cmpx_ne_u32_e32 0x7f, v60
	s_cbranch_execz .LBB269_989
; %bb.986:                              ;   in Loop: Header=BB269_554 Depth=1
	v_and_b32_e32 v58, 7, v11
	v_lshrrev_b32_e32 v59, 3, v60
	s_mov_b32 s22, exec_lo
	v_cmpx_gt_u32_e32 8, v60
; %bb.987:                              ;   in Loop: Header=BB269_554 Depth=1
	v_ffbh_u32_e32 v58, v58
	v_min_u32_e32 v60, 32, v58
	v_subrev_nc_u32_e32 v58, 28, v60
	v_lshlrev_b64 v[58:59], v58, v[2:3]
	v_sub_nc_u32_e32 v59, 29, v60
	v_and_b32_e32 v58, 7, v58
; %bb.988:                              ;   in Loop: Header=BB269_554 Depth=1
	s_or_b32 exec_lo, exec_lo, s22
	v_lshlrev_b32_e32 v60, 8, v11
	v_lshl_add_u32 v59, v59, 10, 0x2000
	v_lshlrev_b32_e32 v58, 7, v58
	v_and_b32_e32 v60, 0x8000, v60
	v_and_b32_e32 v59, 0xfc00, v59
	v_or3_b32 v58, v60, v59, v58
.LBB269_989:                            ;   in Loop: Header=BB269_554 Depth=1
	s_or_b32 exec_lo, exec_lo, s21
.LBB269_990:                            ;   in Loop: Header=BB269_554 Depth=1
	s_or_b32 exec_lo, exec_lo, s18
.LBB269_991:                            ;   in Loop: Header=BB269_554 Depth=1
	s_or_b32 exec_lo, exec_lo, s17
	v_lshrrev_b16 v2, 8, v2
	v_mov_b32_e32 v59, 0
	s_mov_b32 s17, exec_lo
	v_cmpx_ne_u16_e32 0, v2
	s_cbranch_execz .LBB269_999
; %bb.992:                              ;   in Loop: Header=BB269_554 Depth=1
	v_bfrev_b32_e32 v59, 1
	s_mov_b32 s18, exec_lo
	v_cmpx_ne_u16_e32 0x80, v2
	s_cbranch_execz .LBB269_998
; %bb.993:                              ;   in Loop: Header=BB269_554 Depth=1
	v_and_b32_sdwa v61, v2, v25 dst_sel:DWORD dst_unused:UNUSED_PAD src0_sel:WORD_0 src1_sel:DWORD
	v_mov_b32_e32 v59, 0x7c010000
	s_mov_b32 s21, exec_lo
	v_cmpx_ne_u32_e32 0x7f, v61
	s_cbranch_execz .LBB269_997
; %bb.994:                              ;   in Loop: Header=BB269_554 Depth=1
	v_and_b32_sdwa v59, v2, v26 dst_sel:DWORD dst_unused:UNUSED_PAD src0_sel:WORD_0 src1_sel:DWORD
	v_lshrrev_b32_e32 v60, 3, v61
	s_mov_b32 s22, exec_lo
	v_cmpx_gt_u32_e32 8, v61
; %bb.995:                              ;   in Loop: Header=BB269_554 Depth=1
	v_ffbh_u32_e32 v59, v59
	v_min_u32_e32 v61, 32, v59
	v_subrev_nc_u32_e32 v59, 28, v61
	v_lshlrev_b64 v[59:60], v59, v[2:3]
	v_sub_nc_u32_e32 v60, 29, v61
	v_and_b32_e32 v59, 7, v59
; %bb.996:                              ;   in Loop: Header=BB269_554 Depth=1
	s_or_b32 exec_lo, exec_lo, s22
	v_lshlrev_b32_sdwa v2, v27, v2 dst_sel:DWORD dst_unused:UNUSED_PAD src0_sel:DWORD src1_sel:WORD_0
	v_lshl_add_u32 v60, v60, 10, 0x2000
	v_lshlrev_b32_e32 v59, 23, v59
	v_and_or_b32 v2, 0x8000, v2, v60
	v_lshl_or_b32 v59, v2, 16, v59
.LBB269_997:                            ;   in Loop: Header=BB269_554 Depth=1
	s_or_b32 exec_lo, exec_lo, s21
.LBB269_998:                            ;   in Loop: Header=BB269_554 Depth=1
	s_or_b32 exec_lo, exec_lo, s18
.LBB269_999:                            ;   in Loop: Header=BB269_554 Depth=1
	s_or_b32 exec_lo, exec_lo, s17
	v_lshrrev_b32_e32 v2, 16, v11
	v_cmp_ne_u16_sdwa s0, v2, v3 src0_sel:BYTE_0 src1_sel:DWORD
	s_and_saveexec_b32 s17, s0
	s_cbranch_execz .LBB269_1007
; %bb.1000:                             ;   in Loop: Header=BB269_554 Depth=1
	v_cmp_ne_u16_sdwa s0, v2, v24 src0_sel:BYTE_0 src1_sel:DWORD
	v_mov_b32_e32 v57, 0x8000
	s_and_saveexec_b32 s18, s0
	s_cbranch_execz .LBB269_1006
; %bb.1001:                             ;   in Loop: Header=BB269_554 Depth=1
	v_bfe_u32 v61, v11, 16, 7
	v_mov_b32_e32 v57, 0x7c01
	s_mov_b32 s21, exec_lo
	v_cmpx_ne_u32_e32 0x7f, v61
	s_cbranch_execz .LBB269_1005
; %bb.1002:                             ;   in Loop: Header=BB269_554 Depth=1
	v_and_b32_e32 v57, 7, v2
	v_lshrrev_b32_e32 v60, 3, v61
	s_mov_b32 s22, exec_lo
	v_cmpx_gt_u32_e32 8, v61
; %bb.1003:                             ;   in Loop: Header=BB269_554 Depth=1
	v_ffbh_u32_e32 v57, v57
	v_min_u32_e32 v57, 32, v57
	v_subrev_nc_u32_e32 v60, 28, v57
	v_lshlrev_b64 v[61:62], v60, v[2:3]
	v_sub_nc_u32_e32 v60, 29, v57
	v_and_b32_e32 v57, 7, v61
; %bb.1004:                             ;   in Loop: Header=BB269_554 Depth=1
	s_or_b32 exec_lo, exec_lo, s22
	v_lshlrev_b32_e32 v2, 8, v2
	v_lshl_add_u32 v60, v60, 10, 0x2000
	v_lshlrev_b32_e32 v57, 7, v57
	v_and_b32_e32 v2, 0x8000, v2
	v_and_b32_e32 v60, 0xfc00, v60
	v_or3_b32 v57, v2, v60, v57
.LBB269_1005:                           ;   in Loop: Header=BB269_554 Depth=1
	s_or_b32 exec_lo, exec_lo, s21
.LBB269_1006:                           ;   in Loop: Header=BB269_554 Depth=1
	s_or_b32 exec_lo, exec_lo, s18
.LBB269_1007:                           ;   in Loop: Header=BB269_554 Depth=1
	s_or_b32 exec_lo, exec_lo, s17
	v_cmp_lt_u64_e64 s0, s[4:5], v[10:11]
	v_mov_b32_e32 v10, 0
	s_and_saveexec_b32 s17, s0
	s_cbranch_execz .LBB269_1015
; %bb.1008:                             ;   in Loop: Header=BB269_554 Depth=1
	v_lshrrev_b32_e32 v2, 24, v11
	v_bfrev_b32_e32 v10, 1
	s_mov_b32 s18, exec_lo
	v_cmpx_ne_u32_e32 0x80, v2
	s_cbranch_execz .LBB269_1014
; %bb.1009:                             ;   in Loop: Header=BB269_554 Depth=1
	v_and_b32_e32 v60, 0x7f, v2
	v_mov_b32_e32 v10, 0x7c010000
	s_mov_b32 s21, exec_lo
	v_cmpx_ne_u32_e32 0x7f, v60
	s_cbranch_execz .LBB269_1013
; %bb.1010:                             ;   in Loop: Header=BB269_554 Depth=1
	v_and_b32_e32 v10, 7, v2
	v_lshrrev_b32_e32 v11, 3, v60
	s_mov_b32 s22, exec_lo
	v_cmpx_gt_u32_e32 8, v60
; %bb.1011:                             ;   in Loop: Header=BB269_554 Depth=1
	v_ffbh_u32_e32 v10, v10
	v_min_u32_e32 v60, 32, v10
	v_subrev_nc_u32_e32 v10, 28, v60
	v_lshlrev_b64 v[10:11], v10, v[2:3]
	v_sub_nc_u32_e32 v11, 29, v60
	v_and_b32_e32 v10, 7, v10
; %bb.1012:                             ;   in Loop: Header=BB269_554 Depth=1
	s_or_b32 exec_lo, exec_lo, s22
	v_lshlrev_b32_e32 v2, 8, v2
	v_lshl_add_u32 v11, v11, 10, 0x2000
	v_lshlrev_b32_e32 v10, 23, v10
	v_and_or_b32 v2, 0x8000, v2, v11
	v_lshl_or_b32 v10, v2, 16, v10
.LBB269_1013:                           ;   in Loop: Header=BB269_554 Depth=1
	s_or_b32 exec_lo, exec_lo, s21
.LBB269_1014:                           ;   in Loop: Header=BB269_554 Depth=1
	s_or_b32 exec_lo, exec_lo, s18
.LBB269_1015:                           ;   in Loop: Header=BB269_554 Depth=1
	s_or_b32 exec_lo, exec_lo, s17
	v_or_b32_e32 v2, v55, v56
	s_waitcnt vmcnt(0)
	v_fma_mixlo_f16 v11, v52, v55, 0 op_sel:[0,1,0] op_sel_hi:[0,1,0]
	v_or_b32_e32 v55, v53, v54
	v_fma_mixlo_f16 v53, v52, v53, 0 op_sel:[0,1,0] op_sel_hi:[0,1,0]
	v_or_b32_e32 v56, v59, v58
	v_or_b32_e32 v57, v10, v57
	v_fma_mixlo_f16 v58, v52, v2, 0 op_sel_hi:[0,1,0]
	v_fma_mixlo_f16 v10, v52, v10, 0 op_sel:[0,1,0] op_sel_hi:[0,1,0]
	v_lshlrev_b32_e32 v54, 16, v53
	v_fma_mixlo_f16 v53, v52, v55, 0 op_sel_hi:[0,1,0]
	v_fma_mixlo_f16 v55, v52, v59, 0 op_sel:[0,1,0] op_sel_hi:[0,1,0]
	v_fma_mixlo_f16 v56, v52, v56, 0 op_sel_hi:[0,1,0]
	v_fma_mixlo_f16 v57, v52, v57, 0 op_sel_hi:[0,1,0]
	v_lshlrev_b32_e32 v2, 16, v11
	v_and_b32_e32 v11, 0xffff, v58
	v_and_b32_e32 v60, 0xffff, v53
	v_lshlrev_b32_e32 v52, 16, v55
	v_and_b32_e32 v56, 0xffff, v56
	v_lshlrev_b32_e32 v10, 16, v10
	v_and_b32_e32 v53, 0xffff, v57
	v_or_b32_e32 v55, v2, v11
	v_or_b32_e32 v59, v54, v60
	;; [unrolled: 1-line block ×4, first 2 shown]
	s_and_saveexec_b32 s17, vcc_lo
	s_cbranch_execz .LBB269_1017
; %bb.1016:                             ;   in Loop: Header=BB269_554 Depth=1
	v_cmp_gt_i32_e64 s0, s31, v13
	v_cndmask_b32_e64 v55, 0, v60, s0
	v_cmp_gt_i32_e64 s0, s31, v36
	v_cndmask_b32_e64 v54, 0, v54, s0
	v_cmp_gt_i32_e64 s0, s31, v34
	v_or_b32_e32 v59, v54, v55
	v_cndmask_b32_e64 v11, 0, v11, s0
	v_cmp_gt_i32_e64 s0, s31, v33
	v_cndmask_b32_e64 v2, 0, v2, s0
	v_cmp_gt_i32_e64 s0, s31, v32
	v_or_b32_e32 v55, v2, v11
	;; [unrolled: 5-line block ×3, first 2 shown]
	v_cndmask_b32_e64 v53, 0, v53, s0
	v_cmp_gt_i32_e64 s0, s31, v29
	v_cndmask_b32_e64 v10, 0, v10, s0
	v_or_b32_e32 v57, v10, v53
.LBB269_1017:                           ;   in Loop: Header=BB269_554 Depth=1
	s_or_b32 exec_lo, exec_lo, s17
	;;#ASMSTART
	v_pk_mul_f16 v2, v41, v59;

	;;#ASMEND
	;;#ASMSTART
	v_pk_mul_f16 v10, v40, v55;

	;;#ASMEND
	;; [unrolled: 4-line block ×4, first 2 shown]
	;;#ASMSTART
	v_pk_add_f16 v2, v2, v10;

	;;#ASMEND
	;;#ASMSTART
	v_pk_add_f16 v2, v2, v11;

	;;#ASMEND
	;; [unrolled: 4-line block ×3, first 2 shown]
	v_and_b32_e32 v10, 0xffff, v2
	v_lshrrev_b32_e32 v2, 16, v2
	;;#ASMSTART
	v_cvt_f32_f16 v10, v10;
	;;#ASMEND
	;;#ASMSTART
	v_cvt_f32_f16 v11, v2;
	;;#ASMEND
	global_load_dwordx2 v[8:9], v[8:9], off offset:1792
	v_mov_b32_e32 v53, 0
	v_mov_b32_e32 v54, 0
	global_load_dword v52, v53, s[14:15]
	s_waitcnt vmcnt(1)
	v_cmp_ne_u16_sdwa s0, v8, v3 src0_sel:BYTE_0 src1_sel:DWORD
	s_and_saveexec_b32 s17, s0
	s_cbranch_execz .LBB269_1025
; %bb.1018:                             ;   in Loop: Header=BB269_554 Depth=1
	v_cmp_ne_u16_sdwa s0, v8, v24 src0_sel:BYTE_0 src1_sel:DWORD
	v_mov_b32_e32 v54, 0x8000
	s_and_saveexec_b32 s18, s0
	s_cbranch_execz .LBB269_1024
; %bb.1019:                             ;   in Loop: Header=BB269_554 Depth=1
	v_and_b32_e32 v55, 0x7f, v8
	v_mov_b32_e32 v54, 0x7c01
	s_mov_b32 s21, exec_lo
	v_cmpx_ne_u32_e32 0x7f, v55
	s_cbranch_execz .LBB269_1023
; %bb.1020:                             ;   in Loop: Header=BB269_554 Depth=1
	v_and_b32_e32 v2, 7, v8
	v_lshrrev_b32_e32 v54, 3, v55
	s_mov_b32 s22, exec_lo
	v_cmpx_gt_u32_e32 8, v55
; %bb.1021:                             ;   in Loop: Header=BB269_554 Depth=1
	v_ffbh_u32_e32 v2, v2
	v_min_u32_e32 v2, 32, v2
	v_subrev_nc_u32_e32 v54, 28, v2
	v_lshlrev_b64 v[55:56], v54, v[8:9]
	v_sub_nc_u32_e32 v54, 29, v2
	v_and_b32_e32 v2, 7, v55
; %bb.1022:                             ;   in Loop: Header=BB269_554 Depth=1
	s_or_b32 exec_lo, exec_lo, s22
	v_lshlrev_b32_e32 v55, 8, v8
	v_lshl_add_u32 v54, v54, 10, 0x2000
	v_lshlrev_b32_e32 v2, 7, v2
	v_and_b32_e32 v55, 0x8000, v55
	v_and_b32_e32 v54, 0xfc00, v54
	v_or3_b32 v54, v55, v54, v2
.LBB269_1023:                           ;   in Loop: Header=BB269_554 Depth=1
	s_or_b32 exec_lo, exec_lo, s21
.LBB269_1024:                           ;   in Loop: Header=BB269_554 Depth=1
	s_or_b32 exec_lo, exec_lo, s18
.LBB269_1025:                           ;   in Loop: Header=BB269_554 Depth=1
	s_or_b32 exec_lo, exec_lo, s17
	v_lshrrev_b16 v2, 8, v8
	s_mov_b32 s17, exec_lo
	v_cmpx_ne_u16_e32 0, v2
	s_cbranch_execz .LBB269_1033
; %bb.1026:                             ;   in Loop: Header=BB269_554 Depth=1
	v_bfrev_b32_e32 v53, 1
	s_mov_b32 s18, exec_lo
	v_cmpx_ne_u16_e32 0x80, v2
	s_cbranch_execz .LBB269_1032
; %bb.1027:                             ;   in Loop: Header=BB269_554 Depth=1
	v_and_b32_sdwa v56, v2, v25 dst_sel:DWORD dst_unused:UNUSED_PAD src0_sel:WORD_0 src1_sel:DWORD
	v_mov_b32_e32 v53, 0x7c010000
	s_mov_b32 s21, exec_lo
	v_cmpx_ne_u32_e32 0x7f, v56
	s_cbranch_execz .LBB269_1031
; %bb.1028:                             ;   in Loop: Header=BB269_554 Depth=1
	v_and_b32_sdwa v53, v2, v26 dst_sel:DWORD dst_unused:UNUSED_PAD src0_sel:WORD_0 src1_sel:DWORD
	v_lshrrev_b32_e32 v55, 3, v56
	s_mov_b32 s22, exec_lo
	v_cmpx_gt_u32_e32 8, v56
; %bb.1029:                             ;   in Loop: Header=BB269_554 Depth=1
	v_ffbh_u32_e32 v53, v53
	v_min_u32_e32 v53, 32, v53
	v_subrev_nc_u32_e32 v55, 28, v53
	v_lshlrev_b64 v[56:57], v55, v[2:3]
	v_sub_nc_u32_e32 v55, 29, v53
	v_and_b32_e32 v53, 7, v56
; %bb.1030:                             ;   in Loop: Header=BB269_554 Depth=1
	s_or_b32 exec_lo, exec_lo, s22
	v_lshlrev_b32_sdwa v2, v27, v2 dst_sel:DWORD dst_unused:UNUSED_PAD src0_sel:DWORD src1_sel:WORD_0
	v_lshl_add_u32 v55, v55, 10, 0x2000
	v_lshlrev_b32_e32 v53, 23, v53
	v_and_or_b32 v2, 0x8000, v2, v55
	v_lshl_or_b32 v53, v2, 16, v53
.LBB269_1031:                           ;   in Loop: Header=BB269_554 Depth=1
	s_or_b32 exec_lo, exec_lo, s21
.LBB269_1032:                           ;   in Loop: Header=BB269_554 Depth=1
	s_or_b32 exec_lo, exec_lo, s18
.LBB269_1033:                           ;   in Loop: Header=BB269_554 Depth=1
	s_or_b32 exec_lo, exec_lo, s17
	v_lshrrev_b32_e32 v2, 16, v8
	v_mov_b32_e32 v55, 0
	v_mov_b32_e32 v56, 0
	v_cmp_ne_u16_sdwa s0, v2, v3 src0_sel:BYTE_0 src1_sel:DWORD
	s_and_saveexec_b32 s17, s0
	s_cbranch_execz .LBB269_1041
; %bb.1034:                             ;   in Loop: Header=BB269_554 Depth=1
	v_cmp_ne_u16_sdwa s0, v2, v24 src0_sel:BYTE_0 src1_sel:DWORD
	v_mov_b32_e32 v56, 0x8000
	s_and_saveexec_b32 s18, s0
	s_cbranch_execz .LBB269_1040
; %bb.1035:                             ;   in Loop: Header=BB269_554 Depth=1
	v_bfe_u32 v58, v8, 16, 7
	v_mov_b32_e32 v56, 0x7c01
	s_mov_b32 s21, exec_lo
	v_cmpx_ne_u32_e32 0x7f, v58
	s_cbranch_execz .LBB269_1039
; %bb.1036:                             ;   in Loop: Header=BB269_554 Depth=1
	v_and_b32_e32 v56, 7, v2
	v_lshrrev_b32_e32 v57, 3, v58
	s_mov_b32 s22, exec_lo
	v_cmpx_gt_u32_e32 8, v58
; %bb.1037:                             ;   in Loop: Header=BB269_554 Depth=1
	v_ffbh_u32_e32 v56, v56
	v_min_u32_e32 v58, 32, v56
	v_subrev_nc_u32_e32 v56, 28, v58
	v_lshlrev_b64 v[56:57], v56, v[2:3]
	v_sub_nc_u32_e32 v57, 29, v58
	v_and_b32_e32 v56, 7, v56
; %bb.1038:                             ;   in Loop: Header=BB269_554 Depth=1
	s_or_b32 exec_lo, exec_lo, s22
	v_lshlrev_b32_e32 v2, 8, v2
	v_lshl_add_u32 v57, v57, 10, 0x2000
	v_lshlrev_b32_e32 v56, 7, v56
	v_and_b32_e32 v2, 0x8000, v2
	v_and_b32_e32 v57, 0xfc00, v57
	v_or3_b32 v56, v2, v57, v56
.LBB269_1039:                           ;   in Loop: Header=BB269_554 Depth=1
	s_or_b32 exec_lo, exec_lo, s21
.LBB269_1040:                           ;   in Loop: Header=BB269_554 Depth=1
	s_or_b32 exec_lo, exec_lo, s18
.LBB269_1041:                           ;   in Loop: Header=BB269_554 Depth=1
	s_or_b32 exec_lo, exec_lo, s17
	s_mov_b32 s17, exec_lo
	v_cmpx_lt_u32_e32 0xffffff, v8
	s_cbranch_execz .LBB269_1049
; %bb.1042:                             ;   in Loop: Header=BB269_554 Depth=1
	v_lshrrev_b32_e32 v2, 24, v8
	v_bfrev_b32_e32 v55, 1
	s_mov_b32 s18, exec_lo
	v_cmpx_ne_u32_e32 0x80, v2
	s_cbranch_execz .LBB269_1048
; %bb.1043:                             ;   in Loop: Header=BB269_554 Depth=1
	v_and_b32_e32 v58, 0x7f, v2
	v_mov_b32_e32 v55, 0x7c010000
	s_mov_b32 s21, exec_lo
	v_cmpx_ne_u32_e32 0x7f, v58
	s_cbranch_execz .LBB269_1047
; %bb.1044:                             ;   in Loop: Header=BB269_554 Depth=1
	v_and_b32_e32 v55, 7, v2
	v_lshrrev_b32_e32 v57, 3, v58
	s_mov_b32 s22, exec_lo
	v_cmpx_gt_u32_e32 8, v58
; %bb.1045:                             ;   in Loop: Header=BB269_554 Depth=1
	v_ffbh_u32_e32 v55, v55
	v_min_u32_e32 v55, 32, v55
	v_subrev_nc_u32_e32 v57, 28, v55
	v_lshlrev_b64 v[58:59], v57, v[2:3]
	v_sub_nc_u32_e32 v57, 29, v55
	v_and_b32_e32 v55, 7, v58
; %bb.1046:                             ;   in Loop: Header=BB269_554 Depth=1
	s_or_b32 exec_lo, exec_lo, s22
	v_lshlrev_b32_e32 v2, 8, v2
	v_lshl_add_u32 v57, v57, 10, 0x2000
	v_lshlrev_b32_e32 v55, 23, v55
	v_and_or_b32 v2, 0x8000, v2, v57
	v_lshl_or_b32 v55, v2, 16, v55
.LBB269_1047:                           ;   in Loop: Header=BB269_554 Depth=1
	s_or_b32 exec_lo, exec_lo, s21
.LBB269_1048:                           ;   in Loop: Header=BB269_554 Depth=1
	s_or_b32 exec_lo, exec_lo, s18
.LBB269_1049:                           ;   in Loop: Header=BB269_554 Depth=1
	s_or_b32 exec_lo, exec_lo, s17
	v_mov_b32_e32 v2, v9
	v_cmp_ne_u16_sdwa s0, v9, v3 src0_sel:BYTE_0 src1_sel:DWORD
	v_mov_b32_e32 v57, 0
	v_mov_b32_e32 v58, 0
	s_and_saveexec_b32 s17, s0
	s_cbranch_execz .LBB269_1057
; %bb.1050:                             ;   in Loop: Header=BB269_554 Depth=1
	v_cmp_ne_u16_sdwa s0, v9, v24 src0_sel:BYTE_0 src1_sel:DWORD
	v_mov_b32_e32 v58, 0x8000
	s_and_saveexec_b32 s18, s0
	s_cbranch_execz .LBB269_1056
; %bb.1051:                             ;   in Loop: Header=BB269_554 Depth=1
	v_and_b32_e32 v60, 0x7f, v9
	v_mov_b32_e32 v58, 0x7c01
	s_mov_b32 s21, exec_lo
	v_cmpx_ne_u32_e32 0x7f, v60
	s_cbranch_execz .LBB269_1055
; %bb.1052:                             ;   in Loop: Header=BB269_554 Depth=1
	v_and_b32_e32 v58, 7, v9
	v_lshrrev_b32_e32 v59, 3, v60
	s_mov_b32 s22, exec_lo
	v_cmpx_gt_u32_e32 8, v60
; %bb.1053:                             ;   in Loop: Header=BB269_554 Depth=1
	v_ffbh_u32_e32 v58, v58
	v_min_u32_e32 v60, 32, v58
	v_subrev_nc_u32_e32 v58, 28, v60
	v_lshlrev_b64 v[58:59], v58, v[2:3]
	v_sub_nc_u32_e32 v59, 29, v60
	v_and_b32_e32 v58, 7, v58
; %bb.1054:                             ;   in Loop: Header=BB269_554 Depth=1
	s_or_b32 exec_lo, exec_lo, s22
	v_lshlrev_b32_e32 v60, 8, v9
	v_lshl_add_u32 v59, v59, 10, 0x2000
	v_lshlrev_b32_e32 v58, 7, v58
	v_and_b32_e32 v60, 0x8000, v60
	v_and_b32_e32 v59, 0xfc00, v59
	v_or3_b32 v58, v60, v59, v58
.LBB269_1055:                           ;   in Loop: Header=BB269_554 Depth=1
	s_or_b32 exec_lo, exec_lo, s21
.LBB269_1056:                           ;   in Loop: Header=BB269_554 Depth=1
	s_or_b32 exec_lo, exec_lo, s18
.LBB269_1057:                           ;   in Loop: Header=BB269_554 Depth=1
	s_or_b32 exec_lo, exec_lo, s17
	v_lshrrev_b16 v2, 8, v2
	v_mov_b32_e32 v59, 0
	s_mov_b32 s17, exec_lo
	v_cmpx_ne_u16_e32 0, v2
	s_cbranch_execz .LBB269_1065
; %bb.1058:                             ;   in Loop: Header=BB269_554 Depth=1
	v_bfrev_b32_e32 v59, 1
	s_mov_b32 s18, exec_lo
	v_cmpx_ne_u16_e32 0x80, v2
	s_cbranch_execz .LBB269_1064
; %bb.1059:                             ;   in Loop: Header=BB269_554 Depth=1
	v_and_b32_sdwa v61, v2, v25 dst_sel:DWORD dst_unused:UNUSED_PAD src0_sel:WORD_0 src1_sel:DWORD
	v_mov_b32_e32 v59, 0x7c010000
	s_mov_b32 s21, exec_lo
	v_cmpx_ne_u32_e32 0x7f, v61
	s_cbranch_execz .LBB269_1063
; %bb.1060:                             ;   in Loop: Header=BB269_554 Depth=1
	v_and_b32_sdwa v59, v2, v26 dst_sel:DWORD dst_unused:UNUSED_PAD src0_sel:WORD_0 src1_sel:DWORD
	v_lshrrev_b32_e32 v60, 3, v61
	s_mov_b32 s22, exec_lo
	v_cmpx_gt_u32_e32 8, v61
; %bb.1061:                             ;   in Loop: Header=BB269_554 Depth=1
	v_ffbh_u32_e32 v59, v59
	v_min_u32_e32 v61, 32, v59
	v_subrev_nc_u32_e32 v59, 28, v61
	v_lshlrev_b64 v[59:60], v59, v[2:3]
	v_sub_nc_u32_e32 v60, 29, v61
	v_and_b32_e32 v59, 7, v59
; %bb.1062:                             ;   in Loop: Header=BB269_554 Depth=1
	s_or_b32 exec_lo, exec_lo, s22
	v_lshlrev_b32_sdwa v2, v27, v2 dst_sel:DWORD dst_unused:UNUSED_PAD src0_sel:DWORD src1_sel:WORD_0
	v_lshl_add_u32 v60, v60, 10, 0x2000
	v_lshlrev_b32_e32 v59, 23, v59
	v_and_or_b32 v2, 0x8000, v2, v60
	v_lshl_or_b32 v59, v2, 16, v59
.LBB269_1063:                           ;   in Loop: Header=BB269_554 Depth=1
	s_or_b32 exec_lo, exec_lo, s21
.LBB269_1064:                           ;   in Loop: Header=BB269_554 Depth=1
	s_or_b32 exec_lo, exec_lo, s18
.LBB269_1065:                           ;   in Loop: Header=BB269_554 Depth=1
	s_or_b32 exec_lo, exec_lo, s17
	v_lshrrev_b32_e32 v2, 16, v9
	v_cmp_ne_u16_sdwa s0, v2, v3 src0_sel:BYTE_0 src1_sel:DWORD
	s_and_saveexec_b32 s17, s0
	s_cbranch_execz .LBB269_1073
; %bb.1066:                             ;   in Loop: Header=BB269_554 Depth=1
	v_cmp_ne_u16_sdwa s0, v2, v24 src0_sel:BYTE_0 src1_sel:DWORD
	v_mov_b32_e32 v57, 0x8000
	s_and_saveexec_b32 s18, s0
	s_cbranch_execz .LBB269_1072
; %bb.1067:                             ;   in Loop: Header=BB269_554 Depth=1
	v_bfe_u32 v61, v9, 16, 7
	v_mov_b32_e32 v57, 0x7c01
	s_mov_b32 s21, exec_lo
	v_cmpx_ne_u32_e32 0x7f, v61
	s_cbranch_execz .LBB269_1071
; %bb.1068:                             ;   in Loop: Header=BB269_554 Depth=1
	v_and_b32_e32 v57, 7, v2
	v_lshrrev_b32_e32 v60, 3, v61
	s_mov_b32 s22, exec_lo
	v_cmpx_gt_u32_e32 8, v61
; %bb.1069:                             ;   in Loop: Header=BB269_554 Depth=1
	v_ffbh_u32_e32 v57, v57
	v_min_u32_e32 v57, 32, v57
	v_subrev_nc_u32_e32 v60, 28, v57
	v_lshlrev_b64 v[61:62], v60, v[2:3]
	v_sub_nc_u32_e32 v60, 29, v57
	v_and_b32_e32 v57, 7, v61
; %bb.1070:                             ;   in Loop: Header=BB269_554 Depth=1
	s_or_b32 exec_lo, exec_lo, s22
	v_lshlrev_b32_e32 v2, 8, v2
	v_lshl_add_u32 v60, v60, 10, 0x2000
	v_lshlrev_b32_e32 v57, 7, v57
	v_and_b32_e32 v2, 0x8000, v2
	v_and_b32_e32 v60, 0xfc00, v60
	v_or3_b32 v57, v2, v60, v57
.LBB269_1071:                           ;   in Loop: Header=BB269_554 Depth=1
	s_or_b32 exec_lo, exec_lo, s21
.LBB269_1072:                           ;   in Loop: Header=BB269_554 Depth=1
	s_or_b32 exec_lo, exec_lo, s18
.LBB269_1073:                           ;   in Loop: Header=BB269_554 Depth=1
	s_or_b32 exec_lo, exec_lo, s17
	v_cmp_lt_u64_e64 s0, s[4:5], v[8:9]
	v_mov_b32_e32 v8, 0
	s_and_saveexec_b32 s17, s0
	s_cbranch_execz .LBB269_1081
; %bb.1074:                             ;   in Loop: Header=BB269_554 Depth=1
	v_lshrrev_b32_e32 v2, 24, v9
	v_bfrev_b32_e32 v8, 1
	s_mov_b32 s18, exec_lo
	v_cmpx_ne_u32_e32 0x80, v2
	s_cbranch_execz .LBB269_1080
; %bb.1075:                             ;   in Loop: Header=BB269_554 Depth=1
	v_and_b32_e32 v60, 0x7f, v2
	v_mov_b32_e32 v8, 0x7c010000
	s_mov_b32 s21, exec_lo
	v_cmpx_ne_u32_e32 0x7f, v60
	s_cbranch_execz .LBB269_1079
; %bb.1076:                             ;   in Loop: Header=BB269_554 Depth=1
	v_and_b32_e32 v8, 7, v2
	v_lshrrev_b32_e32 v9, 3, v60
	s_mov_b32 s22, exec_lo
	v_cmpx_gt_u32_e32 8, v60
; %bb.1077:                             ;   in Loop: Header=BB269_554 Depth=1
	v_ffbh_u32_e32 v8, v8
	v_min_u32_e32 v60, 32, v8
	v_subrev_nc_u32_e32 v8, 28, v60
	v_lshlrev_b64 v[8:9], v8, v[2:3]
	v_sub_nc_u32_e32 v9, 29, v60
	v_and_b32_e32 v8, 7, v8
; %bb.1078:                             ;   in Loop: Header=BB269_554 Depth=1
	s_or_b32 exec_lo, exec_lo, s22
	v_lshlrev_b32_e32 v2, 8, v2
	v_lshl_add_u32 v9, v9, 10, 0x2000
	v_lshlrev_b32_e32 v8, 23, v8
	v_and_or_b32 v2, 0x8000, v2, v9
	v_lshl_or_b32 v8, v2, 16, v8
.LBB269_1079:                           ;   in Loop: Header=BB269_554 Depth=1
	s_or_b32 exec_lo, exec_lo, s21
.LBB269_1080:                           ;   in Loop: Header=BB269_554 Depth=1
	s_or_b32 exec_lo, exec_lo, s18
.LBB269_1081:                           ;   in Loop: Header=BB269_554 Depth=1
	s_or_b32 exec_lo, exec_lo, s17
	v_or_b32_e32 v2, v55, v56
	s_waitcnt vmcnt(0)
	v_fma_mixlo_f16 v9, v52, v55, 0 op_sel:[0,1,0] op_sel_hi:[0,1,0]
	v_or_b32_e32 v54, v53, v54
	v_fma_mixlo_f16 v55, v52, v53, 0 op_sel:[0,1,0] op_sel_hi:[0,1,0]
	v_or_b32_e32 v56, v59, v58
	v_fma_mixlo_f16 v2, v52, v2, 0 op_sel_hi:[0,1,0]
	v_or_b32_e32 v57, v8, v57
	v_lshlrev_b32_e32 v53, 16, v9
	v_lshlrev_b32_e32 v58, 16, v55
	v_fma_mixlo_f16 v9, v52, v54, 0 op_sel_hi:[0,1,0]
	v_and_b32_e32 v55, 0xffff, v2
	v_fma_mixlo_f16 v2, v52, v59, 0 op_sel:[0,1,0] op_sel_hi:[0,1,0]
	v_fma_mixlo_f16 v54, v52, v56, 0 op_sel_hi:[0,1,0]
	v_fma_mixlo_f16 v8, v52, v8, 0 op_sel:[0,1,0] op_sel_hi:[0,1,0]
	v_fma_mixlo_f16 v52, v52, v57, 0 op_sel_hi:[0,1,0]
	v_and_b32_e32 v60, 0xffff, v9
	v_lshlrev_b32_e32 v56, 16, v2
	v_and_b32_e32 v59, 0xffff, v54
	v_lshlrev_b32_e32 v54, 16, v8
	v_and_b32_e32 v57, 0xffff, v52
	v_or_b32_e32 v9, v53, v55
	v_or_b32_e32 v52, v58, v60
	;; [unrolled: 1-line block ×4, first 2 shown]
	s_and_saveexec_b32 s0, vcc_lo
	s_cbranch_execz .LBB269_552
; %bb.1082:                             ;   in Loop: Header=BB269_554 Depth=1
	v_cmp_gt_i32_e32 vcc_lo, s31, v13
	v_cndmask_b32_e32 v2, 0, v60, vcc_lo
	v_cmp_gt_i32_e32 vcc_lo, s31, v36
	v_cndmask_b32_e32 v8, 0, v58, vcc_lo
	v_cmp_gt_i32_e32 vcc_lo, s31, v34
	v_or_b32_e32 v52, v8, v2
	v_cndmask_b32_e32 v9, 0, v55, vcc_lo
	v_cmp_gt_i32_e32 vcc_lo, s31, v33
	v_cndmask_b32_e32 v33, 0, v53, vcc_lo
	v_cmp_gt_i32_e32 vcc_lo, s31, v32
	v_or_b32_e32 v9, v33, v9
	;; [unrolled: 5-line block ×3, first 2 shown]
	v_cndmask_b32_e32 v30, 0, v57, vcc_lo
	v_cmp_gt_i32_e32 vcc_lo, s31, v29
	v_cndmask_b32_e32 v29, 0, v54, vcc_lo
	v_or_b32_e32 v2, v29, v30
	s_branch .LBB269_552
.LBB269_1083:
	s_or_b32 exec_lo, exec_lo, s12
.LBB269_1084:
	s_or_b32 exec_lo, exec_lo, s1
	v_lshl_add_u32 v2, v14, 2, 0x220
	v_and_b32_e32 v3, 0x3c0, v0
	s_mov_b32 s0, exec_lo
	s_waitcnt_vscnt null, 0x0
	s_barrier
	v_lshl_add_u32 v1, v12, 10, v2
	buffer_gl0_inv
	v_cmpx_eq_u32_e32 64, v3
	s_cbranch_execz .LBB269_1086
; %bb.1085:
	v_add_nc_u32_e32 v3, 0xfffff800, v1
	v_add_nc_u32_e32 v4, 0xfffff880, v1
	v_add_nc_u32_e32 v5, 0xfffff900, v1
	v_add_nc_u32_e32 v6, 0xfffffb00, v1
	v_add_nc_u32_e32 v7, 0xfffffb80, v1
	ds_write_b32 v3, v22
	ds_write_b32 v4, v21
	;; [unrolled: 1-line block ×3, first 2 shown]
	v_add_nc_u32_e32 v3, 0xfffff980, v1
	v_add_nc_u32_e32 v4, 0xfffffa00, v1
	;; [unrolled: 1-line block ×3, first 2 shown]
	ds_write_b32 v3, v19
	ds_write_b32 v4, v18
	;; [unrolled: 1-line block ×5, first 2 shown]
.LBB269_1086:
	s_or_b32 exec_lo, exec_lo, s0
	s_mov_b32 s0, exec_lo
	s_waitcnt lgkmcnt(0)
	s_barrier
	buffer_gl0_inv
	v_cmpx_gt_u32_e32 64, v0
	s_cbranch_execz .LBB269_1088
; %bb.1087:
	ds_read2_b32 v[3:4], v1 offset1:32
	ds_read2_b32 v[5:6], v1 offset0:64 offset1:96
	ds_read2_b32 v[7:8], v1 offset0:128 offset1:160
	;; [unrolled: 1-line block ×3, first 2 shown]
	s_waitcnt lgkmcnt(3)
	v_add_f32_e32 v22, v22, v3
	v_add_f32_e32 v21, v21, v4
	s_waitcnt lgkmcnt(2)
	v_add_f32_e32 v20, v20, v5
	v_add_f32_e32 v19, v19, v6
	;; [unrolled: 3-line block ×4, first 2 shown]
.LBB269_1088:
	s_or_b32 exec_lo, exec_lo, s0
	v_and_b32_e32 v3, 0x3e0, v0
	s_mov_b32 s0, exec_lo
	s_barrier
	buffer_gl0_inv
	v_cmpx_eq_u32_e32 32, v3
	s_cbranch_execz .LBB269_1090
; %bb.1089:
	ds_write2_b32 v2, v22, v21 offset1:32
	ds_write2_b32 v2, v20, v19 offset0:64 offset1:96
	ds_write2_b32 v2, v18, v17 offset0:128 offset1:160
	;; [unrolled: 1-line block ×3, first 2 shown]
.LBB269_1090:
	s_or_b32 exec_lo, exec_lo, s0
	v_cmp_gt_u32_e32 vcc_lo, 32, v0
	s_waitcnt lgkmcnt(0)
	s_barrier
	buffer_gl0_inv
	s_and_saveexec_b32 s0, vcc_lo
	s_cbranch_execz .LBB269_1092
; %bb.1091:
	ds_read2_b32 v[2:3], v1 offset1:32
	ds_read2_b32 v[4:5], v1 offset0:64 offset1:96
	ds_read2_b32 v[6:7], v1 offset0:128 offset1:160
	;; [unrolled: 1-line block ×3, first 2 shown]
	s_waitcnt lgkmcnt(3)
	v_add_f32_e32 v22, v22, v2
	v_add_f32_e32 v21, v21, v3
	s_waitcnt lgkmcnt(2)
	v_add_f32_e32 v20, v20, v4
	v_add_f32_e32 v19, v19, v5
	;; [unrolled: 3-line block ×4, first 2 shown]
.LBB269_1092:
	s_or_b32 exec_lo, exec_lo, s0
	s_barrier
	buffer_gl0_inv
	s_and_saveexec_b32 s0, vcc_lo
	s_cbranch_execz .LBB269_1094
; %bb.1093:
	s_lshl_b32 s0, s2, 8
	s_mul_i32 s2, s7, s10
	s_ashr_i32 s1, s0, 31
	v_lshlrev_b32_e32 v0, 1, v0
	s_lshl_b64 s[0:1], s[0:1], 1
	;;#ASMSTART
	v_cvt_f16_f32 v1, v22;

	;;#ASMEND
	s_add_u32 s4, s28, s0
	s_addc_u32 s5, s29, s1
	s_ashr_i32 s3, s2, 31
	s_lshl_b64 s[0:1], s[2:3], 1
	s_add_u32 s2, s4, s0
	s_addc_u32 s3, s5, s1
	s_lshl_b32 s0, s8, 8
	s_ashr_i32 s1, s0, 31
	s_lshl_b64 s[0:1], s[0:1], 1
	s_add_u32 s0, s2, s0
	s_addc_u32 s1, s3, s1
	global_store_short v0, v1, s[0:1]
	;;#ASMSTART
	v_cvt_f16_f32 v1, v21;

	;;#ASMEND
	global_store_short v0, v1, s[0:1] offset:64
	;;#ASMSTART
	v_cvt_f16_f32 v1, v20;

	;;#ASMEND
	global_store_short v0, v1, s[0:1] offset:128
	;; [unrolled: 5-line block ×7, first 2 shown]
.LBB269_1094:
	s_endpgm
	.section	.rodata,"a",@progbits
	.p2align	6, 0x0
	.amdhsa_kernel _ZN4vllm25paged_attention_v2_kernelIthLi256ELi8ELi128ELNS_18Fp8KVCacheDataTypeE1ELb1ELi512EEEvPfS2_PT_PKS3_PKT0_S9_ifPKiSB_iPKfiiiSD_SD_iiiii
		.amdhsa_group_segment_fixed_size 544
		.amdhsa_private_segment_fixed_size 0
		.amdhsa_kernarg_size 400
		.amdhsa_user_sgpr_count 6
		.amdhsa_user_sgpr_private_segment_buffer 1
		.amdhsa_user_sgpr_dispatch_ptr 0
		.amdhsa_user_sgpr_queue_ptr 0
		.amdhsa_user_sgpr_kernarg_segment_ptr 1
		.amdhsa_user_sgpr_dispatch_id 0
		.amdhsa_user_sgpr_flat_scratch_init 0
		.amdhsa_user_sgpr_private_segment_size 0
		.amdhsa_wavefront_size32 1
		.amdhsa_uses_dynamic_stack 0
		.amdhsa_system_sgpr_private_segment_wavefront_offset 0
		.amdhsa_system_sgpr_workgroup_id_x 1
		.amdhsa_system_sgpr_workgroup_id_y 1
		.amdhsa_system_sgpr_workgroup_id_z 1
		.amdhsa_system_sgpr_workgroup_info 0
		.amdhsa_system_vgpr_workitem_id 0
		.amdhsa_next_free_vgpr 125
		.amdhsa_next_free_sgpr 52
		.amdhsa_reserve_vcc 1
		.amdhsa_reserve_flat_scratch 0
		.amdhsa_float_round_mode_32 0
		.amdhsa_float_round_mode_16_64 0
		.amdhsa_float_denorm_mode_32 3
		.amdhsa_float_denorm_mode_16_64 3
		.amdhsa_dx10_clamp 1
		.amdhsa_ieee_mode 1
		.amdhsa_fp16_overflow 0
		.amdhsa_workgroup_processor_mode 1
		.amdhsa_memory_ordered 1
		.amdhsa_forward_progress 1
		.amdhsa_shared_vgpr_count 0
		.amdhsa_exception_fp_ieee_invalid_op 0
		.amdhsa_exception_fp_denorm_src 0
		.amdhsa_exception_fp_ieee_div_zero 0
		.amdhsa_exception_fp_ieee_overflow 0
		.amdhsa_exception_fp_ieee_underflow 0
		.amdhsa_exception_fp_ieee_inexact 0
		.amdhsa_exception_int_div_zero 0
	.end_amdhsa_kernel
	.section	.text._ZN4vllm25paged_attention_v2_kernelIthLi256ELi8ELi128ELNS_18Fp8KVCacheDataTypeE1ELb1ELi512EEEvPfS2_PT_PKS3_PKT0_S9_ifPKiSB_iPKfiiiSD_SD_iiiii,"axG",@progbits,_ZN4vllm25paged_attention_v2_kernelIthLi256ELi8ELi128ELNS_18Fp8KVCacheDataTypeE1ELb1ELi512EEEvPfS2_PT_PKS3_PKT0_S9_ifPKiSB_iPKfiiiSD_SD_iiiii,comdat
.Lfunc_end269:
	.size	_ZN4vllm25paged_attention_v2_kernelIthLi256ELi8ELi128ELNS_18Fp8KVCacheDataTypeE1ELb1ELi512EEEvPfS2_PT_PKS3_PKT0_S9_ifPKiSB_iPKfiiiSD_SD_iiiii, .Lfunc_end269-_ZN4vllm25paged_attention_v2_kernelIthLi256ELi8ELi128ELNS_18Fp8KVCacheDataTypeE1ELb1ELi512EEEvPfS2_PT_PKS3_PKT0_S9_ifPKiSB_iPKfiiiSD_SD_iiiii
                                        ; -- End function
	.set _ZN4vllm25paged_attention_v2_kernelIthLi256ELi8ELi128ELNS_18Fp8KVCacheDataTypeE1ELb1ELi512EEEvPfS2_PT_PKS3_PKT0_S9_ifPKiSB_iPKfiiiSD_SD_iiiii.num_vgpr, 125
	.set _ZN4vllm25paged_attention_v2_kernelIthLi256ELi8ELi128ELNS_18Fp8KVCacheDataTypeE1ELb1ELi512EEEvPfS2_PT_PKS3_PKT0_S9_ifPKiSB_iPKfiiiSD_SD_iiiii.num_agpr, 0
	.set _ZN4vllm25paged_attention_v2_kernelIthLi256ELi8ELi128ELNS_18Fp8KVCacheDataTypeE1ELb1ELi512EEEvPfS2_PT_PKS3_PKT0_S9_ifPKiSB_iPKfiiiSD_SD_iiiii.numbered_sgpr, 52
	.set _ZN4vllm25paged_attention_v2_kernelIthLi256ELi8ELi128ELNS_18Fp8KVCacheDataTypeE1ELb1ELi512EEEvPfS2_PT_PKS3_PKT0_S9_ifPKiSB_iPKfiiiSD_SD_iiiii.num_named_barrier, 0
	.set _ZN4vllm25paged_attention_v2_kernelIthLi256ELi8ELi128ELNS_18Fp8KVCacheDataTypeE1ELb1ELi512EEEvPfS2_PT_PKS3_PKT0_S9_ifPKiSB_iPKfiiiSD_SD_iiiii.private_seg_size, 0
	.set _ZN4vllm25paged_attention_v2_kernelIthLi256ELi8ELi128ELNS_18Fp8KVCacheDataTypeE1ELb1ELi512EEEvPfS2_PT_PKS3_PKT0_S9_ifPKiSB_iPKfiiiSD_SD_iiiii.uses_vcc, 1
	.set _ZN4vllm25paged_attention_v2_kernelIthLi256ELi8ELi128ELNS_18Fp8KVCacheDataTypeE1ELb1ELi512EEEvPfS2_PT_PKS3_PKT0_S9_ifPKiSB_iPKfiiiSD_SD_iiiii.uses_flat_scratch, 0
	.set _ZN4vllm25paged_attention_v2_kernelIthLi256ELi8ELi128ELNS_18Fp8KVCacheDataTypeE1ELb1ELi512EEEvPfS2_PT_PKS3_PKT0_S9_ifPKiSB_iPKfiiiSD_SD_iiiii.has_dyn_sized_stack, 0
	.set _ZN4vllm25paged_attention_v2_kernelIthLi256ELi8ELi128ELNS_18Fp8KVCacheDataTypeE1ELb1ELi512EEEvPfS2_PT_PKS3_PKT0_S9_ifPKiSB_iPKfiiiSD_SD_iiiii.has_recursion, 0
	.set _ZN4vllm25paged_attention_v2_kernelIthLi256ELi8ELi128ELNS_18Fp8KVCacheDataTypeE1ELb1ELi512EEEvPfS2_PT_PKS3_PKT0_S9_ifPKiSB_iPKfiiiSD_SD_iiiii.has_indirect_call, 0
	.section	.AMDGPU.csdata,"",@progbits
; Kernel info:
; codeLenInByte = 36948
; TotalNumSgprs: 54
; NumVgprs: 125
; ScratchSize: 0
; MemoryBound: 0
; FloatMode: 240
; IeeeMode: 1
; LDSByteSize: 544 bytes/workgroup (compile time only)
; SGPRBlocks: 0
; VGPRBlocks: 15
; NumSGPRsForWavesPerEU: 54
; NumVGPRsForWavesPerEU: 125
; Occupancy: 8
; WaveLimiterHint : 1
; COMPUTE_PGM_RSRC2:SCRATCH_EN: 0
; COMPUTE_PGM_RSRC2:USER_SGPR: 6
; COMPUTE_PGM_RSRC2:TRAP_HANDLER: 0
; COMPUTE_PGM_RSRC2:TGID_X_EN: 1
; COMPUTE_PGM_RSRC2:TGID_Y_EN: 1
; COMPUTE_PGM_RSRC2:TGID_Z_EN: 1
; COMPUTE_PGM_RSRC2:TIDIG_COMP_CNT: 0
	.section	.text._ZN4vllm25paged_attention_v2_kernelIthLi32ELi8ELi128ELNS_18Fp8KVCacheDataTypeE1ELb0ELi512EEEvPfS2_PT_PKS3_PKT0_S9_ifPKiSB_iPKfiiiSD_SD_iiiii,"axG",@progbits,_ZN4vllm25paged_attention_v2_kernelIthLi32ELi8ELi128ELNS_18Fp8KVCacheDataTypeE1ELb0ELi512EEEvPfS2_PT_PKS3_PKT0_S9_ifPKiSB_iPKfiiiSD_SD_iiiii,comdat
	.protected	_ZN4vllm25paged_attention_v2_kernelIthLi32ELi8ELi128ELNS_18Fp8KVCacheDataTypeE1ELb0ELi512EEEvPfS2_PT_PKS3_PKT0_S9_ifPKiSB_iPKfiiiSD_SD_iiiii ; -- Begin function _ZN4vllm25paged_attention_v2_kernelIthLi32ELi8ELi128ELNS_18Fp8KVCacheDataTypeE1ELb0ELi512EEEvPfS2_PT_PKS3_PKT0_S9_ifPKiSB_iPKfiiiSD_SD_iiiii
	.globl	_ZN4vllm25paged_attention_v2_kernelIthLi32ELi8ELi128ELNS_18Fp8KVCacheDataTypeE1ELb0ELi512EEEvPfS2_PT_PKS3_PKT0_S9_ifPKiSB_iPKfiiiSD_SD_iiiii
	.p2align	8
	.type	_ZN4vllm25paged_attention_v2_kernelIthLi32ELi8ELi128ELNS_18Fp8KVCacheDataTypeE1ELb0ELi512EEEvPfS2_PT_PKS3_PKT0_S9_ifPKiSB_iPKfiiiSD_SD_iiiii,@function
_ZN4vllm25paged_attention_v2_kernelIthLi32ELi8ELi128ELNS_18Fp8KVCacheDataTypeE1ELb0ELi512EEEvPfS2_PT_PKS3_PKT0_S9_ifPKiSB_iPKfiiiSD_SD_iiiii: ; @_ZN4vllm25paged_attention_v2_kernelIthLi32ELi8ELi128ELNS_18Fp8KVCacheDataTypeE1ELb0ELi512EEEvPfS2_PT_PKS3_PKT0_S9_ifPKiSB_iPKfiiiSD_SD_iiiii
; %bb.0:
	s_load_dwordx2 s[0:1], s[4:5], 0x40
	s_mov_b32 s26, s7
	s_ashr_i32 s27, s7, 31
	s_lshl_b64 s[2:3], s[26:27], 2
	s_waitcnt lgkmcnt(0)
	s_add_u32 s0, s0, s2
	s_addc_u32 s1, s1, s3
	s_lshl_b32 s33, s8, 9
	s_load_dword s27, s[0:1], 0x0
	s_waitcnt lgkmcnt(0)
	s_cmp_ge_i32 s33, s27
	s_cbranch_scc1 .LBB270_174
; %bb.1:
	s_clause 0x1
	s_load_dword s9, s[4:5], 0x90
	s_load_dwordx2 s[36:37], s[4:5], 0x30
	s_waitcnt lgkmcnt(0)
	s_abs_i32 s3, s9
	s_abs_i32 s0, s36
	v_cvt_f32_u32_e32 v1, s0
	s_sub_i32 s2, 0, s0
	v_rcp_iflag_f32_e32 v1, v1
	v_mul_f32_e32 v1, 0x4f7ffffe, v1
	v_cvt_u32_f32_e32 v1, v1
	v_readfirstlane_b32 s1, v1
	s_mul_i32 s2, s2, s1
	s_mul_hi_u32 s2, s1, s2
	s_add_i32 s1, s1, s2
	s_xor_b32 s2, s9, s36
	s_mul_hi_u32 s1, s3, s1
	s_ashr_i32 s2, s2, 31
	s_mul_i32 s7, s1, s0
	s_mov_b32 s36, 0
	s_sub_i32 s3, s3, s7
	s_add_i32 s7, s1, 1
	s_sub_i32 s10, s3, s0
	s_cmp_ge_u32 s3, s0
	s_cselect_b32 s1, s7, s1
	s_cselect_b32 s3, s10, s3
	s_add_i32 s7, s1, 1
	s_cmp_ge_u32 s3, s0
	s_cselect_b32 s0, s7, s1
	s_abs_i32 s12, s6
	s_xor_b32 s0, s0, s2
	s_sub_i32 s10, s0, s2
	s_load_dwordx2 s[0:1], s[4:5], 0x50
	s_abs_i32 s2, s10
	v_cvt_f32_u32_e32 v1, s2
	s_sub_i32 s7, 0, s2
	v_rcp_iflag_f32_e32 v1, v1
	v_mul_f32_e32 v1, 0x4f7ffffe, v1
	v_cvt_u32_f32_e32 v1, v1
	v_readfirstlane_b32 s3, v1
	s_mul_i32 s7, s7, s3
	s_mul_hi_u32 s7, s3, s7
	s_add_i32 s3, s3, s7
	s_waitcnt lgkmcnt(0)
	s_cmp_eq_u64 s[0:1], 0
	s_mul_hi_u32 s3, s12, s3
	s_cbranch_scc1 .LBB270_3
; %bb.2:
	s_ashr_i32 s7, s6, 31
	s_lshl_b64 s[14:15], s[6:7], 2
	s_add_u32 s0, s0, s14
	s_addc_u32 s1, s1, s15
	s_load_dword s36, s[0:1], 0x0
.LBB270_3:
	s_load_dwordx4 s[16:19], s[4:5], 0x58
	v_and_b32_e32 v3, 3, v0
	s_ashr_i32 s0, s6, 31
	s_ashr_i32 s1, s10, 31
	s_lshl_b32 s10, s6, 5
	s_mov_b32 s7, exec_lo
	v_cmpx_gt_u32_e32 16, v0
	s_cbranch_execz .LBB270_5
; %bb.4:
	s_load_dwordx2 s[14:15], s[4:5], 0x18
	s_waitcnt lgkmcnt(0)
	s_mul_i32 s20, s16, s26
	v_lshlrev_b32_e32 v1, 2, v0
	s_ashr_i32 s21, s20, 31
	v_and_b32_e32 v2, 0x3fc, v0
	s_lshl_b64 s[20:21], s[20:21], 1
	v_lshl_add_u32 v2, v3, 4, v2
	s_add_u32 s13, s14, s20
	s_addc_u32 s16, s15, s21
	s_ashr_i32 s11, s10, 31
	s_lshl_b64 s[14:15], s[10:11], 1
	s_add_u32 s14, s13, s14
	s_addc_u32 s15, s16, s15
	global_load_dword v1, v1, s[14:15]
	s_waitcnt vmcnt(0)
	ds_write_b32 v2, v1
.LBB270_5:
	s_or_b32 exec_lo, exec_lo, s7
	s_add_i32 s7, s27, 7
	s_clause 0x1
	s_load_dwordx2 s[28:29], s[4:5], 0x38
	s_load_dword s13, s[4:5], 0x48
	s_ashr_i32 s11, s7, 31
	s_waitcnt lgkmcnt(0)
	s_lshl_b32 s19, s8, 6
	s_lshr_b32 s11, s11, 29
	s_xor_b32 s0, s0, s1
	s_add_i32 s7, s7, s11
	s_add_i32 s1, s19, 64
	s_ashr_i32 s16, s7, 3
	s_mul_i32 s7, s3, s2
	s_min_i32 s11, s1, s16
	s_sub_i32 s1, s12, s7
	s_add_i32 s7, s3, 1
	s_sub_i32 s12, s1, s2
	s_cmp_ge_u32 s1, s2
	v_lshrrev_b32_e32 v11, 5, v0
	s_cselect_b32 s3, s7, s3
	s_cselect_b32 s1, s12, s1
	s_add_i32 s7, s3, 1
	s_cmp_ge_u32 s1, s2
	v_or_b32_e32 v1, s19, v11
	s_cselect_b32 s1, s7, s3
	v_mbcnt_lo_u32_b32 v13, -1, 0
	s_xor_b32 s1, s1, s0
	s_mul_i32 s30, s13, s26
	s_sub_i32 s1, s1, s0
	v_cmp_gt_i32_e64 s0, s11, v1
	s_ashr_i32 s31, s30, 31
	s_mov_b32 s2, exec_lo
	s_barrier
	buffer_gl0_inv
                                        ; implicit-def: $vgpr4
                                        ; implicit-def: $vgpr14
	v_cmpx_le_i32_e64 s11, v1
	s_xor_b32 s2, exec_lo, s2
; %bb.6:
	v_mov_b32_e32 v4, 0
	v_mbcnt_lo_u32_b32 v13, -1, 0
	v_mov_b32_e32 v14, 32
                                        ; implicit-def: $vgpr3
; %bb.7:
	s_or_saveexec_b32 s38, s2
	s_clause 0x4
	s_load_dwordx4 s[20:23], s[4:5], 0x0
	s_load_dwordx2 s[24:25], s[4:5], 0x10
	s_load_dword s7, s[4:5], 0x98
	s_load_dwordx2 s[34:35], s[4:5], 0x28
	s_load_dwordx4 s[12:15], s[4:5], 0x68
	v_mov_b32_e32 v15, 0xff7fffff
	v_ashrrev_i32_e32 v2, 31, v1
	v_lshlrev_b32_e32 v12, 3, v11
	s_mul_i32 s18, s1, s18
	s_xor_b32 exec_lo, exec_lo, s38
	s_cbranch_execz .LBB270_77
; %bb.8:
	s_load_dwordx2 s[2:3], s[4:5], 0x20
	v_bfe_u32 v5, v0, 2, 3
	v_lshlrev_b32_e32 v9, 1, v3
	v_lshlrev_b32_e32 v16, 4, v3
	v_cmp_eq_u32_e32 vcc_lo, 0, v3
	s_ashr_i32 s4, s18, 31
	v_lshlrev_b32_e32 v6, 2, v5
	v_lshlrev_b64 v[7:8], 2, v[1:2]
	v_add3_u32 v17, s33, v12, v5
	v_mov_b32_e32 v4, 0
	v_cmp_neq_f32_e64 s1, s36, 0
	v_lshl_or_b32 v3, v11, 5, v6
	v_lshlrev_b32_e32 v6, 4, v5
	v_mov_b32_e32 v15, 0xff7fffff
	v_mov_b32_e32 v14, 32
	;; [unrolled: 1-line block ×3, first 2 shown]
	v_add_nc_u32_e32 v18, 0x60, v3
	v_mov_b32_e32 v20, 0x7f
	v_mov_b32_e32 v21, 7
	v_mov_b32_e32 v22, 8
	s_waitcnt lgkmcnt(0)
	s_add_u32 s5, s2, s18
	s_addc_u32 s39, s3, s4
	v_add_co_u32 v3, s5, s5, v6
	v_add_co_ci_u32_e64 v6, null, s39, 0, s5
	s_lshl_b64 s[2:3], s[30:31], 2
	s_sub_i32 s4, 1, s27
	s_add_u32 s5, s28, s2
	v_add_co_u32 v5, s2, v3, v9
	s_addc_u32 s3, s29, s3
	v_add_co_ci_u32_e64 v6, null, 0, v6, s2
	v_add_co_u32 v7, s2, s5, v7
	v_add_co_ci_u32_e64 v8, null, s3, v8, s2
	v_mov_b32_e32 v23, v1
	s_mov_b32 s39, s17
	s_mov_b32 s5, 0
	s_branch .LBB270_10
.LBB270_9:                              ;   in Loop: Header=BB270_10 Depth=1
	s_or_b32 exec_lo, exec_lo, s3
	v_add_nc_u32_e32 v23, 4, v23
	v_add_co_u32 v7, s3, v7, 16
	v_add_nc_u32_e32 v17, 32, v17
	v_add_nc_u32_e32 v18, 0x80, v18
	v_cmp_le_i32_e64 s2, s11, v23
	v_add_co_ci_u32_e64 v8, null, 0, v8, s3
	s_or_b32 s5, s2, s5
	s_andn2_b32 exec_lo, exec_lo, s5
	s_cbranch_execz .LBB270_76
.LBB270_10:                             ; =>This Inner Loop Header: Depth=1
	global_load_dword v3, v[7:8], off
	s_waitcnt vmcnt(0) lgkmcnt(0)
	v_mad_i64_i32 v[9:10], null, v3, s39, v[5:6]
	global_load_ushort v25, v[9:10], off
	global_load_dword v24, v4, s[12:13]
	s_waitcnt vmcnt(1)
	v_and_b32_e32 v3, 0xffff, v25
	v_cmp_ne_u16_sdwa s2, v25, v4 src0_sel:BYTE_0 src1_sel:DWORD
	v_mov_b32_e32 v25, 0
	s_and_saveexec_b32 s3, s2
	s_cbranch_execz .LBB270_18
; %bb.11:                               ;   in Loop: Header=BB270_10 Depth=1
	v_cmp_ne_u16_sdwa s2, v3, v19 src0_sel:BYTE_0 src1_sel:DWORD
	v_mov_b32_e32 v25, 0x8000
	s_and_saveexec_b32 s40, s2
	s_cbranch_execz .LBB270_17
; %bb.12:                               ;   in Loop: Header=BB270_10 Depth=1
	v_and_b32_e32 v27, 0x7f, v3
	v_mov_b32_e32 v25, 0x7c01
	s_mov_b32 s41, exec_lo
	v_cmpx_ne_u32_e32 0x7f, v27
	s_cbranch_execz .LBB270_16
; %bb.13:                               ;   in Loop: Header=BB270_10 Depth=1
	v_and_b32_e32 v25, 7, v3
	v_lshrrev_b32_e32 v26, 3, v27
	s_mov_b32 s42, exec_lo
	v_cmpx_gt_u32_e32 8, v27
; %bb.14:                               ;   in Loop: Header=BB270_10 Depth=1
	v_ffbh_u32_e32 v25, v25
	v_min_u32_e32 v27, 32, v25
	v_subrev_nc_u32_e32 v25, 28, v27
	v_lshlrev_b64 v[25:26], v25, v[3:4]
	v_sub_nc_u32_e32 v26, 29, v27
	v_and_b32_e32 v25, 7, v25
; %bb.15:                               ;   in Loop: Header=BB270_10 Depth=1
	s_or_b32 exec_lo, exec_lo, s42
	v_lshlrev_b32_e32 v27, 8, v3
	v_lshl_add_u32 v26, v26, 10, 0x2000
	v_lshlrev_b32_e32 v25, 7, v25
	v_and_b32_e32 v27, 0x8000, v27
	v_and_b32_e32 v26, 0xfc00, v26
	v_or3_b32 v25, v27, v26, v25
.LBB270_16:                             ;   in Loop: Header=BB270_10 Depth=1
	s_or_b32 exec_lo, exec_lo, s41
.LBB270_17:                             ;   in Loop: Header=BB270_10 Depth=1
	s_or_b32 exec_lo, exec_lo, s40
.LBB270_18:                             ;   in Loop: Header=BB270_10 Depth=1
	s_or_b32 exec_lo, exec_lo, s3
	v_lshrrev_b16 v3, 8, v3
	v_mov_b32_e32 v26, 0
	s_mov_b32 s3, exec_lo
	v_cmpx_ne_u16_e32 0, v3
	s_cbranch_execz .LBB270_26
; %bb.19:                               ;   in Loop: Header=BB270_10 Depth=1
	v_bfrev_b32_e32 v26, 1
	s_mov_b32 s40, exec_lo
	v_cmpx_ne_u16_e32 0x80, v3
	s_cbranch_execz .LBB270_25
; %bb.20:                               ;   in Loop: Header=BB270_10 Depth=1
	v_and_b32_sdwa v28, v3, v20 dst_sel:DWORD dst_unused:UNUSED_PAD src0_sel:WORD_0 src1_sel:DWORD
	v_mov_b32_e32 v26, 0x7c010000
	s_mov_b32 s41, exec_lo
	v_cmpx_ne_u32_e32 0x7f, v28
	s_cbranch_execz .LBB270_24
; %bb.21:                               ;   in Loop: Header=BB270_10 Depth=1
	v_and_b32_sdwa v26, v3, v21 dst_sel:DWORD dst_unused:UNUSED_PAD src0_sel:WORD_0 src1_sel:DWORD
	v_lshrrev_b32_e32 v27, 3, v28
	s_mov_b32 s42, exec_lo
	v_cmpx_gt_u32_e32 8, v28
; %bb.22:                               ;   in Loop: Header=BB270_10 Depth=1
	v_ffbh_u32_e32 v26, v26
	v_min_u32_e32 v28, 32, v26
	v_subrev_nc_u32_e32 v26, 28, v28
	v_lshlrev_b64 v[26:27], v26, v[3:4]
	v_sub_nc_u32_e32 v27, 29, v28
	v_and_b32_e32 v26, 7, v26
; %bb.23:                               ;   in Loop: Header=BB270_10 Depth=1
	s_or_b32 exec_lo, exec_lo, s42
	v_lshlrev_b32_sdwa v3, v22, v3 dst_sel:DWORD dst_unused:UNUSED_PAD src0_sel:DWORD src1_sel:WORD_0
	v_lshl_add_u32 v27, v27, 10, 0x2000
	v_lshlrev_b32_e32 v26, 23, v26
	v_and_or_b32 v3, 0x8000, v3, v27
	v_lshl_or_b32 v26, v3, 16, v26
.LBB270_24:                             ;   in Loop: Header=BB270_10 Depth=1
	s_or_b32 exec_lo, exec_lo, s41
.LBB270_25:                             ;   in Loop: Header=BB270_10 Depth=1
	s_or_b32 exec_lo, exec_lo, s40
.LBB270_26:                             ;   in Loop: Header=BB270_10 Depth=1
	s_or_b32 exec_lo, exec_lo, s3
	global_load_ushort v28, v[9:10], off offset:8
	v_mov_b32_e32 v27, 0
	s_waitcnt vmcnt(0)
	v_and_b32_e32 v3, 0xffff, v28
	v_cmp_ne_u16_sdwa s2, v28, v4 src0_sel:BYTE_0 src1_sel:DWORD
	v_mov_b32_e32 v28, 0
	s_and_saveexec_b32 s3, s2
	s_cbranch_execz .LBB270_34
; %bb.27:                               ;   in Loop: Header=BB270_10 Depth=1
	v_cmp_ne_u16_sdwa s2, v3, v19 src0_sel:BYTE_0 src1_sel:DWORD
	v_mov_b32_e32 v28, 0x8000
	s_and_saveexec_b32 s40, s2
	s_cbranch_execz .LBB270_33
; %bb.28:                               ;   in Loop: Header=BB270_10 Depth=1
	v_and_b32_e32 v30, 0x7f, v3
	v_mov_b32_e32 v28, 0x7c01
	s_mov_b32 s41, exec_lo
	v_cmpx_ne_u32_e32 0x7f, v30
	s_cbranch_execz .LBB270_32
; %bb.29:                               ;   in Loop: Header=BB270_10 Depth=1
	v_and_b32_e32 v28, 7, v3
	v_lshrrev_b32_e32 v29, 3, v30
	s_mov_b32 s42, exec_lo
	v_cmpx_gt_u32_e32 8, v30
; %bb.30:                               ;   in Loop: Header=BB270_10 Depth=1
	v_ffbh_u32_e32 v28, v28
	v_min_u32_e32 v30, 32, v28
	v_subrev_nc_u32_e32 v28, 28, v30
	v_lshlrev_b64 v[28:29], v28, v[3:4]
	v_sub_nc_u32_e32 v29, 29, v30
	v_and_b32_e32 v28, 7, v28
; %bb.31:                               ;   in Loop: Header=BB270_10 Depth=1
	s_or_b32 exec_lo, exec_lo, s42
	v_lshlrev_b32_e32 v30, 8, v3
	v_lshl_add_u32 v29, v29, 10, 0x2000
	v_lshlrev_b32_e32 v28, 7, v28
	v_and_b32_e32 v30, 0x8000, v30
	v_and_b32_e32 v29, 0xfc00, v29
	v_or3_b32 v28, v30, v29, v28
.LBB270_32:                             ;   in Loop: Header=BB270_10 Depth=1
	s_or_b32 exec_lo, exec_lo, s41
.LBB270_33:                             ;   in Loop: Header=BB270_10 Depth=1
	s_or_b32 exec_lo, exec_lo, s40
.LBB270_34:                             ;   in Loop: Header=BB270_10 Depth=1
	s_or_b32 exec_lo, exec_lo, s3
	v_lshrrev_b16 v3, 8, v3
	s_mov_b32 s3, exec_lo
	v_cmpx_ne_u16_e32 0, v3
	s_cbranch_execz .LBB270_42
; %bb.35:                               ;   in Loop: Header=BB270_10 Depth=1
	v_bfrev_b32_e32 v27, 1
	s_mov_b32 s40, exec_lo
	v_cmpx_ne_u16_e32 0x80, v3
	s_cbranch_execz .LBB270_41
; %bb.36:                               ;   in Loop: Header=BB270_10 Depth=1
	v_and_b32_sdwa v30, v3, v20 dst_sel:DWORD dst_unused:UNUSED_PAD src0_sel:WORD_0 src1_sel:DWORD
	v_mov_b32_e32 v27, 0x7c010000
	s_mov_b32 s41, exec_lo
	v_cmpx_ne_u32_e32 0x7f, v30
	s_cbranch_execz .LBB270_40
; %bb.37:                               ;   in Loop: Header=BB270_10 Depth=1
	v_and_b32_sdwa v27, v3, v21 dst_sel:DWORD dst_unused:UNUSED_PAD src0_sel:WORD_0 src1_sel:DWORD
	v_lshrrev_b32_e32 v29, 3, v30
	s_mov_b32 s42, exec_lo
	v_cmpx_gt_u32_e32 8, v30
; %bb.38:                               ;   in Loop: Header=BB270_10 Depth=1
	v_ffbh_u32_e32 v27, v27
	v_min_u32_e32 v27, 32, v27
	v_subrev_nc_u32_e32 v29, 28, v27
	v_lshlrev_b64 v[30:31], v29, v[3:4]
	v_sub_nc_u32_e32 v29, 29, v27
	v_and_b32_e32 v27, 7, v30
; %bb.39:                               ;   in Loop: Header=BB270_10 Depth=1
	s_or_b32 exec_lo, exec_lo, s42
	v_lshlrev_b32_sdwa v3, v22, v3 dst_sel:DWORD dst_unused:UNUSED_PAD src0_sel:DWORD src1_sel:WORD_0
	v_lshl_add_u32 v29, v29, 10, 0x2000
	v_lshlrev_b32_e32 v27, 23, v27
	v_and_or_b32 v3, 0x8000, v3, v29
	v_lshl_or_b32 v27, v3, 16, v27
.LBB270_40:                             ;   in Loop: Header=BB270_10 Depth=1
	s_or_b32 exec_lo, exec_lo, s41
.LBB270_41:                             ;   in Loop: Header=BB270_10 Depth=1
	s_or_b32 exec_lo, exec_lo, s40
.LBB270_42:                             ;   in Loop: Header=BB270_10 Depth=1
	s_or_b32 exec_lo, exec_lo, s3
	global_load_ushort v30, v[9:10], off offset:128
	v_mov_b32_e32 v29, 0
	s_waitcnt vmcnt(0)
	v_and_b32_e32 v3, 0xffff, v30
	v_cmp_ne_u16_sdwa s2, v30, v4 src0_sel:BYTE_0 src1_sel:DWORD
	v_mov_b32_e32 v30, 0
	s_and_saveexec_b32 s3, s2
	s_cbranch_execz .LBB270_50
; %bb.43:                               ;   in Loop: Header=BB270_10 Depth=1
	v_cmp_ne_u16_sdwa s2, v3, v19 src0_sel:BYTE_0 src1_sel:DWORD
	v_mov_b32_e32 v30, 0x8000
	s_and_saveexec_b32 s40, s2
	s_cbranch_execz .LBB270_49
; %bb.44:                               ;   in Loop: Header=BB270_10 Depth=1
	v_and_b32_e32 v32, 0x7f, v3
	v_mov_b32_e32 v30, 0x7c01
	s_mov_b32 s41, exec_lo
	v_cmpx_ne_u32_e32 0x7f, v32
	s_cbranch_execz .LBB270_48
; %bb.45:                               ;   in Loop: Header=BB270_10 Depth=1
	v_and_b32_e32 v30, 7, v3
	v_lshrrev_b32_e32 v31, 3, v32
	s_mov_b32 s42, exec_lo
	v_cmpx_gt_u32_e32 8, v32
; %bb.46:                               ;   in Loop: Header=BB270_10 Depth=1
	v_ffbh_u32_e32 v30, v30
	v_min_u32_e32 v32, 32, v30
	v_subrev_nc_u32_e32 v30, 28, v32
	v_lshlrev_b64 v[30:31], v30, v[3:4]
	v_sub_nc_u32_e32 v31, 29, v32
	v_and_b32_e32 v30, 7, v30
; %bb.47:                               ;   in Loop: Header=BB270_10 Depth=1
	s_or_b32 exec_lo, exec_lo, s42
	v_lshlrev_b32_e32 v32, 8, v3
	v_lshl_add_u32 v31, v31, 10, 0x2000
	v_lshlrev_b32_e32 v30, 7, v30
	v_and_b32_e32 v32, 0x8000, v32
	v_and_b32_e32 v31, 0xfc00, v31
	v_or3_b32 v30, v32, v31, v30
.LBB270_48:                             ;   in Loop: Header=BB270_10 Depth=1
	s_or_b32 exec_lo, exec_lo, s41
.LBB270_49:                             ;   in Loop: Header=BB270_10 Depth=1
	s_or_b32 exec_lo, exec_lo, s40
.LBB270_50:                             ;   in Loop: Header=BB270_10 Depth=1
	s_or_b32 exec_lo, exec_lo, s3
	v_lshrrev_b16 v3, 8, v3
	s_mov_b32 s3, exec_lo
	v_cmpx_ne_u16_e32 0, v3
	s_cbranch_execz .LBB270_58
; %bb.51:                               ;   in Loop: Header=BB270_10 Depth=1
	v_bfrev_b32_e32 v29, 1
	s_mov_b32 s40, exec_lo
	v_cmpx_ne_u16_e32 0x80, v3
	s_cbranch_execz .LBB270_57
; %bb.52:                               ;   in Loop: Header=BB270_10 Depth=1
	v_and_b32_sdwa v32, v3, v20 dst_sel:DWORD dst_unused:UNUSED_PAD src0_sel:WORD_0 src1_sel:DWORD
	v_mov_b32_e32 v29, 0x7c010000
	s_mov_b32 s41, exec_lo
	v_cmpx_ne_u32_e32 0x7f, v32
	s_cbranch_execz .LBB270_56
; %bb.53:                               ;   in Loop: Header=BB270_10 Depth=1
	v_and_b32_sdwa v29, v3, v21 dst_sel:DWORD dst_unused:UNUSED_PAD src0_sel:WORD_0 src1_sel:DWORD
	v_lshrrev_b32_e32 v31, 3, v32
	s_mov_b32 s42, exec_lo
	v_cmpx_gt_u32_e32 8, v32
; %bb.54:                               ;   in Loop: Header=BB270_10 Depth=1
	v_ffbh_u32_e32 v29, v29
	v_min_u32_e32 v29, 32, v29
	v_subrev_nc_u32_e32 v31, 28, v29
	v_lshlrev_b64 v[32:33], v31, v[3:4]
	v_sub_nc_u32_e32 v31, 29, v29
	v_and_b32_e32 v29, 7, v32
; %bb.55:                               ;   in Loop: Header=BB270_10 Depth=1
	s_or_b32 exec_lo, exec_lo, s42
	v_lshlrev_b32_sdwa v3, v22, v3 dst_sel:DWORD dst_unused:UNUSED_PAD src0_sel:DWORD src1_sel:WORD_0
	v_lshl_add_u32 v31, v31, 10, 0x2000
	v_lshlrev_b32_e32 v29, 23, v29
	v_and_or_b32 v3, 0x8000, v3, v31
	v_lshl_or_b32 v29, v3, 16, v29
.LBB270_56:                             ;   in Loop: Header=BB270_10 Depth=1
	s_or_b32 exec_lo, exec_lo, s41
.LBB270_57:                             ;   in Loop: Header=BB270_10 Depth=1
	s_or_b32 exec_lo, exec_lo, s40
.LBB270_58:                             ;   in Loop: Header=BB270_10 Depth=1
	s_or_b32 exec_lo, exec_lo, s3
	global_load_ushort v10, v[9:10], off offset:136
	v_mov_b32_e32 v9, 0
	s_waitcnt vmcnt(0)
	v_and_b32_e32 v3, 0xffff, v10
	v_cmp_ne_u16_sdwa s2, v10, v4 src0_sel:BYTE_0 src1_sel:DWORD
	v_mov_b32_e32 v10, 0
	s_and_saveexec_b32 s3, s2
	s_cbranch_execz .LBB270_66
; %bb.59:                               ;   in Loop: Header=BB270_10 Depth=1
	v_cmp_ne_u16_sdwa s2, v3, v19 src0_sel:BYTE_0 src1_sel:DWORD
	v_mov_b32_e32 v10, 0x8000
	s_and_saveexec_b32 s40, s2
	s_cbranch_execz .LBB270_65
; %bb.60:                               ;   in Loop: Header=BB270_10 Depth=1
	v_and_b32_e32 v32, 0x7f, v3
	v_mov_b32_e32 v10, 0x7c01
	s_mov_b32 s41, exec_lo
	v_cmpx_ne_u32_e32 0x7f, v32
	s_cbranch_execz .LBB270_64
; %bb.61:                               ;   in Loop: Header=BB270_10 Depth=1
	v_and_b32_e32 v10, 7, v3
	v_lshrrev_b32_e32 v31, 3, v32
	s_mov_b32 s42, exec_lo
	v_cmpx_gt_u32_e32 8, v32
; %bb.62:                               ;   in Loop: Header=BB270_10 Depth=1
	v_ffbh_u32_e32 v10, v10
	v_min_u32_e32 v10, 32, v10
	v_subrev_nc_u32_e32 v31, 28, v10
	v_lshlrev_b64 v[32:33], v31, v[3:4]
	v_sub_nc_u32_e32 v31, 29, v10
	v_and_b32_e32 v10, 7, v32
; %bb.63:                               ;   in Loop: Header=BB270_10 Depth=1
	s_or_b32 exec_lo, exec_lo, s42
	v_lshlrev_b32_e32 v32, 8, v3
	v_lshl_add_u32 v31, v31, 10, 0x2000
	v_lshlrev_b32_e32 v10, 7, v10
	v_and_b32_e32 v32, 0x8000, v32
	v_and_b32_e32 v31, 0xfc00, v31
	v_or3_b32 v10, v32, v31, v10
.LBB270_64:                             ;   in Loop: Header=BB270_10 Depth=1
	s_or_b32 exec_lo, exec_lo, s41
.LBB270_65:                             ;   in Loop: Header=BB270_10 Depth=1
	s_or_b32 exec_lo, exec_lo, s40
.LBB270_66:                             ;   in Loop: Header=BB270_10 Depth=1
	s_or_b32 exec_lo, exec_lo, s3
	v_lshrrev_b16 v3, 8, v3
	s_mov_b32 s3, exec_lo
	v_cmpx_ne_u16_e32 0, v3
	s_cbranch_execz .LBB270_74
; %bb.67:                               ;   in Loop: Header=BB270_10 Depth=1
	v_bfrev_b32_e32 v9, 1
	s_mov_b32 s40, exec_lo
	v_cmpx_ne_u16_e32 0x80, v3
	s_cbranch_execz .LBB270_73
; %bb.68:                               ;   in Loop: Header=BB270_10 Depth=1
	v_and_b32_sdwa v32, v3, v20 dst_sel:DWORD dst_unused:UNUSED_PAD src0_sel:WORD_0 src1_sel:DWORD
	v_mov_b32_e32 v9, 0x7c010000
	s_mov_b32 s41, exec_lo
	v_cmpx_ne_u32_e32 0x7f, v32
	s_cbranch_execz .LBB270_72
; %bb.69:                               ;   in Loop: Header=BB270_10 Depth=1
	v_and_b32_sdwa v9, v3, v21 dst_sel:DWORD dst_unused:UNUSED_PAD src0_sel:WORD_0 src1_sel:DWORD
	v_lshrrev_b32_e32 v31, 3, v32
	s_mov_b32 s42, exec_lo
	v_cmpx_gt_u32_e32 8, v32
; %bb.70:                               ;   in Loop: Header=BB270_10 Depth=1
	v_ffbh_u32_e32 v9, v9
	v_min_u32_e32 v9, 32, v9
	v_subrev_nc_u32_e32 v31, 28, v9
	v_lshlrev_b64 v[32:33], v31, v[3:4]
	v_sub_nc_u32_e32 v31, 29, v9
	v_and_b32_e32 v9, 7, v32
; %bb.71:                               ;   in Loop: Header=BB270_10 Depth=1
	s_or_b32 exec_lo, exec_lo, s42
	v_lshlrev_b32_sdwa v3, v22, v3 dst_sel:DWORD dst_unused:UNUSED_PAD src0_sel:DWORD src1_sel:WORD_0
	v_lshl_add_u32 v31, v31, 10, 0x2000
	v_lshlrev_b32_e32 v9, 23, v9
	v_and_or_b32 v3, 0x8000, v3, v31
	v_lshl_or_b32 v9, v3, 16, v9
.LBB270_72:                             ;   in Loop: Header=BB270_10 Depth=1
	s_or_b32 exec_lo, exec_lo, s41
.LBB270_73:                             ;   in Loop: Header=BB270_10 Depth=1
	s_or_b32 exec_lo, exec_lo, s40
.LBB270_74:                             ;   in Loop: Header=BB270_10 Depth=1
	s_or_b32 exec_lo, exec_lo, s3
	ds_read_b32 v3, v16
	v_or_b32_e32 v25, v26, v25
	v_fma_mixlo_f16 v26, v24, v26, 0 op_sel:[0,1,0] op_sel_hi:[0,1,0]
	v_or_b32_e32 v28, v27, v28
	v_fma_mixlo_f16 v27, v24, v27, 0 op_sel:[0,1,0] op_sel_hi:[0,1,0]
	v_or_b32_e32 v30, v29, v30
	v_fma_mixlo_f16 v25, v24, v25, 0 op_sel_hi:[0,1,0]
	v_and_b32_e32 v34, 0xffff, v26
	v_fma_mixlo_f16 v28, v24, v28, 0 op_sel_hi:[0,1,0]
	v_and_b32_e32 v35, 0xffff, v27
	;; [unrolled: 2-line block ×3, first 2 shown]
	v_fma_mixlo_f16 v29, v24, v29, 0 op_sel:[0,1,0] op_sel_hi:[0,1,0]
	v_or_b32_e32 v10, v9, v10
	v_fma_mixlo_f16 v9, v24, v9, 0 op_sel:[0,1,0] op_sel_hi:[0,1,0]
	v_and_b32_e32 v36, 0xffff, v30
	v_and_b32_e32 v37, 0xffff, v29
	v_fma_mixlo_f16 v10, v24, v10, 0 op_sel_hi:[0,1,0]
	s_waitcnt lgkmcnt(0)
	v_and_b32_e32 v31, 0xffff, v3
	v_lshrrev_b32_e32 v32, 16, v3
	;;#ASMSTART
	v_cvt_f32_f16 v3, v31;
	;;#ASMEND
	;;#ASMSTART
	v_cvt_f32_f16 v25, v32;
	;;#ASMEND
	;; [unrolled: 3-line block ×4, first 2 shown]
	ds_read_b32 v32, v16 offset:4
	v_and_b32_e32 v34, 0xffff, v28
	s_waitcnt lgkmcnt(0)
	v_and_b32_e32 v33, 0xffff, v32
	v_lshrrev_b32_e32 v32, 16, v32
	;;#ASMSTART
	v_cvt_f32_f16 v27, v33;
	;;#ASMEND
	;;#ASMSTART
	v_cvt_f32_f16 v28, v32;
	;;#ASMEND
	;; [unrolled: 3-line block ×4, first 2 shown]
	ds_read_b32 v34, v16 offset:8
	v_mul_f32_e32 v24, v27, v32
	v_mul_f32_e32 v27, v28, v33
	v_and_b32_e32 v28, 0xffff, v9
	v_fmac_f32_e32 v24, v3, v26
	v_fmac_f32_e32 v27, v25, v31
	v_and_b32_e32 v26, 0xffff, v10
	s_waitcnt lgkmcnt(0)
	v_and_b32_e32 v35, 0xffff, v34
	v_lshrrev_b32_e32 v34, 16, v34
	;;#ASMSTART
	v_cvt_f32_f16 v29, v35;
	;;#ASMEND
	;;#ASMSTART
	v_cvt_f32_f16 v30, v34;
	;;#ASMEND
	;; [unrolled: 3-line block ×4, first 2 shown]
	ds_read_b32 v36, v16 offset:12
	v_xor_b32_e32 v37, 2, v13
	v_fmac_f32_e32 v24, v29, v34
	v_fmac_f32_e32 v27, v30, v35
	v_cmp_gt_i32_e64 s2, 32, v37
	v_cndmask_b32_e64 v9, v13, v37, s2
	s_waitcnt lgkmcnt(0)
	v_and_b32_e32 v3, 0xffff, v36
	v_lshrrev_b32_e32 v25, 16, v36
	;;#ASMSTART
	v_cvt_f32_f16 v3, v3;
	;;#ASMEND
	;;#ASMSTART
	v_cvt_f32_f16 v10, v25;
	;;#ASMEND
	;; [unrolled: 3-line block ×4, first 2 shown]
	v_fmac_f32_e32 v24, v3, v25
	v_fmac_f32_e32 v27, v10, v26
	v_lshlrev_b32_e32 v3, 2, v9
	v_xor_b32_e32 v10, 1, v13
	v_add_f32_e32 v9, v24, v27
	v_cmp_gt_i32_e64 s2, 32, v10
	ds_bpermute_b32 v3, v3, v9
	v_cndmask_b32_e64 v10, v13, v10, s2
	s_waitcnt lgkmcnt(0)
	v_add_f32_e32 v3, v9, v3
	v_lshlrev_b32_e32 v9, 2, v10
	ds_bpermute_b32 v9, v9, v3
	s_and_saveexec_b32 s3, vcc_lo
	s_cbranch_execz .LBB270_9
; %bb.75:                               ;   in Loop: Header=BB270_10 Depth=1
	v_add_nc_u32_e32 v10, s4, v17
	s_waitcnt lgkmcnt(0)
	v_add_f32_e32 v3, v3, v9
	v_cmp_gt_i32_e64 s2, s27, v17
	v_cvt_f32_i32_e32 v10, v10
	v_mul_f32_e32 v10, s36, v10
	v_cndmask_b32_e64 v9, 0, v10, s1
	v_max_f32_e32 v10, v15, v15
	v_fmac_f32_e32 v9, s37, v3
	v_max_f32_e32 v3, v10, v9
	v_cndmask_b32_e64 v9, 0, v9, s2
	v_cndmask_b32_e64 v15, v15, v3, s2
	ds_write_b32 v18, v9
	s_branch .LBB270_9
.LBB270_76:
	s_or_b32 exec_lo, exec_lo, s5
.LBB270_77:
	s_or_b32 exec_lo, exec_lo, s38
	v_xor_b32_e32 v3, 16, v13
	v_xor_b32_e32 v6, 8, v13
	v_max_f32_e32 v7, v15, v15
	v_xor_b32_e32 v8, 4, v13
	v_and_b32_e32 v10, 31, v0
	v_cmp_lt_i32_e32 vcc_lo, v3, v14
	v_cndmask_b32_e32 v3, v13, v3, vcc_lo
	v_cmp_lt_i32_e32 vcc_lo, v6, v14
	v_lshlrev_b32_e32 v5, 2, v3
	v_cndmask_b32_e32 v6, v13, v6, vcc_lo
	v_cmp_lt_i32_e32 vcc_lo, v8, v14
	ds_bpermute_b32 v3, v5, v15
	v_lshlrev_b32_e32 v6, 2, v6
	v_cndmask_b32_e32 v8, v13, v8, vcc_lo
	v_cmp_eq_u32_e32 vcc_lo, 0, v10
	s_waitcnt lgkmcnt(0)
	v_lshlrev_b32_e32 v9, 2, v8
	v_max_f32_e32 v3, v3, v3
	v_max_f32_e32 v3, v7, v3
	ds_bpermute_b32 v7, v6, v3
	s_waitcnt lgkmcnt(0)
	v_max_f32_e32 v7, v7, v7
	v_max_f32_e32 v3, v3, v7
	v_lshlrev_b32_e32 v7, 2, v11
	ds_bpermute_b32 v8, v9, v3
	s_and_saveexec_b32 s1, vcc_lo
	s_cbranch_execz .LBB270_79
; %bb.78:
	s_waitcnt lgkmcnt(0)
	v_max_f32_e32 v8, v8, v8
	v_max_f32_e32 v3, v3, v3
	;; [unrolled: 1-line block ×3, first 2 shown]
	ds_write_b32 v7, v3 offset:64
.LBB270_79:
	s_or_b32 exec_lo, exec_lo, s1
	v_cmp_gt_u32_e64 s1, 4, v10
	v_mov_b32_e32 v3, 0xff7fffff
	s_waitcnt lgkmcnt(0)
	v_lshlrev_b32_e32 v8, 2, v10
	s_barrier
	buffer_gl0_inv
	s_and_saveexec_b32 s2, s1
; %bb.80:
	ds_read_b32 v3, v8 offset:64
; %bb.81:
	s_or_b32 exec_lo, exec_lo, s2
	v_xor_b32_e32 v15, 2, v13
	v_xor_b32_e32 v17, 1, v13
	v_lshlrev_b32_e32 v4, 2, v4
	v_cmp_lt_i32_e64 s2, v15, v14
	v_cndmask_b32_e64 v15, v13, v15, s2
	v_cmp_lt_i32_e64 s2, v17, v14
	v_lshlrev_b32_e32 v15, 2, v15
	v_cndmask_b32_e64 v14, v13, v17, s2
	s_sub_i32 s2, s11, s19
	s_lshl_b32 s2, s2, 3
	s_waitcnt lgkmcnt(0)
	ds_bpermute_b32 v16, v15, v3
	v_max_f32_e32 v3, v3, v3
	v_lshlrev_b32_e32 v14, 2, v14
	s_add_i32 s2, s2, s33
	s_min_i32 s2, s2, s27
	s_sub_i32 s4, s2, s33
	v_cmp_gt_i32_e64 s2, s4, v0
	s_waitcnt lgkmcnt(0)
	v_max_f32_e32 v16, v16, v16
	v_max_f32_e32 v3, v3, v16
	ds_bpermute_b32 v16, v14, v3
	s_waitcnt lgkmcnt(0)
	v_max_f32_e32 v16, v16, v16
	v_max_f32_e32 v3, v3, v16
	v_mov_b32_e32 v16, 0
	ds_bpermute_b32 v3, v4, v3
	v_lshl_add_u32 v4, v0, 2, 0x60
	s_and_saveexec_b32 s5, s2
	s_cbranch_execz .LBB270_85
; %bb.82:
	v_lshl_add_u32 v17, v0, 2, 0x60
	v_mov_b32_e32 v16, 0
	v_mov_b32_e32 v18, v0
	s_mov_b32 s12, 0
	.p2align	6
.LBB270_83:                             ; =>This Inner Loop Header: Depth=1
	ds_read_b32 v19, v17
	v_add_nc_u32_e32 v18, 0x80, v18
	v_cmp_le_i32_e64 s3, s4, v18
	s_or_b32 s12, s3, s12
	s_waitcnt lgkmcnt(0)
	v_sub_f32_e32 v19, v19, v3
	v_mul_f32_e32 v19, 0x3fb8aa3b, v19
	v_exp_f32_e32 v19, v19
	ds_write_b32 v17, v19
	v_add_f32_e32 v16, v16, v19
	v_add_nc_u32_e32 v17, 0x200, v17
	s_andn2_b32 exec_lo, exec_lo, s12
	s_cbranch_execnz .LBB270_83
; %bb.84:
	s_or_b32 exec_lo, exec_lo, s12
.LBB270_85:
	s_or_b32 exec_lo, exec_lo, s5
	ds_bpermute_b32 v5, v5, v16
	s_waitcnt lgkmcnt(0)
	v_add_f32_e32 v5, v16, v5
	ds_bpermute_b32 v6, v6, v5
	s_waitcnt lgkmcnt(0)
	v_add_f32_e32 v5, v5, v6
	;; [unrolled: 3-line block ×5, first 2 shown]
	s_and_saveexec_b32 s3, vcc_lo
; %bb.86:
	ds_write_b32 v7, v5 offset:80
; %bb.87:
	s_or_b32 exec_lo, exec_lo, s3
	s_waitcnt lgkmcnt(0)
	s_barrier
	buffer_gl0_inv
	s_and_saveexec_b32 s3, s1
; %bb.88:
	ds_read_b32 v5, v8 offset:80
; %bb.89:
	s_or_b32 exec_lo, exec_lo, s3
	s_waitcnt lgkmcnt(0)
	ds_bpermute_b32 v6, v15, v5
	v_lshlrev_b32_e32 v7, 2, v13
	s_waitcnt lgkmcnt(0)
	v_add_f32_e32 v5, v5, v6
	ds_bpermute_b32 v6, v14, v5
	s_waitcnt lgkmcnt(0)
	v_add_f32_e32 v5, v5, v6
	v_and_b32_e32 v6, 0xffffff80, v7
	ds_bpermute_b32 v5, v6, v5
	s_and_saveexec_b32 s1, s2
	s_cbranch_execz .LBB270_92
; %bb.90:
	s_waitcnt lgkmcnt(0)
	v_add_f32_e32 v6, 0x358637bd, v5
	s_mov_b32 s2, 0
	v_div_scale_f32 v7, null, v6, v6, 1.0
	v_div_scale_f32 v13, vcc_lo, 1.0, v6, 1.0
	v_rcp_f32_e32 v8, v7
	v_fma_f32 v9, -v7, v8, 1.0
	v_fmac_f32_e32 v8, v9, v8
	v_mul_f32_e32 v9, v13, v8
	v_fma_f32 v14, -v7, v9, v13
	v_fmac_f32_e32 v9, v14, v8
	v_fma_f32 v7, -v7, v9, v13
	v_div_fmas_f32 v7, v7, v8, v9
	v_div_fixup_f32 v6, v7, v6, 1.0
	v_mov_b32_e32 v7, v0
.LBB270_91:                             ; =>This Inner Loop Header: Depth=1
	ds_read_b32 v8, v4
	v_add_nc_u32_e32 v7, 0x80, v7
	v_cmp_le_i32_e32 vcc_lo, s4, v7
	s_or_b32 s2, vcc_lo, s2
	s_waitcnt lgkmcnt(0)
	v_mul_f32_e32 v8, v6, v8
	ds_write_b32 v4, v8
	v_add_nc_u32_e32 v4, 0x200, v4
	s_andn2_b32 exec_lo, exec_lo, s2
	s_cbranch_execnz .LBB270_91
.LBB270_92:
	s_or_b32 exec_lo, exec_lo, s1
	s_mul_i32 s1, s7, s26
	s_waitcnt lgkmcnt(0)
	s_mul_i32 s2, s1, s9
	s_mov_b32 s1, exec_lo
	s_barrier
	buffer_gl0_inv
	v_cmpx_eq_u32_e32 0, v0
	s_cbranch_execz .LBB270_94
; %bb.93:
	s_ashr_i32 s3, s2, 31
	s_mul_i32 s12, s7, s6
	s_lshl_b64 s[4:5], s[2:3], 2
	v_mov_b32_e32 v4, 0
	s_add_u32 s3, s22, s4
	s_addc_u32 s6, s23, s5
	s_ashr_i32 s13, s12, 31
	s_lshl_b64 s[12:13], s[12:13], 2
	s_add_u32 s3, s3, s12
	s_addc_u32 s6, s6, s13
	s_ashr_i32 s9, s8, 31
	s_lshl_b64 s[22:23], s[8:9], 2
	s_add_u32 s36, s3, s22
	s_addc_u32 s37, s6, s23
	s_add_u32 s3, s20, s4
	s_addc_u32 s4, s21, s5
	;; [unrolled: 2-line block ×4, first 2 shown]
	global_store_dword v4, v3, s[36:37]
	global_store_dword v4, v5, s[4:5]
.LBB270_94:
	s_or_b32 exec_lo, exec_lo, s1
	v_mov_b32_e32 v13, 0
	s_and_saveexec_b32 s3, s0
	s_cbranch_execz .LBB270_164
; %bb.95:
	v_lshlrev_b32_e32 v4, 3, v10
	s_ashr_i32 s0, s18, 31
	s_add_u32 s1, s34, s18
	s_addc_u32 s0, s35, s0
	v_lshlrev_b64 v[6:7], 2, v[1:2]
	v_add_co_u32 v4, s1, s1, v4
	v_add_co_ci_u32_e64 v5, null, s0, 0, s1
	s_lshl_b64 s[0:1], s[30:31], 2
	s_add_i32 s16, s16, -1
	s_add_u32 s0, s28, s0
	s_addc_u32 s1, s29, s1
	v_add_co_u32 v6, vcc_lo, s0, v6
	v_mov_b32_e32 v3, 0
	v_add3_u32 v12, s33, v12, 7
	v_lshl_add_u32 v14, v11, 5, 0x60
	v_add_co_ci_u32_e64 v7, null, s1, v7, vcc_lo
	v_mov_b32_e32 v15, 0x7f
	v_mov_b32_e32 v16, 0x80
	;; [unrolled: 1-line block ×5, first 2 shown]
	v_bfrev_b32_e32 v20, 1
	v_mov_b32_e32 v13, 0
	s_mov_b32 s4, 0
	s_mov_b32 s6, s17
	;; [unrolled: 1-line block ×4, first 2 shown]
	s_branch .LBB270_97
.LBB270_96:                             ;   in Loop: Header=BB270_97 Depth=1
	s_or_b32 exec_lo, exec_lo, s0
	v_and_b32_e32 v2, 0xffff, v25
	v_and_b32_e32 v8, 0xffff, v26
	;; [unrolled: 1-line block ×4, first 2 shown]
	v_add_nc_u32_e32 v1, 4, v1
	v_lshl_or_b32 v2, v21, 16, v2
	v_lshl_or_b32 v8, v22, 16, v8
	;; [unrolled: 1-line block ×4, first 2 shown]
	;;#ASMSTART
	v_pk_mul_f16 v2, v2, v34;

	;;#ASMEND
	;;#ASMSTART
	v_pk_mul_f16 v8, v8, v33;

	;;#ASMEND
	;; [unrolled: 4-line block ×4, first 2 shown]
	;;#ASMSTART
	v_pk_add_f16 v2, v2, v8;

	;;#ASMEND
	;;#ASMSTART
	v_pk_add_f16 v2, v2, v9;

	;;#ASMEND
	;; [unrolled: 4-line block ×3, first 2 shown]
	v_and_b32_e32 v8, 0xffff, v2
	v_lshrrev_b32_e32 v9, 16, v2
	;;#ASMSTART
	v_cvt_f32_f16 v2, v8;
	;;#ASMEND
	;;#ASMSTART
	v_cvt_f32_f16 v8, v9;
	;;#ASMEND
	v_add_f32_e32 v2, v2, v8
	v_cmp_le_i32_e32 vcc_lo, s11, v1
	v_add_co_u32 v6, s0, v6, 16
	v_add_nc_u32_e32 v12, 32, v12
	v_add_nc_u32_e32 v14, 0x80, v14
	v_add_f32_e32 v13, v13, v2
	v_add_co_ci_u32_e64 v7, null, 0, v7, s0
	s_or_b32 s9, vcc_lo, s9
	s_andn2_b32 exec_lo, exec_lo, s9
	s_cbranch_execz .LBB270_163
.LBB270_97:                             ; =>This Inner Loop Header: Depth=1
	ds_read2_b64 v[21:24], v14 offset1:1
	ds_read2_b64 v[27:30], v14 offset0:2 offset1:3
	s_mov_b32 s1, 0
	s_waitcnt lgkmcnt(1)
	;;#ASMSTART
	v_cvt_f16_f32 v25, v21;

	;;#ASMEND
	;;#ASMSTART
	v_cvt_f16_f32 v21, v22;

	;;#ASMEND
	;; [unrolled: 4-line block ×4, first 2 shown]
	s_waitcnt lgkmcnt(0)
	;;#ASMSTART
	v_cvt_f16_f32 v27, v27;

	;;#ASMEND
	;;#ASMSTART
	v_cvt_f16_f32 v23, v28;

	;;#ASMEND
	;; [unrolled: 4-line block ×4, first 2 shown]
	global_load_dword v2, v[6:7], off
	s_waitcnt vmcnt(0)
	v_mad_i64_i32 v[8:9], null, v2, s6, v[4:5]
	global_load_dwordx2 v[8:9], v[8:9], off
	global_load_dword v29, v3, s[14:15]
	s_waitcnt vmcnt(1)
	v_cmp_gt_i16_sdwa s0, v8, v15 src0_sel:BYTE_0 src1_sel:DWORD
	s_and_saveexec_b32 s12, s0
	s_xor_b32 s0, exec_lo, s12
	s_cbranch_execnz .LBB270_100
; %bb.98:                               ;   in Loop: Header=BB270_97 Depth=1
	s_or_saveexec_b32 s0, s0
	v_mov_b32_e32 v30, 0x8000
	s_xor_b32 exec_lo, exec_lo, s0
	s_cbranch_execnz .LBB270_103
.LBB270_99:                             ;   in Loop: Header=BB270_97 Depth=1
	s_or_b32 exec_lo, exec_lo, s0
	s_and_saveexec_b32 s0, s1
	s_cbranch_execnz .LBB270_104
	s_branch .LBB270_107
.LBB270_100:                            ;   in Loop: Header=BB270_97 Depth=1
	v_cmp_eq_u16_sdwa s13, v8, v16 src0_sel:BYTE_0 src1_sel:DWORD
	s_mov_b32 s1, -1
	s_and_saveexec_b32 s12, s13
; %bb.101:                              ;   in Loop: Header=BB270_97 Depth=1
	s_xor_b32 s1, exec_lo, -1
; %bb.102:                              ;   in Loop: Header=BB270_97 Depth=1
	s_or_b32 exec_lo, exec_lo, s12
	s_and_b32 s1, s1, exec_lo
	s_or_saveexec_b32 s0, s0
	v_mov_b32_e32 v30, 0x8000
	s_xor_b32 exec_lo, exec_lo, s0
	s_cbranch_execz .LBB270_99
.LBB270_103:                            ;   in Loop: Header=BB270_97 Depth=1
	v_cmp_ne_u16_sdwa s12, v8, v3 src0_sel:BYTE_0 src1_sel:DWORD
	v_and_b32_sdwa v30, v17, v8 dst_sel:DWORD dst_unused:UNUSED_PAD src0_sel:DWORD src1_sel:BYTE_0
	s_andn2_b32 s1, s1, exec_lo
	s_and_b32 s12, s12, exec_lo
	s_or_b32 s1, s1, s12
	s_or_b32 exec_lo, exec_lo, s0
	s_and_saveexec_b32 s0, s1
	s_cbranch_execz .LBB270_107
.LBB270_104:                            ;   in Loop: Header=BB270_97 Depth=1
	v_and_b32_e32 v2, 0x7f, v8
	v_mov_b32_e32 v30, 0x7c01
	s_mov_b32 s1, exec_lo
	v_cmpx_ne_u32_e32 0x7f, v2
	s_cbranch_execz .LBB270_106
; %bb.105:                              ;   in Loop: Header=BB270_97 Depth=1
	v_and_b32_e32 v32, 7, v8
	v_cmp_gt_u32_e32 vcc_lo, 8, v2
	v_ffbh_u32_e32 v30, v32
	v_min_u32_e32 v33, 32, v30
	v_subrev_nc_u32_e32 v30, 28, v33
	v_sub_nc_u32_e32 v33, 29, v33
	v_lshlrev_b64 v[30:31], v30, v[8:9]
	v_lshrrev_b32_e32 v31, 3, v2
	v_and_b32_e32 v30, 7, v30
	v_cndmask_b32_e32 v2, v32, v30, vcc_lo
	v_cndmask_b32_e32 v30, v31, v33, vcc_lo
	v_lshlrev_b32_e32 v31, 8, v8
	v_lshl_add_u32 v30, v30, 10, 0x2000
	v_and_b32_e32 v30, 0xfc00, v30
	v_and_or_b32 v30, 0x8000, v31, v30
	v_lshl_or_b32 v30, v2, 7, v30
.LBB270_106:                            ;   in Loop: Header=BB270_97 Depth=1
	s_or_b32 exec_lo, exec_lo, s1
.LBB270_107:                            ;   in Loop: Header=BB270_97 Depth=1
	s_or_b32 exec_lo, exec_lo, s0
	v_lshrrev_b16 v2, 8, v8
	s_mov_b32 s1, 0
	s_mov_b32 s0, exec_lo
	v_cmpx_lt_i16_e32 0x7f, v2
	s_xor_b32 s0, exec_lo, s0
	s_cbranch_execz .LBB270_111
; %bb.108:                              ;   in Loop: Header=BB270_97 Depth=1
	s_mov_b32 s1, -1
	s_mov_b32 s12, exec_lo
	v_cmpx_eq_u16_e32 0x80, v2
; %bb.109:                              ;   in Loop: Header=BB270_97 Depth=1
	s_xor_b32 s1, exec_lo, -1
; %bb.110:                              ;   in Loop: Header=BB270_97 Depth=1
	s_or_b32 exec_lo, exec_lo, s12
	s_and_b32 s1, s1, exec_lo
.LBB270_111:                            ;   in Loop: Header=BB270_97 Depth=1
	s_or_saveexec_b32 s0, s0
	v_bfrev_b32_e32 v31, 1
	v_and_b32_e32 v32, 0xffff, v2
	s_xor_b32 exec_lo, exec_lo, s0
; %bb.112:                              ;   in Loop: Header=BB270_97 Depth=1
	v_cmp_ne_u16_e32 vcc_lo, 0, v2
	v_mov_b32_e32 v31, v32
	s_andn2_b32 s1, s1, exec_lo
	s_and_b32 s12, vcc_lo, exec_lo
	s_or_b32 s1, s1, s12
; %bb.113:                              ;   in Loop: Header=BB270_97 Depth=1
	s_or_b32 exec_lo, exec_lo, s0
	s_and_saveexec_b32 s0, s1
	s_cbranch_execz .LBB270_117
; %bb.114:                              ;   in Loop: Header=BB270_97 Depth=1
	v_and_b32_sdwa v32, v2, v15 dst_sel:DWORD dst_unused:UNUSED_PAD src0_sel:WORD_0 src1_sel:DWORD
	v_mov_b32_e32 v31, 0x7c010000
	s_mov_b32 s1, exec_lo
	v_cmpx_ne_u32_e32 0x7f, v32
	s_cbranch_execz .LBB270_116
; %bb.115:                              ;   in Loop: Header=BB270_97 Depth=1
	v_and_b32_sdwa v31, v2, v18 dst_sel:DWORD dst_unused:UNUSED_PAD src0_sel:WORD_0 src1_sel:DWORD
	v_cmp_gt_u32_e32 vcc_lo, 8, v32
	v_ffbh_u32_e32 v33, v31
	v_min_u32_e32 v35, 32, v33
	v_subrev_nc_u32_e32 v33, 28, v35
	v_sub_nc_u32_e32 v35, 29, v35
	v_lshlrev_b64 v[33:34], v33, v[2:3]
	v_lshrrev_b32_e32 v34, 3, v32
	v_lshlrev_b32_sdwa v2, v19, v2 dst_sel:DWORD dst_unused:UNUSED_PAD src0_sel:DWORD src1_sel:WORD_0
	v_cndmask_b32_e32 v32, v34, v35, vcc_lo
	v_and_b32_e32 v33, 7, v33
	v_lshl_add_u32 v32, v32, 10, 0x2000
	v_cndmask_b32_e32 v31, v31, v33, vcc_lo
	v_and_or_b32 v2, 0x8000, v2, v32
	v_lshlrev_b32_e32 v2, 16, v2
	v_lshl_or_b32 v31, v31, 23, v2
.LBB270_116:                            ;   in Loop: Header=BB270_97 Depth=1
	s_or_b32 exec_lo, exec_lo, s1
.LBB270_117:                            ;   in Loop: Header=BB270_97 Depth=1
	s_or_b32 exec_lo, exec_lo, s0
	v_lshrrev_b32_e32 v2, 16, v8
	s_mov_b32 s1, 0
	v_cmp_gt_i16_sdwa s0, v2, v15 src0_sel:BYTE_0 src1_sel:DWORD
	s_and_saveexec_b32 s12, s0
	s_xor_b32 s0, exec_lo, s12
	s_cbranch_execnz .LBB270_120
; %bb.118:                              ;   in Loop: Header=BB270_97 Depth=1
	s_or_saveexec_b32 s0, s0
	v_mov_b32_e32 v32, 0x8000
	s_xor_b32 exec_lo, exec_lo, s0
	s_cbranch_execnz .LBB270_123
.LBB270_119:                            ;   in Loop: Header=BB270_97 Depth=1
	s_or_b32 exec_lo, exec_lo, s0
	s_and_saveexec_b32 s0, s1
	s_cbranch_execnz .LBB270_124
	s_branch .LBB270_127
.LBB270_120:                            ;   in Loop: Header=BB270_97 Depth=1
	v_cmp_eq_u16_sdwa s13, v2, v16 src0_sel:BYTE_0 src1_sel:DWORD
	s_mov_b32 s1, -1
	s_and_saveexec_b32 s12, s13
; %bb.121:                              ;   in Loop: Header=BB270_97 Depth=1
	s_xor_b32 s1, exec_lo, -1
; %bb.122:                              ;   in Loop: Header=BB270_97 Depth=1
	s_or_b32 exec_lo, exec_lo, s12
	s_and_b32 s1, s1, exec_lo
	s_or_saveexec_b32 s0, s0
	v_mov_b32_e32 v32, 0x8000
	s_xor_b32 exec_lo, exec_lo, s0
	s_cbranch_execz .LBB270_119
.LBB270_123:                            ;   in Loop: Header=BB270_97 Depth=1
	v_cmp_ne_u16_sdwa s12, v2, v3 src0_sel:BYTE_0 src1_sel:DWORD
	v_and_b32_sdwa v32, v17, v2 dst_sel:DWORD dst_unused:UNUSED_PAD src0_sel:DWORD src1_sel:BYTE_0
	s_andn2_b32 s1, s1, exec_lo
	s_and_b32 s12, s12, exec_lo
	s_or_b32 s1, s1, s12
	s_or_b32 exec_lo, exec_lo, s0
	s_and_saveexec_b32 s0, s1
	s_cbranch_execz .LBB270_127
.LBB270_124:                            ;   in Loop: Header=BB270_97 Depth=1
	v_and_b32_e32 v33, 0x7f, v2
	v_mov_b32_e32 v32, 0x7c01
	s_mov_b32 s1, exec_lo
	v_cmpx_ne_u32_e32 0x7f, v33
	s_cbranch_execz .LBB270_126
; %bb.125:                              ;   in Loop: Header=BB270_97 Depth=1
	v_and_b32_e32 v32, 7, v2
	v_cmp_gt_u32_e32 vcc_lo, 8, v33
	v_ffbh_u32_e32 v34, v32
	v_min_u32_e32 v36, 32, v34
	v_subrev_nc_u32_e32 v34, 28, v36
	v_sub_nc_u32_e32 v36, 29, v36
	v_lshlrev_b64 v[34:35], v34, v[2:3]
	v_lshrrev_b32_e32 v35, 3, v33
	v_lshlrev_b32_e32 v2, 8, v2
	v_cndmask_b32_e32 v33, v35, v36, vcc_lo
	v_and_b32_e32 v34, 7, v34
	v_lshl_add_u32 v33, v33, 10, 0x2000
	v_cndmask_b32_e32 v32, v32, v34, vcc_lo
	v_and_b32_e32 v33, 0xfc00, v33
	v_and_or_b32 v2, 0x8000, v2, v33
	v_lshl_or_b32 v32, v32, 7, v2
.LBB270_126:                            ;   in Loop: Header=BB270_97 Depth=1
	s_or_b32 exec_lo, exec_lo, s1
.LBB270_127:                            ;   in Loop: Header=BB270_97 Depth=1
	s_or_b32 exec_lo, exec_lo, s0
	v_lshrrev_b32_e32 v2, 24, v8
	v_bfe_u32 v34, v8, 24, 7
	v_cmp_gt_u32_e64 s1, 0x1000000, v8
	v_cmp_eq_u32_e32 vcc_lo, 0x80, v2
	v_cmp_eq_u32_e64 s0, 0x7f, v34
	v_cndmask_b32_e32 v33, 0x7c010000, v20, vcc_lo
	s_or_b32 s0, vcc_lo, s0
	v_cndmask_b32_e64 v33, v33, 0, s1
	s_nor_b32 s1, s1, s0
	s_and_saveexec_b32 s0, s1
	s_cbranch_execz .LBB270_129
; %bb.128:                              ;   in Loop: Header=BB270_97 Depth=1
	v_and_b32_e32 v33, 7, v2
	v_cmp_gt_u32_e32 vcc_lo, 8, v34
	v_ffbh_u32_e32 v35, v33
	v_min_u32_e32 v37, 32, v35
	v_subrev_nc_u32_e32 v35, 28, v37
	v_sub_nc_u32_e32 v37, 29, v37
	v_lshlrev_b64 v[35:36], v35, v[2:3]
	v_lshrrev_b32_e32 v36, 3, v34
	v_lshlrev_b32_e32 v2, 8, v2
	v_cndmask_b32_e32 v34, v36, v37, vcc_lo
	v_and_b32_e32 v35, 7, v35
	v_lshl_add_u32 v34, v34, 10, 0x2000
	v_cndmask_b32_e32 v33, v33, v35, vcc_lo
	v_and_or_b32 v2, 0x8000, v2, v34
	v_lshlrev_b32_e32 v2, 16, v2
	v_lshl_or_b32 v33, v33, 23, v2
.LBB270_129:                            ;   in Loop: Header=BB270_97 Depth=1
	s_or_b32 exec_lo, exec_lo, s0
	v_cmp_gt_i16_sdwa s0, v9, v15 src0_sel:BYTE_0 src1_sel:DWORD
	s_mov_b32 s1, 0
	s_and_saveexec_b32 s12, s0
	s_xor_b32 s0, exec_lo, s12
	s_cbranch_execnz .LBB270_132
; %bb.130:                              ;   in Loop: Header=BB270_97 Depth=1
	s_or_saveexec_b32 s0, s0
	v_mov_b32_e32 v34, 0x8000
	s_xor_b32 exec_lo, exec_lo, s0
	s_cbranch_execnz .LBB270_135
.LBB270_131:                            ;   in Loop: Header=BB270_97 Depth=1
	s_or_b32 exec_lo, exec_lo, s0
	v_mov_b32_e32 v2, v9
	s_and_saveexec_b32 s0, s1
	s_cbranch_execnz .LBB270_136
	s_branch .LBB270_139
.LBB270_132:                            ;   in Loop: Header=BB270_97 Depth=1
	v_cmp_eq_u16_sdwa s13, v9, v16 src0_sel:BYTE_0 src1_sel:DWORD
	s_mov_b32 s1, -1
	s_and_saveexec_b32 s12, s13
; %bb.133:                              ;   in Loop: Header=BB270_97 Depth=1
	s_xor_b32 s1, exec_lo, -1
; %bb.134:                              ;   in Loop: Header=BB270_97 Depth=1
	s_or_b32 exec_lo, exec_lo, s12
	s_and_b32 s1, s1, exec_lo
	s_or_saveexec_b32 s0, s0
	v_mov_b32_e32 v34, 0x8000
	s_xor_b32 exec_lo, exec_lo, s0
	s_cbranch_execz .LBB270_131
.LBB270_135:                            ;   in Loop: Header=BB270_97 Depth=1
	v_cmp_ne_u16_sdwa s12, v9, v3 src0_sel:BYTE_0 src1_sel:DWORD
	v_and_b32_sdwa v34, v17, v9 dst_sel:DWORD dst_unused:UNUSED_PAD src0_sel:DWORD src1_sel:BYTE_0
	s_andn2_b32 s1, s1, exec_lo
	s_and_b32 s12, s12, exec_lo
	s_or_b32 s1, s1, s12
	s_or_b32 exec_lo, exec_lo, s0
	v_mov_b32_e32 v2, v9
	s_and_saveexec_b32 s0, s1
	s_cbranch_execz .LBB270_139
.LBB270_136:                            ;   in Loop: Header=BB270_97 Depth=1
	v_and_b32_e32 v35, 0x7f, v9
	v_mov_b32_e32 v34, 0x7c01
	s_mov_b32 s1, exec_lo
	v_cmpx_ne_u32_e32 0x7f, v35
	s_cbranch_execz .LBB270_138
; %bb.137:                              ;   in Loop: Header=BB270_97 Depth=1
	v_and_b32_e32 v34, 7, v9
	v_cmp_gt_u32_e32 vcc_lo, 8, v35
	v_ffbh_u32_e32 v36, v34
	v_min_u32_e32 v38, 32, v36
	v_subrev_nc_u32_e32 v36, 28, v38
	v_sub_nc_u32_e32 v38, 29, v38
	v_lshlrev_b64 v[36:37], v36, v[2:3]
	v_lshrrev_b32_e32 v37, 3, v35
	v_cndmask_b32_e32 v35, v37, v38, vcc_lo
	v_and_b32_e32 v36, 7, v36
	v_lshl_add_u32 v35, v35, 10, 0x2000
	v_cndmask_b32_e32 v34, v34, v36, vcc_lo
	v_lshlrev_b32_e32 v36, 8, v9
	v_and_b32_e32 v35, 0xfc00, v35
	v_and_or_b32 v35, 0x8000, v36, v35
	v_lshl_or_b32 v34, v34, 7, v35
.LBB270_138:                            ;   in Loop: Header=BB270_97 Depth=1
	s_or_b32 exec_lo, exec_lo, s1
.LBB270_139:                            ;   in Loop: Header=BB270_97 Depth=1
	s_or_b32 exec_lo, exec_lo, s0
	v_lshrrev_b16 v2, 8, v2
	s_mov_b32 s1, 0
	s_mov_b32 s0, exec_lo
	v_cmpx_lt_i16_e32 0x7f, v2
	s_xor_b32 s0, exec_lo, s0
	s_cbranch_execz .LBB270_143
; %bb.140:                              ;   in Loop: Header=BB270_97 Depth=1
	s_mov_b32 s1, -1
	s_mov_b32 s12, exec_lo
	v_cmpx_eq_u16_e32 0x80, v2
; %bb.141:                              ;   in Loop: Header=BB270_97 Depth=1
	s_xor_b32 s1, exec_lo, -1
; %bb.142:                              ;   in Loop: Header=BB270_97 Depth=1
	s_or_b32 exec_lo, exec_lo, s12
	s_and_b32 s1, s1, exec_lo
.LBB270_143:                            ;   in Loop: Header=BB270_97 Depth=1
	s_or_saveexec_b32 s0, s0
	v_bfrev_b32_e32 v35, 1
	v_and_b32_e32 v36, 0xffff, v2
	s_xor_b32 exec_lo, exec_lo, s0
; %bb.144:                              ;   in Loop: Header=BB270_97 Depth=1
	v_cmp_ne_u16_e32 vcc_lo, 0, v2
	v_mov_b32_e32 v35, v36
	s_andn2_b32 s1, s1, exec_lo
	s_and_b32 s12, vcc_lo, exec_lo
	s_or_b32 s1, s1, s12
; %bb.145:                              ;   in Loop: Header=BB270_97 Depth=1
	s_or_b32 exec_lo, exec_lo, s0
	s_and_saveexec_b32 s0, s1
	s_cbranch_execz .LBB270_149
; %bb.146:                              ;   in Loop: Header=BB270_97 Depth=1
	v_and_b32_sdwa v36, v2, v15 dst_sel:DWORD dst_unused:UNUSED_PAD src0_sel:WORD_0 src1_sel:DWORD
	v_mov_b32_e32 v35, 0x7c010000
	s_mov_b32 s1, exec_lo
	v_cmpx_ne_u32_e32 0x7f, v36
	s_cbranch_execz .LBB270_148
; %bb.147:                              ;   in Loop: Header=BB270_97 Depth=1
	v_and_b32_sdwa v35, v2, v18 dst_sel:DWORD dst_unused:UNUSED_PAD src0_sel:WORD_0 src1_sel:DWORD
	v_cmp_gt_u32_e32 vcc_lo, 8, v36
	v_ffbh_u32_e32 v37, v35
	v_min_u32_e32 v39, 32, v37
	v_subrev_nc_u32_e32 v37, 28, v39
	v_sub_nc_u32_e32 v39, 29, v39
	v_lshlrev_b64 v[37:38], v37, v[2:3]
	v_lshrrev_b32_e32 v38, 3, v36
	v_lshlrev_b32_sdwa v2, v19, v2 dst_sel:DWORD dst_unused:UNUSED_PAD src0_sel:DWORD src1_sel:WORD_0
	v_cndmask_b32_e32 v36, v38, v39, vcc_lo
	v_and_b32_e32 v37, 7, v37
	v_lshl_add_u32 v36, v36, 10, 0x2000
	v_cndmask_b32_e32 v35, v35, v37, vcc_lo
	v_and_or_b32 v2, 0x8000, v2, v36
	v_lshlrev_b32_e32 v2, 16, v2
	v_lshl_or_b32 v35, v35, 23, v2
.LBB270_148:                            ;   in Loop: Header=BB270_97 Depth=1
	s_or_b32 exec_lo, exec_lo, s1
.LBB270_149:                            ;   in Loop: Header=BB270_97 Depth=1
	s_or_b32 exec_lo, exec_lo, s0
	v_lshrrev_b32_e32 v2, 16, v9
	s_mov_b32 s1, 0
	v_cmp_gt_i16_sdwa s0, v2, v15 src0_sel:BYTE_0 src1_sel:DWORD
	s_and_saveexec_b32 s12, s0
	s_xor_b32 s0, exec_lo, s12
	s_cbranch_execnz .LBB270_152
; %bb.150:                              ;   in Loop: Header=BB270_97 Depth=1
	s_or_saveexec_b32 s0, s0
	v_mov_b32_e32 v36, 0x8000
	s_xor_b32 exec_lo, exec_lo, s0
	s_cbranch_execnz .LBB270_155
.LBB270_151:                            ;   in Loop: Header=BB270_97 Depth=1
	s_or_b32 exec_lo, exec_lo, s0
	s_and_saveexec_b32 s0, s1
	s_cbranch_execnz .LBB270_156
	s_branch .LBB270_159
.LBB270_152:                            ;   in Loop: Header=BB270_97 Depth=1
	v_cmp_eq_u16_sdwa s13, v2, v16 src0_sel:BYTE_0 src1_sel:DWORD
	s_mov_b32 s1, -1
	s_and_saveexec_b32 s12, s13
; %bb.153:                              ;   in Loop: Header=BB270_97 Depth=1
	s_xor_b32 s1, exec_lo, -1
; %bb.154:                              ;   in Loop: Header=BB270_97 Depth=1
	s_or_b32 exec_lo, exec_lo, s12
	s_and_b32 s1, s1, exec_lo
	s_or_saveexec_b32 s0, s0
	v_mov_b32_e32 v36, 0x8000
	s_xor_b32 exec_lo, exec_lo, s0
	s_cbranch_execz .LBB270_151
.LBB270_155:                            ;   in Loop: Header=BB270_97 Depth=1
	v_cmp_ne_u16_sdwa s12, v2, v3 src0_sel:BYTE_0 src1_sel:DWORD
	v_and_b32_sdwa v36, v17, v2 dst_sel:DWORD dst_unused:UNUSED_PAD src0_sel:DWORD src1_sel:BYTE_0
	s_andn2_b32 s1, s1, exec_lo
	s_and_b32 s12, s12, exec_lo
	s_or_b32 s1, s1, s12
	s_or_b32 exec_lo, exec_lo, s0
	s_and_saveexec_b32 s0, s1
	s_cbranch_execz .LBB270_159
.LBB270_156:                            ;   in Loop: Header=BB270_97 Depth=1
	v_and_b32_e32 v37, 0x7f, v2
	v_mov_b32_e32 v36, 0x7c01
	s_mov_b32 s1, exec_lo
	v_cmpx_ne_u32_e32 0x7f, v37
	s_cbranch_execz .LBB270_158
; %bb.157:                              ;   in Loop: Header=BB270_97 Depth=1
	v_and_b32_e32 v36, 7, v2
	v_cmp_gt_u32_e32 vcc_lo, 8, v37
	v_ffbh_u32_e32 v38, v36
	v_min_u32_e32 v40, 32, v38
	v_subrev_nc_u32_e32 v38, 28, v40
	v_sub_nc_u32_e32 v40, 29, v40
	v_lshlrev_b64 v[38:39], v38, v[2:3]
	v_lshrrev_b32_e32 v39, 3, v37
	v_lshlrev_b32_e32 v2, 8, v2
	v_cndmask_b32_e32 v37, v39, v40, vcc_lo
	v_and_b32_e32 v38, 7, v38
	v_lshl_add_u32 v37, v37, 10, 0x2000
	v_cndmask_b32_e32 v36, v36, v38, vcc_lo
	v_and_b32_e32 v37, 0xfc00, v37
	v_and_or_b32 v2, 0x8000, v2, v37
	v_lshl_or_b32 v36, v36, 7, v2
.LBB270_158:                            ;   in Loop: Header=BB270_97 Depth=1
	s_or_b32 exec_lo, exec_lo, s1
.LBB270_159:                            ;   in Loop: Header=BB270_97 Depth=1
	s_or_b32 exec_lo, exec_lo, s0
	v_lshrrev_b32_e32 v2, 24, v9
	v_bfe_u32 v37, v9, 24, 7
	v_cmp_gt_u64_e64 s1, s[4:5], v[8:9]
	v_cmp_eq_u32_e32 vcc_lo, 0x80, v2
	v_cmp_eq_u32_e64 s0, 0x7f, v37
	v_cndmask_b32_e32 v38, 0x7c010000, v20, vcc_lo
	s_or_b32 s0, vcc_lo, s0
	v_cndmask_b32_e64 v8, v38, 0, s1
	s_nor_b32 s1, s1, s0
	s_and_saveexec_b32 s0, s1
	s_cbranch_execz .LBB270_161
; %bb.160:                              ;   in Loop: Header=BB270_97 Depth=1
	v_and_b32_e32 v38, 7, v2
	v_cmp_gt_u32_e32 vcc_lo, 8, v37
	v_ffbh_u32_e32 v8, v38
	v_min_u32_e32 v39, 32, v8
	v_subrev_nc_u32_e32 v8, 28, v39
	v_sub_nc_u32_e32 v39, 29, v39
	v_lshlrev_b64 v[8:9], v8, v[2:3]
	v_lshrrev_b32_e32 v9, 3, v37
	v_lshlrev_b32_e32 v2, 8, v2
	v_cndmask_b32_e32 v9, v9, v39, vcc_lo
	v_and_b32_e32 v8, 7, v8
	v_lshl_add_u32 v9, v9, 10, 0x2000
	v_cndmask_b32_e32 v8, v38, v8, vcc_lo
	v_and_or_b32 v2, 0x8000, v2, v9
	v_lshlrev_b32_e32 v2, 16, v2
	v_lshl_or_b32 v8, v8, 23, v2
.LBB270_161:                            ;   in Loop: Header=BB270_97 Depth=1
	s_or_b32 exec_lo, exec_lo, s0
	v_or_b32_e32 v2, v33, v32
	s_waitcnt vmcnt(0)
	v_fma_mixlo_f16 v9, v29, v33, 0 op_sel:[0,1,0] op_sel_hi:[0,1,0]
	v_or_b32_e32 v30, v31, v30
	v_or_b32_e32 v33, v35, v34
	;; [unrolled: 1-line block ×3, first 2 shown]
	v_fma_mixlo_f16 v31, v29, v31, 0 op_sel:[0,1,0] op_sel_hi:[0,1,0]
	v_fma_mixlo_f16 v34, v29, v2, 0 op_sel_hi:[0,1,0]
	v_lshlrev_b32_e32 v2, 16, v9
	v_fma_mixlo_f16 v9, v29, v30, 0 op_sel_hi:[0,1,0]
	v_fma_mixlo_f16 v30, v29, v35, 0 op_sel:[0,1,0] op_sel_hi:[0,1,0]
	v_fma_mixlo_f16 v33, v29, v33, 0 op_sel_hi:[0,1,0]
	v_fma_mixlo_f16 v8, v29, v8, 0 op_sel:[0,1,0] op_sel_hi:[0,1,0]
	v_fma_mixlo_f16 v29, v29, v36, 0 op_sel_hi:[0,1,0]
	v_lshlrev_b32_e32 v32, 16, v31
	v_and_b32_e32 v31, 0xffff, v34
	v_and_b32_e32 v37, 0xffff, v9
	v_lshlrev_b32_e32 v9, 16, v30
	v_and_b32_e32 v30, 0xffff, v33
	v_lshlrev_b32_e32 v8, 16, v8
	v_and_b32_e32 v29, 0xffff, v29
	v_or_b32_e32 v33, v2, v31
	v_or_b32_e32 v34, v32, v37
	;; [unrolled: 1-line block ×3, first 2 shown]
	s_mov_b32 s0, exec_lo
	v_or_b32_e32 v36, v8, v29
	v_cmpx_eq_u32_e64 s16, v1
	s_cbranch_execz .LBB270_96
; %bb.162:                              ;   in Loop: Header=BB270_97 Depth=1
	v_add_nc_u32_e32 v33, -7, v12
	v_add_nc_u32_e32 v34, -6, v12
	;; [unrolled: 1-line block ×4, first 2 shown]
	v_cmp_gt_i32_e32 vcc_lo, s27, v33
	v_cndmask_b32_e32 v33, 0, v37, vcc_lo
	v_cmp_gt_i32_e32 vcc_lo, s27, v34
	v_add_nc_u32_e32 v34, -4, v12
	v_cndmask_b32_e32 v32, 0, v32, vcc_lo
	v_cmp_gt_i32_e32 vcc_lo, s27, v35
	v_add_nc_u32_e32 v35, -3, v12
	;; [unrolled: 3-line block ×3, first 2 shown]
	v_cndmask_b32_e32 v2, 0, v2, vcc_lo
	v_cmp_gt_i32_e32 vcc_lo, s27, v35
	v_cndmask_b32_e32 v30, 0, v30, vcc_lo
	v_cmp_gt_i32_e32 vcc_lo, s27, v36
	;; [unrolled: 2-line block ×3, first 2 shown]
	v_or_b32_e32 v34, v32, v33
	v_or_b32_e32 v33, v2, v31
	v_or_b32_e32 v35, v9, v30
	v_cndmask_b32_e32 v29, 0, v29, vcc_lo
	v_cmp_gt_i32_e32 vcc_lo, s27, v12
	v_cndmask_b32_e32 v8, 0, v8, vcc_lo
	v_or_b32_e32 v36, v8, v29
	s_branch .LBB270_96
.LBB270_163:
	s_or_b32 exec_lo, exec_lo, s9
.LBB270_164:
	s_or_b32 exec_lo, exec_lo, s3
	v_and_b32_e32 v2, 0x3c0, v0
	v_lshl_add_u32 v1, v10, 2, 0x60
	s_mov_b32 s0, exec_lo
	s_waitcnt_vscnt null, 0x0
	s_barrier
	buffer_gl0_inv
	v_cmpx_eq_u32_e32 64, v2
; %bb.165:
	v_lshlrev_b32_e32 v2, 7, v11
	v_add3_u32 v2, v1, v2, 0xffffff00
	ds_write_b32 v2, v13
; %bb.166:
	s_or_b32 exec_lo, exec_lo, s0
	v_and_b32_e32 v3, 0x3e0, v0
	s_mov_b32 s0, exec_lo
	s_waitcnt lgkmcnt(0)
	s_barrier
	buffer_gl0_inv
	v_lshl_add_u32 v2, v3, 2, v1
	v_cmpx_gt_u32_e32 64, v0
	s_cbranch_execz .LBB270_168
; %bb.167:
	ds_read_b32 v4, v2
	s_waitcnt lgkmcnt(0)
	v_add_f32_e32 v13, v13, v4
.LBB270_168:
	s_or_b32 exec_lo, exec_lo, s0
	s_mov_b32 s0, exec_lo
	s_barrier
	buffer_gl0_inv
	v_cmpx_eq_u32_e32 32, v3
; %bb.169:
	ds_write_b32 v1, v13
; %bb.170:
	s_or_b32 exec_lo, exec_lo, s0
	v_cmp_gt_u32_e32 vcc_lo, 32, v0
	s_waitcnt lgkmcnt(0)
	s_barrier
	buffer_gl0_inv
	s_and_saveexec_b32 s0, vcc_lo
	s_cbranch_execz .LBB270_172
; %bb.171:
	ds_read_b32 v0, v2
	s_waitcnt lgkmcnt(0)
	v_add_f32_e32 v13, v13, v0
.LBB270_172:
	s_or_b32 exec_lo, exec_lo, s0
	s_barrier
	buffer_gl0_inv
	s_and_saveexec_b32 s0, vcc_lo
	s_cbranch_execz .LBB270_174
; %bb.173:
	s_lshl_b32 s0, s2, 5
	s_mul_i32 s2, s7, s10
	s_ashr_i32 s1, s0, 31
	v_lshlrev_b32_e32 v0, 1, v10
	s_lshl_b64 s[0:1], s[0:1], 1
	;;#ASMSTART
	v_cvt_f16_f32 v1, v13;

	;;#ASMEND
	s_add_u32 s4, s24, s0
	s_addc_u32 s5, s25, s1
	s_ashr_i32 s3, s2, 31
	s_lshl_b64 s[0:1], s[2:3], 1
	s_add_u32 s2, s4, s0
	s_addc_u32 s3, s5, s1
	s_lshl_b32 s0, s8, 5
	s_ashr_i32 s1, s0, 31
	s_lshl_b64 s[0:1], s[0:1], 1
	s_add_u32 s0, s2, s0
	s_addc_u32 s1, s3, s1
	global_store_short v0, v1, s[0:1]
.LBB270_174:
	s_endpgm
	.section	.rodata,"a",@progbits
	.p2align	6, 0x0
	.amdhsa_kernel _ZN4vllm25paged_attention_v2_kernelIthLi32ELi8ELi128ELNS_18Fp8KVCacheDataTypeE1ELb0ELi512EEEvPfS2_PT_PKS3_PKT0_S9_ifPKiSB_iPKfiiiSD_SD_iiiii
		.amdhsa_group_segment_fixed_size 96
		.amdhsa_private_segment_fixed_size 0
		.amdhsa_kernarg_size 400
		.amdhsa_user_sgpr_count 6
		.amdhsa_user_sgpr_private_segment_buffer 1
		.amdhsa_user_sgpr_dispatch_ptr 0
		.amdhsa_user_sgpr_queue_ptr 0
		.amdhsa_user_sgpr_kernarg_segment_ptr 1
		.amdhsa_user_sgpr_dispatch_id 0
		.amdhsa_user_sgpr_flat_scratch_init 0
		.amdhsa_user_sgpr_private_segment_size 0
		.amdhsa_wavefront_size32 1
		.amdhsa_uses_dynamic_stack 0
		.amdhsa_system_sgpr_private_segment_wavefront_offset 0
		.amdhsa_system_sgpr_workgroup_id_x 1
		.amdhsa_system_sgpr_workgroup_id_y 1
		.amdhsa_system_sgpr_workgroup_id_z 1
		.amdhsa_system_sgpr_workgroup_info 0
		.amdhsa_system_vgpr_workitem_id 0
		.amdhsa_next_free_vgpr 41
		.amdhsa_next_free_sgpr 43
		.amdhsa_reserve_vcc 1
		.amdhsa_reserve_flat_scratch 0
		.amdhsa_float_round_mode_32 0
		.amdhsa_float_round_mode_16_64 0
		.amdhsa_float_denorm_mode_32 3
		.amdhsa_float_denorm_mode_16_64 3
		.amdhsa_dx10_clamp 1
		.amdhsa_ieee_mode 1
		.amdhsa_fp16_overflow 0
		.amdhsa_workgroup_processor_mode 1
		.amdhsa_memory_ordered 1
		.amdhsa_forward_progress 1
		.amdhsa_shared_vgpr_count 0
		.amdhsa_exception_fp_ieee_invalid_op 0
		.amdhsa_exception_fp_denorm_src 0
		.amdhsa_exception_fp_ieee_div_zero 0
		.amdhsa_exception_fp_ieee_overflow 0
		.amdhsa_exception_fp_ieee_underflow 0
		.amdhsa_exception_fp_ieee_inexact 0
		.amdhsa_exception_int_div_zero 0
	.end_amdhsa_kernel
	.section	.text._ZN4vllm25paged_attention_v2_kernelIthLi32ELi8ELi128ELNS_18Fp8KVCacheDataTypeE1ELb0ELi512EEEvPfS2_PT_PKS3_PKT0_S9_ifPKiSB_iPKfiiiSD_SD_iiiii,"axG",@progbits,_ZN4vllm25paged_attention_v2_kernelIthLi32ELi8ELi128ELNS_18Fp8KVCacheDataTypeE1ELb0ELi512EEEvPfS2_PT_PKS3_PKT0_S9_ifPKiSB_iPKfiiiSD_SD_iiiii,comdat
.Lfunc_end270:
	.size	_ZN4vllm25paged_attention_v2_kernelIthLi32ELi8ELi128ELNS_18Fp8KVCacheDataTypeE1ELb0ELi512EEEvPfS2_PT_PKS3_PKT0_S9_ifPKiSB_iPKfiiiSD_SD_iiiii, .Lfunc_end270-_ZN4vllm25paged_attention_v2_kernelIthLi32ELi8ELi128ELNS_18Fp8KVCacheDataTypeE1ELb0ELi512EEEvPfS2_PT_PKS3_PKT0_S9_ifPKiSB_iPKfiiiSD_SD_iiiii
                                        ; -- End function
	.set _ZN4vllm25paged_attention_v2_kernelIthLi32ELi8ELi128ELNS_18Fp8KVCacheDataTypeE1ELb0ELi512EEEvPfS2_PT_PKS3_PKT0_S9_ifPKiSB_iPKfiiiSD_SD_iiiii.num_vgpr, 41
	.set _ZN4vllm25paged_attention_v2_kernelIthLi32ELi8ELi128ELNS_18Fp8KVCacheDataTypeE1ELb0ELi512EEEvPfS2_PT_PKS3_PKT0_S9_ifPKiSB_iPKfiiiSD_SD_iiiii.num_agpr, 0
	.set _ZN4vllm25paged_attention_v2_kernelIthLi32ELi8ELi128ELNS_18Fp8KVCacheDataTypeE1ELb0ELi512EEEvPfS2_PT_PKS3_PKT0_S9_ifPKiSB_iPKfiiiSD_SD_iiiii.numbered_sgpr, 43
	.set _ZN4vllm25paged_attention_v2_kernelIthLi32ELi8ELi128ELNS_18Fp8KVCacheDataTypeE1ELb0ELi512EEEvPfS2_PT_PKS3_PKT0_S9_ifPKiSB_iPKfiiiSD_SD_iiiii.num_named_barrier, 0
	.set _ZN4vllm25paged_attention_v2_kernelIthLi32ELi8ELi128ELNS_18Fp8KVCacheDataTypeE1ELb0ELi512EEEvPfS2_PT_PKS3_PKT0_S9_ifPKiSB_iPKfiiiSD_SD_iiiii.private_seg_size, 0
	.set _ZN4vllm25paged_attention_v2_kernelIthLi32ELi8ELi128ELNS_18Fp8KVCacheDataTypeE1ELb0ELi512EEEvPfS2_PT_PKS3_PKT0_S9_ifPKiSB_iPKfiiiSD_SD_iiiii.uses_vcc, 1
	.set _ZN4vllm25paged_attention_v2_kernelIthLi32ELi8ELi128ELNS_18Fp8KVCacheDataTypeE1ELb0ELi512EEEvPfS2_PT_PKS3_PKT0_S9_ifPKiSB_iPKfiiiSD_SD_iiiii.uses_flat_scratch, 0
	.set _ZN4vllm25paged_attention_v2_kernelIthLi32ELi8ELi128ELNS_18Fp8KVCacheDataTypeE1ELb0ELi512EEEvPfS2_PT_PKS3_PKT0_S9_ifPKiSB_iPKfiiiSD_SD_iiiii.has_dyn_sized_stack, 0
	.set _ZN4vllm25paged_attention_v2_kernelIthLi32ELi8ELi128ELNS_18Fp8KVCacheDataTypeE1ELb0ELi512EEEvPfS2_PT_PKS3_PKT0_S9_ifPKiSB_iPKfiiiSD_SD_iiiii.has_recursion, 0
	.set _ZN4vllm25paged_attention_v2_kernelIthLi32ELi8ELi128ELNS_18Fp8KVCacheDataTypeE1ELb0ELi512EEEvPfS2_PT_PKS3_PKT0_S9_ifPKiSB_iPKfiiiSD_SD_iiiii.has_indirect_call, 0
	.section	.AMDGPU.csdata,"",@progbits
; Kernel info:
; codeLenInByte = 7568
; TotalNumSgprs: 45
; NumVgprs: 41
; ScratchSize: 0
; MemoryBound: 0
; FloatMode: 240
; IeeeMode: 1
; LDSByteSize: 96 bytes/workgroup (compile time only)
; SGPRBlocks: 0
; VGPRBlocks: 5
; NumSGPRsForWavesPerEU: 45
; NumVGPRsForWavesPerEU: 41
; Occupancy: 16
; WaveLimiterHint : 1
; COMPUTE_PGM_RSRC2:SCRATCH_EN: 0
; COMPUTE_PGM_RSRC2:USER_SGPR: 6
; COMPUTE_PGM_RSRC2:TRAP_HANDLER: 0
; COMPUTE_PGM_RSRC2:TGID_X_EN: 1
; COMPUTE_PGM_RSRC2:TGID_Y_EN: 1
; COMPUTE_PGM_RSRC2:TGID_Z_EN: 1
; COMPUTE_PGM_RSRC2:TIDIG_COMP_CNT: 0
	.section	.text._ZN4vllm25paged_attention_v2_kernelIthLi64ELi8ELi128ELNS_18Fp8KVCacheDataTypeE1ELb0ELi512EEEvPfS2_PT_PKS3_PKT0_S9_ifPKiSB_iPKfiiiSD_SD_iiiii,"axG",@progbits,_ZN4vllm25paged_attention_v2_kernelIthLi64ELi8ELi128ELNS_18Fp8KVCacheDataTypeE1ELb0ELi512EEEvPfS2_PT_PKS3_PKT0_S9_ifPKiSB_iPKfiiiSD_SD_iiiii,comdat
	.protected	_ZN4vllm25paged_attention_v2_kernelIthLi64ELi8ELi128ELNS_18Fp8KVCacheDataTypeE1ELb0ELi512EEEvPfS2_PT_PKS3_PKT0_S9_ifPKiSB_iPKfiiiSD_SD_iiiii ; -- Begin function _ZN4vllm25paged_attention_v2_kernelIthLi64ELi8ELi128ELNS_18Fp8KVCacheDataTypeE1ELb0ELi512EEEvPfS2_PT_PKS3_PKT0_S9_ifPKiSB_iPKfiiiSD_SD_iiiii
	.globl	_ZN4vllm25paged_attention_v2_kernelIthLi64ELi8ELi128ELNS_18Fp8KVCacheDataTypeE1ELb0ELi512EEEvPfS2_PT_PKS3_PKT0_S9_ifPKiSB_iPKfiiiSD_SD_iiiii
	.p2align	8
	.type	_ZN4vllm25paged_attention_v2_kernelIthLi64ELi8ELi128ELNS_18Fp8KVCacheDataTypeE1ELb0ELi512EEEvPfS2_PT_PKS3_PKT0_S9_ifPKiSB_iPKfiiiSD_SD_iiiii,@function
_ZN4vllm25paged_attention_v2_kernelIthLi64ELi8ELi128ELNS_18Fp8KVCacheDataTypeE1ELb0ELi512EEEvPfS2_PT_PKS3_PKT0_S9_ifPKiSB_iPKfiiiSD_SD_iiiii: ; @_ZN4vllm25paged_attention_v2_kernelIthLi64ELi8ELi128ELNS_18Fp8KVCacheDataTypeE1ELb0ELi512EEEvPfS2_PT_PKS3_PKT0_S9_ifPKiSB_iPKfiiiSD_SD_iiiii
; %bb.0:
	s_load_dwordx2 s[0:1], s[4:5], 0x40
	s_mov_b32 s26, s7
	s_ashr_i32 s27, s7, 31
	s_lshl_b64 s[2:3], s[26:27], 2
	s_waitcnt lgkmcnt(0)
	s_add_u32 s0, s0, s2
	s_addc_u32 s1, s1, s3
	s_lshl_b32 s33, s8, 9
	s_load_dword s27, s[0:1], 0x0
	s_waitcnt lgkmcnt(0)
	s_cmp_ge_i32 s33, s27
	s_cbranch_scc1 .LBB271_304
; %bb.1:
	s_clause 0x1
	s_load_dword s9, s[4:5], 0x90
	s_load_dwordx2 s[36:37], s[4:5], 0x30
	s_waitcnt lgkmcnt(0)
	s_abs_i32 s3, s9
	s_abs_i32 s0, s36
	v_cvt_f32_u32_e32 v1, s0
	s_sub_i32 s2, 0, s0
	v_rcp_iflag_f32_e32 v1, v1
	v_mul_f32_e32 v1, 0x4f7ffffe, v1
	v_cvt_u32_f32_e32 v1, v1
	v_readfirstlane_b32 s1, v1
	s_mul_i32 s2, s2, s1
	s_mul_hi_u32 s2, s1, s2
	s_add_i32 s1, s1, s2
	s_xor_b32 s2, s9, s36
	s_mul_hi_u32 s1, s3, s1
	s_ashr_i32 s2, s2, 31
	s_mul_i32 s7, s1, s0
	s_mov_b32 s36, 0
	s_sub_i32 s3, s3, s7
	s_add_i32 s7, s1, 1
	s_sub_i32 s10, s3, s0
	s_cmp_ge_u32 s3, s0
	s_cselect_b32 s1, s7, s1
	s_cselect_b32 s3, s10, s3
	s_add_i32 s7, s1, 1
	s_cmp_ge_u32 s3, s0
	s_cselect_b32 s0, s7, s1
	s_abs_i32 s12, s6
	s_xor_b32 s0, s0, s2
	s_sub_i32 s10, s0, s2
	s_load_dwordx2 s[0:1], s[4:5], 0x50
	s_abs_i32 s2, s10
	v_cvt_f32_u32_e32 v1, s2
	s_sub_i32 s7, 0, s2
	v_rcp_iflag_f32_e32 v1, v1
	v_mul_f32_e32 v1, 0x4f7ffffe, v1
	v_cvt_u32_f32_e32 v1, v1
	v_readfirstlane_b32 s3, v1
	s_mul_i32 s7, s7, s3
	s_mul_hi_u32 s7, s3, s7
	s_add_i32 s3, s3, s7
	s_waitcnt lgkmcnt(0)
	s_cmp_eq_u64 s[0:1], 0
	s_mul_hi_u32 s3, s12, s3
	s_cbranch_scc1 .LBB271_3
; %bb.2:
	s_ashr_i32 s7, s6, 31
	s_lshl_b64 s[14:15], s[6:7], 2
	s_add_u32 s0, s0, s14
	s_addc_u32 s1, s1, s15
	s_load_dword s36, s[0:1], 0x0
.LBB271_3:
	s_load_dwordx4 s[16:19], s[4:5], 0x58
	v_and_b32_e32 v3, 3, v0
	v_cmp_gt_u32_e64 s0, 32, v0
	s_ashr_i32 s1, s6, 31
	s_ashr_i32 s7, s10, 31
	s_lshl_b32 s10, s6, 6
	s_and_saveexec_b32 s13, s0
	s_cbranch_execz .LBB271_5
; %bb.4:
	s_load_dwordx2 s[14:15], s[4:5], 0x18
	s_waitcnt lgkmcnt(0)
	s_mul_i32 s20, s16, s26
	v_lshlrev_b32_e32 v1, 2, v0
	s_ashr_i32 s21, s20, 31
	v_and_b32_e32 v2, 0x3fc, v0
	s_lshl_b64 s[20:21], s[20:21], 1
	v_lshl_add_u32 v2, v3, 5, v2
	s_add_u32 s16, s14, s20
	s_addc_u32 s19, s15, s21
	s_ashr_i32 s11, s10, 31
	s_lshl_b64 s[14:15], s[10:11], 1
	s_add_u32 s14, s16, s14
	s_addc_u32 s15, s19, s15
	global_load_dword v1, v1, s[14:15]
	s_waitcnt vmcnt(0)
	ds_write_b32 v2, v1
.LBB271_5:
	s_or_b32 exec_lo, exec_lo, s13
	s_add_i32 s11, s27, 7
	s_waitcnt lgkmcnt(0)
	s_lshl_b32 s16, s8, 6
	s_ashr_i32 s13, s11, 31
	s_xor_b32 s1, s1, s7
	s_lshr_b32 s13, s13, 29
	s_add_i32 s7, s16, 64
	s_add_i32 s11, s11, s13
	s_mul_i32 s13, s3, s2
	s_ashr_i32 s19, s11, 3
	s_sub_i32 s12, s12, s13
	s_min_i32 s11, s7, s19
	s_clause 0x1
	s_load_dwordx2 s[28:29], s[4:5], 0x38
	s_load_dword s7, s[4:5], 0x48
	s_add_i32 s13, s3, 1
	s_sub_i32 s14, s12, s2
	s_cmp_ge_u32 s12, s2
	v_lshrrev_b32_e32 v12, 5, v0
	s_cselect_b32 s3, s13, s3
	s_cselect_b32 s12, s14, s12
	s_add_i32 s13, s3, 1
	s_cmp_ge_u32 s12, s2
	v_or_b32_e32 v1, s16, v12
	s_cselect_b32 s2, s13, s3
	v_mbcnt_lo_u32_b32 v13, -1, 0
	s_xor_b32 s2, s2, s1
	s_mov_b32 s3, exec_lo
	s_sub_i32 s2, s2, s1
	v_cmp_gt_i32_e64 s1, s11, v1
	s_waitcnt lgkmcnt(0)
	s_barrier
	buffer_gl0_inv
                                        ; implicit-def: $vgpr4
                                        ; implicit-def: $vgpr15
	s_mul_i32 s30, s7, s26
	s_ashr_i32 s31, s30, 31
	v_cmpx_le_i32_e64 s11, v1
	s_xor_b32 s3, exec_lo, s3
; %bb.6:
	v_mov_b32_e32 v4, 0
	v_mbcnt_lo_u32_b32 v13, -1, 0
	v_mov_b32_e32 v15, 32
                                        ; implicit-def: $vgpr3
; %bb.7:
	s_or_saveexec_b32 s38, s3
	s_clause 0x4
	s_load_dwordx4 s[20:23], s[4:5], 0x0
	s_load_dwordx2 s[24:25], s[4:5], 0x10
	s_load_dword s7, s[4:5], 0x98
	s_load_dwordx2 s[34:35], s[4:5], 0x28
	s_load_dwordx4 s[12:15], s[4:5], 0x68
	v_mov_b32_e32 v14, 0xff7fffff
	v_ashrrev_i32_e32 v2, 31, v1
	v_lshlrev_b32_e32 v11, 3, v12
	s_mul_i32 s18, s2, s18
	s_xor_b32 exec_lo, exec_lo, s38
	s_cbranch_execz .LBB271_141
; %bb.8:
	s_load_dwordx2 s[4:5], s[4:5], 0x20
	v_bfe_u32 v5, v0, 2, 3
	v_lshlrev_b32_e32 v9, 1, v3
	v_lshlrev_b32_e32 v16, 5, v3
	v_cmp_eq_u32_e32 vcc_lo, 0, v3
	s_ashr_i32 s3, s18, 31
	v_lshlrev_b32_e32 v6, 2, v5
	v_lshlrev_b64 v[7:8], 2, v[1:2]
	v_add3_u32 v17, s33, v11, v5
	v_mov_b32_e32 v4, 0
	v_cmp_neq_f32_e64 s2, s36, 0
	v_lshl_or_b32 v3, v12, 5, v6
	v_lshlrev_b32_e32 v6, 4, v5
	v_mov_b32_e32 v14, 0xff7fffff
	v_mov_b32_e32 v15, 32
	;; [unrolled: 1-line block ×3, first 2 shown]
	v_add_nc_u32_e32 v18, 0xa0, v3
	v_mov_b32_e32 v20, 0x7f
	v_mov_b32_e32 v21, 7
	;; [unrolled: 1-line block ×3, first 2 shown]
	s_waitcnt lgkmcnt(0)
	s_add_u32 s4, s4, s18
	s_addc_u32 s3, s5, s3
	v_add_co_u32 v3, s4, s4, v6
	v_add_co_ci_u32_e64 v6, null, s3, 0, s4
	s_lshl_b64 s[40:41], s[30:31], 2
	s_sub_i32 s5, 1, s27
	s_add_u32 s4, s28, s40
	v_add_co_u32 v5, s3, v3, v9
	s_addc_u32 s39, s29, s41
	v_add_co_ci_u32_e64 v6, null, 0, v6, s3
	v_add_co_u32 v7, s3, s4, v7
	v_add_co_ci_u32_e64 v8, null, s39, v8, s3
	v_mov_b32_e32 v23, v1
	s_mov_b32 s40, s17
	s_mov_b32 s39, 0
	s_branch .LBB271_10
.LBB271_9:                              ;   in Loop: Header=BB271_10 Depth=1
	s_or_b32 exec_lo, exec_lo, s4
	v_add_nc_u32_e32 v23, 4, v23
	v_add_co_u32 v7, s4, v7, 16
	v_add_nc_u32_e32 v17, 32, v17
	v_add_nc_u32_e32 v18, 0x80, v18
	v_cmp_le_i32_e64 s3, s11, v23
	v_add_co_ci_u32_e64 v8, null, 0, v8, s4
	s_or_b32 s39, s3, s39
	s_andn2_b32 exec_lo, exec_lo, s39
	s_cbranch_execz .LBB271_140
.LBB271_10:                             ; =>This Inner Loop Header: Depth=1
	global_load_dword v3, v[7:8], off
	s_waitcnt vmcnt(0) lgkmcnt(0)
	v_mad_i64_i32 v[9:10], null, v3, s40, v[5:6]
	global_load_ushort v25, v[9:10], off
	global_load_dword v24, v4, s[12:13]
	s_waitcnt vmcnt(1)
	v_and_b32_e32 v3, 0xffff, v25
	v_cmp_ne_u16_sdwa s3, v25, v4 src0_sel:BYTE_0 src1_sel:DWORD
	v_mov_b32_e32 v25, 0
	s_and_saveexec_b32 s4, s3
	s_cbranch_execz .LBB271_18
; %bb.11:                               ;   in Loop: Header=BB271_10 Depth=1
	v_cmp_ne_u16_sdwa s3, v3, v19 src0_sel:BYTE_0 src1_sel:DWORD
	v_mov_b32_e32 v25, 0x8000
	s_and_saveexec_b32 s41, s3
	s_cbranch_execz .LBB271_17
; %bb.12:                               ;   in Loop: Header=BB271_10 Depth=1
	v_and_b32_e32 v27, 0x7f, v3
	v_mov_b32_e32 v25, 0x7c01
	s_mov_b32 s42, exec_lo
	v_cmpx_ne_u32_e32 0x7f, v27
	s_cbranch_execz .LBB271_16
; %bb.13:                               ;   in Loop: Header=BB271_10 Depth=1
	v_and_b32_e32 v25, 7, v3
	v_lshrrev_b32_e32 v26, 3, v27
	s_mov_b32 s43, exec_lo
	v_cmpx_gt_u32_e32 8, v27
; %bb.14:                               ;   in Loop: Header=BB271_10 Depth=1
	v_ffbh_u32_e32 v25, v25
	v_min_u32_e32 v27, 32, v25
	v_subrev_nc_u32_e32 v25, 28, v27
	v_lshlrev_b64 v[25:26], v25, v[3:4]
	v_sub_nc_u32_e32 v26, 29, v27
	v_and_b32_e32 v25, 7, v25
; %bb.15:                               ;   in Loop: Header=BB271_10 Depth=1
	s_or_b32 exec_lo, exec_lo, s43
	v_lshlrev_b32_e32 v27, 8, v3
	v_lshl_add_u32 v26, v26, 10, 0x2000
	v_lshlrev_b32_e32 v25, 7, v25
	v_and_b32_e32 v27, 0x8000, v27
	v_and_b32_e32 v26, 0xfc00, v26
	v_or3_b32 v25, v27, v26, v25
.LBB271_16:                             ;   in Loop: Header=BB271_10 Depth=1
	s_or_b32 exec_lo, exec_lo, s42
.LBB271_17:                             ;   in Loop: Header=BB271_10 Depth=1
	s_or_b32 exec_lo, exec_lo, s41
.LBB271_18:                             ;   in Loop: Header=BB271_10 Depth=1
	s_or_b32 exec_lo, exec_lo, s4
	v_lshrrev_b16 v3, 8, v3
	v_mov_b32_e32 v26, 0
	s_mov_b32 s4, exec_lo
	v_cmpx_ne_u16_e32 0, v3
	s_cbranch_execz .LBB271_26
; %bb.19:                               ;   in Loop: Header=BB271_10 Depth=1
	v_bfrev_b32_e32 v26, 1
	s_mov_b32 s41, exec_lo
	v_cmpx_ne_u16_e32 0x80, v3
	s_cbranch_execz .LBB271_25
; %bb.20:                               ;   in Loop: Header=BB271_10 Depth=1
	v_and_b32_sdwa v28, v3, v20 dst_sel:DWORD dst_unused:UNUSED_PAD src0_sel:WORD_0 src1_sel:DWORD
	v_mov_b32_e32 v26, 0x7c010000
	s_mov_b32 s42, exec_lo
	v_cmpx_ne_u32_e32 0x7f, v28
	s_cbranch_execz .LBB271_24
; %bb.21:                               ;   in Loop: Header=BB271_10 Depth=1
	v_and_b32_sdwa v26, v3, v21 dst_sel:DWORD dst_unused:UNUSED_PAD src0_sel:WORD_0 src1_sel:DWORD
	v_lshrrev_b32_e32 v27, 3, v28
	s_mov_b32 s43, exec_lo
	v_cmpx_gt_u32_e32 8, v28
; %bb.22:                               ;   in Loop: Header=BB271_10 Depth=1
	v_ffbh_u32_e32 v26, v26
	v_min_u32_e32 v28, 32, v26
	v_subrev_nc_u32_e32 v26, 28, v28
	v_lshlrev_b64 v[26:27], v26, v[3:4]
	v_sub_nc_u32_e32 v27, 29, v28
	v_and_b32_e32 v26, 7, v26
; %bb.23:                               ;   in Loop: Header=BB271_10 Depth=1
	s_or_b32 exec_lo, exec_lo, s43
	v_lshlrev_b32_sdwa v3, v22, v3 dst_sel:DWORD dst_unused:UNUSED_PAD src0_sel:DWORD src1_sel:WORD_0
	v_lshl_add_u32 v27, v27, 10, 0x2000
	v_lshlrev_b32_e32 v26, 23, v26
	v_and_or_b32 v3, 0x8000, v3, v27
	v_lshl_or_b32 v26, v3, 16, v26
.LBB271_24:                             ;   in Loop: Header=BB271_10 Depth=1
	s_or_b32 exec_lo, exec_lo, s42
.LBB271_25:                             ;   in Loop: Header=BB271_10 Depth=1
	s_or_b32 exec_lo, exec_lo, s41
.LBB271_26:                             ;   in Loop: Header=BB271_10 Depth=1
	s_or_b32 exec_lo, exec_lo, s4
	global_load_ushort v28, v[9:10], off offset:8
	v_mov_b32_e32 v27, 0
	s_waitcnt vmcnt(0)
	v_and_b32_e32 v3, 0xffff, v28
	v_cmp_ne_u16_sdwa s3, v28, v4 src0_sel:BYTE_0 src1_sel:DWORD
	v_mov_b32_e32 v28, 0
	s_and_saveexec_b32 s4, s3
	s_cbranch_execz .LBB271_34
; %bb.27:                               ;   in Loop: Header=BB271_10 Depth=1
	v_cmp_ne_u16_sdwa s3, v3, v19 src0_sel:BYTE_0 src1_sel:DWORD
	v_mov_b32_e32 v28, 0x8000
	s_and_saveexec_b32 s41, s3
	s_cbranch_execz .LBB271_33
; %bb.28:                               ;   in Loop: Header=BB271_10 Depth=1
	v_and_b32_e32 v30, 0x7f, v3
	v_mov_b32_e32 v28, 0x7c01
	s_mov_b32 s42, exec_lo
	v_cmpx_ne_u32_e32 0x7f, v30
	s_cbranch_execz .LBB271_32
; %bb.29:                               ;   in Loop: Header=BB271_10 Depth=1
	v_and_b32_e32 v28, 7, v3
	v_lshrrev_b32_e32 v29, 3, v30
	s_mov_b32 s43, exec_lo
	v_cmpx_gt_u32_e32 8, v30
; %bb.30:                               ;   in Loop: Header=BB271_10 Depth=1
	v_ffbh_u32_e32 v28, v28
	v_min_u32_e32 v30, 32, v28
	v_subrev_nc_u32_e32 v28, 28, v30
	v_lshlrev_b64 v[28:29], v28, v[3:4]
	v_sub_nc_u32_e32 v29, 29, v30
	v_and_b32_e32 v28, 7, v28
; %bb.31:                               ;   in Loop: Header=BB271_10 Depth=1
	s_or_b32 exec_lo, exec_lo, s43
	v_lshlrev_b32_e32 v30, 8, v3
	v_lshl_add_u32 v29, v29, 10, 0x2000
	v_lshlrev_b32_e32 v28, 7, v28
	v_and_b32_e32 v30, 0x8000, v30
	v_and_b32_e32 v29, 0xfc00, v29
	v_or3_b32 v28, v30, v29, v28
.LBB271_32:                             ;   in Loop: Header=BB271_10 Depth=1
	s_or_b32 exec_lo, exec_lo, s42
.LBB271_33:                             ;   in Loop: Header=BB271_10 Depth=1
	s_or_b32 exec_lo, exec_lo, s41
.LBB271_34:                             ;   in Loop: Header=BB271_10 Depth=1
	s_or_b32 exec_lo, exec_lo, s4
	v_lshrrev_b16 v3, 8, v3
	s_mov_b32 s4, exec_lo
	v_cmpx_ne_u16_e32 0, v3
	s_cbranch_execz .LBB271_42
; %bb.35:                               ;   in Loop: Header=BB271_10 Depth=1
	v_bfrev_b32_e32 v27, 1
	s_mov_b32 s41, exec_lo
	v_cmpx_ne_u16_e32 0x80, v3
	s_cbranch_execz .LBB271_41
; %bb.36:                               ;   in Loop: Header=BB271_10 Depth=1
	v_and_b32_sdwa v30, v3, v20 dst_sel:DWORD dst_unused:UNUSED_PAD src0_sel:WORD_0 src1_sel:DWORD
	v_mov_b32_e32 v27, 0x7c010000
	s_mov_b32 s42, exec_lo
	v_cmpx_ne_u32_e32 0x7f, v30
	s_cbranch_execz .LBB271_40
; %bb.37:                               ;   in Loop: Header=BB271_10 Depth=1
	v_and_b32_sdwa v27, v3, v21 dst_sel:DWORD dst_unused:UNUSED_PAD src0_sel:WORD_0 src1_sel:DWORD
	v_lshrrev_b32_e32 v29, 3, v30
	s_mov_b32 s43, exec_lo
	v_cmpx_gt_u32_e32 8, v30
; %bb.38:                               ;   in Loop: Header=BB271_10 Depth=1
	v_ffbh_u32_e32 v27, v27
	v_min_u32_e32 v27, 32, v27
	v_subrev_nc_u32_e32 v29, 28, v27
	v_lshlrev_b64 v[30:31], v29, v[3:4]
	v_sub_nc_u32_e32 v29, 29, v27
	v_and_b32_e32 v27, 7, v30
; %bb.39:                               ;   in Loop: Header=BB271_10 Depth=1
	s_or_b32 exec_lo, exec_lo, s43
	v_lshlrev_b32_sdwa v3, v22, v3 dst_sel:DWORD dst_unused:UNUSED_PAD src0_sel:DWORD src1_sel:WORD_0
	v_lshl_add_u32 v29, v29, 10, 0x2000
	v_lshlrev_b32_e32 v27, 23, v27
	v_and_or_b32 v3, 0x8000, v3, v29
	v_lshl_or_b32 v27, v3, 16, v27
.LBB271_40:                             ;   in Loop: Header=BB271_10 Depth=1
	s_or_b32 exec_lo, exec_lo, s42
.LBB271_41:                             ;   in Loop: Header=BB271_10 Depth=1
	s_or_b32 exec_lo, exec_lo, s41
.LBB271_42:                             ;   in Loop: Header=BB271_10 Depth=1
	s_or_b32 exec_lo, exec_lo, s4
	global_load_ushort v30, v[9:10], off offset:128
	v_mov_b32_e32 v29, 0
	s_waitcnt vmcnt(0)
	v_and_b32_e32 v3, 0xffff, v30
	v_cmp_ne_u16_sdwa s3, v30, v4 src0_sel:BYTE_0 src1_sel:DWORD
	v_mov_b32_e32 v30, 0
	s_and_saveexec_b32 s4, s3
	s_cbranch_execz .LBB271_50
; %bb.43:                               ;   in Loop: Header=BB271_10 Depth=1
	v_cmp_ne_u16_sdwa s3, v3, v19 src0_sel:BYTE_0 src1_sel:DWORD
	v_mov_b32_e32 v30, 0x8000
	s_and_saveexec_b32 s41, s3
	s_cbranch_execz .LBB271_49
; %bb.44:                               ;   in Loop: Header=BB271_10 Depth=1
	v_and_b32_e32 v32, 0x7f, v3
	v_mov_b32_e32 v30, 0x7c01
	s_mov_b32 s42, exec_lo
	v_cmpx_ne_u32_e32 0x7f, v32
	s_cbranch_execz .LBB271_48
; %bb.45:                               ;   in Loop: Header=BB271_10 Depth=1
	v_and_b32_e32 v30, 7, v3
	v_lshrrev_b32_e32 v31, 3, v32
	s_mov_b32 s43, exec_lo
	v_cmpx_gt_u32_e32 8, v32
; %bb.46:                               ;   in Loop: Header=BB271_10 Depth=1
	v_ffbh_u32_e32 v30, v30
	v_min_u32_e32 v32, 32, v30
	v_subrev_nc_u32_e32 v30, 28, v32
	v_lshlrev_b64 v[30:31], v30, v[3:4]
	v_sub_nc_u32_e32 v31, 29, v32
	v_and_b32_e32 v30, 7, v30
; %bb.47:                               ;   in Loop: Header=BB271_10 Depth=1
	s_or_b32 exec_lo, exec_lo, s43
	v_lshlrev_b32_e32 v32, 8, v3
	v_lshl_add_u32 v31, v31, 10, 0x2000
	v_lshlrev_b32_e32 v30, 7, v30
	v_and_b32_e32 v32, 0x8000, v32
	v_and_b32_e32 v31, 0xfc00, v31
	v_or3_b32 v30, v32, v31, v30
.LBB271_48:                             ;   in Loop: Header=BB271_10 Depth=1
	s_or_b32 exec_lo, exec_lo, s42
.LBB271_49:                             ;   in Loop: Header=BB271_10 Depth=1
	s_or_b32 exec_lo, exec_lo, s41
.LBB271_50:                             ;   in Loop: Header=BB271_10 Depth=1
	s_or_b32 exec_lo, exec_lo, s4
	v_lshrrev_b16 v3, 8, v3
	s_mov_b32 s4, exec_lo
	v_cmpx_ne_u16_e32 0, v3
	s_cbranch_execz .LBB271_58
; %bb.51:                               ;   in Loop: Header=BB271_10 Depth=1
	v_bfrev_b32_e32 v29, 1
	s_mov_b32 s41, exec_lo
	v_cmpx_ne_u16_e32 0x80, v3
	s_cbranch_execz .LBB271_57
; %bb.52:                               ;   in Loop: Header=BB271_10 Depth=1
	v_and_b32_sdwa v32, v3, v20 dst_sel:DWORD dst_unused:UNUSED_PAD src0_sel:WORD_0 src1_sel:DWORD
	v_mov_b32_e32 v29, 0x7c010000
	s_mov_b32 s42, exec_lo
	v_cmpx_ne_u32_e32 0x7f, v32
	s_cbranch_execz .LBB271_56
; %bb.53:                               ;   in Loop: Header=BB271_10 Depth=1
	v_and_b32_sdwa v29, v3, v21 dst_sel:DWORD dst_unused:UNUSED_PAD src0_sel:WORD_0 src1_sel:DWORD
	v_lshrrev_b32_e32 v31, 3, v32
	s_mov_b32 s43, exec_lo
	v_cmpx_gt_u32_e32 8, v32
; %bb.54:                               ;   in Loop: Header=BB271_10 Depth=1
	v_ffbh_u32_e32 v29, v29
	v_min_u32_e32 v29, 32, v29
	v_subrev_nc_u32_e32 v31, 28, v29
	v_lshlrev_b64 v[32:33], v31, v[3:4]
	v_sub_nc_u32_e32 v31, 29, v29
	v_and_b32_e32 v29, 7, v32
; %bb.55:                               ;   in Loop: Header=BB271_10 Depth=1
	s_or_b32 exec_lo, exec_lo, s43
	v_lshlrev_b32_sdwa v3, v22, v3 dst_sel:DWORD dst_unused:UNUSED_PAD src0_sel:DWORD src1_sel:WORD_0
	v_lshl_add_u32 v31, v31, 10, 0x2000
	v_lshlrev_b32_e32 v29, 23, v29
	v_and_or_b32 v3, 0x8000, v3, v31
	v_lshl_or_b32 v29, v3, 16, v29
.LBB271_56:                             ;   in Loop: Header=BB271_10 Depth=1
	s_or_b32 exec_lo, exec_lo, s42
.LBB271_57:                             ;   in Loop: Header=BB271_10 Depth=1
	s_or_b32 exec_lo, exec_lo, s41
.LBB271_58:                             ;   in Loop: Header=BB271_10 Depth=1
	s_or_b32 exec_lo, exec_lo, s4
	global_load_ushort v32, v[9:10], off offset:136
	v_mov_b32_e32 v31, 0
	s_waitcnt vmcnt(0)
	v_and_b32_e32 v3, 0xffff, v32
	v_cmp_ne_u16_sdwa s3, v32, v4 src0_sel:BYTE_0 src1_sel:DWORD
	v_mov_b32_e32 v32, 0
	s_and_saveexec_b32 s4, s3
	s_cbranch_execz .LBB271_66
; %bb.59:                               ;   in Loop: Header=BB271_10 Depth=1
	v_cmp_ne_u16_sdwa s3, v3, v19 src0_sel:BYTE_0 src1_sel:DWORD
	v_mov_b32_e32 v32, 0x8000
	s_and_saveexec_b32 s41, s3
	s_cbranch_execz .LBB271_65
; %bb.60:                               ;   in Loop: Header=BB271_10 Depth=1
	v_and_b32_e32 v34, 0x7f, v3
	v_mov_b32_e32 v32, 0x7c01
	s_mov_b32 s42, exec_lo
	v_cmpx_ne_u32_e32 0x7f, v34
	s_cbranch_execz .LBB271_64
; %bb.61:                               ;   in Loop: Header=BB271_10 Depth=1
	v_and_b32_e32 v32, 7, v3
	v_lshrrev_b32_e32 v33, 3, v34
	s_mov_b32 s43, exec_lo
	v_cmpx_gt_u32_e32 8, v34
; %bb.62:                               ;   in Loop: Header=BB271_10 Depth=1
	v_ffbh_u32_e32 v32, v32
	v_min_u32_e32 v34, 32, v32
	v_subrev_nc_u32_e32 v32, 28, v34
	v_lshlrev_b64 v[32:33], v32, v[3:4]
	v_sub_nc_u32_e32 v33, 29, v34
	v_and_b32_e32 v32, 7, v32
; %bb.63:                               ;   in Loop: Header=BB271_10 Depth=1
	s_or_b32 exec_lo, exec_lo, s43
	v_lshlrev_b32_e32 v34, 8, v3
	v_lshl_add_u32 v33, v33, 10, 0x2000
	v_lshlrev_b32_e32 v32, 7, v32
	v_and_b32_e32 v34, 0x8000, v34
	v_and_b32_e32 v33, 0xfc00, v33
	v_or3_b32 v32, v34, v33, v32
.LBB271_64:                             ;   in Loop: Header=BB271_10 Depth=1
	s_or_b32 exec_lo, exec_lo, s42
.LBB271_65:                             ;   in Loop: Header=BB271_10 Depth=1
	s_or_b32 exec_lo, exec_lo, s41
.LBB271_66:                             ;   in Loop: Header=BB271_10 Depth=1
	s_or_b32 exec_lo, exec_lo, s4
	v_lshrrev_b16 v3, 8, v3
	s_mov_b32 s4, exec_lo
	v_cmpx_ne_u16_e32 0, v3
	s_cbranch_execz .LBB271_74
; %bb.67:                               ;   in Loop: Header=BB271_10 Depth=1
	v_bfrev_b32_e32 v31, 1
	s_mov_b32 s41, exec_lo
	v_cmpx_ne_u16_e32 0x80, v3
	s_cbranch_execz .LBB271_73
; %bb.68:                               ;   in Loop: Header=BB271_10 Depth=1
	v_and_b32_sdwa v34, v3, v20 dst_sel:DWORD dst_unused:UNUSED_PAD src0_sel:WORD_0 src1_sel:DWORD
	v_mov_b32_e32 v31, 0x7c010000
	s_mov_b32 s42, exec_lo
	v_cmpx_ne_u32_e32 0x7f, v34
	s_cbranch_execz .LBB271_72
; %bb.69:                               ;   in Loop: Header=BB271_10 Depth=1
	v_and_b32_sdwa v31, v3, v21 dst_sel:DWORD dst_unused:UNUSED_PAD src0_sel:WORD_0 src1_sel:DWORD
	v_lshrrev_b32_e32 v33, 3, v34
	s_mov_b32 s43, exec_lo
	v_cmpx_gt_u32_e32 8, v34
; %bb.70:                               ;   in Loop: Header=BB271_10 Depth=1
	v_ffbh_u32_e32 v31, v31
	v_min_u32_e32 v31, 32, v31
	v_subrev_nc_u32_e32 v33, 28, v31
	v_lshlrev_b64 v[34:35], v33, v[3:4]
	v_sub_nc_u32_e32 v33, 29, v31
	v_and_b32_e32 v31, 7, v34
; %bb.71:                               ;   in Loop: Header=BB271_10 Depth=1
	s_or_b32 exec_lo, exec_lo, s43
	v_lshlrev_b32_sdwa v3, v22, v3 dst_sel:DWORD dst_unused:UNUSED_PAD src0_sel:DWORD src1_sel:WORD_0
	v_lshl_add_u32 v33, v33, 10, 0x2000
	v_lshlrev_b32_e32 v31, 23, v31
	v_and_or_b32 v3, 0x8000, v3, v33
	v_lshl_or_b32 v31, v3, 16, v31
.LBB271_72:                             ;   in Loop: Header=BB271_10 Depth=1
	s_or_b32 exec_lo, exec_lo, s42
.LBB271_73:                             ;   in Loop: Header=BB271_10 Depth=1
	s_or_b32 exec_lo, exec_lo, s41
.LBB271_74:                             ;   in Loop: Header=BB271_10 Depth=1
	s_or_b32 exec_lo, exec_lo, s4
	global_load_ushort v34, v[9:10], off offset:256
	v_mov_b32_e32 v33, 0
	s_waitcnt vmcnt(0)
	v_and_b32_e32 v3, 0xffff, v34
	v_cmp_ne_u16_sdwa s3, v34, v4 src0_sel:BYTE_0 src1_sel:DWORD
	v_mov_b32_e32 v34, 0
	s_and_saveexec_b32 s4, s3
	s_cbranch_execz .LBB271_82
; %bb.75:                               ;   in Loop: Header=BB271_10 Depth=1
	v_cmp_ne_u16_sdwa s3, v3, v19 src0_sel:BYTE_0 src1_sel:DWORD
	v_mov_b32_e32 v34, 0x8000
	s_and_saveexec_b32 s41, s3
	s_cbranch_execz .LBB271_81
; %bb.76:                               ;   in Loop: Header=BB271_10 Depth=1
	v_and_b32_e32 v36, 0x7f, v3
	v_mov_b32_e32 v34, 0x7c01
	s_mov_b32 s42, exec_lo
	v_cmpx_ne_u32_e32 0x7f, v36
	s_cbranch_execz .LBB271_80
; %bb.77:                               ;   in Loop: Header=BB271_10 Depth=1
	v_and_b32_e32 v34, 7, v3
	v_lshrrev_b32_e32 v35, 3, v36
	s_mov_b32 s43, exec_lo
	v_cmpx_gt_u32_e32 8, v36
; %bb.78:                               ;   in Loop: Header=BB271_10 Depth=1
	v_ffbh_u32_e32 v34, v34
	v_min_u32_e32 v36, 32, v34
	v_subrev_nc_u32_e32 v34, 28, v36
	v_lshlrev_b64 v[34:35], v34, v[3:4]
	v_sub_nc_u32_e32 v35, 29, v36
	v_and_b32_e32 v34, 7, v34
; %bb.79:                               ;   in Loop: Header=BB271_10 Depth=1
	s_or_b32 exec_lo, exec_lo, s43
	v_lshlrev_b32_e32 v36, 8, v3
	v_lshl_add_u32 v35, v35, 10, 0x2000
	v_lshlrev_b32_e32 v34, 7, v34
	v_and_b32_e32 v36, 0x8000, v36
	v_and_b32_e32 v35, 0xfc00, v35
	v_or3_b32 v34, v36, v35, v34
.LBB271_80:                             ;   in Loop: Header=BB271_10 Depth=1
	s_or_b32 exec_lo, exec_lo, s42
.LBB271_81:                             ;   in Loop: Header=BB271_10 Depth=1
	s_or_b32 exec_lo, exec_lo, s41
.LBB271_82:                             ;   in Loop: Header=BB271_10 Depth=1
	s_or_b32 exec_lo, exec_lo, s4
	v_lshrrev_b16 v3, 8, v3
	s_mov_b32 s4, exec_lo
	v_cmpx_ne_u16_e32 0, v3
	s_cbranch_execz .LBB271_90
; %bb.83:                               ;   in Loop: Header=BB271_10 Depth=1
	v_bfrev_b32_e32 v33, 1
	s_mov_b32 s41, exec_lo
	v_cmpx_ne_u16_e32 0x80, v3
	s_cbranch_execz .LBB271_89
; %bb.84:                               ;   in Loop: Header=BB271_10 Depth=1
	v_and_b32_sdwa v36, v3, v20 dst_sel:DWORD dst_unused:UNUSED_PAD src0_sel:WORD_0 src1_sel:DWORD
	v_mov_b32_e32 v33, 0x7c010000
	s_mov_b32 s42, exec_lo
	v_cmpx_ne_u32_e32 0x7f, v36
	s_cbranch_execz .LBB271_88
; %bb.85:                               ;   in Loop: Header=BB271_10 Depth=1
	v_and_b32_sdwa v33, v3, v21 dst_sel:DWORD dst_unused:UNUSED_PAD src0_sel:WORD_0 src1_sel:DWORD
	v_lshrrev_b32_e32 v35, 3, v36
	s_mov_b32 s43, exec_lo
	v_cmpx_gt_u32_e32 8, v36
; %bb.86:                               ;   in Loop: Header=BB271_10 Depth=1
	v_ffbh_u32_e32 v33, v33
	v_min_u32_e32 v33, 32, v33
	v_subrev_nc_u32_e32 v35, 28, v33
	v_lshlrev_b64 v[36:37], v35, v[3:4]
	v_sub_nc_u32_e32 v35, 29, v33
	v_and_b32_e32 v33, 7, v36
; %bb.87:                               ;   in Loop: Header=BB271_10 Depth=1
	s_or_b32 exec_lo, exec_lo, s43
	v_lshlrev_b32_sdwa v3, v22, v3 dst_sel:DWORD dst_unused:UNUSED_PAD src0_sel:DWORD src1_sel:WORD_0
	v_lshl_add_u32 v35, v35, 10, 0x2000
	v_lshlrev_b32_e32 v33, 23, v33
	v_and_or_b32 v3, 0x8000, v3, v35
	v_lshl_or_b32 v33, v3, 16, v33
.LBB271_88:                             ;   in Loop: Header=BB271_10 Depth=1
	s_or_b32 exec_lo, exec_lo, s42
.LBB271_89:                             ;   in Loop: Header=BB271_10 Depth=1
	s_or_b32 exec_lo, exec_lo, s41
.LBB271_90:                             ;   in Loop: Header=BB271_10 Depth=1
	s_or_b32 exec_lo, exec_lo, s4
	global_load_ushort v36, v[9:10], off offset:264
	v_mov_b32_e32 v35, 0
	s_waitcnt vmcnt(0)
	v_and_b32_e32 v3, 0xffff, v36
	v_cmp_ne_u16_sdwa s3, v36, v4 src0_sel:BYTE_0 src1_sel:DWORD
	v_mov_b32_e32 v36, 0
	s_and_saveexec_b32 s4, s3
	s_cbranch_execz .LBB271_98
; %bb.91:                               ;   in Loop: Header=BB271_10 Depth=1
	v_cmp_ne_u16_sdwa s3, v3, v19 src0_sel:BYTE_0 src1_sel:DWORD
	v_mov_b32_e32 v36, 0x8000
	s_and_saveexec_b32 s41, s3
	s_cbranch_execz .LBB271_97
; %bb.92:                               ;   in Loop: Header=BB271_10 Depth=1
	v_and_b32_e32 v38, 0x7f, v3
	v_mov_b32_e32 v36, 0x7c01
	s_mov_b32 s42, exec_lo
	v_cmpx_ne_u32_e32 0x7f, v38
	s_cbranch_execz .LBB271_96
; %bb.93:                               ;   in Loop: Header=BB271_10 Depth=1
	v_and_b32_e32 v36, 7, v3
	v_lshrrev_b32_e32 v37, 3, v38
	s_mov_b32 s43, exec_lo
	v_cmpx_gt_u32_e32 8, v38
; %bb.94:                               ;   in Loop: Header=BB271_10 Depth=1
	v_ffbh_u32_e32 v36, v36
	v_min_u32_e32 v38, 32, v36
	v_subrev_nc_u32_e32 v36, 28, v38
	v_lshlrev_b64 v[36:37], v36, v[3:4]
	v_sub_nc_u32_e32 v37, 29, v38
	v_and_b32_e32 v36, 7, v36
; %bb.95:                               ;   in Loop: Header=BB271_10 Depth=1
	s_or_b32 exec_lo, exec_lo, s43
	v_lshlrev_b32_e32 v38, 8, v3
	v_lshl_add_u32 v37, v37, 10, 0x2000
	v_lshlrev_b32_e32 v36, 7, v36
	v_and_b32_e32 v38, 0x8000, v38
	v_and_b32_e32 v37, 0xfc00, v37
	v_or3_b32 v36, v38, v37, v36
.LBB271_96:                             ;   in Loop: Header=BB271_10 Depth=1
	s_or_b32 exec_lo, exec_lo, s42
.LBB271_97:                             ;   in Loop: Header=BB271_10 Depth=1
	s_or_b32 exec_lo, exec_lo, s41
.LBB271_98:                             ;   in Loop: Header=BB271_10 Depth=1
	s_or_b32 exec_lo, exec_lo, s4
	v_lshrrev_b16 v3, 8, v3
	s_mov_b32 s4, exec_lo
	v_cmpx_ne_u16_e32 0, v3
	s_cbranch_execz .LBB271_106
; %bb.99:                               ;   in Loop: Header=BB271_10 Depth=1
	v_bfrev_b32_e32 v35, 1
	s_mov_b32 s41, exec_lo
	v_cmpx_ne_u16_e32 0x80, v3
	s_cbranch_execz .LBB271_105
; %bb.100:                              ;   in Loop: Header=BB271_10 Depth=1
	v_and_b32_sdwa v38, v3, v20 dst_sel:DWORD dst_unused:UNUSED_PAD src0_sel:WORD_0 src1_sel:DWORD
	v_mov_b32_e32 v35, 0x7c010000
	s_mov_b32 s42, exec_lo
	v_cmpx_ne_u32_e32 0x7f, v38
	s_cbranch_execz .LBB271_104
; %bb.101:                              ;   in Loop: Header=BB271_10 Depth=1
	v_and_b32_sdwa v35, v3, v21 dst_sel:DWORD dst_unused:UNUSED_PAD src0_sel:WORD_0 src1_sel:DWORD
	v_lshrrev_b32_e32 v37, 3, v38
	s_mov_b32 s43, exec_lo
	v_cmpx_gt_u32_e32 8, v38
; %bb.102:                              ;   in Loop: Header=BB271_10 Depth=1
	v_ffbh_u32_e32 v35, v35
	v_min_u32_e32 v35, 32, v35
	v_subrev_nc_u32_e32 v37, 28, v35
	v_lshlrev_b64 v[38:39], v37, v[3:4]
	v_sub_nc_u32_e32 v37, 29, v35
	v_and_b32_e32 v35, 7, v38
; %bb.103:                              ;   in Loop: Header=BB271_10 Depth=1
	s_or_b32 exec_lo, exec_lo, s43
	v_lshlrev_b32_sdwa v3, v22, v3 dst_sel:DWORD dst_unused:UNUSED_PAD src0_sel:DWORD src1_sel:WORD_0
	v_lshl_add_u32 v37, v37, 10, 0x2000
	v_lshlrev_b32_e32 v35, 23, v35
	v_and_or_b32 v3, 0x8000, v3, v37
	v_lshl_or_b32 v35, v3, 16, v35
.LBB271_104:                            ;   in Loop: Header=BB271_10 Depth=1
	s_or_b32 exec_lo, exec_lo, s42
.LBB271_105:                            ;   in Loop: Header=BB271_10 Depth=1
	s_or_b32 exec_lo, exec_lo, s41
.LBB271_106:                            ;   in Loop: Header=BB271_10 Depth=1
	s_or_b32 exec_lo, exec_lo, s4
	global_load_ushort v38, v[9:10], off offset:384
	v_mov_b32_e32 v37, 0
	s_waitcnt vmcnt(0)
	v_and_b32_e32 v3, 0xffff, v38
	v_cmp_ne_u16_sdwa s3, v38, v4 src0_sel:BYTE_0 src1_sel:DWORD
	v_mov_b32_e32 v38, 0
	s_and_saveexec_b32 s4, s3
	s_cbranch_execz .LBB271_114
; %bb.107:                              ;   in Loop: Header=BB271_10 Depth=1
	v_cmp_ne_u16_sdwa s3, v3, v19 src0_sel:BYTE_0 src1_sel:DWORD
	v_mov_b32_e32 v38, 0x8000
	s_and_saveexec_b32 s41, s3
	s_cbranch_execz .LBB271_113
; %bb.108:                              ;   in Loop: Header=BB271_10 Depth=1
	v_and_b32_e32 v40, 0x7f, v3
	v_mov_b32_e32 v38, 0x7c01
	s_mov_b32 s42, exec_lo
	v_cmpx_ne_u32_e32 0x7f, v40
	s_cbranch_execz .LBB271_112
; %bb.109:                              ;   in Loop: Header=BB271_10 Depth=1
	v_and_b32_e32 v38, 7, v3
	v_lshrrev_b32_e32 v39, 3, v40
	s_mov_b32 s43, exec_lo
	v_cmpx_gt_u32_e32 8, v40
; %bb.110:                              ;   in Loop: Header=BB271_10 Depth=1
	v_ffbh_u32_e32 v38, v38
	v_min_u32_e32 v40, 32, v38
	v_subrev_nc_u32_e32 v38, 28, v40
	v_lshlrev_b64 v[38:39], v38, v[3:4]
	v_sub_nc_u32_e32 v39, 29, v40
	v_and_b32_e32 v38, 7, v38
; %bb.111:                              ;   in Loop: Header=BB271_10 Depth=1
	s_or_b32 exec_lo, exec_lo, s43
	v_lshlrev_b32_e32 v40, 8, v3
	v_lshl_add_u32 v39, v39, 10, 0x2000
	v_lshlrev_b32_e32 v38, 7, v38
	v_and_b32_e32 v40, 0x8000, v40
	v_and_b32_e32 v39, 0xfc00, v39
	v_or3_b32 v38, v40, v39, v38
.LBB271_112:                            ;   in Loop: Header=BB271_10 Depth=1
	s_or_b32 exec_lo, exec_lo, s42
.LBB271_113:                            ;   in Loop: Header=BB271_10 Depth=1
	s_or_b32 exec_lo, exec_lo, s41
.LBB271_114:                            ;   in Loop: Header=BB271_10 Depth=1
	s_or_b32 exec_lo, exec_lo, s4
	v_lshrrev_b16 v3, 8, v3
	s_mov_b32 s4, exec_lo
	v_cmpx_ne_u16_e32 0, v3
	s_cbranch_execz .LBB271_122
; %bb.115:                              ;   in Loop: Header=BB271_10 Depth=1
	v_bfrev_b32_e32 v37, 1
	s_mov_b32 s41, exec_lo
	v_cmpx_ne_u16_e32 0x80, v3
	s_cbranch_execz .LBB271_121
; %bb.116:                              ;   in Loop: Header=BB271_10 Depth=1
	v_and_b32_sdwa v40, v3, v20 dst_sel:DWORD dst_unused:UNUSED_PAD src0_sel:WORD_0 src1_sel:DWORD
	v_mov_b32_e32 v37, 0x7c010000
	s_mov_b32 s42, exec_lo
	v_cmpx_ne_u32_e32 0x7f, v40
	s_cbranch_execz .LBB271_120
; %bb.117:                              ;   in Loop: Header=BB271_10 Depth=1
	v_and_b32_sdwa v37, v3, v21 dst_sel:DWORD dst_unused:UNUSED_PAD src0_sel:WORD_0 src1_sel:DWORD
	v_lshrrev_b32_e32 v39, 3, v40
	s_mov_b32 s43, exec_lo
	v_cmpx_gt_u32_e32 8, v40
; %bb.118:                              ;   in Loop: Header=BB271_10 Depth=1
	v_ffbh_u32_e32 v37, v37
	v_min_u32_e32 v37, 32, v37
	v_subrev_nc_u32_e32 v39, 28, v37
	v_lshlrev_b64 v[40:41], v39, v[3:4]
	v_sub_nc_u32_e32 v39, 29, v37
	v_and_b32_e32 v37, 7, v40
; %bb.119:                              ;   in Loop: Header=BB271_10 Depth=1
	s_or_b32 exec_lo, exec_lo, s43
	v_lshlrev_b32_sdwa v3, v22, v3 dst_sel:DWORD dst_unused:UNUSED_PAD src0_sel:DWORD src1_sel:WORD_0
	v_lshl_add_u32 v39, v39, 10, 0x2000
	v_lshlrev_b32_e32 v37, 23, v37
	v_and_or_b32 v3, 0x8000, v3, v39
	v_lshl_or_b32 v37, v3, 16, v37
.LBB271_120:                            ;   in Loop: Header=BB271_10 Depth=1
	s_or_b32 exec_lo, exec_lo, s42
.LBB271_121:                            ;   in Loop: Header=BB271_10 Depth=1
	s_or_b32 exec_lo, exec_lo, s41
.LBB271_122:                            ;   in Loop: Header=BB271_10 Depth=1
	s_or_b32 exec_lo, exec_lo, s4
	global_load_ushort v10, v[9:10], off offset:392
	v_mov_b32_e32 v9, 0
	s_waitcnt vmcnt(0)
	v_and_b32_e32 v3, 0xffff, v10
	v_cmp_ne_u16_sdwa s3, v10, v4 src0_sel:BYTE_0 src1_sel:DWORD
	v_mov_b32_e32 v10, 0
	s_and_saveexec_b32 s4, s3
	s_cbranch_execz .LBB271_130
; %bb.123:                              ;   in Loop: Header=BB271_10 Depth=1
	v_cmp_ne_u16_sdwa s3, v3, v19 src0_sel:BYTE_0 src1_sel:DWORD
	v_mov_b32_e32 v10, 0x8000
	s_and_saveexec_b32 s41, s3
	s_cbranch_execz .LBB271_129
; %bb.124:                              ;   in Loop: Header=BB271_10 Depth=1
	v_and_b32_e32 v40, 0x7f, v3
	v_mov_b32_e32 v10, 0x7c01
	s_mov_b32 s42, exec_lo
	v_cmpx_ne_u32_e32 0x7f, v40
	s_cbranch_execz .LBB271_128
; %bb.125:                              ;   in Loop: Header=BB271_10 Depth=1
	v_and_b32_e32 v10, 7, v3
	v_lshrrev_b32_e32 v39, 3, v40
	s_mov_b32 s43, exec_lo
	v_cmpx_gt_u32_e32 8, v40
; %bb.126:                              ;   in Loop: Header=BB271_10 Depth=1
	v_ffbh_u32_e32 v10, v10
	v_min_u32_e32 v10, 32, v10
	v_subrev_nc_u32_e32 v39, 28, v10
	v_lshlrev_b64 v[40:41], v39, v[3:4]
	v_sub_nc_u32_e32 v39, 29, v10
	v_and_b32_e32 v10, 7, v40
; %bb.127:                              ;   in Loop: Header=BB271_10 Depth=1
	s_or_b32 exec_lo, exec_lo, s43
	v_lshlrev_b32_e32 v40, 8, v3
	v_lshl_add_u32 v39, v39, 10, 0x2000
	v_lshlrev_b32_e32 v10, 7, v10
	v_and_b32_e32 v40, 0x8000, v40
	v_and_b32_e32 v39, 0xfc00, v39
	v_or3_b32 v10, v40, v39, v10
.LBB271_128:                            ;   in Loop: Header=BB271_10 Depth=1
	s_or_b32 exec_lo, exec_lo, s42
.LBB271_129:                            ;   in Loop: Header=BB271_10 Depth=1
	s_or_b32 exec_lo, exec_lo, s41
.LBB271_130:                            ;   in Loop: Header=BB271_10 Depth=1
	s_or_b32 exec_lo, exec_lo, s4
	v_lshrrev_b16 v3, 8, v3
	s_mov_b32 s4, exec_lo
	v_cmpx_ne_u16_e32 0, v3
	s_cbranch_execz .LBB271_138
; %bb.131:                              ;   in Loop: Header=BB271_10 Depth=1
	v_bfrev_b32_e32 v9, 1
	s_mov_b32 s41, exec_lo
	v_cmpx_ne_u16_e32 0x80, v3
	s_cbranch_execz .LBB271_137
; %bb.132:                              ;   in Loop: Header=BB271_10 Depth=1
	v_and_b32_sdwa v40, v3, v20 dst_sel:DWORD dst_unused:UNUSED_PAD src0_sel:WORD_0 src1_sel:DWORD
	v_mov_b32_e32 v9, 0x7c010000
	s_mov_b32 s42, exec_lo
	v_cmpx_ne_u32_e32 0x7f, v40
	s_cbranch_execz .LBB271_136
; %bb.133:                              ;   in Loop: Header=BB271_10 Depth=1
	v_and_b32_sdwa v9, v3, v21 dst_sel:DWORD dst_unused:UNUSED_PAD src0_sel:WORD_0 src1_sel:DWORD
	v_lshrrev_b32_e32 v39, 3, v40
	s_mov_b32 s43, exec_lo
	v_cmpx_gt_u32_e32 8, v40
; %bb.134:                              ;   in Loop: Header=BB271_10 Depth=1
	v_ffbh_u32_e32 v9, v9
	v_min_u32_e32 v9, 32, v9
	v_subrev_nc_u32_e32 v39, 28, v9
	v_lshlrev_b64 v[40:41], v39, v[3:4]
	v_sub_nc_u32_e32 v39, 29, v9
	v_and_b32_e32 v9, 7, v40
; %bb.135:                              ;   in Loop: Header=BB271_10 Depth=1
	s_or_b32 exec_lo, exec_lo, s43
	v_lshlrev_b32_sdwa v3, v22, v3 dst_sel:DWORD dst_unused:UNUSED_PAD src0_sel:DWORD src1_sel:WORD_0
	v_lshl_add_u32 v39, v39, 10, 0x2000
	v_lshlrev_b32_e32 v9, 23, v9
	v_and_or_b32 v3, 0x8000, v3, v39
	v_lshl_or_b32 v9, v3, 16, v9
.LBB271_136:                            ;   in Loop: Header=BB271_10 Depth=1
	s_or_b32 exec_lo, exec_lo, s42
.LBB271_137:                            ;   in Loop: Header=BB271_10 Depth=1
	s_or_b32 exec_lo, exec_lo, s41
.LBB271_138:                            ;   in Loop: Header=BB271_10 Depth=1
	s_or_b32 exec_lo, exec_lo, s4
	ds_read_b32 v3, v16
	v_or_b32_e32 v25, v26, v25
	v_fma_mixlo_f16 v26, v24, v26, 0 op_sel:[0,1,0] op_sel_hi:[0,1,0]
	v_or_b32_e32 v28, v27, v28
	v_fma_mixlo_f16 v27, v24, v27, 0 op_sel:[0,1,0] op_sel_hi:[0,1,0]
	v_or_b32_e32 v30, v29, v30
	v_fma_mixlo_f16 v25, v24, v25, 0 op_sel_hi:[0,1,0]
	v_and_b32_e32 v42, 0xffff, v26
	v_fma_mixlo_f16 v28, v24, v28, 0 op_sel_hi:[0,1,0]
	v_and_b32_e32 v43, 0xffff, v27
	v_fma_mixlo_f16 v30, v24, v30, 0 op_sel_hi:[0,1,0]
	v_and_b32_e32 v41, 0xffff, v25
	v_fma_mixlo_f16 v29, v24, v29, 0 op_sel:[0,1,0] op_sel_hi:[0,1,0]
	v_or_b32_e32 v32, v31, v32
	v_fma_mixlo_f16 v31, v24, v31, 0 op_sel:[0,1,0] op_sel_hi:[0,1,0]
	v_and_b32_e32 v44, 0xffff, v30
	v_or_b32_e32 v34, v33, v34
	v_and_b32_e32 v45, 0xffff, v29
	v_fma_mixlo_f16 v32, v24, v32, 0 op_sel_hi:[0,1,0]
	v_and_b32_e32 v47, 0xffff, v31
	s_waitcnt lgkmcnt(0)
	v_and_b32_e32 v39, 0xffff, v3
	v_lshrrev_b32_e32 v40, 16, v3
	;;#ASMSTART
	v_cvt_f32_f16 v3, v39;
	;;#ASMEND
	;;#ASMSTART
	v_cvt_f32_f16 v25, v40;
	;;#ASMEND
	;; [unrolled: 3-line block ×4, first 2 shown]
	ds_read_b32 v40, v16 offset:4
	v_and_b32_e32 v42, 0xffff, v28
	v_and_b32_e32 v46, 0xffff, v32
	v_fma_mixlo_f16 v34, v24, v34, 0 op_sel_hi:[0,1,0]
	v_fma_mixlo_f16 v33, v24, v33, 0 op_sel:[0,1,0] op_sel_hi:[0,1,0]
	v_or_b32_e32 v36, v35, v36
	v_fma_mixlo_f16 v35, v24, v35, 0 op_sel:[0,1,0] op_sel_hi:[0,1,0]
	v_or_b32_e32 v38, v37, v38
	v_and_b32_e32 v48, 0xffff, v34
	v_and_b32_e32 v49, 0xffff, v33
	v_fma_mixlo_f16 v36, v24, v36, 0 op_sel_hi:[0,1,0]
	v_and_b32_e32 v51, 0xffff, v35
	v_fma_mixlo_f16 v37, v24, v37, 0 op_sel:[0,1,0] op_sel_hi:[0,1,0]
	v_fma_mixlo_f16 v38, v24, v38, 0 op_sel_hi:[0,1,0]
	v_or_b32_e32 v10, v9, v10
	v_and_b32_e32 v50, 0xffff, v36
	v_fma_mixlo_f16 v9, v24, v9, 0 op_sel:[0,1,0] op_sel_hi:[0,1,0]
	v_and_b32_e32 v37, 0xffff, v37
	v_and_b32_e32 v38, 0xffff, v38
	v_fma_mixlo_f16 v10, v24, v10, 0 op_sel_hi:[0,1,0]
	s_waitcnt lgkmcnt(0)
	v_and_b32_e32 v41, 0xffff, v40
	v_lshrrev_b32_e32 v40, 16, v40
	;;#ASMSTART
	v_cvt_f32_f16 v27, v41;
	;;#ASMEND
	;;#ASMSTART
	v_cvt_f32_f16 v28, v40;
	;;#ASMEND
	;; [unrolled: 3-line block ×4, first 2 shown]
	ds_read_b32 v42, v16 offset:8
	v_mul_f32_e32 v27, v27, v40
	v_mul_f32_e32 v28, v28, v41
	v_fmac_f32_e32 v27, v3, v26
	v_fmac_f32_e32 v28, v25, v39
	s_waitcnt lgkmcnt(0)
	v_and_b32_e32 v43, 0xffff, v42
	v_lshrrev_b32_e32 v42, 16, v42
	;;#ASMSTART
	v_cvt_f32_f16 v29, v43;
	;;#ASMEND
	;;#ASMSTART
	v_cvt_f32_f16 v30, v42;
	;;#ASMEND
	;; [unrolled: 3-line block ×4, first 2 shown]
	ds_read_b32 v44, v16 offset:12
	v_fmac_f32_e32 v27, v29, v42
	v_fmac_f32_e32 v28, v30, v43
	v_xor_b32_e32 v29, 2, v13
	v_and_b32_e32 v30, 0xffff, v9
	v_cmp_gt_i32_e64 s3, 32, v29
	v_cndmask_b32_e64 v9, v13, v29, s3
	s_waitcnt lgkmcnt(0)
	v_and_b32_e32 v45, 0xffff, v44
	v_lshrrev_b32_e32 v44, 16, v44
	;;#ASMSTART
	v_cvt_f32_f16 v31, v45;
	;;#ASMEND
	;;#ASMSTART
	v_cvt_f32_f16 v32, v44;
	;;#ASMEND
	;; [unrolled: 3-line block ×4, first 2 shown]
	ds_read_b32 v46, v16 offset:16
	v_fmac_f32_e32 v27, v31, v44
	v_fmac_f32_e32 v28, v32, v45
	v_and_b32_e32 v31, 0xffff, v10
	s_waitcnt lgkmcnt(0)
	v_and_b32_e32 v47, 0xffff, v46
	v_lshrrev_b32_e32 v46, 16, v46
	;;#ASMSTART
	v_cvt_f32_f16 v33, v47;
	;;#ASMEND
	;;#ASMSTART
	v_cvt_f32_f16 v34, v46;
	;;#ASMEND
	;;#ASMSTART
	v_cvt_f32_f16 v46, v48;
	;;#ASMEND
	;;#ASMSTART
	v_cvt_f32_f16 v47, v49;
	;;#ASMEND
	ds_read_b32 v48, v16 offset:20
	v_fmac_f32_e32 v27, v33, v46
	v_fmac_f32_e32 v28, v34, v47
	s_waitcnt lgkmcnt(0)
	v_and_b32_e32 v49, 0xffff, v48
	v_lshrrev_b32_e32 v48, 16, v48
	;;#ASMSTART
	v_cvt_f32_f16 v35, v49;
	;;#ASMEND
	;;#ASMSTART
	v_cvt_f32_f16 v36, v48;
	;;#ASMEND
	;;#ASMSTART
	v_cvt_f32_f16 v48, v50;
	;;#ASMEND
	;;#ASMSTART
	v_cvt_f32_f16 v49, v51;
	;;#ASMEND
	ds_read_b32 v50, v16 offset:24
	v_fmac_f32_e32 v27, v35, v48
	v_fmac_f32_e32 v28, v36, v49
	s_waitcnt lgkmcnt(0)
	v_and_b32_e32 v40, 0xffff, v50
	v_lshrrev_b32_e32 v41, 16, v50
	;;#ASMSTART
	v_cvt_f32_f16 v3, v40;
	;;#ASMEND
	;;#ASMSTART
	v_cvt_f32_f16 v25, v41;
	;;#ASMEND
	;;#ASMSTART
	v_cvt_f32_f16 v26, v38;
	;;#ASMEND
	;;#ASMSTART
	v_cvt_f32_f16 v37, v37;
	;;#ASMEND
	ds_read_b32 v38, v16 offset:28
	v_fmac_f32_e32 v27, v3, v26
	v_fmac_f32_e32 v28, v25, v37
	s_waitcnt lgkmcnt(0)
	v_and_b32_e32 v24, 0xffff, v38
	v_lshrrev_b32_e32 v29, 16, v38
	;;#ASMSTART
	v_cvt_f32_f16 v3, v24;
	;;#ASMEND
	;;#ASMSTART
	v_cvt_f32_f16 v10, v29;
	;;#ASMEND
	;; [unrolled: 3-line block ×4, first 2 shown]
	v_fmac_f32_e32 v27, v3, v24
	v_fmac_f32_e32 v28, v10, v25
	v_lshlrev_b32_e32 v3, 2, v9
	v_xor_b32_e32 v10, 1, v13
	v_add_f32_e32 v9, v27, v28
	v_cmp_gt_i32_e64 s3, 32, v10
	ds_bpermute_b32 v3, v3, v9
	v_cndmask_b32_e64 v10, v13, v10, s3
	s_waitcnt lgkmcnt(0)
	v_add_f32_e32 v3, v9, v3
	v_lshlrev_b32_e32 v9, 2, v10
	ds_bpermute_b32 v9, v9, v3
	s_and_saveexec_b32 s4, vcc_lo
	s_cbranch_execz .LBB271_9
; %bb.139:                              ;   in Loop: Header=BB271_10 Depth=1
	v_add_nc_u32_e32 v10, s5, v17
	s_waitcnt lgkmcnt(0)
	v_add_f32_e32 v3, v3, v9
	v_cmp_gt_i32_e64 s3, s27, v17
	v_cvt_f32_i32_e32 v10, v10
	v_mul_f32_e32 v10, s36, v10
	v_cndmask_b32_e64 v9, 0, v10, s2
	v_max_f32_e32 v10, v14, v14
	v_fmac_f32_e32 v9, s37, v3
	v_max_f32_e32 v3, v10, v9
	v_cndmask_b32_e64 v9, 0, v9, s3
	v_cndmask_b32_e64 v14, v14, v3, s3
	ds_write_b32 v18, v9
	s_branch .LBB271_9
.LBB271_140:
	s_or_b32 exec_lo, exec_lo, s39
.LBB271_141:
	s_or_b32 exec_lo, exec_lo, s38
	v_xor_b32_e32 v3, 16, v13
	v_xor_b32_e32 v6, 8, v13
	v_max_f32_e32 v7, v14, v14
	v_xor_b32_e32 v8, 4, v13
	v_cmp_lt_i32_e32 vcc_lo, v3, v15
	v_cndmask_b32_e32 v3, v13, v3, vcc_lo
	v_cmp_lt_i32_e32 vcc_lo, v6, v15
	v_lshlrev_b32_e32 v5, 2, v3
	v_cndmask_b32_e32 v6, v13, v6, vcc_lo
	v_cmp_lt_i32_e32 vcc_lo, v8, v15
	ds_bpermute_b32 v3, v5, v14
	v_lshlrev_b32_e32 v6, 2, v6
	v_cndmask_b32_e32 v8, v13, v8, vcc_lo
	v_and_b32_e32 v14, 31, v0
	s_waitcnt lgkmcnt(0)
	v_lshlrev_b32_e32 v9, 2, v8
	v_cmp_eq_u32_e32 vcc_lo, 0, v14
	v_max_f32_e32 v3, v3, v3
	v_max_f32_e32 v3, v7, v3
	ds_bpermute_b32 v7, v6, v3
	s_waitcnt lgkmcnt(0)
	v_max_f32_e32 v7, v7, v7
	v_max_f32_e32 v3, v3, v7
	v_lshlrev_b32_e32 v7, 2, v12
	ds_bpermute_b32 v8, v9, v3
	s_and_saveexec_b32 s2, vcc_lo
	s_cbranch_execz .LBB271_143
; %bb.142:
	s_waitcnt lgkmcnt(0)
	v_max_f32_e32 v8, v8, v8
	v_max_f32_e32 v3, v3, v3
	;; [unrolled: 1-line block ×3, first 2 shown]
	ds_write_b32 v7, v3 offset:128
.LBB271_143:
	s_or_b32 exec_lo, exec_lo, s2
	v_cmp_gt_u32_e64 s2, 4, v14
	v_mov_b32_e32 v3, 0xff7fffff
	s_waitcnt lgkmcnt(0)
	v_lshlrev_b32_e32 v8, 2, v14
	s_barrier
	buffer_gl0_inv
	s_and_saveexec_b32 s3, s2
; %bb.144:
	ds_read_b32 v3, v8 offset:128
; %bb.145:
	s_or_b32 exec_lo, exec_lo, s3
	v_xor_b32_e32 v10, 2, v13
	v_xor_b32_e32 v17, 1, v13
	v_lshlrev_b32_e32 v4, 2, v4
	v_cmp_lt_i32_e64 s3, v10, v15
	v_cndmask_b32_e64 v10, v13, v10, s3
	v_cmp_lt_i32_e64 s3, v17, v15
	v_lshlrev_b32_e32 v10, 2, v10
	v_cndmask_b32_e64 v15, v13, v17, s3
	s_sub_i32 s3, s11, s16
	s_lshl_b32 s3, s3, 3
	s_waitcnt lgkmcnt(0)
	ds_bpermute_b32 v16, v10, v3
	v_max_f32_e32 v3, v3, v3
	v_lshlrev_b32_e32 v15, 2, v15
	s_add_i32 s3, s3, s33
	s_min_i32 s3, s3, s27
	s_sub_i32 s5, s3, s33
	v_cmp_gt_i32_e64 s3, s5, v0
	s_waitcnt lgkmcnt(0)
	v_max_f32_e32 v16, v16, v16
	v_max_f32_e32 v3, v3, v16
	ds_bpermute_b32 v16, v15, v3
	s_waitcnt lgkmcnt(0)
	v_max_f32_e32 v16, v16, v16
	v_max_f32_e32 v3, v3, v16
	v_mov_b32_e32 v16, 0
	ds_bpermute_b32 v3, v4, v3
	v_lshl_add_u32 v4, v0, 2, 0xa0
	s_and_saveexec_b32 s12, s3
	s_cbranch_execz .LBB271_149
; %bb.146:
	v_lshl_add_u32 v17, v0, 2, 0xa0
	v_mov_b32_e32 v16, 0
	v_mov_b32_e32 v18, v0
	s_mov_b32 s13, 0
	.p2align	6
.LBB271_147:                            ; =>This Inner Loop Header: Depth=1
	ds_read_b32 v19, v17
	v_add_nc_u32_e32 v18, 0x80, v18
	v_cmp_le_i32_e64 s4, s5, v18
	s_or_b32 s13, s4, s13
	s_waitcnt lgkmcnt(0)
	v_sub_f32_e32 v19, v19, v3
	v_mul_f32_e32 v19, 0x3fb8aa3b, v19
	v_exp_f32_e32 v19, v19
	ds_write_b32 v17, v19
	v_add_f32_e32 v16, v16, v19
	v_add_nc_u32_e32 v17, 0x200, v17
	s_andn2_b32 exec_lo, exec_lo, s13
	s_cbranch_execnz .LBB271_147
; %bb.148:
	s_or_b32 exec_lo, exec_lo, s13
.LBB271_149:
	s_or_b32 exec_lo, exec_lo, s12
	ds_bpermute_b32 v5, v5, v16
	s_waitcnt lgkmcnt(0)
	v_add_f32_e32 v5, v16, v5
	ds_bpermute_b32 v6, v6, v5
	s_waitcnt lgkmcnt(0)
	v_add_f32_e32 v5, v5, v6
	;; [unrolled: 3-line block ×5, first 2 shown]
	s_and_saveexec_b32 s4, vcc_lo
; %bb.150:
	ds_write_b32 v7, v5 offset:144
; %bb.151:
	s_or_b32 exec_lo, exec_lo, s4
	s_waitcnt lgkmcnt(0)
	s_barrier
	buffer_gl0_inv
	s_and_saveexec_b32 s4, s2
; %bb.152:
	ds_read_b32 v5, v8 offset:144
; %bb.153:
	s_or_b32 exec_lo, exec_lo, s4
	s_waitcnt lgkmcnt(0)
	ds_bpermute_b32 v6, v10, v5
	v_lshlrev_b32_e32 v7, 2, v13
	s_waitcnt lgkmcnt(0)
	v_add_f32_e32 v5, v5, v6
	ds_bpermute_b32 v6, v15, v5
	s_waitcnt lgkmcnt(0)
	v_add_f32_e32 v5, v5, v6
	v_and_b32_e32 v6, 0xffffff80, v7
	ds_bpermute_b32 v5, v6, v5
	s_and_saveexec_b32 s2, s3
	s_cbranch_execz .LBB271_156
; %bb.154:
	s_waitcnt lgkmcnt(0)
	v_add_f32_e32 v6, 0x358637bd, v5
	s_mov_b32 s3, 0
	v_div_scale_f32 v7, null, v6, v6, 1.0
	v_div_scale_f32 v10, vcc_lo, 1.0, v6, 1.0
	v_rcp_f32_e32 v8, v7
	v_fma_f32 v9, -v7, v8, 1.0
	v_fmac_f32_e32 v8, v9, v8
	v_mul_f32_e32 v9, v10, v8
	v_fma_f32 v13, -v7, v9, v10
	v_fmac_f32_e32 v9, v13, v8
	v_fma_f32 v7, -v7, v9, v10
	v_div_fmas_f32 v7, v7, v8, v9
	v_div_fixup_f32 v6, v7, v6, 1.0
	v_mov_b32_e32 v7, v0
.LBB271_155:                            ; =>This Inner Loop Header: Depth=1
	ds_read_b32 v8, v4
	v_add_nc_u32_e32 v7, 0x80, v7
	v_cmp_le_i32_e32 vcc_lo, s5, v7
	s_or_b32 s3, vcc_lo, s3
	s_waitcnt lgkmcnt(0)
	v_mul_f32_e32 v8, v6, v8
	ds_write_b32 v4, v8
	v_add_nc_u32_e32 v4, 0x200, v4
	s_andn2_b32 exec_lo, exec_lo, s3
	s_cbranch_execnz .LBB271_155
.LBB271_156:
	s_or_b32 exec_lo, exec_lo, s2
	s_mul_i32 s2, s7, s26
	s_mov_b32 s4, exec_lo
	s_mul_i32 s2, s2, s9
	s_waitcnt lgkmcnt(0)
	s_barrier
	buffer_gl0_inv
	v_cmpx_eq_u32_e32 0, v0
	s_cbranch_execz .LBB271_158
; %bb.157:
	s_ashr_i32 s3, s2, 31
	s_mul_i32 s36, s7, s6
	s_lshl_b64 s[12:13], s[2:3], 2
	v_mov_b32_e32 v4, 0
	s_add_u32 s3, s22, s12
	s_addc_u32 s5, s23, s13
	s_ashr_i32 s37, s36, 31
	s_lshl_b64 s[22:23], s[36:37], 2
	s_add_u32 s3, s3, s22
	s_addc_u32 s5, s5, s23
	s_ashr_i32 s9, s8, 31
	s_lshl_b64 s[8:9], s[8:9], 2
	s_add_u32 s36, s3, s8
	s_addc_u32 s37, s5, s9
	s_add_u32 s3, s20, s12
	s_addc_u32 s5, s21, s13
	s_add_u32 s3, s3, s22
	s_addc_u32 s5, s5, s23
	s_add_u32 s8, s3, s8
	s_addc_u32 s9, s5, s9
	global_store_dword v4, v3, s[36:37]
	global_store_dword v4, v5, s[8:9]
.LBB271_158:
	s_or_b32 exec_lo, exec_lo, s4
	v_mov_b32_e32 v15, 0
	v_mov_b32_e32 v13, 0
	s_and_saveexec_b32 s3, s1
	s_cbranch_execz .LBB271_294
; %bb.159:
	v_lshlrev_b32_e32 v4, 3, v14
	s_ashr_i32 s1, s18, 31
	s_add_u32 s4, s34, s18
	s_addc_u32 s1, s35, s1
	v_lshlrev_b64 v[6:7], 2, v[1:2]
	v_add_co_u32 v4, s4, s4, v4
	v_add_co_ci_u32_e64 v5, null, s1, 0, s4
	s_lshl_b64 s[4:5], s[30:31], 2
	s_add_i32 s19, s19, -1
	s_add_u32 s1, s28, s4
	s_addc_u32 s4, s29, s5
	v_add_co_u32 v6, vcc_lo, s1, v6
	v_mov_b32_e32 v3, 0
	v_add3_u32 v16, s33, v11, 7
	v_lshl_add_u32 v17, v12, 5, 0xa0
	v_add_co_ci_u32_e64 v7, null, s4, v7, vcc_lo
	v_mov_b32_e32 v18, 0x80
	v_mov_b32_e32 v19, 0x7f
	;; [unrolled: 1-line block ×6, first 2 shown]
	s_mov_b32 s4, -1
	s_mov_b32 s6, s17
	s_mov_b32 s5, 0xffffff
	;; [unrolled: 1-line block ×3, first 2 shown]
	s_branch .LBB271_161
.LBB271_160:                            ;   in Loop: Header=BB271_161 Depth=1
	s_or_b32 exec_lo, exec_lo, s1
	;;#ASMSTART
	v_pk_mul_f16 v2, v32, v39;

	;;#ASMEND
	;;#ASMSTART
	v_pk_mul_f16 v8, v29, v35;

	;;#ASMEND
	;; [unrolled: 4-line block ×4, first 2 shown]
	;;#ASMSTART
	v_pk_add_f16 v2, v2, v8;

	;;#ASMEND
	;;#ASMSTART
	v_pk_add_f16 v2, v2, v9;

	;;#ASMEND
	;; [unrolled: 4-line block ×3, first 2 shown]
	v_and_b32_e32 v8, 0xffff, v2
	v_add_nc_u32_e32 v1, 4, v1
	v_lshrrev_b32_e32 v9, 16, v2
	;;#ASMSTART
	v_cvt_f32_f16 v8, v8;
	;;#ASMEND
	v_add_f32_e32 v2, v30, v31
	;;#ASMSTART
	v_cvt_f32_f16 v9, v9;
	;;#ASMEND
	v_add_f32_e32 v8, v8, v9
	v_cmp_le_i32_e32 vcc_lo, s11, v1
	v_add_co_u32 v6, s1, v6, 16
	v_add_f32_e32 v15, v15, v2
	v_add_f32_e32 v13, v13, v8
	v_add_nc_u32_e32 v16, 32, v16
	v_add_nc_u32_e32 v17, 0x80, v17
	v_add_co_ci_u32_e64 v7, null, 0, v7, s1
	s_or_b32 s8, vcc_lo, s8
	s_andn2_b32 exec_lo, exec_lo, s8
	s_cbranch_execz .LBB271_293
.LBB271_161:                            ; =>This Inner Loop Header: Depth=1
	global_load_dword v2, v[6:7], off
	ds_read2_b64 v[22:25], v17 offset1:1
	ds_read2_b64 v[33:36], v17 offset0:2 offset1:3
	s_waitcnt lgkmcnt(1)
	;;#ASMSTART
	v_cvt_f16_f32 v27, v22;

	;;#ASMEND
	;;#ASMSTART
	v_cvt_f16_f32 v28, v23;

	;;#ASMEND
	;; [unrolled: 4-line block ×4, first 2 shown]
	s_waitcnt lgkmcnt(0)
	;;#ASMSTART
	v_cvt_f16_f32 v33, v33;

	;;#ASMEND
	;;#ASMSTART
	v_cvt_f16_f32 v30, v34;

	;;#ASMEND
	;; [unrolled: 4-line block ×4, first 2 shown]
	v_mov_b32_e32 v23, 0
	s_waitcnt vmcnt(0)
	v_mad_i64_i32 v[8:9], null, v2, s6, v[4:5]
	global_load_dwordx2 v[10:11], v[8:9], off
	global_load_dword v22, v3, s[14:15]
	s_waitcnt vmcnt(1)
	v_cmp_ne_u16_sdwa s9, v10, v3 src0_sel:BYTE_0 src1_sel:DWORD
	s_and_saveexec_b32 s1, s9
	s_cbranch_execz .LBB271_169
; %bb.162:                              ;   in Loop: Header=BB271_161 Depth=1
	v_cmp_ne_u16_sdwa s12, v10, v18 src0_sel:BYTE_0 src1_sel:DWORD
	v_mov_b32_e32 v23, 0x8000
	s_and_saveexec_b32 s9, s12
	s_cbranch_execz .LBB271_168
; %bb.163:                              ;   in Loop: Header=BB271_161 Depth=1
	v_and_b32_e32 v24, 0x7f, v10
	v_mov_b32_e32 v23, 0x7c01
	s_mov_b32 s12, exec_lo
	v_cmpx_ne_u32_e32 0x7f, v24
	s_cbranch_execz .LBB271_167
; %bb.164:                              ;   in Loop: Header=BB271_161 Depth=1
	v_and_b32_e32 v2, 7, v10
	v_lshrrev_b32_e32 v23, 3, v24
	s_mov_b32 s13, exec_lo
	v_cmpx_gt_u32_e32 8, v24
; %bb.165:                              ;   in Loop: Header=BB271_161 Depth=1
	v_ffbh_u32_e32 v2, v2
	v_min_u32_e32 v2, 32, v2
	v_subrev_nc_u32_e32 v23, 28, v2
	v_lshlrev_b64 v[24:25], v23, v[10:11]
	v_sub_nc_u32_e32 v23, 29, v2
	v_and_b32_e32 v2, 7, v24
; %bb.166:                              ;   in Loop: Header=BB271_161 Depth=1
	s_or_b32 exec_lo, exec_lo, s13
	v_lshlrev_b32_e32 v24, 8, v10
	v_lshl_add_u32 v23, v23, 10, 0x2000
	v_lshlrev_b32_e32 v2, 7, v2
	v_and_b32_e32 v24, 0x8000, v24
	v_and_b32_e32 v23, 0xfc00, v23
	v_or3_b32 v23, v24, v23, v2
.LBB271_167:                            ;   in Loop: Header=BB271_161 Depth=1
	s_or_b32 exec_lo, exec_lo, s12
.LBB271_168:                            ;   in Loop: Header=BB271_161 Depth=1
	s_or_b32 exec_lo, exec_lo, s9
.LBB271_169:                            ;   in Loop: Header=BB271_161 Depth=1
	s_or_b32 exec_lo, exec_lo, s1
	v_lshrrev_b16 v2, 8, v10
	v_mov_b32_e32 v25, 0
	v_mov_b32_e32 v24, 0
	s_mov_b32 s1, exec_lo
	v_cmpx_ne_u16_e32 0, v2
	s_cbranch_execz .LBB271_177
; %bb.170:                              ;   in Loop: Header=BB271_161 Depth=1
	v_bfrev_b32_e32 v24, 1
	s_mov_b32 s9, exec_lo
	v_cmpx_ne_u16_e32 0x80, v2
	s_cbranch_execz .LBB271_176
; %bb.171:                              ;   in Loop: Header=BB271_161 Depth=1
	v_and_b32_sdwa v35, v2, v19 dst_sel:DWORD dst_unused:UNUSED_PAD src0_sel:WORD_0 src1_sel:DWORD
	v_mov_b32_e32 v24, 0x7c010000
	s_mov_b32 s12, exec_lo
	v_cmpx_ne_u32_e32 0x7f, v35
	s_cbranch_execz .LBB271_175
; %bb.172:                              ;   in Loop: Header=BB271_161 Depth=1
	v_and_b32_sdwa v24, v2, v20 dst_sel:DWORD dst_unused:UNUSED_PAD src0_sel:WORD_0 src1_sel:DWORD
	v_lshrrev_b32_e32 v26, 3, v35
	s_mov_b32 s13, exec_lo
	v_cmpx_gt_u32_e32 8, v35
; %bb.173:                              ;   in Loop: Header=BB271_161 Depth=1
	v_ffbh_u32_e32 v24, v24
	v_min_u32_e32 v24, 32, v24
	v_subrev_nc_u32_e32 v26, 28, v24
	v_lshlrev_b64 v[35:36], v26, v[2:3]
	v_sub_nc_u32_e32 v26, 29, v24
	v_and_b32_e32 v24, 7, v35
; %bb.174:                              ;   in Loop: Header=BB271_161 Depth=1
	s_or_b32 exec_lo, exec_lo, s13
	v_lshlrev_b32_sdwa v2, v21, v2 dst_sel:DWORD dst_unused:UNUSED_PAD src0_sel:DWORD src1_sel:WORD_0
	v_lshl_add_u32 v26, v26, 10, 0x2000
	v_lshlrev_b32_e32 v24, 23, v24
	v_and_or_b32 v2, 0x8000, v2, v26
	v_lshl_or_b32 v24, v2, 16, v24
.LBB271_175:                            ;   in Loop: Header=BB271_161 Depth=1
	s_or_b32 exec_lo, exec_lo, s12
.LBB271_176:                            ;   in Loop: Header=BB271_161 Depth=1
	s_or_b32 exec_lo, exec_lo, s9
.LBB271_177:                            ;   in Loop: Header=BB271_161 Depth=1
	s_or_b32 exec_lo, exec_lo, s1
	v_lshrrev_b32_e32 v2, 16, v10
	v_cmp_ne_u16_sdwa s9, v2, v3 src0_sel:BYTE_0 src1_sel:DWORD
	s_and_saveexec_b32 s1, s9
	s_cbranch_execz .LBB271_185
; %bb.178:                              ;   in Loop: Header=BB271_161 Depth=1
	v_cmp_ne_u16_sdwa s12, v2, v18 src0_sel:BYTE_0 src1_sel:DWORD
	v_mov_b32_e32 v25, 0x8000
	s_and_saveexec_b32 s9, s12
	s_cbranch_execz .LBB271_184
; %bb.179:                              ;   in Loop: Header=BB271_161 Depth=1
	v_bfe_u32 v35, v10, 16, 7
	v_mov_b32_e32 v25, 0x7c01
	s_mov_b32 s12, exec_lo
	v_cmpx_ne_u32_e32 0x7f, v35
	s_cbranch_execz .LBB271_183
; %bb.180:                              ;   in Loop: Header=BB271_161 Depth=1
	v_and_b32_e32 v25, 7, v2
	v_lshrrev_b32_e32 v26, 3, v35
	s_mov_b32 s13, exec_lo
	v_cmpx_gt_u32_e32 8, v35
; %bb.181:                              ;   in Loop: Header=BB271_161 Depth=1
	v_ffbh_u32_e32 v25, v25
	v_min_u32_e32 v35, 32, v25
	v_subrev_nc_u32_e32 v25, 28, v35
	v_lshlrev_b64 v[25:26], v25, v[2:3]
	v_sub_nc_u32_e32 v26, 29, v35
	v_and_b32_e32 v25, 7, v25
; %bb.182:                              ;   in Loop: Header=BB271_161 Depth=1
	s_or_b32 exec_lo, exec_lo, s13
	v_lshlrev_b32_e32 v2, 8, v2
	v_lshl_add_u32 v26, v26, 10, 0x2000
	v_lshlrev_b32_e32 v25, 7, v25
	v_and_b32_e32 v2, 0x8000, v2
	v_and_b32_e32 v26, 0xfc00, v26
	v_or3_b32 v25, v2, v26, v25
.LBB271_183:                            ;   in Loop: Header=BB271_161 Depth=1
	s_or_b32 exec_lo, exec_lo, s12
.LBB271_184:                            ;   in Loop: Header=BB271_161 Depth=1
	s_or_b32 exec_lo, exec_lo, s9
.LBB271_185:                            ;   in Loop: Header=BB271_161 Depth=1
	s_or_b32 exec_lo, exec_lo, s1
	v_mov_b32_e32 v26, 0
	v_mov_b32_e32 v35, 0
	s_mov_b32 s1, exec_lo
	v_cmpx_lt_u32_e32 0xffffff, v10
	s_cbranch_execz .LBB271_193
; %bb.186:                              ;   in Loop: Header=BB271_161 Depth=1
	v_lshrrev_b32_e32 v2, 24, v10
	v_bfrev_b32_e32 v35, 1
	s_mov_b32 s9, exec_lo
	v_cmpx_ne_u32_e32 0x80, v2
	s_cbranch_execz .LBB271_192
; %bb.187:                              ;   in Loop: Header=BB271_161 Depth=1
	v_and_b32_e32 v37, 0x7f, v2
	v_mov_b32_e32 v35, 0x7c010000
	s_mov_b32 s12, exec_lo
	v_cmpx_ne_u32_e32 0x7f, v37
	s_cbranch_execz .LBB271_191
; %bb.188:                              ;   in Loop: Header=BB271_161 Depth=1
	v_and_b32_e32 v35, 7, v2
	v_lshrrev_b32_e32 v36, 3, v37
	s_mov_b32 s13, exec_lo
	v_cmpx_gt_u32_e32 8, v37
; %bb.189:                              ;   in Loop: Header=BB271_161 Depth=1
	v_ffbh_u32_e32 v35, v35
	v_min_u32_e32 v37, 32, v35
	v_subrev_nc_u32_e32 v35, 28, v37
	v_lshlrev_b64 v[35:36], v35, v[2:3]
	v_sub_nc_u32_e32 v36, 29, v37
	v_and_b32_e32 v35, 7, v35
; %bb.190:                              ;   in Loop: Header=BB271_161 Depth=1
	s_or_b32 exec_lo, exec_lo, s13
	v_lshlrev_b32_e32 v2, 8, v2
	v_lshl_add_u32 v36, v36, 10, 0x2000
	v_lshlrev_b32_e32 v35, 23, v35
	v_and_or_b32 v2, 0x8000, v2, v36
	v_lshl_or_b32 v35, v2, 16, v35
.LBB271_191:                            ;   in Loop: Header=BB271_161 Depth=1
	s_or_b32 exec_lo, exec_lo, s12
.LBB271_192:                            ;   in Loop: Header=BB271_161 Depth=1
	s_or_b32 exec_lo, exec_lo, s9
.LBB271_193:                            ;   in Loop: Header=BB271_161 Depth=1
	s_or_b32 exec_lo, exec_lo, s1
	v_mov_b32_e32 v2, v11
	v_cmp_ne_u16_sdwa s9, v11, v3 src0_sel:BYTE_0 src1_sel:DWORD
	s_and_saveexec_b32 s1, s9
	s_cbranch_execz .LBB271_201
; %bb.194:                              ;   in Loop: Header=BB271_161 Depth=1
	v_cmp_ne_u16_sdwa s12, v11, v18 src0_sel:BYTE_0 src1_sel:DWORD
	v_mov_b32_e32 v26, 0x8000
	s_and_saveexec_b32 s9, s12
	s_cbranch_execz .LBB271_200
; %bb.195:                              ;   in Loop: Header=BB271_161 Depth=1
	v_and_b32_e32 v37, 0x7f, v11
	v_mov_b32_e32 v26, 0x7c01
	s_mov_b32 s12, exec_lo
	v_cmpx_ne_u32_e32 0x7f, v37
	s_cbranch_execz .LBB271_199
; %bb.196:                              ;   in Loop: Header=BB271_161 Depth=1
	v_and_b32_e32 v26, 7, v11
	v_lshrrev_b32_e32 v36, 3, v37
	s_mov_b32 s13, exec_lo
	v_cmpx_gt_u32_e32 8, v37
; %bb.197:                              ;   in Loop: Header=BB271_161 Depth=1
	v_ffbh_u32_e32 v26, v26
	v_min_u32_e32 v26, 32, v26
	v_subrev_nc_u32_e32 v36, 28, v26
	v_lshlrev_b64 v[37:38], v36, v[2:3]
	v_sub_nc_u32_e32 v36, 29, v26
	v_and_b32_e32 v26, 7, v37
; %bb.198:                              ;   in Loop: Header=BB271_161 Depth=1
	s_or_b32 exec_lo, exec_lo, s13
	v_lshlrev_b32_e32 v37, 8, v11
	v_lshl_add_u32 v36, v36, 10, 0x2000
	v_lshlrev_b32_e32 v26, 7, v26
	v_and_b32_e32 v37, 0x8000, v37
	v_and_b32_e32 v36, 0xfc00, v36
	v_or3_b32 v26, v37, v36, v26
.LBB271_199:                            ;   in Loop: Header=BB271_161 Depth=1
	s_or_b32 exec_lo, exec_lo, s12
.LBB271_200:                            ;   in Loop: Header=BB271_161 Depth=1
	s_or_b32 exec_lo, exec_lo, s9
.LBB271_201:                            ;   in Loop: Header=BB271_161 Depth=1
	s_or_b32 exec_lo, exec_lo, s1
	v_lshrrev_b16 v2, 8, v2
	v_mov_b32_e32 v37, 0
	v_mov_b32_e32 v36, 0
	s_mov_b32 s1, exec_lo
	v_cmpx_ne_u16_e32 0, v2
	s_cbranch_execz .LBB271_209
; %bb.202:                              ;   in Loop: Header=BB271_161 Depth=1
	v_bfrev_b32_e32 v36, 1
	s_mov_b32 s9, exec_lo
	v_cmpx_ne_u16_e32 0x80, v2
	s_cbranch_execz .LBB271_208
; %bb.203:                              ;   in Loop: Header=BB271_161 Depth=1
	v_and_b32_sdwa v39, v2, v19 dst_sel:DWORD dst_unused:UNUSED_PAD src0_sel:WORD_0 src1_sel:DWORD
	v_mov_b32_e32 v36, 0x7c010000
	s_mov_b32 s12, exec_lo
	v_cmpx_ne_u32_e32 0x7f, v39
	s_cbranch_execz .LBB271_207
; %bb.204:                              ;   in Loop: Header=BB271_161 Depth=1
	v_and_b32_sdwa v36, v2, v20 dst_sel:DWORD dst_unused:UNUSED_PAD src0_sel:WORD_0 src1_sel:DWORD
	v_lshrrev_b32_e32 v38, 3, v39
	s_mov_b32 s13, exec_lo
	v_cmpx_gt_u32_e32 8, v39
; %bb.205:                              ;   in Loop: Header=BB271_161 Depth=1
	v_ffbh_u32_e32 v36, v36
	v_min_u32_e32 v36, 32, v36
	v_subrev_nc_u32_e32 v38, 28, v36
	v_lshlrev_b64 v[39:40], v38, v[2:3]
	v_sub_nc_u32_e32 v38, 29, v36
	v_and_b32_e32 v36, 7, v39
; %bb.206:                              ;   in Loop: Header=BB271_161 Depth=1
	s_or_b32 exec_lo, exec_lo, s13
	v_lshlrev_b32_sdwa v2, v21, v2 dst_sel:DWORD dst_unused:UNUSED_PAD src0_sel:DWORD src1_sel:WORD_0
	v_lshl_add_u32 v38, v38, 10, 0x2000
	v_lshlrev_b32_e32 v36, 23, v36
	v_and_or_b32 v2, 0x8000, v2, v38
	v_lshl_or_b32 v36, v2, 16, v36
.LBB271_207:                            ;   in Loop: Header=BB271_161 Depth=1
	s_or_b32 exec_lo, exec_lo, s12
.LBB271_208:                            ;   in Loop: Header=BB271_161 Depth=1
	s_or_b32 exec_lo, exec_lo, s9
.LBB271_209:                            ;   in Loop: Header=BB271_161 Depth=1
	s_or_b32 exec_lo, exec_lo, s1
	v_lshrrev_b32_e32 v2, 16, v11
	v_cmp_ne_u16_sdwa s9, v2, v3 src0_sel:BYTE_0 src1_sel:DWORD
	s_and_saveexec_b32 s1, s9
	s_cbranch_execz .LBB271_217
; %bb.210:                              ;   in Loop: Header=BB271_161 Depth=1
	v_cmp_ne_u16_sdwa s12, v2, v18 src0_sel:BYTE_0 src1_sel:DWORD
	v_mov_b32_e32 v37, 0x8000
	s_and_saveexec_b32 s9, s12
	s_cbranch_execz .LBB271_216
; %bb.211:                              ;   in Loop: Header=BB271_161 Depth=1
	v_bfe_u32 v39, v11, 16, 7
	v_mov_b32_e32 v37, 0x7c01
	s_mov_b32 s12, exec_lo
	v_cmpx_ne_u32_e32 0x7f, v39
	s_cbranch_execz .LBB271_215
; %bb.212:                              ;   in Loop: Header=BB271_161 Depth=1
	v_and_b32_e32 v37, 7, v2
	v_lshrrev_b32_e32 v38, 3, v39
	s_mov_b32 s13, exec_lo
	v_cmpx_gt_u32_e32 8, v39
; %bb.213:                              ;   in Loop: Header=BB271_161 Depth=1
	v_ffbh_u32_e32 v37, v37
	v_min_u32_e32 v39, 32, v37
	v_subrev_nc_u32_e32 v37, 28, v39
	v_lshlrev_b64 v[37:38], v37, v[2:3]
	v_sub_nc_u32_e32 v38, 29, v39
	v_and_b32_e32 v37, 7, v37
; %bb.214:                              ;   in Loop: Header=BB271_161 Depth=1
	s_or_b32 exec_lo, exec_lo, s13
	v_lshlrev_b32_e32 v2, 8, v2
	v_lshl_add_u32 v38, v38, 10, 0x2000
	v_lshlrev_b32_e32 v37, 7, v37
	v_and_b32_e32 v2, 0x8000, v2
	v_and_b32_e32 v38, 0xfc00, v38
	v_or3_b32 v37, v2, v38, v37
.LBB271_215:                            ;   in Loop: Header=BB271_161 Depth=1
	s_or_b32 exec_lo, exec_lo, s12
.LBB271_216:                            ;   in Loop: Header=BB271_161 Depth=1
	s_or_b32 exec_lo, exec_lo, s9
.LBB271_217:                            ;   in Loop: Header=BB271_161 Depth=1
	s_or_b32 exec_lo, exec_lo, s1
	v_mov_b32_e32 v38, 0
	s_mov_b32 s1, exec_lo
	v_cmpx_lt_u64_e64 s[4:5], v[10:11]
	s_cbranch_execz .LBB271_225
; %bb.218:                              ;   in Loop: Header=BB271_161 Depth=1
	v_lshrrev_b32_e32 v2, 24, v11
	v_bfrev_b32_e32 v38, 1
	s_mov_b32 s9, exec_lo
	v_cmpx_ne_u32_e32 0x80, v2
	s_cbranch_execz .LBB271_224
; %bb.219:                              ;   in Loop: Header=BB271_161 Depth=1
	v_and_b32_e32 v39, 0x7f, v2
	v_mov_b32_e32 v38, 0x7c010000
	s_mov_b32 s12, exec_lo
	v_cmpx_ne_u32_e32 0x7f, v39
	s_cbranch_execz .LBB271_223
; %bb.220:                              ;   in Loop: Header=BB271_161 Depth=1
	v_and_b32_e32 v10, 7, v2
	v_lshrrev_b32_e32 v11, 3, v39
	s_mov_b32 s13, exec_lo
	v_cmpx_gt_u32_e32 8, v39
; %bb.221:                              ;   in Loop: Header=BB271_161 Depth=1
	v_ffbh_u32_e32 v10, v10
	v_min_u32_e32 v38, 32, v10
	v_subrev_nc_u32_e32 v10, 28, v38
	v_lshlrev_b64 v[10:11], v10, v[2:3]
	v_sub_nc_u32_e32 v11, 29, v38
	v_and_b32_e32 v10, 7, v10
; %bb.222:                              ;   in Loop: Header=BB271_161 Depth=1
	s_or_b32 exec_lo, exec_lo, s13
	v_lshlrev_b32_e32 v2, 8, v2
	v_lshl_add_u32 v11, v11, 10, 0x2000
	v_lshlrev_b32_e32 v10, 23, v10
	v_and_or_b32 v2, 0x8000, v2, v11
	v_lshl_or_b32 v38, v2, 16, v10
.LBB271_223:                            ;   in Loop: Header=BB271_161 Depth=1
	s_or_b32 exec_lo, exec_lo, s12
.LBB271_224:                            ;   in Loop: Header=BB271_161 Depth=1
	s_or_b32 exec_lo, exec_lo, s9
.LBB271_225:                            ;   in Loop: Header=BB271_161 Depth=1
	s_or_b32 exec_lo, exec_lo, s1
	v_or_b32_e32 v2, v35, v25
	s_waitcnt vmcnt(0)
	v_fma_mixlo_f16 v11, v22, v35, 0 op_sel:[0,1,0] op_sel_hi:[0,1,0]
	v_or_b32_e32 v23, v24, v23
	v_fma_mixlo_f16 v24, v22, v24, 0 op_sel:[0,1,0] op_sel_hi:[0,1,0]
	v_or_b32_e32 v25, v36, v26
	v_fma_mixlo_f16 v2, v22, v2, 0 op_sel_hi:[0,1,0]
	v_or_b32_e32 v26, v38, v37
	v_lshlrev_b32_e32 v35, 16, v11
	v_lshlrev_b32_e32 v43, 16, v24
	v_fma_mixlo_f16 v11, v22, v36, 0 op_sel:[0,1,0] op_sel_hi:[0,1,0]
	v_and_b32_e32 v40, 0xffff, v2
	v_fma_mixlo_f16 v2, v22, v23, 0 op_sel_hi:[0,1,0]
	v_fma_mixlo_f16 v23, v22, v25, 0 op_sel_hi:[0,1,0]
	v_fma_mixlo_f16 v24, v22, v38, 0 op_sel:[0,1,0] op_sel_hi:[0,1,0]
	v_fma_mixlo_f16 v22, v22, v26, 0 op_sel_hi:[0,1,0]
	v_lshlrev_b32_e32 v41, 16, v11
	v_and_b32_e32 v45, 0xffff, v2
	v_and_b32_e32 v44, 0xffff, v23
	v_lshlrev_b32_e32 v38, 16, v24
	v_and_b32_e32 v42, 0xffff, v22
	v_add_nc_u32_e32 v10, -7, v16
	v_cmp_eq_u32_e32 vcc_lo, s19, v1
	v_or_b32_e32 v2, v35, v40
	v_or_b32_e32 v36, v43, v45
	v_or_b32_e32 v37, v41, v44
	v_or_b32_e32 v39, v38, v42
	v_add_nc_u32_e32 v26, -6, v16
	v_add_nc_u32_e32 v25, -5, v16
	;; [unrolled: 1-line block ×6, first 2 shown]
	s_and_saveexec_b32 s9, vcc_lo
	s_cbranch_execz .LBB271_227
; %bb.226:                              ;   in Loop: Header=BB271_161 Depth=1
	v_cmp_gt_i32_e64 s1, s27, v10
	v_cndmask_b32_e64 v2, 0, v45, s1
	v_cmp_gt_i32_e64 s1, s27, v26
	v_cndmask_b32_e64 v36, 0, v43, s1
	v_cmp_gt_i32_e64 s1, s27, v25
	v_or_b32_e32 v36, v36, v2
	v_cndmask_b32_e64 v37, 0, v40, s1
	v_cmp_gt_i32_e64 s1, s27, v24
	v_cndmask_b32_e64 v35, 0, v35, s1
	v_cmp_gt_i32_e64 s1, s27, v23
	v_or_b32_e32 v2, v35, v37
	;; [unrolled: 5-line block ×3, first 2 shown]
	v_cndmask_b32_e64 v41, 0, v42, s1
	v_cmp_gt_i32_e64 s1, s27, v16
	v_cndmask_b32_e64 v38, 0, v38, s1
	v_or_b32_e32 v39, v38, v41
.LBB271_227:                            ;   in Loop: Header=BB271_161 Depth=1
	s_or_b32 exec_lo, exec_lo, s9
	v_and_b32_e32 v27, 0xffff, v27
	v_and_b32_e32 v35, 0xffff, v32
	;; [unrolled: 1-line block ×4, first 2 shown]
	v_lshl_or_b32 v32, v28, 16, v27
	v_lshl_or_b32 v29, v29, 16, v35
	;; [unrolled: 1-line block ×3, first 2 shown]
	;;#ASMSTART
	v_pk_mul_f16 v30, v32, v36;

	;;#ASMEND
	;;#ASMSTART
	v_pk_mul_f16 v2, v29, v2;

	;;#ASMEND
	v_lshl_or_b32 v27, v31, 16, v34
	;;#ASMSTART
	v_pk_mul_f16 v31, v28, v37;

	;;#ASMEND
	;;#ASMSTART
	v_pk_mul_f16 v33, v27, v39;

	;;#ASMEND
	;;#ASMSTART
	v_pk_add_f16 v2, v30, v2;

	;;#ASMEND
	;;#ASMSTART
	v_pk_add_f16 v2, v2, v31;
	;; [unrolled: 4-line block ×3, first 2 shown]

	;;#ASMEND
	v_and_b32_e32 v30, 0xffff, v2
	v_lshrrev_b32_e32 v2, 16, v2
	;;#ASMSTART
	v_cvt_f32_f16 v30, v30;
	;;#ASMEND
	;;#ASMSTART
	v_cvt_f32_f16 v31, v2;
	;;#ASMEND
	global_load_dwordx2 v[8:9], v[8:9], off offset:256
	v_mov_b32_e32 v34, 0
	v_mov_b32_e32 v35, 0
	global_load_dword v33, v34, s[14:15]
	s_waitcnt vmcnt(1)
	v_cmp_ne_u16_sdwa s1, v8, v3 src0_sel:BYTE_0 src1_sel:DWORD
	s_and_saveexec_b32 s9, s1
	s_cbranch_execz .LBB271_235
; %bb.228:                              ;   in Loop: Header=BB271_161 Depth=1
	v_cmp_ne_u16_sdwa s1, v8, v18 src0_sel:BYTE_0 src1_sel:DWORD
	v_mov_b32_e32 v35, 0x8000
	s_and_saveexec_b32 s12, s1
	s_cbranch_execz .LBB271_234
; %bb.229:                              ;   in Loop: Header=BB271_161 Depth=1
	v_and_b32_e32 v36, 0x7f, v8
	v_mov_b32_e32 v35, 0x7c01
	s_mov_b32 s13, exec_lo
	v_cmpx_ne_u32_e32 0x7f, v36
	s_cbranch_execz .LBB271_233
; %bb.230:                              ;   in Loop: Header=BB271_161 Depth=1
	v_and_b32_e32 v2, 7, v8
	v_lshrrev_b32_e32 v35, 3, v36
	s_mov_b32 s17, exec_lo
	v_cmpx_gt_u32_e32 8, v36
; %bb.231:                              ;   in Loop: Header=BB271_161 Depth=1
	v_ffbh_u32_e32 v2, v2
	v_min_u32_e32 v2, 32, v2
	v_subrev_nc_u32_e32 v35, 28, v2
	v_lshlrev_b64 v[36:37], v35, v[8:9]
	v_sub_nc_u32_e32 v35, 29, v2
	v_and_b32_e32 v2, 7, v36
; %bb.232:                              ;   in Loop: Header=BB271_161 Depth=1
	s_or_b32 exec_lo, exec_lo, s17
	v_lshlrev_b32_e32 v36, 8, v8
	v_lshl_add_u32 v35, v35, 10, 0x2000
	v_lshlrev_b32_e32 v2, 7, v2
	v_and_b32_e32 v36, 0x8000, v36
	v_and_b32_e32 v35, 0xfc00, v35
	v_or3_b32 v35, v36, v35, v2
.LBB271_233:                            ;   in Loop: Header=BB271_161 Depth=1
	s_or_b32 exec_lo, exec_lo, s13
.LBB271_234:                            ;   in Loop: Header=BB271_161 Depth=1
	s_or_b32 exec_lo, exec_lo, s12
.LBB271_235:                            ;   in Loop: Header=BB271_161 Depth=1
	s_or_b32 exec_lo, exec_lo, s9
	v_lshrrev_b16 v2, 8, v8
	s_mov_b32 s9, exec_lo
	v_cmpx_ne_u16_e32 0, v2
	s_cbranch_execz .LBB271_243
; %bb.236:                              ;   in Loop: Header=BB271_161 Depth=1
	v_bfrev_b32_e32 v34, 1
	s_mov_b32 s12, exec_lo
	v_cmpx_ne_u16_e32 0x80, v2
	s_cbranch_execz .LBB271_242
; %bb.237:                              ;   in Loop: Header=BB271_161 Depth=1
	v_and_b32_sdwa v37, v2, v19 dst_sel:DWORD dst_unused:UNUSED_PAD src0_sel:WORD_0 src1_sel:DWORD
	v_mov_b32_e32 v34, 0x7c010000
	s_mov_b32 s13, exec_lo
	v_cmpx_ne_u32_e32 0x7f, v37
	s_cbranch_execz .LBB271_241
; %bb.238:                              ;   in Loop: Header=BB271_161 Depth=1
	v_and_b32_sdwa v34, v2, v20 dst_sel:DWORD dst_unused:UNUSED_PAD src0_sel:WORD_0 src1_sel:DWORD
	v_lshrrev_b32_e32 v36, 3, v37
	s_mov_b32 s17, exec_lo
	v_cmpx_gt_u32_e32 8, v37
; %bb.239:                              ;   in Loop: Header=BB271_161 Depth=1
	v_ffbh_u32_e32 v34, v34
	v_min_u32_e32 v34, 32, v34
	v_subrev_nc_u32_e32 v36, 28, v34
	v_lshlrev_b64 v[37:38], v36, v[2:3]
	v_sub_nc_u32_e32 v36, 29, v34
	v_and_b32_e32 v34, 7, v37
; %bb.240:                              ;   in Loop: Header=BB271_161 Depth=1
	s_or_b32 exec_lo, exec_lo, s17
	v_lshlrev_b32_sdwa v2, v21, v2 dst_sel:DWORD dst_unused:UNUSED_PAD src0_sel:DWORD src1_sel:WORD_0
	v_lshl_add_u32 v36, v36, 10, 0x2000
	v_lshlrev_b32_e32 v34, 23, v34
	v_and_or_b32 v2, 0x8000, v2, v36
	v_lshl_or_b32 v34, v2, 16, v34
.LBB271_241:                            ;   in Loop: Header=BB271_161 Depth=1
	s_or_b32 exec_lo, exec_lo, s13
.LBB271_242:                            ;   in Loop: Header=BB271_161 Depth=1
	s_or_b32 exec_lo, exec_lo, s12
.LBB271_243:                            ;   in Loop: Header=BB271_161 Depth=1
	s_or_b32 exec_lo, exec_lo, s9
	v_lshrrev_b32_e32 v2, 16, v8
	v_mov_b32_e32 v36, 0
	v_mov_b32_e32 v37, 0
	v_cmp_ne_u16_sdwa s1, v2, v3 src0_sel:BYTE_0 src1_sel:DWORD
	s_and_saveexec_b32 s9, s1
	s_cbranch_execz .LBB271_251
; %bb.244:                              ;   in Loop: Header=BB271_161 Depth=1
	v_cmp_ne_u16_sdwa s1, v2, v18 src0_sel:BYTE_0 src1_sel:DWORD
	v_mov_b32_e32 v37, 0x8000
	s_and_saveexec_b32 s12, s1
	s_cbranch_execz .LBB271_250
; %bb.245:                              ;   in Loop: Header=BB271_161 Depth=1
	v_bfe_u32 v39, v8, 16, 7
	v_mov_b32_e32 v37, 0x7c01
	s_mov_b32 s13, exec_lo
	v_cmpx_ne_u32_e32 0x7f, v39
	s_cbranch_execz .LBB271_249
; %bb.246:                              ;   in Loop: Header=BB271_161 Depth=1
	v_and_b32_e32 v37, 7, v2
	v_lshrrev_b32_e32 v38, 3, v39
	s_mov_b32 s17, exec_lo
	v_cmpx_gt_u32_e32 8, v39
; %bb.247:                              ;   in Loop: Header=BB271_161 Depth=1
	v_ffbh_u32_e32 v37, v37
	v_min_u32_e32 v39, 32, v37
	v_subrev_nc_u32_e32 v37, 28, v39
	v_lshlrev_b64 v[37:38], v37, v[2:3]
	v_sub_nc_u32_e32 v38, 29, v39
	v_and_b32_e32 v37, 7, v37
; %bb.248:                              ;   in Loop: Header=BB271_161 Depth=1
	s_or_b32 exec_lo, exec_lo, s17
	v_lshlrev_b32_e32 v2, 8, v2
	v_lshl_add_u32 v38, v38, 10, 0x2000
	v_lshlrev_b32_e32 v37, 7, v37
	v_and_b32_e32 v2, 0x8000, v2
	v_and_b32_e32 v38, 0xfc00, v38
	v_or3_b32 v37, v2, v38, v37
.LBB271_249:                            ;   in Loop: Header=BB271_161 Depth=1
	s_or_b32 exec_lo, exec_lo, s13
.LBB271_250:                            ;   in Loop: Header=BB271_161 Depth=1
	s_or_b32 exec_lo, exec_lo, s12
.LBB271_251:                            ;   in Loop: Header=BB271_161 Depth=1
	s_or_b32 exec_lo, exec_lo, s9
	s_mov_b32 s9, exec_lo
	v_cmpx_lt_u32_e32 0xffffff, v8
	s_cbranch_execz .LBB271_259
; %bb.252:                              ;   in Loop: Header=BB271_161 Depth=1
	v_lshrrev_b32_e32 v2, 24, v8
	v_bfrev_b32_e32 v36, 1
	s_mov_b32 s12, exec_lo
	v_cmpx_ne_u32_e32 0x80, v2
	s_cbranch_execz .LBB271_258
; %bb.253:                              ;   in Loop: Header=BB271_161 Depth=1
	v_and_b32_e32 v39, 0x7f, v2
	v_mov_b32_e32 v36, 0x7c010000
	s_mov_b32 s13, exec_lo
	v_cmpx_ne_u32_e32 0x7f, v39
	s_cbranch_execz .LBB271_257
; %bb.254:                              ;   in Loop: Header=BB271_161 Depth=1
	v_and_b32_e32 v36, 7, v2
	v_lshrrev_b32_e32 v38, 3, v39
	s_mov_b32 s17, exec_lo
	v_cmpx_gt_u32_e32 8, v39
; %bb.255:                              ;   in Loop: Header=BB271_161 Depth=1
	v_ffbh_u32_e32 v36, v36
	v_min_u32_e32 v36, 32, v36
	v_subrev_nc_u32_e32 v38, 28, v36
	v_lshlrev_b64 v[39:40], v38, v[2:3]
	v_sub_nc_u32_e32 v38, 29, v36
	v_and_b32_e32 v36, 7, v39
; %bb.256:                              ;   in Loop: Header=BB271_161 Depth=1
	s_or_b32 exec_lo, exec_lo, s17
	v_lshlrev_b32_e32 v2, 8, v2
	v_lshl_add_u32 v38, v38, 10, 0x2000
	v_lshlrev_b32_e32 v36, 23, v36
	v_and_or_b32 v2, 0x8000, v2, v38
	v_lshl_or_b32 v36, v2, 16, v36
.LBB271_257:                            ;   in Loop: Header=BB271_161 Depth=1
	s_or_b32 exec_lo, exec_lo, s13
.LBB271_258:                            ;   in Loop: Header=BB271_161 Depth=1
	s_or_b32 exec_lo, exec_lo, s12
.LBB271_259:                            ;   in Loop: Header=BB271_161 Depth=1
	s_or_b32 exec_lo, exec_lo, s9
	v_mov_b32_e32 v2, v9
	v_cmp_ne_u16_sdwa s1, v9, v3 src0_sel:BYTE_0 src1_sel:DWORD
	v_mov_b32_e32 v38, 0
	v_mov_b32_e32 v39, 0
	s_and_saveexec_b32 s9, s1
	s_cbranch_execz .LBB271_267
; %bb.260:                              ;   in Loop: Header=BB271_161 Depth=1
	v_cmp_ne_u16_sdwa s1, v9, v18 src0_sel:BYTE_0 src1_sel:DWORD
	v_mov_b32_e32 v39, 0x8000
	s_and_saveexec_b32 s12, s1
	s_cbranch_execz .LBB271_266
; %bb.261:                              ;   in Loop: Header=BB271_161 Depth=1
	v_and_b32_e32 v41, 0x7f, v9
	v_mov_b32_e32 v39, 0x7c01
	s_mov_b32 s13, exec_lo
	v_cmpx_ne_u32_e32 0x7f, v41
	s_cbranch_execz .LBB271_265
; %bb.262:                              ;   in Loop: Header=BB271_161 Depth=1
	v_and_b32_e32 v39, 7, v9
	v_lshrrev_b32_e32 v40, 3, v41
	s_mov_b32 s17, exec_lo
	v_cmpx_gt_u32_e32 8, v41
; %bb.263:                              ;   in Loop: Header=BB271_161 Depth=1
	v_ffbh_u32_e32 v39, v39
	v_min_u32_e32 v41, 32, v39
	v_subrev_nc_u32_e32 v39, 28, v41
	v_lshlrev_b64 v[39:40], v39, v[2:3]
	v_sub_nc_u32_e32 v40, 29, v41
	v_and_b32_e32 v39, 7, v39
; %bb.264:                              ;   in Loop: Header=BB271_161 Depth=1
	s_or_b32 exec_lo, exec_lo, s17
	v_lshlrev_b32_e32 v41, 8, v9
	v_lshl_add_u32 v40, v40, 10, 0x2000
	v_lshlrev_b32_e32 v39, 7, v39
	v_and_b32_e32 v41, 0x8000, v41
	v_and_b32_e32 v40, 0xfc00, v40
	v_or3_b32 v39, v41, v40, v39
.LBB271_265:                            ;   in Loop: Header=BB271_161 Depth=1
	s_or_b32 exec_lo, exec_lo, s13
.LBB271_266:                            ;   in Loop: Header=BB271_161 Depth=1
	s_or_b32 exec_lo, exec_lo, s12
.LBB271_267:                            ;   in Loop: Header=BB271_161 Depth=1
	s_or_b32 exec_lo, exec_lo, s9
	v_lshrrev_b16 v2, 8, v2
	v_mov_b32_e32 v40, 0
	s_mov_b32 s9, exec_lo
	v_cmpx_ne_u16_e32 0, v2
	s_cbranch_execz .LBB271_275
; %bb.268:                              ;   in Loop: Header=BB271_161 Depth=1
	v_bfrev_b32_e32 v40, 1
	s_mov_b32 s12, exec_lo
	v_cmpx_ne_u16_e32 0x80, v2
	s_cbranch_execz .LBB271_274
; %bb.269:                              ;   in Loop: Header=BB271_161 Depth=1
	v_and_b32_sdwa v42, v2, v19 dst_sel:DWORD dst_unused:UNUSED_PAD src0_sel:WORD_0 src1_sel:DWORD
	v_mov_b32_e32 v40, 0x7c010000
	s_mov_b32 s13, exec_lo
	v_cmpx_ne_u32_e32 0x7f, v42
	s_cbranch_execz .LBB271_273
; %bb.270:                              ;   in Loop: Header=BB271_161 Depth=1
	v_and_b32_sdwa v40, v2, v20 dst_sel:DWORD dst_unused:UNUSED_PAD src0_sel:WORD_0 src1_sel:DWORD
	v_lshrrev_b32_e32 v41, 3, v42
	s_mov_b32 s17, exec_lo
	v_cmpx_gt_u32_e32 8, v42
; %bb.271:                              ;   in Loop: Header=BB271_161 Depth=1
	v_ffbh_u32_e32 v40, v40
	v_min_u32_e32 v42, 32, v40
	v_subrev_nc_u32_e32 v40, 28, v42
	v_lshlrev_b64 v[40:41], v40, v[2:3]
	v_sub_nc_u32_e32 v41, 29, v42
	v_and_b32_e32 v40, 7, v40
; %bb.272:                              ;   in Loop: Header=BB271_161 Depth=1
	s_or_b32 exec_lo, exec_lo, s17
	v_lshlrev_b32_sdwa v2, v21, v2 dst_sel:DWORD dst_unused:UNUSED_PAD src0_sel:DWORD src1_sel:WORD_0
	v_lshl_add_u32 v41, v41, 10, 0x2000
	v_lshlrev_b32_e32 v40, 23, v40
	v_and_or_b32 v2, 0x8000, v2, v41
	v_lshl_or_b32 v40, v2, 16, v40
.LBB271_273:                            ;   in Loop: Header=BB271_161 Depth=1
	s_or_b32 exec_lo, exec_lo, s13
.LBB271_274:                            ;   in Loop: Header=BB271_161 Depth=1
	s_or_b32 exec_lo, exec_lo, s12
.LBB271_275:                            ;   in Loop: Header=BB271_161 Depth=1
	s_or_b32 exec_lo, exec_lo, s9
	v_lshrrev_b32_e32 v2, 16, v9
	v_cmp_ne_u16_sdwa s1, v2, v3 src0_sel:BYTE_0 src1_sel:DWORD
	s_and_saveexec_b32 s9, s1
	s_cbranch_execz .LBB271_283
; %bb.276:                              ;   in Loop: Header=BB271_161 Depth=1
	v_cmp_ne_u16_sdwa s1, v2, v18 src0_sel:BYTE_0 src1_sel:DWORD
	v_mov_b32_e32 v38, 0x8000
	s_and_saveexec_b32 s12, s1
	s_cbranch_execz .LBB271_282
; %bb.277:                              ;   in Loop: Header=BB271_161 Depth=1
	v_bfe_u32 v42, v9, 16, 7
	v_mov_b32_e32 v38, 0x7c01
	s_mov_b32 s13, exec_lo
	v_cmpx_ne_u32_e32 0x7f, v42
	s_cbranch_execz .LBB271_281
; %bb.278:                              ;   in Loop: Header=BB271_161 Depth=1
	v_and_b32_e32 v38, 7, v2
	v_lshrrev_b32_e32 v41, 3, v42
	s_mov_b32 s17, exec_lo
	v_cmpx_gt_u32_e32 8, v42
; %bb.279:                              ;   in Loop: Header=BB271_161 Depth=1
	v_ffbh_u32_e32 v38, v38
	v_min_u32_e32 v38, 32, v38
	v_subrev_nc_u32_e32 v41, 28, v38
	v_lshlrev_b64 v[42:43], v41, v[2:3]
	v_sub_nc_u32_e32 v41, 29, v38
	v_and_b32_e32 v38, 7, v42
; %bb.280:                              ;   in Loop: Header=BB271_161 Depth=1
	s_or_b32 exec_lo, exec_lo, s17
	v_lshlrev_b32_e32 v2, 8, v2
	v_lshl_add_u32 v41, v41, 10, 0x2000
	v_lshlrev_b32_e32 v38, 7, v38
	v_and_b32_e32 v2, 0x8000, v2
	v_and_b32_e32 v41, 0xfc00, v41
	v_or3_b32 v38, v2, v41, v38
.LBB271_281:                            ;   in Loop: Header=BB271_161 Depth=1
	s_or_b32 exec_lo, exec_lo, s13
.LBB271_282:                            ;   in Loop: Header=BB271_161 Depth=1
	s_or_b32 exec_lo, exec_lo, s12
.LBB271_283:                            ;   in Loop: Header=BB271_161 Depth=1
	s_or_b32 exec_lo, exec_lo, s9
	v_cmp_lt_u64_e64 s1, s[4:5], v[8:9]
	v_mov_b32_e32 v8, 0
	s_and_saveexec_b32 s9, s1
	s_cbranch_execz .LBB271_291
; %bb.284:                              ;   in Loop: Header=BB271_161 Depth=1
	v_lshrrev_b32_e32 v2, 24, v9
	v_bfrev_b32_e32 v8, 1
	s_mov_b32 s12, exec_lo
	v_cmpx_ne_u32_e32 0x80, v2
	s_cbranch_execz .LBB271_290
; %bb.285:                              ;   in Loop: Header=BB271_161 Depth=1
	v_and_b32_e32 v41, 0x7f, v2
	v_mov_b32_e32 v8, 0x7c010000
	s_mov_b32 s13, exec_lo
	v_cmpx_ne_u32_e32 0x7f, v41
	s_cbranch_execz .LBB271_289
; %bb.286:                              ;   in Loop: Header=BB271_161 Depth=1
	v_and_b32_e32 v8, 7, v2
	v_lshrrev_b32_e32 v9, 3, v41
	s_mov_b32 s17, exec_lo
	v_cmpx_gt_u32_e32 8, v41
; %bb.287:                              ;   in Loop: Header=BB271_161 Depth=1
	v_ffbh_u32_e32 v8, v8
	v_min_u32_e32 v41, 32, v8
	v_subrev_nc_u32_e32 v8, 28, v41
	v_lshlrev_b64 v[8:9], v8, v[2:3]
	v_sub_nc_u32_e32 v9, 29, v41
	v_and_b32_e32 v8, 7, v8
; %bb.288:                              ;   in Loop: Header=BB271_161 Depth=1
	s_or_b32 exec_lo, exec_lo, s17
	v_lshlrev_b32_e32 v2, 8, v2
	v_lshl_add_u32 v9, v9, 10, 0x2000
	v_lshlrev_b32_e32 v8, 23, v8
	v_and_or_b32 v2, 0x8000, v2, v9
	v_lshl_or_b32 v8, v2, 16, v8
.LBB271_289:                            ;   in Loop: Header=BB271_161 Depth=1
	s_or_b32 exec_lo, exec_lo, s13
.LBB271_290:                            ;   in Loop: Header=BB271_161 Depth=1
	s_or_b32 exec_lo, exec_lo, s12
.LBB271_291:                            ;   in Loop: Header=BB271_161 Depth=1
	s_or_b32 exec_lo, exec_lo, s9
	v_or_b32_e32 v2, v36, v37
	v_or_b32_e32 v35, v34, v35
	s_waitcnt vmcnt(0)
	v_fma_mixlo_f16 v34, v33, v34, 0 op_sel:[0,1,0] op_sel_hi:[0,1,0]
	v_or_b32_e32 v37, v40, v39
	v_or_b32_e32 v38, v8, v38
	v_fma_mixlo_f16 v9, v33, v36, 0 op_sel:[0,1,0] op_sel_hi:[0,1,0]
	v_fma_mixlo_f16 v39, v33, v2, 0 op_sel_hi:[0,1,0]
	v_lshlrev_b32_e32 v36, 16, v34
	v_fma_mixlo_f16 v34, v33, v35, 0 op_sel_hi:[0,1,0]
	v_fma_mixlo_f16 v35, v33, v40, 0 op_sel:[0,1,0] op_sel_hi:[0,1,0]
	v_fma_mixlo_f16 v37, v33, v37, 0 op_sel_hi:[0,1,0]
	v_fma_mixlo_f16 v8, v33, v8, 0 op_sel:[0,1,0] op_sel_hi:[0,1,0]
	v_fma_mixlo_f16 v38, v33, v38, 0 op_sel_hi:[0,1,0]
	v_lshlrev_b32_e32 v2, 16, v9
	v_and_b32_e32 v9, 0xffff, v39
	v_and_b32_e32 v41, 0xffff, v34
	v_lshlrev_b32_e32 v33, 16, v35
	v_and_b32_e32 v40, 0xffff, v37
	v_lshlrev_b32_e32 v8, 16, v8
	v_and_b32_e32 v34, 0xffff, v38
	v_or_b32_e32 v35, v2, v9
	v_or_b32_e32 v39, v36, v41
	v_or_b32_e32 v38, v33, v40
	v_or_b32_e32 v37, v8, v34
	s_and_saveexec_b32 s1, vcc_lo
	s_cbranch_execz .LBB271_160
; %bb.292:                              ;   in Loop: Header=BB271_161 Depth=1
	v_cmp_gt_i32_e32 vcc_lo, s27, v10
	v_cndmask_b32_e32 v10, 0, v41, vcc_lo
	v_cmp_gt_i32_e32 vcc_lo, s27, v26
	v_cndmask_b32_e32 v26, 0, v36, vcc_lo
	v_cmp_gt_i32_e32 vcc_lo, s27, v25
	v_or_b32_e32 v39, v26, v10
	v_cndmask_b32_e32 v9, 0, v9, vcc_lo
	v_cmp_gt_i32_e32 vcc_lo, s27, v24
	v_cndmask_b32_e32 v2, 0, v2, vcc_lo
	v_cmp_gt_i32_e32 vcc_lo, s27, v23
	v_or_b32_e32 v35, v2, v9
	;; [unrolled: 5-line block ×3, first 2 shown]
	v_cndmask_b32_e32 v11, 0, v34, vcc_lo
	v_cmp_gt_i32_e32 vcc_lo, s27, v16
	v_cndmask_b32_e32 v8, 0, v8, vcc_lo
	v_or_b32_e32 v37, v8, v11
	s_branch .LBB271_160
.LBB271_293:
	s_or_b32 exec_lo, exec_lo, s8
.LBB271_294:
	s_or_b32 exec_lo, exec_lo, s3
	v_lshl_add_u32 v2, v14, 2, 0xa0
	v_and_b32_e32 v3, 0x3c0, v0
	s_mov_b32 s1, exec_lo
	s_waitcnt_vscnt null, 0x0
	s_barrier
	v_lshl_add_u32 v1, v12, 8, v2
	buffer_gl0_inv
	v_cmpx_eq_u32_e32 64, v3
	s_cbranch_execz .LBB271_296
; %bb.295:
	v_add_nc_u32_e32 v3, 0xfffffe00, v1
	v_add_nc_u32_e32 v4, 0xfffffe80, v1
	ds_write_b32 v3, v15
	ds_write_b32 v4, v13
.LBB271_296:
	s_or_b32 exec_lo, exec_lo, s1
	s_mov_b32 s1, exec_lo
	s_waitcnt lgkmcnt(0)
	s_barrier
	buffer_gl0_inv
	v_cmpx_gt_u32_e32 64, v0
	s_cbranch_execz .LBB271_298
; %bb.297:
	ds_read2_b32 v[3:4], v1 offset1:32
	s_waitcnt lgkmcnt(0)
	v_add_f32_e32 v15, v15, v3
	v_add_f32_e32 v13, v13, v4
.LBB271_298:
	s_or_b32 exec_lo, exec_lo, s1
	v_and_b32_e32 v3, 0x3e0, v0
	s_mov_b32 s1, exec_lo
	s_barrier
	buffer_gl0_inv
	v_cmpx_eq_u32_e32 32, v3
; %bb.299:
	ds_write2_b32 v2, v15, v13 offset1:32
; %bb.300:
	s_or_b32 exec_lo, exec_lo, s1
	s_waitcnt lgkmcnt(0)
	s_barrier
	buffer_gl0_inv
	s_and_saveexec_b32 s1, s0
	s_cbranch_execz .LBB271_302
; %bb.301:
	ds_read2_b32 v[1:2], v1 offset1:32
	s_waitcnt lgkmcnt(0)
	v_add_f32_e32 v15, v15, v1
	v_add_f32_e32 v13, v13, v2
.LBB271_302:
	s_or_b32 exec_lo, exec_lo, s1
	s_barrier
	buffer_gl0_inv
	s_and_saveexec_b32 s1, s0
	s_cbranch_execz .LBB271_304
; %bb.303:
	s_lshl_b32 s0, s2, 6
	s_mul_i32 s2, s7, s10
	s_ashr_i32 s1, s0, 31
	v_lshlrev_b32_e32 v0, 1, v0
	s_lshl_b64 s[0:1], s[0:1], 1
	;;#ASMSTART
	v_cvt_f16_f32 v1, v15;

	;;#ASMEND
	s_add_u32 s4, s24, s0
	s_addc_u32 s5, s25, s1
	s_ashr_i32 s3, s2, 31
	s_lshl_b64 s[0:1], s[2:3], 1
	s_add_u32 s2, s4, s0
	s_addc_u32 s3, s5, s1
	s_ashr_i32 s17, s16, 31
	s_lshl_b64 s[0:1], s[16:17], 1
	s_add_u32 s0, s2, s0
	s_addc_u32 s1, s3, s1
	global_store_short v0, v1, s[0:1]
	;;#ASMSTART
	v_cvt_f16_f32 v1, v13;

	;;#ASMEND
	global_store_short v0, v1, s[0:1] offset:64
.LBB271_304:
	s_endpgm
	.section	.rodata,"a",@progbits
	.p2align	6, 0x0
	.amdhsa_kernel _ZN4vllm25paged_attention_v2_kernelIthLi64ELi8ELi128ELNS_18Fp8KVCacheDataTypeE1ELb0ELi512EEEvPfS2_PT_PKS3_PKT0_S9_ifPKiSB_iPKfiiiSD_SD_iiiii
		.amdhsa_group_segment_fixed_size 160
		.amdhsa_private_segment_fixed_size 0
		.amdhsa_kernarg_size 400
		.amdhsa_user_sgpr_count 6
		.amdhsa_user_sgpr_private_segment_buffer 1
		.amdhsa_user_sgpr_dispatch_ptr 0
		.amdhsa_user_sgpr_queue_ptr 0
		.amdhsa_user_sgpr_kernarg_segment_ptr 1
		.amdhsa_user_sgpr_dispatch_id 0
		.amdhsa_user_sgpr_flat_scratch_init 0
		.amdhsa_user_sgpr_private_segment_size 0
		.amdhsa_wavefront_size32 1
		.amdhsa_uses_dynamic_stack 0
		.amdhsa_system_sgpr_private_segment_wavefront_offset 0
		.amdhsa_system_sgpr_workgroup_id_x 1
		.amdhsa_system_sgpr_workgroup_id_y 1
		.amdhsa_system_sgpr_workgroup_id_z 1
		.amdhsa_system_sgpr_workgroup_info 0
		.amdhsa_system_vgpr_workitem_id 0
		.amdhsa_next_free_vgpr 52
		.amdhsa_next_free_sgpr 44
		.amdhsa_reserve_vcc 1
		.amdhsa_reserve_flat_scratch 0
		.amdhsa_float_round_mode_32 0
		.amdhsa_float_round_mode_16_64 0
		.amdhsa_float_denorm_mode_32 3
		.amdhsa_float_denorm_mode_16_64 3
		.amdhsa_dx10_clamp 1
		.amdhsa_ieee_mode 1
		.amdhsa_fp16_overflow 0
		.amdhsa_workgroup_processor_mode 1
		.amdhsa_memory_ordered 1
		.amdhsa_forward_progress 1
		.amdhsa_shared_vgpr_count 0
		.amdhsa_exception_fp_ieee_invalid_op 0
		.amdhsa_exception_fp_denorm_src 0
		.amdhsa_exception_fp_ieee_div_zero 0
		.amdhsa_exception_fp_ieee_overflow 0
		.amdhsa_exception_fp_ieee_underflow 0
		.amdhsa_exception_fp_ieee_inexact 0
		.amdhsa_exception_int_div_zero 0
	.end_amdhsa_kernel
	.section	.text._ZN4vllm25paged_attention_v2_kernelIthLi64ELi8ELi128ELNS_18Fp8KVCacheDataTypeE1ELb0ELi512EEEvPfS2_PT_PKS3_PKT0_S9_ifPKiSB_iPKfiiiSD_SD_iiiii,"axG",@progbits,_ZN4vllm25paged_attention_v2_kernelIthLi64ELi8ELi128ELNS_18Fp8KVCacheDataTypeE1ELb0ELi512EEEvPfS2_PT_PKS3_PKT0_S9_ifPKiSB_iPKfiiiSD_SD_iiiii,comdat
.Lfunc_end271:
	.size	_ZN4vllm25paged_attention_v2_kernelIthLi64ELi8ELi128ELNS_18Fp8KVCacheDataTypeE1ELb0ELi512EEEvPfS2_PT_PKS3_PKT0_S9_ifPKiSB_iPKfiiiSD_SD_iiiii, .Lfunc_end271-_ZN4vllm25paged_attention_v2_kernelIthLi64ELi8ELi128ELNS_18Fp8KVCacheDataTypeE1ELb0ELi512EEEvPfS2_PT_PKS3_PKT0_S9_ifPKiSB_iPKfiiiSD_SD_iiiii
                                        ; -- End function
	.set _ZN4vllm25paged_attention_v2_kernelIthLi64ELi8ELi128ELNS_18Fp8KVCacheDataTypeE1ELb0ELi512EEEvPfS2_PT_PKS3_PKT0_S9_ifPKiSB_iPKfiiiSD_SD_iiiii.num_vgpr, 52
	.set _ZN4vllm25paged_attention_v2_kernelIthLi64ELi8ELi128ELNS_18Fp8KVCacheDataTypeE1ELb0ELi512EEEvPfS2_PT_PKS3_PKT0_S9_ifPKiSB_iPKfiiiSD_SD_iiiii.num_agpr, 0
	.set _ZN4vllm25paged_attention_v2_kernelIthLi64ELi8ELi128ELNS_18Fp8KVCacheDataTypeE1ELb0ELi512EEEvPfS2_PT_PKS3_PKT0_S9_ifPKiSB_iPKfiiiSD_SD_iiiii.numbered_sgpr, 44
	.set _ZN4vllm25paged_attention_v2_kernelIthLi64ELi8ELi128ELNS_18Fp8KVCacheDataTypeE1ELb0ELi512EEEvPfS2_PT_PKS3_PKT0_S9_ifPKiSB_iPKfiiiSD_SD_iiiii.num_named_barrier, 0
	.set _ZN4vllm25paged_attention_v2_kernelIthLi64ELi8ELi128ELNS_18Fp8KVCacheDataTypeE1ELb0ELi512EEEvPfS2_PT_PKS3_PKT0_S9_ifPKiSB_iPKfiiiSD_SD_iiiii.private_seg_size, 0
	.set _ZN4vllm25paged_attention_v2_kernelIthLi64ELi8ELi128ELNS_18Fp8KVCacheDataTypeE1ELb0ELi512EEEvPfS2_PT_PKS3_PKT0_S9_ifPKiSB_iPKfiiiSD_SD_iiiii.uses_vcc, 1
	.set _ZN4vllm25paged_attention_v2_kernelIthLi64ELi8ELi128ELNS_18Fp8KVCacheDataTypeE1ELb0ELi512EEEvPfS2_PT_PKS3_PKT0_S9_ifPKiSB_iPKfiiiSD_SD_iiiii.uses_flat_scratch, 0
	.set _ZN4vllm25paged_attention_v2_kernelIthLi64ELi8ELi128ELNS_18Fp8KVCacheDataTypeE1ELb0ELi512EEEvPfS2_PT_PKS3_PKT0_S9_ifPKiSB_iPKfiiiSD_SD_iiiii.has_dyn_sized_stack, 0
	.set _ZN4vllm25paged_attention_v2_kernelIthLi64ELi8ELi128ELNS_18Fp8KVCacheDataTypeE1ELb0ELi512EEEvPfS2_PT_PKS3_PKT0_S9_ifPKiSB_iPKfiiiSD_SD_iiiii.has_recursion, 0
	.set _ZN4vllm25paged_attention_v2_kernelIthLi64ELi8ELi128ELNS_18Fp8KVCacheDataTypeE1ELb0ELi512EEEvPfS2_PT_PKS3_PKT0_S9_ifPKiSB_iPKfiiiSD_SD_iiiii.has_indirect_call, 0
	.section	.AMDGPU.csdata,"",@progbits
; Kernel info:
; codeLenInByte = 11176
; TotalNumSgprs: 46
; NumVgprs: 52
; ScratchSize: 0
; MemoryBound: 0
; FloatMode: 240
; IeeeMode: 1
; LDSByteSize: 160 bytes/workgroup (compile time only)
; SGPRBlocks: 0
; VGPRBlocks: 6
; NumSGPRsForWavesPerEU: 46
; NumVGPRsForWavesPerEU: 52
; Occupancy: 16
; WaveLimiterHint : 1
; COMPUTE_PGM_RSRC2:SCRATCH_EN: 0
; COMPUTE_PGM_RSRC2:USER_SGPR: 6
; COMPUTE_PGM_RSRC2:TRAP_HANDLER: 0
; COMPUTE_PGM_RSRC2:TGID_X_EN: 1
; COMPUTE_PGM_RSRC2:TGID_Y_EN: 1
; COMPUTE_PGM_RSRC2:TGID_Z_EN: 1
; COMPUTE_PGM_RSRC2:TIDIG_COMP_CNT: 0
	.section	.text._ZN4vllm25paged_attention_v2_kernelIthLi80ELi8ELi128ELNS_18Fp8KVCacheDataTypeE1ELb0ELi512EEEvPfS2_PT_PKS3_PKT0_S9_ifPKiSB_iPKfiiiSD_SD_iiiii,"axG",@progbits,_ZN4vllm25paged_attention_v2_kernelIthLi80ELi8ELi128ELNS_18Fp8KVCacheDataTypeE1ELb0ELi512EEEvPfS2_PT_PKS3_PKT0_S9_ifPKiSB_iPKfiiiSD_SD_iiiii,comdat
	.protected	_ZN4vllm25paged_attention_v2_kernelIthLi80ELi8ELi128ELNS_18Fp8KVCacheDataTypeE1ELb0ELi512EEEvPfS2_PT_PKS3_PKT0_S9_ifPKiSB_iPKfiiiSD_SD_iiiii ; -- Begin function _ZN4vllm25paged_attention_v2_kernelIthLi80ELi8ELi128ELNS_18Fp8KVCacheDataTypeE1ELb0ELi512EEEvPfS2_PT_PKS3_PKT0_S9_ifPKiSB_iPKfiiiSD_SD_iiiii
	.globl	_ZN4vllm25paged_attention_v2_kernelIthLi80ELi8ELi128ELNS_18Fp8KVCacheDataTypeE1ELb0ELi512EEEvPfS2_PT_PKS3_PKT0_S9_ifPKiSB_iPKfiiiSD_SD_iiiii
	.p2align	8
	.type	_ZN4vllm25paged_attention_v2_kernelIthLi80ELi8ELi128ELNS_18Fp8KVCacheDataTypeE1ELb0ELi512EEEvPfS2_PT_PKS3_PKT0_S9_ifPKiSB_iPKfiiiSD_SD_iiiii,@function
_ZN4vllm25paged_attention_v2_kernelIthLi80ELi8ELi128ELNS_18Fp8KVCacheDataTypeE1ELb0ELi512EEEvPfS2_PT_PKS3_PKT0_S9_ifPKiSB_iPKfiiiSD_SD_iiiii: ; @_ZN4vllm25paged_attention_v2_kernelIthLi80ELi8ELi128ELNS_18Fp8KVCacheDataTypeE1ELb0ELi512EEEvPfS2_PT_PKS3_PKT0_S9_ifPKiSB_iPKfiiiSD_SD_iiiii
; %bb.0:
	s_load_dwordx2 s[0:1], s[4:5], 0x40
	s_mov_b32 s26, s7
	s_ashr_i32 s27, s7, 31
	s_lshl_b64 s[2:3], s[26:27], 2
	s_waitcnt lgkmcnt(0)
	s_add_u32 s0, s0, s2
	s_addc_u32 s1, s1, s3
	s_lshl_b32 s33, s8, 9
	s_load_dword s27, s[0:1], 0x0
	s_waitcnt lgkmcnt(0)
	s_cmp_ge_i32 s33, s27
	s_cbranch_scc1 .LBB272_411
; %bb.1:
	s_clause 0x1
	s_load_dword s9, s[4:5], 0x90
	s_load_dwordx2 s[36:37], s[4:5], 0x30
	s_waitcnt lgkmcnt(0)
	s_abs_i32 s3, s9
	s_abs_i32 s0, s36
	v_cvt_f32_u32_e32 v1, s0
	s_sub_i32 s2, 0, s0
	v_rcp_iflag_f32_e32 v1, v1
	v_mul_f32_e32 v1, 0x4f7ffffe, v1
	v_cvt_u32_f32_e32 v1, v1
	v_readfirstlane_b32 s1, v1
	s_mul_i32 s2, s2, s1
	s_mul_hi_u32 s2, s1, s2
	s_add_i32 s1, s1, s2
	s_xor_b32 s2, s9, s36
	s_mul_hi_u32 s1, s3, s1
	s_ashr_i32 s2, s2, 31
	s_mul_i32 s7, s1, s0
	s_mov_b32 s36, 0
	s_sub_i32 s3, s3, s7
	s_add_i32 s7, s1, 1
	s_sub_i32 s10, s3, s0
	s_cmp_ge_u32 s3, s0
	s_cselect_b32 s1, s7, s1
	s_cselect_b32 s3, s10, s3
	s_add_i32 s7, s1, 1
	s_cmp_ge_u32 s3, s0
	s_cselect_b32 s0, s7, s1
	s_abs_i32 s12, s6
	s_xor_b32 s0, s0, s2
	s_sub_i32 s10, s0, s2
	s_load_dwordx2 s[0:1], s[4:5], 0x50
	s_abs_i32 s2, s10
	v_cvt_f32_u32_e32 v1, s2
	s_sub_i32 s7, 0, s2
	v_rcp_iflag_f32_e32 v1, v1
	v_mul_f32_e32 v1, 0x4f7ffffe, v1
	v_cvt_u32_f32_e32 v1, v1
	v_readfirstlane_b32 s3, v1
	s_mul_i32 s7, s7, s3
	s_mul_hi_u32 s7, s3, s7
	s_add_i32 s3, s3, s7
	s_waitcnt lgkmcnt(0)
	s_cmp_eq_u64 s[0:1], 0
	s_mul_hi_u32 s3, s12, s3
	s_cbranch_scc1 .LBB272_3
; %bb.2:
	s_ashr_i32 s7, s6, 31
	s_lshl_b64 s[14:15], s[6:7], 2
	s_add_u32 s0, s0, s14
	s_addc_u32 s1, s1, s15
	s_load_dword s36, s[0:1], 0x0
.LBB272_3:
	s_load_dwordx4 s[16:19], s[4:5], 0x58
	v_and_b32_e32 v3, 3, v0
	s_ashr_i32 s0, s6, 31
	s_ashr_i32 s1, s10, 31
	s_mul_i32 s10, s6, 0x50
	s_mov_b32 s7, exec_lo
	v_cmpx_gt_u32_e32 40, v0
	s_cbranch_execz .LBB272_5
; %bb.4:
	s_load_dwordx2 s[14:15], s[4:5], 0x18
	s_waitcnt lgkmcnt(0)
	s_mul_i32 s20, s16, s26
	v_lshlrev_b32_e32 v1, 2, v0
	s_ashr_i32 s21, s20, 31
	v_and_b32_e32 v2, 0x3fc, v0
	s_lshl_b64 s[20:21], s[20:21], 1
	v_mad_u32_u24 v2, v3, 40, v2
	s_add_u32 s13, s14, s20
	s_addc_u32 s16, s15, s21
	s_ashr_i32 s11, s10, 31
	s_lshl_b64 s[14:15], s[10:11], 1
	s_add_u32 s14, s13, s14
	s_addc_u32 s15, s16, s15
	global_load_dword v1, v1, s[14:15]
	s_waitcnt vmcnt(0)
	ds_write_b32 v2, v1
.LBB272_5:
	s_or_b32 exec_lo, exec_lo, s7
	s_add_i32 s7, s27, 7
	s_clause 0x1
	s_load_dwordx2 s[28:29], s[4:5], 0x38
	s_load_dword s13, s[4:5], 0x48
	s_ashr_i32 s11, s7, 31
	s_waitcnt lgkmcnt(0)
	s_lshl_b32 s19, s8, 6
	s_lshr_b32 s11, s11, 29
	s_xor_b32 s0, s0, s1
	s_add_i32 s7, s7, s11
	s_add_i32 s1, s19, 64
	s_ashr_i32 s7, s7, 3
	s_mul_i32 s11, s3, s2
	s_min_i32 s16, s1, s7
	s_sub_i32 s1, s12, s11
	s_add_i32 s11, s3, 1
	s_sub_i32 s12, s1, s2
	s_cmp_ge_u32 s1, s2
	v_lshrrev_b32_e32 v12, 5, v0
	s_cselect_b32 s3, s11, s3
	s_cselect_b32 s1, s12, s1
	s_add_i32 s11, s3, 1
	s_cmp_ge_u32 s1, s2
	v_or_b32_e32 v1, s19, v12
	s_cselect_b32 s1, s11, s3
	v_mbcnt_lo_u32_b32 v15, -1, 0
	s_xor_b32 s1, s1, s0
	s_mul_i32 s30, s13, s26
	s_sub_i32 s1, s1, s0
	v_cmp_gt_i32_e64 s0, s16, v1
	s_ashr_i32 s31, s30, 31
	s_mov_b32 s2, exec_lo
	s_barrier
	buffer_gl0_inv
                                        ; implicit-def: $vgpr4
                                        ; implicit-def: $vgpr14
	v_cmpx_le_i32_e64 s16, v1
	s_xor_b32 s2, exec_lo, s2
; %bb.6:
	v_mov_b32_e32 v4, 0
	v_mbcnt_lo_u32_b32 v15, -1, 0
	v_mov_b32_e32 v14, 32
                                        ; implicit-def: $vgpr3
; %bb.7:
	s_or_saveexec_b32 s38, s2
	s_clause 0x4
	s_load_dwordx4 s[20:23], s[4:5], 0x0
	s_load_dwordx2 s[24:25], s[4:5], 0x10
	s_load_dword s11, s[4:5], 0x98
	s_load_dwordx2 s[34:35], s[4:5], 0x28
	s_load_dwordx4 s[12:15], s[4:5], 0x68
	v_mov_b32_e32 v13, 0xff7fffff
	v_ashrrev_i32_e32 v2, 31, v1
	v_lshlrev_b32_e32 v11, 3, v12
	s_mul_i32 s18, s1, s18
	s_xor_b32 exec_lo, exec_lo, s38
	s_cbranch_execz .LBB272_173
; %bb.8:
	s_load_dwordx2 s[2:3], s[4:5], 0x20
	v_bfe_u32 v5, v0, 2, 3
	v_lshlrev_b32_e32 v9, 1, v3
	v_mul_u32_u24_e32 v16, 40, v3
	v_cmp_eq_u32_e32 vcc_lo, 0, v3
	s_ashr_i32 s4, s18, 31
	v_lshlrev_b32_e32 v6, 2, v5
	v_lshlrev_b64 v[7:8], 2, v[1:2]
	v_add3_u32 v17, s33, v11, v5
	v_mov_b32_e32 v4, 0
	v_cmp_neq_f32_e64 s1, s36, 0
	v_lshl_or_b32 v3, v12, 5, v6
	v_lshlrev_b32_e32 v6, 4, v5
	v_mov_b32_e32 v13, 0xff7fffff
	v_mov_b32_e32 v14, 32
	;; [unrolled: 1-line block ×3, first 2 shown]
	v_add_nc_u32_e32 v18, 0xc0, v3
	v_mov_b32_e32 v20, 0x7f
	v_mov_b32_e32 v21, 7
	;; [unrolled: 1-line block ×3, first 2 shown]
	s_waitcnt lgkmcnt(0)
	s_add_u32 s5, s2, s18
	s_addc_u32 s39, s3, s4
	v_add_co_u32 v3, s5, s5, v6
	v_add_co_ci_u32_e64 v6, null, s39, 0, s5
	s_lshl_b64 s[2:3], s[30:31], 2
	s_sub_i32 s4, 1, s27
	s_add_u32 s5, s28, s2
	v_add_co_u32 v5, s2, v3, v9
	s_addc_u32 s3, s29, s3
	v_add_co_ci_u32_e64 v6, null, 0, v6, s2
	v_add_co_u32 v7, s2, s5, v7
	v_add_co_ci_u32_e64 v8, null, s3, v8, s2
	v_mov_b32_e32 v23, v1
	s_mov_b32 s39, s17
	s_mov_b32 s5, 0
	s_branch .LBB272_10
.LBB272_9:                              ;   in Loop: Header=BB272_10 Depth=1
	s_or_b32 exec_lo, exec_lo, s3
	v_add_nc_u32_e32 v23, 4, v23
	v_add_co_u32 v7, s3, v7, 16
	v_add_nc_u32_e32 v17, 32, v17
	v_add_nc_u32_e32 v18, 0x80, v18
	v_cmp_le_i32_e64 s2, s16, v23
	v_add_co_ci_u32_e64 v8, null, 0, v8, s3
	s_or_b32 s5, s2, s5
	s_andn2_b32 exec_lo, exec_lo, s5
	s_cbranch_execz .LBB272_172
.LBB272_10:                             ; =>This Inner Loop Header: Depth=1
	global_load_dword v3, v[7:8], off
	s_waitcnt vmcnt(0) lgkmcnt(0)
	v_mad_i64_i32 v[9:10], null, v3, s39, v[5:6]
	global_load_ushort v25, v[9:10], off
	global_load_dword v24, v4, s[12:13]
	s_waitcnt vmcnt(1)
	v_and_b32_e32 v3, 0xffff, v25
	v_cmp_ne_u16_sdwa s2, v25, v4 src0_sel:BYTE_0 src1_sel:DWORD
	v_mov_b32_e32 v25, 0
	s_and_saveexec_b32 s3, s2
	s_cbranch_execz .LBB272_18
; %bb.11:                               ;   in Loop: Header=BB272_10 Depth=1
	v_cmp_ne_u16_sdwa s2, v3, v19 src0_sel:BYTE_0 src1_sel:DWORD
	v_mov_b32_e32 v25, 0x8000
	s_and_saveexec_b32 s40, s2
	s_cbranch_execz .LBB272_17
; %bb.12:                               ;   in Loop: Header=BB272_10 Depth=1
	v_and_b32_e32 v27, 0x7f, v3
	v_mov_b32_e32 v25, 0x7c01
	s_mov_b32 s41, exec_lo
	v_cmpx_ne_u32_e32 0x7f, v27
	s_cbranch_execz .LBB272_16
; %bb.13:                               ;   in Loop: Header=BB272_10 Depth=1
	v_and_b32_e32 v25, 7, v3
	v_lshrrev_b32_e32 v26, 3, v27
	s_mov_b32 s42, exec_lo
	v_cmpx_gt_u32_e32 8, v27
; %bb.14:                               ;   in Loop: Header=BB272_10 Depth=1
	v_ffbh_u32_e32 v25, v25
	v_min_u32_e32 v27, 32, v25
	v_subrev_nc_u32_e32 v25, 28, v27
	v_lshlrev_b64 v[25:26], v25, v[3:4]
	v_sub_nc_u32_e32 v26, 29, v27
	v_and_b32_e32 v25, 7, v25
; %bb.15:                               ;   in Loop: Header=BB272_10 Depth=1
	s_or_b32 exec_lo, exec_lo, s42
	v_lshlrev_b32_e32 v27, 8, v3
	v_lshl_add_u32 v26, v26, 10, 0x2000
	v_lshlrev_b32_e32 v25, 7, v25
	v_and_b32_e32 v27, 0x8000, v27
	v_and_b32_e32 v26, 0xfc00, v26
	v_or3_b32 v25, v27, v26, v25
.LBB272_16:                             ;   in Loop: Header=BB272_10 Depth=1
	s_or_b32 exec_lo, exec_lo, s41
.LBB272_17:                             ;   in Loop: Header=BB272_10 Depth=1
	s_or_b32 exec_lo, exec_lo, s40
.LBB272_18:                             ;   in Loop: Header=BB272_10 Depth=1
	s_or_b32 exec_lo, exec_lo, s3
	v_lshrrev_b16 v3, 8, v3
	v_mov_b32_e32 v26, 0
	s_mov_b32 s3, exec_lo
	v_cmpx_ne_u16_e32 0, v3
	s_cbranch_execz .LBB272_26
; %bb.19:                               ;   in Loop: Header=BB272_10 Depth=1
	v_bfrev_b32_e32 v26, 1
	s_mov_b32 s40, exec_lo
	v_cmpx_ne_u16_e32 0x80, v3
	s_cbranch_execz .LBB272_25
; %bb.20:                               ;   in Loop: Header=BB272_10 Depth=1
	v_and_b32_sdwa v28, v3, v20 dst_sel:DWORD dst_unused:UNUSED_PAD src0_sel:WORD_0 src1_sel:DWORD
	v_mov_b32_e32 v26, 0x7c010000
	s_mov_b32 s41, exec_lo
	v_cmpx_ne_u32_e32 0x7f, v28
	s_cbranch_execz .LBB272_24
; %bb.21:                               ;   in Loop: Header=BB272_10 Depth=1
	v_and_b32_sdwa v26, v3, v21 dst_sel:DWORD dst_unused:UNUSED_PAD src0_sel:WORD_0 src1_sel:DWORD
	v_lshrrev_b32_e32 v27, 3, v28
	s_mov_b32 s42, exec_lo
	v_cmpx_gt_u32_e32 8, v28
; %bb.22:                               ;   in Loop: Header=BB272_10 Depth=1
	v_ffbh_u32_e32 v26, v26
	v_min_u32_e32 v28, 32, v26
	v_subrev_nc_u32_e32 v26, 28, v28
	v_lshlrev_b64 v[26:27], v26, v[3:4]
	v_sub_nc_u32_e32 v27, 29, v28
	v_and_b32_e32 v26, 7, v26
; %bb.23:                               ;   in Loop: Header=BB272_10 Depth=1
	s_or_b32 exec_lo, exec_lo, s42
	v_lshlrev_b32_sdwa v3, v22, v3 dst_sel:DWORD dst_unused:UNUSED_PAD src0_sel:DWORD src1_sel:WORD_0
	v_lshl_add_u32 v27, v27, 10, 0x2000
	v_lshlrev_b32_e32 v26, 23, v26
	v_and_or_b32 v3, 0x8000, v3, v27
	v_lshl_or_b32 v26, v3, 16, v26
.LBB272_24:                             ;   in Loop: Header=BB272_10 Depth=1
	s_or_b32 exec_lo, exec_lo, s41
.LBB272_25:                             ;   in Loop: Header=BB272_10 Depth=1
	s_or_b32 exec_lo, exec_lo, s40
.LBB272_26:                             ;   in Loop: Header=BB272_10 Depth=1
	s_or_b32 exec_lo, exec_lo, s3
	global_load_ushort v28, v[9:10], off offset:8
	v_mov_b32_e32 v27, 0
	s_waitcnt vmcnt(0)
	v_and_b32_e32 v3, 0xffff, v28
	v_cmp_ne_u16_sdwa s2, v28, v4 src0_sel:BYTE_0 src1_sel:DWORD
	v_mov_b32_e32 v28, 0
	s_and_saveexec_b32 s3, s2
	s_cbranch_execz .LBB272_34
; %bb.27:                               ;   in Loop: Header=BB272_10 Depth=1
	v_cmp_ne_u16_sdwa s2, v3, v19 src0_sel:BYTE_0 src1_sel:DWORD
	v_mov_b32_e32 v28, 0x8000
	s_and_saveexec_b32 s40, s2
	s_cbranch_execz .LBB272_33
; %bb.28:                               ;   in Loop: Header=BB272_10 Depth=1
	v_and_b32_e32 v30, 0x7f, v3
	v_mov_b32_e32 v28, 0x7c01
	s_mov_b32 s41, exec_lo
	v_cmpx_ne_u32_e32 0x7f, v30
	s_cbranch_execz .LBB272_32
; %bb.29:                               ;   in Loop: Header=BB272_10 Depth=1
	v_and_b32_e32 v28, 7, v3
	v_lshrrev_b32_e32 v29, 3, v30
	s_mov_b32 s42, exec_lo
	v_cmpx_gt_u32_e32 8, v30
; %bb.30:                               ;   in Loop: Header=BB272_10 Depth=1
	v_ffbh_u32_e32 v28, v28
	v_min_u32_e32 v30, 32, v28
	v_subrev_nc_u32_e32 v28, 28, v30
	v_lshlrev_b64 v[28:29], v28, v[3:4]
	v_sub_nc_u32_e32 v29, 29, v30
	v_and_b32_e32 v28, 7, v28
; %bb.31:                               ;   in Loop: Header=BB272_10 Depth=1
	s_or_b32 exec_lo, exec_lo, s42
	v_lshlrev_b32_e32 v30, 8, v3
	v_lshl_add_u32 v29, v29, 10, 0x2000
	v_lshlrev_b32_e32 v28, 7, v28
	v_and_b32_e32 v30, 0x8000, v30
	v_and_b32_e32 v29, 0xfc00, v29
	v_or3_b32 v28, v30, v29, v28
.LBB272_32:                             ;   in Loop: Header=BB272_10 Depth=1
	s_or_b32 exec_lo, exec_lo, s41
.LBB272_33:                             ;   in Loop: Header=BB272_10 Depth=1
	s_or_b32 exec_lo, exec_lo, s40
.LBB272_34:                             ;   in Loop: Header=BB272_10 Depth=1
	s_or_b32 exec_lo, exec_lo, s3
	v_lshrrev_b16 v3, 8, v3
	s_mov_b32 s3, exec_lo
	v_cmpx_ne_u16_e32 0, v3
	s_cbranch_execz .LBB272_42
; %bb.35:                               ;   in Loop: Header=BB272_10 Depth=1
	v_bfrev_b32_e32 v27, 1
	s_mov_b32 s40, exec_lo
	v_cmpx_ne_u16_e32 0x80, v3
	s_cbranch_execz .LBB272_41
; %bb.36:                               ;   in Loop: Header=BB272_10 Depth=1
	v_and_b32_sdwa v30, v3, v20 dst_sel:DWORD dst_unused:UNUSED_PAD src0_sel:WORD_0 src1_sel:DWORD
	v_mov_b32_e32 v27, 0x7c010000
	s_mov_b32 s41, exec_lo
	v_cmpx_ne_u32_e32 0x7f, v30
	s_cbranch_execz .LBB272_40
; %bb.37:                               ;   in Loop: Header=BB272_10 Depth=1
	v_and_b32_sdwa v27, v3, v21 dst_sel:DWORD dst_unused:UNUSED_PAD src0_sel:WORD_0 src1_sel:DWORD
	v_lshrrev_b32_e32 v29, 3, v30
	s_mov_b32 s42, exec_lo
	v_cmpx_gt_u32_e32 8, v30
; %bb.38:                               ;   in Loop: Header=BB272_10 Depth=1
	v_ffbh_u32_e32 v27, v27
	v_min_u32_e32 v27, 32, v27
	v_subrev_nc_u32_e32 v29, 28, v27
	v_lshlrev_b64 v[30:31], v29, v[3:4]
	v_sub_nc_u32_e32 v29, 29, v27
	v_and_b32_e32 v27, 7, v30
; %bb.39:                               ;   in Loop: Header=BB272_10 Depth=1
	s_or_b32 exec_lo, exec_lo, s42
	v_lshlrev_b32_sdwa v3, v22, v3 dst_sel:DWORD dst_unused:UNUSED_PAD src0_sel:DWORD src1_sel:WORD_0
	v_lshl_add_u32 v29, v29, 10, 0x2000
	v_lshlrev_b32_e32 v27, 23, v27
	v_and_or_b32 v3, 0x8000, v3, v29
	v_lshl_or_b32 v27, v3, 16, v27
.LBB272_40:                             ;   in Loop: Header=BB272_10 Depth=1
	s_or_b32 exec_lo, exec_lo, s41
.LBB272_41:                             ;   in Loop: Header=BB272_10 Depth=1
	s_or_b32 exec_lo, exec_lo, s40
.LBB272_42:                             ;   in Loop: Header=BB272_10 Depth=1
	s_or_b32 exec_lo, exec_lo, s3
	global_load_ushort v30, v[9:10], off offset:128
	v_mov_b32_e32 v29, 0
	s_waitcnt vmcnt(0)
	v_and_b32_e32 v3, 0xffff, v30
	v_cmp_ne_u16_sdwa s2, v30, v4 src0_sel:BYTE_0 src1_sel:DWORD
	v_mov_b32_e32 v30, 0
	s_and_saveexec_b32 s3, s2
	s_cbranch_execz .LBB272_50
; %bb.43:                               ;   in Loop: Header=BB272_10 Depth=1
	v_cmp_ne_u16_sdwa s2, v3, v19 src0_sel:BYTE_0 src1_sel:DWORD
	v_mov_b32_e32 v30, 0x8000
	s_and_saveexec_b32 s40, s2
	s_cbranch_execz .LBB272_49
; %bb.44:                               ;   in Loop: Header=BB272_10 Depth=1
	v_and_b32_e32 v32, 0x7f, v3
	v_mov_b32_e32 v30, 0x7c01
	s_mov_b32 s41, exec_lo
	v_cmpx_ne_u32_e32 0x7f, v32
	s_cbranch_execz .LBB272_48
; %bb.45:                               ;   in Loop: Header=BB272_10 Depth=1
	v_and_b32_e32 v30, 7, v3
	v_lshrrev_b32_e32 v31, 3, v32
	s_mov_b32 s42, exec_lo
	v_cmpx_gt_u32_e32 8, v32
; %bb.46:                               ;   in Loop: Header=BB272_10 Depth=1
	v_ffbh_u32_e32 v30, v30
	v_min_u32_e32 v32, 32, v30
	v_subrev_nc_u32_e32 v30, 28, v32
	v_lshlrev_b64 v[30:31], v30, v[3:4]
	v_sub_nc_u32_e32 v31, 29, v32
	v_and_b32_e32 v30, 7, v30
; %bb.47:                               ;   in Loop: Header=BB272_10 Depth=1
	s_or_b32 exec_lo, exec_lo, s42
	v_lshlrev_b32_e32 v32, 8, v3
	v_lshl_add_u32 v31, v31, 10, 0x2000
	v_lshlrev_b32_e32 v30, 7, v30
	v_and_b32_e32 v32, 0x8000, v32
	v_and_b32_e32 v31, 0xfc00, v31
	v_or3_b32 v30, v32, v31, v30
.LBB272_48:                             ;   in Loop: Header=BB272_10 Depth=1
	s_or_b32 exec_lo, exec_lo, s41
.LBB272_49:                             ;   in Loop: Header=BB272_10 Depth=1
	s_or_b32 exec_lo, exec_lo, s40
.LBB272_50:                             ;   in Loop: Header=BB272_10 Depth=1
	s_or_b32 exec_lo, exec_lo, s3
	v_lshrrev_b16 v3, 8, v3
	s_mov_b32 s3, exec_lo
	v_cmpx_ne_u16_e32 0, v3
	s_cbranch_execz .LBB272_58
; %bb.51:                               ;   in Loop: Header=BB272_10 Depth=1
	v_bfrev_b32_e32 v29, 1
	s_mov_b32 s40, exec_lo
	v_cmpx_ne_u16_e32 0x80, v3
	s_cbranch_execz .LBB272_57
; %bb.52:                               ;   in Loop: Header=BB272_10 Depth=1
	v_and_b32_sdwa v32, v3, v20 dst_sel:DWORD dst_unused:UNUSED_PAD src0_sel:WORD_0 src1_sel:DWORD
	v_mov_b32_e32 v29, 0x7c010000
	s_mov_b32 s41, exec_lo
	v_cmpx_ne_u32_e32 0x7f, v32
	s_cbranch_execz .LBB272_56
; %bb.53:                               ;   in Loop: Header=BB272_10 Depth=1
	v_and_b32_sdwa v29, v3, v21 dst_sel:DWORD dst_unused:UNUSED_PAD src0_sel:WORD_0 src1_sel:DWORD
	v_lshrrev_b32_e32 v31, 3, v32
	s_mov_b32 s42, exec_lo
	v_cmpx_gt_u32_e32 8, v32
; %bb.54:                               ;   in Loop: Header=BB272_10 Depth=1
	v_ffbh_u32_e32 v29, v29
	v_min_u32_e32 v29, 32, v29
	v_subrev_nc_u32_e32 v31, 28, v29
	v_lshlrev_b64 v[32:33], v31, v[3:4]
	v_sub_nc_u32_e32 v31, 29, v29
	v_and_b32_e32 v29, 7, v32
; %bb.55:                               ;   in Loop: Header=BB272_10 Depth=1
	s_or_b32 exec_lo, exec_lo, s42
	v_lshlrev_b32_sdwa v3, v22, v3 dst_sel:DWORD dst_unused:UNUSED_PAD src0_sel:DWORD src1_sel:WORD_0
	v_lshl_add_u32 v31, v31, 10, 0x2000
	v_lshlrev_b32_e32 v29, 23, v29
	v_and_or_b32 v3, 0x8000, v3, v31
	v_lshl_or_b32 v29, v3, 16, v29
.LBB272_56:                             ;   in Loop: Header=BB272_10 Depth=1
	s_or_b32 exec_lo, exec_lo, s41
.LBB272_57:                             ;   in Loop: Header=BB272_10 Depth=1
	s_or_b32 exec_lo, exec_lo, s40
.LBB272_58:                             ;   in Loop: Header=BB272_10 Depth=1
	s_or_b32 exec_lo, exec_lo, s3
	global_load_ushort v32, v[9:10], off offset:136
	v_mov_b32_e32 v31, 0
	s_waitcnt vmcnt(0)
	v_and_b32_e32 v3, 0xffff, v32
	v_cmp_ne_u16_sdwa s2, v32, v4 src0_sel:BYTE_0 src1_sel:DWORD
	v_mov_b32_e32 v32, 0
	s_and_saveexec_b32 s3, s2
	s_cbranch_execz .LBB272_66
; %bb.59:                               ;   in Loop: Header=BB272_10 Depth=1
	v_cmp_ne_u16_sdwa s2, v3, v19 src0_sel:BYTE_0 src1_sel:DWORD
	v_mov_b32_e32 v32, 0x8000
	s_and_saveexec_b32 s40, s2
	s_cbranch_execz .LBB272_65
; %bb.60:                               ;   in Loop: Header=BB272_10 Depth=1
	v_and_b32_e32 v34, 0x7f, v3
	v_mov_b32_e32 v32, 0x7c01
	s_mov_b32 s41, exec_lo
	v_cmpx_ne_u32_e32 0x7f, v34
	s_cbranch_execz .LBB272_64
; %bb.61:                               ;   in Loop: Header=BB272_10 Depth=1
	v_and_b32_e32 v32, 7, v3
	v_lshrrev_b32_e32 v33, 3, v34
	s_mov_b32 s42, exec_lo
	v_cmpx_gt_u32_e32 8, v34
; %bb.62:                               ;   in Loop: Header=BB272_10 Depth=1
	v_ffbh_u32_e32 v32, v32
	v_min_u32_e32 v34, 32, v32
	v_subrev_nc_u32_e32 v32, 28, v34
	v_lshlrev_b64 v[32:33], v32, v[3:4]
	v_sub_nc_u32_e32 v33, 29, v34
	v_and_b32_e32 v32, 7, v32
; %bb.63:                               ;   in Loop: Header=BB272_10 Depth=1
	s_or_b32 exec_lo, exec_lo, s42
	v_lshlrev_b32_e32 v34, 8, v3
	v_lshl_add_u32 v33, v33, 10, 0x2000
	v_lshlrev_b32_e32 v32, 7, v32
	v_and_b32_e32 v34, 0x8000, v34
	v_and_b32_e32 v33, 0xfc00, v33
	v_or3_b32 v32, v34, v33, v32
.LBB272_64:                             ;   in Loop: Header=BB272_10 Depth=1
	s_or_b32 exec_lo, exec_lo, s41
.LBB272_65:                             ;   in Loop: Header=BB272_10 Depth=1
	s_or_b32 exec_lo, exec_lo, s40
.LBB272_66:                             ;   in Loop: Header=BB272_10 Depth=1
	s_or_b32 exec_lo, exec_lo, s3
	v_lshrrev_b16 v3, 8, v3
	s_mov_b32 s3, exec_lo
	v_cmpx_ne_u16_e32 0, v3
	s_cbranch_execz .LBB272_74
; %bb.67:                               ;   in Loop: Header=BB272_10 Depth=1
	v_bfrev_b32_e32 v31, 1
	s_mov_b32 s40, exec_lo
	v_cmpx_ne_u16_e32 0x80, v3
	s_cbranch_execz .LBB272_73
; %bb.68:                               ;   in Loop: Header=BB272_10 Depth=1
	v_and_b32_sdwa v34, v3, v20 dst_sel:DWORD dst_unused:UNUSED_PAD src0_sel:WORD_0 src1_sel:DWORD
	v_mov_b32_e32 v31, 0x7c010000
	s_mov_b32 s41, exec_lo
	v_cmpx_ne_u32_e32 0x7f, v34
	s_cbranch_execz .LBB272_72
; %bb.69:                               ;   in Loop: Header=BB272_10 Depth=1
	v_and_b32_sdwa v31, v3, v21 dst_sel:DWORD dst_unused:UNUSED_PAD src0_sel:WORD_0 src1_sel:DWORD
	v_lshrrev_b32_e32 v33, 3, v34
	s_mov_b32 s42, exec_lo
	v_cmpx_gt_u32_e32 8, v34
; %bb.70:                               ;   in Loop: Header=BB272_10 Depth=1
	v_ffbh_u32_e32 v31, v31
	v_min_u32_e32 v31, 32, v31
	v_subrev_nc_u32_e32 v33, 28, v31
	v_lshlrev_b64 v[34:35], v33, v[3:4]
	v_sub_nc_u32_e32 v33, 29, v31
	v_and_b32_e32 v31, 7, v34
; %bb.71:                               ;   in Loop: Header=BB272_10 Depth=1
	s_or_b32 exec_lo, exec_lo, s42
	v_lshlrev_b32_sdwa v3, v22, v3 dst_sel:DWORD dst_unused:UNUSED_PAD src0_sel:DWORD src1_sel:WORD_0
	v_lshl_add_u32 v33, v33, 10, 0x2000
	v_lshlrev_b32_e32 v31, 23, v31
	v_and_or_b32 v3, 0x8000, v3, v33
	v_lshl_or_b32 v31, v3, 16, v31
.LBB272_72:                             ;   in Loop: Header=BB272_10 Depth=1
	s_or_b32 exec_lo, exec_lo, s41
.LBB272_73:                             ;   in Loop: Header=BB272_10 Depth=1
	s_or_b32 exec_lo, exec_lo, s40
.LBB272_74:                             ;   in Loop: Header=BB272_10 Depth=1
	s_or_b32 exec_lo, exec_lo, s3
	global_load_ushort v34, v[9:10], off offset:256
	v_mov_b32_e32 v33, 0
	s_waitcnt vmcnt(0)
	v_and_b32_e32 v3, 0xffff, v34
	v_cmp_ne_u16_sdwa s2, v34, v4 src0_sel:BYTE_0 src1_sel:DWORD
	v_mov_b32_e32 v34, 0
	s_and_saveexec_b32 s3, s2
	s_cbranch_execz .LBB272_82
; %bb.75:                               ;   in Loop: Header=BB272_10 Depth=1
	v_cmp_ne_u16_sdwa s2, v3, v19 src0_sel:BYTE_0 src1_sel:DWORD
	v_mov_b32_e32 v34, 0x8000
	s_and_saveexec_b32 s40, s2
	s_cbranch_execz .LBB272_81
; %bb.76:                               ;   in Loop: Header=BB272_10 Depth=1
	v_and_b32_e32 v36, 0x7f, v3
	v_mov_b32_e32 v34, 0x7c01
	s_mov_b32 s41, exec_lo
	v_cmpx_ne_u32_e32 0x7f, v36
	s_cbranch_execz .LBB272_80
; %bb.77:                               ;   in Loop: Header=BB272_10 Depth=1
	v_and_b32_e32 v34, 7, v3
	v_lshrrev_b32_e32 v35, 3, v36
	s_mov_b32 s42, exec_lo
	v_cmpx_gt_u32_e32 8, v36
; %bb.78:                               ;   in Loop: Header=BB272_10 Depth=1
	v_ffbh_u32_e32 v34, v34
	v_min_u32_e32 v36, 32, v34
	v_subrev_nc_u32_e32 v34, 28, v36
	v_lshlrev_b64 v[34:35], v34, v[3:4]
	v_sub_nc_u32_e32 v35, 29, v36
	v_and_b32_e32 v34, 7, v34
; %bb.79:                               ;   in Loop: Header=BB272_10 Depth=1
	s_or_b32 exec_lo, exec_lo, s42
	v_lshlrev_b32_e32 v36, 8, v3
	v_lshl_add_u32 v35, v35, 10, 0x2000
	v_lshlrev_b32_e32 v34, 7, v34
	v_and_b32_e32 v36, 0x8000, v36
	v_and_b32_e32 v35, 0xfc00, v35
	v_or3_b32 v34, v36, v35, v34
.LBB272_80:                             ;   in Loop: Header=BB272_10 Depth=1
	s_or_b32 exec_lo, exec_lo, s41
.LBB272_81:                             ;   in Loop: Header=BB272_10 Depth=1
	s_or_b32 exec_lo, exec_lo, s40
.LBB272_82:                             ;   in Loop: Header=BB272_10 Depth=1
	s_or_b32 exec_lo, exec_lo, s3
	v_lshrrev_b16 v3, 8, v3
	s_mov_b32 s3, exec_lo
	v_cmpx_ne_u16_e32 0, v3
	s_cbranch_execz .LBB272_90
; %bb.83:                               ;   in Loop: Header=BB272_10 Depth=1
	v_bfrev_b32_e32 v33, 1
	s_mov_b32 s40, exec_lo
	v_cmpx_ne_u16_e32 0x80, v3
	s_cbranch_execz .LBB272_89
; %bb.84:                               ;   in Loop: Header=BB272_10 Depth=1
	v_and_b32_sdwa v36, v3, v20 dst_sel:DWORD dst_unused:UNUSED_PAD src0_sel:WORD_0 src1_sel:DWORD
	v_mov_b32_e32 v33, 0x7c010000
	s_mov_b32 s41, exec_lo
	v_cmpx_ne_u32_e32 0x7f, v36
	s_cbranch_execz .LBB272_88
; %bb.85:                               ;   in Loop: Header=BB272_10 Depth=1
	v_and_b32_sdwa v33, v3, v21 dst_sel:DWORD dst_unused:UNUSED_PAD src0_sel:WORD_0 src1_sel:DWORD
	v_lshrrev_b32_e32 v35, 3, v36
	s_mov_b32 s42, exec_lo
	v_cmpx_gt_u32_e32 8, v36
; %bb.86:                               ;   in Loop: Header=BB272_10 Depth=1
	v_ffbh_u32_e32 v33, v33
	v_min_u32_e32 v33, 32, v33
	v_subrev_nc_u32_e32 v35, 28, v33
	v_lshlrev_b64 v[36:37], v35, v[3:4]
	v_sub_nc_u32_e32 v35, 29, v33
	v_and_b32_e32 v33, 7, v36
; %bb.87:                               ;   in Loop: Header=BB272_10 Depth=1
	s_or_b32 exec_lo, exec_lo, s42
	v_lshlrev_b32_sdwa v3, v22, v3 dst_sel:DWORD dst_unused:UNUSED_PAD src0_sel:DWORD src1_sel:WORD_0
	v_lshl_add_u32 v35, v35, 10, 0x2000
	v_lshlrev_b32_e32 v33, 23, v33
	v_and_or_b32 v3, 0x8000, v3, v35
	v_lshl_or_b32 v33, v3, 16, v33
.LBB272_88:                             ;   in Loop: Header=BB272_10 Depth=1
	s_or_b32 exec_lo, exec_lo, s41
.LBB272_89:                             ;   in Loop: Header=BB272_10 Depth=1
	s_or_b32 exec_lo, exec_lo, s40
.LBB272_90:                             ;   in Loop: Header=BB272_10 Depth=1
	s_or_b32 exec_lo, exec_lo, s3
	global_load_ushort v36, v[9:10], off offset:264
	v_mov_b32_e32 v35, 0
	s_waitcnt vmcnt(0)
	v_and_b32_e32 v3, 0xffff, v36
	v_cmp_ne_u16_sdwa s2, v36, v4 src0_sel:BYTE_0 src1_sel:DWORD
	v_mov_b32_e32 v36, 0
	s_and_saveexec_b32 s3, s2
	s_cbranch_execz .LBB272_98
; %bb.91:                               ;   in Loop: Header=BB272_10 Depth=1
	v_cmp_ne_u16_sdwa s2, v3, v19 src0_sel:BYTE_0 src1_sel:DWORD
	v_mov_b32_e32 v36, 0x8000
	s_and_saveexec_b32 s40, s2
	s_cbranch_execz .LBB272_97
; %bb.92:                               ;   in Loop: Header=BB272_10 Depth=1
	v_and_b32_e32 v38, 0x7f, v3
	v_mov_b32_e32 v36, 0x7c01
	s_mov_b32 s41, exec_lo
	v_cmpx_ne_u32_e32 0x7f, v38
	s_cbranch_execz .LBB272_96
; %bb.93:                               ;   in Loop: Header=BB272_10 Depth=1
	v_and_b32_e32 v36, 7, v3
	v_lshrrev_b32_e32 v37, 3, v38
	s_mov_b32 s42, exec_lo
	v_cmpx_gt_u32_e32 8, v38
; %bb.94:                               ;   in Loop: Header=BB272_10 Depth=1
	v_ffbh_u32_e32 v36, v36
	v_min_u32_e32 v38, 32, v36
	v_subrev_nc_u32_e32 v36, 28, v38
	v_lshlrev_b64 v[36:37], v36, v[3:4]
	v_sub_nc_u32_e32 v37, 29, v38
	v_and_b32_e32 v36, 7, v36
; %bb.95:                               ;   in Loop: Header=BB272_10 Depth=1
	s_or_b32 exec_lo, exec_lo, s42
	v_lshlrev_b32_e32 v38, 8, v3
	v_lshl_add_u32 v37, v37, 10, 0x2000
	v_lshlrev_b32_e32 v36, 7, v36
	v_and_b32_e32 v38, 0x8000, v38
	v_and_b32_e32 v37, 0xfc00, v37
	v_or3_b32 v36, v38, v37, v36
.LBB272_96:                             ;   in Loop: Header=BB272_10 Depth=1
	s_or_b32 exec_lo, exec_lo, s41
.LBB272_97:                             ;   in Loop: Header=BB272_10 Depth=1
	s_or_b32 exec_lo, exec_lo, s40
.LBB272_98:                             ;   in Loop: Header=BB272_10 Depth=1
	s_or_b32 exec_lo, exec_lo, s3
	v_lshrrev_b16 v3, 8, v3
	s_mov_b32 s3, exec_lo
	v_cmpx_ne_u16_e32 0, v3
	s_cbranch_execz .LBB272_106
; %bb.99:                               ;   in Loop: Header=BB272_10 Depth=1
	v_bfrev_b32_e32 v35, 1
	s_mov_b32 s40, exec_lo
	v_cmpx_ne_u16_e32 0x80, v3
	s_cbranch_execz .LBB272_105
; %bb.100:                              ;   in Loop: Header=BB272_10 Depth=1
	v_and_b32_sdwa v38, v3, v20 dst_sel:DWORD dst_unused:UNUSED_PAD src0_sel:WORD_0 src1_sel:DWORD
	v_mov_b32_e32 v35, 0x7c010000
	s_mov_b32 s41, exec_lo
	v_cmpx_ne_u32_e32 0x7f, v38
	s_cbranch_execz .LBB272_104
; %bb.101:                              ;   in Loop: Header=BB272_10 Depth=1
	v_and_b32_sdwa v35, v3, v21 dst_sel:DWORD dst_unused:UNUSED_PAD src0_sel:WORD_0 src1_sel:DWORD
	v_lshrrev_b32_e32 v37, 3, v38
	s_mov_b32 s42, exec_lo
	v_cmpx_gt_u32_e32 8, v38
; %bb.102:                              ;   in Loop: Header=BB272_10 Depth=1
	v_ffbh_u32_e32 v35, v35
	v_min_u32_e32 v35, 32, v35
	v_subrev_nc_u32_e32 v37, 28, v35
	v_lshlrev_b64 v[38:39], v37, v[3:4]
	v_sub_nc_u32_e32 v37, 29, v35
	v_and_b32_e32 v35, 7, v38
; %bb.103:                              ;   in Loop: Header=BB272_10 Depth=1
	s_or_b32 exec_lo, exec_lo, s42
	v_lshlrev_b32_sdwa v3, v22, v3 dst_sel:DWORD dst_unused:UNUSED_PAD src0_sel:DWORD src1_sel:WORD_0
	v_lshl_add_u32 v37, v37, 10, 0x2000
	v_lshlrev_b32_e32 v35, 23, v35
	v_and_or_b32 v3, 0x8000, v3, v37
	v_lshl_or_b32 v35, v3, 16, v35
.LBB272_104:                            ;   in Loop: Header=BB272_10 Depth=1
	s_or_b32 exec_lo, exec_lo, s41
.LBB272_105:                            ;   in Loop: Header=BB272_10 Depth=1
	s_or_b32 exec_lo, exec_lo, s40
.LBB272_106:                            ;   in Loop: Header=BB272_10 Depth=1
	s_or_b32 exec_lo, exec_lo, s3
	global_load_ushort v38, v[9:10], off offset:384
	v_mov_b32_e32 v37, 0
	s_waitcnt vmcnt(0)
	v_and_b32_e32 v3, 0xffff, v38
	v_cmp_ne_u16_sdwa s2, v38, v4 src0_sel:BYTE_0 src1_sel:DWORD
	v_mov_b32_e32 v38, 0
	s_and_saveexec_b32 s3, s2
	s_cbranch_execz .LBB272_114
; %bb.107:                              ;   in Loop: Header=BB272_10 Depth=1
	v_cmp_ne_u16_sdwa s2, v3, v19 src0_sel:BYTE_0 src1_sel:DWORD
	v_mov_b32_e32 v38, 0x8000
	s_and_saveexec_b32 s40, s2
	s_cbranch_execz .LBB272_113
; %bb.108:                              ;   in Loop: Header=BB272_10 Depth=1
	v_and_b32_e32 v40, 0x7f, v3
	v_mov_b32_e32 v38, 0x7c01
	s_mov_b32 s41, exec_lo
	v_cmpx_ne_u32_e32 0x7f, v40
	s_cbranch_execz .LBB272_112
; %bb.109:                              ;   in Loop: Header=BB272_10 Depth=1
	v_and_b32_e32 v38, 7, v3
	v_lshrrev_b32_e32 v39, 3, v40
	s_mov_b32 s42, exec_lo
	v_cmpx_gt_u32_e32 8, v40
; %bb.110:                              ;   in Loop: Header=BB272_10 Depth=1
	v_ffbh_u32_e32 v38, v38
	v_min_u32_e32 v40, 32, v38
	v_subrev_nc_u32_e32 v38, 28, v40
	v_lshlrev_b64 v[38:39], v38, v[3:4]
	v_sub_nc_u32_e32 v39, 29, v40
	v_and_b32_e32 v38, 7, v38
; %bb.111:                              ;   in Loop: Header=BB272_10 Depth=1
	s_or_b32 exec_lo, exec_lo, s42
	v_lshlrev_b32_e32 v40, 8, v3
	v_lshl_add_u32 v39, v39, 10, 0x2000
	v_lshlrev_b32_e32 v38, 7, v38
	v_and_b32_e32 v40, 0x8000, v40
	v_and_b32_e32 v39, 0xfc00, v39
	v_or3_b32 v38, v40, v39, v38
.LBB272_112:                            ;   in Loop: Header=BB272_10 Depth=1
	s_or_b32 exec_lo, exec_lo, s41
.LBB272_113:                            ;   in Loop: Header=BB272_10 Depth=1
	s_or_b32 exec_lo, exec_lo, s40
.LBB272_114:                            ;   in Loop: Header=BB272_10 Depth=1
	s_or_b32 exec_lo, exec_lo, s3
	v_lshrrev_b16 v3, 8, v3
	s_mov_b32 s3, exec_lo
	v_cmpx_ne_u16_e32 0, v3
	s_cbranch_execz .LBB272_122
; %bb.115:                              ;   in Loop: Header=BB272_10 Depth=1
	v_bfrev_b32_e32 v37, 1
	s_mov_b32 s40, exec_lo
	v_cmpx_ne_u16_e32 0x80, v3
	s_cbranch_execz .LBB272_121
; %bb.116:                              ;   in Loop: Header=BB272_10 Depth=1
	v_and_b32_sdwa v40, v3, v20 dst_sel:DWORD dst_unused:UNUSED_PAD src0_sel:WORD_0 src1_sel:DWORD
	v_mov_b32_e32 v37, 0x7c010000
	s_mov_b32 s41, exec_lo
	v_cmpx_ne_u32_e32 0x7f, v40
	s_cbranch_execz .LBB272_120
; %bb.117:                              ;   in Loop: Header=BB272_10 Depth=1
	v_and_b32_sdwa v37, v3, v21 dst_sel:DWORD dst_unused:UNUSED_PAD src0_sel:WORD_0 src1_sel:DWORD
	v_lshrrev_b32_e32 v39, 3, v40
	s_mov_b32 s42, exec_lo
	v_cmpx_gt_u32_e32 8, v40
; %bb.118:                              ;   in Loop: Header=BB272_10 Depth=1
	v_ffbh_u32_e32 v37, v37
	v_min_u32_e32 v37, 32, v37
	v_subrev_nc_u32_e32 v39, 28, v37
	v_lshlrev_b64 v[40:41], v39, v[3:4]
	v_sub_nc_u32_e32 v39, 29, v37
	v_and_b32_e32 v37, 7, v40
; %bb.119:                              ;   in Loop: Header=BB272_10 Depth=1
	s_or_b32 exec_lo, exec_lo, s42
	v_lshlrev_b32_sdwa v3, v22, v3 dst_sel:DWORD dst_unused:UNUSED_PAD src0_sel:DWORD src1_sel:WORD_0
	v_lshl_add_u32 v39, v39, 10, 0x2000
	v_lshlrev_b32_e32 v37, 23, v37
	v_and_or_b32 v3, 0x8000, v3, v39
	v_lshl_or_b32 v37, v3, 16, v37
.LBB272_120:                            ;   in Loop: Header=BB272_10 Depth=1
	s_or_b32 exec_lo, exec_lo, s41
.LBB272_121:                            ;   in Loop: Header=BB272_10 Depth=1
	s_or_b32 exec_lo, exec_lo, s40
.LBB272_122:                            ;   in Loop: Header=BB272_10 Depth=1
	s_or_b32 exec_lo, exec_lo, s3
	global_load_ushort v40, v[9:10], off offset:392
	v_mov_b32_e32 v39, 0
	s_waitcnt vmcnt(0)
	v_and_b32_e32 v3, 0xffff, v40
	v_cmp_ne_u16_sdwa s2, v40, v4 src0_sel:BYTE_0 src1_sel:DWORD
	v_mov_b32_e32 v40, 0
	s_and_saveexec_b32 s3, s2
	s_cbranch_execz .LBB272_130
; %bb.123:                              ;   in Loop: Header=BB272_10 Depth=1
	v_cmp_ne_u16_sdwa s2, v3, v19 src0_sel:BYTE_0 src1_sel:DWORD
	v_mov_b32_e32 v40, 0x8000
	s_and_saveexec_b32 s40, s2
	s_cbranch_execz .LBB272_129
; %bb.124:                              ;   in Loop: Header=BB272_10 Depth=1
	v_and_b32_e32 v42, 0x7f, v3
	v_mov_b32_e32 v40, 0x7c01
	s_mov_b32 s41, exec_lo
	v_cmpx_ne_u32_e32 0x7f, v42
	s_cbranch_execz .LBB272_128
; %bb.125:                              ;   in Loop: Header=BB272_10 Depth=1
	v_and_b32_e32 v40, 7, v3
	v_lshrrev_b32_e32 v41, 3, v42
	s_mov_b32 s42, exec_lo
	v_cmpx_gt_u32_e32 8, v42
; %bb.126:                              ;   in Loop: Header=BB272_10 Depth=1
	v_ffbh_u32_e32 v40, v40
	v_min_u32_e32 v42, 32, v40
	v_subrev_nc_u32_e32 v40, 28, v42
	v_lshlrev_b64 v[40:41], v40, v[3:4]
	v_sub_nc_u32_e32 v41, 29, v42
	v_and_b32_e32 v40, 7, v40
; %bb.127:                              ;   in Loop: Header=BB272_10 Depth=1
	s_or_b32 exec_lo, exec_lo, s42
	v_lshlrev_b32_e32 v42, 8, v3
	v_lshl_add_u32 v41, v41, 10, 0x2000
	v_lshlrev_b32_e32 v40, 7, v40
	v_and_b32_e32 v42, 0x8000, v42
	v_and_b32_e32 v41, 0xfc00, v41
	v_or3_b32 v40, v42, v41, v40
.LBB272_128:                            ;   in Loop: Header=BB272_10 Depth=1
	s_or_b32 exec_lo, exec_lo, s41
.LBB272_129:                            ;   in Loop: Header=BB272_10 Depth=1
	s_or_b32 exec_lo, exec_lo, s40
.LBB272_130:                            ;   in Loop: Header=BB272_10 Depth=1
	s_or_b32 exec_lo, exec_lo, s3
	v_lshrrev_b16 v3, 8, v3
	s_mov_b32 s3, exec_lo
	v_cmpx_ne_u16_e32 0, v3
	s_cbranch_execz .LBB272_138
; %bb.131:                              ;   in Loop: Header=BB272_10 Depth=1
	v_bfrev_b32_e32 v39, 1
	s_mov_b32 s40, exec_lo
	v_cmpx_ne_u16_e32 0x80, v3
	s_cbranch_execz .LBB272_137
; %bb.132:                              ;   in Loop: Header=BB272_10 Depth=1
	v_and_b32_sdwa v42, v3, v20 dst_sel:DWORD dst_unused:UNUSED_PAD src0_sel:WORD_0 src1_sel:DWORD
	v_mov_b32_e32 v39, 0x7c010000
	s_mov_b32 s41, exec_lo
	v_cmpx_ne_u32_e32 0x7f, v42
	s_cbranch_execz .LBB272_136
; %bb.133:                              ;   in Loop: Header=BB272_10 Depth=1
	v_and_b32_sdwa v39, v3, v21 dst_sel:DWORD dst_unused:UNUSED_PAD src0_sel:WORD_0 src1_sel:DWORD
	v_lshrrev_b32_e32 v41, 3, v42
	s_mov_b32 s42, exec_lo
	v_cmpx_gt_u32_e32 8, v42
; %bb.134:                              ;   in Loop: Header=BB272_10 Depth=1
	v_ffbh_u32_e32 v39, v39
	v_min_u32_e32 v39, 32, v39
	v_subrev_nc_u32_e32 v41, 28, v39
	v_lshlrev_b64 v[42:43], v41, v[3:4]
	v_sub_nc_u32_e32 v41, 29, v39
	v_and_b32_e32 v39, 7, v42
; %bb.135:                              ;   in Loop: Header=BB272_10 Depth=1
	s_or_b32 exec_lo, exec_lo, s42
	v_lshlrev_b32_sdwa v3, v22, v3 dst_sel:DWORD dst_unused:UNUSED_PAD src0_sel:DWORD src1_sel:WORD_0
	v_lshl_add_u32 v41, v41, 10, 0x2000
	v_lshlrev_b32_e32 v39, 23, v39
	v_and_or_b32 v3, 0x8000, v3, v41
	v_lshl_or_b32 v39, v3, 16, v39
.LBB272_136:                            ;   in Loop: Header=BB272_10 Depth=1
	s_or_b32 exec_lo, exec_lo, s41
.LBB272_137:                            ;   in Loop: Header=BB272_10 Depth=1
	s_or_b32 exec_lo, exec_lo, s40
.LBB272_138:                            ;   in Loop: Header=BB272_10 Depth=1
	s_or_b32 exec_lo, exec_lo, s3
	global_load_ushort v42, v[9:10], off offset:512
	v_mov_b32_e32 v41, 0
	s_waitcnt vmcnt(0)
	v_and_b32_e32 v3, 0xffff, v42
	v_cmp_ne_u16_sdwa s2, v42, v4 src0_sel:BYTE_0 src1_sel:DWORD
	v_mov_b32_e32 v42, 0
	s_and_saveexec_b32 s3, s2
	s_cbranch_execz .LBB272_146
; %bb.139:                              ;   in Loop: Header=BB272_10 Depth=1
	v_cmp_ne_u16_sdwa s2, v3, v19 src0_sel:BYTE_0 src1_sel:DWORD
	v_mov_b32_e32 v42, 0x8000
	s_and_saveexec_b32 s40, s2
	s_cbranch_execz .LBB272_145
; %bb.140:                              ;   in Loop: Header=BB272_10 Depth=1
	v_and_b32_e32 v44, 0x7f, v3
	v_mov_b32_e32 v42, 0x7c01
	s_mov_b32 s41, exec_lo
	v_cmpx_ne_u32_e32 0x7f, v44
	s_cbranch_execz .LBB272_144
; %bb.141:                              ;   in Loop: Header=BB272_10 Depth=1
	v_and_b32_e32 v42, 7, v3
	v_lshrrev_b32_e32 v43, 3, v44
	s_mov_b32 s42, exec_lo
	v_cmpx_gt_u32_e32 8, v44
; %bb.142:                              ;   in Loop: Header=BB272_10 Depth=1
	v_ffbh_u32_e32 v42, v42
	v_min_u32_e32 v44, 32, v42
	v_subrev_nc_u32_e32 v42, 28, v44
	v_lshlrev_b64 v[42:43], v42, v[3:4]
	v_sub_nc_u32_e32 v43, 29, v44
	v_and_b32_e32 v42, 7, v42
; %bb.143:                              ;   in Loop: Header=BB272_10 Depth=1
	s_or_b32 exec_lo, exec_lo, s42
	v_lshlrev_b32_e32 v44, 8, v3
	v_lshl_add_u32 v43, v43, 10, 0x2000
	v_lshlrev_b32_e32 v42, 7, v42
	v_and_b32_e32 v44, 0x8000, v44
	v_and_b32_e32 v43, 0xfc00, v43
	v_or3_b32 v42, v44, v43, v42
.LBB272_144:                            ;   in Loop: Header=BB272_10 Depth=1
	s_or_b32 exec_lo, exec_lo, s41
.LBB272_145:                            ;   in Loop: Header=BB272_10 Depth=1
	s_or_b32 exec_lo, exec_lo, s40
.LBB272_146:                            ;   in Loop: Header=BB272_10 Depth=1
	s_or_b32 exec_lo, exec_lo, s3
	v_lshrrev_b16 v3, 8, v3
	s_mov_b32 s3, exec_lo
	v_cmpx_ne_u16_e32 0, v3
	s_cbranch_execz .LBB272_154
; %bb.147:                              ;   in Loop: Header=BB272_10 Depth=1
	v_bfrev_b32_e32 v41, 1
	s_mov_b32 s40, exec_lo
	v_cmpx_ne_u16_e32 0x80, v3
	s_cbranch_execz .LBB272_153
; %bb.148:                              ;   in Loop: Header=BB272_10 Depth=1
	v_and_b32_sdwa v44, v3, v20 dst_sel:DWORD dst_unused:UNUSED_PAD src0_sel:WORD_0 src1_sel:DWORD
	v_mov_b32_e32 v41, 0x7c010000
	s_mov_b32 s41, exec_lo
	v_cmpx_ne_u32_e32 0x7f, v44
	s_cbranch_execz .LBB272_152
; %bb.149:                              ;   in Loop: Header=BB272_10 Depth=1
	v_and_b32_sdwa v41, v3, v21 dst_sel:DWORD dst_unused:UNUSED_PAD src0_sel:WORD_0 src1_sel:DWORD
	v_lshrrev_b32_e32 v43, 3, v44
	s_mov_b32 s42, exec_lo
	v_cmpx_gt_u32_e32 8, v44
; %bb.150:                              ;   in Loop: Header=BB272_10 Depth=1
	v_ffbh_u32_e32 v41, v41
	v_min_u32_e32 v41, 32, v41
	v_subrev_nc_u32_e32 v43, 28, v41
	v_lshlrev_b64 v[44:45], v43, v[3:4]
	v_sub_nc_u32_e32 v43, 29, v41
	v_and_b32_e32 v41, 7, v44
; %bb.151:                              ;   in Loop: Header=BB272_10 Depth=1
	s_or_b32 exec_lo, exec_lo, s42
	v_lshlrev_b32_sdwa v3, v22, v3 dst_sel:DWORD dst_unused:UNUSED_PAD src0_sel:DWORD src1_sel:WORD_0
	v_lshl_add_u32 v43, v43, 10, 0x2000
	v_lshlrev_b32_e32 v41, 23, v41
	v_and_or_b32 v3, 0x8000, v3, v43
	v_lshl_or_b32 v41, v3, 16, v41
.LBB272_152:                            ;   in Loop: Header=BB272_10 Depth=1
	s_or_b32 exec_lo, exec_lo, s41
.LBB272_153:                            ;   in Loop: Header=BB272_10 Depth=1
	s_or_b32 exec_lo, exec_lo, s40
.LBB272_154:                            ;   in Loop: Header=BB272_10 Depth=1
	s_or_b32 exec_lo, exec_lo, s3
	global_load_ushort v10, v[9:10], off offset:520
	v_mov_b32_e32 v9, 0
	s_waitcnt vmcnt(0)
	v_and_b32_e32 v3, 0xffff, v10
	v_cmp_ne_u16_sdwa s2, v10, v4 src0_sel:BYTE_0 src1_sel:DWORD
	v_mov_b32_e32 v10, 0
	s_and_saveexec_b32 s3, s2
	s_cbranch_execz .LBB272_162
; %bb.155:                              ;   in Loop: Header=BB272_10 Depth=1
	v_cmp_ne_u16_sdwa s2, v3, v19 src0_sel:BYTE_0 src1_sel:DWORD
	v_mov_b32_e32 v10, 0x8000
	s_and_saveexec_b32 s40, s2
	s_cbranch_execz .LBB272_161
; %bb.156:                              ;   in Loop: Header=BB272_10 Depth=1
	v_and_b32_e32 v44, 0x7f, v3
	v_mov_b32_e32 v10, 0x7c01
	s_mov_b32 s41, exec_lo
	v_cmpx_ne_u32_e32 0x7f, v44
	s_cbranch_execz .LBB272_160
; %bb.157:                              ;   in Loop: Header=BB272_10 Depth=1
	v_and_b32_e32 v10, 7, v3
	v_lshrrev_b32_e32 v43, 3, v44
	s_mov_b32 s42, exec_lo
	v_cmpx_gt_u32_e32 8, v44
; %bb.158:                              ;   in Loop: Header=BB272_10 Depth=1
	v_ffbh_u32_e32 v10, v10
	v_min_u32_e32 v10, 32, v10
	v_subrev_nc_u32_e32 v43, 28, v10
	v_lshlrev_b64 v[44:45], v43, v[3:4]
	v_sub_nc_u32_e32 v43, 29, v10
	v_and_b32_e32 v10, 7, v44
; %bb.159:                              ;   in Loop: Header=BB272_10 Depth=1
	s_or_b32 exec_lo, exec_lo, s42
	v_lshlrev_b32_e32 v44, 8, v3
	v_lshl_add_u32 v43, v43, 10, 0x2000
	v_lshlrev_b32_e32 v10, 7, v10
	v_and_b32_e32 v44, 0x8000, v44
	v_and_b32_e32 v43, 0xfc00, v43
	v_or3_b32 v10, v44, v43, v10
.LBB272_160:                            ;   in Loop: Header=BB272_10 Depth=1
	s_or_b32 exec_lo, exec_lo, s41
.LBB272_161:                            ;   in Loop: Header=BB272_10 Depth=1
	s_or_b32 exec_lo, exec_lo, s40
.LBB272_162:                            ;   in Loop: Header=BB272_10 Depth=1
	s_or_b32 exec_lo, exec_lo, s3
	v_lshrrev_b16 v3, 8, v3
	s_mov_b32 s3, exec_lo
	v_cmpx_ne_u16_e32 0, v3
	s_cbranch_execz .LBB272_170
; %bb.163:                              ;   in Loop: Header=BB272_10 Depth=1
	v_bfrev_b32_e32 v9, 1
	s_mov_b32 s40, exec_lo
	v_cmpx_ne_u16_e32 0x80, v3
	s_cbranch_execz .LBB272_169
; %bb.164:                              ;   in Loop: Header=BB272_10 Depth=1
	v_and_b32_sdwa v44, v3, v20 dst_sel:DWORD dst_unused:UNUSED_PAD src0_sel:WORD_0 src1_sel:DWORD
	v_mov_b32_e32 v9, 0x7c010000
	s_mov_b32 s41, exec_lo
	v_cmpx_ne_u32_e32 0x7f, v44
	s_cbranch_execz .LBB272_168
; %bb.165:                              ;   in Loop: Header=BB272_10 Depth=1
	v_and_b32_sdwa v9, v3, v21 dst_sel:DWORD dst_unused:UNUSED_PAD src0_sel:WORD_0 src1_sel:DWORD
	v_lshrrev_b32_e32 v43, 3, v44
	s_mov_b32 s42, exec_lo
	v_cmpx_gt_u32_e32 8, v44
; %bb.166:                              ;   in Loop: Header=BB272_10 Depth=1
	v_ffbh_u32_e32 v9, v9
	v_min_u32_e32 v9, 32, v9
	v_subrev_nc_u32_e32 v43, 28, v9
	v_lshlrev_b64 v[44:45], v43, v[3:4]
	v_sub_nc_u32_e32 v43, 29, v9
	v_and_b32_e32 v9, 7, v44
; %bb.167:                              ;   in Loop: Header=BB272_10 Depth=1
	s_or_b32 exec_lo, exec_lo, s42
	v_lshlrev_b32_sdwa v3, v22, v3 dst_sel:DWORD dst_unused:UNUSED_PAD src0_sel:DWORD src1_sel:WORD_0
	v_lshl_add_u32 v43, v43, 10, 0x2000
	v_lshlrev_b32_e32 v9, 23, v9
	v_and_or_b32 v3, 0x8000, v3, v43
	v_lshl_or_b32 v9, v3, 16, v9
.LBB272_168:                            ;   in Loop: Header=BB272_10 Depth=1
	s_or_b32 exec_lo, exec_lo, s41
.LBB272_169:                            ;   in Loop: Header=BB272_10 Depth=1
	s_or_b32 exec_lo, exec_lo, s40
.LBB272_170:                            ;   in Loop: Header=BB272_10 Depth=1
	s_or_b32 exec_lo, exec_lo, s3
	ds_read_b32 v3, v16
	v_or_b32_e32 v25, v26, v25
	v_fma_mixlo_f16 v26, v24, v26, 0 op_sel:[0,1,0] op_sel_hi:[0,1,0]
	v_or_b32_e32 v28, v27, v28
	v_fma_mixlo_f16 v27, v24, v27, 0 op_sel:[0,1,0] op_sel_hi:[0,1,0]
	v_or_b32_e32 v30, v29, v30
	v_fma_mixlo_f16 v25, v24, v25, 0 op_sel_hi:[0,1,0]
	v_and_b32_e32 v46, 0xffff, v26
	v_fma_mixlo_f16 v28, v24, v28, 0 op_sel_hi:[0,1,0]
	v_and_b32_e32 v47, 0xffff, v27
	;; [unrolled: 2-line block ×3, first 2 shown]
	v_fma_mixlo_f16 v29, v24, v29, 0 op_sel:[0,1,0] op_sel_hi:[0,1,0]
	v_or_b32_e32 v32, v31, v32
	v_fma_mixlo_f16 v31, v24, v31, 0 op_sel:[0,1,0] op_sel_hi:[0,1,0]
	v_and_b32_e32 v48, 0xffff, v30
	v_or_b32_e32 v34, v33, v34
	v_and_b32_e32 v49, 0xffff, v29
	v_fma_mixlo_f16 v32, v24, v32, 0 op_sel_hi:[0,1,0]
	v_and_b32_e32 v51, 0xffff, v31
	s_waitcnt lgkmcnt(0)
	v_and_b32_e32 v43, 0xffff, v3
	v_lshrrev_b32_e32 v44, 16, v3
	;;#ASMSTART
	v_cvt_f32_f16 v3, v43;
	;;#ASMEND
	;;#ASMSTART
	v_cvt_f32_f16 v25, v44;
	;;#ASMEND
	;; [unrolled: 3-line block ×4, first 2 shown]
	ds_read_b32 v44, v16 offset:4
	v_and_b32_e32 v46, 0xffff, v28
	v_and_b32_e32 v50, 0xffff, v32
	v_fma_mixlo_f16 v34, v24, v34, 0 op_sel_hi:[0,1,0]
	v_fma_mixlo_f16 v33, v24, v33, 0 op_sel:[0,1,0] op_sel_hi:[0,1,0]
	v_or_b32_e32 v36, v35, v36
	v_fma_mixlo_f16 v35, v24, v35, 0 op_sel:[0,1,0] op_sel_hi:[0,1,0]
	v_or_b32_e32 v38, v37, v38
	v_and_b32_e32 v52, 0xffff, v34
	v_and_b32_e32 v53, 0xffff, v33
	v_fma_mixlo_f16 v36, v24, v36, 0 op_sel_hi:[0,1,0]
	v_and_b32_e32 v55, 0xffff, v35
	v_fma_mixlo_f16 v38, v24, v38, 0 op_sel_hi:[0,1,0]
	v_fma_mixlo_f16 v37, v24, v37, 0 op_sel:[0,1,0] op_sel_hi:[0,1,0]
	v_or_b32_e32 v40, v39, v40
	v_and_b32_e32 v54, 0xffff, v36
	v_fma_mixlo_f16 v39, v24, v39, 0 op_sel:[0,1,0] op_sel_hi:[0,1,0]
	v_and_b32_e32 v56, 0xffff, v38
	v_and_b32_e32 v57, 0xffff, v37
	v_fma_mixlo_f16 v40, v24, v40, 0 op_sel_hi:[0,1,0]
	s_waitcnt lgkmcnt(0)
	v_and_b32_e32 v45, 0xffff, v44
	v_lshrrev_b32_e32 v44, 16, v44
	;;#ASMSTART
	v_cvt_f32_f16 v27, v45;
	;;#ASMEND
	;;#ASMSTART
	v_cvt_f32_f16 v28, v44;
	;;#ASMEND
	;; [unrolled: 3-line block ×4, first 2 shown]
	ds_read_b32 v46, v16 offset:8
	v_mul_f32_e32 v27, v27, v44
	v_mul_f32_e32 v28, v28, v45
	v_and_b32_e32 v58, 0xffff, v40
	v_and_b32_e32 v59, 0xffff, v39
	v_or_b32_e32 v42, v41, v42
	v_fmac_f32_e32 v27, v3, v26
	v_fmac_f32_e32 v28, v25, v43
	v_fma_mixlo_f16 v41, v24, v41, 0 op_sel:[0,1,0] op_sel_hi:[0,1,0]
	v_or_b32_e32 v10, v9, v10
	v_fma_mixlo_f16 v3, v24, v42, 0 op_sel_hi:[0,1,0]
	v_fma_mixlo_f16 v9, v24, v9, 0 op_sel:[0,1,0] op_sel_hi:[0,1,0]
	v_and_b32_e32 v41, 0xffff, v41
	v_fma_mixlo_f16 v10, v24, v10, 0 op_sel_hi:[0,1,0]
	s_waitcnt lgkmcnt(0)
	v_and_b32_e32 v47, 0xffff, v46
	v_lshrrev_b32_e32 v46, 16, v46
	;;#ASMSTART
	v_cvt_f32_f16 v29, v47;
	;;#ASMEND
	;;#ASMSTART
	v_cvt_f32_f16 v30, v46;
	;;#ASMEND
	;; [unrolled: 3-line block ×4, first 2 shown]
	ds_read_b32 v48, v16 offset:12
	v_fmac_f32_e32 v27, v29, v46
	v_fmac_f32_e32 v28, v30, v47
	v_and_b32_e32 v29, 0xffff, v3
	s_waitcnt lgkmcnt(0)
	v_and_b32_e32 v49, 0xffff, v48
	v_lshrrev_b32_e32 v48, 16, v48
	;;#ASMSTART
	v_cvt_f32_f16 v31, v49;
	;;#ASMEND
	;;#ASMSTART
	v_cvt_f32_f16 v32, v48;
	;;#ASMEND
	;; [unrolled: 3-line block ×4, first 2 shown]
	ds_read_b32 v50, v16 offset:16
	v_fmac_f32_e32 v27, v31, v48
	v_fmac_f32_e32 v28, v32, v49
	v_xor_b32_e32 v31, 2, v15
	v_and_b32_e32 v32, 0xffff, v9
	v_cmp_gt_i32_e64 s2, 32, v31
	v_cndmask_b32_e64 v9, v15, v31, s2
	v_and_b32_e32 v31, 0xffff, v10
	s_waitcnt lgkmcnt(0)
	v_and_b32_e32 v51, 0xffff, v50
	v_lshrrev_b32_e32 v50, 16, v50
	;;#ASMSTART
	v_cvt_f32_f16 v33, v51;
	;;#ASMEND
	;;#ASMSTART
	v_cvt_f32_f16 v34, v50;
	;;#ASMEND
	;;#ASMSTART
	v_cvt_f32_f16 v50, v52;
	;;#ASMEND
	;;#ASMSTART
	v_cvt_f32_f16 v51, v53;
	;;#ASMEND
	ds_read_b32 v52, v16 offset:20
	v_fmac_f32_e32 v27, v33, v50
	v_fmac_f32_e32 v28, v34, v51
	s_waitcnt lgkmcnt(0)
	v_and_b32_e32 v53, 0xffff, v52
	v_lshrrev_b32_e32 v52, 16, v52
	;;#ASMSTART
	v_cvt_f32_f16 v35, v53;
	;;#ASMEND
	;;#ASMSTART
	v_cvt_f32_f16 v36, v52;
	;;#ASMEND
	;;#ASMSTART
	v_cvt_f32_f16 v52, v54;
	;;#ASMEND
	;;#ASMSTART
	v_cvt_f32_f16 v53, v55;
	;;#ASMEND
	ds_read_b32 v54, v16 offset:24
	v_fmac_f32_e32 v27, v35, v52
	v_fmac_f32_e32 v28, v36, v53
	;; [unrolled: 18-line block ×5, first 2 shown]
	s_waitcnt lgkmcnt(0)
	v_and_b32_e32 v24, 0xffff, v30
	v_lshrrev_b32_e32 v30, 16, v30
	;;#ASMSTART
	v_cvt_f32_f16 v3, v24;
	;;#ASMEND
	;;#ASMSTART
	v_cvt_f32_f16 v10, v30;
	;;#ASMEND
	;; [unrolled: 3-line block ×4, first 2 shown]
	v_fmac_f32_e32 v27, v3, v24
	v_fmac_f32_e32 v28, v10, v25
	v_lshlrev_b32_e32 v3, 2, v9
	v_xor_b32_e32 v10, 1, v15
	v_add_f32_e32 v9, v27, v28
	v_cmp_gt_i32_e64 s2, 32, v10
	ds_bpermute_b32 v3, v3, v9
	v_cndmask_b32_e64 v10, v15, v10, s2
	s_waitcnt lgkmcnt(0)
	v_add_f32_e32 v3, v9, v3
	v_lshlrev_b32_e32 v9, 2, v10
	ds_bpermute_b32 v9, v9, v3
	s_and_saveexec_b32 s3, vcc_lo
	s_cbranch_execz .LBB272_9
; %bb.171:                              ;   in Loop: Header=BB272_10 Depth=1
	v_add_nc_u32_e32 v10, s4, v17
	s_waitcnt lgkmcnt(0)
	v_add_f32_e32 v3, v3, v9
	v_cmp_gt_i32_e64 s2, s27, v17
	v_cvt_f32_i32_e32 v10, v10
	v_mul_f32_e32 v10, s36, v10
	v_cndmask_b32_e64 v9, 0, v10, s1
	v_max_f32_e32 v10, v13, v13
	v_fmac_f32_e32 v9, s37, v3
	v_max_f32_e32 v3, v10, v9
	v_cndmask_b32_e64 v9, 0, v9, s2
	v_cndmask_b32_e64 v13, v13, v3, s2
	ds_write_b32 v18, v9
	s_branch .LBB272_9
.LBB272_172:
	s_or_b32 exec_lo, exec_lo, s5
.LBB272_173:
	s_or_b32 exec_lo, exec_lo, s38
	v_xor_b32_e32 v3, 16, v15
	v_xor_b32_e32 v6, 8, v15
	v_max_f32_e32 v7, v13, v13
	v_xor_b32_e32 v8, 4, v15
	v_cmp_lt_i32_e32 vcc_lo, v3, v14
	v_cndmask_b32_e32 v3, v15, v3, vcc_lo
	v_cmp_lt_i32_e32 vcc_lo, v6, v14
	v_lshlrev_b32_e32 v5, 2, v3
	v_cndmask_b32_e32 v6, v15, v6, vcc_lo
	v_cmp_lt_i32_e32 vcc_lo, v8, v14
	ds_bpermute_b32 v3, v5, v13
	v_lshlrev_b32_e32 v6, 2, v6
	v_cndmask_b32_e32 v8, v15, v8, vcc_lo
	v_and_b32_e32 v13, 31, v0
	s_waitcnt lgkmcnt(0)
	v_lshlrev_b32_e32 v9, 2, v8
	v_cmp_eq_u32_e32 vcc_lo, 0, v13
	v_max_f32_e32 v3, v3, v3
	v_max_f32_e32 v3, v7, v3
	ds_bpermute_b32 v7, v6, v3
	s_waitcnt lgkmcnt(0)
	v_max_f32_e32 v7, v7, v7
	v_max_f32_e32 v3, v3, v7
	v_lshlrev_b32_e32 v7, 2, v12
	ds_bpermute_b32 v8, v9, v3
	s_and_saveexec_b32 s1, vcc_lo
	s_cbranch_execz .LBB272_175
; %bb.174:
	s_waitcnt lgkmcnt(0)
	v_max_f32_e32 v8, v8, v8
	v_max_f32_e32 v3, v3, v3
	;; [unrolled: 1-line block ×3, first 2 shown]
	ds_write_b32 v7, v3 offset:160
.LBB272_175:
	s_or_b32 exec_lo, exec_lo, s1
	v_cmp_gt_u32_e64 s1, 4, v13
	v_mov_b32_e32 v3, 0xff7fffff
	s_waitcnt lgkmcnt(0)
	v_lshlrev_b32_e32 v8, 2, v13
	s_barrier
	buffer_gl0_inv
	s_and_saveexec_b32 s2, s1
; %bb.176:
	ds_read_b32 v3, v8 offset:160
; %bb.177:
	s_or_b32 exec_lo, exec_lo, s2
	v_xor_b32_e32 v10, 2, v15
	v_xor_b32_e32 v17, 1, v15
	v_lshlrev_b32_e32 v4, 2, v4
	v_cmp_lt_i32_e64 s2, v10, v14
	v_cndmask_b32_e64 v10, v15, v10, s2
	v_cmp_lt_i32_e64 s2, v17, v14
	v_lshlrev_b32_e32 v10, 2, v10
	v_cndmask_b32_e64 v14, v15, v17, s2
	s_sub_i32 s2, s16, s19
	s_lshl_b32 s2, s2, 3
	s_waitcnt lgkmcnt(0)
	ds_bpermute_b32 v16, v10, v3
	v_max_f32_e32 v3, v3, v3
	s_add_i32 s2, s2, s33
	s_min_i32 s2, s2, s27
	s_sub_i32 s4, s2, s33
	v_cmp_gt_i32_e64 s2, s4, v0
	s_waitcnt lgkmcnt(0)
	v_max_f32_e32 v17, v16, v16
	v_lshlrev_b32_e32 v16, 2, v14
	v_max_f32_e32 v3, v3, v17
	ds_bpermute_b32 v14, v16, v3
	s_waitcnt lgkmcnt(0)
	v_max_f32_e32 v14, v14, v14
	v_max_f32_e32 v3, v3, v14
	v_lshl_add_u32 v14, v0, 2, 0xc0
	ds_bpermute_b32 v3, v4, v3
	v_mov_b32_e32 v4, 0
	s_and_saveexec_b32 s5, s2
	s_cbranch_execz .LBB272_181
; %bb.178:
	v_lshl_add_u32 v17, v0, 2, 0xc0
	v_mov_b32_e32 v4, 0
	v_mov_b32_e32 v18, v0
	s_mov_b32 s12, 0
	.p2align	6
.LBB272_179:                            ; =>This Inner Loop Header: Depth=1
	ds_read_b32 v19, v17
	v_add_nc_u32_e32 v18, 0x80, v18
	v_cmp_le_i32_e64 s3, s4, v18
	s_or_b32 s12, s3, s12
	s_waitcnt lgkmcnt(0)
	v_sub_f32_e32 v19, v19, v3
	v_mul_f32_e32 v19, 0x3fb8aa3b, v19
	v_exp_f32_e32 v19, v19
	ds_write_b32 v17, v19
	v_add_f32_e32 v4, v4, v19
	v_add_nc_u32_e32 v17, 0x200, v17
	s_andn2_b32 exec_lo, exec_lo, s12
	s_cbranch_execnz .LBB272_179
; %bb.180:
	s_or_b32 exec_lo, exec_lo, s12
.LBB272_181:
	s_or_b32 exec_lo, exec_lo, s5
	ds_bpermute_b32 v5, v5, v4
	s_waitcnt lgkmcnt(0)
	v_add_f32_e32 v4, v4, v5
	ds_bpermute_b32 v5, v6, v4
	s_waitcnt lgkmcnt(0)
	v_add_f32_e32 v4, v4, v5
	;; [unrolled: 3-line block ×5, first 2 shown]
	s_and_saveexec_b32 s3, vcc_lo
; %bb.182:
	ds_write_b32 v7, v4 offset:176
; %bb.183:
	s_or_b32 exec_lo, exec_lo, s3
	s_waitcnt lgkmcnt(0)
	s_barrier
	buffer_gl0_inv
	s_and_saveexec_b32 s3, s1
; %bb.184:
	ds_read_b32 v4, v8 offset:176
; %bb.185:
	s_or_b32 exec_lo, exec_lo, s3
	s_waitcnt lgkmcnt(0)
	ds_bpermute_b32 v5, v10, v4
	v_lshlrev_b32_e32 v6, 2, v15
	s_waitcnt lgkmcnt(0)
	v_add_f32_e32 v4, v4, v5
	ds_bpermute_b32 v5, v16, v4
	s_waitcnt lgkmcnt(0)
	v_add_f32_e32 v4, v4, v5
	v_and_b32_e32 v5, 0xffffff80, v6
	ds_bpermute_b32 v4, v5, v4
	s_and_saveexec_b32 s1, s2
	s_cbranch_execz .LBB272_188
; %bb.186:
	s_waitcnt lgkmcnt(0)
	v_add_f32_e32 v6, 0x358637bd, v4
	s_mov_b32 s2, 0
	v_div_scale_f32 v5, null, v6, v6, 1.0
	v_div_scale_f32 v9, vcc_lo, 1.0, v6, 1.0
	v_rcp_f32_e32 v7, v5
	v_fma_f32 v8, -v5, v7, 1.0
	v_fmac_f32_e32 v7, v8, v7
	v_mul_f32_e32 v8, v9, v7
	v_fma_f32 v10, -v5, v8, v9
	v_fmac_f32_e32 v8, v10, v7
	v_fma_f32 v5, -v5, v8, v9
	v_div_fmas_f32 v7, v5, v7, v8
	v_mov_b32_e32 v5, v14
	v_div_fixup_f32 v6, v7, v6, 1.0
	v_mov_b32_e32 v7, v0
.LBB272_187:                            ; =>This Inner Loop Header: Depth=1
	ds_read_b32 v8, v5
	v_add_nc_u32_e32 v7, 0x80, v7
	v_cmp_le_i32_e32 vcc_lo, s4, v7
	s_or_b32 s2, vcc_lo, s2
	s_waitcnt lgkmcnt(0)
	v_mul_f32_e32 v8, v6, v8
	ds_write_b32 v5, v8
	v_add_nc_u32_e32 v5, 0x200, v5
	s_andn2_b32 exec_lo, exec_lo, s2
	s_cbranch_execnz .LBB272_187
.LBB272_188:
	s_or_b32 exec_lo, exec_lo, s1
	s_mul_i32 s1, s11, s26
	s_waitcnt lgkmcnt(0)
	s_mul_i32 s2, s1, s9
	s_mov_b32 s1, exec_lo
	s_barrier
	buffer_gl0_inv
	v_cmpx_eq_u32_e32 0, v0
	s_cbranch_execz .LBB272_190
; %bb.189:
	s_ashr_i32 s3, s2, 31
	s_mul_i32 s12, s11, s6
	s_lshl_b64 s[4:5], s[2:3], 2
	v_mov_b32_e32 v5, 0
	s_add_u32 s3, s22, s4
	s_addc_u32 s6, s23, s5
	s_ashr_i32 s13, s12, 31
	s_lshl_b64 s[12:13], s[12:13], 2
	s_add_u32 s3, s3, s12
	s_addc_u32 s6, s6, s13
	s_ashr_i32 s9, s8, 31
	s_lshl_b64 s[22:23], s[8:9], 2
	s_add_u32 s36, s3, s22
	s_addc_u32 s37, s6, s23
	s_add_u32 s3, s20, s4
	s_addc_u32 s4, s21, s5
	;; [unrolled: 2-line block ×4, first 2 shown]
	global_store_dword v5, v3, s[36:37]
	global_store_dword v5, v4, s[4:5]
.LBB272_190:
	s_or_b32 exec_lo, exec_lo, s1
	v_mov_b32_e32 v17, 0
	v_or_b32_e32 v18, 64, v13
	v_mov_b32_e32 v16, 0
	v_mov_b32_e32 v15, 0
	s_and_saveexec_b32 s3, s0
	s_cbranch_execz .LBB272_394
; %bb.191:
	s_ashr_i32 s0, s18, 31
	v_lshlrev_b64 v[4:5], 2, v[1:2]
	s_add_u32 s4, s34, s18
	s_addc_u32 s5, s35, s0
	s_lshl_b64 s[0:1], s[30:31], 2
	s_add_i32 s12, s7, -1
	s_add_u32 s0, s28, s0
	s_addc_u32 s1, s29, s1
	v_add_co_u32 v4, s0, s0, v4
	v_lshlrev_b32_e32 v19, 3, v13
	v_mov_b32_e32 v3, 0
	v_lshlrev_b32_e32 v20, 3, v18
	v_add3_u32 v21, s33, v11, 7
	v_lshl_add_u32 v22, v12, 5, 0xc0
	v_add_co_ci_u32_e64 v5, null, s1, v5, s0
	v_mov_b32_e32 v23, 0x80
	v_mov_b32_e32 v24, 0x7f
	;; [unrolled: 1-line block ×7, first 2 shown]
	s_mov_b32 s6, -1
	s_mov_b32 s9, s17
	s_mov_b32 s7, 0xffffff
	s_mov_b32 s13, 0
	v_cmp_gt_u32_e32 vcc_lo, 0x50, v18
	s_branch .LBB272_194
.LBB272_192:                            ;   in Loop: Header=BB272_194 Depth=1
	s_or_b32 exec_lo, exec_lo, s1
	;;#ASMSTART
	v_pk_mul_f16 v2, v31, v39;

	;;#ASMEND
	;;#ASMSTART
	v_pk_mul_f16 v6, v30, v38;

	;;#ASMEND
	;; [unrolled: 4-line block ×4, first 2 shown]
	;;#ASMSTART
	v_pk_add_f16 v2, v2, v6;

	;;#ASMEND
	;;#ASMSTART
	v_pk_add_f16 v2, v2, v7;

	;;#ASMEND
	;; [unrolled: 4-line block ×3, first 2 shown]
	v_and_b32_e32 v6, 0xffff, v2
	v_lshrrev_b32_e32 v7, 16, v2
	;;#ASMSTART
	v_cvt_f32_f16 v2, v6;
	;;#ASMEND
	;;#ASMSTART
	v_cvt_f32_f16 v6, v7;
	;;#ASMEND
	v_add_f32_e32 v2, v2, v6
	v_add_f32_e32 v15, v15, v2
.LBB272_193:                            ;   in Loop: Header=BB272_194 Depth=1
	s_or_b32 exec_lo, exec_lo, s17
	v_add_nc_u32_e32 v1, 4, v1
	v_add_f32_e32 v2, v8, v9
	v_add_f32_e32 v6, v11, v27
	v_add_co_u32 v4, s1, v4, 16
	v_cmp_le_i32_e64 s0, s16, v1
	v_add_nc_u32_e32 v21, 32, v21
	v_add_f32_e32 v16, v16, v2
	v_add_f32_e32 v17, v17, v6
	v_add_nc_u32_e32 v22, 0x80, v22
	v_add_co_ci_u32_e64 v5, null, 0, v5, s1
	s_or_b32 s13, s0, s13
	s_andn2_b32 exec_lo, exec_lo, s13
	s_cbranch_execz .LBB272_393
.LBB272_194:                            ; =>This Inner Loop Header: Depth=1
	global_load_dword v2, v[4:5], off
	ds_read2_b64 v[8:11], v22 offset1:1
	ds_read2_b64 v[33:36], v22 offset0:2 offset1:3
	s_waitcnt lgkmcnt(1)
	;;#ASMSTART
	v_cvt_f16_f32 v30, v8;

	;;#ASMEND
	;;#ASMSTART
	v_cvt_f16_f32 v27, v9;

	;;#ASMEND
	;; [unrolled: 4-line block ×4, first 2 shown]
	s_waitcnt lgkmcnt(0)
	;;#ASMSTART
	v_cvt_f16_f32 v33, v33;

	;;#ASMEND
	;;#ASMSTART
	v_cvt_f16_f32 v29, v34;

	;;#ASMEND
	;; [unrolled: 4-line block ×4, first 2 shown]
	v_mov_b32_e32 v36, 0
	s_waitcnt vmcnt(0)
	v_mad_i64_i32 v[6:7], null, v2, s9, s[4:5]
	v_add_co_u32 v8, s0, v6, v19
	v_add_co_ci_u32_e64 v9, null, 0, v7, s0
	global_load_dwordx2 v[10:11], v[8:9], off
	global_load_dword v35, v3, s[14:15]
	s_waitcnt vmcnt(1)
	v_cmp_ne_u16_sdwa s0, v10, v3 src0_sel:BYTE_0 src1_sel:DWORD
	s_and_saveexec_b32 s1, s0
	s_cbranch_execz .LBB272_202
; %bb.195:                              ;   in Loop: Header=BB272_194 Depth=1
	v_cmp_ne_u16_sdwa s0, v10, v23 src0_sel:BYTE_0 src1_sel:DWORD
	v_mov_b32_e32 v36, 0x8000
	s_and_saveexec_b32 s17, s0
	s_cbranch_execz .LBB272_201
; %bb.196:                              ;   in Loop: Header=BB272_194 Depth=1
	v_and_b32_e32 v37, 0x7f, v10
	v_mov_b32_e32 v36, 0x7c01
	s_mov_b32 s18, exec_lo
	v_cmpx_ne_u32_e32 0x7f, v37
	s_cbranch_execz .LBB272_200
; %bb.197:                              ;   in Loop: Header=BB272_194 Depth=1
	v_and_b32_e32 v2, 7, v10
	v_lshrrev_b32_e32 v36, 3, v37
	s_mov_b32 s19, exec_lo
	v_cmpx_gt_u32_e32 8, v37
; %bb.198:                              ;   in Loop: Header=BB272_194 Depth=1
	v_ffbh_u32_e32 v2, v2
	v_min_u32_e32 v2, 32, v2
	v_subrev_nc_u32_e32 v36, 28, v2
	v_lshlrev_b64 v[37:38], v36, v[10:11]
	v_sub_nc_u32_e32 v36, 29, v2
	v_and_b32_e32 v2, 7, v37
; %bb.199:                              ;   in Loop: Header=BB272_194 Depth=1
	s_or_b32 exec_lo, exec_lo, s19
	v_lshlrev_b32_e32 v37, 8, v10
	v_lshl_add_u32 v36, v36, 10, 0x2000
	v_lshlrev_b32_e32 v2, 7, v2
	v_and_b32_e32 v37, 0x8000, v37
	v_and_b32_e32 v36, 0xfc00, v36
	v_or3_b32 v36, v37, v36, v2
.LBB272_200:                            ;   in Loop: Header=BB272_194 Depth=1
	s_or_b32 exec_lo, exec_lo, s18
.LBB272_201:                            ;   in Loop: Header=BB272_194 Depth=1
	s_or_b32 exec_lo, exec_lo, s17
.LBB272_202:                            ;   in Loop: Header=BB272_194 Depth=1
	s_or_b32 exec_lo, exec_lo, s1
	v_lshrrev_b16 v2, 8, v10
	v_mov_b32_e32 v38, 0
	v_mov_b32_e32 v37, 0
	s_mov_b32 s1, exec_lo
	v_cmpx_ne_u16_e32 0, v2
	s_cbranch_execz .LBB272_210
; %bb.203:                              ;   in Loop: Header=BB272_194 Depth=1
	v_bfrev_b32_e32 v37, 1
	s_mov_b32 s17, exec_lo
	v_cmpx_ne_u16_e32 0x80, v2
	s_cbranch_execz .LBB272_209
; %bb.204:                              ;   in Loop: Header=BB272_194 Depth=1
	v_and_b32_sdwa v40, v2, v24 dst_sel:DWORD dst_unused:UNUSED_PAD src0_sel:WORD_0 src1_sel:DWORD
	v_mov_b32_e32 v37, 0x7c010000
	s_mov_b32 s18, exec_lo
	v_cmpx_ne_u32_e32 0x7f, v40
	s_cbranch_execz .LBB272_208
; %bb.205:                              ;   in Loop: Header=BB272_194 Depth=1
	v_and_b32_sdwa v37, v2, v25 dst_sel:DWORD dst_unused:UNUSED_PAD src0_sel:WORD_0 src1_sel:DWORD
	v_lshrrev_b32_e32 v39, 3, v40
	s_mov_b32 s19, exec_lo
	v_cmpx_gt_u32_e32 8, v40
; %bb.206:                              ;   in Loop: Header=BB272_194 Depth=1
	v_ffbh_u32_e32 v37, v37
	v_min_u32_e32 v37, 32, v37
	v_subrev_nc_u32_e32 v39, 28, v37
	v_lshlrev_b64 v[40:41], v39, v[2:3]
	v_sub_nc_u32_e32 v39, 29, v37
	v_and_b32_e32 v37, 7, v40
; %bb.207:                              ;   in Loop: Header=BB272_194 Depth=1
	s_or_b32 exec_lo, exec_lo, s19
	v_lshlrev_b32_sdwa v2, v26, v2 dst_sel:DWORD dst_unused:UNUSED_PAD src0_sel:DWORD src1_sel:WORD_0
	v_lshl_add_u32 v39, v39, 10, 0x2000
	v_lshlrev_b32_e32 v37, 23, v37
	v_and_or_b32 v2, 0x8000, v2, v39
	v_lshl_or_b32 v37, v2, 16, v37
.LBB272_208:                            ;   in Loop: Header=BB272_194 Depth=1
	s_or_b32 exec_lo, exec_lo, s18
.LBB272_209:                            ;   in Loop: Header=BB272_194 Depth=1
	s_or_b32 exec_lo, exec_lo, s17
.LBB272_210:                            ;   in Loop: Header=BB272_194 Depth=1
	s_or_b32 exec_lo, exec_lo, s1
	v_lshrrev_b32_e32 v2, 16, v10
	v_cmp_ne_u16_sdwa s0, v2, v3 src0_sel:BYTE_0 src1_sel:DWORD
	s_and_saveexec_b32 s1, s0
	s_cbranch_execz .LBB272_218
; %bb.211:                              ;   in Loop: Header=BB272_194 Depth=1
	v_cmp_ne_u16_sdwa s0, v2, v23 src0_sel:BYTE_0 src1_sel:DWORD
	v_mov_b32_e32 v38, 0x8000
	s_and_saveexec_b32 s17, s0
	s_cbranch_execz .LBB272_217
; %bb.212:                              ;   in Loop: Header=BB272_194 Depth=1
	v_bfe_u32 v40, v10, 16, 7
	v_mov_b32_e32 v38, 0x7c01
	s_mov_b32 s18, exec_lo
	v_cmpx_ne_u32_e32 0x7f, v40
	s_cbranch_execz .LBB272_216
; %bb.213:                              ;   in Loop: Header=BB272_194 Depth=1
	v_and_b32_e32 v38, 7, v2
	v_lshrrev_b32_e32 v39, 3, v40
	s_mov_b32 s19, exec_lo
	v_cmpx_gt_u32_e32 8, v40
; %bb.214:                              ;   in Loop: Header=BB272_194 Depth=1
	v_ffbh_u32_e32 v38, v38
	v_min_u32_e32 v40, 32, v38
	v_subrev_nc_u32_e32 v38, 28, v40
	v_lshlrev_b64 v[38:39], v38, v[2:3]
	v_sub_nc_u32_e32 v39, 29, v40
	v_and_b32_e32 v38, 7, v38
; %bb.215:                              ;   in Loop: Header=BB272_194 Depth=1
	s_or_b32 exec_lo, exec_lo, s19
	v_lshlrev_b32_e32 v2, 8, v2
	v_lshl_add_u32 v39, v39, 10, 0x2000
	v_lshlrev_b32_e32 v38, 7, v38
	v_and_b32_e32 v2, 0x8000, v2
	v_and_b32_e32 v39, 0xfc00, v39
	v_or3_b32 v38, v2, v39, v38
.LBB272_216:                            ;   in Loop: Header=BB272_194 Depth=1
	s_or_b32 exec_lo, exec_lo, s18
.LBB272_217:                            ;   in Loop: Header=BB272_194 Depth=1
	s_or_b32 exec_lo, exec_lo, s17
.LBB272_218:                            ;   in Loop: Header=BB272_194 Depth=1
	s_or_b32 exec_lo, exec_lo, s1
	v_mov_b32_e32 v39, 0
	v_mov_b32_e32 v40, 0
	s_mov_b32 s1, exec_lo
	v_cmpx_lt_u32_e32 0xffffff, v10
	s_cbranch_execz .LBB272_226
; %bb.219:                              ;   in Loop: Header=BB272_194 Depth=1
	v_lshrrev_b32_e32 v2, 24, v10
	v_bfrev_b32_e32 v40, 1
	s_mov_b32 s17, exec_lo
	v_cmpx_ne_u32_e32 0x80, v2
	s_cbranch_execz .LBB272_225
; %bb.220:                              ;   in Loop: Header=BB272_194 Depth=1
	v_and_b32_e32 v42, 0x7f, v2
	v_mov_b32_e32 v40, 0x7c010000
	s_mov_b32 s18, exec_lo
	v_cmpx_ne_u32_e32 0x7f, v42
	s_cbranch_execz .LBB272_224
; %bb.221:                              ;   in Loop: Header=BB272_194 Depth=1
	v_and_b32_e32 v40, 7, v2
	v_lshrrev_b32_e32 v41, 3, v42
	s_mov_b32 s19, exec_lo
	v_cmpx_gt_u32_e32 8, v42
; %bb.222:                              ;   in Loop: Header=BB272_194 Depth=1
	v_ffbh_u32_e32 v40, v40
	v_min_u32_e32 v42, 32, v40
	v_subrev_nc_u32_e32 v40, 28, v42
	v_lshlrev_b64 v[40:41], v40, v[2:3]
	v_sub_nc_u32_e32 v41, 29, v42
	v_and_b32_e32 v40, 7, v40
; %bb.223:                              ;   in Loop: Header=BB272_194 Depth=1
	s_or_b32 exec_lo, exec_lo, s19
	v_lshlrev_b32_e32 v2, 8, v2
	v_lshl_add_u32 v41, v41, 10, 0x2000
	v_lshlrev_b32_e32 v40, 23, v40
	v_and_or_b32 v2, 0x8000, v2, v41
	v_lshl_or_b32 v40, v2, 16, v40
.LBB272_224:                            ;   in Loop: Header=BB272_194 Depth=1
	s_or_b32 exec_lo, exec_lo, s18
.LBB272_225:                            ;   in Loop: Header=BB272_194 Depth=1
	s_or_b32 exec_lo, exec_lo, s17
.LBB272_226:                            ;   in Loop: Header=BB272_194 Depth=1
	s_or_b32 exec_lo, exec_lo, s1
	v_mov_b32_e32 v2, v11
	v_cmp_ne_u16_sdwa s0, v11, v3 src0_sel:BYTE_0 src1_sel:DWORD
	s_and_saveexec_b32 s1, s0
	s_cbranch_execz .LBB272_234
; %bb.227:                              ;   in Loop: Header=BB272_194 Depth=1
	v_cmp_ne_u16_sdwa s0, v11, v23 src0_sel:BYTE_0 src1_sel:DWORD
	v_mov_b32_e32 v39, 0x8000
	s_and_saveexec_b32 s17, s0
	s_cbranch_execz .LBB272_233
; %bb.228:                              ;   in Loop: Header=BB272_194 Depth=1
	v_and_b32_e32 v42, 0x7f, v11
	v_mov_b32_e32 v39, 0x7c01
	s_mov_b32 s18, exec_lo
	v_cmpx_ne_u32_e32 0x7f, v42
	s_cbranch_execz .LBB272_232
; %bb.229:                              ;   in Loop: Header=BB272_194 Depth=1
	v_and_b32_e32 v39, 7, v11
	v_lshrrev_b32_e32 v41, 3, v42
	s_mov_b32 s19, exec_lo
	v_cmpx_gt_u32_e32 8, v42
; %bb.230:                              ;   in Loop: Header=BB272_194 Depth=1
	v_ffbh_u32_e32 v39, v39
	v_min_u32_e32 v39, 32, v39
	v_subrev_nc_u32_e32 v41, 28, v39
	v_lshlrev_b64 v[42:43], v41, v[2:3]
	v_sub_nc_u32_e32 v41, 29, v39
	v_and_b32_e32 v39, 7, v42
; %bb.231:                              ;   in Loop: Header=BB272_194 Depth=1
	s_or_b32 exec_lo, exec_lo, s19
	v_lshlrev_b32_e32 v42, 8, v11
	v_lshl_add_u32 v41, v41, 10, 0x2000
	v_lshlrev_b32_e32 v39, 7, v39
	v_and_b32_e32 v42, 0x8000, v42
	v_and_b32_e32 v41, 0xfc00, v41
	v_or3_b32 v39, v42, v41, v39
.LBB272_232:                            ;   in Loop: Header=BB272_194 Depth=1
	s_or_b32 exec_lo, exec_lo, s18
.LBB272_233:                            ;   in Loop: Header=BB272_194 Depth=1
	s_or_b32 exec_lo, exec_lo, s17
.LBB272_234:                            ;   in Loop: Header=BB272_194 Depth=1
	s_or_b32 exec_lo, exec_lo, s1
	v_lshrrev_b16 v2, 8, v2
	v_mov_b32_e32 v42, 0
	v_mov_b32_e32 v41, 0
	s_mov_b32 s1, exec_lo
	v_cmpx_ne_u16_e32 0, v2
	s_cbranch_execz .LBB272_242
; %bb.235:                              ;   in Loop: Header=BB272_194 Depth=1
	v_bfrev_b32_e32 v41, 1
	s_mov_b32 s17, exec_lo
	v_cmpx_ne_u16_e32 0x80, v2
	s_cbranch_execz .LBB272_241
; %bb.236:                              ;   in Loop: Header=BB272_194 Depth=1
	v_and_b32_sdwa v44, v2, v24 dst_sel:DWORD dst_unused:UNUSED_PAD src0_sel:WORD_0 src1_sel:DWORD
	v_mov_b32_e32 v41, 0x7c010000
	s_mov_b32 s18, exec_lo
	v_cmpx_ne_u32_e32 0x7f, v44
	s_cbranch_execz .LBB272_240
; %bb.237:                              ;   in Loop: Header=BB272_194 Depth=1
	v_and_b32_sdwa v41, v2, v25 dst_sel:DWORD dst_unused:UNUSED_PAD src0_sel:WORD_0 src1_sel:DWORD
	v_lshrrev_b32_e32 v43, 3, v44
	s_mov_b32 s19, exec_lo
	v_cmpx_gt_u32_e32 8, v44
; %bb.238:                              ;   in Loop: Header=BB272_194 Depth=1
	v_ffbh_u32_e32 v41, v41
	v_min_u32_e32 v41, 32, v41
	v_subrev_nc_u32_e32 v43, 28, v41
	v_lshlrev_b64 v[44:45], v43, v[2:3]
	v_sub_nc_u32_e32 v43, 29, v41
	v_and_b32_e32 v41, 7, v44
; %bb.239:                              ;   in Loop: Header=BB272_194 Depth=1
	s_or_b32 exec_lo, exec_lo, s19
	v_lshlrev_b32_sdwa v2, v26, v2 dst_sel:DWORD dst_unused:UNUSED_PAD src0_sel:DWORD src1_sel:WORD_0
	v_lshl_add_u32 v43, v43, 10, 0x2000
	v_lshlrev_b32_e32 v41, 23, v41
	v_and_or_b32 v2, 0x8000, v2, v43
	v_lshl_or_b32 v41, v2, 16, v41
.LBB272_240:                            ;   in Loop: Header=BB272_194 Depth=1
	s_or_b32 exec_lo, exec_lo, s18
.LBB272_241:                            ;   in Loop: Header=BB272_194 Depth=1
	s_or_b32 exec_lo, exec_lo, s17
.LBB272_242:                            ;   in Loop: Header=BB272_194 Depth=1
	s_or_b32 exec_lo, exec_lo, s1
	v_lshrrev_b32_e32 v2, 16, v11
	v_cmp_ne_u16_sdwa s0, v2, v3 src0_sel:BYTE_0 src1_sel:DWORD
	s_and_saveexec_b32 s1, s0
	s_cbranch_execz .LBB272_250
; %bb.243:                              ;   in Loop: Header=BB272_194 Depth=1
	v_cmp_ne_u16_sdwa s0, v2, v23 src0_sel:BYTE_0 src1_sel:DWORD
	v_mov_b32_e32 v42, 0x8000
	s_and_saveexec_b32 s17, s0
	s_cbranch_execz .LBB272_249
; %bb.244:                              ;   in Loop: Header=BB272_194 Depth=1
	v_bfe_u32 v44, v11, 16, 7
	v_mov_b32_e32 v42, 0x7c01
	s_mov_b32 s18, exec_lo
	v_cmpx_ne_u32_e32 0x7f, v44
	s_cbranch_execz .LBB272_248
; %bb.245:                              ;   in Loop: Header=BB272_194 Depth=1
	v_and_b32_e32 v42, 7, v2
	v_lshrrev_b32_e32 v43, 3, v44
	s_mov_b32 s19, exec_lo
	v_cmpx_gt_u32_e32 8, v44
; %bb.246:                              ;   in Loop: Header=BB272_194 Depth=1
	v_ffbh_u32_e32 v42, v42
	v_min_u32_e32 v44, 32, v42
	v_subrev_nc_u32_e32 v42, 28, v44
	v_lshlrev_b64 v[42:43], v42, v[2:3]
	v_sub_nc_u32_e32 v43, 29, v44
	v_and_b32_e32 v42, 7, v42
; %bb.247:                              ;   in Loop: Header=BB272_194 Depth=1
	s_or_b32 exec_lo, exec_lo, s19
	v_lshlrev_b32_e32 v2, 8, v2
	v_lshl_add_u32 v43, v43, 10, 0x2000
	v_lshlrev_b32_e32 v42, 7, v42
	v_and_b32_e32 v2, 0x8000, v2
	v_and_b32_e32 v43, 0xfc00, v43
	v_or3_b32 v42, v2, v43, v42
.LBB272_248:                            ;   in Loop: Header=BB272_194 Depth=1
	s_or_b32 exec_lo, exec_lo, s18
.LBB272_249:                            ;   in Loop: Header=BB272_194 Depth=1
	s_or_b32 exec_lo, exec_lo, s17
.LBB272_250:                            ;   in Loop: Header=BB272_194 Depth=1
	s_or_b32 exec_lo, exec_lo, s1
	v_mov_b32_e32 v43, 0
	s_mov_b32 s1, exec_lo
	v_cmpx_lt_u64_e64 s[6:7], v[10:11]
	s_cbranch_execz .LBB272_258
; %bb.251:                              ;   in Loop: Header=BB272_194 Depth=1
	v_lshrrev_b32_e32 v2, 24, v11
	v_bfrev_b32_e32 v43, 1
	s_mov_b32 s17, exec_lo
	v_cmpx_ne_u32_e32 0x80, v2
	s_cbranch_execz .LBB272_257
; %bb.252:                              ;   in Loop: Header=BB272_194 Depth=1
	v_and_b32_e32 v44, 0x7f, v2
	v_mov_b32_e32 v43, 0x7c010000
	s_mov_b32 s18, exec_lo
	v_cmpx_ne_u32_e32 0x7f, v44
	s_cbranch_execz .LBB272_256
; %bb.253:                              ;   in Loop: Header=BB272_194 Depth=1
	v_and_b32_e32 v10, 7, v2
	v_lshrrev_b32_e32 v11, 3, v44
	s_mov_b32 s19, exec_lo
	v_cmpx_gt_u32_e32 8, v44
; %bb.254:                              ;   in Loop: Header=BB272_194 Depth=1
	v_ffbh_u32_e32 v10, v10
	v_min_u32_e32 v43, 32, v10
	v_subrev_nc_u32_e32 v10, 28, v43
	v_lshlrev_b64 v[10:11], v10, v[2:3]
	v_sub_nc_u32_e32 v11, 29, v43
	v_and_b32_e32 v10, 7, v10
; %bb.255:                              ;   in Loop: Header=BB272_194 Depth=1
	s_or_b32 exec_lo, exec_lo, s19
	v_lshlrev_b32_e32 v2, 8, v2
	v_lshl_add_u32 v11, v11, 10, 0x2000
	v_lshlrev_b32_e32 v10, 23, v10
	v_and_or_b32 v2, 0x8000, v2, v11
	v_lshl_or_b32 v43, v2, 16, v10
.LBB272_256:                            ;   in Loop: Header=BB272_194 Depth=1
	s_or_b32 exec_lo, exec_lo, s18
.LBB272_257:                            ;   in Loop: Header=BB272_194 Depth=1
	s_or_b32 exec_lo, exec_lo, s17
.LBB272_258:                            ;   in Loop: Header=BB272_194 Depth=1
	s_or_b32 exec_lo, exec_lo, s1
	v_or_b32_e32 v2, v40, v38
	s_waitcnt vmcnt(0)
	v_fma_mixlo_f16 v11, v35, v40, 0 op_sel:[0,1,0] op_sel_hi:[0,1,0]
	v_or_b32_e32 v36, v37, v36
	v_fma_mixlo_f16 v37, v35, v37, 0 op_sel:[0,1,0] op_sel_hi:[0,1,0]
	v_or_b32_e32 v40, v41, v39
	v_or_b32_e32 v42, v43, v42
	v_fma_mixlo_f16 v38, v35, v2, 0 op_sel_hi:[0,1,0]
	v_lshlrev_b32_e32 v2, 16, v11
	v_lshlrev_b32_e32 v39, 16, v37
	v_fma_mixlo_f16 v11, v35, v36, 0 op_sel_hi:[0,1,0]
	v_fma_mixlo_f16 v36, v35, v41, 0 op_sel:[0,1,0] op_sel_hi:[0,1,0]
	v_fma_mixlo_f16 v37, v35, v40, 0 op_sel_hi:[0,1,0]
	v_fma_mixlo_f16 v40, v35, v43, 0 op_sel:[0,1,0] op_sel_hi:[0,1,0]
	v_fma_mixlo_f16 v41, v35, v42, 0 op_sel_hi:[0,1,0]
	v_and_b32_e32 v38, 0xffff, v38
	v_and_b32_e32 v44, 0xffff, v11
	v_lshlrev_b32_e32 v35, 16, v36
	v_and_b32_e32 v37, 0xffff, v37
	v_lshlrev_b32_e32 v11, 16, v40
	v_and_b32_e32 v36, 0xffff, v41
	v_add_nc_u32_e32 v10, -7, v21
	v_cmp_eq_u32_e64 s0, s12, v1
	v_or_b32_e32 v40, v2, v38
	v_or_b32_e32 v41, v39, v44
	;; [unrolled: 1-line block ×4, first 2 shown]
	s_and_saveexec_b32 s17, s0
	s_cbranch_execz .LBB272_260
; %bb.259:                              ;   in Loop: Header=BB272_194 Depth=1
	v_add_nc_u32_e32 v40, -6, v21
	v_cmp_gt_i32_e64 s1, s27, v10
	v_add_nc_u32_e32 v41, -5, v21
	v_add_nc_u32_e32 v43, -2, v21
	v_cndmask_b32_e64 v42, 0, v44, s1
	v_cmp_gt_i32_e64 s1, s27, v40
	v_add_nc_u32_e32 v40, -4, v21
	v_cndmask_b32_e64 v39, 0, v39, s1
	v_cmp_gt_i32_e64 s1, s27, v41
	;; [unrolled: 3-line block ×4, first 2 shown]
	v_or_b32_e32 v41, v39, v42
	v_cndmask_b32_e64 v37, 0, v37, s1
	v_cmp_gt_i32_e64 s1, s27, v43
	v_cndmask_b32_e64 v35, 0, v35, s1
	v_cmp_gt_i32_e64 s1, s27, v40
	v_or_b32_e32 v40, v2, v38
	v_or_b32_e32 v42, v35, v37
	v_cndmask_b32_e64 v36, 0, v36, s1
	v_cmp_gt_i32_e64 s1, s27, v21
	v_cndmask_b32_e64 v11, 0, v11, s1
	v_or_b32_e32 v43, v11, v36
.LBB272_260:                            ;   in Loop: Header=BB272_194 Depth=1
	s_or_b32 exec_lo, exec_lo, s17
	v_and_b32_e32 v2, 0xffff, v30
	v_and_b32_e32 v11, 0xffff, v31
	;; [unrolled: 1-line block ×4, first 2 shown]
	v_lshl_or_b32 v31, v27, 16, v2
	;;#ASMSTART
	v_pk_mul_f16 v2, v31, v41;

	;;#ASMEND
	v_lshl_or_b32 v30, v28, 16, v11
	v_lshl_or_b32 v29, v29, 16, v33
	;; [unrolled: 1-line block ×3, first 2 shown]
	;;#ASMSTART
	v_pk_mul_f16 v11, v30, v40;

	;;#ASMEND
	;;#ASMSTART
	v_pk_mul_f16 v27, v29, v42;

	;;#ASMEND
	;; [unrolled: 4-line block ×3, first 2 shown]
	;;#ASMSTART
	v_pk_add_f16 v2, v2, v11;

	;;#ASMEND
	;;#ASMSTART
	v_pk_add_f16 v2, v2, v27;

	;;#ASMEND
	;; [unrolled: 4-line block ×3, first 2 shown]
	v_and_b32_e32 v11, 0xffff, v2
	v_lshrrev_b32_e32 v2, 16, v2
	;;#ASMSTART
	v_cvt_f32_f16 v11, v11;
	;;#ASMEND
	;;#ASMSTART
	v_cvt_f32_f16 v27, v2;
	;;#ASMEND
	global_load_dwordx2 v[8:9], v[8:9], off offset:256
	v_mov_b32_e32 v33, 0
	v_mov_b32_e32 v34, 0
	global_load_dword v32, v33, s[14:15]
	s_waitcnt vmcnt(1)
	v_cmp_ne_u16_sdwa s1, v8, v3 src0_sel:BYTE_0 src1_sel:DWORD
	s_and_saveexec_b32 s17, s1
	s_cbranch_execz .LBB272_268
; %bb.261:                              ;   in Loop: Header=BB272_194 Depth=1
	v_cmp_ne_u16_sdwa s1, v8, v23 src0_sel:BYTE_0 src1_sel:DWORD
	v_mov_b32_e32 v34, 0x8000
	s_and_saveexec_b32 s18, s1
	s_cbranch_execz .LBB272_267
; %bb.262:                              ;   in Loop: Header=BB272_194 Depth=1
	v_and_b32_e32 v35, 0x7f, v8
	v_mov_b32_e32 v34, 0x7c01
	s_mov_b32 s19, exec_lo
	v_cmpx_ne_u32_e32 0x7f, v35
	s_cbranch_execz .LBB272_266
; %bb.263:                              ;   in Loop: Header=BB272_194 Depth=1
	v_and_b32_e32 v2, 7, v8
	v_lshrrev_b32_e32 v34, 3, v35
	s_mov_b32 s20, exec_lo
	v_cmpx_gt_u32_e32 8, v35
; %bb.264:                              ;   in Loop: Header=BB272_194 Depth=1
	v_ffbh_u32_e32 v2, v2
	v_min_u32_e32 v2, 32, v2
	v_subrev_nc_u32_e32 v34, 28, v2
	v_lshlrev_b64 v[35:36], v34, v[8:9]
	v_sub_nc_u32_e32 v34, 29, v2
	v_and_b32_e32 v2, 7, v35
; %bb.265:                              ;   in Loop: Header=BB272_194 Depth=1
	s_or_b32 exec_lo, exec_lo, s20
	v_lshlrev_b32_e32 v35, 8, v8
	v_lshl_add_u32 v34, v34, 10, 0x2000
	v_lshlrev_b32_e32 v2, 7, v2
	v_and_b32_e32 v35, 0x8000, v35
	v_and_b32_e32 v34, 0xfc00, v34
	v_or3_b32 v34, v35, v34, v2
.LBB272_266:                            ;   in Loop: Header=BB272_194 Depth=1
	s_or_b32 exec_lo, exec_lo, s19
.LBB272_267:                            ;   in Loop: Header=BB272_194 Depth=1
	s_or_b32 exec_lo, exec_lo, s18
.LBB272_268:                            ;   in Loop: Header=BB272_194 Depth=1
	s_or_b32 exec_lo, exec_lo, s17
	v_lshrrev_b16 v2, 8, v8
	s_mov_b32 s17, exec_lo
	v_cmpx_ne_u16_e32 0, v2
	s_cbranch_execz .LBB272_276
; %bb.269:                              ;   in Loop: Header=BB272_194 Depth=1
	v_bfrev_b32_e32 v33, 1
	s_mov_b32 s18, exec_lo
	v_cmpx_ne_u16_e32 0x80, v2
	s_cbranch_execz .LBB272_275
; %bb.270:                              ;   in Loop: Header=BB272_194 Depth=1
	v_and_b32_sdwa v36, v2, v24 dst_sel:DWORD dst_unused:UNUSED_PAD src0_sel:WORD_0 src1_sel:DWORD
	v_mov_b32_e32 v33, 0x7c010000
	s_mov_b32 s19, exec_lo
	v_cmpx_ne_u32_e32 0x7f, v36
	s_cbranch_execz .LBB272_274
; %bb.271:                              ;   in Loop: Header=BB272_194 Depth=1
	v_and_b32_sdwa v33, v2, v25 dst_sel:DWORD dst_unused:UNUSED_PAD src0_sel:WORD_0 src1_sel:DWORD
	v_lshrrev_b32_e32 v35, 3, v36
	s_mov_b32 s20, exec_lo
	v_cmpx_gt_u32_e32 8, v36
; %bb.272:                              ;   in Loop: Header=BB272_194 Depth=1
	v_ffbh_u32_e32 v33, v33
	v_min_u32_e32 v33, 32, v33
	v_subrev_nc_u32_e32 v35, 28, v33
	v_lshlrev_b64 v[36:37], v35, v[2:3]
	v_sub_nc_u32_e32 v35, 29, v33
	v_and_b32_e32 v33, 7, v36
; %bb.273:                              ;   in Loop: Header=BB272_194 Depth=1
	s_or_b32 exec_lo, exec_lo, s20
	v_lshlrev_b32_sdwa v2, v26, v2 dst_sel:DWORD dst_unused:UNUSED_PAD src0_sel:DWORD src1_sel:WORD_0
	v_lshl_add_u32 v35, v35, 10, 0x2000
	v_lshlrev_b32_e32 v33, 23, v33
	v_and_or_b32 v2, 0x8000, v2, v35
	v_lshl_or_b32 v33, v2, 16, v33
.LBB272_274:                            ;   in Loop: Header=BB272_194 Depth=1
	s_or_b32 exec_lo, exec_lo, s19
.LBB272_275:                            ;   in Loop: Header=BB272_194 Depth=1
	s_or_b32 exec_lo, exec_lo, s18
.LBB272_276:                            ;   in Loop: Header=BB272_194 Depth=1
	s_or_b32 exec_lo, exec_lo, s17
	v_lshrrev_b32_e32 v2, 16, v8
	v_mov_b32_e32 v35, 0
	v_mov_b32_e32 v36, 0
	v_cmp_ne_u16_sdwa s1, v2, v3 src0_sel:BYTE_0 src1_sel:DWORD
	s_and_saveexec_b32 s17, s1
	s_cbranch_execz .LBB272_284
; %bb.277:                              ;   in Loop: Header=BB272_194 Depth=1
	v_cmp_ne_u16_sdwa s1, v2, v23 src0_sel:BYTE_0 src1_sel:DWORD
	v_mov_b32_e32 v36, 0x8000
	s_and_saveexec_b32 s18, s1
	s_cbranch_execz .LBB272_283
; %bb.278:                              ;   in Loop: Header=BB272_194 Depth=1
	v_bfe_u32 v38, v8, 16, 7
	v_mov_b32_e32 v36, 0x7c01
	s_mov_b32 s19, exec_lo
	v_cmpx_ne_u32_e32 0x7f, v38
	s_cbranch_execz .LBB272_282
; %bb.279:                              ;   in Loop: Header=BB272_194 Depth=1
	v_and_b32_e32 v36, 7, v2
	v_lshrrev_b32_e32 v37, 3, v38
	s_mov_b32 s20, exec_lo
	v_cmpx_gt_u32_e32 8, v38
; %bb.280:                              ;   in Loop: Header=BB272_194 Depth=1
	v_ffbh_u32_e32 v36, v36
	v_min_u32_e32 v38, 32, v36
	v_subrev_nc_u32_e32 v36, 28, v38
	v_lshlrev_b64 v[36:37], v36, v[2:3]
	v_sub_nc_u32_e32 v37, 29, v38
	v_and_b32_e32 v36, 7, v36
; %bb.281:                              ;   in Loop: Header=BB272_194 Depth=1
	s_or_b32 exec_lo, exec_lo, s20
	v_lshlrev_b32_e32 v2, 8, v2
	v_lshl_add_u32 v37, v37, 10, 0x2000
	v_lshlrev_b32_e32 v36, 7, v36
	v_and_b32_e32 v2, 0x8000, v2
	v_and_b32_e32 v37, 0xfc00, v37
	v_or3_b32 v36, v2, v37, v36
.LBB272_282:                            ;   in Loop: Header=BB272_194 Depth=1
	s_or_b32 exec_lo, exec_lo, s19
.LBB272_283:                            ;   in Loop: Header=BB272_194 Depth=1
	s_or_b32 exec_lo, exec_lo, s18
.LBB272_284:                            ;   in Loop: Header=BB272_194 Depth=1
	s_or_b32 exec_lo, exec_lo, s17
	s_mov_b32 s17, exec_lo
	v_cmpx_lt_u32_e32 0xffffff, v8
	s_cbranch_execz .LBB272_292
; %bb.285:                              ;   in Loop: Header=BB272_194 Depth=1
	v_lshrrev_b32_e32 v2, 24, v8
	v_bfrev_b32_e32 v35, 1
	s_mov_b32 s18, exec_lo
	v_cmpx_ne_u32_e32 0x80, v2
	s_cbranch_execz .LBB272_291
; %bb.286:                              ;   in Loop: Header=BB272_194 Depth=1
	v_and_b32_e32 v38, 0x7f, v2
	v_mov_b32_e32 v35, 0x7c010000
	s_mov_b32 s19, exec_lo
	v_cmpx_ne_u32_e32 0x7f, v38
	s_cbranch_execz .LBB272_290
; %bb.287:                              ;   in Loop: Header=BB272_194 Depth=1
	v_and_b32_e32 v35, 7, v2
	v_lshrrev_b32_e32 v37, 3, v38
	s_mov_b32 s20, exec_lo
	v_cmpx_gt_u32_e32 8, v38
; %bb.288:                              ;   in Loop: Header=BB272_194 Depth=1
	v_ffbh_u32_e32 v35, v35
	v_min_u32_e32 v35, 32, v35
	v_subrev_nc_u32_e32 v37, 28, v35
	v_lshlrev_b64 v[38:39], v37, v[2:3]
	v_sub_nc_u32_e32 v37, 29, v35
	v_and_b32_e32 v35, 7, v38
; %bb.289:                              ;   in Loop: Header=BB272_194 Depth=1
	s_or_b32 exec_lo, exec_lo, s20
	v_lshlrev_b32_e32 v2, 8, v2
	v_lshl_add_u32 v37, v37, 10, 0x2000
	v_lshlrev_b32_e32 v35, 23, v35
	v_and_or_b32 v2, 0x8000, v2, v37
	v_lshl_or_b32 v35, v2, 16, v35
.LBB272_290:                            ;   in Loop: Header=BB272_194 Depth=1
	s_or_b32 exec_lo, exec_lo, s19
.LBB272_291:                            ;   in Loop: Header=BB272_194 Depth=1
	s_or_b32 exec_lo, exec_lo, s18
.LBB272_292:                            ;   in Loop: Header=BB272_194 Depth=1
	s_or_b32 exec_lo, exec_lo, s17
	v_mov_b32_e32 v2, v9
	v_cmp_ne_u16_sdwa s1, v9, v3 src0_sel:BYTE_0 src1_sel:DWORD
	v_mov_b32_e32 v37, 0
	v_mov_b32_e32 v38, 0
	s_and_saveexec_b32 s17, s1
	s_cbranch_execz .LBB272_300
; %bb.293:                              ;   in Loop: Header=BB272_194 Depth=1
	v_cmp_ne_u16_sdwa s1, v9, v23 src0_sel:BYTE_0 src1_sel:DWORD
	v_mov_b32_e32 v38, 0x8000
	s_and_saveexec_b32 s18, s1
	s_cbranch_execz .LBB272_299
; %bb.294:                              ;   in Loop: Header=BB272_194 Depth=1
	v_and_b32_e32 v40, 0x7f, v9
	v_mov_b32_e32 v38, 0x7c01
	s_mov_b32 s19, exec_lo
	v_cmpx_ne_u32_e32 0x7f, v40
	s_cbranch_execz .LBB272_298
; %bb.295:                              ;   in Loop: Header=BB272_194 Depth=1
	v_and_b32_e32 v38, 7, v9
	v_lshrrev_b32_e32 v39, 3, v40
	s_mov_b32 s20, exec_lo
	v_cmpx_gt_u32_e32 8, v40
; %bb.296:                              ;   in Loop: Header=BB272_194 Depth=1
	v_ffbh_u32_e32 v38, v38
	v_min_u32_e32 v40, 32, v38
	v_subrev_nc_u32_e32 v38, 28, v40
	v_lshlrev_b64 v[38:39], v38, v[2:3]
	v_sub_nc_u32_e32 v39, 29, v40
	v_and_b32_e32 v38, 7, v38
; %bb.297:                              ;   in Loop: Header=BB272_194 Depth=1
	s_or_b32 exec_lo, exec_lo, s20
	v_lshlrev_b32_e32 v40, 8, v9
	v_lshl_add_u32 v39, v39, 10, 0x2000
	v_lshlrev_b32_e32 v38, 7, v38
	v_and_b32_e32 v40, 0x8000, v40
	v_and_b32_e32 v39, 0xfc00, v39
	v_or3_b32 v38, v40, v39, v38
.LBB272_298:                            ;   in Loop: Header=BB272_194 Depth=1
	s_or_b32 exec_lo, exec_lo, s19
.LBB272_299:                            ;   in Loop: Header=BB272_194 Depth=1
	s_or_b32 exec_lo, exec_lo, s18
.LBB272_300:                            ;   in Loop: Header=BB272_194 Depth=1
	s_or_b32 exec_lo, exec_lo, s17
	v_lshrrev_b16 v2, 8, v2
	v_mov_b32_e32 v39, 0
	s_mov_b32 s17, exec_lo
	v_cmpx_ne_u16_e32 0, v2
	s_cbranch_execz .LBB272_308
; %bb.301:                              ;   in Loop: Header=BB272_194 Depth=1
	v_bfrev_b32_e32 v39, 1
	s_mov_b32 s18, exec_lo
	v_cmpx_ne_u16_e32 0x80, v2
	s_cbranch_execz .LBB272_307
; %bb.302:                              ;   in Loop: Header=BB272_194 Depth=1
	v_and_b32_sdwa v41, v2, v24 dst_sel:DWORD dst_unused:UNUSED_PAD src0_sel:WORD_0 src1_sel:DWORD
	v_mov_b32_e32 v39, 0x7c010000
	s_mov_b32 s19, exec_lo
	v_cmpx_ne_u32_e32 0x7f, v41
	s_cbranch_execz .LBB272_306
; %bb.303:                              ;   in Loop: Header=BB272_194 Depth=1
	v_and_b32_sdwa v39, v2, v25 dst_sel:DWORD dst_unused:UNUSED_PAD src0_sel:WORD_0 src1_sel:DWORD
	v_lshrrev_b32_e32 v40, 3, v41
	s_mov_b32 s20, exec_lo
	v_cmpx_gt_u32_e32 8, v41
; %bb.304:                              ;   in Loop: Header=BB272_194 Depth=1
	v_ffbh_u32_e32 v39, v39
	v_min_u32_e32 v41, 32, v39
	v_subrev_nc_u32_e32 v39, 28, v41
	v_lshlrev_b64 v[39:40], v39, v[2:3]
	v_sub_nc_u32_e32 v40, 29, v41
	v_and_b32_e32 v39, 7, v39
; %bb.305:                              ;   in Loop: Header=BB272_194 Depth=1
	s_or_b32 exec_lo, exec_lo, s20
	v_lshlrev_b32_sdwa v2, v26, v2 dst_sel:DWORD dst_unused:UNUSED_PAD src0_sel:DWORD src1_sel:WORD_0
	v_lshl_add_u32 v40, v40, 10, 0x2000
	v_lshlrev_b32_e32 v39, 23, v39
	v_and_or_b32 v2, 0x8000, v2, v40
	v_lshl_or_b32 v39, v2, 16, v39
.LBB272_306:                            ;   in Loop: Header=BB272_194 Depth=1
	s_or_b32 exec_lo, exec_lo, s19
.LBB272_307:                            ;   in Loop: Header=BB272_194 Depth=1
	s_or_b32 exec_lo, exec_lo, s18
.LBB272_308:                            ;   in Loop: Header=BB272_194 Depth=1
	s_or_b32 exec_lo, exec_lo, s17
	v_lshrrev_b32_e32 v2, 16, v9
	v_cmp_ne_u16_sdwa s1, v2, v3 src0_sel:BYTE_0 src1_sel:DWORD
	s_and_saveexec_b32 s17, s1
	s_cbranch_execz .LBB272_316
; %bb.309:                              ;   in Loop: Header=BB272_194 Depth=1
	v_cmp_ne_u16_sdwa s1, v2, v23 src0_sel:BYTE_0 src1_sel:DWORD
	v_mov_b32_e32 v37, 0x8000
	s_and_saveexec_b32 s18, s1
	s_cbranch_execz .LBB272_315
; %bb.310:                              ;   in Loop: Header=BB272_194 Depth=1
	v_bfe_u32 v41, v9, 16, 7
	v_mov_b32_e32 v37, 0x7c01
	s_mov_b32 s19, exec_lo
	v_cmpx_ne_u32_e32 0x7f, v41
	s_cbranch_execz .LBB272_314
; %bb.311:                              ;   in Loop: Header=BB272_194 Depth=1
	v_and_b32_e32 v37, 7, v2
	v_lshrrev_b32_e32 v40, 3, v41
	s_mov_b32 s20, exec_lo
	v_cmpx_gt_u32_e32 8, v41
; %bb.312:                              ;   in Loop: Header=BB272_194 Depth=1
	v_ffbh_u32_e32 v37, v37
	v_min_u32_e32 v37, 32, v37
	v_subrev_nc_u32_e32 v40, 28, v37
	v_lshlrev_b64 v[41:42], v40, v[2:3]
	v_sub_nc_u32_e32 v40, 29, v37
	v_and_b32_e32 v37, 7, v41
; %bb.313:                              ;   in Loop: Header=BB272_194 Depth=1
	s_or_b32 exec_lo, exec_lo, s20
	v_lshlrev_b32_e32 v2, 8, v2
	v_lshl_add_u32 v40, v40, 10, 0x2000
	v_lshlrev_b32_e32 v37, 7, v37
	v_and_b32_e32 v2, 0x8000, v2
	v_and_b32_e32 v40, 0xfc00, v40
	v_or3_b32 v37, v2, v40, v37
.LBB272_314:                            ;   in Loop: Header=BB272_194 Depth=1
	s_or_b32 exec_lo, exec_lo, s19
.LBB272_315:                            ;   in Loop: Header=BB272_194 Depth=1
	s_or_b32 exec_lo, exec_lo, s18
.LBB272_316:                            ;   in Loop: Header=BB272_194 Depth=1
	s_or_b32 exec_lo, exec_lo, s17
	v_cmp_lt_u64_e64 s1, s[6:7], v[8:9]
	v_mov_b32_e32 v8, 0
	s_and_saveexec_b32 s17, s1
	s_cbranch_execz .LBB272_324
; %bb.317:                              ;   in Loop: Header=BB272_194 Depth=1
	v_lshrrev_b32_e32 v2, 24, v9
	v_bfrev_b32_e32 v8, 1
	s_mov_b32 s18, exec_lo
	v_cmpx_ne_u32_e32 0x80, v2
	s_cbranch_execz .LBB272_323
; %bb.318:                              ;   in Loop: Header=BB272_194 Depth=1
	v_and_b32_e32 v40, 0x7f, v2
	v_mov_b32_e32 v8, 0x7c010000
	s_mov_b32 s19, exec_lo
	v_cmpx_ne_u32_e32 0x7f, v40
	s_cbranch_execz .LBB272_322
; %bb.319:                              ;   in Loop: Header=BB272_194 Depth=1
	v_and_b32_e32 v8, 7, v2
	v_lshrrev_b32_e32 v9, 3, v40
	s_mov_b32 s20, exec_lo
	v_cmpx_gt_u32_e32 8, v40
; %bb.320:                              ;   in Loop: Header=BB272_194 Depth=1
	v_ffbh_u32_e32 v8, v8
	v_min_u32_e32 v40, 32, v8
	v_subrev_nc_u32_e32 v8, 28, v40
	v_lshlrev_b64 v[8:9], v8, v[2:3]
	v_sub_nc_u32_e32 v9, 29, v40
	v_and_b32_e32 v8, 7, v8
; %bb.321:                              ;   in Loop: Header=BB272_194 Depth=1
	s_or_b32 exec_lo, exec_lo, s20
	v_lshlrev_b32_e32 v2, 8, v2
	v_lshl_add_u32 v9, v9, 10, 0x2000
	v_lshlrev_b32_e32 v8, 23, v8
	v_and_or_b32 v2, 0x8000, v2, v9
	v_lshl_or_b32 v8, v2, 16, v8
.LBB272_322:                            ;   in Loop: Header=BB272_194 Depth=1
	s_or_b32 exec_lo, exec_lo, s19
.LBB272_323:                            ;   in Loop: Header=BB272_194 Depth=1
	s_or_b32 exec_lo, exec_lo, s18
.LBB272_324:                            ;   in Loop: Header=BB272_194 Depth=1
	s_or_b32 exec_lo, exec_lo, s17
	v_or_b32_e32 v2, v35, v36
	s_waitcnt vmcnt(0)
	v_fma_mixlo_f16 v9, v32, v35, 0 op_sel:[0,1,0] op_sel_hi:[0,1,0]
	v_or_b32_e32 v34, v33, v34
	v_fma_mixlo_f16 v33, v32, v33, 0 op_sel:[0,1,0] op_sel_hi:[0,1,0]
	v_or_b32_e32 v36, v39, v38
	v_or_b32_e32 v37, v8, v37
	v_fma_mixlo_f16 v38, v32, v2, 0 op_sel_hi:[0,1,0]
	v_lshlrev_b32_e32 v2, 16, v9
	v_lshlrev_b32_e32 v35, 16, v33
	v_fma_mixlo_f16 v9, v32, v34, 0 op_sel_hi:[0,1,0]
	v_fma_mixlo_f16 v33, v32, v39, 0 op_sel:[0,1,0] op_sel_hi:[0,1,0]
	v_fma_mixlo_f16 v36, v32, v36, 0 op_sel_hi:[0,1,0]
	v_fma_mixlo_f16 v8, v32, v8, 0 op_sel:[0,1,0] op_sel_hi:[0,1,0]
	v_fma_mixlo_f16 v32, v32, v37, 0 op_sel_hi:[0,1,0]
	v_and_b32_e32 v34, 0xffff, v38
	v_and_b32_e32 v39, 0xffff, v9
	v_lshlrev_b32_e32 v9, 16, v33
	v_and_b32_e32 v33, 0xffff, v36
	v_lshlrev_b32_e32 v8, 16, v8
	v_and_b32_e32 v32, 0xffff, v32
	v_or_b32_e32 v36, v2, v34
	v_or_b32_e32 v40, v35, v39
	;; [unrolled: 1-line block ×4, first 2 shown]
	s_and_saveexec_b32 s17, s0
	s_cbranch_execz .LBB272_326
; %bb.325:                              ;   in Loop: Header=BB272_194 Depth=1
	v_add_nc_u32_e32 v36, -6, v21
	v_cmp_gt_i32_e64 s1, s27, v10
	v_add_nc_u32_e32 v37, -5, v21
	v_cndmask_b32_e64 v38, 0, v39, s1
	v_cmp_gt_i32_e64 s1, s27, v36
	v_add_nc_u32_e32 v36, -4, v21
	v_add_nc_u32_e32 v39, -2, v21
	v_cndmask_b32_e64 v35, 0, v35, s1
	v_cmp_gt_i32_e64 s1, s27, v37
	v_add_nc_u32_e32 v37, -3, v21
	v_or_b32_e32 v40, v35, v38
	v_cndmask_b32_e64 v34, 0, v34, s1
	v_cmp_gt_i32_e64 s1, s27, v36
	v_add_nc_u32_e32 v36, -1, v21
	v_cndmask_b32_e64 v2, 0, v2, s1
	v_cmp_gt_i32_e64 s1, s27, v37
	v_cndmask_b32_e64 v33, 0, v33, s1
	v_cmp_gt_i32_e64 s1, s27, v39
	;; [unrolled: 2-line block ×3, first 2 shown]
	v_or_b32_e32 v36, v2, v34
	v_or_b32_e32 v38, v9, v33
	v_cndmask_b32_e64 v32, 0, v32, s1
	v_cmp_gt_i32_e64 s1, s27, v21
	v_cndmask_b32_e64 v8, 0, v8, s1
	v_or_b32_e32 v37, v8, v32
.LBB272_326:                            ;   in Loop: Header=BB272_194 Depth=1
	s_or_b32 exec_lo, exec_lo, s17
	;;#ASMSTART
	v_pk_mul_f16 v2, v31, v40;

	;;#ASMEND
	;;#ASMSTART
	v_pk_mul_f16 v8, v30, v36;

	;;#ASMEND
	;; [unrolled: 4-line block ×4, first 2 shown]
	;;#ASMSTART
	v_pk_add_f16 v2, v2, v8;

	;;#ASMEND
	;;#ASMSTART
	v_pk_add_f16 v2, v2, v9;

	;;#ASMEND
	;; [unrolled: 4-line block ×3, first 2 shown]
	v_and_b32_e32 v8, 0xffff, v2
	v_lshrrev_b32_e32 v2, 16, v2
	;;#ASMSTART
	v_cvt_f32_f16 v8, v8;
	;;#ASMEND
	;;#ASMSTART
	v_cvt_f32_f16 v9, v2;
	;;#ASMEND
	s_and_saveexec_b32 s17, vcc_lo
	s_cbranch_execz .LBB272_193
; %bb.327:                              ;   in Loop: Header=BB272_194 Depth=1
	v_add_co_u32 v6, s1, v6, v20
	v_add_co_ci_u32_e64 v7, null, 0, v7, s1
	v_mov_b32_e32 v33, 0
	v_mov_b32_e32 v34, 0
	global_load_dwordx2 v[6:7], v[6:7], off
	global_load_dword v32, v33, s[14:15]
	s_waitcnt vmcnt(1)
	v_cmp_ne_u16_sdwa s1, v6, v3 src0_sel:BYTE_0 src1_sel:DWORD
	s_and_saveexec_b32 s18, s1
	s_cbranch_execz .LBB272_335
; %bb.328:                              ;   in Loop: Header=BB272_194 Depth=1
	v_cmp_ne_u16_sdwa s1, v6, v23 src0_sel:BYTE_0 src1_sel:DWORD
	v_mov_b32_e32 v34, 0x8000
	s_and_saveexec_b32 s19, s1
	s_cbranch_execz .LBB272_334
; %bb.329:                              ;   in Loop: Header=BB272_194 Depth=1
	v_and_b32_e32 v35, 0x7f, v6
	v_mov_b32_e32 v34, 0x7c01
	s_mov_b32 s20, exec_lo
	v_cmpx_ne_u32_e32 0x7f, v35
	s_cbranch_execz .LBB272_333
; %bb.330:                              ;   in Loop: Header=BB272_194 Depth=1
	v_and_b32_e32 v2, 7, v6
	v_lshrrev_b32_e32 v34, 3, v35
	s_mov_b32 s21, exec_lo
	v_cmpx_gt_u32_e32 8, v35
; %bb.331:                              ;   in Loop: Header=BB272_194 Depth=1
	v_ffbh_u32_e32 v2, v2
	v_min_u32_e32 v2, 32, v2
	v_subrev_nc_u32_e32 v34, 28, v2
	v_lshlrev_b64 v[35:36], v34, v[6:7]
	v_sub_nc_u32_e32 v34, 29, v2
	v_and_b32_e32 v2, 7, v35
; %bb.332:                              ;   in Loop: Header=BB272_194 Depth=1
	s_or_b32 exec_lo, exec_lo, s21
	v_lshlrev_b32_e32 v35, 8, v6
	v_lshl_add_u32 v34, v34, 10, 0x2000
	v_lshlrev_b32_e32 v2, 7, v2
	v_and_b32_e32 v35, 0x8000, v35
	v_and_b32_e32 v34, 0xfc00, v34
	v_or3_b32 v34, v35, v34, v2
.LBB272_333:                            ;   in Loop: Header=BB272_194 Depth=1
	s_or_b32 exec_lo, exec_lo, s20
.LBB272_334:                            ;   in Loop: Header=BB272_194 Depth=1
	s_or_b32 exec_lo, exec_lo, s19
.LBB272_335:                            ;   in Loop: Header=BB272_194 Depth=1
	s_or_b32 exec_lo, exec_lo, s18
	v_lshrrev_b16 v2, 8, v6
	s_mov_b32 s18, exec_lo
	v_cmpx_ne_u16_e32 0, v2
	s_cbranch_execz .LBB272_343
; %bb.336:                              ;   in Loop: Header=BB272_194 Depth=1
	v_bfrev_b32_e32 v33, 1
	s_mov_b32 s19, exec_lo
	v_cmpx_ne_u16_e32 0x80, v2
	s_cbranch_execz .LBB272_342
; %bb.337:                              ;   in Loop: Header=BB272_194 Depth=1
	v_and_b32_sdwa v36, v2, v24 dst_sel:DWORD dst_unused:UNUSED_PAD src0_sel:WORD_0 src1_sel:DWORD
	v_mov_b32_e32 v33, 0x7c010000
	s_mov_b32 s20, exec_lo
	v_cmpx_ne_u32_e32 0x7f, v36
	s_cbranch_execz .LBB272_341
; %bb.338:                              ;   in Loop: Header=BB272_194 Depth=1
	v_and_b32_sdwa v33, v2, v25 dst_sel:DWORD dst_unused:UNUSED_PAD src0_sel:WORD_0 src1_sel:DWORD
	v_lshrrev_b32_e32 v35, 3, v36
	s_mov_b32 s21, exec_lo
	v_cmpx_gt_u32_e32 8, v36
; %bb.339:                              ;   in Loop: Header=BB272_194 Depth=1
	v_ffbh_u32_e32 v33, v33
	v_min_u32_e32 v33, 32, v33
	v_subrev_nc_u32_e32 v35, 28, v33
	v_lshlrev_b64 v[36:37], v35, v[2:3]
	v_sub_nc_u32_e32 v35, 29, v33
	v_and_b32_e32 v33, 7, v36
; %bb.340:                              ;   in Loop: Header=BB272_194 Depth=1
	s_or_b32 exec_lo, exec_lo, s21
	v_lshlrev_b32_sdwa v2, v26, v2 dst_sel:DWORD dst_unused:UNUSED_PAD src0_sel:DWORD src1_sel:WORD_0
	v_lshl_add_u32 v35, v35, 10, 0x2000
	v_lshlrev_b32_e32 v33, 23, v33
	v_and_or_b32 v2, 0x8000, v2, v35
	v_lshl_or_b32 v33, v2, 16, v33
.LBB272_341:                            ;   in Loop: Header=BB272_194 Depth=1
	s_or_b32 exec_lo, exec_lo, s20
.LBB272_342:                            ;   in Loop: Header=BB272_194 Depth=1
	s_or_b32 exec_lo, exec_lo, s19
.LBB272_343:                            ;   in Loop: Header=BB272_194 Depth=1
	s_or_b32 exec_lo, exec_lo, s18
	v_lshrrev_b32_e32 v2, 16, v6
	v_mov_b32_e32 v35, 0
	v_mov_b32_e32 v36, 0
	v_cmp_ne_u16_sdwa s1, v2, v3 src0_sel:BYTE_0 src1_sel:DWORD
	s_and_saveexec_b32 s18, s1
	s_cbranch_execz .LBB272_351
; %bb.344:                              ;   in Loop: Header=BB272_194 Depth=1
	v_cmp_ne_u16_sdwa s1, v2, v23 src0_sel:BYTE_0 src1_sel:DWORD
	v_mov_b32_e32 v36, 0x8000
	s_and_saveexec_b32 s19, s1
	s_cbranch_execz .LBB272_350
; %bb.345:                              ;   in Loop: Header=BB272_194 Depth=1
	v_bfe_u32 v38, v6, 16, 7
	v_mov_b32_e32 v36, 0x7c01
	s_mov_b32 s20, exec_lo
	v_cmpx_ne_u32_e32 0x7f, v38
	s_cbranch_execz .LBB272_349
; %bb.346:                              ;   in Loop: Header=BB272_194 Depth=1
	v_and_b32_e32 v36, 7, v2
	v_lshrrev_b32_e32 v37, 3, v38
	s_mov_b32 s21, exec_lo
	v_cmpx_gt_u32_e32 8, v38
; %bb.347:                              ;   in Loop: Header=BB272_194 Depth=1
	v_ffbh_u32_e32 v36, v36
	v_min_u32_e32 v38, 32, v36
	v_subrev_nc_u32_e32 v36, 28, v38
	v_lshlrev_b64 v[36:37], v36, v[2:3]
	v_sub_nc_u32_e32 v37, 29, v38
	v_and_b32_e32 v36, 7, v36
; %bb.348:                              ;   in Loop: Header=BB272_194 Depth=1
	s_or_b32 exec_lo, exec_lo, s21
	v_lshlrev_b32_e32 v2, 8, v2
	v_lshl_add_u32 v37, v37, 10, 0x2000
	v_lshlrev_b32_e32 v36, 7, v36
	v_and_b32_e32 v2, 0x8000, v2
	v_and_b32_e32 v37, 0xfc00, v37
	v_or3_b32 v36, v2, v37, v36
.LBB272_349:                            ;   in Loop: Header=BB272_194 Depth=1
	s_or_b32 exec_lo, exec_lo, s20
.LBB272_350:                            ;   in Loop: Header=BB272_194 Depth=1
	s_or_b32 exec_lo, exec_lo, s19
.LBB272_351:                            ;   in Loop: Header=BB272_194 Depth=1
	s_or_b32 exec_lo, exec_lo, s18
	s_mov_b32 s18, exec_lo
	v_cmpx_lt_u32_e32 0xffffff, v6
	s_cbranch_execz .LBB272_359
; %bb.352:                              ;   in Loop: Header=BB272_194 Depth=1
	v_lshrrev_b32_e32 v2, 24, v6
	v_bfrev_b32_e32 v35, 1
	s_mov_b32 s19, exec_lo
	v_cmpx_ne_u32_e32 0x80, v2
	s_cbranch_execz .LBB272_358
; %bb.353:                              ;   in Loop: Header=BB272_194 Depth=1
	v_and_b32_e32 v38, 0x7f, v2
	v_mov_b32_e32 v35, 0x7c010000
	s_mov_b32 s20, exec_lo
	v_cmpx_ne_u32_e32 0x7f, v38
	s_cbranch_execz .LBB272_357
; %bb.354:                              ;   in Loop: Header=BB272_194 Depth=1
	v_and_b32_e32 v35, 7, v2
	v_lshrrev_b32_e32 v37, 3, v38
	s_mov_b32 s21, exec_lo
	v_cmpx_gt_u32_e32 8, v38
; %bb.355:                              ;   in Loop: Header=BB272_194 Depth=1
	v_ffbh_u32_e32 v35, v35
	v_min_u32_e32 v35, 32, v35
	v_subrev_nc_u32_e32 v37, 28, v35
	v_lshlrev_b64 v[38:39], v37, v[2:3]
	v_sub_nc_u32_e32 v37, 29, v35
	v_and_b32_e32 v35, 7, v38
; %bb.356:                              ;   in Loop: Header=BB272_194 Depth=1
	s_or_b32 exec_lo, exec_lo, s21
	v_lshlrev_b32_e32 v2, 8, v2
	v_lshl_add_u32 v37, v37, 10, 0x2000
	v_lshlrev_b32_e32 v35, 23, v35
	v_and_or_b32 v2, 0x8000, v2, v37
	v_lshl_or_b32 v35, v2, 16, v35
.LBB272_357:                            ;   in Loop: Header=BB272_194 Depth=1
	s_or_b32 exec_lo, exec_lo, s20
.LBB272_358:                            ;   in Loop: Header=BB272_194 Depth=1
	s_or_b32 exec_lo, exec_lo, s19
.LBB272_359:                            ;   in Loop: Header=BB272_194 Depth=1
	s_or_b32 exec_lo, exec_lo, s18
	v_mov_b32_e32 v2, v7
	v_cmp_ne_u16_sdwa s1, v7, v3 src0_sel:BYTE_0 src1_sel:DWORD
	v_mov_b32_e32 v37, 0
	v_mov_b32_e32 v38, 0
	s_and_saveexec_b32 s18, s1
	s_cbranch_execz .LBB272_367
; %bb.360:                              ;   in Loop: Header=BB272_194 Depth=1
	v_cmp_ne_u16_sdwa s1, v7, v23 src0_sel:BYTE_0 src1_sel:DWORD
	v_mov_b32_e32 v38, 0x8000
	s_and_saveexec_b32 s19, s1
	s_cbranch_execz .LBB272_366
; %bb.361:                              ;   in Loop: Header=BB272_194 Depth=1
	v_and_b32_e32 v40, 0x7f, v7
	v_mov_b32_e32 v38, 0x7c01
	s_mov_b32 s20, exec_lo
	v_cmpx_ne_u32_e32 0x7f, v40
	s_cbranch_execz .LBB272_365
; %bb.362:                              ;   in Loop: Header=BB272_194 Depth=1
	v_and_b32_e32 v38, 7, v7
	v_lshrrev_b32_e32 v39, 3, v40
	s_mov_b32 s21, exec_lo
	v_cmpx_gt_u32_e32 8, v40
; %bb.363:                              ;   in Loop: Header=BB272_194 Depth=1
	v_ffbh_u32_e32 v38, v38
	v_min_u32_e32 v40, 32, v38
	v_subrev_nc_u32_e32 v38, 28, v40
	v_lshlrev_b64 v[38:39], v38, v[2:3]
	v_sub_nc_u32_e32 v39, 29, v40
	v_and_b32_e32 v38, 7, v38
; %bb.364:                              ;   in Loop: Header=BB272_194 Depth=1
	s_or_b32 exec_lo, exec_lo, s21
	v_lshlrev_b32_e32 v40, 8, v7
	v_lshl_add_u32 v39, v39, 10, 0x2000
	v_lshlrev_b32_e32 v38, 7, v38
	v_and_b32_e32 v40, 0x8000, v40
	v_and_b32_e32 v39, 0xfc00, v39
	v_or3_b32 v38, v40, v39, v38
.LBB272_365:                            ;   in Loop: Header=BB272_194 Depth=1
	s_or_b32 exec_lo, exec_lo, s20
.LBB272_366:                            ;   in Loop: Header=BB272_194 Depth=1
	s_or_b32 exec_lo, exec_lo, s19
.LBB272_367:                            ;   in Loop: Header=BB272_194 Depth=1
	s_or_b32 exec_lo, exec_lo, s18
	v_lshrrev_b16 v2, 8, v2
	v_mov_b32_e32 v39, 0
	s_mov_b32 s18, exec_lo
	v_cmpx_ne_u16_e32 0, v2
	s_cbranch_execz .LBB272_375
; %bb.368:                              ;   in Loop: Header=BB272_194 Depth=1
	v_bfrev_b32_e32 v39, 1
	s_mov_b32 s19, exec_lo
	v_cmpx_ne_u16_e32 0x80, v2
	s_cbranch_execz .LBB272_374
; %bb.369:                              ;   in Loop: Header=BB272_194 Depth=1
	v_and_b32_sdwa v41, v2, v24 dst_sel:DWORD dst_unused:UNUSED_PAD src0_sel:WORD_0 src1_sel:DWORD
	v_mov_b32_e32 v39, 0x7c010000
	s_mov_b32 s20, exec_lo
	v_cmpx_ne_u32_e32 0x7f, v41
	s_cbranch_execz .LBB272_373
; %bb.370:                              ;   in Loop: Header=BB272_194 Depth=1
	v_and_b32_sdwa v39, v2, v25 dst_sel:DWORD dst_unused:UNUSED_PAD src0_sel:WORD_0 src1_sel:DWORD
	v_lshrrev_b32_e32 v40, 3, v41
	s_mov_b32 s21, exec_lo
	v_cmpx_gt_u32_e32 8, v41
; %bb.371:                              ;   in Loop: Header=BB272_194 Depth=1
	v_ffbh_u32_e32 v39, v39
	v_min_u32_e32 v41, 32, v39
	v_subrev_nc_u32_e32 v39, 28, v41
	v_lshlrev_b64 v[39:40], v39, v[2:3]
	v_sub_nc_u32_e32 v40, 29, v41
	v_and_b32_e32 v39, 7, v39
; %bb.372:                              ;   in Loop: Header=BB272_194 Depth=1
	s_or_b32 exec_lo, exec_lo, s21
	v_lshlrev_b32_sdwa v2, v26, v2 dst_sel:DWORD dst_unused:UNUSED_PAD src0_sel:DWORD src1_sel:WORD_0
	v_lshl_add_u32 v40, v40, 10, 0x2000
	v_lshlrev_b32_e32 v39, 23, v39
	v_and_or_b32 v2, 0x8000, v2, v40
	v_lshl_or_b32 v39, v2, 16, v39
.LBB272_373:                            ;   in Loop: Header=BB272_194 Depth=1
	s_or_b32 exec_lo, exec_lo, s20
.LBB272_374:                            ;   in Loop: Header=BB272_194 Depth=1
	s_or_b32 exec_lo, exec_lo, s19
.LBB272_375:                            ;   in Loop: Header=BB272_194 Depth=1
	s_or_b32 exec_lo, exec_lo, s18
	v_lshrrev_b32_e32 v2, 16, v7
	v_cmp_ne_u16_sdwa s1, v2, v3 src0_sel:BYTE_0 src1_sel:DWORD
	s_and_saveexec_b32 s18, s1
	s_cbranch_execz .LBB272_383
; %bb.376:                              ;   in Loop: Header=BB272_194 Depth=1
	v_cmp_ne_u16_sdwa s1, v2, v23 src0_sel:BYTE_0 src1_sel:DWORD
	v_mov_b32_e32 v37, 0x8000
	s_and_saveexec_b32 s19, s1
	s_cbranch_execz .LBB272_382
; %bb.377:                              ;   in Loop: Header=BB272_194 Depth=1
	v_bfe_u32 v41, v7, 16, 7
	v_mov_b32_e32 v37, 0x7c01
	s_mov_b32 s20, exec_lo
	v_cmpx_ne_u32_e32 0x7f, v41
	s_cbranch_execz .LBB272_381
; %bb.378:                              ;   in Loop: Header=BB272_194 Depth=1
	v_and_b32_e32 v37, 7, v2
	v_lshrrev_b32_e32 v40, 3, v41
	s_mov_b32 s21, exec_lo
	v_cmpx_gt_u32_e32 8, v41
; %bb.379:                              ;   in Loop: Header=BB272_194 Depth=1
	v_ffbh_u32_e32 v37, v37
	v_min_u32_e32 v37, 32, v37
	v_subrev_nc_u32_e32 v40, 28, v37
	v_lshlrev_b64 v[41:42], v40, v[2:3]
	v_sub_nc_u32_e32 v40, 29, v37
	v_and_b32_e32 v37, 7, v41
; %bb.380:                              ;   in Loop: Header=BB272_194 Depth=1
	s_or_b32 exec_lo, exec_lo, s21
	v_lshlrev_b32_e32 v2, 8, v2
	v_lshl_add_u32 v40, v40, 10, 0x2000
	v_lshlrev_b32_e32 v37, 7, v37
	v_and_b32_e32 v2, 0x8000, v2
	v_and_b32_e32 v40, 0xfc00, v40
	v_or3_b32 v37, v2, v40, v37
.LBB272_381:                            ;   in Loop: Header=BB272_194 Depth=1
	s_or_b32 exec_lo, exec_lo, s20
.LBB272_382:                            ;   in Loop: Header=BB272_194 Depth=1
	s_or_b32 exec_lo, exec_lo, s19
.LBB272_383:                            ;   in Loop: Header=BB272_194 Depth=1
	s_or_b32 exec_lo, exec_lo, s18
	v_cmp_lt_u64_e64 s1, s[6:7], v[6:7]
	v_mov_b32_e32 v6, 0
	s_and_saveexec_b32 s18, s1
	s_cbranch_execz .LBB272_391
; %bb.384:                              ;   in Loop: Header=BB272_194 Depth=1
	v_lshrrev_b32_e32 v2, 24, v7
	v_bfrev_b32_e32 v6, 1
	s_mov_b32 s19, exec_lo
	v_cmpx_ne_u32_e32 0x80, v2
	s_cbranch_execz .LBB272_390
; %bb.385:                              ;   in Loop: Header=BB272_194 Depth=1
	v_and_b32_e32 v40, 0x7f, v2
	v_mov_b32_e32 v6, 0x7c010000
	s_mov_b32 s20, exec_lo
	v_cmpx_ne_u32_e32 0x7f, v40
	s_cbranch_execz .LBB272_389
; %bb.386:                              ;   in Loop: Header=BB272_194 Depth=1
	v_and_b32_e32 v6, 7, v2
	v_lshrrev_b32_e32 v7, 3, v40
	s_mov_b32 s21, exec_lo
	v_cmpx_gt_u32_e32 8, v40
; %bb.387:                              ;   in Loop: Header=BB272_194 Depth=1
	v_ffbh_u32_e32 v6, v6
	v_min_u32_e32 v40, 32, v6
	v_subrev_nc_u32_e32 v6, 28, v40
	v_lshlrev_b64 v[6:7], v6, v[2:3]
	v_sub_nc_u32_e32 v7, 29, v40
	v_and_b32_e32 v6, 7, v6
; %bb.388:                              ;   in Loop: Header=BB272_194 Depth=1
	s_or_b32 exec_lo, exec_lo, s21
	v_lshlrev_b32_e32 v2, 8, v2
	v_lshl_add_u32 v7, v7, 10, 0x2000
	v_lshlrev_b32_e32 v6, 23, v6
	v_and_or_b32 v2, 0x8000, v2, v7
	v_lshl_or_b32 v6, v2, 16, v6
.LBB272_389:                            ;   in Loop: Header=BB272_194 Depth=1
	s_or_b32 exec_lo, exec_lo, s20
.LBB272_390:                            ;   in Loop: Header=BB272_194 Depth=1
	s_or_b32 exec_lo, exec_lo, s19
.LBB272_391:                            ;   in Loop: Header=BB272_194 Depth=1
	s_or_b32 exec_lo, exec_lo, s18
	v_or_b32_e32 v2, v35, v36
	s_waitcnt vmcnt(0)
	v_fma_mixlo_f16 v7, v32, v35, 0 op_sel:[0,1,0] op_sel_hi:[0,1,0]
	v_or_b32_e32 v34, v33, v34
	v_fma_mixlo_f16 v33, v32, v33, 0 op_sel:[0,1,0] op_sel_hi:[0,1,0]
	v_or_b32_e32 v36, v39, v38
	v_or_b32_e32 v37, v6, v37
	v_fma_mixlo_f16 v38, v32, v2, 0 op_sel_hi:[0,1,0]
	v_lshlrev_b32_e32 v2, 16, v7
	v_lshlrev_b32_e32 v35, 16, v33
	v_fma_mixlo_f16 v7, v32, v34, 0 op_sel_hi:[0,1,0]
	v_fma_mixlo_f16 v33, v32, v39, 0 op_sel:[0,1,0] op_sel_hi:[0,1,0]
	v_fma_mixlo_f16 v36, v32, v36, 0 op_sel_hi:[0,1,0]
	v_fma_mixlo_f16 v6, v32, v6, 0 op_sel:[0,1,0] op_sel_hi:[0,1,0]
	v_fma_mixlo_f16 v32, v32, v37, 0 op_sel_hi:[0,1,0]
	v_and_b32_e32 v34, 0xffff, v38
	v_and_b32_e32 v40, 0xffff, v7
	v_lshlrev_b32_e32 v7, 16, v33
	v_and_b32_e32 v33, 0xffff, v36
	v_lshlrev_b32_e32 v6, 16, v6
	v_and_b32_e32 v32, 0xffff, v32
	v_or_b32_e32 v38, v2, v34
	v_or_b32_e32 v39, v35, v40
	;; [unrolled: 1-line block ×4, first 2 shown]
	s_and_saveexec_b32 s1, s0
	s_cbranch_execz .LBB272_192
; %bb.392:                              ;   in Loop: Header=BB272_194 Depth=1
	v_add_nc_u32_e32 v36, -6, v21
	v_cmp_gt_i32_e64 s0, s27, v10
	v_add_nc_u32_e32 v37, -5, v21
	v_add_nc_u32_e32 v38, -2, v21
	v_cndmask_b32_e64 v10, 0, v40, s0
	v_cmp_gt_i32_e64 s0, s27, v36
	v_add_nc_u32_e32 v36, -4, v21
	v_cndmask_b32_e64 v35, 0, v35, s0
	v_cmp_gt_i32_e64 s0, s27, v37
	v_add_nc_u32_e32 v37, -3, v21
	v_or_b32_e32 v39, v35, v10
	v_cndmask_b32_e64 v34, 0, v34, s0
	v_cmp_gt_i32_e64 s0, s27, v36
	v_add_nc_u32_e32 v36, -1, v21
	v_cndmask_b32_e64 v2, 0, v2, s0
	v_cmp_gt_i32_e64 s0, s27, v37
	v_cndmask_b32_e64 v33, 0, v33, s0
	v_cmp_gt_i32_e64 s0, s27, v38
	v_or_b32_e32 v38, v2, v34
	v_cndmask_b32_e64 v7, 0, v7, s0
	v_cmp_gt_i32_e64 s0, s27, v36
	v_or_b32_e32 v37, v7, v33
	v_cndmask_b32_e64 v32, 0, v32, s0
	v_cmp_gt_i32_e64 s0, s27, v21
	v_cndmask_b32_e64 v6, 0, v6, s0
	v_or_b32_e32 v36, v6, v32
	s_branch .LBB272_192
.LBB272_393:
	s_or_b32 exec_lo, exec_lo, s13
.LBB272_394:
	s_or_b32 exec_lo, exec_lo, s3
	s_movk_i32 s0, 0x140
	v_and_b32_e32 v2, 0x3c0, v0
	v_mad_u32_u24 v1, v12, s0, 0xc0
	s_mov_b32 s0, exec_lo
	s_waitcnt_vscnt null, 0x0
	s_barrier
	buffer_gl0_inv
	v_cmpx_eq_u32_e32 64, v2
	s_cbranch_execz .LBB272_397
; %bb.395:
	v_add_nc_u32_e32 v2, 0xfffffd80, v1
	v_cmp_gt_u32_e32 vcc_lo, 0x50, v18
	v_lshl_add_u32 v3, v13, 2, v2
	ds_write2_b32 v3, v17, v16 offset1:32
	s_and_b32 exec_lo, exec_lo, vcc_lo
; %bb.396:
	v_lshl_add_u32 v2, v18, 2, v2
	ds_write_b32 v2, v15
.LBB272_397:
	s_or_b32 exec_lo, exec_lo, s0
	v_lshl_add_u32 v2, v13, 2, v1
	s_mov_b32 s0, exec_lo
	s_waitcnt lgkmcnt(0)
	s_barrier
	buffer_gl0_inv
	v_cmpx_gt_u32_e32 64, v0
	s_cbranch_execz .LBB272_401
; %bb.398:
	v_lshl_or_b32 v3, v0, 2, 0x80
	s_mov_b32 s1, exec_lo
	v_add_nc_u32_e32 v4, v1, v3
	ds_read_b32 v3, v2
	ds_read_b32 v4, v4
	v_cmpx_gt_u32_e32 0x50, v18
	s_cbranch_execz .LBB272_400
; %bb.399:
	ds_read_b32 v5, v2 offset:256
	s_waitcnt lgkmcnt(0)
	v_add_f32_e32 v15, v15, v5
.LBB272_400:
	s_or_b32 exec_lo, exec_lo, s1
	s_waitcnt lgkmcnt(1)
	v_add_f32_e32 v17, v17, v3
	s_waitcnt lgkmcnt(0)
	v_add_f32_e32 v16, v16, v4
.LBB272_401:
	s_or_b32 exec_lo, exec_lo, s0
	v_and_b32_e32 v3, 0x3e0, v0
	s_mov_b32 s0, exec_lo
	s_barrier
	buffer_gl0_inv
	v_cmpx_eq_u32_e32 32, v3
	s_cbranch_execz .LBB272_404
; %bb.402:
	v_lshl_add_u32 v3, v13, 2, 0xc0
	v_cmp_gt_u32_e32 vcc_lo, 0x50, v18
	ds_write_b32 v3, v17
	ds_write_b32 v14, v16
	s_and_b32 exec_lo, exec_lo, vcc_lo
; %bb.403:
	ds_write_b32 v3, v15 offset:256
.LBB272_404:
	s_or_b32 exec_lo, exec_lo, s0
	v_cmp_gt_u32_e32 vcc_lo, 32, v0
	v_or_b32_e32 v3, 64, v0
	s_waitcnt lgkmcnt(0)
	s_barrier
	buffer_gl0_inv
	s_and_saveexec_b32 s1, vcc_lo
	s_cbranch_execz .LBB272_408
; %bb.405:
	v_lshl_add_u32 v4, v0, 2, v1
	s_mov_b32 s3, exec_lo
	ds_read_b32 v1, v2
	ds_read_b32 v2, v4 offset:128
	v_cmpx_gt_u32_e32 0x50, v3
	s_cbranch_execz .LBB272_407
; %bb.406:
	ds_read_b32 v4, v4 offset:256
	s_waitcnt lgkmcnt(0)
	v_add_f32_e32 v15, v15, v4
.LBB272_407:
	s_or_b32 exec_lo, exec_lo, s3
	s_waitcnt lgkmcnt(1)
	v_add_f32_e32 v17, v17, v1
	s_waitcnt lgkmcnt(0)
	v_add_f32_e32 v16, v16, v2
.LBB272_408:
	s_or_b32 exec_lo, exec_lo, s1
	s_barrier
	buffer_gl0_inv
	s_and_saveexec_b32 s0, vcc_lo
	s_cbranch_execz .LBB272_411
; %bb.409:
	s_mul_i32 s0, s2, 0x50
	s_mul_i32 s2, s11, s10
	s_ashr_i32 s1, s0, 31
	v_lshlrev_b32_e32 v0, 1, v0
	s_lshl_b64 s[0:1], s[0:1], 1
	v_cmp_gt_u32_e32 vcc_lo, 0x50, v3
	s_add_u32 s4, s24, s0
	s_addc_u32 s5, s25, s1
	s_ashr_i32 s3, s2, 31
	;;#ASMSTART
	v_cvt_f16_f32 v1, v17;

	;;#ASMEND
	s_lshl_b64 s[0:1], s[2:3], 1
	s_mul_i32 s2, s8, 0x50
	s_add_u32 s4, s4, s0
	s_addc_u32 s5, s5, s1
	s_ashr_i32 s3, s2, 31
	s_lshl_b64 s[0:1], s[2:3], 1
	s_add_u32 s0, s4, s0
	s_addc_u32 s1, s5, s1
	global_store_short v0, v1, s[0:1]
	;;#ASMSTART
	v_cvt_f16_f32 v1, v16;

	;;#ASMEND
	global_store_short v0, v1, s[0:1] offset:64
	s_and_b32 exec_lo, exec_lo, vcc_lo
	s_cbranch_execz .LBB272_411
; %bb.410:
	v_add_co_u32 v0, s0, s0, v0
	v_add_co_ci_u32_e64 v1, null, s1, 0, s0
	;;#ASMSTART
	v_cvt_f16_f32 v2, v15;

	;;#ASMEND
	global_store_short v[0:1], v2, off offset:128
.LBB272_411:
	s_endpgm
	.section	.rodata,"a",@progbits
	.p2align	6, 0x0
	.amdhsa_kernel _ZN4vllm25paged_attention_v2_kernelIthLi80ELi8ELi128ELNS_18Fp8KVCacheDataTypeE1ELb0ELi512EEEvPfS2_PT_PKS3_PKT0_S9_ifPKiSB_iPKfiiiSD_SD_iiiii
		.amdhsa_group_segment_fixed_size 192
		.amdhsa_private_segment_fixed_size 0
		.amdhsa_kernarg_size 400
		.amdhsa_user_sgpr_count 6
		.amdhsa_user_sgpr_private_segment_buffer 1
		.amdhsa_user_sgpr_dispatch_ptr 0
		.amdhsa_user_sgpr_queue_ptr 0
		.amdhsa_user_sgpr_kernarg_segment_ptr 1
		.amdhsa_user_sgpr_dispatch_id 0
		.amdhsa_user_sgpr_flat_scratch_init 0
		.amdhsa_user_sgpr_private_segment_size 0
		.amdhsa_wavefront_size32 1
		.amdhsa_uses_dynamic_stack 0
		.amdhsa_system_sgpr_private_segment_wavefront_offset 0
		.amdhsa_system_sgpr_workgroup_id_x 1
		.amdhsa_system_sgpr_workgroup_id_y 1
		.amdhsa_system_sgpr_workgroup_id_z 1
		.amdhsa_system_sgpr_workgroup_info 0
		.amdhsa_system_vgpr_workitem_id 0
		.amdhsa_next_free_vgpr 60
		.amdhsa_next_free_sgpr 43
		.amdhsa_reserve_vcc 1
		.amdhsa_reserve_flat_scratch 0
		.amdhsa_float_round_mode_32 0
		.amdhsa_float_round_mode_16_64 0
		.amdhsa_float_denorm_mode_32 3
		.amdhsa_float_denorm_mode_16_64 3
		.amdhsa_dx10_clamp 1
		.amdhsa_ieee_mode 1
		.amdhsa_fp16_overflow 0
		.amdhsa_workgroup_processor_mode 1
		.amdhsa_memory_ordered 1
		.amdhsa_forward_progress 1
		.amdhsa_shared_vgpr_count 0
		.amdhsa_exception_fp_ieee_invalid_op 0
		.amdhsa_exception_fp_denorm_src 0
		.amdhsa_exception_fp_ieee_div_zero 0
		.amdhsa_exception_fp_ieee_overflow 0
		.amdhsa_exception_fp_ieee_underflow 0
		.amdhsa_exception_fp_ieee_inexact 0
		.amdhsa_exception_int_div_zero 0
	.end_amdhsa_kernel
	.section	.text._ZN4vllm25paged_attention_v2_kernelIthLi80ELi8ELi128ELNS_18Fp8KVCacheDataTypeE1ELb0ELi512EEEvPfS2_PT_PKS3_PKT0_S9_ifPKiSB_iPKfiiiSD_SD_iiiii,"axG",@progbits,_ZN4vllm25paged_attention_v2_kernelIthLi80ELi8ELi128ELNS_18Fp8KVCacheDataTypeE1ELb0ELi512EEEvPfS2_PT_PKS3_PKT0_S9_ifPKiSB_iPKfiiiSD_SD_iiiii,comdat
.Lfunc_end272:
	.size	_ZN4vllm25paged_attention_v2_kernelIthLi80ELi8ELi128ELNS_18Fp8KVCacheDataTypeE1ELb0ELi512EEEvPfS2_PT_PKS3_PKT0_S9_ifPKiSB_iPKfiiiSD_SD_iiiii, .Lfunc_end272-_ZN4vllm25paged_attention_v2_kernelIthLi80ELi8ELi128ELNS_18Fp8KVCacheDataTypeE1ELb0ELi512EEEvPfS2_PT_PKS3_PKT0_S9_ifPKiSB_iPKfiiiSD_SD_iiiii
                                        ; -- End function
	.set _ZN4vllm25paged_attention_v2_kernelIthLi80ELi8ELi128ELNS_18Fp8KVCacheDataTypeE1ELb0ELi512EEEvPfS2_PT_PKS3_PKT0_S9_ifPKiSB_iPKfiiiSD_SD_iiiii.num_vgpr, 60
	.set _ZN4vllm25paged_attention_v2_kernelIthLi80ELi8ELi128ELNS_18Fp8KVCacheDataTypeE1ELb0ELi512EEEvPfS2_PT_PKS3_PKT0_S9_ifPKiSB_iPKfiiiSD_SD_iiiii.num_agpr, 0
	.set _ZN4vllm25paged_attention_v2_kernelIthLi80ELi8ELi128ELNS_18Fp8KVCacheDataTypeE1ELb0ELi512EEEvPfS2_PT_PKS3_PKT0_S9_ifPKiSB_iPKfiiiSD_SD_iiiii.numbered_sgpr, 43
	.set _ZN4vllm25paged_attention_v2_kernelIthLi80ELi8ELi128ELNS_18Fp8KVCacheDataTypeE1ELb0ELi512EEEvPfS2_PT_PKS3_PKT0_S9_ifPKiSB_iPKfiiiSD_SD_iiiii.num_named_barrier, 0
	.set _ZN4vllm25paged_attention_v2_kernelIthLi80ELi8ELi128ELNS_18Fp8KVCacheDataTypeE1ELb0ELi512EEEvPfS2_PT_PKS3_PKT0_S9_ifPKiSB_iPKfiiiSD_SD_iiiii.private_seg_size, 0
	.set _ZN4vllm25paged_attention_v2_kernelIthLi80ELi8ELi128ELNS_18Fp8KVCacheDataTypeE1ELb0ELi512EEEvPfS2_PT_PKS3_PKT0_S9_ifPKiSB_iPKfiiiSD_SD_iiiii.uses_vcc, 1
	.set _ZN4vllm25paged_attention_v2_kernelIthLi80ELi8ELi128ELNS_18Fp8KVCacheDataTypeE1ELb0ELi512EEEvPfS2_PT_PKS3_PKT0_S9_ifPKiSB_iPKfiiiSD_SD_iiiii.uses_flat_scratch, 0
	.set _ZN4vllm25paged_attention_v2_kernelIthLi80ELi8ELi128ELNS_18Fp8KVCacheDataTypeE1ELb0ELi512EEEvPfS2_PT_PKS3_PKT0_S9_ifPKiSB_iPKfiiiSD_SD_iiiii.has_dyn_sized_stack, 0
	.set _ZN4vllm25paged_attention_v2_kernelIthLi80ELi8ELi128ELNS_18Fp8KVCacheDataTypeE1ELb0ELi512EEEvPfS2_PT_PKS3_PKT0_S9_ifPKiSB_iPKfiiiSD_SD_iiiii.has_recursion, 0
	.set _ZN4vllm25paged_attention_v2_kernelIthLi80ELi8ELi128ELNS_18Fp8KVCacheDataTypeE1ELb0ELi512EEEvPfS2_PT_PKS3_PKT0_S9_ifPKiSB_iPKfiiiSD_SD_iiiii.has_indirect_call, 0
	.section	.AMDGPU.csdata,"",@progbits
; Kernel info:
; codeLenInByte = 14620
; TotalNumSgprs: 45
; NumVgprs: 60
; ScratchSize: 0
; MemoryBound: 0
; FloatMode: 240
; IeeeMode: 1
; LDSByteSize: 192 bytes/workgroup (compile time only)
; SGPRBlocks: 0
; VGPRBlocks: 7
; NumSGPRsForWavesPerEU: 45
; NumVGPRsForWavesPerEU: 60
; Occupancy: 16
; WaveLimiterHint : 1
; COMPUTE_PGM_RSRC2:SCRATCH_EN: 0
; COMPUTE_PGM_RSRC2:USER_SGPR: 6
; COMPUTE_PGM_RSRC2:TRAP_HANDLER: 0
; COMPUTE_PGM_RSRC2:TGID_X_EN: 1
; COMPUTE_PGM_RSRC2:TGID_Y_EN: 1
; COMPUTE_PGM_RSRC2:TGID_Z_EN: 1
; COMPUTE_PGM_RSRC2:TIDIG_COMP_CNT: 0
	.section	.text._ZN4vllm25paged_attention_v2_kernelIthLi96ELi8ELi128ELNS_18Fp8KVCacheDataTypeE1ELb0ELi512EEEvPfS2_PT_PKS3_PKT0_S9_ifPKiSB_iPKfiiiSD_SD_iiiii,"axG",@progbits,_ZN4vllm25paged_attention_v2_kernelIthLi96ELi8ELi128ELNS_18Fp8KVCacheDataTypeE1ELb0ELi512EEEvPfS2_PT_PKS3_PKT0_S9_ifPKiSB_iPKfiiiSD_SD_iiiii,comdat
	.protected	_ZN4vllm25paged_attention_v2_kernelIthLi96ELi8ELi128ELNS_18Fp8KVCacheDataTypeE1ELb0ELi512EEEvPfS2_PT_PKS3_PKT0_S9_ifPKiSB_iPKfiiiSD_SD_iiiii ; -- Begin function _ZN4vllm25paged_attention_v2_kernelIthLi96ELi8ELi128ELNS_18Fp8KVCacheDataTypeE1ELb0ELi512EEEvPfS2_PT_PKS3_PKT0_S9_ifPKiSB_iPKfiiiSD_SD_iiiii
	.globl	_ZN4vllm25paged_attention_v2_kernelIthLi96ELi8ELi128ELNS_18Fp8KVCacheDataTypeE1ELb0ELi512EEEvPfS2_PT_PKS3_PKT0_S9_ifPKiSB_iPKfiiiSD_SD_iiiii
	.p2align	8
	.type	_ZN4vllm25paged_attention_v2_kernelIthLi96ELi8ELi128ELNS_18Fp8KVCacheDataTypeE1ELb0ELi512EEEvPfS2_PT_PKS3_PKT0_S9_ifPKiSB_iPKfiiiSD_SD_iiiii,@function
_ZN4vllm25paged_attention_v2_kernelIthLi96ELi8ELi128ELNS_18Fp8KVCacheDataTypeE1ELb0ELi512EEEvPfS2_PT_PKS3_PKT0_S9_ifPKiSB_iPKfiiiSD_SD_iiiii: ; @_ZN4vllm25paged_attention_v2_kernelIthLi96ELi8ELi128ELNS_18Fp8KVCacheDataTypeE1ELb0ELi512EEEvPfS2_PT_PKS3_PKT0_S9_ifPKiSB_iPKfiiiSD_SD_iiiii
; %bb.0:
	s_load_dwordx2 s[0:1], s[4:5], 0x40
	s_mov_b32 s26, s7
	s_ashr_i32 s27, s7, 31
	s_lshl_b64 s[2:3], s[26:27], 2
	s_waitcnt lgkmcnt(0)
	s_add_u32 s0, s0, s2
	s_addc_u32 s1, s1, s3
	s_lshl_b32 s33, s8, 9
	s_load_dword s27, s[0:1], 0x0
	s_waitcnt lgkmcnt(0)
	s_cmp_ge_i32 s33, s27
	s_cbranch_scc1 .LBB273_434
; %bb.1:
	s_clause 0x1
	s_load_dword s9, s[4:5], 0x90
	s_load_dwordx2 s[36:37], s[4:5], 0x30
	s_waitcnt lgkmcnt(0)
	s_abs_i32 s3, s9
	s_abs_i32 s0, s36
	v_cvt_f32_u32_e32 v1, s0
	s_sub_i32 s2, 0, s0
	v_rcp_iflag_f32_e32 v1, v1
	v_mul_f32_e32 v1, 0x4f7ffffe, v1
	v_cvt_u32_f32_e32 v1, v1
	v_readfirstlane_b32 s1, v1
	s_mul_i32 s2, s2, s1
	s_mul_hi_u32 s2, s1, s2
	s_add_i32 s1, s1, s2
	s_xor_b32 s2, s9, s36
	s_mul_hi_u32 s1, s3, s1
	s_ashr_i32 s2, s2, 31
	s_mul_i32 s7, s1, s0
	s_mov_b32 s36, 0
	s_sub_i32 s3, s3, s7
	s_add_i32 s7, s1, 1
	s_sub_i32 s10, s3, s0
	s_cmp_ge_u32 s3, s0
	s_cselect_b32 s1, s7, s1
	s_cselect_b32 s3, s10, s3
	s_add_i32 s7, s1, 1
	s_cmp_ge_u32 s3, s0
	s_cselect_b32 s0, s7, s1
	s_abs_i32 s12, s6
	s_xor_b32 s0, s0, s2
	s_sub_i32 s10, s0, s2
	s_load_dwordx2 s[0:1], s[4:5], 0x50
	s_abs_i32 s2, s10
	v_cvt_f32_u32_e32 v1, s2
	s_sub_i32 s7, 0, s2
	v_rcp_iflag_f32_e32 v1, v1
	v_mul_f32_e32 v1, 0x4f7ffffe, v1
	v_cvt_u32_f32_e32 v1, v1
	v_readfirstlane_b32 s3, v1
	s_mul_i32 s7, s7, s3
	s_mul_hi_u32 s7, s3, s7
	s_add_i32 s3, s3, s7
	s_waitcnt lgkmcnt(0)
	s_cmp_eq_u64 s[0:1], 0
	s_mul_hi_u32 s3, s12, s3
	s_cbranch_scc1 .LBB273_3
; %bb.2:
	s_ashr_i32 s7, s6, 31
	s_lshl_b64 s[14:15], s[6:7], 2
	s_add_u32 s0, s0, s14
	s_addc_u32 s1, s1, s15
	s_load_dword s36, s[0:1], 0x0
.LBB273_3:
	s_load_dwordx4 s[16:19], s[4:5], 0x58
	v_and_b32_e32 v3, 3, v0
	s_ashr_i32 s0, s6, 31
	s_ashr_i32 s1, s10, 31
	s_mul_i32 s10, s6, 0x60
	s_mov_b32 s7, exec_lo
	v_cmpx_gt_u32_e32 48, v0
	s_cbranch_execz .LBB273_5
; %bb.4:
	s_load_dwordx2 s[14:15], s[4:5], 0x18
	s_waitcnt lgkmcnt(0)
	s_mul_i32 s20, s16, s26
	v_lshlrev_b32_e32 v1, 2, v0
	s_ashr_i32 s21, s20, 31
	v_and_b32_e32 v2, 0x3fc, v0
	s_lshl_b64 s[20:21], s[20:21], 1
	v_mad_u32_u24 v2, v3, 48, v2
	s_add_u32 s13, s14, s20
	s_addc_u32 s16, s15, s21
	s_ashr_i32 s11, s10, 31
	s_lshl_b64 s[14:15], s[10:11], 1
	s_add_u32 s14, s13, s14
	s_addc_u32 s15, s16, s15
	global_load_dword v1, v1, s[14:15]
	s_waitcnt vmcnt(0)
	ds_write_b32 v2, v1
.LBB273_5:
	s_or_b32 exec_lo, exec_lo, s7
	s_add_i32 s7, s27, 7
	s_clause 0x1
	s_load_dwordx2 s[28:29], s[4:5], 0x38
	s_load_dword s13, s[4:5], 0x48
	s_ashr_i32 s11, s7, 31
	s_waitcnt lgkmcnt(0)
	s_lshl_b32 s19, s8, 6
	s_lshr_b32 s11, s11, 29
	s_xor_b32 s0, s0, s1
	s_add_i32 s7, s7, s11
	s_add_i32 s1, s19, 64
	s_ashr_i32 s16, s7, 3
	s_mul_i32 s7, s3, s2
	s_min_i32 s11, s1, s16
	s_sub_i32 s1, s12, s7
	s_add_i32 s7, s3, 1
	s_sub_i32 s12, s1, s2
	s_cmp_ge_u32 s1, s2
	v_lshrrev_b32_e32 v12, 5, v0
	s_cselect_b32 s3, s7, s3
	s_cselect_b32 s1, s12, s1
	s_add_i32 s7, s3, 1
	s_cmp_ge_u32 s1, s2
	v_or_b32_e32 v1, s19, v12
	s_cselect_b32 s1, s7, s3
	v_mbcnt_lo_u32_b32 v13, -1, 0
	s_xor_b32 s1, s1, s0
	s_mul_i32 s30, s13, s26
	s_sub_i32 s1, s1, s0
	v_cmp_gt_i32_e64 s0, s11, v1
	s_ashr_i32 s31, s30, 31
	s_mov_b32 s2, exec_lo
	s_barrier
	buffer_gl0_inv
                                        ; implicit-def: $vgpr4
                                        ; implicit-def: $vgpr15
	v_cmpx_le_i32_e64 s11, v1
	s_xor_b32 s2, exec_lo, s2
; %bb.6:
	v_mov_b32_e32 v4, 0
	v_mbcnt_lo_u32_b32 v13, -1, 0
	v_mov_b32_e32 v15, 32
                                        ; implicit-def: $vgpr3
; %bb.7:
	s_or_saveexec_b32 s38, s2
	s_clause 0x4
	s_load_dwordx4 s[20:23], s[4:5], 0x0
	s_load_dwordx2 s[24:25], s[4:5], 0x10
	s_load_dword s7, s[4:5], 0x98
	s_load_dwordx2 s[34:35], s[4:5], 0x28
	s_load_dwordx4 s[12:15], s[4:5], 0x68
	v_mov_b32_e32 v14, 0xff7fffff
	v_ashrrev_i32_e32 v2, 31, v1
	v_lshlrev_b32_e32 v11, 3, v12
	s_mul_i32 s18, s1, s18
	s_xor_b32 exec_lo, exec_lo, s38
	s_cbranch_execz .LBB273_205
; %bb.8:
	s_load_dwordx2 s[2:3], s[4:5], 0x20
	v_bfe_u32 v5, v0, 2, 3
	v_lshlrev_b32_e32 v9, 1, v3
	v_mul_u32_u24_e32 v16, 48, v3
	v_cmp_eq_u32_e32 vcc_lo, 0, v3
	s_ashr_i32 s4, s18, 31
	v_lshlrev_b32_e32 v6, 2, v5
	v_lshlrev_b64 v[7:8], 2, v[1:2]
	v_add3_u32 v17, s33, v11, v5
	v_mov_b32_e32 v4, 0
	v_cmp_neq_f32_e64 s1, s36, 0
	v_lshl_or_b32 v3, v12, 5, v6
	v_lshlrev_b32_e32 v6, 4, v5
	v_mov_b32_e32 v14, 0xff7fffff
	v_mov_b32_e32 v15, 32
	;; [unrolled: 1-line block ×3, first 2 shown]
	v_add_nc_u32_e32 v18, 0xe0, v3
	v_mov_b32_e32 v20, 0x7f
	v_mov_b32_e32 v21, 7
	v_mov_b32_e32 v22, 8
	s_waitcnt lgkmcnt(0)
	s_add_u32 s5, s2, s18
	s_addc_u32 s39, s3, s4
	v_add_co_u32 v3, s5, s5, v6
	v_add_co_ci_u32_e64 v6, null, s39, 0, s5
	s_lshl_b64 s[2:3], s[30:31], 2
	s_sub_i32 s4, 1, s27
	s_add_u32 s5, s28, s2
	v_add_co_u32 v5, s2, v3, v9
	s_addc_u32 s3, s29, s3
	v_add_co_ci_u32_e64 v6, null, 0, v6, s2
	v_add_co_u32 v7, s2, s5, v7
	v_add_co_ci_u32_e64 v8, null, s3, v8, s2
	v_mov_b32_e32 v23, v1
	s_mov_b32 s39, s17
	s_mov_b32 s5, 0
	s_branch .LBB273_10
.LBB273_9:                              ;   in Loop: Header=BB273_10 Depth=1
	s_or_b32 exec_lo, exec_lo, s3
	v_add_nc_u32_e32 v23, 4, v23
	v_add_co_u32 v7, s3, v7, 16
	v_add_nc_u32_e32 v17, 32, v17
	v_add_nc_u32_e32 v18, 0x80, v18
	v_cmp_le_i32_e64 s2, s11, v23
	v_add_co_ci_u32_e64 v8, null, 0, v8, s3
	s_or_b32 s5, s2, s5
	s_andn2_b32 exec_lo, exec_lo, s5
	s_cbranch_execz .LBB273_204
.LBB273_10:                             ; =>This Inner Loop Header: Depth=1
	global_load_dword v3, v[7:8], off
	s_waitcnt vmcnt(0) lgkmcnt(0)
	v_mad_i64_i32 v[9:10], null, v3, s39, v[5:6]
	global_load_ushort v25, v[9:10], off
	global_load_dword v24, v4, s[12:13]
	s_waitcnt vmcnt(1)
	v_and_b32_e32 v3, 0xffff, v25
	v_cmp_ne_u16_sdwa s2, v25, v4 src0_sel:BYTE_0 src1_sel:DWORD
	v_mov_b32_e32 v25, 0
	s_and_saveexec_b32 s3, s2
	s_cbranch_execz .LBB273_18
; %bb.11:                               ;   in Loop: Header=BB273_10 Depth=1
	v_cmp_ne_u16_sdwa s2, v3, v19 src0_sel:BYTE_0 src1_sel:DWORD
	v_mov_b32_e32 v25, 0x8000
	s_and_saveexec_b32 s40, s2
	s_cbranch_execz .LBB273_17
; %bb.12:                               ;   in Loop: Header=BB273_10 Depth=1
	v_and_b32_e32 v27, 0x7f, v3
	v_mov_b32_e32 v25, 0x7c01
	s_mov_b32 s41, exec_lo
	v_cmpx_ne_u32_e32 0x7f, v27
	s_cbranch_execz .LBB273_16
; %bb.13:                               ;   in Loop: Header=BB273_10 Depth=1
	v_and_b32_e32 v25, 7, v3
	v_lshrrev_b32_e32 v26, 3, v27
	s_mov_b32 s42, exec_lo
	v_cmpx_gt_u32_e32 8, v27
; %bb.14:                               ;   in Loop: Header=BB273_10 Depth=1
	v_ffbh_u32_e32 v25, v25
	v_min_u32_e32 v27, 32, v25
	v_subrev_nc_u32_e32 v25, 28, v27
	v_lshlrev_b64 v[25:26], v25, v[3:4]
	v_sub_nc_u32_e32 v26, 29, v27
	v_and_b32_e32 v25, 7, v25
; %bb.15:                               ;   in Loop: Header=BB273_10 Depth=1
	s_or_b32 exec_lo, exec_lo, s42
	v_lshlrev_b32_e32 v27, 8, v3
	v_lshl_add_u32 v26, v26, 10, 0x2000
	v_lshlrev_b32_e32 v25, 7, v25
	v_and_b32_e32 v27, 0x8000, v27
	v_and_b32_e32 v26, 0xfc00, v26
	v_or3_b32 v25, v27, v26, v25
.LBB273_16:                             ;   in Loop: Header=BB273_10 Depth=1
	s_or_b32 exec_lo, exec_lo, s41
.LBB273_17:                             ;   in Loop: Header=BB273_10 Depth=1
	s_or_b32 exec_lo, exec_lo, s40
.LBB273_18:                             ;   in Loop: Header=BB273_10 Depth=1
	s_or_b32 exec_lo, exec_lo, s3
	v_lshrrev_b16 v3, 8, v3
	v_mov_b32_e32 v26, 0
	s_mov_b32 s3, exec_lo
	v_cmpx_ne_u16_e32 0, v3
	s_cbranch_execz .LBB273_26
; %bb.19:                               ;   in Loop: Header=BB273_10 Depth=1
	v_bfrev_b32_e32 v26, 1
	s_mov_b32 s40, exec_lo
	v_cmpx_ne_u16_e32 0x80, v3
	s_cbranch_execz .LBB273_25
; %bb.20:                               ;   in Loop: Header=BB273_10 Depth=1
	v_and_b32_sdwa v28, v3, v20 dst_sel:DWORD dst_unused:UNUSED_PAD src0_sel:WORD_0 src1_sel:DWORD
	v_mov_b32_e32 v26, 0x7c010000
	s_mov_b32 s41, exec_lo
	v_cmpx_ne_u32_e32 0x7f, v28
	s_cbranch_execz .LBB273_24
; %bb.21:                               ;   in Loop: Header=BB273_10 Depth=1
	v_and_b32_sdwa v26, v3, v21 dst_sel:DWORD dst_unused:UNUSED_PAD src0_sel:WORD_0 src1_sel:DWORD
	v_lshrrev_b32_e32 v27, 3, v28
	s_mov_b32 s42, exec_lo
	v_cmpx_gt_u32_e32 8, v28
; %bb.22:                               ;   in Loop: Header=BB273_10 Depth=1
	v_ffbh_u32_e32 v26, v26
	v_min_u32_e32 v28, 32, v26
	v_subrev_nc_u32_e32 v26, 28, v28
	v_lshlrev_b64 v[26:27], v26, v[3:4]
	v_sub_nc_u32_e32 v27, 29, v28
	v_and_b32_e32 v26, 7, v26
; %bb.23:                               ;   in Loop: Header=BB273_10 Depth=1
	s_or_b32 exec_lo, exec_lo, s42
	v_lshlrev_b32_sdwa v3, v22, v3 dst_sel:DWORD dst_unused:UNUSED_PAD src0_sel:DWORD src1_sel:WORD_0
	v_lshl_add_u32 v27, v27, 10, 0x2000
	v_lshlrev_b32_e32 v26, 23, v26
	v_and_or_b32 v3, 0x8000, v3, v27
	v_lshl_or_b32 v26, v3, 16, v26
.LBB273_24:                             ;   in Loop: Header=BB273_10 Depth=1
	s_or_b32 exec_lo, exec_lo, s41
.LBB273_25:                             ;   in Loop: Header=BB273_10 Depth=1
	s_or_b32 exec_lo, exec_lo, s40
.LBB273_26:                             ;   in Loop: Header=BB273_10 Depth=1
	s_or_b32 exec_lo, exec_lo, s3
	global_load_ushort v28, v[9:10], off offset:8
	v_mov_b32_e32 v27, 0
	s_waitcnt vmcnt(0)
	v_and_b32_e32 v3, 0xffff, v28
	v_cmp_ne_u16_sdwa s2, v28, v4 src0_sel:BYTE_0 src1_sel:DWORD
	v_mov_b32_e32 v28, 0
	s_and_saveexec_b32 s3, s2
	s_cbranch_execz .LBB273_34
; %bb.27:                               ;   in Loop: Header=BB273_10 Depth=1
	v_cmp_ne_u16_sdwa s2, v3, v19 src0_sel:BYTE_0 src1_sel:DWORD
	v_mov_b32_e32 v28, 0x8000
	s_and_saveexec_b32 s40, s2
	s_cbranch_execz .LBB273_33
; %bb.28:                               ;   in Loop: Header=BB273_10 Depth=1
	v_and_b32_e32 v30, 0x7f, v3
	v_mov_b32_e32 v28, 0x7c01
	s_mov_b32 s41, exec_lo
	v_cmpx_ne_u32_e32 0x7f, v30
	s_cbranch_execz .LBB273_32
; %bb.29:                               ;   in Loop: Header=BB273_10 Depth=1
	v_and_b32_e32 v28, 7, v3
	v_lshrrev_b32_e32 v29, 3, v30
	s_mov_b32 s42, exec_lo
	v_cmpx_gt_u32_e32 8, v30
; %bb.30:                               ;   in Loop: Header=BB273_10 Depth=1
	v_ffbh_u32_e32 v28, v28
	v_min_u32_e32 v30, 32, v28
	v_subrev_nc_u32_e32 v28, 28, v30
	v_lshlrev_b64 v[28:29], v28, v[3:4]
	v_sub_nc_u32_e32 v29, 29, v30
	v_and_b32_e32 v28, 7, v28
; %bb.31:                               ;   in Loop: Header=BB273_10 Depth=1
	s_or_b32 exec_lo, exec_lo, s42
	v_lshlrev_b32_e32 v30, 8, v3
	v_lshl_add_u32 v29, v29, 10, 0x2000
	v_lshlrev_b32_e32 v28, 7, v28
	v_and_b32_e32 v30, 0x8000, v30
	v_and_b32_e32 v29, 0xfc00, v29
	v_or3_b32 v28, v30, v29, v28
.LBB273_32:                             ;   in Loop: Header=BB273_10 Depth=1
	s_or_b32 exec_lo, exec_lo, s41
.LBB273_33:                             ;   in Loop: Header=BB273_10 Depth=1
	s_or_b32 exec_lo, exec_lo, s40
.LBB273_34:                             ;   in Loop: Header=BB273_10 Depth=1
	s_or_b32 exec_lo, exec_lo, s3
	v_lshrrev_b16 v3, 8, v3
	s_mov_b32 s3, exec_lo
	v_cmpx_ne_u16_e32 0, v3
	s_cbranch_execz .LBB273_42
; %bb.35:                               ;   in Loop: Header=BB273_10 Depth=1
	v_bfrev_b32_e32 v27, 1
	s_mov_b32 s40, exec_lo
	v_cmpx_ne_u16_e32 0x80, v3
	s_cbranch_execz .LBB273_41
; %bb.36:                               ;   in Loop: Header=BB273_10 Depth=1
	v_and_b32_sdwa v30, v3, v20 dst_sel:DWORD dst_unused:UNUSED_PAD src0_sel:WORD_0 src1_sel:DWORD
	v_mov_b32_e32 v27, 0x7c010000
	s_mov_b32 s41, exec_lo
	v_cmpx_ne_u32_e32 0x7f, v30
	s_cbranch_execz .LBB273_40
; %bb.37:                               ;   in Loop: Header=BB273_10 Depth=1
	v_and_b32_sdwa v27, v3, v21 dst_sel:DWORD dst_unused:UNUSED_PAD src0_sel:WORD_0 src1_sel:DWORD
	v_lshrrev_b32_e32 v29, 3, v30
	s_mov_b32 s42, exec_lo
	v_cmpx_gt_u32_e32 8, v30
; %bb.38:                               ;   in Loop: Header=BB273_10 Depth=1
	v_ffbh_u32_e32 v27, v27
	v_min_u32_e32 v27, 32, v27
	v_subrev_nc_u32_e32 v29, 28, v27
	v_lshlrev_b64 v[30:31], v29, v[3:4]
	v_sub_nc_u32_e32 v29, 29, v27
	v_and_b32_e32 v27, 7, v30
; %bb.39:                               ;   in Loop: Header=BB273_10 Depth=1
	s_or_b32 exec_lo, exec_lo, s42
	v_lshlrev_b32_sdwa v3, v22, v3 dst_sel:DWORD dst_unused:UNUSED_PAD src0_sel:DWORD src1_sel:WORD_0
	v_lshl_add_u32 v29, v29, 10, 0x2000
	v_lshlrev_b32_e32 v27, 23, v27
	v_and_or_b32 v3, 0x8000, v3, v29
	v_lshl_or_b32 v27, v3, 16, v27
.LBB273_40:                             ;   in Loop: Header=BB273_10 Depth=1
	s_or_b32 exec_lo, exec_lo, s41
.LBB273_41:                             ;   in Loop: Header=BB273_10 Depth=1
	s_or_b32 exec_lo, exec_lo, s40
.LBB273_42:                             ;   in Loop: Header=BB273_10 Depth=1
	s_or_b32 exec_lo, exec_lo, s3
	global_load_ushort v30, v[9:10], off offset:128
	v_mov_b32_e32 v29, 0
	s_waitcnt vmcnt(0)
	v_and_b32_e32 v3, 0xffff, v30
	v_cmp_ne_u16_sdwa s2, v30, v4 src0_sel:BYTE_0 src1_sel:DWORD
	v_mov_b32_e32 v30, 0
	s_and_saveexec_b32 s3, s2
	s_cbranch_execz .LBB273_50
; %bb.43:                               ;   in Loop: Header=BB273_10 Depth=1
	v_cmp_ne_u16_sdwa s2, v3, v19 src0_sel:BYTE_0 src1_sel:DWORD
	v_mov_b32_e32 v30, 0x8000
	s_and_saveexec_b32 s40, s2
	s_cbranch_execz .LBB273_49
; %bb.44:                               ;   in Loop: Header=BB273_10 Depth=1
	v_and_b32_e32 v32, 0x7f, v3
	v_mov_b32_e32 v30, 0x7c01
	s_mov_b32 s41, exec_lo
	v_cmpx_ne_u32_e32 0x7f, v32
	s_cbranch_execz .LBB273_48
; %bb.45:                               ;   in Loop: Header=BB273_10 Depth=1
	v_and_b32_e32 v30, 7, v3
	v_lshrrev_b32_e32 v31, 3, v32
	s_mov_b32 s42, exec_lo
	v_cmpx_gt_u32_e32 8, v32
; %bb.46:                               ;   in Loop: Header=BB273_10 Depth=1
	v_ffbh_u32_e32 v30, v30
	v_min_u32_e32 v32, 32, v30
	v_subrev_nc_u32_e32 v30, 28, v32
	v_lshlrev_b64 v[30:31], v30, v[3:4]
	v_sub_nc_u32_e32 v31, 29, v32
	v_and_b32_e32 v30, 7, v30
; %bb.47:                               ;   in Loop: Header=BB273_10 Depth=1
	s_or_b32 exec_lo, exec_lo, s42
	v_lshlrev_b32_e32 v32, 8, v3
	v_lshl_add_u32 v31, v31, 10, 0x2000
	v_lshlrev_b32_e32 v30, 7, v30
	v_and_b32_e32 v32, 0x8000, v32
	v_and_b32_e32 v31, 0xfc00, v31
	v_or3_b32 v30, v32, v31, v30
.LBB273_48:                             ;   in Loop: Header=BB273_10 Depth=1
	s_or_b32 exec_lo, exec_lo, s41
.LBB273_49:                             ;   in Loop: Header=BB273_10 Depth=1
	s_or_b32 exec_lo, exec_lo, s40
.LBB273_50:                             ;   in Loop: Header=BB273_10 Depth=1
	s_or_b32 exec_lo, exec_lo, s3
	v_lshrrev_b16 v3, 8, v3
	s_mov_b32 s3, exec_lo
	v_cmpx_ne_u16_e32 0, v3
	s_cbranch_execz .LBB273_58
; %bb.51:                               ;   in Loop: Header=BB273_10 Depth=1
	v_bfrev_b32_e32 v29, 1
	s_mov_b32 s40, exec_lo
	v_cmpx_ne_u16_e32 0x80, v3
	s_cbranch_execz .LBB273_57
; %bb.52:                               ;   in Loop: Header=BB273_10 Depth=1
	v_and_b32_sdwa v32, v3, v20 dst_sel:DWORD dst_unused:UNUSED_PAD src0_sel:WORD_0 src1_sel:DWORD
	v_mov_b32_e32 v29, 0x7c010000
	s_mov_b32 s41, exec_lo
	v_cmpx_ne_u32_e32 0x7f, v32
	s_cbranch_execz .LBB273_56
; %bb.53:                               ;   in Loop: Header=BB273_10 Depth=1
	v_and_b32_sdwa v29, v3, v21 dst_sel:DWORD dst_unused:UNUSED_PAD src0_sel:WORD_0 src1_sel:DWORD
	v_lshrrev_b32_e32 v31, 3, v32
	s_mov_b32 s42, exec_lo
	v_cmpx_gt_u32_e32 8, v32
; %bb.54:                               ;   in Loop: Header=BB273_10 Depth=1
	v_ffbh_u32_e32 v29, v29
	v_min_u32_e32 v29, 32, v29
	v_subrev_nc_u32_e32 v31, 28, v29
	v_lshlrev_b64 v[32:33], v31, v[3:4]
	v_sub_nc_u32_e32 v31, 29, v29
	v_and_b32_e32 v29, 7, v32
; %bb.55:                               ;   in Loop: Header=BB273_10 Depth=1
	s_or_b32 exec_lo, exec_lo, s42
	v_lshlrev_b32_sdwa v3, v22, v3 dst_sel:DWORD dst_unused:UNUSED_PAD src0_sel:DWORD src1_sel:WORD_0
	v_lshl_add_u32 v31, v31, 10, 0x2000
	v_lshlrev_b32_e32 v29, 23, v29
	v_and_or_b32 v3, 0x8000, v3, v31
	v_lshl_or_b32 v29, v3, 16, v29
.LBB273_56:                             ;   in Loop: Header=BB273_10 Depth=1
	s_or_b32 exec_lo, exec_lo, s41
.LBB273_57:                             ;   in Loop: Header=BB273_10 Depth=1
	s_or_b32 exec_lo, exec_lo, s40
.LBB273_58:                             ;   in Loop: Header=BB273_10 Depth=1
	s_or_b32 exec_lo, exec_lo, s3
	global_load_ushort v32, v[9:10], off offset:136
	v_mov_b32_e32 v31, 0
	s_waitcnt vmcnt(0)
	v_and_b32_e32 v3, 0xffff, v32
	v_cmp_ne_u16_sdwa s2, v32, v4 src0_sel:BYTE_0 src1_sel:DWORD
	v_mov_b32_e32 v32, 0
	s_and_saveexec_b32 s3, s2
	s_cbranch_execz .LBB273_66
; %bb.59:                               ;   in Loop: Header=BB273_10 Depth=1
	v_cmp_ne_u16_sdwa s2, v3, v19 src0_sel:BYTE_0 src1_sel:DWORD
	v_mov_b32_e32 v32, 0x8000
	s_and_saveexec_b32 s40, s2
	s_cbranch_execz .LBB273_65
; %bb.60:                               ;   in Loop: Header=BB273_10 Depth=1
	v_and_b32_e32 v34, 0x7f, v3
	v_mov_b32_e32 v32, 0x7c01
	s_mov_b32 s41, exec_lo
	v_cmpx_ne_u32_e32 0x7f, v34
	s_cbranch_execz .LBB273_64
; %bb.61:                               ;   in Loop: Header=BB273_10 Depth=1
	v_and_b32_e32 v32, 7, v3
	v_lshrrev_b32_e32 v33, 3, v34
	s_mov_b32 s42, exec_lo
	v_cmpx_gt_u32_e32 8, v34
; %bb.62:                               ;   in Loop: Header=BB273_10 Depth=1
	v_ffbh_u32_e32 v32, v32
	v_min_u32_e32 v34, 32, v32
	v_subrev_nc_u32_e32 v32, 28, v34
	v_lshlrev_b64 v[32:33], v32, v[3:4]
	v_sub_nc_u32_e32 v33, 29, v34
	v_and_b32_e32 v32, 7, v32
; %bb.63:                               ;   in Loop: Header=BB273_10 Depth=1
	s_or_b32 exec_lo, exec_lo, s42
	v_lshlrev_b32_e32 v34, 8, v3
	v_lshl_add_u32 v33, v33, 10, 0x2000
	v_lshlrev_b32_e32 v32, 7, v32
	v_and_b32_e32 v34, 0x8000, v34
	v_and_b32_e32 v33, 0xfc00, v33
	v_or3_b32 v32, v34, v33, v32
.LBB273_64:                             ;   in Loop: Header=BB273_10 Depth=1
	s_or_b32 exec_lo, exec_lo, s41
.LBB273_65:                             ;   in Loop: Header=BB273_10 Depth=1
	s_or_b32 exec_lo, exec_lo, s40
.LBB273_66:                             ;   in Loop: Header=BB273_10 Depth=1
	s_or_b32 exec_lo, exec_lo, s3
	v_lshrrev_b16 v3, 8, v3
	s_mov_b32 s3, exec_lo
	v_cmpx_ne_u16_e32 0, v3
	s_cbranch_execz .LBB273_74
; %bb.67:                               ;   in Loop: Header=BB273_10 Depth=1
	v_bfrev_b32_e32 v31, 1
	s_mov_b32 s40, exec_lo
	v_cmpx_ne_u16_e32 0x80, v3
	s_cbranch_execz .LBB273_73
; %bb.68:                               ;   in Loop: Header=BB273_10 Depth=1
	v_and_b32_sdwa v34, v3, v20 dst_sel:DWORD dst_unused:UNUSED_PAD src0_sel:WORD_0 src1_sel:DWORD
	v_mov_b32_e32 v31, 0x7c010000
	s_mov_b32 s41, exec_lo
	v_cmpx_ne_u32_e32 0x7f, v34
	s_cbranch_execz .LBB273_72
; %bb.69:                               ;   in Loop: Header=BB273_10 Depth=1
	v_and_b32_sdwa v31, v3, v21 dst_sel:DWORD dst_unused:UNUSED_PAD src0_sel:WORD_0 src1_sel:DWORD
	v_lshrrev_b32_e32 v33, 3, v34
	s_mov_b32 s42, exec_lo
	v_cmpx_gt_u32_e32 8, v34
; %bb.70:                               ;   in Loop: Header=BB273_10 Depth=1
	v_ffbh_u32_e32 v31, v31
	v_min_u32_e32 v31, 32, v31
	v_subrev_nc_u32_e32 v33, 28, v31
	v_lshlrev_b64 v[34:35], v33, v[3:4]
	v_sub_nc_u32_e32 v33, 29, v31
	v_and_b32_e32 v31, 7, v34
; %bb.71:                               ;   in Loop: Header=BB273_10 Depth=1
	s_or_b32 exec_lo, exec_lo, s42
	v_lshlrev_b32_sdwa v3, v22, v3 dst_sel:DWORD dst_unused:UNUSED_PAD src0_sel:DWORD src1_sel:WORD_0
	v_lshl_add_u32 v33, v33, 10, 0x2000
	v_lshlrev_b32_e32 v31, 23, v31
	v_and_or_b32 v3, 0x8000, v3, v33
	v_lshl_or_b32 v31, v3, 16, v31
.LBB273_72:                             ;   in Loop: Header=BB273_10 Depth=1
	s_or_b32 exec_lo, exec_lo, s41
.LBB273_73:                             ;   in Loop: Header=BB273_10 Depth=1
	s_or_b32 exec_lo, exec_lo, s40
.LBB273_74:                             ;   in Loop: Header=BB273_10 Depth=1
	s_or_b32 exec_lo, exec_lo, s3
	global_load_ushort v34, v[9:10], off offset:256
	v_mov_b32_e32 v33, 0
	s_waitcnt vmcnt(0)
	v_and_b32_e32 v3, 0xffff, v34
	v_cmp_ne_u16_sdwa s2, v34, v4 src0_sel:BYTE_0 src1_sel:DWORD
	v_mov_b32_e32 v34, 0
	s_and_saveexec_b32 s3, s2
	s_cbranch_execz .LBB273_82
; %bb.75:                               ;   in Loop: Header=BB273_10 Depth=1
	v_cmp_ne_u16_sdwa s2, v3, v19 src0_sel:BYTE_0 src1_sel:DWORD
	v_mov_b32_e32 v34, 0x8000
	s_and_saveexec_b32 s40, s2
	s_cbranch_execz .LBB273_81
; %bb.76:                               ;   in Loop: Header=BB273_10 Depth=1
	v_and_b32_e32 v36, 0x7f, v3
	v_mov_b32_e32 v34, 0x7c01
	s_mov_b32 s41, exec_lo
	v_cmpx_ne_u32_e32 0x7f, v36
	s_cbranch_execz .LBB273_80
; %bb.77:                               ;   in Loop: Header=BB273_10 Depth=1
	v_and_b32_e32 v34, 7, v3
	v_lshrrev_b32_e32 v35, 3, v36
	s_mov_b32 s42, exec_lo
	v_cmpx_gt_u32_e32 8, v36
; %bb.78:                               ;   in Loop: Header=BB273_10 Depth=1
	v_ffbh_u32_e32 v34, v34
	v_min_u32_e32 v36, 32, v34
	v_subrev_nc_u32_e32 v34, 28, v36
	v_lshlrev_b64 v[34:35], v34, v[3:4]
	v_sub_nc_u32_e32 v35, 29, v36
	v_and_b32_e32 v34, 7, v34
; %bb.79:                               ;   in Loop: Header=BB273_10 Depth=1
	s_or_b32 exec_lo, exec_lo, s42
	v_lshlrev_b32_e32 v36, 8, v3
	v_lshl_add_u32 v35, v35, 10, 0x2000
	v_lshlrev_b32_e32 v34, 7, v34
	v_and_b32_e32 v36, 0x8000, v36
	v_and_b32_e32 v35, 0xfc00, v35
	v_or3_b32 v34, v36, v35, v34
.LBB273_80:                             ;   in Loop: Header=BB273_10 Depth=1
	s_or_b32 exec_lo, exec_lo, s41
.LBB273_81:                             ;   in Loop: Header=BB273_10 Depth=1
	s_or_b32 exec_lo, exec_lo, s40
.LBB273_82:                             ;   in Loop: Header=BB273_10 Depth=1
	s_or_b32 exec_lo, exec_lo, s3
	v_lshrrev_b16 v3, 8, v3
	s_mov_b32 s3, exec_lo
	v_cmpx_ne_u16_e32 0, v3
	s_cbranch_execz .LBB273_90
; %bb.83:                               ;   in Loop: Header=BB273_10 Depth=1
	v_bfrev_b32_e32 v33, 1
	s_mov_b32 s40, exec_lo
	v_cmpx_ne_u16_e32 0x80, v3
	s_cbranch_execz .LBB273_89
; %bb.84:                               ;   in Loop: Header=BB273_10 Depth=1
	v_and_b32_sdwa v36, v3, v20 dst_sel:DWORD dst_unused:UNUSED_PAD src0_sel:WORD_0 src1_sel:DWORD
	v_mov_b32_e32 v33, 0x7c010000
	s_mov_b32 s41, exec_lo
	v_cmpx_ne_u32_e32 0x7f, v36
	s_cbranch_execz .LBB273_88
; %bb.85:                               ;   in Loop: Header=BB273_10 Depth=1
	v_and_b32_sdwa v33, v3, v21 dst_sel:DWORD dst_unused:UNUSED_PAD src0_sel:WORD_0 src1_sel:DWORD
	v_lshrrev_b32_e32 v35, 3, v36
	s_mov_b32 s42, exec_lo
	v_cmpx_gt_u32_e32 8, v36
; %bb.86:                               ;   in Loop: Header=BB273_10 Depth=1
	v_ffbh_u32_e32 v33, v33
	v_min_u32_e32 v33, 32, v33
	v_subrev_nc_u32_e32 v35, 28, v33
	v_lshlrev_b64 v[36:37], v35, v[3:4]
	v_sub_nc_u32_e32 v35, 29, v33
	v_and_b32_e32 v33, 7, v36
; %bb.87:                               ;   in Loop: Header=BB273_10 Depth=1
	s_or_b32 exec_lo, exec_lo, s42
	v_lshlrev_b32_sdwa v3, v22, v3 dst_sel:DWORD dst_unused:UNUSED_PAD src0_sel:DWORD src1_sel:WORD_0
	v_lshl_add_u32 v35, v35, 10, 0x2000
	v_lshlrev_b32_e32 v33, 23, v33
	v_and_or_b32 v3, 0x8000, v3, v35
	v_lshl_or_b32 v33, v3, 16, v33
.LBB273_88:                             ;   in Loop: Header=BB273_10 Depth=1
	s_or_b32 exec_lo, exec_lo, s41
.LBB273_89:                             ;   in Loop: Header=BB273_10 Depth=1
	s_or_b32 exec_lo, exec_lo, s40
.LBB273_90:                             ;   in Loop: Header=BB273_10 Depth=1
	s_or_b32 exec_lo, exec_lo, s3
	global_load_ushort v36, v[9:10], off offset:264
	v_mov_b32_e32 v35, 0
	s_waitcnt vmcnt(0)
	v_and_b32_e32 v3, 0xffff, v36
	v_cmp_ne_u16_sdwa s2, v36, v4 src0_sel:BYTE_0 src1_sel:DWORD
	v_mov_b32_e32 v36, 0
	s_and_saveexec_b32 s3, s2
	s_cbranch_execz .LBB273_98
; %bb.91:                               ;   in Loop: Header=BB273_10 Depth=1
	v_cmp_ne_u16_sdwa s2, v3, v19 src0_sel:BYTE_0 src1_sel:DWORD
	v_mov_b32_e32 v36, 0x8000
	s_and_saveexec_b32 s40, s2
	s_cbranch_execz .LBB273_97
; %bb.92:                               ;   in Loop: Header=BB273_10 Depth=1
	v_and_b32_e32 v38, 0x7f, v3
	v_mov_b32_e32 v36, 0x7c01
	s_mov_b32 s41, exec_lo
	v_cmpx_ne_u32_e32 0x7f, v38
	s_cbranch_execz .LBB273_96
; %bb.93:                               ;   in Loop: Header=BB273_10 Depth=1
	v_and_b32_e32 v36, 7, v3
	v_lshrrev_b32_e32 v37, 3, v38
	s_mov_b32 s42, exec_lo
	v_cmpx_gt_u32_e32 8, v38
; %bb.94:                               ;   in Loop: Header=BB273_10 Depth=1
	v_ffbh_u32_e32 v36, v36
	v_min_u32_e32 v38, 32, v36
	v_subrev_nc_u32_e32 v36, 28, v38
	v_lshlrev_b64 v[36:37], v36, v[3:4]
	v_sub_nc_u32_e32 v37, 29, v38
	v_and_b32_e32 v36, 7, v36
; %bb.95:                               ;   in Loop: Header=BB273_10 Depth=1
	s_or_b32 exec_lo, exec_lo, s42
	v_lshlrev_b32_e32 v38, 8, v3
	v_lshl_add_u32 v37, v37, 10, 0x2000
	v_lshlrev_b32_e32 v36, 7, v36
	v_and_b32_e32 v38, 0x8000, v38
	v_and_b32_e32 v37, 0xfc00, v37
	v_or3_b32 v36, v38, v37, v36
.LBB273_96:                             ;   in Loop: Header=BB273_10 Depth=1
	s_or_b32 exec_lo, exec_lo, s41
.LBB273_97:                             ;   in Loop: Header=BB273_10 Depth=1
	s_or_b32 exec_lo, exec_lo, s40
.LBB273_98:                             ;   in Loop: Header=BB273_10 Depth=1
	s_or_b32 exec_lo, exec_lo, s3
	v_lshrrev_b16 v3, 8, v3
	s_mov_b32 s3, exec_lo
	v_cmpx_ne_u16_e32 0, v3
	s_cbranch_execz .LBB273_106
; %bb.99:                               ;   in Loop: Header=BB273_10 Depth=1
	v_bfrev_b32_e32 v35, 1
	s_mov_b32 s40, exec_lo
	v_cmpx_ne_u16_e32 0x80, v3
	s_cbranch_execz .LBB273_105
; %bb.100:                              ;   in Loop: Header=BB273_10 Depth=1
	v_and_b32_sdwa v38, v3, v20 dst_sel:DWORD dst_unused:UNUSED_PAD src0_sel:WORD_0 src1_sel:DWORD
	v_mov_b32_e32 v35, 0x7c010000
	s_mov_b32 s41, exec_lo
	v_cmpx_ne_u32_e32 0x7f, v38
	s_cbranch_execz .LBB273_104
; %bb.101:                              ;   in Loop: Header=BB273_10 Depth=1
	v_and_b32_sdwa v35, v3, v21 dst_sel:DWORD dst_unused:UNUSED_PAD src0_sel:WORD_0 src1_sel:DWORD
	v_lshrrev_b32_e32 v37, 3, v38
	s_mov_b32 s42, exec_lo
	v_cmpx_gt_u32_e32 8, v38
; %bb.102:                              ;   in Loop: Header=BB273_10 Depth=1
	v_ffbh_u32_e32 v35, v35
	v_min_u32_e32 v35, 32, v35
	v_subrev_nc_u32_e32 v37, 28, v35
	v_lshlrev_b64 v[38:39], v37, v[3:4]
	v_sub_nc_u32_e32 v37, 29, v35
	v_and_b32_e32 v35, 7, v38
; %bb.103:                              ;   in Loop: Header=BB273_10 Depth=1
	s_or_b32 exec_lo, exec_lo, s42
	v_lshlrev_b32_sdwa v3, v22, v3 dst_sel:DWORD dst_unused:UNUSED_PAD src0_sel:DWORD src1_sel:WORD_0
	v_lshl_add_u32 v37, v37, 10, 0x2000
	v_lshlrev_b32_e32 v35, 23, v35
	v_and_or_b32 v3, 0x8000, v3, v37
	v_lshl_or_b32 v35, v3, 16, v35
.LBB273_104:                            ;   in Loop: Header=BB273_10 Depth=1
	s_or_b32 exec_lo, exec_lo, s41
.LBB273_105:                            ;   in Loop: Header=BB273_10 Depth=1
	s_or_b32 exec_lo, exec_lo, s40
.LBB273_106:                            ;   in Loop: Header=BB273_10 Depth=1
	s_or_b32 exec_lo, exec_lo, s3
	global_load_ushort v38, v[9:10], off offset:384
	v_mov_b32_e32 v37, 0
	s_waitcnt vmcnt(0)
	v_and_b32_e32 v3, 0xffff, v38
	v_cmp_ne_u16_sdwa s2, v38, v4 src0_sel:BYTE_0 src1_sel:DWORD
	v_mov_b32_e32 v38, 0
	s_and_saveexec_b32 s3, s2
	s_cbranch_execz .LBB273_114
; %bb.107:                              ;   in Loop: Header=BB273_10 Depth=1
	v_cmp_ne_u16_sdwa s2, v3, v19 src0_sel:BYTE_0 src1_sel:DWORD
	v_mov_b32_e32 v38, 0x8000
	s_and_saveexec_b32 s40, s2
	s_cbranch_execz .LBB273_113
; %bb.108:                              ;   in Loop: Header=BB273_10 Depth=1
	v_and_b32_e32 v40, 0x7f, v3
	v_mov_b32_e32 v38, 0x7c01
	s_mov_b32 s41, exec_lo
	v_cmpx_ne_u32_e32 0x7f, v40
	s_cbranch_execz .LBB273_112
; %bb.109:                              ;   in Loop: Header=BB273_10 Depth=1
	v_and_b32_e32 v38, 7, v3
	v_lshrrev_b32_e32 v39, 3, v40
	s_mov_b32 s42, exec_lo
	v_cmpx_gt_u32_e32 8, v40
; %bb.110:                              ;   in Loop: Header=BB273_10 Depth=1
	v_ffbh_u32_e32 v38, v38
	v_min_u32_e32 v40, 32, v38
	v_subrev_nc_u32_e32 v38, 28, v40
	v_lshlrev_b64 v[38:39], v38, v[3:4]
	v_sub_nc_u32_e32 v39, 29, v40
	v_and_b32_e32 v38, 7, v38
; %bb.111:                              ;   in Loop: Header=BB273_10 Depth=1
	s_or_b32 exec_lo, exec_lo, s42
	v_lshlrev_b32_e32 v40, 8, v3
	v_lshl_add_u32 v39, v39, 10, 0x2000
	v_lshlrev_b32_e32 v38, 7, v38
	v_and_b32_e32 v40, 0x8000, v40
	v_and_b32_e32 v39, 0xfc00, v39
	v_or3_b32 v38, v40, v39, v38
.LBB273_112:                            ;   in Loop: Header=BB273_10 Depth=1
	s_or_b32 exec_lo, exec_lo, s41
.LBB273_113:                            ;   in Loop: Header=BB273_10 Depth=1
	s_or_b32 exec_lo, exec_lo, s40
.LBB273_114:                            ;   in Loop: Header=BB273_10 Depth=1
	s_or_b32 exec_lo, exec_lo, s3
	v_lshrrev_b16 v3, 8, v3
	s_mov_b32 s3, exec_lo
	v_cmpx_ne_u16_e32 0, v3
	s_cbranch_execz .LBB273_122
; %bb.115:                              ;   in Loop: Header=BB273_10 Depth=1
	v_bfrev_b32_e32 v37, 1
	s_mov_b32 s40, exec_lo
	v_cmpx_ne_u16_e32 0x80, v3
	s_cbranch_execz .LBB273_121
; %bb.116:                              ;   in Loop: Header=BB273_10 Depth=1
	v_and_b32_sdwa v40, v3, v20 dst_sel:DWORD dst_unused:UNUSED_PAD src0_sel:WORD_0 src1_sel:DWORD
	v_mov_b32_e32 v37, 0x7c010000
	s_mov_b32 s41, exec_lo
	v_cmpx_ne_u32_e32 0x7f, v40
	s_cbranch_execz .LBB273_120
; %bb.117:                              ;   in Loop: Header=BB273_10 Depth=1
	v_and_b32_sdwa v37, v3, v21 dst_sel:DWORD dst_unused:UNUSED_PAD src0_sel:WORD_0 src1_sel:DWORD
	v_lshrrev_b32_e32 v39, 3, v40
	s_mov_b32 s42, exec_lo
	v_cmpx_gt_u32_e32 8, v40
; %bb.118:                              ;   in Loop: Header=BB273_10 Depth=1
	v_ffbh_u32_e32 v37, v37
	v_min_u32_e32 v37, 32, v37
	v_subrev_nc_u32_e32 v39, 28, v37
	v_lshlrev_b64 v[40:41], v39, v[3:4]
	v_sub_nc_u32_e32 v39, 29, v37
	v_and_b32_e32 v37, 7, v40
; %bb.119:                              ;   in Loop: Header=BB273_10 Depth=1
	s_or_b32 exec_lo, exec_lo, s42
	v_lshlrev_b32_sdwa v3, v22, v3 dst_sel:DWORD dst_unused:UNUSED_PAD src0_sel:DWORD src1_sel:WORD_0
	v_lshl_add_u32 v39, v39, 10, 0x2000
	v_lshlrev_b32_e32 v37, 23, v37
	v_and_or_b32 v3, 0x8000, v3, v39
	v_lshl_or_b32 v37, v3, 16, v37
.LBB273_120:                            ;   in Loop: Header=BB273_10 Depth=1
	s_or_b32 exec_lo, exec_lo, s41
.LBB273_121:                            ;   in Loop: Header=BB273_10 Depth=1
	s_or_b32 exec_lo, exec_lo, s40
.LBB273_122:                            ;   in Loop: Header=BB273_10 Depth=1
	s_or_b32 exec_lo, exec_lo, s3
	global_load_ushort v40, v[9:10], off offset:392
	v_mov_b32_e32 v39, 0
	s_waitcnt vmcnt(0)
	v_and_b32_e32 v3, 0xffff, v40
	v_cmp_ne_u16_sdwa s2, v40, v4 src0_sel:BYTE_0 src1_sel:DWORD
	v_mov_b32_e32 v40, 0
	s_and_saveexec_b32 s3, s2
	s_cbranch_execz .LBB273_130
; %bb.123:                              ;   in Loop: Header=BB273_10 Depth=1
	v_cmp_ne_u16_sdwa s2, v3, v19 src0_sel:BYTE_0 src1_sel:DWORD
	v_mov_b32_e32 v40, 0x8000
	s_and_saveexec_b32 s40, s2
	s_cbranch_execz .LBB273_129
; %bb.124:                              ;   in Loop: Header=BB273_10 Depth=1
	v_and_b32_e32 v42, 0x7f, v3
	v_mov_b32_e32 v40, 0x7c01
	s_mov_b32 s41, exec_lo
	v_cmpx_ne_u32_e32 0x7f, v42
	s_cbranch_execz .LBB273_128
; %bb.125:                              ;   in Loop: Header=BB273_10 Depth=1
	v_and_b32_e32 v40, 7, v3
	v_lshrrev_b32_e32 v41, 3, v42
	s_mov_b32 s42, exec_lo
	v_cmpx_gt_u32_e32 8, v42
; %bb.126:                              ;   in Loop: Header=BB273_10 Depth=1
	v_ffbh_u32_e32 v40, v40
	v_min_u32_e32 v42, 32, v40
	v_subrev_nc_u32_e32 v40, 28, v42
	v_lshlrev_b64 v[40:41], v40, v[3:4]
	v_sub_nc_u32_e32 v41, 29, v42
	v_and_b32_e32 v40, 7, v40
; %bb.127:                              ;   in Loop: Header=BB273_10 Depth=1
	s_or_b32 exec_lo, exec_lo, s42
	v_lshlrev_b32_e32 v42, 8, v3
	v_lshl_add_u32 v41, v41, 10, 0x2000
	v_lshlrev_b32_e32 v40, 7, v40
	v_and_b32_e32 v42, 0x8000, v42
	v_and_b32_e32 v41, 0xfc00, v41
	v_or3_b32 v40, v42, v41, v40
.LBB273_128:                            ;   in Loop: Header=BB273_10 Depth=1
	s_or_b32 exec_lo, exec_lo, s41
.LBB273_129:                            ;   in Loop: Header=BB273_10 Depth=1
	s_or_b32 exec_lo, exec_lo, s40
.LBB273_130:                            ;   in Loop: Header=BB273_10 Depth=1
	s_or_b32 exec_lo, exec_lo, s3
	v_lshrrev_b16 v3, 8, v3
	s_mov_b32 s3, exec_lo
	v_cmpx_ne_u16_e32 0, v3
	s_cbranch_execz .LBB273_138
; %bb.131:                              ;   in Loop: Header=BB273_10 Depth=1
	v_bfrev_b32_e32 v39, 1
	s_mov_b32 s40, exec_lo
	v_cmpx_ne_u16_e32 0x80, v3
	s_cbranch_execz .LBB273_137
; %bb.132:                              ;   in Loop: Header=BB273_10 Depth=1
	v_and_b32_sdwa v42, v3, v20 dst_sel:DWORD dst_unused:UNUSED_PAD src0_sel:WORD_0 src1_sel:DWORD
	v_mov_b32_e32 v39, 0x7c010000
	s_mov_b32 s41, exec_lo
	v_cmpx_ne_u32_e32 0x7f, v42
	s_cbranch_execz .LBB273_136
; %bb.133:                              ;   in Loop: Header=BB273_10 Depth=1
	v_and_b32_sdwa v39, v3, v21 dst_sel:DWORD dst_unused:UNUSED_PAD src0_sel:WORD_0 src1_sel:DWORD
	v_lshrrev_b32_e32 v41, 3, v42
	s_mov_b32 s42, exec_lo
	v_cmpx_gt_u32_e32 8, v42
; %bb.134:                              ;   in Loop: Header=BB273_10 Depth=1
	v_ffbh_u32_e32 v39, v39
	v_min_u32_e32 v39, 32, v39
	v_subrev_nc_u32_e32 v41, 28, v39
	v_lshlrev_b64 v[42:43], v41, v[3:4]
	v_sub_nc_u32_e32 v41, 29, v39
	v_and_b32_e32 v39, 7, v42
; %bb.135:                              ;   in Loop: Header=BB273_10 Depth=1
	s_or_b32 exec_lo, exec_lo, s42
	v_lshlrev_b32_sdwa v3, v22, v3 dst_sel:DWORD dst_unused:UNUSED_PAD src0_sel:DWORD src1_sel:WORD_0
	v_lshl_add_u32 v41, v41, 10, 0x2000
	v_lshlrev_b32_e32 v39, 23, v39
	v_and_or_b32 v3, 0x8000, v3, v41
	v_lshl_or_b32 v39, v3, 16, v39
.LBB273_136:                            ;   in Loop: Header=BB273_10 Depth=1
	s_or_b32 exec_lo, exec_lo, s41
.LBB273_137:                            ;   in Loop: Header=BB273_10 Depth=1
	s_or_b32 exec_lo, exec_lo, s40
.LBB273_138:                            ;   in Loop: Header=BB273_10 Depth=1
	s_or_b32 exec_lo, exec_lo, s3
	global_load_ushort v42, v[9:10], off offset:512
	v_mov_b32_e32 v41, 0
	s_waitcnt vmcnt(0)
	v_and_b32_e32 v3, 0xffff, v42
	v_cmp_ne_u16_sdwa s2, v42, v4 src0_sel:BYTE_0 src1_sel:DWORD
	v_mov_b32_e32 v42, 0
	s_and_saveexec_b32 s3, s2
	s_cbranch_execz .LBB273_146
; %bb.139:                              ;   in Loop: Header=BB273_10 Depth=1
	v_cmp_ne_u16_sdwa s2, v3, v19 src0_sel:BYTE_0 src1_sel:DWORD
	v_mov_b32_e32 v42, 0x8000
	s_and_saveexec_b32 s40, s2
	s_cbranch_execz .LBB273_145
; %bb.140:                              ;   in Loop: Header=BB273_10 Depth=1
	v_and_b32_e32 v44, 0x7f, v3
	v_mov_b32_e32 v42, 0x7c01
	s_mov_b32 s41, exec_lo
	v_cmpx_ne_u32_e32 0x7f, v44
	s_cbranch_execz .LBB273_144
; %bb.141:                              ;   in Loop: Header=BB273_10 Depth=1
	v_and_b32_e32 v42, 7, v3
	v_lshrrev_b32_e32 v43, 3, v44
	s_mov_b32 s42, exec_lo
	v_cmpx_gt_u32_e32 8, v44
; %bb.142:                              ;   in Loop: Header=BB273_10 Depth=1
	v_ffbh_u32_e32 v42, v42
	v_min_u32_e32 v44, 32, v42
	v_subrev_nc_u32_e32 v42, 28, v44
	v_lshlrev_b64 v[42:43], v42, v[3:4]
	v_sub_nc_u32_e32 v43, 29, v44
	v_and_b32_e32 v42, 7, v42
; %bb.143:                              ;   in Loop: Header=BB273_10 Depth=1
	s_or_b32 exec_lo, exec_lo, s42
	v_lshlrev_b32_e32 v44, 8, v3
	v_lshl_add_u32 v43, v43, 10, 0x2000
	v_lshlrev_b32_e32 v42, 7, v42
	v_and_b32_e32 v44, 0x8000, v44
	v_and_b32_e32 v43, 0xfc00, v43
	v_or3_b32 v42, v44, v43, v42
.LBB273_144:                            ;   in Loop: Header=BB273_10 Depth=1
	s_or_b32 exec_lo, exec_lo, s41
.LBB273_145:                            ;   in Loop: Header=BB273_10 Depth=1
	s_or_b32 exec_lo, exec_lo, s40
.LBB273_146:                            ;   in Loop: Header=BB273_10 Depth=1
	s_or_b32 exec_lo, exec_lo, s3
	v_lshrrev_b16 v3, 8, v3
	s_mov_b32 s3, exec_lo
	v_cmpx_ne_u16_e32 0, v3
	s_cbranch_execz .LBB273_154
; %bb.147:                              ;   in Loop: Header=BB273_10 Depth=1
	v_bfrev_b32_e32 v41, 1
	s_mov_b32 s40, exec_lo
	v_cmpx_ne_u16_e32 0x80, v3
	s_cbranch_execz .LBB273_153
; %bb.148:                              ;   in Loop: Header=BB273_10 Depth=1
	v_and_b32_sdwa v44, v3, v20 dst_sel:DWORD dst_unused:UNUSED_PAD src0_sel:WORD_0 src1_sel:DWORD
	v_mov_b32_e32 v41, 0x7c010000
	s_mov_b32 s41, exec_lo
	v_cmpx_ne_u32_e32 0x7f, v44
	s_cbranch_execz .LBB273_152
; %bb.149:                              ;   in Loop: Header=BB273_10 Depth=1
	v_and_b32_sdwa v41, v3, v21 dst_sel:DWORD dst_unused:UNUSED_PAD src0_sel:WORD_0 src1_sel:DWORD
	v_lshrrev_b32_e32 v43, 3, v44
	s_mov_b32 s42, exec_lo
	v_cmpx_gt_u32_e32 8, v44
; %bb.150:                              ;   in Loop: Header=BB273_10 Depth=1
	v_ffbh_u32_e32 v41, v41
	v_min_u32_e32 v41, 32, v41
	v_subrev_nc_u32_e32 v43, 28, v41
	v_lshlrev_b64 v[44:45], v43, v[3:4]
	v_sub_nc_u32_e32 v43, 29, v41
	v_and_b32_e32 v41, 7, v44
; %bb.151:                              ;   in Loop: Header=BB273_10 Depth=1
	s_or_b32 exec_lo, exec_lo, s42
	v_lshlrev_b32_sdwa v3, v22, v3 dst_sel:DWORD dst_unused:UNUSED_PAD src0_sel:DWORD src1_sel:WORD_0
	v_lshl_add_u32 v43, v43, 10, 0x2000
	v_lshlrev_b32_e32 v41, 23, v41
	v_and_or_b32 v3, 0x8000, v3, v43
	v_lshl_or_b32 v41, v3, 16, v41
.LBB273_152:                            ;   in Loop: Header=BB273_10 Depth=1
	s_or_b32 exec_lo, exec_lo, s41
.LBB273_153:                            ;   in Loop: Header=BB273_10 Depth=1
	s_or_b32 exec_lo, exec_lo, s40
.LBB273_154:                            ;   in Loop: Header=BB273_10 Depth=1
	s_or_b32 exec_lo, exec_lo, s3
	global_load_ushort v44, v[9:10], off offset:520
	v_mov_b32_e32 v43, 0
	s_waitcnt vmcnt(0)
	v_and_b32_e32 v3, 0xffff, v44
	v_cmp_ne_u16_sdwa s2, v44, v4 src0_sel:BYTE_0 src1_sel:DWORD
	v_mov_b32_e32 v44, 0
	s_and_saveexec_b32 s3, s2
	s_cbranch_execz .LBB273_162
; %bb.155:                              ;   in Loop: Header=BB273_10 Depth=1
	v_cmp_ne_u16_sdwa s2, v3, v19 src0_sel:BYTE_0 src1_sel:DWORD
	v_mov_b32_e32 v44, 0x8000
	s_and_saveexec_b32 s40, s2
	s_cbranch_execz .LBB273_161
; %bb.156:                              ;   in Loop: Header=BB273_10 Depth=1
	v_and_b32_e32 v46, 0x7f, v3
	v_mov_b32_e32 v44, 0x7c01
	s_mov_b32 s41, exec_lo
	v_cmpx_ne_u32_e32 0x7f, v46
	s_cbranch_execz .LBB273_160
; %bb.157:                              ;   in Loop: Header=BB273_10 Depth=1
	v_and_b32_e32 v44, 7, v3
	v_lshrrev_b32_e32 v45, 3, v46
	s_mov_b32 s42, exec_lo
	v_cmpx_gt_u32_e32 8, v46
; %bb.158:                              ;   in Loop: Header=BB273_10 Depth=1
	v_ffbh_u32_e32 v44, v44
	v_min_u32_e32 v46, 32, v44
	v_subrev_nc_u32_e32 v44, 28, v46
	v_lshlrev_b64 v[44:45], v44, v[3:4]
	v_sub_nc_u32_e32 v45, 29, v46
	v_and_b32_e32 v44, 7, v44
; %bb.159:                              ;   in Loop: Header=BB273_10 Depth=1
	s_or_b32 exec_lo, exec_lo, s42
	v_lshlrev_b32_e32 v46, 8, v3
	v_lshl_add_u32 v45, v45, 10, 0x2000
	v_lshlrev_b32_e32 v44, 7, v44
	v_and_b32_e32 v46, 0x8000, v46
	v_and_b32_e32 v45, 0xfc00, v45
	v_or3_b32 v44, v46, v45, v44
.LBB273_160:                            ;   in Loop: Header=BB273_10 Depth=1
	s_or_b32 exec_lo, exec_lo, s41
.LBB273_161:                            ;   in Loop: Header=BB273_10 Depth=1
	s_or_b32 exec_lo, exec_lo, s40
.LBB273_162:                            ;   in Loop: Header=BB273_10 Depth=1
	s_or_b32 exec_lo, exec_lo, s3
	v_lshrrev_b16 v3, 8, v3
	s_mov_b32 s3, exec_lo
	v_cmpx_ne_u16_e32 0, v3
	s_cbranch_execz .LBB273_170
; %bb.163:                              ;   in Loop: Header=BB273_10 Depth=1
	v_bfrev_b32_e32 v43, 1
	s_mov_b32 s40, exec_lo
	v_cmpx_ne_u16_e32 0x80, v3
	s_cbranch_execz .LBB273_169
; %bb.164:                              ;   in Loop: Header=BB273_10 Depth=1
	v_and_b32_sdwa v46, v3, v20 dst_sel:DWORD dst_unused:UNUSED_PAD src0_sel:WORD_0 src1_sel:DWORD
	v_mov_b32_e32 v43, 0x7c010000
	s_mov_b32 s41, exec_lo
	v_cmpx_ne_u32_e32 0x7f, v46
	s_cbranch_execz .LBB273_168
; %bb.165:                              ;   in Loop: Header=BB273_10 Depth=1
	v_and_b32_sdwa v43, v3, v21 dst_sel:DWORD dst_unused:UNUSED_PAD src0_sel:WORD_0 src1_sel:DWORD
	v_lshrrev_b32_e32 v45, 3, v46
	s_mov_b32 s42, exec_lo
	v_cmpx_gt_u32_e32 8, v46
; %bb.166:                              ;   in Loop: Header=BB273_10 Depth=1
	v_ffbh_u32_e32 v43, v43
	v_min_u32_e32 v43, 32, v43
	v_subrev_nc_u32_e32 v45, 28, v43
	v_lshlrev_b64 v[46:47], v45, v[3:4]
	v_sub_nc_u32_e32 v45, 29, v43
	v_and_b32_e32 v43, 7, v46
; %bb.167:                              ;   in Loop: Header=BB273_10 Depth=1
	s_or_b32 exec_lo, exec_lo, s42
	v_lshlrev_b32_sdwa v3, v22, v3 dst_sel:DWORD dst_unused:UNUSED_PAD src0_sel:DWORD src1_sel:WORD_0
	v_lshl_add_u32 v45, v45, 10, 0x2000
	v_lshlrev_b32_e32 v43, 23, v43
	v_and_or_b32 v3, 0x8000, v3, v45
	v_lshl_or_b32 v43, v3, 16, v43
.LBB273_168:                            ;   in Loop: Header=BB273_10 Depth=1
	s_or_b32 exec_lo, exec_lo, s41
.LBB273_169:                            ;   in Loop: Header=BB273_10 Depth=1
	s_or_b32 exec_lo, exec_lo, s40
.LBB273_170:                            ;   in Loop: Header=BB273_10 Depth=1
	s_or_b32 exec_lo, exec_lo, s3
	global_load_ushort v46, v[9:10], off offset:640
	v_mov_b32_e32 v45, 0
	s_waitcnt vmcnt(0)
	v_and_b32_e32 v3, 0xffff, v46
	v_cmp_ne_u16_sdwa s2, v46, v4 src0_sel:BYTE_0 src1_sel:DWORD
	v_mov_b32_e32 v46, 0
	s_and_saveexec_b32 s3, s2
	s_cbranch_execz .LBB273_178
; %bb.171:                              ;   in Loop: Header=BB273_10 Depth=1
	v_cmp_ne_u16_sdwa s2, v3, v19 src0_sel:BYTE_0 src1_sel:DWORD
	v_mov_b32_e32 v46, 0x8000
	s_and_saveexec_b32 s40, s2
	s_cbranch_execz .LBB273_177
; %bb.172:                              ;   in Loop: Header=BB273_10 Depth=1
	v_and_b32_e32 v48, 0x7f, v3
	v_mov_b32_e32 v46, 0x7c01
	s_mov_b32 s41, exec_lo
	v_cmpx_ne_u32_e32 0x7f, v48
	s_cbranch_execz .LBB273_176
; %bb.173:                              ;   in Loop: Header=BB273_10 Depth=1
	v_and_b32_e32 v46, 7, v3
	v_lshrrev_b32_e32 v47, 3, v48
	s_mov_b32 s42, exec_lo
	v_cmpx_gt_u32_e32 8, v48
; %bb.174:                              ;   in Loop: Header=BB273_10 Depth=1
	v_ffbh_u32_e32 v46, v46
	v_min_u32_e32 v48, 32, v46
	v_subrev_nc_u32_e32 v46, 28, v48
	v_lshlrev_b64 v[46:47], v46, v[3:4]
	v_sub_nc_u32_e32 v47, 29, v48
	v_and_b32_e32 v46, 7, v46
; %bb.175:                              ;   in Loop: Header=BB273_10 Depth=1
	s_or_b32 exec_lo, exec_lo, s42
	v_lshlrev_b32_e32 v48, 8, v3
	v_lshl_add_u32 v47, v47, 10, 0x2000
	v_lshlrev_b32_e32 v46, 7, v46
	v_and_b32_e32 v48, 0x8000, v48
	v_and_b32_e32 v47, 0xfc00, v47
	v_or3_b32 v46, v48, v47, v46
.LBB273_176:                            ;   in Loop: Header=BB273_10 Depth=1
	s_or_b32 exec_lo, exec_lo, s41
.LBB273_177:                            ;   in Loop: Header=BB273_10 Depth=1
	s_or_b32 exec_lo, exec_lo, s40
.LBB273_178:                            ;   in Loop: Header=BB273_10 Depth=1
	s_or_b32 exec_lo, exec_lo, s3
	v_lshrrev_b16 v3, 8, v3
	s_mov_b32 s3, exec_lo
	v_cmpx_ne_u16_e32 0, v3
	s_cbranch_execz .LBB273_186
; %bb.179:                              ;   in Loop: Header=BB273_10 Depth=1
	v_bfrev_b32_e32 v45, 1
	s_mov_b32 s40, exec_lo
	v_cmpx_ne_u16_e32 0x80, v3
	s_cbranch_execz .LBB273_185
; %bb.180:                              ;   in Loop: Header=BB273_10 Depth=1
	v_and_b32_sdwa v48, v3, v20 dst_sel:DWORD dst_unused:UNUSED_PAD src0_sel:WORD_0 src1_sel:DWORD
	v_mov_b32_e32 v45, 0x7c010000
	s_mov_b32 s41, exec_lo
	v_cmpx_ne_u32_e32 0x7f, v48
	s_cbranch_execz .LBB273_184
; %bb.181:                              ;   in Loop: Header=BB273_10 Depth=1
	v_and_b32_sdwa v45, v3, v21 dst_sel:DWORD dst_unused:UNUSED_PAD src0_sel:WORD_0 src1_sel:DWORD
	v_lshrrev_b32_e32 v47, 3, v48
	s_mov_b32 s42, exec_lo
	v_cmpx_gt_u32_e32 8, v48
; %bb.182:                              ;   in Loop: Header=BB273_10 Depth=1
	v_ffbh_u32_e32 v45, v45
	v_min_u32_e32 v45, 32, v45
	v_subrev_nc_u32_e32 v47, 28, v45
	v_lshlrev_b64 v[48:49], v47, v[3:4]
	v_sub_nc_u32_e32 v47, 29, v45
	v_and_b32_e32 v45, 7, v48
; %bb.183:                              ;   in Loop: Header=BB273_10 Depth=1
	s_or_b32 exec_lo, exec_lo, s42
	v_lshlrev_b32_sdwa v3, v22, v3 dst_sel:DWORD dst_unused:UNUSED_PAD src0_sel:DWORD src1_sel:WORD_0
	v_lshl_add_u32 v47, v47, 10, 0x2000
	v_lshlrev_b32_e32 v45, 23, v45
	v_and_or_b32 v3, 0x8000, v3, v47
	v_lshl_or_b32 v45, v3, 16, v45
.LBB273_184:                            ;   in Loop: Header=BB273_10 Depth=1
	s_or_b32 exec_lo, exec_lo, s41
.LBB273_185:                            ;   in Loop: Header=BB273_10 Depth=1
	s_or_b32 exec_lo, exec_lo, s40
.LBB273_186:                            ;   in Loop: Header=BB273_10 Depth=1
	s_or_b32 exec_lo, exec_lo, s3
	global_load_ushort v10, v[9:10], off offset:648
	v_mov_b32_e32 v9, 0
	s_waitcnt vmcnt(0)
	v_and_b32_e32 v3, 0xffff, v10
	v_cmp_ne_u16_sdwa s2, v10, v4 src0_sel:BYTE_0 src1_sel:DWORD
	v_mov_b32_e32 v10, 0
	s_and_saveexec_b32 s3, s2
	s_cbranch_execz .LBB273_194
; %bb.187:                              ;   in Loop: Header=BB273_10 Depth=1
	v_cmp_ne_u16_sdwa s2, v3, v19 src0_sel:BYTE_0 src1_sel:DWORD
	v_mov_b32_e32 v10, 0x8000
	s_and_saveexec_b32 s40, s2
	s_cbranch_execz .LBB273_193
; %bb.188:                              ;   in Loop: Header=BB273_10 Depth=1
	v_and_b32_e32 v48, 0x7f, v3
	v_mov_b32_e32 v10, 0x7c01
	s_mov_b32 s41, exec_lo
	v_cmpx_ne_u32_e32 0x7f, v48
	s_cbranch_execz .LBB273_192
; %bb.189:                              ;   in Loop: Header=BB273_10 Depth=1
	v_and_b32_e32 v10, 7, v3
	v_lshrrev_b32_e32 v47, 3, v48
	s_mov_b32 s42, exec_lo
	v_cmpx_gt_u32_e32 8, v48
; %bb.190:                              ;   in Loop: Header=BB273_10 Depth=1
	v_ffbh_u32_e32 v10, v10
	v_min_u32_e32 v10, 32, v10
	v_subrev_nc_u32_e32 v47, 28, v10
	v_lshlrev_b64 v[48:49], v47, v[3:4]
	v_sub_nc_u32_e32 v47, 29, v10
	v_and_b32_e32 v10, 7, v48
; %bb.191:                              ;   in Loop: Header=BB273_10 Depth=1
	s_or_b32 exec_lo, exec_lo, s42
	v_lshlrev_b32_e32 v48, 8, v3
	v_lshl_add_u32 v47, v47, 10, 0x2000
	v_lshlrev_b32_e32 v10, 7, v10
	v_and_b32_e32 v48, 0x8000, v48
	v_and_b32_e32 v47, 0xfc00, v47
	v_or3_b32 v10, v48, v47, v10
.LBB273_192:                            ;   in Loop: Header=BB273_10 Depth=1
	s_or_b32 exec_lo, exec_lo, s41
.LBB273_193:                            ;   in Loop: Header=BB273_10 Depth=1
	s_or_b32 exec_lo, exec_lo, s40
.LBB273_194:                            ;   in Loop: Header=BB273_10 Depth=1
	s_or_b32 exec_lo, exec_lo, s3
	v_lshrrev_b16 v3, 8, v3
	s_mov_b32 s3, exec_lo
	v_cmpx_ne_u16_e32 0, v3
	s_cbranch_execz .LBB273_202
; %bb.195:                              ;   in Loop: Header=BB273_10 Depth=1
	v_bfrev_b32_e32 v9, 1
	s_mov_b32 s40, exec_lo
	v_cmpx_ne_u16_e32 0x80, v3
	s_cbranch_execz .LBB273_201
; %bb.196:                              ;   in Loop: Header=BB273_10 Depth=1
	v_and_b32_sdwa v48, v3, v20 dst_sel:DWORD dst_unused:UNUSED_PAD src0_sel:WORD_0 src1_sel:DWORD
	v_mov_b32_e32 v9, 0x7c010000
	s_mov_b32 s41, exec_lo
	v_cmpx_ne_u32_e32 0x7f, v48
	s_cbranch_execz .LBB273_200
; %bb.197:                              ;   in Loop: Header=BB273_10 Depth=1
	v_and_b32_sdwa v9, v3, v21 dst_sel:DWORD dst_unused:UNUSED_PAD src0_sel:WORD_0 src1_sel:DWORD
	v_lshrrev_b32_e32 v47, 3, v48
	s_mov_b32 s42, exec_lo
	v_cmpx_gt_u32_e32 8, v48
; %bb.198:                              ;   in Loop: Header=BB273_10 Depth=1
	v_ffbh_u32_e32 v9, v9
	v_min_u32_e32 v9, 32, v9
	v_subrev_nc_u32_e32 v47, 28, v9
	v_lshlrev_b64 v[48:49], v47, v[3:4]
	v_sub_nc_u32_e32 v47, 29, v9
	v_and_b32_e32 v9, 7, v48
; %bb.199:                              ;   in Loop: Header=BB273_10 Depth=1
	s_or_b32 exec_lo, exec_lo, s42
	v_lshlrev_b32_sdwa v3, v22, v3 dst_sel:DWORD dst_unused:UNUSED_PAD src0_sel:DWORD src1_sel:WORD_0
	v_lshl_add_u32 v47, v47, 10, 0x2000
	v_lshlrev_b32_e32 v9, 23, v9
	v_and_or_b32 v3, 0x8000, v3, v47
	v_lshl_or_b32 v9, v3, 16, v9
.LBB273_200:                            ;   in Loop: Header=BB273_10 Depth=1
	s_or_b32 exec_lo, exec_lo, s41
.LBB273_201:                            ;   in Loop: Header=BB273_10 Depth=1
	s_or_b32 exec_lo, exec_lo, s40
.LBB273_202:                            ;   in Loop: Header=BB273_10 Depth=1
	s_or_b32 exec_lo, exec_lo, s3
	ds_read_b32 v3, v16
	v_or_b32_e32 v25, v26, v25
	v_fma_mixlo_f16 v26, v24, v26, 0 op_sel:[0,1,0] op_sel_hi:[0,1,0]
	v_or_b32_e32 v28, v27, v28
	v_fma_mixlo_f16 v27, v24, v27, 0 op_sel:[0,1,0] op_sel_hi:[0,1,0]
	v_or_b32_e32 v30, v29, v30
	v_fma_mixlo_f16 v25, v24, v25, 0 op_sel_hi:[0,1,0]
	v_and_b32_e32 v50, 0xffff, v26
	v_fma_mixlo_f16 v28, v24, v28, 0 op_sel_hi:[0,1,0]
	v_and_b32_e32 v51, 0xffff, v27
	;; [unrolled: 2-line block ×3, first 2 shown]
	v_fma_mixlo_f16 v29, v24, v29, 0 op_sel:[0,1,0] op_sel_hi:[0,1,0]
	v_or_b32_e32 v32, v31, v32
	v_fma_mixlo_f16 v31, v24, v31, 0 op_sel:[0,1,0] op_sel_hi:[0,1,0]
	v_and_b32_e32 v52, 0xffff, v30
	v_or_b32_e32 v34, v33, v34
	v_and_b32_e32 v53, 0xffff, v29
	v_fma_mixlo_f16 v32, v24, v32, 0 op_sel_hi:[0,1,0]
	v_and_b32_e32 v55, 0xffff, v31
	s_waitcnt lgkmcnt(0)
	v_and_b32_e32 v47, 0xffff, v3
	v_lshrrev_b32_e32 v48, 16, v3
	;;#ASMSTART
	v_cvt_f32_f16 v3, v47;
	;;#ASMEND
	;;#ASMSTART
	v_cvt_f32_f16 v25, v48;
	;;#ASMEND
	;; [unrolled: 3-line block ×4, first 2 shown]
	ds_read_b32 v48, v16 offset:4
	v_and_b32_e32 v50, 0xffff, v28
	v_and_b32_e32 v54, 0xffff, v32
	v_fma_mixlo_f16 v34, v24, v34, 0 op_sel_hi:[0,1,0]
	v_fma_mixlo_f16 v33, v24, v33, 0 op_sel:[0,1,0] op_sel_hi:[0,1,0]
	v_or_b32_e32 v36, v35, v36
	v_fma_mixlo_f16 v35, v24, v35, 0 op_sel:[0,1,0] op_sel_hi:[0,1,0]
	v_or_b32_e32 v38, v37, v38
	v_and_b32_e32 v56, 0xffff, v34
	v_and_b32_e32 v57, 0xffff, v33
	v_fma_mixlo_f16 v36, v24, v36, 0 op_sel_hi:[0,1,0]
	v_and_b32_e32 v59, 0xffff, v35
	v_fma_mixlo_f16 v38, v24, v38, 0 op_sel_hi:[0,1,0]
	v_fma_mixlo_f16 v37, v24, v37, 0 op_sel:[0,1,0] op_sel_hi:[0,1,0]
	v_or_b32_e32 v40, v39, v40
	v_and_b32_e32 v58, 0xffff, v36
	v_fma_mixlo_f16 v39, v24, v39, 0 op_sel:[0,1,0] op_sel_hi:[0,1,0]
	v_and_b32_e32 v60, 0xffff, v38
	v_and_b32_e32 v61, 0xffff, v37
	v_fma_mixlo_f16 v40, v24, v40, 0 op_sel_hi:[0,1,0]
	s_waitcnt lgkmcnt(0)
	v_and_b32_e32 v49, 0xffff, v48
	v_lshrrev_b32_e32 v48, 16, v48
	;;#ASMSTART
	v_cvt_f32_f16 v27, v49;
	;;#ASMEND
	;;#ASMSTART
	v_cvt_f32_f16 v28, v48;
	;;#ASMEND
	;; [unrolled: 3-line block ×4, first 2 shown]
	ds_read_b32 v50, v16 offset:8
	v_and_b32_e32 v62, 0xffff, v40
	v_and_b32_e32 v63, 0xffff, v39
	v_or_b32_e32 v42, v41, v42
	v_fma_mixlo_f16 v41, v24, v41, 0 op_sel:[0,1,0] op_sel_hi:[0,1,0]
	v_mul_f32_e32 v27, v27, v48
	v_mul_f32_e32 v28, v28, v49
	v_or_b32_e32 v44, v43, v44
	v_fma_mixlo_f16 v42, v24, v42, 0 op_sel_hi:[0,1,0]
	v_and_b32_e32 v65, 0xffff, v41
	v_fmac_f32_e32 v27, v3, v26
	v_fmac_f32_e32 v28, v25, v47
	v_fma_mixlo_f16 v43, v24, v43, 0 op_sel:[0,1,0] op_sel_hi:[0,1,0]
	v_and_b32_e32 v64, 0xffff, v42
	v_fma_mixlo_f16 v44, v24, v44, 0 op_sel_hi:[0,1,0]
	v_or_b32_e32 v3, v45, v46
	v_fma_mixlo_f16 v25, v24, v45, 0 op_sel:[0,1,0] op_sel_hi:[0,1,0]
	v_or_b32_e32 v10, v9, v10
	v_fma_mixlo_f16 v9, v24, v9, 0 op_sel:[0,1,0] op_sel_hi:[0,1,0]
	v_and_b32_e32 v66, 0xffff, v44
	s_waitcnt lgkmcnt(0)
	v_and_b32_e32 v51, 0xffff, v50
	v_lshrrev_b32_e32 v50, 16, v50
	;;#ASMSTART
	v_cvt_f32_f16 v29, v51;
	;;#ASMEND
	;;#ASMSTART
	v_cvt_f32_f16 v30, v50;
	;;#ASMEND
	;; [unrolled: 3-line block ×4, first 2 shown]
	ds_read_b32 v52, v16 offset:12
	v_fmac_f32_e32 v27, v29, v50
	v_fmac_f32_e32 v28, v30, v51
	v_fma_mixlo_f16 v3, v24, v3, 0 op_sel_hi:[0,1,0]
	v_and_b32_e32 v29, 0xffff, v25
	v_fma_mixlo_f16 v10, v24, v10, 0 op_sel_hi:[0,1,0]
	v_and_b32_e32 v30, 0xffff, v3
	s_waitcnt lgkmcnt(0)
	v_and_b32_e32 v53, 0xffff, v52
	v_lshrrev_b32_e32 v52, 16, v52
	;;#ASMSTART
	v_cvt_f32_f16 v31, v53;
	;;#ASMEND
	;;#ASMSTART
	v_cvt_f32_f16 v32, v52;
	;;#ASMEND
	;; [unrolled: 3-line block ×4, first 2 shown]
	ds_read_b32 v54, v16 offset:16
	v_fmac_f32_e32 v27, v31, v52
	v_fmac_f32_e32 v28, v32, v53
	v_xor_b32_e32 v31, 2, v13
	v_and_b32_e32 v32, 0xffff, v9
	v_cmp_gt_i32_e64 s2, 32, v31
	v_cndmask_b32_e64 v9, v13, v31, s2
	v_and_b32_e32 v31, 0xffff, v10
	s_waitcnt lgkmcnt(0)
	v_and_b32_e32 v55, 0xffff, v54
	v_lshrrev_b32_e32 v54, 16, v54
	;;#ASMSTART
	v_cvt_f32_f16 v33, v55;
	;;#ASMEND
	;;#ASMSTART
	v_cvt_f32_f16 v34, v54;
	;;#ASMEND
	;;#ASMSTART
	v_cvt_f32_f16 v54, v56;
	;;#ASMEND
	;;#ASMSTART
	v_cvt_f32_f16 v55, v57;
	;;#ASMEND
	ds_read_b32 v56, v16 offset:20
	v_fmac_f32_e32 v27, v33, v54
	v_fmac_f32_e32 v28, v34, v55
	s_waitcnt lgkmcnt(0)
	v_and_b32_e32 v57, 0xffff, v56
	v_lshrrev_b32_e32 v56, 16, v56
	;;#ASMSTART
	v_cvt_f32_f16 v35, v57;
	;;#ASMEND
	;;#ASMSTART
	v_cvt_f32_f16 v36, v56;
	;;#ASMEND
	;;#ASMSTART
	v_cvt_f32_f16 v56, v58;
	;;#ASMEND
	;;#ASMSTART
	v_cvt_f32_f16 v57, v59;
	;;#ASMEND
	ds_read_b32 v58, v16 offset:24
	v_fmac_f32_e32 v27, v35, v56
	v_fmac_f32_e32 v28, v36, v57
	;; [unrolled: 18-line block ×4, first 2 shown]
	s_waitcnt lgkmcnt(0)
	v_and_b32_e32 v63, 0xffff, v62
	v_lshrrev_b32_e32 v62, 16, v62
	;;#ASMSTART
	v_cvt_f32_f16 v41, v63;
	;;#ASMEND
	;;#ASMSTART
	v_cvt_f32_f16 v42, v62;
	;;#ASMEND
	;; [unrolled: 3-line block ×4, first 2 shown]
	ds_read_b32 v64, v16 offset:36
	v_and_b32_e32 v65, 0xffff, v43
	v_fmac_f32_e32 v27, v41, v62
	v_fmac_f32_e32 v28, v42, v63
	s_waitcnt lgkmcnt(0)
	v_and_b32_e32 v43, 0xffff, v64
	v_lshrrev_b32_e32 v64, 16, v64
	;;#ASMSTART
	v_cvt_f32_f16 v43, v43;
	;;#ASMEND
	;;#ASMSTART
	v_cvt_f32_f16 v44, v64;
	;;#ASMEND
	;; [unrolled: 3-line block ×4, first 2 shown]
	ds_read_b32 v64, v16 offset:40
	v_fmac_f32_e32 v27, v43, v48
	v_fmac_f32_e32 v28, v44, v49
	s_waitcnt lgkmcnt(0)
	v_and_b32_e32 v25, 0xffff, v64
	v_lshrrev_b32_e32 v26, 16, v64
	;;#ASMSTART
	v_cvt_f32_f16 v3, v25;
	;;#ASMEND
	;;#ASMSTART
	v_cvt_f32_f16 v25, v26;
	;;#ASMEND
	;; [unrolled: 3-line block ×4, first 2 shown]
	ds_read_b32 v30, v16 offset:44
	v_fmac_f32_e32 v27, v3, v26
	v_fmac_f32_e32 v28, v25, v29
	s_waitcnt lgkmcnt(0)
	v_and_b32_e32 v24, 0xffff, v30
	v_lshrrev_b32_e32 v30, 16, v30
	;;#ASMSTART
	v_cvt_f32_f16 v3, v24;
	;;#ASMEND
	;;#ASMSTART
	v_cvt_f32_f16 v10, v30;
	;;#ASMEND
	;; [unrolled: 3-line block ×4, first 2 shown]
	v_fmac_f32_e32 v27, v3, v24
	v_fmac_f32_e32 v28, v10, v25
	v_lshlrev_b32_e32 v3, 2, v9
	v_xor_b32_e32 v10, 1, v13
	v_add_f32_e32 v9, v27, v28
	v_cmp_gt_i32_e64 s2, 32, v10
	ds_bpermute_b32 v3, v3, v9
	v_cndmask_b32_e64 v10, v13, v10, s2
	s_waitcnt lgkmcnt(0)
	v_add_f32_e32 v3, v9, v3
	v_lshlrev_b32_e32 v9, 2, v10
	ds_bpermute_b32 v9, v9, v3
	s_and_saveexec_b32 s3, vcc_lo
	s_cbranch_execz .LBB273_9
; %bb.203:                              ;   in Loop: Header=BB273_10 Depth=1
	v_add_nc_u32_e32 v10, s4, v17
	s_waitcnt lgkmcnt(0)
	v_add_f32_e32 v3, v3, v9
	v_cmp_gt_i32_e64 s2, s27, v17
	v_cvt_f32_i32_e32 v10, v10
	v_mul_f32_e32 v10, s36, v10
	v_cndmask_b32_e64 v9, 0, v10, s1
	v_max_f32_e32 v10, v14, v14
	v_fmac_f32_e32 v9, s37, v3
	v_max_f32_e32 v3, v10, v9
	v_cndmask_b32_e64 v9, 0, v9, s2
	v_cndmask_b32_e64 v14, v14, v3, s2
	ds_write_b32 v18, v9
	s_branch .LBB273_9
.LBB273_204:
	s_or_b32 exec_lo, exec_lo, s5
.LBB273_205:
	s_or_b32 exec_lo, exec_lo, s38
	v_xor_b32_e32 v3, 16, v13
	v_xor_b32_e32 v6, 8, v13
	v_max_f32_e32 v7, v14, v14
	v_xor_b32_e32 v8, 4, v13
	v_cmp_lt_i32_e32 vcc_lo, v3, v15
	v_cndmask_b32_e32 v3, v13, v3, vcc_lo
	v_cmp_lt_i32_e32 vcc_lo, v6, v15
	v_lshlrev_b32_e32 v5, 2, v3
	v_cndmask_b32_e32 v6, v13, v6, vcc_lo
	v_cmp_lt_i32_e32 vcc_lo, v8, v15
	ds_bpermute_b32 v3, v5, v14
	v_lshlrev_b32_e32 v6, 2, v6
	v_cndmask_b32_e32 v8, v13, v8, vcc_lo
	v_and_b32_e32 v14, 31, v0
	s_waitcnt lgkmcnt(0)
	v_lshlrev_b32_e32 v9, 2, v8
	v_cmp_eq_u32_e32 vcc_lo, 0, v14
	v_max_f32_e32 v3, v3, v3
	v_max_f32_e32 v3, v7, v3
	ds_bpermute_b32 v7, v6, v3
	s_waitcnt lgkmcnt(0)
	v_max_f32_e32 v7, v7, v7
	v_max_f32_e32 v3, v3, v7
	v_lshlrev_b32_e32 v7, 2, v12
	ds_bpermute_b32 v8, v9, v3
	s_and_saveexec_b32 s1, vcc_lo
	s_cbranch_execz .LBB273_207
; %bb.206:
	s_waitcnt lgkmcnt(0)
	v_max_f32_e32 v8, v8, v8
	v_max_f32_e32 v3, v3, v3
	;; [unrolled: 1-line block ×3, first 2 shown]
	ds_write_b32 v7, v3 offset:192
.LBB273_207:
	s_or_b32 exec_lo, exec_lo, s1
	v_cmp_gt_u32_e64 s1, 4, v14
	v_mov_b32_e32 v3, 0xff7fffff
	s_waitcnt lgkmcnt(0)
	v_lshlrev_b32_e32 v8, 2, v14
	s_barrier
	buffer_gl0_inv
	s_and_saveexec_b32 s2, s1
; %bb.208:
	ds_read_b32 v3, v8 offset:192
; %bb.209:
	s_or_b32 exec_lo, exec_lo, s2
	v_xor_b32_e32 v10, 2, v13
	v_xor_b32_e32 v17, 1, v13
	v_lshlrev_b32_e32 v4, 2, v4
	v_cmp_lt_i32_e64 s2, v10, v15
	v_cndmask_b32_e64 v10, v13, v10, s2
	v_cmp_lt_i32_e64 s2, v17, v15
	v_lshlrev_b32_e32 v10, 2, v10
	v_cndmask_b32_e64 v15, v13, v17, s2
	s_sub_i32 s2, s11, s19
	s_lshl_b32 s2, s2, 3
	s_waitcnt lgkmcnt(0)
	ds_bpermute_b32 v16, v10, v3
	v_max_f32_e32 v3, v3, v3
	v_lshlrev_b32_e32 v15, 2, v15
	s_add_i32 s2, s2, s33
	s_min_i32 s2, s2, s27
	s_sub_i32 s4, s2, s33
	v_cmp_gt_i32_e64 s2, s4, v0
	s_waitcnt lgkmcnt(0)
	v_max_f32_e32 v16, v16, v16
	v_max_f32_e32 v3, v3, v16
	ds_bpermute_b32 v16, v15, v3
	s_waitcnt lgkmcnt(0)
	v_max_f32_e32 v16, v16, v16
	v_max_f32_e32 v3, v3, v16
	v_mov_b32_e32 v16, 0
	ds_bpermute_b32 v3, v4, v3
	v_lshl_add_u32 v4, v0, 2, 0xe0
	s_and_saveexec_b32 s5, s2
	s_cbranch_execz .LBB273_213
; %bb.210:
	v_lshl_add_u32 v17, v0, 2, 0xe0
	v_mov_b32_e32 v16, 0
	v_mov_b32_e32 v18, v0
	s_mov_b32 s12, 0
	.p2align	6
.LBB273_211:                            ; =>This Inner Loop Header: Depth=1
	ds_read_b32 v19, v17
	v_add_nc_u32_e32 v18, 0x80, v18
	v_cmp_le_i32_e64 s3, s4, v18
	s_or_b32 s12, s3, s12
	s_waitcnt lgkmcnt(0)
	v_sub_f32_e32 v19, v19, v3
	v_mul_f32_e32 v19, 0x3fb8aa3b, v19
	v_exp_f32_e32 v19, v19
	ds_write_b32 v17, v19
	v_add_f32_e32 v16, v16, v19
	v_add_nc_u32_e32 v17, 0x200, v17
	s_andn2_b32 exec_lo, exec_lo, s12
	s_cbranch_execnz .LBB273_211
; %bb.212:
	s_or_b32 exec_lo, exec_lo, s12
.LBB273_213:
	s_or_b32 exec_lo, exec_lo, s5
	ds_bpermute_b32 v5, v5, v16
	s_waitcnt lgkmcnt(0)
	v_add_f32_e32 v5, v16, v5
	ds_bpermute_b32 v6, v6, v5
	s_waitcnt lgkmcnt(0)
	v_add_f32_e32 v5, v5, v6
	;; [unrolled: 3-line block ×5, first 2 shown]
	s_and_saveexec_b32 s3, vcc_lo
; %bb.214:
	ds_write_b32 v7, v5 offset:208
; %bb.215:
	s_or_b32 exec_lo, exec_lo, s3
	s_waitcnt lgkmcnt(0)
	s_barrier
	buffer_gl0_inv
	s_and_saveexec_b32 s3, s1
; %bb.216:
	ds_read_b32 v5, v8 offset:208
; %bb.217:
	s_or_b32 exec_lo, exec_lo, s3
	s_waitcnt lgkmcnt(0)
	ds_bpermute_b32 v6, v10, v5
	v_lshlrev_b32_e32 v7, 2, v13
	s_waitcnt lgkmcnt(0)
	v_add_f32_e32 v5, v5, v6
	ds_bpermute_b32 v6, v15, v5
	s_waitcnt lgkmcnt(0)
	v_add_f32_e32 v5, v5, v6
	v_and_b32_e32 v6, 0xffffff80, v7
	ds_bpermute_b32 v5, v6, v5
	s_and_saveexec_b32 s1, s2
	s_cbranch_execz .LBB273_220
; %bb.218:
	s_waitcnt lgkmcnt(0)
	v_add_f32_e32 v6, 0x358637bd, v5
	s_mov_b32 s2, 0
	v_div_scale_f32 v7, null, v6, v6, 1.0
	v_div_scale_f32 v10, vcc_lo, 1.0, v6, 1.0
	v_rcp_f32_e32 v8, v7
	v_fma_f32 v9, -v7, v8, 1.0
	v_fmac_f32_e32 v8, v9, v8
	v_mul_f32_e32 v9, v10, v8
	v_fma_f32 v13, -v7, v9, v10
	v_fmac_f32_e32 v9, v13, v8
	v_fma_f32 v7, -v7, v9, v10
	v_div_fmas_f32 v7, v7, v8, v9
	v_div_fixup_f32 v6, v7, v6, 1.0
	v_mov_b32_e32 v7, v0
.LBB273_219:                            ; =>This Inner Loop Header: Depth=1
	ds_read_b32 v8, v4
	v_add_nc_u32_e32 v7, 0x80, v7
	v_cmp_le_i32_e32 vcc_lo, s4, v7
	s_or_b32 s2, vcc_lo, s2
	s_waitcnt lgkmcnt(0)
	v_mul_f32_e32 v8, v6, v8
	ds_write_b32 v4, v8
	v_add_nc_u32_e32 v4, 0x200, v4
	s_andn2_b32 exec_lo, exec_lo, s2
	s_cbranch_execnz .LBB273_219
.LBB273_220:
	s_or_b32 exec_lo, exec_lo, s1
	s_mul_i32 s1, s7, s26
	s_waitcnt lgkmcnt(0)
	s_mul_i32 s2, s1, s9
	s_mov_b32 s1, exec_lo
	s_barrier
	buffer_gl0_inv
	v_cmpx_eq_u32_e32 0, v0
	s_cbranch_execz .LBB273_222
; %bb.221:
	s_ashr_i32 s3, s2, 31
	s_mul_i32 s12, s7, s6
	s_lshl_b64 s[4:5], s[2:3], 2
	v_mov_b32_e32 v4, 0
	s_add_u32 s3, s22, s4
	s_addc_u32 s6, s23, s5
	s_ashr_i32 s13, s12, 31
	s_lshl_b64 s[12:13], s[12:13], 2
	s_add_u32 s3, s3, s12
	s_addc_u32 s6, s6, s13
	s_ashr_i32 s9, s8, 31
	s_lshl_b64 s[22:23], s[8:9], 2
	s_add_u32 s36, s3, s22
	s_addc_u32 s37, s6, s23
	s_add_u32 s3, s20, s4
	s_addc_u32 s4, s21, s5
	;; [unrolled: 2-line block ×4, first 2 shown]
	global_store_dword v4, v3, s[36:37]
	global_store_dword v4, v5, s[4:5]
.LBB273_222:
	s_or_b32 exec_lo, exec_lo, s1
	v_mov_b32_e32 v16, 0
	v_mov_b32_e32 v15, 0
	;; [unrolled: 1-line block ×3, first 2 shown]
	s_and_saveexec_b32 s1, s0
	s_cbranch_execz .LBB273_424
; %bb.223:
	v_lshlrev_b32_e32 v4, 3, v14
	s_ashr_i32 s0, s18, 31
	s_add_u32 s4, s34, s18
	s_addc_u32 s0, s35, s0
	v_lshlrev_b64 v[6:7], 2, v[1:2]
	v_add_co_u32 v4, s4, s4, v4
	v_add_co_ci_u32_e64 v5, null, s0, 0, s4
	s_lshl_b64 s[4:5], s[30:31], 2
	s_add_i32 s16, s16, -1
	s_add_u32 s0, s28, s4
	s_addc_u32 s4, s29, s5
	v_add_co_u32 v6, vcc_lo, s0, v6
	v_mov_b32_e32 v3, 0
	v_add3_u32 v17, s33, v11, 7
	v_lshl_add_u32 v18, v12, 5, 0xe0
	v_add_co_ci_u32_e64 v7, null, s4, v7, vcc_lo
	v_mov_b32_e32 v19, 0x80
	v_mov_b32_e32 v20, 0x7f
	;; [unrolled: 1-line block ×7, first 2 shown]
	s_mov_b32 s4, -1
	s_mov_b32 s3, s17
	s_mov_b32 s5, 0xffffff
	;; [unrolled: 1-line block ×3, first 2 shown]
	s_branch .LBB273_225
.LBB273_224:                            ;   in Loop: Header=BB273_225 Depth=1
	s_or_b32 exec_lo, exec_lo, s0
	;;#ASMSTART
	v_pk_mul_f16 v2, v33, v41;

	;;#ASMEND
	;;#ASMSTART
	v_pk_mul_f16 v8, v32, v9;

	;;#ASMEND
	;; [unrolled: 4-line block ×4, first 2 shown]
	;;#ASMSTART
	v_pk_add_f16 v2, v2, v8;

	;;#ASMEND
	;;#ASMSTART
	v_pk_add_f16 v2, v2, v9;

	;;#ASMEND
	;; [unrolled: 4-line block ×3, first 2 shown]
	v_and_b32_e32 v9, 0xffff, v2
	v_add_nc_u32_e32 v1, 4, v1
	;;#ASMSTART
	v_cvt_f32_f16 v9, v9;
	;;#ASMEND
	v_lshrrev_b32_e32 v23, 16, v2
	v_add_f32_e32 v2, v10, v11
	v_add_f32_e32 v8, v34, v35
	;;#ASMSTART
	v_cvt_f32_f16 v10, v23;
	;;#ASMEND
	v_add_f32_e32 v9, v9, v10
	v_cmp_le_i32_e32 vcc_lo, s11, v1
	v_add_co_u32 v6, s0, v6, 16
	v_add_f32_e32 v15, v15, v2
	v_add_f32_e32 v16, v16, v8
	;; [unrolled: 1-line block ×3, first 2 shown]
	v_add_nc_u32_e32 v17, 32, v17
	v_add_nc_u32_e32 v18, 0x80, v18
	v_add_co_ci_u32_e64 v7, null, 0, v7, s0
	s_or_b32 s6, vcc_lo, s6
	s_andn2_b32 exec_lo, exec_lo, s6
	s_cbranch_execz .LBB273_423
.LBB273_225:                            ; =>This Inner Loop Header: Depth=1
	global_load_dword v2, v[6:7], off
	ds_read2_b64 v[23:26], v18 offset1:1
	ds_read2_b64 v[36:39], v18 offset0:2 offset1:3
	s_waitcnt lgkmcnt(1)
	;;#ASMSTART
	v_cvt_f16_f32 v30, v23;

	;;#ASMEND
	;;#ASMSTART
	v_cvt_f16_f32 v31, v24;

	;;#ASMEND
	;; [unrolled: 4-line block ×4, first 2 shown]
	s_waitcnt lgkmcnt(0)
	;;#ASMSTART
	v_cvt_f16_f32 v36, v36;

	;;#ASMEND
	;;#ASMSTART
	v_cvt_f16_f32 v34, v37;

	;;#ASMEND
	;; [unrolled: 4-line block ×4, first 2 shown]
	v_mov_b32_e32 v25, 0
	s_waitcnt vmcnt(0)
	v_mad_i64_i32 v[8:9], null, v2, s3, v[4:5]
	global_load_dwordx2 v[10:11], v[8:9], off
	global_load_dword v24, v3, s[14:15]
	s_waitcnt vmcnt(1)
	v_cmp_ne_u16_sdwa s9, v10, v3 src0_sel:BYTE_0 src1_sel:DWORD
	s_and_saveexec_b32 s0, s9
	s_cbranch_execz .LBB273_233
; %bb.226:                              ;   in Loop: Header=BB273_225 Depth=1
	v_cmp_ne_u16_sdwa s12, v10, v19 src0_sel:BYTE_0 src1_sel:DWORD
	v_mov_b32_e32 v25, 0x8000
	s_and_saveexec_b32 s9, s12
	s_cbranch_execz .LBB273_232
; %bb.227:                              ;   in Loop: Header=BB273_225 Depth=1
	v_and_b32_e32 v26, 0x7f, v10
	v_mov_b32_e32 v25, 0x7c01
	s_mov_b32 s12, exec_lo
	v_cmpx_ne_u32_e32 0x7f, v26
	s_cbranch_execz .LBB273_231
; %bb.228:                              ;   in Loop: Header=BB273_225 Depth=1
	v_and_b32_e32 v2, 7, v10
	v_lshrrev_b32_e32 v23, 3, v26
	s_mov_b32 s13, exec_lo
	v_cmpx_gt_u32_e32 8, v26
; %bb.229:                              ;   in Loop: Header=BB273_225 Depth=1
	v_ffbh_u32_e32 v2, v2
	v_min_u32_e32 v2, 32, v2
	v_subrev_nc_u32_e32 v23, 28, v2
	v_lshlrev_b64 v[25:26], v23, v[10:11]
	v_sub_nc_u32_e32 v23, 29, v2
	v_and_b32_e32 v2, 7, v25
; %bb.230:                              ;   in Loop: Header=BB273_225 Depth=1
	s_or_b32 exec_lo, exec_lo, s13
	v_lshlrev_b32_e32 v25, 8, v10
	v_lshl_add_u32 v23, v23, 10, 0x2000
	v_lshlrev_b32_e32 v2, 7, v2
	v_and_b32_e32 v25, 0x8000, v25
	v_and_b32_e32 v23, 0xfc00, v23
	v_or3_b32 v25, v25, v23, v2
.LBB273_231:                            ;   in Loop: Header=BB273_225 Depth=1
	s_or_b32 exec_lo, exec_lo, s12
.LBB273_232:                            ;   in Loop: Header=BB273_225 Depth=1
	s_or_b32 exec_lo, exec_lo, s9
.LBB273_233:                            ;   in Loop: Header=BB273_225 Depth=1
	s_or_b32 exec_lo, exec_lo, s0
	v_lshrrev_b16 v2, 8, v10
	v_mov_b32_e32 v23, 0
	v_mov_b32_e32 v26, 0
	s_mov_b32 s0, exec_lo
	v_cmpx_ne_u16_e32 0, v2
	s_cbranch_execz .LBB273_241
; %bb.234:                              ;   in Loop: Header=BB273_225 Depth=1
	v_bfrev_b32_e32 v26, 1
	s_mov_b32 s9, exec_lo
	v_cmpx_ne_u16_e32 0x80, v2
	s_cbranch_execz .LBB273_240
; %bb.235:                              ;   in Loop: Header=BB273_225 Depth=1
	v_and_b32_sdwa v28, v2, v20 dst_sel:DWORD dst_unused:UNUSED_PAD src0_sel:WORD_0 src1_sel:DWORD
	v_mov_b32_e32 v26, 0x7c010000
	s_mov_b32 s12, exec_lo
	v_cmpx_ne_u32_e32 0x7f, v28
	s_cbranch_execz .LBB273_239
; %bb.236:                              ;   in Loop: Header=BB273_225 Depth=1
	v_and_b32_sdwa v26, v2, v21 dst_sel:DWORD dst_unused:UNUSED_PAD src0_sel:WORD_0 src1_sel:DWORD
	v_lshrrev_b32_e32 v27, 3, v28
	s_mov_b32 s13, exec_lo
	v_cmpx_gt_u32_e32 8, v28
; %bb.237:                              ;   in Loop: Header=BB273_225 Depth=1
	v_ffbh_u32_e32 v26, v26
	v_min_u32_e32 v28, 32, v26
	v_subrev_nc_u32_e32 v26, 28, v28
	v_lshlrev_b64 v[26:27], v26, v[2:3]
	v_sub_nc_u32_e32 v27, 29, v28
	v_and_b32_e32 v26, 7, v26
; %bb.238:                              ;   in Loop: Header=BB273_225 Depth=1
	s_or_b32 exec_lo, exec_lo, s13
	v_lshlrev_b32_sdwa v2, v22, v2 dst_sel:DWORD dst_unused:UNUSED_PAD src0_sel:DWORD src1_sel:WORD_0
	v_lshl_add_u32 v27, v27, 10, 0x2000
	v_lshlrev_b32_e32 v26, 23, v26
	v_and_or_b32 v2, 0x8000, v2, v27
	v_lshl_or_b32 v26, v2, 16, v26
.LBB273_239:                            ;   in Loop: Header=BB273_225 Depth=1
	s_or_b32 exec_lo, exec_lo, s12
.LBB273_240:                            ;   in Loop: Header=BB273_225 Depth=1
	s_or_b32 exec_lo, exec_lo, s9
.LBB273_241:                            ;   in Loop: Header=BB273_225 Depth=1
	s_or_b32 exec_lo, exec_lo, s0
	v_lshrrev_b32_e32 v2, 16, v10
	v_cmp_ne_u16_sdwa s9, v2, v3 src0_sel:BYTE_0 src1_sel:DWORD
	s_and_saveexec_b32 s0, s9
	s_cbranch_execz .LBB273_249
; %bb.242:                              ;   in Loop: Header=BB273_225 Depth=1
	v_cmp_ne_u16_sdwa s12, v2, v19 src0_sel:BYTE_0 src1_sel:DWORD
	v_mov_b32_e32 v23, 0x8000
	s_and_saveexec_b32 s9, s12
	s_cbranch_execz .LBB273_248
; %bb.243:                              ;   in Loop: Header=BB273_225 Depth=1
	v_bfe_u32 v28, v10, 16, 7
	v_mov_b32_e32 v23, 0x7c01
	s_mov_b32 s12, exec_lo
	v_cmpx_ne_u32_e32 0x7f, v28
	s_cbranch_execz .LBB273_247
; %bb.244:                              ;   in Loop: Header=BB273_225 Depth=1
	v_and_b32_e32 v23, 7, v2
	v_lshrrev_b32_e32 v27, 3, v28
	s_mov_b32 s13, exec_lo
	v_cmpx_gt_u32_e32 8, v28
; %bb.245:                              ;   in Loop: Header=BB273_225 Depth=1
	v_ffbh_u32_e32 v23, v23
	v_min_u32_e32 v23, 32, v23
	v_subrev_nc_u32_e32 v27, 28, v23
	v_lshlrev_b64 v[28:29], v27, v[2:3]
	v_sub_nc_u32_e32 v27, 29, v23
	v_and_b32_e32 v23, 7, v28
; %bb.246:                              ;   in Loop: Header=BB273_225 Depth=1
	s_or_b32 exec_lo, exec_lo, s13
	v_lshlrev_b32_e32 v2, 8, v2
	v_lshl_add_u32 v27, v27, 10, 0x2000
	v_lshlrev_b32_e32 v23, 7, v23
	v_and_b32_e32 v2, 0x8000, v2
	v_and_b32_e32 v27, 0xfc00, v27
	v_or3_b32 v23, v2, v27, v23
.LBB273_247:                            ;   in Loop: Header=BB273_225 Depth=1
	s_or_b32 exec_lo, exec_lo, s12
.LBB273_248:                            ;   in Loop: Header=BB273_225 Depth=1
	s_or_b32 exec_lo, exec_lo, s9
.LBB273_249:                            ;   in Loop: Header=BB273_225 Depth=1
	s_or_b32 exec_lo, exec_lo, s0
	v_mov_b32_e32 v27, 0
	v_mov_b32_e32 v28, 0
	s_mov_b32 s0, exec_lo
	v_cmpx_lt_u32_e32 0xffffff, v10
	s_cbranch_execz .LBB273_257
; %bb.250:                              ;   in Loop: Header=BB273_225 Depth=1
	v_lshrrev_b32_e32 v2, 24, v10
	v_bfrev_b32_e32 v28, 1
	s_mov_b32 s9, exec_lo
	v_cmpx_ne_u32_e32 0x80, v2
	s_cbranch_execz .LBB273_256
; %bb.251:                              ;   in Loop: Header=BB273_225 Depth=1
	v_and_b32_e32 v38, 0x7f, v2
	v_mov_b32_e32 v28, 0x7c010000
	s_mov_b32 s12, exec_lo
	v_cmpx_ne_u32_e32 0x7f, v38
	s_cbranch_execz .LBB273_255
; %bb.252:                              ;   in Loop: Header=BB273_225 Depth=1
	v_and_b32_e32 v28, 7, v2
	v_lshrrev_b32_e32 v29, 3, v38
	s_mov_b32 s13, exec_lo
	v_cmpx_gt_u32_e32 8, v38
; %bb.253:                              ;   in Loop: Header=BB273_225 Depth=1
	v_ffbh_u32_e32 v28, v28
	v_min_u32_e32 v38, 32, v28
	v_subrev_nc_u32_e32 v28, 28, v38
	v_lshlrev_b64 v[28:29], v28, v[2:3]
	v_sub_nc_u32_e32 v29, 29, v38
	v_and_b32_e32 v28, 7, v28
; %bb.254:                              ;   in Loop: Header=BB273_225 Depth=1
	s_or_b32 exec_lo, exec_lo, s13
	v_lshlrev_b32_e32 v2, 8, v2
	v_lshl_add_u32 v29, v29, 10, 0x2000
	v_lshlrev_b32_e32 v28, 23, v28
	v_and_or_b32 v2, 0x8000, v2, v29
	v_lshl_or_b32 v28, v2, 16, v28
.LBB273_255:                            ;   in Loop: Header=BB273_225 Depth=1
	s_or_b32 exec_lo, exec_lo, s12
.LBB273_256:                            ;   in Loop: Header=BB273_225 Depth=1
	s_or_b32 exec_lo, exec_lo, s9
.LBB273_257:                            ;   in Loop: Header=BB273_225 Depth=1
	s_or_b32 exec_lo, exec_lo, s0
	v_mov_b32_e32 v2, v11
	v_cmp_ne_u16_sdwa s9, v11, v3 src0_sel:BYTE_0 src1_sel:DWORD
	s_and_saveexec_b32 s0, s9
	s_cbranch_execz .LBB273_265
; %bb.258:                              ;   in Loop: Header=BB273_225 Depth=1
	v_cmp_ne_u16_sdwa s12, v11, v19 src0_sel:BYTE_0 src1_sel:DWORD
	v_mov_b32_e32 v27, 0x8000
	s_and_saveexec_b32 s9, s12
	s_cbranch_execz .LBB273_264
; %bb.259:                              ;   in Loop: Header=BB273_225 Depth=1
	v_and_b32_e32 v38, 0x7f, v11
	v_mov_b32_e32 v27, 0x7c01
	s_mov_b32 s12, exec_lo
	v_cmpx_ne_u32_e32 0x7f, v38
	s_cbranch_execz .LBB273_263
; %bb.260:                              ;   in Loop: Header=BB273_225 Depth=1
	v_and_b32_e32 v27, 7, v11
	v_lshrrev_b32_e32 v29, 3, v38
	s_mov_b32 s13, exec_lo
	v_cmpx_gt_u32_e32 8, v38
; %bb.261:                              ;   in Loop: Header=BB273_225 Depth=1
	v_ffbh_u32_e32 v27, v27
	v_min_u32_e32 v27, 32, v27
	v_subrev_nc_u32_e32 v29, 28, v27
	v_lshlrev_b64 v[38:39], v29, v[2:3]
	v_sub_nc_u32_e32 v29, 29, v27
	v_and_b32_e32 v27, 7, v38
; %bb.262:                              ;   in Loop: Header=BB273_225 Depth=1
	s_or_b32 exec_lo, exec_lo, s13
	v_lshlrev_b32_e32 v38, 8, v11
	v_lshl_add_u32 v29, v29, 10, 0x2000
	v_lshlrev_b32_e32 v27, 7, v27
	v_and_b32_e32 v38, 0x8000, v38
	v_and_b32_e32 v29, 0xfc00, v29
	v_or3_b32 v27, v38, v29, v27
.LBB273_263:                            ;   in Loop: Header=BB273_225 Depth=1
	s_or_b32 exec_lo, exec_lo, s12
.LBB273_264:                            ;   in Loop: Header=BB273_225 Depth=1
	s_or_b32 exec_lo, exec_lo, s9
.LBB273_265:                            ;   in Loop: Header=BB273_225 Depth=1
	s_or_b32 exec_lo, exec_lo, s0
	v_lshrrev_b16 v2, 8, v2
	v_mov_b32_e32 v38, 0
	v_mov_b32_e32 v29, 0
	s_mov_b32 s0, exec_lo
	v_cmpx_ne_u16_e32 0, v2
	s_cbranch_execz .LBB273_273
; %bb.266:                              ;   in Loop: Header=BB273_225 Depth=1
	v_bfrev_b32_e32 v29, 1
	s_mov_b32 s9, exec_lo
	v_cmpx_ne_u16_e32 0x80, v2
	s_cbranch_execz .LBB273_272
; %bb.267:                              ;   in Loop: Header=BB273_225 Depth=1
	v_and_b32_sdwa v40, v2, v20 dst_sel:DWORD dst_unused:UNUSED_PAD src0_sel:WORD_0 src1_sel:DWORD
	v_mov_b32_e32 v29, 0x7c010000
	s_mov_b32 s12, exec_lo
	v_cmpx_ne_u32_e32 0x7f, v40
	s_cbranch_execz .LBB273_271
; %bb.268:                              ;   in Loop: Header=BB273_225 Depth=1
	v_and_b32_sdwa v29, v2, v21 dst_sel:DWORD dst_unused:UNUSED_PAD src0_sel:WORD_0 src1_sel:DWORD
	v_lshrrev_b32_e32 v39, 3, v40
	s_mov_b32 s13, exec_lo
	v_cmpx_gt_u32_e32 8, v40
; %bb.269:                              ;   in Loop: Header=BB273_225 Depth=1
	v_ffbh_u32_e32 v29, v29
	v_min_u32_e32 v29, 32, v29
	v_subrev_nc_u32_e32 v39, 28, v29
	v_lshlrev_b64 v[40:41], v39, v[2:3]
	v_sub_nc_u32_e32 v39, 29, v29
	v_and_b32_e32 v29, 7, v40
; %bb.270:                              ;   in Loop: Header=BB273_225 Depth=1
	s_or_b32 exec_lo, exec_lo, s13
	v_lshlrev_b32_sdwa v2, v22, v2 dst_sel:DWORD dst_unused:UNUSED_PAD src0_sel:DWORD src1_sel:WORD_0
	v_lshl_add_u32 v39, v39, 10, 0x2000
	v_lshlrev_b32_e32 v29, 23, v29
	v_and_or_b32 v2, 0x8000, v2, v39
	v_lshl_or_b32 v29, v2, 16, v29
.LBB273_271:                            ;   in Loop: Header=BB273_225 Depth=1
	s_or_b32 exec_lo, exec_lo, s12
.LBB273_272:                            ;   in Loop: Header=BB273_225 Depth=1
	s_or_b32 exec_lo, exec_lo, s9
.LBB273_273:                            ;   in Loop: Header=BB273_225 Depth=1
	s_or_b32 exec_lo, exec_lo, s0
	v_lshrrev_b32_e32 v2, 16, v11
	v_cmp_ne_u16_sdwa s9, v2, v3 src0_sel:BYTE_0 src1_sel:DWORD
	s_and_saveexec_b32 s0, s9
	s_cbranch_execz .LBB273_281
; %bb.274:                              ;   in Loop: Header=BB273_225 Depth=1
	v_cmp_ne_u16_sdwa s12, v2, v19 src0_sel:BYTE_0 src1_sel:DWORD
	v_mov_b32_e32 v38, 0x8000
	s_and_saveexec_b32 s9, s12
	s_cbranch_execz .LBB273_280
; %bb.275:                              ;   in Loop: Header=BB273_225 Depth=1
	v_bfe_u32 v40, v11, 16, 7
	v_mov_b32_e32 v38, 0x7c01
	s_mov_b32 s12, exec_lo
	v_cmpx_ne_u32_e32 0x7f, v40
	s_cbranch_execz .LBB273_279
; %bb.276:                              ;   in Loop: Header=BB273_225 Depth=1
	v_and_b32_e32 v38, 7, v2
	v_lshrrev_b32_e32 v39, 3, v40
	s_mov_b32 s13, exec_lo
	v_cmpx_gt_u32_e32 8, v40
; %bb.277:                              ;   in Loop: Header=BB273_225 Depth=1
	v_ffbh_u32_e32 v38, v38
	v_min_u32_e32 v40, 32, v38
	v_subrev_nc_u32_e32 v38, 28, v40
	v_lshlrev_b64 v[38:39], v38, v[2:3]
	v_sub_nc_u32_e32 v39, 29, v40
	v_and_b32_e32 v38, 7, v38
; %bb.278:                              ;   in Loop: Header=BB273_225 Depth=1
	s_or_b32 exec_lo, exec_lo, s13
	v_lshlrev_b32_e32 v2, 8, v2
	v_lshl_add_u32 v39, v39, 10, 0x2000
	v_lshlrev_b32_e32 v38, 7, v38
	v_and_b32_e32 v2, 0x8000, v2
	v_and_b32_e32 v39, 0xfc00, v39
	v_or3_b32 v38, v2, v39, v38
.LBB273_279:                            ;   in Loop: Header=BB273_225 Depth=1
	s_or_b32 exec_lo, exec_lo, s12
.LBB273_280:                            ;   in Loop: Header=BB273_225 Depth=1
	s_or_b32 exec_lo, exec_lo, s9
.LBB273_281:                            ;   in Loop: Header=BB273_225 Depth=1
	s_or_b32 exec_lo, exec_lo, s0
	v_cmp_lt_u64_e32 vcc_lo, s[4:5], v[10:11]
	v_mov_b32_e32 v10, 0
	s_and_saveexec_b32 s0, vcc_lo
	s_cbranch_execz .LBB273_289
; %bb.282:                              ;   in Loop: Header=BB273_225 Depth=1
	v_lshrrev_b32_e32 v2, 24, v11
	v_bfrev_b32_e32 v10, 1
	s_mov_b32 s9, exec_lo
	v_cmpx_ne_u32_e32 0x80, v2
	s_cbranch_execz .LBB273_288
; %bb.283:                              ;   in Loop: Header=BB273_225 Depth=1
	v_and_b32_e32 v39, 0x7f, v2
	v_mov_b32_e32 v10, 0x7c010000
	s_mov_b32 s12, exec_lo
	v_cmpx_ne_u32_e32 0x7f, v39
	s_cbranch_execz .LBB273_287
; %bb.284:                              ;   in Loop: Header=BB273_225 Depth=1
	v_and_b32_e32 v10, 7, v2
	v_lshrrev_b32_e32 v11, 3, v39
	s_mov_b32 s13, exec_lo
	v_cmpx_gt_u32_e32 8, v39
; %bb.285:                              ;   in Loop: Header=BB273_225 Depth=1
	v_ffbh_u32_e32 v10, v10
	v_min_u32_e32 v39, 32, v10
	v_subrev_nc_u32_e32 v10, 28, v39
	v_lshlrev_b64 v[10:11], v10, v[2:3]
	v_sub_nc_u32_e32 v11, 29, v39
	v_and_b32_e32 v10, 7, v10
; %bb.286:                              ;   in Loop: Header=BB273_225 Depth=1
	s_or_b32 exec_lo, exec_lo, s13
	v_lshlrev_b32_e32 v2, 8, v2
	v_lshl_add_u32 v11, v11, 10, 0x2000
	v_lshlrev_b32_e32 v10, 23, v10
	v_and_or_b32 v2, 0x8000, v2, v11
	v_lshl_or_b32 v10, v2, 16, v10
.LBB273_287:                            ;   in Loop: Header=BB273_225 Depth=1
	s_or_b32 exec_lo, exec_lo, s12
.LBB273_288:                            ;   in Loop: Header=BB273_225 Depth=1
	s_or_b32 exec_lo, exec_lo, s9
.LBB273_289:                            ;   in Loop: Header=BB273_225 Depth=1
	s_or_b32 exec_lo, exec_lo, s0
	v_or_b32_e32 v2, v28, v23
	s_waitcnt vmcnt(0)
	v_fma_mixlo_f16 v11, v24, v28, 0 op_sel:[0,1,0] op_sel_hi:[0,1,0]
	v_or_b32_e32 v25, v26, v25
	v_fma_mixlo_f16 v26, v24, v26, 0 op_sel:[0,1,0] op_sel_hi:[0,1,0]
	v_or_b32_e32 v27, v29, v27
	v_fma_mixlo_f16 v2, v24, v2, 0 op_sel_hi:[0,1,0]
	v_or_b32_e32 v28, v10, v38
	v_fma_mixlo_f16 v10, v24, v10, 0 op_sel:[0,1,0] op_sel_hi:[0,1,0]
	v_lshlrev_b32_e32 v44, 16, v26
	v_fma_mixlo_f16 v26, v24, v27, 0 op_sel_hi:[0,1,0]
	v_and_b32_e32 v41, 0xffff, v2
	v_fma_mixlo_f16 v2, v24, v25, 0 op_sel_hi:[0,1,0]
	v_fma_mixlo_f16 v25, v24, v29, 0 op_sel:[0,1,0] op_sel_hi:[0,1,0]
	v_fma_mixlo_f16 v24, v24, v28, 0 op_sel_hi:[0,1,0]
	v_lshlrev_b32_e32 v11, 16, v11
	v_and_b32_e32 v45, 0xffff, v26
	v_and_b32_e32 v46, 0xffff, v2
	v_lshlrev_b32_e32 v42, 16, v25
	v_lshlrev_b32_e32 v39, 16, v10
	v_and_b32_e32 v43, 0xffff, v24
	v_add_nc_u32_e32 v23, -7, v17
	v_cmp_eq_u32_e32 vcc_lo, s16, v1
	v_or_b32_e32 v2, v11, v41
	v_or_b32_e32 v10, v44, v46
	v_or_b32_e32 v38, v42, v45
	v_or_b32_e32 v40, v39, v43
	v_add_nc_u32_e32 v29, -6, v17
	v_add_nc_u32_e32 v28, -5, v17
	;; [unrolled: 1-line block ×6, first 2 shown]
	s_and_saveexec_b32 s9, vcc_lo
	s_cbranch_execz .LBB273_291
; %bb.290:                              ;   in Loop: Header=BB273_225 Depth=1
	v_cmp_gt_i32_e64 s0, s27, v23
	v_cndmask_b32_e64 v2, 0, v46, s0
	v_cmp_gt_i32_e64 s0, s27, v29
	v_cndmask_b32_e64 v10, 0, v44, s0
	v_cmp_gt_i32_e64 s0, s27, v28
	v_or_b32_e32 v10, v10, v2
	v_cndmask_b32_e64 v38, 0, v41, s0
	v_cmp_gt_i32_e64 s0, s27, v27
	v_cndmask_b32_e64 v11, 0, v11, s0
	v_cmp_gt_i32_e64 s0, s27, v26
	v_or_b32_e32 v2, v11, v38
	v_cndmask_b32_e64 v40, 0, v45, s0
	v_cmp_gt_i32_e64 s0, s27, v25
	v_cndmask_b32_e64 v41, 0, v42, s0
	v_cmp_gt_i32_e64 s0, s27, v24
	v_or_b32_e32 v38, v41, v40
	v_cndmask_b32_e64 v42, 0, v43, s0
	v_cmp_gt_i32_e64 s0, s27, v17
	v_cndmask_b32_e64 v39, 0, v39, s0
	v_or_b32_e32 v40, v39, v42
.LBB273_291:                            ;   in Loop: Header=BB273_225 Depth=1
	s_or_b32 exec_lo, exec_lo, s9
	v_and_b32_e32 v11, 0xffff, v30
	v_and_b32_e32 v30, 0xffff, v33
	;; [unrolled: 1-line block ×4, first 2 shown]
	v_lshl_or_b32 v33, v31, 16, v11
	v_lshl_or_b32 v32, v32, 16, v30
	;;#ASMSTART
	v_pk_mul_f16 v10, v33, v10;

	;;#ASMEND
	;;#ASMSTART
	v_pk_mul_f16 v2, v32, v2;

	;;#ASMEND
	v_lshl_or_b32 v31, v34, 16, v36
	v_lshl_or_b32 v30, v35, 16, v37
	;;#ASMSTART
	v_pk_mul_f16 v11, v31, v38;

	;;#ASMEND
	;;#ASMSTART
	v_pk_mul_f16 v34, v30, v40;

	;;#ASMEND
	;;#ASMSTART
	v_pk_add_f16 v2, v10, v2;

	;;#ASMEND
	;;#ASMSTART
	v_pk_add_f16 v2, v2, v11;
	;; [unrolled: 4-line block ×3, first 2 shown]

	;;#ASMEND
	v_and_b32_e32 v10, 0xffff, v2
	v_lshrrev_b32_e32 v2, 16, v2
	;;#ASMSTART
	v_cvt_f32_f16 v34, v10;
	;;#ASMEND
	;;#ASMSTART
	v_cvt_f32_f16 v35, v2;
	;;#ASMEND
	global_load_dwordx2 v[10:11], v[8:9], off offset:256
	v_mov_b32_e32 v37, 0
	v_mov_b32_e32 v38, 0
	global_load_dword v36, v37, s[14:15]
	s_waitcnt vmcnt(1)
	v_cmp_ne_u16_sdwa s0, v10, v3 src0_sel:BYTE_0 src1_sel:DWORD
	s_and_saveexec_b32 s9, s0
	s_cbranch_execz .LBB273_299
; %bb.292:                              ;   in Loop: Header=BB273_225 Depth=1
	v_cmp_ne_u16_sdwa s0, v10, v19 src0_sel:BYTE_0 src1_sel:DWORD
	v_mov_b32_e32 v38, 0x8000
	s_and_saveexec_b32 s12, s0
	s_cbranch_execz .LBB273_298
; %bb.293:                              ;   in Loop: Header=BB273_225 Depth=1
	v_and_b32_e32 v39, 0x7f, v10
	v_mov_b32_e32 v38, 0x7c01
	s_mov_b32 s13, exec_lo
	v_cmpx_ne_u32_e32 0x7f, v39
	s_cbranch_execz .LBB273_297
; %bb.294:                              ;   in Loop: Header=BB273_225 Depth=1
	v_and_b32_e32 v2, 7, v10
	v_lshrrev_b32_e32 v38, 3, v39
	s_mov_b32 s17, exec_lo
	v_cmpx_gt_u32_e32 8, v39
; %bb.295:                              ;   in Loop: Header=BB273_225 Depth=1
	v_ffbh_u32_e32 v2, v2
	v_min_u32_e32 v2, 32, v2
	v_subrev_nc_u32_e32 v38, 28, v2
	v_lshlrev_b64 v[39:40], v38, v[10:11]
	v_sub_nc_u32_e32 v38, 29, v2
	v_and_b32_e32 v2, 7, v39
; %bb.296:                              ;   in Loop: Header=BB273_225 Depth=1
	s_or_b32 exec_lo, exec_lo, s17
	v_lshlrev_b32_e32 v39, 8, v10
	v_lshl_add_u32 v38, v38, 10, 0x2000
	v_lshlrev_b32_e32 v2, 7, v2
	v_and_b32_e32 v39, 0x8000, v39
	v_and_b32_e32 v38, 0xfc00, v38
	v_or3_b32 v38, v39, v38, v2
.LBB273_297:                            ;   in Loop: Header=BB273_225 Depth=1
	s_or_b32 exec_lo, exec_lo, s13
.LBB273_298:                            ;   in Loop: Header=BB273_225 Depth=1
	s_or_b32 exec_lo, exec_lo, s12
.LBB273_299:                            ;   in Loop: Header=BB273_225 Depth=1
	s_or_b32 exec_lo, exec_lo, s9
	v_lshrrev_b16 v2, 8, v10
	s_mov_b32 s9, exec_lo
	v_cmpx_ne_u16_e32 0, v2
	s_cbranch_execz .LBB273_307
; %bb.300:                              ;   in Loop: Header=BB273_225 Depth=1
	v_bfrev_b32_e32 v37, 1
	s_mov_b32 s12, exec_lo
	v_cmpx_ne_u16_e32 0x80, v2
	s_cbranch_execz .LBB273_306
; %bb.301:                              ;   in Loop: Header=BB273_225 Depth=1
	v_and_b32_sdwa v40, v2, v20 dst_sel:DWORD dst_unused:UNUSED_PAD src0_sel:WORD_0 src1_sel:DWORD
	v_mov_b32_e32 v37, 0x7c010000
	s_mov_b32 s13, exec_lo
	v_cmpx_ne_u32_e32 0x7f, v40
	s_cbranch_execz .LBB273_305
; %bb.302:                              ;   in Loop: Header=BB273_225 Depth=1
	v_and_b32_sdwa v37, v2, v21 dst_sel:DWORD dst_unused:UNUSED_PAD src0_sel:WORD_0 src1_sel:DWORD
	v_lshrrev_b32_e32 v39, 3, v40
	s_mov_b32 s17, exec_lo
	v_cmpx_gt_u32_e32 8, v40
; %bb.303:                              ;   in Loop: Header=BB273_225 Depth=1
	v_ffbh_u32_e32 v37, v37
	v_min_u32_e32 v37, 32, v37
	v_subrev_nc_u32_e32 v39, 28, v37
	v_lshlrev_b64 v[40:41], v39, v[2:3]
	v_sub_nc_u32_e32 v39, 29, v37
	v_and_b32_e32 v37, 7, v40
; %bb.304:                              ;   in Loop: Header=BB273_225 Depth=1
	s_or_b32 exec_lo, exec_lo, s17
	v_lshlrev_b32_sdwa v2, v22, v2 dst_sel:DWORD dst_unused:UNUSED_PAD src0_sel:DWORD src1_sel:WORD_0
	v_lshl_add_u32 v39, v39, 10, 0x2000
	v_lshlrev_b32_e32 v37, 23, v37
	v_and_or_b32 v2, 0x8000, v2, v39
	v_lshl_or_b32 v37, v2, 16, v37
.LBB273_305:                            ;   in Loop: Header=BB273_225 Depth=1
	s_or_b32 exec_lo, exec_lo, s13
.LBB273_306:                            ;   in Loop: Header=BB273_225 Depth=1
	s_or_b32 exec_lo, exec_lo, s12
.LBB273_307:                            ;   in Loop: Header=BB273_225 Depth=1
	s_or_b32 exec_lo, exec_lo, s9
	v_lshrrev_b32_e32 v2, 16, v10
	v_mov_b32_e32 v39, 0
	v_mov_b32_e32 v40, 0
	v_cmp_ne_u16_sdwa s0, v2, v3 src0_sel:BYTE_0 src1_sel:DWORD
	s_and_saveexec_b32 s9, s0
	s_cbranch_execz .LBB273_315
; %bb.308:                              ;   in Loop: Header=BB273_225 Depth=1
	v_cmp_ne_u16_sdwa s0, v2, v19 src0_sel:BYTE_0 src1_sel:DWORD
	v_mov_b32_e32 v40, 0x8000
	s_and_saveexec_b32 s12, s0
	s_cbranch_execz .LBB273_314
; %bb.309:                              ;   in Loop: Header=BB273_225 Depth=1
	v_bfe_u32 v42, v10, 16, 7
	v_mov_b32_e32 v40, 0x7c01
	s_mov_b32 s13, exec_lo
	v_cmpx_ne_u32_e32 0x7f, v42
	s_cbranch_execz .LBB273_313
; %bb.310:                              ;   in Loop: Header=BB273_225 Depth=1
	v_and_b32_e32 v40, 7, v2
	v_lshrrev_b32_e32 v41, 3, v42
	s_mov_b32 s17, exec_lo
	v_cmpx_gt_u32_e32 8, v42
; %bb.311:                              ;   in Loop: Header=BB273_225 Depth=1
	v_ffbh_u32_e32 v40, v40
	v_min_u32_e32 v42, 32, v40
	v_subrev_nc_u32_e32 v40, 28, v42
	v_lshlrev_b64 v[40:41], v40, v[2:3]
	v_sub_nc_u32_e32 v41, 29, v42
	v_and_b32_e32 v40, 7, v40
; %bb.312:                              ;   in Loop: Header=BB273_225 Depth=1
	s_or_b32 exec_lo, exec_lo, s17
	v_lshlrev_b32_e32 v2, 8, v2
	v_lshl_add_u32 v41, v41, 10, 0x2000
	v_lshlrev_b32_e32 v40, 7, v40
	v_and_b32_e32 v2, 0x8000, v2
	v_and_b32_e32 v41, 0xfc00, v41
	v_or3_b32 v40, v2, v41, v40
.LBB273_313:                            ;   in Loop: Header=BB273_225 Depth=1
	s_or_b32 exec_lo, exec_lo, s13
.LBB273_314:                            ;   in Loop: Header=BB273_225 Depth=1
	s_or_b32 exec_lo, exec_lo, s12
.LBB273_315:                            ;   in Loop: Header=BB273_225 Depth=1
	s_or_b32 exec_lo, exec_lo, s9
	s_mov_b32 s9, exec_lo
	v_cmpx_lt_u32_e32 0xffffff, v10
	s_cbranch_execz .LBB273_323
; %bb.316:                              ;   in Loop: Header=BB273_225 Depth=1
	v_lshrrev_b32_e32 v2, 24, v10
	v_bfrev_b32_e32 v39, 1
	s_mov_b32 s12, exec_lo
	v_cmpx_ne_u32_e32 0x80, v2
	s_cbranch_execz .LBB273_322
; %bb.317:                              ;   in Loop: Header=BB273_225 Depth=1
	v_and_b32_e32 v42, 0x7f, v2
	v_mov_b32_e32 v39, 0x7c010000
	s_mov_b32 s13, exec_lo
	v_cmpx_ne_u32_e32 0x7f, v42
	s_cbranch_execz .LBB273_321
; %bb.318:                              ;   in Loop: Header=BB273_225 Depth=1
	v_and_b32_e32 v39, 7, v2
	v_lshrrev_b32_e32 v41, 3, v42
	s_mov_b32 s17, exec_lo
	v_cmpx_gt_u32_e32 8, v42
; %bb.319:                              ;   in Loop: Header=BB273_225 Depth=1
	v_ffbh_u32_e32 v39, v39
	v_min_u32_e32 v39, 32, v39
	v_subrev_nc_u32_e32 v41, 28, v39
	v_lshlrev_b64 v[42:43], v41, v[2:3]
	v_sub_nc_u32_e32 v41, 29, v39
	v_and_b32_e32 v39, 7, v42
; %bb.320:                              ;   in Loop: Header=BB273_225 Depth=1
	s_or_b32 exec_lo, exec_lo, s17
	v_lshlrev_b32_e32 v2, 8, v2
	v_lshl_add_u32 v41, v41, 10, 0x2000
	v_lshlrev_b32_e32 v39, 23, v39
	v_and_or_b32 v2, 0x8000, v2, v41
	v_lshl_or_b32 v39, v2, 16, v39
.LBB273_321:                            ;   in Loop: Header=BB273_225 Depth=1
	s_or_b32 exec_lo, exec_lo, s13
.LBB273_322:                            ;   in Loop: Header=BB273_225 Depth=1
	s_or_b32 exec_lo, exec_lo, s12
.LBB273_323:                            ;   in Loop: Header=BB273_225 Depth=1
	s_or_b32 exec_lo, exec_lo, s9
	v_mov_b32_e32 v2, v11
	v_cmp_ne_u16_sdwa s0, v11, v3 src0_sel:BYTE_0 src1_sel:DWORD
	v_mov_b32_e32 v41, 0
	v_mov_b32_e32 v42, 0
	s_and_saveexec_b32 s9, s0
	s_cbranch_execz .LBB273_331
; %bb.324:                              ;   in Loop: Header=BB273_225 Depth=1
	v_cmp_ne_u16_sdwa s0, v11, v19 src0_sel:BYTE_0 src1_sel:DWORD
	v_mov_b32_e32 v42, 0x8000
	s_and_saveexec_b32 s12, s0
	s_cbranch_execz .LBB273_330
; %bb.325:                              ;   in Loop: Header=BB273_225 Depth=1
	v_and_b32_e32 v44, 0x7f, v11
	v_mov_b32_e32 v42, 0x7c01
	s_mov_b32 s13, exec_lo
	v_cmpx_ne_u32_e32 0x7f, v44
	s_cbranch_execz .LBB273_329
; %bb.326:                              ;   in Loop: Header=BB273_225 Depth=1
	v_and_b32_e32 v42, 7, v11
	v_lshrrev_b32_e32 v43, 3, v44
	s_mov_b32 s17, exec_lo
	v_cmpx_gt_u32_e32 8, v44
; %bb.327:                              ;   in Loop: Header=BB273_225 Depth=1
	v_ffbh_u32_e32 v42, v42
	v_min_u32_e32 v44, 32, v42
	v_subrev_nc_u32_e32 v42, 28, v44
	v_lshlrev_b64 v[42:43], v42, v[2:3]
	v_sub_nc_u32_e32 v43, 29, v44
	v_and_b32_e32 v42, 7, v42
; %bb.328:                              ;   in Loop: Header=BB273_225 Depth=1
	s_or_b32 exec_lo, exec_lo, s17
	v_lshlrev_b32_e32 v44, 8, v11
	v_lshl_add_u32 v43, v43, 10, 0x2000
	v_lshlrev_b32_e32 v42, 7, v42
	v_and_b32_e32 v44, 0x8000, v44
	v_and_b32_e32 v43, 0xfc00, v43
	v_or3_b32 v42, v44, v43, v42
.LBB273_329:                            ;   in Loop: Header=BB273_225 Depth=1
	s_or_b32 exec_lo, exec_lo, s13
.LBB273_330:                            ;   in Loop: Header=BB273_225 Depth=1
	s_or_b32 exec_lo, exec_lo, s12
.LBB273_331:                            ;   in Loop: Header=BB273_225 Depth=1
	s_or_b32 exec_lo, exec_lo, s9
	v_lshrrev_b16 v2, 8, v2
	v_mov_b32_e32 v43, 0
	s_mov_b32 s9, exec_lo
	v_cmpx_ne_u16_e32 0, v2
	s_cbranch_execz .LBB273_339
; %bb.332:                              ;   in Loop: Header=BB273_225 Depth=1
	v_bfrev_b32_e32 v43, 1
	s_mov_b32 s12, exec_lo
	v_cmpx_ne_u16_e32 0x80, v2
	s_cbranch_execz .LBB273_338
; %bb.333:                              ;   in Loop: Header=BB273_225 Depth=1
	v_and_b32_sdwa v45, v2, v20 dst_sel:DWORD dst_unused:UNUSED_PAD src0_sel:WORD_0 src1_sel:DWORD
	v_mov_b32_e32 v43, 0x7c010000
	s_mov_b32 s13, exec_lo
	v_cmpx_ne_u32_e32 0x7f, v45
	s_cbranch_execz .LBB273_337
; %bb.334:                              ;   in Loop: Header=BB273_225 Depth=1
	v_and_b32_sdwa v43, v2, v21 dst_sel:DWORD dst_unused:UNUSED_PAD src0_sel:WORD_0 src1_sel:DWORD
	v_lshrrev_b32_e32 v44, 3, v45
	s_mov_b32 s17, exec_lo
	v_cmpx_gt_u32_e32 8, v45
; %bb.335:                              ;   in Loop: Header=BB273_225 Depth=1
	v_ffbh_u32_e32 v43, v43
	v_min_u32_e32 v45, 32, v43
	v_subrev_nc_u32_e32 v43, 28, v45
	v_lshlrev_b64 v[43:44], v43, v[2:3]
	v_sub_nc_u32_e32 v44, 29, v45
	v_and_b32_e32 v43, 7, v43
; %bb.336:                              ;   in Loop: Header=BB273_225 Depth=1
	s_or_b32 exec_lo, exec_lo, s17
	v_lshlrev_b32_sdwa v2, v22, v2 dst_sel:DWORD dst_unused:UNUSED_PAD src0_sel:DWORD src1_sel:WORD_0
	v_lshl_add_u32 v44, v44, 10, 0x2000
	v_lshlrev_b32_e32 v43, 23, v43
	v_and_or_b32 v2, 0x8000, v2, v44
	v_lshl_or_b32 v43, v2, 16, v43
.LBB273_337:                            ;   in Loop: Header=BB273_225 Depth=1
	s_or_b32 exec_lo, exec_lo, s13
.LBB273_338:                            ;   in Loop: Header=BB273_225 Depth=1
	s_or_b32 exec_lo, exec_lo, s12
.LBB273_339:                            ;   in Loop: Header=BB273_225 Depth=1
	s_or_b32 exec_lo, exec_lo, s9
	v_lshrrev_b32_e32 v2, 16, v11
	v_cmp_ne_u16_sdwa s0, v2, v3 src0_sel:BYTE_0 src1_sel:DWORD
	s_and_saveexec_b32 s9, s0
	s_cbranch_execz .LBB273_347
; %bb.340:                              ;   in Loop: Header=BB273_225 Depth=1
	v_cmp_ne_u16_sdwa s0, v2, v19 src0_sel:BYTE_0 src1_sel:DWORD
	v_mov_b32_e32 v41, 0x8000
	s_and_saveexec_b32 s12, s0
	s_cbranch_execz .LBB273_346
; %bb.341:                              ;   in Loop: Header=BB273_225 Depth=1
	v_bfe_u32 v45, v11, 16, 7
	v_mov_b32_e32 v41, 0x7c01
	s_mov_b32 s13, exec_lo
	v_cmpx_ne_u32_e32 0x7f, v45
	s_cbranch_execz .LBB273_345
; %bb.342:                              ;   in Loop: Header=BB273_225 Depth=1
	v_and_b32_e32 v41, 7, v2
	v_lshrrev_b32_e32 v44, 3, v45
	s_mov_b32 s17, exec_lo
	v_cmpx_gt_u32_e32 8, v45
; %bb.343:                              ;   in Loop: Header=BB273_225 Depth=1
	v_ffbh_u32_e32 v41, v41
	v_min_u32_e32 v41, 32, v41
	v_subrev_nc_u32_e32 v44, 28, v41
	v_lshlrev_b64 v[45:46], v44, v[2:3]
	v_sub_nc_u32_e32 v44, 29, v41
	v_and_b32_e32 v41, 7, v45
; %bb.344:                              ;   in Loop: Header=BB273_225 Depth=1
	s_or_b32 exec_lo, exec_lo, s17
	v_lshlrev_b32_e32 v2, 8, v2
	v_lshl_add_u32 v44, v44, 10, 0x2000
	v_lshlrev_b32_e32 v41, 7, v41
	v_and_b32_e32 v2, 0x8000, v2
	v_and_b32_e32 v44, 0xfc00, v44
	v_or3_b32 v41, v2, v44, v41
.LBB273_345:                            ;   in Loop: Header=BB273_225 Depth=1
	s_or_b32 exec_lo, exec_lo, s13
.LBB273_346:                            ;   in Loop: Header=BB273_225 Depth=1
	s_or_b32 exec_lo, exec_lo, s12
.LBB273_347:                            ;   in Loop: Header=BB273_225 Depth=1
	s_or_b32 exec_lo, exec_lo, s9
	v_cmp_lt_u64_e64 s0, s[4:5], v[10:11]
	v_mov_b32_e32 v10, 0
	s_and_saveexec_b32 s9, s0
	s_cbranch_execz .LBB273_355
; %bb.348:                              ;   in Loop: Header=BB273_225 Depth=1
	v_lshrrev_b32_e32 v2, 24, v11
	v_bfrev_b32_e32 v10, 1
	s_mov_b32 s12, exec_lo
	v_cmpx_ne_u32_e32 0x80, v2
	s_cbranch_execz .LBB273_354
; %bb.349:                              ;   in Loop: Header=BB273_225 Depth=1
	v_and_b32_e32 v44, 0x7f, v2
	v_mov_b32_e32 v10, 0x7c010000
	s_mov_b32 s13, exec_lo
	v_cmpx_ne_u32_e32 0x7f, v44
	s_cbranch_execz .LBB273_353
; %bb.350:                              ;   in Loop: Header=BB273_225 Depth=1
	v_and_b32_e32 v10, 7, v2
	v_lshrrev_b32_e32 v11, 3, v44
	s_mov_b32 s17, exec_lo
	v_cmpx_gt_u32_e32 8, v44
; %bb.351:                              ;   in Loop: Header=BB273_225 Depth=1
	v_ffbh_u32_e32 v10, v10
	v_min_u32_e32 v44, 32, v10
	v_subrev_nc_u32_e32 v10, 28, v44
	v_lshlrev_b64 v[10:11], v10, v[2:3]
	v_sub_nc_u32_e32 v11, 29, v44
	v_and_b32_e32 v10, 7, v10
; %bb.352:                              ;   in Loop: Header=BB273_225 Depth=1
	s_or_b32 exec_lo, exec_lo, s17
	v_lshlrev_b32_e32 v2, 8, v2
	v_lshl_add_u32 v11, v11, 10, 0x2000
	v_lshlrev_b32_e32 v10, 23, v10
	v_and_or_b32 v2, 0x8000, v2, v11
	v_lshl_or_b32 v10, v2, 16, v10
.LBB273_353:                            ;   in Loop: Header=BB273_225 Depth=1
	s_or_b32 exec_lo, exec_lo, s13
.LBB273_354:                            ;   in Loop: Header=BB273_225 Depth=1
	s_or_b32 exec_lo, exec_lo, s12
.LBB273_355:                            ;   in Loop: Header=BB273_225 Depth=1
	s_or_b32 exec_lo, exec_lo, s9
	v_or_b32_e32 v2, v39, v40
	s_waitcnt vmcnt(0)
	v_fma_mixlo_f16 v11, v36, v39, 0 op_sel:[0,1,0] op_sel_hi:[0,1,0]
	v_or_b32_e32 v39, v37, v38
	v_fma_mixlo_f16 v37, v36, v37, 0 op_sel:[0,1,0] op_sel_hi:[0,1,0]
	v_or_b32_e32 v40, v43, v42
	v_or_b32_e32 v41, v10, v41
	v_fma_mixlo_f16 v42, v36, v2, 0 op_sel_hi:[0,1,0]
	v_fma_mixlo_f16 v10, v36, v10, 0 op_sel:[0,1,0] op_sel_hi:[0,1,0]
	v_lshlrev_b32_e32 v38, 16, v37
	v_fma_mixlo_f16 v37, v36, v39, 0 op_sel_hi:[0,1,0]
	v_fma_mixlo_f16 v39, v36, v43, 0 op_sel:[0,1,0] op_sel_hi:[0,1,0]
	v_fma_mixlo_f16 v40, v36, v40, 0 op_sel_hi:[0,1,0]
	v_fma_mixlo_f16 v41, v36, v41, 0 op_sel_hi:[0,1,0]
	v_lshlrev_b32_e32 v2, 16, v11
	v_and_b32_e32 v11, 0xffff, v42
	v_and_b32_e32 v44, 0xffff, v37
	v_lshlrev_b32_e32 v36, 16, v39
	v_and_b32_e32 v40, 0xffff, v40
	v_lshlrev_b32_e32 v10, 16, v10
	v_and_b32_e32 v37, 0xffff, v41
	v_or_b32_e32 v39, v2, v11
	v_or_b32_e32 v43, v38, v44
	;; [unrolled: 1-line block ×4, first 2 shown]
	s_and_saveexec_b32 s9, vcc_lo
	s_cbranch_execz .LBB273_357
; %bb.356:                              ;   in Loop: Header=BB273_225 Depth=1
	v_cmp_gt_i32_e64 s0, s27, v23
	v_cndmask_b32_e64 v39, 0, v44, s0
	v_cmp_gt_i32_e64 s0, s27, v29
	v_cndmask_b32_e64 v38, 0, v38, s0
	v_cmp_gt_i32_e64 s0, s27, v28
	v_or_b32_e32 v43, v38, v39
	v_cndmask_b32_e64 v11, 0, v11, s0
	v_cmp_gt_i32_e64 s0, s27, v27
	v_cndmask_b32_e64 v2, 0, v2, s0
	v_cmp_gt_i32_e64 s0, s27, v26
	v_or_b32_e32 v39, v2, v11
	;; [unrolled: 5-line block ×3, first 2 shown]
	v_cndmask_b32_e64 v37, 0, v37, s0
	v_cmp_gt_i32_e64 s0, s27, v17
	v_cndmask_b32_e64 v10, 0, v10, s0
	v_or_b32_e32 v41, v10, v37
.LBB273_357:                            ;   in Loop: Header=BB273_225 Depth=1
	s_or_b32 exec_lo, exec_lo, s9
	;;#ASMSTART
	v_pk_mul_f16 v2, v33, v43;

	;;#ASMEND
	;;#ASMSTART
	v_pk_mul_f16 v10, v32, v39;

	;;#ASMEND
	;; [unrolled: 4-line block ×4, first 2 shown]
	;;#ASMSTART
	v_pk_add_f16 v2, v2, v10;

	;;#ASMEND
	;;#ASMSTART
	v_pk_add_f16 v2, v2, v11;

	;;#ASMEND
	;; [unrolled: 4-line block ×3, first 2 shown]
	v_and_b32_e32 v10, 0xffff, v2
	v_lshrrev_b32_e32 v2, 16, v2
	;;#ASMSTART
	v_cvt_f32_f16 v10, v10;
	;;#ASMEND
	;;#ASMSTART
	v_cvt_f32_f16 v11, v2;
	;;#ASMEND
	global_load_dwordx2 v[8:9], v[8:9], off offset:512
	v_mov_b32_e32 v37, 0
	v_mov_b32_e32 v38, 0
	global_load_dword v36, v37, s[14:15]
	s_waitcnt vmcnt(1)
	v_cmp_ne_u16_sdwa s0, v8, v3 src0_sel:BYTE_0 src1_sel:DWORD
	s_and_saveexec_b32 s9, s0
	s_cbranch_execz .LBB273_365
; %bb.358:                              ;   in Loop: Header=BB273_225 Depth=1
	v_cmp_ne_u16_sdwa s0, v8, v19 src0_sel:BYTE_0 src1_sel:DWORD
	v_mov_b32_e32 v38, 0x8000
	s_and_saveexec_b32 s12, s0
	s_cbranch_execz .LBB273_364
; %bb.359:                              ;   in Loop: Header=BB273_225 Depth=1
	v_and_b32_e32 v39, 0x7f, v8
	v_mov_b32_e32 v38, 0x7c01
	s_mov_b32 s13, exec_lo
	v_cmpx_ne_u32_e32 0x7f, v39
	s_cbranch_execz .LBB273_363
; %bb.360:                              ;   in Loop: Header=BB273_225 Depth=1
	v_and_b32_e32 v2, 7, v8
	v_lshrrev_b32_e32 v38, 3, v39
	s_mov_b32 s17, exec_lo
	v_cmpx_gt_u32_e32 8, v39
; %bb.361:                              ;   in Loop: Header=BB273_225 Depth=1
	v_ffbh_u32_e32 v2, v2
	v_min_u32_e32 v2, 32, v2
	v_subrev_nc_u32_e32 v38, 28, v2
	v_lshlrev_b64 v[39:40], v38, v[8:9]
	v_sub_nc_u32_e32 v38, 29, v2
	v_and_b32_e32 v2, 7, v39
; %bb.362:                              ;   in Loop: Header=BB273_225 Depth=1
	s_or_b32 exec_lo, exec_lo, s17
	v_lshlrev_b32_e32 v39, 8, v8
	v_lshl_add_u32 v38, v38, 10, 0x2000
	v_lshlrev_b32_e32 v2, 7, v2
	v_and_b32_e32 v39, 0x8000, v39
	v_and_b32_e32 v38, 0xfc00, v38
	v_or3_b32 v38, v39, v38, v2
.LBB273_363:                            ;   in Loop: Header=BB273_225 Depth=1
	s_or_b32 exec_lo, exec_lo, s13
.LBB273_364:                            ;   in Loop: Header=BB273_225 Depth=1
	s_or_b32 exec_lo, exec_lo, s12
.LBB273_365:                            ;   in Loop: Header=BB273_225 Depth=1
	s_or_b32 exec_lo, exec_lo, s9
	v_lshrrev_b16 v2, 8, v8
	s_mov_b32 s9, exec_lo
	v_cmpx_ne_u16_e32 0, v2
	s_cbranch_execz .LBB273_373
; %bb.366:                              ;   in Loop: Header=BB273_225 Depth=1
	v_bfrev_b32_e32 v37, 1
	s_mov_b32 s12, exec_lo
	v_cmpx_ne_u16_e32 0x80, v2
	s_cbranch_execz .LBB273_372
; %bb.367:                              ;   in Loop: Header=BB273_225 Depth=1
	v_and_b32_sdwa v40, v2, v20 dst_sel:DWORD dst_unused:UNUSED_PAD src0_sel:WORD_0 src1_sel:DWORD
	v_mov_b32_e32 v37, 0x7c010000
	s_mov_b32 s13, exec_lo
	v_cmpx_ne_u32_e32 0x7f, v40
	s_cbranch_execz .LBB273_371
; %bb.368:                              ;   in Loop: Header=BB273_225 Depth=1
	v_and_b32_sdwa v37, v2, v21 dst_sel:DWORD dst_unused:UNUSED_PAD src0_sel:WORD_0 src1_sel:DWORD
	v_lshrrev_b32_e32 v39, 3, v40
	s_mov_b32 s17, exec_lo
	v_cmpx_gt_u32_e32 8, v40
; %bb.369:                              ;   in Loop: Header=BB273_225 Depth=1
	v_ffbh_u32_e32 v37, v37
	v_min_u32_e32 v37, 32, v37
	v_subrev_nc_u32_e32 v39, 28, v37
	v_lshlrev_b64 v[40:41], v39, v[2:3]
	v_sub_nc_u32_e32 v39, 29, v37
	v_and_b32_e32 v37, 7, v40
; %bb.370:                              ;   in Loop: Header=BB273_225 Depth=1
	s_or_b32 exec_lo, exec_lo, s17
	v_lshlrev_b32_sdwa v2, v22, v2 dst_sel:DWORD dst_unused:UNUSED_PAD src0_sel:DWORD src1_sel:WORD_0
	v_lshl_add_u32 v39, v39, 10, 0x2000
	v_lshlrev_b32_e32 v37, 23, v37
	v_and_or_b32 v2, 0x8000, v2, v39
	v_lshl_or_b32 v37, v2, 16, v37
.LBB273_371:                            ;   in Loop: Header=BB273_225 Depth=1
	s_or_b32 exec_lo, exec_lo, s13
.LBB273_372:                            ;   in Loop: Header=BB273_225 Depth=1
	s_or_b32 exec_lo, exec_lo, s12
.LBB273_373:                            ;   in Loop: Header=BB273_225 Depth=1
	s_or_b32 exec_lo, exec_lo, s9
	v_lshrrev_b32_e32 v2, 16, v8
	v_mov_b32_e32 v39, 0
	v_mov_b32_e32 v40, 0
	v_cmp_ne_u16_sdwa s0, v2, v3 src0_sel:BYTE_0 src1_sel:DWORD
	s_and_saveexec_b32 s9, s0
	s_cbranch_execz .LBB273_381
; %bb.374:                              ;   in Loop: Header=BB273_225 Depth=1
	v_cmp_ne_u16_sdwa s0, v2, v19 src0_sel:BYTE_0 src1_sel:DWORD
	v_mov_b32_e32 v40, 0x8000
	s_and_saveexec_b32 s12, s0
	s_cbranch_execz .LBB273_380
; %bb.375:                              ;   in Loop: Header=BB273_225 Depth=1
	v_bfe_u32 v42, v8, 16, 7
	v_mov_b32_e32 v40, 0x7c01
	s_mov_b32 s13, exec_lo
	v_cmpx_ne_u32_e32 0x7f, v42
	s_cbranch_execz .LBB273_379
; %bb.376:                              ;   in Loop: Header=BB273_225 Depth=1
	v_and_b32_e32 v40, 7, v2
	v_lshrrev_b32_e32 v41, 3, v42
	s_mov_b32 s17, exec_lo
	v_cmpx_gt_u32_e32 8, v42
; %bb.377:                              ;   in Loop: Header=BB273_225 Depth=1
	v_ffbh_u32_e32 v40, v40
	v_min_u32_e32 v42, 32, v40
	v_subrev_nc_u32_e32 v40, 28, v42
	v_lshlrev_b64 v[40:41], v40, v[2:3]
	v_sub_nc_u32_e32 v41, 29, v42
	v_and_b32_e32 v40, 7, v40
; %bb.378:                              ;   in Loop: Header=BB273_225 Depth=1
	s_or_b32 exec_lo, exec_lo, s17
	v_lshlrev_b32_e32 v2, 8, v2
	v_lshl_add_u32 v41, v41, 10, 0x2000
	v_lshlrev_b32_e32 v40, 7, v40
	v_and_b32_e32 v2, 0x8000, v2
	v_and_b32_e32 v41, 0xfc00, v41
	v_or3_b32 v40, v2, v41, v40
.LBB273_379:                            ;   in Loop: Header=BB273_225 Depth=1
	s_or_b32 exec_lo, exec_lo, s13
.LBB273_380:                            ;   in Loop: Header=BB273_225 Depth=1
	s_or_b32 exec_lo, exec_lo, s12
.LBB273_381:                            ;   in Loop: Header=BB273_225 Depth=1
	s_or_b32 exec_lo, exec_lo, s9
	s_mov_b32 s9, exec_lo
	v_cmpx_lt_u32_e32 0xffffff, v8
	s_cbranch_execz .LBB273_389
; %bb.382:                              ;   in Loop: Header=BB273_225 Depth=1
	v_lshrrev_b32_e32 v2, 24, v8
	v_bfrev_b32_e32 v39, 1
	s_mov_b32 s12, exec_lo
	v_cmpx_ne_u32_e32 0x80, v2
	s_cbranch_execz .LBB273_388
; %bb.383:                              ;   in Loop: Header=BB273_225 Depth=1
	v_and_b32_e32 v42, 0x7f, v2
	v_mov_b32_e32 v39, 0x7c010000
	s_mov_b32 s13, exec_lo
	v_cmpx_ne_u32_e32 0x7f, v42
	s_cbranch_execz .LBB273_387
; %bb.384:                              ;   in Loop: Header=BB273_225 Depth=1
	v_and_b32_e32 v39, 7, v2
	v_lshrrev_b32_e32 v41, 3, v42
	s_mov_b32 s17, exec_lo
	v_cmpx_gt_u32_e32 8, v42
; %bb.385:                              ;   in Loop: Header=BB273_225 Depth=1
	v_ffbh_u32_e32 v39, v39
	v_min_u32_e32 v39, 32, v39
	v_subrev_nc_u32_e32 v41, 28, v39
	v_lshlrev_b64 v[42:43], v41, v[2:3]
	v_sub_nc_u32_e32 v41, 29, v39
	v_and_b32_e32 v39, 7, v42
; %bb.386:                              ;   in Loop: Header=BB273_225 Depth=1
	s_or_b32 exec_lo, exec_lo, s17
	v_lshlrev_b32_e32 v2, 8, v2
	v_lshl_add_u32 v41, v41, 10, 0x2000
	v_lshlrev_b32_e32 v39, 23, v39
	v_and_or_b32 v2, 0x8000, v2, v41
	v_lshl_or_b32 v39, v2, 16, v39
.LBB273_387:                            ;   in Loop: Header=BB273_225 Depth=1
	s_or_b32 exec_lo, exec_lo, s13
.LBB273_388:                            ;   in Loop: Header=BB273_225 Depth=1
	s_or_b32 exec_lo, exec_lo, s12
.LBB273_389:                            ;   in Loop: Header=BB273_225 Depth=1
	s_or_b32 exec_lo, exec_lo, s9
	v_mov_b32_e32 v2, v9
	v_cmp_ne_u16_sdwa s0, v9, v3 src0_sel:BYTE_0 src1_sel:DWORD
	v_mov_b32_e32 v41, 0
	v_mov_b32_e32 v42, 0
	s_and_saveexec_b32 s9, s0
	s_cbranch_execz .LBB273_397
; %bb.390:                              ;   in Loop: Header=BB273_225 Depth=1
	v_cmp_ne_u16_sdwa s0, v9, v19 src0_sel:BYTE_0 src1_sel:DWORD
	v_mov_b32_e32 v42, 0x8000
	s_and_saveexec_b32 s12, s0
	s_cbranch_execz .LBB273_396
; %bb.391:                              ;   in Loop: Header=BB273_225 Depth=1
	v_and_b32_e32 v44, 0x7f, v9
	v_mov_b32_e32 v42, 0x7c01
	s_mov_b32 s13, exec_lo
	v_cmpx_ne_u32_e32 0x7f, v44
	s_cbranch_execz .LBB273_395
; %bb.392:                              ;   in Loop: Header=BB273_225 Depth=1
	v_and_b32_e32 v42, 7, v9
	v_lshrrev_b32_e32 v43, 3, v44
	s_mov_b32 s17, exec_lo
	v_cmpx_gt_u32_e32 8, v44
; %bb.393:                              ;   in Loop: Header=BB273_225 Depth=1
	v_ffbh_u32_e32 v42, v42
	v_min_u32_e32 v44, 32, v42
	v_subrev_nc_u32_e32 v42, 28, v44
	v_lshlrev_b64 v[42:43], v42, v[2:3]
	v_sub_nc_u32_e32 v43, 29, v44
	v_and_b32_e32 v42, 7, v42
; %bb.394:                              ;   in Loop: Header=BB273_225 Depth=1
	s_or_b32 exec_lo, exec_lo, s17
	v_lshlrev_b32_e32 v44, 8, v9
	v_lshl_add_u32 v43, v43, 10, 0x2000
	v_lshlrev_b32_e32 v42, 7, v42
	v_and_b32_e32 v44, 0x8000, v44
	v_and_b32_e32 v43, 0xfc00, v43
	v_or3_b32 v42, v44, v43, v42
.LBB273_395:                            ;   in Loop: Header=BB273_225 Depth=1
	s_or_b32 exec_lo, exec_lo, s13
.LBB273_396:                            ;   in Loop: Header=BB273_225 Depth=1
	s_or_b32 exec_lo, exec_lo, s12
.LBB273_397:                            ;   in Loop: Header=BB273_225 Depth=1
	s_or_b32 exec_lo, exec_lo, s9
	v_lshrrev_b16 v2, 8, v2
	v_mov_b32_e32 v43, 0
	s_mov_b32 s9, exec_lo
	v_cmpx_ne_u16_e32 0, v2
	s_cbranch_execz .LBB273_405
; %bb.398:                              ;   in Loop: Header=BB273_225 Depth=1
	v_bfrev_b32_e32 v43, 1
	s_mov_b32 s12, exec_lo
	v_cmpx_ne_u16_e32 0x80, v2
	s_cbranch_execz .LBB273_404
; %bb.399:                              ;   in Loop: Header=BB273_225 Depth=1
	v_and_b32_sdwa v45, v2, v20 dst_sel:DWORD dst_unused:UNUSED_PAD src0_sel:WORD_0 src1_sel:DWORD
	v_mov_b32_e32 v43, 0x7c010000
	s_mov_b32 s13, exec_lo
	v_cmpx_ne_u32_e32 0x7f, v45
	s_cbranch_execz .LBB273_403
; %bb.400:                              ;   in Loop: Header=BB273_225 Depth=1
	v_and_b32_sdwa v43, v2, v21 dst_sel:DWORD dst_unused:UNUSED_PAD src0_sel:WORD_0 src1_sel:DWORD
	v_lshrrev_b32_e32 v44, 3, v45
	s_mov_b32 s17, exec_lo
	v_cmpx_gt_u32_e32 8, v45
; %bb.401:                              ;   in Loop: Header=BB273_225 Depth=1
	v_ffbh_u32_e32 v43, v43
	v_min_u32_e32 v45, 32, v43
	v_subrev_nc_u32_e32 v43, 28, v45
	v_lshlrev_b64 v[43:44], v43, v[2:3]
	v_sub_nc_u32_e32 v44, 29, v45
	v_and_b32_e32 v43, 7, v43
; %bb.402:                              ;   in Loop: Header=BB273_225 Depth=1
	s_or_b32 exec_lo, exec_lo, s17
	v_lshlrev_b32_sdwa v2, v22, v2 dst_sel:DWORD dst_unused:UNUSED_PAD src0_sel:DWORD src1_sel:WORD_0
	v_lshl_add_u32 v44, v44, 10, 0x2000
	v_lshlrev_b32_e32 v43, 23, v43
	v_and_or_b32 v2, 0x8000, v2, v44
	v_lshl_or_b32 v43, v2, 16, v43
.LBB273_403:                            ;   in Loop: Header=BB273_225 Depth=1
	s_or_b32 exec_lo, exec_lo, s13
.LBB273_404:                            ;   in Loop: Header=BB273_225 Depth=1
	s_or_b32 exec_lo, exec_lo, s12
.LBB273_405:                            ;   in Loop: Header=BB273_225 Depth=1
	s_or_b32 exec_lo, exec_lo, s9
	v_lshrrev_b32_e32 v2, 16, v9
	v_cmp_ne_u16_sdwa s0, v2, v3 src0_sel:BYTE_0 src1_sel:DWORD
	s_and_saveexec_b32 s9, s0
	s_cbranch_execz .LBB273_413
; %bb.406:                              ;   in Loop: Header=BB273_225 Depth=1
	v_cmp_ne_u16_sdwa s0, v2, v19 src0_sel:BYTE_0 src1_sel:DWORD
	v_mov_b32_e32 v41, 0x8000
	s_and_saveexec_b32 s12, s0
	s_cbranch_execz .LBB273_412
; %bb.407:                              ;   in Loop: Header=BB273_225 Depth=1
	v_bfe_u32 v45, v9, 16, 7
	v_mov_b32_e32 v41, 0x7c01
	s_mov_b32 s13, exec_lo
	v_cmpx_ne_u32_e32 0x7f, v45
	s_cbranch_execz .LBB273_411
; %bb.408:                              ;   in Loop: Header=BB273_225 Depth=1
	v_and_b32_e32 v41, 7, v2
	v_lshrrev_b32_e32 v44, 3, v45
	s_mov_b32 s17, exec_lo
	v_cmpx_gt_u32_e32 8, v45
; %bb.409:                              ;   in Loop: Header=BB273_225 Depth=1
	v_ffbh_u32_e32 v41, v41
	v_min_u32_e32 v41, 32, v41
	v_subrev_nc_u32_e32 v44, 28, v41
	v_lshlrev_b64 v[45:46], v44, v[2:3]
	v_sub_nc_u32_e32 v44, 29, v41
	v_and_b32_e32 v41, 7, v45
; %bb.410:                              ;   in Loop: Header=BB273_225 Depth=1
	s_or_b32 exec_lo, exec_lo, s17
	v_lshlrev_b32_e32 v2, 8, v2
	v_lshl_add_u32 v44, v44, 10, 0x2000
	v_lshlrev_b32_e32 v41, 7, v41
	v_and_b32_e32 v2, 0x8000, v2
	v_and_b32_e32 v44, 0xfc00, v44
	v_or3_b32 v41, v2, v44, v41
.LBB273_411:                            ;   in Loop: Header=BB273_225 Depth=1
	s_or_b32 exec_lo, exec_lo, s13
.LBB273_412:                            ;   in Loop: Header=BB273_225 Depth=1
	s_or_b32 exec_lo, exec_lo, s12
.LBB273_413:                            ;   in Loop: Header=BB273_225 Depth=1
	s_or_b32 exec_lo, exec_lo, s9
	v_cmp_lt_u64_e64 s0, s[4:5], v[8:9]
	v_mov_b32_e32 v8, 0
	s_and_saveexec_b32 s9, s0
	s_cbranch_execz .LBB273_421
; %bb.414:                              ;   in Loop: Header=BB273_225 Depth=1
	v_lshrrev_b32_e32 v2, 24, v9
	v_bfrev_b32_e32 v8, 1
	s_mov_b32 s12, exec_lo
	v_cmpx_ne_u32_e32 0x80, v2
	s_cbranch_execz .LBB273_420
; %bb.415:                              ;   in Loop: Header=BB273_225 Depth=1
	v_and_b32_e32 v44, 0x7f, v2
	v_mov_b32_e32 v8, 0x7c010000
	s_mov_b32 s13, exec_lo
	v_cmpx_ne_u32_e32 0x7f, v44
	s_cbranch_execz .LBB273_419
; %bb.416:                              ;   in Loop: Header=BB273_225 Depth=1
	v_and_b32_e32 v8, 7, v2
	v_lshrrev_b32_e32 v9, 3, v44
	s_mov_b32 s17, exec_lo
	v_cmpx_gt_u32_e32 8, v44
; %bb.417:                              ;   in Loop: Header=BB273_225 Depth=1
	v_ffbh_u32_e32 v8, v8
	v_min_u32_e32 v44, 32, v8
	v_subrev_nc_u32_e32 v8, 28, v44
	v_lshlrev_b64 v[8:9], v8, v[2:3]
	v_sub_nc_u32_e32 v9, 29, v44
	v_and_b32_e32 v8, 7, v8
; %bb.418:                              ;   in Loop: Header=BB273_225 Depth=1
	s_or_b32 exec_lo, exec_lo, s17
	v_lshlrev_b32_e32 v2, 8, v2
	v_lshl_add_u32 v9, v9, 10, 0x2000
	v_lshlrev_b32_e32 v8, 23, v8
	v_and_or_b32 v2, 0x8000, v2, v9
	v_lshl_or_b32 v8, v2, 16, v8
.LBB273_419:                            ;   in Loop: Header=BB273_225 Depth=1
	s_or_b32 exec_lo, exec_lo, s13
.LBB273_420:                            ;   in Loop: Header=BB273_225 Depth=1
	s_or_b32 exec_lo, exec_lo, s12
.LBB273_421:                            ;   in Loop: Header=BB273_225 Depth=1
	s_or_b32 exec_lo, exec_lo, s9
	v_or_b32_e32 v2, v39, v40
	s_waitcnt vmcnt(0)
	v_fma_mixlo_f16 v9, v36, v39, 0 op_sel:[0,1,0] op_sel_hi:[0,1,0]
	v_or_b32_e32 v38, v37, v38
	v_fma_mixlo_f16 v37, v36, v37, 0 op_sel:[0,1,0] op_sel_hi:[0,1,0]
	v_or_b32_e32 v39, v43, v42
	v_fma_mixlo_f16 v40, v36, v2, 0 op_sel_hi:[0,1,0]
	v_or_b32_e32 v41, v8, v41
	v_lshlrev_b32_e32 v2, 16, v9
	v_lshlrev_b32_e32 v42, 16, v37
	v_fma_mixlo_f16 v9, v36, v38, 0 op_sel_hi:[0,1,0]
	v_and_b32_e32 v38, 0xffff, v40
	v_fma_mixlo_f16 v37, v36, v43, 0 op_sel:[0,1,0] op_sel_hi:[0,1,0]
	v_fma_mixlo_f16 v40, v36, v39, 0 op_sel_hi:[0,1,0]
	v_fma_mixlo_f16 v8, v36, v8, 0 op_sel:[0,1,0] op_sel_hi:[0,1,0]
	v_fma_mixlo_f16 v36, v36, v41, 0 op_sel_hi:[0,1,0]
	v_and_b32_e32 v44, 0xffff, v9
	v_lshlrev_b32_e32 v39, 16, v37
	v_and_b32_e32 v43, 0xffff, v40
	v_lshlrev_b32_e32 v8, 16, v8
	v_and_b32_e32 v40, 0xffff, v36
	v_or_b32_e32 v9, v2, v38
	v_or_b32_e32 v41, v42, v44
	;; [unrolled: 1-line block ×4, first 2 shown]
	s_and_saveexec_b32 s0, vcc_lo
	s_cbranch_execz .LBB273_224
; %bb.422:                              ;   in Loop: Header=BB273_225 Depth=1
	v_cmp_gt_i32_e32 vcc_lo, s27, v23
	v_cndmask_b32_e32 v9, 0, v44, vcc_lo
	v_cmp_gt_i32_e32 vcc_lo, s27, v29
	v_cndmask_b32_e32 v23, 0, v42, vcc_lo
	v_cmp_gt_i32_e32 vcc_lo, s27, v28
	v_or_b32_e32 v41, v23, v9
	v_cndmask_b32_e32 v28, 0, v38, vcc_lo
	v_cmp_gt_i32_e32 vcc_lo, s27, v27
	v_cndmask_b32_e32 v2, 0, v2, vcc_lo
	v_cmp_gt_i32_e32 vcc_lo, s27, v26
	v_or_b32_e32 v9, v2, v28
	;; [unrolled: 5-line block ×3, first 2 shown]
	v_cndmask_b32_e32 v24, 0, v40, vcc_lo
	v_cmp_gt_i32_e32 vcc_lo, s27, v17
	v_cndmask_b32_e32 v8, 0, v8, vcc_lo
	v_or_b32_e32 v36, v8, v24
	s_branch .LBB273_224
.LBB273_423:
	s_or_b32 exec_lo, exec_lo, s6
.LBB273_424:
	s_or_b32 exec_lo, exec_lo, s1
	v_lshl_add_u32 v2, v14, 2, 0xe0
	v_and_b32_e32 v3, 0x3c0, v0
	s_mov_b32 s0, exec_lo
	s_waitcnt_vscnt null, 0x0
	s_barrier
	v_mad_u32_u24 v1, 0x180, v12, v2
	buffer_gl0_inv
	v_cmpx_eq_u32_e32 64, v3
	s_cbranch_execz .LBB273_426
; %bb.425:
	v_add_nc_u32_e32 v3, 0xfffffd00, v1
	v_add_nc_u32_e32 v4, 0xfffffd80, v1
	;; [unrolled: 1-line block ×3, first 2 shown]
	ds_write_b32 v3, v16
	ds_write_b32 v4, v15
	;; [unrolled: 1-line block ×3, first 2 shown]
.LBB273_426:
	s_or_b32 exec_lo, exec_lo, s0
	s_mov_b32 s0, exec_lo
	s_waitcnt lgkmcnt(0)
	s_barrier
	buffer_gl0_inv
	v_cmpx_gt_u32_e32 64, v0
	s_cbranch_execz .LBB273_428
; %bb.427:
	ds_read2_b32 v[3:4], v1 offset1:32
	ds_read_b32 v5, v1 offset:256
	s_waitcnt lgkmcnt(1)
	v_add_f32_e32 v16, v16, v3
	v_add_f32_e32 v15, v15, v4
	s_waitcnt lgkmcnt(0)
	v_add_f32_e32 v13, v13, v5
.LBB273_428:
	s_or_b32 exec_lo, exec_lo, s0
	v_and_b32_e32 v3, 0x3e0, v0
	s_mov_b32 s0, exec_lo
	s_barrier
	buffer_gl0_inv
	v_cmpx_eq_u32_e32 32, v3
	s_cbranch_execz .LBB273_430
; %bb.429:
	ds_write2_b32 v2, v16, v15 offset1:32
	ds_write_b32 v2, v13 offset:256
.LBB273_430:
	s_or_b32 exec_lo, exec_lo, s0
	v_cmp_gt_u32_e32 vcc_lo, 32, v0
	s_waitcnt lgkmcnt(0)
	s_barrier
	buffer_gl0_inv
	s_and_saveexec_b32 s0, vcc_lo
	s_cbranch_execz .LBB273_432
; %bb.431:
	ds_read2_b32 v[2:3], v1 offset1:32
	ds_read_b32 v1, v1 offset:256
	s_waitcnt lgkmcnt(1)
	v_add_f32_e32 v16, v16, v2
	v_add_f32_e32 v15, v15, v3
	s_waitcnt lgkmcnt(0)
	v_add_f32_e32 v13, v13, v1
.LBB273_432:
	s_or_b32 exec_lo, exec_lo, s0
	s_barrier
	buffer_gl0_inv
	s_and_saveexec_b32 s0, vcc_lo
	s_cbranch_execz .LBB273_434
; %bb.433:
	s_mul_i32 s0, s2, 0x60
	s_mul_i32 s2, s7, s10
	s_ashr_i32 s1, s0, 31
	v_lshlrev_b32_e32 v0, 1, v0
	s_lshl_b64 s[0:1], s[0:1], 1
	;;#ASMSTART
	v_cvt_f16_f32 v1, v16;

	;;#ASMEND
	s_add_u32 s4, s24, s0
	s_addc_u32 s5, s25, s1
	s_ashr_i32 s3, s2, 31
	s_lshl_b64 s[0:1], s[2:3], 1
	s_mul_i32 s2, s8, 0x60
	s_add_u32 s4, s4, s0
	s_addc_u32 s5, s5, s1
	s_ashr_i32 s3, s2, 31
	s_lshl_b64 s[0:1], s[2:3], 1
	s_add_u32 s0, s4, s0
	s_addc_u32 s1, s5, s1
	global_store_short v0, v1, s[0:1]
	;;#ASMSTART
	v_cvt_f16_f32 v1, v15;

	;;#ASMEND
	global_store_short v0, v1, s[0:1] offset:64
	;;#ASMSTART
	v_cvt_f16_f32 v1, v13;

	;;#ASMEND
	global_store_short v0, v1, s[0:1] offset:128
.LBB273_434:
	s_endpgm
	.section	.rodata,"a",@progbits
	.p2align	6, 0x0
	.amdhsa_kernel _ZN4vllm25paged_attention_v2_kernelIthLi96ELi8ELi128ELNS_18Fp8KVCacheDataTypeE1ELb0ELi512EEEvPfS2_PT_PKS3_PKT0_S9_ifPKiSB_iPKfiiiSD_SD_iiiii
		.amdhsa_group_segment_fixed_size 224
		.amdhsa_private_segment_fixed_size 0
		.amdhsa_kernarg_size 400
		.amdhsa_user_sgpr_count 6
		.amdhsa_user_sgpr_private_segment_buffer 1
		.amdhsa_user_sgpr_dispatch_ptr 0
		.amdhsa_user_sgpr_queue_ptr 0
		.amdhsa_user_sgpr_kernarg_segment_ptr 1
		.amdhsa_user_sgpr_dispatch_id 0
		.amdhsa_user_sgpr_flat_scratch_init 0
		.amdhsa_user_sgpr_private_segment_size 0
		.amdhsa_wavefront_size32 1
		.amdhsa_uses_dynamic_stack 0
		.amdhsa_system_sgpr_private_segment_wavefront_offset 0
		.amdhsa_system_sgpr_workgroup_id_x 1
		.amdhsa_system_sgpr_workgroup_id_y 1
		.amdhsa_system_sgpr_workgroup_id_z 1
		.amdhsa_system_sgpr_workgroup_info 0
		.amdhsa_system_vgpr_workitem_id 0
		.amdhsa_next_free_vgpr 67
		.amdhsa_next_free_sgpr 43
		.amdhsa_reserve_vcc 1
		.amdhsa_reserve_flat_scratch 0
		.amdhsa_float_round_mode_32 0
		.amdhsa_float_round_mode_16_64 0
		.amdhsa_float_denorm_mode_32 3
		.amdhsa_float_denorm_mode_16_64 3
		.amdhsa_dx10_clamp 1
		.amdhsa_ieee_mode 1
		.amdhsa_fp16_overflow 0
		.amdhsa_workgroup_processor_mode 1
		.amdhsa_memory_ordered 1
		.amdhsa_forward_progress 1
		.amdhsa_shared_vgpr_count 0
		.amdhsa_exception_fp_ieee_invalid_op 0
		.amdhsa_exception_fp_denorm_src 0
		.amdhsa_exception_fp_ieee_div_zero 0
		.amdhsa_exception_fp_ieee_overflow 0
		.amdhsa_exception_fp_ieee_underflow 0
		.amdhsa_exception_fp_ieee_inexact 0
		.amdhsa_exception_int_div_zero 0
	.end_amdhsa_kernel
	.section	.text._ZN4vllm25paged_attention_v2_kernelIthLi96ELi8ELi128ELNS_18Fp8KVCacheDataTypeE1ELb0ELi512EEEvPfS2_PT_PKS3_PKT0_S9_ifPKiSB_iPKfiiiSD_SD_iiiii,"axG",@progbits,_ZN4vllm25paged_attention_v2_kernelIthLi96ELi8ELi128ELNS_18Fp8KVCacheDataTypeE1ELb0ELi512EEEvPfS2_PT_PKS3_PKT0_S9_ifPKiSB_iPKfiiiSD_SD_iiiii,comdat
.Lfunc_end273:
	.size	_ZN4vllm25paged_attention_v2_kernelIthLi96ELi8ELi128ELNS_18Fp8KVCacheDataTypeE1ELb0ELi512EEEvPfS2_PT_PKS3_PKT0_S9_ifPKiSB_iPKfiiiSD_SD_iiiii, .Lfunc_end273-_ZN4vllm25paged_attention_v2_kernelIthLi96ELi8ELi128ELNS_18Fp8KVCacheDataTypeE1ELb0ELi512EEEvPfS2_PT_PKS3_PKT0_S9_ifPKiSB_iPKfiiiSD_SD_iiiii
                                        ; -- End function
	.set _ZN4vllm25paged_attention_v2_kernelIthLi96ELi8ELi128ELNS_18Fp8KVCacheDataTypeE1ELb0ELi512EEEvPfS2_PT_PKS3_PKT0_S9_ifPKiSB_iPKfiiiSD_SD_iiiii.num_vgpr, 67
	.set _ZN4vllm25paged_attention_v2_kernelIthLi96ELi8ELi128ELNS_18Fp8KVCacheDataTypeE1ELb0ELi512EEEvPfS2_PT_PKS3_PKT0_S9_ifPKiSB_iPKfiiiSD_SD_iiiii.num_agpr, 0
	.set _ZN4vllm25paged_attention_v2_kernelIthLi96ELi8ELi128ELNS_18Fp8KVCacheDataTypeE1ELb0ELi512EEEvPfS2_PT_PKS3_PKT0_S9_ifPKiSB_iPKfiiiSD_SD_iiiii.numbered_sgpr, 43
	.set _ZN4vllm25paged_attention_v2_kernelIthLi96ELi8ELi128ELNS_18Fp8KVCacheDataTypeE1ELb0ELi512EEEvPfS2_PT_PKS3_PKT0_S9_ifPKiSB_iPKfiiiSD_SD_iiiii.num_named_barrier, 0
	.set _ZN4vllm25paged_attention_v2_kernelIthLi96ELi8ELi128ELNS_18Fp8KVCacheDataTypeE1ELb0ELi512EEEvPfS2_PT_PKS3_PKT0_S9_ifPKiSB_iPKfiiiSD_SD_iiiii.private_seg_size, 0
	.set _ZN4vllm25paged_attention_v2_kernelIthLi96ELi8ELi128ELNS_18Fp8KVCacheDataTypeE1ELb0ELi512EEEvPfS2_PT_PKS3_PKT0_S9_ifPKiSB_iPKfiiiSD_SD_iiiii.uses_vcc, 1
	.set _ZN4vllm25paged_attention_v2_kernelIthLi96ELi8ELi128ELNS_18Fp8KVCacheDataTypeE1ELb0ELi512EEEvPfS2_PT_PKS3_PKT0_S9_ifPKiSB_iPKfiiiSD_SD_iiiii.uses_flat_scratch, 0
	.set _ZN4vllm25paged_attention_v2_kernelIthLi96ELi8ELi128ELNS_18Fp8KVCacheDataTypeE1ELb0ELi512EEEvPfS2_PT_PKS3_PKT0_S9_ifPKiSB_iPKfiiiSD_SD_iiiii.has_dyn_sized_stack, 0
	.set _ZN4vllm25paged_attention_v2_kernelIthLi96ELi8ELi128ELNS_18Fp8KVCacheDataTypeE1ELb0ELi512EEEvPfS2_PT_PKS3_PKT0_S9_ifPKiSB_iPKfiiiSD_SD_iiiii.has_recursion, 0
	.set _ZN4vllm25paged_attention_v2_kernelIthLi96ELi8ELi128ELNS_18Fp8KVCacheDataTypeE1ELb0ELi512EEEvPfS2_PT_PKS3_PKT0_S9_ifPKiSB_iPKfiiiSD_SD_iiiii.has_indirect_call, 0
	.section	.AMDGPU.csdata,"",@progbits
; Kernel info:
; codeLenInByte = 15376
; TotalNumSgprs: 45
; NumVgprs: 67
; ScratchSize: 0
; MemoryBound: 0
; FloatMode: 240
; IeeeMode: 1
; LDSByteSize: 224 bytes/workgroup (compile time only)
; SGPRBlocks: 0
; VGPRBlocks: 8
; NumSGPRsForWavesPerEU: 45
; NumVGPRsForWavesPerEU: 67
; Occupancy: 12
; WaveLimiterHint : 1
; COMPUTE_PGM_RSRC2:SCRATCH_EN: 0
; COMPUTE_PGM_RSRC2:USER_SGPR: 6
; COMPUTE_PGM_RSRC2:TRAP_HANDLER: 0
; COMPUTE_PGM_RSRC2:TGID_X_EN: 1
; COMPUTE_PGM_RSRC2:TGID_Y_EN: 1
; COMPUTE_PGM_RSRC2:TGID_Z_EN: 1
; COMPUTE_PGM_RSRC2:TIDIG_COMP_CNT: 0
	.section	.text._ZN4vllm25paged_attention_v2_kernelIthLi112ELi8ELi128ELNS_18Fp8KVCacheDataTypeE1ELb0ELi512EEEvPfS2_PT_PKS3_PKT0_S9_ifPKiSB_iPKfiiiSD_SD_iiiii,"axG",@progbits,_ZN4vllm25paged_attention_v2_kernelIthLi112ELi8ELi128ELNS_18Fp8KVCacheDataTypeE1ELb0ELi512EEEvPfS2_PT_PKS3_PKT0_S9_ifPKiSB_iPKfiiiSD_SD_iiiii,comdat
	.protected	_ZN4vllm25paged_attention_v2_kernelIthLi112ELi8ELi128ELNS_18Fp8KVCacheDataTypeE1ELb0ELi512EEEvPfS2_PT_PKS3_PKT0_S9_ifPKiSB_iPKfiiiSD_SD_iiiii ; -- Begin function _ZN4vllm25paged_attention_v2_kernelIthLi112ELi8ELi128ELNS_18Fp8KVCacheDataTypeE1ELb0ELi512EEEvPfS2_PT_PKS3_PKT0_S9_ifPKiSB_iPKfiiiSD_SD_iiiii
	.globl	_ZN4vllm25paged_attention_v2_kernelIthLi112ELi8ELi128ELNS_18Fp8KVCacheDataTypeE1ELb0ELi512EEEvPfS2_PT_PKS3_PKT0_S9_ifPKiSB_iPKfiiiSD_SD_iiiii
	.p2align	8
	.type	_ZN4vllm25paged_attention_v2_kernelIthLi112ELi8ELi128ELNS_18Fp8KVCacheDataTypeE1ELb0ELi512EEEvPfS2_PT_PKS3_PKT0_S9_ifPKiSB_iPKfiiiSD_SD_iiiii,@function
_ZN4vllm25paged_attention_v2_kernelIthLi112ELi8ELi128ELNS_18Fp8KVCacheDataTypeE1ELb0ELi512EEEvPfS2_PT_PKS3_PKT0_S9_ifPKiSB_iPKfiiiSD_SD_iiiii: ; @_ZN4vllm25paged_attention_v2_kernelIthLi112ELi8ELi128ELNS_18Fp8KVCacheDataTypeE1ELb0ELi512EEEvPfS2_PT_PKS3_PKT0_S9_ifPKiSB_iPKfiiiSD_SD_iiiii
; %bb.0:
	s_load_dwordx2 s[0:1], s[4:5], 0x40
	s_mov_b32 s26, s7
	s_ashr_i32 s27, s7, 31
	s_lshl_b64 s[2:3], s[26:27], 2
	s_waitcnt lgkmcnt(0)
	s_add_u32 s0, s0, s2
	s_addc_u32 s1, s1, s3
	s_lshl_b32 s33, s8, 9
	s_load_dword s27, s[0:1], 0x0
	s_waitcnt lgkmcnt(0)
	s_cmp_ge_i32 s33, s27
	s_cbranch_scc1 .LBB274_541
; %bb.1:
	s_clause 0x1
	s_load_dword s9, s[4:5], 0x90
	s_load_dwordx2 s[36:37], s[4:5], 0x30
	s_waitcnt lgkmcnt(0)
	s_abs_i32 s3, s9
	s_abs_i32 s0, s36
	v_cvt_f32_u32_e32 v1, s0
	s_sub_i32 s2, 0, s0
	v_rcp_iflag_f32_e32 v1, v1
	v_mul_f32_e32 v1, 0x4f7ffffe, v1
	v_cvt_u32_f32_e32 v1, v1
	v_readfirstlane_b32 s1, v1
	s_mul_i32 s2, s2, s1
	s_mul_hi_u32 s2, s1, s2
	s_add_i32 s1, s1, s2
	s_xor_b32 s2, s9, s36
	s_mul_hi_u32 s1, s3, s1
	s_ashr_i32 s2, s2, 31
	s_mul_i32 s7, s1, s0
	s_mov_b32 s36, 0
	s_sub_i32 s3, s3, s7
	s_add_i32 s7, s1, 1
	s_sub_i32 s10, s3, s0
	s_cmp_ge_u32 s3, s0
	s_cselect_b32 s1, s7, s1
	s_cselect_b32 s3, s10, s3
	s_add_i32 s7, s1, 1
	s_cmp_ge_u32 s3, s0
	s_cselect_b32 s0, s7, s1
	s_abs_i32 s12, s6
	s_xor_b32 s0, s0, s2
	s_sub_i32 s10, s0, s2
	s_load_dwordx2 s[0:1], s[4:5], 0x50
	s_abs_i32 s2, s10
	v_cvt_f32_u32_e32 v1, s2
	s_sub_i32 s7, 0, s2
	v_rcp_iflag_f32_e32 v1, v1
	v_mul_f32_e32 v1, 0x4f7ffffe, v1
	v_cvt_u32_f32_e32 v1, v1
	v_readfirstlane_b32 s3, v1
	s_mul_i32 s7, s7, s3
	s_mul_hi_u32 s7, s3, s7
	s_add_i32 s3, s3, s7
	s_waitcnt lgkmcnt(0)
	s_cmp_eq_u64 s[0:1], 0
	s_mul_hi_u32 s3, s12, s3
	s_cbranch_scc1 .LBB274_3
; %bb.2:
	s_ashr_i32 s7, s6, 31
	s_lshl_b64 s[14:15], s[6:7], 2
	s_add_u32 s0, s0, s14
	s_addc_u32 s1, s1, s15
	s_load_dword s36, s[0:1], 0x0
.LBB274_3:
	s_load_dwordx4 s[16:19], s[4:5], 0x58
	v_and_b32_e32 v3, 3, v0
	s_ashr_i32 s0, s6, 31
	s_ashr_i32 s1, s10, 31
	s_mul_i32 s10, s6, 0x70
	s_mov_b32 s7, exec_lo
	v_cmpx_gt_u32_e32 56, v0
	s_cbranch_execz .LBB274_5
; %bb.4:
	s_load_dwordx2 s[14:15], s[4:5], 0x18
	s_waitcnt lgkmcnt(0)
	s_mul_i32 s20, s16, s26
	v_lshlrev_b32_e32 v1, 2, v0
	s_ashr_i32 s21, s20, 31
	v_and_b32_e32 v2, 0x3fc, v0
	s_lshl_b64 s[20:21], s[20:21], 1
	v_mad_u32_u24 v2, v3, 56, v2
	s_add_u32 s13, s14, s20
	s_addc_u32 s16, s15, s21
	s_ashr_i32 s11, s10, 31
	s_lshl_b64 s[14:15], s[10:11], 1
	s_add_u32 s14, s13, s14
	s_addc_u32 s15, s16, s15
	global_load_dword v1, v1, s[14:15]
	s_waitcnt vmcnt(0)
	ds_write_b32 v2, v1
.LBB274_5:
	s_or_b32 exec_lo, exec_lo, s7
	s_add_i32 s7, s27, 7
	s_clause 0x1
	s_load_dwordx2 s[28:29], s[4:5], 0x38
	s_load_dword s13, s[4:5], 0x48
	s_ashr_i32 s11, s7, 31
	s_waitcnt lgkmcnt(0)
	s_lshl_b32 s19, s8, 6
	s_lshr_b32 s11, s11, 29
	s_xor_b32 s0, s0, s1
	s_add_i32 s7, s7, s11
	s_add_i32 s1, s19, 64
	s_ashr_i32 s7, s7, 3
	s_mul_i32 s11, s3, s2
	s_min_i32 s16, s1, s7
	s_sub_i32 s1, s12, s11
	s_add_i32 s11, s3, 1
	s_sub_i32 s12, s1, s2
	s_cmp_ge_u32 s1, s2
	v_lshrrev_b32_e32 v12, 5, v0
	s_cselect_b32 s3, s11, s3
	s_cselect_b32 s1, s12, s1
	s_add_i32 s11, s3, 1
	s_cmp_ge_u32 s1, s2
	v_or_b32_e32 v1, s19, v12
	s_cselect_b32 s1, s11, s3
	v_mbcnt_lo_u32_b32 v15, -1, 0
	s_xor_b32 s1, s1, s0
	s_mul_i32 s30, s13, s26
	s_sub_i32 s1, s1, s0
	v_cmp_gt_i32_e64 s0, s16, v1
	s_ashr_i32 s31, s30, 31
	s_mov_b32 s2, exec_lo
	s_barrier
	buffer_gl0_inv
                                        ; implicit-def: $vgpr4
                                        ; implicit-def: $vgpr14
	v_cmpx_le_i32_e64 s16, v1
	s_xor_b32 s2, exec_lo, s2
; %bb.6:
	v_mov_b32_e32 v4, 0
	v_mbcnt_lo_u32_b32 v15, -1, 0
	v_mov_b32_e32 v14, 32
                                        ; implicit-def: $vgpr3
; %bb.7:
	s_or_saveexec_b32 s38, s2
	s_clause 0x4
	s_load_dwordx4 s[20:23], s[4:5], 0x0
	s_load_dwordx2 s[24:25], s[4:5], 0x10
	s_load_dword s11, s[4:5], 0x98
	s_load_dwordx2 s[34:35], s[4:5], 0x28
	s_load_dwordx4 s[12:15], s[4:5], 0x68
	v_mov_b32_e32 v13, 0xff7fffff
	v_ashrrev_i32_e32 v2, 31, v1
	v_lshlrev_b32_e32 v11, 3, v12
	s_mul_i32 s18, s1, s18
	s_xor_b32 exec_lo, exec_lo, s38
	s_cbranch_execz .LBB274_237
; %bb.8:
	s_load_dwordx2 s[2:3], s[4:5], 0x20
	v_bfe_u32 v5, v0, 2, 3
	v_lshlrev_b32_e32 v9, 1, v3
	v_mul_u32_u24_e32 v16, 56, v3
	v_cmp_eq_u32_e32 vcc_lo, 0, v3
	s_ashr_i32 s4, s18, 31
	v_lshlrev_b32_e32 v6, 2, v5
	v_lshlrev_b64 v[7:8], 2, v[1:2]
	v_add3_u32 v17, s33, v11, v5
	v_mov_b32_e32 v4, 0
	v_cmp_neq_f32_e64 s1, s36, 0
	v_lshl_or_b32 v3, v12, 5, v6
	v_lshlrev_b32_e32 v6, 4, v5
	v_mov_b32_e32 v13, 0xff7fffff
	v_mov_b32_e32 v14, 32
	;; [unrolled: 1-line block ×3, first 2 shown]
	v_add_nc_u32_e32 v18, 0x100, v3
	v_mov_b32_e32 v20, 0x7f
	v_mov_b32_e32 v21, 7
	;; [unrolled: 1-line block ×3, first 2 shown]
	s_waitcnt lgkmcnt(0)
	s_add_u32 s5, s2, s18
	s_addc_u32 s39, s3, s4
	v_add_co_u32 v3, s5, s5, v6
	v_add_co_ci_u32_e64 v6, null, s39, 0, s5
	s_lshl_b64 s[2:3], s[30:31], 2
	s_sub_i32 s4, 1, s27
	s_add_u32 s5, s28, s2
	v_add_co_u32 v5, s2, v3, v9
	s_addc_u32 s3, s29, s3
	v_add_co_ci_u32_e64 v6, null, 0, v6, s2
	v_add_co_u32 v7, s2, s5, v7
	v_add_co_ci_u32_e64 v8, null, s3, v8, s2
	v_mov_b32_e32 v23, v1
	s_mov_b32 s39, s17
	s_mov_b32 s5, 0
	s_branch .LBB274_10
.LBB274_9:                              ;   in Loop: Header=BB274_10 Depth=1
	s_or_b32 exec_lo, exec_lo, s3
	v_add_nc_u32_e32 v23, 4, v23
	v_add_co_u32 v7, s3, v7, 16
	v_add_nc_u32_e32 v17, 32, v17
	v_add_nc_u32_e32 v18, 0x80, v18
	v_cmp_le_i32_e64 s2, s16, v23
	v_add_co_ci_u32_e64 v8, null, 0, v8, s3
	s_or_b32 s5, s2, s5
	s_andn2_b32 exec_lo, exec_lo, s5
	s_cbranch_execz .LBB274_236
.LBB274_10:                             ; =>This Inner Loop Header: Depth=1
	global_load_dword v3, v[7:8], off
	s_waitcnt vmcnt(0) lgkmcnt(0)
	v_mad_i64_i32 v[9:10], null, v3, s39, v[5:6]
	global_load_ushort v25, v[9:10], off
	global_load_dword v24, v4, s[12:13]
	s_waitcnt vmcnt(1)
	v_and_b32_e32 v3, 0xffff, v25
	v_cmp_ne_u16_sdwa s2, v25, v4 src0_sel:BYTE_0 src1_sel:DWORD
	v_mov_b32_e32 v25, 0
	s_and_saveexec_b32 s3, s2
	s_cbranch_execz .LBB274_18
; %bb.11:                               ;   in Loop: Header=BB274_10 Depth=1
	v_cmp_ne_u16_sdwa s2, v3, v19 src0_sel:BYTE_0 src1_sel:DWORD
	v_mov_b32_e32 v25, 0x8000
	s_and_saveexec_b32 s40, s2
	s_cbranch_execz .LBB274_17
; %bb.12:                               ;   in Loop: Header=BB274_10 Depth=1
	v_and_b32_e32 v27, 0x7f, v3
	v_mov_b32_e32 v25, 0x7c01
	s_mov_b32 s41, exec_lo
	v_cmpx_ne_u32_e32 0x7f, v27
	s_cbranch_execz .LBB274_16
; %bb.13:                               ;   in Loop: Header=BB274_10 Depth=1
	v_and_b32_e32 v25, 7, v3
	v_lshrrev_b32_e32 v26, 3, v27
	s_mov_b32 s42, exec_lo
	v_cmpx_gt_u32_e32 8, v27
; %bb.14:                               ;   in Loop: Header=BB274_10 Depth=1
	v_ffbh_u32_e32 v25, v25
	v_min_u32_e32 v27, 32, v25
	v_subrev_nc_u32_e32 v25, 28, v27
	v_lshlrev_b64 v[25:26], v25, v[3:4]
	v_sub_nc_u32_e32 v26, 29, v27
	v_and_b32_e32 v25, 7, v25
; %bb.15:                               ;   in Loop: Header=BB274_10 Depth=1
	s_or_b32 exec_lo, exec_lo, s42
	v_lshlrev_b32_e32 v27, 8, v3
	v_lshl_add_u32 v26, v26, 10, 0x2000
	v_lshlrev_b32_e32 v25, 7, v25
	v_and_b32_e32 v27, 0x8000, v27
	v_and_b32_e32 v26, 0xfc00, v26
	v_or3_b32 v25, v27, v26, v25
.LBB274_16:                             ;   in Loop: Header=BB274_10 Depth=1
	s_or_b32 exec_lo, exec_lo, s41
.LBB274_17:                             ;   in Loop: Header=BB274_10 Depth=1
	s_or_b32 exec_lo, exec_lo, s40
.LBB274_18:                             ;   in Loop: Header=BB274_10 Depth=1
	s_or_b32 exec_lo, exec_lo, s3
	v_lshrrev_b16 v3, 8, v3
	v_mov_b32_e32 v26, 0
	s_mov_b32 s3, exec_lo
	v_cmpx_ne_u16_e32 0, v3
	s_cbranch_execz .LBB274_26
; %bb.19:                               ;   in Loop: Header=BB274_10 Depth=1
	v_bfrev_b32_e32 v26, 1
	s_mov_b32 s40, exec_lo
	v_cmpx_ne_u16_e32 0x80, v3
	s_cbranch_execz .LBB274_25
; %bb.20:                               ;   in Loop: Header=BB274_10 Depth=1
	v_and_b32_sdwa v28, v3, v20 dst_sel:DWORD dst_unused:UNUSED_PAD src0_sel:WORD_0 src1_sel:DWORD
	v_mov_b32_e32 v26, 0x7c010000
	s_mov_b32 s41, exec_lo
	v_cmpx_ne_u32_e32 0x7f, v28
	s_cbranch_execz .LBB274_24
; %bb.21:                               ;   in Loop: Header=BB274_10 Depth=1
	v_and_b32_sdwa v26, v3, v21 dst_sel:DWORD dst_unused:UNUSED_PAD src0_sel:WORD_0 src1_sel:DWORD
	v_lshrrev_b32_e32 v27, 3, v28
	s_mov_b32 s42, exec_lo
	v_cmpx_gt_u32_e32 8, v28
; %bb.22:                               ;   in Loop: Header=BB274_10 Depth=1
	v_ffbh_u32_e32 v26, v26
	v_min_u32_e32 v28, 32, v26
	v_subrev_nc_u32_e32 v26, 28, v28
	v_lshlrev_b64 v[26:27], v26, v[3:4]
	v_sub_nc_u32_e32 v27, 29, v28
	v_and_b32_e32 v26, 7, v26
; %bb.23:                               ;   in Loop: Header=BB274_10 Depth=1
	s_or_b32 exec_lo, exec_lo, s42
	v_lshlrev_b32_sdwa v3, v22, v3 dst_sel:DWORD dst_unused:UNUSED_PAD src0_sel:DWORD src1_sel:WORD_0
	v_lshl_add_u32 v27, v27, 10, 0x2000
	v_lshlrev_b32_e32 v26, 23, v26
	v_and_or_b32 v3, 0x8000, v3, v27
	v_lshl_or_b32 v26, v3, 16, v26
.LBB274_24:                             ;   in Loop: Header=BB274_10 Depth=1
	s_or_b32 exec_lo, exec_lo, s41
.LBB274_25:                             ;   in Loop: Header=BB274_10 Depth=1
	s_or_b32 exec_lo, exec_lo, s40
.LBB274_26:                             ;   in Loop: Header=BB274_10 Depth=1
	s_or_b32 exec_lo, exec_lo, s3
	global_load_ushort v28, v[9:10], off offset:8
	v_mov_b32_e32 v27, 0
	s_waitcnt vmcnt(0)
	v_and_b32_e32 v3, 0xffff, v28
	v_cmp_ne_u16_sdwa s2, v28, v4 src0_sel:BYTE_0 src1_sel:DWORD
	v_mov_b32_e32 v28, 0
	s_and_saveexec_b32 s3, s2
	s_cbranch_execz .LBB274_34
; %bb.27:                               ;   in Loop: Header=BB274_10 Depth=1
	v_cmp_ne_u16_sdwa s2, v3, v19 src0_sel:BYTE_0 src1_sel:DWORD
	v_mov_b32_e32 v28, 0x8000
	s_and_saveexec_b32 s40, s2
	s_cbranch_execz .LBB274_33
; %bb.28:                               ;   in Loop: Header=BB274_10 Depth=1
	v_and_b32_e32 v30, 0x7f, v3
	v_mov_b32_e32 v28, 0x7c01
	s_mov_b32 s41, exec_lo
	v_cmpx_ne_u32_e32 0x7f, v30
	s_cbranch_execz .LBB274_32
; %bb.29:                               ;   in Loop: Header=BB274_10 Depth=1
	v_and_b32_e32 v28, 7, v3
	v_lshrrev_b32_e32 v29, 3, v30
	s_mov_b32 s42, exec_lo
	v_cmpx_gt_u32_e32 8, v30
; %bb.30:                               ;   in Loop: Header=BB274_10 Depth=1
	v_ffbh_u32_e32 v28, v28
	v_min_u32_e32 v30, 32, v28
	v_subrev_nc_u32_e32 v28, 28, v30
	v_lshlrev_b64 v[28:29], v28, v[3:4]
	v_sub_nc_u32_e32 v29, 29, v30
	v_and_b32_e32 v28, 7, v28
; %bb.31:                               ;   in Loop: Header=BB274_10 Depth=1
	s_or_b32 exec_lo, exec_lo, s42
	v_lshlrev_b32_e32 v30, 8, v3
	v_lshl_add_u32 v29, v29, 10, 0x2000
	v_lshlrev_b32_e32 v28, 7, v28
	v_and_b32_e32 v30, 0x8000, v30
	v_and_b32_e32 v29, 0xfc00, v29
	v_or3_b32 v28, v30, v29, v28
.LBB274_32:                             ;   in Loop: Header=BB274_10 Depth=1
	s_or_b32 exec_lo, exec_lo, s41
.LBB274_33:                             ;   in Loop: Header=BB274_10 Depth=1
	s_or_b32 exec_lo, exec_lo, s40
.LBB274_34:                             ;   in Loop: Header=BB274_10 Depth=1
	s_or_b32 exec_lo, exec_lo, s3
	v_lshrrev_b16 v3, 8, v3
	s_mov_b32 s3, exec_lo
	v_cmpx_ne_u16_e32 0, v3
	s_cbranch_execz .LBB274_42
; %bb.35:                               ;   in Loop: Header=BB274_10 Depth=1
	v_bfrev_b32_e32 v27, 1
	s_mov_b32 s40, exec_lo
	v_cmpx_ne_u16_e32 0x80, v3
	s_cbranch_execz .LBB274_41
; %bb.36:                               ;   in Loop: Header=BB274_10 Depth=1
	v_and_b32_sdwa v30, v3, v20 dst_sel:DWORD dst_unused:UNUSED_PAD src0_sel:WORD_0 src1_sel:DWORD
	v_mov_b32_e32 v27, 0x7c010000
	s_mov_b32 s41, exec_lo
	v_cmpx_ne_u32_e32 0x7f, v30
	s_cbranch_execz .LBB274_40
; %bb.37:                               ;   in Loop: Header=BB274_10 Depth=1
	v_and_b32_sdwa v27, v3, v21 dst_sel:DWORD dst_unused:UNUSED_PAD src0_sel:WORD_0 src1_sel:DWORD
	v_lshrrev_b32_e32 v29, 3, v30
	s_mov_b32 s42, exec_lo
	v_cmpx_gt_u32_e32 8, v30
; %bb.38:                               ;   in Loop: Header=BB274_10 Depth=1
	v_ffbh_u32_e32 v27, v27
	v_min_u32_e32 v27, 32, v27
	v_subrev_nc_u32_e32 v29, 28, v27
	v_lshlrev_b64 v[30:31], v29, v[3:4]
	v_sub_nc_u32_e32 v29, 29, v27
	v_and_b32_e32 v27, 7, v30
; %bb.39:                               ;   in Loop: Header=BB274_10 Depth=1
	s_or_b32 exec_lo, exec_lo, s42
	v_lshlrev_b32_sdwa v3, v22, v3 dst_sel:DWORD dst_unused:UNUSED_PAD src0_sel:DWORD src1_sel:WORD_0
	v_lshl_add_u32 v29, v29, 10, 0x2000
	v_lshlrev_b32_e32 v27, 23, v27
	v_and_or_b32 v3, 0x8000, v3, v29
	v_lshl_or_b32 v27, v3, 16, v27
.LBB274_40:                             ;   in Loop: Header=BB274_10 Depth=1
	s_or_b32 exec_lo, exec_lo, s41
.LBB274_41:                             ;   in Loop: Header=BB274_10 Depth=1
	s_or_b32 exec_lo, exec_lo, s40
.LBB274_42:                             ;   in Loop: Header=BB274_10 Depth=1
	s_or_b32 exec_lo, exec_lo, s3
	global_load_ushort v30, v[9:10], off offset:128
	v_mov_b32_e32 v29, 0
	s_waitcnt vmcnt(0)
	v_and_b32_e32 v3, 0xffff, v30
	v_cmp_ne_u16_sdwa s2, v30, v4 src0_sel:BYTE_0 src1_sel:DWORD
	v_mov_b32_e32 v30, 0
	s_and_saveexec_b32 s3, s2
	s_cbranch_execz .LBB274_50
; %bb.43:                               ;   in Loop: Header=BB274_10 Depth=1
	v_cmp_ne_u16_sdwa s2, v3, v19 src0_sel:BYTE_0 src1_sel:DWORD
	v_mov_b32_e32 v30, 0x8000
	s_and_saveexec_b32 s40, s2
	s_cbranch_execz .LBB274_49
; %bb.44:                               ;   in Loop: Header=BB274_10 Depth=1
	v_and_b32_e32 v32, 0x7f, v3
	v_mov_b32_e32 v30, 0x7c01
	s_mov_b32 s41, exec_lo
	v_cmpx_ne_u32_e32 0x7f, v32
	s_cbranch_execz .LBB274_48
; %bb.45:                               ;   in Loop: Header=BB274_10 Depth=1
	v_and_b32_e32 v30, 7, v3
	v_lshrrev_b32_e32 v31, 3, v32
	s_mov_b32 s42, exec_lo
	v_cmpx_gt_u32_e32 8, v32
; %bb.46:                               ;   in Loop: Header=BB274_10 Depth=1
	v_ffbh_u32_e32 v30, v30
	v_min_u32_e32 v32, 32, v30
	v_subrev_nc_u32_e32 v30, 28, v32
	v_lshlrev_b64 v[30:31], v30, v[3:4]
	v_sub_nc_u32_e32 v31, 29, v32
	v_and_b32_e32 v30, 7, v30
; %bb.47:                               ;   in Loop: Header=BB274_10 Depth=1
	s_or_b32 exec_lo, exec_lo, s42
	v_lshlrev_b32_e32 v32, 8, v3
	v_lshl_add_u32 v31, v31, 10, 0x2000
	v_lshlrev_b32_e32 v30, 7, v30
	v_and_b32_e32 v32, 0x8000, v32
	v_and_b32_e32 v31, 0xfc00, v31
	v_or3_b32 v30, v32, v31, v30
.LBB274_48:                             ;   in Loop: Header=BB274_10 Depth=1
	s_or_b32 exec_lo, exec_lo, s41
.LBB274_49:                             ;   in Loop: Header=BB274_10 Depth=1
	s_or_b32 exec_lo, exec_lo, s40
.LBB274_50:                             ;   in Loop: Header=BB274_10 Depth=1
	s_or_b32 exec_lo, exec_lo, s3
	v_lshrrev_b16 v3, 8, v3
	s_mov_b32 s3, exec_lo
	v_cmpx_ne_u16_e32 0, v3
	s_cbranch_execz .LBB274_58
; %bb.51:                               ;   in Loop: Header=BB274_10 Depth=1
	v_bfrev_b32_e32 v29, 1
	s_mov_b32 s40, exec_lo
	v_cmpx_ne_u16_e32 0x80, v3
	s_cbranch_execz .LBB274_57
; %bb.52:                               ;   in Loop: Header=BB274_10 Depth=1
	v_and_b32_sdwa v32, v3, v20 dst_sel:DWORD dst_unused:UNUSED_PAD src0_sel:WORD_0 src1_sel:DWORD
	v_mov_b32_e32 v29, 0x7c010000
	s_mov_b32 s41, exec_lo
	v_cmpx_ne_u32_e32 0x7f, v32
	s_cbranch_execz .LBB274_56
; %bb.53:                               ;   in Loop: Header=BB274_10 Depth=1
	v_and_b32_sdwa v29, v3, v21 dst_sel:DWORD dst_unused:UNUSED_PAD src0_sel:WORD_0 src1_sel:DWORD
	v_lshrrev_b32_e32 v31, 3, v32
	s_mov_b32 s42, exec_lo
	v_cmpx_gt_u32_e32 8, v32
; %bb.54:                               ;   in Loop: Header=BB274_10 Depth=1
	v_ffbh_u32_e32 v29, v29
	v_min_u32_e32 v29, 32, v29
	v_subrev_nc_u32_e32 v31, 28, v29
	v_lshlrev_b64 v[32:33], v31, v[3:4]
	v_sub_nc_u32_e32 v31, 29, v29
	v_and_b32_e32 v29, 7, v32
; %bb.55:                               ;   in Loop: Header=BB274_10 Depth=1
	s_or_b32 exec_lo, exec_lo, s42
	v_lshlrev_b32_sdwa v3, v22, v3 dst_sel:DWORD dst_unused:UNUSED_PAD src0_sel:DWORD src1_sel:WORD_0
	v_lshl_add_u32 v31, v31, 10, 0x2000
	v_lshlrev_b32_e32 v29, 23, v29
	v_and_or_b32 v3, 0x8000, v3, v31
	v_lshl_or_b32 v29, v3, 16, v29
.LBB274_56:                             ;   in Loop: Header=BB274_10 Depth=1
	s_or_b32 exec_lo, exec_lo, s41
.LBB274_57:                             ;   in Loop: Header=BB274_10 Depth=1
	s_or_b32 exec_lo, exec_lo, s40
.LBB274_58:                             ;   in Loop: Header=BB274_10 Depth=1
	s_or_b32 exec_lo, exec_lo, s3
	global_load_ushort v32, v[9:10], off offset:136
	v_mov_b32_e32 v31, 0
	s_waitcnt vmcnt(0)
	v_and_b32_e32 v3, 0xffff, v32
	v_cmp_ne_u16_sdwa s2, v32, v4 src0_sel:BYTE_0 src1_sel:DWORD
	v_mov_b32_e32 v32, 0
	s_and_saveexec_b32 s3, s2
	s_cbranch_execz .LBB274_66
; %bb.59:                               ;   in Loop: Header=BB274_10 Depth=1
	v_cmp_ne_u16_sdwa s2, v3, v19 src0_sel:BYTE_0 src1_sel:DWORD
	v_mov_b32_e32 v32, 0x8000
	s_and_saveexec_b32 s40, s2
	s_cbranch_execz .LBB274_65
; %bb.60:                               ;   in Loop: Header=BB274_10 Depth=1
	v_and_b32_e32 v34, 0x7f, v3
	v_mov_b32_e32 v32, 0x7c01
	s_mov_b32 s41, exec_lo
	v_cmpx_ne_u32_e32 0x7f, v34
	s_cbranch_execz .LBB274_64
; %bb.61:                               ;   in Loop: Header=BB274_10 Depth=1
	v_and_b32_e32 v32, 7, v3
	v_lshrrev_b32_e32 v33, 3, v34
	s_mov_b32 s42, exec_lo
	v_cmpx_gt_u32_e32 8, v34
; %bb.62:                               ;   in Loop: Header=BB274_10 Depth=1
	v_ffbh_u32_e32 v32, v32
	v_min_u32_e32 v34, 32, v32
	v_subrev_nc_u32_e32 v32, 28, v34
	v_lshlrev_b64 v[32:33], v32, v[3:4]
	v_sub_nc_u32_e32 v33, 29, v34
	v_and_b32_e32 v32, 7, v32
; %bb.63:                               ;   in Loop: Header=BB274_10 Depth=1
	s_or_b32 exec_lo, exec_lo, s42
	v_lshlrev_b32_e32 v34, 8, v3
	v_lshl_add_u32 v33, v33, 10, 0x2000
	v_lshlrev_b32_e32 v32, 7, v32
	v_and_b32_e32 v34, 0x8000, v34
	v_and_b32_e32 v33, 0xfc00, v33
	v_or3_b32 v32, v34, v33, v32
.LBB274_64:                             ;   in Loop: Header=BB274_10 Depth=1
	s_or_b32 exec_lo, exec_lo, s41
.LBB274_65:                             ;   in Loop: Header=BB274_10 Depth=1
	s_or_b32 exec_lo, exec_lo, s40
.LBB274_66:                             ;   in Loop: Header=BB274_10 Depth=1
	s_or_b32 exec_lo, exec_lo, s3
	v_lshrrev_b16 v3, 8, v3
	s_mov_b32 s3, exec_lo
	v_cmpx_ne_u16_e32 0, v3
	s_cbranch_execz .LBB274_74
; %bb.67:                               ;   in Loop: Header=BB274_10 Depth=1
	v_bfrev_b32_e32 v31, 1
	s_mov_b32 s40, exec_lo
	v_cmpx_ne_u16_e32 0x80, v3
	s_cbranch_execz .LBB274_73
; %bb.68:                               ;   in Loop: Header=BB274_10 Depth=1
	v_and_b32_sdwa v34, v3, v20 dst_sel:DWORD dst_unused:UNUSED_PAD src0_sel:WORD_0 src1_sel:DWORD
	v_mov_b32_e32 v31, 0x7c010000
	s_mov_b32 s41, exec_lo
	v_cmpx_ne_u32_e32 0x7f, v34
	s_cbranch_execz .LBB274_72
; %bb.69:                               ;   in Loop: Header=BB274_10 Depth=1
	v_and_b32_sdwa v31, v3, v21 dst_sel:DWORD dst_unused:UNUSED_PAD src0_sel:WORD_0 src1_sel:DWORD
	v_lshrrev_b32_e32 v33, 3, v34
	s_mov_b32 s42, exec_lo
	v_cmpx_gt_u32_e32 8, v34
; %bb.70:                               ;   in Loop: Header=BB274_10 Depth=1
	v_ffbh_u32_e32 v31, v31
	v_min_u32_e32 v31, 32, v31
	v_subrev_nc_u32_e32 v33, 28, v31
	v_lshlrev_b64 v[34:35], v33, v[3:4]
	v_sub_nc_u32_e32 v33, 29, v31
	v_and_b32_e32 v31, 7, v34
; %bb.71:                               ;   in Loop: Header=BB274_10 Depth=1
	s_or_b32 exec_lo, exec_lo, s42
	v_lshlrev_b32_sdwa v3, v22, v3 dst_sel:DWORD dst_unused:UNUSED_PAD src0_sel:DWORD src1_sel:WORD_0
	v_lshl_add_u32 v33, v33, 10, 0x2000
	v_lshlrev_b32_e32 v31, 23, v31
	v_and_or_b32 v3, 0x8000, v3, v33
	v_lshl_or_b32 v31, v3, 16, v31
.LBB274_72:                             ;   in Loop: Header=BB274_10 Depth=1
	s_or_b32 exec_lo, exec_lo, s41
.LBB274_73:                             ;   in Loop: Header=BB274_10 Depth=1
	s_or_b32 exec_lo, exec_lo, s40
.LBB274_74:                             ;   in Loop: Header=BB274_10 Depth=1
	s_or_b32 exec_lo, exec_lo, s3
	global_load_ushort v34, v[9:10], off offset:256
	v_mov_b32_e32 v33, 0
	s_waitcnt vmcnt(0)
	v_and_b32_e32 v3, 0xffff, v34
	v_cmp_ne_u16_sdwa s2, v34, v4 src0_sel:BYTE_0 src1_sel:DWORD
	v_mov_b32_e32 v34, 0
	s_and_saveexec_b32 s3, s2
	s_cbranch_execz .LBB274_82
; %bb.75:                               ;   in Loop: Header=BB274_10 Depth=1
	v_cmp_ne_u16_sdwa s2, v3, v19 src0_sel:BYTE_0 src1_sel:DWORD
	v_mov_b32_e32 v34, 0x8000
	s_and_saveexec_b32 s40, s2
	s_cbranch_execz .LBB274_81
; %bb.76:                               ;   in Loop: Header=BB274_10 Depth=1
	v_and_b32_e32 v36, 0x7f, v3
	v_mov_b32_e32 v34, 0x7c01
	s_mov_b32 s41, exec_lo
	v_cmpx_ne_u32_e32 0x7f, v36
	s_cbranch_execz .LBB274_80
; %bb.77:                               ;   in Loop: Header=BB274_10 Depth=1
	v_and_b32_e32 v34, 7, v3
	v_lshrrev_b32_e32 v35, 3, v36
	s_mov_b32 s42, exec_lo
	v_cmpx_gt_u32_e32 8, v36
; %bb.78:                               ;   in Loop: Header=BB274_10 Depth=1
	v_ffbh_u32_e32 v34, v34
	v_min_u32_e32 v36, 32, v34
	v_subrev_nc_u32_e32 v34, 28, v36
	v_lshlrev_b64 v[34:35], v34, v[3:4]
	v_sub_nc_u32_e32 v35, 29, v36
	v_and_b32_e32 v34, 7, v34
; %bb.79:                               ;   in Loop: Header=BB274_10 Depth=1
	s_or_b32 exec_lo, exec_lo, s42
	v_lshlrev_b32_e32 v36, 8, v3
	v_lshl_add_u32 v35, v35, 10, 0x2000
	v_lshlrev_b32_e32 v34, 7, v34
	v_and_b32_e32 v36, 0x8000, v36
	v_and_b32_e32 v35, 0xfc00, v35
	v_or3_b32 v34, v36, v35, v34
.LBB274_80:                             ;   in Loop: Header=BB274_10 Depth=1
	s_or_b32 exec_lo, exec_lo, s41
.LBB274_81:                             ;   in Loop: Header=BB274_10 Depth=1
	s_or_b32 exec_lo, exec_lo, s40
.LBB274_82:                             ;   in Loop: Header=BB274_10 Depth=1
	s_or_b32 exec_lo, exec_lo, s3
	v_lshrrev_b16 v3, 8, v3
	s_mov_b32 s3, exec_lo
	v_cmpx_ne_u16_e32 0, v3
	s_cbranch_execz .LBB274_90
; %bb.83:                               ;   in Loop: Header=BB274_10 Depth=1
	v_bfrev_b32_e32 v33, 1
	s_mov_b32 s40, exec_lo
	v_cmpx_ne_u16_e32 0x80, v3
	s_cbranch_execz .LBB274_89
; %bb.84:                               ;   in Loop: Header=BB274_10 Depth=1
	v_and_b32_sdwa v36, v3, v20 dst_sel:DWORD dst_unused:UNUSED_PAD src0_sel:WORD_0 src1_sel:DWORD
	v_mov_b32_e32 v33, 0x7c010000
	s_mov_b32 s41, exec_lo
	v_cmpx_ne_u32_e32 0x7f, v36
	s_cbranch_execz .LBB274_88
; %bb.85:                               ;   in Loop: Header=BB274_10 Depth=1
	v_and_b32_sdwa v33, v3, v21 dst_sel:DWORD dst_unused:UNUSED_PAD src0_sel:WORD_0 src1_sel:DWORD
	v_lshrrev_b32_e32 v35, 3, v36
	s_mov_b32 s42, exec_lo
	v_cmpx_gt_u32_e32 8, v36
; %bb.86:                               ;   in Loop: Header=BB274_10 Depth=1
	v_ffbh_u32_e32 v33, v33
	v_min_u32_e32 v33, 32, v33
	v_subrev_nc_u32_e32 v35, 28, v33
	v_lshlrev_b64 v[36:37], v35, v[3:4]
	v_sub_nc_u32_e32 v35, 29, v33
	v_and_b32_e32 v33, 7, v36
; %bb.87:                               ;   in Loop: Header=BB274_10 Depth=1
	s_or_b32 exec_lo, exec_lo, s42
	v_lshlrev_b32_sdwa v3, v22, v3 dst_sel:DWORD dst_unused:UNUSED_PAD src0_sel:DWORD src1_sel:WORD_0
	v_lshl_add_u32 v35, v35, 10, 0x2000
	v_lshlrev_b32_e32 v33, 23, v33
	v_and_or_b32 v3, 0x8000, v3, v35
	v_lshl_or_b32 v33, v3, 16, v33
.LBB274_88:                             ;   in Loop: Header=BB274_10 Depth=1
	s_or_b32 exec_lo, exec_lo, s41
.LBB274_89:                             ;   in Loop: Header=BB274_10 Depth=1
	s_or_b32 exec_lo, exec_lo, s40
.LBB274_90:                             ;   in Loop: Header=BB274_10 Depth=1
	s_or_b32 exec_lo, exec_lo, s3
	global_load_ushort v36, v[9:10], off offset:264
	v_mov_b32_e32 v35, 0
	s_waitcnt vmcnt(0)
	v_and_b32_e32 v3, 0xffff, v36
	v_cmp_ne_u16_sdwa s2, v36, v4 src0_sel:BYTE_0 src1_sel:DWORD
	v_mov_b32_e32 v36, 0
	s_and_saveexec_b32 s3, s2
	s_cbranch_execz .LBB274_98
; %bb.91:                               ;   in Loop: Header=BB274_10 Depth=1
	v_cmp_ne_u16_sdwa s2, v3, v19 src0_sel:BYTE_0 src1_sel:DWORD
	v_mov_b32_e32 v36, 0x8000
	s_and_saveexec_b32 s40, s2
	s_cbranch_execz .LBB274_97
; %bb.92:                               ;   in Loop: Header=BB274_10 Depth=1
	v_and_b32_e32 v38, 0x7f, v3
	v_mov_b32_e32 v36, 0x7c01
	s_mov_b32 s41, exec_lo
	v_cmpx_ne_u32_e32 0x7f, v38
	s_cbranch_execz .LBB274_96
; %bb.93:                               ;   in Loop: Header=BB274_10 Depth=1
	v_and_b32_e32 v36, 7, v3
	v_lshrrev_b32_e32 v37, 3, v38
	s_mov_b32 s42, exec_lo
	v_cmpx_gt_u32_e32 8, v38
; %bb.94:                               ;   in Loop: Header=BB274_10 Depth=1
	v_ffbh_u32_e32 v36, v36
	v_min_u32_e32 v38, 32, v36
	v_subrev_nc_u32_e32 v36, 28, v38
	v_lshlrev_b64 v[36:37], v36, v[3:4]
	v_sub_nc_u32_e32 v37, 29, v38
	v_and_b32_e32 v36, 7, v36
; %bb.95:                               ;   in Loop: Header=BB274_10 Depth=1
	s_or_b32 exec_lo, exec_lo, s42
	v_lshlrev_b32_e32 v38, 8, v3
	v_lshl_add_u32 v37, v37, 10, 0x2000
	v_lshlrev_b32_e32 v36, 7, v36
	v_and_b32_e32 v38, 0x8000, v38
	v_and_b32_e32 v37, 0xfc00, v37
	v_or3_b32 v36, v38, v37, v36
.LBB274_96:                             ;   in Loop: Header=BB274_10 Depth=1
	s_or_b32 exec_lo, exec_lo, s41
.LBB274_97:                             ;   in Loop: Header=BB274_10 Depth=1
	s_or_b32 exec_lo, exec_lo, s40
.LBB274_98:                             ;   in Loop: Header=BB274_10 Depth=1
	s_or_b32 exec_lo, exec_lo, s3
	v_lshrrev_b16 v3, 8, v3
	s_mov_b32 s3, exec_lo
	v_cmpx_ne_u16_e32 0, v3
	s_cbranch_execz .LBB274_106
; %bb.99:                               ;   in Loop: Header=BB274_10 Depth=1
	v_bfrev_b32_e32 v35, 1
	s_mov_b32 s40, exec_lo
	v_cmpx_ne_u16_e32 0x80, v3
	s_cbranch_execz .LBB274_105
; %bb.100:                              ;   in Loop: Header=BB274_10 Depth=1
	v_and_b32_sdwa v38, v3, v20 dst_sel:DWORD dst_unused:UNUSED_PAD src0_sel:WORD_0 src1_sel:DWORD
	v_mov_b32_e32 v35, 0x7c010000
	s_mov_b32 s41, exec_lo
	v_cmpx_ne_u32_e32 0x7f, v38
	s_cbranch_execz .LBB274_104
; %bb.101:                              ;   in Loop: Header=BB274_10 Depth=1
	v_and_b32_sdwa v35, v3, v21 dst_sel:DWORD dst_unused:UNUSED_PAD src0_sel:WORD_0 src1_sel:DWORD
	v_lshrrev_b32_e32 v37, 3, v38
	s_mov_b32 s42, exec_lo
	v_cmpx_gt_u32_e32 8, v38
; %bb.102:                              ;   in Loop: Header=BB274_10 Depth=1
	v_ffbh_u32_e32 v35, v35
	v_min_u32_e32 v35, 32, v35
	v_subrev_nc_u32_e32 v37, 28, v35
	v_lshlrev_b64 v[38:39], v37, v[3:4]
	v_sub_nc_u32_e32 v37, 29, v35
	v_and_b32_e32 v35, 7, v38
; %bb.103:                              ;   in Loop: Header=BB274_10 Depth=1
	s_or_b32 exec_lo, exec_lo, s42
	v_lshlrev_b32_sdwa v3, v22, v3 dst_sel:DWORD dst_unused:UNUSED_PAD src0_sel:DWORD src1_sel:WORD_0
	v_lshl_add_u32 v37, v37, 10, 0x2000
	v_lshlrev_b32_e32 v35, 23, v35
	v_and_or_b32 v3, 0x8000, v3, v37
	v_lshl_or_b32 v35, v3, 16, v35
.LBB274_104:                            ;   in Loop: Header=BB274_10 Depth=1
	s_or_b32 exec_lo, exec_lo, s41
.LBB274_105:                            ;   in Loop: Header=BB274_10 Depth=1
	s_or_b32 exec_lo, exec_lo, s40
.LBB274_106:                            ;   in Loop: Header=BB274_10 Depth=1
	s_or_b32 exec_lo, exec_lo, s3
	global_load_ushort v38, v[9:10], off offset:384
	v_mov_b32_e32 v37, 0
	s_waitcnt vmcnt(0)
	v_and_b32_e32 v3, 0xffff, v38
	v_cmp_ne_u16_sdwa s2, v38, v4 src0_sel:BYTE_0 src1_sel:DWORD
	v_mov_b32_e32 v38, 0
	s_and_saveexec_b32 s3, s2
	s_cbranch_execz .LBB274_114
; %bb.107:                              ;   in Loop: Header=BB274_10 Depth=1
	v_cmp_ne_u16_sdwa s2, v3, v19 src0_sel:BYTE_0 src1_sel:DWORD
	v_mov_b32_e32 v38, 0x8000
	s_and_saveexec_b32 s40, s2
	s_cbranch_execz .LBB274_113
; %bb.108:                              ;   in Loop: Header=BB274_10 Depth=1
	v_and_b32_e32 v40, 0x7f, v3
	v_mov_b32_e32 v38, 0x7c01
	s_mov_b32 s41, exec_lo
	v_cmpx_ne_u32_e32 0x7f, v40
	s_cbranch_execz .LBB274_112
; %bb.109:                              ;   in Loop: Header=BB274_10 Depth=1
	v_and_b32_e32 v38, 7, v3
	v_lshrrev_b32_e32 v39, 3, v40
	s_mov_b32 s42, exec_lo
	v_cmpx_gt_u32_e32 8, v40
; %bb.110:                              ;   in Loop: Header=BB274_10 Depth=1
	v_ffbh_u32_e32 v38, v38
	v_min_u32_e32 v40, 32, v38
	v_subrev_nc_u32_e32 v38, 28, v40
	v_lshlrev_b64 v[38:39], v38, v[3:4]
	v_sub_nc_u32_e32 v39, 29, v40
	v_and_b32_e32 v38, 7, v38
; %bb.111:                              ;   in Loop: Header=BB274_10 Depth=1
	s_or_b32 exec_lo, exec_lo, s42
	v_lshlrev_b32_e32 v40, 8, v3
	v_lshl_add_u32 v39, v39, 10, 0x2000
	v_lshlrev_b32_e32 v38, 7, v38
	v_and_b32_e32 v40, 0x8000, v40
	v_and_b32_e32 v39, 0xfc00, v39
	v_or3_b32 v38, v40, v39, v38
.LBB274_112:                            ;   in Loop: Header=BB274_10 Depth=1
	s_or_b32 exec_lo, exec_lo, s41
.LBB274_113:                            ;   in Loop: Header=BB274_10 Depth=1
	s_or_b32 exec_lo, exec_lo, s40
.LBB274_114:                            ;   in Loop: Header=BB274_10 Depth=1
	s_or_b32 exec_lo, exec_lo, s3
	v_lshrrev_b16 v3, 8, v3
	s_mov_b32 s3, exec_lo
	v_cmpx_ne_u16_e32 0, v3
	s_cbranch_execz .LBB274_122
; %bb.115:                              ;   in Loop: Header=BB274_10 Depth=1
	v_bfrev_b32_e32 v37, 1
	s_mov_b32 s40, exec_lo
	v_cmpx_ne_u16_e32 0x80, v3
	s_cbranch_execz .LBB274_121
; %bb.116:                              ;   in Loop: Header=BB274_10 Depth=1
	v_and_b32_sdwa v40, v3, v20 dst_sel:DWORD dst_unused:UNUSED_PAD src0_sel:WORD_0 src1_sel:DWORD
	v_mov_b32_e32 v37, 0x7c010000
	s_mov_b32 s41, exec_lo
	v_cmpx_ne_u32_e32 0x7f, v40
	s_cbranch_execz .LBB274_120
; %bb.117:                              ;   in Loop: Header=BB274_10 Depth=1
	v_and_b32_sdwa v37, v3, v21 dst_sel:DWORD dst_unused:UNUSED_PAD src0_sel:WORD_0 src1_sel:DWORD
	v_lshrrev_b32_e32 v39, 3, v40
	s_mov_b32 s42, exec_lo
	v_cmpx_gt_u32_e32 8, v40
; %bb.118:                              ;   in Loop: Header=BB274_10 Depth=1
	v_ffbh_u32_e32 v37, v37
	v_min_u32_e32 v37, 32, v37
	v_subrev_nc_u32_e32 v39, 28, v37
	v_lshlrev_b64 v[40:41], v39, v[3:4]
	v_sub_nc_u32_e32 v39, 29, v37
	v_and_b32_e32 v37, 7, v40
; %bb.119:                              ;   in Loop: Header=BB274_10 Depth=1
	s_or_b32 exec_lo, exec_lo, s42
	v_lshlrev_b32_sdwa v3, v22, v3 dst_sel:DWORD dst_unused:UNUSED_PAD src0_sel:DWORD src1_sel:WORD_0
	v_lshl_add_u32 v39, v39, 10, 0x2000
	v_lshlrev_b32_e32 v37, 23, v37
	v_and_or_b32 v3, 0x8000, v3, v39
	v_lshl_or_b32 v37, v3, 16, v37
.LBB274_120:                            ;   in Loop: Header=BB274_10 Depth=1
	s_or_b32 exec_lo, exec_lo, s41
.LBB274_121:                            ;   in Loop: Header=BB274_10 Depth=1
	s_or_b32 exec_lo, exec_lo, s40
.LBB274_122:                            ;   in Loop: Header=BB274_10 Depth=1
	s_or_b32 exec_lo, exec_lo, s3
	global_load_ushort v40, v[9:10], off offset:392
	v_mov_b32_e32 v39, 0
	s_waitcnt vmcnt(0)
	v_and_b32_e32 v3, 0xffff, v40
	v_cmp_ne_u16_sdwa s2, v40, v4 src0_sel:BYTE_0 src1_sel:DWORD
	v_mov_b32_e32 v40, 0
	s_and_saveexec_b32 s3, s2
	s_cbranch_execz .LBB274_130
; %bb.123:                              ;   in Loop: Header=BB274_10 Depth=1
	v_cmp_ne_u16_sdwa s2, v3, v19 src0_sel:BYTE_0 src1_sel:DWORD
	v_mov_b32_e32 v40, 0x8000
	s_and_saveexec_b32 s40, s2
	s_cbranch_execz .LBB274_129
; %bb.124:                              ;   in Loop: Header=BB274_10 Depth=1
	v_and_b32_e32 v42, 0x7f, v3
	v_mov_b32_e32 v40, 0x7c01
	s_mov_b32 s41, exec_lo
	v_cmpx_ne_u32_e32 0x7f, v42
	s_cbranch_execz .LBB274_128
; %bb.125:                              ;   in Loop: Header=BB274_10 Depth=1
	v_and_b32_e32 v40, 7, v3
	v_lshrrev_b32_e32 v41, 3, v42
	s_mov_b32 s42, exec_lo
	v_cmpx_gt_u32_e32 8, v42
; %bb.126:                              ;   in Loop: Header=BB274_10 Depth=1
	v_ffbh_u32_e32 v40, v40
	v_min_u32_e32 v42, 32, v40
	v_subrev_nc_u32_e32 v40, 28, v42
	v_lshlrev_b64 v[40:41], v40, v[3:4]
	v_sub_nc_u32_e32 v41, 29, v42
	v_and_b32_e32 v40, 7, v40
; %bb.127:                              ;   in Loop: Header=BB274_10 Depth=1
	s_or_b32 exec_lo, exec_lo, s42
	v_lshlrev_b32_e32 v42, 8, v3
	v_lshl_add_u32 v41, v41, 10, 0x2000
	v_lshlrev_b32_e32 v40, 7, v40
	v_and_b32_e32 v42, 0x8000, v42
	v_and_b32_e32 v41, 0xfc00, v41
	v_or3_b32 v40, v42, v41, v40
.LBB274_128:                            ;   in Loop: Header=BB274_10 Depth=1
	s_or_b32 exec_lo, exec_lo, s41
.LBB274_129:                            ;   in Loop: Header=BB274_10 Depth=1
	s_or_b32 exec_lo, exec_lo, s40
.LBB274_130:                            ;   in Loop: Header=BB274_10 Depth=1
	s_or_b32 exec_lo, exec_lo, s3
	v_lshrrev_b16 v3, 8, v3
	s_mov_b32 s3, exec_lo
	v_cmpx_ne_u16_e32 0, v3
	s_cbranch_execz .LBB274_138
; %bb.131:                              ;   in Loop: Header=BB274_10 Depth=1
	v_bfrev_b32_e32 v39, 1
	s_mov_b32 s40, exec_lo
	v_cmpx_ne_u16_e32 0x80, v3
	s_cbranch_execz .LBB274_137
; %bb.132:                              ;   in Loop: Header=BB274_10 Depth=1
	v_and_b32_sdwa v42, v3, v20 dst_sel:DWORD dst_unused:UNUSED_PAD src0_sel:WORD_0 src1_sel:DWORD
	v_mov_b32_e32 v39, 0x7c010000
	s_mov_b32 s41, exec_lo
	v_cmpx_ne_u32_e32 0x7f, v42
	s_cbranch_execz .LBB274_136
; %bb.133:                              ;   in Loop: Header=BB274_10 Depth=1
	v_and_b32_sdwa v39, v3, v21 dst_sel:DWORD dst_unused:UNUSED_PAD src0_sel:WORD_0 src1_sel:DWORD
	v_lshrrev_b32_e32 v41, 3, v42
	s_mov_b32 s42, exec_lo
	v_cmpx_gt_u32_e32 8, v42
; %bb.134:                              ;   in Loop: Header=BB274_10 Depth=1
	v_ffbh_u32_e32 v39, v39
	v_min_u32_e32 v39, 32, v39
	v_subrev_nc_u32_e32 v41, 28, v39
	v_lshlrev_b64 v[42:43], v41, v[3:4]
	v_sub_nc_u32_e32 v41, 29, v39
	v_and_b32_e32 v39, 7, v42
; %bb.135:                              ;   in Loop: Header=BB274_10 Depth=1
	s_or_b32 exec_lo, exec_lo, s42
	v_lshlrev_b32_sdwa v3, v22, v3 dst_sel:DWORD dst_unused:UNUSED_PAD src0_sel:DWORD src1_sel:WORD_0
	v_lshl_add_u32 v41, v41, 10, 0x2000
	v_lshlrev_b32_e32 v39, 23, v39
	v_and_or_b32 v3, 0x8000, v3, v41
	v_lshl_or_b32 v39, v3, 16, v39
.LBB274_136:                            ;   in Loop: Header=BB274_10 Depth=1
	s_or_b32 exec_lo, exec_lo, s41
.LBB274_137:                            ;   in Loop: Header=BB274_10 Depth=1
	s_or_b32 exec_lo, exec_lo, s40
.LBB274_138:                            ;   in Loop: Header=BB274_10 Depth=1
	s_or_b32 exec_lo, exec_lo, s3
	global_load_ushort v42, v[9:10], off offset:512
	v_mov_b32_e32 v41, 0
	s_waitcnt vmcnt(0)
	v_and_b32_e32 v3, 0xffff, v42
	v_cmp_ne_u16_sdwa s2, v42, v4 src0_sel:BYTE_0 src1_sel:DWORD
	v_mov_b32_e32 v42, 0
	s_and_saveexec_b32 s3, s2
	s_cbranch_execz .LBB274_146
; %bb.139:                              ;   in Loop: Header=BB274_10 Depth=1
	v_cmp_ne_u16_sdwa s2, v3, v19 src0_sel:BYTE_0 src1_sel:DWORD
	v_mov_b32_e32 v42, 0x8000
	s_and_saveexec_b32 s40, s2
	s_cbranch_execz .LBB274_145
; %bb.140:                              ;   in Loop: Header=BB274_10 Depth=1
	v_and_b32_e32 v44, 0x7f, v3
	v_mov_b32_e32 v42, 0x7c01
	s_mov_b32 s41, exec_lo
	v_cmpx_ne_u32_e32 0x7f, v44
	s_cbranch_execz .LBB274_144
; %bb.141:                              ;   in Loop: Header=BB274_10 Depth=1
	v_and_b32_e32 v42, 7, v3
	v_lshrrev_b32_e32 v43, 3, v44
	s_mov_b32 s42, exec_lo
	v_cmpx_gt_u32_e32 8, v44
; %bb.142:                              ;   in Loop: Header=BB274_10 Depth=1
	v_ffbh_u32_e32 v42, v42
	v_min_u32_e32 v44, 32, v42
	v_subrev_nc_u32_e32 v42, 28, v44
	v_lshlrev_b64 v[42:43], v42, v[3:4]
	v_sub_nc_u32_e32 v43, 29, v44
	v_and_b32_e32 v42, 7, v42
; %bb.143:                              ;   in Loop: Header=BB274_10 Depth=1
	s_or_b32 exec_lo, exec_lo, s42
	v_lshlrev_b32_e32 v44, 8, v3
	v_lshl_add_u32 v43, v43, 10, 0x2000
	v_lshlrev_b32_e32 v42, 7, v42
	v_and_b32_e32 v44, 0x8000, v44
	v_and_b32_e32 v43, 0xfc00, v43
	v_or3_b32 v42, v44, v43, v42
.LBB274_144:                            ;   in Loop: Header=BB274_10 Depth=1
	s_or_b32 exec_lo, exec_lo, s41
.LBB274_145:                            ;   in Loop: Header=BB274_10 Depth=1
	s_or_b32 exec_lo, exec_lo, s40
.LBB274_146:                            ;   in Loop: Header=BB274_10 Depth=1
	s_or_b32 exec_lo, exec_lo, s3
	v_lshrrev_b16 v3, 8, v3
	s_mov_b32 s3, exec_lo
	v_cmpx_ne_u16_e32 0, v3
	s_cbranch_execz .LBB274_154
; %bb.147:                              ;   in Loop: Header=BB274_10 Depth=1
	v_bfrev_b32_e32 v41, 1
	s_mov_b32 s40, exec_lo
	v_cmpx_ne_u16_e32 0x80, v3
	s_cbranch_execz .LBB274_153
; %bb.148:                              ;   in Loop: Header=BB274_10 Depth=1
	v_and_b32_sdwa v44, v3, v20 dst_sel:DWORD dst_unused:UNUSED_PAD src0_sel:WORD_0 src1_sel:DWORD
	v_mov_b32_e32 v41, 0x7c010000
	s_mov_b32 s41, exec_lo
	v_cmpx_ne_u32_e32 0x7f, v44
	s_cbranch_execz .LBB274_152
; %bb.149:                              ;   in Loop: Header=BB274_10 Depth=1
	v_and_b32_sdwa v41, v3, v21 dst_sel:DWORD dst_unused:UNUSED_PAD src0_sel:WORD_0 src1_sel:DWORD
	v_lshrrev_b32_e32 v43, 3, v44
	s_mov_b32 s42, exec_lo
	v_cmpx_gt_u32_e32 8, v44
; %bb.150:                              ;   in Loop: Header=BB274_10 Depth=1
	v_ffbh_u32_e32 v41, v41
	v_min_u32_e32 v41, 32, v41
	v_subrev_nc_u32_e32 v43, 28, v41
	v_lshlrev_b64 v[44:45], v43, v[3:4]
	v_sub_nc_u32_e32 v43, 29, v41
	v_and_b32_e32 v41, 7, v44
; %bb.151:                              ;   in Loop: Header=BB274_10 Depth=1
	s_or_b32 exec_lo, exec_lo, s42
	v_lshlrev_b32_sdwa v3, v22, v3 dst_sel:DWORD dst_unused:UNUSED_PAD src0_sel:DWORD src1_sel:WORD_0
	v_lshl_add_u32 v43, v43, 10, 0x2000
	v_lshlrev_b32_e32 v41, 23, v41
	v_and_or_b32 v3, 0x8000, v3, v43
	v_lshl_or_b32 v41, v3, 16, v41
.LBB274_152:                            ;   in Loop: Header=BB274_10 Depth=1
	s_or_b32 exec_lo, exec_lo, s41
.LBB274_153:                            ;   in Loop: Header=BB274_10 Depth=1
	s_or_b32 exec_lo, exec_lo, s40
.LBB274_154:                            ;   in Loop: Header=BB274_10 Depth=1
	s_or_b32 exec_lo, exec_lo, s3
	global_load_ushort v44, v[9:10], off offset:520
	v_mov_b32_e32 v43, 0
	s_waitcnt vmcnt(0)
	v_and_b32_e32 v3, 0xffff, v44
	v_cmp_ne_u16_sdwa s2, v44, v4 src0_sel:BYTE_0 src1_sel:DWORD
	v_mov_b32_e32 v44, 0
	s_and_saveexec_b32 s3, s2
	s_cbranch_execz .LBB274_162
; %bb.155:                              ;   in Loop: Header=BB274_10 Depth=1
	v_cmp_ne_u16_sdwa s2, v3, v19 src0_sel:BYTE_0 src1_sel:DWORD
	v_mov_b32_e32 v44, 0x8000
	s_and_saveexec_b32 s40, s2
	s_cbranch_execz .LBB274_161
; %bb.156:                              ;   in Loop: Header=BB274_10 Depth=1
	v_and_b32_e32 v46, 0x7f, v3
	v_mov_b32_e32 v44, 0x7c01
	s_mov_b32 s41, exec_lo
	v_cmpx_ne_u32_e32 0x7f, v46
	s_cbranch_execz .LBB274_160
; %bb.157:                              ;   in Loop: Header=BB274_10 Depth=1
	v_and_b32_e32 v44, 7, v3
	v_lshrrev_b32_e32 v45, 3, v46
	s_mov_b32 s42, exec_lo
	v_cmpx_gt_u32_e32 8, v46
; %bb.158:                              ;   in Loop: Header=BB274_10 Depth=1
	v_ffbh_u32_e32 v44, v44
	v_min_u32_e32 v46, 32, v44
	v_subrev_nc_u32_e32 v44, 28, v46
	v_lshlrev_b64 v[44:45], v44, v[3:4]
	v_sub_nc_u32_e32 v45, 29, v46
	v_and_b32_e32 v44, 7, v44
; %bb.159:                              ;   in Loop: Header=BB274_10 Depth=1
	s_or_b32 exec_lo, exec_lo, s42
	v_lshlrev_b32_e32 v46, 8, v3
	v_lshl_add_u32 v45, v45, 10, 0x2000
	v_lshlrev_b32_e32 v44, 7, v44
	v_and_b32_e32 v46, 0x8000, v46
	v_and_b32_e32 v45, 0xfc00, v45
	v_or3_b32 v44, v46, v45, v44
.LBB274_160:                            ;   in Loop: Header=BB274_10 Depth=1
	s_or_b32 exec_lo, exec_lo, s41
.LBB274_161:                            ;   in Loop: Header=BB274_10 Depth=1
	s_or_b32 exec_lo, exec_lo, s40
.LBB274_162:                            ;   in Loop: Header=BB274_10 Depth=1
	s_or_b32 exec_lo, exec_lo, s3
	v_lshrrev_b16 v3, 8, v3
	s_mov_b32 s3, exec_lo
	v_cmpx_ne_u16_e32 0, v3
	s_cbranch_execz .LBB274_170
; %bb.163:                              ;   in Loop: Header=BB274_10 Depth=1
	v_bfrev_b32_e32 v43, 1
	s_mov_b32 s40, exec_lo
	v_cmpx_ne_u16_e32 0x80, v3
	s_cbranch_execz .LBB274_169
; %bb.164:                              ;   in Loop: Header=BB274_10 Depth=1
	v_and_b32_sdwa v46, v3, v20 dst_sel:DWORD dst_unused:UNUSED_PAD src0_sel:WORD_0 src1_sel:DWORD
	v_mov_b32_e32 v43, 0x7c010000
	s_mov_b32 s41, exec_lo
	v_cmpx_ne_u32_e32 0x7f, v46
	s_cbranch_execz .LBB274_168
; %bb.165:                              ;   in Loop: Header=BB274_10 Depth=1
	v_and_b32_sdwa v43, v3, v21 dst_sel:DWORD dst_unused:UNUSED_PAD src0_sel:WORD_0 src1_sel:DWORD
	v_lshrrev_b32_e32 v45, 3, v46
	s_mov_b32 s42, exec_lo
	v_cmpx_gt_u32_e32 8, v46
; %bb.166:                              ;   in Loop: Header=BB274_10 Depth=1
	v_ffbh_u32_e32 v43, v43
	v_min_u32_e32 v43, 32, v43
	v_subrev_nc_u32_e32 v45, 28, v43
	v_lshlrev_b64 v[46:47], v45, v[3:4]
	v_sub_nc_u32_e32 v45, 29, v43
	v_and_b32_e32 v43, 7, v46
; %bb.167:                              ;   in Loop: Header=BB274_10 Depth=1
	s_or_b32 exec_lo, exec_lo, s42
	v_lshlrev_b32_sdwa v3, v22, v3 dst_sel:DWORD dst_unused:UNUSED_PAD src0_sel:DWORD src1_sel:WORD_0
	v_lshl_add_u32 v45, v45, 10, 0x2000
	v_lshlrev_b32_e32 v43, 23, v43
	v_and_or_b32 v3, 0x8000, v3, v45
	v_lshl_or_b32 v43, v3, 16, v43
.LBB274_168:                            ;   in Loop: Header=BB274_10 Depth=1
	s_or_b32 exec_lo, exec_lo, s41
.LBB274_169:                            ;   in Loop: Header=BB274_10 Depth=1
	s_or_b32 exec_lo, exec_lo, s40
.LBB274_170:                            ;   in Loop: Header=BB274_10 Depth=1
	s_or_b32 exec_lo, exec_lo, s3
	global_load_ushort v46, v[9:10], off offset:640
	v_mov_b32_e32 v45, 0
	s_waitcnt vmcnt(0)
	v_and_b32_e32 v3, 0xffff, v46
	v_cmp_ne_u16_sdwa s2, v46, v4 src0_sel:BYTE_0 src1_sel:DWORD
	v_mov_b32_e32 v46, 0
	s_and_saveexec_b32 s3, s2
	s_cbranch_execz .LBB274_178
; %bb.171:                              ;   in Loop: Header=BB274_10 Depth=1
	v_cmp_ne_u16_sdwa s2, v3, v19 src0_sel:BYTE_0 src1_sel:DWORD
	v_mov_b32_e32 v46, 0x8000
	s_and_saveexec_b32 s40, s2
	s_cbranch_execz .LBB274_177
; %bb.172:                              ;   in Loop: Header=BB274_10 Depth=1
	v_and_b32_e32 v48, 0x7f, v3
	v_mov_b32_e32 v46, 0x7c01
	s_mov_b32 s41, exec_lo
	v_cmpx_ne_u32_e32 0x7f, v48
	s_cbranch_execz .LBB274_176
; %bb.173:                              ;   in Loop: Header=BB274_10 Depth=1
	v_and_b32_e32 v46, 7, v3
	v_lshrrev_b32_e32 v47, 3, v48
	s_mov_b32 s42, exec_lo
	v_cmpx_gt_u32_e32 8, v48
; %bb.174:                              ;   in Loop: Header=BB274_10 Depth=1
	v_ffbh_u32_e32 v46, v46
	v_min_u32_e32 v48, 32, v46
	v_subrev_nc_u32_e32 v46, 28, v48
	v_lshlrev_b64 v[46:47], v46, v[3:4]
	v_sub_nc_u32_e32 v47, 29, v48
	v_and_b32_e32 v46, 7, v46
; %bb.175:                              ;   in Loop: Header=BB274_10 Depth=1
	s_or_b32 exec_lo, exec_lo, s42
	v_lshlrev_b32_e32 v48, 8, v3
	v_lshl_add_u32 v47, v47, 10, 0x2000
	v_lshlrev_b32_e32 v46, 7, v46
	v_and_b32_e32 v48, 0x8000, v48
	v_and_b32_e32 v47, 0xfc00, v47
	v_or3_b32 v46, v48, v47, v46
.LBB274_176:                            ;   in Loop: Header=BB274_10 Depth=1
	s_or_b32 exec_lo, exec_lo, s41
.LBB274_177:                            ;   in Loop: Header=BB274_10 Depth=1
	s_or_b32 exec_lo, exec_lo, s40
.LBB274_178:                            ;   in Loop: Header=BB274_10 Depth=1
	s_or_b32 exec_lo, exec_lo, s3
	v_lshrrev_b16 v3, 8, v3
	s_mov_b32 s3, exec_lo
	v_cmpx_ne_u16_e32 0, v3
	s_cbranch_execz .LBB274_186
; %bb.179:                              ;   in Loop: Header=BB274_10 Depth=1
	v_bfrev_b32_e32 v45, 1
	s_mov_b32 s40, exec_lo
	v_cmpx_ne_u16_e32 0x80, v3
	s_cbranch_execz .LBB274_185
; %bb.180:                              ;   in Loop: Header=BB274_10 Depth=1
	v_and_b32_sdwa v48, v3, v20 dst_sel:DWORD dst_unused:UNUSED_PAD src0_sel:WORD_0 src1_sel:DWORD
	v_mov_b32_e32 v45, 0x7c010000
	s_mov_b32 s41, exec_lo
	v_cmpx_ne_u32_e32 0x7f, v48
	s_cbranch_execz .LBB274_184
; %bb.181:                              ;   in Loop: Header=BB274_10 Depth=1
	v_and_b32_sdwa v45, v3, v21 dst_sel:DWORD dst_unused:UNUSED_PAD src0_sel:WORD_0 src1_sel:DWORD
	v_lshrrev_b32_e32 v47, 3, v48
	s_mov_b32 s42, exec_lo
	v_cmpx_gt_u32_e32 8, v48
; %bb.182:                              ;   in Loop: Header=BB274_10 Depth=1
	v_ffbh_u32_e32 v45, v45
	v_min_u32_e32 v45, 32, v45
	v_subrev_nc_u32_e32 v47, 28, v45
	v_lshlrev_b64 v[48:49], v47, v[3:4]
	v_sub_nc_u32_e32 v47, 29, v45
	v_and_b32_e32 v45, 7, v48
; %bb.183:                              ;   in Loop: Header=BB274_10 Depth=1
	s_or_b32 exec_lo, exec_lo, s42
	v_lshlrev_b32_sdwa v3, v22, v3 dst_sel:DWORD dst_unused:UNUSED_PAD src0_sel:DWORD src1_sel:WORD_0
	v_lshl_add_u32 v47, v47, 10, 0x2000
	v_lshlrev_b32_e32 v45, 23, v45
	v_and_or_b32 v3, 0x8000, v3, v47
	v_lshl_or_b32 v45, v3, 16, v45
.LBB274_184:                            ;   in Loop: Header=BB274_10 Depth=1
	s_or_b32 exec_lo, exec_lo, s41
.LBB274_185:                            ;   in Loop: Header=BB274_10 Depth=1
	s_or_b32 exec_lo, exec_lo, s40
.LBB274_186:                            ;   in Loop: Header=BB274_10 Depth=1
	s_or_b32 exec_lo, exec_lo, s3
	global_load_ushort v48, v[9:10], off offset:648
	v_mov_b32_e32 v47, 0
	s_waitcnt vmcnt(0)
	v_and_b32_e32 v3, 0xffff, v48
	v_cmp_ne_u16_sdwa s2, v48, v4 src0_sel:BYTE_0 src1_sel:DWORD
	v_mov_b32_e32 v48, 0
	s_and_saveexec_b32 s3, s2
	s_cbranch_execz .LBB274_194
; %bb.187:                              ;   in Loop: Header=BB274_10 Depth=1
	v_cmp_ne_u16_sdwa s2, v3, v19 src0_sel:BYTE_0 src1_sel:DWORD
	v_mov_b32_e32 v48, 0x8000
	s_and_saveexec_b32 s40, s2
	s_cbranch_execz .LBB274_193
; %bb.188:                              ;   in Loop: Header=BB274_10 Depth=1
	v_and_b32_e32 v50, 0x7f, v3
	v_mov_b32_e32 v48, 0x7c01
	s_mov_b32 s41, exec_lo
	v_cmpx_ne_u32_e32 0x7f, v50
	s_cbranch_execz .LBB274_192
; %bb.189:                              ;   in Loop: Header=BB274_10 Depth=1
	v_and_b32_e32 v48, 7, v3
	v_lshrrev_b32_e32 v49, 3, v50
	s_mov_b32 s42, exec_lo
	v_cmpx_gt_u32_e32 8, v50
; %bb.190:                              ;   in Loop: Header=BB274_10 Depth=1
	v_ffbh_u32_e32 v48, v48
	v_min_u32_e32 v50, 32, v48
	v_subrev_nc_u32_e32 v48, 28, v50
	v_lshlrev_b64 v[48:49], v48, v[3:4]
	v_sub_nc_u32_e32 v49, 29, v50
	v_and_b32_e32 v48, 7, v48
; %bb.191:                              ;   in Loop: Header=BB274_10 Depth=1
	s_or_b32 exec_lo, exec_lo, s42
	v_lshlrev_b32_e32 v50, 8, v3
	v_lshl_add_u32 v49, v49, 10, 0x2000
	v_lshlrev_b32_e32 v48, 7, v48
	v_and_b32_e32 v50, 0x8000, v50
	v_and_b32_e32 v49, 0xfc00, v49
	v_or3_b32 v48, v50, v49, v48
.LBB274_192:                            ;   in Loop: Header=BB274_10 Depth=1
	s_or_b32 exec_lo, exec_lo, s41
.LBB274_193:                            ;   in Loop: Header=BB274_10 Depth=1
	s_or_b32 exec_lo, exec_lo, s40
.LBB274_194:                            ;   in Loop: Header=BB274_10 Depth=1
	s_or_b32 exec_lo, exec_lo, s3
	v_lshrrev_b16 v3, 8, v3
	s_mov_b32 s3, exec_lo
	v_cmpx_ne_u16_e32 0, v3
	s_cbranch_execz .LBB274_202
; %bb.195:                              ;   in Loop: Header=BB274_10 Depth=1
	v_bfrev_b32_e32 v47, 1
	s_mov_b32 s40, exec_lo
	v_cmpx_ne_u16_e32 0x80, v3
	s_cbranch_execz .LBB274_201
; %bb.196:                              ;   in Loop: Header=BB274_10 Depth=1
	v_and_b32_sdwa v50, v3, v20 dst_sel:DWORD dst_unused:UNUSED_PAD src0_sel:WORD_0 src1_sel:DWORD
	v_mov_b32_e32 v47, 0x7c010000
	s_mov_b32 s41, exec_lo
	v_cmpx_ne_u32_e32 0x7f, v50
	s_cbranch_execz .LBB274_200
; %bb.197:                              ;   in Loop: Header=BB274_10 Depth=1
	v_and_b32_sdwa v47, v3, v21 dst_sel:DWORD dst_unused:UNUSED_PAD src0_sel:WORD_0 src1_sel:DWORD
	v_lshrrev_b32_e32 v49, 3, v50
	s_mov_b32 s42, exec_lo
	v_cmpx_gt_u32_e32 8, v50
; %bb.198:                              ;   in Loop: Header=BB274_10 Depth=1
	v_ffbh_u32_e32 v47, v47
	v_min_u32_e32 v47, 32, v47
	v_subrev_nc_u32_e32 v49, 28, v47
	v_lshlrev_b64 v[50:51], v49, v[3:4]
	v_sub_nc_u32_e32 v49, 29, v47
	v_and_b32_e32 v47, 7, v50
; %bb.199:                              ;   in Loop: Header=BB274_10 Depth=1
	s_or_b32 exec_lo, exec_lo, s42
	v_lshlrev_b32_sdwa v3, v22, v3 dst_sel:DWORD dst_unused:UNUSED_PAD src0_sel:DWORD src1_sel:WORD_0
	v_lshl_add_u32 v49, v49, 10, 0x2000
	v_lshlrev_b32_e32 v47, 23, v47
	v_and_or_b32 v3, 0x8000, v3, v49
	v_lshl_or_b32 v47, v3, 16, v47
.LBB274_200:                            ;   in Loop: Header=BB274_10 Depth=1
	s_or_b32 exec_lo, exec_lo, s41
.LBB274_201:                            ;   in Loop: Header=BB274_10 Depth=1
	s_or_b32 exec_lo, exec_lo, s40
.LBB274_202:                            ;   in Loop: Header=BB274_10 Depth=1
	s_or_b32 exec_lo, exec_lo, s3
	global_load_ushort v50, v[9:10], off offset:768
	v_mov_b32_e32 v49, 0
	s_waitcnt vmcnt(0)
	v_and_b32_e32 v3, 0xffff, v50
	v_cmp_ne_u16_sdwa s2, v50, v4 src0_sel:BYTE_0 src1_sel:DWORD
	v_mov_b32_e32 v50, 0
	s_and_saveexec_b32 s3, s2
	s_cbranch_execz .LBB274_210
; %bb.203:                              ;   in Loop: Header=BB274_10 Depth=1
	v_cmp_ne_u16_sdwa s2, v3, v19 src0_sel:BYTE_0 src1_sel:DWORD
	v_mov_b32_e32 v50, 0x8000
	s_and_saveexec_b32 s40, s2
	s_cbranch_execz .LBB274_209
; %bb.204:                              ;   in Loop: Header=BB274_10 Depth=1
	v_and_b32_e32 v52, 0x7f, v3
	v_mov_b32_e32 v50, 0x7c01
	s_mov_b32 s41, exec_lo
	v_cmpx_ne_u32_e32 0x7f, v52
	s_cbranch_execz .LBB274_208
; %bb.205:                              ;   in Loop: Header=BB274_10 Depth=1
	v_and_b32_e32 v50, 7, v3
	v_lshrrev_b32_e32 v51, 3, v52
	s_mov_b32 s42, exec_lo
	v_cmpx_gt_u32_e32 8, v52
; %bb.206:                              ;   in Loop: Header=BB274_10 Depth=1
	v_ffbh_u32_e32 v50, v50
	v_min_u32_e32 v52, 32, v50
	v_subrev_nc_u32_e32 v50, 28, v52
	v_lshlrev_b64 v[50:51], v50, v[3:4]
	v_sub_nc_u32_e32 v51, 29, v52
	v_and_b32_e32 v50, 7, v50
; %bb.207:                              ;   in Loop: Header=BB274_10 Depth=1
	s_or_b32 exec_lo, exec_lo, s42
	v_lshlrev_b32_e32 v52, 8, v3
	v_lshl_add_u32 v51, v51, 10, 0x2000
	v_lshlrev_b32_e32 v50, 7, v50
	v_and_b32_e32 v52, 0x8000, v52
	v_and_b32_e32 v51, 0xfc00, v51
	v_or3_b32 v50, v52, v51, v50
.LBB274_208:                            ;   in Loop: Header=BB274_10 Depth=1
	s_or_b32 exec_lo, exec_lo, s41
.LBB274_209:                            ;   in Loop: Header=BB274_10 Depth=1
	s_or_b32 exec_lo, exec_lo, s40
.LBB274_210:                            ;   in Loop: Header=BB274_10 Depth=1
	s_or_b32 exec_lo, exec_lo, s3
	v_lshrrev_b16 v3, 8, v3
	s_mov_b32 s3, exec_lo
	v_cmpx_ne_u16_e32 0, v3
	s_cbranch_execz .LBB274_218
; %bb.211:                              ;   in Loop: Header=BB274_10 Depth=1
	v_bfrev_b32_e32 v49, 1
	s_mov_b32 s40, exec_lo
	v_cmpx_ne_u16_e32 0x80, v3
	s_cbranch_execz .LBB274_217
; %bb.212:                              ;   in Loop: Header=BB274_10 Depth=1
	v_and_b32_sdwa v52, v3, v20 dst_sel:DWORD dst_unused:UNUSED_PAD src0_sel:WORD_0 src1_sel:DWORD
	v_mov_b32_e32 v49, 0x7c010000
	s_mov_b32 s41, exec_lo
	v_cmpx_ne_u32_e32 0x7f, v52
	s_cbranch_execz .LBB274_216
; %bb.213:                              ;   in Loop: Header=BB274_10 Depth=1
	v_and_b32_sdwa v49, v3, v21 dst_sel:DWORD dst_unused:UNUSED_PAD src0_sel:WORD_0 src1_sel:DWORD
	v_lshrrev_b32_e32 v51, 3, v52
	s_mov_b32 s42, exec_lo
	v_cmpx_gt_u32_e32 8, v52
; %bb.214:                              ;   in Loop: Header=BB274_10 Depth=1
	v_ffbh_u32_e32 v49, v49
	v_min_u32_e32 v49, 32, v49
	v_subrev_nc_u32_e32 v51, 28, v49
	v_lshlrev_b64 v[52:53], v51, v[3:4]
	v_sub_nc_u32_e32 v51, 29, v49
	v_and_b32_e32 v49, 7, v52
; %bb.215:                              ;   in Loop: Header=BB274_10 Depth=1
	s_or_b32 exec_lo, exec_lo, s42
	v_lshlrev_b32_sdwa v3, v22, v3 dst_sel:DWORD dst_unused:UNUSED_PAD src0_sel:DWORD src1_sel:WORD_0
	v_lshl_add_u32 v51, v51, 10, 0x2000
	v_lshlrev_b32_e32 v49, 23, v49
	v_and_or_b32 v3, 0x8000, v3, v51
	v_lshl_or_b32 v49, v3, 16, v49
.LBB274_216:                            ;   in Loop: Header=BB274_10 Depth=1
	s_or_b32 exec_lo, exec_lo, s41
.LBB274_217:                            ;   in Loop: Header=BB274_10 Depth=1
	s_or_b32 exec_lo, exec_lo, s40
.LBB274_218:                            ;   in Loop: Header=BB274_10 Depth=1
	s_or_b32 exec_lo, exec_lo, s3
	global_load_ushort v10, v[9:10], off offset:776
	v_mov_b32_e32 v9, 0
	s_waitcnt vmcnt(0)
	v_and_b32_e32 v3, 0xffff, v10
	v_cmp_ne_u16_sdwa s2, v10, v4 src0_sel:BYTE_0 src1_sel:DWORD
	v_mov_b32_e32 v10, 0
	s_and_saveexec_b32 s3, s2
	s_cbranch_execz .LBB274_226
; %bb.219:                              ;   in Loop: Header=BB274_10 Depth=1
	v_cmp_ne_u16_sdwa s2, v3, v19 src0_sel:BYTE_0 src1_sel:DWORD
	v_mov_b32_e32 v10, 0x8000
	s_and_saveexec_b32 s40, s2
	s_cbranch_execz .LBB274_225
; %bb.220:                              ;   in Loop: Header=BB274_10 Depth=1
	v_and_b32_e32 v52, 0x7f, v3
	v_mov_b32_e32 v10, 0x7c01
	s_mov_b32 s41, exec_lo
	v_cmpx_ne_u32_e32 0x7f, v52
	s_cbranch_execz .LBB274_224
; %bb.221:                              ;   in Loop: Header=BB274_10 Depth=1
	v_and_b32_e32 v10, 7, v3
	v_lshrrev_b32_e32 v51, 3, v52
	s_mov_b32 s42, exec_lo
	v_cmpx_gt_u32_e32 8, v52
; %bb.222:                              ;   in Loop: Header=BB274_10 Depth=1
	v_ffbh_u32_e32 v10, v10
	v_min_u32_e32 v10, 32, v10
	v_subrev_nc_u32_e32 v51, 28, v10
	v_lshlrev_b64 v[52:53], v51, v[3:4]
	v_sub_nc_u32_e32 v51, 29, v10
	v_and_b32_e32 v10, 7, v52
; %bb.223:                              ;   in Loop: Header=BB274_10 Depth=1
	s_or_b32 exec_lo, exec_lo, s42
	v_lshlrev_b32_e32 v52, 8, v3
	v_lshl_add_u32 v51, v51, 10, 0x2000
	v_lshlrev_b32_e32 v10, 7, v10
	v_and_b32_e32 v52, 0x8000, v52
	v_and_b32_e32 v51, 0xfc00, v51
	v_or3_b32 v10, v52, v51, v10
.LBB274_224:                            ;   in Loop: Header=BB274_10 Depth=1
	s_or_b32 exec_lo, exec_lo, s41
.LBB274_225:                            ;   in Loop: Header=BB274_10 Depth=1
	s_or_b32 exec_lo, exec_lo, s40
.LBB274_226:                            ;   in Loop: Header=BB274_10 Depth=1
	s_or_b32 exec_lo, exec_lo, s3
	v_lshrrev_b16 v3, 8, v3
	s_mov_b32 s3, exec_lo
	v_cmpx_ne_u16_e32 0, v3
	s_cbranch_execz .LBB274_234
; %bb.227:                              ;   in Loop: Header=BB274_10 Depth=1
	v_bfrev_b32_e32 v9, 1
	s_mov_b32 s40, exec_lo
	v_cmpx_ne_u16_e32 0x80, v3
	s_cbranch_execz .LBB274_233
; %bb.228:                              ;   in Loop: Header=BB274_10 Depth=1
	v_and_b32_sdwa v52, v3, v20 dst_sel:DWORD dst_unused:UNUSED_PAD src0_sel:WORD_0 src1_sel:DWORD
	v_mov_b32_e32 v9, 0x7c010000
	s_mov_b32 s41, exec_lo
	v_cmpx_ne_u32_e32 0x7f, v52
	s_cbranch_execz .LBB274_232
; %bb.229:                              ;   in Loop: Header=BB274_10 Depth=1
	v_and_b32_sdwa v9, v3, v21 dst_sel:DWORD dst_unused:UNUSED_PAD src0_sel:WORD_0 src1_sel:DWORD
	v_lshrrev_b32_e32 v51, 3, v52
	s_mov_b32 s42, exec_lo
	v_cmpx_gt_u32_e32 8, v52
; %bb.230:                              ;   in Loop: Header=BB274_10 Depth=1
	v_ffbh_u32_e32 v9, v9
	v_min_u32_e32 v9, 32, v9
	v_subrev_nc_u32_e32 v51, 28, v9
	v_lshlrev_b64 v[52:53], v51, v[3:4]
	v_sub_nc_u32_e32 v51, 29, v9
	v_and_b32_e32 v9, 7, v52
; %bb.231:                              ;   in Loop: Header=BB274_10 Depth=1
	s_or_b32 exec_lo, exec_lo, s42
	v_lshlrev_b32_sdwa v3, v22, v3 dst_sel:DWORD dst_unused:UNUSED_PAD src0_sel:DWORD src1_sel:WORD_0
	v_lshl_add_u32 v51, v51, 10, 0x2000
	v_lshlrev_b32_e32 v9, 23, v9
	v_and_or_b32 v3, 0x8000, v3, v51
	v_lshl_or_b32 v9, v3, 16, v9
.LBB274_232:                            ;   in Loop: Header=BB274_10 Depth=1
	s_or_b32 exec_lo, exec_lo, s41
.LBB274_233:                            ;   in Loop: Header=BB274_10 Depth=1
	s_or_b32 exec_lo, exec_lo, s40
.LBB274_234:                            ;   in Loop: Header=BB274_10 Depth=1
	s_or_b32 exec_lo, exec_lo, s3
	ds_read_b32 v3, v16
	v_or_b32_e32 v25, v26, v25
	v_fma_mixlo_f16 v26, v24, v26, 0 op_sel:[0,1,0] op_sel_hi:[0,1,0]
	v_or_b32_e32 v28, v27, v28
	v_fma_mixlo_f16 v27, v24, v27, 0 op_sel:[0,1,0] op_sel_hi:[0,1,0]
	v_or_b32_e32 v30, v29, v30
	v_fma_mixlo_f16 v25, v24, v25, 0 op_sel_hi:[0,1,0]
	v_and_b32_e32 v54, 0xffff, v26
	v_fma_mixlo_f16 v28, v24, v28, 0 op_sel_hi:[0,1,0]
	v_and_b32_e32 v55, 0xffff, v27
	v_fma_mixlo_f16 v30, v24, v30, 0 op_sel_hi:[0,1,0]
	v_and_b32_e32 v53, 0xffff, v25
	v_fma_mixlo_f16 v29, v24, v29, 0 op_sel:[0,1,0] op_sel_hi:[0,1,0]
	v_or_b32_e32 v32, v31, v32
	v_fma_mixlo_f16 v31, v24, v31, 0 op_sel:[0,1,0] op_sel_hi:[0,1,0]
	v_and_b32_e32 v56, 0xffff, v30
	v_or_b32_e32 v34, v33, v34
	v_and_b32_e32 v57, 0xffff, v29
	v_fma_mixlo_f16 v32, v24, v32, 0 op_sel_hi:[0,1,0]
	v_and_b32_e32 v59, 0xffff, v31
	s_waitcnt lgkmcnt(0)
	v_and_b32_e32 v51, 0xffff, v3
	v_lshrrev_b32_e32 v52, 16, v3
	;;#ASMSTART
	v_cvt_f32_f16 v3, v51;
	;;#ASMEND
	;;#ASMSTART
	v_cvt_f32_f16 v25, v52;
	;;#ASMEND
	;; [unrolled: 3-line block ×4, first 2 shown]
	ds_read_b32 v52, v16 offset:4
	v_and_b32_e32 v54, 0xffff, v28
	v_and_b32_e32 v58, 0xffff, v32
	v_fma_mixlo_f16 v34, v24, v34, 0 op_sel_hi:[0,1,0]
	v_fma_mixlo_f16 v33, v24, v33, 0 op_sel:[0,1,0] op_sel_hi:[0,1,0]
	v_or_b32_e32 v36, v35, v36
	v_fma_mixlo_f16 v35, v24, v35, 0 op_sel:[0,1,0] op_sel_hi:[0,1,0]
	v_or_b32_e32 v38, v37, v38
	v_and_b32_e32 v60, 0xffff, v34
	v_and_b32_e32 v61, 0xffff, v33
	v_fma_mixlo_f16 v36, v24, v36, 0 op_sel_hi:[0,1,0]
	v_and_b32_e32 v63, 0xffff, v35
	v_fma_mixlo_f16 v38, v24, v38, 0 op_sel_hi:[0,1,0]
	v_fma_mixlo_f16 v37, v24, v37, 0 op_sel:[0,1,0] op_sel_hi:[0,1,0]
	v_or_b32_e32 v40, v39, v40
	v_and_b32_e32 v62, 0xffff, v36
	v_fma_mixlo_f16 v39, v24, v39, 0 op_sel:[0,1,0] op_sel_hi:[0,1,0]
	v_and_b32_e32 v64, 0xffff, v38
	v_and_b32_e32 v65, 0xffff, v37
	v_fma_mixlo_f16 v40, v24, v40, 0 op_sel_hi:[0,1,0]
	s_waitcnt lgkmcnt(0)
	v_and_b32_e32 v53, 0xffff, v52
	v_lshrrev_b32_e32 v52, 16, v52
	;;#ASMSTART
	v_cvt_f32_f16 v27, v53;
	;;#ASMEND
	;;#ASMSTART
	v_cvt_f32_f16 v28, v52;
	;;#ASMEND
	;;#ASMSTART
	v_cvt_f32_f16 v52, v54;
	;;#ASMEND
	;;#ASMSTART
	v_cvt_f32_f16 v53, v55;
	;;#ASMEND
	ds_read_b32 v54, v16 offset:8
	v_and_b32_e32 v66, 0xffff, v40
	v_and_b32_e32 v67, 0xffff, v39
	v_or_b32_e32 v42, v41, v42
	v_fma_mixlo_f16 v41, v24, v41, 0 op_sel:[0,1,0] op_sel_hi:[0,1,0]
	v_or_b32_e32 v44, v43, v44
	v_fma_mixlo_f16 v43, v24, v43, 0 op_sel:[0,1,0] op_sel_hi:[0,1,0]
	v_or_b32_e32 v46, v45, v46
	v_fma_mixlo_f16 v42, v24, v42, 0 op_sel_hi:[0,1,0]
	v_and_b32_e32 v69, 0xffff, v41
	v_fma_mixlo_f16 v44, v24, v44, 0 op_sel_hi:[0,1,0]
	v_and_b32_e32 v71, 0xffff, v43
	;; [unrolled: 2-line block ×3, first 2 shown]
	v_fma_mixlo_f16 v45, v24, v45, 0 op_sel:[0,1,0] op_sel_hi:[0,1,0]
	v_and_b32_e32 v70, 0xffff, v44
	v_mul_f32_e32 v27, v27, v52
	v_mul_f32_e32 v28, v28, v53
	v_and_b32_e32 v72, 0xffff, v46
	v_and_b32_e32 v73, 0xffff, v45
	s_waitcnt lgkmcnt(0)
	v_and_b32_e32 v55, 0xffff, v54
	v_lshrrev_b32_e32 v54, 16, v54
	;;#ASMSTART
	v_cvt_f32_f16 v29, v55;
	;;#ASMEND
	;;#ASMSTART
	v_cvt_f32_f16 v30, v54;
	;;#ASMEND
	;; [unrolled: 3-line block ×4, first 2 shown]
	ds_read_b32 v56, v16 offset:12
	v_fmac_f32_e32 v27, v3, v26
	v_fmac_f32_e32 v28, v25, v51
	v_or_b32_e32 v48, v47, v48
	v_fma_mixlo_f16 v47, v24, v47, 0 op_sel:[0,1,0] op_sel_hi:[0,1,0]
	v_or_b32_e32 v10, v9, v10
	v_fmac_f32_e32 v27, v29, v54
	v_fmac_f32_e32 v28, v30, v55
	v_fma_mixlo_f16 v48, v24, v48, 0 op_sel_hi:[0,1,0]
	v_and_b32_e32 v47, 0xffff, v47
	v_fma_mixlo_f16 v10, v24, v10, 0 op_sel_hi:[0,1,0]
	v_fma_mixlo_f16 v9, v24, v9, 0 op_sel:[0,1,0] op_sel_hi:[0,1,0]
	v_and_b32_e32 v26, 0xffff, v48
	s_waitcnt lgkmcnt(0)
	v_and_b32_e32 v57, 0xffff, v56
	v_lshrrev_b32_e32 v56, 16, v56
	;;#ASMSTART
	v_cvt_f32_f16 v31, v57;
	;;#ASMEND
	;;#ASMSTART
	v_cvt_f32_f16 v32, v56;
	;;#ASMEND
	;; [unrolled: 3-line block ×4, first 2 shown]
	ds_read_b32 v58, v16 offset:16
	v_fmac_f32_e32 v27, v31, v56
	v_fmac_f32_e32 v28, v32, v57
	v_or_b32_e32 v31, v49, v50
	v_fma_mixlo_f16 v32, v24, v49, 0 op_sel:[0,1,0] op_sel_hi:[0,1,0]
	v_fma_mixlo_f16 v31, v24, v31, 0 op_sel_hi:[0,1,0]
	s_waitcnt lgkmcnt(0)
	v_and_b32_e32 v59, 0xffff, v58
	v_lshrrev_b32_e32 v58, 16, v58
	;;#ASMSTART
	v_cvt_f32_f16 v33, v59;
	;;#ASMEND
	;;#ASMSTART
	v_cvt_f32_f16 v34, v58;
	;;#ASMEND
	;; [unrolled: 3-line block ×4, first 2 shown]
	ds_read_b32 v60, v16 offset:20
	v_fmac_f32_e32 v27, v33, v58
	v_fmac_f32_e32 v28, v34, v59
	v_and_b32_e32 v33, 0xffff, v32
	s_waitcnt lgkmcnt(0)
	v_and_b32_e32 v61, 0xffff, v60
	v_lshrrev_b32_e32 v60, 16, v60
	;;#ASMSTART
	v_cvt_f32_f16 v35, v61;
	;;#ASMEND
	;;#ASMSTART
	v_cvt_f32_f16 v36, v60;
	;;#ASMEND
	;;#ASMSTART
	v_cvt_f32_f16 v60, v62;
	;;#ASMEND
	;;#ASMSTART
	v_cvt_f32_f16 v61, v63;
	;;#ASMEND
	ds_read_b32 v62, v16 offset:24
	v_fmac_f32_e32 v27, v35, v60
	v_fmac_f32_e32 v28, v36, v61
	v_and_b32_e32 v35, 0xffff, v31
	v_and_b32_e32 v36, 0xffff, v9
	s_waitcnt lgkmcnt(0)
	v_and_b32_e32 v63, 0xffff, v62
	v_lshrrev_b32_e32 v62, 16, v62
	;;#ASMSTART
	v_cvt_f32_f16 v37, v63;
	;;#ASMEND
	;;#ASMSTART
	v_cvt_f32_f16 v38, v62;
	;;#ASMEND
	;;#ASMSTART
	v_cvt_f32_f16 v62, v64;
	;;#ASMEND
	;;#ASMSTART
	v_cvt_f32_f16 v63, v65;
	;;#ASMEND
	ds_read_b32 v64, v16 offset:28
	v_fmac_f32_e32 v27, v37, v62
	v_fmac_f32_e32 v28, v38, v63
	s_waitcnt lgkmcnt(0)
	v_and_b32_e32 v65, 0xffff, v64
	v_lshrrev_b32_e32 v64, 16, v64
	;;#ASMSTART
	v_cvt_f32_f16 v39, v65;
	;;#ASMEND
	;;#ASMSTART
	v_cvt_f32_f16 v40, v64;
	;;#ASMEND
	;;#ASMSTART
	v_cvt_f32_f16 v64, v66;
	;;#ASMEND
	;;#ASMSTART
	v_cvt_f32_f16 v65, v67;
	;;#ASMEND
	ds_read_b32 v66, v16 offset:32
	v_fmac_f32_e32 v27, v39, v64
	v_fmac_f32_e32 v28, v40, v65
	;; [unrolled: 18-line block ×6, first 2 shown]
	v_and_b32_e32 v25, 0xffff, v10
	s_waitcnt lgkmcnt(0)
	v_and_b32_e32 v32, 0xffff, v30
	v_lshrrev_b32_e32 v34, 16, v30
	;;#ASMSTART
	v_cvt_f32_f16 v30, v32;
	;;#ASMEND
	;;#ASMSTART
	v_cvt_f32_f16 v31, v34;
	;;#ASMEND
	;;#ASMSTART
	v_cvt_f32_f16 v32, v35;
	;;#ASMEND
	;;#ASMSTART
	v_cvt_f32_f16 v33, v33;
	;;#ASMEND
	ds_read_b32 v34, v16 offset:52
	v_xor_b32_e32 v35, 2, v15
	v_fmac_f32_e32 v27, v30, v32
	v_fmac_f32_e32 v28, v31, v33
	v_cmp_gt_i32_e64 s2, 32, v35
	v_cndmask_b32_e64 v9, v15, v35, s2
	s_waitcnt lgkmcnt(0)
	v_and_b32_e32 v3, 0xffff, v34
	v_lshrrev_b32_e32 v24, 16, v34
	;;#ASMSTART
	v_cvt_f32_f16 v3, v3;
	;;#ASMEND
	;;#ASMSTART
	v_cvt_f32_f16 v10, v24;
	;;#ASMEND
	;; [unrolled: 3-line block ×4, first 2 shown]
	v_fmac_f32_e32 v27, v3, v24
	v_fmac_f32_e32 v28, v10, v25
	v_lshlrev_b32_e32 v3, 2, v9
	v_xor_b32_e32 v10, 1, v15
	v_add_f32_e32 v9, v27, v28
	v_cmp_gt_i32_e64 s2, 32, v10
	ds_bpermute_b32 v3, v3, v9
	v_cndmask_b32_e64 v10, v15, v10, s2
	s_waitcnt lgkmcnt(0)
	v_add_f32_e32 v3, v9, v3
	v_lshlrev_b32_e32 v9, 2, v10
	ds_bpermute_b32 v9, v9, v3
	s_and_saveexec_b32 s3, vcc_lo
	s_cbranch_execz .LBB274_9
; %bb.235:                              ;   in Loop: Header=BB274_10 Depth=1
	v_add_nc_u32_e32 v10, s4, v17
	s_waitcnt lgkmcnt(0)
	v_add_f32_e32 v3, v3, v9
	v_cmp_gt_i32_e64 s2, s27, v17
	v_cvt_f32_i32_e32 v10, v10
	v_mul_f32_e32 v10, s36, v10
	v_cndmask_b32_e64 v9, 0, v10, s1
	v_max_f32_e32 v10, v13, v13
	v_fmac_f32_e32 v9, s37, v3
	v_max_f32_e32 v3, v10, v9
	v_cndmask_b32_e64 v9, 0, v9, s2
	v_cndmask_b32_e64 v13, v13, v3, s2
	ds_write_b32 v18, v9
	s_branch .LBB274_9
.LBB274_236:
	s_or_b32 exec_lo, exec_lo, s5
.LBB274_237:
	s_or_b32 exec_lo, exec_lo, s38
	v_xor_b32_e32 v3, 16, v15
	v_xor_b32_e32 v6, 8, v15
	v_max_f32_e32 v7, v13, v13
	v_xor_b32_e32 v8, 4, v15
	v_cmp_lt_i32_e32 vcc_lo, v3, v14
	v_cndmask_b32_e32 v3, v15, v3, vcc_lo
	v_cmp_lt_i32_e32 vcc_lo, v6, v14
	v_lshlrev_b32_e32 v5, 2, v3
	v_cndmask_b32_e32 v6, v15, v6, vcc_lo
	v_cmp_lt_i32_e32 vcc_lo, v8, v14
	ds_bpermute_b32 v3, v5, v13
	v_lshlrev_b32_e32 v6, 2, v6
	v_cndmask_b32_e32 v8, v15, v8, vcc_lo
	v_and_b32_e32 v13, 31, v0
	s_waitcnt lgkmcnt(0)
	v_lshlrev_b32_e32 v9, 2, v8
	v_cmp_eq_u32_e32 vcc_lo, 0, v13
	v_max_f32_e32 v3, v3, v3
	v_max_f32_e32 v3, v7, v3
	ds_bpermute_b32 v7, v6, v3
	s_waitcnt lgkmcnt(0)
	v_max_f32_e32 v7, v7, v7
	v_max_f32_e32 v3, v3, v7
	v_lshlrev_b32_e32 v7, 2, v12
	ds_bpermute_b32 v8, v9, v3
	s_and_saveexec_b32 s1, vcc_lo
	s_cbranch_execz .LBB274_239
; %bb.238:
	s_waitcnt lgkmcnt(0)
	v_max_f32_e32 v8, v8, v8
	v_max_f32_e32 v3, v3, v3
	;; [unrolled: 1-line block ×3, first 2 shown]
	ds_write_b32 v7, v3 offset:224
.LBB274_239:
	s_or_b32 exec_lo, exec_lo, s1
	v_cmp_gt_u32_e64 s1, 4, v13
	v_mov_b32_e32 v3, 0xff7fffff
	s_waitcnt lgkmcnt(0)
	v_lshlrev_b32_e32 v8, 2, v13
	s_barrier
	buffer_gl0_inv
	s_and_saveexec_b32 s2, s1
; %bb.240:
	ds_read_b32 v3, v8 offset:224
; %bb.241:
	s_or_b32 exec_lo, exec_lo, s2
	v_xor_b32_e32 v10, 2, v15
	v_xor_b32_e32 v17, 1, v15
	v_lshlrev_b32_e32 v4, 2, v4
	v_cmp_lt_i32_e64 s2, v10, v14
	v_cndmask_b32_e64 v10, v15, v10, s2
	v_cmp_lt_i32_e64 s2, v17, v14
	v_lshlrev_b32_e32 v10, 2, v10
	v_cndmask_b32_e64 v14, v15, v17, s2
	s_sub_i32 s2, s16, s19
	s_lshl_b32 s2, s2, 3
	s_waitcnt lgkmcnt(0)
	ds_bpermute_b32 v16, v10, v3
	v_max_f32_e32 v3, v3, v3
	s_add_i32 s2, s2, s33
	s_min_i32 s2, s2, s27
	s_sub_i32 s4, s2, s33
	v_cmp_gt_i32_e64 s2, s4, v0
	s_waitcnt lgkmcnt(0)
	v_max_f32_e32 v17, v16, v16
	v_lshlrev_b32_e32 v16, 2, v14
	v_max_f32_e32 v3, v3, v17
	ds_bpermute_b32 v14, v16, v3
	s_waitcnt lgkmcnt(0)
	v_max_f32_e32 v14, v14, v14
	v_max_f32_e32 v3, v3, v14
	v_lshl_add_u32 v14, v0, 2, 0x100
	ds_bpermute_b32 v3, v4, v3
	v_mov_b32_e32 v4, 0
	s_and_saveexec_b32 s5, s2
	s_cbranch_execz .LBB274_245
; %bb.242:
	v_lshl_add_u32 v17, v0, 2, 0x100
	v_mov_b32_e32 v4, 0
	v_mov_b32_e32 v18, v0
	s_mov_b32 s12, 0
	.p2align	6
.LBB274_243:                            ; =>This Inner Loop Header: Depth=1
	ds_read_b32 v19, v17
	v_add_nc_u32_e32 v18, 0x80, v18
	v_cmp_le_i32_e64 s3, s4, v18
	s_or_b32 s12, s3, s12
	s_waitcnt lgkmcnt(0)
	v_sub_f32_e32 v19, v19, v3
	v_mul_f32_e32 v19, 0x3fb8aa3b, v19
	v_exp_f32_e32 v19, v19
	ds_write_b32 v17, v19
	v_add_f32_e32 v4, v4, v19
	v_add_nc_u32_e32 v17, 0x200, v17
	s_andn2_b32 exec_lo, exec_lo, s12
	s_cbranch_execnz .LBB274_243
; %bb.244:
	s_or_b32 exec_lo, exec_lo, s12
.LBB274_245:
	s_or_b32 exec_lo, exec_lo, s5
	ds_bpermute_b32 v5, v5, v4
	s_waitcnt lgkmcnt(0)
	v_add_f32_e32 v4, v4, v5
	ds_bpermute_b32 v5, v6, v4
	s_waitcnt lgkmcnt(0)
	v_add_f32_e32 v4, v4, v5
	;; [unrolled: 3-line block ×5, first 2 shown]
	s_and_saveexec_b32 s3, vcc_lo
; %bb.246:
	ds_write_b32 v7, v4 offset:240
; %bb.247:
	s_or_b32 exec_lo, exec_lo, s3
	s_waitcnt lgkmcnt(0)
	s_barrier
	buffer_gl0_inv
	s_and_saveexec_b32 s3, s1
; %bb.248:
	ds_read_b32 v4, v8 offset:240
; %bb.249:
	s_or_b32 exec_lo, exec_lo, s3
	s_waitcnt lgkmcnt(0)
	ds_bpermute_b32 v5, v10, v4
	v_lshlrev_b32_e32 v6, 2, v15
	s_waitcnt lgkmcnt(0)
	v_add_f32_e32 v4, v4, v5
	ds_bpermute_b32 v5, v16, v4
	s_waitcnt lgkmcnt(0)
	v_add_f32_e32 v4, v4, v5
	v_and_b32_e32 v5, 0xffffff80, v6
	ds_bpermute_b32 v4, v5, v4
	s_and_saveexec_b32 s1, s2
	s_cbranch_execz .LBB274_252
; %bb.250:
	s_waitcnt lgkmcnt(0)
	v_add_f32_e32 v6, 0x358637bd, v4
	s_mov_b32 s2, 0
	v_div_scale_f32 v5, null, v6, v6, 1.0
	v_div_scale_f32 v9, vcc_lo, 1.0, v6, 1.0
	v_rcp_f32_e32 v7, v5
	v_fma_f32 v8, -v5, v7, 1.0
	v_fmac_f32_e32 v7, v8, v7
	v_mul_f32_e32 v8, v9, v7
	v_fma_f32 v10, -v5, v8, v9
	v_fmac_f32_e32 v8, v10, v7
	v_fma_f32 v5, -v5, v8, v9
	v_div_fmas_f32 v7, v5, v7, v8
	v_mov_b32_e32 v5, v14
	v_div_fixup_f32 v6, v7, v6, 1.0
	v_mov_b32_e32 v7, v0
.LBB274_251:                            ; =>This Inner Loop Header: Depth=1
	ds_read_b32 v8, v5
	v_add_nc_u32_e32 v7, 0x80, v7
	v_cmp_le_i32_e32 vcc_lo, s4, v7
	s_or_b32 s2, vcc_lo, s2
	s_waitcnt lgkmcnt(0)
	v_mul_f32_e32 v8, v6, v8
	ds_write_b32 v5, v8
	v_add_nc_u32_e32 v5, 0x200, v5
	s_andn2_b32 exec_lo, exec_lo, s2
	s_cbranch_execnz .LBB274_251
.LBB274_252:
	s_or_b32 exec_lo, exec_lo, s1
	s_mul_i32 s1, s11, s26
	s_waitcnt lgkmcnt(0)
	s_mul_i32 s2, s1, s9
	s_mov_b32 s1, exec_lo
	s_barrier
	buffer_gl0_inv
	v_cmpx_eq_u32_e32 0, v0
	s_cbranch_execz .LBB274_254
; %bb.253:
	s_ashr_i32 s3, s2, 31
	s_mul_i32 s12, s11, s6
	s_lshl_b64 s[4:5], s[2:3], 2
	v_mov_b32_e32 v5, 0
	s_add_u32 s3, s22, s4
	s_addc_u32 s6, s23, s5
	s_ashr_i32 s13, s12, 31
	s_lshl_b64 s[12:13], s[12:13], 2
	s_add_u32 s3, s3, s12
	s_addc_u32 s6, s6, s13
	s_ashr_i32 s9, s8, 31
	s_lshl_b64 s[22:23], s[8:9], 2
	s_add_u32 s36, s3, s22
	s_addc_u32 s37, s6, s23
	s_add_u32 s3, s20, s4
	s_addc_u32 s4, s21, s5
	;; [unrolled: 2-line block ×4, first 2 shown]
	global_store_dword v5, v3, s[36:37]
	global_store_dword v5, v4, s[4:5]
.LBB274_254:
	s_or_b32 exec_lo, exec_lo, s1
	v_mov_b32_e32 v18, 0
	v_mov_b32_e32 v17, 0
	;; [unrolled: 1-line block ×4, first 2 shown]
	s_and_saveexec_b32 s3, s0
	s_cbranch_execz .LBB274_524
; %bb.255:
	v_or_b32_e32 v4, 0x60, v13
	s_ashr_i32 s0, s18, 31
	s_add_u32 s4, s34, s18
	s_addc_u32 s5, s35, s0
	s_lshl_b64 s[0:1], s[30:31], 2
	v_cmp_gt_u32_e32 vcc_lo, 0x70, v4
	v_lshlrev_b32_e32 v20, 3, v4
	v_lshlrev_b64 v[4:5], 2, v[1:2]
	s_add_i32 s12, s7, -1
	s_add_u32 s0, s28, s0
	s_addc_u32 s1, s29, s1
	v_lshlrev_b32_e32 v19, 3, v13
	v_mov_b32_e32 v3, 0
	v_add_co_u32 v4, s0, s0, v4
	v_add3_u32 v21, s33, v11, 7
	v_lshl_add_u32 v22, v12, 5, 0x100
	v_add_co_ci_u32_e64 v5, null, s1, v5, s0
	v_mov_b32_e32 v23, 0x80
	v_mov_b32_e32 v24, 0x7f
	v_mov_b32_e32 v25, 7
	v_mov_b32_e32 v26, 8
	v_mov_b32_e32 v15, 0
	v_mov_b32_e32 v16, 0
	v_mov_b32_e32 v17, 0
	v_mov_b32_e32 v18, 0
	s_mov_b32 s6, -1
	s_mov_b32 s9, s17
	s_mov_b32 s7, 0xffffff
	s_mov_b32 s13, 0
	s_branch .LBB274_258
.LBB274_256:                            ;   in Loop: Header=BB274_258 Depth=1
	s_or_b32 exec_lo, exec_lo, s1
	;;#ASMSTART
	v_pk_mul_f16 v2, v33, v41;

	;;#ASMEND
	;;#ASMSTART
	v_pk_mul_f16 v6, v32, v40;

	;;#ASMEND
	;; [unrolled: 4-line block ×4, first 2 shown]
	;;#ASMSTART
	v_pk_add_f16 v2, v2, v6;

	;;#ASMEND
	;;#ASMSTART
	v_pk_add_f16 v2, v2, v7;

	;;#ASMEND
	;; [unrolled: 4-line block ×3, first 2 shown]
	v_and_b32_e32 v6, 0xffff, v2
	v_lshrrev_b32_e32 v7, 16, v2
	;;#ASMSTART
	v_cvt_f32_f16 v2, v6;
	;;#ASMEND
	;;#ASMSTART
	v_cvt_f32_f16 v6, v7;
	;;#ASMEND
	v_add_f32_e32 v2, v2, v6
	v_add_f32_e32 v15, v15, v2
.LBB274_257:                            ;   in Loop: Header=BB274_258 Depth=1
	s_or_b32 exec_lo, exec_lo, s17
	v_add_nc_u32_e32 v1, 4, v1
	v_add_f32_e32 v2, v8, v9
	v_add_f32_e32 v6, v10, v11
	;; [unrolled: 1-line block ×3, first 2 shown]
	v_add_co_u32 v4, s1, v4, 16
	v_cmp_le_i32_e64 s0, s16, v1
	v_add_f32_e32 v16, v16, v2
	v_add_f32_e32 v17, v17, v6
	;; [unrolled: 1-line block ×3, first 2 shown]
	v_add_nc_u32_e32 v21, 32, v21
	v_add_nc_u32_e32 v22, 0x80, v22
	v_add_co_ci_u32_e64 v5, null, 0, v5, s1
	s_or_b32 s13, s0, s13
	s_andn2_b32 exec_lo, exec_lo, s13
	s_cbranch_execz .LBB274_523
.LBB274_258:                            ; =>This Inner Loop Header: Depth=1
	global_load_dword v2, v[4:5], off
	ds_read2_b64 v[8:11], v22 offset1:1
	ds_read2_b64 v[33:36], v22 offset0:2 offset1:3
	v_mov_b32_e32 v37, 0
	s_waitcnt lgkmcnt(1)
	;;#ASMSTART
	v_cvt_f16_f32 v31, v8;

	;;#ASMEND
	;;#ASMSTART
	v_cvt_f16_f32 v28, v9;

	;;#ASMEND
	;;#ASMSTART
	v_cvt_f16_f32 v32, v10;

	;;#ASMEND
	;;#ASMSTART
	v_cvt_f16_f32 v29, v11;

	;;#ASMEND
	s_waitcnt lgkmcnt(0)
	;;#ASMSTART
	v_cvt_f16_f32 v33, v33;

	;;#ASMEND
	;;#ASMSTART
	v_cvt_f16_f32 v30, v34;

	;;#ASMEND
	;; [unrolled: 4-line block ×4, first 2 shown]
	s_waitcnt vmcnt(0)
	v_mad_i64_i32 v[6:7], null, v2, s9, s[4:5]
	v_add_co_u32 v8, s0, v6, v19
	v_add_co_ci_u32_e64 v9, null, 0, v7, s0
	global_load_dwordx2 v[10:11], v[8:9], off
	global_load_dword v36, v3, s[14:15]
	s_waitcnt vmcnt(1)
	v_cmp_ne_u16_sdwa s0, v10, v3 src0_sel:BYTE_0 src1_sel:DWORD
	s_and_saveexec_b32 s1, s0
	s_cbranch_execz .LBB274_266
; %bb.259:                              ;   in Loop: Header=BB274_258 Depth=1
	v_cmp_ne_u16_sdwa s0, v10, v23 src0_sel:BYTE_0 src1_sel:DWORD
	v_mov_b32_e32 v37, 0x8000
	s_and_saveexec_b32 s17, s0
	s_cbranch_execz .LBB274_265
; %bb.260:                              ;   in Loop: Header=BB274_258 Depth=1
	v_and_b32_e32 v38, 0x7f, v10
	v_mov_b32_e32 v37, 0x7c01
	s_mov_b32 s18, exec_lo
	v_cmpx_ne_u32_e32 0x7f, v38
	s_cbranch_execz .LBB274_264
; %bb.261:                              ;   in Loop: Header=BB274_258 Depth=1
	v_and_b32_e32 v2, 7, v10
	v_lshrrev_b32_e32 v27, 3, v38
	s_mov_b32 s19, exec_lo
	v_cmpx_gt_u32_e32 8, v38
; %bb.262:                              ;   in Loop: Header=BB274_258 Depth=1
	v_ffbh_u32_e32 v2, v2
	v_min_u32_e32 v2, 32, v2
	v_subrev_nc_u32_e32 v27, 28, v2
	v_lshlrev_b64 v[37:38], v27, v[10:11]
	v_sub_nc_u32_e32 v27, 29, v2
	v_and_b32_e32 v2, 7, v37
; %bb.263:                              ;   in Loop: Header=BB274_258 Depth=1
	s_or_b32 exec_lo, exec_lo, s19
	v_lshlrev_b32_e32 v37, 8, v10
	v_lshl_add_u32 v27, v27, 10, 0x2000
	v_lshlrev_b32_e32 v2, 7, v2
	v_and_b32_e32 v37, 0x8000, v37
	v_and_b32_e32 v27, 0xfc00, v27
	v_or3_b32 v37, v37, v27, v2
.LBB274_264:                            ;   in Loop: Header=BB274_258 Depth=1
	s_or_b32 exec_lo, exec_lo, s18
.LBB274_265:                            ;   in Loop: Header=BB274_258 Depth=1
	s_or_b32 exec_lo, exec_lo, s17
.LBB274_266:                            ;   in Loop: Header=BB274_258 Depth=1
	s_or_b32 exec_lo, exec_lo, s1
	v_lshrrev_b16 v2, 8, v10
	v_mov_b32_e32 v27, 0
	v_mov_b32_e32 v38, 0
	s_mov_b32 s1, exec_lo
	v_cmpx_ne_u16_e32 0, v2
	s_cbranch_execz .LBB274_274
; %bb.267:                              ;   in Loop: Header=BB274_258 Depth=1
	v_bfrev_b32_e32 v38, 1
	s_mov_b32 s17, exec_lo
	v_cmpx_ne_u16_e32 0x80, v2
	s_cbranch_execz .LBB274_273
; %bb.268:                              ;   in Loop: Header=BB274_258 Depth=1
	v_and_b32_sdwa v40, v2, v24 dst_sel:DWORD dst_unused:UNUSED_PAD src0_sel:WORD_0 src1_sel:DWORD
	v_mov_b32_e32 v38, 0x7c010000
	s_mov_b32 s18, exec_lo
	v_cmpx_ne_u32_e32 0x7f, v40
	s_cbranch_execz .LBB274_272
; %bb.269:                              ;   in Loop: Header=BB274_258 Depth=1
	v_and_b32_sdwa v38, v2, v25 dst_sel:DWORD dst_unused:UNUSED_PAD src0_sel:WORD_0 src1_sel:DWORD
	v_lshrrev_b32_e32 v39, 3, v40
	s_mov_b32 s19, exec_lo
	v_cmpx_gt_u32_e32 8, v40
; %bb.270:                              ;   in Loop: Header=BB274_258 Depth=1
	v_ffbh_u32_e32 v38, v38
	v_min_u32_e32 v40, 32, v38
	v_subrev_nc_u32_e32 v38, 28, v40
	v_lshlrev_b64 v[38:39], v38, v[2:3]
	v_sub_nc_u32_e32 v39, 29, v40
	v_and_b32_e32 v38, 7, v38
; %bb.271:                              ;   in Loop: Header=BB274_258 Depth=1
	s_or_b32 exec_lo, exec_lo, s19
	v_lshlrev_b32_sdwa v2, v26, v2 dst_sel:DWORD dst_unused:UNUSED_PAD src0_sel:DWORD src1_sel:WORD_0
	v_lshl_add_u32 v39, v39, 10, 0x2000
	v_lshlrev_b32_e32 v38, 23, v38
	v_and_or_b32 v2, 0x8000, v2, v39
	v_lshl_or_b32 v38, v2, 16, v38
.LBB274_272:                            ;   in Loop: Header=BB274_258 Depth=1
	s_or_b32 exec_lo, exec_lo, s18
.LBB274_273:                            ;   in Loop: Header=BB274_258 Depth=1
	s_or_b32 exec_lo, exec_lo, s17
.LBB274_274:                            ;   in Loop: Header=BB274_258 Depth=1
	s_or_b32 exec_lo, exec_lo, s1
	v_lshrrev_b32_e32 v2, 16, v10
	v_cmp_ne_u16_sdwa s0, v2, v3 src0_sel:BYTE_0 src1_sel:DWORD
	s_and_saveexec_b32 s1, s0
	s_cbranch_execz .LBB274_282
; %bb.275:                              ;   in Loop: Header=BB274_258 Depth=1
	v_cmp_ne_u16_sdwa s0, v2, v23 src0_sel:BYTE_0 src1_sel:DWORD
	v_mov_b32_e32 v27, 0x8000
	s_and_saveexec_b32 s17, s0
	s_cbranch_execz .LBB274_281
; %bb.276:                              ;   in Loop: Header=BB274_258 Depth=1
	v_bfe_u32 v40, v10, 16, 7
	v_mov_b32_e32 v27, 0x7c01
	s_mov_b32 s18, exec_lo
	v_cmpx_ne_u32_e32 0x7f, v40
	s_cbranch_execz .LBB274_280
; %bb.277:                              ;   in Loop: Header=BB274_258 Depth=1
	v_and_b32_e32 v27, 7, v2
	v_lshrrev_b32_e32 v39, 3, v40
	s_mov_b32 s19, exec_lo
	v_cmpx_gt_u32_e32 8, v40
; %bb.278:                              ;   in Loop: Header=BB274_258 Depth=1
	v_ffbh_u32_e32 v27, v27
	v_min_u32_e32 v27, 32, v27
	v_subrev_nc_u32_e32 v39, 28, v27
	v_lshlrev_b64 v[40:41], v39, v[2:3]
	v_sub_nc_u32_e32 v39, 29, v27
	v_and_b32_e32 v27, 7, v40
; %bb.279:                              ;   in Loop: Header=BB274_258 Depth=1
	s_or_b32 exec_lo, exec_lo, s19
	v_lshlrev_b32_e32 v2, 8, v2
	v_lshl_add_u32 v39, v39, 10, 0x2000
	v_lshlrev_b32_e32 v27, 7, v27
	v_and_b32_e32 v2, 0x8000, v2
	v_and_b32_e32 v39, 0xfc00, v39
	v_or3_b32 v27, v2, v39, v27
.LBB274_280:                            ;   in Loop: Header=BB274_258 Depth=1
	s_or_b32 exec_lo, exec_lo, s18
.LBB274_281:                            ;   in Loop: Header=BB274_258 Depth=1
	s_or_b32 exec_lo, exec_lo, s17
.LBB274_282:                            ;   in Loop: Header=BB274_258 Depth=1
	s_or_b32 exec_lo, exec_lo, s1
	v_mov_b32_e32 v39, 0
	v_mov_b32_e32 v40, 0
	s_mov_b32 s1, exec_lo
	v_cmpx_lt_u32_e32 0xffffff, v10
	s_cbranch_execz .LBB274_290
; %bb.283:                              ;   in Loop: Header=BB274_258 Depth=1
	v_lshrrev_b32_e32 v2, 24, v10
	v_bfrev_b32_e32 v40, 1
	s_mov_b32 s17, exec_lo
	v_cmpx_ne_u32_e32 0x80, v2
	s_cbranch_execz .LBB274_289
; %bb.284:                              ;   in Loop: Header=BB274_258 Depth=1
	v_and_b32_e32 v42, 0x7f, v2
	v_mov_b32_e32 v40, 0x7c010000
	s_mov_b32 s18, exec_lo
	v_cmpx_ne_u32_e32 0x7f, v42
	s_cbranch_execz .LBB274_288
; %bb.285:                              ;   in Loop: Header=BB274_258 Depth=1
	v_and_b32_e32 v40, 7, v2
	v_lshrrev_b32_e32 v41, 3, v42
	s_mov_b32 s19, exec_lo
	v_cmpx_gt_u32_e32 8, v42
; %bb.286:                              ;   in Loop: Header=BB274_258 Depth=1
	v_ffbh_u32_e32 v40, v40
	v_min_u32_e32 v42, 32, v40
	v_subrev_nc_u32_e32 v40, 28, v42
	v_lshlrev_b64 v[40:41], v40, v[2:3]
	v_sub_nc_u32_e32 v41, 29, v42
	v_and_b32_e32 v40, 7, v40
; %bb.287:                              ;   in Loop: Header=BB274_258 Depth=1
	s_or_b32 exec_lo, exec_lo, s19
	v_lshlrev_b32_e32 v2, 8, v2
	v_lshl_add_u32 v41, v41, 10, 0x2000
	v_lshlrev_b32_e32 v40, 23, v40
	v_and_or_b32 v2, 0x8000, v2, v41
	v_lshl_or_b32 v40, v2, 16, v40
.LBB274_288:                            ;   in Loop: Header=BB274_258 Depth=1
	s_or_b32 exec_lo, exec_lo, s18
.LBB274_289:                            ;   in Loop: Header=BB274_258 Depth=1
	s_or_b32 exec_lo, exec_lo, s17
.LBB274_290:                            ;   in Loop: Header=BB274_258 Depth=1
	s_or_b32 exec_lo, exec_lo, s1
	v_mov_b32_e32 v2, v11
	v_cmp_ne_u16_sdwa s0, v11, v3 src0_sel:BYTE_0 src1_sel:DWORD
	s_and_saveexec_b32 s1, s0
	s_cbranch_execz .LBB274_298
; %bb.291:                              ;   in Loop: Header=BB274_258 Depth=1
	v_cmp_ne_u16_sdwa s0, v11, v23 src0_sel:BYTE_0 src1_sel:DWORD
	v_mov_b32_e32 v39, 0x8000
	s_and_saveexec_b32 s17, s0
	s_cbranch_execz .LBB274_297
; %bb.292:                              ;   in Loop: Header=BB274_258 Depth=1
	v_and_b32_e32 v42, 0x7f, v11
	v_mov_b32_e32 v39, 0x7c01
	s_mov_b32 s18, exec_lo
	v_cmpx_ne_u32_e32 0x7f, v42
	s_cbranch_execz .LBB274_296
; %bb.293:                              ;   in Loop: Header=BB274_258 Depth=1
	v_and_b32_e32 v39, 7, v11
	v_lshrrev_b32_e32 v41, 3, v42
	s_mov_b32 s19, exec_lo
	v_cmpx_gt_u32_e32 8, v42
; %bb.294:                              ;   in Loop: Header=BB274_258 Depth=1
	v_ffbh_u32_e32 v39, v39
	v_min_u32_e32 v39, 32, v39
	v_subrev_nc_u32_e32 v41, 28, v39
	v_lshlrev_b64 v[42:43], v41, v[2:3]
	v_sub_nc_u32_e32 v41, 29, v39
	v_and_b32_e32 v39, 7, v42
; %bb.295:                              ;   in Loop: Header=BB274_258 Depth=1
	s_or_b32 exec_lo, exec_lo, s19
	v_lshlrev_b32_e32 v42, 8, v11
	v_lshl_add_u32 v41, v41, 10, 0x2000
	v_lshlrev_b32_e32 v39, 7, v39
	v_and_b32_e32 v42, 0x8000, v42
	v_and_b32_e32 v41, 0xfc00, v41
	v_or3_b32 v39, v42, v41, v39
.LBB274_296:                            ;   in Loop: Header=BB274_258 Depth=1
	s_or_b32 exec_lo, exec_lo, s18
.LBB274_297:                            ;   in Loop: Header=BB274_258 Depth=1
	s_or_b32 exec_lo, exec_lo, s17
.LBB274_298:                            ;   in Loop: Header=BB274_258 Depth=1
	s_or_b32 exec_lo, exec_lo, s1
	v_lshrrev_b16 v2, 8, v2
	v_mov_b32_e32 v42, 0
	v_mov_b32_e32 v41, 0
	s_mov_b32 s1, exec_lo
	v_cmpx_ne_u16_e32 0, v2
	s_cbranch_execz .LBB274_306
; %bb.299:                              ;   in Loop: Header=BB274_258 Depth=1
	v_bfrev_b32_e32 v41, 1
	s_mov_b32 s17, exec_lo
	v_cmpx_ne_u16_e32 0x80, v2
	s_cbranch_execz .LBB274_305
; %bb.300:                              ;   in Loop: Header=BB274_258 Depth=1
	v_and_b32_sdwa v44, v2, v24 dst_sel:DWORD dst_unused:UNUSED_PAD src0_sel:WORD_0 src1_sel:DWORD
	v_mov_b32_e32 v41, 0x7c010000
	s_mov_b32 s18, exec_lo
	v_cmpx_ne_u32_e32 0x7f, v44
	s_cbranch_execz .LBB274_304
; %bb.301:                              ;   in Loop: Header=BB274_258 Depth=1
	v_and_b32_sdwa v41, v2, v25 dst_sel:DWORD dst_unused:UNUSED_PAD src0_sel:WORD_0 src1_sel:DWORD
	v_lshrrev_b32_e32 v43, 3, v44
	s_mov_b32 s19, exec_lo
	v_cmpx_gt_u32_e32 8, v44
; %bb.302:                              ;   in Loop: Header=BB274_258 Depth=1
	v_ffbh_u32_e32 v41, v41
	v_min_u32_e32 v41, 32, v41
	v_subrev_nc_u32_e32 v43, 28, v41
	v_lshlrev_b64 v[44:45], v43, v[2:3]
	v_sub_nc_u32_e32 v43, 29, v41
	v_and_b32_e32 v41, 7, v44
; %bb.303:                              ;   in Loop: Header=BB274_258 Depth=1
	s_or_b32 exec_lo, exec_lo, s19
	v_lshlrev_b32_sdwa v2, v26, v2 dst_sel:DWORD dst_unused:UNUSED_PAD src0_sel:DWORD src1_sel:WORD_0
	v_lshl_add_u32 v43, v43, 10, 0x2000
	v_lshlrev_b32_e32 v41, 23, v41
	v_and_or_b32 v2, 0x8000, v2, v43
	v_lshl_or_b32 v41, v2, 16, v41
.LBB274_304:                            ;   in Loop: Header=BB274_258 Depth=1
	s_or_b32 exec_lo, exec_lo, s18
.LBB274_305:                            ;   in Loop: Header=BB274_258 Depth=1
	s_or_b32 exec_lo, exec_lo, s17
.LBB274_306:                            ;   in Loop: Header=BB274_258 Depth=1
	s_or_b32 exec_lo, exec_lo, s1
	v_lshrrev_b32_e32 v2, 16, v11
	v_cmp_ne_u16_sdwa s0, v2, v3 src0_sel:BYTE_0 src1_sel:DWORD
	s_and_saveexec_b32 s1, s0
	s_cbranch_execz .LBB274_314
; %bb.307:                              ;   in Loop: Header=BB274_258 Depth=1
	v_cmp_ne_u16_sdwa s0, v2, v23 src0_sel:BYTE_0 src1_sel:DWORD
	v_mov_b32_e32 v42, 0x8000
	s_and_saveexec_b32 s17, s0
	s_cbranch_execz .LBB274_313
; %bb.308:                              ;   in Loop: Header=BB274_258 Depth=1
	v_bfe_u32 v44, v11, 16, 7
	v_mov_b32_e32 v42, 0x7c01
	s_mov_b32 s18, exec_lo
	v_cmpx_ne_u32_e32 0x7f, v44
	s_cbranch_execz .LBB274_312
; %bb.309:                              ;   in Loop: Header=BB274_258 Depth=1
	v_and_b32_e32 v42, 7, v2
	v_lshrrev_b32_e32 v43, 3, v44
	s_mov_b32 s19, exec_lo
	v_cmpx_gt_u32_e32 8, v44
; %bb.310:                              ;   in Loop: Header=BB274_258 Depth=1
	v_ffbh_u32_e32 v42, v42
	v_min_u32_e32 v44, 32, v42
	v_subrev_nc_u32_e32 v42, 28, v44
	v_lshlrev_b64 v[42:43], v42, v[2:3]
	v_sub_nc_u32_e32 v43, 29, v44
	v_and_b32_e32 v42, 7, v42
; %bb.311:                              ;   in Loop: Header=BB274_258 Depth=1
	s_or_b32 exec_lo, exec_lo, s19
	v_lshlrev_b32_e32 v2, 8, v2
	v_lshl_add_u32 v43, v43, 10, 0x2000
	v_lshlrev_b32_e32 v42, 7, v42
	v_and_b32_e32 v2, 0x8000, v2
	v_and_b32_e32 v43, 0xfc00, v43
	v_or3_b32 v42, v2, v43, v42
.LBB274_312:                            ;   in Loop: Header=BB274_258 Depth=1
	s_or_b32 exec_lo, exec_lo, s18
.LBB274_313:                            ;   in Loop: Header=BB274_258 Depth=1
	s_or_b32 exec_lo, exec_lo, s17
.LBB274_314:                            ;   in Loop: Header=BB274_258 Depth=1
	s_or_b32 exec_lo, exec_lo, s1
	v_cmp_lt_u64_e64 s0, s[6:7], v[10:11]
	v_mov_b32_e32 v10, 0
	s_and_saveexec_b32 s1, s0
	s_cbranch_execz .LBB274_322
; %bb.315:                              ;   in Loop: Header=BB274_258 Depth=1
	v_lshrrev_b32_e32 v2, 24, v11
	v_bfrev_b32_e32 v10, 1
	s_mov_b32 s17, exec_lo
	v_cmpx_ne_u32_e32 0x80, v2
	s_cbranch_execz .LBB274_321
; %bb.316:                              ;   in Loop: Header=BB274_258 Depth=1
	v_and_b32_e32 v43, 0x7f, v2
	v_mov_b32_e32 v10, 0x7c010000
	s_mov_b32 s18, exec_lo
	v_cmpx_ne_u32_e32 0x7f, v43
	s_cbranch_execz .LBB274_320
; %bb.317:                              ;   in Loop: Header=BB274_258 Depth=1
	v_and_b32_e32 v10, 7, v2
	v_lshrrev_b32_e32 v11, 3, v43
	s_mov_b32 s19, exec_lo
	v_cmpx_gt_u32_e32 8, v43
; %bb.318:                              ;   in Loop: Header=BB274_258 Depth=1
	v_ffbh_u32_e32 v10, v10
	v_min_u32_e32 v43, 32, v10
	v_subrev_nc_u32_e32 v10, 28, v43
	v_lshlrev_b64 v[10:11], v10, v[2:3]
	v_sub_nc_u32_e32 v11, 29, v43
	v_and_b32_e32 v10, 7, v10
; %bb.319:                              ;   in Loop: Header=BB274_258 Depth=1
	s_or_b32 exec_lo, exec_lo, s19
	v_lshlrev_b32_e32 v2, 8, v2
	v_lshl_add_u32 v11, v11, 10, 0x2000
	v_lshlrev_b32_e32 v10, 23, v10
	v_and_or_b32 v2, 0x8000, v2, v11
	v_lshl_or_b32 v10, v2, 16, v10
.LBB274_320:                            ;   in Loop: Header=BB274_258 Depth=1
	s_or_b32 exec_lo, exec_lo, s18
.LBB274_321:                            ;   in Loop: Header=BB274_258 Depth=1
	s_or_b32 exec_lo, exec_lo, s17
.LBB274_322:                            ;   in Loop: Header=BB274_258 Depth=1
	s_or_b32 exec_lo, exec_lo, s1
	v_or_b32_e32 v2, v40, v27
	s_waitcnt vmcnt(0)
	v_fma_mixlo_f16 v11, v36, v40, 0 op_sel:[0,1,0] op_sel_hi:[0,1,0]
	v_or_b32_e32 v37, v38, v37
	v_fma_mixlo_f16 v38, v36, v38, 0 op_sel:[0,1,0] op_sel_hi:[0,1,0]
	v_or_b32_e32 v43, v41, v39
	v_fma_mixlo_f16 v40, v36, v2, 0 op_sel_hi:[0,1,0]
	v_or_b32_e32 v42, v10, v42
	v_lshlrev_b32_e32 v2, 16, v11
	v_lshlrev_b32_e32 v39, 16, v38
	v_fma_mixlo_f16 v11, v36, v37, 0 op_sel_hi:[0,1,0]
	v_and_b32_e32 v38, 0xffff, v40
	v_fma_mixlo_f16 v37, v36, v41, 0 op_sel:[0,1,0] op_sel_hi:[0,1,0]
	v_fma_mixlo_f16 v40, v36, v43, 0 op_sel_hi:[0,1,0]
	v_fma_mixlo_f16 v10, v36, v10, 0 op_sel:[0,1,0] op_sel_hi:[0,1,0]
	v_fma_mixlo_f16 v36, v36, v42, 0 op_sel_hi:[0,1,0]
	v_and_b32_e32 v44, 0xffff, v11
	v_lshlrev_b32_e32 v11, 16, v37
	v_and_b32_e32 v37, 0xffff, v40
	v_lshlrev_b32_e32 v10, 16, v10
	v_and_b32_e32 v36, 0xffff, v36
	v_add_nc_u32_e32 v27, -7, v21
	v_cmp_eq_u32_e64 s0, s12, v1
	v_or_b32_e32 v40, v2, v38
	v_or_b32_e32 v41, v39, v44
	;; [unrolled: 1-line block ×4, first 2 shown]
	s_and_saveexec_b32 s17, s0
	s_cbranch_execz .LBB274_324
; %bb.323:                              ;   in Loop: Header=BB274_258 Depth=1
	v_add_nc_u32_e32 v40, -6, v21
	v_cmp_gt_i32_e64 s1, s27, v27
	v_add_nc_u32_e32 v41, -5, v21
	v_add_nc_u32_e32 v43, -2, v21
	v_cndmask_b32_e64 v42, 0, v44, s1
	v_cmp_gt_i32_e64 s1, s27, v40
	v_add_nc_u32_e32 v40, -4, v21
	v_cndmask_b32_e64 v39, 0, v39, s1
	v_cmp_gt_i32_e64 s1, s27, v41
	;; [unrolled: 3-line block ×4, first 2 shown]
	v_or_b32_e32 v41, v39, v42
	v_cndmask_b32_e64 v37, 0, v37, s1
	v_cmp_gt_i32_e64 s1, s27, v43
	v_cndmask_b32_e64 v11, 0, v11, s1
	v_cmp_gt_i32_e64 s1, s27, v40
	v_or_b32_e32 v40, v2, v38
	v_or_b32_e32 v42, v11, v37
	v_cndmask_b32_e64 v36, 0, v36, s1
	v_cmp_gt_i32_e64 s1, s27, v21
	v_cndmask_b32_e64 v10, 0, v10, s1
	v_or_b32_e32 v43, v10, v36
.LBB274_324:                            ;   in Loop: Header=BB274_258 Depth=1
	s_or_b32 exec_lo, exec_lo, s17
	v_and_b32_e32 v2, 0xffff, v31
	v_and_b32_e32 v10, 0xffff, v32
	;; [unrolled: 1-line block ×4, first 2 shown]
	v_mov_b32_e32 v36, 0
	v_lshl_or_b32 v33, v28, 16, v2
	;;#ASMSTART
	v_pk_mul_f16 v2, v33, v41;

	;;#ASMEND
	v_lshl_or_b32 v32, v29, 16, v10
	v_lshl_or_b32 v31, v30, 16, v11
	;; [unrolled: 1-line block ×3, first 2 shown]
	;;#ASMSTART
	v_pk_mul_f16 v10, v32, v40;

	;;#ASMEND
	;;#ASMSTART
	v_pk_mul_f16 v11, v31, v42;

	;;#ASMEND
	;; [unrolled: 4-line block ×3, first 2 shown]
	;;#ASMSTART
	v_pk_add_f16 v2, v2, v10;

	;;#ASMEND
	;;#ASMSTART
	v_pk_add_f16 v2, v2, v11;

	;;#ASMEND
	;; [unrolled: 4-line block ×3, first 2 shown]
	v_and_b32_e32 v10, 0xffff, v2
	v_lshrrev_b32_e32 v2, 16, v2
	;;#ASMSTART
	v_cvt_f32_f16 v28, v10;
	;;#ASMEND
	;;#ASMSTART
	v_cvt_f32_f16 v29, v2;
	;;#ASMEND
	global_load_dwordx2 v[10:11], v[8:9], off offset:256
	v_mov_b32_e32 v35, 0
	global_load_dword v34, v35, s[14:15]
	s_waitcnt vmcnt(1)
	v_cmp_ne_u16_sdwa s1, v10, v3 src0_sel:BYTE_0 src1_sel:DWORD
	s_and_saveexec_b32 s17, s1
	s_cbranch_execz .LBB274_332
; %bb.325:                              ;   in Loop: Header=BB274_258 Depth=1
	v_cmp_ne_u16_sdwa s1, v10, v23 src0_sel:BYTE_0 src1_sel:DWORD
	v_mov_b32_e32 v36, 0x8000
	s_and_saveexec_b32 s18, s1
	s_cbranch_execz .LBB274_331
; %bb.326:                              ;   in Loop: Header=BB274_258 Depth=1
	v_and_b32_e32 v37, 0x7f, v10
	v_mov_b32_e32 v36, 0x7c01
	s_mov_b32 s19, exec_lo
	v_cmpx_ne_u32_e32 0x7f, v37
	s_cbranch_execz .LBB274_330
; %bb.327:                              ;   in Loop: Header=BB274_258 Depth=1
	v_and_b32_e32 v2, 7, v10
	v_lshrrev_b32_e32 v36, 3, v37
	s_mov_b32 s20, exec_lo
	v_cmpx_gt_u32_e32 8, v37
; %bb.328:                              ;   in Loop: Header=BB274_258 Depth=1
	v_ffbh_u32_e32 v2, v2
	v_min_u32_e32 v2, 32, v2
	v_subrev_nc_u32_e32 v36, 28, v2
	v_lshlrev_b64 v[37:38], v36, v[10:11]
	v_sub_nc_u32_e32 v36, 29, v2
	v_and_b32_e32 v2, 7, v37
; %bb.329:                              ;   in Loop: Header=BB274_258 Depth=1
	s_or_b32 exec_lo, exec_lo, s20
	v_lshlrev_b32_e32 v37, 8, v10
	v_lshl_add_u32 v36, v36, 10, 0x2000
	v_lshlrev_b32_e32 v2, 7, v2
	v_and_b32_e32 v37, 0x8000, v37
	v_and_b32_e32 v36, 0xfc00, v36
	v_or3_b32 v36, v37, v36, v2
.LBB274_330:                            ;   in Loop: Header=BB274_258 Depth=1
	s_or_b32 exec_lo, exec_lo, s19
.LBB274_331:                            ;   in Loop: Header=BB274_258 Depth=1
	s_or_b32 exec_lo, exec_lo, s18
.LBB274_332:                            ;   in Loop: Header=BB274_258 Depth=1
	s_or_b32 exec_lo, exec_lo, s17
	v_lshrrev_b16 v2, 8, v10
	s_mov_b32 s17, exec_lo
	v_cmpx_ne_u16_e32 0, v2
	s_cbranch_execz .LBB274_340
; %bb.333:                              ;   in Loop: Header=BB274_258 Depth=1
	v_bfrev_b32_e32 v35, 1
	s_mov_b32 s18, exec_lo
	v_cmpx_ne_u16_e32 0x80, v2
	s_cbranch_execz .LBB274_339
; %bb.334:                              ;   in Loop: Header=BB274_258 Depth=1
	v_and_b32_sdwa v38, v2, v24 dst_sel:DWORD dst_unused:UNUSED_PAD src0_sel:WORD_0 src1_sel:DWORD
	v_mov_b32_e32 v35, 0x7c010000
	s_mov_b32 s19, exec_lo
	v_cmpx_ne_u32_e32 0x7f, v38
	s_cbranch_execz .LBB274_338
; %bb.335:                              ;   in Loop: Header=BB274_258 Depth=1
	v_and_b32_sdwa v35, v2, v25 dst_sel:DWORD dst_unused:UNUSED_PAD src0_sel:WORD_0 src1_sel:DWORD
	v_lshrrev_b32_e32 v37, 3, v38
	s_mov_b32 s20, exec_lo
	v_cmpx_gt_u32_e32 8, v38
; %bb.336:                              ;   in Loop: Header=BB274_258 Depth=1
	v_ffbh_u32_e32 v35, v35
	v_min_u32_e32 v35, 32, v35
	v_subrev_nc_u32_e32 v37, 28, v35
	v_lshlrev_b64 v[38:39], v37, v[2:3]
	v_sub_nc_u32_e32 v37, 29, v35
	v_and_b32_e32 v35, 7, v38
; %bb.337:                              ;   in Loop: Header=BB274_258 Depth=1
	s_or_b32 exec_lo, exec_lo, s20
	v_lshlrev_b32_sdwa v2, v26, v2 dst_sel:DWORD dst_unused:UNUSED_PAD src0_sel:DWORD src1_sel:WORD_0
	v_lshl_add_u32 v37, v37, 10, 0x2000
	v_lshlrev_b32_e32 v35, 23, v35
	v_and_or_b32 v2, 0x8000, v2, v37
	v_lshl_or_b32 v35, v2, 16, v35
.LBB274_338:                            ;   in Loop: Header=BB274_258 Depth=1
	s_or_b32 exec_lo, exec_lo, s19
.LBB274_339:                            ;   in Loop: Header=BB274_258 Depth=1
	s_or_b32 exec_lo, exec_lo, s18
.LBB274_340:                            ;   in Loop: Header=BB274_258 Depth=1
	s_or_b32 exec_lo, exec_lo, s17
	v_lshrrev_b32_e32 v2, 16, v10
	v_mov_b32_e32 v37, 0
	v_mov_b32_e32 v38, 0
	v_cmp_ne_u16_sdwa s1, v2, v3 src0_sel:BYTE_0 src1_sel:DWORD
	s_and_saveexec_b32 s17, s1
	s_cbranch_execz .LBB274_348
; %bb.341:                              ;   in Loop: Header=BB274_258 Depth=1
	v_cmp_ne_u16_sdwa s1, v2, v23 src0_sel:BYTE_0 src1_sel:DWORD
	v_mov_b32_e32 v38, 0x8000
	s_and_saveexec_b32 s18, s1
	s_cbranch_execz .LBB274_347
; %bb.342:                              ;   in Loop: Header=BB274_258 Depth=1
	v_bfe_u32 v40, v10, 16, 7
	v_mov_b32_e32 v38, 0x7c01
	s_mov_b32 s19, exec_lo
	v_cmpx_ne_u32_e32 0x7f, v40
	s_cbranch_execz .LBB274_346
; %bb.343:                              ;   in Loop: Header=BB274_258 Depth=1
	v_and_b32_e32 v38, 7, v2
	v_lshrrev_b32_e32 v39, 3, v40
	s_mov_b32 s20, exec_lo
	v_cmpx_gt_u32_e32 8, v40
; %bb.344:                              ;   in Loop: Header=BB274_258 Depth=1
	v_ffbh_u32_e32 v38, v38
	v_min_u32_e32 v40, 32, v38
	v_subrev_nc_u32_e32 v38, 28, v40
	v_lshlrev_b64 v[38:39], v38, v[2:3]
	v_sub_nc_u32_e32 v39, 29, v40
	v_and_b32_e32 v38, 7, v38
; %bb.345:                              ;   in Loop: Header=BB274_258 Depth=1
	s_or_b32 exec_lo, exec_lo, s20
	v_lshlrev_b32_e32 v2, 8, v2
	v_lshl_add_u32 v39, v39, 10, 0x2000
	v_lshlrev_b32_e32 v38, 7, v38
	v_and_b32_e32 v2, 0x8000, v2
	v_and_b32_e32 v39, 0xfc00, v39
	v_or3_b32 v38, v2, v39, v38
.LBB274_346:                            ;   in Loop: Header=BB274_258 Depth=1
	s_or_b32 exec_lo, exec_lo, s19
.LBB274_347:                            ;   in Loop: Header=BB274_258 Depth=1
	s_or_b32 exec_lo, exec_lo, s18
.LBB274_348:                            ;   in Loop: Header=BB274_258 Depth=1
	s_or_b32 exec_lo, exec_lo, s17
	s_mov_b32 s17, exec_lo
	v_cmpx_lt_u32_e32 0xffffff, v10
	s_cbranch_execz .LBB274_356
; %bb.349:                              ;   in Loop: Header=BB274_258 Depth=1
	v_lshrrev_b32_e32 v2, 24, v10
	v_bfrev_b32_e32 v37, 1
	s_mov_b32 s18, exec_lo
	v_cmpx_ne_u32_e32 0x80, v2
	s_cbranch_execz .LBB274_355
; %bb.350:                              ;   in Loop: Header=BB274_258 Depth=1
	v_and_b32_e32 v40, 0x7f, v2
	v_mov_b32_e32 v37, 0x7c010000
	s_mov_b32 s19, exec_lo
	v_cmpx_ne_u32_e32 0x7f, v40
	s_cbranch_execz .LBB274_354
; %bb.351:                              ;   in Loop: Header=BB274_258 Depth=1
	v_and_b32_e32 v37, 7, v2
	v_lshrrev_b32_e32 v39, 3, v40
	s_mov_b32 s20, exec_lo
	v_cmpx_gt_u32_e32 8, v40
; %bb.352:                              ;   in Loop: Header=BB274_258 Depth=1
	v_ffbh_u32_e32 v37, v37
	v_min_u32_e32 v37, 32, v37
	v_subrev_nc_u32_e32 v39, 28, v37
	v_lshlrev_b64 v[40:41], v39, v[2:3]
	v_sub_nc_u32_e32 v39, 29, v37
	v_and_b32_e32 v37, 7, v40
; %bb.353:                              ;   in Loop: Header=BB274_258 Depth=1
	s_or_b32 exec_lo, exec_lo, s20
	v_lshlrev_b32_e32 v2, 8, v2
	v_lshl_add_u32 v39, v39, 10, 0x2000
	v_lshlrev_b32_e32 v37, 23, v37
	v_and_or_b32 v2, 0x8000, v2, v39
	v_lshl_or_b32 v37, v2, 16, v37
.LBB274_354:                            ;   in Loop: Header=BB274_258 Depth=1
	s_or_b32 exec_lo, exec_lo, s19
.LBB274_355:                            ;   in Loop: Header=BB274_258 Depth=1
	s_or_b32 exec_lo, exec_lo, s18
.LBB274_356:                            ;   in Loop: Header=BB274_258 Depth=1
	s_or_b32 exec_lo, exec_lo, s17
	v_mov_b32_e32 v2, v11
	v_cmp_ne_u16_sdwa s1, v11, v3 src0_sel:BYTE_0 src1_sel:DWORD
	v_mov_b32_e32 v39, 0
	v_mov_b32_e32 v40, 0
	s_and_saveexec_b32 s17, s1
	s_cbranch_execz .LBB274_364
; %bb.357:                              ;   in Loop: Header=BB274_258 Depth=1
	v_cmp_ne_u16_sdwa s1, v11, v23 src0_sel:BYTE_0 src1_sel:DWORD
	v_mov_b32_e32 v40, 0x8000
	s_and_saveexec_b32 s18, s1
	s_cbranch_execz .LBB274_363
; %bb.358:                              ;   in Loop: Header=BB274_258 Depth=1
	v_and_b32_e32 v42, 0x7f, v11
	v_mov_b32_e32 v40, 0x7c01
	s_mov_b32 s19, exec_lo
	v_cmpx_ne_u32_e32 0x7f, v42
	s_cbranch_execz .LBB274_362
; %bb.359:                              ;   in Loop: Header=BB274_258 Depth=1
	v_and_b32_e32 v40, 7, v11
	v_lshrrev_b32_e32 v41, 3, v42
	s_mov_b32 s20, exec_lo
	v_cmpx_gt_u32_e32 8, v42
; %bb.360:                              ;   in Loop: Header=BB274_258 Depth=1
	v_ffbh_u32_e32 v40, v40
	v_min_u32_e32 v42, 32, v40
	v_subrev_nc_u32_e32 v40, 28, v42
	v_lshlrev_b64 v[40:41], v40, v[2:3]
	v_sub_nc_u32_e32 v41, 29, v42
	v_and_b32_e32 v40, 7, v40
; %bb.361:                              ;   in Loop: Header=BB274_258 Depth=1
	s_or_b32 exec_lo, exec_lo, s20
	v_lshlrev_b32_e32 v42, 8, v11
	v_lshl_add_u32 v41, v41, 10, 0x2000
	v_lshlrev_b32_e32 v40, 7, v40
	v_and_b32_e32 v42, 0x8000, v42
	v_and_b32_e32 v41, 0xfc00, v41
	v_or3_b32 v40, v42, v41, v40
.LBB274_362:                            ;   in Loop: Header=BB274_258 Depth=1
	s_or_b32 exec_lo, exec_lo, s19
.LBB274_363:                            ;   in Loop: Header=BB274_258 Depth=1
	s_or_b32 exec_lo, exec_lo, s18
.LBB274_364:                            ;   in Loop: Header=BB274_258 Depth=1
	s_or_b32 exec_lo, exec_lo, s17
	v_lshrrev_b16 v2, 8, v2
	v_mov_b32_e32 v41, 0
	s_mov_b32 s17, exec_lo
	v_cmpx_ne_u16_e32 0, v2
	s_cbranch_execz .LBB274_372
; %bb.365:                              ;   in Loop: Header=BB274_258 Depth=1
	v_bfrev_b32_e32 v41, 1
	s_mov_b32 s18, exec_lo
	v_cmpx_ne_u16_e32 0x80, v2
	s_cbranch_execz .LBB274_371
; %bb.366:                              ;   in Loop: Header=BB274_258 Depth=1
	v_and_b32_sdwa v43, v2, v24 dst_sel:DWORD dst_unused:UNUSED_PAD src0_sel:WORD_0 src1_sel:DWORD
	v_mov_b32_e32 v41, 0x7c010000
	s_mov_b32 s19, exec_lo
	v_cmpx_ne_u32_e32 0x7f, v43
	s_cbranch_execz .LBB274_370
; %bb.367:                              ;   in Loop: Header=BB274_258 Depth=1
	v_and_b32_sdwa v41, v2, v25 dst_sel:DWORD dst_unused:UNUSED_PAD src0_sel:WORD_0 src1_sel:DWORD
	v_lshrrev_b32_e32 v42, 3, v43
	s_mov_b32 s20, exec_lo
	v_cmpx_gt_u32_e32 8, v43
; %bb.368:                              ;   in Loop: Header=BB274_258 Depth=1
	v_ffbh_u32_e32 v41, v41
	v_min_u32_e32 v43, 32, v41
	v_subrev_nc_u32_e32 v41, 28, v43
	v_lshlrev_b64 v[41:42], v41, v[2:3]
	v_sub_nc_u32_e32 v42, 29, v43
	v_and_b32_e32 v41, 7, v41
; %bb.369:                              ;   in Loop: Header=BB274_258 Depth=1
	s_or_b32 exec_lo, exec_lo, s20
	v_lshlrev_b32_sdwa v2, v26, v2 dst_sel:DWORD dst_unused:UNUSED_PAD src0_sel:DWORD src1_sel:WORD_0
	v_lshl_add_u32 v42, v42, 10, 0x2000
	v_lshlrev_b32_e32 v41, 23, v41
	v_and_or_b32 v2, 0x8000, v2, v42
	v_lshl_or_b32 v41, v2, 16, v41
.LBB274_370:                            ;   in Loop: Header=BB274_258 Depth=1
	s_or_b32 exec_lo, exec_lo, s19
.LBB274_371:                            ;   in Loop: Header=BB274_258 Depth=1
	s_or_b32 exec_lo, exec_lo, s18
.LBB274_372:                            ;   in Loop: Header=BB274_258 Depth=1
	s_or_b32 exec_lo, exec_lo, s17
	v_lshrrev_b32_e32 v2, 16, v11
	v_cmp_ne_u16_sdwa s1, v2, v3 src0_sel:BYTE_0 src1_sel:DWORD
	s_and_saveexec_b32 s17, s1
	s_cbranch_execz .LBB274_380
; %bb.373:                              ;   in Loop: Header=BB274_258 Depth=1
	v_cmp_ne_u16_sdwa s1, v2, v23 src0_sel:BYTE_0 src1_sel:DWORD
	v_mov_b32_e32 v39, 0x8000
	s_and_saveexec_b32 s18, s1
	s_cbranch_execz .LBB274_379
; %bb.374:                              ;   in Loop: Header=BB274_258 Depth=1
	v_bfe_u32 v43, v11, 16, 7
	v_mov_b32_e32 v39, 0x7c01
	s_mov_b32 s19, exec_lo
	v_cmpx_ne_u32_e32 0x7f, v43
	s_cbranch_execz .LBB274_378
; %bb.375:                              ;   in Loop: Header=BB274_258 Depth=1
	v_and_b32_e32 v39, 7, v2
	v_lshrrev_b32_e32 v42, 3, v43
	s_mov_b32 s20, exec_lo
	v_cmpx_gt_u32_e32 8, v43
; %bb.376:                              ;   in Loop: Header=BB274_258 Depth=1
	v_ffbh_u32_e32 v39, v39
	v_min_u32_e32 v39, 32, v39
	v_subrev_nc_u32_e32 v42, 28, v39
	v_lshlrev_b64 v[43:44], v42, v[2:3]
	v_sub_nc_u32_e32 v42, 29, v39
	v_and_b32_e32 v39, 7, v43
; %bb.377:                              ;   in Loop: Header=BB274_258 Depth=1
	s_or_b32 exec_lo, exec_lo, s20
	v_lshlrev_b32_e32 v2, 8, v2
	v_lshl_add_u32 v42, v42, 10, 0x2000
	v_lshlrev_b32_e32 v39, 7, v39
	v_and_b32_e32 v2, 0x8000, v2
	v_and_b32_e32 v42, 0xfc00, v42
	v_or3_b32 v39, v2, v42, v39
.LBB274_378:                            ;   in Loop: Header=BB274_258 Depth=1
	s_or_b32 exec_lo, exec_lo, s19
.LBB274_379:                            ;   in Loop: Header=BB274_258 Depth=1
	s_or_b32 exec_lo, exec_lo, s18
.LBB274_380:                            ;   in Loop: Header=BB274_258 Depth=1
	s_or_b32 exec_lo, exec_lo, s17
	v_cmp_lt_u64_e64 s1, s[6:7], v[10:11]
	v_mov_b32_e32 v10, 0
	s_and_saveexec_b32 s17, s1
	s_cbranch_execz .LBB274_388
; %bb.381:                              ;   in Loop: Header=BB274_258 Depth=1
	v_lshrrev_b32_e32 v2, 24, v11
	v_bfrev_b32_e32 v10, 1
	s_mov_b32 s18, exec_lo
	v_cmpx_ne_u32_e32 0x80, v2
	s_cbranch_execz .LBB274_387
; %bb.382:                              ;   in Loop: Header=BB274_258 Depth=1
	v_and_b32_e32 v42, 0x7f, v2
	v_mov_b32_e32 v10, 0x7c010000
	s_mov_b32 s19, exec_lo
	v_cmpx_ne_u32_e32 0x7f, v42
	s_cbranch_execz .LBB274_386
; %bb.383:                              ;   in Loop: Header=BB274_258 Depth=1
	v_and_b32_e32 v10, 7, v2
	v_lshrrev_b32_e32 v11, 3, v42
	s_mov_b32 s20, exec_lo
	v_cmpx_gt_u32_e32 8, v42
; %bb.384:                              ;   in Loop: Header=BB274_258 Depth=1
	v_ffbh_u32_e32 v10, v10
	v_min_u32_e32 v42, 32, v10
	v_subrev_nc_u32_e32 v10, 28, v42
	v_lshlrev_b64 v[10:11], v10, v[2:3]
	v_sub_nc_u32_e32 v11, 29, v42
	v_and_b32_e32 v10, 7, v10
; %bb.385:                              ;   in Loop: Header=BB274_258 Depth=1
	s_or_b32 exec_lo, exec_lo, s20
	v_lshlrev_b32_e32 v2, 8, v2
	v_lshl_add_u32 v11, v11, 10, 0x2000
	v_lshlrev_b32_e32 v10, 23, v10
	v_and_or_b32 v2, 0x8000, v2, v11
	v_lshl_or_b32 v10, v2, 16, v10
.LBB274_386:                            ;   in Loop: Header=BB274_258 Depth=1
	s_or_b32 exec_lo, exec_lo, s19
.LBB274_387:                            ;   in Loop: Header=BB274_258 Depth=1
	s_or_b32 exec_lo, exec_lo, s18
.LBB274_388:                            ;   in Loop: Header=BB274_258 Depth=1
	s_or_b32 exec_lo, exec_lo, s17
	v_or_b32_e32 v2, v37, v38
	s_waitcnt vmcnt(0)
	v_fma_mixlo_f16 v11, v34, v37, 0 op_sel:[0,1,0] op_sel_hi:[0,1,0]
	v_or_b32_e32 v36, v35, v36
	v_fma_mixlo_f16 v35, v34, v35, 0 op_sel:[0,1,0] op_sel_hi:[0,1,0]
	v_or_b32_e32 v38, v41, v40
	v_or_b32_e32 v39, v10, v39
	v_fma_mixlo_f16 v40, v34, v2, 0 op_sel_hi:[0,1,0]
	v_lshlrev_b32_e32 v2, 16, v11
	v_lshlrev_b32_e32 v37, 16, v35
	v_fma_mixlo_f16 v11, v34, v36, 0 op_sel_hi:[0,1,0]
	v_fma_mixlo_f16 v35, v34, v41, 0 op_sel:[0,1,0] op_sel_hi:[0,1,0]
	v_fma_mixlo_f16 v38, v34, v38, 0 op_sel_hi:[0,1,0]
	v_fma_mixlo_f16 v10, v34, v10, 0 op_sel:[0,1,0] op_sel_hi:[0,1,0]
	v_fma_mixlo_f16 v34, v34, v39, 0 op_sel_hi:[0,1,0]
	v_and_b32_e32 v36, 0xffff, v40
	v_and_b32_e32 v41, 0xffff, v11
	v_lshlrev_b32_e32 v11, 16, v35
	v_and_b32_e32 v35, 0xffff, v38
	v_lshlrev_b32_e32 v10, 16, v10
	v_and_b32_e32 v34, 0xffff, v34
	v_or_b32_e32 v38, v2, v36
	v_or_b32_e32 v42, v37, v41
	;; [unrolled: 1-line block ×4, first 2 shown]
	s_and_saveexec_b32 s17, s0
	s_cbranch_execz .LBB274_390
; %bb.389:                              ;   in Loop: Header=BB274_258 Depth=1
	v_add_nc_u32_e32 v38, -6, v21
	v_cmp_gt_i32_e64 s1, s27, v27
	v_add_nc_u32_e32 v39, -5, v21
	v_cndmask_b32_e64 v40, 0, v41, s1
	v_cmp_gt_i32_e64 s1, s27, v38
	v_add_nc_u32_e32 v38, -4, v21
	v_add_nc_u32_e32 v41, -2, v21
	v_cndmask_b32_e64 v37, 0, v37, s1
	v_cmp_gt_i32_e64 s1, s27, v39
	v_add_nc_u32_e32 v39, -3, v21
	v_or_b32_e32 v42, v37, v40
	v_cndmask_b32_e64 v36, 0, v36, s1
	v_cmp_gt_i32_e64 s1, s27, v38
	v_add_nc_u32_e32 v38, -1, v21
	v_cndmask_b32_e64 v2, 0, v2, s1
	v_cmp_gt_i32_e64 s1, s27, v39
	v_cndmask_b32_e64 v35, 0, v35, s1
	v_cmp_gt_i32_e64 s1, s27, v41
	;; [unrolled: 2-line block ×3, first 2 shown]
	v_or_b32_e32 v38, v2, v36
	v_or_b32_e32 v40, v11, v35
	v_cndmask_b32_e64 v34, 0, v34, s1
	v_cmp_gt_i32_e64 s1, s27, v21
	v_cndmask_b32_e64 v10, 0, v10, s1
	v_or_b32_e32 v39, v10, v34
.LBB274_390:                            ;   in Loop: Header=BB274_258 Depth=1
	s_or_b32 exec_lo, exec_lo, s17
	;;#ASMSTART
	v_pk_mul_f16 v2, v33, v42;

	;;#ASMEND
	;;#ASMSTART
	v_pk_mul_f16 v10, v32, v38;

	;;#ASMEND
	;; [unrolled: 4-line block ×4, first 2 shown]
	;;#ASMSTART
	v_pk_add_f16 v2, v2, v10;

	;;#ASMEND
	;;#ASMSTART
	v_pk_add_f16 v2, v2, v11;

	;;#ASMEND
	;;#ASMSTART
	v_pk_add_f16 v2, v2, v34;

	;;#ASMEND
	v_and_b32_e32 v10, 0xffff, v2
	v_lshrrev_b32_e32 v2, 16, v2
	;;#ASMSTART
	v_cvt_f32_f16 v10, v10;
	;;#ASMEND
	;;#ASMSTART
	v_cvt_f32_f16 v11, v2;
	;;#ASMEND
	global_load_dwordx2 v[8:9], v[8:9], off offset:512
	v_mov_b32_e32 v35, 0
	v_mov_b32_e32 v36, 0
	global_load_dword v34, v35, s[14:15]
	s_waitcnt vmcnt(1)
	v_cmp_ne_u16_sdwa s1, v8, v3 src0_sel:BYTE_0 src1_sel:DWORD
	s_and_saveexec_b32 s17, s1
	s_cbranch_execz .LBB274_398
; %bb.391:                              ;   in Loop: Header=BB274_258 Depth=1
	v_cmp_ne_u16_sdwa s1, v8, v23 src0_sel:BYTE_0 src1_sel:DWORD
	v_mov_b32_e32 v36, 0x8000
	s_and_saveexec_b32 s18, s1
	s_cbranch_execz .LBB274_397
; %bb.392:                              ;   in Loop: Header=BB274_258 Depth=1
	v_and_b32_e32 v37, 0x7f, v8
	v_mov_b32_e32 v36, 0x7c01
	s_mov_b32 s19, exec_lo
	v_cmpx_ne_u32_e32 0x7f, v37
	s_cbranch_execz .LBB274_396
; %bb.393:                              ;   in Loop: Header=BB274_258 Depth=1
	v_and_b32_e32 v2, 7, v8
	v_lshrrev_b32_e32 v36, 3, v37
	s_mov_b32 s20, exec_lo
	v_cmpx_gt_u32_e32 8, v37
; %bb.394:                              ;   in Loop: Header=BB274_258 Depth=1
	v_ffbh_u32_e32 v2, v2
	v_min_u32_e32 v2, 32, v2
	v_subrev_nc_u32_e32 v36, 28, v2
	v_lshlrev_b64 v[37:38], v36, v[8:9]
	v_sub_nc_u32_e32 v36, 29, v2
	v_and_b32_e32 v2, 7, v37
; %bb.395:                              ;   in Loop: Header=BB274_258 Depth=1
	s_or_b32 exec_lo, exec_lo, s20
	v_lshlrev_b32_e32 v37, 8, v8
	v_lshl_add_u32 v36, v36, 10, 0x2000
	v_lshlrev_b32_e32 v2, 7, v2
	v_and_b32_e32 v37, 0x8000, v37
	v_and_b32_e32 v36, 0xfc00, v36
	v_or3_b32 v36, v37, v36, v2
.LBB274_396:                            ;   in Loop: Header=BB274_258 Depth=1
	s_or_b32 exec_lo, exec_lo, s19
.LBB274_397:                            ;   in Loop: Header=BB274_258 Depth=1
	s_or_b32 exec_lo, exec_lo, s18
.LBB274_398:                            ;   in Loop: Header=BB274_258 Depth=1
	s_or_b32 exec_lo, exec_lo, s17
	v_lshrrev_b16 v2, 8, v8
	s_mov_b32 s17, exec_lo
	v_cmpx_ne_u16_e32 0, v2
	s_cbranch_execz .LBB274_406
; %bb.399:                              ;   in Loop: Header=BB274_258 Depth=1
	v_bfrev_b32_e32 v35, 1
	s_mov_b32 s18, exec_lo
	v_cmpx_ne_u16_e32 0x80, v2
	s_cbranch_execz .LBB274_405
; %bb.400:                              ;   in Loop: Header=BB274_258 Depth=1
	v_and_b32_sdwa v38, v2, v24 dst_sel:DWORD dst_unused:UNUSED_PAD src0_sel:WORD_0 src1_sel:DWORD
	v_mov_b32_e32 v35, 0x7c010000
	s_mov_b32 s19, exec_lo
	v_cmpx_ne_u32_e32 0x7f, v38
	s_cbranch_execz .LBB274_404
; %bb.401:                              ;   in Loop: Header=BB274_258 Depth=1
	v_and_b32_sdwa v35, v2, v25 dst_sel:DWORD dst_unused:UNUSED_PAD src0_sel:WORD_0 src1_sel:DWORD
	v_lshrrev_b32_e32 v37, 3, v38
	s_mov_b32 s20, exec_lo
	v_cmpx_gt_u32_e32 8, v38
; %bb.402:                              ;   in Loop: Header=BB274_258 Depth=1
	v_ffbh_u32_e32 v35, v35
	v_min_u32_e32 v35, 32, v35
	v_subrev_nc_u32_e32 v37, 28, v35
	v_lshlrev_b64 v[38:39], v37, v[2:3]
	v_sub_nc_u32_e32 v37, 29, v35
	v_and_b32_e32 v35, 7, v38
; %bb.403:                              ;   in Loop: Header=BB274_258 Depth=1
	s_or_b32 exec_lo, exec_lo, s20
	v_lshlrev_b32_sdwa v2, v26, v2 dst_sel:DWORD dst_unused:UNUSED_PAD src0_sel:DWORD src1_sel:WORD_0
	v_lshl_add_u32 v37, v37, 10, 0x2000
	v_lshlrev_b32_e32 v35, 23, v35
	v_and_or_b32 v2, 0x8000, v2, v37
	v_lshl_or_b32 v35, v2, 16, v35
.LBB274_404:                            ;   in Loop: Header=BB274_258 Depth=1
	s_or_b32 exec_lo, exec_lo, s19
.LBB274_405:                            ;   in Loop: Header=BB274_258 Depth=1
	s_or_b32 exec_lo, exec_lo, s18
.LBB274_406:                            ;   in Loop: Header=BB274_258 Depth=1
	s_or_b32 exec_lo, exec_lo, s17
	v_lshrrev_b32_e32 v2, 16, v8
	v_mov_b32_e32 v37, 0
	v_mov_b32_e32 v38, 0
	v_cmp_ne_u16_sdwa s1, v2, v3 src0_sel:BYTE_0 src1_sel:DWORD
	s_and_saveexec_b32 s17, s1
	s_cbranch_execz .LBB274_414
; %bb.407:                              ;   in Loop: Header=BB274_258 Depth=1
	v_cmp_ne_u16_sdwa s1, v2, v23 src0_sel:BYTE_0 src1_sel:DWORD
	v_mov_b32_e32 v38, 0x8000
	s_and_saveexec_b32 s18, s1
	s_cbranch_execz .LBB274_413
; %bb.408:                              ;   in Loop: Header=BB274_258 Depth=1
	v_bfe_u32 v40, v8, 16, 7
	v_mov_b32_e32 v38, 0x7c01
	s_mov_b32 s19, exec_lo
	v_cmpx_ne_u32_e32 0x7f, v40
	s_cbranch_execz .LBB274_412
; %bb.409:                              ;   in Loop: Header=BB274_258 Depth=1
	v_and_b32_e32 v38, 7, v2
	v_lshrrev_b32_e32 v39, 3, v40
	s_mov_b32 s20, exec_lo
	v_cmpx_gt_u32_e32 8, v40
; %bb.410:                              ;   in Loop: Header=BB274_258 Depth=1
	v_ffbh_u32_e32 v38, v38
	v_min_u32_e32 v40, 32, v38
	v_subrev_nc_u32_e32 v38, 28, v40
	v_lshlrev_b64 v[38:39], v38, v[2:3]
	v_sub_nc_u32_e32 v39, 29, v40
	v_and_b32_e32 v38, 7, v38
; %bb.411:                              ;   in Loop: Header=BB274_258 Depth=1
	s_or_b32 exec_lo, exec_lo, s20
	v_lshlrev_b32_e32 v2, 8, v2
	v_lshl_add_u32 v39, v39, 10, 0x2000
	v_lshlrev_b32_e32 v38, 7, v38
	v_and_b32_e32 v2, 0x8000, v2
	v_and_b32_e32 v39, 0xfc00, v39
	v_or3_b32 v38, v2, v39, v38
.LBB274_412:                            ;   in Loop: Header=BB274_258 Depth=1
	s_or_b32 exec_lo, exec_lo, s19
.LBB274_413:                            ;   in Loop: Header=BB274_258 Depth=1
	s_or_b32 exec_lo, exec_lo, s18
.LBB274_414:                            ;   in Loop: Header=BB274_258 Depth=1
	s_or_b32 exec_lo, exec_lo, s17
	s_mov_b32 s17, exec_lo
	v_cmpx_lt_u32_e32 0xffffff, v8
	s_cbranch_execz .LBB274_422
; %bb.415:                              ;   in Loop: Header=BB274_258 Depth=1
	v_lshrrev_b32_e32 v2, 24, v8
	v_bfrev_b32_e32 v37, 1
	s_mov_b32 s18, exec_lo
	v_cmpx_ne_u32_e32 0x80, v2
	s_cbranch_execz .LBB274_421
; %bb.416:                              ;   in Loop: Header=BB274_258 Depth=1
	v_and_b32_e32 v40, 0x7f, v2
	v_mov_b32_e32 v37, 0x7c010000
	s_mov_b32 s19, exec_lo
	v_cmpx_ne_u32_e32 0x7f, v40
	s_cbranch_execz .LBB274_420
; %bb.417:                              ;   in Loop: Header=BB274_258 Depth=1
	v_and_b32_e32 v37, 7, v2
	v_lshrrev_b32_e32 v39, 3, v40
	s_mov_b32 s20, exec_lo
	v_cmpx_gt_u32_e32 8, v40
; %bb.418:                              ;   in Loop: Header=BB274_258 Depth=1
	v_ffbh_u32_e32 v37, v37
	v_min_u32_e32 v37, 32, v37
	v_subrev_nc_u32_e32 v39, 28, v37
	v_lshlrev_b64 v[40:41], v39, v[2:3]
	v_sub_nc_u32_e32 v39, 29, v37
	v_and_b32_e32 v37, 7, v40
; %bb.419:                              ;   in Loop: Header=BB274_258 Depth=1
	s_or_b32 exec_lo, exec_lo, s20
	v_lshlrev_b32_e32 v2, 8, v2
	v_lshl_add_u32 v39, v39, 10, 0x2000
	v_lshlrev_b32_e32 v37, 23, v37
	v_and_or_b32 v2, 0x8000, v2, v39
	v_lshl_or_b32 v37, v2, 16, v37
.LBB274_420:                            ;   in Loop: Header=BB274_258 Depth=1
	s_or_b32 exec_lo, exec_lo, s19
.LBB274_421:                            ;   in Loop: Header=BB274_258 Depth=1
	s_or_b32 exec_lo, exec_lo, s18
.LBB274_422:                            ;   in Loop: Header=BB274_258 Depth=1
	s_or_b32 exec_lo, exec_lo, s17
	v_mov_b32_e32 v2, v9
	v_cmp_ne_u16_sdwa s1, v9, v3 src0_sel:BYTE_0 src1_sel:DWORD
	v_mov_b32_e32 v39, 0
	v_mov_b32_e32 v40, 0
	s_and_saveexec_b32 s17, s1
	s_cbranch_execz .LBB274_430
; %bb.423:                              ;   in Loop: Header=BB274_258 Depth=1
	v_cmp_ne_u16_sdwa s1, v9, v23 src0_sel:BYTE_0 src1_sel:DWORD
	v_mov_b32_e32 v40, 0x8000
	s_and_saveexec_b32 s18, s1
	s_cbranch_execz .LBB274_429
; %bb.424:                              ;   in Loop: Header=BB274_258 Depth=1
	v_and_b32_e32 v42, 0x7f, v9
	v_mov_b32_e32 v40, 0x7c01
	s_mov_b32 s19, exec_lo
	v_cmpx_ne_u32_e32 0x7f, v42
	s_cbranch_execz .LBB274_428
; %bb.425:                              ;   in Loop: Header=BB274_258 Depth=1
	v_and_b32_e32 v40, 7, v9
	v_lshrrev_b32_e32 v41, 3, v42
	s_mov_b32 s20, exec_lo
	v_cmpx_gt_u32_e32 8, v42
; %bb.426:                              ;   in Loop: Header=BB274_258 Depth=1
	v_ffbh_u32_e32 v40, v40
	v_min_u32_e32 v42, 32, v40
	v_subrev_nc_u32_e32 v40, 28, v42
	v_lshlrev_b64 v[40:41], v40, v[2:3]
	v_sub_nc_u32_e32 v41, 29, v42
	v_and_b32_e32 v40, 7, v40
; %bb.427:                              ;   in Loop: Header=BB274_258 Depth=1
	s_or_b32 exec_lo, exec_lo, s20
	v_lshlrev_b32_e32 v42, 8, v9
	v_lshl_add_u32 v41, v41, 10, 0x2000
	v_lshlrev_b32_e32 v40, 7, v40
	v_and_b32_e32 v42, 0x8000, v42
	v_and_b32_e32 v41, 0xfc00, v41
	v_or3_b32 v40, v42, v41, v40
.LBB274_428:                            ;   in Loop: Header=BB274_258 Depth=1
	s_or_b32 exec_lo, exec_lo, s19
.LBB274_429:                            ;   in Loop: Header=BB274_258 Depth=1
	s_or_b32 exec_lo, exec_lo, s18
.LBB274_430:                            ;   in Loop: Header=BB274_258 Depth=1
	s_or_b32 exec_lo, exec_lo, s17
	v_lshrrev_b16 v2, 8, v2
	v_mov_b32_e32 v41, 0
	s_mov_b32 s17, exec_lo
	v_cmpx_ne_u16_e32 0, v2
	s_cbranch_execz .LBB274_438
; %bb.431:                              ;   in Loop: Header=BB274_258 Depth=1
	v_bfrev_b32_e32 v41, 1
	s_mov_b32 s18, exec_lo
	v_cmpx_ne_u16_e32 0x80, v2
	s_cbranch_execz .LBB274_437
; %bb.432:                              ;   in Loop: Header=BB274_258 Depth=1
	v_and_b32_sdwa v43, v2, v24 dst_sel:DWORD dst_unused:UNUSED_PAD src0_sel:WORD_0 src1_sel:DWORD
	v_mov_b32_e32 v41, 0x7c010000
	s_mov_b32 s19, exec_lo
	v_cmpx_ne_u32_e32 0x7f, v43
	s_cbranch_execz .LBB274_436
; %bb.433:                              ;   in Loop: Header=BB274_258 Depth=1
	v_and_b32_sdwa v41, v2, v25 dst_sel:DWORD dst_unused:UNUSED_PAD src0_sel:WORD_0 src1_sel:DWORD
	v_lshrrev_b32_e32 v42, 3, v43
	s_mov_b32 s20, exec_lo
	v_cmpx_gt_u32_e32 8, v43
; %bb.434:                              ;   in Loop: Header=BB274_258 Depth=1
	v_ffbh_u32_e32 v41, v41
	v_min_u32_e32 v43, 32, v41
	v_subrev_nc_u32_e32 v41, 28, v43
	v_lshlrev_b64 v[41:42], v41, v[2:3]
	v_sub_nc_u32_e32 v42, 29, v43
	v_and_b32_e32 v41, 7, v41
; %bb.435:                              ;   in Loop: Header=BB274_258 Depth=1
	s_or_b32 exec_lo, exec_lo, s20
	v_lshlrev_b32_sdwa v2, v26, v2 dst_sel:DWORD dst_unused:UNUSED_PAD src0_sel:DWORD src1_sel:WORD_0
	v_lshl_add_u32 v42, v42, 10, 0x2000
	v_lshlrev_b32_e32 v41, 23, v41
	v_and_or_b32 v2, 0x8000, v2, v42
	v_lshl_or_b32 v41, v2, 16, v41
.LBB274_436:                            ;   in Loop: Header=BB274_258 Depth=1
	s_or_b32 exec_lo, exec_lo, s19
.LBB274_437:                            ;   in Loop: Header=BB274_258 Depth=1
	s_or_b32 exec_lo, exec_lo, s18
.LBB274_438:                            ;   in Loop: Header=BB274_258 Depth=1
	s_or_b32 exec_lo, exec_lo, s17
	v_lshrrev_b32_e32 v2, 16, v9
	v_cmp_ne_u16_sdwa s1, v2, v3 src0_sel:BYTE_0 src1_sel:DWORD
	s_and_saveexec_b32 s17, s1
	s_cbranch_execz .LBB274_446
; %bb.439:                              ;   in Loop: Header=BB274_258 Depth=1
	v_cmp_ne_u16_sdwa s1, v2, v23 src0_sel:BYTE_0 src1_sel:DWORD
	v_mov_b32_e32 v39, 0x8000
	s_and_saveexec_b32 s18, s1
	s_cbranch_execz .LBB274_445
; %bb.440:                              ;   in Loop: Header=BB274_258 Depth=1
	v_bfe_u32 v43, v9, 16, 7
	v_mov_b32_e32 v39, 0x7c01
	s_mov_b32 s19, exec_lo
	v_cmpx_ne_u32_e32 0x7f, v43
	s_cbranch_execz .LBB274_444
; %bb.441:                              ;   in Loop: Header=BB274_258 Depth=1
	v_and_b32_e32 v39, 7, v2
	v_lshrrev_b32_e32 v42, 3, v43
	s_mov_b32 s20, exec_lo
	v_cmpx_gt_u32_e32 8, v43
; %bb.442:                              ;   in Loop: Header=BB274_258 Depth=1
	v_ffbh_u32_e32 v39, v39
	v_min_u32_e32 v39, 32, v39
	v_subrev_nc_u32_e32 v42, 28, v39
	v_lshlrev_b64 v[43:44], v42, v[2:3]
	v_sub_nc_u32_e32 v42, 29, v39
	v_and_b32_e32 v39, 7, v43
; %bb.443:                              ;   in Loop: Header=BB274_258 Depth=1
	s_or_b32 exec_lo, exec_lo, s20
	v_lshlrev_b32_e32 v2, 8, v2
	v_lshl_add_u32 v42, v42, 10, 0x2000
	v_lshlrev_b32_e32 v39, 7, v39
	v_and_b32_e32 v2, 0x8000, v2
	v_and_b32_e32 v42, 0xfc00, v42
	v_or3_b32 v39, v2, v42, v39
.LBB274_444:                            ;   in Loop: Header=BB274_258 Depth=1
	s_or_b32 exec_lo, exec_lo, s19
.LBB274_445:                            ;   in Loop: Header=BB274_258 Depth=1
	s_or_b32 exec_lo, exec_lo, s18
.LBB274_446:                            ;   in Loop: Header=BB274_258 Depth=1
	s_or_b32 exec_lo, exec_lo, s17
	v_cmp_lt_u64_e64 s1, s[6:7], v[8:9]
	v_mov_b32_e32 v8, 0
	s_and_saveexec_b32 s17, s1
	s_cbranch_execz .LBB274_454
; %bb.447:                              ;   in Loop: Header=BB274_258 Depth=1
	v_lshrrev_b32_e32 v2, 24, v9
	v_bfrev_b32_e32 v8, 1
	s_mov_b32 s18, exec_lo
	v_cmpx_ne_u32_e32 0x80, v2
	s_cbranch_execz .LBB274_453
; %bb.448:                              ;   in Loop: Header=BB274_258 Depth=1
	v_and_b32_e32 v42, 0x7f, v2
	v_mov_b32_e32 v8, 0x7c010000
	s_mov_b32 s19, exec_lo
	v_cmpx_ne_u32_e32 0x7f, v42
	s_cbranch_execz .LBB274_452
; %bb.449:                              ;   in Loop: Header=BB274_258 Depth=1
	v_and_b32_e32 v8, 7, v2
	v_lshrrev_b32_e32 v9, 3, v42
	s_mov_b32 s20, exec_lo
	v_cmpx_gt_u32_e32 8, v42
; %bb.450:                              ;   in Loop: Header=BB274_258 Depth=1
	v_ffbh_u32_e32 v8, v8
	v_min_u32_e32 v42, 32, v8
	v_subrev_nc_u32_e32 v8, 28, v42
	v_lshlrev_b64 v[8:9], v8, v[2:3]
	v_sub_nc_u32_e32 v9, 29, v42
	v_and_b32_e32 v8, 7, v8
; %bb.451:                              ;   in Loop: Header=BB274_258 Depth=1
	s_or_b32 exec_lo, exec_lo, s20
	v_lshlrev_b32_e32 v2, 8, v2
	v_lshl_add_u32 v9, v9, 10, 0x2000
	v_lshlrev_b32_e32 v8, 23, v8
	v_and_or_b32 v2, 0x8000, v2, v9
	v_lshl_or_b32 v8, v2, 16, v8
.LBB274_452:                            ;   in Loop: Header=BB274_258 Depth=1
	s_or_b32 exec_lo, exec_lo, s19
.LBB274_453:                            ;   in Loop: Header=BB274_258 Depth=1
	s_or_b32 exec_lo, exec_lo, s18
.LBB274_454:                            ;   in Loop: Header=BB274_258 Depth=1
	s_or_b32 exec_lo, exec_lo, s17
	v_or_b32_e32 v2, v37, v38
	s_waitcnt vmcnt(0)
	v_fma_mixlo_f16 v9, v34, v37, 0 op_sel:[0,1,0] op_sel_hi:[0,1,0]
	v_or_b32_e32 v36, v35, v36
	v_fma_mixlo_f16 v35, v34, v35, 0 op_sel:[0,1,0] op_sel_hi:[0,1,0]
	v_or_b32_e32 v38, v41, v40
	v_or_b32_e32 v39, v8, v39
	v_fma_mixlo_f16 v40, v34, v2, 0 op_sel_hi:[0,1,0]
	v_lshlrev_b32_e32 v2, 16, v9
	v_lshlrev_b32_e32 v37, 16, v35
	v_fma_mixlo_f16 v9, v34, v36, 0 op_sel_hi:[0,1,0]
	v_fma_mixlo_f16 v35, v34, v41, 0 op_sel:[0,1,0] op_sel_hi:[0,1,0]
	v_fma_mixlo_f16 v38, v34, v38, 0 op_sel_hi:[0,1,0]
	v_fma_mixlo_f16 v8, v34, v8, 0 op_sel:[0,1,0] op_sel_hi:[0,1,0]
	v_fma_mixlo_f16 v34, v34, v39, 0 op_sel_hi:[0,1,0]
	v_and_b32_e32 v36, 0xffff, v40
	v_and_b32_e32 v41, 0xffff, v9
	v_lshlrev_b32_e32 v9, 16, v35
	v_and_b32_e32 v35, 0xffff, v38
	v_lshlrev_b32_e32 v8, 16, v8
	v_and_b32_e32 v34, 0xffff, v34
	v_or_b32_e32 v38, v2, v36
	v_or_b32_e32 v42, v37, v41
	;; [unrolled: 1-line block ×4, first 2 shown]
	s_and_saveexec_b32 s17, s0
	s_cbranch_execz .LBB274_456
; %bb.455:                              ;   in Loop: Header=BB274_258 Depth=1
	v_add_nc_u32_e32 v38, -6, v21
	v_cmp_gt_i32_e64 s1, s27, v27
	v_add_nc_u32_e32 v39, -5, v21
	v_cndmask_b32_e64 v40, 0, v41, s1
	v_cmp_gt_i32_e64 s1, s27, v38
	v_add_nc_u32_e32 v38, -4, v21
	v_add_nc_u32_e32 v41, -2, v21
	v_cndmask_b32_e64 v37, 0, v37, s1
	v_cmp_gt_i32_e64 s1, s27, v39
	v_add_nc_u32_e32 v39, -3, v21
	v_or_b32_e32 v42, v37, v40
	v_cndmask_b32_e64 v36, 0, v36, s1
	v_cmp_gt_i32_e64 s1, s27, v38
	v_add_nc_u32_e32 v38, -1, v21
	v_cndmask_b32_e64 v2, 0, v2, s1
	v_cmp_gt_i32_e64 s1, s27, v39
	v_cndmask_b32_e64 v35, 0, v35, s1
	v_cmp_gt_i32_e64 s1, s27, v41
	;; [unrolled: 2-line block ×3, first 2 shown]
	v_or_b32_e32 v38, v2, v36
	v_or_b32_e32 v40, v9, v35
	v_cndmask_b32_e64 v34, 0, v34, s1
	v_cmp_gt_i32_e64 s1, s27, v21
	v_cndmask_b32_e64 v8, 0, v8, s1
	v_or_b32_e32 v39, v8, v34
.LBB274_456:                            ;   in Loop: Header=BB274_258 Depth=1
	s_or_b32 exec_lo, exec_lo, s17
	;;#ASMSTART
	v_pk_mul_f16 v2, v33, v42;

	;;#ASMEND
	;;#ASMSTART
	v_pk_mul_f16 v8, v32, v38;

	;;#ASMEND
	;; [unrolled: 4-line block ×4, first 2 shown]
	;;#ASMSTART
	v_pk_add_f16 v2, v2, v8;

	;;#ASMEND
	;;#ASMSTART
	v_pk_add_f16 v2, v2, v9;

	;;#ASMEND
	;; [unrolled: 4-line block ×3, first 2 shown]
	v_and_b32_e32 v8, 0xffff, v2
	v_lshrrev_b32_e32 v2, 16, v2
	;;#ASMSTART
	v_cvt_f32_f16 v8, v8;
	;;#ASMEND
	;;#ASMSTART
	v_cvt_f32_f16 v9, v2;
	;;#ASMEND
	s_and_saveexec_b32 s17, vcc_lo
	s_cbranch_execz .LBB274_257
; %bb.457:                              ;   in Loop: Header=BB274_258 Depth=1
	v_add_co_u32 v6, s1, v6, v20
	v_add_co_ci_u32_e64 v7, null, 0, v7, s1
	v_mov_b32_e32 v35, 0
	v_mov_b32_e32 v36, 0
	global_load_dwordx2 v[6:7], v[6:7], off
	global_load_dword v34, v35, s[14:15]
	s_waitcnt vmcnt(1)
	v_cmp_ne_u16_sdwa s1, v6, v3 src0_sel:BYTE_0 src1_sel:DWORD
	s_and_saveexec_b32 s18, s1
	s_cbranch_execz .LBB274_465
; %bb.458:                              ;   in Loop: Header=BB274_258 Depth=1
	v_cmp_ne_u16_sdwa s1, v6, v23 src0_sel:BYTE_0 src1_sel:DWORD
	v_mov_b32_e32 v36, 0x8000
	s_and_saveexec_b32 s19, s1
	s_cbranch_execz .LBB274_464
; %bb.459:                              ;   in Loop: Header=BB274_258 Depth=1
	v_and_b32_e32 v37, 0x7f, v6
	v_mov_b32_e32 v36, 0x7c01
	s_mov_b32 s20, exec_lo
	v_cmpx_ne_u32_e32 0x7f, v37
	s_cbranch_execz .LBB274_463
; %bb.460:                              ;   in Loop: Header=BB274_258 Depth=1
	v_and_b32_e32 v2, 7, v6
	v_lshrrev_b32_e32 v36, 3, v37
	s_mov_b32 s21, exec_lo
	v_cmpx_gt_u32_e32 8, v37
; %bb.461:                              ;   in Loop: Header=BB274_258 Depth=1
	v_ffbh_u32_e32 v2, v2
	v_min_u32_e32 v2, 32, v2
	v_subrev_nc_u32_e32 v36, 28, v2
	v_lshlrev_b64 v[37:38], v36, v[6:7]
	v_sub_nc_u32_e32 v36, 29, v2
	v_and_b32_e32 v2, 7, v37
; %bb.462:                              ;   in Loop: Header=BB274_258 Depth=1
	s_or_b32 exec_lo, exec_lo, s21
	v_lshlrev_b32_e32 v37, 8, v6
	v_lshl_add_u32 v36, v36, 10, 0x2000
	v_lshlrev_b32_e32 v2, 7, v2
	v_and_b32_e32 v37, 0x8000, v37
	v_and_b32_e32 v36, 0xfc00, v36
	v_or3_b32 v36, v37, v36, v2
.LBB274_463:                            ;   in Loop: Header=BB274_258 Depth=1
	s_or_b32 exec_lo, exec_lo, s20
.LBB274_464:                            ;   in Loop: Header=BB274_258 Depth=1
	s_or_b32 exec_lo, exec_lo, s19
.LBB274_465:                            ;   in Loop: Header=BB274_258 Depth=1
	s_or_b32 exec_lo, exec_lo, s18
	v_lshrrev_b16 v2, 8, v6
	s_mov_b32 s18, exec_lo
	v_cmpx_ne_u16_e32 0, v2
	s_cbranch_execz .LBB274_473
; %bb.466:                              ;   in Loop: Header=BB274_258 Depth=1
	v_bfrev_b32_e32 v35, 1
	s_mov_b32 s19, exec_lo
	v_cmpx_ne_u16_e32 0x80, v2
	s_cbranch_execz .LBB274_472
; %bb.467:                              ;   in Loop: Header=BB274_258 Depth=1
	v_and_b32_sdwa v38, v2, v24 dst_sel:DWORD dst_unused:UNUSED_PAD src0_sel:WORD_0 src1_sel:DWORD
	v_mov_b32_e32 v35, 0x7c010000
	s_mov_b32 s20, exec_lo
	v_cmpx_ne_u32_e32 0x7f, v38
	s_cbranch_execz .LBB274_471
; %bb.468:                              ;   in Loop: Header=BB274_258 Depth=1
	v_and_b32_sdwa v35, v2, v25 dst_sel:DWORD dst_unused:UNUSED_PAD src0_sel:WORD_0 src1_sel:DWORD
	v_lshrrev_b32_e32 v37, 3, v38
	s_mov_b32 s21, exec_lo
	v_cmpx_gt_u32_e32 8, v38
; %bb.469:                              ;   in Loop: Header=BB274_258 Depth=1
	v_ffbh_u32_e32 v35, v35
	v_min_u32_e32 v35, 32, v35
	v_subrev_nc_u32_e32 v37, 28, v35
	v_lshlrev_b64 v[38:39], v37, v[2:3]
	v_sub_nc_u32_e32 v37, 29, v35
	v_and_b32_e32 v35, 7, v38
; %bb.470:                              ;   in Loop: Header=BB274_258 Depth=1
	s_or_b32 exec_lo, exec_lo, s21
	v_lshlrev_b32_sdwa v2, v26, v2 dst_sel:DWORD dst_unused:UNUSED_PAD src0_sel:DWORD src1_sel:WORD_0
	v_lshl_add_u32 v37, v37, 10, 0x2000
	v_lshlrev_b32_e32 v35, 23, v35
	v_and_or_b32 v2, 0x8000, v2, v37
	v_lshl_or_b32 v35, v2, 16, v35
.LBB274_471:                            ;   in Loop: Header=BB274_258 Depth=1
	s_or_b32 exec_lo, exec_lo, s20
.LBB274_472:                            ;   in Loop: Header=BB274_258 Depth=1
	s_or_b32 exec_lo, exec_lo, s19
.LBB274_473:                            ;   in Loop: Header=BB274_258 Depth=1
	s_or_b32 exec_lo, exec_lo, s18
	v_lshrrev_b32_e32 v2, 16, v6
	v_mov_b32_e32 v37, 0
	v_mov_b32_e32 v38, 0
	v_cmp_ne_u16_sdwa s1, v2, v3 src0_sel:BYTE_0 src1_sel:DWORD
	s_and_saveexec_b32 s18, s1
	s_cbranch_execz .LBB274_481
; %bb.474:                              ;   in Loop: Header=BB274_258 Depth=1
	v_cmp_ne_u16_sdwa s1, v2, v23 src0_sel:BYTE_0 src1_sel:DWORD
	v_mov_b32_e32 v38, 0x8000
	s_and_saveexec_b32 s19, s1
	s_cbranch_execz .LBB274_480
; %bb.475:                              ;   in Loop: Header=BB274_258 Depth=1
	v_bfe_u32 v40, v6, 16, 7
	v_mov_b32_e32 v38, 0x7c01
	s_mov_b32 s20, exec_lo
	v_cmpx_ne_u32_e32 0x7f, v40
	s_cbranch_execz .LBB274_479
; %bb.476:                              ;   in Loop: Header=BB274_258 Depth=1
	v_and_b32_e32 v38, 7, v2
	v_lshrrev_b32_e32 v39, 3, v40
	s_mov_b32 s21, exec_lo
	v_cmpx_gt_u32_e32 8, v40
; %bb.477:                              ;   in Loop: Header=BB274_258 Depth=1
	v_ffbh_u32_e32 v38, v38
	v_min_u32_e32 v40, 32, v38
	v_subrev_nc_u32_e32 v38, 28, v40
	v_lshlrev_b64 v[38:39], v38, v[2:3]
	v_sub_nc_u32_e32 v39, 29, v40
	v_and_b32_e32 v38, 7, v38
; %bb.478:                              ;   in Loop: Header=BB274_258 Depth=1
	s_or_b32 exec_lo, exec_lo, s21
	v_lshlrev_b32_e32 v2, 8, v2
	v_lshl_add_u32 v39, v39, 10, 0x2000
	v_lshlrev_b32_e32 v38, 7, v38
	v_and_b32_e32 v2, 0x8000, v2
	v_and_b32_e32 v39, 0xfc00, v39
	v_or3_b32 v38, v2, v39, v38
.LBB274_479:                            ;   in Loop: Header=BB274_258 Depth=1
	s_or_b32 exec_lo, exec_lo, s20
.LBB274_480:                            ;   in Loop: Header=BB274_258 Depth=1
	s_or_b32 exec_lo, exec_lo, s19
.LBB274_481:                            ;   in Loop: Header=BB274_258 Depth=1
	s_or_b32 exec_lo, exec_lo, s18
	s_mov_b32 s18, exec_lo
	v_cmpx_lt_u32_e32 0xffffff, v6
	s_cbranch_execz .LBB274_489
; %bb.482:                              ;   in Loop: Header=BB274_258 Depth=1
	v_lshrrev_b32_e32 v2, 24, v6
	v_bfrev_b32_e32 v37, 1
	s_mov_b32 s19, exec_lo
	v_cmpx_ne_u32_e32 0x80, v2
	s_cbranch_execz .LBB274_488
; %bb.483:                              ;   in Loop: Header=BB274_258 Depth=1
	v_and_b32_e32 v40, 0x7f, v2
	v_mov_b32_e32 v37, 0x7c010000
	s_mov_b32 s20, exec_lo
	v_cmpx_ne_u32_e32 0x7f, v40
	s_cbranch_execz .LBB274_487
; %bb.484:                              ;   in Loop: Header=BB274_258 Depth=1
	v_and_b32_e32 v37, 7, v2
	v_lshrrev_b32_e32 v39, 3, v40
	s_mov_b32 s21, exec_lo
	v_cmpx_gt_u32_e32 8, v40
; %bb.485:                              ;   in Loop: Header=BB274_258 Depth=1
	v_ffbh_u32_e32 v37, v37
	v_min_u32_e32 v37, 32, v37
	v_subrev_nc_u32_e32 v39, 28, v37
	v_lshlrev_b64 v[40:41], v39, v[2:3]
	v_sub_nc_u32_e32 v39, 29, v37
	v_and_b32_e32 v37, 7, v40
; %bb.486:                              ;   in Loop: Header=BB274_258 Depth=1
	s_or_b32 exec_lo, exec_lo, s21
	v_lshlrev_b32_e32 v2, 8, v2
	v_lshl_add_u32 v39, v39, 10, 0x2000
	v_lshlrev_b32_e32 v37, 23, v37
	v_and_or_b32 v2, 0x8000, v2, v39
	v_lshl_or_b32 v37, v2, 16, v37
.LBB274_487:                            ;   in Loop: Header=BB274_258 Depth=1
	s_or_b32 exec_lo, exec_lo, s20
.LBB274_488:                            ;   in Loop: Header=BB274_258 Depth=1
	s_or_b32 exec_lo, exec_lo, s19
.LBB274_489:                            ;   in Loop: Header=BB274_258 Depth=1
	s_or_b32 exec_lo, exec_lo, s18
	v_mov_b32_e32 v2, v7
	v_cmp_ne_u16_sdwa s1, v7, v3 src0_sel:BYTE_0 src1_sel:DWORD
	v_mov_b32_e32 v39, 0
	v_mov_b32_e32 v40, 0
	s_and_saveexec_b32 s18, s1
	s_cbranch_execz .LBB274_497
; %bb.490:                              ;   in Loop: Header=BB274_258 Depth=1
	v_cmp_ne_u16_sdwa s1, v7, v23 src0_sel:BYTE_0 src1_sel:DWORD
	v_mov_b32_e32 v40, 0x8000
	s_and_saveexec_b32 s19, s1
	s_cbranch_execz .LBB274_496
; %bb.491:                              ;   in Loop: Header=BB274_258 Depth=1
	v_and_b32_e32 v42, 0x7f, v7
	v_mov_b32_e32 v40, 0x7c01
	s_mov_b32 s20, exec_lo
	v_cmpx_ne_u32_e32 0x7f, v42
	s_cbranch_execz .LBB274_495
; %bb.492:                              ;   in Loop: Header=BB274_258 Depth=1
	v_and_b32_e32 v40, 7, v7
	v_lshrrev_b32_e32 v41, 3, v42
	s_mov_b32 s21, exec_lo
	v_cmpx_gt_u32_e32 8, v42
; %bb.493:                              ;   in Loop: Header=BB274_258 Depth=1
	v_ffbh_u32_e32 v40, v40
	v_min_u32_e32 v42, 32, v40
	v_subrev_nc_u32_e32 v40, 28, v42
	v_lshlrev_b64 v[40:41], v40, v[2:3]
	v_sub_nc_u32_e32 v41, 29, v42
	v_and_b32_e32 v40, 7, v40
; %bb.494:                              ;   in Loop: Header=BB274_258 Depth=1
	s_or_b32 exec_lo, exec_lo, s21
	v_lshlrev_b32_e32 v42, 8, v7
	v_lshl_add_u32 v41, v41, 10, 0x2000
	v_lshlrev_b32_e32 v40, 7, v40
	v_and_b32_e32 v42, 0x8000, v42
	v_and_b32_e32 v41, 0xfc00, v41
	v_or3_b32 v40, v42, v41, v40
.LBB274_495:                            ;   in Loop: Header=BB274_258 Depth=1
	s_or_b32 exec_lo, exec_lo, s20
.LBB274_496:                            ;   in Loop: Header=BB274_258 Depth=1
	s_or_b32 exec_lo, exec_lo, s19
.LBB274_497:                            ;   in Loop: Header=BB274_258 Depth=1
	s_or_b32 exec_lo, exec_lo, s18
	v_lshrrev_b16 v2, 8, v2
	v_mov_b32_e32 v41, 0
	s_mov_b32 s18, exec_lo
	v_cmpx_ne_u16_e32 0, v2
	s_cbranch_execz .LBB274_505
; %bb.498:                              ;   in Loop: Header=BB274_258 Depth=1
	v_bfrev_b32_e32 v41, 1
	s_mov_b32 s19, exec_lo
	v_cmpx_ne_u16_e32 0x80, v2
	s_cbranch_execz .LBB274_504
; %bb.499:                              ;   in Loop: Header=BB274_258 Depth=1
	v_and_b32_sdwa v43, v2, v24 dst_sel:DWORD dst_unused:UNUSED_PAD src0_sel:WORD_0 src1_sel:DWORD
	v_mov_b32_e32 v41, 0x7c010000
	s_mov_b32 s20, exec_lo
	v_cmpx_ne_u32_e32 0x7f, v43
	s_cbranch_execz .LBB274_503
; %bb.500:                              ;   in Loop: Header=BB274_258 Depth=1
	v_and_b32_sdwa v41, v2, v25 dst_sel:DWORD dst_unused:UNUSED_PAD src0_sel:WORD_0 src1_sel:DWORD
	v_lshrrev_b32_e32 v42, 3, v43
	s_mov_b32 s21, exec_lo
	v_cmpx_gt_u32_e32 8, v43
; %bb.501:                              ;   in Loop: Header=BB274_258 Depth=1
	v_ffbh_u32_e32 v41, v41
	v_min_u32_e32 v43, 32, v41
	v_subrev_nc_u32_e32 v41, 28, v43
	v_lshlrev_b64 v[41:42], v41, v[2:3]
	v_sub_nc_u32_e32 v42, 29, v43
	v_and_b32_e32 v41, 7, v41
; %bb.502:                              ;   in Loop: Header=BB274_258 Depth=1
	s_or_b32 exec_lo, exec_lo, s21
	v_lshlrev_b32_sdwa v2, v26, v2 dst_sel:DWORD dst_unused:UNUSED_PAD src0_sel:DWORD src1_sel:WORD_0
	v_lshl_add_u32 v42, v42, 10, 0x2000
	v_lshlrev_b32_e32 v41, 23, v41
	v_and_or_b32 v2, 0x8000, v2, v42
	v_lshl_or_b32 v41, v2, 16, v41
.LBB274_503:                            ;   in Loop: Header=BB274_258 Depth=1
	s_or_b32 exec_lo, exec_lo, s20
.LBB274_504:                            ;   in Loop: Header=BB274_258 Depth=1
	s_or_b32 exec_lo, exec_lo, s19
.LBB274_505:                            ;   in Loop: Header=BB274_258 Depth=1
	s_or_b32 exec_lo, exec_lo, s18
	v_lshrrev_b32_e32 v2, 16, v7
	v_cmp_ne_u16_sdwa s1, v2, v3 src0_sel:BYTE_0 src1_sel:DWORD
	s_and_saveexec_b32 s18, s1
	s_cbranch_execz .LBB274_513
; %bb.506:                              ;   in Loop: Header=BB274_258 Depth=1
	v_cmp_ne_u16_sdwa s1, v2, v23 src0_sel:BYTE_0 src1_sel:DWORD
	v_mov_b32_e32 v39, 0x8000
	s_and_saveexec_b32 s19, s1
	s_cbranch_execz .LBB274_512
; %bb.507:                              ;   in Loop: Header=BB274_258 Depth=1
	v_bfe_u32 v43, v7, 16, 7
	v_mov_b32_e32 v39, 0x7c01
	s_mov_b32 s20, exec_lo
	v_cmpx_ne_u32_e32 0x7f, v43
	s_cbranch_execz .LBB274_511
; %bb.508:                              ;   in Loop: Header=BB274_258 Depth=1
	v_and_b32_e32 v39, 7, v2
	v_lshrrev_b32_e32 v42, 3, v43
	s_mov_b32 s21, exec_lo
	v_cmpx_gt_u32_e32 8, v43
; %bb.509:                              ;   in Loop: Header=BB274_258 Depth=1
	v_ffbh_u32_e32 v39, v39
	v_min_u32_e32 v39, 32, v39
	v_subrev_nc_u32_e32 v42, 28, v39
	v_lshlrev_b64 v[43:44], v42, v[2:3]
	v_sub_nc_u32_e32 v42, 29, v39
	v_and_b32_e32 v39, 7, v43
; %bb.510:                              ;   in Loop: Header=BB274_258 Depth=1
	s_or_b32 exec_lo, exec_lo, s21
	v_lshlrev_b32_e32 v2, 8, v2
	v_lshl_add_u32 v42, v42, 10, 0x2000
	v_lshlrev_b32_e32 v39, 7, v39
	v_and_b32_e32 v2, 0x8000, v2
	v_and_b32_e32 v42, 0xfc00, v42
	v_or3_b32 v39, v2, v42, v39
.LBB274_511:                            ;   in Loop: Header=BB274_258 Depth=1
	s_or_b32 exec_lo, exec_lo, s20
.LBB274_512:                            ;   in Loop: Header=BB274_258 Depth=1
	s_or_b32 exec_lo, exec_lo, s19
.LBB274_513:                            ;   in Loop: Header=BB274_258 Depth=1
	s_or_b32 exec_lo, exec_lo, s18
	v_cmp_lt_u64_e64 s1, s[6:7], v[6:7]
	v_mov_b32_e32 v6, 0
	s_and_saveexec_b32 s18, s1
	s_cbranch_execz .LBB274_521
; %bb.514:                              ;   in Loop: Header=BB274_258 Depth=1
	v_lshrrev_b32_e32 v2, 24, v7
	v_bfrev_b32_e32 v6, 1
	s_mov_b32 s19, exec_lo
	v_cmpx_ne_u32_e32 0x80, v2
	s_cbranch_execz .LBB274_520
; %bb.515:                              ;   in Loop: Header=BB274_258 Depth=1
	v_and_b32_e32 v42, 0x7f, v2
	v_mov_b32_e32 v6, 0x7c010000
	s_mov_b32 s20, exec_lo
	v_cmpx_ne_u32_e32 0x7f, v42
	s_cbranch_execz .LBB274_519
; %bb.516:                              ;   in Loop: Header=BB274_258 Depth=1
	v_and_b32_e32 v6, 7, v2
	v_lshrrev_b32_e32 v7, 3, v42
	s_mov_b32 s21, exec_lo
	v_cmpx_gt_u32_e32 8, v42
; %bb.517:                              ;   in Loop: Header=BB274_258 Depth=1
	v_ffbh_u32_e32 v6, v6
	v_min_u32_e32 v42, 32, v6
	v_subrev_nc_u32_e32 v6, 28, v42
	v_lshlrev_b64 v[6:7], v6, v[2:3]
	v_sub_nc_u32_e32 v7, 29, v42
	v_and_b32_e32 v6, 7, v6
; %bb.518:                              ;   in Loop: Header=BB274_258 Depth=1
	s_or_b32 exec_lo, exec_lo, s21
	v_lshlrev_b32_e32 v2, 8, v2
	v_lshl_add_u32 v7, v7, 10, 0x2000
	v_lshlrev_b32_e32 v6, 23, v6
	v_and_or_b32 v2, 0x8000, v2, v7
	v_lshl_or_b32 v6, v2, 16, v6
.LBB274_519:                            ;   in Loop: Header=BB274_258 Depth=1
	s_or_b32 exec_lo, exec_lo, s20
.LBB274_520:                            ;   in Loop: Header=BB274_258 Depth=1
	s_or_b32 exec_lo, exec_lo, s19
.LBB274_521:                            ;   in Loop: Header=BB274_258 Depth=1
	s_or_b32 exec_lo, exec_lo, s18
	v_or_b32_e32 v2, v37, v38
	s_waitcnt vmcnt(0)
	v_fma_mixlo_f16 v7, v34, v37, 0 op_sel:[0,1,0] op_sel_hi:[0,1,0]
	v_or_b32_e32 v36, v35, v36
	v_fma_mixlo_f16 v35, v34, v35, 0 op_sel:[0,1,0] op_sel_hi:[0,1,0]
	v_or_b32_e32 v38, v41, v40
	v_or_b32_e32 v39, v6, v39
	v_fma_mixlo_f16 v40, v34, v2, 0 op_sel_hi:[0,1,0]
	v_lshlrev_b32_e32 v2, 16, v7
	v_lshlrev_b32_e32 v37, 16, v35
	v_fma_mixlo_f16 v7, v34, v36, 0 op_sel_hi:[0,1,0]
	v_fma_mixlo_f16 v35, v34, v41, 0 op_sel:[0,1,0] op_sel_hi:[0,1,0]
	v_fma_mixlo_f16 v38, v34, v38, 0 op_sel_hi:[0,1,0]
	v_fma_mixlo_f16 v6, v34, v6, 0 op_sel:[0,1,0] op_sel_hi:[0,1,0]
	v_fma_mixlo_f16 v34, v34, v39, 0 op_sel_hi:[0,1,0]
	v_and_b32_e32 v36, 0xffff, v40
	v_and_b32_e32 v42, 0xffff, v7
	v_lshlrev_b32_e32 v7, 16, v35
	v_and_b32_e32 v35, 0xffff, v38
	v_lshlrev_b32_e32 v6, 16, v6
	v_and_b32_e32 v34, 0xffff, v34
	v_or_b32_e32 v40, v2, v36
	v_or_b32_e32 v41, v37, v42
	;; [unrolled: 1-line block ×4, first 2 shown]
	s_and_saveexec_b32 s1, s0
	s_cbranch_execz .LBB274_256
; %bb.522:                              ;   in Loop: Header=BB274_258 Depth=1
	v_add_nc_u32_e32 v38, -6, v21
	v_cmp_gt_i32_e64 s0, s27, v27
	v_add_nc_u32_e32 v39, -5, v21
	v_add_nc_u32_e32 v40, -2, v21
	v_cndmask_b32_e64 v27, 0, v42, s0
	v_cmp_gt_i32_e64 s0, s27, v38
	v_add_nc_u32_e32 v38, -4, v21
	v_cndmask_b32_e64 v37, 0, v37, s0
	v_cmp_gt_i32_e64 s0, s27, v39
	v_add_nc_u32_e32 v39, -3, v21
	v_or_b32_e32 v41, v37, v27
	v_cndmask_b32_e64 v36, 0, v36, s0
	v_cmp_gt_i32_e64 s0, s27, v38
	v_add_nc_u32_e32 v38, -1, v21
	v_cndmask_b32_e64 v2, 0, v2, s0
	v_cmp_gt_i32_e64 s0, s27, v39
	v_cndmask_b32_e64 v35, 0, v35, s0
	v_cmp_gt_i32_e64 s0, s27, v40
	v_or_b32_e32 v40, v2, v36
	v_cndmask_b32_e64 v7, 0, v7, s0
	v_cmp_gt_i32_e64 s0, s27, v38
	v_or_b32_e32 v39, v7, v35
	v_cndmask_b32_e64 v34, 0, v34, s0
	v_cmp_gt_i32_e64 s0, s27, v21
	v_cndmask_b32_e64 v6, 0, v6, s0
	v_or_b32_e32 v38, v6, v34
	s_branch .LBB274_256
.LBB274_523:
	s_or_b32 exec_lo, exec_lo, s13
.LBB274_524:
	s_or_b32 exec_lo, exec_lo, s3
	s_movk_i32 s0, 0x1c0
	v_and_b32_e32 v1, 0x3c0, v0
	v_mad_u32_u24 v4, v12, s0, 0x100
	v_or_b32_e32 v3, 0x60, v0
	s_mov_b32 s0, exec_lo
	s_waitcnt_vscnt null, 0x0
	s_barrier
	buffer_gl0_inv
	v_cmpx_eq_u32_e32 64, v1
	s_cbranch_execz .LBB274_527
; %bb.525:
	v_add_nc_u32_e32 v1, 0xfffffc80, v4
	v_cmp_gt_u32_e32 vcc_lo, 0x70, v3
	v_lshl_add_u32 v2, v13, 2, v1
	ds_write2_b32 v2, v18, v17 offset1:32
	ds_write_b32 v2, v16 offset:256
	s_and_b32 exec_lo, exec_lo, vcc_lo
; %bb.526:
	v_lshl_add_u32 v1, v3, 2, v1
	ds_write_b32 v1, v15
.LBB274_527:
	s_or_b32 exec_lo, exec_lo, s0
	v_lshl_add_u32 v5, v13, 2, v4
	s_mov_b32 s0, exec_lo
	s_waitcnt lgkmcnt(0)
	s_barrier
	buffer_gl0_inv
	v_cmpx_gt_u32_e32 64, v0
	s_cbranch_execz .LBB274_531
; %bb.528:
	v_lshl_or_b32 v1, v0, 2, 0x80
	s_mov_b32 s1, exec_lo
	v_add_nc_u32_e32 v6, v4, v1
	ds_read2st64_b32 v[1:2], v5 offset1:1
	ds_read_b32 v6, v6
	v_cmpx_gt_u32_e32 0x70, v3
	s_cbranch_execz .LBB274_530
; %bb.529:
	v_lshl_add_u32 v7, v3, 2, v4
	ds_read_b32 v7, v7
	s_waitcnt lgkmcnt(0)
	v_add_f32_e32 v15, v15, v7
.LBB274_530:
	s_or_b32 exec_lo, exec_lo, s1
	s_waitcnt lgkmcnt(1)
	v_add_f32_e32 v18, v18, v1
	s_waitcnt lgkmcnt(0)
	v_add_f32_e32 v17, v17, v6
	v_add_f32_e32 v16, v16, v2
.LBB274_531:
	s_or_b32 exec_lo, exec_lo, s0
	v_and_b32_e32 v1, 0x3e0, v0
	s_mov_b32 s0, exec_lo
	s_barrier
	buffer_gl0_inv
	v_cmpx_eq_u32_e32 32, v1
	s_cbranch_execz .LBB274_534
; %bb.532:
	v_lshl_add_u32 v1, v13, 2, 0x100
	v_cmp_gt_u32_e32 vcc_lo, 0x70, v3
	ds_write_b32 v1, v18
	ds_write_b32 v14, v17
	ds_write_b32 v1, v16 offset:256
	s_and_b32 exec_lo, exec_lo, vcc_lo
; %bb.533:
	v_lshl_add_u32 v1, v3, 2, 0x100
	ds_write_b32 v1, v15
.LBB274_534:
	s_or_b32 exec_lo, exec_lo, s0
	v_cmp_gt_u32_e32 vcc_lo, 32, v0
	s_waitcnt lgkmcnt(0)
	s_barrier
	buffer_gl0_inv
	s_and_saveexec_b32 s1, vcc_lo
	s_cbranch_execz .LBB274_538
; %bb.535:
	v_lshl_add_u32 v6, v0, 2, v4
	s_mov_b32 s3, exec_lo
	ds_read_b32 v4, v5
	ds_read2_b32 v[1:2], v6 offset0:32 offset1:64
	v_cmpx_gt_u32_e32 0x70, v3
	s_cbranch_execz .LBB274_537
; %bb.536:
	ds_read_b32 v5, v6 offset:384
	s_waitcnt lgkmcnt(0)
	v_add_f32_e32 v15, v15, v5
.LBB274_537:
	s_or_b32 exec_lo, exec_lo, s3
	s_waitcnt lgkmcnt(1)
	v_add_f32_e32 v18, v18, v4
	s_waitcnt lgkmcnt(0)
	v_add_f32_e32 v17, v17, v1
	v_add_f32_e32 v16, v16, v2
.LBB274_538:
	s_or_b32 exec_lo, exec_lo, s1
	s_barrier
	buffer_gl0_inv
	s_and_saveexec_b32 s0, vcc_lo
	s_cbranch_execz .LBB274_541
; %bb.539:
	s_mul_i32 s0, s2, 0x70
	s_mul_i32 s2, s11, s10
	s_ashr_i32 s1, s0, 31
	v_lshlrev_b32_e32 v0, 1, v0
	s_lshl_b64 s[0:1], s[0:1], 1
	v_cmp_gt_u32_e32 vcc_lo, 0x70, v3
	s_add_u32 s4, s24, s0
	s_addc_u32 s5, s25, s1
	s_ashr_i32 s3, s2, 31
	;;#ASMSTART
	v_cvt_f16_f32 v1, v18;

	;;#ASMEND
	s_lshl_b64 s[0:1], s[2:3], 1
	s_mul_i32 s2, s8, 0x70
	s_add_u32 s4, s4, s0
	s_addc_u32 s5, s5, s1
	s_ashr_i32 s3, s2, 31
	s_lshl_b64 s[0:1], s[2:3], 1
	s_add_u32 s0, s4, s0
	s_addc_u32 s1, s5, s1
	global_store_short v0, v1, s[0:1]
	;;#ASMSTART
	v_cvt_f16_f32 v1, v17;

	;;#ASMEND
	global_store_short v0, v1, s[0:1] offset:64
	;;#ASMSTART
	v_cvt_f16_f32 v1, v16;

	;;#ASMEND
	global_store_short v0, v1, s[0:1] offset:128
	s_and_b32 exec_lo, exec_lo, vcc_lo
	s_cbranch_execz .LBB274_541
; %bb.540:
	v_add_co_u32 v0, s0, s0, v0
	v_add_co_ci_u32_e64 v1, null, s1, 0, s0
	;;#ASMSTART
	v_cvt_f16_f32 v2, v15;

	;;#ASMEND
	global_store_short v[0:1], v2, off offset:192
.LBB274_541:
	s_endpgm
	.section	.rodata,"a",@progbits
	.p2align	6, 0x0
	.amdhsa_kernel _ZN4vllm25paged_attention_v2_kernelIthLi112ELi8ELi128ELNS_18Fp8KVCacheDataTypeE1ELb0ELi512EEEvPfS2_PT_PKS3_PKT0_S9_ifPKiSB_iPKfiiiSD_SD_iiiii
		.amdhsa_group_segment_fixed_size 256
		.amdhsa_private_segment_fixed_size 0
		.amdhsa_kernarg_size 400
		.amdhsa_user_sgpr_count 6
		.amdhsa_user_sgpr_private_segment_buffer 1
		.amdhsa_user_sgpr_dispatch_ptr 0
		.amdhsa_user_sgpr_queue_ptr 0
		.amdhsa_user_sgpr_kernarg_segment_ptr 1
		.amdhsa_user_sgpr_dispatch_id 0
		.amdhsa_user_sgpr_flat_scratch_init 0
		.amdhsa_user_sgpr_private_segment_size 0
		.amdhsa_wavefront_size32 1
		.amdhsa_uses_dynamic_stack 0
		.amdhsa_system_sgpr_private_segment_wavefront_offset 0
		.amdhsa_system_sgpr_workgroup_id_x 1
		.amdhsa_system_sgpr_workgroup_id_y 1
		.amdhsa_system_sgpr_workgroup_id_z 1
		.amdhsa_system_sgpr_workgroup_info 0
		.amdhsa_system_vgpr_workitem_id 0
		.amdhsa_next_free_vgpr 74
		.amdhsa_next_free_sgpr 43
		.amdhsa_reserve_vcc 1
		.amdhsa_reserve_flat_scratch 0
		.amdhsa_float_round_mode_32 0
		.amdhsa_float_round_mode_16_64 0
		.amdhsa_float_denorm_mode_32 3
		.amdhsa_float_denorm_mode_16_64 3
		.amdhsa_dx10_clamp 1
		.amdhsa_ieee_mode 1
		.amdhsa_fp16_overflow 0
		.amdhsa_workgroup_processor_mode 1
		.amdhsa_memory_ordered 1
		.amdhsa_forward_progress 1
		.amdhsa_shared_vgpr_count 0
		.amdhsa_exception_fp_ieee_invalid_op 0
		.amdhsa_exception_fp_denorm_src 0
		.amdhsa_exception_fp_ieee_div_zero 0
		.amdhsa_exception_fp_ieee_overflow 0
		.amdhsa_exception_fp_ieee_underflow 0
		.amdhsa_exception_fp_ieee_inexact 0
		.amdhsa_exception_int_div_zero 0
	.end_amdhsa_kernel
	.section	.text._ZN4vllm25paged_attention_v2_kernelIthLi112ELi8ELi128ELNS_18Fp8KVCacheDataTypeE1ELb0ELi512EEEvPfS2_PT_PKS3_PKT0_S9_ifPKiSB_iPKfiiiSD_SD_iiiii,"axG",@progbits,_ZN4vllm25paged_attention_v2_kernelIthLi112ELi8ELi128ELNS_18Fp8KVCacheDataTypeE1ELb0ELi512EEEvPfS2_PT_PKS3_PKT0_S9_ifPKiSB_iPKfiiiSD_SD_iiiii,comdat
.Lfunc_end274:
	.size	_ZN4vllm25paged_attention_v2_kernelIthLi112ELi8ELi128ELNS_18Fp8KVCacheDataTypeE1ELb0ELi512EEEvPfS2_PT_PKS3_PKT0_S9_ifPKiSB_iPKfiiiSD_SD_iiiii, .Lfunc_end274-_ZN4vllm25paged_attention_v2_kernelIthLi112ELi8ELi128ELNS_18Fp8KVCacheDataTypeE1ELb0ELi512EEEvPfS2_PT_PKS3_PKT0_S9_ifPKiSB_iPKfiiiSD_SD_iiiii
                                        ; -- End function
	.set _ZN4vllm25paged_attention_v2_kernelIthLi112ELi8ELi128ELNS_18Fp8KVCacheDataTypeE1ELb0ELi512EEEvPfS2_PT_PKS3_PKT0_S9_ifPKiSB_iPKfiiiSD_SD_iiiii.num_vgpr, 74
	.set _ZN4vllm25paged_attention_v2_kernelIthLi112ELi8ELi128ELNS_18Fp8KVCacheDataTypeE1ELb0ELi512EEEvPfS2_PT_PKS3_PKT0_S9_ifPKiSB_iPKfiiiSD_SD_iiiii.num_agpr, 0
	.set _ZN4vllm25paged_attention_v2_kernelIthLi112ELi8ELi128ELNS_18Fp8KVCacheDataTypeE1ELb0ELi512EEEvPfS2_PT_PKS3_PKT0_S9_ifPKiSB_iPKfiiiSD_SD_iiiii.numbered_sgpr, 43
	.set _ZN4vllm25paged_attention_v2_kernelIthLi112ELi8ELi128ELNS_18Fp8KVCacheDataTypeE1ELb0ELi512EEEvPfS2_PT_PKS3_PKT0_S9_ifPKiSB_iPKfiiiSD_SD_iiiii.num_named_barrier, 0
	.set _ZN4vllm25paged_attention_v2_kernelIthLi112ELi8ELi128ELNS_18Fp8KVCacheDataTypeE1ELb0ELi512EEEvPfS2_PT_PKS3_PKT0_S9_ifPKiSB_iPKfiiiSD_SD_iiiii.private_seg_size, 0
	.set _ZN4vllm25paged_attention_v2_kernelIthLi112ELi8ELi128ELNS_18Fp8KVCacheDataTypeE1ELb0ELi512EEEvPfS2_PT_PKS3_PKT0_S9_ifPKiSB_iPKfiiiSD_SD_iiiii.uses_vcc, 1
	.set _ZN4vllm25paged_attention_v2_kernelIthLi112ELi8ELi128ELNS_18Fp8KVCacheDataTypeE1ELb0ELi512EEEvPfS2_PT_PKS3_PKT0_S9_ifPKiSB_iPKfiiiSD_SD_iiiii.uses_flat_scratch, 0
	.set _ZN4vllm25paged_attention_v2_kernelIthLi112ELi8ELi128ELNS_18Fp8KVCacheDataTypeE1ELb0ELi512EEEvPfS2_PT_PKS3_PKT0_S9_ifPKiSB_iPKfiiiSD_SD_iiiii.has_dyn_sized_stack, 0
	.set _ZN4vllm25paged_attention_v2_kernelIthLi112ELi8ELi128ELNS_18Fp8KVCacheDataTypeE1ELb0ELi512EEEvPfS2_PT_PKS3_PKT0_S9_ifPKiSB_iPKfiiiSD_SD_iiiii.has_recursion, 0
	.set _ZN4vllm25paged_attention_v2_kernelIthLi112ELi8ELi128ELNS_18Fp8KVCacheDataTypeE1ELb0ELi512EEEvPfS2_PT_PKS3_PKT0_S9_ifPKiSB_iPKfiiiSD_SD_iiiii.has_indirect_call, 0
	.section	.AMDGPU.csdata,"",@progbits
; Kernel info:
; codeLenInByte = 18884
; TotalNumSgprs: 45
; NumVgprs: 74
; ScratchSize: 0
; MemoryBound: 0
; FloatMode: 240
; IeeeMode: 1
; LDSByteSize: 256 bytes/workgroup (compile time only)
; SGPRBlocks: 0
; VGPRBlocks: 9
; NumSGPRsForWavesPerEU: 45
; NumVGPRsForWavesPerEU: 74
; Occupancy: 12
; WaveLimiterHint : 1
; COMPUTE_PGM_RSRC2:SCRATCH_EN: 0
; COMPUTE_PGM_RSRC2:USER_SGPR: 6
; COMPUTE_PGM_RSRC2:TRAP_HANDLER: 0
; COMPUTE_PGM_RSRC2:TGID_X_EN: 1
; COMPUTE_PGM_RSRC2:TGID_Y_EN: 1
; COMPUTE_PGM_RSRC2:TGID_Z_EN: 1
; COMPUTE_PGM_RSRC2:TIDIG_COMP_CNT: 0
	.section	.text._ZN4vllm25paged_attention_v2_kernelIthLi120ELi8ELi128ELNS_18Fp8KVCacheDataTypeE1ELb0ELi512EEEvPfS2_PT_PKS3_PKT0_S9_ifPKiSB_iPKfiiiSD_SD_iiiii,"axG",@progbits,_ZN4vllm25paged_attention_v2_kernelIthLi120ELi8ELi128ELNS_18Fp8KVCacheDataTypeE1ELb0ELi512EEEvPfS2_PT_PKS3_PKT0_S9_ifPKiSB_iPKfiiiSD_SD_iiiii,comdat
	.protected	_ZN4vllm25paged_attention_v2_kernelIthLi120ELi8ELi128ELNS_18Fp8KVCacheDataTypeE1ELb0ELi512EEEvPfS2_PT_PKS3_PKT0_S9_ifPKiSB_iPKfiiiSD_SD_iiiii ; -- Begin function _ZN4vllm25paged_attention_v2_kernelIthLi120ELi8ELi128ELNS_18Fp8KVCacheDataTypeE1ELb0ELi512EEEvPfS2_PT_PKS3_PKT0_S9_ifPKiSB_iPKfiiiSD_SD_iiiii
	.globl	_ZN4vllm25paged_attention_v2_kernelIthLi120ELi8ELi128ELNS_18Fp8KVCacheDataTypeE1ELb0ELi512EEEvPfS2_PT_PKS3_PKT0_S9_ifPKiSB_iPKfiiiSD_SD_iiiii
	.p2align	8
	.type	_ZN4vllm25paged_attention_v2_kernelIthLi120ELi8ELi128ELNS_18Fp8KVCacheDataTypeE1ELb0ELi512EEEvPfS2_PT_PKS3_PKT0_S9_ifPKiSB_iPKfiiiSD_SD_iiiii,@function
_ZN4vllm25paged_attention_v2_kernelIthLi120ELi8ELi128ELNS_18Fp8KVCacheDataTypeE1ELb0ELi512EEEvPfS2_PT_PKS3_PKT0_S9_ifPKiSB_iPKfiiiSD_SD_iiiii: ; @_ZN4vllm25paged_attention_v2_kernelIthLi120ELi8ELi128ELNS_18Fp8KVCacheDataTypeE1ELb0ELi512EEEvPfS2_PT_PKS3_PKT0_S9_ifPKiSB_iPKfiiiSD_SD_iiiii
; %bb.0:
	s_load_dwordx2 s[0:1], s[4:5], 0x40
	s_mov_b32 s26, s7
	s_ashr_i32 s27, s7, 31
	s_lshl_b64 s[2:3], s[26:27], 2
	s_waitcnt lgkmcnt(0)
	s_add_u32 s0, s0, s2
	s_addc_u32 s1, s1, s3
	s_lshl_b32 s33, s8, 9
	s_load_dword s27, s[0:1], 0x0
	s_waitcnt lgkmcnt(0)
	s_cmp_ge_i32 s33, s27
	s_cbranch_scc1 .LBB275_557
; %bb.1:
	s_clause 0x1
	s_load_dword s9, s[4:5], 0x90
	s_load_dwordx2 s[36:37], s[4:5], 0x30
	s_waitcnt lgkmcnt(0)
	s_abs_i32 s3, s9
	s_abs_i32 s0, s36
	v_cvt_f32_u32_e32 v1, s0
	s_sub_i32 s2, 0, s0
	v_rcp_iflag_f32_e32 v1, v1
	v_mul_f32_e32 v1, 0x4f7ffffe, v1
	v_cvt_u32_f32_e32 v1, v1
	v_readfirstlane_b32 s1, v1
	s_mul_i32 s2, s2, s1
	s_mul_hi_u32 s2, s1, s2
	s_add_i32 s1, s1, s2
	s_xor_b32 s2, s9, s36
	s_mul_hi_u32 s1, s3, s1
	s_ashr_i32 s2, s2, 31
	s_mul_i32 s7, s1, s0
	s_mov_b32 s36, 0
	s_sub_i32 s3, s3, s7
	s_add_i32 s7, s1, 1
	s_sub_i32 s10, s3, s0
	s_cmp_ge_u32 s3, s0
	s_cselect_b32 s1, s7, s1
	s_cselect_b32 s3, s10, s3
	s_add_i32 s7, s1, 1
	s_cmp_ge_u32 s3, s0
	s_cselect_b32 s0, s7, s1
	s_abs_i32 s12, s6
	s_xor_b32 s0, s0, s2
	s_sub_i32 s10, s0, s2
	s_load_dwordx2 s[0:1], s[4:5], 0x50
	s_abs_i32 s2, s10
	v_cvt_f32_u32_e32 v1, s2
	s_sub_i32 s7, 0, s2
	v_rcp_iflag_f32_e32 v1, v1
	v_mul_f32_e32 v1, 0x4f7ffffe, v1
	v_cvt_u32_f32_e32 v1, v1
	v_readfirstlane_b32 s3, v1
	s_mul_i32 s7, s7, s3
	s_mul_hi_u32 s7, s3, s7
	s_add_i32 s3, s3, s7
	s_waitcnt lgkmcnt(0)
	s_cmp_eq_u64 s[0:1], 0
	s_mul_hi_u32 s3, s12, s3
	s_cbranch_scc1 .LBB275_3
; %bb.2:
	s_ashr_i32 s7, s6, 31
	s_lshl_b64 s[14:15], s[6:7], 2
	s_add_u32 s0, s0, s14
	s_addc_u32 s1, s1, s15
	s_load_dword s36, s[0:1], 0x0
.LBB275_3:
	s_load_dwordx4 s[16:19], s[4:5], 0x58
	v_and_b32_e32 v3, 3, v0
	s_ashr_i32 s0, s6, 31
	s_ashr_i32 s1, s10, 31
	s_mul_i32 s10, s6, 0x78
	s_mov_b32 s7, exec_lo
	v_cmpx_gt_u32_e32 60, v0
	s_cbranch_execz .LBB275_5
; %bb.4:
	s_load_dwordx2 s[14:15], s[4:5], 0x18
	s_waitcnt lgkmcnt(0)
	s_mul_i32 s20, s16, s26
	v_lshlrev_b32_e32 v1, 2, v0
	s_ashr_i32 s21, s20, 31
	v_and_b32_e32 v2, 0x3fc, v0
	s_lshl_b64 s[20:21], s[20:21], 1
	v_mad_u32_u24 v2, v3, 60, v2
	s_add_u32 s13, s14, s20
	s_addc_u32 s16, s15, s21
	s_ashr_i32 s11, s10, 31
	s_lshl_b64 s[14:15], s[10:11], 1
	s_add_u32 s14, s13, s14
	s_addc_u32 s15, s16, s15
	global_load_dword v1, v1, s[14:15]
	s_waitcnt vmcnt(0)
	ds_write_b32 v2, v1
.LBB275_5:
	s_or_b32 exec_lo, exec_lo, s7
	s_add_i32 s7, s27, 7
	s_clause 0x1
	s_load_dwordx2 s[28:29], s[4:5], 0x38
	s_load_dword s13, s[4:5], 0x48
	s_ashr_i32 s11, s7, 31
	s_waitcnt lgkmcnt(0)
	s_lshl_b32 s19, s8, 6
	s_lshr_b32 s11, s11, 29
	s_xor_b32 s0, s0, s1
	s_add_i32 s7, s7, s11
	s_add_i32 s1, s19, 64
	s_ashr_i32 s7, s7, 3
	s_mul_i32 s11, s3, s2
	s_min_i32 s16, s1, s7
	s_sub_i32 s1, s12, s11
	s_add_i32 s11, s3, 1
	s_sub_i32 s12, s1, s2
	s_cmp_ge_u32 s1, s2
	v_lshrrev_b32_e32 v12, 5, v0
	s_cselect_b32 s3, s11, s3
	s_cselect_b32 s1, s12, s1
	s_add_i32 s11, s3, 1
	s_cmp_ge_u32 s1, s2
	v_or_b32_e32 v1, s19, v12
	s_cselect_b32 s1, s11, s3
	v_mbcnt_lo_u32_b32 v15, -1, 0
	s_xor_b32 s1, s1, s0
	s_mul_i32 s30, s13, s26
	s_sub_i32 s1, s1, s0
	v_cmp_gt_i32_e64 s0, s16, v1
	s_ashr_i32 s31, s30, 31
	s_mov_b32 s2, exec_lo
	s_barrier
	buffer_gl0_inv
                                        ; implicit-def: $vgpr4
                                        ; implicit-def: $vgpr14
	v_cmpx_le_i32_e64 s16, v1
	s_xor_b32 s2, exec_lo, s2
; %bb.6:
	v_mov_b32_e32 v4, 0
	v_mbcnt_lo_u32_b32 v15, -1, 0
	v_mov_b32_e32 v14, 32
                                        ; implicit-def: $vgpr3
; %bb.7:
	s_or_saveexec_b32 s38, s2
	s_clause 0x4
	s_load_dwordx4 s[20:23], s[4:5], 0x0
	s_load_dwordx2 s[24:25], s[4:5], 0x10
	s_load_dword s11, s[4:5], 0x98
	s_load_dwordx2 s[34:35], s[4:5], 0x28
	s_load_dwordx4 s[12:15], s[4:5], 0x68
	v_mov_b32_e32 v13, 0xff7fffff
	v_ashrrev_i32_e32 v2, 31, v1
	v_lshlrev_b32_e32 v11, 3, v12
	s_mul_i32 s18, s1, s18
	s_xor_b32 exec_lo, exec_lo, s38
	s_cbranch_execz .LBB275_253
; %bb.8:
	s_load_dwordx2 s[2:3], s[4:5], 0x20
	v_bfe_u32 v5, v0, 2, 3
	v_lshlrev_b32_e32 v9, 1, v3
	v_mul_u32_u24_e32 v16, 60, v3
	v_cmp_eq_u32_e32 vcc_lo, 0, v3
	s_ashr_i32 s4, s18, 31
	v_lshlrev_b32_e32 v6, 2, v5
	v_lshlrev_b64 v[7:8], 2, v[1:2]
	v_add3_u32 v17, s33, v11, v5
	v_mov_b32_e32 v4, 0
	v_cmp_neq_f32_e64 s1, s36, 0
	v_lshl_or_b32 v3, v12, 5, v6
	v_lshlrev_b32_e32 v6, 4, v5
	v_mov_b32_e32 v13, 0xff7fffff
	v_mov_b32_e32 v14, 32
	;; [unrolled: 1-line block ×3, first 2 shown]
	v_add_nc_u32_e32 v18, 0x110, v3
	v_mov_b32_e32 v20, 0x7f
	v_mov_b32_e32 v21, 7
	;; [unrolled: 1-line block ×3, first 2 shown]
	s_waitcnt lgkmcnt(0)
	s_add_u32 s5, s2, s18
	s_addc_u32 s39, s3, s4
	v_add_co_u32 v3, s5, s5, v6
	v_add_co_ci_u32_e64 v6, null, s39, 0, s5
	s_lshl_b64 s[2:3], s[30:31], 2
	s_sub_i32 s4, 1, s27
	s_add_u32 s5, s28, s2
	v_add_co_u32 v5, s2, v3, v9
	s_addc_u32 s3, s29, s3
	v_add_co_ci_u32_e64 v6, null, 0, v6, s2
	v_add_co_u32 v7, s2, s5, v7
	v_add_co_ci_u32_e64 v8, null, s3, v8, s2
	v_mov_b32_e32 v23, v1
	s_mov_b32 s39, s17
	s_mov_b32 s5, 0
	s_branch .LBB275_10
.LBB275_9:                              ;   in Loop: Header=BB275_10 Depth=1
	s_or_b32 exec_lo, exec_lo, s3
	v_add_nc_u32_e32 v23, 4, v23
	v_add_co_u32 v7, s3, v7, 16
	v_add_nc_u32_e32 v17, 32, v17
	v_add_nc_u32_e32 v18, 0x80, v18
	v_cmp_le_i32_e64 s2, s16, v23
	v_add_co_ci_u32_e64 v8, null, 0, v8, s3
	s_or_b32 s5, s2, s5
	s_andn2_b32 exec_lo, exec_lo, s5
	s_cbranch_execz .LBB275_252
.LBB275_10:                             ; =>This Inner Loop Header: Depth=1
	global_load_dword v3, v[7:8], off
	s_waitcnt vmcnt(0) lgkmcnt(0)
	v_mad_i64_i32 v[9:10], null, v3, s39, v[5:6]
	global_load_ushort v25, v[9:10], off
	global_load_dword v24, v4, s[12:13]
	s_waitcnt vmcnt(1)
	v_and_b32_e32 v3, 0xffff, v25
	v_cmp_ne_u16_sdwa s2, v25, v4 src0_sel:BYTE_0 src1_sel:DWORD
	v_mov_b32_e32 v25, 0
	s_and_saveexec_b32 s3, s2
	s_cbranch_execz .LBB275_18
; %bb.11:                               ;   in Loop: Header=BB275_10 Depth=1
	v_cmp_ne_u16_sdwa s2, v3, v19 src0_sel:BYTE_0 src1_sel:DWORD
	v_mov_b32_e32 v25, 0x8000
	s_and_saveexec_b32 s40, s2
	s_cbranch_execz .LBB275_17
; %bb.12:                               ;   in Loop: Header=BB275_10 Depth=1
	v_and_b32_e32 v27, 0x7f, v3
	v_mov_b32_e32 v25, 0x7c01
	s_mov_b32 s41, exec_lo
	v_cmpx_ne_u32_e32 0x7f, v27
	s_cbranch_execz .LBB275_16
; %bb.13:                               ;   in Loop: Header=BB275_10 Depth=1
	v_and_b32_e32 v25, 7, v3
	v_lshrrev_b32_e32 v26, 3, v27
	s_mov_b32 s42, exec_lo
	v_cmpx_gt_u32_e32 8, v27
; %bb.14:                               ;   in Loop: Header=BB275_10 Depth=1
	v_ffbh_u32_e32 v25, v25
	v_min_u32_e32 v27, 32, v25
	v_subrev_nc_u32_e32 v25, 28, v27
	v_lshlrev_b64 v[25:26], v25, v[3:4]
	v_sub_nc_u32_e32 v26, 29, v27
	v_and_b32_e32 v25, 7, v25
; %bb.15:                               ;   in Loop: Header=BB275_10 Depth=1
	s_or_b32 exec_lo, exec_lo, s42
	v_lshlrev_b32_e32 v27, 8, v3
	v_lshl_add_u32 v26, v26, 10, 0x2000
	v_lshlrev_b32_e32 v25, 7, v25
	v_and_b32_e32 v27, 0x8000, v27
	v_and_b32_e32 v26, 0xfc00, v26
	v_or3_b32 v25, v27, v26, v25
.LBB275_16:                             ;   in Loop: Header=BB275_10 Depth=1
	s_or_b32 exec_lo, exec_lo, s41
.LBB275_17:                             ;   in Loop: Header=BB275_10 Depth=1
	s_or_b32 exec_lo, exec_lo, s40
.LBB275_18:                             ;   in Loop: Header=BB275_10 Depth=1
	s_or_b32 exec_lo, exec_lo, s3
	v_lshrrev_b16 v3, 8, v3
	v_mov_b32_e32 v26, 0
	s_mov_b32 s3, exec_lo
	v_cmpx_ne_u16_e32 0, v3
	s_cbranch_execz .LBB275_26
; %bb.19:                               ;   in Loop: Header=BB275_10 Depth=1
	v_bfrev_b32_e32 v26, 1
	s_mov_b32 s40, exec_lo
	v_cmpx_ne_u16_e32 0x80, v3
	s_cbranch_execz .LBB275_25
; %bb.20:                               ;   in Loop: Header=BB275_10 Depth=1
	v_and_b32_sdwa v28, v3, v20 dst_sel:DWORD dst_unused:UNUSED_PAD src0_sel:WORD_0 src1_sel:DWORD
	v_mov_b32_e32 v26, 0x7c010000
	s_mov_b32 s41, exec_lo
	v_cmpx_ne_u32_e32 0x7f, v28
	s_cbranch_execz .LBB275_24
; %bb.21:                               ;   in Loop: Header=BB275_10 Depth=1
	v_and_b32_sdwa v26, v3, v21 dst_sel:DWORD dst_unused:UNUSED_PAD src0_sel:WORD_0 src1_sel:DWORD
	v_lshrrev_b32_e32 v27, 3, v28
	s_mov_b32 s42, exec_lo
	v_cmpx_gt_u32_e32 8, v28
; %bb.22:                               ;   in Loop: Header=BB275_10 Depth=1
	v_ffbh_u32_e32 v26, v26
	v_min_u32_e32 v28, 32, v26
	v_subrev_nc_u32_e32 v26, 28, v28
	v_lshlrev_b64 v[26:27], v26, v[3:4]
	v_sub_nc_u32_e32 v27, 29, v28
	v_and_b32_e32 v26, 7, v26
; %bb.23:                               ;   in Loop: Header=BB275_10 Depth=1
	s_or_b32 exec_lo, exec_lo, s42
	v_lshlrev_b32_sdwa v3, v22, v3 dst_sel:DWORD dst_unused:UNUSED_PAD src0_sel:DWORD src1_sel:WORD_0
	v_lshl_add_u32 v27, v27, 10, 0x2000
	v_lshlrev_b32_e32 v26, 23, v26
	v_and_or_b32 v3, 0x8000, v3, v27
	v_lshl_or_b32 v26, v3, 16, v26
.LBB275_24:                             ;   in Loop: Header=BB275_10 Depth=1
	s_or_b32 exec_lo, exec_lo, s41
.LBB275_25:                             ;   in Loop: Header=BB275_10 Depth=1
	s_or_b32 exec_lo, exec_lo, s40
.LBB275_26:                             ;   in Loop: Header=BB275_10 Depth=1
	s_or_b32 exec_lo, exec_lo, s3
	global_load_ushort v28, v[9:10], off offset:8
	v_mov_b32_e32 v27, 0
	s_waitcnt vmcnt(0)
	v_and_b32_e32 v3, 0xffff, v28
	v_cmp_ne_u16_sdwa s2, v28, v4 src0_sel:BYTE_0 src1_sel:DWORD
	v_mov_b32_e32 v28, 0
	s_and_saveexec_b32 s3, s2
	s_cbranch_execz .LBB275_34
; %bb.27:                               ;   in Loop: Header=BB275_10 Depth=1
	v_cmp_ne_u16_sdwa s2, v3, v19 src0_sel:BYTE_0 src1_sel:DWORD
	v_mov_b32_e32 v28, 0x8000
	s_and_saveexec_b32 s40, s2
	s_cbranch_execz .LBB275_33
; %bb.28:                               ;   in Loop: Header=BB275_10 Depth=1
	v_and_b32_e32 v30, 0x7f, v3
	v_mov_b32_e32 v28, 0x7c01
	s_mov_b32 s41, exec_lo
	v_cmpx_ne_u32_e32 0x7f, v30
	s_cbranch_execz .LBB275_32
; %bb.29:                               ;   in Loop: Header=BB275_10 Depth=1
	v_and_b32_e32 v28, 7, v3
	v_lshrrev_b32_e32 v29, 3, v30
	s_mov_b32 s42, exec_lo
	v_cmpx_gt_u32_e32 8, v30
; %bb.30:                               ;   in Loop: Header=BB275_10 Depth=1
	v_ffbh_u32_e32 v28, v28
	v_min_u32_e32 v30, 32, v28
	v_subrev_nc_u32_e32 v28, 28, v30
	v_lshlrev_b64 v[28:29], v28, v[3:4]
	v_sub_nc_u32_e32 v29, 29, v30
	v_and_b32_e32 v28, 7, v28
; %bb.31:                               ;   in Loop: Header=BB275_10 Depth=1
	s_or_b32 exec_lo, exec_lo, s42
	v_lshlrev_b32_e32 v30, 8, v3
	v_lshl_add_u32 v29, v29, 10, 0x2000
	v_lshlrev_b32_e32 v28, 7, v28
	v_and_b32_e32 v30, 0x8000, v30
	v_and_b32_e32 v29, 0xfc00, v29
	v_or3_b32 v28, v30, v29, v28
.LBB275_32:                             ;   in Loop: Header=BB275_10 Depth=1
	s_or_b32 exec_lo, exec_lo, s41
.LBB275_33:                             ;   in Loop: Header=BB275_10 Depth=1
	s_or_b32 exec_lo, exec_lo, s40
.LBB275_34:                             ;   in Loop: Header=BB275_10 Depth=1
	s_or_b32 exec_lo, exec_lo, s3
	v_lshrrev_b16 v3, 8, v3
	s_mov_b32 s3, exec_lo
	v_cmpx_ne_u16_e32 0, v3
	s_cbranch_execz .LBB275_42
; %bb.35:                               ;   in Loop: Header=BB275_10 Depth=1
	v_bfrev_b32_e32 v27, 1
	s_mov_b32 s40, exec_lo
	v_cmpx_ne_u16_e32 0x80, v3
	s_cbranch_execz .LBB275_41
; %bb.36:                               ;   in Loop: Header=BB275_10 Depth=1
	v_and_b32_sdwa v30, v3, v20 dst_sel:DWORD dst_unused:UNUSED_PAD src0_sel:WORD_0 src1_sel:DWORD
	v_mov_b32_e32 v27, 0x7c010000
	s_mov_b32 s41, exec_lo
	v_cmpx_ne_u32_e32 0x7f, v30
	s_cbranch_execz .LBB275_40
; %bb.37:                               ;   in Loop: Header=BB275_10 Depth=1
	v_and_b32_sdwa v27, v3, v21 dst_sel:DWORD dst_unused:UNUSED_PAD src0_sel:WORD_0 src1_sel:DWORD
	v_lshrrev_b32_e32 v29, 3, v30
	s_mov_b32 s42, exec_lo
	v_cmpx_gt_u32_e32 8, v30
; %bb.38:                               ;   in Loop: Header=BB275_10 Depth=1
	v_ffbh_u32_e32 v27, v27
	v_min_u32_e32 v27, 32, v27
	v_subrev_nc_u32_e32 v29, 28, v27
	v_lshlrev_b64 v[30:31], v29, v[3:4]
	v_sub_nc_u32_e32 v29, 29, v27
	v_and_b32_e32 v27, 7, v30
; %bb.39:                               ;   in Loop: Header=BB275_10 Depth=1
	s_or_b32 exec_lo, exec_lo, s42
	v_lshlrev_b32_sdwa v3, v22, v3 dst_sel:DWORD dst_unused:UNUSED_PAD src0_sel:DWORD src1_sel:WORD_0
	v_lshl_add_u32 v29, v29, 10, 0x2000
	v_lshlrev_b32_e32 v27, 23, v27
	v_and_or_b32 v3, 0x8000, v3, v29
	v_lshl_or_b32 v27, v3, 16, v27
.LBB275_40:                             ;   in Loop: Header=BB275_10 Depth=1
	s_or_b32 exec_lo, exec_lo, s41
.LBB275_41:                             ;   in Loop: Header=BB275_10 Depth=1
	s_or_b32 exec_lo, exec_lo, s40
.LBB275_42:                             ;   in Loop: Header=BB275_10 Depth=1
	s_or_b32 exec_lo, exec_lo, s3
	global_load_ushort v30, v[9:10], off offset:128
	v_mov_b32_e32 v29, 0
	s_waitcnt vmcnt(0)
	v_and_b32_e32 v3, 0xffff, v30
	v_cmp_ne_u16_sdwa s2, v30, v4 src0_sel:BYTE_0 src1_sel:DWORD
	v_mov_b32_e32 v30, 0
	s_and_saveexec_b32 s3, s2
	s_cbranch_execz .LBB275_50
; %bb.43:                               ;   in Loop: Header=BB275_10 Depth=1
	v_cmp_ne_u16_sdwa s2, v3, v19 src0_sel:BYTE_0 src1_sel:DWORD
	v_mov_b32_e32 v30, 0x8000
	s_and_saveexec_b32 s40, s2
	s_cbranch_execz .LBB275_49
; %bb.44:                               ;   in Loop: Header=BB275_10 Depth=1
	v_and_b32_e32 v32, 0x7f, v3
	v_mov_b32_e32 v30, 0x7c01
	s_mov_b32 s41, exec_lo
	v_cmpx_ne_u32_e32 0x7f, v32
	s_cbranch_execz .LBB275_48
; %bb.45:                               ;   in Loop: Header=BB275_10 Depth=1
	v_and_b32_e32 v30, 7, v3
	v_lshrrev_b32_e32 v31, 3, v32
	s_mov_b32 s42, exec_lo
	v_cmpx_gt_u32_e32 8, v32
; %bb.46:                               ;   in Loop: Header=BB275_10 Depth=1
	v_ffbh_u32_e32 v30, v30
	v_min_u32_e32 v32, 32, v30
	v_subrev_nc_u32_e32 v30, 28, v32
	v_lshlrev_b64 v[30:31], v30, v[3:4]
	v_sub_nc_u32_e32 v31, 29, v32
	v_and_b32_e32 v30, 7, v30
; %bb.47:                               ;   in Loop: Header=BB275_10 Depth=1
	s_or_b32 exec_lo, exec_lo, s42
	v_lshlrev_b32_e32 v32, 8, v3
	v_lshl_add_u32 v31, v31, 10, 0x2000
	v_lshlrev_b32_e32 v30, 7, v30
	v_and_b32_e32 v32, 0x8000, v32
	v_and_b32_e32 v31, 0xfc00, v31
	v_or3_b32 v30, v32, v31, v30
.LBB275_48:                             ;   in Loop: Header=BB275_10 Depth=1
	s_or_b32 exec_lo, exec_lo, s41
.LBB275_49:                             ;   in Loop: Header=BB275_10 Depth=1
	s_or_b32 exec_lo, exec_lo, s40
.LBB275_50:                             ;   in Loop: Header=BB275_10 Depth=1
	s_or_b32 exec_lo, exec_lo, s3
	v_lshrrev_b16 v3, 8, v3
	s_mov_b32 s3, exec_lo
	v_cmpx_ne_u16_e32 0, v3
	s_cbranch_execz .LBB275_58
; %bb.51:                               ;   in Loop: Header=BB275_10 Depth=1
	v_bfrev_b32_e32 v29, 1
	s_mov_b32 s40, exec_lo
	v_cmpx_ne_u16_e32 0x80, v3
	s_cbranch_execz .LBB275_57
; %bb.52:                               ;   in Loop: Header=BB275_10 Depth=1
	v_and_b32_sdwa v32, v3, v20 dst_sel:DWORD dst_unused:UNUSED_PAD src0_sel:WORD_0 src1_sel:DWORD
	v_mov_b32_e32 v29, 0x7c010000
	s_mov_b32 s41, exec_lo
	v_cmpx_ne_u32_e32 0x7f, v32
	s_cbranch_execz .LBB275_56
; %bb.53:                               ;   in Loop: Header=BB275_10 Depth=1
	v_and_b32_sdwa v29, v3, v21 dst_sel:DWORD dst_unused:UNUSED_PAD src0_sel:WORD_0 src1_sel:DWORD
	v_lshrrev_b32_e32 v31, 3, v32
	s_mov_b32 s42, exec_lo
	v_cmpx_gt_u32_e32 8, v32
; %bb.54:                               ;   in Loop: Header=BB275_10 Depth=1
	v_ffbh_u32_e32 v29, v29
	v_min_u32_e32 v29, 32, v29
	v_subrev_nc_u32_e32 v31, 28, v29
	v_lshlrev_b64 v[32:33], v31, v[3:4]
	v_sub_nc_u32_e32 v31, 29, v29
	v_and_b32_e32 v29, 7, v32
; %bb.55:                               ;   in Loop: Header=BB275_10 Depth=1
	s_or_b32 exec_lo, exec_lo, s42
	v_lshlrev_b32_sdwa v3, v22, v3 dst_sel:DWORD dst_unused:UNUSED_PAD src0_sel:DWORD src1_sel:WORD_0
	v_lshl_add_u32 v31, v31, 10, 0x2000
	v_lshlrev_b32_e32 v29, 23, v29
	v_and_or_b32 v3, 0x8000, v3, v31
	v_lshl_or_b32 v29, v3, 16, v29
.LBB275_56:                             ;   in Loop: Header=BB275_10 Depth=1
	s_or_b32 exec_lo, exec_lo, s41
.LBB275_57:                             ;   in Loop: Header=BB275_10 Depth=1
	s_or_b32 exec_lo, exec_lo, s40
.LBB275_58:                             ;   in Loop: Header=BB275_10 Depth=1
	s_or_b32 exec_lo, exec_lo, s3
	global_load_ushort v32, v[9:10], off offset:136
	v_mov_b32_e32 v31, 0
	s_waitcnt vmcnt(0)
	v_and_b32_e32 v3, 0xffff, v32
	v_cmp_ne_u16_sdwa s2, v32, v4 src0_sel:BYTE_0 src1_sel:DWORD
	v_mov_b32_e32 v32, 0
	s_and_saveexec_b32 s3, s2
	s_cbranch_execz .LBB275_66
; %bb.59:                               ;   in Loop: Header=BB275_10 Depth=1
	v_cmp_ne_u16_sdwa s2, v3, v19 src0_sel:BYTE_0 src1_sel:DWORD
	v_mov_b32_e32 v32, 0x8000
	s_and_saveexec_b32 s40, s2
	s_cbranch_execz .LBB275_65
; %bb.60:                               ;   in Loop: Header=BB275_10 Depth=1
	v_and_b32_e32 v34, 0x7f, v3
	v_mov_b32_e32 v32, 0x7c01
	s_mov_b32 s41, exec_lo
	v_cmpx_ne_u32_e32 0x7f, v34
	s_cbranch_execz .LBB275_64
; %bb.61:                               ;   in Loop: Header=BB275_10 Depth=1
	v_and_b32_e32 v32, 7, v3
	v_lshrrev_b32_e32 v33, 3, v34
	s_mov_b32 s42, exec_lo
	v_cmpx_gt_u32_e32 8, v34
; %bb.62:                               ;   in Loop: Header=BB275_10 Depth=1
	v_ffbh_u32_e32 v32, v32
	v_min_u32_e32 v34, 32, v32
	v_subrev_nc_u32_e32 v32, 28, v34
	v_lshlrev_b64 v[32:33], v32, v[3:4]
	v_sub_nc_u32_e32 v33, 29, v34
	v_and_b32_e32 v32, 7, v32
; %bb.63:                               ;   in Loop: Header=BB275_10 Depth=1
	s_or_b32 exec_lo, exec_lo, s42
	v_lshlrev_b32_e32 v34, 8, v3
	v_lshl_add_u32 v33, v33, 10, 0x2000
	v_lshlrev_b32_e32 v32, 7, v32
	v_and_b32_e32 v34, 0x8000, v34
	v_and_b32_e32 v33, 0xfc00, v33
	v_or3_b32 v32, v34, v33, v32
.LBB275_64:                             ;   in Loop: Header=BB275_10 Depth=1
	s_or_b32 exec_lo, exec_lo, s41
.LBB275_65:                             ;   in Loop: Header=BB275_10 Depth=1
	s_or_b32 exec_lo, exec_lo, s40
.LBB275_66:                             ;   in Loop: Header=BB275_10 Depth=1
	s_or_b32 exec_lo, exec_lo, s3
	v_lshrrev_b16 v3, 8, v3
	s_mov_b32 s3, exec_lo
	v_cmpx_ne_u16_e32 0, v3
	s_cbranch_execz .LBB275_74
; %bb.67:                               ;   in Loop: Header=BB275_10 Depth=1
	v_bfrev_b32_e32 v31, 1
	s_mov_b32 s40, exec_lo
	v_cmpx_ne_u16_e32 0x80, v3
	s_cbranch_execz .LBB275_73
; %bb.68:                               ;   in Loop: Header=BB275_10 Depth=1
	v_and_b32_sdwa v34, v3, v20 dst_sel:DWORD dst_unused:UNUSED_PAD src0_sel:WORD_0 src1_sel:DWORD
	v_mov_b32_e32 v31, 0x7c010000
	s_mov_b32 s41, exec_lo
	v_cmpx_ne_u32_e32 0x7f, v34
	s_cbranch_execz .LBB275_72
; %bb.69:                               ;   in Loop: Header=BB275_10 Depth=1
	v_and_b32_sdwa v31, v3, v21 dst_sel:DWORD dst_unused:UNUSED_PAD src0_sel:WORD_0 src1_sel:DWORD
	v_lshrrev_b32_e32 v33, 3, v34
	s_mov_b32 s42, exec_lo
	v_cmpx_gt_u32_e32 8, v34
; %bb.70:                               ;   in Loop: Header=BB275_10 Depth=1
	v_ffbh_u32_e32 v31, v31
	v_min_u32_e32 v31, 32, v31
	v_subrev_nc_u32_e32 v33, 28, v31
	v_lshlrev_b64 v[34:35], v33, v[3:4]
	v_sub_nc_u32_e32 v33, 29, v31
	v_and_b32_e32 v31, 7, v34
; %bb.71:                               ;   in Loop: Header=BB275_10 Depth=1
	s_or_b32 exec_lo, exec_lo, s42
	v_lshlrev_b32_sdwa v3, v22, v3 dst_sel:DWORD dst_unused:UNUSED_PAD src0_sel:DWORD src1_sel:WORD_0
	v_lshl_add_u32 v33, v33, 10, 0x2000
	v_lshlrev_b32_e32 v31, 23, v31
	v_and_or_b32 v3, 0x8000, v3, v33
	v_lshl_or_b32 v31, v3, 16, v31
.LBB275_72:                             ;   in Loop: Header=BB275_10 Depth=1
	s_or_b32 exec_lo, exec_lo, s41
.LBB275_73:                             ;   in Loop: Header=BB275_10 Depth=1
	s_or_b32 exec_lo, exec_lo, s40
.LBB275_74:                             ;   in Loop: Header=BB275_10 Depth=1
	s_or_b32 exec_lo, exec_lo, s3
	global_load_ushort v34, v[9:10], off offset:256
	v_mov_b32_e32 v33, 0
	s_waitcnt vmcnt(0)
	v_and_b32_e32 v3, 0xffff, v34
	v_cmp_ne_u16_sdwa s2, v34, v4 src0_sel:BYTE_0 src1_sel:DWORD
	v_mov_b32_e32 v34, 0
	s_and_saveexec_b32 s3, s2
	s_cbranch_execz .LBB275_82
; %bb.75:                               ;   in Loop: Header=BB275_10 Depth=1
	v_cmp_ne_u16_sdwa s2, v3, v19 src0_sel:BYTE_0 src1_sel:DWORD
	v_mov_b32_e32 v34, 0x8000
	s_and_saveexec_b32 s40, s2
	s_cbranch_execz .LBB275_81
; %bb.76:                               ;   in Loop: Header=BB275_10 Depth=1
	v_and_b32_e32 v36, 0x7f, v3
	v_mov_b32_e32 v34, 0x7c01
	s_mov_b32 s41, exec_lo
	v_cmpx_ne_u32_e32 0x7f, v36
	s_cbranch_execz .LBB275_80
; %bb.77:                               ;   in Loop: Header=BB275_10 Depth=1
	v_and_b32_e32 v34, 7, v3
	v_lshrrev_b32_e32 v35, 3, v36
	s_mov_b32 s42, exec_lo
	v_cmpx_gt_u32_e32 8, v36
; %bb.78:                               ;   in Loop: Header=BB275_10 Depth=1
	v_ffbh_u32_e32 v34, v34
	v_min_u32_e32 v36, 32, v34
	v_subrev_nc_u32_e32 v34, 28, v36
	v_lshlrev_b64 v[34:35], v34, v[3:4]
	v_sub_nc_u32_e32 v35, 29, v36
	v_and_b32_e32 v34, 7, v34
; %bb.79:                               ;   in Loop: Header=BB275_10 Depth=1
	s_or_b32 exec_lo, exec_lo, s42
	v_lshlrev_b32_e32 v36, 8, v3
	v_lshl_add_u32 v35, v35, 10, 0x2000
	v_lshlrev_b32_e32 v34, 7, v34
	v_and_b32_e32 v36, 0x8000, v36
	v_and_b32_e32 v35, 0xfc00, v35
	v_or3_b32 v34, v36, v35, v34
.LBB275_80:                             ;   in Loop: Header=BB275_10 Depth=1
	s_or_b32 exec_lo, exec_lo, s41
.LBB275_81:                             ;   in Loop: Header=BB275_10 Depth=1
	s_or_b32 exec_lo, exec_lo, s40
.LBB275_82:                             ;   in Loop: Header=BB275_10 Depth=1
	s_or_b32 exec_lo, exec_lo, s3
	v_lshrrev_b16 v3, 8, v3
	s_mov_b32 s3, exec_lo
	v_cmpx_ne_u16_e32 0, v3
	s_cbranch_execz .LBB275_90
; %bb.83:                               ;   in Loop: Header=BB275_10 Depth=1
	v_bfrev_b32_e32 v33, 1
	s_mov_b32 s40, exec_lo
	v_cmpx_ne_u16_e32 0x80, v3
	s_cbranch_execz .LBB275_89
; %bb.84:                               ;   in Loop: Header=BB275_10 Depth=1
	v_and_b32_sdwa v36, v3, v20 dst_sel:DWORD dst_unused:UNUSED_PAD src0_sel:WORD_0 src1_sel:DWORD
	v_mov_b32_e32 v33, 0x7c010000
	s_mov_b32 s41, exec_lo
	v_cmpx_ne_u32_e32 0x7f, v36
	s_cbranch_execz .LBB275_88
; %bb.85:                               ;   in Loop: Header=BB275_10 Depth=1
	v_and_b32_sdwa v33, v3, v21 dst_sel:DWORD dst_unused:UNUSED_PAD src0_sel:WORD_0 src1_sel:DWORD
	v_lshrrev_b32_e32 v35, 3, v36
	s_mov_b32 s42, exec_lo
	v_cmpx_gt_u32_e32 8, v36
; %bb.86:                               ;   in Loop: Header=BB275_10 Depth=1
	v_ffbh_u32_e32 v33, v33
	v_min_u32_e32 v33, 32, v33
	v_subrev_nc_u32_e32 v35, 28, v33
	v_lshlrev_b64 v[36:37], v35, v[3:4]
	v_sub_nc_u32_e32 v35, 29, v33
	v_and_b32_e32 v33, 7, v36
; %bb.87:                               ;   in Loop: Header=BB275_10 Depth=1
	s_or_b32 exec_lo, exec_lo, s42
	v_lshlrev_b32_sdwa v3, v22, v3 dst_sel:DWORD dst_unused:UNUSED_PAD src0_sel:DWORD src1_sel:WORD_0
	v_lshl_add_u32 v35, v35, 10, 0x2000
	v_lshlrev_b32_e32 v33, 23, v33
	v_and_or_b32 v3, 0x8000, v3, v35
	v_lshl_or_b32 v33, v3, 16, v33
.LBB275_88:                             ;   in Loop: Header=BB275_10 Depth=1
	s_or_b32 exec_lo, exec_lo, s41
.LBB275_89:                             ;   in Loop: Header=BB275_10 Depth=1
	s_or_b32 exec_lo, exec_lo, s40
.LBB275_90:                             ;   in Loop: Header=BB275_10 Depth=1
	s_or_b32 exec_lo, exec_lo, s3
	global_load_ushort v36, v[9:10], off offset:264
	v_mov_b32_e32 v35, 0
	s_waitcnt vmcnt(0)
	v_and_b32_e32 v3, 0xffff, v36
	v_cmp_ne_u16_sdwa s2, v36, v4 src0_sel:BYTE_0 src1_sel:DWORD
	v_mov_b32_e32 v36, 0
	s_and_saveexec_b32 s3, s2
	s_cbranch_execz .LBB275_98
; %bb.91:                               ;   in Loop: Header=BB275_10 Depth=1
	v_cmp_ne_u16_sdwa s2, v3, v19 src0_sel:BYTE_0 src1_sel:DWORD
	v_mov_b32_e32 v36, 0x8000
	s_and_saveexec_b32 s40, s2
	s_cbranch_execz .LBB275_97
; %bb.92:                               ;   in Loop: Header=BB275_10 Depth=1
	v_and_b32_e32 v38, 0x7f, v3
	v_mov_b32_e32 v36, 0x7c01
	s_mov_b32 s41, exec_lo
	v_cmpx_ne_u32_e32 0x7f, v38
	s_cbranch_execz .LBB275_96
; %bb.93:                               ;   in Loop: Header=BB275_10 Depth=1
	v_and_b32_e32 v36, 7, v3
	v_lshrrev_b32_e32 v37, 3, v38
	s_mov_b32 s42, exec_lo
	v_cmpx_gt_u32_e32 8, v38
; %bb.94:                               ;   in Loop: Header=BB275_10 Depth=1
	v_ffbh_u32_e32 v36, v36
	v_min_u32_e32 v38, 32, v36
	v_subrev_nc_u32_e32 v36, 28, v38
	v_lshlrev_b64 v[36:37], v36, v[3:4]
	v_sub_nc_u32_e32 v37, 29, v38
	v_and_b32_e32 v36, 7, v36
; %bb.95:                               ;   in Loop: Header=BB275_10 Depth=1
	s_or_b32 exec_lo, exec_lo, s42
	v_lshlrev_b32_e32 v38, 8, v3
	v_lshl_add_u32 v37, v37, 10, 0x2000
	v_lshlrev_b32_e32 v36, 7, v36
	v_and_b32_e32 v38, 0x8000, v38
	v_and_b32_e32 v37, 0xfc00, v37
	v_or3_b32 v36, v38, v37, v36
.LBB275_96:                             ;   in Loop: Header=BB275_10 Depth=1
	s_or_b32 exec_lo, exec_lo, s41
.LBB275_97:                             ;   in Loop: Header=BB275_10 Depth=1
	s_or_b32 exec_lo, exec_lo, s40
.LBB275_98:                             ;   in Loop: Header=BB275_10 Depth=1
	s_or_b32 exec_lo, exec_lo, s3
	v_lshrrev_b16 v3, 8, v3
	s_mov_b32 s3, exec_lo
	v_cmpx_ne_u16_e32 0, v3
	s_cbranch_execz .LBB275_106
; %bb.99:                               ;   in Loop: Header=BB275_10 Depth=1
	v_bfrev_b32_e32 v35, 1
	s_mov_b32 s40, exec_lo
	v_cmpx_ne_u16_e32 0x80, v3
	s_cbranch_execz .LBB275_105
; %bb.100:                              ;   in Loop: Header=BB275_10 Depth=1
	v_and_b32_sdwa v38, v3, v20 dst_sel:DWORD dst_unused:UNUSED_PAD src0_sel:WORD_0 src1_sel:DWORD
	v_mov_b32_e32 v35, 0x7c010000
	s_mov_b32 s41, exec_lo
	v_cmpx_ne_u32_e32 0x7f, v38
	s_cbranch_execz .LBB275_104
; %bb.101:                              ;   in Loop: Header=BB275_10 Depth=1
	v_and_b32_sdwa v35, v3, v21 dst_sel:DWORD dst_unused:UNUSED_PAD src0_sel:WORD_0 src1_sel:DWORD
	v_lshrrev_b32_e32 v37, 3, v38
	s_mov_b32 s42, exec_lo
	v_cmpx_gt_u32_e32 8, v38
; %bb.102:                              ;   in Loop: Header=BB275_10 Depth=1
	v_ffbh_u32_e32 v35, v35
	v_min_u32_e32 v35, 32, v35
	v_subrev_nc_u32_e32 v37, 28, v35
	v_lshlrev_b64 v[38:39], v37, v[3:4]
	v_sub_nc_u32_e32 v37, 29, v35
	v_and_b32_e32 v35, 7, v38
; %bb.103:                              ;   in Loop: Header=BB275_10 Depth=1
	s_or_b32 exec_lo, exec_lo, s42
	v_lshlrev_b32_sdwa v3, v22, v3 dst_sel:DWORD dst_unused:UNUSED_PAD src0_sel:DWORD src1_sel:WORD_0
	v_lshl_add_u32 v37, v37, 10, 0x2000
	v_lshlrev_b32_e32 v35, 23, v35
	v_and_or_b32 v3, 0x8000, v3, v37
	v_lshl_or_b32 v35, v3, 16, v35
.LBB275_104:                            ;   in Loop: Header=BB275_10 Depth=1
	s_or_b32 exec_lo, exec_lo, s41
.LBB275_105:                            ;   in Loop: Header=BB275_10 Depth=1
	s_or_b32 exec_lo, exec_lo, s40
.LBB275_106:                            ;   in Loop: Header=BB275_10 Depth=1
	s_or_b32 exec_lo, exec_lo, s3
	global_load_ushort v38, v[9:10], off offset:384
	v_mov_b32_e32 v37, 0
	s_waitcnt vmcnt(0)
	v_and_b32_e32 v3, 0xffff, v38
	v_cmp_ne_u16_sdwa s2, v38, v4 src0_sel:BYTE_0 src1_sel:DWORD
	v_mov_b32_e32 v38, 0
	s_and_saveexec_b32 s3, s2
	s_cbranch_execz .LBB275_114
; %bb.107:                              ;   in Loop: Header=BB275_10 Depth=1
	v_cmp_ne_u16_sdwa s2, v3, v19 src0_sel:BYTE_0 src1_sel:DWORD
	v_mov_b32_e32 v38, 0x8000
	s_and_saveexec_b32 s40, s2
	s_cbranch_execz .LBB275_113
; %bb.108:                              ;   in Loop: Header=BB275_10 Depth=1
	v_and_b32_e32 v40, 0x7f, v3
	v_mov_b32_e32 v38, 0x7c01
	s_mov_b32 s41, exec_lo
	v_cmpx_ne_u32_e32 0x7f, v40
	s_cbranch_execz .LBB275_112
; %bb.109:                              ;   in Loop: Header=BB275_10 Depth=1
	v_and_b32_e32 v38, 7, v3
	v_lshrrev_b32_e32 v39, 3, v40
	s_mov_b32 s42, exec_lo
	v_cmpx_gt_u32_e32 8, v40
; %bb.110:                              ;   in Loop: Header=BB275_10 Depth=1
	v_ffbh_u32_e32 v38, v38
	v_min_u32_e32 v40, 32, v38
	v_subrev_nc_u32_e32 v38, 28, v40
	v_lshlrev_b64 v[38:39], v38, v[3:4]
	v_sub_nc_u32_e32 v39, 29, v40
	v_and_b32_e32 v38, 7, v38
; %bb.111:                              ;   in Loop: Header=BB275_10 Depth=1
	s_or_b32 exec_lo, exec_lo, s42
	v_lshlrev_b32_e32 v40, 8, v3
	v_lshl_add_u32 v39, v39, 10, 0x2000
	v_lshlrev_b32_e32 v38, 7, v38
	v_and_b32_e32 v40, 0x8000, v40
	v_and_b32_e32 v39, 0xfc00, v39
	v_or3_b32 v38, v40, v39, v38
.LBB275_112:                            ;   in Loop: Header=BB275_10 Depth=1
	s_or_b32 exec_lo, exec_lo, s41
.LBB275_113:                            ;   in Loop: Header=BB275_10 Depth=1
	s_or_b32 exec_lo, exec_lo, s40
.LBB275_114:                            ;   in Loop: Header=BB275_10 Depth=1
	s_or_b32 exec_lo, exec_lo, s3
	v_lshrrev_b16 v3, 8, v3
	s_mov_b32 s3, exec_lo
	v_cmpx_ne_u16_e32 0, v3
	s_cbranch_execz .LBB275_122
; %bb.115:                              ;   in Loop: Header=BB275_10 Depth=1
	v_bfrev_b32_e32 v37, 1
	s_mov_b32 s40, exec_lo
	v_cmpx_ne_u16_e32 0x80, v3
	s_cbranch_execz .LBB275_121
; %bb.116:                              ;   in Loop: Header=BB275_10 Depth=1
	v_and_b32_sdwa v40, v3, v20 dst_sel:DWORD dst_unused:UNUSED_PAD src0_sel:WORD_0 src1_sel:DWORD
	v_mov_b32_e32 v37, 0x7c010000
	s_mov_b32 s41, exec_lo
	v_cmpx_ne_u32_e32 0x7f, v40
	s_cbranch_execz .LBB275_120
; %bb.117:                              ;   in Loop: Header=BB275_10 Depth=1
	v_and_b32_sdwa v37, v3, v21 dst_sel:DWORD dst_unused:UNUSED_PAD src0_sel:WORD_0 src1_sel:DWORD
	v_lshrrev_b32_e32 v39, 3, v40
	s_mov_b32 s42, exec_lo
	v_cmpx_gt_u32_e32 8, v40
; %bb.118:                              ;   in Loop: Header=BB275_10 Depth=1
	v_ffbh_u32_e32 v37, v37
	v_min_u32_e32 v37, 32, v37
	v_subrev_nc_u32_e32 v39, 28, v37
	v_lshlrev_b64 v[40:41], v39, v[3:4]
	v_sub_nc_u32_e32 v39, 29, v37
	v_and_b32_e32 v37, 7, v40
; %bb.119:                              ;   in Loop: Header=BB275_10 Depth=1
	s_or_b32 exec_lo, exec_lo, s42
	v_lshlrev_b32_sdwa v3, v22, v3 dst_sel:DWORD dst_unused:UNUSED_PAD src0_sel:DWORD src1_sel:WORD_0
	v_lshl_add_u32 v39, v39, 10, 0x2000
	v_lshlrev_b32_e32 v37, 23, v37
	v_and_or_b32 v3, 0x8000, v3, v39
	v_lshl_or_b32 v37, v3, 16, v37
.LBB275_120:                            ;   in Loop: Header=BB275_10 Depth=1
	s_or_b32 exec_lo, exec_lo, s41
.LBB275_121:                            ;   in Loop: Header=BB275_10 Depth=1
	s_or_b32 exec_lo, exec_lo, s40
.LBB275_122:                            ;   in Loop: Header=BB275_10 Depth=1
	s_or_b32 exec_lo, exec_lo, s3
	global_load_ushort v40, v[9:10], off offset:392
	v_mov_b32_e32 v39, 0
	s_waitcnt vmcnt(0)
	v_and_b32_e32 v3, 0xffff, v40
	v_cmp_ne_u16_sdwa s2, v40, v4 src0_sel:BYTE_0 src1_sel:DWORD
	v_mov_b32_e32 v40, 0
	s_and_saveexec_b32 s3, s2
	s_cbranch_execz .LBB275_130
; %bb.123:                              ;   in Loop: Header=BB275_10 Depth=1
	v_cmp_ne_u16_sdwa s2, v3, v19 src0_sel:BYTE_0 src1_sel:DWORD
	v_mov_b32_e32 v40, 0x8000
	s_and_saveexec_b32 s40, s2
	s_cbranch_execz .LBB275_129
; %bb.124:                              ;   in Loop: Header=BB275_10 Depth=1
	v_and_b32_e32 v42, 0x7f, v3
	v_mov_b32_e32 v40, 0x7c01
	s_mov_b32 s41, exec_lo
	v_cmpx_ne_u32_e32 0x7f, v42
	s_cbranch_execz .LBB275_128
; %bb.125:                              ;   in Loop: Header=BB275_10 Depth=1
	v_and_b32_e32 v40, 7, v3
	v_lshrrev_b32_e32 v41, 3, v42
	s_mov_b32 s42, exec_lo
	v_cmpx_gt_u32_e32 8, v42
; %bb.126:                              ;   in Loop: Header=BB275_10 Depth=1
	v_ffbh_u32_e32 v40, v40
	v_min_u32_e32 v42, 32, v40
	v_subrev_nc_u32_e32 v40, 28, v42
	v_lshlrev_b64 v[40:41], v40, v[3:4]
	v_sub_nc_u32_e32 v41, 29, v42
	v_and_b32_e32 v40, 7, v40
; %bb.127:                              ;   in Loop: Header=BB275_10 Depth=1
	s_or_b32 exec_lo, exec_lo, s42
	v_lshlrev_b32_e32 v42, 8, v3
	v_lshl_add_u32 v41, v41, 10, 0x2000
	v_lshlrev_b32_e32 v40, 7, v40
	v_and_b32_e32 v42, 0x8000, v42
	v_and_b32_e32 v41, 0xfc00, v41
	v_or3_b32 v40, v42, v41, v40
.LBB275_128:                            ;   in Loop: Header=BB275_10 Depth=1
	s_or_b32 exec_lo, exec_lo, s41
.LBB275_129:                            ;   in Loop: Header=BB275_10 Depth=1
	s_or_b32 exec_lo, exec_lo, s40
.LBB275_130:                            ;   in Loop: Header=BB275_10 Depth=1
	s_or_b32 exec_lo, exec_lo, s3
	v_lshrrev_b16 v3, 8, v3
	s_mov_b32 s3, exec_lo
	v_cmpx_ne_u16_e32 0, v3
	s_cbranch_execz .LBB275_138
; %bb.131:                              ;   in Loop: Header=BB275_10 Depth=1
	v_bfrev_b32_e32 v39, 1
	s_mov_b32 s40, exec_lo
	v_cmpx_ne_u16_e32 0x80, v3
	s_cbranch_execz .LBB275_137
; %bb.132:                              ;   in Loop: Header=BB275_10 Depth=1
	v_and_b32_sdwa v42, v3, v20 dst_sel:DWORD dst_unused:UNUSED_PAD src0_sel:WORD_0 src1_sel:DWORD
	v_mov_b32_e32 v39, 0x7c010000
	s_mov_b32 s41, exec_lo
	v_cmpx_ne_u32_e32 0x7f, v42
	s_cbranch_execz .LBB275_136
; %bb.133:                              ;   in Loop: Header=BB275_10 Depth=1
	v_and_b32_sdwa v39, v3, v21 dst_sel:DWORD dst_unused:UNUSED_PAD src0_sel:WORD_0 src1_sel:DWORD
	v_lshrrev_b32_e32 v41, 3, v42
	s_mov_b32 s42, exec_lo
	v_cmpx_gt_u32_e32 8, v42
; %bb.134:                              ;   in Loop: Header=BB275_10 Depth=1
	v_ffbh_u32_e32 v39, v39
	v_min_u32_e32 v39, 32, v39
	v_subrev_nc_u32_e32 v41, 28, v39
	v_lshlrev_b64 v[42:43], v41, v[3:4]
	v_sub_nc_u32_e32 v41, 29, v39
	v_and_b32_e32 v39, 7, v42
; %bb.135:                              ;   in Loop: Header=BB275_10 Depth=1
	s_or_b32 exec_lo, exec_lo, s42
	v_lshlrev_b32_sdwa v3, v22, v3 dst_sel:DWORD dst_unused:UNUSED_PAD src0_sel:DWORD src1_sel:WORD_0
	v_lshl_add_u32 v41, v41, 10, 0x2000
	v_lshlrev_b32_e32 v39, 23, v39
	v_and_or_b32 v3, 0x8000, v3, v41
	v_lshl_or_b32 v39, v3, 16, v39
.LBB275_136:                            ;   in Loop: Header=BB275_10 Depth=1
	s_or_b32 exec_lo, exec_lo, s41
.LBB275_137:                            ;   in Loop: Header=BB275_10 Depth=1
	s_or_b32 exec_lo, exec_lo, s40
.LBB275_138:                            ;   in Loop: Header=BB275_10 Depth=1
	s_or_b32 exec_lo, exec_lo, s3
	global_load_ushort v42, v[9:10], off offset:512
	v_mov_b32_e32 v41, 0
	s_waitcnt vmcnt(0)
	v_and_b32_e32 v3, 0xffff, v42
	v_cmp_ne_u16_sdwa s2, v42, v4 src0_sel:BYTE_0 src1_sel:DWORD
	v_mov_b32_e32 v42, 0
	s_and_saveexec_b32 s3, s2
	s_cbranch_execz .LBB275_146
; %bb.139:                              ;   in Loop: Header=BB275_10 Depth=1
	v_cmp_ne_u16_sdwa s2, v3, v19 src0_sel:BYTE_0 src1_sel:DWORD
	v_mov_b32_e32 v42, 0x8000
	s_and_saveexec_b32 s40, s2
	s_cbranch_execz .LBB275_145
; %bb.140:                              ;   in Loop: Header=BB275_10 Depth=1
	v_and_b32_e32 v44, 0x7f, v3
	v_mov_b32_e32 v42, 0x7c01
	s_mov_b32 s41, exec_lo
	v_cmpx_ne_u32_e32 0x7f, v44
	s_cbranch_execz .LBB275_144
; %bb.141:                              ;   in Loop: Header=BB275_10 Depth=1
	v_and_b32_e32 v42, 7, v3
	v_lshrrev_b32_e32 v43, 3, v44
	s_mov_b32 s42, exec_lo
	v_cmpx_gt_u32_e32 8, v44
; %bb.142:                              ;   in Loop: Header=BB275_10 Depth=1
	v_ffbh_u32_e32 v42, v42
	v_min_u32_e32 v44, 32, v42
	v_subrev_nc_u32_e32 v42, 28, v44
	v_lshlrev_b64 v[42:43], v42, v[3:4]
	v_sub_nc_u32_e32 v43, 29, v44
	v_and_b32_e32 v42, 7, v42
; %bb.143:                              ;   in Loop: Header=BB275_10 Depth=1
	s_or_b32 exec_lo, exec_lo, s42
	v_lshlrev_b32_e32 v44, 8, v3
	v_lshl_add_u32 v43, v43, 10, 0x2000
	v_lshlrev_b32_e32 v42, 7, v42
	v_and_b32_e32 v44, 0x8000, v44
	v_and_b32_e32 v43, 0xfc00, v43
	v_or3_b32 v42, v44, v43, v42
.LBB275_144:                            ;   in Loop: Header=BB275_10 Depth=1
	s_or_b32 exec_lo, exec_lo, s41
.LBB275_145:                            ;   in Loop: Header=BB275_10 Depth=1
	s_or_b32 exec_lo, exec_lo, s40
.LBB275_146:                            ;   in Loop: Header=BB275_10 Depth=1
	s_or_b32 exec_lo, exec_lo, s3
	v_lshrrev_b16 v3, 8, v3
	s_mov_b32 s3, exec_lo
	v_cmpx_ne_u16_e32 0, v3
	s_cbranch_execz .LBB275_154
; %bb.147:                              ;   in Loop: Header=BB275_10 Depth=1
	v_bfrev_b32_e32 v41, 1
	s_mov_b32 s40, exec_lo
	v_cmpx_ne_u16_e32 0x80, v3
	s_cbranch_execz .LBB275_153
; %bb.148:                              ;   in Loop: Header=BB275_10 Depth=1
	v_and_b32_sdwa v44, v3, v20 dst_sel:DWORD dst_unused:UNUSED_PAD src0_sel:WORD_0 src1_sel:DWORD
	v_mov_b32_e32 v41, 0x7c010000
	s_mov_b32 s41, exec_lo
	v_cmpx_ne_u32_e32 0x7f, v44
	s_cbranch_execz .LBB275_152
; %bb.149:                              ;   in Loop: Header=BB275_10 Depth=1
	v_and_b32_sdwa v41, v3, v21 dst_sel:DWORD dst_unused:UNUSED_PAD src0_sel:WORD_0 src1_sel:DWORD
	v_lshrrev_b32_e32 v43, 3, v44
	s_mov_b32 s42, exec_lo
	v_cmpx_gt_u32_e32 8, v44
; %bb.150:                              ;   in Loop: Header=BB275_10 Depth=1
	v_ffbh_u32_e32 v41, v41
	v_min_u32_e32 v41, 32, v41
	v_subrev_nc_u32_e32 v43, 28, v41
	v_lshlrev_b64 v[44:45], v43, v[3:4]
	v_sub_nc_u32_e32 v43, 29, v41
	v_and_b32_e32 v41, 7, v44
; %bb.151:                              ;   in Loop: Header=BB275_10 Depth=1
	s_or_b32 exec_lo, exec_lo, s42
	v_lshlrev_b32_sdwa v3, v22, v3 dst_sel:DWORD dst_unused:UNUSED_PAD src0_sel:DWORD src1_sel:WORD_0
	v_lshl_add_u32 v43, v43, 10, 0x2000
	v_lshlrev_b32_e32 v41, 23, v41
	v_and_or_b32 v3, 0x8000, v3, v43
	v_lshl_or_b32 v41, v3, 16, v41
.LBB275_152:                            ;   in Loop: Header=BB275_10 Depth=1
	s_or_b32 exec_lo, exec_lo, s41
.LBB275_153:                            ;   in Loop: Header=BB275_10 Depth=1
	s_or_b32 exec_lo, exec_lo, s40
.LBB275_154:                            ;   in Loop: Header=BB275_10 Depth=1
	s_or_b32 exec_lo, exec_lo, s3
	global_load_ushort v44, v[9:10], off offset:520
	v_mov_b32_e32 v43, 0
	s_waitcnt vmcnt(0)
	v_and_b32_e32 v3, 0xffff, v44
	v_cmp_ne_u16_sdwa s2, v44, v4 src0_sel:BYTE_0 src1_sel:DWORD
	v_mov_b32_e32 v44, 0
	s_and_saveexec_b32 s3, s2
	s_cbranch_execz .LBB275_162
; %bb.155:                              ;   in Loop: Header=BB275_10 Depth=1
	v_cmp_ne_u16_sdwa s2, v3, v19 src0_sel:BYTE_0 src1_sel:DWORD
	v_mov_b32_e32 v44, 0x8000
	s_and_saveexec_b32 s40, s2
	s_cbranch_execz .LBB275_161
; %bb.156:                              ;   in Loop: Header=BB275_10 Depth=1
	v_and_b32_e32 v46, 0x7f, v3
	v_mov_b32_e32 v44, 0x7c01
	s_mov_b32 s41, exec_lo
	v_cmpx_ne_u32_e32 0x7f, v46
	s_cbranch_execz .LBB275_160
; %bb.157:                              ;   in Loop: Header=BB275_10 Depth=1
	v_and_b32_e32 v44, 7, v3
	v_lshrrev_b32_e32 v45, 3, v46
	s_mov_b32 s42, exec_lo
	v_cmpx_gt_u32_e32 8, v46
; %bb.158:                              ;   in Loop: Header=BB275_10 Depth=1
	v_ffbh_u32_e32 v44, v44
	v_min_u32_e32 v46, 32, v44
	v_subrev_nc_u32_e32 v44, 28, v46
	v_lshlrev_b64 v[44:45], v44, v[3:4]
	v_sub_nc_u32_e32 v45, 29, v46
	v_and_b32_e32 v44, 7, v44
; %bb.159:                              ;   in Loop: Header=BB275_10 Depth=1
	s_or_b32 exec_lo, exec_lo, s42
	v_lshlrev_b32_e32 v46, 8, v3
	v_lshl_add_u32 v45, v45, 10, 0x2000
	v_lshlrev_b32_e32 v44, 7, v44
	v_and_b32_e32 v46, 0x8000, v46
	v_and_b32_e32 v45, 0xfc00, v45
	v_or3_b32 v44, v46, v45, v44
.LBB275_160:                            ;   in Loop: Header=BB275_10 Depth=1
	s_or_b32 exec_lo, exec_lo, s41
.LBB275_161:                            ;   in Loop: Header=BB275_10 Depth=1
	s_or_b32 exec_lo, exec_lo, s40
.LBB275_162:                            ;   in Loop: Header=BB275_10 Depth=1
	s_or_b32 exec_lo, exec_lo, s3
	v_lshrrev_b16 v3, 8, v3
	s_mov_b32 s3, exec_lo
	v_cmpx_ne_u16_e32 0, v3
	s_cbranch_execz .LBB275_170
; %bb.163:                              ;   in Loop: Header=BB275_10 Depth=1
	v_bfrev_b32_e32 v43, 1
	s_mov_b32 s40, exec_lo
	v_cmpx_ne_u16_e32 0x80, v3
	s_cbranch_execz .LBB275_169
; %bb.164:                              ;   in Loop: Header=BB275_10 Depth=1
	v_and_b32_sdwa v46, v3, v20 dst_sel:DWORD dst_unused:UNUSED_PAD src0_sel:WORD_0 src1_sel:DWORD
	v_mov_b32_e32 v43, 0x7c010000
	s_mov_b32 s41, exec_lo
	v_cmpx_ne_u32_e32 0x7f, v46
	s_cbranch_execz .LBB275_168
; %bb.165:                              ;   in Loop: Header=BB275_10 Depth=1
	v_and_b32_sdwa v43, v3, v21 dst_sel:DWORD dst_unused:UNUSED_PAD src0_sel:WORD_0 src1_sel:DWORD
	v_lshrrev_b32_e32 v45, 3, v46
	s_mov_b32 s42, exec_lo
	v_cmpx_gt_u32_e32 8, v46
; %bb.166:                              ;   in Loop: Header=BB275_10 Depth=1
	v_ffbh_u32_e32 v43, v43
	v_min_u32_e32 v43, 32, v43
	v_subrev_nc_u32_e32 v45, 28, v43
	v_lshlrev_b64 v[46:47], v45, v[3:4]
	v_sub_nc_u32_e32 v45, 29, v43
	v_and_b32_e32 v43, 7, v46
; %bb.167:                              ;   in Loop: Header=BB275_10 Depth=1
	s_or_b32 exec_lo, exec_lo, s42
	v_lshlrev_b32_sdwa v3, v22, v3 dst_sel:DWORD dst_unused:UNUSED_PAD src0_sel:DWORD src1_sel:WORD_0
	v_lshl_add_u32 v45, v45, 10, 0x2000
	v_lshlrev_b32_e32 v43, 23, v43
	v_and_or_b32 v3, 0x8000, v3, v45
	v_lshl_or_b32 v43, v3, 16, v43
.LBB275_168:                            ;   in Loop: Header=BB275_10 Depth=1
	s_or_b32 exec_lo, exec_lo, s41
.LBB275_169:                            ;   in Loop: Header=BB275_10 Depth=1
	s_or_b32 exec_lo, exec_lo, s40
.LBB275_170:                            ;   in Loop: Header=BB275_10 Depth=1
	s_or_b32 exec_lo, exec_lo, s3
	global_load_ushort v46, v[9:10], off offset:640
	v_mov_b32_e32 v45, 0
	s_waitcnt vmcnt(0)
	v_and_b32_e32 v3, 0xffff, v46
	v_cmp_ne_u16_sdwa s2, v46, v4 src0_sel:BYTE_0 src1_sel:DWORD
	v_mov_b32_e32 v46, 0
	s_and_saveexec_b32 s3, s2
	s_cbranch_execz .LBB275_178
; %bb.171:                              ;   in Loop: Header=BB275_10 Depth=1
	v_cmp_ne_u16_sdwa s2, v3, v19 src0_sel:BYTE_0 src1_sel:DWORD
	v_mov_b32_e32 v46, 0x8000
	s_and_saveexec_b32 s40, s2
	s_cbranch_execz .LBB275_177
; %bb.172:                              ;   in Loop: Header=BB275_10 Depth=1
	v_and_b32_e32 v48, 0x7f, v3
	v_mov_b32_e32 v46, 0x7c01
	s_mov_b32 s41, exec_lo
	v_cmpx_ne_u32_e32 0x7f, v48
	s_cbranch_execz .LBB275_176
; %bb.173:                              ;   in Loop: Header=BB275_10 Depth=1
	v_and_b32_e32 v46, 7, v3
	v_lshrrev_b32_e32 v47, 3, v48
	s_mov_b32 s42, exec_lo
	v_cmpx_gt_u32_e32 8, v48
; %bb.174:                              ;   in Loop: Header=BB275_10 Depth=1
	v_ffbh_u32_e32 v46, v46
	v_min_u32_e32 v48, 32, v46
	v_subrev_nc_u32_e32 v46, 28, v48
	v_lshlrev_b64 v[46:47], v46, v[3:4]
	v_sub_nc_u32_e32 v47, 29, v48
	v_and_b32_e32 v46, 7, v46
; %bb.175:                              ;   in Loop: Header=BB275_10 Depth=1
	s_or_b32 exec_lo, exec_lo, s42
	v_lshlrev_b32_e32 v48, 8, v3
	v_lshl_add_u32 v47, v47, 10, 0x2000
	v_lshlrev_b32_e32 v46, 7, v46
	v_and_b32_e32 v48, 0x8000, v48
	v_and_b32_e32 v47, 0xfc00, v47
	v_or3_b32 v46, v48, v47, v46
.LBB275_176:                            ;   in Loop: Header=BB275_10 Depth=1
	s_or_b32 exec_lo, exec_lo, s41
.LBB275_177:                            ;   in Loop: Header=BB275_10 Depth=1
	s_or_b32 exec_lo, exec_lo, s40
.LBB275_178:                            ;   in Loop: Header=BB275_10 Depth=1
	s_or_b32 exec_lo, exec_lo, s3
	v_lshrrev_b16 v3, 8, v3
	s_mov_b32 s3, exec_lo
	v_cmpx_ne_u16_e32 0, v3
	s_cbranch_execz .LBB275_186
; %bb.179:                              ;   in Loop: Header=BB275_10 Depth=1
	v_bfrev_b32_e32 v45, 1
	s_mov_b32 s40, exec_lo
	v_cmpx_ne_u16_e32 0x80, v3
	s_cbranch_execz .LBB275_185
; %bb.180:                              ;   in Loop: Header=BB275_10 Depth=1
	v_and_b32_sdwa v48, v3, v20 dst_sel:DWORD dst_unused:UNUSED_PAD src0_sel:WORD_0 src1_sel:DWORD
	v_mov_b32_e32 v45, 0x7c010000
	s_mov_b32 s41, exec_lo
	v_cmpx_ne_u32_e32 0x7f, v48
	s_cbranch_execz .LBB275_184
; %bb.181:                              ;   in Loop: Header=BB275_10 Depth=1
	v_and_b32_sdwa v45, v3, v21 dst_sel:DWORD dst_unused:UNUSED_PAD src0_sel:WORD_0 src1_sel:DWORD
	v_lshrrev_b32_e32 v47, 3, v48
	s_mov_b32 s42, exec_lo
	v_cmpx_gt_u32_e32 8, v48
; %bb.182:                              ;   in Loop: Header=BB275_10 Depth=1
	v_ffbh_u32_e32 v45, v45
	v_min_u32_e32 v45, 32, v45
	v_subrev_nc_u32_e32 v47, 28, v45
	v_lshlrev_b64 v[48:49], v47, v[3:4]
	v_sub_nc_u32_e32 v47, 29, v45
	v_and_b32_e32 v45, 7, v48
; %bb.183:                              ;   in Loop: Header=BB275_10 Depth=1
	s_or_b32 exec_lo, exec_lo, s42
	v_lshlrev_b32_sdwa v3, v22, v3 dst_sel:DWORD dst_unused:UNUSED_PAD src0_sel:DWORD src1_sel:WORD_0
	v_lshl_add_u32 v47, v47, 10, 0x2000
	v_lshlrev_b32_e32 v45, 23, v45
	v_and_or_b32 v3, 0x8000, v3, v47
	v_lshl_or_b32 v45, v3, 16, v45
.LBB275_184:                            ;   in Loop: Header=BB275_10 Depth=1
	s_or_b32 exec_lo, exec_lo, s41
.LBB275_185:                            ;   in Loop: Header=BB275_10 Depth=1
	s_or_b32 exec_lo, exec_lo, s40
.LBB275_186:                            ;   in Loop: Header=BB275_10 Depth=1
	s_or_b32 exec_lo, exec_lo, s3
	global_load_ushort v48, v[9:10], off offset:648
	v_mov_b32_e32 v47, 0
	s_waitcnt vmcnt(0)
	v_and_b32_e32 v3, 0xffff, v48
	v_cmp_ne_u16_sdwa s2, v48, v4 src0_sel:BYTE_0 src1_sel:DWORD
	v_mov_b32_e32 v48, 0
	s_and_saveexec_b32 s3, s2
	s_cbranch_execz .LBB275_194
; %bb.187:                              ;   in Loop: Header=BB275_10 Depth=1
	v_cmp_ne_u16_sdwa s2, v3, v19 src0_sel:BYTE_0 src1_sel:DWORD
	v_mov_b32_e32 v48, 0x8000
	s_and_saveexec_b32 s40, s2
	s_cbranch_execz .LBB275_193
; %bb.188:                              ;   in Loop: Header=BB275_10 Depth=1
	v_and_b32_e32 v50, 0x7f, v3
	v_mov_b32_e32 v48, 0x7c01
	s_mov_b32 s41, exec_lo
	v_cmpx_ne_u32_e32 0x7f, v50
	s_cbranch_execz .LBB275_192
; %bb.189:                              ;   in Loop: Header=BB275_10 Depth=1
	v_and_b32_e32 v48, 7, v3
	v_lshrrev_b32_e32 v49, 3, v50
	s_mov_b32 s42, exec_lo
	v_cmpx_gt_u32_e32 8, v50
; %bb.190:                              ;   in Loop: Header=BB275_10 Depth=1
	v_ffbh_u32_e32 v48, v48
	v_min_u32_e32 v50, 32, v48
	v_subrev_nc_u32_e32 v48, 28, v50
	v_lshlrev_b64 v[48:49], v48, v[3:4]
	v_sub_nc_u32_e32 v49, 29, v50
	v_and_b32_e32 v48, 7, v48
; %bb.191:                              ;   in Loop: Header=BB275_10 Depth=1
	s_or_b32 exec_lo, exec_lo, s42
	v_lshlrev_b32_e32 v50, 8, v3
	v_lshl_add_u32 v49, v49, 10, 0x2000
	v_lshlrev_b32_e32 v48, 7, v48
	v_and_b32_e32 v50, 0x8000, v50
	v_and_b32_e32 v49, 0xfc00, v49
	v_or3_b32 v48, v50, v49, v48
.LBB275_192:                            ;   in Loop: Header=BB275_10 Depth=1
	s_or_b32 exec_lo, exec_lo, s41
.LBB275_193:                            ;   in Loop: Header=BB275_10 Depth=1
	s_or_b32 exec_lo, exec_lo, s40
.LBB275_194:                            ;   in Loop: Header=BB275_10 Depth=1
	s_or_b32 exec_lo, exec_lo, s3
	v_lshrrev_b16 v3, 8, v3
	s_mov_b32 s3, exec_lo
	v_cmpx_ne_u16_e32 0, v3
	s_cbranch_execz .LBB275_202
; %bb.195:                              ;   in Loop: Header=BB275_10 Depth=1
	v_bfrev_b32_e32 v47, 1
	s_mov_b32 s40, exec_lo
	v_cmpx_ne_u16_e32 0x80, v3
	s_cbranch_execz .LBB275_201
; %bb.196:                              ;   in Loop: Header=BB275_10 Depth=1
	v_and_b32_sdwa v50, v3, v20 dst_sel:DWORD dst_unused:UNUSED_PAD src0_sel:WORD_0 src1_sel:DWORD
	v_mov_b32_e32 v47, 0x7c010000
	s_mov_b32 s41, exec_lo
	v_cmpx_ne_u32_e32 0x7f, v50
	s_cbranch_execz .LBB275_200
; %bb.197:                              ;   in Loop: Header=BB275_10 Depth=1
	v_and_b32_sdwa v47, v3, v21 dst_sel:DWORD dst_unused:UNUSED_PAD src0_sel:WORD_0 src1_sel:DWORD
	v_lshrrev_b32_e32 v49, 3, v50
	s_mov_b32 s42, exec_lo
	v_cmpx_gt_u32_e32 8, v50
; %bb.198:                              ;   in Loop: Header=BB275_10 Depth=1
	v_ffbh_u32_e32 v47, v47
	v_min_u32_e32 v47, 32, v47
	v_subrev_nc_u32_e32 v49, 28, v47
	v_lshlrev_b64 v[50:51], v49, v[3:4]
	v_sub_nc_u32_e32 v49, 29, v47
	v_and_b32_e32 v47, 7, v50
; %bb.199:                              ;   in Loop: Header=BB275_10 Depth=1
	s_or_b32 exec_lo, exec_lo, s42
	v_lshlrev_b32_sdwa v3, v22, v3 dst_sel:DWORD dst_unused:UNUSED_PAD src0_sel:DWORD src1_sel:WORD_0
	v_lshl_add_u32 v49, v49, 10, 0x2000
	v_lshlrev_b32_e32 v47, 23, v47
	v_and_or_b32 v3, 0x8000, v3, v49
	v_lshl_or_b32 v47, v3, 16, v47
.LBB275_200:                            ;   in Loop: Header=BB275_10 Depth=1
	s_or_b32 exec_lo, exec_lo, s41
.LBB275_201:                            ;   in Loop: Header=BB275_10 Depth=1
	s_or_b32 exec_lo, exec_lo, s40
.LBB275_202:                            ;   in Loop: Header=BB275_10 Depth=1
	s_or_b32 exec_lo, exec_lo, s3
	global_load_ushort v50, v[9:10], off offset:768
	v_mov_b32_e32 v49, 0
	s_waitcnt vmcnt(0)
	v_and_b32_e32 v3, 0xffff, v50
	v_cmp_ne_u16_sdwa s2, v50, v4 src0_sel:BYTE_0 src1_sel:DWORD
	v_mov_b32_e32 v50, 0
	s_and_saveexec_b32 s3, s2
	s_cbranch_execz .LBB275_210
; %bb.203:                              ;   in Loop: Header=BB275_10 Depth=1
	v_cmp_ne_u16_sdwa s2, v3, v19 src0_sel:BYTE_0 src1_sel:DWORD
	v_mov_b32_e32 v50, 0x8000
	s_and_saveexec_b32 s40, s2
	s_cbranch_execz .LBB275_209
; %bb.204:                              ;   in Loop: Header=BB275_10 Depth=1
	v_and_b32_e32 v52, 0x7f, v3
	v_mov_b32_e32 v50, 0x7c01
	s_mov_b32 s41, exec_lo
	v_cmpx_ne_u32_e32 0x7f, v52
	s_cbranch_execz .LBB275_208
; %bb.205:                              ;   in Loop: Header=BB275_10 Depth=1
	v_and_b32_e32 v50, 7, v3
	v_lshrrev_b32_e32 v51, 3, v52
	s_mov_b32 s42, exec_lo
	v_cmpx_gt_u32_e32 8, v52
; %bb.206:                              ;   in Loop: Header=BB275_10 Depth=1
	v_ffbh_u32_e32 v50, v50
	v_min_u32_e32 v52, 32, v50
	v_subrev_nc_u32_e32 v50, 28, v52
	v_lshlrev_b64 v[50:51], v50, v[3:4]
	v_sub_nc_u32_e32 v51, 29, v52
	v_and_b32_e32 v50, 7, v50
; %bb.207:                              ;   in Loop: Header=BB275_10 Depth=1
	s_or_b32 exec_lo, exec_lo, s42
	v_lshlrev_b32_e32 v52, 8, v3
	v_lshl_add_u32 v51, v51, 10, 0x2000
	v_lshlrev_b32_e32 v50, 7, v50
	v_and_b32_e32 v52, 0x8000, v52
	v_and_b32_e32 v51, 0xfc00, v51
	v_or3_b32 v50, v52, v51, v50
.LBB275_208:                            ;   in Loop: Header=BB275_10 Depth=1
	s_or_b32 exec_lo, exec_lo, s41
.LBB275_209:                            ;   in Loop: Header=BB275_10 Depth=1
	s_or_b32 exec_lo, exec_lo, s40
.LBB275_210:                            ;   in Loop: Header=BB275_10 Depth=1
	s_or_b32 exec_lo, exec_lo, s3
	v_lshrrev_b16 v3, 8, v3
	s_mov_b32 s3, exec_lo
	v_cmpx_ne_u16_e32 0, v3
	s_cbranch_execz .LBB275_218
; %bb.211:                              ;   in Loop: Header=BB275_10 Depth=1
	v_bfrev_b32_e32 v49, 1
	s_mov_b32 s40, exec_lo
	v_cmpx_ne_u16_e32 0x80, v3
	s_cbranch_execz .LBB275_217
; %bb.212:                              ;   in Loop: Header=BB275_10 Depth=1
	v_and_b32_sdwa v52, v3, v20 dst_sel:DWORD dst_unused:UNUSED_PAD src0_sel:WORD_0 src1_sel:DWORD
	v_mov_b32_e32 v49, 0x7c010000
	s_mov_b32 s41, exec_lo
	v_cmpx_ne_u32_e32 0x7f, v52
	s_cbranch_execz .LBB275_216
; %bb.213:                              ;   in Loop: Header=BB275_10 Depth=1
	v_and_b32_sdwa v49, v3, v21 dst_sel:DWORD dst_unused:UNUSED_PAD src0_sel:WORD_0 src1_sel:DWORD
	v_lshrrev_b32_e32 v51, 3, v52
	s_mov_b32 s42, exec_lo
	v_cmpx_gt_u32_e32 8, v52
; %bb.214:                              ;   in Loop: Header=BB275_10 Depth=1
	v_ffbh_u32_e32 v49, v49
	v_min_u32_e32 v49, 32, v49
	v_subrev_nc_u32_e32 v51, 28, v49
	v_lshlrev_b64 v[52:53], v51, v[3:4]
	v_sub_nc_u32_e32 v51, 29, v49
	v_and_b32_e32 v49, 7, v52
; %bb.215:                              ;   in Loop: Header=BB275_10 Depth=1
	s_or_b32 exec_lo, exec_lo, s42
	v_lshlrev_b32_sdwa v3, v22, v3 dst_sel:DWORD dst_unused:UNUSED_PAD src0_sel:DWORD src1_sel:WORD_0
	v_lshl_add_u32 v51, v51, 10, 0x2000
	v_lshlrev_b32_e32 v49, 23, v49
	v_and_or_b32 v3, 0x8000, v3, v51
	v_lshl_or_b32 v49, v3, 16, v49
.LBB275_216:                            ;   in Loop: Header=BB275_10 Depth=1
	s_or_b32 exec_lo, exec_lo, s41
.LBB275_217:                            ;   in Loop: Header=BB275_10 Depth=1
	s_or_b32 exec_lo, exec_lo, s40
.LBB275_218:                            ;   in Loop: Header=BB275_10 Depth=1
	s_or_b32 exec_lo, exec_lo, s3
	global_load_ushort v52, v[9:10], off offset:776
	v_mov_b32_e32 v51, 0
	s_waitcnt vmcnt(0)
	v_and_b32_e32 v3, 0xffff, v52
	v_cmp_ne_u16_sdwa s2, v52, v4 src0_sel:BYTE_0 src1_sel:DWORD
	v_mov_b32_e32 v52, 0
	s_and_saveexec_b32 s3, s2
	s_cbranch_execz .LBB275_226
; %bb.219:                              ;   in Loop: Header=BB275_10 Depth=1
	v_cmp_ne_u16_sdwa s2, v3, v19 src0_sel:BYTE_0 src1_sel:DWORD
	v_mov_b32_e32 v52, 0x8000
	s_and_saveexec_b32 s40, s2
	s_cbranch_execz .LBB275_225
; %bb.220:                              ;   in Loop: Header=BB275_10 Depth=1
	v_and_b32_e32 v54, 0x7f, v3
	v_mov_b32_e32 v52, 0x7c01
	s_mov_b32 s41, exec_lo
	v_cmpx_ne_u32_e32 0x7f, v54
	s_cbranch_execz .LBB275_224
; %bb.221:                              ;   in Loop: Header=BB275_10 Depth=1
	v_and_b32_e32 v52, 7, v3
	v_lshrrev_b32_e32 v53, 3, v54
	s_mov_b32 s42, exec_lo
	v_cmpx_gt_u32_e32 8, v54
; %bb.222:                              ;   in Loop: Header=BB275_10 Depth=1
	v_ffbh_u32_e32 v52, v52
	v_min_u32_e32 v54, 32, v52
	v_subrev_nc_u32_e32 v52, 28, v54
	v_lshlrev_b64 v[52:53], v52, v[3:4]
	v_sub_nc_u32_e32 v53, 29, v54
	v_and_b32_e32 v52, 7, v52
; %bb.223:                              ;   in Loop: Header=BB275_10 Depth=1
	s_or_b32 exec_lo, exec_lo, s42
	v_lshlrev_b32_e32 v54, 8, v3
	v_lshl_add_u32 v53, v53, 10, 0x2000
	v_lshlrev_b32_e32 v52, 7, v52
	v_and_b32_e32 v54, 0x8000, v54
	v_and_b32_e32 v53, 0xfc00, v53
	v_or3_b32 v52, v54, v53, v52
.LBB275_224:                            ;   in Loop: Header=BB275_10 Depth=1
	s_or_b32 exec_lo, exec_lo, s41
.LBB275_225:                            ;   in Loop: Header=BB275_10 Depth=1
	s_or_b32 exec_lo, exec_lo, s40
.LBB275_226:                            ;   in Loop: Header=BB275_10 Depth=1
	s_or_b32 exec_lo, exec_lo, s3
	v_lshrrev_b16 v3, 8, v3
	s_mov_b32 s3, exec_lo
	v_cmpx_ne_u16_e32 0, v3
	s_cbranch_execz .LBB275_234
; %bb.227:                              ;   in Loop: Header=BB275_10 Depth=1
	v_bfrev_b32_e32 v51, 1
	s_mov_b32 s40, exec_lo
	v_cmpx_ne_u16_e32 0x80, v3
	s_cbranch_execz .LBB275_233
; %bb.228:                              ;   in Loop: Header=BB275_10 Depth=1
	v_and_b32_sdwa v54, v3, v20 dst_sel:DWORD dst_unused:UNUSED_PAD src0_sel:WORD_0 src1_sel:DWORD
	v_mov_b32_e32 v51, 0x7c010000
	s_mov_b32 s41, exec_lo
	v_cmpx_ne_u32_e32 0x7f, v54
	s_cbranch_execz .LBB275_232
; %bb.229:                              ;   in Loop: Header=BB275_10 Depth=1
	v_and_b32_sdwa v51, v3, v21 dst_sel:DWORD dst_unused:UNUSED_PAD src0_sel:WORD_0 src1_sel:DWORD
	v_lshrrev_b32_e32 v53, 3, v54
	s_mov_b32 s42, exec_lo
	v_cmpx_gt_u32_e32 8, v54
; %bb.230:                              ;   in Loop: Header=BB275_10 Depth=1
	v_ffbh_u32_e32 v51, v51
	v_min_u32_e32 v51, 32, v51
	v_subrev_nc_u32_e32 v53, 28, v51
	v_lshlrev_b64 v[54:55], v53, v[3:4]
	v_sub_nc_u32_e32 v53, 29, v51
	v_and_b32_e32 v51, 7, v54
; %bb.231:                              ;   in Loop: Header=BB275_10 Depth=1
	s_or_b32 exec_lo, exec_lo, s42
	v_lshlrev_b32_sdwa v3, v22, v3 dst_sel:DWORD dst_unused:UNUSED_PAD src0_sel:DWORD src1_sel:WORD_0
	v_lshl_add_u32 v53, v53, 10, 0x2000
	v_lshlrev_b32_e32 v51, 23, v51
	v_and_or_b32 v3, 0x8000, v3, v53
	v_lshl_or_b32 v51, v3, 16, v51
.LBB275_232:                            ;   in Loop: Header=BB275_10 Depth=1
	s_or_b32 exec_lo, exec_lo, s41
.LBB275_233:                            ;   in Loop: Header=BB275_10 Depth=1
	s_or_b32 exec_lo, exec_lo, s40
.LBB275_234:                            ;   in Loop: Header=BB275_10 Depth=1
	s_or_b32 exec_lo, exec_lo, s3
	global_load_ushort v10, v[9:10], off offset:896
	v_mov_b32_e32 v9, 0
	s_waitcnt vmcnt(0)
	v_and_b32_e32 v3, 0xffff, v10
	v_cmp_ne_u16_sdwa s2, v10, v4 src0_sel:BYTE_0 src1_sel:DWORD
	v_mov_b32_e32 v10, 0
	s_and_saveexec_b32 s3, s2
	s_cbranch_execz .LBB275_242
; %bb.235:                              ;   in Loop: Header=BB275_10 Depth=1
	v_cmp_ne_u16_sdwa s2, v3, v19 src0_sel:BYTE_0 src1_sel:DWORD
	v_mov_b32_e32 v10, 0x8000
	s_and_saveexec_b32 s40, s2
	s_cbranch_execz .LBB275_241
; %bb.236:                              ;   in Loop: Header=BB275_10 Depth=1
	v_and_b32_e32 v54, 0x7f, v3
	v_mov_b32_e32 v10, 0x7c01
	s_mov_b32 s41, exec_lo
	v_cmpx_ne_u32_e32 0x7f, v54
	s_cbranch_execz .LBB275_240
; %bb.237:                              ;   in Loop: Header=BB275_10 Depth=1
	v_and_b32_e32 v10, 7, v3
	v_lshrrev_b32_e32 v53, 3, v54
	s_mov_b32 s42, exec_lo
	v_cmpx_gt_u32_e32 8, v54
; %bb.238:                              ;   in Loop: Header=BB275_10 Depth=1
	v_ffbh_u32_e32 v10, v10
	v_min_u32_e32 v10, 32, v10
	v_subrev_nc_u32_e32 v53, 28, v10
	v_lshlrev_b64 v[54:55], v53, v[3:4]
	v_sub_nc_u32_e32 v53, 29, v10
	v_and_b32_e32 v10, 7, v54
; %bb.239:                              ;   in Loop: Header=BB275_10 Depth=1
	s_or_b32 exec_lo, exec_lo, s42
	v_lshlrev_b32_e32 v54, 8, v3
	v_lshl_add_u32 v53, v53, 10, 0x2000
	v_lshlrev_b32_e32 v10, 7, v10
	v_and_b32_e32 v54, 0x8000, v54
	v_and_b32_e32 v53, 0xfc00, v53
	v_or3_b32 v10, v54, v53, v10
.LBB275_240:                            ;   in Loop: Header=BB275_10 Depth=1
	s_or_b32 exec_lo, exec_lo, s41
.LBB275_241:                            ;   in Loop: Header=BB275_10 Depth=1
	s_or_b32 exec_lo, exec_lo, s40
.LBB275_242:                            ;   in Loop: Header=BB275_10 Depth=1
	s_or_b32 exec_lo, exec_lo, s3
	v_lshrrev_b16 v3, 8, v3
	s_mov_b32 s3, exec_lo
	v_cmpx_ne_u16_e32 0, v3
	s_cbranch_execz .LBB275_250
; %bb.243:                              ;   in Loop: Header=BB275_10 Depth=1
	v_bfrev_b32_e32 v9, 1
	s_mov_b32 s40, exec_lo
	v_cmpx_ne_u16_e32 0x80, v3
	s_cbranch_execz .LBB275_249
; %bb.244:                              ;   in Loop: Header=BB275_10 Depth=1
	v_and_b32_sdwa v54, v3, v20 dst_sel:DWORD dst_unused:UNUSED_PAD src0_sel:WORD_0 src1_sel:DWORD
	v_mov_b32_e32 v9, 0x7c010000
	s_mov_b32 s41, exec_lo
	v_cmpx_ne_u32_e32 0x7f, v54
	s_cbranch_execz .LBB275_248
; %bb.245:                              ;   in Loop: Header=BB275_10 Depth=1
	v_and_b32_sdwa v9, v3, v21 dst_sel:DWORD dst_unused:UNUSED_PAD src0_sel:WORD_0 src1_sel:DWORD
	v_lshrrev_b32_e32 v53, 3, v54
	s_mov_b32 s42, exec_lo
	v_cmpx_gt_u32_e32 8, v54
; %bb.246:                              ;   in Loop: Header=BB275_10 Depth=1
	v_ffbh_u32_e32 v9, v9
	v_min_u32_e32 v9, 32, v9
	v_subrev_nc_u32_e32 v53, 28, v9
	v_lshlrev_b64 v[54:55], v53, v[3:4]
	v_sub_nc_u32_e32 v53, 29, v9
	v_and_b32_e32 v9, 7, v54
; %bb.247:                              ;   in Loop: Header=BB275_10 Depth=1
	s_or_b32 exec_lo, exec_lo, s42
	v_lshlrev_b32_sdwa v3, v22, v3 dst_sel:DWORD dst_unused:UNUSED_PAD src0_sel:DWORD src1_sel:WORD_0
	v_lshl_add_u32 v53, v53, 10, 0x2000
	v_lshlrev_b32_e32 v9, 23, v9
	v_and_or_b32 v3, 0x8000, v3, v53
	v_lshl_or_b32 v9, v3, 16, v9
.LBB275_248:                            ;   in Loop: Header=BB275_10 Depth=1
	s_or_b32 exec_lo, exec_lo, s41
.LBB275_249:                            ;   in Loop: Header=BB275_10 Depth=1
	s_or_b32 exec_lo, exec_lo, s40
.LBB275_250:                            ;   in Loop: Header=BB275_10 Depth=1
	s_or_b32 exec_lo, exec_lo, s3
	ds_read_b32 v3, v16
	v_or_b32_e32 v25, v26, v25
	v_fma_mixlo_f16 v26, v24, v26, 0 op_sel:[0,1,0] op_sel_hi:[0,1,0]
	v_or_b32_e32 v28, v27, v28
	v_fma_mixlo_f16 v27, v24, v27, 0 op_sel:[0,1,0] op_sel_hi:[0,1,0]
	v_or_b32_e32 v30, v29, v30
	v_fma_mixlo_f16 v25, v24, v25, 0 op_sel_hi:[0,1,0]
	v_and_b32_e32 v56, 0xffff, v26
	v_fma_mixlo_f16 v28, v24, v28, 0 op_sel_hi:[0,1,0]
	v_and_b32_e32 v57, 0xffff, v27
	;; [unrolled: 2-line block ×3, first 2 shown]
	v_fma_mixlo_f16 v29, v24, v29, 0 op_sel:[0,1,0] op_sel_hi:[0,1,0]
	v_or_b32_e32 v32, v31, v32
	v_fma_mixlo_f16 v31, v24, v31, 0 op_sel:[0,1,0] op_sel_hi:[0,1,0]
	v_and_b32_e32 v58, 0xffff, v30
	v_or_b32_e32 v34, v33, v34
	v_and_b32_e32 v59, 0xffff, v29
	v_fma_mixlo_f16 v32, v24, v32, 0 op_sel_hi:[0,1,0]
	v_and_b32_e32 v61, 0xffff, v31
	s_waitcnt lgkmcnt(0)
	v_and_b32_e32 v53, 0xffff, v3
	v_lshrrev_b32_e32 v54, 16, v3
	;;#ASMSTART
	v_cvt_f32_f16 v3, v53;
	;;#ASMEND
	;;#ASMSTART
	v_cvt_f32_f16 v25, v54;
	;;#ASMEND
	;; [unrolled: 3-line block ×4, first 2 shown]
	ds_read_b32 v54, v16 offset:4
	v_and_b32_e32 v56, 0xffff, v28
	v_and_b32_e32 v60, 0xffff, v32
	v_fma_mixlo_f16 v34, v24, v34, 0 op_sel_hi:[0,1,0]
	v_fma_mixlo_f16 v33, v24, v33, 0 op_sel:[0,1,0] op_sel_hi:[0,1,0]
	v_or_b32_e32 v36, v35, v36
	v_fma_mixlo_f16 v35, v24, v35, 0 op_sel:[0,1,0] op_sel_hi:[0,1,0]
	v_or_b32_e32 v38, v37, v38
	v_and_b32_e32 v62, 0xffff, v34
	v_and_b32_e32 v63, 0xffff, v33
	v_fma_mixlo_f16 v36, v24, v36, 0 op_sel_hi:[0,1,0]
	v_and_b32_e32 v65, 0xffff, v35
	v_fma_mixlo_f16 v38, v24, v38, 0 op_sel_hi:[0,1,0]
	v_fma_mixlo_f16 v37, v24, v37, 0 op_sel:[0,1,0] op_sel_hi:[0,1,0]
	v_or_b32_e32 v40, v39, v40
	v_and_b32_e32 v64, 0xffff, v36
	v_fma_mixlo_f16 v39, v24, v39, 0 op_sel:[0,1,0] op_sel_hi:[0,1,0]
	v_and_b32_e32 v66, 0xffff, v38
	v_and_b32_e32 v67, 0xffff, v37
	v_fma_mixlo_f16 v40, v24, v40, 0 op_sel_hi:[0,1,0]
	s_waitcnt lgkmcnt(0)
	v_and_b32_e32 v55, 0xffff, v54
	v_lshrrev_b32_e32 v54, 16, v54
	;;#ASMSTART
	v_cvt_f32_f16 v27, v55;
	;;#ASMEND
	;;#ASMSTART
	v_cvt_f32_f16 v28, v54;
	;;#ASMEND
	;; [unrolled: 3-line block ×4, first 2 shown]
	ds_read_b32 v56, v16 offset:8
	v_and_b32_e32 v68, 0xffff, v40
	v_and_b32_e32 v69, 0xffff, v39
	v_or_b32_e32 v42, v41, v42
	v_fma_mixlo_f16 v41, v24, v41, 0 op_sel:[0,1,0] op_sel_hi:[0,1,0]
	v_or_b32_e32 v44, v43, v44
	v_fma_mixlo_f16 v43, v24, v43, 0 op_sel:[0,1,0] op_sel_hi:[0,1,0]
	v_or_b32_e32 v46, v45, v46
	v_fma_mixlo_f16 v42, v24, v42, 0 op_sel_hi:[0,1,0]
	v_and_b32_e32 v71, 0xffff, v41
	v_fma_mixlo_f16 v44, v24, v44, 0 op_sel_hi:[0,1,0]
	v_and_b32_e32 v73, 0xffff, v43
	;; [unrolled: 2-line block ×3, first 2 shown]
	v_fma_mixlo_f16 v45, v24, v45, 0 op_sel:[0,1,0] op_sel_hi:[0,1,0]
	v_and_b32_e32 v72, 0xffff, v44
	v_or_b32_e32 v48, v47, v48
	v_and_b32_e32 v74, 0xffff, v46
	v_mul_f32_e32 v27, v27, v54
	v_and_b32_e32 v75, 0xffff, v45
	s_waitcnt lgkmcnt(0)
	v_and_b32_e32 v57, 0xffff, v56
	v_lshrrev_b32_e32 v56, 16, v56
	;;#ASMSTART
	v_cvt_f32_f16 v29, v57;
	;;#ASMEND
	;;#ASMSTART
	v_cvt_f32_f16 v30, v56;
	;;#ASMEND
	;; [unrolled: 3-line block ×4, first 2 shown]
	ds_read_b32 v58, v16 offset:12
	v_mul_f32_e32 v28, v28, v55
	v_fma_mixlo_f16 v48, v24, v48, 0 op_sel_hi:[0,1,0]
	v_fma_mixlo_f16 v47, v24, v47, 0 op_sel:[0,1,0] op_sel_hi:[0,1,0]
	v_fmac_f32_e32 v27, v3, v26
	v_or_b32_e32 v50, v49, v50
	v_fmac_f32_e32 v28, v25, v53
	v_and_b32_e32 v76, 0xffff, v48
	v_and_b32_e32 v77, 0xffff, v47
	v_fmac_f32_e32 v27, v29, v56
	v_fma_mixlo_f16 v3, v24, v50, 0 op_sel_hi:[0,1,0]
	v_fmac_f32_e32 v28, v30, v57
	v_fma_mixlo_f16 v49, v24, v49, 0 op_sel:[0,1,0] op_sel_hi:[0,1,0]
	v_or_b32_e32 v10, v9, v10
	v_fma_mixlo_f16 v9, v24, v9, 0 op_sel:[0,1,0] op_sel_hi:[0,1,0]
	v_and_b32_e32 v29, 0xffff, v3
	v_and_b32_e32 v49, 0xffff, v49
	v_fma_mixlo_f16 v10, v24, v10, 0 op_sel_hi:[0,1,0]
	s_waitcnt lgkmcnt(0)
	v_and_b32_e32 v59, 0xffff, v58
	v_lshrrev_b32_e32 v58, 16, v58
	;;#ASMSTART
	v_cvt_f32_f16 v31, v59;
	;;#ASMEND
	;;#ASMSTART
	v_cvt_f32_f16 v32, v58;
	;;#ASMEND
	;; [unrolled: 3-line block ×4, first 2 shown]
	ds_read_b32 v60, v16 offset:16
	v_fmac_f32_e32 v27, v31, v58
	v_fmac_f32_e32 v28, v32, v59
	v_or_b32_e32 v31, v51, v52
	v_fma_mixlo_f16 v32, v24, v51, 0 op_sel:[0,1,0] op_sel_hi:[0,1,0]
	v_fma_mixlo_f16 v31, v24, v31, 0 op_sel_hi:[0,1,0]
	s_waitcnt lgkmcnt(0)
	v_and_b32_e32 v61, 0xffff, v60
	v_lshrrev_b32_e32 v60, 16, v60
	;;#ASMSTART
	v_cvt_f32_f16 v33, v61;
	;;#ASMEND
	;;#ASMSTART
	v_cvt_f32_f16 v34, v60;
	;;#ASMEND
	;; [unrolled: 3-line block ×4, first 2 shown]
	ds_read_b32 v62, v16 offset:20
	v_fmac_f32_e32 v27, v33, v60
	v_fmac_f32_e32 v28, v34, v61
	v_and_b32_e32 v33, 0xffff, v32
	s_waitcnt lgkmcnt(0)
	v_and_b32_e32 v63, 0xffff, v62
	v_lshrrev_b32_e32 v62, 16, v62
	;;#ASMSTART
	v_cvt_f32_f16 v35, v63;
	;;#ASMEND
	;;#ASMSTART
	v_cvt_f32_f16 v36, v62;
	;;#ASMEND
	;; [unrolled: 3-line block ×4, first 2 shown]
	ds_read_b32 v64, v16 offset:24
	v_fmac_f32_e32 v27, v35, v62
	v_fmac_f32_e32 v28, v36, v63
	v_and_b32_e32 v35, 0xffff, v31
	v_and_b32_e32 v36, 0xffff, v9
	s_waitcnt lgkmcnt(0)
	v_and_b32_e32 v65, 0xffff, v64
	v_lshrrev_b32_e32 v64, 16, v64
	;;#ASMSTART
	v_cvt_f32_f16 v37, v65;
	;;#ASMEND
	;;#ASMSTART
	v_cvt_f32_f16 v38, v64;
	;;#ASMEND
	;;#ASMSTART
	v_cvt_f32_f16 v64, v66;
	;;#ASMEND
	;;#ASMSTART
	v_cvt_f32_f16 v65, v67;
	;;#ASMEND
	ds_read_b32 v66, v16 offset:28
	v_fmac_f32_e32 v27, v37, v64
	v_fmac_f32_e32 v28, v38, v65
	s_waitcnt lgkmcnt(0)
	v_and_b32_e32 v67, 0xffff, v66
	v_lshrrev_b32_e32 v66, 16, v66
	;;#ASMSTART
	v_cvt_f32_f16 v39, v67;
	;;#ASMEND
	;;#ASMSTART
	v_cvt_f32_f16 v40, v66;
	;;#ASMEND
	;;#ASMSTART
	v_cvt_f32_f16 v66, v68;
	;;#ASMEND
	;;#ASMSTART
	v_cvt_f32_f16 v67, v69;
	;;#ASMEND
	ds_read_b32 v68, v16 offset:32
	v_fmac_f32_e32 v27, v39, v66
	v_fmac_f32_e32 v28, v40, v67
	;; [unrolled: 18-line block ×7, first 2 shown]
	v_and_b32_e32 v25, 0xffff, v10
	s_waitcnt lgkmcnt(0)
	v_and_b32_e32 v32, 0xffff, v30
	v_lshrrev_b32_e32 v34, 16, v30
	;;#ASMSTART
	v_cvt_f32_f16 v30, v32;
	;;#ASMEND
	;;#ASMSTART
	v_cvt_f32_f16 v31, v34;
	;;#ASMEND
	;; [unrolled: 3-line block ×4, first 2 shown]
	ds_read_b32 v34, v16 offset:56
	v_xor_b32_e32 v35, 2, v15
	v_fmac_f32_e32 v27, v30, v32
	v_fmac_f32_e32 v28, v31, v33
	v_cmp_gt_i32_e64 s2, 32, v35
	v_cndmask_b32_e64 v9, v15, v35, s2
	s_waitcnt lgkmcnt(0)
	v_and_b32_e32 v3, 0xffff, v34
	v_lshrrev_b32_e32 v24, 16, v34
	;;#ASMSTART
	v_cvt_f32_f16 v3, v3;
	;;#ASMEND
	;;#ASMSTART
	v_cvt_f32_f16 v10, v24;
	;;#ASMEND
	;;#ASMSTART
	v_cvt_f32_f16 v24, v25;
	;;#ASMEND
	;;#ASMSTART
	v_cvt_f32_f16 v25, v36;
	;;#ASMEND
	v_fmac_f32_e32 v27, v3, v24
	v_fmac_f32_e32 v28, v10, v25
	v_lshlrev_b32_e32 v3, 2, v9
	v_xor_b32_e32 v10, 1, v15
	v_add_f32_e32 v9, v27, v28
	v_cmp_gt_i32_e64 s2, 32, v10
	ds_bpermute_b32 v3, v3, v9
	v_cndmask_b32_e64 v10, v15, v10, s2
	s_waitcnt lgkmcnt(0)
	v_add_f32_e32 v3, v9, v3
	v_lshlrev_b32_e32 v9, 2, v10
	ds_bpermute_b32 v9, v9, v3
	s_and_saveexec_b32 s3, vcc_lo
	s_cbranch_execz .LBB275_9
; %bb.251:                              ;   in Loop: Header=BB275_10 Depth=1
	v_add_nc_u32_e32 v10, s4, v17
	s_waitcnt lgkmcnt(0)
	v_add_f32_e32 v3, v3, v9
	v_cmp_gt_i32_e64 s2, s27, v17
	v_cvt_f32_i32_e32 v10, v10
	v_mul_f32_e32 v10, s36, v10
	v_cndmask_b32_e64 v9, 0, v10, s1
	v_max_f32_e32 v10, v13, v13
	v_fmac_f32_e32 v9, s37, v3
	v_max_f32_e32 v3, v10, v9
	v_cndmask_b32_e64 v9, 0, v9, s2
	v_cndmask_b32_e64 v13, v13, v3, s2
	ds_write_b32 v18, v9
	s_branch .LBB275_9
.LBB275_252:
	s_or_b32 exec_lo, exec_lo, s5
.LBB275_253:
	s_or_b32 exec_lo, exec_lo, s38
	v_xor_b32_e32 v3, 16, v15
	v_xor_b32_e32 v6, 8, v15
	v_max_f32_e32 v7, v13, v13
	v_xor_b32_e32 v8, 4, v15
	v_cmp_lt_i32_e32 vcc_lo, v3, v14
	v_cndmask_b32_e32 v3, v15, v3, vcc_lo
	v_cmp_lt_i32_e32 vcc_lo, v6, v14
	v_lshlrev_b32_e32 v5, 2, v3
	v_cndmask_b32_e32 v6, v15, v6, vcc_lo
	v_cmp_lt_i32_e32 vcc_lo, v8, v14
	ds_bpermute_b32 v3, v5, v13
	v_lshlrev_b32_e32 v6, 2, v6
	v_cndmask_b32_e32 v8, v15, v8, vcc_lo
	v_and_b32_e32 v13, 31, v0
	s_waitcnt lgkmcnt(0)
	v_lshlrev_b32_e32 v9, 2, v8
	v_cmp_eq_u32_e32 vcc_lo, 0, v13
	v_max_f32_e32 v3, v3, v3
	v_max_f32_e32 v3, v7, v3
	ds_bpermute_b32 v7, v6, v3
	s_waitcnt lgkmcnt(0)
	v_max_f32_e32 v7, v7, v7
	v_max_f32_e32 v3, v3, v7
	v_lshlrev_b32_e32 v7, 2, v12
	ds_bpermute_b32 v8, v9, v3
	s_and_saveexec_b32 s1, vcc_lo
	s_cbranch_execz .LBB275_255
; %bb.254:
	s_waitcnt lgkmcnt(0)
	v_max_f32_e32 v8, v8, v8
	v_max_f32_e32 v3, v3, v3
	v_max_f32_e32 v3, v3, v8
	ds_write_b32 v7, v3 offset:240
.LBB275_255:
	s_or_b32 exec_lo, exec_lo, s1
	v_cmp_gt_u32_e64 s1, 4, v13
	v_mov_b32_e32 v3, 0xff7fffff
	s_waitcnt lgkmcnt(0)
	v_lshlrev_b32_e32 v8, 2, v13
	s_barrier
	buffer_gl0_inv
	s_and_saveexec_b32 s2, s1
; %bb.256:
	ds_read_b32 v3, v8 offset:240
; %bb.257:
	s_or_b32 exec_lo, exec_lo, s2
	v_xor_b32_e32 v10, 2, v15
	v_xor_b32_e32 v17, 1, v15
	v_lshlrev_b32_e32 v4, 2, v4
	v_cmp_lt_i32_e64 s2, v10, v14
	v_cndmask_b32_e64 v10, v15, v10, s2
	v_cmp_lt_i32_e64 s2, v17, v14
	v_lshlrev_b32_e32 v10, 2, v10
	v_cndmask_b32_e64 v14, v15, v17, s2
	s_sub_i32 s2, s16, s19
	s_lshl_b32 s2, s2, 3
	s_waitcnt lgkmcnt(0)
	ds_bpermute_b32 v16, v10, v3
	v_max_f32_e32 v3, v3, v3
	s_add_i32 s2, s2, s33
	s_min_i32 s2, s2, s27
	s_sub_i32 s4, s2, s33
	v_cmp_gt_i32_e64 s2, s4, v0
	s_waitcnt lgkmcnt(0)
	v_max_f32_e32 v17, v16, v16
	v_lshlrev_b32_e32 v16, 2, v14
	v_max_f32_e32 v3, v3, v17
	ds_bpermute_b32 v14, v16, v3
	s_waitcnt lgkmcnt(0)
	v_max_f32_e32 v14, v14, v14
	v_max_f32_e32 v3, v3, v14
	v_lshl_add_u32 v14, v0, 2, 0x110
	ds_bpermute_b32 v3, v4, v3
	v_mov_b32_e32 v4, 0
	s_and_saveexec_b32 s5, s2
	s_cbranch_execz .LBB275_261
; %bb.258:
	v_lshl_add_u32 v17, v0, 2, 0x110
	v_mov_b32_e32 v4, 0
	v_mov_b32_e32 v18, v0
	s_mov_b32 s12, 0
	.p2align	6
.LBB275_259:                            ; =>This Inner Loop Header: Depth=1
	ds_read_b32 v19, v17
	v_add_nc_u32_e32 v18, 0x80, v18
	v_cmp_le_i32_e64 s3, s4, v18
	s_or_b32 s12, s3, s12
	s_waitcnt lgkmcnt(0)
	v_sub_f32_e32 v19, v19, v3
	v_mul_f32_e32 v19, 0x3fb8aa3b, v19
	v_exp_f32_e32 v19, v19
	ds_write_b32 v17, v19
	v_add_f32_e32 v4, v4, v19
	v_add_nc_u32_e32 v17, 0x200, v17
	s_andn2_b32 exec_lo, exec_lo, s12
	s_cbranch_execnz .LBB275_259
; %bb.260:
	s_or_b32 exec_lo, exec_lo, s12
.LBB275_261:
	s_or_b32 exec_lo, exec_lo, s5
	ds_bpermute_b32 v5, v5, v4
	s_waitcnt lgkmcnt(0)
	v_add_f32_e32 v4, v4, v5
	ds_bpermute_b32 v5, v6, v4
	s_waitcnt lgkmcnt(0)
	v_add_f32_e32 v4, v4, v5
	;; [unrolled: 3-line block ×5, first 2 shown]
	s_and_saveexec_b32 s3, vcc_lo
; %bb.262:
	ds_write_b32 v7, v4 offset:256
; %bb.263:
	s_or_b32 exec_lo, exec_lo, s3
	s_waitcnt lgkmcnt(0)
	s_barrier
	buffer_gl0_inv
	s_and_saveexec_b32 s3, s1
; %bb.264:
	ds_read_b32 v4, v8 offset:256
; %bb.265:
	s_or_b32 exec_lo, exec_lo, s3
	s_waitcnt lgkmcnt(0)
	ds_bpermute_b32 v5, v10, v4
	v_lshlrev_b32_e32 v6, 2, v15
	s_waitcnt lgkmcnt(0)
	v_add_f32_e32 v4, v4, v5
	ds_bpermute_b32 v5, v16, v4
	s_waitcnt lgkmcnt(0)
	v_add_f32_e32 v4, v4, v5
	v_and_b32_e32 v5, 0xffffff80, v6
	ds_bpermute_b32 v4, v5, v4
	s_and_saveexec_b32 s1, s2
	s_cbranch_execz .LBB275_268
; %bb.266:
	s_waitcnt lgkmcnt(0)
	v_add_f32_e32 v6, 0x358637bd, v4
	s_mov_b32 s2, 0
	v_div_scale_f32 v5, null, v6, v6, 1.0
	v_div_scale_f32 v9, vcc_lo, 1.0, v6, 1.0
	v_rcp_f32_e32 v7, v5
	v_fma_f32 v8, -v5, v7, 1.0
	v_fmac_f32_e32 v7, v8, v7
	v_mul_f32_e32 v8, v9, v7
	v_fma_f32 v10, -v5, v8, v9
	v_fmac_f32_e32 v8, v10, v7
	v_fma_f32 v5, -v5, v8, v9
	v_div_fmas_f32 v7, v5, v7, v8
	v_mov_b32_e32 v5, v14
	v_div_fixup_f32 v6, v7, v6, 1.0
	v_mov_b32_e32 v7, v0
.LBB275_267:                            ; =>This Inner Loop Header: Depth=1
	ds_read_b32 v8, v5
	v_add_nc_u32_e32 v7, 0x80, v7
	v_cmp_le_i32_e32 vcc_lo, s4, v7
	s_or_b32 s2, vcc_lo, s2
	s_waitcnt lgkmcnt(0)
	v_mul_f32_e32 v8, v6, v8
	ds_write_b32 v5, v8
	v_add_nc_u32_e32 v5, 0x200, v5
	s_andn2_b32 exec_lo, exec_lo, s2
	s_cbranch_execnz .LBB275_267
.LBB275_268:
	s_or_b32 exec_lo, exec_lo, s1
	s_mul_i32 s1, s11, s26
	s_waitcnt lgkmcnt(0)
	s_mul_i32 s2, s1, s9
	s_mov_b32 s1, exec_lo
	s_barrier
	buffer_gl0_inv
	v_cmpx_eq_u32_e32 0, v0
	s_cbranch_execz .LBB275_270
; %bb.269:
	s_ashr_i32 s3, s2, 31
	s_mul_i32 s12, s11, s6
	s_lshl_b64 s[4:5], s[2:3], 2
	v_mov_b32_e32 v5, 0
	s_add_u32 s3, s22, s4
	s_addc_u32 s6, s23, s5
	s_ashr_i32 s13, s12, 31
	s_lshl_b64 s[12:13], s[12:13], 2
	s_add_u32 s3, s3, s12
	s_addc_u32 s6, s6, s13
	s_ashr_i32 s9, s8, 31
	s_lshl_b64 s[22:23], s[8:9], 2
	s_add_u32 s36, s3, s22
	s_addc_u32 s37, s6, s23
	s_add_u32 s3, s20, s4
	s_addc_u32 s4, s21, s5
	;; [unrolled: 2-line block ×4, first 2 shown]
	global_store_dword v5, v3, s[36:37]
	global_store_dword v5, v4, s[4:5]
.LBB275_270:
	s_or_b32 exec_lo, exec_lo, s1
	v_mov_b32_e32 v18, 0
	v_mov_b32_e32 v17, 0
	;; [unrolled: 1-line block ×4, first 2 shown]
	s_and_saveexec_b32 s3, s0
	s_cbranch_execz .LBB275_540
; %bb.271:
	v_or_b32_e32 v4, 0x60, v13
	s_ashr_i32 s0, s18, 31
	s_add_u32 s4, s34, s18
	s_addc_u32 s5, s35, s0
	s_lshl_b64 s[0:1], s[30:31], 2
	v_cmp_gt_u32_e32 vcc_lo, 0x78, v4
	v_lshlrev_b32_e32 v20, 3, v4
	v_lshlrev_b64 v[4:5], 2, v[1:2]
	s_add_i32 s12, s7, -1
	s_add_u32 s0, s28, s0
	s_addc_u32 s1, s29, s1
	v_lshlrev_b32_e32 v19, 3, v13
	v_mov_b32_e32 v3, 0
	v_add_co_u32 v4, s0, s0, v4
	v_add3_u32 v21, s33, v11, 7
	v_lshl_add_u32 v22, v12, 5, 0x110
	v_add_co_ci_u32_e64 v5, null, s1, v5, s0
	v_mov_b32_e32 v23, 0x80
	v_mov_b32_e32 v24, 0x7f
	;; [unrolled: 1-line block ×8, first 2 shown]
	s_mov_b32 s6, -1
	s_mov_b32 s9, s17
	s_mov_b32 s7, 0xffffff
	;; [unrolled: 1-line block ×3, first 2 shown]
	s_branch .LBB275_274
.LBB275_272:                            ;   in Loop: Header=BB275_274 Depth=1
	s_or_b32 exec_lo, exec_lo, s1
	;;#ASMSTART
	v_pk_mul_f16 v2, v33, v41;

	;;#ASMEND
	;;#ASMSTART
	v_pk_mul_f16 v6, v32, v40;

	;;#ASMEND
	;; [unrolled: 4-line block ×4, first 2 shown]
	;;#ASMSTART
	v_pk_add_f16 v2, v2, v6;

	;;#ASMEND
	;;#ASMSTART
	v_pk_add_f16 v2, v2, v7;

	;;#ASMEND
	;; [unrolled: 4-line block ×3, first 2 shown]
	v_and_b32_e32 v6, 0xffff, v2
	v_lshrrev_b32_e32 v7, 16, v2
	;;#ASMSTART
	v_cvt_f32_f16 v2, v6;
	;;#ASMEND
	;;#ASMSTART
	v_cvt_f32_f16 v6, v7;
	;;#ASMEND
	v_add_f32_e32 v2, v2, v6
	v_add_f32_e32 v15, v15, v2
.LBB275_273:                            ;   in Loop: Header=BB275_274 Depth=1
	s_or_b32 exec_lo, exec_lo, s17
	v_add_nc_u32_e32 v1, 4, v1
	v_add_f32_e32 v2, v8, v9
	v_add_f32_e32 v6, v10, v11
	;; [unrolled: 1-line block ×3, first 2 shown]
	v_add_co_u32 v4, s1, v4, 16
	v_cmp_le_i32_e64 s0, s16, v1
	v_add_f32_e32 v16, v16, v2
	v_add_f32_e32 v17, v17, v6
	;; [unrolled: 1-line block ×3, first 2 shown]
	v_add_nc_u32_e32 v21, 32, v21
	v_add_nc_u32_e32 v22, 0x80, v22
	v_add_co_ci_u32_e64 v5, null, 0, v5, s1
	s_or_b32 s13, s0, s13
	s_andn2_b32 exec_lo, exec_lo, s13
	s_cbranch_execz .LBB275_539
.LBB275_274:                            ; =>This Inner Loop Header: Depth=1
	global_load_dword v2, v[4:5], off
	ds_read2_b64 v[8:11], v22 offset1:1
	ds_read2_b64 v[33:36], v22 offset0:2 offset1:3
	v_mov_b32_e32 v37, 0
	s_waitcnt lgkmcnt(1)
	;;#ASMSTART
	v_cvt_f16_f32 v31, v8;

	;;#ASMEND
	;;#ASMSTART
	v_cvt_f16_f32 v28, v9;

	;;#ASMEND
	;; [unrolled: 4-line block ×4, first 2 shown]
	s_waitcnt lgkmcnt(0)
	;;#ASMSTART
	v_cvt_f16_f32 v33, v33;

	;;#ASMEND
	;;#ASMSTART
	v_cvt_f16_f32 v30, v34;

	;;#ASMEND
	;; [unrolled: 4-line block ×4, first 2 shown]
	s_waitcnt vmcnt(0)
	v_mad_i64_i32 v[6:7], null, v2, s9, s[4:5]
	v_add_co_u32 v8, s0, v6, v19
	v_add_co_ci_u32_e64 v9, null, 0, v7, s0
	global_load_dwordx2 v[10:11], v[8:9], off
	global_load_dword v36, v3, s[14:15]
	s_waitcnt vmcnt(1)
	v_cmp_ne_u16_sdwa s0, v10, v3 src0_sel:BYTE_0 src1_sel:DWORD
	s_and_saveexec_b32 s1, s0
	s_cbranch_execz .LBB275_282
; %bb.275:                              ;   in Loop: Header=BB275_274 Depth=1
	v_cmp_ne_u16_sdwa s0, v10, v23 src0_sel:BYTE_0 src1_sel:DWORD
	v_mov_b32_e32 v37, 0x8000
	s_and_saveexec_b32 s17, s0
	s_cbranch_execz .LBB275_281
; %bb.276:                              ;   in Loop: Header=BB275_274 Depth=1
	v_and_b32_e32 v38, 0x7f, v10
	v_mov_b32_e32 v37, 0x7c01
	s_mov_b32 s18, exec_lo
	v_cmpx_ne_u32_e32 0x7f, v38
	s_cbranch_execz .LBB275_280
; %bb.277:                              ;   in Loop: Header=BB275_274 Depth=1
	v_and_b32_e32 v2, 7, v10
	v_lshrrev_b32_e32 v27, 3, v38
	s_mov_b32 s19, exec_lo
	v_cmpx_gt_u32_e32 8, v38
; %bb.278:                              ;   in Loop: Header=BB275_274 Depth=1
	v_ffbh_u32_e32 v2, v2
	v_min_u32_e32 v2, 32, v2
	v_subrev_nc_u32_e32 v27, 28, v2
	v_lshlrev_b64 v[37:38], v27, v[10:11]
	v_sub_nc_u32_e32 v27, 29, v2
	v_and_b32_e32 v2, 7, v37
; %bb.279:                              ;   in Loop: Header=BB275_274 Depth=1
	s_or_b32 exec_lo, exec_lo, s19
	v_lshlrev_b32_e32 v37, 8, v10
	v_lshl_add_u32 v27, v27, 10, 0x2000
	v_lshlrev_b32_e32 v2, 7, v2
	v_and_b32_e32 v37, 0x8000, v37
	v_and_b32_e32 v27, 0xfc00, v27
	v_or3_b32 v37, v37, v27, v2
.LBB275_280:                            ;   in Loop: Header=BB275_274 Depth=1
	s_or_b32 exec_lo, exec_lo, s18
.LBB275_281:                            ;   in Loop: Header=BB275_274 Depth=1
	s_or_b32 exec_lo, exec_lo, s17
.LBB275_282:                            ;   in Loop: Header=BB275_274 Depth=1
	s_or_b32 exec_lo, exec_lo, s1
	v_lshrrev_b16 v2, 8, v10
	v_mov_b32_e32 v27, 0
	v_mov_b32_e32 v38, 0
	s_mov_b32 s1, exec_lo
	v_cmpx_ne_u16_e32 0, v2
	s_cbranch_execz .LBB275_290
; %bb.283:                              ;   in Loop: Header=BB275_274 Depth=1
	v_bfrev_b32_e32 v38, 1
	s_mov_b32 s17, exec_lo
	v_cmpx_ne_u16_e32 0x80, v2
	s_cbranch_execz .LBB275_289
; %bb.284:                              ;   in Loop: Header=BB275_274 Depth=1
	v_and_b32_sdwa v40, v2, v24 dst_sel:DWORD dst_unused:UNUSED_PAD src0_sel:WORD_0 src1_sel:DWORD
	v_mov_b32_e32 v38, 0x7c010000
	s_mov_b32 s18, exec_lo
	v_cmpx_ne_u32_e32 0x7f, v40
	s_cbranch_execz .LBB275_288
; %bb.285:                              ;   in Loop: Header=BB275_274 Depth=1
	v_and_b32_sdwa v38, v2, v25 dst_sel:DWORD dst_unused:UNUSED_PAD src0_sel:WORD_0 src1_sel:DWORD
	v_lshrrev_b32_e32 v39, 3, v40
	s_mov_b32 s19, exec_lo
	v_cmpx_gt_u32_e32 8, v40
; %bb.286:                              ;   in Loop: Header=BB275_274 Depth=1
	v_ffbh_u32_e32 v38, v38
	v_min_u32_e32 v40, 32, v38
	v_subrev_nc_u32_e32 v38, 28, v40
	v_lshlrev_b64 v[38:39], v38, v[2:3]
	v_sub_nc_u32_e32 v39, 29, v40
	v_and_b32_e32 v38, 7, v38
; %bb.287:                              ;   in Loop: Header=BB275_274 Depth=1
	s_or_b32 exec_lo, exec_lo, s19
	v_lshlrev_b32_sdwa v2, v26, v2 dst_sel:DWORD dst_unused:UNUSED_PAD src0_sel:DWORD src1_sel:WORD_0
	v_lshl_add_u32 v39, v39, 10, 0x2000
	v_lshlrev_b32_e32 v38, 23, v38
	v_and_or_b32 v2, 0x8000, v2, v39
	v_lshl_or_b32 v38, v2, 16, v38
.LBB275_288:                            ;   in Loop: Header=BB275_274 Depth=1
	s_or_b32 exec_lo, exec_lo, s18
.LBB275_289:                            ;   in Loop: Header=BB275_274 Depth=1
	s_or_b32 exec_lo, exec_lo, s17
.LBB275_290:                            ;   in Loop: Header=BB275_274 Depth=1
	s_or_b32 exec_lo, exec_lo, s1
	v_lshrrev_b32_e32 v2, 16, v10
	v_cmp_ne_u16_sdwa s0, v2, v3 src0_sel:BYTE_0 src1_sel:DWORD
	s_and_saveexec_b32 s1, s0
	s_cbranch_execz .LBB275_298
; %bb.291:                              ;   in Loop: Header=BB275_274 Depth=1
	v_cmp_ne_u16_sdwa s0, v2, v23 src0_sel:BYTE_0 src1_sel:DWORD
	v_mov_b32_e32 v27, 0x8000
	s_and_saveexec_b32 s17, s0
	s_cbranch_execz .LBB275_297
; %bb.292:                              ;   in Loop: Header=BB275_274 Depth=1
	v_bfe_u32 v40, v10, 16, 7
	v_mov_b32_e32 v27, 0x7c01
	s_mov_b32 s18, exec_lo
	v_cmpx_ne_u32_e32 0x7f, v40
	s_cbranch_execz .LBB275_296
; %bb.293:                              ;   in Loop: Header=BB275_274 Depth=1
	v_and_b32_e32 v27, 7, v2
	v_lshrrev_b32_e32 v39, 3, v40
	s_mov_b32 s19, exec_lo
	v_cmpx_gt_u32_e32 8, v40
; %bb.294:                              ;   in Loop: Header=BB275_274 Depth=1
	v_ffbh_u32_e32 v27, v27
	v_min_u32_e32 v27, 32, v27
	v_subrev_nc_u32_e32 v39, 28, v27
	v_lshlrev_b64 v[40:41], v39, v[2:3]
	v_sub_nc_u32_e32 v39, 29, v27
	v_and_b32_e32 v27, 7, v40
; %bb.295:                              ;   in Loop: Header=BB275_274 Depth=1
	s_or_b32 exec_lo, exec_lo, s19
	v_lshlrev_b32_e32 v2, 8, v2
	v_lshl_add_u32 v39, v39, 10, 0x2000
	v_lshlrev_b32_e32 v27, 7, v27
	v_and_b32_e32 v2, 0x8000, v2
	v_and_b32_e32 v39, 0xfc00, v39
	v_or3_b32 v27, v2, v39, v27
.LBB275_296:                            ;   in Loop: Header=BB275_274 Depth=1
	s_or_b32 exec_lo, exec_lo, s18
.LBB275_297:                            ;   in Loop: Header=BB275_274 Depth=1
	s_or_b32 exec_lo, exec_lo, s17
.LBB275_298:                            ;   in Loop: Header=BB275_274 Depth=1
	s_or_b32 exec_lo, exec_lo, s1
	v_mov_b32_e32 v39, 0
	v_mov_b32_e32 v40, 0
	s_mov_b32 s1, exec_lo
	v_cmpx_lt_u32_e32 0xffffff, v10
	s_cbranch_execz .LBB275_306
; %bb.299:                              ;   in Loop: Header=BB275_274 Depth=1
	v_lshrrev_b32_e32 v2, 24, v10
	v_bfrev_b32_e32 v40, 1
	s_mov_b32 s17, exec_lo
	v_cmpx_ne_u32_e32 0x80, v2
	s_cbranch_execz .LBB275_305
; %bb.300:                              ;   in Loop: Header=BB275_274 Depth=1
	v_and_b32_e32 v42, 0x7f, v2
	v_mov_b32_e32 v40, 0x7c010000
	s_mov_b32 s18, exec_lo
	v_cmpx_ne_u32_e32 0x7f, v42
	s_cbranch_execz .LBB275_304
; %bb.301:                              ;   in Loop: Header=BB275_274 Depth=1
	v_and_b32_e32 v40, 7, v2
	v_lshrrev_b32_e32 v41, 3, v42
	s_mov_b32 s19, exec_lo
	v_cmpx_gt_u32_e32 8, v42
; %bb.302:                              ;   in Loop: Header=BB275_274 Depth=1
	v_ffbh_u32_e32 v40, v40
	v_min_u32_e32 v42, 32, v40
	v_subrev_nc_u32_e32 v40, 28, v42
	v_lshlrev_b64 v[40:41], v40, v[2:3]
	v_sub_nc_u32_e32 v41, 29, v42
	v_and_b32_e32 v40, 7, v40
; %bb.303:                              ;   in Loop: Header=BB275_274 Depth=1
	s_or_b32 exec_lo, exec_lo, s19
	v_lshlrev_b32_e32 v2, 8, v2
	v_lshl_add_u32 v41, v41, 10, 0x2000
	v_lshlrev_b32_e32 v40, 23, v40
	v_and_or_b32 v2, 0x8000, v2, v41
	v_lshl_or_b32 v40, v2, 16, v40
.LBB275_304:                            ;   in Loop: Header=BB275_274 Depth=1
	s_or_b32 exec_lo, exec_lo, s18
.LBB275_305:                            ;   in Loop: Header=BB275_274 Depth=1
	s_or_b32 exec_lo, exec_lo, s17
.LBB275_306:                            ;   in Loop: Header=BB275_274 Depth=1
	s_or_b32 exec_lo, exec_lo, s1
	v_mov_b32_e32 v2, v11
	v_cmp_ne_u16_sdwa s0, v11, v3 src0_sel:BYTE_0 src1_sel:DWORD
	s_and_saveexec_b32 s1, s0
	s_cbranch_execz .LBB275_314
; %bb.307:                              ;   in Loop: Header=BB275_274 Depth=1
	v_cmp_ne_u16_sdwa s0, v11, v23 src0_sel:BYTE_0 src1_sel:DWORD
	v_mov_b32_e32 v39, 0x8000
	s_and_saveexec_b32 s17, s0
	s_cbranch_execz .LBB275_313
; %bb.308:                              ;   in Loop: Header=BB275_274 Depth=1
	v_and_b32_e32 v42, 0x7f, v11
	v_mov_b32_e32 v39, 0x7c01
	s_mov_b32 s18, exec_lo
	v_cmpx_ne_u32_e32 0x7f, v42
	s_cbranch_execz .LBB275_312
; %bb.309:                              ;   in Loop: Header=BB275_274 Depth=1
	v_and_b32_e32 v39, 7, v11
	v_lshrrev_b32_e32 v41, 3, v42
	s_mov_b32 s19, exec_lo
	v_cmpx_gt_u32_e32 8, v42
; %bb.310:                              ;   in Loop: Header=BB275_274 Depth=1
	v_ffbh_u32_e32 v39, v39
	v_min_u32_e32 v39, 32, v39
	v_subrev_nc_u32_e32 v41, 28, v39
	v_lshlrev_b64 v[42:43], v41, v[2:3]
	v_sub_nc_u32_e32 v41, 29, v39
	v_and_b32_e32 v39, 7, v42
; %bb.311:                              ;   in Loop: Header=BB275_274 Depth=1
	s_or_b32 exec_lo, exec_lo, s19
	v_lshlrev_b32_e32 v42, 8, v11
	v_lshl_add_u32 v41, v41, 10, 0x2000
	v_lshlrev_b32_e32 v39, 7, v39
	v_and_b32_e32 v42, 0x8000, v42
	v_and_b32_e32 v41, 0xfc00, v41
	v_or3_b32 v39, v42, v41, v39
.LBB275_312:                            ;   in Loop: Header=BB275_274 Depth=1
	s_or_b32 exec_lo, exec_lo, s18
.LBB275_313:                            ;   in Loop: Header=BB275_274 Depth=1
	s_or_b32 exec_lo, exec_lo, s17
.LBB275_314:                            ;   in Loop: Header=BB275_274 Depth=1
	s_or_b32 exec_lo, exec_lo, s1
	v_lshrrev_b16 v2, 8, v2
	v_mov_b32_e32 v42, 0
	v_mov_b32_e32 v41, 0
	s_mov_b32 s1, exec_lo
	v_cmpx_ne_u16_e32 0, v2
	s_cbranch_execz .LBB275_322
; %bb.315:                              ;   in Loop: Header=BB275_274 Depth=1
	v_bfrev_b32_e32 v41, 1
	s_mov_b32 s17, exec_lo
	v_cmpx_ne_u16_e32 0x80, v2
	s_cbranch_execz .LBB275_321
; %bb.316:                              ;   in Loop: Header=BB275_274 Depth=1
	v_and_b32_sdwa v44, v2, v24 dst_sel:DWORD dst_unused:UNUSED_PAD src0_sel:WORD_0 src1_sel:DWORD
	v_mov_b32_e32 v41, 0x7c010000
	s_mov_b32 s18, exec_lo
	v_cmpx_ne_u32_e32 0x7f, v44
	s_cbranch_execz .LBB275_320
; %bb.317:                              ;   in Loop: Header=BB275_274 Depth=1
	v_and_b32_sdwa v41, v2, v25 dst_sel:DWORD dst_unused:UNUSED_PAD src0_sel:WORD_0 src1_sel:DWORD
	v_lshrrev_b32_e32 v43, 3, v44
	s_mov_b32 s19, exec_lo
	v_cmpx_gt_u32_e32 8, v44
; %bb.318:                              ;   in Loop: Header=BB275_274 Depth=1
	v_ffbh_u32_e32 v41, v41
	v_min_u32_e32 v41, 32, v41
	v_subrev_nc_u32_e32 v43, 28, v41
	v_lshlrev_b64 v[44:45], v43, v[2:3]
	v_sub_nc_u32_e32 v43, 29, v41
	v_and_b32_e32 v41, 7, v44
; %bb.319:                              ;   in Loop: Header=BB275_274 Depth=1
	s_or_b32 exec_lo, exec_lo, s19
	v_lshlrev_b32_sdwa v2, v26, v2 dst_sel:DWORD dst_unused:UNUSED_PAD src0_sel:DWORD src1_sel:WORD_0
	v_lshl_add_u32 v43, v43, 10, 0x2000
	v_lshlrev_b32_e32 v41, 23, v41
	v_and_or_b32 v2, 0x8000, v2, v43
	v_lshl_or_b32 v41, v2, 16, v41
.LBB275_320:                            ;   in Loop: Header=BB275_274 Depth=1
	s_or_b32 exec_lo, exec_lo, s18
.LBB275_321:                            ;   in Loop: Header=BB275_274 Depth=1
	s_or_b32 exec_lo, exec_lo, s17
.LBB275_322:                            ;   in Loop: Header=BB275_274 Depth=1
	s_or_b32 exec_lo, exec_lo, s1
	v_lshrrev_b32_e32 v2, 16, v11
	v_cmp_ne_u16_sdwa s0, v2, v3 src0_sel:BYTE_0 src1_sel:DWORD
	s_and_saveexec_b32 s1, s0
	s_cbranch_execz .LBB275_330
; %bb.323:                              ;   in Loop: Header=BB275_274 Depth=1
	v_cmp_ne_u16_sdwa s0, v2, v23 src0_sel:BYTE_0 src1_sel:DWORD
	v_mov_b32_e32 v42, 0x8000
	s_and_saveexec_b32 s17, s0
	s_cbranch_execz .LBB275_329
; %bb.324:                              ;   in Loop: Header=BB275_274 Depth=1
	v_bfe_u32 v44, v11, 16, 7
	v_mov_b32_e32 v42, 0x7c01
	s_mov_b32 s18, exec_lo
	v_cmpx_ne_u32_e32 0x7f, v44
	s_cbranch_execz .LBB275_328
; %bb.325:                              ;   in Loop: Header=BB275_274 Depth=1
	v_and_b32_e32 v42, 7, v2
	v_lshrrev_b32_e32 v43, 3, v44
	s_mov_b32 s19, exec_lo
	v_cmpx_gt_u32_e32 8, v44
; %bb.326:                              ;   in Loop: Header=BB275_274 Depth=1
	v_ffbh_u32_e32 v42, v42
	v_min_u32_e32 v44, 32, v42
	v_subrev_nc_u32_e32 v42, 28, v44
	v_lshlrev_b64 v[42:43], v42, v[2:3]
	v_sub_nc_u32_e32 v43, 29, v44
	v_and_b32_e32 v42, 7, v42
; %bb.327:                              ;   in Loop: Header=BB275_274 Depth=1
	s_or_b32 exec_lo, exec_lo, s19
	v_lshlrev_b32_e32 v2, 8, v2
	v_lshl_add_u32 v43, v43, 10, 0x2000
	v_lshlrev_b32_e32 v42, 7, v42
	v_and_b32_e32 v2, 0x8000, v2
	v_and_b32_e32 v43, 0xfc00, v43
	v_or3_b32 v42, v2, v43, v42
.LBB275_328:                            ;   in Loop: Header=BB275_274 Depth=1
	s_or_b32 exec_lo, exec_lo, s18
.LBB275_329:                            ;   in Loop: Header=BB275_274 Depth=1
	s_or_b32 exec_lo, exec_lo, s17
.LBB275_330:                            ;   in Loop: Header=BB275_274 Depth=1
	s_or_b32 exec_lo, exec_lo, s1
	v_cmp_lt_u64_e64 s0, s[6:7], v[10:11]
	v_mov_b32_e32 v10, 0
	s_and_saveexec_b32 s1, s0
	s_cbranch_execz .LBB275_338
; %bb.331:                              ;   in Loop: Header=BB275_274 Depth=1
	v_lshrrev_b32_e32 v2, 24, v11
	v_bfrev_b32_e32 v10, 1
	s_mov_b32 s17, exec_lo
	v_cmpx_ne_u32_e32 0x80, v2
	s_cbranch_execz .LBB275_337
; %bb.332:                              ;   in Loop: Header=BB275_274 Depth=1
	v_and_b32_e32 v43, 0x7f, v2
	v_mov_b32_e32 v10, 0x7c010000
	s_mov_b32 s18, exec_lo
	v_cmpx_ne_u32_e32 0x7f, v43
	s_cbranch_execz .LBB275_336
; %bb.333:                              ;   in Loop: Header=BB275_274 Depth=1
	v_and_b32_e32 v10, 7, v2
	v_lshrrev_b32_e32 v11, 3, v43
	s_mov_b32 s19, exec_lo
	v_cmpx_gt_u32_e32 8, v43
; %bb.334:                              ;   in Loop: Header=BB275_274 Depth=1
	v_ffbh_u32_e32 v10, v10
	v_min_u32_e32 v43, 32, v10
	v_subrev_nc_u32_e32 v10, 28, v43
	v_lshlrev_b64 v[10:11], v10, v[2:3]
	v_sub_nc_u32_e32 v11, 29, v43
	v_and_b32_e32 v10, 7, v10
; %bb.335:                              ;   in Loop: Header=BB275_274 Depth=1
	s_or_b32 exec_lo, exec_lo, s19
	v_lshlrev_b32_e32 v2, 8, v2
	v_lshl_add_u32 v11, v11, 10, 0x2000
	v_lshlrev_b32_e32 v10, 23, v10
	v_and_or_b32 v2, 0x8000, v2, v11
	v_lshl_or_b32 v10, v2, 16, v10
.LBB275_336:                            ;   in Loop: Header=BB275_274 Depth=1
	s_or_b32 exec_lo, exec_lo, s18
.LBB275_337:                            ;   in Loop: Header=BB275_274 Depth=1
	s_or_b32 exec_lo, exec_lo, s17
.LBB275_338:                            ;   in Loop: Header=BB275_274 Depth=1
	s_or_b32 exec_lo, exec_lo, s1
	v_or_b32_e32 v2, v40, v27
	s_waitcnt vmcnt(0)
	v_fma_mixlo_f16 v11, v36, v40, 0 op_sel:[0,1,0] op_sel_hi:[0,1,0]
	v_or_b32_e32 v37, v38, v37
	v_fma_mixlo_f16 v38, v36, v38, 0 op_sel:[0,1,0] op_sel_hi:[0,1,0]
	v_or_b32_e32 v43, v41, v39
	v_fma_mixlo_f16 v40, v36, v2, 0 op_sel_hi:[0,1,0]
	v_or_b32_e32 v42, v10, v42
	v_lshlrev_b32_e32 v2, 16, v11
	v_lshlrev_b32_e32 v39, 16, v38
	v_fma_mixlo_f16 v11, v36, v37, 0 op_sel_hi:[0,1,0]
	v_and_b32_e32 v38, 0xffff, v40
	v_fma_mixlo_f16 v37, v36, v41, 0 op_sel:[0,1,0] op_sel_hi:[0,1,0]
	v_fma_mixlo_f16 v40, v36, v43, 0 op_sel_hi:[0,1,0]
	v_fma_mixlo_f16 v10, v36, v10, 0 op_sel:[0,1,0] op_sel_hi:[0,1,0]
	v_fma_mixlo_f16 v36, v36, v42, 0 op_sel_hi:[0,1,0]
	v_and_b32_e32 v44, 0xffff, v11
	v_lshlrev_b32_e32 v11, 16, v37
	v_and_b32_e32 v37, 0xffff, v40
	v_lshlrev_b32_e32 v10, 16, v10
	v_and_b32_e32 v36, 0xffff, v36
	v_add_nc_u32_e32 v27, -7, v21
	v_cmp_eq_u32_e64 s0, s12, v1
	v_or_b32_e32 v40, v2, v38
	v_or_b32_e32 v41, v39, v44
	;; [unrolled: 1-line block ×4, first 2 shown]
	s_and_saveexec_b32 s17, s0
	s_cbranch_execz .LBB275_340
; %bb.339:                              ;   in Loop: Header=BB275_274 Depth=1
	v_add_nc_u32_e32 v40, -6, v21
	v_cmp_gt_i32_e64 s1, s27, v27
	v_add_nc_u32_e32 v41, -5, v21
	v_add_nc_u32_e32 v43, -2, v21
	v_cndmask_b32_e64 v42, 0, v44, s1
	v_cmp_gt_i32_e64 s1, s27, v40
	v_add_nc_u32_e32 v40, -4, v21
	v_cndmask_b32_e64 v39, 0, v39, s1
	v_cmp_gt_i32_e64 s1, s27, v41
	v_add_nc_u32_e32 v41, -3, v21
	v_cndmask_b32_e64 v38, 0, v38, s1
	v_cmp_gt_i32_e64 s1, s27, v40
	v_add_nc_u32_e32 v40, -1, v21
	v_cndmask_b32_e64 v2, 0, v2, s1
	v_cmp_gt_i32_e64 s1, s27, v41
	v_or_b32_e32 v41, v39, v42
	v_cndmask_b32_e64 v37, 0, v37, s1
	v_cmp_gt_i32_e64 s1, s27, v43
	v_cndmask_b32_e64 v11, 0, v11, s1
	v_cmp_gt_i32_e64 s1, s27, v40
	v_or_b32_e32 v40, v2, v38
	v_or_b32_e32 v42, v11, v37
	v_cndmask_b32_e64 v36, 0, v36, s1
	v_cmp_gt_i32_e64 s1, s27, v21
	v_cndmask_b32_e64 v10, 0, v10, s1
	v_or_b32_e32 v43, v10, v36
.LBB275_340:                            ;   in Loop: Header=BB275_274 Depth=1
	s_or_b32 exec_lo, exec_lo, s17
	v_and_b32_e32 v2, 0xffff, v31
	v_and_b32_e32 v10, 0xffff, v32
	;; [unrolled: 1-line block ×4, first 2 shown]
	v_mov_b32_e32 v36, 0
	v_lshl_or_b32 v33, v28, 16, v2
	;;#ASMSTART
	v_pk_mul_f16 v2, v33, v41;

	;;#ASMEND
	v_lshl_or_b32 v32, v29, 16, v10
	v_lshl_or_b32 v31, v30, 16, v11
	;; [unrolled: 1-line block ×3, first 2 shown]
	;;#ASMSTART
	v_pk_mul_f16 v10, v32, v40;

	;;#ASMEND
	;;#ASMSTART
	v_pk_mul_f16 v11, v31, v42;

	;;#ASMEND
	;; [unrolled: 4-line block ×3, first 2 shown]
	;;#ASMSTART
	v_pk_add_f16 v2, v2, v10;

	;;#ASMEND
	;;#ASMSTART
	v_pk_add_f16 v2, v2, v11;

	;;#ASMEND
	;; [unrolled: 4-line block ×3, first 2 shown]
	v_and_b32_e32 v10, 0xffff, v2
	v_lshrrev_b32_e32 v2, 16, v2
	;;#ASMSTART
	v_cvt_f32_f16 v28, v10;
	;;#ASMEND
	;;#ASMSTART
	v_cvt_f32_f16 v29, v2;
	;;#ASMEND
	global_load_dwordx2 v[10:11], v[8:9], off offset:256
	v_mov_b32_e32 v35, 0
	global_load_dword v34, v35, s[14:15]
	s_waitcnt vmcnt(1)
	v_cmp_ne_u16_sdwa s1, v10, v3 src0_sel:BYTE_0 src1_sel:DWORD
	s_and_saveexec_b32 s17, s1
	s_cbranch_execz .LBB275_348
; %bb.341:                              ;   in Loop: Header=BB275_274 Depth=1
	v_cmp_ne_u16_sdwa s1, v10, v23 src0_sel:BYTE_0 src1_sel:DWORD
	v_mov_b32_e32 v36, 0x8000
	s_and_saveexec_b32 s18, s1
	s_cbranch_execz .LBB275_347
; %bb.342:                              ;   in Loop: Header=BB275_274 Depth=1
	v_and_b32_e32 v37, 0x7f, v10
	v_mov_b32_e32 v36, 0x7c01
	s_mov_b32 s19, exec_lo
	v_cmpx_ne_u32_e32 0x7f, v37
	s_cbranch_execz .LBB275_346
; %bb.343:                              ;   in Loop: Header=BB275_274 Depth=1
	v_and_b32_e32 v2, 7, v10
	v_lshrrev_b32_e32 v36, 3, v37
	s_mov_b32 s20, exec_lo
	v_cmpx_gt_u32_e32 8, v37
; %bb.344:                              ;   in Loop: Header=BB275_274 Depth=1
	v_ffbh_u32_e32 v2, v2
	v_min_u32_e32 v2, 32, v2
	v_subrev_nc_u32_e32 v36, 28, v2
	v_lshlrev_b64 v[37:38], v36, v[10:11]
	v_sub_nc_u32_e32 v36, 29, v2
	v_and_b32_e32 v2, 7, v37
; %bb.345:                              ;   in Loop: Header=BB275_274 Depth=1
	s_or_b32 exec_lo, exec_lo, s20
	v_lshlrev_b32_e32 v37, 8, v10
	v_lshl_add_u32 v36, v36, 10, 0x2000
	v_lshlrev_b32_e32 v2, 7, v2
	v_and_b32_e32 v37, 0x8000, v37
	v_and_b32_e32 v36, 0xfc00, v36
	v_or3_b32 v36, v37, v36, v2
.LBB275_346:                            ;   in Loop: Header=BB275_274 Depth=1
	s_or_b32 exec_lo, exec_lo, s19
.LBB275_347:                            ;   in Loop: Header=BB275_274 Depth=1
	s_or_b32 exec_lo, exec_lo, s18
.LBB275_348:                            ;   in Loop: Header=BB275_274 Depth=1
	s_or_b32 exec_lo, exec_lo, s17
	v_lshrrev_b16 v2, 8, v10
	s_mov_b32 s17, exec_lo
	v_cmpx_ne_u16_e32 0, v2
	s_cbranch_execz .LBB275_356
; %bb.349:                              ;   in Loop: Header=BB275_274 Depth=1
	v_bfrev_b32_e32 v35, 1
	s_mov_b32 s18, exec_lo
	v_cmpx_ne_u16_e32 0x80, v2
	s_cbranch_execz .LBB275_355
; %bb.350:                              ;   in Loop: Header=BB275_274 Depth=1
	v_and_b32_sdwa v38, v2, v24 dst_sel:DWORD dst_unused:UNUSED_PAD src0_sel:WORD_0 src1_sel:DWORD
	v_mov_b32_e32 v35, 0x7c010000
	s_mov_b32 s19, exec_lo
	v_cmpx_ne_u32_e32 0x7f, v38
	s_cbranch_execz .LBB275_354
; %bb.351:                              ;   in Loop: Header=BB275_274 Depth=1
	v_and_b32_sdwa v35, v2, v25 dst_sel:DWORD dst_unused:UNUSED_PAD src0_sel:WORD_0 src1_sel:DWORD
	v_lshrrev_b32_e32 v37, 3, v38
	s_mov_b32 s20, exec_lo
	v_cmpx_gt_u32_e32 8, v38
; %bb.352:                              ;   in Loop: Header=BB275_274 Depth=1
	v_ffbh_u32_e32 v35, v35
	v_min_u32_e32 v35, 32, v35
	v_subrev_nc_u32_e32 v37, 28, v35
	v_lshlrev_b64 v[38:39], v37, v[2:3]
	v_sub_nc_u32_e32 v37, 29, v35
	v_and_b32_e32 v35, 7, v38
; %bb.353:                              ;   in Loop: Header=BB275_274 Depth=1
	s_or_b32 exec_lo, exec_lo, s20
	v_lshlrev_b32_sdwa v2, v26, v2 dst_sel:DWORD dst_unused:UNUSED_PAD src0_sel:DWORD src1_sel:WORD_0
	v_lshl_add_u32 v37, v37, 10, 0x2000
	v_lshlrev_b32_e32 v35, 23, v35
	v_and_or_b32 v2, 0x8000, v2, v37
	v_lshl_or_b32 v35, v2, 16, v35
.LBB275_354:                            ;   in Loop: Header=BB275_274 Depth=1
	s_or_b32 exec_lo, exec_lo, s19
.LBB275_355:                            ;   in Loop: Header=BB275_274 Depth=1
	s_or_b32 exec_lo, exec_lo, s18
.LBB275_356:                            ;   in Loop: Header=BB275_274 Depth=1
	s_or_b32 exec_lo, exec_lo, s17
	v_lshrrev_b32_e32 v2, 16, v10
	v_mov_b32_e32 v37, 0
	v_mov_b32_e32 v38, 0
	v_cmp_ne_u16_sdwa s1, v2, v3 src0_sel:BYTE_0 src1_sel:DWORD
	s_and_saveexec_b32 s17, s1
	s_cbranch_execz .LBB275_364
; %bb.357:                              ;   in Loop: Header=BB275_274 Depth=1
	v_cmp_ne_u16_sdwa s1, v2, v23 src0_sel:BYTE_0 src1_sel:DWORD
	v_mov_b32_e32 v38, 0x8000
	s_and_saveexec_b32 s18, s1
	s_cbranch_execz .LBB275_363
; %bb.358:                              ;   in Loop: Header=BB275_274 Depth=1
	v_bfe_u32 v40, v10, 16, 7
	v_mov_b32_e32 v38, 0x7c01
	s_mov_b32 s19, exec_lo
	v_cmpx_ne_u32_e32 0x7f, v40
	s_cbranch_execz .LBB275_362
; %bb.359:                              ;   in Loop: Header=BB275_274 Depth=1
	v_and_b32_e32 v38, 7, v2
	v_lshrrev_b32_e32 v39, 3, v40
	s_mov_b32 s20, exec_lo
	v_cmpx_gt_u32_e32 8, v40
; %bb.360:                              ;   in Loop: Header=BB275_274 Depth=1
	v_ffbh_u32_e32 v38, v38
	v_min_u32_e32 v40, 32, v38
	v_subrev_nc_u32_e32 v38, 28, v40
	v_lshlrev_b64 v[38:39], v38, v[2:3]
	v_sub_nc_u32_e32 v39, 29, v40
	v_and_b32_e32 v38, 7, v38
; %bb.361:                              ;   in Loop: Header=BB275_274 Depth=1
	s_or_b32 exec_lo, exec_lo, s20
	v_lshlrev_b32_e32 v2, 8, v2
	v_lshl_add_u32 v39, v39, 10, 0x2000
	v_lshlrev_b32_e32 v38, 7, v38
	v_and_b32_e32 v2, 0x8000, v2
	v_and_b32_e32 v39, 0xfc00, v39
	v_or3_b32 v38, v2, v39, v38
.LBB275_362:                            ;   in Loop: Header=BB275_274 Depth=1
	s_or_b32 exec_lo, exec_lo, s19
.LBB275_363:                            ;   in Loop: Header=BB275_274 Depth=1
	s_or_b32 exec_lo, exec_lo, s18
.LBB275_364:                            ;   in Loop: Header=BB275_274 Depth=1
	s_or_b32 exec_lo, exec_lo, s17
	s_mov_b32 s17, exec_lo
	v_cmpx_lt_u32_e32 0xffffff, v10
	s_cbranch_execz .LBB275_372
; %bb.365:                              ;   in Loop: Header=BB275_274 Depth=1
	v_lshrrev_b32_e32 v2, 24, v10
	v_bfrev_b32_e32 v37, 1
	s_mov_b32 s18, exec_lo
	v_cmpx_ne_u32_e32 0x80, v2
	s_cbranch_execz .LBB275_371
; %bb.366:                              ;   in Loop: Header=BB275_274 Depth=1
	v_and_b32_e32 v40, 0x7f, v2
	v_mov_b32_e32 v37, 0x7c010000
	s_mov_b32 s19, exec_lo
	v_cmpx_ne_u32_e32 0x7f, v40
	s_cbranch_execz .LBB275_370
; %bb.367:                              ;   in Loop: Header=BB275_274 Depth=1
	v_and_b32_e32 v37, 7, v2
	v_lshrrev_b32_e32 v39, 3, v40
	s_mov_b32 s20, exec_lo
	v_cmpx_gt_u32_e32 8, v40
; %bb.368:                              ;   in Loop: Header=BB275_274 Depth=1
	v_ffbh_u32_e32 v37, v37
	v_min_u32_e32 v37, 32, v37
	v_subrev_nc_u32_e32 v39, 28, v37
	v_lshlrev_b64 v[40:41], v39, v[2:3]
	v_sub_nc_u32_e32 v39, 29, v37
	v_and_b32_e32 v37, 7, v40
; %bb.369:                              ;   in Loop: Header=BB275_274 Depth=1
	s_or_b32 exec_lo, exec_lo, s20
	v_lshlrev_b32_e32 v2, 8, v2
	v_lshl_add_u32 v39, v39, 10, 0x2000
	v_lshlrev_b32_e32 v37, 23, v37
	v_and_or_b32 v2, 0x8000, v2, v39
	v_lshl_or_b32 v37, v2, 16, v37
.LBB275_370:                            ;   in Loop: Header=BB275_274 Depth=1
	s_or_b32 exec_lo, exec_lo, s19
.LBB275_371:                            ;   in Loop: Header=BB275_274 Depth=1
	s_or_b32 exec_lo, exec_lo, s18
.LBB275_372:                            ;   in Loop: Header=BB275_274 Depth=1
	s_or_b32 exec_lo, exec_lo, s17
	v_mov_b32_e32 v2, v11
	v_cmp_ne_u16_sdwa s1, v11, v3 src0_sel:BYTE_0 src1_sel:DWORD
	v_mov_b32_e32 v39, 0
	v_mov_b32_e32 v40, 0
	s_and_saveexec_b32 s17, s1
	s_cbranch_execz .LBB275_380
; %bb.373:                              ;   in Loop: Header=BB275_274 Depth=1
	v_cmp_ne_u16_sdwa s1, v11, v23 src0_sel:BYTE_0 src1_sel:DWORD
	v_mov_b32_e32 v40, 0x8000
	s_and_saveexec_b32 s18, s1
	s_cbranch_execz .LBB275_379
; %bb.374:                              ;   in Loop: Header=BB275_274 Depth=1
	v_and_b32_e32 v42, 0x7f, v11
	v_mov_b32_e32 v40, 0x7c01
	s_mov_b32 s19, exec_lo
	v_cmpx_ne_u32_e32 0x7f, v42
	s_cbranch_execz .LBB275_378
; %bb.375:                              ;   in Loop: Header=BB275_274 Depth=1
	v_and_b32_e32 v40, 7, v11
	v_lshrrev_b32_e32 v41, 3, v42
	s_mov_b32 s20, exec_lo
	v_cmpx_gt_u32_e32 8, v42
; %bb.376:                              ;   in Loop: Header=BB275_274 Depth=1
	v_ffbh_u32_e32 v40, v40
	v_min_u32_e32 v42, 32, v40
	v_subrev_nc_u32_e32 v40, 28, v42
	v_lshlrev_b64 v[40:41], v40, v[2:3]
	v_sub_nc_u32_e32 v41, 29, v42
	v_and_b32_e32 v40, 7, v40
; %bb.377:                              ;   in Loop: Header=BB275_274 Depth=1
	s_or_b32 exec_lo, exec_lo, s20
	v_lshlrev_b32_e32 v42, 8, v11
	v_lshl_add_u32 v41, v41, 10, 0x2000
	v_lshlrev_b32_e32 v40, 7, v40
	v_and_b32_e32 v42, 0x8000, v42
	v_and_b32_e32 v41, 0xfc00, v41
	v_or3_b32 v40, v42, v41, v40
.LBB275_378:                            ;   in Loop: Header=BB275_274 Depth=1
	s_or_b32 exec_lo, exec_lo, s19
.LBB275_379:                            ;   in Loop: Header=BB275_274 Depth=1
	s_or_b32 exec_lo, exec_lo, s18
.LBB275_380:                            ;   in Loop: Header=BB275_274 Depth=1
	s_or_b32 exec_lo, exec_lo, s17
	v_lshrrev_b16 v2, 8, v2
	v_mov_b32_e32 v41, 0
	s_mov_b32 s17, exec_lo
	v_cmpx_ne_u16_e32 0, v2
	s_cbranch_execz .LBB275_388
; %bb.381:                              ;   in Loop: Header=BB275_274 Depth=1
	v_bfrev_b32_e32 v41, 1
	s_mov_b32 s18, exec_lo
	v_cmpx_ne_u16_e32 0x80, v2
	s_cbranch_execz .LBB275_387
; %bb.382:                              ;   in Loop: Header=BB275_274 Depth=1
	v_and_b32_sdwa v43, v2, v24 dst_sel:DWORD dst_unused:UNUSED_PAD src0_sel:WORD_0 src1_sel:DWORD
	v_mov_b32_e32 v41, 0x7c010000
	s_mov_b32 s19, exec_lo
	v_cmpx_ne_u32_e32 0x7f, v43
	s_cbranch_execz .LBB275_386
; %bb.383:                              ;   in Loop: Header=BB275_274 Depth=1
	v_and_b32_sdwa v41, v2, v25 dst_sel:DWORD dst_unused:UNUSED_PAD src0_sel:WORD_0 src1_sel:DWORD
	v_lshrrev_b32_e32 v42, 3, v43
	s_mov_b32 s20, exec_lo
	v_cmpx_gt_u32_e32 8, v43
; %bb.384:                              ;   in Loop: Header=BB275_274 Depth=1
	v_ffbh_u32_e32 v41, v41
	v_min_u32_e32 v43, 32, v41
	v_subrev_nc_u32_e32 v41, 28, v43
	v_lshlrev_b64 v[41:42], v41, v[2:3]
	v_sub_nc_u32_e32 v42, 29, v43
	v_and_b32_e32 v41, 7, v41
; %bb.385:                              ;   in Loop: Header=BB275_274 Depth=1
	s_or_b32 exec_lo, exec_lo, s20
	v_lshlrev_b32_sdwa v2, v26, v2 dst_sel:DWORD dst_unused:UNUSED_PAD src0_sel:DWORD src1_sel:WORD_0
	v_lshl_add_u32 v42, v42, 10, 0x2000
	v_lshlrev_b32_e32 v41, 23, v41
	v_and_or_b32 v2, 0x8000, v2, v42
	v_lshl_or_b32 v41, v2, 16, v41
.LBB275_386:                            ;   in Loop: Header=BB275_274 Depth=1
	s_or_b32 exec_lo, exec_lo, s19
.LBB275_387:                            ;   in Loop: Header=BB275_274 Depth=1
	s_or_b32 exec_lo, exec_lo, s18
.LBB275_388:                            ;   in Loop: Header=BB275_274 Depth=1
	s_or_b32 exec_lo, exec_lo, s17
	v_lshrrev_b32_e32 v2, 16, v11
	v_cmp_ne_u16_sdwa s1, v2, v3 src0_sel:BYTE_0 src1_sel:DWORD
	s_and_saveexec_b32 s17, s1
	s_cbranch_execz .LBB275_396
; %bb.389:                              ;   in Loop: Header=BB275_274 Depth=1
	v_cmp_ne_u16_sdwa s1, v2, v23 src0_sel:BYTE_0 src1_sel:DWORD
	v_mov_b32_e32 v39, 0x8000
	s_and_saveexec_b32 s18, s1
	s_cbranch_execz .LBB275_395
; %bb.390:                              ;   in Loop: Header=BB275_274 Depth=1
	v_bfe_u32 v43, v11, 16, 7
	v_mov_b32_e32 v39, 0x7c01
	s_mov_b32 s19, exec_lo
	v_cmpx_ne_u32_e32 0x7f, v43
	s_cbranch_execz .LBB275_394
; %bb.391:                              ;   in Loop: Header=BB275_274 Depth=1
	v_and_b32_e32 v39, 7, v2
	v_lshrrev_b32_e32 v42, 3, v43
	s_mov_b32 s20, exec_lo
	v_cmpx_gt_u32_e32 8, v43
; %bb.392:                              ;   in Loop: Header=BB275_274 Depth=1
	v_ffbh_u32_e32 v39, v39
	v_min_u32_e32 v39, 32, v39
	v_subrev_nc_u32_e32 v42, 28, v39
	v_lshlrev_b64 v[43:44], v42, v[2:3]
	v_sub_nc_u32_e32 v42, 29, v39
	v_and_b32_e32 v39, 7, v43
; %bb.393:                              ;   in Loop: Header=BB275_274 Depth=1
	s_or_b32 exec_lo, exec_lo, s20
	v_lshlrev_b32_e32 v2, 8, v2
	v_lshl_add_u32 v42, v42, 10, 0x2000
	v_lshlrev_b32_e32 v39, 7, v39
	v_and_b32_e32 v2, 0x8000, v2
	v_and_b32_e32 v42, 0xfc00, v42
	v_or3_b32 v39, v2, v42, v39
.LBB275_394:                            ;   in Loop: Header=BB275_274 Depth=1
	s_or_b32 exec_lo, exec_lo, s19
.LBB275_395:                            ;   in Loop: Header=BB275_274 Depth=1
	s_or_b32 exec_lo, exec_lo, s18
.LBB275_396:                            ;   in Loop: Header=BB275_274 Depth=1
	s_or_b32 exec_lo, exec_lo, s17
	v_cmp_lt_u64_e64 s1, s[6:7], v[10:11]
	v_mov_b32_e32 v10, 0
	s_and_saveexec_b32 s17, s1
	s_cbranch_execz .LBB275_404
; %bb.397:                              ;   in Loop: Header=BB275_274 Depth=1
	v_lshrrev_b32_e32 v2, 24, v11
	v_bfrev_b32_e32 v10, 1
	s_mov_b32 s18, exec_lo
	v_cmpx_ne_u32_e32 0x80, v2
	s_cbranch_execz .LBB275_403
; %bb.398:                              ;   in Loop: Header=BB275_274 Depth=1
	v_and_b32_e32 v42, 0x7f, v2
	v_mov_b32_e32 v10, 0x7c010000
	s_mov_b32 s19, exec_lo
	v_cmpx_ne_u32_e32 0x7f, v42
	s_cbranch_execz .LBB275_402
; %bb.399:                              ;   in Loop: Header=BB275_274 Depth=1
	v_and_b32_e32 v10, 7, v2
	v_lshrrev_b32_e32 v11, 3, v42
	s_mov_b32 s20, exec_lo
	v_cmpx_gt_u32_e32 8, v42
; %bb.400:                              ;   in Loop: Header=BB275_274 Depth=1
	v_ffbh_u32_e32 v10, v10
	v_min_u32_e32 v42, 32, v10
	v_subrev_nc_u32_e32 v10, 28, v42
	v_lshlrev_b64 v[10:11], v10, v[2:3]
	v_sub_nc_u32_e32 v11, 29, v42
	v_and_b32_e32 v10, 7, v10
; %bb.401:                              ;   in Loop: Header=BB275_274 Depth=1
	s_or_b32 exec_lo, exec_lo, s20
	v_lshlrev_b32_e32 v2, 8, v2
	v_lshl_add_u32 v11, v11, 10, 0x2000
	v_lshlrev_b32_e32 v10, 23, v10
	v_and_or_b32 v2, 0x8000, v2, v11
	v_lshl_or_b32 v10, v2, 16, v10
.LBB275_402:                            ;   in Loop: Header=BB275_274 Depth=1
	s_or_b32 exec_lo, exec_lo, s19
.LBB275_403:                            ;   in Loop: Header=BB275_274 Depth=1
	s_or_b32 exec_lo, exec_lo, s18
.LBB275_404:                            ;   in Loop: Header=BB275_274 Depth=1
	s_or_b32 exec_lo, exec_lo, s17
	v_or_b32_e32 v2, v37, v38
	s_waitcnt vmcnt(0)
	v_fma_mixlo_f16 v11, v34, v37, 0 op_sel:[0,1,0] op_sel_hi:[0,1,0]
	v_or_b32_e32 v36, v35, v36
	v_fma_mixlo_f16 v35, v34, v35, 0 op_sel:[0,1,0] op_sel_hi:[0,1,0]
	v_or_b32_e32 v38, v41, v40
	v_or_b32_e32 v39, v10, v39
	v_fma_mixlo_f16 v40, v34, v2, 0 op_sel_hi:[0,1,0]
	v_lshlrev_b32_e32 v2, 16, v11
	v_lshlrev_b32_e32 v37, 16, v35
	v_fma_mixlo_f16 v11, v34, v36, 0 op_sel_hi:[0,1,0]
	v_fma_mixlo_f16 v35, v34, v41, 0 op_sel:[0,1,0] op_sel_hi:[0,1,0]
	v_fma_mixlo_f16 v38, v34, v38, 0 op_sel_hi:[0,1,0]
	v_fma_mixlo_f16 v10, v34, v10, 0 op_sel:[0,1,0] op_sel_hi:[0,1,0]
	v_fma_mixlo_f16 v34, v34, v39, 0 op_sel_hi:[0,1,0]
	v_and_b32_e32 v36, 0xffff, v40
	v_and_b32_e32 v41, 0xffff, v11
	v_lshlrev_b32_e32 v11, 16, v35
	v_and_b32_e32 v35, 0xffff, v38
	v_lshlrev_b32_e32 v10, 16, v10
	v_and_b32_e32 v34, 0xffff, v34
	v_or_b32_e32 v38, v2, v36
	v_or_b32_e32 v42, v37, v41
	;; [unrolled: 1-line block ×4, first 2 shown]
	s_and_saveexec_b32 s17, s0
	s_cbranch_execz .LBB275_406
; %bb.405:                              ;   in Loop: Header=BB275_274 Depth=1
	v_add_nc_u32_e32 v38, -6, v21
	v_cmp_gt_i32_e64 s1, s27, v27
	v_add_nc_u32_e32 v39, -5, v21
	v_cndmask_b32_e64 v40, 0, v41, s1
	v_cmp_gt_i32_e64 s1, s27, v38
	v_add_nc_u32_e32 v38, -4, v21
	v_add_nc_u32_e32 v41, -2, v21
	v_cndmask_b32_e64 v37, 0, v37, s1
	v_cmp_gt_i32_e64 s1, s27, v39
	v_add_nc_u32_e32 v39, -3, v21
	v_or_b32_e32 v42, v37, v40
	v_cndmask_b32_e64 v36, 0, v36, s1
	v_cmp_gt_i32_e64 s1, s27, v38
	v_add_nc_u32_e32 v38, -1, v21
	v_cndmask_b32_e64 v2, 0, v2, s1
	v_cmp_gt_i32_e64 s1, s27, v39
	v_cndmask_b32_e64 v35, 0, v35, s1
	v_cmp_gt_i32_e64 s1, s27, v41
	;; [unrolled: 2-line block ×3, first 2 shown]
	v_or_b32_e32 v38, v2, v36
	v_or_b32_e32 v40, v11, v35
	v_cndmask_b32_e64 v34, 0, v34, s1
	v_cmp_gt_i32_e64 s1, s27, v21
	v_cndmask_b32_e64 v10, 0, v10, s1
	v_or_b32_e32 v39, v10, v34
.LBB275_406:                            ;   in Loop: Header=BB275_274 Depth=1
	s_or_b32 exec_lo, exec_lo, s17
	;;#ASMSTART
	v_pk_mul_f16 v2, v33, v42;

	;;#ASMEND
	;;#ASMSTART
	v_pk_mul_f16 v10, v32, v38;

	;;#ASMEND
	;; [unrolled: 4-line block ×4, first 2 shown]
	;;#ASMSTART
	v_pk_add_f16 v2, v2, v10;

	;;#ASMEND
	;;#ASMSTART
	v_pk_add_f16 v2, v2, v11;

	;;#ASMEND
	;; [unrolled: 4-line block ×3, first 2 shown]
	v_and_b32_e32 v10, 0xffff, v2
	v_lshrrev_b32_e32 v2, 16, v2
	;;#ASMSTART
	v_cvt_f32_f16 v10, v10;
	;;#ASMEND
	;;#ASMSTART
	v_cvt_f32_f16 v11, v2;
	;;#ASMEND
	global_load_dwordx2 v[8:9], v[8:9], off offset:512
	v_mov_b32_e32 v35, 0
	v_mov_b32_e32 v36, 0
	global_load_dword v34, v35, s[14:15]
	s_waitcnt vmcnt(1)
	v_cmp_ne_u16_sdwa s1, v8, v3 src0_sel:BYTE_0 src1_sel:DWORD
	s_and_saveexec_b32 s17, s1
	s_cbranch_execz .LBB275_414
; %bb.407:                              ;   in Loop: Header=BB275_274 Depth=1
	v_cmp_ne_u16_sdwa s1, v8, v23 src0_sel:BYTE_0 src1_sel:DWORD
	v_mov_b32_e32 v36, 0x8000
	s_and_saveexec_b32 s18, s1
	s_cbranch_execz .LBB275_413
; %bb.408:                              ;   in Loop: Header=BB275_274 Depth=1
	v_and_b32_e32 v37, 0x7f, v8
	v_mov_b32_e32 v36, 0x7c01
	s_mov_b32 s19, exec_lo
	v_cmpx_ne_u32_e32 0x7f, v37
	s_cbranch_execz .LBB275_412
; %bb.409:                              ;   in Loop: Header=BB275_274 Depth=1
	v_and_b32_e32 v2, 7, v8
	v_lshrrev_b32_e32 v36, 3, v37
	s_mov_b32 s20, exec_lo
	v_cmpx_gt_u32_e32 8, v37
; %bb.410:                              ;   in Loop: Header=BB275_274 Depth=1
	v_ffbh_u32_e32 v2, v2
	v_min_u32_e32 v2, 32, v2
	v_subrev_nc_u32_e32 v36, 28, v2
	v_lshlrev_b64 v[37:38], v36, v[8:9]
	v_sub_nc_u32_e32 v36, 29, v2
	v_and_b32_e32 v2, 7, v37
; %bb.411:                              ;   in Loop: Header=BB275_274 Depth=1
	s_or_b32 exec_lo, exec_lo, s20
	v_lshlrev_b32_e32 v37, 8, v8
	v_lshl_add_u32 v36, v36, 10, 0x2000
	v_lshlrev_b32_e32 v2, 7, v2
	v_and_b32_e32 v37, 0x8000, v37
	v_and_b32_e32 v36, 0xfc00, v36
	v_or3_b32 v36, v37, v36, v2
.LBB275_412:                            ;   in Loop: Header=BB275_274 Depth=1
	s_or_b32 exec_lo, exec_lo, s19
.LBB275_413:                            ;   in Loop: Header=BB275_274 Depth=1
	s_or_b32 exec_lo, exec_lo, s18
.LBB275_414:                            ;   in Loop: Header=BB275_274 Depth=1
	s_or_b32 exec_lo, exec_lo, s17
	v_lshrrev_b16 v2, 8, v8
	s_mov_b32 s17, exec_lo
	v_cmpx_ne_u16_e32 0, v2
	s_cbranch_execz .LBB275_422
; %bb.415:                              ;   in Loop: Header=BB275_274 Depth=1
	v_bfrev_b32_e32 v35, 1
	s_mov_b32 s18, exec_lo
	v_cmpx_ne_u16_e32 0x80, v2
	s_cbranch_execz .LBB275_421
; %bb.416:                              ;   in Loop: Header=BB275_274 Depth=1
	v_and_b32_sdwa v38, v2, v24 dst_sel:DWORD dst_unused:UNUSED_PAD src0_sel:WORD_0 src1_sel:DWORD
	v_mov_b32_e32 v35, 0x7c010000
	s_mov_b32 s19, exec_lo
	v_cmpx_ne_u32_e32 0x7f, v38
	s_cbranch_execz .LBB275_420
; %bb.417:                              ;   in Loop: Header=BB275_274 Depth=1
	v_and_b32_sdwa v35, v2, v25 dst_sel:DWORD dst_unused:UNUSED_PAD src0_sel:WORD_0 src1_sel:DWORD
	v_lshrrev_b32_e32 v37, 3, v38
	s_mov_b32 s20, exec_lo
	v_cmpx_gt_u32_e32 8, v38
; %bb.418:                              ;   in Loop: Header=BB275_274 Depth=1
	v_ffbh_u32_e32 v35, v35
	v_min_u32_e32 v35, 32, v35
	v_subrev_nc_u32_e32 v37, 28, v35
	v_lshlrev_b64 v[38:39], v37, v[2:3]
	v_sub_nc_u32_e32 v37, 29, v35
	v_and_b32_e32 v35, 7, v38
; %bb.419:                              ;   in Loop: Header=BB275_274 Depth=1
	s_or_b32 exec_lo, exec_lo, s20
	v_lshlrev_b32_sdwa v2, v26, v2 dst_sel:DWORD dst_unused:UNUSED_PAD src0_sel:DWORD src1_sel:WORD_0
	v_lshl_add_u32 v37, v37, 10, 0x2000
	v_lshlrev_b32_e32 v35, 23, v35
	v_and_or_b32 v2, 0x8000, v2, v37
	v_lshl_or_b32 v35, v2, 16, v35
.LBB275_420:                            ;   in Loop: Header=BB275_274 Depth=1
	s_or_b32 exec_lo, exec_lo, s19
.LBB275_421:                            ;   in Loop: Header=BB275_274 Depth=1
	s_or_b32 exec_lo, exec_lo, s18
.LBB275_422:                            ;   in Loop: Header=BB275_274 Depth=1
	s_or_b32 exec_lo, exec_lo, s17
	v_lshrrev_b32_e32 v2, 16, v8
	v_mov_b32_e32 v37, 0
	v_mov_b32_e32 v38, 0
	v_cmp_ne_u16_sdwa s1, v2, v3 src0_sel:BYTE_0 src1_sel:DWORD
	s_and_saveexec_b32 s17, s1
	s_cbranch_execz .LBB275_430
; %bb.423:                              ;   in Loop: Header=BB275_274 Depth=1
	v_cmp_ne_u16_sdwa s1, v2, v23 src0_sel:BYTE_0 src1_sel:DWORD
	v_mov_b32_e32 v38, 0x8000
	s_and_saveexec_b32 s18, s1
	s_cbranch_execz .LBB275_429
; %bb.424:                              ;   in Loop: Header=BB275_274 Depth=1
	v_bfe_u32 v40, v8, 16, 7
	v_mov_b32_e32 v38, 0x7c01
	s_mov_b32 s19, exec_lo
	v_cmpx_ne_u32_e32 0x7f, v40
	s_cbranch_execz .LBB275_428
; %bb.425:                              ;   in Loop: Header=BB275_274 Depth=1
	v_and_b32_e32 v38, 7, v2
	v_lshrrev_b32_e32 v39, 3, v40
	s_mov_b32 s20, exec_lo
	v_cmpx_gt_u32_e32 8, v40
; %bb.426:                              ;   in Loop: Header=BB275_274 Depth=1
	v_ffbh_u32_e32 v38, v38
	v_min_u32_e32 v40, 32, v38
	v_subrev_nc_u32_e32 v38, 28, v40
	v_lshlrev_b64 v[38:39], v38, v[2:3]
	v_sub_nc_u32_e32 v39, 29, v40
	v_and_b32_e32 v38, 7, v38
; %bb.427:                              ;   in Loop: Header=BB275_274 Depth=1
	s_or_b32 exec_lo, exec_lo, s20
	v_lshlrev_b32_e32 v2, 8, v2
	v_lshl_add_u32 v39, v39, 10, 0x2000
	v_lshlrev_b32_e32 v38, 7, v38
	v_and_b32_e32 v2, 0x8000, v2
	v_and_b32_e32 v39, 0xfc00, v39
	v_or3_b32 v38, v2, v39, v38
.LBB275_428:                            ;   in Loop: Header=BB275_274 Depth=1
	s_or_b32 exec_lo, exec_lo, s19
.LBB275_429:                            ;   in Loop: Header=BB275_274 Depth=1
	s_or_b32 exec_lo, exec_lo, s18
.LBB275_430:                            ;   in Loop: Header=BB275_274 Depth=1
	s_or_b32 exec_lo, exec_lo, s17
	s_mov_b32 s17, exec_lo
	v_cmpx_lt_u32_e32 0xffffff, v8
	s_cbranch_execz .LBB275_438
; %bb.431:                              ;   in Loop: Header=BB275_274 Depth=1
	v_lshrrev_b32_e32 v2, 24, v8
	v_bfrev_b32_e32 v37, 1
	s_mov_b32 s18, exec_lo
	v_cmpx_ne_u32_e32 0x80, v2
	s_cbranch_execz .LBB275_437
; %bb.432:                              ;   in Loop: Header=BB275_274 Depth=1
	v_and_b32_e32 v40, 0x7f, v2
	v_mov_b32_e32 v37, 0x7c010000
	s_mov_b32 s19, exec_lo
	v_cmpx_ne_u32_e32 0x7f, v40
	s_cbranch_execz .LBB275_436
; %bb.433:                              ;   in Loop: Header=BB275_274 Depth=1
	v_and_b32_e32 v37, 7, v2
	v_lshrrev_b32_e32 v39, 3, v40
	s_mov_b32 s20, exec_lo
	v_cmpx_gt_u32_e32 8, v40
; %bb.434:                              ;   in Loop: Header=BB275_274 Depth=1
	v_ffbh_u32_e32 v37, v37
	v_min_u32_e32 v37, 32, v37
	v_subrev_nc_u32_e32 v39, 28, v37
	v_lshlrev_b64 v[40:41], v39, v[2:3]
	v_sub_nc_u32_e32 v39, 29, v37
	v_and_b32_e32 v37, 7, v40
; %bb.435:                              ;   in Loop: Header=BB275_274 Depth=1
	s_or_b32 exec_lo, exec_lo, s20
	v_lshlrev_b32_e32 v2, 8, v2
	v_lshl_add_u32 v39, v39, 10, 0x2000
	v_lshlrev_b32_e32 v37, 23, v37
	v_and_or_b32 v2, 0x8000, v2, v39
	v_lshl_or_b32 v37, v2, 16, v37
.LBB275_436:                            ;   in Loop: Header=BB275_274 Depth=1
	s_or_b32 exec_lo, exec_lo, s19
.LBB275_437:                            ;   in Loop: Header=BB275_274 Depth=1
	s_or_b32 exec_lo, exec_lo, s18
.LBB275_438:                            ;   in Loop: Header=BB275_274 Depth=1
	s_or_b32 exec_lo, exec_lo, s17
	v_mov_b32_e32 v2, v9
	v_cmp_ne_u16_sdwa s1, v9, v3 src0_sel:BYTE_0 src1_sel:DWORD
	v_mov_b32_e32 v39, 0
	v_mov_b32_e32 v40, 0
	s_and_saveexec_b32 s17, s1
	s_cbranch_execz .LBB275_446
; %bb.439:                              ;   in Loop: Header=BB275_274 Depth=1
	v_cmp_ne_u16_sdwa s1, v9, v23 src0_sel:BYTE_0 src1_sel:DWORD
	v_mov_b32_e32 v40, 0x8000
	s_and_saveexec_b32 s18, s1
	s_cbranch_execz .LBB275_445
; %bb.440:                              ;   in Loop: Header=BB275_274 Depth=1
	v_and_b32_e32 v42, 0x7f, v9
	v_mov_b32_e32 v40, 0x7c01
	s_mov_b32 s19, exec_lo
	v_cmpx_ne_u32_e32 0x7f, v42
	s_cbranch_execz .LBB275_444
; %bb.441:                              ;   in Loop: Header=BB275_274 Depth=1
	v_and_b32_e32 v40, 7, v9
	v_lshrrev_b32_e32 v41, 3, v42
	s_mov_b32 s20, exec_lo
	v_cmpx_gt_u32_e32 8, v42
; %bb.442:                              ;   in Loop: Header=BB275_274 Depth=1
	v_ffbh_u32_e32 v40, v40
	v_min_u32_e32 v42, 32, v40
	v_subrev_nc_u32_e32 v40, 28, v42
	v_lshlrev_b64 v[40:41], v40, v[2:3]
	v_sub_nc_u32_e32 v41, 29, v42
	v_and_b32_e32 v40, 7, v40
; %bb.443:                              ;   in Loop: Header=BB275_274 Depth=1
	s_or_b32 exec_lo, exec_lo, s20
	v_lshlrev_b32_e32 v42, 8, v9
	v_lshl_add_u32 v41, v41, 10, 0x2000
	v_lshlrev_b32_e32 v40, 7, v40
	v_and_b32_e32 v42, 0x8000, v42
	v_and_b32_e32 v41, 0xfc00, v41
	v_or3_b32 v40, v42, v41, v40
.LBB275_444:                            ;   in Loop: Header=BB275_274 Depth=1
	s_or_b32 exec_lo, exec_lo, s19
.LBB275_445:                            ;   in Loop: Header=BB275_274 Depth=1
	s_or_b32 exec_lo, exec_lo, s18
.LBB275_446:                            ;   in Loop: Header=BB275_274 Depth=1
	s_or_b32 exec_lo, exec_lo, s17
	v_lshrrev_b16 v2, 8, v2
	v_mov_b32_e32 v41, 0
	s_mov_b32 s17, exec_lo
	v_cmpx_ne_u16_e32 0, v2
	s_cbranch_execz .LBB275_454
; %bb.447:                              ;   in Loop: Header=BB275_274 Depth=1
	v_bfrev_b32_e32 v41, 1
	s_mov_b32 s18, exec_lo
	v_cmpx_ne_u16_e32 0x80, v2
	s_cbranch_execz .LBB275_453
; %bb.448:                              ;   in Loop: Header=BB275_274 Depth=1
	v_and_b32_sdwa v43, v2, v24 dst_sel:DWORD dst_unused:UNUSED_PAD src0_sel:WORD_0 src1_sel:DWORD
	v_mov_b32_e32 v41, 0x7c010000
	s_mov_b32 s19, exec_lo
	v_cmpx_ne_u32_e32 0x7f, v43
	s_cbranch_execz .LBB275_452
; %bb.449:                              ;   in Loop: Header=BB275_274 Depth=1
	v_and_b32_sdwa v41, v2, v25 dst_sel:DWORD dst_unused:UNUSED_PAD src0_sel:WORD_0 src1_sel:DWORD
	v_lshrrev_b32_e32 v42, 3, v43
	s_mov_b32 s20, exec_lo
	v_cmpx_gt_u32_e32 8, v43
; %bb.450:                              ;   in Loop: Header=BB275_274 Depth=1
	v_ffbh_u32_e32 v41, v41
	v_min_u32_e32 v43, 32, v41
	v_subrev_nc_u32_e32 v41, 28, v43
	v_lshlrev_b64 v[41:42], v41, v[2:3]
	v_sub_nc_u32_e32 v42, 29, v43
	v_and_b32_e32 v41, 7, v41
; %bb.451:                              ;   in Loop: Header=BB275_274 Depth=1
	s_or_b32 exec_lo, exec_lo, s20
	v_lshlrev_b32_sdwa v2, v26, v2 dst_sel:DWORD dst_unused:UNUSED_PAD src0_sel:DWORD src1_sel:WORD_0
	v_lshl_add_u32 v42, v42, 10, 0x2000
	v_lshlrev_b32_e32 v41, 23, v41
	v_and_or_b32 v2, 0x8000, v2, v42
	v_lshl_or_b32 v41, v2, 16, v41
.LBB275_452:                            ;   in Loop: Header=BB275_274 Depth=1
	s_or_b32 exec_lo, exec_lo, s19
.LBB275_453:                            ;   in Loop: Header=BB275_274 Depth=1
	s_or_b32 exec_lo, exec_lo, s18
.LBB275_454:                            ;   in Loop: Header=BB275_274 Depth=1
	s_or_b32 exec_lo, exec_lo, s17
	v_lshrrev_b32_e32 v2, 16, v9
	v_cmp_ne_u16_sdwa s1, v2, v3 src0_sel:BYTE_0 src1_sel:DWORD
	s_and_saveexec_b32 s17, s1
	s_cbranch_execz .LBB275_462
; %bb.455:                              ;   in Loop: Header=BB275_274 Depth=1
	v_cmp_ne_u16_sdwa s1, v2, v23 src0_sel:BYTE_0 src1_sel:DWORD
	v_mov_b32_e32 v39, 0x8000
	s_and_saveexec_b32 s18, s1
	s_cbranch_execz .LBB275_461
; %bb.456:                              ;   in Loop: Header=BB275_274 Depth=1
	v_bfe_u32 v43, v9, 16, 7
	v_mov_b32_e32 v39, 0x7c01
	s_mov_b32 s19, exec_lo
	v_cmpx_ne_u32_e32 0x7f, v43
	s_cbranch_execz .LBB275_460
; %bb.457:                              ;   in Loop: Header=BB275_274 Depth=1
	v_and_b32_e32 v39, 7, v2
	v_lshrrev_b32_e32 v42, 3, v43
	s_mov_b32 s20, exec_lo
	v_cmpx_gt_u32_e32 8, v43
; %bb.458:                              ;   in Loop: Header=BB275_274 Depth=1
	v_ffbh_u32_e32 v39, v39
	v_min_u32_e32 v39, 32, v39
	v_subrev_nc_u32_e32 v42, 28, v39
	v_lshlrev_b64 v[43:44], v42, v[2:3]
	v_sub_nc_u32_e32 v42, 29, v39
	v_and_b32_e32 v39, 7, v43
; %bb.459:                              ;   in Loop: Header=BB275_274 Depth=1
	s_or_b32 exec_lo, exec_lo, s20
	v_lshlrev_b32_e32 v2, 8, v2
	v_lshl_add_u32 v42, v42, 10, 0x2000
	v_lshlrev_b32_e32 v39, 7, v39
	v_and_b32_e32 v2, 0x8000, v2
	v_and_b32_e32 v42, 0xfc00, v42
	v_or3_b32 v39, v2, v42, v39
.LBB275_460:                            ;   in Loop: Header=BB275_274 Depth=1
	s_or_b32 exec_lo, exec_lo, s19
.LBB275_461:                            ;   in Loop: Header=BB275_274 Depth=1
	s_or_b32 exec_lo, exec_lo, s18
.LBB275_462:                            ;   in Loop: Header=BB275_274 Depth=1
	s_or_b32 exec_lo, exec_lo, s17
	v_cmp_lt_u64_e64 s1, s[6:7], v[8:9]
	v_mov_b32_e32 v8, 0
	s_and_saveexec_b32 s17, s1
	s_cbranch_execz .LBB275_470
; %bb.463:                              ;   in Loop: Header=BB275_274 Depth=1
	v_lshrrev_b32_e32 v2, 24, v9
	v_bfrev_b32_e32 v8, 1
	s_mov_b32 s18, exec_lo
	v_cmpx_ne_u32_e32 0x80, v2
	s_cbranch_execz .LBB275_469
; %bb.464:                              ;   in Loop: Header=BB275_274 Depth=1
	v_and_b32_e32 v42, 0x7f, v2
	v_mov_b32_e32 v8, 0x7c010000
	s_mov_b32 s19, exec_lo
	v_cmpx_ne_u32_e32 0x7f, v42
	s_cbranch_execz .LBB275_468
; %bb.465:                              ;   in Loop: Header=BB275_274 Depth=1
	v_and_b32_e32 v8, 7, v2
	v_lshrrev_b32_e32 v9, 3, v42
	s_mov_b32 s20, exec_lo
	v_cmpx_gt_u32_e32 8, v42
; %bb.466:                              ;   in Loop: Header=BB275_274 Depth=1
	v_ffbh_u32_e32 v8, v8
	v_min_u32_e32 v42, 32, v8
	v_subrev_nc_u32_e32 v8, 28, v42
	v_lshlrev_b64 v[8:9], v8, v[2:3]
	v_sub_nc_u32_e32 v9, 29, v42
	v_and_b32_e32 v8, 7, v8
; %bb.467:                              ;   in Loop: Header=BB275_274 Depth=1
	s_or_b32 exec_lo, exec_lo, s20
	v_lshlrev_b32_e32 v2, 8, v2
	v_lshl_add_u32 v9, v9, 10, 0x2000
	v_lshlrev_b32_e32 v8, 23, v8
	v_and_or_b32 v2, 0x8000, v2, v9
	v_lshl_or_b32 v8, v2, 16, v8
.LBB275_468:                            ;   in Loop: Header=BB275_274 Depth=1
	s_or_b32 exec_lo, exec_lo, s19
.LBB275_469:                            ;   in Loop: Header=BB275_274 Depth=1
	s_or_b32 exec_lo, exec_lo, s18
.LBB275_470:                            ;   in Loop: Header=BB275_274 Depth=1
	s_or_b32 exec_lo, exec_lo, s17
	v_or_b32_e32 v2, v37, v38
	s_waitcnt vmcnt(0)
	v_fma_mixlo_f16 v9, v34, v37, 0 op_sel:[0,1,0] op_sel_hi:[0,1,0]
	v_or_b32_e32 v36, v35, v36
	v_fma_mixlo_f16 v35, v34, v35, 0 op_sel:[0,1,0] op_sel_hi:[0,1,0]
	v_or_b32_e32 v38, v41, v40
	v_or_b32_e32 v39, v8, v39
	v_fma_mixlo_f16 v40, v34, v2, 0 op_sel_hi:[0,1,0]
	v_lshlrev_b32_e32 v2, 16, v9
	v_lshlrev_b32_e32 v37, 16, v35
	v_fma_mixlo_f16 v9, v34, v36, 0 op_sel_hi:[0,1,0]
	v_fma_mixlo_f16 v35, v34, v41, 0 op_sel:[0,1,0] op_sel_hi:[0,1,0]
	v_fma_mixlo_f16 v38, v34, v38, 0 op_sel_hi:[0,1,0]
	v_fma_mixlo_f16 v8, v34, v8, 0 op_sel:[0,1,0] op_sel_hi:[0,1,0]
	v_fma_mixlo_f16 v34, v34, v39, 0 op_sel_hi:[0,1,0]
	v_and_b32_e32 v36, 0xffff, v40
	v_and_b32_e32 v41, 0xffff, v9
	v_lshlrev_b32_e32 v9, 16, v35
	v_and_b32_e32 v35, 0xffff, v38
	v_lshlrev_b32_e32 v8, 16, v8
	v_and_b32_e32 v34, 0xffff, v34
	v_or_b32_e32 v38, v2, v36
	v_or_b32_e32 v42, v37, v41
	;; [unrolled: 1-line block ×4, first 2 shown]
	s_and_saveexec_b32 s17, s0
	s_cbranch_execz .LBB275_472
; %bb.471:                              ;   in Loop: Header=BB275_274 Depth=1
	v_add_nc_u32_e32 v38, -6, v21
	v_cmp_gt_i32_e64 s1, s27, v27
	v_add_nc_u32_e32 v39, -5, v21
	v_cndmask_b32_e64 v40, 0, v41, s1
	v_cmp_gt_i32_e64 s1, s27, v38
	v_add_nc_u32_e32 v38, -4, v21
	v_add_nc_u32_e32 v41, -2, v21
	v_cndmask_b32_e64 v37, 0, v37, s1
	v_cmp_gt_i32_e64 s1, s27, v39
	v_add_nc_u32_e32 v39, -3, v21
	v_or_b32_e32 v42, v37, v40
	v_cndmask_b32_e64 v36, 0, v36, s1
	v_cmp_gt_i32_e64 s1, s27, v38
	v_add_nc_u32_e32 v38, -1, v21
	v_cndmask_b32_e64 v2, 0, v2, s1
	v_cmp_gt_i32_e64 s1, s27, v39
	v_cndmask_b32_e64 v35, 0, v35, s1
	v_cmp_gt_i32_e64 s1, s27, v41
	;; [unrolled: 2-line block ×3, first 2 shown]
	v_or_b32_e32 v38, v2, v36
	v_or_b32_e32 v40, v9, v35
	v_cndmask_b32_e64 v34, 0, v34, s1
	v_cmp_gt_i32_e64 s1, s27, v21
	v_cndmask_b32_e64 v8, 0, v8, s1
	v_or_b32_e32 v39, v8, v34
.LBB275_472:                            ;   in Loop: Header=BB275_274 Depth=1
	s_or_b32 exec_lo, exec_lo, s17
	;;#ASMSTART
	v_pk_mul_f16 v2, v33, v42;

	;;#ASMEND
	;;#ASMSTART
	v_pk_mul_f16 v8, v32, v38;

	;;#ASMEND
	;;#ASMSTART
	v_pk_mul_f16 v9, v31, v40;

	;;#ASMEND
	;;#ASMSTART
	v_pk_mul_f16 v34, v30, v39;

	;;#ASMEND
	;;#ASMSTART
	v_pk_add_f16 v2, v2, v8;

	;;#ASMEND
	;;#ASMSTART
	v_pk_add_f16 v2, v2, v9;

	;;#ASMEND
	;;#ASMSTART
	v_pk_add_f16 v2, v2, v34;

	;;#ASMEND
	v_and_b32_e32 v8, 0xffff, v2
	v_lshrrev_b32_e32 v2, 16, v2
	;;#ASMSTART
	v_cvt_f32_f16 v8, v8;
	;;#ASMEND
	;;#ASMSTART
	v_cvt_f32_f16 v9, v2;
	;;#ASMEND
	s_and_saveexec_b32 s17, vcc_lo
	s_cbranch_execz .LBB275_273
; %bb.473:                              ;   in Loop: Header=BB275_274 Depth=1
	v_add_co_u32 v6, s1, v6, v20
	v_add_co_ci_u32_e64 v7, null, 0, v7, s1
	v_mov_b32_e32 v35, 0
	v_mov_b32_e32 v36, 0
	global_load_dwordx2 v[6:7], v[6:7], off
	global_load_dword v34, v35, s[14:15]
	s_waitcnt vmcnt(1)
	v_cmp_ne_u16_sdwa s1, v6, v3 src0_sel:BYTE_0 src1_sel:DWORD
	s_and_saveexec_b32 s18, s1
	s_cbranch_execz .LBB275_481
; %bb.474:                              ;   in Loop: Header=BB275_274 Depth=1
	v_cmp_ne_u16_sdwa s1, v6, v23 src0_sel:BYTE_0 src1_sel:DWORD
	v_mov_b32_e32 v36, 0x8000
	s_and_saveexec_b32 s19, s1
	s_cbranch_execz .LBB275_480
; %bb.475:                              ;   in Loop: Header=BB275_274 Depth=1
	v_and_b32_e32 v37, 0x7f, v6
	v_mov_b32_e32 v36, 0x7c01
	s_mov_b32 s20, exec_lo
	v_cmpx_ne_u32_e32 0x7f, v37
	s_cbranch_execz .LBB275_479
; %bb.476:                              ;   in Loop: Header=BB275_274 Depth=1
	v_and_b32_e32 v2, 7, v6
	v_lshrrev_b32_e32 v36, 3, v37
	s_mov_b32 s21, exec_lo
	v_cmpx_gt_u32_e32 8, v37
; %bb.477:                              ;   in Loop: Header=BB275_274 Depth=1
	v_ffbh_u32_e32 v2, v2
	v_min_u32_e32 v2, 32, v2
	v_subrev_nc_u32_e32 v36, 28, v2
	v_lshlrev_b64 v[37:38], v36, v[6:7]
	v_sub_nc_u32_e32 v36, 29, v2
	v_and_b32_e32 v2, 7, v37
; %bb.478:                              ;   in Loop: Header=BB275_274 Depth=1
	s_or_b32 exec_lo, exec_lo, s21
	v_lshlrev_b32_e32 v37, 8, v6
	v_lshl_add_u32 v36, v36, 10, 0x2000
	v_lshlrev_b32_e32 v2, 7, v2
	v_and_b32_e32 v37, 0x8000, v37
	v_and_b32_e32 v36, 0xfc00, v36
	v_or3_b32 v36, v37, v36, v2
.LBB275_479:                            ;   in Loop: Header=BB275_274 Depth=1
	s_or_b32 exec_lo, exec_lo, s20
.LBB275_480:                            ;   in Loop: Header=BB275_274 Depth=1
	s_or_b32 exec_lo, exec_lo, s19
.LBB275_481:                            ;   in Loop: Header=BB275_274 Depth=1
	s_or_b32 exec_lo, exec_lo, s18
	v_lshrrev_b16 v2, 8, v6
	s_mov_b32 s18, exec_lo
	v_cmpx_ne_u16_e32 0, v2
	s_cbranch_execz .LBB275_489
; %bb.482:                              ;   in Loop: Header=BB275_274 Depth=1
	v_bfrev_b32_e32 v35, 1
	s_mov_b32 s19, exec_lo
	v_cmpx_ne_u16_e32 0x80, v2
	s_cbranch_execz .LBB275_488
; %bb.483:                              ;   in Loop: Header=BB275_274 Depth=1
	v_and_b32_sdwa v38, v2, v24 dst_sel:DWORD dst_unused:UNUSED_PAD src0_sel:WORD_0 src1_sel:DWORD
	v_mov_b32_e32 v35, 0x7c010000
	s_mov_b32 s20, exec_lo
	v_cmpx_ne_u32_e32 0x7f, v38
	s_cbranch_execz .LBB275_487
; %bb.484:                              ;   in Loop: Header=BB275_274 Depth=1
	v_and_b32_sdwa v35, v2, v25 dst_sel:DWORD dst_unused:UNUSED_PAD src0_sel:WORD_0 src1_sel:DWORD
	v_lshrrev_b32_e32 v37, 3, v38
	s_mov_b32 s21, exec_lo
	v_cmpx_gt_u32_e32 8, v38
; %bb.485:                              ;   in Loop: Header=BB275_274 Depth=1
	v_ffbh_u32_e32 v35, v35
	v_min_u32_e32 v35, 32, v35
	v_subrev_nc_u32_e32 v37, 28, v35
	v_lshlrev_b64 v[38:39], v37, v[2:3]
	v_sub_nc_u32_e32 v37, 29, v35
	v_and_b32_e32 v35, 7, v38
; %bb.486:                              ;   in Loop: Header=BB275_274 Depth=1
	s_or_b32 exec_lo, exec_lo, s21
	v_lshlrev_b32_sdwa v2, v26, v2 dst_sel:DWORD dst_unused:UNUSED_PAD src0_sel:DWORD src1_sel:WORD_0
	v_lshl_add_u32 v37, v37, 10, 0x2000
	v_lshlrev_b32_e32 v35, 23, v35
	v_and_or_b32 v2, 0x8000, v2, v37
	v_lshl_or_b32 v35, v2, 16, v35
.LBB275_487:                            ;   in Loop: Header=BB275_274 Depth=1
	s_or_b32 exec_lo, exec_lo, s20
.LBB275_488:                            ;   in Loop: Header=BB275_274 Depth=1
	s_or_b32 exec_lo, exec_lo, s19
.LBB275_489:                            ;   in Loop: Header=BB275_274 Depth=1
	s_or_b32 exec_lo, exec_lo, s18
	v_lshrrev_b32_e32 v2, 16, v6
	v_mov_b32_e32 v37, 0
	v_mov_b32_e32 v38, 0
	v_cmp_ne_u16_sdwa s1, v2, v3 src0_sel:BYTE_0 src1_sel:DWORD
	s_and_saveexec_b32 s18, s1
	s_cbranch_execz .LBB275_497
; %bb.490:                              ;   in Loop: Header=BB275_274 Depth=1
	v_cmp_ne_u16_sdwa s1, v2, v23 src0_sel:BYTE_0 src1_sel:DWORD
	v_mov_b32_e32 v38, 0x8000
	s_and_saveexec_b32 s19, s1
	s_cbranch_execz .LBB275_496
; %bb.491:                              ;   in Loop: Header=BB275_274 Depth=1
	v_bfe_u32 v40, v6, 16, 7
	v_mov_b32_e32 v38, 0x7c01
	s_mov_b32 s20, exec_lo
	v_cmpx_ne_u32_e32 0x7f, v40
	s_cbranch_execz .LBB275_495
; %bb.492:                              ;   in Loop: Header=BB275_274 Depth=1
	v_and_b32_e32 v38, 7, v2
	v_lshrrev_b32_e32 v39, 3, v40
	s_mov_b32 s21, exec_lo
	v_cmpx_gt_u32_e32 8, v40
; %bb.493:                              ;   in Loop: Header=BB275_274 Depth=1
	v_ffbh_u32_e32 v38, v38
	v_min_u32_e32 v40, 32, v38
	v_subrev_nc_u32_e32 v38, 28, v40
	v_lshlrev_b64 v[38:39], v38, v[2:3]
	v_sub_nc_u32_e32 v39, 29, v40
	v_and_b32_e32 v38, 7, v38
; %bb.494:                              ;   in Loop: Header=BB275_274 Depth=1
	s_or_b32 exec_lo, exec_lo, s21
	v_lshlrev_b32_e32 v2, 8, v2
	v_lshl_add_u32 v39, v39, 10, 0x2000
	v_lshlrev_b32_e32 v38, 7, v38
	v_and_b32_e32 v2, 0x8000, v2
	v_and_b32_e32 v39, 0xfc00, v39
	v_or3_b32 v38, v2, v39, v38
.LBB275_495:                            ;   in Loop: Header=BB275_274 Depth=1
	s_or_b32 exec_lo, exec_lo, s20
.LBB275_496:                            ;   in Loop: Header=BB275_274 Depth=1
	s_or_b32 exec_lo, exec_lo, s19
.LBB275_497:                            ;   in Loop: Header=BB275_274 Depth=1
	s_or_b32 exec_lo, exec_lo, s18
	s_mov_b32 s18, exec_lo
	v_cmpx_lt_u32_e32 0xffffff, v6
	s_cbranch_execz .LBB275_505
; %bb.498:                              ;   in Loop: Header=BB275_274 Depth=1
	v_lshrrev_b32_e32 v2, 24, v6
	v_bfrev_b32_e32 v37, 1
	s_mov_b32 s19, exec_lo
	v_cmpx_ne_u32_e32 0x80, v2
	s_cbranch_execz .LBB275_504
; %bb.499:                              ;   in Loop: Header=BB275_274 Depth=1
	v_and_b32_e32 v40, 0x7f, v2
	v_mov_b32_e32 v37, 0x7c010000
	s_mov_b32 s20, exec_lo
	v_cmpx_ne_u32_e32 0x7f, v40
	s_cbranch_execz .LBB275_503
; %bb.500:                              ;   in Loop: Header=BB275_274 Depth=1
	v_and_b32_e32 v37, 7, v2
	v_lshrrev_b32_e32 v39, 3, v40
	s_mov_b32 s21, exec_lo
	v_cmpx_gt_u32_e32 8, v40
; %bb.501:                              ;   in Loop: Header=BB275_274 Depth=1
	v_ffbh_u32_e32 v37, v37
	v_min_u32_e32 v37, 32, v37
	v_subrev_nc_u32_e32 v39, 28, v37
	v_lshlrev_b64 v[40:41], v39, v[2:3]
	v_sub_nc_u32_e32 v39, 29, v37
	v_and_b32_e32 v37, 7, v40
; %bb.502:                              ;   in Loop: Header=BB275_274 Depth=1
	s_or_b32 exec_lo, exec_lo, s21
	v_lshlrev_b32_e32 v2, 8, v2
	v_lshl_add_u32 v39, v39, 10, 0x2000
	v_lshlrev_b32_e32 v37, 23, v37
	v_and_or_b32 v2, 0x8000, v2, v39
	v_lshl_or_b32 v37, v2, 16, v37
.LBB275_503:                            ;   in Loop: Header=BB275_274 Depth=1
	s_or_b32 exec_lo, exec_lo, s20
.LBB275_504:                            ;   in Loop: Header=BB275_274 Depth=1
	s_or_b32 exec_lo, exec_lo, s19
.LBB275_505:                            ;   in Loop: Header=BB275_274 Depth=1
	s_or_b32 exec_lo, exec_lo, s18
	v_mov_b32_e32 v2, v7
	v_cmp_ne_u16_sdwa s1, v7, v3 src0_sel:BYTE_0 src1_sel:DWORD
	v_mov_b32_e32 v39, 0
	v_mov_b32_e32 v40, 0
	s_and_saveexec_b32 s18, s1
	s_cbranch_execz .LBB275_513
; %bb.506:                              ;   in Loop: Header=BB275_274 Depth=1
	v_cmp_ne_u16_sdwa s1, v7, v23 src0_sel:BYTE_0 src1_sel:DWORD
	v_mov_b32_e32 v40, 0x8000
	s_and_saveexec_b32 s19, s1
	s_cbranch_execz .LBB275_512
; %bb.507:                              ;   in Loop: Header=BB275_274 Depth=1
	v_and_b32_e32 v42, 0x7f, v7
	v_mov_b32_e32 v40, 0x7c01
	s_mov_b32 s20, exec_lo
	v_cmpx_ne_u32_e32 0x7f, v42
	s_cbranch_execz .LBB275_511
; %bb.508:                              ;   in Loop: Header=BB275_274 Depth=1
	v_and_b32_e32 v40, 7, v7
	v_lshrrev_b32_e32 v41, 3, v42
	s_mov_b32 s21, exec_lo
	v_cmpx_gt_u32_e32 8, v42
; %bb.509:                              ;   in Loop: Header=BB275_274 Depth=1
	v_ffbh_u32_e32 v40, v40
	v_min_u32_e32 v42, 32, v40
	v_subrev_nc_u32_e32 v40, 28, v42
	v_lshlrev_b64 v[40:41], v40, v[2:3]
	v_sub_nc_u32_e32 v41, 29, v42
	v_and_b32_e32 v40, 7, v40
; %bb.510:                              ;   in Loop: Header=BB275_274 Depth=1
	s_or_b32 exec_lo, exec_lo, s21
	v_lshlrev_b32_e32 v42, 8, v7
	v_lshl_add_u32 v41, v41, 10, 0x2000
	v_lshlrev_b32_e32 v40, 7, v40
	v_and_b32_e32 v42, 0x8000, v42
	v_and_b32_e32 v41, 0xfc00, v41
	v_or3_b32 v40, v42, v41, v40
.LBB275_511:                            ;   in Loop: Header=BB275_274 Depth=1
	s_or_b32 exec_lo, exec_lo, s20
.LBB275_512:                            ;   in Loop: Header=BB275_274 Depth=1
	s_or_b32 exec_lo, exec_lo, s19
.LBB275_513:                            ;   in Loop: Header=BB275_274 Depth=1
	s_or_b32 exec_lo, exec_lo, s18
	v_lshrrev_b16 v2, 8, v2
	v_mov_b32_e32 v41, 0
	s_mov_b32 s18, exec_lo
	v_cmpx_ne_u16_e32 0, v2
	s_cbranch_execz .LBB275_521
; %bb.514:                              ;   in Loop: Header=BB275_274 Depth=1
	v_bfrev_b32_e32 v41, 1
	s_mov_b32 s19, exec_lo
	v_cmpx_ne_u16_e32 0x80, v2
	s_cbranch_execz .LBB275_520
; %bb.515:                              ;   in Loop: Header=BB275_274 Depth=1
	v_and_b32_sdwa v43, v2, v24 dst_sel:DWORD dst_unused:UNUSED_PAD src0_sel:WORD_0 src1_sel:DWORD
	v_mov_b32_e32 v41, 0x7c010000
	s_mov_b32 s20, exec_lo
	v_cmpx_ne_u32_e32 0x7f, v43
	s_cbranch_execz .LBB275_519
; %bb.516:                              ;   in Loop: Header=BB275_274 Depth=1
	v_and_b32_sdwa v41, v2, v25 dst_sel:DWORD dst_unused:UNUSED_PAD src0_sel:WORD_0 src1_sel:DWORD
	v_lshrrev_b32_e32 v42, 3, v43
	s_mov_b32 s21, exec_lo
	v_cmpx_gt_u32_e32 8, v43
; %bb.517:                              ;   in Loop: Header=BB275_274 Depth=1
	v_ffbh_u32_e32 v41, v41
	v_min_u32_e32 v43, 32, v41
	v_subrev_nc_u32_e32 v41, 28, v43
	v_lshlrev_b64 v[41:42], v41, v[2:3]
	v_sub_nc_u32_e32 v42, 29, v43
	v_and_b32_e32 v41, 7, v41
; %bb.518:                              ;   in Loop: Header=BB275_274 Depth=1
	s_or_b32 exec_lo, exec_lo, s21
	v_lshlrev_b32_sdwa v2, v26, v2 dst_sel:DWORD dst_unused:UNUSED_PAD src0_sel:DWORD src1_sel:WORD_0
	v_lshl_add_u32 v42, v42, 10, 0x2000
	v_lshlrev_b32_e32 v41, 23, v41
	v_and_or_b32 v2, 0x8000, v2, v42
	v_lshl_or_b32 v41, v2, 16, v41
.LBB275_519:                            ;   in Loop: Header=BB275_274 Depth=1
	s_or_b32 exec_lo, exec_lo, s20
.LBB275_520:                            ;   in Loop: Header=BB275_274 Depth=1
	s_or_b32 exec_lo, exec_lo, s19
.LBB275_521:                            ;   in Loop: Header=BB275_274 Depth=1
	s_or_b32 exec_lo, exec_lo, s18
	v_lshrrev_b32_e32 v2, 16, v7
	v_cmp_ne_u16_sdwa s1, v2, v3 src0_sel:BYTE_0 src1_sel:DWORD
	s_and_saveexec_b32 s18, s1
	s_cbranch_execz .LBB275_529
; %bb.522:                              ;   in Loop: Header=BB275_274 Depth=1
	v_cmp_ne_u16_sdwa s1, v2, v23 src0_sel:BYTE_0 src1_sel:DWORD
	v_mov_b32_e32 v39, 0x8000
	s_and_saveexec_b32 s19, s1
	s_cbranch_execz .LBB275_528
; %bb.523:                              ;   in Loop: Header=BB275_274 Depth=1
	v_bfe_u32 v43, v7, 16, 7
	v_mov_b32_e32 v39, 0x7c01
	s_mov_b32 s20, exec_lo
	v_cmpx_ne_u32_e32 0x7f, v43
	s_cbranch_execz .LBB275_527
; %bb.524:                              ;   in Loop: Header=BB275_274 Depth=1
	v_and_b32_e32 v39, 7, v2
	v_lshrrev_b32_e32 v42, 3, v43
	s_mov_b32 s21, exec_lo
	v_cmpx_gt_u32_e32 8, v43
; %bb.525:                              ;   in Loop: Header=BB275_274 Depth=1
	v_ffbh_u32_e32 v39, v39
	v_min_u32_e32 v39, 32, v39
	v_subrev_nc_u32_e32 v42, 28, v39
	v_lshlrev_b64 v[43:44], v42, v[2:3]
	v_sub_nc_u32_e32 v42, 29, v39
	v_and_b32_e32 v39, 7, v43
; %bb.526:                              ;   in Loop: Header=BB275_274 Depth=1
	s_or_b32 exec_lo, exec_lo, s21
	v_lshlrev_b32_e32 v2, 8, v2
	v_lshl_add_u32 v42, v42, 10, 0x2000
	v_lshlrev_b32_e32 v39, 7, v39
	v_and_b32_e32 v2, 0x8000, v2
	v_and_b32_e32 v42, 0xfc00, v42
	v_or3_b32 v39, v2, v42, v39
.LBB275_527:                            ;   in Loop: Header=BB275_274 Depth=1
	s_or_b32 exec_lo, exec_lo, s20
.LBB275_528:                            ;   in Loop: Header=BB275_274 Depth=1
	s_or_b32 exec_lo, exec_lo, s19
.LBB275_529:                            ;   in Loop: Header=BB275_274 Depth=1
	s_or_b32 exec_lo, exec_lo, s18
	v_cmp_lt_u64_e64 s1, s[6:7], v[6:7]
	v_mov_b32_e32 v6, 0
	s_and_saveexec_b32 s18, s1
	s_cbranch_execz .LBB275_537
; %bb.530:                              ;   in Loop: Header=BB275_274 Depth=1
	v_lshrrev_b32_e32 v2, 24, v7
	v_bfrev_b32_e32 v6, 1
	s_mov_b32 s19, exec_lo
	v_cmpx_ne_u32_e32 0x80, v2
	s_cbranch_execz .LBB275_536
; %bb.531:                              ;   in Loop: Header=BB275_274 Depth=1
	v_and_b32_e32 v42, 0x7f, v2
	v_mov_b32_e32 v6, 0x7c010000
	s_mov_b32 s20, exec_lo
	v_cmpx_ne_u32_e32 0x7f, v42
	s_cbranch_execz .LBB275_535
; %bb.532:                              ;   in Loop: Header=BB275_274 Depth=1
	v_and_b32_e32 v6, 7, v2
	v_lshrrev_b32_e32 v7, 3, v42
	s_mov_b32 s21, exec_lo
	v_cmpx_gt_u32_e32 8, v42
; %bb.533:                              ;   in Loop: Header=BB275_274 Depth=1
	v_ffbh_u32_e32 v6, v6
	v_min_u32_e32 v42, 32, v6
	v_subrev_nc_u32_e32 v6, 28, v42
	v_lshlrev_b64 v[6:7], v6, v[2:3]
	v_sub_nc_u32_e32 v7, 29, v42
	v_and_b32_e32 v6, 7, v6
; %bb.534:                              ;   in Loop: Header=BB275_274 Depth=1
	s_or_b32 exec_lo, exec_lo, s21
	v_lshlrev_b32_e32 v2, 8, v2
	v_lshl_add_u32 v7, v7, 10, 0x2000
	v_lshlrev_b32_e32 v6, 23, v6
	v_and_or_b32 v2, 0x8000, v2, v7
	v_lshl_or_b32 v6, v2, 16, v6
.LBB275_535:                            ;   in Loop: Header=BB275_274 Depth=1
	s_or_b32 exec_lo, exec_lo, s20
.LBB275_536:                            ;   in Loop: Header=BB275_274 Depth=1
	s_or_b32 exec_lo, exec_lo, s19
.LBB275_537:                            ;   in Loop: Header=BB275_274 Depth=1
	s_or_b32 exec_lo, exec_lo, s18
	v_or_b32_e32 v2, v37, v38
	s_waitcnt vmcnt(0)
	v_fma_mixlo_f16 v7, v34, v37, 0 op_sel:[0,1,0] op_sel_hi:[0,1,0]
	v_or_b32_e32 v36, v35, v36
	v_fma_mixlo_f16 v35, v34, v35, 0 op_sel:[0,1,0] op_sel_hi:[0,1,0]
	v_or_b32_e32 v38, v41, v40
	v_or_b32_e32 v39, v6, v39
	v_fma_mixlo_f16 v40, v34, v2, 0 op_sel_hi:[0,1,0]
	v_lshlrev_b32_e32 v2, 16, v7
	v_lshlrev_b32_e32 v37, 16, v35
	v_fma_mixlo_f16 v7, v34, v36, 0 op_sel_hi:[0,1,0]
	v_fma_mixlo_f16 v35, v34, v41, 0 op_sel:[0,1,0] op_sel_hi:[0,1,0]
	v_fma_mixlo_f16 v38, v34, v38, 0 op_sel_hi:[0,1,0]
	v_fma_mixlo_f16 v6, v34, v6, 0 op_sel:[0,1,0] op_sel_hi:[0,1,0]
	v_fma_mixlo_f16 v34, v34, v39, 0 op_sel_hi:[0,1,0]
	v_and_b32_e32 v36, 0xffff, v40
	v_and_b32_e32 v42, 0xffff, v7
	v_lshlrev_b32_e32 v7, 16, v35
	v_and_b32_e32 v35, 0xffff, v38
	v_lshlrev_b32_e32 v6, 16, v6
	v_and_b32_e32 v34, 0xffff, v34
	v_or_b32_e32 v40, v2, v36
	v_or_b32_e32 v41, v37, v42
	;; [unrolled: 1-line block ×4, first 2 shown]
	s_and_saveexec_b32 s1, s0
	s_cbranch_execz .LBB275_272
; %bb.538:                              ;   in Loop: Header=BB275_274 Depth=1
	v_add_nc_u32_e32 v38, -6, v21
	v_cmp_gt_i32_e64 s0, s27, v27
	v_add_nc_u32_e32 v39, -5, v21
	v_add_nc_u32_e32 v40, -2, v21
	v_cndmask_b32_e64 v27, 0, v42, s0
	v_cmp_gt_i32_e64 s0, s27, v38
	v_add_nc_u32_e32 v38, -4, v21
	v_cndmask_b32_e64 v37, 0, v37, s0
	v_cmp_gt_i32_e64 s0, s27, v39
	v_add_nc_u32_e32 v39, -3, v21
	v_or_b32_e32 v41, v37, v27
	v_cndmask_b32_e64 v36, 0, v36, s0
	v_cmp_gt_i32_e64 s0, s27, v38
	v_add_nc_u32_e32 v38, -1, v21
	v_cndmask_b32_e64 v2, 0, v2, s0
	v_cmp_gt_i32_e64 s0, s27, v39
	v_cndmask_b32_e64 v35, 0, v35, s0
	v_cmp_gt_i32_e64 s0, s27, v40
	v_or_b32_e32 v40, v2, v36
	v_cndmask_b32_e64 v7, 0, v7, s0
	v_cmp_gt_i32_e64 s0, s27, v38
	v_or_b32_e32 v39, v7, v35
	v_cndmask_b32_e64 v34, 0, v34, s0
	v_cmp_gt_i32_e64 s0, s27, v21
	v_cndmask_b32_e64 v6, 0, v6, s0
	v_or_b32_e32 v38, v6, v34
	s_branch .LBB275_272
.LBB275_539:
	s_or_b32 exec_lo, exec_lo, s13
.LBB275_540:
	s_or_b32 exec_lo, exec_lo, s3
	s_movk_i32 s0, 0x1e0
	v_and_b32_e32 v1, 0x3c0, v0
	v_mad_u32_u24 v4, v12, s0, 0x110
	v_or_b32_e32 v3, 0x60, v0
	s_mov_b32 s0, exec_lo
	s_waitcnt_vscnt null, 0x0
	s_barrier
	buffer_gl0_inv
	v_cmpx_eq_u32_e32 64, v1
	s_cbranch_execz .LBB275_543
; %bb.541:
	v_add_nc_u32_e32 v1, 0xfffffc40, v4
	v_cmp_gt_u32_e32 vcc_lo, 0x78, v3
	v_lshl_add_u32 v2, v13, 2, v1
	ds_write2_b32 v2, v18, v17 offset1:32
	ds_write_b32 v2, v16 offset:256
	s_and_b32 exec_lo, exec_lo, vcc_lo
; %bb.542:
	v_lshl_add_u32 v1, v3, 2, v1
	ds_write_b32 v1, v15
.LBB275_543:
	s_or_b32 exec_lo, exec_lo, s0
	v_lshl_add_u32 v5, v13, 2, v4
	s_mov_b32 s0, exec_lo
	s_waitcnt lgkmcnt(0)
	s_barrier
	buffer_gl0_inv
	v_cmpx_gt_u32_e32 64, v0
	s_cbranch_execz .LBB275_547
; %bb.544:
	v_lshl_or_b32 v1, v0, 2, 0x80
	s_mov_b32 s1, exec_lo
	v_add_nc_u32_e32 v6, v4, v1
	ds_read2st64_b32 v[1:2], v5 offset1:1
	ds_read_b32 v6, v6
	v_cmpx_gt_u32_e32 0x78, v3
	s_cbranch_execz .LBB275_546
; %bb.545:
	v_lshl_add_u32 v7, v3, 2, v4
	ds_read_b32 v7, v7
	s_waitcnt lgkmcnt(0)
	v_add_f32_e32 v15, v15, v7
.LBB275_546:
	s_or_b32 exec_lo, exec_lo, s1
	s_waitcnt lgkmcnt(1)
	v_add_f32_e32 v18, v18, v1
	s_waitcnt lgkmcnt(0)
	v_add_f32_e32 v17, v17, v6
	v_add_f32_e32 v16, v16, v2
.LBB275_547:
	s_or_b32 exec_lo, exec_lo, s0
	v_and_b32_e32 v1, 0x3e0, v0
	s_mov_b32 s0, exec_lo
	s_barrier
	buffer_gl0_inv
	v_cmpx_eq_u32_e32 32, v1
	s_cbranch_execz .LBB275_550
; %bb.548:
	v_lshl_add_u32 v1, v13, 2, 0x110
	v_cmp_gt_u32_e32 vcc_lo, 0x78, v3
	ds_write_b32 v1, v18
	ds_write_b32 v14, v17
	ds_write_b32 v1, v16 offset:256
	s_and_b32 exec_lo, exec_lo, vcc_lo
; %bb.549:
	v_lshl_add_u32 v1, v3, 2, 0x110
	ds_write_b32 v1, v15
.LBB275_550:
	s_or_b32 exec_lo, exec_lo, s0
	v_cmp_gt_u32_e32 vcc_lo, 32, v0
	s_waitcnt lgkmcnt(0)
	s_barrier
	buffer_gl0_inv
	s_and_saveexec_b32 s1, vcc_lo
	s_cbranch_execz .LBB275_554
; %bb.551:
	v_lshl_add_u32 v6, v0, 2, v4
	s_mov_b32 s3, exec_lo
	ds_read_b32 v4, v5
	ds_read2_b32 v[1:2], v6 offset0:32 offset1:64
	v_cmpx_gt_u32_e32 0x78, v3
	s_cbranch_execz .LBB275_553
; %bb.552:
	ds_read_b32 v5, v6 offset:384
	s_waitcnt lgkmcnt(0)
	v_add_f32_e32 v15, v15, v5
.LBB275_553:
	s_or_b32 exec_lo, exec_lo, s3
	s_waitcnt lgkmcnt(1)
	v_add_f32_e32 v18, v18, v4
	s_waitcnt lgkmcnt(0)
	v_add_f32_e32 v17, v17, v1
	v_add_f32_e32 v16, v16, v2
.LBB275_554:
	s_or_b32 exec_lo, exec_lo, s1
	s_barrier
	buffer_gl0_inv
	s_and_saveexec_b32 s0, vcc_lo
	s_cbranch_execz .LBB275_557
; %bb.555:
	s_mul_i32 s0, s2, 0x78
	s_mul_i32 s2, s11, s10
	s_ashr_i32 s1, s0, 31
	v_lshlrev_b32_e32 v0, 1, v0
	s_lshl_b64 s[0:1], s[0:1], 1
	v_cmp_gt_u32_e32 vcc_lo, 0x78, v3
	s_add_u32 s4, s24, s0
	s_addc_u32 s5, s25, s1
	s_ashr_i32 s3, s2, 31
	;;#ASMSTART
	v_cvt_f16_f32 v1, v18;

	;;#ASMEND
	s_lshl_b64 s[0:1], s[2:3], 1
	s_mul_i32 s2, s8, 0x78
	s_add_u32 s4, s4, s0
	s_addc_u32 s5, s5, s1
	s_ashr_i32 s3, s2, 31
	s_lshl_b64 s[0:1], s[2:3], 1
	s_add_u32 s0, s4, s0
	s_addc_u32 s1, s5, s1
	global_store_short v0, v1, s[0:1]
	;;#ASMSTART
	v_cvt_f16_f32 v1, v17;

	;;#ASMEND
	global_store_short v0, v1, s[0:1] offset:64
	;;#ASMSTART
	v_cvt_f16_f32 v1, v16;

	;;#ASMEND
	global_store_short v0, v1, s[0:1] offset:128
	s_and_b32 exec_lo, exec_lo, vcc_lo
	s_cbranch_execz .LBB275_557
; %bb.556:
	v_add_co_u32 v0, s0, s0, v0
	v_add_co_ci_u32_e64 v1, null, s1, 0, s0
	;;#ASMSTART
	v_cvt_f16_f32 v2, v15;

	;;#ASMEND
	global_store_short v[0:1], v2, off offset:192
.LBB275_557:
	s_endpgm
	.section	.rodata,"a",@progbits
	.p2align	6, 0x0
	.amdhsa_kernel _ZN4vllm25paged_attention_v2_kernelIthLi120ELi8ELi128ELNS_18Fp8KVCacheDataTypeE1ELb0ELi512EEEvPfS2_PT_PKS3_PKT0_S9_ifPKiSB_iPKfiiiSD_SD_iiiii
		.amdhsa_group_segment_fixed_size 272
		.amdhsa_private_segment_fixed_size 0
		.amdhsa_kernarg_size 400
		.amdhsa_user_sgpr_count 6
		.amdhsa_user_sgpr_private_segment_buffer 1
		.amdhsa_user_sgpr_dispatch_ptr 0
		.amdhsa_user_sgpr_queue_ptr 0
		.amdhsa_user_sgpr_kernarg_segment_ptr 1
		.amdhsa_user_sgpr_dispatch_id 0
		.amdhsa_user_sgpr_flat_scratch_init 0
		.amdhsa_user_sgpr_private_segment_size 0
		.amdhsa_wavefront_size32 1
		.amdhsa_uses_dynamic_stack 0
		.amdhsa_system_sgpr_private_segment_wavefront_offset 0
		.amdhsa_system_sgpr_workgroup_id_x 1
		.amdhsa_system_sgpr_workgroup_id_y 1
		.amdhsa_system_sgpr_workgroup_id_z 1
		.amdhsa_system_sgpr_workgroup_info 0
		.amdhsa_system_vgpr_workitem_id 0
		.amdhsa_next_free_vgpr 78
		.amdhsa_next_free_sgpr 43
		.amdhsa_reserve_vcc 1
		.amdhsa_reserve_flat_scratch 0
		.amdhsa_float_round_mode_32 0
		.amdhsa_float_round_mode_16_64 0
		.amdhsa_float_denorm_mode_32 3
		.amdhsa_float_denorm_mode_16_64 3
		.amdhsa_dx10_clamp 1
		.amdhsa_ieee_mode 1
		.amdhsa_fp16_overflow 0
		.amdhsa_workgroup_processor_mode 1
		.amdhsa_memory_ordered 1
		.amdhsa_forward_progress 1
		.amdhsa_shared_vgpr_count 0
		.amdhsa_exception_fp_ieee_invalid_op 0
		.amdhsa_exception_fp_denorm_src 0
		.amdhsa_exception_fp_ieee_div_zero 0
		.amdhsa_exception_fp_ieee_overflow 0
		.amdhsa_exception_fp_ieee_underflow 0
		.amdhsa_exception_fp_ieee_inexact 0
		.amdhsa_exception_int_div_zero 0
	.end_amdhsa_kernel
	.section	.text._ZN4vllm25paged_attention_v2_kernelIthLi120ELi8ELi128ELNS_18Fp8KVCacheDataTypeE1ELb0ELi512EEEvPfS2_PT_PKS3_PKT0_S9_ifPKiSB_iPKfiiiSD_SD_iiiii,"axG",@progbits,_ZN4vllm25paged_attention_v2_kernelIthLi120ELi8ELi128ELNS_18Fp8KVCacheDataTypeE1ELb0ELi512EEEvPfS2_PT_PKS3_PKT0_S9_ifPKiSB_iPKfiiiSD_SD_iiiii,comdat
.Lfunc_end275:
	.size	_ZN4vllm25paged_attention_v2_kernelIthLi120ELi8ELi128ELNS_18Fp8KVCacheDataTypeE1ELb0ELi512EEEvPfS2_PT_PKS3_PKT0_S9_ifPKiSB_iPKfiiiSD_SD_iiiii, .Lfunc_end275-_ZN4vllm25paged_attention_v2_kernelIthLi120ELi8ELi128ELNS_18Fp8KVCacheDataTypeE1ELb0ELi512EEEvPfS2_PT_PKS3_PKT0_S9_ifPKiSB_iPKfiiiSD_SD_iiiii
                                        ; -- End function
	.set _ZN4vllm25paged_attention_v2_kernelIthLi120ELi8ELi128ELNS_18Fp8KVCacheDataTypeE1ELb0ELi512EEEvPfS2_PT_PKS3_PKT0_S9_ifPKiSB_iPKfiiiSD_SD_iiiii.num_vgpr, 78
	.set _ZN4vllm25paged_attention_v2_kernelIthLi120ELi8ELi128ELNS_18Fp8KVCacheDataTypeE1ELb0ELi512EEEvPfS2_PT_PKS3_PKT0_S9_ifPKiSB_iPKfiiiSD_SD_iiiii.num_agpr, 0
	.set _ZN4vllm25paged_attention_v2_kernelIthLi120ELi8ELi128ELNS_18Fp8KVCacheDataTypeE1ELb0ELi512EEEvPfS2_PT_PKS3_PKT0_S9_ifPKiSB_iPKfiiiSD_SD_iiiii.numbered_sgpr, 43
	.set _ZN4vllm25paged_attention_v2_kernelIthLi120ELi8ELi128ELNS_18Fp8KVCacheDataTypeE1ELb0ELi512EEEvPfS2_PT_PKS3_PKT0_S9_ifPKiSB_iPKfiiiSD_SD_iiiii.num_named_barrier, 0
	.set _ZN4vllm25paged_attention_v2_kernelIthLi120ELi8ELi128ELNS_18Fp8KVCacheDataTypeE1ELb0ELi512EEEvPfS2_PT_PKS3_PKT0_S9_ifPKiSB_iPKfiiiSD_SD_iiiii.private_seg_size, 0
	.set _ZN4vllm25paged_attention_v2_kernelIthLi120ELi8ELi128ELNS_18Fp8KVCacheDataTypeE1ELb0ELi512EEEvPfS2_PT_PKS3_PKT0_S9_ifPKiSB_iPKfiiiSD_SD_iiiii.uses_vcc, 1
	.set _ZN4vllm25paged_attention_v2_kernelIthLi120ELi8ELi128ELNS_18Fp8KVCacheDataTypeE1ELb0ELi512EEEvPfS2_PT_PKS3_PKT0_S9_ifPKiSB_iPKfiiiSD_SD_iiiii.uses_flat_scratch, 0
	.set _ZN4vllm25paged_attention_v2_kernelIthLi120ELi8ELi128ELNS_18Fp8KVCacheDataTypeE1ELb0ELi512EEEvPfS2_PT_PKS3_PKT0_S9_ifPKiSB_iPKfiiiSD_SD_iiiii.has_dyn_sized_stack, 0
	.set _ZN4vllm25paged_attention_v2_kernelIthLi120ELi8ELi128ELNS_18Fp8KVCacheDataTypeE1ELb0ELi512EEEvPfS2_PT_PKS3_PKT0_S9_ifPKiSB_iPKfiiiSD_SD_iiiii.has_recursion, 0
	.set _ZN4vllm25paged_attention_v2_kernelIthLi120ELi8ELi128ELNS_18Fp8KVCacheDataTypeE1ELb0ELi512EEEvPfS2_PT_PKS3_PKT0_S9_ifPKiSB_iPKfiiiSD_SD_iiiii.has_indirect_call, 0
	.section	.AMDGPU.csdata,"",@progbits
; Kernel info:
; codeLenInByte = 19396
; TotalNumSgprs: 45
; NumVgprs: 78
; ScratchSize: 0
; MemoryBound: 0
; FloatMode: 240
; IeeeMode: 1
; LDSByteSize: 272 bytes/workgroup (compile time only)
; SGPRBlocks: 0
; VGPRBlocks: 9
; NumSGPRsForWavesPerEU: 45
; NumVGPRsForWavesPerEU: 78
; Occupancy: 12
; WaveLimiterHint : 1
; COMPUTE_PGM_RSRC2:SCRATCH_EN: 0
; COMPUTE_PGM_RSRC2:USER_SGPR: 6
; COMPUTE_PGM_RSRC2:TRAP_HANDLER: 0
; COMPUTE_PGM_RSRC2:TGID_X_EN: 1
; COMPUTE_PGM_RSRC2:TGID_Y_EN: 1
; COMPUTE_PGM_RSRC2:TGID_Z_EN: 1
; COMPUTE_PGM_RSRC2:TIDIG_COMP_CNT: 0
	.section	.text._ZN4vllm25paged_attention_v2_kernelIthLi128ELi8ELi128ELNS_18Fp8KVCacheDataTypeE1ELb0ELi512EEEvPfS2_PT_PKS3_PKT0_S9_ifPKiSB_iPKfiiiSD_SD_iiiii,"axG",@progbits,_ZN4vllm25paged_attention_v2_kernelIthLi128ELi8ELi128ELNS_18Fp8KVCacheDataTypeE1ELb0ELi512EEEvPfS2_PT_PKS3_PKT0_S9_ifPKiSB_iPKfiiiSD_SD_iiiii,comdat
	.protected	_ZN4vllm25paged_attention_v2_kernelIthLi128ELi8ELi128ELNS_18Fp8KVCacheDataTypeE1ELb0ELi512EEEvPfS2_PT_PKS3_PKT0_S9_ifPKiSB_iPKfiiiSD_SD_iiiii ; -- Begin function _ZN4vllm25paged_attention_v2_kernelIthLi128ELi8ELi128ELNS_18Fp8KVCacheDataTypeE1ELb0ELi512EEEvPfS2_PT_PKS3_PKT0_S9_ifPKiSB_iPKfiiiSD_SD_iiiii
	.globl	_ZN4vllm25paged_attention_v2_kernelIthLi128ELi8ELi128ELNS_18Fp8KVCacheDataTypeE1ELb0ELi512EEEvPfS2_PT_PKS3_PKT0_S9_ifPKiSB_iPKfiiiSD_SD_iiiii
	.p2align	8
	.type	_ZN4vllm25paged_attention_v2_kernelIthLi128ELi8ELi128ELNS_18Fp8KVCacheDataTypeE1ELb0ELi512EEEvPfS2_PT_PKS3_PKT0_S9_ifPKiSB_iPKfiiiSD_SD_iiiii,@function
_ZN4vllm25paged_attention_v2_kernelIthLi128ELi8ELi128ELNS_18Fp8KVCacheDataTypeE1ELb0ELi512EEEvPfS2_PT_PKS3_PKT0_S9_ifPKiSB_iPKfiiiSD_SD_iiiii: ; @_ZN4vllm25paged_attention_v2_kernelIthLi128ELi8ELi128ELNS_18Fp8KVCacheDataTypeE1ELb0ELi512EEEvPfS2_PT_PKS3_PKT0_S9_ifPKiSB_iPKfiiiSD_SD_iiiii
; %bb.0:
	s_load_dwordx2 s[0:1], s[4:5], 0x40
	s_mov_b32 s26, s7
	s_ashr_i32 s27, s7, 31
	s_lshl_b64 s[2:3], s[26:27], 2
	s_waitcnt lgkmcnt(0)
	s_add_u32 s0, s0, s2
	s_addc_u32 s1, s1, s3
	s_lshl_b32 s33, s8, 9
	s_load_dword s27, s[0:1], 0x0
	s_waitcnt lgkmcnt(0)
	s_cmp_ge_i32 s33, s27
	s_cbranch_scc1 .LBB276_564
; %bb.1:
	s_clause 0x1
	s_load_dword s9, s[4:5], 0x90
	s_load_dwordx2 s[36:37], s[4:5], 0x30
	s_waitcnt lgkmcnt(0)
	s_abs_i32 s3, s9
	s_abs_i32 s0, s36
	v_cvt_f32_u32_e32 v1, s0
	s_sub_i32 s2, 0, s0
	v_rcp_iflag_f32_e32 v1, v1
	v_mul_f32_e32 v1, 0x4f7ffffe, v1
	v_cvt_u32_f32_e32 v1, v1
	v_readfirstlane_b32 s1, v1
	s_mul_i32 s2, s2, s1
	s_mul_hi_u32 s2, s1, s2
	s_add_i32 s1, s1, s2
	s_xor_b32 s2, s9, s36
	s_mul_hi_u32 s1, s3, s1
	s_ashr_i32 s2, s2, 31
	s_mul_i32 s7, s1, s0
	s_mov_b32 s36, 0
	s_sub_i32 s3, s3, s7
	s_add_i32 s7, s1, 1
	s_sub_i32 s10, s3, s0
	s_cmp_ge_u32 s3, s0
	s_cselect_b32 s1, s7, s1
	s_cselect_b32 s3, s10, s3
	s_add_i32 s7, s1, 1
	s_cmp_ge_u32 s3, s0
	s_cselect_b32 s0, s7, s1
	s_abs_i32 s12, s6
	s_xor_b32 s0, s0, s2
	s_sub_i32 s10, s0, s2
	s_load_dwordx2 s[0:1], s[4:5], 0x50
	s_abs_i32 s2, s10
	v_cvt_f32_u32_e32 v1, s2
	s_sub_i32 s7, 0, s2
	v_rcp_iflag_f32_e32 v1, v1
	v_mul_f32_e32 v1, 0x4f7ffffe, v1
	v_cvt_u32_f32_e32 v1, v1
	v_readfirstlane_b32 s3, v1
	s_mul_i32 s7, s7, s3
	s_mul_hi_u32 s7, s3, s7
	s_add_i32 s3, s3, s7
	s_waitcnt lgkmcnt(0)
	s_cmp_eq_u64 s[0:1], 0
	s_mul_hi_u32 s3, s12, s3
	s_cbranch_scc1 .LBB276_3
; %bb.2:
	s_ashr_i32 s7, s6, 31
	s_lshl_b64 s[14:15], s[6:7], 2
	s_add_u32 s0, s0, s14
	s_addc_u32 s1, s1, s15
	s_load_dword s36, s[0:1], 0x0
.LBB276_3:
	s_load_dwordx4 s[16:19], s[4:5], 0x58
	v_and_b32_e32 v3, 3, v0
	v_cmp_gt_u32_e64 s0, 64, v0
	s_ashr_i32 s1, s6, 31
	s_ashr_i32 s7, s10, 31
	s_lshl_b32 s10, s6, 7
	s_and_saveexec_b32 s13, s0
	s_cbranch_execz .LBB276_5
; %bb.4:
	s_load_dwordx2 s[14:15], s[4:5], 0x18
	s_waitcnt lgkmcnt(0)
	s_mul_i32 s20, s16, s26
	v_lshlrev_b32_e32 v1, 2, v0
	s_ashr_i32 s21, s20, 31
	v_and_b32_e32 v2, 0x3fc, v0
	s_lshl_b64 s[20:21], s[20:21], 1
	v_lshl_add_u32 v2, v3, 6, v2
	s_add_u32 s16, s14, s20
	s_addc_u32 s19, s15, s21
	s_ashr_i32 s11, s10, 31
	s_lshl_b64 s[14:15], s[10:11], 1
	s_add_u32 s14, s16, s14
	s_addc_u32 s15, s19, s15
	global_load_dword v1, v1, s[14:15]
	s_waitcnt vmcnt(0)
	ds_write_b32 v2, v1
.LBB276_5:
	s_or_b32 exec_lo, exec_lo, s13
	s_add_i32 s11, s27, 7
	s_waitcnt lgkmcnt(0)
	s_lshl_b32 s19, s8, 6
	s_ashr_i32 s13, s11, 31
	s_xor_b32 s1, s1, s7
	s_lshr_b32 s13, s13, 29
	s_add_i32 s7, s19, 64
	s_add_i32 s11, s11, s13
	s_mul_i32 s13, s3, s2
	s_ashr_i32 s16, s11, 3
	s_sub_i32 s12, s12, s13
	s_min_i32 s11, s7, s16
	s_clause 0x1
	s_load_dwordx2 s[28:29], s[4:5], 0x38
	s_load_dword s7, s[4:5], 0x48
	s_add_i32 s13, s3, 1
	s_sub_i32 s14, s12, s2
	s_cmp_ge_u32 s12, s2
	v_lshrrev_b32_e32 v12, 5, v0
	s_cselect_b32 s3, s13, s3
	s_cselect_b32 s12, s14, s12
	s_add_i32 s13, s3, 1
	s_cmp_ge_u32 s12, s2
	v_or_b32_e32 v1, s19, v12
	s_cselect_b32 s2, s13, s3
	v_mbcnt_lo_u32_b32 v13, -1, 0
	s_xor_b32 s2, s2, s1
	s_mov_b32 s3, exec_lo
	s_sub_i32 s2, s2, s1
	v_cmp_gt_i32_e64 s1, s11, v1
	s_waitcnt lgkmcnt(0)
	s_barrier
	buffer_gl0_inv
                                        ; implicit-def: $vgpr4
                                        ; implicit-def: $vgpr15
	s_mul_i32 s30, s7, s26
	s_ashr_i32 s31, s30, 31
	v_cmpx_le_i32_e64 s11, v1
	s_xor_b32 s3, exec_lo, s3
; %bb.6:
	v_mov_b32_e32 v4, 0
	v_mbcnt_lo_u32_b32 v13, -1, 0
	v_mov_b32_e32 v15, 32
                                        ; implicit-def: $vgpr3
; %bb.7:
	s_or_saveexec_b32 s38, s3
	s_clause 0x4
	s_load_dwordx4 s[20:23], s[4:5], 0x0
	s_load_dwordx2 s[24:25], s[4:5], 0x10
	s_load_dword s7, s[4:5], 0x98
	s_load_dwordx2 s[34:35], s[4:5], 0x28
	s_load_dwordx4 s[12:15], s[4:5], 0x68
	v_mov_b32_e32 v14, 0xff7fffff
	v_ashrrev_i32_e32 v2, 31, v1
	v_lshlrev_b32_e32 v11, 3, v12
	s_mul_i32 s18, s2, s18
	s_xor_b32 exec_lo, exec_lo, s38
	s_cbranch_execz .LBB276_269
; %bb.8:
	s_load_dwordx2 s[4:5], s[4:5], 0x20
	v_bfe_u32 v5, v0, 2, 3
	v_lshlrev_b32_e32 v9, 1, v3
	v_lshlrev_b32_e32 v16, 6, v3
	v_cmp_eq_u32_e32 vcc_lo, 0, v3
	s_ashr_i32 s3, s18, 31
	v_lshlrev_b32_e32 v6, 2, v5
	v_lshlrev_b64 v[7:8], 2, v[1:2]
	v_add3_u32 v17, s33, v11, v5
	v_mov_b32_e32 v4, 0
	v_cmp_neq_f32_e64 s2, s36, 0
	v_lshl_or_b32 v3, v12, 5, v6
	v_lshlrev_b32_e32 v6, 4, v5
	v_mov_b32_e32 v14, 0xff7fffff
	v_mov_b32_e32 v15, 32
	;; [unrolled: 1-line block ×3, first 2 shown]
	v_add_nc_u32_e32 v18, 0x120, v3
	v_mov_b32_e32 v20, 0x7f
	v_mov_b32_e32 v21, 7
	;; [unrolled: 1-line block ×3, first 2 shown]
	s_waitcnt lgkmcnt(0)
	s_add_u32 s4, s4, s18
	s_addc_u32 s3, s5, s3
	v_add_co_u32 v3, s4, s4, v6
	v_add_co_ci_u32_e64 v6, null, s3, 0, s4
	s_lshl_b64 s[40:41], s[30:31], 2
	s_sub_i32 s5, 1, s27
	s_add_u32 s4, s28, s40
	v_add_co_u32 v5, s3, v3, v9
	s_addc_u32 s39, s29, s41
	v_add_co_ci_u32_e64 v6, null, 0, v6, s3
	v_add_co_u32 v7, s3, s4, v7
	v_add_co_ci_u32_e64 v8, null, s39, v8, s3
	v_mov_b32_e32 v23, v1
	s_mov_b32 s40, s17
	s_mov_b32 s39, 0
	s_branch .LBB276_10
.LBB276_9:                              ;   in Loop: Header=BB276_10 Depth=1
	s_or_b32 exec_lo, exec_lo, s4
	v_add_nc_u32_e32 v23, 4, v23
	v_add_co_u32 v7, s4, v7, 16
	v_add_nc_u32_e32 v17, 32, v17
	v_add_nc_u32_e32 v18, 0x80, v18
	v_cmp_le_i32_e64 s3, s11, v23
	v_add_co_ci_u32_e64 v8, null, 0, v8, s4
	s_or_b32 s39, s3, s39
	s_andn2_b32 exec_lo, exec_lo, s39
	s_cbranch_execz .LBB276_268
.LBB276_10:                             ; =>This Inner Loop Header: Depth=1
	global_load_dword v3, v[7:8], off
	s_waitcnt vmcnt(0) lgkmcnt(0)
	v_mad_i64_i32 v[9:10], null, v3, s40, v[5:6]
	global_load_ushort v25, v[9:10], off
	global_load_dword v24, v4, s[12:13]
	s_waitcnt vmcnt(1)
	v_and_b32_e32 v3, 0xffff, v25
	v_cmp_ne_u16_sdwa s3, v25, v4 src0_sel:BYTE_0 src1_sel:DWORD
	v_mov_b32_e32 v25, 0
	s_and_saveexec_b32 s4, s3
	s_cbranch_execz .LBB276_18
; %bb.11:                               ;   in Loop: Header=BB276_10 Depth=1
	v_cmp_ne_u16_sdwa s3, v3, v19 src0_sel:BYTE_0 src1_sel:DWORD
	v_mov_b32_e32 v25, 0x8000
	s_and_saveexec_b32 s41, s3
	s_cbranch_execz .LBB276_17
; %bb.12:                               ;   in Loop: Header=BB276_10 Depth=1
	v_and_b32_e32 v27, 0x7f, v3
	v_mov_b32_e32 v25, 0x7c01
	s_mov_b32 s42, exec_lo
	v_cmpx_ne_u32_e32 0x7f, v27
	s_cbranch_execz .LBB276_16
; %bb.13:                               ;   in Loop: Header=BB276_10 Depth=1
	v_and_b32_e32 v25, 7, v3
	v_lshrrev_b32_e32 v26, 3, v27
	s_mov_b32 s43, exec_lo
	v_cmpx_gt_u32_e32 8, v27
; %bb.14:                               ;   in Loop: Header=BB276_10 Depth=1
	v_ffbh_u32_e32 v25, v25
	v_min_u32_e32 v27, 32, v25
	v_subrev_nc_u32_e32 v25, 28, v27
	v_lshlrev_b64 v[25:26], v25, v[3:4]
	v_sub_nc_u32_e32 v26, 29, v27
	v_and_b32_e32 v25, 7, v25
; %bb.15:                               ;   in Loop: Header=BB276_10 Depth=1
	s_or_b32 exec_lo, exec_lo, s43
	v_lshlrev_b32_e32 v27, 8, v3
	v_lshl_add_u32 v26, v26, 10, 0x2000
	v_lshlrev_b32_e32 v25, 7, v25
	v_and_b32_e32 v27, 0x8000, v27
	v_and_b32_e32 v26, 0xfc00, v26
	v_or3_b32 v25, v27, v26, v25
.LBB276_16:                             ;   in Loop: Header=BB276_10 Depth=1
	s_or_b32 exec_lo, exec_lo, s42
.LBB276_17:                             ;   in Loop: Header=BB276_10 Depth=1
	s_or_b32 exec_lo, exec_lo, s41
.LBB276_18:                             ;   in Loop: Header=BB276_10 Depth=1
	s_or_b32 exec_lo, exec_lo, s4
	v_lshrrev_b16 v3, 8, v3
	v_mov_b32_e32 v26, 0
	s_mov_b32 s4, exec_lo
	v_cmpx_ne_u16_e32 0, v3
	s_cbranch_execz .LBB276_26
; %bb.19:                               ;   in Loop: Header=BB276_10 Depth=1
	v_bfrev_b32_e32 v26, 1
	s_mov_b32 s41, exec_lo
	v_cmpx_ne_u16_e32 0x80, v3
	s_cbranch_execz .LBB276_25
; %bb.20:                               ;   in Loop: Header=BB276_10 Depth=1
	v_and_b32_sdwa v28, v3, v20 dst_sel:DWORD dst_unused:UNUSED_PAD src0_sel:WORD_0 src1_sel:DWORD
	v_mov_b32_e32 v26, 0x7c010000
	s_mov_b32 s42, exec_lo
	v_cmpx_ne_u32_e32 0x7f, v28
	s_cbranch_execz .LBB276_24
; %bb.21:                               ;   in Loop: Header=BB276_10 Depth=1
	v_and_b32_sdwa v26, v3, v21 dst_sel:DWORD dst_unused:UNUSED_PAD src0_sel:WORD_0 src1_sel:DWORD
	v_lshrrev_b32_e32 v27, 3, v28
	s_mov_b32 s43, exec_lo
	v_cmpx_gt_u32_e32 8, v28
; %bb.22:                               ;   in Loop: Header=BB276_10 Depth=1
	v_ffbh_u32_e32 v26, v26
	v_min_u32_e32 v28, 32, v26
	v_subrev_nc_u32_e32 v26, 28, v28
	v_lshlrev_b64 v[26:27], v26, v[3:4]
	v_sub_nc_u32_e32 v27, 29, v28
	v_and_b32_e32 v26, 7, v26
; %bb.23:                               ;   in Loop: Header=BB276_10 Depth=1
	s_or_b32 exec_lo, exec_lo, s43
	v_lshlrev_b32_sdwa v3, v22, v3 dst_sel:DWORD dst_unused:UNUSED_PAD src0_sel:DWORD src1_sel:WORD_0
	v_lshl_add_u32 v27, v27, 10, 0x2000
	v_lshlrev_b32_e32 v26, 23, v26
	v_and_or_b32 v3, 0x8000, v3, v27
	v_lshl_or_b32 v26, v3, 16, v26
.LBB276_24:                             ;   in Loop: Header=BB276_10 Depth=1
	s_or_b32 exec_lo, exec_lo, s42
.LBB276_25:                             ;   in Loop: Header=BB276_10 Depth=1
	s_or_b32 exec_lo, exec_lo, s41
.LBB276_26:                             ;   in Loop: Header=BB276_10 Depth=1
	s_or_b32 exec_lo, exec_lo, s4
	global_load_ushort v28, v[9:10], off offset:8
	v_mov_b32_e32 v27, 0
	s_waitcnt vmcnt(0)
	v_and_b32_e32 v3, 0xffff, v28
	v_cmp_ne_u16_sdwa s3, v28, v4 src0_sel:BYTE_0 src1_sel:DWORD
	v_mov_b32_e32 v28, 0
	s_and_saveexec_b32 s4, s3
	s_cbranch_execz .LBB276_34
; %bb.27:                               ;   in Loop: Header=BB276_10 Depth=1
	v_cmp_ne_u16_sdwa s3, v3, v19 src0_sel:BYTE_0 src1_sel:DWORD
	v_mov_b32_e32 v28, 0x8000
	s_and_saveexec_b32 s41, s3
	s_cbranch_execz .LBB276_33
; %bb.28:                               ;   in Loop: Header=BB276_10 Depth=1
	v_and_b32_e32 v30, 0x7f, v3
	v_mov_b32_e32 v28, 0x7c01
	s_mov_b32 s42, exec_lo
	v_cmpx_ne_u32_e32 0x7f, v30
	s_cbranch_execz .LBB276_32
; %bb.29:                               ;   in Loop: Header=BB276_10 Depth=1
	v_and_b32_e32 v28, 7, v3
	v_lshrrev_b32_e32 v29, 3, v30
	s_mov_b32 s43, exec_lo
	v_cmpx_gt_u32_e32 8, v30
; %bb.30:                               ;   in Loop: Header=BB276_10 Depth=1
	v_ffbh_u32_e32 v28, v28
	v_min_u32_e32 v30, 32, v28
	v_subrev_nc_u32_e32 v28, 28, v30
	v_lshlrev_b64 v[28:29], v28, v[3:4]
	v_sub_nc_u32_e32 v29, 29, v30
	v_and_b32_e32 v28, 7, v28
; %bb.31:                               ;   in Loop: Header=BB276_10 Depth=1
	s_or_b32 exec_lo, exec_lo, s43
	v_lshlrev_b32_e32 v30, 8, v3
	v_lshl_add_u32 v29, v29, 10, 0x2000
	v_lshlrev_b32_e32 v28, 7, v28
	v_and_b32_e32 v30, 0x8000, v30
	v_and_b32_e32 v29, 0xfc00, v29
	v_or3_b32 v28, v30, v29, v28
.LBB276_32:                             ;   in Loop: Header=BB276_10 Depth=1
	s_or_b32 exec_lo, exec_lo, s42
.LBB276_33:                             ;   in Loop: Header=BB276_10 Depth=1
	s_or_b32 exec_lo, exec_lo, s41
.LBB276_34:                             ;   in Loop: Header=BB276_10 Depth=1
	s_or_b32 exec_lo, exec_lo, s4
	v_lshrrev_b16 v3, 8, v3
	s_mov_b32 s4, exec_lo
	v_cmpx_ne_u16_e32 0, v3
	s_cbranch_execz .LBB276_42
; %bb.35:                               ;   in Loop: Header=BB276_10 Depth=1
	v_bfrev_b32_e32 v27, 1
	s_mov_b32 s41, exec_lo
	v_cmpx_ne_u16_e32 0x80, v3
	s_cbranch_execz .LBB276_41
; %bb.36:                               ;   in Loop: Header=BB276_10 Depth=1
	v_and_b32_sdwa v30, v3, v20 dst_sel:DWORD dst_unused:UNUSED_PAD src0_sel:WORD_0 src1_sel:DWORD
	v_mov_b32_e32 v27, 0x7c010000
	s_mov_b32 s42, exec_lo
	v_cmpx_ne_u32_e32 0x7f, v30
	s_cbranch_execz .LBB276_40
; %bb.37:                               ;   in Loop: Header=BB276_10 Depth=1
	v_and_b32_sdwa v27, v3, v21 dst_sel:DWORD dst_unused:UNUSED_PAD src0_sel:WORD_0 src1_sel:DWORD
	v_lshrrev_b32_e32 v29, 3, v30
	s_mov_b32 s43, exec_lo
	v_cmpx_gt_u32_e32 8, v30
; %bb.38:                               ;   in Loop: Header=BB276_10 Depth=1
	v_ffbh_u32_e32 v27, v27
	v_min_u32_e32 v27, 32, v27
	v_subrev_nc_u32_e32 v29, 28, v27
	v_lshlrev_b64 v[30:31], v29, v[3:4]
	v_sub_nc_u32_e32 v29, 29, v27
	v_and_b32_e32 v27, 7, v30
; %bb.39:                               ;   in Loop: Header=BB276_10 Depth=1
	s_or_b32 exec_lo, exec_lo, s43
	v_lshlrev_b32_sdwa v3, v22, v3 dst_sel:DWORD dst_unused:UNUSED_PAD src0_sel:DWORD src1_sel:WORD_0
	v_lshl_add_u32 v29, v29, 10, 0x2000
	v_lshlrev_b32_e32 v27, 23, v27
	v_and_or_b32 v3, 0x8000, v3, v29
	v_lshl_or_b32 v27, v3, 16, v27
.LBB276_40:                             ;   in Loop: Header=BB276_10 Depth=1
	s_or_b32 exec_lo, exec_lo, s42
.LBB276_41:                             ;   in Loop: Header=BB276_10 Depth=1
	s_or_b32 exec_lo, exec_lo, s41
.LBB276_42:                             ;   in Loop: Header=BB276_10 Depth=1
	s_or_b32 exec_lo, exec_lo, s4
	global_load_ushort v30, v[9:10], off offset:128
	v_mov_b32_e32 v29, 0
	s_waitcnt vmcnt(0)
	v_and_b32_e32 v3, 0xffff, v30
	v_cmp_ne_u16_sdwa s3, v30, v4 src0_sel:BYTE_0 src1_sel:DWORD
	v_mov_b32_e32 v30, 0
	s_and_saveexec_b32 s4, s3
	s_cbranch_execz .LBB276_50
; %bb.43:                               ;   in Loop: Header=BB276_10 Depth=1
	v_cmp_ne_u16_sdwa s3, v3, v19 src0_sel:BYTE_0 src1_sel:DWORD
	v_mov_b32_e32 v30, 0x8000
	s_and_saveexec_b32 s41, s3
	s_cbranch_execz .LBB276_49
; %bb.44:                               ;   in Loop: Header=BB276_10 Depth=1
	v_and_b32_e32 v32, 0x7f, v3
	v_mov_b32_e32 v30, 0x7c01
	s_mov_b32 s42, exec_lo
	v_cmpx_ne_u32_e32 0x7f, v32
	s_cbranch_execz .LBB276_48
; %bb.45:                               ;   in Loop: Header=BB276_10 Depth=1
	v_and_b32_e32 v30, 7, v3
	v_lshrrev_b32_e32 v31, 3, v32
	s_mov_b32 s43, exec_lo
	v_cmpx_gt_u32_e32 8, v32
; %bb.46:                               ;   in Loop: Header=BB276_10 Depth=1
	v_ffbh_u32_e32 v30, v30
	v_min_u32_e32 v32, 32, v30
	v_subrev_nc_u32_e32 v30, 28, v32
	v_lshlrev_b64 v[30:31], v30, v[3:4]
	v_sub_nc_u32_e32 v31, 29, v32
	v_and_b32_e32 v30, 7, v30
; %bb.47:                               ;   in Loop: Header=BB276_10 Depth=1
	s_or_b32 exec_lo, exec_lo, s43
	v_lshlrev_b32_e32 v32, 8, v3
	v_lshl_add_u32 v31, v31, 10, 0x2000
	v_lshlrev_b32_e32 v30, 7, v30
	v_and_b32_e32 v32, 0x8000, v32
	v_and_b32_e32 v31, 0xfc00, v31
	v_or3_b32 v30, v32, v31, v30
.LBB276_48:                             ;   in Loop: Header=BB276_10 Depth=1
	s_or_b32 exec_lo, exec_lo, s42
.LBB276_49:                             ;   in Loop: Header=BB276_10 Depth=1
	s_or_b32 exec_lo, exec_lo, s41
.LBB276_50:                             ;   in Loop: Header=BB276_10 Depth=1
	s_or_b32 exec_lo, exec_lo, s4
	v_lshrrev_b16 v3, 8, v3
	s_mov_b32 s4, exec_lo
	v_cmpx_ne_u16_e32 0, v3
	s_cbranch_execz .LBB276_58
; %bb.51:                               ;   in Loop: Header=BB276_10 Depth=1
	v_bfrev_b32_e32 v29, 1
	s_mov_b32 s41, exec_lo
	v_cmpx_ne_u16_e32 0x80, v3
	s_cbranch_execz .LBB276_57
; %bb.52:                               ;   in Loop: Header=BB276_10 Depth=1
	v_and_b32_sdwa v32, v3, v20 dst_sel:DWORD dst_unused:UNUSED_PAD src0_sel:WORD_0 src1_sel:DWORD
	v_mov_b32_e32 v29, 0x7c010000
	s_mov_b32 s42, exec_lo
	v_cmpx_ne_u32_e32 0x7f, v32
	s_cbranch_execz .LBB276_56
; %bb.53:                               ;   in Loop: Header=BB276_10 Depth=1
	v_and_b32_sdwa v29, v3, v21 dst_sel:DWORD dst_unused:UNUSED_PAD src0_sel:WORD_0 src1_sel:DWORD
	v_lshrrev_b32_e32 v31, 3, v32
	s_mov_b32 s43, exec_lo
	v_cmpx_gt_u32_e32 8, v32
; %bb.54:                               ;   in Loop: Header=BB276_10 Depth=1
	v_ffbh_u32_e32 v29, v29
	v_min_u32_e32 v29, 32, v29
	v_subrev_nc_u32_e32 v31, 28, v29
	v_lshlrev_b64 v[32:33], v31, v[3:4]
	v_sub_nc_u32_e32 v31, 29, v29
	v_and_b32_e32 v29, 7, v32
; %bb.55:                               ;   in Loop: Header=BB276_10 Depth=1
	s_or_b32 exec_lo, exec_lo, s43
	v_lshlrev_b32_sdwa v3, v22, v3 dst_sel:DWORD dst_unused:UNUSED_PAD src0_sel:DWORD src1_sel:WORD_0
	v_lshl_add_u32 v31, v31, 10, 0x2000
	v_lshlrev_b32_e32 v29, 23, v29
	v_and_or_b32 v3, 0x8000, v3, v31
	v_lshl_or_b32 v29, v3, 16, v29
.LBB276_56:                             ;   in Loop: Header=BB276_10 Depth=1
	s_or_b32 exec_lo, exec_lo, s42
.LBB276_57:                             ;   in Loop: Header=BB276_10 Depth=1
	s_or_b32 exec_lo, exec_lo, s41
.LBB276_58:                             ;   in Loop: Header=BB276_10 Depth=1
	s_or_b32 exec_lo, exec_lo, s4
	global_load_ushort v32, v[9:10], off offset:136
	v_mov_b32_e32 v31, 0
	s_waitcnt vmcnt(0)
	v_and_b32_e32 v3, 0xffff, v32
	v_cmp_ne_u16_sdwa s3, v32, v4 src0_sel:BYTE_0 src1_sel:DWORD
	v_mov_b32_e32 v32, 0
	s_and_saveexec_b32 s4, s3
	s_cbranch_execz .LBB276_66
; %bb.59:                               ;   in Loop: Header=BB276_10 Depth=1
	v_cmp_ne_u16_sdwa s3, v3, v19 src0_sel:BYTE_0 src1_sel:DWORD
	v_mov_b32_e32 v32, 0x8000
	s_and_saveexec_b32 s41, s3
	s_cbranch_execz .LBB276_65
; %bb.60:                               ;   in Loop: Header=BB276_10 Depth=1
	v_and_b32_e32 v34, 0x7f, v3
	v_mov_b32_e32 v32, 0x7c01
	s_mov_b32 s42, exec_lo
	v_cmpx_ne_u32_e32 0x7f, v34
	s_cbranch_execz .LBB276_64
; %bb.61:                               ;   in Loop: Header=BB276_10 Depth=1
	v_and_b32_e32 v32, 7, v3
	v_lshrrev_b32_e32 v33, 3, v34
	s_mov_b32 s43, exec_lo
	v_cmpx_gt_u32_e32 8, v34
; %bb.62:                               ;   in Loop: Header=BB276_10 Depth=1
	v_ffbh_u32_e32 v32, v32
	v_min_u32_e32 v34, 32, v32
	v_subrev_nc_u32_e32 v32, 28, v34
	v_lshlrev_b64 v[32:33], v32, v[3:4]
	v_sub_nc_u32_e32 v33, 29, v34
	v_and_b32_e32 v32, 7, v32
; %bb.63:                               ;   in Loop: Header=BB276_10 Depth=1
	s_or_b32 exec_lo, exec_lo, s43
	v_lshlrev_b32_e32 v34, 8, v3
	v_lshl_add_u32 v33, v33, 10, 0x2000
	v_lshlrev_b32_e32 v32, 7, v32
	v_and_b32_e32 v34, 0x8000, v34
	v_and_b32_e32 v33, 0xfc00, v33
	v_or3_b32 v32, v34, v33, v32
.LBB276_64:                             ;   in Loop: Header=BB276_10 Depth=1
	s_or_b32 exec_lo, exec_lo, s42
.LBB276_65:                             ;   in Loop: Header=BB276_10 Depth=1
	s_or_b32 exec_lo, exec_lo, s41
.LBB276_66:                             ;   in Loop: Header=BB276_10 Depth=1
	s_or_b32 exec_lo, exec_lo, s4
	v_lshrrev_b16 v3, 8, v3
	s_mov_b32 s4, exec_lo
	v_cmpx_ne_u16_e32 0, v3
	s_cbranch_execz .LBB276_74
; %bb.67:                               ;   in Loop: Header=BB276_10 Depth=1
	v_bfrev_b32_e32 v31, 1
	s_mov_b32 s41, exec_lo
	v_cmpx_ne_u16_e32 0x80, v3
	s_cbranch_execz .LBB276_73
; %bb.68:                               ;   in Loop: Header=BB276_10 Depth=1
	v_and_b32_sdwa v34, v3, v20 dst_sel:DWORD dst_unused:UNUSED_PAD src0_sel:WORD_0 src1_sel:DWORD
	v_mov_b32_e32 v31, 0x7c010000
	s_mov_b32 s42, exec_lo
	v_cmpx_ne_u32_e32 0x7f, v34
	s_cbranch_execz .LBB276_72
; %bb.69:                               ;   in Loop: Header=BB276_10 Depth=1
	v_and_b32_sdwa v31, v3, v21 dst_sel:DWORD dst_unused:UNUSED_PAD src0_sel:WORD_0 src1_sel:DWORD
	v_lshrrev_b32_e32 v33, 3, v34
	s_mov_b32 s43, exec_lo
	v_cmpx_gt_u32_e32 8, v34
; %bb.70:                               ;   in Loop: Header=BB276_10 Depth=1
	v_ffbh_u32_e32 v31, v31
	v_min_u32_e32 v31, 32, v31
	v_subrev_nc_u32_e32 v33, 28, v31
	v_lshlrev_b64 v[34:35], v33, v[3:4]
	v_sub_nc_u32_e32 v33, 29, v31
	v_and_b32_e32 v31, 7, v34
; %bb.71:                               ;   in Loop: Header=BB276_10 Depth=1
	s_or_b32 exec_lo, exec_lo, s43
	v_lshlrev_b32_sdwa v3, v22, v3 dst_sel:DWORD dst_unused:UNUSED_PAD src0_sel:DWORD src1_sel:WORD_0
	v_lshl_add_u32 v33, v33, 10, 0x2000
	v_lshlrev_b32_e32 v31, 23, v31
	v_and_or_b32 v3, 0x8000, v3, v33
	v_lshl_or_b32 v31, v3, 16, v31
.LBB276_72:                             ;   in Loop: Header=BB276_10 Depth=1
	s_or_b32 exec_lo, exec_lo, s42
.LBB276_73:                             ;   in Loop: Header=BB276_10 Depth=1
	s_or_b32 exec_lo, exec_lo, s41
.LBB276_74:                             ;   in Loop: Header=BB276_10 Depth=1
	s_or_b32 exec_lo, exec_lo, s4
	global_load_ushort v34, v[9:10], off offset:256
	v_mov_b32_e32 v33, 0
	s_waitcnt vmcnt(0)
	v_and_b32_e32 v3, 0xffff, v34
	v_cmp_ne_u16_sdwa s3, v34, v4 src0_sel:BYTE_0 src1_sel:DWORD
	v_mov_b32_e32 v34, 0
	s_and_saveexec_b32 s4, s3
	s_cbranch_execz .LBB276_82
; %bb.75:                               ;   in Loop: Header=BB276_10 Depth=1
	v_cmp_ne_u16_sdwa s3, v3, v19 src0_sel:BYTE_0 src1_sel:DWORD
	v_mov_b32_e32 v34, 0x8000
	s_and_saveexec_b32 s41, s3
	s_cbranch_execz .LBB276_81
; %bb.76:                               ;   in Loop: Header=BB276_10 Depth=1
	v_and_b32_e32 v36, 0x7f, v3
	v_mov_b32_e32 v34, 0x7c01
	s_mov_b32 s42, exec_lo
	v_cmpx_ne_u32_e32 0x7f, v36
	s_cbranch_execz .LBB276_80
; %bb.77:                               ;   in Loop: Header=BB276_10 Depth=1
	v_and_b32_e32 v34, 7, v3
	v_lshrrev_b32_e32 v35, 3, v36
	s_mov_b32 s43, exec_lo
	v_cmpx_gt_u32_e32 8, v36
; %bb.78:                               ;   in Loop: Header=BB276_10 Depth=1
	v_ffbh_u32_e32 v34, v34
	v_min_u32_e32 v36, 32, v34
	v_subrev_nc_u32_e32 v34, 28, v36
	v_lshlrev_b64 v[34:35], v34, v[3:4]
	v_sub_nc_u32_e32 v35, 29, v36
	v_and_b32_e32 v34, 7, v34
; %bb.79:                               ;   in Loop: Header=BB276_10 Depth=1
	s_or_b32 exec_lo, exec_lo, s43
	v_lshlrev_b32_e32 v36, 8, v3
	v_lshl_add_u32 v35, v35, 10, 0x2000
	v_lshlrev_b32_e32 v34, 7, v34
	v_and_b32_e32 v36, 0x8000, v36
	v_and_b32_e32 v35, 0xfc00, v35
	v_or3_b32 v34, v36, v35, v34
.LBB276_80:                             ;   in Loop: Header=BB276_10 Depth=1
	s_or_b32 exec_lo, exec_lo, s42
.LBB276_81:                             ;   in Loop: Header=BB276_10 Depth=1
	s_or_b32 exec_lo, exec_lo, s41
.LBB276_82:                             ;   in Loop: Header=BB276_10 Depth=1
	s_or_b32 exec_lo, exec_lo, s4
	v_lshrrev_b16 v3, 8, v3
	s_mov_b32 s4, exec_lo
	v_cmpx_ne_u16_e32 0, v3
	s_cbranch_execz .LBB276_90
; %bb.83:                               ;   in Loop: Header=BB276_10 Depth=1
	v_bfrev_b32_e32 v33, 1
	s_mov_b32 s41, exec_lo
	v_cmpx_ne_u16_e32 0x80, v3
	s_cbranch_execz .LBB276_89
; %bb.84:                               ;   in Loop: Header=BB276_10 Depth=1
	v_and_b32_sdwa v36, v3, v20 dst_sel:DWORD dst_unused:UNUSED_PAD src0_sel:WORD_0 src1_sel:DWORD
	v_mov_b32_e32 v33, 0x7c010000
	s_mov_b32 s42, exec_lo
	v_cmpx_ne_u32_e32 0x7f, v36
	s_cbranch_execz .LBB276_88
; %bb.85:                               ;   in Loop: Header=BB276_10 Depth=1
	v_and_b32_sdwa v33, v3, v21 dst_sel:DWORD dst_unused:UNUSED_PAD src0_sel:WORD_0 src1_sel:DWORD
	v_lshrrev_b32_e32 v35, 3, v36
	s_mov_b32 s43, exec_lo
	v_cmpx_gt_u32_e32 8, v36
; %bb.86:                               ;   in Loop: Header=BB276_10 Depth=1
	v_ffbh_u32_e32 v33, v33
	v_min_u32_e32 v33, 32, v33
	v_subrev_nc_u32_e32 v35, 28, v33
	v_lshlrev_b64 v[36:37], v35, v[3:4]
	v_sub_nc_u32_e32 v35, 29, v33
	v_and_b32_e32 v33, 7, v36
; %bb.87:                               ;   in Loop: Header=BB276_10 Depth=1
	s_or_b32 exec_lo, exec_lo, s43
	v_lshlrev_b32_sdwa v3, v22, v3 dst_sel:DWORD dst_unused:UNUSED_PAD src0_sel:DWORD src1_sel:WORD_0
	v_lshl_add_u32 v35, v35, 10, 0x2000
	v_lshlrev_b32_e32 v33, 23, v33
	v_and_or_b32 v3, 0x8000, v3, v35
	v_lshl_or_b32 v33, v3, 16, v33
.LBB276_88:                             ;   in Loop: Header=BB276_10 Depth=1
	s_or_b32 exec_lo, exec_lo, s42
.LBB276_89:                             ;   in Loop: Header=BB276_10 Depth=1
	s_or_b32 exec_lo, exec_lo, s41
.LBB276_90:                             ;   in Loop: Header=BB276_10 Depth=1
	s_or_b32 exec_lo, exec_lo, s4
	global_load_ushort v36, v[9:10], off offset:264
	v_mov_b32_e32 v35, 0
	s_waitcnt vmcnt(0)
	v_and_b32_e32 v3, 0xffff, v36
	v_cmp_ne_u16_sdwa s3, v36, v4 src0_sel:BYTE_0 src1_sel:DWORD
	v_mov_b32_e32 v36, 0
	s_and_saveexec_b32 s4, s3
	s_cbranch_execz .LBB276_98
; %bb.91:                               ;   in Loop: Header=BB276_10 Depth=1
	v_cmp_ne_u16_sdwa s3, v3, v19 src0_sel:BYTE_0 src1_sel:DWORD
	v_mov_b32_e32 v36, 0x8000
	s_and_saveexec_b32 s41, s3
	s_cbranch_execz .LBB276_97
; %bb.92:                               ;   in Loop: Header=BB276_10 Depth=1
	v_and_b32_e32 v38, 0x7f, v3
	v_mov_b32_e32 v36, 0x7c01
	s_mov_b32 s42, exec_lo
	v_cmpx_ne_u32_e32 0x7f, v38
	s_cbranch_execz .LBB276_96
; %bb.93:                               ;   in Loop: Header=BB276_10 Depth=1
	v_and_b32_e32 v36, 7, v3
	v_lshrrev_b32_e32 v37, 3, v38
	s_mov_b32 s43, exec_lo
	v_cmpx_gt_u32_e32 8, v38
; %bb.94:                               ;   in Loop: Header=BB276_10 Depth=1
	v_ffbh_u32_e32 v36, v36
	v_min_u32_e32 v38, 32, v36
	v_subrev_nc_u32_e32 v36, 28, v38
	v_lshlrev_b64 v[36:37], v36, v[3:4]
	v_sub_nc_u32_e32 v37, 29, v38
	v_and_b32_e32 v36, 7, v36
; %bb.95:                               ;   in Loop: Header=BB276_10 Depth=1
	s_or_b32 exec_lo, exec_lo, s43
	v_lshlrev_b32_e32 v38, 8, v3
	v_lshl_add_u32 v37, v37, 10, 0x2000
	v_lshlrev_b32_e32 v36, 7, v36
	v_and_b32_e32 v38, 0x8000, v38
	v_and_b32_e32 v37, 0xfc00, v37
	v_or3_b32 v36, v38, v37, v36
.LBB276_96:                             ;   in Loop: Header=BB276_10 Depth=1
	s_or_b32 exec_lo, exec_lo, s42
.LBB276_97:                             ;   in Loop: Header=BB276_10 Depth=1
	s_or_b32 exec_lo, exec_lo, s41
.LBB276_98:                             ;   in Loop: Header=BB276_10 Depth=1
	s_or_b32 exec_lo, exec_lo, s4
	v_lshrrev_b16 v3, 8, v3
	s_mov_b32 s4, exec_lo
	v_cmpx_ne_u16_e32 0, v3
	s_cbranch_execz .LBB276_106
; %bb.99:                               ;   in Loop: Header=BB276_10 Depth=1
	v_bfrev_b32_e32 v35, 1
	s_mov_b32 s41, exec_lo
	v_cmpx_ne_u16_e32 0x80, v3
	s_cbranch_execz .LBB276_105
; %bb.100:                              ;   in Loop: Header=BB276_10 Depth=1
	v_and_b32_sdwa v38, v3, v20 dst_sel:DWORD dst_unused:UNUSED_PAD src0_sel:WORD_0 src1_sel:DWORD
	v_mov_b32_e32 v35, 0x7c010000
	s_mov_b32 s42, exec_lo
	v_cmpx_ne_u32_e32 0x7f, v38
	s_cbranch_execz .LBB276_104
; %bb.101:                              ;   in Loop: Header=BB276_10 Depth=1
	v_and_b32_sdwa v35, v3, v21 dst_sel:DWORD dst_unused:UNUSED_PAD src0_sel:WORD_0 src1_sel:DWORD
	v_lshrrev_b32_e32 v37, 3, v38
	s_mov_b32 s43, exec_lo
	v_cmpx_gt_u32_e32 8, v38
; %bb.102:                              ;   in Loop: Header=BB276_10 Depth=1
	v_ffbh_u32_e32 v35, v35
	v_min_u32_e32 v35, 32, v35
	v_subrev_nc_u32_e32 v37, 28, v35
	v_lshlrev_b64 v[38:39], v37, v[3:4]
	v_sub_nc_u32_e32 v37, 29, v35
	v_and_b32_e32 v35, 7, v38
; %bb.103:                              ;   in Loop: Header=BB276_10 Depth=1
	s_or_b32 exec_lo, exec_lo, s43
	v_lshlrev_b32_sdwa v3, v22, v3 dst_sel:DWORD dst_unused:UNUSED_PAD src0_sel:DWORD src1_sel:WORD_0
	v_lshl_add_u32 v37, v37, 10, 0x2000
	v_lshlrev_b32_e32 v35, 23, v35
	v_and_or_b32 v3, 0x8000, v3, v37
	v_lshl_or_b32 v35, v3, 16, v35
.LBB276_104:                            ;   in Loop: Header=BB276_10 Depth=1
	s_or_b32 exec_lo, exec_lo, s42
.LBB276_105:                            ;   in Loop: Header=BB276_10 Depth=1
	s_or_b32 exec_lo, exec_lo, s41
.LBB276_106:                            ;   in Loop: Header=BB276_10 Depth=1
	s_or_b32 exec_lo, exec_lo, s4
	global_load_ushort v38, v[9:10], off offset:384
	v_mov_b32_e32 v37, 0
	s_waitcnt vmcnt(0)
	v_and_b32_e32 v3, 0xffff, v38
	v_cmp_ne_u16_sdwa s3, v38, v4 src0_sel:BYTE_0 src1_sel:DWORD
	v_mov_b32_e32 v38, 0
	s_and_saveexec_b32 s4, s3
	s_cbranch_execz .LBB276_114
; %bb.107:                              ;   in Loop: Header=BB276_10 Depth=1
	v_cmp_ne_u16_sdwa s3, v3, v19 src0_sel:BYTE_0 src1_sel:DWORD
	v_mov_b32_e32 v38, 0x8000
	s_and_saveexec_b32 s41, s3
	s_cbranch_execz .LBB276_113
; %bb.108:                              ;   in Loop: Header=BB276_10 Depth=1
	v_and_b32_e32 v40, 0x7f, v3
	v_mov_b32_e32 v38, 0x7c01
	s_mov_b32 s42, exec_lo
	v_cmpx_ne_u32_e32 0x7f, v40
	s_cbranch_execz .LBB276_112
; %bb.109:                              ;   in Loop: Header=BB276_10 Depth=1
	v_and_b32_e32 v38, 7, v3
	v_lshrrev_b32_e32 v39, 3, v40
	s_mov_b32 s43, exec_lo
	v_cmpx_gt_u32_e32 8, v40
; %bb.110:                              ;   in Loop: Header=BB276_10 Depth=1
	v_ffbh_u32_e32 v38, v38
	v_min_u32_e32 v40, 32, v38
	v_subrev_nc_u32_e32 v38, 28, v40
	v_lshlrev_b64 v[38:39], v38, v[3:4]
	v_sub_nc_u32_e32 v39, 29, v40
	v_and_b32_e32 v38, 7, v38
; %bb.111:                              ;   in Loop: Header=BB276_10 Depth=1
	s_or_b32 exec_lo, exec_lo, s43
	v_lshlrev_b32_e32 v40, 8, v3
	v_lshl_add_u32 v39, v39, 10, 0x2000
	v_lshlrev_b32_e32 v38, 7, v38
	v_and_b32_e32 v40, 0x8000, v40
	v_and_b32_e32 v39, 0xfc00, v39
	v_or3_b32 v38, v40, v39, v38
.LBB276_112:                            ;   in Loop: Header=BB276_10 Depth=1
	s_or_b32 exec_lo, exec_lo, s42
.LBB276_113:                            ;   in Loop: Header=BB276_10 Depth=1
	s_or_b32 exec_lo, exec_lo, s41
.LBB276_114:                            ;   in Loop: Header=BB276_10 Depth=1
	s_or_b32 exec_lo, exec_lo, s4
	v_lshrrev_b16 v3, 8, v3
	s_mov_b32 s4, exec_lo
	v_cmpx_ne_u16_e32 0, v3
	s_cbranch_execz .LBB276_122
; %bb.115:                              ;   in Loop: Header=BB276_10 Depth=1
	v_bfrev_b32_e32 v37, 1
	s_mov_b32 s41, exec_lo
	v_cmpx_ne_u16_e32 0x80, v3
	s_cbranch_execz .LBB276_121
; %bb.116:                              ;   in Loop: Header=BB276_10 Depth=1
	v_and_b32_sdwa v40, v3, v20 dst_sel:DWORD dst_unused:UNUSED_PAD src0_sel:WORD_0 src1_sel:DWORD
	v_mov_b32_e32 v37, 0x7c010000
	s_mov_b32 s42, exec_lo
	v_cmpx_ne_u32_e32 0x7f, v40
	s_cbranch_execz .LBB276_120
; %bb.117:                              ;   in Loop: Header=BB276_10 Depth=1
	v_and_b32_sdwa v37, v3, v21 dst_sel:DWORD dst_unused:UNUSED_PAD src0_sel:WORD_0 src1_sel:DWORD
	v_lshrrev_b32_e32 v39, 3, v40
	s_mov_b32 s43, exec_lo
	v_cmpx_gt_u32_e32 8, v40
; %bb.118:                              ;   in Loop: Header=BB276_10 Depth=1
	v_ffbh_u32_e32 v37, v37
	v_min_u32_e32 v37, 32, v37
	v_subrev_nc_u32_e32 v39, 28, v37
	v_lshlrev_b64 v[40:41], v39, v[3:4]
	v_sub_nc_u32_e32 v39, 29, v37
	v_and_b32_e32 v37, 7, v40
; %bb.119:                              ;   in Loop: Header=BB276_10 Depth=1
	s_or_b32 exec_lo, exec_lo, s43
	v_lshlrev_b32_sdwa v3, v22, v3 dst_sel:DWORD dst_unused:UNUSED_PAD src0_sel:DWORD src1_sel:WORD_0
	v_lshl_add_u32 v39, v39, 10, 0x2000
	v_lshlrev_b32_e32 v37, 23, v37
	v_and_or_b32 v3, 0x8000, v3, v39
	v_lshl_or_b32 v37, v3, 16, v37
.LBB276_120:                            ;   in Loop: Header=BB276_10 Depth=1
	s_or_b32 exec_lo, exec_lo, s42
.LBB276_121:                            ;   in Loop: Header=BB276_10 Depth=1
	s_or_b32 exec_lo, exec_lo, s41
.LBB276_122:                            ;   in Loop: Header=BB276_10 Depth=1
	s_or_b32 exec_lo, exec_lo, s4
	global_load_ushort v40, v[9:10], off offset:392
	v_mov_b32_e32 v39, 0
	s_waitcnt vmcnt(0)
	v_and_b32_e32 v3, 0xffff, v40
	v_cmp_ne_u16_sdwa s3, v40, v4 src0_sel:BYTE_0 src1_sel:DWORD
	v_mov_b32_e32 v40, 0
	s_and_saveexec_b32 s4, s3
	s_cbranch_execz .LBB276_130
; %bb.123:                              ;   in Loop: Header=BB276_10 Depth=1
	v_cmp_ne_u16_sdwa s3, v3, v19 src0_sel:BYTE_0 src1_sel:DWORD
	v_mov_b32_e32 v40, 0x8000
	s_and_saveexec_b32 s41, s3
	s_cbranch_execz .LBB276_129
; %bb.124:                              ;   in Loop: Header=BB276_10 Depth=1
	v_and_b32_e32 v42, 0x7f, v3
	v_mov_b32_e32 v40, 0x7c01
	s_mov_b32 s42, exec_lo
	v_cmpx_ne_u32_e32 0x7f, v42
	s_cbranch_execz .LBB276_128
; %bb.125:                              ;   in Loop: Header=BB276_10 Depth=1
	v_and_b32_e32 v40, 7, v3
	v_lshrrev_b32_e32 v41, 3, v42
	s_mov_b32 s43, exec_lo
	v_cmpx_gt_u32_e32 8, v42
; %bb.126:                              ;   in Loop: Header=BB276_10 Depth=1
	v_ffbh_u32_e32 v40, v40
	v_min_u32_e32 v42, 32, v40
	v_subrev_nc_u32_e32 v40, 28, v42
	v_lshlrev_b64 v[40:41], v40, v[3:4]
	v_sub_nc_u32_e32 v41, 29, v42
	v_and_b32_e32 v40, 7, v40
; %bb.127:                              ;   in Loop: Header=BB276_10 Depth=1
	s_or_b32 exec_lo, exec_lo, s43
	v_lshlrev_b32_e32 v42, 8, v3
	v_lshl_add_u32 v41, v41, 10, 0x2000
	v_lshlrev_b32_e32 v40, 7, v40
	v_and_b32_e32 v42, 0x8000, v42
	v_and_b32_e32 v41, 0xfc00, v41
	v_or3_b32 v40, v42, v41, v40
.LBB276_128:                            ;   in Loop: Header=BB276_10 Depth=1
	s_or_b32 exec_lo, exec_lo, s42
.LBB276_129:                            ;   in Loop: Header=BB276_10 Depth=1
	s_or_b32 exec_lo, exec_lo, s41
.LBB276_130:                            ;   in Loop: Header=BB276_10 Depth=1
	s_or_b32 exec_lo, exec_lo, s4
	v_lshrrev_b16 v3, 8, v3
	s_mov_b32 s4, exec_lo
	v_cmpx_ne_u16_e32 0, v3
	s_cbranch_execz .LBB276_138
; %bb.131:                              ;   in Loop: Header=BB276_10 Depth=1
	v_bfrev_b32_e32 v39, 1
	s_mov_b32 s41, exec_lo
	v_cmpx_ne_u16_e32 0x80, v3
	s_cbranch_execz .LBB276_137
; %bb.132:                              ;   in Loop: Header=BB276_10 Depth=1
	v_and_b32_sdwa v42, v3, v20 dst_sel:DWORD dst_unused:UNUSED_PAD src0_sel:WORD_0 src1_sel:DWORD
	v_mov_b32_e32 v39, 0x7c010000
	s_mov_b32 s42, exec_lo
	v_cmpx_ne_u32_e32 0x7f, v42
	s_cbranch_execz .LBB276_136
; %bb.133:                              ;   in Loop: Header=BB276_10 Depth=1
	v_and_b32_sdwa v39, v3, v21 dst_sel:DWORD dst_unused:UNUSED_PAD src0_sel:WORD_0 src1_sel:DWORD
	v_lshrrev_b32_e32 v41, 3, v42
	s_mov_b32 s43, exec_lo
	v_cmpx_gt_u32_e32 8, v42
; %bb.134:                              ;   in Loop: Header=BB276_10 Depth=1
	v_ffbh_u32_e32 v39, v39
	v_min_u32_e32 v39, 32, v39
	v_subrev_nc_u32_e32 v41, 28, v39
	v_lshlrev_b64 v[42:43], v41, v[3:4]
	v_sub_nc_u32_e32 v41, 29, v39
	v_and_b32_e32 v39, 7, v42
; %bb.135:                              ;   in Loop: Header=BB276_10 Depth=1
	s_or_b32 exec_lo, exec_lo, s43
	v_lshlrev_b32_sdwa v3, v22, v3 dst_sel:DWORD dst_unused:UNUSED_PAD src0_sel:DWORD src1_sel:WORD_0
	v_lshl_add_u32 v41, v41, 10, 0x2000
	v_lshlrev_b32_e32 v39, 23, v39
	v_and_or_b32 v3, 0x8000, v3, v41
	v_lshl_or_b32 v39, v3, 16, v39
.LBB276_136:                            ;   in Loop: Header=BB276_10 Depth=1
	s_or_b32 exec_lo, exec_lo, s42
.LBB276_137:                            ;   in Loop: Header=BB276_10 Depth=1
	s_or_b32 exec_lo, exec_lo, s41
.LBB276_138:                            ;   in Loop: Header=BB276_10 Depth=1
	s_or_b32 exec_lo, exec_lo, s4
	global_load_ushort v42, v[9:10], off offset:512
	v_mov_b32_e32 v41, 0
	s_waitcnt vmcnt(0)
	v_and_b32_e32 v3, 0xffff, v42
	v_cmp_ne_u16_sdwa s3, v42, v4 src0_sel:BYTE_0 src1_sel:DWORD
	v_mov_b32_e32 v42, 0
	s_and_saveexec_b32 s4, s3
	s_cbranch_execz .LBB276_146
; %bb.139:                              ;   in Loop: Header=BB276_10 Depth=1
	v_cmp_ne_u16_sdwa s3, v3, v19 src0_sel:BYTE_0 src1_sel:DWORD
	v_mov_b32_e32 v42, 0x8000
	s_and_saveexec_b32 s41, s3
	s_cbranch_execz .LBB276_145
; %bb.140:                              ;   in Loop: Header=BB276_10 Depth=1
	v_and_b32_e32 v44, 0x7f, v3
	v_mov_b32_e32 v42, 0x7c01
	s_mov_b32 s42, exec_lo
	v_cmpx_ne_u32_e32 0x7f, v44
	s_cbranch_execz .LBB276_144
; %bb.141:                              ;   in Loop: Header=BB276_10 Depth=1
	v_and_b32_e32 v42, 7, v3
	v_lshrrev_b32_e32 v43, 3, v44
	s_mov_b32 s43, exec_lo
	v_cmpx_gt_u32_e32 8, v44
; %bb.142:                              ;   in Loop: Header=BB276_10 Depth=1
	v_ffbh_u32_e32 v42, v42
	v_min_u32_e32 v44, 32, v42
	v_subrev_nc_u32_e32 v42, 28, v44
	v_lshlrev_b64 v[42:43], v42, v[3:4]
	v_sub_nc_u32_e32 v43, 29, v44
	v_and_b32_e32 v42, 7, v42
; %bb.143:                              ;   in Loop: Header=BB276_10 Depth=1
	s_or_b32 exec_lo, exec_lo, s43
	v_lshlrev_b32_e32 v44, 8, v3
	v_lshl_add_u32 v43, v43, 10, 0x2000
	v_lshlrev_b32_e32 v42, 7, v42
	v_and_b32_e32 v44, 0x8000, v44
	v_and_b32_e32 v43, 0xfc00, v43
	v_or3_b32 v42, v44, v43, v42
.LBB276_144:                            ;   in Loop: Header=BB276_10 Depth=1
	s_or_b32 exec_lo, exec_lo, s42
.LBB276_145:                            ;   in Loop: Header=BB276_10 Depth=1
	s_or_b32 exec_lo, exec_lo, s41
.LBB276_146:                            ;   in Loop: Header=BB276_10 Depth=1
	s_or_b32 exec_lo, exec_lo, s4
	v_lshrrev_b16 v3, 8, v3
	s_mov_b32 s4, exec_lo
	v_cmpx_ne_u16_e32 0, v3
	s_cbranch_execz .LBB276_154
; %bb.147:                              ;   in Loop: Header=BB276_10 Depth=1
	v_bfrev_b32_e32 v41, 1
	s_mov_b32 s41, exec_lo
	v_cmpx_ne_u16_e32 0x80, v3
	s_cbranch_execz .LBB276_153
; %bb.148:                              ;   in Loop: Header=BB276_10 Depth=1
	v_and_b32_sdwa v44, v3, v20 dst_sel:DWORD dst_unused:UNUSED_PAD src0_sel:WORD_0 src1_sel:DWORD
	v_mov_b32_e32 v41, 0x7c010000
	s_mov_b32 s42, exec_lo
	v_cmpx_ne_u32_e32 0x7f, v44
	s_cbranch_execz .LBB276_152
; %bb.149:                              ;   in Loop: Header=BB276_10 Depth=1
	v_and_b32_sdwa v41, v3, v21 dst_sel:DWORD dst_unused:UNUSED_PAD src0_sel:WORD_0 src1_sel:DWORD
	v_lshrrev_b32_e32 v43, 3, v44
	s_mov_b32 s43, exec_lo
	v_cmpx_gt_u32_e32 8, v44
; %bb.150:                              ;   in Loop: Header=BB276_10 Depth=1
	v_ffbh_u32_e32 v41, v41
	v_min_u32_e32 v41, 32, v41
	v_subrev_nc_u32_e32 v43, 28, v41
	v_lshlrev_b64 v[44:45], v43, v[3:4]
	v_sub_nc_u32_e32 v43, 29, v41
	v_and_b32_e32 v41, 7, v44
; %bb.151:                              ;   in Loop: Header=BB276_10 Depth=1
	s_or_b32 exec_lo, exec_lo, s43
	v_lshlrev_b32_sdwa v3, v22, v3 dst_sel:DWORD dst_unused:UNUSED_PAD src0_sel:DWORD src1_sel:WORD_0
	v_lshl_add_u32 v43, v43, 10, 0x2000
	v_lshlrev_b32_e32 v41, 23, v41
	v_and_or_b32 v3, 0x8000, v3, v43
	v_lshl_or_b32 v41, v3, 16, v41
.LBB276_152:                            ;   in Loop: Header=BB276_10 Depth=1
	s_or_b32 exec_lo, exec_lo, s42
.LBB276_153:                            ;   in Loop: Header=BB276_10 Depth=1
	s_or_b32 exec_lo, exec_lo, s41
.LBB276_154:                            ;   in Loop: Header=BB276_10 Depth=1
	s_or_b32 exec_lo, exec_lo, s4
	global_load_ushort v44, v[9:10], off offset:520
	v_mov_b32_e32 v43, 0
	s_waitcnt vmcnt(0)
	v_and_b32_e32 v3, 0xffff, v44
	v_cmp_ne_u16_sdwa s3, v44, v4 src0_sel:BYTE_0 src1_sel:DWORD
	v_mov_b32_e32 v44, 0
	s_and_saveexec_b32 s4, s3
	s_cbranch_execz .LBB276_162
; %bb.155:                              ;   in Loop: Header=BB276_10 Depth=1
	v_cmp_ne_u16_sdwa s3, v3, v19 src0_sel:BYTE_0 src1_sel:DWORD
	v_mov_b32_e32 v44, 0x8000
	s_and_saveexec_b32 s41, s3
	s_cbranch_execz .LBB276_161
; %bb.156:                              ;   in Loop: Header=BB276_10 Depth=1
	v_and_b32_e32 v46, 0x7f, v3
	v_mov_b32_e32 v44, 0x7c01
	s_mov_b32 s42, exec_lo
	v_cmpx_ne_u32_e32 0x7f, v46
	s_cbranch_execz .LBB276_160
; %bb.157:                              ;   in Loop: Header=BB276_10 Depth=1
	v_and_b32_e32 v44, 7, v3
	v_lshrrev_b32_e32 v45, 3, v46
	s_mov_b32 s43, exec_lo
	v_cmpx_gt_u32_e32 8, v46
; %bb.158:                              ;   in Loop: Header=BB276_10 Depth=1
	v_ffbh_u32_e32 v44, v44
	v_min_u32_e32 v46, 32, v44
	v_subrev_nc_u32_e32 v44, 28, v46
	v_lshlrev_b64 v[44:45], v44, v[3:4]
	v_sub_nc_u32_e32 v45, 29, v46
	v_and_b32_e32 v44, 7, v44
; %bb.159:                              ;   in Loop: Header=BB276_10 Depth=1
	s_or_b32 exec_lo, exec_lo, s43
	v_lshlrev_b32_e32 v46, 8, v3
	v_lshl_add_u32 v45, v45, 10, 0x2000
	v_lshlrev_b32_e32 v44, 7, v44
	v_and_b32_e32 v46, 0x8000, v46
	v_and_b32_e32 v45, 0xfc00, v45
	v_or3_b32 v44, v46, v45, v44
.LBB276_160:                            ;   in Loop: Header=BB276_10 Depth=1
	s_or_b32 exec_lo, exec_lo, s42
.LBB276_161:                            ;   in Loop: Header=BB276_10 Depth=1
	s_or_b32 exec_lo, exec_lo, s41
.LBB276_162:                            ;   in Loop: Header=BB276_10 Depth=1
	s_or_b32 exec_lo, exec_lo, s4
	v_lshrrev_b16 v3, 8, v3
	s_mov_b32 s4, exec_lo
	v_cmpx_ne_u16_e32 0, v3
	s_cbranch_execz .LBB276_170
; %bb.163:                              ;   in Loop: Header=BB276_10 Depth=1
	v_bfrev_b32_e32 v43, 1
	s_mov_b32 s41, exec_lo
	v_cmpx_ne_u16_e32 0x80, v3
	s_cbranch_execz .LBB276_169
; %bb.164:                              ;   in Loop: Header=BB276_10 Depth=1
	v_and_b32_sdwa v46, v3, v20 dst_sel:DWORD dst_unused:UNUSED_PAD src0_sel:WORD_0 src1_sel:DWORD
	v_mov_b32_e32 v43, 0x7c010000
	s_mov_b32 s42, exec_lo
	v_cmpx_ne_u32_e32 0x7f, v46
	s_cbranch_execz .LBB276_168
; %bb.165:                              ;   in Loop: Header=BB276_10 Depth=1
	v_and_b32_sdwa v43, v3, v21 dst_sel:DWORD dst_unused:UNUSED_PAD src0_sel:WORD_0 src1_sel:DWORD
	v_lshrrev_b32_e32 v45, 3, v46
	s_mov_b32 s43, exec_lo
	v_cmpx_gt_u32_e32 8, v46
; %bb.166:                              ;   in Loop: Header=BB276_10 Depth=1
	v_ffbh_u32_e32 v43, v43
	v_min_u32_e32 v43, 32, v43
	v_subrev_nc_u32_e32 v45, 28, v43
	v_lshlrev_b64 v[46:47], v45, v[3:4]
	v_sub_nc_u32_e32 v45, 29, v43
	v_and_b32_e32 v43, 7, v46
; %bb.167:                              ;   in Loop: Header=BB276_10 Depth=1
	s_or_b32 exec_lo, exec_lo, s43
	v_lshlrev_b32_sdwa v3, v22, v3 dst_sel:DWORD dst_unused:UNUSED_PAD src0_sel:DWORD src1_sel:WORD_0
	v_lshl_add_u32 v45, v45, 10, 0x2000
	v_lshlrev_b32_e32 v43, 23, v43
	v_and_or_b32 v3, 0x8000, v3, v45
	v_lshl_or_b32 v43, v3, 16, v43
.LBB276_168:                            ;   in Loop: Header=BB276_10 Depth=1
	s_or_b32 exec_lo, exec_lo, s42
.LBB276_169:                            ;   in Loop: Header=BB276_10 Depth=1
	s_or_b32 exec_lo, exec_lo, s41
.LBB276_170:                            ;   in Loop: Header=BB276_10 Depth=1
	s_or_b32 exec_lo, exec_lo, s4
	global_load_ushort v46, v[9:10], off offset:640
	v_mov_b32_e32 v45, 0
	s_waitcnt vmcnt(0)
	v_and_b32_e32 v3, 0xffff, v46
	v_cmp_ne_u16_sdwa s3, v46, v4 src0_sel:BYTE_0 src1_sel:DWORD
	v_mov_b32_e32 v46, 0
	s_and_saveexec_b32 s4, s3
	s_cbranch_execz .LBB276_178
; %bb.171:                              ;   in Loop: Header=BB276_10 Depth=1
	v_cmp_ne_u16_sdwa s3, v3, v19 src0_sel:BYTE_0 src1_sel:DWORD
	v_mov_b32_e32 v46, 0x8000
	s_and_saveexec_b32 s41, s3
	s_cbranch_execz .LBB276_177
; %bb.172:                              ;   in Loop: Header=BB276_10 Depth=1
	v_and_b32_e32 v48, 0x7f, v3
	v_mov_b32_e32 v46, 0x7c01
	s_mov_b32 s42, exec_lo
	v_cmpx_ne_u32_e32 0x7f, v48
	s_cbranch_execz .LBB276_176
; %bb.173:                              ;   in Loop: Header=BB276_10 Depth=1
	v_and_b32_e32 v46, 7, v3
	v_lshrrev_b32_e32 v47, 3, v48
	s_mov_b32 s43, exec_lo
	v_cmpx_gt_u32_e32 8, v48
; %bb.174:                              ;   in Loop: Header=BB276_10 Depth=1
	v_ffbh_u32_e32 v46, v46
	v_min_u32_e32 v48, 32, v46
	v_subrev_nc_u32_e32 v46, 28, v48
	v_lshlrev_b64 v[46:47], v46, v[3:4]
	v_sub_nc_u32_e32 v47, 29, v48
	v_and_b32_e32 v46, 7, v46
; %bb.175:                              ;   in Loop: Header=BB276_10 Depth=1
	s_or_b32 exec_lo, exec_lo, s43
	v_lshlrev_b32_e32 v48, 8, v3
	v_lshl_add_u32 v47, v47, 10, 0x2000
	v_lshlrev_b32_e32 v46, 7, v46
	v_and_b32_e32 v48, 0x8000, v48
	v_and_b32_e32 v47, 0xfc00, v47
	v_or3_b32 v46, v48, v47, v46
.LBB276_176:                            ;   in Loop: Header=BB276_10 Depth=1
	s_or_b32 exec_lo, exec_lo, s42
.LBB276_177:                            ;   in Loop: Header=BB276_10 Depth=1
	s_or_b32 exec_lo, exec_lo, s41
.LBB276_178:                            ;   in Loop: Header=BB276_10 Depth=1
	s_or_b32 exec_lo, exec_lo, s4
	v_lshrrev_b16 v3, 8, v3
	s_mov_b32 s4, exec_lo
	v_cmpx_ne_u16_e32 0, v3
	s_cbranch_execz .LBB276_186
; %bb.179:                              ;   in Loop: Header=BB276_10 Depth=1
	v_bfrev_b32_e32 v45, 1
	s_mov_b32 s41, exec_lo
	v_cmpx_ne_u16_e32 0x80, v3
	s_cbranch_execz .LBB276_185
; %bb.180:                              ;   in Loop: Header=BB276_10 Depth=1
	v_and_b32_sdwa v48, v3, v20 dst_sel:DWORD dst_unused:UNUSED_PAD src0_sel:WORD_0 src1_sel:DWORD
	v_mov_b32_e32 v45, 0x7c010000
	s_mov_b32 s42, exec_lo
	v_cmpx_ne_u32_e32 0x7f, v48
	s_cbranch_execz .LBB276_184
; %bb.181:                              ;   in Loop: Header=BB276_10 Depth=1
	v_and_b32_sdwa v45, v3, v21 dst_sel:DWORD dst_unused:UNUSED_PAD src0_sel:WORD_0 src1_sel:DWORD
	v_lshrrev_b32_e32 v47, 3, v48
	s_mov_b32 s43, exec_lo
	v_cmpx_gt_u32_e32 8, v48
; %bb.182:                              ;   in Loop: Header=BB276_10 Depth=1
	v_ffbh_u32_e32 v45, v45
	v_min_u32_e32 v45, 32, v45
	v_subrev_nc_u32_e32 v47, 28, v45
	v_lshlrev_b64 v[48:49], v47, v[3:4]
	v_sub_nc_u32_e32 v47, 29, v45
	v_and_b32_e32 v45, 7, v48
; %bb.183:                              ;   in Loop: Header=BB276_10 Depth=1
	s_or_b32 exec_lo, exec_lo, s43
	v_lshlrev_b32_sdwa v3, v22, v3 dst_sel:DWORD dst_unused:UNUSED_PAD src0_sel:DWORD src1_sel:WORD_0
	v_lshl_add_u32 v47, v47, 10, 0x2000
	v_lshlrev_b32_e32 v45, 23, v45
	v_and_or_b32 v3, 0x8000, v3, v47
	v_lshl_or_b32 v45, v3, 16, v45
.LBB276_184:                            ;   in Loop: Header=BB276_10 Depth=1
	s_or_b32 exec_lo, exec_lo, s42
.LBB276_185:                            ;   in Loop: Header=BB276_10 Depth=1
	s_or_b32 exec_lo, exec_lo, s41
.LBB276_186:                            ;   in Loop: Header=BB276_10 Depth=1
	s_or_b32 exec_lo, exec_lo, s4
	global_load_ushort v48, v[9:10], off offset:648
	v_mov_b32_e32 v47, 0
	s_waitcnt vmcnt(0)
	v_and_b32_e32 v3, 0xffff, v48
	v_cmp_ne_u16_sdwa s3, v48, v4 src0_sel:BYTE_0 src1_sel:DWORD
	v_mov_b32_e32 v48, 0
	s_and_saveexec_b32 s4, s3
	s_cbranch_execz .LBB276_194
; %bb.187:                              ;   in Loop: Header=BB276_10 Depth=1
	v_cmp_ne_u16_sdwa s3, v3, v19 src0_sel:BYTE_0 src1_sel:DWORD
	v_mov_b32_e32 v48, 0x8000
	s_and_saveexec_b32 s41, s3
	s_cbranch_execz .LBB276_193
; %bb.188:                              ;   in Loop: Header=BB276_10 Depth=1
	v_and_b32_e32 v50, 0x7f, v3
	v_mov_b32_e32 v48, 0x7c01
	s_mov_b32 s42, exec_lo
	v_cmpx_ne_u32_e32 0x7f, v50
	s_cbranch_execz .LBB276_192
; %bb.189:                              ;   in Loop: Header=BB276_10 Depth=1
	v_and_b32_e32 v48, 7, v3
	v_lshrrev_b32_e32 v49, 3, v50
	s_mov_b32 s43, exec_lo
	v_cmpx_gt_u32_e32 8, v50
; %bb.190:                              ;   in Loop: Header=BB276_10 Depth=1
	v_ffbh_u32_e32 v48, v48
	v_min_u32_e32 v50, 32, v48
	v_subrev_nc_u32_e32 v48, 28, v50
	v_lshlrev_b64 v[48:49], v48, v[3:4]
	v_sub_nc_u32_e32 v49, 29, v50
	v_and_b32_e32 v48, 7, v48
; %bb.191:                              ;   in Loop: Header=BB276_10 Depth=1
	s_or_b32 exec_lo, exec_lo, s43
	v_lshlrev_b32_e32 v50, 8, v3
	v_lshl_add_u32 v49, v49, 10, 0x2000
	v_lshlrev_b32_e32 v48, 7, v48
	v_and_b32_e32 v50, 0x8000, v50
	v_and_b32_e32 v49, 0xfc00, v49
	v_or3_b32 v48, v50, v49, v48
.LBB276_192:                            ;   in Loop: Header=BB276_10 Depth=1
	s_or_b32 exec_lo, exec_lo, s42
.LBB276_193:                            ;   in Loop: Header=BB276_10 Depth=1
	s_or_b32 exec_lo, exec_lo, s41
.LBB276_194:                            ;   in Loop: Header=BB276_10 Depth=1
	s_or_b32 exec_lo, exec_lo, s4
	v_lshrrev_b16 v3, 8, v3
	s_mov_b32 s4, exec_lo
	v_cmpx_ne_u16_e32 0, v3
	s_cbranch_execz .LBB276_202
; %bb.195:                              ;   in Loop: Header=BB276_10 Depth=1
	v_bfrev_b32_e32 v47, 1
	s_mov_b32 s41, exec_lo
	v_cmpx_ne_u16_e32 0x80, v3
	s_cbranch_execz .LBB276_201
; %bb.196:                              ;   in Loop: Header=BB276_10 Depth=1
	v_and_b32_sdwa v50, v3, v20 dst_sel:DWORD dst_unused:UNUSED_PAD src0_sel:WORD_0 src1_sel:DWORD
	v_mov_b32_e32 v47, 0x7c010000
	s_mov_b32 s42, exec_lo
	v_cmpx_ne_u32_e32 0x7f, v50
	s_cbranch_execz .LBB276_200
; %bb.197:                              ;   in Loop: Header=BB276_10 Depth=1
	v_and_b32_sdwa v47, v3, v21 dst_sel:DWORD dst_unused:UNUSED_PAD src0_sel:WORD_0 src1_sel:DWORD
	v_lshrrev_b32_e32 v49, 3, v50
	s_mov_b32 s43, exec_lo
	v_cmpx_gt_u32_e32 8, v50
; %bb.198:                              ;   in Loop: Header=BB276_10 Depth=1
	v_ffbh_u32_e32 v47, v47
	v_min_u32_e32 v47, 32, v47
	v_subrev_nc_u32_e32 v49, 28, v47
	v_lshlrev_b64 v[50:51], v49, v[3:4]
	v_sub_nc_u32_e32 v49, 29, v47
	v_and_b32_e32 v47, 7, v50
; %bb.199:                              ;   in Loop: Header=BB276_10 Depth=1
	s_or_b32 exec_lo, exec_lo, s43
	v_lshlrev_b32_sdwa v3, v22, v3 dst_sel:DWORD dst_unused:UNUSED_PAD src0_sel:DWORD src1_sel:WORD_0
	v_lshl_add_u32 v49, v49, 10, 0x2000
	v_lshlrev_b32_e32 v47, 23, v47
	v_and_or_b32 v3, 0x8000, v3, v49
	v_lshl_or_b32 v47, v3, 16, v47
.LBB276_200:                            ;   in Loop: Header=BB276_10 Depth=1
	s_or_b32 exec_lo, exec_lo, s42
.LBB276_201:                            ;   in Loop: Header=BB276_10 Depth=1
	s_or_b32 exec_lo, exec_lo, s41
.LBB276_202:                            ;   in Loop: Header=BB276_10 Depth=1
	s_or_b32 exec_lo, exec_lo, s4
	global_load_ushort v50, v[9:10], off offset:768
	v_mov_b32_e32 v49, 0
	s_waitcnt vmcnt(0)
	v_and_b32_e32 v3, 0xffff, v50
	v_cmp_ne_u16_sdwa s3, v50, v4 src0_sel:BYTE_0 src1_sel:DWORD
	v_mov_b32_e32 v50, 0
	s_and_saveexec_b32 s4, s3
	s_cbranch_execz .LBB276_210
; %bb.203:                              ;   in Loop: Header=BB276_10 Depth=1
	v_cmp_ne_u16_sdwa s3, v3, v19 src0_sel:BYTE_0 src1_sel:DWORD
	v_mov_b32_e32 v50, 0x8000
	s_and_saveexec_b32 s41, s3
	s_cbranch_execz .LBB276_209
; %bb.204:                              ;   in Loop: Header=BB276_10 Depth=1
	v_and_b32_e32 v52, 0x7f, v3
	v_mov_b32_e32 v50, 0x7c01
	s_mov_b32 s42, exec_lo
	v_cmpx_ne_u32_e32 0x7f, v52
	s_cbranch_execz .LBB276_208
; %bb.205:                              ;   in Loop: Header=BB276_10 Depth=1
	v_and_b32_e32 v50, 7, v3
	v_lshrrev_b32_e32 v51, 3, v52
	s_mov_b32 s43, exec_lo
	v_cmpx_gt_u32_e32 8, v52
; %bb.206:                              ;   in Loop: Header=BB276_10 Depth=1
	v_ffbh_u32_e32 v50, v50
	v_min_u32_e32 v52, 32, v50
	v_subrev_nc_u32_e32 v50, 28, v52
	v_lshlrev_b64 v[50:51], v50, v[3:4]
	v_sub_nc_u32_e32 v51, 29, v52
	v_and_b32_e32 v50, 7, v50
; %bb.207:                              ;   in Loop: Header=BB276_10 Depth=1
	s_or_b32 exec_lo, exec_lo, s43
	v_lshlrev_b32_e32 v52, 8, v3
	v_lshl_add_u32 v51, v51, 10, 0x2000
	v_lshlrev_b32_e32 v50, 7, v50
	v_and_b32_e32 v52, 0x8000, v52
	v_and_b32_e32 v51, 0xfc00, v51
	v_or3_b32 v50, v52, v51, v50
.LBB276_208:                            ;   in Loop: Header=BB276_10 Depth=1
	s_or_b32 exec_lo, exec_lo, s42
.LBB276_209:                            ;   in Loop: Header=BB276_10 Depth=1
	s_or_b32 exec_lo, exec_lo, s41
.LBB276_210:                            ;   in Loop: Header=BB276_10 Depth=1
	s_or_b32 exec_lo, exec_lo, s4
	v_lshrrev_b16 v3, 8, v3
	s_mov_b32 s4, exec_lo
	v_cmpx_ne_u16_e32 0, v3
	s_cbranch_execz .LBB276_218
; %bb.211:                              ;   in Loop: Header=BB276_10 Depth=1
	v_bfrev_b32_e32 v49, 1
	s_mov_b32 s41, exec_lo
	v_cmpx_ne_u16_e32 0x80, v3
	s_cbranch_execz .LBB276_217
; %bb.212:                              ;   in Loop: Header=BB276_10 Depth=1
	v_and_b32_sdwa v52, v3, v20 dst_sel:DWORD dst_unused:UNUSED_PAD src0_sel:WORD_0 src1_sel:DWORD
	v_mov_b32_e32 v49, 0x7c010000
	s_mov_b32 s42, exec_lo
	v_cmpx_ne_u32_e32 0x7f, v52
	s_cbranch_execz .LBB276_216
; %bb.213:                              ;   in Loop: Header=BB276_10 Depth=1
	v_and_b32_sdwa v49, v3, v21 dst_sel:DWORD dst_unused:UNUSED_PAD src0_sel:WORD_0 src1_sel:DWORD
	v_lshrrev_b32_e32 v51, 3, v52
	s_mov_b32 s43, exec_lo
	v_cmpx_gt_u32_e32 8, v52
; %bb.214:                              ;   in Loop: Header=BB276_10 Depth=1
	v_ffbh_u32_e32 v49, v49
	v_min_u32_e32 v49, 32, v49
	v_subrev_nc_u32_e32 v51, 28, v49
	v_lshlrev_b64 v[52:53], v51, v[3:4]
	v_sub_nc_u32_e32 v51, 29, v49
	v_and_b32_e32 v49, 7, v52
; %bb.215:                              ;   in Loop: Header=BB276_10 Depth=1
	s_or_b32 exec_lo, exec_lo, s43
	v_lshlrev_b32_sdwa v3, v22, v3 dst_sel:DWORD dst_unused:UNUSED_PAD src0_sel:DWORD src1_sel:WORD_0
	v_lshl_add_u32 v51, v51, 10, 0x2000
	v_lshlrev_b32_e32 v49, 23, v49
	v_and_or_b32 v3, 0x8000, v3, v51
	v_lshl_or_b32 v49, v3, 16, v49
.LBB276_216:                            ;   in Loop: Header=BB276_10 Depth=1
	s_or_b32 exec_lo, exec_lo, s42
.LBB276_217:                            ;   in Loop: Header=BB276_10 Depth=1
	s_or_b32 exec_lo, exec_lo, s41
.LBB276_218:                            ;   in Loop: Header=BB276_10 Depth=1
	s_or_b32 exec_lo, exec_lo, s4
	global_load_ushort v52, v[9:10], off offset:776
	v_mov_b32_e32 v51, 0
	s_waitcnt vmcnt(0)
	v_and_b32_e32 v3, 0xffff, v52
	v_cmp_ne_u16_sdwa s3, v52, v4 src0_sel:BYTE_0 src1_sel:DWORD
	v_mov_b32_e32 v52, 0
	s_and_saveexec_b32 s4, s3
	s_cbranch_execz .LBB276_226
; %bb.219:                              ;   in Loop: Header=BB276_10 Depth=1
	v_cmp_ne_u16_sdwa s3, v3, v19 src0_sel:BYTE_0 src1_sel:DWORD
	v_mov_b32_e32 v52, 0x8000
	s_and_saveexec_b32 s41, s3
	s_cbranch_execz .LBB276_225
; %bb.220:                              ;   in Loop: Header=BB276_10 Depth=1
	v_and_b32_e32 v54, 0x7f, v3
	v_mov_b32_e32 v52, 0x7c01
	s_mov_b32 s42, exec_lo
	v_cmpx_ne_u32_e32 0x7f, v54
	s_cbranch_execz .LBB276_224
; %bb.221:                              ;   in Loop: Header=BB276_10 Depth=1
	v_and_b32_e32 v52, 7, v3
	v_lshrrev_b32_e32 v53, 3, v54
	s_mov_b32 s43, exec_lo
	v_cmpx_gt_u32_e32 8, v54
; %bb.222:                              ;   in Loop: Header=BB276_10 Depth=1
	v_ffbh_u32_e32 v52, v52
	v_min_u32_e32 v54, 32, v52
	v_subrev_nc_u32_e32 v52, 28, v54
	v_lshlrev_b64 v[52:53], v52, v[3:4]
	v_sub_nc_u32_e32 v53, 29, v54
	v_and_b32_e32 v52, 7, v52
; %bb.223:                              ;   in Loop: Header=BB276_10 Depth=1
	s_or_b32 exec_lo, exec_lo, s43
	v_lshlrev_b32_e32 v54, 8, v3
	v_lshl_add_u32 v53, v53, 10, 0x2000
	v_lshlrev_b32_e32 v52, 7, v52
	v_and_b32_e32 v54, 0x8000, v54
	v_and_b32_e32 v53, 0xfc00, v53
	v_or3_b32 v52, v54, v53, v52
.LBB276_224:                            ;   in Loop: Header=BB276_10 Depth=1
	s_or_b32 exec_lo, exec_lo, s42
.LBB276_225:                            ;   in Loop: Header=BB276_10 Depth=1
	s_or_b32 exec_lo, exec_lo, s41
.LBB276_226:                            ;   in Loop: Header=BB276_10 Depth=1
	s_or_b32 exec_lo, exec_lo, s4
	v_lshrrev_b16 v3, 8, v3
	s_mov_b32 s4, exec_lo
	v_cmpx_ne_u16_e32 0, v3
	s_cbranch_execz .LBB276_234
; %bb.227:                              ;   in Loop: Header=BB276_10 Depth=1
	v_bfrev_b32_e32 v51, 1
	s_mov_b32 s41, exec_lo
	v_cmpx_ne_u16_e32 0x80, v3
	s_cbranch_execz .LBB276_233
; %bb.228:                              ;   in Loop: Header=BB276_10 Depth=1
	v_and_b32_sdwa v54, v3, v20 dst_sel:DWORD dst_unused:UNUSED_PAD src0_sel:WORD_0 src1_sel:DWORD
	v_mov_b32_e32 v51, 0x7c010000
	s_mov_b32 s42, exec_lo
	v_cmpx_ne_u32_e32 0x7f, v54
	s_cbranch_execz .LBB276_232
; %bb.229:                              ;   in Loop: Header=BB276_10 Depth=1
	v_and_b32_sdwa v51, v3, v21 dst_sel:DWORD dst_unused:UNUSED_PAD src0_sel:WORD_0 src1_sel:DWORD
	v_lshrrev_b32_e32 v53, 3, v54
	s_mov_b32 s43, exec_lo
	v_cmpx_gt_u32_e32 8, v54
; %bb.230:                              ;   in Loop: Header=BB276_10 Depth=1
	v_ffbh_u32_e32 v51, v51
	v_min_u32_e32 v51, 32, v51
	v_subrev_nc_u32_e32 v53, 28, v51
	v_lshlrev_b64 v[54:55], v53, v[3:4]
	v_sub_nc_u32_e32 v53, 29, v51
	v_and_b32_e32 v51, 7, v54
; %bb.231:                              ;   in Loop: Header=BB276_10 Depth=1
	s_or_b32 exec_lo, exec_lo, s43
	v_lshlrev_b32_sdwa v3, v22, v3 dst_sel:DWORD dst_unused:UNUSED_PAD src0_sel:DWORD src1_sel:WORD_0
	v_lshl_add_u32 v53, v53, 10, 0x2000
	v_lshlrev_b32_e32 v51, 23, v51
	v_and_or_b32 v3, 0x8000, v3, v53
	v_lshl_or_b32 v51, v3, 16, v51
.LBB276_232:                            ;   in Loop: Header=BB276_10 Depth=1
	s_or_b32 exec_lo, exec_lo, s42
.LBB276_233:                            ;   in Loop: Header=BB276_10 Depth=1
	s_or_b32 exec_lo, exec_lo, s41
.LBB276_234:                            ;   in Loop: Header=BB276_10 Depth=1
	s_or_b32 exec_lo, exec_lo, s4
	global_load_ushort v54, v[9:10], off offset:896
	v_mov_b32_e32 v53, 0
	s_waitcnt vmcnt(0)
	v_and_b32_e32 v3, 0xffff, v54
	v_cmp_ne_u16_sdwa s3, v54, v4 src0_sel:BYTE_0 src1_sel:DWORD
	v_mov_b32_e32 v54, 0
	s_and_saveexec_b32 s4, s3
	s_cbranch_execz .LBB276_242
; %bb.235:                              ;   in Loop: Header=BB276_10 Depth=1
	v_cmp_ne_u16_sdwa s3, v3, v19 src0_sel:BYTE_0 src1_sel:DWORD
	v_mov_b32_e32 v54, 0x8000
	s_and_saveexec_b32 s41, s3
	s_cbranch_execz .LBB276_241
; %bb.236:                              ;   in Loop: Header=BB276_10 Depth=1
	v_and_b32_e32 v56, 0x7f, v3
	v_mov_b32_e32 v54, 0x7c01
	s_mov_b32 s42, exec_lo
	v_cmpx_ne_u32_e32 0x7f, v56
	s_cbranch_execz .LBB276_240
; %bb.237:                              ;   in Loop: Header=BB276_10 Depth=1
	v_and_b32_e32 v54, 7, v3
	v_lshrrev_b32_e32 v55, 3, v56
	s_mov_b32 s43, exec_lo
	v_cmpx_gt_u32_e32 8, v56
; %bb.238:                              ;   in Loop: Header=BB276_10 Depth=1
	v_ffbh_u32_e32 v54, v54
	v_min_u32_e32 v56, 32, v54
	v_subrev_nc_u32_e32 v54, 28, v56
	v_lshlrev_b64 v[54:55], v54, v[3:4]
	v_sub_nc_u32_e32 v55, 29, v56
	v_and_b32_e32 v54, 7, v54
; %bb.239:                              ;   in Loop: Header=BB276_10 Depth=1
	s_or_b32 exec_lo, exec_lo, s43
	v_lshlrev_b32_e32 v56, 8, v3
	v_lshl_add_u32 v55, v55, 10, 0x2000
	v_lshlrev_b32_e32 v54, 7, v54
	v_and_b32_e32 v56, 0x8000, v56
	v_and_b32_e32 v55, 0xfc00, v55
	v_or3_b32 v54, v56, v55, v54
.LBB276_240:                            ;   in Loop: Header=BB276_10 Depth=1
	s_or_b32 exec_lo, exec_lo, s42
.LBB276_241:                            ;   in Loop: Header=BB276_10 Depth=1
	s_or_b32 exec_lo, exec_lo, s41
.LBB276_242:                            ;   in Loop: Header=BB276_10 Depth=1
	s_or_b32 exec_lo, exec_lo, s4
	v_lshrrev_b16 v3, 8, v3
	s_mov_b32 s4, exec_lo
	v_cmpx_ne_u16_e32 0, v3
	s_cbranch_execz .LBB276_250
; %bb.243:                              ;   in Loop: Header=BB276_10 Depth=1
	v_bfrev_b32_e32 v53, 1
	s_mov_b32 s41, exec_lo
	v_cmpx_ne_u16_e32 0x80, v3
	s_cbranch_execz .LBB276_249
; %bb.244:                              ;   in Loop: Header=BB276_10 Depth=1
	v_and_b32_sdwa v56, v3, v20 dst_sel:DWORD dst_unused:UNUSED_PAD src0_sel:WORD_0 src1_sel:DWORD
	v_mov_b32_e32 v53, 0x7c010000
	s_mov_b32 s42, exec_lo
	v_cmpx_ne_u32_e32 0x7f, v56
	s_cbranch_execz .LBB276_248
; %bb.245:                              ;   in Loop: Header=BB276_10 Depth=1
	v_and_b32_sdwa v53, v3, v21 dst_sel:DWORD dst_unused:UNUSED_PAD src0_sel:WORD_0 src1_sel:DWORD
	v_lshrrev_b32_e32 v55, 3, v56
	s_mov_b32 s43, exec_lo
	v_cmpx_gt_u32_e32 8, v56
; %bb.246:                              ;   in Loop: Header=BB276_10 Depth=1
	v_ffbh_u32_e32 v53, v53
	v_min_u32_e32 v53, 32, v53
	v_subrev_nc_u32_e32 v55, 28, v53
	v_lshlrev_b64 v[56:57], v55, v[3:4]
	v_sub_nc_u32_e32 v55, 29, v53
	v_and_b32_e32 v53, 7, v56
; %bb.247:                              ;   in Loop: Header=BB276_10 Depth=1
	s_or_b32 exec_lo, exec_lo, s43
	v_lshlrev_b32_sdwa v3, v22, v3 dst_sel:DWORD dst_unused:UNUSED_PAD src0_sel:DWORD src1_sel:WORD_0
	v_lshl_add_u32 v55, v55, 10, 0x2000
	v_lshlrev_b32_e32 v53, 23, v53
	v_and_or_b32 v3, 0x8000, v3, v55
	v_lshl_or_b32 v53, v3, 16, v53
.LBB276_248:                            ;   in Loop: Header=BB276_10 Depth=1
	s_or_b32 exec_lo, exec_lo, s42
.LBB276_249:                            ;   in Loop: Header=BB276_10 Depth=1
	s_or_b32 exec_lo, exec_lo, s41
.LBB276_250:                            ;   in Loop: Header=BB276_10 Depth=1
	s_or_b32 exec_lo, exec_lo, s4
	global_load_ushort v10, v[9:10], off offset:904
	v_mov_b32_e32 v9, 0
	s_waitcnt vmcnt(0)
	v_and_b32_e32 v3, 0xffff, v10
	v_cmp_ne_u16_sdwa s3, v10, v4 src0_sel:BYTE_0 src1_sel:DWORD
	v_mov_b32_e32 v10, 0
	s_and_saveexec_b32 s4, s3
	s_cbranch_execz .LBB276_258
; %bb.251:                              ;   in Loop: Header=BB276_10 Depth=1
	v_cmp_ne_u16_sdwa s3, v3, v19 src0_sel:BYTE_0 src1_sel:DWORD
	v_mov_b32_e32 v10, 0x8000
	s_and_saveexec_b32 s41, s3
	s_cbranch_execz .LBB276_257
; %bb.252:                              ;   in Loop: Header=BB276_10 Depth=1
	v_and_b32_e32 v56, 0x7f, v3
	v_mov_b32_e32 v10, 0x7c01
	s_mov_b32 s42, exec_lo
	v_cmpx_ne_u32_e32 0x7f, v56
	s_cbranch_execz .LBB276_256
; %bb.253:                              ;   in Loop: Header=BB276_10 Depth=1
	v_and_b32_e32 v10, 7, v3
	v_lshrrev_b32_e32 v55, 3, v56
	s_mov_b32 s43, exec_lo
	v_cmpx_gt_u32_e32 8, v56
; %bb.254:                              ;   in Loop: Header=BB276_10 Depth=1
	v_ffbh_u32_e32 v10, v10
	v_min_u32_e32 v10, 32, v10
	v_subrev_nc_u32_e32 v55, 28, v10
	v_lshlrev_b64 v[56:57], v55, v[3:4]
	v_sub_nc_u32_e32 v55, 29, v10
	v_and_b32_e32 v10, 7, v56
; %bb.255:                              ;   in Loop: Header=BB276_10 Depth=1
	s_or_b32 exec_lo, exec_lo, s43
	v_lshlrev_b32_e32 v56, 8, v3
	v_lshl_add_u32 v55, v55, 10, 0x2000
	v_lshlrev_b32_e32 v10, 7, v10
	v_and_b32_e32 v56, 0x8000, v56
	v_and_b32_e32 v55, 0xfc00, v55
	v_or3_b32 v10, v56, v55, v10
.LBB276_256:                            ;   in Loop: Header=BB276_10 Depth=1
	s_or_b32 exec_lo, exec_lo, s42
.LBB276_257:                            ;   in Loop: Header=BB276_10 Depth=1
	s_or_b32 exec_lo, exec_lo, s41
.LBB276_258:                            ;   in Loop: Header=BB276_10 Depth=1
	s_or_b32 exec_lo, exec_lo, s4
	v_lshrrev_b16 v3, 8, v3
	s_mov_b32 s4, exec_lo
	v_cmpx_ne_u16_e32 0, v3
	s_cbranch_execz .LBB276_266
; %bb.259:                              ;   in Loop: Header=BB276_10 Depth=1
	v_bfrev_b32_e32 v9, 1
	s_mov_b32 s41, exec_lo
	v_cmpx_ne_u16_e32 0x80, v3
	s_cbranch_execz .LBB276_265
; %bb.260:                              ;   in Loop: Header=BB276_10 Depth=1
	v_and_b32_sdwa v56, v3, v20 dst_sel:DWORD dst_unused:UNUSED_PAD src0_sel:WORD_0 src1_sel:DWORD
	v_mov_b32_e32 v9, 0x7c010000
	s_mov_b32 s42, exec_lo
	v_cmpx_ne_u32_e32 0x7f, v56
	s_cbranch_execz .LBB276_264
; %bb.261:                              ;   in Loop: Header=BB276_10 Depth=1
	v_and_b32_sdwa v9, v3, v21 dst_sel:DWORD dst_unused:UNUSED_PAD src0_sel:WORD_0 src1_sel:DWORD
	v_lshrrev_b32_e32 v55, 3, v56
	s_mov_b32 s43, exec_lo
	v_cmpx_gt_u32_e32 8, v56
; %bb.262:                              ;   in Loop: Header=BB276_10 Depth=1
	v_ffbh_u32_e32 v9, v9
	v_min_u32_e32 v9, 32, v9
	v_subrev_nc_u32_e32 v55, 28, v9
	v_lshlrev_b64 v[56:57], v55, v[3:4]
	v_sub_nc_u32_e32 v55, 29, v9
	v_and_b32_e32 v9, 7, v56
; %bb.263:                              ;   in Loop: Header=BB276_10 Depth=1
	s_or_b32 exec_lo, exec_lo, s43
	v_lshlrev_b32_sdwa v3, v22, v3 dst_sel:DWORD dst_unused:UNUSED_PAD src0_sel:DWORD src1_sel:WORD_0
	v_lshl_add_u32 v55, v55, 10, 0x2000
	v_lshlrev_b32_e32 v9, 23, v9
	v_and_or_b32 v3, 0x8000, v3, v55
	v_lshl_or_b32 v9, v3, 16, v9
.LBB276_264:                            ;   in Loop: Header=BB276_10 Depth=1
	s_or_b32 exec_lo, exec_lo, s42
.LBB276_265:                            ;   in Loop: Header=BB276_10 Depth=1
	s_or_b32 exec_lo, exec_lo, s41
.LBB276_266:                            ;   in Loop: Header=BB276_10 Depth=1
	s_or_b32 exec_lo, exec_lo, s4
	ds_read_b32 v3, v16
	v_or_b32_e32 v25, v26, v25
	v_fma_mixlo_f16 v26, v24, v26, 0 op_sel:[0,1,0] op_sel_hi:[0,1,0]
	v_or_b32_e32 v28, v27, v28
	v_fma_mixlo_f16 v27, v24, v27, 0 op_sel:[0,1,0] op_sel_hi:[0,1,0]
	v_or_b32_e32 v30, v29, v30
	v_fma_mixlo_f16 v25, v24, v25, 0 op_sel_hi:[0,1,0]
	v_and_b32_e32 v58, 0xffff, v26
	v_fma_mixlo_f16 v28, v24, v28, 0 op_sel_hi:[0,1,0]
	v_and_b32_e32 v59, 0xffff, v27
	;; [unrolled: 2-line block ×3, first 2 shown]
	v_fma_mixlo_f16 v29, v24, v29, 0 op_sel:[0,1,0] op_sel_hi:[0,1,0]
	v_or_b32_e32 v32, v31, v32
	v_fma_mixlo_f16 v31, v24, v31, 0 op_sel:[0,1,0] op_sel_hi:[0,1,0]
	v_and_b32_e32 v60, 0xffff, v30
	v_or_b32_e32 v34, v33, v34
	v_and_b32_e32 v61, 0xffff, v29
	v_fma_mixlo_f16 v32, v24, v32, 0 op_sel_hi:[0,1,0]
	v_and_b32_e32 v63, 0xffff, v31
	s_waitcnt lgkmcnt(0)
	v_and_b32_e32 v55, 0xffff, v3
	v_lshrrev_b32_e32 v56, 16, v3
	;;#ASMSTART
	v_cvt_f32_f16 v3, v55;
	;;#ASMEND
	;;#ASMSTART
	v_cvt_f32_f16 v25, v56;
	;;#ASMEND
	;; [unrolled: 3-line block ×4, first 2 shown]
	ds_read_b32 v56, v16 offset:4
	v_and_b32_e32 v58, 0xffff, v28
	v_and_b32_e32 v62, 0xffff, v32
	v_fma_mixlo_f16 v34, v24, v34, 0 op_sel_hi:[0,1,0]
	v_fma_mixlo_f16 v33, v24, v33, 0 op_sel:[0,1,0] op_sel_hi:[0,1,0]
	v_or_b32_e32 v36, v35, v36
	v_fma_mixlo_f16 v35, v24, v35, 0 op_sel:[0,1,0] op_sel_hi:[0,1,0]
	v_or_b32_e32 v38, v37, v38
	v_and_b32_e32 v64, 0xffff, v34
	v_and_b32_e32 v65, 0xffff, v33
	v_fma_mixlo_f16 v36, v24, v36, 0 op_sel_hi:[0,1,0]
	v_and_b32_e32 v67, 0xffff, v35
	v_fma_mixlo_f16 v38, v24, v38, 0 op_sel_hi:[0,1,0]
	v_fma_mixlo_f16 v37, v24, v37, 0 op_sel:[0,1,0] op_sel_hi:[0,1,0]
	v_or_b32_e32 v40, v39, v40
	v_and_b32_e32 v66, 0xffff, v36
	v_fma_mixlo_f16 v39, v24, v39, 0 op_sel:[0,1,0] op_sel_hi:[0,1,0]
	v_and_b32_e32 v68, 0xffff, v38
	v_and_b32_e32 v69, 0xffff, v37
	v_fma_mixlo_f16 v40, v24, v40, 0 op_sel_hi:[0,1,0]
	s_waitcnt lgkmcnt(0)
	v_and_b32_e32 v57, 0xffff, v56
	v_lshrrev_b32_e32 v56, 16, v56
	;;#ASMSTART
	v_cvt_f32_f16 v27, v57;
	;;#ASMEND
	;;#ASMSTART
	v_cvt_f32_f16 v28, v56;
	;;#ASMEND
	;; [unrolled: 3-line block ×4, first 2 shown]
	ds_read_b32 v58, v16 offset:8
	v_and_b32_e32 v70, 0xffff, v40
	v_and_b32_e32 v71, 0xffff, v39
	v_or_b32_e32 v42, v41, v42
	v_fma_mixlo_f16 v41, v24, v41, 0 op_sel:[0,1,0] op_sel_hi:[0,1,0]
	v_or_b32_e32 v44, v43, v44
	v_fma_mixlo_f16 v43, v24, v43, 0 op_sel:[0,1,0] op_sel_hi:[0,1,0]
	v_or_b32_e32 v46, v45, v46
	v_fma_mixlo_f16 v42, v24, v42, 0 op_sel_hi:[0,1,0]
	v_and_b32_e32 v73, 0xffff, v41
	v_fma_mixlo_f16 v44, v24, v44, 0 op_sel_hi:[0,1,0]
	v_and_b32_e32 v75, 0xffff, v43
	;; [unrolled: 2-line block ×3, first 2 shown]
	v_fma_mixlo_f16 v45, v24, v45, 0 op_sel:[0,1,0] op_sel_hi:[0,1,0]
	v_and_b32_e32 v74, 0xffff, v44
	v_or_b32_e32 v48, v47, v48
	v_and_b32_e32 v76, 0xffff, v46
	v_fma_mixlo_f16 v47, v24, v47, 0 op_sel:[0,1,0] op_sel_hi:[0,1,0]
	v_and_b32_e32 v77, 0xffff, v45
	s_waitcnt lgkmcnt(0)
	v_and_b32_e32 v59, 0xffff, v58
	v_lshrrev_b32_e32 v58, 16, v58
	;;#ASMSTART
	v_cvt_f32_f16 v29, v59;
	;;#ASMEND
	;;#ASMSTART
	v_cvt_f32_f16 v30, v58;
	;;#ASMEND
	;; [unrolled: 3-line block ×4, first 2 shown]
	ds_read_b32 v60, v16 offset:12
	v_fma_mixlo_f16 v48, v24, v48, 0 op_sel_hi:[0,1,0]
	v_and_b32_e32 v79, 0xffff, v47
	v_mul_f32_e32 v27, v27, v56
	v_mul_f32_e32 v28, v28, v57
	v_or_b32_e32 v50, v49, v50
	v_and_b32_e32 v78, 0xffff, v48
	v_fma_mixlo_f16 v49, v24, v49, 0 op_sel:[0,1,0] op_sel_hi:[0,1,0]
	v_fmac_f32_e32 v27, v3, v26
	v_fmac_f32_e32 v28, v25, v55
	v_fma_mixlo_f16 v50, v24, v50, 0 op_sel_hi:[0,1,0]
	v_or_b32_e32 v3, v51, v52
	v_and_b32_e32 v81, 0xffff, v49
	v_fmac_f32_e32 v27, v29, v58
	v_fmac_f32_e32 v28, v30, v59
	v_and_b32_e32 v80, 0xffff, v50
	v_fma_mixlo_f16 v25, v24, v51, 0 op_sel:[0,1,0] op_sel_hi:[0,1,0]
	v_fma_mixlo_f16 v3, v24, v3, 0 op_sel_hi:[0,1,0]
	v_or_b32_e32 v10, v9, v10
	v_fma_mixlo_f16 v9, v24, v9, 0 op_sel:[0,1,0] op_sel_hi:[0,1,0]
	s_waitcnt lgkmcnt(0)
	v_and_b32_e32 v61, 0xffff, v60
	v_lshrrev_b32_e32 v60, 16, v60
	;;#ASMSTART
	v_cvt_f32_f16 v31, v61;
	;;#ASMEND
	;;#ASMSTART
	v_cvt_f32_f16 v32, v60;
	;;#ASMEND
	;; [unrolled: 3-line block ×4, first 2 shown]
	ds_read_b32 v62, v16 offset:16
	v_fmac_f32_e32 v27, v31, v60
	v_fmac_f32_e32 v28, v32, v61
	v_and_b32_e32 v29, 0xffff, v25
	v_and_b32_e32 v30, 0xffff, v3
	v_or_b32_e32 v31, v53, v54
	v_fma_mixlo_f16 v32, v24, v53, 0 op_sel:[0,1,0] op_sel_hi:[0,1,0]
	v_fma_mixlo_f16 v10, v24, v10, 0 op_sel_hi:[0,1,0]
	v_fma_mixlo_f16 v31, v24, v31, 0 op_sel_hi:[0,1,0]
	s_waitcnt lgkmcnt(0)
	v_and_b32_e32 v63, 0xffff, v62
	v_lshrrev_b32_e32 v62, 16, v62
	;;#ASMSTART
	v_cvt_f32_f16 v33, v63;
	;;#ASMEND
	;;#ASMSTART
	v_cvt_f32_f16 v34, v62;
	;;#ASMEND
	;; [unrolled: 3-line block ×4, first 2 shown]
	ds_read_b32 v64, v16 offset:20
	v_fmac_f32_e32 v27, v33, v62
	v_fmac_f32_e32 v28, v34, v63
	v_and_b32_e32 v33, 0xffff, v32
	s_waitcnt lgkmcnt(0)
	v_and_b32_e32 v65, 0xffff, v64
	v_lshrrev_b32_e32 v64, 16, v64
	;;#ASMSTART
	v_cvt_f32_f16 v35, v65;
	;;#ASMEND
	;;#ASMSTART
	v_cvt_f32_f16 v36, v64;
	;;#ASMEND
	;; [unrolled: 3-line block ×4, first 2 shown]
	ds_read_b32 v66, v16 offset:24
	v_fmac_f32_e32 v27, v35, v64
	v_fmac_f32_e32 v28, v36, v65
	v_and_b32_e32 v35, 0xffff, v31
	v_and_b32_e32 v36, 0xffff, v9
	s_waitcnt lgkmcnt(0)
	v_and_b32_e32 v67, 0xffff, v66
	v_lshrrev_b32_e32 v66, 16, v66
	;;#ASMSTART
	v_cvt_f32_f16 v37, v67;
	;;#ASMEND
	;;#ASMSTART
	v_cvt_f32_f16 v38, v66;
	;;#ASMEND
	;;#ASMSTART
	v_cvt_f32_f16 v66, v68;
	;;#ASMEND
	;;#ASMSTART
	v_cvt_f32_f16 v67, v69;
	;;#ASMEND
	ds_read_b32 v68, v16 offset:28
	v_fmac_f32_e32 v27, v37, v66
	v_fmac_f32_e32 v28, v38, v67
	s_waitcnt lgkmcnt(0)
	v_and_b32_e32 v69, 0xffff, v68
	v_lshrrev_b32_e32 v68, 16, v68
	;;#ASMSTART
	v_cvt_f32_f16 v39, v69;
	;;#ASMEND
	;;#ASMSTART
	v_cvt_f32_f16 v40, v68;
	;;#ASMEND
	;;#ASMSTART
	v_cvt_f32_f16 v68, v70;
	;;#ASMEND
	;;#ASMSTART
	v_cvt_f32_f16 v69, v71;
	;;#ASMEND
	ds_read_b32 v70, v16 offset:32
	v_fmac_f32_e32 v27, v39, v68
	v_fmac_f32_e32 v28, v40, v69
	s_waitcnt lgkmcnt(0)
	v_and_b32_e32 v71, 0xffff, v70
	v_lshrrev_b32_e32 v70, 16, v70
	;;#ASMSTART
	v_cvt_f32_f16 v41, v71;
	;;#ASMEND
	;;#ASMSTART
	v_cvt_f32_f16 v42, v70;
	;;#ASMEND
	;;#ASMSTART
	v_cvt_f32_f16 v70, v72;
	;;#ASMEND
	;;#ASMSTART
	v_cvt_f32_f16 v71, v73;
	;;#ASMEND
	ds_read_b32 v72, v16 offset:36
	v_fmac_f32_e32 v27, v41, v70
	v_fmac_f32_e32 v28, v42, v71
	s_waitcnt lgkmcnt(0)
	v_and_b32_e32 v73, 0xffff, v72
	v_lshrrev_b32_e32 v72, 16, v72
	;;#ASMSTART
	v_cvt_f32_f16 v43, v73;
	;;#ASMEND
	;;#ASMSTART
	v_cvt_f32_f16 v44, v72;
	;;#ASMEND
	;;#ASMSTART
	v_cvt_f32_f16 v72, v74;
	;;#ASMEND
	;;#ASMSTART
	v_cvt_f32_f16 v73, v75;
	;;#ASMEND
	ds_read_b32 v74, v16 offset:40
	v_fmac_f32_e32 v27, v43, v72
	v_fmac_f32_e32 v28, v44, v73
	s_waitcnt lgkmcnt(0)
	v_and_b32_e32 v75, 0xffff, v74
	v_lshrrev_b32_e32 v74, 16, v74
	;;#ASMSTART
	v_cvt_f32_f16 v45, v75;
	;;#ASMEND
	;;#ASMSTART
	v_cvt_f32_f16 v46, v74;
	;;#ASMEND
	;;#ASMSTART
	v_cvt_f32_f16 v74, v76;
	;;#ASMEND
	;;#ASMSTART
	v_cvt_f32_f16 v75, v77;
	;;#ASMEND
	ds_read_b32 v76, v16 offset:44
	v_fmac_f32_e32 v27, v45, v74
	v_fmac_f32_e32 v28, v46, v75
	s_waitcnt lgkmcnt(0)
	v_and_b32_e32 v77, 0xffff, v76
	v_lshrrev_b32_e32 v76, 16, v76
	;;#ASMSTART
	v_cvt_f32_f16 v47, v77;
	;;#ASMEND
	;;#ASMSTART
	v_cvt_f32_f16 v48, v76;
	;;#ASMEND
	;;#ASMSTART
	v_cvt_f32_f16 v76, v78;
	;;#ASMEND
	;;#ASMSTART
	v_cvt_f32_f16 v77, v79;
	;;#ASMEND
	ds_read_b32 v78, v16 offset:48
	v_fmac_f32_e32 v27, v47, v76
	v_fmac_f32_e32 v28, v48, v77
	s_waitcnt lgkmcnt(0)
	v_and_b32_e32 v79, 0xffff, v78
	v_lshrrev_b32_e32 v78, 16, v78
	;;#ASMSTART
	v_cvt_f32_f16 v49, v79;
	;;#ASMEND
	;;#ASMSTART
	v_cvt_f32_f16 v50, v78;
	;;#ASMEND
	;;#ASMSTART
	v_cvt_f32_f16 v78, v80;
	;;#ASMEND
	;;#ASMSTART
	v_cvt_f32_f16 v79, v81;
	;;#ASMEND
	ds_read_b32 v80, v16 offset:52
	v_fmac_f32_e32 v27, v49, v78
	v_fmac_f32_e32 v28, v50, v79
	s_waitcnt lgkmcnt(0)
	v_and_b32_e32 v25, 0xffff, v80
	v_lshrrev_b32_e32 v26, 16, v80
	;;#ASMSTART
	v_cvt_f32_f16 v3, v25;
	;;#ASMEND
	;;#ASMSTART
	v_cvt_f32_f16 v25, v26;
	;;#ASMEND
	;;#ASMSTART
	v_cvt_f32_f16 v26, v30;
	;;#ASMEND
	;;#ASMSTART
	v_cvt_f32_f16 v29, v29;
	;;#ASMEND
	ds_read_b32 v30, v16 offset:56
	v_fmac_f32_e32 v27, v3, v26
	v_fmac_f32_e32 v28, v25, v29
	v_and_b32_e32 v25, 0xffff, v10
	s_waitcnt lgkmcnt(0)
	v_and_b32_e32 v32, 0xffff, v30
	v_lshrrev_b32_e32 v34, 16, v30
	;;#ASMSTART
	v_cvt_f32_f16 v30, v32;
	;;#ASMEND
	;;#ASMSTART
	v_cvt_f32_f16 v31, v34;
	;;#ASMEND
	;; [unrolled: 3-line block ×4, first 2 shown]
	ds_read_b32 v34, v16 offset:60
	v_xor_b32_e32 v35, 2, v13
	v_fmac_f32_e32 v27, v30, v32
	v_fmac_f32_e32 v28, v31, v33
	v_cmp_gt_i32_e64 s3, 32, v35
	v_cndmask_b32_e64 v9, v13, v35, s3
	s_waitcnt lgkmcnt(0)
	v_and_b32_e32 v3, 0xffff, v34
	v_lshrrev_b32_e32 v24, 16, v34
	;;#ASMSTART
	v_cvt_f32_f16 v3, v3;
	;;#ASMEND
	;;#ASMSTART
	v_cvt_f32_f16 v10, v24;
	;;#ASMEND
	;; [unrolled: 3-line block ×4, first 2 shown]
	v_fmac_f32_e32 v27, v3, v24
	v_fmac_f32_e32 v28, v10, v25
	v_lshlrev_b32_e32 v3, 2, v9
	v_xor_b32_e32 v10, 1, v13
	v_add_f32_e32 v9, v27, v28
	v_cmp_gt_i32_e64 s3, 32, v10
	ds_bpermute_b32 v3, v3, v9
	v_cndmask_b32_e64 v10, v13, v10, s3
	s_waitcnt lgkmcnt(0)
	v_add_f32_e32 v3, v9, v3
	v_lshlrev_b32_e32 v9, 2, v10
	ds_bpermute_b32 v9, v9, v3
	s_and_saveexec_b32 s4, vcc_lo
	s_cbranch_execz .LBB276_9
; %bb.267:                              ;   in Loop: Header=BB276_10 Depth=1
	v_add_nc_u32_e32 v10, s5, v17
	s_waitcnt lgkmcnt(0)
	v_add_f32_e32 v3, v3, v9
	v_cmp_gt_i32_e64 s3, s27, v17
	v_cvt_f32_i32_e32 v10, v10
	v_mul_f32_e32 v10, s36, v10
	v_cndmask_b32_e64 v9, 0, v10, s2
	v_max_f32_e32 v10, v14, v14
	v_fmac_f32_e32 v9, s37, v3
	v_max_f32_e32 v3, v10, v9
	v_cndmask_b32_e64 v9, 0, v9, s3
	v_cndmask_b32_e64 v14, v14, v3, s3
	ds_write_b32 v18, v9
	s_branch .LBB276_9
.LBB276_268:
	s_or_b32 exec_lo, exec_lo, s39
.LBB276_269:
	s_or_b32 exec_lo, exec_lo, s38
	v_xor_b32_e32 v3, 16, v13
	v_xor_b32_e32 v6, 8, v13
	v_max_f32_e32 v7, v14, v14
	v_xor_b32_e32 v8, 4, v13
	v_cmp_lt_i32_e32 vcc_lo, v3, v15
	v_cndmask_b32_e32 v3, v13, v3, vcc_lo
	v_cmp_lt_i32_e32 vcc_lo, v6, v15
	v_lshlrev_b32_e32 v5, 2, v3
	v_cndmask_b32_e32 v6, v13, v6, vcc_lo
	v_cmp_lt_i32_e32 vcc_lo, v8, v15
	ds_bpermute_b32 v3, v5, v14
	v_lshlrev_b32_e32 v6, 2, v6
	v_cndmask_b32_e32 v8, v13, v8, vcc_lo
	v_and_b32_e32 v14, 31, v0
	s_waitcnt lgkmcnt(0)
	v_lshlrev_b32_e32 v9, 2, v8
	v_cmp_eq_u32_e32 vcc_lo, 0, v14
	v_max_f32_e32 v3, v3, v3
	v_max_f32_e32 v3, v7, v3
	ds_bpermute_b32 v7, v6, v3
	s_waitcnt lgkmcnt(0)
	v_max_f32_e32 v7, v7, v7
	v_max_f32_e32 v3, v3, v7
	v_lshlrev_b32_e32 v7, 2, v12
	ds_bpermute_b32 v8, v9, v3
	s_and_saveexec_b32 s2, vcc_lo
	s_cbranch_execz .LBB276_271
; %bb.270:
	s_waitcnt lgkmcnt(0)
	v_max_f32_e32 v8, v8, v8
	v_max_f32_e32 v3, v3, v3
	;; [unrolled: 1-line block ×3, first 2 shown]
	ds_write_b32 v7, v3 offset:256
.LBB276_271:
	s_or_b32 exec_lo, exec_lo, s2
	v_cmp_gt_u32_e64 s2, 4, v14
	v_mov_b32_e32 v3, 0xff7fffff
	s_waitcnt lgkmcnt(0)
	v_lshlrev_b32_e32 v8, 2, v14
	s_barrier
	buffer_gl0_inv
	s_and_saveexec_b32 s3, s2
; %bb.272:
	ds_read_b32 v3, v8 offset:256
; %bb.273:
	s_or_b32 exec_lo, exec_lo, s3
	v_xor_b32_e32 v10, 2, v13
	v_xor_b32_e32 v17, 1, v13
	v_lshlrev_b32_e32 v4, 2, v4
	v_cmp_lt_i32_e64 s3, v10, v15
	v_cndmask_b32_e64 v10, v13, v10, s3
	v_cmp_lt_i32_e64 s3, v17, v15
	v_lshlrev_b32_e32 v10, 2, v10
	v_cndmask_b32_e64 v15, v13, v17, s3
	s_sub_i32 s3, s11, s19
	s_lshl_b32 s3, s3, 3
	s_waitcnt lgkmcnt(0)
	ds_bpermute_b32 v16, v10, v3
	v_max_f32_e32 v3, v3, v3
	v_lshlrev_b32_e32 v15, 2, v15
	s_add_i32 s3, s3, s33
	s_min_i32 s3, s3, s27
	s_sub_i32 s5, s3, s33
	v_cmp_gt_i32_e64 s3, s5, v0
	s_waitcnt lgkmcnt(0)
	v_max_f32_e32 v16, v16, v16
	v_max_f32_e32 v3, v3, v16
	ds_bpermute_b32 v16, v15, v3
	s_waitcnt lgkmcnt(0)
	v_max_f32_e32 v16, v16, v16
	v_max_f32_e32 v3, v3, v16
	v_mov_b32_e32 v16, 0
	ds_bpermute_b32 v3, v4, v3
	v_lshl_add_u32 v4, v0, 2, 0x120
	s_and_saveexec_b32 s12, s3
	s_cbranch_execz .LBB276_277
; %bb.274:
	v_lshl_add_u32 v17, v0, 2, 0x120
	v_mov_b32_e32 v16, 0
	v_mov_b32_e32 v18, v0
	s_mov_b32 s13, 0
	.p2align	6
.LBB276_275:                            ; =>This Inner Loop Header: Depth=1
	ds_read_b32 v19, v17
	v_add_nc_u32_e32 v18, 0x80, v18
	v_cmp_le_i32_e64 s4, s5, v18
	s_or_b32 s13, s4, s13
	s_waitcnt lgkmcnt(0)
	v_sub_f32_e32 v19, v19, v3
	v_mul_f32_e32 v19, 0x3fb8aa3b, v19
	v_exp_f32_e32 v19, v19
	ds_write_b32 v17, v19
	v_add_f32_e32 v16, v16, v19
	v_add_nc_u32_e32 v17, 0x200, v17
	s_andn2_b32 exec_lo, exec_lo, s13
	s_cbranch_execnz .LBB276_275
; %bb.276:
	s_or_b32 exec_lo, exec_lo, s13
.LBB276_277:
	s_or_b32 exec_lo, exec_lo, s12
	ds_bpermute_b32 v5, v5, v16
	s_waitcnt lgkmcnt(0)
	v_add_f32_e32 v5, v16, v5
	ds_bpermute_b32 v6, v6, v5
	s_waitcnt lgkmcnt(0)
	v_add_f32_e32 v5, v5, v6
	;; [unrolled: 3-line block ×5, first 2 shown]
	s_and_saveexec_b32 s4, vcc_lo
; %bb.278:
	ds_write_b32 v7, v5 offset:272
; %bb.279:
	s_or_b32 exec_lo, exec_lo, s4
	s_waitcnt lgkmcnt(0)
	s_barrier
	buffer_gl0_inv
	s_and_saveexec_b32 s4, s2
; %bb.280:
	ds_read_b32 v5, v8 offset:272
; %bb.281:
	s_or_b32 exec_lo, exec_lo, s4
	s_waitcnt lgkmcnt(0)
	ds_bpermute_b32 v6, v10, v5
	v_lshlrev_b32_e32 v7, 2, v13
	s_waitcnt lgkmcnt(0)
	v_add_f32_e32 v5, v5, v6
	ds_bpermute_b32 v6, v15, v5
	s_waitcnt lgkmcnt(0)
	v_add_f32_e32 v5, v5, v6
	v_and_b32_e32 v6, 0xffffff80, v7
	ds_bpermute_b32 v5, v6, v5
	s_and_saveexec_b32 s2, s3
	s_cbranch_execz .LBB276_284
; %bb.282:
	s_waitcnt lgkmcnt(0)
	v_add_f32_e32 v6, 0x358637bd, v5
	s_mov_b32 s3, 0
	v_div_scale_f32 v7, null, v6, v6, 1.0
	v_div_scale_f32 v10, vcc_lo, 1.0, v6, 1.0
	v_rcp_f32_e32 v8, v7
	v_fma_f32 v9, -v7, v8, 1.0
	v_fmac_f32_e32 v8, v9, v8
	v_mul_f32_e32 v9, v10, v8
	v_fma_f32 v13, -v7, v9, v10
	v_fmac_f32_e32 v9, v13, v8
	v_fma_f32 v7, -v7, v9, v10
	v_div_fmas_f32 v7, v7, v8, v9
	v_div_fixup_f32 v6, v7, v6, 1.0
	v_mov_b32_e32 v7, v0
.LBB276_283:                            ; =>This Inner Loop Header: Depth=1
	ds_read_b32 v8, v4
	v_add_nc_u32_e32 v7, 0x80, v7
	v_cmp_le_i32_e32 vcc_lo, s5, v7
	s_or_b32 s3, vcc_lo, s3
	s_waitcnt lgkmcnt(0)
	v_mul_f32_e32 v8, v6, v8
	ds_write_b32 v4, v8
	v_add_nc_u32_e32 v4, 0x200, v4
	s_andn2_b32 exec_lo, exec_lo, s3
	s_cbranch_execnz .LBB276_283
.LBB276_284:
	s_or_b32 exec_lo, exec_lo, s2
	s_mul_i32 s2, s7, s26
	s_mov_b32 s4, exec_lo
	s_mul_i32 s2, s2, s9
	s_waitcnt lgkmcnt(0)
	s_barrier
	buffer_gl0_inv
	v_cmpx_eq_u32_e32 0, v0
	s_cbranch_execz .LBB276_286
; %bb.285:
	s_ashr_i32 s3, s2, 31
	s_mul_i32 s36, s7, s6
	s_lshl_b64 s[12:13], s[2:3], 2
	v_mov_b32_e32 v4, 0
	s_add_u32 s3, s22, s12
	s_addc_u32 s5, s23, s13
	s_ashr_i32 s37, s36, 31
	s_lshl_b64 s[22:23], s[36:37], 2
	s_add_u32 s3, s3, s22
	s_addc_u32 s5, s5, s23
	s_ashr_i32 s9, s8, 31
	s_lshl_b64 s[36:37], s[8:9], 2
	s_add_u32 s38, s3, s36
	s_addc_u32 s39, s5, s37
	s_add_u32 s3, s20, s12
	s_addc_u32 s5, s21, s13
	;; [unrolled: 2-line block ×4, first 2 shown]
	global_store_dword v4, v3, s[38:39]
	global_store_dword v4, v5, s[12:13]
.LBB276_286:
	s_or_b32 exec_lo, exec_lo, s4
	v_mov_b32_e32 v17, 0
	v_mov_b32_e32 v16, 0
	;; [unrolled: 1-line block ×4, first 2 shown]
	s_and_saveexec_b32 s3, s1
	s_cbranch_execz .LBB276_554
; %bb.287:
	v_lshlrev_b32_e32 v4, 3, v14
	s_ashr_i32 s1, s18, 31
	s_add_u32 s4, s34, s18
	s_addc_u32 s1, s35, s1
	v_lshlrev_b64 v[6:7], 2, v[1:2]
	v_add_co_u32 v4, s4, s4, v4
	v_add_co_ci_u32_e64 v5, null, s1, 0, s4
	s_lshl_b64 s[4:5], s[30:31], 2
	s_add_i32 s16, s16, -1
	s_add_u32 s1, s28, s4
	s_addc_u32 s4, s29, s5
	v_add_co_u32 v6, vcc_lo, s1, v6
	v_mov_b32_e32 v3, 0
	v_add3_u32 v18, s33, v11, 7
	v_lshl_add_u32 v19, v12, 5, 0x120
	v_add_co_ci_u32_e64 v7, null, s4, v7, vcc_lo
	v_mov_b32_e32 v20, 0x80
	v_mov_b32_e32 v21, 0x7f
	;; [unrolled: 1-line block ×8, first 2 shown]
	s_mov_b32 s4, -1
	s_mov_b32 s6, s17
	s_mov_b32 s5, 0xffffff
	;; [unrolled: 1-line block ×3, first 2 shown]
	s_branch .LBB276_289
.LBB276_288:                            ;   in Loop: Header=BB276_289 Depth=1
	s_or_b32 exec_lo, exec_lo, s1
	;;#ASMSTART
	v_pk_mul_f16 v2, v35, v41;

	;;#ASMEND
	;;#ASMSTART
	v_pk_mul_f16 v8, v33, v8;

	;;#ASMEND
	;; [unrolled: 4-line block ×4, first 2 shown]
	;;#ASMSTART
	v_pk_add_f16 v2, v2, v8;

	;;#ASMEND
	;;#ASMSTART
	v_pk_add_f16 v2, v2, v9;

	;;#ASMEND
	;; [unrolled: 4-line block ×3, first 2 shown]
	v_add_nc_u32_e32 v1, 4, v1
	v_and_b32_e32 v24, 0xffff, v2
	v_lshrrev_b32_e32 v25, 16, v2
	v_add_f32_e32 v2, v10, v11
	;;#ASMSTART
	v_cvt_f32_f16 v10, v24;
	;;#ASMEND
	v_add_f32_e32 v8, v37, v38
	v_add_f32_e32 v9, v34, v36
	;;#ASMSTART
	v_cvt_f32_f16 v11, v25;
	;;#ASMEND
	v_add_f32_e32 v10, v10, v11
	v_cmp_le_i32_e32 vcc_lo, s11, v1
	v_add_co_u32 v6, s1, v6, 16
	v_add_f32_e32 v15, v15, v2
	v_add_f32_e32 v16, v16, v8
	;; [unrolled: 1-line block ×4, first 2 shown]
	v_add_nc_u32_e32 v18, 32, v18
	v_add_nc_u32_e32 v19, 0x80, v19
	v_add_co_ci_u32_e64 v7, null, 0, v7, s1
	s_or_b32 s9, vcc_lo, s9
	s_andn2_b32 exec_lo, exec_lo, s9
	s_cbranch_execz .LBB276_553
.LBB276_289:                            ; =>This Inner Loop Header: Depth=1
	global_load_dword v2, v[6:7], off
	ds_read2_b64 v[24:27], v19 offset1:1
	ds_read2_b64 v[37:40], v19 offset0:2 offset1:3
	s_waitcnt lgkmcnt(1)
	;;#ASMSTART
	v_cvt_f16_f32 v31, v24;

	;;#ASMEND
	;;#ASMSTART
	v_cvt_f16_f32 v32, v25;

	;;#ASMEND
	;; [unrolled: 4-line block ×4, first 2 shown]
	s_waitcnt lgkmcnt(0)
	;;#ASMSTART
	v_cvt_f16_f32 v37, v37;

	;;#ASMEND
	;;#ASMSTART
	v_cvt_f16_f32 v34, v38;

	;;#ASMEND
	;; [unrolled: 4-line block ×4, first 2 shown]
	v_mov_b32_e32 v26, 0
	s_waitcnt vmcnt(0)
	v_mad_i64_i32 v[8:9], null, v2, s6, v[4:5]
	global_load_dwordx2 v[10:11], v[8:9], off
	global_load_dword v25, v3, s[14:15]
	s_waitcnt vmcnt(1)
	v_cmp_ne_u16_sdwa s12, v10, v3 src0_sel:BYTE_0 src1_sel:DWORD
	s_and_saveexec_b32 s1, s12
	s_cbranch_execz .LBB276_297
; %bb.290:                              ;   in Loop: Header=BB276_289 Depth=1
	v_cmp_ne_u16_sdwa s13, v10, v20 src0_sel:BYTE_0 src1_sel:DWORD
	v_mov_b32_e32 v26, 0x8000
	s_and_saveexec_b32 s12, s13
	s_cbranch_execz .LBB276_296
; %bb.291:                              ;   in Loop: Header=BB276_289 Depth=1
	v_and_b32_e32 v27, 0x7f, v10
	v_mov_b32_e32 v26, 0x7c01
	s_mov_b32 s13, exec_lo
	v_cmpx_ne_u32_e32 0x7f, v27
	s_cbranch_execz .LBB276_295
; %bb.292:                              ;   in Loop: Header=BB276_289 Depth=1
	v_and_b32_e32 v2, 7, v10
	v_lshrrev_b32_e32 v24, 3, v27
	s_mov_b32 s17, exec_lo
	v_cmpx_gt_u32_e32 8, v27
; %bb.293:                              ;   in Loop: Header=BB276_289 Depth=1
	v_ffbh_u32_e32 v2, v2
	v_min_u32_e32 v2, 32, v2
	v_subrev_nc_u32_e32 v24, 28, v2
	v_lshlrev_b64 v[26:27], v24, v[10:11]
	v_sub_nc_u32_e32 v24, 29, v2
	v_and_b32_e32 v2, 7, v26
; %bb.294:                              ;   in Loop: Header=BB276_289 Depth=1
	s_or_b32 exec_lo, exec_lo, s17
	v_lshlrev_b32_e32 v26, 8, v10
	v_lshl_add_u32 v24, v24, 10, 0x2000
	v_lshlrev_b32_e32 v2, 7, v2
	v_and_b32_e32 v26, 0x8000, v26
	v_and_b32_e32 v24, 0xfc00, v24
	v_or3_b32 v26, v26, v24, v2
.LBB276_295:                            ;   in Loop: Header=BB276_289 Depth=1
	s_or_b32 exec_lo, exec_lo, s13
.LBB276_296:                            ;   in Loop: Header=BB276_289 Depth=1
	s_or_b32 exec_lo, exec_lo, s12
.LBB276_297:                            ;   in Loop: Header=BB276_289 Depth=1
	s_or_b32 exec_lo, exec_lo, s1
	v_lshrrev_b16 v2, 8, v10
	v_mov_b32_e32 v24, 0
	v_mov_b32_e32 v27, 0
	s_mov_b32 s1, exec_lo
	v_cmpx_ne_u16_e32 0, v2
	s_cbranch_execz .LBB276_305
; %bb.298:                              ;   in Loop: Header=BB276_289 Depth=1
	v_bfrev_b32_e32 v27, 1
	s_mov_b32 s12, exec_lo
	v_cmpx_ne_u16_e32 0x80, v2
	s_cbranch_execz .LBB276_304
; %bb.299:                              ;   in Loop: Header=BB276_289 Depth=1
	v_and_b32_sdwa v29, v2, v21 dst_sel:DWORD dst_unused:UNUSED_PAD src0_sel:WORD_0 src1_sel:DWORD
	v_mov_b32_e32 v27, 0x7c010000
	s_mov_b32 s13, exec_lo
	v_cmpx_ne_u32_e32 0x7f, v29
	s_cbranch_execz .LBB276_303
; %bb.300:                              ;   in Loop: Header=BB276_289 Depth=1
	v_and_b32_sdwa v27, v2, v22 dst_sel:DWORD dst_unused:UNUSED_PAD src0_sel:WORD_0 src1_sel:DWORD
	v_lshrrev_b32_e32 v28, 3, v29
	s_mov_b32 s17, exec_lo
	v_cmpx_gt_u32_e32 8, v29
; %bb.301:                              ;   in Loop: Header=BB276_289 Depth=1
	v_ffbh_u32_e32 v27, v27
	v_min_u32_e32 v29, 32, v27
	v_subrev_nc_u32_e32 v27, 28, v29
	v_lshlrev_b64 v[27:28], v27, v[2:3]
	v_sub_nc_u32_e32 v28, 29, v29
	v_and_b32_e32 v27, 7, v27
; %bb.302:                              ;   in Loop: Header=BB276_289 Depth=1
	s_or_b32 exec_lo, exec_lo, s17
	v_lshlrev_b32_sdwa v2, v23, v2 dst_sel:DWORD dst_unused:UNUSED_PAD src0_sel:DWORD src1_sel:WORD_0
	v_lshl_add_u32 v28, v28, 10, 0x2000
	v_lshlrev_b32_e32 v27, 23, v27
	v_and_or_b32 v2, 0x8000, v2, v28
	v_lshl_or_b32 v27, v2, 16, v27
.LBB276_303:                            ;   in Loop: Header=BB276_289 Depth=1
	s_or_b32 exec_lo, exec_lo, s13
.LBB276_304:                            ;   in Loop: Header=BB276_289 Depth=1
	s_or_b32 exec_lo, exec_lo, s12
.LBB276_305:                            ;   in Loop: Header=BB276_289 Depth=1
	s_or_b32 exec_lo, exec_lo, s1
	v_lshrrev_b32_e32 v2, 16, v10
	v_cmp_ne_u16_sdwa s12, v2, v3 src0_sel:BYTE_0 src1_sel:DWORD
	s_and_saveexec_b32 s1, s12
	s_cbranch_execz .LBB276_313
; %bb.306:                              ;   in Loop: Header=BB276_289 Depth=1
	v_cmp_ne_u16_sdwa s13, v2, v20 src0_sel:BYTE_0 src1_sel:DWORD
	v_mov_b32_e32 v24, 0x8000
	s_and_saveexec_b32 s12, s13
	s_cbranch_execz .LBB276_312
; %bb.307:                              ;   in Loop: Header=BB276_289 Depth=1
	v_bfe_u32 v29, v10, 16, 7
	v_mov_b32_e32 v24, 0x7c01
	s_mov_b32 s13, exec_lo
	v_cmpx_ne_u32_e32 0x7f, v29
	s_cbranch_execz .LBB276_311
; %bb.308:                              ;   in Loop: Header=BB276_289 Depth=1
	v_and_b32_e32 v24, 7, v2
	v_lshrrev_b32_e32 v28, 3, v29
	s_mov_b32 s17, exec_lo
	v_cmpx_gt_u32_e32 8, v29
; %bb.309:                              ;   in Loop: Header=BB276_289 Depth=1
	v_ffbh_u32_e32 v24, v24
	v_min_u32_e32 v24, 32, v24
	v_subrev_nc_u32_e32 v28, 28, v24
	v_lshlrev_b64 v[29:30], v28, v[2:3]
	v_sub_nc_u32_e32 v28, 29, v24
	v_and_b32_e32 v24, 7, v29
; %bb.310:                              ;   in Loop: Header=BB276_289 Depth=1
	s_or_b32 exec_lo, exec_lo, s17
	v_lshlrev_b32_e32 v2, 8, v2
	v_lshl_add_u32 v28, v28, 10, 0x2000
	v_lshlrev_b32_e32 v24, 7, v24
	v_and_b32_e32 v2, 0x8000, v2
	v_and_b32_e32 v28, 0xfc00, v28
	v_or3_b32 v24, v2, v28, v24
.LBB276_311:                            ;   in Loop: Header=BB276_289 Depth=1
	s_or_b32 exec_lo, exec_lo, s13
.LBB276_312:                            ;   in Loop: Header=BB276_289 Depth=1
	s_or_b32 exec_lo, exec_lo, s12
.LBB276_313:                            ;   in Loop: Header=BB276_289 Depth=1
	s_or_b32 exec_lo, exec_lo, s1
	v_mov_b32_e32 v28, 0
	v_mov_b32_e32 v29, 0
	s_mov_b32 s1, exec_lo
	v_cmpx_lt_u32_e32 0xffffff, v10
	s_cbranch_execz .LBB276_321
; %bb.314:                              ;   in Loop: Header=BB276_289 Depth=1
	v_lshrrev_b32_e32 v2, 24, v10
	v_bfrev_b32_e32 v29, 1
	s_mov_b32 s12, exec_lo
	v_cmpx_ne_u32_e32 0x80, v2
	s_cbranch_execz .LBB276_320
; %bb.315:                              ;   in Loop: Header=BB276_289 Depth=1
	v_and_b32_e32 v39, 0x7f, v2
	v_mov_b32_e32 v29, 0x7c010000
	s_mov_b32 s13, exec_lo
	v_cmpx_ne_u32_e32 0x7f, v39
	s_cbranch_execz .LBB276_319
; %bb.316:                              ;   in Loop: Header=BB276_289 Depth=1
	v_and_b32_e32 v29, 7, v2
	v_lshrrev_b32_e32 v30, 3, v39
	s_mov_b32 s17, exec_lo
	v_cmpx_gt_u32_e32 8, v39
; %bb.317:                              ;   in Loop: Header=BB276_289 Depth=1
	v_ffbh_u32_e32 v29, v29
	v_min_u32_e32 v39, 32, v29
	v_subrev_nc_u32_e32 v29, 28, v39
	v_lshlrev_b64 v[29:30], v29, v[2:3]
	v_sub_nc_u32_e32 v30, 29, v39
	v_and_b32_e32 v29, 7, v29
; %bb.318:                              ;   in Loop: Header=BB276_289 Depth=1
	s_or_b32 exec_lo, exec_lo, s17
	v_lshlrev_b32_e32 v2, 8, v2
	v_lshl_add_u32 v30, v30, 10, 0x2000
	v_lshlrev_b32_e32 v29, 23, v29
	v_and_or_b32 v2, 0x8000, v2, v30
	v_lshl_or_b32 v29, v2, 16, v29
.LBB276_319:                            ;   in Loop: Header=BB276_289 Depth=1
	s_or_b32 exec_lo, exec_lo, s13
.LBB276_320:                            ;   in Loop: Header=BB276_289 Depth=1
	s_or_b32 exec_lo, exec_lo, s12
.LBB276_321:                            ;   in Loop: Header=BB276_289 Depth=1
	s_or_b32 exec_lo, exec_lo, s1
	v_mov_b32_e32 v2, v11
	v_cmp_ne_u16_sdwa s12, v11, v3 src0_sel:BYTE_0 src1_sel:DWORD
	s_and_saveexec_b32 s1, s12
	s_cbranch_execz .LBB276_329
; %bb.322:                              ;   in Loop: Header=BB276_289 Depth=1
	v_cmp_ne_u16_sdwa s13, v11, v20 src0_sel:BYTE_0 src1_sel:DWORD
	v_mov_b32_e32 v28, 0x8000
	s_and_saveexec_b32 s12, s13
	s_cbranch_execz .LBB276_328
; %bb.323:                              ;   in Loop: Header=BB276_289 Depth=1
	v_and_b32_e32 v39, 0x7f, v11
	v_mov_b32_e32 v28, 0x7c01
	s_mov_b32 s13, exec_lo
	v_cmpx_ne_u32_e32 0x7f, v39
	s_cbranch_execz .LBB276_327
; %bb.324:                              ;   in Loop: Header=BB276_289 Depth=1
	v_and_b32_e32 v28, 7, v11
	v_lshrrev_b32_e32 v30, 3, v39
	s_mov_b32 s17, exec_lo
	v_cmpx_gt_u32_e32 8, v39
; %bb.325:                              ;   in Loop: Header=BB276_289 Depth=1
	v_ffbh_u32_e32 v28, v28
	v_min_u32_e32 v28, 32, v28
	v_subrev_nc_u32_e32 v30, 28, v28
	v_lshlrev_b64 v[39:40], v30, v[2:3]
	v_sub_nc_u32_e32 v30, 29, v28
	v_and_b32_e32 v28, 7, v39
; %bb.326:                              ;   in Loop: Header=BB276_289 Depth=1
	s_or_b32 exec_lo, exec_lo, s17
	v_lshlrev_b32_e32 v39, 8, v11
	v_lshl_add_u32 v30, v30, 10, 0x2000
	v_lshlrev_b32_e32 v28, 7, v28
	v_and_b32_e32 v39, 0x8000, v39
	v_and_b32_e32 v30, 0xfc00, v30
	v_or3_b32 v28, v39, v30, v28
.LBB276_327:                            ;   in Loop: Header=BB276_289 Depth=1
	s_or_b32 exec_lo, exec_lo, s13
.LBB276_328:                            ;   in Loop: Header=BB276_289 Depth=1
	s_or_b32 exec_lo, exec_lo, s12
.LBB276_329:                            ;   in Loop: Header=BB276_289 Depth=1
	s_or_b32 exec_lo, exec_lo, s1
	v_lshrrev_b16 v2, 8, v2
	v_mov_b32_e32 v39, 0
	v_mov_b32_e32 v30, 0
	s_mov_b32 s1, exec_lo
	v_cmpx_ne_u16_e32 0, v2
	s_cbranch_execz .LBB276_337
; %bb.330:                              ;   in Loop: Header=BB276_289 Depth=1
	v_bfrev_b32_e32 v30, 1
	s_mov_b32 s12, exec_lo
	v_cmpx_ne_u16_e32 0x80, v2
	s_cbranch_execz .LBB276_336
; %bb.331:                              ;   in Loop: Header=BB276_289 Depth=1
	v_and_b32_sdwa v41, v2, v21 dst_sel:DWORD dst_unused:UNUSED_PAD src0_sel:WORD_0 src1_sel:DWORD
	v_mov_b32_e32 v30, 0x7c010000
	s_mov_b32 s13, exec_lo
	v_cmpx_ne_u32_e32 0x7f, v41
	s_cbranch_execz .LBB276_335
; %bb.332:                              ;   in Loop: Header=BB276_289 Depth=1
	v_and_b32_sdwa v30, v2, v22 dst_sel:DWORD dst_unused:UNUSED_PAD src0_sel:WORD_0 src1_sel:DWORD
	v_lshrrev_b32_e32 v40, 3, v41
	s_mov_b32 s17, exec_lo
	v_cmpx_gt_u32_e32 8, v41
; %bb.333:                              ;   in Loop: Header=BB276_289 Depth=1
	v_ffbh_u32_e32 v30, v30
	v_min_u32_e32 v30, 32, v30
	v_subrev_nc_u32_e32 v40, 28, v30
	v_lshlrev_b64 v[41:42], v40, v[2:3]
	v_sub_nc_u32_e32 v40, 29, v30
	v_and_b32_e32 v30, 7, v41
; %bb.334:                              ;   in Loop: Header=BB276_289 Depth=1
	s_or_b32 exec_lo, exec_lo, s17
	v_lshlrev_b32_sdwa v2, v23, v2 dst_sel:DWORD dst_unused:UNUSED_PAD src0_sel:DWORD src1_sel:WORD_0
	v_lshl_add_u32 v40, v40, 10, 0x2000
	v_lshlrev_b32_e32 v30, 23, v30
	v_and_or_b32 v2, 0x8000, v2, v40
	v_lshl_or_b32 v30, v2, 16, v30
.LBB276_335:                            ;   in Loop: Header=BB276_289 Depth=1
	s_or_b32 exec_lo, exec_lo, s13
.LBB276_336:                            ;   in Loop: Header=BB276_289 Depth=1
	s_or_b32 exec_lo, exec_lo, s12
.LBB276_337:                            ;   in Loop: Header=BB276_289 Depth=1
	s_or_b32 exec_lo, exec_lo, s1
	v_lshrrev_b32_e32 v2, 16, v11
	v_cmp_ne_u16_sdwa s12, v2, v3 src0_sel:BYTE_0 src1_sel:DWORD
	s_and_saveexec_b32 s1, s12
	s_cbranch_execz .LBB276_345
; %bb.338:                              ;   in Loop: Header=BB276_289 Depth=1
	v_cmp_ne_u16_sdwa s13, v2, v20 src0_sel:BYTE_0 src1_sel:DWORD
	v_mov_b32_e32 v39, 0x8000
	s_and_saveexec_b32 s12, s13
	s_cbranch_execz .LBB276_344
; %bb.339:                              ;   in Loop: Header=BB276_289 Depth=1
	v_bfe_u32 v41, v11, 16, 7
	v_mov_b32_e32 v39, 0x7c01
	s_mov_b32 s13, exec_lo
	v_cmpx_ne_u32_e32 0x7f, v41
	s_cbranch_execz .LBB276_343
; %bb.340:                              ;   in Loop: Header=BB276_289 Depth=1
	v_and_b32_e32 v39, 7, v2
	v_lshrrev_b32_e32 v40, 3, v41
	s_mov_b32 s17, exec_lo
	v_cmpx_gt_u32_e32 8, v41
; %bb.341:                              ;   in Loop: Header=BB276_289 Depth=1
	v_ffbh_u32_e32 v39, v39
	v_min_u32_e32 v41, 32, v39
	v_subrev_nc_u32_e32 v39, 28, v41
	v_lshlrev_b64 v[39:40], v39, v[2:3]
	v_sub_nc_u32_e32 v40, 29, v41
	v_and_b32_e32 v39, 7, v39
; %bb.342:                              ;   in Loop: Header=BB276_289 Depth=1
	s_or_b32 exec_lo, exec_lo, s17
	v_lshlrev_b32_e32 v2, 8, v2
	v_lshl_add_u32 v40, v40, 10, 0x2000
	v_lshlrev_b32_e32 v39, 7, v39
	v_and_b32_e32 v2, 0x8000, v2
	v_and_b32_e32 v40, 0xfc00, v40
	v_or3_b32 v39, v2, v40, v39
.LBB276_343:                            ;   in Loop: Header=BB276_289 Depth=1
	s_or_b32 exec_lo, exec_lo, s13
.LBB276_344:                            ;   in Loop: Header=BB276_289 Depth=1
	s_or_b32 exec_lo, exec_lo, s12
.LBB276_345:                            ;   in Loop: Header=BB276_289 Depth=1
	s_or_b32 exec_lo, exec_lo, s1
	v_cmp_lt_u64_e32 vcc_lo, s[4:5], v[10:11]
	v_mov_b32_e32 v10, 0
	s_and_saveexec_b32 s1, vcc_lo
	s_cbranch_execz .LBB276_353
; %bb.346:                              ;   in Loop: Header=BB276_289 Depth=1
	v_lshrrev_b32_e32 v2, 24, v11
	v_bfrev_b32_e32 v10, 1
	s_mov_b32 s12, exec_lo
	v_cmpx_ne_u32_e32 0x80, v2
	s_cbranch_execz .LBB276_352
; %bb.347:                              ;   in Loop: Header=BB276_289 Depth=1
	v_and_b32_e32 v40, 0x7f, v2
	v_mov_b32_e32 v10, 0x7c010000
	s_mov_b32 s13, exec_lo
	v_cmpx_ne_u32_e32 0x7f, v40
	s_cbranch_execz .LBB276_351
; %bb.348:                              ;   in Loop: Header=BB276_289 Depth=1
	v_and_b32_e32 v10, 7, v2
	v_lshrrev_b32_e32 v11, 3, v40
	s_mov_b32 s17, exec_lo
	v_cmpx_gt_u32_e32 8, v40
; %bb.349:                              ;   in Loop: Header=BB276_289 Depth=1
	v_ffbh_u32_e32 v10, v10
	v_min_u32_e32 v40, 32, v10
	v_subrev_nc_u32_e32 v10, 28, v40
	v_lshlrev_b64 v[10:11], v10, v[2:3]
	v_sub_nc_u32_e32 v11, 29, v40
	v_and_b32_e32 v10, 7, v10
; %bb.350:                              ;   in Loop: Header=BB276_289 Depth=1
	s_or_b32 exec_lo, exec_lo, s17
	v_lshlrev_b32_e32 v2, 8, v2
	v_lshl_add_u32 v11, v11, 10, 0x2000
	v_lshlrev_b32_e32 v10, 23, v10
	v_and_or_b32 v2, 0x8000, v2, v11
	v_lshl_or_b32 v10, v2, 16, v10
.LBB276_351:                            ;   in Loop: Header=BB276_289 Depth=1
	s_or_b32 exec_lo, exec_lo, s13
.LBB276_352:                            ;   in Loop: Header=BB276_289 Depth=1
	s_or_b32 exec_lo, exec_lo, s12
.LBB276_353:                            ;   in Loop: Header=BB276_289 Depth=1
	s_or_b32 exec_lo, exec_lo, s1
	v_or_b32_e32 v2, v29, v24
	s_waitcnt vmcnt(0)
	v_fma_mixlo_f16 v11, v25, v29, 0 op_sel:[0,1,0] op_sel_hi:[0,1,0]
	v_or_b32_e32 v26, v27, v26
	v_fma_mixlo_f16 v27, v25, v27, 0 op_sel:[0,1,0] op_sel_hi:[0,1,0]
	v_or_b32_e32 v28, v30, v28
	v_fma_mixlo_f16 v2, v25, v2, 0 op_sel_hi:[0,1,0]
	v_or_b32_e32 v29, v10, v39
	v_fma_mixlo_f16 v10, v25, v10, 0 op_sel:[0,1,0] op_sel_hi:[0,1,0]
	v_lshlrev_b32_e32 v45, 16, v27
	v_fma_mixlo_f16 v27, v25, v28, 0 op_sel_hi:[0,1,0]
	v_and_b32_e32 v42, 0xffff, v2
	v_fma_mixlo_f16 v2, v25, v26, 0 op_sel_hi:[0,1,0]
	v_fma_mixlo_f16 v26, v25, v30, 0 op_sel:[0,1,0] op_sel_hi:[0,1,0]
	v_fma_mixlo_f16 v25, v25, v29, 0 op_sel_hi:[0,1,0]
	v_lshlrev_b32_e32 v11, 16, v11
	v_and_b32_e32 v46, 0xffff, v27
	v_and_b32_e32 v47, 0xffff, v2
	v_lshlrev_b32_e32 v43, 16, v26
	v_lshlrev_b32_e32 v40, 16, v10
	v_and_b32_e32 v44, 0xffff, v25
	v_add_nc_u32_e32 v24, -7, v18
	v_cmp_eq_u32_e32 vcc_lo, s16, v1
	v_or_b32_e32 v2, v11, v42
	v_or_b32_e32 v10, v45, v47
	;; [unrolled: 1-line block ×4, first 2 shown]
	v_add_nc_u32_e32 v30, -6, v18
	v_add_nc_u32_e32 v29, -5, v18
	;; [unrolled: 1-line block ×6, first 2 shown]
	s_and_saveexec_b32 s12, vcc_lo
	s_cbranch_execz .LBB276_355
; %bb.354:                              ;   in Loop: Header=BB276_289 Depth=1
	v_cmp_gt_i32_e64 s1, s27, v24
	v_cndmask_b32_e64 v2, 0, v47, s1
	v_cmp_gt_i32_e64 s1, s27, v30
	v_cndmask_b32_e64 v10, 0, v45, s1
	v_cmp_gt_i32_e64 s1, s27, v29
	v_or_b32_e32 v10, v10, v2
	v_cndmask_b32_e64 v39, 0, v42, s1
	v_cmp_gt_i32_e64 s1, s27, v28
	v_cndmask_b32_e64 v11, 0, v11, s1
	v_cmp_gt_i32_e64 s1, s27, v27
	v_or_b32_e32 v2, v11, v39
	;; [unrolled: 5-line block ×3, first 2 shown]
	v_cndmask_b32_e64 v43, 0, v44, s1
	v_cmp_gt_i32_e64 s1, s27, v18
	v_cndmask_b32_e64 v40, 0, v40, s1
	v_or_b32_e32 v41, v40, v43
.LBB276_355:                            ;   in Loop: Header=BB276_289 Depth=1
	s_or_b32 exec_lo, exec_lo, s12
	v_and_b32_e32 v11, 0xffff, v31
	v_and_b32_e32 v31, 0xffff, v35
	;; [unrolled: 1-line block ×4, first 2 shown]
	v_lshl_or_b32 v35, v32, 16, v11
	v_lshl_or_b32 v33, v33, 16, v31
	;;#ASMSTART
	v_pk_mul_f16 v10, v35, v10;

	;;#ASMEND
	;;#ASMSTART
	v_pk_mul_f16 v2, v33, v2;

	;;#ASMEND
	v_lshl_or_b32 v32, v34, 16, v37
	v_lshl_or_b32 v31, v36, 16, v38
	;;#ASMSTART
	v_pk_mul_f16 v11, v32, v39;

	;;#ASMEND
	;;#ASMSTART
	v_pk_mul_f16 v34, v31, v41;

	;;#ASMEND
	;;#ASMSTART
	v_pk_add_f16 v2, v10, v2;

	;;#ASMEND
	;;#ASMSTART
	v_pk_add_f16 v2, v2, v11;
	;; [unrolled: 4-line block ×3, first 2 shown]

	;;#ASMEND
	v_and_b32_e32 v10, 0xffff, v2
	v_lshrrev_b32_e32 v2, 16, v2
	;;#ASMSTART
	v_cvt_f32_f16 v34, v10;
	;;#ASMEND
	;;#ASMSTART
	v_cvt_f32_f16 v36, v2;
	;;#ASMEND
	global_load_dwordx2 v[10:11], v[8:9], off offset:256
	v_mov_b32_e32 v38, 0
	v_mov_b32_e32 v39, 0
	global_load_dword v37, v38, s[14:15]
	s_waitcnt vmcnt(1)
	v_cmp_ne_u16_sdwa s1, v10, v3 src0_sel:BYTE_0 src1_sel:DWORD
	s_and_saveexec_b32 s12, s1
	s_cbranch_execz .LBB276_363
; %bb.356:                              ;   in Loop: Header=BB276_289 Depth=1
	v_cmp_ne_u16_sdwa s1, v10, v20 src0_sel:BYTE_0 src1_sel:DWORD
	v_mov_b32_e32 v39, 0x8000
	s_and_saveexec_b32 s13, s1
	s_cbranch_execz .LBB276_362
; %bb.357:                              ;   in Loop: Header=BB276_289 Depth=1
	v_and_b32_e32 v40, 0x7f, v10
	v_mov_b32_e32 v39, 0x7c01
	s_mov_b32 s17, exec_lo
	v_cmpx_ne_u32_e32 0x7f, v40
	s_cbranch_execz .LBB276_361
; %bb.358:                              ;   in Loop: Header=BB276_289 Depth=1
	v_and_b32_e32 v2, 7, v10
	v_lshrrev_b32_e32 v39, 3, v40
	s_mov_b32 s18, exec_lo
	v_cmpx_gt_u32_e32 8, v40
; %bb.359:                              ;   in Loop: Header=BB276_289 Depth=1
	v_ffbh_u32_e32 v2, v2
	v_min_u32_e32 v2, 32, v2
	v_subrev_nc_u32_e32 v39, 28, v2
	v_lshlrev_b64 v[40:41], v39, v[10:11]
	v_sub_nc_u32_e32 v39, 29, v2
	v_and_b32_e32 v2, 7, v40
; %bb.360:                              ;   in Loop: Header=BB276_289 Depth=1
	s_or_b32 exec_lo, exec_lo, s18
	v_lshlrev_b32_e32 v40, 8, v10
	v_lshl_add_u32 v39, v39, 10, 0x2000
	v_lshlrev_b32_e32 v2, 7, v2
	v_and_b32_e32 v40, 0x8000, v40
	v_and_b32_e32 v39, 0xfc00, v39
	v_or3_b32 v39, v40, v39, v2
.LBB276_361:                            ;   in Loop: Header=BB276_289 Depth=1
	s_or_b32 exec_lo, exec_lo, s17
.LBB276_362:                            ;   in Loop: Header=BB276_289 Depth=1
	s_or_b32 exec_lo, exec_lo, s13
.LBB276_363:                            ;   in Loop: Header=BB276_289 Depth=1
	s_or_b32 exec_lo, exec_lo, s12
	v_lshrrev_b16 v2, 8, v10
	s_mov_b32 s12, exec_lo
	v_cmpx_ne_u16_e32 0, v2
	s_cbranch_execz .LBB276_371
; %bb.364:                              ;   in Loop: Header=BB276_289 Depth=1
	v_bfrev_b32_e32 v38, 1
	s_mov_b32 s13, exec_lo
	v_cmpx_ne_u16_e32 0x80, v2
	s_cbranch_execz .LBB276_370
; %bb.365:                              ;   in Loop: Header=BB276_289 Depth=1
	v_and_b32_sdwa v41, v2, v21 dst_sel:DWORD dst_unused:UNUSED_PAD src0_sel:WORD_0 src1_sel:DWORD
	v_mov_b32_e32 v38, 0x7c010000
	s_mov_b32 s17, exec_lo
	v_cmpx_ne_u32_e32 0x7f, v41
	s_cbranch_execz .LBB276_369
; %bb.366:                              ;   in Loop: Header=BB276_289 Depth=1
	v_and_b32_sdwa v38, v2, v22 dst_sel:DWORD dst_unused:UNUSED_PAD src0_sel:WORD_0 src1_sel:DWORD
	v_lshrrev_b32_e32 v40, 3, v41
	s_mov_b32 s18, exec_lo
	v_cmpx_gt_u32_e32 8, v41
; %bb.367:                              ;   in Loop: Header=BB276_289 Depth=1
	v_ffbh_u32_e32 v38, v38
	v_min_u32_e32 v38, 32, v38
	v_subrev_nc_u32_e32 v40, 28, v38
	v_lshlrev_b64 v[41:42], v40, v[2:3]
	v_sub_nc_u32_e32 v40, 29, v38
	v_and_b32_e32 v38, 7, v41
; %bb.368:                              ;   in Loop: Header=BB276_289 Depth=1
	s_or_b32 exec_lo, exec_lo, s18
	v_lshlrev_b32_sdwa v2, v23, v2 dst_sel:DWORD dst_unused:UNUSED_PAD src0_sel:DWORD src1_sel:WORD_0
	v_lshl_add_u32 v40, v40, 10, 0x2000
	v_lshlrev_b32_e32 v38, 23, v38
	v_and_or_b32 v2, 0x8000, v2, v40
	v_lshl_or_b32 v38, v2, 16, v38
.LBB276_369:                            ;   in Loop: Header=BB276_289 Depth=1
	s_or_b32 exec_lo, exec_lo, s17
.LBB276_370:                            ;   in Loop: Header=BB276_289 Depth=1
	s_or_b32 exec_lo, exec_lo, s13
.LBB276_371:                            ;   in Loop: Header=BB276_289 Depth=1
	s_or_b32 exec_lo, exec_lo, s12
	v_lshrrev_b32_e32 v2, 16, v10
	v_mov_b32_e32 v40, 0
	v_mov_b32_e32 v41, 0
	v_cmp_ne_u16_sdwa s1, v2, v3 src0_sel:BYTE_0 src1_sel:DWORD
	s_and_saveexec_b32 s12, s1
	s_cbranch_execz .LBB276_379
; %bb.372:                              ;   in Loop: Header=BB276_289 Depth=1
	v_cmp_ne_u16_sdwa s1, v2, v20 src0_sel:BYTE_0 src1_sel:DWORD
	v_mov_b32_e32 v41, 0x8000
	s_and_saveexec_b32 s13, s1
	s_cbranch_execz .LBB276_378
; %bb.373:                              ;   in Loop: Header=BB276_289 Depth=1
	v_bfe_u32 v43, v10, 16, 7
	v_mov_b32_e32 v41, 0x7c01
	s_mov_b32 s17, exec_lo
	v_cmpx_ne_u32_e32 0x7f, v43
	s_cbranch_execz .LBB276_377
; %bb.374:                              ;   in Loop: Header=BB276_289 Depth=1
	v_and_b32_e32 v41, 7, v2
	v_lshrrev_b32_e32 v42, 3, v43
	s_mov_b32 s18, exec_lo
	v_cmpx_gt_u32_e32 8, v43
; %bb.375:                              ;   in Loop: Header=BB276_289 Depth=1
	v_ffbh_u32_e32 v41, v41
	v_min_u32_e32 v43, 32, v41
	v_subrev_nc_u32_e32 v41, 28, v43
	v_lshlrev_b64 v[41:42], v41, v[2:3]
	v_sub_nc_u32_e32 v42, 29, v43
	v_and_b32_e32 v41, 7, v41
; %bb.376:                              ;   in Loop: Header=BB276_289 Depth=1
	s_or_b32 exec_lo, exec_lo, s18
	v_lshlrev_b32_e32 v2, 8, v2
	v_lshl_add_u32 v42, v42, 10, 0x2000
	v_lshlrev_b32_e32 v41, 7, v41
	v_and_b32_e32 v2, 0x8000, v2
	v_and_b32_e32 v42, 0xfc00, v42
	v_or3_b32 v41, v2, v42, v41
.LBB276_377:                            ;   in Loop: Header=BB276_289 Depth=1
	s_or_b32 exec_lo, exec_lo, s17
.LBB276_378:                            ;   in Loop: Header=BB276_289 Depth=1
	s_or_b32 exec_lo, exec_lo, s13
.LBB276_379:                            ;   in Loop: Header=BB276_289 Depth=1
	s_or_b32 exec_lo, exec_lo, s12
	s_mov_b32 s12, exec_lo
	v_cmpx_lt_u32_e32 0xffffff, v10
	s_cbranch_execz .LBB276_387
; %bb.380:                              ;   in Loop: Header=BB276_289 Depth=1
	v_lshrrev_b32_e32 v2, 24, v10
	v_bfrev_b32_e32 v40, 1
	s_mov_b32 s13, exec_lo
	v_cmpx_ne_u32_e32 0x80, v2
	s_cbranch_execz .LBB276_386
; %bb.381:                              ;   in Loop: Header=BB276_289 Depth=1
	v_and_b32_e32 v43, 0x7f, v2
	v_mov_b32_e32 v40, 0x7c010000
	s_mov_b32 s17, exec_lo
	v_cmpx_ne_u32_e32 0x7f, v43
	s_cbranch_execz .LBB276_385
; %bb.382:                              ;   in Loop: Header=BB276_289 Depth=1
	v_and_b32_e32 v40, 7, v2
	v_lshrrev_b32_e32 v42, 3, v43
	s_mov_b32 s18, exec_lo
	v_cmpx_gt_u32_e32 8, v43
; %bb.383:                              ;   in Loop: Header=BB276_289 Depth=1
	v_ffbh_u32_e32 v40, v40
	v_min_u32_e32 v40, 32, v40
	v_subrev_nc_u32_e32 v42, 28, v40
	v_lshlrev_b64 v[43:44], v42, v[2:3]
	v_sub_nc_u32_e32 v42, 29, v40
	v_and_b32_e32 v40, 7, v43
; %bb.384:                              ;   in Loop: Header=BB276_289 Depth=1
	s_or_b32 exec_lo, exec_lo, s18
	v_lshlrev_b32_e32 v2, 8, v2
	v_lshl_add_u32 v42, v42, 10, 0x2000
	v_lshlrev_b32_e32 v40, 23, v40
	v_and_or_b32 v2, 0x8000, v2, v42
	v_lshl_or_b32 v40, v2, 16, v40
.LBB276_385:                            ;   in Loop: Header=BB276_289 Depth=1
	s_or_b32 exec_lo, exec_lo, s17
.LBB276_386:                            ;   in Loop: Header=BB276_289 Depth=1
	s_or_b32 exec_lo, exec_lo, s13
.LBB276_387:                            ;   in Loop: Header=BB276_289 Depth=1
	s_or_b32 exec_lo, exec_lo, s12
	v_mov_b32_e32 v2, v11
	v_cmp_ne_u16_sdwa s1, v11, v3 src0_sel:BYTE_0 src1_sel:DWORD
	v_mov_b32_e32 v42, 0
	v_mov_b32_e32 v43, 0
	s_and_saveexec_b32 s12, s1
	s_cbranch_execz .LBB276_395
; %bb.388:                              ;   in Loop: Header=BB276_289 Depth=1
	v_cmp_ne_u16_sdwa s1, v11, v20 src0_sel:BYTE_0 src1_sel:DWORD
	v_mov_b32_e32 v43, 0x8000
	s_and_saveexec_b32 s13, s1
	s_cbranch_execz .LBB276_394
; %bb.389:                              ;   in Loop: Header=BB276_289 Depth=1
	v_and_b32_e32 v45, 0x7f, v11
	v_mov_b32_e32 v43, 0x7c01
	s_mov_b32 s17, exec_lo
	v_cmpx_ne_u32_e32 0x7f, v45
	s_cbranch_execz .LBB276_393
; %bb.390:                              ;   in Loop: Header=BB276_289 Depth=1
	v_and_b32_e32 v43, 7, v11
	v_lshrrev_b32_e32 v44, 3, v45
	s_mov_b32 s18, exec_lo
	v_cmpx_gt_u32_e32 8, v45
; %bb.391:                              ;   in Loop: Header=BB276_289 Depth=1
	v_ffbh_u32_e32 v43, v43
	v_min_u32_e32 v45, 32, v43
	v_subrev_nc_u32_e32 v43, 28, v45
	v_lshlrev_b64 v[43:44], v43, v[2:3]
	v_sub_nc_u32_e32 v44, 29, v45
	v_and_b32_e32 v43, 7, v43
; %bb.392:                              ;   in Loop: Header=BB276_289 Depth=1
	s_or_b32 exec_lo, exec_lo, s18
	v_lshlrev_b32_e32 v45, 8, v11
	v_lshl_add_u32 v44, v44, 10, 0x2000
	v_lshlrev_b32_e32 v43, 7, v43
	v_and_b32_e32 v45, 0x8000, v45
	v_and_b32_e32 v44, 0xfc00, v44
	v_or3_b32 v43, v45, v44, v43
.LBB276_393:                            ;   in Loop: Header=BB276_289 Depth=1
	s_or_b32 exec_lo, exec_lo, s17
.LBB276_394:                            ;   in Loop: Header=BB276_289 Depth=1
	s_or_b32 exec_lo, exec_lo, s13
.LBB276_395:                            ;   in Loop: Header=BB276_289 Depth=1
	s_or_b32 exec_lo, exec_lo, s12
	v_lshrrev_b16 v2, 8, v2
	v_mov_b32_e32 v44, 0
	s_mov_b32 s12, exec_lo
	v_cmpx_ne_u16_e32 0, v2
	s_cbranch_execz .LBB276_403
; %bb.396:                              ;   in Loop: Header=BB276_289 Depth=1
	v_bfrev_b32_e32 v44, 1
	s_mov_b32 s13, exec_lo
	v_cmpx_ne_u16_e32 0x80, v2
	s_cbranch_execz .LBB276_402
; %bb.397:                              ;   in Loop: Header=BB276_289 Depth=1
	v_and_b32_sdwa v46, v2, v21 dst_sel:DWORD dst_unused:UNUSED_PAD src0_sel:WORD_0 src1_sel:DWORD
	v_mov_b32_e32 v44, 0x7c010000
	s_mov_b32 s17, exec_lo
	v_cmpx_ne_u32_e32 0x7f, v46
	s_cbranch_execz .LBB276_401
; %bb.398:                              ;   in Loop: Header=BB276_289 Depth=1
	v_and_b32_sdwa v44, v2, v22 dst_sel:DWORD dst_unused:UNUSED_PAD src0_sel:WORD_0 src1_sel:DWORD
	v_lshrrev_b32_e32 v45, 3, v46
	s_mov_b32 s18, exec_lo
	v_cmpx_gt_u32_e32 8, v46
; %bb.399:                              ;   in Loop: Header=BB276_289 Depth=1
	v_ffbh_u32_e32 v44, v44
	v_min_u32_e32 v46, 32, v44
	v_subrev_nc_u32_e32 v44, 28, v46
	v_lshlrev_b64 v[44:45], v44, v[2:3]
	v_sub_nc_u32_e32 v45, 29, v46
	v_and_b32_e32 v44, 7, v44
; %bb.400:                              ;   in Loop: Header=BB276_289 Depth=1
	s_or_b32 exec_lo, exec_lo, s18
	v_lshlrev_b32_sdwa v2, v23, v2 dst_sel:DWORD dst_unused:UNUSED_PAD src0_sel:DWORD src1_sel:WORD_0
	v_lshl_add_u32 v45, v45, 10, 0x2000
	v_lshlrev_b32_e32 v44, 23, v44
	v_and_or_b32 v2, 0x8000, v2, v45
	v_lshl_or_b32 v44, v2, 16, v44
.LBB276_401:                            ;   in Loop: Header=BB276_289 Depth=1
	s_or_b32 exec_lo, exec_lo, s17
.LBB276_402:                            ;   in Loop: Header=BB276_289 Depth=1
	s_or_b32 exec_lo, exec_lo, s13
.LBB276_403:                            ;   in Loop: Header=BB276_289 Depth=1
	s_or_b32 exec_lo, exec_lo, s12
	v_lshrrev_b32_e32 v2, 16, v11
	v_cmp_ne_u16_sdwa s1, v2, v3 src0_sel:BYTE_0 src1_sel:DWORD
	s_and_saveexec_b32 s12, s1
	s_cbranch_execz .LBB276_411
; %bb.404:                              ;   in Loop: Header=BB276_289 Depth=1
	v_cmp_ne_u16_sdwa s1, v2, v20 src0_sel:BYTE_0 src1_sel:DWORD
	v_mov_b32_e32 v42, 0x8000
	s_and_saveexec_b32 s13, s1
	s_cbranch_execz .LBB276_410
; %bb.405:                              ;   in Loop: Header=BB276_289 Depth=1
	v_bfe_u32 v46, v11, 16, 7
	v_mov_b32_e32 v42, 0x7c01
	s_mov_b32 s17, exec_lo
	v_cmpx_ne_u32_e32 0x7f, v46
	s_cbranch_execz .LBB276_409
; %bb.406:                              ;   in Loop: Header=BB276_289 Depth=1
	v_and_b32_e32 v42, 7, v2
	v_lshrrev_b32_e32 v45, 3, v46
	s_mov_b32 s18, exec_lo
	v_cmpx_gt_u32_e32 8, v46
; %bb.407:                              ;   in Loop: Header=BB276_289 Depth=1
	v_ffbh_u32_e32 v42, v42
	v_min_u32_e32 v42, 32, v42
	v_subrev_nc_u32_e32 v45, 28, v42
	v_lshlrev_b64 v[46:47], v45, v[2:3]
	v_sub_nc_u32_e32 v45, 29, v42
	v_and_b32_e32 v42, 7, v46
; %bb.408:                              ;   in Loop: Header=BB276_289 Depth=1
	s_or_b32 exec_lo, exec_lo, s18
	v_lshlrev_b32_e32 v2, 8, v2
	v_lshl_add_u32 v45, v45, 10, 0x2000
	v_lshlrev_b32_e32 v42, 7, v42
	v_and_b32_e32 v2, 0x8000, v2
	v_and_b32_e32 v45, 0xfc00, v45
	v_or3_b32 v42, v2, v45, v42
.LBB276_409:                            ;   in Loop: Header=BB276_289 Depth=1
	s_or_b32 exec_lo, exec_lo, s17
.LBB276_410:                            ;   in Loop: Header=BB276_289 Depth=1
	s_or_b32 exec_lo, exec_lo, s13
.LBB276_411:                            ;   in Loop: Header=BB276_289 Depth=1
	s_or_b32 exec_lo, exec_lo, s12
	v_cmp_lt_u64_e64 s1, s[4:5], v[10:11]
	v_mov_b32_e32 v10, 0
	s_and_saveexec_b32 s12, s1
	s_cbranch_execz .LBB276_419
; %bb.412:                              ;   in Loop: Header=BB276_289 Depth=1
	v_lshrrev_b32_e32 v2, 24, v11
	v_bfrev_b32_e32 v10, 1
	s_mov_b32 s13, exec_lo
	v_cmpx_ne_u32_e32 0x80, v2
	s_cbranch_execz .LBB276_418
; %bb.413:                              ;   in Loop: Header=BB276_289 Depth=1
	v_and_b32_e32 v45, 0x7f, v2
	v_mov_b32_e32 v10, 0x7c010000
	s_mov_b32 s17, exec_lo
	v_cmpx_ne_u32_e32 0x7f, v45
	s_cbranch_execz .LBB276_417
; %bb.414:                              ;   in Loop: Header=BB276_289 Depth=1
	v_and_b32_e32 v10, 7, v2
	v_lshrrev_b32_e32 v11, 3, v45
	s_mov_b32 s18, exec_lo
	v_cmpx_gt_u32_e32 8, v45
; %bb.415:                              ;   in Loop: Header=BB276_289 Depth=1
	v_ffbh_u32_e32 v10, v10
	v_min_u32_e32 v45, 32, v10
	v_subrev_nc_u32_e32 v10, 28, v45
	v_lshlrev_b64 v[10:11], v10, v[2:3]
	v_sub_nc_u32_e32 v11, 29, v45
	v_and_b32_e32 v10, 7, v10
; %bb.416:                              ;   in Loop: Header=BB276_289 Depth=1
	s_or_b32 exec_lo, exec_lo, s18
	v_lshlrev_b32_e32 v2, 8, v2
	v_lshl_add_u32 v11, v11, 10, 0x2000
	v_lshlrev_b32_e32 v10, 23, v10
	v_and_or_b32 v2, 0x8000, v2, v11
	v_lshl_or_b32 v10, v2, 16, v10
.LBB276_417:                            ;   in Loop: Header=BB276_289 Depth=1
	s_or_b32 exec_lo, exec_lo, s17
.LBB276_418:                            ;   in Loop: Header=BB276_289 Depth=1
	s_or_b32 exec_lo, exec_lo, s13
.LBB276_419:                            ;   in Loop: Header=BB276_289 Depth=1
	s_or_b32 exec_lo, exec_lo, s12
	v_or_b32_e32 v2, v40, v41
	s_waitcnt vmcnt(0)
	v_fma_mixlo_f16 v11, v37, v40, 0 op_sel:[0,1,0] op_sel_hi:[0,1,0]
	v_or_b32_e32 v40, v38, v39
	v_fma_mixlo_f16 v38, v37, v38, 0 op_sel:[0,1,0] op_sel_hi:[0,1,0]
	v_or_b32_e32 v41, v44, v43
	v_or_b32_e32 v42, v10, v42
	v_fma_mixlo_f16 v43, v37, v2, 0 op_sel_hi:[0,1,0]
	v_fma_mixlo_f16 v10, v37, v10, 0 op_sel:[0,1,0] op_sel_hi:[0,1,0]
	v_lshlrev_b32_e32 v39, 16, v38
	v_fma_mixlo_f16 v38, v37, v40, 0 op_sel_hi:[0,1,0]
	v_fma_mixlo_f16 v40, v37, v44, 0 op_sel:[0,1,0] op_sel_hi:[0,1,0]
	v_fma_mixlo_f16 v41, v37, v41, 0 op_sel_hi:[0,1,0]
	v_fma_mixlo_f16 v42, v37, v42, 0 op_sel_hi:[0,1,0]
	v_lshlrev_b32_e32 v2, 16, v11
	v_and_b32_e32 v11, 0xffff, v43
	v_and_b32_e32 v45, 0xffff, v38
	v_lshlrev_b32_e32 v37, 16, v40
	v_and_b32_e32 v41, 0xffff, v41
	v_lshlrev_b32_e32 v10, 16, v10
	v_and_b32_e32 v38, 0xffff, v42
	v_or_b32_e32 v40, v2, v11
	v_or_b32_e32 v44, v39, v45
	;; [unrolled: 1-line block ×4, first 2 shown]
	s_and_saveexec_b32 s12, vcc_lo
	s_cbranch_execz .LBB276_421
; %bb.420:                              ;   in Loop: Header=BB276_289 Depth=1
	v_cmp_gt_i32_e64 s1, s27, v24
	v_cndmask_b32_e64 v40, 0, v45, s1
	v_cmp_gt_i32_e64 s1, s27, v30
	v_cndmask_b32_e64 v39, 0, v39, s1
	v_cmp_gt_i32_e64 s1, s27, v29
	v_or_b32_e32 v44, v39, v40
	v_cndmask_b32_e64 v11, 0, v11, s1
	v_cmp_gt_i32_e64 s1, s27, v28
	v_cndmask_b32_e64 v2, 0, v2, s1
	v_cmp_gt_i32_e64 s1, s27, v27
	v_or_b32_e32 v40, v2, v11
	v_cndmask_b32_e64 v41, 0, v41, s1
	v_cmp_gt_i32_e64 s1, s27, v26
	v_cndmask_b32_e64 v37, 0, v37, s1
	v_cmp_gt_i32_e64 s1, s27, v25
	v_or_b32_e32 v43, v37, v41
	v_cndmask_b32_e64 v38, 0, v38, s1
	v_cmp_gt_i32_e64 s1, s27, v18
	v_cndmask_b32_e64 v10, 0, v10, s1
	v_or_b32_e32 v42, v10, v38
.LBB276_421:                            ;   in Loop: Header=BB276_289 Depth=1
	s_or_b32 exec_lo, exec_lo, s12
	;;#ASMSTART
	v_pk_mul_f16 v2, v35, v44;

	;;#ASMEND
	;;#ASMSTART
	v_pk_mul_f16 v10, v33, v40;

	;;#ASMEND
	;; [unrolled: 4-line block ×4, first 2 shown]
	;;#ASMSTART
	v_pk_add_f16 v2, v2, v10;

	;;#ASMEND
	;;#ASMSTART
	v_pk_add_f16 v2, v2, v11;

	;;#ASMEND
	;; [unrolled: 4-line block ×3, first 2 shown]
	v_and_b32_e32 v10, 0xffff, v2
	v_lshrrev_b32_e32 v2, 16, v2
	;;#ASMSTART
	v_cvt_f32_f16 v37, v10;
	;;#ASMEND
	;;#ASMSTART
	v_cvt_f32_f16 v38, v2;
	;;#ASMEND
	global_load_dwordx2 v[10:11], v[8:9], off offset:512
	v_mov_b32_e32 v40, 0
	v_mov_b32_e32 v41, 0
	global_load_dword v39, v40, s[14:15]
	s_waitcnt vmcnt(1)
	v_cmp_ne_u16_sdwa s1, v10, v3 src0_sel:BYTE_0 src1_sel:DWORD
	s_and_saveexec_b32 s12, s1
	s_cbranch_execz .LBB276_429
; %bb.422:                              ;   in Loop: Header=BB276_289 Depth=1
	v_cmp_ne_u16_sdwa s1, v10, v20 src0_sel:BYTE_0 src1_sel:DWORD
	v_mov_b32_e32 v41, 0x8000
	s_and_saveexec_b32 s13, s1
	s_cbranch_execz .LBB276_428
; %bb.423:                              ;   in Loop: Header=BB276_289 Depth=1
	v_and_b32_e32 v42, 0x7f, v10
	v_mov_b32_e32 v41, 0x7c01
	s_mov_b32 s17, exec_lo
	v_cmpx_ne_u32_e32 0x7f, v42
	s_cbranch_execz .LBB276_427
; %bb.424:                              ;   in Loop: Header=BB276_289 Depth=1
	v_and_b32_e32 v2, 7, v10
	v_lshrrev_b32_e32 v41, 3, v42
	s_mov_b32 s18, exec_lo
	v_cmpx_gt_u32_e32 8, v42
; %bb.425:                              ;   in Loop: Header=BB276_289 Depth=1
	v_ffbh_u32_e32 v2, v2
	v_min_u32_e32 v2, 32, v2
	v_subrev_nc_u32_e32 v41, 28, v2
	v_lshlrev_b64 v[42:43], v41, v[10:11]
	v_sub_nc_u32_e32 v41, 29, v2
	v_and_b32_e32 v2, 7, v42
; %bb.426:                              ;   in Loop: Header=BB276_289 Depth=1
	s_or_b32 exec_lo, exec_lo, s18
	v_lshlrev_b32_e32 v42, 8, v10
	v_lshl_add_u32 v41, v41, 10, 0x2000
	v_lshlrev_b32_e32 v2, 7, v2
	v_and_b32_e32 v42, 0x8000, v42
	v_and_b32_e32 v41, 0xfc00, v41
	v_or3_b32 v41, v42, v41, v2
.LBB276_427:                            ;   in Loop: Header=BB276_289 Depth=1
	s_or_b32 exec_lo, exec_lo, s17
.LBB276_428:                            ;   in Loop: Header=BB276_289 Depth=1
	s_or_b32 exec_lo, exec_lo, s13
.LBB276_429:                            ;   in Loop: Header=BB276_289 Depth=1
	s_or_b32 exec_lo, exec_lo, s12
	v_lshrrev_b16 v2, 8, v10
	s_mov_b32 s12, exec_lo
	v_cmpx_ne_u16_e32 0, v2
	s_cbranch_execz .LBB276_437
; %bb.430:                              ;   in Loop: Header=BB276_289 Depth=1
	v_bfrev_b32_e32 v40, 1
	s_mov_b32 s13, exec_lo
	v_cmpx_ne_u16_e32 0x80, v2
	s_cbranch_execz .LBB276_436
; %bb.431:                              ;   in Loop: Header=BB276_289 Depth=1
	v_and_b32_sdwa v43, v2, v21 dst_sel:DWORD dst_unused:UNUSED_PAD src0_sel:WORD_0 src1_sel:DWORD
	v_mov_b32_e32 v40, 0x7c010000
	s_mov_b32 s17, exec_lo
	v_cmpx_ne_u32_e32 0x7f, v43
	s_cbranch_execz .LBB276_435
; %bb.432:                              ;   in Loop: Header=BB276_289 Depth=1
	v_and_b32_sdwa v40, v2, v22 dst_sel:DWORD dst_unused:UNUSED_PAD src0_sel:WORD_0 src1_sel:DWORD
	v_lshrrev_b32_e32 v42, 3, v43
	s_mov_b32 s18, exec_lo
	v_cmpx_gt_u32_e32 8, v43
; %bb.433:                              ;   in Loop: Header=BB276_289 Depth=1
	v_ffbh_u32_e32 v40, v40
	v_min_u32_e32 v40, 32, v40
	v_subrev_nc_u32_e32 v42, 28, v40
	v_lshlrev_b64 v[43:44], v42, v[2:3]
	v_sub_nc_u32_e32 v42, 29, v40
	v_and_b32_e32 v40, 7, v43
; %bb.434:                              ;   in Loop: Header=BB276_289 Depth=1
	s_or_b32 exec_lo, exec_lo, s18
	v_lshlrev_b32_sdwa v2, v23, v2 dst_sel:DWORD dst_unused:UNUSED_PAD src0_sel:DWORD src1_sel:WORD_0
	v_lshl_add_u32 v42, v42, 10, 0x2000
	v_lshlrev_b32_e32 v40, 23, v40
	v_and_or_b32 v2, 0x8000, v2, v42
	v_lshl_or_b32 v40, v2, 16, v40
.LBB276_435:                            ;   in Loop: Header=BB276_289 Depth=1
	s_or_b32 exec_lo, exec_lo, s17
.LBB276_436:                            ;   in Loop: Header=BB276_289 Depth=1
	s_or_b32 exec_lo, exec_lo, s13
.LBB276_437:                            ;   in Loop: Header=BB276_289 Depth=1
	s_or_b32 exec_lo, exec_lo, s12
	v_lshrrev_b32_e32 v2, 16, v10
	v_mov_b32_e32 v42, 0
	v_mov_b32_e32 v43, 0
	v_cmp_ne_u16_sdwa s1, v2, v3 src0_sel:BYTE_0 src1_sel:DWORD
	s_and_saveexec_b32 s12, s1
	s_cbranch_execz .LBB276_445
; %bb.438:                              ;   in Loop: Header=BB276_289 Depth=1
	v_cmp_ne_u16_sdwa s1, v2, v20 src0_sel:BYTE_0 src1_sel:DWORD
	v_mov_b32_e32 v43, 0x8000
	s_and_saveexec_b32 s13, s1
	s_cbranch_execz .LBB276_444
; %bb.439:                              ;   in Loop: Header=BB276_289 Depth=1
	v_bfe_u32 v45, v10, 16, 7
	v_mov_b32_e32 v43, 0x7c01
	s_mov_b32 s17, exec_lo
	v_cmpx_ne_u32_e32 0x7f, v45
	s_cbranch_execz .LBB276_443
; %bb.440:                              ;   in Loop: Header=BB276_289 Depth=1
	v_and_b32_e32 v43, 7, v2
	v_lshrrev_b32_e32 v44, 3, v45
	s_mov_b32 s18, exec_lo
	v_cmpx_gt_u32_e32 8, v45
; %bb.441:                              ;   in Loop: Header=BB276_289 Depth=1
	v_ffbh_u32_e32 v43, v43
	v_min_u32_e32 v45, 32, v43
	v_subrev_nc_u32_e32 v43, 28, v45
	v_lshlrev_b64 v[43:44], v43, v[2:3]
	v_sub_nc_u32_e32 v44, 29, v45
	v_and_b32_e32 v43, 7, v43
; %bb.442:                              ;   in Loop: Header=BB276_289 Depth=1
	s_or_b32 exec_lo, exec_lo, s18
	v_lshlrev_b32_e32 v2, 8, v2
	v_lshl_add_u32 v44, v44, 10, 0x2000
	v_lshlrev_b32_e32 v43, 7, v43
	v_and_b32_e32 v2, 0x8000, v2
	v_and_b32_e32 v44, 0xfc00, v44
	v_or3_b32 v43, v2, v44, v43
.LBB276_443:                            ;   in Loop: Header=BB276_289 Depth=1
	s_or_b32 exec_lo, exec_lo, s17
.LBB276_444:                            ;   in Loop: Header=BB276_289 Depth=1
	s_or_b32 exec_lo, exec_lo, s13
.LBB276_445:                            ;   in Loop: Header=BB276_289 Depth=1
	s_or_b32 exec_lo, exec_lo, s12
	s_mov_b32 s12, exec_lo
	v_cmpx_lt_u32_e32 0xffffff, v10
	s_cbranch_execz .LBB276_453
; %bb.446:                              ;   in Loop: Header=BB276_289 Depth=1
	v_lshrrev_b32_e32 v2, 24, v10
	v_bfrev_b32_e32 v42, 1
	s_mov_b32 s13, exec_lo
	v_cmpx_ne_u32_e32 0x80, v2
	s_cbranch_execz .LBB276_452
; %bb.447:                              ;   in Loop: Header=BB276_289 Depth=1
	v_and_b32_e32 v45, 0x7f, v2
	v_mov_b32_e32 v42, 0x7c010000
	s_mov_b32 s17, exec_lo
	v_cmpx_ne_u32_e32 0x7f, v45
	s_cbranch_execz .LBB276_451
; %bb.448:                              ;   in Loop: Header=BB276_289 Depth=1
	v_and_b32_e32 v42, 7, v2
	v_lshrrev_b32_e32 v44, 3, v45
	s_mov_b32 s18, exec_lo
	v_cmpx_gt_u32_e32 8, v45
; %bb.449:                              ;   in Loop: Header=BB276_289 Depth=1
	v_ffbh_u32_e32 v42, v42
	v_min_u32_e32 v42, 32, v42
	v_subrev_nc_u32_e32 v44, 28, v42
	v_lshlrev_b64 v[45:46], v44, v[2:3]
	v_sub_nc_u32_e32 v44, 29, v42
	v_and_b32_e32 v42, 7, v45
; %bb.450:                              ;   in Loop: Header=BB276_289 Depth=1
	s_or_b32 exec_lo, exec_lo, s18
	v_lshlrev_b32_e32 v2, 8, v2
	v_lshl_add_u32 v44, v44, 10, 0x2000
	v_lshlrev_b32_e32 v42, 23, v42
	v_and_or_b32 v2, 0x8000, v2, v44
	v_lshl_or_b32 v42, v2, 16, v42
.LBB276_451:                            ;   in Loop: Header=BB276_289 Depth=1
	s_or_b32 exec_lo, exec_lo, s17
.LBB276_452:                            ;   in Loop: Header=BB276_289 Depth=1
	s_or_b32 exec_lo, exec_lo, s13
.LBB276_453:                            ;   in Loop: Header=BB276_289 Depth=1
	s_or_b32 exec_lo, exec_lo, s12
	v_mov_b32_e32 v2, v11
	v_cmp_ne_u16_sdwa s1, v11, v3 src0_sel:BYTE_0 src1_sel:DWORD
	v_mov_b32_e32 v44, 0
	v_mov_b32_e32 v45, 0
	s_and_saveexec_b32 s12, s1
	s_cbranch_execz .LBB276_461
; %bb.454:                              ;   in Loop: Header=BB276_289 Depth=1
	v_cmp_ne_u16_sdwa s1, v11, v20 src0_sel:BYTE_0 src1_sel:DWORD
	v_mov_b32_e32 v45, 0x8000
	s_and_saveexec_b32 s13, s1
	s_cbranch_execz .LBB276_460
; %bb.455:                              ;   in Loop: Header=BB276_289 Depth=1
	v_and_b32_e32 v47, 0x7f, v11
	v_mov_b32_e32 v45, 0x7c01
	s_mov_b32 s17, exec_lo
	v_cmpx_ne_u32_e32 0x7f, v47
	s_cbranch_execz .LBB276_459
; %bb.456:                              ;   in Loop: Header=BB276_289 Depth=1
	v_and_b32_e32 v45, 7, v11
	v_lshrrev_b32_e32 v46, 3, v47
	s_mov_b32 s18, exec_lo
	v_cmpx_gt_u32_e32 8, v47
; %bb.457:                              ;   in Loop: Header=BB276_289 Depth=1
	v_ffbh_u32_e32 v45, v45
	v_min_u32_e32 v47, 32, v45
	v_subrev_nc_u32_e32 v45, 28, v47
	v_lshlrev_b64 v[45:46], v45, v[2:3]
	v_sub_nc_u32_e32 v46, 29, v47
	v_and_b32_e32 v45, 7, v45
; %bb.458:                              ;   in Loop: Header=BB276_289 Depth=1
	s_or_b32 exec_lo, exec_lo, s18
	v_lshlrev_b32_e32 v47, 8, v11
	v_lshl_add_u32 v46, v46, 10, 0x2000
	v_lshlrev_b32_e32 v45, 7, v45
	v_and_b32_e32 v47, 0x8000, v47
	v_and_b32_e32 v46, 0xfc00, v46
	v_or3_b32 v45, v47, v46, v45
.LBB276_459:                            ;   in Loop: Header=BB276_289 Depth=1
	s_or_b32 exec_lo, exec_lo, s17
.LBB276_460:                            ;   in Loop: Header=BB276_289 Depth=1
	s_or_b32 exec_lo, exec_lo, s13
.LBB276_461:                            ;   in Loop: Header=BB276_289 Depth=1
	s_or_b32 exec_lo, exec_lo, s12
	v_lshrrev_b16 v2, 8, v2
	v_mov_b32_e32 v46, 0
	s_mov_b32 s12, exec_lo
	v_cmpx_ne_u16_e32 0, v2
	s_cbranch_execz .LBB276_469
; %bb.462:                              ;   in Loop: Header=BB276_289 Depth=1
	v_bfrev_b32_e32 v46, 1
	s_mov_b32 s13, exec_lo
	v_cmpx_ne_u16_e32 0x80, v2
	s_cbranch_execz .LBB276_468
; %bb.463:                              ;   in Loop: Header=BB276_289 Depth=1
	v_and_b32_sdwa v48, v2, v21 dst_sel:DWORD dst_unused:UNUSED_PAD src0_sel:WORD_0 src1_sel:DWORD
	v_mov_b32_e32 v46, 0x7c010000
	s_mov_b32 s17, exec_lo
	v_cmpx_ne_u32_e32 0x7f, v48
	s_cbranch_execz .LBB276_467
; %bb.464:                              ;   in Loop: Header=BB276_289 Depth=1
	v_and_b32_sdwa v46, v2, v22 dst_sel:DWORD dst_unused:UNUSED_PAD src0_sel:WORD_0 src1_sel:DWORD
	v_lshrrev_b32_e32 v47, 3, v48
	s_mov_b32 s18, exec_lo
	v_cmpx_gt_u32_e32 8, v48
; %bb.465:                              ;   in Loop: Header=BB276_289 Depth=1
	v_ffbh_u32_e32 v46, v46
	v_min_u32_e32 v48, 32, v46
	v_subrev_nc_u32_e32 v46, 28, v48
	v_lshlrev_b64 v[46:47], v46, v[2:3]
	v_sub_nc_u32_e32 v47, 29, v48
	v_and_b32_e32 v46, 7, v46
; %bb.466:                              ;   in Loop: Header=BB276_289 Depth=1
	s_or_b32 exec_lo, exec_lo, s18
	v_lshlrev_b32_sdwa v2, v23, v2 dst_sel:DWORD dst_unused:UNUSED_PAD src0_sel:DWORD src1_sel:WORD_0
	v_lshl_add_u32 v47, v47, 10, 0x2000
	v_lshlrev_b32_e32 v46, 23, v46
	v_and_or_b32 v2, 0x8000, v2, v47
	v_lshl_or_b32 v46, v2, 16, v46
.LBB276_467:                            ;   in Loop: Header=BB276_289 Depth=1
	s_or_b32 exec_lo, exec_lo, s17
.LBB276_468:                            ;   in Loop: Header=BB276_289 Depth=1
	s_or_b32 exec_lo, exec_lo, s13
.LBB276_469:                            ;   in Loop: Header=BB276_289 Depth=1
	s_or_b32 exec_lo, exec_lo, s12
	v_lshrrev_b32_e32 v2, 16, v11
	v_cmp_ne_u16_sdwa s1, v2, v3 src0_sel:BYTE_0 src1_sel:DWORD
	s_and_saveexec_b32 s12, s1
	s_cbranch_execz .LBB276_477
; %bb.470:                              ;   in Loop: Header=BB276_289 Depth=1
	v_cmp_ne_u16_sdwa s1, v2, v20 src0_sel:BYTE_0 src1_sel:DWORD
	v_mov_b32_e32 v44, 0x8000
	s_and_saveexec_b32 s13, s1
	s_cbranch_execz .LBB276_476
; %bb.471:                              ;   in Loop: Header=BB276_289 Depth=1
	v_bfe_u32 v48, v11, 16, 7
	v_mov_b32_e32 v44, 0x7c01
	s_mov_b32 s17, exec_lo
	v_cmpx_ne_u32_e32 0x7f, v48
	s_cbranch_execz .LBB276_475
; %bb.472:                              ;   in Loop: Header=BB276_289 Depth=1
	v_and_b32_e32 v44, 7, v2
	v_lshrrev_b32_e32 v47, 3, v48
	s_mov_b32 s18, exec_lo
	v_cmpx_gt_u32_e32 8, v48
; %bb.473:                              ;   in Loop: Header=BB276_289 Depth=1
	v_ffbh_u32_e32 v44, v44
	v_min_u32_e32 v44, 32, v44
	v_subrev_nc_u32_e32 v47, 28, v44
	v_lshlrev_b64 v[48:49], v47, v[2:3]
	v_sub_nc_u32_e32 v47, 29, v44
	v_and_b32_e32 v44, 7, v48
; %bb.474:                              ;   in Loop: Header=BB276_289 Depth=1
	s_or_b32 exec_lo, exec_lo, s18
	v_lshlrev_b32_e32 v2, 8, v2
	v_lshl_add_u32 v47, v47, 10, 0x2000
	v_lshlrev_b32_e32 v44, 7, v44
	v_and_b32_e32 v2, 0x8000, v2
	v_and_b32_e32 v47, 0xfc00, v47
	v_or3_b32 v44, v2, v47, v44
.LBB276_475:                            ;   in Loop: Header=BB276_289 Depth=1
	s_or_b32 exec_lo, exec_lo, s17
.LBB276_476:                            ;   in Loop: Header=BB276_289 Depth=1
	s_or_b32 exec_lo, exec_lo, s13
.LBB276_477:                            ;   in Loop: Header=BB276_289 Depth=1
	s_or_b32 exec_lo, exec_lo, s12
	v_cmp_lt_u64_e64 s1, s[4:5], v[10:11]
	v_mov_b32_e32 v10, 0
	s_and_saveexec_b32 s12, s1
	s_cbranch_execz .LBB276_485
; %bb.478:                              ;   in Loop: Header=BB276_289 Depth=1
	v_lshrrev_b32_e32 v2, 24, v11
	v_bfrev_b32_e32 v10, 1
	s_mov_b32 s13, exec_lo
	v_cmpx_ne_u32_e32 0x80, v2
	s_cbranch_execz .LBB276_484
; %bb.479:                              ;   in Loop: Header=BB276_289 Depth=1
	v_and_b32_e32 v47, 0x7f, v2
	v_mov_b32_e32 v10, 0x7c010000
	s_mov_b32 s17, exec_lo
	v_cmpx_ne_u32_e32 0x7f, v47
	s_cbranch_execz .LBB276_483
; %bb.480:                              ;   in Loop: Header=BB276_289 Depth=1
	v_and_b32_e32 v10, 7, v2
	v_lshrrev_b32_e32 v11, 3, v47
	s_mov_b32 s18, exec_lo
	v_cmpx_gt_u32_e32 8, v47
; %bb.481:                              ;   in Loop: Header=BB276_289 Depth=1
	v_ffbh_u32_e32 v10, v10
	v_min_u32_e32 v47, 32, v10
	v_subrev_nc_u32_e32 v10, 28, v47
	v_lshlrev_b64 v[10:11], v10, v[2:3]
	v_sub_nc_u32_e32 v11, 29, v47
	v_and_b32_e32 v10, 7, v10
; %bb.482:                              ;   in Loop: Header=BB276_289 Depth=1
	s_or_b32 exec_lo, exec_lo, s18
	v_lshlrev_b32_e32 v2, 8, v2
	v_lshl_add_u32 v11, v11, 10, 0x2000
	v_lshlrev_b32_e32 v10, 23, v10
	v_and_or_b32 v2, 0x8000, v2, v11
	v_lshl_or_b32 v10, v2, 16, v10
.LBB276_483:                            ;   in Loop: Header=BB276_289 Depth=1
	s_or_b32 exec_lo, exec_lo, s17
.LBB276_484:                            ;   in Loop: Header=BB276_289 Depth=1
	s_or_b32 exec_lo, exec_lo, s13
.LBB276_485:                            ;   in Loop: Header=BB276_289 Depth=1
	s_or_b32 exec_lo, exec_lo, s12
	v_or_b32_e32 v2, v42, v43
	s_waitcnt vmcnt(0)
	v_fma_mixlo_f16 v11, v39, v42, 0 op_sel:[0,1,0] op_sel_hi:[0,1,0]
	v_or_b32_e32 v42, v40, v41
	v_fma_mixlo_f16 v40, v39, v40, 0 op_sel:[0,1,0] op_sel_hi:[0,1,0]
	v_or_b32_e32 v43, v46, v45
	v_or_b32_e32 v44, v10, v44
	v_fma_mixlo_f16 v45, v39, v2, 0 op_sel_hi:[0,1,0]
	v_fma_mixlo_f16 v10, v39, v10, 0 op_sel:[0,1,0] op_sel_hi:[0,1,0]
	v_lshlrev_b32_e32 v41, 16, v40
	v_fma_mixlo_f16 v40, v39, v42, 0 op_sel_hi:[0,1,0]
	v_fma_mixlo_f16 v42, v39, v46, 0 op_sel:[0,1,0] op_sel_hi:[0,1,0]
	v_fma_mixlo_f16 v43, v39, v43, 0 op_sel_hi:[0,1,0]
	v_fma_mixlo_f16 v44, v39, v44, 0 op_sel_hi:[0,1,0]
	v_lshlrev_b32_e32 v2, 16, v11
	v_and_b32_e32 v11, 0xffff, v45
	v_and_b32_e32 v47, 0xffff, v40
	v_lshlrev_b32_e32 v39, 16, v42
	v_and_b32_e32 v43, 0xffff, v43
	v_lshlrev_b32_e32 v10, 16, v10
	v_and_b32_e32 v40, 0xffff, v44
	v_or_b32_e32 v42, v2, v11
	v_or_b32_e32 v46, v41, v47
	v_or_b32_e32 v45, v39, v43
	v_or_b32_e32 v44, v10, v40
	s_and_saveexec_b32 s12, vcc_lo
	s_cbranch_execz .LBB276_487
; %bb.486:                              ;   in Loop: Header=BB276_289 Depth=1
	v_cmp_gt_i32_e64 s1, s27, v24
	v_cndmask_b32_e64 v42, 0, v47, s1
	v_cmp_gt_i32_e64 s1, s27, v30
	v_cndmask_b32_e64 v41, 0, v41, s1
	v_cmp_gt_i32_e64 s1, s27, v29
	v_or_b32_e32 v46, v41, v42
	v_cndmask_b32_e64 v11, 0, v11, s1
	v_cmp_gt_i32_e64 s1, s27, v28
	v_cndmask_b32_e64 v2, 0, v2, s1
	v_cmp_gt_i32_e64 s1, s27, v27
	v_or_b32_e32 v42, v2, v11
	;; [unrolled: 5-line block ×3, first 2 shown]
	v_cndmask_b32_e64 v40, 0, v40, s1
	v_cmp_gt_i32_e64 s1, s27, v18
	v_cndmask_b32_e64 v10, 0, v10, s1
	v_or_b32_e32 v44, v10, v40
.LBB276_487:                            ;   in Loop: Header=BB276_289 Depth=1
	s_or_b32 exec_lo, exec_lo, s12
	;;#ASMSTART
	v_pk_mul_f16 v2, v35, v46;

	;;#ASMEND
	;;#ASMSTART
	v_pk_mul_f16 v10, v33, v42;

	;;#ASMEND
	;; [unrolled: 4-line block ×4, first 2 shown]
	;;#ASMSTART
	v_pk_add_f16 v2, v2, v10;

	;;#ASMEND
	;;#ASMSTART
	v_pk_add_f16 v2, v2, v11;

	;;#ASMEND
	;; [unrolled: 4-line block ×3, first 2 shown]
	v_and_b32_e32 v10, 0xffff, v2
	v_lshrrev_b32_e32 v2, 16, v2
	;;#ASMSTART
	v_cvt_f32_f16 v10, v10;
	;;#ASMEND
	;;#ASMSTART
	v_cvt_f32_f16 v11, v2;
	;;#ASMEND
	global_load_dwordx2 v[8:9], v[8:9], off offset:768
	v_mov_b32_e32 v40, 0
	v_mov_b32_e32 v41, 0
	global_load_dword v39, v40, s[14:15]
	s_waitcnt vmcnt(1)
	v_cmp_ne_u16_sdwa s1, v8, v3 src0_sel:BYTE_0 src1_sel:DWORD
	s_and_saveexec_b32 s12, s1
	s_cbranch_execz .LBB276_495
; %bb.488:                              ;   in Loop: Header=BB276_289 Depth=1
	v_cmp_ne_u16_sdwa s1, v8, v20 src0_sel:BYTE_0 src1_sel:DWORD
	v_mov_b32_e32 v41, 0x8000
	s_and_saveexec_b32 s13, s1
	s_cbranch_execz .LBB276_494
; %bb.489:                              ;   in Loop: Header=BB276_289 Depth=1
	v_and_b32_e32 v42, 0x7f, v8
	v_mov_b32_e32 v41, 0x7c01
	s_mov_b32 s17, exec_lo
	v_cmpx_ne_u32_e32 0x7f, v42
	s_cbranch_execz .LBB276_493
; %bb.490:                              ;   in Loop: Header=BB276_289 Depth=1
	v_and_b32_e32 v2, 7, v8
	v_lshrrev_b32_e32 v41, 3, v42
	s_mov_b32 s18, exec_lo
	v_cmpx_gt_u32_e32 8, v42
; %bb.491:                              ;   in Loop: Header=BB276_289 Depth=1
	v_ffbh_u32_e32 v2, v2
	v_min_u32_e32 v2, 32, v2
	v_subrev_nc_u32_e32 v41, 28, v2
	v_lshlrev_b64 v[42:43], v41, v[8:9]
	v_sub_nc_u32_e32 v41, 29, v2
	v_and_b32_e32 v2, 7, v42
; %bb.492:                              ;   in Loop: Header=BB276_289 Depth=1
	s_or_b32 exec_lo, exec_lo, s18
	v_lshlrev_b32_e32 v42, 8, v8
	v_lshl_add_u32 v41, v41, 10, 0x2000
	v_lshlrev_b32_e32 v2, 7, v2
	v_and_b32_e32 v42, 0x8000, v42
	v_and_b32_e32 v41, 0xfc00, v41
	v_or3_b32 v41, v42, v41, v2
.LBB276_493:                            ;   in Loop: Header=BB276_289 Depth=1
	s_or_b32 exec_lo, exec_lo, s17
.LBB276_494:                            ;   in Loop: Header=BB276_289 Depth=1
	s_or_b32 exec_lo, exec_lo, s13
.LBB276_495:                            ;   in Loop: Header=BB276_289 Depth=1
	s_or_b32 exec_lo, exec_lo, s12
	v_lshrrev_b16 v2, 8, v8
	s_mov_b32 s12, exec_lo
	v_cmpx_ne_u16_e32 0, v2
	s_cbranch_execz .LBB276_503
; %bb.496:                              ;   in Loop: Header=BB276_289 Depth=1
	v_bfrev_b32_e32 v40, 1
	s_mov_b32 s13, exec_lo
	v_cmpx_ne_u16_e32 0x80, v2
	s_cbranch_execz .LBB276_502
; %bb.497:                              ;   in Loop: Header=BB276_289 Depth=1
	v_and_b32_sdwa v43, v2, v21 dst_sel:DWORD dst_unused:UNUSED_PAD src0_sel:WORD_0 src1_sel:DWORD
	v_mov_b32_e32 v40, 0x7c010000
	s_mov_b32 s17, exec_lo
	v_cmpx_ne_u32_e32 0x7f, v43
	s_cbranch_execz .LBB276_501
; %bb.498:                              ;   in Loop: Header=BB276_289 Depth=1
	v_and_b32_sdwa v40, v2, v22 dst_sel:DWORD dst_unused:UNUSED_PAD src0_sel:WORD_0 src1_sel:DWORD
	v_lshrrev_b32_e32 v42, 3, v43
	s_mov_b32 s18, exec_lo
	v_cmpx_gt_u32_e32 8, v43
; %bb.499:                              ;   in Loop: Header=BB276_289 Depth=1
	v_ffbh_u32_e32 v40, v40
	v_min_u32_e32 v40, 32, v40
	v_subrev_nc_u32_e32 v42, 28, v40
	v_lshlrev_b64 v[43:44], v42, v[2:3]
	v_sub_nc_u32_e32 v42, 29, v40
	v_and_b32_e32 v40, 7, v43
; %bb.500:                              ;   in Loop: Header=BB276_289 Depth=1
	s_or_b32 exec_lo, exec_lo, s18
	v_lshlrev_b32_sdwa v2, v23, v2 dst_sel:DWORD dst_unused:UNUSED_PAD src0_sel:DWORD src1_sel:WORD_0
	v_lshl_add_u32 v42, v42, 10, 0x2000
	v_lshlrev_b32_e32 v40, 23, v40
	v_and_or_b32 v2, 0x8000, v2, v42
	v_lshl_or_b32 v40, v2, 16, v40
.LBB276_501:                            ;   in Loop: Header=BB276_289 Depth=1
	s_or_b32 exec_lo, exec_lo, s17
.LBB276_502:                            ;   in Loop: Header=BB276_289 Depth=1
	s_or_b32 exec_lo, exec_lo, s13
.LBB276_503:                            ;   in Loop: Header=BB276_289 Depth=1
	s_or_b32 exec_lo, exec_lo, s12
	v_lshrrev_b32_e32 v2, 16, v8
	v_mov_b32_e32 v42, 0
	v_mov_b32_e32 v43, 0
	v_cmp_ne_u16_sdwa s1, v2, v3 src0_sel:BYTE_0 src1_sel:DWORD
	s_and_saveexec_b32 s12, s1
	s_cbranch_execz .LBB276_511
; %bb.504:                              ;   in Loop: Header=BB276_289 Depth=1
	v_cmp_ne_u16_sdwa s1, v2, v20 src0_sel:BYTE_0 src1_sel:DWORD
	v_mov_b32_e32 v43, 0x8000
	s_and_saveexec_b32 s13, s1
	s_cbranch_execz .LBB276_510
; %bb.505:                              ;   in Loop: Header=BB276_289 Depth=1
	v_bfe_u32 v45, v8, 16, 7
	v_mov_b32_e32 v43, 0x7c01
	s_mov_b32 s17, exec_lo
	v_cmpx_ne_u32_e32 0x7f, v45
	s_cbranch_execz .LBB276_509
; %bb.506:                              ;   in Loop: Header=BB276_289 Depth=1
	v_and_b32_e32 v43, 7, v2
	v_lshrrev_b32_e32 v44, 3, v45
	s_mov_b32 s18, exec_lo
	v_cmpx_gt_u32_e32 8, v45
; %bb.507:                              ;   in Loop: Header=BB276_289 Depth=1
	v_ffbh_u32_e32 v43, v43
	v_min_u32_e32 v45, 32, v43
	v_subrev_nc_u32_e32 v43, 28, v45
	v_lshlrev_b64 v[43:44], v43, v[2:3]
	v_sub_nc_u32_e32 v44, 29, v45
	v_and_b32_e32 v43, 7, v43
; %bb.508:                              ;   in Loop: Header=BB276_289 Depth=1
	s_or_b32 exec_lo, exec_lo, s18
	v_lshlrev_b32_e32 v2, 8, v2
	v_lshl_add_u32 v44, v44, 10, 0x2000
	v_lshlrev_b32_e32 v43, 7, v43
	v_and_b32_e32 v2, 0x8000, v2
	v_and_b32_e32 v44, 0xfc00, v44
	v_or3_b32 v43, v2, v44, v43
.LBB276_509:                            ;   in Loop: Header=BB276_289 Depth=1
	s_or_b32 exec_lo, exec_lo, s17
.LBB276_510:                            ;   in Loop: Header=BB276_289 Depth=1
	s_or_b32 exec_lo, exec_lo, s13
.LBB276_511:                            ;   in Loop: Header=BB276_289 Depth=1
	s_or_b32 exec_lo, exec_lo, s12
	s_mov_b32 s12, exec_lo
	v_cmpx_lt_u32_e32 0xffffff, v8
	s_cbranch_execz .LBB276_519
; %bb.512:                              ;   in Loop: Header=BB276_289 Depth=1
	v_lshrrev_b32_e32 v2, 24, v8
	v_bfrev_b32_e32 v42, 1
	s_mov_b32 s13, exec_lo
	v_cmpx_ne_u32_e32 0x80, v2
	s_cbranch_execz .LBB276_518
; %bb.513:                              ;   in Loop: Header=BB276_289 Depth=1
	v_and_b32_e32 v45, 0x7f, v2
	v_mov_b32_e32 v42, 0x7c010000
	s_mov_b32 s17, exec_lo
	v_cmpx_ne_u32_e32 0x7f, v45
	s_cbranch_execz .LBB276_517
; %bb.514:                              ;   in Loop: Header=BB276_289 Depth=1
	v_and_b32_e32 v42, 7, v2
	v_lshrrev_b32_e32 v44, 3, v45
	s_mov_b32 s18, exec_lo
	v_cmpx_gt_u32_e32 8, v45
; %bb.515:                              ;   in Loop: Header=BB276_289 Depth=1
	v_ffbh_u32_e32 v42, v42
	v_min_u32_e32 v42, 32, v42
	v_subrev_nc_u32_e32 v44, 28, v42
	v_lshlrev_b64 v[45:46], v44, v[2:3]
	v_sub_nc_u32_e32 v44, 29, v42
	v_and_b32_e32 v42, 7, v45
; %bb.516:                              ;   in Loop: Header=BB276_289 Depth=1
	s_or_b32 exec_lo, exec_lo, s18
	v_lshlrev_b32_e32 v2, 8, v2
	v_lshl_add_u32 v44, v44, 10, 0x2000
	v_lshlrev_b32_e32 v42, 23, v42
	v_and_or_b32 v2, 0x8000, v2, v44
	v_lshl_or_b32 v42, v2, 16, v42
.LBB276_517:                            ;   in Loop: Header=BB276_289 Depth=1
	s_or_b32 exec_lo, exec_lo, s17
.LBB276_518:                            ;   in Loop: Header=BB276_289 Depth=1
	s_or_b32 exec_lo, exec_lo, s13
.LBB276_519:                            ;   in Loop: Header=BB276_289 Depth=1
	s_or_b32 exec_lo, exec_lo, s12
	v_mov_b32_e32 v2, v9
	v_cmp_ne_u16_sdwa s1, v9, v3 src0_sel:BYTE_0 src1_sel:DWORD
	v_mov_b32_e32 v44, 0
	v_mov_b32_e32 v45, 0
	s_and_saveexec_b32 s12, s1
	s_cbranch_execz .LBB276_527
; %bb.520:                              ;   in Loop: Header=BB276_289 Depth=1
	v_cmp_ne_u16_sdwa s1, v9, v20 src0_sel:BYTE_0 src1_sel:DWORD
	v_mov_b32_e32 v45, 0x8000
	s_and_saveexec_b32 s13, s1
	s_cbranch_execz .LBB276_526
; %bb.521:                              ;   in Loop: Header=BB276_289 Depth=1
	v_and_b32_e32 v47, 0x7f, v9
	v_mov_b32_e32 v45, 0x7c01
	s_mov_b32 s17, exec_lo
	v_cmpx_ne_u32_e32 0x7f, v47
	s_cbranch_execz .LBB276_525
; %bb.522:                              ;   in Loop: Header=BB276_289 Depth=1
	v_and_b32_e32 v45, 7, v9
	v_lshrrev_b32_e32 v46, 3, v47
	s_mov_b32 s18, exec_lo
	v_cmpx_gt_u32_e32 8, v47
; %bb.523:                              ;   in Loop: Header=BB276_289 Depth=1
	v_ffbh_u32_e32 v45, v45
	v_min_u32_e32 v47, 32, v45
	v_subrev_nc_u32_e32 v45, 28, v47
	v_lshlrev_b64 v[45:46], v45, v[2:3]
	v_sub_nc_u32_e32 v46, 29, v47
	v_and_b32_e32 v45, 7, v45
; %bb.524:                              ;   in Loop: Header=BB276_289 Depth=1
	s_or_b32 exec_lo, exec_lo, s18
	v_lshlrev_b32_e32 v47, 8, v9
	v_lshl_add_u32 v46, v46, 10, 0x2000
	v_lshlrev_b32_e32 v45, 7, v45
	v_and_b32_e32 v47, 0x8000, v47
	v_and_b32_e32 v46, 0xfc00, v46
	v_or3_b32 v45, v47, v46, v45
.LBB276_525:                            ;   in Loop: Header=BB276_289 Depth=1
	s_or_b32 exec_lo, exec_lo, s17
.LBB276_526:                            ;   in Loop: Header=BB276_289 Depth=1
	s_or_b32 exec_lo, exec_lo, s13
.LBB276_527:                            ;   in Loop: Header=BB276_289 Depth=1
	s_or_b32 exec_lo, exec_lo, s12
	v_lshrrev_b16 v2, 8, v2
	v_mov_b32_e32 v46, 0
	s_mov_b32 s12, exec_lo
	v_cmpx_ne_u16_e32 0, v2
	s_cbranch_execz .LBB276_535
; %bb.528:                              ;   in Loop: Header=BB276_289 Depth=1
	v_bfrev_b32_e32 v46, 1
	s_mov_b32 s13, exec_lo
	v_cmpx_ne_u16_e32 0x80, v2
	s_cbranch_execz .LBB276_534
; %bb.529:                              ;   in Loop: Header=BB276_289 Depth=1
	v_and_b32_sdwa v48, v2, v21 dst_sel:DWORD dst_unused:UNUSED_PAD src0_sel:WORD_0 src1_sel:DWORD
	v_mov_b32_e32 v46, 0x7c010000
	s_mov_b32 s17, exec_lo
	v_cmpx_ne_u32_e32 0x7f, v48
	s_cbranch_execz .LBB276_533
; %bb.530:                              ;   in Loop: Header=BB276_289 Depth=1
	v_and_b32_sdwa v46, v2, v22 dst_sel:DWORD dst_unused:UNUSED_PAD src0_sel:WORD_0 src1_sel:DWORD
	v_lshrrev_b32_e32 v47, 3, v48
	s_mov_b32 s18, exec_lo
	v_cmpx_gt_u32_e32 8, v48
; %bb.531:                              ;   in Loop: Header=BB276_289 Depth=1
	v_ffbh_u32_e32 v46, v46
	v_min_u32_e32 v48, 32, v46
	v_subrev_nc_u32_e32 v46, 28, v48
	v_lshlrev_b64 v[46:47], v46, v[2:3]
	v_sub_nc_u32_e32 v47, 29, v48
	v_and_b32_e32 v46, 7, v46
; %bb.532:                              ;   in Loop: Header=BB276_289 Depth=1
	s_or_b32 exec_lo, exec_lo, s18
	v_lshlrev_b32_sdwa v2, v23, v2 dst_sel:DWORD dst_unused:UNUSED_PAD src0_sel:DWORD src1_sel:WORD_0
	v_lshl_add_u32 v47, v47, 10, 0x2000
	v_lshlrev_b32_e32 v46, 23, v46
	v_and_or_b32 v2, 0x8000, v2, v47
	v_lshl_or_b32 v46, v2, 16, v46
.LBB276_533:                            ;   in Loop: Header=BB276_289 Depth=1
	s_or_b32 exec_lo, exec_lo, s17
.LBB276_534:                            ;   in Loop: Header=BB276_289 Depth=1
	s_or_b32 exec_lo, exec_lo, s13
.LBB276_535:                            ;   in Loop: Header=BB276_289 Depth=1
	s_or_b32 exec_lo, exec_lo, s12
	v_lshrrev_b32_e32 v2, 16, v9
	v_cmp_ne_u16_sdwa s1, v2, v3 src0_sel:BYTE_0 src1_sel:DWORD
	s_and_saveexec_b32 s12, s1
	s_cbranch_execz .LBB276_543
; %bb.536:                              ;   in Loop: Header=BB276_289 Depth=1
	v_cmp_ne_u16_sdwa s1, v2, v20 src0_sel:BYTE_0 src1_sel:DWORD
	v_mov_b32_e32 v44, 0x8000
	s_and_saveexec_b32 s13, s1
	s_cbranch_execz .LBB276_542
; %bb.537:                              ;   in Loop: Header=BB276_289 Depth=1
	v_bfe_u32 v48, v9, 16, 7
	v_mov_b32_e32 v44, 0x7c01
	s_mov_b32 s17, exec_lo
	v_cmpx_ne_u32_e32 0x7f, v48
	s_cbranch_execz .LBB276_541
; %bb.538:                              ;   in Loop: Header=BB276_289 Depth=1
	v_and_b32_e32 v44, 7, v2
	v_lshrrev_b32_e32 v47, 3, v48
	s_mov_b32 s18, exec_lo
	v_cmpx_gt_u32_e32 8, v48
; %bb.539:                              ;   in Loop: Header=BB276_289 Depth=1
	v_ffbh_u32_e32 v44, v44
	v_min_u32_e32 v44, 32, v44
	v_subrev_nc_u32_e32 v47, 28, v44
	v_lshlrev_b64 v[48:49], v47, v[2:3]
	v_sub_nc_u32_e32 v47, 29, v44
	v_and_b32_e32 v44, 7, v48
; %bb.540:                              ;   in Loop: Header=BB276_289 Depth=1
	s_or_b32 exec_lo, exec_lo, s18
	v_lshlrev_b32_e32 v2, 8, v2
	v_lshl_add_u32 v47, v47, 10, 0x2000
	v_lshlrev_b32_e32 v44, 7, v44
	v_and_b32_e32 v2, 0x8000, v2
	v_and_b32_e32 v47, 0xfc00, v47
	v_or3_b32 v44, v2, v47, v44
.LBB276_541:                            ;   in Loop: Header=BB276_289 Depth=1
	s_or_b32 exec_lo, exec_lo, s17
.LBB276_542:                            ;   in Loop: Header=BB276_289 Depth=1
	s_or_b32 exec_lo, exec_lo, s13
.LBB276_543:                            ;   in Loop: Header=BB276_289 Depth=1
	s_or_b32 exec_lo, exec_lo, s12
	v_cmp_lt_u64_e64 s1, s[4:5], v[8:9]
	v_mov_b32_e32 v8, 0
	s_and_saveexec_b32 s12, s1
	s_cbranch_execz .LBB276_551
; %bb.544:                              ;   in Loop: Header=BB276_289 Depth=1
	v_lshrrev_b32_e32 v2, 24, v9
	v_bfrev_b32_e32 v8, 1
	s_mov_b32 s13, exec_lo
	v_cmpx_ne_u32_e32 0x80, v2
	s_cbranch_execz .LBB276_550
; %bb.545:                              ;   in Loop: Header=BB276_289 Depth=1
	v_and_b32_e32 v47, 0x7f, v2
	v_mov_b32_e32 v8, 0x7c010000
	s_mov_b32 s17, exec_lo
	v_cmpx_ne_u32_e32 0x7f, v47
	s_cbranch_execz .LBB276_549
; %bb.546:                              ;   in Loop: Header=BB276_289 Depth=1
	v_and_b32_e32 v8, 7, v2
	v_lshrrev_b32_e32 v9, 3, v47
	s_mov_b32 s18, exec_lo
	v_cmpx_gt_u32_e32 8, v47
; %bb.547:                              ;   in Loop: Header=BB276_289 Depth=1
	v_ffbh_u32_e32 v8, v8
	v_min_u32_e32 v47, 32, v8
	v_subrev_nc_u32_e32 v8, 28, v47
	v_lshlrev_b64 v[8:9], v8, v[2:3]
	v_sub_nc_u32_e32 v9, 29, v47
	v_and_b32_e32 v8, 7, v8
; %bb.548:                              ;   in Loop: Header=BB276_289 Depth=1
	s_or_b32 exec_lo, exec_lo, s18
	v_lshlrev_b32_e32 v2, 8, v2
	v_lshl_add_u32 v9, v9, 10, 0x2000
	v_lshlrev_b32_e32 v8, 23, v8
	v_and_or_b32 v2, 0x8000, v2, v9
	v_lshl_or_b32 v8, v2, 16, v8
.LBB276_549:                            ;   in Loop: Header=BB276_289 Depth=1
	s_or_b32 exec_lo, exec_lo, s17
.LBB276_550:                            ;   in Loop: Header=BB276_289 Depth=1
	s_or_b32 exec_lo, exec_lo, s13
.LBB276_551:                            ;   in Loop: Header=BB276_289 Depth=1
	s_or_b32 exec_lo, exec_lo, s12
	v_or_b32_e32 v2, v42, v43
	s_waitcnt vmcnt(0)
	v_fma_mixlo_f16 v9, v39, v42, 0 op_sel:[0,1,0] op_sel_hi:[0,1,0]
	v_or_b32_e32 v41, v40, v41
	v_fma_mixlo_f16 v40, v39, v40, 0 op_sel:[0,1,0] op_sel_hi:[0,1,0]
	v_or_b32_e32 v43, v46, v45
	v_or_b32_e32 v44, v8, v44
	v_fma_mixlo_f16 v42, v39, v2, 0 op_sel_hi:[0,1,0]
	v_lshlrev_b32_e32 v2, 16, v9
	v_lshlrev_b32_e32 v45, 16, v40
	v_fma_mixlo_f16 v9, v39, v41, 0 op_sel_hi:[0,1,0]
	v_fma_mixlo_f16 v40, v39, v46, 0 op_sel:[0,1,0] op_sel_hi:[0,1,0]
	v_fma_mixlo_f16 v41, v39, v43, 0 op_sel_hi:[0,1,0]
	v_fma_mixlo_f16 v8, v39, v8, 0 op_sel:[0,1,0] op_sel_hi:[0,1,0]
	v_fma_mixlo_f16 v39, v39, v44, 0 op_sel_hi:[0,1,0]
	v_and_b32_e32 v42, 0xffff, v42
	v_and_b32_e32 v47, 0xffff, v9
	v_lshlrev_b32_e32 v43, 16, v40
	v_and_b32_e32 v46, 0xffff, v41
	v_lshlrev_b32_e32 v9, 16, v8
	v_and_b32_e32 v44, 0xffff, v39
	v_or_b32_e32 v8, v2, v42
	v_or_b32_e32 v41, v45, v47
	;; [unrolled: 1-line block ×4, first 2 shown]
	s_and_saveexec_b32 s1, vcc_lo
	s_cbranch_execz .LBB276_288
; %bb.552:                              ;   in Loop: Header=BB276_289 Depth=1
	v_cmp_gt_i32_e32 vcc_lo, s27, v24
	v_cndmask_b32_e32 v8, 0, v47, vcc_lo
	v_cmp_gt_i32_e32 vcc_lo, s27, v30
	v_cndmask_b32_e32 v24, 0, v45, vcc_lo
	v_cmp_gt_i32_e32 vcc_lo, s27, v29
	v_or_b32_e32 v41, v24, v8
	v_cndmask_b32_e32 v29, 0, v42, vcc_lo
	v_cmp_gt_i32_e32 vcc_lo, s27, v28
	v_cndmask_b32_e32 v2, 0, v2, vcc_lo
	v_cmp_gt_i32_e32 vcc_lo, s27, v27
	v_or_b32_e32 v8, v2, v29
	;; [unrolled: 5-line block ×3, first 2 shown]
	v_cndmask_b32_e32 v25, 0, v44, vcc_lo
	v_cmp_gt_i32_e32 vcc_lo, s27, v18
	v_cndmask_b32_e32 v9, 0, v9, vcc_lo
	v_or_b32_e32 v39, v9, v25
	s_branch .LBB276_288
.LBB276_553:
	s_or_b32 exec_lo, exec_lo, s9
.LBB276_554:
	s_or_b32 exec_lo, exec_lo, s3
	v_lshl_add_u32 v2, v14, 2, 0x120
	v_and_b32_e32 v3, 0x3c0, v0
	s_mov_b32 s1, exec_lo
	s_waitcnt_vscnt null, 0x0
	s_barrier
	v_lshl_add_u32 v1, v12, 9, v2
	buffer_gl0_inv
	v_cmpx_eq_u32_e32 64, v3
	s_cbranch_execz .LBB276_556
; %bb.555:
	v_add_nc_u32_e32 v3, 0xfffffc00, v1
	v_add_nc_u32_e32 v4, 0xfffffc80, v1
	;; [unrolled: 1-line block ×4, first 2 shown]
	ds_write_b32 v3, v17
	ds_write_b32 v4, v16
	;; [unrolled: 1-line block ×4, first 2 shown]
.LBB276_556:
	s_or_b32 exec_lo, exec_lo, s1
	s_waitcnt lgkmcnt(0)
	s_barrier
	buffer_gl0_inv
	s_and_saveexec_b32 s1, s0
	s_cbranch_execz .LBB276_558
; %bb.557:
	ds_read2_b32 v[3:4], v1 offset1:32
	ds_read2_b32 v[5:6], v1 offset0:64 offset1:96
	s_waitcnt lgkmcnt(1)
	v_add_f32_e32 v17, v17, v3
	v_add_f32_e32 v16, v16, v4
	s_waitcnt lgkmcnt(0)
	v_add_f32_e32 v15, v15, v5
	v_add_f32_e32 v13, v13, v6
.LBB276_558:
	s_or_b32 exec_lo, exec_lo, s1
	v_and_b32_e32 v3, 0x3e0, v0
	s_mov_b32 s0, exec_lo
	s_barrier
	buffer_gl0_inv
	v_cmpx_eq_u32_e32 32, v3
	s_cbranch_execz .LBB276_560
; %bb.559:
	ds_write2_b32 v2, v17, v16 offset1:32
	ds_write2_b32 v2, v15, v13 offset0:64 offset1:96
.LBB276_560:
	s_or_b32 exec_lo, exec_lo, s0
	v_cmp_gt_u32_e32 vcc_lo, 32, v0
	s_waitcnt lgkmcnt(0)
	s_barrier
	buffer_gl0_inv
	s_and_saveexec_b32 s0, vcc_lo
	s_cbranch_execz .LBB276_562
; %bb.561:
	ds_read2_b32 v[2:3], v1 offset1:32
	ds_read2_b32 v[4:5], v1 offset0:64 offset1:96
	s_waitcnt lgkmcnt(1)
	v_add_f32_e32 v17, v17, v2
	v_add_f32_e32 v16, v16, v3
	s_waitcnt lgkmcnt(0)
	v_add_f32_e32 v15, v15, v4
	v_add_f32_e32 v13, v13, v5
.LBB276_562:
	s_or_b32 exec_lo, exec_lo, s0
	s_barrier
	buffer_gl0_inv
	s_and_saveexec_b32 s0, vcc_lo
	s_cbranch_execz .LBB276_564
; %bb.563:
	s_lshl_b32 s0, s2, 7
	s_mul_i32 s2, s7, s10
	s_ashr_i32 s1, s0, 31
	v_lshlrev_b32_e32 v0, 1, v0
	s_lshl_b64 s[0:1], s[0:1], 1
	;;#ASMSTART
	v_cvt_f16_f32 v1, v17;

	;;#ASMEND
	s_add_u32 s4, s24, s0
	s_addc_u32 s5, s25, s1
	s_ashr_i32 s3, s2, 31
	s_lshl_b64 s[0:1], s[2:3], 1
	s_add_u32 s2, s4, s0
	s_addc_u32 s3, s5, s1
	s_lshl_b32 s0, s8, 7
	s_ashr_i32 s1, s0, 31
	s_lshl_b64 s[0:1], s[0:1], 1
	s_add_u32 s0, s2, s0
	s_addc_u32 s1, s3, s1
	global_store_short v0, v1, s[0:1]
	;;#ASMSTART
	v_cvt_f16_f32 v1, v16;

	;;#ASMEND
	global_store_short v0, v1, s[0:1] offset:64
	;;#ASMSTART
	v_cvt_f16_f32 v1, v15;

	;;#ASMEND
	global_store_short v0, v1, s[0:1] offset:128
	;; [unrolled: 5-line block ×3, first 2 shown]
.LBB276_564:
	s_endpgm
	.section	.rodata,"a",@progbits
	.p2align	6, 0x0
	.amdhsa_kernel _ZN4vllm25paged_attention_v2_kernelIthLi128ELi8ELi128ELNS_18Fp8KVCacheDataTypeE1ELb0ELi512EEEvPfS2_PT_PKS3_PKT0_S9_ifPKiSB_iPKfiiiSD_SD_iiiii
		.amdhsa_group_segment_fixed_size 288
		.amdhsa_private_segment_fixed_size 0
		.amdhsa_kernarg_size 400
		.amdhsa_user_sgpr_count 6
		.amdhsa_user_sgpr_private_segment_buffer 1
		.amdhsa_user_sgpr_dispatch_ptr 0
		.amdhsa_user_sgpr_queue_ptr 0
		.amdhsa_user_sgpr_kernarg_segment_ptr 1
		.amdhsa_user_sgpr_dispatch_id 0
		.amdhsa_user_sgpr_flat_scratch_init 0
		.amdhsa_user_sgpr_private_segment_size 0
		.amdhsa_wavefront_size32 1
		.amdhsa_uses_dynamic_stack 0
		.amdhsa_system_sgpr_private_segment_wavefront_offset 0
		.amdhsa_system_sgpr_workgroup_id_x 1
		.amdhsa_system_sgpr_workgroup_id_y 1
		.amdhsa_system_sgpr_workgroup_id_z 1
		.amdhsa_system_sgpr_workgroup_info 0
		.amdhsa_system_vgpr_workitem_id 0
		.amdhsa_next_free_vgpr 82
		.amdhsa_next_free_sgpr 44
		.amdhsa_reserve_vcc 1
		.amdhsa_reserve_flat_scratch 0
		.amdhsa_float_round_mode_32 0
		.amdhsa_float_round_mode_16_64 0
		.amdhsa_float_denorm_mode_32 3
		.amdhsa_float_denorm_mode_16_64 3
		.amdhsa_dx10_clamp 1
		.amdhsa_ieee_mode 1
		.amdhsa_fp16_overflow 0
		.amdhsa_workgroup_processor_mode 1
		.amdhsa_memory_ordered 1
		.amdhsa_forward_progress 1
		.amdhsa_shared_vgpr_count 0
		.amdhsa_exception_fp_ieee_invalid_op 0
		.amdhsa_exception_fp_denorm_src 0
		.amdhsa_exception_fp_ieee_div_zero 0
		.amdhsa_exception_fp_ieee_overflow 0
		.amdhsa_exception_fp_ieee_underflow 0
		.amdhsa_exception_fp_ieee_inexact 0
		.amdhsa_exception_int_div_zero 0
	.end_amdhsa_kernel
	.section	.text._ZN4vllm25paged_attention_v2_kernelIthLi128ELi8ELi128ELNS_18Fp8KVCacheDataTypeE1ELb0ELi512EEEvPfS2_PT_PKS3_PKT0_S9_ifPKiSB_iPKfiiiSD_SD_iiiii,"axG",@progbits,_ZN4vllm25paged_attention_v2_kernelIthLi128ELi8ELi128ELNS_18Fp8KVCacheDataTypeE1ELb0ELi512EEEvPfS2_PT_PKS3_PKT0_S9_ifPKiSB_iPKfiiiSD_SD_iiiii,comdat
.Lfunc_end276:
	.size	_ZN4vllm25paged_attention_v2_kernelIthLi128ELi8ELi128ELNS_18Fp8KVCacheDataTypeE1ELb0ELi512EEEvPfS2_PT_PKS3_PKT0_S9_ifPKiSB_iPKfiiiSD_SD_iiiii, .Lfunc_end276-_ZN4vllm25paged_attention_v2_kernelIthLi128ELi8ELi128ELNS_18Fp8KVCacheDataTypeE1ELb0ELi512EEEvPfS2_PT_PKS3_PKT0_S9_ifPKiSB_iPKfiiiSD_SD_iiiii
                                        ; -- End function
	.set _ZN4vllm25paged_attention_v2_kernelIthLi128ELi8ELi128ELNS_18Fp8KVCacheDataTypeE1ELb0ELi512EEEvPfS2_PT_PKS3_PKT0_S9_ifPKiSB_iPKfiiiSD_SD_iiiii.num_vgpr, 82
	.set _ZN4vllm25paged_attention_v2_kernelIthLi128ELi8ELi128ELNS_18Fp8KVCacheDataTypeE1ELb0ELi512EEEvPfS2_PT_PKS3_PKT0_S9_ifPKiSB_iPKfiiiSD_SD_iiiii.num_agpr, 0
	.set _ZN4vllm25paged_attention_v2_kernelIthLi128ELi8ELi128ELNS_18Fp8KVCacheDataTypeE1ELb0ELi512EEEvPfS2_PT_PKS3_PKT0_S9_ifPKiSB_iPKfiiiSD_SD_iiiii.numbered_sgpr, 44
	.set _ZN4vllm25paged_attention_v2_kernelIthLi128ELi8ELi128ELNS_18Fp8KVCacheDataTypeE1ELb0ELi512EEEvPfS2_PT_PKS3_PKT0_S9_ifPKiSB_iPKfiiiSD_SD_iiiii.num_named_barrier, 0
	.set _ZN4vllm25paged_attention_v2_kernelIthLi128ELi8ELi128ELNS_18Fp8KVCacheDataTypeE1ELb0ELi512EEEvPfS2_PT_PKS3_PKT0_S9_ifPKiSB_iPKfiiiSD_SD_iiiii.private_seg_size, 0
	.set _ZN4vllm25paged_attention_v2_kernelIthLi128ELi8ELi128ELNS_18Fp8KVCacheDataTypeE1ELb0ELi512EEEvPfS2_PT_PKS3_PKT0_S9_ifPKiSB_iPKfiiiSD_SD_iiiii.uses_vcc, 1
	.set _ZN4vllm25paged_attention_v2_kernelIthLi128ELi8ELi128ELNS_18Fp8KVCacheDataTypeE1ELb0ELi512EEEvPfS2_PT_PKS3_PKT0_S9_ifPKiSB_iPKfiiiSD_SD_iiiii.uses_flat_scratch, 0
	.set _ZN4vllm25paged_attention_v2_kernelIthLi128ELi8ELi128ELNS_18Fp8KVCacheDataTypeE1ELb0ELi512EEEvPfS2_PT_PKS3_PKT0_S9_ifPKiSB_iPKfiiiSD_SD_iiiii.has_dyn_sized_stack, 0
	.set _ZN4vllm25paged_attention_v2_kernelIthLi128ELi8ELi128ELNS_18Fp8KVCacheDataTypeE1ELb0ELi512EEEvPfS2_PT_PKS3_PKT0_S9_ifPKiSB_iPKfiiiSD_SD_iiiii.has_recursion, 0
	.set _ZN4vllm25paged_attention_v2_kernelIthLi128ELi8ELi128ELNS_18Fp8KVCacheDataTypeE1ELb0ELi512EEEvPfS2_PT_PKS3_PKT0_S9_ifPKiSB_iPKfiiiSD_SD_iiiii.has_indirect_call, 0
	.section	.AMDGPU.csdata,"",@progbits
; Kernel info:
; codeLenInByte = 19508
; TotalNumSgprs: 46
; NumVgprs: 82
; ScratchSize: 0
; MemoryBound: 0
; FloatMode: 240
; IeeeMode: 1
; LDSByteSize: 288 bytes/workgroup (compile time only)
; SGPRBlocks: 0
; VGPRBlocks: 10
; NumSGPRsForWavesPerEU: 46
; NumVGPRsForWavesPerEU: 82
; Occupancy: 10
; WaveLimiterHint : 1
; COMPUTE_PGM_RSRC2:SCRATCH_EN: 0
; COMPUTE_PGM_RSRC2:USER_SGPR: 6
; COMPUTE_PGM_RSRC2:TRAP_HANDLER: 0
; COMPUTE_PGM_RSRC2:TGID_X_EN: 1
; COMPUTE_PGM_RSRC2:TGID_Y_EN: 1
; COMPUTE_PGM_RSRC2:TGID_Z_EN: 1
; COMPUTE_PGM_RSRC2:TIDIG_COMP_CNT: 0
	.section	.text._ZN4vllm25paged_attention_v2_kernelIthLi192ELi8ELi128ELNS_18Fp8KVCacheDataTypeE1ELb0ELi512EEEvPfS2_PT_PKS3_PKT0_S9_ifPKiSB_iPKfiiiSD_SD_iiiii,"axG",@progbits,_ZN4vllm25paged_attention_v2_kernelIthLi192ELi8ELi128ELNS_18Fp8KVCacheDataTypeE1ELb0ELi512EEEvPfS2_PT_PKS3_PKT0_S9_ifPKiSB_iPKfiiiSD_SD_iiiii,comdat
	.protected	_ZN4vllm25paged_attention_v2_kernelIthLi192ELi8ELi128ELNS_18Fp8KVCacheDataTypeE1ELb0ELi512EEEvPfS2_PT_PKS3_PKT0_S9_ifPKiSB_iPKfiiiSD_SD_iiiii ; -- Begin function _ZN4vllm25paged_attention_v2_kernelIthLi192ELi8ELi128ELNS_18Fp8KVCacheDataTypeE1ELb0ELi512EEEvPfS2_PT_PKS3_PKT0_S9_ifPKiSB_iPKfiiiSD_SD_iiiii
	.globl	_ZN4vllm25paged_attention_v2_kernelIthLi192ELi8ELi128ELNS_18Fp8KVCacheDataTypeE1ELb0ELi512EEEvPfS2_PT_PKS3_PKT0_S9_ifPKiSB_iPKfiiiSD_SD_iiiii
	.p2align	8
	.type	_ZN4vllm25paged_attention_v2_kernelIthLi192ELi8ELi128ELNS_18Fp8KVCacheDataTypeE1ELb0ELi512EEEvPfS2_PT_PKS3_PKT0_S9_ifPKiSB_iPKfiiiSD_SD_iiiii,@function
_ZN4vllm25paged_attention_v2_kernelIthLi192ELi8ELi128ELNS_18Fp8KVCacheDataTypeE1ELb0ELi512EEEvPfS2_PT_PKS3_PKT0_S9_ifPKiSB_iPKfiiiSD_SD_iiiii: ; @_ZN4vllm25paged_attention_v2_kernelIthLi192ELi8ELi128ELNS_18Fp8KVCacheDataTypeE1ELb0ELi512EEEvPfS2_PT_PKS3_PKT0_S9_ifPKiSB_iPKfiiiSD_SD_iiiii
; %bb.0:
	s_load_dwordx2 s[0:1], s[4:5], 0x40
	s_mov_b32 s26, s7
	s_ashr_i32 s27, s7, 31
	s_lshl_b64 s[2:3], s[26:27], 2
	s_waitcnt lgkmcnt(0)
	s_add_u32 s0, s0, s2
	s_addc_u32 s1, s1, s3
	s_lshl_b32 s33, s8, 9
	s_load_dword s27, s[0:1], 0x0
	s_waitcnt lgkmcnt(0)
	s_cmp_ge_i32 s33, s27
	s_cbranch_scc1 .LBB277_824
; %bb.1:
	s_clause 0x1
	s_load_dword s9, s[4:5], 0x90
	s_load_dwordx2 s[36:37], s[4:5], 0x30
	s_waitcnt lgkmcnt(0)
	s_abs_i32 s3, s9
	s_abs_i32 s0, s36
	v_cvt_f32_u32_e32 v1, s0
	s_sub_i32 s2, 0, s0
	v_rcp_iflag_f32_e32 v1, v1
	v_mul_f32_e32 v1, 0x4f7ffffe, v1
	v_cvt_u32_f32_e32 v1, v1
	v_readfirstlane_b32 s1, v1
	s_mul_i32 s2, s2, s1
	s_mul_hi_u32 s2, s1, s2
	s_add_i32 s1, s1, s2
	s_xor_b32 s2, s9, s36
	s_mul_hi_u32 s1, s3, s1
	s_ashr_i32 s2, s2, 31
	s_mul_i32 s7, s1, s0
	s_mov_b32 s36, 0
	s_sub_i32 s3, s3, s7
	s_add_i32 s7, s1, 1
	s_sub_i32 s10, s3, s0
	s_cmp_ge_u32 s3, s0
	s_cselect_b32 s1, s7, s1
	s_cselect_b32 s3, s10, s3
	s_add_i32 s7, s1, 1
	s_cmp_ge_u32 s3, s0
	s_cselect_b32 s0, s7, s1
	s_abs_i32 s12, s6
	s_xor_b32 s0, s0, s2
	s_sub_i32 s10, s0, s2
	s_load_dwordx2 s[0:1], s[4:5], 0x50
	s_abs_i32 s2, s10
	v_cvt_f32_u32_e32 v1, s2
	s_sub_i32 s7, 0, s2
	v_rcp_iflag_f32_e32 v1, v1
	v_mul_f32_e32 v1, 0x4f7ffffe, v1
	v_cvt_u32_f32_e32 v1, v1
	v_readfirstlane_b32 s3, v1
	s_mul_i32 s7, s7, s3
	s_mul_hi_u32 s7, s3, s7
	s_add_i32 s3, s3, s7
	s_waitcnt lgkmcnt(0)
	s_cmp_eq_u64 s[0:1], 0
	s_mul_hi_u32 s3, s12, s3
	s_cbranch_scc1 .LBB277_3
; %bb.2:
	s_ashr_i32 s7, s6, 31
	s_lshl_b64 s[14:15], s[6:7], 2
	s_add_u32 s0, s0, s14
	s_addc_u32 s1, s1, s15
	s_load_dword s36, s[0:1], 0x0
.LBB277_3:
	s_load_dwordx4 s[16:19], s[4:5], 0x58
	v_and_b32_e32 v3, 3, v0
	s_ashr_i32 s0, s6, 31
	s_ashr_i32 s1, s10, 31
	s_mul_i32 s10, s6, 0xc0
	s_mov_b32 s7, exec_lo
	v_cmpx_gt_u32_e32 0x60, v0
	s_cbranch_execz .LBB277_5
; %bb.4:
	s_load_dwordx2 s[14:15], s[4:5], 0x18
	s_waitcnt lgkmcnt(0)
	s_mul_i32 s20, s16, s26
	v_lshlrev_b32_e32 v1, 2, v0
	s_ashr_i32 s21, s20, 31
	v_and_b32_e32 v2, 0x3fc, v0
	s_lshl_b64 s[20:21], s[20:21], 1
	v_mad_u32_u24 v2, 0x60, v3, v2
	s_add_u32 s13, s14, s20
	s_addc_u32 s16, s15, s21
	s_ashr_i32 s11, s10, 31
	s_lshl_b64 s[14:15], s[10:11], 1
	s_add_u32 s14, s13, s14
	s_addc_u32 s15, s16, s15
	global_load_dword v1, v1, s[14:15]
	s_waitcnt vmcnt(0)
	ds_write_b32 v2, v1
.LBB277_5:
	s_or_b32 exec_lo, exec_lo, s7
	s_add_i32 s7, s27, 7
	s_clause 0x1
	s_load_dwordx2 s[28:29], s[4:5], 0x38
	s_load_dword s13, s[4:5], 0x48
	s_ashr_i32 s11, s7, 31
	s_waitcnt lgkmcnt(0)
	s_lshl_b32 s19, s8, 6
	s_lshr_b32 s11, s11, 29
	s_xor_b32 s0, s0, s1
	s_add_i32 s7, s7, s11
	s_add_i32 s1, s19, 64
	s_ashr_i32 s16, s7, 3
	s_mul_i32 s7, s3, s2
	s_min_i32 s11, s1, s16
	s_sub_i32 s1, s12, s7
	s_add_i32 s7, s3, 1
	s_sub_i32 s12, s1, s2
	s_cmp_ge_u32 s1, s2
	v_lshrrev_b32_e32 v12, 5, v0
	s_cselect_b32 s3, s7, s3
	s_cselect_b32 s1, s12, s1
	s_add_i32 s7, s3, 1
	s_cmp_ge_u32 s1, s2
	v_or_b32_e32 v1, s19, v12
	s_cselect_b32 s1, s7, s3
	v_mbcnt_lo_u32_b32 v13, -1, 0
	s_xor_b32 s1, s1, s0
	s_mul_i32 s30, s13, s26
	s_sub_i32 s1, s1, s0
	v_cmp_gt_i32_e64 s0, s11, v1
	s_ashr_i32 s31, s30, 31
	s_mov_b32 s2, exec_lo
	s_barrier
	buffer_gl0_inv
                                        ; implicit-def: $vgpr4
                                        ; implicit-def: $vgpr14
	v_cmpx_le_i32_e64 s11, v1
	s_xor_b32 s2, exec_lo, s2
; %bb.6:
	v_mov_b32_e32 v4, 0
	v_mbcnt_lo_u32_b32 v13, -1, 0
	v_mov_b32_e32 v14, 32
                                        ; implicit-def: $vgpr3
; %bb.7:
	s_or_saveexec_b32 s38, s2
	s_clause 0x4
	s_load_dwordx4 s[20:23], s[4:5], 0x0
	s_load_dwordx2 s[24:25], s[4:5], 0x10
	s_load_dword s7, s[4:5], 0x98
	s_load_dwordx2 s[34:35], s[4:5], 0x28
	s_load_dwordx4 s[12:15], s[4:5], 0x68
	v_mov_b32_e32 v15, 0xff7fffff
	v_ashrrev_i32_e32 v2, 31, v1
	v_lshlrev_b32_e32 v11, 3, v12
	s_mul_i32 s18, s1, s18
	s_xor_b32 exec_lo, exec_lo, s38
	s_cbranch_execz .LBB277_397
; %bb.8:
	s_load_dwordx2 s[2:3], s[4:5], 0x20
	v_bfe_u32 v5, v0, 2, 3
	v_lshlrev_b32_e32 v9, 1, v3
	v_mul_u32_u24_e32 v16, 0x60, v3
	v_cmp_eq_u32_e32 vcc_lo, 0, v3
	s_ashr_i32 s4, s18, 31
	v_lshlrev_b32_e32 v6, 2, v5
	v_lshlrev_b64 v[7:8], 2, v[1:2]
	v_add3_u32 v17, s33, v11, v5
	v_mov_b32_e32 v4, 0
	v_cmp_neq_f32_e64 s1, s36, 0
	v_lshl_or_b32 v3, v12, 5, v6
	v_lshlrev_b32_e32 v6, 4, v5
	v_mov_b32_e32 v15, 0xff7fffff
	v_mov_b32_e32 v14, 32
	;; [unrolled: 1-line block ×3, first 2 shown]
	v_add_nc_u32_e32 v18, 0x1a0, v3
	v_mov_b32_e32 v20, 0x7f
	v_mov_b32_e32 v21, 7
	;; [unrolled: 1-line block ×3, first 2 shown]
	s_waitcnt lgkmcnt(0)
	s_add_u32 s5, s2, s18
	s_addc_u32 s39, s3, s4
	v_add_co_u32 v3, s5, s5, v6
	v_add_co_ci_u32_e64 v6, null, s39, 0, s5
	s_lshl_b64 s[2:3], s[30:31], 2
	s_sub_i32 s4, 1, s27
	s_add_u32 s5, s28, s2
	v_add_co_u32 v5, s2, v3, v9
	s_addc_u32 s3, s29, s3
	v_add_co_ci_u32_e64 v6, null, 0, v6, s2
	v_add_co_u32 v7, s2, s5, v7
	v_add_co_ci_u32_e64 v8, null, s3, v8, s2
	v_mov_b32_e32 v23, v1
	s_mov_b32 s39, s17
	s_mov_b32 s5, 0
	s_branch .LBB277_10
.LBB277_9:                              ;   in Loop: Header=BB277_10 Depth=1
	s_or_b32 exec_lo, exec_lo, s3
	v_add_nc_u32_e32 v23, 4, v23
	v_add_co_u32 v7, s3, v7, 16
	v_add_nc_u32_e32 v17, 32, v17
	v_add_nc_u32_e32 v18, 0x80, v18
	v_cmp_le_i32_e64 s2, s11, v23
	v_add_co_ci_u32_e64 v8, null, 0, v8, s3
	s_or_b32 s5, s2, s5
	s_andn2_b32 exec_lo, exec_lo, s5
	s_cbranch_execz .LBB277_396
.LBB277_10:                             ; =>This Inner Loop Header: Depth=1
	global_load_dword v3, v[7:8], off
	s_waitcnt vmcnt(0) lgkmcnt(0)
	v_mad_i64_i32 v[9:10], null, v3, s39, v[5:6]
	global_load_ushort v25, v[9:10], off
	global_load_dword v24, v4, s[12:13]
	s_waitcnt vmcnt(1)
	v_and_b32_e32 v3, 0xffff, v25
	v_cmp_ne_u16_sdwa s2, v25, v4 src0_sel:BYTE_0 src1_sel:DWORD
	v_mov_b32_e32 v25, 0
	s_and_saveexec_b32 s3, s2
	s_cbranch_execz .LBB277_18
; %bb.11:                               ;   in Loop: Header=BB277_10 Depth=1
	v_cmp_ne_u16_sdwa s2, v3, v19 src0_sel:BYTE_0 src1_sel:DWORD
	v_mov_b32_e32 v25, 0x8000
	s_and_saveexec_b32 s40, s2
	s_cbranch_execz .LBB277_17
; %bb.12:                               ;   in Loop: Header=BB277_10 Depth=1
	v_and_b32_e32 v27, 0x7f, v3
	v_mov_b32_e32 v25, 0x7c01
	s_mov_b32 s41, exec_lo
	v_cmpx_ne_u32_e32 0x7f, v27
	s_cbranch_execz .LBB277_16
; %bb.13:                               ;   in Loop: Header=BB277_10 Depth=1
	v_and_b32_e32 v25, 7, v3
	v_lshrrev_b32_e32 v26, 3, v27
	s_mov_b32 s42, exec_lo
	v_cmpx_gt_u32_e32 8, v27
; %bb.14:                               ;   in Loop: Header=BB277_10 Depth=1
	v_ffbh_u32_e32 v25, v25
	v_min_u32_e32 v27, 32, v25
	v_subrev_nc_u32_e32 v25, 28, v27
	v_lshlrev_b64 v[25:26], v25, v[3:4]
	v_sub_nc_u32_e32 v26, 29, v27
	v_and_b32_e32 v25, 7, v25
; %bb.15:                               ;   in Loop: Header=BB277_10 Depth=1
	s_or_b32 exec_lo, exec_lo, s42
	v_lshlrev_b32_e32 v27, 8, v3
	v_lshl_add_u32 v26, v26, 10, 0x2000
	v_lshlrev_b32_e32 v25, 7, v25
	v_and_b32_e32 v27, 0x8000, v27
	v_and_b32_e32 v26, 0xfc00, v26
	v_or3_b32 v25, v27, v26, v25
.LBB277_16:                             ;   in Loop: Header=BB277_10 Depth=1
	s_or_b32 exec_lo, exec_lo, s41
.LBB277_17:                             ;   in Loop: Header=BB277_10 Depth=1
	s_or_b32 exec_lo, exec_lo, s40
.LBB277_18:                             ;   in Loop: Header=BB277_10 Depth=1
	s_or_b32 exec_lo, exec_lo, s3
	v_lshrrev_b16 v3, 8, v3
	v_mov_b32_e32 v26, 0
	s_mov_b32 s3, exec_lo
	v_cmpx_ne_u16_e32 0, v3
	s_cbranch_execz .LBB277_26
; %bb.19:                               ;   in Loop: Header=BB277_10 Depth=1
	v_bfrev_b32_e32 v26, 1
	s_mov_b32 s40, exec_lo
	v_cmpx_ne_u16_e32 0x80, v3
	s_cbranch_execz .LBB277_25
; %bb.20:                               ;   in Loop: Header=BB277_10 Depth=1
	v_and_b32_sdwa v28, v3, v20 dst_sel:DWORD dst_unused:UNUSED_PAD src0_sel:WORD_0 src1_sel:DWORD
	v_mov_b32_e32 v26, 0x7c010000
	s_mov_b32 s41, exec_lo
	v_cmpx_ne_u32_e32 0x7f, v28
	s_cbranch_execz .LBB277_24
; %bb.21:                               ;   in Loop: Header=BB277_10 Depth=1
	v_and_b32_sdwa v26, v3, v21 dst_sel:DWORD dst_unused:UNUSED_PAD src0_sel:WORD_0 src1_sel:DWORD
	v_lshrrev_b32_e32 v27, 3, v28
	s_mov_b32 s42, exec_lo
	v_cmpx_gt_u32_e32 8, v28
; %bb.22:                               ;   in Loop: Header=BB277_10 Depth=1
	v_ffbh_u32_e32 v26, v26
	v_min_u32_e32 v28, 32, v26
	v_subrev_nc_u32_e32 v26, 28, v28
	v_lshlrev_b64 v[26:27], v26, v[3:4]
	v_sub_nc_u32_e32 v27, 29, v28
	v_and_b32_e32 v26, 7, v26
; %bb.23:                               ;   in Loop: Header=BB277_10 Depth=1
	s_or_b32 exec_lo, exec_lo, s42
	v_lshlrev_b32_sdwa v3, v22, v3 dst_sel:DWORD dst_unused:UNUSED_PAD src0_sel:DWORD src1_sel:WORD_0
	v_lshl_add_u32 v27, v27, 10, 0x2000
	v_lshlrev_b32_e32 v26, 23, v26
	v_and_or_b32 v3, 0x8000, v3, v27
	v_lshl_or_b32 v26, v3, 16, v26
.LBB277_24:                             ;   in Loop: Header=BB277_10 Depth=1
	s_or_b32 exec_lo, exec_lo, s41
.LBB277_25:                             ;   in Loop: Header=BB277_10 Depth=1
	s_or_b32 exec_lo, exec_lo, s40
.LBB277_26:                             ;   in Loop: Header=BB277_10 Depth=1
	s_or_b32 exec_lo, exec_lo, s3
	global_load_ushort v28, v[9:10], off offset:8
	v_mov_b32_e32 v27, 0
	s_waitcnt vmcnt(0)
	v_and_b32_e32 v3, 0xffff, v28
	v_cmp_ne_u16_sdwa s2, v28, v4 src0_sel:BYTE_0 src1_sel:DWORD
	v_mov_b32_e32 v28, 0
	s_and_saveexec_b32 s3, s2
	s_cbranch_execz .LBB277_34
; %bb.27:                               ;   in Loop: Header=BB277_10 Depth=1
	v_cmp_ne_u16_sdwa s2, v3, v19 src0_sel:BYTE_0 src1_sel:DWORD
	v_mov_b32_e32 v28, 0x8000
	s_and_saveexec_b32 s40, s2
	s_cbranch_execz .LBB277_33
; %bb.28:                               ;   in Loop: Header=BB277_10 Depth=1
	v_and_b32_e32 v30, 0x7f, v3
	v_mov_b32_e32 v28, 0x7c01
	s_mov_b32 s41, exec_lo
	v_cmpx_ne_u32_e32 0x7f, v30
	s_cbranch_execz .LBB277_32
; %bb.29:                               ;   in Loop: Header=BB277_10 Depth=1
	v_and_b32_e32 v28, 7, v3
	v_lshrrev_b32_e32 v29, 3, v30
	s_mov_b32 s42, exec_lo
	v_cmpx_gt_u32_e32 8, v30
; %bb.30:                               ;   in Loop: Header=BB277_10 Depth=1
	v_ffbh_u32_e32 v28, v28
	v_min_u32_e32 v30, 32, v28
	v_subrev_nc_u32_e32 v28, 28, v30
	v_lshlrev_b64 v[28:29], v28, v[3:4]
	v_sub_nc_u32_e32 v29, 29, v30
	v_and_b32_e32 v28, 7, v28
; %bb.31:                               ;   in Loop: Header=BB277_10 Depth=1
	s_or_b32 exec_lo, exec_lo, s42
	v_lshlrev_b32_e32 v30, 8, v3
	v_lshl_add_u32 v29, v29, 10, 0x2000
	v_lshlrev_b32_e32 v28, 7, v28
	v_and_b32_e32 v30, 0x8000, v30
	v_and_b32_e32 v29, 0xfc00, v29
	v_or3_b32 v28, v30, v29, v28
.LBB277_32:                             ;   in Loop: Header=BB277_10 Depth=1
	s_or_b32 exec_lo, exec_lo, s41
.LBB277_33:                             ;   in Loop: Header=BB277_10 Depth=1
	s_or_b32 exec_lo, exec_lo, s40
.LBB277_34:                             ;   in Loop: Header=BB277_10 Depth=1
	s_or_b32 exec_lo, exec_lo, s3
	v_lshrrev_b16 v3, 8, v3
	s_mov_b32 s3, exec_lo
	v_cmpx_ne_u16_e32 0, v3
	s_cbranch_execz .LBB277_42
; %bb.35:                               ;   in Loop: Header=BB277_10 Depth=1
	v_bfrev_b32_e32 v27, 1
	s_mov_b32 s40, exec_lo
	v_cmpx_ne_u16_e32 0x80, v3
	s_cbranch_execz .LBB277_41
; %bb.36:                               ;   in Loop: Header=BB277_10 Depth=1
	v_and_b32_sdwa v30, v3, v20 dst_sel:DWORD dst_unused:UNUSED_PAD src0_sel:WORD_0 src1_sel:DWORD
	v_mov_b32_e32 v27, 0x7c010000
	s_mov_b32 s41, exec_lo
	v_cmpx_ne_u32_e32 0x7f, v30
	s_cbranch_execz .LBB277_40
; %bb.37:                               ;   in Loop: Header=BB277_10 Depth=1
	v_and_b32_sdwa v27, v3, v21 dst_sel:DWORD dst_unused:UNUSED_PAD src0_sel:WORD_0 src1_sel:DWORD
	v_lshrrev_b32_e32 v29, 3, v30
	s_mov_b32 s42, exec_lo
	v_cmpx_gt_u32_e32 8, v30
; %bb.38:                               ;   in Loop: Header=BB277_10 Depth=1
	v_ffbh_u32_e32 v27, v27
	v_min_u32_e32 v27, 32, v27
	v_subrev_nc_u32_e32 v29, 28, v27
	v_lshlrev_b64 v[30:31], v29, v[3:4]
	v_sub_nc_u32_e32 v29, 29, v27
	v_and_b32_e32 v27, 7, v30
; %bb.39:                               ;   in Loop: Header=BB277_10 Depth=1
	s_or_b32 exec_lo, exec_lo, s42
	v_lshlrev_b32_sdwa v3, v22, v3 dst_sel:DWORD dst_unused:UNUSED_PAD src0_sel:DWORD src1_sel:WORD_0
	v_lshl_add_u32 v29, v29, 10, 0x2000
	v_lshlrev_b32_e32 v27, 23, v27
	v_and_or_b32 v3, 0x8000, v3, v29
	v_lshl_or_b32 v27, v3, 16, v27
.LBB277_40:                             ;   in Loop: Header=BB277_10 Depth=1
	s_or_b32 exec_lo, exec_lo, s41
.LBB277_41:                             ;   in Loop: Header=BB277_10 Depth=1
	s_or_b32 exec_lo, exec_lo, s40
.LBB277_42:                             ;   in Loop: Header=BB277_10 Depth=1
	s_or_b32 exec_lo, exec_lo, s3
	global_load_ushort v30, v[9:10], off offset:128
	v_mov_b32_e32 v29, 0
	s_waitcnt vmcnt(0)
	v_and_b32_e32 v3, 0xffff, v30
	v_cmp_ne_u16_sdwa s2, v30, v4 src0_sel:BYTE_0 src1_sel:DWORD
	v_mov_b32_e32 v30, 0
	s_and_saveexec_b32 s3, s2
	s_cbranch_execz .LBB277_50
; %bb.43:                               ;   in Loop: Header=BB277_10 Depth=1
	v_cmp_ne_u16_sdwa s2, v3, v19 src0_sel:BYTE_0 src1_sel:DWORD
	v_mov_b32_e32 v30, 0x8000
	s_and_saveexec_b32 s40, s2
	s_cbranch_execz .LBB277_49
; %bb.44:                               ;   in Loop: Header=BB277_10 Depth=1
	v_and_b32_e32 v32, 0x7f, v3
	v_mov_b32_e32 v30, 0x7c01
	s_mov_b32 s41, exec_lo
	v_cmpx_ne_u32_e32 0x7f, v32
	s_cbranch_execz .LBB277_48
; %bb.45:                               ;   in Loop: Header=BB277_10 Depth=1
	v_and_b32_e32 v30, 7, v3
	v_lshrrev_b32_e32 v31, 3, v32
	s_mov_b32 s42, exec_lo
	v_cmpx_gt_u32_e32 8, v32
; %bb.46:                               ;   in Loop: Header=BB277_10 Depth=1
	v_ffbh_u32_e32 v30, v30
	v_min_u32_e32 v32, 32, v30
	v_subrev_nc_u32_e32 v30, 28, v32
	v_lshlrev_b64 v[30:31], v30, v[3:4]
	v_sub_nc_u32_e32 v31, 29, v32
	v_and_b32_e32 v30, 7, v30
; %bb.47:                               ;   in Loop: Header=BB277_10 Depth=1
	s_or_b32 exec_lo, exec_lo, s42
	v_lshlrev_b32_e32 v32, 8, v3
	v_lshl_add_u32 v31, v31, 10, 0x2000
	v_lshlrev_b32_e32 v30, 7, v30
	v_and_b32_e32 v32, 0x8000, v32
	v_and_b32_e32 v31, 0xfc00, v31
	v_or3_b32 v30, v32, v31, v30
.LBB277_48:                             ;   in Loop: Header=BB277_10 Depth=1
	s_or_b32 exec_lo, exec_lo, s41
.LBB277_49:                             ;   in Loop: Header=BB277_10 Depth=1
	s_or_b32 exec_lo, exec_lo, s40
.LBB277_50:                             ;   in Loop: Header=BB277_10 Depth=1
	s_or_b32 exec_lo, exec_lo, s3
	v_lshrrev_b16 v3, 8, v3
	s_mov_b32 s3, exec_lo
	v_cmpx_ne_u16_e32 0, v3
	s_cbranch_execz .LBB277_58
; %bb.51:                               ;   in Loop: Header=BB277_10 Depth=1
	v_bfrev_b32_e32 v29, 1
	s_mov_b32 s40, exec_lo
	v_cmpx_ne_u16_e32 0x80, v3
	s_cbranch_execz .LBB277_57
; %bb.52:                               ;   in Loop: Header=BB277_10 Depth=1
	v_and_b32_sdwa v32, v3, v20 dst_sel:DWORD dst_unused:UNUSED_PAD src0_sel:WORD_0 src1_sel:DWORD
	v_mov_b32_e32 v29, 0x7c010000
	s_mov_b32 s41, exec_lo
	v_cmpx_ne_u32_e32 0x7f, v32
	s_cbranch_execz .LBB277_56
; %bb.53:                               ;   in Loop: Header=BB277_10 Depth=1
	v_and_b32_sdwa v29, v3, v21 dst_sel:DWORD dst_unused:UNUSED_PAD src0_sel:WORD_0 src1_sel:DWORD
	v_lshrrev_b32_e32 v31, 3, v32
	s_mov_b32 s42, exec_lo
	v_cmpx_gt_u32_e32 8, v32
; %bb.54:                               ;   in Loop: Header=BB277_10 Depth=1
	v_ffbh_u32_e32 v29, v29
	v_min_u32_e32 v29, 32, v29
	v_subrev_nc_u32_e32 v31, 28, v29
	v_lshlrev_b64 v[32:33], v31, v[3:4]
	v_sub_nc_u32_e32 v31, 29, v29
	v_and_b32_e32 v29, 7, v32
; %bb.55:                               ;   in Loop: Header=BB277_10 Depth=1
	s_or_b32 exec_lo, exec_lo, s42
	v_lshlrev_b32_sdwa v3, v22, v3 dst_sel:DWORD dst_unused:UNUSED_PAD src0_sel:DWORD src1_sel:WORD_0
	v_lshl_add_u32 v31, v31, 10, 0x2000
	v_lshlrev_b32_e32 v29, 23, v29
	v_and_or_b32 v3, 0x8000, v3, v31
	v_lshl_or_b32 v29, v3, 16, v29
.LBB277_56:                             ;   in Loop: Header=BB277_10 Depth=1
	s_or_b32 exec_lo, exec_lo, s41
.LBB277_57:                             ;   in Loop: Header=BB277_10 Depth=1
	s_or_b32 exec_lo, exec_lo, s40
.LBB277_58:                             ;   in Loop: Header=BB277_10 Depth=1
	s_or_b32 exec_lo, exec_lo, s3
	global_load_ushort v32, v[9:10], off offset:136
	v_mov_b32_e32 v31, 0
	s_waitcnt vmcnt(0)
	v_and_b32_e32 v3, 0xffff, v32
	v_cmp_ne_u16_sdwa s2, v32, v4 src0_sel:BYTE_0 src1_sel:DWORD
	v_mov_b32_e32 v32, 0
	s_and_saveexec_b32 s3, s2
	s_cbranch_execz .LBB277_66
; %bb.59:                               ;   in Loop: Header=BB277_10 Depth=1
	v_cmp_ne_u16_sdwa s2, v3, v19 src0_sel:BYTE_0 src1_sel:DWORD
	v_mov_b32_e32 v32, 0x8000
	s_and_saveexec_b32 s40, s2
	s_cbranch_execz .LBB277_65
; %bb.60:                               ;   in Loop: Header=BB277_10 Depth=1
	v_and_b32_e32 v34, 0x7f, v3
	v_mov_b32_e32 v32, 0x7c01
	s_mov_b32 s41, exec_lo
	v_cmpx_ne_u32_e32 0x7f, v34
	s_cbranch_execz .LBB277_64
; %bb.61:                               ;   in Loop: Header=BB277_10 Depth=1
	v_and_b32_e32 v32, 7, v3
	v_lshrrev_b32_e32 v33, 3, v34
	s_mov_b32 s42, exec_lo
	v_cmpx_gt_u32_e32 8, v34
; %bb.62:                               ;   in Loop: Header=BB277_10 Depth=1
	v_ffbh_u32_e32 v32, v32
	v_min_u32_e32 v34, 32, v32
	v_subrev_nc_u32_e32 v32, 28, v34
	v_lshlrev_b64 v[32:33], v32, v[3:4]
	v_sub_nc_u32_e32 v33, 29, v34
	v_and_b32_e32 v32, 7, v32
; %bb.63:                               ;   in Loop: Header=BB277_10 Depth=1
	s_or_b32 exec_lo, exec_lo, s42
	v_lshlrev_b32_e32 v34, 8, v3
	v_lshl_add_u32 v33, v33, 10, 0x2000
	v_lshlrev_b32_e32 v32, 7, v32
	v_and_b32_e32 v34, 0x8000, v34
	v_and_b32_e32 v33, 0xfc00, v33
	v_or3_b32 v32, v34, v33, v32
.LBB277_64:                             ;   in Loop: Header=BB277_10 Depth=1
	s_or_b32 exec_lo, exec_lo, s41
.LBB277_65:                             ;   in Loop: Header=BB277_10 Depth=1
	s_or_b32 exec_lo, exec_lo, s40
.LBB277_66:                             ;   in Loop: Header=BB277_10 Depth=1
	s_or_b32 exec_lo, exec_lo, s3
	v_lshrrev_b16 v3, 8, v3
	s_mov_b32 s3, exec_lo
	v_cmpx_ne_u16_e32 0, v3
	s_cbranch_execz .LBB277_74
; %bb.67:                               ;   in Loop: Header=BB277_10 Depth=1
	v_bfrev_b32_e32 v31, 1
	s_mov_b32 s40, exec_lo
	v_cmpx_ne_u16_e32 0x80, v3
	s_cbranch_execz .LBB277_73
; %bb.68:                               ;   in Loop: Header=BB277_10 Depth=1
	v_and_b32_sdwa v34, v3, v20 dst_sel:DWORD dst_unused:UNUSED_PAD src0_sel:WORD_0 src1_sel:DWORD
	v_mov_b32_e32 v31, 0x7c010000
	s_mov_b32 s41, exec_lo
	v_cmpx_ne_u32_e32 0x7f, v34
	s_cbranch_execz .LBB277_72
; %bb.69:                               ;   in Loop: Header=BB277_10 Depth=1
	v_and_b32_sdwa v31, v3, v21 dst_sel:DWORD dst_unused:UNUSED_PAD src0_sel:WORD_0 src1_sel:DWORD
	v_lshrrev_b32_e32 v33, 3, v34
	s_mov_b32 s42, exec_lo
	v_cmpx_gt_u32_e32 8, v34
; %bb.70:                               ;   in Loop: Header=BB277_10 Depth=1
	v_ffbh_u32_e32 v31, v31
	v_min_u32_e32 v31, 32, v31
	v_subrev_nc_u32_e32 v33, 28, v31
	v_lshlrev_b64 v[34:35], v33, v[3:4]
	v_sub_nc_u32_e32 v33, 29, v31
	v_and_b32_e32 v31, 7, v34
; %bb.71:                               ;   in Loop: Header=BB277_10 Depth=1
	s_or_b32 exec_lo, exec_lo, s42
	v_lshlrev_b32_sdwa v3, v22, v3 dst_sel:DWORD dst_unused:UNUSED_PAD src0_sel:DWORD src1_sel:WORD_0
	v_lshl_add_u32 v33, v33, 10, 0x2000
	v_lshlrev_b32_e32 v31, 23, v31
	v_and_or_b32 v3, 0x8000, v3, v33
	v_lshl_or_b32 v31, v3, 16, v31
.LBB277_72:                             ;   in Loop: Header=BB277_10 Depth=1
	s_or_b32 exec_lo, exec_lo, s41
.LBB277_73:                             ;   in Loop: Header=BB277_10 Depth=1
	s_or_b32 exec_lo, exec_lo, s40
.LBB277_74:                             ;   in Loop: Header=BB277_10 Depth=1
	s_or_b32 exec_lo, exec_lo, s3
	global_load_ushort v34, v[9:10], off offset:256
	v_mov_b32_e32 v33, 0
	s_waitcnt vmcnt(0)
	v_and_b32_e32 v3, 0xffff, v34
	v_cmp_ne_u16_sdwa s2, v34, v4 src0_sel:BYTE_0 src1_sel:DWORD
	v_mov_b32_e32 v34, 0
	s_and_saveexec_b32 s3, s2
	s_cbranch_execz .LBB277_82
; %bb.75:                               ;   in Loop: Header=BB277_10 Depth=1
	v_cmp_ne_u16_sdwa s2, v3, v19 src0_sel:BYTE_0 src1_sel:DWORD
	v_mov_b32_e32 v34, 0x8000
	s_and_saveexec_b32 s40, s2
	s_cbranch_execz .LBB277_81
; %bb.76:                               ;   in Loop: Header=BB277_10 Depth=1
	v_and_b32_e32 v36, 0x7f, v3
	v_mov_b32_e32 v34, 0x7c01
	s_mov_b32 s41, exec_lo
	v_cmpx_ne_u32_e32 0x7f, v36
	s_cbranch_execz .LBB277_80
; %bb.77:                               ;   in Loop: Header=BB277_10 Depth=1
	v_and_b32_e32 v34, 7, v3
	v_lshrrev_b32_e32 v35, 3, v36
	s_mov_b32 s42, exec_lo
	v_cmpx_gt_u32_e32 8, v36
; %bb.78:                               ;   in Loop: Header=BB277_10 Depth=1
	v_ffbh_u32_e32 v34, v34
	v_min_u32_e32 v36, 32, v34
	v_subrev_nc_u32_e32 v34, 28, v36
	v_lshlrev_b64 v[34:35], v34, v[3:4]
	v_sub_nc_u32_e32 v35, 29, v36
	v_and_b32_e32 v34, 7, v34
; %bb.79:                               ;   in Loop: Header=BB277_10 Depth=1
	s_or_b32 exec_lo, exec_lo, s42
	v_lshlrev_b32_e32 v36, 8, v3
	v_lshl_add_u32 v35, v35, 10, 0x2000
	v_lshlrev_b32_e32 v34, 7, v34
	v_and_b32_e32 v36, 0x8000, v36
	v_and_b32_e32 v35, 0xfc00, v35
	v_or3_b32 v34, v36, v35, v34
.LBB277_80:                             ;   in Loop: Header=BB277_10 Depth=1
	s_or_b32 exec_lo, exec_lo, s41
.LBB277_81:                             ;   in Loop: Header=BB277_10 Depth=1
	s_or_b32 exec_lo, exec_lo, s40
.LBB277_82:                             ;   in Loop: Header=BB277_10 Depth=1
	s_or_b32 exec_lo, exec_lo, s3
	v_lshrrev_b16 v3, 8, v3
	s_mov_b32 s3, exec_lo
	v_cmpx_ne_u16_e32 0, v3
	s_cbranch_execz .LBB277_90
; %bb.83:                               ;   in Loop: Header=BB277_10 Depth=1
	v_bfrev_b32_e32 v33, 1
	s_mov_b32 s40, exec_lo
	v_cmpx_ne_u16_e32 0x80, v3
	s_cbranch_execz .LBB277_89
; %bb.84:                               ;   in Loop: Header=BB277_10 Depth=1
	v_and_b32_sdwa v36, v3, v20 dst_sel:DWORD dst_unused:UNUSED_PAD src0_sel:WORD_0 src1_sel:DWORD
	v_mov_b32_e32 v33, 0x7c010000
	s_mov_b32 s41, exec_lo
	v_cmpx_ne_u32_e32 0x7f, v36
	s_cbranch_execz .LBB277_88
; %bb.85:                               ;   in Loop: Header=BB277_10 Depth=1
	v_and_b32_sdwa v33, v3, v21 dst_sel:DWORD dst_unused:UNUSED_PAD src0_sel:WORD_0 src1_sel:DWORD
	v_lshrrev_b32_e32 v35, 3, v36
	s_mov_b32 s42, exec_lo
	v_cmpx_gt_u32_e32 8, v36
; %bb.86:                               ;   in Loop: Header=BB277_10 Depth=1
	v_ffbh_u32_e32 v33, v33
	v_min_u32_e32 v33, 32, v33
	v_subrev_nc_u32_e32 v35, 28, v33
	v_lshlrev_b64 v[36:37], v35, v[3:4]
	v_sub_nc_u32_e32 v35, 29, v33
	v_and_b32_e32 v33, 7, v36
; %bb.87:                               ;   in Loop: Header=BB277_10 Depth=1
	s_or_b32 exec_lo, exec_lo, s42
	v_lshlrev_b32_sdwa v3, v22, v3 dst_sel:DWORD dst_unused:UNUSED_PAD src0_sel:DWORD src1_sel:WORD_0
	v_lshl_add_u32 v35, v35, 10, 0x2000
	v_lshlrev_b32_e32 v33, 23, v33
	v_and_or_b32 v3, 0x8000, v3, v35
	v_lshl_or_b32 v33, v3, 16, v33
.LBB277_88:                             ;   in Loop: Header=BB277_10 Depth=1
	s_or_b32 exec_lo, exec_lo, s41
.LBB277_89:                             ;   in Loop: Header=BB277_10 Depth=1
	s_or_b32 exec_lo, exec_lo, s40
.LBB277_90:                             ;   in Loop: Header=BB277_10 Depth=1
	s_or_b32 exec_lo, exec_lo, s3
	global_load_ushort v36, v[9:10], off offset:264
	v_mov_b32_e32 v35, 0
	s_waitcnt vmcnt(0)
	v_and_b32_e32 v3, 0xffff, v36
	v_cmp_ne_u16_sdwa s2, v36, v4 src0_sel:BYTE_0 src1_sel:DWORD
	v_mov_b32_e32 v36, 0
	s_and_saveexec_b32 s3, s2
	s_cbranch_execz .LBB277_98
; %bb.91:                               ;   in Loop: Header=BB277_10 Depth=1
	v_cmp_ne_u16_sdwa s2, v3, v19 src0_sel:BYTE_0 src1_sel:DWORD
	v_mov_b32_e32 v36, 0x8000
	s_and_saveexec_b32 s40, s2
	s_cbranch_execz .LBB277_97
; %bb.92:                               ;   in Loop: Header=BB277_10 Depth=1
	v_and_b32_e32 v38, 0x7f, v3
	v_mov_b32_e32 v36, 0x7c01
	s_mov_b32 s41, exec_lo
	v_cmpx_ne_u32_e32 0x7f, v38
	s_cbranch_execz .LBB277_96
; %bb.93:                               ;   in Loop: Header=BB277_10 Depth=1
	v_and_b32_e32 v36, 7, v3
	v_lshrrev_b32_e32 v37, 3, v38
	s_mov_b32 s42, exec_lo
	v_cmpx_gt_u32_e32 8, v38
; %bb.94:                               ;   in Loop: Header=BB277_10 Depth=1
	v_ffbh_u32_e32 v36, v36
	v_min_u32_e32 v38, 32, v36
	v_subrev_nc_u32_e32 v36, 28, v38
	v_lshlrev_b64 v[36:37], v36, v[3:4]
	v_sub_nc_u32_e32 v37, 29, v38
	v_and_b32_e32 v36, 7, v36
; %bb.95:                               ;   in Loop: Header=BB277_10 Depth=1
	s_or_b32 exec_lo, exec_lo, s42
	v_lshlrev_b32_e32 v38, 8, v3
	v_lshl_add_u32 v37, v37, 10, 0x2000
	v_lshlrev_b32_e32 v36, 7, v36
	v_and_b32_e32 v38, 0x8000, v38
	v_and_b32_e32 v37, 0xfc00, v37
	v_or3_b32 v36, v38, v37, v36
.LBB277_96:                             ;   in Loop: Header=BB277_10 Depth=1
	s_or_b32 exec_lo, exec_lo, s41
.LBB277_97:                             ;   in Loop: Header=BB277_10 Depth=1
	s_or_b32 exec_lo, exec_lo, s40
.LBB277_98:                             ;   in Loop: Header=BB277_10 Depth=1
	s_or_b32 exec_lo, exec_lo, s3
	v_lshrrev_b16 v3, 8, v3
	s_mov_b32 s3, exec_lo
	v_cmpx_ne_u16_e32 0, v3
	s_cbranch_execz .LBB277_106
; %bb.99:                               ;   in Loop: Header=BB277_10 Depth=1
	v_bfrev_b32_e32 v35, 1
	s_mov_b32 s40, exec_lo
	v_cmpx_ne_u16_e32 0x80, v3
	s_cbranch_execz .LBB277_105
; %bb.100:                              ;   in Loop: Header=BB277_10 Depth=1
	v_and_b32_sdwa v38, v3, v20 dst_sel:DWORD dst_unused:UNUSED_PAD src0_sel:WORD_0 src1_sel:DWORD
	v_mov_b32_e32 v35, 0x7c010000
	s_mov_b32 s41, exec_lo
	v_cmpx_ne_u32_e32 0x7f, v38
	s_cbranch_execz .LBB277_104
; %bb.101:                              ;   in Loop: Header=BB277_10 Depth=1
	v_and_b32_sdwa v35, v3, v21 dst_sel:DWORD dst_unused:UNUSED_PAD src0_sel:WORD_0 src1_sel:DWORD
	v_lshrrev_b32_e32 v37, 3, v38
	s_mov_b32 s42, exec_lo
	v_cmpx_gt_u32_e32 8, v38
; %bb.102:                              ;   in Loop: Header=BB277_10 Depth=1
	v_ffbh_u32_e32 v35, v35
	v_min_u32_e32 v35, 32, v35
	v_subrev_nc_u32_e32 v37, 28, v35
	v_lshlrev_b64 v[38:39], v37, v[3:4]
	v_sub_nc_u32_e32 v37, 29, v35
	v_and_b32_e32 v35, 7, v38
; %bb.103:                              ;   in Loop: Header=BB277_10 Depth=1
	s_or_b32 exec_lo, exec_lo, s42
	v_lshlrev_b32_sdwa v3, v22, v3 dst_sel:DWORD dst_unused:UNUSED_PAD src0_sel:DWORD src1_sel:WORD_0
	v_lshl_add_u32 v37, v37, 10, 0x2000
	v_lshlrev_b32_e32 v35, 23, v35
	v_and_or_b32 v3, 0x8000, v3, v37
	v_lshl_or_b32 v35, v3, 16, v35
.LBB277_104:                            ;   in Loop: Header=BB277_10 Depth=1
	s_or_b32 exec_lo, exec_lo, s41
.LBB277_105:                            ;   in Loop: Header=BB277_10 Depth=1
	s_or_b32 exec_lo, exec_lo, s40
.LBB277_106:                            ;   in Loop: Header=BB277_10 Depth=1
	s_or_b32 exec_lo, exec_lo, s3
	global_load_ushort v38, v[9:10], off offset:384
	v_mov_b32_e32 v37, 0
	s_waitcnt vmcnt(0)
	v_and_b32_e32 v3, 0xffff, v38
	v_cmp_ne_u16_sdwa s2, v38, v4 src0_sel:BYTE_0 src1_sel:DWORD
	v_mov_b32_e32 v38, 0
	s_and_saveexec_b32 s3, s2
	s_cbranch_execz .LBB277_114
; %bb.107:                              ;   in Loop: Header=BB277_10 Depth=1
	v_cmp_ne_u16_sdwa s2, v3, v19 src0_sel:BYTE_0 src1_sel:DWORD
	v_mov_b32_e32 v38, 0x8000
	s_and_saveexec_b32 s40, s2
	s_cbranch_execz .LBB277_113
; %bb.108:                              ;   in Loop: Header=BB277_10 Depth=1
	v_and_b32_e32 v40, 0x7f, v3
	v_mov_b32_e32 v38, 0x7c01
	s_mov_b32 s41, exec_lo
	v_cmpx_ne_u32_e32 0x7f, v40
	s_cbranch_execz .LBB277_112
; %bb.109:                              ;   in Loop: Header=BB277_10 Depth=1
	v_and_b32_e32 v38, 7, v3
	v_lshrrev_b32_e32 v39, 3, v40
	s_mov_b32 s42, exec_lo
	v_cmpx_gt_u32_e32 8, v40
; %bb.110:                              ;   in Loop: Header=BB277_10 Depth=1
	v_ffbh_u32_e32 v38, v38
	v_min_u32_e32 v40, 32, v38
	v_subrev_nc_u32_e32 v38, 28, v40
	v_lshlrev_b64 v[38:39], v38, v[3:4]
	v_sub_nc_u32_e32 v39, 29, v40
	v_and_b32_e32 v38, 7, v38
; %bb.111:                              ;   in Loop: Header=BB277_10 Depth=1
	s_or_b32 exec_lo, exec_lo, s42
	v_lshlrev_b32_e32 v40, 8, v3
	v_lshl_add_u32 v39, v39, 10, 0x2000
	v_lshlrev_b32_e32 v38, 7, v38
	v_and_b32_e32 v40, 0x8000, v40
	v_and_b32_e32 v39, 0xfc00, v39
	v_or3_b32 v38, v40, v39, v38
.LBB277_112:                            ;   in Loop: Header=BB277_10 Depth=1
	s_or_b32 exec_lo, exec_lo, s41
.LBB277_113:                            ;   in Loop: Header=BB277_10 Depth=1
	s_or_b32 exec_lo, exec_lo, s40
.LBB277_114:                            ;   in Loop: Header=BB277_10 Depth=1
	s_or_b32 exec_lo, exec_lo, s3
	v_lshrrev_b16 v3, 8, v3
	s_mov_b32 s3, exec_lo
	v_cmpx_ne_u16_e32 0, v3
	s_cbranch_execz .LBB277_122
; %bb.115:                              ;   in Loop: Header=BB277_10 Depth=1
	v_bfrev_b32_e32 v37, 1
	s_mov_b32 s40, exec_lo
	v_cmpx_ne_u16_e32 0x80, v3
	s_cbranch_execz .LBB277_121
; %bb.116:                              ;   in Loop: Header=BB277_10 Depth=1
	v_and_b32_sdwa v40, v3, v20 dst_sel:DWORD dst_unused:UNUSED_PAD src0_sel:WORD_0 src1_sel:DWORD
	v_mov_b32_e32 v37, 0x7c010000
	s_mov_b32 s41, exec_lo
	v_cmpx_ne_u32_e32 0x7f, v40
	s_cbranch_execz .LBB277_120
; %bb.117:                              ;   in Loop: Header=BB277_10 Depth=1
	v_and_b32_sdwa v37, v3, v21 dst_sel:DWORD dst_unused:UNUSED_PAD src0_sel:WORD_0 src1_sel:DWORD
	v_lshrrev_b32_e32 v39, 3, v40
	s_mov_b32 s42, exec_lo
	v_cmpx_gt_u32_e32 8, v40
; %bb.118:                              ;   in Loop: Header=BB277_10 Depth=1
	v_ffbh_u32_e32 v37, v37
	v_min_u32_e32 v37, 32, v37
	v_subrev_nc_u32_e32 v39, 28, v37
	v_lshlrev_b64 v[40:41], v39, v[3:4]
	v_sub_nc_u32_e32 v39, 29, v37
	v_and_b32_e32 v37, 7, v40
; %bb.119:                              ;   in Loop: Header=BB277_10 Depth=1
	s_or_b32 exec_lo, exec_lo, s42
	v_lshlrev_b32_sdwa v3, v22, v3 dst_sel:DWORD dst_unused:UNUSED_PAD src0_sel:DWORD src1_sel:WORD_0
	v_lshl_add_u32 v39, v39, 10, 0x2000
	v_lshlrev_b32_e32 v37, 23, v37
	v_and_or_b32 v3, 0x8000, v3, v39
	v_lshl_or_b32 v37, v3, 16, v37
.LBB277_120:                            ;   in Loop: Header=BB277_10 Depth=1
	s_or_b32 exec_lo, exec_lo, s41
.LBB277_121:                            ;   in Loop: Header=BB277_10 Depth=1
	s_or_b32 exec_lo, exec_lo, s40
.LBB277_122:                            ;   in Loop: Header=BB277_10 Depth=1
	s_or_b32 exec_lo, exec_lo, s3
	global_load_ushort v40, v[9:10], off offset:392
	v_mov_b32_e32 v39, 0
	s_waitcnt vmcnt(0)
	v_and_b32_e32 v3, 0xffff, v40
	v_cmp_ne_u16_sdwa s2, v40, v4 src0_sel:BYTE_0 src1_sel:DWORD
	v_mov_b32_e32 v40, 0
	s_and_saveexec_b32 s3, s2
	s_cbranch_execz .LBB277_130
; %bb.123:                              ;   in Loop: Header=BB277_10 Depth=1
	v_cmp_ne_u16_sdwa s2, v3, v19 src0_sel:BYTE_0 src1_sel:DWORD
	v_mov_b32_e32 v40, 0x8000
	s_and_saveexec_b32 s40, s2
	s_cbranch_execz .LBB277_129
; %bb.124:                              ;   in Loop: Header=BB277_10 Depth=1
	v_and_b32_e32 v42, 0x7f, v3
	v_mov_b32_e32 v40, 0x7c01
	s_mov_b32 s41, exec_lo
	v_cmpx_ne_u32_e32 0x7f, v42
	s_cbranch_execz .LBB277_128
; %bb.125:                              ;   in Loop: Header=BB277_10 Depth=1
	v_and_b32_e32 v40, 7, v3
	v_lshrrev_b32_e32 v41, 3, v42
	s_mov_b32 s42, exec_lo
	v_cmpx_gt_u32_e32 8, v42
; %bb.126:                              ;   in Loop: Header=BB277_10 Depth=1
	v_ffbh_u32_e32 v40, v40
	v_min_u32_e32 v42, 32, v40
	v_subrev_nc_u32_e32 v40, 28, v42
	v_lshlrev_b64 v[40:41], v40, v[3:4]
	v_sub_nc_u32_e32 v41, 29, v42
	v_and_b32_e32 v40, 7, v40
; %bb.127:                              ;   in Loop: Header=BB277_10 Depth=1
	s_or_b32 exec_lo, exec_lo, s42
	v_lshlrev_b32_e32 v42, 8, v3
	v_lshl_add_u32 v41, v41, 10, 0x2000
	v_lshlrev_b32_e32 v40, 7, v40
	v_and_b32_e32 v42, 0x8000, v42
	v_and_b32_e32 v41, 0xfc00, v41
	v_or3_b32 v40, v42, v41, v40
.LBB277_128:                            ;   in Loop: Header=BB277_10 Depth=1
	s_or_b32 exec_lo, exec_lo, s41
.LBB277_129:                            ;   in Loop: Header=BB277_10 Depth=1
	s_or_b32 exec_lo, exec_lo, s40
.LBB277_130:                            ;   in Loop: Header=BB277_10 Depth=1
	s_or_b32 exec_lo, exec_lo, s3
	v_lshrrev_b16 v3, 8, v3
	s_mov_b32 s3, exec_lo
	v_cmpx_ne_u16_e32 0, v3
	s_cbranch_execz .LBB277_138
; %bb.131:                              ;   in Loop: Header=BB277_10 Depth=1
	v_bfrev_b32_e32 v39, 1
	s_mov_b32 s40, exec_lo
	v_cmpx_ne_u16_e32 0x80, v3
	s_cbranch_execz .LBB277_137
; %bb.132:                              ;   in Loop: Header=BB277_10 Depth=1
	v_and_b32_sdwa v42, v3, v20 dst_sel:DWORD dst_unused:UNUSED_PAD src0_sel:WORD_0 src1_sel:DWORD
	v_mov_b32_e32 v39, 0x7c010000
	s_mov_b32 s41, exec_lo
	v_cmpx_ne_u32_e32 0x7f, v42
	s_cbranch_execz .LBB277_136
; %bb.133:                              ;   in Loop: Header=BB277_10 Depth=1
	v_and_b32_sdwa v39, v3, v21 dst_sel:DWORD dst_unused:UNUSED_PAD src0_sel:WORD_0 src1_sel:DWORD
	v_lshrrev_b32_e32 v41, 3, v42
	s_mov_b32 s42, exec_lo
	v_cmpx_gt_u32_e32 8, v42
; %bb.134:                              ;   in Loop: Header=BB277_10 Depth=1
	v_ffbh_u32_e32 v39, v39
	v_min_u32_e32 v39, 32, v39
	v_subrev_nc_u32_e32 v41, 28, v39
	v_lshlrev_b64 v[42:43], v41, v[3:4]
	v_sub_nc_u32_e32 v41, 29, v39
	v_and_b32_e32 v39, 7, v42
; %bb.135:                              ;   in Loop: Header=BB277_10 Depth=1
	s_or_b32 exec_lo, exec_lo, s42
	v_lshlrev_b32_sdwa v3, v22, v3 dst_sel:DWORD dst_unused:UNUSED_PAD src0_sel:DWORD src1_sel:WORD_0
	v_lshl_add_u32 v41, v41, 10, 0x2000
	v_lshlrev_b32_e32 v39, 23, v39
	v_and_or_b32 v3, 0x8000, v3, v41
	v_lshl_or_b32 v39, v3, 16, v39
.LBB277_136:                            ;   in Loop: Header=BB277_10 Depth=1
	s_or_b32 exec_lo, exec_lo, s41
.LBB277_137:                            ;   in Loop: Header=BB277_10 Depth=1
	s_or_b32 exec_lo, exec_lo, s40
.LBB277_138:                            ;   in Loop: Header=BB277_10 Depth=1
	s_or_b32 exec_lo, exec_lo, s3
	global_load_ushort v42, v[9:10], off offset:512
	v_mov_b32_e32 v41, 0
	s_waitcnt vmcnt(0)
	v_and_b32_e32 v3, 0xffff, v42
	v_cmp_ne_u16_sdwa s2, v42, v4 src0_sel:BYTE_0 src1_sel:DWORD
	v_mov_b32_e32 v42, 0
	s_and_saveexec_b32 s3, s2
	s_cbranch_execz .LBB277_146
; %bb.139:                              ;   in Loop: Header=BB277_10 Depth=1
	v_cmp_ne_u16_sdwa s2, v3, v19 src0_sel:BYTE_0 src1_sel:DWORD
	v_mov_b32_e32 v42, 0x8000
	s_and_saveexec_b32 s40, s2
	s_cbranch_execz .LBB277_145
; %bb.140:                              ;   in Loop: Header=BB277_10 Depth=1
	v_and_b32_e32 v44, 0x7f, v3
	v_mov_b32_e32 v42, 0x7c01
	s_mov_b32 s41, exec_lo
	v_cmpx_ne_u32_e32 0x7f, v44
	s_cbranch_execz .LBB277_144
; %bb.141:                              ;   in Loop: Header=BB277_10 Depth=1
	v_and_b32_e32 v42, 7, v3
	v_lshrrev_b32_e32 v43, 3, v44
	s_mov_b32 s42, exec_lo
	v_cmpx_gt_u32_e32 8, v44
; %bb.142:                              ;   in Loop: Header=BB277_10 Depth=1
	v_ffbh_u32_e32 v42, v42
	v_min_u32_e32 v44, 32, v42
	v_subrev_nc_u32_e32 v42, 28, v44
	v_lshlrev_b64 v[42:43], v42, v[3:4]
	v_sub_nc_u32_e32 v43, 29, v44
	v_and_b32_e32 v42, 7, v42
; %bb.143:                              ;   in Loop: Header=BB277_10 Depth=1
	s_or_b32 exec_lo, exec_lo, s42
	v_lshlrev_b32_e32 v44, 8, v3
	v_lshl_add_u32 v43, v43, 10, 0x2000
	v_lshlrev_b32_e32 v42, 7, v42
	v_and_b32_e32 v44, 0x8000, v44
	v_and_b32_e32 v43, 0xfc00, v43
	v_or3_b32 v42, v44, v43, v42
.LBB277_144:                            ;   in Loop: Header=BB277_10 Depth=1
	s_or_b32 exec_lo, exec_lo, s41
.LBB277_145:                            ;   in Loop: Header=BB277_10 Depth=1
	s_or_b32 exec_lo, exec_lo, s40
.LBB277_146:                            ;   in Loop: Header=BB277_10 Depth=1
	s_or_b32 exec_lo, exec_lo, s3
	v_lshrrev_b16 v3, 8, v3
	s_mov_b32 s3, exec_lo
	v_cmpx_ne_u16_e32 0, v3
	s_cbranch_execz .LBB277_154
; %bb.147:                              ;   in Loop: Header=BB277_10 Depth=1
	v_bfrev_b32_e32 v41, 1
	s_mov_b32 s40, exec_lo
	v_cmpx_ne_u16_e32 0x80, v3
	s_cbranch_execz .LBB277_153
; %bb.148:                              ;   in Loop: Header=BB277_10 Depth=1
	v_and_b32_sdwa v44, v3, v20 dst_sel:DWORD dst_unused:UNUSED_PAD src0_sel:WORD_0 src1_sel:DWORD
	v_mov_b32_e32 v41, 0x7c010000
	s_mov_b32 s41, exec_lo
	v_cmpx_ne_u32_e32 0x7f, v44
	s_cbranch_execz .LBB277_152
; %bb.149:                              ;   in Loop: Header=BB277_10 Depth=1
	v_and_b32_sdwa v41, v3, v21 dst_sel:DWORD dst_unused:UNUSED_PAD src0_sel:WORD_0 src1_sel:DWORD
	v_lshrrev_b32_e32 v43, 3, v44
	s_mov_b32 s42, exec_lo
	v_cmpx_gt_u32_e32 8, v44
; %bb.150:                              ;   in Loop: Header=BB277_10 Depth=1
	v_ffbh_u32_e32 v41, v41
	v_min_u32_e32 v41, 32, v41
	v_subrev_nc_u32_e32 v43, 28, v41
	v_lshlrev_b64 v[44:45], v43, v[3:4]
	v_sub_nc_u32_e32 v43, 29, v41
	v_and_b32_e32 v41, 7, v44
; %bb.151:                              ;   in Loop: Header=BB277_10 Depth=1
	s_or_b32 exec_lo, exec_lo, s42
	v_lshlrev_b32_sdwa v3, v22, v3 dst_sel:DWORD dst_unused:UNUSED_PAD src0_sel:DWORD src1_sel:WORD_0
	v_lshl_add_u32 v43, v43, 10, 0x2000
	v_lshlrev_b32_e32 v41, 23, v41
	v_and_or_b32 v3, 0x8000, v3, v43
	v_lshl_or_b32 v41, v3, 16, v41
.LBB277_152:                            ;   in Loop: Header=BB277_10 Depth=1
	s_or_b32 exec_lo, exec_lo, s41
.LBB277_153:                            ;   in Loop: Header=BB277_10 Depth=1
	s_or_b32 exec_lo, exec_lo, s40
.LBB277_154:                            ;   in Loop: Header=BB277_10 Depth=1
	s_or_b32 exec_lo, exec_lo, s3
	global_load_ushort v44, v[9:10], off offset:520
	v_mov_b32_e32 v43, 0
	s_waitcnt vmcnt(0)
	v_and_b32_e32 v3, 0xffff, v44
	v_cmp_ne_u16_sdwa s2, v44, v4 src0_sel:BYTE_0 src1_sel:DWORD
	v_mov_b32_e32 v44, 0
	s_and_saveexec_b32 s3, s2
	s_cbranch_execz .LBB277_162
; %bb.155:                              ;   in Loop: Header=BB277_10 Depth=1
	v_cmp_ne_u16_sdwa s2, v3, v19 src0_sel:BYTE_0 src1_sel:DWORD
	v_mov_b32_e32 v44, 0x8000
	s_and_saveexec_b32 s40, s2
	s_cbranch_execz .LBB277_161
; %bb.156:                              ;   in Loop: Header=BB277_10 Depth=1
	v_and_b32_e32 v46, 0x7f, v3
	v_mov_b32_e32 v44, 0x7c01
	s_mov_b32 s41, exec_lo
	v_cmpx_ne_u32_e32 0x7f, v46
	s_cbranch_execz .LBB277_160
; %bb.157:                              ;   in Loop: Header=BB277_10 Depth=1
	v_and_b32_e32 v44, 7, v3
	v_lshrrev_b32_e32 v45, 3, v46
	s_mov_b32 s42, exec_lo
	v_cmpx_gt_u32_e32 8, v46
; %bb.158:                              ;   in Loop: Header=BB277_10 Depth=1
	v_ffbh_u32_e32 v44, v44
	v_min_u32_e32 v46, 32, v44
	v_subrev_nc_u32_e32 v44, 28, v46
	v_lshlrev_b64 v[44:45], v44, v[3:4]
	v_sub_nc_u32_e32 v45, 29, v46
	v_and_b32_e32 v44, 7, v44
; %bb.159:                              ;   in Loop: Header=BB277_10 Depth=1
	s_or_b32 exec_lo, exec_lo, s42
	v_lshlrev_b32_e32 v46, 8, v3
	v_lshl_add_u32 v45, v45, 10, 0x2000
	v_lshlrev_b32_e32 v44, 7, v44
	v_and_b32_e32 v46, 0x8000, v46
	v_and_b32_e32 v45, 0xfc00, v45
	v_or3_b32 v44, v46, v45, v44
.LBB277_160:                            ;   in Loop: Header=BB277_10 Depth=1
	s_or_b32 exec_lo, exec_lo, s41
.LBB277_161:                            ;   in Loop: Header=BB277_10 Depth=1
	s_or_b32 exec_lo, exec_lo, s40
.LBB277_162:                            ;   in Loop: Header=BB277_10 Depth=1
	s_or_b32 exec_lo, exec_lo, s3
	v_lshrrev_b16 v3, 8, v3
	s_mov_b32 s3, exec_lo
	v_cmpx_ne_u16_e32 0, v3
	s_cbranch_execz .LBB277_170
; %bb.163:                              ;   in Loop: Header=BB277_10 Depth=1
	v_bfrev_b32_e32 v43, 1
	s_mov_b32 s40, exec_lo
	v_cmpx_ne_u16_e32 0x80, v3
	s_cbranch_execz .LBB277_169
; %bb.164:                              ;   in Loop: Header=BB277_10 Depth=1
	v_and_b32_sdwa v46, v3, v20 dst_sel:DWORD dst_unused:UNUSED_PAD src0_sel:WORD_0 src1_sel:DWORD
	v_mov_b32_e32 v43, 0x7c010000
	s_mov_b32 s41, exec_lo
	v_cmpx_ne_u32_e32 0x7f, v46
	s_cbranch_execz .LBB277_168
; %bb.165:                              ;   in Loop: Header=BB277_10 Depth=1
	v_and_b32_sdwa v43, v3, v21 dst_sel:DWORD dst_unused:UNUSED_PAD src0_sel:WORD_0 src1_sel:DWORD
	v_lshrrev_b32_e32 v45, 3, v46
	s_mov_b32 s42, exec_lo
	v_cmpx_gt_u32_e32 8, v46
; %bb.166:                              ;   in Loop: Header=BB277_10 Depth=1
	v_ffbh_u32_e32 v43, v43
	v_min_u32_e32 v43, 32, v43
	v_subrev_nc_u32_e32 v45, 28, v43
	v_lshlrev_b64 v[46:47], v45, v[3:4]
	v_sub_nc_u32_e32 v45, 29, v43
	v_and_b32_e32 v43, 7, v46
; %bb.167:                              ;   in Loop: Header=BB277_10 Depth=1
	s_or_b32 exec_lo, exec_lo, s42
	v_lshlrev_b32_sdwa v3, v22, v3 dst_sel:DWORD dst_unused:UNUSED_PAD src0_sel:DWORD src1_sel:WORD_0
	v_lshl_add_u32 v45, v45, 10, 0x2000
	v_lshlrev_b32_e32 v43, 23, v43
	v_and_or_b32 v3, 0x8000, v3, v45
	v_lshl_or_b32 v43, v3, 16, v43
.LBB277_168:                            ;   in Loop: Header=BB277_10 Depth=1
	s_or_b32 exec_lo, exec_lo, s41
.LBB277_169:                            ;   in Loop: Header=BB277_10 Depth=1
	s_or_b32 exec_lo, exec_lo, s40
.LBB277_170:                            ;   in Loop: Header=BB277_10 Depth=1
	s_or_b32 exec_lo, exec_lo, s3
	global_load_ushort v46, v[9:10], off offset:640
	v_mov_b32_e32 v45, 0
	s_waitcnt vmcnt(0)
	v_and_b32_e32 v3, 0xffff, v46
	v_cmp_ne_u16_sdwa s2, v46, v4 src0_sel:BYTE_0 src1_sel:DWORD
	v_mov_b32_e32 v46, 0
	s_and_saveexec_b32 s3, s2
	s_cbranch_execz .LBB277_178
; %bb.171:                              ;   in Loop: Header=BB277_10 Depth=1
	v_cmp_ne_u16_sdwa s2, v3, v19 src0_sel:BYTE_0 src1_sel:DWORD
	v_mov_b32_e32 v46, 0x8000
	s_and_saveexec_b32 s40, s2
	s_cbranch_execz .LBB277_177
; %bb.172:                              ;   in Loop: Header=BB277_10 Depth=1
	v_and_b32_e32 v48, 0x7f, v3
	v_mov_b32_e32 v46, 0x7c01
	s_mov_b32 s41, exec_lo
	v_cmpx_ne_u32_e32 0x7f, v48
	s_cbranch_execz .LBB277_176
; %bb.173:                              ;   in Loop: Header=BB277_10 Depth=1
	v_and_b32_e32 v46, 7, v3
	v_lshrrev_b32_e32 v47, 3, v48
	s_mov_b32 s42, exec_lo
	v_cmpx_gt_u32_e32 8, v48
; %bb.174:                              ;   in Loop: Header=BB277_10 Depth=1
	v_ffbh_u32_e32 v46, v46
	v_min_u32_e32 v48, 32, v46
	v_subrev_nc_u32_e32 v46, 28, v48
	v_lshlrev_b64 v[46:47], v46, v[3:4]
	v_sub_nc_u32_e32 v47, 29, v48
	v_and_b32_e32 v46, 7, v46
; %bb.175:                              ;   in Loop: Header=BB277_10 Depth=1
	s_or_b32 exec_lo, exec_lo, s42
	v_lshlrev_b32_e32 v48, 8, v3
	v_lshl_add_u32 v47, v47, 10, 0x2000
	v_lshlrev_b32_e32 v46, 7, v46
	v_and_b32_e32 v48, 0x8000, v48
	v_and_b32_e32 v47, 0xfc00, v47
	v_or3_b32 v46, v48, v47, v46
.LBB277_176:                            ;   in Loop: Header=BB277_10 Depth=1
	s_or_b32 exec_lo, exec_lo, s41
.LBB277_177:                            ;   in Loop: Header=BB277_10 Depth=1
	s_or_b32 exec_lo, exec_lo, s40
.LBB277_178:                            ;   in Loop: Header=BB277_10 Depth=1
	s_or_b32 exec_lo, exec_lo, s3
	v_lshrrev_b16 v3, 8, v3
	s_mov_b32 s3, exec_lo
	v_cmpx_ne_u16_e32 0, v3
	s_cbranch_execz .LBB277_186
; %bb.179:                              ;   in Loop: Header=BB277_10 Depth=1
	v_bfrev_b32_e32 v45, 1
	s_mov_b32 s40, exec_lo
	v_cmpx_ne_u16_e32 0x80, v3
	s_cbranch_execz .LBB277_185
; %bb.180:                              ;   in Loop: Header=BB277_10 Depth=1
	v_and_b32_sdwa v48, v3, v20 dst_sel:DWORD dst_unused:UNUSED_PAD src0_sel:WORD_0 src1_sel:DWORD
	v_mov_b32_e32 v45, 0x7c010000
	s_mov_b32 s41, exec_lo
	v_cmpx_ne_u32_e32 0x7f, v48
	s_cbranch_execz .LBB277_184
; %bb.181:                              ;   in Loop: Header=BB277_10 Depth=1
	v_and_b32_sdwa v45, v3, v21 dst_sel:DWORD dst_unused:UNUSED_PAD src0_sel:WORD_0 src1_sel:DWORD
	v_lshrrev_b32_e32 v47, 3, v48
	s_mov_b32 s42, exec_lo
	v_cmpx_gt_u32_e32 8, v48
; %bb.182:                              ;   in Loop: Header=BB277_10 Depth=1
	v_ffbh_u32_e32 v45, v45
	v_min_u32_e32 v45, 32, v45
	v_subrev_nc_u32_e32 v47, 28, v45
	v_lshlrev_b64 v[48:49], v47, v[3:4]
	v_sub_nc_u32_e32 v47, 29, v45
	v_and_b32_e32 v45, 7, v48
; %bb.183:                              ;   in Loop: Header=BB277_10 Depth=1
	s_or_b32 exec_lo, exec_lo, s42
	v_lshlrev_b32_sdwa v3, v22, v3 dst_sel:DWORD dst_unused:UNUSED_PAD src0_sel:DWORD src1_sel:WORD_0
	v_lshl_add_u32 v47, v47, 10, 0x2000
	v_lshlrev_b32_e32 v45, 23, v45
	v_and_or_b32 v3, 0x8000, v3, v47
	v_lshl_or_b32 v45, v3, 16, v45
.LBB277_184:                            ;   in Loop: Header=BB277_10 Depth=1
	s_or_b32 exec_lo, exec_lo, s41
.LBB277_185:                            ;   in Loop: Header=BB277_10 Depth=1
	s_or_b32 exec_lo, exec_lo, s40
.LBB277_186:                            ;   in Loop: Header=BB277_10 Depth=1
	s_or_b32 exec_lo, exec_lo, s3
	global_load_ushort v48, v[9:10], off offset:648
	v_mov_b32_e32 v47, 0
	s_waitcnt vmcnt(0)
	v_and_b32_e32 v3, 0xffff, v48
	v_cmp_ne_u16_sdwa s2, v48, v4 src0_sel:BYTE_0 src1_sel:DWORD
	v_mov_b32_e32 v48, 0
	s_and_saveexec_b32 s3, s2
	s_cbranch_execz .LBB277_194
; %bb.187:                              ;   in Loop: Header=BB277_10 Depth=1
	v_cmp_ne_u16_sdwa s2, v3, v19 src0_sel:BYTE_0 src1_sel:DWORD
	v_mov_b32_e32 v48, 0x8000
	s_and_saveexec_b32 s40, s2
	s_cbranch_execz .LBB277_193
; %bb.188:                              ;   in Loop: Header=BB277_10 Depth=1
	v_and_b32_e32 v50, 0x7f, v3
	v_mov_b32_e32 v48, 0x7c01
	s_mov_b32 s41, exec_lo
	v_cmpx_ne_u32_e32 0x7f, v50
	s_cbranch_execz .LBB277_192
; %bb.189:                              ;   in Loop: Header=BB277_10 Depth=1
	v_and_b32_e32 v48, 7, v3
	v_lshrrev_b32_e32 v49, 3, v50
	s_mov_b32 s42, exec_lo
	v_cmpx_gt_u32_e32 8, v50
; %bb.190:                              ;   in Loop: Header=BB277_10 Depth=1
	v_ffbh_u32_e32 v48, v48
	v_min_u32_e32 v50, 32, v48
	v_subrev_nc_u32_e32 v48, 28, v50
	v_lshlrev_b64 v[48:49], v48, v[3:4]
	v_sub_nc_u32_e32 v49, 29, v50
	v_and_b32_e32 v48, 7, v48
; %bb.191:                              ;   in Loop: Header=BB277_10 Depth=1
	s_or_b32 exec_lo, exec_lo, s42
	v_lshlrev_b32_e32 v50, 8, v3
	v_lshl_add_u32 v49, v49, 10, 0x2000
	v_lshlrev_b32_e32 v48, 7, v48
	v_and_b32_e32 v50, 0x8000, v50
	v_and_b32_e32 v49, 0xfc00, v49
	v_or3_b32 v48, v50, v49, v48
.LBB277_192:                            ;   in Loop: Header=BB277_10 Depth=1
	s_or_b32 exec_lo, exec_lo, s41
.LBB277_193:                            ;   in Loop: Header=BB277_10 Depth=1
	s_or_b32 exec_lo, exec_lo, s40
.LBB277_194:                            ;   in Loop: Header=BB277_10 Depth=1
	s_or_b32 exec_lo, exec_lo, s3
	v_lshrrev_b16 v3, 8, v3
	s_mov_b32 s3, exec_lo
	v_cmpx_ne_u16_e32 0, v3
	s_cbranch_execz .LBB277_202
; %bb.195:                              ;   in Loop: Header=BB277_10 Depth=1
	v_bfrev_b32_e32 v47, 1
	s_mov_b32 s40, exec_lo
	v_cmpx_ne_u16_e32 0x80, v3
	s_cbranch_execz .LBB277_201
; %bb.196:                              ;   in Loop: Header=BB277_10 Depth=1
	v_and_b32_sdwa v50, v3, v20 dst_sel:DWORD dst_unused:UNUSED_PAD src0_sel:WORD_0 src1_sel:DWORD
	v_mov_b32_e32 v47, 0x7c010000
	s_mov_b32 s41, exec_lo
	v_cmpx_ne_u32_e32 0x7f, v50
	s_cbranch_execz .LBB277_200
; %bb.197:                              ;   in Loop: Header=BB277_10 Depth=1
	v_and_b32_sdwa v47, v3, v21 dst_sel:DWORD dst_unused:UNUSED_PAD src0_sel:WORD_0 src1_sel:DWORD
	v_lshrrev_b32_e32 v49, 3, v50
	s_mov_b32 s42, exec_lo
	v_cmpx_gt_u32_e32 8, v50
; %bb.198:                              ;   in Loop: Header=BB277_10 Depth=1
	v_ffbh_u32_e32 v47, v47
	v_min_u32_e32 v47, 32, v47
	v_subrev_nc_u32_e32 v49, 28, v47
	v_lshlrev_b64 v[50:51], v49, v[3:4]
	v_sub_nc_u32_e32 v49, 29, v47
	v_and_b32_e32 v47, 7, v50
; %bb.199:                              ;   in Loop: Header=BB277_10 Depth=1
	s_or_b32 exec_lo, exec_lo, s42
	v_lshlrev_b32_sdwa v3, v22, v3 dst_sel:DWORD dst_unused:UNUSED_PAD src0_sel:DWORD src1_sel:WORD_0
	v_lshl_add_u32 v49, v49, 10, 0x2000
	v_lshlrev_b32_e32 v47, 23, v47
	v_and_or_b32 v3, 0x8000, v3, v49
	v_lshl_or_b32 v47, v3, 16, v47
.LBB277_200:                            ;   in Loop: Header=BB277_10 Depth=1
	s_or_b32 exec_lo, exec_lo, s41
.LBB277_201:                            ;   in Loop: Header=BB277_10 Depth=1
	s_or_b32 exec_lo, exec_lo, s40
.LBB277_202:                            ;   in Loop: Header=BB277_10 Depth=1
	s_or_b32 exec_lo, exec_lo, s3
	global_load_ushort v50, v[9:10], off offset:768
	v_mov_b32_e32 v49, 0
	s_waitcnt vmcnt(0)
	v_and_b32_e32 v3, 0xffff, v50
	v_cmp_ne_u16_sdwa s2, v50, v4 src0_sel:BYTE_0 src1_sel:DWORD
	v_mov_b32_e32 v50, 0
	s_and_saveexec_b32 s3, s2
	s_cbranch_execz .LBB277_210
; %bb.203:                              ;   in Loop: Header=BB277_10 Depth=1
	v_cmp_ne_u16_sdwa s2, v3, v19 src0_sel:BYTE_0 src1_sel:DWORD
	v_mov_b32_e32 v50, 0x8000
	s_and_saveexec_b32 s40, s2
	s_cbranch_execz .LBB277_209
; %bb.204:                              ;   in Loop: Header=BB277_10 Depth=1
	v_and_b32_e32 v52, 0x7f, v3
	v_mov_b32_e32 v50, 0x7c01
	s_mov_b32 s41, exec_lo
	v_cmpx_ne_u32_e32 0x7f, v52
	s_cbranch_execz .LBB277_208
; %bb.205:                              ;   in Loop: Header=BB277_10 Depth=1
	v_and_b32_e32 v50, 7, v3
	v_lshrrev_b32_e32 v51, 3, v52
	s_mov_b32 s42, exec_lo
	v_cmpx_gt_u32_e32 8, v52
; %bb.206:                              ;   in Loop: Header=BB277_10 Depth=1
	v_ffbh_u32_e32 v50, v50
	v_min_u32_e32 v52, 32, v50
	v_subrev_nc_u32_e32 v50, 28, v52
	v_lshlrev_b64 v[50:51], v50, v[3:4]
	v_sub_nc_u32_e32 v51, 29, v52
	v_and_b32_e32 v50, 7, v50
; %bb.207:                              ;   in Loop: Header=BB277_10 Depth=1
	s_or_b32 exec_lo, exec_lo, s42
	v_lshlrev_b32_e32 v52, 8, v3
	v_lshl_add_u32 v51, v51, 10, 0x2000
	v_lshlrev_b32_e32 v50, 7, v50
	v_and_b32_e32 v52, 0x8000, v52
	v_and_b32_e32 v51, 0xfc00, v51
	v_or3_b32 v50, v52, v51, v50
.LBB277_208:                            ;   in Loop: Header=BB277_10 Depth=1
	s_or_b32 exec_lo, exec_lo, s41
.LBB277_209:                            ;   in Loop: Header=BB277_10 Depth=1
	s_or_b32 exec_lo, exec_lo, s40
.LBB277_210:                            ;   in Loop: Header=BB277_10 Depth=1
	s_or_b32 exec_lo, exec_lo, s3
	v_lshrrev_b16 v3, 8, v3
	s_mov_b32 s3, exec_lo
	v_cmpx_ne_u16_e32 0, v3
	s_cbranch_execz .LBB277_218
; %bb.211:                              ;   in Loop: Header=BB277_10 Depth=1
	v_bfrev_b32_e32 v49, 1
	s_mov_b32 s40, exec_lo
	v_cmpx_ne_u16_e32 0x80, v3
	s_cbranch_execz .LBB277_217
; %bb.212:                              ;   in Loop: Header=BB277_10 Depth=1
	v_and_b32_sdwa v52, v3, v20 dst_sel:DWORD dst_unused:UNUSED_PAD src0_sel:WORD_0 src1_sel:DWORD
	v_mov_b32_e32 v49, 0x7c010000
	s_mov_b32 s41, exec_lo
	v_cmpx_ne_u32_e32 0x7f, v52
	s_cbranch_execz .LBB277_216
; %bb.213:                              ;   in Loop: Header=BB277_10 Depth=1
	v_and_b32_sdwa v49, v3, v21 dst_sel:DWORD dst_unused:UNUSED_PAD src0_sel:WORD_0 src1_sel:DWORD
	v_lshrrev_b32_e32 v51, 3, v52
	s_mov_b32 s42, exec_lo
	v_cmpx_gt_u32_e32 8, v52
; %bb.214:                              ;   in Loop: Header=BB277_10 Depth=1
	v_ffbh_u32_e32 v49, v49
	v_min_u32_e32 v49, 32, v49
	v_subrev_nc_u32_e32 v51, 28, v49
	v_lshlrev_b64 v[52:53], v51, v[3:4]
	v_sub_nc_u32_e32 v51, 29, v49
	v_and_b32_e32 v49, 7, v52
; %bb.215:                              ;   in Loop: Header=BB277_10 Depth=1
	s_or_b32 exec_lo, exec_lo, s42
	v_lshlrev_b32_sdwa v3, v22, v3 dst_sel:DWORD dst_unused:UNUSED_PAD src0_sel:DWORD src1_sel:WORD_0
	v_lshl_add_u32 v51, v51, 10, 0x2000
	v_lshlrev_b32_e32 v49, 23, v49
	v_and_or_b32 v3, 0x8000, v3, v51
	v_lshl_or_b32 v49, v3, 16, v49
.LBB277_216:                            ;   in Loop: Header=BB277_10 Depth=1
	s_or_b32 exec_lo, exec_lo, s41
.LBB277_217:                            ;   in Loop: Header=BB277_10 Depth=1
	s_or_b32 exec_lo, exec_lo, s40
.LBB277_218:                            ;   in Loop: Header=BB277_10 Depth=1
	s_or_b32 exec_lo, exec_lo, s3
	global_load_ushort v52, v[9:10], off offset:776
	v_mov_b32_e32 v51, 0
	s_waitcnt vmcnt(0)
	v_and_b32_e32 v3, 0xffff, v52
	v_cmp_ne_u16_sdwa s2, v52, v4 src0_sel:BYTE_0 src1_sel:DWORD
	v_mov_b32_e32 v52, 0
	s_and_saveexec_b32 s3, s2
	s_cbranch_execz .LBB277_226
; %bb.219:                              ;   in Loop: Header=BB277_10 Depth=1
	v_cmp_ne_u16_sdwa s2, v3, v19 src0_sel:BYTE_0 src1_sel:DWORD
	v_mov_b32_e32 v52, 0x8000
	s_and_saveexec_b32 s40, s2
	s_cbranch_execz .LBB277_225
; %bb.220:                              ;   in Loop: Header=BB277_10 Depth=1
	v_and_b32_e32 v54, 0x7f, v3
	v_mov_b32_e32 v52, 0x7c01
	s_mov_b32 s41, exec_lo
	v_cmpx_ne_u32_e32 0x7f, v54
	s_cbranch_execz .LBB277_224
; %bb.221:                              ;   in Loop: Header=BB277_10 Depth=1
	v_and_b32_e32 v52, 7, v3
	v_lshrrev_b32_e32 v53, 3, v54
	s_mov_b32 s42, exec_lo
	v_cmpx_gt_u32_e32 8, v54
; %bb.222:                              ;   in Loop: Header=BB277_10 Depth=1
	v_ffbh_u32_e32 v52, v52
	v_min_u32_e32 v54, 32, v52
	v_subrev_nc_u32_e32 v52, 28, v54
	v_lshlrev_b64 v[52:53], v52, v[3:4]
	v_sub_nc_u32_e32 v53, 29, v54
	v_and_b32_e32 v52, 7, v52
; %bb.223:                              ;   in Loop: Header=BB277_10 Depth=1
	s_or_b32 exec_lo, exec_lo, s42
	v_lshlrev_b32_e32 v54, 8, v3
	v_lshl_add_u32 v53, v53, 10, 0x2000
	v_lshlrev_b32_e32 v52, 7, v52
	v_and_b32_e32 v54, 0x8000, v54
	v_and_b32_e32 v53, 0xfc00, v53
	v_or3_b32 v52, v54, v53, v52
.LBB277_224:                            ;   in Loop: Header=BB277_10 Depth=1
	s_or_b32 exec_lo, exec_lo, s41
.LBB277_225:                            ;   in Loop: Header=BB277_10 Depth=1
	s_or_b32 exec_lo, exec_lo, s40
.LBB277_226:                            ;   in Loop: Header=BB277_10 Depth=1
	s_or_b32 exec_lo, exec_lo, s3
	v_lshrrev_b16 v3, 8, v3
	s_mov_b32 s3, exec_lo
	v_cmpx_ne_u16_e32 0, v3
	s_cbranch_execz .LBB277_234
; %bb.227:                              ;   in Loop: Header=BB277_10 Depth=1
	v_bfrev_b32_e32 v51, 1
	s_mov_b32 s40, exec_lo
	v_cmpx_ne_u16_e32 0x80, v3
	s_cbranch_execz .LBB277_233
; %bb.228:                              ;   in Loop: Header=BB277_10 Depth=1
	v_and_b32_sdwa v54, v3, v20 dst_sel:DWORD dst_unused:UNUSED_PAD src0_sel:WORD_0 src1_sel:DWORD
	v_mov_b32_e32 v51, 0x7c010000
	s_mov_b32 s41, exec_lo
	v_cmpx_ne_u32_e32 0x7f, v54
	s_cbranch_execz .LBB277_232
; %bb.229:                              ;   in Loop: Header=BB277_10 Depth=1
	v_and_b32_sdwa v51, v3, v21 dst_sel:DWORD dst_unused:UNUSED_PAD src0_sel:WORD_0 src1_sel:DWORD
	v_lshrrev_b32_e32 v53, 3, v54
	s_mov_b32 s42, exec_lo
	v_cmpx_gt_u32_e32 8, v54
; %bb.230:                              ;   in Loop: Header=BB277_10 Depth=1
	v_ffbh_u32_e32 v51, v51
	v_min_u32_e32 v51, 32, v51
	v_subrev_nc_u32_e32 v53, 28, v51
	v_lshlrev_b64 v[54:55], v53, v[3:4]
	v_sub_nc_u32_e32 v53, 29, v51
	v_and_b32_e32 v51, 7, v54
; %bb.231:                              ;   in Loop: Header=BB277_10 Depth=1
	s_or_b32 exec_lo, exec_lo, s42
	v_lshlrev_b32_sdwa v3, v22, v3 dst_sel:DWORD dst_unused:UNUSED_PAD src0_sel:DWORD src1_sel:WORD_0
	v_lshl_add_u32 v53, v53, 10, 0x2000
	v_lshlrev_b32_e32 v51, 23, v51
	v_and_or_b32 v3, 0x8000, v3, v53
	v_lshl_or_b32 v51, v3, 16, v51
.LBB277_232:                            ;   in Loop: Header=BB277_10 Depth=1
	s_or_b32 exec_lo, exec_lo, s41
.LBB277_233:                            ;   in Loop: Header=BB277_10 Depth=1
	s_or_b32 exec_lo, exec_lo, s40
.LBB277_234:                            ;   in Loop: Header=BB277_10 Depth=1
	s_or_b32 exec_lo, exec_lo, s3
	global_load_ushort v54, v[9:10], off offset:896
	v_mov_b32_e32 v53, 0
	s_waitcnt vmcnt(0)
	v_and_b32_e32 v3, 0xffff, v54
	v_cmp_ne_u16_sdwa s2, v54, v4 src0_sel:BYTE_0 src1_sel:DWORD
	v_mov_b32_e32 v54, 0
	s_and_saveexec_b32 s3, s2
	s_cbranch_execz .LBB277_242
; %bb.235:                              ;   in Loop: Header=BB277_10 Depth=1
	v_cmp_ne_u16_sdwa s2, v3, v19 src0_sel:BYTE_0 src1_sel:DWORD
	v_mov_b32_e32 v54, 0x8000
	s_and_saveexec_b32 s40, s2
	s_cbranch_execz .LBB277_241
; %bb.236:                              ;   in Loop: Header=BB277_10 Depth=1
	v_and_b32_e32 v56, 0x7f, v3
	v_mov_b32_e32 v54, 0x7c01
	s_mov_b32 s41, exec_lo
	v_cmpx_ne_u32_e32 0x7f, v56
	s_cbranch_execz .LBB277_240
; %bb.237:                              ;   in Loop: Header=BB277_10 Depth=1
	v_and_b32_e32 v54, 7, v3
	v_lshrrev_b32_e32 v55, 3, v56
	s_mov_b32 s42, exec_lo
	v_cmpx_gt_u32_e32 8, v56
; %bb.238:                              ;   in Loop: Header=BB277_10 Depth=1
	v_ffbh_u32_e32 v54, v54
	v_min_u32_e32 v56, 32, v54
	v_subrev_nc_u32_e32 v54, 28, v56
	v_lshlrev_b64 v[54:55], v54, v[3:4]
	v_sub_nc_u32_e32 v55, 29, v56
	v_and_b32_e32 v54, 7, v54
; %bb.239:                              ;   in Loop: Header=BB277_10 Depth=1
	s_or_b32 exec_lo, exec_lo, s42
	v_lshlrev_b32_e32 v56, 8, v3
	v_lshl_add_u32 v55, v55, 10, 0x2000
	v_lshlrev_b32_e32 v54, 7, v54
	v_and_b32_e32 v56, 0x8000, v56
	v_and_b32_e32 v55, 0xfc00, v55
	v_or3_b32 v54, v56, v55, v54
.LBB277_240:                            ;   in Loop: Header=BB277_10 Depth=1
	s_or_b32 exec_lo, exec_lo, s41
.LBB277_241:                            ;   in Loop: Header=BB277_10 Depth=1
	s_or_b32 exec_lo, exec_lo, s40
.LBB277_242:                            ;   in Loop: Header=BB277_10 Depth=1
	s_or_b32 exec_lo, exec_lo, s3
	v_lshrrev_b16 v3, 8, v3
	s_mov_b32 s3, exec_lo
	v_cmpx_ne_u16_e32 0, v3
	s_cbranch_execz .LBB277_250
; %bb.243:                              ;   in Loop: Header=BB277_10 Depth=1
	v_bfrev_b32_e32 v53, 1
	s_mov_b32 s40, exec_lo
	v_cmpx_ne_u16_e32 0x80, v3
	s_cbranch_execz .LBB277_249
; %bb.244:                              ;   in Loop: Header=BB277_10 Depth=1
	v_and_b32_sdwa v56, v3, v20 dst_sel:DWORD dst_unused:UNUSED_PAD src0_sel:WORD_0 src1_sel:DWORD
	v_mov_b32_e32 v53, 0x7c010000
	s_mov_b32 s41, exec_lo
	v_cmpx_ne_u32_e32 0x7f, v56
	s_cbranch_execz .LBB277_248
; %bb.245:                              ;   in Loop: Header=BB277_10 Depth=1
	v_and_b32_sdwa v53, v3, v21 dst_sel:DWORD dst_unused:UNUSED_PAD src0_sel:WORD_0 src1_sel:DWORD
	v_lshrrev_b32_e32 v55, 3, v56
	s_mov_b32 s42, exec_lo
	v_cmpx_gt_u32_e32 8, v56
; %bb.246:                              ;   in Loop: Header=BB277_10 Depth=1
	v_ffbh_u32_e32 v53, v53
	v_min_u32_e32 v53, 32, v53
	v_subrev_nc_u32_e32 v55, 28, v53
	v_lshlrev_b64 v[56:57], v55, v[3:4]
	v_sub_nc_u32_e32 v55, 29, v53
	v_and_b32_e32 v53, 7, v56
; %bb.247:                              ;   in Loop: Header=BB277_10 Depth=1
	s_or_b32 exec_lo, exec_lo, s42
	v_lshlrev_b32_sdwa v3, v22, v3 dst_sel:DWORD dst_unused:UNUSED_PAD src0_sel:DWORD src1_sel:WORD_0
	v_lshl_add_u32 v55, v55, 10, 0x2000
	v_lshlrev_b32_e32 v53, 23, v53
	v_and_or_b32 v3, 0x8000, v3, v55
	v_lshl_or_b32 v53, v3, 16, v53
.LBB277_248:                            ;   in Loop: Header=BB277_10 Depth=1
	s_or_b32 exec_lo, exec_lo, s41
.LBB277_249:                            ;   in Loop: Header=BB277_10 Depth=1
	s_or_b32 exec_lo, exec_lo, s40
.LBB277_250:                            ;   in Loop: Header=BB277_10 Depth=1
	s_or_b32 exec_lo, exec_lo, s3
	global_load_ushort v56, v[9:10], off offset:904
	v_mov_b32_e32 v55, 0
	s_waitcnt vmcnt(0)
	v_and_b32_e32 v3, 0xffff, v56
	v_cmp_ne_u16_sdwa s2, v56, v4 src0_sel:BYTE_0 src1_sel:DWORD
	v_mov_b32_e32 v56, 0
	s_and_saveexec_b32 s3, s2
	s_cbranch_execz .LBB277_258
; %bb.251:                              ;   in Loop: Header=BB277_10 Depth=1
	v_cmp_ne_u16_sdwa s2, v3, v19 src0_sel:BYTE_0 src1_sel:DWORD
	v_mov_b32_e32 v56, 0x8000
	s_and_saveexec_b32 s40, s2
	s_cbranch_execz .LBB277_257
; %bb.252:                              ;   in Loop: Header=BB277_10 Depth=1
	v_and_b32_e32 v58, 0x7f, v3
	v_mov_b32_e32 v56, 0x7c01
	s_mov_b32 s41, exec_lo
	v_cmpx_ne_u32_e32 0x7f, v58
	s_cbranch_execz .LBB277_256
; %bb.253:                              ;   in Loop: Header=BB277_10 Depth=1
	v_and_b32_e32 v56, 7, v3
	v_lshrrev_b32_e32 v57, 3, v58
	s_mov_b32 s42, exec_lo
	v_cmpx_gt_u32_e32 8, v58
; %bb.254:                              ;   in Loop: Header=BB277_10 Depth=1
	v_ffbh_u32_e32 v56, v56
	v_min_u32_e32 v58, 32, v56
	v_subrev_nc_u32_e32 v56, 28, v58
	v_lshlrev_b64 v[56:57], v56, v[3:4]
	v_sub_nc_u32_e32 v57, 29, v58
	v_and_b32_e32 v56, 7, v56
; %bb.255:                              ;   in Loop: Header=BB277_10 Depth=1
	s_or_b32 exec_lo, exec_lo, s42
	v_lshlrev_b32_e32 v58, 8, v3
	v_lshl_add_u32 v57, v57, 10, 0x2000
	v_lshlrev_b32_e32 v56, 7, v56
	v_and_b32_e32 v58, 0x8000, v58
	v_and_b32_e32 v57, 0xfc00, v57
	v_or3_b32 v56, v58, v57, v56
.LBB277_256:                            ;   in Loop: Header=BB277_10 Depth=1
	s_or_b32 exec_lo, exec_lo, s41
.LBB277_257:                            ;   in Loop: Header=BB277_10 Depth=1
	s_or_b32 exec_lo, exec_lo, s40
.LBB277_258:                            ;   in Loop: Header=BB277_10 Depth=1
	s_or_b32 exec_lo, exec_lo, s3
	v_lshrrev_b16 v3, 8, v3
	s_mov_b32 s3, exec_lo
	v_cmpx_ne_u16_e32 0, v3
	s_cbranch_execz .LBB277_266
; %bb.259:                              ;   in Loop: Header=BB277_10 Depth=1
	v_bfrev_b32_e32 v55, 1
	s_mov_b32 s40, exec_lo
	v_cmpx_ne_u16_e32 0x80, v3
	s_cbranch_execz .LBB277_265
; %bb.260:                              ;   in Loop: Header=BB277_10 Depth=1
	v_and_b32_sdwa v58, v3, v20 dst_sel:DWORD dst_unused:UNUSED_PAD src0_sel:WORD_0 src1_sel:DWORD
	v_mov_b32_e32 v55, 0x7c010000
	s_mov_b32 s41, exec_lo
	v_cmpx_ne_u32_e32 0x7f, v58
	s_cbranch_execz .LBB277_264
; %bb.261:                              ;   in Loop: Header=BB277_10 Depth=1
	v_and_b32_sdwa v55, v3, v21 dst_sel:DWORD dst_unused:UNUSED_PAD src0_sel:WORD_0 src1_sel:DWORD
	v_lshrrev_b32_e32 v57, 3, v58
	s_mov_b32 s42, exec_lo
	v_cmpx_gt_u32_e32 8, v58
; %bb.262:                              ;   in Loop: Header=BB277_10 Depth=1
	v_ffbh_u32_e32 v55, v55
	v_min_u32_e32 v55, 32, v55
	v_subrev_nc_u32_e32 v57, 28, v55
	v_lshlrev_b64 v[58:59], v57, v[3:4]
	v_sub_nc_u32_e32 v57, 29, v55
	v_and_b32_e32 v55, 7, v58
; %bb.263:                              ;   in Loop: Header=BB277_10 Depth=1
	s_or_b32 exec_lo, exec_lo, s42
	v_lshlrev_b32_sdwa v3, v22, v3 dst_sel:DWORD dst_unused:UNUSED_PAD src0_sel:DWORD src1_sel:WORD_0
	v_lshl_add_u32 v57, v57, 10, 0x2000
	v_lshlrev_b32_e32 v55, 23, v55
	v_and_or_b32 v3, 0x8000, v3, v57
	v_lshl_or_b32 v55, v3, 16, v55
.LBB277_264:                            ;   in Loop: Header=BB277_10 Depth=1
	s_or_b32 exec_lo, exec_lo, s41
.LBB277_265:                            ;   in Loop: Header=BB277_10 Depth=1
	s_or_b32 exec_lo, exec_lo, s40
.LBB277_266:                            ;   in Loop: Header=BB277_10 Depth=1
	s_or_b32 exec_lo, exec_lo, s3
	global_load_ushort v58, v[9:10], off offset:1024
	v_mov_b32_e32 v57, 0
	s_waitcnt vmcnt(0)
	v_and_b32_e32 v3, 0xffff, v58
	v_cmp_ne_u16_sdwa s2, v58, v4 src0_sel:BYTE_0 src1_sel:DWORD
	v_mov_b32_e32 v58, 0
	s_and_saveexec_b32 s3, s2
	s_cbranch_execz .LBB277_274
; %bb.267:                              ;   in Loop: Header=BB277_10 Depth=1
	v_cmp_ne_u16_sdwa s2, v3, v19 src0_sel:BYTE_0 src1_sel:DWORD
	v_mov_b32_e32 v58, 0x8000
	s_and_saveexec_b32 s40, s2
	s_cbranch_execz .LBB277_273
; %bb.268:                              ;   in Loop: Header=BB277_10 Depth=1
	v_and_b32_e32 v60, 0x7f, v3
	v_mov_b32_e32 v58, 0x7c01
	s_mov_b32 s41, exec_lo
	v_cmpx_ne_u32_e32 0x7f, v60
	s_cbranch_execz .LBB277_272
; %bb.269:                              ;   in Loop: Header=BB277_10 Depth=1
	v_and_b32_e32 v58, 7, v3
	v_lshrrev_b32_e32 v59, 3, v60
	s_mov_b32 s42, exec_lo
	v_cmpx_gt_u32_e32 8, v60
; %bb.270:                              ;   in Loop: Header=BB277_10 Depth=1
	v_ffbh_u32_e32 v58, v58
	v_min_u32_e32 v60, 32, v58
	v_subrev_nc_u32_e32 v58, 28, v60
	v_lshlrev_b64 v[58:59], v58, v[3:4]
	v_sub_nc_u32_e32 v59, 29, v60
	v_and_b32_e32 v58, 7, v58
; %bb.271:                              ;   in Loop: Header=BB277_10 Depth=1
	s_or_b32 exec_lo, exec_lo, s42
	v_lshlrev_b32_e32 v60, 8, v3
	v_lshl_add_u32 v59, v59, 10, 0x2000
	v_lshlrev_b32_e32 v58, 7, v58
	v_and_b32_e32 v60, 0x8000, v60
	v_and_b32_e32 v59, 0xfc00, v59
	v_or3_b32 v58, v60, v59, v58
.LBB277_272:                            ;   in Loop: Header=BB277_10 Depth=1
	s_or_b32 exec_lo, exec_lo, s41
.LBB277_273:                            ;   in Loop: Header=BB277_10 Depth=1
	s_or_b32 exec_lo, exec_lo, s40
.LBB277_274:                            ;   in Loop: Header=BB277_10 Depth=1
	s_or_b32 exec_lo, exec_lo, s3
	v_lshrrev_b16 v3, 8, v3
	s_mov_b32 s3, exec_lo
	v_cmpx_ne_u16_e32 0, v3
	s_cbranch_execz .LBB277_282
; %bb.275:                              ;   in Loop: Header=BB277_10 Depth=1
	v_bfrev_b32_e32 v57, 1
	s_mov_b32 s40, exec_lo
	v_cmpx_ne_u16_e32 0x80, v3
	s_cbranch_execz .LBB277_281
; %bb.276:                              ;   in Loop: Header=BB277_10 Depth=1
	v_and_b32_sdwa v60, v3, v20 dst_sel:DWORD dst_unused:UNUSED_PAD src0_sel:WORD_0 src1_sel:DWORD
	v_mov_b32_e32 v57, 0x7c010000
	s_mov_b32 s41, exec_lo
	v_cmpx_ne_u32_e32 0x7f, v60
	s_cbranch_execz .LBB277_280
; %bb.277:                              ;   in Loop: Header=BB277_10 Depth=1
	v_and_b32_sdwa v57, v3, v21 dst_sel:DWORD dst_unused:UNUSED_PAD src0_sel:WORD_0 src1_sel:DWORD
	v_lshrrev_b32_e32 v59, 3, v60
	s_mov_b32 s42, exec_lo
	v_cmpx_gt_u32_e32 8, v60
; %bb.278:                              ;   in Loop: Header=BB277_10 Depth=1
	v_ffbh_u32_e32 v57, v57
	v_min_u32_e32 v57, 32, v57
	v_subrev_nc_u32_e32 v59, 28, v57
	v_lshlrev_b64 v[60:61], v59, v[3:4]
	v_sub_nc_u32_e32 v59, 29, v57
	v_and_b32_e32 v57, 7, v60
; %bb.279:                              ;   in Loop: Header=BB277_10 Depth=1
	s_or_b32 exec_lo, exec_lo, s42
	v_lshlrev_b32_sdwa v3, v22, v3 dst_sel:DWORD dst_unused:UNUSED_PAD src0_sel:DWORD src1_sel:WORD_0
	v_lshl_add_u32 v59, v59, 10, 0x2000
	v_lshlrev_b32_e32 v57, 23, v57
	v_and_or_b32 v3, 0x8000, v3, v59
	v_lshl_or_b32 v57, v3, 16, v57
.LBB277_280:                            ;   in Loop: Header=BB277_10 Depth=1
	s_or_b32 exec_lo, exec_lo, s41
.LBB277_281:                            ;   in Loop: Header=BB277_10 Depth=1
	s_or_b32 exec_lo, exec_lo, s40
.LBB277_282:                            ;   in Loop: Header=BB277_10 Depth=1
	s_or_b32 exec_lo, exec_lo, s3
	global_load_ushort v60, v[9:10], off offset:1032
	v_mov_b32_e32 v59, 0
	s_waitcnt vmcnt(0)
	v_and_b32_e32 v3, 0xffff, v60
	v_cmp_ne_u16_sdwa s2, v60, v4 src0_sel:BYTE_0 src1_sel:DWORD
	v_mov_b32_e32 v60, 0
	s_and_saveexec_b32 s3, s2
	s_cbranch_execz .LBB277_290
; %bb.283:                              ;   in Loop: Header=BB277_10 Depth=1
	v_cmp_ne_u16_sdwa s2, v3, v19 src0_sel:BYTE_0 src1_sel:DWORD
	v_mov_b32_e32 v60, 0x8000
	s_and_saveexec_b32 s40, s2
	s_cbranch_execz .LBB277_289
; %bb.284:                              ;   in Loop: Header=BB277_10 Depth=1
	v_and_b32_e32 v62, 0x7f, v3
	v_mov_b32_e32 v60, 0x7c01
	s_mov_b32 s41, exec_lo
	v_cmpx_ne_u32_e32 0x7f, v62
	s_cbranch_execz .LBB277_288
; %bb.285:                              ;   in Loop: Header=BB277_10 Depth=1
	v_and_b32_e32 v60, 7, v3
	v_lshrrev_b32_e32 v61, 3, v62
	s_mov_b32 s42, exec_lo
	v_cmpx_gt_u32_e32 8, v62
; %bb.286:                              ;   in Loop: Header=BB277_10 Depth=1
	v_ffbh_u32_e32 v60, v60
	v_min_u32_e32 v62, 32, v60
	v_subrev_nc_u32_e32 v60, 28, v62
	v_lshlrev_b64 v[60:61], v60, v[3:4]
	v_sub_nc_u32_e32 v61, 29, v62
	v_and_b32_e32 v60, 7, v60
; %bb.287:                              ;   in Loop: Header=BB277_10 Depth=1
	s_or_b32 exec_lo, exec_lo, s42
	v_lshlrev_b32_e32 v62, 8, v3
	v_lshl_add_u32 v61, v61, 10, 0x2000
	v_lshlrev_b32_e32 v60, 7, v60
	v_and_b32_e32 v62, 0x8000, v62
	v_and_b32_e32 v61, 0xfc00, v61
	v_or3_b32 v60, v62, v61, v60
.LBB277_288:                            ;   in Loop: Header=BB277_10 Depth=1
	s_or_b32 exec_lo, exec_lo, s41
.LBB277_289:                            ;   in Loop: Header=BB277_10 Depth=1
	s_or_b32 exec_lo, exec_lo, s40
.LBB277_290:                            ;   in Loop: Header=BB277_10 Depth=1
	s_or_b32 exec_lo, exec_lo, s3
	v_lshrrev_b16 v3, 8, v3
	s_mov_b32 s3, exec_lo
	v_cmpx_ne_u16_e32 0, v3
	s_cbranch_execz .LBB277_298
; %bb.291:                              ;   in Loop: Header=BB277_10 Depth=1
	v_bfrev_b32_e32 v59, 1
	s_mov_b32 s40, exec_lo
	v_cmpx_ne_u16_e32 0x80, v3
	s_cbranch_execz .LBB277_297
; %bb.292:                              ;   in Loop: Header=BB277_10 Depth=1
	v_and_b32_sdwa v62, v3, v20 dst_sel:DWORD dst_unused:UNUSED_PAD src0_sel:WORD_0 src1_sel:DWORD
	v_mov_b32_e32 v59, 0x7c010000
	s_mov_b32 s41, exec_lo
	v_cmpx_ne_u32_e32 0x7f, v62
	s_cbranch_execz .LBB277_296
; %bb.293:                              ;   in Loop: Header=BB277_10 Depth=1
	v_and_b32_sdwa v59, v3, v21 dst_sel:DWORD dst_unused:UNUSED_PAD src0_sel:WORD_0 src1_sel:DWORD
	v_lshrrev_b32_e32 v61, 3, v62
	s_mov_b32 s42, exec_lo
	v_cmpx_gt_u32_e32 8, v62
; %bb.294:                              ;   in Loop: Header=BB277_10 Depth=1
	v_ffbh_u32_e32 v59, v59
	v_min_u32_e32 v59, 32, v59
	v_subrev_nc_u32_e32 v61, 28, v59
	v_lshlrev_b64 v[62:63], v61, v[3:4]
	v_sub_nc_u32_e32 v61, 29, v59
	v_and_b32_e32 v59, 7, v62
; %bb.295:                              ;   in Loop: Header=BB277_10 Depth=1
	s_or_b32 exec_lo, exec_lo, s42
	v_lshlrev_b32_sdwa v3, v22, v3 dst_sel:DWORD dst_unused:UNUSED_PAD src0_sel:DWORD src1_sel:WORD_0
	v_lshl_add_u32 v61, v61, 10, 0x2000
	v_lshlrev_b32_e32 v59, 23, v59
	v_and_or_b32 v3, 0x8000, v3, v61
	v_lshl_or_b32 v59, v3, 16, v59
.LBB277_296:                            ;   in Loop: Header=BB277_10 Depth=1
	s_or_b32 exec_lo, exec_lo, s41
.LBB277_297:                            ;   in Loop: Header=BB277_10 Depth=1
	s_or_b32 exec_lo, exec_lo, s40
.LBB277_298:                            ;   in Loop: Header=BB277_10 Depth=1
	s_or_b32 exec_lo, exec_lo, s3
	global_load_ushort v62, v[9:10], off offset:1152
	v_mov_b32_e32 v61, 0
	s_waitcnt vmcnt(0)
	v_and_b32_e32 v3, 0xffff, v62
	v_cmp_ne_u16_sdwa s2, v62, v4 src0_sel:BYTE_0 src1_sel:DWORD
	v_mov_b32_e32 v62, 0
	s_and_saveexec_b32 s3, s2
	s_cbranch_execz .LBB277_306
; %bb.299:                              ;   in Loop: Header=BB277_10 Depth=1
	v_cmp_ne_u16_sdwa s2, v3, v19 src0_sel:BYTE_0 src1_sel:DWORD
	v_mov_b32_e32 v62, 0x8000
	s_and_saveexec_b32 s40, s2
	s_cbranch_execz .LBB277_305
; %bb.300:                              ;   in Loop: Header=BB277_10 Depth=1
	v_and_b32_e32 v64, 0x7f, v3
	v_mov_b32_e32 v62, 0x7c01
	s_mov_b32 s41, exec_lo
	v_cmpx_ne_u32_e32 0x7f, v64
	s_cbranch_execz .LBB277_304
; %bb.301:                              ;   in Loop: Header=BB277_10 Depth=1
	v_and_b32_e32 v62, 7, v3
	v_lshrrev_b32_e32 v63, 3, v64
	s_mov_b32 s42, exec_lo
	v_cmpx_gt_u32_e32 8, v64
; %bb.302:                              ;   in Loop: Header=BB277_10 Depth=1
	v_ffbh_u32_e32 v62, v62
	v_min_u32_e32 v64, 32, v62
	v_subrev_nc_u32_e32 v62, 28, v64
	v_lshlrev_b64 v[62:63], v62, v[3:4]
	v_sub_nc_u32_e32 v63, 29, v64
	v_and_b32_e32 v62, 7, v62
; %bb.303:                              ;   in Loop: Header=BB277_10 Depth=1
	s_or_b32 exec_lo, exec_lo, s42
	v_lshlrev_b32_e32 v64, 8, v3
	v_lshl_add_u32 v63, v63, 10, 0x2000
	v_lshlrev_b32_e32 v62, 7, v62
	v_and_b32_e32 v64, 0x8000, v64
	v_and_b32_e32 v63, 0xfc00, v63
	v_or3_b32 v62, v64, v63, v62
.LBB277_304:                            ;   in Loop: Header=BB277_10 Depth=1
	s_or_b32 exec_lo, exec_lo, s41
.LBB277_305:                            ;   in Loop: Header=BB277_10 Depth=1
	s_or_b32 exec_lo, exec_lo, s40
.LBB277_306:                            ;   in Loop: Header=BB277_10 Depth=1
	s_or_b32 exec_lo, exec_lo, s3
	v_lshrrev_b16 v3, 8, v3
	s_mov_b32 s3, exec_lo
	v_cmpx_ne_u16_e32 0, v3
	s_cbranch_execz .LBB277_314
; %bb.307:                              ;   in Loop: Header=BB277_10 Depth=1
	v_bfrev_b32_e32 v61, 1
	s_mov_b32 s40, exec_lo
	v_cmpx_ne_u16_e32 0x80, v3
	s_cbranch_execz .LBB277_313
; %bb.308:                              ;   in Loop: Header=BB277_10 Depth=1
	v_and_b32_sdwa v64, v3, v20 dst_sel:DWORD dst_unused:UNUSED_PAD src0_sel:WORD_0 src1_sel:DWORD
	v_mov_b32_e32 v61, 0x7c010000
	s_mov_b32 s41, exec_lo
	v_cmpx_ne_u32_e32 0x7f, v64
	s_cbranch_execz .LBB277_312
; %bb.309:                              ;   in Loop: Header=BB277_10 Depth=1
	v_and_b32_sdwa v61, v3, v21 dst_sel:DWORD dst_unused:UNUSED_PAD src0_sel:WORD_0 src1_sel:DWORD
	v_lshrrev_b32_e32 v63, 3, v64
	s_mov_b32 s42, exec_lo
	v_cmpx_gt_u32_e32 8, v64
; %bb.310:                              ;   in Loop: Header=BB277_10 Depth=1
	v_ffbh_u32_e32 v61, v61
	v_min_u32_e32 v61, 32, v61
	v_subrev_nc_u32_e32 v63, 28, v61
	v_lshlrev_b64 v[64:65], v63, v[3:4]
	v_sub_nc_u32_e32 v63, 29, v61
	v_and_b32_e32 v61, 7, v64
; %bb.311:                              ;   in Loop: Header=BB277_10 Depth=1
	s_or_b32 exec_lo, exec_lo, s42
	v_lshlrev_b32_sdwa v3, v22, v3 dst_sel:DWORD dst_unused:UNUSED_PAD src0_sel:DWORD src1_sel:WORD_0
	v_lshl_add_u32 v63, v63, 10, 0x2000
	v_lshlrev_b32_e32 v61, 23, v61
	v_and_or_b32 v3, 0x8000, v3, v63
	v_lshl_or_b32 v61, v3, 16, v61
.LBB277_312:                            ;   in Loop: Header=BB277_10 Depth=1
	s_or_b32 exec_lo, exec_lo, s41
.LBB277_313:                            ;   in Loop: Header=BB277_10 Depth=1
	s_or_b32 exec_lo, exec_lo, s40
.LBB277_314:                            ;   in Loop: Header=BB277_10 Depth=1
	s_or_b32 exec_lo, exec_lo, s3
	global_load_ushort v64, v[9:10], off offset:1160
	v_mov_b32_e32 v63, 0
	s_waitcnt vmcnt(0)
	v_and_b32_e32 v3, 0xffff, v64
	v_cmp_ne_u16_sdwa s2, v64, v4 src0_sel:BYTE_0 src1_sel:DWORD
	v_mov_b32_e32 v64, 0
	s_and_saveexec_b32 s3, s2
	s_cbranch_execz .LBB277_322
; %bb.315:                              ;   in Loop: Header=BB277_10 Depth=1
	v_cmp_ne_u16_sdwa s2, v3, v19 src0_sel:BYTE_0 src1_sel:DWORD
	v_mov_b32_e32 v64, 0x8000
	s_and_saveexec_b32 s40, s2
	s_cbranch_execz .LBB277_321
; %bb.316:                              ;   in Loop: Header=BB277_10 Depth=1
	v_and_b32_e32 v66, 0x7f, v3
	v_mov_b32_e32 v64, 0x7c01
	s_mov_b32 s41, exec_lo
	v_cmpx_ne_u32_e32 0x7f, v66
	s_cbranch_execz .LBB277_320
; %bb.317:                              ;   in Loop: Header=BB277_10 Depth=1
	v_and_b32_e32 v64, 7, v3
	v_lshrrev_b32_e32 v65, 3, v66
	s_mov_b32 s42, exec_lo
	v_cmpx_gt_u32_e32 8, v66
; %bb.318:                              ;   in Loop: Header=BB277_10 Depth=1
	v_ffbh_u32_e32 v64, v64
	v_min_u32_e32 v66, 32, v64
	v_subrev_nc_u32_e32 v64, 28, v66
	v_lshlrev_b64 v[64:65], v64, v[3:4]
	v_sub_nc_u32_e32 v65, 29, v66
	v_and_b32_e32 v64, 7, v64
; %bb.319:                              ;   in Loop: Header=BB277_10 Depth=1
	s_or_b32 exec_lo, exec_lo, s42
	v_lshlrev_b32_e32 v66, 8, v3
	v_lshl_add_u32 v65, v65, 10, 0x2000
	v_lshlrev_b32_e32 v64, 7, v64
	v_and_b32_e32 v66, 0x8000, v66
	v_and_b32_e32 v65, 0xfc00, v65
	v_or3_b32 v64, v66, v65, v64
.LBB277_320:                            ;   in Loop: Header=BB277_10 Depth=1
	s_or_b32 exec_lo, exec_lo, s41
.LBB277_321:                            ;   in Loop: Header=BB277_10 Depth=1
	s_or_b32 exec_lo, exec_lo, s40
.LBB277_322:                            ;   in Loop: Header=BB277_10 Depth=1
	s_or_b32 exec_lo, exec_lo, s3
	v_lshrrev_b16 v3, 8, v3
	s_mov_b32 s3, exec_lo
	v_cmpx_ne_u16_e32 0, v3
	s_cbranch_execz .LBB277_330
; %bb.323:                              ;   in Loop: Header=BB277_10 Depth=1
	v_bfrev_b32_e32 v63, 1
	s_mov_b32 s40, exec_lo
	v_cmpx_ne_u16_e32 0x80, v3
	s_cbranch_execz .LBB277_329
; %bb.324:                              ;   in Loop: Header=BB277_10 Depth=1
	v_and_b32_sdwa v66, v3, v20 dst_sel:DWORD dst_unused:UNUSED_PAD src0_sel:WORD_0 src1_sel:DWORD
	v_mov_b32_e32 v63, 0x7c010000
	s_mov_b32 s41, exec_lo
	v_cmpx_ne_u32_e32 0x7f, v66
	s_cbranch_execz .LBB277_328
; %bb.325:                              ;   in Loop: Header=BB277_10 Depth=1
	v_and_b32_sdwa v63, v3, v21 dst_sel:DWORD dst_unused:UNUSED_PAD src0_sel:WORD_0 src1_sel:DWORD
	v_lshrrev_b32_e32 v65, 3, v66
	s_mov_b32 s42, exec_lo
	v_cmpx_gt_u32_e32 8, v66
; %bb.326:                              ;   in Loop: Header=BB277_10 Depth=1
	v_ffbh_u32_e32 v63, v63
	v_min_u32_e32 v63, 32, v63
	v_subrev_nc_u32_e32 v65, 28, v63
	v_lshlrev_b64 v[66:67], v65, v[3:4]
	v_sub_nc_u32_e32 v65, 29, v63
	v_and_b32_e32 v63, 7, v66
; %bb.327:                              ;   in Loop: Header=BB277_10 Depth=1
	s_or_b32 exec_lo, exec_lo, s42
	v_lshlrev_b32_sdwa v3, v22, v3 dst_sel:DWORD dst_unused:UNUSED_PAD src0_sel:DWORD src1_sel:WORD_0
	v_lshl_add_u32 v65, v65, 10, 0x2000
	v_lshlrev_b32_e32 v63, 23, v63
	v_and_or_b32 v3, 0x8000, v3, v65
	v_lshl_or_b32 v63, v3, 16, v63
.LBB277_328:                            ;   in Loop: Header=BB277_10 Depth=1
	s_or_b32 exec_lo, exec_lo, s41
.LBB277_329:                            ;   in Loop: Header=BB277_10 Depth=1
	s_or_b32 exec_lo, exec_lo, s40
.LBB277_330:                            ;   in Loop: Header=BB277_10 Depth=1
	s_or_b32 exec_lo, exec_lo, s3
	global_load_ushort v66, v[9:10], off offset:1280
	v_mov_b32_e32 v65, 0
	s_waitcnt vmcnt(0)
	v_and_b32_e32 v3, 0xffff, v66
	v_cmp_ne_u16_sdwa s2, v66, v4 src0_sel:BYTE_0 src1_sel:DWORD
	v_mov_b32_e32 v66, 0
	s_and_saveexec_b32 s3, s2
	s_cbranch_execz .LBB277_338
; %bb.331:                              ;   in Loop: Header=BB277_10 Depth=1
	v_cmp_ne_u16_sdwa s2, v3, v19 src0_sel:BYTE_0 src1_sel:DWORD
	v_mov_b32_e32 v66, 0x8000
	s_and_saveexec_b32 s40, s2
	s_cbranch_execz .LBB277_337
; %bb.332:                              ;   in Loop: Header=BB277_10 Depth=1
	v_and_b32_e32 v68, 0x7f, v3
	v_mov_b32_e32 v66, 0x7c01
	s_mov_b32 s41, exec_lo
	v_cmpx_ne_u32_e32 0x7f, v68
	s_cbranch_execz .LBB277_336
; %bb.333:                              ;   in Loop: Header=BB277_10 Depth=1
	v_and_b32_e32 v66, 7, v3
	v_lshrrev_b32_e32 v67, 3, v68
	s_mov_b32 s42, exec_lo
	v_cmpx_gt_u32_e32 8, v68
; %bb.334:                              ;   in Loop: Header=BB277_10 Depth=1
	v_ffbh_u32_e32 v66, v66
	v_min_u32_e32 v68, 32, v66
	v_subrev_nc_u32_e32 v66, 28, v68
	v_lshlrev_b64 v[66:67], v66, v[3:4]
	v_sub_nc_u32_e32 v67, 29, v68
	v_and_b32_e32 v66, 7, v66
; %bb.335:                              ;   in Loop: Header=BB277_10 Depth=1
	s_or_b32 exec_lo, exec_lo, s42
	v_lshlrev_b32_e32 v68, 8, v3
	v_lshl_add_u32 v67, v67, 10, 0x2000
	v_lshlrev_b32_e32 v66, 7, v66
	v_and_b32_e32 v68, 0x8000, v68
	v_and_b32_e32 v67, 0xfc00, v67
	v_or3_b32 v66, v68, v67, v66
.LBB277_336:                            ;   in Loop: Header=BB277_10 Depth=1
	s_or_b32 exec_lo, exec_lo, s41
.LBB277_337:                            ;   in Loop: Header=BB277_10 Depth=1
	s_or_b32 exec_lo, exec_lo, s40
.LBB277_338:                            ;   in Loop: Header=BB277_10 Depth=1
	s_or_b32 exec_lo, exec_lo, s3
	v_lshrrev_b16 v3, 8, v3
	s_mov_b32 s3, exec_lo
	v_cmpx_ne_u16_e32 0, v3
	s_cbranch_execz .LBB277_346
; %bb.339:                              ;   in Loop: Header=BB277_10 Depth=1
	v_bfrev_b32_e32 v65, 1
	s_mov_b32 s40, exec_lo
	v_cmpx_ne_u16_e32 0x80, v3
	s_cbranch_execz .LBB277_345
; %bb.340:                              ;   in Loop: Header=BB277_10 Depth=1
	v_and_b32_sdwa v68, v3, v20 dst_sel:DWORD dst_unused:UNUSED_PAD src0_sel:WORD_0 src1_sel:DWORD
	v_mov_b32_e32 v65, 0x7c010000
	s_mov_b32 s41, exec_lo
	v_cmpx_ne_u32_e32 0x7f, v68
	s_cbranch_execz .LBB277_344
; %bb.341:                              ;   in Loop: Header=BB277_10 Depth=1
	v_and_b32_sdwa v65, v3, v21 dst_sel:DWORD dst_unused:UNUSED_PAD src0_sel:WORD_0 src1_sel:DWORD
	v_lshrrev_b32_e32 v67, 3, v68
	s_mov_b32 s42, exec_lo
	v_cmpx_gt_u32_e32 8, v68
; %bb.342:                              ;   in Loop: Header=BB277_10 Depth=1
	v_ffbh_u32_e32 v65, v65
	v_min_u32_e32 v65, 32, v65
	v_subrev_nc_u32_e32 v67, 28, v65
	v_lshlrev_b64 v[68:69], v67, v[3:4]
	v_sub_nc_u32_e32 v67, 29, v65
	v_and_b32_e32 v65, 7, v68
; %bb.343:                              ;   in Loop: Header=BB277_10 Depth=1
	s_or_b32 exec_lo, exec_lo, s42
	v_lshlrev_b32_sdwa v3, v22, v3 dst_sel:DWORD dst_unused:UNUSED_PAD src0_sel:DWORD src1_sel:WORD_0
	v_lshl_add_u32 v67, v67, 10, 0x2000
	v_lshlrev_b32_e32 v65, 23, v65
	v_and_or_b32 v3, 0x8000, v3, v67
	v_lshl_or_b32 v65, v3, 16, v65
.LBB277_344:                            ;   in Loop: Header=BB277_10 Depth=1
	s_or_b32 exec_lo, exec_lo, s41
.LBB277_345:                            ;   in Loop: Header=BB277_10 Depth=1
	s_or_b32 exec_lo, exec_lo, s40
.LBB277_346:                            ;   in Loop: Header=BB277_10 Depth=1
	s_or_b32 exec_lo, exec_lo, s3
	global_load_ushort v68, v[9:10], off offset:1288
	v_mov_b32_e32 v67, 0
	s_waitcnt vmcnt(0)
	v_and_b32_e32 v3, 0xffff, v68
	v_cmp_ne_u16_sdwa s2, v68, v4 src0_sel:BYTE_0 src1_sel:DWORD
	v_mov_b32_e32 v68, 0
	s_and_saveexec_b32 s3, s2
	s_cbranch_execz .LBB277_354
; %bb.347:                              ;   in Loop: Header=BB277_10 Depth=1
	v_cmp_ne_u16_sdwa s2, v3, v19 src0_sel:BYTE_0 src1_sel:DWORD
	v_mov_b32_e32 v68, 0x8000
	s_and_saveexec_b32 s40, s2
	s_cbranch_execz .LBB277_353
; %bb.348:                              ;   in Loop: Header=BB277_10 Depth=1
	v_and_b32_e32 v70, 0x7f, v3
	v_mov_b32_e32 v68, 0x7c01
	s_mov_b32 s41, exec_lo
	v_cmpx_ne_u32_e32 0x7f, v70
	s_cbranch_execz .LBB277_352
; %bb.349:                              ;   in Loop: Header=BB277_10 Depth=1
	v_and_b32_e32 v68, 7, v3
	v_lshrrev_b32_e32 v69, 3, v70
	s_mov_b32 s42, exec_lo
	v_cmpx_gt_u32_e32 8, v70
; %bb.350:                              ;   in Loop: Header=BB277_10 Depth=1
	v_ffbh_u32_e32 v68, v68
	v_min_u32_e32 v70, 32, v68
	v_subrev_nc_u32_e32 v68, 28, v70
	v_lshlrev_b64 v[68:69], v68, v[3:4]
	v_sub_nc_u32_e32 v69, 29, v70
	v_and_b32_e32 v68, 7, v68
; %bb.351:                              ;   in Loop: Header=BB277_10 Depth=1
	s_or_b32 exec_lo, exec_lo, s42
	v_lshlrev_b32_e32 v70, 8, v3
	v_lshl_add_u32 v69, v69, 10, 0x2000
	v_lshlrev_b32_e32 v68, 7, v68
	v_and_b32_e32 v70, 0x8000, v70
	v_and_b32_e32 v69, 0xfc00, v69
	v_or3_b32 v68, v70, v69, v68
.LBB277_352:                            ;   in Loop: Header=BB277_10 Depth=1
	s_or_b32 exec_lo, exec_lo, s41
.LBB277_353:                            ;   in Loop: Header=BB277_10 Depth=1
	s_or_b32 exec_lo, exec_lo, s40
.LBB277_354:                            ;   in Loop: Header=BB277_10 Depth=1
	s_or_b32 exec_lo, exec_lo, s3
	v_lshrrev_b16 v3, 8, v3
	s_mov_b32 s3, exec_lo
	v_cmpx_ne_u16_e32 0, v3
	s_cbranch_execz .LBB277_362
; %bb.355:                              ;   in Loop: Header=BB277_10 Depth=1
	v_bfrev_b32_e32 v67, 1
	s_mov_b32 s40, exec_lo
	v_cmpx_ne_u16_e32 0x80, v3
	s_cbranch_execz .LBB277_361
; %bb.356:                              ;   in Loop: Header=BB277_10 Depth=1
	v_and_b32_sdwa v70, v3, v20 dst_sel:DWORD dst_unused:UNUSED_PAD src0_sel:WORD_0 src1_sel:DWORD
	v_mov_b32_e32 v67, 0x7c010000
	s_mov_b32 s41, exec_lo
	v_cmpx_ne_u32_e32 0x7f, v70
	s_cbranch_execz .LBB277_360
; %bb.357:                              ;   in Loop: Header=BB277_10 Depth=1
	v_and_b32_sdwa v67, v3, v21 dst_sel:DWORD dst_unused:UNUSED_PAD src0_sel:WORD_0 src1_sel:DWORD
	v_lshrrev_b32_e32 v69, 3, v70
	s_mov_b32 s42, exec_lo
	v_cmpx_gt_u32_e32 8, v70
; %bb.358:                              ;   in Loop: Header=BB277_10 Depth=1
	v_ffbh_u32_e32 v67, v67
	v_min_u32_e32 v67, 32, v67
	v_subrev_nc_u32_e32 v69, 28, v67
	v_lshlrev_b64 v[70:71], v69, v[3:4]
	v_sub_nc_u32_e32 v69, 29, v67
	v_and_b32_e32 v67, 7, v70
; %bb.359:                              ;   in Loop: Header=BB277_10 Depth=1
	s_or_b32 exec_lo, exec_lo, s42
	v_lshlrev_b32_sdwa v3, v22, v3 dst_sel:DWORD dst_unused:UNUSED_PAD src0_sel:DWORD src1_sel:WORD_0
	v_lshl_add_u32 v69, v69, 10, 0x2000
	v_lshlrev_b32_e32 v67, 23, v67
	v_and_or_b32 v3, 0x8000, v3, v69
	v_lshl_or_b32 v67, v3, 16, v67
.LBB277_360:                            ;   in Loop: Header=BB277_10 Depth=1
	s_or_b32 exec_lo, exec_lo, s41
.LBB277_361:                            ;   in Loop: Header=BB277_10 Depth=1
	s_or_b32 exec_lo, exec_lo, s40
.LBB277_362:                            ;   in Loop: Header=BB277_10 Depth=1
	s_or_b32 exec_lo, exec_lo, s3
	global_load_ushort v70, v[9:10], off offset:1408
	v_mov_b32_e32 v69, 0
	s_waitcnt vmcnt(0)
	v_and_b32_e32 v3, 0xffff, v70
	v_cmp_ne_u16_sdwa s2, v70, v4 src0_sel:BYTE_0 src1_sel:DWORD
	v_mov_b32_e32 v70, 0
	s_and_saveexec_b32 s3, s2
	s_cbranch_execz .LBB277_370
; %bb.363:                              ;   in Loop: Header=BB277_10 Depth=1
	v_cmp_ne_u16_sdwa s2, v3, v19 src0_sel:BYTE_0 src1_sel:DWORD
	v_mov_b32_e32 v70, 0x8000
	s_and_saveexec_b32 s40, s2
	s_cbranch_execz .LBB277_369
; %bb.364:                              ;   in Loop: Header=BB277_10 Depth=1
	v_and_b32_e32 v72, 0x7f, v3
	v_mov_b32_e32 v70, 0x7c01
	s_mov_b32 s41, exec_lo
	v_cmpx_ne_u32_e32 0x7f, v72
	s_cbranch_execz .LBB277_368
; %bb.365:                              ;   in Loop: Header=BB277_10 Depth=1
	v_and_b32_e32 v70, 7, v3
	v_lshrrev_b32_e32 v71, 3, v72
	s_mov_b32 s42, exec_lo
	v_cmpx_gt_u32_e32 8, v72
; %bb.366:                              ;   in Loop: Header=BB277_10 Depth=1
	v_ffbh_u32_e32 v70, v70
	v_min_u32_e32 v72, 32, v70
	v_subrev_nc_u32_e32 v70, 28, v72
	v_lshlrev_b64 v[70:71], v70, v[3:4]
	v_sub_nc_u32_e32 v71, 29, v72
	v_and_b32_e32 v70, 7, v70
; %bb.367:                              ;   in Loop: Header=BB277_10 Depth=1
	s_or_b32 exec_lo, exec_lo, s42
	v_lshlrev_b32_e32 v72, 8, v3
	v_lshl_add_u32 v71, v71, 10, 0x2000
	v_lshlrev_b32_e32 v70, 7, v70
	v_and_b32_e32 v72, 0x8000, v72
	v_and_b32_e32 v71, 0xfc00, v71
	v_or3_b32 v70, v72, v71, v70
.LBB277_368:                            ;   in Loop: Header=BB277_10 Depth=1
	s_or_b32 exec_lo, exec_lo, s41
.LBB277_369:                            ;   in Loop: Header=BB277_10 Depth=1
	s_or_b32 exec_lo, exec_lo, s40
.LBB277_370:                            ;   in Loop: Header=BB277_10 Depth=1
	s_or_b32 exec_lo, exec_lo, s3
	v_lshrrev_b16 v3, 8, v3
	s_mov_b32 s3, exec_lo
	v_cmpx_ne_u16_e32 0, v3
	s_cbranch_execz .LBB277_378
; %bb.371:                              ;   in Loop: Header=BB277_10 Depth=1
	v_bfrev_b32_e32 v69, 1
	s_mov_b32 s40, exec_lo
	v_cmpx_ne_u16_e32 0x80, v3
	s_cbranch_execz .LBB277_377
; %bb.372:                              ;   in Loop: Header=BB277_10 Depth=1
	v_and_b32_sdwa v72, v3, v20 dst_sel:DWORD dst_unused:UNUSED_PAD src0_sel:WORD_0 src1_sel:DWORD
	v_mov_b32_e32 v69, 0x7c010000
	s_mov_b32 s41, exec_lo
	v_cmpx_ne_u32_e32 0x7f, v72
	s_cbranch_execz .LBB277_376
; %bb.373:                              ;   in Loop: Header=BB277_10 Depth=1
	v_and_b32_sdwa v69, v3, v21 dst_sel:DWORD dst_unused:UNUSED_PAD src0_sel:WORD_0 src1_sel:DWORD
	v_lshrrev_b32_e32 v71, 3, v72
	s_mov_b32 s42, exec_lo
	v_cmpx_gt_u32_e32 8, v72
; %bb.374:                              ;   in Loop: Header=BB277_10 Depth=1
	v_ffbh_u32_e32 v69, v69
	v_min_u32_e32 v69, 32, v69
	v_subrev_nc_u32_e32 v71, 28, v69
	v_lshlrev_b64 v[72:73], v71, v[3:4]
	v_sub_nc_u32_e32 v71, 29, v69
	v_and_b32_e32 v69, 7, v72
; %bb.375:                              ;   in Loop: Header=BB277_10 Depth=1
	s_or_b32 exec_lo, exec_lo, s42
	v_lshlrev_b32_sdwa v3, v22, v3 dst_sel:DWORD dst_unused:UNUSED_PAD src0_sel:DWORD src1_sel:WORD_0
	v_lshl_add_u32 v71, v71, 10, 0x2000
	v_lshlrev_b32_e32 v69, 23, v69
	v_and_or_b32 v3, 0x8000, v3, v71
	v_lshl_or_b32 v69, v3, 16, v69
.LBB277_376:                            ;   in Loop: Header=BB277_10 Depth=1
	s_or_b32 exec_lo, exec_lo, s41
.LBB277_377:                            ;   in Loop: Header=BB277_10 Depth=1
	s_or_b32 exec_lo, exec_lo, s40
.LBB277_378:                            ;   in Loop: Header=BB277_10 Depth=1
	s_or_b32 exec_lo, exec_lo, s3
	global_load_ushort v10, v[9:10], off offset:1416
	v_mov_b32_e32 v9, 0
	s_waitcnt vmcnt(0)
	v_and_b32_e32 v3, 0xffff, v10
	v_cmp_ne_u16_sdwa s2, v10, v4 src0_sel:BYTE_0 src1_sel:DWORD
	v_mov_b32_e32 v10, 0
	s_and_saveexec_b32 s3, s2
	s_cbranch_execz .LBB277_386
; %bb.379:                              ;   in Loop: Header=BB277_10 Depth=1
	v_cmp_ne_u16_sdwa s2, v3, v19 src0_sel:BYTE_0 src1_sel:DWORD
	v_mov_b32_e32 v10, 0x8000
	s_and_saveexec_b32 s40, s2
	s_cbranch_execz .LBB277_385
; %bb.380:                              ;   in Loop: Header=BB277_10 Depth=1
	v_and_b32_e32 v72, 0x7f, v3
	v_mov_b32_e32 v10, 0x7c01
	s_mov_b32 s41, exec_lo
	v_cmpx_ne_u32_e32 0x7f, v72
	s_cbranch_execz .LBB277_384
; %bb.381:                              ;   in Loop: Header=BB277_10 Depth=1
	v_and_b32_e32 v10, 7, v3
	v_lshrrev_b32_e32 v71, 3, v72
	s_mov_b32 s42, exec_lo
	v_cmpx_gt_u32_e32 8, v72
; %bb.382:                              ;   in Loop: Header=BB277_10 Depth=1
	v_ffbh_u32_e32 v10, v10
	v_min_u32_e32 v10, 32, v10
	v_subrev_nc_u32_e32 v71, 28, v10
	v_lshlrev_b64 v[72:73], v71, v[3:4]
	v_sub_nc_u32_e32 v71, 29, v10
	v_and_b32_e32 v10, 7, v72
; %bb.383:                              ;   in Loop: Header=BB277_10 Depth=1
	s_or_b32 exec_lo, exec_lo, s42
	v_lshlrev_b32_e32 v72, 8, v3
	v_lshl_add_u32 v71, v71, 10, 0x2000
	v_lshlrev_b32_e32 v10, 7, v10
	v_and_b32_e32 v72, 0x8000, v72
	v_and_b32_e32 v71, 0xfc00, v71
	v_or3_b32 v10, v72, v71, v10
.LBB277_384:                            ;   in Loop: Header=BB277_10 Depth=1
	s_or_b32 exec_lo, exec_lo, s41
.LBB277_385:                            ;   in Loop: Header=BB277_10 Depth=1
	s_or_b32 exec_lo, exec_lo, s40
.LBB277_386:                            ;   in Loop: Header=BB277_10 Depth=1
	s_or_b32 exec_lo, exec_lo, s3
	v_lshrrev_b16 v3, 8, v3
	s_mov_b32 s3, exec_lo
	v_cmpx_ne_u16_e32 0, v3
	s_cbranch_execz .LBB277_394
; %bb.387:                              ;   in Loop: Header=BB277_10 Depth=1
	v_bfrev_b32_e32 v9, 1
	s_mov_b32 s40, exec_lo
	v_cmpx_ne_u16_e32 0x80, v3
	s_cbranch_execz .LBB277_393
; %bb.388:                              ;   in Loop: Header=BB277_10 Depth=1
	v_and_b32_sdwa v72, v3, v20 dst_sel:DWORD dst_unused:UNUSED_PAD src0_sel:WORD_0 src1_sel:DWORD
	v_mov_b32_e32 v9, 0x7c010000
	s_mov_b32 s41, exec_lo
	v_cmpx_ne_u32_e32 0x7f, v72
	s_cbranch_execz .LBB277_392
; %bb.389:                              ;   in Loop: Header=BB277_10 Depth=1
	v_and_b32_sdwa v9, v3, v21 dst_sel:DWORD dst_unused:UNUSED_PAD src0_sel:WORD_0 src1_sel:DWORD
	v_lshrrev_b32_e32 v71, 3, v72
	s_mov_b32 s42, exec_lo
	v_cmpx_gt_u32_e32 8, v72
; %bb.390:                              ;   in Loop: Header=BB277_10 Depth=1
	v_ffbh_u32_e32 v9, v9
	v_min_u32_e32 v9, 32, v9
	v_subrev_nc_u32_e32 v71, 28, v9
	v_lshlrev_b64 v[72:73], v71, v[3:4]
	v_sub_nc_u32_e32 v71, 29, v9
	v_and_b32_e32 v9, 7, v72
; %bb.391:                              ;   in Loop: Header=BB277_10 Depth=1
	s_or_b32 exec_lo, exec_lo, s42
	v_lshlrev_b32_sdwa v3, v22, v3 dst_sel:DWORD dst_unused:UNUSED_PAD src0_sel:DWORD src1_sel:WORD_0
	v_lshl_add_u32 v71, v71, 10, 0x2000
	v_lshlrev_b32_e32 v9, 23, v9
	v_and_or_b32 v3, 0x8000, v3, v71
	v_lshl_or_b32 v9, v3, 16, v9
.LBB277_392:                            ;   in Loop: Header=BB277_10 Depth=1
	s_or_b32 exec_lo, exec_lo, s41
.LBB277_393:                            ;   in Loop: Header=BB277_10 Depth=1
	s_or_b32 exec_lo, exec_lo, s40
.LBB277_394:                            ;   in Loop: Header=BB277_10 Depth=1
	s_or_b32 exec_lo, exec_lo, s3
	ds_read_b32 v3, v16
	v_or_b32_e32 v25, v26, v25
	v_fma_mixlo_f16 v26, v24, v26, 0 op_sel:[0,1,0] op_sel_hi:[0,1,0]
	v_or_b32_e32 v28, v27, v28
	v_fma_mixlo_f16 v27, v24, v27, 0 op_sel:[0,1,0] op_sel_hi:[0,1,0]
	v_or_b32_e32 v30, v29, v30
	v_fma_mixlo_f16 v25, v24, v25, 0 op_sel_hi:[0,1,0]
	v_and_b32_e32 v74, 0xffff, v26
	v_fma_mixlo_f16 v28, v24, v28, 0 op_sel_hi:[0,1,0]
	v_and_b32_e32 v75, 0xffff, v27
	;; [unrolled: 2-line block ×3, first 2 shown]
	v_fma_mixlo_f16 v29, v24, v29, 0 op_sel:[0,1,0] op_sel_hi:[0,1,0]
	v_or_b32_e32 v32, v31, v32
	v_fma_mixlo_f16 v31, v24, v31, 0 op_sel:[0,1,0] op_sel_hi:[0,1,0]
	v_and_b32_e32 v76, 0xffff, v30
	v_or_b32_e32 v34, v33, v34
	v_and_b32_e32 v77, 0xffff, v29
	v_fma_mixlo_f16 v32, v24, v32, 0 op_sel_hi:[0,1,0]
	v_and_b32_e32 v79, 0xffff, v31
	s_waitcnt lgkmcnt(0)
	v_and_b32_e32 v71, 0xffff, v3
	v_lshrrev_b32_e32 v72, 16, v3
	;;#ASMSTART
	v_cvt_f32_f16 v3, v71;
	;;#ASMEND
	;;#ASMSTART
	v_cvt_f32_f16 v25, v72;
	;;#ASMEND
	;; [unrolled: 3-line block ×4, first 2 shown]
	ds_read_b32 v72, v16 offset:4
	v_and_b32_e32 v74, 0xffff, v28
	v_and_b32_e32 v78, 0xffff, v32
	v_fma_mixlo_f16 v34, v24, v34, 0 op_sel_hi:[0,1,0]
	v_fma_mixlo_f16 v33, v24, v33, 0 op_sel:[0,1,0] op_sel_hi:[0,1,0]
	v_or_b32_e32 v36, v35, v36
	v_fma_mixlo_f16 v35, v24, v35, 0 op_sel:[0,1,0] op_sel_hi:[0,1,0]
	v_or_b32_e32 v38, v37, v38
	v_and_b32_e32 v80, 0xffff, v34
	v_and_b32_e32 v81, 0xffff, v33
	v_fma_mixlo_f16 v36, v24, v36, 0 op_sel_hi:[0,1,0]
	v_and_b32_e32 v83, 0xffff, v35
	v_fma_mixlo_f16 v38, v24, v38, 0 op_sel_hi:[0,1,0]
	v_fma_mixlo_f16 v37, v24, v37, 0 op_sel:[0,1,0] op_sel_hi:[0,1,0]
	v_or_b32_e32 v40, v39, v40
	v_and_b32_e32 v82, 0xffff, v36
	v_fma_mixlo_f16 v39, v24, v39, 0 op_sel:[0,1,0] op_sel_hi:[0,1,0]
	v_and_b32_e32 v84, 0xffff, v38
	v_and_b32_e32 v85, 0xffff, v37
	v_fma_mixlo_f16 v40, v24, v40, 0 op_sel_hi:[0,1,0]
	s_waitcnt lgkmcnt(0)
	v_and_b32_e32 v73, 0xffff, v72
	v_lshrrev_b32_e32 v72, 16, v72
	;;#ASMSTART
	v_cvt_f32_f16 v27, v73;
	;;#ASMEND
	;;#ASMSTART
	v_cvt_f32_f16 v28, v72;
	;;#ASMEND
	;;#ASMSTART
	v_cvt_f32_f16 v72, v74;
	;;#ASMEND
	;;#ASMSTART
	v_cvt_f32_f16 v73, v75;
	;;#ASMEND
	ds_read_b32 v74, v16 offset:8
	v_and_b32_e32 v86, 0xffff, v40
	v_and_b32_e32 v87, 0xffff, v39
	v_or_b32_e32 v42, v41, v42
	v_fma_mixlo_f16 v41, v24, v41, 0 op_sel:[0,1,0] op_sel_hi:[0,1,0]
	v_or_b32_e32 v44, v43, v44
	v_fma_mixlo_f16 v43, v24, v43, 0 op_sel:[0,1,0] op_sel_hi:[0,1,0]
	v_or_b32_e32 v46, v45, v46
	v_fma_mixlo_f16 v42, v24, v42, 0 op_sel_hi:[0,1,0]
	v_and_b32_e32 v89, 0xffff, v41
	v_fma_mixlo_f16 v44, v24, v44, 0 op_sel_hi:[0,1,0]
	v_and_b32_e32 v91, 0xffff, v43
	;; [unrolled: 2-line block ×3, first 2 shown]
	v_fma_mixlo_f16 v45, v24, v45, 0 op_sel:[0,1,0] op_sel_hi:[0,1,0]
	v_and_b32_e32 v90, 0xffff, v44
	v_or_b32_e32 v48, v47, v48
	v_and_b32_e32 v92, 0xffff, v46
	v_fma_mixlo_f16 v47, v24, v47, 0 op_sel:[0,1,0] op_sel_hi:[0,1,0]
	v_and_b32_e32 v93, 0xffff, v45
	s_waitcnt lgkmcnt(0)
	v_and_b32_e32 v75, 0xffff, v74
	v_lshrrev_b32_e32 v74, 16, v74
	;;#ASMSTART
	v_cvt_f32_f16 v29, v75;
	;;#ASMEND
	;;#ASMSTART
	v_cvt_f32_f16 v30, v74;
	;;#ASMEND
	;; [unrolled: 3-line block ×4, first 2 shown]
	ds_read_b32 v76, v16 offset:12
	v_fma_mixlo_f16 v48, v24, v48, 0 op_sel_hi:[0,1,0]
	v_and_b32_e32 v95, 0xffff, v47
	v_or_b32_e32 v50, v49, v50
	v_fma_mixlo_f16 v49, v24, v49, 0 op_sel:[0,1,0] op_sel_hi:[0,1,0]
	v_or_b32_e32 v52, v51, v52
	v_and_b32_e32 v94, 0xffff, v48
	v_fma_mixlo_f16 v51, v24, v51, 0 op_sel:[0,1,0] op_sel_hi:[0,1,0]
	v_fma_mixlo_f16 v50, v24, v50, 0 op_sel_hi:[0,1,0]
	v_and_b32_e32 v97, 0xffff, v49
	v_fma_mixlo_f16 v52, v24, v52, 0 op_sel_hi:[0,1,0]
	v_or_b32_e32 v54, v53, v54
	v_and_b32_e32 v99, 0xffff, v51
	v_and_b32_e32 v96, 0xffff, v50
	v_fma_mixlo_f16 v53, v24, v53, 0 op_sel:[0,1,0] op_sel_hi:[0,1,0]
	v_and_b32_e32 v98, 0xffff, v52
	v_fma_mixlo_f16 v54, v24, v54, 0 op_sel_hi:[0,1,0]
	v_or_b32_e32 v56, v55, v56
	v_fma_mixlo_f16 v55, v24, v55, 0 op_sel:[0,1,0] op_sel_hi:[0,1,0]
	v_and_b32_e32 v101, 0xffff, v53
	s_waitcnt lgkmcnt(0)
	v_and_b32_e32 v77, 0xffff, v76
	v_lshrrev_b32_e32 v76, 16, v76
	;;#ASMSTART
	v_cvt_f32_f16 v31, v77;
	;;#ASMEND
	;;#ASMSTART
	v_cvt_f32_f16 v32, v76;
	;;#ASMEND
	;; [unrolled: 3-line block ×4, first 2 shown]
	ds_read_b32 v78, v16 offset:16
	v_and_b32_e32 v100, 0xffff, v54
	v_fma_mixlo_f16 v56, v24, v56, 0 op_sel_hi:[0,1,0]
	v_and_b32_e32 v103, 0xffff, v55
	v_or_b32_e32 v58, v57, v58
	v_fma_mixlo_f16 v57, v24, v57, 0 op_sel:[0,1,0] op_sel_hi:[0,1,0]
	v_or_b32_e32 v60, v59, v60
	v_and_b32_e32 v102, 0xffff, v56
	v_fma_mixlo_f16 v59, v24, v59, 0 op_sel:[0,1,0] op_sel_hi:[0,1,0]
	v_fma_mixlo_f16 v58, v24, v58, 0 op_sel_hi:[0,1,0]
	v_and_b32_e32 v105, 0xffff, v57
	v_fma_mixlo_f16 v60, v24, v60, 0 op_sel_hi:[0,1,0]
	v_or_b32_e32 v62, v61, v62
	v_and_b32_e32 v107, 0xffff, v59
	v_and_b32_e32 v104, 0xffff, v58
	v_mul_f32_e32 v27, v27, v72
	v_and_b32_e32 v106, 0xffff, v60
	v_mul_f32_e32 v28, v28, v73
	v_fma_mixlo_f16 v62, v24, v62, 0 op_sel_hi:[0,1,0]
	v_fma_mixlo_f16 v61, v24, v61, 0 op_sel:[0,1,0] op_sel_hi:[0,1,0]
	s_waitcnt lgkmcnt(0)
	v_and_b32_e32 v79, 0xffff, v78
	v_lshrrev_b32_e32 v78, 16, v78
	;;#ASMSTART
	v_cvt_f32_f16 v33, v79;
	;;#ASMEND
	;;#ASMSTART
	v_cvt_f32_f16 v34, v78;
	;;#ASMEND
	;; [unrolled: 3-line block ×4, first 2 shown]
	ds_read_b32 v80, v16 offset:20
	v_fmac_f32_e32 v27, v3, v26
	v_fmac_f32_e32 v28, v25, v71
	v_and_b32_e32 v108, 0xffff, v62
	v_and_b32_e32 v109, 0xffff, v61
	v_or_b32_e32 v64, v63, v64
	v_fmac_f32_e32 v27, v29, v74
	v_fmac_f32_e32 v28, v30, v75
	v_fma_mixlo_f16 v63, v24, v63, 0 op_sel:[0,1,0] op_sel_hi:[0,1,0]
	v_or_b32_e32 v10, v9, v10
	v_fma_mixlo_f16 v64, v24, v64, 0 op_sel_hi:[0,1,0]
	v_fmac_f32_e32 v27, v31, v76
	v_fmac_f32_e32 v28, v32, v77
	v_and_b32_e32 v63, 0xffff, v63
	v_or_b32_e32 v31, v65, v66
	v_and_b32_e32 v26, 0xffff, v64
	v_fmac_f32_e32 v27, v33, v78
	v_fmac_f32_e32 v28, v34, v79
	v_fma_mixlo_f16 v32, v24, v65, 0 op_sel:[0,1,0] op_sel_hi:[0,1,0]
	v_fma_mixlo_f16 v31, v24, v31, 0 op_sel_hi:[0,1,0]
	s_waitcnt lgkmcnt(0)
	v_and_b32_e32 v81, 0xffff, v80
	v_lshrrev_b32_e32 v80, 16, v80
	;;#ASMSTART
	v_cvt_f32_f16 v35, v81;
	;;#ASMEND
	;;#ASMSTART
	v_cvt_f32_f16 v36, v80;
	;;#ASMEND
	;; [unrolled: 3-line block ×4, first 2 shown]
	ds_read_b32 v82, v16 offset:24
	v_fmac_f32_e32 v27, v35, v80
	v_fmac_f32_e32 v28, v36, v81
	v_and_b32_e32 v33, 0xffff, v32
	v_and_b32_e32 v35, 0xffff, v31
	v_fma_mixlo_f16 v36, v24, v67, 0 op_sel:[0,1,0] op_sel_hi:[0,1,0]
	v_fma_mixlo_f16 v10, v24, v10, 0 op_sel_hi:[0,1,0]
	s_waitcnt lgkmcnt(0)
	v_and_b32_e32 v83, 0xffff, v82
	v_lshrrev_b32_e32 v82, 16, v82
	;;#ASMSTART
	v_cvt_f32_f16 v37, v83;
	;;#ASMEND
	;;#ASMSTART
	v_cvt_f32_f16 v38, v82;
	;;#ASMEND
	;; [unrolled: 3-line block ×4, first 2 shown]
	ds_read_b32 v84, v16 offset:28
	v_fmac_f32_e32 v27, v37, v82
	v_fmac_f32_e32 v28, v38, v83
	v_and_b32_e32 v37, 0xffff, v36
	s_waitcnt lgkmcnt(0)
	v_and_b32_e32 v85, 0xffff, v84
	v_lshrrev_b32_e32 v84, 16, v84
	;;#ASMSTART
	v_cvt_f32_f16 v39, v85;
	;;#ASMEND
	;;#ASMSTART
	v_cvt_f32_f16 v40, v84;
	;;#ASMEND
	;; [unrolled: 3-line block ×4, first 2 shown]
	ds_read_b32 v86, v16 offset:32
	v_fmac_f32_e32 v27, v39, v84
	v_fmac_f32_e32 v28, v40, v85
	v_fma_mixlo_f16 v40, v24, v69, 0 op_sel:[0,1,0] op_sel_hi:[0,1,0]
	s_waitcnt lgkmcnt(0)
	v_and_b32_e32 v87, 0xffff, v86
	v_lshrrev_b32_e32 v86, 16, v86
	;;#ASMSTART
	v_cvt_f32_f16 v41, v87;
	;;#ASMEND
	;;#ASMSTART
	v_cvt_f32_f16 v42, v86;
	;;#ASMEND
	;; [unrolled: 3-line block ×4, first 2 shown]
	ds_read_b32 v88, v16 offset:36
	v_fmac_f32_e32 v27, v41, v86
	v_fmac_f32_e32 v28, v42, v87
	v_and_b32_e32 v41, 0xffff, v40
	s_waitcnt lgkmcnt(0)
	v_and_b32_e32 v89, 0xffff, v88
	v_lshrrev_b32_e32 v88, 16, v88
	;;#ASMSTART
	v_cvt_f32_f16 v43, v89;
	;;#ASMEND
	;;#ASMSTART
	v_cvt_f32_f16 v44, v88;
	;;#ASMEND
	;;#ASMSTART
	v_cvt_f32_f16 v88, v90;
	;;#ASMEND
	;;#ASMSTART
	v_cvt_f32_f16 v89, v91;
	;;#ASMEND
	ds_read_b32 v90, v16 offset:40
	v_fmac_f32_e32 v27, v43, v88
	v_fmac_f32_e32 v28, v44, v89
	s_waitcnt lgkmcnt(0)
	v_and_b32_e32 v91, 0xffff, v90
	v_lshrrev_b32_e32 v90, 16, v90
	;;#ASMSTART
	v_cvt_f32_f16 v45, v91;
	;;#ASMEND
	;;#ASMSTART
	v_cvt_f32_f16 v46, v90;
	;;#ASMEND
	;;#ASMSTART
	v_cvt_f32_f16 v90, v92;
	;;#ASMEND
	;;#ASMSTART
	v_cvt_f32_f16 v91, v93;
	;;#ASMEND
	ds_read_b32 v92, v16 offset:44
	v_fmac_f32_e32 v27, v45, v90
	v_fmac_f32_e32 v28, v46, v91
	;; [unrolled: 18-line block ×11, first 2 shown]
	v_fma_mixlo_f16 v3, v24, v9, 0 op_sel:[0,1,0] op_sel_hi:[0,1,0]
	v_xor_b32_e32 v9, 2, v13
	v_and_b32_e32 v26, 0xffff, v10
	v_and_b32_e32 v25, 0xffff, v3
	v_cmp_gt_i32_e64 s2, 32, v9
	v_cndmask_b32_e64 v3, v13, v9, s2
	v_lshlrev_b32_e32 v3, 2, v3
	s_waitcnt lgkmcnt(0)
	v_and_b32_e32 v32, 0xffff, v30
	v_lshrrev_b32_e32 v34, 16, v30
	;;#ASMSTART
	v_cvt_f32_f16 v30, v32;
	;;#ASMEND
	;;#ASMSTART
	v_cvt_f32_f16 v31, v34;
	;;#ASMEND
	;; [unrolled: 3-line block ×4, first 2 shown]
	ds_read_b32 v34, v16 offset:84
	v_or_b32_e32 v35, v67, v68
	v_fmac_f32_e32 v27, v30, v32
	v_fmac_f32_e32 v28, v31, v33
	v_fma_mixlo_f16 v35, v24, v35, 0 op_sel_hi:[0,1,0]
	v_and_b32_e32 v39, 0xffff, v35
	s_waitcnt lgkmcnt(0)
	v_and_b32_e32 v36, 0xffff, v34
	v_lshrrev_b32_e32 v38, 16, v34
	;;#ASMSTART
	v_cvt_f32_f16 v34, v36;
	;;#ASMEND
	;;#ASMSTART
	v_cvt_f32_f16 v35, v38;
	;;#ASMEND
	;; [unrolled: 3-line block ×4, first 2 shown]
	ds_read_b32 v38, v16 offset:88
	v_or_b32_e32 v39, v69, v70
	v_fmac_f32_e32 v27, v34, v36
	v_fmac_f32_e32 v28, v35, v37
	v_fma_mixlo_f16 v39, v24, v39, 0 op_sel_hi:[0,1,0]
	v_and_b32_e32 v43, 0xffff, v39
	s_waitcnt lgkmcnt(0)
	v_and_b32_e32 v40, 0xffff, v38
	v_lshrrev_b32_e32 v42, 16, v38
	;;#ASMSTART
	v_cvt_f32_f16 v38, v40;
	;;#ASMEND
	;;#ASMSTART
	v_cvt_f32_f16 v39, v42;
	;;#ASMEND
	;; [unrolled: 3-line block ×4, first 2 shown]
	ds_read_b32 v42, v16 offset:92
	v_fmac_f32_e32 v27, v38, v40
	v_fmac_f32_e32 v28, v39, v41
	s_waitcnt lgkmcnt(0)
	v_and_b32_e32 v9, 0xffff, v42
	v_lshrrev_b32_e32 v24, 16, v42
	;;#ASMSTART
	v_cvt_f32_f16 v9, v9;
	;;#ASMEND
	;;#ASMSTART
	v_cvt_f32_f16 v10, v24;
	;;#ASMEND
	;; [unrolled: 3-line block ×4, first 2 shown]
	v_fmac_f32_e32 v27, v9, v24
	v_fmac_f32_e32 v28, v10, v25
	v_xor_b32_e32 v10, 1, v13
	v_add_f32_e32 v9, v27, v28
	v_cmp_gt_i32_e64 s2, 32, v10
	ds_bpermute_b32 v3, v3, v9
	v_cndmask_b32_e64 v10, v13, v10, s2
	s_waitcnt lgkmcnt(0)
	v_add_f32_e32 v3, v9, v3
	v_lshlrev_b32_e32 v9, 2, v10
	ds_bpermute_b32 v9, v9, v3
	s_and_saveexec_b32 s3, vcc_lo
	s_cbranch_execz .LBB277_9
; %bb.395:                              ;   in Loop: Header=BB277_10 Depth=1
	v_add_nc_u32_e32 v10, s4, v17
	s_waitcnt lgkmcnt(0)
	v_add_f32_e32 v3, v3, v9
	v_cmp_gt_i32_e64 s2, s27, v17
	v_cvt_f32_i32_e32 v10, v10
	v_mul_f32_e32 v10, s36, v10
	v_cndmask_b32_e64 v9, 0, v10, s1
	v_max_f32_e32 v10, v15, v15
	v_fmac_f32_e32 v9, s37, v3
	v_max_f32_e32 v3, v10, v9
	v_cndmask_b32_e64 v9, 0, v9, s2
	v_cndmask_b32_e64 v15, v15, v3, s2
	ds_write_b32 v18, v9
	s_branch .LBB277_9
.LBB277_396:
	s_or_b32 exec_lo, exec_lo, s5
.LBB277_397:
	s_or_b32 exec_lo, exec_lo, s38
	v_xor_b32_e32 v3, 16, v13
	v_xor_b32_e32 v6, 8, v13
	v_max_f32_e32 v7, v15, v15
	v_xor_b32_e32 v8, 4, v13
	v_cmp_lt_i32_e32 vcc_lo, v3, v14
	v_cndmask_b32_e32 v3, v13, v3, vcc_lo
	v_cmp_lt_i32_e32 vcc_lo, v6, v14
	v_lshlrev_b32_e32 v5, 2, v3
	v_cndmask_b32_e32 v6, v13, v6, vcc_lo
	v_cmp_lt_i32_e32 vcc_lo, v8, v14
	ds_bpermute_b32 v3, v5, v15
	v_lshlrev_b32_e32 v6, 2, v6
	v_cndmask_b32_e32 v8, v13, v8, vcc_lo
	v_and_b32_e32 v15, 31, v0
	s_waitcnt lgkmcnt(0)
	v_lshlrev_b32_e32 v9, 2, v8
	v_cmp_eq_u32_e32 vcc_lo, 0, v15
	v_max_f32_e32 v3, v3, v3
	v_max_f32_e32 v3, v7, v3
	ds_bpermute_b32 v7, v6, v3
	s_waitcnt lgkmcnt(0)
	v_max_f32_e32 v7, v7, v7
	v_max_f32_e32 v3, v3, v7
	v_lshlrev_b32_e32 v7, 2, v12
	ds_bpermute_b32 v8, v9, v3
	s_and_saveexec_b32 s1, vcc_lo
	s_cbranch_execz .LBB277_399
; %bb.398:
	s_waitcnt lgkmcnt(0)
	v_max_f32_e32 v8, v8, v8
	v_max_f32_e32 v3, v3, v3
	;; [unrolled: 1-line block ×3, first 2 shown]
	ds_write_b32 v7, v3 offset:384
.LBB277_399:
	s_or_b32 exec_lo, exec_lo, s1
	v_cmp_gt_u32_e64 s1, 4, v15
	v_mov_b32_e32 v3, 0xff7fffff
	s_waitcnt lgkmcnt(0)
	v_lshlrev_b32_e32 v8, 2, v15
	s_barrier
	buffer_gl0_inv
	s_and_saveexec_b32 s2, s1
; %bb.400:
	ds_read_b32 v3, v8 offset:384
; %bb.401:
	s_or_b32 exec_lo, exec_lo, s2
	v_xor_b32_e32 v10, 2, v13
	v_xor_b32_e32 v17, 1, v13
	v_lshlrev_b32_e32 v4, 2, v4
	v_cmp_lt_i32_e64 s2, v10, v14
	v_cndmask_b32_e64 v10, v13, v10, s2
	v_cmp_lt_i32_e64 s2, v17, v14
	v_lshlrev_b32_e32 v10, 2, v10
	v_cndmask_b32_e64 v14, v13, v17, s2
	s_sub_i32 s2, s11, s19
	s_lshl_b32 s2, s2, 3
	s_waitcnt lgkmcnt(0)
	ds_bpermute_b32 v16, v10, v3
	v_max_f32_e32 v3, v3, v3
	v_lshlrev_b32_e32 v14, 2, v14
	s_add_i32 s2, s2, s33
	s_min_i32 s2, s2, s27
	s_sub_i32 s4, s2, s33
	v_cmp_gt_i32_e64 s2, s4, v0
	s_waitcnt lgkmcnt(0)
	v_max_f32_e32 v16, v16, v16
	v_max_f32_e32 v3, v3, v16
	ds_bpermute_b32 v16, v14, v3
	s_waitcnt lgkmcnt(0)
	v_max_f32_e32 v16, v16, v16
	v_max_f32_e32 v3, v3, v16
	v_mov_b32_e32 v16, 0
	ds_bpermute_b32 v3, v4, v3
	v_lshl_add_u32 v4, v0, 2, 0x1a0
	s_and_saveexec_b32 s5, s2
	s_cbranch_execz .LBB277_405
; %bb.402:
	v_lshl_add_u32 v17, v0, 2, 0x1a0
	v_mov_b32_e32 v16, 0
	v_mov_b32_e32 v18, v0
	s_mov_b32 s12, 0
	.p2align	6
.LBB277_403:                            ; =>This Inner Loop Header: Depth=1
	ds_read_b32 v19, v17
	v_add_nc_u32_e32 v18, 0x80, v18
	v_cmp_le_i32_e64 s3, s4, v18
	s_or_b32 s12, s3, s12
	s_waitcnt lgkmcnt(0)
	v_sub_f32_e32 v19, v19, v3
	v_mul_f32_e32 v19, 0x3fb8aa3b, v19
	v_exp_f32_e32 v19, v19
	ds_write_b32 v17, v19
	v_add_f32_e32 v16, v16, v19
	v_add_nc_u32_e32 v17, 0x200, v17
	s_andn2_b32 exec_lo, exec_lo, s12
	s_cbranch_execnz .LBB277_403
; %bb.404:
	s_or_b32 exec_lo, exec_lo, s12
.LBB277_405:
	s_or_b32 exec_lo, exec_lo, s5
	ds_bpermute_b32 v5, v5, v16
	s_waitcnt lgkmcnt(0)
	v_add_f32_e32 v5, v16, v5
	ds_bpermute_b32 v6, v6, v5
	s_waitcnt lgkmcnt(0)
	v_add_f32_e32 v5, v5, v6
	;; [unrolled: 3-line block ×5, first 2 shown]
	s_and_saveexec_b32 s3, vcc_lo
; %bb.406:
	ds_write_b32 v7, v5 offset:400
; %bb.407:
	s_or_b32 exec_lo, exec_lo, s3
	s_waitcnt lgkmcnt(0)
	s_barrier
	buffer_gl0_inv
	s_and_saveexec_b32 s3, s1
; %bb.408:
	ds_read_b32 v5, v8 offset:400
; %bb.409:
	s_or_b32 exec_lo, exec_lo, s3
	s_waitcnt lgkmcnt(0)
	ds_bpermute_b32 v6, v10, v5
	v_lshlrev_b32_e32 v7, 2, v13
	s_waitcnt lgkmcnt(0)
	v_add_f32_e32 v5, v5, v6
	ds_bpermute_b32 v6, v14, v5
	s_waitcnt lgkmcnt(0)
	v_add_f32_e32 v5, v5, v6
	v_and_b32_e32 v6, 0xffffff80, v7
	ds_bpermute_b32 v5, v6, v5
	s_and_saveexec_b32 s1, s2
	s_cbranch_execz .LBB277_412
; %bb.410:
	s_waitcnt lgkmcnt(0)
	v_add_f32_e32 v6, 0x358637bd, v5
	s_mov_b32 s2, 0
	v_div_scale_f32 v7, null, v6, v6, 1.0
	v_div_scale_f32 v10, vcc_lo, 1.0, v6, 1.0
	v_rcp_f32_e32 v8, v7
	v_fma_f32 v9, -v7, v8, 1.0
	v_fmac_f32_e32 v8, v9, v8
	v_mul_f32_e32 v9, v10, v8
	v_fma_f32 v13, -v7, v9, v10
	v_fmac_f32_e32 v9, v13, v8
	v_fma_f32 v7, -v7, v9, v10
	v_div_fmas_f32 v7, v7, v8, v9
	v_div_fixup_f32 v6, v7, v6, 1.0
	v_mov_b32_e32 v7, v0
.LBB277_411:                            ; =>This Inner Loop Header: Depth=1
	ds_read_b32 v8, v4
	v_add_nc_u32_e32 v7, 0x80, v7
	v_cmp_le_i32_e32 vcc_lo, s4, v7
	s_or_b32 s2, vcc_lo, s2
	s_waitcnt lgkmcnt(0)
	v_mul_f32_e32 v8, v6, v8
	ds_write_b32 v4, v8
	v_add_nc_u32_e32 v4, 0x200, v4
	s_andn2_b32 exec_lo, exec_lo, s2
	s_cbranch_execnz .LBB277_411
.LBB277_412:
	s_or_b32 exec_lo, exec_lo, s1
	s_mul_i32 s1, s7, s26
	s_waitcnt lgkmcnt(0)
	s_mul_i32 s2, s1, s9
	s_mov_b32 s1, exec_lo
	s_barrier
	buffer_gl0_inv
	v_cmpx_eq_u32_e32 0, v0
	s_cbranch_execz .LBB277_414
; %bb.413:
	s_ashr_i32 s3, s2, 31
	s_mul_i32 s12, s7, s6
	s_lshl_b64 s[4:5], s[2:3], 2
	v_mov_b32_e32 v4, 0
	s_add_u32 s3, s22, s4
	s_addc_u32 s6, s23, s5
	s_ashr_i32 s13, s12, 31
	s_lshl_b64 s[12:13], s[12:13], 2
	s_add_u32 s3, s3, s12
	s_addc_u32 s6, s6, s13
	s_ashr_i32 s9, s8, 31
	s_lshl_b64 s[22:23], s[8:9], 2
	s_add_u32 s36, s3, s22
	s_addc_u32 s37, s6, s23
	s_add_u32 s3, s20, s4
	s_addc_u32 s4, s21, s5
	;; [unrolled: 2-line block ×4, first 2 shown]
	global_store_dword v4, v3, s[36:37]
	global_store_dword v4, v5, s[4:5]
.LBB277_414:
	s_or_b32 exec_lo, exec_lo, s1
	v_mov_b32_e32 v19, 0
	v_mov_b32_e32 v18, 0
	;; [unrolled: 1-line block ×6, first 2 shown]
	s_and_saveexec_b32 s1, s0
	s_cbranch_execz .LBB277_814
; %bb.415:
	v_lshlrev_b32_e32 v4, 3, v15
	s_ashr_i32 s0, s18, 31
	s_add_u32 s4, s34, s18
	s_addc_u32 s0, s35, s0
	v_lshlrev_b64 v[6:7], 2, v[1:2]
	v_add_co_u32 v4, s4, s4, v4
	v_add_co_ci_u32_e64 v5, null, s0, 0, s4
	s_lshl_b64 s[4:5], s[30:31], 2
	s_add_i32 s16, s16, -1
	s_add_u32 s0, s28, s4
	s_addc_u32 s4, s29, s5
	v_add_co_u32 v6, vcc_lo, s0, v6
	v_mov_b32_e32 v3, 0
	v_add3_u32 v20, s33, v11, 7
	v_lshl_add_u32 v21, v12, 5, 0x1a0
	v_add_co_ci_u32_e64 v7, null, s4, v7, vcc_lo
	v_mov_b32_e32 v22, 0x80
	v_mov_b32_e32 v23, 0x7f
	v_mov_b32_e32 v24, 7
	v_mov_b32_e32 v25, 8
	v_mov_b32_e32 v13, 0
	v_mov_b32_e32 v14, 0
	v_mov_b32_e32 v16, 0
	v_mov_b32_e32 v17, 0
	v_mov_b32_e32 v18, 0
	v_mov_b32_e32 v19, 0
	s_mov_b32 s4, -1
	s_mov_b32 s3, s17
	s_mov_b32 s5, 0xffffff
	;; [unrolled: 1-line block ×3, first 2 shown]
	s_branch .LBB277_417
.LBB277_416:                            ;   in Loop: Header=BB277_417 Depth=1
	s_or_b32 exec_lo, exec_lo, s0
	v_add_f32_e32 v10, v10, v11
	v_add_f32_e32 v11, v43, v44
	;;#ASMSTART
	v_pk_mul_f16 v26, v38, v45;

	;;#ASMEND
	;;#ASMSTART
	v_pk_mul_f16 v9, v36, v9;

	;;#ASMEND
	;; [unrolled: 4-line block ×4, first 2 shown]
	v_add_f32_e32 v14, v14, v10
	;;#ASMSTART
	v_pk_add_f16 v9, v26, v9;

	;;#ASMEND
	;;#ASMSTART
	v_pk_add_f16 v8, v9, v8;

	;;#ASMEND
	;; [unrolled: 4-line block ×3, first 2 shown]
	v_and_b32_e32 v10, 0xffff, v2
	v_add_nc_u32_e32 v1, 4, v1
	v_add_f32_e32 v16, v16, v11
	v_lshrrev_b32_e32 v11, 16, v2
	;;#ASMSTART
	v_cvt_f32_f16 v10, v10;
	;;#ASMEND
	v_add_f32_e32 v2, v41, v42
	v_add_f32_e32 v8, v39, v40
	v_add_f32_e32 v9, v35, v37
	;;#ASMSTART
	v_cvt_f32_f16 v11, v11;
	;;#ASMEND
	v_add_f32_e32 v10, v10, v11
	v_cmp_le_i32_e32 vcc_lo, s11, v1
	v_add_co_u32 v6, s0, v6, 16
	v_add_f32_e32 v17, v17, v2
	v_add_f32_e32 v18, v18, v8
	;; [unrolled: 1-line block ×4, first 2 shown]
	v_add_nc_u32_e32 v20, 32, v20
	v_add_nc_u32_e32 v21, 0x80, v21
	v_add_co_ci_u32_e64 v7, null, 0, v7, s0
	s_or_b32 s6, vcc_lo, s6
	s_andn2_b32 exec_lo, exec_lo, s6
	s_cbranch_execz .LBB277_813
.LBB277_417:                            ; =>This Inner Loop Header: Depth=1
	global_load_dword v2, v[6:7], off
	ds_read2_b64 v[26:29], v21 offset1:1
	ds_read2_b64 v[38:41], v21 offset0:2 offset1:3
	s_waitcnt lgkmcnt(1)
	;;#ASMSTART
	v_cvt_f16_f32 v33, v26;

	;;#ASMEND
	;;#ASMSTART
	v_cvt_f16_f32 v34, v27;

	;;#ASMEND
	;; [unrolled: 4-line block ×4, first 2 shown]
	s_waitcnt lgkmcnt(0)
	;;#ASMSTART
	v_cvt_f16_f32 v38, v38;

	;;#ASMEND
	;;#ASMSTART
	v_cvt_f16_f32 v37, v39;

	;;#ASMEND
	;; [unrolled: 4-line block ×4, first 2 shown]
	v_mov_b32_e32 v28, 0
	s_waitcnt vmcnt(0)
	v_mad_i64_i32 v[8:9], null, v2, s3, v[4:5]
	global_load_dwordx2 v[10:11], v[8:9], off
	global_load_dword v27, v3, s[14:15]
	s_waitcnt vmcnt(1)
	v_cmp_ne_u16_sdwa s9, v10, v3 src0_sel:BYTE_0 src1_sel:DWORD
	s_and_saveexec_b32 s0, s9
	s_cbranch_execz .LBB277_425
; %bb.418:                              ;   in Loop: Header=BB277_417 Depth=1
	v_cmp_ne_u16_sdwa s12, v10, v22 src0_sel:BYTE_0 src1_sel:DWORD
	v_mov_b32_e32 v28, 0x8000
	s_and_saveexec_b32 s9, s12
	s_cbranch_execz .LBB277_424
; %bb.419:                              ;   in Loop: Header=BB277_417 Depth=1
	v_and_b32_e32 v29, 0x7f, v10
	v_mov_b32_e32 v28, 0x7c01
	s_mov_b32 s12, exec_lo
	v_cmpx_ne_u32_e32 0x7f, v29
	s_cbranch_execz .LBB277_423
; %bb.420:                              ;   in Loop: Header=BB277_417 Depth=1
	v_and_b32_e32 v2, 7, v10
	v_lshrrev_b32_e32 v26, 3, v29
	s_mov_b32 s13, exec_lo
	v_cmpx_gt_u32_e32 8, v29
; %bb.421:                              ;   in Loop: Header=BB277_417 Depth=1
	v_ffbh_u32_e32 v2, v2
	v_min_u32_e32 v2, 32, v2
	v_subrev_nc_u32_e32 v26, 28, v2
	v_lshlrev_b64 v[28:29], v26, v[10:11]
	v_sub_nc_u32_e32 v26, 29, v2
	v_and_b32_e32 v2, 7, v28
; %bb.422:                              ;   in Loop: Header=BB277_417 Depth=1
	s_or_b32 exec_lo, exec_lo, s13
	v_lshlrev_b32_e32 v28, 8, v10
	v_lshl_add_u32 v26, v26, 10, 0x2000
	v_lshlrev_b32_e32 v2, 7, v2
	v_and_b32_e32 v28, 0x8000, v28
	v_and_b32_e32 v26, 0xfc00, v26
	v_or3_b32 v28, v28, v26, v2
.LBB277_423:                            ;   in Loop: Header=BB277_417 Depth=1
	s_or_b32 exec_lo, exec_lo, s12
.LBB277_424:                            ;   in Loop: Header=BB277_417 Depth=1
	s_or_b32 exec_lo, exec_lo, s9
.LBB277_425:                            ;   in Loop: Header=BB277_417 Depth=1
	s_or_b32 exec_lo, exec_lo, s0
	v_lshrrev_b16 v2, 8, v10
	v_mov_b32_e32 v26, 0
	v_mov_b32_e32 v29, 0
	s_mov_b32 s0, exec_lo
	v_cmpx_ne_u16_e32 0, v2
	s_cbranch_execz .LBB277_433
; %bb.426:                              ;   in Loop: Header=BB277_417 Depth=1
	v_bfrev_b32_e32 v29, 1
	s_mov_b32 s9, exec_lo
	v_cmpx_ne_u16_e32 0x80, v2
	s_cbranch_execz .LBB277_432
; %bb.427:                              ;   in Loop: Header=BB277_417 Depth=1
	v_and_b32_sdwa v31, v2, v23 dst_sel:DWORD dst_unused:UNUSED_PAD src0_sel:WORD_0 src1_sel:DWORD
	v_mov_b32_e32 v29, 0x7c010000
	s_mov_b32 s12, exec_lo
	v_cmpx_ne_u32_e32 0x7f, v31
	s_cbranch_execz .LBB277_431
; %bb.428:                              ;   in Loop: Header=BB277_417 Depth=1
	v_and_b32_sdwa v29, v2, v24 dst_sel:DWORD dst_unused:UNUSED_PAD src0_sel:WORD_0 src1_sel:DWORD
	v_lshrrev_b32_e32 v30, 3, v31
	s_mov_b32 s13, exec_lo
	v_cmpx_gt_u32_e32 8, v31
; %bb.429:                              ;   in Loop: Header=BB277_417 Depth=1
	v_ffbh_u32_e32 v29, v29
	v_min_u32_e32 v31, 32, v29
	v_subrev_nc_u32_e32 v29, 28, v31
	v_lshlrev_b64 v[29:30], v29, v[2:3]
	v_sub_nc_u32_e32 v30, 29, v31
	v_and_b32_e32 v29, 7, v29
; %bb.430:                              ;   in Loop: Header=BB277_417 Depth=1
	s_or_b32 exec_lo, exec_lo, s13
	v_lshlrev_b32_sdwa v2, v25, v2 dst_sel:DWORD dst_unused:UNUSED_PAD src0_sel:DWORD src1_sel:WORD_0
	v_lshl_add_u32 v30, v30, 10, 0x2000
	v_lshlrev_b32_e32 v29, 23, v29
	v_and_or_b32 v2, 0x8000, v2, v30
	v_lshl_or_b32 v29, v2, 16, v29
.LBB277_431:                            ;   in Loop: Header=BB277_417 Depth=1
	s_or_b32 exec_lo, exec_lo, s12
.LBB277_432:                            ;   in Loop: Header=BB277_417 Depth=1
	s_or_b32 exec_lo, exec_lo, s9
.LBB277_433:                            ;   in Loop: Header=BB277_417 Depth=1
	s_or_b32 exec_lo, exec_lo, s0
	v_lshrrev_b32_e32 v2, 16, v10
	v_cmp_ne_u16_sdwa s9, v2, v3 src0_sel:BYTE_0 src1_sel:DWORD
	s_and_saveexec_b32 s0, s9
	s_cbranch_execz .LBB277_441
; %bb.434:                              ;   in Loop: Header=BB277_417 Depth=1
	v_cmp_ne_u16_sdwa s12, v2, v22 src0_sel:BYTE_0 src1_sel:DWORD
	v_mov_b32_e32 v26, 0x8000
	s_and_saveexec_b32 s9, s12
	s_cbranch_execz .LBB277_440
; %bb.435:                              ;   in Loop: Header=BB277_417 Depth=1
	v_bfe_u32 v31, v10, 16, 7
	v_mov_b32_e32 v26, 0x7c01
	s_mov_b32 s12, exec_lo
	v_cmpx_ne_u32_e32 0x7f, v31
	s_cbranch_execz .LBB277_439
; %bb.436:                              ;   in Loop: Header=BB277_417 Depth=1
	v_and_b32_e32 v26, 7, v2
	v_lshrrev_b32_e32 v30, 3, v31
	s_mov_b32 s13, exec_lo
	v_cmpx_gt_u32_e32 8, v31
; %bb.437:                              ;   in Loop: Header=BB277_417 Depth=1
	v_ffbh_u32_e32 v26, v26
	v_min_u32_e32 v26, 32, v26
	v_subrev_nc_u32_e32 v30, 28, v26
	v_lshlrev_b64 v[31:32], v30, v[2:3]
	v_sub_nc_u32_e32 v30, 29, v26
	v_and_b32_e32 v26, 7, v31
; %bb.438:                              ;   in Loop: Header=BB277_417 Depth=1
	s_or_b32 exec_lo, exec_lo, s13
	v_lshlrev_b32_e32 v2, 8, v2
	v_lshl_add_u32 v30, v30, 10, 0x2000
	v_lshlrev_b32_e32 v26, 7, v26
	v_and_b32_e32 v2, 0x8000, v2
	v_and_b32_e32 v30, 0xfc00, v30
	v_or3_b32 v26, v2, v30, v26
.LBB277_439:                            ;   in Loop: Header=BB277_417 Depth=1
	s_or_b32 exec_lo, exec_lo, s12
.LBB277_440:                            ;   in Loop: Header=BB277_417 Depth=1
	s_or_b32 exec_lo, exec_lo, s9
.LBB277_441:                            ;   in Loop: Header=BB277_417 Depth=1
	s_or_b32 exec_lo, exec_lo, s0
	v_mov_b32_e32 v30, 0
	v_mov_b32_e32 v31, 0
	s_mov_b32 s0, exec_lo
	v_cmpx_lt_u32_e32 0xffffff, v10
	s_cbranch_execz .LBB277_449
; %bb.442:                              ;   in Loop: Header=BB277_417 Depth=1
	v_lshrrev_b32_e32 v2, 24, v10
	v_bfrev_b32_e32 v31, 1
	s_mov_b32 s9, exec_lo
	v_cmpx_ne_u32_e32 0x80, v2
	s_cbranch_execz .LBB277_448
; %bb.443:                              ;   in Loop: Header=BB277_417 Depth=1
	v_and_b32_e32 v41, 0x7f, v2
	v_mov_b32_e32 v31, 0x7c010000
	s_mov_b32 s12, exec_lo
	v_cmpx_ne_u32_e32 0x7f, v41
	s_cbranch_execz .LBB277_447
; %bb.444:                              ;   in Loop: Header=BB277_417 Depth=1
	v_and_b32_e32 v31, 7, v2
	v_lshrrev_b32_e32 v32, 3, v41
	s_mov_b32 s13, exec_lo
	v_cmpx_gt_u32_e32 8, v41
; %bb.445:                              ;   in Loop: Header=BB277_417 Depth=1
	v_ffbh_u32_e32 v31, v31
	v_min_u32_e32 v41, 32, v31
	v_subrev_nc_u32_e32 v31, 28, v41
	v_lshlrev_b64 v[31:32], v31, v[2:3]
	v_sub_nc_u32_e32 v32, 29, v41
	v_and_b32_e32 v31, 7, v31
; %bb.446:                              ;   in Loop: Header=BB277_417 Depth=1
	s_or_b32 exec_lo, exec_lo, s13
	v_lshlrev_b32_e32 v2, 8, v2
	v_lshl_add_u32 v32, v32, 10, 0x2000
	v_lshlrev_b32_e32 v31, 23, v31
	v_and_or_b32 v2, 0x8000, v2, v32
	v_lshl_or_b32 v31, v2, 16, v31
.LBB277_447:                            ;   in Loop: Header=BB277_417 Depth=1
	s_or_b32 exec_lo, exec_lo, s12
.LBB277_448:                            ;   in Loop: Header=BB277_417 Depth=1
	s_or_b32 exec_lo, exec_lo, s9
.LBB277_449:                            ;   in Loop: Header=BB277_417 Depth=1
	s_or_b32 exec_lo, exec_lo, s0
	v_mov_b32_e32 v2, v11
	v_cmp_ne_u16_sdwa s9, v11, v3 src0_sel:BYTE_0 src1_sel:DWORD
	s_and_saveexec_b32 s0, s9
	s_cbranch_execz .LBB277_457
; %bb.450:                              ;   in Loop: Header=BB277_417 Depth=1
	v_cmp_ne_u16_sdwa s12, v11, v22 src0_sel:BYTE_0 src1_sel:DWORD
	v_mov_b32_e32 v30, 0x8000
	s_and_saveexec_b32 s9, s12
	s_cbranch_execz .LBB277_456
; %bb.451:                              ;   in Loop: Header=BB277_417 Depth=1
	v_and_b32_e32 v41, 0x7f, v11
	v_mov_b32_e32 v30, 0x7c01
	s_mov_b32 s12, exec_lo
	v_cmpx_ne_u32_e32 0x7f, v41
	s_cbranch_execz .LBB277_455
; %bb.452:                              ;   in Loop: Header=BB277_417 Depth=1
	v_and_b32_e32 v30, 7, v11
	v_lshrrev_b32_e32 v32, 3, v41
	s_mov_b32 s13, exec_lo
	v_cmpx_gt_u32_e32 8, v41
; %bb.453:                              ;   in Loop: Header=BB277_417 Depth=1
	v_ffbh_u32_e32 v30, v30
	v_min_u32_e32 v30, 32, v30
	v_subrev_nc_u32_e32 v32, 28, v30
	v_lshlrev_b64 v[41:42], v32, v[2:3]
	v_sub_nc_u32_e32 v32, 29, v30
	v_and_b32_e32 v30, 7, v41
; %bb.454:                              ;   in Loop: Header=BB277_417 Depth=1
	s_or_b32 exec_lo, exec_lo, s13
	v_lshlrev_b32_e32 v41, 8, v11
	v_lshl_add_u32 v32, v32, 10, 0x2000
	v_lshlrev_b32_e32 v30, 7, v30
	v_and_b32_e32 v41, 0x8000, v41
	v_and_b32_e32 v32, 0xfc00, v32
	v_or3_b32 v30, v41, v32, v30
.LBB277_455:                            ;   in Loop: Header=BB277_417 Depth=1
	s_or_b32 exec_lo, exec_lo, s12
.LBB277_456:                            ;   in Loop: Header=BB277_417 Depth=1
	s_or_b32 exec_lo, exec_lo, s9
.LBB277_457:                            ;   in Loop: Header=BB277_417 Depth=1
	s_or_b32 exec_lo, exec_lo, s0
	v_lshrrev_b16 v2, 8, v2
	v_mov_b32_e32 v41, 0
	v_mov_b32_e32 v32, 0
	s_mov_b32 s0, exec_lo
	v_cmpx_ne_u16_e32 0, v2
	s_cbranch_execz .LBB277_465
; %bb.458:                              ;   in Loop: Header=BB277_417 Depth=1
	v_bfrev_b32_e32 v32, 1
	s_mov_b32 s9, exec_lo
	v_cmpx_ne_u16_e32 0x80, v2
	s_cbranch_execz .LBB277_464
; %bb.459:                              ;   in Loop: Header=BB277_417 Depth=1
	v_and_b32_sdwa v43, v2, v23 dst_sel:DWORD dst_unused:UNUSED_PAD src0_sel:WORD_0 src1_sel:DWORD
	v_mov_b32_e32 v32, 0x7c010000
	s_mov_b32 s12, exec_lo
	v_cmpx_ne_u32_e32 0x7f, v43
	s_cbranch_execz .LBB277_463
; %bb.460:                              ;   in Loop: Header=BB277_417 Depth=1
	v_and_b32_sdwa v32, v2, v24 dst_sel:DWORD dst_unused:UNUSED_PAD src0_sel:WORD_0 src1_sel:DWORD
	v_lshrrev_b32_e32 v42, 3, v43
	s_mov_b32 s13, exec_lo
	v_cmpx_gt_u32_e32 8, v43
; %bb.461:                              ;   in Loop: Header=BB277_417 Depth=1
	v_ffbh_u32_e32 v32, v32
	v_min_u32_e32 v32, 32, v32
	v_subrev_nc_u32_e32 v42, 28, v32
	v_lshlrev_b64 v[43:44], v42, v[2:3]
	v_sub_nc_u32_e32 v42, 29, v32
	v_and_b32_e32 v32, 7, v43
; %bb.462:                              ;   in Loop: Header=BB277_417 Depth=1
	s_or_b32 exec_lo, exec_lo, s13
	v_lshlrev_b32_sdwa v2, v25, v2 dst_sel:DWORD dst_unused:UNUSED_PAD src0_sel:DWORD src1_sel:WORD_0
	v_lshl_add_u32 v42, v42, 10, 0x2000
	v_lshlrev_b32_e32 v32, 23, v32
	v_and_or_b32 v2, 0x8000, v2, v42
	v_lshl_or_b32 v32, v2, 16, v32
.LBB277_463:                            ;   in Loop: Header=BB277_417 Depth=1
	s_or_b32 exec_lo, exec_lo, s12
.LBB277_464:                            ;   in Loop: Header=BB277_417 Depth=1
	s_or_b32 exec_lo, exec_lo, s9
.LBB277_465:                            ;   in Loop: Header=BB277_417 Depth=1
	s_or_b32 exec_lo, exec_lo, s0
	v_lshrrev_b32_e32 v2, 16, v11
	v_cmp_ne_u16_sdwa s9, v2, v3 src0_sel:BYTE_0 src1_sel:DWORD
	s_and_saveexec_b32 s0, s9
	s_cbranch_execz .LBB277_473
; %bb.466:                              ;   in Loop: Header=BB277_417 Depth=1
	v_cmp_ne_u16_sdwa s12, v2, v22 src0_sel:BYTE_0 src1_sel:DWORD
	v_mov_b32_e32 v41, 0x8000
	s_and_saveexec_b32 s9, s12
	s_cbranch_execz .LBB277_472
; %bb.467:                              ;   in Loop: Header=BB277_417 Depth=1
	v_bfe_u32 v43, v11, 16, 7
	v_mov_b32_e32 v41, 0x7c01
	s_mov_b32 s12, exec_lo
	v_cmpx_ne_u32_e32 0x7f, v43
	s_cbranch_execz .LBB277_471
; %bb.468:                              ;   in Loop: Header=BB277_417 Depth=1
	v_and_b32_e32 v41, 7, v2
	v_lshrrev_b32_e32 v42, 3, v43
	s_mov_b32 s13, exec_lo
	v_cmpx_gt_u32_e32 8, v43
; %bb.469:                              ;   in Loop: Header=BB277_417 Depth=1
	v_ffbh_u32_e32 v41, v41
	v_min_u32_e32 v43, 32, v41
	v_subrev_nc_u32_e32 v41, 28, v43
	v_lshlrev_b64 v[41:42], v41, v[2:3]
	v_sub_nc_u32_e32 v42, 29, v43
	v_and_b32_e32 v41, 7, v41
; %bb.470:                              ;   in Loop: Header=BB277_417 Depth=1
	s_or_b32 exec_lo, exec_lo, s13
	v_lshlrev_b32_e32 v2, 8, v2
	v_lshl_add_u32 v42, v42, 10, 0x2000
	v_lshlrev_b32_e32 v41, 7, v41
	v_and_b32_e32 v2, 0x8000, v2
	v_and_b32_e32 v42, 0xfc00, v42
	v_or3_b32 v41, v2, v42, v41
.LBB277_471:                            ;   in Loop: Header=BB277_417 Depth=1
	s_or_b32 exec_lo, exec_lo, s12
.LBB277_472:                            ;   in Loop: Header=BB277_417 Depth=1
	s_or_b32 exec_lo, exec_lo, s9
.LBB277_473:                            ;   in Loop: Header=BB277_417 Depth=1
	s_or_b32 exec_lo, exec_lo, s0
	v_cmp_lt_u64_e32 vcc_lo, s[4:5], v[10:11]
	v_mov_b32_e32 v10, 0
	s_and_saveexec_b32 s0, vcc_lo
	s_cbranch_execz .LBB277_481
; %bb.474:                              ;   in Loop: Header=BB277_417 Depth=1
	v_lshrrev_b32_e32 v2, 24, v11
	v_bfrev_b32_e32 v10, 1
	s_mov_b32 s9, exec_lo
	v_cmpx_ne_u32_e32 0x80, v2
	s_cbranch_execz .LBB277_480
; %bb.475:                              ;   in Loop: Header=BB277_417 Depth=1
	v_and_b32_e32 v42, 0x7f, v2
	v_mov_b32_e32 v10, 0x7c010000
	s_mov_b32 s12, exec_lo
	v_cmpx_ne_u32_e32 0x7f, v42
	s_cbranch_execz .LBB277_479
; %bb.476:                              ;   in Loop: Header=BB277_417 Depth=1
	v_and_b32_e32 v10, 7, v2
	v_lshrrev_b32_e32 v11, 3, v42
	s_mov_b32 s13, exec_lo
	v_cmpx_gt_u32_e32 8, v42
; %bb.477:                              ;   in Loop: Header=BB277_417 Depth=1
	v_ffbh_u32_e32 v10, v10
	v_min_u32_e32 v42, 32, v10
	v_subrev_nc_u32_e32 v10, 28, v42
	v_lshlrev_b64 v[10:11], v10, v[2:3]
	v_sub_nc_u32_e32 v11, 29, v42
	v_and_b32_e32 v10, 7, v10
; %bb.478:                              ;   in Loop: Header=BB277_417 Depth=1
	s_or_b32 exec_lo, exec_lo, s13
	v_lshlrev_b32_e32 v2, 8, v2
	v_lshl_add_u32 v11, v11, 10, 0x2000
	v_lshlrev_b32_e32 v10, 23, v10
	v_and_or_b32 v2, 0x8000, v2, v11
	v_lshl_or_b32 v10, v2, 16, v10
.LBB277_479:                            ;   in Loop: Header=BB277_417 Depth=1
	s_or_b32 exec_lo, exec_lo, s12
.LBB277_480:                            ;   in Loop: Header=BB277_417 Depth=1
	s_or_b32 exec_lo, exec_lo, s9
.LBB277_481:                            ;   in Loop: Header=BB277_417 Depth=1
	s_or_b32 exec_lo, exec_lo, s0
	v_or_b32_e32 v2, v31, v26
	s_waitcnt vmcnt(0)
	v_fma_mixlo_f16 v11, v27, v31, 0 op_sel:[0,1,0] op_sel_hi:[0,1,0]
	v_or_b32_e32 v28, v29, v28
	v_fma_mixlo_f16 v29, v27, v29, 0 op_sel:[0,1,0] op_sel_hi:[0,1,0]
	v_or_b32_e32 v30, v32, v30
	v_fma_mixlo_f16 v2, v27, v2, 0 op_sel_hi:[0,1,0]
	v_or_b32_e32 v31, v10, v41
	v_fma_mixlo_f16 v10, v27, v10, 0 op_sel:[0,1,0] op_sel_hi:[0,1,0]
	v_lshlrev_b32_e32 v47, 16, v29
	v_fma_mixlo_f16 v29, v27, v30, 0 op_sel_hi:[0,1,0]
	v_and_b32_e32 v44, 0xffff, v2
	v_fma_mixlo_f16 v2, v27, v28, 0 op_sel_hi:[0,1,0]
	v_fma_mixlo_f16 v28, v27, v32, 0 op_sel:[0,1,0] op_sel_hi:[0,1,0]
	v_fma_mixlo_f16 v27, v27, v31, 0 op_sel_hi:[0,1,0]
	v_lshlrev_b32_e32 v11, 16, v11
	v_and_b32_e32 v48, 0xffff, v29
	v_and_b32_e32 v49, 0xffff, v2
	v_lshlrev_b32_e32 v45, 16, v28
	v_lshlrev_b32_e32 v42, 16, v10
	v_and_b32_e32 v46, 0xffff, v27
	v_add_nc_u32_e32 v26, -7, v20
	v_cmp_eq_u32_e32 vcc_lo, s16, v1
	v_or_b32_e32 v2, v11, v44
	v_or_b32_e32 v10, v47, v49
	;; [unrolled: 1-line block ×4, first 2 shown]
	v_add_nc_u32_e32 v32, -6, v20
	v_add_nc_u32_e32 v31, -5, v20
	;; [unrolled: 1-line block ×6, first 2 shown]
	s_and_saveexec_b32 s9, vcc_lo
	s_cbranch_execz .LBB277_483
; %bb.482:                              ;   in Loop: Header=BB277_417 Depth=1
	v_cmp_gt_i32_e64 s0, s27, v26
	v_cndmask_b32_e64 v2, 0, v49, s0
	v_cmp_gt_i32_e64 s0, s27, v32
	v_cndmask_b32_e64 v10, 0, v47, s0
	v_cmp_gt_i32_e64 s0, s27, v31
	v_or_b32_e32 v10, v10, v2
	v_cndmask_b32_e64 v41, 0, v44, s0
	v_cmp_gt_i32_e64 s0, s27, v30
	v_cndmask_b32_e64 v11, 0, v11, s0
	v_cmp_gt_i32_e64 s0, s27, v29
	v_or_b32_e32 v2, v11, v41
	;; [unrolled: 5-line block ×3, first 2 shown]
	v_cndmask_b32_e64 v45, 0, v46, s0
	v_cmp_gt_i32_e64 s0, s27, v20
	v_cndmask_b32_e64 v42, 0, v42, s0
	v_or_b32_e32 v43, v42, v45
.LBB277_483:                            ;   in Loop: Header=BB277_417 Depth=1
	s_or_b32 exec_lo, exec_lo, s9
	v_and_b32_e32 v11, 0xffff, v33
	v_and_b32_e32 v33, 0xffff, v36
	;; [unrolled: 1-line block ×4, first 2 shown]
	v_lshl_or_b32 v38, v34, 16, v11
	v_lshl_or_b32 v36, v35, 16, v33
	;;#ASMSTART
	v_pk_mul_f16 v10, v38, v10;

	;;#ASMEND
	;;#ASMSTART
	v_pk_mul_f16 v2, v36, v2;

	;;#ASMEND
	v_lshl_or_b32 v34, v37, 16, v42
	v_lshl_or_b32 v33, v39, 16, v40
	;;#ASMSTART
	v_pk_mul_f16 v11, v34, v41;

	;;#ASMEND
	;;#ASMSTART
	v_pk_mul_f16 v35, v33, v43;

	;;#ASMEND
	;;#ASMSTART
	v_pk_add_f16 v2, v10, v2;

	;;#ASMEND
	;;#ASMSTART
	v_pk_add_f16 v2, v2, v11;
	;; [unrolled: 4-line block ×3, first 2 shown]

	;;#ASMEND
	v_and_b32_e32 v10, 0xffff, v2
	v_lshrrev_b32_e32 v2, 16, v2
	;;#ASMSTART
	v_cvt_f32_f16 v35, v10;
	;;#ASMEND
	;;#ASMSTART
	v_cvt_f32_f16 v37, v2;
	;;#ASMEND
	global_load_dwordx2 v[10:11], v[8:9], off offset:256
	v_mov_b32_e32 v40, 0
	v_mov_b32_e32 v41, 0
	global_load_dword v39, v40, s[14:15]
	s_waitcnt vmcnt(1)
	v_cmp_ne_u16_sdwa s0, v10, v3 src0_sel:BYTE_0 src1_sel:DWORD
	s_and_saveexec_b32 s9, s0
	s_cbranch_execz .LBB277_491
; %bb.484:                              ;   in Loop: Header=BB277_417 Depth=1
	v_cmp_ne_u16_sdwa s0, v10, v22 src0_sel:BYTE_0 src1_sel:DWORD
	v_mov_b32_e32 v41, 0x8000
	s_and_saveexec_b32 s12, s0
	s_cbranch_execz .LBB277_490
; %bb.485:                              ;   in Loop: Header=BB277_417 Depth=1
	v_and_b32_e32 v42, 0x7f, v10
	v_mov_b32_e32 v41, 0x7c01
	s_mov_b32 s13, exec_lo
	v_cmpx_ne_u32_e32 0x7f, v42
	s_cbranch_execz .LBB277_489
; %bb.486:                              ;   in Loop: Header=BB277_417 Depth=1
	v_and_b32_e32 v2, 7, v10
	v_lshrrev_b32_e32 v41, 3, v42
	s_mov_b32 s17, exec_lo
	v_cmpx_gt_u32_e32 8, v42
; %bb.487:                              ;   in Loop: Header=BB277_417 Depth=1
	v_ffbh_u32_e32 v2, v2
	v_min_u32_e32 v2, 32, v2
	v_subrev_nc_u32_e32 v41, 28, v2
	v_lshlrev_b64 v[42:43], v41, v[10:11]
	v_sub_nc_u32_e32 v41, 29, v2
	v_and_b32_e32 v2, 7, v42
; %bb.488:                              ;   in Loop: Header=BB277_417 Depth=1
	s_or_b32 exec_lo, exec_lo, s17
	v_lshlrev_b32_e32 v42, 8, v10
	v_lshl_add_u32 v41, v41, 10, 0x2000
	v_lshlrev_b32_e32 v2, 7, v2
	v_and_b32_e32 v42, 0x8000, v42
	v_and_b32_e32 v41, 0xfc00, v41
	v_or3_b32 v41, v42, v41, v2
.LBB277_489:                            ;   in Loop: Header=BB277_417 Depth=1
	s_or_b32 exec_lo, exec_lo, s13
.LBB277_490:                            ;   in Loop: Header=BB277_417 Depth=1
	s_or_b32 exec_lo, exec_lo, s12
.LBB277_491:                            ;   in Loop: Header=BB277_417 Depth=1
	s_or_b32 exec_lo, exec_lo, s9
	v_lshrrev_b16 v2, 8, v10
	s_mov_b32 s9, exec_lo
	v_cmpx_ne_u16_e32 0, v2
	s_cbranch_execz .LBB277_499
; %bb.492:                              ;   in Loop: Header=BB277_417 Depth=1
	v_bfrev_b32_e32 v40, 1
	s_mov_b32 s12, exec_lo
	v_cmpx_ne_u16_e32 0x80, v2
	s_cbranch_execz .LBB277_498
; %bb.493:                              ;   in Loop: Header=BB277_417 Depth=1
	v_and_b32_sdwa v43, v2, v23 dst_sel:DWORD dst_unused:UNUSED_PAD src0_sel:WORD_0 src1_sel:DWORD
	v_mov_b32_e32 v40, 0x7c010000
	s_mov_b32 s13, exec_lo
	v_cmpx_ne_u32_e32 0x7f, v43
	s_cbranch_execz .LBB277_497
; %bb.494:                              ;   in Loop: Header=BB277_417 Depth=1
	v_and_b32_sdwa v40, v2, v24 dst_sel:DWORD dst_unused:UNUSED_PAD src0_sel:WORD_0 src1_sel:DWORD
	v_lshrrev_b32_e32 v42, 3, v43
	s_mov_b32 s17, exec_lo
	v_cmpx_gt_u32_e32 8, v43
; %bb.495:                              ;   in Loop: Header=BB277_417 Depth=1
	v_ffbh_u32_e32 v40, v40
	v_min_u32_e32 v40, 32, v40
	v_subrev_nc_u32_e32 v42, 28, v40
	v_lshlrev_b64 v[43:44], v42, v[2:3]
	v_sub_nc_u32_e32 v42, 29, v40
	v_and_b32_e32 v40, 7, v43
; %bb.496:                              ;   in Loop: Header=BB277_417 Depth=1
	s_or_b32 exec_lo, exec_lo, s17
	v_lshlrev_b32_sdwa v2, v25, v2 dst_sel:DWORD dst_unused:UNUSED_PAD src0_sel:DWORD src1_sel:WORD_0
	v_lshl_add_u32 v42, v42, 10, 0x2000
	v_lshlrev_b32_e32 v40, 23, v40
	v_and_or_b32 v2, 0x8000, v2, v42
	v_lshl_or_b32 v40, v2, 16, v40
.LBB277_497:                            ;   in Loop: Header=BB277_417 Depth=1
	s_or_b32 exec_lo, exec_lo, s13
.LBB277_498:                            ;   in Loop: Header=BB277_417 Depth=1
	s_or_b32 exec_lo, exec_lo, s12
.LBB277_499:                            ;   in Loop: Header=BB277_417 Depth=1
	s_or_b32 exec_lo, exec_lo, s9
	v_lshrrev_b32_e32 v2, 16, v10
	v_mov_b32_e32 v42, 0
	v_mov_b32_e32 v43, 0
	v_cmp_ne_u16_sdwa s0, v2, v3 src0_sel:BYTE_0 src1_sel:DWORD
	s_and_saveexec_b32 s9, s0
	s_cbranch_execz .LBB277_507
; %bb.500:                              ;   in Loop: Header=BB277_417 Depth=1
	v_cmp_ne_u16_sdwa s0, v2, v22 src0_sel:BYTE_0 src1_sel:DWORD
	v_mov_b32_e32 v43, 0x8000
	s_and_saveexec_b32 s12, s0
	s_cbranch_execz .LBB277_506
; %bb.501:                              ;   in Loop: Header=BB277_417 Depth=1
	v_bfe_u32 v45, v10, 16, 7
	v_mov_b32_e32 v43, 0x7c01
	s_mov_b32 s13, exec_lo
	v_cmpx_ne_u32_e32 0x7f, v45
	s_cbranch_execz .LBB277_505
; %bb.502:                              ;   in Loop: Header=BB277_417 Depth=1
	v_and_b32_e32 v43, 7, v2
	v_lshrrev_b32_e32 v44, 3, v45
	s_mov_b32 s17, exec_lo
	v_cmpx_gt_u32_e32 8, v45
; %bb.503:                              ;   in Loop: Header=BB277_417 Depth=1
	v_ffbh_u32_e32 v43, v43
	v_min_u32_e32 v45, 32, v43
	v_subrev_nc_u32_e32 v43, 28, v45
	v_lshlrev_b64 v[43:44], v43, v[2:3]
	v_sub_nc_u32_e32 v44, 29, v45
	v_and_b32_e32 v43, 7, v43
; %bb.504:                              ;   in Loop: Header=BB277_417 Depth=1
	s_or_b32 exec_lo, exec_lo, s17
	v_lshlrev_b32_e32 v2, 8, v2
	v_lshl_add_u32 v44, v44, 10, 0x2000
	v_lshlrev_b32_e32 v43, 7, v43
	v_and_b32_e32 v2, 0x8000, v2
	v_and_b32_e32 v44, 0xfc00, v44
	v_or3_b32 v43, v2, v44, v43
.LBB277_505:                            ;   in Loop: Header=BB277_417 Depth=1
	s_or_b32 exec_lo, exec_lo, s13
.LBB277_506:                            ;   in Loop: Header=BB277_417 Depth=1
	s_or_b32 exec_lo, exec_lo, s12
.LBB277_507:                            ;   in Loop: Header=BB277_417 Depth=1
	s_or_b32 exec_lo, exec_lo, s9
	s_mov_b32 s9, exec_lo
	v_cmpx_lt_u32_e32 0xffffff, v10
	s_cbranch_execz .LBB277_515
; %bb.508:                              ;   in Loop: Header=BB277_417 Depth=1
	v_lshrrev_b32_e32 v2, 24, v10
	v_bfrev_b32_e32 v42, 1
	s_mov_b32 s12, exec_lo
	v_cmpx_ne_u32_e32 0x80, v2
	s_cbranch_execz .LBB277_514
; %bb.509:                              ;   in Loop: Header=BB277_417 Depth=1
	v_and_b32_e32 v45, 0x7f, v2
	v_mov_b32_e32 v42, 0x7c010000
	s_mov_b32 s13, exec_lo
	v_cmpx_ne_u32_e32 0x7f, v45
	s_cbranch_execz .LBB277_513
; %bb.510:                              ;   in Loop: Header=BB277_417 Depth=1
	v_and_b32_e32 v42, 7, v2
	v_lshrrev_b32_e32 v44, 3, v45
	s_mov_b32 s17, exec_lo
	v_cmpx_gt_u32_e32 8, v45
; %bb.511:                              ;   in Loop: Header=BB277_417 Depth=1
	v_ffbh_u32_e32 v42, v42
	v_min_u32_e32 v42, 32, v42
	v_subrev_nc_u32_e32 v44, 28, v42
	v_lshlrev_b64 v[45:46], v44, v[2:3]
	v_sub_nc_u32_e32 v44, 29, v42
	v_and_b32_e32 v42, 7, v45
; %bb.512:                              ;   in Loop: Header=BB277_417 Depth=1
	s_or_b32 exec_lo, exec_lo, s17
	v_lshlrev_b32_e32 v2, 8, v2
	v_lshl_add_u32 v44, v44, 10, 0x2000
	v_lshlrev_b32_e32 v42, 23, v42
	v_and_or_b32 v2, 0x8000, v2, v44
	v_lshl_or_b32 v42, v2, 16, v42
.LBB277_513:                            ;   in Loop: Header=BB277_417 Depth=1
	s_or_b32 exec_lo, exec_lo, s13
.LBB277_514:                            ;   in Loop: Header=BB277_417 Depth=1
	s_or_b32 exec_lo, exec_lo, s12
.LBB277_515:                            ;   in Loop: Header=BB277_417 Depth=1
	s_or_b32 exec_lo, exec_lo, s9
	v_mov_b32_e32 v2, v11
	v_cmp_ne_u16_sdwa s0, v11, v3 src0_sel:BYTE_0 src1_sel:DWORD
	v_mov_b32_e32 v44, 0
	v_mov_b32_e32 v45, 0
	s_and_saveexec_b32 s9, s0
	s_cbranch_execz .LBB277_523
; %bb.516:                              ;   in Loop: Header=BB277_417 Depth=1
	v_cmp_ne_u16_sdwa s0, v11, v22 src0_sel:BYTE_0 src1_sel:DWORD
	v_mov_b32_e32 v45, 0x8000
	s_and_saveexec_b32 s12, s0
	s_cbranch_execz .LBB277_522
; %bb.517:                              ;   in Loop: Header=BB277_417 Depth=1
	v_and_b32_e32 v47, 0x7f, v11
	v_mov_b32_e32 v45, 0x7c01
	s_mov_b32 s13, exec_lo
	v_cmpx_ne_u32_e32 0x7f, v47
	s_cbranch_execz .LBB277_521
; %bb.518:                              ;   in Loop: Header=BB277_417 Depth=1
	v_and_b32_e32 v45, 7, v11
	v_lshrrev_b32_e32 v46, 3, v47
	s_mov_b32 s17, exec_lo
	v_cmpx_gt_u32_e32 8, v47
; %bb.519:                              ;   in Loop: Header=BB277_417 Depth=1
	v_ffbh_u32_e32 v45, v45
	v_min_u32_e32 v47, 32, v45
	v_subrev_nc_u32_e32 v45, 28, v47
	v_lshlrev_b64 v[45:46], v45, v[2:3]
	v_sub_nc_u32_e32 v46, 29, v47
	v_and_b32_e32 v45, 7, v45
; %bb.520:                              ;   in Loop: Header=BB277_417 Depth=1
	s_or_b32 exec_lo, exec_lo, s17
	v_lshlrev_b32_e32 v47, 8, v11
	v_lshl_add_u32 v46, v46, 10, 0x2000
	v_lshlrev_b32_e32 v45, 7, v45
	v_and_b32_e32 v47, 0x8000, v47
	v_and_b32_e32 v46, 0xfc00, v46
	v_or3_b32 v45, v47, v46, v45
.LBB277_521:                            ;   in Loop: Header=BB277_417 Depth=1
	s_or_b32 exec_lo, exec_lo, s13
.LBB277_522:                            ;   in Loop: Header=BB277_417 Depth=1
	s_or_b32 exec_lo, exec_lo, s12
.LBB277_523:                            ;   in Loop: Header=BB277_417 Depth=1
	s_or_b32 exec_lo, exec_lo, s9
	v_lshrrev_b16 v2, 8, v2
	v_mov_b32_e32 v46, 0
	s_mov_b32 s9, exec_lo
	v_cmpx_ne_u16_e32 0, v2
	s_cbranch_execz .LBB277_531
; %bb.524:                              ;   in Loop: Header=BB277_417 Depth=1
	v_bfrev_b32_e32 v46, 1
	s_mov_b32 s12, exec_lo
	v_cmpx_ne_u16_e32 0x80, v2
	s_cbranch_execz .LBB277_530
; %bb.525:                              ;   in Loop: Header=BB277_417 Depth=1
	v_and_b32_sdwa v48, v2, v23 dst_sel:DWORD dst_unused:UNUSED_PAD src0_sel:WORD_0 src1_sel:DWORD
	v_mov_b32_e32 v46, 0x7c010000
	s_mov_b32 s13, exec_lo
	v_cmpx_ne_u32_e32 0x7f, v48
	s_cbranch_execz .LBB277_529
; %bb.526:                              ;   in Loop: Header=BB277_417 Depth=1
	v_and_b32_sdwa v46, v2, v24 dst_sel:DWORD dst_unused:UNUSED_PAD src0_sel:WORD_0 src1_sel:DWORD
	v_lshrrev_b32_e32 v47, 3, v48
	s_mov_b32 s17, exec_lo
	v_cmpx_gt_u32_e32 8, v48
; %bb.527:                              ;   in Loop: Header=BB277_417 Depth=1
	v_ffbh_u32_e32 v46, v46
	v_min_u32_e32 v48, 32, v46
	v_subrev_nc_u32_e32 v46, 28, v48
	v_lshlrev_b64 v[46:47], v46, v[2:3]
	v_sub_nc_u32_e32 v47, 29, v48
	v_and_b32_e32 v46, 7, v46
; %bb.528:                              ;   in Loop: Header=BB277_417 Depth=1
	s_or_b32 exec_lo, exec_lo, s17
	v_lshlrev_b32_sdwa v2, v25, v2 dst_sel:DWORD dst_unused:UNUSED_PAD src0_sel:DWORD src1_sel:WORD_0
	v_lshl_add_u32 v47, v47, 10, 0x2000
	v_lshlrev_b32_e32 v46, 23, v46
	v_and_or_b32 v2, 0x8000, v2, v47
	v_lshl_or_b32 v46, v2, 16, v46
.LBB277_529:                            ;   in Loop: Header=BB277_417 Depth=1
	s_or_b32 exec_lo, exec_lo, s13
.LBB277_530:                            ;   in Loop: Header=BB277_417 Depth=1
	s_or_b32 exec_lo, exec_lo, s12
.LBB277_531:                            ;   in Loop: Header=BB277_417 Depth=1
	s_or_b32 exec_lo, exec_lo, s9
	v_lshrrev_b32_e32 v2, 16, v11
	v_cmp_ne_u16_sdwa s0, v2, v3 src0_sel:BYTE_0 src1_sel:DWORD
	s_and_saveexec_b32 s9, s0
	s_cbranch_execz .LBB277_539
; %bb.532:                              ;   in Loop: Header=BB277_417 Depth=1
	v_cmp_ne_u16_sdwa s0, v2, v22 src0_sel:BYTE_0 src1_sel:DWORD
	v_mov_b32_e32 v44, 0x8000
	s_and_saveexec_b32 s12, s0
	s_cbranch_execz .LBB277_538
; %bb.533:                              ;   in Loop: Header=BB277_417 Depth=1
	v_bfe_u32 v48, v11, 16, 7
	v_mov_b32_e32 v44, 0x7c01
	s_mov_b32 s13, exec_lo
	v_cmpx_ne_u32_e32 0x7f, v48
	s_cbranch_execz .LBB277_537
; %bb.534:                              ;   in Loop: Header=BB277_417 Depth=1
	v_and_b32_e32 v44, 7, v2
	v_lshrrev_b32_e32 v47, 3, v48
	s_mov_b32 s17, exec_lo
	v_cmpx_gt_u32_e32 8, v48
; %bb.535:                              ;   in Loop: Header=BB277_417 Depth=1
	v_ffbh_u32_e32 v44, v44
	v_min_u32_e32 v44, 32, v44
	v_subrev_nc_u32_e32 v47, 28, v44
	v_lshlrev_b64 v[48:49], v47, v[2:3]
	v_sub_nc_u32_e32 v47, 29, v44
	v_and_b32_e32 v44, 7, v48
; %bb.536:                              ;   in Loop: Header=BB277_417 Depth=1
	s_or_b32 exec_lo, exec_lo, s17
	v_lshlrev_b32_e32 v2, 8, v2
	v_lshl_add_u32 v47, v47, 10, 0x2000
	v_lshlrev_b32_e32 v44, 7, v44
	v_and_b32_e32 v2, 0x8000, v2
	v_and_b32_e32 v47, 0xfc00, v47
	v_or3_b32 v44, v2, v47, v44
.LBB277_537:                            ;   in Loop: Header=BB277_417 Depth=1
	s_or_b32 exec_lo, exec_lo, s13
.LBB277_538:                            ;   in Loop: Header=BB277_417 Depth=1
	s_or_b32 exec_lo, exec_lo, s12
.LBB277_539:                            ;   in Loop: Header=BB277_417 Depth=1
	s_or_b32 exec_lo, exec_lo, s9
	v_cmp_lt_u64_e64 s0, s[4:5], v[10:11]
	v_mov_b32_e32 v10, 0
	s_and_saveexec_b32 s9, s0
	s_cbranch_execz .LBB277_547
; %bb.540:                              ;   in Loop: Header=BB277_417 Depth=1
	v_lshrrev_b32_e32 v2, 24, v11
	v_bfrev_b32_e32 v10, 1
	s_mov_b32 s12, exec_lo
	v_cmpx_ne_u32_e32 0x80, v2
	s_cbranch_execz .LBB277_546
; %bb.541:                              ;   in Loop: Header=BB277_417 Depth=1
	v_and_b32_e32 v47, 0x7f, v2
	v_mov_b32_e32 v10, 0x7c010000
	s_mov_b32 s13, exec_lo
	v_cmpx_ne_u32_e32 0x7f, v47
	s_cbranch_execz .LBB277_545
; %bb.542:                              ;   in Loop: Header=BB277_417 Depth=1
	v_and_b32_e32 v10, 7, v2
	v_lshrrev_b32_e32 v11, 3, v47
	s_mov_b32 s17, exec_lo
	v_cmpx_gt_u32_e32 8, v47
; %bb.543:                              ;   in Loop: Header=BB277_417 Depth=1
	v_ffbh_u32_e32 v10, v10
	v_min_u32_e32 v47, 32, v10
	v_subrev_nc_u32_e32 v10, 28, v47
	v_lshlrev_b64 v[10:11], v10, v[2:3]
	v_sub_nc_u32_e32 v11, 29, v47
	v_and_b32_e32 v10, 7, v10
; %bb.544:                              ;   in Loop: Header=BB277_417 Depth=1
	s_or_b32 exec_lo, exec_lo, s17
	v_lshlrev_b32_e32 v2, 8, v2
	v_lshl_add_u32 v11, v11, 10, 0x2000
	v_lshlrev_b32_e32 v10, 23, v10
	v_and_or_b32 v2, 0x8000, v2, v11
	v_lshl_or_b32 v10, v2, 16, v10
.LBB277_545:                            ;   in Loop: Header=BB277_417 Depth=1
	s_or_b32 exec_lo, exec_lo, s13
.LBB277_546:                            ;   in Loop: Header=BB277_417 Depth=1
	s_or_b32 exec_lo, exec_lo, s12
.LBB277_547:                            ;   in Loop: Header=BB277_417 Depth=1
	s_or_b32 exec_lo, exec_lo, s9
	v_or_b32_e32 v2, v42, v43
	s_waitcnt vmcnt(0)
	v_fma_mixlo_f16 v11, v39, v42, 0 op_sel:[0,1,0] op_sel_hi:[0,1,0]
	v_or_b32_e32 v42, v40, v41
	v_fma_mixlo_f16 v40, v39, v40, 0 op_sel:[0,1,0] op_sel_hi:[0,1,0]
	v_or_b32_e32 v43, v46, v45
	v_or_b32_e32 v44, v10, v44
	v_fma_mixlo_f16 v45, v39, v2, 0 op_sel_hi:[0,1,0]
	v_fma_mixlo_f16 v10, v39, v10, 0 op_sel:[0,1,0] op_sel_hi:[0,1,0]
	v_lshlrev_b32_e32 v41, 16, v40
	v_fma_mixlo_f16 v40, v39, v42, 0 op_sel_hi:[0,1,0]
	v_fma_mixlo_f16 v42, v39, v46, 0 op_sel:[0,1,0] op_sel_hi:[0,1,0]
	v_fma_mixlo_f16 v43, v39, v43, 0 op_sel_hi:[0,1,0]
	v_fma_mixlo_f16 v44, v39, v44, 0 op_sel_hi:[0,1,0]
	v_lshlrev_b32_e32 v2, 16, v11
	v_and_b32_e32 v11, 0xffff, v45
	v_and_b32_e32 v47, 0xffff, v40
	v_lshlrev_b32_e32 v39, 16, v42
	v_and_b32_e32 v43, 0xffff, v43
	v_lshlrev_b32_e32 v10, 16, v10
	v_and_b32_e32 v40, 0xffff, v44
	v_or_b32_e32 v42, v2, v11
	v_or_b32_e32 v46, v41, v47
	;; [unrolled: 1-line block ×4, first 2 shown]
	s_and_saveexec_b32 s9, vcc_lo
	s_cbranch_execz .LBB277_549
; %bb.548:                              ;   in Loop: Header=BB277_417 Depth=1
	v_cmp_gt_i32_e64 s0, s27, v26
	v_cndmask_b32_e64 v42, 0, v47, s0
	v_cmp_gt_i32_e64 s0, s27, v32
	v_cndmask_b32_e64 v41, 0, v41, s0
	v_cmp_gt_i32_e64 s0, s27, v31
	v_or_b32_e32 v46, v41, v42
	v_cndmask_b32_e64 v11, 0, v11, s0
	v_cmp_gt_i32_e64 s0, s27, v30
	v_cndmask_b32_e64 v2, 0, v2, s0
	v_cmp_gt_i32_e64 s0, s27, v29
	v_or_b32_e32 v42, v2, v11
	;; [unrolled: 5-line block ×3, first 2 shown]
	v_cndmask_b32_e64 v40, 0, v40, s0
	v_cmp_gt_i32_e64 s0, s27, v20
	v_cndmask_b32_e64 v10, 0, v10, s0
	v_or_b32_e32 v44, v10, v40
.LBB277_549:                            ;   in Loop: Header=BB277_417 Depth=1
	s_or_b32 exec_lo, exec_lo, s9
	;;#ASMSTART
	v_pk_mul_f16 v2, v38, v46;

	;;#ASMEND
	;;#ASMSTART
	v_pk_mul_f16 v10, v36, v42;

	;;#ASMEND
	;;#ASMSTART
	v_pk_mul_f16 v11, v34, v45;

	;;#ASMEND
	;;#ASMSTART
	v_pk_mul_f16 v39, v33, v44;

	;;#ASMEND
	;;#ASMSTART
	v_pk_add_f16 v2, v2, v10;

	;;#ASMEND
	;;#ASMSTART
	v_pk_add_f16 v2, v2, v11;

	;;#ASMEND
	;; [unrolled: 4-line block ×3, first 2 shown]
	v_and_b32_e32 v10, 0xffff, v2
	v_lshrrev_b32_e32 v2, 16, v2
	;;#ASMSTART
	v_cvt_f32_f16 v39, v10;
	;;#ASMEND
	;;#ASMSTART
	v_cvt_f32_f16 v40, v2;
	;;#ASMEND
	global_load_dwordx2 v[10:11], v[8:9], off offset:512
	v_mov_b32_e32 v42, 0
	v_mov_b32_e32 v43, 0
	global_load_dword v41, v42, s[14:15]
	s_waitcnt vmcnt(1)
	v_cmp_ne_u16_sdwa s0, v10, v3 src0_sel:BYTE_0 src1_sel:DWORD
	s_and_saveexec_b32 s9, s0
	s_cbranch_execz .LBB277_557
; %bb.550:                              ;   in Loop: Header=BB277_417 Depth=1
	v_cmp_ne_u16_sdwa s0, v10, v22 src0_sel:BYTE_0 src1_sel:DWORD
	v_mov_b32_e32 v43, 0x8000
	s_and_saveexec_b32 s12, s0
	s_cbranch_execz .LBB277_556
; %bb.551:                              ;   in Loop: Header=BB277_417 Depth=1
	v_and_b32_e32 v44, 0x7f, v10
	v_mov_b32_e32 v43, 0x7c01
	s_mov_b32 s13, exec_lo
	v_cmpx_ne_u32_e32 0x7f, v44
	s_cbranch_execz .LBB277_555
; %bb.552:                              ;   in Loop: Header=BB277_417 Depth=1
	v_and_b32_e32 v2, 7, v10
	v_lshrrev_b32_e32 v43, 3, v44
	s_mov_b32 s17, exec_lo
	v_cmpx_gt_u32_e32 8, v44
; %bb.553:                              ;   in Loop: Header=BB277_417 Depth=1
	v_ffbh_u32_e32 v2, v2
	v_min_u32_e32 v2, 32, v2
	v_subrev_nc_u32_e32 v43, 28, v2
	v_lshlrev_b64 v[44:45], v43, v[10:11]
	v_sub_nc_u32_e32 v43, 29, v2
	v_and_b32_e32 v2, 7, v44
; %bb.554:                              ;   in Loop: Header=BB277_417 Depth=1
	s_or_b32 exec_lo, exec_lo, s17
	v_lshlrev_b32_e32 v44, 8, v10
	v_lshl_add_u32 v43, v43, 10, 0x2000
	v_lshlrev_b32_e32 v2, 7, v2
	v_and_b32_e32 v44, 0x8000, v44
	v_and_b32_e32 v43, 0xfc00, v43
	v_or3_b32 v43, v44, v43, v2
.LBB277_555:                            ;   in Loop: Header=BB277_417 Depth=1
	s_or_b32 exec_lo, exec_lo, s13
.LBB277_556:                            ;   in Loop: Header=BB277_417 Depth=1
	s_or_b32 exec_lo, exec_lo, s12
.LBB277_557:                            ;   in Loop: Header=BB277_417 Depth=1
	s_or_b32 exec_lo, exec_lo, s9
	v_lshrrev_b16 v2, 8, v10
	s_mov_b32 s9, exec_lo
	v_cmpx_ne_u16_e32 0, v2
	s_cbranch_execz .LBB277_565
; %bb.558:                              ;   in Loop: Header=BB277_417 Depth=1
	v_bfrev_b32_e32 v42, 1
	s_mov_b32 s12, exec_lo
	v_cmpx_ne_u16_e32 0x80, v2
	s_cbranch_execz .LBB277_564
; %bb.559:                              ;   in Loop: Header=BB277_417 Depth=1
	v_and_b32_sdwa v45, v2, v23 dst_sel:DWORD dst_unused:UNUSED_PAD src0_sel:WORD_0 src1_sel:DWORD
	v_mov_b32_e32 v42, 0x7c010000
	s_mov_b32 s13, exec_lo
	v_cmpx_ne_u32_e32 0x7f, v45
	s_cbranch_execz .LBB277_563
; %bb.560:                              ;   in Loop: Header=BB277_417 Depth=1
	v_and_b32_sdwa v42, v2, v24 dst_sel:DWORD dst_unused:UNUSED_PAD src0_sel:WORD_0 src1_sel:DWORD
	v_lshrrev_b32_e32 v44, 3, v45
	s_mov_b32 s17, exec_lo
	v_cmpx_gt_u32_e32 8, v45
; %bb.561:                              ;   in Loop: Header=BB277_417 Depth=1
	v_ffbh_u32_e32 v42, v42
	v_min_u32_e32 v42, 32, v42
	v_subrev_nc_u32_e32 v44, 28, v42
	v_lshlrev_b64 v[45:46], v44, v[2:3]
	v_sub_nc_u32_e32 v44, 29, v42
	v_and_b32_e32 v42, 7, v45
; %bb.562:                              ;   in Loop: Header=BB277_417 Depth=1
	s_or_b32 exec_lo, exec_lo, s17
	v_lshlrev_b32_sdwa v2, v25, v2 dst_sel:DWORD dst_unused:UNUSED_PAD src0_sel:DWORD src1_sel:WORD_0
	v_lshl_add_u32 v44, v44, 10, 0x2000
	v_lshlrev_b32_e32 v42, 23, v42
	v_and_or_b32 v2, 0x8000, v2, v44
	v_lshl_or_b32 v42, v2, 16, v42
.LBB277_563:                            ;   in Loop: Header=BB277_417 Depth=1
	s_or_b32 exec_lo, exec_lo, s13
.LBB277_564:                            ;   in Loop: Header=BB277_417 Depth=1
	s_or_b32 exec_lo, exec_lo, s12
.LBB277_565:                            ;   in Loop: Header=BB277_417 Depth=1
	s_or_b32 exec_lo, exec_lo, s9
	v_lshrrev_b32_e32 v2, 16, v10
	v_mov_b32_e32 v44, 0
	v_mov_b32_e32 v45, 0
	v_cmp_ne_u16_sdwa s0, v2, v3 src0_sel:BYTE_0 src1_sel:DWORD
	s_and_saveexec_b32 s9, s0
	s_cbranch_execz .LBB277_573
; %bb.566:                              ;   in Loop: Header=BB277_417 Depth=1
	v_cmp_ne_u16_sdwa s0, v2, v22 src0_sel:BYTE_0 src1_sel:DWORD
	v_mov_b32_e32 v45, 0x8000
	s_and_saveexec_b32 s12, s0
	s_cbranch_execz .LBB277_572
; %bb.567:                              ;   in Loop: Header=BB277_417 Depth=1
	v_bfe_u32 v47, v10, 16, 7
	v_mov_b32_e32 v45, 0x7c01
	s_mov_b32 s13, exec_lo
	v_cmpx_ne_u32_e32 0x7f, v47
	s_cbranch_execz .LBB277_571
; %bb.568:                              ;   in Loop: Header=BB277_417 Depth=1
	v_and_b32_e32 v45, 7, v2
	v_lshrrev_b32_e32 v46, 3, v47
	s_mov_b32 s17, exec_lo
	v_cmpx_gt_u32_e32 8, v47
; %bb.569:                              ;   in Loop: Header=BB277_417 Depth=1
	v_ffbh_u32_e32 v45, v45
	v_min_u32_e32 v47, 32, v45
	v_subrev_nc_u32_e32 v45, 28, v47
	v_lshlrev_b64 v[45:46], v45, v[2:3]
	v_sub_nc_u32_e32 v46, 29, v47
	v_and_b32_e32 v45, 7, v45
; %bb.570:                              ;   in Loop: Header=BB277_417 Depth=1
	s_or_b32 exec_lo, exec_lo, s17
	v_lshlrev_b32_e32 v2, 8, v2
	v_lshl_add_u32 v46, v46, 10, 0x2000
	v_lshlrev_b32_e32 v45, 7, v45
	v_and_b32_e32 v2, 0x8000, v2
	v_and_b32_e32 v46, 0xfc00, v46
	v_or3_b32 v45, v2, v46, v45
.LBB277_571:                            ;   in Loop: Header=BB277_417 Depth=1
	s_or_b32 exec_lo, exec_lo, s13
.LBB277_572:                            ;   in Loop: Header=BB277_417 Depth=1
	s_or_b32 exec_lo, exec_lo, s12
.LBB277_573:                            ;   in Loop: Header=BB277_417 Depth=1
	s_or_b32 exec_lo, exec_lo, s9
	s_mov_b32 s9, exec_lo
	v_cmpx_lt_u32_e32 0xffffff, v10
	s_cbranch_execz .LBB277_581
; %bb.574:                              ;   in Loop: Header=BB277_417 Depth=1
	v_lshrrev_b32_e32 v2, 24, v10
	v_bfrev_b32_e32 v44, 1
	s_mov_b32 s12, exec_lo
	v_cmpx_ne_u32_e32 0x80, v2
	s_cbranch_execz .LBB277_580
; %bb.575:                              ;   in Loop: Header=BB277_417 Depth=1
	v_and_b32_e32 v47, 0x7f, v2
	v_mov_b32_e32 v44, 0x7c010000
	s_mov_b32 s13, exec_lo
	v_cmpx_ne_u32_e32 0x7f, v47
	s_cbranch_execz .LBB277_579
; %bb.576:                              ;   in Loop: Header=BB277_417 Depth=1
	v_and_b32_e32 v44, 7, v2
	v_lshrrev_b32_e32 v46, 3, v47
	s_mov_b32 s17, exec_lo
	v_cmpx_gt_u32_e32 8, v47
; %bb.577:                              ;   in Loop: Header=BB277_417 Depth=1
	v_ffbh_u32_e32 v44, v44
	v_min_u32_e32 v44, 32, v44
	v_subrev_nc_u32_e32 v46, 28, v44
	v_lshlrev_b64 v[47:48], v46, v[2:3]
	v_sub_nc_u32_e32 v46, 29, v44
	v_and_b32_e32 v44, 7, v47
; %bb.578:                              ;   in Loop: Header=BB277_417 Depth=1
	s_or_b32 exec_lo, exec_lo, s17
	v_lshlrev_b32_e32 v2, 8, v2
	v_lshl_add_u32 v46, v46, 10, 0x2000
	v_lshlrev_b32_e32 v44, 23, v44
	v_and_or_b32 v2, 0x8000, v2, v46
	v_lshl_or_b32 v44, v2, 16, v44
.LBB277_579:                            ;   in Loop: Header=BB277_417 Depth=1
	s_or_b32 exec_lo, exec_lo, s13
.LBB277_580:                            ;   in Loop: Header=BB277_417 Depth=1
	s_or_b32 exec_lo, exec_lo, s12
.LBB277_581:                            ;   in Loop: Header=BB277_417 Depth=1
	s_or_b32 exec_lo, exec_lo, s9
	v_mov_b32_e32 v2, v11
	v_cmp_ne_u16_sdwa s0, v11, v3 src0_sel:BYTE_0 src1_sel:DWORD
	v_mov_b32_e32 v46, 0
	v_mov_b32_e32 v47, 0
	s_and_saveexec_b32 s9, s0
	s_cbranch_execz .LBB277_589
; %bb.582:                              ;   in Loop: Header=BB277_417 Depth=1
	v_cmp_ne_u16_sdwa s0, v11, v22 src0_sel:BYTE_0 src1_sel:DWORD
	v_mov_b32_e32 v47, 0x8000
	s_and_saveexec_b32 s12, s0
	s_cbranch_execz .LBB277_588
; %bb.583:                              ;   in Loop: Header=BB277_417 Depth=1
	v_and_b32_e32 v49, 0x7f, v11
	v_mov_b32_e32 v47, 0x7c01
	s_mov_b32 s13, exec_lo
	v_cmpx_ne_u32_e32 0x7f, v49
	s_cbranch_execz .LBB277_587
; %bb.584:                              ;   in Loop: Header=BB277_417 Depth=1
	v_and_b32_e32 v47, 7, v11
	v_lshrrev_b32_e32 v48, 3, v49
	s_mov_b32 s17, exec_lo
	v_cmpx_gt_u32_e32 8, v49
; %bb.585:                              ;   in Loop: Header=BB277_417 Depth=1
	v_ffbh_u32_e32 v47, v47
	v_min_u32_e32 v49, 32, v47
	v_subrev_nc_u32_e32 v47, 28, v49
	v_lshlrev_b64 v[47:48], v47, v[2:3]
	v_sub_nc_u32_e32 v48, 29, v49
	v_and_b32_e32 v47, 7, v47
; %bb.586:                              ;   in Loop: Header=BB277_417 Depth=1
	s_or_b32 exec_lo, exec_lo, s17
	v_lshlrev_b32_e32 v49, 8, v11
	v_lshl_add_u32 v48, v48, 10, 0x2000
	v_lshlrev_b32_e32 v47, 7, v47
	v_and_b32_e32 v49, 0x8000, v49
	v_and_b32_e32 v48, 0xfc00, v48
	v_or3_b32 v47, v49, v48, v47
.LBB277_587:                            ;   in Loop: Header=BB277_417 Depth=1
	s_or_b32 exec_lo, exec_lo, s13
.LBB277_588:                            ;   in Loop: Header=BB277_417 Depth=1
	s_or_b32 exec_lo, exec_lo, s12
.LBB277_589:                            ;   in Loop: Header=BB277_417 Depth=1
	s_or_b32 exec_lo, exec_lo, s9
	v_lshrrev_b16 v2, 8, v2
	v_mov_b32_e32 v48, 0
	s_mov_b32 s9, exec_lo
	v_cmpx_ne_u16_e32 0, v2
	s_cbranch_execz .LBB277_597
; %bb.590:                              ;   in Loop: Header=BB277_417 Depth=1
	v_bfrev_b32_e32 v48, 1
	s_mov_b32 s12, exec_lo
	v_cmpx_ne_u16_e32 0x80, v2
	s_cbranch_execz .LBB277_596
; %bb.591:                              ;   in Loop: Header=BB277_417 Depth=1
	v_and_b32_sdwa v50, v2, v23 dst_sel:DWORD dst_unused:UNUSED_PAD src0_sel:WORD_0 src1_sel:DWORD
	v_mov_b32_e32 v48, 0x7c010000
	s_mov_b32 s13, exec_lo
	v_cmpx_ne_u32_e32 0x7f, v50
	s_cbranch_execz .LBB277_595
; %bb.592:                              ;   in Loop: Header=BB277_417 Depth=1
	v_and_b32_sdwa v48, v2, v24 dst_sel:DWORD dst_unused:UNUSED_PAD src0_sel:WORD_0 src1_sel:DWORD
	v_lshrrev_b32_e32 v49, 3, v50
	s_mov_b32 s17, exec_lo
	v_cmpx_gt_u32_e32 8, v50
; %bb.593:                              ;   in Loop: Header=BB277_417 Depth=1
	v_ffbh_u32_e32 v48, v48
	v_min_u32_e32 v50, 32, v48
	v_subrev_nc_u32_e32 v48, 28, v50
	v_lshlrev_b64 v[48:49], v48, v[2:3]
	v_sub_nc_u32_e32 v49, 29, v50
	v_and_b32_e32 v48, 7, v48
; %bb.594:                              ;   in Loop: Header=BB277_417 Depth=1
	s_or_b32 exec_lo, exec_lo, s17
	v_lshlrev_b32_sdwa v2, v25, v2 dst_sel:DWORD dst_unused:UNUSED_PAD src0_sel:DWORD src1_sel:WORD_0
	v_lshl_add_u32 v49, v49, 10, 0x2000
	v_lshlrev_b32_e32 v48, 23, v48
	v_and_or_b32 v2, 0x8000, v2, v49
	v_lshl_or_b32 v48, v2, 16, v48
.LBB277_595:                            ;   in Loop: Header=BB277_417 Depth=1
	s_or_b32 exec_lo, exec_lo, s13
.LBB277_596:                            ;   in Loop: Header=BB277_417 Depth=1
	s_or_b32 exec_lo, exec_lo, s12
.LBB277_597:                            ;   in Loop: Header=BB277_417 Depth=1
	s_or_b32 exec_lo, exec_lo, s9
	v_lshrrev_b32_e32 v2, 16, v11
	v_cmp_ne_u16_sdwa s0, v2, v3 src0_sel:BYTE_0 src1_sel:DWORD
	s_and_saveexec_b32 s9, s0
	s_cbranch_execz .LBB277_605
; %bb.598:                              ;   in Loop: Header=BB277_417 Depth=1
	v_cmp_ne_u16_sdwa s0, v2, v22 src0_sel:BYTE_0 src1_sel:DWORD
	v_mov_b32_e32 v46, 0x8000
	s_and_saveexec_b32 s12, s0
	s_cbranch_execz .LBB277_604
; %bb.599:                              ;   in Loop: Header=BB277_417 Depth=1
	v_bfe_u32 v50, v11, 16, 7
	v_mov_b32_e32 v46, 0x7c01
	s_mov_b32 s13, exec_lo
	v_cmpx_ne_u32_e32 0x7f, v50
	s_cbranch_execz .LBB277_603
; %bb.600:                              ;   in Loop: Header=BB277_417 Depth=1
	v_and_b32_e32 v46, 7, v2
	v_lshrrev_b32_e32 v49, 3, v50
	s_mov_b32 s17, exec_lo
	v_cmpx_gt_u32_e32 8, v50
; %bb.601:                              ;   in Loop: Header=BB277_417 Depth=1
	v_ffbh_u32_e32 v46, v46
	v_min_u32_e32 v46, 32, v46
	v_subrev_nc_u32_e32 v49, 28, v46
	v_lshlrev_b64 v[50:51], v49, v[2:3]
	v_sub_nc_u32_e32 v49, 29, v46
	v_and_b32_e32 v46, 7, v50
; %bb.602:                              ;   in Loop: Header=BB277_417 Depth=1
	s_or_b32 exec_lo, exec_lo, s17
	v_lshlrev_b32_e32 v2, 8, v2
	v_lshl_add_u32 v49, v49, 10, 0x2000
	v_lshlrev_b32_e32 v46, 7, v46
	v_and_b32_e32 v2, 0x8000, v2
	v_and_b32_e32 v49, 0xfc00, v49
	v_or3_b32 v46, v2, v49, v46
.LBB277_603:                            ;   in Loop: Header=BB277_417 Depth=1
	s_or_b32 exec_lo, exec_lo, s13
.LBB277_604:                            ;   in Loop: Header=BB277_417 Depth=1
	s_or_b32 exec_lo, exec_lo, s12
.LBB277_605:                            ;   in Loop: Header=BB277_417 Depth=1
	s_or_b32 exec_lo, exec_lo, s9
	v_cmp_lt_u64_e64 s0, s[4:5], v[10:11]
	v_mov_b32_e32 v10, 0
	s_and_saveexec_b32 s9, s0
	s_cbranch_execz .LBB277_613
; %bb.606:                              ;   in Loop: Header=BB277_417 Depth=1
	v_lshrrev_b32_e32 v2, 24, v11
	v_bfrev_b32_e32 v10, 1
	s_mov_b32 s12, exec_lo
	v_cmpx_ne_u32_e32 0x80, v2
	s_cbranch_execz .LBB277_612
; %bb.607:                              ;   in Loop: Header=BB277_417 Depth=1
	v_and_b32_e32 v49, 0x7f, v2
	v_mov_b32_e32 v10, 0x7c010000
	s_mov_b32 s13, exec_lo
	v_cmpx_ne_u32_e32 0x7f, v49
	s_cbranch_execz .LBB277_611
; %bb.608:                              ;   in Loop: Header=BB277_417 Depth=1
	v_and_b32_e32 v10, 7, v2
	v_lshrrev_b32_e32 v11, 3, v49
	s_mov_b32 s17, exec_lo
	v_cmpx_gt_u32_e32 8, v49
; %bb.609:                              ;   in Loop: Header=BB277_417 Depth=1
	v_ffbh_u32_e32 v10, v10
	v_min_u32_e32 v49, 32, v10
	v_subrev_nc_u32_e32 v10, 28, v49
	v_lshlrev_b64 v[10:11], v10, v[2:3]
	v_sub_nc_u32_e32 v11, 29, v49
	v_and_b32_e32 v10, 7, v10
; %bb.610:                              ;   in Loop: Header=BB277_417 Depth=1
	s_or_b32 exec_lo, exec_lo, s17
	v_lshlrev_b32_e32 v2, 8, v2
	v_lshl_add_u32 v11, v11, 10, 0x2000
	v_lshlrev_b32_e32 v10, 23, v10
	v_and_or_b32 v2, 0x8000, v2, v11
	v_lshl_or_b32 v10, v2, 16, v10
.LBB277_611:                            ;   in Loop: Header=BB277_417 Depth=1
	s_or_b32 exec_lo, exec_lo, s13
.LBB277_612:                            ;   in Loop: Header=BB277_417 Depth=1
	s_or_b32 exec_lo, exec_lo, s12
.LBB277_613:                            ;   in Loop: Header=BB277_417 Depth=1
	s_or_b32 exec_lo, exec_lo, s9
	v_or_b32_e32 v2, v44, v45
	s_waitcnt vmcnt(0)
	v_fma_mixlo_f16 v11, v41, v44, 0 op_sel:[0,1,0] op_sel_hi:[0,1,0]
	v_or_b32_e32 v44, v42, v43
	v_fma_mixlo_f16 v42, v41, v42, 0 op_sel:[0,1,0] op_sel_hi:[0,1,0]
	v_or_b32_e32 v45, v48, v47
	v_or_b32_e32 v46, v10, v46
	v_fma_mixlo_f16 v47, v41, v2, 0 op_sel_hi:[0,1,0]
	v_fma_mixlo_f16 v10, v41, v10, 0 op_sel:[0,1,0] op_sel_hi:[0,1,0]
	v_lshlrev_b32_e32 v43, 16, v42
	v_fma_mixlo_f16 v42, v41, v44, 0 op_sel_hi:[0,1,0]
	v_fma_mixlo_f16 v44, v41, v48, 0 op_sel:[0,1,0] op_sel_hi:[0,1,0]
	v_fma_mixlo_f16 v45, v41, v45, 0 op_sel_hi:[0,1,0]
	v_fma_mixlo_f16 v46, v41, v46, 0 op_sel_hi:[0,1,0]
	v_lshlrev_b32_e32 v2, 16, v11
	v_and_b32_e32 v11, 0xffff, v47
	v_and_b32_e32 v49, 0xffff, v42
	v_lshlrev_b32_e32 v41, 16, v44
	v_and_b32_e32 v45, 0xffff, v45
	v_lshlrev_b32_e32 v10, 16, v10
	v_and_b32_e32 v42, 0xffff, v46
	v_or_b32_e32 v44, v2, v11
	v_or_b32_e32 v48, v43, v49
	;; [unrolled: 1-line block ×4, first 2 shown]
	s_and_saveexec_b32 s9, vcc_lo
	s_cbranch_execz .LBB277_615
; %bb.614:                              ;   in Loop: Header=BB277_417 Depth=1
	v_cmp_gt_i32_e64 s0, s27, v26
	v_cndmask_b32_e64 v44, 0, v49, s0
	v_cmp_gt_i32_e64 s0, s27, v32
	v_cndmask_b32_e64 v43, 0, v43, s0
	v_cmp_gt_i32_e64 s0, s27, v31
	v_or_b32_e32 v48, v43, v44
	v_cndmask_b32_e64 v11, 0, v11, s0
	v_cmp_gt_i32_e64 s0, s27, v30
	v_cndmask_b32_e64 v2, 0, v2, s0
	v_cmp_gt_i32_e64 s0, s27, v29
	v_or_b32_e32 v44, v2, v11
	;; [unrolled: 5-line block ×3, first 2 shown]
	v_cndmask_b32_e64 v42, 0, v42, s0
	v_cmp_gt_i32_e64 s0, s27, v20
	v_cndmask_b32_e64 v10, 0, v10, s0
	v_or_b32_e32 v46, v10, v42
.LBB277_615:                            ;   in Loop: Header=BB277_417 Depth=1
	s_or_b32 exec_lo, exec_lo, s9
	;;#ASMSTART
	v_pk_mul_f16 v2, v38, v48;

	;;#ASMEND
	;;#ASMSTART
	v_pk_mul_f16 v10, v36, v44;

	;;#ASMEND
	;; [unrolled: 4-line block ×4, first 2 shown]
	;;#ASMSTART
	v_pk_add_f16 v2, v2, v10;

	;;#ASMEND
	;;#ASMSTART
	v_pk_add_f16 v2, v2, v11;

	;;#ASMEND
	;; [unrolled: 4-line block ×3, first 2 shown]
	v_and_b32_e32 v10, 0xffff, v2
	v_lshrrev_b32_e32 v2, 16, v2
	;;#ASMSTART
	v_cvt_f32_f16 v41, v10;
	;;#ASMEND
	;;#ASMSTART
	v_cvt_f32_f16 v42, v2;
	;;#ASMEND
	global_load_dwordx2 v[10:11], v[8:9], off offset:768
	v_mov_b32_e32 v44, 0
	v_mov_b32_e32 v45, 0
	global_load_dword v43, v44, s[14:15]
	s_waitcnt vmcnt(1)
	v_cmp_ne_u16_sdwa s0, v10, v3 src0_sel:BYTE_0 src1_sel:DWORD
	s_and_saveexec_b32 s9, s0
	s_cbranch_execz .LBB277_623
; %bb.616:                              ;   in Loop: Header=BB277_417 Depth=1
	v_cmp_ne_u16_sdwa s0, v10, v22 src0_sel:BYTE_0 src1_sel:DWORD
	v_mov_b32_e32 v45, 0x8000
	s_and_saveexec_b32 s12, s0
	s_cbranch_execz .LBB277_622
; %bb.617:                              ;   in Loop: Header=BB277_417 Depth=1
	v_and_b32_e32 v46, 0x7f, v10
	v_mov_b32_e32 v45, 0x7c01
	s_mov_b32 s13, exec_lo
	v_cmpx_ne_u32_e32 0x7f, v46
	s_cbranch_execz .LBB277_621
; %bb.618:                              ;   in Loop: Header=BB277_417 Depth=1
	v_and_b32_e32 v2, 7, v10
	v_lshrrev_b32_e32 v45, 3, v46
	s_mov_b32 s17, exec_lo
	v_cmpx_gt_u32_e32 8, v46
; %bb.619:                              ;   in Loop: Header=BB277_417 Depth=1
	v_ffbh_u32_e32 v2, v2
	v_min_u32_e32 v2, 32, v2
	v_subrev_nc_u32_e32 v45, 28, v2
	v_lshlrev_b64 v[46:47], v45, v[10:11]
	v_sub_nc_u32_e32 v45, 29, v2
	v_and_b32_e32 v2, 7, v46
; %bb.620:                              ;   in Loop: Header=BB277_417 Depth=1
	s_or_b32 exec_lo, exec_lo, s17
	v_lshlrev_b32_e32 v46, 8, v10
	v_lshl_add_u32 v45, v45, 10, 0x2000
	v_lshlrev_b32_e32 v2, 7, v2
	v_and_b32_e32 v46, 0x8000, v46
	v_and_b32_e32 v45, 0xfc00, v45
	v_or3_b32 v45, v46, v45, v2
.LBB277_621:                            ;   in Loop: Header=BB277_417 Depth=1
	s_or_b32 exec_lo, exec_lo, s13
.LBB277_622:                            ;   in Loop: Header=BB277_417 Depth=1
	s_or_b32 exec_lo, exec_lo, s12
.LBB277_623:                            ;   in Loop: Header=BB277_417 Depth=1
	s_or_b32 exec_lo, exec_lo, s9
	v_lshrrev_b16 v2, 8, v10
	s_mov_b32 s9, exec_lo
	v_cmpx_ne_u16_e32 0, v2
	s_cbranch_execz .LBB277_631
; %bb.624:                              ;   in Loop: Header=BB277_417 Depth=1
	v_bfrev_b32_e32 v44, 1
	s_mov_b32 s12, exec_lo
	v_cmpx_ne_u16_e32 0x80, v2
	s_cbranch_execz .LBB277_630
; %bb.625:                              ;   in Loop: Header=BB277_417 Depth=1
	v_and_b32_sdwa v47, v2, v23 dst_sel:DWORD dst_unused:UNUSED_PAD src0_sel:WORD_0 src1_sel:DWORD
	v_mov_b32_e32 v44, 0x7c010000
	s_mov_b32 s13, exec_lo
	v_cmpx_ne_u32_e32 0x7f, v47
	s_cbranch_execz .LBB277_629
; %bb.626:                              ;   in Loop: Header=BB277_417 Depth=1
	v_and_b32_sdwa v44, v2, v24 dst_sel:DWORD dst_unused:UNUSED_PAD src0_sel:WORD_0 src1_sel:DWORD
	v_lshrrev_b32_e32 v46, 3, v47
	s_mov_b32 s17, exec_lo
	v_cmpx_gt_u32_e32 8, v47
; %bb.627:                              ;   in Loop: Header=BB277_417 Depth=1
	v_ffbh_u32_e32 v44, v44
	v_min_u32_e32 v44, 32, v44
	v_subrev_nc_u32_e32 v46, 28, v44
	v_lshlrev_b64 v[47:48], v46, v[2:3]
	v_sub_nc_u32_e32 v46, 29, v44
	v_and_b32_e32 v44, 7, v47
; %bb.628:                              ;   in Loop: Header=BB277_417 Depth=1
	s_or_b32 exec_lo, exec_lo, s17
	v_lshlrev_b32_sdwa v2, v25, v2 dst_sel:DWORD dst_unused:UNUSED_PAD src0_sel:DWORD src1_sel:WORD_0
	v_lshl_add_u32 v46, v46, 10, 0x2000
	v_lshlrev_b32_e32 v44, 23, v44
	v_and_or_b32 v2, 0x8000, v2, v46
	v_lshl_or_b32 v44, v2, 16, v44
.LBB277_629:                            ;   in Loop: Header=BB277_417 Depth=1
	s_or_b32 exec_lo, exec_lo, s13
.LBB277_630:                            ;   in Loop: Header=BB277_417 Depth=1
	s_or_b32 exec_lo, exec_lo, s12
.LBB277_631:                            ;   in Loop: Header=BB277_417 Depth=1
	s_or_b32 exec_lo, exec_lo, s9
	v_lshrrev_b32_e32 v2, 16, v10
	v_mov_b32_e32 v46, 0
	v_mov_b32_e32 v47, 0
	v_cmp_ne_u16_sdwa s0, v2, v3 src0_sel:BYTE_0 src1_sel:DWORD
	s_and_saveexec_b32 s9, s0
	s_cbranch_execz .LBB277_639
; %bb.632:                              ;   in Loop: Header=BB277_417 Depth=1
	v_cmp_ne_u16_sdwa s0, v2, v22 src0_sel:BYTE_0 src1_sel:DWORD
	v_mov_b32_e32 v47, 0x8000
	s_and_saveexec_b32 s12, s0
	s_cbranch_execz .LBB277_638
; %bb.633:                              ;   in Loop: Header=BB277_417 Depth=1
	v_bfe_u32 v49, v10, 16, 7
	v_mov_b32_e32 v47, 0x7c01
	s_mov_b32 s13, exec_lo
	v_cmpx_ne_u32_e32 0x7f, v49
	s_cbranch_execz .LBB277_637
; %bb.634:                              ;   in Loop: Header=BB277_417 Depth=1
	v_and_b32_e32 v47, 7, v2
	v_lshrrev_b32_e32 v48, 3, v49
	s_mov_b32 s17, exec_lo
	v_cmpx_gt_u32_e32 8, v49
; %bb.635:                              ;   in Loop: Header=BB277_417 Depth=1
	v_ffbh_u32_e32 v47, v47
	v_min_u32_e32 v49, 32, v47
	v_subrev_nc_u32_e32 v47, 28, v49
	v_lshlrev_b64 v[47:48], v47, v[2:3]
	v_sub_nc_u32_e32 v48, 29, v49
	v_and_b32_e32 v47, 7, v47
; %bb.636:                              ;   in Loop: Header=BB277_417 Depth=1
	s_or_b32 exec_lo, exec_lo, s17
	v_lshlrev_b32_e32 v2, 8, v2
	v_lshl_add_u32 v48, v48, 10, 0x2000
	v_lshlrev_b32_e32 v47, 7, v47
	v_and_b32_e32 v2, 0x8000, v2
	v_and_b32_e32 v48, 0xfc00, v48
	v_or3_b32 v47, v2, v48, v47
.LBB277_637:                            ;   in Loop: Header=BB277_417 Depth=1
	s_or_b32 exec_lo, exec_lo, s13
.LBB277_638:                            ;   in Loop: Header=BB277_417 Depth=1
	s_or_b32 exec_lo, exec_lo, s12
.LBB277_639:                            ;   in Loop: Header=BB277_417 Depth=1
	s_or_b32 exec_lo, exec_lo, s9
	s_mov_b32 s9, exec_lo
	v_cmpx_lt_u32_e32 0xffffff, v10
	s_cbranch_execz .LBB277_647
; %bb.640:                              ;   in Loop: Header=BB277_417 Depth=1
	v_lshrrev_b32_e32 v2, 24, v10
	v_bfrev_b32_e32 v46, 1
	s_mov_b32 s12, exec_lo
	v_cmpx_ne_u32_e32 0x80, v2
	s_cbranch_execz .LBB277_646
; %bb.641:                              ;   in Loop: Header=BB277_417 Depth=1
	v_and_b32_e32 v49, 0x7f, v2
	v_mov_b32_e32 v46, 0x7c010000
	s_mov_b32 s13, exec_lo
	v_cmpx_ne_u32_e32 0x7f, v49
	s_cbranch_execz .LBB277_645
; %bb.642:                              ;   in Loop: Header=BB277_417 Depth=1
	v_and_b32_e32 v46, 7, v2
	v_lshrrev_b32_e32 v48, 3, v49
	s_mov_b32 s17, exec_lo
	v_cmpx_gt_u32_e32 8, v49
; %bb.643:                              ;   in Loop: Header=BB277_417 Depth=1
	v_ffbh_u32_e32 v46, v46
	v_min_u32_e32 v46, 32, v46
	v_subrev_nc_u32_e32 v48, 28, v46
	v_lshlrev_b64 v[49:50], v48, v[2:3]
	v_sub_nc_u32_e32 v48, 29, v46
	v_and_b32_e32 v46, 7, v49
; %bb.644:                              ;   in Loop: Header=BB277_417 Depth=1
	s_or_b32 exec_lo, exec_lo, s17
	v_lshlrev_b32_e32 v2, 8, v2
	v_lshl_add_u32 v48, v48, 10, 0x2000
	v_lshlrev_b32_e32 v46, 23, v46
	v_and_or_b32 v2, 0x8000, v2, v48
	v_lshl_or_b32 v46, v2, 16, v46
.LBB277_645:                            ;   in Loop: Header=BB277_417 Depth=1
	s_or_b32 exec_lo, exec_lo, s13
.LBB277_646:                            ;   in Loop: Header=BB277_417 Depth=1
	s_or_b32 exec_lo, exec_lo, s12
.LBB277_647:                            ;   in Loop: Header=BB277_417 Depth=1
	s_or_b32 exec_lo, exec_lo, s9
	v_mov_b32_e32 v2, v11
	v_cmp_ne_u16_sdwa s0, v11, v3 src0_sel:BYTE_0 src1_sel:DWORD
	v_mov_b32_e32 v48, 0
	v_mov_b32_e32 v49, 0
	s_and_saveexec_b32 s9, s0
	s_cbranch_execz .LBB277_655
; %bb.648:                              ;   in Loop: Header=BB277_417 Depth=1
	v_cmp_ne_u16_sdwa s0, v11, v22 src0_sel:BYTE_0 src1_sel:DWORD
	v_mov_b32_e32 v49, 0x8000
	s_and_saveexec_b32 s12, s0
	s_cbranch_execz .LBB277_654
; %bb.649:                              ;   in Loop: Header=BB277_417 Depth=1
	v_and_b32_e32 v51, 0x7f, v11
	v_mov_b32_e32 v49, 0x7c01
	s_mov_b32 s13, exec_lo
	v_cmpx_ne_u32_e32 0x7f, v51
	s_cbranch_execz .LBB277_653
; %bb.650:                              ;   in Loop: Header=BB277_417 Depth=1
	v_and_b32_e32 v49, 7, v11
	v_lshrrev_b32_e32 v50, 3, v51
	s_mov_b32 s17, exec_lo
	v_cmpx_gt_u32_e32 8, v51
; %bb.651:                              ;   in Loop: Header=BB277_417 Depth=1
	v_ffbh_u32_e32 v49, v49
	v_min_u32_e32 v51, 32, v49
	v_subrev_nc_u32_e32 v49, 28, v51
	v_lshlrev_b64 v[49:50], v49, v[2:3]
	v_sub_nc_u32_e32 v50, 29, v51
	v_and_b32_e32 v49, 7, v49
; %bb.652:                              ;   in Loop: Header=BB277_417 Depth=1
	s_or_b32 exec_lo, exec_lo, s17
	v_lshlrev_b32_e32 v51, 8, v11
	v_lshl_add_u32 v50, v50, 10, 0x2000
	v_lshlrev_b32_e32 v49, 7, v49
	v_and_b32_e32 v51, 0x8000, v51
	v_and_b32_e32 v50, 0xfc00, v50
	v_or3_b32 v49, v51, v50, v49
.LBB277_653:                            ;   in Loop: Header=BB277_417 Depth=1
	s_or_b32 exec_lo, exec_lo, s13
.LBB277_654:                            ;   in Loop: Header=BB277_417 Depth=1
	s_or_b32 exec_lo, exec_lo, s12
.LBB277_655:                            ;   in Loop: Header=BB277_417 Depth=1
	s_or_b32 exec_lo, exec_lo, s9
	v_lshrrev_b16 v2, 8, v2
	v_mov_b32_e32 v50, 0
	s_mov_b32 s9, exec_lo
	v_cmpx_ne_u16_e32 0, v2
	s_cbranch_execz .LBB277_663
; %bb.656:                              ;   in Loop: Header=BB277_417 Depth=1
	v_bfrev_b32_e32 v50, 1
	s_mov_b32 s12, exec_lo
	v_cmpx_ne_u16_e32 0x80, v2
	s_cbranch_execz .LBB277_662
; %bb.657:                              ;   in Loop: Header=BB277_417 Depth=1
	v_and_b32_sdwa v52, v2, v23 dst_sel:DWORD dst_unused:UNUSED_PAD src0_sel:WORD_0 src1_sel:DWORD
	v_mov_b32_e32 v50, 0x7c010000
	s_mov_b32 s13, exec_lo
	v_cmpx_ne_u32_e32 0x7f, v52
	s_cbranch_execz .LBB277_661
; %bb.658:                              ;   in Loop: Header=BB277_417 Depth=1
	v_and_b32_sdwa v50, v2, v24 dst_sel:DWORD dst_unused:UNUSED_PAD src0_sel:WORD_0 src1_sel:DWORD
	v_lshrrev_b32_e32 v51, 3, v52
	s_mov_b32 s17, exec_lo
	v_cmpx_gt_u32_e32 8, v52
; %bb.659:                              ;   in Loop: Header=BB277_417 Depth=1
	v_ffbh_u32_e32 v50, v50
	v_min_u32_e32 v52, 32, v50
	v_subrev_nc_u32_e32 v50, 28, v52
	v_lshlrev_b64 v[50:51], v50, v[2:3]
	v_sub_nc_u32_e32 v51, 29, v52
	v_and_b32_e32 v50, 7, v50
; %bb.660:                              ;   in Loop: Header=BB277_417 Depth=1
	s_or_b32 exec_lo, exec_lo, s17
	v_lshlrev_b32_sdwa v2, v25, v2 dst_sel:DWORD dst_unused:UNUSED_PAD src0_sel:DWORD src1_sel:WORD_0
	v_lshl_add_u32 v51, v51, 10, 0x2000
	v_lshlrev_b32_e32 v50, 23, v50
	v_and_or_b32 v2, 0x8000, v2, v51
	v_lshl_or_b32 v50, v2, 16, v50
.LBB277_661:                            ;   in Loop: Header=BB277_417 Depth=1
	s_or_b32 exec_lo, exec_lo, s13
.LBB277_662:                            ;   in Loop: Header=BB277_417 Depth=1
	s_or_b32 exec_lo, exec_lo, s12
.LBB277_663:                            ;   in Loop: Header=BB277_417 Depth=1
	s_or_b32 exec_lo, exec_lo, s9
	v_lshrrev_b32_e32 v2, 16, v11
	v_cmp_ne_u16_sdwa s0, v2, v3 src0_sel:BYTE_0 src1_sel:DWORD
	s_and_saveexec_b32 s9, s0
	s_cbranch_execz .LBB277_671
; %bb.664:                              ;   in Loop: Header=BB277_417 Depth=1
	v_cmp_ne_u16_sdwa s0, v2, v22 src0_sel:BYTE_0 src1_sel:DWORD
	v_mov_b32_e32 v48, 0x8000
	s_and_saveexec_b32 s12, s0
	s_cbranch_execz .LBB277_670
; %bb.665:                              ;   in Loop: Header=BB277_417 Depth=1
	v_bfe_u32 v52, v11, 16, 7
	v_mov_b32_e32 v48, 0x7c01
	s_mov_b32 s13, exec_lo
	v_cmpx_ne_u32_e32 0x7f, v52
	s_cbranch_execz .LBB277_669
; %bb.666:                              ;   in Loop: Header=BB277_417 Depth=1
	v_and_b32_e32 v48, 7, v2
	v_lshrrev_b32_e32 v51, 3, v52
	s_mov_b32 s17, exec_lo
	v_cmpx_gt_u32_e32 8, v52
; %bb.667:                              ;   in Loop: Header=BB277_417 Depth=1
	v_ffbh_u32_e32 v48, v48
	v_min_u32_e32 v48, 32, v48
	v_subrev_nc_u32_e32 v51, 28, v48
	v_lshlrev_b64 v[52:53], v51, v[2:3]
	v_sub_nc_u32_e32 v51, 29, v48
	v_and_b32_e32 v48, 7, v52
; %bb.668:                              ;   in Loop: Header=BB277_417 Depth=1
	s_or_b32 exec_lo, exec_lo, s17
	v_lshlrev_b32_e32 v2, 8, v2
	v_lshl_add_u32 v51, v51, 10, 0x2000
	v_lshlrev_b32_e32 v48, 7, v48
	v_and_b32_e32 v2, 0x8000, v2
	v_and_b32_e32 v51, 0xfc00, v51
	v_or3_b32 v48, v2, v51, v48
.LBB277_669:                            ;   in Loop: Header=BB277_417 Depth=1
	s_or_b32 exec_lo, exec_lo, s13
.LBB277_670:                            ;   in Loop: Header=BB277_417 Depth=1
	s_or_b32 exec_lo, exec_lo, s12
.LBB277_671:                            ;   in Loop: Header=BB277_417 Depth=1
	s_or_b32 exec_lo, exec_lo, s9
	v_cmp_lt_u64_e64 s0, s[4:5], v[10:11]
	v_mov_b32_e32 v10, 0
	s_and_saveexec_b32 s9, s0
	s_cbranch_execz .LBB277_679
; %bb.672:                              ;   in Loop: Header=BB277_417 Depth=1
	v_lshrrev_b32_e32 v2, 24, v11
	v_bfrev_b32_e32 v10, 1
	s_mov_b32 s12, exec_lo
	v_cmpx_ne_u32_e32 0x80, v2
	s_cbranch_execz .LBB277_678
; %bb.673:                              ;   in Loop: Header=BB277_417 Depth=1
	v_and_b32_e32 v51, 0x7f, v2
	v_mov_b32_e32 v10, 0x7c010000
	s_mov_b32 s13, exec_lo
	v_cmpx_ne_u32_e32 0x7f, v51
	s_cbranch_execz .LBB277_677
; %bb.674:                              ;   in Loop: Header=BB277_417 Depth=1
	v_and_b32_e32 v10, 7, v2
	v_lshrrev_b32_e32 v11, 3, v51
	s_mov_b32 s17, exec_lo
	v_cmpx_gt_u32_e32 8, v51
; %bb.675:                              ;   in Loop: Header=BB277_417 Depth=1
	v_ffbh_u32_e32 v10, v10
	v_min_u32_e32 v51, 32, v10
	v_subrev_nc_u32_e32 v10, 28, v51
	v_lshlrev_b64 v[10:11], v10, v[2:3]
	v_sub_nc_u32_e32 v11, 29, v51
	v_and_b32_e32 v10, 7, v10
; %bb.676:                              ;   in Loop: Header=BB277_417 Depth=1
	s_or_b32 exec_lo, exec_lo, s17
	v_lshlrev_b32_e32 v2, 8, v2
	v_lshl_add_u32 v11, v11, 10, 0x2000
	v_lshlrev_b32_e32 v10, 23, v10
	v_and_or_b32 v2, 0x8000, v2, v11
	v_lshl_or_b32 v10, v2, 16, v10
.LBB277_677:                            ;   in Loop: Header=BB277_417 Depth=1
	s_or_b32 exec_lo, exec_lo, s13
.LBB277_678:                            ;   in Loop: Header=BB277_417 Depth=1
	s_or_b32 exec_lo, exec_lo, s12
.LBB277_679:                            ;   in Loop: Header=BB277_417 Depth=1
	s_or_b32 exec_lo, exec_lo, s9
	v_or_b32_e32 v2, v46, v47
	s_waitcnt vmcnt(0)
	v_fma_mixlo_f16 v11, v43, v46, 0 op_sel:[0,1,0] op_sel_hi:[0,1,0]
	v_or_b32_e32 v46, v44, v45
	v_fma_mixlo_f16 v44, v43, v44, 0 op_sel:[0,1,0] op_sel_hi:[0,1,0]
	v_or_b32_e32 v47, v50, v49
	v_or_b32_e32 v48, v10, v48
	v_fma_mixlo_f16 v49, v43, v2, 0 op_sel_hi:[0,1,0]
	v_fma_mixlo_f16 v10, v43, v10, 0 op_sel:[0,1,0] op_sel_hi:[0,1,0]
	v_lshlrev_b32_e32 v45, 16, v44
	v_fma_mixlo_f16 v44, v43, v46, 0 op_sel_hi:[0,1,0]
	v_fma_mixlo_f16 v46, v43, v50, 0 op_sel:[0,1,0] op_sel_hi:[0,1,0]
	v_fma_mixlo_f16 v47, v43, v47, 0 op_sel_hi:[0,1,0]
	v_fma_mixlo_f16 v48, v43, v48, 0 op_sel_hi:[0,1,0]
	v_lshlrev_b32_e32 v2, 16, v11
	v_and_b32_e32 v11, 0xffff, v49
	v_and_b32_e32 v51, 0xffff, v44
	v_lshlrev_b32_e32 v43, 16, v46
	v_and_b32_e32 v47, 0xffff, v47
	v_lshlrev_b32_e32 v10, 16, v10
	v_and_b32_e32 v44, 0xffff, v48
	v_or_b32_e32 v46, v2, v11
	v_or_b32_e32 v50, v45, v51
	;; [unrolled: 1-line block ×4, first 2 shown]
	s_and_saveexec_b32 s9, vcc_lo
	s_cbranch_execz .LBB277_681
; %bb.680:                              ;   in Loop: Header=BB277_417 Depth=1
	v_cmp_gt_i32_e64 s0, s27, v26
	v_cndmask_b32_e64 v46, 0, v51, s0
	v_cmp_gt_i32_e64 s0, s27, v32
	v_cndmask_b32_e64 v45, 0, v45, s0
	v_cmp_gt_i32_e64 s0, s27, v31
	v_or_b32_e32 v50, v45, v46
	v_cndmask_b32_e64 v11, 0, v11, s0
	v_cmp_gt_i32_e64 s0, s27, v30
	v_cndmask_b32_e64 v2, 0, v2, s0
	v_cmp_gt_i32_e64 s0, s27, v29
	v_or_b32_e32 v46, v2, v11
	;; [unrolled: 5-line block ×3, first 2 shown]
	v_cndmask_b32_e64 v44, 0, v44, s0
	v_cmp_gt_i32_e64 s0, s27, v20
	v_cndmask_b32_e64 v10, 0, v10, s0
	v_or_b32_e32 v48, v10, v44
.LBB277_681:                            ;   in Loop: Header=BB277_417 Depth=1
	s_or_b32 exec_lo, exec_lo, s9
	;;#ASMSTART
	v_pk_mul_f16 v2, v38, v50;

	;;#ASMEND
	;;#ASMSTART
	v_pk_mul_f16 v10, v36, v46;

	;;#ASMEND
	;; [unrolled: 4-line block ×4, first 2 shown]
	;;#ASMSTART
	v_pk_add_f16 v2, v2, v10;

	;;#ASMEND
	;;#ASMSTART
	v_pk_add_f16 v2, v2, v11;

	;;#ASMEND
	;; [unrolled: 4-line block ×3, first 2 shown]
	v_and_b32_e32 v10, 0xffff, v2
	v_lshrrev_b32_e32 v2, 16, v2
	;;#ASMSTART
	v_cvt_f32_f16 v43, v10;
	;;#ASMEND
	;;#ASMSTART
	v_cvt_f32_f16 v44, v2;
	;;#ASMEND
	global_load_dwordx2 v[10:11], v[8:9], off offset:1024
	v_mov_b32_e32 v46, 0
	v_mov_b32_e32 v47, 0
	global_load_dword v45, v46, s[14:15]
	s_waitcnt vmcnt(1)
	v_cmp_ne_u16_sdwa s0, v10, v3 src0_sel:BYTE_0 src1_sel:DWORD
	s_and_saveexec_b32 s9, s0
	s_cbranch_execz .LBB277_689
; %bb.682:                              ;   in Loop: Header=BB277_417 Depth=1
	v_cmp_ne_u16_sdwa s0, v10, v22 src0_sel:BYTE_0 src1_sel:DWORD
	v_mov_b32_e32 v47, 0x8000
	s_and_saveexec_b32 s12, s0
	s_cbranch_execz .LBB277_688
; %bb.683:                              ;   in Loop: Header=BB277_417 Depth=1
	v_and_b32_e32 v48, 0x7f, v10
	v_mov_b32_e32 v47, 0x7c01
	s_mov_b32 s13, exec_lo
	v_cmpx_ne_u32_e32 0x7f, v48
	s_cbranch_execz .LBB277_687
; %bb.684:                              ;   in Loop: Header=BB277_417 Depth=1
	v_and_b32_e32 v2, 7, v10
	v_lshrrev_b32_e32 v47, 3, v48
	s_mov_b32 s17, exec_lo
	v_cmpx_gt_u32_e32 8, v48
; %bb.685:                              ;   in Loop: Header=BB277_417 Depth=1
	v_ffbh_u32_e32 v2, v2
	v_min_u32_e32 v2, 32, v2
	v_subrev_nc_u32_e32 v47, 28, v2
	v_lshlrev_b64 v[48:49], v47, v[10:11]
	v_sub_nc_u32_e32 v47, 29, v2
	v_and_b32_e32 v2, 7, v48
; %bb.686:                              ;   in Loop: Header=BB277_417 Depth=1
	s_or_b32 exec_lo, exec_lo, s17
	v_lshlrev_b32_e32 v48, 8, v10
	v_lshl_add_u32 v47, v47, 10, 0x2000
	v_lshlrev_b32_e32 v2, 7, v2
	v_and_b32_e32 v48, 0x8000, v48
	v_and_b32_e32 v47, 0xfc00, v47
	v_or3_b32 v47, v48, v47, v2
.LBB277_687:                            ;   in Loop: Header=BB277_417 Depth=1
	s_or_b32 exec_lo, exec_lo, s13
.LBB277_688:                            ;   in Loop: Header=BB277_417 Depth=1
	s_or_b32 exec_lo, exec_lo, s12
.LBB277_689:                            ;   in Loop: Header=BB277_417 Depth=1
	s_or_b32 exec_lo, exec_lo, s9
	v_lshrrev_b16 v2, 8, v10
	s_mov_b32 s9, exec_lo
	v_cmpx_ne_u16_e32 0, v2
	s_cbranch_execz .LBB277_697
; %bb.690:                              ;   in Loop: Header=BB277_417 Depth=1
	v_bfrev_b32_e32 v46, 1
	s_mov_b32 s12, exec_lo
	v_cmpx_ne_u16_e32 0x80, v2
	s_cbranch_execz .LBB277_696
; %bb.691:                              ;   in Loop: Header=BB277_417 Depth=1
	v_and_b32_sdwa v49, v2, v23 dst_sel:DWORD dst_unused:UNUSED_PAD src0_sel:WORD_0 src1_sel:DWORD
	v_mov_b32_e32 v46, 0x7c010000
	s_mov_b32 s13, exec_lo
	v_cmpx_ne_u32_e32 0x7f, v49
	s_cbranch_execz .LBB277_695
; %bb.692:                              ;   in Loop: Header=BB277_417 Depth=1
	v_and_b32_sdwa v46, v2, v24 dst_sel:DWORD dst_unused:UNUSED_PAD src0_sel:WORD_0 src1_sel:DWORD
	v_lshrrev_b32_e32 v48, 3, v49
	s_mov_b32 s17, exec_lo
	v_cmpx_gt_u32_e32 8, v49
; %bb.693:                              ;   in Loop: Header=BB277_417 Depth=1
	v_ffbh_u32_e32 v46, v46
	v_min_u32_e32 v46, 32, v46
	v_subrev_nc_u32_e32 v48, 28, v46
	v_lshlrev_b64 v[49:50], v48, v[2:3]
	v_sub_nc_u32_e32 v48, 29, v46
	v_and_b32_e32 v46, 7, v49
; %bb.694:                              ;   in Loop: Header=BB277_417 Depth=1
	s_or_b32 exec_lo, exec_lo, s17
	v_lshlrev_b32_sdwa v2, v25, v2 dst_sel:DWORD dst_unused:UNUSED_PAD src0_sel:DWORD src1_sel:WORD_0
	v_lshl_add_u32 v48, v48, 10, 0x2000
	v_lshlrev_b32_e32 v46, 23, v46
	v_and_or_b32 v2, 0x8000, v2, v48
	v_lshl_or_b32 v46, v2, 16, v46
.LBB277_695:                            ;   in Loop: Header=BB277_417 Depth=1
	s_or_b32 exec_lo, exec_lo, s13
.LBB277_696:                            ;   in Loop: Header=BB277_417 Depth=1
	s_or_b32 exec_lo, exec_lo, s12
.LBB277_697:                            ;   in Loop: Header=BB277_417 Depth=1
	s_or_b32 exec_lo, exec_lo, s9
	v_lshrrev_b32_e32 v2, 16, v10
	v_mov_b32_e32 v48, 0
	v_mov_b32_e32 v49, 0
	v_cmp_ne_u16_sdwa s0, v2, v3 src0_sel:BYTE_0 src1_sel:DWORD
	s_and_saveexec_b32 s9, s0
	s_cbranch_execz .LBB277_705
; %bb.698:                              ;   in Loop: Header=BB277_417 Depth=1
	v_cmp_ne_u16_sdwa s0, v2, v22 src0_sel:BYTE_0 src1_sel:DWORD
	v_mov_b32_e32 v49, 0x8000
	s_and_saveexec_b32 s12, s0
	s_cbranch_execz .LBB277_704
; %bb.699:                              ;   in Loop: Header=BB277_417 Depth=1
	v_bfe_u32 v51, v10, 16, 7
	v_mov_b32_e32 v49, 0x7c01
	s_mov_b32 s13, exec_lo
	v_cmpx_ne_u32_e32 0x7f, v51
	s_cbranch_execz .LBB277_703
; %bb.700:                              ;   in Loop: Header=BB277_417 Depth=1
	v_and_b32_e32 v49, 7, v2
	v_lshrrev_b32_e32 v50, 3, v51
	s_mov_b32 s17, exec_lo
	v_cmpx_gt_u32_e32 8, v51
; %bb.701:                              ;   in Loop: Header=BB277_417 Depth=1
	v_ffbh_u32_e32 v49, v49
	v_min_u32_e32 v51, 32, v49
	v_subrev_nc_u32_e32 v49, 28, v51
	v_lshlrev_b64 v[49:50], v49, v[2:3]
	v_sub_nc_u32_e32 v50, 29, v51
	v_and_b32_e32 v49, 7, v49
; %bb.702:                              ;   in Loop: Header=BB277_417 Depth=1
	s_or_b32 exec_lo, exec_lo, s17
	v_lshlrev_b32_e32 v2, 8, v2
	v_lshl_add_u32 v50, v50, 10, 0x2000
	v_lshlrev_b32_e32 v49, 7, v49
	v_and_b32_e32 v2, 0x8000, v2
	v_and_b32_e32 v50, 0xfc00, v50
	v_or3_b32 v49, v2, v50, v49
.LBB277_703:                            ;   in Loop: Header=BB277_417 Depth=1
	s_or_b32 exec_lo, exec_lo, s13
.LBB277_704:                            ;   in Loop: Header=BB277_417 Depth=1
	s_or_b32 exec_lo, exec_lo, s12
.LBB277_705:                            ;   in Loop: Header=BB277_417 Depth=1
	s_or_b32 exec_lo, exec_lo, s9
	s_mov_b32 s9, exec_lo
	v_cmpx_lt_u32_e32 0xffffff, v10
	s_cbranch_execz .LBB277_713
; %bb.706:                              ;   in Loop: Header=BB277_417 Depth=1
	v_lshrrev_b32_e32 v2, 24, v10
	v_bfrev_b32_e32 v48, 1
	s_mov_b32 s12, exec_lo
	v_cmpx_ne_u32_e32 0x80, v2
	s_cbranch_execz .LBB277_712
; %bb.707:                              ;   in Loop: Header=BB277_417 Depth=1
	v_and_b32_e32 v51, 0x7f, v2
	v_mov_b32_e32 v48, 0x7c010000
	s_mov_b32 s13, exec_lo
	v_cmpx_ne_u32_e32 0x7f, v51
	s_cbranch_execz .LBB277_711
; %bb.708:                              ;   in Loop: Header=BB277_417 Depth=1
	v_and_b32_e32 v48, 7, v2
	v_lshrrev_b32_e32 v50, 3, v51
	s_mov_b32 s17, exec_lo
	v_cmpx_gt_u32_e32 8, v51
; %bb.709:                              ;   in Loop: Header=BB277_417 Depth=1
	v_ffbh_u32_e32 v48, v48
	v_min_u32_e32 v48, 32, v48
	v_subrev_nc_u32_e32 v50, 28, v48
	v_lshlrev_b64 v[51:52], v50, v[2:3]
	v_sub_nc_u32_e32 v50, 29, v48
	v_and_b32_e32 v48, 7, v51
; %bb.710:                              ;   in Loop: Header=BB277_417 Depth=1
	s_or_b32 exec_lo, exec_lo, s17
	v_lshlrev_b32_e32 v2, 8, v2
	v_lshl_add_u32 v50, v50, 10, 0x2000
	v_lshlrev_b32_e32 v48, 23, v48
	v_and_or_b32 v2, 0x8000, v2, v50
	v_lshl_or_b32 v48, v2, 16, v48
.LBB277_711:                            ;   in Loop: Header=BB277_417 Depth=1
	s_or_b32 exec_lo, exec_lo, s13
.LBB277_712:                            ;   in Loop: Header=BB277_417 Depth=1
	s_or_b32 exec_lo, exec_lo, s12
.LBB277_713:                            ;   in Loop: Header=BB277_417 Depth=1
	s_or_b32 exec_lo, exec_lo, s9
	v_mov_b32_e32 v2, v11
	v_cmp_ne_u16_sdwa s0, v11, v3 src0_sel:BYTE_0 src1_sel:DWORD
	v_mov_b32_e32 v50, 0
	v_mov_b32_e32 v51, 0
	s_and_saveexec_b32 s9, s0
	s_cbranch_execz .LBB277_721
; %bb.714:                              ;   in Loop: Header=BB277_417 Depth=1
	v_cmp_ne_u16_sdwa s0, v11, v22 src0_sel:BYTE_0 src1_sel:DWORD
	v_mov_b32_e32 v51, 0x8000
	s_and_saveexec_b32 s12, s0
	s_cbranch_execz .LBB277_720
; %bb.715:                              ;   in Loop: Header=BB277_417 Depth=1
	v_and_b32_e32 v53, 0x7f, v11
	v_mov_b32_e32 v51, 0x7c01
	s_mov_b32 s13, exec_lo
	v_cmpx_ne_u32_e32 0x7f, v53
	s_cbranch_execz .LBB277_719
; %bb.716:                              ;   in Loop: Header=BB277_417 Depth=1
	v_and_b32_e32 v51, 7, v11
	v_lshrrev_b32_e32 v52, 3, v53
	s_mov_b32 s17, exec_lo
	v_cmpx_gt_u32_e32 8, v53
; %bb.717:                              ;   in Loop: Header=BB277_417 Depth=1
	v_ffbh_u32_e32 v51, v51
	v_min_u32_e32 v53, 32, v51
	v_subrev_nc_u32_e32 v51, 28, v53
	v_lshlrev_b64 v[51:52], v51, v[2:3]
	v_sub_nc_u32_e32 v52, 29, v53
	v_and_b32_e32 v51, 7, v51
; %bb.718:                              ;   in Loop: Header=BB277_417 Depth=1
	s_or_b32 exec_lo, exec_lo, s17
	v_lshlrev_b32_e32 v53, 8, v11
	v_lshl_add_u32 v52, v52, 10, 0x2000
	v_lshlrev_b32_e32 v51, 7, v51
	v_and_b32_e32 v53, 0x8000, v53
	v_and_b32_e32 v52, 0xfc00, v52
	v_or3_b32 v51, v53, v52, v51
.LBB277_719:                            ;   in Loop: Header=BB277_417 Depth=1
	s_or_b32 exec_lo, exec_lo, s13
.LBB277_720:                            ;   in Loop: Header=BB277_417 Depth=1
	s_or_b32 exec_lo, exec_lo, s12
.LBB277_721:                            ;   in Loop: Header=BB277_417 Depth=1
	s_or_b32 exec_lo, exec_lo, s9
	v_lshrrev_b16 v2, 8, v2
	v_mov_b32_e32 v52, 0
	s_mov_b32 s9, exec_lo
	v_cmpx_ne_u16_e32 0, v2
	s_cbranch_execz .LBB277_729
; %bb.722:                              ;   in Loop: Header=BB277_417 Depth=1
	v_bfrev_b32_e32 v52, 1
	s_mov_b32 s12, exec_lo
	v_cmpx_ne_u16_e32 0x80, v2
	s_cbranch_execz .LBB277_728
; %bb.723:                              ;   in Loop: Header=BB277_417 Depth=1
	v_and_b32_sdwa v54, v2, v23 dst_sel:DWORD dst_unused:UNUSED_PAD src0_sel:WORD_0 src1_sel:DWORD
	v_mov_b32_e32 v52, 0x7c010000
	s_mov_b32 s13, exec_lo
	v_cmpx_ne_u32_e32 0x7f, v54
	s_cbranch_execz .LBB277_727
; %bb.724:                              ;   in Loop: Header=BB277_417 Depth=1
	v_and_b32_sdwa v52, v2, v24 dst_sel:DWORD dst_unused:UNUSED_PAD src0_sel:WORD_0 src1_sel:DWORD
	v_lshrrev_b32_e32 v53, 3, v54
	s_mov_b32 s17, exec_lo
	v_cmpx_gt_u32_e32 8, v54
; %bb.725:                              ;   in Loop: Header=BB277_417 Depth=1
	v_ffbh_u32_e32 v52, v52
	v_min_u32_e32 v54, 32, v52
	v_subrev_nc_u32_e32 v52, 28, v54
	v_lshlrev_b64 v[52:53], v52, v[2:3]
	v_sub_nc_u32_e32 v53, 29, v54
	v_and_b32_e32 v52, 7, v52
; %bb.726:                              ;   in Loop: Header=BB277_417 Depth=1
	s_or_b32 exec_lo, exec_lo, s17
	v_lshlrev_b32_sdwa v2, v25, v2 dst_sel:DWORD dst_unused:UNUSED_PAD src0_sel:DWORD src1_sel:WORD_0
	v_lshl_add_u32 v53, v53, 10, 0x2000
	v_lshlrev_b32_e32 v52, 23, v52
	v_and_or_b32 v2, 0x8000, v2, v53
	v_lshl_or_b32 v52, v2, 16, v52
.LBB277_727:                            ;   in Loop: Header=BB277_417 Depth=1
	s_or_b32 exec_lo, exec_lo, s13
.LBB277_728:                            ;   in Loop: Header=BB277_417 Depth=1
	s_or_b32 exec_lo, exec_lo, s12
.LBB277_729:                            ;   in Loop: Header=BB277_417 Depth=1
	s_or_b32 exec_lo, exec_lo, s9
	v_lshrrev_b32_e32 v2, 16, v11
	v_cmp_ne_u16_sdwa s0, v2, v3 src0_sel:BYTE_0 src1_sel:DWORD
	s_and_saveexec_b32 s9, s0
	s_cbranch_execz .LBB277_737
; %bb.730:                              ;   in Loop: Header=BB277_417 Depth=1
	v_cmp_ne_u16_sdwa s0, v2, v22 src0_sel:BYTE_0 src1_sel:DWORD
	v_mov_b32_e32 v50, 0x8000
	s_and_saveexec_b32 s12, s0
	s_cbranch_execz .LBB277_736
; %bb.731:                              ;   in Loop: Header=BB277_417 Depth=1
	v_bfe_u32 v54, v11, 16, 7
	v_mov_b32_e32 v50, 0x7c01
	s_mov_b32 s13, exec_lo
	v_cmpx_ne_u32_e32 0x7f, v54
	s_cbranch_execz .LBB277_735
; %bb.732:                              ;   in Loop: Header=BB277_417 Depth=1
	v_and_b32_e32 v50, 7, v2
	v_lshrrev_b32_e32 v53, 3, v54
	s_mov_b32 s17, exec_lo
	v_cmpx_gt_u32_e32 8, v54
; %bb.733:                              ;   in Loop: Header=BB277_417 Depth=1
	v_ffbh_u32_e32 v50, v50
	v_min_u32_e32 v50, 32, v50
	v_subrev_nc_u32_e32 v53, 28, v50
	v_lshlrev_b64 v[54:55], v53, v[2:3]
	v_sub_nc_u32_e32 v53, 29, v50
	v_and_b32_e32 v50, 7, v54
; %bb.734:                              ;   in Loop: Header=BB277_417 Depth=1
	s_or_b32 exec_lo, exec_lo, s17
	v_lshlrev_b32_e32 v2, 8, v2
	v_lshl_add_u32 v53, v53, 10, 0x2000
	v_lshlrev_b32_e32 v50, 7, v50
	v_and_b32_e32 v2, 0x8000, v2
	v_and_b32_e32 v53, 0xfc00, v53
	v_or3_b32 v50, v2, v53, v50
.LBB277_735:                            ;   in Loop: Header=BB277_417 Depth=1
	s_or_b32 exec_lo, exec_lo, s13
.LBB277_736:                            ;   in Loop: Header=BB277_417 Depth=1
	s_or_b32 exec_lo, exec_lo, s12
.LBB277_737:                            ;   in Loop: Header=BB277_417 Depth=1
	s_or_b32 exec_lo, exec_lo, s9
	v_cmp_lt_u64_e64 s0, s[4:5], v[10:11]
	v_mov_b32_e32 v10, 0
	s_and_saveexec_b32 s9, s0
	s_cbranch_execz .LBB277_745
; %bb.738:                              ;   in Loop: Header=BB277_417 Depth=1
	v_lshrrev_b32_e32 v2, 24, v11
	v_bfrev_b32_e32 v10, 1
	s_mov_b32 s12, exec_lo
	v_cmpx_ne_u32_e32 0x80, v2
	s_cbranch_execz .LBB277_744
; %bb.739:                              ;   in Loop: Header=BB277_417 Depth=1
	v_and_b32_e32 v53, 0x7f, v2
	v_mov_b32_e32 v10, 0x7c010000
	s_mov_b32 s13, exec_lo
	v_cmpx_ne_u32_e32 0x7f, v53
	s_cbranch_execz .LBB277_743
; %bb.740:                              ;   in Loop: Header=BB277_417 Depth=1
	v_and_b32_e32 v10, 7, v2
	v_lshrrev_b32_e32 v11, 3, v53
	s_mov_b32 s17, exec_lo
	v_cmpx_gt_u32_e32 8, v53
; %bb.741:                              ;   in Loop: Header=BB277_417 Depth=1
	v_ffbh_u32_e32 v10, v10
	v_min_u32_e32 v53, 32, v10
	v_subrev_nc_u32_e32 v10, 28, v53
	v_lshlrev_b64 v[10:11], v10, v[2:3]
	v_sub_nc_u32_e32 v11, 29, v53
	v_and_b32_e32 v10, 7, v10
; %bb.742:                              ;   in Loop: Header=BB277_417 Depth=1
	s_or_b32 exec_lo, exec_lo, s17
	v_lshlrev_b32_e32 v2, 8, v2
	v_lshl_add_u32 v11, v11, 10, 0x2000
	v_lshlrev_b32_e32 v10, 23, v10
	v_and_or_b32 v2, 0x8000, v2, v11
	v_lshl_or_b32 v10, v2, 16, v10
.LBB277_743:                            ;   in Loop: Header=BB277_417 Depth=1
	s_or_b32 exec_lo, exec_lo, s13
.LBB277_744:                            ;   in Loop: Header=BB277_417 Depth=1
	s_or_b32 exec_lo, exec_lo, s12
.LBB277_745:                            ;   in Loop: Header=BB277_417 Depth=1
	s_or_b32 exec_lo, exec_lo, s9
	v_or_b32_e32 v2, v48, v49
	s_waitcnt vmcnt(0)
	v_fma_mixlo_f16 v11, v45, v48, 0 op_sel:[0,1,0] op_sel_hi:[0,1,0]
	v_or_b32_e32 v48, v46, v47
	v_fma_mixlo_f16 v46, v45, v46, 0 op_sel:[0,1,0] op_sel_hi:[0,1,0]
	v_or_b32_e32 v49, v52, v51
	v_or_b32_e32 v50, v10, v50
	v_fma_mixlo_f16 v51, v45, v2, 0 op_sel_hi:[0,1,0]
	v_fma_mixlo_f16 v10, v45, v10, 0 op_sel:[0,1,0] op_sel_hi:[0,1,0]
	v_lshlrev_b32_e32 v47, 16, v46
	v_fma_mixlo_f16 v46, v45, v48, 0 op_sel_hi:[0,1,0]
	v_fma_mixlo_f16 v48, v45, v52, 0 op_sel:[0,1,0] op_sel_hi:[0,1,0]
	v_fma_mixlo_f16 v49, v45, v49, 0 op_sel_hi:[0,1,0]
	v_fma_mixlo_f16 v50, v45, v50, 0 op_sel_hi:[0,1,0]
	v_lshlrev_b32_e32 v2, 16, v11
	v_and_b32_e32 v11, 0xffff, v51
	v_and_b32_e32 v53, 0xffff, v46
	v_lshlrev_b32_e32 v45, 16, v48
	v_and_b32_e32 v49, 0xffff, v49
	v_lshlrev_b32_e32 v10, 16, v10
	v_and_b32_e32 v46, 0xffff, v50
	v_or_b32_e32 v48, v2, v11
	v_or_b32_e32 v52, v47, v53
	;; [unrolled: 1-line block ×4, first 2 shown]
	s_and_saveexec_b32 s9, vcc_lo
	s_cbranch_execz .LBB277_747
; %bb.746:                              ;   in Loop: Header=BB277_417 Depth=1
	v_cmp_gt_i32_e64 s0, s27, v26
	v_cndmask_b32_e64 v48, 0, v53, s0
	v_cmp_gt_i32_e64 s0, s27, v32
	v_cndmask_b32_e64 v47, 0, v47, s0
	v_cmp_gt_i32_e64 s0, s27, v31
	v_or_b32_e32 v52, v47, v48
	v_cndmask_b32_e64 v11, 0, v11, s0
	v_cmp_gt_i32_e64 s0, s27, v30
	v_cndmask_b32_e64 v2, 0, v2, s0
	v_cmp_gt_i32_e64 s0, s27, v29
	v_or_b32_e32 v48, v2, v11
	;; [unrolled: 5-line block ×3, first 2 shown]
	v_cndmask_b32_e64 v46, 0, v46, s0
	v_cmp_gt_i32_e64 s0, s27, v20
	v_cndmask_b32_e64 v10, 0, v10, s0
	v_or_b32_e32 v50, v10, v46
.LBB277_747:                            ;   in Loop: Header=BB277_417 Depth=1
	s_or_b32 exec_lo, exec_lo, s9
	;;#ASMSTART
	v_pk_mul_f16 v2, v38, v52;

	;;#ASMEND
	;;#ASMSTART
	v_pk_mul_f16 v10, v36, v48;

	;;#ASMEND
	;; [unrolled: 4-line block ×4, first 2 shown]
	;;#ASMSTART
	v_pk_add_f16 v2, v2, v10;

	;;#ASMEND
	;;#ASMSTART
	v_pk_add_f16 v2, v2, v11;

	;;#ASMEND
	;; [unrolled: 4-line block ×3, first 2 shown]
	v_and_b32_e32 v10, 0xffff, v2
	v_lshrrev_b32_e32 v2, 16, v2
	;;#ASMSTART
	v_cvt_f32_f16 v10, v10;
	;;#ASMEND
	;;#ASMSTART
	v_cvt_f32_f16 v11, v2;
	;;#ASMEND
	global_load_dwordx2 v[8:9], v[8:9], off offset:1280
	v_mov_b32_e32 v46, 0
	v_mov_b32_e32 v47, 0
	global_load_dword v45, v46, s[14:15]
	s_waitcnt vmcnt(1)
	v_cmp_ne_u16_sdwa s0, v8, v3 src0_sel:BYTE_0 src1_sel:DWORD
	s_and_saveexec_b32 s9, s0
	s_cbranch_execz .LBB277_755
; %bb.748:                              ;   in Loop: Header=BB277_417 Depth=1
	v_cmp_ne_u16_sdwa s0, v8, v22 src0_sel:BYTE_0 src1_sel:DWORD
	v_mov_b32_e32 v47, 0x8000
	s_and_saveexec_b32 s12, s0
	s_cbranch_execz .LBB277_754
; %bb.749:                              ;   in Loop: Header=BB277_417 Depth=1
	v_and_b32_e32 v48, 0x7f, v8
	v_mov_b32_e32 v47, 0x7c01
	s_mov_b32 s13, exec_lo
	v_cmpx_ne_u32_e32 0x7f, v48
	s_cbranch_execz .LBB277_753
; %bb.750:                              ;   in Loop: Header=BB277_417 Depth=1
	v_and_b32_e32 v2, 7, v8
	v_lshrrev_b32_e32 v47, 3, v48
	s_mov_b32 s17, exec_lo
	v_cmpx_gt_u32_e32 8, v48
; %bb.751:                              ;   in Loop: Header=BB277_417 Depth=1
	v_ffbh_u32_e32 v2, v2
	v_min_u32_e32 v2, 32, v2
	v_subrev_nc_u32_e32 v47, 28, v2
	v_lshlrev_b64 v[48:49], v47, v[8:9]
	v_sub_nc_u32_e32 v47, 29, v2
	v_and_b32_e32 v2, 7, v48
; %bb.752:                              ;   in Loop: Header=BB277_417 Depth=1
	s_or_b32 exec_lo, exec_lo, s17
	v_lshlrev_b32_e32 v48, 8, v8
	v_lshl_add_u32 v47, v47, 10, 0x2000
	v_lshlrev_b32_e32 v2, 7, v2
	v_and_b32_e32 v48, 0x8000, v48
	v_and_b32_e32 v47, 0xfc00, v47
	v_or3_b32 v47, v48, v47, v2
.LBB277_753:                            ;   in Loop: Header=BB277_417 Depth=1
	s_or_b32 exec_lo, exec_lo, s13
.LBB277_754:                            ;   in Loop: Header=BB277_417 Depth=1
	s_or_b32 exec_lo, exec_lo, s12
.LBB277_755:                            ;   in Loop: Header=BB277_417 Depth=1
	s_or_b32 exec_lo, exec_lo, s9
	v_lshrrev_b16 v2, 8, v8
	s_mov_b32 s9, exec_lo
	v_cmpx_ne_u16_e32 0, v2
	s_cbranch_execz .LBB277_763
; %bb.756:                              ;   in Loop: Header=BB277_417 Depth=1
	v_bfrev_b32_e32 v46, 1
	s_mov_b32 s12, exec_lo
	v_cmpx_ne_u16_e32 0x80, v2
	s_cbranch_execz .LBB277_762
; %bb.757:                              ;   in Loop: Header=BB277_417 Depth=1
	v_and_b32_sdwa v49, v2, v23 dst_sel:DWORD dst_unused:UNUSED_PAD src0_sel:WORD_0 src1_sel:DWORD
	v_mov_b32_e32 v46, 0x7c010000
	s_mov_b32 s13, exec_lo
	v_cmpx_ne_u32_e32 0x7f, v49
	s_cbranch_execz .LBB277_761
; %bb.758:                              ;   in Loop: Header=BB277_417 Depth=1
	v_and_b32_sdwa v46, v2, v24 dst_sel:DWORD dst_unused:UNUSED_PAD src0_sel:WORD_0 src1_sel:DWORD
	v_lshrrev_b32_e32 v48, 3, v49
	s_mov_b32 s17, exec_lo
	v_cmpx_gt_u32_e32 8, v49
; %bb.759:                              ;   in Loop: Header=BB277_417 Depth=1
	v_ffbh_u32_e32 v46, v46
	v_min_u32_e32 v46, 32, v46
	v_subrev_nc_u32_e32 v48, 28, v46
	v_lshlrev_b64 v[49:50], v48, v[2:3]
	v_sub_nc_u32_e32 v48, 29, v46
	v_and_b32_e32 v46, 7, v49
; %bb.760:                              ;   in Loop: Header=BB277_417 Depth=1
	s_or_b32 exec_lo, exec_lo, s17
	v_lshlrev_b32_sdwa v2, v25, v2 dst_sel:DWORD dst_unused:UNUSED_PAD src0_sel:DWORD src1_sel:WORD_0
	v_lshl_add_u32 v48, v48, 10, 0x2000
	v_lshlrev_b32_e32 v46, 23, v46
	v_and_or_b32 v2, 0x8000, v2, v48
	v_lshl_or_b32 v46, v2, 16, v46
.LBB277_761:                            ;   in Loop: Header=BB277_417 Depth=1
	s_or_b32 exec_lo, exec_lo, s13
.LBB277_762:                            ;   in Loop: Header=BB277_417 Depth=1
	s_or_b32 exec_lo, exec_lo, s12
.LBB277_763:                            ;   in Loop: Header=BB277_417 Depth=1
	s_or_b32 exec_lo, exec_lo, s9
	v_lshrrev_b32_e32 v2, 16, v8
	v_mov_b32_e32 v48, 0
	v_mov_b32_e32 v49, 0
	v_cmp_ne_u16_sdwa s0, v2, v3 src0_sel:BYTE_0 src1_sel:DWORD
	s_and_saveexec_b32 s9, s0
	s_cbranch_execz .LBB277_771
; %bb.764:                              ;   in Loop: Header=BB277_417 Depth=1
	v_cmp_ne_u16_sdwa s0, v2, v22 src0_sel:BYTE_0 src1_sel:DWORD
	v_mov_b32_e32 v49, 0x8000
	s_and_saveexec_b32 s12, s0
	s_cbranch_execz .LBB277_770
; %bb.765:                              ;   in Loop: Header=BB277_417 Depth=1
	v_bfe_u32 v51, v8, 16, 7
	v_mov_b32_e32 v49, 0x7c01
	s_mov_b32 s13, exec_lo
	v_cmpx_ne_u32_e32 0x7f, v51
	s_cbranch_execz .LBB277_769
; %bb.766:                              ;   in Loop: Header=BB277_417 Depth=1
	v_and_b32_e32 v49, 7, v2
	v_lshrrev_b32_e32 v50, 3, v51
	s_mov_b32 s17, exec_lo
	v_cmpx_gt_u32_e32 8, v51
; %bb.767:                              ;   in Loop: Header=BB277_417 Depth=1
	v_ffbh_u32_e32 v49, v49
	v_min_u32_e32 v51, 32, v49
	v_subrev_nc_u32_e32 v49, 28, v51
	v_lshlrev_b64 v[49:50], v49, v[2:3]
	v_sub_nc_u32_e32 v50, 29, v51
	v_and_b32_e32 v49, 7, v49
; %bb.768:                              ;   in Loop: Header=BB277_417 Depth=1
	s_or_b32 exec_lo, exec_lo, s17
	v_lshlrev_b32_e32 v2, 8, v2
	v_lshl_add_u32 v50, v50, 10, 0x2000
	v_lshlrev_b32_e32 v49, 7, v49
	v_and_b32_e32 v2, 0x8000, v2
	v_and_b32_e32 v50, 0xfc00, v50
	v_or3_b32 v49, v2, v50, v49
.LBB277_769:                            ;   in Loop: Header=BB277_417 Depth=1
	s_or_b32 exec_lo, exec_lo, s13
.LBB277_770:                            ;   in Loop: Header=BB277_417 Depth=1
	s_or_b32 exec_lo, exec_lo, s12
.LBB277_771:                            ;   in Loop: Header=BB277_417 Depth=1
	s_or_b32 exec_lo, exec_lo, s9
	s_mov_b32 s9, exec_lo
	v_cmpx_lt_u32_e32 0xffffff, v8
	s_cbranch_execz .LBB277_779
; %bb.772:                              ;   in Loop: Header=BB277_417 Depth=1
	v_lshrrev_b32_e32 v2, 24, v8
	v_bfrev_b32_e32 v48, 1
	s_mov_b32 s12, exec_lo
	v_cmpx_ne_u32_e32 0x80, v2
	s_cbranch_execz .LBB277_778
; %bb.773:                              ;   in Loop: Header=BB277_417 Depth=1
	v_and_b32_e32 v51, 0x7f, v2
	v_mov_b32_e32 v48, 0x7c010000
	s_mov_b32 s13, exec_lo
	v_cmpx_ne_u32_e32 0x7f, v51
	s_cbranch_execz .LBB277_777
; %bb.774:                              ;   in Loop: Header=BB277_417 Depth=1
	v_and_b32_e32 v48, 7, v2
	v_lshrrev_b32_e32 v50, 3, v51
	s_mov_b32 s17, exec_lo
	v_cmpx_gt_u32_e32 8, v51
; %bb.775:                              ;   in Loop: Header=BB277_417 Depth=1
	v_ffbh_u32_e32 v48, v48
	v_min_u32_e32 v48, 32, v48
	v_subrev_nc_u32_e32 v50, 28, v48
	v_lshlrev_b64 v[51:52], v50, v[2:3]
	v_sub_nc_u32_e32 v50, 29, v48
	v_and_b32_e32 v48, 7, v51
; %bb.776:                              ;   in Loop: Header=BB277_417 Depth=1
	s_or_b32 exec_lo, exec_lo, s17
	v_lshlrev_b32_e32 v2, 8, v2
	v_lshl_add_u32 v50, v50, 10, 0x2000
	v_lshlrev_b32_e32 v48, 23, v48
	v_and_or_b32 v2, 0x8000, v2, v50
	v_lshl_or_b32 v48, v2, 16, v48
.LBB277_777:                            ;   in Loop: Header=BB277_417 Depth=1
	s_or_b32 exec_lo, exec_lo, s13
.LBB277_778:                            ;   in Loop: Header=BB277_417 Depth=1
	s_or_b32 exec_lo, exec_lo, s12
.LBB277_779:                            ;   in Loop: Header=BB277_417 Depth=1
	s_or_b32 exec_lo, exec_lo, s9
	v_mov_b32_e32 v2, v9
	v_cmp_ne_u16_sdwa s0, v9, v3 src0_sel:BYTE_0 src1_sel:DWORD
	v_mov_b32_e32 v50, 0
	v_mov_b32_e32 v51, 0
	s_and_saveexec_b32 s9, s0
	s_cbranch_execz .LBB277_787
; %bb.780:                              ;   in Loop: Header=BB277_417 Depth=1
	v_cmp_ne_u16_sdwa s0, v9, v22 src0_sel:BYTE_0 src1_sel:DWORD
	v_mov_b32_e32 v51, 0x8000
	s_and_saveexec_b32 s12, s0
	s_cbranch_execz .LBB277_786
; %bb.781:                              ;   in Loop: Header=BB277_417 Depth=1
	v_and_b32_e32 v53, 0x7f, v9
	v_mov_b32_e32 v51, 0x7c01
	s_mov_b32 s13, exec_lo
	v_cmpx_ne_u32_e32 0x7f, v53
	s_cbranch_execz .LBB277_785
; %bb.782:                              ;   in Loop: Header=BB277_417 Depth=1
	v_and_b32_e32 v51, 7, v9
	v_lshrrev_b32_e32 v52, 3, v53
	s_mov_b32 s17, exec_lo
	v_cmpx_gt_u32_e32 8, v53
; %bb.783:                              ;   in Loop: Header=BB277_417 Depth=1
	v_ffbh_u32_e32 v51, v51
	v_min_u32_e32 v53, 32, v51
	v_subrev_nc_u32_e32 v51, 28, v53
	v_lshlrev_b64 v[51:52], v51, v[2:3]
	v_sub_nc_u32_e32 v52, 29, v53
	v_and_b32_e32 v51, 7, v51
; %bb.784:                              ;   in Loop: Header=BB277_417 Depth=1
	s_or_b32 exec_lo, exec_lo, s17
	v_lshlrev_b32_e32 v53, 8, v9
	v_lshl_add_u32 v52, v52, 10, 0x2000
	v_lshlrev_b32_e32 v51, 7, v51
	v_and_b32_e32 v53, 0x8000, v53
	v_and_b32_e32 v52, 0xfc00, v52
	v_or3_b32 v51, v53, v52, v51
.LBB277_785:                            ;   in Loop: Header=BB277_417 Depth=1
	s_or_b32 exec_lo, exec_lo, s13
.LBB277_786:                            ;   in Loop: Header=BB277_417 Depth=1
	s_or_b32 exec_lo, exec_lo, s12
.LBB277_787:                            ;   in Loop: Header=BB277_417 Depth=1
	s_or_b32 exec_lo, exec_lo, s9
	v_lshrrev_b16 v2, 8, v2
	v_mov_b32_e32 v52, 0
	s_mov_b32 s9, exec_lo
	v_cmpx_ne_u16_e32 0, v2
	s_cbranch_execz .LBB277_795
; %bb.788:                              ;   in Loop: Header=BB277_417 Depth=1
	v_bfrev_b32_e32 v52, 1
	s_mov_b32 s12, exec_lo
	v_cmpx_ne_u16_e32 0x80, v2
	s_cbranch_execz .LBB277_794
; %bb.789:                              ;   in Loop: Header=BB277_417 Depth=1
	v_and_b32_sdwa v54, v2, v23 dst_sel:DWORD dst_unused:UNUSED_PAD src0_sel:WORD_0 src1_sel:DWORD
	v_mov_b32_e32 v52, 0x7c010000
	s_mov_b32 s13, exec_lo
	v_cmpx_ne_u32_e32 0x7f, v54
	s_cbranch_execz .LBB277_793
; %bb.790:                              ;   in Loop: Header=BB277_417 Depth=1
	v_and_b32_sdwa v52, v2, v24 dst_sel:DWORD dst_unused:UNUSED_PAD src0_sel:WORD_0 src1_sel:DWORD
	v_lshrrev_b32_e32 v53, 3, v54
	s_mov_b32 s17, exec_lo
	v_cmpx_gt_u32_e32 8, v54
; %bb.791:                              ;   in Loop: Header=BB277_417 Depth=1
	v_ffbh_u32_e32 v52, v52
	v_min_u32_e32 v54, 32, v52
	v_subrev_nc_u32_e32 v52, 28, v54
	v_lshlrev_b64 v[52:53], v52, v[2:3]
	v_sub_nc_u32_e32 v53, 29, v54
	v_and_b32_e32 v52, 7, v52
; %bb.792:                              ;   in Loop: Header=BB277_417 Depth=1
	s_or_b32 exec_lo, exec_lo, s17
	v_lshlrev_b32_sdwa v2, v25, v2 dst_sel:DWORD dst_unused:UNUSED_PAD src0_sel:DWORD src1_sel:WORD_0
	v_lshl_add_u32 v53, v53, 10, 0x2000
	v_lshlrev_b32_e32 v52, 23, v52
	v_and_or_b32 v2, 0x8000, v2, v53
	v_lshl_or_b32 v52, v2, 16, v52
.LBB277_793:                            ;   in Loop: Header=BB277_417 Depth=1
	s_or_b32 exec_lo, exec_lo, s13
.LBB277_794:                            ;   in Loop: Header=BB277_417 Depth=1
	s_or_b32 exec_lo, exec_lo, s12
.LBB277_795:                            ;   in Loop: Header=BB277_417 Depth=1
	s_or_b32 exec_lo, exec_lo, s9
	v_lshrrev_b32_e32 v2, 16, v9
	v_cmp_ne_u16_sdwa s0, v2, v3 src0_sel:BYTE_0 src1_sel:DWORD
	s_and_saveexec_b32 s9, s0
	s_cbranch_execz .LBB277_803
; %bb.796:                              ;   in Loop: Header=BB277_417 Depth=1
	v_cmp_ne_u16_sdwa s0, v2, v22 src0_sel:BYTE_0 src1_sel:DWORD
	v_mov_b32_e32 v50, 0x8000
	s_and_saveexec_b32 s12, s0
	s_cbranch_execz .LBB277_802
; %bb.797:                              ;   in Loop: Header=BB277_417 Depth=1
	v_bfe_u32 v54, v9, 16, 7
	v_mov_b32_e32 v50, 0x7c01
	s_mov_b32 s13, exec_lo
	v_cmpx_ne_u32_e32 0x7f, v54
	s_cbranch_execz .LBB277_801
; %bb.798:                              ;   in Loop: Header=BB277_417 Depth=1
	v_and_b32_e32 v50, 7, v2
	v_lshrrev_b32_e32 v53, 3, v54
	s_mov_b32 s17, exec_lo
	v_cmpx_gt_u32_e32 8, v54
; %bb.799:                              ;   in Loop: Header=BB277_417 Depth=1
	v_ffbh_u32_e32 v50, v50
	v_min_u32_e32 v50, 32, v50
	v_subrev_nc_u32_e32 v53, 28, v50
	v_lshlrev_b64 v[54:55], v53, v[2:3]
	v_sub_nc_u32_e32 v53, 29, v50
	v_and_b32_e32 v50, 7, v54
; %bb.800:                              ;   in Loop: Header=BB277_417 Depth=1
	s_or_b32 exec_lo, exec_lo, s17
	v_lshlrev_b32_e32 v2, 8, v2
	v_lshl_add_u32 v53, v53, 10, 0x2000
	v_lshlrev_b32_e32 v50, 7, v50
	v_and_b32_e32 v2, 0x8000, v2
	v_and_b32_e32 v53, 0xfc00, v53
	v_or3_b32 v50, v2, v53, v50
.LBB277_801:                            ;   in Loop: Header=BB277_417 Depth=1
	s_or_b32 exec_lo, exec_lo, s13
.LBB277_802:                            ;   in Loop: Header=BB277_417 Depth=1
	s_or_b32 exec_lo, exec_lo, s12
.LBB277_803:                            ;   in Loop: Header=BB277_417 Depth=1
	s_or_b32 exec_lo, exec_lo, s9
	v_cmp_lt_u64_e64 s0, s[4:5], v[8:9]
	v_mov_b32_e32 v8, 0
	s_and_saveexec_b32 s9, s0
	s_cbranch_execz .LBB277_811
; %bb.804:                              ;   in Loop: Header=BB277_417 Depth=1
	v_lshrrev_b32_e32 v2, 24, v9
	v_bfrev_b32_e32 v8, 1
	s_mov_b32 s12, exec_lo
	v_cmpx_ne_u32_e32 0x80, v2
	s_cbranch_execz .LBB277_810
; %bb.805:                              ;   in Loop: Header=BB277_417 Depth=1
	v_and_b32_e32 v53, 0x7f, v2
	v_mov_b32_e32 v8, 0x7c010000
	s_mov_b32 s13, exec_lo
	v_cmpx_ne_u32_e32 0x7f, v53
	s_cbranch_execz .LBB277_809
; %bb.806:                              ;   in Loop: Header=BB277_417 Depth=1
	v_and_b32_e32 v8, 7, v2
	v_lshrrev_b32_e32 v9, 3, v53
	s_mov_b32 s17, exec_lo
	v_cmpx_gt_u32_e32 8, v53
; %bb.807:                              ;   in Loop: Header=BB277_417 Depth=1
	v_ffbh_u32_e32 v8, v8
	v_min_u32_e32 v53, 32, v8
	v_subrev_nc_u32_e32 v8, 28, v53
	v_lshlrev_b64 v[8:9], v8, v[2:3]
	v_sub_nc_u32_e32 v9, 29, v53
	v_and_b32_e32 v8, 7, v8
; %bb.808:                              ;   in Loop: Header=BB277_417 Depth=1
	s_or_b32 exec_lo, exec_lo, s17
	v_lshlrev_b32_e32 v2, 8, v2
	v_lshl_add_u32 v9, v9, 10, 0x2000
	v_lshlrev_b32_e32 v8, 23, v8
	v_and_or_b32 v2, 0x8000, v2, v9
	v_lshl_or_b32 v8, v2, 16, v8
.LBB277_809:                            ;   in Loop: Header=BB277_417 Depth=1
	s_or_b32 exec_lo, exec_lo, s13
.LBB277_810:                            ;   in Loop: Header=BB277_417 Depth=1
	s_or_b32 exec_lo, exec_lo, s12
.LBB277_811:                            ;   in Loop: Header=BB277_417 Depth=1
	s_or_b32 exec_lo, exec_lo, s9
	v_or_b32_e32 v2, v48, v49
	s_waitcnt vmcnt(0)
	v_fma_mixlo_f16 v9, v45, v48, 0 op_sel:[0,1,0] op_sel_hi:[0,1,0]
	v_or_b32_e32 v47, v46, v47
	v_fma_mixlo_f16 v48, v45, v46, 0 op_sel:[0,1,0] op_sel_hi:[0,1,0]
	v_or_b32_e32 v49, v52, v51
	v_fma_mixlo_f16 v2, v45, v2, 0 op_sel_hi:[0,1,0]
	v_or_b32_e32 v50, v8, v50
	v_lshlrev_b32_e32 v46, 16, v9
	v_lshlrev_b32_e32 v51, 16, v48
	v_fma_mixlo_f16 v9, v45, v47, 0 op_sel_hi:[0,1,0]
	v_and_b32_e32 v48, 0xffff, v2
	v_fma_mixlo_f16 v2, v45, v52, 0 op_sel:[0,1,0] op_sel_hi:[0,1,0]
	v_fma_mixlo_f16 v47, v45, v49, 0 op_sel_hi:[0,1,0]
	v_fma_mixlo_f16 v8, v45, v8, 0 op_sel:[0,1,0] op_sel_hi:[0,1,0]
	v_fma_mixlo_f16 v45, v45, v50, 0 op_sel_hi:[0,1,0]
	v_and_b32_e32 v53, 0xffff, v9
	v_lshlrev_b32_e32 v49, 16, v2
	v_and_b32_e32 v52, 0xffff, v47
	v_lshlrev_b32_e32 v47, 16, v8
	v_and_b32_e32 v50, 0xffff, v45
	v_or_b32_e32 v9, v46, v48
	v_or_b32_e32 v45, v51, v53
	;; [unrolled: 1-line block ×4, first 2 shown]
	s_and_saveexec_b32 s0, vcc_lo
	s_cbranch_execz .LBB277_416
; %bb.812:                              ;   in Loop: Header=BB277_417 Depth=1
	v_cmp_gt_i32_e32 vcc_lo, s27, v26
	v_cndmask_b32_e32 v2, 0, v53, vcc_lo
	v_cmp_gt_i32_e32 vcc_lo, s27, v32
	v_cndmask_b32_e32 v8, 0, v51, vcc_lo
	v_cmp_gt_i32_e32 vcc_lo, s27, v31
	v_or_b32_e32 v45, v8, v2
	v_cndmask_b32_e32 v9, 0, v48, vcc_lo
	v_cmp_gt_i32_e32 vcc_lo, s27, v30
	v_cndmask_b32_e32 v26, 0, v46, vcc_lo
	v_cmp_gt_i32_e32 vcc_lo, s27, v29
	v_or_b32_e32 v9, v26, v9
	;; [unrolled: 5-line block ×3, first 2 shown]
	v_cndmask_b32_e32 v27, 0, v50, vcc_lo
	v_cmp_gt_i32_e32 vcc_lo, s27, v20
	v_cndmask_b32_e32 v30, 0, v47, vcc_lo
	v_or_b32_e32 v2, v30, v27
	s_branch .LBB277_416
.LBB277_813:
	s_or_b32 exec_lo, exec_lo, s6
.LBB277_814:
	s_or_b32 exec_lo, exec_lo, s1
	v_lshl_add_u32 v2, v15, 2, 0x1a0
	v_and_b32_e32 v3, 0x3c0, v0
	s_mov_b32 s0, exec_lo
	s_waitcnt_vscnt null, 0x0
	s_barrier
	v_mad_u32_u24 v1, 0x300, v12, v2
	buffer_gl0_inv
	v_cmpx_eq_u32_e32 64, v3
	s_cbranch_execz .LBB277_816
; %bb.815:
	v_add_nc_u32_e32 v3, 0xfffffa00, v1
	v_add_nc_u32_e32 v4, 0xfffffa80, v1
	v_add_nc_u32_e32 v5, 0xfffffb00, v1
	v_add_nc_u32_e32 v6, 0xfffffb80, v1
	v_add_nc_u32_e32 v7, 0xfffffc00, v1
	ds_write_b32 v3, v19
	v_add_nc_u32_e32 v3, 0xfffffc80, v1
	ds_write_b32 v4, v18
	ds_write_b32 v5, v17
	;; [unrolled: 1-line block ×5, first 2 shown]
.LBB277_816:
	s_or_b32 exec_lo, exec_lo, s0
	s_mov_b32 s0, exec_lo
	s_waitcnt lgkmcnt(0)
	s_barrier
	buffer_gl0_inv
	v_cmpx_gt_u32_e32 64, v0
	s_cbranch_execz .LBB277_818
; %bb.817:
	ds_read2_b32 v[3:4], v1 offset1:32
	ds_read2_b32 v[5:6], v1 offset0:64 offset1:96
	ds_read2_b32 v[7:8], v1 offset0:128 offset1:160
	s_waitcnt lgkmcnt(2)
	v_add_f32_e32 v19, v19, v3
	v_add_f32_e32 v18, v18, v4
	s_waitcnt lgkmcnt(1)
	v_add_f32_e32 v17, v17, v5
	v_add_f32_e32 v16, v16, v6
	;; [unrolled: 3-line block ×3, first 2 shown]
.LBB277_818:
	s_or_b32 exec_lo, exec_lo, s0
	v_and_b32_e32 v3, 0x3e0, v0
	s_mov_b32 s0, exec_lo
	s_barrier
	buffer_gl0_inv
	v_cmpx_eq_u32_e32 32, v3
	s_cbranch_execz .LBB277_820
; %bb.819:
	ds_write2_b32 v2, v19, v18 offset1:32
	ds_write2_b32 v2, v17, v16 offset0:64 offset1:96
	ds_write2_b32 v2, v14, v13 offset0:128 offset1:160
.LBB277_820:
	s_or_b32 exec_lo, exec_lo, s0
	v_cmp_gt_u32_e32 vcc_lo, 32, v0
	s_waitcnt lgkmcnt(0)
	s_barrier
	buffer_gl0_inv
	s_and_saveexec_b32 s0, vcc_lo
	s_cbranch_execz .LBB277_822
; %bb.821:
	ds_read2_b32 v[2:3], v1 offset1:32
	ds_read2_b32 v[4:5], v1 offset0:64 offset1:96
	ds_read2_b32 v[6:7], v1 offset0:128 offset1:160
	s_waitcnt lgkmcnt(2)
	v_add_f32_e32 v19, v19, v2
	v_add_f32_e32 v18, v18, v3
	s_waitcnt lgkmcnt(1)
	v_add_f32_e32 v17, v17, v4
	v_add_f32_e32 v16, v16, v5
	;; [unrolled: 3-line block ×3, first 2 shown]
.LBB277_822:
	s_or_b32 exec_lo, exec_lo, s0
	s_barrier
	buffer_gl0_inv
	s_and_saveexec_b32 s0, vcc_lo
	s_cbranch_execz .LBB277_824
; %bb.823:
	s_mul_i32 s0, s2, 0xc0
	s_mul_i32 s2, s7, s10
	s_ashr_i32 s1, s0, 31
	v_lshlrev_b32_e32 v0, 1, v0
	s_lshl_b64 s[0:1], s[0:1], 1
	;;#ASMSTART
	v_cvt_f16_f32 v1, v19;

	;;#ASMEND
	s_add_u32 s4, s24, s0
	s_addc_u32 s5, s25, s1
	s_ashr_i32 s3, s2, 31
	s_lshl_b64 s[0:1], s[2:3], 1
	s_mul_i32 s2, s8, 0xc0
	s_add_u32 s4, s4, s0
	s_addc_u32 s5, s5, s1
	s_ashr_i32 s3, s2, 31
	s_lshl_b64 s[0:1], s[2:3], 1
	s_add_u32 s0, s4, s0
	s_addc_u32 s1, s5, s1
	global_store_short v0, v1, s[0:1]
	;;#ASMSTART
	v_cvt_f16_f32 v1, v18;

	;;#ASMEND
	global_store_short v0, v1, s[0:1] offset:64
	;;#ASMSTART
	v_cvt_f16_f32 v1, v17;

	;;#ASMEND
	global_store_short v0, v1, s[0:1] offset:128
	;; [unrolled: 5-line block ×5, first 2 shown]
.LBB277_824:
	s_endpgm
	.section	.rodata,"a",@progbits
	.p2align	6, 0x0
	.amdhsa_kernel _ZN4vllm25paged_attention_v2_kernelIthLi192ELi8ELi128ELNS_18Fp8KVCacheDataTypeE1ELb0ELi512EEEvPfS2_PT_PKS3_PKT0_S9_ifPKiSB_iPKfiiiSD_SD_iiiii
		.amdhsa_group_segment_fixed_size 416
		.amdhsa_private_segment_fixed_size 0
		.amdhsa_kernarg_size 400
		.amdhsa_user_sgpr_count 6
		.amdhsa_user_sgpr_private_segment_buffer 1
		.amdhsa_user_sgpr_dispatch_ptr 0
		.amdhsa_user_sgpr_queue_ptr 0
		.amdhsa_user_sgpr_kernarg_segment_ptr 1
		.amdhsa_user_sgpr_dispatch_id 0
		.amdhsa_user_sgpr_flat_scratch_init 0
		.amdhsa_user_sgpr_private_segment_size 0
		.amdhsa_wavefront_size32 1
		.amdhsa_uses_dynamic_stack 0
		.amdhsa_system_sgpr_private_segment_wavefront_offset 0
		.amdhsa_system_sgpr_workgroup_id_x 1
		.amdhsa_system_sgpr_workgroup_id_y 1
		.amdhsa_system_sgpr_workgroup_id_z 1
		.amdhsa_system_sgpr_workgroup_info 0
		.amdhsa_system_vgpr_workitem_id 0
		.amdhsa_next_free_vgpr 110
		.amdhsa_next_free_sgpr 43
		.amdhsa_reserve_vcc 1
		.amdhsa_reserve_flat_scratch 0
		.amdhsa_float_round_mode_32 0
		.amdhsa_float_round_mode_16_64 0
		.amdhsa_float_denorm_mode_32 3
		.amdhsa_float_denorm_mode_16_64 3
		.amdhsa_dx10_clamp 1
		.amdhsa_ieee_mode 1
		.amdhsa_fp16_overflow 0
		.amdhsa_workgroup_processor_mode 1
		.amdhsa_memory_ordered 1
		.amdhsa_forward_progress 1
		.amdhsa_shared_vgpr_count 0
		.amdhsa_exception_fp_ieee_invalid_op 0
		.amdhsa_exception_fp_denorm_src 0
		.amdhsa_exception_fp_ieee_div_zero 0
		.amdhsa_exception_fp_ieee_overflow 0
		.amdhsa_exception_fp_ieee_underflow 0
		.amdhsa_exception_fp_ieee_inexact 0
		.amdhsa_exception_int_div_zero 0
	.end_amdhsa_kernel
	.section	.text._ZN4vllm25paged_attention_v2_kernelIthLi192ELi8ELi128ELNS_18Fp8KVCacheDataTypeE1ELb0ELi512EEEvPfS2_PT_PKS3_PKT0_S9_ifPKiSB_iPKfiiiSD_SD_iiiii,"axG",@progbits,_ZN4vllm25paged_attention_v2_kernelIthLi192ELi8ELi128ELNS_18Fp8KVCacheDataTypeE1ELb0ELi512EEEvPfS2_PT_PKS3_PKT0_S9_ifPKiSB_iPKfiiiSD_SD_iiiii,comdat
.Lfunc_end277:
	.size	_ZN4vllm25paged_attention_v2_kernelIthLi192ELi8ELi128ELNS_18Fp8KVCacheDataTypeE1ELb0ELi512EEEvPfS2_PT_PKS3_PKT0_S9_ifPKiSB_iPKfiiiSD_SD_iiiii, .Lfunc_end277-_ZN4vllm25paged_attention_v2_kernelIthLi192ELi8ELi128ELNS_18Fp8KVCacheDataTypeE1ELb0ELi512EEEvPfS2_PT_PKS3_PKT0_S9_ifPKiSB_iPKfiiiSD_SD_iiiii
                                        ; -- End function
	.set _ZN4vllm25paged_attention_v2_kernelIthLi192ELi8ELi128ELNS_18Fp8KVCacheDataTypeE1ELb0ELi512EEEvPfS2_PT_PKS3_PKT0_S9_ifPKiSB_iPKfiiiSD_SD_iiiii.num_vgpr, 110
	.set _ZN4vllm25paged_attention_v2_kernelIthLi192ELi8ELi128ELNS_18Fp8KVCacheDataTypeE1ELb0ELi512EEEvPfS2_PT_PKS3_PKT0_S9_ifPKiSB_iPKfiiiSD_SD_iiiii.num_agpr, 0
	.set _ZN4vllm25paged_attention_v2_kernelIthLi192ELi8ELi128ELNS_18Fp8KVCacheDataTypeE1ELb0ELi512EEEvPfS2_PT_PKS3_PKT0_S9_ifPKiSB_iPKfiiiSD_SD_iiiii.numbered_sgpr, 43
	.set _ZN4vllm25paged_attention_v2_kernelIthLi192ELi8ELi128ELNS_18Fp8KVCacheDataTypeE1ELb0ELi512EEEvPfS2_PT_PKS3_PKT0_S9_ifPKiSB_iPKfiiiSD_SD_iiiii.num_named_barrier, 0
	.set _ZN4vllm25paged_attention_v2_kernelIthLi192ELi8ELi128ELNS_18Fp8KVCacheDataTypeE1ELb0ELi512EEEvPfS2_PT_PKS3_PKT0_S9_ifPKiSB_iPKfiiiSD_SD_iiiii.private_seg_size, 0
	.set _ZN4vllm25paged_attention_v2_kernelIthLi192ELi8ELi128ELNS_18Fp8KVCacheDataTypeE1ELb0ELi512EEEvPfS2_PT_PKS3_PKT0_S9_ifPKiSB_iPKfiiiSD_SD_iiiii.uses_vcc, 1
	.set _ZN4vllm25paged_attention_v2_kernelIthLi192ELi8ELi128ELNS_18Fp8KVCacheDataTypeE1ELb0ELi512EEEvPfS2_PT_PKS3_PKT0_S9_ifPKiSB_iPKfiiiSD_SD_iiiii.uses_flat_scratch, 0
	.set _ZN4vllm25paged_attention_v2_kernelIthLi192ELi8ELi128ELNS_18Fp8KVCacheDataTypeE1ELb0ELi512EEEvPfS2_PT_PKS3_PKT0_S9_ifPKiSB_iPKfiiiSD_SD_iiiii.has_dyn_sized_stack, 0
	.set _ZN4vllm25paged_attention_v2_kernelIthLi192ELi8ELi128ELNS_18Fp8KVCacheDataTypeE1ELb0ELi512EEEvPfS2_PT_PKS3_PKT0_S9_ifPKiSB_iPKfiiiSD_SD_iiiii.has_recursion, 0
	.set _ZN4vllm25paged_attention_v2_kernelIthLi192ELi8ELi128ELNS_18Fp8KVCacheDataTypeE1ELb0ELi512EEEvPfS2_PT_PKS3_PKT0_S9_ifPKiSB_iPKfiiiSD_SD_iiiii.has_indirect_call, 0
	.section	.AMDGPU.csdata,"",@progbits
; Kernel info:
; codeLenInByte = 27916
; TotalNumSgprs: 45
; NumVgprs: 110
; ScratchSize: 0
; MemoryBound: 0
; FloatMode: 240
; IeeeMode: 1
; LDSByteSize: 416 bytes/workgroup (compile time only)
; SGPRBlocks: 0
; VGPRBlocks: 13
; NumSGPRsForWavesPerEU: 45
; NumVGPRsForWavesPerEU: 110
; Occupancy: 9
; WaveLimiterHint : 1
; COMPUTE_PGM_RSRC2:SCRATCH_EN: 0
; COMPUTE_PGM_RSRC2:USER_SGPR: 6
; COMPUTE_PGM_RSRC2:TRAP_HANDLER: 0
; COMPUTE_PGM_RSRC2:TGID_X_EN: 1
; COMPUTE_PGM_RSRC2:TGID_Y_EN: 1
; COMPUTE_PGM_RSRC2:TGID_Z_EN: 1
; COMPUTE_PGM_RSRC2:TIDIG_COMP_CNT: 0
	.section	.text._ZN4vllm25paged_attention_v2_kernelIthLi256ELi8ELi128ELNS_18Fp8KVCacheDataTypeE1ELb0ELi512EEEvPfS2_PT_PKS3_PKT0_S9_ifPKiSB_iPKfiiiSD_SD_iiiii,"axG",@progbits,_ZN4vllm25paged_attention_v2_kernelIthLi256ELi8ELi128ELNS_18Fp8KVCacheDataTypeE1ELb0ELi512EEEvPfS2_PT_PKS3_PKT0_S9_ifPKiSB_iPKfiiiSD_SD_iiiii,comdat
	.protected	_ZN4vllm25paged_attention_v2_kernelIthLi256ELi8ELi128ELNS_18Fp8KVCacheDataTypeE1ELb0ELi512EEEvPfS2_PT_PKS3_PKT0_S9_ifPKiSB_iPKfiiiSD_SD_iiiii ; -- Begin function _ZN4vllm25paged_attention_v2_kernelIthLi256ELi8ELi128ELNS_18Fp8KVCacheDataTypeE1ELb0ELi512EEEvPfS2_PT_PKS3_PKT0_S9_ifPKiSB_iPKfiiiSD_SD_iiiii
	.globl	_ZN4vllm25paged_attention_v2_kernelIthLi256ELi8ELi128ELNS_18Fp8KVCacheDataTypeE1ELb0ELi512EEEvPfS2_PT_PKS3_PKT0_S9_ifPKiSB_iPKfiiiSD_SD_iiiii
	.p2align	8
	.type	_ZN4vllm25paged_attention_v2_kernelIthLi256ELi8ELi128ELNS_18Fp8KVCacheDataTypeE1ELb0ELi512EEEvPfS2_PT_PKS3_PKT0_S9_ifPKiSB_iPKfiiiSD_SD_iiiii,@function
_ZN4vllm25paged_attention_v2_kernelIthLi256ELi8ELi128ELNS_18Fp8KVCacheDataTypeE1ELb0ELi512EEEvPfS2_PT_PKS3_PKT0_S9_ifPKiSB_iPKfiiiSD_SD_iiiii: ; @_ZN4vllm25paged_attention_v2_kernelIthLi256ELi8ELi128ELNS_18Fp8KVCacheDataTypeE1ELb0ELi512EEEvPfS2_PT_PKS3_PKT0_S9_ifPKiSB_iPKfiiiSD_SD_iiiii
; %bb.0:
	s_mov_b64 s[46:47], s[2:3]
	s_mov_b64 s[44:45], s[0:1]
	s_load_dwordx2 s[0:1], s[4:5], 0x40
	s_add_u32 s44, s44, s9
	s_addc_u32 s45, s45, 0
	s_mov_b32 s26, s7
	s_ashr_i32 s27, s7, 31
	s_lshl_b64 s[2:3], s[26:27], 2
	s_waitcnt lgkmcnt(0)
	s_add_u32 s0, s0, s2
	s_addc_u32 s1, s1, s3
	s_lshl_b32 s33, s8, 9
	s_load_dword s27, s[0:1], 0x0
	s_waitcnt lgkmcnt(0)
	s_cmp_ge_i32 s33, s27
	s_cbranch_scc1 .LBB278_1084
; %bb.1:
	s_clause 0x1
	s_load_dword s9, s[4:5], 0x90
	s_load_dwordx2 s[36:37], s[4:5], 0x30
	s_waitcnt lgkmcnt(0)
	s_abs_i32 s3, s9
	s_abs_i32 s0, s36
	v_cvt_f32_u32_e32 v1, s0
	s_sub_i32 s2, 0, s0
	v_rcp_iflag_f32_e32 v1, v1
	v_mul_f32_e32 v1, 0x4f7ffffe, v1
	v_cvt_u32_f32_e32 v1, v1
	v_readfirstlane_b32 s1, v1
	s_mul_i32 s2, s2, s1
	s_mul_hi_u32 s2, s1, s2
	s_add_i32 s1, s1, s2
	s_xor_b32 s2, s9, s36
	s_mul_hi_u32 s1, s3, s1
	s_ashr_i32 s2, s2, 31
	s_mul_i32 s7, s1, s0
	s_mov_b32 s36, 0
	s_sub_i32 s3, s3, s7
	s_add_i32 s7, s1, 1
	s_sub_i32 s10, s3, s0
	s_cmp_ge_u32 s3, s0
	s_cselect_b32 s1, s7, s1
	s_cselect_b32 s3, s10, s3
	s_add_i32 s7, s1, 1
	s_cmp_ge_u32 s3, s0
	s_cselect_b32 s0, s7, s1
	s_abs_i32 s12, s6
	s_xor_b32 s0, s0, s2
	s_sub_i32 s10, s0, s2
	s_load_dwordx2 s[0:1], s[4:5], 0x50
	s_abs_i32 s2, s10
	v_cvt_f32_u32_e32 v1, s2
	s_sub_i32 s7, 0, s2
	v_rcp_iflag_f32_e32 v1, v1
	v_mul_f32_e32 v1, 0x4f7ffffe, v1
	v_cvt_u32_f32_e32 v1, v1
	v_readfirstlane_b32 s3, v1
	s_mul_i32 s7, s7, s3
	s_mul_hi_u32 s7, s3, s7
	s_add_i32 s3, s3, s7
	s_waitcnt lgkmcnt(0)
	s_cmp_eq_u64 s[0:1], 0
	s_mul_hi_u32 s3, s12, s3
	s_cbranch_scc1 .LBB278_3
; %bb.2:
	s_ashr_i32 s7, s6, 31
	s_lshl_b64 s[14:15], s[6:7], 2
	s_add_u32 s0, s0, s14
	s_addc_u32 s1, s1, s15
	s_load_dword s36, s[0:1], 0x0
.LBB278_3:
	s_load_dwordx4 s[16:19], s[4:5], 0x58
	v_and_b32_e32 v3, 3, v0
	s_ashr_i32 s0, s6, 31
	s_ashr_i32 s1, s10, 31
	s_lshl_b32 s10, s6, 8
	s_mov_b32 s7, exec_lo
	v_cmpx_gt_u32_e32 0x80, v0
	s_cbranch_execz .LBB278_5
; %bb.4:
	s_load_dwordx2 s[14:15], s[4:5], 0x18
	s_waitcnt lgkmcnt(0)
	s_mul_i32 s20, s16, s26
	v_lshlrev_b32_e32 v1, 2, v0
	s_ashr_i32 s21, s20, 31
	v_and_b32_e32 v2, 0x3fc, v0
	s_lshl_b64 s[20:21], s[20:21], 1
	v_lshl_add_u32 v2, v3, 7, v2
	s_add_u32 s13, s14, s20
	s_addc_u32 s16, s15, s21
	s_ashr_i32 s11, s10, 31
	s_lshl_b64 s[14:15], s[10:11], 1
	s_add_u32 s14, s13, s14
	s_addc_u32 s15, s16, s15
	global_load_dword v1, v1, s[14:15]
	s_waitcnt vmcnt(0)
	ds_write_b32 v2, v1
.LBB278_5:
	s_or_b32 exec_lo, exec_lo, s7
	s_add_i32 s7, s27, 7
	s_clause 0x1
	s_load_dwordx2 s[28:29], s[4:5], 0x38
	s_load_dword s13, s[4:5], 0x48
	s_ashr_i32 s11, s7, 31
	s_waitcnt lgkmcnt(0)
	s_lshl_b32 s19, s8, 6
	s_lshr_b32 s11, s11, 29
	s_xor_b32 s0, s0, s1
	s_add_i32 s7, s7, s11
	s_add_i32 s1, s19, 64
	s_ashr_i32 s16, s7, 3
	s_mul_i32 s7, s3, s2
	s_min_i32 s11, s1, s16
	s_sub_i32 s1, s12, s7
	s_add_i32 s7, s3, 1
	s_sub_i32 s12, s1, s2
	s_cmp_ge_u32 s1, s2
	v_lshrrev_b32_e32 v11, 5, v0
	s_cselect_b32 s3, s7, s3
	s_cselect_b32 s1, s12, s1
	s_add_i32 s7, s3, 1
	s_cmp_ge_u32 s1, s2
	v_or_b32_e32 v1, s19, v11
	s_cselect_b32 s1, s7, s3
	v_mbcnt_lo_u32_b32 v13, -1, 0
	s_xor_b32 s1, s1, s0
	s_mul_i32 s30, s13, s26
	s_sub_i32 s1, s1, s0
	v_cmp_gt_i32_e64 s0, s11, v1
	s_ashr_i32 s31, s30, 31
	s_mov_b32 s2, exec_lo
	s_barrier
	buffer_gl0_inv
                                        ; implicit-def: $vgpr4
                                        ; implicit-def: $vgpr14
	v_cmpx_le_i32_e64 s11, v1
	s_xor_b32 s2, exec_lo, s2
; %bb.6:
	v_mov_b32_e32 v4, 0
	v_mbcnt_lo_u32_b32 v13, -1, 0
	v_mov_b32_e32 v14, 32
                                        ; implicit-def: $vgpr3
; %bb.7:
	s_or_saveexec_b32 s38, s2
	s_clause 0x4
	s_load_dwordx4 s[20:23], s[4:5], 0x0
	s_load_dwordx2 s[24:25], s[4:5], 0x10
	s_load_dword s7, s[4:5], 0x98
	s_load_dwordx2 s[34:35], s[4:5], 0x28
	s_load_dwordx4 s[12:15], s[4:5], 0x68
	v_mov_b32_e32 v15, 0xff7fffff
	v_ashrrev_i32_e32 v2, 31, v1
	v_lshlrev_b32_e32 v12, 3, v11
	s_mul_i32 s18, s1, s18
	s_xor_b32 exec_lo, exec_lo, s38
	s_cbranch_execz .LBB278_525
; %bb.8:
	s_load_dwordx2 s[2:3], s[4:5], 0x20
	v_bfe_u32 v5, v0, 2, 3
	v_lshlrev_b32_e32 v9, 1, v3
	v_lshlrev_b32_e32 v16, 7, v3
	v_cmp_eq_u32_e32 vcc_lo, 0, v3
	s_ashr_i32 s4, s18, 31
	v_lshlrev_b32_e32 v6, 2, v5
	v_lshlrev_b64 v[7:8], 2, v[1:2]
	v_add3_u32 v17, s33, v12, v5
	v_mov_b32_e32 v4, 0
	v_cmp_neq_f32_e64 s1, s36, 0
	v_lshl_or_b32 v3, v11, 5, v6
	v_lshlrev_b32_e32 v6, 4, v5
	v_mov_b32_e32 v15, 0xff7fffff
	v_mov_b32_e32 v14, 32
	;; [unrolled: 1-line block ×3, first 2 shown]
	v_add_nc_u32_e32 v18, 0x220, v3
	v_mov_b32_e32 v20, 0x7f
	v_mov_b32_e32 v21, 7
	;; [unrolled: 1-line block ×3, first 2 shown]
	s_waitcnt lgkmcnt(0)
	s_add_u32 s5, s2, s18
	s_addc_u32 s39, s3, s4
	v_add_co_u32 v3, s5, s5, v6
	v_add_co_ci_u32_e64 v6, null, s39, 0, s5
	s_lshl_b64 s[2:3], s[30:31], 2
	s_sub_i32 s4, 1, s27
	s_add_u32 s5, s28, s2
	v_add_co_u32 v5, s2, v3, v9
	s_addc_u32 s3, s29, s3
	v_add_co_ci_u32_e64 v6, null, 0, v6, s2
	v_add_co_u32 v7, s2, s5, v7
	v_add_co_ci_u32_e64 v8, null, s3, v8, s2
	v_mov_b32_e32 v23, v1
	s_mov_b32 s39, s17
	s_mov_b32 s5, 0
	buffer_store_dword v12, off, s[44:47], 0 ; 4-byte Folded Spill
	s_branch .LBB278_10
.LBB278_9:                              ;   in Loop: Header=BB278_10 Depth=1
	s_or_b32 exec_lo, exec_lo, s3
	v_add_nc_u32_e32 v23, 4, v23
	v_add_co_u32 v7, s3, v7, 16
	v_add_nc_u32_e32 v17, 32, v17
	v_add_nc_u32_e32 v18, 0x80, v18
	v_cmp_le_i32_e64 s2, s11, v23
	v_add_co_ci_u32_e64 v8, null, 0, v8, s3
	s_or_b32 s5, s2, s5
	s_andn2_b32 exec_lo, exec_lo, s5
	s_cbranch_execz .LBB278_524
.LBB278_10:                             ; =>This Inner Loop Header: Depth=1
	global_load_dword v3, v[7:8], off
	s_waitcnt vmcnt(0) lgkmcnt(0)
	v_mad_i64_i32 v[9:10], null, v3, s39, v[5:6]
	global_load_ushort v25, v[9:10], off
	global_load_dword v24, v4, s[12:13]
	s_waitcnt vmcnt(1)
	v_and_b32_e32 v3, 0xffff, v25
	v_cmp_ne_u16_sdwa s2, v25, v4 src0_sel:BYTE_0 src1_sel:DWORD
	v_mov_b32_e32 v25, 0
	s_and_saveexec_b32 s3, s2
	s_cbranch_execz .LBB278_18
; %bb.11:                               ;   in Loop: Header=BB278_10 Depth=1
	v_cmp_ne_u16_sdwa s2, v3, v19 src0_sel:BYTE_0 src1_sel:DWORD
	v_mov_b32_e32 v25, 0x8000
	s_and_saveexec_b32 s40, s2
	s_cbranch_execz .LBB278_17
; %bb.12:                               ;   in Loop: Header=BB278_10 Depth=1
	v_and_b32_e32 v27, 0x7f, v3
	v_mov_b32_e32 v25, 0x7c01
	s_mov_b32 s41, exec_lo
	v_cmpx_ne_u32_e32 0x7f, v27
	s_cbranch_execz .LBB278_16
; %bb.13:                               ;   in Loop: Header=BB278_10 Depth=1
	v_and_b32_e32 v25, 7, v3
	v_lshrrev_b32_e32 v26, 3, v27
	s_mov_b32 s42, exec_lo
	v_cmpx_gt_u32_e32 8, v27
; %bb.14:                               ;   in Loop: Header=BB278_10 Depth=1
	v_ffbh_u32_e32 v25, v25
	v_min_u32_e32 v27, 32, v25
	v_subrev_nc_u32_e32 v25, 28, v27
	v_lshlrev_b64 v[25:26], v25, v[3:4]
	v_sub_nc_u32_e32 v26, 29, v27
	v_and_b32_e32 v25, 7, v25
; %bb.15:                               ;   in Loop: Header=BB278_10 Depth=1
	s_or_b32 exec_lo, exec_lo, s42
	v_lshlrev_b32_e32 v27, 8, v3
	v_lshl_add_u32 v26, v26, 10, 0x2000
	v_lshlrev_b32_e32 v25, 7, v25
	v_and_b32_e32 v27, 0x8000, v27
	v_and_b32_e32 v26, 0xfc00, v26
	v_or3_b32 v25, v27, v26, v25
.LBB278_16:                             ;   in Loop: Header=BB278_10 Depth=1
	s_or_b32 exec_lo, exec_lo, s41
.LBB278_17:                             ;   in Loop: Header=BB278_10 Depth=1
	s_or_b32 exec_lo, exec_lo, s40
.LBB278_18:                             ;   in Loop: Header=BB278_10 Depth=1
	s_or_b32 exec_lo, exec_lo, s3
	v_lshrrev_b16 v3, 8, v3
	v_mov_b32_e32 v26, 0
	s_mov_b32 s3, exec_lo
	v_cmpx_ne_u16_e32 0, v3
	s_cbranch_execz .LBB278_26
; %bb.19:                               ;   in Loop: Header=BB278_10 Depth=1
	v_bfrev_b32_e32 v26, 1
	s_mov_b32 s40, exec_lo
	v_cmpx_ne_u16_e32 0x80, v3
	s_cbranch_execz .LBB278_25
; %bb.20:                               ;   in Loop: Header=BB278_10 Depth=1
	v_and_b32_sdwa v28, v3, v20 dst_sel:DWORD dst_unused:UNUSED_PAD src0_sel:WORD_0 src1_sel:DWORD
	v_mov_b32_e32 v26, 0x7c010000
	s_mov_b32 s41, exec_lo
	v_cmpx_ne_u32_e32 0x7f, v28
	s_cbranch_execz .LBB278_24
; %bb.21:                               ;   in Loop: Header=BB278_10 Depth=1
	v_and_b32_sdwa v26, v3, v21 dst_sel:DWORD dst_unused:UNUSED_PAD src0_sel:WORD_0 src1_sel:DWORD
	v_lshrrev_b32_e32 v27, 3, v28
	s_mov_b32 s42, exec_lo
	v_cmpx_gt_u32_e32 8, v28
; %bb.22:                               ;   in Loop: Header=BB278_10 Depth=1
	v_ffbh_u32_e32 v26, v26
	v_min_u32_e32 v28, 32, v26
	v_subrev_nc_u32_e32 v26, 28, v28
	v_lshlrev_b64 v[26:27], v26, v[3:4]
	v_sub_nc_u32_e32 v27, 29, v28
	v_and_b32_e32 v26, 7, v26
; %bb.23:                               ;   in Loop: Header=BB278_10 Depth=1
	s_or_b32 exec_lo, exec_lo, s42
	v_lshlrev_b32_sdwa v3, v22, v3 dst_sel:DWORD dst_unused:UNUSED_PAD src0_sel:DWORD src1_sel:WORD_0
	v_lshl_add_u32 v27, v27, 10, 0x2000
	v_lshlrev_b32_e32 v26, 23, v26
	v_and_or_b32 v3, 0x8000, v3, v27
	v_lshl_or_b32 v26, v3, 16, v26
.LBB278_24:                             ;   in Loop: Header=BB278_10 Depth=1
	s_or_b32 exec_lo, exec_lo, s41
.LBB278_25:                             ;   in Loop: Header=BB278_10 Depth=1
	s_or_b32 exec_lo, exec_lo, s40
.LBB278_26:                             ;   in Loop: Header=BB278_10 Depth=1
	s_or_b32 exec_lo, exec_lo, s3
	global_load_ushort v28, v[9:10], off offset:8
	v_mov_b32_e32 v27, 0
	s_waitcnt vmcnt(0)
	v_and_b32_e32 v3, 0xffff, v28
	v_cmp_ne_u16_sdwa s2, v28, v4 src0_sel:BYTE_0 src1_sel:DWORD
	v_mov_b32_e32 v28, 0
	s_and_saveexec_b32 s3, s2
	s_cbranch_execz .LBB278_34
; %bb.27:                               ;   in Loop: Header=BB278_10 Depth=1
	v_cmp_ne_u16_sdwa s2, v3, v19 src0_sel:BYTE_0 src1_sel:DWORD
	v_mov_b32_e32 v28, 0x8000
	s_and_saveexec_b32 s40, s2
	s_cbranch_execz .LBB278_33
; %bb.28:                               ;   in Loop: Header=BB278_10 Depth=1
	v_and_b32_e32 v30, 0x7f, v3
	v_mov_b32_e32 v28, 0x7c01
	s_mov_b32 s41, exec_lo
	v_cmpx_ne_u32_e32 0x7f, v30
	s_cbranch_execz .LBB278_32
; %bb.29:                               ;   in Loop: Header=BB278_10 Depth=1
	v_and_b32_e32 v28, 7, v3
	v_lshrrev_b32_e32 v29, 3, v30
	s_mov_b32 s42, exec_lo
	v_cmpx_gt_u32_e32 8, v30
; %bb.30:                               ;   in Loop: Header=BB278_10 Depth=1
	v_ffbh_u32_e32 v28, v28
	v_min_u32_e32 v30, 32, v28
	v_subrev_nc_u32_e32 v28, 28, v30
	v_lshlrev_b64 v[28:29], v28, v[3:4]
	v_sub_nc_u32_e32 v29, 29, v30
	v_and_b32_e32 v28, 7, v28
; %bb.31:                               ;   in Loop: Header=BB278_10 Depth=1
	s_or_b32 exec_lo, exec_lo, s42
	v_lshlrev_b32_e32 v30, 8, v3
	v_lshl_add_u32 v29, v29, 10, 0x2000
	v_lshlrev_b32_e32 v28, 7, v28
	v_and_b32_e32 v30, 0x8000, v30
	v_and_b32_e32 v29, 0xfc00, v29
	v_or3_b32 v28, v30, v29, v28
.LBB278_32:                             ;   in Loop: Header=BB278_10 Depth=1
	s_or_b32 exec_lo, exec_lo, s41
.LBB278_33:                             ;   in Loop: Header=BB278_10 Depth=1
	s_or_b32 exec_lo, exec_lo, s40
.LBB278_34:                             ;   in Loop: Header=BB278_10 Depth=1
	s_or_b32 exec_lo, exec_lo, s3
	v_lshrrev_b16 v3, 8, v3
	s_mov_b32 s3, exec_lo
	v_cmpx_ne_u16_e32 0, v3
	s_cbranch_execz .LBB278_42
; %bb.35:                               ;   in Loop: Header=BB278_10 Depth=1
	v_bfrev_b32_e32 v27, 1
	s_mov_b32 s40, exec_lo
	v_cmpx_ne_u16_e32 0x80, v3
	s_cbranch_execz .LBB278_41
; %bb.36:                               ;   in Loop: Header=BB278_10 Depth=1
	v_and_b32_sdwa v30, v3, v20 dst_sel:DWORD dst_unused:UNUSED_PAD src0_sel:WORD_0 src1_sel:DWORD
	v_mov_b32_e32 v27, 0x7c010000
	s_mov_b32 s41, exec_lo
	v_cmpx_ne_u32_e32 0x7f, v30
	s_cbranch_execz .LBB278_40
; %bb.37:                               ;   in Loop: Header=BB278_10 Depth=1
	v_and_b32_sdwa v27, v3, v21 dst_sel:DWORD dst_unused:UNUSED_PAD src0_sel:WORD_0 src1_sel:DWORD
	v_lshrrev_b32_e32 v29, 3, v30
	s_mov_b32 s42, exec_lo
	v_cmpx_gt_u32_e32 8, v30
; %bb.38:                               ;   in Loop: Header=BB278_10 Depth=1
	v_ffbh_u32_e32 v27, v27
	v_min_u32_e32 v27, 32, v27
	v_subrev_nc_u32_e32 v29, 28, v27
	v_lshlrev_b64 v[30:31], v29, v[3:4]
	v_sub_nc_u32_e32 v29, 29, v27
	v_and_b32_e32 v27, 7, v30
; %bb.39:                               ;   in Loop: Header=BB278_10 Depth=1
	s_or_b32 exec_lo, exec_lo, s42
	v_lshlrev_b32_sdwa v3, v22, v3 dst_sel:DWORD dst_unused:UNUSED_PAD src0_sel:DWORD src1_sel:WORD_0
	v_lshl_add_u32 v29, v29, 10, 0x2000
	v_lshlrev_b32_e32 v27, 23, v27
	v_and_or_b32 v3, 0x8000, v3, v29
	v_lshl_or_b32 v27, v3, 16, v27
.LBB278_40:                             ;   in Loop: Header=BB278_10 Depth=1
	s_or_b32 exec_lo, exec_lo, s41
.LBB278_41:                             ;   in Loop: Header=BB278_10 Depth=1
	s_or_b32 exec_lo, exec_lo, s40
.LBB278_42:                             ;   in Loop: Header=BB278_10 Depth=1
	s_or_b32 exec_lo, exec_lo, s3
	global_load_ushort v30, v[9:10], off offset:128
	v_mov_b32_e32 v29, 0
	s_waitcnt vmcnt(0)
	v_and_b32_e32 v3, 0xffff, v30
	v_cmp_ne_u16_sdwa s2, v30, v4 src0_sel:BYTE_0 src1_sel:DWORD
	v_mov_b32_e32 v30, 0
	s_and_saveexec_b32 s3, s2
	s_cbranch_execz .LBB278_50
; %bb.43:                               ;   in Loop: Header=BB278_10 Depth=1
	v_cmp_ne_u16_sdwa s2, v3, v19 src0_sel:BYTE_0 src1_sel:DWORD
	v_mov_b32_e32 v30, 0x8000
	s_and_saveexec_b32 s40, s2
	s_cbranch_execz .LBB278_49
; %bb.44:                               ;   in Loop: Header=BB278_10 Depth=1
	v_and_b32_e32 v32, 0x7f, v3
	v_mov_b32_e32 v30, 0x7c01
	s_mov_b32 s41, exec_lo
	v_cmpx_ne_u32_e32 0x7f, v32
	s_cbranch_execz .LBB278_48
; %bb.45:                               ;   in Loop: Header=BB278_10 Depth=1
	v_and_b32_e32 v30, 7, v3
	v_lshrrev_b32_e32 v31, 3, v32
	s_mov_b32 s42, exec_lo
	v_cmpx_gt_u32_e32 8, v32
; %bb.46:                               ;   in Loop: Header=BB278_10 Depth=1
	v_ffbh_u32_e32 v30, v30
	v_min_u32_e32 v32, 32, v30
	v_subrev_nc_u32_e32 v30, 28, v32
	v_lshlrev_b64 v[30:31], v30, v[3:4]
	v_sub_nc_u32_e32 v31, 29, v32
	v_and_b32_e32 v30, 7, v30
; %bb.47:                               ;   in Loop: Header=BB278_10 Depth=1
	s_or_b32 exec_lo, exec_lo, s42
	v_lshlrev_b32_e32 v32, 8, v3
	v_lshl_add_u32 v31, v31, 10, 0x2000
	v_lshlrev_b32_e32 v30, 7, v30
	v_and_b32_e32 v32, 0x8000, v32
	v_and_b32_e32 v31, 0xfc00, v31
	v_or3_b32 v30, v32, v31, v30
.LBB278_48:                             ;   in Loop: Header=BB278_10 Depth=1
	s_or_b32 exec_lo, exec_lo, s41
.LBB278_49:                             ;   in Loop: Header=BB278_10 Depth=1
	s_or_b32 exec_lo, exec_lo, s40
.LBB278_50:                             ;   in Loop: Header=BB278_10 Depth=1
	s_or_b32 exec_lo, exec_lo, s3
	v_lshrrev_b16 v3, 8, v3
	s_mov_b32 s3, exec_lo
	v_cmpx_ne_u16_e32 0, v3
	s_cbranch_execz .LBB278_58
; %bb.51:                               ;   in Loop: Header=BB278_10 Depth=1
	v_bfrev_b32_e32 v29, 1
	s_mov_b32 s40, exec_lo
	v_cmpx_ne_u16_e32 0x80, v3
	s_cbranch_execz .LBB278_57
; %bb.52:                               ;   in Loop: Header=BB278_10 Depth=1
	v_and_b32_sdwa v32, v3, v20 dst_sel:DWORD dst_unused:UNUSED_PAD src0_sel:WORD_0 src1_sel:DWORD
	v_mov_b32_e32 v29, 0x7c010000
	s_mov_b32 s41, exec_lo
	v_cmpx_ne_u32_e32 0x7f, v32
	s_cbranch_execz .LBB278_56
; %bb.53:                               ;   in Loop: Header=BB278_10 Depth=1
	v_and_b32_sdwa v29, v3, v21 dst_sel:DWORD dst_unused:UNUSED_PAD src0_sel:WORD_0 src1_sel:DWORD
	v_lshrrev_b32_e32 v31, 3, v32
	s_mov_b32 s42, exec_lo
	v_cmpx_gt_u32_e32 8, v32
; %bb.54:                               ;   in Loop: Header=BB278_10 Depth=1
	v_ffbh_u32_e32 v29, v29
	v_min_u32_e32 v29, 32, v29
	v_subrev_nc_u32_e32 v31, 28, v29
	v_lshlrev_b64 v[32:33], v31, v[3:4]
	v_sub_nc_u32_e32 v31, 29, v29
	v_and_b32_e32 v29, 7, v32
; %bb.55:                               ;   in Loop: Header=BB278_10 Depth=1
	s_or_b32 exec_lo, exec_lo, s42
	v_lshlrev_b32_sdwa v3, v22, v3 dst_sel:DWORD dst_unused:UNUSED_PAD src0_sel:DWORD src1_sel:WORD_0
	v_lshl_add_u32 v31, v31, 10, 0x2000
	v_lshlrev_b32_e32 v29, 23, v29
	v_and_or_b32 v3, 0x8000, v3, v31
	v_lshl_or_b32 v29, v3, 16, v29
.LBB278_56:                             ;   in Loop: Header=BB278_10 Depth=1
	s_or_b32 exec_lo, exec_lo, s41
.LBB278_57:                             ;   in Loop: Header=BB278_10 Depth=1
	s_or_b32 exec_lo, exec_lo, s40
.LBB278_58:                             ;   in Loop: Header=BB278_10 Depth=1
	s_or_b32 exec_lo, exec_lo, s3
	global_load_ushort v32, v[9:10], off offset:136
	v_mov_b32_e32 v31, 0
	s_waitcnt vmcnt(0)
	v_and_b32_e32 v3, 0xffff, v32
	v_cmp_ne_u16_sdwa s2, v32, v4 src0_sel:BYTE_0 src1_sel:DWORD
	v_mov_b32_e32 v32, 0
	s_and_saveexec_b32 s3, s2
	s_cbranch_execz .LBB278_66
; %bb.59:                               ;   in Loop: Header=BB278_10 Depth=1
	v_cmp_ne_u16_sdwa s2, v3, v19 src0_sel:BYTE_0 src1_sel:DWORD
	v_mov_b32_e32 v32, 0x8000
	s_and_saveexec_b32 s40, s2
	s_cbranch_execz .LBB278_65
; %bb.60:                               ;   in Loop: Header=BB278_10 Depth=1
	v_and_b32_e32 v34, 0x7f, v3
	v_mov_b32_e32 v32, 0x7c01
	s_mov_b32 s41, exec_lo
	v_cmpx_ne_u32_e32 0x7f, v34
	s_cbranch_execz .LBB278_64
; %bb.61:                               ;   in Loop: Header=BB278_10 Depth=1
	v_and_b32_e32 v32, 7, v3
	v_lshrrev_b32_e32 v33, 3, v34
	s_mov_b32 s42, exec_lo
	v_cmpx_gt_u32_e32 8, v34
; %bb.62:                               ;   in Loop: Header=BB278_10 Depth=1
	v_ffbh_u32_e32 v32, v32
	v_min_u32_e32 v34, 32, v32
	v_subrev_nc_u32_e32 v32, 28, v34
	v_lshlrev_b64 v[32:33], v32, v[3:4]
	v_sub_nc_u32_e32 v33, 29, v34
	v_and_b32_e32 v32, 7, v32
; %bb.63:                               ;   in Loop: Header=BB278_10 Depth=1
	s_or_b32 exec_lo, exec_lo, s42
	v_lshlrev_b32_e32 v34, 8, v3
	v_lshl_add_u32 v33, v33, 10, 0x2000
	v_lshlrev_b32_e32 v32, 7, v32
	v_and_b32_e32 v34, 0x8000, v34
	v_and_b32_e32 v33, 0xfc00, v33
	v_or3_b32 v32, v34, v33, v32
.LBB278_64:                             ;   in Loop: Header=BB278_10 Depth=1
	s_or_b32 exec_lo, exec_lo, s41
.LBB278_65:                             ;   in Loop: Header=BB278_10 Depth=1
	s_or_b32 exec_lo, exec_lo, s40
.LBB278_66:                             ;   in Loop: Header=BB278_10 Depth=1
	s_or_b32 exec_lo, exec_lo, s3
	v_lshrrev_b16 v3, 8, v3
	s_mov_b32 s3, exec_lo
	v_cmpx_ne_u16_e32 0, v3
	s_cbranch_execz .LBB278_74
; %bb.67:                               ;   in Loop: Header=BB278_10 Depth=1
	v_bfrev_b32_e32 v31, 1
	s_mov_b32 s40, exec_lo
	v_cmpx_ne_u16_e32 0x80, v3
	s_cbranch_execz .LBB278_73
; %bb.68:                               ;   in Loop: Header=BB278_10 Depth=1
	v_and_b32_sdwa v34, v3, v20 dst_sel:DWORD dst_unused:UNUSED_PAD src0_sel:WORD_0 src1_sel:DWORD
	v_mov_b32_e32 v31, 0x7c010000
	s_mov_b32 s41, exec_lo
	v_cmpx_ne_u32_e32 0x7f, v34
	s_cbranch_execz .LBB278_72
; %bb.69:                               ;   in Loop: Header=BB278_10 Depth=1
	v_and_b32_sdwa v31, v3, v21 dst_sel:DWORD dst_unused:UNUSED_PAD src0_sel:WORD_0 src1_sel:DWORD
	v_lshrrev_b32_e32 v33, 3, v34
	s_mov_b32 s42, exec_lo
	v_cmpx_gt_u32_e32 8, v34
; %bb.70:                               ;   in Loop: Header=BB278_10 Depth=1
	v_ffbh_u32_e32 v31, v31
	v_min_u32_e32 v31, 32, v31
	v_subrev_nc_u32_e32 v33, 28, v31
	v_lshlrev_b64 v[34:35], v33, v[3:4]
	v_sub_nc_u32_e32 v33, 29, v31
	v_and_b32_e32 v31, 7, v34
; %bb.71:                               ;   in Loop: Header=BB278_10 Depth=1
	s_or_b32 exec_lo, exec_lo, s42
	v_lshlrev_b32_sdwa v3, v22, v3 dst_sel:DWORD dst_unused:UNUSED_PAD src0_sel:DWORD src1_sel:WORD_0
	v_lshl_add_u32 v33, v33, 10, 0x2000
	v_lshlrev_b32_e32 v31, 23, v31
	v_and_or_b32 v3, 0x8000, v3, v33
	v_lshl_or_b32 v31, v3, 16, v31
.LBB278_72:                             ;   in Loop: Header=BB278_10 Depth=1
	s_or_b32 exec_lo, exec_lo, s41
.LBB278_73:                             ;   in Loop: Header=BB278_10 Depth=1
	s_or_b32 exec_lo, exec_lo, s40
.LBB278_74:                             ;   in Loop: Header=BB278_10 Depth=1
	s_or_b32 exec_lo, exec_lo, s3
	global_load_ushort v34, v[9:10], off offset:256
	v_mov_b32_e32 v33, 0
	s_waitcnt vmcnt(0)
	v_and_b32_e32 v3, 0xffff, v34
	v_cmp_ne_u16_sdwa s2, v34, v4 src0_sel:BYTE_0 src1_sel:DWORD
	v_mov_b32_e32 v34, 0
	s_and_saveexec_b32 s3, s2
	s_cbranch_execz .LBB278_82
; %bb.75:                               ;   in Loop: Header=BB278_10 Depth=1
	v_cmp_ne_u16_sdwa s2, v3, v19 src0_sel:BYTE_0 src1_sel:DWORD
	v_mov_b32_e32 v34, 0x8000
	s_and_saveexec_b32 s40, s2
	s_cbranch_execz .LBB278_81
; %bb.76:                               ;   in Loop: Header=BB278_10 Depth=1
	v_and_b32_e32 v36, 0x7f, v3
	v_mov_b32_e32 v34, 0x7c01
	s_mov_b32 s41, exec_lo
	v_cmpx_ne_u32_e32 0x7f, v36
	s_cbranch_execz .LBB278_80
; %bb.77:                               ;   in Loop: Header=BB278_10 Depth=1
	v_and_b32_e32 v34, 7, v3
	v_lshrrev_b32_e32 v35, 3, v36
	s_mov_b32 s42, exec_lo
	v_cmpx_gt_u32_e32 8, v36
; %bb.78:                               ;   in Loop: Header=BB278_10 Depth=1
	v_ffbh_u32_e32 v34, v34
	v_min_u32_e32 v36, 32, v34
	v_subrev_nc_u32_e32 v34, 28, v36
	v_lshlrev_b64 v[34:35], v34, v[3:4]
	v_sub_nc_u32_e32 v35, 29, v36
	v_and_b32_e32 v34, 7, v34
; %bb.79:                               ;   in Loop: Header=BB278_10 Depth=1
	s_or_b32 exec_lo, exec_lo, s42
	v_lshlrev_b32_e32 v36, 8, v3
	v_lshl_add_u32 v35, v35, 10, 0x2000
	v_lshlrev_b32_e32 v34, 7, v34
	v_and_b32_e32 v36, 0x8000, v36
	v_and_b32_e32 v35, 0xfc00, v35
	v_or3_b32 v34, v36, v35, v34
.LBB278_80:                             ;   in Loop: Header=BB278_10 Depth=1
	s_or_b32 exec_lo, exec_lo, s41
.LBB278_81:                             ;   in Loop: Header=BB278_10 Depth=1
	s_or_b32 exec_lo, exec_lo, s40
.LBB278_82:                             ;   in Loop: Header=BB278_10 Depth=1
	s_or_b32 exec_lo, exec_lo, s3
	v_lshrrev_b16 v3, 8, v3
	s_mov_b32 s3, exec_lo
	v_cmpx_ne_u16_e32 0, v3
	s_cbranch_execz .LBB278_90
; %bb.83:                               ;   in Loop: Header=BB278_10 Depth=1
	v_bfrev_b32_e32 v33, 1
	s_mov_b32 s40, exec_lo
	v_cmpx_ne_u16_e32 0x80, v3
	s_cbranch_execz .LBB278_89
; %bb.84:                               ;   in Loop: Header=BB278_10 Depth=1
	v_and_b32_sdwa v36, v3, v20 dst_sel:DWORD dst_unused:UNUSED_PAD src0_sel:WORD_0 src1_sel:DWORD
	v_mov_b32_e32 v33, 0x7c010000
	s_mov_b32 s41, exec_lo
	v_cmpx_ne_u32_e32 0x7f, v36
	s_cbranch_execz .LBB278_88
; %bb.85:                               ;   in Loop: Header=BB278_10 Depth=1
	v_and_b32_sdwa v33, v3, v21 dst_sel:DWORD dst_unused:UNUSED_PAD src0_sel:WORD_0 src1_sel:DWORD
	v_lshrrev_b32_e32 v35, 3, v36
	s_mov_b32 s42, exec_lo
	v_cmpx_gt_u32_e32 8, v36
; %bb.86:                               ;   in Loop: Header=BB278_10 Depth=1
	v_ffbh_u32_e32 v33, v33
	v_min_u32_e32 v33, 32, v33
	v_subrev_nc_u32_e32 v35, 28, v33
	v_lshlrev_b64 v[36:37], v35, v[3:4]
	v_sub_nc_u32_e32 v35, 29, v33
	v_and_b32_e32 v33, 7, v36
; %bb.87:                               ;   in Loop: Header=BB278_10 Depth=1
	s_or_b32 exec_lo, exec_lo, s42
	v_lshlrev_b32_sdwa v3, v22, v3 dst_sel:DWORD dst_unused:UNUSED_PAD src0_sel:DWORD src1_sel:WORD_0
	v_lshl_add_u32 v35, v35, 10, 0x2000
	v_lshlrev_b32_e32 v33, 23, v33
	v_and_or_b32 v3, 0x8000, v3, v35
	v_lshl_or_b32 v33, v3, 16, v33
.LBB278_88:                             ;   in Loop: Header=BB278_10 Depth=1
	s_or_b32 exec_lo, exec_lo, s41
.LBB278_89:                             ;   in Loop: Header=BB278_10 Depth=1
	s_or_b32 exec_lo, exec_lo, s40
.LBB278_90:                             ;   in Loop: Header=BB278_10 Depth=1
	s_or_b32 exec_lo, exec_lo, s3
	global_load_ushort v36, v[9:10], off offset:264
	v_mov_b32_e32 v35, 0
	s_waitcnt vmcnt(0)
	v_and_b32_e32 v3, 0xffff, v36
	v_cmp_ne_u16_sdwa s2, v36, v4 src0_sel:BYTE_0 src1_sel:DWORD
	v_mov_b32_e32 v36, 0
	s_and_saveexec_b32 s3, s2
	s_cbranch_execz .LBB278_98
; %bb.91:                               ;   in Loop: Header=BB278_10 Depth=1
	v_cmp_ne_u16_sdwa s2, v3, v19 src0_sel:BYTE_0 src1_sel:DWORD
	v_mov_b32_e32 v36, 0x8000
	s_and_saveexec_b32 s40, s2
	s_cbranch_execz .LBB278_97
; %bb.92:                               ;   in Loop: Header=BB278_10 Depth=1
	v_and_b32_e32 v38, 0x7f, v3
	v_mov_b32_e32 v36, 0x7c01
	s_mov_b32 s41, exec_lo
	v_cmpx_ne_u32_e32 0x7f, v38
	s_cbranch_execz .LBB278_96
; %bb.93:                               ;   in Loop: Header=BB278_10 Depth=1
	v_and_b32_e32 v36, 7, v3
	v_lshrrev_b32_e32 v37, 3, v38
	s_mov_b32 s42, exec_lo
	v_cmpx_gt_u32_e32 8, v38
; %bb.94:                               ;   in Loop: Header=BB278_10 Depth=1
	v_ffbh_u32_e32 v36, v36
	v_min_u32_e32 v38, 32, v36
	v_subrev_nc_u32_e32 v36, 28, v38
	v_lshlrev_b64 v[36:37], v36, v[3:4]
	v_sub_nc_u32_e32 v37, 29, v38
	v_and_b32_e32 v36, 7, v36
; %bb.95:                               ;   in Loop: Header=BB278_10 Depth=1
	s_or_b32 exec_lo, exec_lo, s42
	v_lshlrev_b32_e32 v38, 8, v3
	v_lshl_add_u32 v37, v37, 10, 0x2000
	v_lshlrev_b32_e32 v36, 7, v36
	v_and_b32_e32 v38, 0x8000, v38
	v_and_b32_e32 v37, 0xfc00, v37
	v_or3_b32 v36, v38, v37, v36
.LBB278_96:                             ;   in Loop: Header=BB278_10 Depth=1
	s_or_b32 exec_lo, exec_lo, s41
.LBB278_97:                             ;   in Loop: Header=BB278_10 Depth=1
	s_or_b32 exec_lo, exec_lo, s40
.LBB278_98:                             ;   in Loop: Header=BB278_10 Depth=1
	s_or_b32 exec_lo, exec_lo, s3
	v_lshrrev_b16 v3, 8, v3
	s_mov_b32 s3, exec_lo
	v_cmpx_ne_u16_e32 0, v3
	s_cbranch_execz .LBB278_106
; %bb.99:                               ;   in Loop: Header=BB278_10 Depth=1
	v_bfrev_b32_e32 v35, 1
	s_mov_b32 s40, exec_lo
	v_cmpx_ne_u16_e32 0x80, v3
	s_cbranch_execz .LBB278_105
; %bb.100:                              ;   in Loop: Header=BB278_10 Depth=1
	v_and_b32_sdwa v38, v3, v20 dst_sel:DWORD dst_unused:UNUSED_PAD src0_sel:WORD_0 src1_sel:DWORD
	v_mov_b32_e32 v35, 0x7c010000
	s_mov_b32 s41, exec_lo
	v_cmpx_ne_u32_e32 0x7f, v38
	s_cbranch_execz .LBB278_104
; %bb.101:                              ;   in Loop: Header=BB278_10 Depth=1
	v_and_b32_sdwa v35, v3, v21 dst_sel:DWORD dst_unused:UNUSED_PAD src0_sel:WORD_0 src1_sel:DWORD
	v_lshrrev_b32_e32 v37, 3, v38
	s_mov_b32 s42, exec_lo
	v_cmpx_gt_u32_e32 8, v38
; %bb.102:                              ;   in Loop: Header=BB278_10 Depth=1
	v_ffbh_u32_e32 v35, v35
	v_min_u32_e32 v35, 32, v35
	v_subrev_nc_u32_e32 v37, 28, v35
	v_lshlrev_b64 v[38:39], v37, v[3:4]
	v_sub_nc_u32_e32 v37, 29, v35
	v_and_b32_e32 v35, 7, v38
; %bb.103:                              ;   in Loop: Header=BB278_10 Depth=1
	s_or_b32 exec_lo, exec_lo, s42
	v_lshlrev_b32_sdwa v3, v22, v3 dst_sel:DWORD dst_unused:UNUSED_PAD src0_sel:DWORD src1_sel:WORD_0
	v_lshl_add_u32 v37, v37, 10, 0x2000
	v_lshlrev_b32_e32 v35, 23, v35
	v_and_or_b32 v3, 0x8000, v3, v37
	v_lshl_or_b32 v35, v3, 16, v35
.LBB278_104:                            ;   in Loop: Header=BB278_10 Depth=1
	s_or_b32 exec_lo, exec_lo, s41
.LBB278_105:                            ;   in Loop: Header=BB278_10 Depth=1
	s_or_b32 exec_lo, exec_lo, s40
.LBB278_106:                            ;   in Loop: Header=BB278_10 Depth=1
	s_or_b32 exec_lo, exec_lo, s3
	global_load_ushort v38, v[9:10], off offset:384
	v_mov_b32_e32 v37, 0
	s_waitcnt vmcnt(0)
	v_and_b32_e32 v3, 0xffff, v38
	v_cmp_ne_u16_sdwa s2, v38, v4 src0_sel:BYTE_0 src1_sel:DWORD
	v_mov_b32_e32 v38, 0
	s_and_saveexec_b32 s3, s2
	s_cbranch_execz .LBB278_114
; %bb.107:                              ;   in Loop: Header=BB278_10 Depth=1
	v_cmp_ne_u16_sdwa s2, v3, v19 src0_sel:BYTE_0 src1_sel:DWORD
	v_mov_b32_e32 v38, 0x8000
	s_and_saveexec_b32 s40, s2
	s_cbranch_execz .LBB278_113
; %bb.108:                              ;   in Loop: Header=BB278_10 Depth=1
	v_and_b32_e32 v40, 0x7f, v3
	v_mov_b32_e32 v38, 0x7c01
	s_mov_b32 s41, exec_lo
	v_cmpx_ne_u32_e32 0x7f, v40
	s_cbranch_execz .LBB278_112
; %bb.109:                              ;   in Loop: Header=BB278_10 Depth=1
	v_and_b32_e32 v38, 7, v3
	v_lshrrev_b32_e32 v39, 3, v40
	s_mov_b32 s42, exec_lo
	v_cmpx_gt_u32_e32 8, v40
; %bb.110:                              ;   in Loop: Header=BB278_10 Depth=1
	v_ffbh_u32_e32 v38, v38
	v_min_u32_e32 v40, 32, v38
	v_subrev_nc_u32_e32 v38, 28, v40
	v_lshlrev_b64 v[38:39], v38, v[3:4]
	v_sub_nc_u32_e32 v39, 29, v40
	v_and_b32_e32 v38, 7, v38
; %bb.111:                              ;   in Loop: Header=BB278_10 Depth=1
	s_or_b32 exec_lo, exec_lo, s42
	v_lshlrev_b32_e32 v40, 8, v3
	v_lshl_add_u32 v39, v39, 10, 0x2000
	v_lshlrev_b32_e32 v38, 7, v38
	v_and_b32_e32 v40, 0x8000, v40
	v_and_b32_e32 v39, 0xfc00, v39
	v_or3_b32 v38, v40, v39, v38
.LBB278_112:                            ;   in Loop: Header=BB278_10 Depth=1
	s_or_b32 exec_lo, exec_lo, s41
.LBB278_113:                            ;   in Loop: Header=BB278_10 Depth=1
	s_or_b32 exec_lo, exec_lo, s40
.LBB278_114:                            ;   in Loop: Header=BB278_10 Depth=1
	s_or_b32 exec_lo, exec_lo, s3
	v_lshrrev_b16 v3, 8, v3
	s_mov_b32 s3, exec_lo
	v_cmpx_ne_u16_e32 0, v3
	s_cbranch_execz .LBB278_122
; %bb.115:                              ;   in Loop: Header=BB278_10 Depth=1
	v_bfrev_b32_e32 v37, 1
	s_mov_b32 s40, exec_lo
	v_cmpx_ne_u16_e32 0x80, v3
	s_cbranch_execz .LBB278_121
; %bb.116:                              ;   in Loop: Header=BB278_10 Depth=1
	v_and_b32_sdwa v40, v3, v20 dst_sel:DWORD dst_unused:UNUSED_PAD src0_sel:WORD_0 src1_sel:DWORD
	v_mov_b32_e32 v37, 0x7c010000
	s_mov_b32 s41, exec_lo
	v_cmpx_ne_u32_e32 0x7f, v40
	s_cbranch_execz .LBB278_120
; %bb.117:                              ;   in Loop: Header=BB278_10 Depth=1
	v_and_b32_sdwa v37, v3, v21 dst_sel:DWORD dst_unused:UNUSED_PAD src0_sel:WORD_0 src1_sel:DWORD
	v_lshrrev_b32_e32 v39, 3, v40
	s_mov_b32 s42, exec_lo
	v_cmpx_gt_u32_e32 8, v40
; %bb.118:                              ;   in Loop: Header=BB278_10 Depth=1
	v_ffbh_u32_e32 v37, v37
	v_min_u32_e32 v37, 32, v37
	v_subrev_nc_u32_e32 v39, 28, v37
	v_lshlrev_b64 v[40:41], v39, v[3:4]
	v_sub_nc_u32_e32 v39, 29, v37
	v_and_b32_e32 v37, 7, v40
; %bb.119:                              ;   in Loop: Header=BB278_10 Depth=1
	s_or_b32 exec_lo, exec_lo, s42
	v_lshlrev_b32_sdwa v3, v22, v3 dst_sel:DWORD dst_unused:UNUSED_PAD src0_sel:DWORD src1_sel:WORD_0
	v_lshl_add_u32 v39, v39, 10, 0x2000
	v_lshlrev_b32_e32 v37, 23, v37
	v_and_or_b32 v3, 0x8000, v3, v39
	v_lshl_or_b32 v37, v3, 16, v37
.LBB278_120:                            ;   in Loop: Header=BB278_10 Depth=1
	s_or_b32 exec_lo, exec_lo, s41
.LBB278_121:                            ;   in Loop: Header=BB278_10 Depth=1
	s_or_b32 exec_lo, exec_lo, s40
.LBB278_122:                            ;   in Loop: Header=BB278_10 Depth=1
	s_or_b32 exec_lo, exec_lo, s3
	global_load_ushort v40, v[9:10], off offset:392
	v_mov_b32_e32 v39, 0
	s_waitcnt vmcnt(0)
	v_and_b32_e32 v3, 0xffff, v40
	v_cmp_ne_u16_sdwa s2, v40, v4 src0_sel:BYTE_0 src1_sel:DWORD
	v_mov_b32_e32 v40, 0
	s_and_saveexec_b32 s3, s2
	s_cbranch_execz .LBB278_130
; %bb.123:                              ;   in Loop: Header=BB278_10 Depth=1
	v_cmp_ne_u16_sdwa s2, v3, v19 src0_sel:BYTE_0 src1_sel:DWORD
	v_mov_b32_e32 v40, 0x8000
	s_and_saveexec_b32 s40, s2
	s_cbranch_execz .LBB278_129
; %bb.124:                              ;   in Loop: Header=BB278_10 Depth=1
	v_and_b32_e32 v42, 0x7f, v3
	v_mov_b32_e32 v40, 0x7c01
	s_mov_b32 s41, exec_lo
	v_cmpx_ne_u32_e32 0x7f, v42
	s_cbranch_execz .LBB278_128
; %bb.125:                              ;   in Loop: Header=BB278_10 Depth=1
	v_and_b32_e32 v40, 7, v3
	v_lshrrev_b32_e32 v41, 3, v42
	s_mov_b32 s42, exec_lo
	v_cmpx_gt_u32_e32 8, v42
; %bb.126:                              ;   in Loop: Header=BB278_10 Depth=1
	v_ffbh_u32_e32 v40, v40
	v_min_u32_e32 v42, 32, v40
	v_subrev_nc_u32_e32 v40, 28, v42
	v_lshlrev_b64 v[40:41], v40, v[3:4]
	v_sub_nc_u32_e32 v41, 29, v42
	v_and_b32_e32 v40, 7, v40
; %bb.127:                              ;   in Loop: Header=BB278_10 Depth=1
	s_or_b32 exec_lo, exec_lo, s42
	v_lshlrev_b32_e32 v42, 8, v3
	v_lshl_add_u32 v41, v41, 10, 0x2000
	v_lshlrev_b32_e32 v40, 7, v40
	v_and_b32_e32 v42, 0x8000, v42
	v_and_b32_e32 v41, 0xfc00, v41
	v_or3_b32 v40, v42, v41, v40
.LBB278_128:                            ;   in Loop: Header=BB278_10 Depth=1
	s_or_b32 exec_lo, exec_lo, s41
.LBB278_129:                            ;   in Loop: Header=BB278_10 Depth=1
	s_or_b32 exec_lo, exec_lo, s40
.LBB278_130:                            ;   in Loop: Header=BB278_10 Depth=1
	s_or_b32 exec_lo, exec_lo, s3
	v_lshrrev_b16 v3, 8, v3
	s_mov_b32 s3, exec_lo
	v_cmpx_ne_u16_e32 0, v3
	s_cbranch_execz .LBB278_138
; %bb.131:                              ;   in Loop: Header=BB278_10 Depth=1
	v_bfrev_b32_e32 v39, 1
	s_mov_b32 s40, exec_lo
	v_cmpx_ne_u16_e32 0x80, v3
	s_cbranch_execz .LBB278_137
; %bb.132:                              ;   in Loop: Header=BB278_10 Depth=1
	v_and_b32_sdwa v42, v3, v20 dst_sel:DWORD dst_unused:UNUSED_PAD src0_sel:WORD_0 src1_sel:DWORD
	v_mov_b32_e32 v39, 0x7c010000
	s_mov_b32 s41, exec_lo
	v_cmpx_ne_u32_e32 0x7f, v42
	s_cbranch_execz .LBB278_136
; %bb.133:                              ;   in Loop: Header=BB278_10 Depth=1
	v_and_b32_sdwa v39, v3, v21 dst_sel:DWORD dst_unused:UNUSED_PAD src0_sel:WORD_0 src1_sel:DWORD
	v_lshrrev_b32_e32 v41, 3, v42
	s_mov_b32 s42, exec_lo
	v_cmpx_gt_u32_e32 8, v42
; %bb.134:                              ;   in Loop: Header=BB278_10 Depth=1
	v_ffbh_u32_e32 v39, v39
	v_min_u32_e32 v39, 32, v39
	v_subrev_nc_u32_e32 v41, 28, v39
	v_lshlrev_b64 v[42:43], v41, v[3:4]
	v_sub_nc_u32_e32 v41, 29, v39
	v_and_b32_e32 v39, 7, v42
; %bb.135:                              ;   in Loop: Header=BB278_10 Depth=1
	s_or_b32 exec_lo, exec_lo, s42
	v_lshlrev_b32_sdwa v3, v22, v3 dst_sel:DWORD dst_unused:UNUSED_PAD src0_sel:DWORD src1_sel:WORD_0
	v_lshl_add_u32 v41, v41, 10, 0x2000
	v_lshlrev_b32_e32 v39, 23, v39
	v_and_or_b32 v3, 0x8000, v3, v41
	v_lshl_or_b32 v39, v3, 16, v39
.LBB278_136:                            ;   in Loop: Header=BB278_10 Depth=1
	s_or_b32 exec_lo, exec_lo, s41
.LBB278_137:                            ;   in Loop: Header=BB278_10 Depth=1
	s_or_b32 exec_lo, exec_lo, s40
.LBB278_138:                            ;   in Loop: Header=BB278_10 Depth=1
	s_or_b32 exec_lo, exec_lo, s3
	global_load_ushort v42, v[9:10], off offset:512
	v_mov_b32_e32 v41, 0
	s_waitcnt vmcnt(0)
	v_and_b32_e32 v3, 0xffff, v42
	v_cmp_ne_u16_sdwa s2, v42, v4 src0_sel:BYTE_0 src1_sel:DWORD
	v_mov_b32_e32 v42, 0
	s_and_saveexec_b32 s3, s2
	s_cbranch_execz .LBB278_146
; %bb.139:                              ;   in Loop: Header=BB278_10 Depth=1
	v_cmp_ne_u16_sdwa s2, v3, v19 src0_sel:BYTE_0 src1_sel:DWORD
	v_mov_b32_e32 v42, 0x8000
	s_and_saveexec_b32 s40, s2
	s_cbranch_execz .LBB278_145
; %bb.140:                              ;   in Loop: Header=BB278_10 Depth=1
	v_and_b32_e32 v44, 0x7f, v3
	v_mov_b32_e32 v42, 0x7c01
	s_mov_b32 s41, exec_lo
	v_cmpx_ne_u32_e32 0x7f, v44
	s_cbranch_execz .LBB278_144
; %bb.141:                              ;   in Loop: Header=BB278_10 Depth=1
	v_and_b32_e32 v42, 7, v3
	v_lshrrev_b32_e32 v43, 3, v44
	s_mov_b32 s42, exec_lo
	v_cmpx_gt_u32_e32 8, v44
; %bb.142:                              ;   in Loop: Header=BB278_10 Depth=1
	v_ffbh_u32_e32 v42, v42
	v_min_u32_e32 v44, 32, v42
	v_subrev_nc_u32_e32 v42, 28, v44
	v_lshlrev_b64 v[42:43], v42, v[3:4]
	v_sub_nc_u32_e32 v43, 29, v44
	v_and_b32_e32 v42, 7, v42
; %bb.143:                              ;   in Loop: Header=BB278_10 Depth=1
	s_or_b32 exec_lo, exec_lo, s42
	v_lshlrev_b32_e32 v44, 8, v3
	v_lshl_add_u32 v43, v43, 10, 0x2000
	v_lshlrev_b32_e32 v42, 7, v42
	v_and_b32_e32 v44, 0x8000, v44
	v_and_b32_e32 v43, 0xfc00, v43
	v_or3_b32 v42, v44, v43, v42
.LBB278_144:                            ;   in Loop: Header=BB278_10 Depth=1
	s_or_b32 exec_lo, exec_lo, s41
.LBB278_145:                            ;   in Loop: Header=BB278_10 Depth=1
	s_or_b32 exec_lo, exec_lo, s40
.LBB278_146:                            ;   in Loop: Header=BB278_10 Depth=1
	s_or_b32 exec_lo, exec_lo, s3
	v_lshrrev_b16 v3, 8, v3
	s_mov_b32 s3, exec_lo
	v_cmpx_ne_u16_e32 0, v3
	s_cbranch_execz .LBB278_154
; %bb.147:                              ;   in Loop: Header=BB278_10 Depth=1
	v_bfrev_b32_e32 v41, 1
	s_mov_b32 s40, exec_lo
	v_cmpx_ne_u16_e32 0x80, v3
	s_cbranch_execz .LBB278_153
; %bb.148:                              ;   in Loop: Header=BB278_10 Depth=1
	v_and_b32_sdwa v44, v3, v20 dst_sel:DWORD dst_unused:UNUSED_PAD src0_sel:WORD_0 src1_sel:DWORD
	v_mov_b32_e32 v41, 0x7c010000
	s_mov_b32 s41, exec_lo
	v_cmpx_ne_u32_e32 0x7f, v44
	s_cbranch_execz .LBB278_152
; %bb.149:                              ;   in Loop: Header=BB278_10 Depth=1
	v_and_b32_sdwa v41, v3, v21 dst_sel:DWORD dst_unused:UNUSED_PAD src0_sel:WORD_0 src1_sel:DWORD
	v_lshrrev_b32_e32 v43, 3, v44
	s_mov_b32 s42, exec_lo
	v_cmpx_gt_u32_e32 8, v44
; %bb.150:                              ;   in Loop: Header=BB278_10 Depth=1
	v_ffbh_u32_e32 v41, v41
	v_min_u32_e32 v41, 32, v41
	v_subrev_nc_u32_e32 v43, 28, v41
	v_lshlrev_b64 v[44:45], v43, v[3:4]
	v_sub_nc_u32_e32 v43, 29, v41
	v_and_b32_e32 v41, 7, v44
; %bb.151:                              ;   in Loop: Header=BB278_10 Depth=1
	s_or_b32 exec_lo, exec_lo, s42
	v_lshlrev_b32_sdwa v3, v22, v3 dst_sel:DWORD dst_unused:UNUSED_PAD src0_sel:DWORD src1_sel:WORD_0
	v_lshl_add_u32 v43, v43, 10, 0x2000
	v_lshlrev_b32_e32 v41, 23, v41
	v_and_or_b32 v3, 0x8000, v3, v43
	v_lshl_or_b32 v41, v3, 16, v41
.LBB278_152:                            ;   in Loop: Header=BB278_10 Depth=1
	s_or_b32 exec_lo, exec_lo, s41
.LBB278_153:                            ;   in Loop: Header=BB278_10 Depth=1
	s_or_b32 exec_lo, exec_lo, s40
.LBB278_154:                            ;   in Loop: Header=BB278_10 Depth=1
	s_or_b32 exec_lo, exec_lo, s3
	global_load_ushort v44, v[9:10], off offset:520
	v_mov_b32_e32 v43, 0
	s_waitcnt vmcnt(0)
	v_and_b32_e32 v3, 0xffff, v44
	v_cmp_ne_u16_sdwa s2, v44, v4 src0_sel:BYTE_0 src1_sel:DWORD
	v_mov_b32_e32 v44, 0
	s_and_saveexec_b32 s3, s2
	s_cbranch_execz .LBB278_162
; %bb.155:                              ;   in Loop: Header=BB278_10 Depth=1
	v_cmp_ne_u16_sdwa s2, v3, v19 src0_sel:BYTE_0 src1_sel:DWORD
	v_mov_b32_e32 v44, 0x8000
	s_and_saveexec_b32 s40, s2
	s_cbranch_execz .LBB278_161
; %bb.156:                              ;   in Loop: Header=BB278_10 Depth=1
	v_and_b32_e32 v46, 0x7f, v3
	v_mov_b32_e32 v44, 0x7c01
	s_mov_b32 s41, exec_lo
	v_cmpx_ne_u32_e32 0x7f, v46
	s_cbranch_execz .LBB278_160
; %bb.157:                              ;   in Loop: Header=BB278_10 Depth=1
	v_and_b32_e32 v44, 7, v3
	v_lshrrev_b32_e32 v45, 3, v46
	s_mov_b32 s42, exec_lo
	v_cmpx_gt_u32_e32 8, v46
; %bb.158:                              ;   in Loop: Header=BB278_10 Depth=1
	v_ffbh_u32_e32 v44, v44
	v_min_u32_e32 v46, 32, v44
	v_subrev_nc_u32_e32 v44, 28, v46
	v_lshlrev_b64 v[44:45], v44, v[3:4]
	v_sub_nc_u32_e32 v45, 29, v46
	v_and_b32_e32 v44, 7, v44
; %bb.159:                              ;   in Loop: Header=BB278_10 Depth=1
	s_or_b32 exec_lo, exec_lo, s42
	v_lshlrev_b32_e32 v46, 8, v3
	v_lshl_add_u32 v45, v45, 10, 0x2000
	v_lshlrev_b32_e32 v44, 7, v44
	v_and_b32_e32 v46, 0x8000, v46
	v_and_b32_e32 v45, 0xfc00, v45
	v_or3_b32 v44, v46, v45, v44
.LBB278_160:                            ;   in Loop: Header=BB278_10 Depth=1
	s_or_b32 exec_lo, exec_lo, s41
.LBB278_161:                            ;   in Loop: Header=BB278_10 Depth=1
	s_or_b32 exec_lo, exec_lo, s40
.LBB278_162:                            ;   in Loop: Header=BB278_10 Depth=1
	s_or_b32 exec_lo, exec_lo, s3
	v_lshrrev_b16 v3, 8, v3
	s_mov_b32 s3, exec_lo
	v_cmpx_ne_u16_e32 0, v3
	s_cbranch_execz .LBB278_170
; %bb.163:                              ;   in Loop: Header=BB278_10 Depth=1
	v_bfrev_b32_e32 v43, 1
	s_mov_b32 s40, exec_lo
	v_cmpx_ne_u16_e32 0x80, v3
	s_cbranch_execz .LBB278_169
; %bb.164:                              ;   in Loop: Header=BB278_10 Depth=1
	v_and_b32_sdwa v46, v3, v20 dst_sel:DWORD dst_unused:UNUSED_PAD src0_sel:WORD_0 src1_sel:DWORD
	v_mov_b32_e32 v43, 0x7c010000
	s_mov_b32 s41, exec_lo
	v_cmpx_ne_u32_e32 0x7f, v46
	s_cbranch_execz .LBB278_168
; %bb.165:                              ;   in Loop: Header=BB278_10 Depth=1
	v_and_b32_sdwa v43, v3, v21 dst_sel:DWORD dst_unused:UNUSED_PAD src0_sel:WORD_0 src1_sel:DWORD
	v_lshrrev_b32_e32 v45, 3, v46
	s_mov_b32 s42, exec_lo
	v_cmpx_gt_u32_e32 8, v46
; %bb.166:                              ;   in Loop: Header=BB278_10 Depth=1
	v_ffbh_u32_e32 v43, v43
	v_min_u32_e32 v43, 32, v43
	v_subrev_nc_u32_e32 v45, 28, v43
	v_lshlrev_b64 v[46:47], v45, v[3:4]
	v_sub_nc_u32_e32 v45, 29, v43
	v_and_b32_e32 v43, 7, v46
; %bb.167:                              ;   in Loop: Header=BB278_10 Depth=1
	s_or_b32 exec_lo, exec_lo, s42
	v_lshlrev_b32_sdwa v3, v22, v3 dst_sel:DWORD dst_unused:UNUSED_PAD src0_sel:DWORD src1_sel:WORD_0
	v_lshl_add_u32 v45, v45, 10, 0x2000
	v_lshlrev_b32_e32 v43, 23, v43
	v_and_or_b32 v3, 0x8000, v3, v45
	v_lshl_or_b32 v43, v3, 16, v43
.LBB278_168:                            ;   in Loop: Header=BB278_10 Depth=1
	s_or_b32 exec_lo, exec_lo, s41
.LBB278_169:                            ;   in Loop: Header=BB278_10 Depth=1
	s_or_b32 exec_lo, exec_lo, s40
.LBB278_170:                            ;   in Loop: Header=BB278_10 Depth=1
	s_or_b32 exec_lo, exec_lo, s3
	global_load_ushort v46, v[9:10], off offset:640
	v_mov_b32_e32 v45, 0
	s_waitcnt vmcnt(0)
	v_and_b32_e32 v3, 0xffff, v46
	v_cmp_ne_u16_sdwa s2, v46, v4 src0_sel:BYTE_0 src1_sel:DWORD
	v_mov_b32_e32 v46, 0
	s_and_saveexec_b32 s3, s2
	s_cbranch_execz .LBB278_178
; %bb.171:                              ;   in Loop: Header=BB278_10 Depth=1
	v_cmp_ne_u16_sdwa s2, v3, v19 src0_sel:BYTE_0 src1_sel:DWORD
	v_mov_b32_e32 v46, 0x8000
	s_and_saveexec_b32 s40, s2
	s_cbranch_execz .LBB278_177
; %bb.172:                              ;   in Loop: Header=BB278_10 Depth=1
	v_and_b32_e32 v48, 0x7f, v3
	v_mov_b32_e32 v46, 0x7c01
	s_mov_b32 s41, exec_lo
	v_cmpx_ne_u32_e32 0x7f, v48
	s_cbranch_execz .LBB278_176
; %bb.173:                              ;   in Loop: Header=BB278_10 Depth=1
	v_and_b32_e32 v46, 7, v3
	v_lshrrev_b32_e32 v47, 3, v48
	s_mov_b32 s42, exec_lo
	v_cmpx_gt_u32_e32 8, v48
; %bb.174:                              ;   in Loop: Header=BB278_10 Depth=1
	v_ffbh_u32_e32 v46, v46
	v_min_u32_e32 v48, 32, v46
	v_subrev_nc_u32_e32 v46, 28, v48
	v_lshlrev_b64 v[46:47], v46, v[3:4]
	v_sub_nc_u32_e32 v47, 29, v48
	v_and_b32_e32 v46, 7, v46
; %bb.175:                              ;   in Loop: Header=BB278_10 Depth=1
	s_or_b32 exec_lo, exec_lo, s42
	v_lshlrev_b32_e32 v48, 8, v3
	v_lshl_add_u32 v47, v47, 10, 0x2000
	v_lshlrev_b32_e32 v46, 7, v46
	v_and_b32_e32 v48, 0x8000, v48
	v_and_b32_e32 v47, 0xfc00, v47
	v_or3_b32 v46, v48, v47, v46
.LBB278_176:                            ;   in Loop: Header=BB278_10 Depth=1
	s_or_b32 exec_lo, exec_lo, s41
.LBB278_177:                            ;   in Loop: Header=BB278_10 Depth=1
	s_or_b32 exec_lo, exec_lo, s40
.LBB278_178:                            ;   in Loop: Header=BB278_10 Depth=1
	s_or_b32 exec_lo, exec_lo, s3
	v_lshrrev_b16 v3, 8, v3
	s_mov_b32 s3, exec_lo
	v_cmpx_ne_u16_e32 0, v3
	s_cbranch_execz .LBB278_186
; %bb.179:                              ;   in Loop: Header=BB278_10 Depth=1
	v_bfrev_b32_e32 v45, 1
	s_mov_b32 s40, exec_lo
	v_cmpx_ne_u16_e32 0x80, v3
	s_cbranch_execz .LBB278_185
; %bb.180:                              ;   in Loop: Header=BB278_10 Depth=1
	v_and_b32_sdwa v48, v3, v20 dst_sel:DWORD dst_unused:UNUSED_PAD src0_sel:WORD_0 src1_sel:DWORD
	v_mov_b32_e32 v45, 0x7c010000
	s_mov_b32 s41, exec_lo
	v_cmpx_ne_u32_e32 0x7f, v48
	s_cbranch_execz .LBB278_184
; %bb.181:                              ;   in Loop: Header=BB278_10 Depth=1
	v_and_b32_sdwa v45, v3, v21 dst_sel:DWORD dst_unused:UNUSED_PAD src0_sel:WORD_0 src1_sel:DWORD
	v_lshrrev_b32_e32 v47, 3, v48
	s_mov_b32 s42, exec_lo
	v_cmpx_gt_u32_e32 8, v48
; %bb.182:                              ;   in Loop: Header=BB278_10 Depth=1
	v_ffbh_u32_e32 v45, v45
	v_min_u32_e32 v45, 32, v45
	v_subrev_nc_u32_e32 v47, 28, v45
	v_lshlrev_b64 v[48:49], v47, v[3:4]
	v_sub_nc_u32_e32 v47, 29, v45
	v_and_b32_e32 v45, 7, v48
; %bb.183:                              ;   in Loop: Header=BB278_10 Depth=1
	s_or_b32 exec_lo, exec_lo, s42
	v_lshlrev_b32_sdwa v3, v22, v3 dst_sel:DWORD dst_unused:UNUSED_PAD src0_sel:DWORD src1_sel:WORD_0
	v_lshl_add_u32 v47, v47, 10, 0x2000
	v_lshlrev_b32_e32 v45, 23, v45
	v_and_or_b32 v3, 0x8000, v3, v47
	v_lshl_or_b32 v45, v3, 16, v45
.LBB278_184:                            ;   in Loop: Header=BB278_10 Depth=1
	s_or_b32 exec_lo, exec_lo, s41
.LBB278_185:                            ;   in Loop: Header=BB278_10 Depth=1
	s_or_b32 exec_lo, exec_lo, s40
.LBB278_186:                            ;   in Loop: Header=BB278_10 Depth=1
	s_or_b32 exec_lo, exec_lo, s3
	global_load_ushort v48, v[9:10], off offset:648
	v_mov_b32_e32 v47, 0
	s_waitcnt vmcnt(0)
	v_and_b32_e32 v3, 0xffff, v48
	v_cmp_ne_u16_sdwa s2, v48, v4 src0_sel:BYTE_0 src1_sel:DWORD
	v_mov_b32_e32 v48, 0
	s_and_saveexec_b32 s3, s2
	s_cbranch_execz .LBB278_194
; %bb.187:                              ;   in Loop: Header=BB278_10 Depth=1
	v_cmp_ne_u16_sdwa s2, v3, v19 src0_sel:BYTE_0 src1_sel:DWORD
	v_mov_b32_e32 v48, 0x8000
	s_and_saveexec_b32 s40, s2
	s_cbranch_execz .LBB278_193
; %bb.188:                              ;   in Loop: Header=BB278_10 Depth=1
	v_and_b32_e32 v50, 0x7f, v3
	v_mov_b32_e32 v48, 0x7c01
	s_mov_b32 s41, exec_lo
	v_cmpx_ne_u32_e32 0x7f, v50
	s_cbranch_execz .LBB278_192
; %bb.189:                              ;   in Loop: Header=BB278_10 Depth=1
	v_and_b32_e32 v48, 7, v3
	v_lshrrev_b32_e32 v49, 3, v50
	s_mov_b32 s42, exec_lo
	v_cmpx_gt_u32_e32 8, v50
; %bb.190:                              ;   in Loop: Header=BB278_10 Depth=1
	v_ffbh_u32_e32 v48, v48
	v_min_u32_e32 v50, 32, v48
	v_subrev_nc_u32_e32 v48, 28, v50
	v_lshlrev_b64 v[48:49], v48, v[3:4]
	v_sub_nc_u32_e32 v49, 29, v50
	v_and_b32_e32 v48, 7, v48
; %bb.191:                              ;   in Loop: Header=BB278_10 Depth=1
	s_or_b32 exec_lo, exec_lo, s42
	v_lshlrev_b32_e32 v50, 8, v3
	v_lshl_add_u32 v49, v49, 10, 0x2000
	v_lshlrev_b32_e32 v48, 7, v48
	v_and_b32_e32 v50, 0x8000, v50
	v_and_b32_e32 v49, 0xfc00, v49
	v_or3_b32 v48, v50, v49, v48
.LBB278_192:                            ;   in Loop: Header=BB278_10 Depth=1
	s_or_b32 exec_lo, exec_lo, s41
.LBB278_193:                            ;   in Loop: Header=BB278_10 Depth=1
	s_or_b32 exec_lo, exec_lo, s40
.LBB278_194:                            ;   in Loop: Header=BB278_10 Depth=1
	s_or_b32 exec_lo, exec_lo, s3
	v_lshrrev_b16 v3, 8, v3
	s_mov_b32 s3, exec_lo
	v_cmpx_ne_u16_e32 0, v3
	s_cbranch_execz .LBB278_202
; %bb.195:                              ;   in Loop: Header=BB278_10 Depth=1
	v_bfrev_b32_e32 v47, 1
	s_mov_b32 s40, exec_lo
	v_cmpx_ne_u16_e32 0x80, v3
	s_cbranch_execz .LBB278_201
; %bb.196:                              ;   in Loop: Header=BB278_10 Depth=1
	v_and_b32_sdwa v50, v3, v20 dst_sel:DWORD dst_unused:UNUSED_PAD src0_sel:WORD_0 src1_sel:DWORD
	v_mov_b32_e32 v47, 0x7c010000
	s_mov_b32 s41, exec_lo
	v_cmpx_ne_u32_e32 0x7f, v50
	s_cbranch_execz .LBB278_200
; %bb.197:                              ;   in Loop: Header=BB278_10 Depth=1
	v_and_b32_sdwa v47, v3, v21 dst_sel:DWORD dst_unused:UNUSED_PAD src0_sel:WORD_0 src1_sel:DWORD
	v_lshrrev_b32_e32 v49, 3, v50
	s_mov_b32 s42, exec_lo
	v_cmpx_gt_u32_e32 8, v50
; %bb.198:                              ;   in Loop: Header=BB278_10 Depth=1
	v_ffbh_u32_e32 v47, v47
	v_min_u32_e32 v47, 32, v47
	v_subrev_nc_u32_e32 v49, 28, v47
	v_lshlrev_b64 v[50:51], v49, v[3:4]
	v_sub_nc_u32_e32 v49, 29, v47
	v_and_b32_e32 v47, 7, v50
; %bb.199:                              ;   in Loop: Header=BB278_10 Depth=1
	s_or_b32 exec_lo, exec_lo, s42
	v_lshlrev_b32_sdwa v3, v22, v3 dst_sel:DWORD dst_unused:UNUSED_PAD src0_sel:DWORD src1_sel:WORD_0
	v_lshl_add_u32 v49, v49, 10, 0x2000
	v_lshlrev_b32_e32 v47, 23, v47
	v_and_or_b32 v3, 0x8000, v3, v49
	v_lshl_or_b32 v47, v3, 16, v47
.LBB278_200:                            ;   in Loop: Header=BB278_10 Depth=1
	s_or_b32 exec_lo, exec_lo, s41
.LBB278_201:                            ;   in Loop: Header=BB278_10 Depth=1
	s_or_b32 exec_lo, exec_lo, s40
.LBB278_202:                            ;   in Loop: Header=BB278_10 Depth=1
	s_or_b32 exec_lo, exec_lo, s3
	global_load_ushort v50, v[9:10], off offset:768
	v_mov_b32_e32 v49, 0
	s_waitcnt vmcnt(0)
	v_and_b32_e32 v3, 0xffff, v50
	v_cmp_ne_u16_sdwa s2, v50, v4 src0_sel:BYTE_0 src1_sel:DWORD
	v_mov_b32_e32 v50, 0
	s_and_saveexec_b32 s3, s2
	s_cbranch_execz .LBB278_210
; %bb.203:                              ;   in Loop: Header=BB278_10 Depth=1
	v_cmp_ne_u16_sdwa s2, v3, v19 src0_sel:BYTE_0 src1_sel:DWORD
	v_mov_b32_e32 v50, 0x8000
	s_and_saveexec_b32 s40, s2
	s_cbranch_execz .LBB278_209
; %bb.204:                              ;   in Loop: Header=BB278_10 Depth=1
	v_and_b32_e32 v52, 0x7f, v3
	v_mov_b32_e32 v50, 0x7c01
	s_mov_b32 s41, exec_lo
	v_cmpx_ne_u32_e32 0x7f, v52
	s_cbranch_execz .LBB278_208
; %bb.205:                              ;   in Loop: Header=BB278_10 Depth=1
	v_and_b32_e32 v50, 7, v3
	v_lshrrev_b32_e32 v51, 3, v52
	s_mov_b32 s42, exec_lo
	v_cmpx_gt_u32_e32 8, v52
; %bb.206:                              ;   in Loop: Header=BB278_10 Depth=1
	v_ffbh_u32_e32 v50, v50
	v_min_u32_e32 v52, 32, v50
	v_subrev_nc_u32_e32 v50, 28, v52
	v_lshlrev_b64 v[50:51], v50, v[3:4]
	v_sub_nc_u32_e32 v51, 29, v52
	v_and_b32_e32 v50, 7, v50
; %bb.207:                              ;   in Loop: Header=BB278_10 Depth=1
	s_or_b32 exec_lo, exec_lo, s42
	v_lshlrev_b32_e32 v52, 8, v3
	v_lshl_add_u32 v51, v51, 10, 0x2000
	v_lshlrev_b32_e32 v50, 7, v50
	v_and_b32_e32 v52, 0x8000, v52
	v_and_b32_e32 v51, 0xfc00, v51
	v_or3_b32 v50, v52, v51, v50
.LBB278_208:                            ;   in Loop: Header=BB278_10 Depth=1
	s_or_b32 exec_lo, exec_lo, s41
.LBB278_209:                            ;   in Loop: Header=BB278_10 Depth=1
	s_or_b32 exec_lo, exec_lo, s40
.LBB278_210:                            ;   in Loop: Header=BB278_10 Depth=1
	s_or_b32 exec_lo, exec_lo, s3
	v_lshrrev_b16 v3, 8, v3
	s_mov_b32 s3, exec_lo
	v_cmpx_ne_u16_e32 0, v3
	s_cbranch_execz .LBB278_218
; %bb.211:                              ;   in Loop: Header=BB278_10 Depth=1
	v_bfrev_b32_e32 v49, 1
	s_mov_b32 s40, exec_lo
	v_cmpx_ne_u16_e32 0x80, v3
	s_cbranch_execz .LBB278_217
; %bb.212:                              ;   in Loop: Header=BB278_10 Depth=1
	v_and_b32_sdwa v52, v3, v20 dst_sel:DWORD dst_unused:UNUSED_PAD src0_sel:WORD_0 src1_sel:DWORD
	v_mov_b32_e32 v49, 0x7c010000
	s_mov_b32 s41, exec_lo
	v_cmpx_ne_u32_e32 0x7f, v52
	s_cbranch_execz .LBB278_216
; %bb.213:                              ;   in Loop: Header=BB278_10 Depth=1
	v_and_b32_sdwa v49, v3, v21 dst_sel:DWORD dst_unused:UNUSED_PAD src0_sel:WORD_0 src1_sel:DWORD
	v_lshrrev_b32_e32 v51, 3, v52
	s_mov_b32 s42, exec_lo
	v_cmpx_gt_u32_e32 8, v52
; %bb.214:                              ;   in Loop: Header=BB278_10 Depth=1
	v_ffbh_u32_e32 v49, v49
	v_min_u32_e32 v49, 32, v49
	v_subrev_nc_u32_e32 v51, 28, v49
	v_lshlrev_b64 v[52:53], v51, v[3:4]
	v_sub_nc_u32_e32 v51, 29, v49
	v_and_b32_e32 v49, 7, v52
; %bb.215:                              ;   in Loop: Header=BB278_10 Depth=1
	s_or_b32 exec_lo, exec_lo, s42
	v_lshlrev_b32_sdwa v3, v22, v3 dst_sel:DWORD dst_unused:UNUSED_PAD src0_sel:DWORD src1_sel:WORD_0
	v_lshl_add_u32 v51, v51, 10, 0x2000
	v_lshlrev_b32_e32 v49, 23, v49
	v_and_or_b32 v3, 0x8000, v3, v51
	v_lshl_or_b32 v49, v3, 16, v49
.LBB278_216:                            ;   in Loop: Header=BB278_10 Depth=1
	s_or_b32 exec_lo, exec_lo, s41
.LBB278_217:                            ;   in Loop: Header=BB278_10 Depth=1
	s_or_b32 exec_lo, exec_lo, s40
.LBB278_218:                            ;   in Loop: Header=BB278_10 Depth=1
	s_or_b32 exec_lo, exec_lo, s3
	global_load_ushort v52, v[9:10], off offset:776
	v_mov_b32_e32 v51, 0
	s_waitcnt vmcnt(0)
	v_and_b32_e32 v3, 0xffff, v52
	v_cmp_ne_u16_sdwa s2, v52, v4 src0_sel:BYTE_0 src1_sel:DWORD
	v_mov_b32_e32 v52, 0
	s_and_saveexec_b32 s3, s2
	s_cbranch_execz .LBB278_226
; %bb.219:                              ;   in Loop: Header=BB278_10 Depth=1
	v_cmp_ne_u16_sdwa s2, v3, v19 src0_sel:BYTE_0 src1_sel:DWORD
	v_mov_b32_e32 v52, 0x8000
	s_and_saveexec_b32 s40, s2
	s_cbranch_execz .LBB278_225
; %bb.220:                              ;   in Loop: Header=BB278_10 Depth=1
	v_and_b32_e32 v54, 0x7f, v3
	v_mov_b32_e32 v52, 0x7c01
	s_mov_b32 s41, exec_lo
	v_cmpx_ne_u32_e32 0x7f, v54
	s_cbranch_execz .LBB278_224
; %bb.221:                              ;   in Loop: Header=BB278_10 Depth=1
	v_and_b32_e32 v52, 7, v3
	v_lshrrev_b32_e32 v53, 3, v54
	s_mov_b32 s42, exec_lo
	v_cmpx_gt_u32_e32 8, v54
; %bb.222:                              ;   in Loop: Header=BB278_10 Depth=1
	v_ffbh_u32_e32 v52, v52
	v_min_u32_e32 v54, 32, v52
	v_subrev_nc_u32_e32 v52, 28, v54
	v_lshlrev_b64 v[52:53], v52, v[3:4]
	v_sub_nc_u32_e32 v53, 29, v54
	v_and_b32_e32 v52, 7, v52
; %bb.223:                              ;   in Loop: Header=BB278_10 Depth=1
	s_or_b32 exec_lo, exec_lo, s42
	v_lshlrev_b32_e32 v54, 8, v3
	v_lshl_add_u32 v53, v53, 10, 0x2000
	v_lshlrev_b32_e32 v52, 7, v52
	v_and_b32_e32 v54, 0x8000, v54
	v_and_b32_e32 v53, 0xfc00, v53
	v_or3_b32 v52, v54, v53, v52
.LBB278_224:                            ;   in Loop: Header=BB278_10 Depth=1
	s_or_b32 exec_lo, exec_lo, s41
.LBB278_225:                            ;   in Loop: Header=BB278_10 Depth=1
	s_or_b32 exec_lo, exec_lo, s40
.LBB278_226:                            ;   in Loop: Header=BB278_10 Depth=1
	s_or_b32 exec_lo, exec_lo, s3
	v_lshrrev_b16 v3, 8, v3
	s_mov_b32 s3, exec_lo
	v_cmpx_ne_u16_e32 0, v3
	s_cbranch_execz .LBB278_234
; %bb.227:                              ;   in Loop: Header=BB278_10 Depth=1
	v_bfrev_b32_e32 v51, 1
	s_mov_b32 s40, exec_lo
	v_cmpx_ne_u16_e32 0x80, v3
	s_cbranch_execz .LBB278_233
; %bb.228:                              ;   in Loop: Header=BB278_10 Depth=1
	v_and_b32_sdwa v54, v3, v20 dst_sel:DWORD dst_unused:UNUSED_PAD src0_sel:WORD_0 src1_sel:DWORD
	v_mov_b32_e32 v51, 0x7c010000
	s_mov_b32 s41, exec_lo
	v_cmpx_ne_u32_e32 0x7f, v54
	s_cbranch_execz .LBB278_232
; %bb.229:                              ;   in Loop: Header=BB278_10 Depth=1
	v_and_b32_sdwa v51, v3, v21 dst_sel:DWORD dst_unused:UNUSED_PAD src0_sel:WORD_0 src1_sel:DWORD
	v_lshrrev_b32_e32 v53, 3, v54
	s_mov_b32 s42, exec_lo
	v_cmpx_gt_u32_e32 8, v54
; %bb.230:                              ;   in Loop: Header=BB278_10 Depth=1
	v_ffbh_u32_e32 v51, v51
	v_min_u32_e32 v51, 32, v51
	v_subrev_nc_u32_e32 v53, 28, v51
	v_lshlrev_b64 v[54:55], v53, v[3:4]
	v_sub_nc_u32_e32 v53, 29, v51
	v_and_b32_e32 v51, 7, v54
; %bb.231:                              ;   in Loop: Header=BB278_10 Depth=1
	s_or_b32 exec_lo, exec_lo, s42
	v_lshlrev_b32_sdwa v3, v22, v3 dst_sel:DWORD dst_unused:UNUSED_PAD src0_sel:DWORD src1_sel:WORD_0
	v_lshl_add_u32 v53, v53, 10, 0x2000
	v_lshlrev_b32_e32 v51, 23, v51
	v_and_or_b32 v3, 0x8000, v3, v53
	v_lshl_or_b32 v51, v3, 16, v51
.LBB278_232:                            ;   in Loop: Header=BB278_10 Depth=1
	s_or_b32 exec_lo, exec_lo, s41
.LBB278_233:                            ;   in Loop: Header=BB278_10 Depth=1
	s_or_b32 exec_lo, exec_lo, s40
.LBB278_234:                            ;   in Loop: Header=BB278_10 Depth=1
	s_or_b32 exec_lo, exec_lo, s3
	global_load_ushort v54, v[9:10], off offset:896
	v_mov_b32_e32 v53, 0
	s_waitcnt vmcnt(0)
	v_and_b32_e32 v3, 0xffff, v54
	v_cmp_ne_u16_sdwa s2, v54, v4 src0_sel:BYTE_0 src1_sel:DWORD
	v_mov_b32_e32 v54, 0
	s_and_saveexec_b32 s3, s2
	s_cbranch_execz .LBB278_242
; %bb.235:                              ;   in Loop: Header=BB278_10 Depth=1
	v_cmp_ne_u16_sdwa s2, v3, v19 src0_sel:BYTE_0 src1_sel:DWORD
	v_mov_b32_e32 v54, 0x8000
	s_and_saveexec_b32 s40, s2
	s_cbranch_execz .LBB278_241
; %bb.236:                              ;   in Loop: Header=BB278_10 Depth=1
	v_and_b32_e32 v56, 0x7f, v3
	v_mov_b32_e32 v54, 0x7c01
	s_mov_b32 s41, exec_lo
	v_cmpx_ne_u32_e32 0x7f, v56
	s_cbranch_execz .LBB278_240
; %bb.237:                              ;   in Loop: Header=BB278_10 Depth=1
	v_and_b32_e32 v54, 7, v3
	v_lshrrev_b32_e32 v55, 3, v56
	s_mov_b32 s42, exec_lo
	v_cmpx_gt_u32_e32 8, v56
; %bb.238:                              ;   in Loop: Header=BB278_10 Depth=1
	v_ffbh_u32_e32 v54, v54
	v_min_u32_e32 v56, 32, v54
	v_subrev_nc_u32_e32 v54, 28, v56
	v_lshlrev_b64 v[54:55], v54, v[3:4]
	v_sub_nc_u32_e32 v55, 29, v56
	v_and_b32_e32 v54, 7, v54
; %bb.239:                              ;   in Loop: Header=BB278_10 Depth=1
	s_or_b32 exec_lo, exec_lo, s42
	v_lshlrev_b32_e32 v56, 8, v3
	v_lshl_add_u32 v55, v55, 10, 0x2000
	v_lshlrev_b32_e32 v54, 7, v54
	v_and_b32_e32 v56, 0x8000, v56
	v_and_b32_e32 v55, 0xfc00, v55
	v_or3_b32 v54, v56, v55, v54
.LBB278_240:                            ;   in Loop: Header=BB278_10 Depth=1
	s_or_b32 exec_lo, exec_lo, s41
.LBB278_241:                            ;   in Loop: Header=BB278_10 Depth=1
	s_or_b32 exec_lo, exec_lo, s40
.LBB278_242:                            ;   in Loop: Header=BB278_10 Depth=1
	s_or_b32 exec_lo, exec_lo, s3
	v_lshrrev_b16 v3, 8, v3
	s_mov_b32 s3, exec_lo
	v_cmpx_ne_u16_e32 0, v3
	s_cbranch_execz .LBB278_250
; %bb.243:                              ;   in Loop: Header=BB278_10 Depth=1
	v_bfrev_b32_e32 v53, 1
	s_mov_b32 s40, exec_lo
	v_cmpx_ne_u16_e32 0x80, v3
	s_cbranch_execz .LBB278_249
; %bb.244:                              ;   in Loop: Header=BB278_10 Depth=1
	v_and_b32_sdwa v56, v3, v20 dst_sel:DWORD dst_unused:UNUSED_PAD src0_sel:WORD_0 src1_sel:DWORD
	v_mov_b32_e32 v53, 0x7c010000
	s_mov_b32 s41, exec_lo
	v_cmpx_ne_u32_e32 0x7f, v56
	s_cbranch_execz .LBB278_248
; %bb.245:                              ;   in Loop: Header=BB278_10 Depth=1
	v_and_b32_sdwa v53, v3, v21 dst_sel:DWORD dst_unused:UNUSED_PAD src0_sel:WORD_0 src1_sel:DWORD
	v_lshrrev_b32_e32 v55, 3, v56
	s_mov_b32 s42, exec_lo
	v_cmpx_gt_u32_e32 8, v56
; %bb.246:                              ;   in Loop: Header=BB278_10 Depth=1
	v_ffbh_u32_e32 v53, v53
	v_min_u32_e32 v53, 32, v53
	v_subrev_nc_u32_e32 v55, 28, v53
	v_lshlrev_b64 v[56:57], v55, v[3:4]
	v_sub_nc_u32_e32 v55, 29, v53
	v_and_b32_e32 v53, 7, v56
; %bb.247:                              ;   in Loop: Header=BB278_10 Depth=1
	s_or_b32 exec_lo, exec_lo, s42
	v_lshlrev_b32_sdwa v3, v22, v3 dst_sel:DWORD dst_unused:UNUSED_PAD src0_sel:DWORD src1_sel:WORD_0
	v_lshl_add_u32 v55, v55, 10, 0x2000
	v_lshlrev_b32_e32 v53, 23, v53
	v_and_or_b32 v3, 0x8000, v3, v55
	v_lshl_or_b32 v53, v3, 16, v53
.LBB278_248:                            ;   in Loop: Header=BB278_10 Depth=1
	s_or_b32 exec_lo, exec_lo, s41
.LBB278_249:                            ;   in Loop: Header=BB278_10 Depth=1
	s_or_b32 exec_lo, exec_lo, s40
.LBB278_250:                            ;   in Loop: Header=BB278_10 Depth=1
	s_or_b32 exec_lo, exec_lo, s3
	global_load_ushort v56, v[9:10], off offset:904
	v_mov_b32_e32 v55, 0
	s_waitcnt vmcnt(0)
	v_and_b32_e32 v3, 0xffff, v56
	v_cmp_ne_u16_sdwa s2, v56, v4 src0_sel:BYTE_0 src1_sel:DWORD
	v_mov_b32_e32 v56, 0
	s_and_saveexec_b32 s3, s2
	s_cbranch_execz .LBB278_258
; %bb.251:                              ;   in Loop: Header=BB278_10 Depth=1
	v_cmp_ne_u16_sdwa s2, v3, v19 src0_sel:BYTE_0 src1_sel:DWORD
	v_mov_b32_e32 v56, 0x8000
	s_and_saveexec_b32 s40, s2
	s_cbranch_execz .LBB278_257
; %bb.252:                              ;   in Loop: Header=BB278_10 Depth=1
	v_and_b32_e32 v58, 0x7f, v3
	v_mov_b32_e32 v56, 0x7c01
	s_mov_b32 s41, exec_lo
	v_cmpx_ne_u32_e32 0x7f, v58
	s_cbranch_execz .LBB278_256
; %bb.253:                              ;   in Loop: Header=BB278_10 Depth=1
	v_and_b32_e32 v56, 7, v3
	v_lshrrev_b32_e32 v57, 3, v58
	s_mov_b32 s42, exec_lo
	v_cmpx_gt_u32_e32 8, v58
; %bb.254:                              ;   in Loop: Header=BB278_10 Depth=1
	v_ffbh_u32_e32 v56, v56
	v_min_u32_e32 v58, 32, v56
	v_subrev_nc_u32_e32 v56, 28, v58
	v_lshlrev_b64 v[56:57], v56, v[3:4]
	v_sub_nc_u32_e32 v57, 29, v58
	v_and_b32_e32 v56, 7, v56
; %bb.255:                              ;   in Loop: Header=BB278_10 Depth=1
	s_or_b32 exec_lo, exec_lo, s42
	v_lshlrev_b32_e32 v58, 8, v3
	v_lshl_add_u32 v57, v57, 10, 0x2000
	v_lshlrev_b32_e32 v56, 7, v56
	v_and_b32_e32 v58, 0x8000, v58
	v_and_b32_e32 v57, 0xfc00, v57
	v_or3_b32 v56, v58, v57, v56
.LBB278_256:                            ;   in Loop: Header=BB278_10 Depth=1
	s_or_b32 exec_lo, exec_lo, s41
.LBB278_257:                            ;   in Loop: Header=BB278_10 Depth=1
	s_or_b32 exec_lo, exec_lo, s40
.LBB278_258:                            ;   in Loop: Header=BB278_10 Depth=1
	s_or_b32 exec_lo, exec_lo, s3
	v_lshrrev_b16 v3, 8, v3
	s_mov_b32 s3, exec_lo
	v_cmpx_ne_u16_e32 0, v3
	s_cbranch_execz .LBB278_266
; %bb.259:                              ;   in Loop: Header=BB278_10 Depth=1
	v_bfrev_b32_e32 v55, 1
	s_mov_b32 s40, exec_lo
	v_cmpx_ne_u16_e32 0x80, v3
	s_cbranch_execz .LBB278_265
; %bb.260:                              ;   in Loop: Header=BB278_10 Depth=1
	v_and_b32_sdwa v58, v3, v20 dst_sel:DWORD dst_unused:UNUSED_PAD src0_sel:WORD_0 src1_sel:DWORD
	v_mov_b32_e32 v55, 0x7c010000
	s_mov_b32 s41, exec_lo
	v_cmpx_ne_u32_e32 0x7f, v58
	s_cbranch_execz .LBB278_264
; %bb.261:                              ;   in Loop: Header=BB278_10 Depth=1
	v_and_b32_sdwa v55, v3, v21 dst_sel:DWORD dst_unused:UNUSED_PAD src0_sel:WORD_0 src1_sel:DWORD
	v_lshrrev_b32_e32 v57, 3, v58
	s_mov_b32 s42, exec_lo
	v_cmpx_gt_u32_e32 8, v58
; %bb.262:                              ;   in Loop: Header=BB278_10 Depth=1
	v_ffbh_u32_e32 v55, v55
	v_min_u32_e32 v55, 32, v55
	v_subrev_nc_u32_e32 v57, 28, v55
	v_lshlrev_b64 v[58:59], v57, v[3:4]
	v_sub_nc_u32_e32 v57, 29, v55
	v_and_b32_e32 v55, 7, v58
; %bb.263:                              ;   in Loop: Header=BB278_10 Depth=1
	s_or_b32 exec_lo, exec_lo, s42
	v_lshlrev_b32_sdwa v3, v22, v3 dst_sel:DWORD dst_unused:UNUSED_PAD src0_sel:DWORD src1_sel:WORD_0
	v_lshl_add_u32 v57, v57, 10, 0x2000
	v_lshlrev_b32_e32 v55, 23, v55
	v_and_or_b32 v3, 0x8000, v3, v57
	v_lshl_or_b32 v55, v3, 16, v55
.LBB278_264:                            ;   in Loop: Header=BB278_10 Depth=1
	s_or_b32 exec_lo, exec_lo, s41
.LBB278_265:                            ;   in Loop: Header=BB278_10 Depth=1
	s_or_b32 exec_lo, exec_lo, s40
.LBB278_266:                            ;   in Loop: Header=BB278_10 Depth=1
	s_or_b32 exec_lo, exec_lo, s3
	global_load_ushort v58, v[9:10], off offset:1024
	v_mov_b32_e32 v57, 0
	s_waitcnt vmcnt(0)
	v_and_b32_e32 v3, 0xffff, v58
	v_cmp_ne_u16_sdwa s2, v58, v4 src0_sel:BYTE_0 src1_sel:DWORD
	v_mov_b32_e32 v58, 0
	s_and_saveexec_b32 s3, s2
	s_cbranch_execz .LBB278_274
; %bb.267:                              ;   in Loop: Header=BB278_10 Depth=1
	v_cmp_ne_u16_sdwa s2, v3, v19 src0_sel:BYTE_0 src1_sel:DWORD
	v_mov_b32_e32 v58, 0x8000
	s_and_saveexec_b32 s40, s2
	s_cbranch_execz .LBB278_273
; %bb.268:                              ;   in Loop: Header=BB278_10 Depth=1
	v_and_b32_e32 v60, 0x7f, v3
	v_mov_b32_e32 v58, 0x7c01
	s_mov_b32 s41, exec_lo
	v_cmpx_ne_u32_e32 0x7f, v60
	s_cbranch_execz .LBB278_272
; %bb.269:                              ;   in Loop: Header=BB278_10 Depth=1
	v_and_b32_e32 v58, 7, v3
	v_lshrrev_b32_e32 v59, 3, v60
	s_mov_b32 s42, exec_lo
	v_cmpx_gt_u32_e32 8, v60
; %bb.270:                              ;   in Loop: Header=BB278_10 Depth=1
	v_ffbh_u32_e32 v58, v58
	v_min_u32_e32 v60, 32, v58
	v_subrev_nc_u32_e32 v58, 28, v60
	v_lshlrev_b64 v[58:59], v58, v[3:4]
	v_sub_nc_u32_e32 v59, 29, v60
	v_and_b32_e32 v58, 7, v58
; %bb.271:                              ;   in Loop: Header=BB278_10 Depth=1
	s_or_b32 exec_lo, exec_lo, s42
	v_lshlrev_b32_e32 v60, 8, v3
	v_lshl_add_u32 v59, v59, 10, 0x2000
	v_lshlrev_b32_e32 v58, 7, v58
	v_and_b32_e32 v60, 0x8000, v60
	v_and_b32_e32 v59, 0xfc00, v59
	v_or3_b32 v58, v60, v59, v58
.LBB278_272:                            ;   in Loop: Header=BB278_10 Depth=1
	s_or_b32 exec_lo, exec_lo, s41
.LBB278_273:                            ;   in Loop: Header=BB278_10 Depth=1
	s_or_b32 exec_lo, exec_lo, s40
.LBB278_274:                            ;   in Loop: Header=BB278_10 Depth=1
	s_or_b32 exec_lo, exec_lo, s3
	v_lshrrev_b16 v3, 8, v3
	s_mov_b32 s3, exec_lo
	v_cmpx_ne_u16_e32 0, v3
	s_cbranch_execz .LBB278_282
; %bb.275:                              ;   in Loop: Header=BB278_10 Depth=1
	v_bfrev_b32_e32 v57, 1
	s_mov_b32 s40, exec_lo
	v_cmpx_ne_u16_e32 0x80, v3
	s_cbranch_execz .LBB278_281
; %bb.276:                              ;   in Loop: Header=BB278_10 Depth=1
	v_and_b32_sdwa v60, v3, v20 dst_sel:DWORD dst_unused:UNUSED_PAD src0_sel:WORD_0 src1_sel:DWORD
	v_mov_b32_e32 v57, 0x7c010000
	s_mov_b32 s41, exec_lo
	v_cmpx_ne_u32_e32 0x7f, v60
	s_cbranch_execz .LBB278_280
; %bb.277:                              ;   in Loop: Header=BB278_10 Depth=1
	v_and_b32_sdwa v57, v3, v21 dst_sel:DWORD dst_unused:UNUSED_PAD src0_sel:WORD_0 src1_sel:DWORD
	v_lshrrev_b32_e32 v59, 3, v60
	s_mov_b32 s42, exec_lo
	v_cmpx_gt_u32_e32 8, v60
; %bb.278:                              ;   in Loop: Header=BB278_10 Depth=1
	v_ffbh_u32_e32 v57, v57
	v_min_u32_e32 v57, 32, v57
	v_subrev_nc_u32_e32 v59, 28, v57
	v_lshlrev_b64 v[60:61], v59, v[3:4]
	v_sub_nc_u32_e32 v59, 29, v57
	v_and_b32_e32 v57, 7, v60
; %bb.279:                              ;   in Loop: Header=BB278_10 Depth=1
	s_or_b32 exec_lo, exec_lo, s42
	v_lshlrev_b32_sdwa v3, v22, v3 dst_sel:DWORD dst_unused:UNUSED_PAD src0_sel:DWORD src1_sel:WORD_0
	v_lshl_add_u32 v59, v59, 10, 0x2000
	v_lshlrev_b32_e32 v57, 23, v57
	v_and_or_b32 v3, 0x8000, v3, v59
	v_lshl_or_b32 v57, v3, 16, v57
.LBB278_280:                            ;   in Loop: Header=BB278_10 Depth=1
	s_or_b32 exec_lo, exec_lo, s41
.LBB278_281:                            ;   in Loop: Header=BB278_10 Depth=1
	s_or_b32 exec_lo, exec_lo, s40
.LBB278_282:                            ;   in Loop: Header=BB278_10 Depth=1
	s_or_b32 exec_lo, exec_lo, s3
	global_load_ushort v60, v[9:10], off offset:1032
	v_mov_b32_e32 v59, 0
	s_waitcnt vmcnt(0)
	v_and_b32_e32 v3, 0xffff, v60
	v_cmp_ne_u16_sdwa s2, v60, v4 src0_sel:BYTE_0 src1_sel:DWORD
	v_mov_b32_e32 v60, 0
	s_and_saveexec_b32 s3, s2
	s_cbranch_execz .LBB278_290
; %bb.283:                              ;   in Loop: Header=BB278_10 Depth=1
	v_cmp_ne_u16_sdwa s2, v3, v19 src0_sel:BYTE_0 src1_sel:DWORD
	v_mov_b32_e32 v60, 0x8000
	s_and_saveexec_b32 s40, s2
	s_cbranch_execz .LBB278_289
; %bb.284:                              ;   in Loop: Header=BB278_10 Depth=1
	v_and_b32_e32 v62, 0x7f, v3
	v_mov_b32_e32 v60, 0x7c01
	s_mov_b32 s41, exec_lo
	v_cmpx_ne_u32_e32 0x7f, v62
	s_cbranch_execz .LBB278_288
; %bb.285:                              ;   in Loop: Header=BB278_10 Depth=1
	v_and_b32_e32 v60, 7, v3
	v_lshrrev_b32_e32 v61, 3, v62
	s_mov_b32 s42, exec_lo
	v_cmpx_gt_u32_e32 8, v62
; %bb.286:                              ;   in Loop: Header=BB278_10 Depth=1
	v_ffbh_u32_e32 v60, v60
	v_min_u32_e32 v62, 32, v60
	v_subrev_nc_u32_e32 v60, 28, v62
	v_lshlrev_b64 v[60:61], v60, v[3:4]
	v_sub_nc_u32_e32 v61, 29, v62
	v_and_b32_e32 v60, 7, v60
; %bb.287:                              ;   in Loop: Header=BB278_10 Depth=1
	s_or_b32 exec_lo, exec_lo, s42
	v_lshlrev_b32_e32 v62, 8, v3
	v_lshl_add_u32 v61, v61, 10, 0x2000
	v_lshlrev_b32_e32 v60, 7, v60
	v_and_b32_e32 v62, 0x8000, v62
	v_and_b32_e32 v61, 0xfc00, v61
	v_or3_b32 v60, v62, v61, v60
.LBB278_288:                            ;   in Loop: Header=BB278_10 Depth=1
	s_or_b32 exec_lo, exec_lo, s41
.LBB278_289:                            ;   in Loop: Header=BB278_10 Depth=1
	s_or_b32 exec_lo, exec_lo, s40
.LBB278_290:                            ;   in Loop: Header=BB278_10 Depth=1
	s_or_b32 exec_lo, exec_lo, s3
	v_lshrrev_b16 v3, 8, v3
	s_mov_b32 s3, exec_lo
	v_cmpx_ne_u16_e32 0, v3
	s_cbranch_execz .LBB278_298
; %bb.291:                              ;   in Loop: Header=BB278_10 Depth=1
	v_bfrev_b32_e32 v59, 1
	s_mov_b32 s40, exec_lo
	v_cmpx_ne_u16_e32 0x80, v3
	s_cbranch_execz .LBB278_297
; %bb.292:                              ;   in Loop: Header=BB278_10 Depth=1
	v_and_b32_sdwa v62, v3, v20 dst_sel:DWORD dst_unused:UNUSED_PAD src0_sel:WORD_0 src1_sel:DWORD
	v_mov_b32_e32 v59, 0x7c010000
	s_mov_b32 s41, exec_lo
	v_cmpx_ne_u32_e32 0x7f, v62
	s_cbranch_execz .LBB278_296
; %bb.293:                              ;   in Loop: Header=BB278_10 Depth=1
	v_and_b32_sdwa v59, v3, v21 dst_sel:DWORD dst_unused:UNUSED_PAD src0_sel:WORD_0 src1_sel:DWORD
	v_lshrrev_b32_e32 v61, 3, v62
	s_mov_b32 s42, exec_lo
	v_cmpx_gt_u32_e32 8, v62
; %bb.294:                              ;   in Loop: Header=BB278_10 Depth=1
	v_ffbh_u32_e32 v59, v59
	v_min_u32_e32 v59, 32, v59
	v_subrev_nc_u32_e32 v61, 28, v59
	v_lshlrev_b64 v[62:63], v61, v[3:4]
	v_sub_nc_u32_e32 v61, 29, v59
	v_and_b32_e32 v59, 7, v62
; %bb.295:                              ;   in Loop: Header=BB278_10 Depth=1
	s_or_b32 exec_lo, exec_lo, s42
	v_lshlrev_b32_sdwa v3, v22, v3 dst_sel:DWORD dst_unused:UNUSED_PAD src0_sel:DWORD src1_sel:WORD_0
	v_lshl_add_u32 v61, v61, 10, 0x2000
	v_lshlrev_b32_e32 v59, 23, v59
	v_and_or_b32 v3, 0x8000, v3, v61
	v_lshl_or_b32 v59, v3, 16, v59
.LBB278_296:                            ;   in Loop: Header=BB278_10 Depth=1
	s_or_b32 exec_lo, exec_lo, s41
.LBB278_297:                            ;   in Loop: Header=BB278_10 Depth=1
	s_or_b32 exec_lo, exec_lo, s40
.LBB278_298:                            ;   in Loop: Header=BB278_10 Depth=1
	s_or_b32 exec_lo, exec_lo, s3
	global_load_ushort v62, v[9:10], off offset:1152
	v_mov_b32_e32 v61, 0
	s_waitcnt vmcnt(0)
	v_and_b32_e32 v3, 0xffff, v62
	v_cmp_ne_u16_sdwa s2, v62, v4 src0_sel:BYTE_0 src1_sel:DWORD
	v_mov_b32_e32 v62, 0
	s_and_saveexec_b32 s3, s2
	s_cbranch_execz .LBB278_306
; %bb.299:                              ;   in Loop: Header=BB278_10 Depth=1
	v_cmp_ne_u16_sdwa s2, v3, v19 src0_sel:BYTE_0 src1_sel:DWORD
	v_mov_b32_e32 v62, 0x8000
	s_and_saveexec_b32 s40, s2
	s_cbranch_execz .LBB278_305
; %bb.300:                              ;   in Loop: Header=BB278_10 Depth=1
	v_and_b32_e32 v64, 0x7f, v3
	v_mov_b32_e32 v62, 0x7c01
	s_mov_b32 s41, exec_lo
	v_cmpx_ne_u32_e32 0x7f, v64
	s_cbranch_execz .LBB278_304
; %bb.301:                              ;   in Loop: Header=BB278_10 Depth=1
	v_and_b32_e32 v62, 7, v3
	v_lshrrev_b32_e32 v63, 3, v64
	s_mov_b32 s42, exec_lo
	v_cmpx_gt_u32_e32 8, v64
; %bb.302:                              ;   in Loop: Header=BB278_10 Depth=1
	v_ffbh_u32_e32 v62, v62
	v_min_u32_e32 v64, 32, v62
	v_subrev_nc_u32_e32 v62, 28, v64
	v_lshlrev_b64 v[62:63], v62, v[3:4]
	v_sub_nc_u32_e32 v63, 29, v64
	v_and_b32_e32 v62, 7, v62
; %bb.303:                              ;   in Loop: Header=BB278_10 Depth=1
	s_or_b32 exec_lo, exec_lo, s42
	v_lshlrev_b32_e32 v64, 8, v3
	v_lshl_add_u32 v63, v63, 10, 0x2000
	v_lshlrev_b32_e32 v62, 7, v62
	v_and_b32_e32 v64, 0x8000, v64
	v_and_b32_e32 v63, 0xfc00, v63
	v_or3_b32 v62, v64, v63, v62
.LBB278_304:                            ;   in Loop: Header=BB278_10 Depth=1
	s_or_b32 exec_lo, exec_lo, s41
.LBB278_305:                            ;   in Loop: Header=BB278_10 Depth=1
	s_or_b32 exec_lo, exec_lo, s40
.LBB278_306:                            ;   in Loop: Header=BB278_10 Depth=1
	s_or_b32 exec_lo, exec_lo, s3
	v_lshrrev_b16 v3, 8, v3
	s_mov_b32 s3, exec_lo
	v_cmpx_ne_u16_e32 0, v3
	s_cbranch_execz .LBB278_314
; %bb.307:                              ;   in Loop: Header=BB278_10 Depth=1
	v_bfrev_b32_e32 v61, 1
	s_mov_b32 s40, exec_lo
	v_cmpx_ne_u16_e32 0x80, v3
	s_cbranch_execz .LBB278_313
; %bb.308:                              ;   in Loop: Header=BB278_10 Depth=1
	v_and_b32_sdwa v64, v3, v20 dst_sel:DWORD dst_unused:UNUSED_PAD src0_sel:WORD_0 src1_sel:DWORD
	v_mov_b32_e32 v61, 0x7c010000
	s_mov_b32 s41, exec_lo
	v_cmpx_ne_u32_e32 0x7f, v64
	s_cbranch_execz .LBB278_312
; %bb.309:                              ;   in Loop: Header=BB278_10 Depth=1
	v_and_b32_sdwa v61, v3, v21 dst_sel:DWORD dst_unused:UNUSED_PAD src0_sel:WORD_0 src1_sel:DWORD
	v_lshrrev_b32_e32 v63, 3, v64
	s_mov_b32 s42, exec_lo
	v_cmpx_gt_u32_e32 8, v64
; %bb.310:                              ;   in Loop: Header=BB278_10 Depth=1
	v_ffbh_u32_e32 v61, v61
	v_min_u32_e32 v61, 32, v61
	v_subrev_nc_u32_e32 v63, 28, v61
	v_lshlrev_b64 v[64:65], v63, v[3:4]
	v_sub_nc_u32_e32 v63, 29, v61
	v_and_b32_e32 v61, 7, v64
; %bb.311:                              ;   in Loop: Header=BB278_10 Depth=1
	s_or_b32 exec_lo, exec_lo, s42
	v_lshlrev_b32_sdwa v3, v22, v3 dst_sel:DWORD dst_unused:UNUSED_PAD src0_sel:DWORD src1_sel:WORD_0
	v_lshl_add_u32 v63, v63, 10, 0x2000
	v_lshlrev_b32_e32 v61, 23, v61
	v_and_or_b32 v3, 0x8000, v3, v63
	v_lshl_or_b32 v61, v3, 16, v61
.LBB278_312:                            ;   in Loop: Header=BB278_10 Depth=1
	s_or_b32 exec_lo, exec_lo, s41
.LBB278_313:                            ;   in Loop: Header=BB278_10 Depth=1
	s_or_b32 exec_lo, exec_lo, s40
.LBB278_314:                            ;   in Loop: Header=BB278_10 Depth=1
	s_or_b32 exec_lo, exec_lo, s3
	global_load_ushort v64, v[9:10], off offset:1160
	v_mov_b32_e32 v63, 0
	s_waitcnt vmcnt(0)
	v_and_b32_e32 v3, 0xffff, v64
	v_cmp_ne_u16_sdwa s2, v64, v4 src0_sel:BYTE_0 src1_sel:DWORD
	v_mov_b32_e32 v64, 0
	s_and_saveexec_b32 s3, s2
	s_cbranch_execz .LBB278_322
; %bb.315:                              ;   in Loop: Header=BB278_10 Depth=1
	v_cmp_ne_u16_sdwa s2, v3, v19 src0_sel:BYTE_0 src1_sel:DWORD
	v_mov_b32_e32 v64, 0x8000
	s_and_saveexec_b32 s40, s2
	s_cbranch_execz .LBB278_321
; %bb.316:                              ;   in Loop: Header=BB278_10 Depth=1
	v_and_b32_e32 v66, 0x7f, v3
	v_mov_b32_e32 v64, 0x7c01
	s_mov_b32 s41, exec_lo
	v_cmpx_ne_u32_e32 0x7f, v66
	s_cbranch_execz .LBB278_320
; %bb.317:                              ;   in Loop: Header=BB278_10 Depth=1
	v_and_b32_e32 v64, 7, v3
	v_lshrrev_b32_e32 v65, 3, v66
	s_mov_b32 s42, exec_lo
	v_cmpx_gt_u32_e32 8, v66
; %bb.318:                              ;   in Loop: Header=BB278_10 Depth=1
	v_ffbh_u32_e32 v64, v64
	v_min_u32_e32 v66, 32, v64
	v_subrev_nc_u32_e32 v64, 28, v66
	v_lshlrev_b64 v[64:65], v64, v[3:4]
	v_sub_nc_u32_e32 v65, 29, v66
	v_and_b32_e32 v64, 7, v64
; %bb.319:                              ;   in Loop: Header=BB278_10 Depth=1
	s_or_b32 exec_lo, exec_lo, s42
	v_lshlrev_b32_e32 v66, 8, v3
	v_lshl_add_u32 v65, v65, 10, 0x2000
	v_lshlrev_b32_e32 v64, 7, v64
	v_and_b32_e32 v66, 0x8000, v66
	v_and_b32_e32 v65, 0xfc00, v65
	v_or3_b32 v64, v66, v65, v64
.LBB278_320:                            ;   in Loop: Header=BB278_10 Depth=1
	s_or_b32 exec_lo, exec_lo, s41
.LBB278_321:                            ;   in Loop: Header=BB278_10 Depth=1
	s_or_b32 exec_lo, exec_lo, s40
.LBB278_322:                            ;   in Loop: Header=BB278_10 Depth=1
	s_or_b32 exec_lo, exec_lo, s3
	v_lshrrev_b16 v3, 8, v3
	s_mov_b32 s3, exec_lo
	v_cmpx_ne_u16_e32 0, v3
	s_cbranch_execz .LBB278_330
; %bb.323:                              ;   in Loop: Header=BB278_10 Depth=1
	v_bfrev_b32_e32 v63, 1
	s_mov_b32 s40, exec_lo
	v_cmpx_ne_u16_e32 0x80, v3
	s_cbranch_execz .LBB278_329
; %bb.324:                              ;   in Loop: Header=BB278_10 Depth=1
	v_and_b32_sdwa v66, v3, v20 dst_sel:DWORD dst_unused:UNUSED_PAD src0_sel:WORD_0 src1_sel:DWORD
	v_mov_b32_e32 v63, 0x7c010000
	s_mov_b32 s41, exec_lo
	v_cmpx_ne_u32_e32 0x7f, v66
	s_cbranch_execz .LBB278_328
; %bb.325:                              ;   in Loop: Header=BB278_10 Depth=1
	v_and_b32_sdwa v63, v3, v21 dst_sel:DWORD dst_unused:UNUSED_PAD src0_sel:WORD_0 src1_sel:DWORD
	v_lshrrev_b32_e32 v65, 3, v66
	s_mov_b32 s42, exec_lo
	v_cmpx_gt_u32_e32 8, v66
; %bb.326:                              ;   in Loop: Header=BB278_10 Depth=1
	v_ffbh_u32_e32 v63, v63
	v_min_u32_e32 v63, 32, v63
	v_subrev_nc_u32_e32 v65, 28, v63
	v_lshlrev_b64 v[66:67], v65, v[3:4]
	v_sub_nc_u32_e32 v65, 29, v63
	v_and_b32_e32 v63, 7, v66
; %bb.327:                              ;   in Loop: Header=BB278_10 Depth=1
	s_or_b32 exec_lo, exec_lo, s42
	v_lshlrev_b32_sdwa v3, v22, v3 dst_sel:DWORD dst_unused:UNUSED_PAD src0_sel:DWORD src1_sel:WORD_0
	v_lshl_add_u32 v65, v65, 10, 0x2000
	v_lshlrev_b32_e32 v63, 23, v63
	v_and_or_b32 v3, 0x8000, v3, v65
	v_lshl_or_b32 v63, v3, 16, v63
.LBB278_328:                            ;   in Loop: Header=BB278_10 Depth=1
	s_or_b32 exec_lo, exec_lo, s41
.LBB278_329:                            ;   in Loop: Header=BB278_10 Depth=1
	s_or_b32 exec_lo, exec_lo, s40
.LBB278_330:                            ;   in Loop: Header=BB278_10 Depth=1
	s_or_b32 exec_lo, exec_lo, s3
	global_load_ushort v66, v[9:10], off offset:1280
	v_mov_b32_e32 v65, 0
	s_waitcnt vmcnt(0)
	v_and_b32_e32 v3, 0xffff, v66
	v_cmp_ne_u16_sdwa s2, v66, v4 src0_sel:BYTE_0 src1_sel:DWORD
	v_mov_b32_e32 v66, 0
	s_and_saveexec_b32 s3, s2
	s_cbranch_execz .LBB278_338
; %bb.331:                              ;   in Loop: Header=BB278_10 Depth=1
	v_cmp_ne_u16_sdwa s2, v3, v19 src0_sel:BYTE_0 src1_sel:DWORD
	v_mov_b32_e32 v66, 0x8000
	s_and_saveexec_b32 s40, s2
	s_cbranch_execz .LBB278_337
; %bb.332:                              ;   in Loop: Header=BB278_10 Depth=1
	v_and_b32_e32 v68, 0x7f, v3
	v_mov_b32_e32 v66, 0x7c01
	s_mov_b32 s41, exec_lo
	v_cmpx_ne_u32_e32 0x7f, v68
	s_cbranch_execz .LBB278_336
; %bb.333:                              ;   in Loop: Header=BB278_10 Depth=1
	v_and_b32_e32 v66, 7, v3
	v_lshrrev_b32_e32 v67, 3, v68
	s_mov_b32 s42, exec_lo
	v_cmpx_gt_u32_e32 8, v68
; %bb.334:                              ;   in Loop: Header=BB278_10 Depth=1
	v_ffbh_u32_e32 v66, v66
	v_min_u32_e32 v68, 32, v66
	v_subrev_nc_u32_e32 v66, 28, v68
	v_lshlrev_b64 v[66:67], v66, v[3:4]
	v_sub_nc_u32_e32 v67, 29, v68
	v_and_b32_e32 v66, 7, v66
; %bb.335:                              ;   in Loop: Header=BB278_10 Depth=1
	s_or_b32 exec_lo, exec_lo, s42
	v_lshlrev_b32_e32 v68, 8, v3
	v_lshl_add_u32 v67, v67, 10, 0x2000
	v_lshlrev_b32_e32 v66, 7, v66
	v_and_b32_e32 v68, 0x8000, v68
	v_and_b32_e32 v67, 0xfc00, v67
	v_or3_b32 v66, v68, v67, v66
.LBB278_336:                            ;   in Loop: Header=BB278_10 Depth=1
	s_or_b32 exec_lo, exec_lo, s41
.LBB278_337:                            ;   in Loop: Header=BB278_10 Depth=1
	s_or_b32 exec_lo, exec_lo, s40
.LBB278_338:                            ;   in Loop: Header=BB278_10 Depth=1
	s_or_b32 exec_lo, exec_lo, s3
	v_lshrrev_b16 v3, 8, v3
	s_mov_b32 s3, exec_lo
	v_cmpx_ne_u16_e32 0, v3
	s_cbranch_execz .LBB278_346
; %bb.339:                              ;   in Loop: Header=BB278_10 Depth=1
	v_bfrev_b32_e32 v65, 1
	s_mov_b32 s40, exec_lo
	v_cmpx_ne_u16_e32 0x80, v3
	s_cbranch_execz .LBB278_345
; %bb.340:                              ;   in Loop: Header=BB278_10 Depth=1
	v_and_b32_sdwa v68, v3, v20 dst_sel:DWORD dst_unused:UNUSED_PAD src0_sel:WORD_0 src1_sel:DWORD
	v_mov_b32_e32 v65, 0x7c010000
	s_mov_b32 s41, exec_lo
	v_cmpx_ne_u32_e32 0x7f, v68
	s_cbranch_execz .LBB278_344
; %bb.341:                              ;   in Loop: Header=BB278_10 Depth=1
	v_and_b32_sdwa v65, v3, v21 dst_sel:DWORD dst_unused:UNUSED_PAD src0_sel:WORD_0 src1_sel:DWORD
	v_lshrrev_b32_e32 v67, 3, v68
	s_mov_b32 s42, exec_lo
	v_cmpx_gt_u32_e32 8, v68
; %bb.342:                              ;   in Loop: Header=BB278_10 Depth=1
	v_ffbh_u32_e32 v65, v65
	v_min_u32_e32 v65, 32, v65
	v_subrev_nc_u32_e32 v67, 28, v65
	v_lshlrev_b64 v[68:69], v67, v[3:4]
	v_sub_nc_u32_e32 v67, 29, v65
	v_and_b32_e32 v65, 7, v68
; %bb.343:                              ;   in Loop: Header=BB278_10 Depth=1
	s_or_b32 exec_lo, exec_lo, s42
	v_lshlrev_b32_sdwa v3, v22, v3 dst_sel:DWORD dst_unused:UNUSED_PAD src0_sel:DWORD src1_sel:WORD_0
	v_lshl_add_u32 v67, v67, 10, 0x2000
	v_lshlrev_b32_e32 v65, 23, v65
	v_and_or_b32 v3, 0x8000, v3, v67
	v_lshl_or_b32 v65, v3, 16, v65
.LBB278_344:                            ;   in Loop: Header=BB278_10 Depth=1
	s_or_b32 exec_lo, exec_lo, s41
.LBB278_345:                            ;   in Loop: Header=BB278_10 Depth=1
	s_or_b32 exec_lo, exec_lo, s40
.LBB278_346:                            ;   in Loop: Header=BB278_10 Depth=1
	s_or_b32 exec_lo, exec_lo, s3
	global_load_ushort v68, v[9:10], off offset:1288
	v_mov_b32_e32 v67, 0
	s_waitcnt vmcnt(0)
	v_and_b32_e32 v3, 0xffff, v68
	v_cmp_ne_u16_sdwa s2, v68, v4 src0_sel:BYTE_0 src1_sel:DWORD
	v_mov_b32_e32 v68, 0
	s_and_saveexec_b32 s3, s2
	s_cbranch_execz .LBB278_354
; %bb.347:                              ;   in Loop: Header=BB278_10 Depth=1
	v_cmp_ne_u16_sdwa s2, v3, v19 src0_sel:BYTE_0 src1_sel:DWORD
	v_mov_b32_e32 v68, 0x8000
	s_and_saveexec_b32 s40, s2
	s_cbranch_execz .LBB278_353
; %bb.348:                              ;   in Loop: Header=BB278_10 Depth=1
	v_and_b32_e32 v70, 0x7f, v3
	v_mov_b32_e32 v68, 0x7c01
	s_mov_b32 s41, exec_lo
	v_cmpx_ne_u32_e32 0x7f, v70
	s_cbranch_execz .LBB278_352
; %bb.349:                              ;   in Loop: Header=BB278_10 Depth=1
	v_and_b32_e32 v68, 7, v3
	v_lshrrev_b32_e32 v69, 3, v70
	s_mov_b32 s42, exec_lo
	v_cmpx_gt_u32_e32 8, v70
; %bb.350:                              ;   in Loop: Header=BB278_10 Depth=1
	v_ffbh_u32_e32 v68, v68
	v_min_u32_e32 v70, 32, v68
	v_subrev_nc_u32_e32 v68, 28, v70
	v_lshlrev_b64 v[68:69], v68, v[3:4]
	v_sub_nc_u32_e32 v69, 29, v70
	v_and_b32_e32 v68, 7, v68
; %bb.351:                              ;   in Loop: Header=BB278_10 Depth=1
	s_or_b32 exec_lo, exec_lo, s42
	v_lshlrev_b32_e32 v70, 8, v3
	v_lshl_add_u32 v69, v69, 10, 0x2000
	v_lshlrev_b32_e32 v68, 7, v68
	v_and_b32_e32 v70, 0x8000, v70
	v_and_b32_e32 v69, 0xfc00, v69
	v_or3_b32 v68, v70, v69, v68
.LBB278_352:                            ;   in Loop: Header=BB278_10 Depth=1
	s_or_b32 exec_lo, exec_lo, s41
.LBB278_353:                            ;   in Loop: Header=BB278_10 Depth=1
	s_or_b32 exec_lo, exec_lo, s40
.LBB278_354:                            ;   in Loop: Header=BB278_10 Depth=1
	s_or_b32 exec_lo, exec_lo, s3
	v_lshrrev_b16 v3, 8, v3
	s_mov_b32 s3, exec_lo
	v_cmpx_ne_u16_e32 0, v3
	s_cbranch_execz .LBB278_362
; %bb.355:                              ;   in Loop: Header=BB278_10 Depth=1
	v_bfrev_b32_e32 v67, 1
	s_mov_b32 s40, exec_lo
	v_cmpx_ne_u16_e32 0x80, v3
	s_cbranch_execz .LBB278_361
; %bb.356:                              ;   in Loop: Header=BB278_10 Depth=1
	v_and_b32_sdwa v70, v3, v20 dst_sel:DWORD dst_unused:UNUSED_PAD src0_sel:WORD_0 src1_sel:DWORD
	v_mov_b32_e32 v67, 0x7c010000
	s_mov_b32 s41, exec_lo
	v_cmpx_ne_u32_e32 0x7f, v70
	s_cbranch_execz .LBB278_360
; %bb.357:                              ;   in Loop: Header=BB278_10 Depth=1
	v_and_b32_sdwa v67, v3, v21 dst_sel:DWORD dst_unused:UNUSED_PAD src0_sel:WORD_0 src1_sel:DWORD
	v_lshrrev_b32_e32 v69, 3, v70
	s_mov_b32 s42, exec_lo
	v_cmpx_gt_u32_e32 8, v70
; %bb.358:                              ;   in Loop: Header=BB278_10 Depth=1
	v_ffbh_u32_e32 v67, v67
	v_min_u32_e32 v67, 32, v67
	v_subrev_nc_u32_e32 v69, 28, v67
	v_lshlrev_b64 v[70:71], v69, v[3:4]
	v_sub_nc_u32_e32 v69, 29, v67
	v_and_b32_e32 v67, 7, v70
; %bb.359:                              ;   in Loop: Header=BB278_10 Depth=1
	s_or_b32 exec_lo, exec_lo, s42
	v_lshlrev_b32_sdwa v3, v22, v3 dst_sel:DWORD dst_unused:UNUSED_PAD src0_sel:DWORD src1_sel:WORD_0
	v_lshl_add_u32 v69, v69, 10, 0x2000
	v_lshlrev_b32_e32 v67, 23, v67
	v_and_or_b32 v3, 0x8000, v3, v69
	v_lshl_or_b32 v67, v3, 16, v67
.LBB278_360:                            ;   in Loop: Header=BB278_10 Depth=1
	s_or_b32 exec_lo, exec_lo, s41
.LBB278_361:                            ;   in Loop: Header=BB278_10 Depth=1
	s_or_b32 exec_lo, exec_lo, s40
.LBB278_362:                            ;   in Loop: Header=BB278_10 Depth=1
	s_or_b32 exec_lo, exec_lo, s3
	global_load_ushort v70, v[9:10], off offset:1408
	v_mov_b32_e32 v69, 0
	s_waitcnt vmcnt(0)
	v_and_b32_e32 v3, 0xffff, v70
	v_cmp_ne_u16_sdwa s2, v70, v4 src0_sel:BYTE_0 src1_sel:DWORD
	v_mov_b32_e32 v70, 0
	s_and_saveexec_b32 s3, s2
	s_cbranch_execz .LBB278_370
; %bb.363:                              ;   in Loop: Header=BB278_10 Depth=1
	v_cmp_ne_u16_sdwa s2, v3, v19 src0_sel:BYTE_0 src1_sel:DWORD
	v_mov_b32_e32 v70, 0x8000
	s_and_saveexec_b32 s40, s2
	s_cbranch_execz .LBB278_369
; %bb.364:                              ;   in Loop: Header=BB278_10 Depth=1
	v_and_b32_e32 v72, 0x7f, v3
	v_mov_b32_e32 v70, 0x7c01
	s_mov_b32 s41, exec_lo
	v_cmpx_ne_u32_e32 0x7f, v72
	s_cbranch_execz .LBB278_368
; %bb.365:                              ;   in Loop: Header=BB278_10 Depth=1
	v_and_b32_e32 v70, 7, v3
	v_lshrrev_b32_e32 v71, 3, v72
	s_mov_b32 s42, exec_lo
	v_cmpx_gt_u32_e32 8, v72
; %bb.366:                              ;   in Loop: Header=BB278_10 Depth=1
	v_ffbh_u32_e32 v70, v70
	v_min_u32_e32 v72, 32, v70
	v_subrev_nc_u32_e32 v70, 28, v72
	v_lshlrev_b64 v[70:71], v70, v[3:4]
	v_sub_nc_u32_e32 v71, 29, v72
	v_and_b32_e32 v70, 7, v70
; %bb.367:                              ;   in Loop: Header=BB278_10 Depth=1
	s_or_b32 exec_lo, exec_lo, s42
	v_lshlrev_b32_e32 v72, 8, v3
	v_lshl_add_u32 v71, v71, 10, 0x2000
	v_lshlrev_b32_e32 v70, 7, v70
	v_and_b32_e32 v72, 0x8000, v72
	v_and_b32_e32 v71, 0xfc00, v71
	v_or3_b32 v70, v72, v71, v70
.LBB278_368:                            ;   in Loop: Header=BB278_10 Depth=1
	s_or_b32 exec_lo, exec_lo, s41
.LBB278_369:                            ;   in Loop: Header=BB278_10 Depth=1
	s_or_b32 exec_lo, exec_lo, s40
.LBB278_370:                            ;   in Loop: Header=BB278_10 Depth=1
	s_or_b32 exec_lo, exec_lo, s3
	v_lshrrev_b16 v3, 8, v3
	s_mov_b32 s3, exec_lo
	v_cmpx_ne_u16_e32 0, v3
	s_cbranch_execz .LBB278_378
; %bb.371:                              ;   in Loop: Header=BB278_10 Depth=1
	v_bfrev_b32_e32 v69, 1
	s_mov_b32 s40, exec_lo
	v_cmpx_ne_u16_e32 0x80, v3
	s_cbranch_execz .LBB278_377
; %bb.372:                              ;   in Loop: Header=BB278_10 Depth=1
	v_and_b32_sdwa v72, v3, v20 dst_sel:DWORD dst_unused:UNUSED_PAD src0_sel:WORD_0 src1_sel:DWORD
	v_mov_b32_e32 v69, 0x7c010000
	s_mov_b32 s41, exec_lo
	v_cmpx_ne_u32_e32 0x7f, v72
	s_cbranch_execz .LBB278_376
; %bb.373:                              ;   in Loop: Header=BB278_10 Depth=1
	v_and_b32_sdwa v69, v3, v21 dst_sel:DWORD dst_unused:UNUSED_PAD src0_sel:WORD_0 src1_sel:DWORD
	v_lshrrev_b32_e32 v71, 3, v72
	s_mov_b32 s42, exec_lo
	v_cmpx_gt_u32_e32 8, v72
; %bb.374:                              ;   in Loop: Header=BB278_10 Depth=1
	v_ffbh_u32_e32 v69, v69
	v_min_u32_e32 v69, 32, v69
	v_subrev_nc_u32_e32 v71, 28, v69
	v_lshlrev_b64 v[72:73], v71, v[3:4]
	v_sub_nc_u32_e32 v71, 29, v69
	v_and_b32_e32 v69, 7, v72
; %bb.375:                              ;   in Loop: Header=BB278_10 Depth=1
	s_or_b32 exec_lo, exec_lo, s42
	v_lshlrev_b32_sdwa v3, v22, v3 dst_sel:DWORD dst_unused:UNUSED_PAD src0_sel:DWORD src1_sel:WORD_0
	v_lshl_add_u32 v71, v71, 10, 0x2000
	v_lshlrev_b32_e32 v69, 23, v69
	v_and_or_b32 v3, 0x8000, v3, v71
	v_lshl_or_b32 v69, v3, 16, v69
.LBB278_376:                            ;   in Loop: Header=BB278_10 Depth=1
	s_or_b32 exec_lo, exec_lo, s41
.LBB278_377:                            ;   in Loop: Header=BB278_10 Depth=1
	s_or_b32 exec_lo, exec_lo, s40
.LBB278_378:                            ;   in Loop: Header=BB278_10 Depth=1
	s_or_b32 exec_lo, exec_lo, s3
	global_load_ushort v72, v[9:10], off offset:1416
	v_mov_b32_e32 v71, 0
	s_waitcnt vmcnt(0)
	v_and_b32_e32 v3, 0xffff, v72
	v_cmp_ne_u16_sdwa s2, v72, v4 src0_sel:BYTE_0 src1_sel:DWORD
	v_mov_b32_e32 v72, 0
	s_and_saveexec_b32 s3, s2
	s_cbranch_execz .LBB278_386
; %bb.379:                              ;   in Loop: Header=BB278_10 Depth=1
	v_cmp_ne_u16_sdwa s2, v3, v19 src0_sel:BYTE_0 src1_sel:DWORD
	v_mov_b32_e32 v72, 0x8000
	s_and_saveexec_b32 s40, s2
	s_cbranch_execz .LBB278_385
; %bb.380:                              ;   in Loop: Header=BB278_10 Depth=1
	v_and_b32_e32 v74, 0x7f, v3
	v_mov_b32_e32 v72, 0x7c01
	s_mov_b32 s41, exec_lo
	v_cmpx_ne_u32_e32 0x7f, v74
	s_cbranch_execz .LBB278_384
; %bb.381:                              ;   in Loop: Header=BB278_10 Depth=1
	v_and_b32_e32 v72, 7, v3
	v_lshrrev_b32_e32 v73, 3, v74
	s_mov_b32 s42, exec_lo
	v_cmpx_gt_u32_e32 8, v74
; %bb.382:                              ;   in Loop: Header=BB278_10 Depth=1
	v_ffbh_u32_e32 v72, v72
	v_min_u32_e32 v74, 32, v72
	v_subrev_nc_u32_e32 v72, 28, v74
	v_lshlrev_b64 v[72:73], v72, v[3:4]
	v_sub_nc_u32_e32 v73, 29, v74
	v_and_b32_e32 v72, 7, v72
; %bb.383:                              ;   in Loop: Header=BB278_10 Depth=1
	s_or_b32 exec_lo, exec_lo, s42
	v_lshlrev_b32_e32 v74, 8, v3
	v_lshl_add_u32 v73, v73, 10, 0x2000
	v_lshlrev_b32_e32 v72, 7, v72
	v_and_b32_e32 v74, 0x8000, v74
	v_and_b32_e32 v73, 0xfc00, v73
	v_or3_b32 v72, v74, v73, v72
.LBB278_384:                            ;   in Loop: Header=BB278_10 Depth=1
	s_or_b32 exec_lo, exec_lo, s41
.LBB278_385:                            ;   in Loop: Header=BB278_10 Depth=1
	s_or_b32 exec_lo, exec_lo, s40
.LBB278_386:                            ;   in Loop: Header=BB278_10 Depth=1
	s_or_b32 exec_lo, exec_lo, s3
	v_lshrrev_b16 v3, 8, v3
	s_mov_b32 s3, exec_lo
	v_cmpx_ne_u16_e32 0, v3
	s_cbranch_execz .LBB278_394
; %bb.387:                              ;   in Loop: Header=BB278_10 Depth=1
	v_bfrev_b32_e32 v71, 1
	s_mov_b32 s40, exec_lo
	v_cmpx_ne_u16_e32 0x80, v3
	s_cbranch_execz .LBB278_393
; %bb.388:                              ;   in Loop: Header=BB278_10 Depth=1
	v_and_b32_sdwa v74, v3, v20 dst_sel:DWORD dst_unused:UNUSED_PAD src0_sel:WORD_0 src1_sel:DWORD
	v_mov_b32_e32 v71, 0x7c010000
	s_mov_b32 s41, exec_lo
	v_cmpx_ne_u32_e32 0x7f, v74
	s_cbranch_execz .LBB278_392
; %bb.389:                              ;   in Loop: Header=BB278_10 Depth=1
	v_and_b32_sdwa v71, v3, v21 dst_sel:DWORD dst_unused:UNUSED_PAD src0_sel:WORD_0 src1_sel:DWORD
	v_lshrrev_b32_e32 v73, 3, v74
	s_mov_b32 s42, exec_lo
	v_cmpx_gt_u32_e32 8, v74
; %bb.390:                              ;   in Loop: Header=BB278_10 Depth=1
	v_ffbh_u32_e32 v71, v71
	v_min_u32_e32 v71, 32, v71
	v_subrev_nc_u32_e32 v73, 28, v71
	v_lshlrev_b64 v[74:75], v73, v[3:4]
	v_sub_nc_u32_e32 v73, 29, v71
	v_and_b32_e32 v71, 7, v74
; %bb.391:                              ;   in Loop: Header=BB278_10 Depth=1
	s_or_b32 exec_lo, exec_lo, s42
	v_lshlrev_b32_sdwa v3, v22, v3 dst_sel:DWORD dst_unused:UNUSED_PAD src0_sel:DWORD src1_sel:WORD_0
	v_lshl_add_u32 v73, v73, 10, 0x2000
	v_lshlrev_b32_e32 v71, 23, v71
	v_and_or_b32 v3, 0x8000, v3, v73
	v_lshl_or_b32 v71, v3, 16, v71
.LBB278_392:                            ;   in Loop: Header=BB278_10 Depth=1
	s_or_b32 exec_lo, exec_lo, s41
.LBB278_393:                            ;   in Loop: Header=BB278_10 Depth=1
	s_or_b32 exec_lo, exec_lo, s40
.LBB278_394:                            ;   in Loop: Header=BB278_10 Depth=1
	s_or_b32 exec_lo, exec_lo, s3
	global_load_ushort v74, v[9:10], off offset:1536
	v_mov_b32_e32 v73, 0
	s_waitcnt vmcnt(0)
	v_and_b32_e32 v3, 0xffff, v74
	v_cmp_ne_u16_sdwa s2, v74, v4 src0_sel:BYTE_0 src1_sel:DWORD
	v_mov_b32_e32 v74, 0
	s_and_saveexec_b32 s3, s2
	s_cbranch_execz .LBB278_402
; %bb.395:                              ;   in Loop: Header=BB278_10 Depth=1
	v_cmp_ne_u16_sdwa s2, v3, v19 src0_sel:BYTE_0 src1_sel:DWORD
	v_mov_b32_e32 v74, 0x8000
	s_and_saveexec_b32 s40, s2
	s_cbranch_execz .LBB278_401
; %bb.396:                              ;   in Loop: Header=BB278_10 Depth=1
	v_and_b32_e32 v76, 0x7f, v3
	v_mov_b32_e32 v74, 0x7c01
	s_mov_b32 s41, exec_lo
	v_cmpx_ne_u32_e32 0x7f, v76
	s_cbranch_execz .LBB278_400
; %bb.397:                              ;   in Loop: Header=BB278_10 Depth=1
	v_and_b32_e32 v74, 7, v3
	v_lshrrev_b32_e32 v75, 3, v76
	s_mov_b32 s42, exec_lo
	v_cmpx_gt_u32_e32 8, v76
; %bb.398:                              ;   in Loop: Header=BB278_10 Depth=1
	v_ffbh_u32_e32 v74, v74
	v_min_u32_e32 v76, 32, v74
	v_subrev_nc_u32_e32 v74, 28, v76
	v_lshlrev_b64 v[74:75], v74, v[3:4]
	v_sub_nc_u32_e32 v75, 29, v76
	v_and_b32_e32 v74, 7, v74
; %bb.399:                              ;   in Loop: Header=BB278_10 Depth=1
	s_or_b32 exec_lo, exec_lo, s42
	v_lshlrev_b32_e32 v76, 8, v3
	v_lshl_add_u32 v75, v75, 10, 0x2000
	v_lshlrev_b32_e32 v74, 7, v74
	v_and_b32_e32 v76, 0x8000, v76
	v_and_b32_e32 v75, 0xfc00, v75
	v_or3_b32 v74, v76, v75, v74
.LBB278_400:                            ;   in Loop: Header=BB278_10 Depth=1
	s_or_b32 exec_lo, exec_lo, s41
.LBB278_401:                            ;   in Loop: Header=BB278_10 Depth=1
	s_or_b32 exec_lo, exec_lo, s40
.LBB278_402:                            ;   in Loop: Header=BB278_10 Depth=1
	s_or_b32 exec_lo, exec_lo, s3
	v_lshrrev_b16 v3, 8, v3
	s_mov_b32 s3, exec_lo
	v_cmpx_ne_u16_e32 0, v3
	s_cbranch_execz .LBB278_410
; %bb.403:                              ;   in Loop: Header=BB278_10 Depth=1
	v_bfrev_b32_e32 v73, 1
	s_mov_b32 s40, exec_lo
	v_cmpx_ne_u16_e32 0x80, v3
	s_cbranch_execz .LBB278_409
; %bb.404:                              ;   in Loop: Header=BB278_10 Depth=1
	v_and_b32_sdwa v76, v3, v20 dst_sel:DWORD dst_unused:UNUSED_PAD src0_sel:WORD_0 src1_sel:DWORD
	v_mov_b32_e32 v73, 0x7c010000
	s_mov_b32 s41, exec_lo
	v_cmpx_ne_u32_e32 0x7f, v76
	s_cbranch_execz .LBB278_408
; %bb.405:                              ;   in Loop: Header=BB278_10 Depth=1
	v_and_b32_sdwa v73, v3, v21 dst_sel:DWORD dst_unused:UNUSED_PAD src0_sel:WORD_0 src1_sel:DWORD
	v_lshrrev_b32_e32 v75, 3, v76
	s_mov_b32 s42, exec_lo
	v_cmpx_gt_u32_e32 8, v76
; %bb.406:                              ;   in Loop: Header=BB278_10 Depth=1
	v_ffbh_u32_e32 v73, v73
	v_min_u32_e32 v73, 32, v73
	v_subrev_nc_u32_e32 v75, 28, v73
	v_lshlrev_b64 v[76:77], v75, v[3:4]
	v_sub_nc_u32_e32 v75, 29, v73
	v_and_b32_e32 v73, 7, v76
; %bb.407:                              ;   in Loop: Header=BB278_10 Depth=1
	s_or_b32 exec_lo, exec_lo, s42
	v_lshlrev_b32_sdwa v3, v22, v3 dst_sel:DWORD dst_unused:UNUSED_PAD src0_sel:DWORD src1_sel:WORD_0
	v_lshl_add_u32 v75, v75, 10, 0x2000
	v_lshlrev_b32_e32 v73, 23, v73
	v_and_or_b32 v3, 0x8000, v3, v75
	v_lshl_or_b32 v73, v3, 16, v73
.LBB278_408:                            ;   in Loop: Header=BB278_10 Depth=1
	s_or_b32 exec_lo, exec_lo, s41
.LBB278_409:                            ;   in Loop: Header=BB278_10 Depth=1
	s_or_b32 exec_lo, exec_lo, s40
.LBB278_410:                            ;   in Loop: Header=BB278_10 Depth=1
	s_or_b32 exec_lo, exec_lo, s3
	global_load_ushort v76, v[9:10], off offset:1544
	v_mov_b32_e32 v75, 0
	s_waitcnt vmcnt(0)
	v_and_b32_e32 v3, 0xffff, v76
	v_cmp_ne_u16_sdwa s2, v76, v4 src0_sel:BYTE_0 src1_sel:DWORD
	v_mov_b32_e32 v76, 0
	s_and_saveexec_b32 s3, s2
	s_cbranch_execz .LBB278_418
; %bb.411:                              ;   in Loop: Header=BB278_10 Depth=1
	v_cmp_ne_u16_sdwa s2, v3, v19 src0_sel:BYTE_0 src1_sel:DWORD
	v_mov_b32_e32 v76, 0x8000
	s_and_saveexec_b32 s40, s2
	s_cbranch_execz .LBB278_417
; %bb.412:                              ;   in Loop: Header=BB278_10 Depth=1
	v_and_b32_e32 v78, 0x7f, v3
	v_mov_b32_e32 v76, 0x7c01
	s_mov_b32 s41, exec_lo
	v_cmpx_ne_u32_e32 0x7f, v78
	s_cbranch_execz .LBB278_416
; %bb.413:                              ;   in Loop: Header=BB278_10 Depth=1
	v_and_b32_e32 v76, 7, v3
	v_lshrrev_b32_e32 v77, 3, v78
	s_mov_b32 s42, exec_lo
	v_cmpx_gt_u32_e32 8, v78
; %bb.414:                              ;   in Loop: Header=BB278_10 Depth=1
	v_ffbh_u32_e32 v76, v76
	v_min_u32_e32 v78, 32, v76
	v_subrev_nc_u32_e32 v76, 28, v78
	v_lshlrev_b64 v[76:77], v76, v[3:4]
	v_sub_nc_u32_e32 v77, 29, v78
	v_and_b32_e32 v76, 7, v76
; %bb.415:                              ;   in Loop: Header=BB278_10 Depth=1
	s_or_b32 exec_lo, exec_lo, s42
	v_lshlrev_b32_e32 v78, 8, v3
	v_lshl_add_u32 v77, v77, 10, 0x2000
	v_lshlrev_b32_e32 v76, 7, v76
	v_and_b32_e32 v78, 0x8000, v78
	v_and_b32_e32 v77, 0xfc00, v77
	v_or3_b32 v76, v78, v77, v76
.LBB278_416:                            ;   in Loop: Header=BB278_10 Depth=1
	s_or_b32 exec_lo, exec_lo, s41
.LBB278_417:                            ;   in Loop: Header=BB278_10 Depth=1
	s_or_b32 exec_lo, exec_lo, s40
.LBB278_418:                            ;   in Loop: Header=BB278_10 Depth=1
	s_or_b32 exec_lo, exec_lo, s3
	v_lshrrev_b16 v3, 8, v3
	s_mov_b32 s3, exec_lo
	v_cmpx_ne_u16_e32 0, v3
	s_cbranch_execz .LBB278_426
; %bb.419:                              ;   in Loop: Header=BB278_10 Depth=1
	v_bfrev_b32_e32 v75, 1
	s_mov_b32 s40, exec_lo
	v_cmpx_ne_u16_e32 0x80, v3
	s_cbranch_execz .LBB278_425
; %bb.420:                              ;   in Loop: Header=BB278_10 Depth=1
	v_and_b32_sdwa v78, v3, v20 dst_sel:DWORD dst_unused:UNUSED_PAD src0_sel:WORD_0 src1_sel:DWORD
	v_mov_b32_e32 v75, 0x7c010000
	s_mov_b32 s41, exec_lo
	v_cmpx_ne_u32_e32 0x7f, v78
	s_cbranch_execz .LBB278_424
; %bb.421:                              ;   in Loop: Header=BB278_10 Depth=1
	v_and_b32_sdwa v75, v3, v21 dst_sel:DWORD dst_unused:UNUSED_PAD src0_sel:WORD_0 src1_sel:DWORD
	v_lshrrev_b32_e32 v77, 3, v78
	s_mov_b32 s42, exec_lo
	v_cmpx_gt_u32_e32 8, v78
; %bb.422:                              ;   in Loop: Header=BB278_10 Depth=1
	v_ffbh_u32_e32 v75, v75
	v_min_u32_e32 v75, 32, v75
	v_subrev_nc_u32_e32 v77, 28, v75
	v_lshlrev_b64 v[78:79], v77, v[3:4]
	v_sub_nc_u32_e32 v77, 29, v75
	v_and_b32_e32 v75, 7, v78
; %bb.423:                              ;   in Loop: Header=BB278_10 Depth=1
	s_or_b32 exec_lo, exec_lo, s42
	v_lshlrev_b32_sdwa v3, v22, v3 dst_sel:DWORD dst_unused:UNUSED_PAD src0_sel:DWORD src1_sel:WORD_0
	v_lshl_add_u32 v77, v77, 10, 0x2000
	v_lshlrev_b32_e32 v75, 23, v75
	v_and_or_b32 v3, 0x8000, v3, v77
	v_lshl_or_b32 v75, v3, 16, v75
.LBB278_424:                            ;   in Loop: Header=BB278_10 Depth=1
	s_or_b32 exec_lo, exec_lo, s41
.LBB278_425:                            ;   in Loop: Header=BB278_10 Depth=1
	s_or_b32 exec_lo, exec_lo, s40
.LBB278_426:                            ;   in Loop: Header=BB278_10 Depth=1
	s_or_b32 exec_lo, exec_lo, s3
	global_load_ushort v78, v[9:10], off offset:1664
	v_mov_b32_e32 v77, 0
	s_waitcnt vmcnt(0)
	v_and_b32_e32 v3, 0xffff, v78
	v_cmp_ne_u16_sdwa s2, v78, v4 src0_sel:BYTE_0 src1_sel:DWORD
	v_mov_b32_e32 v78, 0
	s_and_saveexec_b32 s3, s2
	s_cbranch_execz .LBB278_434
; %bb.427:                              ;   in Loop: Header=BB278_10 Depth=1
	v_cmp_ne_u16_sdwa s2, v3, v19 src0_sel:BYTE_0 src1_sel:DWORD
	v_mov_b32_e32 v78, 0x8000
	s_and_saveexec_b32 s40, s2
	s_cbranch_execz .LBB278_433
; %bb.428:                              ;   in Loop: Header=BB278_10 Depth=1
	v_and_b32_e32 v80, 0x7f, v3
	v_mov_b32_e32 v78, 0x7c01
	s_mov_b32 s41, exec_lo
	v_cmpx_ne_u32_e32 0x7f, v80
	s_cbranch_execz .LBB278_432
; %bb.429:                              ;   in Loop: Header=BB278_10 Depth=1
	v_and_b32_e32 v78, 7, v3
	v_lshrrev_b32_e32 v79, 3, v80
	s_mov_b32 s42, exec_lo
	v_cmpx_gt_u32_e32 8, v80
; %bb.430:                              ;   in Loop: Header=BB278_10 Depth=1
	v_ffbh_u32_e32 v78, v78
	v_min_u32_e32 v80, 32, v78
	v_subrev_nc_u32_e32 v78, 28, v80
	v_lshlrev_b64 v[78:79], v78, v[3:4]
	v_sub_nc_u32_e32 v79, 29, v80
	v_and_b32_e32 v78, 7, v78
; %bb.431:                              ;   in Loop: Header=BB278_10 Depth=1
	s_or_b32 exec_lo, exec_lo, s42
	v_lshlrev_b32_e32 v80, 8, v3
	v_lshl_add_u32 v79, v79, 10, 0x2000
	v_lshlrev_b32_e32 v78, 7, v78
	v_and_b32_e32 v80, 0x8000, v80
	v_and_b32_e32 v79, 0xfc00, v79
	v_or3_b32 v78, v80, v79, v78
.LBB278_432:                            ;   in Loop: Header=BB278_10 Depth=1
	s_or_b32 exec_lo, exec_lo, s41
.LBB278_433:                            ;   in Loop: Header=BB278_10 Depth=1
	s_or_b32 exec_lo, exec_lo, s40
.LBB278_434:                            ;   in Loop: Header=BB278_10 Depth=1
	s_or_b32 exec_lo, exec_lo, s3
	v_lshrrev_b16 v3, 8, v3
	s_mov_b32 s3, exec_lo
	v_cmpx_ne_u16_e32 0, v3
	s_cbranch_execz .LBB278_442
; %bb.435:                              ;   in Loop: Header=BB278_10 Depth=1
	v_bfrev_b32_e32 v77, 1
	s_mov_b32 s40, exec_lo
	v_cmpx_ne_u16_e32 0x80, v3
	s_cbranch_execz .LBB278_441
; %bb.436:                              ;   in Loop: Header=BB278_10 Depth=1
	v_and_b32_sdwa v80, v3, v20 dst_sel:DWORD dst_unused:UNUSED_PAD src0_sel:WORD_0 src1_sel:DWORD
	v_mov_b32_e32 v77, 0x7c010000
	s_mov_b32 s41, exec_lo
	v_cmpx_ne_u32_e32 0x7f, v80
	s_cbranch_execz .LBB278_440
; %bb.437:                              ;   in Loop: Header=BB278_10 Depth=1
	v_and_b32_sdwa v77, v3, v21 dst_sel:DWORD dst_unused:UNUSED_PAD src0_sel:WORD_0 src1_sel:DWORD
	v_lshrrev_b32_e32 v79, 3, v80
	s_mov_b32 s42, exec_lo
	v_cmpx_gt_u32_e32 8, v80
; %bb.438:                              ;   in Loop: Header=BB278_10 Depth=1
	v_ffbh_u32_e32 v77, v77
	v_min_u32_e32 v77, 32, v77
	v_subrev_nc_u32_e32 v79, 28, v77
	v_lshlrev_b64 v[80:81], v79, v[3:4]
	v_sub_nc_u32_e32 v79, 29, v77
	v_and_b32_e32 v77, 7, v80
; %bb.439:                              ;   in Loop: Header=BB278_10 Depth=1
	s_or_b32 exec_lo, exec_lo, s42
	v_lshlrev_b32_sdwa v3, v22, v3 dst_sel:DWORD dst_unused:UNUSED_PAD src0_sel:DWORD src1_sel:WORD_0
	v_lshl_add_u32 v79, v79, 10, 0x2000
	v_lshlrev_b32_e32 v77, 23, v77
	v_and_or_b32 v3, 0x8000, v3, v79
	v_lshl_or_b32 v77, v3, 16, v77
.LBB278_440:                            ;   in Loop: Header=BB278_10 Depth=1
	s_or_b32 exec_lo, exec_lo, s41
.LBB278_441:                            ;   in Loop: Header=BB278_10 Depth=1
	s_or_b32 exec_lo, exec_lo, s40
.LBB278_442:                            ;   in Loop: Header=BB278_10 Depth=1
	s_or_b32 exec_lo, exec_lo, s3
	global_load_ushort v80, v[9:10], off offset:1672
	v_mov_b32_e32 v79, 0
	s_waitcnt vmcnt(0)
	v_and_b32_e32 v3, 0xffff, v80
	v_cmp_ne_u16_sdwa s2, v80, v4 src0_sel:BYTE_0 src1_sel:DWORD
	v_mov_b32_e32 v80, 0
	s_and_saveexec_b32 s3, s2
	s_cbranch_execz .LBB278_450
; %bb.443:                              ;   in Loop: Header=BB278_10 Depth=1
	v_cmp_ne_u16_sdwa s2, v3, v19 src0_sel:BYTE_0 src1_sel:DWORD
	v_mov_b32_e32 v80, 0x8000
	s_and_saveexec_b32 s40, s2
	s_cbranch_execz .LBB278_449
; %bb.444:                              ;   in Loop: Header=BB278_10 Depth=1
	v_and_b32_e32 v82, 0x7f, v3
	v_mov_b32_e32 v80, 0x7c01
	s_mov_b32 s41, exec_lo
	v_cmpx_ne_u32_e32 0x7f, v82
	s_cbranch_execz .LBB278_448
; %bb.445:                              ;   in Loop: Header=BB278_10 Depth=1
	v_and_b32_e32 v80, 7, v3
	v_lshrrev_b32_e32 v81, 3, v82
	s_mov_b32 s42, exec_lo
	v_cmpx_gt_u32_e32 8, v82
; %bb.446:                              ;   in Loop: Header=BB278_10 Depth=1
	v_ffbh_u32_e32 v80, v80
	v_min_u32_e32 v82, 32, v80
	v_subrev_nc_u32_e32 v80, 28, v82
	v_lshlrev_b64 v[80:81], v80, v[3:4]
	v_sub_nc_u32_e32 v81, 29, v82
	v_and_b32_e32 v80, 7, v80
; %bb.447:                              ;   in Loop: Header=BB278_10 Depth=1
	s_or_b32 exec_lo, exec_lo, s42
	v_lshlrev_b32_e32 v82, 8, v3
	v_lshl_add_u32 v81, v81, 10, 0x2000
	v_lshlrev_b32_e32 v80, 7, v80
	v_and_b32_e32 v82, 0x8000, v82
	v_and_b32_e32 v81, 0xfc00, v81
	v_or3_b32 v80, v82, v81, v80
.LBB278_448:                            ;   in Loop: Header=BB278_10 Depth=1
	s_or_b32 exec_lo, exec_lo, s41
.LBB278_449:                            ;   in Loop: Header=BB278_10 Depth=1
	s_or_b32 exec_lo, exec_lo, s40
.LBB278_450:                            ;   in Loop: Header=BB278_10 Depth=1
	s_or_b32 exec_lo, exec_lo, s3
	v_lshrrev_b16 v3, 8, v3
	s_mov_b32 s3, exec_lo
	v_cmpx_ne_u16_e32 0, v3
	s_cbranch_execz .LBB278_458
; %bb.451:                              ;   in Loop: Header=BB278_10 Depth=1
	v_bfrev_b32_e32 v79, 1
	s_mov_b32 s40, exec_lo
	v_cmpx_ne_u16_e32 0x80, v3
	s_cbranch_execz .LBB278_457
; %bb.452:                              ;   in Loop: Header=BB278_10 Depth=1
	v_and_b32_sdwa v82, v3, v20 dst_sel:DWORD dst_unused:UNUSED_PAD src0_sel:WORD_0 src1_sel:DWORD
	v_mov_b32_e32 v79, 0x7c010000
	s_mov_b32 s41, exec_lo
	v_cmpx_ne_u32_e32 0x7f, v82
	s_cbranch_execz .LBB278_456
; %bb.453:                              ;   in Loop: Header=BB278_10 Depth=1
	v_and_b32_sdwa v79, v3, v21 dst_sel:DWORD dst_unused:UNUSED_PAD src0_sel:WORD_0 src1_sel:DWORD
	v_lshrrev_b32_e32 v81, 3, v82
	s_mov_b32 s42, exec_lo
	v_cmpx_gt_u32_e32 8, v82
; %bb.454:                              ;   in Loop: Header=BB278_10 Depth=1
	v_ffbh_u32_e32 v79, v79
	v_min_u32_e32 v79, 32, v79
	v_subrev_nc_u32_e32 v81, 28, v79
	v_lshlrev_b64 v[82:83], v81, v[3:4]
	v_sub_nc_u32_e32 v81, 29, v79
	v_and_b32_e32 v79, 7, v82
; %bb.455:                              ;   in Loop: Header=BB278_10 Depth=1
	s_or_b32 exec_lo, exec_lo, s42
	v_lshlrev_b32_sdwa v3, v22, v3 dst_sel:DWORD dst_unused:UNUSED_PAD src0_sel:DWORD src1_sel:WORD_0
	v_lshl_add_u32 v81, v81, 10, 0x2000
	v_lshlrev_b32_e32 v79, 23, v79
	v_and_or_b32 v3, 0x8000, v3, v81
	v_lshl_or_b32 v79, v3, 16, v79
.LBB278_456:                            ;   in Loop: Header=BB278_10 Depth=1
	s_or_b32 exec_lo, exec_lo, s41
.LBB278_457:                            ;   in Loop: Header=BB278_10 Depth=1
	s_or_b32 exec_lo, exec_lo, s40
.LBB278_458:                            ;   in Loop: Header=BB278_10 Depth=1
	s_or_b32 exec_lo, exec_lo, s3
	global_load_ushort v82, v[9:10], off offset:1792
	v_mov_b32_e32 v81, 0
	s_waitcnt vmcnt(0)
	v_and_b32_e32 v3, 0xffff, v82
	v_cmp_ne_u16_sdwa s2, v82, v4 src0_sel:BYTE_0 src1_sel:DWORD
	v_mov_b32_e32 v82, 0
	s_and_saveexec_b32 s3, s2
	s_cbranch_execz .LBB278_466
; %bb.459:                              ;   in Loop: Header=BB278_10 Depth=1
	v_cmp_ne_u16_sdwa s2, v3, v19 src0_sel:BYTE_0 src1_sel:DWORD
	v_mov_b32_e32 v82, 0x8000
	s_and_saveexec_b32 s40, s2
	s_cbranch_execz .LBB278_465
; %bb.460:                              ;   in Loop: Header=BB278_10 Depth=1
	v_and_b32_e32 v84, 0x7f, v3
	v_mov_b32_e32 v82, 0x7c01
	s_mov_b32 s41, exec_lo
	v_cmpx_ne_u32_e32 0x7f, v84
	s_cbranch_execz .LBB278_464
; %bb.461:                              ;   in Loop: Header=BB278_10 Depth=1
	v_and_b32_e32 v82, 7, v3
	v_lshrrev_b32_e32 v83, 3, v84
	s_mov_b32 s42, exec_lo
	v_cmpx_gt_u32_e32 8, v84
; %bb.462:                              ;   in Loop: Header=BB278_10 Depth=1
	v_ffbh_u32_e32 v82, v82
	v_min_u32_e32 v84, 32, v82
	v_subrev_nc_u32_e32 v82, 28, v84
	v_lshlrev_b64 v[82:83], v82, v[3:4]
	v_sub_nc_u32_e32 v83, 29, v84
	v_and_b32_e32 v82, 7, v82
; %bb.463:                              ;   in Loop: Header=BB278_10 Depth=1
	s_or_b32 exec_lo, exec_lo, s42
	v_lshlrev_b32_e32 v84, 8, v3
	v_lshl_add_u32 v83, v83, 10, 0x2000
	v_lshlrev_b32_e32 v82, 7, v82
	v_and_b32_e32 v84, 0x8000, v84
	v_and_b32_e32 v83, 0xfc00, v83
	v_or3_b32 v82, v84, v83, v82
.LBB278_464:                            ;   in Loop: Header=BB278_10 Depth=1
	s_or_b32 exec_lo, exec_lo, s41
.LBB278_465:                            ;   in Loop: Header=BB278_10 Depth=1
	s_or_b32 exec_lo, exec_lo, s40
.LBB278_466:                            ;   in Loop: Header=BB278_10 Depth=1
	s_or_b32 exec_lo, exec_lo, s3
	v_lshrrev_b16 v3, 8, v3
	s_mov_b32 s3, exec_lo
	v_cmpx_ne_u16_e32 0, v3
	s_cbranch_execz .LBB278_474
; %bb.467:                              ;   in Loop: Header=BB278_10 Depth=1
	v_bfrev_b32_e32 v81, 1
	s_mov_b32 s40, exec_lo
	v_cmpx_ne_u16_e32 0x80, v3
	s_cbranch_execz .LBB278_473
; %bb.468:                              ;   in Loop: Header=BB278_10 Depth=1
	v_and_b32_sdwa v84, v3, v20 dst_sel:DWORD dst_unused:UNUSED_PAD src0_sel:WORD_0 src1_sel:DWORD
	v_mov_b32_e32 v81, 0x7c010000
	s_mov_b32 s41, exec_lo
	v_cmpx_ne_u32_e32 0x7f, v84
	s_cbranch_execz .LBB278_472
; %bb.469:                              ;   in Loop: Header=BB278_10 Depth=1
	v_and_b32_sdwa v81, v3, v21 dst_sel:DWORD dst_unused:UNUSED_PAD src0_sel:WORD_0 src1_sel:DWORD
	v_lshrrev_b32_e32 v83, 3, v84
	s_mov_b32 s42, exec_lo
	v_cmpx_gt_u32_e32 8, v84
; %bb.470:                              ;   in Loop: Header=BB278_10 Depth=1
	v_ffbh_u32_e32 v81, v81
	v_min_u32_e32 v81, 32, v81
	v_subrev_nc_u32_e32 v83, 28, v81
	v_lshlrev_b64 v[84:85], v83, v[3:4]
	v_sub_nc_u32_e32 v83, 29, v81
	v_and_b32_e32 v81, 7, v84
; %bb.471:                              ;   in Loop: Header=BB278_10 Depth=1
	s_or_b32 exec_lo, exec_lo, s42
	v_lshlrev_b32_sdwa v3, v22, v3 dst_sel:DWORD dst_unused:UNUSED_PAD src0_sel:DWORD src1_sel:WORD_0
	v_lshl_add_u32 v83, v83, 10, 0x2000
	v_lshlrev_b32_e32 v81, 23, v81
	v_and_or_b32 v3, 0x8000, v3, v83
	v_lshl_or_b32 v81, v3, 16, v81
.LBB278_472:                            ;   in Loop: Header=BB278_10 Depth=1
	s_or_b32 exec_lo, exec_lo, s41
.LBB278_473:                            ;   in Loop: Header=BB278_10 Depth=1
	s_or_b32 exec_lo, exec_lo, s40
.LBB278_474:                            ;   in Loop: Header=BB278_10 Depth=1
	s_or_b32 exec_lo, exec_lo, s3
	global_load_ushort v84, v[9:10], off offset:1800
	v_mov_b32_e32 v83, 0
	s_waitcnt vmcnt(0)
	v_and_b32_e32 v3, 0xffff, v84
	v_cmp_ne_u16_sdwa s2, v84, v4 src0_sel:BYTE_0 src1_sel:DWORD
	v_mov_b32_e32 v84, 0
	s_and_saveexec_b32 s3, s2
	s_cbranch_execz .LBB278_482
; %bb.475:                              ;   in Loop: Header=BB278_10 Depth=1
	v_cmp_ne_u16_sdwa s2, v3, v19 src0_sel:BYTE_0 src1_sel:DWORD
	v_mov_b32_e32 v84, 0x8000
	s_and_saveexec_b32 s40, s2
	s_cbranch_execz .LBB278_481
; %bb.476:                              ;   in Loop: Header=BB278_10 Depth=1
	v_and_b32_e32 v86, 0x7f, v3
	v_mov_b32_e32 v84, 0x7c01
	s_mov_b32 s41, exec_lo
	v_cmpx_ne_u32_e32 0x7f, v86
	s_cbranch_execz .LBB278_480
; %bb.477:                              ;   in Loop: Header=BB278_10 Depth=1
	v_and_b32_e32 v84, 7, v3
	v_lshrrev_b32_e32 v85, 3, v86
	s_mov_b32 s42, exec_lo
	v_cmpx_gt_u32_e32 8, v86
; %bb.478:                              ;   in Loop: Header=BB278_10 Depth=1
	v_ffbh_u32_e32 v84, v84
	v_min_u32_e32 v86, 32, v84
	v_subrev_nc_u32_e32 v84, 28, v86
	v_lshlrev_b64 v[84:85], v84, v[3:4]
	v_sub_nc_u32_e32 v85, 29, v86
	v_and_b32_e32 v84, 7, v84
; %bb.479:                              ;   in Loop: Header=BB278_10 Depth=1
	s_or_b32 exec_lo, exec_lo, s42
	v_lshlrev_b32_e32 v86, 8, v3
	v_lshl_add_u32 v85, v85, 10, 0x2000
	v_lshlrev_b32_e32 v84, 7, v84
	v_and_b32_e32 v86, 0x8000, v86
	v_and_b32_e32 v85, 0xfc00, v85
	v_or3_b32 v84, v86, v85, v84
.LBB278_480:                            ;   in Loop: Header=BB278_10 Depth=1
	s_or_b32 exec_lo, exec_lo, s41
.LBB278_481:                            ;   in Loop: Header=BB278_10 Depth=1
	s_or_b32 exec_lo, exec_lo, s40
.LBB278_482:                            ;   in Loop: Header=BB278_10 Depth=1
	s_or_b32 exec_lo, exec_lo, s3
	v_lshrrev_b16 v3, 8, v3
	s_mov_b32 s3, exec_lo
	v_cmpx_ne_u16_e32 0, v3
	s_cbranch_execz .LBB278_490
; %bb.483:                              ;   in Loop: Header=BB278_10 Depth=1
	v_bfrev_b32_e32 v83, 1
	s_mov_b32 s40, exec_lo
	v_cmpx_ne_u16_e32 0x80, v3
	s_cbranch_execz .LBB278_489
; %bb.484:                              ;   in Loop: Header=BB278_10 Depth=1
	v_and_b32_sdwa v86, v3, v20 dst_sel:DWORD dst_unused:UNUSED_PAD src0_sel:WORD_0 src1_sel:DWORD
	v_mov_b32_e32 v83, 0x7c010000
	s_mov_b32 s41, exec_lo
	v_cmpx_ne_u32_e32 0x7f, v86
	s_cbranch_execz .LBB278_488
; %bb.485:                              ;   in Loop: Header=BB278_10 Depth=1
	v_and_b32_sdwa v83, v3, v21 dst_sel:DWORD dst_unused:UNUSED_PAD src0_sel:WORD_0 src1_sel:DWORD
	v_lshrrev_b32_e32 v85, 3, v86
	s_mov_b32 s42, exec_lo
	v_cmpx_gt_u32_e32 8, v86
; %bb.486:                              ;   in Loop: Header=BB278_10 Depth=1
	v_ffbh_u32_e32 v83, v83
	v_min_u32_e32 v83, 32, v83
	v_subrev_nc_u32_e32 v85, 28, v83
	v_lshlrev_b64 v[86:87], v85, v[3:4]
	v_sub_nc_u32_e32 v85, 29, v83
	v_and_b32_e32 v83, 7, v86
; %bb.487:                              ;   in Loop: Header=BB278_10 Depth=1
	s_or_b32 exec_lo, exec_lo, s42
	v_lshlrev_b32_sdwa v3, v22, v3 dst_sel:DWORD dst_unused:UNUSED_PAD src0_sel:DWORD src1_sel:WORD_0
	v_lshl_add_u32 v85, v85, 10, 0x2000
	v_lshlrev_b32_e32 v83, 23, v83
	v_and_or_b32 v3, 0x8000, v3, v85
	v_lshl_or_b32 v83, v3, 16, v83
.LBB278_488:                            ;   in Loop: Header=BB278_10 Depth=1
	s_or_b32 exec_lo, exec_lo, s41
.LBB278_489:                            ;   in Loop: Header=BB278_10 Depth=1
	s_or_b32 exec_lo, exec_lo, s40
.LBB278_490:                            ;   in Loop: Header=BB278_10 Depth=1
	s_or_b32 exec_lo, exec_lo, s3
	global_load_ushort v86, v[9:10], off offset:1920
	v_mov_b32_e32 v85, 0
	s_waitcnt vmcnt(0)
	v_and_b32_e32 v3, 0xffff, v86
	v_cmp_ne_u16_sdwa s2, v86, v4 src0_sel:BYTE_0 src1_sel:DWORD
	v_mov_b32_e32 v86, 0
	s_and_saveexec_b32 s3, s2
	s_cbranch_execz .LBB278_498
; %bb.491:                              ;   in Loop: Header=BB278_10 Depth=1
	v_cmp_ne_u16_sdwa s2, v3, v19 src0_sel:BYTE_0 src1_sel:DWORD
	v_mov_b32_e32 v86, 0x8000
	s_and_saveexec_b32 s40, s2
	s_cbranch_execz .LBB278_497
; %bb.492:                              ;   in Loop: Header=BB278_10 Depth=1
	v_and_b32_e32 v88, 0x7f, v3
	v_mov_b32_e32 v86, 0x7c01
	s_mov_b32 s41, exec_lo
	v_cmpx_ne_u32_e32 0x7f, v88
	s_cbranch_execz .LBB278_496
; %bb.493:                              ;   in Loop: Header=BB278_10 Depth=1
	v_and_b32_e32 v86, 7, v3
	v_lshrrev_b32_e32 v87, 3, v88
	s_mov_b32 s42, exec_lo
	v_cmpx_gt_u32_e32 8, v88
; %bb.494:                              ;   in Loop: Header=BB278_10 Depth=1
	v_ffbh_u32_e32 v86, v86
	v_min_u32_e32 v88, 32, v86
	v_subrev_nc_u32_e32 v86, 28, v88
	v_lshlrev_b64 v[86:87], v86, v[3:4]
	v_sub_nc_u32_e32 v87, 29, v88
	v_and_b32_e32 v86, 7, v86
; %bb.495:                              ;   in Loop: Header=BB278_10 Depth=1
	s_or_b32 exec_lo, exec_lo, s42
	v_lshlrev_b32_e32 v88, 8, v3
	v_lshl_add_u32 v87, v87, 10, 0x2000
	v_lshlrev_b32_e32 v86, 7, v86
	v_and_b32_e32 v88, 0x8000, v88
	v_and_b32_e32 v87, 0xfc00, v87
	v_or3_b32 v86, v88, v87, v86
.LBB278_496:                            ;   in Loop: Header=BB278_10 Depth=1
	s_or_b32 exec_lo, exec_lo, s41
.LBB278_497:                            ;   in Loop: Header=BB278_10 Depth=1
	s_or_b32 exec_lo, exec_lo, s40
.LBB278_498:                            ;   in Loop: Header=BB278_10 Depth=1
	s_or_b32 exec_lo, exec_lo, s3
	v_lshrrev_b16 v3, 8, v3
	s_mov_b32 s3, exec_lo
	v_cmpx_ne_u16_e32 0, v3
	s_cbranch_execz .LBB278_506
; %bb.499:                              ;   in Loop: Header=BB278_10 Depth=1
	v_bfrev_b32_e32 v85, 1
	s_mov_b32 s40, exec_lo
	v_cmpx_ne_u16_e32 0x80, v3
	s_cbranch_execz .LBB278_505
; %bb.500:                              ;   in Loop: Header=BB278_10 Depth=1
	v_and_b32_sdwa v88, v3, v20 dst_sel:DWORD dst_unused:UNUSED_PAD src0_sel:WORD_0 src1_sel:DWORD
	v_mov_b32_e32 v85, 0x7c010000
	s_mov_b32 s41, exec_lo
	v_cmpx_ne_u32_e32 0x7f, v88
	s_cbranch_execz .LBB278_504
; %bb.501:                              ;   in Loop: Header=BB278_10 Depth=1
	v_and_b32_sdwa v85, v3, v21 dst_sel:DWORD dst_unused:UNUSED_PAD src0_sel:WORD_0 src1_sel:DWORD
	v_lshrrev_b32_e32 v87, 3, v88
	s_mov_b32 s42, exec_lo
	v_cmpx_gt_u32_e32 8, v88
; %bb.502:                              ;   in Loop: Header=BB278_10 Depth=1
	v_ffbh_u32_e32 v85, v85
	v_min_u32_e32 v85, 32, v85
	v_subrev_nc_u32_e32 v87, 28, v85
	v_lshlrev_b64 v[88:89], v87, v[3:4]
	v_sub_nc_u32_e32 v87, 29, v85
	v_and_b32_e32 v85, 7, v88
; %bb.503:                              ;   in Loop: Header=BB278_10 Depth=1
	s_or_b32 exec_lo, exec_lo, s42
	v_lshlrev_b32_sdwa v3, v22, v3 dst_sel:DWORD dst_unused:UNUSED_PAD src0_sel:DWORD src1_sel:WORD_0
	v_lshl_add_u32 v87, v87, 10, 0x2000
	v_lshlrev_b32_e32 v85, 23, v85
	v_and_or_b32 v3, 0x8000, v3, v87
	v_lshl_or_b32 v85, v3, 16, v85
.LBB278_504:                            ;   in Loop: Header=BB278_10 Depth=1
	s_or_b32 exec_lo, exec_lo, s41
.LBB278_505:                            ;   in Loop: Header=BB278_10 Depth=1
	s_or_b32 exec_lo, exec_lo, s40
.LBB278_506:                            ;   in Loop: Header=BB278_10 Depth=1
	s_or_b32 exec_lo, exec_lo, s3
	global_load_ushort v10, v[9:10], off offset:1928
	v_mov_b32_e32 v9, 0
	s_waitcnt vmcnt(0)
	v_and_b32_e32 v3, 0xffff, v10
	v_cmp_ne_u16_sdwa s2, v10, v4 src0_sel:BYTE_0 src1_sel:DWORD
	v_mov_b32_e32 v10, 0
	s_and_saveexec_b32 s3, s2
	s_cbranch_execz .LBB278_514
; %bb.507:                              ;   in Loop: Header=BB278_10 Depth=1
	v_cmp_ne_u16_sdwa s2, v3, v19 src0_sel:BYTE_0 src1_sel:DWORD
	v_mov_b32_e32 v10, 0x8000
	s_and_saveexec_b32 s40, s2
	s_cbranch_execz .LBB278_513
; %bb.508:                              ;   in Loop: Header=BB278_10 Depth=1
	v_and_b32_e32 v88, 0x7f, v3
	v_mov_b32_e32 v10, 0x7c01
	s_mov_b32 s41, exec_lo
	v_cmpx_ne_u32_e32 0x7f, v88
	s_cbranch_execz .LBB278_512
; %bb.509:                              ;   in Loop: Header=BB278_10 Depth=1
	v_and_b32_e32 v10, 7, v3
	v_lshrrev_b32_e32 v87, 3, v88
	s_mov_b32 s42, exec_lo
	v_cmpx_gt_u32_e32 8, v88
; %bb.510:                              ;   in Loop: Header=BB278_10 Depth=1
	v_ffbh_u32_e32 v10, v10
	v_min_u32_e32 v10, 32, v10
	v_subrev_nc_u32_e32 v87, 28, v10
	v_lshlrev_b64 v[88:89], v87, v[3:4]
	v_sub_nc_u32_e32 v87, 29, v10
	v_and_b32_e32 v10, 7, v88
; %bb.511:                              ;   in Loop: Header=BB278_10 Depth=1
	s_or_b32 exec_lo, exec_lo, s42
	v_lshlrev_b32_e32 v88, 8, v3
	v_lshl_add_u32 v87, v87, 10, 0x2000
	v_lshlrev_b32_e32 v10, 7, v10
	v_and_b32_e32 v88, 0x8000, v88
	v_and_b32_e32 v87, 0xfc00, v87
	v_or3_b32 v10, v88, v87, v10
.LBB278_512:                            ;   in Loop: Header=BB278_10 Depth=1
	s_or_b32 exec_lo, exec_lo, s41
.LBB278_513:                            ;   in Loop: Header=BB278_10 Depth=1
	s_or_b32 exec_lo, exec_lo, s40
.LBB278_514:                            ;   in Loop: Header=BB278_10 Depth=1
	s_or_b32 exec_lo, exec_lo, s3
	v_lshrrev_b16 v3, 8, v3
	s_mov_b32 s3, exec_lo
	v_cmpx_ne_u16_e32 0, v3
	s_cbranch_execz .LBB278_522
; %bb.515:                              ;   in Loop: Header=BB278_10 Depth=1
	v_bfrev_b32_e32 v9, 1
	s_mov_b32 s40, exec_lo
	v_cmpx_ne_u16_e32 0x80, v3
	s_cbranch_execz .LBB278_521
; %bb.516:                              ;   in Loop: Header=BB278_10 Depth=1
	v_and_b32_sdwa v88, v3, v20 dst_sel:DWORD dst_unused:UNUSED_PAD src0_sel:WORD_0 src1_sel:DWORD
	v_mov_b32_e32 v9, 0x7c010000
	s_mov_b32 s41, exec_lo
	v_cmpx_ne_u32_e32 0x7f, v88
	s_cbranch_execz .LBB278_520
; %bb.517:                              ;   in Loop: Header=BB278_10 Depth=1
	v_and_b32_sdwa v9, v3, v21 dst_sel:DWORD dst_unused:UNUSED_PAD src0_sel:WORD_0 src1_sel:DWORD
	v_lshrrev_b32_e32 v87, 3, v88
	s_mov_b32 s42, exec_lo
	v_cmpx_gt_u32_e32 8, v88
; %bb.518:                              ;   in Loop: Header=BB278_10 Depth=1
	v_ffbh_u32_e32 v9, v9
	v_min_u32_e32 v9, 32, v9
	v_subrev_nc_u32_e32 v87, 28, v9
	v_lshlrev_b64 v[88:89], v87, v[3:4]
	v_sub_nc_u32_e32 v87, 29, v9
	v_and_b32_e32 v9, 7, v88
; %bb.519:                              ;   in Loop: Header=BB278_10 Depth=1
	s_or_b32 exec_lo, exec_lo, s42
	v_lshlrev_b32_sdwa v3, v22, v3 dst_sel:DWORD dst_unused:UNUSED_PAD src0_sel:DWORD src1_sel:WORD_0
	v_lshl_add_u32 v87, v87, 10, 0x2000
	v_lshlrev_b32_e32 v9, 23, v9
	v_and_or_b32 v3, 0x8000, v3, v87
	v_lshl_or_b32 v9, v3, 16, v9
.LBB278_520:                            ;   in Loop: Header=BB278_10 Depth=1
	s_or_b32 exec_lo, exec_lo, s41
.LBB278_521:                            ;   in Loop: Header=BB278_10 Depth=1
	s_or_b32 exec_lo, exec_lo, s40
.LBB278_522:                            ;   in Loop: Header=BB278_10 Depth=1
	s_or_b32 exec_lo, exec_lo, s3
	ds_read_b32 v3, v16
	v_or_b32_e32 v25, v26, v25
	v_fma_mixlo_f16 v26, v24, v26, 0 op_sel:[0,1,0] op_sel_hi:[0,1,0]
	v_or_b32_e32 v38, v37, v38
	v_fma_mixlo_f16 v37, v24, v37, 0 op_sel:[0,1,0] op_sel_hi:[0,1,0]
	v_or_b32_e32 v40, v39, v40
	v_fma_mixlo_f16 v25, v24, v25, 0 op_sel_hi:[0,1,0]
	v_and_b32_e32 v26, 0xffff, v26
	v_fma_mixlo_f16 v38, v24, v38, 0 op_sel_hi:[0,1,0]
	v_and_b32_e32 v95, 0xffff, v37
	;; [unrolled: 2-line block ×3, first 2 shown]
	v_fma_mixlo_f16 v39, v24, v39, 0 op_sel:[0,1,0] op_sel_hi:[0,1,0]
	v_or_b32_e32 v42, v41, v42
	v_fma_mixlo_f16 v41, v24, v41, 0 op_sel:[0,1,0] op_sel_hi:[0,1,0]
	v_and_b32_e32 v102, 0xffff, v40
	v_or_b32_e32 v44, v43, v44
	v_and_b32_e32 v103, 0xffff, v39
	v_fma_mixlo_f16 v42, v24, v42, 0 op_sel_hi:[0,1,0]
	v_and_b32_e32 v105, 0xffff, v41
	s_waitcnt lgkmcnt(0)
	v_and_b32_e32 v87, 0xffff, v3
	v_lshrrev_b32_e32 v3, 16, v3
	;;#ASMSTART
	v_cvt_f32_f16 v98, v87;
	;;#ASMEND
	;;#ASMSTART
	v_cvt_f32_f16 v88, v3;
	;;#ASMEND
	;; [unrolled: 3-line block ×4, first 2 shown]
	ds_read_b32 v3, v16 offset:4
	v_or_b32_e32 v25, v27, v28
	v_fma_mixlo_f16 v26, v24, v27, 0 op_sel:[0,1,0] op_sel_hi:[0,1,0]
	v_and_b32_e32 v104, 0xffff, v42
	v_fma_mixlo_f16 v44, v24, v44, 0 op_sel_hi:[0,1,0]
	v_fma_mixlo_f16 v43, v24, v43, 0 op_sel:[0,1,0] op_sel_hi:[0,1,0]
	v_fma_mixlo_f16 v25, v24, v25, 0 op_sel_hi:[0,1,0]
	v_and_b32_e32 v26, 0xffff, v26
	v_or_b32_e32 v46, v45, v46
	v_and_b32_e32 v106, 0xffff, v44
	v_and_b32_e32 v107, 0xffff, v43
	;; [unrolled: 1-line block ×3, first 2 shown]
	v_fma_mixlo_f16 v45, v24, v45, 0 op_sel:[0,1,0] op_sel_hi:[0,1,0]
	v_fma_mixlo_f16 v46, v24, v46, 0 op_sel_hi:[0,1,0]
	v_or_b32_e32 v48, v47, v48
	v_fma_mixlo_f16 v47, v24, v47, 0 op_sel:[0,1,0] op_sel_hi:[0,1,0]
	v_or_b32_e32 v50, v49, v50
	v_and_b32_e32 v109, 0xffff, v45
	v_and_b32_e32 v108, 0xffff, v46
	v_fma_mixlo_f16 v48, v24, v48, 0 op_sel_hi:[0,1,0]
	s_waitcnt lgkmcnt(0)
	v_and_b32_e32 v27, 0xffff, v3
	v_lshrrev_b32_e32 v3, 16, v3
	;;#ASMSTART
	v_cvt_f32_f16 v100, v27;
	;;#ASMEND
	;;#ASMSTART
	v_cvt_f32_f16 v96, v3;
	;;#ASMEND
	;; [unrolled: 3-line block ×4, first 2 shown]
	ds_read_b32 v3, v16 offset:8
	v_or_b32_e32 v25, v29, v30
	v_fma_mixlo_f16 v26, v24, v29, 0 op_sel:[0,1,0] op_sel_hi:[0,1,0]
	v_fma_mixlo_f16 v30, v24, v33, 0 op_sel:[0,1,0] op_sel_hi:[0,1,0]
	v_and_b32_e32 v110, 0xffff, v48
	v_and_b32_e32 v111, 0xffff, v47
	v_fma_mixlo_f16 v25, v24, v25, 0 op_sel_hi:[0,1,0]
	v_and_b32_e32 v28, 0xffff, v26
	v_and_b32_e32 v92, 0xffff, v30
	v_fma_mixlo_f16 v50, v24, v50, 0 op_sel_hi:[0,1,0]
	v_fma_mixlo_f16 v49, v24, v49, 0 op_sel:[0,1,0] op_sel_hi:[0,1,0]
	v_and_b32_e32 v25, 0xffff, v25
	v_or_b32_e32 v52, v51, v52
	v_fma_mixlo_f16 v51, v24, v51, 0 op_sel:[0,1,0] op_sel_hi:[0,1,0]
	v_and_b32_e32 v112, 0xffff, v50
	v_and_b32_e32 v113, 0xffff, v49
	v_or_b32_e32 v54, v53, v54
	v_fma_mixlo_f16 v52, v24, v52, 0 op_sel_hi:[0,1,0]
	v_and_b32_e32 v115, 0xffff, v51
	v_fma_mixlo_f16 v53, v24, v53, 0 op_sel:[0,1,0] op_sel_hi:[0,1,0]
	s_waitcnt lgkmcnt(0)
	v_and_b32_e32 v27, 0xffff, v3
	v_lshrrev_b32_e32 v3, 16, v3
	;;#ASMSTART
	v_cvt_f32_f16 v90, v27;
	;;#ASMEND
	;;#ASMSTART
	v_cvt_f32_f16 v26, v3;
	;;#ASMEND
	;; [unrolled: 3-line block ×4, first 2 shown]
	ds_read_b32 v3, v16 offset:12
	v_or_b32_e32 v25, v31, v32
	v_fma_mixlo_f16 v27, v24, v31, 0 op_sel:[0,1,0] op_sel_hi:[0,1,0]
	v_and_b32_e32 v114, 0xffff, v52
	v_fma_mixlo_f16 v54, v24, v54, 0 op_sel_hi:[0,1,0]
	v_and_b32_e32 v117, 0xffff, v53
	v_fma_mixlo_f16 v25, v24, v25, 0 op_sel_hi:[0,1,0]
	v_and_b32_e32 v27, 0xffff, v27
	v_or_b32_e32 v56, v55, v56
	v_and_b32_e32 v116, 0xffff, v54
	v_fma_mixlo_f16 v55, v24, v55, 0 op_sel:[0,1,0] op_sel_hi:[0,1,0]
	v_and_b32_e32 v25, 0xffff, v25
	v_or_b32_e32 v58, v57, v58
	v_fma_mixlo_f16 v56, v24, v56, 0 op_sel_hi:[0,1,0]
	v_fma_mixlo_f16 v57, v24, v57, 0 op_sel:[0,1,0] op_sel_hi:[0,1,0]
	v_and_b32_e32 v119, 0xffff, v55
	v_or_b32_e32 v60, v59, v60
	v_fma_mixlo_f16 v58, v24, v58, 0 op_sel_hi:[0,1,0]
	v_and_b32_e32 v118, 0xffff, v56
	v_and_b32_e32 v57, 0xffff, v57
	s_waitcnt lgkmcnt(0)
	v_and_b32_e32 v28, 0xffff, v3
	v_lshrrev_b32_e32 v3, 16, v3
	;;#ASMSTART
	v_cvt_f32_f16 v32, v28;
	;;#ASMEND
	;;#ASMSTART
	v_cvt_f32_f16 v3, v3;
	;;#ASMEND
	;; [unrolled: 3-line block ×4, first 2 shown]
	ds_read_b32 v27, v16 offset:16
	v_or_b32_e32 v28, v33, v34
	v_and_b32_e32 v120, 0xffff, v58
	v_fma_mixlo_f16 v60, v24, v60, 0 op_sel_hi:[0,1,0]
	v_fma_mixlo_f16 v59, v24, v59, 0 op_sel:[0,1,0] op_sel_hi:[0,1,0]
	v_or_b32_e32 v68, v67, v68
	v_fma_mixlo_f16 v28, v24, v28, 0 op_sel_hi:[0,1,0]
	v_fma_mixlo_f16 v67, v24, v67, 0 op_sel:[0,1,0] op_sel_hi:[0,1,0]
	v_and_b32_e32 v122, 0xffff, v60
	v_and_b32_e32 v59, 0xffff, v59
	v_fma_mixlo_f16 v68, v24, v68, 0 op_sel_hi:[0,1,0]
	v_and_b32_e32 v34, 0xffff, v28
	v_and_b32_e32 v12, 0xffff, v67
	v_or_b32_e32 v70, v69, v70
	v_fma_mixlo_f16 v69, v24, v69, 0 op_sel:[0,1,0] op_sel_hi:[0,1,0]
	v_or_b32_e32 v72, v71, v72
	v_fma_mixlo_f16 v71, v24, v71, 0 op_sel:[0,1,0] op_sel_hi:[0,1,0]
	v_or_b32_e32 v74, v73, v74
	v_fma_mixlo_f16 v70, v24, v70, 0 op_sel_hi:[0,1,0]
	v_fma_mixlo_f16 v73, v24, v73, 0 op_sel:[0,1,0] op_sel_hi:[0,1,0]
	s_waitcnt lgkmcnt(0)
	v_and_b32_e32 v31, 0xffff, v27
	v_lshrrev_b32_e32 v33, 16, v27
	;;#ASMSTART
	v_cvt_f32_f16 v27, v31;
	;;#ASMEND
	;;#ASMSTART
	v_cvt_f32_f16 v28, v33;
	;;#ASMEND
	;; [unrolled: 3-line block ×4, first 2 shown]
	ds_read_b32 v33, v16 offset:20
	v_or_b32_e32 v34, v35, v36
	v_fma_mixlo_f16 v35, v24, v35, 0 op_sel:[0,1,0] op_sel_hi:[0,1,0]
	v_fma_mixlo_f16 v72, v24, v72, 0 op_sel_hi:[0,1,0]
	v_fma_mixlo_f16 v74, v24, v74, 0 op_sel_hi:[0,1,0]
	v_or_b32_e32 v76, v75, v76
	v_fma_mixlo_f16 v34, v24, v34, 0 op_sel_hi:[0,1,0]
	v_and_b32_e32 v94, 0xffff, v35
	v_fma_mixlo_f16 v75, v24, v75, 0 op_sel:[0,1,0] op_sel_hi:[0,1,0]
	v_and_b32_e32 v74, 0xffff, v74
	v_fma_mixlo_f16 v76, v24, v76, 0 op_sel_hi:[0,1,0]
	v_and_b32_e32 v93, 0xffff, v34
	v_or_b32_e32 v78, v77, v78
	v_fma_mixlo_f16 v77, v24, v77, 0 op_sel:[0,1,0] op_sel_hi:[0,1,0]
	v_and_b32_e32 v76, 0xffff, v76
	s_waitcnt lgkmcnt(0)
	v_and_b32_e32 v36, 0xffff, v33
	v_lshrrev_b32_e32 v92, 16, v33
	;;#ASMSTART
	v_cvt_f32_f16 v33, v36;
	;;#ASMEND
	;;#ASMSTART
	v_cvt_f32_f16 v34, v92;
	;;#ASMEND
	;; [unrolled: 3-line block ×4, first 2 shown]
	ds_read_b32 v92, v16 offset:24
	v_and_b32_e32 v94, 0xffff, v38
	s_waitcnt lgkmcnt(0)
	v_and_b32_e32 v93, 0xffff, v92
	v_lshrrev_b32_e32 v92, 16, v92
	;;#ASMSTART
	v_cvt_f32_f16 v37, v93;
	;;#ASMEND
	;;#ASMSTART
	v_cvt_f32_f16 v38, v92;
	;;#ASMEND
	;;#ASMSTART
	v_cvt_f32_f16 v92, v94;
	;;#ASMEND
	;;#ASMSTART
	v_cvt_f32_f16 v93, v95;
	;;#ASMEND
	ds_read_b32 v94, v16 offset:28
	s_waitcnt lgkmcnt(0)
	v_and_b32_e32 v95, 0xffff, v94
	v_lshrrev_b32_e32 v94, 16, v94
	;;#ASMSTART
	v_cvt_f32_f16 v39, v95;
	;;#ASMEND
	;;#ASMSTART
	v_cvt_f32_f16 v40, v94;
	;;#ASMEND
	;;#ASMSTART
	v_cvt_f32_f16 v94, v102;
	;;#ASMEND
	;;#ASMSTART
	v_cvt_f32_f16 v95, v103;
	;;#ASMEND
	ds_read_b32 v102, v16 offset:32
	;; [unrolled: 16-line block ×12, first 2 shown]
	v_or_b32_e32 v59, v61, v62
	v_fma_mixlo_f16 v61, v24, v61, 0 op_sel:[0,1,0] op_sel_hi:[0,1,0]
	v_fma_mixlo_f16 v59, v24, v59, 0 op_sel_hi:[0,1,0]
	v_and_b32_e32 v125, 0xffff, v61
	v_and_b32_e32 v59, 0xffff, v59
	s_waitcnt lgkmcnt(0)
	v_and_b32_e32 v62, 0xffff, v57
	v_lshrrev_b32_e32 v57, 16, v57
	;;#ASMSTART
	v_cvt_f32_f16 v61, v62;
	;;#ASMEND
	;;#ASMSTART
	v_cvt_f32_f16 v62, v57;
	;;#ASMEND
	;; [unrolled: 3-line block ×4, first 2 shown]
	ds_read_b32 v57, v16 offset:76
	v_or_b32_e32 v59, v63, v64
	v_fma_mixlo_f16 v63, v24, v63, 0 op_sel:[0,1,0] op_sel_hi:[0,1,0]
	v_fma_mixlo_f16 v59, v24, v59, 0 op_sel_hi:[0,1,0]
	v_and_b32_e32 v127, 0xffff, v63
	v_and_b32_e32 v59, 0xffff, v59
	s_waitcnt lgkmcnt(0)
	v_and_b32_e32 v64, 0xffff, v57
	v_lshrrev_b32_e32 v57, 16, v57
	;;#ASMSTART
	v_cvt_f32_f16 v63, v64;
	;;#ASMEND
	;;#ASMSTART
	v_cvt_f32_f16 v64, v57;
	;;#ASMEND
	;; [unrolled: 3-line block ×4, first 2 shown]
	ds_read_b32 v59, v16 offset:80
	v_or_b32_e32 v57, v65, v66
	v_fma_mixlo_f16 v65, v24, v65, 0 op_sel:[0,1,0] op_sel_hi:[0,1,0]
	v_fma_mixlo_f16 v66, v24, v57, 0 op_sel_hi:[0,1,0]
	v_mul_f32_e32 v57, v100, v101
	v_and_b32_e32 v11, 0xffff, v65
	v_and_b32_e32 v101, 0xffff, v66
	v_fmac_f32_e32 v57, v98, v99
	v_fmac_f32_e32 v57, v90, v91
	v_and_b32_e32 v90, 0xffff, v72
	v_and_b32_e32 v91, 0xffff, v71
	s_waitcnt lgkmcnt(0)
	v_and_b32_e32 v100, 0xffff, v59
	v_lshrrev_b32_e32 v59, 16, v59
	;;#ASMSTART
	v_cvt_f32_f16 v65, v100;
	;;#ASMEND
	;;#ASMSTART
	v_cvt_f32_f16 v66, v59;
	;;#ASMEND
	;; [unrolled: 3-line block ×4, first 2 shown]
	ds_read_b32 v59, v16 offset:84
	v_and_b32_e32 v101, 0xffff, v68
	v_fmac_f32_e32 v57, v32, v87
	v_and_b32_e32 v87, 0xffff, v75
	v_fmac_f32_e32 v57, v27, v30
	v_fmac_f32_e32 v57, v33, v35
	v_fma_mixlo_f16 v33, v24, v79, 0 op_sel:[0,1,0] op_sel_hi:[0,1,0]
	v_fmac_f32_e32 v57, v37, v92
	v_fma_mixlo_f16 v37, v24, v81, 0 op_sel:[0,1,0] op_sel_hi:[0,1,0]
	s_waitcnt lgkmcnt(0)
	v_lshrrev_b32_e32 v100, 16, v59
	v_and_b32_e32 v11, 0xffff, v59
	v_mul_f32_e32 v59, v96, v97
	;;#ASMSTART
	v_cvt_f32_f16 v67, v11;
	;;#ASMEND
	;;#ASMSTART
	v_cvt_f32_f16 v68, v100;
	;;#ASMEND
	;; [unrolled: 3-line block ×4, first 2 shown]
	ds_read_b32 v100, v16 offset:88
	v_fmac_f32_e32 v59, v88, v89
	v_and_b32_e32 v88, 0xffff, v70
	v_and_b32_e32 v89, 0xffff, v69
	v_fmac_f32_e32 v57, v39, v94
	v_fmac_f32_e32 v59, v26, v29
	;; [unrolled: 1-line block ×3, first 2 shown]
	v_fma_mixlo_f16 v41, v24, v83, 0 op_sel:[0,1,0] op_sel_hi:[0,1,0]
	v_fmac_f32_e32 v59, v3, v25
	v_fma_mixlo_f16 v3, v24, v78, 0 op_sel_hi:[0,1,0]
	v_fmac_f32_e32 v57, v43, v104
	v_fmac_f32_e32 v59, v28, v31
	v_and_b32_e32 v27, 0xffff, v3
	v_or_b32_e32 v31, v79, v80
	v_fmac_f32_e32 v57, v45, v106
	s_waitcnt lgkmcnt(0)
	v_and_b32_e32 v11, 0xffff, v100
	v_lshrrev_b32_e32 v12, 16, v100
	;;#ASMSTART
	v_cvt_f32_f16 v69, v11;
	;;#ASMEND
	;;#ASMSTART
	v_cvt_f32_f16 v70, v12;
	;;#ASMEND
	;; [unrolled: 3-line block ×4, first 2 shown]
	ds_read_b32 v100, v16 offset:92
	v_fmac_f32_e32 v59, v34, v36
	v_fmac_f32_e32 v57, v47, v108
	v_fma_mixlo_f16 v31, v24, v31, 0 op_sel_hi:[0,1,0]
	v_or_b32_e32 v36, v81, v82
	v_fma_mixlo_f16 v45, v24, v85, 0 op_sel:[0,1,0] op_sel_hi:[0,1,0]
	v_fmac_f32_e32 v59, v38, v93
	v_fmac_f32_e32 v57, v49, v110
	v_and_b32_e32 v34, 0xffff, v31
	v_fma_mixlo_f16 v36, v24, v36, 0 op_sel_hi:[0,1,0]
	v_fmac_f32_e32 v59, v40, v95
	v_fmac_f32_e32 v57, v51, v112
	v_or_b32_e32 v40, v83, v84
	v_and_b32_e32 v38, 0xffff, v36
	v_fmac_f32_e32 v59, v42, v103
	v_fmac_f32_e32 v57, v53, v114
	v_fma_mixlo_f16 v40, v24, v40, 0 op_sel_hi:[0,1,0]
	s_waitcnt lgkmcnt(0)
	v_and_b32_e32 v11, 0xffff, v100
	v_lshrrev_b32_e32 v12, 16, v100
	;;#ASMSTART
	v_cvt_f32_f16 v71, v11;
	;;#ASMEND
	;;#ASMSTART
	v_cvt_f32_f16 v72, v12;
	;;#ASMEND
	;; [unrolled: 3-line block ×4, first 2 shown]
	ds_read_b32 v100, v16 offset:96
	v_fmac_f32_e32 v59, v44, v105
	v_fmac_f32_e32 v57, v55, v116
	v_and_b32_e32 v42, 0xffff, v40
	v_or_b32_e32 v44, v85, v86
	v_fmac_f32_e32 v59, v46, v107
	v_fmac_f32_e32 v57, v58, v119
	v_fma_mixlo_f16 v44, v24, v44, 0 op_sel_hi:[0,1,0]
	v_fmac_f32_e32 v59, v48, v109
	v_fmac_f32_e32 v57, v60, v122
	;; [unrolled: 1-line block ×4, first 2 shown]
	s_waitcnt lgkmcnt(0)
	v_and_b32_e32 v11, 0xffff, v100
	v_lshrrev_b32_e32 v12, 16, v100
	v_and_b32_e32 v100, 0xffff, v73
	;;#ASMSTART
	v_cvt_f32_f16 v26, v11;
	;;#ASMEND
	;;#ASMSTART
	v_cvt_f32_f16 v29, v12;
	;;#ASMEND
	;; [unrolled: 3-line block ×4, first 2 shown]
	ds_read_b32 v100, v16 offset:100
	v_fmac_f32_e32 v59, v52, v113
	v_fmac_f32_e32 v57, v63, v126
	;; [unrolled: 1-line block ×8, first 2 shown]
	s_waitcnt lgkmcnt(0)
	v_and_b32_e32 v11, 0xffff, v100
	v_lshrrev_b32_e32 v12, 16, v100
	;;#ASMSTART
	v_cvt_f32_f16 v32, v11;
	;;#ASMEND
	;;#ASMSTART
	v_cvt_f32_f16 v75, v12;
	;;#ASMEND
	;;#ASMSTART
	v_cvt_f32_f16 v76, v76;
	;;#ASMEND
	;;#ASMSTART
	v_cvt_f32_f16 v87, v87;
	;;#ASMEND
	ds_read_b32 v100, v16 offset:104
	v_and_b32_e32 v11, 0xffff, v77
	v_fmac_f32_e32 v59, v121, v123
	v_fmac_f32_e32 v57, v71, v90
	;; [unrolled: 1-line block ×7, first 2 shown]
	s_waitcnt lgkmcnt(0)
	v_lshrrev_b32_e32 v25, 16, v100
	v_and_b32_e32 v12, 0xffff, v100
	;;#ASMSTART
	v_cvt_f32_f16 v3, v12;
	;;#ASMEND
	;;#ASMSTART
	v_cvt_f32_f16 v25, v25;
	;;#ASMEND
	;; [unrolled: 3-line block ×4, first 2 shown]
	ds_read_b32 v30, v16 offset:108
	v_and_b32_e32 v11, 0xffff, v33
	v_fmac_f32_e32 v59, v68, v97
	v_fmac_f32_e32 v57, v3, v27
	v_or_b32_e32 v3, v9, v10
	v_xor_b32_e32 v10, 2, v13
	v_fma_mixlo_f16 v9, v24, v9, 0 op_sel:[0,1,0] op_sel_hi:[0,1,0]
	v_fmac_f32_e32 v59, v70, v89
	v_fma_mixlo_f16 v3, v24, v3, 0 op_sel_hi:[0,1,0]
	v_cmp_gt_i32_e64 s2, 32, v10
	v_fmac_f32_e32 v59, v72, v91
	v_and_b32_e32 v24, 0xffff, v3
	v_fmac_f32_e32 v59, v29, v74
	s_waitcnt lgkmcnt(0)
	v_lshrrev_b32_e32 v33, 16, v30
	v_and_b32_e32 v12, 0xffff, v30
	;;#ASMSTART
	v_cvt_f32_f16 v30, v12;
	;;#ASMEND
	;;#ASMSTART
	v_cvt_f32_f16 v31, v33;
	;;#ASMEND
	;; [unrolled: 3-line block ×4, first 2 shown]
	ds_read_b32 v35, v16 offset:112
	v_and_b32_e32 v11, 0xffff, v37
	v_fmac_f32_e32 v59, v75, v87
	v_fmac_f32_e32 v57, v30, v33
	;; [unrolled: 1-line block ×4, first 2 shown]
	s_waitcnt lgkmcnt(0)
	v_lshrrev_b32_e32 v37, 16, v35
	v_and_b32_e32 v12, 0xffff, v35
	;;#ASMSTART
	v_cvt_f32_f16 v35, v12;
	;;#ASMEND
	;;#ASMSTART
	v_cvt_f32_f16 v36, v37;
	;;#ASMEND
	;; [unrolled: 3-line block ×4, first 2 shown]
	ds_read_b32 v39, v16 offset:116
	v_and_b32_e32 v11, 0xffff, v41
	v_fmac_f32_e32 v57, v35, v37
	v_fmac_f32_e32 v59, v36, v38
	s_waitcnt lgkmcnt(0)
	v_lshrrev_b32_e32 v41, 16, v39
	v_and_b32_e32 v12, 0xffff, v39
	;;#ASMSTART
	v_cvt_f32_f16 v39, v12;
	;;#ASMEND
	;;#ASMSTART
	v_cvt_f32_f16 v40, v41;
	;;#ASMEND
	;;#ASMSTART
	v_cvt_f32_f16 v41, v42;
	;;#ASMEND
	;;#ASMSTART
	v_cvt_f32_f16 v42, v11;
	;;#ASMEND
	ds_read_b32 v43, v16 offset:120
	v_and_b32_e32 v11, 0xffff, v45
	v_fmac_f32_e32 v57, v39, v41
	v_fmac_f32_e32 v59, v40, v42
	s_waitcnt lgkmcnt(0)
	v_and_b32_e32 v12, 0xffff, v43
	v_lshrrev_b32_e32 v29, 16, v43
	v_and_b32_e32 v43, 0xffff, v44
	;;#ASMSTART
	v_cvt_f32_f16 v26, v12;
	;;#ASMEND
	;;#ASMSTART
	v_cvt_f32_f16 v29, v29;
	;;#ASMEND
	;; [unrolled: 3-line block ×4, first 2 shown]
	ds_read_b32 v44, v16 offset:124
	v_fmac_f32_e32 v57, v26, v32
	v_fmac_f32_e32 v59, v29, v43
	v_and_b32_e32 v11, 0xffff, v9
	v_cndmask_b32_e64 v9, v13, v10, s2
	s_waitcnt lgkmcnt(0)
	v_and_b32_e32 v10, 0xffff, v44
	v_lshrrev_b32_e32 v12, 16, v44
	;;#ASMSTART
	v_cvt_f32_f16 v3, v10;
	;;#ASMEND
	;;#ASMSTART
	v_cvt_f32_f16 v10, v12;
	;;#ASMEND
	;; [unrolled: 3-line block ×4, first 2 shown]
	v_fmac_f32_e32 v57, v3, v24
	v_fmac_f32_e32 v59, v10, v25
	v_lshlrev_b32_e32 v3, 2, v9
	v_xor_b32_e32 v10, 1, v13
	v_add_f32_e32 v9, v57, v59
	v_cmp_gt_i32_e64 s2, 32, v10
	ds_bpermute_b32 v3, v3, v9
	v_cndmask_b32_e64 v10, v13, v10, s2
	s_waitcnt lgkmcnt(0)
	v_add_f32_e32 v3, v9, v3
	v_lshlrev_b32_e32 v9, 2, v10
	ds_bpermute_b32 v9, v9, v3
	s_and_saveexec_b32 s3, vcc_lo
	s_cbranch_execz .LBB278_9
; %bb.523:                              ;   in Loop: Header=BB278_10 Depth=1
	v_add_nc_u32_e32 v10, s4, v17
	s_waitcnt lgkmcnt(0)
	v_add_f32_e32 v3, v3, v9
	v_cmp_gt_i32_e64 s2, s27, v17
	v_cvt_f32_i32_e32 v10, v10
	v_mul_f32_e32 v10, s36, v10
	v_cndmask_b32_e64 v9, 0, v10, s1
	v_max_f32_e32 v10, v15, v15
	v_fmac_f32_e32 v9, s37, v3
	v_max_f32_e32 v3, v10, v9
	v_cndmask_b32_e64 v9, 0, v9, s2
	v_cndmask_b32_e64 v15, v15, v3, s2
	ds_write_b32 v18, v9
	s_branch .LBB278_9
.LBB278_524:
	s_or_b32 exec_lo, exec_lo, s5
	buffer_load_dword v12, off, s[44:47], 0 ; 4-byte Folded Reload
	v_lshrrev_b32_e32 v11, 5, v0
.LBB278_525:
	s_or_b32 exec_lo, exec_lo, s38
	v_xor_b32_e32 v3, 16, v13
	v_xor_b32_e32 v6, 8, v13
	v_max_f32_e32 v7, v15, v15
	v_xor_b32_e32 v8, 4, v13
	v_cmp_lt_i32_e32 vcc_lo, v3, v14
	v_cndmask_b32_e32 v3, v13, v3, vcc_lo
	v_cmp_lt_i32_e32 vcc_lo, v6, v14
	v_lshlrev_b32_e32 v5, 2, v3
	v_cndmask_b32_e32 v6, v13, v6, vcc_lo
	v_cmp_lt_i32_e32 vcc_lo, v8, v14
	ds_bpermute_b32 v3, v5, v15
	v_lshlrev_b32_e32 v6, 2, v6
	v_cndmask_b32_e32 v8, v13, v8, vcc_lo
	v_and_b32_e32 v15, 31, v0
	s_waitcnt lgkmcnt(0)
	v_lshlrev_b32_e32 v9, 2, v8
	v_cmp_eq_u32_e32 vcc_lo, 0, v15
	v_max_f32_e32 v3, v3, v3
	v_max_f32_e32 v3, v7, v3
	ds_bpermute_b32 v7, v6, v3
	s_waitcnt lgkmcnt(0)
	v_max_f32_e32 v7, v7, v7
	v_max_f32_e32 v3, v3, v7
	v_lshlrev_b32_e32 v7, 2, v11
	ds_bpermute_b32 v8, v9, v3
	s_and_saveexec_b32 s1, vcc_lo
	s_cbranch_execz .LBB278_527
; %bb.526:
	s_waitcnt lgkmcnt(0)
	v_max_f32_e32 v8, v8, v8
	v_max_f32_e32 v3, v3, v3
	;; [unrolled: 1-line block ×3, first 2 shown]
	ds_write_b32 v7, v3 offset:512
.LBB278_527:
	s_or_b32 exec_lo, exec_lo, s1
	v_cmp_gt_u32_e64 s1, 4, v15
	v_mov_b32_e32 v3, 0xff7fffff
	s_waitcnt lgkmcnt(0)
	v_lshlrev_b32_e32 v8, 2, v15
	s_waitcnt vmcnt(0)
	s_waitcnt_vscnt null, 0x0
	s_barrier
	buffer_gl0_inv
	s_and_saveexec_b32 s2, s1
; %bb.528:
	ds_read_b32 v3, v8 offset:512
; %bb.529:
	s_or_b32 exec_lo, exec_lo, s2
	v_xor_b32_e32 v10, 2, v13
	v_xor_b32_e32 v17, 1, v13
	v_lshlrev_b32_e32 v4, 2, v4
	v_cmp_lt_i32_e64 s2, v10, v14
	v_cndmask_b32_e64 v10, v13, v10, s2
	v_cmp_lt_i32_e64 s2, v17, v14
	v_lshlrev_b32_e32 v10, 2, v10
	v_cndmask_b32_e64 v14, v13, v17, s2
	s_sub_i32 s2, s11, s19
	s_lshl_b32 s2, s2, 3
	s_waitcnt lgkmcnt(0)
	ds_bpermute_b32 v16, v10, v3
	v_max_f32_e32 v3, v3, v3
	v_lshlrev_b32_e32 v14, 2, v14
	s_add_i32 s2, s2, s33
	s_min_i32 s2, s2, s27
	s_sub_i32 s4, s2, s33
	v_cmp_gt_i32_e64 s2, s4, v0
	s_waitcnt lgkmcnt(0)
	v_max_f32_e32 v16, v16, v16
	v_max_f32_e32 v3, v3, v16
	ds_bpermute_b32 v16, v14, v3
	s_waitcnt lgkmcnt(0)
	v_max_f32_e32 v16, v16, v16
	v_max_f32_e32 v3, v3, v16
	v_mov_b32_e32 v16, 0
	ds_bpermute_b32 v3, v4, v3
	v_lshl_add_u32 v4, v0, 2, 0x220
	s_and_saveexec_b32 s5, s2
	s_cbranch_execz .LBB278_533
; %bb.530:
	v_lshl_add_u32 v17, v0, 2, 0x220
	v_mov_b32_e32 v16, 0
	v_mov_b32_e32 v18, v0
	s_mov_b32 s12, 0
	.p2align	6
.LBB278_531:                            ; =>This Inner Loop Header: Depth=1
	ds_read_b32 v19, v17
	v_add_nc_u32_e32 v18, 0x80, v18
	v_cmp_le_i32_e64 s3, s4, v18
	s_or_b32 s12, s3, s12
	s_waitcnt lgkmcnt(0)
	v_sub_f32_e32 v19, v19, v3
	v_mul_f32_e32 v19, 0x3fb8aa3b, v19
	v_exp_f32_e32 v19, v19
	ds_write_b32 v17, v19
	v_add_f32_e32 v16, v16, v19
	v_add_nc_u32_e32 v17, 0x200, v17
	s_andn2_b32 exec_lo, exec_lo, s12
	s_cbranch_execnz .LBB278_531
; %bb.532:
	s_or_b32 exec_lo, exec_lo, s12
.LBB278_533:
	s_or_b32 exec_lo, exec_lo, s5
	ds_bpermute_b32 v5, v5, v16
	s_waitcnt lgkmcnt(0)
	v_add_f32_e32 v5, v16, v5
	ds_bpermute_b32 v6, v6, v5
	s_waitcnt lgkmcnt(0)
	v_add_f32_e32 v5, v5, v6
	;; [unrolled: 3-line block ×5, first 2 shown]
	s_and_saveexec_b32 s3, vcc_lo
; %bb.534:
	ds_write_b32 v7, v5 offset:528
; %bb.535:
	s_or_b32 exec_lo, exec_lo, s3
	s_waitcnt lgkmcnt(0)
	s_barrier
	buffer_gl0_inv
	s_and_saveexec_b32 s3, s1
; %bb.536:
	ds_read_b32 v5, v8 offset:528
; %bb.537:
	s_or_b32 exec_lo, exec_lo, s3
	s_waitcnt lgkmcnt(0)
	ds_bpermute_b32 v6, v10, v5
	v_lshlrev_b32_e32 v7, 2, v13
	s_waitcnt lgkmcnt(0)
	v_add_f32_e32 v5, v5, v6
	ds_bpermute_b32 v6, v14, v5
	s_waitcnt lgkmcnt(0)
	v_add_f32_e32 v5, v5, v6
	v_and_b32_e32 v6, 0xffffff80, v7
	ds_bpermute_b32 v5, v6, v5
	s_and_saveexec_b32 s1, s2
	s_cbranch_execz .LBB278_540
; %bb.538:
	s_waitcnt lgkmcnt(0)
	v_add_f32_e32 v6, 0x358637bd, v5
	s_mov_b32 s2, 0
	v_div_scale_f32 v7, null, v6, v6, 1.0
	v_div_scale_f32 v10, vcc_lo, 1.0, v6, 1.0
	v_rcp_f32_e32 v8, v7
	v_fma_f32 v9, -v7, v8, 1.0
	v_fmac_f32_e32 v8, v9, v8
	v_mul_f32_e32 v9, v10, v8
	v_fma_f32 v13, -v7, v9, v10
	v_fmac_f32_e32 v9, v13, v8
	v_fma_f32 v7, -v7, v9, v10
	v_div_fmas_f32 v7, v7, v8, v9
	v_div_fixup_f32 v6, v7, v6, 1.0
	v_mov_b32_e32 v7, v0
.LBB278_539:                            ; =>This Inner Loop Header: Depth=1
	ds_read_b32 v8, v4
	v_add_nc_u32_e32 v7, 0x80, v7
	v_cmp_le_i32_e32 vcc_lo, s4, v7
	s_or_b32 s2, vcc_lo, s2
	s_waitcnt lgkmcnt(0)
	v_mul_f32_e32 v8, v6, v8
	ds_write_b32 v4, v8
	v_add_nc_u32_e32 v4, 0x200, v4
	s_andn2_b32 exec_lo, exec_lo, s2
	s_cbranch_execnz .LBB278_539
.LBB278_540:
	s_or_b32 exec_lo, exec_lo, s1
	s_mul_i32 s1, s7, s26
	s_waitcnt lgkmcnt(0)
	s_mul_i32 s2, s1, s9
	s_mov_b32 s1, exec_lo
	s_barrier
	buffer_gl0_inv
	v_cmpx_eq_u32_e32 0, v0
	s_cbranch_execz .LBB278_542
; %bb.541:
	s_ashr_i32 s3, s2, 31
	s_mul_i32 s12, s7, s6
	s_lshl_b64 s[4:5], s[2:3], 2
	v_mov_b32_e32 v4, 0
	s_add_u32 s3, s22, s4
	s_addc_u32 s6, s23, s5
	s_ashr_i32 s13, s12, 31
	s_lshl_b64 s[12:13], s[12:13], 2
	s_add_u32 s3, s3, s12
	s_addc_u32 s6, s6, s13
	s_ashr_i32 s9, s8, 31
	s_lshl_b64 s[22:23], s[8:9], 2
	s_add_u32 s36, s3, s22
	s_addc_u32 s37, s6, s23
	s_add_u32 s3, s20, s4
	s_addc_u32 s4, s21, s5
	;; [unrolled: 2-line block ×4, first 2 shown]
	global_store_dword v4, v3, s[36:37]
	global_store_dword v4, v5, s[4:5]
.LBB278_542:
	s_or_b32 exec_lo, exec_lo, s1
	v_mov_b32_e32 v21, 0
	v_mov_b32_e32 v20, 0
	;; [unrolled: 1-line block ×8, first 2 shown]
	s_and_saveexec_b32 s1, s0
	s_cbranch_execz .LBB278_1074
; %bb.543:
	v_lshlrev_b32_e32 v4, 3, v15
	s_ashr_i32 s0, s18, 31
	s_add_u32 s4, s34, s18
	s_addc_u32 s0, s35, s0
	v_lshlrev_b64 v[6:7], 2, v[1:2]
	v_add_co_u32 v4, s4, s4, v4
	v_add_co_ci_u32_e64 v5, null, s0, 0, s4
	s_lshl_b64 s[4:5], s[30:31], 2
	s_add_i32 s16, s16, -1
	s_add_u32 s0, s28, s4
	s_addc_u32 s4, s29, s5
	v_add_co_u32 v6, vcc_lo, s0, v6
	v_mov_b32_e32 v3, 0
	v_add3_u32 v22, s33, v12, 7
	v_mov_b32_e32 v12, v11
	v_lshl_add_u32 v23, v11, 5, 0x220
	v_add_co_ci_u32_e64 v7, null, s4, v7, vcc_lo
	v_mov_b32_e32 v24, 0x80
	v_mov_b32_e32 v25, 0x7f
	;; [unrolled: 1-line block ×12, first 2 shown]
	s_mov_b32 s4, -1
	s_mov_b32 s3, s17
	s_mov_b32 s5, 0xffffff
	;; [unrolled: 1-line block ×3, first 2 shown]
	s_branch .LBB278_545
.LBB278_544:                            ;   in Loop: Header=BB278_545 Depth=1
	s_or_b32 exec_lo, exec_lo, s0
	v_add_f32_e32 v10, v10, v11
	v_add_f32_e32 v11, v49, v50
	v_add_nc_u32_e32 v1, 4, v1
	v_add_f32_e32 v28, v47, v48
	v_add_f32_e32 v29, v45, v46
	;; [unrolled: 1-line block ×3, first 2 shown]
	;;#ASMSTART
	v_pk_mul_f16 v10, v39, v51;

	;;#ASMEND
	;;#ASMSTART
	v_pk_mul_f16 v2, v37, v2;

	;;#ASMEND
	;; [unrolled: 4-line block ×4, first 2 shown]
	;;#ASMSTART
	v_pk_add_f16 v2, v10, v2;

	;;#ASMEND
	;;#ASMSTART
	v_pk_add_f16 v2, v2, v9;

	;;#ASMEND
	;;#ASMSTART
	v_pk_add_f16 v2, v2, v8;

	;;#ASMEND
	v_and_b32_e32 v10, 0xffff, v2
	v_add_f32_e32 v16, v16, v11
	v_lshrrev_b32_e32 v11, 16, v2
	;;#ASMSTART
	v_cvt_f32_f16 v10, v10;
	;;#ASMEND
	v_add_f32_e32 v2, v43, v44
	v_add_f32_e32 v8, v41, v42
	;; [unrolled: 1-line block ×3, first 2 shown]
	;;#ASMSTART
	v_cvt_f32_f16 v11, v11;
	;;#ASMEND
	v_add_f32_e32 v10, v10, v11
	v_cmp_le_i32_e32 vcc_lo, s11, v1
	v_add_co_u32 v6, s0, v6, 16
	v_add_f32_e32 v17, v17, v28
	v_add_f32_e32 v18, v18, v29
	;; [unrolled: 1-line block ×6, first 2 shown]
	v_add_nc_u32_e32 v22, 32, v22
	v_add_nc_u32_e32 v23, 0x80, v23
	v_add_co_ci_u32_e64 v7, null, 0, v7, s0
	s_or_b32 s6, vcc_lo, s6
	s_andn2_b32 exec_lo, exec_lo, s6
	s_cbranch_execz .LBB278_1073
.LBB278_545:                            ; =>This Inner Loop Header: Depth=1
	global_load_dword v2, v[6:7], off
	ds_read2_b64 v[28:31], v23 offset1:1
	ds_read2_b64 v[41:44], v23 offset0:2 offset1:3
	s_waitcnt lgkmcnt(1)
	;;#ASMSTART
	v_cvt_f16_f32 v35, v28;

	;;#ASMEND
	;;#ASMSTART
	v_cvt_f16_f32 v36, v29;

	;;#ASMEND
	;; [unrolled: 4-line block ×4, first 2 shown]
	s_waitcnt lgkmcnt(0)
	;;#ASMSTART
	v_cvt_f16_f32 v41, v41;

	;;#ASMEND
	;;#ASMSTART
	v_cvt_f16_f32 v38, v42;

	;;#ASMEND
	;; [unrolled: 4-line block ×4, first 2 shown]
	v_mov_b32_e32 v30, 0
	s_waitcnt vmcnt(0)
	v_mad_i64_i32 v[8:9], null, v2, s3, v[4:5]
	global_load_dwordx2 v[10:11], v[8:9], off
	global_load_dword v29, v3, s[14:15]
	s_waitcnt vmcnt(1)
	v_cmp_ne_u16_sdwa s9, v10, v3 src0_sel:BYTE_0 src1_sel:DWORD
	s_and_saveexec_b32 s0, s9
	s_cbranch_execz .LBB278_553
; %bb.546:                              ;   in Loop: Header=BB278_545 Depth=1
	v_cmp_ne_u16_sdwa s12, v10, v24 src0_sel:BYTE_0 src1_sel:DWORD
	v_mov_b32_e32 v30, 0x8000
	s_and_saveexec_b32 s9, s12
	s_cbranch_execz .LBB278_552
; %bb.547:                              ;   in Loop: Header=BB278_545 Depth=1
	v_and_b32_e32 v31, 0x7f, v10
	v_mov_b32_e32 v30, 0x7c01
	s_mov_b32 s12, exec_lo
	v_cmpx_ne_u32_e32 0x7f, v31
	s_cbranch_execz .LBB278_551
; %bb.548:                              ;   in Loop: Header=BB278_545 Depth=1
	v_and_b32_e32 v2, 7, v10
	v_lshrrev_b32_e32 v28, 3, v31
	s_mov_b32 s13, exec_lo
	v_cmpx_gt_u32_e32 8, v31
; %bb.549:                              ;   in Loop: Header=BB278_545 Depth=1
	v_ffbh_u32_e32 v2, v2
	v_min_u32_e32 v2, 32, v2
	v_subrev_nc_u32_e32 v28, 28, v2
	v_lshlrev_b64 v[30:31], v28, v[10:11]
	v_sub_nc_u32_e32 v28, 29, v2
	v_and_b32_e32 v2, 7, v30
; %bb.550:                              ;   in Loop: Header=BB278_545 Depth=1
	s_or_b32 exec_lo, exec_lo, s13
	v_lshlrev_b32_e32 v30, 8, v10
	v_lshl_add_u32 v28, v28, 10, 0x2000
	v_lshlrev_b32_e32 v2, 7, v2
	v_and_b32_e32 v30, 0x8000, v30
	v_and_b32_e32 v28, 0xfc00, v28
	v_or3_b32 v30, v30, v28, v2
.LBB278_551:                            ;   in Loop: Header=BB278_545 Depth=1
	s_or_b32 exec_lo, exec_lo, s12
.LBB278_552:                            ;   in Loop: Header=BB278_545 Depth=1
	s_or_b32 exec_lo, exec_lo, s9
.LBB278_553:                            ;   in Loop: Header=BB278_545 Depth=1
	s_or_b32 exec_lo, exec_lo, s0
	v_lshrrev_b16 v2, 8, v10
	v_mov_b32_e32 v28, 0
	v_mov_b32_e32 v31, 0
	s_mov_b32 s0, exec_lo
	v_cmpx_ne_u16_e32 0, v2
	s_cbranch_execz .LBB278_561
; %bb.554:                              ;   in Loop: Header=BB278_545 Depth=1
	v_bfrev_b32_e32 v31, 1
	s_mov_b32 s9, exec_lo
	v_cmpx_ne_u16_e32 0x80, v2
	s_cbranch_execz .LBB278_560
; %bb.555:                              ;   in Loop: Header=BB278_545 Depth=1
	v_and_b32_sdwa v33, v2, v25 dst_sel:DWORD dst_unused:UNUSED_PAD src0_sel:WORD_0 src1_sel:DWORD
	v_mov_b32_e32 v31, 0x7c010000
	s_mov_b32 s12, exec_lo
	v_cmpx_ne_u32_e32 0x7f, v33
	s_cbranch_execz .LBB278_559
; %bb.556:                              ;   in Loop: Header=BB278_545 Depth=1
	v_and_b32_sdwa v31, v2, v26 dst_sel:DWORD dst_unused:UNUSED_PAD src0_sel:WORD_0 src1_sel:DWORD
	v_lshrrev_b32_e32 v32, 3, v33
	s_mov_b32 s13, exec_lo
	v_cmpx_gt_u32_e32 8, v33
; %bb.557:                              ;   in Loop: Header=BB278_545 Depth=1
	v_ffbh_u32_e32 v31, v31
	v_min_u32_e32 v33, 32, v31
	v_subrev_nc_u32_e32 v31, 28, v33
	v_lshlrev_b64 v[31:32], v31, v[2:3]
	v_sub_nc_u32_e32 v32, 29, v33
	v_and_b32_e32 v31, 7, v31
; %bb.558:                              ;   in Loop: Header=BB278_545 Depth=1
	s_or_b32 exec_lo, exec_lo, s13
	v_lshlrev_b32_sdwa v2, v27, v2 dst_sel:DWORD dst_unused:UNUSED_PAD src0_sel:DWORD src1_sel:WORD_0
	v_lshl_add_u32 v32, v32, 10, 0x2000
	v_lshlrev_b32_e32 v31, 23, v31
	v_and_or_b32 v2, 0x8000, v2, v32
	v_lshl_or_b32 v31, v2, 16, v31
.LBB278_559:                            ;   in Loop: Header=BB278_545 Depth=1
	s_or_b32 exec_lo, exec_lo, s12
.LBB278_560:                            ;   in Loop: Header=BB278_545 Depth=1
	s_or_b32 exec_lo, exec_lo, s9
.LBB278_561:                            ;   in Loop: Header=BB278_545 Depth=1
	s_or_b32 exec_lo, exec_lo, s0
	v_lshrrev_b32_e32 v2, 16, v10
	v_cmp_ne_u16_sdwa s9, v2, v3 src0_sel:BYTE_0 src1_sel:DWORD
	s_and_saveexec_b32 s0, s9
	s_cbranch_execz .LBB278_569
; %bb.562:                              ;   in Loop: Header=BB278_545 Depth=1
	v_cmp_ne_u16_sdwa s12, v2, v24 src0_sel:BYTE_0 src1_sel:DWORD
	v_mov_b32_e32 v28, 0x8000
	s_and_saveexec_b32 s9, s12
	s_cbranch_execz .LBB278_568
; %bb.563:                              ;   in Loop: Header=BB278_545 Depth=1
	v_bfe_u32 v33, v10, 16, 7
	v_mov_b32_e32 v28, 0x7c01
	s_mov_b32 s12, exec_lo
	v_cmpx_ne_u32_e32 0x7f, v33
	s_cbranch_execz .LBB278_567
; %bb.564:                              ;   in Loop: Header=BB278_545 Depth=1
	v_and_b32_e32 v28, 7, v2
	v_lshrrev_b32_e32 v32, 3, v33
	s_mov_b32 s13, exec_lo
	v_cmpx_gt_u32_e32 8, v33
; %bb.565:                              ;   in Loop: Header=BB278_545 Depth=1
	v_ffbh_u32_e32 v28, v28
	v_min_u32_e32 v28, 32, v28
	v_subrev_nc_u32_e32 v32, 28, v28
	v_lshlrev_b64 v[33:34], v32, v[2:3]
	v_sub_nc_u32_e32 v32, 29, v28
	v_and_b32_e32 v28, 7, v33
; %bb.566:                              ;   in Loop: Header=BB278_545 Depth=1
	s_or_b32 exec_lo, exec_lo, s13
	v_lshlrev_b32_e32 v2, 8, v2
	v_lshl_add_u32 v32, v32, 10, 0x2000
	v_lshlrev_b32_e32 v28, 7, v28
	v_and_b32_e32 v2, 0x8000, v2
	v_and_b32_e32 v32, 0xfc00, v32
	v_or3_b32 v28, v2, v32, v28
.LBB278_567:                            ;   in Loop: Header=BB278_545 Depth=1
	s_or_b32 exec_lo, exec_lo, s12
.LBB278_568:                            ;   in Loop: Header=BB278_545 Depth=1
	s_or_b32 exec_lo, exec_lo, s9
.LBB278_569:                            ;   in Loop: Header=BB278_545 Depth=1
	s_or_b32 exec_lo, exec_lo, s0
	v_mov_b32_e32 v32, 0
	v_mov_b32_e32 v33, 0
	s_mov_b32 s0, exec_lo
	v_cmpx_lt_u32_e32 0xffffff, v10
	s_cbranch_execz .LBB278_577
; %bb.570:                              ;   in Loop: Header=BB278_545 Depth=1
	v_lshrrev_b32_e32 v2, 24, v10
	v_bfrev_b32_e32 v33, 1
	s_mov_b32 s9, exec_lo
	v_cmpx_ne_u32_e32 0x80, v2
	s_cbranch_execz .LBB278_576
; %bb.571:                              ;   in Loop: Header=BB278_545 Depth=1
	v_and_b32_e32 v43, 0x7f, v2
	v_mov_b32_e32 v33, 0x7c010000
	s_mov_b32 s12, exec_lo
	v_cmpx_ne_u32_e32 0x7f, v43
	s_cbranch_execz .LBB278_575
; %bb.572:                              ;   in Loop: Header=BB278_545 Depth=1
	v_and_b32_e32 v33, 7, v2
	v_lshrrev_b32_e32 v34, 3, v43
	s_mov_b32 s13, exec_lo
	v_cmpx_gt_u32_e32 8, v43
; %bb.573:                              ;   in Loop: Header=BB278_545 Depth=1
	v_ffbh_u32_e32 v33, v33
	v_min_u32_e32 v43, 32, v33
	v_subrev_nc_u32_e32 v33, 28, v43
	v_lshlrev_b64 v[33:34], v33, v[2:3]
	v_sub_nc_u32_e32 v34, 29, v43
	v_and_b32_e32 v33, 7, v33
; %bb.574:                              ;   in Loop: Header=BB278_545 Depth=1
	s_or_b32 exec_lo, exec_lo, s13
	v_lshlrev_b32_e32 v2, 8, v2
	v_lshl_add_u32 v34, v34, 10, 0x2000
	v_lshlrev_b32_e32 v33, 23, v33
	v_and_or_b32 v2, 0x8000, v2, v34
	v_lshl_or_b32 v33, v2, 16, v33
.LBB278_575:                            ;   in Loop: Header=BB278_545 Depth=1
	s_or_b32 exec_lo, exec_lo, s12
.LBB278_576:                            ;   in Loop: Header=BB278_545 Depth=1
	s_or_b32 exec_lo, exec_lo, s9
.LBB278_577:                            ;   in Loop: Header=BB278_545 Depth=1
	s_or_b32 exec_lo, exec_lo, s0
	v_mov_b32_e32 v2, v11
	v_cmp_ne_u16_sdwa s9, v11, v3 src0_sel:BYTE_0 src1_sel:DWORD
	s_and_saveexec_b32 s0, s9
	s_cbranch_execz .LBB278_585
; %bb.578:                              ;   in Loop: Header=BB278_545 Depth=1
	v_cmp_ne_u16_sdwa s12, v11, v24 src0_sel:BYTE_0 src1_sel:DWORD
	v_mov_b32_e32 v32, 0x8000
	s_and_saveexec_b32 s9, s12
	s_cbranch_execz .LBB278_584
; %bb.579:                              ;   in Loop: Header=BB278_545 Depth=1
	v_and_b32_e32 v43, 0x7f, v11
	v_mov_b32_e32 v32, 0x7c01
	s_mov_b32 s12, exec_lo
	v_cmpx_ne_u32_e32 0x7f, v43
	s_cbranch_execz .LBB278_583
; %bb.580:                              ;   in Loop: Header=BB278_545 Depth=1
	v_and_b32_e32 v32, 7, v11
	v_lshrrev_b32_e32 v34, 3, v43
	s_mov_b32 s13, exec_lo
	v_cmpx_gt_u32_e32 8, v43
; %bb.581:                              ;   in Loop: Header=BB278_545 Depth=1
	v_ffbh_u32_e32 v32, v32
	v_min_u32_e32 v32, 32, v32
	v_subrev_nc_u32_e32 v34, 28, v32
	v_lshlrev_b64 v[43:44], v34, v[2:3]
	v_sub_nc_u32_e32 v34, 29, v32
	v_and_b32_e32 v32, 7, v43
; %bb.582:                              ;   in Loop: Header=BB278_545 Depth=1
	s_or_b32 exec_lo, exec_lo, s13
	v_lshlrev_b32_e32 v43, 8, v11
	v_lshl_add_u32 v34, v34, 10, 0x2000
	v_lshlrev_b32_e32 v32, 7, v32
	v_and_b32_e32 v43, 0x8000, v43
	v_and_b32_e32 v34, 0xfc00, v34
	v_or3_b32 v32, v43, v34, v32
.LBB278_583:                            ;   in Loop: Header=BB278_545 Depth=1
	s_or_b32 exec_lo, exec_lo, s12
.LBB278_584:                            ;   in Loop: Header=BB278_545 Depth=1
	s_or_b32 exec_lo, exec_lo, s9
.LBB278_585:                            ;   in Loop: Header=BB278_545 Depth=1
	s_or_b32 exec_lo, exec_lo, s0
	v_lshrrev_b16 v2, 8, v2
	v_mov_b32_e32 v43, 0
	v_mov_b32_e32 v34, 0
	s_mov_b32 s0, exec_lo
	v_cmpx_ne_u16_e32 0, v2
	s_cbranch_execz .LBB278_593
; %bb.586:                              ;   in Loop: Header=BB278_545 Depth=1
	v_bfrev_b32_e32 v34, 1
	s_mov_b32 s9, exec_lo
	v_cmpx_ne_u16_e32 0x80, v2
	s_cbranch_execz .LBB278_592
; %bb.587:                              ;   in Loop: Header=BB278_545 Depth=1
	v_and_b32_sdwa v45, v2, v25 dst_sel:DWORD dst_unused:UNUSED_PAD src0_sel:WORD_0 src1_sel:DWORD
	v_mov_b32_e32 v34, 0x7c010000
	s_mov_b32 s12, exec_lo
	v_cmpx_ne_u32_e32 0x7f, v45
	s_cbranch_execz .LBB278_591
; %bb.588:                              ;   in Loop: Header=BB278_545 Depth=1
	v_and_b32_sdwa v34, v2, v26 dst_sel:DWORD dst_unused:UNUSED_PAD src0_sel:WORD_0 src1_sel:DWORD
	v_lshrrev_b32_e32 v44, 3, v45
	s_mov_b32 s13, exec_lo
	v_cmpx_gt_u32_e32 8, v45
; %bb.589:                              ;   in Loop: Header=BB278_545 Depth=1
	v_ffbh_u32_e32 v34, v34
	v_min_u32_e32 v34, 32, v34
	v_subrev_nc_u32_e32 v44, 28, v34
	v_lshlrev_b64 v[45:46], v44, v[2:3]
	v_sub_nc_u32_e32 v44, 29, v34
	v_and_b32_e32 v34, 7, v45
; %bb.590:                              ;   in Loop: Header=BB278_545 Depth=1
	s_or_b32 exec_lo, exec_lo, s13
	v_lshlrev_b32_sdwa v2, v27, v2 dst_sel:DWORD dst_unused:UNUSED_PAD src0_sel:DWORD src1_sel:WORD_0
	v_lshl_add_u32 v44, v44, 10, 0x2000
	v_lshlrev_b32_e32 v34, 23, v34
	v_and_or_b32 v2, 0x8000, v2, v44
	v_lshl_or_b32 v34, v2, 16, v34
.LBB278_591:                            ;   in Loop: Header=BB278_545 Depth=1
	s_or_b32 exec_lo, exec_lo, s12
.LBB278_592:                            ;   in Loop: Header=BB278_545 Depth=1
	s_or_b32 exec_lo, exec_lo, s9
.LBB278_593:                            ;   in Loop: Header=BB278_545 Depth=1
	s_or_b32 exec_lo, exec_lo, s0
	v_lshrrev_b32_e32 v2, 16, v11
	v_cmp_ne_u16_sdwa s9, v2, v3 src0_sel:BYTE_0 src1_sel:DWORD
	s_and_saveexec_b32 s0, s9
	s_cbranch_execz .LBB278_601
; %bb.594:                              ;   in Loop: Header=BB278_545 Depth=1
	v_cmp_ne_u16_sdwa s12, v2, v24 src0_sel:BYTE_0 src1_sel:DWORD
	v_mov_b32_e32 v43, 0x8000
	s_and_saveexec_b32 s9, s12
	s_cbranch_execz .LBB278_600
; %bb.595:                              ;   in Loop: Header=BB278_545 Depth=1
	v_bfe_u32 v45, v11, 16, 7
	v_mov_b32_e32 v43, 0x7c01
	s_mov_b32 s12, exec_lo
	v_cmpx_ne_u32_e32 0x7f, v45
	s_cbranch_execz .LBB278_599
; %bb.596:                              ;   in Loop: Header=BB278_545 Depth=1
	v_and_b32_e32 v43, 7, v2
	v_lshrrev_b32_e32 v44, 3, v45
	s_mov_b32 s13, exec_lo
	v_cmpx_gt_u32_e32 8, v45
; %bb.597:                              ;   in Loop: Header=BB278_545 Depth=1
	v_ffbh_u32_e32 v43, v43
	v_min_u32_e32 v45, 32, v43
	v_subrev_nc_u32_e32 v43, 28, v45
	v_lshlrev_b64 v[43:44], v43, v[2:3]
	v_sub_nc_u32_e32 v44, 29, v45
	v_and_b32_e32 v43, 7, v43
; %bb.598:                              ;   in Loop: Header=BB278_545 Depth=1
	s_or_b32 exec_lo, exec_lo, s13
	v_lshlrev_b32_e32 v2, 8, v2
	v_lshl_add_u32 v44, v44, 10, 0x2000
	v_lshlrev_b32_e32 v43, 7, v43
	v_and_b32_e32 v2, 0x8000, v2
	v_and_b32_e32 v44, 0xfc00, v44
	v_or3_b32 v43, v2, v44, v43
.LBB278_599:                            ;   in Loop: Header=BB278_545 Depth=1
	s_or_b32 exec_lo, exec_lo, s12
.LBB278_600:                            ;   in Loop: Header=BB278_545 Depth=1
	s_or_b32 exec_lo, exec_lo, s9
.LBB278_601:                            ;   in Loop: Header=BB278_545 Depth=1
	s_or_b32 exec_lo, exec_lo, s0
	v_cmp_lt_u64_e32 vcc_lo, s[4:5], v[10:11]
	v_mov_b32_e32 v10, 0
	s_and_saveexec_b32 s0, vcc_lo
	s_cbranch_execz .LBB278_609
; %bb.602:                              ;   in Loop: Header=BB278_545 Depth=1
	v_lshrrev_b32_e32 v2, 24, v11
	v_bfrev_b32_e32 v10, 1
	s_mov_b32 s9, exec_lo
	v_cmpx_ne_u32_e32 0x80, v2
	s_cbranch_execz .LBB278_608
; %bb.603:                              ;   in Loop: Header=BB278_545 Depth=1
	v_and_b32_e32 v44, 0x7f, v2
	v_mov_b32_e32 v10, 0x7c010000
	s_mov_b32 s12, exec_lo
	v_cmpx_ne_u32_e32 0x7f, v44
	s_cbranch_execz .LBB278_607
; %bb.604:                              ;   in Loop: Header=BB278_545 Depth=1
	v_and_b32_e32 v10, 7, v2
	v_lshrrev_b32_e32 v11, 3, v44
	s_mov_b32 s13, exec_lo
	v_cmpx_gt_u32_e32 8, v44
; %bb.605:                              ;   in Loop: Header=BB278_545 Depth=1
	v_ffbh_u32_e32 v10, v10
	v_min_u32_e32 v44, 32, v10
	v_subrev_nc_u32_e32 v10, 28, v44
	v_lshlrev_b64 v[10:11], v10, v[2:3]
	v_sub_nc_u32_e32 v11, 29, v44
	v_and_b32_e32 v10, 7, v10
; %bb.606:                              ;   in Loop: Header=BB278_545 Depth=1
	s_or_b32 exec_lo, exec_lo, s13
	v_lshlrev_b32_e32 v2, 8, v2
	v_lshl_add_u32 v11, v11, 10, 0x2000
	v_lshlrev_b32_e32 v10, 23, v10
	v_and_or_b32 v2, 0x8000, v2, v11
	v_lshl_or_b32 v10, v2, 16, v10
.LBB278_607:                            ;   in Loop: Header=BB278_545 Depth=1
	s_or_b32 exec_lo, exec_lo, s12
.LBB278_608:                            ;   in Loop: Header=BB278_545 Depth=1
	s_or_b32 exec_lo, exec_lo, s9
.LBB278_609:                            ;   in Loop: Header=BB278_545 Depth=1
	s_or_b32 exec_lo, exec_lo, s0
	v_or_b32_e32 v2, v33, v28
	s_waitcnt vmcnt(0)
	v_fma_mixlo_f16 v11, v29, v33, 0 op_sel:[0,1,0] op_sel_hi:[0,1,0]
	v_or_b32_e32 v30, v31, v30
	v_fma_mixlo_f16 v31, v29, v31, 0 op_sel:[0,1,0] op_sel_hi:[0,1,0]
	v_or_b32_e32 v32, v34, v32
	v_fma_mixlo_f16 v2, v29, v2, 0 op_sel_hi:[0,1,0]
	v_or_b32_e32 v33, v10, v43
	v_fma_mixlo_f16 v10, v29, v10, 0 op_sel:[0,1,0] op_sel_hi:[0,1,0]
	v_lshlrev_b32_e32 v49, 16, v31
	v_fma_mixlo_f16 v31, v29, v32, 0 op_sel_hi:[0,1,0]
	v_and_b32_e32 v46, 0xffff, v2
	v_fma_mixlo_f16 v2, v29, v30, 0 op_sel_hi:[0,1,0]
	v_fma_mixlo_f16 v30, v29, v34, 0 op_sel:[0,1,0] op_sel_hi:[0,1,0]
	v_fma_mixlo_f16 v29, v29, v33, 0 op_sel_hi:[0,1,0]
	v_lshlrev_b32_e32 v11, 16, v11
	v_and_b32_e32 v50, 0xffff, v31
	v_and_b32_e32 v51, 0xffff, v2
	v_lshlrev_b32_e32 v47, 16, v30
	v_lshlrev_b32_e32 v44, 16, v10
	v_and_b32_e32 v48, 0xffff, v29
	v_add_nc_u32_e32 v28, -7, v22
	v_cmp_eq_u32_e32 vcc_lo, s16, v1
	v_or_b32_e32 v2, v11, v46
	v_or_b32_e32 v10, v49, v51
	;; [unrolled: 1-line block ×4, first 2 shown]
	v_add_nc_u32_e32 v34, -6, v22
	v_add_nc_u32_e32 v33, -5, v22
	;; [unrolled: 1-line block ×6, first 2 shown]
	s_and_saveexec_b32 s9, vcc_lo
	s_cbranch_execz .LBB278_611
; %bb.610:                              ;   in Loop: Header=BB278_545 Depth=1
	v_cmp_gt_i32_e64 s0, s27, v28
	v_cndmask_b32_e64 v2, 0, v51, s0
	v_cmp_gt_i32_e64 s0, s27, v34
	v_cndmask_b32_e64 v10, 0, v49, s0
	v_cmp_gt_i32_e64 s0, s27, v33
	v_or_b32_e32 v10, v10, v2
	v_cndmask_b32_e64 v43, 0, v46, s0
	v_cmp_gt_i32_e64 s0, s27, v32
	v_cndmask_b32_e64 v11, 0, v11, s0
	v_cmp_gt_i32_e64 s0, s27, v31
	v_or_b32_e32 v2, v11, v43
	;; [unrolled: 5-line block ×3, first 2 shown]
	v_cndmask_b32_e64 v47, 0, v48, s0
	v_cmp_gt_i32_e64 s0, s27, v22
	v_cndmask_b32_e64 v44, 0, v44, s0
	v_or_b32_e32 v45, v44, v47
.LBB278_611:                            ;   in Loop: Header=BB278_545 Depth=1
	s_or_b32 exec_lo, exec_lo, s9
	v_and_b32_e32 v11, 0xffff, v35
	v_and_b32_e32 v35, 0xffff, v39
	;; [unrolled: 1-line block ×4, first 2 shown]
	v_lshl_or_b32 v39, v36, 16, v11
	v_lshl_or_b32 v37, v37, 16, v35
	;;#ASMSTART
	v_pk_mul_f16 v10, v39, v10;

	;;#ASMEND
	;;#ASMSTART
	v_pk_mul_f16 v2, v37, v2;

	;;#ASMEND
	v_lshl_or_b32 v36, v38, 16, v41
	v_lshl_or_b32 v35, v40, 16, v42
	;;#ASMSTART
	v_pk_mul_f16 v11, v36, v43;

	;;#ASMEND
	;;#ASMSTART
	v_pk_mul_f16 v38, v35, v45;

	;;#ASMEND
	;;#ASMSTART
	v_pk_add_f16 v2, v10, v2;

	;;#ASMEND
	;;#ASMSTART
	v_pk_add_f16 v2, v2, v11;
	;; [unrolled: 4-line block ×3, first 2 shown]

	;;#ASMEND
	v_and_b32_e32 v10, 0xffff, v2
	v_lshrrev_b32_e32 v2, 16, v2
	;;#ASMSTART
	v_cvt_f32_f16 v38, v10;
	;;#ASMEND
	;;#ASMSTART
	v_cvt_f32_f16 v40, v2;
	;;#ASMEND
	global_load_dwordx2 v[10:11], v[8:9], off offset:256
	v_mov_b32_e32 v42, 0
	v_mov_b32_e32 v43, 0
	global_load_dword v41, v42, s[14:15]
	s_waitcnt vmcnt(1)
	v_cmp_ne_u16_sdwa s0, v10, v3 src0_sel:BYTE_0 src1_sel:DWORD
	s_and_saveexec_b32 s9, s0
	s_cbranch_execz .LBB278_619
; %bb.612:                              ;   in Loop: Header=BB278_545 Depth=1
	v_cmp_ne_u16_sdwa s0, v10, v24 src0_sel:BYTE_0 src1_sel:DWORD
	v_mov_b32_e32 v43, 0x8000
	s_and_saveexec_b32 s12, s0
	s_cbranch_execz .LBB278_618
; %bb.613:                              ;   in Loop: Header=BB278_545 Depth=1
	v_and_b32_e32 v44, 0x7f, v10
	v_mov_b32_e32 v43, 0x7c01
	s_mov_b32 s13, exec_lo
	v_cmpx_ne_u32_e32 0x7f, v44
	s_cbranch_execz .LBB278_617
; %bb.614:                              ;   in Loop: Header=BB278_545 Depth=1
	v_and_b32_e32 v2, 7, v10
	v_lshrrev_b32_e32 v43, 3, v44
	s_mov_b32 s17, exec_lo
	v_cmpx_gt_u32_e32 8, v44
; %bb.615:                              ;   in Loop: Header=BB278_545 Depth=1
	v_ffbh_u32_e32 v2, v2
	v_min_u32_e32 v2, 32, v2
	v_subrev_nc_u32_e32 v43, 28, v2
	v_lshlrev_b64 v[44:45], v43, v[10:11]
	v_sub_nc_u32_e32 v43, 29, v2
	v_and_b32_e32 v2, 7, v44
; %bb.616:                              ;   in Loop: Header=BB278_545 Depth=1
	s_or_b32 exec_lo, exec_lo, s17
	v_lshlrev_b32_e32 v44, 8, v10
	v_lshl_add_u32 v43, v43, 10, 0x2000
	v_lshlrev_b32_e32 v2, 7, v2
	v_and_b32_e32 v44, 0x8000, v44
	v_and_b32_e32 v43, 0xfc00, v43
	v_or3_b32 v43, v44, v43, v2
.LBB278_617:                            ;   in Loop: Header=BB278_545 Depth=1
	s_or_b32 exec_lo, exec_lo, s13
.LBB278_618:                            ;   in Loop: Header=BB278_545 Depth=1
	s_or_b32 exec_lo, exec_lo, s12
.LBB278_619:                            ;   in Loop: Header=BB278_545 Depth=1
	s_or_b32 exec_lo, exec_lo, s9
	v_lshrrev_b16 v2, 8, v10
	s_mov_b32 s9, exec_lo
	v_cmpx_ne_u16_e32 0, v2
	s_cbranch_execz .LBB278_627
; %bb.620:                              ;   in Loop: Header=BB278_545 Depth=1
	v_bfrev_b32_e32 v42, 1
	s_mov_b32 s12, exec_lo
	v_cmpx_ne_u16_e32 0x80, v2
	s_cbranch_execz .LBB278_626
; %bb.621:                              ;   in Loop: Header=BB278_545 Depth=1
	v_and_b32_sdwa v45, v2, v25 dst_sel:DWORD dst_unused:UNUSED_PAD src0_sel:WORD_0 src1_sel:DWORD
	v_mov_b32_e32 v42, 0x7c010000
	s_mov_b32 s13, exec_lo
	v_cmpx_ne_u32_e32 0x7f, v45
	s_cbranch_execz .LBB278_625
; %bb.622:                              ;   in Loop: Header=BB278_545 Depth=1
	v_and_b32_sdwa v42, v2, v26 dst_sel:DWORD dst_unused:UNUSED_PAD src0_sel:WORD_0 src1_sel:DWORD
	v_lshrrev_b32_e32 v44, 3, v45
	s_mov_b32 s17, exec_lo
	v_cmpx_gt_u32_e32 8, v45
; %bb.623:                              ;   in Loop: Header=BB278_545 Depth=1
	v_ffbh_u32_e32 v42, v42
	v_min_u32_e32 v42, 32, v42
	v_subrev_nc_u32_e32 v44, 28, v42
	v_lshlrev_b64 v[45:46], v44, v[2:3]
	v_sub_nc_u32_e32 v44, 29, v42
	v_and_b32_e32 v42, 7, v45
; %bb.624:                              ;   in Loop: Header=BB278_545 Depth=1
	s_or_b32 exec_lo, exec_lo, s17
	v_lshlrev_b32_sdwa v2, v27, v2 dst_sel:DWORD dst_unused:UNUSED_PAD src0_sel:DWORD src1_sel:WORD_0
	v_lshl_add_u32 v44, v44, 10, 0x2000
	v_lshlrev_b32_e32 v42, 23, v42
	v_and_or_b32 v2, 0x8000, v2, v44
	v_lshl_or_b32 v42, v2, 16, v42
.LBB278_625:                            ;   in Loop: Header=BB278_545 Depth=1
	s_or_b32 exec_lo, exec_lo, s13
.LBB278_626:                            ;   in Loop: Header=BB278_545 Depth=1
	s_or_b32 exec_lo, exec_lo, s12
.LBB278_627:                            ;   in Loop: Header=BB278_545 Depth=1
	s_or_b32 exec_lo, exec_lo, s9
	v_lshrrev_b32_e32 v2, 16, v10
	v_mov_b32_e32 v44, 0
	v_mov_b32_e32 v45, 0
	v_cmp_ne_u16_sdwa s0, v2, v3 src0_sel:BYTE_0 src1_sel:DWORD
	s_and_saveexec_b32 s9, s0
	s_cbranch_execz .LBB278_635
; %bb.628:                              ;   in Loop: Header=BB278_545 Depth=1
	v_cmp_ne_u16_sdwa s0, v2, v24 src0_sel:BYTE_0 src1_sel:DWORD
	v_mov_b32_e32 v45, 0x8000
	s_and_saveexec_b32 s12, s0
	s_cbranch_execz .LBB278_634
; %bb.629:                              ;   in Loop: Header=BB278_545 Depth=1
	v_bfe_u32 v47, v10, 16, 7
	v_mov_b32_e32 v45, 0x7c01
	s_mov_b32 s13, exec_lo
	v_cmpx_ne_u32_e32 0x7f, v47
	s_cbranch_execz .LBB278_633
; %bb.630:                              ;   in Loop: Header=BB278_545 Depth=1
	v_and_b32_e32 v45, 7, v2
	v_lshrrev_b32_e32 v46, 3, v47
	s_mov_b32 s17, exec_lo
	v_cmpx_gt_u32_e32 8, v47
; %bb.631:                              ;   in Loop: Header=BB278_545 Depth=1
	v_ffbh_u32_e32 v45, v45
	v_min_u32_e32 v47, 32, v45
	v_subrev_nc_u32_e32 v45, 28, v47
	v_lshlrev_b64 v[45:46], v45, v[2:3]
	v_sub_nc_u32_e32 v46, 29, v47
	v_and_b32_e32 v45, 7, v45
; %bb.632:                              ;   in Loop: Header=BB278_545 Depth=1
	s_or_b32 exec_lo, exec_lo, s17
	v_lshlrev_b32_e32 v2, 8, v2
	v_lshl_add_u32 v46, v46, 10, 0x2000
	v_lshlrev_b32_e32 v45, 7, v45
	v_and_b32_e32 v2, 0x8000, v2
	v_and_b32_e32 v46, 0xfc00, v46
	v_or3_b32 v45, v2, v46, v45
.LBB278_633:                            ;   in Loop: Header=BB278_545 Depth=1
	s_or_b32 exec_lo, exec_lo, s13
.LBB278_634:                            ;   in Loop: Header=BB278_545 Depth=1
	s_or_b32 exec_lo, exec_lo, s12
.LBB278_635:                            ;   in Loop: Header=BB278_545 Depth=1
	s_or_b32 exec_lo, exec_lo, s9
	s_mov_b32 s9, exec_lo
	v_cmpx_lt_u32_e32 0xffffff, v10
	s_cbranch_execz .LBB278_643
; %bb.636:                              ;   in Loop: Header=BB278_545 Depth=1
	v_lshrrev_b32_e32 v2, 24, v10
	v_bfrev_b32_e32 v44, 1
	s_mov_b32 s12, exec_lo
	v_cmpx_ne_u32_e32 0x80, v2
	s_cbranch_execz .LBB278_642
; %bb.637:                              ;   in Loop: Header=BB278_545 Depth=1
	v_and_b32_e32 v47, 0x7f, v2
	v_mov_b32_e32 v44, 0x7c010000
	s_mov_b32 s13, exec_lo
	v_cmpx_ne_u32_e32 0x7f, v47
	s_cbranch_execz .LBB278_641
; %bb.638:                              ;   in Loop: Header=BB278_545 Depth=1
	v_and_b32_e32 v44, 7, v2
	v_lshrrev_b32_e32 v46, 3, v47
	s_mov_b32 s17, exec_lo
	v_cmpx_gt_u32_e32 8, v47
; %bb.639:                              ;   in Loop: Header=BB278_545 Depth=1
	v_ffbh_u32_e32 v44, v44
	v_min_u32_e32 v44, 32, v44
	v_subrev_nc_u32_e32 v46, 28, v44
	v_lshlrev_b64 v[47:48], v46, v[2:3]
	v_sub_nc_u32_e32 v46, 29, v44
	v_and_b32_e32 v44, 7, v47
; %bb.640:                              ;   in Loop: Header=BB278_545 Depth=1
	s_or_b32 exec_lo, exec_lo, s17
	v_lshlrev_b32_e32 v2, 8, v2
	v_lshl_add_u32 v46, v46, 10, 0x2000
	v_lshlrev_b32_e32 v44, 23, v44
	v_and_or_b32 v2, 0x8000, v2, v46
	v_lshl_or_b32 v44, v2, 16, v44
.LBB278_641:                            ;   in Loop: Header=BB278_545 Depth=1
	s_or_b32 exec_lo, exec_lo, s13
.LBB278_642:                            ;   in Loop: Header=BB278_545 Depth=1
	s_or_b32 exec_lo, exec_lo, s12
.LBB278_643:                            ;   in Loop: Header=BB278_545 Depth=1
	s_or_b32 exec_lo, exec_lo, s9
	v_mov_b32_e32 v2, v11
	v_cmp_ne_u16_sdwa s0, v11, v3 src0_sel:BYTE_0 src1_sel:DWORD
	v_mov_b32_e32 v46, 0
	v_mov_b32_e32 v47, 0
	s_and_saveexec_b32 s9, s0
	s_cbranch_execz .LBB278_651
; %bb.644:                              ;   in Loop: Header=BB278_545 Depth=1
	v_cmp_ne_u16_sdwa s0, v11, v24 src0_sel:BYTE_0 src1_sel:DWORD
	v_mov_b32_e32 v47, 0x8000
	s_and_saveexec_b32 s12, s0
	s_cbranch_execz .LBB278_650
; %bb.645:                              ;   in Loop: Header=BB278_545 Depth=1
	v_and_b32_e32 v49, 0x7f, v11
	v_mov_b32_e32 v47, 0x7c01
	s_mov_b32 s13, exec_lo
	v_cmpx_ne_u32_e32 0x7f, v49
	s_cbranch_execz .LBB278_649
; %bb.646:                              ;   in Loop: Header=BB278_545 Depth=1
	v_and_b32_e32 v47, 7, v11
	v_lshrrev_b32_e32 v48, 3, v49
	s_mov_b32 s17, exec_lo
	v_cmpx_gt_u32_e32 8, v49
; %bb.647:                              ;   in Loop: Header=BB278_545 Depth=1
	v_ffbh_u32_e32 v47, v47
	v_min_u32_e32 v49, 32, v47
	v_subrev_nc_u32_e32 v47, 28, v49
	v_lshlrev_b64 v[47:48], v47, v[2:3]
	v_sub_nc_u32_e32 v48, 29, v49
	v_and_b32_e32 v47, 7, v47
; %bb.648:                              ;   in Loop: Header=BB278_545 Depth=1
	s_or_b32 exec_lo, exec_lo, s17
	v_lshlrev_b32_e32 v49, 8, v11
	v_lshl_add_u32 v48, v48, 10, 0x2000
	v_lshlrev_b32_e32 v47, 7, v47
	v_and_b32_e32 v49, 0x8000, v49
	v_and_b32_e32 v48, 0xfc00, v48
	v_or3_b32 v47, v49, v48, v47
.LBB278_649:                            ;   in Loop: Header=BB278_545 Depth=1
	s_or_b32 exec_lo, exec_lo, s13
.LBB278_650:                            ;   in Loop: Header=BB278_545 Depth=1
	s_or_b32 exec_lo, exec_lo, s12
.LBB278_651:                            ;   in Loop: Header=BB278_545 Depth=1
	s_or_b32 exec_lo, exec_lo, s9
	v_lshrrev_b16 v2, 8, v2
	v_mov_b32_e32 v48, 0
	s_mov_b32 s9, exec_lo
	v_cmpx_ne_u16_e32 0, v2
	s_cbranch_execz .LBB278_659
; %bb.652:                              ;   in Loop: Header=BB278_545 Depth=1
	v_bfrev_b32_e32 v48, 1
	s_mov_b32 s12, exec_lo
	v_cmpx_ne_u16_e32 0x80, v2
	s_cbranch_execz .LBB278_658
; %bb.653:                              ;   in Loop: Header=BB278_545 Depth=1
	v_and_b32_sdwa v50, v2, v25 dst_sel:DWORD dst_unused:UNUSED_PAD src0_sel:WORD_0 src1_sel:DWORD
	v_mov_b32_e32 v48, 0x7c010000
	s_mov_b32 s13, exec_lo
	v_cmpx_ne_u32_e32 0x7f, v50
	s_cbranch_execz .LBB278_657
; %bb.654:                              ;   in Loop: Header=BB278_545 Depth=1
	v_and_b32_sdwa v48, v2, v26 dst_sel:DWORD dst_unused:UNUSED_PAD src0_sel:WORD_0 src1_sel:DWORD
	v_lshrrev_b32_e32 v49, 3, v50
	s_mov_b32 s17, exec_lo
	v_cmpx_gt_u32_e32 8, v50
; %bb.655:                              ;   in Loop: Header=BB278_545 Depth=1
	v_ffbh_u32_e32 v48, v48
	v_min_u32_e32 v50, 32, v48
	v_subrev_nc_u32_e32 v48, 28, v50
	v_lshlrev_b64 v[48:49], v48, v[2:3]
	v_sub_nc_u32_e32 v49, 29, v50
	v_and_b32_e32 v48, 7, v48
; %bb.656:                              ;   in Loop: Header=BB278_545 Depth=1
	s_or_b32 exec_lo, exec_lo, s17
	v_lshlrev_b32_sdwa v2, v27, v2 dst_sel:DWORD dst_unused:UNUSED_PAD src0_sel:DWORD src1_sel:WORD_0
	v_lshl_add_u32 v49, v49, 10, 0x2000
	v_lshlrev_b32_e32 v48, 23, v48
	v_and_or_b32 v2, 0x8000, v2, v49
	v_lshl_or_b32 v48, v2, 16, v48
.LBB278_657:                            ;   in Loop: Header=BB278_545 Depth=1
	s_or_b32 exec_lo, exec_lo, s13
.LBB278_658:                            ;   in Loop: Header=BB278_545 Depth=1
	s_or_b32 exec_lo, exec_lo, s12
.LBB278_659:                            ;   in Loop: Header=BB278_545 Depth=1
	s_or_b32 exec_lo, exec_lo, s9
	v_lshrrev_b32_e32 v2, 16, v11
	v_cmp_ne_u16_sdwa s0, v2, v3 src0_sel:BYTE_0 src1_sel:DWORD
	s_and_saveexec_b32 s9, s0
	s_cbranch_execz .LBB278_667
; %bb.660:                              ;   in Loop: Header=BB278_545 Depth=1
	v_cmp_ne_u16_sdwa s0, v2, v24 src0_sel:BYTE_0 src1_sel:DWORD
	v_mov_b32_e32 v46, 0x8000
	s_and_saveexec_b32 s12, s0
	s_cbranch_execz .LBB278_666
; %bb.661:                              ;   in Loop: Header=BB278_545 Depth=1
	v_bfe_u32 v50, v11, 16, 7
	v_mov_b32_e32 v46, 0x7c01
	s_mov_b32 s13, exec_lo
	v_cmpx_ne_u32_e32 0x7f, v50
	s_cbranch_execz .LBB278_665
; %bb.662:                              ;   in Loop: Header=BB278_545 Depth=1
	v_and_b32_e32 v46, 7, v2
	v_lshrrev_b32_e32 v49, 3, v50
	s_mov_b32 s17, exec_lo
	v_cmpx_gt_u32_e32 8, v50
; %bb.663:                              ;   in Loop: Header=BB278_545 Depth=1
	v_ffbh_u32_e32 v46, v46
	v_min_u32_e32 v46, 32, v46
	v_subrev_nc_u32_e32 v49, 28, v46
	v_lshlrev_b64 v[50:51], v49, v[2:3]
	v_sub_nc_u32_e32 v49, 29, v46
	v_and_b32_e32 v46, 7, v50
; %bb.664:                              ;   in Loop: Header=BB278_545 Depth=1
	s_or_b32 exec_lo, exec_lo, s17
	v_lshlrev_b32_e32 v2, 8, v2
	v_lshl_add_u32 v49, v49, 10, 0x2000
	v_lshlrev_b32_e32 v46, 7, v46
	v_and_b32_e32 v2, 0x8000, v2
	v_and_b32_e32 v49, 0xfc00, v49
	v_or3_b32 v46, v2, v49, v46
.LBB278_665:                            ;   in Loop: Header=BB278_545 Depth=1
	s_or_b32 exec_lo, exec_lo, s13
.LBB278_666:                            ;   in Loop: Header=BB278_545 Depth=1
	s_or_b32 exec_lo, exec_lo, s12
.LBB278_667:                            ;   in Loop: Header=BB278_545 Depth=1
	s_or_b32 exec_lo, exec_lo, s9
	v_cmp_lt_u64_e64 s0, s[4:5], v[10:11]
	v_mov_b32_e32 v10, 0
	s_and_saveexec_b32 s9, s0
	s_cbranch_execz .LBB278_675
; %bb.668:                              ;   in Loop: Header=BB278_545 Depth=1
	v_lshrrev_b32_e32 v2, 24, v11
	v_bfrev_b32_e32 v10, 1
	s_mov_b32 s12, exec_lo
	v_cmpx_ne_u32_e32 0x80, v2
	s_cbranch_execz .LBB278_674
; %bb.669:                              ;   in Loop: Header=BB278_545 Depth=1
	v_and_b32_e32 v49, 0x7f, v2
	v_mov_b32_e32 v10, 0x7c010000
	s_mov_b32 s13, exec_lo
	v_cmpx_ne_u32_e32 0x7f, v49
	s_cbranch_execz .LBB278_673
; %bb.670:                              ;   in Loop: Header=BB278_545 Depth=1
	v_and_b32_e32 v10, 7, v2
	v_lshrrev_b32_e32 v11, 3, v49
	s_mov_b32 s17, exec_lo
	v_cmpx_gt_u32_e32 8, v49
; %bb.671:                              ;   in Loop: Header=BB278_545 Depth=1
	v_ffbh_u32_e32 v10, v10
	v_min_u32_e32 v49, 32, v10
	v_subrev_nc_u32_e32 v10, 28, v49
	v_lshlrev_b64 v[10:11], v10, v[2:3]
	v_sub_nc_u32_e32 v11, 29, v49
	v_and_b32_e32 v10, 7, v10
; %bb.672:                              ;   in Loop: Header=BB278_545 Depth=1
	s_or_b32 exec_lo, exec_lo, s17
	v_lshlrev_b32_e32 v2, 8, v2
	v_lshl_add_u32 v11, v11, 10, 0x2000
	v_lshlrev_b32_e32 v10, 23, v10
	v_and_or_b32 v2, 0x8000, v2, v11
	v_lshl_or_b32 v10, v2, 16, v10
.LBB278_673:                            ;   in Loop: Header=BB278_545 Depth=1
	s_or_b32 exec_lo, exec_lo, s13
.LBB278_674:                            ;   in Loop: Header=BB278_545 Depth=1
	s_or_b32 exec_lo, exec_lo, s12
.LBB278_675:                            ;   in Loop: Header=BB278_545 Depth=1
	s_or_b32 exec_lo, exec_lo, s9
	v_or_b32_e32 v2, v44, v45
	s_waitcnt vmcnt(0)
	v_fma_mixlo_f16 v11, v41, v44, 0 op_sel:[0,1,0] op_sel_hi:[0,1,0]
	v_or_b32_e32 v44, v42, v43
	v_fma_mixlo_f16 v42, v41, v42, 0 op_sel:[0,1,0] op_sel_hi:[0,1,0]
	v_or_b32_e32 v45, v48, v47
	v_or_b32_e32 v46, v10, v46
	v_fma_mixlo_f16 v47, v41, v2, 0 op_sel_hi:[0,1,0]
	v_fma_mixlo_f16 v10, v41, v10, 0 op_sel:[0,1,0] op_sel_hi:[0,1,0]
	v_lshlrev_b32_e32 v43, 16, v42
	v_fma_mixlo_f16 v42, v41, v44, 0 op_sel_hi:[0,1,0]
	v_fma_mixlo_f16 v44, v41, v48, 0 op_sel:[0,1,0] op_sel_hi:[0,1,0]
	v_fma_mixlo_f16 v45, v41, v45, 0 op_sel_hi:[0,1,0]
	v_fma_mixlo_f16 v46, v41, v46, 0 op_sel_hi:[0,1,0]
	v_lshlrev_b32_e32 v2, 16, v11
	v_and_b32_e32 v11, 0xffff, v47
	v_and_b32_e32 v49, 0xffff, v42
	v_lshlrev_b32_e32 v41, 16, v44
	v_and_b32_e32 v45, 0xffff, v45
	v_lshlrev_b32_e32 v10, 16, v10
	v_and_b32_e32 v42, 0xffff, v46
	v_or_b32_e32 v44, v2, v11
	v_or_b32_e32 v48, v43, v49
	;; [unrolled: 1-line block ×4, first 2 shown]
	s_and_saveexec_b32 s9, vcc_lo
	s_cbranch_execz .LBB278_677
; %bb.676:                              ;   in Loop: Header=BB278_545 Depth=1
	v_cmp_gt_i32_e64 s0, s27, v28
	v_cndmask_b32_e64 v44, 0, v49, s0
	v_cmp_gt_i32_e64 s0, s27, v34
	v_cndmask_b32_e64 v43, 0, v43, s0
	v_cmp_gt_i32_e64 s0, s27, v33
	v_or_b32_e32 v48, v43, v44
	v_cndmask_b32_e64 v11, 0, v11, s0
	v_cmp_gt_i32_e64 s0, s27, v32
	v_cndmask_b32_e64 v2, 0, v2, s0
	v_cmp_gt_i32_e64 s0, s27, v31
	v_or_b32_e32 v44, v2, v11
	;; [unrolled: 5-line block ×3, first 2 shown]
	v_cndmask_b32_e64 v42, 0, v42, s0
	v_cmp_gt_i32_e64 s0, s27, v22
	v_cndmask_b32_e64 v10, 0, v10, s0
	v_or_b32_e32 v46, v10, v42
.LBB278_677:                            ;   in Loop: Header=BB278_545 Depth=1
	s_or_b32 exec_lo, exec_lo, s9
	;;#ASMSTART
	v_pk_mul_f16 v2, v39, v48;

	;;#ASMEND
	;;#ASMSTART
	v_pk_mul_f16 v10, v37, v44;

	;;#ASMEND
	;; [unrolled: 4-line block ×4, first 2 shown]
	;;#ASMSTART
	v_pk_add_f16 v2, v2, v10;

	;;#ASMEND
	;;#ASMSTART
	v_pk_add_f16 v2, v2, v11;

	;;#ASMEND
	;; [unrolled: 4-line block ×3, first 2 shown]
	v_and_b32_e32 v10, 0xffff, v2
	v_lshrrev_b32_e32 v2, 16, v2
	;;#ASMSTART
	v_cvt_f32_f16 v41, v10;
	;;#ASMEND
	;;#ASMSTART
	v_cvt_f32_f16 v42, v2;
	;;#ASMEND
	global_load_dwordx2 v[10:11], v[8:9], off offset:512
	v_mov_b32_e32 v44, 0
	v_mov_b32_e32 v45, 0
	global_load_dword v43, v44, s[14:15]
	s_waitcnt vmcnt(1)
	v_cmp_ne_u16_sdwa s0, v10, v3 src0_sel:BYTE_0 src1_sel:DWORD
	s_and_saveexec_b32 s9, s0
	s_cbranch_execz .LBB278_685
; %bb.678:                              ;   in Loop: Header=BB278_545 Depth=1
	v_cmp_ne_u16_sdwa s0, v10, v24 src0_sel:BYTE_0 src1_sel:DWORD
	v_mov_b32_e32 v45, 0x8000
	s_and_saveexec_b32 s12, s0
	s_cbranch_execz .LBB278_684
; %bb.679:                              ;   in Loop: Header=BB278_545 Depth=1
	v_and_b32_e32 v46, 0x7f, v10
	v_mov_b32_e32 v45, 0x7c01
	s_mov_b32 s13, exec_lo
	v_cmpx_ne_u32_e32 0x7f, v46
	s_cbranch_execz .LBB278_683
; %bb.680:                              ;   in Loop: Header=BB278_545 Depth=1
	v_and_b32_e32 v2, 7, v10
	v_lshrrev_b32_e32 v45, 3, v46
	s_mov_b32 s17, exec_lo
	v_cmpx_gt_u32_e32 8, v46
; %bb.681:                              ;   in Loop: Header=BB278_545 Depth=1
	v_ffbh_u32_e32 v2, v2
	v_min_u32_e32 v2, 32, v2
	v_subrev_nc_u32_e32 v45, 28, v2
	v_lshlrev_b64 v[46:47], v45, v[10:11]
	v_sub_nc_u32_e32 v45, 29, v2
	v_and_b32_e32 v2, 7, v46
; %bb.682:                              ;   in Loop: Header=BB278_545 Depth=1
	s_or_b32 exec_lo, exec_lo, s17
	v_lshlrev_b32_e32 v46, 8, v10
	v_lshl_add_u32 v45, v45, 10, 0x2000
	v_lshlrev_b32_e32 v2, 7, v2
	v_and_b32_e32 v46, 0x8000, v46
	v_and_b32_e32 v45, 0xfc00, v45
	v_or3_b32 v45, v46, v45, v2
.LBB278_683:                            ;   in Loop: Header=BB278_545 Depth=1
	s_or_b32 exec_lo, exec_lo, s13
.LBB278_684:                            ;   in Loop: Header=BB278_545 Depth=1
	s_or_b32 exec_lo, exec_lo, s12
.LBB278_685:                            ;   in Loop: Header=BB278_545 Depth=1
	s_or_b32 exec_lo, exec_lo, s9
	v_lshrrev_b16 v2, 8, v10
	s_mov_b32 s9, exec_lo
	v_cmpx_ne_u16_e32 0, v2
	s_cbranch_execz .LBB278_693
; %bb.686:                              ;   in Loop: Header=BB278_545 Depth=1
	v_bfrev_b32_e32 v44, 1
	s_mov_b32 s12, exec_lo
	v_cmpx_ne_u16_e32 0x80, v2
	s_cbranch_execz .LBB278_692
; %bb.687:                              ;   in Loop: Header=BB278_545 Depth=1
	v_and_b32_sdwa v47, v2, v25 dst_sel:DWORD dst_unused:UNUSED_PAD src0_sel:WORD_0 src1_sel:DWORD
	v_mov_b32_e32 v44, 0x7c010000
	s_mov_b32 s13, exec_lo
	v_cmpx_ne_u32_e32 0x7f, v47
	s_cbranch_execz .LBB278_691
; %bb.688:                              ;   in Loop: Header=BB278_545 Depth=1
	v_and_b32_sdwa v44, v2, v26 dst_sel:DWORD dst_unused:UNUSED_PAD src0_sel:WORD_0 src1_sel:DWORD
	v_lshrrev_b32_e32 v46, 3, v47
	s_mov_b32 s17, exec_lo
	v_cmpx_gt_u32_e32 8, v47
; %bb.689:                              ;   in Loop: Header=BB278_545 Depth=1
	v_ffbh_u32_e32 v44, v44
	v_min_u32_e32 v44, 32, v44
	v_subrev_nc_u32_e32 v46, 28, v44
	v_lshlrev_b64 v[47:48], v46, v[2:3]
	v_sub_nc_u32_e32 v46, 29, v44
	v_and_b32_e32 v44, 7, v47
; %bb.690:                              ;   in Loop: Header=BB278_545 Depth=1
	s_or_b32 exec_lo, exec_lo, s17
	v_lshlrev_b32_sdwa v2, v27, v2 dst_sel:DWORD dst_unused:UNUSED_PAD src0_sel:DWORD src1_sel:WORD_0
	v_lshl_add_u32 v46, v46, 10, 0x2000
	v_lshlrev_b32_e32 v44, 23, v44
	v_and_or_b32 v2, 0x8000, v2, v46
	v_lshl_or_b32 v44, v2, 16, v44
.LBB278_691:                            ;   in Loop: Header=BB278_545 Depth=1
	s_or_b32 exec_lo, exec_lo, s13
.LBB278_692:                            ;   in Loop: Header=BB278_545 Depth=1
	s_or_b32 exec_lo, exec_lo, s12
.LBB278_693:                            ;   in Loop: Header=BB278_545 Depth=1
	s_or_b32 exec_lo, exec_lo, s9
	v_lshrrev_b32_e32 v2, 16, v10
	v_mov_b32_e32 v46, 0
	v_mov_b32_e32 v47, 0
	v_cmp_ne_u16_sdwa s0, v2, v3 src0_sel:BYTE_0 src1_sel:DWORD
	s_and_saveexec_b32 s9, s0
	s_cbranch_execz .LBB278_701
; %bb.694:                              ;   in Loop: Header=BB278_545 Depth=1
	v_cmp_ne_u16_sdwa s0, v2, v24 src0_sel:BYTE_0 src1_sel:DWORD
	v_mov_b32_e32 v47, 0x8000
	s_and_saveexec_b32 s12, s0
	s_cbranch_execz .LBB278_700
; %bb.695:                              ;   in Loop: Header=BB278_545 Depth=1
	v_bfe_u32 v49, v10, 16, 7
	v_mov_b32_e32 v47, 0x7c01
	s_mov_b32 s13, exec_lo
	v_cmpx_ne_u32_e32 0x7f, v49
	s_cbranch_execz .LBB278_699
; %bb.696:                              ;   in Loop: Header=BB278_545 Depth=1
	v_and_b32_e32 v47, 7, v2
	v_lshrrev_b32_e32 v48, 3, v49
	s_mov_b32 s17, exec_lo
	v_cmpx_gt_u32_e32 8, v49
; %bb.697:                              ;   in Loop: Header=BB278_545 Depth=1
	v_ffbh_u32_e32 v47, v47
	v_min_u32_e32 v49, 32, v47
	v_subrev_nc_u32_e32 v47, 28, v49
	v_lshlrev_b64 v[47:48], v47, v[2:3]
	v_sub_nc_u32_e32 v48, 29, v49
	v_and_b32_e32 v47, 7, v47
; %bb.698:                              ;   in Loop: Header=BB278_545 Depth=1
	s_or_b32 exec_lo, exec_lo, s17
	v_lshlrev_b32_e32 v2, 8, v2
	v_lshl_add_u32 v48, v48, 10, 0x2000
	v_lshlrev_b32_e32 v47, 7, v47
	v_and_b32_e32 v2, 0x8000, v2
	v_and_b32_e32 v48, 0xfc00, v48
	v_or3_b32 v47, v2, v48, v47
.LBB278_699:                            ;   in Loop: Header=BB278_545 Depth=1
	s_or_b32 exec_lo, exec_lo, s13
.LBB278_700:                            ;   in Loop: Header=BB278_545 Depth=1
	s_or_b32 exec_lo, exec_lo, s12
.LBB278_701:                            ;   in Loop: Header=BB278_545 Depth=1
	s_or_b32 exec_lo, exec_lo, s9
	s_mov_b32 s9, exec_lo
	v_cmpx_lt_u32_e32 0xffffff, v10
	s_cbranch_execz .LBB278_709
; %bb.702:                              ;   in Loop: Header=BB278_545 Depth=1
	v_lshrrev_b32_e32 v2, 24, v10
	v_bfrev_b32_e32 v46, 1
	s_mov_b32 s12, exec_lo
	v_cmpx_ne_u32_e32 0x80, v2
	s_cbranch_execz .LBB278_708
; %bb.703:                              ;   in Loop: Header=BB278_545 Depth=1
	v_and_b32_e32 v49, 0x7f, v2
	v_mov_b32_e32 v46, 0x7c010000
	s_mov_b32 s13, exec_lo
	v_cmpx_ne_u32_e32 0x7f, v49
	s_cbranch_execz .LBB278_707
; %bb.704:                              ;   in Loop: Header=BB278_545 Depth=1
	v_and_b32_e32 v46, 7, v2
	v_lshrrev_b32_e32 v48, 3, v49
	s_mov_b32 s17, exec_lo
	v_cmpx_gt_u32_e32 8, v49
; %bb.705:                              ;   in Loop: Header=BB278_545 Depth=1
	v_ffbh_u32_e32 v46, v46
	v_min_u32_e32 v46, 32, v46
	v_subrev_nc_u32_e32 v48, 28, v46
	v_lshlrev_b64 v[49:50], v48, v[2:3]
	v_sub_nc_u32_e32 v48, 29, v46
	v_and_b32_e32 v46, 7, v49
; %bb.706:                              ;   in Loop: Header=BB278_545 Depth=1
	s_or_b32 exec_lo, exec_lo, s17
	v_lshlrev_b32_e32 v2, 8, v2
	v_lshl_add_u32 v48, v48, 10, 0x2000
	v_lshlrev_b32_e32 v46, 23, v46
	v_and_or_b32 v2, 0x8000, v2, v48
	v_lshl_or_b32 v46, v2, 16, v46
.LBB278_707:                            ;   in Loop: Header=BB278_545 Depth=1
	s_or_b32 exec_lo, exec_lo, s13
.LBB278_708:                            ;   in Loop: Header=BB278_545 Depth=1
	s_or_b32 exec_lo, exec_lo, s12
.LBB278_709:                            ;   in Loop: Header=BB278_545 Depth=1
	s_or_b32 exec_lo, exec_lo, s9
	v_mov_b32_e32 v2, v11
	v_cmp_ne_u16_sdwa s0, v11, v3 src0_sel:BYTE_0 src1_sel:DWORD
	v_mov_b32_e32 v48, 0
	v_mov_b32_e32 v49, 0
	s_and_saveexec_b32 s9, s0
	s_cbranch_execz .LBB278_717
; %bb.710:                              ;   in Loop: Header=BB278_545 Depth=1
	v_cmp_ne_u16_sdwa s0, v11, v24 src0_sel:BYTE_0 src1_sel:DWORD
	v_mov_b32_e32 v49, 0x8000
	s_and_saveexec_b32 s12, s0
	s_cbranch_execz .LBB278_716
; %bb.711:                              ;   in Loop: Header=BB278_545 Depth=1
	v_and_b32_e32 v51, 0x7f, v11
	v_mov_b32_e32 v49, 0x7c01
	s_mov_b32 s13, exec_lo
	v_cmpx_ne_u32_e32 0x7f, v51
	s_cbranch_execz .LBB278_715
; %bb.712:                              ;   in Loop: Header=BB278_545 Depth=1
	v_and_b32_e32 v49, 7, v11
	v_lshrrev_b32_e32 v50, 3, v51
	s_mov_b32 s17, exec_lo
	v_cmpx_gt_u32_e32 8, v51
; %bb.713:                              ;   in Loop: Header=BB278_545 Depth=1
	v_ffbh_u32_e32 v49, v49
	v_min_u32_e32 v51, 32, v49
	v_subrev_nc_u32_e32 v49, 28, v51
	v_lshlrev_b64 v[49:50], v49, v[2:3]
	v_sub_nc_u32_e32 v50, 29, v51
	v_and_b32_e32 v49, 7, v49
; %bb.714:                              ;   in Loop: Header=BB278_545 Depth=1
	s_or_b32 exec_lo, exec_lo, s17
	v_lshlrev_b32_e32 v51, 8, v11
	v_lshl_add_u32 v50, v50, 10, 0x2000
	v_lshlrev_b32_e32 v49, 7, v49
	v_and_b32_e32 v51, 0x8000, v51
	v_and_b32_e32 v50, 0xfc00, v50
	v_or3_b32 v49, v51, v50, v49
.LBB278_715:                            ;   in Loop: Header=BB278_545 Depth=1
	s_or_b32 exec_lo, exec_lo, s13
.LBB278_716:                            ;   in Loop: Header=BB278_545 Depth=1
	s_or_b32 exec_lo, exec_lo, s12
.LBB278_717:                            ;   in Loop: Header=BB278_545 Depth=1
	s_or_b32 exec_lo, exec_lo, s9
	v_lshrrev_b16 v2, 8, v2
	v_mov_b32_e32 v50, 0
	s_mov_b32 s9, exec_lo
	v_cmpx_ne_u16_e32 0, v2
	s_cbranch_execz .LBB278_725
; %bb.718:                              ;   in Loop: Header=BB278_545 Depth=1
	v_bfrev_b32_e32 v50, 1
	s_mov_b32 s12, exec_lo
	v_cmpx_ne_u16_e32 0x80, v2
	s_cbranch_execz .LBB278_724
; %bb.719:                              ;   in Loop: Header=BB278_545 Depth=1
	v_and_b32_sdwa v52, v2, v25 dst_sel:DWORD dst_unused:UNUSED_PAD src0_sel:WORD_0 src1_sel:DWORD
	v_mov_b32_e32 v50, 0x7c010000
	s_mov_b32 s13, exec_lo
	v_cmpx_ne_u32_e32 0x7f, v52
	s_cbranch_execz .LBB278_723
; %bb.720:                              ;   in Loop: Header=BB278_545 Depth=1
	v_and_b32_sdwa v50, v2, v26 dst_sel:DWORD dst_unused:UNUSED_PAD src0_sel:WORD_0 src1_sel:DWORD
	v_lshrrev_b32_e32 v51, 3, v52
	s_mov_b32 s17, exec_lo
	v_cmpx_gt_u32_e32 8, v52
; %bb.721:                              ;   in Loop: Header=BB278_545 Depth=1
	v_ffbh_u32_e32 v50, v50
	v_min_u32_e32 v52, 32, v50
	v_subrev_nc_u32_e32 v50, 28, v52
	v_lshlrev_b64 v[50:51], v50, v[2:3]
	v_sub_nc_u32_e32 v51, 29, v52
	v_and_b32_e32 v50, 7, v50
; %bb.722:                              ;   in Loop: Header=BB278_545 Depth=1
	s_or_b32 exec_lo, exec_lo, s17
	v_lshlrev_b32_sdwa v2, v27, v2 dst_sel:DWORD dst_unused:UNUSED_PAD src0_sel:DWORD src1_sel:WORD_0
	v_lshl_add_u32 v51, v51, 10, 0x2000
	v_lshlrev_b32_e32 v50, 23, v50
	v_and_or_b32 v2, 0x8000, v2, v51
	v_lshl_or_b32 v50, v2, 16, v50
.LBB278_723:                            ;   in Loop: Header=BB278_545 Depth=1
	s_or_b32 exec_lo, exec_lo, s13
.LBB278_724:                            ;   in Loop: Header=BB278_545 Depth=1
	s_or_b32 exec_lo, exec_lo, s12
.LBB278_725:                            ;   in Loop: Header=BB278_545 Depth=1
	s_or_b32 exec_lo, exec_lo, s9
	v_lshrrev_b32_e32 v2, 16, v11
	v_cmp_ne_u16_sdwa s0, v2, v3 src0_sel:BYTE_0 src1_sel:DWORD
	s_and_saveexec_b32 s9, s0
	s_cbranch_execz .LBB278_733
; %bb.726:                              ;   in Loop: Header=BB278_545 Depth=1
	v_cmp_ne_u16_sdwa s0, v2, v24 src0_sel:BYTE_0 src1_sel:DWORD
	v_mov_b32_e32 v48, 0x8000
	s_and_saveexec_b32 s12, s0
	s_cbranch_execz .LBB278_732
; %bb.727:                              ;   in Loop: Header=BB278_545 Depth=1
	v_bfe_u32 v52, v11, 16, 7
	v_mov_b32_e32 v48, 0x7c01
	s_mov_b32 s13, exec_lo
	v_cmpx_ne_u32_e32 0x7f, v52
	s_cbranch_execz .LBB278_731
; %bb.728:                              ;   in Loop: Header=BB278_545 Depth=1
	v_and_b32_e32 v48, 7, v2
	v_lshrrev_b32_e32 v51, 3, v52
	s_mov_b32 s17, exec_lo
	v_cmpx_gt_u32_e32 8, v52
; %bb.729:                              ;   in Loop: Header=BB278_545 Depth=1
	v_ffbh_u32_e32 v48, v48
	v_min_u32_e32 v48, 32, v48
	v_subrev_nc_u32_e32 v51, 28, v48
	v_lshlrev_b64 v[52:53], v51, v[2:3]
	v_sub_nc_u32_e32 v51, 29, v48
	v_and_b32_e32 v48, 7, v52
; %bb.730:                              ;   in Loop: Header=BB278_545 Depth=1
	s_or_b32 exec_lo, exec_lo, s17
	v_lshlrev_b32_e32 v2, 8, v2
	v_lshl_add_u32 v51, v51, 10, 0x2000
	v_lshlrev_b32_e32 v48, 7, v48
	v_and_b32_e32 v2, 0x8000, v2
	v_and_b32_e32 v51, 0xfc00, v51
	v_or3_b32 v48, v2, v51, v48
.LBB278_731:                            ;   in Loop: Header=BB278_545 Depth=1
	s_or_b32 exec_lo, exec_lo, s13
.LBB278_732:                            ;   in Loop: Header=BB278_545 Depth=1
	s_or_b32 exec_lo, exec_lo, s12
.LBB278_733:                            ;   in Loop: Header=BB278_545 Depth=1
	s_or_b32 exec_lo, exec_lo, s9
	v_cmp_lt_u64_e64 s0, s[4:5], v[10:11]
	v_mov_b32_e32 v10, 0
	s_and_saveexec_b32 s9, s0
	s_cbranch_execz .LBB278_741
; %bb.734:                              ;   in Loop: Header=BB278_545 Depth=1
	v_lshrrev_b32_e32 v2, 24, v11
	v_bfrev_b32_e32 v10, 1
	s_mov_b32 s12, exec_lo
	v_cmpx_ne_u32_e32 0x80, v2
	s_cbranch_execz .LBB278_740
; %bb.735:                              ;   in Loop: Header=BB278_545 Depth=1
	v_and_b32_e32 v51, 0x7f, v2
	v_mov_b32_e32 v10, 0x7c010000
	s_mov_b32 s13, exec_lo
	v_cmpx_ne_u32_e32 0x7f, v51
	s_cbranch_execz .LBB278_739
; %bb.736:                              ;   in Loop: Header=BB278_545 Depth=1
	v_and_b32_e32 v10, 7, v2
	v_lshrrev_b32_e32 v11, 3, v51
	s_mov_b32 s17, exec_lo
	v_cmpx_gt_u32_e32 8, v51
; %bb.737:                              ;   in Loop: Header=BB278_545 Depth=1
	v_ffbh_u32_e32 v10, v10
	v_min_u32_e32 v51, 32, v10
	v_subrev_nc_u32_e32 v10, 28, v51
	v_lshlrev_b64 v[10:11], v10, v[2:3]
	v_sub_nc_u32_e32 v11, 29, v51
	v_and_b32_e32 v10, 7, v10
; %bb.738:                              ;   in Loop: Header=BB278_545 Depth=1
	s_or_b32 exec_lo, exec_lo, s17
	v_lshlrev_b32_e32 v2, 8, v2
	v_lshl_add_u32 v11, v11, 10, 0x2000
	v_lshlrev_b32_e32 v10, 23, v10
	v_and_or_b32 v2, 0x8000, v2, v11
	v_lshl_or_b32 v10, v2, 16, v10
.LBB278_739:                            ;   in Loop: Header=BB278_545 Depth=1
	s_or_b32 exec_lo, exec_lo, s13
.LBB278_740:                            ;   in Loop: Header=BB278_545 Depth=1
	s_or_b32 exec_lo, exec_lo, s12
.LBB278_741:                            ;   in Loop: Header=BB278_545 Depth=1
	s_or_b32 exec_lo, exec_lo, s9
	v_or_b32_e32 v2, v46, v47
	s_waitcnt vmcnt(0)
	v_fma_mixlo_f16 v11, v43, v46, 0 op_sel:[0,1,0] op_sel_hi:[0,1,0]
	v_or_b32_e32 v46, v44, v45
	v_fma_mixlo_f16 v44, v43, v44, 0 op_sel:[0,1,0] op_sel_hi:[0,1,0]
	v_or_b32_e32 v47, v50, v49
	v_or_b32_e32 v48, v10, v48
	v_fma_mixlo_f16 v49, v43, v2, 0 op_sel_hi:[0,1,0]
	v_fma_mixlo_f16 v10, v43, v10, 0 op_sel:[0,1,0] op_sel_hi:[0,1,0]
	v_lshlrev_b32_e32 v45, 16, v44
	v_fma_mixlo_f16 v44, v43, v46, 0 op_sel_hi:[0,1,0]
	v_fma_mixlo_f16 v46, v43, v50, 0 op_sel:[0,1,0] op_sel_hi:[0,1,0]
	v_fma_mixlo_f16 v47, v43, v47, 0 op_sel_hi:[0,1,0]
	v_fma_mixlo_f16 v48, v43, v48, 0 op_sel_hi:[0,1,0]
	v_lshlrev_b32_e32 v2, 16, v11
	v_and_b32_e32 v11, 0xffff, v49
	v_and_b32_e32 v51, 0xffff, v44
	v_lshlrev_b32_e32 v43, 16, v46
	v_and_b32_e32 v47, 0xffff, v47
	v_lshlrev_b32_e32 v10, 16, v10
	v_and_b32_e32 v44, 0xffff, v48
	v_or_b32_e32 v46, v2, v11
	v_or_b32_e32 v50, v45, v51
	;; [unrolled: 1-line block ×4, first 2 shown]
	s_and_saveexec_b32 s9, vcc_lo
	s_cbranch_execz .LBB278_743
; %bb.742:                              ;   in Loop: Header=BB278_545 Depth=1
	v_cmp_gt_i32_e64 s0, s27, v28
	v_cndmask_b32_e64 v46, 0, v51, s0
	v_cmp_gt_i32_e64 s0, s27, v34
	v_cndmask_b32_e64 v45, 0, v45, s0
	v_cmp_gt_i32_e64 s0, s27, v33
	v_or_b32_e32 v50, v45, v46
	v_cndmask_b32_e64 v11, 0, v11, s0
	v_cmp_gt_i32_e64 s0, s27, v32
	v_cndmask_b32_e64 v2, 0, v2, s0
	v_cmp_gt_i32_e64 s0, s27, v31
	v_or_b32_e32 v46, v2, v11
	;; [unrolled: 5-line block ×3, first 2 shown]
	v_cndmask_b32_e64 v44, 0, v44, s0
	v_cmp_gt_i32_e64 s0, s27, v22
	v_cndmask_b32_e64 v10, 0, v10, s0
	v_or_b32_e32 v48, v10, v44
.LBB278_743:                            ;   in Loop: Header=BB278_545 Depth=1
	s_or_b32 exec_lo, exec_lo, s9
	;;#ASMSTART
	v_pk_mul_f16 v2, v39, v50;

	;;#ASMEND
	;;#ASMSTART
	v_pk_mul_f16 v10, v37, v46;

	;;#ASMEND
	;;#ASMSTART
	v_pk_mul_f16 v11, v36, v49;

	;;#ASMEND
	;;#ASMSTART
	v_pk_mul_f16 v43, v35, v48;

	;;#ASMEND
	;;#ASMSTART
	v_pk_add_f16 v2, v2, v10;

	;;#ASMEND
	;;#ASMSTART
	v_pk_add_f16 v2, v2, v11;

	;;#ASMEND
	;; [unrolled: 4-line block ×3, first 2 shown]
	v_and_b32_e32 v10, 0xffff, v2
	v_lshrrev_b32_e32 v2, 16, v2
	;;#ASMSTART
	v_cvt_f32_f16 v43, v10;
	;;#ASMEND
	;;#ASMSTART
	v_cvt_f32_f16 v44, v2;
	;;#ASMEND
	global_load_dwordx2 v[10:11], v[8:9], off offset:768
	v_mov_b32_e32 v46, 0
	v_mov_b32_e32 v47, 0
	global_load_dword v45, v46, s[14:15]
	s_waitcnt vmcnt(1)
	v_cmp_ne_u16_sdwa s0, v10, v3 src0_sel:BYTE_0 src1_sel:DWORD
	s_and_saveexec_b32 s9, s0
	s_cbranch_execz .LBB278_751
; %bb.744:                              ;   in Loop: Header=BB278_545 Depth=1
	v_cmp_ne_u16_sdwa s0, v10, v24 src0_sel:BYTE_0 src1_sel:DWORD
	v_mov_b32_e32 v47, 0x8000
	s_and_saveexec_b32 s12, s0
	s_cbranch_execz .LBB278_750
; %bb.745:                              ;   in Loop: Header=BB278_545 Depth=1
	v_and_b32_e32 v48, 0x7f, v10
	v_mov_b32_e32 v47, 0x7c01
	s_mov_b32 s13, exec_lo
	v_cmpx_ne_u32_e32 0x7f, v48
	s_cbranch_execz .LBB278_749
; %bb.746:                              ;   in Loop: Header=BB278_545 Depth=1
	v_and_b32_e32 v2, 7, v10
	v_lshrrev_b32_e32 v47, 3, v48
	s_mov_b32 s17, exec_lo
	v_cmpx_gt_u32_e32 8, v48
; %bb.747:                              ;   in Loop: Header=BB278_545 Depth=1
	v_ffbh_u32_e32 v2, v2
	v_min_u32_e32 v2, 32, v2
	v_subrev_nc_u32_e32 v47, 28, v2
	v_lshlrev_b64 v[48:49], v47, v[10:11]
	v_sub_nc_u32_e32 v47, 29, v2
	v_and_b32_e32 v2, 7, v48
; %bb.748:                              ;   in Loop: Header=BB278_545 Depth=1
	s_or_b32 exec_lo, exec_lo, s17
	v_lshlrev_b32_e32 v48, 8, v10
	v_lshl_add_u32 v47, v47, 10, 0x2000
	v_lshlrev_b32_e32 v2, 7, v2
	v_and_b32_e32 v48, 0x8000, v48
	v_and_b32_e32 v47, 0xfc00, v47
	v_or3_b32 v47, v48, v47, v2
.LBB278_749:                            ;   in Loop: Header=BB278_545 Depth=1
	s_or_b32 exec_lo, exec_lo, s13
.LBB278_750:                            ;   in Loop: Header=BB278_545 Depth=1
	s_or_b32 exec_lo, exec_lo, s12
.LBB278_751:                            ;   in Loop: Header=BB278_545 Depth=1
	s_or_b32 exec_lo, exec_lo, s9
	v_lshrrev_b16 v2, 8, v10
	s_mov_b32 s9, exec_lo
	v_cmpx_ne_u16_e32 0, v2
	s_cbranch_execz .LBB278_759
; %bb.752:                              ;   in Loop: Header=BB278_545 Depth=1
	v_bfrev_b32_e32 v46, 1
	s_mov_b32 s12, exec_lo
	v_cmpx_ne_u16_e32 0x80, v2
	s_cbranch_execz .LBB278_758
; %bb.753:                              ;   in Loop: Header=BB278_545 Depth=1
	v_and_b32_sdwa v49, v2, v25 dst_sel:DWORD dst_unused:UNUSED_PAD src0_sel:WORD_0 src1_sel:DWORD
	v_mov_b32_e32 v46, 0x7c010000
	s_mov_b32 s13, exec_lo
	v_cmpx_ne_u32_e32 0x7f, v49
	s_cbranch_execz .LBB278_757
; %bb.754:                              ;   in Loop: Header=BB278_545 Depth=1
	v_and_b32_sdwa v46, v2, v26 dst_sel:DWORD dst_unused:UNUSED_PAD src0_sel:WORD_0 src1_sel:DWORD
	v_lshrrev_b32_e32 v48, 3, v49
	s_mov_b32 s17, exec_lo
	v_cmpx_gt_u32_e32 8, v49
; %bb.755:                              ;   in Loop: Header=BB278_545 Depth=1
	v_ffbh_u32_e32 v46, v46
	v_min_u32_e32 v46, 32, v46
	v_subrev_nc_u32_e32 v48, 28, v46
	v_lshlrev_b64 v[49:50], v48, v[2:3]
	v_sub_nc_u32_e32 v48, 29, v46
	v_and_b32_e32 v46, 7, v49
; %bb.756:                              ;   in Loop: Header=BB278_545 Depth=1
	s_or_b32 exec_lo, exec_lo, s17
	v_lshlrev_b32_sdwa v2, v27, v2 dst_sel:DWORD dst_unused:UNUSED_PAD src0_sel:DWORD src1_sel:WORD_0
	v_lshl_add_u32 v48, v48, 10, 0x2000
	v_lshlrev_b32_e32 v46, 23, v46
	v_and_or_b32 v2, 0x8000, v2, v48
	v_lshl_or_b32 v46, v2, 16, v46
.LBB278_757:                            ;   in Loop: Header=BB278_545 Depth=1
	s_or_b32 exec_lo, exec_lo, s13
.LBB278_758:                            ;   in Loop: Header=BB278_545 Depth=1
	s_or_b32 exec_lo, exec_lo, s12
.LBB278_759:                            ;   in Loop: Header=BB278_545 Depth=1
	s_or_b32 exec_lo, exec_lo, s9
	v_lshrrev_b32_e32 v2, 16, v10
	v_mov_b32_e32 v48, 0
	v_mov_b32_e32 v49, 0
	v_cmp_ne_u16_sdwa s0, v2, v3 src0_sel:BYTE_0 src1_sel:DWORD
	s_and_saveexec_b32 s9, s0
	s_cbranch_execz .LBB278_767
; %bb.760:                              ;   in Loop: Header=BB278_545 Depth=1
	v_cmp_ne_u16_sdwa s0, v2, v24 src0_sel:BYTE_0 src1_sel:DWORD
	v_mov_b32_e32 v49, 0x8000
	s_and_saveexec_b32 s12, s0
	s_cbranch_execz .LBB278_766
; %bb.761:                              ;   in Loop: Header=BB278_545 Depth=1
	v_bfe_u32 v51, v10, 16, 7
	v_mov_b32_e32 v49, 0x7c01
	s_mov_b32 s13, exec_lo
	v_cmpx_ne_u32_e32 0x7f, v51
	s_cbranch_execz .LBB278_765
; %bb.762:                              ;   in Loop: Header=BB278_545 Depth=1
	v_and_b32_e32 v49, 7, v2
	v_lshrrev_b32_e32 v50, 3, v51
	s_mov_b32 s17, exec_lo
	v_cmpx_gt_u32_e32 8, v51
; %bb.763:                              ;   in Loop: Header=BB278_545 Depth=1
	v_ffbh_u32_e32 v49, v49
	v_min_u32_e32 v51, 32, v49
	v_subrev_nc_u32_e32 v49, 28, v51
	v_lshlrev_b64 v[49:50], v49, v[2:3]
	v_sub_nc_u32_e32 v50, 29, v51
	v_and_b32_e32 v49, 7, v49
; %bb.764:                              ;   in Loop: Header=BB278_545 Depth=1
	s_or_b32 exec_lo, exec_lo, s17
	v_lshlrev_b32_e32 v2, 8, v2
	v_lshl_add_u32 v50, v50, 10, 0x2000
	v_lshlrev_b32_e32 v49, 7, v49
	v_and_b32_e32 v2, 0x8000, v2
	v_and_b32_e32 v50, 0xfc00, v50
	v_or3_b32 v49, v2, v50, v49
.LBB278_765:                            ;   in Loop: Header=BB278_545 Depth=1
	s_or_b32 exec_lo, exec_lo, s13
.LBB278_766:                            ;   in Loop: Header=BB278_545 Depth=1
	s_or_b32 exec_lo, exec_lo, s12
.LBB278_767:                            ;   in Loop: Header=BB278_545 Depth=1
	s_or_b32 exec_lo, exec_lo, s9
	s_mov_b32 s9, exec_lo
	v_cmpx_lt_u32_e32 0xffffff, v10
	s_cbranch_execz .LBB278_775
; %bb.768:                              ;   in Loop: Header=BB278_545 Depth=1
	v_lshrrev_b32_e32 v2, 24, v10
	v_bfrev_b32_e32 v48, 1
	s_mov_b32 s12, exec_lo
	v_cmpx_ne_u32_e32 0x80, v2
	s_cbranch_execz .LBB278_774
; %bb.769:                              ;   in Loop: Header=BB278_545 Depth=1
	v_and_b32_e32 v51, 0x7f, v2
	v_mov_b32_e32 v48, 0x7c010000
	s_mov_b32 s13, exec_lo
	v_cmpx_ne_u32_e32 0x7f, v51
	s_cbranch_execz .LBB278_773
; %bb.770:                              ;   in Loop: Header=BB278_545 Depth=1
	v_and_b32_e32 v48, 7, v2
	v_lshrrev_b32_e32 v50, 3, v51
	s_mov_b32 s17, exec_lo
	v_cmpx_gt_u32_e32 8, v51
; %bb.771:                              ;   in Loop: Header=BB278_545 Depth=1
	v_ffbh_u32_e32 v48, v48
	v_min_u32_e32 v48, 32, v48
	v_subrev_nc_u32_e32 v50, 28, v48
	v_lshlrev_b64 v[51:52], v50, v[2:3]
	v_sub_nc_u32_e32 v50, 29, v48
	v_and_b32_e32 v48, 7, v51
; %bb.772:                              ;   in Loop: Header=BB278_545 Depth=1
	s_or_b32 exec_lo, exec_lo, s17
	v_lshlrev_b32_e32 v2, 8, v2
	v_lshl_add_u32 v50, v50, 10, 0x2000
	v_lshlrev_b32_e32 v48, 23, v48
	v_and_or_b32 v2, 0x8000, v2, v50
	v_lshl_or_b32 v48, v2, 16, v48
.LBB278_773:                            ;   in Loop: Header=BB278_545 Depth=1
	s_or_b32 exec_lo, exec_lo, s13
.LBB278_774:                            ;   in Loop: Header=BB278_545 Depth=1
	s_or_b32 exec_lo, exec_lo, s12
.LBB278_775:                            ;   in Loop: Header=BB278_545 Depth=1
	s_or_b32 exec_lo, exec_lo, s9
	v_mov_b32_e32 v2, v11
	v_cmp_ne_u16_sdwa s0, v11, v3 src0_sel:BYTE_0 src1_sel:DWORD
	v_mov_b32_e32 v50, 0
	v_mov_b32_e32 v51, 0
	s_and_saveexec_b32 s9, s0
	s_cbranch_execz .LBB278_783
; %bb.776:                              ;   in Loop: Header=BB278_545 Depth=1
	v_cmp_ne_u16_sdwa s0, v11, v24 src0_sel:BYTE_0 src1_sel:DWORD
	v_mov_b32_e32 v51, 0x8000
	s_and_saveexec_b32 s12, s0
	s_cbranch_execz .LBB278_782
; %bb.777:                              ;   in Loop: Header=BB278_545 Depth=1
	v_and_b32_e32 v53, 0x7f, v11
	v_mov_b32_e32 v51, 0x7c01
	s_mov_b32 s13, exec_lo
	v_cmpx_ne_u32_e32 0x7f, v53
	s_cbranch_execz .LBB278_781
; %bb.778:                              ;   in Loop: Header=BB278_545 Depth=1
	v_and_b32_e32 v51, 7, v11
	v_lshrrev_b32_e32 v52, 3, v53
	s_mov_b32 s17, exec_lo
	v_cmpx_gt_u32_e32 8, v53
; %bb.779:                              ;   in Loop: Header=BB278_545 Depth=1
	v_ffbh_u32_e32 v51, v51
	v_min_u32_e32 v53, 32, v51
	v_subrev_nc_u32_e32 v51, 28, v53
	v_lshlrev_b64 v[51:52], v51, v[2:3]
	v_sub_nc_u32_e32 v52, 29, v53
	v_and_b32_e32 v51, 7, v51
; %bb.780:                              ;   in Loop: Header=BB278_545 Depth=1
	s_or_b32 exec_lo, exec_lo, s17
	v_lshlrev_b32_e32 v53, 8, v11
	v_lshl_add_u32 v52, v52, 10, 0x2000
	v_lshlrev_b32_e32 v51, 7, v51
	v_and_b32_e32 v53, 0x8000, v53
	v_and_b32_e32 v52, 0xfc00, v52
	v_or3_b32 v51, v53, v52, v51
.LBB278_781:                            ;   in Loop: Header=BB278_545 Depth=1
	s_or_b32 exec_lo, exec_lo, s13
.LBB278_782:                            ;   in Loop: Header=BB278_545 Depth=1
	s_or_b32 exec_lo, exec_lo, s12
.LBB278_783:                            ;   in Loop: Header=BB278_545 Depth=1
	s_or_b32 exec_lo, exec_lo, s9
	v_lshrrev_b16 v2, 8, v2
	v_mov_b32_e32 v52, 0
	s_mov_b32 s9, exec_lo
	v_cmpx_ne_u16_e32 0, v2
	s_cbranch_execz .LBB278_791
; %bb.784:                              ;   in Loop: Header=BB278_545 Depth=1
	v_bfrev_b32_e32 v52, 1
	s_mov_b32 s12, exec_lo
	v_cmpx_ne_u16_e32 0x80, v2
	s_cbranch_execz .LBB278_790
; %bb.785:                              ;   in Loop: Header=BB278_545 Depth=1
	v_and_b32_sdwa v54, v2, v25 dst_sel:DWORD dst_unused:UNUSED_PAD src0_sel:WORD_0 src1_sel:DWORD
	v_mov_b32_e32 v52, 0x7c010000
	s_mov_b32 s13, exec_lo
	v_cmpx_ne_u32_e32 0x7f, v54
	s_cbranch_execz .LBB278_789
; %bb.786:                              ;   in Loop: Header=BB278_545 Depth=1
	v_and_b32_sdwa v52, v2, v26 dst_sel:DWORD dst_unused:UNUSED_PAD src0_sel:WORD_0 src1_sel:DWORD
	v_lshrrev_b32_e32 v53, 3, v54
	s_mov_b32 s17, exec_lo
	v_cmpx_gt_u32_e32 8, v54
; %bb.787:                              ;   in Loop: Header=BB278_545 Depth=1
	v_ffbh_u32_e32 v52, v52
	v_min_u32_e32 v54, 32, v52
	v_subrev_nc_u32_e32 v52, 28, v54
	v_lshlrev_b64 v[52:53], v52, v[2:3]
	v_sub_nc_u32_e32 v53, 29, v54
	v_and_b32_e32 v52, 7, v52
; %bb.788:                              ;   in Loop: Header=BB278_545 Depth=1
	s_or_b32 exec_lo, exec_lo, s17
	v_lshlrev_b32_sdwa v2, v27, v2 dst_sel:DWORD dst_unused:UNUSED_PAD src0_sel:DWORD src1_sel:WORD_0
	v_lshl_add_u32 v53, v53, 10, 0x2000
	v_lshlrev_b32_e32 v52, 23, v52
	v_and_or_b32 v2, 0x8000, v2, v53
	v_lshl_or_b32 v52, v2, 16, v52
.LBB278_789:                            ;   in Loop: Header=BB278_545 Depth=1
	s_or_b32 exec_lo, exec_lo, s13
.LBB278_790:                            ;   in Loop: Header=BB278_545 Depth=1
	s_or_b32 exec_lo, exec_lo, s12
.LBB278_791:                            ;   in Loop: Header=BB278_545 Depth=1
	s_or_b32 exec_lo, exec_lo, s9
	v_lshrrev_b32_e32 v2, 16, v11
	v_cmp_ne_u16_sdwa s0, v2, v3 src0_sel:BYTE_0 src1_sel:DWORD
	s_and_saveexec_b32 s9, s0
	s_cbranch_execz .LBB278_799
; %bb.792:                              ;   in Loop: Header=BB278_545 Depth=1
	v_cmp_ne_u16_sdwa s0, v2, v24 src0_sel:BYTE_0 src1_sel:DWORD
	v_mov_b32_e32 v50, 0x8000
	s_and_saveexec_b32 s12, s0
	s_cbranch_execz .LBB278_798
; %bb.793:                              ;   in Loop: Header=BB278_545 Depth=1
	v_bfe_u32 v54, v11, 16, 7
	v_mov_b32_e32 v50, 0x7c01
	s_mov_b32 s13, exec_lo
	v_cmpx_ne_u32_e32 0x7f, v54
	s_cbranch_execz .LBB278_797
; %bb.794:                              ;   in Loop: Header=BB278_545 Depth=1
	v_and_b32_e32 v50, 7, v2
	v_lshrrev_b32_e32 v53, 3, v54
	s_mov_b32 s17, exec_lo
	v_cmpx_gt_u32_e32 8, v54
; %bb.795:                              ;   in Loop: Header=BB278_545 Depth=1
	v_ffbh_u32_e32 v50, v50
	v_min_u32_e32 v50, 32, v50
	v_subrev_nc_u32_e32 v53, 28, v50
	v_lshlrev_b64 v[54:55], v53, v[2:3]
	v_sub_nc_u32_e32 v53, 29, v50
	v_and_b32_e32 v50, 7, v54
; %bb.796:                              ;   in Loop: Header=BB278_545 Depth=1
	s_or_b32 exec_lo, exec_lo, s17
	v_lshlrev_b32_e32 v2, 8, v2
	v_lshl_add_u32 v53, v53, 10, 0x2000
	v_lshlrev_b32_e32 v50, 7, v50
	v_and_b32_e32 v2, 0x8000, v2
	v_and_b32_e32 v53, 0xfc00, v53
	v_or3_b32 v50, v2, v53, v50
.LBB278_797:                            ;   in Loop: Header=BB278_545 Depth=1
	s_or_b32 exec_lo, exec_lo, s13
.LBB278_798:                            ;   in Loop: Header=BB278_545 Depth=1
	s_or_b32 exec_lo, exec_lo, s12
.LBB278_799:                            ;   in Loop: Header=BB278_545 Depth=1
	s_or_b32 exec_lo, exec_lo, s9
	v_cmp_lt_u64_e64 s0, s[4:5], v[10:11]
	v_mov_b32_e32 v10, 0
	s_and_saveexec_b32 s9, s0
	s_cbranch_execz .LBB278_807
; %bb.800:                              ;   in Loop: Header=BB278_545 Depth=1
	v_lshrrev_b32_e32 v2, 24, v11
	v_bfrev_b32_e32 v10, 1
	s_mov_b32 s12, exec_lo
	v_cmpx_ne_u32_e32 0x80, v2
	s_cbranch_execz .LBB278_806
; %bb.801:                              ;   in Loop: Header=BB278_545 Depth=1
	v_and_b32_e32 v53, 0x7f, v2
	v_mov_b32_e32 v10, 0x7c010000
	s_mov_b32 s13, exec_lo
	v_cmpx_ne_u32_e32 0x7f, v53
	s_cbranch_execz .LBB278_805
; %bb.802:                              ;   in Loop: Header=BB278_545 Depth=1
	v_and_b32_e32 v10, 7, v2
	v_lshrrev_b32_e32 v11, 3, v53
	s_mov_b32 s17, exec_lo
	v_cmpx_gt_u32_e32 8, v53
; %bb.803:                              ;   in Loop: Header=BB278_545 Depth=1
	v_ffbh_u32_e32 v10, v10
	v_min_u32_e32 v53, 32, v10
	v_subrev_nc_u32_e32 v10, 28, v53
	v_lshlrev_b64 v[10:11], v10, v[2:3]
	v_sub_nc_u32_e32 v11, 29, v53
	v_and_b32_e32 v10, 7, v10
; %bb.804:                              ;   in Loop: Header=BB278_545 Depth=1
	s_or_b32 exec_lo, exec_lo, s17
	v_lshlrev_b32_e32 v2, 8, v2
	v_lshl_add_u32 v11, v11, 10, 0x2000
	v_lshlrev_b32_e32 v10, 23, v10
	v_and_or_b32 v2, 0x8000, v2, v11
	v_lshl_or_b32 v10, v2, 16, v10
.LBB278_805:                            ;   in Loop: Header=BB278_545 Depth=1
	s_or_b32 exec_lo, exec_lo, s13
.LBB278_806:                            ;   in Loop: Header=BB278_545 Depth=1
	s_or_b32 exec_lo, exec_lo, s12
.LBB278_807:                            ;   in Loop: Header=BB278_545 Depth=1
	s_or_b32 exec_lo, exec_lo, s9
	v_or_b32_e32 v2, v48, v49
	s_waitcnt vmcnt(0)
	v_fma_mixlo_f16 v11, v45, v48, 0 op_sel:[0,1,0] op_sel_hi:[0,1,0]
	v_or_b32_e32 v48, v46, v47
	v_fma_mixlo_f16 v46, v45, v46, 0 op_sel:[0,1,0] op_sel_hi:[0,1,0]
	v_or_b32_e32 v49, v52, v51
	v_or_b32_e32 v50, v10, v50
	v_fma_mixlo_f16 v51, v45, v2, 0 op_sel_hi:[0,1,0]
	v_fma_mixlo_f16 v10, v45, v10, 0 op_sel:[0,1,0] op_sel_hi:[0,1,0]
	v_lshlrev_b32_e32 v47, 16, v46
	v_fma_mixlo_f16 v46, v45, v48, 0 op_sel_hi:[0,1,0]
	v_fma_mixlo_f16 v48, v45, v52, 0 op_sel:[0,1,0] op_sel_hi:[0,1,0]
	v_fma_mixlo_f16 v49, v45, v49, 0 op_sel_hi:[0,1,0]
	v_fma_mixlo_f16 v50, v45, v50, 0 op_sel_hi:[0,1,0]
	v_lshlrev_b32_e32 v2, 16, v11
	v_and_b32_e32 v11, 0xffff, v51
	v_and_b32_e32 v53, 0xffff, v46
	v_lshlrev_b32_e32 v45, 16, v48
	v_and_b32_e32 v49, 0xffff, v49
	v_lshlrev_b32_e32 v10, 16, v10
	v_and_b32_e32 v46, 0xffff, v50
	v_or_b32_e32 v48, v2, v11
	v_or_b32_e32 v52, v47, v53
	;; [unrolled: 1-line block ×4, first 2 shown]
	s_and_saveexec_b32 s9, vcc_lo
	s_cbranch_execz .LBB278_809
; %bb.808:                              ;   in Loop: Header=BB278_545 Depth=1
	v_cmp_gt_i32_e64 s0, s27, v28
	v_cndmask_b32_e64 v48, 0, v53, s0
	v_cmp_gt_i32_e64 s0, s27, v34
	v_cndmask_b32_e64 v47, 0, v47, s0
	v_cmp_gt_i32_e64 s0, s27, v33
	v_or_b32_e32 v52, v47, v48
	v_cndmask_b32_e64 v11, 0, v11, s0
	v_cmp_gt_i32_e64 s0, s27, v32
	v_cndmask_b32_e64 v2, 0, v2, s0
	v_cmp_gt_i32_e64 s0, s27, v31
	v_or_b32_e32 v48, v2, v11
	;; [unrolled: 5-line block ×3, first 2 shown]
	v_cndmask_b32_e64 v46, 0, v46, s0
	v_cmp_gt_i32_e64 s0, s27, v22
	v_cndmask_b32_e64 v10, 0, v10, s0
	v_or_b32_e32 v50, v10, v46
.LBB278_809:                            ;   in Loop: Header=BB278_545 Depth=1
	s_or_b32 exec_lo, exec_lo, s9
	;;#ASMSTART
	v_pk_mul_f16 v2, v39, v52;

	;;#ASMEND
	;;#ASMSTART
	v_pk_mul_f16 v10, v37, v48;

	;;#ASMEND
	;; [unrolled: 4-line block ×4, first 2 shown]
	;;#ASMSTART
	v_pk_add_f16 v2, v2, v10;

	;;#ASMEND
	;;#ASMSTART
	v_pk_add_f16 v2, v2, v11;

	;;#ASMEND
	;; [unrolled: 4-line block ×3, first 2 shown]
	v_and_b32_e32 v10, 0xffff, v2
	v_lshrrev_b32_e32 v2, 16, v2
	;;#ASMSTART
	v_cvt_f32_f16 v45, v10;
	;;#ASMEND
	;;#ASMSTART
	v_cvt_f32_f16 v46, v2;
	;;#ASMEND
	global_load_dwordx2 v[10:11], v[8:9], off offset:1024
	v_mov_b32_e32 v48, 0
	v_mov_b32_e32 v49, 0
	global_load_dword v47, v48, s[14:15]
	s_waitcnt vmcnt(1)
	v_cmp_ne_u16_sdwa s0, v10, v3 src0_sel:BYTE_0 src1_sel:DWORD
	s_and_saveexec_b32 s9, s0
	s_cbranch_execz .LBB278_817
; %bb.810:                              ;   in Loop: Header=BB278_545 Depth=1
	v_cmp_ne_u16_sdwa s0, v10, v24 src0_sel:BYTE_0 src1_sel:DWORD
	v_mov_b32_e32 v49, 0x8000
	s_and_saveexec_b32 s12, s0
	s_cbranch_execz .LBB278_816
; %bb.811:                              ;   in Loop: Header=BB278_545 Depth=1
	v_and_b32_e32 v50, 0x7f, v10
	v_mov_b32_e32 v49, 0x7c01
	s_mov_b32 s13, exec_lo
	v_cmpx_ne_u32_e32 0x7f, v50
	s_cbranch_execz .LBB278_815
; %bb.812:                              ;   in Loop: Header=BB278_545 Depth=1
	v_and_b32_e32 v2, 7, v10
	v_lshrrev_b32_e32 v49, 3, v50
	s_mov_b32 s17, exec_lo
	v_cmpx_gt_u32_e32 8, v50
; %bb.813:                              ;   in Loop: Header=BB278_545 Depth=1
	v_ffbh_u32_e32 v2, v2
	v_min_u32_e32 v2, 32, v2
	v_subrev_nc_u32_e32 v49, 28, v2
	v_lshlrev_b64 v[50:51], v49, v[10:11]
	v_sub_nc_u32_e32 v49, 29, v2
	v_and_b32_e32 v2, 7, v50
; %bb.814:                              ;   in Loop: Header=BB278_545 Depth=1
	s_or_b32 exec_lo, exec_lo, s17
	v_lshlrev_b32_e32 v50, 8, v10
	v_lshl_add_u32 v49, v49, 10, 0x2000
	v_lshlrev_b32_e32 v2, 7, v2
	v_and_b32_e32 v50, 0x8000, v50
	v_and_b32_e32 v49, 0xfc00, v49
	v_or3_b32 v49, v50, v49, v2
.LBB278_815:                            ;   in Loop: Header=BB278_545 Depth=1
	s_or_b32 exec_lo, exec_lo, s13
.LBB278_816:                            ;   in Loop: Header=BB278_545 Depth=1
	s_or_b32 exec_lo, exec_lo, s12
.LBB278_817:                            ;   in Loop: Header=BB278_545 Depth=1
	s_or_b32 exec_lo, exec_lo, s9
	v_lshrrev_b16 v2, 8, v10
	s_mov_b32 s9, exec_lo
	v_cmpx_ne_u16_e32 0, v2
	s_cbranch_execz .LBB278_825
; %bb.818:                              ;   in Loop: Header=BB278_545 Depth=1
	v_bfrev_b32_e32 v48, 1
	s_mov_b32 s12, exec_lo
	v_cmpx_ne_u16_e32 0x80, v2
	s_cbranch_execz .LBB278_824
; %bb.819:                              ;   in Loop: Header=BB278_545 Depth=1
	v_and_b32_sdwa v51, v2, v25 dst_sel:DWORD dst_unused:UNUSED_PAD src0_sel:WORD_0 src1_sel:DWORD
	v_mov_b32_e32 v48, 0x7c010000
	s_mov_b32 s13, exec_lo
	v_cmpx_ne_u32_e32 0x7f, v51
	s_cbranch_execz .LBB278_823
; %bb.820:                              ;   in Loop: Header=BB278_545 Depth=1
	v_and_b32_sdwa v48, v2, v26 dst_sel:DWORD dst_unused:UNUSED_PAD src0_sel:WORD_0 src1_sel:DWORD
	v_lshrrev_b32_e32 v50, 3, v51
	s_mov_b32 s17, exec_lo
	v_cmpx_gt_u32_e32 8, v51
; %bb.821:                              ;   in Loop: Header=BB278_545 Depth=1
	v_ffbh_u32_e32 v48, v48
	v_min_u32_e32 v48, 32, v48
	v_subrev_nc_u32_e32 v50, 28, v48
	v_lshlrev_b64 v[51:52], v50, v[2:3]
	v_sub_nc_u32_e32 v50, 29, v48
	v_and_b32_e32 v48, 7, v51
; %bb.822:                              ;   in Loop: Header=BB278_545 Depth=1
	s_or_b32 exec_lo, exec_lo, s17
	v_lshlrev_b32_sdwa v2, v27, v2 dst_sel:DWORD dst_unused:UNUSED_PAD src0_sel:DWORD src1_sel:WORD_0
	v_lshl_add_u32 v50, v50, 10, 0x2000
	v_lshlrev_b32_e32 v48, 23, v48
	v_and_or_b32 v2, 0x8000, v2, v50
	v_lshl_or_b32 v48, v2, 16, v48
.LBB278_823:                            ;   in Loop: Header=BB278_545 Depth=1
	s_or_b32 exec_lo, exec_lo, s13
.LBB278_824:                            ;   in Loop: Header=BB278_545 Depth=1
	s_or_b32 exec_lo, exec_lo, s12
.LBB278_825:                            ;   in Loop: Header=BB278_545 Depth=1
	s_or_b32 exec_lo, exec_lo, s9
	v_lshrrev_b32_e32 v2, 16, v10
	v_mov_b32_e32 v50, 0
	v_mov_b32_e32 v51, 0
	v_cmp_ne_u16_sdwa s0, v2, v3 src0_sel:BYTE_0 src1_sel:DWORD
	s_and_saveexec_b32 s9, s0
	s_cbranch_execz .LBB278_833
; %bb.826:                              ;   in Loop: Header=BB278_545 Depth=1
	v_cmp_ne_u16_sdwa s0, v2, v24 src0_sel:BYTE_0 src1_sel:DWORD
	v_mov_b32_e32 v51, 0x8000
	s_and_saveexec_b32 s12, s0
	s_cbranch_execz .LBB278_832
; %bb.827:                              ;   in Loop: Header=BB278_545 Depth=1
	v_bfe_u32 v53, v10, 16, 7
	v_mov_b32_e32 v51, 0x7c01
	s_mov_b32 s13, exec_lo
	v_cmpx_ne_u32_e32 0x7f, v53
	s_cbranch_execz .LBB278_831
; %bb.828:                              ;   in Loop: Header=BB278_545 Depth=1
	v_and_b32_e32 v51, 7, v2
	v_lshrrev_b32_e32 v52, 3, v53
	s_mov_b32 s17, exec_lo
	v_cmpx_gt_u32_e32 8, v53
; %bb.829:                              ;   in Loop: Header=BB278_545 Depth=1
	v_ffbh_u32_e32 v51, v51
	v_min_u32_e32 v53, 32, v51
	v_subrev_nc_u32_e32 v51, 28, v53
	v_lshlrev_b64 v[51:52], v51, v[2:3]
	v_sub_nc_u32_e32 v52, 29, v53
	v_and_b32_e32 v51, 7, v51
; %bb.830:                              ;   in Loop: Header=BB278_545 Depth=1
	s_or_b32 exec_lo, exec_lo, s17
	v_lshlrev_b32_e32 v2, 8, v2
	v_lshl_add_u32 v52, v52, 10, 0x2000
	v_lshlrev_b32_e32 v51, 7, v51
	v_and_b32_e32 v2, 0x8000, v2
	v_and_b32_e32 v52, 0xfc00, v52
	v_or3_b32 v51, v2, v52, v51
.LBB278_831:                            ;   in Loop: Header=BB278_545 Depth=1
	s_or_b32 exec_lo, exec_lo, s13
.LBB278_832:                            ;   in Loop: Header=BB278_545 Depth=1
	s_or_b32 exec_lo, exec_lo, s12
.LBB278_833:                            ;   in Loop: Header=BB278_545 Depth=1
	s_or_b32 exec_lo, exec_lo, s9
	s_mov_b32 s9, exec_lo
	v_cmpx_lt_u32_e32 0xffffff, v10
	s_cbranch_execz .LBB278_841
; %bb.834:                              ;   in Loop: Header=BB278_545 Depth=1
	v_lshrrev_b32_e32 v2, 24, v10
	v_bfrev_b32_e32 v50, 1
	s_mov_b32 s12, exec_lo
	v_cmpx_ne_u32_e32 0x80, v2
	s_cbranch_execz .LBB278_840
; %bb.835:                              ;   in Loop: Header=BB278_545 Depth=1
	v_and_b32_e32 v53, 0x7f, v2
	v_mov_b32_e32 v50, 0x7c010000
	s_mov_b32 s13, exec_lo
	v_cmpx_ne_u32_e32 0x7f, v53
	s_cbranch_execz .LBB278_839
; %bb.836:                              ;   in Loop: Header=BB278_545 Depth=1
	v_and_b32_e32 v50, 7, v2
	v_lshrrev_b32_e32 v52, 3, v53
	s_mov_b32 s17, exec_lo
	v_cmpx_gt_u32_e32 8, v53
; %bb.837:                              ;   in Loop: Header=BB278_545 Depth=1
	v_ffbh_u32_e32 v50, v50
	v_min_u32_e32 v50, 32, v50
	v_subrev_nc_u32_e32 v52, 28, v50
	v_lshlrev_b64 v[53:54], v52, v[2:3]
	v_sub_nc_u32_e32 v52, 29, v50
	v_and_b32_e32 v50, 7, v53
; %bb.838:                              ;   in Loop: Header=BB278_545 Depth=1
	s_or_b32 exec_lo, exec_lo, s17
	v_lshlrev_b32_e32 v2, 8, v2
	v_lshl_add_u32 v52, v52, 10, 0x2000
	v_lshlrev_b32_e32 v50, 23, v50
	v_and_or_b32 v2, 0x8000, v2, v52
	v_lshl_or_b32 v50, v2, 16, v50
.LBB278_839:                            ;   in Loop: Header=BB278_545 Depth=1
	s_or_b32 exec_lo, exec_lo, s13
.LBB278_840:                            ;   in Loop: Header=BB278_545 Depth=1
	s_or_b32 exec_lo, exec_lo, s12
.LBB278_841:                            ;   in Loop: Header=BB278_545 Depth=1
	s_or_b32 exec_lo, exec_lo, s9
	v_mov_b32_e32 v2, v11
	v_cmp_ne_u16_sdwa s0, v11, v3 src0_sel:BYTE_0 src1_sel:DWORD
	v_mov_b32_e32 v52, 0
	v_mov_b32_e32 v53, 0
	s_and_saveexec_b32 s9, s0
	s_cbranch_execz .LBB278_849
; %bb.842:                              ;   in Loop: Header=BB278_545 Depth=1
	v_cmp_ne_u16_sdwa s0, v11, v24 src0_sel:BYTE_0 src1_sel:DWORD
	v_mov_b32_e32 v53, 0x8000
	s_and_saveexec_b32 s12, s0
	s_cbranch_execz .LBB278_848
; %bb.843:                              ;   in Loop: Header=BB278_545 Depth=1
	v_and_b32_e32 v55, 0x7f, v11
	v_mov_b32_e32 v53, 0x7c01
	s_mov_b32 s13, exec_lo
	v_cmpx_ne_u32_e32 0x7f, v55
	s_cbranch_execz .LBB278_847
; %bb.844:                              ;   in Loop: Header=BB278_545 Depth=1
	v_and_b32_e32 v53, 7, v11
	v_lshrrev_b32_e32 v54, 3, v55
	s_mov_b32 s17, exec_lo
	v_cmpx_gt_u32_e32 8, v55
; %bb.845:                              ;   in Loop: Header=BB278_545 Depth=1
	v_ffbh_u32_e32 v53, v53
	v_min_u32_e32 v55, 32, v53
	v_subrev_nc_u32_e32 v53, 28, v55
	v_lshlrev_b64 v[53:54], v53, v[2:3]
	v_sub_nc_u32_e32 v54, 29, v55
	v_and_b32_e32 v53, 7, v53
; %bb.846:                              ;   in Loop: Header=BB278_545 Depth=1
	s_or_b32 exec_lo, exec_lo, s17
	v_lshlrev_b32_e32 v55, 8, v11
	v_lshl_add_u32 v54, v54, 10, 0x2000
	v_lshlrev_b32_e32 v53, 7, v53
	v_and_b32_e32 v55, 0x8000, v55
	v_and_b32_e32 v54, 0xfc00, v54
	v_or3_b32 v53, v55, v54, v53
.LBB278_847:                            ;   in Loop: Header=BB278_545 Depth=1
	s_or_b32 exec_lo, exec_lo, s13
.LBB278_848:                            ;   in Loop: Header=BB278_545 Depth=1
	s_or_b32 exec_lo, exec_lo, s12
.LBB278_849:                            ;   in Loop: Header=BB278_545 Depth=1
	s_or_b32 exec_lo, exec_lo, s9
	v_lshrrev_b16 v2, 8, v2
	v_mov_b32_e32 v54, 0
	s_mov_b32 s9, exec_lo
	v_cmpx_ne_u16_e32 0, v2
	s_cbranch_execz .LBB278_857
; %bb.850:                              ;   in Loop: Header=BB278_545 Depth=1
	v_bfrev_b32_e32 v54, 1
	s_mov_b32 s12, exec_lo
	v_cmpx_ne_u16_e32 0x80, v2
	s_cbranch_execz .LBB278_856
; %bb.851:                              ;   in Loop: Header=BB278_545 Depth=1
	v_and_b32_sdwa v56, v2, v25 dst_sel:DWORD dst_unused:UNUSED_PAD src0_sel:WORD_0 src1_sel:DWORD
	v_mov_b32_e32 v54, 0x7c010000
	s_mov_b32 s13, exec_lo
	v_cmpx_ne_u32_e32 0x7f, v56
	s_cbranch_execz .LBB278_855
; %bb.852:                              ;   in Loop: Header=BB278_545 Depth=1
	v_and_b32_sdwa v54, v2, v26 dst_sel:DWORD dst_unused:UNUSED_PAD src0_sel:WORD_0 src1_sel:DWORD
	v_lshrrev_b32_e32 v55, 3, v56
	s_mov_b32 s17, exec_lo
	v_cmpx_gt_u32_e32 8, v56
; %bb.853:                              ;   in Loop: Header=BB278_545 Depth=1
	v_ffbh_u32_e32 v54, v54
	v_min_u32_e32 v56, 32, v54
	v_subrev_nc_u32_e32 v54, 28, v56
	v_lshlrev_b64 v[54:55], v54, v[2:3]
	v_sub_nc_u32_e32 v55, 29, v56
	v_and_b32_e32 v54, 7, v54
; %bb.854:                              ;   in Loop: Header=BB278_545 Depth=1
	s_or_b32 exec_lo, exec_lo, s17
	v_lshlrev_b32_sdwa v2, v27, v2 dst_sel:DWORD dst_unused:UNUSED_PAD src0_sel:DWORD src1_sel:WORD_0
	v_lshl_add_u32 v55, v55, 10, 0x2000
	v_lshlrev_b32_e32 v54, 23, v54
	v_and_or_b32 v2, 0x8000, v2, v55
	v_lshl_or_b32 v54, v2, 16, v54
.LBB278_855:                            ;   in Loop: Header=BB278_545 Depth=1
	s_or_b32 exec_lo, exec_lo, s13
.LBB278_856:                            ;   in Loop: Header=BB278_545 Depth=1
	s_or_b32 exec_lo, exec_lo, s12
.LBB278_857:                            ;   in Loop: Header=BB278_545 Depth=1
	s_or_b32 exec_lo, exec_lo, s9
	v_lshrrev_b32_e32 v2, 16, v11
	v_cmp_ne_u16_sdwa s0, v2, v3 src0_sel:BYTE_0 src1_sel:DWORD
	s_and_saveexec_b32 s9, s0
	s_cbranch_execz .LBB278_865
; %bb.858:                              ;   in Loop: Header=BB278_545 Depth=1
	v_cmp_ne_u16_sdwa s0, v2, v24 src0_sel:BYTE_0 src1_sel:DWORD
	v_mov_b32_e32 v52, 0x8000
	s_and_saveexec_b32 s12, s0
	s_cbranch_execz .LBB278_864
; %bb.859:                              ;   in Loop: Header=BB278_545 Depth=1
	v_bfe_u32 v56, v11, 16, 7
	v_mov_b32_e32 v52, 0x7c01
	s_mov_b32 s13, exec_lo
	v_cmpx_ne_u32_e32 0x7f, v56
	s_cbranch_execz .LBB278_863
; %bb.860:                              ;   in Loop: Header=BB278_545 Depth=1
	v_and_b32_e32 v52, 7, v2
	v_lshrrev_b32_e32 v55, 3, v56
	s_mov_b32 s17, exec_lo
	v_cmpx_gt_u32_e32 8, v56
; %bb.861:                              ;   in Loop: Header=BB278_545 Depth=1
	v_ffbh_u32_e32 v52, v52
	v_min_u32_e32 v52, 32, v52
	v_subrev_nc_u32_e32 v55, 28, v52
	v_lshlrev_b64 v[56:57], v55, v[2:3]
	v_sub_nc_u32_e32 v55, 29, v52
	v_and_b32_e32 v52, 7, v56
; %bb.862:                              ;   in Loop: Header=BB278_545 Depth=1
	s_or_b32 exec_lo, exec_lo, s17
	v_lshlrev_b32_e32 v2, 8, v2
	v_lshl_add_u32 v55, v55, 10, 0x2000
	v_lshlrev_b32_e32 v52, 7, v52
	v_and_b32_e32 v2, 0x8000, v2
	v_and_b32_e32 v55, 0xfc00, v55
	v_or3_b32 v52, v2, v55, v52
.LBB278_863:                            ;   in Loop: Header=BB278_545 Depth=1
	s_or_b32 exec_lo, exec_lo, s13
.LBB278_864:                            ;   in Loop: Header=BB278_545 Depth=1
	s_or_b32 exec_lo, exec_lo, s12
.LBB278_865:                            ;   in Loop: Header=BB278_545 Depth=1
	s_or_b32 exec_lo, exec_lo, s9
	v_cmp_lt_u64_e64 s0, s[4:5], v[10:11]
	v_mov_b32_e32 v10, 0
	s_and_saveexec_b32 s9, s0
	s_cbranch_execz .LBB278_873
; %bb.866:                              ;   in Loop: Header=BB278_545 Depth=1
	v_lshrrev_b32_e32 v2, 24, v11
	v_bfrev_b32_e32 v10, 1
	s_mov_b32 s12, exec_lo
	v_cmpx_ne_u32_e32 0x80, v2
	s_cbranch_execz .LBB278_872
; %bb.867:                              ;   in Loop: Header=BB278_545 Depth=1
	v_and_b32_e32 v55, 0x7f, v2
	v_mov_b32_e32 v10, 0x7c010000
	s_mov_b32 s13, exec_lo
	v_cmpx_ne_u32_e32 0x7f, v55
	s_cbranch_execz .LBB278_871
; %bb.868:                              ;   in Loop: Header=BB278_545 Depth=1
	v_and_b32_e32 v10, 7, v2
	v_lshrrev_b32_e32 v11, 3, v55
	s_mov_b32 s17, exec_lo
	v_cmpx_gt_u32_e32 8, v55
; %bb.869:                              ;   in Loop: Header=BB278_545 Depth=1
	v_ffbh_u32_e32 v10, v10
	v_min_u32_e32 v55, 32, v10
	v_subrev_nc_u32_e32 v10, 28, v55
	v_lshlrev_b64 v[10:11], v10, v[2:3]
	v_sub_nc_u32_e32 v11, 29, v55
	v_and_b32_e32 v10, 7, v10
; %bb.870:                              ;   in Loop: Header=BB278_545 Depth=1
	s_or_b32 exec_lo, exec_lo, s17
	v_lshlrev_b32_e32 v2, 8, v2
	v_lshl_add_u32 v11, v11, 10, 0x2000
	v_lshlrev_b32_e32 v10, 23, v10
	v_and_or_b32 v2, 0x8000, v2, v11
	v_lshl_or_b32 v10, v2, 16, v10
.LBB278_871:                            ;   in Loop: Header=BB278_545 Depth=1
	s_or_b32 exec_lo, exec_lo, s13
.LBB278_872:                            ;   in Loop: Header=BB278_545 Depth=1
	s_or_b32 exec_lo, exec_lo, s12
.LBB278_873:                            ;   in Loop: Header=BB278_545 Depth=1
	s_or_b32 exec_lo, exec_lo, s9
	v_or_b32_e32 v2, v50, v51
	s_waitcnt vmcnt(0)
	v_fma_mixlo_f16 v11, v47, v50, 0 op_sel:[0,1,0] op_sel_hi:[0,1,0]
	v_or_b32_e32 v50, v48, v49
	v_fma_mixlo_f16 v48, v47, v48, 0 op_sel:[0,1,0] op_sel_hi:[0,1,0]
	v_or_b32_e32 v51, v54, v53
	v_or_b32_e32 v52, v10, v52
	v_fma_mixlo_f16 v53, v47, v2, 0 op_sel_hi:[0,1,0]
	v_fma_mixlo_f16 v10, v47, v10, 0 op_sel:[0,1,0] op_sel_hi:[0,1,0]
	v_lshlrev_b32_e32 v49, 16, v48
	v_fma_mixlo_f16 v48, v47, v50, 0 op_sel_hi:[0,1,0]
	v_fma_mixlo_f16 v50, v47, v54, 0 op_sel:[0,1,0] op_sel_hi:[0,1,0]
	v_fma_mixlo_f16 v51, v47, v51, 0 op_sel_hi:[0,1,0]
	v_fma_mixlo_f16 v52, v47, v52, 0 op_sel_hi:[0,1,0]
	v_lshlrev_b32_e32 v2, 16, v11
	v_and_b32_e32 v11, 0xffff, v53
	v_and_b32_e32 v55, 0xffff, v48
	v_lshlrev_b32_e32 v47, 16, v50
	v_and_b32_e32 v51, 0xffff, v51
	v_lshlrev_b32_e32 v10, 16, v10
	v_and_b32_e32 v48, 0xffff, v52
	v_or_b32_e32 v50, v2, v11
	v_or_b32_e32 v54, v49, v55
	;; [unrolled: 1-line block ×4, first 2 shown]
	s_and_saveexec_b32 s9, vcc_lo
	s_cbranch_execz .LBB278_875
; %bb.874:                              ;   in Loop: Header=BB278_545 Depth=1
	v_cmp_gt_i32_e64 s0, s27, v28
	v_cndmask_b32_e64 v50, 0, v55, s0
	v_cmp_gt_i32_e64 s0, s27, v34
	v_cndmask_b32_e64 v49, 0, v49, s0
	v_cmp_gt_i32_e64 s0, s27, v33
	v_or_b32_e32 v54, v49, v50
	v_cndmask_b32_e64 v11, 0, v11, s0
	v_cmp_gt_i32_e64 s0, s27, v32
	v_cndmask_b32_e64 v2, 0, v2, s0
	v_cmp_gt_i32_e64 s0, s27, v31
	v_or_b32_e32 v50, v2, v11
	;; [unrolled: 5-line block ×3, first 2 shown]
	v_cndmask_b32_e64 v48, 0, v48, s0
	v_cmp_gt_i32_e64 s0, s27, v22
	v_cndmask_b32_e64 v10, 0, v10, s0
	v_or_b32_e32 v52, v10, v48
.LBB278_875:                            ;   in Loop: Header=BB278_545 Depth=1
	s_or_b32 exec_lo, exec_lo, s9
	;;#ASMSTART
	v_pk_mul_f16 v2, v39, v54;

	;;#ASMEND
	;;#ASMSTART
	v_pk_mul_f16 v10, v37, v50;

	;;#ASMEND
	;; [unrolled: 4-line block ×4, first 2 shown]
	;;#ASMSTART
	v_pk_add_f16 v2, v2, v10;

	;;#ASMEND
	;;#ASMSTART
	v_pk_add_f16 v2, v2, v11;

	;;#ASMEND
	;; [unrolled: 4-line block ×3, first 2 shown]
	v_and_b32_e32 v10, 0xffff, v2
	v_lshrrev_b32_e32 v2, 16, v2
	;;#ASMSTART
	v_cvt_f32_f16 v47, v10;
	;;#ASMEND
	;;#ASMSTART
	v_cvt_f32_f16 v48, v2;
	;;#ASMEND
	global_load_dwordx2 v[10:11], v[8:9], off offset:1280
	v_mov_b32_e32 v50, 0
	v_mov_b32_e32 v51, 0
	global_load_dword v49, v50, s[14:15]
	s_waitcnt vmcnt(1)
	v_cmp_ne_u16_sdwa s0, v10, v3 src0_sel:BYTE_0 src1_sel:DWORD
	s_and_saveexec_b32 s9, s0
	s_cbranch_execz .LBB278_883
; %bb.876:                              ;   in Loop: Header=BB278_545 Depth=1
	v_cmp_ne_u16_sdwa s0, v10, v24 src0_sel:BYTE_0 src1_sel:DWORD
	v_mov_b32_e32 v51, 0x8000
	s_and_saveexec_b32 s12, s0
	s_cbranch_execz .LBB278_882
; %bb.877:                              ;   in Loop: Header=BB278_545 Depth=1
	v_and_b32_e32 v52, 0x7f, v10
	v_mov_b32_e32 v51, 0x7c01
	s_mov_b32 s13, exec_lo
	v_cmpx_ne_u32_e32 0x7f, v52
	s_cbranch_execz .LBB278_881
; %bb.878:                              ;   in Loop: Header=BB278_545 Depth=1
	v_and_b32_e32 v2, 7, v10
	v_lshrrev_b32_e32 v51, 3, v52
	s_mov_b32 s17, exec_lo
	v_cmpx_gt_u32_e32 8, v52
; %bb.879:                              ;   in Loop: Header=BB278_545 Depth=1
	v_ffbh_u32_e32 v2, v2
	v_min_u32_e32 v2, 32, v2
	v_subrev_nc_u32_e32 v51, 28, v2
	v_lshlrev_b64 v[52:53], v51, v[10:11]
	v_sub_nc_u32_e32 v51, 29, v2
	v_and_b32_e32 v2, 7, v52
; %bb.880:                              ;   in Loop: Header=BB278_545 Depth=1
	s_or_b32 exec_lo, exec_lo, s17
	v_lshlrev_b32_e32 v52, 8, v10
	v_lshl_add_u32 v51, v51, 10, 0x2000
	v_lshlrev_b32_e32 v2, 7, v2
	v_and_b32_e32 v52, 0x8000, v52
	v_and_b32_e32 v51, 0xfc00, v51
	v_or3_b32 v51, v52, v51, v2
.LBB278_881:                            ;   in Loop: Header=BB278_545 Depth=1
	s_or_b32 exec_lo, exec_lo, s13
.LBB278_882:                            ;   in Loop: Header=BB278_545 Depth=1
	s_or_b32 exec_lo, exec_lo, s12
.LBB278_883:                            ;   in Loop: Header=BB278_545 Depth=1
	s_or_b32 exec_lo, exec_lo, s9
	v_lshrrev_b16 v2, 8, v10
	s_mov_b32 s9, exec_lo
	v_cmpx_ne_u16_e32 0, v2
	s_cbranch_execz .LBB278_891
; %bb.884:                              ;   in Loop: Header=BB278_545 Depth=1
	v_bfrev_b32_e32 v50, 1
	s_mov_b32 s12, exec_lo
	v_cmpx_ne_u16_e32 0x80, v2
	s_cbranch_execz .LBB278_890
; %bb.885:                              ;   in Loop: Header=BB278_545 Depth=1
	v_and_b32_sdwa v53, v2, v25 dst_sel:DWORD dst_unused:UNUSED_PAD src0_sel:WORD_0 src1_sel:DWORD
	v_mov_b32_e32 v50, 0x7c010000
	s_mov_b32 s13, exec_lo
	v_cmpx_ne_u32_e32 0x7f, v53
	s_cbranch_execz .LBB278_889
; %bb.886:                              ;   in Loop: Header=BB278_545 Depth=1
	v_and_b32_sdwa v50, v2, v26 dst_sel:DWORD dst_unused:UNUSED_PAD src0_sel:WORD_0 src1_sel:DWORD
	v_lshrrev_b32_e32 v52, 3, v53
	s_mov_b32 s17, exec_lo
	v_cmpx_gt_u32_e32 8, v53
; %bb.887:                              ;   in Loop: Header=BB278_545 Depth=1
	v_ffbh_u32_e32 v50, v50
	v_min_u32_e32 v50, 32, v50
	v_subrev_nc_u32_e32 v52, 28, v50
	v_lshlrev_b64 v[53:54], v52, v[2:3]
	v_sub_nc_u32_e32 v52, 29, v50
	v_and_b32_e32 v50, 7, v53
; %bb.888:                              ;   in Loop: Header=BB278_545 Depth=1
	s_or_b32 exec_lo, exec_lo, s17
	v_lshlrev_b32_sdwa v2, v27, v2 dst_sel:DWORD dst_unused:UNUSED_PAD src0_sel:DWORD src1_sel:WORD_0
	v_lshl_add_u32 v52, v52, 10, 0x2000
	v_lshlrev_b32_e32 v50, 23, v50
	v_and_or_b32 v2, 0x8000, v2, v52
	v_lshl_or_b32 v50, v2, 16, v50
.LBB278_889:                            ;   in Loop: Header=BB278_545 Depth=1
	s_or_b32 exec_lo, exec_lo, s13
.LBB278_890:                            ;   in Loop: Header=BB278_545 Depth=1
	s_or_b32 exec_lo, exec_lo, s12
.LBB278_891:                            ;   in Loop: Header=BB278_545 Depth=1
	s_or_b32 exec_lo, exec_lo, s9
	v_lshrrev_b32_e32 v2, 16, v10
	v_mov_b32_e32 v52, 0
	v_mov_b32_e32 v53, 0
	v_cmp_ne_u16_sdwa s0, v2, v3 src0_sel:BYTE_0 src1_sel:DWORD
	s_and_saveexec_b32 s9, s0
	s_cbranch_execz .LBB278_899
; %bb.892:                              ;   in Loop: Header=BB278_545 Depth=1
	v_cmp_ne_u16_sdwa s0, v2, v24 src0_sel:BYTE_0 src1_sel:DWORD
	v_mov_b32_e32 v53, 0x8000
	s_and_saveexec_b32 s12, s0
	s_cbranch_execz .LBB278_898
; %bb.893:                              ;   in Loop: Header=BB278_545 Depth=1
	v_bfe_u32 v55, v10, 16, 7
	v_mov_b32_e32 v53, 0x7c01
	s_mov_b32 s13, exec_lo
	v_cmpx_ne_u32_e32 0x7f, v55
	s_cbranch_execz .LBB278_897
; %bb.894:                              ;   in Loop: Header=BB278_545 Depth=1
	v_and_b32_e32 v53, 7, v2
	v_lshrrev_b32_e32 v54, 3, v55
	s_mov_b32 s17, exec_lo
	v_cmpx_gt_u32_e32 8, v55
; %bb.895:                              ;   in Loop: Header=BB278_545 Depth=1
	v_ffbh_u32_e32 v53, v53
	v_min_u32_e32 v55, 32, v53
	v_subrev_nc_u32_e32 v53, 28, v55
	v_lshlrev_b64 v[53:54], v53, v[2:3]
	v_sub_nc_u32_e32 v54, 29, v55
	v_and_b32_e32 v53, 7, v53
; %bb.896:                              ;   in Loop: Header=BB278_545 Depth=1
	s_or_b32 exec_lo, exec_lo, s17
	v_lshlrev_b32_e32 v2, 8, v2
	v_lshl_add_u32 v54, v54, 10, 0x2000
	v_lshlrev_b32_e32 v53, 7, v53
	v_and_b32_e32 v2, 0x8000, v2
	v_and_b32_e32 v54, 0xfc00, v54
	v_or3_b32 v53, v2, v54, v53
.LBB278_897:                            ;   in Loop: Header=BB278_545 Depth=1
	s_or_b32 exec_lo, exec_lo, s13
.LBB278_898:                            ;   in Loop: Header=BB278_545 Depth=1
	s_or_b32 exec_lo, exec_lo, s12
.LBB278_899:                            ;   in Loop: Header=BB278_545 Depth=1
	s_or_b32 exec_lo, exec_lo, s9
	s_mov_b32 s9, exec_lo
	v_cmpx_lt_u32_e32 0xffffff, v10
	s_cbranch_execz .LBB278_907
; %bb.900:                              ;   in Loop: Header=BB278_545 Depth=1
	v_lshrrev_b32_e32 v2, 24, v10
	v_bfrev_b32_e32 v52, 1
	s_mov_b32 s12, exec_lo
	v_cmpx_ne_u32_e32 0x80, v2
	s_cbranch_execz .LBB278_906
; %bb.901:                              ;   in Loop: Header=BB278_545 Depth=1
	v_and_b32_e32 v55, 0x7f, v2
	v_mov_b32_e32 v52, 0x7c010000
	s_mov_b32 s13, exec_lo
	v_cmpx_ne_u32_e32 0x7f, v55
	s_cbranch_execz .LBB278_905
; %bb.902:                              ;   in Loop: Header=BB278_545 Depth=1
	v_and_b32_e32 v52, 7, v2
	v_lshrrev_b32_e32 v54, 3, v55
	s_mov_b32 s17, exec_lo
	v_cmpx_gt_u32_e32 8, v55
; %bb.903:                              ;   in Loop: Header=BB278_545 Depth=1
	v_ffbh_u32_e32 v52, v52
	v_min_u32_e32 v52, 32, v52
	v_subrev_nc_u32_e32 v54, 28, v52
	v_lshlrev_b64 v[55:56], v54, v[2:3]
	v_sub_nc_u32_e32 v54, 29, v52
	v_and_b32_e32 v52, 7, v55
; %bb.904:                              ;   in Loop: Header=BB278_545 Depth=1
	s_or_b32 exec_lo, exec_lo, s17
	v_lshlrev_b32_e32 v2, 8, v2
	v_lshl_add_u32 v54, v54, 10, 0x2000
	v_lshlrev_b32_e32 v52, 23, v52
	v_and_or_b32 v2, 0x8000, v2, v54
	v_lshl_or_b32 v52, v2, 16, v52
.LBB278_905:                            ;   in Loop: Header=BB278_545 Depth=1
	s_or_b32 exec_lo, exec_lo, s13
.LBB278_906:                            ;   in Loop: Header=BB278_545 Depth=1
	s_or_b32 exec_lo, exec_lo, s12
.LBB278_907:                            ;   in Loop: Header=BB278_545 Depth=1
	s_or_b32 exec_lo, exec_lo, s9
	v_mov_b32_e32 v2, v11
	v_cmp_ne_u16_sdwa s0, v11, v3 src0_sel:BYTE_0 src1_sel:DWORD
	v_mov_b32_e32 v54, 0
	v_mov_b32_e32 v55, 0
	s_and_saveexec_b32 s9, s0
	s_cbranch_execz .LBB278_915
; %bb.908:                              ;   in Loop: Header=BB278_545 Depth=1
	v_cmp_ne_u16_sdwa s0, v11, v24 src0_sel:BYTE_0 src1_sel:DWORD
	v_mov_b32_e32 v55, 0x8000
	s_and_saveexec_b32 s12, s0
	s_cbranch_execz .LBB278_914
; %bb.909:                              ;   in Loop: Header=BB278_545 Depth=1
	v_and_b32_e32 v57, 0x7f, v11
	v_mov_b32_e32 v55, 0x7c01
	s_mov_b32 s13, exec_lo
	v_cmpx_ne_u32_e32 0x7f, v57
	s_cbranch_execz .LBB278_913
; %bb.910:                              ;   in Loop: Header=BB278_545 Depth=1
	v_and_b32_e32 v55, 7, v11
	v_lshrrev_b32_e32 v56, 3, v57
	s_mov_b32 s17, exec_lo
	v_cmpx_gt_u32_e32 8, v57
; %bb.911:                              ;   in Loop: Header=BB278_545 Depth=1
	v_ffbh_u32_e32 v55, v55
	v_min_u32_e32 v57, 32, v55
	v_subrev_nc_u32_e32 v55, 28, v57
	v_lshlrev_b64 v[55:56], v55, v[2:3]
	v_sub_nc_u32_e32 v56, 29, v57
	v_and_b32_e32 v55, 7, v55
; %bb.912:                              ;   in Loop: Header=BB278_545 Depth=1
	s_or_b32 exec_lo, exec_lo, s17
	v_lshlrev_b32_e32 v57, 8, v11
	v_lshl_add_u32 v56, v56, 10, 0x2000
	v_lshlrev_b32_e32 v55, 7, v55
	v_and_b32_e32 v57, 0x8000, v57
	v_and_b32_e32 v56, 0xfc00, v56
	v_or3_b32 v55, v57, v56, v55
.LBB278_913:                            ;   in Loop: Header=BB278_545 Depth=1
	s_or_b32 exec_lo, exec_lo, s13
.LBB278_914:                            ;   in Loop: Header=BB278_545 Depth=1
	s_or_b32 exec_lo, exec_lo, s12
.LBB278_915:                            ;   in Loop: Header=BB278_545 Depth=1
	s_or_b32 exec_lo, exec_lo, s9
	v_lshrrev_b16 v2, 8, v2
	v_mov_b32_e32 v56, 0
	s_mov_b32 s9, exec_lo
	v_cmpx_ne_u16_e32 0, v2
	s_cbranch_execz .LBB278_923
; %bb.916:                              ;   in Loop: Header=BB278_545 Depth=1
	v_bfrev_b32_e32 v56, 1
	s_mov_b32 s12, exec_lo
	v_cmpx_ne_u16_e32 0x80, v2
	s_cbranch_execz .LBB278_922
; %bb.917:                              ;   in Loop: Header=BB278_545 Depth=1
	v_and_b32_sdwa v58, v2, v25 dst_sel:DWORD dst_unused:UNUSED_PAD src0_sel:WORD_0 src1_sel:DWORD
	v_mov_b32_e32 v56, 0x7c010000
	s_mov_b32 s13, exec_lo
	v_cmpx_ne_u32_e32 0x7f, v58
	s_cbranch_execz .LBB278_921
; %bb.918:                              ;   in Loop: Header=BB278_545 Depth=1
	v_and_b32_sdwa v56, v2, v26 dst_sel:DWORD dst_unused:UNUSED_PAD src0_sel:WORD_0 src1_sel:DWORD
	v_lshrrev_b32_e32 v57, 3, v58
	s_mov_b32 s17, exec_lo
	v_cmpx_gt_u32_e32 8, v58
; %bb.919:                              ;   in Loop: Header=BB278_545 Depth=1
	v_ffbh_u32_e32 v56, v56
	v_min_u32_e32 v58, 32, v56
	v_subrev_nc_u32_e32 v56, 28, v58
	v_lshlrev_b64 v[56:57], v56, v[2:3]
	v_sub_nc_u32_e32 v57, 29, v58
	v_and_b32_e32 v56, 7, v56
; %bb.920:                              ;   in Loop: Header=BB278_545 Depth=1
	s_or_b32 exec_lo, exec_lo, s17
	v_lshlrev_b32_sdwa v2, v27, v2 dst_sel:DWORD dst_unused:UNUSED_PAD src0_sel:DWORD src1_sel:WORD_0
	v_lshl_add_u32 v57, v57, 10, 0x2000
	v_lshlrev_b32_e32 v56, 23, v56
	v_and_or_b32 v2, 0x8000, v2, v57
	v_lshl_or_b32 v56, v2, 16, v56
.LBB278_921:                            ;   in Loop: Header=BB278_545 Depth=1
	s_or_b32 exec_lo, exec_lo, s13
.LBB278_922:                            ;   in Loop: Header=BB278_545 Depth=1
	s_or_b32 exec_lo, exec_lo, s12
.LBB278_923:                            ;   in Loop: Header=BB278_545 Depth=1
	s_or_b32 exec_lo, exec_lo, s9
	v_lshrrev_b32_e32 v2, 16, v11
	v_cmp_ne_u16_sdwa s0, v2, v3 src0_sel:BYTE_0 src1_sel:DWORD
	s_and_saveexec_b32 s9, s0
	s_cbranch_execz .LBB278_931
; %bb.924:                              ;   in Loop: Header=BB278_545 Depth=1
	v_cmp_ne_u16_sdwa s0, v2, v24 src0_sel:BYTE_0 src1_sel:DWORD
	v_mov_b32_e32 v54, 0x8000
	s_and_saveexec_b32 s12, s0
	s_cbranch_execz .LBB278_930
; %bb.925:                              ;   in Loop: Header=BB278_545 Depth=1
	v_bfe_u32 v58, v11, 16, 7
	v_mov_b32_e32 v54, 0x7c01
	s_mov_b32 s13, exec_lo
	v_cmpx_ne_u32_e32 0x7f, v58
	s_cbranch_execz .LBB278_929
; %bb.926:                              ;   in Loop: Header=BB278_545 Depth=1
	v_and_b32_e32 v54, 7, v2
	v_lshrrev_b32_e32 v57, 3, v58
	s_mov_b32 s17, exec_lo
	v_cmpx_gt_u32_e32 8, v58
; %bb.927:                              ;   in Loop: Header=BB278_545 Depth=1
	v_ffbh_u32_e32 v54, v54
	v_min_u32_e32 v54, 32, v54
	v_subrev_nc_u32_e32 v57, 28, v54
	v_lshlrev_b64 v[58:59], v57, v[2:3]
	v_sub_nc_u32_e32 v57, 29, v54
	v_and_b32_e32 v54, 7, v58
; %bb.928:                              ;   in Loop: Header=BB278_545 Depth=1
	s_or_b32 exec_lo, exec_lo, s17
	v_lshlrev_b32_e32 v2, 8, v2
	v_lshl_add_u32 v57, v57, 10, 0x2000
	v_lshlrev_b32_e32 v54, 7, v54
	v_and_b32_e32 v2, 0x8000, v2
	v_and_b32_e32 v57, 0xfc00, v57
	v_or3_b32 v54, v2, v57, v54
.LBB278_929:                            ;   in Loop: Header=BB278_545 Depth=1
	s_or_b32 exec_lo, exec_lo, s13
.LBB278_930:                            ;   in Loop: Header=BB278_545 Depth=1
	s_or_b32 exec_lo, exec_lo, s12
.LBB278_931:                            ;   in Loop: Header=BB278_545 Depth=1
	s_or_b32 exec_lo, exec_lo, s9
	v_cmp_lt_u64_e64 s0, s[4:5], v[10:11]
	v_mov_b32_e32 v10, 0
	s_and_saveexec_b32 s9, s0
	s_cbranch_execz .LBB278_939
; %bb.932:                              ;   in Loop: Header=BB278_545 Depth=1
	v_lshrrev_b32_e32 v2, 24, v11
	v_bfrev_b32_e32 v10, 1
	s_mov_b32 s12, exec_lo
	v_cmpx_ne_u32_e32 0x80, v2
	s_cbranch_execz .LBB278_938
; %bb.933:                              ;   in Loop: Header=BB278_545 Depth=1
	v_and_b32_e32 v57, 0x7f, v2
	v_mov_b32_e32 v10, 0x7c010000
	s_mov_b32 s13, exec_lo
	v_cmpx_ne_u32_e32 0x7f, v57
	s_cbranch_execz .LBB278_937
; %bb.934:                              ;   in Loop: Header=BB278_545 Depth=1
	v_and_b32_e32 v10, 7, v2
	v_lshrrev_b32_e32 v11, 3, v57
	s_mov_b32 s17, exec_lo
	v_cmpx_gt_u32_e32 8, v57
; %bb.935:                              ;   in Loop: Header=BB278_545 Depth=1
	v_ffbh_u32_e32 v10, v10
	v_min_u32_e32 v57, 32, v10
	v_subrev_nc_u32_e32 v10, 28, v57
	v_lshlrev_b64 v[10:11], v10, v[2:3]
	v_sub_nc_u32_e32 v11, 29, v57
	v_and_b32_e32 v10, 7, v10
; %bb.936:                              ;   in Loop: Header=BB278_545 Depth=1
	s_or_b32 exec_lo, exec_lo, s17
	v_lshlrev_b32_e32 v2, 8, v2
	v_lshl_add_u32 v11, v11, 10, 0x2000
	v_lshlrev_b32_e32 v10, 23, v10
	v_and_or_b32 v2, 0x8000, v2, v11
	v_lshl_or_b32 v10, v2, 16, v10
.LBB278_937:                            ;   in Loop: Header=BB278_545 Depth=1
	s_or_b32 exec_lo, exec_lo, s13
.LBB278_938:                            ;   in Loop: Header=BB278_545 Depth=1
	s_or_b32 exec_lo, exec_lo, s12
.LBB278_939:                            ;   in Loop: Header=BB278_545 Depth=1
	s_or_b32 exec_lo, exec_lo, s9
	v_or_b32_e32 v2, v52, v53
	s_waitcnt vmcnt(0)
	v_fma_mixlo_f16 v11, v49, v52, 0 op_sel:[0,1,0] op_sel_hi:[0,1,0]
	v_or_b32_e32 v52, v50, v51
	v_fma_mixlo_f16 v50, v49, v50, 0 op_sel:[0,1,0] op_sel_hi:[0,1,0]
	v_or_b32_e32 v53, v56, v55
	v_or_b32_e32 v54, v10, v54
	v_fma_mixlo_f16 v55, v49, v2, 0 op_sel_hi:[0,1,0]
	v_fma_mixlo_f16 v10, v49, v10, 0 op_sel:[0,1,0] op_sel_hi:[0,1,0]
	v_lshlrev_b32_e32 v51, 16, v50
	v_fma_mixlo_f16 v50, v49, v52, 0 op_sel_hi:[0,1,0]
	v_fma_mixlo_f16 v52, v49, v56, 0 op_sel:[0,1,0] op_sel_hi:[0,1,0]
	v_fma_mixlo_f16 v53, v49, v53, 0 op_sel_hi:[0,1,0]
	v_fma_mixlo_f16 v54, v49, v54, 0 op_sel_hi:[0,1,0]
	v_lshlrev_b32_e32 v2, 16, v11
	v_and_b32_e32 v11, 0xffff, v55
	v_and_b32_e32 v57, 0xffff, v50
	v_lshlrev_b32_e32 v49, 16, v52
	v_and_b32_e32 v53, 0xffff, v53
	v_lshlrev_b32_e32 v10, 16, v10
	v_and_b32_e32 v50, 0xffff, v54
	v_or_b32_e32 v52, v2, v11
	v_or_b32_e32 v56, v51, v57
	;; [unrolled: 1-line block ×4, first 2 shown]
	s_and_saveexec_b32 s9, vcc_lo
	s_cbranch_execz .LBB278_941
; %bb.940:                              ;   in Loop: Header=BB278_545 Depth=1
	v_cmp_gt_i32_e64 s0, s27, v28
	v_cndmask_b32_e64 v52, 0, v57, s0
	v_cmp_gt_i32_e64 s0, s27, v34
	v_cndmask_b32_e64 v51, 0, v51, s0
	v_cmp_gt_i32_e64 s0, s27, v33
	v_or_b32_e32 v56, v51, v52
	v_cndmask_b32_e64 v11, 0, v11, s0
	v_cmp_gt_i32_e64 s0, s27, v32
	v_cndmask_b32_e64 v2, 0, v2, s0
	v_cmp_gt_i32_e64 s0, s27, v31
	v_or_b32_e32 v52, v2, v11
	v_cndmask_b32_e64 v53, 0, v53, s0
	v_cmp_gt_i32_e64 s0, s27, v30
	v_cndmask_b32_e64 v49, 0, v49, s0
	v_cmp_gt_i32_e64 s0, s27, v29
	v_or_b32_e32 v55, v49, v53
	v_cndmask_b32_e64 v50, 0, v50, s0
	v_cmp_gt_i32_e64 s0, s27, v22
	v_cndmask_b32_e64 v10, 0, v10, s0
	v_or_b32_e32 v54, v10, v50
.LBB278_941:                            ;   in Loop: Header=BB278_545 Depth=1
	s_or_b32 exec_lo, exec_lo, s9
	;;#ASMSTART
	v_pk_mul_f16 v2, v39, v56;

	;;#ASMEND
	;;#ASMSTART
	v_pk_mul_f16 v10, v37, v52;

	;;#ASMEND
	;; [unrolled: 4-line block ×4, first 2 shown]
	;;#ASMSTART
	v_pk_add_f16 v2, v2, v10;

	;;#ASMEND
	;;#ASMSTART
	v_pk_add_f16 v2, v2, v11;

	;;#ASMEND
	;; [unrolled: 4-line block ×3, first 2 shown]
	v_and_b32_e32 v10, 0xffff, v2
	v_lshrrev_b32_e32 v2, 16, v2
	;;#ASMSTART
	v_cvt_f32_f16 v49, v10;
	;;#ASMEND
	;;#ASMSTART
	v_cvt_f32_f16 v50, v2;
	;;#ASMEND
	global_load_dwordx2 v[10:11], v[8:9], off offset:1536
	v_mov_b32_e32 v52, 0
	v_mov_b32_e32 v53, 0
	global_load_dword v51, v52, s[14:15]
	s_waitcnt vmcnt(1)
	v_cmp_ne_u16_sdwa s0, v10, v3 src0_sel:BYTE_0 src1_sel:DWORD
	s_and_saveexec_b32 s9, s0
	s_cbranch_execz .LBB278_949
; %bb.942:                              ;   in Loop: Header=BB278_545 Depth=1
	v_cmp_ne_u16_sdwa s0, v10, v24 src0_sel:BYTE_0 src1_sel:DWORD
	v_mov_b32_e32 v53, 0x8000
	s_and_saveexec_b32 s12, s0
	s_cbranch_execz .LBB278_948
; %bb.943:                              ;   in Loop: Header=BB278_545 Depth=1
	v_and_b32_e32 v54, 0x7f, v10
	v_mov_b32_e32 v53, 0x7c01
	s_mov_b32 s13, exec_lo
	v_cmpx_ne_u32_e32 0x7f, v54
	s_cbranch_execz .LBB278_947
; %bb.944:                              ;   in Loop: Header=BB278_545 Depth=1
	v_and_b32_e32 v2, 7, v10
	v_lshrrev_b32_e32 v53, 3, v54
	s_mov_b32 s17, exec_lo
	v_cmpx_gt_u32_e32 8, v54
; %bb.945:                              ;   in Loop: Header=BB278_545 Depth=1
	v_ffbh_u32_e32 v2, v2
	v_min_u32_e32 v2, 32, v2
	v_subrev_nc_u32_e32 v53, 28, v2
	v_lshlrev_b64 v[54:55], v53, v[10:11]
	v_sub_nc_u32_e32 v53, 29, v2
	v_and_b32_e32 v2, 7, v54
; %bb.946:                              ;   in Loop: Header=BB278_545 Depth=1
	s_or_b32 exec_lo, exec_lo, s17
	v_lshlrev_b32_e32 v54, 8, v10
	v_lshl_add_u32 v53, v53, 10, 0x2000
	v_lshlrev_b32_e32 v2, 7, v2
	v_and_b32_e32 v54, 0x8000, v54
	v_and_b32_e32 v53, 0xfc00, v53
	v_or3_b32 v53, v54, v53, v2
.LBB278_947:                            ;   in Loop: Header=BB278_545 Depth=1
	s_or_b32 exec_lo, exec_lo, s13
.LBB278_948:                            ;   in Loop: Header=BB278_545 Depth=1
	s_or_b32 exec_lo, exec_lo, s12
.LBB278_949:                            ;   in Loop: Header=BB278_545 Depth=1
	s_or_b32 exec_lo, exec_lo, s9
	v_lshrrev_b16 v2, 8, v10
	s_mov_b32 s9, exec_lo
	v_cmpx_ne_u16_e32 0, v2
	s_cbranch_execz .LBB278_957
; %bb.950:                              ;   in Loop: Header=BB278_545 Depth=1
	v_bfrev_b32_e32 v52, 1
	s_mov_b32 s12, exec_lo
	v_cmpx_ne_u16_e32 0x80, v2
	s_cbranch_execz .LBB278_956
; %bb.951:                              ;   in Loop: Header=BB278_545 Depth=1
	v_and_b32_sdwa v55, v2, v25 dst_sel:DWORD dst_unused:UNUSED_PAD src0_sel:WORD_0 src1_sel:DWORD
	v_mov_b32_e32 v52, 0x7c010000
	s_mov_b32 s13, exec_lo
	v_cmpx_ne_u32_e32 0x7f, v55
	s_cbranch_execz .LBB278_955
; %bb.952:                              ;   in Loop: Header=BB278_545 Depth=1
	v_and_b32_sdwa v52, v2, v26 dst_sel:DWORD dst_unused:UNUSED_PAD src0_sel:WORD_0 src1_sel:DWORD
	v_lshrrev_b32_e32 v54, 3, v55
	s_mov_b32 s17, exec_lo
	v_cmpx_gt_u32_e32 8, v55
; %bb.953:                              ;   in Loop: Header=BB278_545 Depth=1
	v_ffbh_u32_e32 v52, v52
	v_min_u32_e32 v52, 32, v52
	v_subrev_nc_u32_e32 v54, 28, v52
	v_lshlrev_b64 v[55:56], v54, v[2:3]
	v_sub_nc_u32_e32 v54, 29, v52
	v_and_b32_e32 v52, 7, v55
; %bb.954:                              ;   in Loop: Header=BB278_545 Depth=1
	s_or_b32 exec_lo, exec_lo, s17
	v_lshlrev_b32_sdwa v2, v27, v2 dst_sel:DWORD dst_unused:UNUSED_PAD src0_sel:DWORD src1_sel:WORD_0
	v_lshl_add_u32 v54, v54, 10, 0x2000
	v_lshlrev_b32_e32 v52, 23, v52
	v_and_or_b32 v2, 0x8000, v2, v54
	v_lshl_or_b32 v52, v2, 16, v52
.LBB278_955:                            ;   in Loop: Header=BB278_545 Depth=1
	s_or_b32 exec_lo, exec_lo, s13
.LBB278_956:                            ;   in Loop: Header=BB278_545 Depth=1
	s_or_b32 exec_lo, exec_lo, s12
.LBB278_957:                            ;   in Loop: Header=BB278_545 Depth=1
	s_or_b32 exec_lo, exec_lo, s9
	v_lshrrev_b32_e32 v2, 16, v10
	v_mov_b32_e32 v54, 0
	v_mov_b32_e32 v55, 0
	v_cmp_ne_u16_sdwa s0, v2, v3 src0_sel:BYTE_0 src1_sel:DWORD
	s_and_saveexec_b32 s9, s0
	s_cbranch_execz .LBB278_965
; %bb.958:                              ;   in Loop: Header=BB278_545 Depth=1
	v_cmp_ne_u16_sdwa s0, v2, v24 src0_sel:BYTE_0 src1_sel:DWORD
	v_mov_b32_e32 v55, 0x8000
	s_and_saveexec_b32 s12, s0
	s_cbranch_execz .LBB278_964
; %bb.959:                              ;   in Loop: Header=BB278_545 Depth=1
	v_bfe_u32 v57, v10, 16, 7
	v_mov_b32_e32 v55, 0x7c01
	s_mov_b32 s13, exec_lo
	v_cmpx_ne_u32_e32 0x7f, v57
	s_cbranch_execz .LBB278_963
; %bb.960:                              ;   in Loop: Header=BB278_545 Depth=1
	v_and_b32_e32 v55, 7, v2
	v_lshrrev_b32_e32 v56, 3, v57
	s_mov_b32 s17, exec_lo
	v_cmpx_gt_u32_e32 8, v57
; %bb.961:                              ;   in Loop: Header=BB278_545 Depth=1
	v_ffbh_u32_e32 v55, v55
	v_min_u32_e32 v57, 32, v55
	v_subrev_nc_u32_e32 v55, 28, v57
	v_lshlrev_b64 v[55:56], v55, v[2:3]
	v_sub_nc_u32_e32 v56, 29, v57
	v_and_b32_e32 v55, 7, v55
; %bb.962:                              ;   in Loop: Header=BB278_545 Depth=1
	s_or_b32 exec_lo, exec_lo, s17
	v_lshlrev_b32_e32 v2, 8, v2
	v_lshl_add_u32 v56, v56, 10, 0x2000
	v_lshlrev_b32_e32 v55, 7, v55
	v_and_b32_e32 v2, 0x8000, v2
	v_and_b32_e32 v56, 0xfc00, v56
	v_or3_b32 v55, v2, v56, v55
.LBB278_963:                            ;   in Loop: Header=BB278_545 Depth=1
	s_or_b32 exec_lo, exec_lo, s13
.LBB278_964:                            ;   in Loop: Header=BB278_545 Depth=1
	s_or_b32 exec_lo, exec_lo, s12
.LBB278_965:                            ;   in Loop: Header=BB278_545 Depth=1
	s_or_b32 exec_lo, exec_lo, s9
	s_mov_b32 s9, exec_lo
	v_cmpx_lt_u32_e32 0xffffff, v10
	s_cbranch_execz .LBB278_973
; %bb.966:                              ;   in Loop: Header=BB278_545 Depth=1
	v_lshrrev_b32_e32 v2, 24, v10
	v_bfrev_b32_e32 v54, 1
	s_mov_b32 s12, exec_lo
	v_cmpx_ne_u32_e32 0x80, v2
	s_cbranch_execz .LBB278_972
; %bb.967:                              ;   in Loop: Header=BB278_545 Depth=1
	v_and_b32_e32 v57, 0x7f, v2
	v_mov_b32_e32 v54, 0x7c010000
	s_mov_b32 s13, exec_lo
	v_cmpx_ne_u32_e32 0x7f, v57
	s_cbranch_execz .LBB278_971
; %bb.968:                              ;   in Loop: Header=BB278_545 Depth=1
	v_and_b32_e32 v54, 7, v2
	v_lshrrev_b32_e32 v56, 3, v57
	s_mov_b32 s17, exec_lo
	v_cmpx_gt_u32_e32 8, v57
; %bb.969:                              ;   in Loop: Header=BB278_545 Depth=1
	v_ffbh_u32_e32 v54, v54
	v_min_u32_e32 v54, 32, v54
	v_subrev_nc_u32_e32 v56, 28, v54
	v_lshlrev_b64 v[57:58], v56, v[2:3]
	v_sub_nc_u32_e32 v56, 29, v54
	v_and_b32_e32 v54, 7, v57
; %bb.970:                              ;   in Loop: Header=BB278_545 Depth=1
	s_or_b32 exec_lo, exec_lo, s17
	v_lshlrev_b32_e32 v2, 8, v2
	v_lshl_add_u32 v56, v56, 10, 0x2000
	v_lshlrev_b32_e32 v54, 23, v54
	v_and_or_b32 v2, 0x8000, v2, v56
	v_lshl_or_b32 v54, v2, 16, v54
.LBB278_971:                            ;   in Loop: Header=BB278_545 Depth=1
	s_or_b32 exec_lo, exec_lo, s13
.LBB278_972:                            ;   in Loop: Header=BB278_545 Depth=1
	s_or_b32 exec_lo, exec_lo, s12
.LBB278_973:                            ;   in Loop: Header=BB278_545 Depth=1
	s_or_b32 exec_lo, exec_lo, s9
	v_mov_b32_e32 v2, v11
	v_cmp_ne_u16_sdwa s0, v11, v3 src0_sel:BYTE_0 src1_sel:DWORD
	v_mov_b32_e32 v56, 0
	v_mov_b32_e32 v57, 0
	s_and_saveexec_b32 s9, s0
	s_cbranch_execz .LBB278_981
; %bb.974:                              ;   in Loop: Header=BB278_545 Depth=1
	v_cmp_ne_u16_sdwa s0, v11, v24 src0_sel:BYTE_0 src1_sel:DWORD
	v_mov_b32_e32 v57, 0x8000
	s_and_saveexec_b32 s12, s0
	s_cbranch_execz .LBB278_980
; %bb.975:                              ;   in Loop: Header=BB278_545 Depth=1
	v_and_b32_e32 v59, 0x7f, v11
	v_mov_b32_e32 v57, 0x7c01
	s_mov_b32 s13, exec_lo
	v_cmpx_ne_u32_e32 0x7f, v59
	s_cbranch_execz .LBB278_979
; %bb.976:                              ;   in Loop: Header=BB278_545 Depth=1
	v_and_b32_e32 v57, 7, v11
	v_lshrrev_b32_e32 v58, 3, v59
	s_mov_b32 s17, exec_lo
	v_cmpx_gt_u32_e32 8, v59
; %bb.977:                              ;   in Loop: Header=BB278_545 Depth=1
	v_ffbh_u32_e32 v57, v57
	v_min_u32_e32 v59, 32, v57
	v_subrev_nc_u32_e32 v57, 28, v59
	v_lshlrev_b64 v[57:58], v57, v[2:3]
	v_sub_nc_u32_e32 v58, 29, v59
	v_and_b32_e32 v57, 7, v57
; %bb.978:                              ;   in Loop: Header=BB278_545 Depth=1
	s_or_b32 exec_lo, exec_lo, s17
	v_lshlrev_b32_e32 v59, 8, v11
	v_lshl_add_u32 v58, v58, 10, 0x2000
	v_lshlrev_b32_e32 v57, 7, v57
	v_and_b32_e32 v59, 0x8000, v59
	v_and_b32_e32 v58, 0xfc00, v58
	v_or3_b32 v57, v59, v58, v57
.LBB278_979:                            ;   in Loop: Header=BB278_545 Depth=1
	s_or_b32 exec_lo, exec_lo, s13
.LBB278_980:                            ;   in Loop: Header=BB278_545 Depth=1
	s_or_b32 exec_lo, exec_lo, s12
.LBB278_981:                            ;   in Loop: Header=BB278_545 Depth=1
	s_or_b32 exec_lo, exec_lo, s9
	v_lshrrev_b16 v2, 8, v2
	v_mov_b32_e32 v58, 0
	s_mov_b32 s9, exec_lo
	v_cmpx_ne_u16_e32 0, v2
	s_cbranch_execz .LBB278_989
; %bb.982:                              ;   in Loop: Header=BB278_545 Depth=1
	v_bfrev_b32_e32 v58, 1
	s_mov_b32 s12, exec_lo
	v_cmpx_ne_u16_e32 0x80, v2
	s_cbranch_execz .LBB278_988
; %bb.983:                              ;   in Loop: Header=BB278_545 Depth=1
	v_and_b32_sdwa v60, v2, v25 dst_sel:DWORD dst_unused:UNUSED_PAD src0_sel:WORD_0 src1_sel:DWORD
	v_mov_b32_e32 v58, 0x7c010000
	s_mov_b32 s13, exec_lo
	v_cmpx_ne_u32_e32 0x7f, v60
	s_cbranch_execz .LBB278_987
; %bb.984:                              ;   in Loop: Header=BB278_545 Depth=1
	v_and_b32_sdwa v58, v2, v26 dst_sel:DWORD dst_unused:UNUSED_PAD src0_sel:WORD_0 src1_sel:DWORD
	v_lshrrev_b32_e32 v59, 3, v60
	s_mov_b32 s17, exec_lo
	v_cmpx_gt_u32_e32 8, v60
; %bb.985:                              ;   in Loop: Header=BB278_545 Depth=1
	v_ffbh_u32_e32 v58, v58
	v_min_u32_e32 v60, 32, v58
	v_subrev_nc_u32_e32 v58, 28, v60
	v_lshlrev_b64 v[58:59], v58, v[2:3]
	v_sub_nc_u32_e32 v59, 29, v60
	v_and_b32_e32 v58, 7, v58
; %bb.986:                              ;   in Loop: Header=BB278_545 Depth=1
	s_or_b32 exec_lo, exec_lo, s17
	v_lshlrev_b32_sdwa v2, v27, v2 dst_sel:DWORD dst_unused:UNUSED_PAD src0_sel:DWORD src1_sel:WORD_0
	v_lshl_add_u32 v59, v59, 10, 0x2000
	v_lshlrev_b32_e32 v58, 23, v58
	v_and_or_b32 v2, 0x8000, v2, v59
	v_lshl_or_b32 v58, v2, 16, v58
.LBB278_987:                            ;   in Loop: Header=BB278_545 Depth=1
	s_or_b32 exec_lo, exec_lo, s13
.LBB278_988:                            ;   in Loop: Header=BB278_545 Depth=1
	s_or_b32 exec_lo, exec_lo, s12
.LBB278_989:                            ;   in Loop: Header=BB278_545 Depth=1
	s_or_b32 exec_lo, exec_lo, s9
	v_lshrrev_b32_e32 v2, 16, v11
	v_cmp_ne_u16_sdwa s0, v2, v3 src0_sel:BYTE_0 src1_sel:DWORD
	s_and_saveexec_b32 s9, s0
	s_cbranch_execz .LBB278_997
; %bb.990:                              ;   in Loop: Header=BB278_545 Depth=1
	v_cmp_ne_u16_sdwa s0, v2, v24 src0_sel:BYTE_0 src1_sel:DWORD
	v_mov_b32_e32 v56, 0x8000
	s_and_saveexec_b32 s12, s0
	s_cbranch_execz .LBB278_996
; %bb.991:                              ;   in Loop: Header=BB278_545 Depth=1
	v_bfe_u32 v60, v11, 16, 7
	v_mov_b32_e32 v56, 0x7c01
	s_mov_b32 s13, exec_lo
	v_cmpx_ne_u32_e32 0x7f, v60
	s_cbranch_execz .LBB278_995
; %bb.992:                              ;   in Loop: Header=BB278_545 Depth=1
	v_and_b32_e32 v56, 7, v2
	v_lshrrev_b32_e32 v59, 3, v60
	s_mov_b32 s17, exec_lo
	v_cmpx_gt_u32_e32 8, v60
; %bb.993:                              ;   in Loop: Header=BB278_545 Depth=1
	v_ffbh_u32_e32 v56, v56
	v_min_u32_e32 v56, 32, v56
	v_subrev_nc_u32_e32 v59, 28, v56
	v_lshlrev_b64 v[60:61], v59, v[2:3]
	v_sub_nc_u32_e32 v59, 29, v56
	v_and_b32_e32 v56, 7, v60
; %bb.994:                              ;   in Loop: Header=BB278_545 Depth=1
	s_or_b32 exec_lo, exec_lo, s17
	v_lshlrev_b32_e32 v2, 8, v2
	v_lshl_add_u32 v59, v59, 10, 0x2000
	v_lshlrev_b32_e32 v56, 7, v56
	v_and_b32_e32 v2, 0x8000, v2
	v_and_b32_e32 v59, 0xfc00, v59
	v_or3_b32 v56, v2, v59, v56
.LBB278_995:                            ;   in Loop: Header=BB278_545 Depth=1
	s_or_b32 exec_lo, exec_lo, s13
.LBB278_996:                            ;   in Loop: Header=BB278_545 Depth=1
	s_or_b32 exec_lo, exec_lo, s12
.LBB278_997:                            ;   in Loop: Header=BB278_545 Depth=1
	s_or_b32 exec_lo, exec_lo, s9
	v_cmp_lt_u64_e64 s0, s[4:5], v[10:11]
	v_mov_b32_e32 v10, 0
	s_and_saveexec_b32 s9, s0
	s_cbranch_execz .LBB278_1005
; %bb.998:                              ;   in Loop: Header=BB278_545 Depth=1
	v_lshrrev_b32_e32 v2, 24, v11
	v_bfrev_b32_e32 v10, 1
	s_mov_b32 s12, exec_lo
	v_cmpx_ne_u32_e32 0x80, v2
	s_cbranch_execz .LBB278_1004
; %bb.999:                              ;   in Loop: Header=BB278_545 Depth=1
	v_and_b32_e32 v59, 0x7f, v2
	v_mov_b32_e32 v10, 0x7c010000
	s_mov_b32 s13, exec_lo
	v_cmpx_ne_u32_e32 0x7f, v59
	s_cbranch_execz .LBB278_1003
; %bb.1000:                             ;   in Loop: Header=BB278_545 Depth=1
	v_and_b32_e32 v10, 7, v2
	v_lshrrev_b32_e32 v11, 3, v59
	s_mov_b32 s17, exec_lo
	v_cmpx_gt_u32_e32 8, v59
; %bb.1001:                             ;   in Loop: Header=BB278_545 Depth=1
	v_ffbh_u32_e32 v10, v10
	v_min_u32_e32 v59, 32, v10
	v_subrev_nc_u32_e32 v10, 28, v59
	v_lshlrev_b64 v[10:11], v10, v[2:3]
	v_sub_nc_u32_e32 v11, 29, v59
	v_and_b32_e32 v10, 7, v10
; %bb.1002:                             ;   in Loop: Header=BB278_545 Depth=1
	s_or_b32 exec_lo, exec_lo, s17
	v_lshlrev_b32_e32 v2, 8, v2
	v_lshl_add_u32 v11, v11, 10, 0x2000
	v_lshlrev_b32_e32 v10, 23, v10
	v_and_or_b32 v2, 0x8000, v2, v11
	v_lshl_or_b32 v10, v2, 16, v10
.LBB278_1003:                           ;   in Loop: Header=BB278_545 Depth=1
	s_or_b32 exec_lo, exec_lo, s13
.LBB278_1004:                           ;   in Loop: Header=BB278_545 Depth=1
	s_or_b32 exec_lo, exec_lo, s12
.LBB278_1005:                           ;   in Loop: Header=BB278_545 Depth=1
	s_or_b32 exec_lo, exec_lo, s9
	v_or_b32_e32 v2, v54, v55
	s_waitcnt vmcnt(0)
	v_fma_mixlo_f16 v11, v51, v54, 0 op_sel:[0,1,0] op_sel_hi:[0,1,0]
	v_or_b32_e32 v54, v52, v53
	v_fma_mixlo_f16 v52, v51, v52, 0 op_sel:[0,1,0] op_sel_hi:[0,1,0]
	v_or_b32_e32 v55, v58, v57
	v_or_b32_e32 v56, v10, v56
	v_fma_mixlo_f16 v57, v51, v2, 0 op_sel_hi:[0,1,0]
	v_fma_mixlo_f16 v10, v51, v10, 0 op_sel:[0,1,0] op_sel_hi:[0,1,0]
	v_lshlrev_b32_e32 v53, 16, v52
	v_fma_mixlo_f16 v52, v51, v54, 0 op_sel_hi:[0,1,0]
	v_fma_mixlo_f16 v54, v51, v58, 0 op_sel:[0,1,0] op_sel_hi:[0,1,0]
	v_fma_mixlo_f16 v55, v51, v55, 0 op_sel_hi:[0,1,0]
	v_fma_mixlo_f16 v56, v51, v56, 0 op_sel_hi:[0,1,0]
	v_lshlrev_b32_e32 v2, 16, v11
	v_and_b32_e32 v11, 0xffff, v57
	v_and_b32_e32 v59, 0xffff, v52
	v_lshlrev_b32_e32 v51, 16, v54
	v_and_b32_e32 v55, 0xffff, v55
	v_lshlrev_b32_e32 v10, 16, v10
	v_and_b32_e32 v52, 0xffff, v56
	v_or_b32_e32 v54, v2, v11
	v_or_b32_e32 v58, v53, v59
	;; [unrolled: 1-line block ×4, first 2 shown]
	s_and_saveexec_b32 s9, vcc_lo
	s_cbranch_execz .LBB278_1007
; %bb.1006:                             ;   in Loop: Header=BB278_545 Depth=1
	v_cmp_gt_i32_e64 s0, s27, v28
	v_cndmask_b32_e64 v54, 0, v59, s0
	v_cmp_gt_i32_e64 s0, s27, v34
	v_cndmask_b32_e64 v53, 0, v53, s0
	v_cmp_gt_i32_e64 s0, s27, v33
	v_or_b32_e32 v58, v53, v54
	v_cndmask_b32_e64 v11, 0, v11, s0
	v_cmp_gt_i32_e64 s0, s27, v32
	v_cndmask_b32_e64 v2, 0, v2, s0
	v_cmp_gt_i32_e64 s0, s27, v31
	v_or_b32_e32 v54, v2, v11
	;; [unrolled: 5-line block ×3, first 2 shown]
	v_cndmask_b32_e64 v52, 0, v52, s0
	v_cmp_gt_i32_e64 s0, s27, v22
	v_cndmask_b32_e64 v10, 0, v10, s0
	v_or_b32_e32 v56, v10, v52
.LBB278_1007:                           ;   in Loop: Header=BB278_545 Depth=1
	s_or_b32 exec_lo, exec_lo, s9
	;;#ASMSTART
	v_pk_mul_f16 v2, v39, v58;

	;;#ASMEND
	;;#ASMSTART
	v_pk_mul_f16 v10, v37, v54;

	;;#ASMEND
	;; [unrolled: 4-line block ×4, first 2 shown]
	;;#ASMSTART
	v_pk_add_f16 v2, v2, v10;

	;;#ASMEND
	;;#ASMSTART
	v_pk_add_f16 v2, v2, v11;

	;;#ASMEND
	;; [unrolled: 4-line block ×3, first 2 shown]
	v_and_b32_e32 v10, 0xffff, v2
	v_lshrrev_b32_e32 v2, 16, v2
	;;#ASMSTART
	v_cvt_f32_f16 v10, v10;
	;;#ASMEND
	;;#ASMSTART
	v_cvt_f32_f16 v11, v2;
	;;#ASMEND
	global_load_dwordx2 v[8:9], v[8:9], off offset:1792
	v_mov_b32_e32 v52, 0
	v_mov_b32_e32 v53, 0
	global_load_dword v51, v52, s[14:15]
	s_waitcnt vmcnt(1)
	v_cmp_ne_u16_sdwa s0, v8, v3 src0_sel:BYTE_0 src1_sel:DWORD
	s_and_saveexec_b32 s9, s0
	s_cbranch_execz .LBB278_1015
; %bb.1008:                             ;   in Loop: Header=BB278_545 Depth=1
	v_cmp_ne_u16_sdwa s0, v8, v24 src0_sel:BYTE_0 src1_sel:DWORD
	v_mov_b32_e32 v53, 0x8000
	s_and_saveexec_b32 s12, s0
	s_cbranch_execz .LBB278_1014
; %bb.1009:                             ;   in Loop: Header=BB278_545 Depth=1
	v_and_b32_e32 v54, 0x7f, v8
	v_mov_b32_e32 v53, 0x7c01
	s_mov_b32 s13, exec_lo
	v_cmpx_ne_u32_e32 0x7f, v54
	s_cbranch_execz .LBB278_1013
; %bb.1010:                             ;   in Loop: Header=BB278_545 Depth=1
	v_and_b32_e32 v2, 7, v8
	v_lshrrev_b32_e32 v53, 3, v54
	s_mov_b32 s17, exec_lo
	v_cmpx_gt_u32_e32 8, v54
; %bb.1011:                             ;   in Loop: Header=BB278_545 Depth=1
	v_ffbh_u32_e32 v2, v2
	v_min_u32_e32 v2, 32, v2
	v_subrev_nc_u32_e32 v53, 28, v2
	v_lshlrev_b64 v[54:55], v53, v[8:9]
	v_sub_nc_u32_e32 v53, 29, v2
	v_and_b32_e32 v2, 7, v54
; %bb.1012:                             ;   in Loop: Header=BB278_545 Depth=1
	s_or_b32 exec_lo, exec_lo, s17
	v_lshlrev_b32_e32 v54, 8, v8
	v_lshl_add_u32 v53, v53, 10, 0x2000
	v_lshlrev_b32_e32 v2, 7, v2
	v_and_b32_e32 v54, 0x8000, v54
	v_and_b32_e32 v53, 0xfc00, v53
	v_or3_b32 v53, v54, v53, v2
.LBB278_1013:                           ;   in Loop: Header=BB278_545 Depth=1
	s_or_b32 exec_lo, exec_lo, s13
.LBB278_1014:                           ;   in Loop: Header=BB278_545 Depth=1
	s_or_b32 exec_lo, exec_lo, s12
.LBB278_1015:                           ;   in Loop: Header=BB278_545 Depth=1
	s_or_b32 exec_lo, exec_lo, s9
	v_lshrrev_b16 v2, 8, v8
	s_mov_b32 s9, exec_lo
	v_cmpx_ne_u16_e32 0, v2
	s_cbranch_execz .LBB278_1023
; %bb.1016:                             ;   in Loop: Header=BB278_545 Depth=1
	v_bfrev_b32_e32 v52, 1
	s_mov_b32 s12, exec_lo
	v_cmpx_ne_u16_e32 0x80, v2
	s_cbranch_execz .LBB278_1022
; %bb.1017:                             ;   in Loop: Header=BB278_545 Depth=1
	v_and_b32_sdwa v55, v2, v25 dst_sel:DWORD dst_unused:UNUSED_PAD src0_sel:WORD_0 src1_sel:DWORD
	v_mov_b32_e32 v52, 0x7c010000
	s_mov_b32 s13, exec_lo
	v_cmpx_ne_u32_e32 0x7f, v55
	s_cbranch_execz .LBB278_1021
; %bb.1018:                             ;   in Loop: Header=BB278_545 Depth=1
	v_and_b32_sdwa v52, v2, v26 dst_sel:DWORD dst_unused:UNUSED_PAD src0_sel:WORD_0 src1_sel:DWORD
	v_lshrrev_b32_e32 v54, 3, v55
	s_mov_b32 s17, exec_lo
	v_cmpx_gt_u32_e32 8, v55
; %bb.1019:                             ;   in Loop: Header=BB278_545 Depth=1
	v_ffbh_u32_e32 v52, v52
	v_min_u32_e32 v52, 32, v52
	v_subrev_nc_u32_e32 v54, 28, v52
	v_lshlrev_b64 v[55:56], v54, v[2:3]
	v_sub_nc_u32_e32 v54, 29, v52
	v_and_b32_e32 v52, 7, v55
; %bb.1020:                             ;   in Loop: Header=BB278_545 Depth=1
	s_or_b32 exec_lo, exec_lo, s17
	v_lshlrev_b32_sdwa v2, v27, v2 dst_sel:DWORD dst_unused:UNUSED_PAD src0_sel:DWORD src1_sel:WORD_0
	v_lshl_add_u32 v54, v54, 10, 0x2000
	v_lshlrev_b32_e32 v52, 23, v52
	v_and_or_b32 v2, 0x8000, v2, v54
	v_lshl_or_b32 v52, v2, 16, v52
.LBB278_1021:                           ;   in Loop: Header=BB278_545 Depth=1
	s_or_b32 exec_lo, exec_lo, s13
.LBB278_1022:                           ;   in Loop: Header=BB278_545 Depth=1
	s_or_b32 exec_lo, exec_lo, s12
.LBB278_1023:                           ;   in Loop: Header=BB278_545 Depth=1
	s_or_b32 exec_lo, exec_lo, s9
	v_lshrrev_b32_e32 v2, 16, v8
	v_mov_b32_e32 v54, 0
	v_mov_b32_e32 v55, 0
	v_cmp_ne_u16_sdwa s0, v2, v3 src0_sel:BYTE_0 src1_sel:DWORD
	s_and_saveexec_b32 s9, s0
	s_cbranch_execz .LBB278_1031
; %bb.1024:                             ;   in Loop: Header=BB278_545 Depth=1
	v_cmp_ne_u16_sdwa s0, v2, v24 src0_sel:BYTE_0 src1_sel:DWORD
	v_mov_b32_e32 v55, 0x8000
	s_and_saveexec_b32 s12, s0
	s_cbranch_execz .LBB278_1030
; %bb.1025:                             ;   in Loop: Header=BB278_545 Depth=1
	v_bfe_u32 v57, v8, 16, 7
	v_mov_b32_e32 v55, 0x7c01
	s_mov_b32 s13, exec_lo
	v_cmpx_ne_u32_e32 0x7f, v57
	s_cbranch_execz .LBB278_1029
; %bb.1026:                             ;   in Loop: Header=BB278_545 Depth=1
	v_and_b32_e32 v55, 7, v2
	v_lshrrev_b32_e32 v56, 3, v57
	s_mov_b32 s17, exec_lo
	v_cmpx_gt_u32_e32 8, v57
; %bb.1027:                             ;   in Loop: Header=BB278_545 Depth=1
	v_ffbh_u32_e32 v55, v55
	v_min_u32_e32 v57, 32, v55
	v_subrev_nc_u32_e32 v55, 28, v57
	v_lshlrev_b64 v[55:56], v55, v[2:3]
	v_sub_nc_u32_e32 v56, 29, v57
	v_and_b32_e32 v55, 7, v55
; %bb.1028:                             ;   in Loop: Header=BB278_545 Depth=1
	s_or_b32 exec_lo, exec_lo, s17
	v_lshlrev_b32_e32 v2, 8, v2
	v_lshl_add_u32 v56, v56, 10, 0x2000
	v_lshlrev_b32_e32 v55, 7, v55
	v_and_b32_e32 v2, 0x8000, v2
	v_and_b32_e32 v56, 0xfc00, v56
	v_or3_b32 v55, v2, v56, v55
.LBB278_1029:                           ;   in Loop: Header=BB278_545 Depth=1
	s_or_b32 exec_lo, exec_lo, s13
.LBB278_1030:                           ;   in Loop: Header=BB278_545 Depth=1
	s_or_b32 exec_lo, exec_lo, s12
.LBB278_1031:                           ;   in Loop: Header=BB278_545 Depth=1
	s_or_b32 exec_lo, exec_lo, s9
	s_mov_b32 s9, exec_lo
	v_cmpx_lt_u32_e32 0xffffff, v8
	s_cbranch_execz .LBB278_1039
; %bb.1032:                             ;   in Loop: Header=BB278_545 Depth=1
	v_lshrrev_b32_e32 v2, 24, v8
	v_bfrev_b32_e32 v54, 1
	s_mov_b32 s12, exec_lo
	v_cmpx_ne_u32_e32 0x80, v2
	s_cbranch_execz .LBB278_1038
; %bb.1033:                             ;   in Loop: Header=BB278_545 Depth=1
	v_and_b32_e32 v57, 0x7f, v2
	v_mov_b32_e32 v54, 0x7c010000
	s_mov_b32 s13, exec_lo
	v_cmpx_ne_u32_e32 0x7f, v57
	s_cbranch_execz .LBB278_1037
; %bb.1034:                             ;   in Loop: Header=BB278_545 Depth=1
	v_and_b32_e32 v54, 7, v2
	v_lshrrev_b32_e32 v56, 3, v57
	s_mov_b32 s17, exec_lo
	v_cmpx_gt_u32_e32 8, v57
; %bb.1035:                             ;   in Loop: Header=BB278_545 Depth=1
	v_ffbh_u32_e32 v54, v54
	v_min_u32_e32 v54, 32, v54
	v_subrev_nc_u32_e32 v56, 28, v54
	v_lshlrev_b64 v[57:58], v56, v[2:3]
	v_sub_nc_u32_e32 v56, 29, v54
	v_and_b32_e32 v54, 7, v57
; %bb.1036:                             ;   in Loop: Header=BB278_545 Depth=1
	s_or_b32 exec_lo, exec_lo, s17
	v_lshlrev_b32_e32 v2, 8, v2
	v_lshl_add_u32 v56, v56, 10, 0x2000
	v_lshlrev_b32_e32 v54, 23, v54
	v_and_or_b32 v2, 0x8000, v2, v56
	v_lshl_or_b32 v54, v2, 16, v54
.LBB278_1037:                           ;   in Loop: Header=BB278_545 Depth=1
	s_or_b32 exec_lo, exec_lo, s13
.LBB278_1038:                           ;   in Loop: Header=BB278_545 Depth=1
	s_or_b32 exec_lo, exec_lo, s12
.LBB278_1039:                           ;   in Loop: Header=BB278_545 Depth=1
	s_or_b32 exec_lo, exec_lo, s9
	v_mov_b32_e32 v2, v9
	v_cmp_ne_u16_sdwa s0, v9, v3 src0_sel:BYTE_0 src1_sel:DWORD
	v_mov_b32_e32 v56, 0
	v_mov_b32_e32 v57, 0
	s_and_saveexec_b32 s9, s0
	s_cbranch_execz .LBB278_1047
; %bb.1040:                             ;   in Loop: Header=BB278_545 Depth=1
	v_cmp_ne_u16_sdwa s0, v9, v24 src0_sel:BYTE_0 src1_sel:DWORD
	v_mov_b32_e32 v57, 0x8000
	s_and_saveexec_b32 s12, s0
	s_cbranch_execz .LBB278_1046
; %bb.1041:                             ;   in Loop: Header=BB278_545 Depth=1
	v_and_b32_e32 v59, 0x7f, v9
	v_mov_b32_e32 v57, 0x7c01
	s_mov_b32 s13, exec_lo
	v_cmpx_ne_u32_e32 0x7f, v59
	s_cbranch_execz .LBB278_1045
; %bb.1042:                             ;   in Loop: Header=BB278_545 Depth=1
	v_and_b32_e32 v57, 7, v9
	v_lshrrev_b32_e32 v58, 3, v59
	s_mov_b32 s17, exec_lo
	v_cmpx_gt_u32_e32 8, v59
; %bb.1043:                             ;   in Loop: Header=BB278_545 Depth=1
	v_ffbh_u32_e32 v57, v57
	v_min_u32_e32 v59, 32, v57
	v_subrev_nc_u32_e32 v57, 28, v59
	v_lshlrev_b64 v[57:58], v57, v[2:3]
	v_sub_nc_u32_e32 v58, 29, v59
	v_and_b32_e32 v57, 7, v57
; %bb.1044:                             ;   in Loop: Header=BB278_545 Depth=1
	s_or_b32 exec_lo, exec_lo, s17
	v_lshlrev_b32_e32 v59, 8, v9
	v_lshl_add_u32 v58, v58, 10, 0x2000
	v_lshlrev_b32_e32 v57, 7, v57
	v_and_b32_e32 v59, 0x8000, v59
	v_and_b32_e32 v58, 0xfc00, v58
	v_or3_b32 v57, v59, v58, v57
.LBB278_1045:                           ;   in Loop: Header=BB278_545 Depth=1
	s_or_b32 exec_lo, exec_lo, s13
.LBB278_1046:                           ;   in Loop: Header=BB278_545 Depth=1
	s_or_b32 exec_lo, exec_lo, s12
.LBB278_1047:                           ;   in Loop: Header=BB278_545 Depth=1
	s_or_b32 exec_lo, exec_lo, s9
	v_lshrrev_b16 v2, 8, v2
	v_mov_b32_e32 v58, 0
	s_mov_b32 s9, exec_lo
	v_cmpx_ne_u16_e32 0, v2
	s_cbranch_execz .LBB278_1055
; %bb.1048:                             ;   in Loop: Header=BB278_545 Depth=1
	v_bfrev_b32_e32 v58, 1
	s_mov_b32 s12, exec_lo
	v_cmpx_ne_u16_e32 0x80, v2
	s_cbranch_execz .LBB278_1054
; %bb.1049:                             ;   in Loop: Header=BB278_545 Depth=1
	v_and_b32_sdwa v60, v2, v25 dst_sel:DWORD dst_unused:UNUSED_PAD src0_sel:WORD_0 src1_sel:DWORD
	v_mov_b32_e32 v58, 0x7c010000
	s_mov_b32 s13, exec_lo
	v_cmpx_ne_u32_e32 0x7f, v60
	s_cbranch_execz .LBB278_1053
; %bb.1050:                             ;   in Loop: Header=BB278_545 Depth=1
	v_and_b32_sdwa v58, v2, v26 dst_sel:DWORD dst_unused:UNUSED_PAD src0_sel:WORD_0 src1_sel:DWORD
	v_lshrrev_b32_e32 v59, 3, v60
	s_mov_b32 s17, exec_lo
	v_cmpx_gt_u32_e32 8, v60
; %bb.1051:                             ;   in Loop: Header=BB278_545 Depth=1
	v_ffbh_u32_e32 v58, v58
	v_min_u32_e32 v60, 32, v58
	v_subrev_nc_u32_e32 v58, 28, v60
	v_lshlrev_b64 v[58:59], v58, v[2:3]
	v_sub_nc_u32_e32 v59, 29, v60
	v_and_b32_e32 v58, 7, v58
; %bb.1052:                             ;   in Loop: Header=BB278_545 Depth=1
	s_or_b32 exec_lo, exec_lo, s17
	v_lshlrev_b32_sdwa v2, v27, v2 dst_sel:DWORD dst_unused:UNUSED_PAD src0_sel:DWORD src1_sel:WORD_0
	v_lshl_add_u32 v59, v59, 10, 0x2000
	v_lshlrev_b32_e32 v58, 23, v58
	v_and_or_b32 v2, 0x8000, v2, v59
	v_lshl_or_b32 v58, v2, 16, v58
.LBB278_1053:                           ;   in Loop: Header=BB278_545 Depth=1
	s_or_b32 exec_lo, exec_lo, s13
.LBB278_1054:                           ;   in Loop: Header=BB278_545 Depth=1
	s_or_b32 exec_lo, exec_lo, s12
.LBB278_1055:                           ;   in Loop: Header=BB278_545 Depth=1
	s_or_b32 exec_lo, exec_lo, s9
	v_lshrrev_b32_e32 v2, 16, v9
	v_cmp_ne_u16_sdwa s0, v2, v3 src0_sel:BYTE_0 src1_sel:DWORD
	s_and_saveexec_b32 s9, s0
	s_cbranch_execz .LBB278_1063
; %bb.1056:                             ;   in Loop: Header=BB278_545 Depth=1
	v_cmp_ne_u16_sdwa s0, v2, v24 src0_sel:BYTE_0 src1_sel:DWORD
	v_mov_b32_e32 v56, 0x8000
	s_and_saveexec_b32 s12, s0
	s_cbranch_execz .LBB278_1062
; %bb.1057:                             ;   in Loop: Header=BB278_545 Depth=1
	v_bfe_u32 v60, v9, 16, 7
	v_mov_b32_e32 v56, 0x7c01
	s_mov_b32 s13, exec_lo
	v_cmpx_ne_u32_e32 0x7f, v60
	s_cbranch_execz .LBB278_1061
; %bb.1058:                             ;   in Loop: Header=BB278_545 Depth=1
	v_and_b32_e32 v56, 7, v2
	v_lshrrev_b32_e32 v59, 3, v60
	s_mov_b32 s17, exec_lo
	v_cmpx_gt_u32_e32 8, v60
; %bb.1059:                             ;   in Loop: Header=BB278_545 Depth=1
	v_ffbh_u32_e32 v56, v56
	v_min_u32_e32 v56, 32, v56
	v_subrev_nc_u32_e32 v59, 28, v56
	v_lshlrev_b64 v[60:61], v59, v[2:3]
	v_sub_nc_u32_e32 v59, 29, v56
	v_and_b32_e32 v56, 7, v60
; %bb.1060:                             ;   in Loop: Header=BB278_545 Depth=1
	s_or_b32 exec_lo, exec_lo, s17
	v_lshlrev_b32_e32 v2, 8, v2
	v_lshl_add_u32 v59, v59, 10, 0x2000
	v_lshlrev_b32_e32 v56, 7, v56
	v_and_b32_e32 v2, 0x8000, v2
	v_and_b32_e32 v59, 0xfc00, v59
	v_or3_b32 v56, v2, v59, v56
.LBB278_1061:                           ;   in Loop: Header=BB278_545 Depth=1
	s_or_b32 exec_lo, exec_lo, s13
.LBB278_1062:                           ;   in Loop: Header=BB278_545 Depth=1
	s_or_b32 exec_lo, exec_lo, s12
.LBB278_1063:                           ;   in Loop: Header=BB278_545 Depth=1
	s_or_b32 exec_lo, exec_lo, s9
	v_cmp_lt_u64_e64 s0, s[4:5], v[8:9]
	v_mov_b32_e32 v8, 0
	s_and_saveexec_b32 s9, s0
	s_cbranch_execz .LBB278_1071
; %bb.1064:                             ;   in Loop: Header=BB278_545 Depth=1
	v_lshrrev_b32_e32 v2, 24, v9
	v_bfrev_b32_e32 v8, 1
	s_mov_b32 s12, exec_lo
	v_cmpx_ne_u32_e32 0x80, v2
	s_cbranch_execz .LBB278_1070
; %bb.1065:                             ;   in Loop: Header=BB278_545 Depth=1
	v_and_b32_e32 v59, 0x7f, v2
	v_mov_b32_e32 v8, 0x7c010000
	s_mov_b32 s13, exec_lo
	v_cmpx_ne_u32_e32 0x7f, v59
	s_cbranch_execz .LBB278_1069
; %bb.1066:                             ;   in Loop: Header=BB278_545 Depth=1
	v_and_b32_e32 v8, 7, v2
	v_lshrrev_b32_e32 v9, 3, v59
	s_mov_b32 s17, exec_lo
	v_cmpx_gt_u32_e32 8, v59
; %bb.1067:                             ;   in Loop: Header=BB278_545 Depth=1
	v_ffbh_u32_e32 v8, v8
	v_min_u32_e32 v59, 32, v8
	v_subrev_nc_u32_e32 v8, 28, v59
	v_lshlrev_b64 v[8:9], v8, v[2:3]
	v_sub_nc_u32_e32 v9, 29, v59
	v_and_b32_e32 v8, 7, v8
; %bb.1068:                             ;   in Loop: Header=BB278_545 Depth=1
	s_or_b32 exec_lo, exec_lo, s17
	v_lshlrev_b32_e32 v2, 8, v2
	v_lshl_add_u32 v9, v9, 10, 0x2000
	v_lshlrev_b32_e32 v8, 23, v8
	v_and_or_b32 v2, 0x8000, v2, v9
	v_lshl_or_b32 v8, v2, 16, v8
.LBB278_1069:                           ;   in Loop: Header=BB278_545 Depth=1
	s_or_b32 exec_lo, exec_lo, s13
.LBB278_1070:                           ;   in Loop: Header=BB278_545 Depth=1
	s_or_b32 exec_lo, exec_lo, s12
.LBB278_1071:                           ;   in Loop: Header=BB278_545 Depth=1
	s_or_b32 exec_lo, exec_lo, s9
	v_or_b32_e32 v2, v54, v55
	s_waitcnt vmcnt(0)
	v_fma_mixlo_f16 v9, v51, v54, 0 op_sel:[0,1,0] op_sel_hi:[0,1,0]
	v_or_b32_e32 v53, v52, v53
	v_fma_mixlo_f16 v54, v51, v52, 0 op_sel:[0,1,0] op_sel_hi:[0,1,0]
	v_or_b32_e32 v55, v58, v57
	v_fma_mixlo_f16 v2, v51, v2, 0 op_sel_hi:[0,1,0]
	v_or_b32_e32 v56, v8, v56
	v_lshlrev_b32_e32 v52, 16, v9
	v_lshlrev_b32_e32 v57, 16, v54
	v_fma_mixlo_f16 v9, v51, v53, 0 op_sel_hi:[0,1,0]
	v_and_b32_e32 v54, 0xffff, v2
	v_fma_mixlo_f16 v2, v51, v58, 0 op_sel:[0,1,0] op_sel_hi:[0,1,0]
	v_fma_mixlo_f16 v53, v51, v55, 0 op_sel_hi:[0,1,0]
	v_fma_mixlo_f16 v8, v51, v8, 0 op_sel:[0,1,0] op_sel_hi:[0,1,0]
	v_fma_mixlo_f16 v51, v51, v56, 0 op_sel_hi:[0,1,0]
	v_and_b32_e32 v59, 0xffff, v9
	v_lshlrev_b32_e32 v55, 16, v2
	v_and_b32_e32 v58, 0xffff, v53
	v_lshlrev_b32_e32 v53, 16, v8
	v_and_b32_e32 v56, 0xffff, v51
	v_or_b32_e32 v2, v52, v54
	v_or_b32_e32 v51, v57, v59
	;; [unrolled: 1-line block ×4, first 2 shown]
	s_and_saveexec_b32 s0, vcc_lo
	s_cbranch_execz .LBB278_544
; %bb.1072:                             ;   in Loop: Header=BB278_545 Depth=1
	v_cmp_gt_i32_e32 vcc_lo, s27, v28
	v_cndmask_b32_e32 v2, 0, v59, vcc_lo
	v_cmp_gt_i32_e32 vcc_lo, s27, v34
	v_cndmask_b32_e32 v8, 0, v57, vcc_lo
	v_cmp_gt_i32_e32 vcc_lo, s27, v33
	v_or_b32_e32 v51, v8, v2
	v_cndmask_b32_e32 v9, 0, v54, vcc_lo
	v_cmp_gt_i32_e32 vcc_lo, s27, v32
	v_cndmask_b32_e32 v28, 0, v52, vcc_lo
	v_cmp_gt_i32_e32 vcc_lo, s27, v31
	v_or_b32_e32 v2, v28, v9
	;; [unrolled: 5-line block ×3, first 2 shown]
	v_cndmask_b32_e32 v29, 0, v56, vcc_lo
	v_cmp_gt_i32_e32 vcc_lo, s27, v22
	v_cndmask_b32_e32 v32, 0, v53, vcc_lo
	v_or_b32_e32 v8, v32, v29
	s_branch .LBB278_544
.LBB278_1073:
	s_or_b32 exec_lo, exec_lo, s6
	v_mov_b32_e32 v11, v12
.LBB278_1074:
	s_or_b32 exec_lo, exec_lo, s1
	v_lshl_add_u32 v2, v15, 2, 0x220
	v_and_b32_e32 v3, 0x3c0, v0
	s_mov_b32 s0, exec_lo
	s_waitcnt_vscnt null, 0x0
	s_barrier
	v_lshl_add_u32 v1, v11, 10, v2
	buffer_gl0_inv
	v_cmpx_eq_u32_e32 64, v3
	s_cbranch_execz .LBB278_1076
; %bb.1075:
	v_add_nc_u32_e32 v3, 0xfffff800, v1
	v_add_nc_u32_e32 v4, 0xfffff880, v1
	;; [unrolled: 1-line block ×5, first 2 shown]
	ds_write_b32 v3, v21
	ds_write_b32 v4, v20
	;; [unrolled: 1-line block ×3, first 2 shown]
	v_add_nc_u32_e32 v3, 0xfffff980, v1
	v_add_nc_u32_e32 v4, 0xfffffa00, v1
	;; [unrolled: 1-line block ×3, first 2 shown]
	ds_write_b32 v3, v18
	ds_write_b32 v4, v17
	;; [unrolled: 1-line block ×5, first 2 shown]
.LBB278_1076:
	s_or_b32 exec_lo, exec_lo, s0
	s_mov_b32 s0, exec_lo
	s_waitcnt lgkmcnt(0)
	s_barrier
	buffer_gl0_inv
	v_cmpx_gt_u32_e32 64, v0
	s_cbranch_execz .LBB278_1078
; %bb.1077:
	ds_read2_b32 v[3:4], v1 offset1:32
	ds_read2_b32 v[5:6], v1 offset0:64 offset1:96
	ds_read2_b32 v[7:8], v1 offset0:128 offset1:160
	;; [unrolled: 1-line block ×3, first 2 shown]
	s_waitcnt lgkmcnt(3)
	v_add_f32_e32 v21, v21, v3
	v_add_f32_e32 v20, v20, v4
	s_waitcnt lgkmcnt(2)
	v_add_f32_e32 v19, v19, v5
	v_add_f32_e32 v18, v18, v6
	;; [unrolled: 3-line block ×4, first 2 shown]
.LBB278_1078:
	s_or_b32 exec_lo, exec_lo, s0
	v_and_b32_e32 v3, 0x3e0, v0
	s_mov_b32 s0, exec_lo
	s_barrier
	buffer_gl0_inv
	v_cmpx_eq_u32_e32 32, v3
	s_cbranch_execz .LBB278_1080
; %bb.1079:
	ds_write2_b32 v2, v21, v20 offset1:32
	ds_write2_b32 v2, v19, v18 offset0:64 offset1:96
	ds_write2_b32 v2, v17, v16 offset0:128 offset1:160
	;; [unrolled: 1-line block ×3, first 2 shown]
.LBB278_1080:
	s_or_b32 exec_lo, exec_lo, s0
	v_cmp_gt_u32_e32 vcc_lo, 32, v0
	s_waitcnt lgkmcnt(0)
	s_barrier
	buffer_gl0_inv
	s_and_saveexec_b32 s0, vcc_lo
	s_cbranch_execz .LBB278_1082
; %bb.1081:
	ds_read2_b32 v[2:3], v1 offset1:32
	ds_read2_b32 v[4:5], v1 offset0:64 offset1:96
	ds_read2_b32 v[6:7], v1 offset0:128 offset1:160
	;; [unrolled: 1-line block ×3, first 2 shown]
	s_waitcnt lgkmcnt(3)
	v_add_f32_e32 v21, v21, v2
	v_add_f32_e32 v20, v20, v3
	s_waitcnt lgkmcnt(2)
	v_add_f32_e32 v19, v19, v4
	v_add_f32_e32 v18, v18, v5
	;; [unrolled: 3-line block ×4, first 2 shown]
.LBB278_1082:
	s_or_b32 exec_lo, exec_lo, s0
	s_barrier
	buffer_gl0_inv
	s_and_saveexec_b32 s0, vcc_lo
	s_cbranch_execz .LBB278_1084
; %bb.1083:
	s_lshl_b32 s0, s2, 8
	s_mul_i32 s2, s7, s10
	s_ashr_i32 s1, s0, 31
	v_lshlrev_b32_e32 v0, 1, v0
	s_lshl_b64 s[0:1], s[0:1], 1
	;;#ASMSTART
	v_cvt_f16_f32 v1, v21;

	;;#ASMEND
	s_add_u32 s4, s24, s0
	s_addc_u32 s5, s25, s1
	s_ashr_i32 s3, s2, 31
	s_lshl_b64 s[0:1], s[2:3], 1
	s_add_u32 s2, s4, s0
	s_addc_u32 s3, s5, s1
	s_lshl_b32 s0, s8, 8
	s_ashr_i32 s1, s0, 31
	s_lshl_b64 s[0:1], s[0:1], 1
	s_add_u32 s0, s2, s0
	s_addc_u32 s1, s3, s1
	global_store_short v0, v1, s[0:1]
	;;#ASMSTART
	v_cvt_f16_f32 v1, v20;

	;;#ASMEND
	global_store_short v0, v1, s[0:1] offset:64
	;;#ASMSTART
	v_cvt_f16_f32 v1, v19;

	;;#ASMEND
	global_store_short v0, v1, s[0:1] offset:128
	;;#ASMSTART
	v_cvt_f16_f32 v1, v18;

	;;#ASMEND
	global_store_short v0, v1, s[0:1] offset:192
	;;#ASMSTART
	v_cvt_f16_f32 v1, v17;

	;;#ASMEND
	global_store_short v0, v1, s[0:1] offset:256
	;;#ASMSTART
	v_cvt_f16_f32 v1, v16;

	;;#ASMEND
	global_store_short v0, v1, s[0:1] offset:320
	;;#ASMSTART
	v_cvt_f16_f32 v1, v14;

	;;#ASMEND
	global_store_short v0, v1, s[0:1] offset:384
	;;#ASMSTART
	v_cvt_f16_f32 v1, v13;

	;;#ASMEND
	global_store_short v0, v1, s[0:1] offset:448
.LBB278_1084:
	s_endpgm
	.section	.rodata,"a",@progbits
	.p2align	6, 0x0
	.amdhsa_kernel _ZN4vllm25paged_attention_v2_kernelIthLi256ELi8ELi128ELNS_18Fp8KVCacheDataTypeE1ELb0ELi512EEEvPfS2_PT_PKS3_PKT0_S9_ifPKiSB_iPKfiiiSD_SD_iiiii
		.amdhsa_group_segment_fixed_size 544
		.amdhsa_private_segment_fixed_size 8
		.amdhsa_kernarg_size 400
		.amdhsa_user_sgpr_count 6
		.amdhsa_user_sgpr_private_segment_buffer 1
		.amdhsa_user_sgpr_dispatch_ptr 0
		.amdhsa_user_sgpr_queue_ptr 0
		.amdhsa_user_sgpr_kernarg_segment_ptr 1
		.amdhsa_user_sgpr_dispatch_id 0
		.amdhsa_user_sgpr_flat_scratch_init 0
		.amdhsa_user_sgpr_private_segment_size 0
		.amdhsa_wavefront_size32 1
		.amdhsa_uses_dynamic_stack 0
		.amdhsa_system_sgpr_private_segment_wavefront_offset 1
		.amdhsa_system_sgpr_workgroup_id_x 1
		.amdhsa_system_sgpr_workgroup_id_y 1
		.amdhsa_system_sgpr_workgroup_id_z 1
		.amdhsa_system_sgpr_workgroup_info 0
		.amdhsa_system_vgpr_workitem_id 0
		.amdhsa_next_free_vgpr 128
		.amdhsa_next_free_sgpr 48
		.amdhsa_reserve_vcc 1
		.amdhsa_reserve_flat_scratch 0
		.amdhsa_float_round_mode_32 0
		.amdhsa_float_round_mode_16_64 0
		.amdhsa_float_denorm_mode_32 3
		.amdhsa_float_denorm_mode_16_64 3
		.amdhsa_dx10_clamp 1
		.amdhsa_ieee_mode 1
		.amdhsa_fp16_overflow 0
		.amdhsa_workgroup_processor_mode 1
		.amdhsa_memory_ordered 1
		.amdhsa_forward_progress 1
		.amdhsa_shared_vgpr_count 0
		.amdhsa_exception_fp_ieee_invalid_op 0
		.amdhsa_exception_fp_denorm_src 0
		.amdhsa_exception_fp_ieee_div_zero 0
		.amdhsa_exception_fp_ieee_overflow 0
		.amdhsa_exception_fp_ieee_underflow 0
		.amdhsa_exception_fp_ieee_inexact 0
		.amdhsa_exception_int_div_zero 0
	.end_amdhsa_kernel
	.section	.text._ZN4vllm25paged_attention_v2_kernelIthLi256ELi8ELi128ELNS_18Fp8KVCacheDataTypeE1ELb0ELi512EEEvPfS2_PT_PKS3_PKT0_S9_ifPKiSB_iPKfiiiSD_SD_iiiii,"axG",@progbits,_ZN4vllm25paged_attention_v2_kernelIthLi256ELi8ELi128ELNS_18Fp8KVCacheDataTypeE1ELb0ELi512EEEvPfS2_PT_PKS3_PKT0_S9_ifPKiSB_iPKfiiiSD_SD_iiiii,comdat
.Lfunc_end278:
	.size	_ZN4vllm25paged_attention_v2_kernelIthLi256ELi8ELi128ELNS_18Fp8KVCacheDataTypeE1ELb0ELi512EEEvPfS2_PT_PKS3_PKT0_S9_ifPKiSB_iPKfiiiSD_SD_iiiii, .Lfunc_end278-_ZN4vllm25paged_attention_v2_kernelIthLi256ELi8ELi128ELNS_18Fp8KVCacheDataTypeE1ELb0ELi512EEEvPfS2_PT_PKS3_PKT0_S9_ifPKiSB_iPKfiiiSD_SD_iiiii
                                        ; -- End function
	.set _ZN4vllm25paged_attention_v2_kernelIthLi256ELi8ELi128ELNS_18Fp8KVCacheDataTypeE1ELb0ELi512EEEvPfS2_PT_PKS3_PKT0_S9_ifPKiSB_iPKfiiiSD_SD_iiiii.num_vgpr, 128
	.set _ZN4vllm25paged_attention_v2_kernelIthLi256ELi8ELi128ELNS_18Fp8KVCacheDataTypeE1ELb0ELi512EEEvPfS2_PT_PKS3_PKT0_S9_ifPKiSB_iPKfiiiSD_SD_iiiii.num_agpr, 0
	.set _ZN4vllm25paged_attention_v2_kernelIthLi256ELi8ELi128ELNS_18Fp8KVCacheDataTypeE1ELb0ELi512EEEvPfS2_PT_PKS3_PKT0_S9_ifPKiSB_iPKfiiiSD_SD_iiiii.numbered_sgpr, 48
	.set _ZN4vllm25paged_attention_v2_kernelIthLi256ELi8ELi128ELNS_18Fp8KVCacheDataTypeE1ELb0ELi512EEEvPfS2_PT_PKS3_PKT0_S9_ifPKiSB_iPKfiiiSD_SD_iiiii.num_named_barrier, 0
	.set _ZN4vllm25paged_attention_v2_kernelIthLi256ELi8ELi128ELNS_18Fp8KVCacheDataTypeE1ELb0ELi512EEEvPfS2_PT_PKS3_PKT0_S9_ifPKiSB_iPKfiiiSD_SD_iiiii.private_seg_size, 8
	.set _ZN4vllm25paged_attention_v2_kernelIthLi256ELi8ELi128ELNS_18Fp8KVCacheDataTypeE1ELb0ELi512EEEvPfS2_PT_PKS3_PKT0_S9_ifPKiSB_iPKfiiiSD_SD_iiiii.uses_vcc, 1
	.set _ZN4vllm25paged_attention_v2_kernelIthLi256ELi8ELi128ELNS_18Fp8KVCacheDataTypeE1ELb0ELi512EEEvPfS2_PT_PKS3_PKT0_S9_ifPKiSB_iPKfiiiSD_SD_iiiii.uses_flat_scratch, 0
	.set _ZN4vllm25paged_attention_v2_kernelIthLi256ELi8ELi128ELNS_18Fp8KVCacheDataTypeE1ELb0ELi512EEEvPfS2_PT_PKS3_PKT0_S9_ifPKiSB_iPKfiiiSD_SD_iiiii.has_dyn_sized_stack, 0
	.set _ZN4vllm25paged_attention_v2_kernelIthLi256ELi8ELi128ELNS_18Fp8KVCacheDataTypeE1ELb0ELi512EEEvPfS2_PT_PKS3_PKT0_S9_ifPKiSB_iPKfiiiSD_SD_iiiii.has_recursion, 0
	.set _ZN4vllm25paged_attention_v2_kernelIthLi256ELi8ELi128ELNS_18Fp8KVCacheDataTypeE1ELb0ELi512EEEvPfS2_PT_PKS3_PKT0_S9_ifPKiSB_iPKfiiiSD_SD_iiiii.has_indirect_call, 0
	.section	.AMDGPU.csdata,"",@progbits
; Kernel info:
; codeLenInByte = 36304
; TotalNumSgprs: 50
; NumVgprs: 128
; ScratchSize: 8
; MemoryBound: 0
; FloatMode: 240
; IeeeMode: 1
; LDSByteSize: 544 bytes/workgroup (compile time only)
; SGPRBlocks: 0
; VGPRBlocks: 15
; NumSGPRsForWavesPerEU: 50
; NumVGPRsForWavesPerEU: 128
; Occupancy: 8
; WaveLimiterHint : 1
; COMPUTE_PGM_RSRC2:SCRATCH_EN: 1
; COMPUTE_PGM_RSRC2:USER_SGPR: 6
; COMPUTE_PGM_RSRC2:TRAP_HANDLER: 0
; COMPUTE_PGM_RSRC2:TGID_X_EN: 1
; COMPUTE_PGM_RSRC2:TGID_Y_EN: 1
; COMPUTE_PGM_RSRC2:TGID_Z_EN: 1
; COMPUTE_PGM_RSRC2:TIDIG_COMP_CNT: 0
	.section	.text._ZN4vllm25paged_attention_v2_kernelIthLi32ELi16ELi128ELNS_18Fp8KVCacheDataTypeE1ELb1ELi512EEEvPfS2_PT_PKS3_PKT0_S9_ifPKiSB_iPKfiiiSD_SD_iiiii,"axG",@progbits,_ZN4vllm25paged_attention_v2_kernelIthLi32ELi16ELi128ELNS_18Fp8KVCacheDataTypeE1ELb1ELi512EEEvPfS2_PT_PKS3_PKT0_S9_ifPKiSB_iPKfiiiSD_SD_iiiii,comdat
	.protected	_ZN4vllm25paged_attention_v2_kernelIthLi32ELi16ELi128ELNS_18Fp8KVCacheDataTypeE1ELb1ELi512EEEvPfS2_PT_PKS3_PKT0_S9_ifPKiSB_iPKfiiiSD_SD_iiiii ; -- Begin function _ZN4vllm25paged_attention_v2_kernelIthLi32ELi16ELi128ELNS_18Fp8KVCacheDataTypeE1ELb1ELi512EEEvPfS2_PT_PKS3_PKT0_S9_ifPKiSB_iPKfiiiSD_SD_iiiii
	.globl	_ZN4vllm25paged_attention_v2_kernelIthLi32ELi16ELi128ELNS_18Fp8KVCacheDataTypeE1ELb1ELi512EEEvPfS2_PT_PKS3_PKT0_S9_ifPKiSB_iPKfiiiSD_SD_iiiii
	.p2align	8
	.type	_ZN4vllm25paged_attention_v2_kernelIthLi32ELi16ELi128ELNS_18Fp8KVCacheDataTypeE1ELb1ELi512EEEvPfS2_PT_PKS3_PKT0_S9_ifPKiSB_iPKfiiiSD_SD_iiiii,@function
_ZN4vllm25paged_attention_v2_kernelIthLi32ELi16ELi128ELNS_18Fp8KVCacheDataTypeE1ELb1ELi512EEEvPfS2_PT_PKS3_PKT0_S9_ifPKiSB_iPKfiiiSD_SD_iiiii: ; @_ZN4vllm25paged_attention_v2_kernelIthLi32ELi16ELi128ELNS_18Fp8KVCacheDataTypeE1ELb1ELi512EEEvPfS2_PT_PKS3_PKT0_S9_ifPKiSB_iPKfiiiSD_SD_iiiii
; %bb.0:
	s_load_dwordx2 s[0:1], s[4:5], 0x40
	s_mov_b32 s30, s7
	s_ashr_i32 s31, s7, 31
	s_lshl_b64 s[2:3], s[30:31], 2
	s_waitcnt lgkmcnt(0)
	s_add_u32 s0, s0, s2
	s_addc_u32 s1, s1, s3
	s_lshl_b32 s42, s8, 9
	s_load_dword s31, s[0:1], 0x0
	s_waitcnt lgkmcnt(0)
	s_cmp_ge_i32 s42, s31
	s_cbranch_scc1 .LBB279_322
; %bb.1:
	s_clause 0x1
	s_load_dword s9, s[4:5], 0x90
	s_load_dwordx2 s[40:41], s[4:5], 0x30
	s_mov_b32 s44, 0
	s_waitcnt lgkmcnt(0)
	s_abs_i32 s3, s9
	s_abs_i32 s0, s40
	v_cvt_f32_u32_e32 v1, s0
	s_sub_i32 s2, 0, s0
	v_rcp_iflag_f32_e32 v1, v1
	v_mul_f32_e32 v1, 0x4f7ffffe, v1
	v_cvt_u32_f32_e32 v1, v1
	v_readfirstlane_b32 s1, v1
	s_mul_i32 s2, s2, s1
	s_mul_hi_u32 s2, s1, s2
	s_add_i32 s1, s1, s2
	s_xor_b32 s2, s9, s40
	s_mul_hi_u32 s1, s3, s1
	s_ashr_i32 s2, s2, 31
	s_mul_i32 s7, s1, s0
	s_sub_i32 s3, s3, s7
	s_add_i32 s7, s1, 1
	s_sub_i32 s10, s3, s0
	s_cmp_ge_u32 s3, s0
	s_cselect_b32 s1, s7, s1
	s_cselect_b32 s3, s10, s3
	s_add_i32 s7, s1, 1
	s_cmp_ge_u32 s3, s0
	s_cselect_b32 s0, s7, s1
	s_xor_b32 s0, s0, s2
	s_sub_i32 s10, s0, s2
	s_load_dwordx2 s[0:1], s[4:5], 0x50
	s_abs_i32 s2, s10
	v_cvt_f32_u32_e32 v1, s2
	s_sub_i32 s3, 0, s2
	v_rcp_iflag_f32_e32 v1, v1
	v_mul_f32_e32 v1, 0x4f7ffffe, v1
	v_cvt_u32_f32_e32 v1, v1
	v_readfirstlane_b32 s7, v1
	s_mul_i32 s3, s3, s7
	s_mul_hi_u32 s11, s7, s3
	s_abs_i32 s3, s6
	s_add_i32 s7, s7, s11
	s_waitcnt lgkmcnt(0)
	s_cmp_eq_u64 s[0:1], 0
	s_mul_hi_u32 s12, s3, s7
	s_cbranch_scc1 .LBB279_3
; %bb.2:
	s_ashr_i32 s7, s6, 31
	s_lshl_b64 s[14:15], s[6:7], 2
	s_add_u32 s0, s0, s14
	s_addc_u32 s1, s1, s15
	s_load_dword s44, s[0:1], 0x0
.LBB279_3:
	s_load_dwordx4 s[16:19], s[4:5], 0x58
	v_lshrrev_b32_e32 v12, 1, v0
	v_and_b32_e32 v13, 1, v0
	v_lshlrev_b32_e32 v16, 3, v0
	s_ashr_i32 s0, s6, 31
	s_ashr_i32 s1, s10, 31
	s_lshl_b32 s10, s6, 5
	s_mov_b32 s7, exec_lo
	v_cmpx_gt_u32_e32 8, v0
	s_cbranch_execz .LBB279_5
; %bb.4:
	s_load_dwordx2 s[14:15], s[4:5], 0x18
	s_waitcnt lgkmcnt(0)
	s_mul_i32 s20, s16, s30
	v_lshlrev_b32_e32 v3, 3, v12
	s_ashr_i32 s21, s20, 31
	s_lshl_b64 s[20:21], s[20:21], 1
	v_lshl_add_u32 v3, v13, 5, v3
	s_add_u32 s13, s14, s20
	s_addc_u32 s16, s15, s21
	s_ashr_i32 s11, s10, 31
	s_lshl_b64 s[14:15], s[10:11], 1
	s_add_u32 s14, s13, s14
	s_addc_u32 s15, s16, s15
	global_load_dwordx2 v[1:2], v16, s[14:15]
	s_waitcnt vmcnt(0)
	ds_write_b64 v3, v[1:2]
.LBB279_5:
	s_or_b32 exec_lo, exec_lo, s7
	s_load_dwordx4 s[20:23], s[4:5], 0x78
	s_mul_i32 s7, s12, s2
	s_xor_b32 s0, s0, s1
	s_sub_i32 s1, s3, s7
	s_add_i32 s3, s12, 1
	s_sub_i32 s7, s1, s2
	s_cmp_ge_u32 s1, s2
                                        ; implicit-def: $sgpr33
	s_cselect_b32 s3, s3, s12
	s_cselect_b32 s1, s7, s1
	s_add_i32 s7, s3, 1
	s_cmp_ge_u32 s1, s2
	s_mov_b32 s12, -1
	s_cselect_b32 s1, s7, s3
	s_load_dword s3, s[4:5], 0x88
	s_xor_b32 s1, s1, s0
	s_add_i32 s7, s31, -1
	s_sub_i32 s1, s1, s0
	s_abs_i32 s2, s7
	s_waitcnt lgkmcnt(0)
	s_abs_i32 s11, s23
	s_barrier
	v_cvt_f32_u32_e32 v1, s11
	s_sub_i32 s0, 0, s11
	buffer_gl0_inv
	v_rcp_iflag_f32_e32 v1, v1
	v_mul_f32_e32 v1, 0x4f7ffffe, v1
	v_cvt_u32_f32_e32 v1, v1
	v_readfirstlane_b32 s19, v1
	s_mul_i32 s0, s0, s19
	s_mul_hi_u32 s0, s19, s0
	s_add_i32 s19, s19, s0
	s_cmp_lt_i32 s3, 0
	s_mul_hi_u32 s0, s2, s19
	s_cbranch_scc0 .LBB279_7
; %bb.6:
	s_mul_i32 s12, s20, s40
	s_add_i32 s12, s1, s12
	s_mul_i32 s12, s12, s3
	s_sub_i32 s33, 1, s12
	s_mov_b32 s12, 0
.LBB279_7:
	s_load_dwordx2 s[34:35], s[4:5], 0x38
	s_ashr_i32 s16, s7, 31
	s_andn2_b32 vcc_lo, exec_lo, s12
	s_ashr_i32 s23, s23, 31
	s_cbranch_vccnz .LBB279_9
; %bb.8:
	s_mul_i32 s7, s9, s20
	s_add_i32 s7, s7, s6
	s_mul_i32 s3, s7, s3
	s_add_i32 s33, s3, 1
.LBB279_9:
	s_clause 0x5
	s_load_dword s3, s[4:5], 0x48
	s_load_dwordx2 s[38:39], s[4:5], 0x28
	s_load_dwordx4 s[24:27], s[4:5], 0x0
	s_load_dwordx2 s[28:29], s[4:5], 0x10
	s_load_dword s7, s[4:5], 0x98
	s_load_dwordx4 s[12:15], s[4:5], 0x68
	s_xor_b32 s43, s16, s23
	s_mul_i32 s16, s0, s11
	s_add_i32 s20, s0, 1
	s_sub_i32 s2, s2, s16
	v_lshrrev_b32_e32 v14, 5, v0
	v_mov_b32_e32 v17, 0xff7fffff
	v_mbcnt_lo_u32_b32 v18, -1, 0
	s_mul_i32 s18, s1, s18
	v_lshl_add_u32 v15, v14, 4, s42
	s_waitcnt lgkmcnt(0)
	s_mul_i32 s36, s3, s30
	s_sub_i32 s3, s2, s11
	s_ashr_i32 s37, s36, 31
	s_cmp_ge_u32 s2, s11
	s_cselect_b32 s0, s20, s0
	s_cselect_b32 s2, s3, s2
	s_add_i32 s3, s0, 1
	s_cmp_ge_u32 s2, s11
	s_cselect_b32 s0, s3, s0
	s_add_i32 s2, s31, 15
	s_lshl_b32 s16, s8, 5
	s_ashr_i32 s3, s2, 31
	v_or_b32_e32 v1, s16, v14
	s_lshr_b32 s3, s3, 28
	s_add_i32 s2, s2, s3
	s_add_i32 s3, s16, 32
	s_ashr_i32 s40, s2, 4
	s_xor_b32 s2, s0, s43
	s_min_i32 s20, s3, s40
	v_ashrrev_i32_e32 v2, 31, v1
	v_cmp_gt_i32_e64 s0, s20, v1
	s_sub_i32 s43, s2, s43
	s_and_saveexec_b32 s45, s0
	s_cbranch_execz .LBB279_149
; %bb.10:
	s_load_dwordx2 s[2:3], s[4:5], 0x20
	s_sub_i32 s4, s43, s21
	s_ashr_i32 s1, s18, 31
	v_bfe_u32 v19, v0, 1, 4
	v_lshlrev_b64 v[5:6], 2, v[1:2]
	v_lshlrev_b32_e32 v7, 2, v13
	v_mov_b32_e32 v4, 0
	v_lshlrev_b32_e32 v20, 5, v13
	v_lshlrev_b32_e32 v8, 2, v19
	v_subrev_nc_u32_e32 v9, s31, v19
	v_lshlrev_b32_e32 v10, 4, v19
	v_lshl_add_u32 v21, v14, 4, s42
	v_mov_b32_e32 v22, 0xff7fffff
	v_lshl_or_b32 v8, v14, 6, v8
	v_add_nc_u32_e32 v27, 1, v9
	v_mov_b32_e32 v23, 0x80
	v_mov_b32_e32 v24, 0x7f
	;; [unrolled: 1-line block ×3, first 2 shown]
	v_add_nc_u32_e32 v28, 0x60, v8
	v_mov_b32_e32 v26, 8
	s_waitcnt lgkmcnt(0)
	s_add_u32 s46, s2, s18
	s_addc_u32 s47, s3, s1
	s_abs_i32 s5, s22
	v_add_co_u32 v9, s46, s46, v10
	v_cvt_f32_u32_e32 v3, s5
	s_sub_i32 s2, 0, s5
	v_add_co_ci_u32_e64 v10, null, s47, 0, s46
	v_cmp_neq_f32_e64 s1, s44, 0
	v_rcp_iflag_f32_e32 v3, v3
	v_mov_b32_e32 v17, 0xff7fffff
	v_mov_b32_e32 v30, v1
	s_mov_b32 s46, 0
	s_mov_b32 s47, s17
	v_cmp_eq_u32_e32 vcc_lo, 0, v13
	v_mul_f32_e32 v3, 0x4f7ffffe, v3
	v_cvt_u32_f32_e32 v3, v3
	v_mul_lo_u32 v8, s2, v3
	s_lshl_b64 s[2:3], s[36:37], 2
	s_add_u32 s2, s34, s2
	s_addc_u32 s3, s35, s3
	v_add_co_u32 v5, s2, s2, v5
	v_add_co_ci_u32_e64 v6, null, s3, v6, s2
	v_mul_hi_u32 v11, v3, v8
	v_add_co_u32 v7, s2, v9, v7
	v_add_co_ci_u32_e64 v8, null, 0, v10, s2
	v_add_nc_u32_e32 v29, v3, v11
	s_branch .LBB279_13
.LBB279_11:                             ;   in Loop: Header=BB279_13 Depth=1
	s_or_b32 exec_lo, exec_lo, s48
.LBB279_12:                             ;   in Loop: Header=BB279_13 Depth=1
	s_or_b32 exec_lo, exec_lo, s3
	v_add_nc_u32_e32 v30, 4, v30
	v_add_co_u32 v5, s3, v5, 16
	v_add_co_ci_u32_e64 v6, null, 0, v6, s3
	v_cmp_le_i32_e64 s2, s20, v30
	v_add_nc_u32_e32 v21, 64, v21
	v_add_nc_u32_e32 v28, 0x100, v28
	s_or_b32 s46, s2, s46
	s_andn2_b32 exec_lo, exec_lo, s46
	s_cbranch_execz .LBB279_148
.LBB279_13:                             ; =>This Inner Loop Header: Depth=1
	v_sub_nc_u32_e32 v3, 0, v21
	v_max_i32_e32 v3, v21, v3
	s_waitcnt lgkmcnt(0)
	v_mul_hi_u32 v9, v3, s19
	v_mul_lo_u32 v10, v9, s11
	v_sub_nc_u32_e32 v3, v3, v10
	v_add_nc_u32_e32 v10, 1, v9
	v_subrev_nc_u32_e32 v11, s11, v3
	v_cmp_le_u32_e64 s2, s11, v3
	v_cndmask_b32_e64 v9, v9, v10, s2
	v_cndmask_b32_e64 v3, v3, v11, s2
	v_ashrrev_i32_e32 v10, 31, v21
	v_add_nc_u32_e32 v11, 1, v9
	v_cmp_le_u32_e64 s2, s11, v3
	v_xor_b32_e32 v10, s23, v10
	v_cndmask_b32_e64 v3, v9, v11, s2
	v_xor_b32_e32 v3, v3, v10
	v_sub_nc_u32_e32 v3, v3, v10
	v_add_nc_u32_e32 v9, s33, v3
	v_cmp_ge_i32_e64 s3, s4, v3
	v_sub_nc_u32_e32 v10, 0, v9
	v_max_i32_e32 v10, v9, v10
	v_ashrrev_i32_e32 v9, 31, v9
	v_mul_hi_u32 v11, v10, v29
	v_mul_lo_u32 v11, v11, s5
	v_sub_nc_u32_e32 v10, v10, v11
	v_subrev_nc_u32_e32 v11, s5, v10
	v_cmp_le_u32_e64 s2, s5, v10
	v_cndmask_b32_e64 v10, v10, v11, s2
	v_subrev_nc_u32_e32 v11, s5, v10
	v_cmp_le_u32_e64 s2, s5, v10
	v_cndmask_b32_e64 v10, v10, v11, s2
	v_xor_b32_e32 v10, v10, v9
	v_sub_nc_u32_e32 v9, v10, v9
	v_cmp_ne_u32_e64 s2, 0, v9
	s_and_b32 s2, s2, s3
	s_and_saveexec_b32 s3, s2
	s_xor_b32 s2, exec_lo, s3
	s_cbranch_execz .LBB279_17
; %bb.14:                               ;   in Loop: Header=BB279_13 Depth=1
	s_and_saveexec_b32 s3, vcc_lo
; %bb.15:                               ;   in Loop: Header=BB279_13 Depth=1
	ds_write_b32 v28, v22
; %bb.16:                               ;   in Loop: Header=BB279_13 Depth=1
	s_or_b32 exec_lo, exec_lo, s3
.LBB279_17:                             ;   in Loop: Header=BB279_13 Depth=1
	s_andn2_saveexec_b32 s3, s2
	s_cbranch_execz .LBB279_12
; %bb.18:                               ;   in Loop: Header=BB279_13 Depth=1
	global_load_dword v3, v[5:6], off
	v_mov_b32_e32 v32, 0
	v_mov_b32_e32 v33, 0
	global_load_dword v31, v32, s[12:13]
	s_waitcnt vmcnt(1)
	v_mad_i64_i32 v[9:10], null, v3, s47, v[7:8]
	global_load_dword v11, v[9:10], off
	s_waitcnt vmcnt(0)
	v_cmp_ne_u16_sdwa s2, v11, v4 src0_sel:BYTE_0 src1_sel:DWORD
	s_and_saveexec_b32 s48, s2
	s_cbranch_execz .LBB279_26
; %bb.19:                               ;   in Loop: Header=BB279_13 Depth=1
	v_cmp_ne_u16_sdwa s2, v11, v23 src0_sel:BYTE_0 src1_sel:DWORD
	v_mov_b32_e32 v33, 0x8000
	s_and_saveexec_b32 s49, s2
	s_cbranch_execz .LBB279_25
; %bb.20:                               ;   in Loop: Header=BB279_13 Depth=1
	v_and_b32_e32 v34, 0x7f, v11
	v_mov_b32_e32 v33, 0x7c01
	s_mov_b32 s50, exec_lo
	v_cmpx_ne_u32_e32 0x7f, v34
	s_cbranch_execz .LBB279_24
; %bb.21:                               ;   in Loop: Header=BB279_13 Depth=1
	v_and_b32_e32 v3, 7, v11
	v_lshrrev_b32_e32 v33, 3, v34
	s_mov_b32 s51, exec_lo
	v_cmpx_gt_u32_e32 8, v34
; %bb.22:                               ;   in Loop: Header=BB279_13 Depth=1
	v_ffbh_u32_e32 v3, v3
	v_min_u32_e32 v3, 32, v3
	v_subrev_nc_u32_e32 v33, 28, v3
	v_lshlrev_b64 v[34:35], v33, v[11:12]
	v_sub_nc_u32_e32 v33, 29, v3
	v_and_b32_e32 v3, 7, v34
; %bb.23:                               ;   in Loop: Header=BB279_13 Depth=1
	s_or_b32 exec_lo, exec_lo, s51
	v_lshlrev_b32_e32 v34, 8, v11
	v_lshl_add_u32 v33, v33, 10, 0x2000
	v_lshlrev_b32_e32 v3, 7, v3
	v_and_b32_e32 v34, 0x8000, v34
	v_and_b32_e32 v33, 0xfc00, v33
	v_or3_b32 v33, v34, v33, v3
.LBB279_24:                             ;   in Loop: Header=BB279_13 Depth=1
	s_or_b32 exec_lo, exec_lo, s50
.LBB279_25:                             ;   in Loop: Header=BB279_13 Depth=1
	s_or_b32 exec_lo, exec_lo, s49
.LBB279_26:                             ;   in Loop: Header=BB279_13 Depth=1
	s_or_b32 exec_lo, exec_lo, s48
	v_lshrrev_b16 v3, 8, v11
	s_mov_b32 s48, exec_lo
	v_cmpx_ne_u16_e32 0, v3
	s_cbranch_execz .LBB279_34
; %bb.27:                               ;   in Loop: Header=BB279_13 Depth=1
	v_bfrev_b32_e32 v32, 1
	s_mov_b32 s49, exec_lo
	v_cmpx_ne_u16_e32 0x80, v3
	s_cbranch_execz .LBB279_33
; %bb.28:                               ;   in Loop: Header=BB279_13 Depth=1
	v_and_b32_sdwa v35, v3, v24 dst_sel:DWORD dst_unused:UNUSED_PAD src0_sel:WORD_0 src1_sel:DWORD
	v_mov_b32_e32 v32, 0x7c010000
	s_mov_b32 s50, exec_lo
	v_cmpx_ne_u32_e32 0x7f, v35
	s_cbranch_execz .LBB279_32
; %bb.29:                               ;   in Loop: Header=BB279_13 Depth=1
	v_and_b32_sdwa v32, v3, v25 dst_sel:DWORD dst_unused:UNUSED_PAD src0_sel:WORD_0 src1_sel:DWORD
	v_lshrrev_b32_e32 v34, 3, v35
	s_mov_b32 s51, exec_lo
	v_cmpx_gt_u32_e32 8, v35
; %bb.30:                               ;   in Loop: Header=BB279_13 Depth=1
	v_ffbh_u32_e32 v32, v32
	v_min_u32_e32 v32, 32, v32
	v_subrev_nc_u32_e32 v34, 28, v32
	v_lshlrev_b64 v[35:36], v34, v[3:4]
	v_sub_nc_u32_e32 v34, 29, v32
	v_and_b32_e32 v32, 7, v35
; %bb.31:                               ;   in Loop: Header=BB279_13 Depth=1
	s_or_b32 exec_lo, exec_lo, s51
	v_lshlrev_b32_sdwa v3, v26, v3 dst_sel:DWORD dst_unused:UNUSED_PAD src0_sel:DWORD src1_sel:WORD_0
	v_lshl_add_u32 v34, v34, 10, 0x2000
	v_lshlrev_b32_e32 v32, 23, v32
	v_and_or_b32 v3, 0x8000, v3, v34
	v_lshl_or_b32 v32, v3, 16, v32
.LBB279_32:                             ;   in Loop: Header=BB279_13 Depth=1
	s_or_b32 exec_lo, exec_lo, s50
.LBB279_33:                             ;   in Loop: Header=BB279_13 Depth=1
	s_or_b32 exec_lo, exec_lo, s49
.LBB279_34:                             ;   in Loop: Header=BB279_13 Depth=1
	s_or_b32 exec_lo, exec_lo, s48
	v_lshrrev_b32_e32 v3, 16, v11
	v_mov_b32_e32 v34, 0
	v_mov_b32_e32 v35, 0
	v_cmp_ne_u16_sdwa s2, v3, v4 src0_sel:BYTE_0 src1_sel:DWORD
	s_and_saveexec_b32 s48, s2
	s_cbranch_execz .LBB279_42
; %bb.35:                               ;   in Loop: Header=BB279_13 Depth=1
	v_cmp_ne_u16_sdwa s2, v3, v23 src0_sel:BYTE_0 src1_sel:DWORD
	v_mov_b32_e32 v35, 0x8000
	s_and_saveexec_b32 s49, s2
	s_cbranch_execz .LBB279_41
; %bb.36:                               ;   in Loop: Header=BB279_13 Depth=1
	v_bfe_u32 v37, v11, 16, 7
	v_mov_b32_e32 v35, 0x7c01
	s_mov_b32 s50, exec_lo
	v_cmpx_ne_u32_e32 0x7f, v37
	s_cbranch_execz .LBB279_40
; %bb.37:                               ;   in Loop: Header=BB279_13 Depth=1
	v_and_b32_e32 v35, 7, v3
	v_lshrrev_b32_e32 v36, 3, v37
	s_mov_b32 s51, exec_lo
	v_cmpx_gt_u32_e32 8, v37
; %bb.38:                               ;   in Loop: Header=BB279_13 Depth=1
	v_ffbh_u32_e32 v35, v35
	v_min_u32_e32 v37, 32, v35
	v_subrev_nc_u32_e32 v35, 28, v37
	v_lshlrev_b64 v[35:36], v35, v[3:4]
	v_sub_nc_u32_e32 v36, 29, v37
	v_and_b32_e32 v35, 7, v35
; %bb.39:                               ;   in Loop: Header=BB279_13 Depth=1
	s_or_b32 exec_lo, exec_lo, s51
	v_lshlrev_b32_e32 v3, 8, v3
	v_lshl_add_u32 v36, v36, 10, 0x2000
	v_lshlrev_b32_e32 v35, 7, v35
	v_and_b32_e32 v3, 0x8000, v3
	v_and_b32_e32 v36, 0xfc00, v36
	v_or3_b32 v35, v3, v36, v35
.LBB279_40:                             ;   in Loop: Header=BB279_13 Depth=1
	s_or_b32 exec_lo, exec_lo, s50
.LBB279_41:                             ;   in Loop: Header=BB279_13 Depth=1
	s_or_b32 exec_lo, exec_lo, s49
.LBB279_42:                             ;   in Loop: Header=BB279_13 Depth=1
	s_or_b32 exec_lo, exec_lo, s48
	s_mov_b32 s48, exec_lo
	v_cmpx_lt_u32_e32 0xffffff, v11
	s_cbranch_execz .LBB279_50
; %bb.43:                               ;   in Loop: Header=BB279_13 Depth=1
	v_lshrrev_b32_e32 v3, 24, v11
	v_bfrev_b32_e32 v34, 1
	s_mov_b32 s49, exec_lo
	v_cmpx_ne_u32_e32 0x80, v3
	s_cbranch_execz .LBB279_49
; %bb.44:                               ;   in Loop: Header=BB279_13 Depth=1
	v_and_b32_e32 v36, 0x7f, v3
	v_mov_b32_e32 v34, 0x7c010000
	s_mov_b32 s50, exec_lo
	v_cmpx_ne_u32_e32 0x7f, v36
	s_cbranch_execz .LBB279_48
; %bb.45:                               ;   in Loop: Header=BB279_13 Depth=1
	v_and_b32_e32 v11, 7, v3
	v_lshrrev_b32_e32 v34, 3, v36
	s_mov_b32 s51, exec_lo
	v_cmpx_gt_u32_e32 8, v36
; %bb.46:                               ;   in Loop: Header=BB279_13 Depth=1
	v_ffbh_u32_e32 v11, v11
	v_min_u32_e32 v11, 32, v11
	v_subrev_nc_u32_e32 v34, 28, v11
	v_lshlrev_b64 v[36:37], v34, v[3:4]
	v_sub_nc_u32_e32 v34, 29, v11
	v_and_b32_e32 v11, 7, v36
; %bb.47:                               ;   in Loop: Header=BB279_13 Depth=1
	s_or_b32 exec_lo, exec_lo, s51
	v_lshlrev_b32_e32 v3, 8, v3
	v_lshl_add_u32 v34, v34, 10, 0x2000
	v_lshlrev_b32_e32 v11, 23, v11
	v_and_or_b32 v3, 0x8000, v3, v34
	v_lshl_or_b32 v34, v3, 16, v11
.LBB279_48:                             ;   in Loop: Header=BB279_13 Depth=1
	s_or_b32 exec_lo, exec_lo, s50
.LBB279_49:                             ;   in Loop: Header=BB279_13 Depth=1
	s_or_b32 exec_lo, exec_lo, s49
.LBB279_50:                             ;   in Loop: Header=BB279_13 Depth=1
	s_or_b32 exec_lo, exec_lo, s48
	global_load_dword v11, v[9:10], off offset:8
	v_mov_b32_e32 v36, 0
	v_mov_b32_e32 v37, 0
	s_waitcnt vmcnt(0)
	v_cmp_ne_u16_sdwa s2, v11, v4 src0_sel:BYTE_0 src1_sel:DWORD
	s_and_saveexec_b32 s48, s2
	s_cbranch_execz .LBB279_58
; %bb.51:                               ;   in Loop: Header=BB279_13 Depth=1
	v_cmp_ne_u16_sdwa s2, v11, v23 src0_sel:BYTE_0 src1_sel:DWORD
	v_mov_b32_e32 v37, 0x8000
	s_and_saveexec_b32 s49, s2
	s_cbranch_execz .LBB279_57
; %bb.52:                               ;   in Loop: Header=BB279_13 Depth=1
	v_and_b32_e32 v38, 0x7f, v11
	v_mov_b32_e32 v37, 0x7c01
	s_mov_b32 s50, exec_lo
	v_cmpx_ne_u32_e32 0x7f, v38
	s_cbranch_execz .LBB279_56
; %bb.53:                               ;   in Loop: Header=BB279_13 Depth=1
	v_and_b32_e32 v3, 7, v11
	v_lshrrev_b32_e32 v37, 3, v38
	s_mov_b32 s51, exec_lo
	v_cmpx_gt_u32_e32 8, v38
; %bb.54:                               ;   in Loop: Header=BB279_13 Depth=1
	v_ffbh_u32_e32 v3, v3
	v_min_u32_e32 v3, 32, v3
	v_subrev_nc_u32_e32 v37, 28, v3
	v_lshlrev_b64 v[38:39], v37, v[11:12]
	v_sub_nc_u32_e32 v37, 29, v3
	v_and_b32_e32 v3, 7, v38
; %bb.55:                               ;   in Loop: Header=BB279_13 Depth=1
	s_or_b32 exec_lo, exec_lo, s51
	v_lshlrev_b32_e32 v38, 8, v11
	v_lshl_add_u32 v37, v37, 10, 0x2000
	v_lshlrev_b32_e32 v3, 7, v3
	v_and_b32_e32 v38, 0x8000, v38
	v_and_b32_e32 v37, 0xfc00, v37
	v_or3_b32 v37, v38, v37, v3
.LBB279_56:                             ;   in Loop: Header=BB279_13 Depth=1
	s_or_b32 exec_lo, exec_lo, s50
.LBB279_57:                             ;   in Loop: Header=BB279_13 Depth=1
	s_or_b32 exec_lo, exec_lo, s49
.LBB279_58:                             ;   in Loop: Header=BB279_13 Depth=1
	s_or_b32 exec_lo, exec_lo, s48
	v_lshrrev_b16 v3, 8, v11
	s_mov_b32 s48, exec_lo
	v_cmpx_ne_u16_e32 0, v3
	s_cbranch_execz .LBB279_66
; %bb.59:                               ;   in Loop: Header=BB279_13 Depth=1
	v_bfrev_b32_e32 v36, 1
	s_mov_b32 s49, exec_lo
	v_cmpx_ne_u16_e32 0x80, v3
	s_cbranch_execz .LBB279_65
; %bb.60:                               ;   in Loop: Header=BB279_13 Depth=1
	v_and_b32_sdwa v39, v3, v24 dst_sel:DWORD dst_unused:UNUSED_PAD src0_sel:WORD_0 src1_sel:DWORD
	v_mov_b32_e32 v36, 0x7c010000
	s_mov_b32 s50, exec_lo
	v_cmpx_ne_u32_e32 0x7f, v39
	s_cbranch_execz .LBB279_64
; %bb.61:                               ;   in Loop: Header=BB279_13 Depth=1
	v_and_b32_sdwa v36, v3, v25 dst_sel:DWORD dst_unused:UNUSED_PAD src0_sel:WORD_0 src1_sel:DWORD
	v_lshrrev_b32_e32 v38, 3, v39
	s_mov_b32 s51, exec_lo
	v_cmpx_gt_u32_e32 8, v39
; %bb.62:                               ;   in Loop: Header=BB279_13 Depth=1
	v_ffbh_u32_e32 v36, v36
	v_min_u32_e32 v36, 32, v36
	v_subrev_nc_u32_e32 v38, 28, v36
	v_lshlrev_b64 v[39:40], v38, v[3:4]
	v_sub_nc_u32_e32 v38, 29, v36
	v_and_b32_e32 v36, 7, v39
; %bb.63:                               ;   in Loop: Header=BB279_13 Depth=1
	s_or_b32 exec_lo, exec_lo, s51
	v_lshlrev_b32_sdwa v3, v26, v3 dst_sel:DWORD dst_unused:UNUSED_PAD src0_sel:DWORD src1_sel:WORD_0
	v_lshl_add_u32 v38, v38, 10, 0x2000
	v_lshlrev_b32_e32 v36, 23, v36
	v_and_or_b32 v3, 0x8000, v3, v38
	v_lshl_or_b32 v36, v3, 16, v36
.LBB279_64:                             ;   in Loop: Header=BB279_13 Depth=1
	s_or_b32 exec_lo, exec_lo, s50
.LBB279_65:                             ;   in Loop: Header=BB279_13 Depth=1
	s_or_b32 exec_lo, exec_lo, s49
.LBB279_66:                             ;   in Loop: Header=BB279_13 Depth=1
	s_or_b32 exec_lo, exec_lo, s48
	v_lshrrev_b32_e32 v3, 16, v11
	v_mov_b32_e32 v38, 0
	v_mov_b32_e32 v39, 0
	v_cmp_ne_u16_sdwa s2, v3, v4 src0_sel:BYTE_0 src1_sel:DWORD
	s_and_saveexec_b32 s48, s2
	s_cbranch_execz .LBB279_74
; %bb.67:                               ;   in Loop: Header=BB279_13 Depth=1
	v_cmp_ne_u16_sdwa s2, v3, v23 src0_sel:BYTE_0 src1_sel:DWORD
	v_mov_b32_e32 v39, 0x8000
	s_and_saveexec_b32 s49, s2
	s_cbranch_execz .LBB279_73
; %bb.68:                               ;   in Loop: Header=BB279_13 Depth=1
	v_bfe_u32 v41, v11, 16, 7
	v_mov_b32_e32 v39, 0x7c01
	s_mov_b32 s50, exec_lo
	v_cmpx_ne_u32_e32 0x7f, v41
	s_cbranch_execz .LBB279_72
; %bb.69:                               ;   in Loop: Header=BB279_13 Depth=1
	v_and_b32_e32 v39, 7, v3
	v_lshrrev_b32_e32 v40, 3, v41
	s_mov_b32 s51, exec_lo
	v_cmpx_gt_u32_e32 8, v41
; %bb.70:                               ;   in Loop: Header=BB279_13 Depth=1
	v_ffbh_u32_e32 v39, v39
	v_min_u32_e32 v41, 32, v39
	v_subrev_nc_u32_e32 v39, 28, v41
	v_lshlrev_b64 v[39:40], v39, v[3:4]
	v_sub_nc_u32_e32 v40, 29, v41
	v_and_b32_e32 v39, 7, v39
; %bb.71:                               ;   in Loop: Header=BB279_13 Depth=1
	s_or_b32 exec_lo, exec_lo, s51
	v_lshlrev_b32_e32 v3, 8, v3
	v_lshl_add_u32 v40, v40, 10, 0x2000
	v_lshlrev_b32_e32 v39, 7, v39
	v_and_b32_e32 v3, 0x8000, v3
	v_and_b32_e32 v40, 0xfc00, v40
	v_or3_b32 v39, v3, v40, v39
.LBB279_72:                             ;   in Loop: Header=BB279_13 Depth=1
	s_or_b32 exec_lo, exec_lo, s50
.LBB279_73:                             ;   in Loop: Header=BB279_13 Depth=1
	s_or_b32 exec_lo, exec_lo, s49
.LBB279_74:                             ;   in Loop: Header=BB279_13 Depth=1
	s_or_b32 exec_lo, exec_lo, s48
	s_mov_b32 s48, exec_lo
	v_cmpx_lt_u32_e32 0xffffff, v11
	s_cbranch_execz .LBB279_82
; %bb.75:                               ;   in Loop: Header=BB279_13 Depth=1
	v_lshrrev_b32_e32 v3, 24, v11
	v_bfrev_b32_e32 v38, 1
	s_mov_b32 s49, exec_lo
	v_cmpx_ne_u32_e32 0x80, v3
	s_cbranch_execz .LBB279_81
; %bb.76:                               ;   in Loop: Header=BB279_13 Depth=1
	v_and_b32_e32 v40, 0x7f, v3
	v_mov_b32_e32 v38, 0x7c010000
	s_mov_b32 s50, exec_lo
	v_cmpx_ne_u32_e32 0x7f, v40
	s_cbranch_execz .LBB279_80
; %bb.77:                               ;   in Loop: Header=BB279_13 Depth=1
	v_and_b32_e32 v11, 7, v3
	v_lshrrev_b32_e32 v38, 3, v40
	s_mov_b32 s51, exec_lo
	v_cmpx_gt_u32_e32 8, v40
; %bb.78:                               ;   in Loop: Header=BB279_13 Depth=1
	v_ffbh_u32_e32 v11, v11
	v_min_u32_e32 v11, 32, v11
	v_subrev_nc_u32_e32 v38, 28, v11
	v_lshlrev_b64 v[40:41], v38, v[3:4]
	v_sub_nc_u32_e32 v38, 29, v11
	v_and_b32_e32 v11, 7, v40
; %bb.79:                               ;   in Loop: Header=BB279_13 Depth=1
	s_or_b32 exec_lo, exec_lo, s51
	v_lshlrev_b32_e32 v3, 8, v3
	v_lshl_add_u32 v38, v38, 10, 0x2000
	v_lshlrev_b32_e32 v11, 23, v11
	v_and_or_b32 v3, 0x8000, v3, v38
	v_lshl_or_b32 v38, v3, 16, v11
.LBB279_80:                             ;   in Loop: Header=BB279_13 Depth=1
	s_or_b32 exec_lo, exec_lo, s50
.LBB279_81:                             ;   in Loop: Header=BB279_13 Depth=1
	s_or_b32 exec_lo, exec_lo, s49
.LBB279_82:                             ;   in Loop: Header=BB279_13 Depth=1
	s_or_b32 exec_lo, exec_lo, s48
	global_load_dword v11, v[9:10], off offset:256
	v_mov_b32_e32 v40, 0
	v_mov_b32_e32 v41, 0
	s_waitcnt vmcnt(0)
	v_cmp_ne_u16_sdwa s2, v11, v4 src0_sel:BYTE_0 src1_sel:DWORD
	s_and_saveexec_b32 s48, s2
	s_cbranch_execz .LBB279_90
; %bb.83:                               ;   in Loop: Header=BB279_13 Depth=1
	v_cmp_ne_u16_sdwa s2, v11, v23 src0_sel:BYTE_0 src1_sel:DWORD
	v_mov_b32_e32 v41, 0x8000
	s_and_saveexec_b32 s49, s2
	s_cbranch_execz .LBB279_89
; %bb.84:                               ;   in Loop: Header=BB279_13 Depth=1
	v_and_b32_e32 v42, 0x7f, v11
	v_mov_b32_e32 v41, 0x7c01
	s_mov_b32 s50, exec_lo
	v_cmpx_ne_u32_e32 0x7f, v42
	s_cbranch_execz .LBB279_88
; %bb.85:                               ;   in Loop: Header=BB279_13 Depth=1
	v_and_b32_e32 v3, 7, v11
	v_lshrrev_b32_e32 v41, 3, v42
	s_mov_b32 s51, exec_lo
	v_cmpx_gt_u32_e32 8, v42
; %bb.86:                               ;   in Loop: Header=BB279_13 Depth=1
	v_ffbh_u32_e32 v3, v3
	v_min_u32_e32 v3, 32, v3
	v_subrev_nc_u32_e32 v41, 28, v3
	v_lshlrev_b64 v[42:43], v41, v[11:12]
	v_sub_nc_u32_e32 v41, 29, v3
	v_and_b32_e32 v3, 7, v42
; %bb.87:                               ;   in Loop: Header=BB279_13 Depth=1
	s_or_b32 exec_lo, exec_lo, s51
	v_lshlrev_b32_e32 v42, 8, v11
	v_lshl_add_u32 v41, v41, 10, 0x2000
	v_lshlrev_b32_e32 v3, 7, v3
	v_and_b32_e32 v42, 0x8000, v42
	v_and_b32_e32 v41, 0xfc00, v41
	v_or3_b32 v41, v42, v41, v3
.LBB279_88:                             ;   in Loop: Header=BB279_13 Depth=1
	s_or_b32 exec_lo, exec_lo, s50
.LBB279_89:                             ;   in Loop: Header=BB279_13 Depth=1
	s_or_b32 exec_lo, exec_lo, s49
.LBB279_90:                             ;   in Loop: Header=BB279_13 Depth=1
	s_or_b32 exec_lo, exec_lo, s48
	v_lshrrev_b16 v3, 8, v11
	s_mov_b32 s48, exec_lo
	v_cmpx_ne_u16_e32 0, v3
	s_cbranch_execz .LBB279_98
; %bb.91:                               ;   in Loop: Header=BB279_13 Depth=1
	v_bfrev_b32_e32 v40, 1
	s_mov_b32 s49, exec_lo
	v_cmpx_ne_u16_e32 0x80, v3
	s_cbranch_execz .LBB279_97
; %bb.92:                               ;   in Loop: Header=BB279_13 Depth=1
	v_and_b32_sdwa v43, v3, v24 dst_sel:DWORD dst_unused:UNUSED_PAD src0_sel:WORD_0 src1_sel:DWORD
	v_mov_b32_e32 v40, 0x7c010000
	s_mov_b32 s50, exec_lo
	v_cmpx_ne_u32_e32 0x7f, v43
	s_cbranch_execz .LBB279_96
; %bb.93:                               ;   in Loop: Header=BB279_13 Depth=1
	v_and_b32_sdwa v40, v3, v25 dst_sel:DWORD dst_unused:UNUSED_PAD src0_sel:WORD_0 src1_sel:DWORD
	v_lshrrev_b32_e32 v42, 3, v43
	s_mov_b32 s51, exec_lo
	v_cmpx_gt_u32_e32 8, v43
; %bb.94:                               ;   in Loop: Header=BB279_13 Depth=1
	v_ffbh_u32_e32 v40, v40
	v_min_u32_e32 v40, 32, v40
	v_subrev_nc_u32_e32 v42, 28, v40
	v_lshlrev_b64 v[43:44], v42, v[3:4]
	v_sub_nc_u32_e32 v42, 29, v40
	v_and_b32_e32 v40, 7, v43
; %bb.95:                               ;   in Loop: Header=BB279_13 Depth=1
	s_or_b32 exec_lo, exec_lo, s51
	v_lshlrev_b32_sdwa v3, v26, v3 dst_sel:DWORD dst_unused:UNUSED_PAD src0_sel:DWORD src1_sel:WORD_0
	v_lshl_add_u32 v42, v42, 10, 0x2000
	v_lshlrev_b32_e32 v40, 23, v40
	v_and_or_b32 v3, 0x8000, v3, v42
	v_lshl_or_b32 v40, v3, 16, v40
.LBB279_96:                             ;   in Loop: Header=BB279_13 Depth=1
	s_or_b32 exec_lo, exec_lo, s50
.LBB279_97:                             ;   in Loop: Header=BB279_13 Depth=1
	s_or_b32 exec_lo, exec_lo, s49
.LBB279_98:                             ;   in Loop: Header=BB279_13 Depth=1
	s_or_b32 exec_lo, exec_lo, s48
	v_lshrrev_b32_e32 v3, 16, v11
	v_mov_b32_e32 v42, 0
	v_mov_b32_e32 v43, 0
	v_cmp_ne_u16_sdwa s2, v3, v4 src0_sel:BYTE_0 src1_sel:DWORD
	s_and_saveexec_b32 s48, s2
	s_cbranch_execz .LBB279_106
; %bb.99:                               ;   in Loop: Header=BB279_13 Depth=1
	v_cmp_ne_u16_sdwa s2, v3, v23 src0_sel:BYTE_0 src1_sel:DWORD
	v_mov_b32_e32 v43, 0x8000
	s_and_saveexec_b32 s49, s2
	s_cbranch_execz .LBB279_105
; %bb.100:                              ;   in Loop: Header=BB279_13 Depth=1
	v_bfe_u32 v45, v11, 16, 7
	v_mov_b32_e32 v43, 0x7c01
	s_mov_b32 s50, exec_lo
	v_cmpx_ne_u32_e32 0x7f, v45
	s_cbranch_execz .LBB279_104
; %bb.101:                              ;   in Loop: Header=BB279_13 Depth=1
	v_and_b32_e32 v43, 7, v3
	v_lshrrev_b32_e32 v44, 3, v45
	s_mov_b32 s51, exec_lo
	v_cmpx_gt_u32_e32 8, v45
; %bb.102:                              ;   in Loop: Header=BB279_13 Depth=1
	v_ffbh_u32_e32 v43, v43
	v_min_u32_e32 v45, 32, v43
	v_subrev_nc_u32_e32 v43, 28, v45
	v_lshlrev_b64 v[43:44], v43, v[3:4]
	v_sub_nc_u32_e32 v44, 29, v45
	v_and_b32_e32 v43, 7, v43
; %bb.103:                              ;   in Loop: Header=BB279_13 Depth=1
	s_or_b32 exec_lo, exec_lo, s51
	v_lshlrev_b32_e32 v3, 8, v3
	v_lshl_add_u32 v44, v44, 10, 0x2000
	v_lshlrev_b32_e32 v43, 7, v43
	v_and_b32_e32 v3, 0x8000, v3
	v_and_b32_e32 v44, 0xfc00, v44
	v_or3_b32 v43, v3, v44, v43
.LBB279_104:                            ;   in Loop: Header=BB279_13 Depth=1
	s_or_b32 exec_lo, exec_lo, s50
.LBB279_105:                            ;   in Loop: Header=BB279_13 Depth=1
	s_or_b32 exec_lo, exec_lo, s49
.LBB279_106:                            ;   in Loop: Header=BB279_13 Depth=1
	s_or_b32 exec_lo, exec_lo, s48
	s_mov_b32 s48, exec_lo
	v_cmpx_lt_u32_e32 0xffffff, v11
	s_cbranch_execz .LBB279_114
; %bb.107:                              ;   in Loop: Header=BB279_13 Depth=1
	v_lshrrev_b32_e32 v3, 24, v11
	v_bfrev_b32_e32 v42, 1
	s_mov_b32 s49, exec_lo
	v_cmpx_ne_u32_e32 0x80, v3
	s_cbranch_execz .LBB279_113
; %bb.108:                              ;   in Loop: Header=BB279_13 Depth=1
	v_and_b32_e32 v44, 0x7f, v3
	v_mov_b32_e32 v42, 0x7c010000
	s_mov_b32 s50, exec_lo
	v_cmpx_ne_u32_e32 0x7f, v44
	s_cbranch_execz .LBB279_112
; %bb.109:                              ;   in Loop: Header=BB279_13 Depth=1
	v_and_b32_e32 v11, 7, v3
	v_lshrrev_b32_e32 v42, 3, v44
	s_mov_b32 s51, exec_lo
	v_cmpx_gt_u32_e32 8, v44
; %bb.110:                              ;   in Loop: Header=BB279_13 Depth=1
	v_ffbh_u32_e32 v11, v11
	v_min_u32_e32 v11, 32, v11
	v_subrev_nc_u32_e32 v42, 28, v11
	v_lshlrev_b64 v[44:45], v42, v[3:4]
	v_sub_nc_u32_e32 v42, 29, v11
	v_and_b32_e32 v11, 7, v44
; %bb.111:                              ;   in Loop: Header=BB279_13 Depth=1
	s_or_b32 exec_lo, exec_lo, s51
	v_lshlrev_b32_e32 v3, 8, v3
	v_lshl_add_u32 v42, v42, 10, 0x2000
	v_lshlrev_b32_e32 v11, 23, v11
	v_and_or_b32 v3, 0x8000, v3, v42
	v_lshl_or_b32 v42, v3, 16, v11
.LBB279_112:                            ;   in Loop: Header=BB279_13 Depth=1
	s_or_b32 exec_lo, exec_lo, s50
.LBB279_113:                            ;   in Loop: Header=BB279_13 Depth=1
	s_or_b32 exec_lo, exec_lo, s49
.LBB279_114:                            ;   in Loop: Header=BB279_13 Depth=1
	s_or_b32 exec_lo, exec_lo, s48
	global_load_dword v9, v[9:10], off offset:264
	v_mov_b32_e32 v10, 0
	v_mov_b32_e32 v11, 0
	s_waitcnt vmcnt(0)
	v_cmp_ne_u16_sdwa s2, v9, v4 src0_sel:BYTE_0 src1_sel:DWORD
	s_and_saveexec_b32 s48, s2
	s_cbranch_execz .LBB279_122
; %bb.115:                              ;   in Loop: Header=BB279_13 Depth=1
	v_cmp_ne_u16_sdwa s2, v9, v23 src0_sel:BYTE_0 src1_sel:DWORD
	v_mov_b32_e32 v11, 0x8000
	s_and_saveexec_b32 s49, s2
	s_cbranch_execz .LBB279_121
; %bb.116:                              ;   in Loop: Header=BB279_13 Depth=1
	v_and_b32_e32 v44, 0x7f, v9
	v_mov_b32_e32 v11, 0x7c01
	s_mov_b32 s50, exec_lo
	v_cmpx_ne_u32_e32 0x7f, v44
	s_cbranch_execz .LBB279_120
; %bb.117:                              ;   in Loop: Header=BB279_13 Depth=1
	v_and_b32_e32 v3, 7, v9
	v_lshrrev_b32_e32 v11, 3, v44
	s_mov_b32 s51, exec_lo
	v_cmpx_gt_u32_e32 8, v44
; %bb.118:                              ;   in Loop: Header=BB279_13 Depth=1
	v_ffbh_u32_e32 v3, v3
	v_min_u32_e32 v3, 32, v3
	v_subrev_nc_u32_e32 v11, 28, v3
	v_lshlrev_b64 v[44:45], v11, v[9:10]
	v_sub_nc_u32_e32 v11, 29, v3
	v_and_b32_e32 v3, 7, v44
; %bb.119:                              ;   in Loop: Header=BB279_13 Depth=1
	s_or_b32 exec_lo, exec_lo, s51
	v_lshlrev_b32_e32 v44, 8, v9
	v_lshl_add_u32 v11, v11, 10, 0x2000
	v_lshlrev_b32_e32 v3, 7, v3
	v_and_b32_e32 v44, 0x8000, v44
	v_and_b32_e32 v11, 0xfc00, v11
	v_or3_b32 v11, v44, v11, v3
.LBB279_120:                            ;   in Loop: Header=BB279_13 Depth=1
	s_or_b32 exec_lo, exec_lo, s50
.LBB279_121:                            ;   in Loop: Header=BB279_13 Depth=1
	s_or_b32 exec_lo, exec_lo, s49
.LBB279_122:                            ;   in Loop: Header=BB279_13 Depth=1
	s_or_b32 exec_lo, exec_lo, s48
	v_lshrrev_b16 v3, 8, v9
	s_mov_b32 s48, exec_lo
	v_cmpx_ne_u16_e32 0, v3
	s_cbranch_execz .LBB279_130
; %bb.123:                              ;   in Loop: Header=BB279_13 Depth=1
	v_bfrev_b32_e32 v10, 1
	s_mov_b32 s49, exec_lo
	v_cmpx_ne_u16_e32 0x80, v3
	s_cbranch_execz .LBB279_129
; %bb.124:                              ;   in Loop: Header=BB279_13 Depth=1
	v_and_b32_sdwa v45, v3, v24 dst_sel:DWORD dst_unused:UNUSED_PAD src0_sel:WORD_0 src1_sel:DWORD
	v_mov_b32_e32 v10, 0x7c010000
	s_mov_b32 s50, exec_lo
	v_cmpx_ne_u32_e32 0x7f, v45
	s_cbranch_execz .LBB279_128
; %bb.125:                              ;   in Loop: Header=BB279_13 Depth=1
	v_and_b32_sdwa v10, v3, v25 dst_sel:DWORD dst_unused:UNUSED_PAD src0_sel:WORD_0 src1_sel:DWORD
	v_lshrrev_b32_e32 v44, 3, v45
	s_mov_b32 s51, exec_lo
	v_cmpx_gt_u32_e32 8, v45
; %bb.126:                              ;   in Loop: Header=BB279_13 Depth=1
	v_ffbh_u32_e32 v10, v10
	v_min_u32_e32 v10, 32, v10
	v_subrev_nc_u32_e32 v44, 28, v10
	v_lshlrev_b64 v[45:46], v44, v[3:4]
	v_sub_nc_u32_e32 v44, 29, v10
	v_and_b32_e32 v10, 7, v45
; %bb.127:                              ;   in Loop: Header=BB279_13 Depth=1
	s_or_b32 exec_lo, exec_lo, s51
	v_lshlrev_b32_sdwa v3, v26, v3 dst_sel:DWORD dst_unused:UNUSED_PAD src0_sel:DWORD src1_sel:WORD_0
	v_lshl_add_u32 v44, v44, 10, 0x2000
	v_lshlrev_b32_e32 v10, 23, v10
	v_and_or_b32 v3, 0x8000, v3, v44
	v_lshl_or_b32 v10, v3, 16, v10
.LBB279_128:                            ;   in Loop: Header=BB279_13 Depth=1
	s_or_b32 exec_lo, exec_lo, s50
.LBB279_129:                            ;   in Loop: Header=BB279_13 Depth=1
	s_or_b32 exec_lo, exec_lo, s49
.LBB279_130:                            ;   in Loop: Header=BB279_13 Depth=1
	s_or_b32 exec_lo, exec_lo, s48
	v_lshrrev_b32_e32 v3, 16, v9
	v_mov_b32_e32 v44, 0
	v_mov_b32_e32 v45, 0
	v_cmp_ne_u16_sdwa s2, v3, v4 src0_sel:BYTE_0 src1_sel:DWORD
	s_and_saveexec_b32 s48, s2
	s_cbranch_execz .LBB279_138
; %bb.131:                              ;   in Loop: Header=BB279_13 Depth=1
	v_cmp_ne_u16_sdwa s2, v3, v23 src0_sel:BYTE_0 src1_sel:DWORD
	v_mov_b32_e32 v45, 0x8000
	s_and_saveexec_b32 s49, s2
	s_cbranch_execz .LBB279_137
; %bb.132:                              ;   in Loop: Header=BB279_13 Depth=1
	v_bfe_u32 v47, v9, 16, 7
	v_mov_b32_e32 v45, 0x7c01
	s_mov_b32 s50, exec_lo
	v_cmpx_ne_u32_e32 0x7f, v47
	s_cbranch_execz .LBB279_136
; %bb.133:                              ;   in Loop: Header=BB279_13 Depth=1
	v_and_b32_e32 v45, 7, v3
	v_lshrrev_b32_e32 v46, 3, v47
	s_mov_b32 s51, exec_lo
	v_cmpx_gt_u32_e32 8, v47
; %bb.134:                              ;   in Loop: Header=BB279_13 Depth=1
	v_ffbh_u32_e32 v45, v45
	v_min_u32_e32 v47, 32, v45
	v_subrev_nc_u32_e32 v45, 28, v47
	v_lshlrev_b64 v[45:46], v45, v[3:4]
	v_sub_nc_u32_e32 v46, 29, v47
	v_and_b32_e32 v45, 7, v45
; %bb.135:                              ;   in Loop: Header=BB279_13 Depth=1
	s_or_b32 exec_lo, exec_lo, s51
	v_lshlrev_b32_e32 v3, 8, v3
	v_lshl_add_u32 v46, v46, 10, 0x2000
	v_lshlrev_b32_e32 v45, 7, v45
	v_and_b32_e32 v3, 0x8000, v3
	v_and_b32_e32 v46, 0xfc00, v46
	v_or3_b32 v45, v3, v46, v45
.LBB279_136:                            ;   in Loop: Header=BB279_13 Depth=1
	s_or_b32 exec_lo, exec_lo, s50
.LBB279_137:                            ;   in Loop: Header=BB279_13 Depth=1
	s_or_b32 exec_lo, exec_lo, s49
.LBB279_138:                            ;   in Loop: Header=BB279_13 Depth=1
	s_or_b32 exec_lo, exec_lo, s48
	s_mov_b32 s48, exec_lo
	v_cmpx_lt_u32_e32 0xffffff, v9
	s_cbranch_execz .LBB279_146
; %bb.139:                              ;   in Loop: Header=BB279_13 Depth=1
	v_lshrrev_b32_e32 v3, 24, v9
	v_bfrev_b32_e32 v44, 1
	s_mov_b32 s49, exec_lo
	v_cmpx_ne_u32_e32 0x80, v3
	s_cbranch_execz .LBB279_145
; %bb.140:                              ;   in Loop: Header=BB279_13 Depth=1
	v_and_b32_e32 v46, 0x7f, v3
	v_mov_b32_e32 v44, 0x7c010000
	s_mov_b32 s50, exec_lo
	v_cmpx_ne_u32_e32 0x7f, v46
	s_cbranch_execz .LBB279_144
; %bb.141:                              ;   in Loop: Header=BB279_13 Depth=1
	v_and_b32_e32 v9, 7, v3
	v_lshrrev_b32_e32 v44, 3, v46
	s_mov_b32 s51, exec_lo
	v_cmpx_gt_u32_e32 8, v46
; %bb.142:                              ;   in Loop: Header=BB279_13 Depth=1
	v_ffbh_u32_e32 v9, v9
	v_min_u32_e32 v9, 32, v9
	v_subrev_nc_u32_e32 v44, 28, v9
	v_lshlrev_b64 v[46:47], v44, v[3:4]
	v_sub_nc_u32_e32 v44, 29, v9
	v_and_b32_e32 v9, 7, v46
; %bb.143:                              ;   in Loop: Header=BB279_13 Depth=1
	s_or_b32 exec_lo, exec_lo, s51
	v_lshlrev_b32_e32 v3, 8, v3
	v_lshl_add_u32 v44, v44, 10, 0x2000
	v_lshlrev_b32_e32 v9, 23, v9
	v_and_or_b32 v3, 0x8000, v3, v44
	v_lshl_or_b32 v44, v3, 16, v9
.LBB279_144:                            ;   in Loop: Header=BB279_13 Depth=1
	s_or_b32 exec_lo, exec_lo, s50
.LBB279_145:                            ;   in Loop: Header=BB279_13 Depth=1
	s_or_b32 exec_lo, exec_lo, s49
.LBB279_146:                            ;   in Loop: Header=BB279_13 Depth=1
	s_or_b32 exec_lo, exec_lo, s48
	ds_read_b64 v[46:47], v20
	v_or_b32_e32 v3, v32, v33
	v_or_b32_e32 v9, v34, v35
	v_fma_mixlo_f16 v32, v31, v32, 0 op_sel:[0,1,0] op_sel_hi:[0,1,0]
	v_fma_mixlo_f16 v33, v31, v34, 0 op_sel:[0,1,0] op_sel_hi:[0,1,0]
	v_or_b32_e32 v11, v10, v11
	v_fma_mixlo_f16 v3, v31, v3, 0 op_sel_hi:[0,1,0]
	v_fma_mixlo_f16 v9, v31, v9, 0 op_sel_hi:[0,1,0]
	v_and_b32_e32 v32, 0xffff, v32
	v_and_b32_e32 v33, 0xffff, v33
	v_or_b32_e32 v45, v44, v45
	v_and_b32_e32 v35, 0xffff, v3
	v_and_b32_e32 v9, 0xffff, v9
	v_fma_mixlo_f16 v11, v31, v11, 0 op_sel_hi:[0,1,0]
	v_fma_mixlo_f16 v44, v31, v44, 0 op_sel:[0,1,0] op_sel_hi:[0,1,0]
	v_and_b32_e32 v44, 0xffff, v44
	s_waitcnt lgkmcnt(0)
	v_and_b32_e32 v3, 0xffff, v46
	v_lshrrev_b32_e32 v34, 16, v46
	v_lshrrev_b32_e32 v48, 16, v47
	v_and_b32_e32 v47, 0xffff, v47
	;;#ASMSTART
	v_cvt_f32_f16 v3, v3;
	;;#ASMEND
	;;#ASMSTART
	v_cvt_f32_f16 v34, v34;
	;;#ASMEND
	;; [unrolled: 3-line block ×8, first 2 shown]
	ds_read_b64 v[32:33], v20 offset:8
	v_or_b32_e32 v9, v36, v37
	v_or_b32_e32 v37, v38, v39
	v_fma_mixlo_f16 v36, v31, v36, 0 op_sel:[0,1,0] op_sel_hi:[0,1,0]
	v_fma_mixlo_f16 v38, v31, v38, 0 op_sel:[0,1,0] op_sel_hi:[0,1,0]
	v_fma_mixlo_f16 v9, v31, v9, 0 op_sel_hi:[0,1,0]
	v_fma_mixlo_f16 v37, v31, v37, 0 op_sel_hi:[0,1,0]
	v_and_b32_e32 v39, 0xffff, v36
	v_and_b32_e32 v54, 0xffff, v38
	;; [unrolled: 1-line block ×4, first 2 shown]
	s_waitcnt lgkmcnt(0)
	v_and_b32_e32 v36, 0xffff, v32
	v_lshrrev_b32_e32 v32, 16, v32
	v_lshrrev_b32_e32 v52, 16, v33
	v_and_b32_e32 v33, 0xffff, v33
	;;#ASMSTART
	v_cvt_f32_f16 v36, v36;
	;;#ASMEND
	;;#ASMSTART
	v_cvt_f32_f16 v37, v32;
	;;#ASMEND
	;; [unrolled: 3-line block ×8, first 2 shown]
	ds_read_b64 v[32:33], v20 offset:16
	v_or_b32_e32 v9, v40, v41
	v_or_b32_e32 v41, v42, v43
	v_fma_mixlo_f16 v40, v31, v40, 0 op_sel:[0,1,0] op_sel_hi:[0,1,0]
	v_fma_mixlo_f16 v42, v31, v42, 0 op_sel:[0,1,0] op_sel_hi:[0,1,0]
	;; [unrolled: 1-line block ×3, first 2 shown]
	v_fma_mixlo_f16 v9, v31, v9, 0 op_sel_hi:[0,1,0]
	v_fma_mixlo_f16 v10, v31, v41, 0 op_sel_hi:[0,1,0]
	v_and_b32_e32 v41, 0xffff, v40
	v_and_b32_e32 v57, 0xffff, v42
	v_mul_f32_e32 v36, v36, v38
	v_and_b32_e32 v9, 0xffff, v9
	v_and_b32_e32 v10, 0xffff, v10
	v_mul_f32_e32 v37, v37, v39
	v_mul_f32_e32 v38, v51, v53
	v_fmac_f32_e32 v36, v3, v35
	v_fma_mixlo_f16 v31, v31, v45, 0 op_sel_hi:[0,1,0]
	v_and_b32_e32 v39, 0xffff, v11
	v_fmac_f32_e32 v37, v34, v46
	v_fmac_f32_e32 v38, v47, v49
	s_waitcnt lgkmcnt(0)
	v_and_b32_e32 v40, 0xffff, v32
	v_lshrrev_b32_e32 v42, 16, v32
	v_lshrrev_b32_e32 v55, 16, v33
	v_and_b32_e32 v56, 0xffff, v33
	;;#ASMSTART
	v_cvt_f32_f16 v32, v40;
	;;#ASMEND
	;;#ASMSTART
	v_cvt_f32_f16 v33, v42;
	;;#ASMEND
	;; [unrolled: 3-line block ×8, first 2 shown]
	ds_read_b64 v[9:10], v20 offset:24
	v_fmac_f32_e32 v36, v32, v40
	v_fmac_f32_e32 v37, v33, v41
	v_mul_f32_e32 v11, v52, v54
	v_fmac_f32_e32 v38, v42, v56
	v_and_b32_e32 v43, 0xffff, v43
	v_and_b32_e32 v34, 0xffff, v31
	v_fmac_f32_e32 v11, v48, v50
	v_fmac_f32_e32 v11, v55, v57
	s_waitcnt lgkmcnt(0)
	v_and_b32_e32 v3, 0xffff, v9
	v_lshrrev_b32_e32 v9, 16, v9
	v_lshrrev_b32_e32 v32, 16, v10
	v_and_b32_e32 v33, 0xffff, v10
	;;#ASMSTART
	v_cvt_f32_f16 v3, v3;
	;;#ASMEND
	;;#ASMSTART
	v_cvt_f32_f16 v9, v9;
	;;#ASMEND
	;; [unrolled: 3-line block ×4, first 2 shown]
	v_fmac_f32_e32 v36, v3, v10
	v_fmac_f32_e32 v37, v9, v31
	;;#ASMSTART
	v_cvt_f32_f16 v3, v33;
	;;#ASMEND
	;;#ASMSTART
	v_cvt_f32_f16 v9, v32;
	;;#ASMEND
	;; [unrolled: 3-line block ×3, first 2 shown]
	v_fmac_f32_e32 v38, v3, v10
	v_xor_b32_e32 v10, 1, v18
	v_add_f32_e32 v3, v36, v37
	;;#ASMSTART
	v_cvt_f32_f16 v31, v44;
	;;#ASMEND
	v_fmac_f32_e32 v11, v9, v31
	v_cmp_gt_i32_e64 s2, 32, v10
	v_add_f32_e32 v3, v3, v38
	v_cndmask_b32_e64 v9, v18, v10, s2
	v_add_f32_e32 v3, v11, v3
	v_lshlrev_b32_e32 v9, 2, v9
	ds_bpermute_b32 v9, v9, v3
	s_and_saveexec_b32 s48, vcc_lo
	s_cbranch_execz .LBB279_11
; %bb.147:                              ;   in Loop: Header=BB279_13 Depth=1
	v_add_nc_u32_e32 v10, v27, v21
	s_waitcnt lgkmcnt(0)
	v_add_f32_e32 v3, v3, v9
	v_cvt_f32_i32_e32 v10, v10
	v_mul_f32_e32 v10, s44, v10
	v_cndmask_b32_e64 v9, 0, v10, s1
	v_max_f32_e32 v10, v17, v17
	v_fmac_f32_e32 v9, s41, v3
	v_add_nc_u32_e32 v3, v19, v21
	v_max_f32_e32 v10, v10, v9
	v_cmp_gt_i32_e64 s2, s31, v3
	v_cndmask_b32_e64 v3, 0, v9, s2
	v_cndmask_b32_e64 v17, v17, v10, s2
	ds_write_b32 v28, v3
	s_branch .LBB279_11
.LBB279_148:
	s_or_b32 exec_lo, exec_lo, s46
.LBB279_149:
	s_or_b32 exec_lo, exec_lo, s45
	v_xor_b32_e32 v3, 16, v18
	v_xor_b32_e32 v4, 8, v18
	v_max_f32_e32 v6, v17, v17
	s_waitcnt lgkmcnt(0)
	v_lshlrev_b32_e32 v9, 2, v14
	v_cmp_gt_i32_e32 vcc_lo, 32, v3
	v_cndmask_b32_e32 v3, v18, v3, vcc_lo
	v_cmp_gt_i32_e32 vcc_lo, 32, v4
	v_lshlrev_b32_e32 v5, 2, v3
	v_cndmask_b32_e32 v4, v18, v4, vcc_lo
	ds_bpermute_b32 v3, v5, v17
	v_lshlrev_b32_e32 v7, 2, v4
	v_and_b32_e32 v17, 31, v0
	s_waitcnt lgkmcnt(0)
	v_max_f32_e32 v3, v3, v3
	v_max_f32_e32 v3, v6, v3
	v_xor_b32_e32 v6, 4, v18
	ds_bpermute_b32 v4, v7, v3
	v_cmp_gt_i32_e32 vcc_lo, 32, v6
	v_cndmask_b32_e32 v6, v18, v6, vcc_lo
	v_lshlrev_b32_e32 v8, 2, v6
	v_xor_b32_e32 v6, 2, v18
	v_cmp_gt_i32_e32 vcc_lo, 32, v6
	s_waitcnt lgkmcnt(0)
	v_max_f32_e32 v4, v4, v4
	v_cndmask_b32_e32 v6, v18, v6, vcc_lo
	v_cmp_eq_u32_e32 vcc_lo, 0, v17
	v_max_f32_e32 v3, v3, v4
	ds_bpermute_b32 v4, v8, v3
	s_waitcnt lgkmcnt(0)
	v_max_f32_e32 v4, v4, v4
	v_max_f32_e32 v3, v3, v4
	v_lshlrev_b32_e32 v4, 2, v6
	ds_bpermute_b32 v6, v4, v3
	s_and_saveexec_b32 s1, vcc_lo
	s_cbranch_execz .LBB279_151
; %bb.150:
	s_waitcnt lgkmcnt(0)
	v_max_f32_e32 v6, v6, v6
	v_max_f32_e32 v3, v3, v3
	;; [unrolled: 1-line block ×3, first 2 shown]
	ds_write_b32 v9, v3 offset:64
.LBB279_151:
	s_or_b32 exec_lo, exec_lo, s1
	v_cmp_gt_u32_e64 s1, 4, v17
	v_mov_b32_e32 v3, 0xff7fffff
	v_lshlrev_b32_e32 v10, 2, v17
	s_waitcnt lgkmcnt(0)
	s_barrier
	buffer_gl0_inv
	s_and_saveexec_b32 s2, s1
; %bb.152:
	ds_read_b32 v3, v10 offset:64
; %bb.153:
	s_or_b32 exec_lo, exec_lo, s2
	s_waitcnt lgkmcnt(0)
	ds_bpermute_b32 v6, v4, v3
	v_xor_b32_e32 v11, 1, v18
	v_max_f32_e32 v3, v3, v3
	v_cmp_gt_i32_e64 s2, 32, v11
	v_cndmask_b32_e64 v11, v18, v11, s2
	s_sub_i32 s2, s20, s16
	s_lshl_b32 s2, s2, 4
	v_lshlrev_b32_e32 v18, 2, v11
	v_mov_b32_e32 v11, 0
	s_add_i32 s2, s2, s42
	s_min_i32 s2, s2, s31
	s_waitcnt lgkmcnt(0)
	v_max_f32_e32 v6, v6, v6
	s_sub_i32 s4, s2, s42
	v_cmp_gt_i32_e64 s2, s4, v0
	v_max_f32_e32 v3, v3, v6
	ds_bpermute_b32 v6, v18, v3
	s_waitcnt lgkmcnt(0)
	v_max_f32_e32 v6, v6, v6
	v_max_f32_e32 v3, v3, v6
	v_lshl_add_u32 v6, v0, 2, 0x60
	ds_bpermute_b32 v3, v11, v3
	s_and_saveexec_b32 s5, s2
	s_cbranch_execz .LBB279_157
; %bb.154:
	v_lshl_add_u32 v19, v0, 2, 0x60
	v_mov_b32_e32 v11, 0
	v_mov_b32_e32 v20, v0
	s_mov_b32 s12, 0
	.p2align	6
.LBB279_155:                            ; =>This Inner Loop Header: Depth=1
	ds_read_b32 v21, v19
	v_add_nc_u32_e32 v20, 0x80, v20
	v_cmp_le_i32_e64 s3, s4, v20
	s_or_b32 s12, s3, s12
	s_waitcnt lgkmcnt(0)
	v_sub_f32_e32 v21, v21, v3
	v_mul_f32_e32 v21, 0x3fb8aa3b, v21
	v_exp_f32_e32 v21, v21
	ds_write_b32 v19, v21
	v_add_f32_e32 v11, v11, v21
	v_add_nc_u32_e32 v19, 0x200, v19
	s_andn2_b32 exec_lo, exec_lo, s12
	s_cbranch_execnz .LBB279_155
; %bb.156:
	s_or_b32 exec_lo, exec_lo, s12
.LBB279_157:
	s_or_b32 exec_lo, exec_lo, s5
	ds_bpermute_b32 v5, v5, v11
	s_waitcnt lgkmcnt(0)
	v_add_f32_e32 v5, v11, v5
	ds_bpermute_b32 v7, v7, v5
	s_waitcnt lgkmcnt(0)
	v_add_f32_e32 v5, v5, v7
	;; [unrolled: 3-line block ×5, first 2 shown]
	s_and_saveexec_b32 s3, vcc_lo
; %bb.158:
	ds_write_b32 v9, v5 offset:80
; %bb.159:
	s_or_b32 exec_lo, exec_lo, s3
	s_waitcnt lgkmcnt(0)
	s_barrier
	buffer_gl0_inv
	s_and_saveexec_b32 s3, s1
; %bb.160:
	ds_read_b32 v5, v10 offset:80
; %bb.161:
	s_or_b32 exec_lo, exec_lo, s3
	s_waitcnt lgkmcnt(0)
	ds_bpermute_b32 v4, v4, v5
	s_waitcnt lgkmcnt(0)
	v_add_f32_e32 v4, v5, v4
	ds_bpermute_b32 v5, v18, v4
	s_waitcnt lgkmcnt(0)
	v_add_f32_e32 v4, v4, v5
	v_mov_b32_e32 v5, 0
	ds_bpermute_b32 v4, v5, v4
	s_and_saveexec_b32 s1, s2
	s_cbranch_execz .LBB279_164
; %bb.162:
	s_waitcnt lgkmcnt(0)
	v_add_f32_e32 v5, 0x358637bd, v4
	s_mov_b32 s2, 0
	v_div_scale_f32 v7, null, v5, v5, 1.0
	v_div_scale_f32 v10, vcc_lo, 1.0, v5, 1.0
	v_rcp_f32_e32 v8, v7
	v_fma_f32 v9, -v7, v8, 1.0
	v_fmac_f32_e32 v8, v9, v8
	v_mul_f32_e32 v9, v10, v8
	v_fma_f32 v11, -v7, v9, v10
	v_fmac_f32_e32 v9, v11, v8
	v_fma_f32 v7, -v7, v9, v10
	v_div_fmas_f32 v7, v7, v8, v9
	v_div_fixup_f32 v5, v7, v5, 1.0
	v_mov_b32_e32 v7, v0
.LBB279_163:                            ; =>This Inner Loop Header: Depth=1
	ds_read_b32 v8, v6
	v_add_nc_u32_e32 v7, 0x80, v7
	v_cmp_le_i32_e32 vcc_lo, s4, v7
	s_or_b32 s2, vcc_lo, s2
	s_waitcnt lgkmcnt(0)
	v_mul_f32_e32 v8, v5, v8
	ds_write_b32 v6, v8
	v_add_nc_u32_e32 v6, 0x200, v6
	s_andn2_b32 exec_lo, exec_lo, s2
	s_cbranch_execnz .LBB279_163
.LBB279_164:
	s_or_b32 exec_lo, exec_lo, s1
	s_mul_i32 s1, s7, s30
	s_waitcnt lgkmcnt(0)
	s_mul_i32 s2, s1, s9
	s_mov_b32 s1, exec_lo
	s_barrier
	buffer_gl0_inv
	v_cmpx_eq_u32_e32 0, v0
	s_cbranch_execz .LBB279_166
; %bb.165:
	s_ashr_i32 s3, s2, 31
	s_mul_i32 s12, s7, s6
	s_lshl_b64 s[4:5], s[2:3], 2
	v_mov_b32_e32 v5, 0
	s_add_u32 s3, s26, s4
	s_addc_u32 s6, s27, s5
	s_ashr_i32 s13, s12, 31
	s_lshl_b64 s[12:13], s[12:13], 2
	s_add_u32 s3, s3, s12
	s_addc_u32 s6, s6, s13
	s_ashr_i32 s9, s8, 31
	s_lshl_b64 s[8:9], s[8:9], 2
	s_add_u32 s26, s3, s8
	s_addc_u32 s27, s6, s9
	s_add_u32 s3, s24, s4
	s_addc_u32 s4, s25, s5
	;; [unrolled: 2-line block ×4, first 2 shown]
	global_store_dword v5, v3, s[26:27]
	global_store_dword v5, v4, s[4:5]
.LBB279_166:
	s_or_b32 exec_lo, exec_lo, s1
	v_mov_b32_e32 v21, 0
	v_mov_b32_e32 v20, 0
	s_and_saveexec_b32 s1, s0
	s_cbranch_execz .LBB279_304
; %bb.167:
	s_sub_i32 s3, s43, s21
	s_ashr_i32 s0, s18, 31
	s_add_u32 s9, s38, s18
	s_addc_u32 s0, s39, s0
	s_abs_i32 s6, s22
	v_and_b32_e32 v5, 0xf8, v16
	v_cvt_f32_u32_e32 v3, s6
	s_sub_i32 s4, 0, s6
	v_lshlrev_b64 v[6:7], 2, v[1:2]
	v_lshlrev_b32_e32 v2, 5, v13
	s_add_i32 s40, s40, -1
	v_rcp_iflag_f32_e32 v4, v3
	v_and_b32_e32 v19, 8, v16
	v_mov_b32_e32 v3, 0
	v_lshl_or_b32 v2, v14, 6, v2
	v_mov_b32_e32 v16, 0x80
	v_mov_b32_e32 v22, 0x7f
	;; [unrolled: 1-line block ×5, first 2 shown]
	v_add_nc_u32_e32 v25, 0x60, v2
	v_mul_f32_e32 v4, 0x4f7ffffe, v4
	v_mov_b32_e32 v21, 0
	s_mov_b32 s8, s17
	v_cvt_u32_f32_e32 v8, v4
	v_add_co_u32 v4, s9, s9, v5
	v_add_co_ci_u32_e64 v5, null, s0, 0, s9
	v_mul_lo_u32 v9, s4, v8
	s_lshl_b64 s[4:5], s[36:37], 2
	s_mov_b32 s9, 0
	s_add_u32 s0, s34, s4
	s_addc_u32 s4, s35, s5
	v_add_co_u32 v6, vcc_lo, s0, v6
	v_add_co_ci_u32_e64 v7, null, s4, v7, vcc_lo
	v_mul_hi_u32 v9, v8, v9
	s_mov_b32 s4, -1
	s_mov_b32 s5, 0xffffff
	v_add_nc_u32_e32 v26, v8, v9
	s_branch .LBB279_170
.LBB279_168:                            ;   in Loop: Header=BB279_170 Depth=1
	s_or_b32 exec_lo, exec_lo, s0
	;;#ASMSTART
	v_pk_mul_f16 v2, v39, v45;

	;;#ASMEND
	;;#ASMSTART
	v_pk_mul_f16 v8, v37, v40;

	;;#ASMEND
	;;#ASMSTART
	v_pk_mul_f16 v10, v36, v38;

	;;#ASMEND
	;;#ASMSTART
	v_pk_mul_f16 v9, v34, v9;

	;;#ASMEND
	;;#ASMSTART
	v_pk_add_f16 v2, v2, v8;

	;;#ASMEND
	;;#ASMSTART
	v_pk_add_f16 v2, v2, v10;

	;;#ASMEND
	;; [unrolled: 4-line block ×3, first 2 shown]
	v_and_b32_e32 v8, 0xffff, v2
	v_lshrrev_b32_e32 v9, 16, v2
	;;#ASMSTART
	v_cvt_f32_f16 v8, v8;
	;;#ASMEND
	v_add_f32_e32 v2, v33, v35
	;;#ASMSTART
	v_cvt_f32_f16 v9, v9;
	;;#ASMEND
	v_add_f32_e32 v8, v8, v9
	v_add_f32_e32 v20, v20, v2
	;; [unrolled: 1-line block ×3, first 2 shown]
.LBB279_169:                            ;   in Loop: Header=BB279_170 Depth=1
	s_or_b32 exec_lo, exec_lo, s12
	v_add_nc_u32_e32 v1, 4, v1
	v_add_co_u32 v6, s0, v6, 16
	v_add_co_ci_u32_e64 v7, null, 0, v7, s0
	v_cmp_le_i32_e32 vcc_lo, s20, v1
	v_add_nc_u32_e32 v15, 64, v15
	v_add_nc_u32_e32 v25, 0x100, v25
	s_or_b32 s9, vcc_lo, s9
	s_andn2_b32 exec_lo, exec_lo, s9
	s_cbranch_execz .LBB279_303
.LBB279_170:                            ; =>This Inner Loop Header: Depth=1
	v_sub_nc_u32_e32 v2, 0, v15
	v_max_i32_e32 v2, v15, v2
	v_mul_hi_u32 v8, v2, s19
	v_mul_lo_u32 v9, v8, s11
	v_sub_nc_u32_e32 v2, v2, v9
	v_add_nc_u32_e32 v9, 1, v8
	v_subrev_nc_u32_e32 v10, s11, v2
	v_cmp_le_u32_e32 vcc_lo, s11, v2
	v_cndmask_b32_e32 v8, v8, v9, vcc_lo
	v_cndmask_b32_e32 v2, v2, v10, vcc_lo
	v_ashrrev_i32_e32 v9, 31, v15
	v_add_nc_u32_e32 v10, 1, v8
	v_cmp_le_u32_e32 vcc_lo, s11, v2
	v_xor_b32_e32 v9, s23, v9
	v_cndmask_b32_e32 v2, v8, v10, vcc_lo
	v_xor_b32_e32 v2, v2, v9
	v_sub_nc_u32_e32 v2, v2, v9
	v_add_nc_u32_e32 v8, s33, v2
	v_cmp_lt_i32_e64 s0, s3, v2
	v_sub_nc_u32_e32 v9, 0, v8
	v_max_i32_e32 v9, v8, v9
	v_ashrrev_i32_e32 v8, 31, v8
	v_mul_hi_u32 v10, v9, v26
	v_mul_lo_u32 v10, v10, s6
	v_sub_nc_u32_e32 v9, v9, v10
	v_subrev_nc_u32_e32 v10, s6, v9
	v_cmp_le_u32_e32 vcc_lo, s6, v9
	v_cndmask_b32_e32 v9, v9, v10, vcc_lo
	v_subrev_nc_u32_e32 v10, s6, v9
	v_cmp_le_u32_e32 vcc_lo, s6, v9
	v_cndmask_b32_e32 v9, v9, v10, vcc_lo
	v_xor_b32_e32 v9, v9, v8
	v_sub_nc_u32_e32 v8, v9, v8
	v_cmp_eq_u32_e32 vcc_lo, 0, v8
	s_or_b32 s0, vcc_lo, s0
	s_and_saveexec_b32 s12, s0
	s_cbranch_execz .LBB279_169
; %bb.171:                              ;   in Loop: Header=BB279_170 Depth=1
	global_load_dword v2, v[6:7], off
	ds_read2_b64 v[27:30], v25 offset1:1
	ds_read2_b64 v[39:42], v25 offset0:2 offset1:3
	s_waitcnt lgkmcnt(1)
	;;#ASMSTART
	v_cvt_f16_f32 v33, v27;

	;;#ASMEND
	;;#ASMSTART
	v_cvt_f16_f32 v34, v28;

	;;#ASMEND
	;; [unrolled: 4-line block ×4, first 2 shown]
	s_waitcnt lgkmcnt(0)
	;;#ASMSTART
	v_cvt_f16_f32 v39, v39;

	;;#ASMEND
	;;#ASMSTART
	v_cvt_f16_f32 v36, v40;

	;;#ASMEND
	;; [unrolled: 4-line block ×4, first 2 shown]
	v_mov_b32_e32 v28, 0
	v_mov_b32_e32 v29, 0
	global_load_dword v27, v28, s[14:15]
	s_waitcnt vmcnt(1)
	v_mad_i64_i32 v[8:9], null, v2, s8, v[4:5]
	global_load_dwordx2 v[10:11], v[8:9], off
	s_waitcnt vmcnt(0)
	v_cmp_ne_u16_sdwa s13, v10, v3 src0_sel:BYTE_0 src1_sel:DWORD
	s_and_saveexec_b32 s0, s13
	s_cbranch_execz .LBB279_179
; %bb.172:                              ;   in Loop: Header=BB279_170 Depth=1
	v_cmp_ne_u16_sdwa s17, v10, v16 src0_sel:BYTE_0 src1_sel:DWORD
	v_mov_b32_e32 v29, 0x8000
	s_and_saveexec_b32 s13, s17
	s_cbranch_execz .LBB279_178
; %bb.173:                              ;   in Loop: Header=BB279_170 Depth=1
	v_and_b32_e32 v30, 0x7f, v10
	v_mov_b32_e32 v29, 0x7c01
	s_mov_b32 s17, exec_lo
	v_cmpx_ne_u32_e32 0x7f, v30
	s_cbranch_execz .LBB279_177
; %bb.174:                              ;   in Loop: Header=BB279_170 Depth=1
	v_and_b32_e32 v2, 7, v10
	v_lshrrev_b32_e32 v29, 3, v30
	s_mov_b32 s18, exec_lo
	v_cmpx_gt_u32_e32 8, v30
; %bb.175:                              ;   in Loop: Header=BB279_170 Depth=1
	v_ffbh_u32_e32 v2, v2
	v_min_u32_e32 v2, 32, v2
	v_subrev_nc_u32_e32 v29, 28, v2
	v_lshlrev_b64 v[30:31], v29, v[10:11]
	v_sub_nc_u32_e32 v29, 29, v2
	v_and_b32_e32 v2, 7, v30
; %bb.176:                              ;   in Loop: Header=BB279_170 Depth=1
	s_or_b32 exec_lo, exec_lo, s18
	v_lshlrev_b32_e32 v30, 8, v10
	v_lshl_add_u32 v29, v29, 10, 0x2000
	v_lshlrev_b32_e32 v2, 7, v2
	v_and_b32_e32 v30, 0x8000, v30
	v_and_b32_e32 v29, 0xfc00, v29
	v_or3_b32 v29, v30, v29, v2
.LBB279_177:                            ;   in Loop: Header=BB279_170 Depth=1
	s_or_b32 exec_lo, exec_lo, s17
.LBB279_178:                            ;   in Loop: Header=BB279_170 Depth=1
	s_or_b32 exec_lo, exec_lo, s13
.LBB279_179:                            ;   in Loop: Header=BB279_170 Depth=1
	s_or_b32 exec_lo, exec_lo, s0
	v_lshrrev_b16 v2, 8, v10
	s_mov_b32 s0, exec_lo
	v_cmpx_ne_u16_e32 0, v2
	s_cbranch_execz .LBB279_187
; %bb.180:                              ;   in Loop: Header=BB279_170 Depth=1
	v_bfrev_b32_e32 v28, 1
	s_mov_b32 s13, exec_lo
	v_cmpx_ne_u16_e32 0x80, v2
	s_cbranch_execz .LBB279_186
; %bb.181:                              ;   in Loop: Header=BB279_170 Depth=1
	v_and_b32_sdwa v31, v2, v22 dst_sel:DWORD dst_unused:UNUSED_PAD src0_sel:WORD_0 src1_sel:DWORD
	v_mov_b32_e32 v28, 0x7c010000
	s_mov_b32 s17, exec_lo
	v_cmpx_ne_u32_e32 0x7f, v31
	s_cbranch_execz .LBB279_185
; %bb.182:                              ;   in Loop: Header=BB279_170 Depth=1
	v_and_b32_sdwa v28, v2, v23 dst_sel:DWORD dst_unused:UNUSED_PAD src0_sel:WORD_0 src1_sel:DWORD
	v_lshrrev_b32_e32 v30, 3, v31
	s_mov_b32 s18, exec_lo
	v_cmpx_gt_u32_e32 8, v31
; %bb.183:                              ;   in Loop: Header=BB279_170 Depth=1
	v_ffbh_u32_e32 v28, v28
	v_min_u32_e32 v28, 32, v28
	v_subrev_nc_u32_e32 v30, 28, v28
	v_lshlrev_b64 v[31:32], v30, v[2:3]
	v_sub_nc_u32_e32 v30, 29, v28
	v_and_b32_e32 v28, 7, v31
; %bb.184:                              ;   in Loop: Header=BB279_170 Depth=1
	s_or_b32 exec_lo, exec_lo, s18
	v_lshlrev_b32_sdwa v2, v24, v2 dst_sel:DWORD dst_unused:UNUSED_PAD src0_sel:DWORD src1_sel:WORD_0
	v_lshl_add_u32 v30, v30, 10, 0x2000
	v_lshlrev_b32_e32 v28, 23, v28
	v_and_or_b32 v2, 0x8000, v2, v30
	v_lshl_or_b32 v28, v2, 16, v28
.LBB279_185:                            ;   in Loop: Header=BB279_170 Depth=1
	s_or_b32 exec_lo, exec_lo, s17
.LBB279_186:                            ;   in Loop: Header=BB279_170 Depth=1
	s_or_b32 exec_lo, exec_lo, s13
.LBB279_187:                            ;   in Loop: Header=BB279_170 Depth=1
	s_or_b32 exec_lo, exec_lo, s0
	v_lshrrev_b32_e32 v2, 16, v10
	v_mov_b32_e32 v30, 0
	v_mov_b32_e32 v31, 0
	v_cmp_ne_u16_sdwa s13, v2, v3 src0_sel:BYTE_0 src1_sel:DWORD
	s_and_saveexec_b32 s0, s13
	s_cbranch_execz .LBB279_195
; %bb.188:                              ;   in Loop: Header=BB279_170 Depth=1
	v_cmp_ne_u16_sdwa s17, v2, v16 src0_sel:BYTE_0 src1_sel:DWORD
	v_mov_b32_e32 v31, 0x8000
	s_and_saveexec_b32 s13, s17
	s_cbranch_execz .LBB279_194
; %bb.189:                              ;   in Loop: Header=BB279_170 Depth=1
	v_bfe_u32 v41, v10, 16, 7
	v_mov_b32_e32 v31, 0x7c01
	s_mov_b32 s17, exec_lo
	v_cmpx_ne_u32_e32 0x7f, v41
	s_cbranch_execz .LBB279_193
; %bb.190:                              ;   in Loop: Header=BB279_170 Depth=1
	v_and_b32_e32 v31, 7, v2
	v_lshrrev_b32_e32 v32, 3, v41
	s_mov_b32 s18, exec_lo
	v_cmpx_gt_u32_e32 8, v41
; %bb.191:                              ;   in Loop: Header=BB279_170 Depth=1
	v_ffbh_u32_e32 v31, v31
	v_min_u32_e32 v41, 32, v31
	v_subrev_nc_u32_e32 v31, 28, v41
	v_lshlrev_b64 v[31:32], v31, v[2:3]
	v_sub_nc_u32_e32 v32, 29, v41
	v_and_b32_e32 v31, 7, v31
; %bb.192:                              ;   in Loop: Header=BB279_170 Depth=1
	s_or_b32 exec_lo, exec_lo, s18
	v_lshlrev_b32_e32 v2, 8, v2
	v_lshl_add_u32 v32, v32, 10, 0x2000
	v_lshlrev_b32_e32 v31, 7, v31
	v_and_b32_e32 v2, 0x8000, v2
	v_and_b32_e32 v32, 0xfc00, v32
	v_or3_b32 v31, v2, v32, v31
.LBB279_193:                            ;   in Loop: Header=BB279_170 Depth=1
	s_or_b32 exec_lo, exec_lo, s17
.LBB279_194:                            ;   in Loop: Header=BB279_170 Depth=1
	s_or_b32 exec_lo, exec_lo, s13
.LBB279_195:                            ;   in Loop: Header=BB279_170 Depth=1
	s_or_b32 exec_lo, exec_lo, s0
	s_mov_b32 s0, exec_lo
	v_cmpx_lt_u32_e32 0xffffff, v10
	s_cbranch_execz .LBB279_203
; %bb.196:                              ;   in Loop: Header=BB279_170 Depth=1
	v_lshrrev_b32_e32 v2, 24, v10
	v_bfrev_b32_e32 v30, 1
	s_mov_b32 s13, exec_lo
	v_cmpx_ne_u32_e32 0x80, v2
	s_cbranch_execz .LBB279_202
; %bb.197:                              ;   in Loop: Header=BB279_170 Depth=1
	v_and_b32_e32 v41, 0x7f, v2
	v_mov_b32_e32 v30, 0x7c010000
	s_mov_b32 s17, exec_lo
	v_cmpx_ne_u32_e32 0x7f, v41
	s_cbranch_execz .LBB279_201
; %bb.198:                              ;   in Loop: Header=BB279_170 Depth=1
	v_and_b32_e32 v30, 7, v2
	v_lshrrev_b32_e32 v32, 3, v41
	s_mov_b32 s18, exec_lo
	v_cmpx_gt_u32_e32 8, v41
; %bb.199:                              ;   in Loop: Header=BB279_170 Depth=1
	v_ffbh_u32_e32 v30, v30
	v_min_u32_e32 v30, 32, v30
	v_subrev_nc_u32_e32 v32, 28, v30
	v_lshlrev_b64 v[41:42], v32, v[2:3]
	v_sub_nc_u32_e32 v32, 29, v30
	v_and_b32_e32 v30, 7, v41
; %bb.200:                              ;   in Loop: Header=BB279_170 Depth=1
	s_or_b32 exec_lo, exec_lo, s18
	v_lshlrev_b32_e32 v2, 8, v2
	v_lshl_add_u32 v32, v32, 10, 0x2000
	v_lshlrev_b32_e32 v30, 23, v30
	v_and_or_b32 v2, 0x8000, v2, v32
	v_lshl_or_b32 v30, v2, 16, v30
.LBB279_201:                            ;   in Loop: Header=BB279_170 Depth=1
	s_or_b32 exec_lo, exec_lo, s17
.LBB279_202:                            ;   in Loop: Header=BB279_170 Depth=1
	s_or_b32 exec_lo, exec_lo, s13
.LBB279_203:                            ;   in Loop: Header=BB279_170 Depth=1
	s_or_b32 exec_lo, exec_lo, s0
	v_mov_b32_e32 v2, v11
	v_cmp_ne_u16_sdwa s13, v11, v3 src0_sel:BYTE_0 src1_sel:DWORD
	v_mov_b32_e32 v32, 0
	v_mov_b32_e32 v41, 0
	s_and_saveexec_b32 s0, s13
	s_cbranch_execz .LBB279_211
; %bb.204:                              ;   in Loop: Header=BB279_170 Depth=1
	v_cmp_ne_u16_sdwa s17, v11, v16 src0_sel:BYTE_0 src1_sel:DWORD
	v_mov_b32_e32 v41, 0x8000
	s_and_saveexec_b32 s13, s17
	s_cbranch_execz .LBB279_210
; %bb.205:                              ;   in Loop: Header=BB279_170 Depth=1
	v_and_b32_e32 v43, 0x7f, v11
	v_mov_b32_e32 v41, 0x7c01
	s_mov_b32 s17, exec_lo
	v_cmpx_ne_u32_e32 0x7f, v43
	s_cbranch_execz .LBB279_209
; %bb.206:                              ;   in Loop: Header=BB279_170 Depth=1
	v_and_b32_e32 v41, 7, v11
	v_lshrrev_b32_e32 v42, 3, v43
	s_mov_b32 s18, exec_lo
	v_cmpx_gt_u32_e32 8, v43
; %bb.207:                              ;   in Loop: Header=BB279_170 Depth=1
	v_ffbh_u32_e32 v41, v41
	v_min_u32_e32 v43, 32, v41
	v_subrev_nc_u32_e32 v41, 28, v43
	v_lshlrev_b64 v[41:42], v41, v[2:3]
	v_sub_nc_u32_e32 v42, 29, v43
	v_and_b32_e32 v41, 7, v41
; %bb.208:                              ;   in Loop: Header=BB279_170 Depth=1
	s_or_b32 exec_lo, exec_lo, s18
	v_lshlrev_b32_e32 v43, 8, v11
	v_lshl_add_u32 v42, v42, 10, 0x2000
	v_lshlrev_b32_e32 v41, 7, v41
	v_and_b32_e32 v43, 0x8000, v43
	v_and_b32_e32 v42, 0xfc00, v42
	v_or3_b32 v41, v43, v42, v41
.LBB279_209:                            ;   in Loop: Header=BB279_170 Depth=1
	s_or_b32 exec_lo, exec_lo, s17
.LBB279_210:                            ;   in Loop: Header=BB279_170 Depth=1
	s_or_b32 exec_lo, exec_lo, s13
.LBB279_211:                            ;   in Loop: Header=BB279_170 Depth=1
	s_or_b32 exec_lo, exec_lo, s0
	v_lshrrev_b16 v2, 8, v2
	v_mov_b32_e32 v42, 0
	s_mov_b32 s0, exec_lo
	v_cmpx_ne_u16_e32 0, v2
	s_cbranch_execz .LBB279_219
; %bb.212:                              ;   in Loop: Header=BB279_170 Depth=1
	v_bfrev_b32_e32 v42, 1
	s_mov_b32 s13, exec_lo
	v_cmpx_ne_u16_e32 0x80, v2
	s_cbranch_execz .LBB279_218
; %bb.213:                              ;   in Loop: Header=BB279_170 Depth=1
	v_and_b32_sdwa v44, v2, v22 dst_sel:DWORD dst_unused:UNUSED_PAD src0_sel:WORD_0 src1_sel:DWORD
	v_mov_b32_e32 v42, 0x7c010000
	s_mov_b32 s17, exec_lo
	v_cmpx_ne_u32_e32 0x7f, v44
	s_cbranch_execz .LBB279_217
; %bb.214:                              ;   in Loop: Header=BB279_170 Depth=1
	v_and_b32_sdwa v42, v2, v23 dst_sel:DWORD dst_unused:UNUSED_PAD src0_sel:WORD_0 src1_sel:DWORD
	v_lshrrev_b32_e32 v43, 3, v44
	s_mov_b32 s18, exec_lo
	v_cmpx_gt_u32_e32 8, v44
; %bb.215:                              ;   in Loop: Header=BB279_170 Depth=1
	v_ffbh_u32_e32 v42, v42
	v_min_u32_e32 v44, 32, v42
	v_subrev_nc_u32_e32 v42, 28, v44
	v_lshlrev_b64 v[42:43], v42, v[2:3]
	v_sub_nc_u32_e32 v43, 29, v44
	v_and_b32_e32 v42, 7, v42
; %bb.216:                              ;   in Loop: Header=BB279_170 Depth=1
	s_or_b32 exec_lo, exec_lo, s18
	v_lshlrev_b32_sdwa v2, v24, v2 dst_sel:DWORD dst_unused:UNUSED_PAD src0_sel:DWORD src1_sel:WORD_0
	v_lshl_add_u32 v43, v43, 10, 0x2000
	v_lshlrev_b32_e32 v42, 23, v42
	v_and_or_b32 v2, 0x8000, v2, v43
	v_lshl_or_b32 v42, v2, 16, v42
.LBB279_217:                            ;   in Loop: Header=BB279_170 Depth=1
	s_or_b32 exec_lo, exec_lo, s17
.LBB279_218:                            ;   in Loop: Header=BB279_170 Depth=1
	s_or_b32 exec_lo, exec_lo, s13
.LBB279_219:                            ;   in Loop: Header=BB279_170 Depth=1
	s_or_b32 exec_lo, exec_lo, s0
	v_lshrrev_b32_e32 v2, 16, v11
	v_cmp_ne_u16_sdwa s13, v2, v3 src0_sel:BYTE_0 src1_sel:DWORD
	s_and_saveexec_b32 s0, s13
	s_cbranch_execz .LBB279_227
; %bb.220:                              ;   in Loop: Header=BB279_170 Depth=1
	v_cmp_ne_u16_sdwa s17, v2, v16 src0_sel:BYTE_0 src1_sel:DWORD
	v_mov_b32_e32 v32, 0x8000
	s_and_saveexec_b32 s13, s17
	s_cbranch_execz .LBB279_226
; %bb.221:                              ;   in Loop: Header=BB279_170 Depth=1
	v_bfe_u32 v44, v11, 16, 7
	v_mov_b32_e32 v32, 0x7c01
	s_mov_b32 s17, exec_lo
	v_cmpx_ne_u32_e32 0x7f, v44
	s_cbranch_execz .LBB279_225
; %bb.222:                              ;   in Loop: Header=BB279_170 Depth=1
	v_and_b32_e32 v32, 7, v2
	v_lshrrev_b32_e32 v43, 3, v44
	s_mov_b32 s18, exec_lo
	v_cmpx_gt_u32_e32 8, v44
; %bb.223:                              ;   in Loop: Header=BB279_170 Depth=1
	v_ffbh_u32_e32 v32, v32
	v_min_u32_e32 v32, 32, v32
	v_subrev_nc_u32_e32 v43, 28, v32
	v_lshlrev_b64 v[44:45], v43, v[2:3]
	v_sub_nc_u32_e32 v43, 29, v32
	v_and_b32_e32 v32, 7, v44
; %bb.224:                              ;   in Loop: Header=BB279_170 Depth=1
	s_or_b32 exec_lo, exec_lo, s18
	v_lshlrev_b32_e32 v2, 8, v2
	v_lshl_add_u32 v43, v43, 10, 0x2000
	v_lshlrev_b32_e32 v32, 7, v32
	v_and_b32_e32 v2, 0x8000, v2
	v_and_b32_e32 v43, 0xfc00, v43
	v_or3_b32 v32, v2, v43, v32
.LBB279_225:                            ;   in Loop: Header=BB279_170 Depth=1
	s_or_b32 exec_lo, exec_lo, s17
.LBB279_226:                            ;   in Loop: Header=BB279_170 Depth=1
	s_or_b32 exec_lo, exec_lo, s13
.LBB279_227:                            ;   in Loop: Header=BB279_170 Depth=1
	s_or_b32 exec_lo, exec_lo, s0
	v_mov_b32_e32 v43, 0
	s_mov_b32 s0, exec_lo
	v_cmpx_lt_u64_e64 s[4:5], v[10:11]
	s_cbranch_execz .LBB279_235
; %bb.228:                              ;   in Loop: Header=BB279_170 Depth=1
	v_lshrrev_b32_e32 v2, 24, v11
	v_bfrev_b32_e32 v43, 1
	s_mov_b32 s13, exec_lo
	v_cmpx_ne_u32_e32 0x80, v2
	s_cbranch_execz .LBB279_234
; %bb.229:                              ;   in Loop: Header=BB279_170 Depth=1
	v_and_b32_e32 v44, 0x7f, v2
	v_mov_b32_e32 v43, 0x7c010000
	s_mov_b32 s17, exec_lo
	v_cmpx_ne_u32_e32 0x7f, v44
	s_cbranch_execz .LBB279_233
; %bb.230:                              ;   in Loop: Header=BB279_170 Depth=1
	v_and_b32_e32 v10, 7, v2
	v_lshrrev_b32_e32 v11, 3, v44
	s_mov_b32 s18, exec_lo
	v_cmpx_gt_u32_e32 8, v44
; %bb.231:                              ;   in Loop: Header=BB279_170 Depth=1
	v_ffbh_u32_e32 v10, v10
	v_min_u32_e32 v43, 32, v10
	v_subrev_nc_u32_e32 v10, 28, v43
	v_lshlrev_b64 v[10:11], v10, v[2:3]
	v_sub_nc_u32_e32 v11, 29, v43
	v_and_b32_e32 v10, 7, v10
; %bb.232:                              ;   in Loop: Header=BB279_170 Depth=1
	s_or_b32 exec_lo, exec_lo, s18
	v_lshlrev_b32_e32 v2, 8, v2
	v_lshl_add_u32 v11, v11, 10, 0x2000
	v_lshlrev_b32_e32 v10, 23, v10
	v_and_or_b32 v2, 0x8000, v2, v11
	v_lshl_or_b32 v43, v2, 16, v10
.LBB279_233:                            ;   in Loop: Header=BB279_170 Depth=1
	s_or_b32 exec_lo, exec_lo, s17
.LBB279_234:                            ;   in Loop: Header=BB279_170 Depth=1
	s_or_b32 exec_lo, exec_lo, s13
.LBB279_235:                            ;   in Loop: Header=BB279_170 Depth=1
	s_or_b32 exec_lo, exec_lo, s0
	v_or_b32_e32 v2, v30, v31
	v_fma_mixlo_f16 v11, v27, v30, 0 op_sel:[0,1,0] op_sel_hi:[0,1,0]
	v_or_b32_e32 v29, v28, v29
	v_fma_mixlo_f16 v28, v27, v28, 0 op_sel:[0,1,0] op_sel_hi:[0,1,0]
	v_or_b32_e32 v30, v42, v41
	v_fma_mixlo_f16 v2, v27, v2, 0 op_sel_hi:[0,1,0]
	v_or_b32_e32 v31, v43, v32
	v_lshlrev_b32_e32 v41, 16, v11
	v_lshlrev_b32_e32 v49, 16, v28
	v_fma_mixlo_f16 v11, v27, v42, 0 op_sel:[0,1,0] op_sel_hi:[0,1,0]
	v_and_b32_e32 v46, 0xffff, v2
	v_fma_mixlo_f16 v2, v27, v29, 0 op_sel_hi:[0,1,0]
	v_fma_mixlo_f16 v28, v27, v30, 0 op_sel_hi:[0,1,0]
	v_fma_mixlo_f16 v29, v27, v43, 0 op_sel:[0,1,0] op_sel_hi:[0,1,0]
	v_fma_mixlo_f16 v27, v27, v31, 0 op_sel_hi:[0,1,0]
	v_add_nc_u32_e32 v10, v19, v15
	v_and_b32_e32 v51, 0xffff, v2
	v_lshlrev_b32_e32 v47, 16, v11
	v_and_b32_e32 v50, 0xffff, v28
	v_lshlrev_b32_e32 v44, 16, v29
	v_and_b32_e32 v48, 0xffff, v27
	v_cmp_eq_u32_e32 vcc_lo, s40, v1
	v_or_b32_e32 v2, v41, v46
	v_or_b32_e32 v42, v49, v51
	;; [unrolled: 1-line block ×4, first 2 shown]
	v_add_nc_u32_e32 v32, 1, v10
	v_add_nc_u32_e32 v31, 2, v10
	;; [unrolled: 1-line block ×7, first 2 shown]
	s_and_saveexec_b32 s13, vcc_lo
	s_cbranch_execz .LBB279_237
; %bb.236:                              ;   in Loop: Header=BB279_170 Depth=1
	v_cmp_gt_i32_e64 s0, s31, v10
	v_cndmask_b32_e64 v2, 0, v51, s0
	v_cmp_gt_i32_e64 s0, s31, v32
	v_cndmask_b32_e64 v42, 0, v49, s0
	v_cmp_gt_i32_e64 s0, s31, v31
	v_or_b32_e32 v42, v42, v2
	v_cndmask_b32_e64 v43, 0, v46, s0
	v_cmp_gt_i32_e64 s0, s31, v30
	v_cndmask_b32_e64 v41, 0, v41, s0
	v_cmp_gt_i32_e64 s0, s31, v29
	v_or_b32_e32 v2, v41, v43
	;; [unrolled: 5-line block ×3, first 2 shown]
	v_cndmask_b32_e64 v47, 0, v48, s0
	v_cmp_gt_i32_e64 s0, s31, v11
	v_cndmask_b32_e64 v44, 0, v44, s0
	v_or_b32_e32 v45, v44, v47
.LBB279_237:                            ;   in Loop: Header=BB279_170 Depth=1
	s_or_b32 exec_lo, exec_lo, s13
	v_and_b32_e32 v33, 0xffff, v33
	v_and_b32_e32 v37, 0xffff, v37
	;; [unrolled: 1-line block ×4, first 2 shown]
	v_lshl_or_b32 v39, v34, 16, v33
	v_lshl_or_b32 v37, v35, 16, v37
	;;#ASMSTART
	v_pk_mul_f16 v33, v39, v42;

	;;#ASMEND
	;;#ASMSTART
	v_pk_mul_f16 v2, v37, v2;

	;;#ASMEND
	v_lshl_or_b32 v36, v36, 16, v41
	v_lshl_or_b32 v34, v38, 16, v40
	;;#ASMSTART
	v_pk_mul_f16 v35, v36, v43;

	;;#ASMEND
	;;#ASMSTART
	v_pk_mul_f16 v38, v34, v45;

	;;#ASMEND
	;;#ASMSTART
	v_pk_add_f16 v2, v33, v2;

	;;#ASMEND
	;;#ASMSTART
	v_pk_add_f16 v2, v2, v35;
	;; [unrolled: 4-line block ×3, first 2 shown]

	;;#ASMEND
	v_and_b32_e32 v33, 0xffff, v2
	v_lshrrev_b32_e32 v2, 16, v2
	;;#ASMSTART
	v_cvt_f32_f16 v33, v33;
	;;#ASMEND
	;;#ASMSTART
	v_cvt_f32_f16 v35, v2;
	;;#ASMEND
	global_load_dwordx2 v[8:9], v[8:9], off offset:256
	v_mov_b32_e32 v40, 0
	v_mov_b32_e32 v41, 0
	global_load_dword v38, v40, s[14:15]
	s_waitcnt vmcnt(1)
	v_cmp_ne_u16_sdwa s0, v8, v3 src0_sel:BYTE_0 src1_sel:DWORD
	s_and_saveexec_b32 s13, s0
	s_cbranch_execz .LBB279_245
; %bb.238:                              ;   in Loop: Header=BB279_170 Depth=1
	v_cmp_ne_u16_sdwa s0, v8, v16 src0_sel:BYTE_0 src1_sel:DWORD
	v_mov_b32_e32 v41, 0x8000
	s_and_saveexec_b32 s17, s0
	s_cbranch_execz .LBB279_244
; %bb.239:                              ;   in Loop: Header=BB279_170 Depth=1
	v_and_b32_e32 v42, 0x7f, v8
	v_mov_b32_e32 v41, 0x7c01
	s_mov_b32 s18, exec_lo
	v_cmpx_ne_u32_e32 0x7f, v42
	s_cbranch_execz .LBB279_243
; %bb.240:                              ;   in Loop: Header=BB279_170 Depth=1
	v_and_b32_e32 v2, 7, v8
	v_lshrrev_b32_e32 v41, 3, v42
	s_mov_b32 s21, exec_lo
	v_cmpx_gt_u32_e32 8, v42
; %bb.241:                              ;   in Loop: Header=BB279_170 Depth=1
	v_ffbh_u32_e32 v2, v2
	v_min_u32_e32 v2, 32, v2
	v_subrev_nc_u32_e32 v41, 28, v2
	v_lshlrev_b64 v[42:43], v41, v[8:9]
	v_sub_nc_u32_e32 v41, 29, v2
	v_and_b32_e32 v2, 7, v42
; %bb.242:                              ;   in Loop: Header=BB279_170 Depth=1
	s_or_b32 exec_lo, exec_lo, s21
	v_lshlrev_b32_e32 v42, 8, v8
	v_lshl_add_u32 v41, v41, 10, 0x2000
	v_lshlrev_b32_e32 v2, 7, v2
	v_and_b32_e32 v42, 0x8000, v42
	v_and_b32_e32 v41, 0xfc00, v41
	v_or3_b32 v41, v42, v41, v2
.LBB279_243:                            ;   in Loop: Header=BB279_170 Depth=1
	s_or_b32 exec_lo, exec_lo, s18
.LBB279_244:                            ;   in Loop: Header=BB279_170 Depth=1
	s_or_b32 exec_lo, exec_lo, s17
.LBB279_245:                            ;   in Loop: Header=BB279_170 Depth=1
	s_or_b32 exec_lo, exec_lo, s13
	v_lshrrev_b16 v2, 8, v8
	s_mov_b32 s13, exec_lo
	v_cmpx_ne_u16_e32 0, v2
	s_cbranch_execz .LBB279_253
; %bb.246:                              ;   in Loop: Header=BB279_170 Depth=1
	v_bfrev_b32_e32 v40, 1
	s_mov_b32 s17, exec_lo
	v_cmpx_ne_u16_e32 0x80, v2
	s_cbranch_execz .LBB279_252
; %bb.247:                              ;   in Loop: Header=BB279_170 Depth=1
	v_and_b32_sdwa v43, v2, v22 dst_sel:DWORD dst_unused:UNUSED_PAD src0_sel:WORD_0 src1_sel:DWORD
	v_mov_b32_e32 v40, 0x7c010000
	s_mov_b32 s18, exec_lo
	v_cmpx_ne_u32_e32 0x7f, v43
	s_cbranch_execz .LBB279_251
; %bb.248:                              ;   in Loop: Header=BB279_170 Depth=1
	v_and_b32_sdwa v40, v2, v23 dst_sel:DWORD dst_unused:UNUSED_PAD src0_sel:WORD_0 src1_sel:DWORD
	v_lshrrev_b32_e32 v42, 3, v43
	s_mov_b32 s21, exec_lo
	v_cmpx_gt_u32_e32 8, v43
; %bb.249:                              ;   in Loop: Header=BB279_170 Depth=1
	v_ffbh_u32_e32 v40, v40
	v_min_u32_e32 v40, 32, v40
	v_subrev_nc_u32_e32 v42, 28, v40
	v_lshlrev_b64 v[43:44], v42, v[2:3]
	v_sub_nc_u32_e32 v42, 29, v40
	v_and_b32_e32 v40, 7, v43
; %bb.250:                              ;   in Loop: Header=BB279_170 Depth=1
	s_or_b32 exec_lo, exec_lo, s21
	v_lshlrev_b32_sdwa v2, v24, v2 dst_sel:DWORD dst_unused:UNUSED_PAD src0_sel:DWORD src1_sel:WORD_0
	v_lshl_add_u32 v42, v42, 10, 0x2000
	v_lshlrev_b32_e32 v40, 23, v40
	v_and_or_b32 v2, 0x8000, v2, v42
	v_lshl_or_b32 v40, v2, 16, v40
.LBB279_251:                            ;   in Loop: Header=BB279_170 Depth=1
	s_or_b32 exec_lo, exec_lo, s18
.LBB279_252:                            ;   in Loop: Header=BB279_170 Depth=1
	s_or_b32 exec_lo, exec_lo, s17
.LBB279_253:                            ;   in Loop: Header=BB279_170 Depth=1
	s_or_b32 exec_lo, exec_lo, s13
	v_lshrrev_b32_e32 v2, 16, v8
	v_mov_b32_e32 v42, 0
	v_mov_b32_e32 v43, 0
	v_cmp_ne_u16_sdwa s0, v2, v3 src0_sel:BYTE_0 src1_sel:DWORD
	s_and_saveexec_b32 s13, s0
	s_cbranch_execz .LBB279_261
; %bb.254:                              ;   in Loop: Header=BB279_170 Depth=1
	v_cmp_ne_u16_sdwa s0, v2, v16 src0_sel:BYTE_0 src1_sel:DWORD
	v_mov_b32_e32 v43, 0x8000
	s_and_saveexec_b32 s17, s0
	s_cbranch_execz .LBB279_260
; %bb.255:                              ;   in Loop: Header=BB279_170 Depth=1
	v_bfe_u32 v45, v8, 16, 7
	v_mov_b32_e32 v43, 0x7c01
	s_mov_b32 s18, exec_lo
	v_cmpx_ne_u32_e32 0x7f, v45
	s_cbranch_execz .LBB279_259
; %bb.256:                              ;   in Loop: Header=BB279_170 Depth=1
	v_and_b32_e32 v43, 7, v2
	v_lshrrev_b32_e32 v44, 3, v45
	s_mov_b32 s21, exec_lo
	v_cmpx_gt_u32_e32 8, v45
; %bb.257:                              ;   in Loop: Header=BB279_170 Depth=1
	v_ffbh_u32_e32 v43, v43
	v_min_u32_e32 v45, 32, v43
	v_subrev_nc_u32_e32 v43, 28, v45
	v_lshlrev_b64 v[43:44], v43, v[2:3]
	v_sub_nc_u32_e32 v44, 29, v45
	v_and_b32_e32 v43, 7, v43
; %bb.258:                              ;   in Loop: Header=BB279_170 Depth=1
	s_or_b32 exec_lo, exec_lo, s21
	v_lshlrev_b32_e32 v2, 8, v2
	v_lshl_add_u32 v44, v44, 10, 0x2000
	v_lshlrev_b32_e32 v43, 7, v43
	v_and_b32_e32 v2, 0x8000, v2
	v_and_b32_e32 v44, 0xfc00, v44
	v_or3_b32 v43, v2, v44, v43
.LBB279_259:                            ;   in Loop: Header=BB279_170 Depth=1
	s_or_b32 exec_lo, exec_lo, s18
.LBB279_260:                            ;   in Loop: Header=BB279_170 Depth=1
	s_or_b32 exec_lo, exec_lo, s17
.LBB279_261:                            ;   in Loop: Header=BB279_170 Depth=1
	s_or_b32 exec_lo, exec_lo, s13
	s_mov_b32 s13, exec_lo
	v_cmpx_lt_u32_e32 0xffffff, v8
	s_cbranch_execz .LBB279_269
; %bb.262:                              ;   in Loop: Header=BB279_170 Depth=1
	v_lshrrev_b32_e32 v2, 24, v8
	v_bfrev_b32_e32 v42, 1
	s_mov_b32 s17, exec_lo
	v_cmpx_ne_u32_e32 0x80, v2
	s_cbranch_execz .LBB279_268
; %bb.263:                              ;   in Loop: Header=BB279_170 Depth=1
	v_and_b32_e32 v45, 0x7f, v2
	v_mov_b32_e32 v42, 0x7c010000
	s_mov_b32 s18, exec_lo
	v_cmpx_ne_u32_e32 0x7f, v45
	s_cbranch_execz .LBB279_267
; %bb.264:                              ;   in Loop: Header=BB279_170 Depth=1
	v_and_b32_e32 v42, 7, v2
	v_lshrrev_b32_e32 v44, 3, v45
	s_mov_b32 s21, exec_lo
	v_cmpx_gt_u32_e32 8, v45
; %bb.265:                              ;   in Loop: Header=BB279_170 Depth=1
	v_ffbh_u32_e32 v42, v42
	v_min_u32_e32 v42, 32, v42
	v_subrev_nc_u32_e32 v44, 28, v42
	v_lshlrev_b64 v[45:46], v44, v[2:3]
	v_sub_nc_u32_e32 v44, 29, v42
	v_and_b32_e32 v42, 7, v45
; %bb.266:                              ;   in Loop: Header=BB279_170 Depth=1
	s_or_b32 exec_lo, exec_lo, s21
	v_lshlrev_b32_e32 v2, 8, v2
	v_lshl_add_u32 v44, v44, 10, 0x2000
	v_lshlrev_b32_e32 v42, 23, v42
	v_and_or_b32 v2, 0x8000, v2, v44
	v_lshl_or_b32 v42, v2, 16, v42
.LBB279_267:                            ;   in Loop: Header=BB279_170 Depth=1
	s_or_b32 exec_lo, exec_lo, s18
.LBB279_268:                            ;   in Loop: Header=BB279_170 Depth=1
	s_or_b32 exec_lo, exec_lo, s17
.LBB279_269:                            ;   in Loop: Header=BB279_170 Depth=1
	s_or_b32 exec_lo, exec_lo, s13
	v_mov_b32_e32 v2, v9
	v_cmp_ne_u16_sdwa s0, v9, v3 src0_sel:BYTE_0 src1_sel:DWORD
	v_mov_b32_e32 v44, 0
	v_mov_b32_e32 v45, 0
	s_and_saveexec_b32 s13, s0
	s_cbranch_execz .LBB279_277
; %bb.270:                              ;   in Loop: Header=BB279_170 Depth=1
	v_cmp_ne_u16_sdwa s0, v9, v16 src0_sel:BYTE_0 src1_sel:DWORD
	v_mov_b32_e32 v45, 0x8000
	s_and_saveexec_b32 s17, s0
	s_cbranch_execz .LBB279_276
; %bb.271:                              ;   in Loop: Header=BB279_170 Depth=1
	v_and_b32_e32 v47, 0x7f, v9
	v_mov_b32_e32 v45, 0x7c01
	s_mov_b32 s18, exec_lo
	v_cmpx_ne_u32_e32 0x7f, v47
	s_cbranch_execz .LBB279_275
; %bb.272:                              ;   in Loop: Header=BB279_170 Depth=1
	v_and_b32_e32 v45, 7, v9
	v_lshrrev_b32_e32 v46, 3, v47
	s_mov_b32 s21, exec_lo
	v_cmpx_gt_u32_e32 8, v47
; %bb.273:                              ;   in Loop: Header=BB279_170 Depth=1
	v_ffbh_u32_e32 v45, v45
	v_min_u32_e32 v47, 32, v45
	v_subrev_nc_u32_e32 v45, 28, v47
	v_lshlrev_b64 v[45:46], v45, v[2:3]
	v_sub_nc_u32_e32 v46, 29, v47
	v_and_b32_e32 v45, 7, v45
; %bb.274:                              ;   in Loop: Header=BB279_170 Depth=1
	s_or_b32 exec_lo, exec_lo, s21
	v_lshlrev_b32_e32 v47, 8, v9
	v_lshl_add_u32 v46, v46, 10, 0x2000
	v_lshlrev_b32_e32 v45, 7, v45
	v_and_b32_e32 v47, 0x8000, v47
	v_and_b32_e32 v46, 0xfc00, v46
	v_or3_b32 v45, v47, v46, v45
.LBB279_275:                            ;   in Loop: Header=BB279_170 Depth=1
	s_or_b32 exec_lo, exec_lo, s18
.LBB279_276:                            ;   in Loop: Header=BB279_170 Depth=1
	s_or_b32 exec_lo, exec_lo, s17
.LBB279_277:                            ;   in Loop: Header=BB279_170 Depth=1
	s_or_b32 exec_lo, exec_lo, s13
	v_lshrrev_b16 v2, 8, v2
	v_mov_b32_e32 v46, 0
	s_mov_b32 s13, exec_lo
	v_cmpx_ne_u16_e32 0, v2
	s_cbranch_execz .LBB279_285
; %bb.278:                              ;   in Loop: Header=BB279_170 Depth=1
	v_bfrev_b32_e32 v46, 1
	s_mov_b32 s17, exec_lo
	v_cmpx_ne_u16_e32 0x80, v2
	s_cbranch_execz .LBB279_284
; %bb.279:                              ;   in Loop: Header=BB279_170 Depth=1
	v_and_b32_sdwa v48, v2, v22 dst_sel:DWORD dst_unused:UNUSED_PAD src0_sel:WORD_0 src1_sel:DWORD
	v_mov_b32_e32 v46, 0x7c010000
	s_mov_b32 s18, exec_lo
	v_cmpx_ne_u32_e32 0x7f, v48
	s_cbranch_execz .LBB279_283
; %bb.280:                              ;   in Loop: Header=BB279_170 Depth=1
	v_and_b32_sdwa v46, v2, v23 dst_sel:DWORD dst_unused:UNUSED_PAD src0_sel:WORD_0 src1_sel:DWORD
	v_lshrrev_b32_e32 v47, 3, v48
	s_mov_b32 s21, exec_lo
	v_cmpx_gt_u32_e32 8, v48
; %bb.281:                              ;   in Loop: Header=BB279_170 Depth=1
	v_ffbh_u32_e32 v46, v46
	v_min_u32_e32 v48, 32, v46
	v_subrev_nc_u32_e32 v46, 28, v48
	v_lshlrev_b64 v[46:47], v46, v[2:3]
	v_sub_nc_u32_e32 v47, 29, v48
	v_and_b32_e32 v46, 7, v46
; %bb.282:                              ;   in Loop: Header=BB279_170 Depth=1
	s_or_b32 exec_lo, exec_lo, s21
	v_lshlrev_b32_sdwa v2, v24, v2 dst_sel:DWORD dst_unused:UNUSED_PAD src0_sel:DWORD src1_sel:WORD_0
	v_lshl_add_u32 v47, v47, 10, 0x2000
	v_lshlrev_b32_e32 v46, 23, v46
	v_and_or_b32 v2, 0x8000, v2, v47
	v_lshl_or_b32 v46, v2, 16, v46
.LBB279_283:                            ;   in Loop: Header=BB279_170 Depth=1
	s_or_b32 exec_lo, exec_lo, s18
.LBB279_284:                            ;   in Loop: Header=BB279_170 Depth=1
	s_or_b32 exec_lo, exec_lo, s17
.LBB279_285:                            ;   in Loop: Header=BB279_170 Depth=1
	s_or_b32 exec_lo, exec_lo, s13
	v_lshrrev_b32_e32 v2, 16, v9
	v_cmp_ne_u16_sdwa s0, v2, v3 src0_sel:BYTE_0 src1_sel:DWORD
	s_and_saveexec_b32 s13, s0
	s_cbranch_execz .LBB279_293
; %bb.286:                              ;   in Loop: Header=BB279_170 Depth=1
	v_cmp_ne_u16_sdwa s0, v2, v16 src0_sel:BYTE_0 src1_sel:DWORD
	v_mov_b32_e32 v44, 0x8000
	s_and_saveexec_b32 s17, s0
	s_cbranch_execz .LBB279_292
; %bb.287:                              ;   in Loop: Header=BB279_170 Depth=1
	v_bfe_u32 v48, v9, 16, 7
	v_mov_b32_e32 v44, 0x7c01
	s_mov_b32 s18, exec_lo
	v_cmpx_ne_u32_e32 0x7f, v48
	s_cbranch_execz .LBB279_291
; %bb.288:                              ;   in Loop: Header=BB279_170 Depth=1
	v_and_b32_e32 v44, 7, v2
	v_lshrrev_b32_e32 v47, 3, v48
	s_mov_b32 s21, exec_lo
	v_cmpx_gt_u32_e32 8, v48
; %bb.289:                              ;   in Loop: Header=BB279_170 Depth=1
	v_ffbh_u32_e32 v44, v44
	v_min_u32_e32 v44, 32, v44
	v_subrev_nc_u32_e32 v47, 28, v44
	v_lshlrev_b64 v[48:49], v47, v[2:3]
	v_sub_nc_u32_e32 v47, 29, v44
	v_and_b32_e32 v44, 7, v48
; %bb.290:                              ;   in Loop: Header=BB279_170 Depth=1
	s_or_b32 exec_lo, exec_lo, s21
	v_lshlrev_b32_e32 v2, 8, v2
	v_lshl_add_u32 v47, v47, 10, 0x2000
	v_lshlrev_b32_e32 v44, 7, v44
	v_and_b32_e32 v2, 0x8000, v2
	v_and_b32_e32 v47, 0xfc00, v47
	v_or3_b32 v44, v2, v47, v44
.LBB279_291:                            ;   in Loop: Header=BB279_170 Depth=1
	s_or_b32 exec_lo, exec_lo, s18
.LBB279_292:                            ;   in Loop: Header=BB279_170 Depth=1
	s_or_b32 exec_lo, exec_lo, s17
.LBB279_293:                            ;   in Loop: Header=BB279_170 Depth=1
	s_or_b32 exec_lo, exec_lo, s13
	v_cmp_lt_u64_e64 s0, s[4:5], v[8:9]
	v_mov_b32_e32 v8, 0
	s_and_saveexec_b32 s13, s0
	s_cbranch_execz .LBB279_301
; %bb.294:                              ;   in Loop: Header=BB279_170 Depth=1
	v_lshrrev_b32_e32 v2, 24, v9
	v_bfrev_b32_e32 v8, 1
	s_mov_b32 s17, exec_lo
	v_cmpx_ne_u32_e32 0x80, v2
	s_cbranch_execz .LBB279_300
; %bb.295:                              ;   in Loop: Header=BB279_170 Depth=1
	v_and_b32_e32 v47, 0x7f, v2
	v_mov_b32_e32 v8, 0x7c010000
	s_mov_b32 s18, exec_lo
	v_cmpx_ne_u32_e32 0x7f, v47
	s_cbranch_execz .LBB279_299
; %bb.296:                              ;   in Loop: Header=BB279_170 Depth=1
	v_and_b32_e32 v8, 7, v2
	v_lshrrev_b32_e32 v9, 3, v47
	s_mov_b32 s21, exec_lo
	v_cmpx_gt_u32_e32 8, v47
; %bb.297:                              ;   in Loop: Header=BB279_170 Depth=1
	v_ffbh_u32_e32 v8, v8
	v_min_u32_e32 v47, 32, v8
	v_subrev_nc_u32_e32 v8, 28, v47
	v_lshlrev_b64 v[8:9], v8, v[2:3]
	v_sub_nc_u32_e32 v9, 29, v47
	v_and_b32_e32 v8, 7, v8
; %bb.298:                              ;   in Loop: Header=BB279_170 Depth=1
	s_or_b32 exec_lo, exec_lo, s21
	v_lshlrev_b32_e32 v2, 8, v2
	v_lshl_add_u32 v9, v9, 10, 0x2000
	v_lshlrev_b32_e32 v8, 23, v8
	v_and_or_b32 v2, 0x8000, v2, v9
	v_lshl_or_b32 v8, v2, 16, v8
.LBB279_299:                            ;   in Loop: Header=BB279_170 Depth=1
	s_or_b32 exec_lo, exec_lo, s18
.LBB279_300:                            ;   in Loop: Header=BB279_170 Depth=1
	s_or_b32 exec_lo, exec_lo, s17
.LBB279_301:                            ;   in Loop: Header=BB279_170 Depth=1
	s_or_b32 exec_lo, exec_lo, s13
	v_or_b32_e32 v2, v42, v43
	s_waitcnt vmcnt(0)
	v_fma_mixlo_f16 v9, v38, v42, 0 op_sel:[0,1,0] op_sel_hi:[0,1,0]
	v_or_b32_e32 v41, v40, v41
	v_fma_mixlo_f16 v40, v38, v40, 0 op_sel:[0,1,0] op_sel_hi:[0,1,0]
	v_or_b32_e32 v42, v46, v45
	v_fma_mixlo_f16 v43, v38, v2, 0 op_sel_hi:[0,1,0]
	v_or_b32_e32 v45, v8, v44
	v_lshlrev_b32_e32 v2, 16, v9
	v_lshlrev_b32_e32 v44, 16, v40
	v_fma_mixlo_f16 v9, v38, v41, 0 op_sel_hi:[0,1,0]
	v_and_b32_e32 v41, 0xffff, v43
	v_fma_mixlo_f16 v40, v38, v46, 0 op_sel:[0,1,0] op_sel_hi:[0,1,0]
	v_fma_mixlo_f16 v43, v38, v42, 0 op_sel_hi:[0,1,0]
	v_fma_mixlo_f16 v8, v38, v8, 0 op_sel:[0,1,0] op_sel_hi:[0,1,0]
	v_fma_mixlo_f16 v38, v38, v45, 0 op_sel_hi:[0,1,0]
	v_and_b32_e32 v47, 0xffff, v9
	v_lshlrev_b32_e32 v42, 16, v40
	v_and_b32_e32 v46, 0xffff, v43
	v_lshlrev_b32_e32 v8, 16, v8
	v_and_b32_e32 v43, 0xffff, v38
	v_or_b32_e32 v40, v2, v41
	v_or_b32_e32 v45, v44, v47
	;; [unrolled: 1-line block ×4, first 2 shown]
	s_and_saveexec_b32 s0, vcc_lo
	s_cbranch_execz .LBB279_168
; %bb.302:                              ;   in Loop: Header=BB279_170 Depth=1
	v_cmp_gt_i32_e32 vcc_lo, s31, v10
	v_cndmask_b32_e32 v9, 0, v47, vcc_lo
	v_cmp_gt_i32_e32 vcc_lo, s31, v32
	v_cndmask_b32_e32 v10, 0, v44, vcc_lo
	v_cmp_gt_i32_e32 vcc_lo, s31, v31
	v_or_b32_e32 v45, v10, v9
	v_cndmask_b32_e32 v31, 0, v41, vcc_lo
	v_cmp_gt_i32_e32 vcc_lo, s31, v30
	v_cndmask_b32_e32 v2, 0, v2, vcc_lo
	v_cmp_gt_i32_e32 vcc_lo, s31, v29
	v_or_b32_e32 v40, v2, v31
	;; [unrolled: 5-line block ×3, first 2 shown]
	v_cndmask_b32_e32 v27, 0, v43, vcc_lo
	v_cmp_gt_i32_e32 vcc_lo, s31, v11
	v_cndmask_b32_e32 v8, 0, v8, vcc_lo
	v_or_b32_e32 v9, v8, v27
	s_branch .LBB279_168
.LBB279_303:
	s_or_b32 exec_lo, exec_lo, s9
.LBB279_304:
	s_or_b32 exec_lo, exec_lo, s1
	ds_bpermute_b32 v1, v18, v20
	ds_bpermute_b32 v5, v18, v21
	v_lshrrev_b32_e32 v3, 1, v17
	v_and_b32_e32 v6, 0x3c1, v0
	s_mov_b32 s0, exec_lo
	s_waitcnt lgkmcnt(0)
	s_waitcnt_vscnt null, 0x0
	s_barrier
	v_lshl_add_u32 v4, v3, 2, 0x60
	buffer_gl0_inv
	v_add_f32_e32 v2, v20, v1
	v_add_f32_e32 v1, v21, v5
	v_cmpx_eq_u32_e32 64, v6
	s_cbranch_execz .LBB279_306
; %bb.305:
	v_lshl_add_u32 v5, v14, 7, v4
	v_add_nc_u32_e32 v6, 0xffffff00, v5
	v_add_nc_u32_e32 v5, 0xffffff40, v5
	ds_write_b32 v6, v2
	ds_write_b32 v5, v1
.LBB279_306:
	s_or_b32 exec_lo, exec_lo, s0
	v_and_b32_e32 v5, 0x3e0, v0
	v_lshlrev_b32_e32 v3, 2, v3
	s_mov_b32 s1, exec_lo
	v_cmp_eq_u32_e32 vcc_lo, 0, v13
	s_waitcnt lgkmcnt(0)
	v_lshlrev_b32_e32 v5, 2, v5
	s_barrier
	buffer_gl0_inv
	v_add3_u32 v3, 0x60, v5, v3
	v_cmpx_gt_u32_e32 64, v0
	s_cbranch_execz .LBB279_312
; %bb.307:
	s_and_saveexec_b32 s0, vcc_lo
	s_cbranch_execz .LBB279_309
; %bb.308:
	ds_read_b32 v5, v3
	s_waitcnt lgkmcnt(0)
	v_add_f32_e32 v2, v2, v5
.LBB279_309:
	s_or_b32 exec_lo, exec_lo, s0
	s_and_saveexec_b32 s0, vcc_lo
	s_cbranch_execz .LBB279_311
; %bb.310:
	ds_read_b32 v5, v3 offset:64
	s_waitcnt lgkmcnt(0)
	v_add_f32_e32 v1, v1, v5
.LBB279_311:
	s_or_b32 exec_lo, exec_lo, s0
.LBB279_312:
	s_or_b32 exec_lo, exec_lo, s1
	v_and_b32_e32 v5, 0x3e1, v0
	s_mov_b32 s1, exec_lo
	s_barrier
	buffer_gl0_inv
	v_cmpx_eq_u32_e32 32, v5
; %bb.313:
	ds_write2_b32 v4, v2, v1 offset1:16
; %bb.314:
	s_or_b32 exec_lo, exec_lo, s1
	s_mov_b32 s1, exec_lo
	s_waitcnt lgkmcnt(0)
	s_barrier
	buffer_gl0_inv
	v_cmpx_gt_u32_e32 32, v0
	s_cbranch_execz .LBB279_320
; %bb.315:
	s_and_saveexec_b32 s0, vcc_lo
	s_cbranch_execz .LBB279_317
; %bb.316:
	ds_read_b32 v0, v3
	s_waitcnt lgkmcnt(0)
	v_add_f32_e32 v2, v2, v0
.LBB279_317:
	s_or_b32 exec_lo, exec_lo, s0
	s_and_saveexec_b32 s0, vcc_lo
	s_cbranch_execz .LBB279_319
; %bb.318:
	ds_read_b32 v0, v3 offset:64
	s_waitcnt lgkmcnt(0)
	v_add_f32_e32 v1, v1, v0
.LBB279_319:
	s_or_b32 exec_lo, exec_lo, s0
.LBB279_320:
	s_or_b32 exec_lo, exec_lo, s1
	s_barrier
	buffer_gl0_inv
	s_mov_b32 s0, exec_lo
	v_cmpx_eq_u32_e32 0, v5
	s_cbranch_execz .LBB279_322
; %bb.321:
	s_lshl_b32 s0, s2, 5
	s_mul_i32 s2, s7, s10
	s_ashr_i32 s1, s0, 31
	v_lshlrev_b32_e32 v0, 1, v12
	s_lshl_b64 s[0:1], s[0:1], 1
	;;#ASMSTART
	v_cvt_f16_f32 v2, v2;

	;;#ASMEND
	s_add_u32 s4, s28, s0
	s_addc_u32 s5, s29, s1
	s_ashr_i32 s3, s2, 31
	s_lshl_b64 s[0:1], s[2:3], 1
	s_add_u32 s2, s4, s0
	s_addc_u32 s3, s5, s1
	s_ashr_i32 s17, s16, 31
	s_lshl_b64 s[0:1], s[16:17], 1
	s_add_u32 s0, s2, s0
	s_addc_u32 s1, s3, s1
	global_store_short v0, v2, s[0:1]
	;;#ASMSTART
	v_cvt_f16_f32 v1, v1;

	;;#ASMEND
	global_store_short v0, v1, s[0:1] offset:32
.LBB279_322:
	s_endpgm
	.section	.rodata,"a",@progbits
	.p2align	6, 0x0
	.amdhsa_kernel _ZN4vllm25paged_attention_v2_kernelIthLi32ELi16ELi128ELNS_18Fp8KVCacheDataTypeE1ELb1ELi512EEEvPfS2_PT_PKS3_PKT0_S9_ifPKiSB_iPKfiiiSD_SD_iiiii
		.amdhsa_group_segment_fixed_size 96
		.amdhsa_private_segment_fixed_size 0
		.amdhsa_kernarg_size 400
		.amdhsa_user_sgpr_count 6
		.amdhsa_user_sgpr_private_segment_buffer 1
		.amdhsa_user_sgpr_dispatch_ptr 0
		.amdhsa_user_sgpr_queue_ptr 0
		.amdhsa_user_sgpr_kernarg_segment_ptr 1
		.amdhsa_user_sgpr_dispatch_id 0
		.amdhsa_user_sgpr_flat_scratch_init 0
		.amdhsa_user_sgpr_private_segment_size 0
		.amdhsa_wavefront_size32 1
		.amdhsa_uses_dynamic_stack 0
		.amdhsa_system_sgpr_private_segment_wavefront_offset 0
		.amdhsa_system_sgpr_workgroup_id_x 1
		.amdhsa_system_sgpr_workgroup_id_y 1
		.amdhsa_system_sgpr_workgroup_id_z 1
		.amdhsa_system_sgpr_workgroup_info 0
		.amdhsa_system_vgpr_workitem_id 0
		.amdhsa_next_free_vgpr 58
		.amdhsa_next_free_sgpr 52
		.amdhsa_reserve_vcc 1
		.amdhsa_reserve_flat_scratch 0
		.amdhsa_float_round_mode_32 0
		.amdhsa_float_round_mode_16_64 0
		.amdhsa_float_denorm_mode_32 3
		.amdhsa_float_denorm_mode_16_64 3
		.amdhsa_dx10_clamp 1
		.amdhsa_ieee_mode 1
		.amdhsa_fp16_overflow 0
		.amdhsa_workgroup_processor_mode 1
		.amdhsa_memory_ordered 1
		.amdhsa_forward_progress 1
		.amdhsa_shared_vgpr_count 0
		.amdhsa_exception_fp_ieee_invalid_op 0
		.amdhsa_exception_fp_denorm_src 0
		.amdhsa_exception_fp_ieee_div_zero 0
		.amdhsa_exception_fp_ieee_overflow 0
		.amdhsa_exception_fp_ieee_underflow 0
		.amdhsa_exception_fp_ieee_inexact 0
		.amdhsa_exception_int_div_zero 0
	.end_amdhsa_kernel
	.section	.text._ZN4vllm25paged_attention_v2_kernelIthLi32ELi16ELi128ELNS_18Fp8KVCacheDataTypeE1ELb1ELi512EEEvPfS2_PT_PKS3_PKT0_S9_ifPKiSB_iPKfiiiSD_SD_iiiii,"axG",@progbits,_ZN4vllm25paged_attention_v2_kernelIthLi32ELi16ELi128ELNS_18Fp8KVCacheDataTypeE1ELb1ELi512EEEvPfS2_PT_PKS3_PKT0_S9_ifPKiSB_iPKfiiiSD_SD_iiiii,comdat
.Lfunc_end279:
	.size	_ZN4vllm25paged_attention_v2_kernelIthLi32ELi16ELi128ELNS_18Fp8KVCacheDataTypeE1ELb1ELi512EEEvPfS2_PT_PKS3_PKT0_S9_ifPKiSB_iPKfiiiSD_SD_iiiii, .Lfunc_end279-_ZN4vllm25paged_attention_v2_kernelIthLi32ELi16ELi128ELNS_18Fp8KVCacheDataTypeE1ELb1ELi512EEEvPfS2_PT_PKS3_PKT0_S9_ifPKiSB_iPKfiiiSD_SD_iiiii
                                        ; -- End function
	.set _ZN4vllm25paged_attention_v2_kernelIthLi32ELi16ELi128ELNS_18Fp8KVCacheDataTypeE1ELb1ELi512EEEvPfS2_PT_PKS3_PKT0_S9_ifPKiSB_iPKfiiiSD_SD_iiiii.num_vgpr, 58
	.set _ZN4vllm25paged_attention_v2_kernelIthLi32ELi16ELi128ELNS_18Fp8KVCacheDataTypeE1ELb1ELi512EEEvPfS2_PT_PKS3_PKT0_S9_ifPKiSB_iPKfiiiSD_SD_iiiii.num_agpr, 0
	.set _ZN4vllm25paged_attention_v2_kernelIthLi32ELi16ELi128ELNS_18Fp8KVCacheDataTypeE1ELb1ELi512EEEvPfS2_PT_PKS3_PKT0_S9_ifPKiSB_iPKfiiiSD_SD_iiiii.numbered_sgpr, 52
	.set _ZN4vllm25paged_attention_v2_kernelIthLi32ELi16ELi128ELNS_18Fp8KVCacheDataTypeE1ELb1ELi512EEEvPfS2_PT_PKS3_PKT0_S9_ifPKiSB_iPKfiiiSD_SD_iiiii.num_named_barrier, 0
	.set _ZN4vllm25paged_attention_v2_kernelIthLi32ELi16ELi128ELNS_18Fp8KVCacheDataTypeE1ELb1ELi512EEEvPfS2_PT_PKS3_PKT0_S9_ifPKiSB_iPKfiiiSD_SD_iiiii.private_seg_size, 0
	.set _ZN4vllm25paged_attention_v2_kernelIthLi32ELi16ELi128ELNS_18Fp8KVCacheDataTypeE1ELb1ELi512EEEvPfS2_PT_PKS3_PKT0_S9_ifPKiSB_iPKfiiiSD_SD_iiiii.uses_vcc, 1
	.set _ZN4vllm25paged_attention_v2_kernelIthLi32ELi16ELi128ELNS_18Fp8KVCacheDataTypeE1ELb1ELi512EEEvPfS2_PT_PKS3_PKT0_S9_ifPKiSB_iPKfiiiSD_SD_iiiii.uses_flat_scratch, 0
	.set _ZN4vllm25paged_attention_v2_kernelIthLi32ELi16ELi128ELNS_18Fp8KVCacheDataTypeE1ELb1ELi512EEEvPfS2_PT_PKS3_PKT0_S9_ifPKiSB_iPKfiiiSD_SD_iiiii.has_dyn_sized_stack, 0
	.set _ZN4vllm25paged_attention_v2_kernelIthLi32ELi16ELi128ELNS_18Fp8KVCacheDataTypeE1ELb1ELi512EEEvPfS2_PT_PKS3_PKT0_S9_ifPKiSB_iPKfiiiSD_SD_iiiii.has_recursion, 0
	.set _ZN4vllm25paged_attention_v2_kernelIthLi32ELi16ELi128ELNS_18Fp8KVCacheDataTypeE1ELb1ELi512EEEvPfS2_PT_PKS3_PKT0_S9_ifPKiSB_iPKfiiiSD_SD_iiiii.has_indirect_call, 0
	.section	.AMDGPU.csdata,"",@progbits
; Kernel info:
; codeLenInByte = 11800
; TotalNumSgprs: 54
; NumVgprs: 58
; ScratchSize: 0
; MemoryBound: 0
; FloatMode: 240
; IeeeMode: 1
; LDSByteSize: 96 bytes/workgroup (compile time only)
; SGPRBlocks: 0
; VGPRBlocks: 7
; NumSGPRsForWavesPerEU: 54
; NumVGPRsForWavesPerEU: 58
; Occupancy: 16
; WaveLimiterHint : 1
; COMPUTE_PGM_RSRC2:SCRATCH_EN: 0
; COMPUTE_PGM_RSRC2:USER_SGPR: 6
; COMPUTE_PGM_RSRC2:TRAP_HANDLER: 0
; COMPUTE_PGM_RSRC2:TGID_X_EN: 1
; COMPUTE_PGM_RSRC2:TGID_Y_EN: 1
; COMPUTE_PGM_RSRC2:TGID_Z_EN: 1
; COMPUTE_PGM_RSRC2:TIDIG_COMP_CNT: 0
	.section	.text._ZN4vllm25paged_attention_v2_kernelIthLi64ELi16ELi128ELNS_18Fp8KVCacheDataTypeE1ELb1ELi512EEEvPfS2_PT_PKS3_PKT0_S9_ifPKiSB_iPKfiiiSD_SD_iiiii,"axG",@progbits,_ZN4vllm25paged_attention_v2_kernelIthLi64ELi16ELi128ELNS_18Fp8KVCacheDataTypeE1ELb1ELi512EEEvPfS2_PT_PKS3_PKT0_S9_ifPKiSB_iPKfiiiSD_SD_iiiii,comdat
	.protected	_ZN4vllm25paged_attention_v2_kernelIthLi64ELi16ELi128ELNS_18Fp8KVCacheDataTypeE1ELb1ELi512EEEvPfS2_PT_PKS3_PKT0_S9_ifPKiSB_iPKfiiiSD_SD_iiiii ; -- Begin function _ZN4vllm25paged_attention_v2_kernelIthLi64ELi16ELi128ELNS_18Fp8KVCacheDataTypeE1ELb1ELi512EEEvPfS2_PT_PKS3_PKT0_S9_ifPKiSB_iPKfiiiSD_SD_iiiii
	.globl	_ZN4vllm25paged_attention_v2_kernelIthLi64ELi16ELi128ELNS_18Fp8KVCacheDataTypeE1ELb1ELi512EEEvPfS2_PT_PKS3_PKT0_S9_ifPKiSB_iPKfiiiSD_SD_iiiii
	.p2align	8
	.type	_ZN4vllm25paged_attention_v2_kernelIthLi64ELi16ELi128ELNS_18Fp8KVCacheDataTypeE1ELb1ELi512EEEvPfS2_PT_PKS3_PKT0_S9_ifPKiSB_iPKfiiiSD_SD_iiiii,@function
_ZN4vllm25paged_attention_v2_kernelIthLi64ELi16ELi128ELNS_18Fp8KVCacheDataTypeE1ELb1ELi512EEEvPfS2_PT_PKS3_PKT0_S9_ifPKiSB_iPKfiiiSD_SD_iiiii: ; @_ZN4vllm25paged_attention_v2_kernelIthLi64ELi16ELi128ELNS_18Fp8KVCacheDataTypeE1ELb1ELi512EEEvPfS2_PT_PKS3_PKT0_S9_ifPKiSB_iPKfiiiSD_SD_iiiii
; %bb.0:
	s_load_dwordx2 s[0:1], s[4:5], 0x40
	s_mov_b32 s30, s7
	s_ashr_i32 s31, s7, 31
	s_lshl_b64 s[2:3], s[30:31], 2
	s_waitcnt lgkmcnt(0)
	s_add_u32 s0, s0, s2
	s_addc_u32 s1, s1, s3
	s_lshl_b32 s33, s8, 9
	s_load_dword s31, s[0:1], 0x0
	s_waitcnt lgkmcnt(0)
	s_cmp_ge_i32 s33, s31
	s_cbranch_scc1 .LBB280_584
; %bb.1:
	s_clause 0x1
	s_load_dword s9, s[4:5], 0x90
	s_load_dwordx2 s[40:41], s[4:5], 0x30
	s_mov_b32 s43, 0
	s_waitcnt lgkmcnt(0)
	s_abs_i32 s3, s9
	s_abs_i32 s0, s40
	v_cvt_f32_u32_e32 v1, s0
	s_sub_i32 s2, 0, s0
	v_rcp_iflag_f32_e32 v1, v1
	v_mul_f32_e32 v1, 0x4f7ffffe, v1
	v_cvt_u32_f32_e32 v1, v1
	v_readfirstlane_b32 s1, v1
	s_mul_i32 s2, s2, s1
	s_mul_hi_u32 s2, s1, s2
	s_add_i32 s1, s1, s2
	s_xor_b32 s2, s9, s40
	s_mul_hi_u32 s1, s3, s1
	s_ashr_i32 s2, s2, 31
	s_mul_i32 s7, s1, s0
	s_sub_i32 s3, s3, s7
	s_add_i32 s7, s1, 1
	s_sub_i32 s10, s3, s0
	s_cmp_ge_u32 s3, s0
	s_cselect_b32 s1, s7, s1
	s_cselect_b32 s3, s10, s3
	s_add_i32 s7, s1, 1
	s_cmp_ge_u32 s3, s0
	s_cselect_b32 s0, s7, s1
	s_xor_b32 s0, s0, s2
	s_sub_i32 s10, s0, s2
	s_load_dwordx2 s[0:1], s[4:5], 0x50
	s_abs_i32 s2, s10
	v_cvt_f32_u32_e32 v1, s2
	s_sub_i32 s3, 0, s2
	v_rcp_iflag_f32_e32 v1, v1
	v_mul_f32_e32 v1, 0x4f7ffffe, v1
	v_cvt_u32_f32_e32 v1, v1
	v_readfirstlane_b32 s7, v1
	s_mul_i32 s3, s3, s7
	s_mul_hi_u32 s11, s7, s3
	s_abs_i32 s3, s6
	s_add_i32 s7, s7, s11
	s_waitcnt lgkmcnt(0)
	s_cmp_eq_u64 s[0:1], 0
	s_mul_hi_u32 s12, s3, s7
	s_cbranch_scc1 .LBB280_3
; %bb.2:
	s_ashr_i32 s7, s6, 31
	s_lshl_b64 s[14:15], s[6:7], 2
	s_add_u32 s0, s0, s14
	s_addc_u32 s1, s1, s15
	s_load_dword s43, s[0:1], 0x0
.LBB280_3:
	s_load_dwordx4 s[16:19], s[4:5], 0x58
	v_lshrrev_b32_e32 v12, 1, v0
	v_and_b32_e32 v13, 1, v0
	v_lshlrev_b32_e32 v16, 3, v0
	s_ashr_i32 s0, s6, 31
	s_ashr_i32 s1, s10, 31
	s_lshl_b32 s10, s6, 6
	s_mov_b32 s7, exec_lo
	v_cmpx_gt_u32_e32 16, v0
	s_cbranch_execz .LBB280_5
; %bb.4:
	s_load_dwordx2 s[14:15], s[4:5], 0x18
	s_waitcnt lgkmcnt(0)
	s_mul_i32 s20, s16, s30
	v_lshlrev_b32_e32 v3, 3, v12
	s_ashr_i32 s21, s20, 31
	s_lshl_b64 s[20:21], s[20:21], 1
	v_lshl_add_u32 v3, v13, 6, v3
	s_add_u32 s13, s14, s20
	s_addc_u32 s16, s15, s21
	s_ashr_i32 s11, s10, 31
	s_lshl_b64 s[14:15], s[10:11], 1
	s_add_u32 s14, s13, s14
	s_addc_u32 s15, s16, s15
	global_load_dwordx2 v[1:2], v16, s[14:15]
	s_waitcnt vmcnt(0)
	ds_write_b64 v3, v[1:2]
.LBB280_5:
	s_or_b32 exec_lo, exec_lo, s7
	s_load_dwordx4 s[20:23], s[4:5], 0x78
	s_mul_i32 s7, s12, s2
	s_xor_b32 s0, s0, s1
	s_sub_i32 s1, s3, s7
	s_add_i32 s3, s12, 1
	s_sub_i32 s7, s1, s2
	s_cmp_ge_u32 s1, s2
                                        ; implicit-def: $sgpr19
	s_cselect_b32 s3, s3, s12
	s_cselect_b32 s1, s7, s1
	s_add_i32 s7, s3, 1
	s_cmp_ge_u32 s1, s2
	s_mov_b32 s12, -1
	s_cselect_b32 s1, s7, s3
	s_load_dword s3, s[4:5], 0x88
	s_xor_b32 s1, s1, s0
	s_add_i32 s7, s31, -1
	s_sub_i32 s1, s1, s0
	s_abs_i32 s2, s7
	s_waitcnt lgkmcnt(0)
	s_abs_i32 s11, s23
	s_barrier
	v_cvt_f32_u32_e32 v1, s11
	s_sub_i32 s0, 0, s11
	buffer_gl0_inv
	v_rcp_iflag_f32_e32 v1, v1
	v_mul_f32_e32 v1, 0x4f7ffffe, v1
	v_cvt_u32_f32_e32 v1, v1
	v_readfirstlane_b32 s16, v1
	s_mul_i32 s0, s0, s16
	s_mul_hi_u32 s0, s16, s0
	s_add_i32 s16, s16, s0
	s_cmp_lt_i32 s3, 0
	s_mul_hi_u32 s0, s2, s16
	s_cbranch_scc0 .LBB280_7
; %bb.6:
	s_mul_i32 s12, s20, s40
	s_add_i32 s12, s1, s12
	s_mul_i32 s12, s12, s3
	s_sub_i32 s19, 1, s12
	s_mov_b32 s12, 0
.LBB280_7:
	s_load_dwordx2 s[34:35], s[4:5], 0x38
	s_ashr_i32 s36, s7, 31
	s_andn2_b32 vcc_lo, exec_lo, s12
	s_ashr_i32 s23, s23, 31
	s_cbranch_vccnz .LBB280_9
; %bb.8:
	s_mul_i32 s7, s9, s20
	s_add_i32 s7, s7, s6
	s_mul_i32 s3, s7, s3
	s_add_i32 s19, s3, 1
.LBB280_9:
	s_clause 0x5
	s_load_dword s3, s[4:5], 0x48
	s_load_dwordx2 s[38:39], s[4:5], 0x28
	s_load_dwordx4 s[24:27], s[4:5], 0x0
	s_load_dwordx2 s[28:29], s[4:5], 0x10
	s_load_dword s7, s[4:5], 0x98
	s_load_dwordx4 s[12:15], s[4:5], 0x68
	s_mul_i32 s20, s0, s11
	s_xor_b32 s42, s36, s23
	s_sub_i32 s2, s2, s20
	s_add_i32 s40, s0, 1
	v_lshrrev_b32_e32 v14, 5, v0
	v_mov_b32_e32 v17, 0xff7fffff
	v_mbcnt_lo_u32_b32 v18, -1, 0
	s_mul_i32 s18, s1, s18
	v_lshl_add_u32 v15, v14, 4, s33
	s_waitcnt lgkmcnt(0)
	s_mul_i32 s36, s3, s30
	s_sub_i32 s3, s2, s11
	s_ashr_i32 s37, s36, 31
	s_cmp_ge_u32 s2, s11
	s_cselect_b32 s0, s40, s0
	s_cselect_b32 s2, s3, s2
	s_add_i32 s3, s0, 1
	s_cmp_ge_u32 s2, s11
	s_cselect_b32 s0, s3, s0
	s_add_i32 s2, s31, 15
	s_lshl_b32 s44, s8, 5
	s_ashr_i32 s3, s2, 31
	v_or_b32_e32 v1, s44, v14
	s_lshr_b32 s3, s3, 28
	s_add_i32 s2, s2, s3
	s_add_i32 s3, s44, 32
	s_ashr_i32 s40, s2, 4
	s_xor_b32 s2, s0, s42
	s_min_i32 s20, s3, s40
	v_ashrrev_i32_e32 v2, 31, v1
	v_cmp_gt_i32_e64 s0, s20, v1
	s_sub_i32 s42, s2, s42
	s_and_saveexec_b32 s45, s0
	s_cbranch_execz .LBB280_277
; %bb.10:
	s_load_dwordx2 s[2:3], s[4:5], 0x20
	s_sub_i32 s4, s42, s21
	s_ashr_i32 s1, s18, 31
	v_bfe_u32 v19, v0, 1, 4
	v_lshlrev_b64 v[5:6], 2, v[1:2]
	v_lshlrev_b32_e32 v7, 2, v13
	v_mov_b32_e32 v4, 0
	v_lshlrev_b32_e32 v20, 6, v13
	v_lshlrev_b32_e32 v8, 2, v19
	v_subrev_nc_u32_e32 v9, s31, v19
	v_lshlrev_b32_e32 v10, 4, v19
	v_lshl_add_u32 v21, v14, 4, s33
	v_mov_b32_e32 v22, 0xff7fffff
	v_lshl_or_b32 v8, v14, 6, v8
	v_add_nc_u32_e32 v27, 1, v9
	v_mov_b32_e32 v23, 0x80
	v_mov_b32_e32 v24, 0x7f
	;; [unrolled: 1-line block ×3, first 2 shown]
	v_add_nc_u32_e32 v28, 0xa0, v8
	v_mov_b32_e32 v26, 8
	s_waitcnt lgkmcnt(0)
	s_add_u32 s46, s2, s18
	s_addc_u32 s47, s3, s1
	s_abs_i32 s5, s22
	v_add_co_u32 v9, s46, s46, v10
	v_cvt_f32_u32_e32 v3, s5
	s_sub_i32 s2, 0, s5
	v_add_co_ci_u32_e64 v10, null, s47, 0, s46
	v_cmp_neq_f32_e64 s1, s43, 0
	v_rcp_iflag_f32_e32 v3, v3
	v_mov_b32_e32 v17, 0xff7fffff
	v_mov_b32_e32 v30, v1
	s_mov_b32 s46, 0
	s_mov_b32 s47, s17
	v_cmp_eq_u32_e32 vcc_lo, 0, v13
	v_mul_f32_e32 v3, 0x4f7ffffe, v3
	v_cvt_u32_f32_e32 v3, v3
	v_mul_lo_u32 v8, s2, v3
	s_lshl_b64 s[2:3], s[36:37], 2
	s_add_u32 s2, s34, s2
	s_addc_u32 s3, s35, s3
	v_add_co_u32 v5, s2, s2, v5
	v_add_co_ci_u32_e64 v6, null, s3, v6, s2
	v_mul_hi_u32 v11, v3, v8
	v_add_co_u32 v7, s2, v9, v7
	v_add_co_ci_u32_e64 v8, null, 0, v10, s2
	v_add_nc_u32_e32 v29, v3, v11
	s_branch .LBB280_13
.LBB280_11:                             ;   in Loop: Header=BB280_13 Depth=1
	s_or_b32 exec_lo, exec_lo, s48
.LBB280_12:                             ;   in Loop: Header=BB280_13 Depth=1
	s_or_b32 exec_lo, exec_lo, s3
	v_add_nc_u32_e32 v30, 4, v30
	v_add_co_u32 v5, s3, v5, 16
	v_add_co_ci_u32_e64 v6, null, 0, v6, s3
	v_cmp_le_i32_e64 s2, s20, v30
	v_add_nc_u32_e32 v21, 64, v21
	v_add_nc_u32_e32 v28, 0x100, v28
	s_or_b32 s46, s2, s46
	s_andn2_b32 exec_lo, exec_lo, s46
	s_cbranch_execz .LBB280_276
.LBB280_13:                             ; =>This Inner Loop Header: Depth=1
	v_sub_nc_u32_e32 v3, 0, v21
	v_max_i32_e32 v3, v21, v3
	s_waitcnt lgkmcnt(0)
	v_mul_hi_u32 v9, v3, s16
	v_mul_lo_u32 v10, v9, s11
	v_sub_nc_u32_e32 v3, v3, v10
	v_add_nc_u32_e32 v10, 1, v9
	v_subrev_nc_u32_e32 v11, s11, v3
	v_cmp_le_u32_e64 s2, s11, v3
	v_cndmask_b32_e64 v9, v9, v10, s2
	v_cndmask_b32_e64 v3, v3, v11, s2
	v_ashrrev_i32_e32 v10, 31, v21
	v_add_nc_u32_e32 v11, 1, v9
	v_cmp_le_u32_e64 s2, s11, v3
	v_xor_b32_e32 v10, s23, v10
	v_cndmask_b32_e64 v3, v9, v11, s2
	v_xor_b32_e32 v3, v3, v10
	v_sub_nc_u32_e32 v3, v3, v10
	v_add_nc_u32_e32 v9, s19, v3
	v_cmp_ge_i32_e64 s3, s4, v3
	v_sub_nc_u32_e32 v10, 0, v9
	v_max_i32_e32 v10, v9, v10
	v_ashrrev_i32_e32 v9, 31, v9
	v_mul_hi_u32 v11, v10, v29
	v_mul_lo_u32 v11, v11, s5
	v_sub_nc_u32_e32 v10, v10, v11
	v_subrev_nc_u32_e32 v11, s5, v10
	v_cmp_le_u32_e64 s2, s5, v10
	v_cndmask_b32_e64 v10, v10, v11, s2
	v_subrev_nc_u32_e32 v11, s5, v10
	v_cmp_le_u32_e64 s2, s5, v10
	v_cndmask_b32_e64 v10, v10, v11, s2
	v_xor_b32_e32 v10, v10, v9
	v_sub_nc_u32_e32 v9, v10, v9
	v_cmp_ne_u32_e64 s2, 0, v9
	s_and_b32 s2, s2, s3
	s_and_saveexec_b32 s3, s2
	s_xor_b32 s2, exec_lo, s3
	s_cbranch_execz .LBB280_17
; %bb.14:                               ;   in Loop: Header=BB280_13 Depth=1
	s_and_saveexec_b32 s3, vcc_lo
; %bb.15:                               ;   in Loop: Header=BB280_13 Depth=1
	ds_write_b32 v28, v22
; %bb.16:                               ;   in Loop: Header=BB280_13 Depth=1
	s_or_b32 exec_lo, exec_lo, s3
.LBB280_17:                             ;   in Loop: Header=BB280_13 Depth=1
	s_andn2_saveexec_b32 s3, s2
	s_cbranch_execz .LBB280_12
; %bb.18:                               ;   in Loop: Header=BB280_13 Depth=1
	global_load_dword v3, v[5:6], off
	v_mov_b32_e32 v32, 0
	v_mov_b32_e32 v33, 0
	global_load_dword v31, v32, s[12:13]
	s_waitcnt vmcnt(1)
	v_mad_i64_i32 v[9:10], null, v3, s47, v[7:8]
	global_load_dword v11, v[9:10], off
	s_waitcnt vmcnt(0)
	v_cmp_ne_u16_sdwa s2, v11, v4 src0_sel:BYTE_0 src1_sel:DWORD
	s_and_saveexec_b32 s48, s2
	s_cbranch_execz .LBB280_26
; %bb.19:                               ;   in Loop: Header=BB280_13 Depth=1
	v_cmp_ne_u16_sdwa s2, v11, v23 src0_sel:BYTE_0 src1_sel:DWORD
	v_mov_b32_e32 v33, 0x8000
	s_and_saveexec_b32 s49, s2
	s_cbranch_execz .LBB280_25
; %bb.20:                               ;   in Loop: Header=BB280_13 Depth=1
	v_and_b32_e32 v34, 0x7f, v11
	v_mov_b32_e32 v33, 0x7c01
	s_mov_b32 s50, exec_lo
	v_cmpx_ne_u32_e32 0x7f, v34
	s_cbranch_execz .LBB280_24
; %bb.21:                               ;   in Loop: Header=BB280_13 Depth=1
	v_and_b32_e32 v3, 7, v11
	v_lshrrev_b32_e32 v33, 3, v34
	s_mov_b32 s51, exec_lo
	v_cmpx_gt_u32_e32 8, v34
; %bb.22:                               ;   in Loop: Header=BB280_13 Depth=1
	v_ffbh_u32_e32 v3, v3
	v_min_u32_e32 v3, 32, v3
	v_subrev_nc_u32_e32 v33, 28, v3
	v_lshlrev_b64 v[34:35], v33, v[11:12]
	v_sub_nc_u32_e32 v33, 29, v3
	v_and_b32_e32 v3, 7, v34
; %bb.23:                               ;   in Loop: Header=BB280_13 Depth=1
	s_or_b32 exec_lo, exec_lo, s51
	v_lshlrev_b32_e32 v34, 8, v11
	v_lshl_add_u32 v33, v33, 10, 0x2000
	v_lshlrev_b32_e32 v3, 7, v3
	v_and_b32_e32 v34, 0x8000, v34
	v_and_b32_e32 v33, 0xfc00, v33
	v_or3_b32 v33, v34, v33, v3
.LBB280_24:                             ;   in Loop: Header=BB280_13 Depth=1
	s_or_b32 exec_lo, exec_lo, s50
.LBB280_25:                             ;   in Loop: Header=BB280_13 Depth=1
	s_or_b32 exec_lo, exec_lo, s49
.LBB280_26:                             ;   in Loop: Header=BB280_13 Depth=1
	s_or_b32 exec_lo, exec_lo, s48
	v_lshrrev_b16 v3, 8, v11
	s_mov_b32 s48, exec_lo
	v_cmpx_ne_u16_e32 0, v3
	s_cbranch_execz .LBB280_34
; %bb.27:                               ;   in Loop: Header=BB280_13 Depth=1
	v_bfrev_b32_e32 v32, 1
	s_mov_b32 s49, exec_lo
	v_cmpx_ne_u16_e32 0x80, v3
	s_cbranch_execz .LBB280_33
; %bb.28:                               ;   in Loop: Header=BB280_13 Depth=1
	v_and_b32_sdwa v35, v3, v24 dst_sel:DWORD dst_unused:UNUSED_PAD src0_sel:WORD_0 src1_sel:DWORD
	v_mov_b32_e32 v32, 0x7c010000
	s_mov_b32 s50, exec_lo
	v_cmpx_ne_u32_e32 0x7f, v35
	s_cbranch_execz .LBB280_32
; %bb.29:                               ;   in Loop: Header=BB280_13 Depth=1
	v_and_b32_sdwa v32, v3, v25 dst_sel:DWORD dst_unused:UNUSED_PAD src0_sel:WORD_0 src1_sel:DWORD
	v_lshrrev_b32_e32 v34, 3, v35
	s_mov_b32 s51, exec_lo
	v_cmpx_gt_u32_e32 8, v35
; %bb.30:                               ;   in Loop: Header=BB280_13 Depth=1
	v_ffbh_u32_e32 v32, v32
	v_min_u32_e32 v32, 32, v32
	v_subrev_nc_u32_e32 v34, 28, v32
	v_lshlrev_b64 v[35:36], v34, v[3:4]
	v_sub_nc_u32_e32 v34, 29, v32
	v_and_b32_e32 v32, 7, v35
; %bb.31:                               ;   in Loop: Header=BB280_13 Depth=1
	s_or_b32 exec_lo, exec_lo, s51
	v_lshlrev_b32_sdwa v3, v26, v3 dst_sel:DWORD dst_unused:UNUSED_PAD src0_sel:DWORD src1_sel:WORD_0
	v_lshl_add_u32 v34, v34, 10, 0x2000
	v_lshlrev_b32_e32 v32, 23, v32
	v_and_or_b32 v3, 0x8000, v3, v34
	v_lshl_or_b32 v32, v3, 16, v32
.LBB280_32:                             ;   in Loop: Header=BB280_13 Depth=1
	s_or_b32 exec_lo, exec_lo, s50
.LBB280_33:                             ;   in Loop: Header=BB280_13 Depth=1
	s_or_b32 exec_lo, exec_lo, s49
.LBB280_34:                             ;   in Loop: Header=BB280_13 Depth=1
	s_or_b32 exec_lo, exec_lo, s48
	v_lshrrev_b32_e32 v3, 16, v11
	v_mov_b32_e32 v34, 0
	v_mov_b32_e32 v35, 0
	v_cmp_ne_u16_sdwa s2, v3, v4 src0_sel:BYTE_0 src1_sel:DWORD
	s_and_saveexec_b32 s48, s2
	s_cbranch_execz .LBB280_42
; %bb.35:                               ;   in Loop: Header=BB280_13 Depth=1
	v_cmp_ne_u16_sdwa s2, v3, v23 src0_sel:BYTE_0 src1_sel:DWORD
	v_mov_b32_e32 v35, 0x8000
	s_and_saveexec_b32 s49, s2
	s_cbranch_execz .LBB280_41
; %bb.36:                               ;   in Loop: Header=BB280_13 Depth=1
	v_bfe_u32 v37, v11, 16, 7
	v_mov_b32_e32 v35, 0x7c01
	s_mov_b32 s50, exec_lo
	v_cmpx_ne_u32_e32 0x7f, v37
	s_cbranch_execz .LBB280_40
; %bb.37:                               ;   in Loop: Header=BB280_13 Depth=1
	v_and_b32_e32 v35, 7, v3
	v_lshrrev_b32_e32 v36, 3, v37
	s_mov_b32 s51, exec_lo
	v_cmpx_gt_u32_e32 8, v37
; %bb.38:                               ;   in Loop: Header=BB280_13 Depth=1
	v_ffbh_u32_e32 v35, v35
	v_min_u32_e32 v37, 32, v35
	v_subrev_nc_u32_e32 v35, 28, v37
	v_lshlrev_b64 v[35:36], v35, v[3:4]
	v_sub_nc_u32_e32 v36, 29, v37
	v_and_b32_e32 v35, 7, v35
; %bb.39:                               ;   in Loop: Header=BB280_13 Depth=1
	s_or_b32 exec_lo, exec_lo, s51
	v_lshlrev_b32_e32 v3, 8, v3
	v_lshl_add_u32 v36, v36, 10, 0x2000
	v_lshlrev_b32_e32 v35, 7, v35
	v_and_b32_e32 v3, 0x8000, v3
	v_and_b32_e32 v36, 0xfc00, v36
	v_or3_b32 v35, v3, v36, v35
.LBB280_40:                             ;   in Loop: Header=BB280_13 Depth=1
	s_or_b32 exec_lo, exec_lo, s50
.LBB280_41:                             ;   in Loop: Header=BB280_13 Depth=1
	s_or_b32 exec_lo, exec_lo, s49
.LBB280_42:                             ;   in Loop: Header=BB280_13 Depth=1
	s_or_b32 exec_lo, exec_lo, s48
	s_mov_b32 s48, exec_lo
	v_cmpx_lt_u32_e32 0xffffff, v11
	s_cbranch_execz .LBB280_50
; %bb.43:                               ;   in Loop: Header=BB280_13 Depth=1
	v_lshrrev_b32_e32 v3, 24, v11
	v_bfrev_b32_e32 v34, 1
	s_mov_b32 s49, exec_lo
	v_cmpx_ne_u32_e32 0x80, v3
	s_cbranch_execz .LBB280_49
; %bb.44:                               ;   in Loop: Header=BB280_13 Depth=1
	v_and_b32_e32 v36, 0x7f, v3
	v_mov_b32_e32 v34, 0x7c010000
	s_mov_b32 s50, exec_lo
	v_cmpx_ne_u32_e32 0x7f, v36
	s_cbranch_execz .LBB280_48
; %bb.45:                               ;   in Loop: Header=BB280_13 Depth=1
	v_and_b32_e32 v11, 7, v3
	v_lshrrev_b32_e32 v34, 3, v36
	s_mov_b32 s51, exec_lo
	v_cmpx_gt_u32_e32 8, v36
; %bb.46:                               ;   in Loop: Header=BB280_13 Depth=1
	v_ffbh_u32_e32 v11, v11
	v_min_u32_e32 v11, 32, v11
	v_subrev_nc_u32_e32 v34, 28, v11
	v_lshlrev_b64 v[36:37], v34, v[3:4]
	v_sub_nc_u32_e32 v34, 29, v11
	v_and_b32_e32 v11, 7, v36
; %bb.47:                               ;   in Loop: Header=BB280_13 Depth=1
	s_or_b32 exec_lo, exec_lo, s51
	v_lshlrev_b32_e32 v3, 8, v3
	v_lshl_add_u32 v34, v34, 10, 0x2000
	v_lshlrev_b32_e32 v11, 23, v11
	v_and_or_b32 v3, 0x8000, v3, v34
	v_lshl_or_b32 v34, v3, 16, v11
.LBB280_48:                             ;   in Loop: Header=BB280_13 Depth=1
	s_or_b32 exec_lo, exec_lo, s50
.LBB280_49:                             ;   in Loop: Header=BB280_13 Depth=1
	s_or_b32 exec_lo, exec_lo, s49
.LBB280_50:                             ;   in Loop: Header=BB280_13 Depth=1
	s_or_b32 exec_lo, exec_lo, s48
	global_load_dword v11, v[9:10], off offset:8
	v_mov_b32_e32 v36, 0
	v_mov_b32_e32 v37, 0
	s_waitcnt vmcnt(0)
	v_cmp_ne_u16_sdwa s2, v11, v4 src0_sel:BYTE_0 src1_sel:DWORD
	s_and_saveexec_b32 s48, s2
	s_cbranch_execz .LBB280_58
; %bb.51:                               ;   in Loop: Header=BB280_13 Depth=1
	v_cmp_ne_u16_sdwa s2, v11, v23 src0_sel:BYTE_0 src1_sel:DWORD
	v_mov_b32_e32 v37, 0x8000
	s_and_saveexec_b32 s49, s2
	s_cbranch_execz .LBB280_57
; %bb.52:                               ;   in Loop: Header=BB280_13 Depth=1
	v_and_b32_e32 v38, 0x7f, v11
	v_mov_b32_e32 v37, 0x7c01
	s_mov_b32 s50, exec_lo
	v_cmpx_ne_u32_e32 0x7f, v38
	s_cbranch_execz .LBB280_56
; %bb.53:                               ;   in Loop: Header=BB280_13 Depth=1
	v_and_b32_e32 v3, 7, v11
	v_lshrrev_b32_e32 v37, 3, v38
	s_mov_b32 s51, exec_lo
	v_cmpx_gt_u32_e32 8, v38
; %bb.54:                               ;   in Loop: Header=BB280_13 Depth=1
	v_ffbh_u32_e32 v3, v3
	v_min_u32_e32 v3, 32, v3
	v_subrev_nc_u32_e32 v37, 28, v3
	v_lshlrev_b64 v[38:39], v37, v[11:12]
	v_sub_nc_u32_e32 v37, 29, v3
	v_and_b32_e32 v3, 7, v38
; %bb.55:                               ;   in Loop: Header=BB280_13 Depth=1
	s_or_b32 exec_lo, exec_lo, s51
	v_lshlrev_b32_e32 v38, 8, v11
	v_lshl_add_u32 v37, v37, 10, 0x2000
	v_lshlrev_b32_e32 v3, 7, v3
	v_and_b32_e32 v38, 0x8000, v38
	v_and_b32_e32 v37, 0xfc00, v37
	v_or3_b32 v37, v38, v37, v3
.LBB280_56:                             ;   in Loop: Header=BB280_13 Depth=1
	s_or_b32 exec_lo, exec_lo, s50
.LBB280_57:                             ;   in Loop: Header=BB280_13 Depth=1
	s_or_b32 exec_lo, exec_lo, s49
.LBB280_58:                             ;   in Loop: Header=BB280_13 Depth=1
	s_or_b32 exec_lo, exec_lo, s48
	v_lshrrev_b16 v3, 8, v11
	s_mov_b32 s48, exec_lo
	v_cmpx_ne_u16_e32 0, v3
	s_cbranch_execz .LBB280_66
; %bb.59:                               ;   in Loop: Header=BB280_13 Depth=1
	v_bfrev_b32_e32 v36, 1
	s_mov_b32 s49, exec_lo
	v_cmpx_ne_u16_e32 0x80, v3
	s_cbranch_execz .LBB280_65
; %bb.60:                               ;   in Loop: Header=BB280_13 Depth=1
	v_and_b32_sdwa v39, v3, v24 dst_sel:DWORD dst_unused:UNUSED_PAD src0_sel:WORD_0 src1_sel:DWORD
	v_mov_b32_e32 v36, 0x7c010000
	s_mov_b32 s50, exec_lo
	v_cmpx_ne_u32_e32 0x7f, v39
	s_cbranch_execz .LBB280_64
; %bb.61:                               ;   in Loop: Header=BB280_13 Depth=1
	v_and_b32_sdwa v36, v3, v25 dst_sel:DWORD dst_unused:UNUSED_PAD src0_sel:WORD_0 src1_sel:DWORD
	v_lshrrev_b32_e32 v38, 3, v39
	s_mov_b32 s51, exec_lo
	v_cmpx_gt_u32_e32 8, v39
; %bb.62:                               ;   in Loop: Header=BB280_13 Depth=1
	v_ffbh_u32_e32 v36, v36
	v_min_u32_e32 v36, 32, v36
	v_subrev_nc_u32_e32 v38, 28, v36
	v_lshlrev_b64 v[39:40], v38, v[3:4]
	v_sub_nc_u32_e32 v38, 29, v36
	v_and_b32_e32 v36, 7, v39
; %bb.63:                               ;   in Loop: Header=BB280_13 Depth=1
	s_or_b32 exec_lo, exec_lo, s51
	v_lshlrev_b32_sdwa v3, v26, v3 dst_sel:DWORD dst_unused:UNUSED_PAD src0_sel:DWORD src1_sel:WORD_0
	v_lshl_add_u32 v38, v38, 10, 0x2000
	v_lshlrev_b32_e32 v36, 23, v36
	v_and_or_b32 v3, 0x8000, v3, v38
	v_lshl_or_b32 v36, v3, 16, v36
.LBB280_64:                             ;   in Loop: Header=BB280_13 Depth=1
	s_or_b32 exec_lo, exec_lo, s50
.LBB280_65:                             ;   in Loop: Header=BB280_13 Depth=1
	s_or_b32 exec_lo, exec_lo, s49
.LBB280_66:                             ;   in Loop: Header=BB280_13 Depth=1
	s_or_b32 exec_lo, exec_lo, s48
	v_lshrrev_b32_e32 v3, 16, v11
	v_mov_b32_e32 v38, 0
	v_mov_b32_e32 v39, 0
	v_cmp_ne_u16_sdwa s2, v3, v4 src0_sel:BYTE_0 src1_sel:DWORD
	s_and_saveexec_b32 s48, s2
	s_cbranch_execz .LBB280_74
; %bb.67:                               ;   in Loop: Header=BB280_13 Depth=1
	v_cmp_ne_u16_sdwa s2, v3, v23 src0_sel:BYTE_0 src1_sel:DWORD
	v_mov_b32_e32 v39, 0x8000
	s_and_saveexec_b32 s49, s2
	s_cbranch_execz .LBB280_73
; %bb.68:                               ;   in Loop: Header=BB280_13 Depth=1
	v_bfe_u32 v41, v11, 16, 7
	v_mov_b32_e32 v39, 0x7c01
	s_mov_b32 s50, exec_lo
	v_cmpx_ne_u32_e32 0x7f, v41
	s_cbranch_execz .LBB280_72
; %bb.69:                               ;   in Loop: Header=BB280_13 Depth=1
	v_and_b32_e32 v39, 7, v3
	v_lshrrev_b32_e32 v40, 3, v41
	s_mov_b32 s51, exec_lo
	v_cmpx_gt_u32_e32 8, v41
; %bb.70:                               ;   in Loop: Header=BB280_13 Depth=1
	v_ffbh_u32_e32 v39, v39
	v_min_u32_e32 v41, 32, v39
	v_subrev_nc_u32_e32 v39, 28, v41
	v_lshlrev_b64 v[39:40], v39, v[3:4]
	v_sub_nc_u32_e32 v40, 29, v41
	v_and_b32_e32 v39, 7, v39
; %bb.71:                               ;   in Loop: Header=BB280_13 Depth=1
	s_or_b32 exec_lo, exec_lo, s51
	v_lshlrev_b32_e32 v3, 8, v3
	v_lshl_add_u32 v40, v40, 10, 0x2000
	v_lshlrev_b32_e32 v39, 7, v39
	v_and_b32_e32 v3, 0x8000, v3
	v_and_b32_e32 v40, 0xfc00, v40
	v_or3_b32 v39, v3, v40, v39
.LBB280_72:                             ;   in Loop: Header=BB280_13 Depth=1
	s_or_b32 exec_lo, exec_lo, s50
.LBB280_73:                             ;   in Loop: Header=BB280_13 Depth=1
	s_or_b32 exec_lo, exec_lo, s49
.LBB280_74:                             ;   in Loop: Header=BB280_13 Depth=1
	s_or_b32 exec_lo, exec_lo, s48
	s_mov_b32 s48, exec_lo
	v_cmpx_lt_u32_e32 0xffffff, v11
	s_cbranch_execz .LBB280_82
; %bb.75:                               ;   in Loop: Header=BB280_13 Depth=1
	v_lshrrev_b32_e32 v3, 24, v11
	v_bfrev_b32_e32 v38, 1
	s_mov_b32 s49, exec_lo
	v_cmpx_ne_u32_e32 0x80, v3
	s_cbranch_execz .LBB280_81
; %bb.76:                               ;   in Loop: Header=BB280_13 Depth=1
	v_and_b32_e32 v40, 0x7f, v3
	v_mov_b32_e32 v38, 0x7c010000
	s_mov_b32 s50, exec_lo
	v_cmpx_ne_u32_e32 0x7f, v40
	s_cbranch_execz .LBB280_80
; %bb.77:                               ;   in Loop: Header=BB280_13 Depth=1
	v_and_b32_e32 v11, 7, v3
	v_lshrrev_b32_e32 v38, 3, v40
	s_mov_b32 s51, exec_lo
	v_cmpx_gt_u32_e32 8, v40
; %bb.78:                               ;   in Loop: Header=BB280_13 Depth=1
	v_ffbh_u32_e32 v11, v11
	v_min_u32_e32 v11, 32, v11
	v_subrev_nc_u32_e32 v38, 28, v11
	v_lshlrev_b64 v[40:41], v38, v[3:4]
	v_sub_nc_u32_e32 v38, 29, v11
	v_and_b32_e32 v11, 7, v40
; %bb.79:                               ;   in Loop: Header=BB280_13 Depth=1
	s_or_b32 exec_lo, exec_lo, s51
	v_lshlrev_b32_e32 v3, 8, v3
	v_lshl_add_u32 v38, v38, 10, 0x2000
	v_lshlrev_b32_e32 v11, 23, v11
	v_and_or_b32 v3, 0x8000, v3, v38
	v_lshl_or_b32 v38, v3, 16, v11
.LBB280_80:                             ;   in Loop: Header=BB280_13 Depth=1
	s_or_b32 exec_lo, exec_lo, s50
.LBB280_81:                             ;   in Loop: Header=BB280_13 Depth=1
	s_or_b32 exec_lo, exec_lo, s49
.LBB280_82:                             ;   in Loop: Header=BB280_13 Depth=1
	s_or_b32 exec_lo, exec_lo, s48
	global_load_dword v11, v[9:10], off offset:256
	v_mov_b32_e32 v40, 0
	v_mov_b32_e32 v41, 0
	s_waitcnt vmcnt(0)
	v_cmp_ne_u16_sdwa s2, v11, v4 src0_sel:BYTE_0 src1_sel:DWORD
	s_and_saveexec_b32 s48, s2
	s_cbranch_execz .LBB280_90
; %bb.83:                               ;   in Loop: Header=BB280_13 Depth=1
	v_cmp_ne_u16_sdwa s2, v11, v23 src0_sel:BYTE_0 src1_sel:DWORD
	v_mov_b32_e32 v41, 0x8000
	s_and_saveexec_b32 s49, s2
	s_cbranch_execz .LBB280_89
; %bb.84:                               ;   in Loop: Header=BB280_13 Depth=1
	v_and_b32_e32 v42, 0x7f, v11
	v_mov_b32_e32 v41, 0x7c01
	s_mov_b32 s50, exec_lo
	v_cmpx_ne_u32_e32 0x7f, v42
	s_cbranch_execz .LBB280_88
; %bb.85:                               ;   in Loop: Header=BB280_13 Depth=1
	v_and_b32_e32 v3, 7, v11
	v_lshrrev_b32_e32 v41, 3, v42
	s_mov_b32 s51, exec_lo
	v_cmpx_gt_u32_e32 8, v42
; %bb.86:                               ;   in Loop: Header=BB280_13 Depth=1
	v_ffbh_u32_e32 v3, v3
	v_min_u32_e32 v3, 32, v3
	v_subrev_nc_u32_e32 v41, 28, v3
	v_lshlrev_b64 v[42:43], v41, v[11:12]
	v_sub_nc_u32_e32 v41, 29, v3
	v_and_b32_e32 v3, 7, v42
; %bb.87:                               ;   in Loop: Header=BB280_13 Depth=1
	s_or_b32 exec_lo, exec_lo, s51
	v_lshlrev_b32_e32 v42, 8, v11
	v_lshl_add_u32 v41, v41, 10, 0x2000
	v_lshlrev_b32_e32 v3, 7, v3
	v_and_b32_e32 v42, 0x8000, v42
	v_and_b32_e32 v41, 0xfc00, v41
	v_or3_b32 v41, v42, v41, v3
.LBB280_88:                             ;   in Loop: Header=BB280_13 Depth=1
	s_or_b32 exec_lo, exec_lo, s50
.LBB280_89:                             ;   in Loop: Header=BB280_13 Depth=1
	s_or_b32 exec_lo, exec_lo, s49
.LBB280_90:                             ;   in Loop: Header=BB280_13 Depth=1
	s_or_b32 exec_lo, exec_lo, s48
	v_lshrrev_b16 v3, 8, v11
	s_mov_b32 s48, exec_lo
	v_cmpx_ne_u16_e32 0, v3
	s_cbranch_execz .LBB280_98
; %bb.91:                               ;   in Loop: Header=BB280_13 Depth=1
	v_bfrev_b32_e32 v40, 1
	s_mov_b32 s49, exec_lo
	v_cmpx_ne_u16_e32 0x80, v3
	s_cbranch_execz .LBB280_97
; %bb.92:                               ;   in Loop: Header=BB280_13 Depth=1
	v_and_b32_sdwa v43, v3, v24 dst_sel:DWORD dst_unused:UNUSED_PAD src0_sel:WORD_0 src1_sel:DWORD
	v_mov_b32_e32 v40, 0x7c010000
	s_mov_b32 s50, exec_lo
	v_cmpx_ne_u32_e32 0x7f, v43
	s_cbranch_execz .LBB280_96
; %bb.93:                               ;   in Loop: Header=BB280_13 Depth=1
	v_and_b32_sdwa v40, v3, v25 dst_sel:DWORD dst_unused:UNUSED_PAD src0_sel:WORD_0 src1_sel:DWORD
	v_lshrrev_b32_e32 v42, 3, v43
	s_mov_b32 s51, exec_lo
	v_cmpx_gt_u32_e32 8, v43
; %bb.94:                               ;   in Loop: Header=BB280_13 Depth=1
	v_ffbh_u32_e32 v40, v40
	v_min_u32_e32 v40, 32, v40
	v_subrev_nc_u32_e32 v42, 28, v40
	v_lshlrev_b64 v[43:44], v42, v[3:4]
	v_sub_nc_u32_e32 v42, 29, v40
	v_and_b32_e32 v40, 7, v43
; %bb.95:                               ;   in Loop: Header=BB280_13 Depth=1
	s_or_b32 exec_lo, exec_lo, s51
	v_lshlrev_b32_sdwa v3, v26, v3 dst_sel:DWORD dst_unused:UNUSED_PAD src0_sel:DWORD src1_sel:WORD_0
	v_lshl_add_u32 v42, v42, 10, 0x2000
	v_lshlrev_b32_e32 v40, 23, v40
	v_and_or_b32 v3, 0x8000, v3, v42
	v_lshl_or_b32 v40, v3, 16, v40
.LBB280_96:                             ;   in Loop: Header=BB280_13 Depth=1
	s_or_b32 exec_lo, exec_lo, s50
.LBB280_97:                             ;   in Loop: Header=BB280_13 Depth=1
	s_or_b32 exec_lo, exec_lo, s49
.LBB280_98:                             ;   in Loop: Header=BB280_13 Depth=1
	s_or_b32 exec_lo, exec_lo, s48
	v_lshrrev_b32_e32 v3, 16, v11
	v_mov_b32_e32 v42, 0
	v_mov_b32_e32 v43, 0
	v_cmp_ne_u16_sdwa s2, v3, v4 src0_sel:BYTE_0 src1_sel:DWORD
	s_and_saveexec_b32 s48, s2
	s_cbranch_execz .LBB280_106
; %bb.99:                               ;   in Loop: Header=BB280_13 Depth=1
	v_cmp_ne_u16_sdwa s2, v3, v23 src0_sel:BYTE_0 src1_sel:DWORD
	v_mov_b32_e32 v43, 0x8000
	s_and_saveexec_b32 s49, s2
	s_cbranch_execz .LBB280_105
; %bb.100:                              ;   in Loop: Header=BB280_13 Depth=1
	v_bfe_u32 v45, v11, 16, 7
	v_mov_b32_e32 v43, 0x7c01
	s_mov_b32 s50, exec_lo
	v_cmpx_ne_u32_e32 0x7f, v45
	s_cbranch_execz .LBB280_104
; %bb.101:                              ;   in Loop: Header=BB280_13 Depth=1
	v_and_b32_e32 v43, 7, v3
	v_lshrrev_b32_e32 v44, 3, v45
	s_mov_b32 s51, exec_lo
	v_cmpx_gt_u32_e32 8, v45
; %bb.102:                              ;   in Loop: Header=BB280_13 Depth=1
	v_ffbh_u32_e32 v43, v43
	v_min_u32_e32 v45, 32, v43
	v_subrev_nc_u32_e32 v43, 28, v45
	v_lshlrev_b64 v[43:44], v43, v[3:4]
	v_sub_nc_u32_e32 v44, 29, v45
	v_and_b32_e32 v43, 7, v43
; %bb.103:                              ;   in Loop: Header=BB280_13 Depth=1
	s_or_b32 exec_lo, exec_lo, s51
	v_lshlrev_b32_e32 v3, 8, v3
	v_lshl_add_u32 v44, v44, 10, 0x2000
	v_lshlrev_b32_e32 v43, 7, v43
	v_and_b32_e32 v3, 0x8000, v3
	v_and_b32_e32 v44, 0xfc00, v44
	v_or3_b32 v43, v3, v44, v43
.LBB280_104:                            ;   in Loop: Header=BB280_13 Depth=1
	s_or_b32 exec_lo, exec_lo, s50
.LBB280_105:                            ;   in Loop: Header=BB280_13 Depth=1
	s_or_b32 exec_lo, exec_lo, s49
.LBB280_106:                            ;   in Loop: Header=BB280_13 Depth=1
	s_or_b32 exec_lo, exec_lo, s48
	s_mov_b32 s48, exec_lo
	v_cmpx_lt_u32_e32 0xffffff, v11
	s_cbranch_execz .LBB280_114
; %bb.107:                              ;   in Loop: Header=BB280_13 Depth=1
	v_lshrrev_b32_e32 v3, 24, v11
	v_bfrev_b32_e32 v42, 1
	s_mov_b32 s49, exec_lo
	v_cmpx_ne_u32_e32 0x80, v3
	s_cbranch_execz .LBB280_113
; %bb.108:                              ;   in Loop: Header=BB280_13 Depth=1
	v_and_b32_e32 v44, 0x7f, v3
	v_mov_b32_e32 v42, 0x7c010000
	s_mov_b32 s50, exec_lo
	v_cmpx_ne_u32_e32 0x7f, v44
	s_cbranch_execz .LBB280_112
; %bb.109:                              ;   in Loop: Header=BB280_13 Depth=1
	v_and_b32_e32 v11, 7, v3
	v_lshrrev_b32_e32 v42, 3, v44
	s_mov_b32 s51, exec_lo
	v_cmpx_gt_u32_e32 8, v44
; %bb.110:                              ;   in Loop: Header=BB280_13 Depth=1
	v_ffbh_u32_e32 v11, v11
	v_min_u32_e32 v11, 32, v11
	v_subrev_nc_u32_e32 v42, 28, v11
	v_lshlrev_b64 v[44:45], v42, v[3:4]
	v_sub_nc_u32_e32 v42, 29, v11
	v_and_b32_e32 v11, 7, v44
; %bb.111:                              ;   in Loop: Header=BB280_13 Depth=1
	s_or_b32 exec_lo, exec_lo, s51
	v_lshlrev_b32_e32 v3, 8, v3
	v_lshl_add_u32 v42, v42, 10, 0x2000
	v_lshlrev_b32_e32 v11, 23, v11
	v_and_or_b32 v3, 0x8000, v3, v42
	v_lshl_or_b32 v42, v3, 16, v11
.LBB280_112:                            ;   in Loop: Header=BB280_13 Depth=1
	s_or_b32 exec_lo, exec_lo, s50
.LBB280_113:                            ;   in Loop: Header=BB280_13 Depth=1
	s_or_b32 exec_lo, exec_lo, s49
.LBB280_114:                            ;   in Loop: Header=BB280_13 Depth=1
	s_or_b32 exec_lo, exec_lo, s48
	global_load_dword v11, v[9:10], off offset:264
	v_mov_b32_e32 v44, 0
	v_mov_b32_e32 v45, 0
	s_waitcnt vmcnt(0)
	v_cmp_ne_u16_sdwa s2, v11, v4 src0_sel:BYTE_0 src1_sel:DWORD
	s_and_saveexec_b32 s48, s2
	s_cbranch_execz .LBB280_122
; %bb.115:                              ;   in Loop: Header=BB280_13 Depth=1
	v_cmp_ne_u16_sdwa s2, v11, v23 src0_sel:BYTE_0 src1_sel:DWORD
	v_mov_b32_e32 v45, 0x8000
	s_and_saveexec_b32 s49, s2
	s_cbranch_execz .LBB280_121
; %bb.116:                              ;   in Loop: Header=BB280_13 Depth=1
	v_and_b32_e32 v46, 0x7f, v11
	v_mov_b32_e32 v45, 0x7c01
	s_mov_b32 s50, exec_lo
	v_cmpx_ne_u32_e32 0x7f, v46
	s_cbranch_execz .LBB280_120
; %bb.117:                              ;   in Loop: Header=BB280_13 Depth=1
	v_and_b32_e32 v3, 7, v11
	v_lshrrev_b32_e32 v45, 3, v46
	s_mov_b32 s51, exec_lo
	v_cmpx_gt_u32_e32 8, v46
; %bb.118:                              ;   in Loop: Header=BB280_13 Depth=1
	v_ffbh_u32_e32 v3, v3
	v_min_u32_e32 v3, 32, v3
	v_subrev_nc_u32_e32 v45, 28, v3
	v_lshlrev_b64 v[46:47], v45, v[11:12]
	v_sub_nc_u32_e32 v45, 29, v3
	v_and_b32_e32 v3, 7, v46
; %bb.119:                              ;   in Loop: Header=BB280_13 Depth=1
	s_or_b32 exec_lo, exec_lo, s51
	v_lshlrev_b32_e32 v46, 8, v11
	v_lshl_add_u32 v45, v45, 10, 0x2000
	v_lshlrev_b32_e32 v3, 7, v3
	v_and_b32_e32 v46, 0x8000, v46
	v_and_b32_e32 v45, 0xfc00, v45
	v_or3_b32 v45, v46, v45, v3
.LBB280_120:                            ;   in Loop: Header=BB280_13 Depth=1
	s_or_b32 exec_lo, exec_lo, s50
.LBB280_121:                            ;   in Loop: Header=BB280_13 Depth=1
	s_or_b32 exec_lo, exec_lo, s49
.LBB280_122:                            ;   in Loop: Header=BB280_13 Depth=1
	s_or_b32 exec_lo, exec_lo, s48
	v_lshrrev_b16 v3, 8, v11
	s_mov_b32 s48, exec_lo
	v_cmpx_ne_u16_e32 0, v3
	s_cbranch_execz .LBB280_130
; %bb.123:                              ;   in Loop: Header=BB280_13 Depth=1
	v_bfrev_b32_e32 v44, 1
	s_mov_b32 s49, exec_lo
	v_cmpx_ne_u16_e32 0x80, v3
	s_cbranch_execz .LBB280_129
; %bb.124:                              ;   in Loop: Header=BB280_13 Depth=1
	v_and_b32_sdwa v47, v3, v24 dst_sel:DWORD dst_unused:UNUSED_PAD src0_sel:WORD_0 src1_sel:DWORD
	v_mov_b32_e32 v44, 0x7c010000
	s_mov_b32 s50, exec_lo
	v_cmpx_ne_u32_e32 0x7f, v47
	s_cbranch_execz .LBB280_128
; %bb.125:                              ;   in Loop: Header=BB280_13 Depth=1
	v_and_b32_sdwa v44, v3, v25 dst_sel:DWORD dst_unused:UNUSED_PAD src0_sel:WORD_0 src1_sel:DWORD
	v_lshrrev_b32_e32 v46, 3, v47
	s_mov_b32 s51, exec_lo
	v_cmpx_gt_u32_e32 8, v47
; %bb.126:                              ;   in Loop: Header=BB280_13 Depth=1
	v_ffbh_u32_e32 v44, v44
	v_min_u32_e32 v44, 32, v44
	v_subrev_nc_u32_e32 v46, 28, v44
	v_lshlrev_b64 v[47:48], v46, v[3:4]
	v_sub_nc_u32_e32 v46, 29, v44
	v_and_b32_e32 v44, 7, v47
; %bb.127:                              ;   in Loop: Header=BB280_13 Depth=1
	s_or_b32 exec_lo, exec_lo, s51
	v_lshlrev_b32_sdwa v3, v26, v3 dst_sel:DWORD dst_unused:UNUSED_PAD src0_sel:DWORD src1_sel:WORD_0
	v_lshl_add_u32 v46, v46, 10, 0x2000
	v_lshlrev_b32_e32 v44, 23, v44
	v_and_or_b32 v3, 0x8000, v3, v46
	v_lshl_or_b32 v44, v3, 16, v44
.LBB280_128:                            ;   in Loop: Header=BB280_13 Depth=1
	s_or_b32 exec_lo, exec_lo, s50
.LBB280_129:                            ;   in Loop: Header=BB280_13 Depth=1
	s_or_b32 exec_lo, exec_lo, s49
.LBB280_130:                            ;   in Loop: Header=BB280_13 Depth=1
	s_or_b32 exec_lo, exec_lo, s48
	v_lshrrev_b32_e32 v3, 16, v11
	v_mov_b32_e32 v46, 0
	v_mov_b32_e32 v47, 0
	v_cmp_ne_u16_sdwa s2, v3, v4 src0_sel:BYTE_0 src1_sel:DWORD
	s_and_saveexec_b32 s48, s2
	s_cbranch_execz .LBB280_138
; %bb.131:                              ;   in Loop: Header=BB280_13 Depth=1
	v_cmp_ne_u16_sdwa s2, v3, v23 src0_sel:BYTE_0 src1_sel:DWORD
	v_mov_b32_e32 v47, 0x8000
	s_and_saveexec_b32 s49, s2
	s_cbranch_execz .LBB280_137
; %bb.132:                              ;   in Loop: Header=BB280_13 Depth=1
	v_bfe_u32 v49, v11, 16, 7
	v_mov_b32_e32 v47, 0x7c01
	s_mov_b32 s50, exec_lo
	v_cmpx_ne_u32_e32 0x7f, v49
	s_cbranch_execz .LBB280_136
; %bb.133:                              ;   in Loop: Header=BB280_13 Depth=1
	v_and_b32_e32 v47, 7, v3
	v_lshrrev_b32_e32 v48, 3, v49
	s_mov_b32 s51, exec_lo
	v_cmpx_gt_u32_e32 8, v49
; %bb.134:                              ;   in Loop: Header=BB280_13 Depth=1
	v_ffbh_u32_e32 v47, v47
	v_min_u32_e32 v49, 32, v47
	v_subrev_nc_u32_e32 v47, 28, v49
	v_lshlrev_b64 v[47:48], v47, v[3:4]
	v_sub_nc_u32_e32 v48, 29, v49
	v_and_b32_e32 v47, 7, v47
; %bb.135:                              ;   in Loop: Header=BB280_13 Depth=1
	s_or_b32 exec_lo, exec_lo, s51
	v_lshlrev_b32_e32 v3, 8, v3
	v_lshl_add_u32 v48, v48, 10, 0x2000
	v_lshlrev_b32_e32 v47, 7, v47
	v_and_b32_e32 v3, 0x8000, v3
	v_and_b32_e32 v48, 0xfc00, v48
	v_or3_b32 v47, v3, v48, v47
.LBB280_136:                            ;   in Loop: Header=BB280_13 Depth=1
	s_or_b32 exec_lo, exec_lo, s50
.LBB280_137:                            ;   in Loop: Header=BB280_13 Depth=1
	s_or_b32 exec_lo, exec_lo, s49
.LBB280_138:                            ;   in Loop: Header=BB280_13 Depth=1
	s_or_b32 exec_lo, exec_lo, s48
	s_mov_b32 s48, exec_lo
	v_cmpx_lt_u32_e32 0xffffff, v11
	s_cbranch_execz .LBB280_146
; %bb.139:                              ;   in Loop: Header=BB280_13 Depth=1
	v_lshrrev_b32_e32 v3, 24, v11
	v_bfrev_b32_e32 v46, 1
	s_mov_b32 s49, exec_lo
	v_cmpx_ne_u32_e32 0x80, v3
	s_cbranch_execz .LBB280_145
; %bb.140:                              ;   in Loop: Header=BB280_13 Depth=1
	v_and_b32_e32 v48, 0x7f, v3
	v_mov_b32_e32 v46, 0x7c010000
	s_mov_b32 s50, exec_lo
	v_cmpx_ne_u32_e32 0x7f, v48
	s_cbranch_execz .LBB280_144
; %bb.141:                              ;   in Loop: Header=BB280_13 Depth=1
	v_and_b32_e32 v11, 7, v3
	v_lshrrev_b32_e32 v46, 3, v48
	s_mov_b32 s51, exec_lo
	v_cmpx_gt_u32_e32 8, v48
; %bb.142:                              ;   in Loop: Header=BB280_13 Depth=1
	v_ffbh_u32_e32 v11, v11
	v_min_u32_e32 v11, 32, v11
	v_subrev_nc_u32_e32 v46, 28, v11
	v_lshlrev_b64 v[48:49], v46, v[3:4]
	v_sub_nc_u32_e32 v46, 29, v11
	v_and_b32_e32 v11, 7, v48
; %bb.143:                              ;   in Loop: Header=BB280_13 Depth=1
	s_or_b32 exec_lo, exec_lo, s51
	v_lshlrev_b32_e32 v3, 8, v3
	v_lshl_add_u32 v46, v46, 10, 0x2000
	v_lshlrev_b32_e32 v11, 23, v11
	v_and_or_b32 v3, 0x8000, v3, v46
	v_lshl_or_b32 v46, v3, 16, v11
.LBB280_144:                            ;   in Loop: Header=BB280_13 Depth=1
	s_or_b32 exec_lo, exec_lo, s50
.LBB280_145:                            ;   in Loop: Header=BB280_13 Depth=1
	s_or_b32 exec_lo, exec_lo, s49
.LBB280_146:                            ;   in Loop: Header=BB280_13 Depth=1
	s_or_b32 exec_lo, exec_lo, s48
	global_load_dword v11, v[9:10], off offset:512
	v_mov_b32_e32 v48, 0
	v_mov_b32_e32 v49, 0
	s_waitcnt vmcnt(0)
	v_cmp_ne_u16_sdwa s2, v11, v4 src0_sel:BYTE_0 src1_sel:DWORD
	s_and_saveexec_b32 s48, s2
	s_cbranch_execz .LBB280_154
; %bb.147:                              ;   in Loop: Header=BB280_13 Depth=1
	v_cmp_ne_u16_sdwa s2, v11, v23 src0_sel:BYTE_0 src1_sel:DWORD
	v_mov_b32_e32 v49, 0x8000
	s_and_saveexec_b32 s49, s2
	s_cbranch_execz .LBB280_153
; %bb.148:                              ;   in Loop: Header=BB280_13 Depth=1
	v_and_b32_e32 v50, 0x7f, v11
	v_mov_b32_e32 v49, 0x7c01
	s_mov_b32 s50, exec_lo
	v_cmpx_ne_u32_e32 0x7f, v50
	s_cbranch_execz .LBB280_152
; %bb.149:                              ;   in Loop: Header=BB280_13 Depth=1
	v_and_b32_e32 v3, 7, v11
	v_lshrrev_b32_e32 v49, 3, v50
	s_mov_b32 s51, exec_lo
	v_cmpx_gt_u32_e32 8, v50
; %bb.150:                              ;   in Loop: Header=BB280_13 Depth=1
	v_ffbh_u32_e32 v3, v3
	v_min_u32_e32 v3, 32, v3
	v_subrev_nc_u32_e32 v49, 28, v3
	v_lshlrev_b64 v[50:51], v49, v[11:12]
	v_sub_nc_u32_e32 v49, 29, v3
	v_and_b32_e32 v3, 7, v50
; %bb.151:                              ;   in Loop: Header=BB280_13 Depth=1
	s_or_b32 exec_lo, exec_lo, s51
	v_lshlrev_b32_e32 v50, 8, v11
	v_lshl_add_u32 v49, v49, 10, 0x2000
	v_lshlrev_b32_e32 v3, 7, v3
	v_and_b32_e32 v50, 0x8000, v50
	v_and_b32_e32 v49, 0xfc00, v49
	v_or3_b32 v49, v50, v49, v3
.LBB280_152:                            ;   in Loop: Header=BB280_13 Depth=1
	s_or_b32 exec_lo, exec_lo, s50
.LBB280_153:                            ;   in Loop: Header=BB280_13 Depth=1
	s_or_b32 exec_lo, exec_lo, s49
.LBB280_154:                            ;   in Loop: Header=BB280_13 Depth=1
	s_or_b32 exec_lo, exec_lo, s48
	v_lshrrev_b16 v3, 8, v11
	s_mov_b32 s48, exec_lo
	v_cmpx_ne_u16_e32 0, v3
	s_cbranch_execz .LBB280_162
; %bb.155:                              ;   in Loop: Header=BB280_13 Depth=1
	v_bfrev_b32_e32 v48, 1
	s_mov_b32 s49, exec_lo
	v_cmpx_ne_u16_e32 0x80, v3
	s_cbranch_execz .LBB280_161
; %bb.156:                              ;   in Loop: Header=BB280_13 Depth=1
	v_and_b32_sdwa v51, v3, v24 dst_sel:DWORD dst_unused:UNUSED_PAD src0_sel:WORD_0 src1_sel:DWORD
	v_mov_b32_e32 v48, 0x7c010000
	s_mov_b32 s50, exec_lo
	v_cmpx_ne_u32_e32 0x7f, v51
	s_cbranch_execz .LBB280_160
; %bb.157:                              ;   in Loop: Header=BB280_13 Depth=1
	v_and_b32_sdwa v48, v3, v25 dst_sel:DWORD dst_unused:UNUSED_PAD src0_sel:WORD_0 src1_sel:DWORD
	v_lshrrev_b32_e32 v50, 3, v51
	s_mov_b32 s51, exec_lo
	v_cmpx_gt_u32_e32 8, v51
; %bb.158:                              ;   in Loop: Header=BB280_13 Depth=1
	v_ffbh_u32_e32 v48, v48
	v_min_u32_e32 v48, 32, v48
	v_subrev_nc_u32_e32 v50, 28, v48
	v_lshlrev_b64 v[51:52], v50, v[3:4]
	v_sub_nc_u32_e32 v50, 29, v48
	v_and_b32_e32 v48, 7, v51
; %bb.159:                              ;   in Loop: Header=BB280_13 Depth=1
	s_or_b32 exec_lo, exec_lo, s51
	v_lshlrev_b32_sdwa v3, v26, v3 dst_sel:DWORD dst_unused:UNUSED_PAD src0_sel:DWORD src1_sel:WORD_0
	v_lshl_add_u32 v50, v50, 10, 0x2000
	v_lshlrev_b32_e32 v48, 23, v48
	v_and_or_b32 v3, 0x8000, v3, v50
	v_lshl_or_b32 v48, v3, 16, v48
.LBB280_160:                            ;   in Loop: Header=BB280_13 Depth=1
	s_or_b32 exec_lo, exec_lo, s50
.LBB280_161:                            ;   in Loop: Header=BB280_13 Depth=1
	s_or_b32 exec_lo, exec_lo, s49
.LBB280_162:                            ;   in Loop: Header=BB280_13 Depth=1
	s_or_b32 exec_lo, exec_lo, s48
	v_lshrrev_b32_e32 v3, 16, v11
	v_mov_b32_e32 v50, 0
	v_mov_b32_e32 v51, 0
	v_cmp_ne_u16_sdwa s2, v3, v4 src0_sel:BYTE_0 src1_sel:DWORD
	s_and_saveexec_b32 s48, s2
	s_cbranch_execz .LBB280_170
; %bb.163:                              ;   in Loop: Header=BB280_13 Depth=1
	v_cmp_ne_u16_sdwa s2, v3, v23 src0_sel:BYTE_0 src1_sel:DWORD
	v_mov_b32_e32 v51, 0x8000
	s_and_saveexec_b32 s49, s2
	s_cbranch_execz .LBB280_169
; %bb.164:                              ;   in Loop: Header=BB280_13 Depth=1
	v_bfe_u32 v53, v11, 16, 7
	v_mov_b32_e32 v51, 0x7c01
	s_mov_b32 s50, exec_lo
	v_cmpx_ne_u32_e32 0x7f, v53
	s_cbranch_execz .LBB280_168
; %bb.165:                              ;   in Loop: Header=BB280_13 Depth=1
	v_and_b32_e32 v51, 7, v3
	v_lshrrev_b32_e32 v52, 3, v53
	s_mov_b32 s51, exec_lo
	v_cmpx_gt_u32_e32 8, v53
; %bb.166:                              ;   in Loop: Header=BB280_13 Depth=1
	v_ffbh_u32_e32 v51, v51
	v_min_u32_e32 v53, 32, v51
	v_subrev_nc_u32_e32 v51, 28, v53
	v_lshlrev_b64 v[51:52], v51, v[3:4]
	v_sub_nc_u32_e32 v52, 29, v53
	v_and_b32_e32 v51, 7, v51
; %bb.167:                              ;   in Loop: Header=BB280_13 Depth=1
	s_or_b32 exec_lo, exec_lo, s51
	v_lshlrev_b32_e32 v3, 8, v3
	v_lshl_add_u32 v52, v52, 10, 0x2000
	v_lshlrev_b32_e32 v51, 7, v51
	v_and_b32_e32 v3, 0x8000, v3
	v_and_b32_e32 v52, 0xfc00, v52
	v_or3_b32 v51, v3, v52, v51
.LBB280_168:                            ;   in Loop: Header=BB280_13 Depth=1
	s_or_b32 exec_lo, exec_lo, s50
.LBB280_169:                            ;   in Loop: Header=BB280_13 Depth=1
	s_or_b32 exec_lo, exec_lo, s49
.LBB280_170:                            ;   in Loop: Header=BB280_13 Depth=1
	s_or_b32 exec_lo, exec_lo, s48
	s_mov_b32 s48, exec_lo
	v_cmpx_lt_u32_e32 0xffffff, v11
	s_cbranch_execz .LBB280_178
; %bb.171:                              ;   in Loop: Header=BB280_13 Depth=1
	v_lshrrev_b32_e32 v3, 24, v11
	v_bfrev_b32_e32 v50, 1
	s_mov_b32 s49, exec_lo
	v_cmpx_ne_u32_e32 0x80, v3
	s_cbranch_execz .LBB280_177
; %bb.172:                              ;   in Loop: Header=BB280_13 Depth=1
	v_and_b32_e32 v52, 0x7f, v3
	v_mov_b32_e32 v50, 0x7c010000
	s_mov_b32 s50, exec_lo
	v_cmpx_ne_u32_e32 0x7f, v52
	s_cbranch_execz .LBB280_176
; %bb.173:                              ;   in Loop: Header=BB280_13 Depth=1
	v_and_b32_e32 v11, 7, v3
	v_lshrrev_b32_e32 v50, 3, v52
	s_mov_b32 s51, exec_lo
	v_cmpx_gt_u32_e32 8, v52
; %bb.174:                              ;   in Loop: Header=BB280_13 Depth=1
	v_ffbh_u32_e32 v11, v11
	v_min_u32_e32 v11, 32, v11
	v_subrev_nc_u32_e32 v50, 28, v11
	v_lshlrev_b64 v[52:53], v50, v[3:4]
	v_sub_nc_u32_e32 v50, 29, v11
	v_and_b32_e32 v11, 7, v52
; %bb.175:                              ;   in Loop: Header=BB280_13 Depth=1
	s_or_b32 exec_lo, exec_lo, s51
	v_lshlrev_b32_e32 v3, 8, v3
	v_lshl_add_u32 v50, v50, 10, 0x2000
	v_lshlrev_b32_e32 v11, 23, v11
	v_and_or_b32 v3, 0x8000, v3, v50
	v_lshl_or_b32 v50, v3, 16, v11
.LBB280_176:                            ;   in Loop: Header=BB280_13 Depth=1
	s_or_b32 exec_lo, exec_lo, s50
.LBB280_177:                            ;   in Loop: Header=BB280_13 Depth=1
	s_or_b32 exec_lo, exec_lo, s49
.LBB280_178:                            ;   in Loop: Header=BB280_13 Depth=1
	s_or_b32 exec_lo, exec_lo, s48
	global_load_dword v11, v[9:10], off offset:520
	v_mov_b32_e32 v52, 0
	v_mov_b32_e32 v53, 0
	s_waitcnt vmcnt(0)
	v_cmp_ne_u16_sdwa s2, v11, v4 src0_sel:BYTE_0 src1_sel:DWORD
	s_and_saveexec_b32 s48, s2
	s_cbranch_execz .LBB280_186
; %bb.179:                              ;   in Loop: Header=BB280_13 Depth=1
	v_cmp_ne_u16_sdwa s2, v11, v23 src0_sel:BYTE_0 src1_sel:DWORD
	v_mov_b32_e32 v53, 0x8000
	s_and_saveexec_b32 s49, s2
	s_cbranch_execz .LBB280_185
; %bb.180:                              ;   in Loop: Header=BB280_13 Depth=1
	v_and_b32_e32 v54, 0x7f, v11
	v_mov_b32_e32 v53, 0x7c01
	s_mov_b32 s50, exec_lo
	v_cmpx_ne_u32_e32 0x7f, v54
	s_cbranch_execz .LBB280_184
; %bb.181:                              ;   in Loop: Header=BB280_13 Depth=1
	v_and_b32_e32 v3, 7, v11
	v_lshrrev_b32_e32 v53, 3, v54
	s_mov_b32 s51, exec_lo
	v_cmpx_gt_u32_e32 8, v54
; %bb.182:                              ;   in Loop: Header=BB280_13 Depth=1
	v_ffbh_u32_e32 v3, v3
	v_min_u32_e32 v3, 32, v3
	v_subrev_nc_u32_e32 v53, 28, v3
	v_lshlrev_b64 v[54:55], v53, v[11:12]
	v_sub_nc_u32_e32 v53, 29, v3
	v_and_b32_e32 v3, 7, v54
; %bb.183:                              ;   in Loop: Header=BB280_13 Depth=1
	s_or_b32 exec_lo, exec_lo, s51
	v_lshlrev_b32_e32 v54, 8, v11
	v_lshl_add_u32 v53, v53, 10, 0x2000
	v_lshlrev_b32_e32 v3, 7, v3
	v_and_b32_e32 v54, 0x8000, v54
	v_and_b32_e32 v53, 0xfc00, v53
	v_or3_b32 v53, v54, v53, v3
.LBB280_184:                            ;   in Loop: Header=BB280_13 Depth=1
	s_or_b32 exec_lo, exec_lo, s50
.LBB280_185:                            ;   in Loop: Header=BB280_13 Depth=1
	s_or_b32 exec_lo, exec_lo, s49
.LBB280_186:                            ;   in Loop: Header=BB280_13 Depth=1
	s_or_b32 exec_lo, exec_lo, s48
	v_lshrrev_b16 v3, 8, v11
	s_mov_b32 s48, exec_lo
	v_cmpx_ne_u16_e32 0, v3
	s_cbranch_execz .LBB280_194
; %bb.187:                              ;   in Loop: Header=BB280_13 Depth=1
	v_bfrev_b32_e32 v52, 1
	s_mov_b32 s49, exec_lo
	v_cmpx_ne_u16_e32 0x80, v3
	s_cbranch_execz .LBB280_193
; %bb.188:                              ;   in Loop: Header=BB280_13 Depth=1
	v_and_b32_sdwa v55, v3, v24 dst_sel:DWORD dst_unused:UNUSED_PAD src0_sel:WORD_0 src1_sel:DWORD
	v_mov_b32_e32 v52, 0x7c010000
	s_mov_b32 s50, exec_lo
	v_cmpx_ne_u32_e32 0x7f, v55
	s_cbranch_execz .LBB280_192
; %bb.189:                              ;   in Loop: Header=BB280_13 Depth=1
	v_and_b32_sdwa v52, v3, v25 dst_sel:DWORD dst_unused:UNUSED_PAD src0_sel:WORD_0 src1_sel:DWORD
	v_lshrrev_b32_e32 v54, 3, v55
	s_mov_b32 s51, exec_lo
	v_cmpx_gt_u32_e32 8, v55
; %bb.190:                              ;   in Loop: Header=BB280_13 Depth=1
	v_ffbh_u32_e32 v52, v52
	v_min_u32_e32 v52, 32, v52
	v_subrev_nc_u32_e32 v54, 28, v52
	v_lshlrev_b64 v[55:56], v54, v[3:4]
	v_sub_nc_u32_e32 v54, 29, v52
	v_and_b32_e32 v52, 7, v55
; %bb.191:                              ;   in Loop: Header=BB280_13 Depth=1
	s_or_b32 exec_lo, exec_lo, s51
	v_lshlrev_b32_sdwa v3, v26, v3 dst_sel:DWORD dst_unused:UNUSED_PAD src0_sel:DWORD src1_sel:WORD_0
	v_lshl_add_u32 v54, v54, 10, 0x2000
	v_lshlrev_b32_e32 v52, 23, v52
	v_and_or_b32 v3, 0x8000, v3, v54
	v_lshl_or_b32 v52, v3, 16, v52
.LBB280_192:                            ;   in Loop: Header=BB280_13 Depth=1
	s_or_b32 exec_lo, exec_lo, s50
.LBB280_193:                            ;   in Loop: Header=BB280_13 Depth=1
	s_or_b32 exec_lo, exec_lo, s49
.LBB280_194:                            ;   in Loop: Header=BB280_13 Depth=1
	s_or_b32 exec_lo, exec_lo, s48
	v_lshrrev_b32_e32 v3, 16, v11
	v_mov_b32_e32 v54, 0
	v_mov_b32_e32 v55, 0
	v_cmp_ne_u16_sdwa s2, v3, v4 src0_sel:BYTE_0 src1_sel:DWORD
	s_and_saveexec_b32 s48, s2
	s_cbranch_execz .LBB280_202
; %bb.195:                              ;   in Loop: Header=BB280_13 Depth=1
	v_cmp_ne_u16_sdwa s2, v3, v23 src0_sel:BYTE_0 src1_sel:DWORD
	v_mov_b32_e32 v55, 0x8000
	s_and_saveexec_b32 s49, s2
	s_cbranch_execz .LBB280_201
; %bb.196:                              ;   in Loop: Header=BB280_13 Depth=1
	v_bfe_u32 v57, v11, 16, 7
	v_mov_b32_e32 v55, 0x7c01
	s_mov_b32 s50, exec_lo
	v_cmpx_ne_u32_e32 0x7f, v57
	s_cbranch_execz .LBB280_200
; %bb.197:                              ;   in Loop: Header=BB280_13 Depth=1
	v_and_b32_e32 v55, 7, v3
	v_lshrrev_b32_e32 v56, 3, v57
	s_mov_b32 s51, exec_lo
	v_cmpx_gt_u32_e32 8, v57
; %bb.198:                              ;   in Loop: Header=BB280_13 Depth=1
	v_ffbh_u32_e32 v55, v55
	v_min_u32_e32 v57, 32, v55
	v_subrev_nc_u32_e32 v55, 28, v57
	v_lshlrev_b64 v[55:56], v55, v[3:4]
	v_sub_nc_u32_e32 v56, 29, v57
	v_and_b32_e32 v55, 7, v55
; %bb.199:                              ;   in Loop: Header=BB280_13 Depth=1
	s_or_b32 exec_lo, exec_lo, s51
	v_lshlrev_b32_e32 v3, 8, v3
	v_lshl_add_u32 v56, v56, 10, 0x2000
	v_lshlrev_b32_e32 v55, 7, v55
	v_and_b32_e32 v3, 0x8000, v3
	v_and_b32_e32 v56, 0xfc00, v56
	v_or3_b32 v55, v3, v56, v55
.LBB280_200:                            ;   in Loop: Header=BB280_13 Depth=1
	s_or_b32 exec_lo, exec_lo, s50
.LBB280_201:                            ;   in Loop: Header=BB280_13 Depth=1
	s_or_b32 exec_lo, exec_lo, s49
.LBB280_202:                            ;   in Loop: Header=BB280_13 Depth=1
	s_or_b32 exec_lo, exec_lo, s48
	s_mov_b32 s48, exec_lo
	v_cmpx_lt_u32_e32 0xffffff, v11
	s_cbranch_execz .LBB280_210
; %bb.203:                              ;   in Loop: Header=BB280_13 Depth=1
	v_lshrrev_b32_e32 v3, 24, v11
	v_bfrev_b32_e32 v54, 1
	s_mov_b32 s49, exec_lo
	v_cmpx_ne_u32_e32 0x80, v3
	s_cbranch_execz .LBB280_209
; %bb.204:                              ;   in Loop: Header=BB280_13 Depth=1
	v_and_b32_e32 v56, 0x7f, v3
	v_mov_b32_e32 v54, 0x7c010000
	s_mov_b32 s50, exec_lo
	v_cmpx_ne_u32_e32 0x7f, v56
	s_cbranch_execz .LBB280_208
; %bb.205:                              ;   in Loop: Header=BB280_13 Depth=1
	v_and_b32_e32 v11, 7, v3
	v_lshrrev_b32_e32 v54, 3, v56
	s_mov_b32 s51, exec_lo
	v_cmpx_gt_u32_e32 8, v56
; %bb.206:                              ;   in Loop: Header=BB280_13 Depth=1
	v_ffbh_u32_e32 v11, v11
	v_min_u32_e32 v11, 32, v11
	v_subrev_nc_u32_e32 v54, 28, v11
	v_lshlrev_b64 v[56:57], v54, v[3:4]
	v_sub_nc_u32_e32 v54, 29, v11
	v_and_b32_e32 v11, 7, v56
; %bb.207:                              ;   in Loop: Header=BB280_13 Depth=1
	s_or_b32 exec_lo, exec_lo, s51
	v_lshlrev_b32_e32 v3, 8, v3
	v_lshl_add_u32 v54, v54, 10, 0x2000
	v_lshlrev_b32_e32 v11, 23, v11
	v_and_or_b32 v3, 0x8000, v3, v54
	v_lshl_or_b32 v54, v3, 16, v11
.LBB280_208:                            ;   in Loop: Header=BB280_13 Depth=1
	s_or_b32 exec_lo, exec_lo, s50
.LBB280_209:                            ;   in Loop: Header=BB280_13 Depth=1
	s_or_b32 exec_lo, exec_lo, s49
.LBB280_210:                            ;   in Loop: Header=BB280_13 Depth=1
	s_or_b32 exec_lo, exec_lo, s48
	global_load_dword v11, v[9:10], off offset:768
	v_mov_b32_e32 v56, 0
	v_mov_b32_e32 v57, 0
	s_waitcnt vmcnt(0)
	v_cmp_ne_u16_sdwa s2, v11, v4 src0_sel:BYTE_0 src1_sel:DWORD
	s_and_saveexec_b32 s48, s2
	s_cbranch_execz .LBB280_218
; %bb.211:                              ;   in Loop: Header=BB280_13 Depth=1
	v_cmp_ne_u16_sdwa s2, v11, v23 src0_sel:BYTE_0 src1_sel:DWORD
	v_mov_b32_e32 v57, 0x8000
	s_and_saveexec_b32 s49, s2
	s_cbranch_execz .LBB280_217
; %bb.212:                              ;   in Loop: Header=BB280_13 Depth=1
	v_and_b32_e32 v58, 0x7f, v11
	v_mov_b32_e32 v57, 0x7c01
	s_mov_b32 s50, exec_lo
	v_cmpx_ne_u32_e32 0x7f, v58
	s_cbranch_execz .LBB280_216
; %bb.213:                              ;   in Loop: Header=BB280_13 Depth=1
	v_and_b32_e32 v3, 7, v11
	v_lshrrev_b32_e32 v57, 3, v58
	s_mov_b32 s51, exec_lo
	v_cmpx_gt_u32_e32 8, v58
; %bb.214:                              ;   in Loop: Header=BB280_13 Depth=1
	v_ffbh_u32_e32 v3, v3
	v_min_u32_e32 v3, 32, v3
	v_subrev_nc_u32_e32 v57, 28, v3
	v_lshlrev_b64 v[58:59], v57, v[11:12]
	v_sub_nc_u32_e32 v57, 29, v3
	v_and_b32_e32 v3, 7, v58
; %bb.215:                              ;   in Loop: Header=BB280_13 Depth=1
	s_or_b32 exec_lo, exec_lo, s51
	v_lshlrev_b32_e32 v58, 8, v11
	v_lshl_add_u32 v57, v57, 10, 0x2000
	v_lshlrev_b32_e32 v3, 7, v3
	v_and_b32_e32 v58, 0x8000, v58
	v_and_b32_e32 v57, 0xfc00, v57
	v_or3_b32 v57, v58, v57, v3
.LBB280_216:                            ;   in Loop: Header=BB280_13 Depth=1
	s_or_b32 exec_lo, exec_lo, s50
.LBB280_217:                            ;   in Loop: Header=BB280_13 Depth=1
	s_or_b32 exec_lo, exec_lo, s49
.LBB280_218:                            ;   in Loop: Header=BB280_13 Depth=1
	s_or_b32 exec_lo, exec_lo, s48
	v_lshrrev_b16 v3, 8, v11
	s_mov_b32 s48, exec_lo
	v_cmpx_ne_u16_e32 0, v3
	s_cbranch_execz .LBB280_226
; %bb.219:                              ;   in Loop: Header=BB280_13 Depth=1
	v_bfrev_b32_e32 v56, 1
	s_mov_b32 s49, exec_lo
	v_cmpx_ne_u16_e32 0x80, v3
	s_cbranch_execz .LBB280_225
; %bb.220:                              ;   in Loop: Header=BB280_13 Depth=1
	v_and_b32_sdwa v59, v3, v24 dst_sel:DWORD dst_unused:UNUSED_PAD src0_sel:WORD_0 src1_sel:DWORD
	v_mov_b32_e32 v56, 0x7c010000
	s_mov_b32 s50, exec_lo
	v_cmpx_ne_u32_e32 0x7f, v59
	s_cbranch_execz .LBB280_224
; %bb.221:                              ;   in Loop: Header=BB280_13 Depth=1
	v_and_b32_sdwa v56, v3, v25 dst_sel:DWORD dst_unused:UNUSED_PAD src0_sel:WORD_0 src1_sel:DWORD
	v_lshrrev_b32_e32 v58, 3, v59
	s_mov_b32 s51, exec_lo
	v_cmpx_gt_u32_e32 8, v59
; %bb.222:                              ;   in Loop: Header=BB280_13 Depth=1
	v_ffbh_u32_e32 v56, v56
	v_min_u32_e32 v56, 32, v56
	v_subrev_nc_u32_e32 v58, 28, v56
	v_lshlrev_b64 v[59:60], v58, v[3:4]
	v_sub_nc_u32_e32 v58, 29, v56
	v_and_b32_e32 v56, 7, v59
; %bb.223:                              ;   in Loop: Header=BB280_13 Depth=1
	s_or_b32 exec_lo, exec_lo, s51
	v_lshlrev_b32_sdwa v3, v26, v3 dst_sel:DWORD dst_unused:UNUSED_PAD src0_sel:DWORD src1_sel:WORD_0
	v_lshl_add_u32 v58, v58, 10, 0x2000
	v_lshlrev_b32_e32 v56, 23, v56
	v_and_or_b32 v3, 0x8000, v3, v58
	v_lshl_or_b32 v56, v3, 16, v56
.LBB280_224:                            ;   in Loop: Header=BB280_13 Depth=1
	s_or_b32 exec_lo, exec_lo, s50
.LBB280_225:                            ;   in Loop: Header=BB280_13 Depth=1
	s_or_b32 exec_lo, exec_lo, s49
.LBB280_226:                            ;   in Loop: Header=BB280_13 Depth=1
	s_or_b32 exec_lo, exec_lo, s48
	v_lshrrev_b32_e32 v3, 16, v11
	v_mov_b32_e32 v58, 0
	v_mov_b32_e32 v59, 0
	v_cmp_ne_u16_sdwa s2, v3, v4 src0_sel:BYTE_0 src1_sel:DWORD
	s_and_saveexec_b32 s48, s2
	s_cbranch_execz .LBB280_234
; %bb.227:                              ;   in Loop: Header=BB280_13 Depth=1
	v_cmp_ne_u16_sdwa s2, v3, v23 src0_sel:BYTE_0 src1_sel:DWORD
	v_mov_b32_e32 v59, 0x8000
	s_and_saveexec_b32 s49, s2
	s_cbranch_execz .LBB280_233
; %bb.228:                              ;   in Loop: Header=BB280_13 Depth=1
	v_bfe_u32 v61, v11, 16, 7
	v_mov_b32_e32 v59, 0x7c01
	s_mov_b32 s50, exec_lo
	v_cmpx_ne_u32_e32 0x7f, v61
	s_cbranch_execz .LBB280_232
; %bb.229:                              ;   in Loop: Header=BB280_13 Depth=1
	v_and_b32_e32 v59, 7, v3
	v_lshrrev_b32_e32 v60, 3, v61
	s_mov_b32 s51, exec_lo
	v_cmpx_gt_u32_e32 8, v61
; %bb.230:                              ;   in Loop: Header=BB280_13 Depth=1
	v_ffbh_u32_e32 v59, v59
	v_min_u32_e32 v61, 32, v59
	v_subrev_nc_u32_e32 v59, 28, v61
	v_lshlrev_b64 v[59:60], v59, v[3:4]
	v_sub_nc_u32_e32 v60, 29, v61
	v_and_b32_e32 v59, 7, v59
; %bb.231:                              ;   in Loop: Header=BB280_13 Depth=1
	s_or_b32 exec_lo, exec_lo, s51
	v_lshlrev_b32_e32 v3, 8, v3
	v_lshl_add_u32 v60, v60, 10, 0x2000
	v_lshlrev_b32_e32 v59, 7, v59
	v_and_b32_e32 v3, 0x8000, v3
	v_and_b32_e32 v60, 0xfc00, v60
	v_or3_b32 v59, v3, v60, v59
.LBB280_232:                            ;   in Loop: Header=BB280_13 Depth=1
	s_or_b32 exec_lo, exec_lo, s50
.LBB280_233:                            ;   in Loop: Header=BB280_13 Depth=1
	s_or_b32 exec_lo, exec_lo, s49
.LBB280_234:                            ;   in Loop: Header=BB280_13 Depth=1
	s_or_b32 exec_lo, exec_lo, s48
	s_mov_b32 s48, exec_lo
	v_cmpx_lt_u32_e32 0xffffff, v11
	s_cbranch_execz .LBB280_242
; %bb.235:                              ;   in Loop: Header=BB280_13 Depth=1
	v_lshrrev_b32_e32 v3, 24, v11
	v_bfrev_b32_e32 v58, 1
	s_mov_b32 s49, exec_lo
	v_cmpx_ne_u32_e32 0x80, v3
	s_cbranch_execz .LBB280_241
; %bb.236:                              ;   in Loop: Header=BB280_13 Depth=1
	v_and_b32_e32 v60, 0x7f, v3
	v_mov_b32_e32 v58, 0x7c010000
	s_mov_b32 s50, exec_lo
	v_cmpx_ne_u32_e32 0x7f, v60
	s_cbranch_execz .LBB280_240
; %bb.237:                              ;   in Loop: Header=BB280_13 Depth=1
	v_and_b32_e32 v11, 7, v3
	v_lshrrev_b32_e32 v58, 3, v60
	s_mov_b32 s51, exec_lo
	v_cmpx_gt_u32_e32 8, v60
; %bb.238:                              ;   in Loop: Header=BB280_13 Depth=1
	v_ffbh_u32_e32 v11, v11
	v_min_u32_e32 v11, 32, v11
	v_subrev_nc_u32_e32 v58, 28, v11
	v_lshlrev_b64 v[60:61], v58, v[3:4]
	v_sub_nc_u32_e32 v58, 29, v11
	v_and_b32_e32 v11, 7, v60
; %bb.239:                              ;   in Loop: Header=BB280_13 Depth=1
	s_or_b32 exec_lo, exec_lo, s51
	v_lshlrev_b32_e32 v3, 8, v3
	v_lshl_add_u32 v58, v58, 10, 0x2000
	v_lshlrev_b32_e32 v11, 23, v11
	v_and_or_b32 v3, 0x8000, v3, v58
	v_lshl_or_b32 v58, v3, 16, v11
.LBB280_240:                            ;   in Loop: Header=BB280_13 Depth=1
	s_or_b32 exec_lo, exec_lo, s50
.LBB280_241:                            ;   in Loop: Header=BB280_13 Depth=1
	s_or_b32 exec_lo, exec_lo, s49
.LBB280_242:                            ;   in Loop: Header=BB280_13 Depth=1
	s_or_b32 exec_lo, exec_lo, s48
	global_load_dword v9, v[9:10], off offset:776
	v_mov_b32_e32 v10, 0
	v_mov_b32_e32 v11, 0
	s_waitcnt vmcnt(0)
	v_cmp_ne_u16_sdwa s2, v9, v4 src0_sel:BYTE_0 src1_sel:DWORD
	s_and_saveexec_b32 s48, s2
	s_cbranch_execz .LBB280_250
; %bb.243:                              ;   in Loop: Header=BB280_13 Depth=1
	v_cmp_ne_u16_sdwa s2, v9, v23 src0_sel:BYTE_0 src1_sel:DWORD
	v_mov_b32_e32 v11, 0x8000
	s_and_saveexec_b32 s49, s2
	s_cbranch_execz .LBB280_249
; %bb.244:                              ;   in Loop: Header=BB280_13 Depth=1
	v_and_b32_e32 v60, 0x7f, v9
	v_mov_b32_e32 v11, 0x7c01
	s_mov_b32 s50, exec_lo
	v_cmpx_ne_u32_e32 0x7f, v60
	s_cbranch_execz .LBB280_248
; %bb.245:                              ;   in Loop: Header=BB280_13 Depth=1
	v_and_b32_e32 v3, 7, v9
	v_lshrrev_b32_e32 v11, 3, v60
	s_mov_b32 s51, exec_lo
	v_cmpx_gt_u32_e32 8, v60
; %bb.246:                              ;   in Loop: Header=BB280_13 Depth=1
	v_ffbh_u32_e32 v3, v3
	v_min_u32_e32 v3, 32, v3
	v_subrev_nc_u32_e32 v11, 28, v3
	v_lshlrev_b64 v[60:61], v11, v[9:10]
	v_sub_nc_u32_e32 v11, 29, v3
	v_and_b32_e32 v3, 7, v60
; %bb.247:                              ;   in Loop: Header=BB280_13 Depth=1
	s_or_b32 exec_lo, exec_lo, s51
	v_lshlrev_b32_e32 v60, 8, v9
	v_lshl_add_u32 v11, v11, 10, 0x2000
	v_lshlrev_b32_e32 v3, 7, v3
	v_and_b32_e32 v60, 0x8000, v60
	v_and_b32_e32 v11, 0xfc00, v11
	v_or3_b32 v11, v60, v11, v3
.LBB280_248:                            ;   in Loop: Header=BB280_13 Depth=1
	s_or_b32 exec_lo, exec_lo, s50
.LBB280_249:                            ;   in Loop: Header=BB280_13 Depth=1
	s_or_b32 exec_lo, exec_lo, s49
.LBB280_250:                            ;   in Loop: Header=BB280_13 Depth=1
	s_or_b32 exec_lo, exec_lo, s48
	v_lshrrev_b16 v3, 8, v9
	s_mov_b32 s48, exec_lo
	v_cmpx_ne_u16_e32 0, v3
	s_cbranch_execz .LBB280_258
; %bb.251:                              ;   in Loop: Header=BB280_13 Depth=1
	v_bfrev_b32_e32 v10, 1
	s_mov_b32 s49, exec_lo
	v_cmpx_ne_u16_e32 0x80, v3
	s_cbranch_execz .LBB280_257
; %bb.252:                              ;   in Loop: Header=BB280_13 Depth=1
	v_and_b32_sdwa v61, v3, v24 dst_sel:DWORD dst_unused:UNUSED_PAD src0_sel:WORD_0 src1_sel:DWORD
	v_mov_b32_e32 v10, 0x7c010000
	s_mov_b32 s50, exec_lo
	v_cmpx_ne_u32_e32 0x7f, v61
	s_cbranch_execz .LBB280_256
; %bb.253:                              ;   in Loop: Header=BB280_13 Depth=1
	v_and_b32_sdwa v10, v3, v25 dst_sel:DWORD dst_unused:UNUSED_PAD src0_sel:WORD_0 src1_sel:DWORD
	v_lshrrev_b32_e32 v60, 3, v61
	s_mov_b32 s51, exec_lo
	v_cmpx_gt_u32_e32 8, v61
; %bb.254:                              ;   in Loop: Header=BB280_13 Depth=1
	v_ffbh_u32_e32 v10, v10
	v_min_u32_e32 v10, 32, v10
	v_subrev_nc_u32_e32 v60, 28, v10
	v_lshlrev_b64 v[61:62], v60, v[3:4]
	v_sub_nc_u32_e32 v60, 29, v10
	v_and_b32_e32 v10, 7, v61
; %bb.255:                              ;   in Loop: Header=BB280_13 Depth=1
	s_or_b32 exec_lo, exec_lo, s51
	v_lshlrev_b32_sdwa v3, v26, v3 dst_sel:DWORD dst_unused:UNUSED_PAD src0_sel:DWORD src1_sel:WORD_0
	v_lshl_add_u32 v60, v60, 10, 0x2000
	v_lshlrev_b32_e32 v10, 23, v10
	v_and_or_b32 v3, 0x8000, v3, v60
	v_lshl_or_b32 v10, v3, 16, v10
.LBB280_256:                            ;   in Loop: Header=BB280_13 Depth=1
	s_or_b32 exec_lo, exec_lo, s50
.LBB280_257:                            ;   in Loop: Header=BB280_13 Depth=1
	s_or_b32 exec_lo, exec_lo, s49
.LBB280_258:                            ;   in Loop: Header=BB280_13 Depth=1
	s_or_b32 exec_lo, exec_lo, s48
	v_lshrrev_b32_e32 v3, 16, v9
	v_mov_b32_e32 v60, 0
	v_mov_b32_e32 v61, 0
	v_cmp_ne_u16_sdwa s2, v3, v4 src0_sel:BYTE_0 src1_sel:DWORD
	s_and_saveexec_b32 s48, s2
	s_cbranch_execz .LBB280_266
; %bb.259:                              ;   in Loop: Header=BB280_13 Depth=1
	v_cmp_ne_u16_sdwa s2, v3, v23 src0_sel:BYTE_0 src1_sel:DWORD
	v_mov_b32_e32 v61, 0x8000
	s_and_saveexec_b32 s49, s2
	s_cbranch_execz .LBB280_265
; %bb.260:                              ;   in Loop: Header=BB280_13 Depth=1
	v_bfe_u32 v63, v9, 16, 7
	v_mov_b32_e32 v61, 0x7c01
	s_mov_b32 s50, exec_lo
	v_cmpx_ne_u32_e32 0x7f, v63
	s_cbranch_execz .LBB280_264
; %bb.261:                              ;   in Loop: Header=BB280_13 Depth=1
	v_and_b32_e32 v61, 7, v3
	v_lshrrev_b32_e32 v62, 3, v63
	s_mov_b32 s51, exec_lo
	v_cmpx_gt_u32_e32 8, v63
; %bb.262:                              ;   in Loop: Header=BB280_13 Depth=1
	v_ffbh_u32_e32 v61, v61
	v_min_u32_e32 v63, 32, v61
	v_subrev_nc_u32_e32 v61, 28, v63
	v_lshlrev_b64 v[61:62], v61, v[3:4]
	v_sub_nc_u32_e32 v62, 29, v63
	v_and_b32_e32 v61, 7, v61
; %bb.263:                              ;   in Loop: Header=BB280_13 Depth=1
	s_or_b32 exec_lo, exec_lo, s51
	v_lshlrev_b32_e32 v3, 8, v3
	v_lshl_add_u32 v62, v62, 10, 0x2000
	v_lshlrev_b32_e32 v61, 7, v61
	v_and_b32_e32 v3, 0x8000, v3
	v_and_b32_e32 v62, 0xfc00, v62
	v_or3_b32 v61, v3, v62, v61
.LBB280_264:                            ;   in Loop: Header=BB280_13 Depth=1
	s_or_b32 exec_lo, exec_lo, s50
.LBB280_265:                            ;   in Loop: Header=BB280_13 Depth=1
	s_or_b32 exec_lo, exec_lo, s49
.LBB280_266:                            ;   in Loop: Header=BB280_13 Depth=1
	s_or_b32 exec_lo, exec_lo, s48
	s_mov_b32 s48, exec_lo
	v_cmpx_lt_u32_e32 0xffffff, v9
	s_cbranch_execz .LBB280_274
; %bb.267:                              ;   in Loop: Header=BB280_13 Depth=1
	v_lshrrev_b32_e32 v3, 24, v9
	v_bfrev_b32_e32 v60, 1
	s_mov_b32 s49, exec_lo
	v_cmpx_ne_u32_e32 0x80, v3
	s_cbranch_execz .LBB280_273
; %bb.268:                              ;   in Loop: Header=BB280_13 Depth=1
	v_and_b32_e32 v62, 0x7f, v3
	v_mov_b32_e32 v60, 0x7c010000
	s_mov_b32 s50, exec_lo
	v_cmpx_ne_u32_e32 0x7f, v62
	s_cbranch_execz .LBB280_272
; %bb.269:                              ;   in Loop: Header=BB280_13 Depth=1
	v_and_b32_e32 v9, 7, v3
	v_lshrrev_b32_e32 v60, 3, v62
	s_mov_b32 s51, exec_lo
	v_cmpx_gt_u32_e32 8, v62
; %bb.270:                              ;   in Loop: Header=BB280_13 Depth=1
	v_ffbh_u32_e32 v9, v9
	v_min_u32_e32 v9, 32, v9
	v_subrev_nc_u32_e32 v60, 28, v9
	v_lshlrev_b64 v[62:63], v60, v[3:4]
	v_sub_nc_u32_e32 v60, 29, v9
	v_and_b32_e32 v9, 7, v62
; %bb.271:                              ;   in Loop: Header=BB280_13 Depth=1
	s_or_b32 exec_lo, exec_lo, s51
	v_lshlrev_b32_e32 v3, 8, v3
	v_lshl_add_u32 v60, v60, 10, 0x2000
	v_lshlrev_b32_e32 v9, 23, v9
	v_and_or_b32 v3, 0x8000, v3, v60
	v_lshl_or_b32 v60, v3, 16, v9
.LBB280_272:                            ;   in Loop: Header=BB280_13 Depth=1
	s_or_b32 exec_lo, exec_lo, s50
.LBB280_273:                            ;   in Loop: Header=BB280_13 Depth=1
	s_or_b32 exec_lo, exec_lo, s49
.LBB280_274:                            ;   in Loop: Header=BB280_13 Depth=1
	s_or_b32 exec_lo, exec_lo, s48
	ds_read_b64 v[62:63], v20
	v_or_b32_e32 v3, v32, v33
	v_or_b32_e32 v9, v34, v35
	v_fma_mixlo_f16 v32, v31, v32, 0 op_sel:[0,1,0] op_sel_hi:[0,1,0]
	v_fma_mixlo_f16 v33, v31, v34, 0 op_sel:[0,1,0] op_sel_hi:[0,1,0]
	v_or_b32_e32 v37, v36, v37
	v_fma_mixlo_f16 v3, v31, v3, 0 op_sel_hi:[0,1,0]
	v_fma_mixlo_f16 v9, v31, v9, 0 op_sel_hi:[0,1,0]
	v_and_b32_e32 v34, 0xffff, v32
	v_and_b32_e32 v64, 0xffff, v33
	v_or_b32_e32 v39, v38, v39
	v_and_b32_e32 v32, 0xffff, v3
	v_fma_mixlo_f16 v36, v31, v36, 0 op_sel:[0,1,0] op_sel_hi:[0,1,0]
	v_fma_mixlo_f16 v38, v31, v38, 0 op_sel:[0,1,0] op_sel_hi:[0,1,0]
	v_fma_mixlo_f16 v37, v31, v37, 0 op_sel_hi:[0,1,0]
	v_fma_mixlo_f16 v39, v31, v39, 0 op_sel_hi:[0,1,0]
	v_or_b32_e32 v41, v40, v41
	v_and_b32_e32 v66, 0xffff, v36
	v_and_b32_e32 v67, 0xffff, v38
	;; [unrolled: 1-line block ×3, first 2 shown]
	s_waitcnt lgkmcnt(0)
	v_and_b32_e32 v3, 0xffff, v62
	v_lshrrev_b32_e32 v33, 16, v62
	v_and_b32_e32 v62, 0xffff, v9
	v_lshrrev_b32_e32 v35, 16, v63
	v_and_b32_e32 v63, 0xffff, v63
	;;#ASMSTART
	v_cvt_f32_f16 v3, v3;
	;;#ASMEND
	;;#ASMSTART
	v_cvt_f32_f16 v9, v33;
	;;#ASMEND
	;; [unrolled: 3-line block ×8, first 2 shown]
	ds_read_b64 v[64:65], v20 offset:8
	v_and_b32_e32 v68, 0xffff, v39
	v_or_b32_e32 v43, v42, v43
	v_fma_mixlo_f16 v40, v31, v40, 0 op_sel:[0,1,0] op_sel_hi:[0,1,0]
	v_fma_mixlo_f16 v42, v31, v42, 0 op_sel:[0,1,0] op_sel_hi:[0,1,0]
	v_fma_mixlo_f16 v41, v31, v41, 0 op_sel_hi:[0,1,0]
	v_or_b32_e32 v45, v44, v45
	v_fma_mixlo_f16 v43, v31, v43, 0 op_sel_hi:[0,1,0]
	v_and_b32_e32 v40, 0xffff, v40
	v_and_b32_e32 v73, 0xffff, v42
	;; [unrolled: 1-line block ×3, first 2 shown]
	v_or_b32_e32 v47, v46, v47
	v_and_b32_e32 v72, 0xffff, v43
	v_fma_mixlo_f16 v44, v31, v44, 0 op_sel:[0,1,0] op_sel_hi:[0,1,0]
	v_fma_mixlo_f16 v46, v31, v46, 0 op_sel:[0,1,0] op_sel_hi:[0,1,0]
	v_fma_mixlo_f16 v45, v31, v45, 0 op_sel_hi:[0,1,0]
	v_fma_mixlo_f16 v47, v31, v47, 0 op_sel_hi:[0,1,0]
	v_or_b32_e32 v49, v48, v49
	v_and_b32_e32 v74, 0xffff, v44
	v_and_b32_e32 v77, 0xffff, v46
	s_waitcnt lgkmcnt(0)
	v_and_b32_e32 v36, 0xffff, v64
	v_lshrrev_b32_e32 v37, 16, v64
	v_lshrrev_b32_e32 v69, 16, v65
	v_and_b32_e32 v64, 0xffff, v65
	;;#ASMSTART
	v_cvt_f32_f16 v36, v36;
	;;#ASMEND
	;;#ASMSTART
	v_cvt_f32_f16 v37, v37;
	;;#ASMEND
	;;#ASMSTART
	v_cvt_f32_f16 v38, v38;
	;;#ASMEND
	;;#ASMSTART
	v_cvt_f32_f16 v39, v66;
	;;#ASMEND
	;;#ASMSTART
	v_cvt_f32_f16 v64, v64;
	;;#ASMEND
	;;#ASMSTART
	v_cvt_f32_f16 v65, v69;
	;;#ASMEND
	;;#ASMSTART
	v_cvt_f32_f16 v66, v68;
	;;#ASMEND
	;;#ASMSTART
	v_cvt_f32_f16 v67, v67;
	;;#ASMEND
	ds_read_b64 v[68:69], v20 offset:16
	v_and_b32_e32 v46, 0xffff, v45
	v_and_b32_e32 v76, 0xffff, v47
	v_or_b32_e32 v51, v50, v51
	v_fma_mixlo_f16 v48, v31, v48, 0 op_sel:[0,1,0] op_sel_hi:[0,1,0]
	v_fma_mixlo_f16 v50, v31, v50, 0 op_sel:[0,1,0] op_sel_hi:[0,1,0]
	v_fma_mixlo_f16 v49, v31, v49, 0 op_sel_hi:[0,1,0]
	v_or_b32_e32 v53, v52, v53
	v_fma_mixlo_f16 v51, v31, v51, 0 op_sel_hi:[0,1,0]
	v_and_b32_e32 v78, 0xffff, v48
	v_and_b32_e32 v81, 0xffff, v50
	;; [unrolled: 1-line block ×3, first 2 shown]
	v_or_b32_e32 v55, v54, v55
	v_and_b32_e32 v80, 0xffff, v51
	v_fma_mixlo_f16 v52, v31, v52, 0 op_sel:[0,1,0] op_sel_hi:[0,1,0]
	v_fma_mixlo_f16 v54, v31, v54, 0 op_sel:[0,1,0] op_sel_hi:[0,1,0]
	v_fma_mixlo_f16 v53, v31, v53, 0 op_sel_hi:[0,1,0]
	v_fma_mixlo_f16 v55, v31, v55, 0 op_sel_hi:[0,1,0]
	v_mul_f32_e32 v36, v36, v38
	v_and_b32_e32 v82, 0xffff, v52
	s_waitcnt lgkmcnt(0)
	v_and_b32_e32 v42, 0xffff, v68
	v_lshrrev_b32_e32 v68, 16, v68
	v_lshrrev_b32_e32 v71, 16, v69
	v_and_b32_e32 v70, 0xffff, v69
	;;#ASMSTART
	v_cvt_f32_f16 v42, v42;
	;;#ASMEND
	;;#ASMSTART
	v_cvt_f32_f16 v43, v68;
	;;#ASMEND
	;; [unrolled: 3-line block ×8, first 2 shown]
	ds_read_b64 v[40:41], v20 offset:24
	v_and_b32_e32 v85, 0xffff, v54
	v_and_b32_e32 v54, 0xffff, v53
	;; [unrolled: 1-line block ×3, first 2 shown]
	v_mul_f32_e32 v37, v37, v39
	v_mul_f32_e32 v38, v64, v66
	v_or_b32_e32 v57, v56, v57
	v_or_b32_e32 v59, v58, v59
	v_fmac_f32_e32 v36, v3, v32
	v_fmac_f32_e32 v37, v9, v33
	;; [unrolled: 1-line block ×3, first 2 shown]
	v_or_b32_e32 v11, v10, v11
	v_fma_mixlo_f16 v86, v31, v10, 0 op_sel:[0,1,0] op_sel_hi:[0,1,0]
	v_fma_mixlo_f16 v10, v31, v57, 0 op_sel_hi:[0,1,0]
	v_mul_f32_e32 v39, v65, v67
	v_fma_mixlo_f16 v56, v31, v56, 0 op_sel:[0,1,0] op_sel_hi:[0,1,0]
	v_fma_mixlo_f16 v58, v31, v58, 0 op_sel:[0,1,0] op_sel_hi:[0,1,0]
	v_fma_mixlo_f16 v57, v31, v59, 0 op_sel_hi:[0,1,0]
	v_fmac_f32_e32 v36, v42, v68
	v_fmac_f32_e32 v37, v43, v69
	s_waitcnt lgkmcnt(0)
	v_and_b32_e32 v44, 0xffff, v40
	v_lshrrev_b32_e32 v40, 16, v40
	v_lshrrev_b32_e32 v75, 16, v41
	v_and_b32_e32 v41, 0xffff, v41
	;;#ASMSTART
	v_cvt_f32_f16 v44, v44;
	;;#ASMEND
	;;#ASMSTART
	v_cvt_f32_f16 v45, v40;
	;;#ASMEND
	;; [unrolled: 3-line block ×8, first 2 shown]
	ds_read_b64 v[40:41], v20 offset:32
	v_fmac_f32_e32 v38, v70, v72
	v_and_b32_e32 v10, 0xffff, v10
	v_fmac_f32_e32 v39, v35, v63
	v_and_b32_e32 v56, 0xffff, v56
	v_and_b32_e32 v58, 0xffff, v58
	;; [unrolled: 1-line block ×3, first 2 shown]
	v_fmac_f32_e32 v36, v44, v46
	v_fmac_f32_e32 v37, v45, v47
	;; [unrolled: 1-line block ×4, first 2 shown]
	v_or_b32_e32 v61, v60, v61
	v_fma_mixlo_f16 v11, v31, v11, 0 op_sel_hi:[0,1,0]
	v_fma_mixlo_f16 v60, v31, v60, 0 op_sel:[0,1,0] op_sel_hi:[0,1,0]
	v_and_b32_e32 v43, 0xffff, v86
	v_fmac_f32_e32 v39, v75, v77
	v_fma_mixlo_f16 v31, v31, v61, 0 op_sel_hi:[0,1,0]
	v_and_b32_e32 v11, 0xffff, v11
	s_waitcnt lgkmcnt(0)
	v_and_b32_e32 v48, 0xffff, v40
	v_lshrrev_b32_e32 v40, 16, v40
	v_lshrrev_b32_e32 v79, 16, v41
	v_and_b32_e32 v41, 0xffff, v41
	;;#ASMSTART
	v_cvt_f32_f16 v48, v48;
	;;#ASMEND
	;;#ASMSTART
	v_cvt_f32_f16 v49, v40;
	;;#ASMEND
	;; [unrolled: 3-line block ×8, first 2 shown]
	ds_read_b64 v[40:41], v20 offset:40
	v_fmac_f32_e32 v36, v48, v50
	v_fmac_f32_e32 v37, v49, v51
	v_fmac_f32_e32 v38, v78, v80
	v_fmac_f32_e32 v39, v79, v81
	v_and_b32_e32 v31, 0xffff, v31
	s_waitcnt lgkmcnt(0)
	v_and_b32_e32 v52, 0xffff, v40
	v_lshrrev_b32_e32 v40, 16, v40
	v_lshrrev_b32_e32 v83, 16, v41
	v_and_b32_e32 v41, 0xffff, v41
	;;#ASMSTART
	v_cvt_f32_f16 v52, v52;
	;;#ASMEND
	;;#ASMSTART
	v_cvt_f32_f16 v53, v40;
	;;#ASMEND
	;; [unrolled: 3-line block ×8, first 2 shown]
	ds_read_b64 v[40:41], v20 offset:48
	v_fmac_f32_e32 v36, v52, v54
	v_fmac_f32_e32 v37, v53, v55
	;; [unrolled: 1-line block ×4, first 2 shown]
	s_waitcnt lgkmcnt(0)
	v_and_b32_e32 v3, 0xffff, v40
	v_lshrrev_b32_e32 v9, 16, v40
	v_lshrrev_b32_e32 v40, 16, v41
	v_and_b32_e32 v35, 0xffff, v41
	;;#ASMSTART
	v_cvt_f32_f16 v3, v3;
	;;#ASMEND
	;;#ASMSTART
	v_cvt_f32_f16 v32, v9;
	;;#ASMEND
	;; [unrolled: 3-line block ×8, first 2 shown]
	ds_read_b64 v[9:10], v20 offset:56
	v_fmac_f32_e32 v36, v3, v33
	v_fmac_f32_e32 v37, v32, v34
	;; [unrolled: 1-line block ×4, first 2 shown]
	s_waitcnt lgkmcnt(0)
	v_and_b32_e32 v3, 0xffff, v9
	v_lshrrev_b32_e32 v9, 16, v9
	;;#ASMSTART
	v_cvt_f32_f16 v3, v3;
	;;#ASMEND
	;;#ASMSTART
	v_cvt_f32_f16 v9, v9;
	;;#ASMEND
	v_and_b32_e32 v33, 0xffff, v10
	v_lshrrev_b32_e32 v10, 16, v10
	;;#ASMSTART
	v_cvt_f32_f16 v11, v11;
	;;#ASMEND
	;;#ASMSTART
	v_cvt_f32_f16 v32, v43;
	;;#ASMEND
	v_fmac_f32_e32 v36, v3, v11
	v_fmac_f32_e32 v37, v9, v32
	;;#ASMSTART
	v_cvt_f32_f16 v3, v33;
	;;#ASMEND
	;;#ASMSTART
	v_cvt_f32_f16 v9, v10;
	;;#ASMEND
	;;#ASMSTART
	v_cvt_f32_f16 v10, v31;
	;;#ASMEND
	v_fmac_f32_e32 v38, v3, v10
	v_xor_b32_e32 v10, 1, v18
	v_add_f32_e32 v3, v36, v37
	v_and_b32_e32 v11, 0xffff, v60
	;;#ASMSTART
	v_cvt_f32_f16 v11, v11;
	;;#ASMEND
	v_fmac_f32_e32 v39, v9, v11
	v_cmp_gt_i32_e64 s2, 32, v10
	v_add_f32_e32 v3, v3, v38
	v_cndmask_b32_e64 v9, v18, v10, s2
	v_add_f32_e32 v3, v39, v3
	v_lshlrev_b32_e32 v9, 2, v9
	ds_bpermute_b32 v9, v9, v3
	s_and_saveexec_b32 s48, vcc_lo
	s_cbranch_execz .LBB280_11
; %bb.275:                              ;   in Loop: Header=BB280_13 Depth=1
	v_add_nc_u32_e32 v10, v27, v21
	s_waitcnt lgkmcnt(0)
	v_add_f32_e32 v3, v3, v9
	v_cvt_f32_i32_e32 v10, v10
	v_mul_f32_e32 v10, s43, v10
	v_cndmask_b32_e64 v9, 0, v10, s1
	v_max_f32_e32 v10, v17, v17
	v_fmac_f32_e32 v9, s41, v3
	v_add_nc_u32_e32 v3, v19, v21
	v_max_f32_e32 v10, v10, v9
	v_cmp_gt_i32_e64 s2, s31, v3
	v_cndmask_b32_e64 v3, 0, v9, s2
	v_cndmask_b32_e64 v17, v17, v10, s2
	ds_write_b32 v28, v3
	s_branch .LBB280_11
.LBB280_276:
	s_or_b32 exec_lo, exec_lo, s46
.LBB280_277:
	s_or_b32 exec_lo, exec_lo, s45
	v_xor_b32_e32 v3, 16, v18
	v_xor_b32_e32 v4, 8, v18
	v_max_f32_e32 v6, v17, v17
	s_waitcnt lgkmcnt(0)
	v_lshlrev_b32_e32 v9, 2, v14
	v_cmp_gt_i32_e32 vcc_lo, 32, v3
	v_cndmask_b32_e32 v3, v18, v3, vcc_lo
	v_cmp_gt_i32_e32 vcc_lo, 32, v4
	v_lshlrev_b32_e32 v5, 2, v3
	v_cndmask_b32_e32 v4, v18, v4, vcc_lo
	ds_bpermute_b32 v3, v5, v17
	v_lshlrev_b32_e32 v7, 2, v4
	v_and_b32_e32 v17, 31, v0
	s_waitcnt lgkmcnt(0)
	v_max_f32_e32 v3, v3, v3
	v_max_f32_e32 v3, v6, v3
	v_xor_b32_e32 v6, 4, v18
	ds_bpermute_b32 v4, v7, v3
	v_cmp_gt_i32_e32 vcc_lo, 32, v6
	v_cndmask_b32_e32 v6, v18, v6, vcc_lo
	v_lshlrev_b32_e32 v8, 2, v6
	v_xor_b32_e32 v6, 2, v18
	v_cmp_gt_i32_e32 vcc_lo, 32, v6
	s_waitcnt lgkmcnt(0)
	v_max_f32_e32 v4, v4, v4
	v_cndmask_b32_e32 v6, v18, v6, vcc_lo
	v_cmp_eq_u32_e32 vcc_lo, 0, v17
	v_max_f32_e32 v3, v3, v4
	ds_bpermute_b32 v4, v8, v3
	s_waitcnt lgkmcnt(0)
	v_max_f32_e32 v4, v4, v4
	v_max_f32_e32 v3, v3, v4
	v_lshlrev_b32_e32 v4, 2, v6
	ds_bpermute_b32 v6, v4, v3
	s_and_saveexec_b32 s1, vcc_lo
	s_cbranch_execz .LBB280_279
; %bb.278:
	s_waitcnt lgkmcnt(0)
	v_max_f32_e32 v6, v6, v6
	v_max_f32_e32 v3, v3, v3
	;; [unrolled: 1-line block ×3, first 2 shown]
	ds_write_b32 v9, v3 offset:128
.LBB280_279:
	s_or_b32 exec_lo, exec_lo, s1
	v_cmp_gt_u32_e64 s1, 4, v17
	v_mov_b32_e32 v3, 0xff7fffff
	v_lshlrev_b32_e32 v10, 2, v17
	s_waitcnt lgkmcnt(0)
	s_barrier
	buffer_gl0_inv
	s_and_saveexec_b32 s2, s1
; %bb.280:
	ds_read_b32 v3, v10 offset:128
; %bb.281:
	s_or_b32 exec_lo, exec_lo, s2
	s_waitcnt lgkmcnt(0)
	ds_bpermute_b32 v6, v4, v3
	v_xor_b32_e32 v11, 1, v18
	v_max_f32_e32 v3, v3, v3
	v_cmp_gt_i32_e64 s2, 32, v11
	v_cndmask_b32_e64 v11, v18, v11, s2
	s_sub_i32 s2, s20, s44
	s_lshl_b32 s2, s2, 4
	v_lshlrev_b32_e32 v18, 2, v11
	v_mov_b32_e32 v11, 0
	s_add_i32 s2, s2, s33
	s_min_i32 s2, s2, s31
	s_waitcnt lgkmcnt(0)
	v_max_f32_e32 v6, v6, v6
	s_sub_i32 s4, s2, s33
	v_cmp_gt_i32_e64 s2, s4, v0
	v_max_f32_e32 v3, v3, v6
	ds_bpermute_b32 v6, v18, v3
	s_waitcnt lgkmcnt(0)
	v_max_f32_e32 v6, v6, v6
	v_max_f32_e32 v3, v3, v6
	v_lshl_add_u32 v6, v0, 2, 0xa0
	ds_bpermute_b32 v3, v11, v3
	s_and_saveexec_b32 s5, s2
	s_cbranch_execz .LBB280_285
; %bb.282:
	v_lshl_add_u32 v19, v0, 2, 0xa0
	v_mov_b32_e32 v11, 0
	v_mov_b32_e32 v20, v0
	s_mov_b32 s12, 0
	.p2align	6
.LBB280_283:                            ; =>This Inner Loop Header: Depth=1
	ds_read_b32 v21, v19
	v_add_nc_u32_e32 v20, 0x80, v20
	v_cmp_le_i32_e64 s3, s4, v20
	s_or_b32 s12, s3, s12
	s_waitcnt lgkmcnt(0)
	v_sub_f32_e32 v21, v21, v3
	v_mul_f32_e32 v21, 0x3fb8aa3b, v21
	v_exp_f32_e32 v21, v21
	ds_write_b32 v19, v21
	v_add_f32_e32 v11, v11, v21
	v_add_nc_u32_e32 v19, 0x200, v19
	s_andn2_b32 exec_lo, exec_lo, s12
	s_cbranch_execnz .LBB280_283
; %bb.284:
	s_or_b32 exec_lo, exec_lo, s12
.LBB280_285:
	s_or_b32 exec_lo, exec_lo, s5
	ds_bpermute_b32 v5, v5, v11
	s_waitcnt lgkmcnt(0)
	v_add_f32_e32 v5, v11, v5
	ds_bpermute_b32 v7, v7, v5
	s_waitcnt lgkmcnt(0)
	v_add_f32_e32 v5, v5, v7
	ds_bpermute_b32 v7, v8, v5
	s_waitcnt lgkmcnt(0)
	v_add_f32_e32 v5, v5, v7
	ds_bpermute_b32 v7, v4, v5
	s_waitcnt lgkmcnt(0)
	v_add_f32_e32 v5, v5, v7
	ds_bpermute_b32 v7, v18, v5
	s_waitcnt lgkmcnt(0)
	v_add_f32_e32 v5, v5, v7
	s_and_saveexec_b32 s3, vcc_lo
; %bb.286:
	ds_write_b32 v9, v5 offset:144
; %bb.287:
	s_or_b32 exec_lo, exec_lo, s3
	s_waitcnt lgkmcnt(0)
	s_barrier
	buffer_gl0_inv
	s_and_saveexec_b32 s3, s1
; %bb.288:
	ds_read_b32 v5, v10 offset:144
; %bb.289:
	s_or_b32 exec_lo, exec_lo, s3
	s_waitcnt lgkmcnt(0)
	ds_bpermute_b32 v4, v4, v5
	s_waitcnt lgkmcnt(0)
	v_add_f32_e32 v4, v5, v4
	ds_bpermute_b32 v5, v18, v4
	s_waitcnt lgkmcnt(0)
	v_add_f32_e32 v4, v4, v5
	v_mov_b32_e32 v5, 0
	ds_bpermute_b32 v4, v5, v4
	s_and_saveexec_b32 s1, s2
	s_cbranch_execz .LBB280_292
; %bb.290:
	s_waitcnt lgkmcnt(0)
	v_add_f32_e32 v5, 0x358637bd, v4
	s_mov_b32 s2, 0
	v_div_scale_f32 v7, null, v5, v5, 1.0
	v_div_scale_f32 v10, vcc_lo, 1.0, v5, 1.0
	v_rcp_f32_e32 v8, v7
	v_fma_f32 v9, -v7, v8, 1.0
	v_fmac_f32_e32 v8, v9, v8
	v_mul_f32_e32 v9, v10, v8
	v_fma_f32 v11, -v7, v9, v10
	v_fmac_f32_e32 v9, v11, v8
	v_fma_f32 v7, -v7, v9, v10
	v_div_fmas_f32 v7, v7, v8, v9
	v_div_fixup_f32 v5, v7, v5, 1.0
	v_mov_b32_e32 v7, v0
.LBB280_291:                            ; =>This Inner Loop Header: Depth=1
	ds_read_b32 v8, v6
	v_add_nc_u32_e32 v7, 0x80, v7
	v_cmp_le_i32_e32 vcc_lo, s4, v7
	s_or_b32 s2, vcc_lo, s2
	s_waitcnt lgkmcnt(0)
	v_mul_f32_e32 v8, v5, v8
	ds_write_b32 v6, v8
	v_add_nc_u32_e32 v6, 0x200, v6
	s_andn2_b32 exec_lo, exec_lo, s2
	s_cbranch_execnz .LBB280_291
.LBB280_292:
	s_or_b32 exec_lo, exec_lo, s1
	s_mul_i32 s1, s7, s30
	s_waitcnt lgkmcnt(0)
	s_mul_i32 s2, s1, s9
	s_mov_b32 s1, exec_lo
	s_barrier
	buffer_gl0_inv
	v_cmpx_eq_u32_e32 0, v0
	s_cbranch_execz .LBB280_294
; %bb.293:
	s_ashr_i32 s3, s2, 31
	s_mul_i32 s12, s7, s6
	s_lshl_b64 s[4:5], s[2:3], 2
	v_mov_b32_e32 v5, 0
	s_add_u32 s3, s26, s4
	s_addc_u32 s6, s27, s5
	s_ashr_i32 s13, s12, 31
	s_lshl_b64 s[12:13], s[12:13], 2
	s_add_u32 s3, s3, s12
	s_addc_u32 s6, s6, s13
	s_ashr_i32 s9, s8, 31
	s_lshl_b64 s[26:27], s[8:9], 2
	s_add_u32 s44, s3, s26
	s_addc_u32 s45, s6, s27
	s_add_u32 s3, s24, s4
	s_addc_u32 s4, s25, s5
	;; [unrolled: 2-line block ×4, first 2 shown]
	global_store_dword v5, v3, s[44:45]
	global_store_dword v5, v4, s[4:5]
.LBB280_294:
	s_or_b32 exec_lo, exec_lo, s1
	v_mov_b32_e32 v23, 0
	v_mov_b32_e32 v21, 0
	;; [unrolled: 1-line block ×4, first 2 shown]
	s_and_saveexec_b32 s1, s0
	s_cbranch_execz .LBB280_564
; %bb.295:
	s_sub_i32 s3, s42, s21
	s_ashr_i32 s0, s18, 31
	s_add_u32 s12, s38, s18
	s_addc_u32 s0, s39, s0
	s_abs_i32 s6, s22
	v_and_b32_e32 v5, 0xf8, v16
	v_cvt_f32_u32_e32 v3, s6
	s_sub_i32 s4, 0, s6
	v_lshlrev_b64 v[6:7], 2, v[1:2]
	v_lshlrev_b32_e32 v2, 5, v13
	s_add_i32 s40, s40, -1
	v_rcp_iflag_f32_e32 v4, v3
	v_and_b32_e32 v22, 8, v16
	v_mov_b32_e32 v3, 0
	v_lshl_or_b32 v2, v14, 6, v2
	v_mov_b32_e32 v16, 0x80
	v_mov_b32_e32 v24, 0x7f
	;; [unrolled: 1-line block ×6, first 2 shown]
	v_mul_f32_e32 v4, 0x4f7ffffe, v4
	v_mov_b32_e32 v21, 0
	v_add_nc_u32_e32 v27, 0xa0, v2
	v_mov_b32_e32 v23, 0
	s_mov_b32 s9, s17
	v_cvt_u32_f32_e32 v8, v4
	v_add_co_u32 v4, s12, s12, v5
	v_add_co_ci_u32_e64 v5, null, s0, 0, s12
	v_mul_lo_u32 v9, s4, v8
	s_lshl_b64 s[4:5], s[36:37], 2
	s_mov_b32 s12, 0
	s_add_u32 s0, s34, s4
	s_addc_u32 s4, s35, s5
	v_add_co_u32 v6, vcc_lo, s0, v6
	v_add_co_ci_u32_e64 v7, null, s4, v7, vcc_lo
	v_mul_hi_u32 v9, v8, v9
	s_mov_b32 s4, -1
	s_mov_b32 s5, 0xffffff
	v_add_nc_u32_e32 v28, v8, v9
	s_branch .LBB280_298
.LBB280_296:                            ;   in Loop: Header=BB280_298 Depth=1
	s_or_b32 exec_lo, exec_lo, s0
	;;#ASMSTART
	v_pk_mul_f16 v29, v42, v47;

	;;#ASMEND
	;;#ASMSTART
	v_pk_mul_f16 v9, v41, v9;

	;;#ASMEND
	;; [unrolled: 4-line block ×4, first 2 shown]
	;;#ASMSTART
	v_pk_add_f16 v9, v29, v9;

	;;#ASMEND
	;;#ASMSTART
	v_pk_add_f16 v8, v9, v8;

	;;#ASMEND
	;;#ASMSTART
	v_pk_add_f16 v2, v8, v2;

	;;#ASMEND
	v_and_b32_e32 v29, 0xffff, v2
	v_lshrrev_b32_e32 v30, 16, v2
	v_add_f32_e32 v2, v10, v11
	;;#ASMSTART
	v_cvt_f32_f16 v10, v29;
	;;#ASMEND
	v_add_f32_e32 v8, v43, v44
	v_add_f32_e32 v9, v37, v38
	;;#ASMSTART
	v_cvt_f32_f16 v11, v30;
	;;#ASMEND
	v_add_f32_e32 v10, v10, v11
	v_add_f32_e32 v20, v20, v2
	;; [unrolled: 1-line block ×5, first 2 shown]
.LBB280_297:                            ;   in Loop: Header=BB280_298 Depth=1
	s_or_b32 exec_lo, exec_lo, s13
	v_add_nc_u32_e32 v1, 4, v1
	v_add_co_u32 v6, s0, v6, 16
	v_add_co_ci_u32_e64 v7, null, 0, v7, s0
	v_cmp_le_i32_e32 vcc_lo, s20, v1
	v_add_nc_u32_e32 v15, 64, v15
	v_add_nc_u32_e32 v27, 0x100, v27
	s_or_b32 s12, vcc_lo, s12
	s_andn2_b32 exec_lo, exec_lo, s12
	s_cbranch_execz .LBB280_563
.LBB280_298:                            ; =>This Inner Loop Header: Depth=1
	v_sub_nc_u32_e32 v2, 0, v15
	v_max_i32_e32 v2, v15, v2
	v_mul_hi_u32 v8, v2, s16
	v_mul_lo_u32 v9, v8, s11
	v_sub_nc_u32_e32 v2, v2, v9
	v_add_nc_u32_e32 v9, 1, v8
	v_subrev_nc_u32_e32 v10, s11, v2
	v_cmp_le_u32_e32 vcc_lo, s11, v2
	v_cndmask_b32_e32 v8, v8, v9, vcc_lo
	v_cndmask_b32_e32 v2, v2, v10, vcc_lo
	v_ashrrev_i32_e32 v9, 31, v15
	v_add_nc_u32_e32 v10, 1, v8
	v_cmp_le_u32_e32 vcc_lo, s11, v2
	v_xor_b32_e32 v9, s23, v9
	v_cndmask_b32_e32 v2, v8, v10, vcc_lo
	v_xor_b32_e32 v2, v2, v9
	v_sub_nc_u32_e32 v2, v2, v9
	v_add_nc_u32_e32 v8, s19, v2
	v_cmp_lt_i32_e64 s0, s3, v2
	v_sub_nc_u32_e32 v9, 0, v8
	v_max_i32_e32 v9, v8, v9
	v_ashrrev_i32_e32 v8, 31, v8
	v_mul_hi_u32 v10, v9, v28
	v_mul_lo_u32 v10, v10, s6
	v_sub_nc_u32_e32 v9, v9, v10
	v_subrev_nc_u32_e32 v10, s6, v9
	v_cmp_le_u32_e32 vcc_lo, s6, v9
	v_cndmask_b32_e32 v9, v9, v10, vcc_lo
	v_subrev_nc_u32_e32 v10, s6, v9
	v_cmp_le_u32_e32 vcc_lo, s6, v9
	v_cndmask_b32_e32 v9, v9, v10, vcc_lo
	v_xor_b32_e32 v9, v9, v8
	v_sub_nc_u32_e32 v8, v9, v8
	v_cmp_eq_u32_e32 vcc_lo, 0, v8
	s_or_b32 s0, vcc_lo, s0
	s_and_saveexec_b32 s13, s0
	s_cbranch_execz .LBB280_297
; %bb.299:                              ;   in Loop: Header=BB280_298 Depth=1
	global_load_dword v2, v[6:7], off
	ds_read2_b64 v[29:32], v27 offset1:1
	ds_read2_b64 v[33:36], v27 offset0:2 offset1:3
	s_waitcnt lgkmcnt(1)
	;;#ASMSTART
	v_cvt_f16_f32 v37, v29;

	;;#ASMEND
	;;#ASMSTART
	v_cvt_f16_f32 v38, v30;

	;;#ASMEND
	;; [unrolled: 4-line block ×4, first 2 shown]
	s_waitcnt lgkmcnt(0)
	;;#ASMSTART
	v_cvt_f16_f32 v42, v33;

	;;#ASMEND
	;;#ASMSTART
	v_cvt_f16_f32 v40, v34;

	;;#ASMEND
	;; [unrolled: 4-line block ×4, first 2 shown]
	v_mov_b32_e32 v31, 0
	v_mov_b32_e32 v32, 0
	global_load_dword v30, v31, s[14:15]
	s_waitcnt vmcnt(1)
	v_mad_i64_i32 v[8:9], null, v2, s9, v[4:5]
	global_load_dwordx2 v[10:11], v[8:9], off
	s_waitcnt vmcnt(0)
	v_cmp_ne_u16_sdwa s17, v10, v3 src0_sel:BYTE_0 src1_sel:DWORD
	s_and_saveexec_b32 s0, s17
	s_cbranch_execz .LBB280_307
; %bb.300:                              ;   in Loop: Header=BB280_298 Depth=1
	v_cmp_ne_u16_sdwa s18, v10, v16 src0_sel:BYTE_0 src1_sel:DWORD
	v_mov_b32_e32 v32, 0x8000
	s_and_saveexec_b32 s17, s18
	s_cbranch_execz .LBB280_306
; %bb.301:                              ;   in Loop: Header=BB280_298 Depth=1
	v_and_b32_e32 v33, 0x7f, v10
	v_mov_b32_e32 v32, 0x7c01
	s_mov_b32 s18, exec_lo
	v_cmpx_ne_u32_e32 0x7f, v33
	s_cbranch_execz .LBB280_305
; %bb.302:                              ;   in Loop: Header=BB280_298 Depth=1
	v_and_b32_e32 v2, 7, v10
	v_lshrrev_b32_e32 v29, 3, v33
	s_mov_b32 s21, exec_lo
	v_cmpx_gt_u32_e32 8, v33
; %bb.303:                              ;   in Loop: Header=BB280_298 Depth=1
	v_ffbh_u32_e32 v2, v2
	v_min_u32_e32 v2, 32, v2
	v_subrev_nc_u32_e32 v29, 28, v2
	v_lshlrev_b64 v[32:33], v29, v[10:11]
	v_sub_nc_u32_e32 v29, 29, v2
	v_and_b32_e32 v2, 7, v32
; %bb.304:                              ;   in Loop: Header=BB280_298 Depth=1
	s_or_b32 exec_lo, exec_lo, s21
	v_lshlrev_b32_e32 v32, 8, v10
	v_lshl_add_u32 v29, v29, 10, 0x2000
	v_lshlrev_b32_e32 v2, 7, v2
	v_and_b32_e32 v32, 0x8000, v32
	v_and_b32_e32 v29, 0xfc00, v29
	v_or3_b32 v32, v32, v29, v2
.LBB280_305:                            ;   in Loop: Header=BB280_298 Depth=1
	s_or_b32 exec_lo, exec_lo, s18
.LBB280_306:                            ;   in Loop: Header=BB280_298 Depth=1
	s_or_b32 exec_lo, exec_lo, s17
.LBB280_307:                            ;   in Loop: Header=BB280_298 Depth=1
	s_or_b32 exec_lo, exec_lo, s0
	v_lshrrev_b16 v2, 8, v10
	s_mov_b32 s0, exec_lo
	v_cmpx_ne_u16_e32 0, v2
	s_cbranch_execz .LBB280_315
; %bb.308:                              ;   in Loop: Header=BB280_298 Depth=1
	v_bfrev_b32_e32 v31, 1
	s_mov_b32 s17, exec_lo
	v_cmpx_ne_u16_e32 0x80, v2
	s_cbranch_execz .LBB280_314
; %bb.309:                              ;   in Loop: Header=BB280_298 Depth=1
	v_and_b32_sdwa v33, v2, v24 dst_sel:DWORD dst_unused:UNUSED_PAD src0_sel:WORD_0 src1_sel:DWORD
	v_mov_b32_e32 v31, 0x7c010000
	s_mov_b32 s18, exec_lo
	v_cmpx_ne_u32_e32 0x7f, v33
	s_cbranch_execz .LBB280_313
; %bb.310:                              ;   in Loop: Header=BB280_298 Depth=1
	v_and_b32_sdwa v29, v2, v25 dst_sel:DWORD dst_unused:UNUSED_PAD src0_sel:WORD_0 src1_sel:DWORD
	v_lshrrev_b32_e32 v31, 3, v33
	s_mov_b32 s21, exec_lo
	v_cmpx_gt_u32_e32 8, v33
; %bb.311:                              ;   in Loop: Header=BB280_298 Depth=1
	v_ffbh_u32_e32 v29, v29
	v_min_u32_e32 v29, 32, v29
	v_subrev_nc_u32_e32 v31, 28, v29
	v_lshlrev_b64 v[33:34], v31, v[2:3]
	v_sub_nc_u32_e32 v31, 29, v29
	v_and_b32_e32 v29, 7, v33
; %bb.312:                              ;   in Loop: Header=BB280_298 Depth=1
	s_or_b32 exec_lo, exec_lo, s21
	v_lshlrev_b32_sdwa v2, v26, v2 dst_sel:DWORD dst_unused:UNUSED_PAD src0_sel:DWORD src1_sel:WORD_0
	v_lshl_add_u32 v31, v31, 10, 0x2000
	v_lshlrev_b32_e32 v29, 23, v29
	v_and_or_b32 v2, 0x8000, v2, v31
	v_lshl_or_b32 v31, v2, 16, v29
.LBB280_313:                            ;   in Loop: Header=BB280_298 Depth=1
	s_or_b32 exec_lo, exec_lo, s18
.LBB280_314:                            ;   in Loop: Header=BB280_298 Depth=1
	s_or_b32 exec_lo, exec_lo, s17
.LBB280_315:                            ;   in Loop: Header=BB280_298 Depth=1
	s_or_b32 exec_lo, exec_lo, s0
	v_lshrrev_b32_e32 v2, 16, v10
	v_mov_b32_e32 v33, 0
	v_mov_b32_e32 v29, 0
	v_cmp_ne_u16_sdwa s17, v2, v3 src0_sel:BYTE_0 src1_sel:DWORD
	s_and_saveexec_b32 s0, s17
	s_cbranch_execz .LBB280_323
; %bb.316:                              ;   in Loop: Header=BB280_298 Depth=1
	v_cmp_ne_u16_sdwa s18, v2, v16 src0_sel:BYTE_0 src1_sel:DWORD
	v_mov_b32_e32 v29, 0x8000
	s_and_saveexec_b32 s17, s18
	s_cbranch_execz .LBB280_322
; %bb.317:                              ;   in Loop: Header=BB280_298 Depth=1
	v_bfe_u32 v35, v10, 16, 7
	v_mov_b32_e32 v29, 0x7c01
	s_mov_b32 s18, exec_lo
	v_cmpx_ne_u32_e32 0x7f, v35
	s_cbranch_execz .LBB280_321
; %bb.318:                              ;   in Loop: Header=BB280_298 Depth=1
	v_and_b32_e32 v29, 7, v2
	v_lshrrev_b32_e32 v34, 3, v35
	s_mov_b32 s21, exec_lo
	v_cmpx_gt_u32_e32 8, v35
; %bb.319:                              ;   in Loop: Header=BB280_298 Depth=1
	v_ffbh_u32_e32 v29, v29
	v_min_u32_e32 v29, 32, v29
	v_subrev_nc_u32_e32 v34, 28, v29
	v_lshlrev_b64 v[35:36], v34, v[2:3]
	v_sub_nc_u32_e32 v34, 29, v29
	v_and_b32_e32 v29, 7, v35
; %bb.320:                              ;   in Loop: Header=BB280_298 Depth=1
	s_or_b32 exec_lo, exec_lo, s21
	v_lshlrev_b32_e32 v2, 8, v2
	v_lshl_add_u32 v34, v34, 10, 0x2000
	v_lshlrev_b32_e32 v29, 7, v29
	v_and_b32_e32 v2, 0x8000, v2
	v_and_b32_e32 v34, 0xfc00, v34
	v_or3_b32 v29, v2, v34, v29
.LBB280_321:                            ;   in Loop: Header=BB280_298 Depth=1
	s_or_b32 exec_lo, exec_lo, s18
.LBB280_322:                            ;   in Loop: Header=BB280_298 Depth=1
	s_or_b32 exec_lo, exec_lo, s17
.LBB280_323:                            ;   in Loop: Header=BB280_298 Depth=1
	s_or_b32 exec_lo, exec_lo, s0
	s_mov_b32 s0, exec_lo
	v_cmpx_lt_u32_e32 0xffffff, v10
	s_cbranch_execz .LBB280_331
; %bb.324:                              ;   in Loop: Header=BB280_298 Depth=1
	v_lshrrev_b32_e32 v2, 24, v10
	v_bfrev_b32_e32 v33, 1
	s_mov_b32 s17, exec_lo
	v_cmpx_ne_u32_e32 0x80, v2
	s_cbranch_execz .LBB280_330
; %bb.325:                              ;   in Loop: Header=BB280_298 Depth=1
	v_and_b32_e32 v35, 0x7f, v2
	v_mov_b32_e32 v33, 0x7c010000
	s_mov_b32 s18, exec_lo
	v_cmpx_ne_u32_e32 0x7f, v35
	s_cbranch_execz .LBB280_329
; %bb.326:                              ;   in Loop: Header=BB280_298 Depth=1
	v_and_b32_e32 v33, 7, v2
	v_lshrrev_b32_e32 v34, 3, v35
	s_mov_b32 s21, exec_lo
	v_cmpx_gt_u32_e32 8, v35
; %bb.327:                              ;   in Loop: Header=BB280_298 Depth=1
	v_ffbh_u32_e32 v33, v33
	v_min_u32_e32 v35, 32, v33
	v_subrev_nc_u32_e32 v33, 28, v35
	v_lshlrev_b64 v[33:34], v33, v[2:3]
	v_sub_nc_u32_e32 v34, 29, v35
	v_and_b32_e32 v33, 7, v33
; %bb.328:                              ;   in Loop: Header=BB280_298 Depth=1
	s_or_b32 exec_lo, exec_lo, s21
	v_lshlrev_b32_e32 v2, 8, v2
	v_lshl_add_u32 v34, v34, 10, 0x2000
	v_lshlrev_b32_e32 v33, 23, v33
	v_and_or_b32 v2, 0x8000, v2, v34
	v_lshl_or_b32 v33, v2, 16, v33
.LBB280_329:                            ;   in Loop: Header=BB280_298 Depth=1
	s_or_b32 exec_lo, exec_lo, s18
.LBB280_330:                            ;   in Loop: Header=BB280_298 Depth=1
	s_or_b32 exec_lo, exec_lo, s17
.LBB280_331:                            ;   in Loop: Header=BB280_298 Depth=1
	s_or_b32 exec_lo, exec_lo, s0
	v_mov_b32_e32 v2, v11
	v_cmp_ne_u16_sdwa s17, v11, v3 src0_sel:BYTE_0 src1_sel:DWORD
	v_mov_b32_e32 v34, 0
	v_mov_b32_e32 v35, 0
	s_and_saveexec_b32 s0, s17
	s_cbranch_execz .LBB280_339
; %bb.332:                              ;   in Loop: Header=BB280_298 Depth=1
	v_cmp_ne_u16_sdwa s18, v11, v16 src0_sel:BYTE_0 src1_sel:DWORD
	v_mov_b32_e32 v35, 0x8000
	s_and_saveexec_b32 s17, s18
	s_cbranch_execz .LBB280_338
; %bb.333:                              ;   in Loop: Header=BB280_298 Depth=1
	v_and_b32_e32 v45, 0x7f, v11
	v_mov_b32_e32 v35, 0x7c01
	s_mov_b32 s18, exec_lo
	v_cmpx_ne_u32_e32 0x7f, v45
	s_cbranch_execz .LBB280_337
; %bb.334:                              ;   in Loop: Header=BB280_298 Depth=1
	v_and_b32_e32 v35, 7, v11
	v_lshrrev_b32_e32 v36, 3, v45
	s_mov_b32 s21, exec_lo
	v_cmpx_gt_u32_e32 8, v45
; %bb.335:                              ;   in Loop: Header=BB280_298 Depth=1
	v_ffbh_u32_e32 v35, v35
	v_min_u32_e32 v45, 32, v35
	v_subrev_nc_u32_e32 v35, 28, v45
	v_lshlrev_b64 v[35:36], v35, v[2:3]
	v_sub_nc_u32_e32 v36, 29, v45
	v_and_b32_e32 v35, 7, v35
; %bb.336:                              ;   in Loop: Header=BB280_298 Depth=1
	s_or_b32 exec_lo, exec_lo, s21
	v_lshlrev_b32_e32 v45, 8, v11
	v_lshl_add_u32 v36, v36, 10, 0x2000
	v_lshlrev_b32_e32 v35, 7, v35
	v_and_b32_e32 v45, 0x8000, v45
	v_and_b32_e32 v36, 0xfc00, v36
	v_or3_b32 v35, v45, v36, v35
.LBB280_337:                            ;   in Loop: Header=BB280_298 Depth=1
	s_or_b32 exec_lo, exec_lo, s18
.LBB280_338:                            ;   in Loop: Header=BB280_298 Depth=1
	s_or_b32 exec_lo, exec_lo, s17
.LBB280_339:                            ;   in Loop: Header=BB280_298 Depth=1
	s_or_b32 exec_lo, exec_lo, s0
	v_lshrrev_b16 v2, 8, v2
	v_mov_b32_e32 v36, 0
	s_mov_b32 s0, exec_lo
	v_cmpx_ne_u16_e32 0, v2
	s_cbranch_execz .LBB280_347
; %bb.340:                              ;   in Loop: Header=BB280_298 Depth=1
	v_bfrev_b32_e32 v36, 1
	s_mov_b32 s17, exec_lo
	v_cmpx_ne_u16_e32 0x80, v2
	s_cbranch_execz .LBB280_346
; %bb.341:                              ;   in Loop: Header=BB280_298 Depth=1
	v_and_b32_sdwa v46, v2, v24 dst_sel:DWORD dst_unused:UNUSED_PAD src0_sel:WORD_0 src1_sel:DWORD
	v_mov_b32_e32 v36, 0x7c010000
	s_mov_b32 s18, exec_lo
	v_cmpx_ne_u32_e32 0x7f, v46
	s_cbranch_execz .LBB280_345
; %bb.342:                              ;   in Loop: Header=BB280_298 Depth=1
	v_and_b32_sdwa v36, v2, v25 dst_sel:DWORD dst_unused:UNUSED_PAD src0_sel:WORD_0 src1_sel:DWORD
	v_lshrrev_b32_e32 v45, 3, v46
	s_mov_b32 s21, exec_lo
	v_cmpx_gt_u32_e32 8, v46
; %bb.343:                              ;   in Loop: Header=BB280_298 Depth=1
	v_ffbh_u32_e32 v36, v36
	v_min_u32_e32 v36, 32, v36
	v_subrev_nc_u32_e32 v45, 28, v36
	v_lshlrev_b64 v[46:47], v45, v[2:3]
	v_sub_nc_u32_e32 v45, 29, v36
	v_and_b32_e32 v36, 7, v46
; %bb.344:                              ;   in Loop: Header=BB280_298 Depth=1
	s_or_b32 exec_lo, exec_lo, s21
	v_lshlrev_b32_sdwa v2, v26, v2 dst_sel:DWORD dst_unused:UNUSED_PAD src0_sel:DWORD src1_sel:WORD_0
	v_lshl_add_u32 v45, v45, 10, 0x2000
	v_lshlrev_b32_e32 v36, 23, v36
	v_and_or_b32 v2, 0x8000, v2, v45
	v_lshl_or_b32 v36, v2, 16, v36
.LBB280_345:                            ;   in Loop: Header=BB280_298 Depth=1
	s_or_b32 exec_lo, exec_lo, s18
.LBB280_346:                            ;   in Loop: Header=BB280_298 Depth=1
	s_or_b32 exec_lo, exec_lo, s17
.LBB280_347:                            ;   in Loop: Header=BB280_298 Depth=1
	s_or_b32 exec_lo, exec_lo, s0
	v_lshrrev_b32_e32 v2, 16, v11
	v_cmp_ne_u16_sdwa s17, v2, v3 src0_sel:BYTE_0 src1_sel:DWORD
	s_and_saveexec_b32 s0, s17
	s_cbranch_execz .LBB280_355
; %bb.348:                              ;   in Loop: Header=BB280_298 Depth=1
	v_cmp_ne_u16_sdwa s18, v2, v16 src0_sel:BYTE_0 src1_sel:DWORD
	v_mov_b32_e32 v34, 0x8000
	s_and_saveexec_b32 s17, s18
	s_cbranch_execz .LBB280_354
; %bb.349:                              ;   in Loop: Header=BB280_298 Depth=1
	v_bfe_u32 v46, v11, 16, 7
	v_mov_b32_e32 v34, 0x7c01
	s_mov_b32 s18, exec_lo
	v_cmpx_ne_u32_e32 0x7f, v46
	s_cbranch_execz .LBB280_353
; %bb.350:                              ;   in Loop: Header=BB280_298 Depth=1
	v_and_b32_e32 v34, 7, v2
	v_lshrrev_b32_e32 v45, 3, v46
	s_mov_b32 s21, exec_lo
	v_cmpx_gt_u32_e32 8, v46
; %bb.351:                              ;   in Loop: Header=BB280_298 Depth=1
	v_ffbh_u32_e32 v34, v34
	v_min_u32_e32 v34, 32, v34
	v_subrev_nc_u32_e32 v45, 28, v34
	v_lshlrev_b64 v[46:47], v45, v[2:3]
	v_sub_nc_u32_e32 v45, 29, v34
	v_and_b32_e32 v34, 7, v46
; %bb.352:                              ;   in Loop: Header=BB280_298 Depth=1
	s_or_b32 exec_lo, exec_lo, s21
	v_lshlrev_b32_e32 v2, 8, v2
	v_lshl_add_u32 v45, v45, 10, 0x2000
	v_lshlrev_b32_e32 v34, 7, v34
	v_and_b32_e32 v2, 0x8000, v2
	v_and_b32_e32 v45, 0xfc00, v45
	v_or3_b32 v34, v2, v45, v34
.LBB280_353:                            ;   in Loop: Header=BB280_298 Depth=1
	s_or_b32 exec_lo, exec_lo, s18
.LBB280_354:                            ;   in Loop: Header=BB280_298 Depth=1
	s_or_b32 exec_lo, exec_lo, s17
.LBB280_355:                            ;   in Loop: Header=BB280_298 Depth=1
	s_or_b32 exec_lo, exec_lo, s0
	v_cmp_lt_u64_e32 vcc_lo, s[4:5], v[10:11]
	v_mov_b32_e32 v10, 0
	s_and_saveexec_b32 s0, vcc_lo
	s_cbranch_execz .LBB280_363
; %bb.356:                              ;   in Loop: Header=BB280_298 Depth=1
	v_lshrrev_b32_e32 v2, 24, v11
	v_bfrev_b32_e32 v10, 1
	s_mov_b32 s17, exec_lo
	v_cmpx_ne_u32_e32 0x80, v2
	s_cbranch_execz .LBB280_362
; %bb.357:                              ;   in Loop: Header=BB280_298 Depth=1
	v_and_b32_e32 v45, 0x7f, v2
	v_mov_b32_e32 v10, 0x7c010000
	s_mov_b32 s18, exec_lo
	v_cmpx_ne_u32_e32 0x7f, v45
	s_cbranch_execz .LBB280_361
; %bb.358:                              ;   in Loop: Header=BB280_298 Depth=1
	v_and_b32_e32 v10, 7, v2
	v_lshrrev_b32_e32 v11, 3, v45
	s_mov_b32 s21, exec_lo
	v_cmpx_gt_u32_e32 8, v45
; %bb.359:                              ;   in Loop: Header=BB280_298 Depth=1
	v_ffbh_u32_e32 v10, v10
	v_min_u32_e32 v45, 32, v10
	v_subrev_nc_u32_e32 v10, 28, v45
	v_lshlrev_b64 v[10:11], v10, v[2:3]
	v_sub_nc_u32_e32 v11, 29, v45
	v_and_b32_e32 v10, 7, v10
; %bb.360:                              ;   in Loop: Header=BB280_298 Depth=1
	s_or_b32 exec_lo, exec_lo, s21
	v_lshlrev_b32_e32 v2, 8, v2
	v_lshl_add_u32 v11, v11, 10, 0x2000
	v_lshlrev_b32_e32 v10, 23, v10
	v_and_or_b32 v2, 0x8000, v2, v11
	v_lshl_or_b32 v10, v2, 16, v10
.LBB280_361:                            ;   in Loop: Header=BB280_298 Depth=1
	s_or_b32 exec_lo, exec_lo, s18
.LBB280_362:                            ;   in Loop: Header=BB280_298 Depth=1
	s_or_b32 exec_lo, exec_lo, s17
.LBB280_363:                            ;   in Loop: Header=BB280_298 Depth=1
	s_or_b32 exec_lo, exec_lo, s0
	v_or_b32_e32 v2, v33, v29
	v_fma_mixlo_f16 v11, v30, v33, 0 op_sel:[0,1,0] op_sel_hi:[0,1,0]
	v_or_b32_e32 v32, v31, v32
	v_fma_mixlo_f16 v31, v30, v31, 0 op_sel:[0,1,0] op_sel_hi:[0,1,0]
	v_or_b32_e32 v33, v36, v35
	v_fma_mixlo_f16 v2, v30, v2, 0 op_sel_hi:[0,1,0]
	v_or_b32_e32 v34, v10, v34
	v_fma_mixlo_f16 v10, v30, v10, 0 op_sel:[0,1,0] op_sel_hi:[0,1,0]
	v_lshlrev_b32_e32 v51, 16, v31
	v_fma_mixlo_f16 v31, v30, v36, 0 op_sel:[0,1,0] op_sel_hi:[0,1,0]
	v_and_b32_e32 v48, 0xffff, v2
	v_fma_mixlo_f16 v2, v30, v32, 0 op_sel_hi:[0,1,0]
	v_fma_mixlo_f16 v32, v30, v33, 0 op_sel_hi:[0,1,0]
	;; [unrolled: 1-line block ×3, first 2 shown]
	v_add_nc_u32_e32 v29, v22, v15
	v_lshlrev_b32_e32 v11, 16, v11
	v_and_b32_e32 v53, 0xffff, v2
	v_lshlrev_b32_e32 v49, 16, v31
	v_and_b32_e32 v52, 0xffff, v32
	;; [unrolled: 2-line block ×3, first 2 shown]
	v_cmp_eq_u32_e32 vcc_lo, s40, v1
	v_or_b32_e32 v2, v11, v48
	v_or_b32_e32 v10, v51, v53
	;; [unrolled: 1-line block ×4, first 2 shown]
	v_add_nc_u32_e32 v36, 1, v29
	v_add_nc_u32_e32 v35, 2, v29
	;; [unrolled: 1-line block ×7, first 2 shown]
	s_and_saveexec_b32 s17, vcc_lo
	s_cbranch_execz .LBB280_365
; %bb.364:                              ;   in Loop: Header=BB280_298 Depth=1
	v_cmp_gt_i32_e64 s0, s31, v29
	v_cndmask_b32_e64 v2, 0, v53, s0
	v_cmp_gt_i32_e64 s0, s31, v36
	v_cndmask_b32_e64 v10, 0, v51, s0
	v_cmp_gt_i32_e64 s0, s31, v35
	v_or_b32_e32 v10, v10, v2
	v_cndmask_b32_e64 v45, 0, v48, s0
	v_cmp_gt_i32_e64 s0, s31, v34
	v_cndmask_b32_e64 v11, 0, v11, s0
	v_cmp_gt_i32_e64 s0, s31, v33
	v_or_b32_e32 v2, v11, v45
	;; [unrolled: 5-line block ×3, first 2 shown]
	v_cndmask_b32_e64 v49, 0, v50, s0
	v_cmp_gt_i32_e64 s0, s31, v30
	v_cndmask_b32_e64 v46, 0, v46, s0
	v_or_b32_e32 v47, v46, v49
.LBB280_365:                            ;   in Loop: Header=BB280_298 Depth=1
	s_or_b32 exec_lo, exec_lo, s17
	v_and_b32_e32 v11, 0xffff, v37
	v_and_b32_e32 v37, 0xffff, v41
	;; [unrolled: 1-line block ×4, first 2 shown]
	v_lshl_or_b32 v42, v38, 16, v11
	v_lshl_or_b32 v41, v39, 16, v37
	;;#ASMSTART
	v_pk_mul_f16 v10, v42, v10;

	;;#ASMEND
	;;#ASMSTART
	v_pk_mul_f16 v2, v41, v2;

	;;#ASMEND
	v_lshl_or_b32 v40, v40, 16, v46
	v_lshl_or_b32 v39, v43, 16, v44
	;;#ASMSTART
	v_pk_mul_f16 v11, v40, v45;

	;;#ASMEND
	;;#ASMSTART
	v_pk_mul_f16 v37, v39, v47;

	;;#ASMEND
	;;#ASMSTART
	v_pk_add_f16 v2, v10, v2;

	;;#ASMEND
	;;#ASMSTART
	v_pk_add_f16 v2, v2, v11;
	;; [unrolled: 4-line block ×3, first 2 shown]

	;;#ASMEND
	v_and_b32_e32 v10, 0xffff, v2
	v_lshrrev_b32_e32 v2, 16, v2
	;;#ASMSTART
	v_cvt_f32_f16 v37, v10;
	;;#ASMEND
	;;#ASMSTART
	v_cvt_f32_f16 v38, v2;
	;;#ASMEND
	global_load_dwordx2 v[10:11], v[8:9], off offset:256
	v_mov_b32_e32 v44, 0
	v_mov_b32_e32 v45, 0
	global_load_dword v43, v44, s[14:15]
	s_waitcnt vmcnt(1)
	v_cmp_ne_u16_sdwa s0, v10, v3 src0_sel:BYTE_0 src1_sel:DWORD
	s_and_saveexec_b32 s17, s0
	s_cbranch_execz .LBB280_373
; %bb.366:                              ;   in Loop: Header=BB280_298 Depth=1
	v_cmp_ne_u16_sdwa s0, v10, v16 src0_sel:BYTE_0 src1_sel:DWORD
	v_mov_b32_e32 v45, 0x8000
	s_and_saveexec_b32 s18, s0
	s_cbranch_execz .LBB280_372
; %bb.367:                              ;   in Loop: Header=BB280_298 Depth=1
	v_and_b32_e32 v46, 0x7f, v10
	v_mov_b32_e32 v45, 0x7c01
	s_mov_b32 s21, exec_lo
	v_cmpx_ne_u32_e32 0x7f, v46
	s_cbranch_execz .LBB280_371
; %bb.368:                              ;   in Loop: Header=BB280_298 Depth=1
	v_and_b32_e32 v2, 7, v10
	v_lshrrev_b32_e32 v45, 3, v46
	s_mov_b32 s22, exec_lo
	v_cmpx_gt_u32_e32 8, v46
; %bb.369:                              ;   in Loop: Header=BB280_298 Depth=1
	v_ffbh_u32_e32 v2, v2
	v_min_u32_e32 v2, 32, v2
	v_subrev_nc_u32_e32 v45, 28, v2
	v_lshlrev_b64 v[46:47], v45, v[10:11]
	v_sub_nc_u32_e32 v45, 29, v2
	v_and_b32_e32 v2, 7, v46
; %bb.370:                              ;   in Loop: Header=BB280_298 Depth=1
	s_or_b32 exec_lo, exec_lo, s22
	v_lshlrev_b32_e32 v46, 8, v10
	v_lshl_add_u32 v45, v45, 10, 0x2000
	v_lshlrev_b32_e32 v2, 7, v2
	v_and_b32_e32 v46, 0x8000, v46
	v_and_b32_e32 v45, 0xfc00, v45
	v_or3_b32 v45, v46, v45, v2
.LBB280_371:                            ;   in Loop: Header=BB280_298 Depth=1
	s_or_b32 exec_lo, exec_lo, s21
.LBB280_372:                            ;   in Loop: Header=BB280_298 Depth=1
	s_or_b32 exec_lo, exec_lo, s18
.LBB280_373:                            ;   in Loop: Header=BB280_298 Depth=1
	s_or_b32 exec_lo, exec_lo, s17
	v_lshrrev_b16 v2, 8, v10
	s_mov_b32 s17, exec_lo
	v_cmpx_ne_u16_e32 0, v2
	s_cbranch_execz .LBB280_381
; %bb.374:                              ;   in Loop: Header=BB280_298 Depth=1
	v_bfrev_b32_e32 v44, 1
	s_mov_b32 s18, exec_lo
	v_cmpx_ne_u16_e32 0x80, v2
	s_cbranch_execz .LBB280_380
; %bb.375:                              ;   in Loop: Header=BB280_298 Depth=1
	v_and_b32_sdwa v47, v2, v24 dst_sel:DWORD dst_unused:UNUSED_PAD src0_sel:WORD_0 src1_sel:DWORD
	v_mov_b32_e32 v44, 0x7c010000
	s_mov_b32 s21, exec_lo
	v_cmpx_ne_u32_e32 0x7f, v47
	s_cbranch_execz .LBB280_379
; %bb.376:                              ;   in Loop: Header=BB280_298 Depth=1
	v_and_b32_sdwa v44, v2, v25 dst_sel:DWORD dst_unused:UNUSED_PAD src0_sel:WORD_0 src1_sel:DWORD
	v_lshrrev_b32_e32 v46, 3, v47
	s_mov_b32 s22, exec_lo
	v_cmpx_gt_u32_e32 8, v47
; %bb.377:                              ;   in Loop: Header=BB280_298 Depth=1
	v_ffbh_u32_e32 v44, v44
	v_min_u32_e32 v44, 32, v44
	v_subrev_nc_u32_e32 v46, 28, v44
	v_lshlrev_b64 v[47:48], v46, v[2:3]
	v_sub_nc_u32_e32 v46, 29, v44
	v_and_b32_e32 v44, 7, v47
; %bb.378:                              ;   in Loop: Header=BB280_298 Depth=1
	s_or_b32 exec_lo, exec_lo, s22
	v_lshlrev_b32_sdwa v2, v26, v2 dst_sel:DWORD dst_unused:UNUSED_PAD src0_sel:DWORD src1_sel:WORD_0
	v_lshl_add_u32 v46, v46, 10, 0x2000
	v_lshlrev_b32_e32 v44, 23, v44
	v_and_or_b32 v2, 0x8000, v2, v46
	v_lshl_or_b32 v44, v2, 16, v44
.LBB280_379:                            ;   in Loop: Header=BB280_298 Depth=1
	s_or_b32 exec_lo, exec_lo, s21
.LBB280_380:                            ;   in Loop: Header=BB280_298 Depth=1
	s_or_b32 exec_lo, exec_lo, s18
.LBB280_381:                            ;   in Loop: Header=BB280_298 Depth=1
	s_or_b32 exec_lo, exec_lo, s17
	v_lshrrev_b32_e32 v2, 16, v10
	v_mov_b32_e32 v46, 0
	v_mov_b32_e32 v47, 0
	v_cmp_ne_u16_sdwa s0, v2, v3 src0_sel:BYTE_0 src1_sel:DWORD
	s_and_saveexec_b32 s17, s0
	s_cbranch_execz .LBB280_389
; %bb.382:                              ;   in Loop: Header=BB280_298 Depth=1
	v_cmp_ne_u16_sdwa s0, v2, v16 src0_sel:BYTE_0 src1_sel:DWORD
	v_mov_b32_e32 v47, 0x8000
	s_and_saveexec_b32 s18, s0
	s_cbranch_execz .LBB280_388
; %bb.383:                              ;   in Loop: Header=BB280_298 Depth=1
	v_bfe_u32 v49, v10, 16, 7
	v_mov_b32_e32 v47, 0x7c01
	s_mov_b32 s21, exec_lo
	v_cmpx_ne_u32_e32 0x7f, v49
	s_cbranch_execz .LBB280_387
; %bb.384:                              ;   in Loop: Header=BB280_298 Depth=1
	v_and_b32_e32 v47, 7, v2
	v_lshrrev_b32_e32 v48, 3, v49
	s_mov_b32 s22, exec_lo
	v_cmpx_gt_u32_e32 8, v49
; %bb.385:                              ;   in Loop: Header=BB280_298 Depth=1
	v_ffbh_u32_e32 v47, v47
	v_min_u32_e32 v49, 32, v47
	v_subrev_nc_u32_e32 v47, 28, v49
	v_lshlrev_b64 v[47:48], v47, v[2:3]
	v_sub_nc_u32_e32 v48, 29, v49
	v_and_b32_e32 v47, 7, v47
; %bb.386:                              ;   in Loop: Header=BB280_298 Depth=1
	s_or_b32 exec_lo, exec_lo, s22
	v_lshlrev_b32_e32 v2, 8, v2
	v_lshl_add_u32 v48, v48, 10, 0x2000
	v_lshlrev_b32_e32 v47, 7, v47
	v_and_b32_e32 v2, 0x8000, v2
	v_and_b32_e32 v48, 0xfc00, v48
	v_or3_b32 v47, v2, v48, v47
.LBB280_387:                            ;   in Loop: Header=BB280_298 Depth=1
	s_or_b32 exec_lo, exec_lo, s21
.LBB280_388:                            ;   in Loop: Header=BB280_298 Depth=1
	s_or_b32 exec_lo, exec_lo, s18
.LBB280_389:                            ;   in Loop: Header=BB280_298 Depth=1
	s_or_b32 exec_lo, exec_lo, s17
	s_mov_b32 s17, exec_lo
	v_cmpx_lt_u32_e32 0xffffff, v10
	s_cbranch_execz .LBB280_397
; %bb.390:                              ;   in Loop: Header=BB280_298 Depth=1
	v_lshrrev_b32_e32 v2, 24, v10
	v_bfrev_b32_e32 v46, 1
	s_mov_b32 s18, exec_lo
	v_cmpx_ne_u32_e32 0x80, v2
	s_cbranch_execz .LBB280_396
; %bb.391:                              ;   in Loop: Header=BB280_298 Depth=1
	v_and_b32_e32 v49, 0x7f, v2
	v_mov_b32_e32 v46, 0x7c010000
	s_mov_b32 s21, exec_lo
	v_cmpx_ne_u32_e32 0x7f, v49
	s_cbranch_execz .LBB280_395
; %bb.392:                              ;   in Loop: Header=BB280_298 Depth=1
	v_and_b32_e32 v46, 7, v2
	v_lshrrev_b32_e32 v48, 3, v49
	s_mov_b32 s22, exec_lo
	v_cmpx_gt_u32_e32 8, v49
; %bb.393:                              ;   in Loop: Header=BB280_298 Depth=1
	v_ffbh_u32_e32 v46, v46
	v_min_u32_e32 v46, 32, v46
	v_subrev_nc_u32_e32 v48, 28, v46
	v_lshlrev_b64 v[49:50], v48, v[2:3]
	v_sub_nc_u32_e32 v48, 29, v46
	v_and_b32_e32 v46, 7, v49
; %bb.394:                              ;   in Loop: Header=BB280_298 Depth=1
	s_or_b32 exec_lo, exec_lo, s22
	v_lshlrev_b32_e32 v2, 8, v2
	v_lshl_add_u32 v48, v48, 10, 0x2000
	v_lshlrev_b32_e32 v46, 23, v46
	v_and_or_b32 v2, 0x8000, v2, v48
	v_lshl_or_b32 v46, v2, 16, v46
.LBB280_395:                            ;   in Loop: Header=BB280_298 Depth=1
	s_or_b32 exec_lo, exec_lo, s21
.LBB280_396:                            ;   in Loop: Header=BB280_298 Depth=1
	s_or_b32 exec_lo, exec_lo, s18
.LBB280_397:                            ;   in Loop: Header=BB280_298 Depth=1
	s_or_b32 exec_lo, exec_lo, s17
	v_mov_b32_e32 v2, v11
	v_cmp_ne_u16_sdwa s0, v11, v3 src0_sel:BYTE_0 src1_sel:DWORD
	v_mov_b32_e32 v48, 0
	v_mov_b32_e32 v49, 0
	s_and_saveexec_b32 s17, s0
	s_cbranch_execz .LBB280_405
; %bb.398:                              ;   in Loop: Header=BB280_298 Depth=1
	v_cmp_ne_u16_sdwa s0, v11, v16 src0_sel:BYTE_0 src1_sel:DWORD
	v_mov_b32_e32 v49, 0x8000
	s_and_saveexec_b32 s18, s0
	s_cbranch_execz .LBB280_404
; %bb.399:                              ;   in Loop: Header=BB280_298 Depth=1
	v_and_b32_e32 v51, 0x7f, v11
	v_mov_b32_e32 v49, 0x7c01
	s_mov_b32 s21, exec_lo
	v_cmpx_ne_u32_e32 0x7f, v51
	s_cbranch_execz .LBB280_403
; %bb.400:                              ;   in Loop: Header=BB280_298 Depth=1
	v_and_b32_e32 v49, 7, v11
	v_lshrrev_b32_e32 v50, 3, v51
	s_mov_b32 s22, exec_lo
	v_cmpx_gt_u32_e32 8, v51
; %bb.401:                              ;   in Loop: Header=BB280_298 Depth=1
	v_ffbh_u32_e32 v49, v49
	v_min_u32_e32 v51, 32, v49
	v_subrev_nc_u32_e32 v49, 28, v51
	v_lshlrev_b64 v[49:50], v49, v[2:3]
	v_sub_nc_u32_e32 v50, 29, v51
	v_and_b32_e32 v49, 7, v49
; %bb.402:                              ;   in Loop: Header=BB280_298 Depth=1
	s_or_b32 exec_lo, exec_lo, s22
	v_lshlrev_b32_e32 v51, 8, v11
	v_lshl_add_u32 v50, v50, 10, 0x2000
	v_lshlrev_b32_e32 v49, 7, v49
	v_and_b32_e32 v51, 0x8000, v51
	v_and_b32_e32 v50, 0xfc00, v50
	v_or3_b32 v49, v51, v50, v49
.LBB280_403:                            ;   in Loop: Header=BB280_298 Depth=1
	s_or_b32 exec_lo, exec_lo, s21
.LBB280_404:                            ;   in Loop: Header=BB280_298 Depth=1
	s_or_b32 exec_lo, exec_lo, s18
.LBB280_405:                            ;   in Loop: Header=BB280_298 Depth=1
	s_or_b32 exec_lo, exec_lo, s17
	v_lshrrev_b16 v2, 8, v2
	v_mov_b32_e32 v50, 0
	s_mov_b32 s17, exec_lo
	v_cmpx_ne_u16_e32 0, v2
	s_cbranch_execz .LBB280_413
; %bb.406:                              ;   in Loop: Header=BB280_298 Depth=1
	v_bfrev_b32_e32 v50, 1
	s_mov_b32 s18, exec_lo
	v_cmpx_ne_u16_e32 0x80, v2
	s_cbranch_execz .LBB280_412
; %bb.407:                              ;   in Loop: Header=BB280_298 Depth=1
	v_and_b32_sdwa v52, v2, v24 dst_sel:DWORD dst_unused:UNUSED_PAD src0_sel:WORD_0 src1_sel:DWORD
	v_mov_b32_e32 v50, 0x7c010000
	s_mov_b32 s21, exec_lo
	v_cmpx_ne_u32_e32 0x7f, v52
	s_cbranch_execz .LBB280_411
; %bb.408:                              ;   in Loop: Header=BB280_298 Depth=1
	v_and_b32_sdwa v50, v2, v25 dst_sel:DWORD dst_unused:UNUSED_PAD src0_sel:WORD_0 src1_sel:DWORD
	v_lshrrev_b32_e32 v51, 3, v52
	s_mov_b32 s22, exec_lo
	v_cmpx_gt_u32_e32 8, v52
; %bb.409:                              ;   in Loop: Header=BB280_298 Depth=1
	v_ffbh_u32_e32 v50, v50
	v_min_u32_e32 v52, 32, v50
	v_subrev_nc_u32_e32 v50, 28, v52
	v_lshlrev_b64 v[50:51], v50, v[2:3]
	v_sub_nc_u32_e32 v51, 29, v52
	v_and_b32_e32 v50, 7, v50
; %bb.410:                              ;   in Loop: Header=BB280_298 Depth=1
	s_or_b32 exec_lo, exec_lo, s22
	v_lshlrev_b32_sdwa v2, v26, v2 dst_sel:DWORD dst_unused:UNUSED_PAD src0_sel:DWORD src1_sel:WORD_0
	v_lshl_add_u32 v51, v51, 10, 0x2000
	v_lshlrev_b32_e32 v50, 23, v50
	v_and_or_b32 v2, 0x8000, v2, v51
	v_lshl_or_b32 v50, v2, 16, v50
.LBB280_411:                            ;   in Loop: Header=BB280_298 Depth=1
	s_or_b32 exec_lo, exec_lo, s21
.LBB280_412:                            ;   in Loop: Header=BB280_298 Depth=1
	s_or_b32 exec_lo, exec_lo, s18
.LBB280_413:                            ;   in Loop: Header=BB280_298 Depth=1
	s_or_b32 exec_lo, exec_lo, s17
	v_lshrrev_b32_e32 v2, 16, v11
	v_cmp_ne_u16_sdwa s0, v2, v3 src0_sel:BYTE_0 src1_sel:DWORD
	s_and_saveexec_b32 s17, s0
	s_cbranch_execz .LBB280_421
; %bb.414:                              ;   in Loop: Header=BB280_298 Depth=1
	v_cmp_ne_u16_sdwa s0, v2, v16 src0_sel:BYTE_0 src1_sel:DWORD
	v_mov_b32_e32 v48, 0x8000
	s_and_saveexec_b32 s18, s0
	s_cbranch_execz .LBB280_420
; %bb.415:                              ;   in Loop: Header=BB280_298 Depth=1
	v_bfe_u32 v52, v11, 16, 7
	v_mov_b32_e32 v48, 0x7c01
	s_mov_b32 s21, exec_lo
	v_cmpx_ne_u32_e32 0x7f, v52
	s_cbranch_execz .LBB280_419
; %bb.416:                              ;   in Loop: Header=BB280_298 Depth=1
	v_and_b32_e32 v48, 7, v2
	v_lshrrev_b32_e32 v51, 3, v52
	s_mov_b32 s22, exec_lo
	v_cmpx_gt_u32_e32 8, v52
; %bb.417:                              ;   in Loop: Header=BB280_298 Depth=1
	v_ffbh_u32_e32 v48, v48
	v_min_u32_e32 v48, 32, v48
	v_subrev_nc_u32_e32 v51, 28, v48
	v_lshlrev_b64 v[52:53], v51, v[2:3]
	v_sub_nc_u32_e32 v51, 29, v48
	v_and_b32_e32 v48, 7, v52
; %bb.418:                              ;   in Loop: Header=BB280_298 Depth=1
	s_or_b32 exec_lo, exec_lo, s22
	v_lshlrev_b32_e32 v2, 8, v2
	v_lshl_add_u32 v51, v51, 10, 0x2000
	v_lshlrev_b32_e32 v48, 7, v48
	v_and_b32_e32 v2, 0x8000, v2
	v_and_b32_e32 v51, 0xfc00, v51
	v_or3_b32 v48, v2, v51, v48
.LBB280_419:                            ;   in Loop: Header=BB280_298 Depth=1
	s_or_b32 exec_lo, exec_lo, s21
.LBB280_420:                            ;   in Loop: Header=BB280_298 Depth=1
	s_or_b32 exec_lo, exec_lo, s18
.LBB280_421:                            ;   in Loop: Header=BB280_298 Depth=1
	s_or_b32 exec_lo, exec_lo, s17
	v_cmp_lt_u64_e64 s0, s[4:5], v[10:11]
	v_mov_b32_e32 v10, 0
	s_and_saveexec_b32 s17, s0
	s_cbranch_execz .LBB280_429
; %bb.422:                              ;   in Loop: Header=BB280_298 Depth=1
	v_lshrrev_b32_e32 v2, 24, v11
	v_bfrev_b32_e32 v10, 1
	s_mov_b32 s18, exec_lo
	v_cmpx_ne_u32_e32 0x80, v2
	s_cbranch_execz .LBB280_428
; %bb.423:                              ;   in Loop: Header=BB280_298 Depth=1
	v_and_b32_e32 v51, 0x7f, v2
	v_mov_b32_e32 v10, 0x7c010000
	s_mov_b32 s21, exec_lo
	v_cmpx_ne_u32_e32 0x7f, v51
	s_cbranch_execz .LBB280_427
; %bb.424:                              ;   in Loop: Header=BB280_298 Depth=1
	v_and_b32_e32 v10, 7, v2
	v_lshrrev_b32_e32 v11, 3, v51
	s_mov_b32 s22, exec_lo
	v_cmpx_gt_u32_e32 8, v51
; %bb.425:                              ;   in Loop: Header=BB280_298 Depth=1
	v_ffbh_u32_e32 v10, v10
	v_min_u32_e32 v51, 32, v10
	v_subrev_nc_u32_e32 v10, 28, v51
	v_lshlrev_b64 v[10:11], v10, v[2:3]
	v_sub_nc_u32_e32 v11, 29, v51
	v_and_b32_e32 v10, 7, v10
; %bb.426:                              ;   in Loop: Header=BB280_298 Depth=1
	s_or_b32 exec_lo, exec_lo, s22
	v_lshlrev_b32_e32 v2, 8, v2
	v_lshl_add_u32 v11, v11, 10, 0x2000
	v_lshlrev_b32_e32 v10, 23, v10
	v_and_or_b32 v2, 0x8000, v2, v11
	v_lshl_or_b32 v10, v2, 16, v10
.LBB280_427:                            ;   in Loop: Header=BB280_298 Depth=1
	s_or_b32 exec_lo, exec_lo, s21
.LBB280_428:                            ;   in Loop: Header=BB280_298 Depth=1
	s_or_b32 exec_lo, exec_lo, s18
.LBB280_429:                            ;   in Loop: Header=BB280_298 Depth=1
	s_or_b32 exec_lo, exec_lo, s17
	v_or_b32_e32 v2, v46, v47
	s_waitcnt vmcnt(0)
	v_fma_mixlo_f16 v11, v43, v46, 0 op_sel:[0,1,0] op_sel_hi:[0,1,0]
	v_or_b32_e32 v46, v44, v45
	v_fma_mixlo_f16 v44, v43, v44, 0 op_sel:[0,1,0] op_sel_hi:[0,1,0]
	v_or_b32_e32 v47, v50, v49
	v_or_b32_e32 v48, v10, v48
	v_fma_mixlo_f16 v49, v43, v2, 0 op_sel_hi:[0,1,0]
	v_fma_mixlo_f16 v10, v43, v10, 0 op_sel:[0,1,0] op_sel_hi:[0,1,0]
	v_lshlrev_b32_e32 v45, 16, v44
	v_fma_mixlo_f16 v44, v43, v46, 0 op_sel_hi:[0,1,0]
	v_fma_mixlo_f16 v46, v43, v50, 0 op_sel:[0,1,0] op_sel_hi:[0,1,0]
	v_fma_mixlo_f16 v47, v43, v47, 0 op_sel_hi:[0,1,0]
	v_fma_mixlo_f16 v48, v43, v48, 0 op_sel_hi:[0,1,0]
	v_lshlrev_b32_e32 v2, 16, v11
	v_and_b32_e32 v11, 0xffff, v49
	v_and_b32_e32 v51, 0xffff, v44
	v_lshlrev_b32_e32 v43, 16, v46
	v_and_b32_e32 v47, 0xffff, v47
	v_lshlrev_b32_e32 v10, 16, v10
	v_and_b32_e32 v44, 0xffff, v48
	v_or_b32_e32 v46, v2, v11
	v_or_b32_e32 v50, v45, v51
	v_or_b32_e32 v49, v43, v47
	v_or_b32_e32 v48, v10, v44
	s_and_saveexec_b32 s17, vcc_lo
	s_cbranch_execz .LBB280_431
; %bb.430:                              ;   in Loop: Header=BB280_298 Depth=1
	v_cmp_gt_i32_e64 s0, s31, v29
	v_cndmask_b32_e64 v46, 0, v51, s0
	v_cmp_gt_i32_e64 s0, s31, v36
	v_cndmask_b32_e64 v45, 0, v45, s0
	v_cmp_gt_i32_e64 s0, s31, v35
	v_or_b32_e32 v50, v45, v46
	v_cndmask_b32_e64 v11, 0, v11, s0
	v_cmp_gt_i32_e64 s0, s31, v34
	v_cndmask_b32_e64 v2, 0, v2, s0
	v_cmp_gt_i32_e64 s0, s31, v33
	v_or_b32_e32 v46, v2, v11
	;; [unrolled: 5-line block ×3, first 2 shown]
	v_cndmask_b32_e64 v44, 0, v44, s0
	v_cmp_gt_i32_e64 s0, s31, v30
	v_cndmask_b32_e64 v10, 0, v10, s0
	v_or_b32_e32 v48, v10, v44
.LBB280_431:                            ;   in Loop: Header=BB280_298 Depth=1
	s_or_b32 exec_lo, exec_lo, s17
	;;#ASMSTART
	v_pk_mul_f16 v2, v42, v50;

	;;#ASMEND
	;;#ASMSTART
	v_pk_mul_f16 v10, v41, v46;

	;;#ASMEND
	;; [unrolled: 4-line block ×4, first 2 shown]
	;;#ASMSTART
	v_pk_add_f16 v2, v2, v10;

	;;#ASMEND
	;;#ASMSTART
	v_pk_add_f16 v2, v2, v11;

	;;#ASMEND
	;; [unrolled: 4-line block ×3, first 2 shown]
	v_and_b32_e32 v10, 0xffff, v2
	v_lshrrev_b32_e32 v2, 16, v2
	;;#ASMSTART
	v_cvt_f32_f16 v43, v10;
	;;#ASMEND
	;;#ASMSTART
	v_cvt_f32_f16 v44, v2;
	;;#ASMEND
	global_load_dwordx2 v[10:11], v[8:9], off offset:512
	v_mov_b32_e32 v46, 0
	v_mov_b32_e32 v47, 0
	global_load_dword v45, v46, s[14:15]
	s_waitcnt vmcnt(1)
	v_cmp_ne_u16_sdwa s0, v10, v3 src0_sel:BYTE_0 src1_sel:DWORD
	s_and_saveexec_b32 s17, s0
	s_cbranch_execz .LBB280_439
; %bb.432:                              ;   in Loop: Header=BB280_298 Depth=1
	v_cmp_ne_u16_sdwa s0, v10, v16 src0_sel:BYTE_0 src1_sel:DWORD
	v_mov_b32_e32 v47, 0x8000
	s_and_saveexec_b32 s18, s0
	s_cbranch_execz .LBB280_438
; %bb.433:                              ;   in Loop: Header=BB280_298 Depth=1
	v_and_b32_e32 v48, 0x7f, v10
	v_mov_b32_e32 v47, 0x7c01
	s_mov_b32 s21, exec_lo
	v_cmpx_ne_u32_e32 0x7f, v48
	s_cbranch_execz .LBB280_437
; %bb.434:                              ;   in Loop: Header=BB280_298 Depth=1
	v_and_b32_e32 v2, 7, v10
	v_lshrrev_b32_e32 v47, 3, v48
	s_mov_b32 s22, exec_lo
	v_cmpx_gt_u32_e32 8, v48
; %bb.435:                              ;   in Loop: Header=BB280_298 Depth=1
	v_ffbh_u32_e32 v2, v2
	v_min_u32_e32 v2, 32, v2
	v_subrev_nc_u32_e32 v47, 28, v2
	v_lshlrev_b64 v[48:49], v47, v[10:11]
	v_sub_nc_u32_e32 v47, 29, v2
	v_and_b32_e32 v2, 7, v48
; %bb.436:                              ;   in Loop: Header=BB280_298 Depth=1
	s_or_b32 exec_lo, exec_lo, s22
	v_lshlrev_b32_e32 v48, 8, v10
	v_lshl_add_u32 v47, v47, 10, 0x2000
	v_lshlrev_b32_e32 v2, 7, v2
	v_and_b32_e32 v48, 0x8000, v48
	v_and_b32_e32 v47, 0xfc00, v47
	v_or3_b32 v47, v48, v47, v2
.LBB280_437:                            ;   in Loop: Header=BB280_298 Depth=1
	s_or_b32 exec_lo, exec_lo, s21
.LBB280_438:                            ;   in Loop: Header=BB280_298 Depth=1
	s_or_b32 exec_lo, exec_lo, s18
.LBB280_439:                            ;   in Loop: Header=BB280_298 Depth=1
	s_or_b32 exec_lo, exec_lo, s17
	v_lshrrev_b16 v2, 8, v10
	s_mov_b32 s17, exec_lo
	v_cmpx_ne_u16_e32 0, v2
	s_cbranch_execz .LBB280_447
; %bb.440:                              ;   in Loop: Header=BB280_298 Depth=1
	v_bfrev_b32_e32 v46, 1
	s_mov_b32 s18, exec_lo
	v_cmpx_ne_u16_e32 0x80, v2
	s_cbranch_execz .LBB280_446
; %bb.441:                              ;   in Loop: Header=BB280_298 Depth=1
	v_and_b32_sdwa v49, v2, v24 dst_sel:DWORD dst_unused:UNUSED_PAD src0_sel:WORD_0 src1_sel:DWORD
	v_mov_b32_e32 v46, 0x7c010000
	s_mov_b32 s21, exec_lo
	v_cmpx_ne_u32_e32 0x7f, v49
	s_cbranch_execz .LBB280_445
; %bb.442:                              ;   in Loop: Header=BB280_298 Depth=1
	v_and_b32_sdwa v46, v2, v25 dst_sel:DWORD dst_unused:UNUSED_PAD src0_sel:WORD_0 src1_sel:DWORD
	v_lshrrev_b32_e32 v48, 3, v49
	s_mov_b32 s22, exec_lo
	v_cmpx_gt_u32_e32 8, v49
; %bb.443:                              ;   in Loop: Header=BB280_298 Depth=1
	v_ffbh_u32_e32 v46, v46
	v_min_u32_e32 v46, 32, v46
	v_subrev_nc_u32_e32 v48, 28, v46
	v_lshlrev_b64 v[49:50], v48, v[2:3]
	v_sub_nc_u32_e32 v48, 29, v46
	v_and_b32_e32 v46, 7, v49
; %bb.444:                              ;   in Loop: Header=BB280_298 Depth=1
	s_or_b32 exec_lo, exec_lo, s22
	v_lshlrev_b32_sdwa v2, v26, v2 dst_sel:DWORD dst_unused:UNUSED_PAD src0_sel:DWORD src1_sel:WORD_0
	v_lshl_add_u32 v48, v48, 10, 0x2000
	v_lshlrev_b32_e32 v46, 23, v46
	v_and_or_b32 v2, 0x8000, v2, v48
	v_lshl_or_b32 v46, v2, 16, v46
.LBB280_445:                            ;   in Loop: Header=BB280_298 Depth=1
	s_or_b32 exec_lo, exec_lo, s21
.LBB280_446:                            ;   in Loop: Header=BB280_298 Depth=1
	s_or_b32 exec_lo, exec_lo, s18
.LBB280_447:                            ;   in Loop: Header=BB280_298 Depth=1
	s_or_b32 exec_lo, exec_lo, s17
	v_lshrrev_b32_e32 v2, 16, v10
	v_mov_b32_e32 v48, 0
	v_mov_b32_e32 v49, 0
	v_cmp_ne_u16_sdwa s0, v2, v3 src0_sel:BYTE_0 src1_sel:DWORD
	s_and_saveexec_b32 s17, s0
	s_cbranch_execz .LBB280_455
; %bb.448:                              ;   in Loop: Header=BB280_298 Depth=1
	v_cmp_ne_u16_sdwa s0, v2, v16 src0_sel:BYTE_0 src1_sel:DWORD
	v_mov_b32_e32 v49, 0x8000
	s_and_saveexec_b32 s18, s0
	s_cbranch_execz .LBB280_454
; %bb.449:                              ;   in Loop: Header=BB280_298 Depth=1
	v_bfe_u32 v51, v10, 16, 7
	v_mov_b32_e32 v49, 0x7c01
	s_mov_b32 s21, exec_lo
	v_cmpx_ne_u32_e32 0x7f, v51
	s_cbranch_execz .LBB280_453
; %bb.450:                              ;   in Loop: Header=BB280_298 Depth=1
	v_and_b32_e32 v49, 7, v2
	v_lshrrev_b32_e32 v50, 3, v51
	s_mov_b32 s22, exec_lo
	v_cmpx_gt_u32_e32 8, v51
; %bb.451:                              ;   in Loop: Header=BB280_298 Depth=1
	v_ffbh_u32_e32 v49, v49
	v_min_u32_e32 v51, 32, v49
	v_subrev_nc_u32_e32 v49, 28, v51
	v_lshlrev_b64 v[49:50], v49, v[2:3]
	v_sub_nc_u32_e32 v50, 29, v51
	v_and_b32_e32 v49, 7, v49
; %bb.452:                              ;   in Loop: Header=BB280_298 Depth=1
	s_or_b32 exec_lo, exec_lo, s22
	v_lshlrev_b32_e32 v2, 8, v2
	v_lshl_add_u32 v50, v50, 10, 0x2000
	v_lshlrev_b32_e32 v49, 7, v49
	v_and_b32_e32 v2, 0x8000, v2
	v_and_b32_e32 v50, 0xfc00, v50
	v_or3_b32 v49, v2, v50, v49
.LBB280_453:                            ;   in Loop: Header=BB280_298 Depth=1
	s_or_b32 exec_lo, exec_lo, s21
.LBB280_454:                            ;   in Loop: Header=BB280_298 Depth=1
	s_or_b32 exec_lo, exec_lo, s18
.LBB280_455:                            ;   in Loop: Header=BB280_298 Depth=1
	s_or_b32 exec_lo, exec_lo, s17
	s_mov_b32 s17, exec_lo
	v_cmpx_lt_u32_e32 0xffffff, v10
	s_cbranch_execz .LBB280_463
; %bb.456:                              ;   in Loop: Header=BB280_298 Depth=1
	v_lshrrev_b32_e32 v2, 24, v10
	v_bfrev_b32_e32 v48, 1
	s_mov_b32 s18, exec_lo
	v_cmpx_ne_u32_e32 0x80, v2
	s_cbranch_execz .LBB280_462
; %bb.457:                              ;   in Loop: Header=BB280_298 Depth=1
	v_and_b32_e32 v51, 0x7f, v2
	v_mov_b32_e32 v48, 0x7c010000
	s_mov_b32 s21, exec_lo
	v_cmpx_ne_u32_e32 0x7f, v51
	s_cbranch_execz .LBB280_461
; %bb.458:                              ;   in Loop: Header=BB280_298 Depth=1
	v_and_b32_e32 v48, 7, v2
	v_lshrrev_b32_e32 v50, 3, v51
	s_mov_b32 s22, exec_lo
	v_cmpx_gt_u32_e32 8, v51
; %bb.459:                              ;   in Loop: Header=BB280_298 Depth=1
	v_ffbh_u32_e32 v48, v48
	v_min_u32_e32 v48, 32, v48
	v_subrev_nc_u32_e32 v50, 28, v48
	v_lshlrev_b64 v[51:52], v50, v[2:3]
	v_sub_nc_u32_e32 v50, 29, v48
	v_and_b32_e32 v48, 7, v51
; %bb.460:                              ;   in Loop: Header=BB280_298 Depth=1
	s_or_b32 exec_lo, exec_lo, s22
	v_lshlrev_b32_e32 v2, 8, v2
	v_lshl_add_u32 v50, v50, 10, 0x2000
	v_lshlrev_b32_e32 v48, 23, v48
	v_and_or_b32 v2, 0x8000, v2, v50
	v_lshl_or_b32 v48, v2, 16, v48
.LBB280_461:                            ;   in Loop: Header=BB280_298 Depth=1
	s_or_b32 exec_lo, exec_lo, s21
.LBB280_462:                            ;   in Loop: Header=BB280_298 Depth=1
	s_or_b32 exec_lo, exec_lo, s18
.LBB280_463:                            ;   in Loop: Header=BB280_298 Depth=1
	s_or_b32 exec_lo, exec_lo, s17
	v_mov_b32_e32 v2, v11
	v_cmp_ne_u16_sdwa s0, v11, v3 src0_sel:BYTE_0 src1_sel:DWORD
	v_mov_b32_e32 v50, 0
	v_mov_b32_e32 v51, 0
	s_and_saveexec_b32 s17, s0
	s_cbranch_execz .LBB280_471
; %bb.464:                              ;   in Loop: Header=BB280_298 Depth=1
	v_cmp_ne_u16_sdwa s0, v11, v16 src0_sel:BYTE_0 src1_sel:DWORD
	v_mov_b32_e32 v51, 0x8000
	s_and_saveexec_b32 s18, s0
	s_cbranch_execz .LBB280_470
; %bb.465:                              ;   in Loop: Header=BB280_298 Depth=1
	v_and_b32_e32 v53, 0x7f, v11
	v_mov_b32_e32 v51, 0x7c01
	s_mov_b32 s21, exec_lo
	v_cmpx_ne_u32_e32 0x7f, v53
	s_cbranch_execz .LBB280_469
; %bb.466:                              ;   in Loop: Header=BB280_298 Depth=1
	v_and_b32_e32 v51, 7, v11
	v_lshrrev_b32_e32 v52, 3, v53
	s_mov_b32 s22, exec_lo
	v_cmpx_gt_u32_e32 8, v53
; %bb.467:                              ;   in Loop: Header=BB280_298 Depth=1
	v_ffbh_u32_e32 v51, v51
	v_min_u32_e32 v53, 32, v51
	v_subrev_nc_u32_e32 v51, 28, v53
	v_lshlrev_b64 v[51:52], v51, v[2:3]
	v_sub_nc_u32_e32 v52, 29, v53
	v_and_b32_e32 v51, 7, v51
; %bb.468:                              ;   in Loop: Header=BB280_298 Depth=1
	s_or_b32 exec_lo, exec_lo, s22
	v_lshlrev_b32_e32 v53, 8, v11
	v_lshl_add_u32 v52, v52, 10, 0x2000
	v_lshlrev_b32_e32 v51, 7, v51
	v_and_b32_e32 v53, 0x8000, v53
	v_and_b32_e32 v52, 0xfc00, v52
	v_or3_b32 v51, v53, v52, v51
.LBB280_469:                            ;   in Loop: Header=BB280_298 Depth=1
	s_or_b32 exec_lo, exec_lo, s21
.LBB280_470:                            ;   in Loop: Header=BB280_298 Depth=1
	s_or_b32 exec_lo, exec_lo, s18
.LBB280_471:                            ;   in Loop: Header=BB280_298 Depth=1
	s_or_b32 exec_lo, exec_lo, s17
	v_lshrrev_b16 v2, 8, v2
	v_mov_b32_e32 v52, 0
	s_mov_b32 s17, exec_lo
	v_cmpx_ne_u16_e32 0, v2
	s_cbranch_execz .LBB280_479
; %bb.472:                              ;   in Loop: Header=BB280_298 Depth=1
	v_bfrev_b32_e32 v52, 1
	s_mov_b32 s18, exec_lo
	v_cmpx_ne_u16_e32 0x80, v2
	s_cbranch_execz .LBB280_478
; %bb.473:                              ;   in Loop: Header=BB280_298 Depth=1
	v_and_b32_sdwa v54, v2, v24 dst_sel:DWORD dst_unused:UNUSED_PAD src0_sel:WORD_0 src1_sel:DWORD
	v_mov_b32_e32 v52, 0x7c010000
	s_mov_b32 s21, exec_lo
	v_cmpx_ne_u32_e32 0x7f, v54
	s_cbranch_execz .LBB280_477
; %bb.474:                              ;   in Loop: Header=BB280_298 Depth=1
	v_and_b32_sdwa v52, v2, v25 dst_sel:DWORD dst_unused:UNUSED_PAD src0_sel:WORD_0 src1_sel:DWORD
	v_lshrrev_b32_e32 v53, 3, v54
	s_mov_b32 s22, exec_lo
	v_cmpx_gt_u32_e32 8, v54
; %bb.475:                              ;   in Loop: Header=BB280_298 Depth=1
	v_ffbh_u32_e32 v52, v52
	v_min_u32_e32 v54, 32, v52
	v_subrev_nc_u32_e32 v52, 28, v54
	v_lshlrev_b64 v[52:53], v52, v[2:3]
	v_sub_nc_u32_e32 v53, 29, v54
	v_and_b32_e32 v52, 7, v52
; %bb.476:                              ;   in Loop: Header=BB280_298 Depth=1
	s_or_b32 exec_lo, exec_lo, s22
	v_lshlrev_b32_sdwa v2, v26, v2 dst_sel:DWORD dst_unused:UNUSED_PAD src0_sel:DWORD src1_sel:WORD_0
	v_lshl_add_u32 v53, v53, 10, 0x2000
	v_lshlrev_b32_e32 v52, 23, v52
	v_and_or_b32 v2, 0x8000, v2, v53
	v_lshl_or_b32 v52, v2, 16, v52
.LBB280_477:                            ;   in Loop: Header=BB280_298 Depth=1
	s_or_b32 exec_lo, exec_lo, s21
.LBB280_478:                            ;   in Loop: Header=BB280_298 Depth=1
	s_or_b32 exec_lo, exec_lo, s18
.LBB280_479:                            ;   in Loop: Header=BB280_298 Depth=1
	s_or_b32 exec_lo, exec_lo, s17
	v_lshrrev_b32_e32 v2, 16, v11
	v_cmp_ne_u16_sdwa s0, v2, v3 src0_sel:BYTE_0 src1_sel:DWORD
	s_and_saveexec_b32 s17, s0
	s_cbranch_execz .LBB280_487
; %bb.480:                              ;   in Loop: Header=BB280_298 Depth=1
	v_cmp_ne_u16_sdwa s0, v2, v16 src0_sel:BYTE_0 src1_sel:DWORD
	v_mov_b32_e32 v50, 0x8000
	s_and_saveexec_b32 s18, s0
	s_cbranch_execz .LBB280_486
; %bb.481:                              ;   in Loop: Header=BB280_298 Depth=1
	v_bfe_u32 v54, v11, 16, 7
	v_mov_b32_e32 v50, 0x7c01
	s_mov_b32 s21, exec_lo
	v_cmpx_ne_u32_e32 0x7f, v54
	s_cbranch_execz .LBB280_485
; %bb.482:                              ;   in Loop: Header=BB280_298 Depth=1
	v_and_b32_e32 v50, 7, v2
	v_lshrrev_b32_e32 v53, 3, v54
	s_mov_b32 s22, exec_lo
	v_cmpx_gt_u32_e32 8, v54
; %bb.483:                              ;   in Loop: Header=BB280_298 Depth=1
	v_ffbh_u32_e32 v50, v50
	v_min_u32_e32 v50, 32, v50
	v_subrev_nc_u32_e32 v53, 28, v50
	v_lshlrev_b64 v[54:55], v53, v[2:3]
	v_sub_nc_u32_e32 v53, 29, v50
	v_and_b32_e32 v50, 7, v54
; %bb.484:                              ;   in Loop: Header=BB280_298 Depth=1
	s_or_b32 exec_lo, exec_lo, s22
	v_lshlrev_b32_e32 v2, 8, v2
	v_lshl_add_u32 v53, v53, 10, 0x2000
	v_lshlrev_b32_e32 v50, 7, v50
	v_and_b32_e32 v2, 0x8000, v2
	v_and_b32_e32 v53, 0xfc00, v53
	v_or3_b32 v50, v2, v53, v50
.LBB280_485:                            ;   in Loop: Header=BB280_298 Depth=1
	s_or_b32 exec_lo, exec_lo, s21
.LBB280_486:                            ;   in Loop: Header=BB280_298 Depth=1
	s_or_b32 exec_lo, exec_lo, s18
.LBB280_487:                            ;   in Loop: Header=BB280_298 Depth=1
	s_or_b32 exec_lo, exec_lo, s17
	v_cmp_lt_u64_e64 s0, s[4:5], v[10:11]
	v_mov_b32_e32 v10, 0
	s_and_saveexec_b32 s17, s0
	s_cbranch_execz .LBB280_495
; %bb.488:                              ;   in Loop: Header=BB280_298 Depth=1
	v_lshrrev_b32_e32 v2, 24, v11
	v_bfrev_b32_e32 v10, 1
	s_mov_b32 s18, exec_lo
	v_cmpx_ne_u32_e32 0x80, v2
	s_cbranch_execz .LBB280_494
; %bb.489:                              ;   in Loop: Header=BB280_298 Depth=1
	v_and_b32_e32 v53, 0x7f, v2
	v_mov_b32_e32 v10, 0x7c010000
	s_mov_b32 s21, exec_lo
	v_cmpx_ne_u32_e32 0x7f, v53
	s_cbranch_execz .LBB280_493
; %bb.490:                              ;   in Loop: Header=BB280_298 Depth=1
	v_and_b32_e32 v10, 7, v2
	v_lshrrev_b32_e32 v11, 3, v53
	s_mov_b32 s22, exec_lo
	v_cmpx_gt_u32_e32 8, v53
; %bb.491:                              ;   in Loop: Header=BB280_298 Depth=1
	v_ffbh_u32_e32 v10, v10
	v_min_u32_e32 v53, 32, v10
	v_subrev_nc_u32_e32 v10, 28, v53
	v_lshlrev_b64 v[10:11], v10, v[2:3]
	v_sub_nc_u32_e32 v11, 29, v53
	v_and_b32_e32 v10, 7, v10
; %bb.492:                              ;   in Loop: Header=BB280_298 Depth=1
	s_or_b32 exec_lo, exec_lo, s22
	v_lshlrev_b32_e32 v2, 8, v2
	v_lshl_add_u32 v11, v11, 10, 0x2000
	v_lshlrev_b32_e32 v10, 23, v10
	v_and_or_b32 v2, 0x8000, v2, v11
	v_lshl_or_b32 v10, v2, 16, v10
.LBB280_493:                            ;   in Loop: Header=BB280_298 Depth=1
	s_or_b32 exec_lo, exec_lo, s21
.LBB280_494:                            ;   in Loop: Header=BB280_298 Depth=1
	s_or_b32 exec_lo, exec_lo, s18
.LBB280_495:                            ;   in Loop: Header=BB280_298 Depth=1
	s_or_b32 exec_lo, exec_lo, s17
	v_or_b32_e32 v2, v48, v49
	s_waitcnt vmcnt(0)
	v_fma_mixlo_f16 v11, v45, v48, 0 op_sel:[0,1,0] op_sel_hi:[0,1,0]
	v_or_b32_e32 v48, v46, v47
	v_fma_mixlo_f16 v46, v45, v46, 0 op_sel:[0,1,0] op_sel_hi:[0,1,0]
	v_or_b32_e32 v49, v52, v51
	v_or_b32_e32 v50, v10, v50
	v_fma_mixlo_f16 v51, v45, v2, 0 op_sel_hi:[0,1,0]
	v_fma_mixlo_f16 v10, v45, v10, 0 op_sel:[0,1,0] op_sel_hi:[0,1,0]
	v_lshlrev_b32_e32 v47, 16, v46
	v_fma_mixlo_f16 v46, v45, v48, 0 op_sel_hi:[0,1,0]
	v_fma_mixlo_f16 v48, v45, v52, 0 op_sel:[0,1,0] op_sel_hi:[0,1,0]
	v_fma_mixlo_f16 v49, v45, v49, 0 op_sel_hi:[0,1,0]
	v_fma_mixlo_f16 v50, v45, v50, 0 op_sel_hi:[0,1,0]
	v_lshlrev_b32_e32 v2, 16, v11
	v_and_b32_e32 v11, 0xffff, v51
	v_and_b32_e32 v53, 0xffff, v46
	v_lshlrev_b32_e32 v45, 16, v48
	v_and_b32_e32 v49, 0xffff, v49
	v_lshlrev_b32_e32 v10, 16, v10
	v_and_b32_e32 v46, 0xffff, v50
	v_or_b32_e32 v48, v2, v11
	v_or_b32_e32 v52, v47, v53
	;; [unrolled: 1-line block ×4, first 2 shown]
	s_and_saveexec_b32 s17, vcc_lo
	s_cbranch_execz .LBB280_497
; %bb.496:                              ;   in Loop: Header=BB280_298 Depth=1
	v_cmp_gt_i32_e64 s0, s31, v29
	v_cndmask_b32_e64 v48, 0, v53, s0
	v_cmp_gt_i32_e64 s0, s31, v36
	v_cndmask_b32_e64 v47, 0, v47, s0
	v_cmp_gt_i32_e64 s0, s31, v35
	v_or_b32_e32 v52, v47, v48
	v_cndmask_b32_e64 v11, 0, v11, s0
	v_cmp_gt_i32_e64 s0, s31, v34
	v_cndmask_b32_e64 v2, 0, v2, s0
	v_cmp_gt_i32_e64 s0, s31, v33
	v_or_b32_e32 v48, v2, v11
	;; [unrolled: 5-line block ×3, first 2 shown]
	v_cndmask_b32_e64 v46, 0, v46, s0
	v_cmp_gt_i32_e64 s0, s31, v30
	v_cndmask_b32_e64 v10, 0, v10, s0
	v_or_b32_e32 v50, v10, v46
.LBB280_497:                            ;   in Loop: Header=BB280_298 Depth=1
	s_or_b32 exec_lo, exec_lo, s17
	;;#ASMSTART
	v_pk_mul_f16 v2, v42, v52;

	;;#ASMEND
	;;#ASMSTART
	v_pk_mul_f16 v10, v41, v48;

	;;#ASMEND
	;; [unrolled: 4-line block ×4, first 2 shown]
	;;#ASMSTART
	v_pk_add_f16 v2, v2, v10;

	;;#ASMEND
	;;#ASMSTART
	v_pk_add_f16 v2, v2, v11;

	;;#ASMEND
	;; [unrolled: 4-line block ×3, first 2 shown]
	v_and_b32_e32 v10, 0xffff, v2
	v_lshrrev_b32_e32 v2, 16, v2
	;;#ASMSTART
	v_cvt_f32_f16 v10, v10;
	;;#ASMEND
	;;#ASMSTART
	v_cvt_f32_f16 v11, v2;
	;;#ASMEND
	global_load_dwordx2 v[8:9], v[8:9], off offset:768
	v_mov_b32_e32 v46, 0
	v_mov_b32_e32 v47, 0
	global_load_dword v45, v46, s[14:15]
	s_waitcnt vmcnt(1)
	v_cmp_ne_u16_sdwa s0, v8, v3 src0_sel:BYTE_0 src1_sel:DWORD
	s_and_saveexec_b32 s17, s0
	s_cbranch_execz .LBB280_505
; %bb.498:                              ;   in Loop: Header=BB280_298 Depth=1
	v_cmp_ne_u16_sdwa s0, v8, v16 src0_sel:BYTE_0 src1_sel:DWORD
	v_mov_b32_e32 v47, 0x8000
	s_and_saveexec_b32 s18, s0
	s_cbranch_execz .LBB280_504
; %bb.499:                              ;   in Loop: Header=BB280_298 Depth=1
	v_and_b32_e32 v48, 0x7f, v8
	v_mov_b32_e32 v47, 0x7c01
	s_mov_b32 s21, exec_lo
	v_cmpx_ne_u32_e32 0x7f, v48
	s_cbranch_execz .LBB280_503
; %bb.500:                              ;   in Loop: Header=BB280_298 Depth=1
	v_and_b32_e32 v2, 7, v8
	v_lshrrev_b32_e32 v47, 3, v48
	s_mov_b32 s22, exec_lo
	v_cmpx_gt_u32_e32 8, v48
; %bb.501:                              ;   in Loop: Header=BB280_298 Depth=1
	v_ffbh_u32_e32 v2, v2
	v_min_u32_e32 v2, 32, v2
	v_subrev_nc_u32_e32 v47, 28, v2
	v_lshlrev_b64 v[48:49], v47, v[8:9]
	v_sub_nc_u32_e32 v47, 29, v2
	v_and_b32_e32 v2, 7, v48
; %bb.502:                              ;   in Loop: Header=BB280_298 Depth=1
	s_or_b32 exec_lo, exec_lo, s22
	v_lshlrev_b32_e32 v48, 8, v8
	v_lshl_add_u32 v47, v47, 10, 0x2000
	v_lshlrev_b32_e32 v2, 7, v2
	v_and_b32_e32 v48, 0x8000, v48
	v_and_b32_e32 v47, 0xfc00, v47
	v_or3_b32 v47, v48, v47, v2
.LBB280_503:                            ;   in Loop: Header=BB280_298 Depth=1
	s_or_b32 exec_lo, exec_lo, s21
.LBB280_504:                            ;   in Loop: Header=BB280_298 Depth=1
	s_or_b32 exec_lo, exec_lo, s18
.LBB280_505:                            ;   in Loop: Header=BB280_298 Depth=1
	s_or_b32 exec_lo, exec_lo, s17
	v_lshrrev_b16 v2, 8, v8
	s_mov_b32 s17, exec_lo
	v_cmpx_ne_u16_e32 0, v2
	s_cbranch_execz .LBB280_513
; %bb.506:                              ;   in Loop: Header=BB280_298 Depth=1
	v_bfrev_b32_e32 v46, 1
	s_mov_b32 s18, exec_lo
	v_cmpx_ne_u16_e32 0x80, v2
	s_cbranch_execz .LBB280_512
; %bb.507:                              ;   in Loop: Header=BB280_298 Depth=1
	v_and_b32_sdwa v49, v2, v24 dst_sel:DWORD dst_unused:UNUSED_PAD src0_sel:WORD_0 src1_sel:DWORD
	v_mov_b32_e32 v46, 0x7c010000
	s_mov_b32 s21, exec_lo
	v_cmpx_ne_u32_e32 0x7f, v49
	s_cbranch_execz .LBB280_511
; %bb.508:                              ;   in Loop: Header=BB280_298 Depth=1
	v_and_b32_sdwa v46, v2, v25 dst_sel:DWORD dst_unused:UNUSED_PAD src0_sel:WORD_0 src1_sel:DWORD
	v_lshrrev_b32_e32 v48, 3, v49
	s_mov_b32 s22, exec_lo
	v_cmpx_gt_u32_e32 8, v49
; %bb.509:                              ;   in Loop: Header=BB280_298 Depth=1
	v_ffbh_u32_e32 v46, v46
	v_min_u32_e32 v46, 32, v46
	v_subrev_nc_u32_e32 v48, 28, v46
	v_lshlrev_b64 v[49:50], v48, v[2:3]
	v_sub_nc_u32_e32 v48, 29, v46
	v_and_b32_e32 v46, 7, v49
; %bb.510:                              ;   in Loop: Header=BB280_298 Depth=1
	s_or_b32 exec_lo, exec_lo, s22
	v_lshlrev_b32_sdwa v2, v26, v2 dst_sel:DWORD dst_unused:UNUSED_PAD src0_sel:DWORD src1_sel:WORD_0
	v_lshl_add_u32 v48, v48, 10, 0x2000
	v_lshlrev_b32_e32 v46, 23, v46
	v_and_or_b32 v2, 0x8000, v2, v48
	v_lshl_or_b32 v46, v2, 16, v46
.LBB280_511:                            ;   in Loop: Header=BB280_298 Depth=1
	s_or_b32 exec_lo, exec_lo, s21
.LBB280_512:                            ;   in Loop: Header=BB280_298 Depth=1
	s_or_b32 exec_lo, exec_lo, s18
.LBB280_513:                            ;   in Loop: Header=BB280_298 Depth=1
	s_or_b32 exec_lo, exec_lo, s17
	v_lshrrev_b32_e32 v2, 16, v8
	v_mov_b32_e32 v48, 0
	v_mov_b32_e32 v49, 0
	v_cmp_ne_u16_sdwa s0, v2, v3 src0_sel:BYTE_0 src1_sel:DWORD
	s_and_saveexec_b32 s17, s0
	s_cbranch_execz .LBB280_521
; %bb.514:                              ;   in Loop: Header=BB280_298 Depth=1
	v_cmp_ne_u16_sdwa s0, v2, v16 src0_sel:BYTE_0 src1_sel:DWORD
	v_mov_b32_e32 v49, 0x8000
	s_and_saveexec_b32 s18, s0
	s_cbranch_execz .LBB280_520
; %bb.515:                              ;   in Loop: Header=BB280_298 Depth=1
	v_bfe_u32 v51, v8, 16, 7
	v_mov_b32_e32 v49, 0x7c01
	s_mov_b32 s21, exec_lo
	v_cmpx_ne_u32_e32 0x7f, v51
	s_cbranch_execz .LBB280_519
; %bb.516:                              ;   in Loop: Header=BB280_298 Depth=1
	v_and_b32_e32 v49, 7, v2
	v_lshrrev_b32_e32 v50, 3, v51
	s_mov_b32 s22, exec_lo
	v_cmpx_gt_u32_e32 8, v51
; %bb.517:                              ;   in Loop: Header=BB280_298 Depth=1
	v_ffbh_u32_e32 v49, v49
	v_min_u32_e32 v51, 32, v49
	v_subrev_nc_u32_e32 v49, 28, v51
	v_lshlrev_b64 v[49:50], v49, v[2:3]
	v_sub_nc_u32_e32 v50, 29, v51
	v_and_b32_e32 v49, 7, v49
; %bb.518:                              ;   in Loop: Header=BB280_298 Depth=1
	s_or_b32 exec_lo, exec_lo, s22
	v_lshlrev_b32_e32 v2, 8, v2
	v_lshl_add_u32 v50, v50, 10, 0x2000
	v_lshlrev_b32_e32 v49, 7, v49
	v_and_b32_e32 v2, 0x8000, v2
	v_and_b32_e32 v50, 0xfc00, v50
	v_or3_b32 v49, v2, v50, v49
.LBB280_519:                            ;   in Loop: Header=BB280_298 Depth=1
	s_or_b32 exec_lo, exec_lo, s21
.LBB280_520:                            ;   in Loop: Header=BB280_298 Depth=1
	s_or_b32 exec_lo, exec_lo, s18
.LBB280_521:                            ;   in Loop: Header=BB280_298 Depth=1
	s_or_b32 exec_lo, exec_lo, s17
	s_mov_b32 s17, exec_lo
	v_cmpx_lt_u32_e32 0xffffff, v8
	s_cbranch_execz .LBB280_529
; %bb.522:                              ;   in Loop: Header=BB280_298 Depth=1
	v_lshrrev_b32_e32 v2, 24, v8
	v_bfrev_b32_e32 v48, 1
	s_mov_b32 s18, exec_lo
	v_cmpx_ne_u32_e32 0x80, v2
	s_cbranch_execz .LBB280_528
; %bb.523:                              ;   in Loop: Header=BB280_298 Depth=1
	v_and_b32_e32 v51, 0x7f, v2
	v_mov_b32_e32 v48, 0x7c010000
	s_mov_b32 s21, exec_lo
	v_cmpx_ne_u32_e32 0x7f, v51
	s_cbranch_execz .LBB280_527
; %bb.524:                              ;   in Loop: Header=BB280_298 Depth=1
	v_and_b32_e32 v48, 7, v2
	v_lshrrev_b32_e32 v50, 3, v51
	s_mov_b32 s22, exec_lo
	v_cmpx_gt_u32_e32 8, v51
; %bb.525:                              ;   in Loop: Header=BB280_298 Depth=1
	v_ffbh_u32_e32 v48, v48
	v_min_u32_e32 v48, 32, v48
	v_subrev_nc_u32_e32 v50, 28, v48
	v_lshlrev_b64 v[51:52], v50, v[2:3]
	v_sub_nc_u32_e32 v50, 29, v48
	v_and_b32_e32 v48, 7, v51
; %bb.526:                              ;   in Loop: Header=BB280_298 Depth=1
	s_or_b32 exec_lo, exec_lo, s22
	v_lshlrev_b32_e32 v2, 8, v2
	v_lshl_add_u32 v50, v50, 10, 0x2000
	v_lshlrev_b32_e32 v48, 23, v48
	v_and_or_b32 v2, 0x8000, v2, v50
	v_lshl_or_b32 v48, v2, 16, v48
.LBB280_527:                            ;   in Loop: Header=BB280_298 Depth=1
	s_or_b32 exec_lo, exec_lo, s21
.LBB280_528:                            ;   in Loop: Header=BB280_298 Depth=1
	s_or_b32 exec_lo, exec_lo, s18
.LBB280_529:                            ;   in Loop: Header=BB280_298 Depth=1
	s_or_b32 exec_lo, exec_lo, s17
	v_mov_b32_e32 v2, v9
	v_cmp_ne_u16_sdwa s0, v9, v3 src0_sel:BYTE_0 src1_sel:DWORD
	v_mov_b32_e32 v50, 0
	v_mov_b32_e32 v51, 0
	s_and_saveexec_b32 s17, s0
	s_cbranch_execz .LBB280_537
; %bb.530:                              ;   in Loop: Header=BB280_298 Depth=1
	v_cmp_ne_u16_sdwa s0, v9, v16 src0_sel:BYTE_0 src1_sel:DWORD
	v_mov_b32_e32 v51, 0x8000
	s_and_saveexec_b32 s18, s0
	s_cbranch_execz .LBB280_536
; %bb.531:                              ;   in Loop: Header=BB280_298 Depth=1
	v_and_b32_e32 v53, 0x7f, v9
	v_mov_b32_e32 v51, 0x7c01
	s_mov_b32 s21, exec_lo
	v_cmpx_ne_u32_e32 0x7f, v53
	s_cbranch_execz .LBB280_535
; %bb.532:                              ;   in Loop: Header=BB280_298 Depth=1
	v_and_b32_e32 v51, 7, v9
	v_lshrrev_b32_e32 v52, 3, v53
	s_mov_b32 s22, exec_lo
	v_cmpx_gt_u32_e32 8, v53
; %bb.533:                              ;   in Loop: Header=BB280_298 Depth=1
	v_ffbh_u32_e32 v51, v51
	v_min_u32_e32 v53, 32, v51
	v_subrev_nc_u32_e32 v51, 28, v53
	v_lshlrev_b64 v[51:52], v51, v[2:3]
	v_sub_nc_u32_e32 v52, 29, v53
	v_and_b32_e32 v51, 7, v51
; %bb.534:                              ;   in Loop: Header=BB280_298 Depth=1
	s_or_b32 exec_lo, exec_lo, s22
	v_lshlrev_b32_e32 v53, 8, v9
	v_lshl_add_u32 v52, v52, 10, 0x2000
	v_lshlrev_b32_e32 v51, 7, v51
	v_and_b32_e32 v53, 0x8000, v53
	v_and_b32_e32 v52, 0xfc00, v52
	v_or3_b32 v51, v53, v52, v51
.LBB280_535:                            ;   in Loop: Header=BB280_298 Depth=1
	s_or_b32 exec_lo, exec_lo, s21
.LBB280_536:                            ;   in Loop: Header=BB280_298 Depth=1
	s_or_b32 exec_lo, exec_lo, s18
.LBB280_537:                            ;   in Loop: Header=BB280_298 Depth=1
	s_or_b32 exec_lo, exec_lo, s17
	v_lshrrev_b16 v2, 8, v2
	v_mov_b32_e32 v52, 0
	s_mov_b32 s17, exec_lo
	v_cmpx_ne_u16_e32 0, v2
	s_cbranch_execz .LBB280_545
; %bb.538:                              ;   in Loop: Header=BB280_298 Depth=1
	v_bfrev_b32_e32 v52, 1
	s_mov_b32 s18, exec_lo
	v_cmpx_ne_u16_e32 0x80, v2
	s_cbranch_execz .LBB280_544
; %bb.539:                              ;   in Loop: Header=BB280_298 Depth=1
	v_and_b32_sdwa v54, v2, v24 dst_sel:DWORD dst_unused:UNUSED_PAD src0_sel:WORD_0 src1_sel:DWORD
	v_mov_b32_e32 v52, 0x7c010000
	s_mov_b32 s21, exec_lo
	v_cmpx_ne_u32_e32 0x7f, v54
	s_cbranch_execz .LBB280_543
; %bb.540:                              ;   in Loop: Header=BB280_298 Depth=1
	v_and_b32_sdwa v52, v2, v25 dst_sel:DWORD dst_unused:UNUSED_PAD src0_sel:WORD_0 src1_sel:DWORD
	v_lshrrev_b32_e32 v53, 3, v54
	s_mov_b32 s22, exec_lo
	v_cmpx_gt_u32_e32 8, v54
; %bb.541:                              ;   in Loop: Header=BB280_298 Depth=1
	v_ffbh_u32_e32 v52, v52
	v_min_u32_e32 v54, 32, v52
	v_subrev_nc_u32_e32 v52, 28, v54
	v_lshlrev_b64 v[52:53], v52, v[2:3]
	v_sub_nc_u32_e32 v53, 29, v54
	v_and_b32_e32 v52, 7, v52
; %bb.542:                              ;   in Loop: Header=BB280_298 Depth=1
	s_or_b32 exec_lo, exec_lo, s22
	v_lshlrev_b32_sdwa v2, v26, v2 dst_sel:DWORD dst_unused:UNUSED_PAD src0_sel:DWORD src1_sel:WORD_0
	v_lshl_add_u32 v53, v53, 10, 0x2000
	v_lshlrev_b32_e32 v52, 23, v52
	v_and_or_b32 v2, 0x8000, v2, v53
	v_lshl_or_b32 v52, v2, 16, v52
.LBB280_543:                            ;   in Loop: Header=BB280_298 Depth=1
	s_or_b32 exec_lo, exec_lo, s21
.LBB280_544:                            ;   in Loop: Header=BB280_298 Depth=1
	s_or_b32 exec_lo, exec_lo, s18
.LBB280_545:                            ;   in Loop: Header=BB280_298 Depth=1
	s_or_b32 exec_lo, exec_lo, s17
	v_lshrrev_b32_e32 v2, 16, v9
	v_cmp_ne_u16_sdwa s0, v2, v3 src0_sel:BYTE_0 src1_sel:DWORD
	s_and_saveexec_b32 s17, s0
	s_cbranch_execz .LBB280_553
; %bb.546:                              ;   in Loop: Header=BB280_298 Depth=1
	v_cmp_ne_u16_sdwa s0, v2, v16 src0_sel:BYTE_0 src1_sel:DWORD
	v_mov_b32_e32 v50, 0x8000
	s_and_saveexec_b32 s18, s0
	s_cbranch_execz .LBB280_552
; %bb.547:                              ;   in Loop: Header=BB280_298 Depth=1
	v_bfe_u32 v54, v9, 16, 7
	v_mov_b32_e32 v50, 0x7c01
	s_mov_b32 s21, exec_lo
	v_cmpx_ne_u32_e32 0x7f, v54
	s_cbranch_execz .LBB280_551
; %bb.548:                              ;   in Loop: Header=BB280_298 Depth=1
	v_and_b32_e32 v50, 7, v2
	v_lshrrev_b32_e32 v53, 3, v54
	s_mov_b32 s22, exec_lo
	v_cmpx_gt_u32_e32 8, v54
; %bb.549:                              ;   in Loop: Header=BB280_298 Depth=1
	v_ffbh_u32_e32 v50, v50
	v_min_u32_e32 v50, 32, v50
	v_subrev_nc_u32_e32 v53, 28, v50
	v_lshlrev_b64 v[54:55], v53, v[2:3]
	v_sub_nc_u32_e32 v53, 29, v50
	v_and_b32_e32 v50, 7, v54
; %bb.550:                              ;   in Loop: Header=BB280_298 Depth=1
	s_or_b32 exec_lo, exec_lo, s22
	v_lshlrev_b32_e32 v2, 8, v2
	v_lshl_add_u32 v53, v53, 10, 0x2000
	v_lshlrev_b32_e32 v50, 7, v50
	v_and_b32_e32 v2, 0x8000, v2
	v_and_b32_e32 v53, 0xfc00, v53
	v_or3_b32 v50, v2, v53, v50
.LBB280_551:                            ;   in Loop: Header=BB280_298 Depth=1
	s_or_b32 exec_lo, exec_lo, s21
.LBB280_552:                            ;   in Loop: Header=BB280_298 Depth=1
	s_or_b32 exec_lo, exec_lo, s18
.LBB280_553:                            ;   in Loop: Header=BB280_298 Depth=1
	s_or_b32 exec_lo, exec_lo, s17
	v_cmp_lt_u64_e64 s0, s[4:5], v[8:9]
	v_mov_b32_e32 v8, 0
	s_and_saveexec_b32 s17, s0
	s_cbranch_execz .LBB280_561
; %bb.554:                              ;   in Loop: Header=BB280_298 Depth=1
	v_lshrrev_b32_e32 v2, 24, v9
	v_bfrev_b32_e32 v8, 1
	s_mov_b32 s18, exec_lo
	v_cmpx_ne_u32_e32 0x80, v2
	s_cbranch_execz .LBB280_560
; %bb.555:                              ;   in Loop: Header=BB280_298 Depth=1
	v_and_b32_e32 v53, 0x7f, v2
	v_mov_b32_e32 v8, 0x7c010000
	s_mov_b32 s21, exec_lo
	v_cmpx_ne_u32_e32 0x7f, v53
	s_cbranch_execz .LBB280_559
; %bb.556:                              ;   in Loop: Header=BB280_298 Depth=1
	v_and_b32_e32 v8, 7, v2
	v_lshrrev_b32_e32 v9, 3, v53
	s_mov_b32 s22, exec_lo
	v_cmpx_gt_u32_e32 8, v53
; %bb.557:                              ;   in Loop: Header=BB280_298 Depth=1
	v_ffbh_u32_e32 v8, v8
	v_min_u32_e32 v53, 32, v8
	v_subrev_nc_u32_e32 v8, 28, v53
	v_lshlrev_b64 v[8:9], v8, v[2:3]
	v_sub_nc_u32_e32 v9, 29, v53
	v_and_b32_e32 v8, 7, v8
; %bb.558:                              ;   in Loop: Header=BB280_298 Depth=1
	s_or_b32 exec_lo, exec_lo, s22
	v_lshlrev_b32_e32 v2, 8, v2
	v_lshl_add_u32 v9, v9, 10, 0x2000
	v_lshlrev_b32_e32 v8, 23, v8
	v_and_or_b32 v2, 0x8000, v2, v9
	v_lshl_or_b32 v8, v2, 16, v8
.LBB280_559:                            ;   in Loop: Header=BB280_298 Depth=1
	s_or_b32 exec_lo, exec_lo, s21
.LBB280_560:                            ;   in Loop: Header=BB280_298 Depth=1
	s_or_b32 exec_lo, exec_lo, s18
.LBB280_561:                            ;   in Loop: Header=BB280_298 Depth=1
	s_or_b32 exec_lo, exec_lo, s17
	v_or_b32_e32 v2, v48, v49
	s_waitcnt vmcnt(0)
	v_fma_mixlo_f16 v9, v45, v48, 0 op_sel:[0,1,0] op_sel_hi:[0,1,0]
	v_or_b32_e32 v47, v46, v47
	v_fma_mixlo_f16 v48, v45, v46, 0 op_sel:[0,1,0] op_sel_hi:[0,1,0]
	v_or_b32_e32 v49, v52, v51
	v_fma_mixlo_f16 v2, v45, v2, 0 op_sel_hi:[0,1,0]
	v_or_b32_e32 v50, v8, v50
	v_lshlrev_b32_e32 v46, 16, v9
	v_lshlrev_b32_e32 v51, 16, v48
	v_fma_mixlo_f16 v9, v45, v47, 0 op_sel_hi:[0,1,0]
	v_and_b32_e32 v48, 0xffff, v2
	v_fma_mixlo_f16 v2, v45, v52, 0 op_sel:[0,1,0] op_sel_hi:[0,1,0]
	v_fma_mixlo_f16 v47, v45, v49, 0 op_sel_hi:[0,1,0]
	v_fma_mixlo_f16 v8, v45, v8, 0 op_sel:[0,1,0] op_sel_hi:[0,1,0]
	v_fma_mixlo_f16 v50, v45, v50, 0 op_sel_hi:[0,1,0]
	v_and_b32_e32 v53, 0xffff, v9
	v_lshlrev_b32_e32 v49, 16, v2
	v_and_b32_e32 v52, 0xffff, v47
	v_lshlrev_b32_e32 v45, 16, v8
	v_and_b32_e32 v50, 0xffff, v50
	v_or_b32_e32 v9, v46, v48
	v_or_b32_e32 v47, v51, v53
	;; [unrolled: 1-line block ×4, first 2 shown]
	s_and_saveexec_b32 s0, vcc_lo
	s_cbranch_execz .LBB280_296
; %bb.562:                              ;   in Loop: Header=BB280_298 Depth=1
	v_cmp_gt_i32_e32 vcc_lo, s31, v29
	v_cndmask_b32_e32 v2, 0, v53, vcc_lo
	v_cmp_gt_i32_e32 vcc_lo, s31, v36
	v_cndmask_b32_e32 v8, 0, v51, vcc_lo
	v_cmp_gt_i32_e32 vcc_lo, s31, v35
	v_or_b32_e32 v47, v8, v2
	v_cndmask_b32_e32 v9, 0, v48, vcc_lo
	v_cmp_gt_i32_e32 vcc_lo, s31, v34
	v_cndmask_b32_e32 v29, 0, v46, vcc_lo
	v_cmp_gt_i32_e32 vcc_lo, s31, v33
	v_or_b32_e32 v9, v29, v9
	;; [unrolled: 5-line block ×3, first 2 shown]
	v_cndmask_b32_e32 v31, 0, v50, vcc_lo
	v_cmp_gt_i32_e32 vcc_lo, s31, v30
	v_cndmask_b32_e32 v30, 0, v45, vcc_lo
	v_or_b32_e32 v2, v30, v31
	s_branch .LBB280_296
.LBB280_563:
	s_or_b32 exec_lo, exec_lo, s12
.LBB280_564:
	s_or_b32 exec_lo, exec_lo, s1
	ds_bpermute_b32 v1, v18, v23
	ds_bpermute_b32 v2, v18, v21
	;; [unrolled: 1-line block ×4, first 2 shown]
	v_lshrrev_b32_e32 v5, 1, v17
	v_lshlrev_b32_e32 v7, 8, v14
	v_and_b32_e32 v10, 0x3c1, v0
	s_mov_b32 s0, exec_lo
	s_waitcnt lgkmcnt(0)
	s_waitcnt_vscnt null, 0x0
	v_lshl_add_u32 v6, v5, 2, 0xa0
	s_barrier
	buffer_gl0_inv
	v_add_f32_e32 v4, v23, v1
	v_add_f32_e32 v3, v21, v2
	;; [unrolled: 1-line block ×4, first 2 shown]
	v_cmpx_eq_u32_e32 64, v10
	s_cbranch_execz .LBB280_566
; %bb.565:
	v_add_nc_u32_e32 v8, v6, v7
	v_add_nc_u32_e32 v9, 0xfffffe00, v8
	v_add_nc_u32_e32 v10, 0xfffffe40, v8
	v_add_nc_u32_e32 v11, 0xfffffe80, v8
	v_add_nc_u32_e32 v8, 0xfffffec0, v8
	ds_write_b32 v9, v4
	ds_write_b32 v10, v3
	;; [unrolled: 1-line block ×4, first 2 shown]
.LBB280_566:
	s_or_b32 exec_lo, exec_lo, s0
	v_lshlrev_b32_e32 v5, 2, v5
	s_mov_b32 s1, exec_lo
	v_cmp_eq_u32_e32 vcc_lo, 0, v13
	s_waitcnt lgkmcnt(0)
	s_barrier
	v_add3_u32 v5, 0xa0, v7, v5
	buffer_gl0_inv
	v_cmpx_gt_u32_e32 64, v0
	s_cbranch_execz .LBB280_573
; %bb.567:
	s_and_saveexec_b32 s0, vcc_lo
	s_cbranch_execnz .LBB280_585
; %bb.568:
	s_or_b32 exec_lo, exec_lo, s0
	s_and_saveexec_b32 s0, vcc_lo
	s_cbranch_execnz .LBB280_586
.LBB280_569:
	s_or_b32 exec_lo, exec_lo, s0
	s_and_saveexec_b32 s0, vcc_lo
	s_cbranch_execnz .LBB280_587
.LBB280_570:
	s_or_b32 exec_lo, exec_lo, s0
	s_and_saveexec_b32 s0, vcc_lo
	s_cbranch_execz .LBB280_572
.LBB280_571:
	ds_read_b32 v7, v5 offset:192
	s_waitcnt lgkmcnt(0)
	v_add_f32_e32 v1, v1, v7
.LBB280_572:
	s_or_b32 exec_lo, exec_lo, s0
.LBB280_573:
	s_or_b32 exec_lo, exec_lo, s1
	v_and_b32_e32 v7, 0x3e1, v0
	s_mov_b32 s1, exec_lo
	s_barrier
	buffer_gl0_inv
	v_cmpx_eq_u32_e32 32, v7
	s_cbranch_execz .LBB280_575
; %bb.574:
	ds_write2_b32 v6, v4, v3 offset1:16
	ds_write2_b32 v6, v2, v1 offset0:32 offset1:48
.LBB280_575:
	s_or_b32 exec_lo, exec_lo, s1
	s_mov_b32 s1, exec_lo
	s_waitcnt lgkmcnt(0)
	s_barrier
	buffer_gl0_inv
	v_cmpx_gt_u32_e32 32, v0
	s_cbranch_execz .LBB280_582
; %bb.576:
	s_and_saveexec_b32 s0, vcc_lo
	s_cbranch_execnz .LBB280_588
; %bb.577:
	s_or_b32 exec_lo, exec_lo, s0
	s_and_saveexec_b32 s0, vcc_lo
	s_cbranch_execnz .LBB280_589
.LBB280_578:
	s_or_b32 exec_lo, exec_lo, s0
	s_and_saveexec_b32 s0, vcc_lo
	s_cbranch_execnz .LBB280_590
.LBB280_579:
	s_or_b32 exec_lo, exec_lo, s0
	s_and_saveexec_b32 s0, vcc_lo
	s_cbranch_execz .LBB280_581
.LBB280_580:
	ds_read_b32 v0, v5 offset:192
	s_waitcnt lgkmcnt(0)
	v_add_f32_e32 v1, v1, v0
.LBB280_581:
	s_or_b32 exec_lo, exec_lo, s0
.LBB280_582:
	s_or_b32 exec_lo, exec_lo, s1
	s_barrier
	buffer_gl0_inv
	s_mov_b32 s0, exec_lo
	v_cmpx_eq_u32_e32 0, v7
	s_cbranch_execz .LBB280_584
; %bb.583:
	s_lshl_b32 s0, s2, 6
	s_mul_i32 s2, s7, s10
	s_ashr_i32 s1, s0, 31
	v_lshlrev_b32_e32 v0, 1, v12
	s_lshl_b64 s[0:1], s[0:1], 1
	;;#ASMSTART
	v_cvt_f16_f32 v4, v4;

	;;#ASMEND
	s_add_u32 s4, s28, s0
	s_addc_u32 s5, s29, s1
	s_ashr_i32 s3, s2, 31
	s_lshl_b64 s[0:1], s[2:3], 1
	s_add_u32 s2, s4, s0
	s_addc_u32 s3, s5, s1
	s_lshl_b32 s0, s8, 6
	s_ashr_i32 s1, s0, 31
	s_lshl_b64 s[0:1], s[0:1], 1
	s_add_u32 s0, s2, s0
	s_addc_u32 s1, s3, s1
	global_store_short v0, v4, s[0:1]
	;;#ASMSTART
	v_cvt_f16_f32 v3, v3;

	;;#ASMEND
	global_store_short v0, v3, s[0:1] offset:32
	;;#ASMSTART
	v_cvt_f16_f32 v2, v2;

	;;#ASMEND
	global_store_short v0, v2, s[0:1] offset:64
	;;#ASMSTART
	v_cvt_f16_f32 v1, v1;

	;;#ASMEND
	global_store_short v0, v1, s[0:1] offset:96
.LBB280_584:
	s_endpgm
.LBB280_585:
	ds_read_b32 v7, v5
	s_waitcnt lgkmcnt(0)
	v_add_f32_e32 v4, v4, v7
	s_or_b32 exec_lo, exec_lo, s0
	s_and_saveexec_b32 s0, vcc_lo
	s_cbranch_execz .LBB280_569
.LBB280_586:
	ds_read_b32 v7, v5 offset:64
	s_waitcnt lgkmcnt(0)
	v_add_f32_e32 v3, v3, v7
	s_or_b32 exec_lo, exec_lo, s0
	s_and_saveexec_b32 s0, vcc_lo
	s_cbranch_execz .LBB280_570
.LBB280_587:
	ds_read_b32 v7, v5 offset:128
	s_waitcnt lgkmcnt(0)
	v_add_f32_e32 v2, v2, v7
	s_or_b32 exec_lo, exec_lo, s0
	s_and_saveexec_b32 s0, vcc_lo
	s_cbranch_execnz .LBB280_571
	s_branch .LBB280_572
.LBB280_588:
	ds_read_b32 v0, v5
	s_waitcnt lgkmcnt(0)
	v_add_f32_e32 v4, v4, v0
	s_or_b32 exec_lo, exec_lo, s0
	s_and_saveexec_b32 s0, vcc_lo
	s_cbranch_execz .LBB280_578
.LBB280_589:
	ds_read_b32 v0, v5 offset:64
	s_waitcnt lgkmcnt(0)
	v_add_f32_e32 v3, v3, v0
	s_or_b32 exec_lo, exec_lo, s0
	s_and_saveexec_b32 s0, vcc_lo
	s_cbranch_execz .LBB280_579
.LBB280_590:
	ds_read_b32 v0, v5 offset:128
	s_waitcnt lgkmcnt(0)
	v_add_f32_e32 v2, v2, v0
	s_or_b32 exec_lo, exec_lo, s0
	s_and_saveexec_b32 s0, vcc_lo
	s_cbranch_execnz .LBB280_580
	s_branch .LBB280_581
	.section	.rodata,"a",@progbits
	.p2align	6, 0x0
	.amdhsa_kernel _ZN4vllm25paged_attention_v2_kernelIthLi64ELi16ELi128ELNS_18Fp8KVCacheDataTypeE1ELb1ELi512EEEvPfS2_PT_PKS3_PKT0_S9_ifPKiSB_iPKfiiiSD_SD_iiiii
		.amdhsa_group_segment_fixed_size 160
		.amdhsa_private_segment_fixed_size 0
		.amdhsa_kernarg_size 400
		.amdhsa_user_sgpr_count 6
		.amdhsa_user_sgpr_private_segment_buffer 1
		.amdhsa_user_sgpr_dispatch_ptr 0
		.amdhsa_user_sgpr_queue_ptr 0
		.amdhsa_user_sgpr_kernarg_segment_ptr 1
		.amdhsa_user_sgpr_dispatch_id 0
		.amdhsa_user_sgpr_flat_scratch_init 0
		.amdhsa_user_sgpr_private_segment_size 0
		.amdhsa_wavefront_size32 1
		.amdhsa_uses_dynamic_stack 0
		.amdhsa_system_sgpr_private_segment_wavefront_offset 0
		.amdhsa_system_sgpr_workgroup_id_x 1
		.amdhsa_system_sgpr_workgroup_id_y 1
		.amdhsa_system_sgpr_workgroup_id_z 1
		.amdhsa_system_sgpr_workgroup_info 0
		.amdhsa_system_vgpr_workitem_id 0
		.amdhsa_next_free_vgpr 87
		.amdhsa_next_free_sgpr 52
		.amdhsa_reserve_vcc 1
		.amdhsa_reserve_flat_scratch 0
		.amdhsa_float_round_mode_32 0
		.amdhsa_float_round_mode_16_64 0
		.amdhsa_float_denorm_mode_32 3
		.amdhsa_float_denorm_mode_16_64 3
		.amdhsa_dx10_clamp 1
		.amdhsa_ieee_mode 1
		.amdhsa_fp16_overflow 0
		.amdhsa_workgroup_processor_mode 1
		.amdhsa_memory_ordered 1
		.amdhsa_forward_progress 1
		.amdhsa_shared_vgpr_count 0
		.amdhsa_exception_fp_ieee_invalid_op 0
		.amdhsa_exception_fp_denorm_src 0
		.amdhsa_exception_fp_ieee_div_zero 0
		.amdhsa_exception_fp_ieee_overflow 0
		.amdhsa_exception_fp_ieee_underflow 0
		.amdhsa_exception_fp_ieee_inexact 0
		.amdhsa_exception_int_div_zero 0
	.end_amdhsa_kernel
	.section	.text._ZN4vllm25paged_attention_v2_kernelIthLi64ELi16ELi128ELNS_18Fp8KVCacheDataTypeE1ELb1ELi512EEEvPfS2_PT_PKS3_PKT0_S9_ifPKiSB_iPKfiiiSD_SD_iiiii,"axG",@progbits,_ZN4vllm25paged_attention_v2_kernelIthLi64ELi16ELi128ELNS_18Fp8KVCacheDataTypeE1ELb1ELi512EEEvPfS2_PT_PKS3_PKT0_S9_ifPKiSB_iPKfiiiSD_SD_iiiii,comdat
.Lfunc_end280:
	.size	_ZN4vllm25paged_attention_v2_kernelIthLi64ELi16ELi128ELNS_18Fp8KVCacheDataTypeE1ELb1ELi512EEEvPfS2_PT_PKS3_PKT0_S9_ifPKiSB_iPKfiiiSD_SD_iiiii, .Lfunc_end280-_ZN4vllm25paged_attention_v2_kernelIthLi64ELi16ELi128ELNS_18Fp8KVCacheDataTypeE1ELb1ELi512EEEvPfS2_PT_PKS3_PKT0_S9_ifPKiSB_iPKfiiiSD_SD_iiiii
                                        ; -- End function
	.set _ZN4vllm25paged_attention_v2_kernelIthLi64ELi16ELi128ELNS_18Fp8KVCacheDataTypeE1ELb1ELi512EEEvPfS2_PT_PKS3_PKT0_S9_ifPKiSB_iPKfiiiSD_SD_iiiii.num_vgpr, 87
	.set _ZN4vllm25paged_attention_v2_kernelIthLi64ELi16ELi128ELNS_18Fp8KVCacheDataTypeE1ELb1ELi512EEEvPfS2_PT_PKS3_PKT0_S9_ifPKiSB_iPKfiiiSD_SD_iiiii.num_agpr, 0
	.set _ZN4vllm25paged_attention_v2_kernelIthLi64ELi16ELi128ELNS_18Fp8KVCacheDataTypeE1ELb1ELi512EEEvPfS2_PT_PKS3_PKT0_S9_ifPKiSB_iPKfiiiSD_SD_iiiii.numbered_sgpr, 52
	.set _ZN4vllm25paged_attention_v2_kernelIthLi64ELi16ELi128ELNS_18Fp8KVCacheDataTypeE1ELb1ELi512EEEvPfS2_PT_PKS3_PKT0_S9_ifPKiSB_iPKfiiiSD_SD_iiiii.num_named_barrier, 0
	.set _ZN4vllm25paged_attention_v2_kernelIthLi64ELi16ELi128ELNS_18Fp8KVCacheDataTypeE1ELb1ELi512EEEvPfS2_PT_PKS3_PKT0_S9_ifPKiSB_iPKfiiiSD_SD_iiiii.private_seg_size, 0
	.set _ZN4vllm25paged_attention_v2_kernelIthLi64ELi16ELi128ELNS_18Fp8KVCacheDataTypeE1ELb1ELi512EEEvPfS2_PT_PKS3_PKT0_S9_ifPKiSB_iPKfiiiSD_SD_iiiii.uses_vcc, 1
	.set _ZN4vllm25paged_attention_v2_kernelIthLi64ELi16ELi128ELNS_18Fp8KVCacheDataTypeE1ELb1ELi512EEEvPfS2_PT_PKS3_PKT0_S9_ifPKiSB_iPKfiiiSD_SD_iiiii.uses_flat_scratch, 0
	.set _ZN4vllm25paged_attention_v2_kernelIthLi64ELi16ELi128ELNS_18Fp8KVCacheDataTypeE1ELb1ELi512EEEvPfS2_PT_PKS3_PKT0_S9_ifPKiSB_iPKfiiiSD_SD_iiiii.has_dyn_sized_stack, 0
	.set _ZN4vllm25paged_attention_v2_kernelIthLi64ELi16ELi128ELNS_18Fp8KVCacheDataTypeE1ELb1ELi512EEEvPfS2_PT_PKS3_PKT0_S9_ifPKiSB_iPKfiiiSD_SD_iiiii.has_recursion, 0
	.set _ZN4vllm25paged_attention_v2_kernelIthLi64ELi16ELi128ELNS_18Fp8KVCacheDataTypeE1ELb1ELi512EEEvPfS2_PT_PKS3_PKT0_S9_ifPKiSB_iPKfiiiSD_SD_iiiii.has_indirect_call, 0
	.section	.AMDGPU.csdata,"",@progbits
; Kernel info:
; codeLenInByte = 20168
; TotalNumSgprs: 54
; NumVgprs: 87
; ScratchSize: 0
; MemoryBound: 0
; FloatMode: 240
; IeeeMode: 1
; LDSByteSize: 160 bytes/workgroup (compile time only)
; SGPRBlocks: 0
; VGPRBlocks: 10
; NumSGPRsForWavesPerEU: 54
; NumVGPRsForWavesPerEU: 87
; Occupancy: 10
; WaveLimiterHint : 1
; COMPUTE_PGM_RSRC2:SCRATCH_EN: 0
; COMPUTE_PGM_RSRC2:USER_SGPR: 6
; COMPUTE_PGM_RSRC2:TRAP_HANDLER: 0
; COMPUTE_PGM_RSRC2:TGID_X_EN: 1
; COMPUTE_PGM_RSRC2:TGID_Y_EN: 1
; COMPUTE_PGM_RSRC2:TGID_Z_EN: 1
; COMPUTE_PGM_RSRC2:TIDIG_COMP_CNT: 0
	.section	.text._ZN4vllm25paged_attention_v2_kernelIthLi80ELi16ELi128ELNS_18Fp8KVCacheDataTypeE1ELb1ELi512EEEvPfS2_PT_PKS3_PKT0_S9_ifPKiSB_iPKfiiiSD_SD_iiiii,"axG",@progbits,_ZN4vllm25paged_attention_v2_kernelIthLi80ELi16ELi128ELNS_18Fp8KVCacheDataTypeE1ELb1ELi512EEEvPfS2_PT_PKS3_PKT0_S9_ifPKiSB_iPKfiiiSD_SD_iiiii,comdat
	.protected	_ZN4vllm25paged_attention_v2_kernelIthLi80ELi16ELi128ELNS_18Fp8KVCacheDataTypeE1ELb1ELi512EEEvPfS2_PT_PKS3_PKT0_S9_ifPKiSB_iPKfiiiSD_SD_iiiii ; -- Begin function _ZN4vllm25paged_attention_v2_kernelIthLi80ELi16ELi128ELNS_18Fp8KVCacheDataTypeE1ELb1ELi512EEEvPfS2_PT_PKS3_PKT0_S9_ifPKiSB_iPKfiiiSD_SD_iiiii
	.globl	_ZN4vllm25paged_attention_v2_kernelIthLi80ELi16ELi128ELNS_18Fp8KVCacheDataTypeE1ELb1ELi512EEEvPfS2_PT_PKS3_PKT0_S9_ifPKiSB_iPKfiiiSD_SD_iiiii
	.p2align	8
	.type	_ZN4vllm25paged_attention_v2_kernelIthLi80ELi16ELi128ELNS_18Fp8KVCacheDataTypeE1ELb1ELi512EEEvPfS2_PT_PKS3_PKT0_S9_ifPKiSB_iPKfiiiSD_SD_iiiii,@function
_ZN4vllm25paged_attention_v2_kernelIthLi80ELi16ELi128ELNS_18Fp8KVCacheDataTypeE1ELb1ELi512EEEvPfS2_PT_PKS3_PKT0_S9_ifPKiSB_iPKfiiiSD_SD_iiiii: ; @_ZN4vllm25paged_attention_v2_kernelIthLi80ELi16ELi128ELNS_18Fp8KVCacheDataTypeE1ELb1ELi512EEEvPfS2_PT_PKS3_PKT0_S9_ifPKiSB_iPKfiiiSD_SD_iiiii
; %bb.0:
	s_load_dwordx2 s[0:1], s[4:5], 0x40
	s_mov_b32 s30, s7
	s_ashr_i32 s31, s7, 31
	s_lshl_b64 s[2:3], s[30:31], 2
	s_waitcnt lgkmcnt(0)
	s_add_u32 s0, s0, s2
	s_addc_u32 s1, s1, s3
	s_lshl_b32 s42, s8, 9
	s_load_dword s31, s[0:1], 0x0
	s_waitcnt lgkmcnt(0)
	s_cmp_ge_i32 s42, s31
	s_cbranch_scc1 .LBB281_716
; %bb.1:
	s_clause 0x1
	s_load_dword s9, s[4:5], 0x90
	s_load_dwordx2 s[40:41], s[4:5], 0x30
	s_mov_b32 s43, 0
	s_waitcnt lgkmcnt(0)
	s_abs_i32 s3, s9
	s_abs_i32 s0, s40
	v_cvt_f32_u32_e32 v1, s0
	s_sub_i32 s2, 0, s0
	v_rcp_iflag_f32_e32 v1, v1
	v_mul_f32_e32 v1, 0x4f7ffffe, v1
	v_cvt_u32_f32_e32 v1, v1
	v_readfirstlane_b32 s1, v1
	s_mul_i32 s2, s2, s1
	s_mul_hi_u32 s2, s1, s2
	s_add_i32 s1, s1, s2
	s_xor_b32 s2, s9, s40
	s_mul_hi_u32 s1, s3, s1
	s_ashr_i32 s2, s2, 31
	s_mul_i32 s7, s1, s0
	s_sub_i32 s3, s3, s7
	s_add_i32 s7, s1, 1
	s_sub_i32 s10, s3, s0
	s_cmp_ge_u32 s3, s0
	s_cselect_b32 s1, s7, s1
	s_cselect_b32 s3, s10, s3
	s_add_i32 s7, s1, 1
	s_cmp_ge_u32 s3, s0
	s_cselect_b32 s0, s7, s1
	s_xor_b32 s0, s0, s2
	s_sub_i32 s10, s0, s2
	s_load_dwordx2 s[0:1], s[4:5], 0x50
	s_abs_i32 s2, s10
	v_cvt_f32_u32_e32 v1, s2
	s_sub_i32 s3, 0, s2
	v_rcp_iflag_f32_e32 v1, v1
	v_mul_f32_e32 v1, 0x4f7ffffe, v1
	v_cvt_u32_f32_e32 v1, v1
	v_readfirstlane_b32 s7, v1
	s_mul_i32 s3, s3, s7
	s_mul_hi_u32 s11, s7, s3
	s_abs_i32 s3, s6
	s_add_i32 s7, s7, s11
	s_waitcnt lgkmcnt(0)
	s_cmp_eq_u64 s[0:1], 0
	s_mul_hi_u32 s12, s3, s7
	s_cbranch_scc1 .LBB281_3
; %bb.2:
	s_ashr_i32 s7, s6, 31
	s_lshl_b64 s[14:15], s[6:7], 2
	s_add_u32 s0, s0, s14
	s_addc_u32 s1, s1, s15
	s_load_dword s43, s[0:1], 0x0
.LBB281_3:
	s_load_dwordx4 s[16:19], s[4:5], 0x58
	v_lshrrev_b32_e32 v12, 1, v0
	v_and_b32_e32 v13, 1, v0
	v_lshlrev_b32_e32 v16, 3, v0
	s_ashr_i32 s0, s6, 31
	s_ashr_i32 s1, s10, 31
	s_mul_i32 s10, s6, 0x50
	s_mov_b32 s7, exec_lo
	v_cmpx_gt_u32_e32 20, v0
	s_cbranch_execz .LBB281_5
; %bb.4:
	s_load_dwordx2 s[14:15], s[4:5], 0x18
	s_waitcnt lgkmcnt(0)
	s_mul_i32 s20, s16, s30
	v_lshlrev_b32_e32 v3, 3, v12
	s_ashr_i32 s21, s20, 31
	s_lshl_b64 s[20:21], s[20:21], 1
	v_mad_u32_u24 v3, 0x50, v13, v3
	s_add_u32 s13, s14, s20
	s_addc_u32 s16, s15, s21
	s_ashr_i32 s11, s10, 31
	s_lshl_b64 s[14:15], s[10:11], 1
	s_add_u32 s14, s13, s14
	s_addc_u32 s15, s16, s15
	global_load_dwordx2 v[1:2], v16, s[14:15]
	s_waitcnt vmcnt(0)
	ds_write_b64 v3, v[1:2]
.LBB281_5:
	s_or_b32 exec_lo, exec_lo, s7
	s_load_dwordx4 s[20:23], s[4:5], 0x78
	s_mul_i32 s7, s12, s2
	s_xor_b32 s0, s0, s1
	s_sub_i32 s1, s3, s7
	s_add_i32 s3, s12, 1
	s_sub_i32 s7, s1, s2
	s_cmp_ge_u32 s1, s2
                                        ; implicit-def: $sgpr19
	s_cselect_b32 s3, s3, s12
	s_cselect_b32 s1, s7, s1
	s_add_i32 s7, s3, 1
	s_cmp_ge_u32 s1, s2
	s_mov_b32 s12, -1
	s_cselect_b32 s1, s7, s3
	s_load_dword s3, s[4:5], 0x88
	s_xor_b32 s1, s1, s0
	s_add_i32 s7, s31, -1
	s_sub_i32 s1, s1, s0
	s_abs_i32 s2, s7
	s_waitcnt lgkmcnt(0)
	s_abs_i32 s11, s23
	s_barrier
	v_cvt_f32_u32_e32 v1, s11
	s_sub_i32 s0, 0, s11
	buffer_gl0_inv
	v_rcp_iflag_f32_e32 v1, v1
	v_mul_f32_e32 v1, 0x4f7ffffe, v1
	v_cvt_u32_f32_e32 v1, v1
	v_readfirstlane_b32 s16, v1
	s_mul_i32 s0, s0, s16
	s_mul_hi_u32 s0, s16, s0
	s_add_i32 s16, s16, s0
	s_cmp_lt_i32 s3, 0
	s_mul_hi_u32 s0, s2, s16
	s_cbranch_scc0 .LBB281_7
; %bb.6:
	s_mul_i32 s12, s20, s40
	s_add_i32 s12, s1, s12
	s_mul_i32 s12, s12, s3
	s_sub_i32 s19, 1, s12
	s_mov_b32 s12, 0
.LBB281_7:
	s_load_dwordx2 s[34:35], s[4:5], 0x38
	s_ashr_i32 s33, s7, 31
	s_andn2_b32 vcc_lo, exec_lo, s12
	s_ashr_i32 s23, s23, 31
	s_cbranch_vccnz .LBB281_9
; %bb.8:
	s_mul_i32 s7, s9, s20
	s_add_i32 s7, s7, s6
	s_mul_i32 s3, s7, s3
	s_add_i32 s19, s3, 1
.LBB281_9:
	s_clause 0x5
	s_load_dword s3, s[4:5], 0x48
	s_load_dwordx2 s[38:39], s[4:5], 0x28
	s_load_dwordx4 s[24:27], s[4:5], 0x0
	s_load_dwordx2 s[28:29], s[4:5], 0x10
	s_load_dword s7, s[4:5], 0x98
	s_load_dwordx4 s[12:15], s[4:5], 0x68
	s_mul_i32 s20, s0, s11
	s_xor_b32 s40, s33, s23
	s_sub_i32 s2, s2, s20
	s_add_i32 s33, s0, 1
	v_lshrrev_b32_e32 v14, 5, v0
	v_mov_b32_e32 v17, 0xff7fffff
	v_mbcnt_lo_u32_b32 v18, -1, 0
	s_mul_i32 s18, s1, s18
	v_lshl_add_u32 v15, v14, 4, s42
	s_waitcnt lgkmcnt(0)
	s_mul_i32 s36, s3, s30
	s_sub_i32 s3, s2, s11
	s_ashr_i32 s37, s36, 31
	s_cmp_ge_u32 s2, s11
	s_cselect_b32 s0, s33, s0
	s_cselect_b32 s2, s3, s2
	s_add_i32 s3, s0, 1
	s_cmp_ge_u32 s2, s11
	s_cselect_b32 s0, s3, s0
	s_add_i32 s2, s31, 15
	s_lshl_b32 s44, s8, 5
	s_ashr_i32 s3, s2, 31
	v_or_b32_e32 v1, s44, v14
	s_lshr_b32 s3, s3, 28
	s_add_i32 s2, s2, s3
	s_add_i32 s3, s44, 32
	s_ashr_i32 s33, s2, 4
	s_xor_b32 s2, s0, s40
	s_min_i32 s20, s3, s33
	v_ashrrev_i32_e32 v2, 31, v1
	v_cmp_gt_i32_e64 s0, s20, v1
	s_sub_i32 s40, s2, s40
	s_and_saveexec_b32 s45, s0
	s_cbranch_execz .LBB281_341
; %bb.10:
	s_load_dwordx2 s[2:3], s[4:5], 0x20
	s_sub_i32 s4, s40, s21
	s_ashr_i32 s1, s18, 31
	v_bfe_u32 v19, v0, 1, 4
	v_lshlrev_b64 v[5:6], 2, v[1:2]
	v_lshlrev_b32_e32 v7, 2, v13
	v_mov_b32_e32 v4, 0
	v_mul_u32_u24_e32 v20, 0x50, v13
	v_lshlrev_b32_e32 v8, 2, v19
	v_subrev_nc_u32_e32 v9, s31, v19
	v_lshlrev_b32_e32 v10, 4, v19
	v_lshl_add_u32 v21, v14, 4, s42
	v_mov_b32_e32 v22, 0xff7fffff
	v_lshl_or_b32 v8, v14, 6, v8
	v_add_nc_u32_e32 v27, 1, v9
	v_mov_b32_e32 v23, 0x80
	v_mov_b32_e32 v24, 0x7f
	;; [unrolled: 1-line block ×3, first 2 shown]
	v_add_nc_u32_e32 v28, 0xc0, v8
	v_mov_b32_e32 v26, 8
	s_waitcnt lgkmcnt(0)
	s_add_u32 s46, s2, s18
	s_addc_u32 s47, s3, s1
	s_abs_i32 s5, s22
	v_add_co_u32 v9, s46, s46, v10
	v_cvt_f32_u32_e32 v3, s5
	s_sub_i32 s2, 0, s5
	v_add_co_ci_u32_e64 v10, null, s47, 0, s46
	v_cmp_neq_f32_e64 s1, s43, 0
	v_rcp_iflag_f32_e32 v3, v3
	v_mov_b32_e32 v17, 0xff7fffff
	v_mov_b32_e32 v30, v1
	s_mov_b32 s46, 0
	s_mov_b32 s47, s17
	v_cmp_eq_u32_e32 vcc_lo, 0, v13
	v_mul_f32_e32 v3, 0x4f7ffffe, v3
	v_cvt_u32_f32_e32 v3, v3
	v_mul_lo_u32 v8, s2, v3
	s_lshl_b64 s[2:3], s[36:37], 2
	s_add_u32 s2, s34, s2
	s_addc_u32 s3, s35, s3
	v_add_co_u32 v5, s2, s2, v5
	v_add_co_ci_u32_e64 v6, null, s3, v6, s2
	v_mul_hi_u32 v11, v3, v8
	v_add_co_u32 v7, s2, v9, v7
	v_add_co_ci_u32_e64 v8, null, 0, v10, s2
	v_add_nc_u32_e32 v29, v3, v11
	s_branch .LBB281_13
.LBB281_11:                             ;   in Loop: Header=BB281_13 Depth=1
	s_or_b32 exec_lo, exec_lo, s48
.LBB281_12:                             ;   in Loop: Header=BB281_13 Depth=1
	s_or_b32 exec_lo, exec_lo, s3
	v_add_nc_u32_e32 v30, 4, v30
	v_add_co_u32 v5, s3, v5, 16
	v_add_co_ci_u32_e64 v6, null, 0, v6, s3
	v_cmp_le_i32_e64 s2, s20, v30
	v_add_nc_u32_e32 v21, 64, v21
	v_add_nc_u32_e32 v28, 0x100, v28
	s_or_b32 s46, s2, s46
	s_andn2_b32 exec_lo, exec_lo, s46
	s_cbranch_execz .LBB281_340
.LBB281_13:                             ; =>This Inner Loop Header: Depth=1
	v_sub_nc_u32_e32 v3, 0, v21
	v_max_i32_e32 v3, v21, v3
	s_waitcnt lgkmcnt(0)
	v_mul_hi_u32 v9, v3, s16
	v_mul_lo_u32 v10, v9, s11
	v_sub_nc_u32_e32 v3, v3, v10
	v_add_nc_u32_e32 v10, 1, v9
	v_subrev_nc_u32_e32 v11, s11, v3
	v_cmp_le_u32_e64 s2, s11, v3
	v_cndmask_b32_e64 v9, v9, v10, s2
	v_cndmask_b32_e64 v3, v3, v11, s2
	v_ashrrev_i32_e32 v10, 31, v21
	v_add_nc_u32_e32 v11, 1, v9
	v_cmp_le_u32_e64 s2, s11, v3
	v_xor_b32_e32 v10, s23, v10
	v_cndmask_b32_e64 v3, v9, v11, s2
	v_xor_b32_e32 v3, v3, v10
	v_sub_nc_u32_e32 v3, v3, v10
	v_add_nc_u32_e32 v9, s19, v3
	v_cmp_ge_i32_e64 s3, s4, v3
	v_sub_nc_u32_e32 v10, 0, v9
	v_max_i32_e32 v10, v9, v10
	v_ashrrev_i32_e32 v9, 31, v9
	v_mul_hi_u32 v11, v10, v29
	v_mul_lo_u32 v11, v11, s5
	v_sub_nc_u32_e32 v10, v10, v11
	v_subrev_nc_u32_e32 v11, s5, v10
	v_cmp_le_u32_e64 s2, s5, v10
	v_cndmask_b32_e64 v10, v10, v11, s2
	v_subrev_nc_u32_e32 v11, s5, v10
	v_cmp_le_u32_e64 s2, s5, v10
	v_cndmask_b32_e64 v10, v10, v11, s2
	v_xor_b32_e32 v10, v10, v9
	v_sub_nc_u32_e32 v9, v10, v9
	v_cmp_ne_u32_e64 s2, 0, v9
	s_and_b32 s2, s2, s3
	s_and_saveexec_b32 s3, s2
	s_xor_b32 s2, exec_lo, s3
	s_cbranch_execz .LBB281_17
; %bb.14:                               ;   in Loop: Header=BB281_13 Depth=1
	s_and_saveexec_b32 s3, vcc_lo
; %bb.15:                               ;   in Loop: Header=BB281_13 Depth=1
	ds_write_b32 v28, v22
; %bb.16:                               ;   in Loop: Header=BB281_13 Depth=1
	s_or_b32 exec_lo, exec_lo, s3
.LBB281_17:                             ;   in Loop: Header=BB281_13 Depth=1
	s_andn2_saveexec_b32 s3, s2
	s_cbranch_execz .LBB281_12
; %bb.18:                               ;   in Loop: Header=BB281_13 Depth=1
	global_load_dword v3, v[5:6], off
	v_mov_b32_e32 v32, 0
	v_mov_b32_e32 v33, 0
	global_load_dword v31, v32, s[12:13]
	s_waitcnt vmcnt(1)
	v_mad_i64_i32 v[9:10], null, v3, s47, v[7:8]
	global_load_dword v11, v[9:10], off
	s_waitcnt vmcnt(0)
	v_cmp_ne_u16_sdwa s2, v11, v4 src0_sel:BYTE_0 src1_sel:DWORD
	s_and_saveexec_b32 s48, s2
	s_cbranch_execz .LBB281_26
; %bb.19:                               ;   in Loop: Header=BB281_13 Depth=1
	v_cmp_ne_u16_sdwa s2, v11, v23 src0_sel:BYTE_0 src1_sel:DWORD
	v_mov_b32_e32 v33, 0x8000
	s_and_saveexec_b32 s49, s2
	s_cbranch_execz .LBB281_25
; %bb.20:                               ;   in Loop: Header=BB281_13 Depth=1
	v_and_b32_e32 v34, 0x7f, v11
	v_mov_b32_e32 v33, 0x7c01
	s_mov_b32 s50, exec_lo
	v_cmpx_ne_u32_e32 0x7f, v34
	s_cbranch_execz .LBB281_24
; %bb.21:                               ;   in Loop: Header=BB281_13 Depth=1
	v_and_b32_e32 v3, 7, v11
	v_lshrrev_b32_e32 v33, 3, v34
	s_mov_b32 s51, exec_lo
	v_cmpx_gt_u32_e32 8, v34
; %bb.22:                               ;   in Loop: Header=BB281_13 Depth=1
	v_ffbh_u32_e32 v3, v3
	v_min_u32_e32 v3, 32, v3
	v_subrev_nc_u32_e32 v33, 28, v3
	v_lshlrev_b64 v[34:35], v33, v[11:12]
	v_sub_nc_u32_e32 v33, 29, v3
	v_and_b32_e32 v3, 7, v34
; %bb.23:                               ;   in Loop: Header=BB281_13 Depth=1
	s_or_b32 exec_lo, exec_lo, s51
	v_lshlrev_b32_e32 v34, 8, v11
	v_lshl_add_u32 v33, v33, 10, 0x2000
	v_lshlrev_b32_e32 v3, 7, v3
	v_and_b32_e32 v34, 0x8000, v34
	v_and_b32_e32 v33, 0xfc00, v33
	v_or3_b32 v33, v34, v33, v3
.LBB281_24:                             ;   in Loop: Header=BB281_13 Depth=1
	s_or_b32 exec_lo, exec_lo, s50
.LBB281_25:                             ;   in Loop: Header=BB281_13 Depth=1
	s_or_b32 exec_lo, exec_lo, s49
.LBB281_26:                             ;   in Loop: Header=BB281_13 Depth=1
	s_or_b32 exec_lo, exec_lo, s48
	v_lshrrev_b16 v3, 8, v11
	s_mov_b32 s48, exec_lo
	v_cmpx_ne_u16_e32 0, v3
	s_cbranch_execz .LBB281_34
; %bb.27:                               ;   in Loop: Header=BB281_13 Depth=1
	v_bfrev_b32_e32 v32, 1
	s_mov_b32 s49, exec_lo
	v_cmpx_ne_u16_e32 0x80, v3
	s_cbranch_execz .LBB281_33
; %bb.28:                               ;   in Loop: Header=BB281_13 Depth=1
	v_and_b32_sdwa v35, v3, v24 dst_sel:DWORD dst_unused:UNUSED_PAD src0_sel:WORD_0 src1_sel:DWORD
	v_mov_b32_e32 v32, 0x7c010000
	s_mov_b32 s50, exec_lo
	v_cmpx_ne_u32_e32 0x7f, v35
	s_cbranch_execz .LBB281_32
; %bb.29:                               ;   in Loop: Header=BB281_13 Depth=1
	v_and_b32_sdwa v32, v3, v25 dst_sel:DWORD dst_unused:UNUSED_PAD src0_sel:WORD_0 src1_sel:DWORD
	v_lshrrev_b32_e32 v34, 3, v35
	s_mov_b32 s51, exec_lo
	v_cmpx_gt_u32_e32 8, v35
; %bb.30:                               ;   in Loop: Header=BB281_13 Depth=1
	v_ffbh_u32_e32 v32, v32
	v_min_u32_e32 v32, 32, v32
	v_subrev_nc_u32_e32 v34, 28, v32
	v_lshlrev_b64 v[35:36], v34, v[3:4]
	v_sub_nc_u32_e32 v34, 29, v32
	v_and_b32_e32 v32, 7, v35
; %bb.31:                               ;   in Loop: Header=BB281_13 Depth=1
	s_or_b32 exec_lo, exec_lo, s51
	v_lshlrev_b32_sdwa v3, v26, v3 dst_sel:DWORD dst_unused:UNUSED_PAD src0_sel:DWORD src1_sel:WORD_0
	v_lshl_add_u32 v34, v34, 10, 0x2000
	v_lshlrev_b32_e32 v32, 23, v32
	v_and_or_b32 v3, 0x8000, v3, v34
	v_lshl_or_b32 v32, v3, 16, v32
.LBB281_32:                             ;   in Loop: Header=BB281_13 Depth=1
	s_or_b32 exec_lo, exec_lo, s50
.LBB281_33:                             ;   in Loop: Header=BB281_13 Depth=1
	s_or_b32 exec_lo, exec_lo, s49
.LBB281_34:                             ;   in Loop: Header=BB281_13 Depth=1
	s_or_b32 exec_lo, exec_lo, s48
	v_lshrrev_b32_e32 v3, 16, v11
	v_mov_b32_e32 v34, 0
	v_mov_b32_e32 v35, 0
	v_cmp_ne_u16_sdwa s2, v3, v4 src0_sel:BYTE_0 src1_sel:DWORD
	s_and_saveexec_b32 s48, s2
	s_cbranch_execz .LBB281_42
; %bb.35:                               ;   in Loop: Header=BB281_13 Depth=1
	v_cmp_ne_u16_sdwa s2, v3, v23 src0_sel:BYTE_0 src1_sel:DWORD
	v_mov_b32_e32 v35, 0x8000
	s_and_saveexec_b32 s49, s2
	s_cbranch_execz .LBB281_41
; %bb.36:                               ;   in Loop: Header=BB281_13 Depth=1
	v_bfe_u32 v37, v11, 16, 7
	v_mov_b32_e32 v35, 0x7c01
	s_mov_b32 s50, exec_lo
	v_cmpx_ne_u32_e32 0x7f, v37
	s_cbranch_execz .LBB281_40
; %bb.37:                               ;   in Loop: Header=BB281_13 Depth=1
	v_and_b32_e32 v35, 7, v3
	v_lshrrev_b32_e32 v36, 3, v37
	s_mov_b32 s51, exec_lo
	v_cmpx_gt_u32_e32 8, v37
; %bb.38:                               ;   in Loop: Header=BB281_13 Depth=1
	v_ffbh_u32_e32 v35, v35
	v_min_u32_e32 v37, 32, v35
	v_subrev_nc_u32_e32 v35, 28, v37
	v_lshlrev_b64 v[35:36], v35, v[3:4]
	v_sub_nc_u32_e32 v36, 29, v37
	v_and_b32_e32 v35, 7, v35
; %bb.39:                               ;   in Loop: Header=BB281_13 Depth=1
	s_or_b32 exec_lo, exec_lo, s51
	v_lshlrev_b32_e32 v3, 8, v3
	v_lshl_add_u32 v36, v36, 10, 0x2000
	v_lshlrev_b32_e32 v35, 7, v35
	v_and_b32_e32 v3, 0x8000, v3
	v_and_b32_e32 v36, 0xfc00, v36
	v_or3_b32 v35, v3, v36, v35
.LBB281_40:                             ;   in Loop: Header=BB281_13 Depth=1
	s_or_b32 exec_lo, exec_lo, s50
.LBB281_41:                             ;   in Loop: Header=BB281_13 Depth=1
	s_or_b32 exec_lo, exec_lo, s49
.LBB281_42:                             ;   in Loop: Header=BB281_13 Depth=1
	s_or_b32 exec_lo, exec_lo, s48
	s_mov_b32 s48, exec_lo
	v_cmpx_lt_u32_e32 0xffffff, v11
	s_cbranch_execz .LBB281_50
; %bb.43:                               ;   in Loop: Header=BB281_13 Depth=1
	v_lshrrev_b32_e32 v3, 24, v11
	v_bfrev_b32_e32 v34, 1
	s_mov_b32 s49, exec_lo
	v_cmpx_ne_u32_e32 0x80, v3
	s_cbranch_execz .LBB281_49
; %bb.44:                               ;   in Loop: Header=BB281_13 Depth=1
	v_and_b32_e32 v36, 0x7f, v3
	v_mov_b32_e32 v34, 0x7c010000
	s_mov_b32 s50, exec_lo
	v_cmpx_ne_u32_e32 0x7f, v36
	s_cbranch_execz .LBB281_48
; %bb.45:                               ;   in Loop: Header=BB281_13 Depth=1
	v_and_b32_e32 v11, 7, v3
	v_lshrrev_b32_e32 v34, 3, v36
	s_mov_b32 s51, exec_lo
	v_cmpx_gt_u32_e32 8, v36
; %bb.46:                               ;   in Loop: Header=BB281_13 Depth=1
	v_ffbh_u32_e32 v11, v11
	v_min_u32_e32 v11, 32, v11
	v_subrev_nc_u32_e32 v34, 28, v11
	v_lshlrev_b64 v[36:37], v34, v[3:4]
	v_sub_nc_u32_e32 v34, 29, v11
	v_and_b32_e32 v11, 7, v36
; %bb.47:                               ;   in Loop: Header=BB281_13 Depth=1
	s_or_b32 exec_lo, exec_lo, s51
	v_lshlrev_b32_e32 v3, 8, v3
	v_lshl_add_u32 v34, v34, 10, 0x2000
	v_lshlrev_b32_e32 v11, 23, v11
	v_and_or_b32 v3, 0x8000, v3, v34
	v_lshl_or_b32 v34, v3, 16, v11
.LBB281_48:                             ;   in Loop: Header=BB281_13 Depth=1
	s_or_b32 exec_lo, exec_lo, s50
.LBB281_49:                             ;   in Loop: Header=BB281_13 Depth=1
	s_or_b32 exec_lo, exec_lo, s49
.LBB281_50:                             ;   in Loop: Header=BB281_13 Depth=1
	s_or_b32 exec_lo, exec_lo, s48
	global_load_dword v11, v[9:10], off offset:8
	v_mov_b32_e32 v36, 0
	v_mov_b32_e32 v37, 0
	s_waitcnt vmcnt(0)
	v_cmp_ne_u16_sdwa s2, v11, v4 src0_sel:BYTE_0 src1_sel:DWORD
	s_and_saveexec_b32 s48, s2
	s_cbranch_execz .LBB281_58
; %bb.51:                               ;   in Loop: Header=BB281_13 Depth=1
	v_cmp_ne_u16_sdwa s2, v11, v23 src0_sel:BYTE_0 src1_sel:DWORD
	v_mov_b32_e32 v37, 0x8000
	s_and_saveexec_b32 s49, s2
	s_cbranch_execz .LBB281_57
; %bb.52:                               ;   in Loop: Header=BB281_13 Depth=1
	v_and_b32_e32 v38, 0x7f, v11
	v_mov_b32_e32 v37, 0x7c01
	s_mov_b32 s50, exec_lo
	v_cmpx_ne_u32_e32 0x7f, v38
	s_cbranch_execz .LBB281_56
; %bb.53:                               ;   in Loop: Header=BB281_13 Depth=1
	v_and_b32_e32 v3, 7, v11
	v_lshrrev_b32_e32 v37, 3, v38
	s_mov_b32 s51, exec_lo
	v_cmpx_gt_u32_e32 8, v38
; %bb.54:                               ;   in Loop: Header=BB281_13 Depth=1
	v_ffbh_u32_e32 v3, v3
	v_min_u32_e32 v3, 32, v3
	v_subrev_nc_u32_e32 v37, 28, v3
	v_lshlrev_b64 v[38:39], v37, v[11:12]
	v_sub_nc_u32_e32 v37, 29, v3
	v_and_b32_e32 v3, 7, v38
; %bb.55:                               ;   in Loop: Header=BB281_13 Depth=1
	s_or_b32 exec_lo, exec_lo, s51
	v_lshlrev_b32_e32 v38, 8, v11
	v_lshl_add_u32 v37, v37, 10, 0x2000
	v_lshlrev_b32_e32 v3, 7, v3
	v_and_b32_e32 v38, 0x8000, v38
	v_and_b32_e32 v37, 0xfc00, v37
	v_or3_b32 v37, v38, v37, v3
.LBB281_56:                             ;   in Loop: Header=BB281_13 Depth=1
	s_or_b32 exec_lo, exec_lo, s50
.LBB281_57:                             ;   in Loop: Header=BB281_13 Depth=1
	s_or_b32 exec_lo, exec_lo, s49
.LBB281_58:                             ;   in Loop: Header=BB281_13 Depth=1
	s_or_b32 exec_lo, exec_lo, s48
	v_lshrrev_b16 v3, 8, v11
	s_mov_b32 s48, exec_lo
	v_cmpx_ne_u16_e32 0, v3
	s_cbranch_execz .LBB281_66
; %bb.59:                               ;   in Loop: Header=BB281_13 Depth=1
	v_bfrev_b32_e32 v36, 1
	s_mov_b32 s49, exec_lo
	v_cmpx_ne_u16_e32 0x80, v3
	s_cbranch_execz .LBB281_65
; %bb.60:                               ;   in Loop: Header=BB281_13 Depth=1
	v_and_b32_sdwa v39, v3, v24 dst_sel:DWORD dst_unused:UNUSED_PAD src0_sel:WORD_0 src1_sel:DWORD
	v_mov_b32_e32 v36, 0x7c010000
	s_mov_b32 s50, exec_lo
	v_cmpx_ne_u32_e32 0x7f, v39
	s_cbranch_execz .LBB281_64
; %bb.61:                               ;   in Loop: Header=BB281_13 Depth=1
	v_and_b32_sdwa v36, v3, v25 dst_sel:DWORD dst_unused:UNUSED_PAD src0_sel:WORD_0 src1_sel:DWORD
	v_lshrrev_b32_e32 v38, 3, v39
	s_mov_b32 s51, exec_lo
	v_cmpx_gt_u32_e32 8, v39
; %bb.62:                               ;   in Loop: Header=BB281_13 Depth=1
	v_ffbh_u32_e32 v36, v36
	v_min_u32_e32 v36, 32, v36
	v_subrev_nc_u32_e32 v38, 28, v36
	v_lshlrev_b64 v[39:40], v38, v[3:4]
	v_sub_nc_u32_e32 v38, 29, v36
	v_and_b32_e32 v36, 7, v39
; %bb.63:                               ;   in Loop: Header=BB281_13 Depth=1
	s_or_b32 exec_lo, exec_lo, s51
	v_lshlrev_b32_sdwa v3, v26, v3 dst_sel:DWORD dst_unused:UNUSED_PAD src0_sel:DWORD src1_sel:WORD_0
	v_lshl_add_u32 v38, v38, 10, 0x2000
	v_lshlrev_b32_e32 v36, 23, v36
	v_and_or_b32 v3, 0x8000, v3, v38
	v_lshl_or_b32 v36, v3, 16, v36
.LBB281_64:                             ;   in Loop: Header=BB281_13 Depth=1
	s_or_b32 exec_lo, exec_lo, s50
.LBB281_65:                             ;   in Loop: Header=BB281_13 Depth=1
	s_or_b32 exec_lo, exec_lo, s49
.LBB281_66:                             ;   in Loop: Header=BB281_13 Depth=1
	s_or_b32 exec_lo, exec_lo, s48
	v_lshrrev_b32_e32 v3, 16, v11
	v_mov_b32_e32 v38, 0
	v_mov_b32_e32 v39, 0
	v_cmp_ne_u16_sdwa s2, v3, v4 src0_sel:BYTE_0 src1_sel:DWORD
	s_and_saveexec_b32 s48, s2
	s_cbranch_execz .LBB281_74
; %bb.67:                               ;   in Loop: Header=BB281_13 Depth=1
	v_cmp_ne_u16_sdwa s2, v3, v23 src0_sel:BYTE_0 src1_sel:DWORD
	v_mov_b32_e32 v39, 0x8000
	s_and_saveexec_b32 s49, s2
	s_cbranch_execz .LBB281_73
; %bb.68:                               ;   in Loop: Header=BB281_13 Depth=1
	v_bfe_u32 v41, v11, 16, 7
	v_mov_b32_e32 v39, 0x7c01
	s_mov_b32 s50, exec_lo
	v_cmpx_ne_u32_e32 0x7f, v41
	s_cbranch_execz .LBB281_72
; %bb.69:                               ;   in Loop: Header=BB281_13 Depth=1
	v_and_b32_e32 v39, 7, v3
	v_lshrrev_b32_e32 v40, 3, v41
	s_mov_b32 s51, exec_lo
	v_cmpx_gt_u32_e32 8, v41
; %bb.70:                               ;   in Loop: Header=BB281_13 Depth=1
	v_ffbh_u32_e32 v39, v39
	v_min_u32_e32 v41, 32, v39
	v_subrev_nc_u32_e32 v39, 28, v41
	v_lshlrev_b64 v[39:40], v39, v[3:4]
	v_sub_nc_u32_e32 v40, 29, v41
	v_and_b32_e32 v39, 7, v39
; %bb.71:                               ;   in Loop: Header=BB281_13 Depth=1
	s_or_b32 exec_lo, exec_lo, s51
	v_lshlrev_b32_e32 v3, 8, v3
	v_lshl_add_u32 v40, v40, 10, 0x2000
	v_lshlrev_b32_e32 v39, 7, v39
	v_and_b32_e32 v3, 0x8000, v3
	v_and_b32_e32 v40, 0xfc00, v40
	v_or3_b32 v39, v3, v40, v39
.LBB281_72:                             ;   in Loop: Header=BB281_13 Depth=1
	s_or_b32 exec_lo, exec_lo, s50
.LBB281_73:                             ;   in Loop: Header=BB281_13 Depth=1
	s_or_b32 exec_lo, exec_lo, s49
.LBB281_74:                             ;   in Loop: Header=BB281_13 Depth=1
	s_or_b32 exec_lo, exec_lo, s48
	s_mov_b32 s48, exec_lo
	v_cmpx_lt_u32_e32 0xffffff, v11
	s_cbranch_execz .LBB281_82
; %bb.75:                               ;   in Loop: Header=BB281_13 Depth=1
	v_lshrrev_b32_e32 v3, 24, v11
	v_bfrev_b32_e32 v38, 1
	s_mov_b32 s49, exec_lo
	v_cmpx_ne_u32_e32 0x80, v3
	s_cbranch_execz .LBB281_81
; %bb.76:                               ;   in Loop: Header=BB281_13 Depth=1
	v_and_b32_e32 v40, 0x7f, v3
	v_mov_b32_e32 v38, 0x7c010000
	s_mov_b32 s50, exec_lo
	v_cmpx_ne_u32_e32 0x7f, v40
	s_cbranch_execz .LBB281_80
; %bb.77:                               ;   in Loop: Header=BB281_13 Depth=1
	v_and_b32_e32 v11, 7, v3
	v_lshrrev_b32_e32 v38, 3, v40
	s_mov_b32 s51, exec_lo
	v_cmpx_gt_u32_e32 8, v40
; %bb.78:                               ;   in Loop: Header=BB281_13 Depth=1
	v_ffbh_u32_e32 v11, v11
	v_min_u32_e32 v11, 32, v11
	v_subrev_nc_u32_e32 v38, 28, v11
	v_lshlrev_b64 v[40:41], v38, v[3:4]
	v_sub_nc_u32_e32 v38, 29, v11
	v_and_b32_e32 v11, 7, v40
; %bb.79:                               ;   in Loop: Header=BB281_13 Depth=1
	s_or_b32 exec_lo, exec_lo, s51
	v_lshlrev_b32_e32 v3, 8, v3
	v_lshl_add_u32 v38, v38, 10, 0x2000
	v_lshlrev_b32_e32 v11, 23, v11
	v_and_or_b32 v3, 0x8000, v3, v38
	v_lshl_or_b32 v38, v3, 16, v11
.LBB281_80:                             ;   in Loop: Header=BB281_13 Depth=1
	s_or_b32 exec_lo, exec_lo, s50
.LBB281_81:                             ;   in Loop: Header=BB281_13 Depth=1
	s_or_b32 exec_lo, exec_lo, s49
.LBB281_82:                             ;   in Loop: Header=BB281_13 Depth=1
	s_or_b32 exec_lo, exec_lo, s48
	global_load_dword v11, v[9:10], off offset:256
	v_mov_b32_e32 v40, 0
	v_mov_b32_e32 v41, 0
	s_waitcnt vmcnt(0)
	v_cmp_ne_u16_sdwa s2, v11, v4 src0_sel:BYTE_0 src1_sel:DWORD
	s_and_saveexec_b32 s48, s2
	s_cbranch_execz .LBB281_90
; %bb.83:                               ;   in Loop: Header=BB281_13 Depth=1
	v_cmp_ne_u16_sdwa s2, v11, v23 src0_sel:BYTE_0 src1_sel:DWORD
	v_mov_b32_e32 v41, 0x8000
	s_and_saveexec_b32 s49, s2
	s_cbranch_execz .LBB281_89
; %bb.84:                               ;   in Loop: Header=BB281_13 Depth=1
	v_and_b32_e32 v42, 0x7f, v11
	v_mov_b32_e32 v41, 0x7c01
	s_mov_b32 s50, exec_lo
	v_cmpx_ne_u32_e32 0x7f, v42
	s_cbranch_execz .LBB281_88
; %bb.85:                               ;   in Loop: Header=BB281_13 Depth=1
	v_and_b32_e32 v3, 7, v11
	v_lshrrev_b32_e32 v41, 3, v42
	s_mov_b32 s51, exec_lo
	v_cmpx_gt_u32_e32 8, v42
; %bb.86:                               ;   in Loop: Header=BB281_13 Depth=1
	v_ffbh_u32_e32 v3, v3
	v_min_u32_e32 v3, 32, v3
	v_subrev_nc_u32_e32 v41, 28, v3
	v_lshlrev_b64 v[42:43], v41, v[11:12]
	v_sub_nc_u32_e32 v41, 29, v3
	v_and_b32_e32 v3, 7, v42
; %bb.87:                               ;   in Loop: Header=BB281_13 Depth=1
	s_or_b32 exec_lo, exec_lo, s51
	v_lshlrev_b32_e32 v42, 8, v11
	v_lshl_add_u32 v41, v41, 10, 0x2000
	v_lshlrev_b32_e32 v3, 7, v3
	v_and_b32_e32 v42, 0x8000, v42
	v_and_b32_e32 v41, 0xfc00, v41
	v_or3_b32 v41, v42, v41, v3
.LBB281_88:                             ;   in Loop: Header=BB281_13 Depth=1
	s_or_b32 exec_lo, exec_lo, s50
.LBB281_89:                             ;   in Loop: Header=BB281_13 Depth=1
	s_or_b32 exec_lo, exec_lo, s49
.LBB281_90:                             ;   in Loop: Header=BB281_13 Depth=1
	s_or_b32 exec_lo, exec_lo, s48
	v_lshrrev_b16 v3, 8, v11
	s_mov_b32 s48, exec_lo
	v_cmpx_ne_u16_e32 0, v3
	s_cbranch_execz .LBB281_98
; %bb.91:                               ;   in Loop: Header=BB281_13 Depth=1
	v_bfrev_b32_e32 v40, 1
	s_mov_b32 s49, exec_lo
	v_cmpx_ne_u16_e32 0x80, v3
	s_cbranch_execz .LBB281_97
; %bb.92:                               ;   in Loop: Header=BB281_13 Depth=1
	v_and_b32_sdwa v43, v3, v24 dst_sel:DWORD dst_unused:UNUSED_PAD src0_sel:WORD_0 src1_sel:DWORD
	v_mov_b32_e32 v40, 0x7c010000
	s_mov_b32 s50, exec_lo
	v_cmpx_ne_u32_e32 0x7f, v43
	s_cbranch_execz .LBB281_96
; %bb.93:                               ;   in Loop: Header=BB281_13 Depth=1
	v_and_b32_sdwa v40, v3, v25 dst_sel:DWORD dst_unused:UNUSED_PAD src0_sel:WORD_0 src1_sel:DWORD
	v_lshrrev_b32_e32 v42, 3, v43
	s_mov_b32 s51, exec_lo
	v_cmpx_gt_u32_e32 8, v43
; %bb.94:                               ;   in Loop: Header=BB281_13 Depth=1
	v_ffbh_u32_e32 v40, v40
	v_min_u32_e32 v40, 32, v40
	v_subrev_nc_u32_e32 v42, 28, v40
	v_lshlrev_b64 v[43:44], v42, v[3:4]
	v_sub_nc_u32_e32 v42, 29, v40
	v_and_b32_e32 v40, 7, v43
; %bb.95:                               ;   in Loop: Header=BB281_13 Depth=1
	s_or_b32 exec_lo, exec_lo, s51
	v_lshlrev_b32_sdwa v3, v26, v3 dst_sel:DWORD dst_unused:UNUSED_PAD src0_sel:DWORD src1_sel:WORD_0
	v_lshl_add_u32 v42, v42, 10, 0x2000
	v_lshlrev_b32_e32 v40, 23, v40
	v_and_or_b32 v3, 0x8000, v3, v42
	v_lshl_or_b32 v40, v3, 16, v40
.LBB281_96:                             ;   in Loop: Header=BB281_13 Depth=1
	s_or_b32 exec_lo, exec_lo, s50
.LBB281_97:                             ;   in Loop: Header=BB281_13 Depth=1
	s_or_b32 exec_lo, exec_lo, s49
.LBB281_98:                             ;   in Loop: Header=BB281_13 Depth=1
	s_or_b32 exec_lo, exec_lo, s48
	v_lshrrev_b32_e32 v3, 16, v11
	v_mov_b32_e32 v42, 0
	v_mov_b32_e32 v43, 0
	v_cmp_ne_u16_sdwa s2, v3, v4 src0_sel:BYTE_0 src1_sel:DWORD
	s_and_saveexec_b32 s48, s2
	s_cbranch_execz .LBB281_106
; %bb.99:                               ;   in Loop: Header=BB281_13 Depth=1
	v_cmp_ne_u16_sdwa s2, v3, v23 src0_sel:BYTE_0 src1_sel:DWORD
	v_mov_b32_e32 v43, 0x8000
	s_and_saveexec_b32 s49, s2
	s_cbranch_execz .LBB281_105
; %bb.100:                              ;   in Loop: Header=BB281_13 Depth=1
	v_bfe_u32 v45, v11, 16, 7
	v_mov_b32_e32 v43, 0x7c01
	s_mov_b32 s50, exec_lo
	v_cmpx_ne_u32_e32 0x7f, v45
	s_cbranch_execz .LBB281_104
; %bb.101:                              ;   in Loop: Header=BB281_13 Depth=1
	v_and_b32_e32 v43, 7, v3
	v_lshrrev_b32_e32 v44, 3, v45
	s_mov_b32 s51, exec_lo
	v_cmpx_gt_u32_e32 8, v45
; %bb.102:                              ;   in Loop: Header=BB281_13 Depth=1
	v_ffbh_u32_e32 v43, v43
	v_min_u32_e32 v45, 32, v43
	v_subrev_nc_u32_e32 v43, 28, v45
	v_lshlrev_b64 v[43:44], v43, v[3:4]
	v_sub_nc_u32_e32 v44, 29, v45
	v_and_b32_e32 v43, 7, v43
; %bb.103:                              ;   in Loop: Header=BB281_13 Depth=1
	s_or_b32 exec_lo, exec_lo, s51
	v_lshlrev_b32_e32 v3, 8, v3
	v_lshl_add_u32 v44, v44, 10, 0x2000
	v_lshlrev_b32_e32 v43, 7, v43
	v_and_b32_e32 v3, 0x8000, v3
	v_and_b32_e32 v44, 0xfc00, v44
	v_or3_b32 v43, v3, v44, v43
.LBB281_104:                            ;   in Loop: Header=BB281_13 Depth=1
	s_or_b32 exec_lo, exec_lo, s50
.LBB281_105:                            ;   in Loop: Header=BB281_13 Depth=1
	s_or_b32 exec_lo, exec_lo, s49
.LBB281_106:                            ;   in Loop: Header=BB281_13 Depth=1
	s_or_b32 exec_lo, exec_lo, s48
	s_mov_b32 s48, exec_lo
	v_cmpx_lt_u32_e32 0xffffff, v11
	s_cbranch_execz .LBB281_114
; %bb.107:                              ;   in Loop: Header=BB281_13 Depth=1
	v_lshrrev_b32_e32 v3, 24, v11
	v_bfrev_b32_e32 v42, 1
	s_mov_b32 s49, exec_lo
	v_cmpx_ne_u32_e32 0x80, v3
	s_cbranch_execz .LBB281_113
; %bb.108:                              ;   in Loop: Header=BB281_13 Depth=1
	v_and_b32_e32 v44, 0x7f, v3
	v_mov_b32_e32 v42, 0x7c010000
	s_mov_b32 s50, exec_lo
	v_cmpx_ne_u32_e32 0x7f, v44
	s_cbranch_execz .LBB281_112
; %bb.109:                              ;   in Loop: Header=BB281_13 Depth=1
	v_and_b32_e32 v11, 7, v3
	v_lshrrev_b32_e32 v42, 3, v44
	s_mov_b32 s51, exec_lo
	v_cmpx_gt_u32_e32 8, v44
; %bb.110:                              ;   in Loop: Header=BB281_13 Depth=1
	v_ffbh_u32_e32 v11, v11
	v_min_u32_e32 v11, 32, v11
	v_subrev_nc_u32_e32 v42, 28, v11
	v_lshlrev_b64 v[44:45], v42, v[3:4]
	v_sub_nc_u32_e32 v42, 29, v11
	v_and_b32_e32 v11, 7, v44
; %bb.111:                              ;   in Loop: Header=BB281_13 Depth=1
	s_or_b32 exec_lo, exec_lo, s51
	v_lshlrev_b32_e32 v3, 8, v3
	v_lshl_add_u32 v42, v42, 10, 0x2000
	v_lshlrev_b32_e32 v11, 23, v11
	v_and_or_b32 v3, 0x8000, v3, v42
	v_lshl_or_b32 v42, v3, 16, v11
.LBB281_112:                            ;   in Loop: Header=BB281_13 Depth=1
	s_or_b32 exec_lo, exec_lo, s50
.LBB281_113:                            ;   in Loop: Header=BB281_13 Depth=1
	s_or_b32 exec_lo, exec_lo, s49
.LBB281_114:                            ;   in Loop: Header=BB281_13 Depth=1
	s_or_b32 exec_lo, exec_lo, s48
	global_load_dword v11, v[9:10], off offset:264
	v_mov_b32_e32 v44, 0
	v_mov_b32_e32 v45, 0
	s_waitcnt vmcnt(0)
	v_cmp_ne_u16_sdwa s2, v11, v4 src0_sel:BYTE_0 src1_sel:DWORD
	s_and_saveexec_b32 s48, s2
	s_cbranch_execz .LBB281_122
; %bb.115:                              ;   in Loop: Header=BB281_13 Depth=1
	v_cmp_ne_u16_sdwa s2, v11, v23 src0_sel:BYTE_0 src1_sel:DWORD
	v_mov_b32_e32 v45, 0x8000
	s_and_saveexec_b32 s49, s2
	s_cbranch_execz .LBB281_121
; %bb.116:                              ;   in Loop: Header=BB281_13 Depth=1
	v_and_b32_e32 v46, 0x7f, v11
	v_mov_b32_e32 v45, 0x7c01
	s_mov_b32 s50, exec_lo
	v_cmpx_ne_u32_e32 0x7f, v46
	s_cbranch_execz .LBB281_120
; %bb.117:                              ;   in Loop: Header=BB281_13 Depth=1
	v_and_b32_e32 v3, 7, v11
	v_lshrrev_b32_e32 v45, 3, v46
	s_mov_b32 s51, exec_lo
	v_cmpx_gt_u32_e32 8, v46
; %bb.118:                              ;   in Loop: Header=BB281_13 Depth=1
	v_ffbh_u32_e32 v3, v3
	v_min_u32_e32 v3, 32, v3
	v_subrev_nc_u32_e32 v45, 28, v3
	v_lshlrev_b64 v[46:47], v45, v[11:12]
	v_sub_nc_u32_e32 v45, 29, v3
	v_and_b32_e32 v3, 7, v46
; %bb.119:                              ;   in Loop: Header=BB281_13 Depth=1
	s_or_b32 exec_lo, exec_lo, s51
	v_lshlrev_b32_e32 v46, 8, v11
	v_lshl_add_u32 v45, v45, 10, 0x2000
	v_lshlrev_b32_e32 v3, 7, v3
	v_and_b32_e32 v46, 0x8000, v46
	v_and_b32_e32 v45, 0xfc00, v45
	v_or3_b32 v45, v46, v45, v3
.LBB281_120:                            ;   in Loop: Header=BB281_13 Depth=1
	s_or_b32 exec_lo, exec_lo, s50
.LBB281_121:                            ;   in Loop: Header=BB281_13 Depth=1
	s_or_b32 exec_lo, exec_lo, s49
.LBB281_122:                            ;   in Loop: Header=BB281_13 Depth=1
	s_or_b32 exec_lo, exec_lo, s48
	v_lshrrev_b16 v3, 8, v11
	s_mov_b32 s48, exec_lo
	v_cmpx_ne_u16_e32 0, v3
	s_cbranch_execz .LBB281_130
; %bb.123:                              ;   in Loop: Header=BB281_13 Depth=1
	v_bfrev_b32_e32 v44, 1
	s_mov_b32 s49, exec_lo
	v_cmpx_ne_u16_e32 0x80, v3
	s_cbranch_execz .LBB281_129
; %bb.124:                              ;   in Loop: Header=BB281_13 Depth=1
	v_and_b32_sdwa v47, v3, v24 dst_sel:DWORD dst_unused:UNUSED_PAD src0_sel:WORD_0 src1_sel:DWORD
	v_mov_b32_e32 v44, 0x7c010000
	s_mov_b32 s50, exec_lo
	v_cmpx_ne_u32_e32 0x7f, v47
	s_cbranch_execz .LBB281_128
; %bb.125:                              ;   in Loop: Header=BB281_13 Depth=1
	v_and_b32_sdwa v44, v3, v25 dst_sel:DWORD dst_unused:UNUSED_PAD src0_sel:WORD_0 src1_sel:DWORD
	v_lshrrev_b32_e32 v46, 3, v47
	s_mov_b32 s51, exec_lo
	v_cmpx_gt_u32_e32 8, v47
; %bb.126:                              ;   in Loop: Header=BB281_13 Depth=1
	v_ffbh_u32_e32 v44, v44
	v_min_u32_e32 v44, 32, v44
	v_subrev_nc_u32_e32 v46, 28, v44
	v_lshlrev_b64 v[47:48], v46, v[3:4]
	v_sub_nc_u32_e32 v46, 29, v44
	v_and_b32_e32 v44, 7, v47
; %bb.127:                              ;   in Loop: Header=BB281_13 Depth=1
	s_or_b32 exec_lo, exec_lo, s51
	v_lshlrev_b32_sdwa v3, v26, v3 dst_sel:DWORD dst_unused:UNUSED_PAD src0_sel:DWORD src1_sel:WORD_0
	v_lshl_add_u32 v46, v46, 10, 0x2000
	v_lshlrev_b32_e32 v44, 23, v44
	v_and_or_b32 v3, 0x8000, v3, v46
	v_lshl_or_b32 v44, v3, 16, v44
.LBB281_128:                            ;   in Loop: Header=BB281_13 Depth=1
	s_or_b32 exec_lo, exec_lo, s50
.LBB281_129:                            ;   in Loop: Header=BB281_13 Depth=1
	s_or_b32 exec_lo, exec_lo, s49
.LBB281_130:                            ;   in Loop: Header=BB281_13 Depth=1
	s_or_b32 exec_lo, exec_lo, s48
	v_lshrrev_b32_e32 v3, 16, v11
	v_mov_b32_e32 v46, 0
	v_mov_b32_e32 v47, 0
	v_cmp_ne_u16_sdwa s2, v3, v4 src0_sel:BYTE_0 src1_sel:DWORD
	s_and_saveexec_b32 s48, s2
	s_cbranch_execz .LBB281_138
; %bb.131:                              ;   in Loop: Header=BB281_13 Depth=1
	v_cmp_ne_u16_sdwa s2, v3, v23 src0_sel:BYTE_0 src1_sel:DWORD
	v_mov_b32_e32 v47, 0x8000
	s_and_saveexec_b32 s49, s2
	s_cbranch_execz .LBB281_137
; %bb.132:                              ;   in Loop: Header=BB281_13 Depth=1
	v_bfe_u32 v49, v11, 16, 7
	v_mov_b32_e32 v47, 0x7c01
	s_mov_b32 s50, exec_lo
	v_cmpx_ne_u32_e32 0x7f, v49
	s_cbranch_execz .LBB281_136
; %bb.133:                              ;   in Loop: Header=BB281_13 Depth=1
	v_and_b32_e32 v47, 7, v3
	v_lshrrev_b32_e32 v48, 3, v49
	s_mov_b32 s51, exec_lo
	v_cmpx_gt_u32_e32 8, v49
; %bb.134:                              ;   in Loop: Header=BB281_13 Depth=1
	v_ffbh_u32_e32 v47, v47
	v_min_u32_e32 v49, 32, v47
	v_subrev_nc_u32_e32 v47, 28, v49
	v_lshlrev_b64 v[47:48], v47, v[3:4]
	v_sub_nc_u32_e32 v48, 29, v49
	v_and_b32_e32 v47, 7, v47
; %bb.135:                              ;   in Loop: Header=BB281_13 Depth=1
	s_or_b32 exec_lo, exec_lo, s51
	v_lshlrev_b32_e32 v3, 8, v3
	v_lshl_add_u32 v48, v48, 10, 0x2000
	v_lshlrev_b32_e32 v47, 7, v47
	v_and_b32_e32 v3, 0x8000, v3
	v_and_b32_e32 v48, 0xfc00, v48
	v_or3_b32 v47, v3, v48, v47
.LBB281_136:                            ;   in Loop: Header=BB281_13 Depth=1
	s_or_b32 exec_lo, exec_lo, s50
.LBB281_137:                            ;   in Loop: Header=BB281_13 Depth=1
	s_or_b32 exec_lo, exec_lo, s49
.LBB281_138:                            ;   in Loop: Header=BB281_13 Depth=1
	s_or_b32 exec_lo, exec_lo, s48
	s_mov_b32 s48, exec_lo
	v_cmpx_lt_u32_e32 0xffffff, v11
	s_cbranch_execz .LBB281_146
; %bb.139:                              ;   in Loop: Header=BB281_13 Depth=1
	v_lshrrev_b32_e32 v3, 24, v11
	v_bfrev_b32_e32 v46, 1
	s_mov_b32 s49, exec_lo
	v_cmpx_ne_u32_e32 0x80, v3
	s_cbranch_execz .LBB281_145
; %bb.140:                              ;   in Loop: Header=BB281_13 Depth=1
	v_and_b32_e32 v48, 0x7f, v3
	v_mov_b32_e32 v46, 0x7c010000
	s_mov_b32 s50, exec_lo
	v_cmpx_ne_u32_e32 0x7f, v48
	s_cbranch_execz .LBB281_144
; %bb.141:                              ;   in Loop: Header=BB281_13 Depth=1
	v_and_b32_e32 v11, 7, v3
	v_lshrrev_b32_e32 v46, 3, v48
	s_mov_b32 s51, exec_lo
	v_cmpx_gt_u32_e32 8, v48
; %bb.142:                              ;   in Loop: Header=BB281_13 Depth=1
	v_ffbh_u32_e32 v11, v11
	v_min_u32_e32 v11, 32, v11
	v_subrev_nc_u32_e32 v46, 28, v11
	v_lshlrev_b64 v[48:49], v46, v[3:4]
	v_sub_nc_u32_e32 v46, 29, v11
	v_and_b32_e32 v11, 7, v48
; %bb.143:                              ;   in Loop: Header=BB281_13 Depth=1
	s_or_b32 exec_lo, exec_lo, s51
	v_lshlrev_b32_e32 v3, 8, v3
	v_lshl_add_u32 v46, v46, 10, 0x2000
	v_lshlrev_b32_e32 v11, 23, v11
	v_and_or_b32 v3, 0x8000, v3, v46
	v_lshl_or_b32 v46, v3, 16, v11
.LBB281_144:                            ;   in Loop: Header=BB281_13 Depth=1
	s_or_b32 exec_lo, exec_lo, s50
.LBB281_145:                            ;   in Loop: Header=BB281_13 Depth=1
	s_or_b32 exec_lo, exec_lo, s49
.LBB281_146:                            ;   in Loop: Header=BB281_13 Depth=1
	s_or_b32 exec_lo, exec_lo, s48
	global_load_dword v11, v[9:10], off offset:512
	v_mov_b32_e32 v48, 0
	v_mov_b32_e32 v49, 0
	s_waitcnt vmcnt(0)
	v_cmp_ne_u16_sdwa s2, v11, v4 src0_sel:BYTE_0 src1_sel:DWORD
	s_and_saveexec_b32 s48, s2
	s_cbranch_execz .LBB281_154
; %bb.147:                              ;   in Loop: Header=BB281_13 Depth=1
	v_cmp_ne_u16_sdwa s2, v11, v23 src0_sel:BYTE_0 src1_sel:DWORD
	v_mov_b32_e32 v49, 0x8000
	s_and_saveexec_b32 s49, s2
	s_cbranch_execz .LBB281_153
; %bb.148:                              ;   in Loop: Header=BB281_13 Depth=1
	v_and_b32_e32 v50, 0x7f, v11
	v_mov_b32_e32 v49, 0x7c01
	s_mov_b32 s50, exec_lo
	v_cmpx_ne_u32_e32 0x7f, v50
	s_cbranch_execz .LBB281_152
; %bb.149:                              ;   in Loop: Header=BB281_13 Depth=1
	v_and_b32_e32 v3, 7, v11
	v_lshrrev_b32_e32 v49, 3, v50
	s_mov_b32 s51, exec_lo
	v_cmpx_gt_u32_e32 8, v50
; %bb.150:                              ;   in Loop: Header=BB281_13 Depth=1
	v_ffbh_u32_e32 v3, v3
	v_min_u32_e32 v3, 32, v3
	v_subrev_nc_u32_e32 v49, 28, v3
	v_lshlrev_b64 v[50:51], v49, v[11:12]
	v_sub_nc_u32_e32 v49, 29, v3
	v_and_b32_e32 v3, 7, v50
; %bb.151:                              ;   in Loop: Header=BB281_13 Depth=1
	s_or_b32 exec_lo, exec_lo, s51
	v_lshlrev_b32_e32 v50, 8, v11
	v_lshl_add_u32 v49, v49, 10, 0x2000
	v_lshlrev_b32_e32 v3, 7, v3
	v_and_b32_e32 v50, 0x8000, v50
	v_and_b32_e32 v49, 0xfc00, v49
	v_or3_b32 v49, v50, v49, v3
.LBB281_152:                            ;   in Loop: Header=BB281_13 Depth=1
	s_or_b32 exec_lo, exec_lo, s50
.LBB281_153:                            ;   in Loop: Header=BB281_13 Depth=1
	s_or_b32 exec_lo, exec_lo, s49
.LBB281_154:                            ;   in Loop: Header=BB281_13 Depth=1
	s_or_b32 exec_lo, exec_lo, s48
	v_lshrrev_b16 v3, 8, v11
	s_mov_b32 s48, exec_lo
	v_cmpx_ne_u16_e32 0, v3
	s_cbranch_execz .LBB281_162
; %bb.155:                              ;   in Loop: Header=BB281_13 Depth=1
	v_bfrev_b32_e32 v48, 1
	s_mov_b32 s49, exec_lo
	v_cmpx_ne_u16_e32 0x80, v3
	s_cbranch_execz .LBB281_161
; %bb.156:                              ;   in Loop: Header=BB281_13 Depth=1
	v_and_b32_sdwa v51, v3, v24 dst_sel:DWORD dst_unused:UNUSED_PAD src0_sel:WORD_0 src1_sel:DWORD
	v_mov_b32_e32 v48, 0x7c010000
	s_mov_b32 s50, exec_lo
	v_cmpx_ne_u32_e32 0x7f, v51
	s_cbranch_execz .LBB281_160
; %bb.157:                              ;   in Loop: Header=BB281_13 Depth=1
	v_and_b32_sdwa v48, v3, v25 dst_sel:DWORD dst_unused:UNUSED_PAD src0_sel:WORD_0 src1_sel:DWORD
	v_lshrrev_b32_e32 v50, 3, v51
	s_mov_b32 s51, exec_lo
	v_cmpx_gt_u32_e32 8, v51
; %bb.158:                              ;   in Loop: Header=BB281_13 Depth=1
	v_ffbh_u32_e32 v48, v48
	v_min_u32_e32 v48, 32, v48
	v_subrev_nc_u32_e32 v50, 28, v48
	v_lshlrev_b64 v[51:52], v50, v[3:4]
	v_sub_nc_u32_e32 v50, 29, v48
	v_and_b32_e32 v48, 7, v51
; %bb.159:                              ;   in Loop: Header=BB281_13 Depth=1
	s_or_b32 exec_lo, exec_lo, s51
	v_lshlrev_b32_sdwa v3, v26, v3 dst_sel:DWORD dst_unused:UNUSED_PAD src0_sel:DWORD src1_sel:WORD_0
	v_lshl_add_u32 v50, v50, 10, 0x2000
	v_lshlrev_b32_e32 v48, 23, v48
	v_and_or_b32 v3, 0x8000, v3, v50
	v_lshl_or_b32 v48, v3, 16, v48
.LBB281_160:                            ;   in Loop: Header=BB281_13 Depth=1
	s_or_b32 exec_lo, exec_lo, s50
.LBB281_161:                            ;   in Loop: Header=BB281_13 Depth=1
	s_or_b32 exec_lo, exec_lo, s49
.LBB281_162:                            ;   in Loop: Header=BB281_13 Depth=1
	s_or_b32 exec_lo, exec_lo, s48
	v_lshrrev_b32_e32 v3, 16, v11
	v_mov_b32_e32 v50, 0
	v_mov_b32_e32 v51, 0
	v_cmp_ne_u16_sdwa s2, v3, v4 src0_sel:BYTE_0 src1_sel:DWORD
	s_and_saveexec_b32 s48, s2
	s_cbranch_execz .LBB281_170
; %bb.163:                              ;   in Loop: Header=BB281_13 Depth=1
	v_cmp_ne_u16_sdwa s2, v3, v23 src0_sel:BYTE_0 src1_sel:DWORD
	v_mov_b32_e32 v51, 0x8000
	s_and_saveexec_b32 s49, s2
	s_cbranch_execz .LBB281_169
; %bb.164:                              ;   in Loop: Header=BB281_13 Depth=1
	v_bfe_u32 v53, v11, 16, 7
	v_mov_b32_e32 v51, 0x7c01
	s_mov_b32 s50, exec_lo
	v_cmpx_ne_u32_e32 0x7f, v53
	s_cbranch_execz .LBB281_168
; %bb.165:                              ;   in Loop: Header=BB281_13 Depth=1
	v_and_b32_e32 v51, 7, v3
	v_lshrrev_b32_e32 v52, 3, v53
	s_mov_b32 s51, exec_lo
	v_cmpx_gt_u32_e32 8, v53
; %bb.166:                              ;   in Loop: Header=BB281_13 Depth=1
	v_ffbh_u32_e32 v51, v51
	v_min_u32_e32 v53, 32, v51
	v_subrev_nc_u32_e32 v51, 28, v53
	v_lshlrev_b64 v[51:52], v51, v[3:4]
	v_sub_nc_u32_e32 v52, 29, v53
	v_and_b32_e32 v51, 7, v51
; %bb.167:                              ;   in Loop: Header=BB281_13 Depth=1
	s_or_b32 exec_lo, exec_lo, s51
	v_lshlrev_b32_e32 v3, 8, v3
	v_lshl_add_u32 v52, v52, 10, 0x2000
	v_lshlrev_b32_e32 v51, 7, v51
	v_and_b32_e32 v3, 0x8000, v3
	v_and_b32_e32 v52, 0xfc00, v52
	v_or3_b32 v51, v3, v52, v51
.LBB281_168:                            ;   in Loop: Header=BB281_13 Depth=1
	s_or_b32 exec_lo, exec_lo, s50
.LBB281_169:                            ;   in Loop: Header=BB281_13 Depth=1
	s_or_b32 exec_lo, exec_lo, s49
.LBB281_170:                            ;   in Loop: Header=BB281_13 Depth=1
	s_or_b32 exec_lo, exec_lo, s48
	s_mov_b32 s48, exec_lo
	v_cmpx_lt_u32_e32 0xffffff, v11
	s_cbranch_execz .LBB281_178
; %bb.171:                              ;   in Loop: Header=BB281_13 Depth=1
	v_lshrrev_b32_e32 v3, 24, v11
	v_bfrev_b32_e32 v50, 1
	s_mov_b32 s49, exec_lo
	v_cmpx_ne_u32_e32 0x80, v3
	s_cbranch_execz .LBB281_177
; %bb.172:                              ;   in Loop: Header=BB281_13 Depth=1
	v_and_b32_e32 v52, 0x7f, v3
	v_mov_b32_e32 v50, 0x7c010000
	s_mov_b32 s50, exec_lo
	v_cmpx_ne_u32_e32 0x7f, v52
	s_cbranch_execz .LBB281_176
; %bb.173:                              ;   in Loop: Header=BB281_13 Depth=1
	v_and_b32_e32 v11, 7, v3
	v_lshrrev_b32_e32 v50, 3, v52
	s_mov_b32 s51, exec_lo
	v_cmpx_gt_u32_e32 8, v52
; %bb.174:                              ;   in Loop: Header=BB281_13 Depth=1
	v_ffbh_u32_e32 v11, v11
	v_min_u32_e32 v11, 32, v11
	v_subrev_nc_u32_e32 v50, 28, v11
	v_lshlrev_b64 v[52:53], v50, v[3:4]
	v_sub_nc_u32_e32 v50, 29, v11
	v_and_b32_e32 v11, 7, v52
; %bb.175:                              ;   in Loop: Header=BB281_13 Depth=1
	s_or_b32 exec_lo, exec_lo, s51
	v_lshlrev_b32_e32 v3, 8, v3
	v_lshl_add_u32 v50, v50, 10, 0x2000
	v_lshlrev_b32_e32 v11, 23, v11
	v_and_or_b32 v3, 0x8000, v3, v50
	v_lshl_or_b32 v50, v3, 16, v11
.LBB281_176:                            ;   in Loop: Header=BB281_13 Depth=1
	s_or_b32 exec_lo, exec_lo, s50
.LBB281_177:                            ;   in Loop: Header=BB281_13 Depth=1
	s_or_b32 exec_lo, exec_lo, s49
.LBB281_178:                            ;   in Loop: Header=BB281_13 Depth=1
	s_or_b32 exec_lo, exec_lo, s48
	global_load_dword v11, v[9:10], off offset:520
	v_mov_b32_e32 v52, 0
	v_mov_b32_e32 v53, 0
	s_waitcnt vmcnt(0)
	v_cmp_ne_u16_sdwa s2, v11, v4 src0_sel:BYTE_0 src1_sel:DWORD
	s_and_saveexec_b32 s48, s2
	s_cbranch_execz .LBB281_186
; %bb.179:                              ;   in Loop: Header=BB281_13 Depth=1
	v_cmp_ne_u16_sdwa s2, v11, v23 src0_sel:BYTE_0 src1_sel:DWORD
	v_mov_b32_e32 v53, 0x8000
	s_and_saveexec_b32 s49, s2
	s_cbranch_execz .LBB281_185
; %bb.180:                              ;   in Loop: Header=BB281_13 Depth=1
	v_and_b32_e32 v54, 0x7f, v11
	v_mov_b32_e32 v53, 0x7c01
	s_mov_b32 s50, exec_lo
	v_cmpx_ne_u32_e32 0x7f, v54
	s_cbranch_execz .LBB281_184
; %bb.181:                              ;   in Loop: Header=BB281_13 Depth=1
	v_and_b32_e32 v3, 7, v11
	v_lshrrev_b32_e32 v53, 3, v54
	s_mov_b32 s51, exec_lo
	v_cmpx_gt_u32_e32 8, v54
; %bb.182:                              ;   in Loop: Header=BB281_13 Depth=1
	v_ffbh_u32_e32 v3, v3
	v_min_u32_e32 v3, 32, v3
	v_subrev_nc_u32_e32 v53, 28, v3
	v_lshlrev_b64 v[54:55], v53, v[11:12]
	v_sub_nc_u32_e32 v53, 29, v3
	v_and_b32_e32 v3, 7, v54
; %bb.183:                              ;   in Loop: Header=BB281_13 Depth=1
	s_or_b32 exec_lo, exec_lo, s51
	v_lshlrev_b32_e32 v54, 8, v11
	v_lshl_add_u32 v53, v53, 10, 0x2000
	v_lshlrev_b32_e32 v3, 7, v3
	v_and_b32_e32 v54, 0x8000, v54
	v_and_b32_e32 v53, 0xfc00, v53
	v_or3_b32 v53, v54, v53, v3
.LBB281_184:                            ;   in Loop: Header=BB281_13 Depth=1
	s_or_b32 exec_lo, exec_lo, s50
.LBB281_185:                            ;   in Loop: Header=BB281_13 Depth=1
	s_or_b32 exec_lo, exec_lo, s49
.LBB281_186:                            ;   in Loop: Header=BB281_13 Depth=1
	s_or_b32 exec_lo, exec_lo, s48
	v_lshrrev_b16 v3, 8, v11
	s_mov_b32 s48, exec_lo
	v_cmpx_ne_u16_e32 0, v3
	s_cbranch_execz .LBB281_194
; %bb.187:                              ;   in Loop: Header=BB281_13 Depth=1
	v_bfrev_b32_e32 v52, 1
	s_mov_b32 s49, exec_lo
	v_cmpx_ne_u16_e32 0x80, v3
	s_cbranch_execz .LBB281_193
; %bb.188:                              ;   in Loop: Header=BB281_13 Depth=1
	v_and_b32_sdwa v55, v3, v24 dst_sel:DWORD dst_unused:UNUSED_PAD src0_sel:WORD_0 src1_sel:DWORD
	v_mov_b32_e32 v52, 0x7c010000
	s_mov_b32 s50, exec_lo
	v_cmpx_ne_u32_e32 0x7f, v55
	s_cbranch_execz .LBB281_192
; %bb.189:                              ;   in Loop: Header=BB281_13 Depth=1
	v_and_b32_sdwa v52, v3, v25 dst_sel:DWORD dst_unused:UNUSED_PAD src0_sel:WORD_0 src1_sel:DWORD
	v_lshrrev_b32_e32 v54, 3, v55
	s_mov_b32 s51, exec_lo
	v_cmpx_gt_u32_e32 8, v55
; %bb.190:                              ;   in Loop: Header=BB281_13 Depth=1
	v_ffbh_u32_e32 v52, v52
	v_min_u32_e32 v52, 32, v52
	v_subrev_nc_u32_e32 v54, 28, v52
	v_lshlrev_b64 v[55:56], v54, v[3:4]
	v_sub_nc_u32_e32 v54, 29, v52
	v_and_b32_e32 v52, 7, v55
; %bb.191:                              ;   in Loop: Header=BB281_13 Depth=1
	s_or_b32 exec_lo, exec_lo, s51
	v_lshlrev_b32_sdwa v3, v26, v3 dst_sel:DWORD dst_unused:UNUSED_PAD src0_sel:DWORD src1_sel:WORD_0
	v_lshl_add_u32 v54, v54, 10, 0x2000
	v_lshlrev_b32_e32 v52, 23, v52
	v_and_or_b32 v3, 0x8000, v3, v54
	v_lshl_or_b32 v52, v3, 16, v52
.LBB281_192:                            ;   in Loop: Header=BB281_13 Depth=1
	s_or_b32 exec_lo, exec_lo, s50
.LBB281_193:                            ;   in Loop: Header=BB281_13 Depth=1
	s_or_b32 exec_lo, exec_lo, s49
.LBB281_194:                            ;   in Loop: Header=BB281_13 Depth=1
	s_or_b32 exec_lo, exec_lo, s48
	v_lshrrev_b32_e32 v3, 16, v11
	v_mov_b32_e32 v54, 0
	v_mov_b32_e32 v55, 0
	v_cmp_ne_u16_sdwa s2, v3, v4 src0_sel:BYTE_0 src1_sel:DWORD
	s_and_saveexec_b32 s48, s2
	s_cbranch_execz .LBB281_202
; %bb.195:                              ;   in Loop: Header=BB281_13 Depth=1
	v_cmp_ne_u16_sdwa s2, v3, v23 src0_sel:BYTE_0 src1_sel:DWORD
	v_mov_b32_e32 v55, 0x8000
	s_and_saveexec_b32 s49, s2
	s_cbranch_execz .LBB281_201
; %bb.196:                              ;   in Loop: Header=BB281_13 Depth=1
	v_bfe_u32 v57, v11, 16, 7
	v_mov_b32_e32 v55, 0x7c01
	s_mov_b32 s50, exec_lo
	v_cmpx_ne_u32_e32 0x7f, v57
	s_cbranch_execz .LBB281_200
; %bb.197:                              ;   in Loop: Header=BB281_13 Depth=1
	v_and_b32_e32 v55, 7, v3
	v_lshrrev_b32_e32 v56, 3, v57
	s_mov_b32 s51, exec_lo
	v_cmpx_gt_u32_e32 8, v57
; %bb.198:                              ;   in Loop: Header=BB281_13 Depth=1
	v_ffbh_u32_e32 v55, v55
	v_min_u32_e32 v57, 32, v55
	v_subrev_nc_u32_e32 v55, 28, v57
	v_lshlrev_b64 v[55:56], v55, v[3:4]
	v_sub_nc_u32_e32 v56, 29, v57
	v_and_b32_e32 v55, 7, v55
; %bb.199:                              ;   in Loop: Header=BB281_13 Depth=1
	s_or_b32 exec_lo, exec_lo, s51
	v_lshlrev_b32_e32 v3, 8, v3
	v_lshl_add_u32 v56, v56, 10, 0x2000
	v_lshlrev_b32_e32 v55, 7, v55
	v_and_b32_e32 v3, 0x8000, v3
	v_and_b32_e32 v56, 0xfc00, v56
	v_or3_b32 v55, v3, v56, v55
.LBB281_200:                            ;   in Loop: Header=BB281_13 Depth=1
	s_or_b32 exec_lo, exec_lo, s50
.LBB281_201:                            ;   in Loop: Header=BB281_13 Depth=1
	s_or_b32 exec_lo, exec_lo, s49
.LBB281_202:                            ;   in Loop: Header=BB281_13 Depth=1
	s_or_b32 exec_lo, exec_lo, s48
	s_mov_b32 s48, exec_lo
	v_cmpx_lt_u32_e32 0xffffff, v11
	s_cbranch_execz .LBB281_210
; %bb.203:                              ;   in Loop: Header=BB281_13 Depth=1
	v_lshrrev_b32_e32 v3, 24, v11
	v_bfrev_b32_e32 v54, 1
	s_mov_b32 s49, exec_lo
	v_cmpx_ne_u32_e32 0x80, v3
	s_cbranch_execz .LBB281_209
; %bb.204:                              ;   in Loop: Header=BB281_13 Depth=1
	v_and_b32_e32 v56, 0x7f, v3
	v_mov_b32_e32 v54, 0x7c010000
	s_mov_b32 s50, exec_lo
	v_cmpx_ne_u32_e32 0x7f, v56
	s_cbranch_execz .LBB281_208
; %bb.205:                              ;   in Loop: Header=BB281_13 Depth=1
	v_and_b32_e32 v11, 7, v3
	v_lshrrev_b32_e32 v54, 3, v56
	s_mov_b32 s51, exec_lo
	v_cmpx_gt_u32_e32 8, v56
; %bb.206:                              ;   in Loop: Header=BB281_13 Depth=1
	v_ffbh_u32_e32 v11, v11
	v_min_u32_e32 v11, 32, v11
	v_subrev_nc_u32_e32 v54, 28, v11
	v_lshlrev_b64 v[56:57], v54, v[3:4]
	v_sub_nc_u32_e32 v54, 29, v11
	v_and_b32_e32 v11, 7, v56
; %bb.207:                              ;   in Loop: Header=BB281_13 Depth=1
	s_or_b32 exec_lo, exec_lo, s51
	v_lshlrev_b32_e32 v3, 8, v3
	v_lshl_add_u32 v54, v54, 10, 0x2000
	v_lshlrev_b32_e32 v11, 23, v11
	v_and_or_b32 v3, 0x8000, v3, v54
	v_lshl_or_b32 v54, v3, 16, v11
.LBB281_208:                            ;   in Loop: Header=BB281_13 Depth=1
	s_or_b32 exec_lo, exec_lo, s50
.LBB281_209:                            ;   in Loop: Header=BB281_13 Depth=1
	s_or_b32 exec_lo, exec_lo, s49
.LBB281_210:                            ;   in Loop: Header=BB281_13 Depth=1
	s_or_b32 exec_lo, exec_lo, s48
	global_load_dword v11, v[9:10], off offset:768
	v_mov_b32_e32 v56, 0
	v_mov_b32_e32 v57, 0
	s_waitcnt vmcnt(0)
	v_cmp_ne_u16_sdwa s2, v11, v4 src0_sel:BYTE_0 src1_sel:DWORD
	s_and_saveexec_b32 s48, s2
	s_cbranch_execz .LBB281_218
; %bb.211:                              ;   in Loop: Header=BB281_13 Depth=1
	v_cmp_ne_u16_sdwa s2, v11, v23 src0_sel:BYTE_0 src1_sel:DWORD
	v_mov_b32_e32 v57, 0x8000
	s_and_saveexec_b32 s49, s2
	s_cbranch_execz .LBB281_217
; %bb.212:                              ;   in Loop: Header=BB281_13 Depth=1
	v_and_b32_e32 v58, 0x7f, v11
	v_mov_b32_e32 v57, 0x7c01
	s_mov_b32 s50, exec_lo
	v_cmpx_ne_u32_e32 0x7f, v58
	s_cbranch_execz .LBB281_216
; %bb.213:                              ;   in Loop: Header=BB281_13 Depth=1
	v_and_b32_e32 v3, 7, v11
	v_lshrrev_b32_e32 v57, 3, v58
	s_mov_b32 s51, exec_lo
	v_cmpx_gt_u32_e32 8, v58
; %bb.214:                              ;   in Loop: Header=BB281_13 Depth=1
	v_ffbh_u32_e32 v3, v3
	v_min_u32_e32 v3, 32, v3
	v_subrev_nc_u32_e32 v57, 28, v3
	v_lshlrev_b64 v[58:59], v57, v[11:12]
	v_sub_nc_u32_e32 v57, 29, v3
	v_and_b32_e32 v3, 7, v58
; %bb.215:                              ;   in Loop: Header=BB281_13 Depth=1
	s_or_b32 exec_lo, exec_lo, s51
	v_lshlrev_b32_e32 v58, 8, v11
	v_lshl_add_u32 v57, v57, 10, 0x2000
	v_lshlrev_b32_e32 v3, 7, v3
	v_and_b32_e32 v58, 0x8000, v58
	v_and_b32_e32 v57, 0xfc00, v57
	v_or3_b32 v57, v58, v57, v3
.LBB281_216:                            ;   in Loop: Header=BB281_13 Depth=1
	s_or_b32 exec_lo, exec_lo, s50
.LBB281_217:                            ;   in Loop: Header=BB281_13 Depth=1
	s_or_b32 exec_lo, exec_lo, s49
.LBB281_218:                            ;   in Loop: Header=BB281_13 Depth=1
	s_or_b32 exec_lo, exec_lo, s48
	v_lshrrev_b16 v3, 8, v11
	s_mov_b32 s48, exec_lo
	v_cmpx_ne_u16_e32 0, v3
	s_cbranch_execz .LBB281_226
; %bb.219:                              ;   in Loop: Header=BB281_13 Depth=1
	v_bfrev_b32_e32 v56, 1
	s_mov_b32 s49, exec_lo
	v_cmpx_ne_u16_e32 0x80, v3
	s_cbranch_execz .LBB281_225
; %bb.220:                              ;   in Loop: Header=BB281_13 Depth=1
	v_and_b32_sdwa v59, v3, v24 dst_sel:DWORD dst_unused:UNUSED_PAD src0_sel:WORD_0 src1_sel:DWORD
	v_mov_b32_e32 v56, 0x7c010000
	s_mov_b32 s50, exec_lo
	v_cmpx_ne_u32_e32 0x7f, v59
	s_cbranch_execz .LBB281_224
; %bb.221:                              ;   in Loop: Header=BB281_13 Depth=1
	v_and_b32_sdwa v56, v3, v25 dst_sel:DWORD dst_unused:UNUSED_PAD src0_sel:WORD_0 src1_sel:DWORD
	v_lshrrev_b32_e32 v58, 3, v59
	s_mov_b32 s51, exec_lo
	v_cmpx_gt_u32_e32 8, v59
; %bb.222:                              ;   in Loop: Header=BB281_13 Depth=1
	v_ffbh_u32_e32 v56, v56
	v_min_u32_e32 v56, 32, v56
	v_subrev_nc_u32_e32 v58, 28, v56
	v_lshlrev_b64 v[59:60], v58, v[3:4]
	v_sub_nc_u32_e32 v58, 29, v56
	v_and_b32_e32 v56, 7, v59
; %bb.223:                              ;   in Loop: Header=BB281_13 Depth=1
	s_or_b32 exec_lo, exec_lo, s51
	v_lshlrev_b32_sdwa v3, v26, v3 dst_sel:DWORD dst_unused:UNUSED_PAD src0_sel:DWORD src1_sel:WORD_0
	v_lshl_add_u32 v58, v58, 10, 0x2000
	v_lshlrev_b32_e32 v56, 23, v56
	v_and_or_b32 v3, 0x8000, v3, v58
	v_lshl_or_b32 v56, v3, 16, v56
.LBB281_224:                            ;   in Loop: Header=BB281_13 Depth=1
	s_or_b32 exec_lo, exec_lo, s50
.LBB281_225:                            ;   in Loop: Header=BB281_13 Depth=1
	s_or_b32 exec_lo, exec_lo, s49
.LBB281_226:                            ;   in Loop: Header=BB281_13 Depth=1
	s_or_b32 exec_lo, exec_lo, s48
	v_lshrrev_b32_e32 v3, 16, v11
	v_mov_b32_e32 v58, 0
	v_mov_b32_e32 v59, 0
	v_cmp_ne_u16_sdwa s2, v3, v4 src0_sel:BYTE_0 src1_sel:DWORD
	s_and_saveexec_b32 s48, s2
	s_cbranch_execz .LBB281_234
; %bb.227:                              ;   in Loop: Header=BB281_13 Depth=1
	v_cmp_ne_u16_sdwa s2, v3, v23 src0_sel:BYTE_0 src1_sel:DWORD
	v_mov_b32_e32 v59, 0x8000
	s_and_saveexec_b32 s49, s2
	s_cbranch_execz .LBB281_233
; %bb.228:                              ;   in Loop: Header=BB281_13 Depth=1
	v_bfe_u32 v61, v11, 16, 7
	v_mov_b32_e32 v59, 0x7c01
	s_mov_b32 s50, exec_lo
	v_cmpx_ne_u32_e32 0x7f, v61
	s_cbranch_execz .LBB281_232
; %bb.229:                              ;   in Loop: Header=BB281_13 Depth=1
	v_and_b32_e32 v59, 7, v3
	v_lshrrev_b32_e32 v60, 3, v61
	s_mov_b32 s51, exec_lo
	v_cmpx_gt_u32_e32 8, v61
; %bb.230:                              ;   in Loop: Header=BB281_13 Depth=1
	v_ffbh_u32_e32 v59, v59
	v_min_u32_e32 v61, 32, v59
	v_subrev_nc_u32_e32 v59, 28, v61
	v_lshlrev_b64 v[59:60], v59, v[3:4]
	v_sub_nc_u32_e32 v60, 29, v61
	v_and_b32_e32 v59, 7, v59
; %bb.231:                              ;   in Loop: Header=BB281_13 Depth=1
	s_or_b32 exec_lo, exec_lo, s51
	v_lshlrev_b32_e32 v3, 8, v3
	v_lshl_add_u32 v60, v60, 10, 0x2000
	v_lshlrev_b32_e32 v59, 7, v59
	v_and_b32_e32 v3, 0x8000, v3
	v_and_b32_e32 v60, 0xfc00, v60
	v_or3_b32 v59, v3, v60, v59
.LBB281_232:                            ;   in Loop: Header=BB281_13 Depth=1
	s_or_b32 exec_lo, exec_lo, s50
.LBB281_233:                            ;   in Loop: Header=BB281_13 Depth=1
	s_or_b32 exec_lo, exec_lo, s49
.LBB281_234:                            ;   in Loop: Header=BB281_13 Depth=1
	s_or_b32 exec_lo, exec_lo, s48
	s_mov_b32 s48, exec_lo
	v_cmpx_lt_u32_e32 0xffffff, v11
	s_cbranch_execz .LBB281_242
; %bb.235:                              ;   in Loop: Header=BB281_13 Depth=1
	v_lshrrev_b32_e32 v3, 24, v11
	v_bfrev_b32_e32 v58, 1
	s_mov_b32 s49, exec_lo
	v_cmpx_ne_u32_e32 0x80, v3
	s_cbranch_execz .LBB281_241
; %bb.236:                              ;   in Loop: Header=BB281_13 Depth=1
	v_and_b32_e32 v60, 0x7f, v3
	v_mov_b32_e32 v58, 0x7c010000
	s_mov_b32 s50, exec_lo
	v_cmpx_ne_u32_e32 0x7f, v60
	s_cbranch_execz .LBB281_240
; %bb.237:                              ;   in Loop: Header=BB281_13 Depth=1
	v_and_b32_e32 v11, 7, v3
	v_lshrrev_b32_e32 v58, 3, v60
	s_mov_b32 s51, exec_lo
	v_cmpx_gt_u32_e32 8, v60
; %bb.238:                              ;   in Loop: Header=BB281_13 Depth=1
	v_ffbh_u32_e32 v11, v11
	v_min_u32_e32 v11, 32, v11
	v_subrev_nc_u32_e32 v58, 28, v11
	v_lshlrev_b64 v[60:61], v58, v[3:4]
	v_sub_nc_u32_e32 v58, 29, v11
	v_and_b32_e32 v11, 7, v60
; %bb.239:                              ;   in Loop: Header=BB281_13 Depth=1
	s_or_b32 exec_lo, exec_lo, s51
	v_lshlrev_b32_e32 v3, 8, v3
	v_lshl_add_u32 v58, v58, 10, 0x2000
	v_lshlrev_b32_e32 v11, 23, v11
	v_and_or_b32 v3, 0x8000, v3, v58
	v_lshl_or_b32 v58, v3, 16, v11
.LBB281_240:                            ;   in Loop: Header=BB281_13 Depth=1
	s_or_b32 exec_lo, exec_lo, s50
.LBB281_241:                            ;   in Loop: Header=BB281_13 Depth=1
	s_or_b32 exec_lo, exec_lo, s49
.LBB281_242:                            ;   in Loop: Header=BB281_13 Depth=1
	s_or_b32 exec_lo, exec_lo, s48
	global_load_dword v11, v[9:10], off offset:776
	v_mov_b32_e32 v60, 0
	v_mov_b32_e32 v61, 0
	s_waitcnt vmcnt(0)
	v_cmp_ne_u16_sdwa s2, v11, v4 src0_sel:BYTE_0 src1_sel:DWORD
	s_and_saveexec_b32 s48, s2
	s_cbranch_execz .LBB281_250
; %bb.243:                              ;   in Loop: Header=BB281_13 Depth=1
	v_cmp_ne_u16_sdwa s2, v11, v23 src0_sel:BYTE_0 src1_sel:DWORD
	v_mov_b32_e32 v61, 0x8000
	s_and_saveexec_b32 s49, s2
	s_cbranch_execz .LBB281_249
; %bb.244:                              ;   in Loop: Header=BB281_13 Depth=1
	v_and_b32_e32 v62, 0x7f, v11
	v_mov_b32_e32 v61, 0x7c01
	s_mov_b32 s50, exec_lo
	v_cmpx_ne_u32_e32 0x7f, v62
	s_cbranch_execz .LBB281_248
; %bb.245:                              ;   in Loop: Header=BB281_13 Depth=1
	v_and_b32_e32 v3, 7, v11
	v_lshrrev_b32_e32 v61, 3, v62
	s_mov_b32 s51, exec_lo
	v_cmpx_gt_u32_e32 8, v62
; %bb.246:                              ;   in Loop: Header=BB281_13 Depth=1
	v_ffbh_u32_e32 v3, v3
	v_min_u32_e32 v3, 32, v3
	v_subrev_nc_u32_e32 v61, 28, v3
	v_lshlrev_b64 v[62:63], v61, v[11:12]
	v_sub_nc_u32_e32 v61, 29, v3
	v_and_b32_e32 v3, 7, v62
; %bb.247:                              ;   in Loop: Header=BB281_13 Depth=1
	s_or_b32 exec_lo, exec_lo, s51
	v_lshlrev_b32_e32 v62, 8, v11
	v_lshl_add_u32 v61, v61, 10, 0x2000
	v_lshlrev_b32_e32 v3, 7, v3
	v_and_b32_e32 v62, 0x8000, v62
	v_and_b32_e32 v61, 0xfc00, v61
	v_or3_b32 v61, v62, v61, v3
.LBB281_248:                            ;   in Loop: Header=BB281_13 Depth=1
	s_or_b32 exec_lo, exec_lo, s50
.LBB281_249:                            ;   in Loop: Header=BB281_13 Depth=1
	s_or_b32 exec_lo, exec_lo, s49
.LBB281_250:                            ;   in Loop: Header=BB281_13 Depth=1
	s_or_b32 exec_lo, exec_lo, s48
	v_lshrrev_b16 v3, 8, v11
	s_mov_b32 s48, exec_lo
	v_cmpx_ne_u16_e32 0, v3
	s_cbranch_execz .LBB281_258
; %bb.251:                              ;   in Loop: Header=BB281_13 Depth=1
	v_bfrev_b32_e32 v60, 1
	s_mov_b32 s49, exec_lo
	v_cmpx_ne_u16_e32 0x80, v3
	s_cbranch_execz .LBB281_257
; %bb.252:                              ;   in Loop: Header=BB281_13 Depth=1
	v_and_b32_sdwa v63, v3, v24 dst_sel:DWORD dst_unused:UNUSED_PAD src0_sel:WORD_0 src1_sel:DWORD
	v_mov_b32_e32 v60, 0x7c010000
	s_mov_b32 s50, exec_lo
	v_cmpx_ne_u32_e32 0x7f, v63
	s_cbranch_execz .LBB281_256
; %bb.253:                              ;   in Loop: Header=BB281_13 Depth=1
	v_and_b32_sdwa v60, v3, v25 dst_sel:DWORD dst_unused:UNUSED_PAD src0_sel:WORD_0 src1_sel:DWORD
	v_lshrrev_b32_e32 v62, 3, v63
	s_mov_b32 s51, exec_lo
	v_cmpx_gt_u32_e32 8, v63
; %bb.254:                              ;   in Loop: Header=BB281_13 Depth=1
	v_ffbh_u32_e32 v60, v60
	v_min_u32_e32 v60, 32, v60
	v_subrev_nc_u32_e32 v62, 28, v60
	v_lshlrev_b64 v[63:64], v62, v[3:4]
	v_sub_nc_u32_e32 v62, 29, v60
	v_and_b32_e32 v60, 7, v63
; %bb.255:                              ;   in Loop: Header=BB281_13 Depth=1
	s_or_b32 exec_lo, exec_lo, s51
	v_lshlrev_b32_sdwa v3, v26, v3 dst_sel:DWORD dst_unused:UNUSED_PAD src0_sel:DWORD src1_sel:WORD_0
	v_lshl_add_u32 v62, v62, 10, 0x2000
	v_lshlrev_b32_e32 v60, 23, v60
	v_and_or_b32 v3, 0x8000, v3, v62
	v_lshl_or_b32 v60, v3, 16, v60
.LBB281_256:                            ;   in Loop: Header=BB281_13 Depth=1
	s_or_b32 exec_lo, exec_lo, s50
.LBB281_257:                            ;   in Loop: Header=BB281_13 Depth=1
	s_or_b32 exec_lo, exec_lo, s49
.LBB281_258:                            ;   in Loop: Header=BB281_13 Depth=1
	s_or_b32 exec_lo, exec_lo, s48
	v_lshrrev_b32_e32 v3, 16, v11
	v_mov_b32_e32 v62, 0
	v_mov_b32_e32 v63, 0
	v_cmp_ne_u16_sdwa s2, v3, v4 src0_sel:BYTE_0 src1_sel:DWORD
	s_and_saveexec_b32 s48, s2
	s_cbranch_execz .LBB281_266
; %bb.259:                              ;   in Loop: Header=BB281_13 Depth=1
	v_cmp_ne_u16_sdwa s2, v3, v23 src0_sel:BYTE_0 src1_sel:DWORD
	v_mov_b32_e32 v63, 0x8000
	s_and_saveexec_b32 s49, s2
	s_cbranch_execz .LBB281_265
; %bb.260:                              ;   in Loop: Header=BB281_13 Depth=1
	v_bfe_u32 v65, v11, 16, 7
	v_mov_b32_e32 v63, 0x7c01
	s_mov_b32 s50, exec_lo
	v_cmpx_ne_u32_e32 0x7f, v65
	s_cbranch_execz .LBB281_264
; %bb.261:                              ;   in Loop: Header=BB281_13 Depth=1
	v_and_b32_e32 v63, 7, v3
	v_lshrrev_b32_e32 v64, 3, v65
	s_mov_b32 s51, exec_lo
	v_cmpx_gt_u32_e32 8, v65
; %bb.262:                              ;   in Loop: Header=BB281_13 Depth=1
	v_ffbh_u32_e32 v63, v63
	v_min_u32_e32 v65, 32, v63
	v_subrev_nc_u32_e32 v63, 28, v65
	v_lshlrev_b64 v[63:64], v63, v[3:4]
	v_sub_nc_u32_e32 v64, 29, v65
	v_and_b32_e32 v63, 7, v63
; %bb.263:                              ;   in Loop: Header=BB281_13 Depth=1
	s_or_b32 exec_lo, exec_lo, s51
	v_lshlrev_b32_e32 v3, 8, v3
	v_lshl_add_u32 v64, v64, 10, 0x2000
	v_lshlrev_b32_e32 v63, 7, v63
	v_and_b32_e32 v3, 0x8000, v3
	v_and_b32_e32 v64, 0xfc00, v64
	v_or3_b32 v63, v3, v64, v63
.LBB281_264:                            ;   in Loop: Header=BB281_13 Depth=1
	s_or_b32 exec_lo, exec_lo, s50
.LBB281_265:                            ;   in Loop: Header=BB281_13 Depth=1
	s_or_b32 exec_lo, exec_lo, s49
.LBB281_266:                            ;   in Loop: Header=BB281_13 Depth=1
	s_or_b32 exec_lo, exec_lo, s48
	s_mov_b32 s48, exec_lo
	v_cmpx_lt_u32_e32 0xffffff, v11
	s_cbranch_execz .LBB281_274
; %bb.267:                              ;   in Loop: Header=BB281_13 Depth=1
	v_lshrrev_b32_e32 v3, 24, v11
	v_bfrev_b32_e32 v62, 1
	s_mov_b32 s49, exec_lo
	v_cmpx_ne_u32_e32 0x80, v3
	s_cbranch_execz .LBB281_273
; %bb.268:                              ;   in Loop: Header=BB281_13 Depth=1
	v_and_b32_e32 v64, 0x7f, v3
	v_mov_b32_e32 v62, 0x7c010000
	s_mov_b32 s50, exec_lo
	v_cmpx_ne_u32_e32 0x7f, v64
	s_cbranch_execz .LBB281_272
; %bb.269:                              ;   in Loop: Header=BB281_13 Depth=1
	v_and_b32_e32 v11, 7, v3
	v_lshrrev_b32_e32 v62, 3, v64
	s_mov_b32 s51, exec_lo
	v_cmpx_gt_u32_e32 8, v64
; %bb.270:                              ;   in Loop: Header=BB281_13 Depth=1
	v_ffbh_u32_e32 v11, v11
	v_min_u32_e32 v11, 32, v11
	v_subrev_nc_u32_e32 v62, 28, v11
	v_lshlrev_b64 v[64:65], v62, v[3:4]
	v_sub_nc_u32_e32 v62, 29, v11
	v_and_b32_e32 v11, 7, v64
; %bb.271:                              ;   in Loop: Header=BB281_13 Depth=1
	s_or_b32 exec_lo, exec_lo, s51
	v_lshlrev_b32_e32 v3, 8, v3
	v_lshl_add_u32 v62, v62, 10, 0x2000
	v_lshlrev_b32_e32 v11, 23, v11
	v_and_or_b32 v3, 0x8000, v3, v62
	v_lshl_or_b32 v62, v3, 16, v11
.LBB281_272:                            ;   in Loop: Header=BB281_13 Depth=1
	s_or_b32 exec_lo, exec_lo, s50
.LBB281_273:                            ;   in Loop: Header=BB281_13 Depth=1
	s_or_b32 exec_lo, exec_lo, s49
.LBB281_274:                            ;   in Loop: Header=BB281_13 Depth=1
	s_or_b32 exec_lo, exec_lo, s48
	global_load_dword v11, v[9:10], off offset:1024
	v_mov_b32_e32 v64, 0
	v_mov_b32_e32 v65, 0
	s_waitcnt vmcnt(0)
	v_cmp_ne_u16_sdwa s2, v11, v4 src0_sel:BYTE_0 src1_sel:DWORD
	s_and_saveexec_b32 s48, s2
	s_cbranch_execz .LBB281_282
; %bb.275:                              ;   in Loop: Header=BB281_13 Depth=1
	v_cmp_ne_u16_sdwa s2, v11, v23 src0_sel:BYTE_0 src1_sel:DWORD
	v_mov_b32_e32 v65, 0x8000
	s_and_saveexec_b32 s49, s2
	s_cbranch_execz .LBB281_281
; %bb.276:                              ;   in Loop: Header=BB281_13 Depth=1
	v_and_b32_e32 v66, 0x7f, v11
	v_mov_b32_e32 v65, 0x7c01
	s_mov_b32 s50, exec_lo
	v_cmpx_ne_u32_e32 0x7f, v66
	s_cbranch_execz .LBB281_280
; %bb.277:                              ;   in Loop: Header=BB281_13 Depth=1
	v_and_b32_e32 v3, 7, v11
	v_lshrrev_b32_e32 v65, 3, v66
	s_mov_b32 s51, exec_lo
	v_cmpx_gt_u32_e32 8, v66
; %bb.278:                              ;   in Loop: Header=BB281_13 Depth=1
	v_ffbh_u32_e32 v3, v3
	v_min_u32_e32 v3, 32, v3
	v_subrev_nc_u32_e32 v65, 28, v3
	v_lshlrev_b64 v[66:67], v65, v[11:12]
	v_sub_nc_u32_e32 v65, 29, v3
	v_and_b32_e32 v3, 7, v66
; %bb.279:                              ;   in Loop: Header=BB281_13 Depth=1
	s_or_b32 exec_lo, exec_lo, s51
	v_lshlrev_b32_e32 v66, 8, v11
	v_lshl_add_u32 v65, v65, 10, 0x2000
	v_lshlrev_b32_e32 v3, 7, v3
	v_and_b32_e32 v66, 0x8000, v66
	v_and_b32_e32 v65, 0xfc00, v65
	v_or3_b32 v65, v66, v65, v3
.LBB281_280:                            ;   in Loop: Header=BB281_13 Depth=1
	s_or_b32 exec_lo, exec_lo, s50
.LBB281_281:                            ;   in Loop: Header=BB281_13 Depth=1
	s_or_b32 exec_lo, exec_lo, s49
.LBB281_282:                            ;   in Loop: Header=BB281_13 Depth=1
	s_or_b32 exec_lo, exec_lo, s48
	v_lshrrev_b16 v3, 8, v11
	s_mov_b32 s48, exec_lo
	v_cmpx_ne_u16_e32 0, v3
	s_cbranch_execz .LBB281_290
; %bb.283:                              ;   in Loop: Header=BB281_13 Depth=1
	v_bfrev_b32_e32 v64, 1
	s_mov_b32 s49, exec_lo
	v_cmpx_ne_u16_e32 0x80, v3
	s_cbranch_execz .LBB281_289
; %bb.284:                              ;   in Loop: Header=BB281_13 Depth=1
	v_and_b32_sdwa v67, v3, v24 dst_sel:DWORD dst_unused:UNUSED_PAD src0_sel:WORD_0 src1_sel:DWORD
	v_mov_b32_e32 v64, 0x7c010000
	s_mov_b32 s50, exec_lo
	v_cmpx_ne_u32_e32 0x7f, v67
	s_cbranch_execz .LBB281_288
; %bb.285:                              ;   in Loop: Header=BB281_13 Depth=1
	v_and_b32_sdwa v64, v3, v25 dst_sel:DWORD dst_unused:UNUSED_PAD src0_sel:WORD_0 src1_sel:DWORD
	v_lshrrev_b32_e32 v66, 3, v67
	s_mov_b32 s51, exec_lo
	v_cmpx_gt_u32_e32 8, v67
; %bb.286:                              ;   in Loop: Header=BB281_13 Depth=1
	v_ffbh_u32_e32 v64, v64
	v_min_u32_e32 v64, 32, v64
	v_subrev_nc_u32_e32 v66, 28, v64
	v_lshlrev_b64 v[67:68], v66, v[3:4]
	v_sub_nc_u32_e32 v66, 29, v64
	v_and_b32_e32 v64, 7, v67
; %bb.287:                              ;   in Loop: Header=BB281_13 Depth=1
	s_or_b32 exec_lo, exec_lo, s51
	v_lshlrev_b32_sdwa v3, v26, v3 dst_sel:DWORD dst_unused:UNUSED_PAD src0_sel:DWORD src1_sel:WORD_0
	v_lshl_add_u32 v66, v66, 10, 0x2000
	v_lshlrev_b32_e32 v64, 23, v64
	v_and_or_b32 v3, 0x8000, v3, v66
	v_lshl_or_b32 v64, v3, 16, v64
.LBB281_288:                            ;   in Loop: Header=BB281_13 Depth=1
	s_or_b32 exec_lo, exec_lo, s50
.LBB281_289:                            ;   in Loop: Header=BB281_13 Depth=1
	s_or_b32 exec_lo, exec_lo, s49
.LBB281_290:                            ;   in Loop: Header=BB281_13 Depth=1
	s_or_b32 exec_lo, exec_lo, s48
	v_lshrrev_b32_e32 v3, 16, v11
	v_mov_b32_e32 v66, 0
	v_mov_b32_e32 v67, 0
	v_cmp_ne_u16_sdwa s2, v3, v4 src0_sel:BYTE_0 src1_sel:DWORD
	s_and_saveexec_b32 s48, s2
	s_cbranch_execz .LBB281_298
; %bb.291:                              ;   in Loop: Header=BB281_13 Depth=1
	v_cmp_ne_u16_sdwa s2, v3, v23 src0_sel:BYTE_0 src1_sel:DWORD
	v_mov_b32_e32 v67, 0x8000
	s_and_saveexec_b32 s49, s2
	s_cbranch_execz .LBB281_297
; %bb.292:                              ;   in Loop: Header=BB281_13 Depth=1
	v_bfe_u32 v69, v11, 16, 7
	v_mov_b32_e32 v67, 0x7c01
	s_mov_b32 s50, exec_lo
	v_cmpx_ne_u32_e32 0x7f, v69
	s_cbranch_execz .LBB281_296
; %bb.293:                              ;   in Loop: Header=BB281_13 Depth=1
	v_and_b32_e32 v67, 7, v3
	v_lshrrev_b32_e32 v68, 3, v69
	s_mov_b32 s51, exec_lo
	v_cmpx_gt_u32_e32 8, v69
; %bb.294:                              ;   in Loop: Header=BB281_13 Depth=1
	v_ffbh_u32_e32 v67, v67
	v_min_u32_e32 v69, 32, v67
	v_subrev_nc_u32_e32 v67, 28, v69
	v_lshlrev_b64 v[67:68], v67, v[3:4]
	v_sub_nc_u32_e32 v68, 29, v69
	v_and_b32_e32 v67, 7, v67
; %bb.295:                              ;   in Loop: Header=BB281_13 Depth=1
	s_or_b32 exec_lo, exec_lo, s51
	v_lshlrev_b32_e32 v3, 8, v3
	v_lshl_add_u32 v68, v68, 10, 0x2000
	v_lshlrev_b32_e32 v67, 7, v67
	v_and_b32_e32 v3, 0x8000, v3
	v_and_b32_e32 v68, 0xfc00, v68
	v_or3_b32 v67, v3, v68, v67
.LBB281_296:                            ;   in Loop: Header=BB281_13 Depth=1
	s_or_b32 exec_lo, exec_lo, s50
.LBB281_297:                            ;   in Loop: Header=BB281_13 Depth=1
	s_or_b32 exec_lo, exec_lo, s49
.LBB281_298:                            ;   in Loop: Header=BB281_13 Depth=1
	s_or_b32 exec_lo, exec_lo, s48
	s_mov_b32 s48, exec_lo
	v_cmpx_lt_u32_e32 0xffffff, v11
	s_cbranch_execz .LBB281_306
; %bb.299:                              ;   in Loop: Header=BB281_13 Depth=1
	v_lshrrev_b32_e32 v3, 24, v11
	v_bfrev_b32_e32 v66, 1
	s_mov_b32 s49, exec_lo
	v_cmpx_ne_u32_e32 0x80, v3
	s_cbranch_execz .LBB281_305
; %bb.300:                              ;   in Loop: Header=BB281_13 Depth=1
	v_and_b32_e32 v68, 0x7f, v3
	v_mov_b32_e32 v66, 0x7c010000
	s_mov_b32 s50, exec_lo
	v_cmpx_ne_u32_e32 0x7f, v68
	s_cbranch_execz .LBB281_304
; %bb.301:                              ;   in Loop: Header=BB281_13 Depth=1
	v_and_b32_e32 v11, 7, v3
	v_lshrrev_b32_e32 v66, 3, v68
	s_mov_b32 s51, exec_lo
	v_cmpx_gt_u32_e32 8, v68
; %bb.302:                              ;   in Loop: Header=BB281_13 Depth=1
	v_ffbh_u32_e32 v11, v11
	v_min_u32_e32 v11, 32, v11
	v_subrev_nc_u32_e32 v66, 28, v11
	v_lshlrev_b64 v[68:69], v66, v[3:4]
	v_sub_nc_u32_e32 v66, 29, v11
	v_and_b32_e32 v11, 7, v68
; %bb.303:                              ;   in Loop: Header=BB281_13 Depth=1
	s_or_b32 exec_lo, exec_lo, s51
	v_lshlrev_b32_e32 v3, 8, v3
	v_lshl_add_u32 v66, v66, 10, 0x2000
	v_lshlrev_b32_e32 v11, 23, v11
	v_and_or_b32 v3, 0x8000, v3, v66
	v_lshl_or_b32 v66, v3, 16, v11
.LBB281_304:                            ;   in Loop: Header=BB281_13 Depth=1
	s_or_b32 exec_lo, exec_lo, s50
.LBB281_305:                            ;   in Loop: Header=BB281_13 Depth=1
	s_or_b32 exec_lo, exec_lo, s49
.LBB281_306:                            ;   in Loop: Header=BB281_13 Depth=1
	s_or_b32 exec_lo, exec_lo, s48
	global_load_dword v9, v[9:10], off offset:1032
	v_mov_b32_e32 v10, 0
	v_mov_b32_e32 v11, 0
	s_waitcnt vmcnt(0)
	v_cmp_ne_u16_sdwa s2, v9, v4 src0_sel:BYTE_0 src1_sel:DWORD
	s_and_saveexec_b32 s48, s2
	s_cbranch_execz .LBB281_314
; %bb.307:                              ;   in Loop: Header=BB281_13 Depth=1
	v_cmp_ne_u16_sdwa s2, v9, v23 src0_sel:BYTE_0 src1_sel:DWORD
	v_mov_b32_e32 v11, 0x8000
	s_and_saveexec_b32 s49, s2
	s_cbranch_execz .LBB281_313
; %bb.308:                              ;   in Loop: Header=BB281_13 Depth=1
	v_and_b32_e32 v68, 0x7f, v9
	v_mov_b32_e32 v11, 0x7c01
	s_mov_b32 s50, exec_lo
	v_cmpx_ne_u32_e32 0x7f, v68
	s_cbranch_execz .LBB281_312
; %bb.309:                              ;   in Loop: Header=BB281_13 Depth=1
	v_and_b32_e32 v3, 7, v9
	v_lshrrev_b32_e32 v11, 3, v68
	s_mov_b32 s51, exec_lo
	v_cmpx_gt_u32_e32 8, v68
; %bb.310:                              ;   in Loop: Header=BB281_13 Depth=1
	v_ffbh_u32_e32 v3, v3
	v_min_u32_e32 v3, 32, v3
	v_subrev_nc_u32_e32 v11, 28, v3
	v_lshlrev_b64 v[68:69], v11, v[9:10]
	v_sub_nc_u32_e32 v11, 29, v3
	v_and_b32_e32 v3, 7, v68
; %bb.311:                              ;   in Loop: Header=BB281_13 Depth=1
	s_or_b32 exec_lo, exec_lo, s51
	v_lshlrev_b32_e32 v68, 8, v9
	v_lshl_add_u32 v11, v11, 10, 0x2000
	v_lshlrev_b32_e32 v3, 7, v3
	v_and_b32_e32 v68, 0x8000, v68
	v_and_b32_e32 v11, 0xfc00, v11
	v_or3_b32 v11, v68, v11, v3
.LBB281_312:                            ;   in Loop: Header=BB281_13 Depth=1
	s_or_b32 exec_lo, exec_lo, s50
.LBB281_313:                            ;   in Loop: Header=BB281_13 Depth=1
	s_or_b32 exec_lo, exec_lo, s49
.LBB281_314:                            ;   in Loop: Header=BB281_13 Depth=1
	s_or_b32 exec_lo, exec_lo, s48
	v_lshrrev_b16 v3, 8, v9
	s_mov_b32 s48, exec_lo
	v_cmpx_ne_u16_e32 0, v3
	s_cbranch_execz .LBB281_322
; %bb.315:                              ;   in Loop: Header=BB281_13 Depth=1
	v_bfrev_b32_e32 v10, 1
	s_mov_b32 s49, exec_lo
	v_cmpx_ne_u16_e32 0x80, v3
	s_cbranch_execz .LBB281_321
; %bb.316:                              ;   in Loop: Header=BB281_13 Depth=1
	v_and_b32_sdwa v69, v3, v24 dst_sel:DWORD dst_unused:UNUSED_PAD src0_sel:WORD_0 src1_sel:DWORD
	v_mov_b32_e32 v10, 0x7c010000
	s_mov_b32 s50, exec_lo
	v_cmpx_ne_u32_e32 0x7f, v69
	s_cbranch_execz .LBB281_320
; %bb.317:                              ;   in Loop: Header=BB281_13 Depth=1
	v_and_b32_sdwa v10, v3, v25 dst_sel:DWORD dst_unused:UNUSED_PAD src0_sel:WORD_0 src1_sel:DWORD
	v_lshrrev_b32_e32 v68, 3, v69
	s_mov_b32 s51, exec_lo
	v_cmpx_gt_u32_e32 8, v69
; %bb.318:                              ;   in Loop: Header=BB281_13 Depth=1
	v_ffbh_u32_e32 v10, v10
	v_min_u32_e32 v10, 32, v10
	v_subrev_nc_u32_e32 v68, 28, v10
	v_lshlrev_b64 v[69:70], v68, v[3:4]
	v_sub_nc_u32_e32 v68, 29, v10
	v_and_b32_e32 v10, 7, v69
; %bb.319:                              ;   in Loop: Header=BB281_13 Depth=1
	s_or_b32 exec_lo, exec_lo, s51
	v_lshlrev_b32_sdwa v3, v26, v3 dst_sel:DWORD dst_unused:UNUSED_PAD src0_sel:DWORD src1_sel:WORD_0
	v_lshl_add_u32 v68, v68, 10, 0x2000
	v_lshlrev_b32_e32 v10, 23, v10
	v_and_or_b32 v3, 0x8000, v3, v68
	v_lshl_or_b32 v10, v3, 16, v10
.LBB281_320:                            ;   in Loop: Header=BB281_13 Depth=1
	s_or_b32 exec_lo, exec_lo, s50
.LBB281_321:                            ;   in Loop: Header=BB281_13 Depth=1
	s_or_b32 exec_lo, exec_lo, s49
.LBB281_322:                            ;   in Loop: Header=BB281_13 Depth=1
	s_or_b32 exec_lo, exec_lo, s48
	v_lshrrev_b32_e32 v3, 16, v9
	v_mov_b32_e32 v68, 0
	v_mov_b32_e32 v69, 0
	v_cmp_ne_u16_sdwa s2, v3, v4 src0_sel:BYTE_0 src1_sel:DWORD
	s_and_saveexec_b32 s48, s2
	s_cbranch_execz .LBB281_330
; %bb.323:                              ;   in Loop: Header=BB281_13 Depth=1
	v_cmp_ne_u16_sdwa s2, v3, v23 src0_sel:BYTE_0 src1_sel:DWORD
	v_mov_b32_e32 v69, 0x8000
	s_and_saveexec_b32 s49, s2
	s_cbranch_execz .LBB281_329
; %bb.324:                              ;   in Loop: Header=BB281_13 Depth=1
	v_bfe_u32 v71, v9, 16, 7
	v_mov_b32_e32 v69, 0x7c01
	s_mov_b32 s50, exec_lo
	v_cmpx_ne_u32_e32 0x7f, v71
	s_cbranch_execz .LBB281_328
; %bb.325:                              ;   in Loop: Header=BB281_13 Depth=1
	v_and_b32_e32 v69, 7, v3
	v_lshrrev_b32_e32 v70, 3, v71
	s_mov_b32 s51, exec_lo
	v_cmpx_gt_u32_e32 8, v71
; %bb.326:                              ;   in Loop: Header=BB281_13 Depth=1
	v_ffbh_u32_e32 v69, v69
	v_min_u32_e32 v71, 32, v69
	v_subrev_nc_u32_e32 v69, 28, v71
	v_lshlrev_b64 v[69:70], v69, v[3:4]
	v_sub_nc_u32_e32 v70, 29, v71
	v_and_b32_e32 v69, 7, v69
; %bb.327:                              ;   in Loop: Header=BB281_13 Depth=1
	s_or_b32 exec_lo, exec_lo, s51
	v_lshlrev_b32_e32 v3, 8, v3
	v_lshl_add_u32 v70, v70, 10, 0x2000
	v_lshlrev_b32_e32 v69, 7, v69
	v_and_b32_e32 v3, 0x8000, v3
	v_and_b32_e32 v70, 0xfc00, v70
	v_or3_b32 v69, v3, v70, v69
.LBB281_328:                            ;   in Loop: Header=BB281_13 Depth=1
	s_or_b32 exec_lo, exec_lo, s50
.LBB281_329:                            ;   in Loop: Header=BB281_13 Depth=1
	s_or_b32 exec_lo, exec_lo, s49
.LBB281_330:                            ;   in Loop: Header=BB281_13 Depth=1
	s_or_b32 exec_lo, exec_lo, s48
	s_mov_b32 s48, exec_lo
	v_cmpx_lt_u32_e32 0xffffff, v9
	s_cbranch_execz .LBB281_338
; %bb.331:                              ;   in Loop: Header=BB281_13 Depth=1
	v_lshrrev_b32_e32 v3, 24, v9
	v_bfrev_b32_e32 v68, 1
	s_mov_b32 s49, exec_lo
	v_cmpx_ne_u32_e32 0x80, v3
	s_cbranch_execz .LBB281_337
; %bb.332:                              ;   in Loop: Header=BB281_13 Depth=1
	v_and_b32_e32 v70, 0x7f, v3
	v_mov_b32_e32 v68, 0x7c010000
	s_mov_b32 s50, exec_lo
	v_cmpx_ne_u32_e32 0x7f, v70
	s_cbranch_execz .LBB281_336
; %bb.333:                              ;   in Loop: Header=BB281_13 Depth=1
	v_and_b32_e32 v9, 7, v3
	v_lshrrev_b32_e32 v68, 3, v70
	s_mov_b32 s51, exec_lo
	v_cmpx_gt_u32_e32 8, v70
; %bb.334:                              ;   in Loop: Header=BB281_13 Depth=1
	v_ffbh_u32_e32 v9, v9
	v_min_u32_e32 v9, 32, v9
	v_subrev_nc_u32_e32 v68, 28, v9
	v_lshlrev_b64 v[70:71], v68, v[3:4]
	v_sub_nc_u32_e32 v68, 29, v9
	v_and_b32_e32 v9, 7, v70
; %bb.335:                              ;   in Loop: Header=BB281_13 Depth=1
	s_or_b32 exec_lo, exec_lo, s51
	v_lshlrev_b32_e32 v3, 8, v3
	v_lshl_add_u32 v68, v68, 10, 0x2000
	v_lshlrev_b32_e32 v9, 23, v9
	v_and_or_b32 v3, 0x8000, v3, v68
	v_lshl_or_b32 v68, v3, 16, v9
.LBB281_336:                            ;   in Loop: Header=BB281_13 Depth=1
	s_or_b32 exec_lo, exec_lo, s50
.LBB281_337:                            ;   in Loop: Header=BB281_13 Depth=1
	s_or_b32 exec_lo, exec_lo, s49
.LBB281_338:                            ;   in Loop: Header=BB281_13 Depth=1
	s_or_b32 exec_lo, exec_lo, s48
	ds_read_b64 v[70:71], v20
	v_or_b32_e32 v3, v32, v33
	v_or_b32_e32 v9, v34, v35
	v_fma_mixlo_f16 v32, v31, v32, 0 op_sel:[0,1,0] op_sel_hi:[0,1,0]
	v_fma_mixlo_f16 v33, v31, v34, 0 op_sel:[0,1,0] op_sel_hi:[0,1,0]
	v_or_b32_e32 v37, v36, v37
	v_fma_mixlo_f16 v3, v31, v3, 0 op_sel_hi:[0,1,0]
	v_fma_mixlo_f16 v9, v31, v9, 0 op_sel_hi:[0,1,0]
	v_and_b32_e32 v32, 0xffff, v32
	v_and_b32_e32 v33, 0xffff, v33
	v_or_b32_e32 v39, v38, v39
	v_and_b32_e32 v3, 0xffff, v3
	v_and_b32_e32 v72, 0xffff, v9
	v_fma_mixlo_f16 v36, v31, v36, 0 op_sel:[0,1,0] op_sel_hi:[0,1,0]
	v_fma_mixlo_f16 v38, v31, v38, 0 op_sel:[0,1,0] op_sel_hi:[0,1,0]
	v_fma_mixlo_f16 v37, v31, v37, 0 op_sel_hi:[0,1,0]
	v_fma_mixlo_f16 v39, v31, v39, 0 op_sel_hi:[0,1,0]
	v_or_b32_e32 v41, v40, v41
	v_and_b32_e32 v36, 0xffff, v36
	v_and_b32_e32 v76, 0xffff, v38
	s_waitcnt lgkmcnt(0)
	v_and_b32_e32 v34, 0xffff, v70
	v_lshrrev_b32_e32 v35, 16, v70
	v_lshrrev_b32_e32 v9, 16, v71
	v_and_b32_e32 v73, 0xffff, v71
	;;#ASMSTART
	v_cvt_f32_f16 v34, v34;
	;;#ASMEND
	;;#ASMSTART
	v_cvt_f32_f16 v35, v35;
	;;#ASMEND
	;;#ASMSTART
	v_cvt_f32_f16 v70, v3;
	;;#ASMEND
	;;#ASMSTART
	v_cvt_f32_f16 v71, v32;
	;;#ASMEND
	;;#ASMSTART
	v_cvt_f32_f16 v3, v73;
	;;#ASMEND
	;;#ASMSTART
	v_cvt_f32_f16 v9, v9;
	;;#ASMEND
	;;#ASMSTART
	v_cvt_f32_f16 v32, v72;
	;;#ASMEND
	;;#ASMSTART
	v_cvt_f32_f16 v33, v33;
	;;#ASMEND
	ds_read_b64 v[72:73], v20 offset:8
	v_and_b32_e32 v37, 0xffff, v37
	v_and_b32_e32 v39, 0xffff, v39
	v_or_b32_e32 v43, v42, v43
	v_fma_mixlo_f16 v40, v31, v40, 0 op_sel:[0,1,0] op_sel_hi:[0,1,0]
	v_fma_mixlo_f16 v42, v31, v42, 0 op_sel:[0,1,0] op_sel_hi:[0,1,0]
	v_fma_mixlo_f16 v41, v31, v41, 0 op_sel_hi:[0,1,0]
	v_or_b32_e32 v45, v44, v45
	v_fma_mixlo_f16 v43, v31, v43, 0 op_sel_hi:[0,1,0]
	v_or_b32_e32 v47, v46, v47
	v_and_b32_e32 v79, 0xffff, v42
	v_and_b32_e32 v42, 0xffff, v41
	v_fma_mixlo_f16 v44, v31, v44, 0 op_sel:[0,1,0] op_sel_hi:[0,1,0]
	v_and_b32_e32 v80, 0xffff, v43
	v_fma_mixlo_f16 v46, v31, v46, 0 op_sel:[0,1,0] op_sel_hi:[0,1,0]
	v_fma_mixlo_f16 v45, v31, v45, 0 op_sel_hi:[0,1,0]
	v_fma_mixlo_f16 v47, v31, v47, 0 op_sel_hi:[0,1,0]
	v_and_b32_e32 v82, 0xffff, v44
	v_or_b32_e32 v49, v48, v49
	v_and_b32_e32 v83, 0xffff, v46
	s_waitcnt lgkmcnt(0)
	v_and_b32_e32 v38, 0xffff, v72
	v_lshrrev_b32_e32 v72, 16, v72
	v_lshrrev_b32_e32 v77, 16, v73
	v_and_b32_e32 v78, 0xffff, v73
	;;#ASMSTART
	v_cvt_f32_f16 v73, v38;
	;;#ASMEND
	;;#ASMSTART
	v_cvt_f32_f16 v72, v72;
	;;#ASMEND
	;; [unrolled: 3-line block ×8, first 2 shown]
	ds_read_b64 v[76:77], v20 offset:16
	v_and_b32_e32 v78, 0xffff, v40
	v_and_b32_e32 v46, 0xffff, v45
	;; [unrolled: 1-line block ×3, first 2 shown]
	v_or_b32_e32 v51, v50, v51
	v_fma_mixlo_f16 v48, v31, v48, 0 op_sel:[0,1,0] op_sel_hi:[0,1,0]
	v_fma_mixlo_f16 v50, v31, v50, 0 op_sel:[0,1,0] op_sel_hi:[0,1,0]
	v_fma_mixlo_f16 v49, v31, v49, 0 op_sel_hi:[0,1,0]
	v_or_b32_e32 v53, v52, v53
	v_fma_mixlo_f16 v51, v31, v51, 0 op_sel_hi:[0,1,0]
	v_and_b32_e32 v48, 0xffff, v48
	v_and_b32_e32 v89, 0xffff, v50
	;; [unrolled: 1-line block ×3, first 2 shown]
	v_or_b32_e32 v55, v54, v55
	v_and_b32_e32 v88, 0xffff, v51
	v_fma_mixlo_f16 v52, v31, v52, 0 op_sel:[0,1,0] op_sel_hi:[0,1,0]
	v_fma_mixlo_f16 v54, v31, v54, 0 op_sel:[0,1,0] op_sel_hi:[0,1,0]
	v_fma_mixlo_f16 v53, v31, v53, 0 op_sel_hi:[0,1,0]
	v_fma_mixlo_f16 v55, v31, v55, 0 op_sel_hi:[0,1,0]
	v_or_b32_e32 v57, v56, v57
	s_waitcnt lgkmcnt(0)
	v_and_b32_e32 v40, 0xffff, v76
	v_lshrrev_b32_e32 v41, 16, v76
	v_lshrrev_b32_e32 v43, 16, v77
	v_and_b32_e32 v81, 0xffff, v77
	;;#ASMSTART
	v_cvt_f32_f16 v40, v40;
	;;#ASMEND
	;;#ASMSTART
	v_cvt_f32_f16 v41, v41;
	;;#ASMEND
	;; [unrolled: 3-line block ×8, first 2 shown]
	ds_read_b64 v[80:81], v20 offset:24
	v_and_b32_e32 v90, 0xffff, v52
	v_and_b32_e32 v93, 0xffff, v54
	;; [unrolled: 1-line block ×4, first 2 shown]
	v_or_b32_e32 v59, v58, v59
	v_fma_mixlo_f16 v56, v31, v56, 0 op_sel:[0,1,0] op_sel_hi:[0,1,0]
	v_fma_mixlo_f16 v58, v31, v58, 0 op_sel:[0,1,0] op_sel_hi:[0,1,0]
	v_fma_mixlo_f16 v57, v31, v57, 0 op_sel_hi:[0,1,0]
	v_or_b32_e32 v61, v60, v61
	v_fma_mixlo_f16 v59, v31, v59, 0 op_sel_hi:[0,1,0]
	v_and_b32_e32 v94, 0xffff, v56
	v_and_b32_e32 v97, 0xffff, v58
	v_and_b32_e32 v58, 0xffff, v57
	v_or_b32_e32 v63, v62, v63
	v_and_b32_e32 v96, 0xffff, v59
	v_fma_mixlo_f16 v60, v31, v60, 0 op_sel:[0,1,0] op_sel_hi:[0,1,0]
	v_fma_mixlo_f16 v62, v31, v62, 0 op_sel:[0,1,0] op_sel_hi:[0,1,0]
	v_or_b32_e32 v11, v10, v11
	v_fma_mixlo_f16 v98, v31, v10, 0 op_sel:[0,1,0] op_sel_hi:[0,1,0]
	s_waitcnt lgkmcnt(0)
	v_and_b32_e32 v44, 0xffff, v80
	v_lshrrev_b32_e32 v45, 16, v80
	v_lshrrev_b32_e32 v47, 16, v81
	v_and_b32_e32 v85, 0xffff, v81
	;;#ASMSTART
	v_cvt_f32_f16 v44, v44;
	;;#ASMEND
	;;#ASMSTART
	v_cvt_f32_f16 v45, v45;
	;;#ASMEND
	;; [unrolled: 3-line block ×8, first 2 shown]
	ds_read_b64 v[84:85], v20 offset:32
	v_fma_mixlo_f16 v10, v31, v61, 0 op_sel_hi:[0,1,0]
	v_fma_mixlo_f16 v61, v31, v63, 0 op_sel_hi:[0,1,0]
	v_or_b32_e32 v65, v64, v65
	v_fma_mixlo_f16 v64, v31, v64, 0 op_sel:[0,1,0] op_sel_hi:[0,1,0]
	v_fma_mixlo_f16 v63, v31, v11, 0 op_sel_hi:[0,1,0]
	v_and_b32_e32 v11, 0xffff, v60
	v_and_b32_e32 v99, 0xffff, v62
	;; [unrolled: 1-line block ×3, first 2 shown]
	v_mul_f32_e32 v60, v73, v75
	v_and_b32_e32 v10, 0xffff, v10
	v_mul_f32_e32 v36, v36, v38
	v_and_b32_e32 v100, 0xffff, v64
	v_mul_f32_e32 v37, v37, v39
	v_fmac_f32_e32 v60, v34, v70
	v_or_b32_e32 v67, v66, v67
	v_fmac_f32_e32 v36, v3, v32
	v_fma_mixlo_f16 v66, v31, v66, 0 op_sel:[0,1,0] op_sel_hi:[0,1,0]
	v_fmac_f32_e32 v37, v9, v33
	v_fmac_f32_e32 v60, v40, v76
	s_waitcnt lgkmcnt(0)
	v_and_b32_e32 v50, 0xffff, v84
	v_lshrrev_b32_e32 v84, 16, v84
	v_lshrrev_b32_e32 v87, 16, v85
	v_and_b32_e32 v86, 0xffff, v85
	;;#ASMSTART
	v_cvt_f32_f16 v50, v50;
	;;#ASMEND
	;;#ASMSTART
	v_cvt_f32_f16 v51, v84;
	;;#ASMEND
	;; [unrolled: 3-line block ×8, first 2 shown]
	ds_read_b64 v[48:49], v20 offset:40
	v_fmac_f32_e32 v36, v42, v78
	v_fmac_f32_e32 v60, v44, v80
	v_fma_mixlo_f16 v65, v31, v65, 0 op_sel_hi:[0,1,0]
	v_fma_mixlo_f16 v67, v31, v67, 0 op_sel_hi:[0,1,0]
	v_fmac_f32_e32 v37, v43, v79
	v_fmac_f32_e32 v36, v46, v82
	;; [unrolled: 1-line block ×3, first 2 shown]
	v_and_b32_e32 v39, 0xffff, v66
	v_and_b32_e32 v9, 0xffff, v65
	;; [unrolled: 1-line block ×3, first 2 shown]
	v_fmac_f32_e32 v36, v86, v88
	v_fmac_f32_e32 v37, v47, v83
	v_or_b32_e32 v40, v68, v69
	v_fmac_f32_e32 v37, v87, v89
	v_fma_mixlo_f16 v40, v31, v40, 0 op_sel_hi:[0,1,0]
	v_fma_mixlo_f16 v31, v31, v68, 0 op_sel:[0,1,0] op_sel_hi:[0,1,0]
	s_waitcnt lgkmcnt(0)
	v_and_b32_e32 v52, 0xffff, v48
	v_lshrrev_b32_e32 v48, 16, v48
	v_lshrrev_b32_e32 v91, 16, v49
	v_and_b32_e32 v49, 0xffff, v49
	;;#ASMSTART
	v_cvt_f32_f16 v52, v52;
	;;#ASMEND
	;;#ASMSTART
	v_cvt_f32_f16 v53, v48;
	;;#ASMEND
	;; [unrolled: 3-line block ×8, first 2 shown]
	ds_read_b64 v[48:49], v20 offset:48
	v_fmac_f32_e32 v60, v52, v54
	v_fmac_f32_e32 v36, v90, v92
	;; [unrolled: 1-line block ×3, first 2 shown]
	s_waitcnt lgkmcnt(0)
	v_and_b32_e32 v56, 0xffff, v48
	v_lshrrev_b32_e32 v48, 16, v48
	v_lshrrev_b32_e32 v95, 16, v49
	v_and_b32_e32 v49, 0xffff, v49
	;;#ASMSTART
	v_cvt_f32_f16 v56, v56;
	;;#ASMEND
	;;#ASMSTART
	v_cvt_f32_f16 v57, v48;
	;;#ASMEND
	;; [unrolled: 3-line block ×8, first 2 shown]
	ds_read_b64 v[48:49], v20 offset:56
	v_fmac_f32_e32 v60, v56, v58
	v_fmac_f32_e32 v36, v94, v96
	;; [unrolled: 1-line block ×3, first 2 shown]
	s_waitcnt lgkmcnt(0)
	v_and_b32_e32 v61, 0xffff, v48
	v_lshrrev_b32_e32 v62, 16, v48
	v_mul_f32_e32 v48, v72, v74
	v_lshrrev_b32_e32 v73, 16, v49
	v_and_b32_e32 v72, 0xffff, v49
	;;#ASMSTART
	v_cvt_f32_f16 v49, v61;
	;;#ASMEND
	;;#ASMSTART
	v_cvt_f32_f16 v61, v62;
	;;#ASMEND
	;; [unrolled: 3-line block ×8, first 2 shown]
	ds_read_b64 v[10:11], v20 offset:64
	v_fmac_f32_e32 v48, v35, v71
	v_fmac_f32_e32 v60, v49, v62
	;; [unrolled: 1-line block ×7, first 2 shown]
	s_waitcnt lgkmcnt(0)
	v_and_b32_e32 v3, 0xffff, v10
	v_lshrrev_b32_e32 v10, 16, v10
	v_lshrrev_b32_e32 v35, 16, v11
	v_and_b32_e32 v34, 0xffff, v11
	;;#ASMSTART
	v_cvt_f32_f16 v3, v3;
	;;#ASMEND
	;;#ASMSTART
	v_cvt_f32_f16 v11, v10;
	;;#ASMEND
	;; [unrolled: 3-line block ×8, first 2 shown]
	ds_read_b64 v[9:10], v20 offset:72
	v_fmac_f32_e32 v48, v53, v55
	v_fmac_f32_e32 v60, v3, v32
	v_fmac_f32_e32 v36, v34, v38
	v_and_b32_e32 v32, 0xffff, v98
	v_and_b32_e32 v34, 0xffff, v40
	v_fmac_f32_e32 v48, v57, v59
	v_fmac_f32_e32 v37, v35, v39
	;; [unrolled: 1-line block ×4, first 2 shown]
	v_and_b32_e32 v11, 0xffff, v63
	s_waitcnt lgkmcnt(0)
	v_and_b32_e32 v3, 0xffff, v9
	v_lshrrev_b32_e32 v9, 16, v9
	;;#ASMSTART
	v_cvt_f32_f16 v3, v3;
	;;#ASMEND
	;;#ASMSTART
	v_cvt_f32_f16 v9, v9;
	;;#ASMEND
	v_and_b32_e32 v33, 0xffff, v10
	v_lshrrev_b32_e32 v10, 16, v10
	;;#ASMSTART
	v_cvt_f32_f16 v11, v11;
	;;#ASMEND
	;;#ASMSTART
	v_cvt_f32_f16 v32, v32;
	;;#ASMEND
	v_fmac_f32_e32 v60, v3, v11
	v_fmac_f32_e32 v48, v9, v32
	;;#ASMSTART
	v_cvt_f32_f16 v3, v33;
	;;#ASMEND
	;;#ASMSTART
	v_cvt_f32_f16 v9, v10;
	;;#ASMEND
	;; [unrolled: 3-line block ×3, first 2 shown]
	v_fmac_f32_e32 v36, v3, v10
	v_xor_b32_e32 v10, 1, v18
	v_add_f32_e32 v3, v60, v48
	v_and_b32_e32 v11, 0xffff, v31
	;;#ASMSTART
	v_cvt_f32_f16 v11, v11;
	;;#ASMEND
	v_fmac_f32_e32 v37, v9, v11
	v_cmp_gt_i32_e64 s2, 32, v10
	v_add_f32_e32 v3, v3, v36
	v_cndmask_b32_e64 v9, v18, v10, s2
	v_add_f32_e32 v3, v37, v3
	v_lshlrev_b32_e32 v9, 2, v9
	ds_bpermute_b32 v9, v9, v3
	s_and_saveexec_b32 s48, vcc_lo
	s_cbranch_execz .LBB281_11
; %bb.339:                              ;   in Loop: Header=BB281_13 Depth=1
	v_add_nc_u32_e32 v10, v27, v21
	s_waitcnt lgkmcnt(0)
	v_add_f32_e32 v3, v3, v9
	v_cvt_f32_i32_e32 v10, v10
	v_mul_f32_e32 v10, s43, v10
	v_cndmask_b32_e64 v9, 0, v10, s1
	v_max_f32_e32 v10, v17, v17
	v_fmac_f32_e32 v9, s41, v3
	v_add_nc_u32_e32 v3, v19, v21
	v_max_f32_e32 v10, v10, v9
	v_cmp_gt_i32_e64 s2, s31, v3
	v_cndmask_b32_e64 v3, 0, v9, s2
	v_cndmask_b32_e64 v17, v17, v10, s2
	ds_write_b32 v28, v3
	s_branch .LBB281_11
.LBB281_340:
	s_or_b32 exec_lo, exec_lo, s46
.LBB281_341:
	s_or_b32 exec_lo, exec_lo, s45
	v_xor_b32_e32 v3, 16, v18
	v_xor_b32_e32 v4, 8, v18
	v_max_f32_e32 v6, v17, v17
	s_waitcnt lgkmcnt(0)
	v_lshlrev_b32_e32 v9, 2, v14
	v_cmp_gt_i32_e32 vcc_lo, 32, v3
	v_cndmask_b32_e32 v3, v18, v3, vcc_lo
	v_cmp_gt_i32_e32 vcc_lo, 32, v4
	v_lshlrev_b32_e32 v5, 2, v3
	v_cndmask_b32_e32 v4, v18, v4, vcc_lo
	ds_bpermute_b32 v3, v5, v17
	v_lshlrev_b32_e32 v7, 2, v4
	v_and_b32_e32 v17, 31, v0
	s_waitcnt lgkmcnt(0)
	v_max_f32_e32 v3, v3, v3
	v_max_f32_e32 v3, v6, v3
	v_xor_b32_e32 v6, 4, v18
	ds_bpermute_b32 v4, v7, v3
	v_cmp_gt_i32_e32 vcc_lo, 32, v6
	v_cndmask_b32_e32 v6, v18, v6, vcc_lo
	v_lshlrev_b32_e32 v8, 2, v6
	v_xor_b32_e32 v6, 2, v18
	v_cmp_gt_i32_e32 vcc_lo, 32, v6
	s_waitcnt lgkmcnt(0)
	v_max_f32_e32 v4, v4, v4
	v_cndmask_b32_e32 v6, v18, v6, vcc_lo
	v_cmp_eq_u32_e32 vcc_lo, 0, v17
	v_max_f32_e32 v3, v3, v4
	ds_bpermute_b32 v4, v8, v3
	s_waitcnt lgkmcnt(0)
	v_max_f32_e32 v4, v4, v4
	v_max_f32_e32 v3, v3, v4
	v_lshlrev_b32_e32 v4, 2, v6
	ds_bpermute_b32 v6, v4, v3
	s_and_saveexec_b32 s1, vcc_lo
	s_cbranch_execz .LBB281_343
; %bb.342:
	s_waitcnt lgkmcnt(0)
	v_max_f32_e32 v6, v6, v6
	v_max_f32_e32 v3, v3, v3
	;; [unrolled: 1-line block ×3, first 2 shown]
	ds_write_b32 v9, v3 offset:160
.LBB281_343:
	s_or_b32 exec_lo, exec_lo, s1
	v_cmp_gt_u32_e64 s1, 4, v17
	v_mov_b32_e32 v3, 0xff7fffff
	v_lshlrev_b32_e32 v10, 2, v17
	s_waitcnt lgkmcnt(0)
	s_barrier
	buffer_gl0_inv
	s_and_saveexec_b32 s2, s1
; %bb.344:
	ds_read_b32 v3, v10 offset:160
; %bb.345:
	s_or_b32 exec_lo, exec_lo, s2
	s_waitcnt lgkmcnt(0)
	ds_bpermute_b32 v6, v4, v3
	v_xor_b32_e32 v11, 1, v18
	v_max_f32_e32 v3, v3, v3
	v_cmp_gt_i32_e64 s2, 32, v11
	v_cndmask_b32_e64 v11, v18, v11, s2
	s_sub_i32 s2, s20, s44
	s_lshl_b32 s2, s2, 4
	v_lshlrev_b32_e32 v18, 2, v11
	v_mov_b32_e32 v11, 0
	s_add_i32 s2, s2, s42
	s_min_i32 s2, s2, s31
	s_waitcnt lgkmcnt(0)
	v_max_f32_e32 v6, v6, v6
	s_sub_i32 s4, s2, s42
	v_cmp_gt_i32_e64 s2, s4, v0
	v_max_f32_e32 v3, v3, v6
	ds_bpermute_b32 v6, v18, v3
	s_waitcnt lgkmcnt(0)
	v_max_f32_e32 v6, v6, v6
	v_max_f32_e32 v3, v3, v6
	v_lshl_add_u32 v6, v0, 2, 0xc0
	ds_bpermute_b32 v3, v11, v3
	s_and_saveexec_b32 s5, s2
	s_cbranch_execz .LBB281_349
; %bb.346:
	v_lshl_add_u32 v19, v0, 2, 0xc0
	v_mov_b32_e32 v11, 0
	v_mov_b32_e32 v20, v0
	s_mov_b32 s12, 0
	.p2align	6
.LBB281_347:                            ; =>This Inner Loop Header: Depth=1
	ds_read_b32 v21, v19
	v_add_nc_u32_e32 v20, 0x80, v20
	v_cmp_le_i32_e64 s3, s4, v20
	s_or_b32 s12, s3, s12
	s_waitcnt lgkmcnt(0)
	v_sub_f32_e32 v21, v21, v3
	v_mul_f32_e32 v21, 0x3fb8aa3b, v21
	v_exp_f32_e32 v21, v21
	ds_write_b32 v19, v21
	v_add_f32_e32 v11, v11, v21
	v_add_nc_u32_e32 v19, 0x200, v19
	s_andn2_b32 exec_lo, exec_lo, s12
	s_cbranch_execnz .LBB281_347
; %bb.348:
	s_or_b32 exec_lo, exec_lo, s12
.LBB281_349:
	s_or_b32 exec_lo, exec_lo, s5
	ds_bpermute_b32 v5, v5, v11
	s_waitcnt lgkmcnt(0)
	v_add_f32_e32 v5, v11, v5
	ds_bpermute_b32 v7, v7, v5
	s_waitcnt lgkmcnt(0)
	v_add_f32_e32 v5, v5, v7
	;; [unrolled: 3-line block ×5, first 2 shown]
	s_and_saveexec_b32 s3, vcc_lo
; %bb.350:
	ds_write_b32 v9, v5 offset:176
; %bb.351:
	s_or_b32 exec_lo, exec_lo, s3
	s_waitcnt lgkmcnt(0)
	s_barrier
	buffer_gl0_inv
	s_and_saveexec_b32 s3, s1
; %bb.352:
	ds_read_b32 v5, v10 offset:176
; %bb.353:
	s_or_b32 exec_lo, exec_lo, s3
	s_waitcnt lgkmcnt(0)
	ds_bpermute_b32 v4, v4, v5
	s_waitcnt lgkmcnt(0)
	v_add_f32_e32 v4, v5, v4
	ds_bpermute_b32 v5, v18, v4
	s_waitcnt lgkmcnt(0)
	v_add_f32_e32 v4, v4, v5
	v_mov_b32_e32 v5, 0
	ds_bpermute_b32 v4, v5, v4
	s_and_saveexec_b32 s1, s2
	s_cbranch_execz .LBB281_356
; %bb.354:
	s_waitcnt lgkmcnt(0)
	v_add_f32_e32 v5, 0x358637bd, v4
	s_mov_b32 s2, 0
	v_div_scale_f32 v7, null, v5, v5, 1.0
	v_div_scale_f32 v10, vcc_lo, 1.0, v5, 1.0
	v_rcp_f32_e32 v8, v7
	v_fma_f32 v9, -v7, v8, 1.0
	v_fmac_f32_e32 v8, v9, v8
	v_mul_f32_e32 v9, v10, v8
	v_fma_f32 v11, -v7, v9, v10
	v_fmac_f32_e32 v9, v11, v8
	v_fma_f32 v7, -v7, v9, v10
	v_div_fmas_f32 v7, v7, v8, v9
	v_div_fixup_f32 v5, v7, v5, 1.0
	v_mov_b32_e32 v7, v0
.LBB281_355:                            ; =>This Inner Loop Header: Depth=1
	ds_read_b32 v8, v6
	v_add_nc_u32_e32 v7, 0x80, v7
	v_cmp_le_i32_e32 vcc_lo, s4, v7
	s_or_b32 s2, vcc_lo, s2
	s_waitcnt lgkmcnt(0)
	v_mul_f32_e32 v8, v5, v8
	ds_write_b32 v6, v8
	v_add_nc_u32_e32 v6, 0x200, v6
	s_andn2_b32 exec_lo, exec_lo, s2
	s_cbranch_execnz .LBB281_355
.LBB281_356:
	s_or_b32 exec_lo, exec_lo, s1
	s_mul_i32 s1, s7, s30
	s_waitcnt lgkmcnt(0)
	s_mul_i32 s2, s1, s9
	s_mov_b32 s1, exec_lo
	s_barrier
	buffer_gl0_inv
	v_cmpx_eq_u32_e32 0, v0
	s_cbranch_execz .LBB281_358
; %bb.357:
	s_ashr_i32 s3, s2, 31
	s_mul_i32 s12, s7, s6
	s_lshl_b64 s[4:5], s[2:3], 2
	v_mov_b32_e32 v5, 0
	s_add_u32 s3, s26, s4
	s_addc_u32 s6, s27, s5
	s_ashr_i32 s13, s12, 31
	s_lshl_b64 s[12:13], s[12:13], 2
	s_add_u32 s3, s3, s12
	s_addc_u32 s6, s6, s13
	s_ashr_i32 s9, s8, 31
	s_lshl_b64 s[26:27], s[8:9], 2
	s_add_u32 s42, s3, s26
	s_addc_u32 s43, s6, s27
	s_add_u32 s3, s24, s4
	s_addc_u32 s4, s25, s5
	;; [unrolled: 2-line block ×4, first 2 shown]
	global_store_dword v5, v3, s[42:43]
	global_store_dword v5, v4, s[4:5]
.LBB281_358:
	s_or_b32 exec_lo, exec_lo, s1
	v_mov_b32_e32 v24, 0
	v_mov_b32_e32 v22, 0
	;; [unrolled: 1-line block ×5, first 2 shown]
	s_and_saveexec_b32 s1, s0
	s_cbranch_execz .LBB281_694
; %bb.359:
	s_sub_i32 s3, s40, s21
	s_ashr_i32 s0, s18, 31
	s_add_u32 s12, s38, s18
	s_addc_u32 s0, s39, s0
	s_abs_i32 s6, s22
	v_and_b32_e32 v5, 0xf8, v16
	v_cvt_f32_u32_e32 v3, s6
	s_sub_i32 s4, 0, s6
	v_lshlrev_b64 v[6:7], 2, v[1:2]
	v_lshlrev_b32_e32 v2, 5, v13
	s_add_i32 s33, s33, -1
	v_rcp_iflag_f32_e32 v4, v3
	v_and_b32_e32 v23, 8, v16
	v_mov_b32_e32 v3, 0
	v_lshl_or_b32 v2, v14, 6, v2
	v_mov_b32_e32 v16, 0x80
	v_mov_b32_e32 v25, 0x7f
	;; [unrolled: 1-line block ×6, first 2 shown]
	v_mul_f32_e32 v4, 0x4f7ffffe, v4
	v_mov_b32_e32 v21, 0
	v_mov_b32_e32 v22, 0
	v_add_nc_u32_e32 v28, 0xc0, v2
	v_mov_b32_e32 v24, 0
	v_cvt_u32_f32_e32 v8, v4
	v_add_co_u32 v4, s12, s12, v5
	v_add_co_ci_u32_e64 v5, null, s0, 0, s12
	v_mul_lo_u32 v9, s4, v8
	s_lshl_b64 s[4:5], s[36:37], 2
	s_mov_b32 s9, s17
	s_add_u32 s0, s34, s4
	s_addc_u32 s4, s35, s5
	v_add_co_u32 v6, vcc_lo, s0, v6
	v_add_co_ci_u32_e64 v7, null, s4, v7, vcc_lo
	v_mul_hi_u32 v9, v8, v9
	s_mov_b32 s4, -1
	s_mov_b32 s5, 0xffffff
	s_mov_b32 s12, 0
	v_add_nc_u32_e32 v29, v8, v9
	s_branch .LBB281_362
.LBB281_360:                            ;   in Loop: Header=BB281_362 Depth=1
	s_or_b32 exec_lo, exec_lo, s0
	v_add_f32_e32 v10, v10, v11
	;;#ASMSTART
	v_pk_mul_f16 v11, v43, v48;

	;;#ASMEND
	;;#ASMSTART
	v_pk_mul_f16 v9, v42, v9;

	;;#ASMEND
	;; [unrolled: 4-line block ×4, first 2 shown]
	;;#ASMSTART
	v_pk_add_f16 v9, v11, v9;

	;;#ASMEND
	;;#ASMSTART
	v_pk_add_f16 v8, v9, v8;

	;;#ASMEND
	;; [unrolled: 4-line block ×3, first 2 shown]
	v_and_b32_e32 v11, 0xffff, v2
	v_lshrrev_b32_e32 v30, 16, v2
	;;#ASMSTART
	v_cvt_f32_f16 v11, v11;
	;;#ASMEND
	v_add_f32_e32 v2, v46, v47
	v_add_f32_e32 v8, v44, v45
	;; [unrolled: 1-line block ×3, first 2 shown]
	;;#ASMSTART
	v_cvt_f32_f16 v30, v30;
	;;#ASMEND
	v_add_f32_e32 v11, v11, v30
	v_add_f32_e32 v20, v20, v10
	;; [unrolled: 1-line block ×6, first 2 shown]
.LBB281_361:                            ;   in Loop: Header=BB281_362 Depth=1
	s_or_b32 exec_lo, exec_lo, s13
	v_add_nc_u32_e32 v1, 4, v1
	v_add_co_u32 v6, s0, v6, 16
	v_add_co_ci_u32_e64 v7, null, 0, v7, s0
	v_cmp_le_i32_e32 vcc_lo, s20, v1
	v_add_nc_u32_e32 v15, 64, v15
	v_add_nc_u32_e32 v28, 0x100, v28
	s_or_b32 s12, vcc_lo, s12
	s_andn2_b32 exec_lo, exec_lo, s12
	s_cbranch_execz .LBB281_693
.LBB281_362:                            ; =>This Inner Loop Header: Depth=1
	v_sub_nc_u32_e32 v2, 0, v15
	v_max_i32_e32 v2, v15, v2
	v_mul_hi_u32 v8, v2, s16
	v_mul_lo_u32 v9, v8, s11
	v_sub_nc_u32_e32 v2, v2, v9
	v_add_nc_u32_e32 v9, 1, v8
	v_subrev_nc_u32_e32 v10, s11, v2
	v_cmp_le_u32_e32 vcc_lo, s11, v2
	v_cndmask_b32_e32 v8, v8, v9, vcc_lo
	v_cndmask_b32_e32 v2, v2, v10, vcc_lo
	v_ashrrev_i32_e32 v9, 31, v15
	v_add_nc_u32_e32 v10, 1, v8
	v_cmp_le_u32_e32 vcc_lo, s11, v2
	v_xor_b32_e32 v9, s23, v9
	v_cndmask_b32_e32 v2, v8, v10, vcc_lo
	v_xor_b32_e32 v2, v2, v9
	v_sub_nc_u32_e32 v2, v2, v9
	v_add_nc_u32_e32 v8, s19, v2
	v_cmp_lt_i32_e64 s0, s3, v2
	v_sub_nc_u32_e32 v9, 0, v8
	v_max_i32_e32 v9, v8, v9
	v_ashrrev_i32_e32 v8, 31, v8
	v_mul_hi_u32 v10, v9, v29
	v_mul_lo_u32 v10, v10, s6
	v_sub_nc_u32_e32 v9, v9, v10
	v_subrev_nc_u32_e32 v10, s6, v9
	v_cmp_le_u32_e32 vcc_lo, s6, v9
	v_cndmask_b32_e32 v9, v9, v10, vcc_lo
	v_subrev_nc_u32_e32 v10, s6, v9
	v_cmp_le_u32_e32 vcc_lo, s6, v9
	v_cndmask_b32_e32 v9, v9, v10, vcc_lo
	v_xor_b32_e32 v9, v9, v8
	v_sub_nc_u32_e32 v8, v9, v8
	v_cmp_eq_u32_e32 vcc_lo, 0, v8
	s_or_b32 s0, vcc_lo, s0
	s_and_saveexec_b32 s13, s0
	s_cbranch_execz .LBB281_361
; %bb.363:                              ;   in Loop: Header=BB281_362 Depth=1
	global_load_dword v2, v[6:7], off
	ds_read2_b64 v[30:33], v28 offset1:1
	ds_read2_b64 v[34:37], v28 offset0:2 offset1:3
	s_waitcnt lgkmcnt(1)
	;;#ASMSTART
	v_cvt_f16_f32 v38, v30;

	;;#ASMEND
	;;#ASMSTART
	v_cvt_f16_f32 v39, v31;

	;;#ASMEND
	;; [unrolled: 4-line block ×4, first 2 shown]
	s_waitcnt lgkmcnt(0)
	;;#ASMSTART
	v_cvt_f16_f32 v43, v34;

	;;#ASMEND
	;;#ASMSTART
	v_cvt_f16_f32 v41, v35;

	;;#ASMEND
	;; [unrolled: 4-line block ×4, first 2 shown]
	v_mov_b32_e32 v32, 0
	v_mov_b32_e32 v33, 0
	global_load_dword v31, v32, s[14:15]
	s_waitcnt vmcnt(1)
	v_mad_i64_i32 v[8:9], null, v2, s9, v[4:5]
	global_load_dwordx2 v[10:11], v[8:9], off
	s_waitcnt vmcnt(0)
	v_cmp_ne_u16_sdwa s17, v10, v3 src0_sel:BYTE_0 src1_sel:DWORD
	s_and_saveexec_b32 s0, s17
	s_cbranch_execz .LBB281_371
; %bb.364:                              ;   in Loop: Header=BB281_362 Depth=1
	v_cmp_ne_u16_sdwa s18, v10, v16 src0_sel:BYTE_0 src1_sel:DWORD
	v_mov_b32_e32 v33, 0x8000
	s_and_saveexec_b32 s17, s18
	s_cbranch_execz .LBB281_370
; %bb.365:                              ;   in Loop: Header=BB281_362 Depth=1
	v_and_b32_e32 v34, 0x7f, v10
	v_mov_b32_e32 v33, 0x7c01
	s_mov_b32 s18, exec_lo
	v_cmpx_ne_u32_e32 0x7f, v34
	s_cbranch_execz .LBB281_369
; %bb.366:                              ;   in Loop: Header=BB281_362 Depth=1
	v_and_b32_e32 v2, 7, v10
	v_lshrrev_b32_e32 v30, 3, v34
	s_mov_b32 s21, exec_lo
	v_cmpx_gt_u32_e32 8, v34
; %bb.367:                              ;   in Loop: Header=BB281_362 Depth=1
	v_ffbh_u32_e32 v2, v2
	v_min_u32_e32 v2, 32, v2
	v_subrev_nc_u32_e32 v30, 28, v2
	v_lshlrev_b64 v[33:34], v30, v[10:11]
	v_sub_nc_u32_e32 v30, 29, v2
	v_and_b32_e32 v2, 7, v33
; %bb.368:                              ;   in Loop: Header=BB281_362 Depth=1
	s_or_b32 exec_lo, exec_lo, s21
	v_lshlrev_b32_e32 v33, 8, v10
	v_lshl_add_u32 v30, v30, 10, 0x2000
	v_lshlrev_b32_e32 v2, 7, v2
	v_and_b32_e32 v33, 0x8000, v33
	v_and_b32_e32 v30, 0xfc00, v30
	v_or3_b32 v33, v33, v30, v2
.LBB281_369:                            ;   in Loop: Header=BB281_362 Depth=1
	s_or_b32 exec_lo, exec_lo, s18
.LBB281_370:                            ;   in Loop: Header=BB281_362 Depth=1
	s_or_b32 exec_lo, exec_lo, s17
.LBB281_371:                            ;   in Loop: Header=BB281_362 Depth=1
	s_or_b32 exec_lo, exec_lo, s0
	v_lshrrev_b16 v2, 8, v10
	s_mov_b32 s0, exec_lo
	v_cmpx_ne_u16_e32 0, v2
	s_cbranch_execz .LBB281_379
; %bb.372:                              ;   in Loop: Header=BB281_362 Depth=1
	v_bfrev_b32_e32 v32, 1
	s_mov_b32 s17, exec_lo
	v_cmpx_ne_u16_e32 0x80, v2
	s_cbranch_execz .LBB281_378
; %bb.373:                              ;   in Loop: Header=BB281_362 Depth=1
	v_and_b32_sdwa v34, v2, v25 dst_sel:DWORD dst_unused:UNUSED_PAD src0_sel:WORD_0 src1_sel:DWORD
	v_mov_b32_e32 v32, 0x7c010000
	s_mov_b32 s18, exec_lo
	v_cmpx_ne_u32_e32 0x7f, v34
	s_cbranch_execz .LBB281_377
; %bb.374:                              ;   in Loop: Header=BB281_362 Depth=1
	v_and_b32_sdwa v30, v2, v26 dst_sel:DWORD dst_unused:UNUSED_PAD src0_sel:WORD_0 src1_sel:DWORD
	v_lshrrev_b32_e32 v32, 3, v34
	s_mov_b32 s21, exec_lo
	v_cmpx_gt_u32_e32 8, v34
; %bb.375:                              ;   in Loop: Header=BB281_362 Depth=1
	v_ffbh_u32_e32 v30, v30
	v_min_u32_e32 v30, 32, v30
	v_subrev_nc_u32_e32 v32, 28, v30
	v_lshlrev_b64 v[34:35], v32, v[2:3]
	v_sub_nc_u32_e32 v32, 29, v30
	v_and_b32_e32 v30, 7, v34
; %bb.376:                              ;   in Loop: Header=BB281_362 Depth=1
	s_or_b32 exec_lo, exec_lo, s21
	v_lshlrev_b32_sdwa v2, v27, v2 dst_sel:DWORD dst_unused:UNUSED_PAD src0_sel:DWORD src1_sel:WORD_0
	v_lshl_add_u32 v32, v32, 10, 0x2000
	v_lshlrev_b32_e32 v30, 23, v30
	v_and_or_b32 v2, 0x8000, v2, v32
	v_lshl_or_b32 v32, v2, 16, v30
.LBB281_377:                            ;   in Loop: Header=BB281_362 Depth=1
	s_or_b32 exec_lo, exec_lo, s18
.LBB281_378:                            ;   in Loop: Header=BB281_362 Depth=1
	s_or_b32 exec_lo, exec_lo, s17
.LBB281_379:                            ;   in Loop: Header=BB281_362 Depth=1
	s_or_b32 exec_lo, exec_lo, s0
	v_lshrrev_b32_e32 v2, 16, v10
	v_mov_b32_e32 v34, 0
	v_mov_b32_e32 v30, 0
	v_cmp_ne_u16_sdwa s17, v2, v3 src0_sel:BYTE_0 src1_sel:DWORD
	s_and_saveexec_b32 s0, s17
	s_cbranch_execz .LBB281_387
; %bb.380:                              ;   in Loop: Header=BB281_362 Depth=1
	v_cmp_ne_u16_sdwa s18, v2, v16 src0_sel:BYTE_0 src1_sel:DWORD
	v_mov_b32_e32 v30, 0x8000
	s_and_saveexec_b32 s17, s18
	s_cbranch_execz .LBB281_386
; %bb.381:                              ;   in Loop: Header=BB281_362 Depth=1
	v_bfe_u32 v36, v10, 16, 7
	v_mov_b32_e32 v30, 0x7c01
	s_mov_b32 s18, exec_lo
	v_cmpx_ne_u32_e32 0x7f, v36
	s_cbranch_execz .LBB281_385
; %bb.382:                              ;   in Loop: Header=BB281_362 Depth=1
	v_and_b32_e32 v30, 7, v2
	v_lshrrev_b32_e32 v35, 3, v36
	s_mov_b32 s21, exec_lo
	v_cmpx_gt_u32_e32 8, v36
; %bb.383:                              ;   in Loop: Header=BB281_362 Depth=1
	v_ffbh_u32_e32 v30, v30
	v_min_u32_e32 v30, 32, v30
	v_subrev_nc_u32_e32 v35, 28, v30
	v_lshlrev_b64 v[36:37], v35, v[2:3]
	v_sub_nc_u32_e32 v35, 29, v30
	v_and_b32_e32 v30, 7, v36
; %bb.384:                              ;   in Loop: Header=BB281_362 Depth=1
	s_or_b32 exec_lo, exec_lo, s21
	v_lshlrev_b32_e32 v2, 8, v2
	v_lshl_add_u32 v35, v35, 10, 0x2000
	v_lshlrev_b32_e32 v30, 7, v30
	v_and_b32_e32 v2, 0x8000, v2
	v_and_b32_e32 v35, 0xfc00, v35
	v_or3_b32 v30, v2, v35, v30
.LBB281_385:                            ;   in Loop: Header=BB281_362 Depth=1
	s_or_b32 exec_lo, exec_lo, s18
.LBB281_386:                            ;   in Loop: Header=BB281_362 Depth=1
	s_or_b32 exec_lo, exec_lo, s17
.LBB281_387:                            ;   in Loop: Header=BB281_362 Depth=1
	s_or_b32 exec_lo, exec_lo, s0
	s_mov_b32 s0, exec_lo
	v_cmpx_lt_u32_e32 0xffffff, v10
	s_cbranch_execz .LBB281_395
; %bb.388:                              ;   in Loop: Header=BB281_362 Depth=1
	v_lshrrev_b32_e32 v2, 24, v10
	v_bfrev_b32_e32 v34, 1
	s_mov_b32 s17, exec_lo
	v_cmpx_ne_u32_e32 0x80, v2
	s_cbranch_execz .LBB281_394
; %bb.389:                              ;   in Loop: Header=BB281_362 Depth=1
	v_and_b32_e32 v36, 0x7f, v2
	v_mov_b32_e32 v34, 0x7c010000
	s_mov_b32 s18, exec_lo
	v_cmpx_ne_u32_e32 0x7f, v36
	s_cbranch_execz .LBB281_393
; %bb.390:                              ;   in Loop: Header=BB281_362 Depth=1
	v_and_b32_e32 v34, 7, v2
	v_lshrrev_b32_e32 v35, 3, v36
	s_mov_b32 s21, exec_lo
	v_cmpx_gt_u32_e32 8, v36
; %bb.391:                              ;   in Loop: Header=BB281_362 Depth=1
	v_ffbh_u32_e32 v34, v34
	v_min_u32_e32 v36, 32, v34
	v_subrev_nc_u32_e32 v34, 28, v36
	v_lshlrev_b64 v[34:35], v34, v[2:3]
	v_sub_nc_u32_e32 v35, 29, v36
	v_and_b32_e32 v34, 7, v34
; %bb.392:                              ;   in Loop: Header=BB281_362 Depth=1
	s_or_b32 exec_lo, exec_lo, s21
	v_lshlrev_b32_e32 v2, 8, v2
	v_lshl_add_u32 v35, v35, 10, 0x2000
	v_lshlrev_b32_e32 v34, 23, v34
	v_and_or_b32 v2, 0x8000, v2, v35
	v_lshl_or_b32 v34, v2, 16, v34
.LBB281_393:                            ;   in Loop: Header=BB281_362 Depth=1
	s_or_b32 exec_lo, exec_lo, s18
.LBB281_394:                            ;   in Loop: Header=BB281_362 Depth=1
	s_or_b32 exec_lo, exec_lo, s17
.LBB281_395:                            ;   in Loop: Header=BB281_362 Depth=1
	s_or_b32 exec_lo, exec_lo, s0
	v_mov_b32_e32 v2, v11
	v_cmp_ne_u16_sdwa s17, v11, v3 src0_sel:BYTE_0 src1_sel:DWORD
	v_mov_b32_e32 v35, 0
	v_mov_b32_e32 v36, 0
	s_and_saveexec_b32 s0, s17
	s_cbranch_execz .LBB281_403
; %bb.396:                              ;   in Loop: Header=BB281_362 Depth=1
	v_cmp_ne_u16_sdwa s18, v11, v16 src0_sel:BYTE_0 src1_sel:DWORD
	v_mov_b32_e32 v36, 0x8000
	s_and_saveexec_b32 s17, s18
	s_cbranch_execz .LBB281_402
; %bb.397:                              ;   in Loop: Header=BB281_362 Depth=1
	v_and_b32_e32 v46, 0x7f, v11
	v_mov_b32_e32 v36, 0x7c01
	s_mov_b32 s18, exec_lo
	v_cmpx_ne_u32_e32 0x7f, v46
	s_cbranch_execz .LBB281_401
; %bb.398:                              ;   in Loop: Header=BB281_362 Depth=1
	v_and_b32_e32 v36, 7, v11
	v_lshrrev_b32_e32 v37, 3, v46
	s_mov_b32 s21, exec_lo
	v_cmpx_gt_u32_e32 8, v46
; %bb.399:                              ;   in Loop: Header=BB281_362 Depth=1
	v_ffbh_u32_e32 v36, v36
	v_min_u32_e32 v46, 32, v36
	v_subrev_nc_u32_e32 v36, 28, v46
	v_lshlrev_b64 v[36:37], v36, v[2:3]
	v_sub_nc_u32_e32 v37, 29, v46
	v_and_b32_e32 v36, 7, v36
; %bb.400:                              ;   in Loop: Header=BB281_362 Depth=1
	s_or_b32 exec_lo, exec_lo, s21
	v_lshlrev_b32_e32 v46, 8, v11
	v_lshl_add_u32 v37, v37, 10, 0x2000
	v_lshlrev_b32_e32 v36, 7, v36
	v_and_b32_e32 v46, 0x8000, v46
	v_and_b32_e32 v37, 0xfc00, v37
	v_or3_b32 v36, v46, v37, v36
.LBB281_401:                            ;   in Loop: Header=BB281_362 Depth=1
	s_or_b32 exec_lo, exec_lo, s18
.LBB281_402:                            ;   in Loop: Header=BB281_362 Depth=1
	s_or_b32 exec_lo, exec_lo, s17
.LBB281_403:                            ;   in Loop: Header=BB281_362 Depth=1
	s_or_b32 exec_lo, exec_lo, s0
	v_lshrrev_b16 v2, 8, v2
	v_mov_b32_e32 v37, 0
	s_mov_b32 s0, exec_lo
	v_cmpx_ne_u16_e32 0, v2
	s_cbranch_execz .LBB281_411
; %bb.404:                              ;   in Loop: Header=BB281_362 Depth=1
	v_bfrev_b32_e32 v37, 1
	s_mov_b32 s17, exec_lo
	v_cmpx_ne_u16_e32 0x80, v2
	s_cbranch_execz .LBB281_410
; %bb.405:                              ;   in Loop: Header=BB281_362 Depth=1
	v_and_b32_sdwa v47, v2, v25 dst_sel:DWORD dst_unused:UNUSED_PAD src0_sel:WORD_0 src1_sel:DWORD
	v_mov_b32_e32 v37, 0x7c010000
	s_mov_b32 s18, exec_lo
	v_cmpx_ne_u32_e32 0x7f, v47
	s_cbranch_execz .LBB281_409
; %bb.406:                              ;   in Loop: Header=BB281_362 Depth=1
	v_and_b32_sdwa v37, v2, v26 dst_sel:DWORD dst_unused:UNUSED_PAD src0_sel:WORD_0 src1_sel:DWORD
	v_lshrrev_b32_e32 v46, 3, v47
	s_mov_b32 s21, exec_lo
	v_cmpx_gt_u32_e32 8, v47
; %bb.407:                              ;   in Loop: Header=BB281_362 Depth=1
	v_ffbh_u32_e32 v37, v37
	v_min_u32_e32 v37, 32, v37
	v_subrev_nc_u32_e32 v46, 28, v37
	v_lshlrev_b64 v[47:48], v46, v[2:3]
	v_sub_nc_u32_e32 v46, 29, v37
	v_and_b32_e32 v37, 7, v47
; %bb.408:                              ;   in Loop: Header=BB281_362 Depth=1
	s_or_b32 exec_lo, exec_lo, s21
	v_lshlrev_b32_sdwa v2, v27, v2 dst_sel:DWORD dst_unused:UNUSED_PAD src0_sel:DWORD src1_sel:WORD_0
	v_lshl_add_u32 v46, v46, 10, 0x2000
	v_lshlrev_b32_e32 v37, 23, v37
	v_and_or_b32 v2, 0x8000, v2, v46
	v_lshl_or_b32 v37, v2, 16, v37
.LBB281_409:                            ;   in Loop: Header=BB281_362 Depth=1
	s_or_b32 exec_lo, exec_lo, s18
.LBB281_410:                            ;   in Loop: Header=BB281_362 Depth=1
	s_or_b32 exec_lo, exec_lo, s17
.LBB281_411:                            ;   in Loop: Header=BB281_362 Depth=1
	s_or_b32 exec_lo, exec_lo, s0
	v_lshrrev_b32_e32 v2, 16, v11
	v_cmp_ne_u16_sdwa s17, v2, v3 src0_sel:BYTE_0 src1_sel:DWORD
	s_and_saveexec_b32 s0, s17
	s_cbranch_execz .LBB281_419
; %bb.412:                              ;   in Loop: Header=BB281_362 Depth=1
	v_cmp_ne_u16_sdwa s18, v2, v16 src0_sel:BYTE_0 src1_sel:DWORD
	v_mov_b32_e32 v35, 0x8000
	s_and_saveexec_b32 s17, s18
	s_cbranch_execz .LBB281_418
; %bb.413:                              ;   in Loop: Header=BB281_362 Depth=1
	v_bfe_u32 v47, v11, 16, 7
	v_mov_b32_e32 v35, 0x7c01
	s_mov_b32 s18, exec_lo
	v_cmpx_ne_u32_e32 0x7f, v47
	s_cbranch_execz .LBB281_417
; %bb.414:                              ;   in Loop: Header=BB281_362 Depth=1
	v_and_b32_e32 v35, 7, v2
	v_lshrrev_b32_e32 v46, 3, v47
	s_mov_b32 s21, exec_lo
	v_cmpx_gt_u32_e32 8, v47
; %bb.415:                              ;   in Loop: Header=BB281_362 Depth=1
	v_ffbh_u32_e32 v35, v35
	v_min_u32_e32 v35, 32, v35
	v_subrev_nc_u32_e32 v46, 28, v35
	v_lshlrev_b64 v[47:48], v46, v[2:3]
	v_sub_nc_u32_e32 v46, 29, v35
	v_and_b32_e32 v35, 7, v47
; %bb.416:                              ;   in Loop: Header=BB281_362 Depth=1
	s_or_b32 exec_lo, exec_lo, s21
	v_lshlrev_b32_e32 v2, 8, v2
	v_lshl_add_u32 v46, v46, 10, 0x2000
	v_lshlrev_b32_e32 v35, 7, v35
	v_and_b32_e32 v2, 0x8000, v2
	v_and_b32_e32 v46, 0xfc00, v46
	v_or3_b32 v35, v2, v46, v35
.LBB281_417:                            ;   in Loop: Header=BB281_362 Depth=1
	s_or_b32 exec_lo, exec_lo, s18
.LBB281_418:                            ;   in Loop: Header=BB281_362 Depth=1
	s_or_b32 exec_lo, exec_lo, s17
.LBB281_419:                            ;   in Loop: Header=BB281_362 Depth=1
	s_or_b32 exec_lo, exec_lo, s0
	v_cmp_lt_u64_e32 vcc_lo, s[4:5], v[10:11]
	v_mov_b32_e32 v10, 0
	s_and_saveexec_b32 s0, vcc_lo
	s_cbranch_execz .LBB281_427
; %bb.420:                              ;   in Loop: Header=BB281_362 Depth=1
	v_lshrrev_b32_e32 v2, 24, v11
	v_bfrev_b32_e32 v10, 1
	s_mov_b32 s17, exec_lo
	v_cmpx_ne_u32_e32 0x80, v2
	s_cbranch_execz .LBB281_426
; %bb.421:                              ;   in Loop: Header=BB281_362 Depth=1
	v_and_b32_e32 v46, 0x7f, v2
	v_mov_b32_e32 v10, 0x7c010000
	s_mov_b32 s18, exec_lo
	v_cmpx_ne_u32_e32 0x7f, v46
	s_cbranch_execz .LBB281_425
; %bb.422:                              ;   in Loop: Header=BB281_362 Depth=1
	v_and_b32_e32 v10, 7, v2
	v_lshrrev_b32_e32 v11, 3, v46
	s_mov_b32 s21, exec_lo
	v_cmpx_gt_u32_e32 8, v46
; %bb.423:                              ;   in Loop: Header=BB281_362 Depth=1
	v_ffbh_u32_e32 v10, v10
	v_min_u32_e32 v46, 32, v10
	v_subrev_nc_u32_e32 v10, 28, v46
	v_lshlrev_b64 v[10:11], v10, v[2:3]
	v_sub_nc_u32_e32 v11, 29, v46
	v_and_b32_e32 v10, 7, v10
; %bb.424:                              ;   in Loop: Header=BB281_362 Depth=1
	s_or_b32 exec_lo, exec_lo, s21
	v_lshlrev_b32_e32 v2, 8, v2
	v_lshl_add_u32 v11, v11, 10, 0x2000
	v_lshlrev_b32_e32 v10, 23, v10
	v_and_or_b32 v2, 0x8000, v2, v11
	v_lshl_or_b32 v10, v2, 16, v10
.LBB281_425:                            ;   in Loop: Header=BB281_362 Depth=1
	s_or_b32 exec_lo, exec_lo, s18
.LBB281_426:                            ;   in Loop: Header=BB281_362 Depth=1
	s_or_b32 exec_lo, exec_lo, s17
.LBB281_427:                            ;   in Loop: Header=BB281_362 Depth=1
	s_or_b32 exec_lo, exec_lo, s0
	v_or_b32_e32 v2, v34, v30
	v_fma_mixlo_f16 v11, v31, v34, 0 op_sel:[0,1,0] op_sel_hi:[0,1,0]
	v_or_b32_e32 v33, v32, v33
	v_fma_mixlo_f16 v32, v31, v32, 0 op_sel:[0,1,0] op_sel_hi:[0,1,0]
	v_or_b32_e32 v34, v37, v36
	v_fma_mixlo_f16 v2, v31, v2, 0 op_sel_hi:[0,1,0]
	v_or_b32_e32 v35, v10, v35
	v_fma_mixlo_f16 v10, v31, v10, 0 op_sel:[0,1,0] op_sel_hi:[0,1,0]
	v_lshlrev_b32_e32 v52, 16, v32
	v_fma_mixlo_f16 v32, v31, v37, 0 op_sel:[0,1,0] op_sel_hi:[0,1,0]
	v_and_b32_e32 v49, 0xffff, v2
	v_fma_mixlo_f16 v2, v31, v33, 0 op_sel_hi:[0,1,0]
	v_fma_mixlo_f16 v33, v31, v34, 0 op_sel_hi:[0,1,0]
	;; [unrolled: 1-line block ×3, first 2 shown]
	v_add_nc_u32_e32 v30, v23, v15
	v_lshlrev_b32_e32 v11, 16, v11
	v_and_b32_e32 v54, 0xffff, v2
	v_lshlrev_b32_e32 v50, 16, v32
	v_and_b32_e32 v53, 0xffff, v33
	;; [unrolled: 2-line block ×3, first 2 shown]
	v_cmp_eq_u32_e32 vcc_lo, s33, v1
	v_or_b32_e32 v2, v11, v49
	v_or_b32_e32 v10, v52, v54
	;; [unrolled: 1-line block ×4, first 2 shown]
	v_add_nc_u32_e32 v37, 1, v30
	v_add_nc_u32_e32 v36, 2, v30
	;; [unrolled: 1-line block ×7, first 2 shown]
	s_and_saveexec_b32 s17, vcc_lo
	s_cbranch_execz .LBB281_429
; %bb.428:                              ;   in Loop: Header=BB281_362 Depth=1
	v_cmp_gt_i32_e64 s0, s31, v30
	v_cndmask_b32_e64 v2, 0, v54, s0
	v_cmp_gt_i32_e64 s0, s31, v37
	v_cndmask_b32_e64 v10, 0, v52, s0
	v_cmp_gt_i32_e64 s0, s31, v36
	v_or_b32_e32 v10, v10, v2
	v_cndmask_b32_e64 v46, 0, v49, s0
	v_cmp_gt_i32_e64 s0, s31, v35
	v_cndmask_b32_e64 v11, 0, v11, s0
	v_cmp_gt_i32_e64 s0, s31, v34
	v_or_b32_e32 v2, v11, v46
	;; [unrolled: 5-line block ×3, first 2 shown]
	v_cndmask_b32_e64 v50, 0, v51, s0
	v_cmp_gt_i32_e64 s0, s31, v31
	v_cndmask_b32_e64 v47, 0, v47, s0
	v_or_b32_e32 v48, v47, v50
.LBB281_429:                            ;   in Loop: Header=BB281_362 Depth=1
	s_or_b32 exec_lo, exec_lo, s17
	v_and_b32_e32 v11, 0xffff, v38
	v_and_b32_e32 v38, 0xffff, v42
	;; [unrolled: 1-line block ×4, first 2 shown]
	v_lshl_or_b32 v43, v39, 16, v11
	v_lshl_or_b32 v42, v40, 16, v38
	;;#ASMSTART
	v_pk_mul_f16 v10, v43, v10;

	;;#ASMEND
	;;#ASMSTART
	v_pk_mul_f16 v2, v42, v2;

	;;#ASMEND
	v_lshl_or_b32 v41, v41, 16, v47
	v_lshl_or_b32 v40, v44, 16, v45
	;;#ASMSTART
	v_pk_mul_f16 v11, v41, v46;

	;;#ASMEND
	;;#ASMSTART
	v_pk_mul_f16 v38, v40, v48;

	;;#ASMEND
	;;#ASMSTART
	v_pk_add_f16 v2, v10, v2;

	;;#ASMEND
	;;#ASMSTART
	v_pk_add_f16 v2, v2, v11;
	;; [unrolled: 4-line block ×3, first 2 shown]

	;;#ASMEND
	v_and_b32_e32 v10, 0xffff, v2
	v_lshrrev_b32_e32 v2, 16, v2
	;;#ASMSTART
	v_cvt_f32_f16 v38, v10;
	;;#ASMEND
	;;#ASMSTART
	v_cvt_f32_f16 v39, v2;
	;;#ASMEND
	global_load_dwordx2 v[10:11], v[8:9], off offset:256
	v_mov_b32_e32 v45, 0
	v_mov_b32_e32 v46, 0
	global_load_dword v44, v45, s[14:15]
	s_waitcnt vmcnt(1)
	v_cmp_ne_u16_sdwa s0, v10, v3 src0_sel:BYTE_0 src1_sel:DWORD
	s_and_saveexec_b32 s17, s0
	s_cbranch_execz .LBB281_437
; %bb.430:                              ;   in Loop: Header=BB281_362 Depth=1
	v_cmp_ne_u16_sdwa s0, v10, v16 src0_sel:BYTE_0 src1_sel:DWORD
	v_mov_b32_e32 v46, 0x8000
	s_and_saveexec_b32 s18, s0
	s_cbranch_execz .LBB281_436
; %bb.431:                              ;   in Loop: Header=BB281_362 Depth=1
	v_and_b32_e32 v47, 0x7f, v10
	v_mov_b32_e32 v46, 0x7c01
	s_mov_b32 s21, exec_lo
	v_cmpx_ne_u32_e32 0x7f, v47
	s_cbranch_execz .LBB281_435
; %bb.432:                              ;   in Loop: Header=BB281_362 Depth=1
	v_and_b32_e32 v2, 7, v10
	v_lshrrev_b32_e32 v46, 3, v47
	s_mov_b32 s22, exec_lo
	v_cmpx_gt_u32_e32 8, v47
; %bb.433:                              ;   in Loop: Header=BB281_362 Depth=1
	v_ffbh_u32_e32 v2, v2
	v_min_u32_e32 v2, 32, v2
	v_subrev_nc_u32_e32 v46, 28, v2
	v_lshlrev_b64 v[47:48], v46, v[10:11]
	v_sub_nc_u32_e32 v46, 29, v2
	v_and_b32_e32 v2, 7, v47
; %bb.434:                              ;   in Loop: Header=BB281_362 Depth=1
	s_or_b32 exec_lo, exec_lo, s22
	v_lshlrev_b32_e32 v47, 8, v10
	v_lshl_add_u32 v46, v46, 10, 0x2000
	v_lshlrev_b32_e32 v2, 7, v2
	v_and_b32_e32 v47, 0x8000, v47
	v_and_b32_e32 v46, 0xfc00, v46
	v_or3_b32 v46, v47, v46, v2
.LBB281_435:                            ;   in Loop: Header=BB281_362 Depth=1
	s_or_b32 exec_lo, exec_lo, s21
.LBB281_436:                            ;   in Loop: Header=BB281_362 Depth=1
	s_or_b32 exec_lo, exec_lo, s18
.LBB281_437:                            ;   in Loop: Header=BB281_362 Depth=1
	s_or_b32 exec_lo, exec_lo, s17
	v_lshrrev_b16 v2, 8, v10
	s_mov_b32 s17, exec_lo
	v_cmpx_ne_u16_e32 0, v2
	s_cbranch_execz .LBB281_445
; %bb.438:                              ;   in Loop: Header=BB281_362 Depth=1
	v_bfrev_b32_e32 v45, 1
	s_mov_b32 s18, exec_lo
	v_cmpx_ne_u16_e32 0x80, v2
	s_cbranch_execz .LBB281_444
; %bb.439:                              ;   in Loop: Header=BB281_362 Depth=1
	v_and_b32_sdwa v48, v2, v25 dst_sel:DWORD dst_unused:UNUSED_PAD src0_sel:WORD_0 src1_sel:DWORD
	v_mov_b32_e32 v45, 0x7c010000
	s_mov_b32 s21, exec_lo
	v_cmpx_ne_u32_e32 0x7f, v48
	s_cbranch_execz .LBB281_443
; %bb.440:                              ;   in Loop: Header=BB281_362 Depth=1
	v_and_b32_sdwa v45, v2, v26 dst_sel:DWORD dst_unused:UNUSED_PAD src0_sel:WORD_0 src1_sel:DWORD
	v_lshrrev_b32_e32 v47, 3, v48
	s_mov_b32 s22, exec_lo
	v_cmpx_gt_u32_e32 8, v48
; %bb.441:                              ;   in Loop: Header=BB281_362 Depth=1
	v_ffbh_u32_e32 v45, v45
	v_min_u32_e32 v45, 32, v45
	v_subrev_nc_u32_e32 v47, 28, v45
	v_lshlrev_b64 v[48:49], v47, v[2:3]
	v_sub_nc_u32_e32 v47, 29, v45
	v_and_b32_e32 v45, 7, v48
; %bb.442:                              ;   in Loop: Header=BB281_362 Depth=1
	s_or_b32 exec_lo, exec_lo, s22
	v_lshlrev_b32_sdwa v2, v27, v2 dst_sel:DWORD dst_unused:UNUSED_PAD src0_sel:DWORD src1_sel:WORD_0
	v_lshl_add_u32 v47, v47, 10, 0x2000
	v_lshlrev_b32_e32 v45, 23, v45
	v_and_or_b32 v2, 0x8000, v2, v47
	v_lshl_or_b32 v45, v2, 16, v45
.LBB281_443:                            ;   in Loop: Header=BB281_362 Depth=1
	s_or_b32 exec_lo, exec_lo, s21
.LBB281_444:                            ;   in Loop: Header=BB281_362 Depth=1
	s_or_b32 exec_lo, exec_lo, s18
.LBB281_445:                            ;   in Loop: Header=BB281_362 Depth=1
	s_or_b32 exec_lo, exec_lo, s17
	v_lshrrev_b32_e32 v2, 16, v10
	v_mov_b32_e32 v47, 0
	v_mov_b32_e32 v48, 0
	v_cmp_ne_u16_sdwa s0, v2, v3 src0_sel:BYTE_0 src1_sel:DWORD
	s_and_saveexec_b32 s17, s0
	s_cbranch_execz .LBB281_453
; %bb.446:                              ;   in Loop: Header=BB281_362 Depth=1
	v_cmp_ne_u16_sdwa s0, v2, v16 src0_sel:BYTE_0 src1_sel:DWORD
	v_mov_b32_e32 v48, 0x8000
	s_and_saveexec_b32 s18, s0
	s_cbranch_execz .LBB281_452
; %bb.447:                              ;   in Loop: Header=BB281_362 Depth=1
	v_bfe_u32 v50, v10, 16, 7
	v_mov_b32_e32 v48, 0x7c01
	s_mov_b32 s21, exec_lo
	v_cmpx_ne_u32_e32 0x7f, v50
	s_cbranch_execz .LBB281_451
; %bb.448:                              ;   in Loop: Header=BB281_362 Depth=1
	v_and_b32_e32 v48, 7, v2
	v_lshrrev_b32_e32 v49, 3, v50
	s_mov_b32 s22, exec_lo
	v_cmpx_gt_u32_e32 8, v50
; %bb.449:                              ;   in Loop: Header=BB281_362 Depth=1
	v_ffbh_u32_e32 v48, v48
	v_min_u32_e32 v50, 32, v48
	v_subrev_nc_u32_e32 v48, 28, v50
	v_lshlrev_b64 v[48:49], v48, v[2:3]
	v_sub_nc_u32_e32 v49, 29, v50
	v_and_b32_e32 v48, 7, v48
; %bb.450:                              ;   in Loop: Header=BB281_362 Depth=1
	s_or_b32 exec_lo, exec_lo, s22
	v_lshlrev_b32_e32 v2, 8, v2
	v_lshl_add_u32 v49, v49, 10, 0x2000
	v_lshlrev_b32_e32 v48, 7, v48
	v_and_b32_e32 v2, 0x8000, v2
	v_and_b32_e32 v49, 0xfc00, v49
	v_or3_b32 v48, v2, v49, v48
.LBB281_451:                            ;   in Loop: Header=BB281_362 Depth=1
	s_or_b32 exec_lo, exec_lo, s21
.LBB281_452:                            ;   in Loop: Header=BB281_362 Depth=1
	s_or_b32 exec_lo, exec_lo, s18
.LBB281_453:                            ;   in Loop: Header=BB281_362 Depth=1
	s_or_b32 exec_lo, exec_lo, s17
	s_mov_b32 s17, exec_lo
	v_cmpx_lt_u32_e32 0xffffff, v10
	s_cbranch_execz .LBB281_461
; %bb.454:                              ;   in Loop: Header=BB281_362 Depth=1
	v_lshrrev_b32_e32 v2, 24, v10
	v_bfrev_b32_e32 v47, 1
	s_mov_b32 s18, exec_lo
	v_cmpx_ne_u32_e32 0x80, v2
	s_cbranch_execz .LBB281_460
; %bb.455:                              ;   in Loop: Header=BB281_362 Depth=1
	v_and_b32_e32 v50, 0x7f, v2
	v_mov_b32_e32 v47, 0x7c010000
	s_mov_b32 s21, exec_lo
	v_cmpx_ne_u32_e32 0x7f, v50
	s_cbranch_execz .LBB281_459
; %bb.456:                              ;   in Loop: Header=BB281_362 Depth=1
	v_and_b32_e32 v47, 7, v2
	v_lshrrev_b32_e32 v49, 3, v50
	s_mov_b32 s22, exec_lo
	v_cmpx_gt_u32_e32 8, v50
; %bb.457:                              ;   in Loop: Header=BB281_362 Depth=1
	v_ffbh_u32_e32 v47, v47
	v_min_u32_e32 v47, 32, v47
	v_subrev_nc_u32_e32 v49, 28, v47
	v_lshlrev_b64 v[50:51], v49, v[2:3]
	v_sub_nc_u32_e32 v49, 29, v47
	v_and_b32_e32 v47, 7, v50
; %bb.458:                              ;   in Loop: Header=BB281_362 Depth=1
	s_or_b32 exec_lo, exec_lo, s22
	v_lshlrev_b32_e32 v2, 8, v2
	v_lshl_add_u32 v49, v49, 10, 0x2000
	v_lshlrev_b32_e32 v47, 23, v47
	v_and_or_b32 v2, 0x8000, v2, v49
	v_lshl_or_b32 v47, v2, 16, v47
.LBB281_459:                            ;   in Loop: Header=BB281_362 Depth=1
	s_or_b32 exec_lo, exec_lo, s21
.LBB281_460:                            ;   in Loop: Header=BB281_362 Depth=1
	s_or_b32 exec_lo, exec_lo, s18
.LBB281_461:                            ;   in Loop: Header=BB281_362 Depth=1
	s_or_b32 exec_lo, exec_lo, s17
	v_mov_b32_e32 v2, v11
	v_cmp_ne_u16_sdwa s0, v11, v3 src0_sel:BYTE_0 src1_sel:DWORD
	v_mov_b32_e32 v49, 0
	v_mov_b32_e32 v50, 0
	s_and_saveexec_b32 s17, s0
	s_cbranch_execz .LBB281_469
; %bb.462:                              ;   in Loop: Header=BB281_362 Depth=1
	v_cmp_ne_u16_sdwa s0, v11, v16 src0_sel:BYTE_0 src1_sel:DWORD
	v_mov_b32_e32 v50, 0x8000
	s_and_saveexec_b32 s18, s0
	s_cbranch_execz .LBB281_468
; %bb.463:                              ;   in Loop: Header=BB281_362 Depth=1
	v_and_b32_e32 v52, 0x7f, v11
	v_mov_b32_e32 v50, 0x7c01
	s_mov_b32 s21, exec_lo
	v_cmpx_ne_u32_e32 0x7f, v52
	s_cbranch_execz .LBB281_467
; %bb.464:                              ;   in Loop: Header=BB281_362 Depth=1
	v_and_b32_e32 v50, 7, v11
	v_lshrrev_b32_e32 v51, 3, v52
	s_mov_b32 s22, exec_lo
	v_cmpx_gt_u32_e32 8, v52
; %bb.465:                              ;   in Loop: Header=BB281_362 Depth=1
	v_ffbh_u32_e32 v50, v50
	v_min_u32_e32 v52, 32, v50
	v_subrev_nc_u32_e32 v50, 28, v52
	v_lshlrev_b64 v[50:51], v50, v[2:3]
	v_sub_nc_u32_e32 v51, 29, v52
	v_and_b32_e32 v50, 7, v50
; %bb.466:                              ;   in Loop: Header=BB281_362 Depth=1
	s_or_b32 exec_lo, exec_lo, s22
	v_lshlrev_b32_e32 v52, 8, v11
	v_lshl_add_u32 v51, v51, 10, 0x2000
	v_lshlrev_b32_e32 v50, 7, v50
	v_and_b32_e32 v52, 0x8000, v52
	v_and_b32_e32 v51, 0xfc00, v51
	v_or3_b32 v50, v52, v51, v50
.LBB281_467:                            ;   in Loop: Header=BB281_362 Depth=1
	s_or_b32 exec_lo, exec_lo, s21
.LBB281_468:                            ;   in Loop: Header=BB281_362 Depth=1
	s_or_b32 exec_lo, exec_lo, s18
.LBB281_469:                            ;   in Loop: Header=BB281_362 Depth=1
	s_or_b32 exec_lo, exec_lo, s17
	v_lshrrev_b16 v2, 8, v2
	v_mov_b32_e32 v51, 0
	s_mov_b32 s17, exec_lo
	v_cmpx_ne_u16_e32 0, v2
	s_cbranch_execz .LBB281_477
; %bb.470:                              ;   in Loop: Header=BB281_362 Depth=1
	v_bfrev_b32_e32 v51, 1
	s_mov_b32 s18, exec_lo
	v_cmpx_ne_u16_e32 0x80, v2
	s_cbranch_execz .LBB281_476
; %bb.471:                              ;   in Loop: Header=BB281_362 Depth=1
	v_and_b32_sdwa v53, v2, v25 dst_sel:DWORD dst_unused:UNUSED_PAD src0_sel:WORD_0 src1_sel:DWORD
	v_mov_b32_e32 v51, 0x7c010000
	s_mov_b32 s21, exec_lo
	v_cmpx_ne_u32_e32 0x7f, v53
	s_cbranch_execz .LBB281_475
; %bb.472:                              ;   in Loop: Header=BB281_362 Depth=1
	v_and_b32_sdwa v51, v2, v26 dst_sel:DWORD dst_unused:UNUSED_PAD src0_sel:WORD_0 src1_sel:DWORD
	v_lshrrev_b32_e32 v52, 3, v53
	s_mov_b32 s22, exec_lo
	v_cmpx_gt_u32_e32 8, v53
; %bb.473:                              ;   in Loop: Header=BB281_362 Depth=1
	v_ffbh_u32_e32 v51, v51
	v_min_u32_e32 v53, 32, v51
	v_subrev_nc_u32_e32 v51, 28, v53
	v_lshlrev_b64 v[51:52], v51, v[2:3]
	v_sub_nc_u32_e32 v52, 29, v53
	v_and_b32_e32 v51, 7, v51
; %bb.474:                              ;   in Loop: Header=BB281_362 Depth=1
	s_or_b32 exec_lo, exec_lo, s22
	v_lshlrev_b32_sdwa v2, v27, v2 dst_sel:DWORD dst_unused:UNUSED_PAD src0_sel:DWORD src1_sel:WORD_0
	v_lshl_add_u32 v52, v52, 10, 0x2000
	v_lshlrev_b32_e32 v51, 23, v51
	v_and_or_b32 v2, 0x8000, v2, v52
	v_lshl_or_b32 v51, v2, 16, v51
.LBB281_475:                            ;   in Loop: Header=BB281_362 Depth=1
	s_or_b32 exec_lo, exec_lo, s21
.LBB281_476:                            ;   in Loop: Header=BB281_362 Depth=1
	s_or_b32 exec_lo, exec_lo, s18
.LBB281_477:                            ;   in Loop: Header=BB281_362 Depth=1
	s_or_b32 exec_lo, exec_lo, s17
	v_lshrrev_b32_e32 v2, 16, v11
	v_cmp_ne_u16_sdwa s0, v2, v3 src0_sel:BYTE_0 src1_sel:DWORD
	s_and_saveexec_b32 s17, s0
	s_cbranch_execz .LBB281_485
; %bb.478:                              ;   in Loop: Header=BB281_362 Depth=1
	v_cmp_ne_u16_sdwa s0, v2, v16 src0_sel:BYTE_0 src1_sel:DWORD
	v_mov_b32_e32 v49, 0x8000
	s_and_saveexec_b32 s18, s0
	s_cbranch_execz .LBB281_484
; %bb.479:                              ;   in Loop: Header=BB281_362 Depth=1
	v_bfe_u32 v53, v11, 16, 7
	v_mov_b32_e32 v49, 0x7c01
	s_mov_b32 s21, exec_lo
	v_cmpx_ne_u32_e32 0x7f, v53
	s_cbranch_execz .LBB281_483
; %bb.480:                              ;   in Loop: Header=BB281_362 Depth=1
	v_and_b32_e32 v49, 7, v2
	v_lshrrev_b32_e32 v52, 3, v53
	s_mov_b32 s22, exec_lo
	v_cmpx_gt_u32_e32 8, v53
; %bb.481:                              ;   in Loop: Header=BB281_362 Depth=1
	v_ffbh_u32_e32 v49, v49
	v_min_u32_e32 v49, 32, v49
	v_subrev_nc_u32_e32 v52, 28, v49
	v_lshlrev_b64 v[53:54], v52, v[2:3]
	v_sub_nc_u32_e32 v52, 29, v49
	v_and_b32_e32 v49, 7, v53
; %bb.482:                              ;   in Loop: Header=BB281_362 Depth=1
	s_or_b32 exec_lo, exec_lo, s22
	v_lshlrev_b32_e32 v2, 8, v2
	v_lshl_add_u32 v52, v52, 10, 0x2000
	v_lshlrev_b32_e32 v49, 7, v49
	v_and_b32_e32 v2, 0x8000, v2
	v_and_b32_e32 v52, 0xfc00, v52
	v_or3_b32 v49, v2, v52, v49
.LBB281_483:                            ;   in Loop: Header=BB281_362 Depth=1
	s_or_b32 exec_lo, exec_lo, s21
.LBB281_484:                            ;   in Loop: Header=BB281_362 Depth=1
	s_or_b32 exec_lo, exec_lo, s18
.LBB281_485:                            ;   in Loop: Header=BB281_362 Depth=1
	s_or_b32 exec_lo, exec_lo, s17
	v_cmp_lt_u64_e64 s0, s[4:5], v[10:11]
	v_mov_b32_e32 v10, 0
	s_and_saveexec_b32 s17, s0
	s_cbranch_execz .LBB281_493
; %bb.486:                              ;   in Loop: Header=BB281_362 Depth=1
	v_lshrrev_b32_e32 v2, 24, v11
	v_bfrev_b32_e32 v10, 1
	s_mov_b32 s18, exec_lo
	v_cmpx_ne_u32_e32 0x80, v2
	s_cbranch_execz .LBB281_492
; %bb.487:                              ;   in Loop: Header=BB281_362 Depth=1
	v_and_b32_e32 v52, 0x7f, v2
	v_mov_b32_e32 v10, 0x7c010000
	s_mov_b32 s21, exec_lo
	v_cmpx_ne_u32_e32 0x7f, v52
	s_cbranch_execz .LBB281_491
; %bb.488:                              ;   in Loop: Header=BB281_362 Depth=1
	v_and_b32_e32 v10, 7, v2
	v_lshrrev_b32_e32 v11, 3, v52
	s_mov_b32 s22, exec_lo
	v_cmpx_gt_u32_e32 8, v52
; %bb.489:                              ;   in Loop: Header=BB281_362 Depth=1
	v_ffbh_u32_e32 v10, v10
	v_min_u32_e32 v52, 32, v10
	v_subrev_nc_u32_e32 v10, 28, v52
	v_lshlrev_b64 v[10:11], v10, v[2:3]
	v_sub_nc_u32_e32 v11, 29, v52
	v_and_b32_e32 v10, 7, v10
; %bb.490:                              ;   in Loop: Header=BB281_362 Depth=1
	s_or_b32 exec_lo, exec_lo, s22
	v_lshlrev_b32_e32 v2, 8, v2
	v_lshl_add_u32 v11, v11, 10, 0x2000
	v_lshlrev_b32_e32 v10, 23, v10
	v_and_or_b32 v2, 0x8000, v2, v11
	v_lshl_or_b32 v10, v2, 16, v10
.LBB281_491:                            ;   in Loop: Header=BB281_362 Depth=1
	s_or_b32 exec_lo, exec_lo, s21
.LBB281_492:                            ;   in Loop: Header=BB281_362 Depth=1
	s_or_b32 exec_lo, exec_lo, s18
.LBB281_493:                            ;   in Loop: Header=BB281_362 Depth=1
	s_or_b32 exec_lo, exec_lo, s17
	v_or_b32_e32 v2, v47, v48
	s_waitcnt vmcnt(0)
	v_fma_mixlo_f16 v11, v44, v47, 0 op_sel:[0,1,0] op_sel_hi:[0,1,0]
	v_or_b32_e32 v47, v45, v46
	v_fma_mixlo_f16 v45, v44, v45, 0 op_sel:[0,1,0] op_sel_hi:[0,1,0]
	v_or_b32_e32 v48, v51, v50
	v_or_b32_e32 v49, v10, v49
	v_fma_mixlo_f16 v50, v44, v2, 0 op_sel_hi:[0,1,0]
	v_fma_mixlo_f16 v10, v44, v10, 0 op_sel:[0,1,0] op_sel_hi:[0,1,0]
	v_lshlrev_b32_e32 v46, 16, v45
	v_fma_mixlo_f16 v45, v44, v47, 0 op_sel_hi:[0,1,0]
	v_fma_mixlo_f16 v47, v44, v51, 0 op_sel:[0,1,0] op_sel_hi:[0,1,0]
	v_fma_mixlo_f16 v48, v44, v48, 0 op_sel_hi:[0,1,0]
	v_fma_mixlo_f16 v49, v44, v49, 0 op_sel_hi:[0,1,0]
	v_lshlrev_b32_e32 v2, 16, v11
	v_and_b32_e32 v11, 0xffff, v50
	v_and_b32_e32 v52, 0xffff, v45
	v_lshlrev_b32_e32 v44, 16, v47
	v_and_b32_e32 v48, 0xffff, v48
	v_lshlrev_b32_e32 v10, 16, v10
	v_and_b32_e32 v45, 0xffff, v49
	v_or_b32_e32 v47, v2, v11
	v_or_b32_e32 v51, v46, v52
	;; [unrolled: 1-line block ×4, first 2 shown]
	s_and_saveexec_b32 s17, vcc_lo
	s_cbranch_execz .LBB281_495
; %bb.494:                              ;   in Loop: Header=BB281_362 Depth=1
	v_cmp_gt_i32_e64 s0, s31, v30
	v_cndmask_b32_e64 v47, 0, v52, s0
	v_cmp_gt_i32_e64 s0, s31, v37
	v_cndmask_b32_e64 v46, 0, v46, s0
	v_cmp_gt_i32_e64 s0, s31, v36
	v_or_b32_e32 v51, v46, v47
	v_cndmask_b32_e64 v11, 0, v11, s0
	v_cmp_gt_i32_e64 s0, s31, v35
	v_cndmask_b32_e64 v2, 0, v2, s0
	v_cmp_gt_i32_e64 s0, s31, v34
	v_or_b32_e32 v47, v2, v11
	;; [unrolled: 5-line block ×3, first 2 shown]
	v_cndmask_b32_e64 v45, 0, v45, s0
	v_cmp_gt_i32_e64 s0, s31, v31
	v_cndmask_b32_e64 v10, 0, v10, s0
	v_or_b32_e32 v49, v10, v45
.LBB281_495:                            ;   in Loop: Header=BB281_362 Depth=1
	s_or_b32 exec_lo, exec_lo, s17
	;;#ASMSTART
	v_pk_mul_f16 v2, v43, v51;

	;;#ASMEND
	;;#ASMSTART
	v_pk_mul_f16 v10, v42, v47;

	;;#ASMEND
	;; [unrolled: 4-line block ×4, first 2 shown]
	;;#ASMSTART
	v_pk_add_f16 v2, v2, v10;

	;;#ASMEND
	;;#ASMSTART
	v_pk_add_f16 v2, v2, v11;

	;;#ASMEND
	;; [unrolled: 4-line block ×3, first 2 shown]
	v_and_b32_e32 v10, 0xffff, v2
	v_lshrrev_b32_e32 v2, 16, v2
	;;#ASMSTART
	v_cvt_f32_f16 v44, v10;
	;;#ASMEND
	;;#ASMSTART
	v_cvt_f32_f16 v45, v2;
	;;#ASMEND
	global_load_dwordx2 v[10:11], v[8:9], off offset:512
	v_mov_b32_e32 v47, 0
	v_mov_b32_e32 v48, 0
	global_load_dword v46, v47, s[14:15]
	s_waitcnt vmcnt(1)
	v_cmp_ne_u16_sdwa s0, v10, v3 src0_sel:BYTE_0 src1_sel:DWORD
	s_and_saveexec_b32 s17, s0
	s_cbranch_execz .LBB281_503
; %bb.496:                              ;   in Loop: Header=BB281_362 Depth=1
	v_cmp_ne_u16_sdwa s0, v10, v16 src0_sel:BYTE_0 src1_sel:DWORD
	v_mov_b32_e32 v48, 0x8000
	s_and_saveexec_b32 s18, s0
	s_cbranch_execz .LBB281_502
; %bb.497:                              ;   in Loop: Header=BB281_362 Depth=1
	v_and_b32_e32 v49, 0x7f, v10
	v_mov_b32_e32 v48, 0x7c01
	s_mov_b32 s21, exec_lo
	v_cmpx_ne_u32_e32 0x7f, v49
	s_cbranch_execz .LBB281_501
; %bb.498:                              ;   in Loop: Header=BB281_362 Depth=1
	v_and_b32_e32 v2, 7, v10
	v_lshrrev_b32_e32 v48, 3, v49
	s_mov_b32 s22, exec_lo
	v_cmpx_gt_u32_e32 8, v49
; %bb.499:                              ;   in Loop: Header=BB281_362 Depth=1
	v_ffbh_u32_e32 v2, v2
	v_min_u32_e32 v2, 32, v2
	v_subrev_nc_u32_e32 v48, 28, v2
	v_lshlrev_b64 v[49:50], v48, v[10:11]
	v_sub_nc_u32_e32 v48, 29, v2
	v_and_b32_e32 v2, 7, v49
; %bb.500:                              ;   in Loop: Header=BB281_362 Depth=1
	s_or_b32 exec_lo, exec_lo, s22
	v_lshlrev_b32_e32 v49, 8, v10
	v_lshl_add_u32 v48, v48, 10, 0x2000
	v_lshlrev_b32_e32 v2, 7, v2
	v_and_b32_e32 v49, 0x8000, v49
	v_and_b32_e32 v48, 0xfc00, v48
	v_or3_b32 v48, v49, v48, v2
.LBB281_501:                            ;   in Loop: Header=BB281_362 Depth=1
	s_or_b32 exec_lo, exec_lo, s21
.LBB281_502:                            ;   in Loop: Header=BB281_362 Depth=1
	s_or_b32 exec_lo, exec_lo, s18
.LBB281_503:                            ;   in Loop: Header=BB281_362 Depth=1
	s_or_b32 exec_lo, exec_lo, s17
	v_lshrrev_b16 v2, 8, v10
	s_mov_b32 s17, exec_lo
	v_cmpx_ne_u16_e32 0, v2
	s_cbranch_execz .LBB281_511
; %bb.504:                              ;   in Loop: Header=BB281_362 Depth=1
	v_bfrev_b32_e32 v47, 1
	s_mov_b32 s18, exec_lo
	v_cmpx_ne_u16_e32 0x80, v2
	s_cbranch_execz .LBB281_510
; %bb.505:                              ;   in Loop: Header=BB281_362 Depth=1
	v_and_b32_sdwa v50, v2, v25 dst_sel:DWORD dst_unused:UNUSED_PAD src0_sel:WORD_0 src1_sel:DWORD
	v_mov_b32_e32 v47, 0x7c010000
	s_mov_b32 s21, exec_lo
	v_cmpx_ne_u32_e32 0x7f, v50
	s_cbranch_execz .LBB281_509
; %bb.506:                              ;   in Loop: Header=BB281_362 Depth=1
	v_and_b32_sdwa v47, v2, v26 dst_sel:DWORD dst_unused:UNUSED_PAD src0_sel:WORD_0 src1_sel:DWORD
	v_lshrrev_b32_e32 v49, 3, v50
	s_mov_b32 s22, exec_lo
	v_cmpx_gt_u32_e32 8, v50
; %bb.507:                              ;   in Loop: Header=BB281_362 Depth=1
	v_ffbh_u32_e32 v47, v47
	v_min_u32_e32 v47, 32, v47
	v_subrev_nc_u32_e32 v49, 28, v47
	v_lshlrev_b64 v[50:51], v49, v[2:3]
	v_sub_nc_u32_e32 v49, 29, v47
	v_and_b32_e32 v47, 7, v50
; %bb.508:                              ;   in Loop: Header=BB281_362 Depth=1
	s_or_b32 exec_lo, exec_lo, s22
	v_lshlrev_b32_sdwa v2, v27, v2 dst_sel:DWORD dst_unused:UNUSED_PAD src0_sel:DWORD src1_sel:WORD_0
	v_lshl_add_u32 v49, v49, 10, 0x2000
	v_lshlrev_b32_e32 v47, 23, v47
	v_and_or_b32 v2, 0x8000, v2, v49
	v_lshl_or_b32 v47, v2, 16, v47
.LBB281_509:                            ;   in Loop: Header=BB281_362 Depth=1
	s_or_b32 exec_lo, exec_lo, s21
.LBB281_510:                            ;   in Loop: Header=BB281_362 Depth=1
	s_or_b32 exec_lo, exec_lo, s18
.LBB281_511:                            ;   in Loop: Header=BB281_362 Depth=1
	s_or_b32 exec_lo, exec_lo, s17
	v_lshrrev_b32_e32 v2, 16, v10
	v_mov_b32_e32 v49, 0
	v_mov_b32_e32 v50, 0
	v_cmp_ne_u16_sdwa s0, v2, v3 src0_sel:BYTE_0 src1_sel:DWORD
	s_and_saveexec_b32 s17, s0
	s_cbranch_execz .LBB281_519
; %bb.512:                              ;   in Loop: Header=BB281_362 Depth=1
	v_cmp_ne_u16_sdwa s0, v2, v16 src0_sel:BYTE_0 src1_sel:DWORD
	v_mov_b32_e32 v50, 0x8000
	s_and_saveexec_b32 s18, s0
	s_cbranch_execz .LBB281_518
; %bb.513:                              ;   in Loop: Header=BB281_362 Depth=1
	v_bfe_u32 v52, v10, 16, 7
	v_mov_b32_e32 v50, 0x7c01
	s_mov_b32 s21, exec_lo
	v_cmpx_ne_u32_e32 0x7f, v52
	s_cbranch_execz .LBB281_517
; %bb.514:                              ;   in Loop: Header=BB281_362 Depth=1
	v_and_b32_e32 v50, 7, v2
	v_lshrrev_b32_e32 v51, 3, v52
	s_mov_b32 s22, exec_lo
	v_cmpx_gt_u32_e32 8, v52
; %bb.515:                              ;   in Loop: Header=BB281_362 Depth=1
	v_ffbh_u32_e32 v50, v50
	v_min_u32_e32 v52, 32, v50
	v_subrev_nc_u32_e32 v50, 28, v52
	v_lshlrev_b64 v[50:51], v50, v[2:3]
	v_sub_nc_u32_e32 v51, 29, v52
	v_and_b32_e32 v50, 7, v50
; %bb.516:                              ;   in Loop: Header=BB281_362 Depth=1
	s_or_b32 exec_lo, exec_lo, s22
	v_lshlrev_b32_e32 v2, 8, v2
	v_lshl_add_u32 v51, v51, 10, 0x2000
	v_lshlrev_b32_e32 v50, 7, v50
	v_and_b32_e32 v2, 0x8000, v2
	v_and_b32_e32 v51, 0xfc00, v51
	v_or3_b32 v50, v2, v51, v50
.LBB281_517:                            ;   in Loop: Header=BB281_362 Depth=1
	s_or_b32 exec_lo, exec_lo, s21
.LBB281_518:                            ;   in Loop: Header=BB281_362 Depth=1
	s_or_b32 exec_lo, exec_lo, s18
.LBB281_519:                            ;   in Loop: Header=BB281_362 Depth=1
	s_or_b32 exec_lo, exec_lo, s17
	s_mov_b32 s17, exec_lo
	v_cmpx_lt_u32_e32 0xffffff, v10
	s_cbranch_execz .LBB281_527
; %bb.520:                              ;   in Loop: Header=BB281_362 Depth=1
	v_lshrrev_b32_e32 v2, 24, v10
	v_bfrev_b32_e32 v49, 1
	s_mov_b32 s18, exec_lo
	v_cmpx_ne_u32_e32 0x80, v2
	s_cbranch_execz .LBB281_526
; %bb.521:                              ;   in Loop: Header=BB281_362 Depth=1
	v_and_b32_e32 v52, 0x7f, v2
	v_mov_b32_e32 v49, 0x7c010000
	s_mov_b32 s21, exec_lo
	v_cmpx_ne_u32_e32 0x7f, v52
	s_cbranch_execz .LBB281_525
; %bb.522:                              ;   in Loop: Header=BB281_362 Depth=1
	v_and_b32_e32 v49, 7, v2
	v_lshrrev_b32_e32 v51, 3, v52
	s_mov_b32 s22, exec_lo
	v_cmpx_gt_u32_e32 8, v52
; %bb.523:                              ;   in Loop: Header=BB281_362 Depth=1
	v_ffbh_u32_e32 v49, v49
	v_min_u32_e32 v49, 32, v49
	v_subrev_nc_u32_e32 v51, 28, v49
	v_lshlrev_b64 v[52:53], v51, v[2:3]
	v_sub_nc_u32_e32 v51, 29, v49
	v_and_b32_e32 v49, 7, v52
; %bb.524:                              ;   in Loop: Header=BB281_362 Depth=1
	s_or_b32 exec_lo, exec_lo, s22
	v_lshlrev_b32_e32 v2, 8, v2
	v_lshl_add_u32 v51, v51, 10, 0x2000
	v_lshlrev_b32_e32 v49, 23, v49
	v_and_or_b32 v2, 0x8000, v2, v51
	v_lshl_or_b32 v49, v2, 16, v49
.LBB281_525:                            ;   in Loop: Header=BB281_362 Depth=1
	s_or_b32 exec_lo, exec_lo, s21
.LBB281_526:                            ;   in Loop: Header=BB281_362 Depth=1
	s_or_b32 exec_lo, exec_lo, s18
.LBB281_527:                            ;   in Loop: Header=BB281_362 Depth=1
	s_or_b32 exec_lo, exec_lo, s17
	v_mov_b32_e32 v2, v11
	v_cmp_ne_u16_sdwa s0, v11, v3 src0_sel:BYTE_0 src1_sel:DWORD
	v_mov_b32_e32 v51, 0
	v_mov_b32_e32 v52, 0
	s_and_saveexec_b32 s17, s0
	s_cbranch_execz .LBB281_535
; %bb.528:                              ;   in Loop: Header=BB281_362 Depth=1
	v_cmp_ne_u16_sdwa s0, v11, v16 src0_sel:BYTE_0 src1_sel:DWORD
	v_mov_b32_e32 v52, 0x8000
	s_and_saveexec_b32 s18, s0
	s_cbranch_execz .LBB281_534
; %bb.529:                              ;   in Loop: Header=BB281_362 Depth=1
	v_and_b32_e32 v54, 0x7f, v11
	v_mov_b32_e32 v52, 0x7c01
	s_mov_b32 s21, exec_lo
	v_cmpx_ne_u32_e32 0x7f, v54
	s_cbranch_execz .LBB281_533
; %bb.530:                              ;   in Loop: Header=BB281_362 Depth=1
	v_and_b32_e32 v52, 7, v11
	v_lshrrev_b32_e32 v53, 3, v54
	s_mov_b32 s22, exec_lo
	v_cmpx_gt_u32_e32 8, v54
; %bb.531:                              ;   in Loop: Header=BB281_362 Depth=1
	v_ffbh_u32_e32 v52, v52
	v_min_u32_e32 v54, 32, v52
	v_subrev_nc_u32_e32 v52, 28, v54
	v_lshlrev_b64 v[52:53], v52, v[2:3]
	v_sub_nc_u32_e32 v53, 29, v54
	v_and_b32_e32 v52, 7, v52
; %bb.532:                              ;   in Loop: Header=BB281_362 Depth=1
	s_or_b32 exec_lo, exec_lo, s22
	v_lshlrev_b32_e32 v54, 8, v11
	v_lshl_add_u32 v53, v53, 10, 0x2000
	v_lshlrev_b32_e32 v52, 7, v52
	v_and_b32_e32 v54, 0x8000, v54
	v_and_b32_e32 v53, 0xfc00, v53
	v_or3_b32 v52, v54, v53, v52
.LBB281_533:                            ;   in Loop: Header=BB281_362 Depth=1
	s_or_b32 exec_lo, exec_lo, s21
.LBB281_534:                            ;   in Loop: Header=BB281_362 Depth=1
	s_or_b32 exec_lo, exec_lo, s18
.LBB281_535:                            ;   in Loop: Header=BB281_362 Depth=1
	s_or_b32 exec_lo, exec_lo, s17
	v_lshrrev_b16 v2, 8, v2
	v_mov_b32_e32 v53, 0
	s_mov_b32 s17, exec_lo
	v_cmpx_ne_u16_e32 0, v2
	s_cbranch_execz .LBB281_543
; %bb.536:                              ;   in Loop: Header=BB281_362 Depth=1
	v_bfrev_b32_e32 v53, 1
	s_mov_b32 s18, exec_lo
	v_cmpx_ne_u16_e32 0x80, v2
	s_cbranch_execz .LBB281_542
; %bb.537:                              ;   in Loop: Header=BB281_362 Depth=1
	v_and_b32_sdwa v55, v2, v25 dst_sel:DWORD dst_unused:UNUSED_PAD src0_sel:WORD_0 src1_sel:DWORD
	v_mov_b32_e32 v53, 0x7c010000
	s_mov_b32 s21, exec_lo
	v_cmpx_ne_u32_e32 0x7f, v55
	s_cbranch_execz .LBB281_541
; %bb.538:                              ;   in Loop: Header=BB281_362 Depth=1
	v_and_b32_sdwa v53, v2, v26 dst_sel:DWORD dst_unused:UNUSED_PAD src0_sel:WORD_0 src1_sel:DWORD
	v_lshrrev_b32_e32 v54, 3, v55
	s_mov_b32 s22, exec_lo
	v_cmpx_gt_u32_e32 8, v55
; %bb.539:                              ;   in Loop: Header=BB281_362 Depth=1
	v_ffbh_u32_e32 v53, v53
	v_min_u32_e32 v55, 32, v53
	v_subrev_nc_u32_e32 v53, 28, v55
	v_lshlrev_b64 v[53:54], v53, v[2:3]
	v_sub_nc_u32_e32 v54, 29, v55
	v_and_b32_e32 v53, 7, v53
; %bb.540:                              ;   in Loop: Header=BB281_362 Depth=1
	s_or_b32 exec_lo, exec_lo, s22
	v_lshlrev_b32_sdwa v2, v27, v2 dst_sel:DWORD dst_unused:UNUSED_PAD src0_sel:DWORD src1_sel:WORD_0
	v_lshl_add_u32 v54, v54, 10, 0x2000
	v_lshlrev_b32_e32 v53, 23, v53
	v_and_or_b32 v2, 0x8000, v2, v54
	v_lshl_or_b32 v53, v2, 16, v53
.LBB281_541:                            ;   in Loop: Header=BB281_362 Depth=1
	s_or_b32 exec_lo, exec_lo, s21
.LBB281_542:                            ;   in Loop: Header=BB281_362 Depth=1
	s_or_b32 exec_lo, exec_lo, s18
.LBB281_543:                            ;   in Loop: Header=BB281_362 Depth=1
	s_or_b32 exec_lo, exec_lo, s17
	v_lshrrev_b32_e32 v2, 16, v11
	v_cmp_ne_u16_sdwa s0, v2, v3 src0_sel:BYTE_0 src1_sel:DWORD
	s_and_saveexec_b32 s17, s0
	s_cbranch_execz .LBB281_551
; %bb.544:                              ;   in Loop: Header=BB281_362 Depth=1
	v_cmp_ne_u16_sdwa s0, v2, v16 src0_sel:BYTE_0 src1_sel:DWORD
	v_mov_b32_e32 v51, 0x8000
	s_and_saveexec_b32 s18, s0
	s_cbranch_execz .LBB281_550
; %bb.545:                              ;   in Loop: Header=BB281_362 Depth=1
	v_bfe_u32 v55, v11, 16, 7
	v_mov_b32_e32 v51, 0x7c01
	s_mov_b32 s21, exec_lo
	v_cmpx_ne_u32_e32 0x7f, v55
	s_cbranch_execz .LBB281_549
; %bb.546:                              ;   in Loop: Header=BB281_362 Depth=1
	v_and_b32_e32 v51, 7, v2
	v_lshrrev_b32_e32 v54, 3, v55
	s_mov_b32 s22, exec_lo
	v_cmpx_gt_u32_e32 8, v55
; %bb.547:                              ;   in Loop: Header=BB281_362 Depth=1
	v_ffbh_u32_e32 v51, v51
	v_min_u32_e32 v51, 32, v51
	v_subrev_nc_u32_e32 v54, 28, v51
	v_lshlrev_b64 v[55:56], v54, v[2:3]
	v_sub_nc_u32_e32 v54, 29, v51
	v_and_b32_e32 v51, 7, v55
; %bb.548:                              ;   in Loop: Header=BB281_362 Depth=1
	s_or_b32 exec_lo, exec_lo, s22
	v_lshlrev_b32_e32 v2, 8, v2
	v_lshl_add_u32 v54, v54, 10, 0x2000
	v_lshlrev_b32_e32 v51, 7, v51
	v_and_b32_e32 v2, 0x8000, v2
	v_and_b32_e32 v54, 0xfc00, v54
	v_or3_b32 v51, v2, v54, v51
.LBB281_549:                            ;   in Loop: Header=BB281_362 Depth=1
	s_or_b32 exec_lo, exec_lo, s21
.LBB281_550:                            ;   in Loop: Header=BB281_362 Depth=1
	s_or_b32 exec_lo, exec_lo, s18
.LBB281_551:                            ;   in Loop: Header=BB281_362 Depth=1
	s_or_b32 exec_lo, exec_lo, s17
	v_cmp_lt_u64_e64 s0, s[4:5], v[10:11]
	v_mov_b32_e32 v10, 0
	s_and_saveexec_b32 s17, s0
	s_cbranch_execz .LBB281_559
; %bb.552:                              ;   in Loop: Header=BB281_362 Depth=1
	v_lshrrev_b32_e32 v2, 24, v11
	v_bfrev_b32_e32 v10, 1
	s_mov_b32 s18, exec_lo
	v_cmpx_ne_u32_e32 0x80, v2
	s_cbranch_execz .LBB281_558
; %bb.553:                              ;   in Loop: Header=BB281_362 Depth=1
	v_and_b32_e32 v54, 0x7f, v2
	v_mov_b32_e32 v10, 0x7c010000
	s_mov_b32 s21, exec_lo
	v_cmpx_ne_u32_e32 0x7f, v54
	s_cbranch_execz .LBB281_557
; %bb.554:                              ;   in Loop: Header=BB281_362 Depth=1
	v_and_b32_e32 v10, 7, v2
	v_lshrrev_b32_e32 v11, 3, v54
	s_mov_b32 s22, exec_lo
	v_cmpx_gt_u32_e32 8, v54
; %bb.555:                              ;   in Loop: Header=BB281_362 Depth=1
	v_ffbh_u32_e32 v10, v10
	v_min_u32_e32 v54, 32, v10
	v_subrev_nc_u32_e32 v10, 28, v54
	v_lshlrev_b64 v[10:11], v10, v[2:3]
	v_sub_nc_u32_e32 v11, 29, v54
	v_and_b32_e32 v10, 7, v10
; %bb.556:                              ;   in Loop: Header=BB281_362 Depth=1
	s_or_b32 exec_lo, exec_lo, s22
	v_lshlrev_b32_e32 v2, 8, v2
	v_lshl_add_u32 v11, v11, 10, 0x2000
	v_lshlrev_b32_e32 v10, 23, v10
	v_and_or_b32 v2, 0x8000, v2, v11
	v_lshl_or_b32 v10, v2, 16, v10
.LBB281_557:                            ;   in Loop: Header=BB281_362 Depth=1
	s_or_b32 exec_lo, exec_lo, s21
.LBB281_558:                            ;   in Loop: Header=BB281_362 Depth=1
	s_or_b32 exec_lo, exec_lo, s18
.LBB281_559:                            ;   in Loop: Header=BB281_362 Depth=1
	s_or_b32 exec_lo, exec_lo, s17
	v_or_b32_e32 v2, v49, v50
	s_waitcnt vmcnt(0)
	v_fma_mixlo_f16 v11, v46, v49, 0 op_sel:[0,1,0] op_sel_hi:[0,1,0]
	v_or_b32_e32 v49, v47, v48
	v_fma_mixlo_f16 v47, v46, v47, 0 op_sel:[0,1,0] op_sel_hi:[0,1,0]
	v_or_b32_e32 v50, v53, v52
	v_or_b32_e32 v51, v10, v51
	v_fma_mixlo_f16 v52, v46, v2, 0 op_sel_hi:[0,1,0]
	v_fma_mixlo_f16 v10, v46, v10, 0 op_sel:[0,1,0] op_sel_hi:[0,1,0]
	v_lshlrev_b32_e32 v48, 16, v47
	v_fma_mixlo_f16 v47, v46, v49, 0 op_sel_hi:[0,1,0]
	v_fma_mixlo_f16 v49, v46, v53, 0 op_sel:[0,1,0] op_sel_hi:[0,1,0]
	v_fma_mixlo_f16 v50, v46, v50, 0 op_sel_hi:[0,1,0]
	v_fma_mixlo_f16 v51, v46, v51, 0 op_sel_hi:[0,1,0]
	v_lshlrev_b32_e32 v2, 16, v11
	v_and_b32_e32 v11, 0xffff, v52
	v_and_b32_e32 v54, 0xffff, v47
	v_lshlrev_b32_e32 v46, 16, v49
	v_and_b32_e32 v50, 0xffff, v50
	v_lshlrev_b32_e32 v10, 16, v10
	v_and_b32_e32 v47, 0xffff, v51
	v_or_b32_e32 v49, v2, v11
	v_or_b32_e32 v53, v48, v54
	;; [unrolled: 1-line block ×4, first 2 shown]
	s_and_saveexec_b32 s17, vcc_lo
	s_cbranch_execz .LBB281_561
; %bb.560:                              ;   in Loop: Header=BB281_362 Depth=1
	v_cmp_gt_i32_e64 s0, s31, v30
	v_cndmask_b32_e64 v49, 0, v54, s0
	v_cmp_gt_i32_e64 s0, s31, v37
	v_cndmask_b32_e64 v48, 0, v48, s0
	v_cmp_gt_i32_e64 s0, s31, v36
	v_or_b32_e32 v53, v48, v49
	v_cndmask_b32_e64 v11, 0, v11, s0
	v_cmp_gt_i32_e64 s0, s31, v35
	v_cndmask_b32_e64 v2, 0, v2, s0
	v_cmp_gt_i32_e64 s0, s31, v34
	v_or_b32_e32 v49, v2, v11
	;; [unrolled: 5-line block ×3, first 2 shown]
	v_cndmask_b32_e64 v47, 0, v47, s0
	v_cmp_gt_i32_e64 s0, s31, v31
	v_cndmask_b32_e64 v10, 0, v10, s0
	v_or_b32_e32 v51, v10, v47
.LBB281_561:                            ;   in Loop: Header=BB281_362 Depth=1
	s_or_b32 exec_lo, exec_lo, s17
	;;#ASMSTART
	v_pk_mul_f16 v2, v43, v53;

	;;#ASMEND
	;;#ASMSTART
	v_pk_mul_f16 v10, v42, v49;

	;;#ASMEND
	;; [unrolled: 4-line block ×4, first 2 shown]
	;;#ASMSTART
	v_pk_add_f16 v2, v2, v10;

	;;#ASMEND
	;;#ASMSTART
	v_pk_add_f16 v2, v2, v11;

	;;#ASMEND
	;; [unrolled: 4-line block ×3, first 2 shown]
	v_and_b32_e32 v10, 0xffff, v2
	v_lshrrev_b32_e32 v2, 16, v2
	;;#ASMSTART
	v_cvt_f32_f16 v46, v10;
	;;#ASMEND
	;;#ASMSTART
	v_cvt_f32_f16 v47, v2;
	;;#ASMEND
	global_load_dwordx2 v[10:11], v[8:9], off offset:768
	v_mov_b32_e32 v49, 0
	v_mov_b32_e32 v50, 0
	global_load_dword v48, v49, s[14:15]
	s_waitcnt vmcnt(1)
	v_cmp_ne_u16_sdwa s0, v10, v3 src0_sel:BYTE_0 src1_sel:DWORD
	s_and_saveexec_b32 s17, s0
	s_cbranch_execz .LBB281_569
; %bb.562:                              ;   in Loop: Header=BB281_362 Depth=1
	v_cmp_ne_u16_sdwa s0, v10, v16 src0_sel:BYTE_0 src1_sel:DWORD
	v_mov_b32_e32 v50, 0x8000
	s_and_saveexec_b32 s18, s0
	s_cbranch_execz .LBB281_568
; %bb.563:                              ;   in Loop: Header=BB281_362 Depth=1
	v_and_b32_e32 v51, 0x7f, v10
	v_mov_b32_e32 v50, 0x7c01
	s_mov_b32 s21, exec_lo
	v_cmpx_ne_u32_e32 0x7f, v51
	s_cbranch_execz .LBB281_567
; %bb.564:                              ;   in Loop: Header=BB281_362 Depth=1
	v_and_b32_e32 v2, 7, v10
	v_lshrrev_b32_e32 v50, 3, v51
	s_mov_b32 s22, exec_lo
	v_cmpx_gt_u32_e32 8, v51
; %bb.565:                              ;   in Loop: Header=BB281_362 Depth=1
	v_ffbh_u32_e32 v2, v2
	v_min_u32_e32 v2, 32, v2
	v_subrev_nc_u32_e32 v50, 28, v2
	v_lshlrev_b64 v[51:52], v50, v[10:11]
	v_sub_nc_u32_e32 v50, 29, v2
	v_and_b32_e32 v2, 7, v51
; %bb.566:                              ;   in Loop: Header=BB281_362 Depth=1
	s_or_b32 exec_lo, exec_lo, s22
	v_lshlrev_b32_e32 v51, 8, v10
	v_lshl_add_u32 v50, v50, 10, 0x2000
	v_lshlrev_b32_e32 v2, 7, v2
	v_and_b32_e32 v51, 0x8000, v51
	v_and_b32_e32 v50, 0xfc00, v50
	v_or3_b32 v50, v51, v50, v2
.LBB281_567:                            ;   in Loop: Header=BB281_362 Depth=1
	s_or_b32 exec_lo, exec_lo, s21
.LBB281_568:                            ;   in Loop: Header=BB281_362 Depth=1
	s_or_b32 exec_lo, exec_lo, s18
.LBB281_569:                            ;   in Loop: Header=BB281_362 Depth=1
	s_or_b32 exec_lo, exec_lo, s17
	v_lshrrev_b16 v2, 8, v10
	s_mov_b32 s17, exec_lo
	v_cmpx_ne_u16_e32 0, v2
	s_cbranch_execz .LBB281_577
; %bb.570:                              ;   in Loop: Header=BB281_362 Depth=1
	v_bfrev_b32_e32 v49, 1
	s_mov_b32 s18, exec_lo
	v_cmpx_ne_u16_e32 0x80, v2
	s_cbranch_execz .LBB281_576
; %bb.571:                              ;   in Loop: Header=BB281_362 Depth=1
	v_and_b32_sdwa v52, v2, v25 dst_sel:DWORD dst_unused:UNUSED_PAD src0_sel:WORD_0 src1_sel:DWORD
	v_mov_b32_e32 v49, 0x7c010000
	s_mov_b32 s21, exec_lo
	v_cmpx_ne_u32_e32 0x7f, v52
	s_cbranch_execz .LBB281_575
; %bb.572:                              ;   in Loop: Header=BB281_362 Depth=1
	v_and_b32_sdwa v49, v2, v26 dst_sel:DWORD dst_unused:UNUSED_PAD src0_sel:WORD_0 src1_sel:DWORD
	v_lshrrev_b32_e32 v51, 3, v52
	s_mov_b32 s22, exec_lo
	v_cmpx_gt_u32_e32 8, v52
; %bb.573:                              ;   in Loop: Header=BB281_362 Depth=1
	v_ffbh_u32_e32 v49, v49
	v_min_u32_e32 v49, 32, v49
	v_subrev_nc_u32_e32 v51, 28, v49
	v_lshlrev_b64 v[52:53], v51, v[2:3]
	v_sub_nc_u32_e32 v51, 29, v49
	v_and_b32_e32 v49, 7, v52
; %bb.574:                              ;   in Loop: Header=BB281_362 Depth=1
	s_or_b32 exec_lo, exec_lo, s22
	v_lshlrev_b32_sdwa v2, v27, v2 dst_sel:DWORD dst_unused:UNUSED_PAD src0_sel:DWORD src1_sel:WORD_0
	v_lshl_add_u32 v51, v51, 10, 0x2000
	v_lshlrev_b32_e32 v49, 23, v49
	v_and_or_b32 v2, 0x8000, v2, v51
	v_lshl_or_b32 v49, v2, 16, v49
.LBB281_575:                            ;   in Loop: Header=BB281_362 Depth=1
	s_or_b32 exec_lo, exec_lo, s21
.LBB281_576:                            ;   in Loop: Header=BB281_362 Depth=1
	s_or_b32 exec_lo, exec_lo, s18
.LBB281_577:                            ;   in Loop: Header=BB281_362 Depth=1
	s_or_b32 exec_lo, exec_lo, s17
	v_lshrrev_b32_e32 v2, 16, v10
	v_mov_b32_e32 v51, 0
	v_mov_b32_e32 v52, 0
	v_cmp_ne_u16_sdwa s0, v2, v3 src0_sel:BYTE_0 src1_sel:DWORD
	s_and_saveexec_b32 s17, s0
	s_cbranch_execz .LBB281_585
; %bb.578:                              ;   in Loop: Header=BB281_362 Depth=1
	v_cmp_ne_u16_sdwa s0, v2, v16 src0_sel:BYTE_0 src1_sel:DWORD
	v_mov_b32_e32 v52, 0x8000
	s_and_saveexec_b32 s18, s0
	s_cbranch_execz .LBB281_584
; %bb.579:                              ;   in Loop: Header=BB281_362 Depth=1
	v_bfe_u32 v54, v10, 16, 7
	v_mov_b32_e32 v52, 0x7c01
	s_mov_b32 s21, exec_lo
	v_cmpx_ne_u32_e32 0x7f, v54
	s_cbranch_execz .LBB281_583
; %bb.580:                              ;   in Loop: Header=BB281_362 Depth=1
	v_and_b32_e32 v52, 7, v2
	v_lshrrev_b32_e32 v53, 3, v54
	s_mov_b32 s22, exec_lo
	v_cmpx_gt_u32_e32 8, v54
; %bb.581:                              ;   in Loop: Header=BB281_362 Depth=1
	v_ffbh_u32_e32 v52, v52
	v_min_u32_e32 v54, 32, v52
	v_subrev_nc_u32_e32 v52, 28, v54
	v_lshlrev_b64 v[52:53], v52, v[2:3]
	v_sub_nc_u32_e32 v53, 29, v54
	v_and_b32_e32 v52, 7, v52
; %bb.582:                              ;   in Loop: Header=BB281_362 Depth=1
	s_or_b32 exec_lo, exec_lo, s22
	v_lshlrev_b32_e32 v2, 8, v2
	v_lshl_add_u32 v53, v53, 10, 0x2000
	v_lshlrev_b32_e32 v52, 7, v52
	v_and_b32_e32 v2, 0x8000, v2
	v_and_b32_e32 v53, 0xfc00, v53
	v_or3_b32 v52, v2, v53, v52
.LBB281_583:                            ;   in Loop: Header=BB281_362 Depth=1
	s_or_b32 exec_lo, exec_lo, s21
.LBB281_584:                            ;   in Loop: Header=BB281_362 Depth=1
	s_or_b32 exec_lo, exec_lo, s18
.LBB281_585:                            ;   in Loop: Header=BB281_362 Depth=1
	s_or_b32 exec_lo, exec_lo, s17
	s_mov_b32 s17, exec_lo
	v_cmpx_lt_u32_e32 0xffffff, v10
	s_cbranch_execz .LBB281_593
; %bb.586:                              ;   in Loop: Header=BB281_362 Depth=1
	v_lshrrev_b32_e32 v2, 24, v10
	v_bfrev_b32_e32 v51, 1
	s_mov_b32 s18, exec_lo
	v_cmpx_ne_u32_e32 0x80, v2
	s_cbranch_execz .LBB281_592
; %bb.587:                              ;   in Loop: Header=BB281_362 Depth=1
	v_and_b32_e32 v54, 0x7f, v2
	v_mov_b32_e32 v51, 0x7c010000
	s_mov_b32 s21, exec_lo
	v_cmpx_ne_u32_e32 0x7f, v54
	s_cbranch_execz .LBB281_591
; %bb.588:                              ;   in Loop: Header=BB281_362 Depth=1
	v_and_b32_e32 v51, 7, v2
	v_lshrrev_b32_e32 v53, 3, v54
	s_mov_b32 s22, exec_lo
	v_cmpx_gt_u32_e32 8, v54
; %bb.589:                              ;   in Loop: Header=BB281_362 Depth=1
	v_ffbh_u32_e32 v51, v51
	v_min_u32_e32 v51, 32, v51
	v_subrev_nc_u32_e32 v53, 28, v51
	v_lshlrev_b64 v[54:55], v53, v[2:3]
	v_sub_nc_u32_e32 v53, 29, v51
	v_and_b32_e32 v51, 7, v54
; %bb.590:                              ;   in Loop: Header=BB281_362 Depth=1
	s_or_b32 exec_lo, exec_lo, s22
	v_lshlrev_b32_e32 v2, 8, v2
	v_lshl_add_u32 v53, v53, 10, 0x2000
	v_lshlrev_b32_e32 v51, 23, v51
	v_and_or_b32 v2, 0x8000, v2, v53
	v_lshl_or_b32 v51, v2, 16, v51
.LBB281_591:                            ;   in Loop: Header=BB281_362 Depth=1
	s_or_b32 exec_lo, exec_lo, s21
.LBB281_592:                            ;   in Loop: Header=BB281_362 Depth=1
	s_or_b32 exec_lo, exec_lo, s18
.LBB281_593:                            ;   in Loop: Header=BB281_362 Depth=1
	s_or_b32 exec_lo, exec_lo, s17
	v_mov_b32_e32 v2, v11
	v_cmp_ne_u16_sdwa s0, v11, v3 src0_sel:BYTE_0 src1_sel:DWORD
	v_mov_b32_e32 v53, 0
	v_mov_b32_e32 v54, 0
	s_and_saveexec_b32 s17, s0
	s_cbranch_execz .LBB281_601
; %bb.594:                              ;   in Loop: Header=BB281_362 Depth=1
	v_cmp_ne_u16_sdwa s0, v11, v16 src0_sel:BYTE_0 src1_sel:DWORD
	v_mov_b32_e32 v54, 0x8000
	s_and_saveexec_b32 s18, s0
	s_cbranch_execz .LBB281_600
; %bb.595:                              ;   in Loop: Header=BB281_362 Depth=1
	v_and_b32_e32 v56, 0x7f, v11
	v_mov_b32_e32 v54, 0x7c01
	s_mov_b32 s21, exec_lo
	v_cmpx_ne_u32_e32 0x7f, v56
	s_cbranch_execz .LBB281_599
; %bb.596:                              ;   in Loop: Header=BB281_362 Depth=1
	v_and_b32_e32 v54, 7, v11
	v_lshrrev_b32_e32 v55, 3, v56
	s_mov_b32 s22, exec_lo
	v_cmpx_gt_u32_e32 8, v56
; %bb.597:                              ;   in Loop: Header=BB281_362 Depth=1
	v_ffbh_u32_e32 v54, v54
	v_min_u32_e32 v56, 32, v54
	v_subrev_nc_u32_e32 v54, 28, v56
	v_lshlrev_b64 v[54:55], v54, v[2:3]
	v_sub_nc_u32_e32 v55, 29, v56
	v_and_b32_e32 v54, 7, v54
; %bb.598:                              ;   in Loop: Header=BB281_362 Depth=1
	s_or_b32 exec_lo, exec_lo, s22
	v_lshlrev_b32_e32 v56, 8, v11
	v_lshl_add_u32 v55, v55, 10, 0x2000
	v_lshlrev_b32_e32 v54, 7, v54
	v_and_b32_e32 v56, 0x8000, v56
	v_and_b32_e32 v55, 0xfc00, v55
	v_or3_b32 v54, v56, v55, v54
.LBB281_599:                            ;   in Loop: Header=BB281_362 Depth=1
	s_or_b32 exec_lo, exec_lo, s21
.LBB281_600:                            ;   in Loop: Header=BB281_362 Depth=1
	s_or_b32 exec_lo, exec_lo, s18
.LBB281_601:                            ;   in Loop: Header=BB281_362 Depth=1
	s_or_b32 exec_lo, exec_lo, s17
	v_lshrrev_b16 v2, 8, v2
	v_mov_b32_e32 v55, 0
	s_mov_b32 s17, exec_lo
	v_cmpx_ne_u16_e32 0, v2
	s_cbranch_execz .LBB281_609
; %bb.602:                              ;   in Loop: Header=BB281_362 Depth=1
	v_bfrev_b32_e32 v55, 1
	s_mov_b32 s18, exec_lo
	v_cmpx_ne_u16_e32 0x80, v2
	s_cbranch_execz .LBB281_608
; %bb.603:                              ;   in Loop: Header=BB281_362 Depth=1
	v_and_b32_sdwa v57, v2, v25 dst_sel:DWORD dst_unused:UNUSED_PAD src0_sel:WORD_0 src1_sel:DWORD
	v_mov_b32_e32 v55, 0x7c010000
	s_mov_b32 s21, exec_lo
	v_cmpx_ne_u32_e32 0x7f, v57
	s_cbranch_execz .LBB281_607
; %bb.604:                              ;   in Loop: Header=BB281_362 Depth=1
	v_and_b32_sdwa v55, v2, v26 dst_sel:DWORD dst_unused:UNUSED_PAD src0_sel:WORD_0 src1_sel:DWORD
	v_lshrrev_b32_e32 v56, 3, v57
	s_mov_b32 s22, exec_lo
	v_cmpx_gt_u32_e32 8, v57
; %bb.605:                              ;   in Loop: Header=BB281_362 Depth=1
	v_ffbh_u32_e32 v55, v55
	v_min_u32_e32 v57, 32, v55
	v_subrev_nc_u32_e32 v55, 28, v57
	v_lshlrev_b64 v[55:56], v55, v[2:3]
	v_sub_nc_u32_e32 v56, 29, v57
	v_and_b32_e32 v55, 7, v55
; %bb.606:                              ;   in Loop: Header=BB281_362 Depth=1
	s_or_b32 exec_lo, exec_lo, s22
	v_lshlrev_b32_sdwa v2, v27, v2 dst_sel:DWORD dst_unused:UNUSED_PAD src0_sel:DWORD src1_sel:WORD_0
	v_lshl_add_u32 v56, v56, 10, 0x2000
	v_lshlrev_b32_e32 v55, 23, v55
	v_and_or_b32 v2, 0x8000, v2, v56
	v_lshl_or_b32 v55, v2, 16, v55
.LBB281_607:                            ;   in Loop: Header=BB281_362 Depth=1
	s_or_b32 exec_lo, exec_lo, s21
.LBB281_608:                            ;   in Loop: Header=BB281_362 Depth=1
	s_or_b32 exec_lo, exec_lo, s18
.LBB281_609:                            ;   in Loop: Header=BB281_362 Depth=1
	s_or_b32 exec_lo, exec_lo, s17
	v_lshrrev_b32_e32 v2, 16, v11
	v_cmp_ne_u16_sdwa s0, v2, v3 src0_sel:BYTE_0 src1_sel:DWORD
	s_and_saveexec_b32 s17, s0
	s_cbranch_execz .LBB281_617
; %bb.610:                              ;   in Loop: Header=BB281_362 Depth=1
	v_cmp_ne_u16_sdwa s0, v2, v16 src0_sel:BYTE_0 src1_sel:DWORD
	v_mov_b32_e32 v53, 0x8000
	s_and_saveexec_b32 s18, s0
	s_cbranch_execz .LBB281_616
; %bb.611:                              ;   in Loop: Header=BB281_362 Depth=1
	v_bfe_u32 v57, v11, 16, 7
	v_mov_b32_e32 v53, 0x7c01
	s_mov_b32 s21, exec_lo
	v_cmpx_ne_u32_e32 0x7f, v57
	s_cbranch_execz .LBB281_615
; %bb.612:                              ;   in Loop: Header=BB281_362 Depth=1
	v_and_b32_e32 v53, 7, v2
	v_lshrrev_b32_e32 v56, 3, v57
	s_mov_b32 s22, exec_lo
	v_cmpx_gt_u32_e32 8, v57
; %bb.613:                              ;   in Loop: Header=BB281_362 Depth=1
	v_ffbh_u32_e32 v53, v53
	v_min_u32_e32 v53, 32, v53
	v_subrev_nc_u32_e32 v56, 28, v53
	v_lshlrev_b64 v[57:58], v56, v[2:3]
	v_sub_nc_u32_e32 v56, 29, v53
	v_and_b32_e32 v53, 7, v57
; %bb.614:                              ;   in Loop: Header=BB281_362 Depth=1
	s_or_b32 exec_lo, exec_lo, s22
	v_lshlrev_b32_e32 v2, 8, v2
	v_lshl_add_u32 v56, v56, 10, 0x2000
	v_lshlrev_b32_e32 v53, 7, v53
	v_and_b32_e32 v2, 0x8000, v2
	v_and_b32_e32 v56, 0xfc00, v56
	v_or3_b32 v53, v2, v56, v53
.LBB281_615:                            ;   in Loop: Header=BB281_362 Depth=1
	s_or_b32 exec_lo, exec_lo, s21
.LBB281_616:                            ;   in Loop: Header=BB281_362 Depth=1
	s_or_b32 exec_lo, exec_lo, s18
.LBB281_617:                            ;   in Loop: Header=BB281_362 Depth=1
	s_or_b32 exec_lo, exec_lo, s17
	v_cmp_lt_u64_e64 s0, s[4:5], v[10:11]
	v_mov_b32_e32 v10, 0
	s_and_saveexec_b32 s17, s0
	s_cbranch_execz .LBB281_625
; %bb.618:                              ;   in Loop: Header=BB281_362 Depth=1
	v_lshrrev_b32_e32 v2, 24, v11
	v_bfrev_b32_e32 v10, 1
	s_mov_b32 s18, exec_lo
	v_cmpx_ne_u32_e32 0x80, v2
	s_cbranch_execz .LBB281_624
; %bb.619:                              ;   in Loop: Header=BB281_362 Depth=1
	v_and_b32_e32 v56, 0x7f, v2
	v_mov_b32_e32 v10, 0x7c010000
	s_mov_b32 s21, exec_lo
	v_cmpx_ne_u32_e32 0x7f, v56
	s_cbranch_execz .LBB281_623
; %bb.620:                              ;   in Loop: Header=BB281_362 Depth=1
	v_and_b32_e32 v10, 7, v2
	v_lshrrev_b32_e32 v11, 3, v56
	s_mov_b32 s22, exec_lo
	v_cmpx_gt_u32_e32 8, v56
; %bb.621:                              ;   in Loop: Header=BB281_362 Depth=1
	v_ffbh_u32_e32 v10, v10
	v_min_u32_e32 v56, 32, v10
	v_subrev_nc_u32_e32 v10, 28, v56
	v_lshlrev_b64 v[10:11], v10, v[2:3]
	v_sub_nc_u32_e32 v11, 29, v56
	v_and_b32_e32 v10, 7, v10
; %bb.622:                              ;   in Loop: Header=BB281_362 Depth=1
	s_or_b32 exec_lo, exec_lo, s22
	v_lshlrev_b32_e32 v2, 8, v2
	v_lshl_add_u32 v11, v11, 10, 0x2000
	v_lshlrev_b32_e32 v10, 23, v10
	v_and_or_b32 v2, 0x8000, v2, v11
	v_lshl_or_b32 v10, v2, 16, v10
.LBB281_623:                            ;   in Loop: Header=BB281_362 Depth=1
	s_or_b32 exec_lo, exec_lo, s21
.LBB281_624:                            ;   in Loop: Header=BB281_362 Depth=1
	s_or_b32 exec_lo, exec_lo, s18
.LBB281_625:                            ;   in Loop: Header=BB281_362 Depth=1
	s_or_b32 exec_lo, exec_lo, s17
	v_or_b32_e32 v2, v51, v52
	s_waitcnt vmcnt(0)
	v_fma_mixlo_f16 v11, v48, v51, 0 op_sel:[0,1,0] op_sel_hi:[0,1,0]
	v_or_b32_e32 v51, v49, v50
	v_fma_mixlo_f16 v49, v48, v49, 0 op_sel:[0,1,0] op_sel_hi:[0,1,0]
	v_or_b32_e32 v52, v55, v54
	v_or_b32_e32 v53, v10, v53
	v_fma_mixlo_f16 v54, v48, v2, 0 op_sel_hi:[0,1,0]
	v_fma_mixlo_f16 v10, v48, v10, 0 op_sel:[0,1,0] op_sel_hi:[0,1,0]
	v_lshlrev_b32_e32 v50, 16, v49
	v_fma_mixlo_f16 v49, v48, v51, 0 op_sel_hi:[0,1,0]
	v_fma_mixlo_f16 v51, v48, v55, 0 op_sel:[0,1,0] op_sel_hi:[0,1,0]
	v_fma_mixlo_f16 v52, v48, v52, 0 op_sel_hi:[0,1,0]
	v_fma_mixlo_f16 v53, v48, v53, 0 op_sel_hi:[0,1,0]
	v_lshlrev_b32_e32 v2, 16, v11
	v_and_b32_e32 v11, 0xffff, v54
	v_and_b32_e32 v56, 0xffff, v49
	v_lshlrev_b32_e32 v48, 16, v51
	v_and_b32_e32 v52, 0xffff, v52
	v_lshlrev_b32_e32 v10, 16, v10
	v_and_b32_e32 v49, 0xffff, v53
	v_or_b32_e32 v51, v2, v11
	v_or_b32_e32 v55, v50, v56
	;; [unrolled: 1-line block ×4, first 2 shown]
	s_and_saveexec_b32 s17, vcc_lo
	s_cbranch_execz .LBB281_627
; %bb.626:                              ;   in Loop: Header=BB281_362 Depth=1
	v_cmp_gt_i32_e64 s0, s31, v30
	v_cndmask_b32_e64 v51, 0, v56, s0
	v_cmp_gt_i32_e64 s0, s31, v37
	v_cndmask_b32_e64 v50, 0, v50, s0
	v_cmp_gt_i32_e64 s0, s31, v36
	v_or_b32_e32 v55, v50, v51
	v_cndmask_b32_e64 v11, 0, v11, s0
	v_cmp_gt_i32_e64 s0, s31, v35
	v_cndmask_b32_e64 v2, 0, v2, s0
	v_cmp_gt_i32_e64 s0, s31, v34
	v_or_b32_e32 v51, v2, v11
	;; [unrolled: 5-line block ×3, first 2 shown]
	v_cndmask_b32_e64 v49, 0, v49, s0
	v_cmp_gt_i32_e64 s0, s31, v31
	v_cndmask_b32_e64 v10, 0, v10, s0
	v_or_b32_e32 v53, v10, v49
.LBB281_627:                            ;   in Loop: Header=BB281_362 Depth=1
	s_or_b32 exec_lo, exec_lo, s17
	;;#ASMSTART
	v_pk_mul_f16 v2, v43, v55;

	;;#ASMEND
	;;#ASMSTART
	v_pk_mul_f16 v10, v42, v51;

	;;#ASMEND
	;;#ASMSTART
	v_pk_mul_f16 v11, v41, v54;

	;;#ASMEND
	;;#ASMSTART
	v_pk_mul_f16 v48, v40, v53;

	;;#ASMEND
	;;#ASMSTART
	v_pk_add_f16 v2, v2, v10;

	;;#ASMEND
	;;#ASMSTART
	v_pk_add_f16 v2, v2, v11;

	;;#ASMEND
	;; [unrolled: 4-line block ×3, first 2 shown]
	v_and_b32_e32 v10, 0xffff, v2
	v_lshrrev_b32_e32 v2, 16, v2
	;;#ASMSTART
	v_cvt_f32_f16 v10, v10;
	;;#ASMEND
	;;#ASMSTART
	v_cvt_f32_f16 v11, v2;
	;;#ASMEND
	global_load_dwordx2 v[8:9], v[8:9], off offset:1024
	v_mov_b32_e32 v49, 0
	v_mov_b32_e32 v50, 0
	global_load_dword v48, v49, s[14:15]
	s_waitcnt vmcnt(1)
	v_cmp_ne_u16_sdwa s0, v8, v3 src0_sel:BYTE_0 src1_sel:DWORD
	s_and_saveexec_b32 s17, s0
	s_cbranch_execz .LBB281_635
; %bb.628:                              ;   in Loop: Header=BB281_362 Depth=1
	v_cmp_ne_u16_sdwa s0, v8, v16 src0_sel:BYTE_0 src1_sel:DWORD
	v_mov_b32_e32 v50, 0x8000
	s_and_saveexec_b32 s18, s0
	s_cbranch_execz .LBB281_634
; %bb.629:                              ;   in Loop: Header=BB281_362 Depth=1
	v_and_b32_e32 v51, 0x7f, v8
	v_mov_b32_e32 v50, 0x7c01
	s_mov_b32 s21, exec_lo
	v_cmpx_ne_u32_e32 0x7f, v51
	s_cbranch_execz .LBB281_633
; %bb.630:                              ;   in Loop: Header=BB281_362 Depth=1
	v_and_b32_e32 v2, 7, v8
	v_lshrrev_b32_e32 v50, 3, v51
	s_mov_b32 s22, exec_lo
	v_cmpx_gt_u32_e32 8, v51
; %bb.631:                              ;   in Loop: Header=BB281_362 Depth=1
	v_ffbh_u32_e32 v2, v2
	v_min_u32_e32 v2, 32, v2
	v_subrev_nc_u32_e32 v50, 28, v2
	v_lshlrev_b64 v[51:52], v50, v[8:9]
	v_sub_nc_u32_e32 v50, 29, v2
	v_and_b32_e32 v2, 7, v51
; %bb.632:                              ;   in Loop: Header=BB281_362 Depth=1
	s_or_b32 exec_lo, exec_lo, s22
	v_lshlrev_b32_e32 v51, 8, v8
	v_lshl_add_u32 v50, v50, 10, 0x2000
	v_lshlrev_b32_e32 v2, 7, v2
	v_and_b32_e32 v51, 0x8000, v51
	v_and_b32_e32 v50, 0xfc00, v50
	v_or3_b32 v50, v51, v50, v2
.LBB281_633:                            ;   in Loop: Header=BB281_362 Depth=1
	s_or_b32 exec_lo, exec_lo, s21
.LBB281_634:                            ;   in Loop: Header=BB281_362 Depth=1
	s_or_b32 exec_lo, exec_lo, s18
.LBB281_635:                            ;   in Loop: Header=BB281_362 Depth=1
	s_or_b32 exec_lo, exec_lo, s17
	v_lshrrev_b16 v2, 8, v8
	s_mov_b32 s17, exec_lo
	v_cmpx_ne_u16_e32 0, v2
	s_cbranch_execz .LBB281_643
; %bb.636:                              ;   in Loop: Header=BB281_362 Depth=1
	v_bfrev_b32_e32 v49, 1
	s_mov_b32 s18, exec_lo
	v_cmpx_ne_u16_e32 0x80, v2
	s_cbranch_execz .LBB281_642
; %bb.637:                              ;   in Loop: Header=BB281_362 Depth=1
	v_and_b32_sdwa v52, v2, v25 dst_sel:DWORD dst_unused:UNUSED_PAD src0_sel:WORD_0 src1_sel:DWORD
	v_mov_b32_e32 v49, 0x7c010000
	s_mov_b32 s21, exec_lo
	v_cmpx_ne_u32_e32 0x7f, v52
	s_cbranch_execz .LBB281_641
; %bb.638:                              ;   in Loop: Header=BB281_362 Depth=1
	v_and_b32_sdwa v49, v2, v26 dst_sel:DWORD dst_unused:UNUSED_PAD src0_sel:WORD_0 src1_sel:DWORD
	v_lshrrev_b32_e32 v51, 3, v52
	s_mov_b32 s22, exec_lo
	v_cmpx_gt_u32_e32 8, v52
; %bb.639:                              ;   in Loop: Header=BB281_362 Depth=1
	v_ffbh_u32_e32 v49, v49
	v_min_u32_e32 v49, 32, v49
	v_subrev_nc_u32_e32 v51, 28, v49
	v_lshlrev_b64 v[52:53], v51, v[2:3]
	v_sub_nc_u32_e32 v51, 29, v49
	v_and_b32_e32 v49, 7, v52
; %bb.640:                              ;   in Loop: Header=BB281_362 Depth=1
	s_or_b32 exec_lo, exec_lo, s22
	v_lshlrev_b32_sdwa v2, v27, v2 dst_sel:DWORD dst_unused:UNUSED_PAD src0_sel:DWORD src1_sel:WORD_0
	v_lshl_add_u32 v51, v51, 10, 0x2000
	v_lshlrev_b32_e32 v49, 23, v49
	v_and_or_b32 v2, 0x8000, v2, v51
	v_lshl_or_b32 v49, v2, 16, v49
.LBB281_641:                            ;   in Loop: Header=BB281_362 Depth=1
	s_or_b32 exec_lo, exec_lo, s21
.LBB281_642:                            ;   in Loop: Header=BB281_362 Depth=1
	s_or_b32 exec_lo, exec_lo, s18
.LBB281_643:                            ;   in Loop: Header=BB281_362 Depth=1
	s_or_b32 exec_lo, exec_lo, s17
	v_lshrrev_b32_e32 v2, 16, v8
	v_mov_b32_e32 v51, 0
	v_mov_b32_e32 v52, 0
	v_cmp_ne_u16_sdwa s0, v2, v3 src0_sel:BYTE_0 src1_sel:DWORD
	s_and_saveexec_b32 s17, s0
	s_cbranch_execz .LBB281_651
; %bb.644:                              ;   in Loop: Header=BB281_362 Depth=1
	v_cmp_ne_u16_sdwa s0, v2, v16 src0_sel:BYTE_0 src1_sel:DWORD
	v_mov_b32_e32 v52, 0x8000
	s_and_saveexec_b32 s18, s0
	s_cbranch_execz .LBB281_650
; %bb.645:                              ;   in Loop: Header=BB281_362 Depth=1
	v_bfe_u32 v54, v8, 16, 7
	v_mov_b32_e32 v52, 0x7c01
	s_mov_b32 s21, exec_lo
	v_cmpx_ne_u32_e32 0x7f, v54
	s_cbranch_execz .LBB281_649
; %bb.646:                              ;   in Loop: Header=BB281_362 Depth=1
	v_and_b32_e32 v52, 7, v2
	v_lshrrev_b32_e32 v53, 3, v54
	s_mov_b32 s22, exec_lo
	v_cmpx_gt_u32_e32 8, v54
; %bb.647:                              ;   in Loop: Header=BB281_362 Depth=1
	v_ffbh_u32_e32 v52, v52
	v_min_u32_e32 v54, 32, v52
	v_subrev_nc_u32_e32 v52, 28, v54
	v_lshlrev_b64 v[52:53], v52, v[2:3]
	v_sub_nc_u32_e32 v53, 29, v54
	v_and_b32_e32 v52, 7, v52
; %bb.648:                              ;   in Loop: Header=BB281_362 Depth=1
	s_or_b32 exec_lo, exec_lo, s22
	v_lshlrev_b32_e32 v2, 8, v2
	v_lshl_add_u32 v53, v53, 10, 0x2000
	v_lshlrev_b32_e32 v52, 7, v52
	v_and_b32_e32 v2, 0x8000, v2
	v_and_b32_e32 v53, 0xfc00, v53
	v_or3_b32 v52, v2, v53, v52
.LBB281_649:                            ;   in Loop: Header=BB281_362 Depth=1
	s_or_b32 exec_lo, exec_lo, s21
.LBB281_650:                            ;   in Loop: Header=BB281_362 Depth=1
	s_or_b32 exec_lo, exec_lo, s18
.LBB281_651:                            ;   in Loop: Header=BB281_362 Depth=1
	s_or_b32 exec_lo, exec_lo, s17
	s_mov_b32 s17, exec_lo
	v_cmpx_lt_u32_e32 0xffffff, v8
	s_cbranch_execz .LBB281_659
; %bb.652:                              ;   in Loop: Header=BB281_362 Depth=1
	v_lshrrev_b32_e32 v2, 24, v8
	v_bfrev_b32_e32 v51, 1
	s_mov_b32 s18, exec_lo
	v_cmpx_ne_u32_e32 0x80, v2
	s_cbranch_execz .LBB281_658
; %bb.653:                              ;   in Loop: Header=BB281_362 Depth=1
	v_and_b32_e32 v54, 0x7f, v2
	v_mov_b32_e32 v51, 0x7c010000
	s_mov_b32 s21, exec_lo
	v_cmpx_ne_u32_e32 0x7f, v54
	s_cbranch_execz .LBB281_657
; %bb.654:                              ;   in Loop: Header=BB281_362 Depth=1
	v_and_b32_e32 v51, 7, v2
	v_lshrrev_b32_e32 v53, 3, v54
	s_mov_b32 s22, exec_lo
	v_cmpx_gt_u32_e32 8, v54
; %bb.655:                              ;   in Loop: Header=BB281_362 Depth=1
	v_ffbh_u32_e32 v51, v51
	v_min_u32_e32 v51, 32, v51
	v_subrev_nc_u32_e32 v53, 28, v51
	v_lshlrev_b64 v[54:55], v53, v[2:3]
	v_sub_nc_u32_e32 v53, 29, v51
	v_and_b32_e32 v51, 7, v54
; %bb.656:                              ;   in Loop: Header=BB281_362 Depth=1
	s_or_b32 exec_lo, exec_lo, s22
	v_lshlrev_b32_e32 v2, 8, v2
	v_lshl_add_u32 v53, v53, 10, 0x2000
	v_lshlrev_b32_e32 v51, 23, v51
	v_and_or_b32 v2, 0x8000, v2, v53
	v_lshl_or_b32 v51, v2, 16, v51
.LBB281_657:                            ;   in Loop: Header=BB281_362 Depth=1
	s_or_b32 exec_lo, exec_lo, s21
.LBB281_658:                            ;   in Loop: Header=BB281_362 Depth=1
	s_or_b32 exec_lo, exec_lo, s18
.LBB281_659:                            ;   in Loop: Header=BB281_362 Depth=1
	s_or_b32 exec_lo, exec_lo, s17
	v_mov_b32_e32 v2, v9
	v_cmp_ne_u16_sdwa s0, v9, v3 src0_sel:BYTE_0 src1_sel:DWORD
	v_mov_b32_e32 v53, 0
	v_mov_b32_e32 v54, 0
	s_and_saveexec_b32 s17, s0
	s_cbranch_execz .LBB281_667
; %bb.660:                              ;   in Loop: Header=BB281_362 Depth=1
	v_cmp_ne_u16_sdwa s0, v9, v16 src0_sel:BYTE_0 src1_sel:DWORD
	v_mov_b32_e32 v54, 0x8000
	s_and_saveexec_b32 s18, s0
	s_cbranch_execz .LBB281_666
; %bb.661:                              ;   in Loop: Header=BB281_362 Depth=1
	v_and_b32_e32 v56, 0x7f, v9
	v_mov_b32_e32 v54, 0x7c01
	s_mov_b32 s21, exec_lo
	v_cmpx_ne_u32_e32 0x7f, v56
	s_cbranch_execz .LBB281_665
; %bb.662:                              ;   in Loop: Header=BB281_362 Depth=1
	v_and_b32_e32 v54, 7, v9
	v_lshrrev_b32_e32 v55, 3, v56
	s_mov_b32 s22, exec_lo
	v_cmpx_gt_u32_e32 8, v56
; %bb.663:                              ;   in Loop: Header=BB281_362 Depth=1
	v_ffbh_u32_e32 v54, v54
	v_min_u32_e32 v56, 32, v54
	v_subrev_nc_u32_e32 v54, 28, v56
	v_lshlrev_b64 v[54:55], v54, v[2:3]
	v_sub_nc_u32_e32 v55, 29, v56
	v_and_b32_e32 v54, 7, v54
; %bb.664:                              ;   in Loop: Header=BB281_362 Depth=1
	s_or_b32 exec_lo, exec_lo, s22
	v_lshlrev_b32_e32 v56, 8, v9
	v_lshl_add_u32 v55, v55, 10, 0x2000
	v_lshlrev_b32_e32 v54, 7, v54
	v_and_b32_e32 v56, 0x8000, v56
	v_and_b32_e32 v55, 0xfc00, v55
	v_or3_b32 v54, v56, v55, v54
.LBB281_665:                            ;   in Loop: Header=BB281_362 Depth=1
	s_or_b32 exec_lo, exec_lo, s21
.LBB281_666:                            ;   in Loop: Header=BB281_362 Depth=1
	s_or_b32 exec_lo, exec_lo, s18
.LBB281_667:                            ;   in Loop: Header=BB281_362 Depth=1
	s_or_b32 exec_lo, exec_lo, s17
	v_lshrrev_b16 v2, 8, v2
	v_mov_b32_e32 v55, 0
	s_mov_b32 s17, exec_lo
	v_cmpx_ne_u16_e32 0, v2
	s_cbranch_execz .LBB281_675
; %bb.668:                              ;   in Loop: Header=BB281_362 Depth=1
	v_bfrev_b32_e32 v55, 1
	s_mov_b32 s18, exec_lo
	v_cmpx_ne_u16_e32 0x80, v2
	s_cbranch_execz .LBB281_674
; %bb.669:                              ;   in Loop: Header=BB281_362 Depth=1
	v_and_b32_sdwa v57, v2, v25 dst_sel:DWORD dst_unused:UNUSED_PAD src0_sel:WORD_0 src1_sel:DWORD
	v_mov_b32_e32 v55, 0x7c010000
	s_mov_b32 s21, exec_lo
	v_cmpx_ne_u32_e32 0x7f, v57
	s_cbranch_execz .LBB281_673
; %bb.670:                              ;   in Loop: Header=BB281_362 Depth=1
	v_and_b32_sdwa v55, v2, v26 dst_sel:DWORD dst_unused:UNUSED_PAD src0_sel:WORD_0 src1_sel:DWORD
	v_lshrrev_b32_e32 v56, 3, v57
	s_mov_b32 s22, exec_lo
	v_cmpx_gt_u32_e32 8, v57
; %bb.671:                              ;   in Loop: Header=BB281_362 Depth=1
	v_ffbh_u32_e32 v55, v55
	v_min_u32_e32 v57, 32, v55
	v_subrev_nc_u32_e32 v55, 28, v57
	v_lshlrev_b64 v[55:56], v55, v[2:3]
	v_sub_nc_u32_e32 v56, 29, v57
	v_and_b32_e32 v55, 7, v55
; %bb.672:                              ;   in Loop: Header=BB281_362 Depth=1
	s_or_b32 exec_lo, exec_lo, s22
	v_lshlrev_b32_sdwa v2, v27, v2 dst_sel:DWORD dst_unused:UNUSED_PAD src0_sel:DWORD src1_sel:WORD_0
	v_lshl_add_u32 v56, v56, 10, 0x2000
	v_lshlrev_b32_e32 v55, 23, v55
	v_and_or_b32 v2, 0x8000, v2, v56
	v_lshl_or_b32 v55, v2, 16, v55
.LBB281_673:                            ;   in Loop: Header=BB281_362 Depth=1
	s_or_b32 exec_lo, exec_lo, s21
.LBB281_674:                            ;   in Loop: Header=BB281_362 Depth=1
	s_or_b32 exec_lo, exec_lo, s18
.LBB281_675:                            ;   in Loop: Header=BB281_362 Depth=1
	s_or_b32 exec_lo, exec_lo, s17
	v_lshrrev_b32_e32 v2, 16, v9
	v_cmp_ne_u16_sdwa s0, v2, v3 src0_sel:BYTE_0 src1_sel:DWORD
	s_and_saveexec_b32 s17, s0
	s_cbranch_execz .LBB281_683
; %bb.676:                              ;   in Loop: Header=BB281_362 Depth=1
	v_cmp_ne_u16_sdwa s0, v2, v16 src0_sel:BYTE_0 src1_sel:DWORD
	v_mov_b32_e32 v53, 0x8000
	s_and_saveexec_b32 s18, s0
	s_cbranch_execz .LBB281_682
; %bb.677:                              ;   in Loop: Header=BB281_362 Depth=1
	v_bfe_u32 v57, v9, 16, 7
	v_mov_b32_e32 v53, 0x7c01
	s_mov_b32 s21, exec_lo
	v_cmpx_ne_u32_e32 0x7f, v57
	s_cbranch_execz .LBB281_681
; %bb.678:                              ;   in Loop: Header=BB281_362 Depth=1
	v_and_b32_e32 v53, 7, v2
	v_lshrrev_b32_e32 v56, 3, v57
	s_mov_b32 s22, exec_lo
	v_cmpx_gt_u32_e32 8, v57
; %bb.679:                              ;   in Loop: Header=BB281_362 Depth=1
	v_ffbh_u32_e32 v53, v53
	v_min_u32_e32 v53, 32, v53
	v_subrev_nc_u32_e32 v56, 28, v53
	v_lshlrev_b64 v[57:58], v56, v[2:3]
	v_sub_nc_u32_e32 v56, 29, v53
	v_and_b32_e32 v53, 7, v57
; %bb.680:                              ;   in Loop: Header=BB281_362 Depth=1
	s_or_b32 exec_lo, exec_lo, s22
	v_lshlrev_b32_e32 v2, 8, v2
	v_lshl_add_u32 v56, v56, 10, 0x2000
	v_lshlrev_b32_e32 v53, 7, v53
	v_and_b32_e32 v2, 0x8000, v2
	v_and_b32_e32 v56, 0xfc00, v56
	v_or3_b32 v53, v2, v56, v53
.LBB281_681:                            ;   in Loop: Header=BB281_362 Depth=1
	s_or_b32 exec_lo, exec_lo, s21
.LBB281_682:                            ;   in Loop: Header=BB281_362 Depth=1
	s_or_b32 exec_lo, exec_lo, s18
.LBB281_683:                            ;   in Loop: Header=BB281_362 Depth=1
	s_or_b32 exec_lo, exec_lo, s17
	v_cmp_lt_u64_e64 s0, s[4:5], v[8:9]
	v_mov_b32_e32 v8, 0
	s_and_saveexec_b32 s17, s0
	s_cbranch_execz .LBB281_691
; %bb.684:                              ;   in Loop: Header=BB281_362 Depth=1
	v_lshrrev_b32_e32 v2, 24, v9
	v_bfrev_b32_e32 v8, 1
	s_mov_b32 s18, exec_lo
	v_cmpx_ne_u32_e32 0x80, v2
	s_cbranch_execz .LBB281_690
; %bb.685:                              ;   in Loop: Header=BB281_362 Depth=1
	v_and_b32_e32 v56, 0x7f, v2
	v_mov_b32_e32 v8, 0x7c010000
	s_mov_b32 s21, exec_lo
	v_cmpx_ne_u32_e32 0x7f, v56
	s_cbranch_execz .LBB281_689
; %bb.686:                              ;   in Loop: Header=BB281_362 Depth=1
	v_and_b32_e32 v8, 7, v2
	v_lshrrev_b32_e32 v9, 3, v56
	s_mov_b32 s22, exec_lo
	v_cmpx_gt_u32_e32 8, v56
; %bb.687:                              ;   in Loop: Header=BB281_362 Depth=1
	v_ffbh_u32_e32 v8, v8
	v_min_u32_e32 v56, 32, v8
	v_subrev_nc_u32_e32 v8, 28, v56
	v_lshlrev_b64 v[8:9], v8, v[2:3]
	v_sub_nc_u32_e32 v9, 29, v56
	v_and_b32_e32 v8, 7, v8
; %bb.688:                              ;   in Loop: Header=BB281_362 Depth=1
	s_or_b32 exec_lo, exec_lo, s22
	v_lshlrev_b32_e32 v2, 8, v2
	v_lshl_add_u32 v9, v9, 10, 0x2000
	v_lshlrev_b32_e32 v8, 23, v8
	v_and_or_b32 v2, 0x8000, v2, v9
	v_lshl_or_b32 v8, v2, 16, v8
.LBB281_689:                            ;   in Loop: Header=BB281_362 Depth=1
	s_or_b32 exec_lo, exec_lo, s21
.LBB281_690:                            ;   in Loop: Header=BB281_362 Depth=1
	s_or_b32 exec_lo, exec_lo, s18
.LBB281_691:                            ;   in Loop: Header=BB281_362 Depth=1
	s_or_b32 exec_lo, exec_lo, s17
	v_or_b32_e32 v2, v51, v52
	s_waitcnt vmcnt(0)
	v_fma_mixlo_f16 v9, v48, v51, 0 op_sel:[0,1,0] op_sel_hi:[0,1,0]
	v_or_b32_e32 v50, v49, v50
	v_fma_mixlo_f16 v51, v48, v49, 0 op_sel:[0,1,0] op_sel_hi:[0,1,0]
	v_or_b32_e32 v52, v55, v54
	v_fma_mixlo_f16 v2, v48, v2, 0 op_sel_hi:[0,1,0]
	v_or_b32_e32 v53, v8, v53
	v_lshlrev_b32_e32 v49, 16, v9
	v_lshlrev_b32_e32 v54, 16, v51
	v_fma_mixlo_f16 v9, v48, v50, 0 op_sel_hi:[0,1,0]
	v_and_b32_e32 v51, 0xffff, v2
	v_fma_mixlo_f16 v2, v48, v55, 0 op_sel:[0,1,0] op_sel_hi:[0,1,0]
	v_fma_mixlo_f16 v50, v48, v52, 0 op_sel_hi:[0,1,0]
	v_fma_mixlo_f16 v8, v48, v8, 0 op_sel:[0,1,0] op_sel_hi:[0,1,0]
	v_fma_mixlo_f16 v48, v48, v53, 0 op_sel_hi:[0,1,0]
	v_and_b32_e32 v56, 0xffff, v9
	v_lshlrev_b32_e32 v52, 16, v2
	v_and_b32_e32 v55, 0xffff, v50
	v_lshlrev_b32_e32 v50, 16, v8
	v_and_b32_e32 v53, 0xffff, v48
	v_or_b32_e32 v9, v49, v51
	v_or_b32_e32 v48, v54, v56
	;; [unrolled: 1-line block ×4, first 2 shown]
	s_and_saveexec_b32 s0, vcc_lo
	s_cbranch_execz .LBB281_360
; %bb.692:                              ;   in Loop: Header=BB281_362 Depth=1
	v_cmp_gt_i32_e32 vcc_lo, s31, v30
	v_cndmask_b32_e32 v2, 0, v56, vcc_lo
	v_cmp_gt_i32_e32 vcc_lo, s31, v37
	v_cndmask_b32_e32 v8, 0, v54, vcc_lo
	v_cmp_gt_i32_e32 vcc_lo, s31, v36
	v_or_b32_e32 v48, v8, v2
	v_cndmask_b32_e32 v9, 0, v51, vcc_lo
	v_cmp_gt_i32_e32 vcc_lo, s31, v35
	v_cndmask_b32_e32 v30, 0, v49, vcc_lo
	v_cmp_gt_i32_e32 vcc_lo, s31, v34
	v_or_b32_e32 v9, v30, v9
	;; [unrolled: 5-line block ×3, first 2 shown]
	v_cndmask_b32_e32 v32, 0, v53, vcc_lo
	v_cmp_gt_i32_e32 vcc_lo, s31, v31
	v_cndmask_b32_e32 v31, 0, v50, vcc_lo
	v_or_b32_e32 v2, v31, v32
	s_branch .LBB281_360
.LBB281_693:
	s_or_b32 exec_lo, exec_lo, s12
.LBB281_694:
	s_or_b32 exec_lo, exec_lo, s1
	ds_bpermute_b32 v1, v18, v24
	ds_bpermute_b32 v2, v18, v22
	;; [unrolled: 1-line block ×5, first 2 shown]
	v_lshrrev_b32_e32 v6, 1, v17
	v_mul_u32_u24_e32 v8, 0x140, v14
	v_and_b32_e32 v11, 0x3c1, v0
	s_mov_b32 s0, exec_lo
	s_waitcnt lgkmcnt(0)
	s_waitcnt_vscnt null, 0x0
	v_lshl_add_u32 v7, v6, 2, 0xc0
	s_barrier
	buffer_gl0_inv
	v_add_f32_e32 v5, v24, v1
	v_add_f32_e32 v4, v22, v2
	;; [unrolled: 1-line block ×5, first 2 shown]
	v_cmpx_eq_u32_e32 64, v11
	s_cbranch_execz .LBB281_696
; %bb.695:
	v_add_nc_u32_e32 v9, v7, v8
	v_add_nc_u32_e32 v10, 0xfffffd80, v9
	;; [unrolled: 1-line block ×6, first 2 shown]
	ds_write_b32 v10, v5
	ds_write_b32 v11, v4
	;; [unrolled: 1-line block ×5, first 2 shown]
.LBB281_696:
	s_or_b32 exec_lo, exec_lo, s0
	v_lshlrev_b32_e32 v6, 2, v6
	s_mov_b32 s1, exec_lo
	v_cmp_eq_u32_e32 vcc_lo, 0, v13
	s_waitcnt lgkmcnt(0)
	s_barrier
	v_add3_u32 v6, 0xc0, v8, v6
	buffer_gl0_inv
	v_cmpx_gt_u32_e32 64, v0
	s_cbranch_execz .LBB281_704
; %bb.697:
	s_and_saveexec_b32 s0, vcc_lo
	s_cbranch_execnz .LBB281_717
; %bb.698:
	s_or_b32 exec_lo, exec_lo, s0
	s_and_saveexec_b32 s0, vcc_lo
	s_cbranch_execnz .LBB281_718
.LBB281_699:
	s_or_b32 exec_lo, exec_lo, s0
	s_and_saveexec_b32 s0, vcc_lo
	s_cbranch_execnz .LBB281_719
.LBB281_700:
	s_or_b32 exec_lo, exec_lo, s0
	s_and_saveexec_b32 s0, vcc_lo
	s_cbranch_execnz .LBB281_720
.LBB281_701:
	s_or_b32 exec_lo, exec_lo, s0
	s_and_saveexec_b32 s0, vcc_lo
	s_cbranch_execz .LBB281_703
.LBB281_702:
	ds_read_b32 v8, v6 offset:256
	s_waitcnt lgkmcnt(0)
	v_add_f32_e32 v1, v1, v8
.LBB281_703:
	s_or_b32 exec_lo, exec_lo, s0
.LBB281_704:
	s_or_b32 exec_lo, exec_lo, s1
	v_and_b32_e32 v8, 0x3e1, v0
	s_mov_b32 s1, exec_lo
	s_barrier
	buffer_gl0_inv
	v_cmpx_eq_u32_e32 32, v8
	s_cbranch_execz .LBB281_706
; %bb.705:
	ds_write2_b32 v7, v5, v4 offset1:16
	ds_write2_b32 v7, v3, v2 offset0:32 offset1:48
	ds_write_b32 v7, v1 offset:256
.LBB281_706:
	s_or_b32 exec_lo, exec_lo, s1
	s_mov_b32 s1, exec_lo
	s_waitcnt lgkmcnt(0)
	s_barrier
	buffer_gl0_inv
	v_cmpx_gt_u32_e32 32, v0
	s_cbranch_execz .LBB281_714
; %bb.707:
	s_and_saveexec_b32 s0, vcc_lo
	s_cbranch_execnz .LBB281_721
; %bb.708:
	s_or_b32 exec_lo, exec_lo, s0
	s_and_saveexec_b32 s0, vcc_lo
	s_cbranch_execnz .LBB281_722
.LBB281_709:
	s_or_b32 exec_lo, exec_lo, s0
	s_and_saveexec_b32 s0, vcc_lo
	s_cbranch_execnz .LBB281_723
.LBB281_710:
	s_or_b32 exec_lo, exec_lo, s0
	s_and_saveexec_b32 s0, vcc_lo
	s_cbranch_execnz .LBB281_724
.LBB281_711:
	s_or_b32 exec_lo, exec_lo, s0
	s_and_saveexec_b32 s0, vcc_lo
	s_cbranch_execz .LBB281_713
.LBB281_712:
	ds_read_b32 v0, v6 offset:256
	s_waitcnt lgkmcnt(0)
	v_add_f32_e32 v1, v1, v0
.LBB281_713:
	s_or_b32 exec_lo, exec_lo, s0
.LBB281_714:
	s_or_b32 exec_lo, exec_lo, s1
	s_barrier
	buffer_gl0_inv
	s_mov_b32 s0, exec_lo
	v_cmpx_eq_u32_e32 0, v8
	s_cbranch_execz .LBB281_716
; %bb.715:
	s_mul_i32 s0, s2, 0x50
	s_mul_i32 s2, s7, s10
	s_ashr_i32 s1, s0, 31
	v_lshlrev_b32_e32 v0, 1, v12
	s_lshl_b64 s[0:1], s[0:1], 1
	;;#ASMSTART
	v_cvt_f16_f32 v5, v5;

	;;#ASMEND
	s_add_u32 s4, s28, s0
	s_addc_u32 s5, s29, s1
	s_ashr_i32 s3, s2, 31
	s_lshl_b64 s[0:1], s[2:3], 1
	s_mul_i32 s2, s8, 0x50
	s_add_u32 s4, s4, s0
	s_addc_u32 s5, s5, s1
	s_ashr_i32 s3, s2, 31
	s_lshl_b64 s[0:1], s[2:3], 1
	s_add_u32 s0, s4, s0
	s_addc_u32 s1, s5, s1
	global_store_short v0, v5, s[0:1]
	;;#ASMSTART
	v_cvt_f16_f32 v4, v4;

	;;#ASMEND
	global_store_short v0, v4, s[0:1] offset:32
	;;#ASMSTART
	v_cvt_f16_f32 v3, v3;

	;;#ASMEND
	global_store_short v0, v3, s[0:1] offset:64
	;; [unrolled: 5-line block ×4, first 2 shown]
.LBB281_716:
	s_endpgm
.LBB281_717:
	ds_read_b32 v8, v6
	s_waitcnt lgkmcnt(0)
	v_add_f32_e32 v5, v5, v8
	s_or_b32 exec_lo, exec_lo, s0
	s_and_saveexec_b32 s0, vcc_lo
	s_cbranch_execz .LBB281_699
.LBB281_718:
	ds_read_b32 v8, v6 offset:64
	s_waitcnt lgkmcnt(0)
	v_add_f32_e32 v4, v4, v8
	s_or_b32 exec_lo, exec_lo, s0
	s_and_saveexec_b32 s0, vcc_lo
	s_cbranch_execz .LBB281_700
.LBB281_719:
	ds_read_b32 v8, v6 offset:128
	s_waitcnt lgkmcnt(0)
	v_add_f32_e32 v3, v3, v8
	s_or_b32 exec_lo, exec_lo, s0
	s_and_saveexec_b32 s0, vcc_lo
	s_cbranch_execz .LBB281_701
.LBB281_720:
	ds_read_b32 v8, v6 offset:192
	s_waitcnt lgkmcnt(0)
	v_add_f32_e32 v2, v2, v8
	s_or_b32 exec_lo, exec_lo, s0
	s_and_saveexec_b32 s0, vcc_lo
	s_cbranch_execnz .LBB281_702
	s_branch .LBB281_703
.LBB281_721:
	ds_read_b32 v0, v6
	s_waitcnt lgkmcnt(0)
	v_add_f32_e32 v5, v5, v0
	s_or_b32 exec_lo, exec_lo, s0
	s_and_saveexec_b32 s0, vcc_lo
	s_cbranch_execz .LBB281_709
.LBB281_722:
	ds_read_b32 v0, v6 offset:64
	s_waitcnt lgkmcnt(0)
	v_add_f32_e32 v4, v4, v0
	s_or_b32 exec_lo, exec_lo, s0
	s_and_saveexec_b32 s0, vcc_lo
	s_cbranch_execz .LBB281_710
.LBB281_723:
	ds_read_b32 v0, v6 offset:128
	s_waitcnt lgkmcnt(0)
	v_add_f32_e32 v3, v3, v0
	s_or_b32 exec_lo, exec_lo, s0
	s_and_saveexec_b32 s0, vcc_lo
	s_cbranch_execz .LBB281_711
.LBB281_724:
	ds_read_b32 v0, v6 offset:192
	s_waitcnt lgkmcnt(0)
	v_add_f32_e32 v2, v2, v0
	s_or_b32 exec_lo, exec_lo, s0
	s_and_saveexec_b32 s0, vcc_lo
	s_cbranch_execnz .LBB281_712
	s_branch .LBB281_713
	.section	.rodata,"a",@progbits
	.p2align	6, 0x0
	.amdhsa_kernel _ZN4vllm25paged_attention_v2_kernelIthLi80ELi16ELi128ELNS_18Fp8KVCacheDataTypeE1ELb1ELi512EEEvPfS2_PT_PKS3_PKT0_S9_ifPKiSB_iPKfiiiSD_SD_iiiii
		.amdhsa_group_segment_fixed_size 192
		.amdhsa_private_segment_fixed_size 0
		.amdhsa_kernarg_size 400
		.amdhsa_user_sgpr_count 6
		.amdhsa_user_sgpr_private_segment_buffer 1
		.amdhsa_user_sgpr_dispatch_ptr 0
		.amdhsa_user_sgpr_queue_ptr 0
		.amdhsa_user_sgpr_kernarg_segment_ptr 1
		.amdhsa_user_sgpr_dispatch_id 0
		.amdhsa_user_sgpr_flat_scratch_init 0
		.amdhsa_user_sgpr_private_segment_size 0
		.amdhsa_wavefront_size32 1
		.amdhsa_uses_dynamic_stack 0
		.amdhsa_system_sgpr_private_segment_wavefront_offset 0
		.amdhsa_system_sgpr_workgroup_id_x 1
		.amdhsa_system_sgpr_workgroup_id_y 1
		.amdhsa_system_sgpr_workgroup_id_z 1
		.amdhsa_system_sgpr_workgroup_info 0
		.amdhsa_system_vgpr_workitem_id 0
		.amdhsa_next_free_vgpr 102
		.amdhsa_next_free_sgpr 52
		.amdhsa_reserve_vcc 1
		.amdhsa_reserve_flat_scratch 0
		.amdhsa_float_round_mode_32 0
		.amdhsa_float_round_mode_16_64 0
		.amdhsa_float_denorm_mode_32 3
		.amdhsa_float_denorm_mode_16_64 3
		.amdhsa_dx10_clamp 1
		.amdhsa_ieee_mode 1
		.amdhsa_fp16_overflow 0
		.amdhsa_workgroup_processor_mode 1
		.amdhsa_memory_ordered 1
		.amdhsa_forward_progress 1
		.amdhsa_shared_vgpr_count 0
		.amdhsa_exception_fp_ieee_invalid_op 0
		.amdhsa_exception_fp_denorm_src 0
		.amdhsa_exception_fp_ieee_div_zero 0
		.amdhsa_exception_fp_ieee_overflow 0
		.amdhsa_exception_fp_ieee_underflow 0
		.amdhsa_exception_fp_ieee_inexact 0
		.amdhsa_exception_int_div_zero 0
	.end_amdhsa_kernel
	.section	.text._ZN4vllm25paged_attention_v2_kernelIthLi80ELi16ELi128ELNS_18Fp8KVCacheDataTypeE1ELb1ELi512EEEvPfS2_PT_PKS3_PKT0_S9_ifPKiSB_iPKfiiiSD_SD_iiiii,"axG",@progbits,_ZN4vllm25paged_attention_v2_kernelIthLi80ELi16ELi128ELNS_18Fp8KVCacheDataTypeE1ELb1ELi512EEEvPfS2_PT_PKS3_PKT0_S9_ifPKiSB_iPKfiiiSD_SD_iiiii,comdat
.Lfunc_end281:
	.size	_ZN4vllm25paged_attention_v2_kernelIthLi80ELi16ELi128ELNS_18Fp8KVCacheDataTypeE1ELb1ELi512EEEvPfS2_PT_PKS3_PKT0_S9_ifPKiSB_iPKfiiiSD_SD_iiiii, .Lfunc_end281-_ZN4vllm25paged_attention_v2_kernelIthLi80ELi16ELi128ELNS_18Fp8KVCacheDataTypeE1ELb1ELi512EEEvPfS2_PT_PKS3_PKT0_S9_ifPKiSB_iPKfiiiSD_SD_iiiii
                                        ; -- End function
	.set _ZN4vllm25paged_attention_v2_kernelIthLi80ELi16ELi128ELNS_18Fp8KVCacheDataTypeE1ELb1ELi512EEEvPfS2_PT_PKS3_PKT0_S9_ifPKiSB_iPKfiiiSD_SD_iiiii.num_vgpr, 102
	.set _ZN4vllm25paged_attention_v2_kernelIthLi80ELi16ELi128ELNS_18Fp8KVCacheDataTypeE1ELb1ELi512EEEvPfS2_PT_PKS3_PKT0_S9_ifPKiSB_iPKfiiiSD_SD_iiiii.num_agpr, 0
	.set _ZN4vllm25paged_attention_v2_kernelIthLi80ELi16ELi128ELNS_18Fp8KVCacheDataTypeE1ELb1ELi512EEEvPfS2_PT_PKS3_PKT0_S9_ifPKiSB_iPKfiiiSD_SD_iiiii.numbered_sgpr, 52
	.set _ZN4vllm25paged_attention_v2_kernelIthLi80ELi16ELi128ELNS_18Fp8KVCacheDataTypeE1ELb1ELi512EEEvPfS2_PT_PKS3_PKT0_S9_ifPKiSB_iPKfiiiSD_SD_iiiii.num_named_barrier, 0
	.set _ZN4vllm25paged_attention_v2_kernelIthLi80ELi16ELi128ELNS_18Fp8KVCacheDataTypeE1ELb1ELi512EEEvPfS2_PT_PKS3_PKT0_S9_ifPKiSB_iPKfiiiSD_SD_iiiii.private_seg_size, 0
	.set _ZN4vllm25paged_attention_v2_kernelIthLi80ELi16ELi128ELNS_18Fp8KVCacheDataTypeE1ELb1ELi512EEEvPfS2_PT_PKS3_PKT0_S9_ifPKiSB_iPKfiiiSD_SD_iiiii.uses_vcc, 1
	.set _ZN4vllm25paged_attention_v2_kernelIthLi80ELi16ELi128ELNS_18Fp8KVCacheDataTypeE1ELb1ELi512EEEvPfS2_PT_PKS3_PKT0_S9_ifPKiSB_iPKfiiiSD_SD_iiiii.uses_flat_scratch, 0
	.set _ZN4vllm25paged_attention_v2_kernelIthLi80ELi16ELi128ELNS_18Fp8KVCacheDataTypeE1ELb1ELi512EEEvPfS2_PT_PKS3_PKT0_S9_ifPKiSB_iPKfiiiSD_SD_iiiii.has_dyn_sized_stack, 0
	.set _ZN4vllm25paged_attention_v2_kernelIthLi80ELi16ELi128ELNS_18Fp8KVCacheDataTypeE1ELb1ELi512EEEvPfS2_PT_PKS3_PKT0_S9_ifPKiSB_iPKfiiiSD_SD_iiiii.has_recursion, 0
	.set _ZN4vllm25paged_attention_v2_kernelIthLi80ELi16ELi128ELNS_18Fp8KVCacheDataTypeE1ELb1ELi512EEEvPfS2_PT_PKS3_PKT0_S9_ifPKiSB_iPKfiiiSD_SD_iiiii.has_indirect_call, 0
	.section	.AMDGPU.csdata,"",@progbits
; Kernel info:
; codeLenInByte = 24356
; TotalNumSgprs: 54
; NumVgprs: 102
; ScratchSize: 0
; MemoryBound: 0
; FloatMode: 240
; IeeeMode: 1
; LDSByteSize: 192 bytes/workgroup (compile time only)
; SGPRBlocks: 0
; VGPRBlocks: 12
; NumSGPRsForWavesPerEU: 54
; NumVGPRsForWavesPerEU: 102
; Occupancy: 9
; WaveLimiterHint : 1
; COMPUTE_PGM_RSRC2:SCRATCH_EN: 0
; COMPUTE_PGM_RSRC2:USER_SGPR: 6
; COMPUTE_PGM_RSRC2:TRAP_HANDLER: 0
; COMPUTE_PGM_RSRC2:TGID_X_EN: 1
; COMPUTE_PGM_RSRC2:TGID_Y_EN: 1
; COMPUTE_PGM_RSRC2:TGID_Z_EN: 1
; COMPUTE_PGM_RSRC2:TIDIG_COMP_CNT: 0
	.section	.text._ZN4vllm25paged_attention_v2_kernelIthLi96ELi16ELi128ELNS_18Fp8KVCacheDataTypeE1ELb1ELi512EEEvPfS2_PT_PKS3_PKT0_S9_ifPKiSB_iPKfiiiSD_SD_iiiii,"axG",@progbits,_ZN4vllm25paged_attention_v2_kernelIthLi96ELi16ELi128ELNS_18Fp8KVCacheDataTypeE1ELb1ELi512EEEvPfS2_PT_PKS3_PKT0_S9_ifPKiSB_iPKfiiiSD_SD_iiiii,comdat
	.protected	_ZN4vllm25paged_attention_v2_kernelIthLi96ELi16ELi128ELNS_18Fp8KVCacheDataTypeE1ELb1ELi512EEEvPfS2_PT_PKS3_PKT0_S9_ifPKiSB_iPKfiiiSD_SD_iiiii ; -- Begin function _ZN4vllm25paged_attention_v2_kernelIthLi96ELi16ELi128ELNS_18Fp8KVCacheDataTypeE1ELb1ELi512EEEvPfS2_PT_PKS3_PKT0_S9_ifPKiSB_iPKfiiiSD_SD_iiiii
	.globl	_ZN4vllm25paged_attention_v2_kernelIthLi96ELi16ELi128ELNS_18Fp8KVCacheDataTypeE1ELb1ELi512EEEvPfS2_PT_PKS3_PKT0_S9_ifPKiSB_iPKfiiiSD_SD_iiiii
	.p2align	8
	.type	_ZN4vllm25paged_attention_v2_kernelIthLi96ELi16ELi128ELNS_18Fp8KVCacheDataTypeE1ELb1ELi512EEEvPfS2_PT_PKS3_PKT0_S9_ifPKiSB_iPKfiiiSD_SD_iiiii,@function
_ZN4vllm25paged_attention_v2_kernelIthLi96ELi16ELi128ELNS_18Fp8KVCacheDataTypeE1ELb1ELi512EEEvPfS2_PT_PKS3_PKT0_S9_ifPKiSB_iPKfiiiSD_SD_iiiii: ; @_ZN4vllm25paged_attention_v2_kernelIthLi96ELi16ELi128ELNS_18Fp8KVCacheDataTypeE1ELb1ELi512EEEvPfS2_PT_PKS3_PKT0_S9_ifPKiSB_iPKfiiiSD_SD_iiiii
; %bb.0:
	s_load_dwordx2 s[0:1], s[4:5], 0x40
	s_mov_b32 s30, s7
	s_ashr_i32 s31, s7, 31
	s_lshl_b64 s[2:3], s[30:31], 2
	s_waitcnt lgkmcnt(0)
	s_add_u32 s0, s0, s2
	s_addc_u32 s1, s1, s3
	s_lshl_b32 s42, s8, 9
	s_load_dword s31, s[0:1], 0x0
	s_waitcnt lgkmcnt(0)
	s_cmp_ge_i32 s42, s31
	s_cbranch_scc1 .LBB282_848
; %bb.1:
	s_clause 0x1
	s_load_dword s9, s[4:5], 0x90
	s_load_dwordx2 s[40:41], s[4:5], 0x30
	s_mov_b32 s43, 0
	s_waitcnt lgkmcnt(0)
	s_abs_i32 s3, s9
	s_abs_i32 s0, s40
	v_cvt_f32_u32_e32 v1, s0
	s_sub_i32 s2, 0, s0
	v_rcp_iflag_f32_e32 v1, v1
	v_mul_f32_e32 v1, 0x4f7ffffe, v1
	v_cvt_u32_f32_e32 v1, v1
	v_readfirstlane_b32 s1, v1
	s_mul_i32 s2, s2, s1
	s_mul_hi_u32 s2, s1, s2
	s_add_i32 s1, s1, s2
	s_xor_b32 s2, s9, s40
	s_mul_hi_u32 s1, s3, s1
	s_ashr_i32 s2, s2, 31
	s_mul_i32 s7, s1, s0
	s_sub_i32 s3, s3, s7
	s_add_i32 s7, s1, 1
	s_sub_i32 s10, s3, s0
	s_cmp_ge_u32 s3, s0
	s_cselect_b32 s1, s7, s1
	s_cselect_b32 s3, s10, s3
	s_add_i32 s7, s1, 1
	s_cmp_ge_u32 s3, s0
	s_cselect_b32 s0, s7, s1
	s_xor_b32 s0, s0, s2
	s_sub_i32 s10, s0, s2
	s_load_dwordx2 s[0:1], s[4:5], 0x50
	s_abs_i32 s2, s10
	v_cvt_f32_u32_e32 v1, s2
	s_sub_i32 s3, 0, s2
	v_rcp_iflag_f32_e32 v1, v1
	v_mul_f32_e32 v1, 0x4f7ffffe, v1
	v_cvt_u32_f32_e32 v1, v1
	v_readfirstlane_b32 s7, v1
	s_mul_i32 s3, s3, s7
	s_mul_hi_u32 s11, s7, s3
	s_abs_i32 s3, s6
	s_add_i32 s7, s7, s11
	s_waitcnt lgkmcnt(0)
	s_cmp_eq_u64 s[0:1], 0
	s_mul_hi_u32 s12, s3, s7
	s_cbranch_scc1 .LBB282_3
; %bb.2:
	s_ashr_i32 s7, s6, 31
	s_lshl_b64 s[14:15], s[6:7], 2
	s_add_u32 s0, s0, s14
	s_addc_u32 s1, s1, s15
	s_load_dword s43, s[0:1], 0x0
.LBB282_3:
	s_load_dwordx4 s[16:19], s[4:5], 0x58
	v_lshrrev_b32_e32 v12, 1, v0
	v_and_b32_e32 v13, 1, v0
	v_lshlrev_b32_e32 v16, 3, v0
	s_ashr_i32 s0, s6, 31
	s_ashr_i32 s1, s10, 31
	s_mul_i32 s10, s6, 0x60
	s_mov_b32 s7, exec_lo
	v_cmpx_gt_u32_e32 24, v0
	s_cbranch_execz .LBB282_5
; %bb.4:
	s_load_dwordx2 s[14:15], s[4:5], 0x18
	s_waitcnt lgkmcnt(0)
	s_mul_i32 s20, s16, s30
	v_lshlrev_b32_e32 v3, 3, v12
	s_ashr_i32 s21, s20, 31
	s_lshl_b64 s[20:21], s[20:21], 1
	v_mad_u32_u24 v3, 0x60, v13, v3
	s_add_u32 s13, s14, s20
	s_addc_u32 s16, s15, s21
	s_ashr_i32 s11, s10, 31
	s_lshl_b64 s[14:15], s[10:11], 1
	s_add_u32 s14, s13, s14
	s_addc_u32 s15, s16, s15
	global_load_dwordx2 v[1:2], v16, s[14:15]
	s_waitcnt vmcnt(0)
	ds_write_b64 v3, v[1:2]
.LBB282_5:
	s_or_b32 exec_lo, exec_lo, s7
	s_load_dwordx4 s[20:23], s[4:5], 0x78
	s_mul_i32 s7, s12, s2
	s_xor_b32 s0, s0, s1
	s_sub_i32 s1, s3, s7
	s_add_i32 s3, s12, 1
	s_sub_i32 s7, s1, s2
	s_cmp_ge_u32 s1, s2
                                        ; implicit-def: $sgpr19
	s_cselect_b32 s3, s3, s12
	s_cselect_b32 s1, s7, s1
	s_add_i32 s7, s3, 1
	s_cmp_ge_u32 s1, s2
	s_mov_b32 s12, -1
	s_cselect_b32 s1, s7, s3
	s_load_dword s3, s[4:5], 0x88
	s_xor_b32 s1, s1, s0
	s_add_i32 s7, s31, -1
	s_sub_i32 s1, s1, s0
	s_abs_i32 s2, s7
	s_waitcnt lgkmcnt(0)
	s_abs_i32 s11, s23
	s_barrier
	v_cvt_f32_u32_e32 v1, s11
	s_sub_i32 s0, 0, s11
	buffer_gl0_inv
	v_rcp_iflag_f32_e32 v1, v1
	v_mul_f32_e32 v1, 0x4f7ffffe, v1
	v_cvt_u32_f32_e32 v1, v1
	v_readfirstlane_b32 s16, v1
	s_mul_i32 s0, s0, s16
	s_mul_hi_u32 s0, s16, s0
	s_add_i32 s16, s16, s0
	s_cmp_lt_i32 s3, 0
	s_mul_hi_u32 s0, s2, s16
	s_cbranch_scc0 .LBB282_7
; %bb.6:
	s_mul_i32 s12, s20, s40
	s_add_i32 s12, s1, s12
	s_mul_i32 s12, s12, s3
	s_sub_i32 s19, 1, s12
	s_mov_b32 s12, 0
.LBB282_7:
	s_load_dwordx2 s[34:35], s[4:5], 0x38
	s_ashr_i32 s33, s7, 31
	s_andn2_b32 vcc_lo, exec_lo, s12
	s_ashr_i32 s23, s23, 31
	s_cbranch_vccnz .LBB282_9
; %bb.8:
	s_mul_i32 s7, s9, s20
	s_add_i32 s7, s7, s6
	s_mul_i32 s3, s7, s3
	s_add_i32 s19, s3, 1
.LBB282_9:
	s_clause 0x5
	s_load_dword s3, s[4:5], 0x48
	s_load_dwordx2 s[38:39], s[4:5], 0x28
	s_load_dwordx4 s[24:27], s[4:5], 0x0
	s_load_dwordx2 s[28:29], s[4:5], 0x10
	s_load_dword s7, s[4:5], 0x98
	s_load_dwordx4 s[12:15], s[4:5], 0x68
	s_mul_i32 s20, s0, s11
	s_xor_b32 s40, s33, s23
	s_sub_i32 s2, s2, s20
	s_add_i32 s33, s0, 1
	v_lshrrev_b32_e32 v14, 5, v0
	v_mov_b32_e32 v17, 0xff7fffff
	v_mbcnt_lo_u32_b32 v18, -1, 0
	s_mul_i32 s18, s1, s18
	v_lshl_add_u32 v15, v14, 4, s42
	s_waitcnt lgkmcnt(0)
	s_mul_i32 s36, s3, s30
	s_sub_i32 s3, s2, s11
	s_ashr_i32 s37, s36, 31
	s_cmp_ge_u32 s2, s11
	s_cselect_b32 s0, s33, s0
	s_cselect_b32 s2, s3, s2
	s_add_i32 s3, s0, 1
	s_cmp_ge_u32 s2, s11
	s_cselect_b32 s0, s3, s0
	s_add_i32 s2, s31, 15
	s_lshl_b32 s44, s8, 5
	s_ashr_i32 s3, s2, 31
	v_or_b32_e32 v1, s44, v14
	s_lshr_b32 s3, s3, 28
	s_add_i32 s2, s2, s3
	s_add_i32 s3, s44, 32
	s_ashr_i32 s33, s2, 4
	s_xor_b32 s2, s0, s40
	s_min_i32 s20, s3, s33
	v_ashrrev_i32_e32 v2, 31, v1
	v_cmp_gt_i32_e64 s0, s20, v1
	s_sub_i32 s40, s2, s40
	s_and_saveexec_b32 s45, s0
	s_cbranch_execz .LBB282_405
; %bb.10:
	s_load_dwordx2 s[2:3], s[4:5], 0x20
	s_sub_i32 s4, s40, s21
	s_ashr_i32 s1, s18, 31
	v_bfe_u32 v19, v0, 1, 4
	v_lshlrev_b64 v[5:6], 2, v[1:2]
	v_lshlrev_b32_e32 v7, 2, v13
	v_mov_b32_e32 v4, 0
	v_mul_u32_u24_e32 v20, 0x60, v13
	v_lshlrev_b32_e32 v8, 2, v19
	v_subrev_nc_u32_e32 v9, s31, v19
	v_lshlrev_b32_e32 v10, 4, v19
	v_lshl_add_u32 v21, v14, 4, s42
	v_mov_b32_e32 v22, 0xff7fffff
	v_lshl_or_b32 v8, v14, 6, v8
	v_add_nc_u32_e32 v27, 1, v9
	v_mov_b32_e32 v23, 0x80
	v_mov_b32_e32 v24, 0x7f
	v_mov_b32_e32 v25, 7
	v_add_nc_u32_e32 v28, 0xe0, v8
	v_mov_b32_e32 v26, 8
	s_waitcnt lgkmcnt(0)
	s_add_u32 s46, s2, s18
	s_addc_u32 s47, s3, s1
	s_abs_i32 s5, s22
	v_add_co_u32 v9, s46, s46, v10
	v_cvt_f32_u32_e32 v3, s5
	s_sub_i32 s2, 0, s5
	v_add_co_ci_u32_e64 v10, null, s47, 0, s46
	v_cmp_neq_f32_e64 s1, s43, 0
	v_rcp_iflag_f32_e32 v3, v3
	v_mov_b32_e32 v17, 0xff7fffff
	v_mov_b32_e32 v30, v1
	s_mov_b32 s46, 0
	s_mov_b32 s47, s17
	v_cmp_eq_u32_e32 vcc_lo, 0, v13
	v_mul_f32_e32 v3, 0x4f7ffffe, v3
	v_cvt_u32_f32_e32 v3, v3
	v_mul_lo_u32 v8, s2, v3
	s_lshl_b64 s[2:3], s[36:37], 2
	s_add_u32 s2, s34, s2
	s_addc_u32 s3, s35, s3
	v_add_co_u32 v5, s2, s2, v5
	v_add_co_ci_u32_e64 v6, null, s3, v6, s2
	v_mul_hi_u32 v11, v3, v8
	v_add_co_u32 v7, s2, v9, v7
	v_add_co_ci_u32_e64 v8, null, 0, v10, s2
	v_add_nc_u32_e32 v29, v3, v11
	s_branch .LBB282_13
.LBB282_11:                             ;   in Loop: Header=BB282_13 Depth=1
	s_or_b32 exec_lo, exec_lo, s48
.LBB282_12:                             ;   in Loop: Header=BB282_13 Depth=1
	s_or_b32 exec_lo, exec_lo, s3
	v_add_nc_u32_e32 v30, 4, v30
	v_add_co_u32 v5, s3, v5, 16
	v_add_co_ci_u32_e64 v6, null, 0, v6, s3
	v_cmp_le_i32_e64 s2, s20, v30
	v_add_nc_u32_e32 v21, 64, v21
	v_add_nc_u32_e32 v28, 0x100, v28
	s_or_b32 s46, s2, s46
	s_andn2_b32 exec_lo, exec_lo, s46
	s_cbranch_execz .LBB282_404
.LBB282_13:                             ; =>This Inner Loop Header: Depth=1
	v_sub_nc_u32_e32 v3, 0, v21
	v_max_i32_e32 v3, v21, v3
	s_waitcnt lgkmcnt(0)
	v_mul_hi_u32 v9, v3, s16
	v_mul_lo_u32 v10, v9, s11
	v_sub_nc_u32_e32 v3, v3, v10
	v_add_nc_u32_e32 v10, 1, v9
	v_subrev_nc_u32_e32 v11, s11, v3
	v_cmp_le_u32_e64 s2, s11, v3
	v_cndmask_b32_e64 v9, v9, v10, s2
	v_cndmask_b32_e64 v3, v3, v11, s2
	v_ashrrev_i32_e32 v10, 31, v21
	v_add_nc_u32_e32 v11, 1, v9
	v_cmp_le_u32_e64 s2, s11, v3
	v_xor_b32_e32 v10, s23, v10
	v_cndmask_b32_e64 v3, v9, v11, s2
	v_xor_b32_e32 v3, v3, v10
	v_sub_nc_u32_e32 v3, v3, v10
	v_add_nc_u32_e32 v9, s19, v3
	v_cmp_ge_i32_e64 s3, s4, v3
	v_sub_nc_u32_e32 v10, 0, v9
	v_max_i32_e32 v10, v9, v10
	v_ashrrev_i32_e32 v9, 31, v9
	v_mul_hi_u32 v11, v10, v29
	v_mul_lo_u32 v11, v11, s5
	v_sub_nc_u32_e32 v10, v10, v11
	v_subrev_nc_u32_e32 v11, s5, v10
	v_cmp_le_u32_e64 s2, s5, v10
	v_cndmask_b32_e64 v10, v10, v11, s2
	v_subrev_nc_u32_e32 v11, s5, v10
	v_cmp_le_u32_e64 s2, s5, v10
	v_cndmask_b32_e64 v10, v10, v11, s2
	v_xor_b32_e32 v10, v10, v9
	v_sub_nc_u32_e32 v9, v10, v9
	v_cmp_ne_u32_e64 s2, 0, v9
	s_and_b32 s2, s2, s3
	s_and_saveexec_b32 s3, s2
	s_xor_b32 s2, exec_lo, s3
	s_cbranch_execz .LBB282_17
; %bb.14:                               ;   in Loop: Header=BB282_13 Depth=1
	s_and_saveexec_b32 s3, vcc_lo
; %bb.15:                               ;   in Loop: Header=BB282_13 Depth=1
	ds_write_b32 v28, v22
; %bb.16:                               ;   in Loop: Header=BB282_13 Depth=1
	s_or_b32 exec_lo, exec_lo, s3
.LBB282_17:                             ;   in Loop: Header=BB282_13 Depth=1
	s_andn2_saveexec_b32 s3, s2
	s_cbranch_execz .LBB282_12
; %bb.18:                               ;   in Loop: Header=BB282_13 Depth=1
	global_load_dword v3, v[5:6], off
	v_mov_b32_e32 v32, 0
	v_mov_b32_e32 v33, 0
	global_load_dword v31, v32, s[12:13]
	s_waitcnt vmcnt(1)
	v_mad_i64_i32 v[9:10], null, v3, s47, v[7:8]
	global_load_dword v11, v[9:10], off
	s_waitcnt vmcnt(0)
	v_cmp_ne_u16_sdwa s2, v11, v4 src0_sel:BYTE_0 src1_sel:DWORD
	s_and_saveexec_b32 s48, s2
	s_cbranch_execz .LBB282_26
; %bb.19:                               ;   in Loop: Header=BB282_13 Depth=1
	v_cmp_ne_u16_sdwa s2, v11, v23 src0_sel:BYTE_0 src1_sel:DWORD
	v_mov_b32_e32 v33, 0x8000
	s_and_saveexec_b32 s49, s2
	s_cbranch_execz .LBB282_25
; %bb.20:                               ;   in Loop: Header=BB282_13 Depth=1
	v_and_b32_e32 v34, 0x7f, v11
	v_mov_b32_e32 v33, 0x7c01
	s_mov_b32 s50, exec_lo
	v_cmpx_ne_u32_e32 0x7f, v34
	s_cbranch_execz .LBB282_24
; %bb.21:                               ;   in Loop: Header=BB282_13 Depth=1
	v_and_b32_e32 v3, 7, v11
	v_lshrrev_b32_e32 v33, 3, v34
	s_mov_b32 s51, exec_lo
	v_cmpx_gt_u32_e32 8, v34
; %bb.22:                               ;   in Loop: Header=BB282_13 Depth=1
	v_ffbh_u32_e32 v3, v3
	v_min_u32_e32 v3, 32, v3
	v_subrev_nc_u32_e32 v33, 28, v3
	v_lshlrev_b64 v[34:35], v33, v[11:12]
	v_sub_nc_u32_e32 v33, 29, v3
	v_and_b32_e32 v3, 7, v34
; %bb.23:                               ;   in Loop: Header=BB282_13 Depth=1
	s_or_b32 exec_lo, exec_lo, s51
	v_lshlrev_b32_e32 v34, 8, v11
	v_lshl_add_u32 v33, v33, 10, 0x2000
	v_lshlrev_b32_e32 v3, 7, v3
	v_and_b32_e32 v34, 0x8000, v34
	v_and_b32_e32 v33, 0xfc00, v33
	v_or3_b32 v33, v34, v33, v3
.LBB282_24:                             ;   in Loop: Header=BB282_13 Depth=1
	s_or_b32 exec_lo, exec_lo, s50
.LBB282_25:                             ;   in Loop: Header=BB282_13 Depth=1
	s_or_b32 exec_lo, exec_lo, s49
.LBB282_26:                             ;   in Loop: Header=BB282_13 Depth=1
	s_or_b32 exec_lo, exec_lo, s48
	v_lshrrev_b16 v3, 8, v11
	s_mov_b32 s48, exec_lo
	v_cmpx_ne_u16_e32 0, v3
	s_cbranch_execz .LBB282_34
; %bb.27:                               ;   in Loop: Header=BB282_13 Depth=1
	v_bfrev_b32_e32 v32, 1
	s_mov_b32 s49, exec_lo
	v_cmpx_ne_u16_e32 0x80, v3
	s_cbranch_execz .LBB282_33
; %bb.28:                               ;   in Loop: Header=BB282_13 Depth=1
	v_and_b32_sdwa v35, v3, v24 dst_sel:DWORD dst_unused:UNUSED_PAD src0_sel:WORD_0 src1_sel:DWORD
	v_mov_b32_e32 v32, 0x7c010000
	s_mov_b32 s50, exec_lo
	v_cmpx_ne_u32_e32 0x7f, v35
	s_cbranch_execz .LBB282_32
; %bb.29:                               ;   in Loop: Header=BB282_13 Depth=1
	v_and_b32_sdwa v32, v3, v25 dst_sel:DWORD dst_unused:UNUSED_PAD src0_sel:WORD_0 src1_sel:DWORD
	v_lshrrev_b32_e32 v34, 3, v35
	s_mov_b32 s51, exec_lo
	v_cmpx_gt_u32_e32 8, v35
; %bb.30:                               ;   in Loop: Header=BB282_13 Depth=1
	v_ffbh_u32_e32 v32, v32
	v_min_u32_e32 v32, 32, v32
	v_subrev_nc_u32_e32 v34, 28, v32
	v_lshlrev_b64 v[35:36], v34, v[3:4]
	v_sub_nc_u32_e32 v34, 29, v32
	v_and_b32_e32 v32, 7, v35
; %bb.31:                               ;   in Loop: Header=BB282_13 Depth=1
	s_or_b32 exec_lo, exec_lo, s51
	v_lshlrev_b32_sdwa v3, v26, v3 dst_sel:DWORD dst_unused:UNUSED_PAD src0_sel:DWORD src1_sel:WORD_0
	v_lshl_add_u32 v34, v34, 10, 0x2000
	v_lshlrev_b32_e32 v32, 23, v32
	v_and_or_b32 v3, 0x8000, v3, v34
	v_lshl_or_b32 v32, v3, 16, v32
.LBB282_32:                             ;   in Loop: Header=BB282_13 Depth=1
	s_or_b32 exec_lo, exec_lo, s50
.LBB282_33:                             ;   in Loop: Header=BB282_13 Depth=1
	s_or_b32 exec_lo, exec_lo, s49
.LBB282_34:                             ;   in Loop: Header=BB282_13 Depth=1
	s_or_b32 exec_lo, exec_lo, s48
	v_lshrrev_b32_e32 v3, 16, v11
	v_mov_b32_e32 v34, 0
	v_mov_b32_e32 v35, 0
	v_cmp_ne_u16_sdwa s2, v3, v4 src0_sel:BYTE_0 src1_sel:DWORD
	s_and_saveexec_b32 s48, s2
	s_cbranch_execz .LBB282_42
; %bb.35:                               ;   in Loop: Header=BB282_13 Depth=1
	v_cmp_ne_u16_sdwa s2, v3, v23 src0_sel:BYTE_0 src1_sel:DWORD
	v_mov_b32_e32 v35, 0x8000
	s_and_saveexec_b32 s49, s2
	s_cbranch_execz .LBB282_41
; %bb.36:                               ;   in Loop: Header=BB282_13 Depth=1
	v_bfe_u32 v37, v11, 16, 7
	v_mov_b32_e32 v35, 0x7c01
	s_mov_b32 s50, exec_lo
	v_cmpx_ne_u32_e32 0x7f, v37
	s_cbranch_execz .LBB282_40
; %bb.37:                               ;   in Loop: Header=BB282_13 Depth=1
	v_and_b32_e32 v35, 7, v3
	v_lshrrev_b32_e32 v36, 3, v37
	s_mov_b32 s51, exec_lo
	v_cmpx_gt_u32_e32 8, v37
; %bb.38:                               ;   in Loop: Header=BB282_13 Depth=1
	v_ffbh_u32_e32 v35, v35
	v_min_u32_e32 v37, 32, v35
	v_subrev_nc_u32_e32 v35, 28, v37
	v_lshlrev_b64 v[35:36], v35, v[3:4]
	v_sub_nc_u32_e32 v36, 29, v37
	v_and_b32_e32 v35, 7, v35
; %bb.39:                               ;   in Loop: Header=BB282_13 Depth=1
	s_or_b32 exec_lo, exec_lo, s51
	v_lshlrev_b32_e32 v3, 8, v3
	v_lshl_add_u32 v36, v36, 10, 0x2000
	v_lshlrev_b32_e32 v35, 7, v35
	v_and_b32_e32 v3, 0x8000, v3
	v_and_b32_e32 v36, 0xfc00, v36
	v_or3_b32 v35, v3, v36, v35
.LBB282_40:                             ;   in Loop: Header=BB282_13 Depth=1
	s_or_b32 exec_lo, exec_lo, s50
.LBB282_41:                             ;   in Loop: Header=BB282_13 Depth=1
	s_or_b32 exec_lo, exec_lo, s49
.LBB282_42:                             ;   in Loop: Header=BB282_13 Depth=1
	s_or_b32 exec_lo, exec_lo, s48
	s_mov_b32 s48, exec_lo
	v_cmpx_lt_u32_e32 0xffffff, v11
	s_cbranch_execz .LBB282_50
; %bb.43:                               ;   in Loop: Header=BB282_13 Depth=1
	v_lshrrev_b32_e32 v3, 24, v11
	v_bfrev_b32_e32 v34, 1
	s_mov_b32 s49, exec_lo
	v_cmpx_ne_u32_e32 0x80, v3
	s_cbranch_execz .LBB282_49
; %bb.44:                               ;   in Loop: Header=BB282_13 Depth=1
	v_and_b32_e32 v36, 0x7f, v3
	v_mov_b32_e32 v34, 0x7c010000
	s_mov_b32 s50, exec_lo
	v_cmpx_ne_u32_e32 0x7f, v36
	s_cbranch_execz .LBB282_48
; %bb.45:                               ;   in Loop: Header=BB282_13 Depth=1
	v_and_b32_e32 v11, 7, v3
	v_lshrrev_b32_e32 v34, 3, v36
	s_mov_b32 s51, exec_lo
	v_cmpx_gt_u32_e32 8, v36
; %bb.46:                               ;   in Loop: Header=BB282_13 Depth=1
	v_ffbh_u32_e32 v11, v11
	v_min_u32_e32 v11, 32, v11
	v_subrev_nc_u32_e32 v34, 28, v11
	v_lshlrev_b64 v[36:37], v34, v[3:4]
	v_sub_nc_u32_e32 v34, 29, v11
	v_and_b32_e32 v11, 7, v36
; %bb.47:                               ;   in Loop: Header=BB282_13 Depth=1
	s_or_b32 exec_lo, exec_lo, s51
	v_lshlrev_b32_e32 v3, 8, v3
	v_lshl_add_u32 v34, v34, 10, 0x2000
	v_lshlrev_b32_e32 v11, 23, v11
	v_and_or_b32 v3, 0x8000, v3, v34
	v_lshl_or_b32 v34, v3, 16, v11
.LBB282_48:                             ;   in Loop: Header=BB282_13 Depth=1
	s_or_b32 exec_lo, exec_lo, s50
.LBB282_49:                             ;   in Loop: Header=BB282_13 Depth=1
	s_or_b32 exec_lo, exec_lo, s49
.LBB282_50:                             ;   in Loop: Header=BB282_13 Depth=1
	s_or_b32 exec_lo, exec_lo, s48
	global_load_dword v11, v[9:10], off offset:8
	v_mov_b32_e32 v36, 0
	v_mov_b32_e32 v37, 0
	s_waitcnt vmcnt(0)
	v_cmp_ne_u16_sdwa s2, v11, v4 src0_sel:BYTE_0 src1_sel:DWORD
	s_and_saveexec_b32 s48, s2
	s_cbranch_execz .LBB282_58
; %bb.51:                               ;   in Loop: Header=BB282_13 Depth=1
	v_cmp_ne_u16_sdwa s2, v11, v23 src0_sel:BYTE_0 src1_sel:DWORD
	v_mov_b32_e32 v37, 0x8000
	s_and_saveexec_b32 s49, s2
	s_cbranch_execz .LBB282_57
; %bb.52:                               ;   in Loop: Header=BB282_13 Depth=1
	v_and_b32_e32 v38, 0x7f, v11
	v_mov_b32_e32 v37, 0x7c01
	s_mov_b32 s50, exec_lo
	v_cmpx_ne_u32_e32 0x7f, v38
	s_cbranch_execz .LBB282_56
; %bb.53:                               ;   in Loop: Header=BB282_13 Depth=1
	v_and_b32_e32 v3, 7, v11
	v_lshrrev_b32_e32 v37, 3, v38
	s_mov_b32 s51, exec_lo
	v_cmpx_gt_u32_e32 8, v38
; %bb.54:                               ;   in Loop: Header=BB282_13 Depth=1
	v_ffbh_u32_e32 v3, v3
	v_min_u32_e32 v3, 32, v3
	v_subrev_nc_u32_e32 v37, 28, v3
	v_lshlrev_b64 v[38:39], v37, v[11:12]
	v_sub_nc_u32_e32 v37, 29, v3
	v_and_b32_e32 v3, 7, v38
; %bb.55:                               ;   in Loop: Header=BB282_13 Depth=1
	s_or_b32 exec_lo, exec_lo, s51
	v_lshlrev_b32_e32 v38, 8, v11
	v_lshl_add_u32 v37, v37, 10, 0x2000
	v_lshlrev_b32_e32 v3, 7, v3
	v_and_b32_e32 v38, 0x8000, v38
	v_and_b32_e32 v37, 0xfc00, v37
	v_or3_b32 v37, v38, v37, v3
.LBB282_56:                             ;   in Loop: Header=BB282_13 Depth=1
	s_or_b32 exec_lo, exec_lo, s50
.LBB282_57:                             ;   in Loop: Header=BB282_13 Depth=1
	s_or_b32 exec_lo, exec_lo, s49
.LBB282_58:                             ;   in Loop: Header=BB282_13 Depth=1
	s_or_b32 exec_lo, exec_lo, s48
	v_lshrrev_b16 v3, 8, v11
	s_mov_b32 s48, exec_lo
	v_cmpx_ne_u16_e32 0, v3
	s_cbranch_execz .LBB282_66
; %bb.59:                               ;   in Loop: Header=BB282_13 Depth=1
	v_bfrev_b32_e32 v36, 1
	s_mov_b32 s49, exec_lo
	v_cmpx_ne_u16_e32 0x80, v3
	s_cbranch_execz .LBB282_65
; %bb.60:                               ;   in Loop: Header=BB282_13 Depth=1
	v_and_b32_sdwa v39, v3, v24 dst_sel:DWORD dst_unused:UNUSED_PAD src0_sel:WORD_0 src1_sel:DWORD
	v_mov_b32_e32 v36, 0x7c010000
	s_mov_b32 s50, exec_lo
	v_cmpx_ne_u32_e32 0x7f, v39
	s_cbranch_execz .LBB282_64
; %bb.61:                               ;   in Loop: Header=BB282_13 Depth=1
	v_and_b32_sdwa v36, v3, v25 dst_sel:DWORD dst_unused:UNUSED_PAD src0_sel:WORD_0 src1_sel:DWORD
	v_lshrrev_b32_e32 v38, 3, v39
	s_mov_b32 s51, exec_lo
	v_cmpx_gt_u32_e32 8, v39
; %bb.62:                               ;   in Loop: Header=BB282_13 Depth=1
	v_ffbh_u32_e32 v36, v36
	v_min_u32_e32 v36, 32, v36
	v_subrev_nc_u32_e32 v38, 28, v36
	v_lshlrev_b64 v[39:40], v38, v[3:4]
	v_sub_nc_u32_e32 v38, 29, v36
	v_and_b32_e32 v36, 7, v39
; %bb.63:                               ;   in Loop: Header=BB282_13 Depth=1
	s_or_b32 exec_lo, exec_lo, s51
	v_lshlrev_b32_sdwa v3, v26, v3 dst_sel:DWORD dst_unused:UNUSED_PAD src0_sel:DWORD src1_sel:WORD_0
	v_lshl_add_u32 v38, v38, 10, 0x2000
	v_lshlrev_b32_e32 v36, 23, v36
	v_and_or_b32 v3, 0x8000, v3, v38
	v_lshl_or_b32 v36, v3, 16, v36
.LBB282_64:                             ;   in Loop: Header=BB282_13 Depth=1
	s_or_b32 exec_lo, exec_lo, s50
.LBB282_65:                             ;   in Loop: Header=BB282_13 Depth=1
	s_or_b32 exec_lo, exec_lo, s49
.LBB282_66:                             ;   in Loop: Header=BB282_13 Depth=1
	s_or_b32 exec_lo, exec_lo, s48
	v_lshrrev_b32_e32 v3, 16, v11
	v_mov_b32_e32 v38, 0
	v_mov_b32_e32 v39, 0
	v_cmp_ne_u16_sdwa s2, v3, v4 src0_sel:BYTE_0 src1_sel:DWORD
	s_and_saveexec_b32 s48, s2
	s_cbranch_execz .LBB282_74
; %bb.67:                               ;   in Loop: Header=BB282_13 Depth=1
	v_cmp_ne_u16_sdwa s2, v3, v23 src0_sel:BYTE_0 src1_sel:DWORD
	v_mov_b32_e32 v39, 0x8000
	s_and_saveexec_b32 s49, s2
	s_cbranch_execz .LBB282_73
; %bb.68:                               ;   in Loop: Header=BB282_13 Depth=1
	v_bfe_u32 v41, v11, 16, 7
	v_mov_b32_e32 v39, 0x7c01
	s_mov_b32 s50, exec_lo
	v_cmpx_ne_u32_e32 0x7f, v41
	s_cbranch_execz .LBB282_72
; %bb.69:                               ;   in Loop: Header=BB282_13 Depth=1
	v_and_b32_e32 v39, 7, v3
	v_lshrrev_b32_e32 v40, 3, v41
	s_mov_b32 s51, exec_lo
	v_cmpx_gt_u32_e32 8, v41
; %bb.70:                               ;   in Loop: Header=BB282_13 Depth=1
	v_ffbh_u32_e32 v39, v39
	v_min_u32_e32 v41, 32, v39
	v_subrev_nc_u32_e32 v39, 28, v41
	v_lshlrev_b64 v[39:40], v39, v[3:4]
	v_sub_nc_u32_e32 v40, 29, v41
	v_and_b32_e32 v39, 7, v39
; %bb.71:                               ;   in Loop: Header=BB282_13 Depth=1
	s_or_b32 exec_lo, exec_lo, s51
	v_lshlrev_b32_e32 v3, 8, v3
	v_lshl_add_u32 v40, v40, 10, 0x2000
	v_lshlrev_b32_e32 v39, 7, v39
	v_and_b32_e32 v3, 0x8000, v3
	v_and_b32_e32 v40, 0xfc00, v40
	v_or3_b32 v39, v3, v40, v39
.LBB282_72:                             ;   in Loop: Header=BB282_13 Depth=1
	s_or_b32 exec_lo, exec_lo, s50
.LBB282_73:                             ;   in Loop: Header=BB282_13 Depth=1
	s_or_b32 exec_lo, exec_lo, s49
.LBB282_74:                             ;   in Loop: Header=BB282_13 Depth=1
	s_or_b32 exec_lo, exec_lo, s48
	s_mov_b32 s48, exec_lo
	v_cmpx_lt_u32_e32 0xffffff, v11
	s_cbranch_execz .LBB282_82
; %bb.75:                               ;   in Loop: Header=BB282_13 Depth=1
	v_lshrrev_b32_e32 v3, 24, v11
	v_bfrev_b32_e32 v38, 1
	s_mov_b32 s49, exec_lo
	v_cmpx_ne_u32_e32 0x80, v3
	s_cbranch_execz .LBB282_81
; %bb.76:                               ;   in Loop: Header=BB282_13 Depth=1
	v_and_b32_e32 v40, 0x7f, v3
	v_mov_b32_e32 v38, 0x7c010000
	s_mov_b32 s50, exec_lo
	v_cmpx_ne_u32_e32 0x7f, v40
	s_cbranch_execz .LBB282_80
; %bb.77:                               ;   in Loop: Header=BB282_13 Depth=1
	v_and_b32_e32 v11, 7, v3
	v_lshrrev_b32_e32 v38, 3, v40
	s_mov_b32 s51, exec_lo
	v_cmpx_gt_u32_e32 8, v40
; %bb.78:                               ;   in Loop: Header=BB282_13 Depth=1
	v_ffbh_u32_e32 v11, v11
	v_min_u32_e32 v11, 32, v11
	v_subrev_nc_u32_e32 v38, 28, v11
	v_lshlrev_b64 v[40:41], v38, v[3:4]
	v_sub_nc_u32_e32 v38, 29, v11
	v_and_b32_e32 v11, 7, v40
; %bb.79:                               ;   in Loop: Header=BB282_13 Depth=1
	s_or_b32 exec_lo, exec_lo, s51
	v_lshlrev_b32_e32 v3, 8, v3
	v_lshl_add_u32 v38, v38, 10, 0x2000
	v_lshlrev_b32_e32 v11, 23, v11
	v_and_or_b32 v3, 0x8000, v3, v38
	v_lshl_or_b32 v38, v3, 16, v11
.LBB282_80:                             ;   in Loop: Header=BB282_13 Depth=1
	s_or_b32 exec_lo, exec_lo, s50
.LBB282_81:                             ;   in Loop: Header=BB282_13 Depth=1
	s_or_b32 exec_lo, exec_lo, s49
.LBB282_82:                             ;   in Loop: Header=BB282_13 Depth=1
	s_or_b32 exec_lo, exec_lo, s48
	global_load_dword v11, v[9:10], off offset:256
	v_mov_b32_e32 v40, 0
	v_mov_b32_e32 v41, 0
	s_waitcnt vmcnt(0)
	v_cmp_ne_u16_sdwa s2, v11, v4 src0_sel:BYTE_0 src1_sel:DWORD
	s_and_saveexec_b32 s48, s2
	s_cbranch_execz .LBB282_90
; %bb.83:                               ;   in Loop: Header=BB282_13 Depth=1
	v_cmp_ne_u16_sdwa s2, v11, v23 src0_sel:BYTE_0 src1_sel:DWORD
	v_mov_b32_e32 v41, 0x8000
	s_and_saveexec_b32 s49, s2
	s_cbranch_execz .LBB282_89
; %bb.84:                               ;   in Loop: Header=BB282_13 Depth=1
	v_and_b32_e32 v42, 0x7f, v11
	v_mov_b32_e32 v41, 0x7c01
	s_mov_b32 s50, exec_lo
	v_cmpx_ne_u32_e32 0x7f, v42
	s_cbranch_execz .LBB282_88
; %bb.85:                               ;   in Loop: Header=BB282_13 Depth=1
	v_and_b32_e32 v3, 7, v11
	v_lshrrev_b32_e32 v41, 3, v42
	s_mov_b32 s51, exec_lo
	v_cmpx_gt_u32_e32 8, v42
; %bb.86:                               ;   in Loop: Header=BB282_13 Depth=1
	v_ffbh_u32_e32 v3, v3
	v_min_u32_e32 v3, 32, v3
	v_subrev_nc_u32_e32 v41, 28, v3
	v_lshlrev_b64 v[42:43], v41, v[11:12]
	v_sub_nc_u32_e32 v41, 29, v3
	v_and_b32_e32 v3, 7, v42
; %bb.87:                               ;   in Loop: Header=BB282_13 Depth=1
	s_or_b32 exec_lo, exec_lo, s51
	v_lshlrev_b32_e32 v42, 8, v11
	v_lshl_add_u32 v41, v41, 10, 0x2000
	v_lshlrev_b32_e32 v3, 7, v3
	v_and_b32_e32 v42, 0x8000, v42
	v_and_b32_e32 v41, 0xfc00, v41
	v_or3_b32 v41, v42, v41, v3
.LBB282_88:                             ;   in Loop: Header=BB282_13 Depth=1
	s_or_b32 exec_lo, exec_lo, s50
.LBB282_89:                             ;   in Loop: Header=BB282_13 Depth=1
	s_or_b32 exec_lo, exec_lo, s49
.LBB282_90:                             ;   in Loop: Header=BB282_13 Depth=1
	s_or_b32 exec_lo, exec_lo, s48
	v_lshrrev_b16 v3, 8, v11
	s_mov_b32 s48, exec_lo
	v_cmpx_ne_u16_e32 0, v3
	s_cbranch_execz .LBB282_98
; %bb.91:                               ;   in Loop: Header=BB282_13 Depth=1
	v_bfrev_b32_e32 v40, 1
	s_mov_b32 s49, exec_lo
	v_cmpx_ne_u16_e32 0x80, v3
	s_cbranch_execz .LBB282_97
; %bb.92:                               ;   in Loop: Header=BB282_13 Depth=1
	v_and_b32_sdwa v43, v3, v24 dst_sel:DWORD dst_unused:UNUSED_PAD src0_sel:WORD_0 src1_sel:DWORD
	v_mov_b32_e32 v40, 0x7c010000
	s_mov_b32 s50, exec_lo
	v_cmpx_ne_u32_e32 0x7f, v43
	s_cbranch_execz .LBB282_96
; %bb.93:                               ;   in Loop: Header=BB282_13 Depth=1
	v_and_b32_sdwa v40, v3, v25 dst_sel:DWORD dst_unused:UNUSED_PAD src0_sel:WORD_0 src1_sel:DWORD
	v_lshrrev_b32_e32 v42, 3, v43
	s_mov_b32 s51, exec_lo
	v_cmpx_gt_u32_e32 8, v43
; %bb.94:                               ;   in Loop: Header=BB282_13 Depth=1
	v_ffbh_u32_e32 v40, v40
	v_min_u32_e32 v40, 32, v40
	v_subrev_nc_u32_e32 v42, 28, v40
	v_lshlrev_b64 v[43:44], v42, v[3:4]
	v_sub_nc_u32_e32 v42, 29, v40
	v_and_b32_e32 v40, 7, v43
; %bb.95:                               ;   in Loop: Header=BB282_13 Depth=1
	s_or_b32 exec_lo, exec_lo, s51
	v_lshlrev_b32_sdwa v3, v26, v3 dst_sel:DWORD dst_unused:UNUSED_PAD src0_sel:DWORD src1_sel:WORD_0
	v_lshl_add_u32 v42, v42, 10, 0x2000
	v_lshlrev_b32_e32 v40, 23, v40
	v_and_or_b32 v3, 0x8000, v3, v42
	v_lshl_or_b32 v40, v3, 16, v40
.LBB282_96:                             ;   in Loop: Header=BB282_13 Depth=1
	s_or_b32 exec_lo, exec_lo, s50
.LBB282_97:                             ;   in Loop: Header=BB282_13 Depth=1
	s_or_b32 exec_lo, exec_lo, s49
.LBB282_98:                             ;   in Loop: Header=BB282_13 Depth=1
	s_or_b32 exec_lo, exec_lo, s48
	v_lshrrev_b32_e32 v3, 16, v11
	v_mov_b32_e32 v42, 0
	v_mov_b32_e32 v43, 0
	v_cmp_ne_u16_sdwa s2, v3, v4 src0_sel:BYTE_0 src1_sel:DWORD
	s_and_saveexec_b32 s48, s2
	s_cbranch_execz .LBB282_106
; %bb.99:                               ;   in Loop: Header=BB282_13 Depth=1
	v_cmp_ne_u16_sdwa s2, v3, v23 src0_sel:BYTE_0 src1_sel:DWORD
	v_mov_b32_e32 v43, 0x8000
	s_and_saveexec_b32 s49, s2
	s_cbranch_execz .LBB282_105
; %bb.100:                              ;   in Loop: Header=BB282_13 Depth=1
	v_bfe_u32 v45, v11, 16, 7
	v_mov_b32_e32 v43, 0x7c01
	s_mov_b32 s50, exec_lo
	v_cmpx_ne_u32_e32 0x7f, v45
	s_cbranch_execz .LBB282_104
; %bb.101:                              ;   in Loop: Header=BB282_13 Depth=1
	v_and_b32_e32 v43, 7, v3
	v_lshrrev_b32_e32 v44, 3, v45
	s_mov_b32 s51, exec_lo
	v_cmpx_gt_u32_e32 8, v45
; %bb.102:                              ;   in Loop: Header=BB282_13 Depth=1
	v_ffbh_u32_e32 v43, v43
	v_min_u32_e32 v45, 32, v43
	v_subrev_nc_u32_e32 v43, 28, v45
	v_lshlrev_b64 v[43:44], v43, v[3:4]
	v_sub_nc_u32_e32 v44, 29, v45
	v_and_b32_e32 v43, 7, v43
; %bb.103:                              ;   in Loop: Header=BB282_13 Depth=1
	s_or_b32 exec_lo, exec_lo, s51
	v_lshlrev_b32_e32 v3, 8, v3
	v_lshl_add_u32 v44, v44, 10, 0x2000
	v_lshlrev_b32_e32 v43, 7, v43
	v_and_b32_e32 v3, 0x8000, v3
	v_and_b32_e32 v44, 0xfc00, v44
	v_or3_b32 v43, v3, v44, v43
.LBB282_104:                            ;   in Loop: Header=BB282_13 Depth=1
	s_or_b32 exec_lo, exec_lo, s50
.LBB282_105:                            ;   in Loop: Header=BB282_13 Depth=1
	s_or_b32 exec_lo, exec_lo, s49
.LBB282_106:                            ;   in Loop: Header=BB282_13 Depth=1
	s_or_b32 exec_lo, exec_lo, s48
	s_mov_b32 s48, exec_lo
	v_cmpx_lt_u32_e32 0xffffff, v11
	s_cbranch_execz .LBB282_114
; %bb.107:                              ;   in Loop: Header=BB282_13 Depth=1
	v_lshrrev_b32_e32 v3, 24, v11
	v_bfrev_b32_e32 v42, 1
	s_mov_b32 s49, exec_lo
	v_cmpx_ne_u32_e32 0x80, v3
	s_cbranch_execz .LBB282_113
; %bb.108:                              ;   in Loop: Header=BB282_13 Depth=1
	v_and_b32_e32 v44, 0x7f, v3
	v_mov_b32_e32 v42, 0x7c010000
	s_mov_b32 s50, exec_lo
	v_cmpx_ne_u32_e32 0x7f, v44
	s_cbranch_execz .LBB282_112
; %bb.109:                              ;   in Loop: Header=BB282_13 Depth=1
	v_and_b32_e32 v11, 7, v3
	v_lshrrev_b32_e32 v42, 3, v44
	s_mov_b32 s51, exec_lo
	v_cmpx_gt_u32_e32 8, v44
; %bb.110:                              ;   in Loop: Header=BB282_13 Depth=1
	v_ffbh_u32_e32 v11, v11
	v_min_u32_e32 v11, 32, v11
	v_subrev_nc_u32_e32 v42, 28, v11
	v_lshlrev_b64 v[44:45], v42, v[3:4]
	v_sub_nc_u32_e32 v42, 29, v11
	v_and_b32_e32 v11, 7, v44
; %bb.111:                              ;   in Loop: Header=BB282_13 Depth=1
	s_or_b32 exec_lo, exec_lo, s51
	v_lshlrev_b32_e32 v3, 8, v3
	v_lshl_add_u32 v42, v42, 10, 0x2000
	v_lshlrev_b32_e32 v11, 23, v11
	v_and_or_b32 v3, 0x8000, v3, v42
	v_lshl_or_b32 v42, v3, 16, v11
.LBB282_112:                            ;   in Loop: Header=BB282_13 Depth=1
	s_or_b32 exec_lo, exec_lo, s50
.LBB282_113:                            ;   in Loop: Header=BB282_13 Depth=1
	s_or_b32 exec_lo, exec_lo, s49
.LBB282_114:                            ;   in Loop: Header=BB282_13 Depth=1
	s_or_b32 exec_lo, exec_lo, s48
	global_load_dword v11, v[9:10], off offset:264
	v_mov_b32_e32 v44, 0
	v_mov_b32_e32 v45, 0
	s_waitcnt vmcnt(0)
	v_cmp_ne_u16_sdwa s2, v11, v4 src0_sel:BYTE_0 src1_sel:DWORD
	s_and_saveexec_b32 s48, s2
	s_cbranch_execz .LBB282_122
; %bb.115:                              ;   in Loop: Header=BB282_13 Depth=1
	v_cmp_ne_u16_sdwa s2, v11, v23 src0_sel:BYTE_0 src1_sel:DWORD
	v_mov_b32_e32 v45, 0x8000
	s_and_saveexec_b32 s49, s2
	s_cbranch_execz .LBB282_121
; %bb.116:                              ;   in Loop: Header=BB282_13 Depth=1
	v_and_b32_e32 v46, 0x7f, v11
	v_mov_b32_e32 v45, 0x7c01
	s_mov_b32 s50, exec_lo
	v_cmpx_ne_u32_e32 0x7f, v46
	s_cbranch_execz .LBB282_120
; %bb.117:                              ;   in Loop: Header=BB282_13 Depth=1
	v_and_b32_e32 v3, 7, v11
	v_lshrrev_b32_e32 v45, 3, v46
	s_mov_b32 s51, exec_lo
	v_cmpx_gt_u32_e32 8, v46
; %bb.118:                              ;   in Loop: Header=BB282_13 Depth=1
	v_ffbh_u32_e32 v3, v3
	v_min_u32_e32 v3, 32, v3
	v_subrev_nc_u32_e32 v45, 28, v3
	v_lshlrev_b64 v[46:47], v45, v[11:12]
	v_sub_nc_u32_e32 v45, 29, v3
	v_and_b32_e32 v3, 7, v46
; %bb.119:                              ;   in Loop: Header=BB282_13 Depth=1
	s_or_b32 exec_lo, exec_lo, s51
	v_lshlrev_b32_e32 v46, 8, v11
	v_lshl_add_u32 v45, v45, 10, 0x2000
	v_lshlrev_b32_e32 v3, 7, v3
	v_and_b32_e32 v46, 0x8000, v46
	v_and_b32_e32 v45, 0xfc00, v45
	v_or3_b32 v45, v46, v45, v3
.LBB282_120:                            ;   in Loop: Header=BB282_13 Depth=1
	s_or_b32 exec_lo, exec_lo, s50
.LBB282_121:                            ;   in Loop: Header=BB282_13 Depth=1
	s_or_b32 exec_lo, exec_lo, s49
.LBB282_122:                            ;   in Loop: Header=BB282_13 Depth=1
	s_or_b32 exec_lo, exec_lo, s48
	v_lshrrev_b16 v3, 8, v11
	s_mov_b32 s48, exec_lo
	v_cmpx_ne_u16_e32 0, v3
	s_cbranch_execz .LBB282_130
; %bb.123:                              ;   in Loop: Header=BB282_13 Depth=1
	v_bfrev_b32_e32 v44, 1
	s_mov_b32 s49, exec_lo
	v_cmpx_ne_u16_e32 0x80, v3
	s_cbranch_execz .LBB282_129
; %bb.124:                              ;   in Loop: Header=BB282_13 Depth=1
	v_and_b32_sdwa v47, v3, v24 dst_sel:DWORD dst_unused:UNUSED_PAD src0_sel:WORD_0 src1_sel:DWORD
	v_mov_b32_e32 v44, 0x7c010000
	s_mov_b32 s50, exec_lo
	v_cmpx_ne_u32_e32 0x7f, v47
	s_cbranch_execz .LBB282_128
; %bb.125:                              ;   in Loop: Header=BB282_13 Depth=1
	v_and_b32_sdwa v44, v3, v25 dst_sel:DWORD dst_unused:UNUSED_PAD src0_sel:WORD_0 src1_sel:DWORD
	v_lshrrev_b32_e32 v46, 3, v47
	s_mov_b32 s51, exec_lo
	v_cmpx_gt_u32_e32 8, v47
; %bb.126:                              ;   in Loop: Header=BB282_13 Depth=1
	v_ffbh_u32_e32 v44, v44
	v_min_u32_e32 v44, 32, v44
	v_subrev_nc_u32_e32 v46, 28, v44
	v_lshlrev_b64 v[47:48], v46, v[3:4]
	v_sub_nc_u32_e32 v46, 29, v44
	v_and_b32_e32 v44, 7, v47
; %bb.127:                              ;   in Loop: Header=BB282_13 Depth=1
	s_or_b32 exec_lo, exec_lo, s51
	v_lshlrev_b32_sdwa v3, v26, v3 dst_sel:DWORD dst_unused:UNUSED_PAD src0_sel:DWORD src1_sel:WORD_0
	v_lshl_add_u32 v46, v46, 10, 0x2000
	v_lshlrev_b32_e32 v44, 23, v44
	v_and_or_b32 v3, 0x8000, v3, v46
	v_lshl_or_b32 v44, v3, 16, v44
.LBB282_128:                            ;   in Loop: Header=BB282_13 Depth=1
	s_or_b32 exec_lo, exec_lo, s50
.LBB282_129:                            ;   in Loop: Header=BB282_13 Depth=1
	s_or_b32 exec_lo, exec_lo, s49
.LBB282_130:                            ;   in Loop: Header=BB282_13 Depth=1
	s_or_b32 exec_lo, exec_lo, s48
	v_lshrrev_b32_e32 v3, 16, v11
	v_mov_b32_e32 v46, 0
	v_mov_b32_e32 v47, 0
	v_cmp_ne_u16_sdwa s2, v3, v4 src0_sel:BYTE_0 src1_sel:DWORD
	s_and_saveexec_b32 s48, s2
	s_cbranch_execz .LBB282_138
; %bb.131:                              ;   in Loop: Header=BB282_13 Depth=1
	v_cmp_ne_u16_sdwa s2, v3, v23 src0_sel:BYTE_0 src1_sel:DWORD
	v_mov_b32_e32 v47, 0x8000
	s_and_saveexec_b32 s49, s2
	s_cbranch_execz .LBB282_137
; %bb.132:                              ;   in Loop: Header=BB282_13 Depth=1
	v_bfe_u32 v49, v11, 16, 7
	v_mov_b32_e32 v47, 0x7c01
	s_mov_b32 s50, exec_lo
	v_cmpx_ne_u32_e32 0x7f, v49
	s_cbranch_execz .LBB282_136
; %bb.133:                              ;   in Loop: Header=BB282_13 Depth=1
	v_and_b32_e32 v47, 7, v3
	v_lshrrev_b32_e32 v48, 3, v49
	s_mov_b32 s51, exec_lo
	v_cmpx_gt_u32_e32 8, v49
; %bb.134:                              ;   in Loop: Header=BB282_13 Depth=1
	v_ffbh_u32_e32 v47, v47
	v_min_u32_e32 v49, 32, v47
	v_subrev_nc_u32_e32 v47, 28, v49
	v_lshlrev_b64 v[47:48], v47, v[3:4]
	v_sub_nc_u32_e32 v48, 29, v49
	v_and_b32_e32 v47, 7, v47
; %bb.135:                              ;   in Loop: Header=BB282_13 Depth=1
	s_or_b32 exec_lo, exec_lo, s51
	v_lshlrev_b32_e32 v3, 8, v3
	v_lshl_add_u32 v48, v48, 10, 0x2000
	v_lshlrev_b32_e32 v47, 7, v47
	v_and_b32_e32 v3, 0x8000, v3
	v_and_b32_e32 v48, 0xfc00, v48
	v_or3_b32 v47, v3, v48, v47
.LBB282_136:                            ;   in Loop: Header=BB282_13 Depth=1
	s_or_b32 exec_lo, exec_lo, s50
.LBB282_137:                            ;   in Loop: Header=BB282_13 Depth=1
	s_or_b32 exec_lo, exec_lo, s49
.LBB282_138:                            ;   in Loop: Header=BB282_13 Depth=1
	s_or_b32 exec_lo, exec_lo, s48
	s_mov_b32 s48, exec_lo
	v_cmpx_lt_u32_e32 0xffffff, v11
	s_cbranch_execz .LBB282_146
; %bb.139:                              ;   in Loop: Header=BB282_13 Depth=1
	v_lshrrev_b32_e32 v3, 24, v11
	v_bfrev_b32_e32 v46, 1
	s_mov_b32 s49, exec_lo
	v_cmpx_ne_u32_e32 0x80, v3
	s_cbranch_execz .LBB282_145
; %bb.140:                              ;   in Loop: Header=BB282_13 Depth=1
	v_and_b32_e32 v48, 0x7f, v3
	v_mov_b32_e32 v46, 0x7c010000
	s_mov_b32 s50, exec_lo
	v_cmpx_ne_u32_e32 0x7f, v48
	s_cbranch_execz .LBB282_144
; %bb.141:                              ;   in Loop: Header=BB282_13 Depth=1
	v_and_b32_e32 v11, 7, v3
	v_lshrrev_b32_e32 v46, 3, v48
	s_mov_b32 s51, exec_lo
	v_cmpx_gt_u32_e32 8, v48
; %bb.142:                              ;   in Loop: Header=BB282_13 Depth=1
	v_ffbh_u32_e32 v11, v11
	v_min_u32_e32 v11, 32, v11
	v_subrev_nc_u32_e32 v46, 28, v11
	v_lshlrev_b64 v[48:49], v46, v[3:4]
	v_sub_nc_u32_e32 v46, 29, v11
	v_and_b32_e32 v11, 7, v48
; %bb.143:                              ;   in Loop: Header=BB282_13 Depth=1
	s_or_b32 exec_lo, exec_lo, s51
	v_lshlrev_b32_e32 v3, 8, v3
	v_lshl_add_u32 v46, v46, 10, 0x2000
	v_lshlrev_b32_e32 v11, 23, v11
	v_and_or_b32 v3, 0x8000, v3, v46
	v_lshl_or_b32 v46, v3, 16, v11
.LBB282_144:                            ;   in Loop: Header=BB282_13 Depth=1
	s_or_b32 exec_lo, exec_lo, s50
.LBB282_145:                            ;   in Loop: Header=BB282_13 Depth=1
	s_or_b32 exec_lo, exec_lo, s49
.LBB282_146:                            ;   in Loop: Header=BB282_13 Depth=1
	s_or_b32 exec_lo, exec_lo, s48
	global_load_dword v11, v[9:10], off offset:512
	v_mov_b32_e32 v48, 0
	v_mov_b32_e32 v49, 0
	s_waitcnt vmcnt(0)
	v_cmp_ne_u16_sdwa s2, v11, v4 src0_sel:BYTE_0 src1_sel:DWORD
	s_and_saveexec_b32 s48, s2
	s_cbranch_execz .LBB282_154
; %bb.147:                              ;   in Loop: Header=BB282_13 Depth=1
	v_cmp_ne_u16_sdwa s2, v11, v23 src0_sel:BYTE_0 src1_sel:DWORD
	v_mov_b32_e32 v49, 0x8000
	s_and_saveexec_b32 s49, s2
	s_cbranch_execz .LBB282_153
; %bb.148:                              ;   in Loop: Header=BB282_13 Depth=1
	v_and_b32_e32 v50, 0x7f, v11
	v_mov_b32_e32 v49, 0x7c01
	s_mov_b32 s50, exec_lo
	v_cmpx_ne_u32_e32 0x7f, v50
	s_cbranch_execz .LBB282_152
; %bb.149:                              ;   in Loop: Header=BB282_13 Depth=1
	v_and_b32_e32 v3, 7, v11
	v_lshrrev_b32_e32 v49, 3, v50
	s_mov_b32 s51, exec_lo
	v_cmpx_gt_u32_e32 8, v50
; %bb.150:                              ;   in Loop: Header=BB282_13 Depth=1
	v_ffbh_u32_e32 v3, v3
	v_min_u32_e32 v3, 32, v3
	v_subrev_nc_u32_e32 v49, 28, v3
	v_lshlrev_b64 v[50:51], v49, v[11:12]
	v_sub_nc_u32_e32 v49, 29, v3
	v_and_b32_e32 v3, 7, v50
; %bb.151:                              ;   in Loop: Header=BB282_13 Depth=1
	s_or_b32 exec_lo, exec_lo, s51
	v_lshlrev_b32_e32 v50, 8, v11
	v_lshl_add_u32 v49, v49, 10, 0x2000
	v_lshlrev_b32_e32 v3, 7, v3
	v_and_b32_e32 v50, 0x8000, v50
	v_and_b32_e32 v49, 0xfc00, v49
	v_or3_b32 v49, v50, v49, v3
.LBB282_152:                            ;   in Loop: Header=BB282_13 Depth=1
	s_or_b32 exec_lo, exec_lo, s50
.LBB282_153:                            ;   in Loop: Header=BB282_13 Depth=1
	s_or_b32 exec_lo, exec_lo, s49
.LBB282_154:                            ;   in Loop: Header=BB282_13 Depth=1
	s_or_b32 exec_lo, exec_lo, s48
	v_lshrrev_b16 v3, 8, v11
	s_mov_b32 s48, exec_lo
	v_cmpx_ne_u16_e32 0, v3
	s_cbranch_execz .LBB282_162
; %bb.155:                              ;   in Loop: Header=BB282_13 Depth=1
	v_bfrev_b32_e32 v48, 1
	s_mov_b32 s49, exec_lo
	v_cmpx_ne_u16_e32 0x80, v3
	s_cbranch_execz .LBB282_161
; %bb.156:                              ;   in Loop: Header=BB282_13 Depth=1
	v_and_b32_sdwa v51, v3, v24 dst_sel:DWORD dst_unused:UNUSED_PAD src0_sel:WORD_0 src1_sel:DWORD
	v_mov_b32_e32 v48, 0x7c010000
	s_mov_b32 s50, exec_lo
	v_cmpx_ne_u32_e32 0x7f, v51
	s_cbranch_execz .LBB282_160
; %bb.157:                              ;   in Loop: Header=BB282_13 Depth=1
	v_and_b32_sdwa v48, v3, v25 dst_sel:DWORD dst_unused:UNUSED_PAD src0_sel:WORD_0 src1_sel:DWORD
	v_lshrrev_b32_e32 v50, 3, v51
	s_mov_b32 s51, exec_lo
	v_cmpx_gt_u32_e32 8, v51
; %bb.158:                              ;   in Loop: Header=BB282_13 Depth=1
	v_ffbh_u32_e32 v48, v48
	v_min_u32_e32 v48, 32, v48
	v_subrev_nc_u32_e32 v50, 28, v48
	v_lshlrev_b64 v[51:52], v50, v[3:4]
	v_sub_nc_u32_e32 v50, 29, v48
	v_and_b32_e32 v48, 7, v51
; %bb.159:                              ;   in Loop: Header=BB282_13 Depth=1
	s_or_b32 exec_lo, exec_lo, s51
	v_lshlrev_b32_sdwa v3, v26, v3 dst_sel:DWORD dst_unused:UNUSED_PAD src0_sel:DWORD src1_sel:WORD_0
	v_lshl_add_u32 v50, v50, 10, 0x2000
	v_lshlrev_b32_e32 v48, 23, v48
	v_and_or_b32 v3, 0x8000, v3, v50
	v_lshl_or_b32 v48, v3, 16, v48
.LBB282_160:                            ;   in Loop: Header=BB282_13 Depth=1
	s_or_b32 exec_lo, exec_lo, s50
.LBB282_161:                            ;   in Loop: Header=BB282_13 Depth=1
	s_or_b32 exec_lo, exec_lo, s49
.LBB282_162:                            ;   in Loop: Header=BB282_13 Depth=1
	s_or_b32 exec_lo, exec_lo, s48
	v_lshrrev_b32_e32 v3, 16, v11
	v_mov_b32_e32 v50, 0
	v_mov_b32_e32 v51, 0
	v_cmp_ne_u16_sdwa s2, v3, v4 src0_sel:BYTE_0 src1_sel:DWORD
	s_and_saveexec_b32 s48, s2
	s_cbranch_execz .LBB282_170
; %bb.163:                              ;   in Loop: Header=BB282_13 Depth=1
	v_cmp_ne_u16_sdwa s2, v3, v23 src0_sel:BYTE_0 src1_sel:DWORD
	v_mov_b32_e32 v51, 0x8000
	s_and_saveexec_b32 s49, s2
	s_cbranch_execz .LBB282_169
; %bb.164:                              ;   in Loop: Header=BB282_13 Depth=1
	v_bfe_u32 v53, v11, 16, 7
	v_mov_b32_e32 v51, 0x7c01
	s_mov_b32 s50, exec_lo
	v_cmpx_ne_u32_e32 0x7f, v53
	s_cbranch_execz .LBB282_168
; %bb.165:                              ;   in Loop: Header=BB282_13 Depth=1
	v_and_b32_e32 v51, 7, v3
	v_lshrrev_b32_e32 v52, 3, v53
	s_mov_b32 s51, exec_lo
	v_cmpx_gt_u32_e32 8, v53
; %bb.166:                              ;   in Loop: Header=BB282_13 Depth=1
	v_ffbh_u32_e32 v51, v51
	v_min_u32_e32 v53, 32, v51
	v_subrev_nc_u32_e32 v51, 28, v53
	v_lshlrev_b64 v[51:52], v51, v[3:4]
	v_sub_nc_u32_e32 v52, 29, v53
	v_and_b32_e32 v51, 7, v51
; %bb.167:                              ;   in Loop: Header=BB282_13 Depth=1
	s_or_b32 exec_lo, exec_lo, s51
	v_lshlrev_b32_e32 v3, 8, v3
	v_lshl_add_u32 v52, v52, 10, 0x2000
	v_lshlrev_b32_e32 v51, 7, v51
	v_and_b32_e32 v3, 0x8000, v3
	v_and_b32_e32 v52, 0xfc00, v52
	v_or3_b32 v51, v3, v52, v51
.LBB282_168:                            ;   in Loop: Header=BB282_13 Depth=1
	s_or_b32 exec_lo, exec_lo, s50
.LBB282_169:                            ;   in Loop: Header=BB282_13 Depth=1
	s_or_b32 exec_lo, exec_lo, s49
.LBB282_170:                            ;   in Loop: Header=BB282_13 Depth=1
	s_or_b32 exec_lo, exec_lo, s48
	s_mov_b32 s48, exec_lo
	v_cmpx_lt_u32_e32 0xffffff, v11
	s_cbranch_execz .LBB282_178
; %bb.171:                              ;   in Loop: Header=BB282_13 Depth=1
	v_lshrrev_b32_e32 v3, 24, v11
	v_bfrev_b32_e32 v50, 1
	s_mov_b32 s49, exec_lo
	v_cmpx_ne_u32_e32 0x80, v3
	s_cbranch_execz .LBB282_177
; %bb.172:                              ;   in Loop: Header=BB282_13 Depth=1
	v_and_b32_e32 v52, 0x7f, v3
	v_mov_b32_e32 v50, 0x7c010000
	s_mov_b32 s50, exec_lo
	v_cmpx_ne_u32_e32 0x7f, v52
	s_cbranch_execz .LBB282_176
; %bb.173:                              ;   in Loop: Header=BB282_13 Depth=1
	v_and_b32_e32 v11, 7, v3
	v_lshrrev_b32_e32 v50, 3, v52
	s_mov_b32 s51, exec_lo
	v_cmpx_gt_u32_e32 8, v52
; %bb.174:                              ;   in Loop: Header=BB282_13 Depth=1
	v_ffbh_u32_e32 v11, v11
	v_min_u32_e32 v11, 32, v11
	v_subrev_nc_u32_e32 v50, 28, v11
	v_lshlrev_b64 v[52:53], v50, v[3:4]
	v_sub_nc_u32_e32 v50, 29, v11
	v_and_b32_e32 v11, 7, v52
; %bb.175:                              ;   in Loop: Header=BB282_13 Depth=1
	s_or_b32 exec_lo, exec_lo, s51
	v_lshlrev_b32_e32 v3, 8, v3
	v_lshl_add_u32 v50, v50, 10, 0x2000
	v_lshlrev_b32_e32 v11, 23, v11
	v_and_or_b32 v3, 0x8000, v3, v50
	v_lshl_or_b32 v50, v3, 16, v11
.LBB282_176:                            ;   in Loop: Header=BB282_13 Depth=1
	s_or_b32 exec_lo, exec_lo, s50
.LBB282_177:                            ;   in Loop: Header=BB282_13 Depth=1
	s_or_b32 exec_lo, exec_lo, s49
.LBB282_178:                            ;   in Loop: Header=BB282_13 Depth=1
	s_or_b32 exec_lo, exec_lo, s48
	global_load_dword v11, v[9:10], off offset:520
	v_mov_b32_e32 v52, 0
	v_mov_b32_e32 v53, 0
	s_waitcnt vmcnt(0)
	v_cmp_ne_u16_sdwa s2, v11, v4 src0_sel:BYTE_0 src1_sel:DWORD
	s_and_saveexec_b32 s48, s2
	s_cbranch_execz .LBB282_186
; %bb.179:                              ;   in Loop: Header=BB282_13 Depth=1
	v_cmp_ne_u16_sdwa s2, v11, v23 src0_sel:BYTE_0 src1_sel:DWORD
	v_mov_b32_e32 v53, 0x8000
	s_and_saveexec_b32 s49, s2
	s_cbranch_execz .LBB282_185
; %bb.180:                              ;   in Loop: Header=BB282_13 Depth=1
	v_and_b32_e32 v54, 0x7f, v11
	v_mov_b32_e32 v53, 0x7c01
	s_mov_b32 s50, exec_lo
	v_cmpx_ne_u32_e32 0x7f, v54
	s_cbranch_execz .LBB282_184
; %bb.181:                              ;   in Loop: Header=BB282_13 Depth=1
	v_and_b32_e32 v3, 7, v11
	v_lshrrev_b32_e32 v53, 3, v54
	s_mov_b32 s51, exec_lo
	v_cmpx_gt_u32_e32 8, v54
; %bb.182:                              ;   in Loop: Header=BB282_13 Depth=1
	v_ffbh_u32_e32 v3, v3
	v_min_u32_e32 v3, 32, v3
	v_subrev_nc_u32_e32 v53, 28, v3
	v_lshlrev_b64 v[54:55], v53, v[11:12]
	v_sub_nc_u32_e32 v53, 29, v3
	v_and_b32_e32 v3, 7, v54
; %bb.183:                              ;   in Loop: Header=BB282_13 Depth=1
	s_or_b32 exec_lo, exec_lo, s51
	v_lshlrev_b32_e32 v54, 8, v11
	v_lshl_add_u32 v53, v53, 10, 0x2000
	v_lshlrev_b32_e32 v3, 7, v3
	v_and_b32_e32 v54, 0x8000, v54
	v_and_b32_e32 v53, 0xfc00, v53
	v_or3_b32 v53, v54, v53, v3
.LBB282_184:                            ;   in Loop: Header=BB282_13 Depth=1
	s_or_b32 exec_lo, exec_lo, s50
.LBB282_185:                            ;   in Loop: Header=BB282_13 Depth=1
	s_or_b32 exec_lo, exec_lo, s49
.LBB282_186:                            ;   in Loop: Header=BB282_13 Depth=1
	s_or_b32 exec_lo, exec_lo, s48
	v_lshrrev_b16 v3, 8, v11
	s_mov_b32 s48, exec_lo
	v_cmpx_ne_u16_e32 0, v3
	s_cbranch_execz .LBB282_194
; %bb.187:                              ;   in Loop: Header=BB282_13 Depth=1
	v_bfrev_b32_e32 v52, 1
	s_mov_b32 s49, exec_lo
	v_cmpx_ne_u16_e32 0x80, v3
	s_cbranch_execz .LBB282_193
; %bb.188:                              ;   in Loop: Header=BB282_13 Depth=1
	v_and_b32_sdwa v55, v3, v24 dst_sel:DWORD dst_unused:UNUSED_PAD src0_sel:WORD_0 src1_sel:DWORD
	v_mov_b32_e32 v52, 0x7c010000
	s_mov_b32 s50, exec_lo
	v_cmpx_ne_u32_e32 0x7f, v55
	s_cbranch_execz .LBB282_192
; %bb.189:                              ;   in Loop: Header=BB282_13 Depth=1
	v_and_b32_sdwa v52, v3, v25 dst_sel:DWORD dst_unused:UNUSED_PAD src0_sel:WORD_0 src1_sel:DWORD
	v_lshrrev_b32_e32 v54, 3, v55
	s_mov_b32 s51, exec_lo
	v_cmpx_gt_u32_e32 8, v55
; %bb.190:                              ;   in Loop: Header=BB282_13 Depth=1
	v_ffbh_u32_e32 v52, v52
	v_min_u32_e32 v52, 32, v52
	v_subrev_nc_u32_e32 v54, 28, v52
	v_lshlrev_b64 v[55:56], v54, v[3:4]
	v_sub_nc_u32_e32 v54, 29, v52
	v_and_b32_e32 v52, 7, v55
; %bb.191:                              ;   in Loop: Header=BB282_13 Depth=1
	s_or_b32 exec_lo, exec_lo, s51
	v_lshlrev_b32_sdwa v3, v26, v3 dst_sel:DWORD dst_unused:UNUSED_PAD src0_sel:DWORD src1_sel:WORD_0
	v_lshl_add_u32 v54, v54, 10, 0x2000
	v_lshlrev_b32_e32 v52, 23, v52
	v_and_or_b32 v3, 0x8000, v3, v54
	v_lshl_or_b32 v52, v3, 16, v52
.LBB282_192:                            ;   in Loop: Header=BB282_13 Depth=1
	s_or_b32 exec_lo, exec_lo, s50
.LBB282_193:                            ;   in Loop: Header=BB282_13 Depth=1
	s_or_b32 exec_lo, exec_lo, s49
.LBB282_194:                            ;   in Loop: Header=BB282_13 Depth=1
	s_or_b32 exec_lo, exec_lo, s48
	v_lshrrev_b32_e32 v3, 16, v11
	v_mov_b32_e32 v54, 0
	v_mov_b32_e32 v55, 0
	v_cmp_ne_u16_sdwa s2, v3, v4 src0_sel:BYTE_0 src1_sel:DWORD
	s_and_saveexec_b32 s48, s2
	s_cbranch_execz .LBB282_202
; %bb.195:                              ;   in Loop: Header=BB282_13 Depth=1
	v_cmp_ne_u16_sdwa s2, v3, v23 src0_sel:BYTE_0 src1_sel:DWORD
	v_mov_b32_e32 v55, 0x8000
	s_and_saveexec_b32 s49, s2
	s_cbranch_execz .LBB282_201
; %bb.196:                              ;   in Loop: Header=BB282_13 Depth=1
	v_bfe_u32 v57, v11, 16, 7
	v_mov_b32_e32 v55, 0x7c01
	s_mov_b32 s50, exec_lo
	v_cmpx_ne_u32_e32 0x7f, v57
	s_cbranch_execz .LBB282_200
; %bb.197:                              ;   in Loop: Header=BB282_13 Depth=1
	v_and_b32_e32 v55, 7, v3
	v_lshrrev_b32_e32 v56, 3, v57
	s_mov_b32 s51, exec_lo
	v_cmpx_gt_u32_e32 8, v57
; %bb.198:                              ;   in Loop: Header=BB282_13 Depth=1
	v_ffbh_u32_e32 v55, v55
	v_min_u32_e32 v57, 32, v55
	v_subrev_nc_u32_e32 v55, 28, v57
	v_lshlrev_b64 v[55:56], v55, v[3:4]
	v_sub_nc_u32_e32 v56, 29, v57
	v_and_b32_e32 v55, 7, v55
; %bb.199:                              ;   in Loop: Header=BB282_13 Depth=1
	s_or_b32 exec_lo, exec_lo, s51
	v_lshlrev_b32_e32 v3, 8, v3
	v_lshl_add_u32 v56, v56, 10, 0x2000
	v_lshlrev_b32_e32 v55, 7, v55
	v_and_b32_e32 v3, 0x8000, v3
	v_and_b32_e32 v56, 0xfc00, v56
	v_or3_b32 v55, v3, v56, v55
.LBB282_200:                            ;   in Loop: Header=BB282_13 Depth=1
	s_or_b32 exec_lo, exec_lo, s50
.LBB282_201:                            ;   in Loop: Header=BB282_13 Depth=1
	s_or_b32 exec_lo, exec_lo, s49
.LBB282_202:                            ;   in Loop: Header=BB282_13 Depth=1
	s_or_b32 exec_lo, exec_lo, s48
	s_mov_b32 s48, exec_lo
	v_cmpx_lt_u32_e32 0xffffff, v11
	s_cbranch_execz .LBB282_210
; %bb.203:                              ;   in Loop: Header=BB282_13 Depth=1
	v_lshrrev_b32_e32 v3, 24, v11
	v_bfrev_b32_e32 v54, 1
	s_mov_b32 s49, exec_lo
	v_cmpx_ne_u32_e32 0x80, v3
	s_cbranch_execz .LBB282_209
; %bb.204:                              ;   in Loop: Header=BB282_13 Depth=1
	v_and_b32_e32 v56, 0x7f, v3
	v_mov_b32_e32 v54, 0x7c010000
	s_mov_b32 s50, exec_lo
	v_cmpx_ne_u32_e32 0x7f, v56
	s_cbranch_execz .LBB282_208
; %bb.205:                              ;   in Loop: Header=BB282_13 Depth=1
	v_and_b32_e32 v11, 7, v3
	v_lshrrev_b32_e32 v54, 3, v56
	s_mov_b32 s51, exec_lo
	v_cmpx_gt_u32_e32 8, v56
; %bb.206:                              ;   in Loop: Header=BB282_13 Depth=1
	v_ffbh_u32_e32 v11, v11
	v_min_u32_e32 v11, 32, v11
	v_subrev_nc_u32_e32 v54, 28, v11
	v_lshlrev_b64 v[56:57], v54, v[3:4]
	v_sub_nc_u32_e32 v54, 29, v11
	v_and_b32_e32 v11, 7, v56
; %bb.207:                              ;   in Loop: Header=BB282_13 Depth=1
	s_or_b32 exec_lo, exec_lo, s51
	v_lshlrev_b32_e32 v3, 8, v3
	v_lshl_add_u32 v54, v54, 10, 0x2000
	v_lshlrev_b32_e32 v11, 23, v11
	v_and_or_b32 v3, 0x8000, v3, v54
	v_lshl_or_b32 v54, v3, 16, v11
.LBB282_208:                            ;   in Loop: Header=BB282_13 Depth=1
	s_or_b32 exec_lo, exec_lo, s50
.LBB282_209:                            ;   in Loop: Header=BB282_13 Depth=1
	s_or_b32 exec_lo, exec_lo, s49
.LBB282_210:                            ;   in Loop: Header=BB282_13 Depth=1
	s_or_b32 exec_lo, exec_lo, s48
	global_load_dword v11, v[9:10], off offset:768
	v_mov_b32_e32 v56, 0
	v_mov_b32_e32 v57, 0
	s_waitcnt vmcnt(0)
	v_cmp_ne_u16_sdwa s2, v11, v4 src0_sel:BYTE_0 src1_sel:DWORD
	s_and_saveexec_b32 s48, s2
	s_cbranch_execz .LBB282_218
; %bb.211:                              ;   in Loop: Header=BB282_13 Depth=1
	v_cmp_ne_u16_sdwa s2, v11, v23 src0_sel:BYTE_0 src1_sel:DWORD
	v_mov_b32_e32 v57, 0x8000
	s_and_saveexec_b32 s49, s2
	s_cbranch_execz .LBB282_217
; %bb.212:                              ;   in Loop: Header=BB282_13 Depth=1
	v_and_b32_e32 v58, 0x7f, v11
	v_mov_b32_e32 v57, 0x7c01
	s_mov_b32 s50, exec_lo
	v_cmpx_ne_u32_e32 0x7f, v58
	s_cbranch_execz .LBB282_216
; %bb.213:                              ;   in Loop: Header=BB282_13 Depth=1
	v_and_b32_e32 v3, 7, v11
	v_lshrrev_b32_e32 v57, 3, v58
	s_mov_b32 s51, exec_lo
	v_cmpx_gt_u32_e32 8, v58
; %bb.214:                              ;   in Loop: Header=BB282_13 Depth=1
	v_ffbh_u32_e32 v3, v3
	v_min_u32_e32 v3, 32, v3
	v_subrev_nc_u32_e32 v57, 28, v3
	v_lshlrev_b64 v[58:59], v57, v[11:12]
	v_sub_nc_u32_e32 v57, 29, v3
	v_and_b32_e32 v3, 7, v58
; %bb.215:                              ;   in Loop: Header=BB282_13 Depth=1
	s_or_b32 exec_lo, exec_lo, s51
	v_lshlrev_b32_e32 v58, 8, v11
	v_lshl_add_u32 v57, v57, 10, 0x2000
	v_lshlrev_b32_e32 v3, 7, v3
	v_and_b32_e32 v58, 0x8000, v58
	v_and_b32_e32 v57, 0xfc00, v57
	v_or3_b32 v57, v58, v57, v3
.LBB282_216:                            ;   in Loop: Header=BB282_13 Depth=1
	s_or_b32 exec_lo, exec_lo, s50
.LBB282_217:                            ;   in Loop: Header=BB282_13 Depth=1
	s_or_b32 exec_lo, exec_lo, s49
.LBB282_218:                            ;   in Loop: Header=BB282_13 Depth=1
	s_or_b32 exec_lo, exec_lo, s48
	v_lshrrev_b16 v3, 8, v11
	s_mov_b32 s48, exec_lo
	v_cmpx_ne_u16_e32 0, v3
	s_cbranch_execz .LBB282_226
; %bb.219:                              ;   in Loop: Header=BB282_13 Depth=1
	v_bfrev_b32_e32 v56, 1
	s_mov_b32 s49, exec_lo
	v_cmpx_ne_u16_e32 0x80, v3
	s_cbranch_execz .LBB282_225
; %bb.220:                              ;   in Loop: Header=BB282_13 Depth=1
	v_and_b32_sdwa v59, v3, v24 dst_sel:DWORD dst_unused:UNUSED_PAD src0_sel:WORD_0 src1_sel:DWORD
	v_mov_b32_e32 v56, 0x7c010000
	s_mov_b32 s50, exec_lo
	v_cmpx_ne_u32_e32 0x7f, v59
	s_cbranch_execz .LBB282_224
; %bb.221:                              ;   in Loop: Header=BB282_13 Depth=1
	v_and_b32_sdwa v56, v3, v25 dst_sel:DWORD dst_unused:UNUSED_PAD src0_sel:WORD_0 src1_sel:DWORD
	v_lshrrev_b32_e32 v58, 3, v59
	s_mov_b32 s51, exec_lo
	v_cmpx_gt_u32_e32 8, v59
; %bb.222:                              ;   in Loop: Header=BB282_13 Depth=1
	v_ffbh_u32_e32 v56, v56
	v_min_u32_e32 v56, 32, v56
	v_subrev_nc_u32_e32 v58, 28, v56
	v_lshlrev_b64 v[59:60], v58, v[3:4]
	v_sub_nc_u32_e32 v58, 29, v56
	v_and_b32_e32 v56, 7, v59
; %bb.223:                              ;   in Loop: Header=BB282_13 Depth=1
	s_or_b32 exec_lo, exec_lo, s51
	v_lshlrev_b32_sdwa v3, v26, v3 dst_sel:DWORD dst_unused:UNUSED_PAD src0_sel:DWORD src1_sel:WORD_0
	v_lshl_add_u32 v58, v58, 10, 0x2000
	v_lshlrev_b32_e32 v56, 23, v56
	v_and_or_b32 v3, 0x8000, v3, v58
	v_lshl_or_b32 v56, v3, 16, v56
.LBB282_224:                            ;   in Loop: Header=BB282_13 Depth=1
	s_or_b32 exec_lo, exec_lo, s50
.LBB282_225:                            ;   in Loop: Header=BB282_13 Depth=1
	s_or_b32 exec_lo, exec_lo, s49
.LBB282_226:                            ;   in Loop: Header=BB282_13 Depth=1
	s_or_b32 exec_lo, exec_lo, s48
	v_lshrrev_b32_e32 v3, 16, v11
	v_mov_b32_e32 v58, 0
	v_mov_b32_e32 v59, 0
	v_cmp_ne_u16_sdwa s2, v3, v4 src0_sel:BYTE_0 src1_sel:DWORD
	s_and_saveexec_b32 s48, s2
	s_cbranch_execz .LBB282_234
; %bb.227:                              ;   in Loop: Header=BB282_13 Depth=1
	v_cmp_ne_u16_sdwa s2, v3, v23 src0_sel:BYTE_0 src1_sel:DWORD
	v_mov_b32_e32 v59, 0x8000
	s_and_saveexec_b32 s49, s2
	s_cbranch_execz .LBB282_233
; %bb.228:                              ;   in Loop: Header=BB282_13 Depth=1
	v_bfe_u32 v61, v11, 16, 7
	v_mov_b32_e32 v59, 0x7c01
	s_mov_b32 s50, exec_lo
	v_cmpx_ne_u32_e32 0x7f, v61
	s_cbranch_execz .LBB282_232
; %bb.229:                              ;   in Loop: Header=BB282_13 Depth=1
	v_and_b32_e32 v59, 7, v3
	v_lshrrev_b32_e32 v60, 3, v61
	s_mov_b32 s51, exec_lo
	v_cmpx_gt_u32_e32 8, v61
; %bb.230:                              ;   in Loop: Header=BB282_13 Depth=1
	v_ffbh_u32_e32 v59, v59
	v_min_u32_e32 v61, 32, v59
	v_subrev_nc_u32_e32 v59, 28, v61
	v_lshlrev_b64 v[59:60], v59, v[3:4]
	v_sub_nc_u32_e32 v60, 29, v61
	v_and_b32_e32 v59, 7, v59
; %bb.231:                              ;   in Loop: Header=BB282_13 Depth=1
	s_or_b32 exec_lo, exec_lo, s51
	v_lshlrev_b32_e32 v3, 8, v3
	v_lshl_add_u32 v60, v60, 10, 0x2000
	v_lshlrev_b32_e32 v59, 7, v59
	v_and_b32_e32 v3, 0x8000, v3
	v_and_b32_e32 v60, 0xfc00, v60
	v_or3_b32 v59, v3, v60, v59
.LBB282_232:                            ;   in Loop: Header=BB282_13 Depth=1
	s_or_b32 exec_lo, exec_lo, s50
.LBB282_233:                            ;   in Loop: Header=BB282_13 Depth=1
	s_or_b32 exec_lo, exec_lo, s49
.LBB282_234:                            ;   in Loop: Header=BB282_13 Depth=1
	s_or_b32 exec_lo, exec_lo, s48
	s_mov_b32 s48, exec_lo
	v_cmpx_lt_u32_e32 0xffffff, v11
	s_cbranch_execz .LBB282_242
; %bb.235:                              ;   in Loop: Header=BB282_13 Depth=1
	v_lshrrev_b32_e32 v3, 24, v11
	v_bfrev_b32_e32 v58, 1
	s_mov_b32 s49, exec_lo
	v_cmpx_ne_u32_e32 0x80, v3
	s_cbranch_execz .LBB282_241
; %bb.236:                              ;   in Loop: Header=BB282_13 Depth=1
	v_and_b32_e32 v60, 0x7f, v3
	v_mov_b32_e32 v58, 0x7c010000
	s_mov_b32 s50, exec_lo
	v_cmpx_ne_u32_e32 0x7f, v60
	s_cbranch_execz .LBB282_240
; %bb.237:                              ;   in Loop: Header=BB282_13 Depth=1
	v_and_b32_e32 v11, 7, v3
	v_lshrrev_b32_e32 v58, 3, v60
	s_mov_b32 s51, exec_lo
	v_cmpx_gt_u32_e32 8, v60
; %bb.238:                              ;   in Loop: Header=BB282_13 Depth=1
	v_ffbh_u32_e32 v11, v11
	v_min_u32_e32 v11, 32, v11
	v_subrev_nc_u32_e32 v58, 28, v11
	v_lshlrev_b64 v[60:61], v58, v[3:4]
	v_sub_nc_u32_e32 v58, 29, v11
	v_and_b32_e32 v11, 7, v60
; %bb.239:                              ;   in Loop: Header=BB282_13 Depth=1
	s_or_b32 exec_lo, exec_lo, s51
	v_lshlrev_b32_e32 v3, 8, v3
	v_lshl_add_u32 v58, v58, 10, 0x2000
	v_lshlrev_b32_e32 v11, 23, v11
	v_and_or_b32 v3, 0x8000, v3, v58
	v_lshl_or_b32 v58, v3, 16, v11
.LBB282_240:                            ;   in Loop: Header=BB282_13 Depth=1
	s_or_b32 exec_lo, exec_lo, s50
.LBB282_241:                            ;   in Loop: Header=BB282_13 Depth=1
	s_or_b32 exec_lo, exec_lo, s49
.LBB282_242:                            ;   in Loop: Header=BB282_13 Depth=1
	s_or_b32 exec_lo, exec_lo, s48
	global_load_dword v11, v[9:10], off offset:776
	v_mov_b32_e32 v60, 0
	v_mov_b32_e32 v61, 0
	s_waitcnt vmcnt(0)
	v_cmp_ne_u16_sdwa s2, v11, v4 src0_sel:BYTE_0 src1_sel:DWORD
	s_and_saveexec_b32 s48, s2
	s_cbranch_execz .LBB282_250
; %bb.243:                              ;   in Loop: Header=BB282_13 Depth=1
	v_cmp_ne_u16_sdwa s2, v11, v23 src0_sel:BYTE_0 src1_sel:DWORD
	v_mov_b32_e32 v61, 0x8000
	s_and_saveexec_b32 s49, s2
	s_cbranch_execz .LBB282_249
; %bb.244:                              ;   in Loop: Header=BB282_13 Depth=1
	v_and_b32_e32 v62, 0x7f, v11
	v_mov_b32_e32 v61, 0x7c01
	s_mov_b32 s50, exec_lo
	v_cmpx_ne_u32_e32 0x7f, v62
	s_cbranch_execz .LBB282_248
; %bb.245:                              ;   in Loop: Header=BB282_13 Depth=1
	v_and_b32_e32 v3, 7, v11
	v_lshrrev_b32_e32 v61, 3, v62
	s_mov_b32 s51, exec_lo
	v_cmpx_gt_u32_e32 8, v62
; %bb.246:                              ;   in Loop: Header=BB282_13 Depth=1
	v_ffbh_u32_e32 v3, v3
	v_min_u32_e32 v3, 32, v3
	v_subrev_nc_u32_e32 v61, 28, v3
	v_lshlrev_b64 v[62:63], v61, v[11:12]
	v_sub_nc_u32_e32 v61, 29, v3
	v_and_b32_e32 v3, 7, v62
; %bb.247:                              ;   in Loop: Header=BB282_13 Depth=1
	s_or_b32 exec_lo, exec_lo, s51
	v_lshlrev_b32_e32 v62, 8, v11
	v_lshl_add_u32 v61, v61, 10, 0x2000
	v_lshlrev_b32_e32 v3, 7, v3
	v_and_b32_e32 v62, 0x8000, v62
	v_and_b32_e32 v61, 0xfc00, v61
	v_or3_b32 v61, v62, v61, v3
.LBB282_248:                            ;   in Loop: Header=BB282_13 Depth=1
	s_or_b32 exec_lo, exec_lo, s50
.LBB282_249:                            ;   in Loop: Header=BB282_13 Depth=1
	s_or_b32 exec_lo, exec_lo, s49
.LBB282_250:                            ;   in Loop: Header=BB282_13 Depth=1
	s_or_b32 exec_lo, exec_lo, s48
	v_lshrrev_b16 v3, 8, v11
	s_mov_b32 s48, exec_lo
	v_cmpx_ne_u16_e32 0, v3
	s_cbranch_execz .LBB282_258
; %bb.251:                              ;   in Loop: Header=BB282_13 Depth=1
	v_bfrev_b32_e32 v60, 1
	s_mov_b32 s49, exec_lo
	v_cmpx_ne_u16_e32 0x80, v3
	s_cbranch_execz .LBB282_257
; %bb.252:                              ;   in Loop: Header=BB282_13 Depth=1
	v_and_b32_sdwa v63, v3, v24 dst_sel:DWORD dst_unused:UNUSED_PAD src0_sel:WORD_0 src1_sel:DWORD
	v_mov_b32_e32 v60, 0x7c010000
	s_mov_b32 s50, exec_lo
	v_cmpx_ne_u32_e32 0x7f, v63
	s_cbranch_execz .LBB282_256
; %bb.253:                              ;   in Loop: Header=BB282_13 Depth=1
	v_and_b32_sdwa v60, v3, v25 dst_sel:DWORD dst_unused:UNUSED_PAD src0_sel:WORD_0 src1_sel:DWORD
	v_lshrrev_b32_e32 v62, 3, v63
	s_mov_b32 s51, exec_lo
	v_cmpx_gt_u32_e32 8, v63
; %bb.254:                              ;   in Loop: Header=BB282_13 Depth=1
	v_ffbh_u32_e32 v60, v60
	v_min_u32_e32 v60, 32, v60
	v_subrev_nc_u32_e32 v62, 28, v60
	v_lshlrev_b64 v[63:64], v62, v[3:4]
	v_sub_nc_u32_e32 v62, 29, v60
	v_and_b32_e32 v60, 7, v63
; %bb.255:                              ;   in Loop: Header=BB282_13 Depth=1
	s_or_b32 exec_lo, exec_lo, s51
	v_lshlrev_b32_sdwa v3, v26, v3 dst_sel:DWORD dst_unused:UNUSED_PAD src0_sel:DWORD src1_sel:WORD_0
	v_lshl_add_u32 v62, v62, 10, 0x2000
	v_lshlrev_b32_e32 v60, 23, v60
	v_and_or_b32 v3, 0x8000, v3, v62
	v_lshl_or_b32 v60, v3, 16, v60
.LBB282_256:                            ;   in Loop: Header=BB282_13 Depth=1
	s_or_b32 exec_lo, exec_lo, s50
.LBB282_257:                            ;   in Loop: Header=BB282_13 Depth=1
	s_or_b32 exec_lo, exec_lo, s49
.LBB282_258:                            ;   in Loop: Header=BB282_13 Depth=1
	s_or_b32 exec_lo, exec_lo, s48
	v_lshrrev_b32_e32 v3, 16, v11
	v_mov_b32_e32 v62, 0
	v_mov_b32_e32 v63, 0
	v_cmp_ne_u16_sdwa s2, v3, v4 src0_sel:BYTE_0 src1_sel:DWORD
	s_and_saveexec_b32 s48, s2
	s_cbranch_execz .LBB282_266
; %bb.259:                              ;   in Loop: Header=BB282_13 Depth=1
	v_cmp_ne_u16_sdwa s2, v3, v23 src0_sel:BYTE_0 src1_sel:DWORD
	v_mov_b32_e32 v63, 0x8000
	s_and_saveexec_b32 s49, s2
	s_cbranch_execz .LBB282_265
; %bb.260:                              ;   in Loop: Header=BB282_13 Depth=1
	v_bfe_u32 v65, v11, 16, 7
	v_mov_b32_e32 v63, 0x7c01
	s_mov_b32 s50, exec_lo
	v_cmpx_ne_u32_e32 0x7f, v65
	s_cbranch_execz .LBB282_264
; %bb.261:                              ;   in Loop: Header=BB282_13 Depth=1
	v_and_b32_e32 v63, 7, v3
	v_lshrrev_b32_e32 v64, 3, v65
	s_mov_b32 s51, exec_lo
	v_cmpx_gt_u32_e32 8, v65
; %bb.262:                              ;   in Loop: Header=BB282_13 Depth=1
	v_ffbh_u32_e32 v63, v63
	v_min_u32_e32 v65, 32, v63
	v_subrev_nc_u32_e32 v63, 28, v65
	v_lshlrev_b64 v[63:64], v63, v[3:4]
	v_sub_nc_u32_e32 v64, 29, v65
	v_and_b32_e32 v63, 7, v63
; %bb.263:                              ;   in Loop: Header=BB282_13 Depth=1
	s_or_b32 exec_lo, exec_lo, s51
	v_lshlrev_b32_e32 v3, 8, v3
	v_lshl_add_u32 v64, v64, 10, 0x2000
	v_lshlrev_b32_e32 v63, 7, v63
	v_and_b32_e32 v3, 0x8000, v3
	v_and_b32_e32 v64, 0xfc00, v64
	v_or3_b32 v63, v3, v64, v63
.LBB282_264:                            ;   in Loop: Header=BB282_13 Depth=1
	s_or_b32 exec_lo, exec_lo, s50
.LBB282_265:                            ;   in Loop: Header=BB282_13 Depth=1
	s_or_b32 exec_lo, exec_lo, s49
.LBB282_266:                            ;   in Loop: Header=BB282_13 Depth=1
	s_or_b32 exec_lo, exec_lo, s48
	s_mov_b32 s48, exec_lo
	v_cmpx_lt_u32_e32 0xffffff, v11
	s_cbranch_execz .LBB282_274
; %bb.267:                              ;   in Loop: Header=BB282_13 Depth=1
	v_lshrrev_b32_e32 v3, 24, v11
	v_bfrev_b32_e32 v62, 1
	s_mov_b32 s49, exec_lo
	v_cmpx_ne_u32_e32 0x80, v3
	s_cbranch_execz .LBB282_273
; %bb.268:                              ;   in Loop: Header=BB282_13 Depth=1
	v_and_b32_e32 v64, 0x7f, v3
	v_mov_b32_e32 v62, 0x7c010000
	s_mov_b32 s50, exec_lo
	v_cmpx_ne_u32_e32 0x7f, v64
	s_cbranch_execz .LBB282_272
; %bb.269:                              ;   in Loop: Header=BB282_13 Depth=1
	v_and_b32_e32 v11, 7, v3
	v_lshrrev_b32_e32 v62, 3, v64
	s_mov_b32 s51, exec_lo
	v_cmpx_gt_u32_e32 8, v64
; %bb.270:                              ;   in Loop: Header=BB282_13 Depth=1
	v_ffbh_u32_e32 v11, v11
	v_min_u32_e32 v11, 32, v11
	v_subrev_nc_u32_e32 v62, 28, v11
	v_lshlrev_b64 v[64:65], v62, v[3:4]
	v_sub_nc_u32_e32 v62, 29, v11
	v_and_b32_e32 v11, 7, v64
; %bb.271:                              ;   in Loop: Header=BB282_13 Depth=1
	s_or_b32 exec_lo, exec_lo, s51
	v_lshlrev_b32_e32 v3, 8, v3
	v_lshl_add_u32 v62, v62, 10, 0x2000
	v_lshlrev_b32_e32 v11, 23, v11
	v_and_or_b32 v3, 0x8000, v3, v62
	v_lshl_or_b32 v62, v3, 16, v11
.LBB282_272:                            ;   in Loop: Header=BB282_13 Depth=1
	s_or_b32 exec_lo, exec_lo, s50
.LBB282_273:                            ;   in Loop: Header=BB282_13 Depth=1
	s_or_b32 exec_lo, exec_lo, s49
.LBB282_274:                            ;   in Loop: Header=BB282_13 Depth=1
	s_or_b32 exec_lo, exec_lo, s48
	global_load_dword v11, v[9:10], off offset:1024
	v_mov_b32_e32 v64, 0
	v_mov_b32_e32 v65, 0
	s_waitcnt vmcnt(0)
	v_cmp_ne_u16_sdwa s2, v11, v4 src0_sel:BYTE_0 src1_sel:DWORD
	s_and_saveexec_b32 s48, s2
	s_cbranch_execz .LBB282_282
; %bb.275:                              ;   in Loop: Header=BB282_13 Depth=1
	v_cmp_ne_u16_sdwa s2, v11, v23 src0_sel:BYTE_0 src1_sel:DWORD
	v_mov_b32_e32 v65, 0x8000
	s_and_saveexec_b32 s49, s2
	s_cbranch_execz .LBB282_281
; %bb.276:                              ;   in Loop: Header=BB282_13 Depth=1
	v_and_b32_e32 v66, 0x7f, v11
	v_mov_b32_e32 v65, 0x7c01
	s_mov_b32 s50, exec_lo
	v_cmpx_ne_u32_e32 0x7f, v66
	s_cbranch_execz .LBB282_280
; %bb.277:                              ;   in Loop: Header=BB282_13 Depth=1
	v_and_b32_e32 v3, 7, v11
	v_lshrrev_b32_e32 v65, 3, v66
	s_mov_b32 s51, exec_lo
	v_cmpx_gt_u32_e32 8, v66
; %bb.278:                              ;   in Loop: Header=BB282_13 Depth=1
	v_ffbh_u32_e32 v3, v3
	v_min_u32_e32 v3, 32, v3
	v_subrev_nc_u32_e32 v65, 28, v3
	v_lshlrev_b64 v[66:67], v65, v[11:12]
	v_sub_nc_u32_e32 v65, 29, v3
	v_and_b32_e32 v3, 7, v66
; %bb.279:                              ;   in Loop: Header=BB282_13 Depth=1
	s_or_b32 exec_lo, exec_lo, s51
	v_lshlrev_b32_e32 v66, 8, v11
	v_lshl_add_u32 v65, v65, 10, 0x2000
	v_lshlrev_b32_e32 v3, 7, v3
	v_and_b32_e32 v66, 0x8000, v66
	v_and_b32_e32 v65, 0xfc00, v65
	v_or3_b32 v65, v66, v65, v3
.LBB282_280:                            ;   in Loop: Header=BB282_13 Depth=1
	s_or_b32 exec_lo, exec_lo, s50
.LBB282_281:                            ;   in Loop: Header=BB282_13 Depth=1
	s_or_b32 exec_lo, exec_lo, s49
.LBB282_282:                            ;   in Loop: Header=BB282_13 Depth=1
	s_or_b32 exec_lo, exec_lo, s48
	v_lshrrev_b16 v3, 8, v11
	s_mov_b32 s48, exec_lo
	v_cmpx_ne_u16_e32 0, v3
	s_cbranch_execz .LBB282_290
; %bb.283:                              ;   in Loop: Header=BB282_13 Depth=1
	v_bfrev_b32_e32 v64, 1
	s_mov_b32 s49, exec_lo
	v_cmpx_ne_u16_e32 0x80, v3
	s_cbranch_execz .LBB282_289
; %bb.284:                              ;   in Loop: Header=BB282_13 Depth=1
	v_and_b32_sdwa v67, v3, v24 dst_sel:DWORD dst_unused:UNUSED_PAD src0_sel:WORD_0 src1_sel:DWORD
	v_mov_b32_e32 v64, 0x7c010000
	s_mov_b32 s50, exec_lo
	v_cmpx_ne_u32_e32 0x7f, v67
	s_cbranch_execz .LBB282_288
; %bb.285:                              ;   in Loop: Header=BB282_13 Depth=1
	v_and_b32_sdwa v64, v3, v25 dst_sel:DWORD dst_unused:UNUSED_PAD src0_sel:WORD_0 src1_sel:DWORD
	v_lshrrev_b32_e32 v66, 3, v67
	s_mov_b32 s51, exec_lo
	v_cmpx_gt_u32_e32 8, v67
; %bb.286:                              ;   in Loop: Header=BB282_13 Depth=1
	v_ffbh_u32_e32 v64, v64
	v_min_u32_e32 v64, 32, v64
	v_subrev_nc_u32_e32 v66, 28, v64
	v_lshlrev_b64 v[67:68], v66, v[3:4]
	v_sub_nc_u32_e32 v66, 29, v64
	v_and_b32_e32 v64, 7, v67
; %bb.287:                              ;   in Loop: Header=BB282_13 Depth=1
	s_or_b32 exec_lo, exec_lo, s51
	v_lshlrev_b32_sdwa v3, v26, v3 dst_sel:DWORD dst_unused:UNUSED_PAD src0_sel:DWORD src1_sel:WORD_0
	v_lshl_add_u32 v66, v66, 10, 0x2000
	v_lshlrev_b32_e32 v64, 23, v64
	v_and_or_b32 v3, 0x8000, v3, v66
	v_lshl_or_b32 v64, v3, 16, v64
.LBB282_288:                            ;   in Loop: Header=BB282_13 Depth=1
	s_or_b32 exec_lo, exec_lo, s50
.LBB282_289:                            ;   in Loop: Header=BB282_13 Depth=1
	s_or_b32 exec_lo, exec_lo, s49
.LBB282_290:                            ;   in Loop: Header=BB282_13 Depth=1
	s_or_b32 exec_lo, exec_lo, s48
	v_lshrrev_b32_e32 v3, 16, v11
	v_mov_b32_e32 v66, 0
	v_mov_b32_e32 v67, 0
	v_cmp_ne_u16_sdwa s2, v3, v4 src0_sel:BYTE_0 src1_sel:DWORD
	s_and_saveexec_b32 s48, s2
	s_cbranch_execz .LBB282_298
; %bb.291:                              ;   in Loop: Header=BB282_13 Depth=1
	v_cmp_ne_u16_sdwa s2, v3, v23 src0_sel:BYTE_0 src1_sel:DWORD
	v_mov_b32_e32 v67, 0x8000
	s_and_saveexec_b32 s49, s2
	s_cbranch_execz .LBB282_297
; %bb.292:                              ;   in Loop: Header=BB282_13 Depth=1
	v_bfe_u32 v69, v11, 16, 7
	v_mov_b32_e32 v67, 0x7c01
	s_mov_b32 s50, exec_lo
	v_cmpx_ne_u32_e32 0x7f, v69
	s_cbranch_execz .LBB282_296
; %bb.293:                              ;   in Loop: Header=BB282_13 Depth=1
	v_and_b32_e32 v67, 7, v3
	v_lshrrev_b32_e32 v68, 3, v69
	s_mov_b32 s51, exec_lo
	v_cmpx_gt_u32_e32 8, v69
; %bb.294:                              ;   in Loop: Header=BB282_13 Depth=1
	v_ffbh_u32_e32 v67, v67
	v_min_u32_e32 v69, 32, v67
	v_subrev_nc_u32_e32 v67, 28, v69
	v_lshlrev_b64 v[67:68], v67, v[3:4]
	v_sub_nc_u32_e32 v68, 29, v69
	v_and_b32_e32 v67, 7, v67
; %bb.295:                              ;   in Loop: Header=BB282_13 Depth=1
	s_or_b32 exec_lo, exec_lo, s51
	v_lshlrev_b32_e32 v3, 8, v3
	v_lshl_add_u32 v68, v68, 10, 0x2000
	v_lshlrev_b32_e32 v67, 7, v67
	v_and_b32_e32 v3, 0x8000, v3
	v_and_b32_e32 v68, 0xfc00, v68
	v_or3_b32 v67, v3, v68, v67
.LBB282_296:                            ;   in Loop: Header=BB282_13 Depth=1
	s_or_b32 exec_lo, exec_lo, s50
.LBB282_297:                            ;   in Loop: Header=BB282_13 Depth=1
	s_or_b32 exec_lo, exec_lo, s49
.LBB282_298:                            ;   in Loop: Header=BB282_13 Depth=1
	s_or_b32 exec_lo, exec_lo, s48
	s_mov_b32 s48, exec_lo
	v_cmpx_lt_u32_e32 0xffffff, v11
	s_cbranch_execz .LBB282_306
; %bb.299:                              ;   in Loop: Header=BB282_13 Depth=1
	v_lshrrev_b32_e32 v3, 24, v11
	v_bfrev_b32_e32 v66, 1
	s_mov_b32 s49, exec_lo
	v_cmpx_ne_u32_e32 0x80, v3
	s_cbranch_execz .LBB282_305
; %bb.300:                              ;   in Loop: Header=BB282_13 Depth=1
	v_and_b32_e32 v68, 0x7f, v3
	v_mov_b32_e32 v66, 0x7c010000
	s_mov_b32 s50, exec_lo
	v_cmpx_ne_u32_e32 0x7f, v68
	s_cbranch_execz .LBB282_304
; %bb.301:                              ;   in Loop: Header=BB282_13 Depth=1
	v_and_b32_e32 v11, 7, v3
	v_lshrrev_b32_e32 v66, 3, v68
	s_mov_b32 s51, exec_lo
	v_cmpx_gt_u32_e32 8, v68
; %bb.302:                              ;   in Loop: Header=BB282_13 Depth=1
	v_ffbh_u32_e32 v11, v11
	v_min_u32_e32 v11, 32, v11
	v_subrev_nc_u32_e32 v66, 28, v11
	v_lshlrev_b64 v[68:69], v66, v[3:4]
	v_sub_nc_u32_e32 v66, 29, v11
	v_and_b32_e32 v11, 7, v68
; %bb.303:                              ;   in Loop: Header=BB282_13 Depth=1
	s_or_b32 exec_lo, exec_lo, s51
	v_lshlrev_b32_e32 v3, 8, v3
	v_lshl_add_u32 v66, v66, 10, 0x2000
	v_lshlrev_b32_e32 v11, 23, v11
	v_and_or_b32 v3, 0x8000, v3, v66
	v_lshl_or_b32 v66, v3, 16, v11
.LBB282_304:                            ;   in Loop: Header=BB282_13 Depth=1
	s_or_b32 exec_lo, exec_lo, s50
.LBB282_305:                            ;   in Loop: Header=BB282_13 Depth=1
	s_or_b32 exec_lo, exec_lo, s49
.LBB282_306:                            ;   in Loop: Header=BB282_13 Depth=1
	s_or_b32 exec_lo, exec_lo, s48
	global_load_dword v11, v[9:10], off offset:1032
	v_mov_b32_e32 v68, 0
	v_mov_b32_e32 v69, 0
	s_waitcnt vmcnt(0)
	v_cmp_ne_u16_sdwa s2, v11, v4 src0_sel:BYTE_0 src1_sel:DWORD
	s_and_saveexec_b32 s48, s2
	s_cbranch_execz .LBB282_314
; %bb.307:                              ;   in Loop: Header=BB282_13 Depth=1
	v_cmp_ne_u16_sdwa s2, v11, v23 src0_sel:BYTE_0 src1_sel:DWORD
	v_mov_b32_e32 v69, 0x8000
	s_and_saveexec_b32 s49, s2
	s_cbranch_execz .LBB282_313
; %bb.308:                              ;   in Loop: Header=BB282_13 Depth=1
	v_and_b32_e32 v70, 0x7f, v11
	v_mov_b32_e32 v69, 0x7c01
	s_mov_b32 s50, exec_lo
	v_cmpx_ne_u32_e32 0x7f, v70
	s_cbranch_execz .LBB282_312
; %bb.309:                              ;   in Loop: Header=BB282_13 Depth=1
	v_and_b32_e32 v3, 7, v11
	v_lshrrev_b32_e32 v69, 3, v70
	s_mov_b32 s51, exec_lo
	v_cmpx_gt_u32_e32 8, v70
; %bb.310:                              ;   in Loop: Header=BB282_13 Depth=1
	v_ffbh_u32_e32 v3, v3
	v_min_u32_e32 v3, 32, v3
	v_subrev_nc_u32_e32 v69, 28, v3
	v_lshlrev_b64 v[70:71], v69, v[11:12]
	v_sub_nc_u32_e32 v69, 29, v3
	v_and_b32_e32 v3, 7, v70
; %bb.311:                              ;   in Loop: Header=BB282_13 Depth=1
	s_or_b32 exec_lo, exec_lo, s51
	v_lshlrev_b32_e32 v70, 8, v11
	v_lshl_add_u32 v69, v69, 10, 0x2000
	v_lshlrev_b32_e32 v3, 7, v3
	v_and_b32_e32 v70, 0x8000, v70
	v_and_b32_e32 v69, 0xfc00, v69
	v_or3_b32 v69, v70, v69, v3
.LBB282_312:                            ;   in Loop: Header=BB282_13 Depth=1
	s_or_b32 exec_lo, exec_lo, s50
.LBB282_313:                            ;   in Loop: Header=BB282_13 Depth=1
	s_or_b32 exec_lo, exec_lo, s49
.LBB282_314:                            ;   in Loop: Header=BB282_13 Depth=1
	s_or_b32 exec_lo, exec_lo, s48
	v_lshrrev_b16 v3, 8, v11
	s_mov_b32 s48, exec_lo
	v_cmpx_ne_u16_e32 0, v3
	s_cbranch_execz .LBB282_322
; %bb.315:                              ;   in Loop: Header=BB282_13 Depth=1
	v_bfrev_b32_e32 v68, 1
	s_mov_b32 s49, exec_lo
	v_cmpx_ne_u16_e32 0x80, v3
	s_cbranch_execz .LBB282_321
; %bb.316:                              ;   in Loop: Header=BB282_13 Depth=1
	v_and_b32_sdwa v71, v3, v24 dst_sel:DWORD dst_unused:UNUSED_PAD src0_sel:WORD_0 src1_sel:DWORD
	v_mov_b32_e32 v68, 0x7c010000
	s_mov_b32 s50, exec_lo
	v_cmpx_ne_u32_e32 0x7f, v71
	s_cbranch_execz .LBB282_320
; %bb.317:                              ;   in Loop: Header=BB282_13 Depth=1
	v_and_b32_sdwa v68, v3, v25 dst_sel:DWORD dst_unused:UNUSED_PAD src0_sel:WORD_0 src1_sel:DWORD
	v_lshrrev_b32_e32 v70, 3, v71
	s_mov_b32 s51, exec_lo
	v_cmpx_gt_u32_e32 8, v71
; %bb.318:                              ;   in Loop: Header=BB282_13 Depth=1
	v_ffbh_u32_e32 v68, v68
	v_min_u32_e32 v68, 32, v68
	v_subrev_nc_u32_e32 v70, 28, v68
	v_lshlrev_b64 v[71:72], v70, v[3:4]
	v_sub_nc_u32_e32 v70, 29, v68
	v_and_b32_e32 v68, 7, v71
; %bb.319:                              ;   in Loop: Header=BB282_13 Depth=1
	s_or_b32 exec_lo, exec_lo, s51
	v_lshlrev_b32_sdwa v3, v26, v3 dst_sel:DWORD dst_unused:UNUSED_PAD src0_sel:DWORD src1_sel:WORD_0
	v_lshl_add_u32 v70, v70, 10, 0x2000
	v_lshlrev_b32_e32 v68, 23, v68
	v_and_or_b32 v3, 0x8000, v3, v70
	v_lshl_or_b32 v68, v3, 16, v68
.LBB282_320:                            ;   in Loop: Header=BB282_13 Depth=1
	s_or_b32 exec_lo, exec_lo, s50
.LBB282_321:                            ;   in Loop: Header=BB282_13 Depth=1
	s_or_b32 exec_lo, exec_lo, s49
.LBB282_322:                            ;   in Loop: Header=BB282_13 Depth=1
	s_or_b32 exec_lo, exec_lo, s48
	v_lshrrev_b32_e32 v3, 16, v11
	v_mov_b32_e32 v70, 0
	v_mov_b32_e32 v71, 0
	v_cmp_ne_u16_sdwa s2, v3, v4 src0_sel:BYTE_0 src1_sel:DWORD
	s_and_saveexec_b32 s48, s2
	s_cbranch_execz .LBB282_330
; %bb.323:                              ;   in Loop: Header=BB282_13 Depth=1
	v_cmp_ne_u16_sdwa s2, v3, v23 src0_sel:BYTE_0 src1_sel:DWORD
	v_mov_b32_e32 v71, 0x8000
	s_and_saveexec_b32 s49, s2
	s_cbranch_execz .LBB282_329
; %bb.324:                              ;   in Loop: Header=BB282_13 Depth=1
	v_bfe_u32 v73, v11, 16, 7
	v_mov_b32_e32 v71, 0x7c01
	s_mov_b32 s50, exec_lo
	v_cmpx_ne_u32_e32 0x7f, v73
	s_cbranch_execz .LBB282_328
; %bb.325:                              ;   in Loop: Header=BB282_13 Depth=1
	v_and_b32_e32 v71, 7, v3
	v_lshrrev_b32_e32 v72, 3, v73
	s_mov_b32 s51, exec_lo
	v_cmpx_gt_u32_e32 8, v73
; %bb.326:                              ;   in Loop: Header=BB282_13 Depth=1
	v_ffbh_u32_e32 v71, v71
	v_min_u32_e32 v73, 32, v71
	v_subrev_nc_u32_e32 v71, 28, v73
	v_lshlrev_b64 v[71:72], v71, v[3:4]
	v_sub_nc_u32_e32 v72, 29, v73
	v_and_b32_e32 v71, 7, v71
; %bb.327:                              ;   in Loop: Header=BB282_13 Depth=1
	s_or_b32 exec_lo, exec_lo, s51
	v_lshlrev_b32_e32 v3, 8, v3
	v_lshl_add_u32 v72, v72, 10, 0x2000
	v_lshlrev_b32_e32 v71, 7, v71
	v_and_b32_e32 v3, 0x8000, v3
	v_and_b32_e32 v72, 0xfc00, v72
	v_or3_b32 v71, v3, v72, v71
.LBB282_328:                            ;   in Loop: Header=BB282_13 Depth=1
	s_or_b32 exec_lo, exec_lo, s50
.LBB282_329:                            ;   in Loop: Header=BB282_13 Depth=1
	s_or_b32 exec_lo, exec_lo, s49
.LBB282_330:                            ;   in Loop: Header=BB282_13 Depth=1
	s_or_b32 exec_lo, exec_lo, s48
	s_mov_b32 s48, exec_lo
	v_cmpx_lt_u32_e32 0xffffff, v11
	s_cbranch_execz .LBB282_338
; %bb.331:                              ;   in Loop: Header=BB282_13 Depth=1
	v_lshrrev_b32_e32 v3, 24, v11
	v_bfrev_b32_e32 v70, 1
	s_mov_b32 s49, exec_lo
	v_cmpx_ne_u32_e32 0x80, v3
	s_cbranch_execz .LBB282_337
; %bb.332:                              ;   in Loop: Header=BB282_13 Depth=1
	v_and_b32_e32 v72, 0x7f, v3
	v_mov_b32_e32 v70, 0x7c010000
	s_mov_b32 s50, exec_lo
	v_cmpx_ne_u32_e32 0x7f, v72
	s_cbranch_execz .LBB282_336
; %bb.333:                              ;   in Loop: Header=BB282_13 Depth=1
	v_and_b32_e32 v11, 7, v3
	v_lshrrev_b32_e32 v70, 3, v72
	s_mov_b32 s51, exec_lo
	v_cmpx_gt_u32_e32 8, v72
; %bb.334:                              ;   in Loop: Header=BB282_13 Depth=1
	v_ffbh_u32_e32 v11, v11
	v_min_u32_e32 v11, 32, v11
	v_subrev_nc_u32_e32 v70, 28, v11
	v_lshlrev_b64 v[72:73], v70, v[3:4]
	v_sub_nc_u32_e32 v70, 29, v11
	v_and_b32_e32 v11, 7, v72
; %bb.335:                              ;   in Loop: Header=BB282_13 Depth=1
	s_or_b32 exec_lo, exec_lo, s51
	v_lshlrev_b32_e32 v3, 8, v3
	v_lshl_add_u32 v70, v70, 10, 0x2000
	v_lshlrev_b32_e32 v11, 23, v11
	v_and_or_b32 v3, 0x8000, v3, v70
	v_lshl_or_b32 v70, v3, 16, v11
.LBB282_336:                            ;   in Loop: Header=BB282_13 Depth=1
	s_or_b32 exec_lo, exec_lo, s50
.LBB282_337:                            ;   in Loop: Header=BB282_13 Depth=1
	s_or_b32 exec_lo, exec_lo, s49
.LBB282_338:                            ;   in Loop: Header=BB282_13 Depth=1
	s_or_b32 exec_lo, exec_lo, s48
	global_load_dword v11, v[9:10], off offset:1280
	v_mov_b32_e32 v72, 0
	v_mov_b32_e32 v73, 0
	s_waitcnt vmcnt(0)
	v_cmp_ne_u16_sdwa s2, v11, v4 src0_sel:BYTE_0 src1_sel:DWORD
	s_and_saveexec_b32 s48, s2
	s_cbranch_execz .LBB282_346
; %bb.339:                              ;   in Loop: Header=BB282_13 Depth=1
	v_cmp_ne_u16_sdwa s2, v11, v23 src0_sel:BYTE_0 src1_sel:DWORD
	v_mov_b32_e32 v73, 0x8000
	s_and_saveexec_b32 s49, s2
	s_cbranch_execz .LBB282_345
; %bb.340:                              ;   in Loop: Header=BB282_13 Depth=1
	v_and_b32_e32 v74, 0x7f, v11
	v_mov_b32_e32 v73, 0x7c01
	s_mov_b32 s50, exec_lo
	v_cmpx_ne_u32_e32 0x7f, v74
	s_cbranch_execz .LBB282_344
; %bb.341:                              ;   in Loop: Header=BB282_13 Depth=1
	v_and_b32_e32 v3, 7, v11
	v_lshrrev_b32_e32 v73, 3, v74
	s_mov_b32 s51, exec_lo
	v_cmpx_gt_u32_e32 8, v74
; %bb.342:                              ;   in Loop: Header=BB282_13 Depth=1
	v_ffbh_u32_e32 v3, v3
	v_min_u32_e32 v3, 32, v3
	v_subrev_nc_u32_e32 v73, 28, v3
	v_lshlrev_b64 v[74:75], v73, v[11:12]
	v_sub_nc_u32_e32 v73, 29, v3
	v_and_b32_e32 v3, 7, v74
; %bb.343:                              ;   in Loop: Header=BB282_13 Depth=1
	s_or_b32 exec_lo, exec_lo, s51
	v_lshlrev_b32_e32 v74, 8, v11
	v_lshl_add_u32 v73, v73, 10, 0x2000
	v_lshlrev_b32_e32 v3, 7, v3
	v_and_b32_e32 v74, 0x8000, v74
	v_and_b32_e32 v73, 0xfc00, v73
	v_or3_b32 v73, v74, v73, v3
.LBB282_344:                            ;   in Loop: Header=BB282_13 Depth=1
	s_or_b32 exec_lo, exec_lo, s50
.LBB282_345:                            ;   in Loop: Header=BB282_13 Depth=1
	s_or_b32 exec_lo, exec_lo, s49
.LBB282_346:                            ;   in Loop: Header=BB282_13 Depth=1
	s_or_b32 exec_lo, exec_lo, s48
	v_lshrrev_b16 v3, 8, v11
	s_mov_b32 s48, exec_lo
	v_cmpx_ne_u16_e32 0, v3
	s_cbranch_execz .LBB282_354
; %bb.347:                              ;   in Loop: Header=BB282_13 Depth=1
	v_bfrev_b32_e32 v72, 1
	s_mov_b32 s49, exec_lo
	v_cmpx_ne_u16_e32 0x80, v3
	s_cbranch_execz .LBB282_353
; %bb.348:                              ;   in Loop: Header=BB282_13 Depth=1
	v_and_b32_sdwa v75, v3, v24 dst_sel:DWORD dst_unused:UNUSED_PAD src0_sel:WORD_0 src1_sel:DWORD
	v_mov_b32_e32 v72, 0x7c010000
	s_mov_b32 s50, exec_lo
	v_cmpx_ne_u32_e32 0x7f, v75
	s_cbranch_execz .LBB282_352
; %bb.349:                              ;   in Loop: Header=BB282_13 Depth=1
	v_and_b32_sdwa v72, v3, v25 dst_sel:DWORD dst_unused:UNUSED_PAD src0_sel:WORD_0 src1_sel:DWORD
	v_lshrrev_b32_e32 v74, 3, v75
	s_mov_b32 s51, exec_lo
	v_cmpx_gt_u32_e32 8, v75
; %bb.350:                              ;   in Loop: Header=BB282_13 Depth=1
	v_ffbh_u32_e32 v72, v72
	v_min_u32_e32 v72, 32, v72
	v_subrev_nc_u32_e32 v74, 28, v72
	v_lshlrev_b64 v[75:76], v74, v[3:4]
	v_sub_nc_u32_e32 v74, 29, v72
	v_and_b32_e32 v72, 7, v75
; %bb.351:                              ;   in Loop: Header=BB282_13 Depth=1
	s_or_b32 exec_lo, exec_lo, s51
	v_lshlrev_b32_sdwa v3, v26, v3 dst_sel:DWORD dst_unused:UNUSED_PAD src0_sel:DWORD src1_sel:WORD_0
	v_lshl_add_u32 v74, v74, 10, 0x2000
	v_lshlrev_b32_e32 v72, 23, v72
	v_and_or_b32 v3, 0x8000, v3, v74
	v_lshl_or_b32 v72, v3, 16, v72
.LBB282_352:                            ;   in Loop: Header=BB282_13 Depth=1
	s_or_b32 exec_lo, exec_lo, s50
.LBB282_353:                            ;   in Loop: Header=BB282_13 Depth=1
	s_or_b32 exec_lo, exec_lo, s49
.LBB282_354:                            ;   in Loop: Header=BB282_13 Depth=1
	s_or_b32 exec_lo, exec_lo, s48
	v_lshrrev_b32_e32 v3, 16, v11
	v_mov_b32_e32 v74, 0
	v_mov_b32_e32 v75, 0
	v_cmp_ne_u16_sdwa s2, v3, v4 src0_sel:BYTE_0 src1_sel:DWORD
	s_and_saveexec_b32 s48, s2
	s_cbranch_execz .LBB282_362
; %bb.355:                              ;   in Loop: Header=BB282_13 Depth=1
	v_cmp_ne_u16_sdwa s2, v3, v23 src0_sel:BYTE_0 src1_sel:DWORD
	v_mov_b32_e32 v75, 0x8000
	s_and_saveexec_b32 s49, s2
	s_cbranch_execz .LBB282_361
; %bb.356:                              ;   in Loop: Header=BB282_13 Depth=1
	v_bfe_u32 v77, v11, 16, 7
	v_mov_b32_e32 v75, 0x7c01
	s_mov_b32 s50, exec_lo
	v_cmpx_ne_u32_e32 0x7f, v77
	s_cbranch_execz .LBB282_360
; %bb.357:                              ;   in Loop: Header=BB282_13 Depth=1
	v_and_b32_e32 v75, 7, v3
	v_lshrrev_b32_e32 v76, 3, v77
	s_mov_b32 s51, exec_lo
	v_cmpx_gt_u32_e32 8, v77
; %bb.358:                              ;   in Loop: Header=BB282_13 Depth=1
	v_ffbh_u32_e32 v75, v75
	v_min_u32_e32 v77, 32, v75
	v_subrev_nc_u32_e32 v75, 28, v77
	v_lshlrev_b64 v[75:76], v75, v[3:4]
	v_sub_nc_u32_e32 v76, 29, v77
	v_and_b32_e32 v75, 7, v75
; %bb.359:                              ;   in Loop: Header=BB282_13 Depth=1
	s_or_b32 exec_lo, exec_lo, s51
	v_lshlrev_b32_e32 v3, 8, v3
	v_lshl_add_u32 v76, v76, 10, 0x2000
	v_lshlrev_b32_e32 v75, 7, v75
	v_and_b32_e32 v3, 0x8000, v3
	v_and_b32_e32 v76, 0xfc00, v76
	v_or3_b32 v75, v3, v76, v75
.LBB282_360:                            ;   in Loop: Header=BB282_13 Depth=1
	s_or_b32 exec_lo, exec_lo, s50
.LBB282_361:                            ;   in Loop: Header=BB282_13 Depth=1
	s_or_b32 exec_lo, exec_lo, s49
.LBB282_362:                            ;   in Loop: Header=BB282_13 Depth=1
	s_or_b32 exec_lo, exec_lo, s48
	s_mov_b32 s48, exec_lo
	v_cmpx_lt_u32_e32 0xffffff, v11
	s_cbranch_execz .LBB282_370
; %bb.363:                              ;   in Loop: Header=BB282_13 Depth=1
	v_lshrrev_b32_e32 v3, 24, v11
	v_bfrev_b32_e32 v74, 1
	s_mov_b32 s49, exec_lo
	v_cmpx_ne_u32_e32 0x80, v3
	s_cbranch_execz .LBB282_369
; %bb.364:                              ;   in Loop: Header=BB282_13 Depth=1
	v_and_b32_e32 v76, 0x7f, v3
	v_mov_b32_e32 v74, 0x7c010000
	s_mov_b32 s50, exec_lo
	v_cmpx_ne_u32_e32 0x7f, v76
	s_cbranch_execz .LBB282_368
; %bb.365:                              ;   in Loop: Header=BB282_13 Depth=1
	v_and_b32_e32 v11, 7, v3
	v_lshrrev_b32_e32 v74, 3, v76
	s_mov_b32 s51, exec_lo
	v_cmpx_gt_u32_e32 8, v76
; %bb.366:                              ;   in Loop: Header=BB282_13 Depth=1
	v_ffbh_u32_e32 v11, v11
	v_min_u32_e32 v11, 32, v11
	v_subrev_nc_u32_e32 v74, 28, v11
	v_lshlrev_b64 v[76:77], v74, v[3:4]
	v_sub_nc_u32_e32 v74, 29, v11
	v_and_b32_e32 v11, 7, v76
; %bb.367:                              ;   in Loop: Header=BB282_13 Depth=1
	s_or_b32 exec_lo, exec_lo, s51
	v_lshlrev_b32_e32 v3, 8, v3
	v_lshl_add_u32 v74, v74, 10, 0x2000
	v_lshlrev_b32_e32 v11, 23, v11
	v_and_or_b32 v3, 0x8000, v3, v74
	v_lshl_or_b32 v74, v3, 16, v11
.LBB282_368:                            ;   in Loop: Header=BB282_13 Depth=1
	s_or_b32 exec_lo, exec_lo, s50
.LBB282_369:                            ;   in Loop: Header=BB282_13 Depth=1
	s_or_b32 exec_lo, exec_lo, s49
.LBB282_370:                            ;   in Loop: Header=BB282_13 Depth=1
	s_or_b32 exec_lo, exec_lo, s48
	global_load_dword v9, v[9:10], off offset:1288
	v_mov_b32_e32 v10, 0
	v_mov_b32_e32 v11, 0
	s_waitcnt vmcnt(0)
	v_cmp_ne_u16_sdwa s2, v9, v4 src0_sel:BYTE_0 src1_sel:DWORD
	s_and_saveexec_b32 s48, s2
	s_cbranch_execz .LBB282_378
; %bb.371:                              ;   in Loop: Header=BB282_13 Depth=1
	v_cmp_ne_u16_sdwa s2, v9, v23 src0_sel:BYTE_0 src1_sel:DWORD
	v_mov_b32_e32 v11, 0x8000
	s_and_saveexec_b32 s49, s2
	s_cbranch_execz .LBB282_377
; %bb.372:                              ;   in Loop: Header=BB282_13 Depth=1
	v_and_b32_e32 v76, 0x7f, v9
	v_mov_b32_e32 v11, 0x7c01
	s_mov_b32 s50, exec_lo
	v_cmpx_ne_u32_e32 0x7f, v76
	s_cbranch_execz .LBB282_376
; %bb.373:                              ;   in Loop: Header=BB282_13 Depth=1
	v_and_b32_e32 v3, 7, v9
	v_lshrrev_b32_e32 v11, 3, v76
	s_mov_b32 s51, exec_lo
	v_cmpx_gt_u32_e32 8, v76
; %bb.374:                              ;   in Loop: Header=BB282_13 Depth=1
	v_ffbh_u32_e32 v3, v3
	v_min_u32_e32 v3, 32, v3
	v_subrev_nc_u32_e32 v11, 28, v3
	v_lshlrev_b64 v[76:77], v11, v[9:10]
	v_sub_nc_u32_e32 v11, 29, v3
	v_and_b32_e32 v3, 7, v76
; %bb.375:                              ;   in Loop: Header=BB282_13 Depth=1
	s_or_b32 exec_lo, exec_lo, s51
	v_lshlrev_b32_e32 v76, 8, v9
	v_lshl_add_u32 v11, v11, 10, 0x2000
	v_lshlrev_b32_e32 v3, 7, v3
	v_and_b32_e32 v76, 0x8000, v76
	v_and_b32_e32 v11, 0xfc00, v11
	v_or3_b32 v11, v76, v11, v3
.LBB282_376:                            ;   in Loop: Header=BB282_13 Depth=1
	s_or_b32 exec_lo, exec_lo, s50
.LBB282_377:                            ;   in Loop: Header=BB282_13 Depth=1
	s_or_b32 exec_lo, exec_lo, s49
.LBB282_378:                            ;   in Loop: Header=BB282_13 Depth=1
	s_or_b32 exec_lo, exec_lo, s48
	v_lshrrev_b16 v3, 8, v9
	s_mov_b32 s48, exec_lo
	v_cmpx_ne_u16_e32 0, v3
	s_cbranch_execz .LBB282_386
; %bb.379:                              ;   in Loop: Header=BB282_13 Depth=1
	v_bfrev_b32_e32 v10, 1
	s_mov_b32 s49, exec_lo
	v_cmpx_ne_u16_e32 0x80, v3
	s_cbranch_execz .LBB282_385
; %bb.380:                              ;   in Loop: Header=BB282_13 Depth=1
	v_and_b32_sdwa v77, v3, v24 dst_sel:DWORD dst_unused:UNUSED_PAD src0_sel:WORD_0 src1_sel:DWORD
	v_mov_b32_e32 v10, 0x7c010000
	s_mov_b32 s50, exec_lo
	v_cmpx_ne_u32_e32 0x7f, v77
	s_cbranch_execz .LBB282_384
; %bb.381:                              ;   in Loop: Header=BB282_13 Depth=1
	v_and_b32_sdwa v10, v3, v25 dst_sel:DWORD dst_unused:UNUSED_PAD src0_sel:WORD_0 src1_sel:DWORD
	v_lshrrev_b32_e32 v76, 3, v77
	s_mov_b32 s51, exec_lo
	v_cmpx_gt_u32_e32 8, v77
; %bb.382:                              ;   in Loop: Header=BB282_13 Depth=1
	v_ffbh_u32_e32 v10, v10
	v_min_u32_e32 v10, 32, v10
	v_subrev_nc_u32_e32 v76, 28, v10
	v_lshlrev_b64 v[77:78], v76, v[3:4]
	v_sub_nc_u32_e32 v76, 29, v10
	v_and_b32_e32 v10, 7, v77
; %bb.383:                              ;   in Loop: Header=BB282_13 Depth=1
	s_or_b32 exec_lo, exec_lo, s51
	v_lshlrev_b32_sdwa v3, v26, v3 dst_sel:DWORD dst_unused:UNUSED_PAD src0_sel:DWORD src1_sel:WORD_0
	v_lshl_add_u32 v76, v76, 10, 0x2000
	v_lshlrev_b32_e32 v10, 23, v10
	v_and_or_b32 v3, 0x8000, v3, v76
	v_lshl_or_b32 v10, v3, 16, v10
.LBB282_384:                            ;   in Loop: Header=BB282_13 Depth=1
	s_or_b32 exec_lo, exec_lo, s50
.LBB282_385:                            ;   in Loop: Header=BB282_13 Depth=1
	s_or_b32 exec_lo, exec_lo, s49
.LBB282_386:                            ;   in Loop: Header=BB282_13 Depth=1
	s_or_b32 exec_lo, exec_lo, s48
	v_lshrrev_b32_e32 v3, 16, v9
	v_mov_b32_e32 v76, 0
	v_mov_b32_e32 v77, 0
	v_cmp_ne_u16_sdwa s2, v3, v4 src0_sel:BYTE_0 src1_sel:DWORD
	s_and_saveexec_b32 s48, s2
	s_cbranch_execz .LBB282_394
; %bb.387:                              ;   in Loop: Header=BB282_13 Depth=1
	v_cmp_ne_u16_sdwa s2, v3, v23 src0_sel:BYTE_0 src1_sel:DWORD
	v_mov_b32_e32 v77, 0x8000
	s_and_saveexec_b32 s49, s2
	s_cbranch_execz .LBB282_393
; %bb.388:                              ;   in Loop: Header=BB282_13 Depth=1
	v_bfe_u32 v79, v9, 16, 7
	v_mov_b32_e32 v77, 0x7c01
	s_mov_b32 s50, exec_lo
	v_cmpx_ne_u32_e32 0x7f, v79
	s_cbranch_execz .LBB282_392
; %bb.389:                              ;   in Loop: Header=BB282_13 Depth=1
	v_and_b32_e32 v77, 7, v3
	v_lshrrev_b32_e32 v78, 3, v79
	s_mov_b32 s51, exec_lo
	v_cmpx_gt_u32_e32 8, v79
; %bb.390:                              ;   in Loop: Header=BB282_13 Depth=1
	v_ffbh_u32_e32 v77, v77
	v_min_u32_e32 v79, 32, v77
	v_subrev_nc_u32_e32 v77, 28, v79
	v_lshlrev_b64 v[77:78], v77, v[3:4]
	v_sub_nc_u32_e32 v78, 29, v79
	v_and_b32_e32 v77, 7, v77
; %bb.391:                              ;   in Loop: Header=BB282_13 Depth=1
	s_or_b32 exec_lo, exec_lo, s51
	v_lshlrev_b32_e32 v3, 8, v3
	v_lshl_add_u32 v78, v78, 10, 0x2000
	v_lshlrev_b32_e32 v77, 7, v77
	v_and_b32_e32 v3, 0x8000, v3
	v_and_b32_e32 v78, 0xfc00, v78
	v_or3_b32 v77, v3, v78, v77
.LBB282_392:                            ;   in Loop: Header=BB282_13 Depth=1
	s_or_b32 exec_lo, exec_lo, s50
.LBB282_393:                            ;   in Loop: Header=BB282_13 Depth=1
	s_or_b32 exec_lo, exec_lo, s49
.LBB282_394:                            ;   in Loop: Header=BB282_13 Depth=1
	s_or_b32 exec_lo, exec_lo, s48
	s_mov_b32 s48, exec_lo
	v_cmpx_lt_u32_e32 0xffffff, v9
	s_cbranch_execz .LBB282_402
; %bb.395:                              ;   in Loop: Header=BB282_13 Depth=1
	v_lshrrev_b32_e32 v3, 24, v9
	v_bfrev_b32_e32 v76, 1
	s_mov_b32 s49, exec_lo
	v_cmpx_ne_u32_e32 0x80, v3
	s_cbranch_execz .LBB282_401
; %bb.396:                              ;   in Loop: Header=BB282_13 Depth=1
	v_and_b32_e32 v78, 0x7f, v3
	v_mov_b32_e32 v76, 0x7c010000
	s_mov_b32 s50, exec_lo
	v_cmpx_ne_u32_e32 0x7f, v78
	s_cbranch_execz .LBB282_400
; %bb.397:                              ;   in Loop: Header=BB282_13 Depth=1
	v_and_b32_e32 v9, 7, v3
	v_lshrrev_b32_e32 v76, 3, v78
	s_mov_b32 s51, exec_lo
	v_cmpx_gt_u32_e32 8, v78
; %bb.398:                              ;   in Loop: Header=BB282_13 Depth=1
	v_ffbh_u32_e32 v9, v9
	v_min_u32_e32 v9, 32, v9
	v_subrev_nc_u32_e32 v76, 28, v9
	v_lshlrev_b64 v[78:79], v76, v[3:4]
	v_sub_nc_u32_e32 v76, 29, v9
	v_and_b32_e32 v9, 7, v78
; %bb.399:                              ;   in Loop: Header=BB282_13 Depth=1
	s_or_b32 exec_lo, exec_lo, s51
	v_lshlrev_b32_e32 v3, 8, v3
	v_lshl_add_u32 v76, v76, 10, 0x2000
	v_lshlrev_b32_e32 v9, 23, v9
	v_and_or_b32 v3, 0x8000, v3, v76
	v_lshl_or_b32 v76, v3, 16, v9
.LBB282_400:                            ;   in Loop: Header=BB282_13 Depth=1
	s_or_b32 exec_lo, exec_lo, s50
.LBB282_401:                            ;   in Loop: Header=BB282_13 Depth=1
	s_or_b32 exec_lo, exec_lo, s49
.LBB282_402:                            ;   in Loop: Header=BB282_13 Depth=1
	s_or_b32 exec_lo, exec_lo, s48
	ds_read_b64 v[78:79], v20
	v_or_b32_e32 v3, v32, v33
	v_or_b32_e32 v9, v34, v35
	v_fma_mixlo_f16 v32, v31, v32, 0 op_sel:[0,1,0] op_sel_hi:[0,1,0]
	v_fma_mixlo_f16 v33, v31, v34, 0 op_sel:[0,1,0] op_sel_hi:[0,1,0]
	v_or_b32_e32 v37, v36, v37
	v_fma_mixlo_f16 v3, v31, v3, 0 op_sel_hi:[0,1,0]
	v_fma_mixlo_f16 v9, v31, v9, 0 op_sel_hi:[0,1,0]
	v_and_b32_e32 v32, 0xffff, v32
	v_and_b32_e32 v80, 0xffff, v33
	v_or_b32_e32 v39, v38, v39
	v_and_b32_e32 v33, 0xffff, v3
	v_fma_mixlo_f16 v36, v31, v36, 0 op_sel:[0,1,0] op_sel_hi:[0,1,0]
	v_fma_mixlo_f16 v38, v31, v38, 0 op_sel:[0,1,0] op_sel_hi:[0,1,0]
	v_fma_mixlo_f16 v37, v31, v37, 0 op_sel_hi:[0,1,0]
	v_fma_mixlo_f16 v39, v31, v39, 0 op_sel_hi:[0,1,0]
	v_or_b32_e32 v41, v40, v41
	v_and_b32_e32 v82, 0xffff, v36
	v_and_b32_e32 v83, 0xffff, v38
	;; [unrolled: 1-line block ×3, first 2 shown]
	s_waitcnt lgkmcnt(0)
	v_and_b32_e32 v3, 0xffff, v78
	v_lshrrev_b32_e32 v34, 16, v78
	v_and_b32_e32 v78, 0xffff, v9
	v_lshrrev_b32_e32 v81, 16, v79
	v_and_b32_e32 v79, 0xffff, v79
	;;#ASMSTART
	v_cvt_f32_f16 v9, v3;
	;;#ASMEND
	;;#ASMSTART
	v_cvt_f32_f16 v3, v34;
	;;#ASMEND
	;; [unrolled: 3-line block ×8, first 2 shown]
	ds_read_b64 v[80:81], v20 offset:8
	v_and_b32_e32 v84, 0xffff, v39
	v_or_b32_e32 v43, v42, v43
	v_fma_mixlo_f16 v40, v31, v40, 0 op_sel:[0,1,0] op_sel_hi:[0,1,0]
	v_fma_mixlo_f16 v42, v31, v42, 0 op_sel:[0,1,0] op_sel_hi:[0,1,0]
	v_fma_mixlo_f16 v41, v31, v41, 0 op_sel_hi:[0,1,0]
	v_or_b32_e32 v45, v44, v45
	v_fma_mixlo_f16 v43, v31, v43, 0 op_sel_hi:[0,1,0]
	v_and_b32_e32 v40, 0xffff, v40
	v_and_b32_e32 v88, 0xffff, v42
	;; [unrolled: 1-line block ×3, first 2 shown]
	v_or_b32_e32 v47, v46, v47
	v_and_b32_e32 v43, 0xffff, v43
	v_fma_mixlo_f16 v44, v31, v44, 0 op_sel:[0,1,0] op_sel_hi:[0,1,0]
	v_fma_mixlo_f16 v46, v31, v46, 0 op_sel:[0,1,0] op_sel_hi:[0,1,0]
	v_fma_mixlo_f16 v45, v31, v45, 0 op_sel_hi:[0,1,0]
	v_fma_mixlo_f16 v47, v31, v47, 0 op_sel_hi:[0,1,0]
	v_or_b32_e32 v49, v48, v49
	v_or_b32_e32 v51, v50, v51
	v_and_b32_e32 v91, 0xffff, v46
	s_waitcnt lgkmcnt(0)
	v_and_b32_e32 v36, 0xffff, v80
	v_lshrrev_b32_e32 v80, 16, v80
	v_lshrrev_b32_e32 v85, 16, v81
	v_and_b32_e32 v39, 0xffff, v81
	;;#ASMSTART
	v_cvt_f32_f16 v37, v36;
	;;#ASMEND
	;;#ASMSTART
	v_cvt_f32_f16 v36, v80;
	;;#ASMEND
	;;#ASMSTART
	v_cvt_f32_f16 v81, v38;
	;;#ASMEND
	;;#ASMSTART
	v_cvt_f32_f16 v38, v82;
	;;#ASMEND
	;;#ASMSTART
	v_cvt_f32_f16 v39, v39;
	;;#ASMEND
	;;#ASMSTART
	v_cvt_f32_f16 v80, v85;
	;;#ASMEND
	;;#ASMSTART
	v_cvt_f32_f16 v82, v84;
	;;#ASMEND
	;;#ASMSTART
	v_cvt_f32_f16 v83, v83;
	;;#ASMEND
	ds_read_b64 v[84:85], v20 offset:16
	v_and_b32_e32 v46, 0xffff, v45
	v_and_b32_e32 v92, 0xffff, v47
	v_fma_mixlo_f16 v48, v31, v48, 0 op_sel:[0,1,0] op_sel_hi:[0,1,0]
	v_fma_mixlo_f16 v50, v31, v50, 0 op_sel:[0,1,0] op_sel_hi:[0,1,0]
	v_fma_mixlo_f16 v49, v31, v49, 0 op_sel_hi:[0,1,0]
	v_fma_mixlo_f16 v51, v31, v51, 0 op_sel_hi:[0,1,0]
	v_or_b32_e32 v53, v52, v53
	v_and_b32_e32 v48, 0xffff, v48
	v_and_b32_e32 v96, 0xffff, v50
	v_and_b32_e32 v49, 0xffff, v49
	v_and_b32_e32 v51, 0xffff, v51
	v_or_b32_e32 v55, v54, v55
	v_fma_mixlo_f16 v52, v31, v52, 0 op_sel:[0,1,0] op_sel_hi:[0,1,0]
	v_fma_mixlo_f16 v54, v31, v54, 0 op_sel:[0,1,0] op_sel_hi:[0,1,0]
	v_fma_mixlo_f16 v53, v31, v53, 0 op_sel_hi:[0,1,0]
	v_or_b32_e32 v57, v56, v57
	v_fma_mixlo_f16 v55, v31, v55, 0 op_sel_hi:[0,1,0]
	v_or_b32_e32 v59, v58, v59
	v_and_b32_e32 v99, 0xffff, v54
	s_waitcnt lgkmcnt(0)
	v_and_b32_e32 v42, 0xffff, v84
	v_lshrrev_b32_e32 v84, 16, v84
	v_lshrrev_b32_e32 v89, 16, v85
	v_and_b32_e32 v90, 0xffff, v85
	;;#ASMSTART
	v_cvt_f32_f16 v85, v42;
	;;#ASMEND
	;;#ASMSTART
	v_cvt_f32_f16 v84, v84;
	;;#ASMEND
	;; [unrolled: 3-line block ×8, first 2 shown]
	ds_read_b64 v[88:89], v20 offset:24
	v_and_b32_e32 v90, 0xffff, v44
	v_and_b32_e32 v54, 0xffff, v53
	;; [unrolled: 1-line block ×3, first 2 shown]
	v_fma_mixlo_f16 v56, v31, v56, 0 op_sel:[0,1,0] op_sel_hi:[0,1,0]
	v_fma_mixlo_f16 v58, v31, v58, 0 op_sel:[0,1,0] op_sel_hi:[0,1,0]
	v_fma_mixlo_f16 v57, v31, v57, 0 op_sel_hi:[0,1,0]
	v_fma_mixlo_f16 v59, v31, v59, 0 op_sel_hi:[0,1,0]
	v_or_b32_e32 v61, v60, v61
	v_and_b32_e32 v56, 0xffff, v56
	v_and_b32_e32 v105, 0xffff, v58
	;; [unrolled: 1-line block ×4, first 2 shown]
	v_or_b32_e32 v63, v62, v63
	v_fma_mixlo_f16 v60, v31, v60, 0 op_sel:[0,1,0] op_sel_hi:[0,1,0]
	v_fma_mixlo_f16 v62, v31, v62, 0 op_sel:[0,1,0] op_sel_hi:[0,1,0]
	v_fma_mixlo_f16 v61, v31, v61, 0 op_sel_hi:[0,1,0]
	v_or_b32_e32 v65, v64, v65
	v_fma_mixlo_f16 v63, v31, v63, 0 op_sel_hi:[0,1,0]
	v_and_b32_e32 v106, 0xffff, v60
	s_waitcnt lgkmcnt(0)
	v_and_b32_e32 v44, 0xffff, v88
	v_lshrrev_b32_e32 v45, 16, v88
	v_lshrrev_b32_e32 v47, 16, v89
	v_and_b32_e32 v93, 0xffff, v89
	;;#ASMSTART
	v_cvt_f32_f16 v44, v44;
	;;#ASMEND
	;;#ASMSTART
	v_cvt_f32_f16 v45, v45;
	;;#ASMEND
	;; [unrolled: 3-line block ×8, first 2 shown]
	ds_read_b64 v[92:93], v20 offset:32
	v_and_b32_e32 v109, 0xffff, v62
	v_and_b32_e32 v62, 0xffff, v61
	;; [unrolled: 1-line block ×3, first 2 shown]
	v_or_b32_e32 v67, v66, v67
	v_fma_mixlo_f16 v64, v31, v64, 0 op_sel:[0,1,0] op_sel_hi:[0,1,0]
	v_fma_mixlo_f16 v66, v31, v66, 0 op_sel:[0,1,0] op_sel_hi:[0,1,0]
	v_fma_mixlo_f16 v65, v31, v65, 0 op_sel_hi:[0,1,0]
	v_mul_f32_e32 v37, v37, v81
	v_fma_mixlo_f16 v67, v31, v67, 0 op_sel_hi:[0,1,0]
	v_and_b32_e32 v110, 0xffff, v64
	v_and_b32_e32 v113, 0xffff, v66
	;; [unrolled: 1-line block ×3, first 2 shown]
	v_or_b32_e32 v69, v68, v69
	v_and_b32_e32 v112, 0xffff, v67
	v_or_b32_e32 v71, v70, v71
	v_mul_f32_e32 v36, v36, v38
	v_mul_f32_e32 v38, v39, v82
	v_fmac_f32_e32 v37, v9, v35
	v_fma_mixlo_f16 v68, v31, v68, 0 op_sel:[0,1,0] op_sel_hi:[0,1,0]
	s_waitcnt lgkmcnt(0)
	v_and_b32_e32 v50, 0xffff, v92
	v_lshrrev_b32_e32 v94, 16, v92
	v_lshrrev_b32_e32 v97, 16, v93
	v_and_b32_e32 v98, 0xffff, v93
	;;#ASMSTART
	v_cvt_f32_f16 v92, v50;
	;;#ASMEND
	;;#ASMSTART
	v_cvt_f32_f16 v93, v94;
	;;#ASMEND
	;;#ASMSTART
	v_cvt_f32_f16 v94, v49;
	;;#ASMEND
	;;#ASMSTART
	v_cvt_f32_f16 v95, v48;
	;;#ASMEND
	;;#ASMSTART
	v_cvt_f32_f16 v48, v98;
	;;#ASMEND
	;;#ASMSTART
	v_cvt_f32_f16 v49, v97;
	;;#ASMEND
	;;#ASMSTART
	v_cvt_f32_f16 v50, v51;
	;;#ASMEND
	;;#ASMSTART
	v_cvt_f32_f16 v51, v96;
	;;#ASMEND
	ds_read_b64 v[96:97], v20 offset:40
	v_and_b32_e32 v98, 0xffff, v52
	v_or_b32_e32 v11, v10, v11
	v_fma_mixlo_f16 v114, v31, v10, 0 op_sel:[0,1,0] op_sel_hi:[0,1,0]
	v_fma_mixlo_f16 v10, v31, v69, 0 op_sel_hi:[0,1,0]
	v_fma_mixlo_f16 v69, v31, v71, 0 op_sel_hi:[0,1,0]
	v_fmac_f32_e32 v36, v3, v32
	v_fmac_f32_e32 v38, v33, v78
	v_fma_mixlo_f16 v70, v31, v70, 0 op_sel:[0,1,0] op_sel_hi:[0,1,0]
	v_mul_f32_e32 v39, v80, v83
	v_fmac_f32_e32 v37, v85, v87
	v_and_b32_e32 v68, 0xffff, v68
	v_and_b32_e32 v10, 0xffff, v10
	;; [unrolled: 1-line block ×3, first 2 shown]
	v_fmac_f32_e32 v36, v84, v86
	v_fmac_f32_e32 v38, v40, v42
	v_and_b32_e32 v70, 0xffff, v70
	v_fmac_f32_e32 v39, v34, v79
	v_fmac_f32_e32 v37, v44, v88
	;; [unrolled: 1-line block ×3, first 2 shown]
	s_waitcnt lgkmcnt(0)
	v_and_b32_e32 v52, 0xffff, v96
	v_lshrrev_b32_e32 v53, 16, v96
	v_lshrrev_b32_e32 v55, 16, v97
	v_and_b32_e32 v101, 0xffff, v97
	;;#ASMSTART
	v_cvt_f32_f16 v52, v52;
	;;#ASMEND
	;;#ASMSTART
	v_cvt_f32_f16 v53, v53;
	;;#ASMEND
	;; [unrolled: 3-line block ×8, first 2 shown]
	ds_read_b64 v[100:101], v20 offset:48
	v_fmac_f32_e32 v38, v46, v90
	v_fmac_f32_e32 v37, v92, v94
	;; [unrolled: 1-line block ×4, first 2 shown]
	v_or_b32_e32 v73, v72, v73
	v_fmac_f32_e32 v38, v48, v50
	v_or_b32_e32 v75, v74, v75
	v_fmac_f32_e32 v37, v52, v96
	v_fmac_f32_e32 v39, v47, v91
	;; [unrolled: 1-line block ×4, first 2 shown]
	v_fma_mixlo_f16 v72, v31, v72, 0 op_sel:[0,1,0] op_sel_hi:[0,1,0]
	v_fma_mixlo_f16 v74, v31, v74, 0 op_sel:[0,1,0] op_sel_hi:[0,1,0]
	v_fma_mixlo_f16 v73, v31, v73, 0 op_sel_hi:[0,1,0]
	v_fma_mixlo_f16 v75, v31, v75, 0 op_sel_hi:[0,1,0]
	v_fmac_f32_e32 v39, v49, v51
	v_and_b32_e32 v43, 0xffff, v72
	v_and_b32_e32 v47, 0xffff, v74
	;; [unrolled: 1-line block ×3, first 2 shown]
	s_waitcnt lgkmcnt(0)
	v_and_b32_e32 v58, 0xffff, v100
	v_lshrrev_b32_e32 v100, 16, v100
	v_lshrrev_b32_e32 v103, 16, v101
	v_and_b32_e32 v102, 0xffff, v101
	;;#ASMSTART
	v_cvt_f32_f16 v58, v58;
	;;#ASMEND
	;;#ASMSTART
	v_cvt_f32_f16 v59, v100;
	;;#ASMEND
	;; [unrolled: 3-line block ×8, first 2 shown]
	ds_read_b64 v[56:57], v20 offset:56
	v_fmac_f32_e32 v37, v58, v100
	v_fmac_f32_e32 v36, v59, v101
	;; [unrolled: 1-line block ×4, first 2 shown]
	v_or_b32_e32 v48, v76, v77
	v_fma_mixlo_f16 v11, v31, v11, 0 op_sel_hi:[0,1,0]
	v_fmac_f32_e32 v39, v103, v105
	v_fma_mixlo_f16 v48, v31, v48, 0 op_sel_hi:[0,1,0]
	s_waitcnt lgkmcnt(0)
	v_and_b32_e32 v60, 0xffff, v56
	v_lshrrev_b32_e32 v56, 16, v56
	v_lshrrev_b32_e32 v107, 16, v57
	v_and_b32_e32 v57, 0xffff, v57
	;;#ASMSTART
	v_cvt_f32_f16 v60, v60;
	;;#ASMEND
	;;#ASMSTART
	v_cvt_f32_f16 v61, v56;
	;;#ASMEND
	;; [unrolled: 3-line block ×8, first 2 shown]
	ds_read_b64 v[56:57], v20 offset:64
	v_fmac_f32_e32 v37, v60, v62
	v_fmac_f32_e32 v36, v61, v63
	;; [unrolled: 1-line block ×4, first 2 shown]
	s_waitcnt lgkmcnt(0)
	v_and_b32_e32 v64, 0xffff, v56
	v_lshrrev_b32_e32 v56, 16, v56
	v_lshrrev_b32_e32 v111, 16, v57
	v_and_b32_e32 v57, 0xffff, v57
	;;#ASMSTART
	v_cvt_f32_f16 v64, v64;
	;;#ASMEND
	;;#ASMSTART
	v_cvt_f32_f16 v65, v56;
	;;#ASMEND
	;; [unrolled: 3-line block ×8, first 2 shown]
	ds_read_b64 v[56:57], v20 offset:72
	v_fmac_f32_e32 v37, v64, v66
	v_fmac_f32_e32 v36, v65, v67
	;; [unrolled: 1-line block ×4, first 2 shown]
	s_waitcnt lgkmcnt(0)
	v_and_b32_e32 v3, 0xffff, v56
	v_lshrrev_b32_e32 v32, 16, v56
	v_lshrrev_b32_e32 v56, 16, v57
	v_and_b32_e32 v35, 0xffff, v57
	;;#ASMSTART
	v_cvt_f32_f16 v3, v3;
	;;#ASMEND
	;;#ASMSTART
	v_cvt_f32_f16 v32, v32;
	;;#ASMEND
	;; [unrolled: 3-line block ×8, first 2 shown]
	ds_read_b64 v[9:10], v20 offset:80
	v_fmac_f32_e32 v37, v3, v33
	v_fmac_f32_e32 v36, v32, v34
	;; [unrolled: 1-line block ×3, first 2 shown]
	v_fma_mixlo_f16 v3, v31, v76, 0 op_sel:[0,1,0] op_sel_hi:[0,1,0]
	v_and_b32_e32 v33, 0xffff, v11
	v_and_b32_e32 v34, 0xffff, v114
	v_fmac_f32_e32 v39, v56, v68
	s_waitcnt lgkmcnt(0)
	v_and_b32_e32 v40, 0xffff, v9
	v_lshrrev_b32_e32 v9, 16, v9
	v_lshrrev_b32_e32 v45, 16, v10
	v_and_b32_e32 v10, 0xffff, v10
	;;#ASMSTART
	v_cvt_f32_f16 v40, v40;
	;;#ASMEND
	;;#ASMSTART
	v_cvt_f32_f16 v41, v9;
	;;#ASMEND
	v_and_b32_e32 v9, 0xffff, v75
	;;#ASMSTART
	v_cvt_f32_f16 v42, v42;
	;;#ASMEND
	;;#ASMSTART
	v_cvt_f32_f16 v43, v43;
	;;#ASMEND
	;; [unrolled: 3-line block ×6, first 2 shown]
	ds_read_b64 v[9:10], v20 offset:88
	v_fmac_f32_e32 v37, v40, v42
	v_fmac_f32_e32 v36, v41, v43
	;; [unrolled: 1-line block ×4, first 2 shown]
	s_waitcnt lgkmcnt(0)
	v_and_b32_e32 v31, 0xffff, v9
	v_lshrrev_b32_e32 v32, 16, v9
	;;#ASMSTART
	v_cvt_f32_f16 v9, v31;
	;;#ASMEND
	;;#ASMSTART
	v_cvt_f32_f16 v11, v32;
	;;#ASMEND
	;; [unrolled: 3-line block ×4, first 2 shown]
	v_and_b32_e32 v33, 0xffff, v10
	v_lshrrev_b32_e32 v10, 16, v10
	v_fmac_f32_e32 v37, v9, v31
	;;#ASMSTART
	v_cvt_f32_f16 v9, v33;
	;;#ASMEND
	v_and_b32_e32 v34, 0xffff, v48
	v_fmac_f32_e32 v36, v11, v32
	;;#ASMSTART
	v_cvt_f32_f16 v10, v10;
	;;#ASMEND
	;;#ASMSTART
	v_cvt_f32_f16 v11, v34;
	;;#ASMEND
	v_fmac_f32_e32 v38, v9, v11
	v_xor_b32_e32 v9, 1, v18
	v_and_b32_e32 v31, 0xffff, v3
	v_add_f32_e32 v3, v37, v36
	;;#ASMSTART
	v_cvt_f32_f16 v11, v31;
	;;#ASMEND
	v_fmac_f32_e32 v39, v10, v11
	v_cmp_gt_i32_e64 s2, 32, v9
	v_add_f32_e32 v3, v3, v38
	v_cndmask_b32_e64 v9, v18, v9, s2
	v_add_f32_e32 v3, v39, v3
	v_lshlrev_b32_e32 v9, 2, v9
	ds_bpermute_b32 v9, v9, v3
	s_and_saveexec_b32 s48, vcc_lo
	s_cbranch_execz .LBB282_11
; %bb.403:                              ;   in Loop: Header=BB282_13 Depth=1
	v_add_nc_u32_e32 v10, v27, v21
	s_waitcnt lgkmcnt(0)
	v_add_f32_e32 v3, v3, v9
	v_cvt_f32_i32_e32 v10, v10
	v_mul_f32_e32 v10, s43, v10
	v_cndmask_b32_e64 v9, 0, v10, s1
	v_max_f32_e32 v10, v17, v17
	v_fmac_f32_e32 v9, s41, v3
	v_add_nc_u32_e32 v3, v19, v21
	v_max_f32_e32 v10, v10, v9
	v_cmp_gt_i32_e64 s2, s31, v3
	v_cndmask_b32_e64 v3, 0, v9, s2
	v_cndmask_b32_e64 v17, v17, v10, s2
	ds_write_b32 v28, v3
	s_branch .LBB282_11
.LBB282_404:
	s_or_b32 exec_lo, exec_lo, s46
.LBB282_405:
	s_or_b32 exec_lo, exec_lo, s45
	v_xor_b32_e32 v3, 16, v18
	v_xor_b32_e32 v4, 8, v18
	v_max_f32_e32 v6, v17, v17
	s_waitcnt lgkmcnt(0)
	v_lshlrev_b32_e32 v9, 2, v14
	v_cmp_gt_i32_e32 vcc_lo, 32, v3
	v_cndmask_b32_e32 v3, v18, v3, vcc_lo
	v_cmp_gt_i32_e32 vcc_lo, 32, v4
	v_lshlrev_b32_e32 v5, 2, v3
	v_cndmask_b32_e32 v4, v18, v4, vcc_lo
	ds_bpermute_b32 v3, v5, v17
	v_lshlrev_b32_e32 v7, 2, v4
	v_and_b32_e32 v17, 31, v0
	s_waitcnt lgkmcnt(0)
	v_max_f32_e32 v3, v3, v3
	v_max_f32_e32 v3, v6, v3
	v_xor_b32_e32 v6, 4, v18
	ds_bpermute_b32 v4, v7, v3
	v_cmp_gt_i32_e32 vcc_lo, 32, v6
	v_cndmask_b32_e32 v6, v18, v6, vcc_lo
	v_lshlrev_b32_e32 v8, 2, v6
	v_xor_b32_e32 v6, 2, v18
	v_cmp_gt_i32_e32 vcc_lo, 32, v6
	s_waitcnt lgkmcnt(0)
	v_max_f32_e32 v4, v4, v4
	v_cndmask_b32_e32 v6, v18, v6, vcc_lo
	v_cmp_eq_u32_e32 vcc_lo, 0, v17
	v_max_f32_e32 v3, v3, v4
	ds_bpermute_b32 v4, v8, v3
	s_waitcnt lgkmcnt(0)
	v_max_f32_e32 v4, v4, v4
	v_max_f32_e32 v3, v3, v4
	v_lshlrev_b32_e32 v4, 2, v6
	ds_bpermute_b32 v6, v4, v3
	s_and_saveexec_b32 s1, vcc_lo
	s_cbranch_execz .LBB282_407
; %bb.406:
	s_waitcnt lgkmcnt(0)
	v_max_f32_e32 v6, v6, v6
	v_max_f32_e32 v3, v3, v3
	;; [unrolled: 1-line block ×3, first 2 shown]
	ds_write_b32 v9, v3 offset:192
.LBB282_407:
	s_or_b32 exec_lo, exec_lo, s1
	v_cmp_gt_u32_e64 s1, 4, v17
	v_mov_b32_e32 v3, 0xff7fffff
	v_lshlrev_b32_e32 v10, 2, v17
	s_waitcnt lgkmcnt(0)
	s_barrier
	buffer_gl0_inv
	s_and_saveexec_b32 s2, s1
; %bb.408:
	ds_read_b32 v3, v10 offset:192
; %bb.409:
	s_or_b32 exec_lo, exec_lo, s2
	s_waitcnt lgkmcnt(0)
	ds_bpermute_b32 v6, v4, v3
	v_xor_b32_e32 v11, 1, v18
	v_max_f32_e32 v3, v3, v3
	v_cmp_gt_i32_e64 s2, 32, v11
	v_cndmask_b32_e64 v11, v18, v11, s2
	s_sub_i32 s2, s20, s44
	s_lshl_b32 s2, s2, 4
	v_lshlrev_b32_e32 v18, 2, v11
	v_mov_b32_e32 v11, 0
	s_add_i32 s2, s2, s42
	s_min_i32 s2, s2, s31
	s_waitcnt lgkmcnt(0)
	v_max_f32_e32 v6, v6, v6
	s_sub_i32 s4, s2, s42
	v_cmp_gt_i32_e64 s2, s4, v0
	v_max_f32_e32 v3, v3, v6
	ds_bpermute_b32 v6, v18, v3
	s_waitcnt lgkmcnt(0)
	v_max_f32_e32 v6, v6, v6
	v_max_f32_e32 v3, v3, v6
	v_lshl_add_u32 v6, v0, 2, 0xe0
	ds_bpermute_b32 v3, v11, v3
	s_and_saveexec_b32 s5, s2
	s_cbranch_execz .LBB282_413
; %bb.410:
	v_lshl_add_u32 v19, v0, 2, 0xe0
	v_mov_b32_e32 v11, 0
	v_mov_b32_e32 v20, v0
	s_mov_b32 s12, 0
	.p2align	6
.LBB282_411:                            ; =>This Inner Loop Header: Depth=1
	ds_read_b32 v21, v19
	v_add_nc_u32_e32 v20, 0x80, v20
	v_cmp_le_i32_e64 s3, s4, v20
	s_or_b32 s12, s3, s12
	s_waitcnt lgkmcnt(0)
	v_sub_f32_e32 v21, v21, v3
	v_mul_f32_e32 v21, 0x3fb8aa3b, v21
	v_exp_f32_e32 v21, v21
	ds_write_b32 v19, v21
	v_add_f32_e32 v11, v11, v21
	v_add_nc_u32_e32 v19, 0x200, v19
	s_andn2_b32 exec_lo, exec_lo, s12
	s_cbranch_execnz .LBB282_411
; %bb.412:
	s_or_b32 exec_lo, exec_lo, s12
.LBB282_413:
	s_or_b32 exec_lo, exec_lo, s5
	ds_bpermute_b32 v5, v5, v11
	s_waitcnt lgkmcnt(0)
	v_add_f32_e32 v5, v11, v5
	ds_bpermute_b32 v7, v7, v5
	s_waitcnt lgkmcnt(0)
	v_add_f32_e32 v5, v5, v7
	;; [unrolled: 3-line block ×5, first 2 shown]
	s_and_saveexec_b32 s3, vcc_lo
; %bb.414:
	ds_write_b32 v9, v5 offset:208
; %bb.415:
	s_or_b32 exec_lo, exec_lo, s3
	s_waitcnt lgkmcnt(0)
	s_barrier
	buffer_gl0_inv
	s_and_saveexec_b32 s3, s1
; %bb.416:
	ds_read_b32 v5, v10 offset:208
; %bb.417:
	s_or_b32 exec_lo, exec_lo, s3
	s_waitcnt lgkmcnt(0)
	ds_bpermute_b32 v4, v4, v5
	s_waitcnt lgkmcnt(0)
	v_add_f32_e32 v4, v5, v4
	ds_bpermute_b32 v5, v18, v4
	s_waitcnt lgkmcnt(0)
	v_add_f32_e32 v4, v4, v5
	v_mov_b32_e32 v5, 0
	ds_bpermute_b32 v4, v5, v4
	s_and_saveexec_b32 s1, s2
	s_cbranch_execz .LBB282_420
; %bb.418:
	s_waitcnt lgkmcnt(0)
	v_add_f32_e32 v5, 0x358637bd, v4
	s_mov_b32 s2, 0
	v_div_scale_f32 v7, null, v5, v5, 1.0
	v_div_scale_f32 v10, vcc_lo, 1.0, v5, 1.0
	v_rcp_f32_e32 v8, v7
	v_fma_f32 v9, -v7, v8, 1.0
	v_fmac_f32_e32 v8, v9, v8
	v_mul_f32_e32 v9, v10, v8
	v_fma_f32 v11, -v7, v9, v10
	v_fmac_f32_e32 v9, v11, v8
	v_fma_f32 v7, -v7, v9, v10
	v_div_fmas_f32 v7, v7, v8, v9
	v_div_fixup_f32 v5, v7, v5, 1.0
	v_mov_b32_e32 v7, v0
.LBB282_419:                            ; =>This Inner Loop Header: Depth=1
	ds_read_b32 v8, v6
	v_add_nc_u32_e32 v7, 0x80, v7
	v_cmp_le_i32_e32 vcc_lo, s4, v7
	s_or_b32 s2, vcc_lo, s2
	s_waitcnt lgkmcnt(0)
	v_mul_f32_e32 v8, v5, v8
	ds_write_b32 v6, v8
	v_add_nc_u32_e32 v6, 0x200, v6
	s_andn2_b32 exec_lo, exec_lo, s2
	s_cbranch_execnz .LBB282_419
.LBB282_420:
	s_or_b32 exec_lo, exec_lo, s1
	s_mul_i32 s1, s7, s30
	s_waitcnt lgkmcnt(0)
	s_mul_i32 s2, s1, s9
	s_mov_b32 s1, exec_lo
	s_barrier
	buffer_gl0_inv
	v_cmpx_eq_u32_e32 0, v0
	s_cbranch_execz .LBB282_422
; %bb.421:
	s_ashr_i32 s3, s2, 31
	s_mul_i32 s12, s7, s6
	s_lshl_b64 s[4:5], s[2:3], 2
	v_mov_b32_e32 v5, 0
	s_add_u32 s3, s26, s4
	s_addc_u32 s6, s27, s5
	s_ashr_i32 s13, s12, 31
	s_lshl_b64 s[12:13], s[12:13], 2
	s_add_u32 s3, s3, s12
	s_addc_u32 s6, s6, s13
	s_ashr_i32 s9, s8, 31
	s_lshl_b64 s[26:27], s[8:9], 2
	s_add_u32 s42, s3, s26
	s_addc_u32 s43, s6, s27
	s_add_u32 s3, s24, s4
	s_addc_u32 s4, s25, s5
	;; [unrolled: 2-line block ×4, first 2 shown]
	global_store_dword v5, v3, s[42:43]
	global_store_dword v5, v4, s[4:5]
.LBB282_422:
	s_or_b32 exec_lo, exec_lo, s1
	v_mov_b32_e32 v25, 0
	v_mov_b32_e32 v23, 0
	;; [unrolled: 1-line block ×6, first 2 shown]
	s_and_saveexec_b32 s1, s0
	s_cbranch_execz .LBB282_824
; %bb.423:
	s_sub_i32 s3, s40, s21
	s_ashr_i32 s0, s18, 31
	s_add_u32 s12, s38, s18
	s_addc_u32 s0, s39, s0
	s_abs_i32 s6, s22
	v_and_b32_e32 v5, 0xf8, v16
	v_cvt_f32_u32_e32 v3, s6
	s_sub_i32 s4, 0, s6
	v_lshlrev_b64 v[6:7], 2, v[1:2]
	v_lshlrev_b32_e32 v2, 5, v13
	s_add_i32 s33, s33, -1
	v_rcp_iflag_f32_e32 v4, v3
	v_and_b32_e32 v24, 8, v16
	v_mov_b32_e32 v3, 0
	v_lshl_or_b32 v2, v14, 6, v2
	v_mov_b32_e32 v16, 0x80
	v_mov_b32_e32 v26, 0x7f
	;; [unrolled: 1-line block ×6, first 2 shown]
	v_mul_f32_e32 v4, 0x4f7ffffe, v4
	v_mov_b32_e32 v21, 0
	v_mov_b32_e32 v22, 0
	;; [unrolled: 1-line block ×3, first 2 shown]
	v_add_nc_u32_e32 v29, 0xe0, v2
	v_cvt_u32_f32_e32 v8, v4
	v_add_co_u32 v4, s12, s12, v5
	v_add_co_ci_u32_e64 v5, null, s0, 0, s12
	v_mul_lo_u32 v9, s4, v8
	s_lshl_b64 s[4:5], s[36:37], 2
	v_mov_b32_e32 v25, 0
	s_add_u32 s0, s34, s4
	s_addc_u32 s4, s35, s5
	v_add_co_u32 v6, vcc_lo, s0, v6
	v_add_co_ci_u32_e64 v7, null, s4, v7, vcc_lo
	v_mul_hi_u32 v9, v8, v9
	s_mov_b32 s4, -1
	s_mov_b32 s9, s17
	s_mov_b32 s5, 0xffffff
	;; [unrolled: 1-line block ×3, first 2 shown]
	v_add_nc_u32_e32 v30, v8, v9
	s_branch .LBB282_426
.LBB282_424:                            ;   in Loop: Header=BB282_426 Depth=1
	s_or_b32 exec_lo, exec_lo, s0
	v_add_f32_e32 v10, v10, v11
	;;#ASMSTART
	v_pk_mul_f16 v31, v44, v51;

	;;#ASMEND
	;;#ASMSTART
	v_pk_mul_f16 v9, v43, v9;

	;;#ASMEND
	;; [unrolled: 4-line block ×4, first 2 shown]
	v_add_f32_e32 v20, v20, v10
	;;#ASMSTART
	v_pk_add_f16 v9, v31, v9;

	;;#ASMEND
	;;#ASMSTART
	v_pk_add_f16 v8, v9, v8;

	;;#ASMEND
	;; [unrolled: 4-line block ×3, first 2 shown]
	v_and_b32_e32 v10, 0xffff, v2
	v_lshrrev_b32_e32 v31, 16, v2
	;;#ASMSTART
	v_cvt_f32_f16 v10, v10;
	;;#ASMEND
	v_add_f32_e32 v11, v49, v50
	v_add_f32_e32 v2, v47, v48
	;; [unrolled: 1-line block ×4, first 2 shown]
	;;#ASMSTART
	v_cvt_f32_f16 v31, v31;
	;;#ASMEND
	v_add_f32_e32 v10, v10, v31
	v_add_f32_e32 v21, v21, v11
	;; [unrolled: 1-line block ×6, first 2 shown]
.LBB282_425:                            ;   in Loop: Header=BB282_426 Depth=1
	s_or_b32 exec_lo, exec_lo, s13
	v_add_nc_u32_e32 v1, 4, v1
	v_add_co_u32 v6, s0, v6, 16
	v_add_co_ci_u32_e64 v7, null, 0, v7, s0
	v_cmp_le_i32_e32 vcc_lo, s20, v1
	v_add_nc_u32_e32 v15, 64, v15
	v_add_nc_u32_e32 v29, 0x100, v29
	s_or_b32 s12, vcc_lo, s12
	s_andn2_b32 exec_lo, exec_lo, s12
	s_cbranch_execz .LBB282_823
.LBB282_426:                            ; =>This Inner Loop Header: Depth=1
	v_sub_nc_u32_e32 v2, 0, v15
	v_max_i32_e32 v2, v15, v2
	v_mul_hi_u32 v8, v2, s16
	v_mul_lo_u32 v9, v8, s11
	v_sub_nc_u32_e32 v2, v2, v9
	v_add_nc_u32_e32 v9, 1, v8
	v_subrev_nc_u32_e32 v10, s11, v2
	v_cmp_le_u32_e32 vcc_lo, s11, v2
	v_cndmask_b32_e32 v8, v8, v9, vcc_lo
	v_cndmask_b32_e32 v2, v2, v10, vcc_lo
	v_ashrrev_i32_e32 v9, 31, v15
	v_add_nc_u32_e32 v10, 1, v8
	v_cmp_le_u32_e32 vcc_lo, s11, v2
	v_xor_b32_e32 v9, s23, v9
	v_cndmask_b32_e32 v2, v8, v10, vcc_lo
	v_xor_b32_e32 v2, v2, v9
	v_sub_nc_u32_e32 v2, v2, v9
	v_add_nc_u32_e32 v8, s19, v2
	v_cmp_lt_i32_e64 s0, s3, v2
	v_sub_nc_u32_e32 v9, 0, v8
	v_max_i32_e32 v9, v8, v9
	v_ashrrev_i32_e32 v8, 31, v8
	v_mul_hi_u32 v10, v9, v30
	v_mul_lo_u32 v10, v10, s6
	v_sub_nc_u32_e32 v9, v9, v10
	v_subrev_nc_u32_e32 v10, s6, v9
	v_cmp_le_u32_e32 vcc_lo, s6, v9
	v_cndmask_b32_e32 v9, v9, v10, vcc_lo
	v_subrev_nc_u32_e32 v10, s6, v9
	v_cmp_le_u32_e32 vcc_lo, s6, v9
	v_cndmask_b32_e32 v9, v9, v10, vcc_lo
	v_xor_b32_e32 v9, v9, v8
	v_sub_nc_u32_e32 v8, v9, v8
	v_cmp_eq_u32_e32 vcc_lo, 0, v8
	s_or_b32 s0, vcc_lo, s0
	s_and_saveexec_b32 s13, s0
	s_cbranch_execz .LBB282_425
; %bb.427:                              ;   in Loop: Header=BB282_426 Depth=1
	global_load_dword v2, v[6:7], off
	ds_read2_b64 v[31:34], v29 offset1:1
	ds_read2_b64 v[35:38], v29 offset0:2 offset1:3
	s_waitcnt lgkmcnt(1)
	;;#ASMSTART
	v_cvt_f16_f32 v39, v31;

	;;#ASMEND
	;;#ASMSTART
	v_cvt_f16_f32 v40, v32;

	;;#ASMEND
	;; [unrolled: 4-line block ×4, first 2 shown]
	s_waitcnt lgkmcnt(0)
	;;#ASMSTART
	v_cvt_f16_f32 v44, v35;

	;;#ASMEND
	;;#ASMSTART
	v_cvt_f16_f32 v42, v36;

	;;#ASMEND
	;; [unrolled: 4-line block ×4, first 2 shown]
	v_mov_b32_e32 v33, 0
	v_mov_b32_e32 v34, 0
	global_load_dword v32, v33, s[14:15]
	s_waitcnt vmcnt(1)
	v_mad_i64_i32 v[8:9], null, v2, s9, v[4:5]
	global_load_dwordx2 v[10:11], v[8:9], off
	s_waitcnt vmcnt(0)
	v_cmp_ne_u16_sdwa s17, v10, v3 src0_sel:BYTE_0 src1_sel:DWORD
	s_and_saveexec_b32 s0, s17
	s_cbranch_execz .LBB282_435
; %bb.428:                              ;   in Loop: Header=BB282_426 Depth=1
	v_cmp_ne_u16_sdwa s18, v10, v16 src0_sel:BYTE_0 src1_sel:DWORD
	v_mov_b32_e32 v34, 0x8000
	s_and_saveexec_b32 s17, s18
	s_cbranch_execz .LBB282_434
; %bb.429:                              ;   in Loop: Header=BB282_426 Depth=1
	v_and_b32_e32 v35, 0x7f, v10
	v_mov_b32_e32 v34, 0x7c01
	s_mov_b32 s18, exec_lo
	v_cmpx_ne_u32_e32 0x7f, v35
	s_cbranch_execz .LBB282_433
; %bb.430:                              ;   in Loop: Header=BB282_426 Depth=1
	v_and_b32_e32 v2, 7, v10
	v_lshrrev_b32_e32 v31, 3, v35
	s_mov_b32 s21, exec_lo
	v_cmpx_gt_u32_e32 8, v35
; %bb.431:                              ;   in Loop: Header=BB282_426 Depth=1
	v_ffbh_u32_e32 v2, v2
	v_min_u32_e32 v2, 32, v2
	v_subrev_nc_u32_e32 v31, 28, v2
	v_lshlrev_b64 v[34:35], v31, v[10:11]
	v_sub_nc_u32_e32 v31, 29, v2
	v_and_b32_e32 v2, 7, v34
; %bb.432:                              ;   in Loop: Header=BB282_426 Depth=1
	s_or_b32 exec_lo, exec_lo, s21
	v_lshlrev_b32_e32 v34, 8, v10
	v_lshl_add_u32 v31, v31, 10, 0x2000
	v_lshlrev_b32_e32 v2, 7, v2
	v_and_b32_e32 v34, 0x8000, v34
	v_and_b32_e32 v31, 0xfc00, v31
	v_or3_b32 v34, v34, v31, v2
.LBB282_433:                            ;   in Loop: Header=BB282_426 Depth=1
	s_or_b32 exec_lo, exec_lo, s18
.LBB282_434:                            ;   in Loop: Header=BB282_426 Depth=1
	s_or_b32 exec_lo, exec_lo, s17
.LBB282_435:                            ;   in Loop: Header=BB282_426 Depth=1
	s_or_b32 exec_lo, exec_lo, s0
	v_lshrrev_b16 v2, 8, v10
	s_mov_b32 s0, exec_lo
	v_cmpx_ne_u16_e32 0, v2
	s_cbranch_execz .LBB282_443
; %bb.436:                              ;   in Loop: Header=BB282_426 Depth=1
	v_bfrev_b32_e32 v33, 1
	s_mov_b32 s17, exec_lo
	v_cmpx_ne_u16_e32 0x80, v2
	s_cbranch_execz .LBB282_442
; %bb.437:                              ;   in Loop: Header=BB282_426 Depth=1
	v_and_b32_sdwa v35, v2, v26 dst_sel:DWORD dst_unused:UNUSED_PAD src0_sel:WORD_0 src1_sel:DWORD
	v_mov_b32_e32 v33, 0x7c010000
	s_mov_b32 s18, exec_lo
	v_cmpx_ne_u32_e32 0x7f, v35
	s_cbranch_execz .LBB282_441
; %bb.438:                              ;   in Loop: Header=BB282_426 Depth=1
	v_and_b32_sdwa v31, v2, v27 dst_sel:DWORD dst_unused:UNUSED_PAD src0_sel:WORD_0 src1_sel:DWORD
	v_lshrrev_b32_e32 v33, 3, v35
	s_mov_b32 s21, exec_lo
	v_cmpx_gt_u32_e32 8, v35
; %bb.439:                              ;   in Loop: Header=BB282_426 Depth=1
	v_ffbh_u32_e32 v31, v31
	v_min_u32_e32 v31, 32, v31
	v_subrev_nc_u32_e32 v33, 28, v31
	v_lshlrev_b64 v[35:36], v33, v[2:3]
	v_sub_nc_u32_e32 v33, 29, v31
	v_and_b32_e32 v31, 7, v35
; %bb.440:                              ;   in Loop: Header=BB282_426 Depth=1
	s_or_b32 exec_lo, exec_lo, s21
	v_lshlrev_b32_sdwa v2, v28, v2 dst_sel:DWORD dst_unused:UNUSED_PAD src0_sel:DWORD src1_sel:WORD_0
	v_lshl_add_u32 v33, v33, 10, 0x2000
	v_lshlrev_b32_e32 v31, 23, v31
	v_and_or_b32 v2, 0x8000, v2, v33
	v_lshl_or_b32 v33, v2, 16, v31
.LBB282_441:                            ;   in Loop: Header=BB282_426 Depth=1
	s_or_b32 exec_lo, exec_lo, s18
.LBB282_442:                            ;   in Loop: Header=BB282_426 Depth=1
	s_or_b32 exec_lo, exec_lo, s17
.LBB282_443:                            ;   in Loop: Header=BB282_426 Depth=1
	s_or_b32 exec_lo, exec_lo, s0
	v_lshrrev_b32_e32 v2, 16, v10
	v_mov_b32_e32 v35, 0
	v_mov_b32_e32 v31, 0
	v_cmp_ne_u16_sdwa s17, v2, v3 src0_sel:BYTE_0 src1_sel:DWORD
	s_and_saveexec_b32 s0, s17
	s_cbranch_execz .LBB282_451
; %bb.444:                              ;   in Loop: Header=BB282_426 Depth=1
	v_cmp_ne_u16_sdwa s18, v2, v16 src0_sel:BYTE_0 src1_sel:DWORD
	v_mov_b32_e32 v31, 0x8000
	s_and_saveexec_b32 s17, s18
	s_cbranch_execz .LBB282_450
; %bb.445:                              ;   in Loop: Header=BB282_426 Depth=1
	v_bfe_u32 v37, v10, 16, 7
	v_mov_b32_e32 v31, 0x7c01
	s_mov_b32 s18, exec_lo
	v_cmpx_ne_u32_e32 0x7f, v37
	s_cbranch_execz .LBB282_449
; %bb.446:                              ;   in Loop: Header=BB282_426 Depth=1
	v_and_b32_e32 v31, 7, v2
	v_lshrrev_b32_e32 v36, 3, v37
	s_mov_b32 s21, exec_lo
	v_cmpx_gt_u32_e32 8, v37
; %bb.447:                              ;   in Loop: Header=BB282_426 Depth=1
	v_ffbh_u32_e32 v31, v31
	v_min_u32_e32 v31, 32, v31
	v_subrev_nc_u32_e32 v36, 28, v31
	v_lshlrev_b64 v[37:38], v36, v[2:3]
	v_sub_nc_u32_e32 v36, 29, v31
	v_and_b32_e32 v31, 7, v37
; %bb.448:                              ;   in Loop: Header=BB282_426 Depth=1
	s_or_b32 exec_lo, exec_lo, s21
	v_lshlrev_b32_e32 v2, 8, v2
	v_lshl_add_u32 v36, v36, 10, 0x2000
	v_lshlrev_b32_e32 v31, 7, v31
	v_and_b32_e32 v2, 0x8000, v2
	v_and_b32_e32 v36, 0xfc00, v36
	v_or3_b32 v31, v2, v36, v31
.LBB282_449:                            ;   in Loop: Header=BB282_426 Depth=1
	s_or_b32 exec_lo, exec_lo, s18
.LBB282_450:                            ;   in Loop: Header=BB282_426 Depth=1
	s_or_b32 exec_lo, exec_lo, s17
.LBB282_451:                            ;   in Loop: Header=BB282_426 Depth=1
	s_or_b32 exec_lo, exec_lo, s0
	s_mov_b32 s0, exec_lo
	v_cmpx_lt_u32_e32 0xffffff, v10
	s_cbranch_execz .LBB282_459
; %bb.452:                              ;   in Loop: Header=BB282_426 Depth=1
	v_lshrrev_b32_e32 v2, 24, v10
	v_bfrev_b32_e32 v35, 1
	s_mov_b32 s17, exec_lo
	v_cmpx_ne_u32_e32 0x80, v2
	s_cbranch_execz .LBB282_458
; %bb.453:                              ;   in Loop: Header=BB282_426 Depth=1
	v_and_b32_e32 v37, 0x7f, v2
	v_mov_b32_e32 v35, 0x7c010000
	s_mov_b32 s18, exec_lo
	v_cmpx_ne_u32_e32 0x7f, v37
	s_cbranch_execz .LBB282_457
; %bb.454:                              ;   in Loop: Header=BB282_426 Depth=1
	v_and_b32_e32 v35, 7, v2
	v_lshrrev_b32_e32 v36, 3, v37
	s_mov_b32 s21, exec_lo
	v_cmpx_gt_u32_e32 8, v37
; %bb.455:                              ;   in Loop: Header=BB282_426 Depth=1
	v_ffbh_u32_e32 v35, v35
	v_min_u32_e32 v37, 32, v35
	v_subrev_nc_u32_e32 v35, 28, v37
	v_lshlrev_b64 v[35:36], v35, v[2:3]
	v_sub_nc_u32_e32 v36, 29, v37
	v_and_b32_e32 v35, 7, v35
; %bb.456:                              ;   in Loop: Header=BB282_426 Depth=1
	s_or_b32 exec_lo, exec_lo, s21
	v_lshlrev_b32_e32 v2, 8, v2
	v_lshl_add_u32 v36, v36, 10, 0x2000
	v_lshlrev_b32_e32 v35, 23, v35
	v_and_or_b32 v2, 0x8000, v2, v36
	v_lshl_or_b32 v35, v2, 16, v35
.LBB282_457:                            ;   in Loop: Header=BB282_426 Depth=1
	s_or_b32 exec_lo, exec_lo, s18
.LBB282_458:                            ;   in Loop: Header=BB282_426 Depth=1
	s_or_b32 exec_lo, exec_lo, s17
.LBB282_459:                            ;   in Loop: Header=BB282_426 Depth=1
	s_or_b32 exec_lo, exec_lo, s0
	v_mov_b32_e32 v2, v11
	v_cmp_ne_u16_sdwa s17, v11, v3 src0_sel:BYTE_0 src1_sel:DWORD
	v_mov_b32_e32 v36, 0
	v_mov_b32_e32 v37, 0
	s_and_saveexec_b32 s0, s17
	s_cbranch_execz .LBB282_467
; %bb.460:                              ;   in Loop: Header=BB282_426 Depth=1
	v_cmp_ne_u16_sdwa s18, v11, v16 src0_sel:BYTE_0 src1_sel:DWORD
	v_mov_b32_e32 v37, 0x8000
	s_and_saveexec_b32 s17, s18
	s_cbranch_execz .LBB282_466
; %bb.461:                              ;   in Loop: Header=BB282_426 Depth=1
	v_and_b32_e32 v47, 0x7f, v11
	v_mov_b32_e32 v37, 0x7c01
	s_mov_b32 s18, exec_lo
	v_cmpx_ne_u32_e32 0x7f, v47
	s_cbranch_execz .LBB282_465
; %bb.462:                              ;   in Loop: Header=BB282_426 Depth=1
	v_and_b32_e32 v37, 7, v11
	v_lshrrev_b32_e32 v38, 3, v47
	s_mov_b32 s21, exec_lo
	v_cmpx_gt_u32_e32 8, v47
; %bb.463:                              ;   in Loop: Header=BB282_426 Depth=1
	v_ffbh_u32_e32 v37, v37
	v_min_u32_e32 v47, 32, v37
	v_subrev_nc_u32_e32 v37, 28, v47
	v_lshlrev_b64 v[37:38], v37, v[2:3]
	v_sub_nc_u32_e32 v38, 29, v47
	v_and_b32_e32 v37, 7, v37
; %bb.464:                              ;   in Loop: Header=BB282_426 Depth=1
	s_or_b32 exec_lo, exec_lo, s21
	v_lshlrev_b32_e32 v47, 8, v11
	v_lshl_add_u32 v38, v38, 10, 0x2000
	v_lshlrev_b32_e32 v37, 7, v37
	v_and_b32_e32 v47, 0x8000, v47
	v_and_b32_e32 v38, 0xfc00, v38
	v_or3_b32 v37, v47, v38, v37
.LBB282_465:                            ;   in Loop: Header=BB282_426 Depth=1
	s_or_b32 exec_lo, exec_lo, s18
.LBB282_466:                            ;   in Loop: Header=BB282_426 Depth=1
	s_or_b32 exec_lo, exec_lo, s17
.LBB282_467:                            ;   in Loop: Header=BB282_426 Depth=1
	s_or_b32 exec_lo, exec_lo, s0
	v_lshrrev_b16 v2, 8, v2
	v_mov_b32_e32 v38, 0
	s_mov_b32 s0, exec_lo
	v_cmpx_ne_u16_e32 0, v2
	s_cbranch_execz .LBB282_475
; %bb.468:                              ;   in Loop: Header=BB282_426 Depth=1
	v_bfrev_b32_e32 v38, 1
	s_mov_b32 s17, exec_lo
	v_cmpx_ne_u16_e32 0x80, v2
	s_cbranch_execz .LBB282_474
; %bb.469:                              ;   in Loop: Header=BB282_426 Depth=1
	v_and_b32_sdwa v48, v2, v26 dst_sel:DWORD dst_unused:UNUSED_PAD src0_sel:WORD_0 src1_sel:DWORD
	v_mov_b32_e32 v38, 0x7c010000
	s_mov_b32 s18, exec_lo
	v_cmpx_ne_u32_e32 0x7f, v48
	s_cbranch_execz .LBB282_473
; %bb.470:                              ;   in Loop: Header=BB282_426 Depth=1
	v_and_b32_sdwa v38, v2, v27 dst_sel:DWORD dst_unused:UNUSED_PAD src0_sel:WORD_0 src1_sel:DWORD
	v_lshrrev_b32_e32 v47, 3, v48
	s_mov_b32 s21, exec_lo
	v_cmpx_gt_u32_e32 8, v48
; %bb.471:                              ;   in Loop: Header=BB282_426 Depth=1
	v_ffbh_u32_e32 v38, v38
	v_min_u32_e32 v38, 32, v38
	v_subrev_nc_u32_e32 v47, 28, v38
	v_lshlrev_b64 v[48:49], v47, v[2:3]
	v_sub_nc_u32_e32 v47, 29, v38
	v_and_b32_e32 v38, 7, v48
; %bb.472:                              ;   in Loop: Header=BB282_426 Depth=1
	s_or_b32 exec_lo, exec_lo, s21
	v_lshlrev_b32_sdwa v2, v28, v2 dst_sel:DWORD dst_unused:UNUSED_PAD src0_sel:DWORD src1_sel:WORD_0
	v_lshl_add_u32 v47, v47, 10, 0x2000
	v_lshlrev_b32_e32 v38, 23, v38
	v_and_or_b32 v2, 0x8000, v2, v47
	v_lshl_or_b32 v38, v2, 16, v38
.LBB282_473:                            ;   in Loop: Header=BB282_426 Depth=1
	s_or_b32 exec_lo, exec_lo, s18
.LBB282_474:                            ;   in Loop: Header=BB282_426 Depth=1
	s_or_b32 exec_lo, exec_lo, s17
.LBB282_475:                            ;   in Loop: Header=BB282_426 Depth=1
	s_or_b32 exec_lo, exec_lo, s0
	v_lshrrev_b32_e32 v2, 16, v11
	v_cmp_ne_u16_sdwa s17, v2, v3 src0_sel:BYTE_0 src1_sel:DWORD
	s_and_saveexec_b32 s0, s17
	s_cbranch_execz .LBB282_483
; %bb.476:                              ;   in Loop: Header=BB282_426 Depth=1
	v_cmp_ne_u16_sdwa s18, v2, v16 src0_sel:BYTE_0 src1_sel:DWORD
	v_mov_b32_e32 v36, 0x8000
	s_and_saveexec_b32 s17, s18
	s_cbranch_execz .LBB282_482
; %bb.477:                              ;   in Loop: Header=BB282_426 Depth=1
	v_bfe_u32 v48, v11, 16, 7
	v_mov_b32_e32 v36, 0x7c01
	s_mov_b32 s18, exec_lo
	v_cmpx_ne_u32_e32 0x7f, v48
	s_cbranch_execz .LBB282_481
; %bb.478:                              ;   in Loop: Header=BB282_426 Depth=1
	v_and_b32_e32 v36, 7, v2
	v_lshrrev_b32_e32 v47, 3, v48
	s_mov_b32 s21, exec_lo
	v_cmpx_gt_u32_e32 8, v48
; %bb.479:                              ;   in Loop: Header=BB282_426 Depth=1
	v_ffbh_u32_e32 v36, v36
	v_min_u32_e32 v36, 32, v36
	v_subrev_nc_u32_e32 v47, 28, v36
	v_lshlrev_b64 v[48:49], v47, v[2:3]
	v_sub_nc_u32_e32 v47, 29, v36
	v_and_b32_e32 v36, 7, v48
; %bb.480:                              ;   in Loop: Header=BB282_426 Depth=1
	s_or_b32 exec_lo, exec_lo, s21
	v_lshlrev_b32_e32 v2, 8, v2
	v_lshl_add_u32 v47, v47, 10, 0x2000
	v_lshlrev_b32_e32 v36, 7, v36
	v_and_b32_e32 v2, 0x8000, v2
	v_and_b32_e32 v47, 0xfc00, v47
	v_or3_b32 v36, v2, v47, v36
.LBB282_481:                            ;   in Loop: Header=BB282_426 Depth=1
	s_or_b32 exec_lo, exec_lo, s18
.LBB282_482:                            ;   in Loop: Header=BB282_426 Depth=1
	s_or_b32 exec_lo, exec_lo, s17
.LBB282_483:                            ;   in Loop: Header=BB282_426 Depth=1
	s_or_b32 exec_lo, exec_lo, s0
	v_cmp_lt_u64_e32 vcc_lo, s[4:5], v[10:11]
	v_mov_b32_e32 v10, 0
	s_and_saveexec_b32 s0, vcc_lo
	s_cbranch_execz .LBB282_491
; %bb.484:                              ;   in Loop: Header=BB282_426 Depth=1
	v_lshrrev_b32_e32 v2, 24, v11
	v_bfrev_b32_e32 v10, 1
	s_mov_b32 s17, exec_lo
	v_cmpx_ne_u32_e32 0x80, v2
	s_cbranch_execz .LBB282_490
; %bb.485:                              ;   in Loop: Header=BB282_426 Depth=1
	v_and_b32_e32 v47, 0x7f, v2
	v_mov_b32_e32 v10, 0x7c010000
	s_mov_b32 s18, exec_lo
	v_cmpx_ne_u32_e32 0x7f, v47
	s_cbranch_execz .LBB282_489
; %bb.486:                              ;   in Loop: Header=BB282_426 Depth=1
	v_and_b32_e32 v10, 7, v2
	v_lshrrev_b32_e32 v11, 3, v47
	s_mov_b32 s21, exec_lo
	v_cmpx_gt_u32_e32 8, v47
; %bb.487:                              ;   in Loop: Header=BB282_426 Depth=1
	v_ffbh_u32_e32 v10, v10
	v_min_u32_e32 v47, 32, v10
	v_subrev_nc_u32_e32 v10, 28, v47
	v_lshlrev_b64 v[10:11], v10, v[2:3]
	v_sub_nc_u32_e32 v11, 29, v47
	v_and_b32_e32 v10, 7, v10
; %bb.488:                              ;   in Loop: Header=BB282_426 Depth=1
	s_or_b32 exec_lo, exec_lo, s21
	v_lshlrev_b32_e32 v2, 8, v2
	v_lshl_add_u32 v11, v11, 10, 0x2000
	v_lshlrev_b32_e32 v10, 23, v10
	v_and_or_b32 v2, 0x8000, v2, v11
	v_lshl_or_b32 v10, v2, 16, v10
.LBB282_489:                            ;   in Loop: Header=BB282_426 Depth=1
	s_or_b32 exec_lo, exec_lo, s18
.LBB282_490:                            ;   in Loop: Header=BB282_426 Depth=1
	s_or_b32 exec_lo, exec_lo, s17
.LBB282_491:                            ;   in Loop: Header=BB282_426 Depth=1
	s_or_b32 exec_lo, exec_lo, s0
	v_or_b32_e32 v2, v35, v31
	v_fma_mixlo_f16 v11, v32, v35, 0 op_sel:[0,1,0] op_sel_hi:[0,1,0]
	v_or_b32_e32 v34, v33, v34
	v_fma_mixlo_f16 v33, v32, v33, 0 op_sel:[0,1,0] op_sel_hi:[0,1,0]
	v_or_b32_e32 v35, v38, v37
	v_fma_mixlo_f16 v2, v32, v2, 0 op_sel_hi:[0,1,0]
	v_or_b32_e32 v36, v10, v36
	v_fma_mixlo_f16 v10, v32, v10, 0 op_sel:[0,1,0] op_sel_hi:[0,1,0]
	v_lshlrev_b32_e32 v53, 16, v33
	v_fma_mixlo_f16 v33, v32, v38, 0 op_sel:[0,1,0] op_sel_hi:[0,1,0]
	v_and_b32_e32 v50, 0xffff, v2
	v_fma_mixlo_f16 v2, v32, v34, 0 op_sel_hi:[0,1,0]
	v_fma_mixlo_f16 v34, v32, v35, 0 op_sel_hi:[0,1,0]
	;; [unrolled: 1-line block ×3, first 2 shown]
	v_add_nc_u32_e32 v31, v24, v15
	v_lshlrev_b32_e32 v11, 16, v11
	v_and_b32_e32 v55, 0xffff, v2
	v_lshlrev_b32_e32 v51, 16, v33
	v_and_b32_e32 v54, 0xffff, v34
	;; [unrolled: 2-line block ×3, first 2 shown]
	v_cmp_eq_u32_e32 vcc_lo, s33, v1
	v_or_b32_e32 v2, v11, v50
	v_or_b32_e32 v10, v53, v55
	;; [unrolled: 1-line block ×4, first 2 shown]
	v_add_nc_u32_e32 v38, 1, v31
	v_add_nc_u32_e32 v37, 2, v31
	;; [unrolled: 1-line block ×7, first 2 shown]
	s_and_saveexec_b32 s17, vcc_lo
	s_cbranch_execz .LBB282_493
; %bb.492:                              ;   in Loop: Header=BB282_426 Depth=1
	v_cmp_gt_i32_e64 s0, s31, v31
	v_cndmask_b32_e64 v2, 0, v55, s0
	v_cmp_gt_i32_e64 s0, s31, v38
	v_cndmask_b32_e64 v10, 0, v53, s0
	v_cmp_gt_i32_e64 s0, s31, v37
	v_or_b32_e32 v10, v10, v2
	v_cndmask_b32_e64 v47, 0, v50, s0
	v_cmp_gt_i32_e64 s0, s31, v36
	v_cndmask_b32_e64 v11, 0, v11, s0
	v_cmp_gt_i32_e64 s0, s31, v35
	v_or_b32_e32 v2, v11, v47
	;; [unrolled: 5-line block ×3, first 2 shown]
	v_cndmask_b32_e64 v51, 0, v52, s0
	v_cmp_gt_i32_e64 s0, s31, v32
	v_cndmask_b32_e64 v48, 0, v48, s0
	v_or_b32_e32 v49, v48, v51
.LBB282_493:                            ;   in Loop: Header=BB282_426 Depth=1
	s_or_b32 exec_lo, exec_lo, s17
	v_and_b32_e32 v11, 0xffff, v39
	v_and_b32_e32 v39, 0xffff, v43
	;; [unrolled: 1-line block ×4, first 2 shown]
	v_lshl_or_b32 v44, v40, 16, v11
	v_lshl_or_b32 v43, v41, 16, v39
	;;#ASMSTART
	v_pk_mul_f16 v10, v44, v10;

	;;#ASMEND
	;;#ASMSTART
	v_pk_mul_f16 v2, v43, v2;

	;;#ASMEND
	v_lshl_or_b32 v42, v42, 16, v48
	v_lshl_or_b32 v41, v45, 16, v46
	;;#ASMSTART
	v_pk_mul_f16 v11, v42, v47;

	;;#ASMEND
	;;#ASMSTART
	v_pk_mul_f16 v39, v41, v49;

	;;#ASMEND
	;;#ASMSTART
	v_pk_add_f16 v2, v10, v2;

	;;#ASMEND
	;;#ASMSTART
	v_pk_add_f16 v2, v2, v11;
	;; [unrolled: 4-line block ×3, first 2 shown]

	;;#ASMEND
	v_and_b32_e32 v10, 0xffff, v2
	v_lshrrev_b32_e32 v2, 16, v2
	;;#ASMSTART
	v_cvt_f32_f16 v39, v10;
	;;#ASMEND
	;;#ASMSTART
	v_cvt_f32_f16 v40, v2;
	;;#ASMEND
	global_load_dwordx2 v[10:11], v[8:9], off offset:256
	v_mov_b32_e32 v46, 0
	v_mov_b32_e32 v47, 0
	global_load_dword v45, v46, s[14:15]
	s_waitcnt vmcnt(1)
	v_cmp_ne_u16_sdwa s0, v10, v3 src0_sel:BYTE_0 src1_sel:DWORD
	s_and_saveexec_b32 s17, s0
	s_cbranch_execz .LBB282_501
; %bb.494:                              ;   in Loop: Header=BB282_426 Depth=1
	v_cmp_ne_u16_sdwa s0, v10, v16 src0_sel:BYTE_0 src1_sel:DWORD
	v_mov_b32_e32 v47, 0x8000
	s_and_saveexec_b32 s18, s0
	s_cbranch_execz .LBB282_500
; %bb.495:                              ;   in Loop: Header=BB282_426 Depth=1
	v_and_b32_e32 v48, 0x7f, v10
	v_mov_b32_e32 v47, 0x7c01
	s_mov_b32 s21, exec_lo
	v_cmpx_ne_u32_e32 0x7f, v48
	s_cbranch_execz .LBB282_499
; %bb.496:                              ;   in Loop: Header=BB282_426 Depth=1
	v_and_b32_e32 v2, 7, v10
	v_lshrrev_b32_e32 v47, 3, v48
	s_mov_b32 s22, exec_lo
	v_cmpx_gt_u32_e32 8, v48
; %bb.497:                              ;   in Loop: Header=BB282_426 Depth=1
	v_ffbh_u32_e32 v2, v2
	v_min_u32_e32 v2, 32, v2
	v_subrev_nc_u32_e32 v47, 28, v2
	v_lshlrev_b64 v[48:49], v47, v[10:11]
	v_sub_nc_u32_e32 v47, 29, v2
	v_and_b32_e32 v2, 7, v48
; %bb.498:                              ;   in Loop: Header=BB282_426 Depth=1
	s_or_b32 exec_lo, exec_lo, s22
	v_lshlrev_b32_e32 v48, 8, v10
	v_lshl_add_u32 v47, v47, 10, 0x2000
	v_lshlrev_b32_e32 v2, 7, v2
	v_and_b32_e32 v48, 0x8000, v48
	v_and_b32_e32 v47, 0xfc00, v47
	v_or3_b32 v47, v48, v47, v2
.LBB282_499:                            ;   in Loop: Header=BB282_426 Depth=1
	s_or_b32 exec_lo, exec_lo, s21
.LBB282_500:                            ;   in Loop: Header=BB282_426 Depth=1
	s_or_b32 exec_lo, exec_lo, s18
.LBB282_501:                            ;   in Loop: Header=BB282_426 Depth=1
	s_or_b32 exec_lo, exec_lo, s17
	v_lshrrev_b16 v2, 8, v10
	s_mov_b32 s17, exec_lo
	v_cmpx_ne_u16_e32 0, v2
	s_cbranch_execz .LBB282_509
; %bb.502:                              ;   in Loop: Header=BB282_426 Depth=1
	v_bfrev_b32_e32 v46, 1
	s_mov_b32 s18, exec_lo
	v_cmpx_ne_u16_e32 0x80, v2
	s_cbranch_execz .LBB282_508
; %bb.503:                              ;   in Loop: Header=BB282_426 Depth=1
	v_and_b32_sdwa v49, v2, v26 dst_sel:DWORD dst_unused:UNUSED_PAD src0_sel:WORD_0 src1_sel:DWORD
	v_mov_b32_e32 v46, 0x7c010000
	s_mov_b32 s21, exec_lo
	v_cmpx_ne_u32_e32 0x7f, v49
	s_cbranch_execz .LBB282_507
; %bb.504:                              ;   in Loop: Header=BB282_426 Depth=1
	v_and_b32_sdwa v46, v2, v27 dst_sel:DWORD dst_unused:UNUSED_PAD src0_sel:WORD_0 src1_sel:DWORD
	v_lshrrev_b32_e32 v48, 3, v49
	s_mov_b32 s22, exec_lo
	v_cmpx_gt_u32_e32 8, v49
; %bb.505:                              ;   in Loop: Header=BB282_426 Depth=1
	v_ffbh_u32_e32 v46, v46
	v_min_u32_e32 v46, 32, v46
	v_subrev_nc_u32_e32 v48, 28, v46
	v_lshlrev_b64 v[49:50], v48, v[2:3]
	v_sub_nc_u32_e32 v48, 29, v46
	v_and_b32_e32 v46, 7, v49
; %bb.506:                              ;   in Loop: Header=BB282_426 Depth=1
	s_or_b32 exec_lo, exec_lo, s22
	v_lshlrev_b32_sdwa v2, v28, v2 dst_sel:DWORD dst_unused:UNUSED_PAD src0_sel:DWORD src1_sel:WORD_0
	v_lshl_add_u32 v48, v48, 10, 0x2000
	v_lshlrev_b32_e32 v46, 23, v46
	v_and_or_b32 v2, 0x8000, v2, v48
	v_lshl_or_b32 v46, v2, 16, v46
.LBB282_507:                            ;   in Loop: Header=BB282_426 Depth=1
	s_or_b32 exec_lo, exec_lo, s21
.LBB282_508:                            ;   in Loop: Header=BB282_426 Depth=1
	s_or_b32 exec_lo, exec_lo, s18
.LBB282_509:                            ;   in Loop: Header=BB282_426 Depth=1
	s_or_b32 exec_lo, exec_lo, s17
	v_lshrrev_b32_e32 v2, 16, v10
	v_mov_b32_e32 v48, 0
	v_mov_b32_e32 v49, 0
	v_cmp_ne_u16_sdwa s0, v2, v3 src0_sel:BYTE_0 src1_sel:DWORD
	s_and_saveexec_b32 s17, s0
	s_cbranch_execz .LBB282_517
; %bb.510:                              ;   in Loop: Header=BB282_426 Depth=1
	v_cmp_ne_u16_sdwa s0, v2, v16 src0_sel:BYTE_0 src1_sel:DWORD
	v_mov_b32_e32 v49, 0x8000
	s_and_saveexec_b32 s18, s0
	s_cbranch_execz .LBB282_516
; %bb.511:                              ;   in Loop: Header=BB282_426 Depth=1
	v_bfe_u32 v51, v10, 16, 7
	v_mov_b32_e32 v49, 0x7c01
	s_mov_b32 s21, exec_lo
	v_cmpx_ne_u32_e32 0x7f, v51
	s_cbranch_execz .LBB282_515
; %bb.512:                              ;   in Loop: Header=BB282_426 Depth=1
	v_and_b32_e32 v49, 7, v2
	v_lshrrev_b32_e32 v50, 3, v51
	s_mov_b32 s22, exec_lo
	v_cmpx_gt_u32_e32 8, v51
; %bb.513:                              ;   in Loop: Header=BB282_426 Depth=1
	v_ffbh_u32_e32 v49, v49
	v_min_u32_e32 v51, 32, v49
	v_subrev_nc_u32_e32 v49, 28, v51
	v_lshlrev_b64 v[49:50], v49, v[2:3]
	v_sub_nc_u32_e32 v50, 29, v51
	v_and_b32_e32 v49, 7, v49
; %bb.514:                              ;   in Loop: Header=BB282_426 Depth=1
	s_or_b32 exec_lo, exec_lo, s22
	v_lshlrev_b32_e32 v2, 8, v2
	v_lshl_add_u32 v50, v50, 10, 0x2000
	v_lshlrev_b32_e32 v49, 7, v49
	v_and_b32_e32 v2, 0x8000, v2
	v_and_b32_e32 v50, 0xfc00, v50
	v_or3_b32 v49, v2, v50, v49
.LBB282_515:                            ;   in Loop: Header=BB282_426 Depth=1
	s_or_b32 exec_lo, exec_lo, s21
.LBB282_516:                            ;   in Loop: Header=BB282_426 Depth=1
	s_or_b32 exec_lo, exec_lo, s18
.LBB282_517:                            ;   in Loop: Header=BB282_426 Depth=1
	s_or_b32 exec_lo, exec_lo, s17
	s_mov_b32 s17, exec_lo
	v_cmpx_lt_u32_e32 0xffffff, v10
	s_cbranch_execz .LBB282_525
; %bb.518:                              ;   in Loop: Header=BB282_426 Depth=1
	v_lshrrev_b32_e32 v2, 24, v10
	v_bfrev_b32_e32 v48, 1
	s_mov_b32 s18, exec_lo
	v_cmpx_ne_u32_e32 0x80, v2
	s_cbranch_execz .LBB282_524
; %bb.519:                              ;   in Loop: Header=BB282_426 Depth=1
	v_and_b32_e32 v51, 0x7f, v2
	v_mov_b32_e32 v48, 0x7c010000
	s_mov_b32 s21, exec_lo
	v_cmpx_ne_u32_e32 0x7f, v51
	s_cbranch_execz .LBB282_523
; %bb.520:                              ;   in Loop: Header=BB282_426 Depth=1
	v_and_b32_e32 v48, 7, v2
	v_lshrrev_b32_e32 v50, 3, v51
	s_mov_b32 s22, exec_lo
	v_cmpx_gt_u32_e32 8, v51
; %bb.521:                              ;   in Loop: Header=BB282_426 Depth=1
	v_ffbh_u32_e32 v48, v48
	v_min_u32_e32 v48, 32, v48
	v_subrev_nc_u32_e32 v50, 28, v48
	v_lshlrev_b64 v[51:52], v50, v[2:3]
	v_sub_nc_u32_e32 v50, 29, v48
	v_and_b32_e32 v48, 7, v51
; %bb.522:                              ;   in Loop: Header=BB282_426 Depth=1
	s_or_b32 exec_lo, exec_lo, s22
	v_lshlrev_b32_e32 v2, 8, v2
	v_lshl_add_u32 v50, v50, 10, 0x2000
	v_lshlrev_b32_e32 v48, 23, v48
	v_and_or_b32 v2, 0x8000, v2, v50
	v_lshl_or_b32 v48, v2, 16, v48
.LBB282_523:                            ;   in Loop: Header=BB282_426 Depth=1
	s_or_b32 exec_lo, exec_lo, s21
.LBB282_524:                            ;   in Loop: Header=BB282_426 Depth=1
	s_or_b32 exec_lo, exec_lo, s18
.LBB282_525:                            ;   in Loop: Header=BB282_426 Depth=1
	s_or_b32 exec_lo, exec_lo, s17
	v_mov_b32_e32 v2, v11
	v_cmp_ne_u16_sdwa s0, v11, v3 src0_sel:BYTE_0 src1_sel:DWORD
	v_mov_b32_e32 v50, 0
	v_mov_b32_e32 v51, 0
	s_and_saveexec_b32 s17, s0
	s_cbranch_execz .LBB282_533
; %bb.526:                              ;   in Loop: Header=BB282_426 Depth=1
	v_cmp_ne_u16_sdwa s0, v11, v16 src0_sel:BYTE_0 src1_sel:DWORD
	v_mov_b32_e32 v51, 0x8000
	s_and_saveexec_b32 s18, s0
	s_cbranch_execz .LBB282_532
; %bb.527:                              ;   in Loop: Header=BB282_426 Depth=1
	v_and_b32_e32 v53, 0x7f, v11
	v_mov_b32_e32 v51, 0x7c01
	s_mov_b32 s21, exec_lo
	v_cmpx_ne_u32_e32 0x7f, v53
	s_cbranch_execz .LBB282_531
; %bb.528:                              ;   in Loop: Header=BB282_426 Depth=1
	v_and_b32_e32 v51, 7, v11
	v_lshrrev_b32_e32 v52, 3, v53
	s_mov_b32 s22, exec_lo
	v_cmpx_gt_u32_e32 8, v53
; %bb.529:                              ;   in Loop: Header=BB282_426 Depth=1
	v_ffbh_u32_e32 v51, v51
	v_min_u32_e32 v53, 32, v51
	v_subrev_nc_u32_e32 v51, 28, v53
	v_lshlrev_b64 v[51:52], v51, v[2:3]
	v_sub_nc_u32_e32 v52, 29, v53
	v_and_b32_e32 v51, 7, v51
; %bb.530:                              ;   in Loop: Header=BB282_426 Depth=1
	s_or_b32 exec_lo, exec_lo, s22
	v_lshlrev_b32_e32 v53, 8, v11
	v_lshl_add_u32 v52, v52, 10, 0x2000
	v_lshlrev_b32_e32 v51, 7, v51
	v_and_b32_e32 v53, 0x8000, v53
	v_and_b32_e32 v52, 0xfc00, v52
	v_or3_b32 v51, v53, v52, v51
.LBB282_531:                            ;   in Loop: Header=BB282_426 Depth=1
	s_or_b32 exec_lo, exec_lo, s21
.LBB282_532:                            ;   in Loop: Header=BB282_426 Depth=1
	s_or_b32 exec_lo, exec_lo, s18
.LBB282_533:                            ;   in Loop: Header=BB282_426 Depth=1
	s_or_b32 exec_lo, exec_lo, s17
	v_lshrrev_b16 v2, 8, v2
	v_mov_b32_e32 v52, 0
	s_mov_b32 s17, exec_lo
	v_cmpx_ne_u16_e32 0, v2
	s_cbranch_execz .LBB282_541
; %bb.534:                              ;   in Loop: Header=BB282_426 Depth=1
	v_bfrev_b32_e32 v52, 1
	s_mov_b32 s18, exec_lo
	v_cmpx_ne_u16_e32 0x80, v2
	s_cbranch_execz .LBB282_540
; %bb.535:                              ;   in Loop: Header=BB282_426 Depth=1
	v_and_b32_sdwa v54, v2, v26 dst_sel:DWORD dst_unused:UNUSED_PAD src0_sel:WORD_0 src1_sel:DWORD
	v_mov_b32_e32 v52, 0x7c010000
	s_mov_b32 s21, exec_lo
	v_cmpx_ne_u32_e32 0x7f, v54
	s_cbranch_execz .LBB282_539
; %bb.536:                              ;   in Loop: Header=BB282_426 Depth=1
	v_and_b32_sdwa v52, v2, v27 dst_sel:DWORD dst_unused:UNUSED_PAD src0_sel:WORD_0 src1_sel:DWORD
	v_lshrrev_b32_e32 v53, 3, v54
	s_mov_b32 s22, exec_lo
	v_cmpx_gt_u32_e32 8, v54
; %bb.537:                              ;   in Loop: Header=BB282_426 Depth=1
	v_ffbh_u32_e32 v52, v52
	v_min_u32_e32 v54, 32, v52
	v_subrev_nc_u32_e32 v52, 28, v54
	v_lshlrev_b64 v[52:53], v52, v[2:3]
	v_sub_nc_u32_e32 v53, 29, v54
	v_and_b32_e32 v52, 7, v52
; %bb.538:                              ;   in Loop: Header=BB282_426 Depth=1
	s_or_b32 exec_lo, exec_lo, s22
	v_lshlrev_b32_sdwa v2, v28, v2 dst_sel:DWORD dst_unused:UNUSED_PAD src0_sel:DWORD src1_sel:WORD_0
	v_lshl_add_u32 v53, v53, 10, 0x2000
	v_lshlrev_b32_e32 v52, 23, v52
	v_and_or_b32 v2, 0x8000, v2, v53
	v_lshl_or_b32 v52, v2, 16, v52
.LBB282_539:                            ;   in Loop: Header=BB282_426 Depth=1
	s_or_b32 exec_lo, exec_lo, s21
.LBB282_540:                            ;   in Loop: Header=BB282_426 Depth=1
	s_or_b32 exec_lo, exec_lo, s18
.LBB282_541:                            ;   in Loop: Header=BB282_426 Depth=1
	s_or_b32 exec_lo, exec_lo, s17
	v_lshrrev_b32_e32 v2, 16, v11
	v_cmp_ne_u16_sdwa s0, v2, v3 src0_sel:BYTE_0 src1_sel:DWORD
	s_and_saveexec_b32 s17, s0
	s_cbranch_execz .LBB282_549
; %bb.542:                              ;   in Loop: Header=BB282_426 Depth=1
	v_cmp_ne_u16_sdwa s0, v2, v16 src0_sel:BYTE_0 src1_sel:DWORD
	v_mov_b32_e32 v50, 0x8000
	s_and_saveexec_b32 s18, s0
	s_cbranch_execz .LBB282_548
; %bb.543:                              ;   in Loop: Header=BB282_426 Depth=1
	v_bfe_u32 v54, v11, 16, 7
	v_mov_b32_e32 v50, 0x7c01
	s_mov_b32 s21, exec_lo
	v_cmpx_ne_u32_e32 0x7f, v54
	s_cbranch_execz .LBB282_547
; %bb.544:                              ;   in Loop: Header=BB282_426 Depth=1
	v_and_b32_e32 v50, 7, v2
	v_lshrrev_b32_e32 v53, 3, v54
	s_mov_b32 s22, exec_lo
	v_cmpx_gt_u32_e32 8, v54
; %bb.545:                              ;   in Loop: Header=BB282_426 Depth=1
	v_ffbh_u32_e32 v50, v50
	v_min_u32_e32 v50, 32, v50
	v_subrev_nc_u32_e32 v53, 28, v50
	v_lshlrev_b64 v[54:55], v53, v[2:3]
	v_sub_nc_u32_e32 v53, 29, v50
	v_and_b32_e32 v50, 7, v54
; %bb.546:                              ;   in Loop: Header=BB282_426 Depth=1
	s_or_b32 exec_lo, exec_lo, s22
	v_lshlrev_b32_e32 v2, 8, v2
	v_lshl_add_u32 v53, v53, 10, 0x2000
	v_lshlrev_b32_e32 v50, 7, v50
	v_and_b32_e32 v2, 0x8000, v2
	v_and_b32_e32 v53, 0xfc00, v53
	v_or3_b32 v50, v2, v53, v50
.LBB282_547:                            ;   in Loop: Header=BB282_426 Depth=1
	s_or_b32 exec_lo, exec_lo, s21
.LBB282_548:                            ;   in Loop: Header=BB282_426 Depth=1
	s_or_b32 exec_lo, exec_lo, s18
.LBB282_549:                            ;   in Loop: Header=BB282_426 Depth=1
	s_or_b32 exec_lo, exec_lo, s17
	v_cmp_lt_u64_e64 s0, s[4:5], v[10:11]
	v_mov_b32_e32 v10, 0
	s_and_saveexec_b32 s17, s0
	s_cbranch_execz .LBB282_557
; %bb.550:                              ;   in Loop: Header=BB282_426 Depth=1
	v_lshrrev_b32_e32 v2, 24, v11
	v_bfrev_b32_e32 v10, 1
	s_mov_b32 s18, exec_lo
	v_cmpx_ne_u32_e32 0x80, v2
	s_cbranch_execz .LBB282_556
; %bb.551:                              ;   in Loop: Header=BB282_426 Depth=1
	v_and_b32_e32 v53, 0x7f, v2
	v_mov_b32_e32 v10, 0x7c010000
	s_mov_b32 s21, exec_lo
	v_cmpx_ne_u32_e32 0x7f, v53
	s_cbranch_execz .LBB282_555
; %bb.552:                              ;   in Loop: Header=BB282_426 Depth=1
	v_and_b32_e32 v10, 7, v2
	v_lshrrev_b32_e32 v11, 3, v53
	s_mov_b32 s22, exec_lo
	v_cmpx_gt_u32_e32 8, v53
; %bb.553:                              ;   in Loop: Header=BB282_426 Depth=1
	v_ffbh_u32_e32 v10, v10
	v_min_u32_e32 v53, 32, v10
	v_subrev_nc_u32_e32 v10, 28, v53
	v_lshlrev_b64 v[10:11], v10, v[2:3]
	v_sub_nc_u32_e32 v11, 29, v53
	v_and_b32_e32 v10, 7, v10
; %bb.554:                              ;   in Loop: Header=BB282_426 Depth=1
	s_or_b32 exec_lo, exec_lo, s22
	v_lshlrev_b32_e32 v2, 8, v2
	v_lshl_add_u32 v11, v11, 10, 0x2000
	v_lshlrev_b32_e32 v10, 23, v10
	v_and_or_b32 v2, 0x8000, v2, v11
	v_lshl_or_b32 v10, v2, 16, v10
.LBB282_555:                            ;   in Loop: Header=BB282_426 Depth=1
	s_or_b32 exec_lo, exec_lo, s21
.LBB282_556:                            ;   in Loop: Header=BB282_426 Depth=1
	s_or_b32 exec_lo, exec_lo, s18
.LBB282_557:                            ;   in Loop: Header=BB282_426 Depth=1
	s_or_b32 exec_lo, exec_lo, s17
	v_or_b32_e32 v2, v48, v49
	s_waitcnt vmcnt(0)
	v_fma_mixlo_f16 v11, v45, v48, 0 op_sel:[0,1,0] op_sel_hi:[0,1,0]
	v_or_b32_e32 v48, v46, v47
	v_fma_mixlo_f16 v46, v45, v46, 0 op_sel:[0,1,0] op_sel_hi:[0,1,0]
	v_or_b32_e32 v49, v52, v51
	v_or_b32_e32 v50, v10, v50
	v_fma_mixlo_f16 v51, v45, v2, 0 op_sel_hi:[0,1,0]
	v_fma_mixlo_f16 v10, v45, v10, 0 op_sel:[0,1,0] op_sel_hi:[0,1,0]
	v_lshlrev_b32_e32 v47, 16, v46
	v_fma_mixlo_f16 v46, v45, v48, 0 op_sel_hi:[0,1,0]
	v_fma_mixlo_f16 v48, v45, v52, 0 op_sel:[0,1,0] op_sel_hi:[0,1,0]
	v_fma_mixlo_f16 v49, v45, v49, 0 op_sel_hi:[0,1,0]
	v_fma_mixlo_f16 v50, v45, v50, 0 op_sel_hi:[0,1,0]
	v_lshlrev_b32_e32 v2, 16, v11
	v_and_b32_e32 v11, 0xffff, v51
	v_and_b32_e32 v53, 0xffff, v46
	v_lshlrev_b32_e32 v45, 16, v48
	v_and_b32_e32 v49, 0xffff, v49
	v_lshlrev_b32_e32 v10, 16, v10
	v_and_b32_e32 v46, 0xffff, v50
	v_or_b32_e32 v48, v2, v11
	v_or_b32_e32 v52, v47, v53
	;; [unrolled: 1-line block ×4, first 2 shown]
	s_and_saveexec_b32 s17, vcc_lo
	s_cbranch_execz .LBB282_559
; %bb.558:                              ;   in Loop: Header=BB282_426 Depth=1
	v_cmp_gt_i32_e64 s0, s31, v31
	v_cndmask_b32_e64 v48, 0, v53, s0
	v_cmp_gt_i32_e64 s0, s31, v38
	v_cndmask_b32_e64 v47, 0, v47, s0
	v_cmp_gt_i32_e64 s0, s31, v37
	v_or_b32_e32 v52, v47, v48
	v_cndmask_b32_e64 v11, 0, v11, s0
	v_cmp_gt_i32_e64 s0, s31, v36
	v_cndmask_b32_e64 v2, 0, v2, s0
	v_cmp_gt_i32_e64 s0, s31, v35
	v_or_b32_e32 v48, v2, v11
	;; [unrolled: 5-line block ×3, first 2 shown]
	v_cndmask_b32_e64 v46, 0, v46, s0
	v_cmp_gt_i32_e64 s0, s31, v32
	v_cndmask_b32_e64 v10, 0, v10, s0
	v_or_b32_e32 v50, v10, v46
.LBB282_559:                            ;   in Loop: Header=BB282_426 Depth=1
	s_or_b32 exec_lo, exec_lo, s17
	;;#ASMSTART
	v_pk_mul_f16 v2, v44, v52;

	;;#ASMEND
	;;#ASMSTART
	v_pk_mul_f16 v10, v43, v48;

	;;#ASMEND
	;; [unrolled: 4-line block ×4, first 2 shown]
	;;#ASMSTART
	v_pk_add_f16 v2, v2, v10;

	;;#ASMEND
	;;#ASMSTART
	v_pk_add_f16 v2, v2, v11;

	;;#ASMEND
	;; [unrolled: 4-line block ×3, first 2 shown]
	v_and_b32_e32 v10, 0xffff, v2
	v_lshrrev_b32_e32 v2, 16, v2
	;;#ASMSTART
	v_cvt_f32_f16 v45, v10;
	;;#ASMEND
	;;#ASMSTART
	v_cvt_f32_f16 v46, v2;
	;;#ASMEND
	global_load_dwordx2 v[10:11], v[8:9], off offset:512
	v_mov_b32_e32 v48, 0
	v_mov_b32_e32 v49, 0
	global_load_dword v47, v48, s[14:15]
	s_waitcnt vmcnt(1)
	v_cmp_ne_u16_sdwa s0, v10, v3 src0_sel:BYTE_0 src1_sel:DWORD
	s_and_saveexec_b32 s17, s0
	s_cbranch_execz .LBB282_567
; %bb.560:                              ;   in Loop: Header=BB282_426 Depth=1
	v_cmp_ne_u16_sdwa s0, v10, v16 src0_sel:BYTE_0 src1_sel:DWORD
	v_mov_b32_e32 v49, 0x8000
	s_and_saveexec_b32 s18, s0
	s_cbranch_execz .LBB282_566
; %bb.561:                              ;   in Loop: Header=BB282_426 Depth=1
	v_and_b32_e32 v50, 0x7f, v10
	v_mov_b32_e32 v49, 0x7c01
	s_mov_b32 s21, exec_lo
	v_cmpx_ne_u32_e32 0x7f, v50
	s_cbranch_execz .LBB282_565
; %bb.562:                              ;   in Loop: Header=BB282_426 Depth=1
	v_and_b32_e32 v2, 7, v10
	v_lshrrev_b32_e32 v49, 3, v50
	s_mov_b32 s22, exec_lo
	v_cmpx_gt_u32_e32 8, v50
; %bb.563:                              ;   in Loop: Header=BB282_426 Depth=1
	v_ffbh_u32_e32 v2, v2
	v_min_u32_e32 v2, 32, v2
	v_subrev_nc_u32_e32 v49, 28, v2
	v_lshlrev_b64 v[50:51], v49, v[10:11]
	v_sub_nc_u32_e32 v49, 29, v2
	v_and_b32_e32 v2, 7, v50
; %bb.564:                              ;   in Loop: Header=BB282_426 Depth=1
	s_or_b32 exec_lo, exec_lo, s22
	v_lshlrev_b32_e32 v50, 8, v10
	v_lshl_add_u32 v49, v49, 10, 0x2000
	v_lshlrev_b32_e32 v2, 7, v2
	v_and_b32_e32 v50, 0x8000, v50
	v_and_b32_e32 v49, 0xfc00, v49
	v_or3_b32 v49, v50, v49, v2
.LBB282_565:                            ;   in Loop: Header=BB282_426 Depth=1
	s_or_b32 exec_lo, exec_lo, s21
.LBB282_566:                            ;   in Loop: Header=BB282_426 Depth=1
	s_or_b32 exec_lo, exec_lo, s18
.LBB282_567:                            ;   in Loop: Header=BB282_426 Depth=1
	s_or_b32 exec_lo, exec_lo, s17
	v_lshrrev_b16 v2, 8, v10
	s_mov_b32 s17, exec_lo
	v_cmpx_ne_u16_e32 0, v2
	s_cbranch_execz .LBB282_575
; %bb.568:                              ;   in Loop: Header=BB282_426 Depth=1
	v_bfrev_b32_e32 v48, 1
	s_mov_b32 s18, exec_lo
	v_cmpx_ne_u16_e32 0x80, v2
	s_cbranch_execz .LBB282_574
; %bb.569:                              ;   in Loop: Header=BB282_426 Depth=1
	v_and_b32_sdwa v51, v2, v26 dst_sel:DWORD dst_unused:UNUSED_PAD src0_sel:WORD_0 src1_sel:DWORD
	v_mov_b32_e32 v48, 0x7c010000
	s_mov_b32 s21, exec_lo
	v_cmpx_ne_u32_e32 0x7f, v51
	s_cbranch_execz .LBB282_573
; %bb.570:                              ;   in Loop: Header=BB282_426 Depth=1
	v_and_b32_sdwa v48, v2, v27 dst_sel:DWORD dst_unused:UNUSED_PAD src0_sel:WORD_0 src1_sel:DWORD
	v_lshrrev_b32_e32 v50, 3, v51
	s_mov_b32 s22, exec_lo
	v_cmpx_gt_u32_e32 8, v51
; %bb.571:                              ;   in Loop: Header=BB282_426 Depth=1
	v_ffbh_u32_e32 v48, v48
	v_min_u32_e32 v48, 32, v48
	v_subrev_nc_u32_e32 v50, 28, v48
	v_lshlrev_b64 v[51:52], v50, v[2:3]
	v_sub_nc_u32_e32 v50, 29, v48
	v_and_b32_e32 v48, 7, v51
; %bb.572:                              ;   in Loop: Header=BB282_426 Depth=1
	s_or_b32 exec_lo, exec_lo, s22
	v_lshlrev_b32_sdwa v2, v28, v2 dst_sel:DWORD dst_unused:UNUSED_PAD src0_sel:DWORD src1_sel:WORD_0
	v_lshl_add_u32 v50, v50, 10, 0x2000
	v_lshlrev_b32_e32 v48, 23, v48
	v_and_or_b32 v2, 0x8000, v2, v50
	v_lshl_or_b32 v48, v2, 16, v48
.LBB282_573:                            ;   in Loop: Header=BB282_426 Depth=1
	s_or_b32 exec_lo, exec_lo, s21
.LBB282_574:                            ;   in Loop: Header=BB282_426 Depth=1
	s_or_b32 exec_lo, exec_lo, s18
.LBB282_575:                            ;   in Loop: Header=BB282_426 Depth=1
	s_or_b32 exec_lo, exec_lo, s17
	v_lshrrev_b32_e32 v2, 16, v10
	v_mov_b32_e32 v50, 0
	v_mov_b32_e32 v51, 0
	v_cmp_ne_u16_sdwa s0, v2, v3 src0_sel:BYTE_0 src1_sel:DWORD
	s_and_saveexec_b32 s17, s0
	s_cbranch_execz .LBB282_583
; %bb.576:                              ;   in Loop: Header=BB282_426 Depth=1
	v_cmp_ne_u16_sdwa s0, v2, v16 src0_sel:BYTE_0 src1_sel:DWORD
	v_mov_b32_e32 v51, 0x8000
	s_and_saveexec_b32 s18, s0
	s_cbranch_execz .LBB282_582
; %bb.577:                              ;   in Loop: Header=BB282_426 Depth=1
	v_bfe_u32 v53, v10, 16, 7
	v_mov_b32_e32 v51, 0x7c01
	s_mov_b32 s21, exec_lo
	v_cmpx_ne_u32_e32 0x7f, v53
	s_cbranch_execz .LBB282_581
; %bb.578:                              ;   in Loop: Header=BB282_426 Depth=1
	v_and_b32_e32 v51, 7, v2
	v_lshrrev_b32_e32 v52, 3, v53
	s_mov_b32 s22, exec_lo
	v_cmpx_gt_u32_e32 8, v53
; %bb.579:                              ;   in Loop: Header=BB282_426 Depth=1
	v_ffbh_u32_e32 v51, v51
	v_min_u32_e32 v53, 32, v51
	v_subrev_nc_u32_e32 v51, 28, v53
	v_lshlrev_b64 v[51:52], v51, v[2:3]
	v_sub_nc_u32_e32 v52, 29, v53
	v_and_b32_e32 v51, 7, v51
; %bb.580:                              ;   in Loop: Header=BB282_426 Depth=1
	s_or_b32 exec_lo, exec_lo, s22
	v_lshlrev_b32_e32 v2, 8, v2
	v_lshl_add_u32 v52, v52, 10, 0x2000
	v_lshlrev_b32_e32 v51, 7, v51
	v_and_b32_e32 v2, 0x8000, v2
	v_and_b32_e32 v52, 0xfc00, v52
	v_or3_b32 v51, v2, v52, v51
.LBB282_581:                            ;   in Loop: Header=BB282_426 Depth=1
	s_or_b32 exec_lo, exec_lo, s21
.LBB282_582:                            ;   in Loop: Header=BB282_426 Depth=1
	s_or_b32 exec_lo, exec_lo, s18
.LBB282_583:                            ;   in Loop: Header=BB282_426 Depth=1
	s_or_b32 exec_lo, exec_lo, s17
	s_mov_b32 s17, exec_lo
	v_cmpx_lt_u32_e32 0xffffff, v10
	s_cbranch_execz .LBB282_591
; %bb.584:                              ;   in Loop: Header=BB282_426 Depth=1
	v_lshrrev_b32_e32 v2, 24, v10
	v_bfrev_b32_e32 v50, 1
	s_mov_b32 s18, exec_lo
	v_cmpx_ne_u32_e32 0x80, v2
	s_cbranch_execz .LBB282_590
; %bb.585:                              ;   in Loop: Header=BB282_426 Depth=1
	v_and_b32_e32 v53, 0x7f, v2
	v_mov_b32_e32 v50, 0x7c010000
	s_mov_b32 s21, exec_lo
	v_cmpx_ne_u32_e32 0x7f, v53
	s_cbranch_execz .LBB282_589
; %bb.586:                              ;   in Loop: Header=BB282_426 Depth=1
	v_and_b32_e32 v50, 7, v2
	v_lshrrev_b32_e32 v52, 3, v53
	s_mov_b32 s22, exec_lo
	v_cmpx_gt_u32_e32 8, v53
; %bb.587:                              ;   in Loop: Header=BB282_426 Depth=1
	v_ffbh_u32_e32 v50, v50
	v_min_u32_e32 v50, 32, v50
	v_subrev_nc_u32_e32 v52, 28, v50
	v_lshlrev_b64 v[53:54], v52, v[2:3]
	v_sub_nc_u32_e32 v52, 29, v50
	v_and_b32_e32 v50, 7, v53
; %bb.588:                              ;   in Loop: Header=BB282_426 Depth=1
	s_or_b32 exec_lo, exec_lo, s22
	v_lshlrev_b32_e32 v2, 8, v2
	v_lshl_add_u32 v52, v52, 10, 0x2000
	v_lshlrev_b32_e32 v50, 23, v50
	v_and_or_b32 v2, 0x8000, v2, v52
	v_lshl_or_b32 v50, v2, 16, v50
.LBB282_589:                            ;   in Loop: Header=BB282_426 Depth=1
	s_or_b32 exec_lo, exec_lo, s21
.LBB282_590:                            ;   in Loop: Header=BB282_426 Depth=1
	s_or_b32 exec_lo, exec_lo, s18
.LBB282_591:                            ;   in Loop: Header=BB282_426 Depth=1
	s_or_b32 exec_lo, exec_lo, s17
	v_mov_b32_e32 v2, v11
	v_cmp_ne_u16_sdwa s0, v11, v3 src0_sel:BYTE_0 src1_sel:DWORD
	v_mov_b32_e32 v52, 0
	v_mov_b32_e32 v53, 0
	s_and_saveexec_b32 s17, s0
	s_cbranch_execz .LBB282_599
; %bb.592:                              ;   in Loop: Header=BB282_426 Depth=1
	v_cmp_ne_u16_sdwa s0, v11, v16 src0_sel:BYTE_0 src1_sel:DWORD
	v_mov_b32_e32 v53, 0x8000
	s_and_saveexec_b32 s18, s0
	s_cbranch_execz .LBB282_598
; %bb.593:                              ;   in Loop: Header=BB282_426 Depth=1
	v_and_b32_e32 v55, 0x7f, v11
	v_mov_b32_e32 v53, 0x7c01
	s_mov_b32 s21, exec_lo
	v_cmpx_ne_u32_e32 0x7f, v55
	s_cbranch_execz .LBB282_597
; %bb.594:                              ;   in Loop: Header=BB282_426 Depth=1
	v_and_b32_e32 v53, 7, v11
	v_lshrrev_b32_e32 v54, 3, v55
	s_mov_b32 s22, exec_lo
	v_cmpx_gt_u32_e32 8, v55
; %bb.595:                              ;   in Loop: Header=BB282_426 Depth=1
	v_ffbh_u32_e32 v53, v53
	v_min_u32_e32 v55, 32, v53
	v_subrev_nc_u32_e32 v53, 28, v55
	v_lshlrev_b64 v[53:54], v53, v[2:3]
	v_sub_nc_u32_e32 v54, 29, v55
	v_and_b32_e32 v53, 7, v53
; %bb.596:                              ;   in Loop: Header=BB282_426 Depth=1
	s_or_b32 exec_lo, exec_lo, s22
	v_lshlrev_b32_e32 v55, 8, v11
	v_lshl_add_u32 v54, v54, 10, 0x2000
	v_lshlrev_b32_e32 v53, 7, v53
	v_and_b32_e32 v55, 0x8000, v55
	v_and_b32_e32 v54, 0xfc00, v54
	v_or3_b32 v53, v55, v54, v53
.LBB282_597:                            ;   in Loop: Header=BB282_426 Depth=1
	s_or_b32 exec_lo, exec_lo, s21
.LBB282_598:                            ;   in Loop: Header=BB282_426 Depth=1
	s_or_b32 exec_lo, exec_lo, s18
.LBB282_599:                            ;   in Loop: Header=BB282_426 Depth=1
	s_or_b32 exec_lo, exec_lo, s17
	v_lshrrev_b16 v2, 8, v2
	v_mov_b32_e32 v54, 0
	s_mov_b32 s17, exec_lo
	v_cmpx_ne_u16_e32 0, v2
	s_cbranch_execz .LBB282_607
; %bb.600:                              ;   in Loop: Header=BB282_426 Depth=1
	v_bfrev_b32_e32 v54, 1
	s_mov_b32 s18, exec_lo
	v_cmpx_ne_u16_e32 0x80, v2
	s_cbranch_execz .LBB282_606
; %bb.601:                              ;   in Loop: Header=BB282_426 Depth=1
	v_and_b32_sdwa v56, v2, v26 dst_sel:DWORD dst_unused:UNUSED_PAD src0_sel:WORD_0 src1_sel:DWORD
	v_mov_b32_e32 v54, 0x7c010000
	s_mov_b32 s21, exec_lo
	v_cmpx_ne_u32_e32 0x7f, v56
	s_cbranch_execz .LBB282_605
; %bb.602:                              ;   in Loop: Header=BB282_426 Depth=1
	v_and_b32_sdwa v54, v2, v27 dst_sel:DWORD dst_unused:UNUSED_PAD src0_sel:WORD_0 src1_sel:DWORD
	v_lshrrev_b32_e32 v55, 3, v56
	s_mov_b32 s22, exec_lo
	v_cmpx_gt_u32_e32 8, v56
; %bb.603:                              ;   in Loop: Header=BB282_426 Depth=1
	v_ffbh_u32_e32 v54, v54
	v_min_u32_e32 v56, 32, v54
	v_subrev_nc_u32_e32 v54, 28, v56
	v_lshlrev_b64 v[54:55], v54, v[2:3]
	v_sub_nc_u32_e32 v55, 29, v56
	v_and_b32_e32 v54, 7, v54
; %bb.604:                              ;   in Loop: Header=BB282_426 Depth=1
	s_or_b32 exec_lo, exec_lo, s22
	v_lshlrev_b32_sdwa v2, v28, v2 dst_sel:DWORD dst_unused:UNUSED_PAD src0_sel:DWORD src1_sel:WORD_0
	v_lshl_add_u32 v55, v55, 10, 0x2000
	v_lshlrev_b32_e32 v54, 23, v54
	v_and_or_b32 v2, 0x8000, v2, v55
	v_lshl_or_b32 v54, v2, 16, v54
.LBB282_605:                            ;   in Loop: Header=BB282_426 Depth=1
	s_or_b32 exec_lo, exec_lo, s21
.LBB282_606:                            ;   in Loop: Header=BB282_426 Depth=1
	s_or_b32 exec_lo, exec_lo, s18
.LBB282_607:                            ;   in Loop: Header=BB282_426 Depth=1
	s_or_b32 exec_lo, exec_lo, s17
	v_lshrrev_b32_e32 v2, 16, v11
	v_cmp_ne_u16_sdwa s0, v2, v3 src0_sel:BYTE_0 src1_sel:DWORD
	s_and_saveexec_b32 s17, s0
	s_cbranch_execz .LBB282_615
; %bb.608:                              ;   in Loop: Header=BB282_426 Depth=1
	v_cmp_ne_u16_sdwa s0, v2, v16 src0_sel:BYTE_0 src1_sel:DWORD
	v_mov_b32_e32 v52, 0x8000
	s_and_saveexec_b32 s18, s0
	s_cbranch_execz .LBB282_614
; %bb.609:                              ;   in Loop: Header=BB282_426 Depth=1
	v_bfe_u32 v56, v11, 16, 7
	v_mov_b32_e32 v52, 0x7c01
	s_mov_b32 s21, exec_lo
	v_cmpx_ne_u32_e32 0x7f, v56
	s_cbranch_execz .LBB282_613
; %bb.610:                              ;   in Loop: Header=BB282_426 Depth=1
	v_and_b32_e32 v52, 7, v2
	v_lshrrev_b32_e32 v55, 3, v56
	s_mov_b32 s22, exec_lo
	v_cmpx_gt_u32_e32 8, v56
; %bb.611:                              ;   in Loop: Header=BB282_426 Depth=1
	v_ffbh_u32_e32 v52, v52
	v_min_u32_e32 v52, 32, v52
	v_subrev_nc_u32_e32 v55, 28, v52
	v_lshlrev_b64 v[56:57], v55, v[2:3]
	v_sub_nc_u32_e32 v55, 29, v52
	v_and_b32_e32 v52, 7, v56
; %bb.612:                              ;   in Loop: Header=BB282_426 Depth=1
	s_or_b32 exec_lo, exec_lo, s22
	v_lshlrev_b32_e32 v2, 8, v2
	v_lshl_add_u32 v55, v55, 10, 0x2000
	v_lshlrev_b32_e32 v52, 7, v52
	v_and_b32_e32 v2, 0x8000, v2
	v_and_b32_e32 v55, 0xfc00, v55
	v_or3_b32 v52, v2, v55, v52
.LBB282_613:                            ;   in Loop: Header=BB282_426 Depth=1
	s_or_b32 exec_lo, exec_lo, s21
.LBB282_614:                            ;   in Loop: Header=BB282_426 Depth=1
	s_or_b32 exec_lo, exec_lo, s18
.LBB282_615:                            ;   in Loop: Header=BB282_426 Depth=1
	s_or_b32 exec_lo, exec_lo, s17
	v_cmp_lt_u64_e64 s0, s[4:5], v[10:11]
	v_mov_b32_e32 v10, 0
	s_and_saveexec_b32 s17, s0
	s_cbranch_execz .LBB282_623
; %bb.616:                              ;   in Loop: Header=BB282_426 Depth=1
	v_lshrrev_b32_e32 v2, 24, v11
	v_bfrev_b32_e32 v10, 1
	s_mov_b32 s18, exec_lo
	v_cmpx_ne_u32_e32 0x80, v2
	s_cbranch_execz .LBB282_622
; %bb.617:                              ;   in Loop: Header=BB282_426 Depth=1
	v_and_b32_e32 v55, 0x7f, v2
	v_mov_b32_e32 v10, 0x7c010000
	s_mov_b32 s21, exec_lo
	v_cmpx_ne_u32_e32 0x7f, v55
	s_cbranch_execz .LBB282_621
; %bb.618:                              ;   in Loop: Header=BB282_426 Depth=1
	v_and_b32_e32 v10, 7, v2
	v_lshrrev_b32_e32 v11, 3, v55
	s_mov_b32 s22, exec_lo
	v_cmpx_gt_u32_e32 8, v55
; %bb.619:                              ;   in Loop: Header=BB282_426 Depth=1
	v_ffbh_u32_e32 v10, v10
	v_min_u32_e32 v55, 32, v10
	v_subrev_nc_u32_e32 v10, 28, v55
	v_lshlrev_b64 v[10:11], v10, v[2:3]
	v_sub_nc_u32_e32 v11, 29, v55
	v_and_b32_e32 v10, 7, v10
; %bb.620:                              ;   in Loop: Header=BB282_426 Depth=1
	s_or_b32 exec_lo, exec_lo, s22
	v_lshlrev_b32_e32 v2, 8, v2
	v_lshl_add_u32 v11, v11, 10, 0x2000
	v_lshlrev_b32_e32 v10, 23, v10
	v_and_or_b32 v2, 0x8000, v2, v11
	v_lshl_or_b32 v10, v2, 16, v10
.LBB282_621:                            ;   in Loop: Header=BB282_426 Depth=1
	s_or_b32 exec_lo, exec_lo, s21
.LBB282_622:                            ;   in Loop: Header=BB282_426 Depth=1
	s_or_b32 exec_lo, exec_lo, s18
.LBB282_623:                            ;   in Loop: Header=BB282_426 Depth=1
	s_or_b32 exec_lo, exec_lo, s17
	v_or_b32_e32 v2, v50, v51
	s_waitcnt vmcnt(0)
	v_fma_mixlo_f16 v11, v47, v50, 0 op_sel:[0,1,0] op_sel_hi:[0,1,0]
	v_or_b32_e32 v50, v48, v49
	v_fma_mixlo_f16 v48, v47, v48, 0 op_sel:[0,1,0] op_sel_hi:[0,1,0]
	v_or_b32_e32 v51, v54, v53
	v_or_b32_e32 v52, v10, v52
	v_fma_mixlo_f16 v53, v47, v2, 0 op_sel_hi:[0,1,0]
	v_fma_mixlo_f16 v10, v47, v10, 0 op_sel:[0,1,0] op_sel_hi:[0,1,0]
	v_lshlrev_b32_e32 v49, 16, v48
	v_fma_mixlo_f16 v48, v47, v50, 0 op_sel_hi:[0,1,0]
	v_fma_mixlo_f16 v50, v47, v54, 0 op_sel:[0,1,0] op_sel_hi:[0,1,0]
	v_fma_mixlo_f16 v51, v47, v51, 0 op_sel_hi:[0,1,0]
	v_fma_mixlo_f16 v52, v47, v52, 0 op_sel_hi:[0,1,0]
	v_lshlrev_b32_e32 v2, 16, v11
	v_and_b32_e32 v11, 0xffff, v53
	v_and_b32_e32 v55, 0xffff, v48
	v_lshlrev_b32_e32 v47, 16, v50
	v_and_b32_e32 v51, 0xffff, v51
	v_lshlrev_b32_e32 v10, 16, v10
	v_and_b32_e32 v48, 0xffff, v52
	v_or_b32_e32 v50, v2, v11
	v_or_b32_e32 v54, v49, v55
	;; [unrolled: 1-line block ×4, first 2 shown]
	s_and_saveexec_b32 s17, vcc_lo
	s_cbranch_execz .LBB282_625
; %bb.624:                              ;   in Loop: Header=BB282_426 Depth=1
	v_cmp_gt_i32_e64 s0, s31, v31
	v_cndmask_b32_e64 v50, 0, v55, s0
	v_cmp_gt_i32_e64 s0, s31, v38
	v_cndmask_b32_e64 v49, 0, v49, s0
	v_cmp_gt_i32_e64 s0, s31, v37
	v_or_b32_e32 v54, v49, v50
	v_cndmask_b32_e64 v11, 0, v11, s0
	v_cmp_gt_i32_e64 s0, s31, v36
	v_cndmask_b32_e64 v2, 0, v2, s0
	v_cmp_gt_i32_e64 s0, s31, v35
	v_or_b32_e32 v50, v2, v11
	;; [unrolled: 5-line block ×3, first 2 shown]
	v_cndmask_b32_e64 v48, 0, v48, s0
	v_cmp_gt_i32_e64 s0, s31, v32
	v_cndmask_b32_e64 v10, 0, v10, s0
	v_or_b32_e32 v52, v10, v48
.LBB282_625:                            ;   in Loop: Header=BB282_426 Depth=1
	s_or_b32 exec_lo, exec_lo, s17
	;;#ASMSTART
	v_pk_mul_f16 v2, v44, v54;

	;;#ASMEND
	;;#ASMSTART
	v_pk_mul_f16 v10, v43, v50;

	;;#ASMEND
	;; [unrolled: 4-line block ×4, first 2 shown]
	;;#ASMSTART
	v_pk_add_f16 v2, v2, v10;

	;;#ASMEND
	;;#ASMSTART
	v_pk_add_f16 v2, v2, v11;

	;;#ASMEND
	;; [unrolled: 4-line block ×3, first 2 shown]
	v_and_b32_e32 v10, 0xffff, v2
	v_lshrrev_b32_e32 v2, 16, v2
	;;#ASMSTART
	v_cvt_f32_f16 v47, v10;
	;;#ASMEND
	;;#ASMSTART
	v_cvt_f32_f16 v48, v2;
	;;#ASMEND
	global_load_dwordx2 v[10:11], v[8:9], off offset:768
	v_mov_b32_e32 v50, 0
	v_mov_b32_e32 v51, 0
	global_load_dword v49, v50, s[14:15]
	s_waitcnt vmcnt(1)
	v_cmp_ne_u16_sdwa s0, v10, v3 src0_sel:BYTE_0 src1_sel:DWORD
	s_and_saveexec_b32 s17, s0
	s_cbranch_execz .LBB282_633
; %bb.626:                              ;   in Loop: Header=BB282_426 Depth=1
	v_cmp_ne_u16_sdwa s0, v10, v16 src0_sel:BYTE_0 src1_sel:DWORD
	v_mov_b32_e32 v51, 0x8000
	s_and_saveexec_b32 s18, s0
	s_cbranch_execz .LBB282_632
; %bb.627:                              ;   in Loop: Header=BB282_426 Depth=1
	v_and_b32_e32 v52, 0x7f, v10
	v_mov_b32_e32 v51, 0x7c01
	s_mov_b32 s21, exec_lo
	v_cmpx_ne_u32_e32 0x7f, v52
	s_cbranch_execz .LBB282_631
; %bb.628:                              ;   in Loop: Header=BB282_426 Depth=1
	v_and_b32_e32 v2, 7, v10
	v_lshrrev_b32_e32 v51, 3, v52
	s_mov_b32 s22, exec_lo
	v_cmpx_gt_u32_e32 8, v52
; %bb.629:                              ;   in Loop: Header=BB282_426 Depth=1
	v_ffbh_u32_e32 v2, v2
	v_min_u32_e32 v2, 32, v2
	v_subrev_nc_u32_e32 v51, 28, v2
	v_lshlrev_b64 v[52:53], v51, v[10:11]
	v_sub_nc_u32_e32 v51, 29, v2
	v_and_b32_e32 v2, 7, v52
; %bb.630:                              ;   in Loop: Header=BB282_426 Depth=1
	s_or_b32 exec_lo, exec_lo, s22
	v_lshlrev_b32_e32 v52, 8, v10
	v_lshl_add_u32 v51, v51, 10, 0x2000
	v_lshlrev_b32_e32 v2, 7, v2
	v_and_b32_e32 v52, 0x8000, v52
	v_and_b32_e32 v51, 0xfc00, v51
	v_or3_b32 v51, v52, v51, v2
.LBB282_631:                            ;   in Loop: Header=BB282_426 Depth=1
	s_or_b32 exec_lo, exec_lo, s21
.LBB282_632:                            ;   in Loop: Header=BB282_426 Depth=1
	s_or_b32 exec_lo, exec_lo, s18
.LBB282_633:                            ;   in Loop: Header=BB282_426 Depth=1
	s_or_b32 exec_lo, exec_lo, s17
	v_lshrrev_b16 v2, 8, v10
	s_mov_b32 s17, exec_lo
	v_cmpx_ne_u16_e32 0, v2
	s_cbranch_execz .LBB282_641
; %bb.634:                              ;   in Loop: Header=BB282_426 Depth=1
	v_bfrev_b32_e32 v50, 1
	s_mov_b32 s18, exec_lo
	v_cmpx_ne_u16_e32 0x80, v2
	s_cbranch_execz .LBB282_640
; %bb.635:                              ;   in Loop: Header=BB282_426 Depth=1
	v_and_b32_sdwa v53, v2, v26 dst_sel:DWORD dst_unused:UNUSED_PAD src0_sel:WORD_0 src1_sel:DWORD
	v_mov_b32_e32 v50, 0x7c010000
	s_mov_b32 s21, exec_lo
	v_cmpx_ne_u32_e32 0x7f, v53
	s_cbranch_execz .LBB282_639
; %bb.636:                              ;   in Loop: Header=BB282_426 Depth=1
	v_and_b32_sdwa v50, v2, v27 dst_sel:DWORD dst_unused:UNUSED_PAD src0_sel:WORD_0 src1_sel:DWORD
	v_lshrrev_b32_e32 v52, 3, v53
	s_mov_b32 s22, exec_lo
	v_cmpx_gt_u32_e32 8, v53
; %bb.637:                              ;   in Loop: Header=BB282_426 Depth=1
	v_ffbh_u32_e32 v50, v50
	v_min_u32_e32 v50, 32, v50
	v_subrev_nc_u32_e32 v52, 28, v50
	v_lshlrev_b64 v[53:54], v52, v[2:3]
	v_sub_nc_u32_e32 v52, 29, v50
	v_and_b32_e32 v50, 7, v53
; %bb.638:                              ;   in Loop: Header=BB282_426 Depth=1
	s_or_b32 exec_lo, exec_lo, s22
	v_lshlrev_b32_sdwa v2, v28, v2 dst_sel:DWORD dst_unused:UNUSED_PAD src0_sel:DWORD src1_sel:WORD_0
	v_lshl_add_u32 v52, v52, 10, 0x2000
	v_lshlrev_b32_e32 v50, 23, v50
	v_and_or_b32 v2, 0x8000, v2, v52
	v_lshl_or_b32 v50, v2, 16, v50
.LBB282_639:                            ;   in Loop: Header=BB282_426 Depth=1
	s_or_b32 exec_lo, exec_lo, s21
.LBB282_640:                            ;   in Loop: Header=BB282_426 Depth=1
	s_or_b32 exec_lo, exec_lo, s18
.LBB282_641:                            ;   in Loop: Header=BB282_426 Depth=1
	s_or_b32 exec_lo, exec_lo, s17
	v_lshrrev_b32_e32 v2, 16, v10
	v_mov_b32_e32 v52, 0
	v_mov_b32_e32 v53, 0
	v_cmp_ne_u16_sdwa s0, v2, v3 src0_sel:BYTE_0 src1_sel:DWORD
	s_and_saveexec_b32 s17, s0
	s_cbranch_execz .LBB282_649
; %bb.642:                              ;   in Loop: Header=BB282_426 Depth=1
	v_cmp_ne_u16_sdwa s0, v2, v16 src0_sel:BYTE_0 src1_sel:DWORD
	v_mov_b32_e32 v53, 0x8000
	s_and_saveexec_b32 s18, s0
	s_cbranch_execz .LBB282_648
; %bb.643:                              ;   in Loop: Header=BB282_426 Depth=1
	v_bfe_u32 v55, v10, 16, 7
	v_mov_b32_e32 v53, 0x7c01
	s_mov_b32 s21, exec_lo
	v_cmpx_ne_u32_e32 0x7f, v55
	s_cbranch_execz .LBB282_647
; %bb.644:                              ;   in Loop: Header=BB282_426 Depth=1
	v_and_b32_e32 v53, 7, v2
	v_lshrrev_b32_e32 v54, 3, v55
	s_mov_b32 s22, exec_lo
	v_cmpx_gt_u32_e32 8, v55
; %bb.645:                              ;   in Loop: Header=BB282_426 Depth=1
	v_ffbh_u32_e32 v53, v53
	v_min_u32_e32 v55, 32, v53
	v_subrev_nc_u32_e32 v53, 28, v55
	v_lshlrev_b64 v[53:54], v53, v[2:3]
	v_sub_nc_u32_e32 v54, 29, v55
	v_and_b32_e32 v53, 7, v53
; %bb.646:                              ;   in Loop: Header=BB282_426 Depth=1
	s_or_b32 exec_lo, exec_lo, s22
	v_lshlrev_b32_e32 v2, 8, v2
	v_lshl_add_u32 v54, v54, 10, 0x2000
	v_lshlrev_b32_e32 v53, 7, v53
	v_and_b32_e32 v2, 0x8000, v2
	v_and_b32_e32 v54, 0xfc00, v54
	v_or3_b32 v53, v2, v54, v53
.LBB282_647:                            ;   in Loop: Header=BB282_426 Depth=1
	s_or_b32 exec_lo, exec_lo, s21
.LBB282_648:                            ;   in Loop: Header=BB282_426 Depth=1
	s_or_b32 exec_lo, exec_lo, s18
.LBB282_649:                            ;   in Loop: Header=BB282_426 Depth=1
	s_or_b32 exec_lo, exec_lo, s17
	s_mov_b32 s17, exec_lo
	v_cmpx_lt_u32_e32 0xffffff, v10
	s_cbranch_execz .LBB282_657
; %bb.650:                              ;   in Loop: Header=BB282_426 Depth=1
	v_lshrrev_b32_e32 v2, 24, v10
	v_bfrev_b32_e32 v52, 1
	s_mov_b32 s18, exec_lo
	v_cmpx_ne_u32_e32 0x80, v2
	s_cbranch_execz .LBB282_656
; %bb.651:                              ;   in Loop: Header=BB282_426 Depth=1
	v_and_b32_e32 v55, 0x7f, v2
	v_mov_b32_e32 v52, 0x7c010000
	s_mov_b32 s21, exec_lo
	v_cmpx_ne_u32_e32 0x7f, v55
	s_cbranch_execz .LBB282_655
; %bb.652:                              ;   in Loop: Header=BB282_426 Depth=1
	v_and_b32_e32 v52, 7, v2
	v_lshrrev_b32_e32 v54, 3, v55
	s_mov_b32 s22, exec_lo
	v_cmpx_gt_u32_e32 8, v55
; %bb.653:                              ;   in Loop: Header=BB282_426 Depth=1
	v_ffbh_u32_e32 v52, v52
	v_min_u32_e32 v52, 32, v52
	v_subrev_nc_u32_e32 v54, 28, v52
	v_lshlrev_b64 v[55:56], v54, v[2:3]
	v_sub_nc_u32_e32 v54, 29, v52
	v_and_b32_e32 v52, 7, v55
; %bb.654:                              ;   in Loop: Header=BB282_426 Depth=1
	s_or_b32 exec_lo, exec_lo, s22
	v_lshlrev_b32_e32 v2, 8, v2
	v_lshl_add_u32 v54, v54, 10, 0x2000
	v_lshlrev_b32_e32 v52, 23, v52
	v_and_or_b32 v2, 0x8000, v2, v54
	v_lshl_or_b32 v52, v2, 16, v52
.LBB282_655:                            ;   in Loop: Header=BB282_426 Depth=1
	s_or_b32 exec_lo, exec_lo, s21
.LBB282_656:                            ;   in Loop: Header=BB282_426 Depth=1
	s_or_b32 exec_lo, exec_lo, s18
.LBB282_657:                            ;   in Loop: Header=BB282_426 Depth=1
	s_or_b32 exec_lo, exec_lo, s17
	v_mov_b32_e32 v2, v11
	v_cmp_ne_u16_sdwa s0, v11, v3 src0_sel:BYTE_0 src1_sel:DWORD
	v_mov_b32_e32 v54, 0
	v_mov_b32_e32 v55, 0
	s_and_saveexec_b32 s17, s0
	s_cbranch_execz .LBB282_665
; %bb.658:                              ;   in Loop: Header=BB282_426 Depth=1
	v_cmp_ne_u16_sdwa s0, v11, v16 src0_sel:BYTE_0 src1_sel:DWORD
	v_mov_b32_e32 v55, 0x8000
	s_and_saveexec_b32 s18, s0
	s_cbranch_execz .LBB282_664
; %bb.659:                              ;   in Loop: Header=BB282_426 Depth=1
	v_and_b32_e32 v57, 0x7f, v11
	v_mov_b32_e32 v55, 0x7c01
	s_mov_b32 s21, exec_lo
	v_cmpx_ne_u32_e32 0x7f, v57
	s_cbranch_execz .LBB282_663
; %bb.660:                              ;   in Loop: Header=BB282_426 Depth=1
	v_and_b32_e32 v55, 7, v11
	v_lshrrev_b32_e32 v56, 3, v57
	s_mov_b32 s22, exec_lo
	v_cmpx_gt_u32_e32 8, v57
; %bb.661:                              ;   in Loop: Header=BB282_426 Depth=1
	v_ffbh_u32_e32 v55, v55
	v_min_u32_e32 v57, 32, v55
	v_subrev_nc_u32_e32 v55, 28, v57
	v_lshlrev_b64 v[55:56], v55, v[2:3]
	v_sub_nc_u32_e32 v56, 29, v57
	v_and_b32_e32 v55, 7, v55
; %bb.662:                              ;   in Loop: Header=BB282_426 Depth=1
	s_or_b32 exec_lo, exec_lo, s22
	v_lshlrev_b32_e32 v57, 8, v11
	v_lshl_add_u32 v56, v56, 10, 0x2000
	v_lshlrev_b32_e32 v55, 7, v55
	v_and_b32_e32 v57, 0x8000, v57
	v_and_b32_e32 v56, 0xfc00, v56
	v_or3_b32 v55, v57, v56, v55
.LBB282_663:                            ;   in Loop: Header=BB282_426 Depth=1
	s_or_b32 exec_lo, exec_lo, s21
.LBB282_664:                            ;   in Loop: Header=BB282_426 Depth=1
	s_or_b32 exec_lo, exec_lo, s18
.LBB282_665:                            ;   in Loop: Header=BB282_426 Depth=1
	s_or_b32 exec_lo, exec_lo, s17
	v_lshrrev_b16 v2, 8, v2
	v_mov_b32_e32 v56, 0
	s_mov_b32 s17, exec_lo
	v_cmpx_ne_u16_e32 0, v2
	s_cbranch_execz .LBB282_673
; %bb.666:                              ;   in Loop: Header=BB282_426 Depth=1
	v_bfrev_b32_e32 v56, 1
	s_mov_b32 s18, exec_lo
	v_cmpx_ne_u16_e32 0x80, v2
	s_cbranch_execz .LBB282_672
; %bb.667:                              ;   in Loop: Header=BB282_426 Depth=1
	v_and_b32_sdwa v58, v2, v26 dst_sel:DWORD dst_unused:UNUSED_PAD src0_sel:WORD_0 src1_sel:DWORD
	v_mov_b32_e32 v56, 0x7c010000
	s_mov_b32 s21, exec_lo
	v_cmpx_ne_u32_e32 0x7f, v58
	s_cbranch_execz .LBB282_671
; %bb.668:                              ;   in Loop: Header=BB282_426 Depth=1
	v_and_b32_sdwa v56, v2, v27 dst_sel:DWORD dst_unused:UNUSED_PAD src0_sel:WORD_0 src1_sel:DWORD
	v_lshrrev_b32_e32 v57, 3, v58
	s_mov_b32 s22, exec_lo
	v_cmpx_gt_u32_e32 8, v58
; %bb.669:                              ;   in Loop: Header=BB282_426 Depth=1
	v_ffbh_u32_e32 v56, v56
	v_min_u32_e32 v58, 32, v56
	v_subrev_nc_u32_e32 v56, 28, v58
	v_lshlrev_b64 v[56:57], v56, v[2:3]
	v_sub_nc_u32_e32 v57, 29, v58
	v_and_b32_e32 v56, 7, v56
; %bb.670:                              ;   in Loop: Header=BB282_426 Depth=1
	s_or_b32 exec_lo, exec_lo, s22
	v_lshlrev_b32_sdwa v2, v28, v2 dst_sel:DWORD dst_unused:UNUSED_PAD src0_sel:DWORD src1_sel:WORD_0
	v_lshl_add_u32 v57, v57, 10, 0x2000
	v_lshlrev_b32_e32 v56, 23, v56
	v_and_or_b32 v2, 0x8000, v2, v57
	v_lshl_or_b32 v56, v2, 16, v56
.LBB282_671:                            ;   in Loop: Header=BB282_426 Depth=1
	s_or_b32 exec_lo, exec_lo, s21
.LBB282_672:                            ;   in Loop: Header=BB282_426 Depth=1
	s_or_b32 exec_lo, exec_lo, s18
.LBB282_673:                            ;   in Loop: Header=BB282_426 Depth=1
	s_or_b32 exec_lo, exec_lo, s17
	v_lshrrev_b32_e32 v2, 16, v11
	v_cmp_ne_u16_sdwa s0, v2, v3 src0_sel:BYTE_0 src1_sel:DWORD
	s_and_saveexec_b32 s17, s0
	s_cbranch_execz .LBB282_681
; %bb.674:                              ;   in Loop: Header=BB282_426 Depth=1
	v_cmp_ne_u16_sdwa s0, v2, v16 src0_sel:BYTE_0 src1_sel:DWORD
	v_mov_b32_e32 v54, 0x8000
	s_and_saveexec_b32 s18, s0
	s_cbranch_execz .LBB282_680
; %bb.675:                              ;   in Loop: Header=BB282_426 Depth=1
	v_bfe_u32 v58, v11, 16, 7
	v_mov_b32_e32 v54, 0x7c01
	s_mov_b32 s21, exec_lo
	v_cmpx_ne_u32_e32 0x7f, v58
	s_cbranch_execz .LBB282_679
; %bb.676:                              ;   in Loop: Header=BB282_426 Depth=1
	v_and_b32_e32 v54, 7, v2
	v_lshrrev_b32_e32 v57, 3, v58
	s_mov_b32 s22, exec_lo
	v_cmpx_gt_u32_e32 8, v58
; %bb.677:                              ;   in Loop: Header=BB282_426 Depth=1
	v_ffbh_u32_e32 v54, v54
	v_min_u32_e32 v54, 32, v54
	v_subrev_nc_u32_e32 v57, 28, v54
	v_lshlrev_b64 v[58:59], v57, v[2:3]
	v_sub_nc_u32_e32 v57, 29, v54
	v_and_b32_e32 v54, 7, v58
; %bb.678:                              ;   in Loop: Header=BB282_426 Depth=1
	s_or_b32 exec_lo, exec_lo, s22
	v_lshlrev_b32_e32 v2, 8, v2
	v_lshl_add_u32 v57, v57, 10, 0x2000
	v_lshlrev_b32_e32 v54, 7, v54
	v_and_b32_e32 v2, 0x8000, v2
	v_and_b32_e32 v57, 0xfc00, v57
	v_or3_b32 v54, v2, v57, v54
.LBB282_679:                            ;   in Loop: Header=BB282_426 Depth=1
	s_or_b32 exec_lo, exec_lo, s21
.LBB282_680:                            ;   in Loop: Header=BB282_426 Depth=1
	s_or_b32 exec_lo, exec_lo, s18
.LBB282_681:                            ;   in Loop: Header=BB282_426 Depth=1
	s_or_b32 exec_lo, exec_lo, s17
	v_cmp_lt_u64_e64 s0, s[4:5], v[10:11]
	v_mov_b32_e32 v10, 0
	s_and_saveexec_b32 s17, s0
	s_cbranch_execz .LBB282_689
; %bb.682:                              ;   in Loop: Header=BB282_426 Depth=1
	v_lshrrev_b32_e32 v2, 24, v11
	v_bfrev_b32_e32 v10, 1
	s_mov_b32 s18, exec_lo
	v_cmpx_ne_u32_e32 0x80, v2
	s_cbranch_execz .LBB282_688
; %bb.683:                              ;   in Loop: Header=BB282_426 Depth=1
	v_and_b32_e32 v57, 0x7f, v2
	v_mov_b32_e32 v10, 0x7c010000
	s_mov_b32 s21, exec_lo
	v_cmpx_ne_u32_e32 0x7f, v57
	s_cbranch_execz .LBB282_687
; %bb.684:                              ;   in Loop: Header=BB282_426 Depth=1
	v_and_b32_e32 v10, 7, v2
	v_lshrrev_b32_e32 v11, 3, v57
	s_mov_b32 s22, exec_lo
	v_cmpx_gt_u32_e32 8, v57
; %bb.685:                              ;   in Loop: Header=BB282_426 Depth=1
	v_ffbh_u32_e32 v10, v10
	v_min_u32_e32 v57, 32, v10
	v_subrev_nc_u32_e32 v10, 28, v57
	v_lshlrev_b64 v[10:11], v10, v[2:3]
	v_sub_nc_u32_e32 v11, 29, v57
	v_and_b32_e32 v10, 7, v10
; %bb.686:                              ;   in Loop: Header=BB282_426 Depth=1
	s_or_b32 exec_lo, exec_lo, s22
	v_lshlrev_b32_e32 v2, 8, v2
	v_lshl_add_u32 v11, v11, 10, 0x2000
	v_lshlrev_b32_e32 v10, 23, v10
	v_and_or_b32 v2, 0x8000, v2, v11
	v_lshl_or_b32 v10, v2, 16, v10
.LBB282_687:                            ;   in Loop: Header=BB282_426 Depth=1
	s_or_b32 exec_lo, exec_lo, s21
.LBB282_688:                            ;   in Loop: Header=BB282_426 Depth=1
	s_or_b32 exec_lo, exec_lo, s18
.LBB282_689:                            ;   in Loop: Header=BB282_426 Depth=1
	s_or_b32 exec_lo, exec_lo, s17
	v_or_b32_e32 v2, v52, v53
	s_waitcnt vmcnt(0)
	v_fma_mixlo_f16 v11, v49, v52, 0 op_sel:[0,1,0] op_sel_hi:[0,1,0]
	v_or_b32_e32 v52, v50, v51
	v_fma_mixlo_f16 v50, v49, v50, 0 op_sel:[0,1,0] op_sel_hi:[0,1,0]
	v_or_b32_e32 v53, v56, v55
	v_or_b32_e32 v54, v10, v54
	v_fma_mixlo_f16 v55, v49, v2, 0 op_sel_hi:[0,1,0]
	v_fma_mixlo_f16 v10, v49, v10, 0 op_sel:[0,1,0] op_sel_hi:[0,1,0]
	v_lshlrev_b32_e32 v51, 16, v50
	v_fma_mixlo_f16 v50, v49, v52, 0 op_sel_hi:[0,1,0]
	v_fma_mixlo_f16 v52, v49, v56, 0 op_sel:[0,1,0] op_sel_hi:[0,1,0]
	v_fma_mixlo_f16 v53, v49, v53, 0 op_sel_hi:[0,1,0]
	v_fma_mixlo_f16 v54, v49, v54, 0 op_sel_hi:[0,1,0]
	v_lshlrev_b32_e32 v2, 16, v11
	v_and_b32_e32 v11, 0xffff, v55
	v_and_b32_e32 v57, 0xffff, v50
	v_lshlrev_b32_e32 v49, 16, v52
	v_and_b32_e32 v53, 0xffff, v53
	v_lshlrev_b32_e32 v10, 16, v10
	v_and_b32_e32 v50, 0xffff, v54
	v_or_b32_e32 v52, v2, v11
	v_or_b32_e32 v56, v51, v57
	;; [unrolled: 1-line block ×4, first 2 shown]
	s_and_saveexec_b32 s17, vcc_lo
	s_cbranch_execz .LBB282_691
; %bb.690:                              ;   in Loop: Header=BB282_426 Depth=1
	v_cmp_gt_i32_e64 s0, s31, v31
	v_cndmask_b32_e64 v52, 0, v57, s0
	v_cmp_gt_i32_e64 s0, s31, v38
	v_cndmask_b32_e64 v51, 0, v51, s0
	v_cmp_gt_i32_e64 s0, s31, v37
	v_or_b32_e32 v56, v51, v52
	v_cndmask_b32_e64 v11, 0, v11, s0
	v_cmp_gt_i32_e64 s0, s31, v36
	v_cndmask_b32_e64 v2, 0, v2, s0
	v_cmp_gt_i32_e64 s0, s31, v35
	v_or_b32_e32 v52, v2, v11
	;; [unrolled: 5-line block ×3, first 2 shown]
	v_cndmask_b32_e64 v50, 0, v50, s0
	v_cmp_gt_i32_e64 s0, s31, v32
	v_cndmask_b32_e64 v10, 0, v10, s0
	v_or_b32_e32 v54, v10, v50
.LBB282_691:                            ;   in Loop: Header=BB282_426 Depth=1
	s_or_b32 exec_lo, exec_lo, s17
	;;#ASMSTART
	v_pk_mul_f16 v2, v44, v56;

	;;#ASMEND
	;;#ASMSTART
	v_pk_mul_f16 v10, v43, v52;

	;;#ASMEND
	;; [unrolled: 4-line block ×4, first 2 shown]
	;;#ASMSTART
	v_pk_add_f16 v2, v2, v10;

	;;#ASMEND
	;;#ASMSTART
	v_pk_add_f16 v2, v2, v11;

	;;#ASMEND
	;; [unrolled: 4-line block ×3, first 2 shown]
	v_and_b32_e32 v10, 0xffff, v2
	v_lshrrev_b32_e32 v2, 16, v2
	;;#ASMSTART
	v_cvt_f32_f16 v49, v10;
	;;#ASMEND
	;;#ASMSTART
	v_cvt_f32_f16 v50, v2;
	;;#ASMEND
	global_load_dwordx2 v[10:11], v[8:9], off offset:1024
	v_mov_b32_e32 v52, 0
	v_mov_b32_e32 v53, 0
	global_load_dword v51, v52, s[14:15]
	s_waitcnt vmcnt(1)
	v_cmp_ne_u16_sdwa s0, v10, v3 src0_sel:BYTE_0 src1_sel:DWORD
	s_and_saveexec_b32 s17, s0
	s_cbranch_execz .LBB282_699
; %bb.692:                              ;   in Loop: Header=BB282_426 Depth=1
	v_cmp_ne_u16_sdwa s0, v10, v16 src0_sel:BYTE_0 src1_sel:DWORD
	v_mov_b32_e32 v53, 0x8000
	s_and_saveexec_b32 s18, s0
	s_cbranch_execz .LBB282_698
; %bb.693:                              ;   in Loop: Header=BB282_426 Depth=1
	v_and_b32_e32 v54, 0x7f, v10
	v_mov_b32_e32 v53, 0x7c01
	s_mov_b32 s21, exec_lo
	v_cmpx_ne_u32_e32 0x7f, v54
	s_cbranch_execz .LBB282_697
; %bb.694:                              ;   in Loop: Header=BB282_426 Depth=1
	v_and_b32_e32 v2, 7, v10
	v_lshrrev_b32_e32 v53, 3, v54
	s_mov_b32 s22, exec_lo
	v_cmpx_gt_u32_e32 8, v54
; %bb.695:                              ;   in Loop: Header=BB282_426 Depth=1
	v_ffbh_u32_e32 v2, v2
	v_min_u32_e32 v2, 32, v2
	v_subrev_nc_u32_e32 v53, 28, v2
	v_lshlrev_b64 v[54:55], v53, v[10:11]
	v_sub_nc_u32_e32 v53, 29, v2
	v_and_b32_e32 v2, 7, v54
; %bb.696:                              ;   in Loop: Header=BB282_426 Depth=1
	s_or_b32 exec_lo, exec_lo, s22
	v_lshlrev_b32_e32 v54, 8, v10
	v_lshl_add_u32 v53, v53, 10, 0x2000
	v_lshlrev_b32_e32 v2, 7, v2
	v_and_b32_e32 v54, 0x8000, v54
	v_and_b32_e32 v53, 0xfc00, v53
	v_or3_b32 v53, v54, v53, v2
.LBB282_697:                            ;   in Loop: Header=BB282_426 Depth=1
	s_or_b32 exec_lo, exec_lo, s21
.LBB282_698:                            ;   in Loop: Header=BB282_426 Depth=1
	s_or_b32 exec_lo, exec_lo, s18
.LBB282_699:                            ;   in Loop: Header=BB282_426 Depth=1
	s_or_b32 exec_lo, exec_lo, s17
	v_lshrrev_b16 v2, 8, v10
	s_mov_b32 s17, exec_lo
	v_cmpx_ne_u16_e32 0, v2
	s_cbranch_execz .LBB282_707
; %bb.700:                              ;   in Loop: Header=BB282_426 Depth=1
	v_bfrev_b32_e32 v52, 1
	s_mov_b32 s18, exec_lo
	v_cmpx_ne_u16_e32 0x80, v2
	s_cbranch_execz .LBB282_706
; %bb.701:                              ;   in Loop: Header=BB282_426 Depth=1
	v_and_b32_sdwa v55, v2, v26 dst_sel:DWORD dst_unused:UNUSED_PAD src0_sel:WORD_0 src1_sel:DWORD
	v_mov_b32_e32 v52, 0x7c010000
	s_mov_b32 s21, exec_lo
	v_cmpx_ne_u32_e32 0x7f, v55
	s_cbranch_execz .LBB282_705
; %bb.702:                              ;   in Loop: Header=BB282_426 Depth=1
	v_and_b32_sdwa v52, v2, v27 dst_sel:DWORD dst_unused:UNUSED_PAD src0_sel:WORD_0 src1_sel:DWORD
	v_lshrrev_b32_e32 v54, 3, v55
	s_mov_b32 s22, exec_lo
	v_cmpx_gt_u32_e32 8, v55
; %bb.703:                              ;   in Loop: Header=BB282_426 Depth=1
	v_ffbh_u32_e32 v52, v52
	v_min_u32_e32 v52, 32, v52
	v_subrev_nc_u32_e32 v54, 28, v52
	v_lshlrev_b64 v[55:56], v54, v[2:3]
	v_sub_nc_u32_e32 v54, 29, v52
	v_and_b32_e32 v52, 7, v55
; %bb.704:                              ;   in Loop: Header=BB282_426 Depth=1
	s_or_b32 exec_lo, exec_lo, s22
	v_lshlrev_b32_sdwa v2, v28, v2 dst_sel:DWORD dst_unused:UNUSED_PAD src0_sel:DWORD src1_sel:WORD_0
	v_lshl_add_u32 v54, v54, 10, 0x2000
	v_lshlrev_b32_e32 v52, 23, v52
	v_and_or_b32 v2, 0x8000, v2, v54
	v_lshl_or_b32 v52, v2, 16, v52
.LBB282_705:                            ;   in Loop: Header=BB282_426 Depth=1
	s_or_b32 exec_lo, exec_lo, s21
.LBB282_706:                            ;   in Loop: Header=BB282_426 Depth=1
	s_or_b32 exec_lo, exec_lo, s18
.LBB282_707:                            ;   in Loop: Header=BB282_426 Depth=1
	s_or_b32 exec_lo, exec_lo, s17
	v_lshrrev_b32_e32 v2, 16, v10
	v_mov_b32_e32 v54, 0
	v_mov_b32_e32 v55, 0
	v_cmp_ne_u16_sdwa s0, v2, v3 src0_sel:BYTE_0 src1_sel:DWORD
	s_and_saveexec_b32 s17, s0
	s_cbranch_execz .LBB282_715
; %bb.708:                              ;   in Loop: Header=BB282_426 Depth=1
	v_cmp_ne_u16_sdwa s0, v2, v16 src0_sel:BYTE_0 src1_sel:DWORD
	v_mov_b32_e32 v55, 0x8000
	s_and_saveexec_b32 s18, s0
	s_cbranch_execz .LBB282_714
; %bb.709:                              ;   in Loop: Header=BB282_426 Depth=1
	v_bfe_u32 v57, v10, 16, 7
	v_mov_b32_e32 v55, 0x7c01
	s_mov_b32 s21, exec_lo
	v_cmpx_ne_u32_e32 0x7f, v57
	s_cbranch_execz .LBB282_713
; %bb.710:                              ;   in Loop: Header=BB282_426 Depth=1
	v_and_b32_e32 v55, 7, v2
	v_lshrrev_b32_e32 v56, 3, v57
	s_mov_b32 s22, exec_lo
	v_cmpx_gt_u32_e32 8, v57
; %bb.711:                              ;   in Loop: Header=BB282_426 Depth=1
	v_ffbh_u32_e32 v55, v55
	v_min_u32_e32 v57, 32, v55
	v_subrev_nc_u32_e32 v55, 28, v57
	v_lshlrev_b64 v[55:56], v55, v[2:3]
	v_sub_nc_u32_e32 v56, 29, v57
	v_and_b32_e32 v55, 7, v55
; %bb.712:                              ;   in Loop: Header=BB282_426 Depth=1
	s_or_b32 exec_lo, exec_lo, s22
	v_lshlrev_b32_e32 v2, 8, v2
	v_lshl_add_u32 v56, v56, 10, 0x2000
	v_lshlrev_b32_e32 v55, 7, v55
	v_and_b32_e32 v2, 0x8000, v2
	v_and_b32_e32 v56, 0xfc00, v56
	v_or3_b32 v55, v2, v56, v55
.LBB282_713:                            ;   in Loop: Header=BB282_426 Depth=1
	s_or_b32 exec_lo, exec_lo, s21
.LBB282_714:                            ;   in Loop: Header=BB282_426 Depth=1
	s_or_b32 exec_lo, exec_lo, s18
.LBB282_715:                            ;   in Loop: Header=BB282_426 Depth=1
	s_or_b32 exec_lo, exec_lo, s17
	s_mov_b32 s17, exec_lo
	v_cmpx_lt_u32_e32 0xffffff, v10
	s_cbranch_execz .LBB282_723
; %bb.716:                              ;   in Loop: Header=BB282_426 Depth=1
	v_lshrrev_b32_e32 v2, 24, v10
	v_bfrev_b32_e32 v54, 1
	s_mov_b32 s18, exec_lo
	v_cmpx_ne_u32_e32 0x80, v2
	s_cbranch_execz .LBB282_722
; %bb.717:                              ;   in Loop: Header=BB282_426 Depth=1
	v_and_b32_e32 v57, 0x7f, v2
	v_mov_b32_e32 v54, 0x7c010000
	s_mov_b32 s21, exec_lo
	v_cmpx_ne_u32_e32 0x7f, v57
	s_cbranch_execz .LBB282_721
; %bb.718:                              ;   in Loop: Header=BB282_426 Depth=1
	v_and_b32_e32 v54, 7, v2
	v_lshrrev_b32_e32 v56, 3, v57
	s_mov_b32 s22, exec_lo
	v_cmpx_gt_u32_e32 8, v57
; %bb.719:                              ;   in Loop: Header=BB282_426 Depth=1
	v_ffbh_u32_e32 v54, v54
	v_min_u32_e32 v54, 32, v54
	v_subrev_nc_u32_e32 v56, 28, v54
	v_lshlrev_b64 v[57:58], v56, v[2:3]
	v_sub_nc_u32_e32 v56, 29, v54
	v_and_b32_e32 v54, 7, v57
; %bb.720:                              ;   in Loop: Header=BB282_426 Depth=1
	s_or_b32 exec_lo, exec_lo, s22
	v_lshlrev_b32_e32 v2, 8, v2
	v_lshl_add_u32 v56, v56, 10, 0x2000
	v_lshlrev_b32_e32 v54, 23, v54
	v_and_or_b32 v2, 0x8000, v2, v56
	v_lshl_or_b32 v54, v2, 16, v54
.LBB282_721:                            ;   in Loop: Header=BB282_426 Depth=1
	s_or_b32 exec_lo, exec_lo, s21
.LBB282_722:                            ;   in Loop: Header=BB282_426 Depth=1
	s_or_b32 exec_lo, exec_lo, s18
.LBB282_723:                            ;   in Loop: Header=BB282_426 Depth=1
	s_or_b32 exec_lo, exec_lo, s17
	v_mov_b32_e32 v2, v11
	v_cmp_ne_u16_sdwa s0, v11, v3 src0_sel:BYTE_0 src1_sel:DWORD
	v_mov_b32_e32 v56, 0
	v_mov_b32_e32 v57, 0
	s_and_saveexec_b32 s17, s0
	s_cbranch_execz .LBB282_731
; %bb.724:                              ;   in Loop: Header=BB282_426 Depth=1
	v_cmp_ne_u16_sdwa s0, v11, v16 src0_sel:BYTE_0 src1_sel:DWORD
	v_mov_b32_e32 v57, 0x8000
	s_and_saveexec_b32 s18, s0
	s_cbranch_execz .LBB282_730
; %bb.725:                              ;   in Loop: Header=BB282_426 Depth=1
	v_and_b32_e32 v59, 0x7f, v11
	v_mov_b32_e32 v57, 0x7c01
	s_mov_b32 s21, exec_lo
	v_cmpx_ne_u32_e32 0x7f, v59
	s_cbranch_execz .LBB282_729
; %bb.726:                              ;   in Loop: Header=BB282_426 Depth=1
	v_and_b32_e32 v57, 7, v11
	v_lshrrev_b32_e32 v58, 3, v59
	s_mov_b32 s22, exec_lo
	v_cmpx_gt_u32_e32 8, v59
; %bb.727:                              ;   in Loop: Header=BB282_426 Depth=1
	v_ffbh_u32_e32 v57, v57
	v_min_u32_e32 v59, 32, v57
	v_subrev_nc_u32_e32 v57, 28, v59
	v_lshlrev_b64 v[57:58], v57, v[2:3]
	v_sub_nc_u32_e32 v58, 29, v59
	v_and_b32_e32 v57, 7, v57
; %bb.728:                              ;   in Loop: Header=BB282_426 Depth=1
	s_or_b32 exec_lo, exec_lo, s22
	v_lshlrev_b32_e32 v59, 8, v11
	v_lshl_add_u32 v58, v58, 10, 0x2000
	v_lshlrev_b32_e32 v57, 7, v57
	v_and_b32_e32 v59, 0x8000, v59
	v_and_b32_e32 v58, 0xfc00, v58
	v_or3_b32 v57, v59, v58, v57
.LBB282_729:                            ;   in Loop: Header=BB282_426 Depth=1
	s_or_b32 exec_lo, exec_lo, s21
.LBB282_730:                            ;   in Loop: Header=BB282_426 Depth=1
	s_or_b32 exec_lo, exec_lo, s18
.LBB282_731:                            ;   in Loop: Header=BB282_426 Depth=1
	s_or_b32 exec_lo, exec_lo, s17
	v_lshrrev_b16 v2, 8, v2
	v_mov_b32_e32 v58, 0
	s_mov_b32 s17, exec_lo
	v_cmpx_ne_u16_e32 0, v2
	s_cbranch_execz .LBB282_739
; %bb.732:                              ;   in Loop: Header=BB282_426 Depth=1
	v_bfrev_b32_e32 v58, 1
	s_mov_b32 s18, exec_lo
	v_cmpx_ne_u16_e32 0x80, v2
	s_cbranch_execz .LBB282_738
; %bb.733:                              ;   in Loop: Header=BB282_426 Depth=1
	v_and_b32_sdwa v60, v2, v26 dst_sel:DWORD dst_unused:UNUSED_PAD src0_sel:WORD_0 src1_sel:DWORD
	v_mov_b32_e32 v58, 0x7c010000
	s_mov_b32 s21, exec_lo
	v_cmpx_ne_u32_e32 0x7f, v60
	s_cbranch_execz .LBB282_737
; %bb.734:                              ;   in Loop: Header=BB282_426 Depth=1
	v_and_b32_sdwa v58, v2, v27 dst_sel:DWORD dst_unused:UNUSED_PAD src0_sel:WORD_0 src1_sel:DWORD
	v_lshrrev_b32_e32 v59, 3, v60
	s_mov_b32 s22, exec_lo
	v_cmpx_gt_u32_e32 8, v60
; %bb.735:                              ;   in Loop: Header=BB282_426 Depth=1
	v_ffbh_u32_e32 v58, v58
	v_min_u32_e32 v60, 32, v58
	v_subrev_nc_u32_e32 v58, 28, v60
	v_lshlrev_b64 v[58:59], v58, v[2:3]
	v_sub_nc_u32_e32 v59, 29, v60
	v_and_b32_e32 v58, 7, v58
; %bb.736:                              ;   in Loop: Header=BB282_426 Depth=1
	s_or_b32 exec_lo, exec_lo, s22
	v_lshlrev_b32_sdwa v2, v28, v2 dst_sel:DWORD dst_unused:UNUSED_PAD src0_sel:DWORD src1_sel:WORD_0
	v_lshl_add_u32 v59, v59, 10, 0x2000
	v_lshlrev_b32_e32 v58, 23, v58
	v_and_or_b32 v2, 0x8000, v2, v59
	v_lshl_or_b32 v58, v2, 16, v58
.LBB282_737:                            ;   in Loop: Header=BB282_426 Depth=1
	s_or_b32 exec_lo, exec_lo, s21
.LBB282_738:                            ;   in Loop: Header=BB282_426 Depth=1
	s_or_b32 exec_lo, exec_lo, s18
.LBB282_739:                            ;   in Loop: Header=BB282_426 Depth=1
	s_or_b32 exec_lo, exec_lo, s17
	v_lshrrev_b32_e32 v2, 16, v11
	v_cmp_ne_u16_sdwa s0, v2, v3 src0_sel:BYTE_0 src1_sel:DWORD
	s_and_saveexec_b32 s17, s0
	s_cbranch_execz .LBB282_747
; %bb.740:                              ;   in Loop: Header=BB282_426 Depth=1
	v_cmp_ne_u16_sdwa s0, v2, v16 src0_sel:BYTE_0 src1_sel:DWORD
	v_mov_b32_e32 v56, 0x8000
	s_and_saveexec_b32 s18, s0
	s_cbranch_execz .LBB282_746
; %bb.741:                              ;   in Loop: Header=BB282_426 Depth=1
	v_bfe_u32 v60, v11, 16, 7
	v_mov_b32_e32 v56, 0x7c01
	s_mov_b32 s21, exec_lo
	v_cmpx_ne_u32_e32 0x7f, v60
	s_cbranch_execz .LBB282_745
; %bb.742:                              ;   in Loop: Header=BB282_426 Depth=1
	v_and_b32_e32 v56, 7, v2
	v_lshrrev_b32_e32 v59, 3, v60
	s_mov_b32 s22, exec_lo
	v_cmpx_gt_u32_e32 8, v60
; %bb.743:                              ;   in Loop: Header=BB282_426 Depth=1
	v_ffbh_u32_e32 v56, v56
	v_min_u32_e32 v56, 32, v56
	v_subrev_nc_u32_e32 v59, 28, v56
	v_lshlrev_b64 v[60:61], v59, v[2:3]
	v_sub_nc_u32_e32 v59, 29, v56
	v_and_b32_e32 v56, 7, v60
; %bb.744:                              ;   in Loop: Header=BB282_426 Depth=1
	s_or_b32 exec_lo, exec_lo, s22
	v_lshlrev_b32_e32 v2, 8, v2
	v_lshl_add_u32 v59, v59, 10, 0x2000
	v_lshlrev_b32_e32 v56, 7, v56
	v_and_b32_e32 v2, 0x8000, v2
	v_and_b32_e32 v59, 0xfc00, v59
	v_or3_b32 v56, v2, v59, v56
.LBB282_745:                            ;   in Loop: Header=BB282_426 Depth=1
	s_or_b32 exec_lo, exec_lo, s21
.LBB282_746:                            ;   in Loop: Header=BB282_426 Depth=1
	s_or_b32 exec_lo, exec_lo, s18
.LBB282_747:                            ;   in Loop: Header=BB282_426 Depth=1
	s_or_b32 exec_lo, exec_lo, s17
	v_cmp_lt_u64_e64 s0, s[4:5], v[10:11]
	v_mov_b32_e32 v10, 0
	s_and_saveexec_b32 s17, s0
	s_cbranch_execz .LBB282_755
; %bb.748:                              ;   in Loop: Header=BB282_426 Depth=1
	v_lshrrev_b32_e32 v2, 24, v11
	v_bfrev_b32_e32 v10, 1
	s_mov_b32 s18, exec_lo
	v_cmpx_ne_u32_e32 0x80, v2
	s_cbranch_execz .LBB282_754
; %bb.749:                              ;   in Loop: Header=BB282_426 Depth=1
	v_and_b32_e32 v59, 0x7f, v2
	v_mov_b32_e32 v10, 0x7c010000
	s_mov_b32 s21, exec_lo
	v_cmpx_ne_u32_e32 0x7f, v59
	s_cbranch_execz .LBB282_753
; %bb.750:                              ;   in Loop: Header=BB282_426 Depth=1
	v_and_b32_e32 v10, 7, v2
	v_lshrrev_b32_e32 v11, 3, v59
	s_mov_b32 s22, exec_lo
	v_cmpx_gt_u32_e32 8, v59
; %bb.751:                              ;   in Loop: Header=BB282_426 Depth=1
	v_ffbh_u32_e32 v10, v10
	v_min_u32_e32 v59, 32, v10
	v_subrev_nc_u32_e32 v10, 28, v59
	v_lshlrev_b64 v[10:11], v10, v[2:3]
	v_sub_nc_u32_e32 v11, 29, v59
	v_and_b32_e32 v10, 7, v10
; %bb.752:                              ;   in Loop: Header=BB282_426 Depth=1
	s_or_b32 exec_lo, exec_lo, s22
	v_lshlrev_b32_e32 v2, 8, v2
	v_lshl_add_u32 v11, v11, 10, 0x2000
	v_lshlrev_b32_e32 v10, 23, v10
	v_and_or_b32 v2, 0x8000, v2, v11
	v_lshl_or_b32 v10, v2, 16, v10
.LBB282_753:                            ;   in Loop: Header=BB282_426 Depth=1
	s_or_b32 exec_lo, exec_lo, s21
.LBB282_754:                            ;   in Loop: Header=BB282_426 Depth=1
	s_or_b32 exec_lo, exec_lo, s18
.LBB282_755:                            ;   in Loop: Header=BB282_426 Depth=1
	s_or_b32 exec_lo, exec_lo, s17
	v_or_b32_e32 v2, v54, v55
	s_waitcnt vmcnt(0)
	v_fma_mixlo_f16 v11, v51, v54, 0 op_sel:[0,1,0] op_sel_hi:[0,1,0]
	v_or_b32_e32 v54, v52, v53
	v_fma_mixlo_f16 v52, v51, v52, 0 op_sel:[0,1,0] op_sel_hi:[0,1,0]
	v_or_b32_e32 v55, v58, v57
	v_or_b32_e32 v56, v10, v56
	v_fma_mixlo_f16 v57, v51, v2, 0 op_sel_hi:[0,1,0]
	v_fma_mixlo_f16 v10, v51, v10, 0 op_sel:[0,1,0] op_sel_hi:[0,1,0]
	v_lshlrev_b32_e32 v53, 16, v52
	v_fma_mixlo_f16 v52, v51, v54, 0 op_sel_hi:[0,1,0]
	v_fma_mixlo_f16 v54, v51, v58, 0 op_sel:[0,1,0] op_sel_hi:[0,1,0]
	v_fma_mixlo_f16 v55, v51, v55, 0 op_sel_hi:[0,1,0]
	v_fma_mixlo_f16 v56, v51, v56, 0 op_sel_hi:[0,1,0]
	v_lshlrev_b32_e32 v2, 16, v11
	v_and_b32_e32 v11, 0xffff, v57
	v_and_b32_e32 v59, 0xffff, v52
	v_lshlrev_b32_e32 v51, 16, v54
	v_and_b32_e32 v55, 0xffff, v55
	v_lshlrev_b32_e32 v10, 16, v10
	v_and_b32_e32 v52, 0xffff, v56
	v_or_b32_e32 v54, v2, v11
	v_or_b32_e32 v58, v53, v59
	;; [unrolled: 1-line block ×4, first 2 shown]
	s_and_saveexec_b32 s17, vcc_lo
	s_cbranch_execz .LBB282_757
; %bb.756:                              ;   in Loop: Header=BB282_426 Depth=1
	v_cmp_gt_i32_e64 s0, s31, v31
	v_cndmask_b32_e64 v54, 0, v59, s0
	v_cmp_gt_i32_e64 s0, s31, v38
	v_cndmask_b32_e64 v53, 0, v53, s0
	v_cmp_gt_i32_e64 s0, s31, v37
	v_or_b32_e32 v58, v53, v54
	v_cndmask_b32_e64 v11, 0, v11, s0
	v_cmp_gt_i32_e64 s0, s31, v36
	v_cndmask_b32_e64 v2, 0, v2, s0
	v_cmp_gt_i32_e64 s0, s31, v35
	v_or_b32_e32 v54, v2, v11
	;; [unrolled: 5-line block ×3, first 2 shown]
	v_cndmask_b32_e64 v52, 0, v52, s0
	v_cmp_gt_i32_e64 s0, s31, v32
	v_cndmask_b32_e64 v10, 0, v10, s0
	v_or_b32_e32 v56, v10, v52
.LBB282_757:                            ;   in Loop: Header=BB282_426 Depth=1
	s_or_b32 exec_lo, exec_lo, s17
	;;#ASMSTART
	v_pk_mul_f16 v2, v44, v58;

	;;#ASMEND
	;;#ASMSTART
	v_pk_mul_f16 v10, v43, v54;

	;;#ASMEND
	;; [unrolled: 4-line block ×4, first 2 shown]
	;;#ASMSTART
	v_pk_add_f16 v2, v2, v10;

	;;#ASMEND
	;;#ASMSTART
	v_pk_add_f16 v2, v2, v11;

	;;#ASMEND
	;; [unrolled: 4-line block ×3, first 2 shown]
	v_and_b32_e32 v10, 0xffff, v2
	v_lshrrev_b32_e32 v2, 16, v2
	;;#ASMSTART
	v_cvt_f32_f16 v10, v10;
	;;#ASMEND
	;;#ASMSTART
	v_cvt_f32_f16 v11, v2;
	;;#ASMEND
	global_load_dwordx2 v[8:9], v[8:9], off offset:1280
	v_mov_b32_e32 v52, 0
	v_mov_b32_e32 v53, 0
	global_load_dword v51, v52, s[14:15]
	s_waitcnt vmcnt(1)
	v_cmp_ne_u16_sdwa s0, v8, v3 src0_sel:BYTE_0 src1_sel:DWORD
	s_and_saveexec_b32 s17, s0
	s_cbranch_execz .LBB282_765
; %bb.758:                              ;   in Loop: Header=BB282_426 Depth=1
	v_cmp_ne_u16_sdwa s0, v8, v16 src0_sel:BYTE_0 src1_sel:DWORD
	v_mov_b32_e32 v53, 0x8000
	s_and_saveexec_b32 s18, s0
	s_cbranch_execz .LBB282_764
; %bb.759:                              ;   in Loop: Header=BB282_426 Depth=1
	v_and_b32_e32 v54, 0x7f, v8
	v_mov_b32_e32 v53, 0x7c01
	s_mov_b32 s21, exec_lo
	v_cmpx_ne_u32_e32 0x7f, v54
	s_cbranch_execz .LBB282_763
; %bb.760:                              ;   in Loop: Header=BB282_426 Depth=1
	v_and_b32_e32 v2, 7, v8
	v_lshrrev_b32_e32 v53, 3, v54
	s_mov_b32 s22, exec_lo
	v_cmpx_gt_u32_e32 8, v54
; %bb.761:                              ;   in Loop: Header=BB282_426 Depth=1
	v_ffbh_u32_e32 v2, v2
	v_min_u32_e32 v2, 32, v2
	v_subrev_nc_u32_e32 v53, 28, v2
	v_lshlrev_b64 v[54:55], v53, v[8:9]
	v_sub_nc_u32_e32 v53, 29, v2
	v_and_b32_e32 v2, 7, v54
; %bb.762:                              ;   in Loop: Header=BB282_426 Depth=1
	s_or_b32 exec_lo, exec_lo, s22
	v_lshlrev_b32_e32 v54, 8, v8
	v_lshl_add_u32 v53, v53, 10, 0x2000
	v_lshlrev_b32_e32 v2, 7, v2
	v_and_b32_e32 v54, 0x8000, v54
	v_and_b32_e32 v53, 0xfc00, v53
	v_or3_b32 v53, v54, v53, v2
.LBB282_763:                            ;   in Loop: Header=BB282_426 Depth=1
	s_or_b32 exec_lo, exec_lo, s21
.LBB282_764:                            ;   in Loop: Header=BB282_426 Depth=1
	s_or_b32 exec_lo, exec_lo, s18
.LBB282_765:                            ;   in Loop: Header=BB282_426 Depth=1
	s_or_b32 exec_lo, exec_lo, s17
	v_lshrrev_b16 v2, 8, v8
	s_mov_b32 s17, exec_lo
	v_cmpx_ne_u16_e32 0, v2
	s_cbranch_execz .LBB282_773
; %bb.766:                              ;   in Loop: Header=BB282_426 Depth=1
	v_bfrev_b32_e32 v52, 1
	s_mov_b32 s18, exec_lo
	v_cmpx_ne_u16_e32 0x80, v2
	s_cbranch_execz .LBB282_772
; %bb.767:                              ;   in Loop: Header=BB282_426 Depth=1
	v_and_b32_sdwa v55, v2, v26 dst_sel:DWORD dst_unused:UNUSED_PAD src0_sel:WORD_0 src1_sel:DWORD
	v_mov_b32_e32 v52, 0x7c010000
	s_mov_b32 s21, exec_lo
	v_cmpx_ne_u32_e32 0x7f, v55
	s_cbranch_execz .LBB282_771
; %bb.768:                              ;   in Loop: Header=BB282_426 Depth=1
	v_and_b32_sdwa v52, v2, v27 dst_sel:DWORD dst_unused:UNUSED_PAD src0_sel:WORD_0 src1_sel:DWORD
	v_lshrrev_b32_e32 v54, 3, v55
	s_mov_b32 s22, exec_lo
	v_cmpx_gt_u32_e32 8, v55
; %bb.769:                              ;   in Loop: Header=BB282_426 Depth=1
	v_ffbh_u32_e32 v52, v52
	v_min_u32_e32 v52, 32, v52
	v_subrev_nc_u32_e32 v54, 28, v52
	v_lshlrev_b64 v[55:56], v54, v[2:3]
	v_sub_nc_u32_e32 v54, 29, v52
	v_and_b32_e32 v52, 7, v55
; %bb.770:                              ;   in Loop: Header=BB282_426 Depth=1
	s_or_b32 exec_lo, exec_lo, s22
	v_lshlrev_b32_sdwa v2, v28, v2 dst_sel:DWORD dst_unused:UNUSED_PAD src0_sel:DWORD src1_sel:WORD_0
	v_lshl_add_u32 v54, v54, 10, 0x2000
	v_lshlrev_b32_e32 v52, 23, v52
	v_and_or_b32 v2, 0x8000, v2, v54
	v_lshl_or_b32 v52, v2, 16, v52
.LBB282_771:                            ;   in Loop: Header=BB282_426 Depth=1
	s_or_b32 exec_lo, exec_lo, s21
.LBB282_772:                            ;   in Loop: Header=BB282_426 Depth=1
	s_or_b32 exec_lo, exec_lo, s18
.LBB282_773:                            ;   in Loop: Header=BB282_426 Depth=1
	s_or_b32 exec_lo, exec_lo, s17
	v_lshrrev_b32_e32 v2, 16, v8
	v_mov_b32_e32 v54, 0
	v_mov_b32_e32 v55, 0
	v_cmp_ne_u16_sdwa s0, v2, v3 src0_sel:BYTE_0 src1_sel:DWORD
	s_and_saveexec_b32 s17, s0
	s_cbranch_execz .LBB282_781
; %bb.774:                              ;   in Loop: Header=BB282_426 Depth=1
	v_cmp_ne_u16_sdwa s0, v2, v16 src0_sel:BYTE_0 src1_sel:DWORD
	v_mov_b32_e32 v55, 0x8000
	s_and_saveexec_b32 s18, s0
	s_cbranch_execz .LBB282_780
; %bb.775:                              ;   in Loop: Header=BB282_426 Depth=1
	v_bfe_u32 v57, v8, 16, 7
	v_mov_b32_e32 v55, 0x7c01
	s_mov_b32 s21, exec_lo
	v_cmpx_ne_u32_e32 0x7f, v57
	s_cbranch_execz .LBB282_779
; %bb.776:                              ;   in Loop: Header=BB282_426 Depth=1
	v_and_b32_e32 v55, 7, v2
	v_lshrrev_b32_e32 v56, 3, v57
	s_mov_b32 s22, exec_lo
	v_cmpx_gt_u32_e32 8, v57
; %bb.777:                              ;   in Loop: Header=BB282_426 Depth=1
	v_ffbh_u32_e32 v55, v55
	v_min_u32_e32 v57, 32, v55
	v_subrev_nc_u32_e32 v55, 28, v57
	v_lshlrev_b64 v[55:56], v55, v[2:3]
	v_sub_nc_u32_e32 v56, 29, v57
	v_and_b32_e32 v55, 7, v55
; %bb.778:                              ;   in Loop: Header=BB282_426 Depth=1
	s_or_b32 exec_lo, exec_lo, s22
	v_lshlrev_b32_e32 v2, 8, v2
	v_lshl_add_u32 v56, v56, 10, 0x2000
	v_lshlrev_b32_e32 v55, 7, v55
	v_and_b32_e32 v2, 0x8000, v2
	v_and_b32_e32 v56, 0xfc00, v56
	v_or3_b32 v55, v2, v56, v55
.LBB282_779:                            ;   in Loop: Header=BB282_426 Depth=1
	s_or_b32 exec_lo, exec_lo, s21
.LBB282_780:                            ;   in Loop: Header=BB282_426 Depth=1
	s_or_b32 exec_lo, exec_lo, s18
.LBB282_781:                            ;   in Loop: Header=BB282_426 Depth=1
	s_or_b32 exec_lo, exec_lo, s17
	s_mov_b32 s17, exec_lo
	v_cmpx_lt_u32_e32 0xffffff, v8
	s_cbranch_execz .LBB282_789
; %bb.782:                              ;   in Loop: Header=BB282_426 Depth=1
	v_lshrrev_b32_e32 v2, 24, v8
	v_bfrev_b32_e32 v54, 1
	s_mov_b32 s18, exec_lo
	v_cmpx_ne_u32_e32 0x80, v2
	s_cbranch_execz .LBB282_788
; %bb.783:                              ;   in Loop: Header=BB282_426 Depth=1
	v_and_b32_e32 v57, 0x7f, v2
	v_mov_b32_e32 v54, 0x7c010000
	s_mov_b32 s21, exec_lo
	v_cmpx_ne_u32_e32 0x7f, v57
	s_cbranch_execz .LBB282_787
; %bb.784:                              ;   in Loop: Header=BB282_426 Depth=1
	v_and_b32_e32 v54, 7, v2
	v_lshrrev_b32_e32 v56, 3, v57
	s_mov_b32 s22, exec_lo
	v_cmpx_gt_u32_e32 8, v57
; %bb.785:                              ;   in Loop: Header=BB282_426 Depth=1
	v_ffbh_u32_e32 v54, v54
	v_min_u32_e32 v54, 32, v54
	v_subrev_nc_u32_e32 v56, 28, v54
	v_lshlrev_b64 v[57:58], v56, v[2:3]
	v_sub_nc_u32_e32 v56, 29, v54
	v_and_b32_e32 v54, 7, v57
; %bb.786:                              ;   in Loop: Header=BB282_426 Depth=1
	s_or_b32 exec_lo, exec_lo, s22
	v_lshlrev_b32_e32 v2, 8, v2
	v_lshl_add_u32 v56, v56, 10, 0x2000
	v_lshlrev_b32_e32 v54, 23, v54
	v_and_or_b32 v2, 0x8000, v2, v56
	v_lshl_or_b32 v54, v2, 16, v54
.LBB282_787:                            ;   in Loop: Header=BB282_426 Depth=1
	s_or_b32 exec_lo, exec_lo, s21
.LBB282_788:                            ;   in Loop: Header=BB282_426 Depth=1
	s_or_b32 exec_lo, exec_lo, s18
.LBB282_789:                            ;   in Loop: Header=BB282_426 Depth=1
	s_or_b32 exec_lo, exec_lo, s17
	v_mov_b32_e32 v2, v9
	v_cmp_ne_u16_sdwa s0, v9, v3 src0_sel:BYTE_0 src1_sel:DWORD
	v_mov_b32_e32 v56, 0
	v_mov_b32_e32 v57, 0
	s_and_saveexec_b32 s17, s0
	s_cbranch_execz .LBB282_797
; %bb.790:                              ;   in Loop: Header=BB282_426 Depth=1
	v_cmp_ne_u16_sdwa s0, v9, v16 src0_sel:BYTE_0 src1_sel:DWORD
	v_mov_b32_e32 v57, 0x8000
	s_and_saveexec_b32 s18, s0
	s_cbranch_execz .LBB282_796
; %bb.791:                              ;   in Loop: Header=BB282_426 Depth=1
	v_and_b32_e32 v59, 0x7f, v9
	v_mov_b32_e32 v57, 0x7c01
	s_mov_b32 s21, exec_lo
	v_cmpx_ne_u32_e32 0x7f, v59
	s_cbranch_execz .LBB282_795
; %bb.792:                              ;   in Loop: Header=BB282_426 Depth=1
	v_and_b32_e32 v57, 7, v9
	v_lshrrev_b32_e32 v58, 3, v59
	s_mov_b32 s22, exec_lo
	v_cmpx_gt_u32_e32 8, v59
; %bb.793:                              ;   in Loop: Header=BB282_426 Depth=1
	v_ffbh_u32_e32 v57, v57
	v_min_u32_e32 v59, 32, v57
	v_subrev_nc_u32_e32 v57, 28, v59
	v_lshlrev_b64 v[57:58], v57, v[2:3]
	v_sub_nc_u32_e32 v58, 29, v59
	v_and_b32_e32 v57, 7, v57
; %bb.794:                              ;   in Loop: Header=BB282_426 Depth=1
	s_or_b32 exec_lo, exec_lo, s22
	v_lshlrev_b32_e32 v59, 8, v9
	v_lshl_add_u32 v58, v58, 10, 0x2000
	v_lshlrev_b32_e32 v57, 7, v57
	v_and_b32_e32 v59, 0x8000, v59
	v_and_b32_e32 v58, 0xfc00, v58
	v_or3_b32 v57, v59, v58, v57
.LBB282_795:                            ;   in Loop: Header=BB282_426 Depth=1
	s_or_b32 exec_lo, exec_lo, s21
.LBB282_796:                            ;   in Loop: Header=BB282_426 Depth=1
	s_or_b32 exec_lo, exec_lo, s18
.LBB282_797:                            ;   in Loop: Header=BB282_426 Depth=1
	s_or_b32 exec_lo, exec_lo, s17
	v_lshrrev_b16 v2, 8, v2
	v_mov_b32_e32 v58, 0
	s_mov_b32 s17, exec_lo
	v_cmpx_ne_u16_e32 0, v2
	s_cbranch_execz .LBB282_805
; %bb.798:                              ;   in Loop: Header=BB282_426 Depth=1
	v_bfrev_b32_e32 v58, 1
	s_mov_b32 s18, exec_lo
	v_cmpx_ne_u16_e32 0x80, v2
	s_cbranch_execz .LBB282_804
; %bb.799:                              ;   in Loop: Header=BB282_426 Depth=1
	v_and_b32_sdwa v60, v2, v26 dst_sel:DWORD dst_unused:UNUSED_PAD src0_sel:WORD_0 src1_sel:DWORD
	v_mov_b32_e32 v58, 0x7c010000
	s_mov_b32 s21, exec_lo
	v_cmpx_ne_u32_e32 0x7f, v60
	s_cbranch_execz .LBB282_803
; %bb.800:                              ;   in Loop: Header=BB282_426 Depth=1
	v_and_b32_sdwa v58, v2, v27 dst_sel:DWORD dst_unused:UNUSED_PAD src0_sel:WORD_0 src1_sel:DWORD
	v_lshrrev_b32_e32 v59, 3, v60
	s_mov_b32 s22, exec_lo
	v_cmpx_gt_u32_e32 8, v60
; %bb.801:                              ;   in Loop: Header=BB282_426 Depth=1
	v_ffbh_u32_e32 v58, v58
	v_min_u32_e32 v60, 32, v58
	v_subrev_nc_u32_e32 v58, 28, v60
	v_lshlrev_b64 v[58:59], v58, v[2:3]
	v_sub_nc_u32_e32 v59, 29, v60
	v_and_b32_e32 v58, 7, v58
; %bb.802:                              ;   in Loop: Header=BB282_426 Depth=1
	s_or_b32 exec_lo, exec_lo, s22
	v_lshlrev_b32_sdwa v2, v28, v2 dst_sel:DWORD dst_unused:UNUSED_PAD src0_sel:DWORD src1_sel:WORD_0
	v_lshl_add_u32 v59, v59, 10, 0x2000
	v_lshlrev_b32_e32 v58, 23, v58
	v_and_or_b32 v2, 0x8000, v2, v59
	v_lshl_or_b32 v58, v2, 16, v58
.LBB282_803:                            ;   in Loop: Header=BB282_426 Depth=1
	s_or_b32 exec_lo, exec_lo, s21
.LBB282_804:                            ;   in Loop: Header=BB282_426 Depth=1
	s_or_b32 exec_lo, exec_lo, s18
.LBB282_805:                            ;   in Loop: Header=BB282_426 Depth=1
	s_or_b32 exec_lo, exec_lo, s17
	v_lshrrev_b32_e32 v2, 16, v9
	v_cmp_ne_u16_sdwa s0, v2, v3 src0_sel:BYTE_0 src1_sel:DWORD
	s_and_saveexec_b32 s17, s0
	s_cbranch_execz .LBB282_813
; %bb.806:                              ;   in Loop: Header=BB282_426 Depth=1
	v_cmp_ne_u16_sdwa s0, v2, v16 src0_sel:BYTE_0 src1_sel:DWORD
	v_mov_b32_e32 v56, 0x8000
	s_and_saveexec_b32 s18, s0
	s_cbranch_execz .LBB282_812
; %bb.807:                              ;   in Loop: Header=BB282_426 Depth=1
	v_bfe_u32 v60, v9, 16, 7
	v_mov_b32_e32 v56, 0x7c01
	s_mov_b32 s21, exec_lo
	v_cmpx_ne_u32_e32 0x7f, v60
	s_cbranch_execz .LBB282_811
; %bb.808:                              ;   in Loop: Header=BB282_426 Depth=1
	v_and_b32_e32 v56, 7, v2
	v_lshrrev_b32_e32 v59, 3, v60
	s_mov_b32 s22, exec_lo
	v_cmpx_gt_u32_e32 8, v60
; %bb.809:                              ;   in Loop: Header=BB282_426 Depth=1
	v_ffbh_u32_e32 v56, v56
	v_min_u32_e32 v56, 32, v56
	v_subrev_nc_u32_e32 v59, 28, v56
	v_lshlrev_b64 v[60:61], v59, v[2:3]
	v_sub_nc_u32_e32 v59, 29, v56
	v_and_b32_e32 v56, 7, v60
; %bb.810:                              ;   in Loop: Header=BB282_426 Depth=1
	s_or_b32 exec_lo, exec_lo, s22
	v_lshlrev_b32_e32 v2, 8, v2
	v_lshl_add_u32 v59, v59, 10, 0x2000
	v_lshlrev_b32_e32 v56, 7, v56
	v_and_b32_e32 v2, 0x8000, v2
	v_and_b32_e32 v59, 0xfc00, v59
	v_or3_b32 v56, v2, v59, v56
.LBB282_811:                            ;   in Loop: Header=BB282_426 Depth=1
	s_or_b32 exec_lo, exec_lo, s21
.LBB282_812:                            ;   in Loop: Header=BB282_426 Depth=1
	s_or_b32 exec_lo, exec_lo, s18
.LBB282_813:                            ;   in Loop: Header=BB282_426 Depth=1
	s_or_b32 exec_lo, exec_lo, s17
	v_cmp_lt_u64_e64 s0, s[4:5], v[8:9]
	v_mov_b32_e32 v8, 0
	s_and_saveexec_b32 s17, s0
	s_cbranch_execz .LBB282_821
; %bb.814:                              ;   in Loop: Header=BB282_426 Depth=1
	v_lshrrev_b32_e32 v2, 24, v9
	v_bfrev_b32_e32 v8, 1
	s_mov_b32 s18, exec_lo
	v_cmpx_ne_u32_e32 0x80, v2
	s_cbranch_execz .LBB282_820
; %bb.815:                              ;   in Loop: Header=BB282_426 Depth=1
	v_and_b32_e32 v59, 0x7f, v2
	v_mov_b32_e32 v8, 0x7c010000
	s_mov_b32 s21, exec_lo
	v_cmpx_ne_u32_e32 0x7f, v59
	s_cbranch_execz .LBB282_819
; %bb.816:                              ;   in Loop: Header=BB282_426 Depth=1
	v_and_b32_e32 v8, 7, v2
	v_lshrrev_b32_e32 v9, 3, v59
	s_mov_b32 s22, exec_lo
	v_cmpx_gt_u32_e32 8, v59
; %bb.817:                              ;   in Loop: Header=BB282_426 Depth=1
	v_ffbh_u32_e32 v8, v8
	v_min_u32_e32 v59, 32, v8
	v_subrev_nc_u32_e32 v8, 28, v59
	v_lshlrev_b64 v[8:9], v8, v[2:3]
	v_sub_nc_u32_e32 v9, 29, v59
	v_and_b32_e32 v8, 7, v8
; %bb.818:                              ;   in Loop: Header=BB282_426 Depth=1
	s_or_b32 exec_lo, exec_lo, s22
	v_lshlrev_b32_e32 v2, 8, v2
	v_lshl_add_u32 v9, v9, 10, 0x2000
	v_lshlrev_b32_e32 v8, 23, v8
	v_and_or_b32 v2, 0x8000, v2, v9
	v_lshl_or_b32 v8, v2, 16, v8
.LBB282_819:                            ;   in Loop: Header=BB282_426 Depth=1
	s_or_b32 exec_lo, exec_lo, s21
.LBB282_820:                            ;   in Loop: Header=BB282_426 Depth=1
	s_or_b32 exec_lo, exec_lo, s18
.LBB282_821:                            ;   in Loop: Header=BB282_426 Depth=1
	s_or_b32 exec_lo, exec_lo, s17
	v_or_b32_e32 v2, v54, v55
	s_waitcnt vmcnt(0)
	v_fma_mixlo_f16 v9, v51, v54, 0 op_sel:[0,1,0] op_sel_hi:[0,1,0]
	v_or_b32_e32 v53, v52, v53
	v_fma_mixlo_f16 v54, v51, v52, 0 op_sel:[0,1,0] op_sel_hi:[0,1,0]
	v_or_b32_e32 v55, v58, v57
	v_fma_mixlo_f16 v2, v51, v2, 0 op_sel_hi:[0,1,0]
	v_or_b32_e32 v56, v8, v56
	v_lshlrev_b32_e32 v52, 16, v9
	v_lshlrev_b32_e32 v57, 16, v54
	v_fma_mixlo_f16 v9, v51, v53, 0 op_sel_hi:[0,1,0]
	v_and_b32_e32 v54, 0xffff, v2
	v_fma_mixlo_f16 v2, v51, v58, 0 op_sel:[0,1,0] op_sel_hi:[0,1,0]
	v_fma_mixlo_f16 v53, v51, v55, 0 op_sel_hi:[0,1,0]
	v_fma_mixlo_f16 v8, v51, v8, 0 op_sel:[0,1,0] op_sel_hi:[0,1,0]
	v_fma_mixlo_f16 v51, v51, v56, 0 op_sel_hi:[0,1,0]
	v_and_b32_e32 v59, 0xffff, v9
	v_lshlrev_b32_e32 v55, 16, v2
	v_and_b32_e32 v58, 0xffff, v53
	v_lshlrev_b32_e32 v53, 16, v8
	v_and_b32_e32 v56, 0xffff, v51
	v_or_b32_e32 v9, v52, v54
	v_or_b32_e32 v51, v57, v59
	;; [unrolled: 1-line block ×4, first 2 shown]
	s_and_saveexec_b32 s0, vcc_lo
	s_cbranch_execz .LBB282_424
; %bb.822:                              ;   in Loop: Header=BB282_426 Depth=1
	v_cmp_gt_i32_e32 vcc_lo, s31, v31
	v_cndmask_b32_e32 v2, 0, v59, vcc_lo
	v_cmp_gt_i32_e32 vcc_lo, s31, v38
	v_cndmask_b32_e32 v8, 0, v57, vcc_lo
	v_cmp_gt_i32_e32 vcc_lo, s31, v37
	v_or_b32_e32 v51, v8, v2
	v_cndmask_b32_e32 v9, 0, v54, vcc_lo
	v_cmp_gt_i32_e32 vcc_lo, s31, v36
	v_cndmask_b32_e32 v31, 0, v52, vcc_lo
	v_cmp_gt_i32_e32 vcc_lo, s31, v35
	v_or_b32_e32 v9, v31, v9
	;; [unrolled: 5-line block ×3, first 2 shown]
	v_cndmask_b32_e32 v33, 0, v56, vcc_lo
	v_cmp_gt_i32_e32 vcc_lo, s31, v32
	v_cndmask_b32_e32 v32, 0, v53, vcc_lo
	v_or_b32_e32 v2, v32, v33
	s_branch .LBB282_424
.LBB282_823:
	s_or_b32 exec_lo, exec_lo, s12
.LBB282_824:
	s_or_b32 exec_lo, exec_lo, s1
	ds_bpermute_b32 v1, v18, v25
	ds_bpermute_b32 v2, v18, v23
	;; [unrolled: 1-line block ×6, first 2 shown]
	v_lshrrev_b32_e32 v7, 1, v17
	v_mul_u32_u24_e32 v9, 0x180, v14
	v_and_b32_e32 v14, 0x3c1, v0
	s_mov_b32 s0, exec_lo
	s_waitcnt lgkmcnt(0)
	s_waitcnt_vscnt null, 0x0
	v_lshl_add_u32 v8, v7, 2, 0xe0
	s_barrier
	buffer_gl0_inv
	v_add_f32_e32 v6, v25, v1
	v_add_f32_e32 v5, v23, v2
	;; [unrolled: 1-line block ×6, first 2 shown]
	v_cmpx_eq_u32_e32 64, v14
	s_cbranch_execz .LBB282_826
; %bb.825:
	v_add_nc_u32_e32 v10, v8, v9
	v_add_nc_u32_e32 v11, 0xfffffd00, v10
	;; [unrolled: 1-line block ×7, first 2 shown]
	ds_write_b32 v11, v6
	ds_write_b32 v14, v5
	;; [unrolled: 1-line block ×6, first 2 shown]
.LBB282_826:
	s_or_b32 exec_lo, exec_lo, s0
	v_lshlrev_b32_e32 v7, 2, v7
	s_mov_b32 s1, exec_lo
	v_cmp_eq_u32_e32 vcc_lo, 0, v13
	s_waitcnt lgkmcnt(0)
	s_barrier
	v_add3_u32 v7, 0xe0, v9, v7
	buffer_gl0_inv
	v_cmpx_gt_u32_e32 64, v0
	s_cbranch_execz .LBB282_835
; %bb.827:
	s_and_saveexec_b32 s0, vcc_lo
	s_cbranch_execnz .LBB282_849
; %bb.828:
	s_or_b32 exec_lo, exec_lo, s0
	s_and_saveexec_b32 s0, vcc_lo
	s_cbranch_execnz .LBB282_850
.LBB282_829:
	s_or_b32 exec_lo, exec_lo, s0
	s_and_saveexec_b32 s0, vcc_lo
	s_cbranch_execnz .LBB282_851
.LBB282_830:
	s_or_b32 exec_lo, exec_lo, s0
	s_and_saveexec_b32 s0, vcc_lo
	s_cbranch_execnz .LBB282_852
.LBB282_831:
	s_or_b32 exec_lo, exec_lo, s0
	s_and_saveexec_b32 s0, vcc_lo
	s_cbranch_execnz .LBB282_853
.LBB282_832:
	s_or_b32 exec_lo, exec_lo, s0
	s_and_saveexec_b32 s0, vcc_lo
	s_cbranch_execz .LBB282_834
.LBB282_833:
	ds_read_b32 v9, v7 offset:320
	s_waitcnt lgkmcnt(0)
	v_add_f32_e32 v1, v1, v9
.LBB282_834:
	s_or_b32 exec_lo, exec_lo, s0
.LBB282_835:
	s_or_b32 exec_lo, exec_lo, s1
	v_and_b32_e32 v9, 0x3e1, v0
	s_mov_b32 s1, exec_lo
	s_barrier
	buffer_gl0_inv
	v_cmpx_eq_u32_e32 32, v9
	s_cbranch_execz .LBB282_837
; %bb.836:
	ds_write2_b32 v8, v6, v5 offset1:16
	ds_write2_b32 v8, v4, v3 offset0:32 offset1:48
	ds_write2_b32 v8, v2, v1 offset0:64 offset1:80
.LBB282_837:
	s_or_b32 exec_lo, exec_lo, s1
	s_mov_b32 s1, exec_lo
	s_waitcnt lgkmcnt(0)
	s_barrier
	buffer_gl0_inv
	v_cmpx_gt_u32_e32 32, v0
	s_cbranch_execz .LBB282_846
; %bb.838:
	s_and_saveexec_b32 s0, vcc_lo
	s_cbranch_execnz .LBB282_854
; %bb.839:
	s_or_b32 exec_lo, exec_lo, s0
	s_and_saveexec_b32 s0, vcc_lo
	s_cbranch_execnz .LBB282_855
.LBB282_840:
	s_or_b32 exec_lo, exec_lo, s0
	s_and_saveexec_b32 s0, vcc_lo
	s_cbranch_execnz .LBB282_856
.LBB282_841:
	s_or_b32 exec_lo, exec_lo, s0
	s_and_saveexec_b32 s0, vcc_lo
	s_cbranch_execnz .LBB282_857
.LBB282_842:
	s_or_b32 exec_lo, exec_lo, s0
	s_and_saveexec_b32 s0, vcc_lo
	s_cbranch_execnz .LBB282_858
.LBB282_843:
	s_or_b32 exec_lo, exec_lo, s0
	s_and_saveexec_b32 s0, vcc_lo
	s_cbranch_execz .LBB282_845
.LBB282_844:
	ds_read_b32 v0, v7 offset:320
	s_waitcnt lgkmcnt(0)
	v_add_f32_e32 v1, v1, v0
.LBB282_845:
	s_or_b32 exec_lo, exec_lo, s0
.LBB282_846:
	s_or_b32 exec_lo, exec_lo, s1
	s_barrier
	buffer_gl0_inv
	s_mov_b32 s0, exec_lo
	v_cmpx_eq_u32_e32 0, v9
	s_cbranch_execz .LBB282_848
; %bb.847:
	s_mul_i32 s0, s2, 0x60
	s_mul_i32 s2, s7, s10
	s_ashr_i32 s1, s0, 31
	v_lshlrev_b32_e32 v0, 1, v12
	s_lshl_b64 s[0:1], s[0:1], 1
	;;#ASMSTART
	v_cvt_f16_f32 v6, v6;

	;;#ASMEND
	s_add_u32 s4, s28, s0
	s_addc_u32 s5, s29, s1
	s_ashr_i32 s3, s2, 31
	s_lshl_b64 s[0:1], s[2:3], 1
	s_mul_i32 s2, s8, 0x60
	s_add_u32 s4, s4, s0
	s_addc_u32 s5, s5, s1
	s_ashr_i32 s3, s2, 31
	s_lshl_b64 s[0:1], s[2:3], 1
	s_add_u32 s0, s4, s0
	s_addc_u32 s1, s5, s1
	global_store_short v0, v6, s[0:1]
	;;#ASMSTART
	v_cvt_f16_f32 v5, v5;

	;;#ASMEND
	global_store_short v0, v5, s[0:1] offset:32
	;;#ASMSTART
	v_cvt_f16_f32 v4, v4;

	;;#ASMEND
	global_store_short v0, v4, s[0:1] offset:64
	;; [unrolled: 5-line block ×5, first 2 shown]
.LBB282_848:
	s_endpgm
.LBB282_849:
	ds_read_b32 v9, v7
	s_waitcnt lgkmcnt(0)
	v_add_f32_e32 v6, v6, v9
	s_or_b32 exec_lo, exec_lo, s0
	s_and_saveexec_b32 s0, vcc_lo
	s_cbranch_execz .LBB282_829
.LBB282_850:
	ds_read_b32 v9, v7 offset:64
	s_waitcnt lgkmcnt(0)
	v_add_f32_e32 v5, v5, v9
	s_or_b32 exec_lo, exec_lo, s0
	s_and_saveexec_b32 s0, vcc_lo
	s_cbranch_execz .LBB282_830
.LBB282_851:
	ds_read_b32 v9, v7 offset:128
	s_waitcnt lgkmcnt(0)
	v_add_f32_e32 v4, v4, v9
	s_or_b32 exec_lo, exec_lo, s0
	s_and_saveexec_b32 s0, vcc_lo
	s_cbranch_execz .LBB282_831
.LBB282_852:
	ds_read_b32 v9, v7 offset:192
	s_waitcnt lgkmcnt(0)
	v_add_f32_e32 v3, v3, v9
	s_or_b32 exec_lo, exec_lo, s0
	s_and_saveexec_b32 s0, vcc_lo
	s_cbranch_execz .LBB282_832
.LBB282_853:
	ds_read_b32 v9, v7 offset:256
	s_waitcnt lgkmcnt(0)
	v_add_f32_e32 v2, v2, v9
	s_or_b32 exec_lo, exec_lo, s0
	s_and_saveexec_b32 s0, vcc_lo
	s_cbranch_execnz .LBB282_833
	s_branch .LBB282_834
.LBB282_854:
	ds_read_b32 v0, v7
	s_waitcnt lgkmcnt(0)
	v_add_f32_e32 v6, v6, v0
	s_or_b32 exec_lo, exec_lo, s0
	s_and_saveexec_b32 s0, vcc_lo
	s_cbranch_execz .LBB282_840
.LBB282_855:
	ds_read_b32 v0, v7 offset:64
	s_waitcnt lgkmcnt(0)
	v_add_f32_e32 v5, v5, v0
	s_or_b32 exec_lo, exec_lo, s0
	s_and_saveexec_b32 s0, vcc_lo
	s_cbranch_execz .LBB282_841
.LBB282_856:
	ds_read_b32 v0, v7 offset:128
	s_waitcnt lgkmcnt(0)
	v_add_f32_e32 v4, v4, v0
	s_or_b32 exec_lo, exec_lo, s0
	s_and_saveexec_b32 s0, vcc_lo
	s_cbranch_execz .LBB282_842
.LBB282_857:
	ds_read_b32 v0, v7 offset:192
	s_waitcnt lgkmcnt(0)
	v_add_f32_e32 v3, v3, v0
	s_or_b32 exec_lo, exec_lo, s0
	s_and_saveexec_b32 s0, vcc_lo
	s_cbranch_execz .LBB282_843
.LBB282_858:
	ds_read_b32 v0, v7 offset:256
	s_waitcnt lgkmcnt(0)
	v_add_f32_e32 v2, v2, v0
	s_or_b32 exec_lo, exec_lo, s0
	s_and_saveexec_b32 s0, vcc_lo
	s_cbranch_execnz .LBB282_844
	s_branch .LBB282_845
	.section	.rodata,"a",@progbits
	.p2align	6, 0x0
	.amdhsa_kernel _ZN4vllm25paged_attention_v2_kernelIthLi96ELi16ELi128ELNS_18Fp8KVCacheDataTypeE1ELb1ELi512EEEvPfS2_PT_PKS3_PKT0_S9_ifPKiSB_iPKfiiiSD_SD_iiiii
		.amdhsa_group_segment_fixed_size 224
		.amdhsa_private_segment_fixed_size 0
		.amdhsa_kernarg_size 400
		.amdhsa_user_sgpr_count 6
		.amdhsa_user_sgpr_private_segment_buffer 1
		.amdhsa_user_sgpr_dispatch_ptr 0
		.amdhsa_user_sgpr_queue_ptr 0
		.amdhsa_user_sgpr_kernarg_segment_ptr 1
		.amdhsa_user_sgpr_dispatch_id 0
		.amdhsa_user_sgpr_flat_scratch_init 0
		.amdhsa_user_sgpr_private_segment_size 0
		.amdhsa_wavefront_size32 1
		.amdhsa_uses_dynamic_stack 0
		.amdhsa_system_sgpr_private_segment_wavefront_offset 0
		.amdhsa_system_sgpr_workgroup_id_x 1
		.amdhsa_system_sgpr_workgroup_id_y 1
		.amdhsa_system_sgpr_workgroup_id_z 1
		.amdhsa_system_sgpr_workgroup_info 0
		.amdhsa_system_vgpr_workitem_id 0
		.amdhsa_next_free_vgpr 115
		.amdhsa_next_free_sgpr 52
		.amdhsa_reserve_vcc 1
		.amdhsa_reserve_flat_scratch 0
		.amdhsa_float_round_mode_32 0
		.amdhsa_float_round_mode_16_64 0
		.amdhsa_float_denorm_mode_32 3
		.amdhsa_float_denorm_mode_16_64 3
		.amdhsa_dx10_clamp 1
		.amdhsa_ieee_mode 1
		.amdhsa_fp16_overflow 0
		.amdhsa_workgroup_processor_mode 1
		.amdhsa_memory_ordered 1
		.amdhsa_forward_progress 1
		.amdhsa_shared_vgpr_count 0
		.amdhsa_exception_fp_ieee_invalid_op 0
		.amdhsa_exception_fp_denorm_src 0
		.amdhsa_exception_fp_ieee_div_zero 0
		.amdhsa_exception_fp_ieee_overflow 0
		.amdhsa_exception_fp_ieee_underflow 0
		.amdhsa_exception_fp_ieee_inexact 0
		.amdhsa_exception_int_div_zero 0
	.end_amdhsa_kernel
	.section	.text._ZN4vllm25paged_attention_v2_kernelIthLi96ELi16ELi128ELNS_18Fp8KVCacheDataTypeE1ELb1ELi512EEEvPfS2_PT_PKS3_PKT0_S9_ifPKiSB_iPKfiiiSD_SD_iiiii,"axG",@progbits,_ZN4vllm25paged_attention_v2_kernelIthLi96ELi16ELi128ELNS_18Fp8KVCacheDataTypeE1ELb1ELi512EEEvPfS2_PT_PKS3_PKT0_S9_ifPKiSB_iPKfiiiSD_SD_iiiii,comdat
.Lfunc_end282:
	.size	_ZN4vllm25paged_attention_v2_kernelIthLi96ELi16ELi128ELNS_18Fp8KVCacheDataTypeE1ELb1ELi512EEEvPfS2_PT_PKS3_PKT0_S9_ifPKiSB_iPKfiiiSD_SD_iiiii, .Lfunc_end282-_ZN4vllm25paged_attention_v2_kernelIthLi96ELi16ELi128ELNS_18Fp8KVCacheDataTypeE1ELb1ELi512EEEvPfS2_PT_PKS3_PKT0_S9_ifPKiSB_iPKfiiiSD_SD_iiiii
                                        ; -- End function
	.set _ZN4vllm25paged_attention_v2_kernelIthLi96ELi16ELi128ELNS_18Fp8KVCacheDataTypeE1ELb1ELi512EEEvPfS2_PT_PKS3_PKT0_S9_ifPKiSB_iPKfiiiSD_SD_iiiii.num_vgpr, 115
	.set _ZN4vllm25paged_attention_v2_kernelIthLi96ELi16ELi128ELNS_18Fp8KVCacheDataTypeE1ELb1ELi512EEEvPfS2_PT_PKS3_PKT0_S9_ifPKiSB_iPKfiiiSD_SD_iiiii.num_agpr, 0
	.set _ZN4vllm25paged_attention_v2_kernelIthLi96ELi16ELi128ELNS_18Fp8KVCacheDataTypeE1ELb1ELi512EEEvPfS2_PT_PKS3_PKT0_S9_ifPKiSB_iPKfiiiSD_SD_iiiii.numbered_sgpr, 52
	.set _ZN4vllm25paged_attention_v2_kernelIthLi96ELi16ELi128ELNS_18Fp8KVCacheDataTypeE1ELb1ELi512EEEvPfS2_PT_PKS3_PKT0_S9_ifPKiSB_iPKfiiiSD_SD_iiiii.num_named_barrier, 0
	.set _ZN4vllm25paged_attention_v2_kernelIthLi96ELi16ELi128ELNS_18Fp8KVCacheDataTypeE1ELb1ELi512EEEvPfS2_PT_PKS3_PKT0_S9_ifPKiSB_iPKfiiiSD_SD_iiiii.private_seg_size, 0
	.set _ZN4vllm25paged_attention_v2_kernelIthLi96ELi16ELi128ELNS_18Fp8KVCacheDataTypeE1ELb1ELi512EEEvPfS2_PT_PKS3_PKT0_S9_ifPKiSB_iPKfiiiSD_SD_iiiii.uses_vcc, 1
	.set _ZN4vllm25paged_attention_v2_kernelIthLi96ELi16ELi128ELNS_18Fp8KVCacheDataTypeE1ELb1ELi512EEEvPfS2_PT_PKS3_PKT0_S9_ifPKiSB_iPKfiiiSD_SD_iiiii.uses_flat_scratch, 0
	.set _ZN4vllm25paged_attention_v2_kernelIthLi96ELi16ELi128ELNS_18Fp8KVCacheDataTypeE1ELb1ELi512EEEvPfS2_PT_PKS3_PKT0_S9_ifPKiSB_iPKfiiiSD_SD_iiiii.has_dyn_sized_stack, 0
	.set _ZN4vllm25paged_attention_v2_kernelIthLi96ELi16ELi128ELNS_18Fp8KVCacheDataTypeE1ELb1ELi512EEEvPfS2_PT_PKS3_PKT0_S9_ifPKiSB_iPKfiiiSD_SD_iiiii.has_recursion, 0
	.set _ZN4vllm25paged_attention_v2_kernelIthLi96ELi16ELi128ELNS_18Fp8KVCacheDataTypeE1ELb1ELi512EEEvPfS2_PT_PKS3_PKT0_S9_ifPKiSB_iPKfiiiSD_SD_iiiii.has_indirect_call, 0
	.section	.AMDGPU.csdata,"",@progbits
; Kernel info:
; codeLenInByte = 28524
; TotalNumSgprs: 54
; NumVgprs: 115
; ScratchSize: 0
; MemoryBound: 0
; FloatMode: 240
; IeeeMode: 1
; LDSByteSize: 224 bytes/workgroup (compile time only)
; SGPRBlocks: 0
; VGPRBlocks: 14
; NumSGPRsForWavesPerEU: 54
; NumVGPRsForWavesPerEU: 115
; Occupancy: 8
; WaveLimiterHint : 1
; COMPUTE_PGM_RSRC2:SCRATCH_EN: 0
; COMPUTE_PGM_RSRC2:USER_SGPR: 6
; COMPUTE_PGM_RSRC2:TRAP_HANDLER: 0
; COMPUTE_PGM_RSRC2:TGID_X_EN: 1
; COMPUTE_PGM_RSRC2:TGID_Y_EN: 1
; COMPUTE_PGM_RSRC2:TGID_Z_EN: 1
; COMPUTE_PGM_RSRC2:TIDIG_COMP_CNT: 0
	.section	.text._ZN4vllm25paged_attention_v2_kernelIthLi112ELi16ELi128ELNS_18Fp8KVCacheDataTypeE1ELb1ELi512EEEvPfS2_PT_PKS3_PKT0_S9_ifPKiSB_iPKfiiiSD_SD_iiiii,"axG",@progbits,_ZN4vllm25paged_attention_v2_kernelIthLi112ELi16ELi128ELNS_18Fp8KVCacheDataTypeE1ELb1ELi512EEEvPfS2_PT_PKS3_PKT0_S9_ifPKiSB_iPKfiiiSD_SD_iiiii,comdat
	.protected	_ZN4vllm25paged_attention_v2_kernelIthLi112ELi16ELi128ELNS_18Fp8KVCacheDataTypeE1ELb1ELi512EEEvPfS2_PT_PKS3_PKT0_S9_ifPKiSB_iPKfiiiSD_SD_iiiii ; -- Begin function _ZN4vllm25paged_attention_v2_kernelIthLi112ELi16ELi128ELNS_18Fp8KVCacheDataTypeE1ELb1ELi512EEEvPfS2_PT_PKS3_PKT0_S9_ifPKiSB_iPKfiiiSD_SD_iiiii
	.globl	_ZN4vllm25paged_attention_v2_kernelIthLi112ELi16ELi128ELNS_18Fp8KVCacheDataTypeE1ELb1ELi512EEEvPfS2_PT_PKS3_PKT0_S9_ifPKiSB_iPKfiiiSD_SD_iiiii
	.p2align	8
	.type	_ZN4vllm25paged_attention_v2_kernelIthLi112ELi16ELi128ELNS_18Fp8KVCacheDataTypeE1ELb1ELi512EEEvPfS2_PT_PKS3_PKT0_S9_ifPKiSB_iPKfiiiSD_SD_iiiii,@function
_ZN4vllm25paged_attention_v2_kernelIthLi112ELi16ELi128ELNS_18Fp8KVCacheDataTypeE1ELb1ELi512EEEvPfS2_PT_PKS3_PKT0_S9_ifPKiSB_iPKfiiiSD_SD_iiiii: ; @_ZN4vllm25paged_attention_v2_kernelIthLi112ELi16ELi128ELNS_18Fp8KVCacheDataTypeE1ELb1ELi512EEEvPfS2_PT_PKS3_PKT0_S9_ifPKiSB_iPKfiiiSD_SD_iiiii
; %bb.0:
	s_load_dwordx2 s[0:1], s[4:5], 0x40
	s_mov_b32 s30, s7
	s_ashr_i32 s31, s7, 31
	s_lshl_b64 s[2:3], s[30:31], 2
	s_waitcnt lgkmcnt(0)
	s_add_u32 s0, s0, s2
	s_addc_u32 s1, s1, s3
	s_lshl_b32 s42, s8, 9
	s_load_dword s31, s[0:1], 0x0
	s_waitcnt lgkmcnt(0)
	s_cmp_ge_i32 s42, s31
	s_cbranch_scc1 .LBB283_980
; %bb.1:
	s_clause 0x1
	s_load_dword s9, s[4:5], 0x90
	s_load_dwordx2 s[40:41], s[4:5], 0x30
	s_mov_b32 s43, 0
	s_waitcnt lgkmcnt(0)
	s_abs_i32 s3, s9
	s_abs_i32 s0, s40
	v_cvt_f32_u32_e32 v1, s0
	s_sub_i32 s2, 0, s0
	v_rcp_iflag_f32_e32 v1, v1
	v_mul_f32_e32 v1, 0x4f7ffffe, v1
	v_cvt_u32_f32_e32 v1, v1
	v_readfirstlane_b32 s1, v1
	s_mul_i32 s2, s2, s1
	s_mul_hi_u32 s2, s1, s2
	s_add_i32 s1, s1, s2
	s_xor_b32 s2, s9, s40
	s_mul_hi_u32 s1, s3, s1
	s_ashr_i32 s2, s2, 31
	s_mul_i32 s7, s1, s0
	s_sub_i32 s3, s3, s7
	s_add_i32 s7, s1, 1
	s_sub_i32 s10, s3, s0
	s_cmp_ge_u32 s3, s0
	s_cselect_b32 s1, s7, s1
	s_cselect_b32 s3, s10, s3
	s_add_i32 s7, s1, 1
	s_cmp_ge_u32 s3, s0
	s_cselect_b32 s0, s7, s1
	s_xor_b32 s0, s0, s2
	s_sub_i32 s10, s0, s2
	s_load_dwordx2 s[0:1], s[4:5], 0x50
	s_abs_i32 s2, s10
	v_cvt_f32_u32_e32 v1, s2
	s_sub_i32 s3, 0, s2
	v_rcp_iflag_f32_e32 v1, v1
	v_mul_f32_e32 v1, 0x4f7ffffe, v1
	v_cvt_u32_f32_e32 v1, v1
	v_readfirstlane_b32 s7, v1
	s_mul_i32 s3, s3, s7
	s_mul_hi_u32 s11, s7, s3
	s_abs_i32 s3, s6
	s_add_i32 s7, s7, s11
	s_waitcnt lgkmcnt(0)
	s_cmp_eq_u64 s[0:1], 0
	s_mul_hi_u32 s12, s3, s7
	s_cbranch_scc1 .LBB283_3
; %bb.2:
	s_ashr_i32 s7, s6, 31
	s_lshl_b64 s[14:15], s[6:7], 2
	s_add_u32 s0, s0, s14
	s_addc_u32 s1, s1, s15
	s_load_dword s43, s[0:1], 0x0
.LBB283_3:
	s_load_dwordx4 s[16:19], s[4:5], 0x58
	v_lshrrev_b32_e32 v12, 1, v0
	v_and_b32_e32 v13, 1, v0
	v_lshlrev_b32_e32 v16, 3, v0
	s_ashr_i32 s0, s6, 31
	s_ashr_i32 s1, s10, 31
	s_mul_i32 s10, s6, 0x70
	s_mov_b32 s7, exec_lo
	v_cmpx_gt_u32_e32 28, v0
	s_cbranch_execz .LBB283_5
; %bb.4:
	s_load_dwordx2 s[14:15], s[4:5], 0x18
	s_waitcnt lgkmcnt(0)
	s_mul_i32 s20, s16, s30
	v_lshlrev_b32_e32 v3, 3, v12
	s_ashr_i32 s21, s20, 31
	s_lshl_b64 s[20:21], s[20:21], 1
	v_mad_u32_u24 v3, 0x70, v13, v3
	s_add_u32 s13, s14, s20
	s_addc_u32 s16, s15, s21
	s_ashr_i32 s11, s10, 31
	s_lshl_b64 s[14:15], s[10:11], 1
	s_add_u32 s14, s13, s14
	s_addc_u32 s15, s16, s15
	global_load_dwordx2 v[1:2], v16, s[14:15]
	s_waitcnt vmcnt(0)
	ds_write_b64 v3, v[1:2]
.LBB283_5:
	s_or_b32 exec_lo, exec_lo, s7
	s_load_dwordx4 s[20:23], s[4:5], 0x78
	s_mul_i32 s7, s12, s2
	s_xor_b32 s0, s0, s1
	s_sub_i32 s1, s3, s7
	s_add_i32 s3, s12, 1
	s_sub_i32 s7, s1, s2
	s_cmp_ge_u32 s1, s2
                                        ; implicit-def: $sgpr19
	s_cselect_b32 s3, s3, s12
	s_cselect_b32 s1, s7, s1
	s_add_i32 s7, s3, 1
	s_cmp_ge_u32 s1, s2
	s_mov_b32 s12, -1
	s_cselect_b32 s1, s7, s3
	s_load_dword s3, s[4:5], 0x88
	s_xor_b32 s1, s1, s0
	s_add_i32 s7, s31, -1
	s_sub_i32 s1, s1, s0
	s_abs_i32 s2, s7
	s_waitcnt lgkmcnt(0)
	s_abs_i32 s11, s23
	s_barrier
	v_cvt_f32_u32_e32 v1, s11
	s_sub_i32 s0, 0, s11
	buffer_gl0_inv
	v_rcp_iflag_f32_e32 v1, v1
	v_mul_f32_e32 v1, 0x4f7ffffe, v1
	v_cvt_u32_f32_e32 v1, v1
	v_readfirstlane_b32 s16, v1
	s_mul_i32 s0, s0, s16
	s_mul_hi_u32 s0, s16, s0
	s_add_i32 s16, s16, s0
	s_cmp_lt_i32 s3, 0
	s_mul_hi_u32 s0, s2, s16
	s_cbranch_scc0 .LBB283_7
; %bb.6:
	s_mul_i32 s12, s20, s40
	s_add_i32 s12, s1, s12
	s_mul_i32 s12, s12, s3
	s_sub_i32 s19, 1, s12
	s_mov_b32 s12, 0
.LBB283_7:
	s_load_dwordx2 s[34:35], s[4:5], 0x38
	s_ashr_i32 s33, s7, 31
	s_andn2_b32 vcc_lo, exec_lo, s12
	s_ashr_i32 s23, s23, 31
	s_cbranch_vccnz .LBB283_9
; %bb.8:
	s_mul_i32 s7, s9, s20
	s_add_i32 s7, s7, s6
	s_mul_i32 s3, s7, s3
	s_add_i32 s19, s3, 1
.LBB283_9:
	s_clause 0x5
	s_load_dword s3, s[4:5], 0x48
	s_load_dwordx2 s[38:39], s[4:5], 0x28
	s_load_dwordx4 s[24:27], s[4:5], 0x0
	s_load_dwordx2 s[28:29], s[4:5], 0x10
	s_load_dword s7, s[4:5], 0x98
	s_load_dwordx4 s[12:15], s[4:5], 0x68
	s_mul_i32 s20, s0, s11
	s_xor_b32 s40, s33, s23
	s_sub_i32 s2, s2, s20
	s_add_i32 s33, s0, 1
	v_lshrrev_b32_e32 v14, 5, v0
	v_mov_b32_e32 v18, 0xff7fffff
	v_mbcnt_lo_u32_b32 v17, -1, 0
	s_mul_i32 s18, s1, s18
	v_lshl_add_u32 v15, v14, 4, s42
	s_waitcnt lgkmcnt(0)
	s_mul_i32 s36, s3, s30
	s_sub_i32 s3, s2, s11
	s_ashr_i32 s37, s36, 31
	s_cmp_ge_u32 s2, s11
	s_cselect_b32 s0, s33, s0
	s_cselect_b32 s2, s3, s2
	s_add_i32 s3, s0, 1
	s_cmp_ge_u32 s2, s11
	s_cselect_b32 s0, s3, s0
	s_add_i32 s2, s31, 15
	s_lshl_b32 s44, s8, 5
	s_ashr_i32 s3, s2, 31
	v_or_b32_e32 v1, s44, v14
	s_lshr_b32 s3, s3, 28
	s_add_i32 s2, s2, s3
	s_add_i32 s3, s44, 32
	s_ashr_i32 s33, s2, 4
	s_xor_b32 s2, s0, s40
	s_min_i32 s20, s3, s33
	v_ashrrev_i32_e32 v2, 31, v1
	v_cmp_gt_i32_e64 s0, s20, v1
	s_sub_i32 s40, s2, s40
	s_and_saveexec_b32 s45, s0
	s_cbranch_execz .LBB283_469
; %bb.10:
	s_load_dwordx2 s[2:3], s[4:5], 0x20
	s_sub_i32 s4, s40, s21
	s_ashr_i32 s1, s18, 31
	v_bfe_u32 v19, v0, 1, 4
	v_lshlrev_b64 v[5:6], 2, v[1:2]
	v_lshlrev_b32_e32 v7, 2, v13
	v_mov_b32_e32 v4, 0
	v_mul_u32_u24_e32 v20, 0x70, v13
	v_lshlrev_b32_e32 v8, 2, v19
	v_subrev_nc_u32_e32 v9, s31, v19
	v_lshlrev_b32_e32 v10, 4, v19
	v_lshl_add_u32 v21, v14, 4, s42
	v_mov_b32_e32 v22, 0xff7fffff
	v_lshl_or_b32 v8, v14, 6, v8
	v_add_nc_u32_e32 v27, 1, v9
	v_mov_b32_e32 v23, 0x80
	v_mov_b32_e32 v24, 0x7f
	;; [unrolled: 1-line block ×3, first 2 shown]
	v_add_nc_u32_e32 v28, 0x100, v8
	v_mov_b32_e32 v26, 8
	s_waitcnt lgkmcnt(0)
	s_add_u32 s46, s2, s18
	s_addc_u32 s47, s3, s1
	s_abs_i32 s5, s22
	v_add_co_u32 v9, s46, s46, v10
	v_cvt_f32_u32_e32 v3, s5
	s_sub_i32 s2, 0, s5
	v_add_co_ci_u32_e64 v10, null, s47, 0, s46
	v_cmp_neq_f32_e64 s1, s43, 0
	v_rcp_iflag_f32_e32 v3, v3
	v_mov_b32_e32 v18, 0xff7fffff
	v_mov_b32_e32 v30, v1
	s_mov_b32 s46, 0
	s_mov_b32 s47, s17
	v_cmp_eq_u32_e32 vcc_lo, 0, v13
	v_mul_f32_e32 v3, 0x4f7ffffe, v3
	v_cvt_u32_f32_e32 v3, v3
	v_mul_lo_u32 v8, s2, v3
	s_lshl_b64 s[2:3], s[36:37], 2
	s_add_u32 s2, s34, s2
	s_addc_u32 s3, s35, s3
	v_add_co_u32 v5, s2, s2, v5
	v_add_co_ci_u32_e64 v6, null, s3, v6, s2
	v_mul_hi_u32 v11, v3, v8
	v_add_co_u32 v7, s2, v9, v7
	v_add_co_ci_u32_e64 v8, null, 0, v10, s2
	v_add_nc_u32_e32 v29, v3, v11
	s_branch .LBB283_13
.LBB283_11:                             ;   in Loop: Header=BB283_13 Depth=1
	s_or_b32 exec_lo, exec_lo, s48
.LBB283_12:                             ;   in Loop: Header=BB283_13 Depth=1
	s_or_b32 exec_lo, exec_lo, s3
	v_add_nc_u32_e32 v30, 4, v30
	v_add_co_u32 v5, s3, v5, 16
	v_add_co_ci_u32_e64 v6, null, 0, v6, s3
	v_cmp_le_i32_e64 s2, s20, v30
	v_add_nc_u32_e32 v21, 64, v21
	v_add_nc_u32_e32 v28, 0x100, v28
	s_or_b32 s46, s2, s46
	s_andn2_b32 exec_lo, exec_lo, s46
	s_cbranch_execz .LBB283_468
.LBB283_13:                             ; =>This Inner Loop Header: Depth=1
	v_sub_nc_u32_e32 v3, 0, v21
	v_max_i32_e32 v3, v21, v3
	s_waitcnt lgkmcnt(0)
	v_mul_hi_u32 v9, v3, s16
	v_mul_lo_u32 v10, v9, s11
	v_sub_nc_u32_e32 v3, v3, v10
	v_add_nc_u32_e32 v10, 1, v9
	v_subrev_nc_u32_e32 v11, s11, v3
	v_cmp_le_u32_e64 s2, s11, v3
	v_cndmask_b32_e64 v9, v9, v10, s2
	v_cndmask_b32_e64 v3, v3, v11, s2
	v_ashrrev_i32_e32 v10, 31, v21
	v_add_nc_u32_e32 v11, 1, v9
	v_cmp_le_u32_e64 s2, s11, v3
	v_xor_b32_e32 v10, s23, v10
	v_cndmask_b32_e64 v3, v9, v11, s2
	v_xor_b32_e32 v3, v3, v10
	v_sub_nc_u32_e32 v3, v3, v10
	v_add_nc_u32_e32 v9, s19, v3
	v_cmp_ge_i32_e64 s3, s4, v3
	v_sub_nc_u32_e32 v10, 0, v9
	v_max_i32_e32 v10, v9, v10
	v_ashrrev_i32_e32 v9, 31, v9
	v_mul_hi_u32 v11, v10, v29
	v_mul_lo_u32 v11, v11, s5
	v_sub_nc_u32_e32 v10, v10, v11
	v_subrev_nc_u32_e32 v11, s5, v10
	v_cmp_le_u32_e64 s2, s5, v10
	v_cndmask_b32_e64 v10, v10, v11, s2
	v_subrev_nc_u32_e32 v11, s5, v10
	v_cmp_le_u32_e64 s2, s5, v10
	v_cndmask_b32_e64 v10, v10, v11, s2
	v_xor_b32_e32 v10, v10, v9
	v_sub_nc_u32_e32 v9, v10, v9
	v_cmp_ne_u32_e64 s2, 0, v9
	s_and_b32 s2, s2, s3
	s_and_saveexec_b32 s3, s2
	s_xor_b32 s2, exec_lo, s3
	s_cbranch_execz .LBB283_17
; %bb.14:                               ;   in Loop: Header=BB283_13 Depth=1
	s_and_saveexec_b32 s3, vcc_lo
; %bb.15:                               ;   in Loop: Header=BB283_13 Depth=1
	ds_write_b32 v28, v22
; %bb.16:                               ;   in Loop: Header=BB283_13 Depth=1
	s_or_b32 exec_lo, exec_lo, s3
.LBB283_17:                             ;   in Loop: Header=BB283_13 Depth=1
	s_andn2_saveexec_b32 s3, s2
	s_cbranch_execz .LBB283_12
; %bb.18:                               ;   in Loop: Header=BB283_13 Depth=1
	global_load_dword v3, v[5:6], off
	v_mov_b32_e32 v32, 0
	v_mov_b32_e32 v33, 0
	global_load_dword v31, v32, s[12:13]
	s_waitcnt vmcnt(1)
	v_mad_i64_i32 v[9:10], null, v3, s47, v[7:8]
	global_load_dword v11, v[9:10], off
	s_waitcnt vmcnt(0)
	v_cmp_ne_u16_sdwa s2, v11, v4 src0_sel:BYTE_0 src1_sel:DWORD
	s_and_saveexec_b32 s48, s2
	s_cbranch_execz .LBB283_26
; %bb.19:                               ;   in Loop: Header=BB283_13 Depth=1
	v_cmp_ne_u16_sdwa s2, v11, v23 src0_sel:BYTE_0 src1_sel:DWORD
	v_mov_b32_e32 v33, 0x8000
	s_and_saveexec_b32 s49, s2
	s_cbranch_execz .LBB283_25
; %bb.20:                               ;   in Loop: Header=BB283_13 Depth=1
	v_and_b32_e32 v34, 0x7f, v11
	v_mov_b32_e32 v33, 0x7c01
	s_mov_b32 s50, exec_lo
	v_cmpx_ne_u32_e32 0x7f, v34
	s_cbranch_execz .LBB283_24
; %bb.21:                               ;   in Loop: Header=BB283_13 Depth=1
	v_and_b32_e32 v3, 7, v11
	v_lshrrev_b32_e32 v33, 3, v34
	s_mov_b32 s51, exec_lo
	v_cmpx_gt_u32_e32 8, v34
; %bb.22:                               ;   in Loop: Header=BB283_13 Depth=1
	v_ffbh_u32_e32 v3, v3
	v_min_u32_e32 v3, 32, v3
	v_subrev_nc_u32_e32 v33, 28, v3
	v_lshlrev_b64 v[34:35], v33, v[11:12]
	v_sub_nc_u32_e32 v33, 29, v3
	v_and_b32_e32 v3, 7, v34
; %bb.23:                               ;   in Loop: Header=BB283_13 Depth=1
	s_or_b32 exec_lo, exec_lo, s51
	v_lshlrev_b32_e32 v34, 8, v11
	v_lshl_add_u32 v33, v33, 10, 0x2000
	v_lshlrev_b32_e32 v3, 7, v3
	v_and_b32_e32 v34, 0x8000, v34
	v_and_b32_e32 v33, 0xfc00, v33
	v_or3_b32 v33, v34, v33, v3
.LBB283_24:                             ;   in Loop: Header=BB283_13 Depth=1
	s_or_b32 exec_lo, exec_lo, s50
.LBB283_25:                             ;   in Loop: Header=BB283_13 Depth=1
	s_or_b32 exec_lo, exec_lo, s49
.LBB283_26:                             ;   in Loop: Header=BB283_13 Depth=1
	s_or_b32 exec_lo, exec_lo, s48
	v_lshrrev_b16 v3, 8, v11
	s_mov_b32 s48, exec_lo
	v_cmpx_ne_u16_e32 0, v3
	s_cbranch_execz .LBB283_34
; %bb.27:                               ;   in Loop: Header=BB283_13 Depth=1
	v_bfrev_b32_e32 v32, 1
	s_mov_b32 s49, exec_lo
	v_cmpx_ne_u16_e32 0x80, v3
	s_cbranch_execz .LBB283_33
; %bb.28:                               ;   in Loop: Header=BB283_13 Depth=1
	v_and_b32_sdwa v35, v3, v24 dst_sel:DWORD dst_unused:UNUSED_PAD src0_sel:WORD_0 src1_sel:DWORD
	v_mov_b32_e32 v32, 0x7c010000
	s_mov_b32 s50, exec_lo
	v_cmpx_ne_u32_e32 0x7f, v35
	s_cbranch_execz .LBB283_32
; %bb.29:                               ;   in Loop: Header=BB283_13 Depth=1
	v_and_b32_sdwa v32, v3, v25 dst_sel:DWORD dst_unused:UNUSED_PAD src0_sel:WORD_0 src1_sel:DWORD
	v_lshrrev_b32_e32 v34, 3, v35
	s_mov_b32 s51, exec_lo
	v_cmpx_gt_u32_e32 8, v35
; %bb.30:                               ;   in Loop: Header=BB283_13 Depth=1
	v_ffbh_u32_e32 v32, v32
	v_min_u32_e32 v32, 32, v32
	v_subrev_nc_u32_e32 v34, 28, v32
	v_lshlrev_b64 v[35:36], v34, v[3:4]
	v_sub_nc_u32_e32 v34, 29, v32
	v_and_b32_e32 v32, 7, v35
; %bb.31:                               ;   in Loop: Header=BB283_13 Depth=1
	s_or_b32 exec_lo, exec_lo, s51
	v_lshlrev_b32_sdwa v3, v26, v3 dst_sel:DWORD dst_unused:UNUSED_PAD src0_sel:DWORD src1_sel:WORD_0
	v_lshl_add_u32 v34, v34, 10, 0x2000
	v_lshlrev_b32_e32 v32, 23, v32
	v_and_or_b32 v3, 0x8000, v3, v34
	v_lshl_or_b32 v32, v3, 16, v32
.LBB283_32:                             ;   in Loop: Header=BB283_13 Depth=1
	s_or_b32 exec_lo, exec_lo, s50
.LBB283_33:                             ;   in Loop: Header=BB283_13 Depth=1
	s_or_b32 exec_lo, exec_lo, s49
.LBB283_34:                             ;   in Loop: Header=BB283_13 Depth=1
	s_or_b32 exec_lo, exec_lo, s48
	v_lshrrev_b32_e32 v3, 16, v11
	v_mov_b32_e32 v34, 0
	v_mov_b32_e32 v35, 0
	v_cmp_ne_u16_sdwa s2, v3, v4 src0_sel:BYTE_0 src1_sel:DWORD
	s_and_saveexec_b32 s48, s2
	s_cbranch_execz .LBB283_42
; %bb.35:                               ;   in Loop: Header=BB283_13 Depth=1
	v_cmp_ne_u16_sdwa s2, v3, v23 src0_sel:BYTE_0 src1_sel:DWORD
	v_mov_b32_e32 v35, 0x8000
	s_and_saveexec_b32 s49, s2
	s_cbranch_execz .LBB283_41
; %bb.36:                               ;   in Loop: Header=BB283_13 Depth=1
	v_bfe_u32 v37, v11, 16, 7
	v_mov_b32_e32 v35, 0x7c01
	s_mov_b32 s50, exec_lo
	v_cmpx_ne_u32_e32 0x7f, v37
	s_cbranch_execz .LBB283_40
; %bb.37:                               ;   in Loop: Header=BB283_13 Depth=1
	v_and_b32_e32 v35, 7, v3
	v_lshrrev_b32_e32 v36, 3, v37
	s_mov_b32 s51, exec_lo
	v_cmpx_gt_u32_e32 8, v37
; %bb.38:                               ;   in Loop: Header=BB283_13 Depth=1
	v_ffbh_u32_e32 v35, v35
	v_min_u32_e32 v37, 32, v35
	v_subrev_nc_u32_e32 v35, 28, v37
	v_lshlrev_b64 v[35:36], v35, v[3:4]
	v_sub_nc_u32_e32 v36, 29, v37
	v_and_b32_e32 v35, 7, v35
; %bb.39:                               ;   in Loop: Header=BB283_13 Depth=1
	s_or_b32 exec_lo, exec_lo, s51
	v_lshlrev_b32_e32 v3, 8, v3
	v_lshl_add_u32 v36, v36, 10, 0x2000
	v_lshlrev_b32_e32 v35, 7, v35
	v_and_b32_e32 v3, 0x8000, v3
	v_and_b32_e32 v36, 0xfc00, v36
	v_or3_b32 v35, v3, v36, v35
.LBB283_40:                             ;   in Loop: Header=BB283_13 Depth=1
	s_or_b32 exec_lo, exec_lo, s50
.LBB283_41:                             ;   in Loop: Header=BB283_13 Depth=1
	s_or_b32 exec_lo, exec_lo, s49
.LBB283_42:                             ;   in Loop: Header=BB283_13 Depth=1
	s_or_b32 exec_lo, exec_lo, s48
	s_mov_b32 s48, exec_lo
	v_cmpx_lt_u32_e32 0xffffff, v11
	s_cbranch_execz .LBB283_50
; %bb.43:                               ;   in Loop: Header=BB283_13 Depth=1
	v_lshrrev_b32_e32 v3, 24, v11
	v_bfrev_b32_e32 v34, 1
	s_mov_b32 s49, exec_lo
	v_cmpx_ne_u32_e32 0x80, v3
	s_cbranch_execz .LBB283_49
; %bb.44:                               ;   in Loop: Header=BB283_13 Depth=1
	v_and_b32_e32 v36, 0x7f, v3
	v_mov_b32_e32 v34, 0x7c010000
	s_mov_b32 s50, exec_lo
	v_cmpx_ne_u32_e32 0x7f, v36
	s_cbranch_execz .LBB283_48
; %bb.45:                               ;   in Loop: Header=BB283_13 Depth=1
	v_and_b32_e32 v11, 7, v3
	v_lshrrev_b32_e32 v34, 3, v36
	s_mov_b32 s51, exec_lo
	v_cmpx_gt_u32_e32 8, v36
; %bb.46:                               ;   in Loop: Header=BB283_13 Depth=1
	v_ffbh_u32_e32 v11, v11
	v_min_u32_e32 v11, 32, v11
	v_subrev_nc_u32_e32 v34, 28, v11
	v_lshlrev_b64 v[36:37], v34, v[3:4]
	v_sub_nc_u32_e32 v34, 29, v11
	v_and_b32_e32 v11, 7, v36
; %bb.47:                               ;   in Loop: Header=BB283_13 Depth=1
	s_or_b32 exec_lo, exec_lo, s51
	v_lshlrev_b32_e32 v3, 8, v3
	v_lshl_add_u32 v34, v34, 10, 0x2000
	v_lshlrev_b32_e32 v11, 23, v11
	v_and_or_b32 v3, 0x8000, v3, v34
	v_lshl_or_b32 v34, v3, 16, v11
.LBB283_48:                             ;   in Loop: Header=BB283_13 Depth=1
	s_or_b32 exec_lo, exec_lo, s50
.LBB283_49:                             ;   in Loop: Header=BB283_13 Depth=1
	s_or_b32 exec_lo, exec_lo, s49
.LBB283_50:                             ;   in Loop: Header=BB283_13 Depth=1
	s_or_b32 exec_lo, exec_lo, s48
	global_load_dword v11, v[9:10], off offset:8
	v_mov_b32_e32 v36, 0
	v_mov_b32_e32 v37, 0
	s_waitcnt vmcnt(0)
	v_cmp_ne_u16_sdwa s2, v11, v4 src0_sel:BYTE_0 src1_sel:DWORD
	s_and_saveexec_b32 s48, s2
	s_cbranch_execz .LBB283_58
; %bb.51:                               ;   in Loop: Header=BB283_13 Depth=1
	v_cmp_ne_u16_sdwa s2, v11, v23 src0_sel:BYTE_0 src1_sel:DWORD
	v_mov_b32_e32 v37, 0x8000
	s_and_saveexec_b32 s49, s2
	s_cbranch_execz .LBB283_57
; %bb.52:                               ;   in Loop: Header=BB283_13 Depth=1
	v_and_b32_e32 v38, 0x7f, v11
	v_mov_b32_e32 v37, 0x7c01
	s_mov_b32 s50, exec_lo
	v_cmpx_ne_u32_e32 0x7f, v38
	s_cbranch_execz .LBB283_56
; %bb.53:                               ;   in Loop: Header=BB283_13 Depth=1
	v_and_b32_e32 v3, 7, v11
	v_lshrrev_b32_e32 v37, 3, v38
	s_mov_b32 s51, exec_lo
	v_cmpx_gt_u32_e32 8, v38
; %bb.54:                               ;   in Loop: Header=BB283_13 Depth=1
	v_ffbh_u32_e32 v3, v3
	v_min_u32_e32 v3, 32, v3
	v_subrev_nc_u32_e32 v37, 28, v3
	v_lshlrev_b64 v[38:39], v37, v[11:12]
	v_sub_nc_u32_e32 v37, 29, v3
	v_and_b32_e32 v3, 7, v38
; %bb.55:                               ;   in Loop: Header=BB283_13 Depth=1
	s_or_b32 exec_lo, exec_lo, s51
	v_lshlrev_b32_e32 v38, 8, v11
	v_lshl_add_u32 v37, v37, 10, 0x2000
	v_lshlrev_b32_e32 v3, 7, v3
	v_and_b32_e32 v38, 0x8000, v38
	v_and_b32_e32 v37, 0xfc00, v37
	v_or3_b32 v37, v38, v37, v3
.LBB283_56:                             ;   in Loop: Header=BB283_13 Depth=1
	s_or_b32 exec_lo, exec_lo, s50
.LBB283_57:                             ;   in Loop: Header=BB283_13 Depth=1
	s_or_b32 exec_lo, exec_lo, s49
.LBB283_58:                             ;   in Loop: Header=BB283_13 Depth=1
	s_or_b32 exec_lo, exec_lo, s48
	v_lshrrev_b16 v3, 8, v11
	s_mov_b32 s48, exec_lo
	v_cmpx_ne_u16_e32 0, v3
	s_cbranch_execz .LBB283_66
; %bb.59:                               ;   in Loop: Header=BB283_13 Depth=1
	v_bfrev_b32_e32 v36, 1
	s_mov_b32 s49, exec_lo
	v_cmpx_ne_u16_e32 0x80, v3
	s_cbranch_execz .LBB283_65
; %bb.60:                               ;   in Loop: Header=BB283_13 Depth=1
	v_and_b32_sdwa v39, v3, v24 dst_sel:DWORD dst_unused:UNUSED_PAD src0_sel:WORD_0 src1_sel:DWORD
	v_mov_b32_e32 v36, 0x7c010000
	s_mov_b32 s50, exec_lo
	v_cmpx_ne_u32_e32 0x7f, v39
	s_cbranch_execz .LBB283_64
; %bb.61:                               ;   in Loop: Header=BB283_13 Depth=1
	v_and_b32_sdwa v36, v3, v25 dst_sel:DWORD dst_unused:UNUSED_PAD src0_sel:WORD_0 src1_sel:DWORD
	v_lshrrev_b32_e32 v38, 3, v39
	s_mov_b32 s51, exec_lo
	v_cmpx_gt_u32_e32 8, v39
; %bb.62:                               ;   in Loop: Header=BB283_13 Depth=1
	v_ffbh_u32_e32 v36, v36
	v_min_u32_e32 v36, 32, v36
	v_subrev_nc_u32_e32 v38, 28, v36
	v_lshlrev_b64 v[39:40], v38, v[3:4]
	v_sub_nc_u32_e32 v38, 29, v36
	v_and_b32_e32 v36, 7, v39
; %bb.63:                               ;   in Loop: Header=BB283_13 Depth=1
	s_or_b32 exec_lo, exec_lo, s51
	v_lshlrev_b32_sdwa v3, v26, v3 dst_sel:DWORD dst_unused:UNUSED_PAD src0_sel:DWORD src1_sel:WORD_0
	v_lshl_add_u32 v38, v38, 10, 0x2000
	v_lshlrev_b32_e32 v36, 23, v36
	v_and_or_b32 v3, 0x8000, v3, v38
	v_lshl_or_b32 v36, v3, 16, v36
.LBB283_64:                             ;   in Loop: Header=BB283_13 Depth=1
	s_or_b32 exec_lo, exec_lo, s50
.LBB283_65:                             ;   in Loop: Header=BB283_13 Depth=1
	s_or_b32 exec_lo, exec_lo, s49
.LBB283_66:                             ;   in Loop: Header=BB283_13 Depth=1
	s_or_b32 exec_lo, exec_lo, s48
	v_lshrrev_b32_e32 v3, 16, v11
	v_mov_b32_e32 v38, 0
	v_mov_b32_e32 v39, 0
	v_cmp_ne_u16_sdwa s2, v3, v4 src0_sel:BYTE_0 src1_sel:DWORD
	s_and_saveexec_b32 s48, s2
	s_cbranch_execz .LBB283_74
; %bb.67:                               ;   in Loop: Header=BB283_13 Depth=1
	v_cmp_ne_u16_sdwa s2, v3, v23 src0_sel:BYTE_0 src1_sel:DWORD
	v_mov_b32_e32 v39, 0x8000
	s_and_saveexec_b32 s49, s2
	s_cbranch_execz .LBB283_73
; %bb.68:                               ;   in Loop: Header=BB283_13 Depth=1
	v_bfe_u32 v41, v11, 16, 7
	v_mov_b32_e32 v39, 0x7c01
	s_mov_b32 s50, exec_lo
	v_cmpx_ne_u32_e32 0x7f, v41
	s_cbranch_execz .LBB283_72
; %bb.69:                               ;   in Loop: Header=BB283_13 Depth=1
	v_and_b32_e32 v39, 7, v3
	v_lshrrev_b32_e32 v40, 3, v41
	s_mov_b32 s51, exec_lo
	v_cmpx_gt_u32_e32 8, v41
; %bb.70:                               ;   in Loop: Header=BB283_13 Depth=1
	v_ffbh_u32_e32 v39, v39
	v_min_u32_e32 v41, 32, v39
	v_subrev_nc_u32_e32 v39, 28, v41
	v_lshlrev_b64 v[39:40], v39, v[3:4]
	v_sub_nc_u32_e32 v40, 29, v41
	v_and_b32_e32 v39, 7, v39
; %bb.71:                               ;   in Loop: Header=BB283_13 Depth=1
	s_or_b32 exec_lo, exec_lo, s51
	v_lshlrev_b32_e32 v3, 8, v3
	v_lshl_add_u32 v40, v40, 10, 0x2000
	v_lshlrev_b32_e32 v39, 7, v39
	v_and_b32_e32 v3, 0x8000, v3
	v_and_b32_e32 v40, 0xfc00, v40
	v_or3_b32 v39, v3, v40, v39
.LBB283_72:                             ;   in Loop: Header=BB283_13 Depth=1
	s_or_b32 exec_lo, exec_lo, s50
.LBB283_73:                             ;   in Loop: Header=BB283_13 Depth=1
	s_or_b32 exec_lo, exec_lo, s49
.LBB283_74:                             ;   in Loop: Header=BB283_13 Depth=1
	s_or_b32 exec_lo, exec_lo, s48
	s_mov_b32 s48, exec_lo
	v_cmpx_lt_u32_e32 0xffffff, v11
	s_cbranch_execz .LBB283_82
; %bb.75:                               ;   in Loop: Header=BB283_13 Depth=1
	v_lshrrev_b32_e32 v3, 24, v11
	v_bfrev_b32_e32 v38, 1
	s_mov_b32 s49, exec_lo
	v_cmpx_ne_u32_e32 0x80, v3
	s_cbranch_execz .LBB283_81
; %bb.76:                               ;   in Loop: Header=BB283_13 Depth=1
	v_and_b32_e32 v40, 0x7f, v3
	v_mov_b32_e32 v38, 0x7c010000
	s_mov_b32 s50, exec_lo
	v_cmpx_ne_u32_e32 0x7f, v40
	s_cbranch_execz .LBB283_80
; %bb.77:                               ;   in Loop: Header=BB283_13 Depth=1
	v_and_b32_e32 v11, 7, v3
	v_lshrrev_b32_e32 v38, 3, v40
	s_mov_b32 s51, exec_lo
	v_cmpx_gt_u32_e32 8, v40
; %bb.78:                               ;   in Loop: Header=BB283_13 Depth=1
	v_ffbh_u32_e32 v11, v11
	v_min_u32_e32 v11, 32, v11
	v_subrev_nc_u32_e32 v38, 28, v11
	v_lshlrev_b64 v[40:41], v38, v[3:4]
	v_sub_nc_u32_e32 v38, 29, v11
	v_and_b32_e32 v11, 7, v40
; %bb.79:                               ;   in Loop: Header=BB283_13 Depth=1
	s_or_b32 exec_lo, exec_lo, s51
	v_lshlrev_b32_e32 v3, 8, v3
	v_lshl_add_u32 v38, v38, 10, 0x2000
	v_lshlrev_b32_e32 v11, 23, v11
	v_and_or_b32 v3, 0x8000, v3, v38
	v_lshl_or_b32 v38, v3, 16, v11
.LBB283_80:                             ;   in Loop: Header=BB283_13 Depth=1
	s_or_b32 exec_lo, exec_lo, s50
.LBB283_81:                             ;   in Loop: Header=BB283_13 Depth=1
	s_or_b32 exec_lo, exec_lo, s49
.LBB283_82:                             ;   in Loop: Header=BB283_13 Depth=1
	s_or_b32 exec_lo, exec_lo, s48
	global_load_dword v11, v[9:10], off offset:256
	v_mov_b32_e32 v40, 0
	v_mov_b32_e32 v41, 0
	s_waitcnt vmcnt(0)
	v_cmp_ne_u16_sdwa s2, v11, v4 src0_sel:BYTE_0 src1_sel:DWORD
	s_and_saveexec_b32 s48, s2
	s_cbranch_execz .LBB283_90
; %bb.83:                               ;   in Loop: Header=BB283_13 Depth=1
	v_cmp_ne_u16_sdwa s2, v11, v23 src0_sel:BYTE_0 src1_sel:DWORD
	v_mov_b32_e32 v41, 0x8000
	s_and_saveexec_b32 s49, s2
	s_cbranch_execz .LBB283_89
; %bb.84:                               ;   in Loop: Header=BB283_13 Depth=1
	v_and_b32_e32 v42, 0x7f, v11
	v_mov_b32_e32 v41, 0x7c01
	s_mov_b32 s50, exec_lo
	v_cmpx_ne_u32_e32 0x7f, v42
	s_cbranch_execz .LBB283_88
; %bb.85:                               ;   in Loop: Header=BB283_13 Depth=1
	v_and_b32_e32 v3, 7, v11
	v_lshrrev_b32_e32 v41, 3, v42
	s_mov_b32 s51, exec_lo
	v_cmpx_gt_u32_e32 8, v42
; %bb.86:                               ;   in Loop: Header=BB283_13 Depth=1
	v_ffbh_u32_e32 v3, v3
	v_min_u32_e32 v3, 32, v3
	v_subrev_nc_u32_e32 v41, 28, v3
	v_lshlrev_b64 v[42:43], v41, v[11:12]
	v_sub_nc_u32_e32 v41, 29, v3
	v_and_b32_e32 v3, 7, v42
; %bb.87:                               ;   in Loop: Header=BB283_13 Depth=1
	s_or_b32 exec_lo, exec_lo, s51
	v_lshlrev_b32_e32 v42, 8, v11
	v_lshl_add_u32 v41, v41, 10, 0x2000
	v_lshlrev_b32_e32 v3, 7, v3
	v_and_b32_e32 v42, 0x8000, v42
	v_and_b32_e32 v41, 0xfc00, v41
	v_or3_b32 v41, v42, v41, v3
.LBB283_88:                             ;   in Loop: Header=BB283_13 Depth=1
	s_or_b32 exec_lo, exec_lo, s50
.LBB283_89:                             ;   in Loop: Header=BB283_13 Depth=1
	s_or_b32 exec_lo, exec_lo, s49
.LBB283_90:                             ;   in Loop: Header=BB283_13 Depth=1
	s_or_b32 exec_lo, exec_lo, s48
	v_lshrrev_b16 v3, 8, v11
	s_mov_b32 s48, exec_lo
	v_cmpx_ne_u16_e32 0, v3
	s_cbranch_execz .LBB283_98
; %bb.91:                               ;   in Loop: Header=BB283_13 Depth=1
	v_bfrev_b32_e32 v40, 1
	s_mov_b32 s49, exec_lo
	v_cmpx_ne_u16_e32 0x80, v3
	s_cbranch_execz .LBB283_97
; %bb.92:                               ;   in Loop: Header=BB283_13 Depth=1
	v_and_b32_sdwa v43, v3, v24 dst_sel:DWORD dst_unused:UNUSED_PAD src0_sel:WORD_0 src1_sel:DWORD
	v_mov_b32_e32 v40, 0x7c010000
	s_mov_b32 s50, exec_lo
	v_cmpx_ne_u32_e32 0x7f, v43
	s_cbranch_execz .LBB283_96
; %bb.93:                               ;   in Loop: Header=BB283_13 Depth=1
	v_and_b32_sdwa v40, v3, v25 dst_sel:DWORD dst_unused:UNUSED_PAD src0_sel:WORD_0 src1_sel:DWORD
	v_lshrrev_b32_e32 v42, 3, v43
	s_mov_b32 s51, exec_lo
	v_cmpx_gt_u32_e32 8, v43
; %bb.94:                               ;   in Loop: Header=BB283_13 Depth=1
	v_ffbh_u32_e32 v40, v40
	v_min_u32_e32 v40, 32, v40
	v_subrev_nc_u32_e32 v42, 28, v40
	v_lshlrev_b64 v[43:44], v42, v[3:4]
	v_sub_nc_u32_e32 v42, 29, v40
	v_and_b32_e32 v40, 7, v43
; %bb.95:                               ;   in Loop: Header=BB283_13 Depth=1
	s_or_b32 exec_lo, exec_lo, s51
	v_lshlrev_b32_sdwa v3, v26, v3 dst_sel:DWORD dst_unused:UNUSED_PAD src0_sel:DWORD src1_sel:WORD_0
	v_lshl_add_u32 v42, v42, 10, 0x2000
	v_lshlrev_b32_e32 v40, 23, v40
	v_and_or_b32 v3, 0x8000, v3, v42
	v_lshl_or_b32 v40, v3, 16, v40
.LBB283_96:                             ;   in Loop: Header=BB283_13 Depth=1
	s_or_b32 exec_lo, exec_lo, s50
.LBB283_97:                             ;   in Loop: Header=BB283_13 Depth=1
	s_or_b32 exec_lo, exec_lo, s49
.LBB283_98:                             ;   in Loop: Header=BB283_13 Depth=1
	s_or_b32 exec_lo, exec_lo, s48
	v_lshrrev_b32_e32 v3, 16, v11
	v_mov_b32_e32 v42, 0
	v_mov_b32_e32 v43, 0
	v_cmp_ne_u16_sdwa s2, v3, v4 src0_sel:BYTE_0 src1_sel:DWORD
	s_and_saveexec_b32 s48, s2
	s_cbranch_execz .LBB283_106
; %bb.99:                               ;   in Loop: Header=BB283_13 Depth=1
	v_cmp_ne_u16_sdwa s2, v3, v23 src0_sel:BYTE_0 src1_sel:DWORD
	v_mov_b32_e32 v43, 0x8000
	s_and_saveexec_b32 s49, s2
	s_cbranch_execz .LBB283_105
; %bb.100:                              ;   in Loop: Header=BB283_13 Depth=1
	v_bfe_u32 v45, v11, 16, 7
	v_mov_b32_e32 v43, 0x7c01
	s_mov_b32 s50, exec_lo
	v_cmpx_ne_u32_e32 0x7f, v45
	s_cbranch_execz .LBB283_104
; %bb.101:                              ;   in Loop: Header=BB283_13 Depth=1
	v_and_b32_e32 v43, 7, v3
	v_lshrrev_b32_e32 v44, 3, v45
	s_mov_b32 s51, exec_lo
	v_cmpx_gt_u32_e32 8, v45
; %bb.102:                              ;   in Loop: Header=BB283_13 Depth=1
	v_ffbh_u32_e32 v43, v43
	v_min_u32_e32 v45, 32, v43
	v_subrev_nc_u32_e32 v43, 28, v45
	v_lshlrev_b64 v[43:44], v43, v[3:4]
	v_sub_nc_u32_e32 v44, 29, v45
	v_and_b32_e32 v43, 7, v43
; %bb.103:                              ;   in Loop: Header=BB283_13 Depth=1
	s_or_b32 exec_lo, exec_lo, s51
	v_lshlrev_b32_e32 v3, 8, v3
	v_lshl_add_u32 v44, v44, 10, 0x2000
	v_lshlrev_b32_e32 v43, 7, v43
	v_and_b32_e32 v3, 0x8000, v3
	v_and_b32_e32 v44, 0xfc00, v44
	v_or3_b32 v43, v3, v44, v43
.LBB283_104:                            ;   in Loop: Header=BB283_13 Depth=1
	s_or_b32 exec_lo, exec_lo, s50
.LBB283_105:                            ;   in Loop: Header=BB283_13 Depth=1
	s_or_b32 exec_lo, exec_lo, s49
.LBB283_106:                            ;   in Loop: Header=BB283_13 Depth=1
	s_or_b32 exec_lo, exec_lo, s48
	s_mov_b32 s48, exec_lo
	v_cmpx_lt_u32_e32 0xffffff, v11
	s_cbranch_execz .LBB283_114
; %bb.107:                              ;   in Loop: Header=BB283_13 Depth=1
	v_lshrrev_b32_e32 v3, 24, v11
	v_bfrev_b32_e32 v42, 1
	s_mov_b32 s49, exec_lo
	v_cmpx_ne_u32_e32 0x80, v3
	s_cbranch_execz .LBB283_113
; %bb.108:                              ;   in Loop: Header=BB283_13 Depth=1
	v_and_b32_e32 v44, 0x7f, v3
	v_mov_b32_e32 v42, 0x7c010000
	s_mov_b32 s50, exec_lo
	v_cmpx_ne_u32_e32 0x7f, v44
	s_cbranch_execz .LBB283_112
; %bb.109:                              ;   in Loop: Header=BB283_13 Depth=1
	v_and_b32_e32 v11, 7, v3
	v_lshrrev_b32_e32 v42, 3, v44
	s_mov_b32 s51, exec_lo
	v_cmpx_gt_u32_e32 8, v44
; %bb.110:                              ;   in Loop: Header=BB283_13 Depth=1
	v_ffbh_u32_e32 v11, v11
	v_min_u32_e32 v11, 32, v11
	v_subrev_nc_u32_e32 v42, 28, v11
	v_lshlrev_b64 v[44:45], v42, v[3:4]
	v_sub_nc_u32_e32 v42, 29, v11
	v_and_b32_e32 v11, 7, v44
; %bb.111:                              ;   in Loop: Header=BB283_13 Depth=1
	s_or_b32 exec_lo, exec_lo, s51
	v_lshlrev_b32_e32 v3, 8, v3
	v_lshl_add_u32 v42, v42, 10, 0x2000
	v_lshlrev_b32_e32 v11, 23, v11
	v_and_or_b32 v3, 0x8000, v3, v42
	v_lshl_or_b32 v42, v3, 16, v11
.LBB283_112:                            ;   in Loop: Header=BB283_13 Depth=1
	s_or_b32 exec_lo, exec_lo, s50
.LBB283_113:                            ;   in Loop: Header=BB283_13 Depth=1
	s_or_b32 exec_lo, exec_lo, s49
.LBB283_114:                            ;   in Loop: Header=BB283_13 Depth=1
	s_or_b32 exec_lo, exec_lo, s48
	global_load_dword v11, v[9:10], off offset:264
	v_mov_b32_e32 v44, 0
	v_mov_b32_e32 v45, 0
	s_waitcnt vmcnt(0)
	v_cmp_ne_u16_sdwa s2, v11, v4 src0_sel:BYTE_0 src1_sel:DWORD
	s_and_saveexec_b32 s48, s2
	s_cbranch_execz .LBB283_122
; %bb.115:                              ;   in Loop: Header=BB283_13 Depth=1
	v_cmp_ne_u16_sdwa s2, v11, v23 src0_sel:BYTE_0 src1_sel:DWORD
	v_mov_b32_e32 v45, 0x8000
	s_and_saveexec_b32 s49, s2
	s_cbranch_execz .LBB283_121
; %bb.116:                              ;   in Loop: Header=BB283_13 Depth=1
	v_and_b32_e32 v46, 0x7f, v11
	v_mov_b32_e32 v45, 0x7c01
	s_mov_b32 s50, exec_lo
	v_cmpx_ne_u32_e32 0x7f, v46
	s_cbranch_execz .LBB283_120
; %bb.117:                              ;   in Loop: Header=BB283_13 Depth=1
	v_and_b32_e32 v3, 7, v11
	v_lshrrev_b32_e32 v45, 3, v46
	s_mov_b32 s51, exec_lo
	v_cmpx_gt_u32_e32 8, v46
; %bb.118:                              ;   in Loop: Header=BB283_13 Depth=1
	v_ffbh_u32_e32 v3, v3
	v_min_u32_e32 v3, 32, v3
	v_subrev_nc_u32_e32 v45, 28, v3
	v_lshlrev_b64 v[46:47], v45, v[11:12]
	v_sub_nc_u32_e32 v45, 29, v3
	v_and_b32_e32 v3, 7, v46
; %bb.119:                              ;   in Loop: Header=BB283_13 Depth=1
	s_or_b32 exec_lo, exec_lo, s51
	v_lshlrev_b32_e32 v46, 8, v11
	v_lshl_add_u32 v45, v45, 10, 0x2000
	v_lshlrev_b32_e32 v3, 7, v3
	v_and_b32_e32 v46, 0x8000, v46
	v_and_b32_e32 v45, 0xfc00, v45
	v_or3_b32 v45, v46, v45, v3
.LBB283_120:                            ;   in Loop: Header=BB283_13 Depth=1
	s_or_b32 exec_lo, exec_lo, s50
.LBB283_121:                            ;   in Loop: Header=BB283_13 Depth=1
	s_or_b32 exec_lo, exec_lo, s49
.LBB283_122:                            ;   in Loop: Header=BB283_13 Depth=1
	s_or_b32 exec_lo, exec_lo, s48
	v_lshrrev_b16 v3, 8, v11
	s_mov_b32 s48, exec_lo
	v_cmpx_ne_u16_e32 0, v3
	s_cbranch_execz .LBB283_130
; %bb.123:                              ;   in Loop: Header=BB283_13 Depth=1
	v_bfrev_b32_e32 v44, 1
	s_mov_b32 s49, exec_lo
	v_cmpx_ne_u16_e32 0x80, v3
	s_cbranch_execz .LBB283_129
; %bb.124:                              ;   in Loop: Header=BB283_13 Depth=1
	v_and_b32_sdwa v47, v3, v24 dst_sel:DWORD dst_unused:UNUSED_PAD src0_sel:WORD_0 src1_sel:DWORD
	v_mov_b32_e32 v44, 0x7c010000
	s_mov_b32 s50, exec_lo
	v_cmpx_ne_u32_e32 0x7f, v47
	s_cbranch_execz .LBB283_128
; %bb.125:                              ;   in Loop: Header=BB283_13 Depth=1
	v_and_b32_sdwa v44, v3, v25 dst_sel:DWORD dst_unused:UNUSED_PAD src0_sel:WORD_0 src1_sel:DWORD
	v_lshrrev_b32_e32 v46, 3, v47
	s_mov_b32 s51, exec_lo
	v_cmpx_gt_u32_e32 8, v47
; %bb.126:                              ;   in Loop: Header=BB283_13 Depth=1
	v_ffbh_u32_e32 v44, v44
	v_min_u32_e32 v44, 32, v44
	v_subrev_nc_u32_e32 v46, 28, v44
	v_lshlrev_b64 v[47:48], v46, v[3:4]
	v_sub_nc_u32_e32 v46, 29, v44
	v_and_b32_e32 v44, 7, v47
; %bb.127:                              ;   in Loop: Header=BB283_13 Depth=1
	s_or_b32 exec_lo, exec_lo, s51
	v_lshlrev_b32_sdwa v3, v26, v3 dst_sel:DWORD dst_unused:UNUSED_PAD src0_sel:DWORD src1_sel:WORD_0
	v_lshl_add_u32 v46, v46, 10, 0x2000
	v_lshlrev_b32_e32 v44, 23, v44
	v_and_or_b32 v3, 0x8000, v3, v46
	v_lshl_or_b32 v44, v3, 16, v44
.LBB283_128:                            ;   in Loop: Header=BB283_13 Depth=1
	s_or_b32 exec_lo, exec_lo, s50
.LBB283_129:                            ;   in Loop: Header=BB283_13 Depth=1
	s_or_b32 exec_lo, exec_lo, s49
.LBB283_130:                            ;   in Loop: Header=BB283_13 Depth=1
	s_or_b32 exec_lo, exec_lo, s48
	v_lshrrev_b32_e32 v3, 16, v11
	v_mov_b32_e32 v46, 0
	v_mov_b32_e32 v47, 0
	v_cmp_ne_u16_sdwa s2, v3, v4 src0_sel:BYTE_0 src1_sel:DWORD
	s_and_saveexec_b32 s48, s2
	s_cbranch_execz .LBB283_138
; %bb.131:                              ;   in Loop: Header=BB283_13 Depth=1
	v_cmp_ne_u16_sdwa s2, v3, v23 src0_sel:BYTE_0 src1_sel:DWORD
	v_mov_b32_e32 v47, 0x8000
	s_and_saveexec_b32 s49, s2
	s_cbranch_execz .LBB283_137
; %bb.132:                              ;   in Loop: Header=BB283_13 Depth=1
	v_bfe_u32 v49, v11, 16, 7
	v_mov_b32_e32 v47, 0x7c01
	s_mov_b32 s50, exec_lo
	v_cmpx_ne_u32_e32 0x7f, v49
	s_cbranch_execz .LBB283_136
; %bb.133:                              ;   in Loop: Header=BB283_13 Depth=1
	v_and_b32_e32 v47, 7, v3
	v_lshrrev_b32_e32 v48, 3, v49
	s_mov_b32 s51, exec_lo
	v_cmpx_gt_u32_e32 8, v49
; %bb.134:                              ;   in Loop: Header=BB283_13 Depth=1
	v_ffbh_u32_e32 v47, v47
	v_min_u32_e32 v49, 32, v47
	v_subrev_nc_u32_e32 v47, 28, v49
	v_lshlrev_b64 v[47:48], v47, v[3:4]
	v_sub_nc_u32_e32 v48, 29, v49
	v_and_b32_e32 v47, 7, v47
; %bb.135:                              ;   in Loop: Header=BB283_13 Depth=1
	s_or_b32 exec_lo, exec_lo, s51
	v_lshlrev_b32_e32 v3, 8, v3
	v_lshl_add_u32 v48, v48, 10, 0x2000
	v_lshlrev_b32_e32 v47, 7, v47
	v_and_b32_e32 v3, 0x8000, v3
	v_and_b32_e32 v48, 0xfc00, v48
	v_or3_b32 v47, v3, v48, v47
.LBB283_136:                            ;   in Loop: Header=BB283_13 Depth=1
	s_or_b32 exec_lo, exec_lo, s50
.LBB283_137:                            ;   in Loop: Header=BB283_13 Depth=1
	s_or_b32 exec_lo, exec_lo, s49
.LBB283_138:                            ;   in Loop: Header=BB283_13 Depth=1
	s_or_b32 exec_lo, exec_lo, s48
	s_mov_b32 s48, exec_lo
	v_cmpx_lt_u32_e32 0xffffff, v11
	s_cbranch_execz .LBB283_146
; %bb.139:                              ;   in Loop: Header=BB283_13 Depth=1
	v_lshrrev_b32_e32 v3, 24, v11
	v_bfrev_b32_e32 v46, 1
	s_mov_b32 s49, exec_lo
	v_cmpx_ne_u32_e32 0x80, v3
	s_cbranch_execz .LBB283_145
; %bb.140:                              ;   in Loop: Header=BB283_13 Depth=1
	v_and_b32_e32 v48, 0x7f, v3
	v_mov_b32_e32 v46, 0x7c010000
	s_mov_b32 s50, exec_lo
	v_cmpx_ne_u32_e32 0x7f, v48
	s_cbranch_execz .LBB283_144
; %bb.141:                              ;   in Loop: Header=BB283_13 Depth=1
	v_and_b32_e32 v11, 7, v3
	v_lshrrev_b32_e32 v46, 3, v48
	s_mov_b32 s51, exec_lo
	v_cmpx_gt_u32_e32 8, v48
; %bb.142:                              ;   in Loop: Header=BB283_13 Depth=1
	v_ffbh_u32_e32 v11, v11
	v_min_u32_e32 v11, 32, v11
	v_subrev_nc_u32_e32 v46, 28, v11
	v_lshlrev_b64 v[48:49], v46, v[3:4]
	v_sub_nc_u32_e32 v46, 29, v11
	v_and_b32_e32 v11, 7, v48
; %bb.143:                              ;   in Loop: Header=BB283_13 Depth=1
	s_or_b32 exec_lo, exec_lo, s51
	v_lshlrev_b32_e32 v3, 8, v3
	v_lshl_add_u32 v46, v46, 10, 0x2000
	v_lshlrev_b32_e32 v11, 23, v11
	v_and_or_b32 v3, 0x8000, v3, v46
	v_lshl_or_b32 v46, v3, 16, v11
.LBB283_144:                            ;   in Loop: Header=BB283_13 Depth=1
	s_or_b32 exec_lo, exec_lo, s50
.LBB283_145:                            ;   in Loop: Header=BB283_13 Depth=1
	s_or_b32 exec_lo, exec_lo, s49
.LBB283_146:                            ;   in Loop: Header=BB283_13 Depth=1
	s_or_b32 exec_lo, exec_lo, s48
	global_load_dword v11, v[9:10], off offset:512
	v_mov_b32_e32 v48, 0
	v_mov_b32_e32 v49, 0
	s_waitcnt vmcnt(0)
	v_cmp_ne_u16_sdwa s2, v11, v4 src0_sel:BYTE_0 src1_sel:DWORD
	s_and_saveexec_b32 s48, s2
	s_cbranch_execz .LBB283_154
; %bb.147:                              ;   in Loop: Header=BB283_13 Depth=1
	v_cmp_ne_u16_sdwa s2, v11, v23 src0_sel:BYTE_0 src1_sel:DWORD
	v_mov_b32_e32 v49, 0x8000
	s_and_saveexec_b32 s49, s2
	s_cbranch_execz .LBB283_153
; %bb.148:                              ;   in Loop: Header=BB283_13 Depth=1
	v_and_b32_e32 v50, 0x7f, v11
	v_mov_b32_e32 v49, 0x7c01
	s_mov_b32 s50, exec_lo
	v_cmpx_ne_u32_e32 0x7f, v50
	s_cbranch_execz .LBB283_152
; %bb.149:                              ;   in Loop: Header=BB283_13 Depth=1
	v_and_b32_e32 v3, 7, v11
	v_lshrrev_b32_e32 v49, 3, v50
	s_mov_b32 s51, exec_lo
	v_cmpx_gt_u32_e32 8, v50
; %bb.150:                              ;   in Loop: Header=BB283_13 Depth=1
	v_ffbh_u32_e32 v3, v3
	v_min_u32_e32 v3, 32, v3
	v_subrev_nc_u32_e32 v49, 28, v3
	v_lshlrev_b64 v[50:51], v49, v[11:12]
	v_sub_nc_u32_e32 v49, 29, v3
	v_and_b32_e32 v3, 7, v50
; %bb.151:                              ;   in Loop: Header=BB283_13 Depth=1
	s_or_b32 exec_lo, exec_lo, s51
	v_lshlrev_b32_e32 v50, 8, v11
	v_lshl_add_u32 v49, v49, 10, 0x2000
	v_lshlrev_b32_e32 v3, 7, v3
	v_and_b32_e32 v50, 0x8000, v50
	v_and_b32_e32 v49, 0xfc00, v49
	v_or3_b32 v49, v50, v49, v3
.LBB283_152:                            ;   in Loop: Header=BB283_13 Depth=1
	s_or_b32 exec_lo, exec_lo, s50
.LBB283_153:                            ;   in Loop: Header=BB283_13 Depth=1
	s_or_b32 exec_lo, exec_lo, s49
.LBB283_154:                            ;   in Loop: Header=BB283_13 Depth=1
	s_or_b32 exec_lo, exec_lo, s48
	v_lshrrev_b16 v3, 8, v11
	s_mov_b32 s48, exec_lo
	v_cmpx_ne_u16_e32 0, v3
	s_cbranch_execz .LBB283_162
; %bb.155:                              ;   in Loop: Header=BB283_13 Depth=1
	v_bfrev_b32_e32 v48, 1
	s_mov_b32 s49, exec_lo
	v_cmpx_ne_u16_e32 0x80, v3
	s_cbranch_execz .LBB283_161
; %bb.156:                              ;   in Loop: Header=BB283_13 Depth=1
	v_and_b32_sdwa v51, v3, v24 dst_sel:DWORD dst_unused:UNUSED_PAD src0_sel:WORD_0 src1_sel:DWORD
	v_mov_b32_e32 v48, 0x7c010000
	s_mov_b32 s50, exec_lo
	v_cmpx_ne_u32_e32 0x7f, v51
	s_cbranch_execz .LBB283_160
; %bb.157:                              ;   in Loop: Header=BB283_13 Depth=1
	v_and_b32_sdwa v48, v3, v25 dst_sel:DWORD dst_unused:UNUSED_PAD src0_sel:WORD_0 src1_sel:DWORD
	v_lshrrev_b32_e32 v50, 3, v51
	s_mov_b32 s51, exec_lo
	v_cmpx_gt_u32_e32 8, v51
; %bb.158:                              ;   in Loop: Header=BB283_13 Depth=1
	v_ffbh_u32_e32 v48, v48
	v_min_u32_e32 v48, 32, v48
	v_subrev_nc_u32_e32 v50, 28, v48
	v_lshlrev_b64 v[51:52], v50, v[3:4]
	v_sub_nc_u32_e32 v50, 29, v48
	v_and_b32_e32 v48, 7, v51
; %bb.159:                              ;   in Loop: Header=BB283_13 Depth=1
	s_or_b32 exec_lo, exec_lo, s51
	v_lshlrev_b32_sdwa v3, v26, v3 dst_sel:DWORD dst_unused:UNUSED_PAD src0_sel:DWORD src1_sel:WORD_0
	v_lshl_add_u32 v50, v50, 10, 0x2000
	v_lshlrev_b32_e32 v48, 23, v48
	v_and_or_b32 v3, 0x8000, v3, v50
	v_lshl_or_b32 v48, v3, 16, v48
.LBB283_160:                            ;   in Loop: Header=BB283_13 Depth=1
	s_or_b32 exec_lo, exec_lo, s50
.LBB283_161:                            ;   in Loop: Header=BB283_13 Depth=1
	s_or_b32 exec_lo, exec_lo, s49
.LBB283_162:                            ;   in Loop: Header=BB283_13 Depth=1
	s_or_b32 exec_lo, exec_lo, s48
	v_lshrrev_b32_e32 v3, 16, v11
	v_mov_b32_e32 v50, 0
	v_mov_b32_e32 v51, 0
	v_cmp_ne_u16_sdwa s2, v3, v4 src0_sel:BYTE_0 src1_sel:DWORD
	s_and_saveexec_b32 s48, s2
	s_cbranch_execz .LBB283_170
; %bb.163:                              ;   in Loop: Header=BB283_13 Depth=1
	v_cmp_ne_u16_sdwa s2, v3, v23 src0_sel:BYTE_0 src1_sel:DWORD
	v_mov_b32_e32 v51, 0x8000
	s_and_saveexec_b32 s49, s2
	s_cbranch_execz .LBB283_169
; %bb.164:                              ;   in Loop: Header=BB283_13 Depth=1
	v_bfe_u32 v53, v11, 16, 7
	v_mov_b32_e32 v51, 0x7c01
	s_mov_b32 s50, exec_lo
	v_cmpx_ne_u32_e32 0x7f, v53
	s_cbranch_execz .LBB283_168
; %bb.165:                              ;   in Loop: Header=BB283_13 Depth=1
	v_and_b32_e32 v51, 7, v3
	v_lshrrev_b32_e32 v52, 3, v53
	s_mov_b32 s51, exec_lo
	v_cmpx_gt_u32_e32 8, v53
; %bb.166:                              ;   in Loop: Header=BB283_13 Depth=1
	v_ffbh_u32_e32 v51, v51
	v_min_u32_e32 v53, 32, v51
	v_subrev_nc_u32_e32 v51, 28, v53
	v_lshlrev_b64 v[51:52], v51, v[3:4]
	v_sub_nc_u32_e32 v52, 29, v53
	v_and_b32_e32 v51, 7, v51
; %bb.167:                              ;   in Loop: Header=BB283_13 Depth=1
	s_or_b32 exec_lo, exec_lo, s51
	v_lshlrev_b32_e32 v3, 8, v3
	v_lshl_add_u32 v52, v52, 10, 0x2000
	v_lshlrev_b32_e32 v51, 7, v51
	v_and_b32_e32 v3, 0x8000, v3
	v_and_b32_e32 v52, 0xfc00, v52
	v_or3_b32 v51, v3, v52, v51
.LBB283_168:                            ;   in Loop: Header=BB283_13 Depth=1
	s_or_b32 exec_lo, exec_lo, s50
.LBB283_169:                            ;   in Loop: Header=BB283_13 Depth=1
	s_or_b32 exec_lo, exec_lo, s49
.LBB283_170:                            ;   in Loop: Header=BB283_13 Depth=1
	s_or_b32 exec_lo, exec_lo, s48
	s_mov_b32 s48, exec_lo
	v_cmpx_lt_u32_e32 0xffffff, v11
	s_cbranch_execz .LBB283_178
; %bb.171:                              ;   in Loop: Header=BB283_13 Depth=1
	v_lshrrev_b32_e32 v3, 24, v11
	v_bfrev_b32_e32 v50, 1
	s_mov_b32 s49, exec_lo
	v_cmpx_ne_u32_e32 0x80, v3
	s_cbranch_execz .LBB283_177
; %bb.172:                              ;   in Loop: Header=BB283_13 Depth=1
	v_and_b32_e32 v52, 0x7f, v3
	v_mov_b32_e32 v50, 0x7c010000
	s_mov_b32 s50, exec_lo
	v_cmpx_ne_u32_e32 0x7f, v52
	s_cbranch_execz .LBB283_176
; %bb.173:                              ;   in Loop: Header=BB283_13 Depth=1
	v_and_b32_e32 v11, 7, v3
	v_lshrrev_b32_e32 v50, 3, v52
	s_mov_b32 s51, exec_lo
	v_cmpx_gt_u32_e32 8, v52
; %bb.174:                              ;   in Loop: Header=BB283_13 Depth=1
	v_ffbh_u32_e32 v11, v11
	v_min_u32_e32 v11, 32, v11
	v_subrev_nc_u32_e32 v50, 28, v11
	v_lshlrev_b64 v[52:53], v50, v[3:4]
	v_sub_nc_u32_e32 v50, 29, v11
	v_and_b32_e32 v11, 7, v52
; %bb.175:                              ;   in Loop: Header=BB283_13 Depth=1
	s_or_b32 exec_lo, exec_lo, s51
	v_lshlrev_b32_e32 v3, 8, v3
	v_lshl_add_u32 v50, v50, 10, 0x2000
	v_lshlrev_b32_e32 v11, 23, v11
	v_and_or_b32 v3, 0x8000, v3, v50
	v_lshl_or_b32 v50, v3, 16, v11
.LBB283_176:                            ;   in Loop: Header=BB283_13 Depth=1
	s_or_b32 exec_lo, exec_lo, s50
.LBB283_177:                            ;   in Loop: Header=BB283_13 Depth=1
	s_or_b32 exec_lo, exec_lo, s49
.LBB283_178:                            ;   in Loop: Header=BB283_13 Depth=1
	s_or_b32 exec_lo, exec_lo, s48
	global_load_dword v11, v[9:10], off offset:520
	v_mov_b32_e32 v52, 0
	v_mov_b32_e32 v53, 0
	s_waitcnt vmcnt(0)
	v_cmp_ne_u16_sdwa s2, v11, v4 src0_sel:BYTE_0 src1_sel:DWORD
	s_and_saveexec_b32 s48, s2
	s_cbranch_execz .LBB283_186
; %bb.179:                              ;   in Loop: Header=BB283_13 Depth=1
	v_cmp_ne_u16_sdwa s2, v11, v23 src0_sel:BYTE_0 src1_sel:DWORD
	v_mov_b32_e32 v53, 0x8000
	s_and_saveexec_b32 s49, s2
	s_cbranch_execz .LBB283_185
; %bb.180:                              ;   in Loop: Header=BB283_13 Depth=1
	v_and_b32_e32 v54, 0x7f, v11
	v_mov_b32_e32 v53, 0x7c01
	s_mov_b32 s50, exec_lo
	v_cmpx_ne_u32_e32 0x7f, v54
	s_cbranch_execz .LBB283_184
; %bb.181:                              ;   in Loop: Header=BB283_13 Depth=1
	v_and_b32_e32 v3, 7, v11
	v_lshrrev_b32_e32 v53, 3, v54
	s_mov_b32 s51, exec_lo
	v_cmpx_gt_u32_e32 8, v54
; %bb.182:                              ;   in Loop: Header=BB283_13 Depth=1
	v_ffbh_u32_e32 v3, v3
	v_min_u32_e32 v3, 32, v3
	v_subrev_nc_u32_e32 v53, 28, v3
	v_lshlrev_b64 v[54:55], v53, v[11:12]
	v_sub_nc_u32_e32 v53, 29, v3
	v_and_b32_e32 v3, 7, v54
; %bb.183:                              ;   in Loop: Header=BB283_13 Depth=1
	s_or_b32 exec_lo, exec_lo, s51
	v_lshlrev_b32_e32 v54, 8, v11
	v_lshl_add_u32 v53, v53, 10, 0x2000
	v_lshlrev_b32_e32 v3, 7, v3
	v_and_b32_e32 v54, 0x8000, v54
	v_and_b32_e32 v53, 0xfc00, v53
	v_or3_b32 v53, v54, v53, v3
.LBB283_184:                            ;   in Loop: Header=BB283_13 Depth=1
	s_or_b32 exec_lo, exec_lo, s50
.LBB283_185:                            ;   in Loop: Header=BB283_13 Depth=1
	s_or_b32 exec_lo, exec_lo, s49
.LBB283_186:                            ;   in Loop: Header=BB283_13 Depth=1
	s_or_b32 exec_lo, exec_lo, s48
	v_lshrrev_b16 v3, 8, v11
	s_mov_b32 s48, exec_lo
	v_cmpx_ne_u16_e32 0, v3
	s_cbranch_execz .LBB283_194
; %bb.187:                              ;   in Loop: Header=BB283_13 Depth=1
	v_bfrev_b32_e32 v52, 1
	s_mov_b32 s49, exec_lo
	v_cmpx_ne_u16_e32 0x80, v3
	s_cbranch_execz .LBB283_193
; %bb.188:                              ;   in Loop: Header=BB283_13 Depth=1
	v_and_b32_sdwa v55, v3, v24 dst_sel:DWORD dst_unused:UNUSED_PAD src0_sel:WORD_0 src1_sel:DWORD
	v_mov_b32_e32 v52, 0x7c010000
	s_mov_b32 s50, exec_lo
	v_cmpx_ne_u32_e32 0x7f, v55
	s_cbranch_execz .LBB283_192
; %bb.189:                              ;   in Loop: Header=BB283_13 Depth=1
	v_and_b32_sdwa v52, v3, v25 dst_sel:DWORD dst_unused:UNUSED_PAD src0_sel:WORD_0 src1_sel:DWORD
	v_lshrrev_b32_e32 v54, 3, v55
	s_mov_b32 s51, exec_lo
	v_cmpx_gt_u32_e32 8, v55
; %bb.190:                              ;   in Loop: Header=BB283_13 Depth=1
	v_ffbh_u32_e32 v52, v52
	v_min_u32_e32 v52, 32, v52
	v_subrev_nc_u32_e32 v54, 28, v52
	v_lshlrev_b64 v[55:56], v54, v[3:4]
	v_sub_nc_u32_e32 v54, 29, v52
	v_and_b32_e32 v52, 7, v55
; %bb.191:                              ;   in Loop: Header=BB283_13 Depth=1
	s_or_b32 exec_lo, exec_lo, s51
	v_lshlrev_b32_sdwa v3, v26, v3 dst_sel:DWORD dst_unused:UNUSED_PAD src0_sel:DWORD src1_sel:WORD_0
	v_lshl_add_u32 v54, v54, 10, 0x2000
	v_lshlrev_b32_e32 v52, 23, v52
	v_and_or_b32 v3, 0x8000, v3, v54
	v_lshl_or_b32 v52, v3, 16, v52
.LBB283_192:                            ;   in Loop: Header=BB283_13 Depth=1
	s_or_b32 exec_lo, exec_lo, s50
.LBB283_193:                            ;   in Loop: Header=BB283_13 Depth=1
	s_or_b32 exec_lo, exec_lo, s49
.LBB283_194:                            ;   in Loop: Header=BB283_13 Depth=1
	s_or_b32 exec_lo, exec_lo, s48
	v_lshrrev_b32_e32 v3, 16, v11
	v_mov_b32_e32 v54, 0
	v_mov_b32_e32 v55, 0
	v_cmp_ne_u16_sdwa s2, v3, v4 src0_sel:BYTE_0 src1_sel:DWORD
	s_and_saveexec_b32 s48, s2
	s_cbranch_execz .LBB283_202
; %bb.195:                              ;   in Loop: Header=BB283_13 Depth=1
	v_cmp_ne_u16_sdwa s2, v3, v23 src0_sel:BYTE_0 src1_sel:DWORD
	v_mov_b32_e32 v55, 0x8000
	s_and_saveexec_b32 s49, s2
	s_cbranch_execz .LBB283_201
; %bb.196:                              ;   in Loop: Header=BB283_13 Depth=1
	v_bfe_u32 v57, v11, 16, 7
	v_mov_b32_e32 v55, 0x7c01
	s_mov_b32 s50, exec_lo
	v_cmpx_ne_u32_e32 0x7f, v57
	s_cbranch_execz .LBB283_200
; %bb.197:                              ;   in Loop: Header=BB283_13 Depth=1
	v_and_b32_e32 v55, 7, v3
	v_lshrrev_b32_e32 v56, 3, v57
	s_mov_b32 s51, exec_lo
	v_cmpx_gt_u32_e32 8, v57
; %bb.198:                              ;   in Loop: Header=BB283_13 Depth=1
	v_ffbh_u32_e32 v55, v55
	v_min_u32_e32 v57, 32, v55
	v_subrev_nc_u32_e32 v55, 28, v57
	v_lshlrev_b64 v[55:56], v55, v[3:4]
	v_sub_nc_u32_e32 v56, 29, v57
	v_and_b32_e32 v55, 7, v55
; %bb.199:                              ;   in Loop: Header=BB283_13 Depth=1
	s_or_b32 exec_lo, exec_lo, s51
	v_lshlrev_b32_e32 v3, 8, v3
	v_lshl_add_u32 v56, v56, 10, 0x2000
	v_lshlrev_b32_e32 v55, 7, v55
	v_and_b32_e32 v3, 0x8000, v3
	v_and_b32_e32 v56, 0xfc00, v56
	v_or3_b32 v55, v3, v56, v55
.LBB283_200:                            ;   in Loop: Header=BB283_13 Depth=1
	s_or_b32 exec_lo, exec_lo, s50
.LBB283_201:                            ;   in Loop: Header=BB283_13 Depth=1
	s_or_b32 exec_lo, exec_lo, s49
.LBB283_202:                            ;   in Loop: Header=BB283_13 Depth=1
	s_or_b32 exec_lo, exec_lo, s48
	s_mov_b32 s48, exec_lo
	v_cmpx_lt_u32_e32 0xffffff, v11
	s_cbranch_execz .LBB283_210
; %bb.203:                              ;   in Loop: Header=BB283_13 Depth=1
	v_lshrrev_b32_e32 v3, 24, v11
	v_bfrev_b32_e32 v54, 1
	s_mov_b32 s49, exec_lo
	v_cmpx_ne_u32_e32 0x80, v3
	s_cbranch_execz .LBB283_209
; %bb.204:                              ;   in Loop: Header=BB283_13 Depth=1
	v_and_b32_e32 v56, 0x7f, v3
	v_mov_b32_e32 v54, 0x7c010000
	s_mov_b32 s50, exec_lo
	v_cmpx_ne_u32_e32 0x7f, v56
	s_cbranch_execz .LBB283_208
; %bb.205:                              ;   in Loop: Header=BB283_13 Depth=1
	v_and_b32_e32 v11, 7, v3
	v_lshrrev_b32_e32 v54, 3, v56
	s_mov_b32 s51, exec_lo
	v_cmpx_gt_u32_e32 8, v56
; %bb.206:                              ;   in Loop: Header=BB283_13 Depth=1
	v_ffbh_u32_e32 v11, v11
	v_min_u32_e32 v11, 32, v11
	v_subrev_nc_u32_e32 v54, 28, v11
	v_lshlrev_b64 v[56:57], v54, v[3:4]
	v_sub_nc_u32_e32 v54, 29, v11
	v_and_b32_e32 v11, 7, v56
; %bb.207:                              ;   in Loop: Header=BB283_13 Depth=1
	s_or_b32 exec_lo, exec_lo, s51
	v_lshlrev_b32_e32 v3, 8, v3
	v_lshl_add_u32 v54, v54, 10, 0x2000
	v_lshlrev_b32_e32 v11, 23, v11
	v_and_or_b32 v3, 0x8000, v3, v54
	v_lshl_or_b32 v54, v3, 16, v11
.LBB283_208:                            ;   in Loop: Header=BB283_13 Depth=1
	s_or_b32 exec_lo, exec_lo, s50
.LBB283_209:                            ;   in Loop: Header=BB283_13 Depth=1
	s_or_b32 exec_lo, exec_lo, s49
.LBB283_210:                            ;   in Loop: Header=BB283_13 Depth=1
	s_or_b32 exec_lo, exec_lo, s48
	global_load_dword v11, v[9:10], off offset:768
	v_mov_b32_e32 v56, 0
	v_mov_b32_e32 v57, 0
	s_waitcnt vmcnt(0)
	v_cmp_ne_u16_sdwa s2, v11, v4 src0_sel:BYTE_0 src1_sel:DWORD
	s_and_saveexec_b32 s48, s2
	s_cbranch_execz .LBB283_218
; %bb.211:                              ;   in Loop: Header=BB283_13 Depth=1
	v_cmp_ne_u16_sdwa s2, v11, v23 src0_sel:BYTE_0 src1_sel:DWORD
	v_mov_b32_e32 v57, 0x8000
	s_and_saveexec_b32 s49, s2
	s_cbranch_execz .LBB283_217
; %bb.212:                              ;   in Loop: Header=BB283_13 Depth=1
	v_and_b32_e32 v58, 0x7f, v11
	v_mov_b32_e32 v57, 0x7c01
	s_mov_b32 s50, exec_lo
	v_cmpx_ne_u32_e32 0x7f, v58
	s_cbranch_execz .LBB283_216
; %bb.213:                              ;   in Loop: Header=BB283_13 Depth=1
	v_and_b32_e32 v3, 7, v11
	v_lshrrev_b32_e32 v57, 3, v58
	s_mov_b32 s51, exec_lo
	v_cmpx_gt_u32_e32 8, v58
; %bb.214:                              ;   in Loop: Header=BB283_13 Depth=1
	v_ffbh_u32_e32 v3, v3
	v_min_u32_e32 v3, 32, v3
	v_subrev_nc_u32_e32 v57, 28, v3
	v_lshlrev_b64 v[58:59], v57, v[11:12]
	v_sub_nc_u32_e32 v57, 29, v3
	v_and_b32_e32 v3, 7, v58
; %bb.215:                              ;   in Loop: Header=BB283_13 Depth=1
	s_or_b32 exec_lo, exec_lo, s51
	v_lshlrev_b32_e32 v58, 8, v11
	v_lshl_add_u32 v57, v57, 10, 0x2000
	v_lshlrev_b32_e32 v3, 7, v3
	v_and_b32_e32 v58, 0x8000, v58
	v_and_b32_e32 v57, 0xfc00, v57
	v_or3_b32 v57, v58, v57, v3
.LBB283_216:                            ;   in Loop: Header=BB283_13 Depth=1
	s_or_b32 exec_lo, exec_lo, s50
.LBB283_217:                            ;   in Loop: Header=BB283_13 Depth=1
	s_or_b32 exec_lo, exec_lo, s49
.LBB283_218:                            ;   in Loop: Header=BB283_13 Depth=1
	s_or_b32 exec_lo, exec_lo, s48
	v_lshrrev_b16 v3, 8, v11
	s_mov_b32 s48, exec_lo
	v_cmpx_ne_u16_e32 0, v3
	s_cbranch_execz .LBB283_226
; %bb.219:                              ;   in Loop: Header=BB283_13 Depth=1
	v_bfrev_b32_e32 v56, 1
	s_mov_b32 s49, exec_lo
	v_cmpx_ne_u16_e32 0x80, v3
	s_cbranch_execz .LBB283_225
; %bb.220:                              ;   in Loop: Header=BB283_13 Depth=1
	v_and_b32_sdwa v59, v3, v24 dst_sel:DWORD dst_unused:UNUSED_PAD src0_sel:WORD_0 src1_sel:DWORD
	v_mov_b32_e32 v56, 0x7c010000
	s_mov_b32 s50, exec_lo
	v_cmpx_ne_u32_e32 0x7f, v59
	s_cbranch_execz .LBB283_224
; %bb.221:                              ;   in Loop: Header=BB283_13 Depth=1
	v_and_b32_sdwa v56, v3, v25 dst_sel:DWORD dst_unused:UNUSED_PAD src0_sel:WORD_0 src1_sel:DWORD
	v_lshrrev_b32_e32 v58, 3, v59
	s_mov_b32 s51, exec_lo
	v_cmpx_gt_u32_e32 8, v59
; %bb.222:                              ;   in Loop: Header=BB283_13 Depth=1
	v_ffbh_u32_e32 v56, v56
	v_min_u32_e32 v56, 32, v56
	v_subrev_nc_u32_e32 v58, 28, v56
	v_lshlrev_b64 v[59:60], v58, v[3:4]
	v_sub_nc_u32_e32 v58, 29, v56
	v_and_b32_e32 v56, 7, v59
; %bb.223:                              ;   in Loop: Header=BB283_13 Depth=1
	s_or_b32 exec_lo, exec_lo, s51
	v_lshlrev_b32_sdwa v3, v26, v3 dst_sel:DWORD dst_unused:UNUSED_PAD src0_sel:DWORD src1_sel:WORD_0
	v_lshl_add_u32 v58, v58, 10, 0x2000
	v_lshlrev_b32_e32 v56, 23, v56
	v_and_or_b32 v3, 0x8000, v3, v58
	v_lshl_or_b32 v56, v3, 16, v56
.LBB283_224:                            ;   in Loop: Header=BB283_13 Depth=1
	s_or_b32 exec_lo, exec_lo, s50
.LBB283_225:                            ;   in Loop: Header=BB283_13 Depth=1
	s_or_b32 exec_lo, exec_lo, s49
.LBB283_226:                            ;   in Loop: Header=BB283_13 Depth=1
	s_or_b32 exec_lo, exec_lo, s48
	v_lshrrev_b32_e32 v3, 16, v11
	v_mov_b32_e32 v58, 0
	v_mov_b32_e32 v59, 0
	v_cmp_ne_u16_sdwa s2, v3, v4 src0_sel:BYTE_0 src1_sel:DWORD
	s_and_saveexec_b32 s48, s2
	s_cbranch_execz .LBB283_234
; %bb.227:                              ;   in Loop: Header=BB283_13 Depth=1
	v_cmp_ne_u16_sdwa s2, v3, v23 src0_sel:BYTE_0 src1_sel:DWORD
	v_mov_b32_e32 v59, 0x8000
	s_and_saveexec_b32 s49, s2
	s_cbranch_execz .LBB283_233
; %bb.228:                              ;   in Loop: Header=BB283_13 Depth=1
	v_bfe_u32 v61, v11, 16, 7
	v_mov_b32_e32 v59, 0x7c01
	s_mov_b32 s50, exec_lo
	v_cmpx_ne_u32_e32 0x7f, v61
	s_cbranch_execz .LBB283_232
; %bb.229:                              ;   in Loop: Header=BB283_13 Depth=1
	v_and_b32_e32 v59, 7, v3
	v_lshrrev_b32_e32 v60, 3, v61
	s_mov_b32 s51, exec_lo
	v_cmpx_gt_u32_e32 8, v61
; %bb.230:                              ;   in Loop: Header=BB283_13 Depth=1
	v_ffbh_u32_e32 v59, v59
	v_min_u32_e32 v61, 32, v59
	v_subrev_nc_u32_e32 v59, 28, v61
	v_lshlrev_b64 v[59:60], v59, v[3:4]
	v_sub_nc_u32_e32 v60, 29, v61
	v_and_b32_e32 v59, 7, v59
; %bb.231:                              ;   in Loop: Header=BB283_13 Depth=1
	s_or_b32 exec_lo, exec_lo, s51
	v_lshlrev_b32_e32 v3, 8, v3
	v_lshl_add_u32 v60, v60, 10, 0x2000
	v_lshlrev_b32_e32 v59, 7, v59
	v_and_b32_e32 v3, 0x8000, v3
	v_and_b32_e32 v60, 0xfc00, v60
	v_or3_b32 v59, v3, v60, v59
.LBB283_232:                            ;   in Loop: Header=BB283_13 Depth=1
	s_or_b32 exec_lo, exec_lo, s50
.LBB283_233:                            ;   in Loop: Header=BB283_13 Depth=1
	s_or_b32 exec_lo, exec_lo, s49
.LBB283_234:                            ;   in Loop: Header=BB283_13 Depth=1
	s_or_b32 exec_lo, exec_lo, s48
	s_mov_b32 s48, exec_lo
	v_cmpx_lt_u32_e32 0xffffff, v11
	s_cbranch_execz .LBB283_242
; %bb.235:                              ;   in Loop: Header=BB283_13 Depth=1
	v_lshrrev_b32_e32 v3, 24, v11
	v_bfrev_b32_e32 v58, 1
	s_mov_b32 s49, exec_lo
	v_cmpx_ne_u32_e32 0x80, v3
	s_cbranch_execz .LBB283_241
; %bb.236:                              ;   in Loop: Header=BB283_13 Depth=1
	v_and_b32_e32 v60, 0x7f, v3
	v_mov_b32_e32 v58, 0x7c010000
	s_mov_b32 s50, exec_lo
	v_cmpx_ne_u32_e32 0x7f, v60
	s_cbranch_execz .LBB283_240
; %bb.237:                              ;   in Loop: Header=BB283_13 Depth=1
	v_and_b32_e32 v11, 7, v3
	v_lshrrev_b32_e32 v58, 3, v60
	s_mov_b32 s51, exec_lo
	v_cmpx_gt_u32_e32 8, v60
; %bb.238:                              ;   in Loop: Header=BB283_13 Depth=1
	v_ffbh_u32_e32 v11, v11
	v_min_u32_e32 v11, 32, v11
	v_subrev_nc_u32_e32 v58, 28, v11
	v_lshlrev_b64 v[60:61], v58, v[3:4]
	v_sub_nc_u32_e32 v58, 29, v11
	v_and_b32_e32 v11, 7, v60
; %bb.239:                              ;   in Loop: Header=BB283_13 Depth=1
	s_or_b32 exec_lo, exec_lo, s51
	v_lshlrev_b32_e32 v3, 8, v3
	v_lshl_add_u32 v58, v58, 10, 0x2000
	v_lshlrev_b32_e32 v11, 23, v11
	v_and_or_b32 v3, 0x8000, v3, v58
	v_lshl_or_b32 v58, v3, 16, v11
.LBB283_240:                            ;   in Loop: Header=BB283_13 Depth=1
	s_or_b32 exec_lo, exec_lo, s50
.LBB283_241:                            ;   in Loop: Header=BB283_13 Depth=1
	s_or_b32 exec_lo, exec_lo, s49
.LBB283_242:                            ;   in Loop: Header=BB283_13 Depth=1
	s_or_b32 exec_lo, exec_lo, s48
	global_load_dword v11, v[9:10], off offset:776
	v_mov_b32_e32 v60, 0
	v_mov_b32_e32 v61, 0
	s_waitcnt vmcnt(0)
	v_cmp_ne_u16_sdwa s2, v11, v4 src0_sel:BYTE_0 src1_sel:DWORD
	s_and_saveexec_b32 s48, s2
	s_cbranch_execz .LBB283_250
; %bb.243:                              ;   in Loop: Header=BB283_13 Depth=1
	v_cmp_ne_u16_sdwa s2, v11, v23 src0_sel:BYTE_0 src1_sel:DWORD
	v_mov_b32_e32 v61, 0x8000
	s_and_saveexec_b32 s49, s2
	s_cbranch_execz .LBB283_249
; %bb.244:                              ;   in Loop: Header=BB283_13 Depth=1
	v_and_b32_e32 v62, 0x7f, v11
	v_mov_b32_e32 v61, 0x7c01
	s_mov_b32 s50, exec_lo
	v_cmpx_ne_u32_e32 0x7f, v62
	s_cbranch_execz .LBB283_248
; %bb.245:                              ;   in Loop: Header=BB283_13 Depth=1
	v_and_b32_e32 v3, 7, v11
	v_lshrrev_b32_e32 v61, 3, v62
	s_mov_b32 s51, exec_lo
	v_cmpx_gt_u32_e32 8, v62
; %bb.246:                              ;   in Loop: Header=BB283_13 Depth=1
	v_ffbh_u32_e32 v3, v3
	v_min_u32_e32 v3, 32, v3
	v_subrev_nc_u32_e32 v61, 28, v3
	v_lshlrev_b64 v[62:63], v61, v[11:12]
	v_sub_nc_u32_e32 v61, 29, v3
	v_and_b32_e32 v3, 7, v62
; %bb.247:                              ;   in Loop: Header=BB283_13 Depth=1
	s_or_b32 exec_lo, exec_lo, s51
	v_lshlrev_b32_e32 v62, 8, v11
	v_lshl_add_u32 v61, v61, 10, 0x2000
	v_lshlrev_b32_e32 v3, 7, v3
	v_and_b32_e32 v62, 0x8000, v62
	v_and_b32_e32 v61, 0xfc00, v61
	v_or3_b32 v61, v62, v61, v3
.LBB283_248:                            ;   in Loop: Header=BB283_13 Depth=1
	s_or_b32 exec_lo, exec_lo, s50
.LBB283_249:                            ;   in Loop: Header=BB283_13 Depth=1
	s_or_b32 exec_lo, exec_lo, s49
.LBB283_250:                            ;   in Loop: Header=BB283_13 Depth=1
	s_or_b32 exec_lo, exec_lo, s48
	v_lshrrev_b16 v3, 8, v11
	s_mov_b32 s48, exec_lo
	v_cmpx_ne_u16_e32 0, v3
	s_cbranch_execz .LBB283_258
; %bb.251:                              ;   in Loop: Header=BB283_13 Depth=1
	v_bfrev_b32_e32 v60, 1
	s_mov_b32 s49, exec_lo
	v_cmpx_ne_u16_e32 0x80, v3
	s_cbranch_execz .LBB283_257
; %bb.252:                              ;   in Loop: Header=BB283_13 Depth=1
	v_and_b32_sdwa v63, v3, v24 dst_sel:DWORD dst_unused:UNUSED_PAD src0_sel:WORD_0 src1_sel:DWORD
	v_mov_b32_e32 v60, 0x7c010000
	s_mov_b32 s50, exec_lo
	v_cmpx_ne_u32_e32 0x7f, v63
	s_cbranch_execz .LBB283_256
; %bb.253:                              ;   in Loop: Header=BB283_13 Depth=1
	v_and_b32_sdwa v60, v3, v25 dst_sel:DWORD dst_unused:UNUSED_PAD src0_sel:WORD_0 src1_sel:DWORD
	v_lshrrev_b32_e32 v62, 3, v63
	s_mov_b32 s51, exec_lo
	v_cmpx_gt_u32_e32 8, v63
; %bb.254:                              ;   in Loop: Header=BB283_13 Depth=1
	v_ffbh_u32_e32 v60, v60
	v_min_u32_e32 v60, 32, v60
	v_subrev_nc_u32_e32 v62, 28, v60
	v_lshlrev_b64 v[63:64], v62, v[3:4]
	v_sub_nc_u32_e32 v62, 29, v60
	v_and_b32_e32 v60, 7, v63
; %bb.255:                              ;   in Loop: Header=BB283_13 Depth=1
	s_or_b32 exec_lo, exec_lo, s51
	v_lshlrev_b32_sdwa v3, v26, v3 dst_sel:DWORD dst_unused:UNUSED_PAD src0_sel:DWORD src1_sel:WORD_0
	v_lshl_add_u32 v62, v62, 10, 0x2000
	v_lshlrev_b32_e32 v60, 23, v60
	v_and_or_b32 v3, 0x8000, v3, v62
	v_lshl_or_b32 v60, v3, 16, v60
.LBB283_256:                            ;   in Loop: Header=BB283_13 Depth=1
	s_or_b32 exec_lo, exec_lo, s50
.LBB283_257:                            ;   in Loop: Header=BB283_13 Depth=1
	s_or_b32 exec_lo, exec_lo, s49
.LBB283_258:                            ;   in Loop: Header=BB283_13 Depth=1
	s_or_b32 exec_lo, exec_lo, s48
	v_lshrrev_b32_e32 v3, 16, v11
	v_mov_b32_e32 v62, 0
	v_mov_b32_e32 v63, 0
	v_cmp_ne_u16_sdwa s2, v3, v4 src0_sel:BYTE_0 src1_sel:DWORD
	s_and_saveexec_b32 s48, s2
	s_cbranch_execz .LBB283_266
; %bb.259:                              ;   in Loop: Header=BB283_13 Depth=1
	v_cmp_ne_u16_sdwa s2, v3, v23 src0_sel:BYTE_0 src1_sel:DWORD
	v_mov_b32_e32 v63, 0x8000
	s_and_saveexec_b32 s49, s2
	s_cbranch_execz .LBB283_265
; %bb.260:                              ;   in Loop: Header=BB283_13 Depth=1
	v_bfe_u32 v65, v11, 16, 7
	v_mov_b32_e32 v63, 0x7c01
	s_mov_b32 s50, exec_lo
	v_cmpx_ne_u32_e32 0x7f, v65
	s_cbranch_execz .LBB283_264
; %bb.261:                              ;   in Loop: Header=BB283_13 Depth=1
	v_and_b32_e32 v63, 7, v3
	v_lshrrev_b32_e32 v64, 3, v65
	s_mov_b32 s51, exec_lo
	v_cmpx_gt_u32_e32 8, v65
; %bb.262:                              ;   in Loop: Header=BB283_13 Depth=1
	v_ffbh_u32_e32 v63, v63
	v_min_u32_e32 v65, 32, v63
	v_subrev_nc_u32_e32 v63, 28, v65
	v_lshlrev_b64 v[63:64], v63, v[3:4]
	v_sub_nc_u32_e32 v64, 29, v65
	v_and_b32_e32 v63, 7, v63
; %bb.263:                              ;   in Loop: Header=BB283_13 Depth=1
	s_or_b32 exec_lo, exec_lo, s51
	v_lshlrev_b32_e32 v3, 8, v3
	v_lshl_add_u32 v64, v64, 10, 0x2000
	v_lshlrev_b32_e32 v63, 7, v63
	v_and_b32_e32 v3, 0x8000, v3
	v_and_b32_e32 v64, 0xfc00, v64
	v_or3_b32 v63, v3, v64, v63
.LBB283_264:                            ;   in Loop: Header=BB283_13 Depth=1
	s_or_b32 exec_lo, exec_lo, s50
.LBB283_265:                            ;   in Loop: Header=BB283_13 Depth=1
	s_or_b32 exec_lo, exec_lo, s49
.LBB283_266:                            ;   in Loop: Header=BB283_13 Depth=1
	s_or_b32 exec_lo, exec_lo, s48
	s_mov_b32 s48, exec_lo
	v_cmpx_lt_u32_e32 0xffffff, v11
	s_cbranch_execz .LBB283_274
; %bb.267:                              ;   in Loop: Header=BB283_13 Depth=1
	v_lshrrev_b32_e32 v3, 24, v11
	v_bfrev_b32_e32 v62, 1
	s_mov_b32 s49, exec_lo
	v_cmpx_ne_u32_e32 0x80, v3
	s_cbranch_execz .LBB283_273
; %bb.268:                              ;   in Loop: Header=BB283_13 Depth=1
	v_and_b32_e32 v64, 0x7f, v3
	v_mov_b32_e32 v62, 0x7c010000
	s_mov_b32 s50, exec_lo
	v_cmpx_ne_u32_e32 0x7f, v64
	s_cbranch_execz .LBB283_272
; %bb.269:                              ;   in Loop: Header=BB283_13 Depth=1
	v_and_b32_e32 v11, 7, v3
	v_lshrrev_b32_e32 v62, 3, v64
	s_mov_b32 s51, exec_lo
	v_cmpx_gt_u32_e32 8, v64
; %bb.270:                              ;   in Loop: Header=BB283_13 Depth=1
	v_ffbh_u32_e32 v11, v11
	v_min_u32_e32 v11, 32, v11
	v_subrev_nc_u32_e32 v62, 28, v11
	v_lshlrev_b64 v[64:65], v62, v[3:4]
	v_sub_nc_u32_e32 v62, 29, v11
	v_and_b32_e32 v11, 7, v64
; %bb.271:                              ;   in Loop: Header=BB283_13 Depth=1
	s_or_b32 exec_lo, exec_lo, s51
	v_lshlrev_b32_e32 v3, 8, v3
	v_lshl_add_u32 v62, v62, 10, 0x2000
	v_lshlrev_b32_e32 v11, 23, v11
	v_and_or_b32 v3, 0x8000, v3, v62
	v_lshl_or_b32 v62, v3, 16, v11
.LBB283_272:                            ;   in Loop: Header=BB283_13 Depth=1
	s_or_b32 exec_lo, exec_lo, s50
.LBB283_273:                            ;   in Loop: Header=BB283_13 Depth=1
	s_or_b32 exec_lo, exec_lo, s49
.LBB283_274:                            ;   in Loop: Header=BB283_13 Depth=1
	s_or_b32 exec_lo, exec_lo, s48
	global_load_dword v11, v[9:10], off offset:1024
	v_mov_b32_e32 v64, 0
	v_mov_b32_e32 v65, 0
	s_waitcnt vmcnt(0)
	v_cmp_ne_u16_sdwa s2, v11, v4 src0_sel:BYTE_0 src1_sel:DWORD
	s_and_saveexec_b32 s48, s2
	s_cbranch_execz .LBB283_282
; %bb.275:                              ;   in Loop: Header=BB283_13 Depth=1
	v_cmp_ne_u16_sdwa s2, v11, v23 src0_sel:BYTE_0 src1_sel:DWORD
	v_mov_b32_e32 v65, 0x8000
	s_and_saveexec_b32 s49, s2
	s_cbranch_execz .LBB283_281
; %bb.276:                              ;   in Loop: Header=BB283_13 Depth=1
	v_and_b32_e32 v66, 0x7f, v11
	v_mov_b32_e32 v65, 0x7c01
	s_mov_b32 s50, exec_lo
	v_cmpx_ne_u32_e32 0x7f, v66
	s_cbranch_execz .LBB283_280
; %bb.277:                              ;   in Loop: Header=BB283_13 Depth=1
	v_and_b32_e32 v3, 7, v11
	v_lshrrev_b32_e32 v65, 3, v66
	s_mov_b32 s51, exec_lo
	v_cmpx_gt_u32_e32 8, v66
; %bb.278:                              ;   in Loop: Header=BB283_13 Depth=1
	v_ffbh_u32_e32 v3, v3
	v_min_u32_e32 v3, 32, v3
	v_subrev_nc_u32_e32 v65, 28, v3
	v_lshlrev_b64 v[66:67], v65, v[11:12]
	v_sub_nc_u32_e32 v65, 29, v3
	v_and_b32_e32 v3, 7, v66
; %bb.279:                              ;   in Loop: Header=BB283_13 Depth=1
	s_or_b32 exec_lo, exec_lo, s51
	v_lshlrev_b32_e32 v66, 8, v11
	v_lshl_add_u32 v65, v65, 10, 0x2000
	v_lshlrev_b32_e32 v3, 7, v3
	v_and_b32_e32 v66, 0x8000, v66
	v_and_b32_e32 v65, 0xfc00, v65
	v_or3_b32 v65, v66, v65, v3
.LBB283_280:                            ;   in Loop: Header=BB283_13 Depth=1
	s_or_b32 exec_lo, exec_lo, s50
.LBB283_281:                            ;   in Loop: Header=BB283_13 Depth=1
	s_or_b32 exec_lo, exec_lo, s49
.LBB283_282:                            ;   in Loop: Header=BB283_13 Depth=1
	s_or_b32 exec_lo, exec_lo, s48
	v_lshrrev_b16 v3, 8, v11
	s_mov_b32 s48, exec_lo
	v_cmpx_ne_u16_e32 0, v3
	s_cbranch_execz .LBB283_290
; %bb.283:                              ;   in Loop: Header=BB283_13 Depth=1
	v_bfrev_b32_e32 v64, 1
	s_mov_b32 s49, exec_lo
	v_cmpx_ne_u16_e32 0x80, v3
	s_cbranch_execz .LBB283_289
; %bb.284:                              ;   in Loop: Header=BB283_13 Depth=1
	v_and_b32_sdwa v67, v3, v24 dst_sel:DWORD dst_unused:UNUSED_PAD src0_sel:WORD_0 src1_sel:DWORD
	v_mov_b32_e32 v64, 0x7c010000
	s_mov_b32 s50, exec_lo
	v_cmpx_ne_u32_e32 0x7f, v67
	s_cbranch_execz .LBB283_288
; %bb.285:                              ;   in Loop: Header=BB283_13 Depth=1
	v_and_b32_sdwa v64, v3, v25 dst_sel:DWORD dst_unused:UNUSED_PAD src0_sel:WORD_0 src1_sel:DWORD
	v_lshrrev_b32_e32 v66, 3, v67
	s_mov_b32 s51, exec_lo
	v_cmpx_gt_u32_e32 8, v67
; %bb.286:                              ;   in Loop: Header=BB283_13 Depth=1
	v_ffbh_u32_e32 v64, v64
	v_min_u32_e32 v64, 32, v64
	v_subrev_nc_u32_e32 v66, 28, v64
	v_lshlrev_b64 v[67:68], v66, v[3:4]
	v_sub_nc_u32_e32 v66, 29, v64
	v_and_b32_e32 v64, 7, v67
; %bb.287:                              ;   in Loop: Header=BB283_13 Depth=1
	s_or_b32 exec_lo, exec_lo, s51
	v_lshlrev_b32_sdwa v3, v26, v3 dst_sel:DWORD dst_unused:UNUSED_PAD src0_sel:DWORD src1_sel:WORD_0
	v_lshl_add_u32 v66, v66, 10, 0x2000
	v_lshlrev_b32_e32 v64, 23, v64
	v_and_or_b32 v3, 0x8000, v3, v66
	v_lshl_or_b32 v64, v3, 16, v64
.LBB283_288:                            ;   in Loop: Header=BB283_13 Depth=1
	s_or_b32 exec_lo, exec_lo, s50
.LBB283_289:                            ;   in Loop: Header=BB283_13 Depth=1
	s_or_b32 exec_lo, exec_lo, s49
.LBB283_290:                            ;   in Loop: Header=BB283_13 Depth=1
	s_or_b32 exec_lo, exec_lo, s48
	v_lshrrev_b32_e32 v3, 16, v11
	v_mov_b32_e32 v66, 0
	v_mov_b32_e32 v67, 0
	v_cmp_ne_u16_sdwa s2, v3, v4 src0_sel:BYTE_0 src1_sel:DWORD
	s_and_saveexec_b32 s48, s2
	s_cbranch_execz .LBB283_298
; %bb.291:                              ;   in Loop: Header=BB283_13 Depth=1
	v_cmp_ne_u16_sdwa s2, v3, v23 src0_sel:BYTE_0 src1_sel:DWORD
	v_mov_b32_e32 v67, 0x8000
	s_and_saveexec_b32 s49, s2
	s_cbranch_execz .LBB283_297
; %bb.292:                              ;   in Loop: Header=BB283_13 Depth=1
	v_bfe_u32 v69, v11, 16, 7
	v_mov_b32_e32 v67, 0x7c01
	s_mov_b32 s50, exec_lo
	v_cmpx_ne_u32_e32 0x7f, v69
	s_cbranch_execz .LBB283_296
; %bb.293:                              ;   in Loop: Header=BB283_13 Depth=1
	v_and_b32_e32 v67, 7, v3
	v_lshrrev_b32_e32 v68, 3, v69
	s_mov_b32 s51, exec_lo
	v_cmpx_gt_u32_e32 8, v69
; %bb.294:                              ;   in Loop: Header=BB283_13 Depth=1
	v_ffbh_u32_e32 v67, v67
	v_min_u32_e32 v69, 32, v67
	v_subrev_nc_u32_e32 v67, 28, v69
	v_lshlrev_b64 v[67:68], v67, v[3:4]
	v_sub_nc_u32_e32 v68, 29, v69
	v_and_b32_e32 v67, 7, v67
; %bb.295:                              ;   in Loop: Header=BB283_13 Depth=1
	s_or_b32 exec_lo, exec_lo, s51
	v_lshlrev_b32_e32 v3, 8, v3
	v_lshl_add_u32 v68, v68, 10, 0x2000
	v_lshlrev_b32_e32 v67, 7, v67
	v_and_b32_e32 v3, 0x8000, v3
	v_and_b32_e32 v68, 0xfc00, v68
	v_or3_b32 v67, v3, v68, v67
.LBB283_296:                            ;   in Loop: Header=BB283_13 Depth=1
	s_or_b32 exec_lo, exec_lo, s50
.LBB283_297:                            ;   in Loop: Header=BB283_13 Depth=1
	s_or_b32 exec_lo, exec_lo, s49
.LBB283_298:                            ;   in Loop: Header=BB283_13 Depth=1
	s_or_b32 exec_lo, exec_lo, s48
	s_mov_b32 s48, exec_lo
	v_cmpx_lt_u32_e32 0xffffff, v11
	s_cbranch_execz .LBB283_306
; %bb.299:                              ;   in Loop: Header=BB283_13 Depth=1
	v_lshrrev_b32_e32 v3, 24, v11
	v_bfrev_b32_e32 v66, 1
	s_mov_b32 s49, exec_lo
	v_cmpx_ne_u32_e32 0x80, v3
	s_cbranch_execz .LBB283_305
; %bb.300:                              ;   in Loop: Header=BB283_13 Depth=1
	v_and_b32_e32 v68, 0x7f, v3
	v_mov_b32_e32 v66, 0x7c010000
	s_mov_b32 s50, exec_lo
	v_cmpx_ne_u32_e32 0x7f, v68
	s_cbranch_execz .LBB283_304
; %bb.301:                              ;   in Loop: Header=BB283_13 Depth=1
	v_and_b32_e32 v11, 7, v3
	v_lshrrev_b32_e32 v66, 3, v68
	s_mov_b32 s51, exec_lo
	v_cmpx_gt_u32_e32 8, v68
; %bb.302:                              ;   in Loop: Header=BB283_13 Depth=1
	v_ffbh_u32_e32 v11, v11
	v_min_u32_e32 v11, 32, v11
	v_subrev_nc_u32_e32 v66, 28, v11
	v_lshlrev_b64 v[68:69], v66, v[3:4]
	v_sub_nc_u32_e32 v66, 29, v11
	v_and_b32_e32 v11, 7, v68
; %bb.303:                              ;   in Loop: Header=BB283_13 Depth=1
	s_or_b32 exec_lo, exec_lo, s51
	v_lshlrev_b32_e32 v3, 8, v3
	v_lshl_add_u32 v66, v66, 10, 0x2000
	v_lshlrev_b32_e32 v11, 23, v11
	v_and_or_b32 v3, 0x8000, v3, v66
	v_lshl_or_b32 v66, v3, 16, v11
.LBB283_304:                            ;   in Loop: Header=BB283_13 Depth=1
	s_or_b32 exec_lo, exec_lo, s50
.LBB283_305:                            ;   in Loop: Header=BB283_13 Depth=1
	s_or_b32 exec_lo, exec_lo, s49
.LBB283_306:                            ;   in Loop: Header=BB283_13 Depth=1
	s_or_b32 exec_lo, exec_lo, s48
	global_load_dword v11, v[9:10], off offset:1032
	v_mov_b32_e32 v68, 0
	v_mov_b32_e32 v69, 0
	s_waitcnt vmcnt(0)
	v_cmp_ne_u16_sdwa s2, v11, v4 src0_sel:BYTE_0 src1_sel:DWORD
	s_and_saveexec_b32 s48, s2
	s_cbranch_execz .LBB283_314
; %bb.307:                              ;   in Loop: Header=BB283_13 Depth=1
	v_cmp_ne_u16_sdwa s2, v11, v23 src0_sel:BYTE_0 src1_sel:DWORD
	v_mov_b32_e32 v69, 0x8000
	s_and_saveexec_b32 s49, s2
	s_cbranch_execz .LBB283_313
; %bb.308:                              ;   in Loop: Header=BB283_13 Depth=1
	v_and_b32_e32 v70, 0x7f, v11
	v_mov_b32_e32 v69, 0x7c01
	s_mov_b32 s50, exec_lo
	v_cmpx_ne_u32_e32 0x7f, v70
	s_cbranch_execz .LBB283_312
; %bb.309:                              ;   in Loop: Header=BB283_13 Depth=1
	v_and_b32_e32 v3, 7, v11
	v_lshrrev_b32_e32 v69, 3, v70
	s_mov_b32 s51, exec_lo
	v_cmpx_gt_u32_e32 8, v70
; %bb.310:                              ;   in Loop: Header=BB283_13 Depth=1
	v_ffbh_u32_e32 v3, v3
	v_min_u32_e32 v3, 32, v3
	v_subrev_nc_u32_e32 v69, 28, v3
	v_lshlrev_b64 v[70:71], v69, v[11:12]
	v_sub_nc_u32_e32 v69, 29, v3
	v_and_b32_e32 v3, 7, v70
; %bb.311:                              ;   in Loop: Header=BB283_13 Depth=1
	s_or_b32 exec_lo, exec_lo, s51
	v_lshlrev_b32_e32 v70, 8, v11
	v_lshl_add_u32 v69, v69, 10, 0x2000
	v_lshlrev_b32_e32 v3, 7, v3
	v_and_b32_e32 v70, 0x8000, v70
	v_and_b32_e32 v69, 0xfc00, v69
	v_or3_b32 v69, v70, v69, v3
.LBB283_312:                            ;   in Loop: Header=BB283_13 Depth=1
	s_or_b32 exec_lo, exec_lo, s50
.LBB283_313:                            ;   in Loop: Header=BB283_13 Depth=1
	s_or_b32 exec_lo, exec_lo, s49
.LBB283_314:                            ;   in Loop: Header=BB283_13 Depth=1
	s_or_b32 exec_lo, exec_lo, s48
	v_lshrrev_b16 v3, 8, v11
	s_mov_b32 s48, exec_lo
	v_cmpx_ne_u16_e32 0, v3
	s_cbranch_execz .LBB283_322
; %bb.315:                              ;   in Loop: Header=BB283_13 Depth=1
	v_bfrev_b32_e32 v68, 1
	s_mov_b32 s49, exec_lo
	v_cmpx_ne_u16_e32 0x80, v3
	s_cbranch_execz .LBB283_321
; %bb.316:                              ;   in Loop: Header=BB283_13 Depth=1
	v_and_b32_sdwa v71, v3, v24 dst_sel:DWORD dst_unused:UNUSED_PAD src0_sel:WORD_0 src1_sel:DWORD
	v_mov_b32_e32 v68, 0x7c010000
	s_mov_b32 s50, exec_lo
	v_cmpx_ne_u32_e32 0x7f, v71
	s_cbranch_execz .LBB283_320
; %bb.317:                              ;   in Loop: Header=BB283_13 Depth=1
	v_and_b32_sdwa v68, v3, v25 dst_sel:DWORD dst_unused:UNUSED_PAD src0_sel:WORD_0 src1_sel:DWORD
	v_lshrrev_b32_e32 v70, 3, v71
	s_mov_b32 s51, exec_lo
	v_cmpx_gt_u32_e32 8, v71
; %bb.318:                              ;   in Loop: Header=BB283_13 Depth=1
	v_ffbh_u32_e32 v68, v68
	v_min_u32_e32 v68, 32, v68
	v_subrev_nc_u32_e32 v70, 28, v68
	v_lshlrev_b64 v[71:72], v70, v[3:4]
	v_sub_nc_u32_e32 v70, 29, v68
	v_and_b32_e32 v68, 7, v71
; %bb.319:                              ;   in Loop: Header=BB283_13 Depth=1
	s_or_b32 exec_lo, exec_lo, s51
	v_lshlrev_b32_sdwa v3, v26, v3 dst_sel:DWORD dst_unused:UNUSED_PAD src0_sel:DWORD src1_sel:WORD_0
	v_lshl_add_u32 v70, v70, 10, 0x2000
	v_lshlrev_b32_e32 v68, 23, v68
	v_and_or_b32 v3, 0x8000, v3, v70
	v_lshl_or_b32 v68, v3, 16, v68
.LBB283_320:                            ;   in Loop: Header=BB283_13 Depth=1
	s_or_b32 exec_lo, exec_lo, s50
.LBB283_321:                            ;   in Loop: Header=BB283_13 Depth=1
	s_or_b32 exec_lo, exec_lo, s49
.LBB283_322:                            ;   in Loop: Header=BB283_13 Depth=1
	s_or_b32 exec_lo, exec_lo, s48
	v_lshrrev_b32_e32 v3, 16, v11
	v_mov_b32_e32 v70, 0
	v_mov_b32_e32 v71, 0
	v_cmp_ne_u16_sdwa s2, v3, v4 src0_sel:BYTE_0 src1_sel:DWORD
	s_and_saveexec_b32 s48, s2
	s_cbranch_execz .LBB283_330
; %bb.323:                              ;   in Loop: Header=BB283_13 Depth=1
	v_cmp_ne_u16_sdwa s2, v3, v23 src0_sel:BYTE_0 src1_sel:DWORD
	v_mov_b32_e32 v71, 0x8000
	s_and_saveexec_b32 s49, s2
	s_cbranch_execz .LBB283_329
; %bb.324:                              ;   in Loop: Header=BB283_13 Depth=1
	v_bfe_u32 v73, v11, 16, 7
	v_mov_b32_e32 v71, 0x7c01
	s_mov_b32 s50, exec_lo
	v_cmpx_ne_u32_e32 0x7f, v73
	s_cbranch_execz .LBB283_328
; %bb.325:                              ;   in Loop: Header=BB283_13 Depth=1
	v_and_b32_e32 v71, 7, v3
	v_lshrrev_b32_e32 v72, 3, v73
	s_mov_b32 s51, exec_lo
	v_cmpx_gt_u32_e32 8, v73
; %bb.326:                              ;   in Loop: Header=BB283_13 Depth=1
	v_ffbh_u32_e32 v71, v71
	v_min_u32_e32 v73, 32, v71
	v_subrev_nc_u32_e32 v71, 28, v73
	v_lshlrev_b64 v[71:72], v71, v[3:4]
	v_sub_nc_u32_e32 v72, 29, v73
	v_and_b32_e32 v71, 7, v71
; %bb.327:                              ;   in Loop: Header=BB283_13 Depth=1
	s_or_b32 exec_lo, exec_lo, s51
	v_lshlrev_b32_e32 v3, 8, v3
	v_lshl_add_u32 v72, v72, 10, 0x2000
	v_lshlrev_b32_e32 v71, 7, v71
	v_and_b32_e32 v3, 0x8000, v3
	v_and_b32_e32 v72, 0xfc00, v72
	v_or3_b32 v71, v3, v72, v71
.LBB283_328:                            ;   in Loop: Header=BB283_13 Depth=1
	s_or_b32 exec_lo, exec_lo, s50
.LBB283_329:                            ;   in Loop: Header=BB283_13 Depth=1
	s_or_b32 exec_lo, exec_lo, s49
.LBB283_330:                            ;   in Loop: Header=BB283_13 Depth=1
	s_or_b32 exec_lo, exec_lo, s48
	s_mov_b32 s48, exec_lo
	v_cmpx_lt_u32_e32 0xffffff, v11
	s_cbranch_execz .LBB283_338
; %bb.331:                              ;   in Loop: Header=BB283_13 Depth=1
	v_lshrrev_b32_e32 v3, 24, v11
	v_bfrev_b32_e32 v70, 1
	s_mov_b32 s49, exec_lo
	v_cmpx_ne_u32_e32 0x80, v3
	s_cbranch_execz .LBB283_337
; %bb.332:                              ;   in Loop: Header=BB283_13 Depth=1
	v_and_b32_e32 v72, 0x7f, v3
	v_mov_b32_e32 v70, 0x7c010000
	s_mov_b32 s50, exec_lo
	v_cmpx_ne_u32_e32 0x7f, v72
	s_cbranch_execz .LBB283_336
; %bb.333:                              ;   in Loop: Header=BB283_13 Depth=1
	v_and_b32_e32 v11, 7, v3
	v_lshrrev_b32_e32 v70, 3, v72
	s_mov_b32 s51, exec_lo
	v_cmpx_gt_u32_e32 8, v72
; %bb.334:                              ;   in Loop: Header=BB283_13 Depth=1
	v_ffbh_u32_e32 v11, v11
	v_min_u32_e32 v11, 32, v11
	v_subrev_nc_u32_e32 v70, 28, v11
	v_lshlrev_b64 v[72:73], v70, v[3:4]
	v_sub_nc_u32_e32 v70, 29, v11
	v_and_b32_e32 v11, 7, v72
; %bb.335:                              ;   in Loop: Header=BB283_13 Depth=1
	s_or_b32 exec_lo, exec_lo, s51
	v_lshlrev_b32_e32 v3, 8, v3
	v_lshl_add_u32 v70, v70, 10, 0x2000
	v_lshlrev_b32_e32 v11, 23, v11
	v_and_or_b32 v3, 0x8000, v3, v70
	v_lshl_or_b32 v70, v3, 16, v11
.LBB283_336:                            ;   in Loop: Header=BB283_13 Depth=1
	s_or_b32 exec_lo, exec_lo, s50
.LBB283_337:                            ;   in Loop: Header=BB283_13 Depth=1
	s_or_b32 exec_lo, exec_lo, s49
.LBB283_338:                            ;   in Loop: Header=BB283_13 Depth=1
	s_or_b32 exec_lo, exec_lo, s48
	global_load_dword v11, v[9:10], off offset:1280
	v_mov_b32_e32 v72, 0
	v_mov_b32_e32 v73, 0
	s_waitcnt vmcnt(0)
	v_cmp_ne_u16_sdwa s2, v11, v4 src0_sel:BYTE_0 src1_sel:DWORD
	s_and_saveexec_b32 s48, s2
	s_cbranch_execz .LBB283_346
; %bb.339:                              ;   in Loop: Header=BB283_13 Depth=1
	v_cmp_ne_u16_sdwa s2, v11, v23 src0_sel:BYTE_0 src1_sel:DWORD
	v_mov_b32_e32 v73, 0x8000
	s_and_saveexec_b32 s49, s2
	s_cbranch_execz .LBB283_345
; %bb.340:                              ;   in Loop: Header=BB283_13 Depth=1
	v_and_b32_e32 v74, 0x7f, v11
	v_mov_b32_e32 v73, 0x7c01
	s_mov_b32 s50, exec_lo
	v_cmpx_ne_u32_e32 0x7f, v74
	s_cbranch_execz .LBB283_344
; %bb.341:                              ;   in Loop: Header=BB283_13 Depth=1
	v_and_b32_e32 v3, 7, v11
	v_lshrrev_b32_e32 v73, 3, v74
	s_mov_b32 s51, exec_lo
	v_cmpx_gt_u32_e32 8, v74
; %bb.342:                              ;   in Loop: Header=BB283_13 Depth=1
	v_ffbh_u32_e32 v3, v3
	v_min_u32_e32 v3, 32, v3
	v_subrev_nc_u32_e32 v73, 28, v3
	v_lshlrev_b64 v[74:75], v73, v[11:12]
	v_sub_nc_u32_e32 v73, 29, v3
	v_and_b32_e32 v3, 7, v74
; %bb.343:                              ;   in Loop: Header=BB283_13 Depth=1
	s_or_b32 exec_lo, exec_lo, s51
	v_lshlrev_b32_e32 v74, 8, v11
	v_lshl_add_u32 v73, v73, 10, 0x2000
	v_lshlrev_b32_e32 v3, 7, v3
	v_and_b32_e32 v74, 0x8000, v74
	v_and_b32_e32 v73, 0xfc00, v73
	v_or3_b32 v73, v74, v73, v3
.LBB283_344:                            ;   in Loop: Header=BB283_13 Depth=1
	s_or_b32 exec_lo, exec_lo, s50
.LBB283_345:                            ;   in Loop: Header=BB283_13 Depth=1
	s_or_b32 exec_lo, exec_lo, s49
.LBB283_346:                            ;   in Loop: Header=BB283_13 Depth=1
	s_or_b32 exec_lo, exec_lo, s48
	v_lshrrev_b16 v3, 8, v11
	s_mov_b32 s48, exec_lo
	v_cmpx_ne_u16_e32 0, v3
	s_cbranch_execz .LBB283_354
; %bb.347:                              ;   in Loop: Header=BB283_13 Depth=1
	v_bfrev_b32_e32 v72, 1
	s_mov_b32 s49, exec_lo
	v_cmpx_ne_u16_e32 0x80, v3
	s_cbranch_execz .LBB283_353
; %bb.348:                              ;   in Loop: Header=BB283_13 Depth=1
	v_and_b32_sdwa v75, v3, v24 dst_sel:DWORD dst_unused:UNUSED_PAD src0_sel:WORD_0 src1_sel:DWORD
	v_mov_b32_e32 v72, 0x7c010000
	s_mov_b32 s50, exec_lo
	v_cmpx_ne_u32_e32 0x7f, v75
	s_cbranch_execz .LBB283_352
; %bb.349:                              ;   in Loop: Header=BB283_13 Depth=1
	v_and_b32_sdwa v72, v3, v25 dst_sel:DWORD dst_unused:UNUSED_PAD src0_sel:WORD_0 src1_sel:DWORD
	v_lshrrev_b32_e32 v74, 3, v75
	s_mov_b32 s51, exec_lo
	v_cmpx_gt_u32_e32 8, v75
; %bb.350:                              ;   in Loop: Header=BB283_13 Depth=1
	v_ffbh_u32_e32 v72, v72
	v_min_u32_e32 v72, 32, v72
	v_subrev_nc_u32_e32 v74, 28, v72
	v_lshlrev_b64 v[75:76], v74, v[3:4]
	v_sub_nc_u32_e32 v74, 29, v72
	v_and_b32_e32 v72, 7, v75
; %bb.351:                              ;   in Loop: Header=BB283_13 Depth=1
	s_or_b32 exec_lo, exec_lo, s51
	v_lshlrev_b32_sdwa v3, v26, v3 dst_sel:DWORD dst_unused:UNUSED_PAD src0_sel:DWORD src1_sel:WORD_0
	v_lshl_add_u32 v74, v74, 10, 0x2000
	v_lshlrev_b32_e32 v72, 23, v72
	v_and_or_b32 v3, 0x8000, v3, v74
	v_lshl_or_b32 v72, v3, 16, v72
.LBB283_352:                            ;   in Loop: Header=BB283_13 Depth=1
	s_or_b32 exec_lo, exec_lo, s50
.LBB283_353:                            ;   in Loop: Header=BB283_13 Depth=1
	s_or_b32 exec_lo, exec_lo, s49
.LBB283_354:                            ;   in Loop: Header=BB283_13 Depth=1
	s_or_b32 exec_lo, exec_lo, s48
	v_lshrrev_b32_e32 v3, 16, v11
	v_mov_b32_e32 v74, 0
	v_mov_b32_e32 v75, 0
	v_cmp_ne_u16_sdwa s2, v3, v4 src0_sel:BYTE_0 src1_sel:DWORD
	s_and_saveexec_b32 s48, s2
	s_cbranch_execz .LBB283_362
; %bb.355:                              ;   in Loop: Header=BB283_13 Depth=1
	v_cmp_ne_u16_sdwa s2, v3, v23 src0_sel:BYTE_0 src1_sel:DWORD
	v_mov_b32_e32 v75, 0x8000
	s_and_saveexec_b32 s49, s2
	s_cbranch_execz .LBB283_361
; %bb.356:                              ;   in Loop: Header=BB283_13 Depth=1
	v_bfe_u32 v77, v11, 16, 7
	v_mov_b32_e32 v75, 0x7c01
	s_mov_b32 s50, exec_lo
	v_cmpx_ne_u32_e32 0x7f, v77
	s_cbranch_execz .LBB283_360
; %bb.357:                              ;   in Loop: Header=BB283_13 Depth=1
	v_and_b32_e32 v75, 7, v3
	v_lshrrev_b32_e32 v76, 3, v77
	s_mov_b32 s51, exec_lo
	v_cmpx_gt_u32_e32 8, v77
; %bb.358:                              ;   in Loop: Header=BB283_13 Depth=1
	v_ffbh_u32_e32 v75, v75
	v_min_u32_e32 v77, 32, v75
	v_subrev_nc_u32_e32 v75, 28, v77
	v_lshlrev_b64 v[75:76], v75, v[3:4]
	v_sub_nc_u32_e32 v76, 29, v77
	v_and_b32_e32 v75, 7, v75
; %bb.359:                              ;   in Loop: Header=BB283_13 Depth=1
	s_or_b32 exec_lo, exec_lo, s51
	v_lshlrev_b32_e32 v3, 8, v3
	v_lshl_add_u32 v76, v76, 10, 0x2000
	v_lshlrev_b32_e32 v75, 7, v75
	v_and_b32_e32 v3, 0x8000, v3
	v_and_b32_e32 v76, 0xfc00, v76
	v_or3_b32 v75, v3, v76, v75
.LBB283_360:                            ;   in Loop: Header=BB283_13 Depth=1
	s_or_b32 exec_lo, exec_lo, s50
.LBB283_361:                            ;   in Loop: Header=BB283_13 Depth=1
	s_or_b32 exec_lo, exec_lo, s49
.LBB283_362:                            ;   in Loop: Header=BB283_13 Depth=1
	s_or_b32 exec_lo, exec_lo, s48
	s_mov_b32 s48, exec_lo
	v_cmpx_lt_u32_e32 0xffffff, v11
	s_cbranch_execz .LBB283_370
; %bb.363:                              ;   in Loop: Header=BB283_13 Depth=1
	v_lshrrev_b32_e32 v3, 24, v11
	v_bfrev_b32_e32 v74, 1
	s_mov_b32 s49, exec_lo
	v_cmpx_ne_u32_e32 0x80, v3
	s_cbranch_execz .LBB283_369
; %bb.364:                              ;   in Loop: Header=BB283_13 Depth=1
	v_and_b32_e32 v76, 0x7f, v3
	v_mov_b32_e32 v74, 0x7c010000
	s_mov_b32 s50, exec_lo
	v_cmpx_ne_u32_e32 0x7f, v76
	s_cbranch_execz .LBB283_368
; %bb.365:                              ;   in Loop: Header=BB283_13 Depth=1
	v_and_b32_e32 v11, 7, v3
	v_lshrrev_b32_e32 v74, 3, v76
	s_mov_b32 s51, exec_lo
	v_cmpx_gt_u32_e32 8, v76
; %bb.366:                              ;   in Loop: Header=BB283_13 Depth=1
	v_ffbh_u32_e32 v11, v11
	v_min_u32_e32 v11, 32, v11
	v_subrev_nc_u32_e32 v74, 28, v11
	v_lshlrev_b64 v[76:77], v74, v[3:4]
	v_sub_nc_u32_e32 v74, 29, v11
	v_and_b32_e32 v11, 7, v76
; %bb.367:                              ;   in Loop: Header=BB283_13 Depth=1
	s_or_b32 exec_lo, exec_lo, s51
	v_lshlrev_b32_e32 v3, 8, v3
	v_lshl_add_u32 v74, v74, 10, 0x2000
	v_lshlrev_b32_e32 v11, 23, v11
	v_and_or_b32 v3, 0x8000, v3, v74
	v_lshl_or_b32 v74, v3, 16, v11
.LBB283_368:                            ;   in Loop: Header=BB283_13 Depth=1
	s_or_b32 exec_lo, exec_lo, s50
.LBB283_369:                            ;   in Loop: Header=BB283_13 Depth=1
	s_or_b32 exec_lo, exec_lo, s49
.LBB283_370:                            ;   in Loop: Header=BB283_13 Depth=1
	s_or_b32 exec_lo, exec_lo, s48
	global_load_dword v11, v[9:10], off offset:1288
	v_mov_b32_e32 v76, 0
	v_mov_b32_e32 v77, 0
	s_waitcnt vmcnt(0)
	v_cmp_ne_u16_sdwa s2, v11, v4 src0_sel:BYTE_0 src1_sel:DWORD
	s_and_saveexec_b32 s48, s2
	s_cbranch_execz .LBB283_378
; %bb.371:                              ;   in Loop: Header=BB283_13 Depth=1
	v_cmp_ne_u16_sdwa s2, v11, v23 src0_sel:BYTE_0 src1_sel:DWORD
	v_mov_b32_e32 v77, 0x8000
	s_and_saveexec_b32 s49, s2
	s_cbranch_execz .LBB283_377
; %bb.372:                              ;   in Loop: Header=BB283_13 Depth=1
	v_and_b32_e32 v78, 0x7f, v11
	v_mov_b32_e32 v77, 0x7c01
	s_mov_b32 s50, exec_lo
	v_cmpx_ne_u32_e32 0x7f, v78
	s_cbranch_execz .LBB283_376
; %bb.373:                              ;   in Loop: Header=BB283_13 Depth=1
	v_and_b32_e32 v3, 7, v11
	v_lshrrev_b32_e32 v77, 3, v78
	s_mov_b32 s51, exec_lo
	v_cmpx_gt_u32_e32 8, v78
; %bb.374:                              ;   in Loop: Header=BB283_13 Depth=1
	v_ffbh_u32_e32 v3, v3
	v_min_u32_e32 v3, 32, v3
	v_subrev_nc_u32_e32 v77, 28, v3
	v_lshlrev_b64 v[78:79], v77, v[11:12]
	v_sub_nc_u32_e32 v77, 29, v3
	v_and_b32_e32 v3, 7, v78
; %bb.375:                              ;   in Loop: Header=BB283_13 Depth=1
	s_or_b32 exec_lo, exec_lo, s51
	v_lshlrev_b32_e32 v78, 8, v11
	v_lshl_add_u32 v77, v77, 10, 0x2000
	v_lshlrev_b32_e32 v3, 7, v3
	v_and_b32_e32 v78, 0x8000, v78
	v_and_b32_e32 v77, 0xfc00, v77
	v_or3_b32 v77, v78, v77, v3
.LBB283_376:                            ;   in Loop: Header=BB283_13 Depth=1
	s_or_b32 exec_lo, exec_lo, s50
.LBB283_377:                            ;   in Loop: Header=BB283_13 Depth=1
	s_or_b32 exec_lo, exec_lo, s49
.LBB283_378:                            ;   in Loop: Header=BB283_13 Depth=1
	s_or_b32 exec_lo, exec_lo, s48
	v_lshrrev_b16 v3, 8, v11
	s_mov_b32 s48, exec_lo
	v_cmpx_ne_u16_e32 0, v3
	s_cbranch_execz .LBB283_386
; %bb.379:                              ;   in Loop: Header=BB283_13 Depth=1
	v_bfrev_b32_e32 v76, 1
	s_mov_b32 s49, exec_lo
	v_cmpx_ne_u16_e32 0x80, v3
	s_cbranch_execz .LBB283_385
; %bb.380:                              ;   in Loop: Header=BB283_13 Depth=1
	v_and_b32_sdwa v79, v3, v24 dst_sel:DWORD dst_unused:UNUSED_PAD src0_sel:WORD_0 src1_sel:DWORD
	v_mov_b32_e32 v76, 0x7c010000
	s_mov_b32 s50, exec_lo
	v_cmpx_ne_u32_e32 0x7f, v79
	s_cbranch_execz .LBB283_384
; %bb.381:                              ;   in Loop: Header=BB283_13 Depth=1
	v_and_b32_sdwa v76, v3, v25 dst_sel:DWORD dst_unused:UNUSED_PAD src0_sel:WORD_0 src1_sel:DWORD
	v_lshrrev_b32_e32 v78, 3, v79
	s_mov_b32 s51, exec_lo
	v_cmpx_gt_u32_e32 8, v79
; %bb.382:                              ;   in Loop: Header=BB283_13 Depth=1
	v_ffbh_u32_e32 v76, v76
	v_min_u32_e32 v76, 32, v76
	v_subrev_nc_u32_e32 v78, 28, v76
	v_lshlrev_b64 v[79:80], v78, v[3:4]
	v_sub_nc_u32_e32 v78, 29, v76
	v_and_b32_e32 v76, 7, v79
; %bb.383:                              ;   in Loop: Header=BB283_13 Depth=1
	s_or_b32 exec_lo, exec_lo, s51
	v_lshlrev_b32_sdwa v3, v26, v3 dst_sel:DWORD dst_unused:UNUSED_PAD src0_sel:DWORD src1_sel:WORD_0
	v_lshl_add_u32 v78, v78, 10, 0x2000
	v_lshlrev_b32_e32 v76, 23, v76
	v_and_or_b32 v3, 0x8000, v3, v78
	v_lshl_or_b32 v76, v3, 16, v76
.LBB283_384:                            ;   in Loop: Header=BB283_13 Depth=1
	s_or_b32 exec_lo, exec_lo, s50
.LBB283_385:                            ;   in Loop: Header=BB283_13 Depth=1
	s_or_b32 exec_lo, exec_lo, s49
.LBB283_386:                            ;   in Loop: Header=BB283_13 Depth=1
	s_or_b32 exec_lo, exec_lo, s48
	v_lshrrev_b32_e32 v3, 16, v11
	v_mov_b32_e32 v78, 0
	v_mov_b32_e32 v79, 0
	v_cmp_ne_u16_sdwa s2, v3, v4 src0_sel:BYTE_0 src1_sel:DWORD
	s_and_saveexec_b32 s48, s2
	s_cbranch_execz .LBB283_394
; %bb.387:                              ;   in Loop: Header=BB283_13 Depth=1
	v_cmp_ne_u16_sdwa s2, v3, v23 src0_sel:BYTE_0 src1_sel:DWORD
	v_mov_b32_e32 v79, 0x8000
	s_and_saveexec_b32 s49, s2
	s_cbranch_execz .LBB283_393
; %bb.388:                              ;   in Loop: Header=BB283_13 Depth=1
	v_bfe_u32 v81, v11, 16, 7
	v_mov_b32_e32 v79, 0x7c01
	s_mov_b32 s50, exec_lo
	v_cmpx_ne_u32_e32 0x7f, v81
	s_cbranch_execz .LBB283_392
; %bb.389:                              ;   in Loop: Header=BB283_13 Depth=1
	v_and_b32_e32 v79, 7, v3
	v_lshrrev_b32_e32 v80, 3, v81
	s_mov_b32 s51, exec_lo
	v_cmpx_gt_u32_e32 8, v81
; %bb.390:                              ;   in Loop: Header=BB283_13 Depth=1
	v_ffbh_u32_e32 v79, v79
	v_min_u32_e32 v81, 32, v79
	v_subrev_nc_u32_e32 v79, 28, v81
	v_lshlrev_b64 v[79:80], v79, v[3:4]
	v_sub_nc_u32_e32 v80, 29, v81
	v_and_b32_e32 v79, 7, v79
; %bb.391:                              ;   in Loop: Header=BB283_13 Depth=1
	s_or_b32 exec_lo, exec_lo, s51
	v_lshlrev_b32_e32 v3, 8, v3
	v_lshl_add_u32 v80, v80, 10, 0x2000
	v_lshlrev_b32_e32 v79, 7, v79
	v_and_b32_e32 v3, 0x8000, v3
	v_and_b32_e32 v80, 0xfc00, v80
	v_or3_b32 v79, v3, v80, v79
.LBB283_392:                            ;   in Loop: Header=BB283_13 Depth=1
	s_or_b32 exec_lo, exec_lo, s50
.LBB283_393:                            ;   in Loop: Header=BB283_13 Depth=1
	s_or_b32 exec_lo, exec_lo, s49
.LBB283_394:                            ;   in Loop: Header=BB283_13 Depth=1
	s_or_b32 exec_lo, exec_lo, s48
	s_mov_b32 s48, exec_lo
	v_cmpx_lt_u32_e32 0xffffff, v11
	s_cbranch_execz .LBB283_402
; %bb.395:                              ;   in Loop: Header=BB283_13 Depth=1
	v_lshrrev_b32_e32 v3, 24, v11
	v_bfrev_b32_e32 v78, 1
	s_mov_b32 s49, exec_lo
	v_cmpx_ne_u32_e32 0x80, v3
	s_cbranch_execz .LBB283_401
; %bb.396:                              ;   in Loop: Header=BB283_13 Depth=1
	v_and_b32_e32 v80, 0x7f, v3
	v_mov_b32_e32 v78, 0x7c010000
	s_mov_b32 s50, exec_lo
	v_cmpx_ne_u32_e32 0x7f, v80
	s_cbranch_execz .LBB283_400
; %bb.397:                              ;   in Loop: Header=BB283_13 Depth=1
	v_and_b32_e32 v11, 7, v3
	v_lshrrev_b32_e32 v78, 3, v80
	s_mov_b32 s51, exec_lo
	v_cmpx_gt_u32_e32 8, v80
; %bb.398:                              ;   in Loop: Header=BB283_13 Depth=1
	v_ffbh_u32_e32 v11, v11
	v_min_u32_e32 v11, 32, v11
	v_subrev_nc_u32_e32 v78, 28, v11
	v_lshlrev_b64 v[80:81], v78, v[3:4]
	v_sub_nc_u32_e32 v78, 29, v11
	v_and_b32_e32 v11, 7, v80
; %bb.399:                              ;   in Loop: Header=BB283_13 Depth=1
	s_or_b32 exec_lo, exec_lo, s51
	v_lshlrev_b32_e32 v3, 8, v3
	v_lshl_add_u32 v78, v78, 10, 0x2000
	v_lshlrev_b32_e32 v11, 23, v11
	v_and_or_b32 v3, 0x8000, v3, v78
	v_lshl_or_b32 v78, v3, 16, v11
.LBB283_400:                            ;   in Loop: Header=BB283_13 Depth=1
	s_or_b32 exec_lo, exec_lo, s50
.LBB283_401:                            ;   in Loop: Header=BB283_13 Depth=1
	s_or_b32 exec_lo, exec_lo, s49
.LBB283_402:                            ;   in Loop: Header=BB283_13 Depth=1
	s_or_b32 exec_lo, exec_lo, s48
	global_load_dword v11, v[9:10], off offset:1536
	v_mov_b32_e32 v80, 0
	v_mov_b32_e32 v81, 0
	s_waitcnt vmcnt(0)
	v_cmp_ne_u16_sdwa s2, v11, v4 src0_sel:BYTE_0 src1_sel:DWORD
	s_and_saveexec_b32 s48, s2
	s_cbranch_execz .LBB283_410
; %bb.403:                              ;   in Loop: Header=BB283_13 Depth=1
	v_cmp_ne_u16_sdwa s2, v11, v23 src0_sel:BYTE_0 src1_sel:DWORD
	v_mov_b32_e32 v81, 0x8000
	s_and_saveexec_b32 s49, s2
	s_cbranch_execz .LBB283_409
; %bb.404:                              ;   in Loop: Header=BB283_13 Depth=1
	v_and_b32_e32 v82, 0x7f, v11
	v_mov_b32_e32 v81, 0x7c01
	s_mov_b32 s50, exec_lo
	v_cmpx_ne_u32_e32 0x7f, v82
	s_cbranch_execz .LBB283_408
; %bb.405:                              ;   in Loop: Header=BB283_13 Depth=1
	v_and_b32_e32 v3, 7, v11
	v_lshrrev_b32_e32 v81, 3, v82
	s_mov_b32 s51, exec_lo
	v_cmpx_gt_u32_e32 8, v82
; %bb.406:                              ;   in Loop: Header=BB283_13 Depth=1
	v_ffbh_u32_e32 v3, v3
	v_min_u32_e32 v3, 32, v3
	v_subrev_nc_u32_e32 v81, 28, v3
	v_lshlrev_b64 v[82:83], v81, v[11:12]
	v_sub_nc_u32_e32 v81, 29, v3
	v_and_b32_e32 v3, 7, v82
; %bb.407:                              ;   in Loop: Header=BB283_13 Depth=1
	s_or_b32 exec_lo, exec_lo, s51
	v_lshlrev_b32_e32 v82, 8, v11
	v_lshl_add_u32 v81, v81, 10, 0x2000
	v_lshlrev_b32_e32 v3, 7, v3
	v_and_b32_e32 v82, 0x8000, v82
	v_and_b32_e32 v81, 0xfc00, v81
	v_or3_b32 v81, v82, v81, v3
.LBB283_408:                            ;   in Loop: Header=BB283_13 Depth=1
	s_or_b32 exec_lo, exec_lo, s50
.LBB283_409:                            ;   in Loop: Header=BB283_13 Depth=1
	s_or_b32 exec_lo, exec_lo, s49
.LBB283_410:                            ;   in Loop: Header=BB283_13 Depth=1
	s_or_b32 exec_lo, exec_lo, s48
	v_lshrrev_b16 v3, 8, v11
	s_mov_b32 s48, exec_lo
	v_cmpx_ne_u16_e32 0, v3
	s_cbranch_execz .LBB283_418
; %bb.411:                              ;   in Loop: Header=BB283_13 Depth=1
	v_bfrev_b32_e32 v80, 1
	s_mov_b32 s49, exec_lo
	v_cmpx_ne_u16_e32 0x80, v3
	s_cbranch_execz .LBB283_417
; %bb.412:                              ;   in Loop: Header=BB283_13 Depth=1
	v_and_b32_sdwa v83, v3, v24 dst_sel:DWORD dst_unused:UNUSED_PAD src0_sel:WORD_0 src1_sel:DWORD
	v_mov_b32_e32 v80, 0x7c010000
	s_mov_b32 s50, exec_lo
	v_cmpx_ne_u32_e32 0x7f, v83
	s_cbranch_execz .LBB283_416
; %bb.413:                              ;   in Loop: Header=BB283_13 Depth=1
	v_and_b32_sdwa v80, v3, v25 dst_sel:DWORD dst_unused:UNUSED_PAD src0_sel:WORD_0 src1_sel:DWORD
	v_lshrrev_b32_e32 v82, 3, v83
	s_mov_b32 s51, exec_lo
	v_cmpx_gt_u32_e32 8, v83
; %bb.414:                              ;   in Loop: Header=BB283_13 Depth=1
	v_ffbh_u32_e32 v80, v80
	v_min_u32_e32 v80, 32, v80
	v_subrev_nc_u32_e32 v82, 28, v80
	v_lshlrev_b64 v[83:84], v82, v[3:4]
	v_sub_nc_u32_e32 v82, 29, v80
	v_and_b32_e32 v80, 7, v83
; %bb.415:                              ;   in Loop: Header=BB283_13 Depth=1
	s_or_b32 exec_lo, exec_lo, s51
	v_lshlrev_b32_sdwa v3, v26, v3 dst_sel:DWORD dst_unused:UNUSED_PAD src0_sel:DWORD src1_sel:WORD_0
	v_lshl_add_u32 v82, v82, 10, 0x2000
	v_lshlrev_b32_e32 v80, 23, v80
	v_and_or_b32 v3, 0x8000, v3, v82
	v_lshl_or_b32 v80, v3, 16, v80
.LBB283_416:                            ;   in Loop: Header=BB283_13 Depth=1
	s_or_b32 exec_lo, exec_lo, s50
.LBB283_417:                            ;   in Loop: Header=BB283_13 Depth=1
	s_or_b32 exec_lo, exec_lo, s49
.LBB283_418:                            ;   in Loop: Header=BB283_13 Depth=1
	s_or_b32 exec_lo, exec_lo, s48
	v_lshrrev_b32_e32 v3, 16, v11
	v_mov_b32_e32 v82, 0
	v_mov_b32_e32 v83, 0
	v_cmp_ne_u16_sdwa s2, v3, v4 src0_sel:BYTE_0 src1_sel:DWORD
	s_and_saveexec_b32 s48, s2
	s_cbranch_execz .LBB283_426
; %bb.419:                              ;   in Loop: Header=BB283_13 Depth=1
	v_cmp_ne_u16_sdwa s2, v3, v23 src0_sel:BYTE_0 src1_sel:DWORD
	v_mov_b32_e32 v83, 0x8000
	s_and_saveexec_b32 s49, s2
	s_cbranch_execz .LBB283_425
; %bb.420:                              ;   in Loop: Header=BB283_13 Depth=1
	v_bfe_u32 v85, v11, 16, 7
	v_mov_b32_e32 v83, 0x7c01
	s_mov_b32 s50, exec_lo
	v_cmpx_ne_u32_e32 0x7f, v85
	s_cbranch_execz .LBB283_424
; %bb.421:                              ;   in Loop: Header=BB283_13 Depth=1
	v_and_b32_e32 v83, 7, v3
	v_lshrrev_b32_e32 v84, 3, v85
	s_mov_b32 s51, exec_lo
	v_cmpx_gt_u32_e32 8, v85
; %bb.422:                              ;   in Loop: Header=BB283_13 Depth=1
	v_ffbh_u32_e32 v83, v83
	v_min_u32_e32 v85, 32, v83
	v_subrev_nc_u32_e32 v83, 28, v85
	v_lshlrev_b64 v[83:84], v83, v[3:4]
	v_sub_nc_u32_e32 v84, 29, v85
	v_and_b32_e32 v83, 7, v83
; %bb.423:                              ;   in Loop: Header=BB283_13 Depth=1
	s_or_b32 exec_lo, exec_lo, s51
	v_lshlrev_b32_e32 v3, 8, v3
	v_lshl_add_u32 v84, v84, 10, 0x2000
	v_lshlrev_b32_e32 v83, 7, v83
	v_and_b32_e32 v3, 0x8000, v3
	v_and_b32_e32 v84, 0xfc00, v84
	v_or3_b32 v83, v3, v84, v83
.LBB283_424:                            ;   in Loop: Header=BB283_13 Depth=1
	s_or_b32 exec_lo, exec_lo, s50
.LBB283_425:                            ;   in Loop: Header=BB283_13 Depth=1
	s_or_b32 exec_lo, exec_lo, s49
.LBB283_426:                            ;   in Loop: Header=BB283_13 Depth=1
	s_or_b32 exec_lo, exec_lo, s48
	s_mov_b32 s48, exec_lo
	v_cmpx_lt_u32_e32 0xffffff, v11
	s_cbranch_execz .LBB283_434
; %bb.427:                              ;   in Loop: Header=BB283_13 Depth=1
	v_lshrrev_b32_e32 v3, 24, v11
	v_bfrev_b32_e32 v82, 1
	s_mov_b32 s49, exec_lo
	v_cmpx_ne_u32_e32 0x80, v3
	s_cbranch_execz .LBB283_433
; %bb.428:                              ;   in Loop: Header=BB283_13 Depth=1
	v_and_b32_e32 v84, 0x7f, v3
	v_mov_b32_e32 v82, 0x7c010000
	s_mov_b32 s50, exec_lo
	v_cmpx_ne_u32_e32 0x7f, v84
	s_cbranch_execz .LBB283_432
; %bb.429:                              ;   in Loop: Header=BB283_13 Depth=1
	v_and_b32_e32 v11, 7, v3
	v_lshrrev_b32_e32 v82, 3, v84
	s_mov_b32 s51, exec_lo
	v_cmpx_gt_u32_e32 8, v84
; %bb.430:                              ;   in Loop: Header=BB283_13 Depth=1
	v_ffbh_u32_e32 v11, v11
	v_min_u32_e32 v11, 32, v11
	v_subrev_nc_u32_e32 v82, 28, v11
	v_lshlrev_b64 v[84:85], v82, v[3:4]
	v_sub_nc_u32_e32 v82, 29, v11
	v_and_b32_e32 v11, 7, v84
; %bb.431:                              ;   in Loop: Header=BB283_13 Depth=1
	s_or_b32 exec_lo, exec_lo, s51
	v_lshlrev_b32_e32 v3, 8, v3
	v_lshl_add_u32 v82, v82, 10, 0x2000
	v_lshlrev_b32_e32 v11, 23, v11
	v_and_or_b32 v3, 0x8000, v3, v82
	v_lshl_or_b32 v82, v3, 16, v11
.LBB283_432:                            ;   in Loop: Header=BB283_13 Depth=1
	s_or_b32 exec_lo, exec_lo, s50
.LBB283_433:                            ;   in Loop: Header=BB283_13 Depth=1
	s_or_b32 exec_lo, exec_lo, s49
.LBB283_434:                            ;   in Loop: Header=BB283_13 Depth=1
	s_or_b32 exec_lo, exec_lo, s48
	global_load_dword v9, v[9:10], off offset:1544
	v_mov_b32_e32 v11, 0
	v_mov_b32_e32 v85, 0
	s_waitcnt vmcnt(0)
	v_cmp_ne_u16_sdwa s2, v9, v4 src0_sel:BYTE_0 src1_sel:DWORD
	s_and_saveexec_b32 s48, s2
	s_cbranch_execz .LBB283_442
; %bb.435:                              ;   in Loop: Header=BB283_13 Depth=1
	v_cmp_ne_u16_sdwa s2, v9, v23 src0_sel:BYTE_0 src1_sel:DWORD
	v_mov_b32_e32 v85, 0x8000
	s_and_saveexec_b32 s49, s2
	s_cbranch_execz .LBB283_441
; %bb.436:                              ;   in Loop: Header=BB283_13 Depth=1
	v_and_b32_e32 v84, 0x7f, v9
	v_mov_b32_e32 v85, 0x7c01
	s_mov_b32 s50, exec_lo
	v_cmpx_ne_u32_e32 0x7f, v84
	s_cbranch_execz .LBB283_440
; %bb.437:                              ;   in Loop: Header=BB283_13 Depth=1
	v_and_b32_e32 v3, 7, v9
	v_lshrrev_b32_e32 v10, 3, v84
	s_mov_b32 s51, exec_lo
	v_cmpx_gt_u32_e32 8, v84
; %bb.438:                              ;   in Loop: Header=BB283_13 Depth=1
	v_ffbh_u32_e32 v3, v3
	v_min_u32_e32 v3, 32, v3
	v_subrev_nc_u32_e32 v10, 28, v3
	v_lshlrev_b64 v[84:85], v10, v[9:10]
	v_sub_nc_u32_e32 v10, 29, v3
	v_and_b32_e32 v3, 7, v84
; %bb.439:                              ;   in Loop: Header=BB283_13 Depth=1
	s_or_b32 exec_lo, exec_lo, s51
	v_lshlrev_b32_e32 v84, 8, v9
	v_lshl_add_u32 v10, v10, 10, 0x2000
	v_lshlrev_b32_e32 v3, 7, v3
	v_and_b32_e32 v84, 0x8000, v84
	v_and_b32_e32 v10, 0xfc00, v10
	v_or3_b32 v85, v84, v10, v3
.LBB283_440:                            ;   in Loop: Header=BB283_13 Depth=1
	s_or_b32 exec_lo, exec_lo, s50
.LBB283_441:                            ;   in Loop: Header=BB283_13 Depth=1
	s_or_b32 exec_lo, exec_lo, s49
.LBB283_442:                            ;   in Loop: Header=BB283_13 Depth=1
	s_or_b32 exec_lo, exec_lo, s48
	v_lshrrev_b16 v3, 8, v9
	s_mov_b32 s48, exec_lo
	v_cmpx_ne_u16_e32 0, v3
	s_cbranch_execz .LBB283_450
; %bb.443:                              ;   in Loop: Header=BB283_13 Depth=1
	v_bfrev_b32_e32 v11, 1
	s_mov_b32 s49, exec_lo
	v_cmpx_ne_u16_e32 0x80, v3
	s_cbranch_execz .LBB283_449
; %bb.444:                              ;   in Loop: Header=BB283_13 Depth=1
	v_and_b32_sdwa v84, v3, v24 dst_sel:DWORD dst_unused:UNUSED_PAD src0_sel:WORD_0 src1_sel:DWORD
	v_mov_b32_e32 v11, 0x7c010000
	s_mov_b32 s50, exec_lo
	v_cmpx_ne_u32_e32 0x7f, v84
	s_cbranch_execz .LBB283_448
; %bb.445:                              ;   in Loop: Header=BB283_13 Depth=1
	v_and_b32_sdwa v10, v3, v25 dst_sel:DWORD dst_unused:UNUSED_PAD src0_sel:WORD_0 src1_sel:DWORD
	v_lshrrev_b32_e32 v11, 3, v84
	s_mov_b32 s51, exec_lo
	v_cmpx_gt_u32_e32 8, v84
; %bb.446:                              ;   in Loop: Header=BB283_13 Depth=1
	v_ffbh_u32_e32 v10, v10
	v_min_u32_e32 v84, 32, v10
	v_subrev_nc_u32_e32 v10, 28, v84
	v_lshlrev_b64 v[10:11], v10, v[3:4]
	v_sub_nc_u32_e32 v11, 29, v84
	v_and_b32_e32 v10, 7, v10
; %bb.447:                              ;   in Loop: Header=BB283_13 Depth=1
	s_or_b32 exec_lo, exec_lo, s51
	v_lshlrev_b32_sdwa v3, v26, v3 dst_sel:DWORD dst_unused:UNUSED_PAD src0_sel:DWORD src1_sel:WORD_0
	v_lshl_add_u32 v11, v11, 10, 0x2000
	v_lshlrev_b32_e32 v10, 23, v10
	v_and_or_b32 v3, 0x8000, v3, v11
	v_lshl_or_b32 v11, v3, 16, v10
.LBB283_448:                            ;   in Loop: Header=BB283_13 Depth=1
	s_or_b32 exec_lo, exec_lo, s50
.LBB283_449:                            ;   in Loop: Header=BB283_13 Depth=1
	s_or_b32 exec_lo, exec_lo, s49
.LBB283_450:                            ;   in Loop: Header=BB283_13 Depth=1
	s_or_b32 exec_lo, exec_lo, s48
	v_lshrrev_b32_e32 v3, 16, v9
	v_mov_b32_e32 v10, 0
	v_mov_b32_e32 v84, 0
	v_cmp_ne_u16_sdwa s2, v3, v4 src0_sel:BYTE_0 src1_sel:DWORD
	s_and_saveexec_b32 s48, s2
	s_cbranch_execz .LBB283_458
; %bb.451:                              ;   in Loop: Header=BB283_13 Depth=1
	v_cmp_ne_u16_sdwa s2, v3, v23 src0_sel:BYTE_0 src1_sel:DWORD
	v_mov_b32_e32 v84, 0x8000
	s_and_saveexec_b32 s49, s2
	s_cbranch_execz .LBB283_457
; %bb.452:                              ;   in Loop: Header=BB283_13 Depth=1
	v_bfe_u32 v87, v9, 16, 7
	v_mov_b32_e32 v84, 0x7c01
	s_mov_b32 s50, exec_lo
	v_cmpx_ne_u32_e32 0x7f, v87
	s_cbranch_execz .LBB283_456
; %bb.453:                              ;   in Loop: Header=BB283_13 Depth=1
	v_and_b32_e32 v84, 7, v3
	v_lshrrev_b32_e32 v86, 3, v87
	s_mov_b32 s51, exec_lo
	v_cmpx_gt_u32_e32 8, v87
; %bb.454:                              ;   in Loop: Header=BB283_13 Depth=1
	v_ffbh_u32_e32 v84, v84
	v_min_u32_e32 v84, 32, v84
	v_subrev_nc_u32_e32 v86, 28, v84
	v_lshlrev_b64 v[87:88], v86, v[3:4]
	v_sub_nc_u32_e32 v86, 29, v84
	v_and_b32_e32 v84, 7, v87
; %bb.455:                              ;   in Loop: Header=BB283_13 Depth=1
	s_or_b32 exec_lo, exec_lo, s51
	v_lshlrev_b32_e32 v3, 8, v3
	v_lshl_add_u32 v86, v86, 10, 0x2000
	v_lshlrev_b32_e32 v84, 7, v84
	v_and_b32_e32 v3, 0x8000, v3
	v_and_b32_e32 v86, 0xfc00, v86
	v_or3_b32 v84, v3, v86, v84
.LBB283_456:                            ;   in Loop: Header=BB283_13 Depth=1
	s_or_b32 exec_lo, exec_lo, s50
.LBB283_457:                            ;   in Loop: Header=BB283_13 Depth=1
	s_or_b32 exec_lo, exec_lo, s49
.LBB283_458:                            ;   in Loop: Header=BB283_13 Depth=1
	s_or_b32 exec_lo, exec_lo, s48
	s_mov_b32 s48, exec_lo
	v_cmpx_lt_u32_e32 0xffffff, v9
	s_cbranch_execz .LBB283_466
; %bb.459:                              ;   in Loop: Header=BB283_13 Depth=1
	v_lshrrev_b32_e32 v3, 24, v9
	v_bfrev_b32_e32 v10, 1
	s_mov_b32 s49, exec_lo
	v_cmpx_ne_u32_e32 0x80, v3
	s_cbranch_execz .LBB283_465
; %bb.460:                              ;   in Loop: Header=BB283_13 Depth=1
	v_and_b32_e32 v86, 0x7f, v3
	v_mov_b32_e32 v10, 0x7c010000
	s_mov_b32 s50, exec_lo
	v_cmpx_ne_u32_e32 0x7f, v86
	s_cbranch_execz .LBB283_464
; %bb.461:                              ;   in Loop: Header=BB283_13 Depth=1
	v_and_b32_e32 v9, 7, v3
	v_lshrrev_b32_e32 v10, 3, v86
	s_mov_b32 s51, exec_lo
	v_cmpx_gt_u32_e32 8, v86
; %bb.462:                              ;   in Loop: Header=BB283_13 Depth=1
	v_ffbh_u32_e32 v9, v9
	v_min_u32_e32 v86, 32, v9
	v_subrev_nc_u32_e32 v9, 28, v86
	v_lshlrev_b64 v[9:10], v9, v[3:4]
	v_sub_nc_u32_e32 v10, 29, v86
	v_and_b32_e32 v9, 7, v9
; %bb.463:                              ;   in Loop: Header=BB283_13 Depth=1
	s_or_b32 exec_lo, exec_lo, s51
	v_lshlrev_b32_e32 v3, 8, v3
	v_lshl_add_u32 v10, v10, 10, 0x2000
	v_lshlrev_b32_e32 v9, 23, v9
	v_and_or_b32 v3, 0x8000, v3, v10
	v_lshl_or_b32 v10, v3, 16, v9
.LBB283_464:                            ;   in Loop: Header=BB283_13 Depth=1
	s_or_b32 exec_lo, exec_lo, s50
.LBB283_465:                            ;   in Loop: Header=BB283_13 Depth=1
	s_or_b32 exec_lo, exec_lo, s49
.LBB283_466:                            ;   in Loop: Header=BB283_13 Depth=1
	s_or_b32 exec_lo, exec_lo, s48
	ds_read_b64 v[86:87], v20
	v_or_b32_e32 v3, v32, v33
	v_or_b32_e32 v9, v34, v35
	v_fma_mixlo_f16 v32, v31, v32, 0 op_sel:[0,1,0] op_sel_hi:[0,1,0]
	v_fma_mixlo_f16 v33, v31, v34, 0 op_sel:[0,1,0] op_sel_hi:[0,1,0]
	v_or_b32_e32 v37, v36, v37
	v_fma_mixlo_f16 v3, v31, v3, 0 op_sel_hi:[0,1,0]
	v_fma_mixlo_f16 v9, v31, v9, 0 op_sel_hi:[0,1,0]
	v_and_b32_e32 v32, 0xffff, v32
	v_and_b32_e32 v88, 0xffff, v33
	v_or_b32_e32 v39, v38, v39
	v_and_b32_e32 v33, 0xffff, v3
	v_fma_mixlo_f16 v36, v31, v36, 0 op_sel:[0,1,0] op_sel_hi:[0,1,0]
	v_fma_mixlo_f16 v37, v31, v37, 0 op_sel_hi:[0,1,0]
	v_fma_mixlo_f16 v38, v31, v38, 0 op_sel:[0,1,0] op_sel_hi:[0,1,0]
	v_fma_mixlo_f16 v39, v31, v39, 0 op_sel_hi:[0,1,0]
	v_or_b32_e32 v45, v44, v45
	v_and_b32_e32 v36, 0xffff, v36
	v_and_b32_e32 v37, 0xffff, v37
	;; [unrolled: 1-line block ×3, first 2 shown]
	s_waitcnt lgkmcnt(0)
	v_and_b32_e32 v3, 0xffff, v86
	v_lshrrev_b32_e32 v34, 16, v86
	v_and_b32_e32 v86, 0xffff, v9
	v_lshrrev_b32_e32 v89, 16, v87
	v_and_b32_e32 v35, 0xffff, v87
	;;#ASMSTART
	v_cvt_f32_f16 v3, v3;
	;;#ASMEND
	;;#ASMSTART
	v_cvt_f32_f16 v9, v34;
	;;#ASMEND
	;; [unrolled: 3-line block ×8, first 2 shown]
	ds_read_b64 v[88:89], v20 offset:8
	v_and_b32_e32 v39, 0xffff, v39
	v_or_b32_e32 v47, v46, v47
	v_fma_mixlo_f16 v44, v31, v44, 0 op_sel:[0,1,0] op_sel_hi:[0,1,0]
	v_fma_mixlo_f16 v46, v31, v46, 0 op_sel:[0,1,0] op_sel_hi:[0,1,0]
	v_fma_mixlo_f16 v45, v31, v45, 0 op_sel_hi:[0,1,0]
	v_or_b32_e32 v49, v48, v49
	v_fma_mixlo_f16 v47, v31, v47, 0 op_sel_hi:[0,1,0]
	v_or_b32_e32 v51, v50, v51
	v_and_b32_e32 v100, 0xffff, v46
	v_and_b32_e32 v46, 0xffff, v45
	v_fma_mixlo_f16 v48, v31, v48, 0 op_sel:[0,1,0] op_sel_hi:[0,1,0]
	v_and_b32_e32 v99, 0xffff, v47
	v_fma_mixlo_f16 v50, v31, v50, 0 op_sel:[0,1,0] op_sel_hi:[0,1,0]
	v_fma_mixlo_f16 v49, v31, v49, 0 op_sel_hi:[0,1,0]
	v_fma_mixlo_f16 v51, v31, v51, 0 op_sel_hi:[0,1,0]
	v_and_b32_e32 v102, 0xffff, v48
	v_or_b32_e32 v53, v52, v53
	v_and_b32_e32 v103, 0xffff, v50
	v_and_b32_e32 v50, 0xffff, v49
	s_waitcnt lgkmcnt(0)
	v_and_b32_e32 v90, 0xffff, v88
	v_lshrrev_b32_e32 v91, 16, v88
	v_lshrrev_b32_e32 v94, 16, v89
	v_and_b32_e32 v93, 0xffff, v89
	;;#ASMSTART
	v_cvt_f32_f16 v88, v90;
	;;#ASMEND
	;;#ASMSTART
	v_cvt_f32_f16 v89, v91;
	;;#ASMEND
	;; [unrolled: 3-line block ×8, first 2 shown]
	ds_read_b64 v[36:37], v20 offset:16
	v_or_b32_e32 v38, v40, v41
	v_or_b32_e32 v39, v42, v43
	v_fma_mixlo_f16 v40, v31, v40, 0 op_sel:[0,1,0] op_sel_hi:[0,1,0]
	v_fma_mixlo_f16 v41, v31, v42, 0 op_sel:[0,1,0] op_sel_hi:[0,1,0]
	v_and_b32_e32 v104, 0xffff, v51
	v_fma_mixlo_f16 v38, v31, v38, 0 op_sel_hi:[0,1,0]
	v_fma_mixlo_f16 v39, v31, v39, 0 op_sel_hi:[0,1,0]
	v_and_b32_e32 v40, 0xffff, v40
	v_and_b32_e32 v43, 0xffff, v41
	v_or_b32_e32 v55, v54, v55
	v_and_b32_e32 v38, 0xffff, v38
	v_and_b32_e32 v96, 0xffff, v39
	v_fma_mixlo_f16 v52, v31, v52, 0 op_sel:[0,1,0] op_sel_hi:[0,1,0]
	v_fma_mixlo_f16 v54, v31, v54, 0 op_sel:[0,1,0] op_sel_hi:[0,1,0]
	v_fma_mixlo_f16 v53, v31, v53, 0 op_sel_hi:[0,1,0]
	v_fma_mixlo_f16 v55, v31, v55, 0 op_sel_hi:[0,1,0]
	v_or_b32_e32 v57, v56, v57
	v_and_b32_e32 v106, 0xffff, v52
	v_and_b32_e32 v107, 0xffff, v54
	s_waitcnt lgkmcnt(0)
	v_and_b32_e32 v41, 0xffff, v36
	v_lshrrev_b32_e32 v42, 16, v36
	v_lshrrev_b32_e32 v97, 16, v37
	v_and_b32_e32 v98, 0xffff, v37
	;;#ASMSTART
	v_cvt_f32_f16 v36, v41;
	;;#ASMEND
	;;#ASMSTART
	v_cvt_f32_f16 v37, v42;
	;;#ASMEND
	;; [unrolled: 3-line block ×8, first 2 shown]
	ds_read_b64 v[96:97], v20 offset:24
	v_and_b32_e32 v98, 0xffff, v44
	v_and_b32_e32 v54, 0xffff, v53
	;; [unrolled: 1-line block ×3, first 2 shown]
	v_or_b32_e32 v59, v58, v59
	v_fma_mixlo_f16 v56, v31, v56, 0 op_sel:[0,1,0] op_sel_hi:[0,1,0]
	v_fma_mixlo_f16 v58, v31, v58, 0 op_sel:[0,1,0] op_sel_hi:[0,1,0]
	v_fma_mixlo_f16 v57, v31, v57, 0 op_sel_hi:[0,1,0]
	v_or_b32_e32 v61, v60, v61
	v_fma_mixlo_f16 v59, v31, v59, 0 op_sel_hi:[0,1,0]
	v_and_b32_e32 v110, 0xffff, v56
	v_and_b32_e32 v111, 0xffff, v58
	;; [unrolled: 1-line block ×3, first 2 shown]
	v_or_b32_e32 v63, v62, v63
	v_and_b32_e32 v112, 0xffff, v59
	v_fma_mixlo_f16 v60, v31, v60, 0 op_sel:[0,1,0] op_sel_hi:[0,1,0]
	v_fma_mixlo_f16 v62, v31, v62, 0 op_sel:[0,1,0] op_sel_hi:[0,1,0]
	v_fma_mixlo_f16 v61, v31, v61, 0 op_sel_hi:[0,1,0]
	v_fma_mixlo_f16 v63, v31, v63, 0 op_sel_hi:[0,1,0]
	v_or_b32_e32 v65, v64, v65
	s_waitcnt lgkmcnt(0)
	v_and_b32_e32 v44, 0xffff, v96
	v_lshrrev_b32_e32 v45, 16, v96
	v_lshrrev_b32_e32 v101, 16, v97
	v_and_b32_e32 v97, 0xffff, v97
	;;#ASMSTART
	v_cvt_f32_f16 v44, v44;
	;;#ASMEND
	;;#ASMSTART
	v_cvt_f32_f16 v45, v45;
	;;#ASMEND
	;; [unrolled: 3-line block ×8, first 2 shown]
	ds_read_b64 v[100:101], v20 offset:32
	v_and_b32_e32 v114, 0xffff, v60
	v_and_b32_e32 v115, 0xffff, v62
	;; [unrolled: 1-line block ×4, first 2 shown]
	v_or_b32_e32 v67, v66, v67
	v_fma_mixlo_f16 v64, v31, v64, 0 op_sel:[0,1,0] op_sel_hi:[0,1,0]
	v_fma_mixlo_f16 v66, v31, v66, 0 op_sel:[0,1,0] op_sel_hi:[0,1,0]
	v_fma_mixlo_f16 v65, v31, v65, 0 op_sel_hi:[0,1,0]
	v_or_b32_e32 v69, v68, v69
	v_fma_mixlo_f16 v67, v31, v67, 0 op_sel_hi:[0,1,0]
	v_and_b32_e32 v64, 0xffff, v64
	v_and_b32_e32 v120, 0xffff, v66
	;; [unrolled: 1-line block ×3, first 2 shown]
	v_or_b32_e32 v71, v70, v71
	v_and_b32_e32 v119, 0xffff, v67
	v_fma_mixlo_f16 v68, v31, v68, 0 op_sel:[0,1,0] op_sel_hi:[0,1,0]
	v_fma_mixlo_f16 v70, v31, v70, 0 op_sel:[0,1,0] op_sel_hi:[0,1,0]
	v_fma_mixlo_f16 v69, v31, v69, 0 op_sel_hi:[0,1,0]
	v_fma_mixlo_f16 v71, v31, v71, 0 op_sel_hi:[0,1,0]
	s_waitcnt lgkmcnt(0)
	v_and_b32_e32 v48, 0xffff, v100
	v_lshrrev_b32_e32 v49, 16, v100
	v_lshrrev_b32_e32 v105, 16, v101
	v_and_b32_e32 v100, 0xffff, v101
	;;#ASMSTART
	v_cvt_f32_f16 v48, v48;
	;;#ASMEND
	;;#ASMSTART
	v_cvt_f32_f16 v49, v49;
	;;#ASMEND
	;; [unrolled: 3-line block ×8, first 2 shown]
	ds_read_b64 v[104:105], v20 offset:40
	v_or_b32_e32 v123, v80, v81
	v_fma_mixlo_f16 v124, v31, v80, 0 op_sel:[0,1,0] op_sel_hi:[0,1,0]
	v_or_b32_e32 v125, v82, v83
	v_and_b32_e32 v80, 0xffff, v68
	v_and_b32_e32 v83, 0xffff, v70
	;; [unrolled: 1-line block ×3, first 2 shown]
	v_or_b32_e32 v73, v72, v73
	v_or_b32_e32 v75, v74, v75
	v_fma_mixlo_f16 v72, v31, v72, 0 op_sel:[0,1,0] op_sel_hi:[0,1,0]
	v_fma_mixlo_f16 v74, v31, v74, 0 op_sel:[0,1,0] op_sel_hi:[0,1,0]
	v_mul_f32_e32 v88, v88, v91
	v_fma_mixlo_f16 v73, v31, v73, 0 op_sel_hi:[0,1,0]
	v_fma_mixlo_f16 v75, v31, v75, 0 op_sel_hi:[0,1,0]
	v_and_b32_e32 v126, 0xffff, v72
	v_and_b32_e32 v74, 0xffff, v74
	v_mul_f32_e32 v89, v89, v92
	v_and_b32_e32 v127, 0xffff, v73
	v_and_b32_e32 v75, 0xffff, v75
	v_mul_f32_e32 v72, v93, v95
	s_waitcnt lgkmcnt(0)
	v_and_b32_e32 v52, 0xffff, v104
	v_lshrrev_b32_e32 v53, 16, v104
	v_lshrrev_b32_e32 v109, 16, v105
	v_and_b32_e32 v104, 0xffff, v105
	;;#ASMSTART
	v_cvt_f32_f16 v52, v52;
	;;#ASMEND
	;;#ASMSTART
	v_cvt_f32_f16 v53, v53;
	;;#ASMEND
	;; [unrolled: 3-line block ×8, first 2 shown]
	ds_read_b64 v[108:109], v20 offset:48
	v_mul_f32_e32 v73, v90, v94
	v_fmac_f32_e32 v88, v3, v33
	v_fmac_f32_e32 v89, v9, v34
	v_or_b32_e32 v77, v76, v77
	v_or_b32_e32 v79, v78, v79
	v_fmac_f32_e32 v72, v35, v86
	v_fmac_f32_e32 v88, v36, v39
	;; [unrolled: 1-line block ×3, first 2 shown]
	v_fma_mixlo_f16 v77, v31, v77, 0 op_sel_hi:[0,1,0]
	v_fma_mixlo_f16 v79, v31, v79, 0 op_sel_hi:[0,1,0]
	v_fmac_f32_e32 v73, v32, v87
	v_fmac_f32_e32 v72, v41, v42
	;; [unrolled: 1-line block ×4, first 2 shown]
	v_fma_mixlo_f16 v76, v31, v76, 0 op_sel:[0,1,0] op_sel_hi:[0,1,0]
	v_fma_mixlo_f16 v78, v31, v78, 0 op_sel:[0,1,0] op_sel_hi:[0,1,0]
	v_and_b32_e32 v33, 0xffff, v77
	v_and_b32_e32 v32, 0xffff, v79
	v_fmac_f32_e32 v73, v38, v43
	s_waitcnt lgkmcnt(0)
	v_and_b32_e32 v56, 0xffff, v108
	v_lshrrev_b32_e32 v57, 16, v108
	v_lshrrev_b32_e32 v113, 16, v109
	v_and_b32_e32 v108, 0xffff, v109
	;;#ASMSTART
	v_cvt_f32_f16 v56, v56;
	;;#ASMEND
	;;#ASMSTART
	v_cvt_f32_f16 v57, v57;
	;;#ASMEND
	;; [unrolled: 3-line block ×8, first 2 shown]
	ds_read_b64 v[112:113], v20 offset:56
	v_fmac_f32_e32 v72, v97, v99
	v_fmac_f32_e32 v88, v48, v50
	;; [unrolled: 1-line block ×3, first 2 shown]
	v_and_b32_e32 v76, 0xffff, v76
	v_and_b32_e32 v78, 0xffff, v78
	v_fmac_f32_e32 v73, v46, v98
	v_fmac_f32_e32 v72, v100, v102
	;; [unrolled: 1-line block ×4, first 2 shown]
	v_fma_mixlo_f16 v82, v31, v82, 0 op_sel:[0,1,0] op_sel_hi:[0,1,0]
	v_fmac_f32_e32 v73, v101, v103
	v_fmac_f32_e32 v72, v104, v106
	;; [unrolled: 1-line block ×4, first 2 shown]
	v_fma_mixlo_f16 v123, v31, v123, 0 op_sel_hi:[0,1,0]
	v_fmac_f32_e32 v73, v105, v107
	v_fmac_f32_e32 v72, v108, v110
	v_fma_mixlo_f16 v40, v31, v125, 0 op_sel_hi:[0,1,0]
	v_and_b32_e32 v48, 0xffff, v82
	s_waitcnt lgkmcnt(0)
	v_and_b32_e32 v60, 0xffff, v112
	v_lshrrev_b32_e32 v61, 16, v112
	v_lshrrev_b32_e32 v117, 16, v113
	v_and_b32_e32 v112, 0xffff, v113
	;;#ASMSTART
	v_cvt_f32_f16 v60, v60;
	;;#ASMEND
	;;#ASMSTART
	v_cvt_f32_f16 v61, v61;
	;;#ASMEND
	;; [unrolled: 3-line block ×8, first 2 shown]
	ds_read_b64 v[116:117], v20 offset:64
	v_fmac_f32_e32 v88, v60, v62
	v_fmac_f32_e32 v89, v61, v63
	;; [unrolled: 1-line block ×4, first 2 shown]
	v_and_b32_e32 v44, 0xffff, v123
	v_and_b32_e32 v47, 0xffff, v40
	v_or_b32_e32 v85, v11, v85
	v_fmac_f32_e32 v73, v113, v115
	v_fma_mixlo_f16 v11, v31, v11, 0 op_sel:[0,1,0] op_sel_hi:[0,1,0]
	v_or_b32_e32 v49, v10, v84
	v_fma_mixlo_f16 v41, v31, v85, 0 op_sel_hi:[0,1,0]
	v_fma_mixlo_f16 v49, v31, v49, 0 op_sel_hi:[0,1,0]
	s_waitcnt lgkmcnt(0)
	v_and_b32_e32 v66, 0xffff, v116
	v_lshrrev_b32_e32 v116, 16, v116
	v_lshrrev_b32_e32 v121, 16, v117
	v_and_b32_e32 v118, 0xffff, v117
	;;#ASMSTART
	v_cvt_f32_f16 v66, v66;
	;;#ASMEND
	;;#ASMSTART
	v_cvt_f32_f16 v67, v116;
	;;#ASMEND
	;; [unrolled: 3-line block ×8, first 2 shown]
	ds_read_b64 v[120:121], v20 offset:72
	v_fmac_f32_e32 v88, v66, v116
	v_fmac_f32_e32 v89, v67, v117
	;; [unrolled: 1-line block ×4, first 2 shown]
	s_waitcnt lgkmcnt(0)
	v_and_b32_e32 v68, 0xffff, v120
	v_lshrrev_b32_e32 v69, 16, v120
	v_and_b32_e32 v120, 0xffff, v71
	v_lshrrev_b32_e32 v122, 16, v121
	v_and_b32_e32 v81, 0xffff, v121
	;;#ASMSTART
	v_cvt_f32_f16 v68, v68;
	;;#ASMEND
	;;#ASMSTART
	v_cvt_f32_f16 v69, v69;
	;;#ASMEND
	;; [unrolled: 3-line block ×8, first 2 shown]
	ds_read_b64 v[121:122], v20 offset:80
	v_fmac_f32_e32 v88, v68, v71
	v_fmac_f32_e32 v89, v69, v80
	;; [unrolled: 1-line block ×4, first 2 shown]
	s_waitcnt lgkmcnt(0)
	v_and_b32_e32 v91, 0xffff, v121
	v_lshrrev_b32_e32 v92, 16, v121
	v_lshrrev_b32_e32 v95, 16, v122
	v_and_b32_e32 v94, 0xffff, v122
	;;#ASMSTART
	v_cvt_f32_f16 v90, v91;
	;;#ASMEND
	;;#ASMSTART
	v_cvt_f32_f16 v91, v92;
	;;#ASMEND
	;; [unrolled: 3-line block ×8, first 2 shown]
	ds_read_b64 v[74:75], v20 offset:88
	v_fmac_f32_e32 v88, v90, v92
	v_fmac_f32_e32 v89, v91, v93
	;; [unrolled: 1-line block ×4, first 2 shown]
	s_waitcnt lgkmcnt(0)
	v_and_b32_e32 v3, 0xffff, v74
	v_lshrrev_b32_e32 v9, 16, v74
	v_lshrrev_b32_e32 v37, 16, v75
	v_and_b32_e32 v36, 0xffff, v75
	;;#ASMSTART
	v_cvt_f32_f16 v3, v3;
	;;#ASMEND
	;;#ASMSTART
	v_cvt_f32_f16 v9, v9;
	;;#ASMEND
	;; [unrolled: 3-line block ×8, first 2 shown]
	ds_read_b64 v[32:33], v20 offset:96
	v_fmac_f32_e32 v88, v3, v34
	v_fmac_f32_e32 v89, v9, v35
	;; [unrolled: 1-line block ×3, first 2 shown]
	v_fma_mixlo_f16 v3, v31, v10, 0 op_sel:[0,1,0] op_sel_hi:[0,1,0]
	v_and_b32_e32 v31, 0xffff, v41
	v_fmac_f32_e32 v73, v37, v39
	v_and_b32_e32 v34, 0xffff, v49
	s_waitcnt lgkmcnt(0)
	v_and_b32_e32 v42, 0xffff, v32
	v_lshrrev_b32_e32 v32, 16, v32
	;;#ASMSTART
	v_cvt_f32_f16 v42, v42;
	;;#ASMEND
	;;#ASMSTART
	v_cvt_f32_f16 v43, v32;
	;;#ASMEND
	v_and_b32_e32 v32, 0xffff, v124
	v_and_b32_e32 v45, 0xffff, v33
	v_lshrrev_b32_e32 v33, 16, v33
	;;#ASMSTART
	v_cvt_f32_f16 v44, v44;
	;;#ASMEND
	;;#ASMSTART
	v_cvt_f32_f16 v40, v32;
	;;#ASMEND
	;; [unrolled: 3-line block ×6, first 2 shown]
	ds_read_b64 v[32:33], v20 offset:104
	v_fmac_f32_e32 v88, v42, v44
	v_fmac_f32_e32 v89, v43, v40
	v_fmac_f32_e32 v72, v45, v47
	v_fmac_f32_e32 v73, v46, v48
	s_waitcnt lgkmcnt(0)
	v_and_b32_e32 v9, 0xffff, v32
	v_lshrrev_b32_e32 v10, 16, v32
	v_and_b32_e32 v32, 0xffff, v11
	;;#ASMSTART
	v_cvt_f32_f16 v9, v9;
	;;#ASMEND
	;;#ASMSTART
	v_cvt_f32_f16 v10, v10;
	;;#ASMEND
	;; [unrolled: 3-line block ×4, first 2 shown]
	v_fmac_f32_e32 v88, v9, v11
	v_fmac_f32_e32 v89, v10, v31
	v_xor_b32_e32 v11, 1, v17
	v_and_b32_e32 v32, 0xffff, v33
	v_lshrrev_b32_e32 v33, 16, v33
	;;#ASMSTART
	v_cvt_f32_f16 v9, v32;
	;;#ASMEND
	;;#ASMSTART
	v_cvt_f32_f16 v10, v33;
	;;#ASMEND
	;; [unrolled: 3-line block ×3, first 2 shown]
	v_and_b32_e32 v32, 0xffff, v3
	v_fmac_f32_e32 v72, v9, v31
	v_add_f32_e32 v3, v88, v89
	v_cmp_gt_i32_e64 s2, 32, v11
	;;#ASMSTART
	v_cvt_f32_f16 v9, v32;
	;;#ASMEND
	v_fmac_f32_e32 v73, v10, v9
	v_add_f32_e32 v3, v3, v72
	v_cndmask_b32_e64 v9, v17, v11, s2
	v_add_f32_e32 v3, v73, v3
	v_lshlrev_b32_e32 v9, 2, v9
	ds_bpermute_b32 v9, v9, v3
	s_and_saveexec_b32 s48, vcc_lo
	s_cbranch_execz .LBB283_11
; %bb.467:                              ;   in Loop: Header=BB283_13 Depth=1
	v_add_nc_u32_e32 v10, v27, v21
	s_waitcnt lgkmcnt(0)
	v_add_f32_e32 v3, v3, v9
	v_cvt_f32_i32_e32 v10, v10
	v_mul_f32_e32 v10, s43, v10
	v_cndmask_b32_e64 v9, 0, v10, s1
	v_max_f32_e32 v10, v18, v18
	v_fmac_f32_e32 v9, s41, v3
	v_add_nc_u32_e32 v3, v19, v21
	v_max_f32_e32 v10, v10, v9
	v_cmp_gt_i32_e64 s2, s31, v3
	v_cndmask_b32_e64 v3, 0, v9, s2
	v_cndmask_b32_e64 v18, v18, v10, s2
	ds_write_b32 v28, v3
	s_branch .LBB283_11
.LBB283_468:
	s_or_b32 exec_lo, exec_lo, s46
.LBB283_469:
	s_or_b32 exec_lo, exec_lo, s45
	v_xor_b32_e32 v3, 16, v17
	v_xor_b32_e32 v4, 8, v17
	v_max_f32_e32 v6, v18, v18
	s_waitcnt lgkmcnt(0)
	v_lshlrev_b32_e32 v9, 2, v14
	v_cmp_gt_i32_e32 vcc_lo, 32, v3
	v_cndmask_b32_e32 v3, v17, v3, vcc_lo
	v_cmp_gt_i32_e32 vcc_lo, 32, v4
	v_lshlrev_b32_e32 v5, 2, v3
	v_cndmask_b32_e32 v4, v17, v4, vcc_lo
	ds_bpermute_b32 v3, v5, v18
	v_lshlrev_b32_e32 v7, 2, v4
	v_and_b32_e32 v18, 31, v0
	s_waitcnt lgkmcnt(0)
	v_max_f32_e32 v3, v3, v3
	v_max_f32_e32 v3, v6, v3
	v_xor_b32_e32 v6, 4, v17
	ds_bpermute_b32 v4, v7, v3
	v_cmp_gt_i32_e32 vcc_lo, 32, v6
	v_cndmask_b32_e32 v6, v17, v6, vcc_lo
	v_lshlrev_b32_e32 v8, 2, v6
	v_xor_b32_e32 v6, 2, v17
	v_cmp_gt_i32_e32 vcc_lo, 32, v6
	s_waitcnt lgkmcnt(0)
	v_max_f32_e32 v4, v4, v4
	v_cndmask_b32_e32 v6, v17, v6, vcc_lo
	v_cmp_eq_u32_e32 vcc_lo, 0, v18
	v_max_f32_e32 v3, v3, v4
	ds_bpermute_b32 v4, v8, v3
	s_waitcnt lgkmcnt(0)
	v_max_f32_e32 v4, v4, v4
	v_max_f32_e32 v3, v3, v4
	v_lshlrev_b32_e32 v4, 2, v6
	ds_bpermute_b32 v6, v4, v3
	s_and_saveexec_b32 s1, vcc_lo
	s_cbranch_execz .LBB283_471
; %bb.470:
	s_waitcnt lgkmcnt(0)
	v_max_f32_e32 v6, v6, v6
	v_max_f32_e32 v3, v3, v3
	;; [unrolled: 1-line block ×3, first 2 shown]
	ds_write_b32 v9, v3 offset:224
.LBB283_471:
	s_or_b32 exec_lo, exec_lo, s1
	v_cmp_gt_u32_e64 s1, 4, v18
	v_mov_b32_e32 v3, 0xff7fffff
	v_lshlrev_b32_e32 v10, 2, v18
	s_waitcnt lgkmcnt(0)
	s_barrier
	buffer_gl0_inv
	s_and_saveexec_b32 s2, s1
; %bb.472:
	ds_read_b32 v3, v10 offset:224
; %bb.473:
	s_or_b32 exec_lo, exec_lo, s2
	s_waitcnt lgkmcnt(0)
	ds_bpermute_b32 v6, v4, v3
	v_xor_b32_e32 v11, 1, v17
	v_max_f32_e32 v3, v3, v3
	v_cmp_gt_i32_e64 s2, 32, v11
	v_cndmask_b32_e64 v11, v17, v11, s2
	s_sub_i32 s2, s20, s44
	s_lshl_b32 s2, s2, 4
	v_lshlrev_b32_e32 v17, 2, v11
	v_mov_b32_e32 v11, 0
	s_add_i32 s2, s2, s42
	s_min_i32 s2, s2, s31
	s_waitcnt lgkmcnt(0)
	v_max_f32_e32 v6, v6, v6
	s_sub_i32 s4, s2, s42
	v_cmp_gt_i32_e64 s2, s4, v0
	v_max_f32_e32 v3, v3, v6
	ds_bpermute_b32 v6, v17, v3
	s_waitcnt lgkmcnt(0)
	v_max_f32_e32 v6, v6, v6
	v_max_f32_e32 v3, v3, v6
	v_lshl_add_u32 v6, v0, 2, 0x100
	ds_bpermute_b32 v3, v11, v3
	s_and_saveexec_b32 s5, s2
	s_cbranch_execz .LBB283_477
; %bb.474:
	v_lshl_add_u32 v19, v0, 2, 0x100
	v_mov_b32_e32 v11, 0
	v_mov_b32_e32 v20, v0
	s_mov_b32 s12, 0
	.p2align	6
.LBB283_475:                            ; =>This Inner Loop Header: Depth=1
	ds_read_b32 v21, v19
	v_add_nc_u32_e32 v20, 0x80, v20
	v_cmp_le_i32_e64 s3, s4, v20
	s_or_b32 s12, s3, s12
	s_waitcnt lgkmcnt(0)
	v_sub_f32_e32 v21, v21, v3
	v_mul_f32_e32 v21, 0x3fb8aa3b, v21
	v_exp_f32_e32 v21, v21
	ds_write_b32 v19, v21
	v_add_f32_e32 v11, v11, v21
	v_add_nc_u32_e32 v19, 0x200, v19
	s_andn2_b32 exec_lo, exec_lo, s12
	s_cbranch_execnz .LBB283_475
; %bb.476:
	s_or_b32 exec_lo, exec_lo, s12
.LBB283_477:
	s_or_b32 exec_lo, exec_lo, s5
	ds_bpermute_b32 v5, v5, v11
	s_waitcnt lgkmcnt(0)
	v_add_f32_e32 v5, v11, v5
	ds_bpermute_b32 v7, v7, v5
	s_waitcnt lgkmcnt(0)
	v_add_f32_e32 v5, v5, v7
	;; [unrolled: 3-line block ×5, first 2 shown]
	s_and_saveexec_b32 s3, vcc_lo
; %bb.478:
	ds_write_b32 v9, v5 offset:240
; %bb.479:
	s_or_b32 exec_lo, exec_lo, s3
	s_waitcnt lgkmcnt(0)
	s_barrier
	buffer_gl0_inv
	s_and_saveexec_b32 s3, s1
; %bb.480:
	ds_read_b32 v5, v10 offset:240
; %bb.481:
	s_or_b32 exec_lo, exec_lo, s3
	s_waitcnt lgkmcnt(0)
	ds_bpermute_b32 v4, v4, v5
	s_waitcnt lgkmcnt(0)
	v_add_f32_e32 v4, v5, v4
	ds_bpermute_b32 v5, v17, v4
	s_waitcnt lgkmcnt(0)
	v_add_f32_e32 v4, v4, v5
	v_mov_b32_e32 v5, 0
	ds_bpermute_b32 v4, v5, v4
	s_and_saveexec_b32 s1, s2
	s_cbranch_execz .LBB283_484
; %bb.482:
	s_waitcnt lgkmcnt(0)
	v_add_f32_e32 v5, 0x358637bd, v4
	s_mov_b32 s2, 0
	v_div_scale_f32 v7, null, v5, v5, 1.0
	v_div_scale_f32 v10, vcc_lo, 1.0, v5, 1.0
	v_rcp_f32_e32 v8, v7
	v_fma_f32 v9, -v7, v8, 1.0
	v_fmac_f32_e32 v8, v9, v8
	v_mul_f32_e32 v9, v10, v8
	v_fma_f32 v11, -v7, v9, v10
	v_fmac_f32_e32 v9, v11, v8
	v_fma_f32 v7, -v7, v9, v10
	v_div_fmas_f32 v7, v7, v8, v9
	v_div_fixup_f32 v5, v7, v5, 1.0
	v_mov_b32_e32 v7, v0
.LBB283_483:                            ; =>This Inner Loop Header: Depth=1
	ds_read_b32 v8, v6
	v_add_nc_u32_e32 v7, 0x80, v7
	v_cmp_le_i32_e32 vcc_lo, s4, v7
	s_or_b32 s2, vcc_lo, s2
	s_waitcnt lgkmcnt(0)
	v_mul_f32_e32 v8, v5, v8
	ds_write_b32 v6, v8
	v_add_nc_u32_e32 v6, 0x200, v6
	s_andn2_b32 exec_lo, exec_lo, s2
	s_cbranch_execnz .LBB283_483
.LBB283_484:
	s_or_b32 exec_lo, exec_lo, s1
	s_mul_i32 s1, s7, s30
	s_waitcnt lgkmcnt(0)
	s_mul_i32 s2, s1, s9
	s_mov_b32 s1, exec_lo
	s_barrier
	buffer_gl0_inv
	v_cmpx_eq_u32_e32 0, v0
	s_cbranch_execz .LBB283_486
; %bb.485:
	s_ashr_i32 s3, s2, 31
	s_mul_i32 s12, s7, s6
	s_lshl_b64 s[4:5], s[2:3], 2
	v_mov_b32_e32 v5, 0
	s_add_u32 s3, s26, s4
	s_addc_u32 s6, s27, s5
	s_ashr_i32 s13, s12, 31
	s_lshl_b64 s[12:13], s[12:13], 2
	s_add_u32 s3, s3, s12
	s_addc_u32 s6, s6, s13
	s_ashr_i32 s9, s8, 31
	s_lshl_b64 s[26:27], s[8:9], 2
	s_add_u32 s42, s3, s26
	s_addc_u32 s43, s6, s27
	s_add_u32 s3, s24, s4
	s_addc_u32 s4, s25, s5
	;; [unrolled: 2-line block ×4, first 2 shown]
	global_store_dword v5, v3, s[42:43]
	global_store_dword v5, v4, s[4:5]
.LBB283_486:
	s_or_b32 exec_lo, exec_lo, s1
	v_mov_b32_e32 v25, 0
	v_mov_b32_e32 v24, 0
	;; [unrolled: 1-line block ×7, first 2 shown]
	s_and_saveexec_b32 s1, s0
	s_cbranch_execz .LBB283_954
; %bb.487:
	s_sub_i32 s3, s40, s21
	s_ashr_i32 s0, s18, 31
	s_add_u32 s12, s38, s18
	s_addc_u32 s0, s39, s0
	s_abs_i32 s6, s22
	v_and_b32_e32 v5, 0xf8, v16
	v_cvt_f32_u32_e32 v3, s6
	s_sub_i32 s4, 0, s6
	v_lshlrev_b64 v[6:7], 2, v[1:2]
	v_lshlrev_b32_e32 v2, 5, v13
	s_add_i32 s33, s33, -1
	v_rcp_iflag_f32_e32 v4, v3
	v_and_b32_e32 v26, 8, v16
	v_mov_b32_e32 v3, 0
	v_lshl_or_b32 v2, v14, 6, v2
	v_mov_b32_e32 v16, 0x80
	v_mov_b32_e32 v27, 0x7f
	;; [unrolled: 1-line block ×6, first 2 shown]
	v_mul_f32_e32 v4, 0x4f7ffffe, v4
	v_mov_b32_e32 v21, 0
	v_mov_b32_e32 v22, 0
	;; [unrolled: 1-line block ×4, first 2 shown]
	v_cvt_u32_f32_e32 v8, v4
	v_add_co_u32 v4, s12, s12, v5
	v_add_co_ci_u32_e64 v5, null, s0, 0, s12
	v_mul_lo_u32 v9, s4, v8
	s_lshl_b64 s[4:5], s[36:37], 2
	v_add_nc_u32_e32 v30, 0x100, v2
	s_add_u32 s0, s34, s4
	s_addc_u32 s4, s35, s5
	v_add_co_u32 v6, vcc_lo, s0, v6
	v_add_co_ci_u32_e64 v7, null, s4, v7, vcc_lo
	v_mul_hi_u32 v9, v8, v9
	v_mov_b32_e32 v25, 0
	s_mov_b32 s4, -1
	s_mov_b32 s9, s17
	s_mov_b32 s5, 0xffffff
	;; [unrolled: 1-line block ×3, first 2 shown]
	v_add_nc_u32_e32 v31, v8, v9
	s_branch .LBB283_490
.LBB283_488:                            ;   in Loop: Header=BB283_490 Depth=1
	s_or_b32 exec_lo, exec_lo, s0
	v_add_f32_e32 v10, v10, v11
	v_add_f32_e32 v11, v52, v53
	;;#ASMSTART
	v_pk_mul_f16 v33, v45, v54;

	;;#ASMEND
	;;#ASMSTART
	v_pk_mul_f16 v9, v44, v9;

	;;#ASMEND
	;; [unrolled: 4-line block ×4, first 2 shown]
	v_add_f32_e32 v20, v20, v10
	;;#ASMSTART
	v_pk_add_f16 v9, v33, v9;

	;;#ASMEND
	;;#ASMSTART
	v_pk_add_f16 v8, v9, v8;

	;;#ASMEND
	;;#ASMSTART
	v_pk_add_f16 v2, v8, v2;

	;;#ASMEND
	v_and_b32_e32 v10, 0xffff, v2
	v_add_f32_e32 v21, v21, v11
	v_lshrrev_b32_e32 v11, 16, v2
	;;#ASMSTART
	v_cvt_f32_f16 v10, v10;
	;;#ASMEND
	v_add_f32_e32 v32, v50, v51
	v_add_f32_e32 v2, v48, v49
	;; [unrolled: 1-line block ×4, first 2 shown]
	;;#ASMSTART
	v_cvt_f32_f16 v11, v11;
	;;#ASMEND
	v_add_f32_e32 v10, v10, v11
	v_add_f32_e32 v22, v22, v32
	;; [unrolled: 1-line block ×6, first 2 shown]
.LBB283_489:                            ;   in Loop: Header=BB283_490 Depth=1
	s_or_b32 exec_lo, exec_lo, s13
	v_add_nc_u32_e32 v1, 4, v1
	v_add_co_u32 v6, s0, v6, 16
	v_add_co_ci_u32_e64 v7, null, 0, v7, s0
	v_cmp_le_i32_e32 vcc_lo, s20, v1
	v_add_nc_u32_e32 v15, 64, v15
	v_add_nc_u32_e32 v30, 0x100, v30
	s_or_b32 s12, vcc_lo, s12
	s_andn2_b32 exec_lo, exec_lo, s12
	s_cbranch_execz .LBB283_953
.LBB283_490:                            ; =>This Inner Loop Header: Depth=1
	v_sub_nc_u32_e32 v2, 0, v15
	v_max_i32_e32 v2, v15, v2
	v_mul_hi_u32 v8, v2, s16
	v_mul_lo_u32 v9, v8, s11
	v_sub_nc_u32_e32 v2, v2, v9
	v_add_nc_u32_e32 v9, 1, v8
	v_subrev_nc_u32_e32 v10, s11, v2
	v_cmp_le_u32_e32 vcc_lo, s11, v2
	v_cndmask_b32_e32 v8, v8, v9, vcc_lo
	v_cndmask_b32_e32 v2, v2, v10, vcc_lo
	v_ashrrev_i32_e32 v9, 31, v15
	v_add_nc_u32_e32 v10, 1, v8
	v_cmp_le_u32_e32 vcc_lo, s11, v2
	v_xor_b32_e32 v9, s23, v9
	v_cndmask_b32_e32 v2, v8, v10, vcc_lo
	v_xor_b32_e32 v2, v2, v9
	v_sub_nc_u32_e32 v2, v2, v9
	v_add_nc_u32_e32 v8, s19, v2
	v_cmp_lt_i32_e64 s0, s3, v2
	v_sub_nc_u32_e32 v9, 0, v8
	v_max_i32_e32 v9, v8, v9
	v_ashrrev_i32_e32 v8, 31, v8
	v_mul_hi_u32 v10, v9, v31
	v_mul_lo_u32 v10, v10, s6
	v_sub_nc_u32_e32 v9, v9, v10
	v_subrev_nc_u32_e32 v10, s6, v9
	v_cmp_le_u32_e32 vcc_lo, s6, v9
	v_cndmask_b32_e32 v9, v9, v10, vcc_lo
	v_subrev_nc_u32_e32 v10, s6, v9
	v_cmp_le_u32_e32 vcc_lo, s6, v9
	v_cndmask_b32_e32 v9, v9, v10, vcc_lo
	v_xor_b32_e32 v9, v9, v8
	v_sub_nc_u32_e32 v8, v9, v8
	v_cmp_eq_u32_e32 vcc_lo, 0, v8
	s_or_b32 s0, vcc_lo, s0
	s_and_saveexec_b32 s13, s0
	s_cbranch_execz .LBB283_489
; %bb.491:                              ;   in Loop: Header=BB283_490 Depth=1
	global_load_dword v2, v[6:7], off
	ds_read2_b64 v[32:35], v30 offset1:1
	ds_read2_b64 v[36:39], v30 offset0:2 offset1:3
	s_waitcnt lgkmcnt(1)
	;;#ASMSTART
	v_cvt_f16_f32 v40, v32;

	;;#ASMEND
	;;#ASMSTART
	v_cvt_f16_f32 v41, v33;

	;;#ASMEND
	;; [unrolled: 4-line block ×4, first 2 shown]
	s_waitcnt lgkmcnt(0)
	;;#ASMSTART
	v_cvt_f16_f32 v45, v36;

	;;#ASMEND
	;;#ASMSTART
	v_cvt_f16_f32 v43, v37;

	;;#ASMEND
	;; [unrolled: 4-line block ×4, first 2 shown]
	v_mov_b32_e32 v34, 0
	v_mov_b32_e32 v35, 0
	global_load_dword v33, v34, s[14:15]
	s_waitcnt vmcnt(1)
	v_mad_i64_i32 v[8:9], null, v2, s9, v[4:5]
	global_load_dwordx2 v[10:11], v[8:9], off
	s_waitcnt vmcnt(0)
	v_cmp_ne_u16_sdwa s17, v10, v3 src0_sel:BYTE_0 src1_sel:DWORD
	s_and_saveexec_b32 s0, s17
	s_cbranch_execz .LBB283_499
; %bb.492:                              ;   in Loop: Header=BB283_490 Depth=1
	v_cmp_ne_u16_sdwa s18, v10, v16 src0_sel:BYTE_0 src1_sel:DWORD
	v_mov_b32_e32 v35, 0x8000
	s_and_saveexec_b32 s17, s18
	s_cbranch_execz .LBB283_498
; %bb.493:                              ;   in Loop: Header=BB283_490 Depth=1
	v_and_b32_e32 v36, 0x7f, v10
	v_mov_b32_e32 v35, 0x7c01
	s_mov_b32 s18, exec_lo
	v_cmpx_ne_u32_e32 0x7f, v36
	s_cbranch_execz .LBB283_497
; %bb.494:                              ;   in Loop: Header=BB283_490 Depth=1
	v_and_b32_e32 v2, 7, v10
	v_lshrrev_b32_e32 v32, 3, v36
	s_mov_b32 s21, exec_lo
	v_cmpx_gt_u32_e32 8, v36
; %bb.495:                              ;   in Loop: Header=BB283_490 Depth=1
	v_ffbh_u32_e32 v2, v2
	v_min_u32_e32 v2, 32, v2
	v_subrev_nc_u32_e32 v32, 28, v2
	v_lshlrev_b64 v[35:36], v32, v[10:11]
	v_sub_nc_u32_e32 v32, 29, v2
	v_and_b32_e32 v2, 7, v35
; %bb.496:                              ;   in Loop: Header=BB283_490 Depth=1
	s_or_b32 exec_lo, exec_lo, s21
	v_lshlrev_b32_e32 v35, 8, v10
	v_lshl_add_u32 v32, v32, 10, 0x2000
	v_lshlrev_b32_e32 v2, 7, v2
	v_and_b32_e32 v35, 0x8000, v35
	v_and_b32_e32 v32, 0xfc00, v32
	v_or3_b32 v35, v35, v32, v2
.LBB283_497:                            ;   in Loop: Header=BB283_490 Depth=1
	s_or_b32 exec_lo, exec_lo, s18
.LBB283_498:                            ;   in Loop: Header=BB283_490 Depth=1
	s_or_b32 exec_lo, exec_lo, s17
.LBB283_499:                            ;   in Loop: Header=BB283_490 Depth=1
	s_or_b32 exec_lo, exec_lo, s0
	v_lshrrev_b16 v2, 8, v10
	s_mov_b32 s0, exec_lo
	v_cmpx_ne_u16_e32 0, v2
	s_cbranch_execz .LBB283_507
; %bb.500:                              ;   in Loop: Header=BB283_490 Depth=1
	v_bfrev_b32_e32 v34, 1
	s_mov_b32 s17, exec_lo
	v_cmpx_ne_u16_e32 0x80, v2
	s_cbranch_execz .LBB283_506
; %bb.501:                              ;   in Loop: Header=BB283_490 Depth=1
	v_and_b32_sdwa v36, v2, v27 dst_sel:DWORD dst_unused:UNUSED_PAD src0_sel:WORD_0 src1_sel:DWORD
	v_mov_b32_e32 v34, 0x7c010000
	s_mov_b32 s18, exec_lo
	v_cmpx_ne_u32_e32 0x7f, v36
	s_cbranch_execz .LBB283_505
; %bb.502:                              ;   in Loop: Header=BB283_490 Depth=1
	v_and_b32_sdwa v32, v2, v28 dst_sel:DWORD dst_unused:UNUSED_PAD src0_sel:WORD_0 src1_sel:DWORD
	v_lshrrev_b32_e32 v34, 3, v36
	s_mov_b32 s21, exec_lo
	v_cmpx_gt_u32_e32 8, v36
; %bb.503:                              ;   in Loop: Header=BB283_490 Depth=1
	v_ffbh_u32_e32 v32, v32
	v_min_u32_e32 v32, 32, v32
	v_subrev_nc_u32_e32 v34, 28, v32
	v_lshlrev_b64 v[36:37], v34, v[2:3]
	v_sub_nc_u32_e32 v34, 29, v32
	v_and_b32_e32 v32, 7, v36
; %bb.504:                              ;   in Loop: Header=BB283_490 Depth=1
	s_or_b32 exec_lo, exec_lo, s21
	v_lshlrev_b32_sdwa v2, v29, v2 dst_sel:DWORD dst_unused:UNUSED_PAD src0_sel:DWORD src1_sel:WORD_0
	v_lshl_add_u32 v34, v34, 10, 0x2000
	v_lshlrev_b32_e32 v32, 23, v32
	v_and_or_b32 v2, 0x8000, v2, v34
	v_lshl_or_b32 v34, v2, 16, v32
.LBB283_505:                            ;   in Loop: Header=BB283_490 Depth=1
	s_or_b32 exec_lo, exec_lo, s18
.LBB283_506:                            ;   in Loop: Header=BB283_490 Depth=1
	s_or_b32 exec_lo, exec_lo, s17
.LBB283_507:                            ;   in Loop: Header=BB283_490 Depth=1
	s_or_b32 exec_lo, exec_lo, s0
	v_lshrrev_b32_e32 v2, 16, v10
	v_mov_b32_e32 v36, 0
	v_mov_b32_e32 v32, 0
	v_cmp_ne_u16_sdwa s17, v2, v3 src0_sel:BYTE_0 src1_sel:DWORD
	s_and_saveexec_b32 s0, s17
	s_cbranch_execz .LBB283_515
; %bb.508:                              ;   in Loop: Header=BB283_490 Depth=1
	v_cmp_ne_u16_sdwa s18, v2, v16 src0_sel:BYTE_0 src1_sel:DWORD
	v_mov_b32_e32 v32, 0x8000
	s_and_saveexec_b32 s17, s18
	s_cbranch_execz .LBB283_514
; %bb.509:                              ;   in Loop: Header=BB283_490 Depth=1
	v_bfe_u32 v38, v10, 16, 7
	v_mov_b32_e32 v32, 0x7c01
	s_mov_b32 s18, exec_lo
	v_cmpx_ne_u32_e32 0x7f, v38
	s_cbranch_execz .LBB283_513
; %bb.510:                              ;   in Loop: Header=BB283_490 Depth=1
	v_and_b32_e32 v32, 7, v2
	v_lshrrev_b32_e32 v37, 3, v38
	s_mov_b32 s21, exec_lo
	v_cmpx_gt_u32_e32 8, v38
; %bb.511:                              ;   in Loop: Header=BB283_490 Depth=1
	v_ffbh_u32_e32 v32, v32
	v_min_u32_e32 v32, 32, v32
	v_subrev_nc_u32_e32 v37, 28, v32
	v_lshlrev_b64 v[38:39], v37, v[2:3]
	v_sub_nc_u32_e32 v37, 29, v32
	v_and_b32_e32 v32, 7, v38
; %bb.512:                              ;   in Loop: Header=BB283_490 Depth=1
	s_or_b32 exec_lo, exec_lo, s21
	v_lshlrev_b32_e32 v2, 8, v2
	v_lshl_add_u32 v37, v37, 10, 0x2000
	v_lshlrev_b32_e32 v32, 7, v32
	v_and_b32_e32 v2, 0x8000, v2
	v_and_b32_e32 v37, 0xfc00, v37
	v_or3_b32 v32, v2, v37, v32
.LBB283_513:                            ;   in Loop: Header=BB283_490 Depth=1
	s_or_b32 exec_lo, exec_lo, s18
.LBB283_514:                            ;   in Loop: Header=BB283_490 Depth=1
	s_or_b32 exec_lo, exec_lo, s17
.LBB283_515:                            ;   in Loop: Header=BB283_490 Depth=1
	s_or_b32 exec_lo, exec_lo, s0
	s_mov_b32 s0, exec_lo
	v_cmpx_lt_u32_e32 0xffffff, v10
	s_cbranch_execz .LBB283_523
; %bb.516:                              ;   in Loop: Header=BB283_490 Depth=1
	v_lshrrev_b32_e32 v2, 24, v10
	v_bfrev_b32_e32 v36, 1
	s_mov_b32 s17, exec_lo
	v_cmpx_ne_u32_e32 0x80, v2
	s_cbranch_execz .LBB283_522
; %bb.517:                              ;   in Loop: Header=BB283_490 Depth=1
	v_and_b32_e32 v38, 0x7f, v2
	v_mov_b32_e32 v36, 0x7c010000
	s_mov_b32 s18, exec_lo
	v_cmpx_ne_u32_e32 0x7f, v38
	s_cbranch_execz .LBB283_521
; %bb.518:                              ;   in Loop: Header=BB283_490 Depth=1
	v_and_b32_e32 v36, 7, v2
	v_lshrrev_b32_e32 v37, 3, v38
	s_mov_b32 s21, exec_lo
	v_cmpx_gt_u32_e32 8, v38
; %bb.519:                              ;   in Loop: Header=BB283_490 Depth=1
	v_ffbh_u32_e32 v36, v36
	v_min_u32_e32 v38, 32, v36
	v_subrev_nc_u32_e32 v36, 28, v38
	v_lshlrev_b64 v[36:37], v36, v[2:3]
	v_sub_nc_u32_e32 v37, 29, v38
	v_and_b32_e32 v36, 7, v36
; %bb.520:                              ;   in Loop: Header=BB283_490 Depth=1
	s_or_b32 exec_lo, exec_lo, s21
	v_lshlrev_b32_e32 v2, 8, v2
	v_lshl_add_u32 v37, v37, 10, 0x2000
	v_lshlrev_b32_e32 v36, 23, v36
	v_and_or_b32 v2, 0x8000, v2, v37
	v_lshl_or_b32 v36, v2, 16, v36
.LBB283_521:                            ;   in Loop: Header=BB283_490 Depth=1
	s_or_b32 exec_lo, exec_lo, s18
.LBB283_522:                            ;   in Loop: Header=BB283_490 Depth=1
	s_or_b32 exec_lo, exec_lo, s17
.LBB283_523:                            ;   in Loop: Header=BB283_490 Depth=1
	s_or_b32 exec_lo, exec_lo, s0
	v_mov_b32_e32 v2, v11
	v_cmp_ne_u16_sdwa s17, v11, v3 src0_sel:BYTE_0 src1_sel:DWORD
	v_mov_b32_e32 v37, 0
	v_mov_b32_e32 v38, 0
	s_and_saveexec_b32 s0, s17
	s_cbranch_execz .LBB283_531
; %bb.524:                              ;   in Loop: Header=BB283_490 Depth=1
	v_cmp_ne_u16_sdwa s18, v11, v16 src0_sel:BYTE_0 src1_sel:DWORD
	v_mov_b32_e32 v38, 0x8000
	s_and_saveexec_b32 s17, s18
	s_cbranch_execz .LBB283_530
; %bb.525:                              ;   in Loop: Header=BB283_490 Depth=1
	v_and_b32_e32 v48, 0x7f, v11
	v_mov_b32_e32 v38, 0x7c01
	s_mov_b32 s18, exec_lo
	v_cmpx_ne_u32_e32 0x7f, v48
	s_cbranch_execz .LBB283_529
; %bb.526:                              ;   in Loop: Header=BB283_490 Depth=1
	v_and_b32_e32 v38, 7, v11
	v_lshrrev_b32_e32 v39, 3, v48
	s_mov_b32 s21, exec_lo
	v_cmpx_gt_u32_e32 8, v48
; %bb.527:                              ;   in Loop: Header=BB283_490 Depth=1
	v_ffbh_u32_e32 v38, v38
	v_min_u32_e32 v48, 32, v38
	v_subrev_nc_u32_e32 v38, 28, v48
	v_lshlrev_b64 v[38:39], v38, v[2:3]
	v_sub_nc_u32_e32 v39, 29, v48
	v_and_b32_e32 v38, 7, v38
; %bb.528:                              ;   in Loop: Header=BB283_490 Depth=1
	s_or_b32 exec_lo, exec_lo, s21
	v_lshlrev_b32_e32 v48, 8, v11
	v_lshl_add_u32 v39, v39, 10, 0x2000
	v_lshlrev_b32_e32 v38, 7, v38
	v_and_b32_e32 v48, 0x8000, v48
	v_and_b32_e32 v39, 0xfc00, v39
	v_or3_b32 v38, v48, v39, v38
.LBB283_529:                            ;   in Loop: Header=BB283_490 Depth=1
	s_or_b32 exec_lo, exec_lo, s18
.LBB283_530:                            ;   in Loop: Header=BB283_490 Depth=1
	s_or_b32 exec_lo, exec_lo, s17
.LBB283_531:                            ;   in Loop: Header=BB283_490 Depth=1
	s_or_b32 exec_lo, exec_lo, s0
	v_lshrrev_b16 v2, 8, v2
	v_mov_b32_e32 v39, 0
	s_mov_b32 s0, exec_lo
	v_cmpx_ne_u16_e32 0, v2
	s_cbranch_execz .LBB283_539
; %bb.532:                              ;   in Loop: Header=BB283_490 Depth=1
	v_bfrev_b32_e32 v39, 1
	s_mov_b32 s17, exec_lo
	v_cmpx_ne_u16_e32 0x80, v2
	s_cbranch_execz .LBB283_538
; %bb.533:                              ;   in Loop: Header=BB283_490 Depth=1
	v_and_b32_sdwa v49, v2, v27 dst_sel:DWORD dst_unused:UNUSED_PAD src0_sel:WORD_0 src1_sel:DWORD
	v_mov_b32_e32 v39, 0x7c010000
	s_mov_b32 s18, exec_lo
	v_cmpx_ne_u32_e32 0x7f, v49
	s_cbranch_execz .LBB283_537
; %bb.534:                              ;   in Loop: Header=BB283_490 Depth=1
	v_and_b32_sdwa v39, v2, v28 dst_sel:DWORD dst_unused:UNUSED_PAD src0_sel:WORD_0 src1_sel:DWORD
	v_lshrrev_b32_e32 v48, 3, v49
	s_mov_b32 s21, exec_lo
	v_cmpx_gt_u32_e32 8, v49
; %bb.535:                              ;   in Loop: Header=BB283_490 Depth=1
	v_ffbh_u32_e32 v39, v39
	v_min_u32_e32 v39, 32, v39
	v_subrev_nc_u32_e32 v48, 28, v39
	v_lshlrev_b64 v[49:50], v48, v[2:3]
	v_sub_nc_u32_e32 v48, 29, v39
	v_and_b32_e32 v39, 7, v49
; %bb.536:                              ;   in Loop: Header=BB283_490 Depth=1
	s_or_b32 exec_lo, exec_lo, s21
	v_lshlrev_b32_sdwa v2, v29, v2 dst_sel:DWORD dst_unused:UNUSED_PAD src0_sel:DWORD src1_sel:WORD_0
	v_lshl_add_u32 v48, v48, 10, 0x2000
	v_lshlrev_b32_e32 v39, 23, v39
	v_and_or_b32 v2, 0x8000, v2, v48
	v_lshl_or_b32 v39, v2, 16, v39
.LBB283_537:                            ;   in Loop: Header=BB283_490 Depth=1
	s_or_b32 exec_lo, exec_lo, s18
.LBB283_538:                            ;   in Loop: Header=BB283_490 Depth=1
	s_or_b32 exec_lo, exec_lo, s17
.LBB283_539:                            ;   in Loop: Header=BB283_490 Depth=1
	s_or_b32 exec_lo, exec_lo, s0
	v_lshrrev_b32_e32 v2, 16, v11
	v_cmp_ne_u16_sdwa s17, v2, v3 src0_sel:BYTE_0 src1_sel:DWORD
	s_and_saveexec_b32 s0, s17
	s_cbranch_execz .LBB283_547
; %bb.540:                              ;   in Loop: Header=BB283_490 Depth=1
	v_cmp_ne_u16_sdwa s18, v2, v16 src0_sel:BYTE_0 src1_sel:DWORD
	v_mov_b32_e32 v37, 0x8000
	s_and_saveexec_b32 s17, s18
	s_cbranch_execz .LBB283_546
; %bb.541:                              ;   in Loop: Header=BB283_490 Depth=1
	v_bfe_u32 v49, v11, 16, 7
	v_mov_b32_e32 v37, 0x7c01
	s_mov_b32 s18, exec_lo
	v_cmpx_ne_u32_e32 0x7f, v49
	s_cbranch_execz .LBB283_545
; %bb.542:                              ;   in Loop: Header=BB283_490 Depth=1
	v_and_b32_e32 v37, 7, v2
	v_lshrrev_b32_e32 v48, 3, v49
	s_mov_b32 s21, exec_lo
	v_cmpx_gt_u32_e32 8, v49
; %bb.543:                              ;   in Loop: Header=BB283_490 Depth=1
	v_ffbh_u32_e32 v37, v37
	v_min_u32_e32 v37, 32, v37
	v_subrev_nc_u32_e32 v48, 28, v37
	v_lshlrev_b64 v[49:50], v48, v[2:3]
	v_sub_nc_u32_e32 v48, 29, v37
	v_and_b32_e32 v37, 7, v49
; %bb.544:                              ;   in Loop: Header=BB283_490 Depth=1
	s_or_b32 exec_lo, exec_lo, s21
	v_lshlrev_b32_e32 v2, 8, v2
	v_lshl_add_u32 v48, v48, 10, 0x2000
	v_lshlrev_b32_e32 v37, 7, v37
	v_and_b32_e32 v2, 0x8000, v2
	v_and_b32_e32 v48, 0xfc00, v48
	v_or3_b32 v37, v2, v48, v37
.LBB283_545:                            ;   in Loop: Header=BB283_490 Depth=1
	s_or_b32 exec_lo, exec_lo, s18
.LBB283_546:                            ;   in Loop: Header=BB283_490 Depth=1
	s_or_b32 exec_lo, exec_lo, s17
.LBB283_547:                            ;   in Loop: Header=BB283_490 Depth=1
	s_or_b32 exec_lo, exec_lo, s0
	v_cmp_lt_u64_e32 vcc_lo, s[4:5], v[10:11]
	v_mov_b32_e32 v10, 0
	s_and_saveexec_b32 s0, vcc_lo
	s_cbranch_execz .LBB283_555
; %bb.548:                              ;   in Loop: Header=BB283_490 Depth=1
	v_lshrrev_b32_e32 v2, 24, v11
	v_bfrev_b32_e32 v10, 1
	s_mov_b32 s17, exec_lo
	v_cmpx_ne_u32_e32 0x80, v2
	s_cbranch_execz .LBB283_554
; %bb.549:                              ;   in Loop: Header=BB283_490 Depth=1
	v_and_b32_e32 v48, 0x7f, v2
	v_mov_b32_e32 v10, 0x7c010000
	s_mov_b32 s18, exec_lo
	v_cmpx_ne_u32_e32 0x7f, v48
	s_cbranch_execz .LBB283_553
; %bb.550:                              ;   in Loop: Header=BB283_490 Depth=1
	v_and_b32_e32 v10, 7, v2
	v_lshrrev_b32_e32 v11, 3, v48
	s_mov_b32 s21, exec_lo
	v_cmpx_gt_u32_e32 8, v48
; %bb.551:                              ;   in Loop: Header=BB283_490 Depth=1
	v_ffbh_u32_e32 v10, v10
	v_min_u32_e32 v48, 32, v10
	v_subrev_nc_u32_e32 v10, 28, v48
	v_lshlrev_b64 v[10:11], v10, v[2:3]
	v_sub_nc_u32_e32 v11, 29, v48
	v_and_b32_e32 v10, 7, v10
; %bb.552:                              ;   in Loop: Header=BB283_490 Depth=1
	s_or_b32 exec_lo, exec_lo, s21
	v_lshlrev_b32_e32 v2, 8, v2
	v_lshl_add_u32 v11, v11, 10, 0x2000
	v_lshlrev_b32_e32 v10, 23, v10
	v_and_or_b32 v2, 0x8000, v2, v11
	v_lshl_or_b32 v10, v2, 16, v10
.LBB283_553:                            ;   in Loop: Header=BB283_490 Depth=1
	s_or_b32 exec_lo, exec_lo, s18
.LBB283_554:                            ;   in Loop: Header=BB283_490 Depth=1
	s_or_b32 exec_lo, exec_lo, s17
.LBB283_555:                            ;   in Loop: Header=BB283_490 Depth=1
	s_or_b32 exec_lo, exec_lo, s0
	v_or_b32_e32 v2, v36, v32
	v_fma_mixlo_f16 v11, v33, v36, 0 op_sel:[0,1,0] op_sel_hi:[0,1,0]
	v_or_b32_e32 v35, v34, v35
	v_fma_mixlo_f16 v34, v33, v34, 0 op_sel:[0,1,0] op_sel_hi:[0,1,0]
	v_or_b32_e32 v36, v39, v38
	v_fma_mixlo_f16 v2, v33, v2, 0 op_sel_hi:[0,1,0]
	v_or_b32_e32 v37, v10, v37
	v_fma_mixlo_f16 v10, v33, v10, 0 op_sel:[0,1,0] op_sel_hi:[0,1,0]
	v_lshlrev_b32_e32 v54, 16, v34
	v_fma_mixlo_f16 v34, v33, v39, 0 op_sel:[0,1,0] op_sel_hi:[0,1,0]
	v_and_b32_e32 v51, 0xffff, v2
	v_fma_mixlo_f16 v2, v33, v35, 0 op_sel_hi:[0,1,0]
	v_fma_mixlo_f16 v35, v33, v36, 0 op_sel_hi:[0,1,0]
	;; [unrolled: 1-line block ×3, first 2 shown]
	v_add_nc_u32_e32 v32, v26, v15
	v_lshlrev_b32_e32 v11, 16, v11
	v_and_b32_e32 v56, 0xffff, v2
	v_lshlrev_b32_e32 v52, 16, v34
	v_and_b32_e32 v55, 0xffff, v35
	;; [unrolled: 2-line block ×3, first 2 shown]
	v_cmp_eq_u32_e32 vcc_lo, s33, v1
	v_or_b32_e32 v2, v11, v51
	v_or_b32_e32 v10, v54, v56
	;; [unrolled: 1-line block ×4, first 2 shown]
	v_add_nc_u32_e32 v39, 1, v32
	v_add_nc_u32_e32 v38, 2, v32
	;; [unrolled: 1-line block ×7, first 2 shown]
	s_and_saveexec_b32 s17, vcc_lo
	s_cbranch_execz .LBB283_557
; %bb.556:                              ;   in Loop: Header=BB283_490 Depth=1
	v_cmp_gt_i32_e64 s0, s31, v32
	v_cndmask_b32_e64 v2, 0, v56, s0
	v_cmp_gt_i32_e64 s0, s31, v39
	v_cndmask_b32_e64 v10, 0, v54, s0
	v_cmp_gt_i32_e64 s0, s31, v38
	v_or_b32_e32 v10, v10, v2
	v_cndmask_b32_e64 v48, 0, v51, s0
	v_cmp_gt_i32_e64 s0, s31, v37
	v_cndmask_b32_e64 v11, 0, v11, s0
	v_cmp_gt_i32_e64 s0, s31, v36
	v_or_b32_e32 v2, v11, v48
	;; [unrolled: 5-line block ×3, first 2 shown]
	v_cndmask_b32_e64 v52, 0, v53, s0
	v_cmp_gt_i32_e64 s0, s31, v33
	v_cndmask_b32_e64 v49, 0, v49, s0
	v_or_b32_e32 v50, v49, v52
.LBB283_557:                            ;   in Loop: Header=BB283_490 Depth=1
	s_or_b32 exec_lo, exec_lo, s17
	v_and_b32_e32 v11, 0xffff, v40
	v_and_b32_e32 v40, 0xffff, v44
	;; [unrolled: 1-line block ×4, first 2 shown]
	v_lshl_or_b32 v45, v41, 16, v11
	v_lshl_or_b32 v44, v42, 16, v40
	;;#ASMSTART
	v_pk_mul_f16 v10, v45, v10;

	;;#ASMEND
	;;#ASMSTART
	v_pk_mul_f16 v2, v44, v2;

	;;#ASMEND
	v_lshl_or_b32 v43, v43, 16, v49
	v_lshl_or_b32 v42, v46, 16, v47
	;;#ASMSTART
	v_pk_mul_f16 v11, v43, v48;

	;;#ASMEND
	;;#ASMSTART
	v_pk_mul_f16 v40, v42, v50;

	;;#ASMEND
	;;#ASMSTART
	v_pk_add_f16 v2, v10, v2;

	;;#ASMEND
	;;#ASMSTART
	v_pk_add_f16 v2, v2, v11;
	;; [unrolled: 4-line block ×3, first 2 shown]

	;;#ASMEND
	v_and_b32_e32 v10, 0xffff, v2
	v_lshrrev_b32_e32 v2, 16, v2
	;;#ASMSTART
	v_cvt_f32_f16 v40, v10;
	;;#ASMEND
	;;#ASMSTART
	v_cvt_f32_f16 v41, v2;
	;;#ASMEND
	global_load_dwordx2 v[10:11], v[8:9], off offset:256
	v_mov_b32_e32 v47, 0
	v_mov_b32_e32 v48, 0
	global_load_dword v46, v47, s[14:15]
	s_waitcnt vmcnt(1)
	v_cmp_ne_u16_sdwa s0, v10, v3 src0_sel:BYTE_0 src1_sel:DWORD
	s_and_saveexec_b32 s17, s0
	s_cbranch_execz .LBB283_565
; %bb.558:                              ;   in Loop: Header=BB283_490 Depth=1
	v_cmp_ne_u16_sdwa s0, v10, v16 src0_sel:BYTE_0 src1_sel:DWORD
	v_mov_b32_e32 v48, 0x8000
	s_and_saveexec_b32 s18, s0
	s_cbranch_execz .LBB283_564
; %bb.559:                              ;   in Loop: Header=BB283_490 Depth=1
	v_and_b32_e32 v49, 0x7f, v10
	v_mov_b32_e32 v48, 0x7c01
	s_mov_b32 s21, exec_lo
	v_cmpx_ne_u32_e32 0x7f, v49
	s_cbranch_execz .LBB283_563
; %bb.560:                              ;   in Loop: Header=BB283_490 Depth=1
	v_and_b32_e32 v2, 7, v10
	v_lshrrev_b32_e32 v48, 3, v49
	s_mov_b32 s22, exec_lo
	v_cmpx_gt_u32_e32 8, v49
; %bb.561:                              ;   in Loop: Header=BB283_490 Depth=1
	v_ffbh_u32_e32 v2, v2
	v_min_u32_e32 v2, 32, v2
	v_subrev_nc_u32_e32 v48, 28, v2
	v_lshlrev_b64 v[49:50], v48, v[10:11]
	v_sub_nc_u32_e32 v48, 29, v2
	v_and_b32_e32 v2, 7, v49
; %bb.562:                              ;   in Loop: Header=BB283_490 Depth=1
	s_or_b32 exec_lo, exec_lo, s22
	v_lshlrev_b32_e32 v49, 8, v10
	v_lshl_add_u32 v48, v48, 10, 0x2000
	v_lshlrev_b32_e32 v2, 7, v2
	v_and_b32_e32 v49, 0x8000, v49
	v_and_b32_e32 v48, 0xfc00, v48
	v_or3_b32 v48, v49, v48, v2
.LBB283_563:                            ;   in Loop: Header=BB283_490 Depth=1
	s_or_b32 exec_lo, exec_lo, s21
.LBB283_564:                            ;   in Loop: Header=BB283_490 Depth=1
	s_or_b32 exec_lo, exec_lo, s18
.LBB283_565:                            ;   in Loop: Header=BB283_490 Depth=1
	s_or_b32 exec_lo, exec_lo, s17
	v_lshrrev_b16 v2, 8, v10
	s_mov_b32 s17, exec_lo
	v_cmpx_ne_u16_e32 0, v2
	s_cbranch_execz .LBB283_573
; %bb.566:                              ;   in Loop: Header=BB283_490 Depth=1
	v_bfrev_b32_e32 v47, 1
	s_mov_b32 s18, exec_lo
	v_cmpx_ne_u16_e32 0x80, v2
	s_cbranch_execz .LBB283_572
; %bb.567:                              ;   in Loop: Header=BB283_490 Depth=1
	v_and_b32_sdwa v50, v2, v27 dst_sel:DWORD dst_unused:UNUSED_PAD src0_sel:WORD_0 src1_sel:DWORD
	v_mov_b32_e32 v47, 0x7c010000
	s_mov_b32 s21, exec_lo
	v_cmpx_ne_u32_e32 0x7f, v50
	s_cbranch_execz .LBB283_571
; %bb.568:                              ;   in Loop: Header=BB283_490 Depth=1
	v_and_b32_sdwa v47, v2, v28 dst_sel:DWORD dst_unused:UNUSED_PAD src0_sel:WORD_0 src1_sel:DWORD
	v_lshrrev_b32_e32 v49, 3, v50
	s_mov_b32 s22, exec_lo
	v_cmpx_gt_u32_e32 8, v50
; %bb.569:                              ;   in Loop: Header=BB283_490 Depth=1
	v_ffbh_u32_e32 v47, v47
	v_min_u32_e32 v47, 32, v47
	v_subrev_nc_u32_e32 v49, 28, v47
	v_lshlrev_b64 v[50:51], v49, v[2:3]
	v_sub_nc_u32_e32 v49, 29, v47
	v_and_b32_e32 v47, 7, v50
; %bb.570:                              ;   in Loop: Header=BB283_490 Depth=1
	s_or_b32 exec_lo, exec_lo, s22
	v_lshlrev_b32_sdwa v2, v29, v2 dst_sel:DWORD dst_unused:UNUSED_PAD src0_sel:DWORD src1_sel:WORD_0
	v_lshl_add_u32 v49, v49, 10, 0x2000
	v_lshlrev_b32_e32 v47, 23, v47
	v_and_or_b32 v2, 0x8000, v2, v49
	v_lshl_or_b32 v47, v2, 16, v47
.LBB283_571:                            ;   in Loop: Header=BB283_490 Depth=1
	s_or_b32 exec_lo, exec_lo, s21
.LBB283_572:                            ;   in Loop: Header=BB283_490 Depth=1
	s_or_b32 exec_lo, exec_lo, s18
.LBB283_573:                            ;   in Loop: Header=BB283_490 Depth=1
	s_or_b32 exec_lo, exec_lo, s17
	v_lshrrev_b32_e32 v2, 16, v10
	v_mov_b32_e32 v49, 0
	v_mov_b32_e32 v50, 0
	v_cmp_ne_u16_sdwa s0, v2, v3 src0_sel:BYTE_0 src1_sel:DWORD
	s_and_saveexec_b32 s17, s0
	s_cbranch_execz .LBB283_581
; %bb.574:                              ;   in Loop: Header=BB283_490 Depth=1
	v_cmp_ne_u16_sdwa s0, v2, v16 src0_sel:BYTE_0 src1_sel:DWORD
	v_mov_b32_e32 v50, 0x8000
	s_and_saveexec_b32 s18, s0
	s_cbranch_execz .LBB283_580
; %bb.575:                              ;   in Loop: Header=BB283_490 Depth=1
	v_bfe_u32 v52, v10, 16, 7
	v_mov_b32_e32 v50, 0x7c01
	s_mov_b32 s21, exec_lo
	v_cmpx_ne_u32_e32 0x7f, v52
	s_cbranch_execz .LBB283_579
; %bb.576:                              ;   in Loop: Header=BB283_490 Depth=1
	v_and_b32_e32 v50, 7, v2
	v_lshrrev_b32_e32 v51, 3, v52
	s_mov_b32 s22, exec_lo
	v_cmpx_gt_u32_e32 8, v52
; %bb.577:                              ;   in Loop: Header=BB283_490 Depth=1
	v_ffbh_u32_e32 v50, v50
	v_min_u32_e32 v52, 32, v50
	v_subrev_nc_u32_e32 v50, 28, v52
	v_lshlrev_b64 v[50:51], v50, v[2:3]
	v_sub_nc_u32_e32 v51, 29, v52
	v_and_b32_e32 v50, 7, v50
; %bb.578:                              ;   in Loop: Header=BB283_490 Depth=1
	s_or_b32 exec_lo, exec_lo, s22
	v_lshlrev_b32_e32 v2, 8, v2
	v_lshl_add_u32 v51, v51, 10, 0x2000
	v_lshlrev_b32_e32 v50, 7, v50
	v_and_b32_e32 v2, 0x8000, v2
	v_and_b32_e32 v51, 0xfc00, v51
	v_or3_b32 v50, v2, v51, v50
.LBB283_579:                            ;   in Loop: Header=BB283_490 Depth=1
	s_or_b32 exec_lo, exec_lo, s21
.LBB283_580:                            ;   in Loop: Header=BB283_490 Depth=1
	s_or_b32 exec_lo, exec_lo, s18
.LBB283_581:                            ;   in Loop: Header=BB283_490 Depth=1
	s_or_b32 exec_lo, exec_lo, s17
	s_mov_b32 s17, exec_lo
	v_cmpx_lt_u32_e32 0xffffff, v10
	s_cbranch_execz .LBB283_589
; %bb.582:                              ;   in Loop: Header=BB283_490 Depth=1
	v_lshrrev_b32_e32 v2, 24, v10
	v_bfrev_b32_e32 v49, 1
	s_mov_b32 s18, exec_lo
	v_cmpx_ne_u32_e32 0x80, v2
	s_cbranch_execz .LBB283_588
; %bb.583:                              ;   in Loop: Header=BB283_490 Depth=1
	v_and_b32_e32 v52, 0x7f, v2
	v_mov_b32_e32 v49, 0x7c010000
	s_mov_b32 s21, exec_lo
	v_cmpx_ne_u32_e32 0x7f, v52
	s_cbranch_execz .LBB283_587
; %bb.584:                              ;   in Loop: Header=BB283_490 Depth=1
	v_and_b32_e32 v49, 7, v2
	v_lshrrev_b32_e32 v51, 3, v52
	s_mov_b32 s22, exec_lo
	v_cmpx_gt_u32_e32 8, v52
; %bb.585:                              ;   in Loop: Header=BB283_490 Depth=1
	v_ffbh_u32_e32 v49, v49
	v_min_u32_e32 v49, 32, v49
	v_subrev_nc_u32_e32 v51, 28, v49
	v_lshlrev_b64 v[52:53], v51, v[2:3]
	v_sub_nc_u32_e32 v51, 29, v49
	v_and_b32_e32 v49, 7, v52
; %bb.586:                              ;   in Loop: Header=BB283_490 Depth=1
	s_or_b32 exec_lo, exec_lo, s22
	v_lshlrev_b32_e32 v2, 8, v2
	v_lshl_add_u32 v51, v51, 10, 0x2000
	v_lshlrev_b32_e32 v49, 23, v49
	v_and_or_b32 v2, 0x8000, v2, v51
	v_lshl_or_b32 v49, v2, 16, v49
.LBB283_587:                            ;   in Loop: Header=BB283_490 Depth=1
	s_or_b32 exec_lo, exec_lo, s21
.LBB283_588:                            ;   in Loop: Header=BB283_490 Depth=1
	s_or_b32 exec_lo, exec_lo, s18
.LBB283_589:                            ;   in Loop: Header=BB283_490 Depth=1
	s_or_b32 exec_lo, exec_lo, s17
	v_mov_b32_e32 v2, v11
	v_cmp_ne_u16_sdwa s0, v11, v3 src0_sel:BYTE_0 src1_sel:DWORD
	v_mov_b32_e32 v51, 0
	v_mov_b32_e32 v52, 0
	s_and_saveexec_b32 s17, s0
	s_cbranch_execz .LBB283_597
; %bb.590:                              ;   in Loop: Header=BB283_490 Depth=1
	v_cmp_ne_u16_sdwa s0, v11, v16 src0_sel:BYTE_0 src1_sel:DWORD
	v_mov_b32_e32 v52, 0x8000
	s_and_saveexec_b32 s18, s0
	s_cbranch_execz .LBB283_596
; %bb.591:                              ;   in Loop: Header=BB283_490 Depth=1
	v_and_b32_e32 v54, 0x7f, v11
	v_mov_b32_e32 v52, 0x7c01
	s_mov_b32 s21, exec_lo
	v_cmpx_ne_u32_e32 0x7f, v54
	s_cbranch_execz .LBB283_595
; %bb.592:                              ;   in Loop: Header=BB283_490 Depth=1
	v_and_b32_e32 v52, 7, v11
	v_lshrrev_b32_e32 v53, 3, v54
	s_mov_b32 s22, exec_lo
	v_cmpx_gt_u32_e32 8, v54
; %bb.593:                              ;   in Loop: Header=BB283_490 Depth=1
	v_ffbh_u32_e32 v52, v52
	v_min_u32_e32 v54, 32, v52
	v_subrev_nc_u32_e32 v52, 28, v54
	v_lshlrev_b64 v[52:53], v52, v[2:3]
	v_sub_nc_u32_e32 v53, 29, v54
	v_and_b32_e32 v52, 7, v52
; %bb.594:                              ;   in Loop: Header=BB283_490 Depth=1
	s_or_b32 exec_lo, exec_lo, s22
	v_lshlrev_b32_e32 v54, 8, v11
	v_lshl_add_u32 v53, v53, 10, 0x2000
	v_lshlrev_b32_e32 v52, 7, v52
	v_and_b32_e32 v54, 0x8000, v54
	v_and_b32_e32 v53, 0xfc00, v53
	v_or3_b32 v52, v54, v53, v52
.LBB283_595:                            ;   in Loop: Header=BB283_490 Depth=1
	s_or_b32 exec_lo, exec_lo, s21
.LBB283_596:                            ;   in Loop: Header=BB283_490 Depth=1
	s_or_b32 exec_lo, exec_lo, s18
.LBB283_597:                            ;   in Loop: Header=BB283_490 Depth=1
	s_or_b32 exec_lo, exec_lo, s17
	v_lshrrev_b16 v2, 8, v2
	v_mov_b32_e32 v53, 0
	s_mov_b32 s17, exec_lo
	v_cmpx_ne_u16_e32 0, v2
	s_cbranch_execz .LBB283_605
; %bb.598:                              ;   in Loop: Header=BB283_490 Depth=1
	v_bfrev_b32_e32 v53, 1
	s_mov_b32 s18, exec_lo
	v_cmpx_ne_u16_e32 0x80, v2
	s_cbranch_execz .LBB283_604
; %bb.599:                              ;   in Loop: Header=BB283_490 Depth=1
	v_and_b32_sdwa v55, v2, v27 dst_sel:DWORD dst_unused:UNUSED_PAD src0_sel:WORD_0 src1_sel:DWORD
	v_mov_b32_e32 v53, 0x7c010000
	s_mov_b32 s21, exec_lo
	v_cmpx_ne_u32_e32 0x7f, v55
	s_cbranch_execz .LBB283_603
; %bb.600:                              ;   in Loop: Header=BB283_490 Depth=1
	v_and_b32_sdwa v53, v2, v28 dst_sel:DWORD dst_unused:UNUSED_PAD src0_sel:WORD_0 src1_sel:DWORD
	v_lshrrev_b32_e32 v54, 3, v55
	s_mov_b32 s22, exec_lo
	v_cmpx_gt_u32_e32 8, v55
; %bb.601:                              ;   in Loop: Header=BB283_490 Depth=1
	v_ffbh_u32_e32 v53, v53
	v_min_u32_e32 v55, 32, v53
	v_subrev_nc_u32_e32 v53, 28, v55
	v_lshlrev_b64 v[53:54], v53, v[2:3]
	v_sub_nc_u32_e32 v54, 29, v55
	v_and_b32_e32 v53, 7, v53
; %bb.602:                              ;   in Loop: Header=BB283_490 Depth=1
	s_or_b32 exec_lo, exec_lo, s22
	v_lshlrev_b32_sdwa v2, v29, v2 dst_sel:DWORD dst_unused:UNUSED_PAD src0_sel:DWORD src1_sel:WORD_0
	v_lshl_add_u32 v54, v54, 10, 0x2000
	v_lshlrev_b32_e32 v53, 23, v53
	v_and_or_b32 v2, 0x8000, v2, v54
	v_lshl_or_b32 v53, v2, 16, v53
.LBB283_603:                            ;   in Loop: Header=BB283_490 Depth=1
	s_or_b32 exec_lo, exec_lo, s21
.LBB283_604:                            ;   in Loop: Header=BB283_490 Depth=1
	s_or_b32 exec_lo, exec_lo, s18
.LBB283_605:                            ;   in Loop: Header=BB283_490 Depth=1
	s_or_b32 exec_lo, exec_lo, s17
	v_lshrrev_b32_e32 v2, 16, v11
	v_cmp_ne_u16_sdwa s0, v2, v3 src0_sel:BYTE_0 src1_sel:DWORD
	s_and_saveexec_b32 s17, s0
	s_cbranch_execz .LBB283_613
; %bb.606:                              ;   in Loop: Header=BB283_490 Depth=1
	v_cmp_ne_u16_sdwa s0, v2, v16 src0_sel:BYTE_0 src1_sel:DWORD
	v_mov_b32_e32 v51, 0x8000
	s_and_saveexec_b32 s18, s0
	s_cbranch_execz .LBB283_612
; %bb.607:                              ;   in Loop: Header=BB283_490 Depth=1
	v_bfe_u32 v55, v11, 16, 7
	v_mov_b32_e32 v51, 0x7c01
	s_mov_b32 s21, exec_lo
	v_cmpx_ne_u32_e32 0x7f, v55
	s_cbranch_execz .LBB283_611
; %bb.608:                              ;   in Loop: Header=BB283_490 Depth=1
	v_and_b32_e32 v51, 7, v2
	v_lshrrev_b32_e32 v54, 3, v55
	s_mov_b32 s22, exec_lo
	v_cmpx_gt_u32_e32 8, v55
; %bb.609:                              ;   in Loop: Header=BB283_490 Depth=1
	v_ffbh_u32_e32 v51, v51
	v_min_u32_e32 v51, 32, v51
	v_subrev_nc_u32_e32 v54, 28, v51
	v_lshlrev_b64 v[55:56], v54, v[2:3]
	v_sub_nc_u32_e32 v54, 29, v51
	v_and_b32_e32 v51, 7, v55
; %bb.610:                              ;   in Loop: Header=BB283_490 Depth=1
	s_or_b32 exec_lo, exec_lo, s22
	v_lshlrev_b32_e32 v2, 8, v2
	v_lshl_add_u32 v54, v54, 10, 0x2000
	v_lshlrev_b32_e32 v51, 7, v51
	v_and_b32_e32 v2, 0x8000, v2
	v_and_b32_e32 v54, 0xfc00, v54
	v_or3_b32 v51, v2, v54, v51
.LBB283_611:                            ;   in Loop: Header=BB283_490 Depth=1
	s_or_b32 exec_lo, exec_lo, s21
.LBB283_612:                            ;   in Loop: Header=BB283_490 Depth=1
	s_or_b32 exec_lo, exec_lo, s18
.LBB283_613:                            ;   in Loop: Header=BB283_490 Depth=1
	s_or_b32 exec_lo, exec_lo, s17
	v_cmp_lt_u64_e64 s0, s[4:5], v[10:11]
	v_mov_b32_e32 v10, 0
	s_and_saveexec_b32 s17, s0
	s_cbranch_execz .LBB283_621
; %bb.614:                              ;   in Loop: Header=BB283_490 Depth=1
	v_lshrrev_b32_e32 v2, 24, v11
	v_bfrev_b32_e32 v10, 1
	s_mov_b32 s18, exec_lo
	v_cmpx_ne_u32_e32 0x80, v2
	s_cbranch_execz .LBB283_620
; %bb.615:                              ;   in Loop: Header=BB283_490 Depth=1
	v_and_b32_e32 v54, 0x7f, v2
	v_mov_b32_e32 v10, 0x7c010000
	s_mov_b32 s21, exec_lo
	v_cmpx_ne_u32_e32 0x7f, v54
	s_cbranch_execz .LBB283_619
; %bb.616:                              ;   in Loop: Header=BB283_490 Depth=1
	v_and_b32_e32 v10, 7, v2
	v_lshrrev_b32_e32 v11, 3, v54
	s_mov_b32 s22, exec_lo
	v_cmpx_gt_u32_e32 8, v54
; %bb.617:                              ;   in Loop: Header=BB283_490 Depth=1
	v_ffbh_u32_e32 v10, v10
	v_min_u32_e32 v54, 32, v10
	v_subrev_nc_u32_e32 v10, 28, v54
	v_lshlrev_b64 v[10:11], v10, v[2:3]
	v_sub_nc_u32_e32 v11, 29, v54
	v_and_b32_e32 v10, 7, v10
; %bb.618:                              ;   in Loop: Header=BB283_490 Depth=1
	s_or_b32 exec_lo, exec_lo, s22
	v_lshlrev_b32_e32 v2, 8, v2
	v_lshl_add_u32 v11, v11, 10, 0x2000
	v_lshlrev_b32_e32 v10, 23, v10
	v_and_or_b32 v2, 0x8000, v2, v11
	v_lshl_or_b32 v10, v2, 16, v10
.LBB283_619:                            ;   in Loop: Header=BB283_490 Depth=1
	s_or_b32 exec_lo, exec_lo, s21
.LBB283_620:                            ;   in Loop: Header=BB283_490 Depth=1
	s_or_b32 exec_lo, exec_lo, s18
.LBB283_621:                            ;   in Loop: Header=BB283_490 Depth=1
	s_or_b32 exec_lo, exec_lo, s17
	v_or_b32_e32 v2, v49, v50
	s_waitcnt vmcnt(0)
	v_fma_mixlo_f16 v11, v46, v49, 0 op_sel:[0,1,0] op_sel_hi:[0,1,0]
	v_or_b32_e32 v49, v47, v48
	v_fma_mixlo_f16 v47, v46, v47, 0 op_sel:[0,1,0] op_sel_hi:[0,1,0]
	v_or_b32_e32 v50, v53, v52
	v_or_b32_e32 v51, v10, v51
	v_fma_mixlo_f16 v52, v46, v2, 0 op_sel_hi:[0,1,0]
	v_fma_mixlo_f16 v10, v46, v10, 0 op_sel:[0,1,0] op_sel_hi:[0,1,0]
	v_lshlrev_b32_e32 v48, 16, v47
	v_fma_mixlo_f16 v47, v46, v49, 0 op_sel_hi:[0,1,0]
	v_fma_mixlo_f16 v49, v46, v53, 0 op_sel:[0,1,0] op_sel_hi:[0,1,0]
	v_fma_mixlo_f16 v50, v46, v50, 0 op_sel_hi:[0,1,0]
	v_fma_mixlo_f16 v51, v46, v51, 0 op_sel_hi:[0,1,0]
	v_lshlrev_b32_e32 v2, 16, v11
	v_and_b32_e32 v11, 0xffff, v52
	v_and_b32_e32 v54, 0xffff, v47
	v_lshlrev_b32_e32 v46, 16, v49
	v_and_b32_e32 v50, 0xffff, v50
	v_lshlrev_b32_e32 v10, 16, v10
	v_and_b32_e32 v47, 0xffff, v51
	v_or_b32_e32 v49, v2, v11
	v_or_b32_e32 v53, v48, v54
	;; [unrolled: 1-line block ×4, first 2 shown]
	s_and_saveexec_b32 s17, vcc_lo
	s_cbranch_execz .LBB283_623
; %bb.622:                              ;   in Loop: Header=BB283_490 Depth=1
	v_cmp_gt_i32_e64 s0, s31, v32
	v_cndmask_b32_e64 v49, 0, v54, s0
	v_cmp_gt_i32_e64 s0, s31, v39
	v_cndmask_b32_e64 v48, 0, v48, s0
	v_cmp_gt_i32_e64 s0, s31, v38
	v_or_b32_e32 v53, v48, v49
	v_cndmask_b32_e64 v11, 0, v11, s0
	v_cmp_gt_i32_e64 s0, s31, v37
	v_cndmask_b32_e64 v2, 0, v2, s0
	v_cmp_gt_i32_e64 s0, s31, v36
	v_or_b32_e32 v49, v2, v11
	;; [unrolled: 5-line block ×3, first 2 shown]
	v_cndmask_b32_e64 v47, 0, v47, s0
	v_cmp_gt_i32_e64 s0, s31, v33
	v_cndmask_b32_e64 v10, 0, v10, s0
	v_or_b32_e32 v51, v10, v47
.LBB283_623:                            ;   in Loop: Header=BB283_490 Depth=1
	s_or_b32 exec_lo, exec_lo, s17
	;;#ASMSTART
	v_pk_mul_f16 v2, v45, v53;

	;;#ASMEND
	;;#ASMSTART
	v_pk_mul_f16 v10, v44, v49;

	;;#ASMEND
	;; [unrolled: 4-line block ×4, first 2 shown]
	;;#ASMSTART
	v_pk_add_f16 v2, v2, v10;

	;;#ASMEND
	;;#ASMSTART
	v_pk_add_f16 v2, v2, v11;

	;;#ASMEND
	;; [unrolled: 4-line block ×3, first 2 shown]
	v_and_b32_e32 v10, 0xffff, v2
	v_lshrrev_b32_e32 v2, 16, v2
	;;#ASMSTART
	v_cvt_f32_f16 v46, v10;
	;;#ASMEND
	;;#ASMSTART
	v_cvt_f32_f16 v47, v2;
	;;#ASMEND
	global_load_dwordx2 v[10:11], v[8:9], off offset:512
	v_mov_b32_e32 v49, 0
	v_mov_b32_e32 v50, 0
	global_load_dword v48, v49, s[14:15]
	s_waitcnt vmcnt(1)
	v_cmp_ne_u16_sdwa s0, v10, v3 src0_sel:BYTE_0 src1_sel:DWORD
	s_and_saveexec_b32 s17, s0
	s_cbranch_execz .LBB283_631
; %bb.624:                              ;   in Loop: Header=BB283_490 Depth=1
	v_cmp_ne_u16_sdwa s0, v10, v16 src0_sel:BYTE_0 src1_sel:DWORD
	v_mov_b32_e32 v50, 0x8000
	s_and_saveexec_b32 s18, s0
	s_cbranch_execz .LBB283_630
; %bb.625:                              ;   in Loop: Header=BB283_490 Depth=1
	v_and_b32_e32 v51, 0x7f, v10
	v_mov_b32_e32 v50, 0x7c01
	s_mov_b32 s21, exec_lo
	v_cmpx_ne_u32_e32 0x7f, v51
	s_cbranch_execz .LBB283_629
; %bb.626:                              ;   in Loop: Header=BB283_490 Depth=1
	v_and_b32_e32 v2, 7, v10
	v_lshrrev_b32_e32 v50, 3, v51
	s_mov_b32 s22, exec_lo
	v_cmpx_gt_u32_e32 8, v51
; %bb.627:                              ;   in Loop: Header=BB283_490 Depth=1
	v_ffbh_u32_e32 v2, v2
	v_min_u32_e32 v2, 32, v2
	v_subrev_nc_u32_e32 v50, 28, v2
	v_lshlrev_b64 v[51:52], v50, v[10:11]
	v_sub_nc_u32_e32 v50, 29, v2
	v_and_b32_e32 v2, 7, v51
; %bb.628:                              ;   in Loop: Header=BB283_490 Depth=1
	s_or_b32 exec_lo, exec_lo, s22
	v_lshlrev_b32_e32 v51, 8, v10
	v_lshl_add_u32 v50, v50, 10, 0x2000
	v_lshlrev_b32_e32 v2, 7, v2
	v_and_b32_e32 v51, 0x8000, v51
	v_and_b32_e32 v50, 0xfc00, v50
	v_or3_b32 v50, v51, v50, v2
.LBB283_629:                            ;   in Loop: Header=BB283_490 Depth=1
	s_or_b32 exec_lo, exec_lo, s21
.LBB283_630:                            ;   in Loop: Header=BB283_490 Depth=1
	s_or_b32 exec_lo, exec_lo, s18
.LBB283_631:                            ;   in Loop: Header=BB283_490 Depth=1
	s_or_b32 exec_lo, exec_lo, s17
	v_lshrrev_b16 v2, 8, v10
	s_mov_b32 s17, exec_lo
	v_cmpx_ne_u16_e32 0, v2
	s_cbranch_execz .LBB283_639
; %bb.632:                              ;   in Loop: Header=BB283_490 Depth=1
	v_bfrev_b32_e32 v49, 1
	s_mov_b32 s18, exec_lo
	v_cmpx_ne_u16_e32 0x80, v2
	s_cbranch_execz .LBB283_638
; %bb.633:                              ;   in Loop: Header=BB283_490 Depth=1
	v_and_b32_sdwa v52, v2, v27 dst_sel:DWORD dst_unused:UNUSED_PAD src0_sel:WORD_0 src1_sel:DWORD
	v_mov_b32_e32 v49, 0x7c010000
	s_mov_b32 s21, exec_lo
	v_cmpx_ne_u32_e32 0x7f, v52
	s_cbranch_execz .LBB283_637
; %bb.634:                              ;   in Loop: Header=BB283_490 Depth=1
	v_and_b32_sdwa v49, v2, v28 dst_sel:DWORD dst_unused:UNUSED_PAD src0_sel:WORD_0 src1_sel:DWORD
	v_lshrrev_b32_e32 v51, 3, v52
	s_mov_b32 s22, exec_lo
	v_cmpx_gt_u32_e32 8, v52
; %bb.635:                              ;   in Loop: Header=BB283_490 Depth=1
	v_ffbh_u32_e32 v49, v49
	v_min_u32_e32 v49, 32, v49
	v_subrev_nc_u32_e32 v51, 28, v49
	v_lshlrev_b64 v[52:53], v51, v[2:3]
	v_sub_nc_u32_e32 v51, 29, v49
	v_and_b32_e32 v49, 7, v52
; %bb.636:                              ;   in Loop: Header=BB283_490 Depth=1
	s_or_b32 exec_lo, exec_lo, s22
	v_lshlrev_b32_sdwa v2, v29, v2 dst_sel:DWORD dst_unused:UNUSED_PAD src0_sel:DWORD src1_sel:WORD_0
	v_lshl_add_u32 v51, v51, 10, 0x2000
	v_lshlrev_b32_e32 v49, 23, v49
	v_and_or_b32 v2, 0x8000, v2, v51
	v_lshl_or_b32 v49, v2, 16, v49
.LBB283_637:                            ;   in Loop: Header=BB283_490 Depth=1
	s_or_b32 exec_lo, exec_lo, s21
.LBB283_638:                            ;   in Loop: Header=BB283_490 Depth=1
	s_or_b32 exec_lo, exec_lo, s18
.LBB283_639:                            ;   in Loop: Header=BB283_490 Depth=1
	s_or_b32 exec_lo, exec_lo, s17
	v_lshrrev_b32_e32 v2, 16, v10
	v_mov_b32_e32 v51, 0
	v_mov_b32_e32 v52, 0
	v_cmp_ne_u16_sdwa s0, v2, v3 src0_sel:BYTE_0 src1_sel:DWORD
	s_and_saveexec_b32 s17, s0
	s_cbranch_execz .LBB283_647
; %bb.640:                              ;   in Loop: Header=BB283_490 Depth=1
	v_cmp_ne_u16_sdwa s0, v2, v16 src0_sel:BYTE_0 src1_sel:DWORD
	v_mov_b32_e32 v52, 0x8000
	s_and_saveexec_b32 s18, s0
	s_cbranch_execz .LBB283_646
; %bb.641:                              ;   in Loop: Header=BB283_490 Depth=1
	v_bfe_u32 v54, v10, 16, 7
	v_mov_b32_e32 v52, 0x7c01
	s_mov_b32 s21, exec_lo
	v_cmpx_ne_u32_e32 0x7f, v54
	s_cbranch_execz .LBB283_645
; %bb.642:                              ;   in Loop: Header=BB283_490 Depth=1
	v_and_b32_e32 v52, 7, v2
	v_lshrrev_b32_e32 v53, 3, v54
	s_mov_b32 s22, exec_lo
	v_cmpx_gt_u32_e32 8, v54
; %bb.643:                              ;   in Loop: Header=BB283_490 Depth=1
	v_ffbh_u32_e32 v52, v52
	v_min_u32_e32 v54, 32, v52
	v_subrev_nc_u32_e32 v52, 28, v54
	v_lshlrev_b64 v[52:53], v52, v[2:3]
	v_sub_nc_u32_e32 v53, 29, v54
	v_and_b32_e32 v52, 7, v52
; %bb.644:                              ;   in Loop: Header=BB283_490 Depth=1
	s_or_b32 exec_lo, exec_lo, s22
	v_lshlrev_b32_e32 v2, 8, v2
	v_lshl_add_u32 v53, v53, 10, 0x2000
	v_lshlrev_b32_e32 v52, 7, v52
	v_and_b32_e32 v2, 0x8000, v2
	v_and_b32_e32 v53, 0xfc00, v53
	v_or3_b32 v52, v2, v53, v52
.LBB283_645:                            ;   in Loop: Header=BB283_490 Depth=1
	s_or_b32 exec_lo, exec_lo, s21
.LBB283_646:                            ;   in Loop: Header=BB283_490 Depth=1
	s_or_b32 exec_lo, exec_lo, s18
.LBB283_647:                            ;   in Loop: Header=BB283_490 Depth=1
	s_or_b32 exec_lo, exec_lo, s17
	s_mov_b32 s17, exec_lo
	v_cmpx_lt_u32_e32 0xffffff, v10
	s_cbranch_execz .LBB283_655
; %bb.648:                              ;   in Loop: Header=BB283_490 Depth=1
	v_lshrrev_b32_e32 v2, 24, v10
	v_bfrev_b32_e32 v51, 1
	s_mov_b32 s18, exec_lo
	v_cmpx_ne_u32_e32 0x80, v2
	s_cbranch_execz .LBB283_654
; %bb.649:                              ;   in Loop: Header=BB283_490 Depth=1
	v_and_b32_e32 v54, 0x7f, v2
	v_mov_b32_e32 v51, 0x7c010000
	s_mov_b32 s21, exec_lo
	v_cmpx_ne_u32_e32 0x7f, v54
	s_cbranch_execz .LBB283_653
; %bb.650:                              ;   in Loop: Header=BB283_490 Depth=1
	v_and_b32_e32 v51, 7, v2
	v_lshrrev_b32_e32 v53, 3, v54
	s_mov_b32 s22, exec_lo
	v_cmpx_gt_u32_e32 8, v54
; %bb.651:                              ;   in Loop: Header=BB283_490 Depth=1
	v_ffbh_u32_e32 v51, v51
	v_min_u32_e32 v51, 32, v51
	v_subrev_nc_u32_e32 v53, 28, v51
	v_lshlrev_b64 v[54:55], v53, v[2:3]
	v_sub_nc_u32_e32 v53, 29, v51
	v_and_b32_e32 v51, 7, v54
; %bb.652:                              ;   in Loop: Header=BB283_490 Depth=1
	s_or_b32 exec_lo, exec_lo, s22
	v_lshlrev_b32_e32 v2, 8, v2
	v_lshl_add_u32 v53, v53, 10, 0x2000
	v_lshlrev_b32_e32 v51, 23, v51
	v_and_or_b32 v2, 0x8000, v2, v53
	v_lshl_or_b32 v51, v2, 16, v51
.LBB283_653:                            ;   in Loop: Header=BB283_490 Depth=1
	s_or_b32 exec_lo, exec_lo, s21
.LBB283_654:                            ;   in Loop: Header=BB283_490 Depth=1
	s_or_b32 exec_lo, exec_lo, s18
.LBB283_655:                            ;   in Loop: Header=BB283_490 Depth=1
	s_or_b32 exec_lo, exec_lo, s17
	v_mov_b32_e32 v2, v11
	v_cmp_ne_u16_sdwa s0, v11, v3 src0_sel:BYTE_0 src1_sel:DWORD
	v_mov_b32_e32 v53, 0
	v_mov_b32_e32 v54, 0
	s_and_saveexec_b32 s17, s0
	s_cbranch_execz .LBB283_663
; %bb.656:                              ;   in Loop: Header=BB283_490 Depth=1
	v_cmp_ne_u16_sdwa s0, v11, v16 src0_sel:BYTE_0 src1_sel:DWORD
	v_mov_b32_e32 v54, 0x8000
	s_and_saveexec_b32 s18, s0
	s_cbranch_execz .LBB283_662
; %bb.657:                              ;   in Loop: Header=BB283_490 Depth=1
	v_and_b32_e32 v56, 0x7f, v11
	v_mov_b32_e32 v54, 0x7c01
	s_mov_b32 s21, exec_lo
	v_cmpx_ne_u32_e32 0x7f, v56
	s_cbranch_execz .LBB283_661
; %bb.658:                              ;   in Loop: Header=BB283_490 Depth=1
	v_and_b32_e32 v54, 7, v11
	v_lshrrev_b32_e32 v55, 3, v56
	s_mov_b32 s22, exec_lo
	v_cmpx_gt_u32_e32 8, v56
; %bb.659:                              ;   in Loop: Header=BB283_490 Depth=1
	v_ffbh_u32_e32 v54, v54
	v_min_u32_e32 v56, 32, v54
	v_subrev_nc_u32_e32 v54, 28, v56
	v_lshlrev_b64 v[54:55], v54, v[2:3]
	v_sub_nc_u32_e32 v55, 29, v56
	v_and_b32_e32 v54, 7, v54
; %bb.660:                              ;   in Loop: Header=BB283_490 Depth=1
	s_or_b32 exec_lo, exec_lo, s22
	v_lshlrev_b32_e32 v56, 8, v11
	v_lshl_add_u32 v55, v55, 10, 0x2000
	v_lshlrev_b32_e32 v54, 7, v54
	v_and_b32_e32 v56, 0x8000, v56
	v_and_b32_e32 v55, 0xfc00, v55
	v_or3_b32 v54, v56, v55, v54
.LBB283_661:                            ;   in Loop: Header=BB283_490 Depth=1
	s_or_b32 exec_lo, exec_lo, s21
.LBB283_662:                            ;   in Loop: Header=BB283_490 Depth=1
	s_or_b32 exec_lo, exec_lo, s18
.LBB283_663:                            ;   in Loop: Header=BB283_490 Depth=1
	s_or_b32 exec_lo, exec_lo, s17
	v_lshrrev_b16 v2, 8, v2
	v_mov_b32_e32 v55, 0
	s_mov_b32 s17, exec_lo
	v_cmpx_ne_u16_e32 0, v2
	s_cbranch_execz .LBB283_671
; %bb.664:                              ;   in Loop: Header=BB283_490 Depth=1
	v_bfrev_b32_e32 v55, 1
	s_mov_b32 s18, exec_lo
	v_cmpx_ne_u16_e32 0x80, v2
	s_cbranch_execz .LBB283_670
; %bb.665:                              ;   in Loop: Header=BB283_490 Depth=1
	v_and_b32_sdwa v57, v2, v27 dst_sel:DWORD dst_unused:UNUSED_PAD src0_sel:WORD_0 src1_sel:DWORD
	v_mov_b32_e32 v55, 0x7c010000
	s_mov_b32 s21, exec_lo
	v_cmpx_ne_u32_e32 0x7f, v57
	s_cbranch_execz .LBB283_669
; %bb.666:                              ;   in Loop: Header=BB283_490 Depth=1
	v_and_b32_sdwa v55, v2, v28 dst_sel:DWORD dst_unused:UNUSED_PAD src0_sel:WORD_0 src1_sel:DWORD
	v_lshrrev_b32_e32 v56, 3, v57
	s_mov_b32 s22, exec_lo
	v_cmpx_gt_u32_e32 8, v57
; %bb.667:                              ;   in Loop: Header=BB283_490 Depth=1
	v_ffbh_u32_e32 v55, v55
	v_min_u32_e32 v57, 32, v55
	v_subrev_nc_u32_e32 v55, 28, v57
	v_lshlrev_b64 v[55:56], v55, v[2:3]
	v_sub_nc_u32_e32 v56, 29, v57
	v_and_b32_e32 v55, 7, v55
; %bb.668:                              ;   in Loop: Header=BB283_490 Depth=1
	s_or_b32 exec_lo, exec_lo, s22
	v_lshlrev_b32_sdwa v2, v29, v2 dst_sel:DWORD dst_unused:UNUSED_PAD src0_sel:DWORD src1_sel:WORD_0
	v_lshl_add_u32 v56, v56, 10, 0x2000
	v_lshlrev_b32_e32 v55, 23, v55
	v_and_or_b32 v2, 0x8000, v2, v56
	v_lshl_or_b32 v55, v2, 16, v55
.LBB283_669:                            ;   in Loop: Header=BB283_490 Depth=1
	s_or_b32 exec_lo, exec_lo, s21
.LBB283_670:                            ;   in Loop: Header=BB283_490 Depth=1
	s_or_b32 exec_lo, exec_lo, s18
.LBB283_671:                            ;   in Loop: Header=BB283_490 Depth=1
	s_or_b32 exec_lo, exec_lo, s17
	v_lshrrev_b32_e32 v2, 16, v11
	v_cmp_ne_u16_sdwa s0, v2, v3 src0_sel:BYTE_0 src1_sel:DWORD
	s_and_saveexec_b32 s17, s0
	s_cbranch_execz .LBB283_679
; %bb.672:                              ;   in Loop: Header=BB283_490 Depth=1
	v_cmp_ne_u16_sdwa s0, v2, v16 src0_sel:BYTE_0 src1_sel:DWORD
	v_mov_b32_e32 v53, 0x8000
	s_and_saveexec_b32 s18, s0
	s_cbranch_execz .LBB283_678
; %bb.673:                              ;   in Loop: Header=BB283_490 Depth=1
	v_bfe_u32 v57, v11, 16, 7
	v_mov_b32_e32 v53, 0x7c01
	s_mov_b32 s21, exec_lo
	v_cmpx_ne_u32_e32 0x7f, v57
	s_cbranch_execz .LBB283_677
; %bb.674:                              ;   in Loop: Header=BB283_490 Depth=1
	v_and_b32_e32 v53, 7, v2
	v_lshrrev_b32_e32 v56, 3, v57
	s_mov_b32 s22, exec_lo
	v_cmpx_gt_u32_e32 8, v57
; %bb.675:                              ;   in Loop: Header=BB283_490 Depth=1
	v_ffbh_u32_e32 v53, v53
	v_min_u32_e32 v53, 32, v53
	v_subrev_nc_u32_e32 v56, 28, v53
	v_lshlrev_b64 v[57:58], v56, v[2:3]
	v_sub_nc_u32_e32 v56, 29, v53
	v_and_b32_e32 v53, 7, v57
; %bb.676:                              ;   in Loop: Header=BB283_490 Depth=1
	s_or_b32 exec_lo, exec_lo, s22
	v_lshlrev_b32_e32 v2, 8, v2
	v_lshl_add_u32 v56, v56, 10, 0x2000
	v_lshlrev_b32_e32 v53, 7, v53
	v_and_b32_e32 v2, 0x8000, v2
	v_and_b32_e32 v56, 0xfc00, v56
	v_or3_b32 v53, v2, v56, v53
.LBB283_677:                            ;   in Loop: Header=BB283_490 Depth=1
	s_or_b32 exec_lo, exec_lo, s21
.LBB283_678:                            ;   in Loop: Header=BB283_490 Depth=1
	s_or_b32 exec_lo, exec_lo, s18
.LBB283_679:                            ;   in Loop: Header=BB283_490 Depth=1
	s_or_b32 exec_lo, exec_lo, s17
	v_cmp_lt_u64_e64 s0, s[4:5], v[10:11]
	v_mov_b32_e32 v10, 0
	s_and_saveexec_b32 s17, s0
	s_cbranch_execz .LBB283_687
; %bb.680:                              ;   in Loop: Header=BB283_490 Depth=1
	v_lshrrev_b32_e32 v2, 24, v11
	v_bfrev_b32_e32 v10, 1
	s_mov_b32 s18, exec_lo
	v_cmpx_ne_u32_e32 0x80, v2
	s_cbranch_execz .LBB283_686
; %bb.681:                              ;   in Loop: Header=BB283_490 Depth=1
	v_and_b32_e32 v56, 0x7f, v2
	v_mov_b32_e32 v10, 0x7c010000
	s_mov_b32 s21, exec_lo
	v_cmpx_ne_u32_e32 0x7f, v56
	s_cbranch_execz .LBB283_685
; %bb.682:                              ;   in Loop: Header=BB283_490 Depth=1
	v_and_b32_e32 v10, 7, v2
	v_lshrrev_b32_e32 v11, 3, v56
	s_mov_b32 s22, exec_lo
	v_cmpx_gt_u32_e32 8, v56
; %bb.683:                              ;   in Loop: Header=BB283_490 Depth=1
	v_ffbh_u32_e32 v10, v10
	v_min_u32_e32 v56, 32, v10
	v_subrev_nc_u32_e32 v10, 28, v56
	v_lshlrev_b64 v[10:11], v10, v[2:3]
	v_sub_nc_u32_e32 v11, 29, v56
	v_and_b32_e32 v10, 7, v10
; %bb.684:                              ;   in Loop: Header=BB283_490 Depth=1
	s_or_b32 exec_lo, exec_lo, s22
	v_lshlrev_b32_e32 v2, 8, v2
	v_lshl_add_u32 v11, v11, 10, 0x2000
	v_lshlrev_b32_e32 v10, 23, v10
	v_and_or_b32 v2, 0x8000, v2, v11
	v_lshl_or_b32 v10, v2, 16, v10
.LBB283_685:                            ;   in Loop: Header=BB283_490 Depth=1
	s_or_b32 exec_lo, exec_lo, s21
.LBB283_686:                            ;   in Loop: Header=BB283_490 Depth=1
	s_or_b32 exec_lo, exec_lo, s18
.LBB283_687:                            ;   in Loop: Header=BB283_490 Depth=1
	s_or_b32 exec_lo, exec_lo, s17
	v_or_b32_e32 v2, v51, v52
	s_waitcnt vmcnt(0)
	v_fma_mixlo_f16 v11, v48, v51, 0 op_sel:[0,1,0] op_sel_hi:[0,1,0]
	v_or_b32_e32 v51, v49, v50
	v_fma_mixlo_f16 v49, v48, v49, 0 op_sel:[0,1,0] op_sel_hi:[0,1,0]
	v_or_b32_e32 v52, v55, v54
	v_or_b32_e32 v53, v10, v53
	v_fma_mixlo_f16 v54, v48, v2, 0 op_sel_hi:[0,1,0]
	v_fma_mixlo_f16 v10, v48, v10, 0 op_sel:[0,1,0] op_sel_hi:[0,1,0]
	v_lshlrev_b32_e32 v50, 16, v49
	v_fma_mixlo_f16 v49, v48, v51, 0 op_sel_hi:[0,1,0]
	v_fma_mixlo_f16 v51, v48, v55, 0 op_sel:[0,1,0] op_sel_hi:[0,1,0]
	v_fma_mixlo_f16 v52, v48, v52, 0 op_sel_hi:[0,1,0]
	v_fma_mixlo_f16 v53, v48, v53, 0 op_sel_hi:[0,1,0]
	v_lshlrev_b32_e32 v2, 16, v11
	v_and_b32_e32 v11, 0xffff, v54
	v_and_b32_e32 v56, 0xffff, v49
	v_lshlrev_b32_e32 v48, 16, v51
	v_and_b32_e32 v52, 0xffff, v52
	v_lshlrev_b32_e32 v10, 16, v10
	v_and_b32_e32 v49, 0xffff, v53
	v_or_b32_e32 v51, v2, v11
	v_or_b32_e32 v55, v50, v56
	;; [unrolled: 1-line block ×4, first 2 shown]
	s_and_saveexec_b32 s17, vcc_lo
	s_cbranch_execz .LBB283_689
; %bb.688:                              ;   in Loop: Header=BB283_490 Depth=1
	v_cmp_gt_i32_e64 s0, s31, v32
	v_cndmask_b32_e64 v51, 0, v56, s0
	v_cmp_gt_i32_e64 s0, s31, v39
	v_cndmask_b32_e64 v50, 0, v50, s0
	v_cmp_gt_i32_e64 s0, s31, v38
	v_or_b32_e32 v55, v50, v51
	v_cndmask_b32_e64 v11, 0, v11, s0
	v_cmp_gt_i32_e64 s0, s31, v37
	v_cndmask_b32_e64 v2, 0, v2, s0
	v_cmp_gt_i32_e64 s0, s31, v36
	v_or_b32_e32 v51, v2, v11
	;; [unrolled: 5-line block ×3, first 2 shown]
	v_cndmask_b32_e64 v49, 0, v49, s0
	v_cmp_gt_i32_e64 s0, s31, v33
	v_cndmask_b32_e64 v10, 0, v10, s0
	v_or_b32_e32 v53, v10, v49
.LBB283_689:                            ;   in Loop: Header=BB283_490 Depth=1
	s_or_b32 exec_lo, exec_lo, s17
	;;#ASMSTART
	v_pk_mul_f16 v2, v45, v55;

	;;#ASMEND
	;;#ASMSTART
	v_pk_mul_f16 v10, v44, v51;

	;;#ASMEND
	;; [unrolled: 4-line block ×4, first 2 shown]
	;;#ASMSTART
	v_pk_add_f16 v2, v2, v10;

	;;#ASMEND
	;;#ASMSTART
	v_pk_add_f16 v2, v2, v11;

	;;#ASMEND
	;; [unrolled: 4-line block ×3, first 2 shown]
	v_and_b32_e32 v10, 0xffff, v2
	v_lshrrev_b32_e32 v2, 16, v2
	;;#ASMSTART
	v_cvt_f32_f16 v48, v10;
	;;#ASMEND
	;;#ASMSTART
	v_cvt_f32_f16 v49, v2;
	;;#ASMEND
	global_load_dwordx2 v[10:11], v[8:9], off offset:768
	v_mov_b32_e32 v51, 0
	v_mov_b32_e32 v52, 0
	global_load_dword v50, v51, s[14:15]
	s_waitcnt vmcnt(1)
	v_cmp_ne_u16_sdwa s0, v10, v3 src0_sel:BYTE_0 src1_sel:DWORD
	s_and_saveexec_b32 s17, s0
	s_cbranch_execz .LBB283_697
; %bb.690:                              ;   in Loop: Header=BB283_490 Depth=1
	v_cmp_ne_u16_sdwa s0, v10, v16 src0_sel:BYTE_0 src1_sel:DWORD
	v_mov_b32_e32 v52, 0x8000
	s_and_saveexec_b32 s18, s0
	s_cbranch_execz .LBB283_696
; %bb.691:                              ;   in Loop: Header=BB283_490 Depth=1
	v_and_b32_e32 v53, 0x7f, v10
	v_mov_b32_e32 v52, 0x7c01
	s_mov_b32 s21, exec_lo
	v_cmpx_ne_u32_e32 0x7f, v53
	s_cbranch_execz .LBB283_695
; %bb.692:                              ;   in Loop: Header=BB283_490 Depth=1
	v_and_b32_e32 v2, 7, v10
	v_lshrrev_b32_e32 v52, 3, v53
	s_mov_b32 s22, exec_lo
	v_cmpx_gt_u32_e32 8, v53
; %bb.693:                              ;   in Loop: Header=BB283_490 Depth=1
	v_ffbh_u32_e32 v2, v2
	v_min_u32_e32 v2, 32, v2
	v_subrev_nc_u32_e32 v52, 28, v2
	v_lshlrev_b64 v[53:54], v52, v[10:11]
	v_sub_nc_u32_e32 v52, 29, v2
	v_and_b32_e32 v2, 7, v53
; %bb.694:                              ;   in Loop: Header=BB283_490 Depth=1
	s_or_b32 exec_lo, exec_lo, s22
	v_lshlrev_b32_e32 v53, 8, v10
	v_lshl_add_u32 v52, v52, 10, 0x2000
	v_lshlrev_b32_e32 v2, 7, v2
	v_and_b32_e32 v53, 0x8000, v53
	v_and_b32_e32 v52, 0xfc00, v52
	v_or3_b32 v52, v53, v52, v2
.LBB283_695:                            ;   in Loop: Header=BB283_490 Depth=1
	s_or_b32 exec_lo, exec_lo, s21
.LBB283_696:                            ;   in Loop: Header=BB283_490 Depth=1
	s_or_b32 exec_lo, exec_lo, s18
.LBB283_697:                            ;   in Loop: Header=BB283_490 Depth=1
	s_or_b32 exec_lo, exec_lo, s17
	v_lshrrev_b16 v2, 8, v10
	s_mov_b32 s17, exec_lo
	v_cmpx_ne_u16_e32 0, v2
	s_cbranch_execz .LBB283_705
; %bb.698:                              ;   in Loop: Header=BB283_490 Depth=1
	v_bfrev_b32_e32 v51, 1
	s_mov_b32 s18, exec_lo
	v_cmpx_ne_u16_e32 0x80, v2
	s_cbranch_execz .LBB283_704
; %bb.699:                              ;   in Loop: Header=BB283_490 Depth=1
	v_and_b32_sdwa v54, v2, v27 dst_sel:DWORD dst_unused:UNUSED_PAD src0_sel:WORD_0 src1_sel:DWORD
	v_mov_b32_e32 v51, 0x7c010000
	s_mov_b32 s21, exec_lo
	v_cmpx_ne_u32_e32 0x7f, v54
	s_cbranch_execz .LBB283_703
; %bb.700:                              ;   in Loop: Header=BB283_490 Depth=1
	v_and_b32_sdwa v51, v2, v28 dst_sel:DWORD dst_unused:UNUSED_PAD src0_sel:WORD_0 src1_sel:DWORD
	v_lshrrev_b32_e32 v53, 3, v54
	s_mov_b32 s22, exec_lo
	v_cmpx_gt_u32_e32 8, v54
; %bb.701:                              ;   in Loop: Header=BB283_490 Depth=1
	v_ffbh_u32_e32 v51, v51
	v_min_u32_e32 v51, 32, v51
	v_subrev_nc_u32_e32 v53, 28, v51
	v_lshlrev_b64 v[54:55], v53, v[2:3]
	v_sub_nc_u32_e32 v53, 29, v51
	v_and_b32_e32 v51, 7, v54
; %bb.702:                              ;   in Loop: Header=BB283_490 Depth=1
	s_or_b32 exec_lo, exec_lo, s22
	v_lshlrev_b32_sdwa v2, v29, v2 dst_sel:DWORD dst_unused:UNUSED_PAD src0_sel:DWORD src1_sel:WORD_0
	v_lshl_add_u32 v53, v53, 10, 0x2000
	v_lshlrev_b32_e32 v51, 23, v51
	v_and_or_b32 v2, 0x8000, v2, v53
	v_lshl_or_b32 v51, v2, 16, v51
.LBB283_703:                            ;   in Loop: Header=BB283_490 Depth=1
	s_or_b32 exec_lo, exec_lo, s21
.LBB283_704:                            ;   in Loop: Header=BB283_490 Depth=1
	s_or_b32 exec_lo, exec_lo, s18
.LBB283_705:                            ;   in Loop: Header=BB283_490 Depth=1
	s_or_b32 exec_lo, exec_lo, s17
	v_lshrrev_b32_e32 v2, 16, v10
	v_mov_b32_e32 v53, 0
	v_mov_b32_e32 v54, 0
	v_cmp_ne_u16_sdwa s0, v2, v3 src0_sel:BYTE_0 src1_sel:DWORD
	s_and_saveexec_b32 s17, s0
	s_cbranch_execz .LBB283_713
; %bb.706:                              ;   in Loop: Header=BB283_490 Depth=1
	v_cmp_ne_u16_sdwa s0, v2, v16 src0_sel:BYTE_0 src1_sel:DWORD
	v_mov_b32_e32 v54, 0x8000
	s_and_saveexec_b32 s18, s0
	s_cbranch_execz .LBB283_712
; %bb.707:                              ;   in Loop: Header=BB283_490 Depth=1
	v_bfe_u32 v56, v10, 16, 7
	v_mov_b32_e32 v54, 0x7c01
	s_mov_b32 s21, exec_lo
	v_cmpx_ne_u32_e32 0x7f, v56
	s_cbranch_execz .LBB283_711
; %bb.708:                              ;   in Loop: Header=BB283_490 Depth=1
	v_and_b32_e32 v54, 7, v2
	v_lshrrev_b32_e32 v55, 3, v56
	s_mov_b32 s22, exec_lo
	v_cmpx_gt_u32_e32 8, v56
; %bb.709:                              ;   in Loop: Header=BB283_490 Depth=1
	v_ffbh_u32_e32 v54, v54
	v_min_u32_e32 v56, 32, v54
	v_subrev_nc_u32_e32 v54, 28, v56
	v_lshlrev_b64 v[54:55], v54, v[2:3]
	v_sub_nc_u32_e32 v55, 29, v56
	v_and_b32_e32 v54, 7, v54
; %bb.710:                              ;   in Loop: Header=BB283_490 Depth=1
	s_or_b32 exec_lo, exec_lo, s22
	v_lshlrev_b32_e32 v2, 8, v2
	v_lshl_add_u32 v55, v55, 10, 0x2000
	v_lshlrev_b32_e32 v54, 7, v54
	v_and_b32_e32 v2, 0x8000, v2
	v_and_b32_e32 v55, 0xfc00, v55
	v_or3_b32 v54, v2, v55, v54
.LBB283_711:                            ;   in Loop: Header=BB283_490 Depth=1
	s_or_b32 exec_lo, exec_lo, s21
.LBB283_712:                            ;   in Loop: Header=BB283_490 Depth=1
	s_or_b32 exec_lo, exec_lo, s18
.LBB283_713:                            ;   in Loop: Header=BB283_490 Depth=1
	s_or_b32 exec_lo, exec_lo, s17
	s_mov_b32 s17, exec_lo
	v_cmpx_lt_u32_e32 0xffffff, v10
	s_cbranch_execz .LBB283_721
; %bb.714:                              ;   in Loop: Header=BB283_490 Depth=1
	v_lshrrev_b32_e32 v2, 24, v10
	v_bfrev_b32_e32 v53, 1
	s_mov_b32 s18, exec_lo
	v_cmpx_ne_u32_e32 0x80, v2
	s_cbranch_execz .LBB283_720
; %bb.715:                              ;   in Loop: Header=BB283_490 Depth=1
	v_and_b32_e32 v56, 0x7f, v2
	v_mov_b32_e32 v53, 0x7c010000
	s_mov_b32 s21, exec_lo
	v_cmpx_ne_u32_e32 0x7f, v56
	s_cbranch_execz .LBB283_719
; %bb.716:                              ;   in Loop: Header=BB283_490 Depth=1
	v_and_b32_e32 v53, 7, v2
	v_lshrrev_b32_e32 v55, 3, v56
	s_mov_b32 s22, exec_lo
	v_cmpx_gt_u32_e32 8, v56
; %bb.717:                              ;   in Loop: Header=BB283_490 Depth=1
	v_ffbh_u32_e32 v53, v53
	v_min_u32_e32 v53, 32, v53
	v_subrev_nc_u32_e32 v55, 28, v53
	v_lshlrev_b64 v[56:57], v55, v[2:3]
	v_sub_nc_u32_e32 v55, 29, v53
	v_and_b32_e32 v53, 7, v56
; %bb.718:                              ;   in Loop: Header=BB283_490 Depth=1
	s_or_b32 exec_lo, exec_lo, s22
	v_lshlrev_b32_e32 v2, 8, v2
	v_lshl_add_u32 v55, v55, 10, 0x2000
	v_lshlrev_b32_e32 v53, 23, v53
	v_and_or_b32 v2, 0x8000, v2, v55
	v_lshl_or_b32 v53, v2, 16, v53
.LBB283_719:                            ;   in Loop: Header=BB283_490 Depth=1
	s_or_b32 exec_lo, exec_lo, s21
.LBB283_720:                            ;   in Loop: Header=BB283_490 Depth=1
	s_or_b32 exec_lo, exec_lo, s18
.LBB283_721:                            ;   in Loop: Header=BB283_490 Depth=1
	s_or_b32 exec_lo, exec_lo, s17
	v_mov_b32_e32 v2, v11
	v_cmp_ne_u16_sdwa s0, v11, v3 src0_sel:BYTE_0 src1_sel:DWORD
	v_mov_b32_e32 v55, 0
	v_mov_b32_e32 v56, 0
	s_and_saveexec_b32 s17, s0
	s_cbranch_execz .LBB283_729
; %bb.722:                              ;   in Loop: Header=BB283_490 Depth=1
	v_cmp_ne_u16_sdwa s0, v11, v16 src0_sel:BYTE_0 src1_sel:DWORD
	v_mov_b32_e32 v56, 0x8000
	s_and_saveexec_b32 s18, s0
	s_cbranch_execz .LBB283_728
; %bb.723:                              ;   in Loop: Header=BB283_490 Depth=1
	v_and_b32_e32 v58, 0x7f, v11
	v_mov_b32_e32 v56, 0x7c01
	s_mov_b32 s21, exec_lo
	v_cmpx_ne_u32_e32 0x7f, v58
	s_cbranch_execz .LBB283_727
; %bb.724:                              ;   in Loop: Header=BB283_490 Depth=1
	v_and_b32_e32 v56, 7, v11
	v_lshrrev_b32_e32 v57, 3, v58
	s_mov_b32 s22, exec_lo
	v_cmpx_gt_u32_e32 8, v58
; %bb.725:                              ;   in Loop: Header=BB283_490 Depth=1
	v_ffbh_u32_e32 v56, v56
	v_min_u32_e32 v58, 32, v56
	v_subrev_nc_u32_e32 v56, 28, v58
	v_lshlrev_b64 v[56:57], v56, v[2:3]
	v_sub_nc_u32_e32 v57, 29, v58
	v_and_b32_e32 v56, 7, v56
; %bb.726:                              ;   in Loop: Header=BB283_490 Depth=1
	s_or_b32 exec_lo, exec_lo, s22
	v_lshlrev_b32_e32 v58, 8, v11
	v_lshl_add_u32 v57, v57, 10, 0x2000
	v_lshlrev_b32_e32 v56, 7, v56
	v_and_b32_e32 v58, 0x8000, v58
	v_and_b32_e32 v57, 0xfc00, v57
	v_or3_b32 v56, v58, v57, v56
.LBB283_727:                            ;   in Loop: Header=BB283_490 Depth=1
	s_or_b32 exec_lo, exec_lo, s21
.LBB283_728:                            ;   in Loop: Header=BB283_490 Depth=1
	s_or_b32 exec_lo, exec_lo, s18
.LBB283_729:                            ;   in Loop: Header=BB283_490 Depth=1
	s_or_b32 exec_lo, exec_lo, s17
	v_lshrrev_b16 v2, 8, v2
	v_mov_b32_e32 v57, 0
	s_mov_b32 s17, exec_lo
	v_cmpx_ne_u16_e32 0, v2
	s_cbranch_execz .LBB283_737
; %bb.730:                              ;   in Loop: Header=BB283_490 Depth=1
	v_bfrev_b32_e32 v57, 1
	s_mov_b32 s18, exec_lo
	v_cmpx_ne_u16_e32 0x80, v2
	s_cbranch_execz .LBB283_736
; %bb.731:                              ;   in Loop: Header=BB283_490 Depth=1
	v_and_b32_sdwa v59, v2, v27 dst_sel:DWORD dst_unused:UNUSED_PAD src0_sel:WORD_0 src1_sel:DWORD
	v_mov_b32_e32 v57, 0x7c010000
	s_mov_b32 s21, exec_lo
	v_cmpx_ne_u32_e32 0x7f, v59
	s_cbranch_execz .LBB283_735
; %bb.732:                              ;   in Loop: Header=BB283_490 Depth=1
	v_and_b32_sdwa v57, v2, v28 dst_sel:DWORD dst_unused:UNUSED_PAD src0_sel:WORD_0 src1_sel:DWORD
	v_lshrrev_b32_e32 v58, 3, v59
	s_mov_b32 s22, exec_lo
	v_cmpx_gt_u32_e32 8, v59
; %bb.733:                              ;   in Loop: Header=BB283_490 Depth=1
	v_ffbh_u32_e32 v57, v57
	v_min_u32_e32 v59, 32, v57
	v_subrev_nc_u32_e32 v57, 28, v59
	v_lshlrev_b64 v[57:58], v57, v[2:3]
	v_sub_nc_u32_e32 v58, 29, v59
	v_and_b32_e32 v57, 7, v57
; %bb.734:                              ;   in Loop: Header=BB283_490 Depth=1
	s_or_b32 exec_lo, exec_lo, s22
	v_lshlrev_b32_sdwa v2, v29, v2 dst_sel:DWORD dst_unused:UNUSED_PAD src0_sel:DWORD src1_sel:WORD_0
	v_lshl_add_u32 v58, v58, 10, 0x2000
	v_lshlrev_b32_e32 v57, 23, v57
	v_and_or_b32 v2, 0x8000, v2, v58
	v_lshl_or_b32 v57, v2, 16, v57
.LBB283_735:                            ;   in Loop: Header=BB283_490 Depth=1
	s_or_b32 exec_lo, exec_lo, s21
.LBB283_736:                            ;   in Loop: Header=BB283_490 Depth=1
	s_or_b32 exec_lo, exec_lo, s18
.LBB283_737:                            ;   in Loop: Header=BB283_490 Depth=1
	s_or_b32 exec_lo, exec_lo, s17
	v_lshrrev_b32_e32 v2, 16, v11
	v_cmp_ne_u16_sdwa s0, v2, v3 src0_sel:BYTE_0 src1_sel:DWORD
	s_and_saveexec_b32 s17, s0
	s_cbranch_execz .LBB283_745
; %bb.738:                              ;   in Loop: Header=BB283_490 Depth=1
	v_cmp_ne_u16_sdwa s0, v2, v16 src0_sel:BYTE_0 src1_sel:DWORD
	v_mov_b32_e32 v55, 0x8000
	s_and_saveexec_b32 s18, s0
	s_cbranch_execz .LBB283_744
; %bb.739:                              ;   in Loop: Header=BB283_490 Depth=1
	v_bfe_u32 v59, v11, 16, 7
	v_mov_b32_e32 v55, 0x7c01
	s_mov_b32 s21, exec_lo
	v_cmpx_ne_u32_e32 0x7f, v59
	s_cbranch_execz .LBB283_743
; %bb.740:                              ;   in Loop: Header=BB283_490 Depth=1
	v_and_b32_e32 v55, 7, v2
	v_lshrrev_b32_e32 v58, 3, v59
	s_mov_b32 s22, exec_lo
	v_cmpx_gt_u32_e32 8, v59
; %bb.741:                              ;   in Loop: Header=BB283_490 Depth=1
	v_ffbh_u32_e32 v55, v55
	v_min_u32_e32 v55, 32, v55
	v_subrev_nc_u32_e32 v58, 28, v55
	v_lshlrev_b64 v[59:60], v58, v[2:3]
	v_sub_nc_u32_e32 v58, 29, v55
	v_and_b32_e32 v55, 7, v59
; %bb.742:                              ;   in Loop: Header=BB283_490 Depth=1
	s_or_b32 exec_lo, exec_lo, s22
	v_lshlrev_b32_e32 v2, 8, v2
	v_lshl_add_u32 v58, v58, 10, 0x2000
	v_lshlrev_b32_e32 v55, 7, v55
	v_and_b32_e32 v2, 0x8000, v2
	v_and_b32_e32 v58, 0xfc00, v58
	v_or3_b32 v55, v2, v58, v55
.LBB283_743:                            ;   in Loop: Header=BB283_490 Depth=1
	s_or_b32 exec_lo, exec_lo, s21
.LBB283_744:                            ;   in Loop: Header=BB283_490 Depth=1
	s_or_b32 exec_lo, exec_lo, s18
.LBB283_745:                            ;   in Loop: Header=BB283_490 Depth=1
	s_or_b32 exec_lo, exec_lo, s17
	v_cmp_lt_u64_e64 s0, s[4:5], v[10:11]
	v_mov_b32_e32 v10, 0
	s_and_saveexec_b32 s17, s0
	s_cbranch_execz .LBB283_753
; %bb.746:                              ;   in Loop: Header=BB283_490 Depth=1
	v_lshrrev_b32_e32 v2, 24, v11
	v_bfrev_b32_e32 v10, 1
	s_mov_b32 s18, exec_lo
	v_cmpx_ne_u32_e32 0x80, v2
	s_cbranch_execz .LBB283_752
; %bb.747:                              ;   in Loop: Header=BB283_490 Depth=1
	v_and_b32_e32 v58, 0x7f, v2
	v_mov_b32_e32 v10, 0x7c010000
	s_mov_b32 s21, exec_lo
	v_cmpx_ne_u32_e32 0x7f, v58
	s_cbranch_execz .LBB283_751
; %bb.748:                              ;   in Loop: Header=BB283_490 Depth=1
	v_and_b32_e32 v10, 7, v2
	v_lshrrev_b32_e32 v11, 3, v58
	s_mov_b32 s22, exec_lo
	v_cmpx_gt_u32_e32 8, v58
; %bb.749:                              ;   in Loop: Header=BB283_490 Depth=1
	v_ffbh_u32_e32 v10, v10
	v_min_u32_e32 v58, 32, v10
	v_subrev_nc_u32_e32 v10, 28, v58
	v_lshlrev_b64 v[10:11], v10, v[2:3]
	v_sub_nc_u32_e32 v11, 29, v58
	v_and_b32_e32 v10, 7, v10
; %bb.750:                              ;   in Loop: Header=BB283_490 Depth=1
	s_or_b32 exec_lo, exec_lo, s22
	v_lshlrev_b32_e32 v2, 8, v2
	v_lshl_add_u32 v11, v11, 10, 0x2000
	v_lshlrev_b32_e32 v10, 23, v10
	v_and_or_b32 v2, 0x8000, v2, v11
	v_lshl_or_b32 v10, v2, 16, v10
.LBB283_751:                            ;   in Loop: Header=BB283_490 Depth=1
	s_or_b32 exec_lo, exec_lo, s21
.LBB283_752:                            ;   in Loop: Header=BB283_490 Depth=1
	s_or_b32 exec_lo, exec_lo, s18
.LBB283_753:                            ;   in Loop: Header=BB283_490 Depth=1
	s_or_b32 exec_lo, exec_lo, s17
	v_or_b32_e32 v2, v53, v54
	s_waitcnt vmcnt(0)
	v_fma_mixlo_f16 v11, v50, v53, 0 op_sel:[0,1,0] op_sel_hi:[0,1,0]
	v_or_b32_e32 v53, v51, v52
	v_fma_mixlo_f16 v51, v50, v51, 0 op_sel:[0,1,0] op_sel_hi:[0,1,0]
	v_or_b32_e32 v54, v57, v56
	v_or_b32_e32 v55, v10, v55
	v_fma_mixlo_f16 v56, v50, v2, 0 op_sel_hi:[0,1,0]
	v_fma_mixlo_f16 v10, v50, v10, 0 op_sel:[0,1,0] op_sel_hi:[0,1,0]
	v_lshlrev_b32_e32 v52, 16, v51
	v_fma_mixlo_f16 v51, v50, v53, 0 op_sel_hi:[0,1,0]
	v_fma_mixlo_f16 v53, v50, v57, 0 op_sel:[0,1,0] op_sel_hi:[0,1,0]
	v_fma_mixlo_f16 v54, v50, v54, 0 op_sel_hi:[0,1,0]
	v_fma_mixlo_f16 v55, v50, v55, 0 op_sel_hi:[0,1,0]
	v_lshlrev_b32_e32 v2, 16, v11
	v_and_b32_e32 v11, 0xffff, v56
	v_and_b32_e32 v58, 0xffff, v51
	v_lshlrev_b32_e32 v50, 16, v53
	v_and_b32_e32 v54, 0xffff, v54
	v_lshlrev_b32_e32 v10, 16, v10
	v_and_b32_e32 v51, 0xffff, v55
	v_or_b32_e32 v53, v2, v11
	v_or_b32_e32 v57, v52, v58
	;; [unrolled: 1-line block ×4, first 2 shown]
	s_and_saveexec_b32 s17, vcc_lo
	s_cbranch_execz .LBB283_755
; %bb.754:                              ;   in Loop: Header=BB283_490 Depth=1
	v_cmp_gt_i32_e64 s0, s31, v32
	v_cndmask_b32_e64 v53, 0, v58, s0
	v_cmp_gt_i32_e64 s0, s31, v39
	v_cndmask_b32_e64 v52, 0, v52, s0
	v_cmp_gt_i32_e64 s0, s31, v38
	v_or_b32_e32 v57, v52, v53
	v_cndmask_b32_e64 v11, 0, v11, s0
	v_cmp_gt_i32_e64 s0, s31, v37
	v_cndmask_b32_e64 v2, 0, v2, s0
	v_cmp_gt_i32_e64 s0, s31, v36
	v_or_b32_e32 v53, v2, v11
	;; [unrolled: 5-line block ×3, first 2 shown]
	v_cndmask_b32_e64 v51, 0, v51, s0
	v_cmp_gt_i32_e64 s0, s31, v33
	v_cndmask_b32_e64 v10, 0, v10, s0
	v_or_b32_e32 v55, v10, v51
.LBB283_755:                            ;   in Loop: Header=BB283_490 Depth=1
	s_or_b32 exec_lo, exec_lo, s17
	;;#ASMSTART
	v_pk_mul_f16 v2, v45, v57;

	;;#ASMEND
	;;#ASMSTART
	v_pk_mul_f16 v10, v44, v53;

	;;#ASMEND
	;; [unrolled: 4-line block ×4, first 2 shown]
	;;#ASMSTART
	v_pk_add_f16 v2, v2, v10;

	;;#ASMEND
	;;#ASMSTART
	v_pk_add_f16 v2, v2, v11;

	;;#ASMEND
	;; [unrolled: 4-line block ×3, first 2 shown]
	v_and_b32_e32 v10, 0xffff, v2
	v_lshrrev_b32_e32 v2, 16, v2
	;;#ASMSTART
	v_cvt_f32_f16 v50, v10;
	;;#ASMEND
	;;#ASMSTART
	v_cvt_f32_f16 v51, v2;
	;;#ASMEND
	global_load_dwordx2 v[10:11], v[8:9], off offset:1024
	v_mov_b32_e32 v53, 0
	v_mov_b32_e32 v54, 0
	global_load_dword v52, v53, s[14:15]
	s_waitcnt vmcnt(1)
	v_cmp_ne_u16_sdwa s0, v10, v3 src0_sel:BYTE_0 src1_sel:DWORD
	s_and_saveexec_b32 s17, s0
	s_cbranch_execz .LBB283_763
; %bb.756:                              ;   in Loop: Header=BB283_490 Depth=1
	v_cmp_ne_u16_sdwa s0, v10, v16 src0_sel:BYTE_0 src1_sel:DWORD
	v_mov_b32_e32 v54, 0x8000
	s_and_saveexec_b32 s18, s0
	s_cbranch_execz .LBB283_762
; %bb.757:                              ;   in Loop: Header=BB283_490 Depth=1
	v_and_b32_e32 v55, 0x7f, v10
	v_mov_b32_e32 v54, 0x7c01
	s_mov_b32 s21, exec_lo
	v_cmpx_ne_u32_e32 0x7f, v55
	s_cbranch_execz .LBB283_761
; %bb.758:                              ;   in Loop: Header=BB283_490 Depth=1
	v_and_b32_e32 v2, 7, v10
	v_lshrrev_b32_e32 v54, 3, v55
	s_mov_b32 s22, exec_lo
	v_cmpx_gt_u32_e32 8, v55
; %bb.759:                              ;   in Loop: Header=BB283_490 Depth=1
	v_ffbh_u32_e32 v2, v2
	v_min_u32_e32 v2, 32, v2
	v_subrev_nc_u32_e32 v54, 28, v2
	v_lshlrev_b64 v[55:56], v54, v[10:11]
	v_sub_nc_u32_e32 v54, 29, v2
	v_and_b32_e32 v2, 7, v55
; %bb.760:                              ;   in Loop: Header=BB283_490 Depth=1
	s_or_b32 exec_lo, exec_lo, s22
	v_lshlrev_b32_e32 v55, 8, v10
	v_lshl_add_u32 v54, v54, 10, 0x2000
	v_lshlrev_b32_e32 v2, 7, v2
	v_and_b32_e32 v55, 0x8000, v55
	v_and_b32_e32 v54, 0xfc00, v54
	v_or3_b32 v54, v55, v54, v2
.LBB283_761:                            ;   in Loop: Header=BB283_490 Depth=1
	s_or_b32 exec_lo, exec_lo, s21
.LBB283_762:                            ;   in Loop: Header=BB283_490 Depth=1
	s_or_b32 exec_lo, exec_lo, s18
.LBB283_763:                            ;   in Loop: Header=BB283_490 Depth=1
	s_or_b32 exec_lo, exec_lo, s17
	v_lshrrev_b16 v2, 8, v10
	s_mov_b32 s17, exec_lo
	v_cmpx_ne_u16_e32 0, v2
	s_cbranch_execz .LBB283_771
; %bb.764:                              ;   in Loop: Header=BB283_490 Depth=1
	v_bfrev_b32_e32 v53, 1
	s_mov_b32 s18, exec_lo
	v_cmpx_ne_u16_e32 0x80, v2
	s_cbranch_execz .LBB283_770
; %bb.765:                              ;   in Loop: Header=BB283_490 Depth=1
	v_and_b32_sdwa v56, v2, v27 dst_sel:DWORD dst_unused:UNUSED_PAD src0_sel:WORD_0 src1_sel:DWORD
	v_mov_b32_e32 v53, 0x7c010000
	s_mov_b32 s21, exec_lo
	v_cmpx_ne_u32_e32 0x7f, v56
	s_cbranch_execz .LBB283_769
; %bb.766:                              ;   in Loop: Header=BB283_490 Depth=1
	v_and_b32_sdwa v53, v2, v28 dst_sel:DWORD dst_unused:UNUSED_PAD src0_sel:WORD_0 src1_sel:DWORD
	v_lshrrev_b32_e32 v55, 3, v56
	s_mov_b32 s22, exec_lo
	v_cmpx_gt_u32_e32 8, v56
; %bb.767:                              ;   in Loop: Header=BB283_490 Depth=1
	v_ffbh_u32_e32 v53, v53
	v_min_u32_e32 v53, 32, v53
	v_subrev_nc_u32_e32 v55, 28, v53
	v_lshlrev_b64 v[56:57], v55, v[2:3]
	v_sub_nc_u32_e32 v55, 29, v53
	v_and_b32_e32 v53, 7, v56
; %bb.768:                              ;   in Loop: Header=BB283_490 Depth=1
	s_or_b32 exec_lo, exec_lo, s22
	v_lshlrev_b32_sdwa v2, v29, v2 dst_sel:DWORD dst_unused:UNUSED_PAD src0_sel:DWORD src1_sel:WORD_0
	v_lshl_add_u32 v55, v55, 10, 0x2000
	v_lshlrev_b32_e32 v53, 23, v53
	v_and_or_b32 v2, 0x8000, v2, v55
	v_lshl_or_b32 v53, v2, 16, v53
.LBB283_769:                            ;   in Loop: Header=BB283_490 Depth=1
	s_or_b32 exec_lo, exec_lo, s21
.LBB283_770:                            ;   in Loop: Header=BB283_490 Depth=1
	s_or_b32 exec_lo, exec_lo, s18
.LBB283_771:                            ;   in Loop: Header=BB283_490 Depth=1
	s_or_b32 exec_lo, exec_lo, s17
	v_lshrrev_b32_e32 v2, 16, v10
	v_mov_b32_e32 v55, 0
	v_mov_b32_e32 v56, 0
	v_cmp_ne_u16_sdwa s0, v2, v3 src0_sel:BYTE_0 src1_sel:DWORD
	s_and_saveexec_b32 s17, s0
	s_cbranch_execz .LBB283_779
; %bb.772:                              ;   in Loop: Header=BB283_490 Depth=1
	v_cmp_ne_u16_sdwa s0, v2, v16 src0_sel:BYTE_0 src1_sel:DWORD
	v_mov_b32_e32 v56, 0x8000
	s_and_saveexec_b32 s18, s0
	s_cbranch_execz .LBB283_778
; %bb.773:                              ;   in Loop: Header=BB283_490 Depth=1
	v_bfe_u32 v58, v10, 16, 7
	v_mov_b32_e32 v56, 0x7c01
	s_mov_b32 s21, exec_lo
	v_cmpx_ne_u32_e32 0x7f, v58
	s_cbranch_execz .LBB283_777
; %bb.774:                              ;   in Loop: Header=BB283_490 Depth=1
	v_and_b32_e32 v56, 7, v2
	v_lshrrev_b32_e32 v57, 3, v58
	s_mov_b32 s22, exec_lo
	v_cmpx_gt_u32_e32 8, v58
; %bb.775:                              ;   in Loop: Header=BB283_490 Depth=1
	v_ffbh_u32_e32 v56, v56
	v_min_u32_e32 v58, 32, v56
	v_subrev_nc_u32_e32 v56, 28, v58
	v_lshlrev_b64 v[56:57], v56, v[2:3]
	v_sub_nc_u32_e32 v57, 29, v58
	v_and_b32_e32 v56, 7, v56
; %bb.776:                              ;   in Loop: Header=BB283_490 Depth=1
	s_or_b32 exec_lo, exec_lo, s22
	v_lshlrev_b32_e32 v2, 8, v2
	v_lshl_add_u32 v57, v57, 10, 0x2000
	v_lshlrev_b32_e32 v56, 7, v56
	v_and_b32_e32 v2, 0x8000, v2
	v_and_b32_e32 v57, 0xfc00, v57
	v_or3_b32 v56, v2, v57, v56
.LBB283_777:                            ;   in Loop: Header=BB283_490 Depth=1
	s_or_b32 exec_lo, exec_lo, s21
.LBB283_778:                            ;   in Loop: Header=BB283_490 Depth=1
	s_or_b32 exec_lo, exec_lo, s18
.LBB283_779:                            ;   in Loop: Header=BB283_490 Depth=1
	s_or_b32 exec_lo, exec_lo, s17
	s_mov_b32 s17, exec_lo
	v_cmpx_lt_u32_e32 0xffffff, v10
	s_cbranch_execz .LBB283_787
; %bb.780:                              ;   in Loop: Header=BB283_490 Depth=1
	v_lshrrev_b32_e32 v2, 24, v10
	v_bfrev_b32_e32 v55, 1
	s_mov_b32 s18, exec_lo
	v_cmpx_ne_u32_e32 0x80, v2
	s_cbranch_execz .LBB283_786
; %bb.781:                              ;   in Loop: Header=BB283_490 Depth=1
	v_and_b32_e32 v58, 0x7f, v2
	v_mov_b32_e32 v55, 0x7c010000
	s_mov_b32 s21, exec_lo
	v_cmpx_ne_u32_e32 0x7f, v58
	s_cbranch_execz .LBB283_785
; %bb.782:                              ;   in Loop: Header=BB283_490 Depth=1
	v_and_b32_e32 v55, 7, v2
	v_lshrrev_b32_e32 v57, 3, v58
	s_mov_b32 s22, exec_lo
	v_cmpx_gt_u32_e32 8, v58
; %bb.783:                              ;   in Loop: Header=BB283_490 Depth=1
	v_ffbh_u32_e32 v55, v55
	v_min_u32_e32 v55, 32, v55
	v_subrev_nc_u32_e32 v57, 28, v55
	v_lshlrev_b64 v[58:59], v57, v[2:3]
	v_sub_nc_u32_e32 v57, 29, v55
	v_and_b32_e32 v55, 7, v58
; %bb.784:                              ;   in Loop: Header=BB283_490 Depth=1
	s_or_b32 exec_lo, exec_lo, s22
	v_lshlrev_b32_e32 v2, 8, v2
	v_lshl_add_u32 v57, v57, 10, 0x2000
	v_lshlrev_b32_e32 v55, 23, v55
	v_and_or_b32 v2, 0x8000, v2, v57
	v_lshl_or_b32 v55, v2, 16, v55
.LBB283_785:                            ;   in Loop: Header=BB283_490 Depth=1
	s_or_b32 exec_lo, exec_lo, s21
.LBB283_786:                            ;   in Loop: Header=BB283_490 Depth=1
	s_or_b32 exec_lo, exec_lo, s18
.LBB283_787:                            ;   in Loop: Header=BB283_490 Depth=1
	s_or_b32 exec_lo, exec_lo, s17
	v_mov_b32_e32 v2, v11
	v_cmp_ne_u16_sdwa s0, v11, v3 src0_sel:BYTE_0 src1_sel:DWORD
	v_mov_b32_e32 v57, 0
	v_mov_b32_e32 v58, 0
	s_and_saveexec_b32 s17, s0
	s_cbranch_execz .LBB283_795
; %bb.788:                              ;   in Loop: Header=BB283_490 Depth=1
	v_cmp_ne_u16_sdwa s0, v11, v16 src0_sel:BYTE_0 src1_sel:DWORD
	v_mov_b32_e32 v58, 0x8000
	s_and_saveexec_b32 s18, s0
	s_cbranch_execz .LBB283_794
; %bb.789:                              ;   in Loop: Header=BB283_490 Depth=1
	v_and_b32_e32 v60, 0x7f, v11
	v_mov_b32_e32 v58, 0x7c01
	s_mov_b32 s21, exec_lo
	v_cmpx_ne_u32_e32 0x7f, v60
	s_cbranch_execz .LBB283_793
; %bb.790:                              ;   in Loop: Header=BB283_490 Depth=1
	v_and_b32_e32 v58, 7, v11
	v_lshrrev_b32_e32 v59, 3, v60
	s_mov_b32 s22, exec_lo
	v_cmpx_gt_u32_e32 8, v60
; %bb.791:                              ;   in Loop: Header=BB283_490 Depth=1
	v_ffbh_u32_e32 v58, v58
	v_min_u32_e32 v60, 32, v58
	v_subrev_nc_u32_e32 v58, 28, v60
	v_lshlrev_b64 v[58:59], v58, v[2:3]
	v_sub_nc_u32_e32 v59, 29, v60
	v_and_b32_e32 v58, 7, v58
; %bb.792:                              ;   in Loop: Header=BB283_490 Depth=1
	s_or_b32 exec_lo, exec_lo, s22
	v_lshlrev_b32_e32 v60, 8, v11
	v_lshl_add_u32 v59, v59, 10, 0x2000
	v_lshlrev_b32_e32 v58, 7, v58
	v_and_b32_e32 v60, 0x8000, v60
	v_and_b32_e32 v59, 0xfc00, v59
	v_or3_b32 v58, v60, v59, v58
.LBB283_793:                            ;   in Loop: Header=BB283_490 Depth=1
	s_or_b32 exec_lo, exec_lo, s21
.LBB283_794:                            ;   in Loop: Header=BB283_490 Depth=1
	s_or_b32 exec_lo, exec_lo, s18
.LBB283_795:                            ;   in Loop: Header=BB283_490 Depth=1
	s_or_b32 exec_lo, exec_lo, s17
	v_lshrrev_b16 v2, 8, v2
	v_mov_b32_e32 v59, 0
	s_mov_b32 s17, exec_lo
	v_cmpx_ne_u16_e32 0, v2
	s_cbranch_execz .LBB283_803
; %bb.796:                              ;   in Loop: Header=BB283_490 Depth=1
	v_bfrev_b32_e32 v59, 1
	s_mov_b32 s18, exec_lo
	v_cmpx_ne_u16_e32 0x80, v2
	s_cbranch_execz .LBB283_802
; %bb.797:                              ;   in Loop: Header=BB283_490 Depth=1
	v_and_b32_sdwa v61, v2, v27 dst_sel:DWORD dst_unused:UNUSED_PAD src0_sel:WORD_0 src1_sel:DWORD
	v_mov_b32_e32 v59, 0x7c010000
	s_mov_b32 s21, exec_lo
	v_cmpx_ne_u32_e32 0x7f, v61
	s_cbranch_execz .LBB283_801
; %bb.798:                              ;   in Loop: Header=BB283_490 Depth=1
	v_and_b32_sdwa v59, v2, v28 dst_sel:DWORD dst_unused:UNUSED_PAD src0_sel:WORD_0 src1_sel:DWORD
	v_lshrrev_b32_e32 v60, 3, v61
	s_mov_b32 s22, exec_lo
	v_cmpx_gt_u32_e32 8, v61
; %bb.799:                              ;   in Loop: Header=BB283_490 Depth=1
	v_ffbh_u32_e32 v59, v59
	v_min_u32_e32 v61, 32, v59
	v_subrev_nc_u32_e32 v59, 28, v61
	v_lshlrev_b64 v[59:60], v59, v[2:3]
	v_sub_nc_u32_e32 v60, 29, v61
	v_and_b32_e32 v59, 7, v59
; %bb.800:                              ;   in Loop: Header=BB283_490 Depth=1
	s_or_b32 exec_lo, exec_lo, s22
	v_lshlrev_b32_sdwa v2, v29, v2 dst_sel:DWORD dst_unused:UNUSED_PAD src0_sel:DWORD src1_sel:WORD_0
	v_lshl_add_u32 v60, v60, 10, 0x2000
	v_lshlrev_b32_e32 v59, 23, v59
	v_and_or_b32 v2, 0x8000, v2, v60
	v_lshl_or_b32 v59, v2, 16, v59
.LBB283_801:                            ;   in Loop: Header=BB283_490 Depth=1
	s_or_b32 exec_lo, exec_lo, s21
.LBB283_802:                            ;   in Loop: Header=BB283_490 Depth=1
	s_or_b32 exec_lo, exec_lo, s18
.LBB283_803:                            ;   in Loop: Header=BB283_490 Depth=1
	s_or_b32 exec_lo, exec_lo, s17
	v_lshrrev_b32_e32 v2, 16, v11
	v_cmp_ne_u16_sdwa s0, v2, v3 src0_sel:BYTE_0 src1_sel:DWORD
	s_and_saveexec_b32 s17, s0
	s_cbranch_execz .LBB283_811
; %bb.804:                              ;   in Loop: Header=BB283_490 Depth=1
	v_cmp_ne_u16_sdwa s0, v2, v16 src0_sel:BYTE_0 src1_sel:DWORD
	v_mov_b32_e32 v57, 0x8000
	s_and_saveexec_b32 s18, s0
	s_cbranch_execz .LBB283_810
; %bb.805:                              ;   in Loop: Header=BB283_490 Depth=1
	v_bfe_u32 v61, v11, 16, 7
	v_mov_b32_e32 v57, 0x7c01
	s_mov_b32 s21, exec_lo
	v_cmpx_ne_u32_e32 0x7f, v61
	s_cbranch_execz .LBB283_809
; %bb.806:                              ;   in Loop: Header=BB283_490 Depth=1
	v_and_b32_e32 v57, 7, v2
	v_lshrrev_b32_e32 v60, 3, v61
	s_mov_b32 s22, exec_lo
	v_cmpx_gt_u32_e32 8, v61
; %bb.807:                              ;   in Loop: Header=BB283_490 Depth=1
	v_ffbh_u32_e32 v57, v57
	v_min_u32_e32 v57, 32, v57
	v_subrev_nc_u32_e32 v60, 28, v57
	v_lshlrev_b64 v[61:62], v60, v[2:3]
	v_sub_nc_u32_e32 v60, 29, v57
	v_and_b32_e32 v57, 7, v61
; %bb.808:                              ;   in Loop: Header=BB283_490 Depth=1
	s_or_b32 exec_lo, exec_lo, s22
	v_lshlrev_b32_e32 v2, 8, v2
	v_lshl_add_u32 v60, v60, 10, 0x2000
	v_lshlrev_b32_e32 v57, 7, v57
	v_and_b32_e32 v2, 0x8000, v2
	v_and_b32_e32 v60, 0xfc00, v60
	v_or3_b32 v57, v2, v60, v57
.LBB283_809:                            ;   in Loop: Header=BB283_490 Depth=1
	s_or_b32 exec_lo, exec_lo, s21
.LBB283_810:                            ;   in Loop: Header=BB283_490 Depth=1
	s_or_b32 exec_lo, exec_lo, s18
.LBB283_811:                            ;   in Loop: Header=BB283_490 Depth=1
	s_or_b32 exec_lo, exec_lo, s17
	v_cmp_lt_u64_e64 s0, s[4:5], v[10:11]
	v_mov_b32_e32 v10, 0
	s_and_saveexec_b32 s17, s0
	s_cbranch_execz .LBB283_819
; %bb.812:                              ;   in Loop: Header=BB283_490 Depth=1
	v_lshrrev_b32_e32 v2, 24, v11
	v_bfrev_b32_e32 v10, 1
	s_mov_b32 s18, exec_lo
	v_cmpx_ne_u32_e32 0x80, v2
	s_cbranch_execz .LBB283_818
; %bb.813:                              ;   in Loop: Header=BB283_490 Depth=1
	v_and_b32_e32 v60, 0x7f, v2
	v_mov_b32_e32 v10, 0x7c010000
	s_mov_b32 s21, exec_lo
	v_cmpx_ne_u32_e32 0x7f, v60
	s_cbranch_execz .LBB283_817
; %bb.814:                              ;   in Loop: Header=BB283_490 Depth=1
	v_and_b32_e32 v10, 7, v2
	v_lshrrev_b32_e32 v11, 3, v60
	s_mov_b32 s22, exec_lo
	v_cmpx_gt_u32_e32 8, v60
; %bb.815:                              ;   in Loop: Header=BB283_490 Depth=1
	v_ffbh_u32_e32 v10, v10
	v_min_u32_e32 v60, 32, v10
	v_subrev_nc_u32_e32 v10, 28, v60
	v_lshlrev_b64 v[10:11], v10, v[2:3]
	v_sub_nc_u32_e32 v11, 29, v60
	v_and_b32_e32 v10, 7, v10
; %bb.816:                              ;   in Loop: Header=BB283_490 Depth=1
	s_or_b32 exec_lo, exec_lo, s22
	v_lshlrev_b32_e32 v2, 8, v2
	v_lshl_add_u32 v11, v11, 10, 0x2000
	v_lshlrev_b32_e32 v10, 23, v10
	v_and_or_b32 v2, 0x8000, v2, v11
	v_lshl_or_b32 v10, v2, 16, v10
.LBB283_817:                            ;   in Loop: Header=BB283_490 Depth=1
	s_or_b32 exec_lo, exec_lo, s21
.LBB283_818:                            ;   in Loop: Header=BB283_490 Depth=1
	s_or_b32 exec_lo, exec_lo, s18
.LBB283_819:                            ;   in Loop: Header=BB283_490 Depth=1
	s_or_b32 exec_lo, exec_lo, s17
	v_or_b32_e32 v2, v55, v56
	s_waitcnt vmcnt(0)
	v_fma_mixlo_f16 v11, v52, v55, 0 op_sel:[0,1,0] op_sel_hi:[0,1,0]
	v_or_b32_e32 v55, v53, v54
	v_fma_mixlo_f16 v53, v52, v53, 0 op_sel:[0,1,0] op_sel_hi:[0,1,0]
	v_or_b32_e32 v56, v59, v58
	v_or_b32_e32 v57, v10, v57
	v_fma_mixlo_f16 v58, v52, v2, 0 op_sel_hi:[0,1,0]
	v_fma_mixlo_f16 v10, v52, v10, 0 op_sel:[0,1,0] op_sel_hi:[0,1,0]
	v_lshlrev_b32_e32 v54, 16, v53
	v_fma_mixlo_f16 v53, v52, v55, 0 op_sel_hi:[0,1,0]
	v_fma_mixlo_f16 v55, v52, v59, 0 op_sel:[0,1,0] op_sel_hi:[0,1,0]
	v_fma_mixlo_f16 v56, v52, v56, 0 op_sel_hi:[0,1,0]
	v_fma_mixlo_f16 v57, v52, v57, 0 op_sel_hi:[0,1,0]
	v_lshlrev_b32_e32 v2, 16, v11
	v_and_b32_e32 v11, 0xffff, v58
	v_and_b32_e32 v60, 0xffff, v53
	v_lshlrev_b32_e32 v52, 16, v55
	v_and_b32_e32 v56, 0xffff, v56
	v_lshlrev_b32_e32 v10, 16, v10
	v_and_b32_e32 v53, 0xffff, v57
	v_or_b32_e32 v55, v2, v11
	v_or_b32_e32 v59, v54, v60
	;; [unrolled: 1-line block ×4, first 2 shown]
	s_and_saveexec_b32 s17, vcc_lo
	s_cbranch_execz .LBB283_821
; %bb.820:                              ;   in Loop: Header=BB283_490 Depth=1
	v_cmp_gt_i32_e64 s0, s31, v32
	v_cndmask_b32_e64 v55, 0, v60, s0
	v_cmp_gt_i32_e64 s0, s31, v39
	v_cndmask_b32_e64 v54, 0, v54, s0
	v_cmp_gt_i32_e64 s0, s31, v38
	v_or_b32_e32 v59, v54, v55
	v_cndmask_b32_e64 v11, 0, v11, s0
	v_cmp_gt_i32_e64 s0, s31, v37
	v_cndmask_b32_e64 v2, 0, v2, s0
	v_cmp_gt_i32_e64 s0, s31, v36
	v_or_b32_e32 v55, v2, v11
	;; [unrolled: 5-line block ×3, first 2 shown]
	v_cndmask_b32_e64 v53, 0, v53, s0
	v_cmp_gt_i32_e64 s0, s31, v33
	v_cndmask_b32_e64 v10, 0, v10, s0
	v_or_b32_e32 v57, v10, v53
.LBB283_821:                            ;   in Loop: Header=BB283_490 Depth=1
	s_or_b32 exec_lo, exec_lo, s17
	;;#ASMSTART
	v_pk_mul_f16 v2, v45, v59;

	;;#ASMEND
	;;#ASMSTART
	v_pk_mul_f16 v10, v44, v55;

	;;#ASMEND
	;; [unrolled: 4-line block ×4, first 2 shown]
	;;#ASMSTART
	v_pk_add_f16 v2, v2, v10;

	;;#ASMEND
	;;#ASMSTART
	v_pk_add_f16 v2, v2, v11;

	;;#ASMEND
	;; [unrolled: 4-line block ×3, first 2 shown]
	v_and_b32_e32 v10, 0xffff, v2
	v_lshrrev_b32_e32 v2, 16, v2
	;;#ASMSTART
	v_cvt_f32_f16 v52, v10;
	;;#ASMEND
	;;#ASMSTART
	v_cvt_f32_f16 v53, v2;
	;;#ASMEND
	global_load_dwordx2 v[10:11], v[8:9], off offset:1280
	v_mov_b32_e32 v55, 0
	v_mov_b32_e32 v56, 0
	global_load_dword v54, v55, s[14:15]
	s_waitcnt vmcnt(1)
	v_cmp_ne_u16_sdwa s0, v10, v3 src0_sel:BYTE_0 src1_sel:DWORD
	s_and_saveexec_b32 s17, s0
	s_cbranch_execz .LBB283_829
; %bb.822:                              ;   in Loop: Header=BB283_490 Depth=1
	v_cmp_ne_u16_sdwa s0, v10, v16 src0_sel:BYTE_0 src1_sel:DWORD
	v_mov_b32_e32 v56, 0x8000
	s_and_saveexec_b32 s18, s0
	s_cbranch_execz .LBB283_828
; %bb.823:                              ;   in Loop: Header=BB283_490 Depth=1
	v_and_b32_e32 v57, 0x7f, v10
	v_mov_b32_e32 v56, 0x7c01
	s_mov_b32 s21, exec_lo
	v_cmpx_ne_u32_e32 0x7f, v57
	s_cbranch_execz .LBB283_827
; %bb.824:                              ;   in Loop: Header=BB283_490 Depth=1
	v_and_b32_e32 v2, 7, v10
	v_lshrrev_b32_e32 v56, 3, v57
	s_mov_b32 s22, exec_lo
	v_cmpx_gt_u32_e32 8, v57
; %bb.825:                              ;   in Loop: Header=BB283_490 Depth=1
	v_ffbh_u32_e32 v2, v2
	v_min_u32_e32 v2, 32, v2
	v_subrev_nc_u32_e32 v56, 28, v2
	v_lshlrev_b64 v[57:58], v56, v[10:11]
	v_sub_nc_u32_e32 v56, 29, v2
	v_and_b32_e32 v2, 7, v57
; %bb.826:                              ;   in Loop: Header=BB283_490 Depth=1
	s_or_b32 exec_lo, exec_lo, s22
	v_lshlrev_b32_e32 v57, 8, v10
	v_lshl_add_u32 v56, v56, 10, 0x2000
	v_lshlrev_b32_e32 v2, 7, v2
	v_and_b32_e32 v57, 0x8000, v57
	v_and_b32_e32 v56, 0xfc00, v56
	v_or3_b32 v56, v57, v56, v2
.LBB283_827:                            ;   in Loop: Header=BB283_490 Depth=1
	s_or_b32 exec_lo, exec_lo, s21
.LBB283_828:                            ;   in Loop: Header=BB283_490 Depth=1
	s_or_b32 exec_lo, exec_lo, s18
.LBB283_829:                            ;   in Loop: Header=BB283_490 Depth=1
	s_or_b32 exec_lo, exec_lo, s17
	v_lshrrev_b16 v2, 8, v10
	s_mov_b32 s17, exec_lo
	v_cmpx_ne_u16_e32 0, v2
	s_cbranch_execz .LBB283_837
; %bb.830:                              ;   in Loop: Header=BB283_490 Depth=1
	v_bfrev_b32_e32 v55, 1
	s_mov_b32 s18, exec_lo
	v_cmpx_ne_u16_e32 0x80, v2
	s_cbranch_execz .LBB283_836
; %bb.831:                              ;   in Loop: Header=BB283_490 Depth=1
	v_and_b32_sdwa v58, v2, v27 dst_sel:DWORD dst_unused:UNUSED_PAD src0_sel:WORD_0 src1_sel:DWORD
	v_mov_b32_e32 v55, 0x7c010000
	s_mov_b32 s21, exec_lo
	v_cmpx_ne_u32_e32 0x7f, v58
	s_cbranch_execz .LBB283_835
; %bb.832:                              ;   in Loop: Header=BB283_490 Depth=1
	v_and_b32_sdwa v55, v2, v28 dst_sel:DWORD dst_unused:UNUSED_PAD src0_sel:WORD_0 src1_sel:DWORD
	v_lshrrev_b32_e32 v57, 3, v58
	s_mov_b32 s22, exec_lo
	v_cmpx_gt_u32_e32 8, v58
; %bb.833:                              ;   in Loop: Header=BB283_490 Depth=1
	v_ffbh_u32_e32 v55, v55
	v_min_u32_e32 v55, 32, v55
	v_subrev_nc_u32_e32 v57, 28, v55
	v_lshlrev_b64 v[58:59], v57, v[2:3]
	v_sub_nc_u32_e32 v57, 29, v55
	v_and_b32_e32 v55, 7, v58
; %bb.834:                              ;   in Loop: Header=BB283_490 Depth=1
	s_or_b32 exec_lo, exec_lo, s22
	v_lshlrev_b32_sdwa v2, v29, v2 dst_sel:DWORD dst_unused:UNUSED_PAD src0_sel:DWORD src1_sel:WORD_0
	v_lshl_add_u32 v57, v57, 10, 0x2000
	v_lshlrev_b32_e32 v55, 23, v55
	v_and_or_b32 v2, 0x8000, v2, v57
	v_lshl_or_b32 v55, v2, 16, v55
.LBB283_835:                            ;   in Loop: Header=BB283_490 Depth=1
	s_or_b32 exec_lo, exec_lo, s21
.LBB283_836:                            ;   in Loop: Header=BB283_490 Depth=1
	s_or_b32 exec_lo, exec_lo, s18
.LBB283_837:                            ;   in Loop: Header=BB283_490 Depth=1
	s_or_b32 exec_lo, exec_lo, s17
	v_lshrrev_b32_e32 v2, 16, v10
	v_mov_b32_e32 v57, 0
	v_mov_b32_e32 v58, 0
	v_cmp_ne_u16_sdwa s0, v2, v3 src0_sel:BYTE_0 src1_sel:DWORD
	s_and_saveexec_b32 s17, s0
	s_cbranch_execz .LBB283_845
; %bb.838:                              ;   in Loop: Header=BB283_490 Depth=1
	v_cmp_ne_u16_sdwa s0, v2, v16 src0_sel:BYTE_0 src1_sel:DWORD
	v_mov_b32_e32 v58, 0x8000
	s_and_saveexec_b32 s18, s0
	s_cbranch_execz .LBB283_844
; %bb.839:                              ;   in Loop: Header=BB283_490 Depth=1
	v_bfe_u32 v60, v10, 16, 7
	v_mov_b32_e32 v58, 0x7c01
	s_mov_b32 s21, exec_lo
	v_cmpx_ne_u32_e32 0x7f, v60
	s_cbranch_execz .LBB283_843
; %bb.840:                              ;   in Loop: Header=BB283_490 Depth=1
	v_and_b32_e32 v58, 7, v2
	v_lshrrev_b32_e32 v59, 3, v60
	s_mov_b32 s22, exec_lo
	v_cmpx_gt_u32_e32 8, v60
; %bb.841:                              ;   in Loop: Header=BB283_490 Depth=1
	v_ffbh_u32_e32 v58, v58
	v_min_u32_e32 v60, 32, v58
	v_subrev_nc_u32_e32 v58, 28, v60
	v_lshlrev_b64 v[58:59], v58, v[2:3]
	v_sub_nc_u32_e32 v59, 29, v60
	v_and_b32_e32 v58, 7, v58
; %bb.842:                              ;   in Loop: Header=BB283_490 Depth=1
	s_or_b32 exec_lo, exec_lo, s22
	v_lshlrev_b32_e32 v2, 8, v2
	v_lshl_add_u32 v59, v59, 10, 0x2000
	v_lshlrev_b32_e32 v58, 7, v58
	v_and_b32_e32 v2, 0x8000, v2
	v_and_b32_e32 v59, 0xfc00, v59
	v_or3_b32 v58, v2, v59, v58
.LBB283_843:                            ;   in Loop: Header=BB283_490 Depth=1
	s_or_b32 exec_lo, exec_lo, s21
.LBB283_844:                            ;   in Loop: Header=BB283_490 Depth=1
	s_or_b32 exec_lo, exec_lo, s18
.LBB283_845:                            ;   in Loop: Header=BB283_490 Depth=1
	s_or_b32 exec_lo, exec_lo, s17
	s_mov_b32 s17, exec_lo
	v_cmpx_lt_u32_e32 0xffffff, v10
	s_cbranch_execz .LBB283_853
; %bb.846:                              ;   in Loop: Header=BB283_490 Depth=1
	v_lshrrev_b32_e32 v2, 24, v10
	v_bfrev_b32_e32 v57, 1
	s_mov_b32 s18, exec_lo
	v_cmpx_ne_u32_e32 0x80, v2
	s_cbranch_execz .LBB283_852
; %bb.847:                              ;   in Loop: Header=BB283_490 Depth=1
	v_and_b32_e32 v60, 0x7f, v2
	v_mov_b32_e32 v57, 0x7c010000
	s_mov_b32 s21, exec_lo
	v_cmpx_ne_u32_e32 0x7f, v60
	s_cbranch_execz .LBB283_851
; %bb.848:                              ;   in Loop: Header=BB283_490 Depth=1
	v_and_b32_e32 v57, 7, v2
	v_lshrrev_b32_e32 v59, 3, v60
	s_mov_b32 s22, exec_lo
	v_cmpx_gt_u32_e32 8, v60
; %bb.849:                              ;   in Loop: Header=BB283_490 Depth=1
	v_ffbh_u32_e32 v57, v57
	v_min_u32_e32 v57, 32, v57
	v_subrev_nc_u32_e32 v59, 28, v57
	v_lshlrev_b64 v[60:61], v59, v[2:3]
	v_sub_nc_u32_e32 v59, 29, v57
	v_and_b32_e32 v57, 7, v60
; %bb.850:                              ;   in Loop: Header=BB283_490 Depth=1
	s_or_b32 exec_lo, exec_lo, s22
	v_lshlrev_b32_e32 v2, 8, v2
	v_lshl_add_u32 v59, v59, 10, 0x2000
	v_lshlrev_b32_e32 v57, 23, v57
	v_and_or_b32 v2, 0x8000, v2, v59
	v_lshl_or_b32 v57, v2, 16, v57
.LBB283_851:                            ;   in Loop: Header=BB283_490 Depth=1
	s_or_b32 exec_lo, exec_lo, s21
.LBB283_852:                            ;   in Loop: Header=BB283_490 Depth=1
	s_or_b32 exec_lo, exec_lo, s18
.LBB283_853:                            ;   in Loop: Header=BB283_490 Depth=1
	s_or_b32 exec_lo, exec_lo, s17
	v_mov_b32_e32 v2, v11
	v_cmp_ne_u16_sdwa s0, v11, v3 src0_sel:BYTE_0 src1_sel:DWORD
	v_mov_b32_e32 v59, 0
	v_mov_b32_e32 v60, 0
	s_and_saveexec_b32 s17, s0
	s_cbranch_execz .LBB283_861
; %bb.854:                              ;   in Loop: Header=BB283_490 Depth=1
	v_cmp_ne_u16_sdwa s0, v11, v16 src0_sel:BYTE_0 src1_sel:DWORD
	v_mov_b32_e32 v60, 0x8000
	s_and_saveexec_b32 s18, s0
	s_cbranch_execz .LBB283_860
; %bb.855:                              ;   in Loop: Header=BB283_490 Depth=1
	v_and_b32_e32 v62, 0x7f, v11
	v_mov_b32_e32 v60, 0x7c01
	s_mov_b32 s21, exec_lo
	v_cmpx_ne_u32_e32 0x7f, v62
	s_cbranch_execz .LBB283_859
; %bb.856:                              ;   in Loop: Header=BB283_490 Depth=1
	v_and_b32_e32 v60, 7, v11
	v_lshrrev_b32_e32 v61, 3, v62
	s_mov_b32 s22, exec_lo
	v_cmpx_gt_u32_e32 8, v62
; %bb.857:                              ;   in Loop: Header=BB283_490 Depth=1
	v_ffbh_u32_e32 v60, v60
	v_min_u32_e32 v62, 32, v60
	v_subrev_nc_u32_e32 v60, 28, v62
	v_lshlrev_b64 v[60:61], v60, v[2:3]
	v_sub_nc_u32_e32 v61, 29, v62
	v_and_b32_e32 v60, 7, v60
; %bb.858:                              ;   in Loop: Header=BB283_490 Depth=1
	s_or_b32 exec_lo, exec_lo, s22
	v_lshlrev_b32_e32 v62, 8, v11
	v_lshl_add_u32 v61, v61, 10, 0x2000
	v_lshlrev_b32_e32 v60, 7, v60
	v_and_b32_e32 v62, 0x8000, v62
	v_and_b32_e32 v61, 0xfc00, v61
	v_or3_b32 v60, v62, v61, v60
.LBB283_859:                            ;   in Loop: Header=BB283_490 Depth=1
	s_or_b32 exec_lo, exec_lo, s21
.LBB283_860:                            ;   in Loop: Header=BB283_490 Depth=1
	s_or_b32 exec_lo, exec_lo, s18
.LBB283_861:                            ;   in Loop: Header=BB283_490 Depth=1
	s_or_b32 exec_lo, exec_lo, s17
	v_lshrrev_b16 v2, 8, v2
	v_mov_b32_e32 v61, 0
	s_mov_b32 s17, exec_lo
	v_cmpx_ne_u16_e32 0, v2
	s_cbranch_execz .LBB283_869
; %bb.862:                              ;   in Loop: Header=BB283_490 Depth=1
	v_bfrev_b32_e32 v61, 1
	s_mov_b32 s18, exec_lo
	v_cmpx_ne_u16_e32 0x80, v2
	s_cbranch_execz .LBB283_868
; %bb.863:                              ;   in Loop: Header=BB283_490 Depth=1
	v_and_b32_sdwa v63, v2, v27 dst_sel:DWORD dst_unused:UNUSED_PAD src0_sel:WORD_0 src1_sel:DWORD
	v_mov_b32_e32 v61, 0x7c010000
	s_mov_b32 s21, exec_lo
	v_cmpx_ne_u32_e32 0x7f, v63
	s_cbranch_execz .LBB283_867
; %bb.864:                              ;   in Loop: Header=BB283_490 Depth=1
	v_and_b32_sdwa v61, v2, v28 dst_sel:DWORD dst_unused:UNUSED_PAD src0_sel:WORD_0 src1_sel:DWORD
	v_lshrrev_b32_e32 v62, 3, v63
	s_mov_b32 s22, exec_lo
	v_cmpx_gt_u32_e32 8, v63
; %bb.865:                              ;   in Loop: Header=BB283_490 Depth=1
	v_ffbh_u32_e32 v61, v61
	v_min_u32_e32 v63, 32, v61
	v_subrev_nc_u32_e32 v61, 28, v63
	v_lshlrev_b64 v[61:62], v61, v[2:3]
	v_sub_nc_u32_e32 v62, 29, v63
	v_and_b32_e32 v61, 7, v61
; %bb.866:                              ;   in Loop: Header=BB283_490 Depth=1
	s_or_b32 exec_lo, exec_lo, s22
	v_lshlrev_b32_sdwa v2, v29, v2 dst_sel:DWORD dst_unused:UNUSED_PAD src0_sel:DWORD src1_sel:WORD_0
	v_lshl_add_u32 v62, v62, 10, 0x2000
	v_lshlrev_b32_e32 v61, 23, v61
	v_and_or_b32 v2, 0x8000, v2, v62
	v_lshl_or_b32 v61, v2, 16, v61
.LBB283_867:                            ;   in Loop: Header=BB283_490 Depth=1
	s_or_b32 exec_lo, exec_lo, s21
.LBB283_868:                            ;   in Loop: Header=BB283_490 Depth=1
	s_or_b32 exec_lo, exec_lo, s18
.LBB283_869:                            ;   in Loop: Header=BB283_490 Depth=1
	s_or_b32 exec_lo, exec_lo, s17
	v_lshrrev_b32_e32 v2, 16, v11
	v_cmp_ne_u16_sdwa s0, v2, v3 src0_sel:BYTE_0 src1_sel:DWORD
	s_and_saveexec_b32 s17, s0
	s_cbranch_execz .LBB283_877
; %bb.870:                              ;   in Loop: Header=BB283_490 Depth=1
	v_cmp_ne_u16_sdwa s0, v2, v16 src0_sel:BYTE_0 src1_sel:DWORD
	v_mov_b32_e32 v59, 0x8000
	s_and_saveexec_b32 s18, s0
	s_cbranch_execz .LBB283_876
; %bb.871:                              ;   in Loop: Header=BB283_490 Depth=1
	v_bfe_u32 v63, v11, 16, 7
	v_mov_b32_e32 v59, 0x7c01
	s_mov_b32 s21, exec_lo
	v_cmpx_ne_u32_e32 0x7f, v63
	s_cbranch_execz .LBB283_875
; %bb.872:                              ;   in Loop: Header=BB283_490 Depth=1
	v_and_b32_e32 v59, 7, v2
	v_lshrrev_b32_e32 v62, 3, v63
	s_mov_b32 s22, exec_lo
	v_cmpx_gt_u32_e32 8, v63
; %bb.873:                              ;   in Loop: Header=BB283_490 Depth=1
	v_ffbh_u32_e32 v59, v59
	v_min_u32_e32 v59, 32, v59
	v_subrev_nc_u32_e32 v62, 28, v59
	v_lshlrev_b64 v[63:64], v62, v[2:3]
	v_sub_nc_u32_e32 v62, 29, v59
	v_and_b32_e32 v59, 7, v63
; %bb.874:                              ;   in Loop: Header=BB283_490 Depth=1
	s_or_b32 exec_lo, exec_lo, s22
	v_lshlrev_b32_e32 v2, 8, v2
	v_lshl_add_u32 v62, v62, 10, 0x2000
	v_lshlrev_b32_e32 v59, 7, v59
	v_and_b32_e32 v2, 0x8000, v2
	v_and_b32_e32 v62, 0xfc00, v62
	v_or3_b32 v59, v2, v62, v59
.LBB283_875:                            ;   in Loop: Header=BB283_490 Depth=1
	s_or_b32 exec_lo, exec_lo, s21
.LBB283_876:                            ;   in Loop: Header=BB283_490 Depth=1
	s_or_b32 exec_lo, exec_lo, s18
.LBB283_877:                            ;   in Loop: Header=BB283_490 Depth=1
	s_or_b32 exec_lo, exec_lo, s17
	v_cmp_lt_u64_e64 s0, s[4:5], v[10:11]
	v_mov_b32_e32 v10, 0
	s_and_saveexec_b32 s17, s0
	s_cbranch_execz .LBB283_885
; %bb.878:                              ;   in Loop: Header=BB283_490 Depth=1
	v_lshrrev_b32_e32 v2, 24, v11
	v_bfrev_b32_e32 v10, 1
	s_mov_b32 s18, exec_lo
	v_cmpx_ne_u32_e32 0x80, v2
	s_cbranch_execz .LBB283_884
; %bb.879:                              ;   in Loop: Header=BB283_490 Depth=1
	v_and_b32_e32 v62, 0x7f, v2
	v_mov_b32_e32 v10, 0x7c010000
	s_mov_b32 s21, exec_lo
	v_cmpx_ne_u32_e32 0x7f, v62
	s_cbranch_execz .LBB283_883
; %bb.880:                              ;   in Loop: Header=BB283_490 Depth=1
	v_and_b32_e32 v10, 7, v2
	v_lshrrev_b32_e32 v11, 3, v62
	s_mov_b32 s22, exec_lo
	v_cmpx_gt_u32_e32 8, v62
; %bb.881:                              ;   in Loop: Header=BB283_490 Depth=1
	v_ffbh_u32_e32 v10, v10
	v_min_u32_e32 v62, 32, v10
	v_subrev_nc_u32_e32 v10, 28, v62
	v_lshlrev_b64 v[10:11], v10, v[2:3]
	v_sub_nc_u32_e32 v11, 29, v62
	v_and_b32_e32 v10, 7, v10
; %bb.882:                              ;   in Loop: Header=BB283_490 Depth=1
	s_or_b32 exec_lo, exec_lo, s22
	v_lshlrev_b32_e32 v2, 8, v2
	v_lshl_add_u32 v11, v11, 10, 0x2000
	v_lshlrev_b32_e32 v10, 23, v10
	v_and_or_b32 v2, 0x8000, v2, v11
	v_lshl_or_b32 v10, v2, 16, v10
.LBB283_883:                            ;   in Loop: Header=BB283_490 Depth=1
	s_or_b32 exec_lo, exec_lo, s21
.LBB283_884:                            ;   in Loop: Header=BB283_490 Depth=1
	s_or_b32 exec_lo, exec_lo, s18
.LBB283_885:                            ;   in Loop: Header=BB283_490 Depth=1
	s_or_b32 exec_lo, exec_lo, s17
	v_or_b32_e32 v2, v57, v58
	s_waitcnt vmcnt(0)
	v_fma_mixlo_f16 v11, v54, v57, 0 op_sel:[0,1,0] op_sel_hi:[0,1,0]
	v_or_b32_e32 v57, v55, v56
	v_fma_mixlo_f16 v55, v54, v55, 0 op_sel:[0,1,0] op_sel_hi:[0,1,0]
	v_or_b32_e32 v58, v61, v60
	v_or_b32_e32 v59, v10, v59
	v_fma_mixlo_f16 v60, v54, v2, 0 op_sel_hi:[0,1,0]
	v_fma_mixlo_f16 v10, v54, v10, 0 op_sel:[0,1,0] op_sel_hi:[0,1,0]
	v_lshlrev_b32_e32 v56, 16, v55
	v_fma_mixlo_f16 v55, v54, v57, 0 op_sel_hi:[0,1,0]
	v_fma_mixlo_f16 v57, v54, v61, 0 op_sel:[0,1,0] op_sel_hi:[0,1,0]
	v_fma_mixlo_f16 v58, v54, v58, 0 op_sel_hi:[0,1,0]
	v_fma_mixlo_f16 v59, v54, v59, 0 op_sel_hi:[0,1,0]
	v_lshlrev_b32_e32 v2, 16, v11
	v_and_b32_e32 v11, 0xffff, v60
	v_and_b32_e32 v62, 0xffff, v55
	v_lshlrev_b32_e32 v54, 16, v57
	v_and_b32_e32 v58, 0xffff, v58
	v_lshlrev_b32_e32 v10, 16, v10
	v_and_b32_e32 v55, 0xffff, v59
	v_or_b32_e32 v57, v2, v11
	v_or_b32_e32 v61, v56, v62
	;; [unrolled: 1-line block ×4, first 2 shown]
	s_and_saveexec_b32 s17, vcc_lo
	s_cbranch_execz .LBB283_887
; %bb.886:                              ;   in Loop: Header=BB283_490 Depth=1
	v_cmp_gt_i32_e64 s0, s31, v32
	v_cndmask_b32_e64 v57, 0, v62, s0
	v_cmp_gt_i32_e64 s0, s31, v39
	v_cndmask_b32_e64 v56, 0, v56, s0
	v_cmp_gt_i32_e64 s0, s31, v38
	v_or_b32_e32 v61, v56, v57
	v_cndmask_b32_e64 v11, 0, v11, s0
	v_cmp_gt_i32_e64 s0, s31, v37
	v_cndmask_b32_e64 v2, 0, v2, s0
	v_cmp_gt_i32_e64 s0, s31, v36
	v_or_b32_e32 v57, v2, v11
	;; [unrolled: 5-line block ×3, first 2 shown]
	v_cndmask_b32_e64 v55, 0, v55, s0
	v_cmp_gt_i32_e64 s0, s31, v33
	v_cndmask_b32_e64 v10, 0, v10, s0
	v_or_b32_e32 v59, v10, v55
.LBB283_887:                            ;   in Loop: Header=BB283_490 Depth=1
	s_or_b32 exec_lo, exec_lo, s17
	;;#ASMSTART
	v_pk_mul_f16 v2, v45, v61;

	;;#ASMEND
	;;#ASMSTART
	v_pk_mul_f16 v10, v44, v57;

	;;#ASMEND
	;; [unrolled: 4-line block ×4, first 2 shown]
	;;#ASMSTART
	v_pk_add_f16 v2, v2, v10;

	;;#ASMEND
	;;#ASMSTART
	v_pk_add_f16 v2, v2, v11;

	;;#ASMEND
	;; [unrolled: 4-line block ×3, first 2 shown]
	v_and_b32_e32 v10, 0xffff, v2
	v_lshrrev_b32_e32 v2, 16, v2
	;;#ASMSTART
	v_cvt_f32_f16 v10, v10;
	;;#ASMEND
	;;#ASMSTART
	v_cvt_f32_f16 v11, v2;
	;;#ASMEND
	global_load_dwordx2 v[8:9], v[8:9], off offset:1536
	v_mov_b32_e32 v55, 0
	v_mov_b32_e32 v56, 0
	global_load_dword v54, v55, s[14:15]
	s_waitcnt vmcnt(1)
	v_cmp_ne_u16_sdwa s0, v8, v3 src0_sel:BYTE_0 src1_sel:DWORD
	s_and_saveexec_b32 s17, s0
	s_cbranch_execz .LBB283_895
; %bb.888:                              ;   in Loop: Header=BB283_490 Depth=1
	v_cmp_ne_u16_sdwa s0, v8, v16 src0_sel:BYTE_0 src1_sel:DWORD
	v_mov_b32_e32 v56, 0x8000
	s_and_saveexec_b32 s18, s0
	s_cbranch_execz .LBB283_894
; %bb.889:                              ;   in Loop: Header=BB283_490 Depth=1
	v_and_b32_e32 v57, 0x7f, v8
	v_mov_b32_e32 v56, 0x7c01
	s_mov_b32 s21, exec_lo
	v_cmpx_ne_u32_e32 0x7f, v57
	s_cbranch_execz .LBB283_893
; %bb.890:                              ;   in Loop: Header=BB283_490 Depth=1
	v_and_b32_e32 v2, 7, v8
	v_lshrrev_b32_e32 v56, 3, v57
	s_mov_b32 s22, exec_lo
	v_cmpx_gt_u32_e32 8, v57
; %bb.891:                              ;   in Loop: Header=BB283_490 Depth=1
	v_ffbh_u32_e32 v2, v2
	v_min_u32_e32 v2, 32, v2
	v_subrev_nc_u32_e32 v56, 28, v2
	v_lshlrev_b64 v[57:58], v56, v[8:9]
	v_sub_nc_u32_e32 v56, 29, v2
	v_and_b32_e32 v2, 7, v57
; %bb.892:                              ;   in Loop: Header=BB283_490 Depth=1
	s_or_b32 exec_lo, exec_lo, s22
	v_lshlrev_b32_e32 v57, 8, v8
	v_lshl_add_u32 v56, v56, 10, 0x2000
	v_lshlrev_b32_e32 v2, 7, v2
	v_and_b32_e32 v57, 0x8000, v57
	v_and_b32_e32 v56, 0xfc00, v56
	v_or3_b32 v56, v57, v56, v2
.LBB283_893:                            ;   in Loop: Header=BB283_490 Depth=1
	s_or_b32 exec_lo, exec_lo, s21
.LBB283_894:                            ;   in Loop: Header=BB283_490 Depth=1
	s_or_b32 exec_lo, exec_lo, s18
.LBB283_895:                            ;   in Loop: Header=BB283_490 Depth=1
	s_or_b32 exec_lo, exec_lo, s17
	v_lshrrev_b16 v2, 8, v8
	s_mov_b32 s17, exec_lo
	v_cmpx_ne_u16_e32 0, v2
	s_cbranch_execz .LBB283_903
; %bb.896:                              ;   in Loop: Header=BB283_490 Depth=1
	v_bfrev_b32_e32 v55, 1
	s_mov_b32 s18, exec_lo
	v_cmpx_ne_u16_e32 0x80, v2
	s_cbranch_execz .LBB283_902
; %bb.897:                              ;   in Loop: Header=BB283_490 Depth=1
	v_and_b32_sdwa v58, v2, v27 dst_sel:DWORD dst_unused:UNUSED_PAD src0_sel:WORD_0 src1_sel:DWORD
	v_mov_b32_e32 v55, 0x7c010000
	s_mov_b32 s21, exec_lo
	v_cmpx_ne_u32_e32 0x7f, v58
	s_cbranch_execz .LBB283_901
; %bb.898:                              ;   in Loop: Header=BB283_490 Depth=1
	v_and_b32_sdwa v55, v2, v28 dst_sel:DWORD dst_unused:UNUSED_PAD src0_sel:WORD_0 src1_sel:DWORD
	v_lshrrev_b32_e32 v57, 3, v58
	s_mov_b32 s22, exec_lo
	v_cmpx_gt_u32_e32 8, v58
; %bb.899:                              ;   in Loop: Header=BB283_490 Depth=1
	v_ffbh_u32_e32 v55, v55
	v_min_u32_e32 v55, 32, v55
	v_subrev_nc_u32_e32 v57, 28, v55
	v_lshlrev_b64 v[58:59], v57, v[2:3]
	v_sub_nc_u32_e32 v57, 29, v55
	v_and_b32_e32 v55, 7, v58
; %bb.900:                              ;   in Loop: Header=BB283_490 Depth=1
	s_or_b32 exec_lo, exec_lo, s22
	v_lshlrev_b32_sdwa v2, v29, v2 dst_sel:DWORD dst_unused:UNUSED_PAD src0_sel:DWORD src1_sel:WORD_0
	v_lshl_add_u32 v57, v57, 10, 0x2000
	v_lshlrev_b32_e32 v55, 23, v55
	v_and_or_b32 v2, 0x8000, v2, v57
	v_lshl_or_b32 v55, v2, 16, v55
.LBB283_901:                            ;   in Loop: Header=BB283_490 Depth=1
	s_or_b32 exec_lo, exec_lo, s21
.LBB283_902:                            ;   in Loop: Header=BB283_490 Depth=1
	s_or_b32 exec_lo, exec_lo, s18
.LBB283_903:                            ;   in Loop: Header=BB283_490 Depth=1
	s_or_b32 exec_lo, exec_lo, s17
	v_lshrrev_b32_e32 v2, 16, v8
	v_mov_b32_e32 v57, 0
	v_mov_b32_e32 v58, 0
	v_cmp_ne_u16_sdwa s0, v2, v3 src0_sel:BYTE_0 src1_sel:DWORD
	s_and_saveexec_b32 s17, s0
	s_cbranch_execz .LBB283_911
; %bb.904:                              ;   in Loop: Header=BB283_490 Depth=1
	v_cmp_ne_u16_sdwa s0, v2, v16 src0_sel:BYTE_0 src1_sel:DWORD
	v_mov_b32_e32 v58, 0x8000
	s_and_saveexec_b32 s18, s0
	s_cbranch_execz .LBB283_910
; %bb.905:                              ;   in Loop: Header=BB283_490 Depth=1
	v_bfe_u32 v60, v8, 16, 7
	v_mov_b32_e32 v58, 0x7c01
	s_mov_b32 s21, exec_lo
	v_cmpx_ne_u32_e32 0x7f, v60
	s_cbranch_execz .LBB283_909
; %bb.906:                              ;   in Loop: Header=BB283_490 Depth=1
	v_and_b32_e32 v58, 7, v2
	v_lshrrev_b32_e32 v59, 3, v60
	s_mov_b32 s22, exec_lo
	v_cmpx_gt_u32_e32 8, v60
; %bb.907:                              ;   in Loop: Header=BB283_490 Depth=1
	v_ffbh_u32_e32 v58, v58
	v_min_u32_e32 v60, 32, v58
	v_subrev_nc_u32_e32 v58, 28, v60
	v_lshlrev_b64 v[58:59], v58, v[2:3]
	v_sub_nc_u32_e32 v59, 29, v60
	v_and_b32_e32 v58, 7, v58
; %bb.908:                              ;   in Loop: Header=BB283_490 Depth=1
	s_or_b32 exec_lo, exec_lo, s22
	v_lshlrev_b32_e32 v2, 8, v2
	v_lshl_add_u32 v59, v59, 10, 0x2000
	v_lshlrev_b32_e32 v58, 7, v58
	v_and_b32_e32 v2, 0x8000, v2
	v_and_b32_e32 v59, 0xfc00, v59
	v_or3_b32 v58, v2, v59, v58
.LBB283_909:                            ;   in Loop: Header=BB283_490 Depth=1
	s_or_b32 exec_lo, exec_lo, s21
.LBB283_910:                            ;   in Loop: Header=BB283_490 Depth=1
	s_or_b32 exec_lo, exec_lo, s18
.LBB283_911:                            ;   in Loop: Header=BB283_490 Depth=1
	s_or_b32 exec_lo, exec_lo, s17
	s_mov_b32 s17, exec_lo
	v_cmpx_lt_u32_e32 0xffffff, v8
	s_cbranch_execz .LBB283_919
; %bb.912:                              ;   in Loop: Header=BB283_490 Depth=1
	v_lshrrev_b32_e32 v2, 24, v8
	v_bfrev_b32_e32 v57, 1
	s_mov_b32 s18, exec_lo
	v_cmpx_ne_u32_e32 0x80, v2
	s_cbranch_execz .LBB283_918
; %bb.913:                              ;   in Loop: Header=BB283_490 Depth=1
	v_and_b32_e32 v60, 0x7f, v2
	v_mov_b32_e32 v57, 0x7c010000
	s_mov_b32 s21, exec_lo
	v_cmpx_ne_u32_e32 0x7f, v60
	s_cbranch_execz .LBB283_917
; %bb.914:                              ;   in Loop: Header=BB283_490 Depth=1
	v_and_b32_e32 v57, 7, v2
	v_lshrrev_b32_e32 v59, 3, v60
	s_mov_b32 s22, exec_lo
	v_cmpx_gt_u32_e32 8, v60
; %bb.915:                              ;   in Loop: Header=BB283_490 Depth=1
	v_ffbh_u32_e32 v57, v57
	v_min_u32_e32 v57, 32, v57
	v_subrev_nc_u32_e32 v59, 28, v57
	v_lshlrev_b64 v[60:61], v59, v[2:3]
	v_sub_nc_u32_e32 v59, 29, v57
	v_and_b32_e32 v57, 7, v60
; %bb.916:                              ;   in Loop: Header=BB283_490 Depth=1
	s_or_b32 exec_lo, exec_lo, s22
	v_lshlrev_b32_e32 v2, 8, v2
	v_lshl_add_u32 v59, v59, 10, 0x2000
	v_lshlrev_b32_e32 v57, 23, v57
	v_and_or_b32 v2, 0x8000, v2, v59
	v_lshl_or_b32 v57, v2, 16, v57
.LBB283_917:                            ;   in Loop: Header=BB283_490 Depth=1
	s_or_b32 exec_lo, exec_lo, s21
.LBB283_918:                            ;   in Loop: Header=BB283_490 Depth=1
	s_or_b32 exec_lo, exec_lo, s18
.LBB283_919:                            ;   in Loop: Header=BB283_490 Depth=1
	s_or_b32 exec_lo, exec_lo, s17
	v_mov_b32_e32 v2, v9
	v_cmp_ne_u16_sdwa s0, v9, v3 src0_sel:BYTE_0 src1_sel:DWORD
	v_mov_b32_e32 v59, 0
	v_mov_b32_e32 v60, 0
	s_and_saveexec_b32 s17, s0
	s_cbranch_execz .LBB283_927
; %bb.920:                              ;   in Loop: Header=BB283_490 Depth=1
	v_cmp_ne_u16_sdwa s0, v9, v16 src0_sel:BYTE_0 src1_sel:DWORD
	v_mov_b32_e32 v60, 0x8000
	s_and_saveexec_b32 s18, s0
	s_cbranch_execz .LBB283_926
; %bb.921:                              ;   in Loop: Header=BB283_490 Depth=1
	v_and_b32_e32 v62, 0x7f, v9
	v_mov_b32_e32 v60, 0x7c01
	s_mov_b32 s21, exec_lo
	v_cmpx_ne_u32_e32 0x7f, v62
	s_cbranch_execz .LBB283_925
; %bb.922:                              ;   in Loop: Header=BB283_490 Depth=1
	v_and_b32_e32 v60, 7, v9
	v_lshrrev_b32_e32 v61, 3, v62
	s_mov_b32 s22, exec_lo
	v_cmpx_gt_u32_e32 8, v62
; %bb.923:                              ;   in Loop: Header=BB283_490 Depth=1
	v_ffbh_u32_e32 v60, v60
	v_min_u32_e32 v62, 32, v60
	v_subrev_nc_u32_e32 v60, 28, v62
	v_lshlrev_b64 v[60:61], v60, v[2:3]
	v_sub_nc_u32_e32 v61, 29, v62
	v_and_b32_e32 v60, 7, v60
; %bb.924:                              ;   in Loop: Header=BB283_490 Depth=1
	s_or_b32 exec_lo, exec_lo, s22
	v_lshlrev_b32_e32 v62, 8, v9
	v_lshl_add_u32 v61, v61, 10, 0x2000
	v_lshlrev_b32_e32 v60, 7, v60
	v_and_b32_e32 v62, 0x8000, v62
	v_and_b32_e32 v61, 0xfc00, v61
	v_or3_b32 v60, v62, v61, v60
.LBB283_925:                            ;   in Loop: Header=BB283_490 Depth=1
	s_or_b32 exec_lo, exec_lo, s21
.LBB283_926:                            ;   in Loop: Header=BB283_490 Depth=1
	s_or_b32 exec_lo, exec_lo, s18
.LBB283_927:                            ;   in Loop: Header=BB283_490 Depth=1
	s_or_b32 exec_lo, exec_lo, s17
	v_lshrrev_b16 v2, 8, v2
	v_mov_b32_e32 v61, 0
	s_mov_b32 s17, exec_lo
	v_cmpx_ne_u16_e32 0, v2
	s_cbranch_execz .LBB283_935
; %bb.928:                              ;   in Loop: Header=BB283_490 Depth=1
	v_bfrev_b32_e32 v61, 1
	s_mov_b32 s18, exec_lo
	v_cmpx_ne_u16_e32 0x80, v2
	s_cbranch_execz .LBB283_934
; %bb.929:                              ;   in Loop: Header=BB283_490 Depth=1
	v_and_b32_sdwa v63, v2, v27 dst_sel:DWORD dst_unused:UNUSED_PAD src0_sel:WORD_0 src1_sel:DWORD
	v_mov_b32_e32 v61, 0x7c010000
	s_mov_b32 s21, exec_lo
	v_cmpx_ne_u32_e32 0x7f, v63
	s_cbranch_execz .LBB283_933
; %bb.930:                              ;   in Loop: Header=BB283_490 Depth=1
	v_and_b32_sdwa v61, v2, v28 dst_sel:DWORD dst_unused:UNUSED_PAD src0_sel:WORD_0 src1_sel:DWORD
	v_lshrrev_b32_e32 v62, 3, v63
	s_mov_b32 s22, exec_lo
	v_cmpx_gt_u32_e32 8, v63
; %bb.931:                              ;   in Loop: Header=BB283_490 Depth=1
	v_ffbh_u32_e32 v61, v61
	v_min_u32_e32 v63, 32, v61
	v_subrev_nc_u32_e32 v61, 28, v63
	v_lshlrev_b64 v[61:62], v61, v[2:3]
	v_sub_nc_u32_e32 v62, 29, v63
	v_and_b32_e32 v61, 7, v61
; %bb.932:                              ;   in Loop: Header=BB283_490 Depth=1
	s_or_b32 exec_lo, exec_lo, s22
	v_lshlrev_b32_sdwa v2, v29, v2 dst_sel:DWORD dst_unused:UNUSED_PAD src0_sel:DWORD src1_sel:WORD_0
	v_lshl_add_u32 v62, v62, 10, 0x2000
	v_lshlrev_b32_e32 v61, 23, v61
	v_and_or_b32 v2, 0x8000, v2, v62
	v_lshl_or_b32 v61, v2, 16, v61
.LBB283_933:                            ;   in Loop: Header=BB283_490 Depth=1
	s_or_b32 exec_lo, exec_lo, s21
.LBB283_934:                            ;   in Loop: Header=BB283_490 Depth=1
	s_or_b32 exec_lo, exec_lo, s18
.LBB283_935:                            ;   in Loop: Header=BB283_490 Depth=1
	s_or_b32 exec_lo, exec_lo, s17
	v_lshrrev_b32_e32 v2, 16, v9
	v_cmp_ne_u16_sdwa s0, v2, v3 src0_sel:BYTE_0 src1_sel:DWORD
	s_and_saveexec_b32 s17, s0
	s_cbranch_execz .LBB283_943
; %bb.936:                              ;   in Loop: Header=BB283_490 Depth=1
	v_cmp_ne_u16_sdwa s0, v2, v16 src0_sel:BYTE_0 src1_sel:DWORD
	v_mov_b32_e32 v59, 0x8000
	s_and_saveexec_b32 s18, s0
	s_cbranch_execz .LBB283_942
; %bb.937:                              ;   in Loop: Header=BB283_490 Depth=1
	v_bfe_u32 v63, v9, 16, 7
	v_mov_b32_e32 v59, 0x7c01
	s_mov_b32 s21, exec_lo
	v_cmpx_ne_u32_e32 0x7f, v63
	s_cbranch_execz .LBB283_941
; %bb.938:                              ;   in Loop: Header=BB283_490 Depth=1
	v_and_b32_e32 v59, 7, v2
	v_lshrrev_b32_e32 v62, 3, v63
	s_mov_b32 s22, exec_lo
	v_cmpx_gt_u32_e32 8, v63
; %bb.939:                              ;   in Loop: Header=BB283_490 Depth=1
	v_ffbh_u32_e32 v59, v59
	v_min_u32_e32 v59, 32, v59
	v_subrev_nc_u32_e32 v62, 28, v59
	v_lshlrev_b64 v[63:64], v62, v[2:3]
	v_sub_nc_u32_e32 v62, 29, v59
	v_and_b32_e32 v59, 7, v63
; %bb.940:                              ;   in Loop: Header=BB283_490 Depth=1
	s_or_b32 exec_lo, exec_lo, s22
	v_lshlrev_b32_e32 v2, 8, v2
	v_lshl_add_u32 v62, v62, 10, 0x2000
	v_lshlrev_b32_e32 v59, 7, v59
	v_and_b32_e32 v2, 0x8000, v2
	v_and_b32_e32 v62, 0xfc00, v62
	v_or3_b32 v59, v2, v62, v59
.LBB283_941:                            ;   in Loop: Header=BB283_490 Depth=1
	s_or_b32 exec_lo, exec_lo, s21
.LBB283_942:                            ;   in Loop: Header=BB283_490 Depth=1
	s_or_b32 exec_lo, exec_lo, s18
.LBB283_943:                            ;   in Loop: Header=BB283_490 Depth=1
	s_or_b32 exec_lo, exec_lo, s17
	v_cmp_lt_u64_e64 s0, s[4:5], v[8:9]
	v_mov_b32_e32 v8, 0
	s_and_saveexec_b32 s17, s0
	s_cbranch_execz .LBB283_951
; %bb.944:                              ;   in Loop: Header=BB283_490 Depth=1
	v_lshrrev_b32_e32 v2, 24, v9
	v_bfrev_b32_e32 v8, 1
	s_mov_b32 s18, exec_lo
	v_cmpx_ne_u32_e32 0x80, v2
	s_cbranch_execz .LBB283_950
; %bb.945:                              ;   in Loop: Header=BB283_490 Depth=1
	v_and_b32_e32 v62, 0x7f, v2
	v_mov_b32_e32 v8, 0x7c010000
	s_mov_b32 s21, exec_lo
	v_cmpx_ne_u32_e32 0x7f, v62
	s_cbranch_execz .LBB283_949
; %bb.946:                              ;   in Loop: Header=BB283_490 Depth=1
	v_and_b32_e32 v8, 7, v2
	v_lshrrev_b32_e32 v9, 3, v62
	s_mov_b32 s22, exec_lo
	v_cmpx_gt_u32_e32 8, v62
; %bb.947:                              ;   in Loop: Header=BB283_490 Depth=1
	v_ffbh_u32_e32 v8, v8
	v_min_u32_e32 v62, 32, v8
	v_subrev_nc_u32_e32 v8, 28, v62
	v_lshlrev_b64 v[8:9], v8, v[2:3]
	v_sub_nc_u32_e32 v9, 29, v62
	v_and_b32_e32 v8, 7, v8
; %bb.948:                              ;   in Loop: Header=BB283_490 Depth=1
	s_or_b32 exec_lo, exec_lo, s22
	v_lshlrev_b32_e32 v2, 8, v2
	v_lshl_add_u32 v9, v9, 10, 0x2000
	v_lshlrev_b32_e32 v8, 23, v8
	v_and_or_b32 v2, 0x8000, v2, v9
	v_lshl_or_b32 v8, v2, 16, v8
.LBB283_949:                            ;   in Loop: Header=BB283_490 Depth=1
	s_or_b32 exec_lo, exec_lo, s21
.LBB283_950:                            ;   in Loop: Header=BB283_490 Depth=1
	s_or_b32 exec_lo, exec_lo, s18
.LBB283_951:                            ;   in Loop: Header=BB283_490 Depth=1
	s_or_b32 exec_lo, exec_lo, s17
	v_or_b32_e32 v2, v57, v58
	s_waitcnt vmcnt(0)
	v_fma_mixlo_f16 v9, v54, v57, 0 op_sel:[0,1,0] op_sel_hi:[0,1,0]
	v_or_b32_e32 v56, v55, v56
	v_fma_mixlo_f16 v57, v54, v55, 0 op_sel:[0,1,0] op_sel_hi:[0,1,0]
	v_or_b32_e32 v58, v61, v60
	v_fma_mixlo_f16 v2, v54, v2, 0 op_sel_hi:[0,1,0]
	v_or_b32_e32 v59, v8, v59
	v_lshlrev_b32_e32 v55, 16, v9
	v_lshlrev_b32_e32 v60, 16, v57
	v_fma_mixlo_f16 v9, v54, v56, 0 op_sel_hi:[0,1,0]
	v_and_b32_e32 v57, 0xffff, v2
	v_fma_mixlo_f16 v2, v54, v61, 0 op_sel:[0,1,0] op_sel_hi:[0,1,0]
	v_fma_mixlo_f16 v56, v54, v58, 0 op_sel_hi:[0,1,0]
	v_fma_mixlo_f16 v8, v54, v8, 0 op_sel:[0,1,0] op_sel_hi:[0,1,0]
	v_fma_mixlo_f16 v54, v54, v59, 0 op_sel_hi:[0,1,0]
	v_and_b32_e32 v62, 0xffff, v9
	v_lshlrev_b32_e32 v58, 16, v2
	v_and_b32_e32 v61, 0xffff, v56
	v_lshlrev_b32_e32 v56, 16, v8
	v_and_b32_e32 v59, 0xffff, v54
	v_or_b32_e32 v9, v55, v57
	v_or_b32_e32 v54, v60, v62
	;; [unrolled: 1-line block ×4, first 2 shown]
	s_and_saveexec_b32 s0, vcc_lo
	s_cbranch_execz .LBB283_488
; %bb.952:                              ;   in Loop: Header=BB283_490 Depth=1
	v_cmp_gt_i32_e32 vcc_lo, s31, v32
	v_cndmask_b32_e32 v2, 0, v62, vcc_lo
	v_cmp_gt_i32_e32 vcc_lo, s31, v39
	v_cndmask_b32_e32 v8, 0, v60, vcc_lo
	v_cmp_gt_i32_e32 vcc_lo, s31, v38
	v_or_b32_e32 v54, v8, v2
	v_cndmask_b32_e32 v9, 0, v57, vcc_lo
	v_cmp_gt_i32_e32 vcc_lo, s31, v37
	v_cndmask_b32_e32 v32, 0, v55, vcc_lo
	v_cmp_gt_i32_e32 vcc_lo, s31, v36
	v_or_b32_e32 v9, v32, v9
	;; [unrolled: 5-line block ×3, first 2 shown]
	v_cndmask_b32_e32 v34, 0, v59, vcc_lo
	v_cmp_gt_i32_e32 vcc_lo, s31, v33
	v_cndmask_b32_e32 v33, 0, v56, vcc_lo
	v_or_b32_e32 v2, v33, v34
	s_branch .LBB283_488
.LBB283_953:
	s_or_b32 exec_lo, exec_lo, s12
.LBB283_954:
	s_or_b32 exec_lo, exec_lo, s1
	ds_bpermute_b32 v1, v17, v25
	ds_bpermute_b32 v2, v17, v24
	;; [unrolled: 1-line block ×7, first 2 shown]
	v_lshrrev_b32_e32 v8, 1, v18
	v_mul_u32_u24_e32 v10, 0x1c0, v14
	v_and_b32_e32 v14, 0x3c1, v0
	s_mov_b32 s0, exec_lo
	s_waitcnt lgkmcnt(0)
	s_waitcnt_vscnt null, 0x0
	v_lshl_add_u32 v9, v8, 2, 0x100
	s_barrier
	buffer_gl0_inv
	v_add_f32_e32 v7, v25, v1
	v_add_f32_e32 v6, v24, v2
	v_add_f32_e32 v5, v23, v3
	v_add_f32_e32 v4, v22, v4
	v_add_f32_e32 v3, v21, v11
	v_add_f32_e32 v2, v20, v15
	v_add_f32_e32 v1, v19, v16
	v_cmpx_eq_u32_e32 64, v14
	s_cbranch_execz .LBB283_956
; %bb.955:
	v_add_nc_u32_e32 v11, v9, v10
	v_add_nc_u32_e32 v14, 0xfffffc80, v11
	v_add_nc_u32_e32 v15, 0xfffffcc0, v11
	v_add_nc_u32_e32 v16, 0xfffffd00, v11
	v_add_nc_u32_e32 v17, 0xfffffd40, v11
	v_add_nc_u32_e32 v18, 0xfffffd80, v11
	v_add_nc_u32_e32 v19, 0xfffffdc0, v11
	v_add_nc_u32_e32 v11, 0xfffffe00, v11
	ds_write_b32 v14, v7
	ds_write_b32 v15, v6
	;; [unrolled: 1-line block ×7, first 2 shown]
.LBB283_956:
	s_or_b32 exec_lo, exec_lo, s0
	v_lshlrev_b32_e32 v8, 2, v8
	s_mov_b32 s1, exec_lo
	v_cmp_eq_u32_e32 vcc_lo, 0, v13
	s_waitcnt lgkmcnt(0)
	s_barrier
	v_add3_u32 v8, 0x100, v10, v8
	buffer_gl0_inv
	v_cmpx_gt_u32_e32 64, v0
	s_cbranch_execz .LBB283_966
; %bb.957:
	s_and_saveexec_b32 s0, vcc_lo
	s_cbranch_execnz .LBB283_981
; %bb.958:
	s_or_b32 exec_lo, exec_lo, s0
	s_and_saveexec_b32 s0, vcc_lo
	s_cbranch_execnz .LBB283_982
.LBB283_959:
	s_or_b32 exec_lo, exec_lo, s0
	s_and_saveexec_b32 s0, vcc_lo
	s_cbranch_execnz .LBB283_983
.LBB283_960:
	s_or_b32 exec_lo, exec_lo, s0
	s_and_saveexec_b32 s0, vcc_lo
	s_cbranch_execnz .LBB283_984
.LBB283_961:
	s_or_b32 exec_lo, exec_lo, s0
	s_and_saveexec_b32 s0, vcc_lo
	s_cbranch_execnz .LBB283_985
.LBB283_962:
	s_or_b32 exec_lo, exec_lo, s0
	s_and_saveexec_b32 s0, vcc_lo
	s_cbranch_execnz .LBB283_986
.LBB283_963:
	s_or_b32 exec_lo, exec_lo, s0
	s_and_saveexec_b32 s0, vcc_lo
	s_cbranch_execz .LBB283_965
.LBB283_964:
	ds_read_b32 v10, v8 offset:384
	s_waitcnt lgkmcnt(0)
	v_add_f32_e32 v1, v1, v10
.LBB283_965:
	s_or_b32 exec_lo, exec_lo, s0
.LBB283_966:
	s_or_b32 exec_lo, exec_lo, s1
	v_and_b32_e32 v10, 0x3e1, v0
	s_mov_b32 s1, exec_lo
	s_barrier
	buffer_gl0_inv
	v_cmpx_eq_u32_e32 32, v10
	s_cbranch_execz .LBB283_968
; %bb.967:
	ds_write2_b32 v9, v7, v6 offset1:16
	ds_write2_b32 v9, v5, v4 offset0:32 offset1:48
	ds_write2_b32 v9, v3, v2 offset0:64 offset1:80
	ds_write_b32 v9, v1 offset:384
.LBB283_968:
	s_or_b32 exec_lo, exec_lo, s1
	s_mov_b32 s1, exec_lo
	s_waitcnt lgkmcnt(0)
	s_barrier
	buffer_gl0_inv
	v_cmpx_gt_u32_e32 32, v0
	s_cbranch_execz .LBB283_978
; %bb.969:
	s_and_saveexec_b32 s0, vcc_lo
	s_cbranch_execnz .LBB283_987
; %bb.970:
	s_or_b32 exec_lo, exec_lo, s0
	s_and_saveexec_b32 s0, vcc_lo
	s_cbranch_execnz .LBB283_988
.LBB283_971:
	s_or_b32 exec_lo, exec_lo, s0
	s_and_saveexec_b32 s0, vcc_lo
	s_cbranch_execnz .LBB283_989
.LBB283_972:
	s_or_b32 exec_lo, exec_lo, s0
	s_and_saveexec_b32 s0, vcc_lo
	s_cbranch_execnz .LBB283_990
.LBB283_973:
	s_or_b32 exec_lo, exec_lo, s0
	s_and_saveexec_b32 s0, vcc_lo
	s_cbranch_execnz .LBB283_991
.LBB283_974:
	s_or_b32 exec_lo, exec_lo, s0
	s_and_saveexec_b32 s0, vcc_lo
	s_cbranch_execnz .LBB283_992
.LBB283_975:
	s_or_b32 exec_lo, exec_lo, s0
	s_and_saveexec_b32 s0, vcc_lo
	s_cbranch_execz .LBB283_977
.LBB283_976:
	ds_read_b32 v0, v8 offset:384
	s_waitcnt lgkmcnt(0)
	v_add_f32_e32 v1, v1, v0
.LBB283_977:
	s_or_b32 exec_lo, exec_lo, s0
.LBB283_978:
	s_or_b32 exec_lo, exec_lo, s1
	s_barrier
	buffer_gl0_inv
	s_mov_b32 s0, exec_lo
	v_cmpx_eq_u32_e32 0, v10
	s_cbranch_execz .LBB283_980
; %bb.979:
	s_mul_i32 s0, s2, 0x70
	s_mul_i32 s2, s7, s10
	s_ashr_i32 s1, s0, 31
	v_lshlrev_b32_e32 v0, 1, v12
	s_lshl_b64 s[0:1], s[0:1], 1
	;;#ASMSTART
	v_cvt_f16_f32 v7, v7;

	;;#ASMEND
	s_add_u32 s4, s28, s0
	s_addc_u32 s5, s29, s1
	s_ashr_i32 s3, s2, 31
	s_lshl_b64 s[0:1], s[2:3], 1
	s_mul_i32 s2, s8, 0x70
	s_add_u32 s4, s4, s0
	s_addc_u32 s5, s5, s1
	s_ashr_i32 s3, s2, 31
	s_lshl_b64 s[0:1], s[2:3], 1
	s_add_u32 s0, s4, s0
	s_addc_u32 s1, s5, s1
	global_store_short v0, v7, s[0:1]
	;;#ASMSTART
	v_cvt_f16_f32 v6, v6;

	;;#ASMEND
	global_store_short v0, v6, s[0:1] offset:32
	;;#ASMSTART
	v_cvt_f16_f32 v5, v5;

	;;#ASMEND
	global_store_short v0, v5, s[0:1] offset:64
	;; [unrolled: 5-line block ×6, first 2 shown]
.LBB283_980:
	s_endpgm
.LBB283_981:
	ds_read_b32 v10, v8
	s_waitcnt lgkmcnt(0)
	v_add_f32_e32 v7, v7, v10
	s_or_b32 exec_lo, exec_lo, s0
	s_and_saveexec_b32 s0, vcc_lo
	s_cbranch_execz .LBB283_959
.LBB283_982:
	ds_read_b32 v10, v8 offset:64
	s_waitcnt lgkmcnt(0)
	v_add_f32_e32 v6, v6, v10
	s_or_b32 exec_lo, exec_lo, s0
	s_and_saveexec_b32 s0, vcc_lo
	s_cbranch_execz .LBB283_960
.LBB283_983:
	ds_read_b32 v10, v8 offset:128
	s_waitcnt lgkmcnt(0)
	v_add_f32_e32 v5, v5, v10
	s_or_b32 exec_lo, exec_lo, s0
	s_and_saveexec_b32 s0, vcc_lo
	s_cbranch_execz .LBB283_961
.LBB283_984:
	ds_read_b32 v10, v8 offset:192
	s_waitcnt lgkmcnt(0)
	v_add_f32_e32 v4, v4, v10
	s_or_b32 exec_lo, exec_lo, s0
	s_and_saveexec_b32 s0, vcc_lo
	s_cbranch_execz .LBB283_962
.LBB283_985:
	ds_read_b32 v10, v8 offset:256
	s_waitcnt lgkmcnt(0)
	v_add_f32_e32 v3, v3, v10
	s_or_b32 exec_lo, exec_lo, s0
	s_and_saveexec_b32 s0, vcc_lo
	s_cbranch_execz .LBB283_963
.LBB283_986:
	ds_read_b32 v10, v8 offset:320
	s_waitcnt lgkmcnt(0)
	v_add_f32_e32 v2, v2, v10
	s_or_b32 exec_lo, exec_lo, s0
	s_and_saveexec_b32 s0, vcc_lo
	s_cbranch_execnz .LBB283_964
	s_branch .LBB283_965
.LBB283_987:
	ds_read_b32 v0, v8
	s_waitcnt lgkmcnt(0)
	v_add_f32_e32 v7, v7, v0
	s_or_b32 exec_lo, exec_lo, s0
	s_and_saveexec_b32 s0, vcc_lo
	s_cbranch_execz .LBB283_971
.LBB283_988:
	ds_read_b32 v0, v8 offset:64
	s_waitcnt lgkmcnt(0)
	v_add_f32_e32 v6, v6, v0
	s_or_b32 exec_lo, exec_lo, s0
	s_and_saveexec_b32 s0, vcc_lo
	s_cbranch_execz .LBB283_972
.LBB283_989:
	ds_read_b32 v0, v8 offset:128
	s_waitcnt lgkmcnt(0)
	v_add_f32_e32 v5, v5, v0
	s_or_b32 exec_lo, exec_lo, s0
	s_and_saveexec_b32 s0, vcc_lo
	s_cbranch_execz .LBB283_973
.LBB283_990:
	ds_read_b32 v0, v8 offset:192
	s_waitcnt lgkmcnt(0)
	v_add_f32_e32 v4, v4, v0
	s_or_b32 exec_lo, exec_lo, s0
	s_and_saveexec_b32 s0, vcc_lo
	s_cbranch_execz .LBB283_974
.LBB283_991:
	ds_read_b32 v0, v8 offset:256
	s_waitcnt lgkmcnt(0)
	v_add_f32_e32 v3, v3, v0
	s_or_b32 exec_lo, exec_lo, s0
	s_and_saveexec_b32 s0, vcc_lo
	s_cbranch_execz .LBB283_975
.LBB283_992:
	ds_read_b32 v0, v8 offset:320
	s_waitcnt lgkmcnt(0)
	v_add_f32_e32 v2, v2, v0
	s_or_b32 exec_lo, exec_lo, s0
	s_and_saveexec_b32 s0, vcc_lo
	s_cbranch_execnz .LBB283_976
	s_branch .LBB283_977
	.section	.rodata,"a",@progbits
	.p2align	6, 0x0
	.amdhsa_kernel _ZN4vllm25paged_attention_v2_kernelIthLi112ELi16ELi128ELNS_18Fp8KVCacheDataTypeE1ELb1ELi512EEEvPfS2_PT_PKS3_PKT0_S9_ifPKiSB_iPKfiiiSD_SD_iiiii
		.amdhsa_group_segment_fixed_size 256
		.amdhsa_private_segment_fixed_size 0
		.amdhsa_kernarg_size 400
		.amdhsa_user_sgpr_count 6
		.amdhsa_user_sgpr_private_segment_buffer 1
		.amdhsa_user_sgpr_dispatch_ptr 0
		.amdhsa_user_sgpr_queue_ptr 0
		.amdhsa_user_sgpr_kernarg_segment_ptr 1
		.amdhsa_user_sgpr_dispatch_id 0
		.amdhsa_user_sgpr_flat_scratch_init 0
		.amdhsa_user_sgpr_private_segment_size 0
		.amdhsa_wavefront_size32 1
		.amdhsa_uses_dynamic_stack 0
		.amdhsa_system_sgpr_private_segment_wavefront_offset 0
		.amdhsa_system_sgpr_workgroup_id_x 1
		.amdhsa_system_sgpr_workgroup_id_y 1
		.amdhsa_system_sgpr_workgroup_id_z 1
		.amdhsa_system_sgpr_workgroup_info 0
		.amdhsa_system_vgpr_workitem_id 0
		.amdhsa_next_free_vgpr 128
		.amdhsa_next_free_sgpr 52
		.amdhsa_reserve_vcc 1
		.amdhsa_reserve_flat_scratch 0
		.amdhsa_float_round_mode_32 0
		.amdhsa_float_round_mode_16_64 0
		.amdhsa_float_denorm_mode_32 3
		.amdhsa_float_denorm_mode_16_64 3
		.amdhsa_dx10_clamp 1
		.amdhsa_ieee_mode 1
		.amdhsa_fp16_overflow 0
		.amdhsa_workgroup_processor_mode 1
		.amdhsa_memory_ordered 1
		.amdhsa_forward_progress 1
		.amdhsa_shared_vgpr_count 0
		.amdhsa_exception_fp_ieee_invalid_op 0
		.amdhsa_exception_fp_denorm_src 0
		.amdhsa_exception_fp_ieee_div_zero 0
		.amdhsa_exception_fp_ieee_overflow 0
		.amdhsa_exception_fp_ieee_underflow 0
		.amdhsa_exception_fp_ieee_inexact 0
		.amdhsa_exception_int_div_zero 0
	.end_amdhsa_kernel
	.section	.text._ZN4vllm25paged_attention_v2_kernelIthLi112ELi16ELi128ELNS_18Fp8KVCacheDataTypeE1ELb1ELi512EEEvPfS2_PT_PKS3_PKT0_S9_ifPKiSB_iPKfiiiSD_SD_iiiii,"axG",@progbits,_ZN4vllm25paged_attention_v2_kernelIthLi112ELi16ELi128ELNS_18Fp8KVCacheDataTypeE1ELb1ELi512EEEvPfS2_PT_PKS3_PKT0_S9_ifPKiSB_iPKfiiiSD_SD_iiiii,comdat
.Lfunc_end283:
	.size	_ZN4vllm25paged_attention_v2_kernelIthLi112ELi16ELi128ELNS_18Fp8KVCacheDataTypeE1ELb1ELi512EEEvPfS2_PT_PKS3_PKT0_S9_ifPKiSB_iPKfiiiSD_SD_iiiii, .Lfunc_end283-_ZN4vllm25paged_attention_v2_kernelIthLi112ELi16ELi128ELNS_18Fp8KVCacheDataTypeE1ELb1ELi512EEEvPfS2_PT_PKS3_PKT0_S9_ifPKiSB_iPKfiiiSD_SD_iiiii
                                        ; -- End function
	.set _ZN4vllm25paged_attention_v2_kernelIthLi112ELi16ELi128ELNS_18Fp8KVCacheDataTypeE1ELb1ELi512EEEvPfS2_PT_PKS3_PKT0_S9_ifPKiSB_iPKfiiiSD_SD_iiiii.num_vgpr, 128
	.set _ZN4vllm25paged_attention_v2_kernelIthLi112ELi16ELi128ELNS_18Fp8KVCacheDataTypeE1ELb1ELi512EEEvPfS2_PT_PKS3_PKT0_S9_ifPKiSB_iPKfiiiSD_SD_iiiii.num_agpr, 0
	.set _ZN4vllm25paged_attention_v2_kernelIthLi112ELi16ELi128ELNS_18Fp8KVCacheDataTypeE1ELb1ELi512EEEvPfS2_PT_PKS3_PKT0_S9_ifPKiSB_iPKfiiiSD_SD_iiiii.numbered_sgpr, 52
	.set _ZN4vllm25paged_attention_v2_kernelIthLi112ELi16ELi128ELNS_18Fp8KVCacheDataTypeE1ELb1ELi512EEEvPfS2_PT_PKS3_PKT0_S9_ifPKiSB_iPKfiiiSD_SD_iiiii.num_named_barrier, 0
	.set _ZN4vllm25paged_attention_v2_kernelIthLi112ELi16ELi128ELNS_18Fp8KVCacheDataTypeE1ELb1ELi512EEEvPfS2_PT_PKS3_PKT0_S9_ifPKiSB_iPKfiiiSD_SD_iiiii.private_seg_size, 0
	.set _ZN4vllm25paged_attention_v2_kernelIthLi112ELi16ELi128ELNS_18Fp8KVCacheDataTypeE1ELb1ELi512EEEvPfS2_PT_PKS3_PKT0_S9_ifPKiSB_iPKfiiiSD_SD_iiiii.uses_vcc, 1
	.set _ZN4vllm25paged_attention_v2_kernelIthLi112ELi16ELi128ELNS_18Fp8KVCacheDataTypeE1ELb1ELi512EEEvPfS2_PT_PKS3_PKT0_S9_ifPKiSB_iPKfiiiSD_SD_iiiii.uses_flat_scratch, 0
	.set _ZN4vllm25paged_attention_v2_kernelIthLi112ELi16ELi128ELNS_18Fp8KVCacheDataTypeE1ELb1ELi512EEEvPfS2_PT_PKS3_PKT0_S9_ifPKiSB_iPKfiiiSD_SD_iiiii.has_dyn_sized_stack, 0
	.set _ZN4vllm25paged_attention_v2_kernelIthLi112ELi16ELi128ELNS_18Fp8KVCacheDataTypeE1ELb1ELi512EEEvPfS2_PT_PKS3_PKT0_S9_ifPKiSB_iPKfiiiSD_SD_iiiii.has_recursion, 0
	.set _ZN4vllm25paged_attention_v2_kernelIthLi112ELi16ELi128ELNS_18Fp8KVCacheDataTypeE1ELb1ELi512EEEvPfS2_PT_PKS3_PKT0_S9_ifPKiSB_iPKfiiiSD_SD_iiiii.has_indirect_call, 0
	.section	.AMDGPU.csdata,"",@progbits
; Kernel info:
; codeLenInByte = 32700
; TotalNumSgprs: 54
; NumVgprs: 128
; ScratchSize: 0
; MemoryBound: 0
; FloatMode: 240
; IeeeMode: 1
; LDSByteSize: 256 bytes/workgroup (compile time only)
; SGPRBlocks: 0
; VGPRBlocks: 15
; NumSGPRsForWavesPerEU: 54
; NumVGPRsForWavesPerEU: 128
; Occupancy: 8
; WaveLimiterHint : 1
; COMPUTE_PGM_RSRC2:SCRATCH_EN: 0
; COMPUTE_PGM_RSRC2:USER_SGPR: 6
; COMPUTE_PGM_RSRC2:TRAP_HANDLER: 0
; COMPUTE_PGM_RSRC2:TGID_X_EN: 1
; COMPUTE_PGM_RSRC2:TGID_Y_EN: 1
; COMPUTE_PGM_RSRC2:TGID_Z_EN: 1
; COMPUTE_PGM_RSRC2:TIDIG_COMP_CNT: 0
	.section	.text._ZN4vllm25paged_attention_v2_kernelIthLi120ELi16ELi128ELNS_18Fp8KVCacheDataTypeE1ELb1ELi512EEEvPfS2_PT_PKS3_PKT0_S9_ifPKiSB_iPKfiiiSD_SD_iiiii,"axG",@progbits,_ZN4vllm25paged_attention_v2_kernelIthLi120ELi16ELi128ELNS_18Fp8KVCacheDataTypeE1ELb1ELi512EEEvPfS2_PT_PKS3_PKT0_S9_ifPKiSB_iPKfiiiSD_SD_iiiii,comdat
	.protected	_ZN4vllm25paged_attention_v2_kernelIthLi120ELi16ELi128ELNS_18Fp8KVCacheDataTypeE1ELb1ELi512EEEvPfS2_PT_PKS3_PKT0_S9_ifPKiSB_iPKfiiiSD_SD_iiiii ; -- Begin function _ZN4vllm25paged_attention_v2_kernelIthLi120ELi16ELi128ELNS_18Fp8KVCacheDataTypeE1ELb1ELi512EEEvPfS2_PT_PKS3_PKT0_S9_ifPKiSB_iPKfiiiSD_SD_iiiii
	.globl	_ZN4vllm25paged_attention_v2_kernelIthLi120ELi16ELi128ELNS_18Fp8KVCacheDataTypeE1ELb1ELi512EEEvPfS2_PT_PKS3_PKT0_S9_ifPKiSB_iPKfiiiSD_SD_iiiii
	.p2align	8
	.type	_ZN4vllm25paged_attention_v2_kernelIthLi120ELi16ELi128ELNS_18Fp8KVCacheDataTypeE1ELb1ELi512EEEvPfS2_PT_PKS3_PKT0_S9_ifPKiSB_iPKfiiiSD_SD_iiiii,@function
_ZN4vllm25paged_attention_v2_kernelIthLi120ELi16ELi128ELNS_18Fp8KVCacheDataTypeE1ELb1ELi512EEEvPfS2_PT_PKS3_PKT0_S9_ifPKiSB_iPKfiiiSD_SD_iiiii: ; @_ZN4vllm25paged_attention_v2_kernelIthLi120ELi16ELi128ELNS_18Fp8KVCacheDataTypeE1ELb1ELi512EEEvPfS2_PT_PKS3_PKT0_S9_ifPKiSB_iPKfiiiSD_SD_iiiii
; %bb.0:
	s_mov_b64 s[54:55], s[2:3]
	s_mov_b64 s[52:53], s[0:1]
	s_load_dwordx2 s[0:1], s[4:5], 0x40
	s_add_u32 s52, s52, s9
	s_addc_u32 s53, s53, 0
	s_mov_b32 s30, s7
	s_ashr_i32 s31, s7, 31
	s_lshl_b64 s[2:3], s[30:31], 2
	s_waitcnt lgkmcnt(0)
	s_add_u32 s0, s0, s2
	s_addc_u32 s1, s1, s3
	s_lshl_b32 s42, s8, 9
	s_load_dword s31, s[0:1], 0x0
	s_waitcnt lgkmcnt(0)
	s_cmp_ge_i32 s42, s31
	s_cbranch_scc1 .LBB284_1107
; %bb.1:
	s_clause 0x1
	s_load_dword s9, s[4:5], 0x90
	s_load_dwordx2 s[40:41], s[4:5], 0x30
	s_mov_b32 s43, 0
	s_waitcnt lgkmcnt(0)
	s_abs_i32 s3, s9
	s_abs_i32 s0, s40
	v_cvt_f32_u32_e32 v1, s0
	s_sub_i32 s2, 0, s0
	v_rcp_iflag_f32_e32 v1, v1
	v_mul_f32_e32 v1, 0x4f7ffffe, v1
	v_cvt_u32_f32_e32 v1, v1
	v_readfirstlane_b32 s1, v1
	s_mul_i32 s2, s2, s1
	s_mul_hi_u32 s2, s1, s2
	s_add_i32 s1, s1, s2
	s_xor_b32 s2, s9, s40
	s_mul_hi_u32 s1, s3, s1
	s_ashr_i32 s2, s2, 31
	s_mul_i32 s7, s1, s0
	s_sub_i32 s3, s3, s7
	s_add_i32 s7, s1, 1
	s_sub_i32 s10, s3, s0
	s_cmp_ge_u32 s3, s0
	s_cselect_b32 s1, s7, s1
	s_cselect_b32 s3, s10, s3
	s_add_i32 s7, s1, 1
	s_cmp_ge_u32 s3, s0
	s_cselect_b32 s0, s7, s1
	s_xor_b32 s0, s0, s2
	s_sub_i32 s10, s0, s2
	s_load_dwordx2 s[0:1], s[4:5], 0x50
	s_abs_i32 s2, s10
	v_cvt_f32_u32_e32 v1, s2
	s_sub_i32 s3, 0, s2
	v_rcp_iflag_f32_e32 v1, v1
	v_mul_f32_e32 v1, 0x4f7ffffe, v1
	v_cvt_u32_f32_e32 v1, v1
	v_readfirstlane_b32 s7, v1
	s_mul_i32 s3, s3, s7
	s_mul_hi_u32 s11, s7, s3
	s_abs_i32 s3, s6
	s_add_i32 s7, s7, s11
	s_waitcnt lgkmcnt(0)
	s_cmp_eq_u64 s[0:1], 0
	s_mul_hi_u32 s12, s3, s7
	s_cbranch_scc1 .LBB284_3
; %bb.2:
	s_ashr_i32 s7, s6, 31
	s_lshl_b64 s[14:15], s[6:7], 2
	s_add_u32 s0, s0, s14
	s_addc_u32 s1, s1, s15
	s_load_dword s43, s[0:1], 0x0
.LBB284_3:
	s_load_dwordx4 s[16:19], s[4:5], 0x58
	v_lshrrev_b32_e32 v12, 1, v0
	v_and_b32_e32 v27, 1, v0
	v_lshlrev_b32_e32 v4, 3, v0
	s_ashr_i32 s0, s6, 31
	s_ashr_i32 s1, s10, 31
	s_mul_i32 s10, s6, 0x78
	s_mov_b32 s7, exec_lo
	v_cmpx_gt_u32_e32 30, v0
	s_cbranch_execz .LBB284_5
; %bb.4:
	s_load_dwordx2 s[14:15], s[4:5], 0x18
	s_waitcnt lgkmcnt(0)
	s_mul_i32 s20, s16, s30
	v_lshlrev_b32_e32 v3, 3, v12
	s_ashr_i32 s21, s20, 31
	s_lshl_b64 s[20:21], s[20:21], 1
	v_mad_u32_u24 v3, 0x78, v27, v3
	s_add_u32 s13, s14, s20
	s_addc_u32 s16, s15, s21
	s_ashr_i32 s11, s10, 31
	s_lshl_b64 s[14:15], s[10:11], 1
	s_add_u32 s14, s13, s14
	s_addc_u32 s15, s16, s15
	global_load_dwordx2 v[1:2], v4, s[14:15]
	s_waitcnt vmcnt(0)
	ds_write_b64 v3, v[1:2]
.LBB284_5:
	s_or_b32 exec_lo, exec_lo, s7
	s_load_dwordx4 s[20:23], s[4:5], 0x78
	s_mul_i32 s7, s12, s2
	s_xor_b32 s0, s0, s1
	s_sub_i32 s1, s3, s7
	s_add_i32 s3, s12, 1
	s_sub_i32 s7, s1, s2
	s_cmp_ge_u32 s1, s2
	s_mov_b32 s11, -1
	s_cselect_b32 s3, s3, s12
	s_cselect_b32 s1, s7, s1
	s_add_i32 s7, s3, 1
	s_cmp_ge_u32 s1, s2
                                        ; implicit-def: $sgpr33
	s_cselect_b32 s1, s7, s3
	s_load_dword s3, s[4:5], 0x88
	s_xor_b32 s1, s1, s0
	s_add_i32 s7, s31, -1
	s_sub_i32 s1, s1, s0
	s_abs_i32 s2, s7
	s_waitcnt lgkmcnt(0)
	s_abs_i32 s16, s23
	s_barrier
	v_cvt_f32_u32_e32 v1, s16
	s_sub_i32 s0, 0, s16
	buffer_gl0_inv
	v_rcp_iflag_f32_e32 v1, v1
	v_mul_f32_e32 v1, 0x4f7ffffe, v1
	v_cvt_u32_f32_e32 v1, v1
	v_readfirstlane_b32 s19, v1
	s_mul_i32 s0, s0, s19
	s_mul_hi_u32 s0, s19, s0
	s_add_i32 s19, s19, s0
	s_cmp_lt_i32 s3, 0
	s_mul_hi_u32 s0, s2, s19
	s_cbranch_scc0 .LBB284_7
; %bb.6:
	s_mul_i32 s11, s20, s40
	s_add_i32 s11, s1, s11
	s_mul_i32 s11, s11, s3
	s_sub_i32 s33, 1, s11
	s_mov_b32 s11, 0
.LBB284_7:
	s_load_dwordx2 s[34:35], s[4:5], 0x38
	s_ashr_i32 s7, s7, 31
	s_andn2_b32 vcc_lo, exec_lo, s11
	s_ashr_i32 s23, s23, 31
	s_cbranch_vccnz .LBB284_9
; %bb.8:
	s_mul_i32 s11, s9, s20
	s_add_i32 s11, s11, s6
	s_mul_i32 s3, s11, s3
	s_add_i32 s33, s3, 1
.LBB284_9:
	buffer_store_dword v4, off, s[52:55], 0 ; 4-byte Folded Spill
	s_clause 0x5
	s_load_dword s3, s[4:5], 0x48
	s_load_dwordx2 s[38:39], s[4:5], 0x28
	s_load_dwordx4 s[24:27], s[4:5], 0x0
	s_load_dwordx2 s[28:29], s[4:5], 0x10
	s_load_dword s11, s[4:5], 0x98
	s_load_dwordx4 s[12:15], s[4:5], 0x68
	s_xor_b32 s40, s7, s23
	s_mul_i32 s7, s0, s16
	s_add_i32 s20, s0, 1
	s_sub_i32 s2, s2, s7
	v_lshrrev_b32_e32 v61, 5, v0
	v_mov_b32_e32 v18, 0xff7fffff
	v_mbcnt_lo_u32_b32 v16, -1, 0
	s_mul_i32 s18, s1, s18
	s_mov_b32 s45, exec_lo
	v_lshl_add_u32 v15, v61, 4, s42
	s_waitcnt lgkmcnt(0)
	s_mul_i32 s36, s3, s30
	s_sub_i32 s3, s2, s16
	s_ashr_i32 s37, s36, 31
	s_cmp_ge_u32 s2, s16
	s_cselect_b32 s0, s20, s0
	s_cselect_b32 s2, s3, s2
	s_add_i32 s3, s0, 1
	s_cmp_ge_u32 s2, s16
	s_cselect_b32 s0, s3, s0
	s_add_i32 s2, s31, 15
	s_lshl_b32 s44, s8, 5
	s_ashr_i32 s3, s2, 31
	v_or_b32_e32 v1, s44, v61
	s_lshr_b32 s3, s3, 28
	s_add_i32 s2, s2, s3
	s_add_i32 s3, s44, 32
	s_ashr_i32 s7, s2, 4
	s_xor_b32 s2, s0, s40
	s_min_i32 s20, s3, s7
	v_ashrrev_i32_e32 v2, 31, v1
	v_cmp_le_i32_e64 s0, s20, v1
	s_sub_i32 s40, s2, s40
	v_cmpx_gt_i32_e64 s20, v1
	s_cbranch_execz .LBB284_501
; %bb.10:
	s_load_dwordx2 s[2:3], s[4:5], 0x20
	s_sub_i32 s4, s40, s21
	s_ashr_i32 s1, s18, 31
	v_bfe_u32 v19, v0, 1, 4
	v_lshlrev_b64 v[5:6], 2, v[1:2]
	v_cmp_eq_u32_e32 vcc_lo, 0, v27
	v_lshlrev_b32_e32 v7, 2, v27
	v_mul_u32_u24_e32 v20, 0x78, v27
	v_lshlrev_b32_e32 v8, 2, v19
	v_subrev_nc_u32_e32 v9, s31, v19
	v_lshlrev_b32_e32 v10, 4, v19
	v_mov_b32_e32 v4, 0
	v_lshl_add_u32 v21, v61, 4, s42
	v_lshl_or_b32 v8, v61, 6, v8
	v_add_nc_u32_e32 v27, 1, v9
	v_mov_b32_e32 v22, 0xff7fffff
	v_mov_b32_e32 v23, 0x80
	v_mov_b32_e32 v24, 0x7f
	v_add_nc_u32_e32 v28, 0x110, v8
	v_mov_b32_e32 v25, 7
	s_waitcnt lgkmcnt(0)
	s_add_u32 s46, s2, s18
	s_addc_u32 s47, s3, s1
	s_abs_i32 s5, s22
	v_add_co_u32 v9, s46, s46, v10
	v_cvt_f32_u32_e32 v3, s5
	s_sub_i32 s2, 0, s5
	v_add_co_ci_u32_e64 v10, null, s47, 0, s46
	v_cmp_neq_f32_e64 s1, s43, 0
	v_rcp_iflag_f32_e32 v3, v3
	v_mov_b32_e32 v26, 8
	v_mov_b32_e32 v18, 0xff7fffff
	;; [unrolled: 1-line block ×3, first 2 shown]
	s_mov_b32 s46, 0
	s_mov_b32 s47, s17
	v_mul_f32_e32 v3, 0x4f7ffffe, v3
	v_cvt_u32_f32_e32 v3, v3
	v_mul_lo_u32 v8, s2, v3
	s_lshl_b64 s[2:3], s[36:37], 2
	s_add_u32 s2, s34, s2
	s_addc_u32 s3, s35, s3
	v_add_co_u32 v5, s2, s2, v5
	v_add_co_ci_u32_e64 v6, null, s3, v6, s2
	v_mul_hi_u32 v11, v3, v8
	v_add_co_u32 v7, s2, v9, v7
	v_add_co_ci_u32_e64 v8, null, 0, v10, s2
	v_add_nc_u32_e32 v29, v3, v11
	s_branch .LBB284_13
.LBB284_11:                             ;   in Loop: Header=BB284_13 Depth=1
	s_or_b32 exec_lo, exec_lo, s48
.LBB284_12:                             ;   in Loop: Header=BB284_13 Depth=1
	s_or_b32 exec_lo, exec_lo, s3
	v_add_nc_u32_e32 v30, 4, v30
	v_add_co_u32 v5, s3, v5, 16
	v_add_co_ci_u32_e64 v6, null, 0, v6, s3
	v_cmp_le_i32_e64 s2, s20, v30
	v_add_nc_u32_e32 v21, 64, v21
	v_add_nc_u32_e32 v28, 0x100, v28
	s_or_b32 s46, s2, s46
	s_andn2_b32 exec_lo, exec_lo, s46
	s_cbranch_execz .LBB284_500
.LBB284_13:                             ; =>This Inner Loop Header: Depth=1
	v_sub_nc_u32_e32 v3, 0, v21
	v_max_i32_e32 v3, v21, v3
	s_waitcnt lgkmcnt(0)
	v_mul_hi_u32 v9, v3, s19
	v_mul_lo_u32 v10, v9, s16
	v_sub_nc_u32_e32 v3, v3, v10
	v_add_nc_u32_e32 v10, 1, v9
	v_subrev_nc_u32_e32 v11, s16, v3
	v_cmp_le_u32_e64 s2, s16, v3
	v_cndmask_b32_e64 v9, v9, v10, s2
	v_cndmask_b32_e64 v3, v3, v11, s2
	v_ashrrev_i32_e32 v10, 31, v21
	v_add_nc_u32_e32 v11, 1, v9
	v_cmp_le_u32_e64 s2, s16, v3
	v_xor_b32_e32 v10, s23, v10
	v_cndmask_b32_e64 v3, v9, v11, s2
	v_xor_b32_e32 v3, v3, v10
	v_sub_nc_u32_e32 v3, v3, v10
	v_add_nc_u32_e32 v9, s33, v3
	v_cmp_ge_i32_e64 s3, s4, v3
	v_sub_nc_u32_e32 v10, 0, v9
	v_max_i32_e32 v10, v9, v10
	v_ashrrev_i32_e32 v9, 31, v9
	v_mul_hi_u32 v11, v10, v29
	v_mul_lo_u32 v11, v11, s5
	v_sub_nc_u32_e32 v10, v10, v11
	v_subrev_nc_u32_e32 v11, s5, v10
	v_cmp_le_u32_e64 s2, s5, v10
	v_cndmask_b32_e64 v10, v10, v11, s2
	v_subrev_nc_u32_e32 v11, s5, v10
	v_cmp_le_u32_e64 s2, s5, v10
	v_cndmask_b32_e64 v10, v10, v11, s2
	v_xor_b32_e32 v10, v10, v9
	v_sub_nc_u32_e32 v9, v10, v9
	v_cmp_ne_u32_e64 s2, 0, v9
	s_and_b32 s2, s2, s3
	s_and_saveexec_b32 s3, s2
	s_xor_b32 s2, exec_lo, s3
	s_cbranch_execz .LBB284_17
; %bb.14:                               ;   in Loop: Header=BB284_13 Depth=1
	s_and_saveexec_b32 s3, vcc_lo
; %bb.15:                               ;   in Loop: Header=BB284_13 Depth=1
	ds_write_b32 v28, v22
; %bb.16:                               ;   in Loop: Header=BB284_13 Depth=1
	s_or_b32 exec_lo, exec_lo, s3
.LBB284_17:                             ;   in Loop: Header=BB284_13 Depth=1
	s_andn2_saveexec_b32 s3, s2
	s_cbranch_execz .LBB284_12
; %bb.18:                               ;   in Loop: Header=BB284_13 Depth=1
	global_load_dword v3, v[5:6], off
	v_mov_b32_e32 v32, 0
	v_mov_b32_e32 v33, 0
	global_load_dword v31, v32, s[12:13]
	s_waitcnt vmcnt(1)
	v_mad_i64_i32 v[9:10], null, v3, s47, v[7:8]
	global_load_dword v11, v[9:10], off
	s_waitcnt vmcnt(0)
	v_cmp_ne_u16_sdwa s2, v11, v4 src0_sel:BYTE_0 src1_sel:DWORD
	s_and_saveexec_b32 s48, s2
	s_cbranch_execz .LBB284_26
; %bb.19:                               ;   in Loop: Header=BB284_13 Depth=1
	v_cmp_ne_u16_sdwa s2, v11, v23 src0_sel:BYTE_0 src1_sel:DWORD
	v_mov_b32_e32 v33, 0x8000
	s_and_saveexec_b32 s49, s2
	s_cbranch_execz .LBB284_25
; %bb.20:                               ;   in Loop: Header=BB284_13 Depth=1
	v_and_b32_e32 v34, 0x7f, v11
	v_mov_b32_e32 v33, 0x7c01
	s_mov_b32 s50, exec_lo
	v_cmpx_ne_u32_e32 0x7f, v34
	s_cbranch_execz .LBB284_24
; %bb.21:                               ;   in Loop: Header=BB284_13 Depth=1
	v_and_b32_e32 v3, 7, v11
	v_lshrrev_b32_e32 v33, 3, v34
	s_mov_b32 s51, exec_lo
	v_cmpx_gt_u32_e32 8, v34
; %bb.22:                               ;   in Loop: Header=BB284_13 Depth=1
	v_ffbh_u32_e32 v3, v3
	v_min_u32_e32 v3, 32, v3
	v_subrev_nc_u32_e32 v13, 28, v3
	v_sub_nc_u32_e32 v33, 29, v3
	v_lshlrev_b64 v[34:35], v13, v[11:12]
	v_and_b32_e32 v3, 7, v34
; %bb.23:                               ;   in Loop: Header=BB284_13 Depth=1
	s_or_b32 exec_lo, exec_lo, s51
	v_lshlrev_b32_e32 v13, 8, v11
	v_lshl_add_u32 v14, v33, 10, 0x2000
	v_lshlrev_b32_e32 v3, 7, v3
	v_and_b32_e32 v13, 0x8000, v13
	v_and_b32_e32 v14, 0xfc00, v14
	v_or3_b32 v33, v13, v14, v3
.LBB284_24:                             ;   in Loop: Header=BB284_13 Depth=1
	s_or_b32 exec_lo, exec_lo, s50
.LBB284_25:                             ;   in Loop: Header=BB284_13 Depth=1
	s_or_b32 exec_lo, exec_lo, s49
.LBB284_26:                             ;   in Loop: Header=BB284_13 Depth=1
	s_or_b32 exec_lo, exec_lo, s48
	v_lshrrev_b16 v3, 8, v11
	s_mov_b32 s48, exec_lo
	v_cmpx_ne_u16_e32 0, v3
	s_cbranch_execz .LBB284_34
; %bb.27:                               ;   in Loop: Header=BB284_13 Depth=1
	v_bfrev_b32_e32 v32, 1
	s_mov_b32 s49, exec_lo
	v_cmpx_ne_u16_e32 0x80, v3
	s_cbranch_execz .LBB284_33
; %bb.28:                               ;   in Loop: Header=BB284_13 Depth=1
	v_and_b32_sdwa v35, v3, v24 dst_sel:DWORD dst_unused:UNUSED_PAD src0_sel:WORD_0 src1_sel:DWORD
	v_mov_b32_e32 v32, 0x7c010000
	s_mov_b32 s50, exec_lo
	v_cmpx_ne_u32_e32 0x7f, v35
	s_cbranch_execz .LBB284_32
; %bb.29:                               ;   in Loop: Header=BB284_13 Depth=1
	v_and_b32_sdwa v32, v3, v25 dst_sel:DWORD dst_unused:UNUSED_PAD src0_sel:WORD_0 src1_sel:DWORD
	v_lshrrev_b32_e32 v34, 3, v35
	s_mov_b32 s51, exec_lo
	v_cmpx_gt_u32_e32 8, v35
; %bb.30:                               ;   in Loop: Header=BB284_13 Depth=1
	v_ffbh_u32_e32 v13, v32
	v_min_u32_e32 v13, 32, v13
	v_subrev_nc_u32_e32 v14, 28, v13
	v_sub_nc_u32_e32 v34, 29, v13
	v_lshlrev_b64 v[35:36], v14, v[3:4]
	v_and_b32_e32 v32, 7, v35
; %bb.31:                               ;   in Loop: Header=BB284_13 Depth=1
	s_or_b32 exec_lo, exec_lo, s51
	v_lshlrev_b32_sdwa v3, v26, v3 dst_sel:DWORD dst_unused:UNUSED_PAD src0_sel:DWORD src1_sel:WORD_0
	v_lshl_add_u32 v13, v34, 10, 0x2000
	v_and_or_b32 v3, 0x8000, v3, v13
	v_lshlrev_b32_e32 v13, 23, v32
	v_lshl_or_b32 v32, v3, 16, v13
.LBB284_32:                             ;   in Loop: Header=BB284_13 Depth=1
	s_or_b32 exec_lo, exec_lo, s50
.LBB284_33:                             ;   in Loop: Header=BB284_13 Depth=1
	s_or_b32 exec_lo, exec_lo, s49
.LBB284_34:                             ;   in Loop: Header=BB284_13 Depth=1
	s_or_b32 exec_lo, exec_lo, s48
	v_lshrrev_b32_e32 v3, 16, v11
	v_mov_b32_e32 v34, 0
	v_mov_b32_e32 v35, 0
	v_cmp_ne_u16_sdwa s2, v3, v4 src0_sel:BYTE_0 src1_sel:DWORD
	s_and_saveexec_b32 s48, s2
	s_cbranch_execz .LBB284_42
; %bb.35:                               ;   in Loop: Header=BB284_13 Depth=1
	v_cmp_ne_u16_sdwa s2, v3, v23 src0_sel:BYTE_0 src1_sel:DWORD
	v_mov_b32_e32 v35, 0x8000
	s_and_saveexec_b32 s49, s2
	s_cbranch_execz .LBB284_41
; %bb.36:                               ;   in Loop: Header=BB284_13 Depth=1
	v_bfe_u32 v37, v11, 16, 7
	v_mov_b32_e32 v35, 0x7c01
	s_mov_b32 s50, exec_lo
	v_cmpx_ne_u32_e32 0x7f, v37
	s_cbranch_execz .LBB284_40
; %bb.37:                               ;   in Loop: Header=BB284_13 Depth=1
	v_and_b32_e32 v35, 7, v3
	v_lshrrev_b32_e32 v36, 3, v37
	s_mov_b32 s51, exec_lo
	v_cmpx_gt_u32_e32 8, v37
; %bb.38:                               ;   in Loop: Header=BB284_13 Depth=1
	v_ffbh_u32_e32 v13, v35
	v_min_u32_e32 v13, 32, v13
	v_subrev_nc_u32_e32 v14, 28, v13
	v_lshlrev_b64 v[35:36], v14, v[3:4]
	v_sub_nc_u32_e32 v36, 29, v13
	v_and_b32_e32 v35, 7, v35
; %bb.39:                               ;   in Loop: Header=BB284_13 Depth=1
	s_or_b32 exec_lo, exec_lo, s51
	v_lshlrev_b32_e32 v3, 8, v3
	v_lshl_add_u32 v13, v36, 10, 0x2000
	v_lshlrev_b32_e32 v14, 7, v35
	v_and_b32_e32 v3, 0x8000, v3
	v_and_b32_e32 v13, 0xfc00, v13
	v_or3_b32 v35, v3, v13, v14
.LBB284_40:                             ;   in Loop: Header=BB284_13 Depth=1
	s_or_b32 exec_lo, exec_lo, s50
.LBB284_41:                             ;   in Loop: Header=BB284_13 Depth=1
	s_or_b32 exec_lo, exec_lo, s49
.LBB284_42:                             ;   in Loop: Header=BB284_13 Depth=1
	s_or_b32 exec_lo, exec_lo, s48
	s_mov_b32 s48, exec_lo
	v_cmpx_lt_u32_e32 0xffffff, v11
	s_cbranch_execz .LBB284_50
; %bb.43:                               ;   in Loop: Header=BB284_13 Depth=1
	v_lshrrev_b32_e32 v3, 24, v11
	v_bfrev_b32_e32 v34, 1
	s_mov_b32 s49, exec_lo
	v_cmpx_ne_u32_e32 0x80, v3
	s_cbranch_execz .LBB284_49
; %bb.44:                               ;   in Loop: Header=BB284_13 Depth=1
	v_and_b32_e32 v36, 0x7f, v3
	v_mov_b32_e32 v34, 0x7c010000
	s_mov_b32 s50, exec_lo
	v_cmpx_ne_u32_e32 0x7f, v36
	s_cbranch_execz .LBB284_48
; %bb.45:                               ;   in Loop: Header=BB284_13 Depth=1
	v_and_b32_e32 v11, 7, v3
	v_lshrrev_b32_e32 v34, 3, v36
	s_mov_b32 s51, exec_lo
	v_cmpx_gt_u32_e32 8, v36
; %bb.46:                               ;   in Loop: Header=BB284_13 Depth=1
	v_ffbh_u32_e32 v11, v11
	v_min_u32_e32 v11, 32, v11
	v_subrev_nc_u32_e32 v13, 28, v11
	v_sub_nc_u32_e32 v34, 29, v11
	v_lshlrev_b64 v[36:37], v13, v[3:4]
	v_and_b32_e32 v11, 7, v36
; %bb.47:                               ;   in Loop: Header=BB284_13 Depth=1
	s_or_b32 exec_lo, exec_lo, s51
	v_lshlrev_b32_e32 v3, 8, v3
	v_lshl_add_u32 v13, v34, 10, 0x2000
	v_lshlrev_b32_e32 v11, 23, v11
	v_and_or_b32 v3, 0x8000, v3, v13
	v_lshl_or_b32 v34, v3, 16, v11
.LBB284_48:                             ;   in Loop: Header=BB284_13 Depth=1
	s_or_b32 exec_lo, exec_lo, s50
.LBB284_49:                             ;   in Loop: Header=BB284_13 Depth=1
	s_or_b32 exec_lo, exec_lo, s49
.LBB284_50:                             ;   in Loop: Header=BB284_13 Depth=1
	s_or_b32 exec_lo, exec_lo, s48
	global_load_dword v11, v[9:10], off offset:8
	v_mov_b32_e32 v36, 0
	v_mov_b32_e32 v37, 0
	s_waitcnt vmcnt(0)
	v_cmp_ne_u16_sdwa s2, v11, v4 src0_sel:BYTE_0 src1_sel:DWORD
	s_and_saveexec_b32 s48, s2
	s_cbranch_execz .LBB284_58
; %bb.51:                               ;   in Loop: Header=BB284_13 Depth=1
	v_cmp_ne_u16_sdwa s2, v11, v23 src0_sel:BYTE_0 src1_sel:DWORD
	v_mov_b32_e32 v37, 0x8000
	s_and_saveexec_b32 s49, s2
	s_cbranch_execz .LBB284_57
; %bb.52:                               ;   in Loop: Header=BB284_13 Depth=1
	v_and_b32_e32 v38, 0x7f, v11
	v_mov_b32_e32 v37, 0x7c01
	s_mov_b32 s50, exec_lo
	v_cmpx_ne_u32_e32 0x7f, v38
	s_cbranch_execz .LBB284_56
; %bb.53:                               ;   in Loop: Header=BB284_13 Depth=1
	v_and_b32_e32 v3, 7, v11
	v_lshrrev_b32_e32 v37, 3, v38
	s_mov_b32 s51, exec_lo
	v_cmpx_gt_u32_e32 8, v38
; %bb.54:                               ;   in Loop: Header=BB284_13 Depth=1
	v_ffbh_u32_e32 v3, v3
	v_min_u32_e32 v3, 32, v3
	v_subrev_nc_u32_e32 v13, 28, v3
	v_sub_nc_u32_e32 v37, 29, v3
	v_lshlrev_b64 v[38:39], v13, v[11:12]
	v_and_b32_e32 v3, 7, v38
; %bb.55:                               ;   in Loop: Header=BB284_13 Depth=1
	s_or_b32 exec_lo, exec_lo, s51
	v_lshlrev_b32_e32 v13, 8, v11
	v_lshl_add_u32 v14, v37, 10, 0x2000
	v_lshlrev_b32_e32 v3, 7, v3
	v_and_b32_e32 v13, 0x8000, v13
	v_and_b32_e32 v14, 0xfc00, v14
	v_or3_b32 v37, v13, v14, v3
.LBB284_56:                             ;   in Loop: Header=BB284_13 Depth=1
	s_or_b32 exec_lo, exec_lo, s50
.LBB284_57:                             ;   in Loop: Header=BB284_13 Depth=1
	s_or_b32 exec_lo, exec_lo, s49
.LBB284_58:                             ;   in Loop: Header=BB284_13 Depth=1
	s_or_b32 exec_lo, exec_lo, s48
	v_lshrrev_b16 v3, 8, v11
	s_mov_b32 s48, exec_lo
	v_cmpx_ne_u16_e32 0, v3
	s_cbranch_execz .LBB284_66
; %bb.59:                               ;   in Loop: Header=BB284_13 Depth=1
	v_bfrev_b32_e32 v36, 1
	s_mov_b32 s49, exec_lo
	v_cmpx_ne_u16_e32 0x80, v3
	s_cbranch_execz .LBB284_65
; %bb.60:                               ;   in Loop: Header=BB284_13 Depth=1
	v_and_b32_sdwa v39, v3, v24 dst_sel:DWORD dst_unused:UNUSED_PAD src0_sel:WORD_0 src1_sel:DWORD
	v_mov_b32_e32 v36, 0x7c010000
	s_mov_b32 s50, exec_lo
	v_cmpx_ne_u32_e32 0x7f, v39
	s_cbranch_execz .LBB284_64
; %bb.61:                               ;   in Loop: Header=BB284_13 Depth=1
	v_and_b32_sdwa v36, v3, v25 dst_sel:DWORD dst_unused:UNUSED_PAD src0_sel:WORD_0 src1_sel:DWORD
	v_lshrrev_b32_e32 v38, 3, v39
	s_mov_b32 s51, exec_lo
	v_cmpx_gt_u32_e32 8, v39
; %bb.62:                               ;   in Loop: Header=BB284_13 Depth=1
	v_ffbh_u32_e32 v13, v36
	v_min_u32_e32 v13, 32, v13
	v_subrev_nc_u32_e32 v14, 28, v13
	v_sub_nc_u32_e32 v38, 29, v13
	v_lshlrev_b64 v[39:40], v14, v[3:4]
	v_and_b32_e32 v36, 7, v39
; %bb.63:                               ;   in Loop: Header=BB284_13 Depth=1
	s_or_b32 exec_lo, exec_lo, s51
	v_lshlrev_b32_sdwa v3, v26, v3 dst_sel:DWORD dst_unused:UNUSED_PAD src0_sel:DWORD src1_sel:WORD_0
	v_lshl_add_u32 v13, v38, 10, 0x2000
	v_and_or_b32 v3, 0x8000, v3, v13
	v_lshlrev_b32_e32 v13, 23, v36
	v_lshl_or_b32 v36, v3, 16, v13
.LBB284_64:                             ;   in Loop: Header=BB284_13 Depth=1
	s_or_b32 exec_lo, exec_lo, s50
.LBB284_65:                             ;   in Loop: Header=BB284_13 Depth=1
	s_or_b32 exec_lo, exec_lo, s49
.LBB284_66:                             ;   in Loop: Header=BB284_13 Depth=1
	s_or_b32 exec_lo, exec_lo, s48
	v_lshrrev_b32_e32 v3, 16, v11
	v_mov_b32_e32 v38, 0
	v_mov_b32_e32 v39, 0
	v_cmp_ne_u16_sdwa s2, v3, v4 src0_sel:BYTE_0 src1_sel:DWORD
	s_and_saveexec_b32 s48, s2
	s_cbranch_execz .LBB284_74
; %bb.67:                               ;   in Loop: Header=BB284_13 Depth=1
	v_cmp_ne_u16_sdwa s2, v3, v23 src0_sel:BYTE_0 src1_sel:DWORD
	v_mov_b32_e32 v39, 0x8000
	s_and_saveexec_b32 s49, s2
	s_cbranch_execz .LBB284_73
; %bb.68:                               ;   in Loop: Header=BB284_13 Depth=1
	v_bfe_u32 v41, v11, 16, 7
	v_mov_b32_e32 v39, 0x7c01
	s_mov_b32 s50, exec_lo
	v_cmpx_ne_u32_e32 0x7f, v41
	s_cbranch_execz .LBB284_72
; %bb.69:                               ;   in Loop: Header=BB284_13 Depth=1
	v_and_b32_e32 v39, 7, v3
	v_lshrrev_b32_e32 v40, 3, v41
	s_mov_b32 s51, exec_lo
	v_cmpx_gt_u32_e32 8, v41
; %bb.70:                               ;   in Loop: Header=BB284_13 Depth=1
	v_ffbh_u32_e32 v13, v39
	v_min_u32_e32 v13, 32, v13
	v_subrev_nc_u32_e32 v14, 28, v13
	v_lshlrev_b64 v[39:40], v14, v[3:4]
	v_sub_nc_u32_e32 v40, 29, v13
	v_and_b32_e32 v39, 7, v39
; %bb.71:                               ;   in Loop: Header=BB284_13 Depth=1
	s_or_b32 exec_lo, exec_lo, s51
	v_lshlrev_b32_e32 v3, 8, v3
	v_lshl_add_u32 v13, v40, 10, 0x2000
	v_lshlrev_b32_e32 v14, 7, v39
	v_and_b32_e32 v3, 0x8000, v3
	v_and_b32_e32 v13, 0xfc00, v13
	v_or3_b32 v39, v3, v13, v14
.LBB284_72:                             ;   in Loop: Header=BB284_13 Depth=1
	s_or_b32 exec_lo, exec_lo, s50
.LBB284_73:                             ;   in Loop: Header=BB284_13 Depth=1
	s_or_b32 exec_lo, exec_lo, s49
.LBB284_74:                             ;   in Loop: Header=BB284_13 Depth=1
	s_or_b32 exec_lo, exec_lo, s48
	s_mov_b32 s48, exec_lo
	v_cmpx_lt_u32_e32 0xffffff, v11
	s_cbranch_execz .LBB284_82
; %bb.75:                               ;   in Loop: Header=BB284_13 Depth=1
	v_lshrrev_b32_e32 v3, 24, v11
	v_bfrev_b32_e32 v38, 1
	s_mov_b32 s49, exec_lo
	v_cmpx_ne_u32_e32 0x80, v3
	s_cbranch_execz .LBB284_81
; %bb.76:                               ;   in Loop: Header=BB284_13 Depth=1
	v_and_b32_e32 v40, 0x7f, v3
	v_mov_b32_e32 v38, 0x7c010000
	s_mov_b32 s50, exec_lo
	v_cmpx_ne_u32_e32 0x7f, v40
	s_cbranch_execz .LBB284_80
; %bb.77:                               ;   in Loop: Header=BB284_13 Depth=1
	v_and_b32_e32 v11, 7, v3
	v_lshrrev_b32_e32 v38, 3, v40
	s_mov_b32 s51, exec_lo
	v_cmpx_gt_u32_e32 8, v40
; %bb.78:                               ;   in Loop: Header=BB284_13 Depth=1
	v_ffbh_u32_e32 v11, v11
	v_min_u32_e32 v11, 32, v11
	v_subrev_nc_u32_e32 v13, 28, v11
	v_sub_nc_u32_e32 v38, 29, v11
	v_lshlrev_b64 v[40:41], v13, v[3:4]
	v_and_b32_e32 v11, 7, v40
; %bb.79:                               ;   in Loop: Header=BB284_13 Depth=1
	s_or_b32 exec_lo, exec_lo, s51
	v_lshlrev_b32_e32 v3, 8, v3
	v_lshl_add_u32 v13, v38, 10, 0x2000
	v_lshlrev_b32_e32 v11, 23, v11
	v_and_or_b32 v3, 0x8000, v3, v13
	v_lshl_or_b32 v38, v3, 16, v11
.LBB284_80:                             ;   in Loop: Header=BB284_13 Depth=1
	s_or_b32 exec_lo, exec_lo, s50
.LBB284_81:                             ;   in Loop: Header=BB284_13 Depth=1
	s_or_b32 exec_lo, exec_lo, s49
.LBB284_82:                             ;   in Loop: Header=BB284_13 Depth=1
	s_or_b32 exec_lo, exec_lo, s48
	global_load_dword v11, v[9:10], off offset:256
	v_mov_b32_e32 v40, 0
	v_mov_b32_e32 v41, 0
	s_waitcnt vmcnt(0)
	v_cmp_ne_u16_sdwa s2, v11, v4 src0_sel:BYTE_0 src1_sel:DWORD
	s_and_saveexec_b32 s48, s2
	s_cbranch_execz .LBB284_90
; %bb.83:                               ;   in Loop: Header=BB284_13 Depth=1
	v_cmp_ne_u16_sdwa s2, v11, v23 src0_sel:BYTE_0 src1_sel:DWORD
	v_mov_b32_e32 v41, 0x8000
	s_and_saveexec_b32 s49, s2
	s_cbranch_execz .LBB284_89
; %bb.84:                               ;   in Loop: Header=BB284_13 Depth=1
	v_and_b32_e32 v42, 0x7f, v11
	v_mov_b32_e32 v41, 0x7c01
	s_mov_b32 s50, exec_lo
	v_cmpx_ne_u32_e32 0x7f, v42
	s_cbranch_execz .LBB284_88
; %bb.85:                               ;   in Loop: Header=BB284_13 Depth=1
	v_and_b32_e32 v3, 7, v11
	v_lshrrev_b32_e32 v41, 3, v42
	s_mov_b32 s51, exec_lo
	v_cmpx_gt_u32_e32 8, v42
; %bb.86:                               ;   in Loop: Header=BB284_13 Depth=1
	v_ffbh_u32_e32 v3, v3
	v_min_u32_e32 v3, 32, v3
	v_subrev_nc_u32_e32 v13, 28, v3
	v_sub_nc_u32_e32 v41, 29, v3
	v_lshlrev_b64 v[42:43], v13, v[11:12]
	v_and_b32_e32 v3, 7, v42
; %bb.87:                               ;   in Loop: Header=BB284_13 Depth=1
	s_or_b32 exec_lo, exec_lo, s51
	v_lshlrev_b32_e32 v13, 8, v11
	v_lshl_add_u32 v14, v41, 10, 0x2000
	v_lshlrev_b32_e32 v3, 7, v3
	v_and_b32_e32 v13, 0x8000, v13
	v_and_b32_e32 v14, 0xfc00, v14
	v_or3_b32 v41, v13, v14, v3
.LBB284_88:                             ;   in Loop: Header=BB284_13 Depth=1
	s_or_b32 exec_lo, exec_lo, s50
.LBB284_89:                             ;   in Loop: Header=BB284_13 Depth=1
	s_or_b32 exec_lo, exec_lo, s49
.LBB284_90:                             ;   in Loop: Header=BB284_13 Depth=1
	s_or_b32 exec_lo, exec_lo, s48
	v_lshrrev_b16 v3, 8, v11
	s_mov_b32 s48, exec_lo
	v_cmpx_ne_u16_e32 0, v3
	s_cbranch_execz .LBB284_98
; %bb.91:                               ;   in Loop: Header=BB284_13 Depth=1
	v_bfrev_b32_e32 v40, 1
	s_mov_b32 s49, exec_lo
	v_cmpx_ne_u16_e32 0x80, v3
	s_cbranch_execz .LBB284_97
; %bb.92:                               ;   in Loop: Header=BB284_13 Depth=1
	v_and_b32_sdwa v43, v3, v24 dst_sel:DWORD dst_unused:UNUSED_PAD src0_sel:WORD_0 src1_sel:DWORD
	v_mov_b32_e32 v40, 0x7c010000
	s_mov_b32 s50, exec_lo
	v_cmpx_ne_u32_e32 0x7f, v43
	s_cbranch_execz .LBB284_96
; %bb.93:                               ;   in Loop: Header=BB284_13 Depth=1
	v_and_b32_sdwa v40, v3, v25 dst_sel:DWORD dst_unused:UNUSED_PAD src0_sel:WORD_0 src1_sel:DWORD
	v_lshrrev_b32_e32 v42, 3, v43
	s_mov_b32 s51, exec_lo
	v_cmpx_gt_u32_e32 8, v43
; %bb.94:                               ;   in Loop: Header=BB284_13 Depth=1
	v_ffbh_u32_e32 v13, v40
	v_min_u32_e32 v13, 32, v13
	v_subrev_nc_u32_e32 v14, 28, v13
	v_sub_nc_u32_e32 v42, 29, v13
	v_lshlrev_b64 v[43:44], v14, v[3:4]
	v_and_b32_e32 v40, 7, v43
; %bb.95:                               ;   in Loop: Header=BB284_13 Depth=1
	s_or_b32 exec_lo, exec_lo, s51
	v_lshlrev_b32_sdwa v3, v26, v3 dst_sel:DWORD dst_unused:UNUSED_PAD src0_sel:DWORD src1_sel:WORD_0
	v_lshl_add_u32 v13, v42, 10, 0x2000
	v_and_or_b32 v3, 0x8000, v3, v13
	v_lshlrev_b32_e32 v13, 23, v40
	v_lshl_or_b32 v40, v3, 16, v13
.LBB284_96:                             ;   in Loop: Header=BB284_13 Depth=1
	s_or_b32 exec_lo, exec_lo, s50
.LBB284_97:                             ;   in Loop: Header=BB284_13 Depth=1
	s_or_b32 exec_lo, exec_lo, s49
.LBB284_98:                             ;   in Loop: Header=BB284_13 Depth=1
	s_or_b32 exec_lo, exec_lo, s48
	v_lshrrev_b32_e32 v3, 16, v11
	v_mov_b32_e32 v42, 0
	v_mov_b32_e32 v43, 0
	v_cmp_ne_u16_sdwa s2, v3, v4 src0_sel:BYTE_0 src1_sel:DWORD
	s_and_saveexec_b32 s48, s2
	s_cbranch_execz .LBB284_106
; %bb.99:                               ;   in Loop: Header=BB284_13 Depth=1
	v_cmp_ne_u16_sdwa s2, v3, v23 src0_sel:BYTE_0 src1_sel:DWORD
	v_mov_b32_e32 v43, 0x8000
	s_and_saveexec_b32 s49, s2
	s_cbranch_execz .LBB284_105
; %bb.100:                              ;   in Loop: Header=BB284_13 Depth=1
	v_bfe_u32 v45, v11, 16, 7
	v_mov_b32_e32 v43, 0x7c01
	s_mov_b32 s50, exec_lo
	v_cmpx_ne_u32_e32 0x7f, v45
	s_cbranch_execz .LBB284_104
; %bb.101:                              ;   in Loop: Header=BB284_13 Depth=1
	v_and_b32_e32 v43, 7, v3
	v_lshrrev_b32_e32 v44, 3, v45
	s_mov_b32 s51, exec_lo
	v_cmpx_gt_u32_e32 8, v45
; %bb.102:                              ;   in Loop: Header=BB284_13 Depth=1
	v_ffbh_u32_e32 v13, v43
	v_min_u32_e32 v13, 32, v13
	v_subrev_nc_u32_e32 v14, 28, v13
	v_lshlrev_b64 v[43:44], v14, v[3:4]
	v_sub_nc_u32_e32 v44, 29, v13
	v_and_b32_e32 v43, 7, v43
; %bb.103:                              ;   in Loop: Header=BB284_13 Depth=1
	s_or_b32 exec_lo, exec_lo, s51
	v_lshlrev_b32_e32 v3, 8, v3
	v_lshl_add_u32 v13, v44, 10, 0x2000
	v_lshlrev_b32_e32 v14, 7, v43
	v_and_b32_e32 v3, 0x8000, v3
	v_and_b32_e32 v13, 0xfc00, v13
	v_or3_b32 v43, v3, v13, v14
.LBB284_104:                            ;   in Loop: Header=BB284_13 Depth=1
	s_or_b32 exec_lo, exec_lo, s50
.LBB284_105:                            ;   in Loop: Header=BB284_13 Depth=1
	s_or_b32 exec_lo, exec_lo, s49
.LBB284_106:                            ;   in Loop: Header=BB284_13 Depth=1
	s_or_b32 exec_lo, exec_lo, s48
	s_mov_b32 s48, exec_lo
	v_cmpx_lt_u32_e32 0xffffff, v11
	s_cbranch_execz .LBB284_114
; %bb.107:                              ;   in Loop: Header=BB284_13 Depth=1
	v_lshrrev_b32_e32 v3, 24, v11
	v_bfrev_b32_e32 v42, 1
	s_mov_b32 s49, exec_lo
	v_cmpx_ne_u32_e32 0x80, v3
	s_cbranch_execz .LBB284_113
; %bb.108:                              ;   in Loop: Header=BB284_13 Depth=1
	v_and_b32_e32 v44, 0x7f, v3
	v_mov_b32_e32 v42, 0x7c010000
	s_mov_b32 s50, exec_lo
	v_cmpx_ne_u32_e32 0x7f, v44
	s_cbranch_execz .LBB284_112
; %bb.109:                              ;   in Loop: Header=BB284_13 Depth=1
	v_and_b32_e32 v11, 7, v3
	v_lshrrev_b32_e32 v42, 3, v44
	s_mov_b32 s51, exec_lo
	v_cmpx_gt_u32_e32 8, v44
; %bb.110:                              ;   in Loop: Header=BB284_13 Depth=1
	v_ffbh_u32_e32 v11, v11
	v_min_u32_e32 v11, 32, v11
	v_subrev_nc_u32_e32 v13, 28, v11
	v_sub_nc_u32_e32 v42, 29, v11
	v_lshlrev_b64 v[44:45], v13, v[3:4]
	v_and_b32_e32 v11, 7, v44
; %bb.111:                              ;   in Loop: Header=BB284_13 Depth=1
	s_or_b32 exec_lo, exec_lo, s51
	v_lshlrev_b32_e32 v3, 8, v3
	v_lshl_add_u32 v13, v42, 10, 0x2000
	v_lshlrev_b32_e32 v11, 23, v11
	v_and_or_b32 v3, 0x8000, v3, v13
	v_lshl_or_b32 v42, v3, 16, v11
.LBB284_112:                            ;   in Loop: Header=BB284_13 Depth=1
	s_or_b32 exec_lo, exec_lo, s50
.LBB284_113:                            ;   in Loop: Header=BB284_13 Depth=1
	s_or_b32 exec_lo, exec_lo, s49
.LBB284_114:                            ;   in Loop: Header=BB284_13 Depth=1
	s_or_b32 exec_lo, exec_lo, s48
	global_load_dword v11, v[9:10], off offset:264
	v_mov_b32_e32 v44, 0
	v_mov_b32_e32 v45, 0
	s_waitcnt vmcnt(0)
	v_cmp_ne_u16_sdwa s2, v11, v4 src0_sel:BYTE_0 src1_sel:DWORD
	s_and_saveexec_b32 s48, s2
	s_cbranch_execz .LBB284_122
; %bb.115:                              ;   in Loop: Header=BB284_13 Depth=1
	v_cmp_ne_u16_sdwa s2, v11, v23 src0_sel:BYTE_0 src1_sel:DWORD
	v_mov_b32_e32 v45, 0x8000
	s_and_saveexec_b32 s49, s2
	s_cbranch_execz .LBB284_121
; %bb.116:                              ;   in Loop: Header=BB284_13 Depth=1
	v_and_b32_e32 v46, 0x7f, v11
	v_mov_b32_e32 v45, 0x7c01
	s_mov_b32 s50, exec_lo
	v_cmpx_ne_u32_e32 0x7f, v46
	s_cbranch_execz .LBB284_120
; %bb.117:                              ;   in Loop: Header=BB284_13 Depth=1
	v_and_b32_e32 v3, 7, v11
	v_lshrrev_b32_e32 v45, 3, v46
	s_mov_b32 s51, exec_lo
	v_cmpx_gt_u32_e32 8, v46
; %bb.118:                              ;   in Loop: Header=BB284_13 Depth=1
	v_ffbh_u32_e32 v3, v3
	v_min_u32_e32 v3, 32, v3
	v_subrev_nc_u32_e32 v13, 28, v3
	v_sub_nc_u32_e32 v45, 29, v3
	v_lshlrev_b64 v[46:47], v13, v[11:12]
	v_and_b32_e32 v3, 7, v46
; %bb.119:                              ;   in Loop: Header=BB284_13 Depth=1
	s_or_b32 exec_lo, exec_lo, s51
	v_lshlrev_b32_e32 v13, 8, v11
	v_lshl_add_u32 v14, v45, 10, 0x2000
	v_lshlrev_b32_e32 v3, 7, v3
	v_and_b32_e32 v13, 0x8000, v13
	v_and_b32_e32 v14, 0xfc00, v14
	v_or3_b32 v45, v13, v14, v3
.LBB284_120:                            ;   in Loop: Header=BB284_13 Depth=1
	s_or_b32 exec_lo, exec_lo, s50
.LBB284_121:                            ;   in Loop: Header=BB284_13 Depth=1
	s_or_b32 exec_lo, exec_lo, s49
.LBB284_122:                            ;   in Loop: Header=BB284_13 Depth=1
	s_or_b32 exec_lo, exec_lo, s48
	v_lshrrev_b16 v3, 8, v11
	s_mov_b32 s48, exec_lo
	v_cmpx_ne_u16_e32 0, v3
	s_cbranch_execz .LBB284_130
; %bb.123:                              ;   in Loop: Header=BB284_13 Depth=1
	v_bfrev_b32_e32 v44, 1
	s_mov_b32 s49, exec_lo
	v_cmpx_ne_u16_e32 0x80, v3
	s_cbranch_execz .LBB284_129
; %bb.124:                              ;   in Loop: Header=BB284_13 Depth=1
	v_and_b32_sdwa v47, v3, v24 dst_sel:DWORD dst_unused:UNUSED_PAD src0_sel:WORD_0 src1_sel:DWORD
	v_mov_b32_e32 v44, 0x7c010000
	s_mov_b32 s50, exec_lo
	v_cmpx_ne_u32_e32 0x7f, v47
	s_cbranch_execz .LBB284_128
; %bb.125:                              ;   in Loop: Header=BB284_13 Depth=1
	v_and_b32_sdwa v44, v3, v25 dst_sel:DWORD dst_unused:UNUSED_PAD src0_sel:WORD_0 src1_sel:DWORD
	v_lshrrev_b32_e32 v46, 3, v47
	s_mov_b32 s51, exec_lo
	v_cmpx_gt_u32_e32 8, v47
; %bb.126:                              ;   in Loop: Header=BB284_13 Depth=1
	v_ffbh_u32_e32 v13, v44
	v_min_u32_e32 v13, 32, v13
	v_subrev_nc_u32_e32 v14, 28, v13
	v_sub_nc_u32_e32 v46, 29, v13
	v_lshlrev_b64 v[47:48], v14, v[3:4]
	v_and_b32_e32 v44, 7, v47
; %bb.127:                              ;   in Loop: Header=BB284_13 Depth=1
	s_or_b32 exec_lo, exec_lo, s51
	v_lshlrev_b32_sdwa v3, v26, v3 dst_sel:DWORD dst_unused:UNUSED_PAD src0_sel:DWORD src1_sel:WORD_0
	v_lshl_add_u32 v13, v46, 10, 0x2000
	v_and_or_b32 v3, 0x8000, v3, v13
	v_lshlrev_b32_e32 v13, 23, v44
	v_lshl_or_b32 v44, v3, 16, v13
.LBB284_128:                            ;   in Loop: Header=BB284_13 Depth=1
	s_or_b32 exec_lo, exec_lo, s50
.LBB284_129:                            ;   in Loop: Header=BB284_13 Depth=1
	s_or_b32 exec_lo, exec_lo, s49
.LBB284_130:                            ;   in Loop: Header=BB284_13 Depth=1
	s_or_b32 exec_lo, exec_lo, s48
	v_lshrrev_b32_e32 v3, 16, v11
	v_mov_b32_e32 v46, 0
	v_mov_b32_e32 v47, 0
	v_cmp_ne_u16_sdwa s2, v3, v4 src0_sel:BYTE_0 src1_sel:DWORD
	s_and_saveexec_b32 s48, s2
	s_cbranch_execz .LBB284_138
; %bb.131:                              ;   in Loop: Header=BB284_13 Depth=1
	v_cmp_ne_u16_sdwa s2, v3, v23 src0_sel:BYTE_0 src1_sel:DWORD
	v_mov_b32_e32 v47, 0x8000
	s_and_saveexec_b32 s49, s2
	s_cbranch_execz .LBB284_137
; %bb.132:                              ;   in Loop: Header=BB284_13 Depth=1
	v_bfe_u32 v49, v11, 16, 7
	v_mov_b32_e32 v47, 0x7c01
	s_mov_b32 s50, exec_lo
	v_cmpx_ne_u32_e32 0x7f, v49
	s_cbranch_execz .LBB284_136
; %bb.133:                              ;   in Loop: Header=BB284_13 Depth=1
	v_and_b32_e32 v47, 7, v3
	v_lshrrev_b32_e32 v48, 3, v49
	s_mov_b32 s51, exec_lo
	v_cmpx_gt_u32_e32 8, v49
; %bb.134:                              ;   in Loop: Header=BB284_13 Depth=1
	v_ffbh_u32_e32 v13, v47
	v_min_u32_e32 v13, 32, v13
	v_subrev_nc_u32_e32 v14, 28, v13
	v_lshlrev_b64 v[47:48], v14, v[3:4]
	v_sub_nc_u32_e32 v48, 29, v13
	v_and_b32_e32 v47, 7, v47
; %bb.135:                              ;   in Loop: Header=BB284_13 Depth=1
	s_or_b32 exec_lo, exec_lo, s51
	v_lshlrev_b32_e32 v3, 8, v3
	v_lshl_add_u32 v13, v48, 10, 0x2000
	v_lshlrev_b32_e32 v14, 7, v47
	v_and_b32_e32 v3, 0x8000, v3
	v_and_b32_e32 v13, 0xfc00, v13
	v_or3_b32 v47, v3, v13, v14
.LBB284_136:                            ;   in Loop: Header=BB284_13 Depth=1
	s_or_b32 exec_lo, exec_lo, s50
.LBB284_137:                            ;   in Loop: Header=BB284_13 Depth=1
	s_or_b32 exec_lo, exec_lo, s49
.LBB284_138:                            ;   in Loop: Header=BB284_13 Depth=1
	s_or_b32 exec_lo, exec_lo, s48
	s_mov_b32 s48, exec_lo
	v_cmpx_lt_u32_e32 0xffffff, v11
	s_cbranch_execz .LBB284_146
; %bb.139:                              ;   in Loop: Header=BB284_13 Depth=1
	v_lshrrev_b32_e32 v3, 24, v11
	v_bfrev_b32_e32 v46, 1
	s_mov_b32 s49, exec_lo
	v_cmpx_ne_u32_e32 0x80, v3
	s_cbranch_execz .LBB284_145
; %bb.140:                              ;   in Loop: Header=BB284_13 Depth=1
	v_and_b32_e32 v48, 0x7f, v3
	v_mov_b32_e32 v46, 0x7c010000
	s_mov_b32 s50, exec_lo
	v_cmpx_ne_u32_e32 0x7f, v48
	s_cbranch_execz .LBB284_144
; %bb.141:                              ;   in Loop: Header=BB284_13 Depth=1
	v_and_b32_e32 v11, 7, v3
	v_lshrrev_b32_e32 v46, 3, v48
	s_mov_b32 s51, exec_lo
	v_cmpx_gt_u32_e32 8, v48
; %bb.142:                              ;   in Loop: Header=BB284_13 Depth=1
	v_ffbh_u32_e32 v11, v11
	v_min_u32_e32 v11, 32, v11
	v_subrev_nc_u32_e32 v13, 28, v11
	v_sub_nc_u32_e32 v46, 29, v11
	v_lshlrev_b64 v[48:49], v13, v[3:4]
	v_and_b32_e32 v11, 7, v48
; %bb.143:                              ;   in Loop: Header=BB284_13 Depth=1
	s_or_b32 exec_lo, exec_lo, s51
	v_lshlrev_b32_e32 v3, 8, v3
	v_lshl_add_u32 v13, v46, 10, 0x2000
	v_lshlrev_b32_e32 v11, 23, v11
	v_and_or_b32 v3, 0x8000, v3, v13
	v_lshl_or_b32 v46, v3, 16, v11
.LBB284_144:                            ;   in Loop: Header=BB284_13 Depth=1
	s_or_b32 exec_lo, exec_lo, s50
.LBB284_145:                            ;   in Loop: Header=BB284_13 Depth=1
	s_or_b32 exec_lo, exec_lo, s49
.LBB284_146:                            ;   in Loop: Header=BB284_13 Depth=1
	s_or_b32 exec_lo, exec_lo, s48
	global_load_dword v11, v[9:10], off offset:512
	v_mov_b32_e32 v48, 0
	v_mov_b32_e32 v49, 0
	s_waitcnt vmcnt(0)
	v_cmp_ne_u16_sdwa s2, v11, v4 src0_sel:BYTE_0 src1_sel:DWORD
	s_and_saveexec_b32 s48, s2
	s_cbranch_execz .LBB284_154
; %bb.147:                              ;   in Loop: Header=BB284_13 Depth=1
	v_cmp_ne_u16_sdwa s2, v11, v23 src0_sel:BYTE_0 src1_sel:DWORD
	v_mov_b32_e32 v49, 0x8000
	s_and_saveexec_b32 s49, s2
	s_cbranch_execz .LBB284_153
; %bb.148:                              ;   in Loop: Header=BB284_13 Depth=1
	v_and_b32_e32 v50, 0x7f, v11
	v_mov_b32_e32 v49, 0x7c01
	s_mov_b32 s50, exec_lo
	v_cmpx_ne_u32_e32 0x7f, v50
	s_cbranch_execz .LBB284_152
; %bb.149:                              ;   in Loop: Header=BB284_13 Depth=1
	v_and_b32_e32 v3, 7, v11
	v_lshrrev_b32_e32 v49, 3, v50
	s_mov_b32 s51, exec_lo
	v_cmpx_gt_u32_e32 8, v50
; %bb.150:                              ;   in Loop: Header=BB284_13 Depth=1
	v_ffbh_u32_e32 v3, v3
	v_min_u32_e32 v3, 32, v3
	v_subrev_nc_u32_e32 v13, 28, v3
	v_sub_nc_u32_e32 v49, 29, v3
	v_lshlrev_b64 v[50:51], v13, v[11:12]
	v_and_b32_e32 v3, 7, v50
; %bb.151:                              ;   in Loop: Header=BB284_13 Depth=1
	s_or_b32 exec_lo, exec_lo, s51
	v_lshlrev_b32_e32 v13, 8, v11
	v_lshl_add_u32 v14, v49, 10, 0x2000
	v_lshlrev_b32_e32 v3, 7, v3
	v_and_b32_e32 v13, 0x8000, v13
	v_and_b32_e32 v14, 0xfc00, v14
	v_or3_b32 v49, v13, v14, v3
.LBB284_152:                            ;   in Loop: Header=BB284_13 Depth=1
	s_or_b32 exec_lo, exec_lo, s50
.LBB284_153:                            ;   in Loop: Header=BB284_13 Depth=1
	s_or_b32 exec_lo, exec_lo, s49
.LBB284_154:                            ;   in Loop: Header=BB284_13 Depth=1
	s_or_b32 exec_lo, exec_lo, s48
	v_lshrrev_b16 v3, 8, v11
	s_mov_b32 s48, exec_lo
	v_cmpx_ne_u16_e32 0, v3
	s_cbranch_execz .LBB284_162
; %bb.155:                              ;   in Loop: Header=BB284_13 Depth=1
	v_bfrev_b32_e32 v48, 1
	s_mov_b32 s49, exec_lo
	v_cmpx_ne_u16_e32 0x80, v3
	s_cbranch_execz .LBB284_161
; %bb.156:                              ;   in Loop: Header=BB284_13 Depth=1
	v_and_b32_sdwa v51, v3, v24 dst_sel:DWORD dst_unused:UNUSED_PAD src0_sel:WORD_0 src1_sel:DWORD
	v_mov_b32_e32 v48, 0x7c010000
	s_mov_b32 s50, exec_lo
	v_cmpx_ne_u32_e32 0x7f, v51
	s_cbranch_execz .LBB284_160
; %bb.157:                              ;   in Loop: Header=BB284_13 Depth=1
	v_and_b32_sdwa v48, v3, v25 dst_sel:DWORD dst_unused:UNUSED_PAD src0_sel:WORD_0 src1_sel:DWORD
	v_lshrrev_b32_e32 v50, 3, v51
	s_mov_b32 s51, exec_lo
	v_cmpx_gt_u32_e32 8, v51
; %bb.158:                              ;   in Loop: Header=BB284_13 Depth=1
	v_ffbh_u32_e32 v13, v48
	v_min_u32_e32 v13, 32, v13
	v_subrev_nc_u32_e32 v14, 28, v13
	v_sub_nc_u32_e32 v50, 29, v13
	v_lshlrev_b64 v[51:52], v14, v[3:4]
	v_and_b32_e32 v48, 7, v51
; %bb.159:                              ;   in Loop: Header=BB284_13 Depth=1
	s_or_b32 exec_lo, exec_lo, s51
	v_lshlrev_b32_sdwa v3, v26, v3 dst_sel:DWORD dst_unused:UNUSED_PAD src0_sel:DWORD src1_sel:WORD_0
	v_lshl_add_u32 v13, v50, 10, 0x2000
	v_and_or_b32 v3, 0x8000, v3, v13
	v_lshlrev_b32_e32 v13, 23, v48
	v_lshl_or_b32 v48, v3, 16, v13
.LBB284_160:                            ;   in Loop: Header=BB284_13 Depth=1
	s_or_b32 exec_lo, exec_lo, s50
.LBB284_161:                            ;   in Loop: Header=BB284_13 Depth=1
	s_or_b32 exec_lo, exec_lo, s49
.LBB284_162:                            ;   in Loop: Header=BB284_13 Depth=1
	s_or_b32 exec_lo, exec_lo, s48
	v_lshrrev_b32_e32 v3, 16, v11
	v_mov_b32_e32 v50, 0
	v_mov_b32_e32 v51, 0
	v_cmp_ne_u16_sdwa s2, v3, v4 src0_sel:BYTE_0 src1_sel:DWORD
	s_and_saveexec_b32 s48, s2
	s_cbranch_execz .LBB284_170
; %bb.163:                              ;   in Loop: Header=BB284_13 Depth=1
	v_cmp_ne_u16_sdwa s2, v3, v23 src0_sel:BYTE_0 src1_sel:DWORD
	v_mov_b32_e32 v51, 0x8000
	s_and_saveexec_b32 s49, s2
	s_cbranch_execz .LBB284_169
; %bb.164:                              ;   in Loop: Header=BB284_13 Depth=1
	v_bfe_u32 v53, v11, 16, 7
	v_mov_b32_e32 v51, 0x7c01
	s_mov_b32 s50, exec_lo
	v_cmpx_ne_u32_e32 0x7f, v53
	s_cbranch_execz .LBB284_168
; %bb.165:                              ;   in Loop: Header=BB284_13 Depth=1
	v_and_b32_e32 v51, 7, v3
	v_lshrrev_b32_e32 v52, 3, v53
	s_mov_b32 s51, exec_lo
	v_cmpx_gt_u32_e32 8, v53
; %bb.166:                              ;   in Loop: Header=BB284_13 Depth=1
	v_ffbh_u32_e32 v13, v51
	v_min_u32_e32 v13, 32, v13
	v_subrev_nc_u32_e32 v14, 28, v13
	v_lshlrev_b64 v[51:52], v14, v[3:4]
	v_sub_nc_u32_e32 v52, 29, v13
	v_and_b32_e32 v51, 7, v51
; %bb.167:                              ;   in Loop: Header=BB284_13 Depth=1
	s_or_b32 exec_lo, exec_lo, s51
	v_lshlrev_b32_e32 v3, 8, v3
	v_lshl_add_u32 v13, v52, 10, 0x2000
	v_lshlrev_b32_e32 v14, 7, v51
	v_and_b32_e32 v3, 0x8000, v3
	v_and_b32_e32 v13, 0xfc00, v13
	v_or3_b32 v51, v3, v13, v14
.LBB284_168:                            ;   in Loop: Header=BB284_13 Depth=1
	s_or_b32 exec_lo, exec_lo, s50
.LBB284_169:                            ;   in Loop: Header=BB284_13 Depth=1
	s_or_b32 exec_lo, exec_lo, s49
.LBB284_170:                            ;   in Loop: Header=BB284_13 Depth=1
	s_or_b32 exec_lo, exec_lo, s48
	s_mov_b32 s48, exec_lo
	v_cmpx_lt_u32_e32 0xffffff, v11
	s_cbranch_execz .LBB284_178
; %bb.171:                              ;   in Loop: Header=BB284_13 Depth=1
	v_lshrrev_b32_e32 v3, 24, v11
	v_bfrev_b32_e32 v50, 1
	s_mov_b32 s49, exec_lo
	v_cmpx_ne_u32_e32 0x80, v3
	s_cbranch_execz .LBB284_177
; %bb.172:                              ;   in Loop: Header=BB284_13 Depth=1
	v_and_b32_e32 v52, 0x7f, v3
	v_mov_b32_e32 v50, 0x7c010000
	s_mov_b32 s50, exec_lo
	v_cmpx_ne_u32_e32 0x7f, v52
	s_cbranch_execz .LBB284_176
; %bb.173:                              ;   in Loop: Header=BB284_13 Depth=1
	v_and_b32_e32 v11, 7, v3
	v_lshrrev_b32_e32 v50, 3, v52
	s_mov_b32 s51, exec_lo
	v_cmpx_gt_u32_e32 8, v52
; %bb.174:                              ;   in Loop: Header=BB284_13 Depth=1
	v_ffbh_u32_e32 v11, v11
	v_min_u32_e32 v11, 32, v11
	v_subrev_nc_u32_e32 v13, 28, v11
	v_sub_nc_u32_e32 v50, 29, v11
	v_lshlrev_b64 v[52:53], v13, v[3:4]
	v_and_b32_e32 v11, 7, v52
; %bb.175:                              ;   in Loop: Header=BB284_13 Depth=1
	s_or_b32 exec_lo, exec_lo, s51
	v_lshlrev_b32_e32 v3, 8, v3
	v_lshl_add_u32 v13, v50, 10, 0x2000
	v_lshlrev_b32_e32 v11, 23, v11
	v_and_or_b32 v3, 0x8000, v3, v13
	v_lshl_or_b32 v50, v3, 16, v11
.LBB284_176:                            ;   in Loop: Header=BB284_13 Depth=1
	s_or_b32 exec_lo, exec_lo, s50
.LBB284_177:                            ;   in Loop: Header=BB284_13 Depth=1
	s_or_b32 exec_lo, exec_lo, s49
.LBB284_178:                            ;   in Loop: Header=BB284_13 Depth=1
	s_or_b32 exec_lo, exec_lo, s48
	global_load_dword v11, v[9:10], off offset:520
	v_mov_b32_e32 v52, 0
	v_mov_b32_e32 v53, 0
	s_waitcnt vmcnt(0)
	v_cmp_ne_u16_sdwa s2, v11, v4 src0_sel:BYTE_0 src1_sel:DWORD
	s_and_saveexec_b32 s48, s2
	s_cbranch_execz .LBB284_186
; %bb.179:                              ;   in Loop: Header=BB284_13 Depth=1
	v_cmp_ne_u16_sdwa s2, v11, v23 src0_sel:BYTE_0 src1_sel:DWORD
	v_mov_b32_e32 v53, 0x8000
	s_and_saveexec_b32 s49, s2
	s_cbranch_execz .LBB284_185
; %bb.180:                              ;   in Loop: Header=BB284_13 Depth=1
	v_and_b32_e32 v54, 0x7f, v11
	v_mov_b32_e32 v53, 0x7c01
	s_mov_b32 s50, exec_lo
	v_cmpx_ne_u32_e32 0x7f, v54
	s_cbranch_execz .LBB284_184
; %bb.181:                              ;   in Loop: Header=BB284_13 Depth=1
	v_and_b32_e32 v3, 7, v11
	v_lshrrev_b32_e32 v53, 3, v54
	s_mov_b32 s51, exec_lo
	v_cmpx_gt_u32_e32 8, v54
; %bb.182:                              ;   in Loop: Header=BB284_13 Depth=1
	v_ffbh_u32_e32 v3, v3
	v_min_u32_e32 v3, 32, v3
	v_subrev_nc_u32_e32 v13, 28, v3
	v_sub_nc_u32_e32 v53, 29, v3
	v_lshlrev_b64 v[54:55], v13, v[11:12]
	v_and_b32_e32 v3, 7, v54
; %bb.183:                              ;   in Loop: Header=BB284_13 Depth=1
	s_or_b32 exec_lo, exec_lo, s51
	v_lshlrev_b32_e32 v13, 8, v11
	v_lshl_add_u32 v14, v53, 10, 0x2000
	v_lshlrev_b32_e32 v3, 7, v3
	v_and_b32_e32 v13, 0x8000, v13
	v_and_b32_e32 v14, 0xfc00, v14
	v_or3_b32 v53, v13, v14, v3
.LBB284_184:                            ;   in Loop: Header=BB284_13 Depth=1
	s_or_b32 exec_lo, exec_lo, s50
.LBB284_185:                            ;   in Loop: Header=BB284_13 Depth=1
	s_or_b32 exec_lo, exec_lo, s49
.LBB284_186:                            ;   in Loop: Header=BB284_13 Depth=1
	s_or_b32 exec_lo, exec_lo, s48
	v_lshrrev_b16 v3, 8, v11
	s_mov_b32 s48, exec_lo
	v_cmpx_ne_u16_e32 0, v3
	s_cbranch_execz .LBB284_194
; %bb.187:                              ;   in Loop: Header=BB284_13 Depth=1
	v_bfrev_b32_e32 v52, 1
	s_mov_b32 s49, exec_lo
	v_cmpx_ne_u16_e32 0x80, v3
	s_cbranch_execz .LBB284_193
; %bb.188:                              ;   in Loop: Header=BB284_13 Depth=1
	v_and_b32_sdwa v55, v3, v24 dst_sel:DWORD dst_unused:UNUSED_PAD src0_sel:WORD_0 src1_sel:DWORD
	v_mov_b32_e32 v52, 0x7c010000
	s_mov_b32 s50, exec_lo
	v_cmpx_ne_u32_e32 0x7f, v55
	s_cbranch_execz .LBB284_192
; %bb.189:                              ;   in Loop: Header=BB284_13 Depth=1
	v_and_b32_sdwa v52, v3, v25 dst_sel:DWORD dst_unused:UNUSED_PAD src0_sel:WORD_0 src1_sel:DWORD
	v_lshrrev_b32_e32 v54, 3, v55
	s_mov_b32 s51, exec_lo
	v_cmpx_gt_u32_e32 8, v55
; %bb.190:                              ;   in Loop: Header=BB284_13 Depth=1
	v_ffbh_u32_e32 v13, v52
	v_min_u32_e32 v13, 32, v13
	v_subrev_nc_u32_e32 v14, 28, v13
	v_sub_nc_u32_e32 v54, 29, v13
	v_lshlrev_b64 v[55:56], v14, v[3:4]
	v_and_b32_e32 v52, 7, v55
; %bb.191:                              ;   in Loop: Header=BB284_13 Depth=1
	s_or_b32 exec_lo, exec_lo, s51
	v_lshlrev_b32_sdwa v3, v26, v3 dst_sel:DWORD dst_unused:UNUSED_PAD src0_sel:DWORD src1_sel:WORD_0
	v_lshl_add_u32 v13, v54, 10, 0x2000
	v_and_or_b32 v3, 0x8000, v3, v13
	v_lshlrev_b32_e32 v13, 23, v52
	v_lshl_or_b32 v52, v3, 16, v13
.LBB284_192:                            ;   in Loop: Header=BB284_13 Depth=1
	s_or_b32 exec_lo, exec_lo, s50
.LBB284_193:                            ;   in Loop: Header=BB284_13 Depth=1
	s_or_b32 exec_lo, exec_lo, s49
.LBB284_194:                            ;   in Loop: Header=BB284_13 Depth=1
	s_or_b32 exec_lo, exec_lo, s48
	v_lshrrev_b32_e32 v3, 16, v11
	v_mov_b32_e32 v54, 0
	v_mov_b32_e32 v55, 0
	v_cmp_ne_u16_sdwa s2, v3, v4 src0_sel:BYTE_0 src1_sel:DWORD
	s_and_saveexec_b32 s48, s2
	s_cbranch_execz .LBB284_202
; %bb.195:                              ;   in Loop: Header=BB284_13 Depth=1
	v_cmp_ne_u16_sdwa s2, v3, v23 src0_sel:BYTE_0 src1_sel:DWORD
	v_mov_b32_e32 v55, 0x8000
	s_and_saveexec_b32 s49, s2
	s_cbranch_execz .LBB284_201
; %bb.196:                              ;   in Loop: Header=BB284_13 Depth=1
	v_bfe_u32 v57, v11, 16, 7
	v_mov_b32_e32 v55, 0x7c01
	s_mov_b32 s50, exec_lo
	v_cmpx_ne_u32_e32 0x7f, v57
	s_cbranch_execz .LBB284_200
; %bb.197:                              ;   in Loop: Header=BB284_13 Depth=1
	v_and_b32_e32 v55, 7, v3
	v_lshrrev_b32_e32 v56, 3, v57
	s_mov_b32 s51, exec_lo
	v_cmpx_gt_u32_e32 8, v57
; %bb.198:                              ;   in Loop: Header=BB284_13 Depth=1
	v_ffbh_u32_e32 v13, v55
	v_min_u32_e32 v13, 32, v13
	v_subrev_nc_u32_e32 v14, 28, v13
	v_lshlrev_b64 v[55:56], v14, v[3:4]
	v_sub_nc_u32_e32 v56, 29, v13
	v_and_b32_e32 v55, 7, v55
; %bb.199:                              ;   in Loop: Header=BB284_13 Depth=1
	s_or_b32 exec_lo, exec_lo, s51
	v_lshlrev_b32_e32 v3, 8, v3
	v_lshl_add_u32 v13, v56, 10, 0x2000
	v_lshlrev_b32_e32 v14, 7, v55
	v_and_b32_e32 v3, 0x8000, v3
	v_and_b32_e32 v13, 0xfc00, v13
	v_or3_b32 v55, v3, v13, v14
.LBB284_200:                            ;   in Loop: Header=BB284_13 Depth=1
	s_or_b32 exec_lo, exec_lo, s50
.LBB284_201:                            ;   in Loop: Header=BB284_13 Depth=1
	s_or_b32 exec_lo, exec_lo, s49
.LBB284_202:                            ;   in Loop: Header=BB284_13 Depth=1
	s_or_b32 exec_lo, exec_lo, s48
	s_mov_b32 s48, exec_lo
	v_cmpx_lt_u32_e32 0xffffff, v11
	s_cbranch_execz .LBB284_210
; %bb.203:                              ;   in Loop: Header=BB284_13 Depth=1
	v_lshrrev_b32_e32 v3, 24, v11
	v_bfrev_b32_e32 v54, 1
	s_mov_b32 s49, exec_lo
	v_cmpx_ne_u32_e32 0x80, v3
	s_cbranch_execz .LBB284_209
; %bb.204:                              ;   in Loop: Header=BB284_13 Depth=1
	v_and_b32_e32 v56, 0x7f, v3
	v_mov_b32_e32 v54, 0x7c010000
	s_mov_b32 s50, exec_lo
	v_cmpx_ne_u32_e32 0x7f, v56
	s_cbranch_execz .LBB284_208
; %bb.205:                              ;   in Loop: Header=BB284_13 Depth=1
	v_and_b32_e32 v11, 7, v3
	v_lshrrev_b32_e32 v54, 3, v56
	s_mov_b32 s51, exec_lo
	v_cmpx_gt_u32_e32 8, v56
; %bb.206:                              ;   in Loop: Header=BB284_13 Depth=1
	v_ffbh_u32_e32 v11, v11
	v_min_u32_e32 v11, 32, v11
	v_subrev_nc_u32_e32 v13, 28, v11
	v_sub_nc_u32_e32 v54, 29, v11
	v_lshlrev_b64 v[56:57], v13, v[3:4]
	v_and_b32_e32 v11, 7, v56
; %bb.207:                              ;   in Loop: Header=BB284_13 Depth=1
	s_or_b32 exec_lo, exec_lo, s51
	v_lshlrev_b32_e32 v3, 8, v3
	v_lshl_add_u32 v13, v54, 10, 0x2000
	v_lshlrev_b32_e32 v11, 23, v11
	v_and_or_b32 v3, 0x8000, v3, v13
	v_lshl_or_b32 v54, v3, 16, v11
.LBB284_208:                            ;   in Loop: Header=BB284_13 Depth=1
	s_or_b32 exec_lo, exec_lo, s50
.LBB284_209:                            ;   in Loop: Header=BB284_13 Depth=1
	s_or_b32 exec_lo, exec_lo, s49
.LBB284_210:                            ;   in Loop: Header=BB284_13 Depth=1
	s_or_b32 exec_lo, exec_lo, s48
	global_load_dword v11, v[9:10], off offset:768
	v_mov_b32_e32 v56, 0
	v_mov_b32_e32 v57, 0
	s_waitcnt vmcnt(0)
	v_cmp_ne_u16_sdwa s2, v11, v4 src0_sel:BYTE_0 src1_sel:DWORD
	s_and_saveexec_b32 s48, s2
	s_cbranch_execz .LBB284_218
; %bb.211:                              ;   in Loop: Header=BB284_13 Depth=1
	v_cmp_ne_u16_sdwa s2, v11, v23 src0_sel:BYTE_0 src1_sel:DWORD
	v_mov_b32_e32 v57, 0x8000
	s_and_saveexec_b32 s49, s2
	s_cbranch_execz .LBB284_217
; %bb.212:                              ;   in Loop: Header=BB284_13 Depth=1
	v_and_b32_e32 v58, 0x7f, v11
	v_mov_b32_e32 v57, 0x7c01
	s_mov_b32 s50, exec_lo
	v_cmpx_ne_u32_e32 0x7f, v58
	s_cbranch_execz .LBB284_216
; %bb.213:                              ;   in Loop: Header=BB284_13 Depth=1
	v_and_b32_e32 v3, 7, v11
	v_lshrrev_b32_e32 v57, 3, v58
	s_mov_b32 s51, exec_lo
	v_cmpx_gt_u32_e32 8, v58
; %bb.214:                              ;   in Loop: Header=BB284_13 Depth=1
	v_ffbh_u32_e32 v3, v3
	v_min_u32_e32 v3, 32, v3
	v_subrev_nc_u32_e32 v13, 28, v3
	v_sub_nc_u32_e32 v57, 29, v3
	v_lshlrev_b64 v[58:59], v13, v[11:12]
	v_and_b32_e32 v3, 7, v58
; %bb.215:                              ;   in Loop: Header=BB284_13 Depth=1
	s_or_b32 exec_lo, exec_lo, s51
	v_lshlrev_b32_e32 v13, 8, v11
	v_lshl_add_u32 v14, v57, 10, 0x2000
	v_lshlrev_b32_e32 v3, 7, v3
	v_and_b32_e32 v13, 0x8000, v13
	v_and_b32_e32 v14, 0xfc00, v14
	v_or3_b32 v57, v13, v14, v3
.LBB284_216:                            ;   in Loop: Header=BB284_13 Depth=1
	s_or_b32 exec_lo, exec_lo, s50
.LBB284_217:                            ;   in Loop: Header=BB284_13 Depth=1
	s_or_b32 exec_lo, exec_lo, s49
.LBB284_218:                            ;   in Loop: Header=BB284_13 Depth=1
	s_or_b32 exec_lo, exec_lo, s48
	v_lshrrev_b16 v3, 8, v11
	s_mov_b32 s48, exec_lo
	v_cmpx_ne_u16_e32 0, v3
	s_cbranch_execz .LBB284_226
; %bb.219:                              ;   in Loop: Header=BB284_13 Depth=1
	v_bfrev_b32_e32 v56, 1
	s_mov_b32 s49, exec_lo
	v_cmpx_ne_u16_e32 0x80, v3
	s_cbranch_execz .LBB284_225
; %bb.220:                              ;   in Loop: Header=BB284_13 Depth=1
	v_and_b32_sdwa v59, v3, v24 dst_sel:DWORD dst_unused:UNUSED_PAD src0_sel:WORD_0 src1_sel:DWORD
	v_mov_b32_e32 v56, 0x7c010000
	s_mov_b32 s50, exec_lo
	v_cmpx_ne_u32_e32 0x7f, v59
	s_cbranch_execz .LBB284_224
; %bb.221:                              ;   in Loop: Header=BB284_13 Depth=1
	v_and_b32_sdwa v56, v3, v25 dst_sel:DWORD dst_unused:UNUSED_PAD src0_sel:WORD_0 src1_sel:DWORD
	v_lshrrev_b32_e32 v58, 3, v59
	s_mov_b32 s51, exec_lo
	v_cmpx_gt_u32_e32 8, v59
; %bb.222:                              ;   in Loop: Header=BB284_13 Depth=1
	v_ffbh_u32_e32 v13, v56
	v_min_u32_e32 v13, 32, v13
	v_subrev_nc_u32_e32 v14, 28, v13
	v_sub_nc_u32_e32 v58, 29, v13
	v_lshlrev_b64 v[59:60], v14, v[3:4]
	v_and_b32_e32 v56, 7, v59
; %bb.223:                              ;   in Loop: Header=BB284_13 Depth=1
	s_or_b32 exec_lo, exec_lo, s51
	v_lshlrev_b32_sdwa v3, v26, v3 dst_sel:DWORD dst_unused:UNUSED_PAD src0_sel:DWORD src1_sel:WORD_0
	v_lshl_add_u32 v13, v58, 10, 0x2000
	v_and_or_b32 v3, 0x8000, v3, v13
	v_lshlrev_b32_e32 v13, 23, v56
	v_lshl_or_b32 v56, v3, 16, v13
.LBB284_224:                            ;   in Loop: Header=BB284_13 Depth=1
	s_or_b32 exec_lo, exec_lo, s50
.LBB284_225:                            ;   in Loop: Header=BB284_13 Depth=1
	s_or_b32 exec_lo, exec_lo, s49
.LBB284_226:                            ;   in Loop: Header=BB284_13 Depth=1
	s_or_b32 exec_lo, exec_lo, s48
	v_lshrrev_b32_e32 v3, 16, v11
	v_mov_b32_e32 v58, 0
	v_mov_b32_e32 v59, 0
	v_cmp_ne_u16_sdwa s2, v3, v4 src0_sel:BYTE_0 src1_sel:DWORD
	s_and_saveexec_b32 s48, s2
	s_cbranch_execz .LBB284_234
; %bb.227:                              ;   in Loop: Header=BB284_13 Depth=1
	v_cmp_ne_u16_sdwa s2, v3, v23 src0_sel:BYTE_0 src1_sel:DWORD
	v_mov_b32_e32 v59, 0x8000
	s_and_saveexec_b32 s49, s2
	s_cbranch_execz .LBB284_233
; %bb.228:                              ;   in Loop: Header=BB284_13 Depth=1
	v_bfe_u32 v61, v11, 16, 7
	v_mov_b32_e32 v59, 0x7c01
	s_mov_b32 s50, exec_lo
	v_cmpx_ne_u32_e32 0x7f, v61
	s_cbranch_execz .LBB284_232
; %bb.229:                              ;   in Loop: Header=BB284_13 Depth=1
	v_and_b32_e32 v59, 7, v3
	v_lshrrev_b32_e32 v60, 3, v61
	s_mov_b32 s51, exec_lo
	v_cmpx_gt_u32_e32 8, v61
; %bb.230:                              ;   in Loop: Header=BB284_13 Depth=1
	v_ffbh_u32_e32 v13, v59
	v_min_u32_e32 v13, 32, v13
	v_subrev_nc_u32_e32 v14, 28, v13
	v_lshlrev_b64 v[59:60], v14, v[3:4]
	v_sub_nc_u32_e32 v60, 29, v13
	v_and_b32_e32 v59, 7, v59
; %bb.231:                              ;   in Loop: Header=BB284_13 Depth=1
	s_or_b32 exec_lo, exec_lo, s51
	v_lshlrev_b32_e32 v3, 8, v3
	v_lshl_add_u32 v13, v60, 10, 0x2000
	v_lshlrev_b32_e32 v14, 7, v59
	v_and_b32_e32 v3, 0x8000, v3
	v_and_b32_e32 v13, 0xfc00, v13
	v_or3_b32 v59, v3, v13, v14
.LBB284_232:                            ;   in Loop: Header=BB284_13 Depth=1
	s_or_b32 exec_lo, exec_lo, s50
.LBB284_233:                            ;   in Loop: Header=BB284_13 Depth=1
	s_or_b32 exec_lo, exec_lo, s49
.LBB284_234:                            ;   in Loop: Header=BB284_13 Depth=1
	s_or_b32 exec_lo, exec_lo, s48
	s_mov_b32 s48, exec_lo
	v_cmpx_lt_u32_e32 0xffffff, v11
	s_cbranch_execz .LBB284_242
; %bb.235:                              ;   in Loop: Header=BB284_13 Depth=1
	v_lshrrev_b32_e32 v3, 24, v11
	v_bfrev_b32_e32 v58, 1
	s_mov_b32 s49, exec_lo
	v_cmpx_ne_u32_e32 0x80, v3
	s_cbranch_execz .LBB284_241
; %bb.236:                              ;   in Loop: Header=BB284_13 Depth=1
	v_and_b32_e32 v60, 0x7f, v3
	v_mov_b32_e32 v58, 0x7c010000
	s_mov_b32 s50, exec_lo
	v_cmpx_ne_u32_e32 0x7f, v60
	s_cbranch_execz .LBB284_240
; %bb.237:                              ;   in Loop: Header=BB284_13 Depth=1
	v_and_b32_e32 v11, 7, v3
	v_lshrrev_b32_e32 v58, 3, v60
	s_mov_b32 s51, exec_lo
	v_cmpx_gt_u32_e32 8, v60
; %bb.238:                              ;   in Loop: Header=BB284_13 Depth=1
	v_ffbh_u32_e32 v11, v11
	v_min_u32_e32 v11, 32, v11
	v_subrev_nc_u32_e32 v13, 28, v11
	v_sub_nc_u32_e32 v58, 29, v11
	v_lshlrev_b64 v[60:61], v13, v[3:4]
	v_and_b32_e32 v11, 7, v60
; %bb.239:                              ;   in Loop: Header=BB284_13 Depth=1
	s_or_b32 exec_lo, exec_lo, s51
	v_lshlrev_b32_e32 v3, 8, v3
	v_lshl_add_u32 v13, v58, 10, 0x2000
	v_lshlrev_b32_e32 v11, 23, v11
	v_and_or_b32 v3, 0x8000, v3, v13
	v_lshl_or_b32 v58, v3, 16, v11
.LBB284_240:                            ;   in Loop: Header=BB284_13 Depth=1
	s_or_b32 exec_lo, exec_lo, s50
.LBB284_241:                            ;   in Loop: Header=BB284_13 Depth=1
	s_or_b32 exec_lo, exec_lo, s49
.LBB284_242:                            ;   in Loop: Header=BB284_13 Depth=1
	s_or_b32 exec_lo, exec_lo, s48
	global_load_dword v11, v[9:10], off offset:776
	v_mov_b32_e32 v60, 0
	v_mov_b32_e32 v61, 0
	s_waitcnt vmcnt(0)
	v_cmp_ne_u16_sdwa s2, v11, v4 src0_sel:BYTE_0 src1_sel:DWORD
	s_and_saveexec_b32 s48, s2
	s_cbranch_execz .LBB284_250
; %bb.243:                              ;   in Loop: Header=BB284_13 Depth=1
	v_cmp_ne_u16_sdwa s2, v11, v23 src0_sel:BYTE_0 src1_sel:DWORD
	v_mov_b32_e32 v61, 0x8000
	s_and_saveexec_b32 s49, s2
	s_cbranch_execz .LBB284_249
; %bb.244:                              ;   in Loop: Header=BB284_13 Depth=1
	v_and_b32_e32 v62, 0x7f, v11
	v_mov_b32_e32 v61, 0x7c01
	s_mov_b32 s50, exec_lo
	v_cmpx_ne_u32_e32 0x7f, v62
	s_cbranch_execz .LBB284_248
; %bb.245:                              ;   in Loop: Header=BB284_13 Depth=1
	v_and_b32_e32 v3, 7, v11
	v_lshrrev_b32_e32 v61, 3, v62
	s_mov_b32 s51, exec_lo
	v_cmpx_gt_u32_e32 8, v62
; %bb.246:                              ;   in Loop: Header=BB284_13 Depth=1
	v_ffbh_u32_e32 v3, v3
	v_min_u32_e32 v3, 32, v3
	v_subrev_nc_u32_e32 v13, 28, v3
	v_sub_nc_u32_e32 v61, 29, v3
	v_lshlrev_b64 v[62:63], v13, v[11:12]
	v_and_b32_e32 v3, 7, v62
; %bb.247:                              ;   in Loop: Header=BB284_13 Depth=1
	s_or_b32 exec_lo, exec_lo, s51
	v_lshlrev_b32_e32 v13, 8, v11
	v_lshl_add_u32 v14, v61, 10, 0x2000
	v_lshlrev_b32_e32 v3, 7, v3
	v_and_b32_e32 v13, 0x8000, v13
	v_and_b32_e32 v14, 0xfc00, v14
	v_or3_b32 v61, v13, v14, v3
.LBB284_248:                            ;   in Loop: Header=BB284_13 Depth=1
	s_or_b32 exec_lo, exec_lo, s50
.LBB284_249:                            ;   in Loop: Header=BB284_13 Depth=1
	s_or_b32 exec_lo, exec_lo, s49
.LBB284_250:                            ;   in Loop: Header=BB284_13 Depth=1
	s_or_b32 exec_lo, exec_lo, s48
	v_lshrrev_b16 v3, 8, v11
	s_mov_b32 s48, exec_lo
	v_cmpx_ne_u16_e32 0, v3
	s_cbranch_execz .LBB284_258
; %bb.251:                              ;   in Loop: Header=BB284_13 Depth=1
	v_bfrev_b32_e32 v60, 1
	s_mov_b32 s49, exec_lo
	v_cmpx_ne_u16_e32 0x80, v3
	s_cbranch_execz .LBB284_257
; %bb.252:                              ;   in Loop: Header=BB284_13 Depth=1
	v_and_b32_sdwa v63, v3, v24 dst_sel:DWORD dst_unused:UNUSED_PAD src0_sel:WORD_0 src1_sel:DWORD
	v_mov_b32_e32 v60, 0x7c010000
	s_mov_b32 s50, exec_lo
	v_cmpx_ne_u32_e32 0x7f, v63
	s_cbranch_execz .LBB284_256
; %bb.253:                              ;   in Loop: Header=BB284_13 Depth=1
	v_and_b32_sdwa v60, v3, v25 dst_sel:DWORD dst_unused:UNUSED_PAD src0_sel:WORD_0 src1_sel:DWORD
	v_lshrrev_b32_e32 v62, 3, v63
	s_mov_b32 s51, exec_lo
	v_cmpx_gt_u32_e32 8, v63
; %bb.254:                              ;   in Loop: Header=BB284_13 Depth=1
	v_ffbh_u32_e32 v13, v60
	v_min_u32_e32 v13, 32, v13
	v_subrev_nc_u32_e32 v14, 28, v13
	v_sub_nc_u32_e32 v62, 29, v13
	v_lshlrev_b64 v[63:64], v14, v[3:4]
	v_and_b32_e32 v60, 7, v63
; %bb.255:                              ;   in Loop: Header=BB284_13 Depth=1
	s_or_b32 exec_lo, exec_lo, s51
	v_lshlrev_b32_sdwa v3, v26, v3 dst_sel:DWORD dst_unused:UNUSED_PAD src0_sel:DWORD src1_sel:WORD_0
	v_lshl_add_u32 v13, v62, 10, 0x2000
	v_and_or_b32 v3, 0x8000, v3, v13
	v_lshlrev_b32_e32 v13, 23, v60
	v_lshl_or_b32 v60, v3, 16, v13
.LBB284_256:                            ;   in Loop: Header=BB284_13 Depth=1
	s_or_b32 exec_lo, exec_lo, s50
.LBB284_257:                            ;   in Loop: Header=BB284_13 Depth=1
	s_or_b32 exec_lo, exec_lo, s49
.LBB284_258:                            ;   in Loop: Header=BB284_13 Depth=1
	s_or_b32 exec_lo, exec_lo, s48
	v_lshrrev_b32_e32 v3, 16, v11
	v_mov_b32_e32 v62, 0
	v_mov_b32_e32 v63, 0
	v_cmp_ne_u16_sdwa s2, v3, v4 src0_sel:BYTE_0 src1_sel:DWORD
	s_and_saveexec_b32 s48, s2
	s_cbranch_execz .LBB284_266
; %bb.259:                              ;   in Loop: Header=BB284_13 Depth=1
	v_cmp_ne_u16_sdwa s2, v3, v23 src0_sel:BYTE_0 src1_sel:DWORD
	v_mov_b32_e32 v63, 0x8000
	s_and_saveexec_b32 s49, s2
	s_cbranch_execz .LBB284_265
; %bb.260:                              ;   in Loop: Header=BB284_13 Depth=1
	v_bfe_u32 v65, v11, 16, 7
	v_mov_b32_e32 v63, 0x7c01
	s_mov_b32 s50, exec_lo
	v_cmpx_ne_u32_e32 0x7f, v65
	s_cbranch_execz .LBB284_264
; %bb.261:                              ;   in Loop: Header=BB284_13 Depth=1
	v_and_b32_e32 v63, 7, v3
	v_lshrrev_b32_e32 v64, 3, v65
	s_mov_b32 s51, exec_lo
	v_cmpx_gt_u32_e32 8, v65
; %bb.262:                              ;   in Loop: Header=BB284_13 Depth=1
	v_ffbh_u32_e32 v13, v63
	v_min_u32_e32 v13, 32, v13
	v_subrev_nc_u32_e32 v14, 28, v13
	v_lshlrev_b64 v[63:64], v14, v[3:4]
	v_sub_nc_u32_e32 v64, 29, v13
	v_and_b32_e32 v63, 7, v63
; %bb.263:                              ;   in Loop: Header=BB284_13 Depth=1
	s_or_b32 exec_lo, exec_lo, s51
	v_lshlrev_b32_e32 v3, 8, v3
	v_lshl_add_u32 v13, v64, 10, 0x2000
	v_lshlrev_b32_e32 v14, 7, v63
	v_and_b32_e32 v3, 0x8000, v3
	v_and_b32_e32 v13, 0xfc00, v13
	v_or3_b32 v63, v3, v13, v14
.LBB284_264:                            ;   in Loop: Header=BB284_13 Depth=1
	s_or_b32 exec_lo, exec_lo, s50
.LBB284_265:                            ;   in Loop: Header=BB284_13 Depth=1
	s_or_b32 exec_lo, exec_lo, s49
.LBB284_266:                            ;   in Loop: Header=BB284_13 Depth=1
	s_or_b32 exec_lo, exec_lo, s48
	s_mov_b32 s48, exec_lo
	v_cmpx_lt_u32_e32 0xffffff, v11
	s_cbranch_execz .LBB284_274
; %bb.267:                              ;   in Loop: Header=BB284_13 Depth=1
	v_lshrrev_b32_e32 v3, 24, v11
	v_bfrev_b32_e32 v62, 1
	s_mov_b32 s49, exec_lo
	v_cmpx_ne_u32_e32 0x80, v3
	s_cbranch_execz .LBB284_273
; %bb.268:                              ;   in Loop: Header=BB284_13 Depth=1
	v_and_b32_e32 v64, 0x7f, v3
	v_mov_b32_e32 v62, 0x7c010000
	s_mov_b32 s50, exec_lo
	v_cmpx_ne_u32_e32 0x7f, v64
	s_cbranch_execz .LBB284_272
; %bb.269:                              ;   in Loop: Header=BB284_13 Depth=1
	v_and_b32_e32 v11, 7, v3
	v_lshrrev_b32_e32 v62, 3, v64
	s_mov_b32 s51, exec_lo
	v_cmpx_gt_u32_e32 8, v64
; %bb.270:                              ;   in Loop: Header=BB284_13 Depth=1
	v_ffbh_u32_e32 v11, v11
	v_min_u32_e32 v11, 32, v11
	v_subrev_nc_u32_e32 v13, 28, v11
	v_sub_nc_u32_e32 v62, 29, v11
	v_lshlrev_b64 v[64:65], v13, v[3:4]
	v_and_b32_e32 v11, 7, v64
; %bb.271:                              ;   in Loop: Header=BB284_13 Depth=1
	s_or_b32 exec_lo, exec_lo, s51
	v_lshlrev_b32_e32 v3, 8, v3
	v_lshl_add_u32 v13, v62, 10, 0x2000
	v_lshlrev_b32_e32 v11, 23, v11
	v_and_or_b32 v3, 0x8000, v3, v13
	v_lshl_or_b32 v62, v3, 16, v11
.LBB284_272:                            ;   in Loop: Header=BB284_13 Depth=1
	s_or_b32 exec_lo, exec_lo, s50
.LBB284_273:                            ;   in Loop: Header=BB284_13 Depth=1
	s_or_b32 exec_lo, exec_lo, s49
.LBB284_274:                            ;   in Loop: Header=BB284_13 Depth=1
	s_or_b32 exec_lo, exec_lo, s48
	global_load_dword v11, v[9:10], off offset:1024
	v_mov_b32_e32 v64, 0
	v_mov_b32_e32 v65, 0
	s_waitcnt vmcnt(0)
	v_cmp_ne_u16_sdwa s2, v11, v4 src0_sel:BYTE_0 src1_sel:DWORD
	s_and_saveexec_b32 s48, s2
	s_cbranch_execz .LBB284_282
; %bb.275:                              ;   in Loop: Header=BB284_13 Depth=1
	v_cmp_ne_u16_sdwa s2, v11, v23 src0_sel:BYTE_0 src1_sel:DWORD
	v_mov_b32_e32 v65, 0x8000
	s_and_saveexec_b32 s49, s2
	s_cbranch_execz .LBB284_281
; %bb.276:                              ;   in Loop: Header=BB284_13 Depth=1
	v_and_b32_e32 v66, 0x7f, v11
	v_mov_b32_e32 v65, 0x7c01
	s_mov_b32 s50, exec_lo
	v_cmpx_ne_u32_e32 0x7f, v66
	s_cbranch_execz .LBB284_280
; %bb.277:                              ;   in Loop: Header=BB284_13 Depth=1
	v_and_b32_e32 v3, 7, v11
	v_lshrrev_b32_e32 v65, 3, v66
	s_mov_b32 s51, exec_lo
	v_cmpx_gt_u32_e32 8, v66
; %bb.278:                              ;   in Loop: Header=BB284_13 Depth=1
	v_ffbh_u32_e32 v3, v3
	v_min_u32_e32 v3, 32, v3
	v_subrev_nc_u32_e32 v13, 28, v3
	v_sub_nc_u32_e32 v65, 29, v3
	v_lshlrev_b64 v[66:67], v13, v[11:12]
	v_and_b32_e32 v3, 7, v66
; %bb.279:                              ;   in Loop: Header=BB284_13 Depth=1
	s_or_b32 exec_lo, exec_lo, s51
	v_lshlrev_b32_e32 v13, 8, v11
	v_lshl_add_u32 v14, v65, 10, 0x2000
	v_lshlrev_b32_e32 v3, 7, v3
	v_and_b32_e32 v13, 0x8000, v13
	v_and_b32_e32 v14, 0xfc00, v14
	v_or3_b32 v65, v13, v14, v3
.LBB284_280:                            ;   in Loop: Header=BB284_13 Depth=1
	s_or_b32 exec_lo, exec_lo, s50
.LBB284_281:                            ;   in Loop: Header=BB284_13 Depth=1
	s_or_b32 exec_lo, exec_lo, s49
.LBB284_282:                            ;   in Loop: Header=BB284_13 Depth=1
	s_or_b32 exec_lo, exec_lo, s48
	v_lshrrev_b16 v3, 8, v11
	s_mov_b32 s48, exec_lo
	v_cmpx_ne_u16_e32 0, v3
	s_cbranch_execz .LBB284_290
; %bb.283:                              ;   in Loop: Header=BB284_13 Depth=1
	v_bfrev_b32_e32 v64, 1
	s_mov_b32 s49, exec_lo
	v_cmpx_ne_u16_e32 0x80, v3
	s_cbranch_execz .LBB284_289
; %bb.284:                              ;   in Loop: Header=BB284_13 Depth=1
	v_and_b32_sdwa v67, v3, v24 dst_sel:DWORD dst_unused:UNUSED_PAD src0_sel:WORD_0 src1_sel:DWORD
	v_mov_b32_e32 v64, 0x7c010000
	s_mov_b32 s50, exec_lo
	v_cmpx_ne_u32_e32 0x7f, v67
	s_cbranch_execz .LBB284_288
; %bb.285:                              ;   in Loop: Header=BB284_13 Depth=1
	v_and_b32_sdwa v64, v3, v25 dst_sel:DWORD dst_unused:UNUSED_PAD src0_sel:WORD_0 src1_sel:DWORD
	v_lshrrev_b32_e32 v66, 3, v67
	s_mov_b32 s51, exec_lo
	v_cmpx_gt_u32_e32 8, v67
; %bb.286:                              ;   in Loop: Header=BB284_13 Depth=1
	v_ffbh_u32_e32 v13, v64
	v_min_u32_e32 v13, 32, v13
	v_subrev_nc_u32_e32 v14, 28, v13
	v_sub_nc_u32_e32 v66, 29, v13
	v_lshlrev_b64 v[67:68], v14, v[3:4]
	v_and_b32_e32 v64, 7, v67
; %bb.287:                              ;   in Loop: Header=BB284_13 Depth=1
	s_or_b32 exec_lo, exec_lo, s51
	v_lshlrev_b32_sdwa v3, v26, v3 dst_sel:DWORD dst_unused:UNUSED_PAD src0_sel:DWORD src1_sel:WORD_0
	v_lshl_add_u32 v13, v66, 10, 0x2000
	v_and_or_b32 v3, 0x8000, v3, v13
	v_lshlrev_b32_e32 v13, 23, v64
	v_lshl_or_b32 v64, v3, 16, v13
.LBB284_288:                            ;   in Loop: Header=BB284_13 Depth=1
	s_or_b32 exec_lo, exec_lo, s50
.LBB284_289:                            ;   in Loop: Header=BB284_13 Depth=1
	s_or_b32 exec_lo, exec_lo, s49
.LBB284_290:                            ;   in Loop: Header=BB284_13 Depth=1
	s_or_b32 exec_lo, exec_lo, s48
	v_lshrrev_b32_e32 v3, 16, v11
	v_mov_b32_e32 v66, 0
	v_mov_b32_e32 v67, 0
	v_cmp_ne_u16_sdwa s2, v3, v4 src0_sel:BYTE_0 src1_sel:DWORD
	s_and_saveexec_b32 s48, s2
	s_cbranch_execz .LBB284_298
; %bb.291:                              ;   in Loop: Header=BB284_13 Depth=1
	v_cmp_ne_u16_sdwa s2, v3, v23 src0_sel:BYTE_0 src1_sel:DWORD
	v_mov_b32_e32 v67, 0x8000
	s_and_saveexec_b32 s49, s2
	s_cbranch_execz .LBB284_297
; %bb.292:                              ;   in Loop: Header=BB284_13 Depth=1
	v_bfe_u32 v69, v11, 16, 7
	v_mov_b32_e32 v67, 0x7c01
	s_mov_b32 s50, exec_lo
	v_cmpx_ne_u32_e32 0x7f, v69
	s_cbranch_execz .LBB284_296
; %bb.293:                              ;   in Loop: Header=BB284_13 Depth=1
	v_and_b32_e32 v67, 7, v3
	v_lshrrev_b32_e32 v68, 3, v69
	s_mov_b32 s51, exec_lo
	v_cmpx_gt_u32_e32 8, v69
; %bb.294:                              ;   in Loop: Header=BB284_13 Depth=1
	v_ffbh_u32_e32 v13, v67
	v_min_u32_e32 v13, 32, v13
	v_subrev_nc_u32_e32 v14, 28, v13
	v_lshlrev_b64 v[67:68], v14, v[3:4]
	v_sub_nc_u32_e32 v68, 29, v13
	v_and_b32_e32 v67, 7, v67
; %bb.295:                              ;   in Loop: Header=BB284_13 Depth=1
	s_or_b32 exec_lo, exec_lo, s51
	v_lshlrev_b32_e32 v3, 8, v3
	v_lshl_add_u32 v13, v68, 10, 0x2000
	v_lshlrev_b32_e32 v14, 7, v67
	v_and_b32_e32 v3, 0x8000, v3
	v_and_b32_e32 v13, 0xfc00, v13
	v_or3_b32 v67, v3, v13, v14
.LBB284_296:                            ;   in Loop: Header=BB284_13 Depth=1
	s_or_b32 exec_lo, exec_lo, s50
.LBB284_297:                            ;   in Loop: Header=BB284_13 Depth=1
	s_or_b32 exec_lo, exec_lo, s49
.LBB284_298:                            ;   in Loop: Header=BB284_13 Depth=1
	s_or_b32 exec_lo, exec_lo, s48
	s_mov_b32 s48, exec_lo
	v_cmpx_lt_u32_e32 0xffffff, v11
	s_cbranch_execz .LBB284_306
; %bb.299:                              ;   in Loop: Header=BB284_13 Depth=1
	v_lshrrev_b32_e32 v3, 24, v11
	v_bfrev_b32_e32 v66, 1
	s_mov_b32 s49, exec_lo
	v_cmpx_ne_u32_e32 0x80, v3
	s_cbranch_execz .LBB284_305
; %bb.300:                              ;   in Loop: Header=BB284_13 Depth=1
	v_and_b32_e32 v68, 0x7f, v3
	v_mov_b32_e32 v66, 0x7c010000
	s_mov_b32 s50, exec_lo
	v_cmpx_ne_u32_e32 0x7f, v68
	s_cbranch_execz .LBB284_304
; %bb.301:                              ;   in Loop: Header=BB284_13 Depth=1
	v_and_b32_e32 v11, 7, v3
	v_lshrrev_b32_e32 v66, 3, v68
	s_mov_b32 s51, exec_lo
	v_cmpx_gt_u32_e32 8, v68
; %bb.302:                              ;   in Loop: Header=BB284_13 Depth=1
	v_ffbh_u32_e32 v11, v11
	v_min_u32_e32 v11, 32, v11
	v_subrev_nc_u32_e32 v13, 28, v11
	v_sub_nc_u32_e32 v66, 29, v11
	v_lshlrev_b64 v[68:69], v13, v[3:4]
	v_and_b32_e32 v11, 7, v68
; %bb.303:                              ;   in Loop: Header=BB284_13 Depth=1
	s_or_b32 exec_lo, exec_lo, s51
	v_lshlrev_b32_e32 v3, 8, v3
	v_lshl_add_u32 v13, v66, 10, 0x2000
	v_lshlrev_b32_e32 v11, 23, v11
	v_and_or_b32 v3, 0x8000, v3, v13
	v_lshl_or_b32 v66, v3, 16, v11
.LBB284_304:                            ;   in Loop: Header=BB284_13 Depth=1
	s_or_b32 exec_lo, exec_lo, s50
.LBB284_305:                            ;   in Loop: Header=BB284_13 Depth=1
	s_or_b32 exec_lo, exec_lo, s49
.LBB284_306:                            ;   in Loop: Header=BB284_13 Depth=1
	s_or_b32 exec_lo, exec_lo, s48
	global_load_dword v11, v[9:10], off offset:1032
	v_mov_b32_e32 v68, 0
	v_mov_b32_e32 v69, 0
	s_waitcnt vmcnt(0)
	v_cmp_ne_u16_sdwa s2, v11, v4 src0_sel:BYTE_0 src1_sel:DWORD
	s_and_saveexec_b32 s48, s2
	s_cbranch_execz .LBB284_314
; %bb.307:                              ;   in Loop: Header=BB284_13 Depth=1
	v_cmp_ne_u16_sdwa s2, v11, v23 src0_sel:BYTE_0 src1_sel:DWORD
	v_mov_b32_e32 v69, 0x8000
	s_and_saveexec_b32 s49, s2
	s_cbranch_execz .LBB284_313
; %bb.308:                              ;   in Loop: Header=BB284_13 Depth=1
	v_and_b32_e32 v70, 0x7f, v11
	v_mov_b32_e32 v69, 0x7c01
	s_mov_b32 s50, exec_lo
	v_cmpx_ne_u32_e32 0x7f, v70
	s_cbranch_execz .LBB284_312
; %bb.309:                              ;   in Loop: Header=BB284_13 Depth=1
	v_and_b32_e32 v3, 7, v11
	v_lshrrev_b32_e32 v69, 3, v70
	s_mov_b32 s51, exec_lo
	v_cmpx_gt_u32_e32 8, v70
; %bb.310:                              ;   in Loop: Header=BB284_13 Depth=1
	v_ffbh_u32_e32 v3, v3
	v_min_u32_e32 v3, 32, v3
	v_subrev_nc_u32_e32 v13, 28, v3
	v_sub_nc_u32_e32 v69, 29, v3
	v_lshlrev_b64 v[70:71], v13, v[11:12]
	v_and_b32_e32 v3, 7, v70
; %bb.311:                              ;   in Loop: Header=BB284_13 Depth=1
	s_or_b32 exec_lo, exec_lo, s51
	v_lshlrev_b32_e32 v13, 8, v11
	v_lshl_add_u32 v14, v69, 10, 0x2000
	v_lshlrev_b32_e32 v3, 7, v3
	v_and_b32_e32 v13, 0x8000, v13
	v_and_b32_e32 v14, 0xfc00, v14
	v_or3_b32 v69, v13, v14, v3
.LBB284_312:                            ;   in Loop: Header=BB284_13 Depth=1
	s_or_b32 exec_lo, exec_lo, s50
.LBB284_313:                            ;   in Loop: Header=BB284_13 Depth=1
	s_or_b32 exec_lo, exec_lo, s49
.LBB284_314:                            ;   in Loop: Header=BB284_13 Depth=1
	s_or_b32 exec_lo, exec_lo, s48
	v_lshrrev_b16 v3, 8, v11
	s_mov_b32 s48, exec_lo
	v_cmpx_ne_u16_e32 0, v3
	s_cbranch_execz .LBB284_322
; %bb.315:                              ;   in Loop: Header=BB284_13 Depth=1
	v_bfrev_b32_e32 v68, 1
	s_mov_b32 s49, exec_lo
	v_cmpx_ne_u16_e32 0x80, v3
	s_cbranch_execz .LBB284_321
; %bb.316:                              ;   in Loop: Header=BB284_13 Depth=1
	v_and_b32_sdwa v71, v3, v24 dst_sel:DWORD dst_unused:UNUSED_PAD src0_sel:WORD_0 src1_sel:DWORD
	v_mov_b32_e32 v68, 0x7c010000
	s_mov_b32 s50, exec_lo
	v_cmpx_ne_u32_e32 0x7f, v71
	s_cbranch_execz .LBB284_320
; %bb.317:                              ;   in Loop: Header=BB284_13 Depth=1
	v_and_b32_sdwa v68, v3, v25 dst_sel:DWORD dst_unused:UNUSED_PAD src0_sel:WORD_0 src1_sel:DWORD
	v_lshrrev_b32_e32 v70, 3, v71
	s_mov_b32 s51, exec_lo
	v_cmpx_gt_u32_e32 8, v71
; %bb.318:                              ;   in Loop: Header=BB284_13 Depth=1
	v_ffbh_u32_e32 v13, v68
	v_min_u32_e32 v13, 32, v13
	v_subrev_nc_u32_e32 v14, 28, v13
	v_sub_nc_u32_e32 v70, 29, v13
	v_lshlrev_b64 v[71:72], v14, v[3:4]
	v_and_b32_e32 v68, 7, v71
; %bb.319:                              ;   in Loop: Header=BB284_13 Depth=1
	s_or_b32 exec_lo, exec_lo, s51
	v_lshlrev_b32_sdwa v3, v26, v3 dst_sel:DWORD dst_unused:UNUSED_PAD src0_sel:DWORD src1_sel:WORD_0
	v_lshl_add_u32 v13, v70, 10, 0x2000
	v_and_or_b32 v3, 0x8000, v3, v13
	v_lshlrev_b32_e32 v13, 23, v68
	v_lshl_or_b32 v68, v3, 16, v13
.LBB284_320:                            ;   in Loop: Header=BB284_13 Depth=1
	s_or_b32 exec_lo, exec_lo, s50
.LBB284_321:                            ;   in Loop: Header=BB284_13 Depth=1
	s_or_b32 exec_lo, exec_lo, s49
.LBB284_322:                            ;   in Loop: Header=BB284_13 Depth=1
	s_or_b32 exec_lo, exec_lo, s48
	v_lshrrev_b32_e32 v3, 16, v11
	v_mov_b32_e32 v70, 0
	v_mov_b32_e32 v71, 0
	v_cmp_ne_u16_sdwa s2, v3, v4 src0_sel:BYTE_0 src1_sel:DWORD
	s_and_saveexec_b32 s48, s2
	s_cbranch_execz .LBB284_330
; %bb.323:                              ;   in Loop: Header=BB284_13 Depth=1
	v_cmp_ne_u16_sdwa s2, v3, v23 src0_sel:BYTE_0 src1_sel:DWORD
	v_mov_b32_e32 v71, 0x8000
	s_and_saveexec_b32 s49, s2
	s_cbranch_execz .LBB284_329
; %bb.324:                              ;   in Loop: Header=BB284_13 Depth=1
	v_bfe_u32 v73, v11, 16, 7
	v_mov_b32_e32 v71, 0x7c01
	s_mov_b32 s50, exec_lo
	v_cmpx_ne_u32_e32 0x7f, v73
	s_cbranch_execz .LBB284_328
; %bb.325:                              ;   in Loop: Header=BB284_13 Depth=1
	v_and_b32_e32 v71, 7, v3
	v_lshrrev_b32_e32 v72, 3, v73
	s_mov_b32 s51, exec_lo
	v_cmpx_gt_u32_e32 8, v73
; %bb.326:                              ;   in Loop: Header=BB284_13 Depth=1
	v_ffbh_u32_e32 v13, v71
	v_min_u32_e32 v13, 32, v13
	v_subrev_nc_u32_e32 v14, 28, v13
	v_lshlrev_b64 v[71:72], v14, v[3:4]
	v_sub_nc_u32_e32 v72, 29, v13
	v_and_b32_e32 v71, 7, v71
; %bb.327:                              ;   in Loop: Header=BB284_13 Depth=1
	s_or_b32 exec_lo, exec_lo, s51
	v_lshlrev_b32_e32 v3, 8, v3
	v_lshl_add_u32 v13, v72, 10, 0x2000
	v_lshlrev_b32_e32 v14, 7, v71
	v_and_b32_e32 v3, 0x8000, v3
	v_and_b32_e32 v13, 0xfc00, v13
	v_or3_b32 v71, v3, v13, v14
.LBB284_328:                            ;   in Loop: Header=BB284_13 Depth=1
	s_or_b32 exec_lo, exec_lo, s50
.LBB284_329:                            ;   in Loop: Header=BB284_13 Depth=1
	s_or_b32 exec_lo, exec_lo, s49
.LBB284_330:                            ;   in Loop: Header=BB284_13 Depth=1
	s_or_b32 exec_lo, exec_lo, s48
	s_mov_b32 s48, exec_lo
	v_cmpx_lt_u32_e32 0xffffff, v11
	s_cbranch_execz .LBB284_338
; %bb.331:                              ;   in Loop: Header=BB284_13 Depth=1
	v_lshrrev_b32_e32 v3, 24, v11
	v_bfrev_b32_e32 v70, 1
	s_mov_b32 s49, exec_lo
	v_cmpx_ne_u32_e32 0x80, v3
	s_cbranch_execz .LBB284_337
; %bb.332:                              ;   in Loop: Header=BB284_13 Depth=1
	v_and_b32_e32 v72, 0x7f, v3
	v_mov_b32_e32 v70, 0x7c010000
	s_mov_b32 s50, exec_lo
	v_cmpx_ne_u32_e32 0x7f, v72
	s_cbranch_execz .LBB284_336
; %bb.333:                              ;   in Loop: Header=BB284_13 Depth=1
	v_and_b32_e32 v11, 7, v3
	v_lshrrev_b32_e32 v70, 3, v72
	s_mov_b32 s51, exec_lo
	v_cmpx_gt_u32_e32 8, v72
; %bb.334:                              ;   in Loop: Header=BB284_13 Depth=1
	v_ffbh_u32_e32 v11, v11
	v_min_u32_e32 v11, 32, v11
	v_subrev_nc_u32_e32 v13, 28, v11
	v_sub_nc_u32_e32 v70, 29, v11
	v_lshlrev_b64 v[72:73], v13, v[3:4]
	v_and_b32_e32 v11, 7, v72
; %bb.335:                              ;   in Loop: Header=BB284_13 Depth=1
	s_or_b32 exec_lo, exec_lo, s51
	v_lshlrev_b32_e32 v3, 8, v3
	v_lshl_add_u32 v13, v70, 10, 0x2000
	v_lshlrev_b32_e32 v11, 23, v11
	v_and_or_b32 v3, 0x8000, v3, v13
	v_lshl_or_b32 v70, v3, 16, v11
.LBB284_336:                            ;   in Loop: Header=BB284_13 Depth=1
	s_or_b32 exec_lo, exec_lo, s50
.LBB284_337:                            ;   in Loop: Header=BB284_13 Depth=1
	s_or_b32 exec_lo, exec_lo, s49
.LBB284_338:                            ;   in Loop: Header=BB284_13 Depth=1
	s_or_b32 exec_lo, exec_lo, s48
	global_load_dword v11, v[9:10], off offset:1280
	v_mov_b32_e32 v72, 0
	v_mov_b32_e32 v73, 0
	s_waitcnt vmcnt(0)
	v_cmp_ne_u16_sdwa s2, v11, v4 src0_sel:BYTE_0 src1_sel:DWORD
	s_and_saveexec_b32 s48, s2
	s_cbranch_execz .LBB284_346
; %bb.339:                              ;   in Loop: Header=BB284_13 Depth=1
	v_cmp_ne_u16_sdwa s2, v11, v23 src0_sel:BYTE_0 src1_sel:DWORD
	v_mov_b32_e32 v73, 0x8000
	s_and_saveexec_b32 s49, s2
	s_cbranch_execz .LBB284_345
; %bb.340:                              ;   in Loop: Header=BB284_13 Depth=1
	v_and_b32_e32 v74, 0x7f, v11
	v_mov_b32_e32 v73, 0x7c01
	s_mov_b32 s50, exec_lo
	v_cmpx_ne_u32_e32 0x7f, v74
	s_cbranch_execz .LBB284_344
; %bb.341:                              ;   in Loop: Header=BB284_13 Depth=1
	v_and_b32_e32 v3, 7, v11
	v_lshrrev_b32_e32 v73, 3, v74
	s_mov_b32 s51, exec_lo
	v_cmpx_gt_u32_e32 8, v74
; %bb.342:                              ;   in Loop: Header=BB284_13 Depth=1
	v_ffbh_u32_e32 v3, v3
	v_min_u32_e32 v3, 32, v3
	v_subrev_nc_u32_e32 v13, 28, v3
	v_sub_nc_u32_e32 v73, 29, v3
	v_lshlrev_b64 v[74:75], v13, v[11:12]
	v_and_b32_e32 v3, 7, v74
; %bb.343:                              ;   in Loop: Header=BB284_13 Depth=1
	s_or_b32 exec_lo, exec_lo, s51
	v_lshlrev_b32_e32 v13, 8, v11
	v_lshl_add_u32 v14, v73, 10, 0x2000
	v_lshlrev_b32_e32 v3, 7, v3
	v_and_b32_e32 v13, 0x8000, v13
	v_and_b32_e32 v14, 0xfc00, v14
	v_or3_b32 v73, v13, v14, v3
.LBB284_344:                            ;   in Loop: Header=BB284_13 Depth=1
	s_or_b32 exec_lo, exec_lo, s50
.LBB284_345:                            ;   in Loop: Header=BB284_13 Depth=1
	s_or_b32 exec_lo, exec_lo, s49
.LBB284_346:                            ;   in Loop: Header=BB284_13 Depth=1
	s_or_b32 exec_lo, exec_lo, s48
	v_lshrrev_b16 v3, 8, v11
	s_mov_b32 s48, exec_lo
	v_cmpx_ne_u16_e32 0, v3
	s_cbranch_execz .LBB284_354
; %bb.347:                              ;   in Loop: Header=BB284_13 Depth=1
	v_bfrev_b32_e32 v72, 1
	s_mov_b32 s49, exec_lo
	v_cmpx_ne_u16_e32 0x80, v3
	s_cbranch_execz .LBB284_353
; %bb.348:                              ;   in Loop: Header=BB284_13 Depth=1
	v_and_b32_sdwa v75, v3, v24 dst_sel:DWORD dst_unused:UNUSED_PAD src0_sel:WORD_0 src1_sel:DWORD
	v_mov_b32_e32 v72, 0x7c010000
	s_mov_b32 s50, exec_lo
	v_cmpx_ne_u32_e32 0x7f, v75
	s_cbranch_execz .LBB284_352
; %bb.349:                              ;   in Loop: Header=BB284_13 Depth=1
	v_and_b32_sdwa v72, v3, v25 dst_sel:DWORD dst_unused:UNUSED_PAD src0_sel:WORD_0 src1_sel:DWORD
	v_lshrrev_b32_e32 v74, 3, v75
	s_mov_b32 s51, exec_lo
	v_cmpx_gt_u32_e32 8, v75
; %bb.350:                              ;   in Loop: Header=BB284_13 Depth=1
	v_ffbh_u32_e32 v13, v72
	v_min_u32_e32 v13, 32, v13
	v_subrev_nc_u32_e32 v14, 28, v13
	v_sub_nc_u32_e32 v74, 29, v13
	v_lshlrev_b64 v[75:76], v14, v[3:4]
	v_and_b32_e32 v72, 7, v75
; %bb.351:                              ;   in Loop: Header=BB284_13 Depth=1
	s_or_b32 exec_lo, exec_lo, s51
	v_lshlrev_b32_sdwa v3, v26, v3 dst_sel:DWORD dst_unused:UNUSED_PAD src0_sel:DWORD src1_sel:WORD_0
	v_lshl_add_u32 v13, v74, 10, 0x2000
	v_and_or_b32 v3, 0x8000, v3, v13
	v_lshlrev_b32_e32 v13, 23, v72
	v_lshl_or_b32 v72, v3, 16, v13
.LBB284_352:                            ;   in Loop: Header=BB284_13 Depth=1
	s_or_b32 exec_lo, exec_lo, s50
.LBB284_353:                            ;   in Loop: Header=BB284_13 Depth=1
	s_or_b32 exec_lo, exec_lo, s49
.LBB284_354:                            ;   in Loop: Header=BB284_13 Depth=1
	s_or_b32 exec_lo, exec_lo, s48
	v_lshrrev_b32_e32 v3, 16, v11
	v_mov_b32_e32 v74, 0
	v_mov_b32_e32 v75, 0
	v_cmp_ne_u16_sdwa s2, v3, v4 src0_sel:BYTE_0 src1_sel:DWORD
	s_and_saveexec_b32 s48, s2
	s_cbranch_execz .LBB284_362
; %bb.355:                              ;   in Loop: Header=BB284_13 Depth=1
	v_cmp_ne_u16_sdwa s2, v3, v23 src0_sel:BYTE_0 src1_sel:DWORD
	v_mov_b32_e32 v75, 0x8000
	s_and_saveexec_b32 s49, s2
	s_cbranch_execz .LBB284_361
; %bb.356:                              ;   in Loop: Header=BB284_13 Depth=1
	v_bfe_u32 v77, v11, 16, 7
	v_mov_b32_e32 v75, 0x7c01
	s_mov_b32 s50, exec_lo
	v_cmpx_ne_u32_e32 0x7f, v77
	s_cbranch_execz .LBB284_360
; %bb.357:                              ;   in Loop: Header=BB284_13 Depth=1
	v_and_b32_e32 v75, 7, v3
	v_lshrrev_b32_e32 v76, 3, v77
	s_mov_b32 s51, exec_lo
	v_cmpx_gt_u32_e32 8, v77
; %bb.358:                              ;   in Loop: Header=BB284_13 Depth=1
	v_ffbh_u32_e32 v13, v75
	v_min_u32_e32 v13, 32, v13
	v_subrev_nc_u32_e32 v14, 28, v13
	v_lshlrev_b64 v[75:76], v14, v[3:4]
	v_sub_nc_u32_e32 v76, 29, v13
	v_and_b32_e32 v75, 7, v75
; %bb.359:                              ;   in Loop: Header=BB284_13 Depth=1
	s_or_b32 exec_lo, exec_lo, s51
	v_lshlrev_b32_e32 v3, 8, v3
	v_lshl_add_u32 v13, v76, 10, 0x2000
	v_lshlrev_b32_e32 v14, 7, v75
	v_and_b32_e32 v3, 0x8000, v3
	v_and_b32_e32 v13, 0xfc00, v13
	v_or3_b32 v75, v3, v13, v14
.LBB284_360:                            ;   in Loop: Header=BB284_13 Depth=1
	s_or_b32 exec_lo, exec_lo, s50
.LBB284_361:                            ;   in Loop: Header=BB284_13 Depth=1
	s_or_b32 exec_lo, exec_lo, s49
.LBB284_362:                            ;   in Loop: Header=BB284_13 Depth=1
	s_or_b32 exec_lo, exec_lo, s48
	s_mov_b32 s48, exec_lo
	v_cmpx_lt_u32_e32 0xffffff, v11
	s_cbranch_execz .LBB284_370
; %bb.363:                              ;   in Loop: Header=BB284_13 Depth=1
	v_lshrrev_b32_e32 v3, 24, v11
	v_bfrev_b32_e32 v74, 1
	s_mov_b32 s49, exec_lo
	v_cmpx_ne_u32_e32 0x80, v3
	s_cbranch_execz .LBB284_369
; %bb.364:                              ;   in Loop: Header=BB284_13 Depth=1
	v_and_b32_e32 v76, 0x7f, v3
	v_mov_b32_e32 v74, 0x7c010000
	s_mov_b32 s50, exec_lo
	v_cmpx_ne_u32_e32 0x7f, v76
	s_cbranch_execz .LBB284_368
; %bb.365:                              ;   in Loop: Header=BB284_13 Depth=1
	v_and_b32_e32 v11, 7, v3
	v_lshrrev_b32_e32 v74, 3, v76
	s_mov_b32 s51, exec_lo
	v_cmpx_gt_u32_e32 8, v76
; %bb.366:                              ;   in Loop: Header=BB284_13 Depth=1
	v_ffbh_u32_e32 v11, v11
	v_min_u32_e32 v11, 32, v11
	v_subrev_nc_u32_e32 v13, 28, v11
	v_sub_nc_u32_e32 v74, 29, v11
	v_lshlrev_b64 v[76:77], v13, v[3:4]
	v_and_b32_e32 v11, 7, v76
; %bb.367:                              ;   in Loop: Header=BB284_13 Depth=1
	s_or_b32 exec_lo, exec_lo, s51
	v_lshlrev_b32_e32 v3, 8, v3
	v_lshl_add_u32 v13, v74, 10, 0x2000
	v_lshlrev_b32_e32 v11, 23, v11
	v_and_or_b32 v3, 0x8000, v3, v13
	v_lshl_or_b32 v74, v3, 16, v11
.LBB284_368:                            ;   in Loop: Header=BB284_13 Depth=1
	s_or_b32 exec_lo, exec_lo, s50
.LBB284_369:                            ;   in Loop: Header=BB284_13 Depth=1
	s_or_b32 exec_lo, exec_lo, s49
.LBB284_370:                            ;   in Loop: Header=BB284_13 Depth=1
	s_or_b32 exec_lo, exec_lo, s48
	global_load_dword v11, v[9:10], off offset:1288
	v_mov_b32_e32 v76, 0
	v_mov_b32_e32 v77, 0
	s_waitcnt vmcnt(0)
	v_cmp_ne_u16_sdwa s2, v11, v4 src0_sel:BYTE_0 src1_sel:DWORD
	s_and_saveexec_b32 s48, s2
	s_cbranch_execz .LBB284_378
; %bb.371:                              ;   in Loop: Header=BB284_13 Depth=1
	v_cmp_ne_u16_sdwa s2, v11, v23 src0_sel:BYTE_0 src1_sel:DWORD
	v_mov_b32_e32 v77, 0x8000
	s_and_saveexec_b32 s49, s2
	s_cbranch_execz .LBB284_377
; %bb.372:                              ;   in Loop: Header=BB284_13 Depth=1
	v_and_b32_e32 v78, 0x7f, v11
	v_mov_b32_e32 v77, 0x7c01
	s_mov_b32 s50, exec_lo
	v_cmpx_ne_u32_e32 0x7f, v78
	s_cbranch_execz .LBB284_376
; %bb.373:                              ;   in Loop: Header=BB284_13 Depth=1
	v_and_b32_e32 v3, 7, v11
	v_lshrrev_b32_e32 v77, 3, v78
	s_mov_b32 s51, exec_lo
	v_cmpx_gt_u32_e32 8, v78
; %bb.374:                              ;   in Loop: Header=BB284_13 Depth=1
	v_ffbh_u32_e32 v3, v3
	v_min_u32_e32 v3, 32, v3
	v_subrev_nc_u32_e32 v13, 28, v3
	v_sub_nc_u32_e32 v77, 29, v3
	v_lshlrev_b64 v[78:79], v13, v[11:12]
	v_and_b32_e32 v3, 7, v78
; %bb.375:                              ;   in Loop: Header=BB284_13 Depth=1
	s_or_b32 exec_lo, exec_lo, s51
	v_lshlrev_b32_e32 v13, 8, v11
	v_lshl_add_u32 v14, v77, 10, 0x2000
	v_lshlrev_b32_e32 v3, 7, v3
	v_and_b32_e32 v13, 0x8000, v13
	v_and_b32_e32 v14, 0xfc00, v14
	v_or3_b32 v77, v13, v14, v3
.LBB284_376:                            ;   in Loop: Header=BB284_13 Depth=1
	s_or_b32 exec_lo, exec_lo, s50
.LBB284_377:                            ;   in Loop: Header=BB284_13 Depth=1
	s_or_b32 exec_lo, exec_lo, s49
.LBB284_378:                            ;   in Loop: Header=BB284_13 Depth=1
	s_or_b32 exec_lo, exec_lo, s48
	v_lshrrev_b16 v3, 8, v11
	s_mov_b32 s48, exec_lo
	v_cmpx_ne_u16_e32 0, v3
	s_cbranch_execz .LBB284_386
; %bb.379:                              ;   in Loop: Header=BB284_13 Depth=1
	v_bfrev_b32_e32 v76, 1
	s_mov_b32 s49, exec_lo
	v_cmpx_ne_u16_e32 0x80, v3
	s_cbranch_execz .LBB284_385
; %bb.380:                              ;   in Loop: Header=BB284_13 Depth=1
	v_and_b32_sdwa v79, v3, v24 dst_sel:DWORD dst_unused:UNUSED_PAD src0_sel:WORD_0 src1_sel:DWORD
	v_mov_b32_e32 v76, 0x7c010000
	s_mov_b32 s50, exec_lo
	v_cmpx_ne_u32_e32 0x7f, v79
	s_cbranch_execz .LBB284_384
; %bb.381:                              ;   in Loop: Header=BB284_13 Depth=1
	v_and_b32_sdwa v76, v3, v25 dst_sel:DWORD dst_unused:UNUSED_PAD src0_sel:WORD_0 src1_sel:DWORD
	v_lshrrev_b32_e32 v78, 3, v79
	s_mov_b32 s51, exec_lo
	v_cmpx_gt_u32_e32 8, v79
; %bb.382:                              ;   in Loop: Header=BB284_13 Depth=1
	v_ffbh_u32_e32 v13, v76
	v_min_u32_e32 v13, 32, v13
	v_subrev_nc_u32_e32 v14, 28, v13
	v_sub_nc_u32_e32 v78, 29, v13
	v_lshlrev_b64 v[79:80], v14, v[3:4]
	v_and_b32_e32 v76, 7, v79
; %bb.383:                              ;   in Loop: Header=BB284_13 Depth=1
	s_or_b32 exec_lo, exec_lo, s51
	v_lshlrev_b32_sdwa v3, v26, v3 dst_sel:DWORD dst_unused:UNUSED_PAD src0_sel:DWORD src1_sel:WORD_0
	v_lshl_add_u32 v13, v78, 10, 0x2000
	v_and_or_b32 v3, 0x8000, v3, v13
	v_lshlrev_b32_e32 v13, 23, v76
	v_lshl_or_b32 v76, v3, 16, v13
.LBB284_384:                            ;   in Loop: Header=BB284_13 Depth=1
	s_or_b32 exec_lo, exec_lo, s50
.LBB284_385:                            ;   in Loop: Header=BB284_13 Depth=1
	s_or_b32 exec_lo, exec_lo, s49
.LBB284_386:                            ;   in Loop: Header=BB284_13 Depth=1
	s_or_b32 exec_lo, exec_lo, s48
	v_lshrrev_b32_e32 v3, 16, v11
	v_mov_b32_e32 v78, 0
	v_mov_b32_e32 v79, 0
	v_cmp_ne_u16_sdwa s2, v3, v4 src0_sel:BYTE_0 src1_sel:DWORD
	s_and_saveexec_b32 s48, s2
	s_cbranch_execz .LBB284_394
; %bb.387:                              ;   in Loop: Header=BB284_13 Depth=1
	v_cmp_ne_u16_sdwa s2, v3, v23 src0_sel:BYTE_0 src1_sel:DWORD
	v_mov_b32_e32 v79, 0x8000
	s_and_saveexec_b32 s49, s2
	s_cbranch_execz .LBB284_393
; %bb.388:                              ;   in Loop: Header=BB284_13 Depth=1
	v_bfe_u32 v81, v11, 16, 7
	v_mov_b32_e32 v79, 0x7c01
	s_mov_b32 s50, exec_lo
	v_cmpx_ne_u32_e32 0x7f, v81
	s_cbranch_execz .LBB284_392
; %bb.389:                              ;   in Loop: Header=BB284_13 Depth=1
	v_and_b32_e32 v79, 7, v3
	v_lshrrev_b32_e32 v80, 3, v81
	s_mov_b32 s51, exec_lo
	v_cmpx_gt_u32_e32 8, v81
; %bb.390:                              ;   in Loop: Header=BB284_13 Depth=1
	v_ffbh_u32_e32 v13, v79
	v_min_u32_e32 v13, 32, v13
	v_subrev_nc_u32_e32 v14, 28, v13
	v_lshlrev_b64 v[79:80], v14, v[3:4]
	v_sub_nc_u32_e32 v80, 29, v13
	v_and_b32_e32 v79, 7, v79
; %bb.391:                              ;   in Loop: Header=BB284_13 Depth=1
	s_or_b32 exec_lo, exec_lo, s51
	v_lshlrev_b32_e32 v3, 8, v3
	v_lshl_add_u32 v13, v80, 10, 0x2000
	v_lshlrev_b32_e32 v14, 7, v79
	v_and_b32_e32 v3, 0x8000, v3
	v_and_b32_e32 v13, 0xfc00, v13
	v_or3_b32 v79, v3, v13, v14
.LBB284_392:                            ;   in Loop: Header=BB284_13 Depth=1
	s_or_b32 exec_lo, exec_lo, s50
.LBB284_393:                            ;   in Loop: Header=BB284_13 Depth=1
	s_or_b32 exec_lo, exec_lo, s49
.LBB284_394:                            ;   in Loop: Header=BB284_13 Depth=1
	s_or_b32 exec_lo, exec_lo, s48
	s_mov_b32 s48, exec_lo
	v_cmpx_lt_u32_e32 0xffffff, v11
	s_cbranch_execz .LBB284_402
; %bb.395:                              ;   in Loop: Header=BB284_13 Depth=1
	v_lshrrev_b32_e32 v3, 24, v11
	v_bfrev_b32_e32 v78, 1
	s_mov_b32 s49, exec_lo
	v_cmpx_ne_u32_e32 0x80, v3
	s_cbranch_execz .LBB284_401
; %bb.396:                              ;   in Loop: Header=BB284_13 Depth=1
	v_and_b32_e32 v80, 0x7f, v3
	v_mov_b32_e32 v78, 0x7c010000
	s_mov_b32 s50, exec_lo
	v_cmpx_ne_u32_e32 0x7f, v80
	s_cbranch_execz .LBB284_400
; %bb.397:                              ;   in Loop: Header=BB284_13 Depth=1
	v_and_b32_e32 v11, 7, v3
	v_lshrrev_b32_e32 v78, 3, v80
	s_mov_b32 s51, exec_lo
	v_cmpx_gt_u32_e32 8, v80
; %bb.398:                              ;   in Loop: Header=BB284_13 Depth=1
	v_ffbh_u32_e32 v11, v11
	v_min_u32_e32 v11, 32, v11
	v_subrev_nc_u32_e32 v13, 28, v11
	v_sub_nc_u32_e32 v78, 29, v11
	v_lshlrev_b64 v[80:81], v13, v[3:4]
	v_and_b32_e32 v11, 7, v80
; %bb.399:                              ;   in Loop: Header=BB284_13 Depth=1
	s_or_b32 exec_lo, exec_lo, s51
	v_lshlrev_b32_e32 v3, 8, v3
	v_lshl_add_u32 v13, v78, 10, 0x2000
	v_lshlrev_b32_e32 v11, 23, v11
	v_and_or_b32 v3, 0x8000, v3, v13
	v_lshl_or_b32 v78, v3, 16, v11
.LBB284_400:                            ;   in Loop: Header=BB284_13 Depth=1
	s_or_b32 exec_lo, exec_lo, s50
.LBB284_401:                            ;   in Loop: Header=BB284_13 Depth=1
	s_or_b32 exec_lo, exec_lo, s49
.LBB284_402:                            ;   in Loop: Header=BB284_13 Depth=1
	s_or_b32 exec_lo, exec_lo, s48
	global_load_dword v11, v[9:10], off offset:1536
	v_mov_b32_e32 v80, 0
	v_mov_b32_e32 v81, 0
	s_waitcnt vmcnt(0)
	v_cmp_ne_u16_sdwa s2, v11, v4 src0_sel:BYTE_0 src1_sel:DWORD
	s_and_saveexec_b32 s48, s2
	s_cbranch_execz .LBB284_410
; %bb.403:                              ;   in Loop: Header=BB284_13 Depth=1
	v_cmp_ne_u16_sdwa s2, v11, v23 src0_sel:BYTE_0 src1_sel:DWORD
	v_mov_b32_e32 v81, 0x8000
	s_and_saveexec_b32 s49, s2
	s_cbranch_execz .LBB284_409
; %bb.404:                              ;   in Loop: Header=BB284_13 Depth=1
	v_and_b32_e32 v82, 0x7f, v11
	v_mov_b32_e32 v81, 0x7c01
	s_mov_b32 s50, exec_lo
	v_cmpx_ne_u32_e32 0x7f, v82
	s_cbranch_execz .LBB284_408
; %bb.405:                              ;   in Loop: Header=BB284_13 Depth=1
	v_and_b32_e32 v3, 7, v11
	v_lshrrev_b32_e32 v81, 3, v82
	s_mov_b32 s51, exec_lo
	v_cmpx_gt_u32_e32 8, v82
; %bb.406:                              ;   in Loop: Header=BB284_13 Depth=1
	v_ffbh_u32_e32 v3, v3
	v_min_u32_e32 v3, 32, v3
	v_subrev_nc_u32_e32 v13, 28, v3
	v_sub_nc_u32_e32 v81, 29, v3
	v_lshlrev_b64 v[82:83], v13, v[11:12]
	v_and_b32_e32 v3, 7, v82
; %bb.407:                              ;   in Loop: Header=BB284_13 Depth=1
	s_or_b32 exec_lo, exec_lo, s51
	v_lshlrev_b32_e32 v13, 8, v11
	v_lshl_add_u32 v14, v81, 10, 0x2000
	v_lshlrev_b32_e32 v3, 7, v3
	v_and_b32_e32 v13, 0x8000, v13
	v_and_b32_e32 v14, 0xfc00, v14
	v_or3_b32 v81, v13, v14, v3
.LBB284_408:                            ;   in Loop: Header=BB284_13 Depth=1
	s_or_b32 exec_lo, exec_lo, s50
.LBB284_409:                            ;   in Loop: Header=BB284_13 Depth=1
	s_or_b32 exec_lo, exec_lo, s49
.LBB284_410:                            ;   in Loop: Header=BB284_13 Depth=1
	s_or_b32 exec_lo, exec_lo, s48
	v_lshrrev_b16 v3, 8, v11
	s_mov_b32 s48, exec_lo
	v_cmpx_ne_u16_e32 0, v3
	s_cbranch_execz .LBB284_418
; %bb.411:                              ;   in Loop: Header=BB284_13 Depth=1
	v_bfrev_b32_e32 v80, 1
	s_mov_b32 s49, exec_lo
	v_cmpx_ne_u16_e32 0x80, v3
	s_cbranch_execz .LBB284_417
; %bb.412:                              ;   in Loop: Header=BB284_13 Depth=1
	v_and_b32_sdwa v83, v3, v24 dst_sel:DWORD dst_unused:UNUSED_PAD src0_sel:WORD_0 src1_sel:DWORD
	v_mov_b32_e32 v80, 0x7c010000
	s_mov_b32 s50, exec_lo
	v_cmpx_ne_u32_e32 0x7f, v83
	s_cbranch_execz .LBB284_416
; %bb.413:                              ;   in Loop: Header=BB284_13 Depth=1
	v_and_b32_sdwa v80, v3, v25 dst_sel:DWORD dst_unused:UNUSED_PAD src0_sel:WORD_0 src1_sel:DWORD
	v_lshrrev_b32_e32 v82, 3, v83
	s_mov_b32 s51, exec_lo
	v_cmpx_gt_u32_e32 8, v83
; %bb.414:                              ;   in Loop: Header=BB284_13 Depth=1
	v_ffbh_u32_e32 v13, v80
	v_min_u32_e32 v13, 32, v13
	v_subrev_nc_u32_e32 v14, 28, v13
	v_sub_nc_u32_e32 v82, 29, v13
	v_lshlrev_b64 v[83:84], v14, v[3:4]
	v_and_b32_e32 v80, 7, v83
; %bb.415:                              ;   in Loop: Header=BB284_13 Depth=1
	s_or_b32 exec_lo, exec_lo, s51
	v_lshlrev_b32_sdwa v3, v26, v3 dst_sel:DWORD dst_unused:UNUSED_PAD src0_sel:DWORD src1_sel:WORD_0
	v_lshl_add_u32 v13, v82, 10, 0x2000
	v_and_or_b32 v3, 0x8000, v3, v13
	v_lshlrev_b32_e32 v13, 23, v80
	v_lshl_or_b32 v80, v3, 16, v13
.LBB284_416:                            ;   in Loop: Header=BB284_13 Depth=1
	s_or_b32 exec_lo, exec_lo, s50
.LBB284_417:                            ;   in Loop: Header=BB284_13 Depth=1
	s_or_b32 exec_lo, exec_lo, s49
.LBB284_418:                            ;   in Loop: Header=BB284_13 Depth=1
	s_or_b32 exec_lo, exec_lo, s48
	v_lshrrev_b32_e32 v3, 16, v11
	v_mov_b32_e32 v82, 0
	v_mov_b32_e32 v83, 0
	v_cmp_ne_u16_sdwa s2, v3, v4 src0_sel:BYTE_0 src1_sel:DWORD
	s_and_saveexec_b32 s48, s2
	s_cbranch_execz .LBB284_426
; %bb.419:                              ;   in Loop: Header=BB284_13 Depth=1
	v_cmp_ne_u16_sdwa s2, v3, v23 src0_sel:BYTE_0 src1_sel:DWORD
	v_mov_b32_e32 v83, 0x8000
	s_and_saveexec_b32 s49, s2
	s_cbranch_execz .LBB284_425
; %bb.420:                              ;   in Loop: Header=BB284_13 Depth=1
	v_bfe_u32 v85, v11, 16, 7
	v_mov_b32_e32 v83, 0x7c01
	s_mov_b32 s50, exec_lo
	v_cmpx_ne_u32_e32 0x7f, v85
	s_cbranch_execz .LBB284_424
; %bb.421:                              ;   in Loop: Header=BB284_13 Depth=1
	v_and_b32_e32 v83, 7, v3
	v_lshrrev_b32_e32 v84, 3, v85
	s_mov_b32 s51, exec_lo
	v_cmpx_gt_u32_e32 8, v85
; %bb.422:                              ;   in Loop: Header=BB284_13 Depth=1
	v_ffbh_u32_e32 v13, v83
	v_min_u32_e32 v13, 32, v13
	v_subrev_nc_u32_e32 v14, 28, v13
	v_lshlrev_b64 v[83:84], v14, v[3:4]
	v_sub_nc_u32_e32 v84, 29, v13
	v_and_b32_e32 v83, 7, v83
; %bb.423:                              ;   in Loop: Header=BB284_13 Depth=1
	s_or_b32 exec_lo, exec_lo, s51
	v_lshlrev_b32_e32 v3, 8, v3
	v_lshl_add_u32 v13, v84, 10, 0x2000
	v_lshlrev_b32_e32 v14, 7, v83
	v_and_b32_e32 v3, 0x8000, v3
	v_and_b32_e32 v13, 0xfc00, v13
	v_or3_b32 v83, v3, v13, v14
.LBB284_424:                            ;   in Loop: Header=BB284_13 Depth=1
	s_or_b32 exec_lo, exec_lo, s50
.LBB284_425:                            ;   in Loop: Header=BB284_13 Depth=1
	s_or_b32 exec_lo, exec_lo, s49
.LBB284_426:                            ;   in Loop: Header=BB284_13 Depth=1
	s_or_b32 exec_lo, exec_lo, s48
	s_mov_b32 s48, exec_lo
	v_cmpx_lt_u32_e32 0xffffff, v11
	s_cbranch_execz .LBB284_434
; %bb.427:                              ;   in Loop: Header=BB284_13 Depth=1
	v_lshrrev_b32_e32 v3, 24, v11
	v_bfrev_b32_e32 v82, 1
	s_mov_b32 s49, exec_lo
	v_cmpx_ne_u32_e32 0x80, v3
	s_cbranch_execz .LBB284_433
; %bb.428:                              ;   in Loop: Header=BB284_13 Depth=1
	v_and_b32_e32 v84, 0x7f, v3
	v_mov_b32_e32 v82, 0x7c010000
	s_mov_b32 s50, exec_lo
	v_cmpx_ne_u32_e32 0x7f, v84
	s_cbranch_execz .LBB284_432
; %bb.429:                              ;   in Loop: Header=BB284_13 Depth=1
	v_and_b32_e32 v11, 7, v3
	v_lshrrev_b32_e32 v82, 3, v84
	s_mov_b32 s51, exec_lo
	v_cmpx_gt_u32_e32 8, v84
; %bb.430:                              ;   in Loop: Header=BB284_13 Depth=1
	v_ffbh_u32_e32 v11, v11
	v_min_u32_e32 v11, 32, v11
	v_subrev_nc_u32_e32 v13, 28, v11
	v_sub_nc_u32_e32 v82, 29, v11
	v_lshlrev_b64 v[84:85], v13, v[3:4]
	v_and_b32_e32 v11, 7, v84
; %bb.431:                              ;   in Loop: Header=BB284_13 Depth=1
	s_or_b32 exec_lo, exec_lo, s51
	v_lshlrev_b32_e32 v3, 8, v3
	v_lshl_add_u32 v13, v82, 10, 0x2000
	v_lshlrev_b32_e32 v11, 23, v11
	v_and_or_b32 v3, 0x8000, v3, v13
	v_lshl_or_b32 v82, v3, 16, v11
.LBB284_432:                            ;   in Loop: Header=BB284_13 Depth=1
	s_or_b32 exec_lo, exec_lo, s50
.LBB284_433:                            ;   in Loop: Header=BB284_13 Depth=1
	s_or_b32 exec_lo, exec_lo, s49
.LBB284_434:                            ;   in Loop: Header=BB284_13 Depth=1
	s_or_b32 exec_lo, exec_lo, s48
	global_load_dword v11, v[9:10], off offset:1544
	v_mov_b32_e32 v84, 0
	v_mov_b32_e32 v85, 0
	s_waitcnt vmcnt(0)
	v_cmp_ne_u16_sdwa s2, v11, v4 src0_sel:BYTE_0 src1_sel:DWORD
	s_and_saveexec_b32 s48, s2
	s_cbranch_execz .LBB284_442
; %bb.435:                              ;   in Loop: Header=BB284_13 Depth=1
	v_cmp_ne_u16_sdwa s2, v11, v23 src0_sel:BYTE_0 src1_sel:DWORD
	v_mov_b32_e32 v85, 0x8000
	s_and_saveexec_b32 s49, s2
	s_cbranch_execz .LBB284_441
; %bb.436:                              ;   in Loop: Header=BB284_13 Depth=1
	v_and_b32_e32 v86, 0x7f, v11
	v_mov_b32_e32 v85, 0x7c01
	s_mov_b32 s50, exec_lo
	v_cmpx_ne_u32_e32 0x7f, v86
	s_cbranch_execz .LBB284_440
; %bb.437:                              ;   in Loop: Header=BB284_13 Depth=1
	v_and_b32_e32 v3, 7, v11
	v_lshrrev_b32_e32 v85, 3, v86
	s_mov_b32 s51, exec_lo
	v_cmpx_gt_u32_e32 8, v86
; %bb.438:                              ;   in Loop: Header=BB284_13 Depth=1
	v_ffbh_u32_e32 v3, v3
	v_min_u32_e32 v3, 32, v3
	v_subrev_nc_u32_e32 v13, 28, v3
	v_sub_nc_u32_e32 v85, 29, v3
	v_lshlrev_b64 v[86:87], v13, v[11:12]
	v_and_b32_e32 v3, 7, v86
; %bb.439:                              ;   in Loop: Header=BB284_13 Depth=1
	s_or_b32 exec_lo, exec_lo, s51
	v_lshlrev_b32_e32 v13, 8, v11
	v_lshl_add_u32 v14, v85, 10, 0x2000
	v_lshlrev_b32_e32 v3, 7, v3
	v_and_b32_e32 v13, 0x8000, v13
	v_and_b32_e32 v14, 0xfc00, v14
	v_or3_b32 v85, v13, v14, v3
.LBB284_440:                            ;   in Loop: Header=BB284_13 Depth=1
	s_or_b32 exec_lo, exec_lo, s50
.LBB284_441:                            ;   in Loop: Header=BB284_13 Depth=1
	s_or_b32 exec_lo, exec_lo, s49
.LBB284_442:                            ;   in Loop: Header=BB284_13 Depth=1
	s_or_b32 exec_lo, exec_lo, s48
	v_lshrrev_b16 v3, 8, v11
	s_mov_b32 s48, exec_lo
	v_cmpx_ne_u16_e32 0, v3
	s_cbranch_execz .LBB284_450
; %bb.443:                              ;   in Loop: Header=BB284_13 Depth=1
	v_bfrev_b32_e32 v84, 1
	s_mov_b32 s49, exec_lo
	v_cmpx_ne_u16_e32 0x80, v3
	s_cbranch_execz .LBB284_449
; %bb.444:                              ;   in Loop: Header=BB284_13 Depth=1
	v_and_b32_sdwa v87, v3, v24 dst_sel:DWORD dst_unused:UNUSED_PAD src0_sel:WORD_0 src1_sel:DWORD
	v_mov_b32_e32 v84, 0x7c010000
	s_mov_b32 s50, exec_lo
	v_cmpx_ne_u32_e32 0x7f, v87
	s_cbranch_execz .LBB284_448
; %bb.445:                              ;   in Loop: Header=BB284_13 Depth=1
	v_and_b32_sdwa v84, v3, v25 dst_sel:DWORD dst_unused:UNUSED_PAD src0_sel:WORD_0 src1_sel:DWORD
	v_lshrrev_b32_e32 v86, 3, v87
	s_mov_b32 s51, exec_lo
	v_cmpx_gt_u32_e32 8, v87
; %bb.446:                              ;   in Loop: Header=BB284_13 Depth=1
	v_ffbh_u32_e32 v13, v84
	v_min_u32_e32 v13, 32, v13
	v_subrev_nc_u32_e32 v14, 28, v13
	v_sub_nc_u32_e32 v86, 29, v13
	v_lshlrev_b64 v[87:88], v14, v[3:4]
	v_and_b32_e32 v84, 7, v87
; %bb.447:                              ;   in Loop: Header=BB284_13 Depth=1
	s_or_b32 exec_lo, exec_lo, s51
	v_lshlrev_b32_sdwa v3, v26, v3 dst_sel:DWORD dst_unused:UNUSED_PAD src0_sel:DWORD src1_sel:WORD_0
	v_lshl_add_u32 v13, v86, 10, 0x2000
	v_and_or_b32 v3, 0x8000, v3, v13
	v_lshlrev_b32_e32 v13, 23, v84
	v_lshl_or_b32 v84, v3, 16, v13
.LBB284_448:                            ;   in Loop: Header=BB284_13 Depth=1
	s_or_b32 exec_lo, exec_lo, s50
.LBB284_449:                            ;   in Loop: Header=BB284_13 Depth=1
	s_or_b32 exec_lo, exec_lo, s49
.LBB284_450:                            ;   in Loop: Header=BB284_13 Depth=1
	s_or_b32 exec_lo, exec_lo, s48
	v_lshrrev_b32_e32 v3, 16, v11
	v_mov_b32_e32 v86, 0
	v_mov_b32_e32 v87, 0
	v_cmp_ne_u16_sdwa s2, v3, v4 src0_sel:BYTE_0 src1_sel:DWORD
	s_and_saveexec_b32 s48, s2
	s_cbranch_execz .LBB284_458
; %bb.451:                              ;   in Loop: Header=BB284_13 Depth=1
	v_cmp_ne_u16_sdwa s2, v3, v23 src0_sel:BYTE_0 src1_sel:DWORD
	v_mov_b32_e32 v87, 0x8000
	s_and_saveexec_b32 s49, s2
	s_cbranch_execz .LBB284_457
; %bb.452:                              ;   in Loop: Header=BB284_13 Depth=1
	v_bfe_u32 v89, v11, 16, 7
	v_mov_b32_e32 v87, 0x7c01
	s_mov_b32 s50, exec_lo
	v_cmpx_ne_u32_e32 0x7f, v89
	s_cbranch_execz .LBB284_456
; %bb.453:                              ;   in Loop: Header=BB284_13 Depth=1
	v_and_b32_e32 v87, 7, v3
	v_lshrrev_b32_e32 v88, 3, v89
	s_mov_b32 s51, exec_lo
	v_cmpx_gt_u32_e32 8, v89
; %bb.454:                              ;   in Loop: Header=BB284_13 Depth=1
	v_ffbh_u32_e32 v13, v87
	v_min_u32_e32 v13, 32, v13
	v_subrev_nc_u32_e32 v14, 28, v13
	v_lshlrev_b64 v[87:88], v14, v[3:4]
	v_sub_nc_u32_e32 v88, 29, v13
	v_and_b32_e32 v87, 7, v87
; %bb.455:                              ;   in Loop: Header=BB284_13 Depth=1
	s_or_b32 exec_lo, exec_lo, s51
	v_lshlrev_b32_e32 v3, 8, v3
	v_lshl_add_u32 v13, v88, 10, 0x2000
	v_lshlrev_b32_e32 v14, 7, v87
	v_and_b32_e32 v3, 0x8000, v3
	v_and_b32_e32 v13, 0xfc00, v13
	v_or3_b32 v87, v3, v13, v14
.LBB284_456:                            ;   in Loop: Header=BB284_13 Depth=1
	s_or_b32 exec_lo, exec_lo, s50
.LBB284_457:                            ;   in Loop: Header=BB284_13 Depth=1
	s_or_b32 exec_lo, exec_lo, s49
.LBB284_458:                            ;   in Loop: Header=BB284_13 Depth=1
	s_or_b32 exec_lo, exec_lo, s48
	s_mov_b32 s48, exec_lo
	v_cmpx_lt_u32_e32 0xffffff, v11
	s_cbranch_execz .LBB284_466
; %bb.459:                              ;   in Loop: Header=BB284_13 Depth=1
	v_lshrrev_b32_e32 v3, 24, v11
	v_bfrev_b32_e32 v86, 1
	s_mov_b32 s49, exec_lo
	v_cmpx_ne_u32_e32 0x80, v3
	s_cbranch_execz .LBB284_465
; %bb.460:                              ;   in Loop: Header=BB284_13 Depth=1
	v_and_b32_e32 v88, 0x7f, v3
	v_mov_b32_e32 v86, 0x7c010000
	s_mov_b32 s50, exec_lo
	v_cmpx_ne_u32_e32 0x7f, v88
	s_cbranch_execz .LBB284_464
; %bb.461:                              ;   in Loop: Header=BB284_13 Depth=1
	v_and_b32_e32 v11, 7, v3
	v_lshrrev_b32_e32 v86, 3, v88
	s_mov_b32 s51, exec_lo
	v_cmpx_gt_u32_e32 8, v88
; %bb.462:                              ;   in Loop: Header=BB284_13 Depth=1
	v_ffbh_u32_e32 v11, v11
	v_min_u32_e32 v11, 32, v11
	v_subrev_nc_u32_e32 v13, 28, v11
	v_sub_nc_u32_e32 v86, 29, v11
	v_lshlrev_b64 v[88:89], v13, v[3:4]
	v_and_b32_e32 v11, 7, v88
; %bb.463:                              ;   in Loop: Header=BB284_13 Depth=1
	s_or_b32 exec_lo, exec_lo, s51
	v_lshlrev_b32_e32 v3, 8, v3
	v_lshl_add_u32 v13, v86, 10, 0x2000
	v_lshlrev_b32_e32 v11, 23, v11
	v_and_or_b32 v3, 0x8000, v3, v13
	v_lshl_or_b32 v86, v3, 16, v11
.LBB284_464:                            ;   in Loop: Header=BB284_13 Depth=1
	s_or_b32 exec_lo, exec_lo, s50
.LBB284_465:                            ;   in Loop: Header=BB284_13 Depth=1
	s_or_b32 exec_lo, exec_lo, s49
.LBB284_466:                            ;   in Loop: Header=BB284_13 Depth=1
	s_or_b32 exec_lo, exec_lo, s48
	global_load_dword v9, v[9:10], off offset:1792
	v_mov_b32_e32 v10, 0
	v_mov_b32_e32 v11, 0
	s_waitcnt vmcnt(0)
	v_cmp_ne_u16_sdwa s2, v9, v4 src0_sel:BYTE_0 src1_sel:DWORD
	s_and_saveexec_b32 s48, s2
	s_cbranch_execz .LBB284_474
; %bb.467:                              ;   in Loop: Header=BB284_13 Depth=1
	v_cmp_ne_u16_sdwa s2, v9, v23 src0_sel:BYTE_0 src1_sel:DWORD
	v_mov_b32_e32 v11, 0x8000
	s_and_saveexec_b32 s49, s2
	s_cbranch_execz .LBB284_473
; %bb.468:                              ;   in Loop: Header=BB284_13 Depth=1
	v_and_b32_e32 v88, 0x7f, v9
	v_mov_b32_e32 v11, 0x7c01
	s_mov_b32 s50, exec_lo
	v_cmpx_ne_u32_e32 0x7f, v88
	s_cbranch_execz .LBB284_472
; %bb.469:                              ;   in Loop: Header=BB284_13 Depth=1
	v_and_b32_e32 v3, 7, v9
	v_lshrrev_b32_e32 v11, 3, v88
	s_mov_b32 s51, exec_lo
	v_cmpx_gt_u32_e32 8, v88
; %bb.470:                              ;   in Loop: Header=BB284_13 Depth=1
	v_ffbh_u32_e32 v3, v3
	v_min_u32_e32 v3, 32, v3
	v_subrev_nc_u32_e32 v11, 28, v3
	v_lshlrev_b64 v[88:89], v11, v[9:10]
	v_sub_nc_u32_e32 v11, 29, v3
	v_and_b32_e32 v3, 7, v88
; %bb.471:                              ;   in Loop: Header=BB284_13 Depth=1
	s_or_b32 exec_lo, exec_lo, s51
	v_lshlrev_b32_e32 v13, 8, v9
	v_lshl_add_u32 v11, v11, 10, 0x2000
	v_lshlrev_b32_e32 v3, 7, v3
	v_and_b32_e32 v13, 0x8000, v13
	v_and_b32_e32 v11, 0xfc00, v11
	v_or3_b32 v11, v13, v11, v3
.LBB284_472:                            ;   in Loop: Header=BB284_13 Depth=1
	s_or_b32 exec_lo, exec_lo, s50
.LBB284_473:                            ;   in Loop: Header=BB284_13 Depth=1
	s_or_b32 exec_lo, exec_lo, s49
.LBB284_474:                            ;   in Loop: Header=BB284_13 Depth=1
	s_or_b32 exec_lo, exec_lo, s48
	v_lshrrev_b16 v3, 8, v9
	s_mov_b32 s48, exec_lo
	v_cmpx_ne_u16_e32 0, v3
	s_cbranch_execz .LBB284_482
; %bb.475:                              ;   in Loop: Header=BB284_13 Depth=1
	v_bfrev_b32_e32 v10, 1
	s_mov_b32 s49, exec_lo
	v_cmpx_ne_u16_e32 0x80, v3
	s_cbranch_execz .LBB284_481
; %bb.476:                              ;   in Loop: Header=BB284_13 Depth=1
	v_and_b32_sdwa v89, v3, v24 dst_sel:DWORD dst_unused:UNUSED_PAD src0_sel:WORD_0 src1_sel:DWORD
	v_mov_b32_e32 v10, 0x7c010000
	s_mov_b32 s50, exec_lo
	v_cmpx_ne_u32_e32 0x7f, v89
	s_cbranch_execz .LBB284_480
; %bb.477:                              ;   in Loop: Header=BB284_13 Depth=1
	v_and_b32_sdwa v10, v3, v25 dst_sel:DWORD dst_unused:UNUSED_PAD src0_sel:WORD_0 src1_sel:DWORD
	v_lshrrev_b32_e32 v88, 3, v89
	s_mov_b32 s51, exec_lo
	v_cmpx_gt_u32_e32 8, v89
; %bb.478:                              ;   in Loop: Header=BB284_13 Depth=1
	v_ffbh_u32_e32 v10, v10
	v_min_u32_e32 v10, 32, v10
	v_subrev_nc_u32_e32 v13, 28, v10
	v_sub_nc_u32_e32 v88, 29, v10
	v_lshlrev_b64 v[89:90], v13, v[3:4]
	v_and_b32_e32 v10, 7, v89
; %bb.479:                              ;   in Loop: Header=BB284_13 Depth=1
	s_or_b32 exec_lo, exec_lo, s51
	v_lshlrev_b32_sdwa v3, v26, v3 dst_sel:DWORD dst_unused:UNUSED_PAD src0_sel:DWORD src1_sel:WORD_0
	v_lshl_add_u32 v13, v88, 10, 0x2000
	v_lshlrev_b32_e32 v10, 23, v10
	v_and_or_b32 v3, 0x8000, v3, v13
	v_lshl_or_b32 v10, v3, 16, v10
.LBB284_480:                            ;   in Loop: Header=BB284_13 Depth=1
	s_or_b32 exec_lo, exec_lo, s50
.LBB284_481:                            ;   in Loop: Header=BB284_13 Depth=1
	s_or_b32 exec_lo, exec_lo, s49
.LBB284_482:                            ;   in Loop: Header=BB284_13 Depth=1
	s_or_b32 exec_lo, exec_lo, s48
	v_lshrrev_b32_e32 v3, 16, v9
	v_mov_b32_e32 v88, 0
	v_mov_b32_e32 v89, 0
	v_cmp_ne_u16_sdwa s2, v3, v4 src0_sel:BYTE_0 src1_sel:DWORD
	s_and_saveexec_b32 s48, s2
	s_cbranch_execz .LBB284_490
; %bb.483:                              ;   in Loop: Header=BB284_13 Depth=1
	v_cmp_ne_u16_sdwa s2, v3, v23 src0_sel:BYTE_0 src1_sel:DWORD
	v_mov_b32_e32 v89, 0x8000
	s_and_saveexec_b32 s49, s2
	s_cbranch_execz .LBB284_489
; %bb.484:                              ;   in Loop: Header=BB284_13 Depth=1
	v_bfe_u32 v91, v9, 16, 7
	v_mov_b32_e32 v89, 0x7c01
	s_mov_b32 s50, exec_lo
	v_cmpx_ne_u32_e32 0x7f, v91
	s_cbranch_execz .LBB284_488
; %bb.485:                              ;   in Loop: Header=BB284_13 Depth=1
	v_and_b32_e32 v89, 7, v3
	v_lshrrev_b32_e32 v90, 3, v91
	s_mov_b32 s51, exec_lo
	v_cmpx_gt_u32_e32 8, v91
; %bb.486:                              ;   in Loop: Header=BB284_13 Depth=1
	v_ffbh_u32_e32 v13, v89
	v_min_u32_e32 v13, 32, v13
	v_subrev_nc_u32_e32 v14, 28, v13
	v_lshlrev_b64 v[89:90], v14, v[3:4]
	v_sub_nc_u32_e32 v90, 29, v13
	v_and_b32_e32 v89, 7, v89
; %bb.487:                              ;   in Loop: Header=BB284_13 Depth=1
	s_or_b32 exec_lo, exec_lo, s51
	v_lshlrev_b32_e32 v3, 8, v3
	v_lshl_add_u32 v13, v90, 10, 0x2000
	v_lshlrev_b32_e32 v14, 7, v89
	v_and_b32_e32 v3, 0x8000, v3
	v_and_b32_e32 v13, 0xfc00, v13
	v_or3_b32 v89, v3, v13, v14
.LBB284_488:                            ;   in Loop: Header=BB284_13 Depth=1
	s_or_b32 exec_lo, exec_lo, s50
.LBB284_489:                            ;   in Loop: Header=BB284_13 Depth=1
	s_or_b32 exec_lo, exec_lo, s49
.LBB284_490:                            ;   in Loop: Header=BB284_13 Depth=1
	s_or_b32 exec_lo, exec_lo, s48
	s_mov_b32 s48, exec_lo
	v_cmpx_lt_u32_e32 0xffffff, v9
	s_cbranch_execz .LBB284_498
; %bb.491:                              ;   in Loop: Header=BB284_13 Depth=1
	v_lshrrev_b32_e32 v3, 24, v9
	v_bfrev_b32_e32 v88, 1
	s_mov_b32 s49, exec_lo
	v_cmpx_ne_u32_e32 0x80, v3
	s_cbranch_execz .LBB284_497
; %bb.492:                              ;   in Loop: Header=BB284_13 Depth=1
	v_and_b32_e32 v90, 0x7f, v3
	v_mov_b32_e32 v88, 0x7c010000
	s_mov_b32 s50, exec_lo
	v_cmpx_ne_u32_e32 0x7f, v90
	s_cbranch_execz .LBB284_496
; %bb.493:                              ;   in Loop: Header=BB284_13 Depth=1
	v_and_b32_e32 v9, 7, v3
	v_lshrrev_b32_e32 v88, 3, v90
	s_mov_b32 s51, exec_lo
	v_cmpx_gt_u32_e32 8, v90
; %bb.494:                              ;   in Loop: Header=BB284_13 Depth=1
	v_ffbh_u32_e32 v9, v9
	v_min_u32_e32 v9, 32, v9
	v_subrev_nc_u32_e32 v13, 28, v9
	v_sub_nc_u32_e32 v88, 29, v9
	v_lshlrev_b64 v[90:91], v13, v[3:4]
	v_and_b32_e32 v9, 7, v90
; %bb.495:                              ;   in Loop: Header=BB284_13 Depth=1
	s_or_b32 exec_lo, exec_lo, s51
	v_lshlrev_b32_e32 v3, 8, v3
	v_lshl_add_u32 v13, v88, 10, 0x2000
	v_lshlrev_b32_e32 v9, 23, v9
	v_and_or_b32 v3, 0x8000, v3, v13
	v_lshl_or_b32 v88, v3, 16, v9
.LBB284_496:                            ;   in Loop: Header=BB284_13 Depth=1
	s_or_b32 exec_lo, exec_lo, s50
.LBB284_497:                            ;   in Loop: Header=BB284_13 Depth=1
	s_or_b32 exec_lo, exec_lo, s49
.LBB284_498:                            ;   in Loop: Header=BB284_13 Depth=1
	s_or_b32 exec_lo, exec_lo, s48
	ds_read_b64 v[90:91], v20
	v_or_b32_e32 v3, v32, v33
	v_or_b32_e32 v9, v34, v35
	v_fma_mixlo_f16 v13, v31, v32, 0 op_sel:[0,1,0] op_sel_hi:[0,1,0]
	v_fma_mixlo_f16 v14, v31, v34, 0 op_sel:[0,1,0] op_sel_hi:[0,1,0]
	v_or_b32_e32 v73, v72, v73
	v_fma_mixlo_f16 v3, v31, v3, 0 op_sel_hi:[0,1,0]
	v_fma_mixlo_f16 v9, v31, v9, 0 op_sel_hi:[0,1,0]
	v_and_b32_e32 v13, 0xffff, v13
	v_and_b32_e32 v14, 0xffff, v14
	v_or_b32_e32 v75, v74, v75
	v_and_b32_e32 v3, 0xffff, v3
	v_and_b32_e32 v34, 0xffff, v9
	v_fma_mixlo_f16 v72, v31, v72, 0 op_sel:[0,1,0] op_sel_hi:[0,1,0]
	v_fma_mixlo_f16 v74, v31, v74, 0 op_sel:[0,1,0] op_sel_hi:[0,1,0]
	v_fma_mixlo_f16 v73, v31, v73, 0 op_sel_hi:[0,1,0]
	v_fma_mixlo_f16 v75, v31, v75, 0 op_sel_hi:[0,1,0]
	v_or_b32_e32 v77, v76, v77
	v_or_b32_e32 v79, v78, v79
	v_fma_mixlo_f16 v76, v31, v76, 0 op_sel:[0,1,0] op_sel_hi:[0,1,0]
	s_waitcnt lgkmcnt(0)
	v_and_b32_e32 v32, 0xffff, v90
	v_lshrrev_b32_e32 v33, 16, v90
	v_lshrrev_b32_e32 v35, 16, v91
	v_and_b32_e32 v9, 0xffff, v91
	;;#ASMSTART
	v_cvt_f32_f16 v97, v32;
	;;#ASMEND
	;;#ASMSTART
	v_cvt_f32_f16 v95, v33;
	;;#ASMEND
	;; [unrolled: 3-line block ×8, first 2 shown]
	ds_read_b64 v[34:35], v20 offset:8
	v_or_b32_e32 v13, v36, v37
	v_or_b32_e32 v14, v38, v39
	v_fma_mixlo_f16 v36, v31, v36, 0 op_sel:[0,1,0] op_sel_hi:[0,1,0]
	v_fma_mixlo_f16 v37, v31, v38, 0 op_sel:[0,1,0] op_sel_hi:[0,1,0]
	v_fma_mixlo_f16 v77, v31, v77, 0 op_sel_hi:[0,1,0]
	v_fma_mixlo_f16 v13, v31, v13, 0 op_sel_hi:[0,1,0]
	;; [unrolled: 1-line block ×3, first 2 shown]
	v_and_b32_e32 v36, 0xffff, v36
	v_and_b32_e32 v37, 0xffff, v37
	v_fma_mixlo_f16 v79, v31, v79, 0 op_sel_hi:[0,1,0]
	v_and_b32_e32 v13, 0xffff, v13
	v_and_b32_e32 v14, 0xffff, v14
	v_fma_mixlo_f16 v78, v31, v78, 0 op_sel:[0,1,0] op_sel_hi:[0,1,0]
	v_and_b32_e32 v77, 0xffff, v77
	v_or_b32_e32 v83, v82, v83
	v_or_b32_e32 v81, v80, v81
	v_fma_mixlo_f16 v80, v31, v80, 0 op_sel:[0,1,0] op_sel_hi:[0,1,0]
	v_fma_mixlo_f16 v82, v31, v82, 0 op_sel:[0,1,0] op_sel_hi:[0,1,0]
	v_or_b32_e32 v87, v86, v87
	s_waitcnt lgkmcnt(0)
	v_and_b32_e32 v38, 0xffff, v34
	v_lshrrev_b32_e32 v34, 16, v34
	v_lshrrev_b32_e32 v39, 16, v35
	v_and_b32_e32 v35, 0xffff, v35
	;;#ASMSTART
	v_cvt_f32_f16 v118, v38;
	;;#ASMEND
	;;#ASMSTART
	v_cvt_f32_f16 v119, v34;
	;;#ASMEND
	;; [unrolled: 3-line block ×8, first 2 shown]
	ds_read_b64 v[34:35], v20 offset:16
	v_or_b32_e32 v13, v40, v41
	v_or_b32_e32 v14, v42, v43
	v_fma_mixlo_f16 v36, v31, v40, 0 op_sel:[0,1,0] op_sel_hi:[0,1,0]
	v_fma_mixlo_f16 v37, v31, v42, 0 op_sel:[0,1,0] op_sel_hi:[0,1,0]
	v_fma_mixlo_f16 v83, v31, v83, 0 op_sel_hi:[0,1,0]
	v_fma_mixlo_f16 v13, v31, v13, 0 op_sel_hi:[0,1,0]
	;; [unrolled: 1-line block ×3, first 2 shown]
	v_and_b32_e32 v38, 0xffff, v36
	v_and_b32_e32 v41, 0xffff, v37
	v_fma_mixlo_f16 v86, v31, v86, 0 op_sel:[0,1,0] op_sel_hi:[0,1,0]
	v_and_b32_e32 v13, 0xffff, v13
	v_and_b32_e32 v14, 0xffff, v14
	s_waitcnt lgkmcnt(0)
	v_and_b32_e32 v36, 0xffff, v34
	v_lshrrev_b32_e32 v37, 16, v34
	v_lshrrev_b32_e32 v39, 16, v35
	v_and_b32_e32 v40, 0xffff, v35
	;;#ASMSTART
	v_cvt_f32_f16 v34, v36;
	;;#ASMEND
	;;#ASMSTART
	v_cvt_f32_f16 v35, v37;
	;;#ASMEND
	;;#ASMSTART
	v_cvt_f32_f16 v36, v13;
	;;#ASMEND
	;;#ASMSTART
	v_cvt_f32_f16 v37, v38;
	;;#ASMEND
	;;#ASMSTART
	v_cvt_f32_f16 v38, v40;
	;;#ASMEND
	;;#ASMSTART
	v_cvt_f32_f16 v39, v39;
	;;#ASMEND
	;;#ASMSTART
	v_cvt_f32_f16 v40, v14;
	;;#ASMEND
	;;#ASMSTART
	v_cvt_f32_f16 v41, v41;
	;;#ASMEND
	ds_read_b64 v[42:43], v20 offset:24
	v_or_b32_e32 v13, v44, v45
	v_or_b32_e32 v14, v46, v47
	v_fma_mixlo_f16 v44, v31, v44, 0 op_sel:[0,1,0] op_sel_hi:[0,1,0]
	v_fma_mixlo_f16 v45, v31, v46, 0 op_sel:[0,1,0] op_sel_hi:[0,1,0]
	v_fma_mixlo_f16 v13, v31, v13, 0 op_sel_hi:[0,1,0]
	v_fma_mixlo_f16 v14, v31, v14, 0 op_sel_hi:[0,1,0]
	v_and_b32_e32 v46, 0xffff, v44
	v_and_b32_e32 v91, 0xffff, v45
	v_and_b32_e32 v13, 0xffff, v13
	v_and_b32_e32 v14, 0xffff, v14
	s_waitcnt lgkmcnt(0)
	v_and_b32_e32 v44, 0xffff, v42
	v_lshrrev_b32_e32 v45, 16, v42
	v_lshrrev_b32_e32 v47, 16, v43
	v_and_b32_e32 v90, 0xffff, v43
	;;#ASMSTART
	v_cvt_f32_f16 v42, v44;
	;;#ASMEND
	;;#ASMSTART
	v_cvt_f32_f16 v43, v45;
	;;#ASMEND
	;;#ASMSTART
	v_cvt_f32_f16 v44, v13;
	;;#ASMEND
	;;#ASMSTART
	v_cvt_f32_f16 v45, v46;
	;;#ASMEND
	;;#ASMSTART
	v_cvt_f32_f16 v46, v90;
	;;#ASMEND
	;;#ASMSTART
	v_cvt_f32_f16 v47, v47;
	;;#ASMEND
	;;#ASMSTART
	v_cvt_f32_f16 v90, v14;
	;;#ASMEND
	;;#ASMSTART
	v_cvt_f32_f16 v91, v91;
	;;#ASMEND
	ds_read_b64 v[92:93], v20 offset:32
	v_or_b32_e32 v13, v48, v49
	v_or_b32_e32 v14, v50, v51
	v_fma_mixlo_f16 v48, v31, v48, 0 op_sel:[0,1,0] op_sel_hi:[0,1,0]
	v_fma_mixlo_f16 v49, v31, v50, 0 op_sel:[0,1,0] op_sel_hi:[0,1,0]
	v_fma_mixlo_f16 v13, v31, v13, 0 op_sel_hi:[0,1,0]
	v_fma_mixlo_f16 v14, v31, v14, 0 op_sel_hi:[0,1,0]
	v_and_b32_e32 v51, 0xffff, v48
	v_and_b32_e32 v96, 0xffff, v49
	;; [unrolled: 40-line block ×5, first 2 shown]
	v_and_b32_e32 v13, 0xffff, v13
	v_and_b32_e32 v14, 0xffff, v14
	s_waitcnt lgkmcnt(0)
	v_lshrrev_b32_e32 v112, 16, v109
	v_and_b32_e32 v111, 0xffff, v109
	v_and_b32_e32 v62, 0xffff, v108
	v_lshrrev_b32_e32 v63, 16, v108
	;;#ASMSTART
	v_cvt_f32_f16 v109, v62;
	;;#ASMEND
	;;#ASMSTART
	v_cvt_f32_f16 v108, v63;
	;;#ASMEND
	;; [unrolled: 3-line block ×8, first 2 shown]
	ds_read_b64 v[60:61], v20 offset:64
	v_or_b32_e32 v13, v64, v65
	v_or_b32_e32 v14, v66, v67
	v_fma_mixlo_f16 v62, v31, v64, 0 op_sel:[0,1,0] op_sel_hi:[0,1,0]
	v_fma_mixlo_f16 v63, v31, v66, 0 op_sel:[0,1,0] op_sel_hi:[0,1,0]
	v_fma_mixlo_f16 v13, v31, v13, 0 op_sel_hi:[0,1,0]
	v_fma_mixlo_f16 v14, v31, v14, 0 op_sel_hi:[0,1,0]
	v_and_b32_e32 v62, 0xffff, v62
	v_and_b32_e32 v63, 0xffff, v63
	;; [unrolled: 1-line block ×4, first 2 shown]
	s_waitcnt lgkmcnt(0)
	v_and_b32_e32 v64, 0xffff, v60
	v_lshrrev_b32_e32 v124, 16, v61
	v_lshrrev_b32_e32 v60, 16, v60
	v_and_b32_e32 v61, 0xffff, v61
	;;#ASMSTART
	v_cvt_f32_f16 v65, v64;
	;;#ASMEND
	;;#ASMSTART
	v_cvt_f32_f16 v64, v60;
	;;#ASMEND
	;; [unrolled: 3-line block ×8, first 2 shown]
	ds_read_b64 v[13:14], v20 offset:72
	v_or_b32_e32 v60, v68, v69
	v_or_b32_e32 v61, v70, v71
	v_fma_mixlo_f16 v62, v31, v68, 0 op_sel:[0,1,0] op_sel_hi:[0,1,0]
	v_fma_mixlo_f16 v63, v31, v70, 0 op_sel:[0,1,0] op_sel_hi:[0,1,0]
	v_fma_mixlo_f16 v60, v31, v60, 0 op_sel_hi:[0,1,0]
	v_fma_mixlo_f16 v61, v31, v61, 0 op_sel_hi:[0,1,0]
	v_and_b32_e32 v68, 0xffff, v62
	v_and_b32_e32 v69, 0xffff, v63
	v_mul_f32_e32 v62, v118, v120
	v_and_b32_e32 v71, 0xffff, v60
	v_and_b32_e32 v17, 0xffff, v61
	v_mul_f32_e32 v61, v116, v117
	v_mul_f32_e32 v63, v119, v121
	v_and_b32_e32 v121, 0xffff, v74
	v_and_b32_e32 v74, 0xffff, v73
	v_fmac_f32_e32 v62, v97, v99
	v_mul_f32_e32 v60, v122, v123
	v_or_b32_e32 v120, v84, v85
	s_waitcnt lgkmcnt(0)
	v_and_b32_e32 v70, 0xffff, v13
	v_lshrrev_b32_e32 v13, 16, v13
	v_lshrrev_b32_e32 v117, 16, v14
	v_and_b32_e32 v14, 0xffff, v14
	;;#ASMSTART
	v_cvt_f32_f16 v118, v70;
	;;#ASMEND
	;;#ASMSTART
	v_cvt_f32_f16 v70, v13;
	;;#ASMEND
	;;#ASMSTART
	v_cvt_f32_f16 v119, v71;
	;;#ASMEND
	;;#ASMSTART
	v_cvt_f32_f16 v71, v68;
	;;#ASMEND
	;;#ASMSTART
	v_cvt_f32_f16 v116, v14;
	;;#ASMEND
	;;#ASMSTART
	v_cvt_f32_f16 v68, v117;
	;;#ASMEND
	;;#ASMSTART
	v_cvt_f32_f16 v117, v17;
	;;#ASMEND
	;;#ASMSTART
	v_cvt_f32_f16 v69, v69;
	;;#ASMEND
	ds_read_b64 v[13:14], v20 offset:80
	v_and_b32_e32 v17, 0xffff, v72
	v_and_b32_e32 v122, 0xffff, v75
	v_fmac_f32_e32 v63, v95, v98
	v_and_b32_e32 v99, 0xffff, v79
	v_fmac_f32_e32 v60, v9, v33
	v_fmac_f32_e32 v61, v3, v32
	;; [unrolled: 1-line block ×4, first 2 shown]
	v_fma_mixlo_f16 v84, v31, v84, 0 op_sel:[0,1,0] op_sel_hi:[0,1,0]
	v_fmac_f32_e32 v60, v38, v40
	v_fmac_f32_e32 v61, v39, v41
	;; [unrolled: 1-line block ×4, first 2 shown]
	v_and_b32_e32 v40, 0xffff, v83
	v_fmac_f32_e32 v60, v46, v90
	v_fmac_f32_e32 v61, v47, v91
	;; [unrolled: 1-line block ×4, first 2 shown]
	v_and_b32_e32 v48, 0xffff, v86
	s_waitcnt lgkmcnt(0)
	v_and_b32_e32 v72, 0xffff, v13
	v_lshrrev_b32_e32 v13, 16, v13
	v_lshrrev_b32_e32 v97, 16, v14
	v_and_b32_e32 v14, 0xffff, v14
	;;#ASMSTART
	v_cvt_f32_f16 v72, v72;
	;;#ASMEND
	;;#ASMSTART
	v_cvt_f32_f16 v73, v13;
	;;#ASMEND
	;; [unrolled: 3-line block ×8, first 2 shown]
	ds_read_b64 v[13:14], v20 offset:88
	v_and_b32_e32 v17, 0xffff, v76
	v_and_b32_e32 v121, 0xffff, v78
	v_fma_mixlo_f16 v76, v31, v120, 0 op_sel_hi:[0,1,0]
	v_fmac_f32_e32 v60, v92, v94
	v_fmac_f32_e32 v62, v102, v103
	;; [unrolled: 1-line block ×4, first 2 shown]
	v_or_b32_e32 v49, v88, v89
	v_fmac_f32_e32 v60, v54, v100
	v_fmac_f32_e32 v62, v57, v105
	;; [unrolled: 1-line block ×9, first 2 shown]
	s_waitcnt lgkmcnt(0)
	v_and_b32_e32 v9, 0xffff, v13
	v_lshrrev_b32_e32 v13, 16, v13
	v_lshrrev_b32_e32 v79, 16, v14
	v_and_b32_e32 v14, 0xffff, v14
	;;#ASMSTART
	v_cvt_f32_f16 v3, v9;
	;;#ASMEND
	;;#ASMSTART
	v_cvt_f32_f16 v32, v13;
	;;#ASMEND
	;; [unrolled: 3-line block ×8, first 2 shown]
	ds_read_b64 v[13:14], v20 offset:96
	v_fma_mixlo_f16 v9, v31, v81, 0 op_sel_hi:[0,1,0]
	v_and_b32_e32 v17, 0xffff, v80
	v_and_b32_e32 v80, 0xffff, v82
	v_fmac_f32_e32 v62, v65, v125
	v_fmac_f32_e32 v63, v64, v66
	v_and_b32_e32 v9, 0xffff, v9
	v_fma_mixlo_f16 v81, v31, v87, 0 op_sel_hi:[0,1,0]
	v_fmac_f32_e32 v61, v112, v115
	v_fmac_f32_e32 v60, v67, v126
	v_fmac_f32_e32 v62, v118, v119
	v_fmac_f32_e32 v63, v70, v71
	v_and_b32_e32 v47, 0xffff, v81
	v_fmac_f32_e32 v61, v124, v127
	v_fmac_f32_e32 v60, v116, v117
	;; [unrolled: 1-line block ×6, first 2 shown]
	s_waitcnt lgkmcnt(0)
	v_and_b32_e32 v34, 0xffff, v13
	v_lshrrev_b32_e32 v13, 16, v13
	v_lshrrev_b32_e32 v39, 16, v14
	v_and_b32_e32 v14, 0xffff, v14
	;;#ASMSTART
	v_cvt_f32_f16 v34, v34;
	;;#ASMEND
	;;#ASMSTART
	v_cvt_f32_f16 v35, v13;
	;;#ASMEND
	;; [unrolled: 3-line block ×8, first 2 shown]
	ds_read_b64 v[13:14], v20 offset:104
	v_or_b32_e32 v9, v10, v11
	v_fma_mixlo_f16 v11, v31, v10, 0 op_sel:[0,1,0] op_sel_hi:[0,1,0]
	v_and_b32_e32 v17, 0xffff, v76
	v_fmac_f32_e32 v62, v3, v33
	v_fmac_f32_e32 v63, v32, v77
	v_fma_mixlo_f16 v42, v31, v9, 0 op_sel_hi:[0,1,0]
	v_fmac_f32_e32 v61, v74, v97
	v_fmac_f32_e32 v60, v78, v99
	;; [unrolled: 1-line block ×4, first 2 shown]
	v_fma_mixlo_f16 v3, v31, v49, 0 op_sel_hi:[0,1,0]
	v_fmac_f32_e32 v61, v79, v120
	v_fmac_f32_e32 v60, v38, v40
	v_and_b32_e32 v32, 0xffff, v11
	v_fma_mixlo_f16 v31, v31, v88, 0 op_sel:[0,1,0] op_sel_hi:[0,1,0]
	v_fmac_f32_e32 v61, v39, v41
	s_waitcnt lgkmcnt(0)
	v_and_b32_e32 v9, 0xffff, v13
	v_lshrrev_b32_e32 v10, 16, v13
	;;#ASMSTART
	v_cvt_f32_f16 v13, v9;
	;;#ASMEND
	;;#ASMSTART
	v_cvt_f32_f16 v43, v10;
	;;#ASMEND
	v_and_b32_e32 v9, 0xffff, v84
	v_and_b32_e32 v10, 0xffff, v14
	;;#ASMSTART
	v_cvt_f32_f16 v44, v17;
	;;#ASMEND
	v_lshrrev_b32_e32 v17, 16, v14
	;;#ASMSTART
	v_cvt_f32_f16 v14, v9;
	;;#ASMEND
	;;#ASMSTART
	v_cvt_f32_f16 v45, v10;
	;;#ASMEND
	;;#ASMSTART
	v_cvt_f32_f16 v46, v17;
	;;#ASMEND
	;;#ASMSTART
	v_cvt_f32_f16 v47, v47;
	;;#ASMEND
	;;#ASMSTART
	v_cvt_f32_f16 v48, v48;
	;;#ASMEND
	ds_read_b64 v[9:10], v20 offset:112
	v_fmac_f32_e32 v62, v13, v44
	v_fmac_f32_e32 v63, v43, v14
	v_and_b32_e32 v17, 0xffff, v42
	v_fmac_f32_e32 v60, v45, v47
	v_fmac_f32_e32 v61, v46, v48
	s_waitcnt lgkmcnt(0)
	v_and_b32_e32 v13, 0xffff, v9
	v_lshrrev_b32_e32 v14, 16, v9
	;;#ASMSTART
	v_cvt_f32_f16 v9, v13;
	;;#ASMEND
	;;#ASMSTART
	v_cvt_f32_f16 v11, v14;
	;;#ASMEND
	;; [unrolled: 3-line block ×3, first 2 shown]
	v_and_b32_e32 v17, 0xffff, v10
	v_lshrrev_b32_e32 v10, 16, v10
	;;#ASMSTART
	v_cvt_f32_f16 v14, v32;
	;;#ASMEND
	v_and_b32_e32 v32, 0xffff, v3
	v_fmac_f32_e32 v62, v9, v13
	v_fmac_f32_e32 v63, v11, v14
	;;#ASMSTART
	v_cvt_f32_f16 v3, v17;
	;;#ASMEND
	;;#ASMSTART
	v_cvt_f32_f16 v9, v10;
	;;#ASMEND
	v_xor_b32_e32 v10, 1, v16
	;;#ASMSTART
	v_cvt_f32_f16 v11, v32;
	;;#ASMEND
	v_fmac_f32_e32 v60, v3, v11
	v_add_f32_e32 v3, v62, v63
	v_and_b32_e32 v13, 0xffff, v31
	v_cmp_gt_i32_e64 s2, 32, v10
	;;#ASMSTART
	v_cvt_f32_f16 v11, v13;
	;;#ASMEND
	v_fmac_f32_e32 v61, v9, v11
	v_add_f32_e32 v3, v3, v60
	v_cndmask_b32_e64 v9, v16, v10, s2
	v_add_f32_e32 v3, v61, v3
	v_lshlrev_b32_e32 v9, 2, v9
	ds_bpermute_b32 v9, v9, v3
	s_and_saveexec_b32 s48, vcc_lo
	s_cbranch_execz .LBB284_11
; %bb.499:                              ;   in Loop: Header=BB284_13 Depth=1
	v_add_nc_u32_e32 v10, v27, v21
	s_waitcnt lgkmcnt(0)
	v_add_f32_e32 v3, v3, v9
	v_cvt_f32_i32_e32 v10, v10
	v_mul_f32_e32 v10, s43, v10
	v_cndmask_b32_e64 v9, 0, v10, s1
	v_max_f32_e32 v10, v18, v18
	v_fmac_f32_e32 v9, s41, v3
	v_add_nc_u32_e32 v3, v19, v21
	v_max_f32_e32 v10, v10, v9
	v_cmp_gt_i32_e64 s2, s31, v3
	v_cndmask_b32_e64 v3, 0, v9, s2
	v_cndmask_b32_e64 v18, v18, v10, s2
	ds_write_b32 v28, v3
	s_branch .LBB284_11
.LBB284_500:
	s_or_b32 exec_lo, exec_lo, s46
	v_and_b32_e32 v27, 1, v0
	v_lshrrev_b32_e32 v61, 5, v0
.LBB284_501:
	s_or_b32 exec_lo, exec_lo, s45
	v_xor_b32_e32 v3, 16, v16
	v_xor_b32_e32 v4, 8, v16
	v_max_f32_e32 v5, v18, v18
	v_lshlrev_b32_e32 v10, 2, v61
	v_cmp_gt_i32_e32 vcc_lo, 32, v3
	v_cndmask_b32_e32 v3, v16, v3, vcc_lo
	v_cmp_gt_i32_e32 vcc_lo, 32, v4
	v_lshlrev_b32_e32 v6, 2, v3
	v_cndmask_b32_e32 v4, v16, v4, vcc_lo
	ds_bpermute_b32 v3, v6, v18
	v_lshlrev_b32_e32 v8, 2, v4
	s_waitcnt lgkmcnt(0)
	v_max_f32_e32 v3, v3, v3
	v_max_f32_e32 v3, v5, v3
	v_xor_b32_e32 v5, 4, v16
	ds_bpermute_b32 v4, v8, v3
	v_cmp_gt_i32_e32 vcc_lo, 32, v5
	v_cndmask_b32_e32 v5, v16, v5, vcc_lo
	v_lshlrev_b32_e32 v9, 2, v5
	v_xor_b32_e32 v5, 2, v16
	v_cmp_gt_i32_e32 vcc_lo, 32, v5
	s_waitcnt lgkmcnt(0)
	v_max_f32_e32 v4, v4, v4
	v_cndmask_b32_e32 v5, v16, v5, vcc_lo
	v_max_f32_e32 v3, v3, v4
	v_lshlrev_b32_e32 v5, 2, v5
	ds_bpermute_b32 v4, v9, v3
	s_waitcnt lgkmcnt(0)
	v_max_f32_e32 v4, v4, v4
	v_max_f32_e32 v4, v3, v4
	v_and_b32_e32 v3, 31, v0
	ds_bpermute_b32 v7, v5, v4
	v_cmp_eq_u32_e32 vcc_lo, 0, v3
	s_and_saveexec_b32 s1, vcc_lo
	s_cbranch_execz .LBB284_503
; %bb.502:
	s_waitcnt lgkmcnt(0)
	v_max_f32_e32 v7, v7, v7
	v_max_f32_e32 v4, v4, v4
	;; [unrolled: 1-line block ×3, first 2 shown]
	ds_write_b32 v10, v4 offset:240
.LBB284_503:
	s_or_b32 exec_lo, exec_lo, s1
	v_cmp_gt_u32_e64 s1, 4, v3
	v_mov_b32_e32 v4, 0xff7fffff
	v_lshlrev_b32_e32 v11, 2, v3
	s_waitcnt lgkmcnt(0)
	s_waitcnt_vscnt null, 0x0
	s_barrier
	buffer_gl0_inv
	s_and_saveexec_b32 s2, s1
; %bb.504:
	ds_read_b32 v4, v11 offset:240
; %bb.505:
	s_or_b32 exec_lo, exec_lo, s2
	s_waitcnt lgkmcnt(0)
	ds_bpermute_b32 v7, v5, v4
	v_xor_b32_e32 v13, 1, v16
	v_max_f32_e32 v4, v4, v4
	v_cmp_gt_i32_e64 s2, 32, v13
	v_cndmask_b32_e64 v13, v16, v13, s2
	v_mov_b32_e32 v16, 0
	s_sub_i32 s2, s20, s44
	s_lshl_b32 s2, s2, 4
	v_lshlrev_b32_e32 v18, 2, v13
	s_add_i32 s2, s2, s42
	s_min_i32 s2, s2, s31
	s_waitcnt lgkmcnt(0)
	v_max_f32_e32 v7, v7, v7
	s_sub_i32 s4, s2, s42
	v_cmp_gt_i32_e64 s2, s4, v0
	v_max_f32_e32 v4, v4, v7
	ds_bpermute_b32 v7, v18, v4
	s_waitcnt lgkmcnt(0)
	v_max_f32_e32 v7, v7, v7
	v_max_f32_e32 v4, v4, v7
	v_lshl_add_u32 v7, v0, 2, 0x110
	ds_bpermute_b32 v4, v16, v4
	s_and_saveexec_b32 s5, s2
	s_cbranch_execz .LBB284_509
; %bb.506:
	v_lshl_add_u32 v19, v0, 2, 0x110
	v_mov_b32_e32 v16, 0
	v_mov_b32_e32 v20, v0
	s_mov_b32 s12, 0
	.p2align	6
.LBB284_507:                            ; =>This Inner Loop Header: Depth=1
	ds_read_b32 v13, v19
	v_add_nc_u32_e32 v20, 0x80, v20
	v_cmp_le_i32_e64 s3, s4, v20
	s_or_b32 s12, s3, s12
	s_waitcnt lgkmcnt(0)
	v_sub_f32_e32 v13, v13, v4
	v_mul_f32_e32 v13, 0x3fb8aa3b, v13
	v_exp_f32_e32 v13, v13
	ds_write_b32 v19, v13
	v_add_f32_e32 v16, v16, v13
	v_add_nc_u32_e32 v19, 0x200, v19
	s_andn2_b32 exec_lo, exec_lo, s12
	s_cbranch_execnz .LBB284_507
; %bb.508:
	s_or_b32 exec_lo, exec_lo, s12
.LBB284_509:
	s_or_b32 exec_lo, exec_lo, s5
	ds_bpermute_b32 v6, v6, v16
	s_waitcnt lgkmcnt(0)
	v_add_f32_e32 v6, v16, v6
	ds_bpermute_b32 v8, v8, v6
	s_waitcnt lgkmcnt(0)
	v_add_f32_e32 v6, v6, v8
	;; [unrolled: 3-line block ×5, first 2 shown]
	s_and_saveexec_b32 s3, vcc_lo
; %bb.510:
	ds_write_b32 v10, v6 offset:256
; %bb.511:
	s_or_b32 exec_lo, exec_lo, s3
	s_waitcnt lgkmcnt(0)
	s_barrier
	buffer_gl0_inv
	s_and_saveexec_b32 s3, s1
; %bb.512:
	ds_read_b32 v6, v11 offset:256
; %bb.513:
	s_or_b32 exec_lo, exec_lo, s3
	s_waitcnt lgkmcnt(0)
	ds_bpermute_b32 v5, v5, v6
	s_waitcnt lgkmcnt(0)
	v_add_f32_e32 v5, v6, v5
	ds_bpermute_b32 v6, v18, v5
	s_waitcnt lgkmcnt(0)
	v_add_f32_e32 v5, v5, v6
	v_mov_b32_e32 v6, 0
	ds_bpermute_b32 v5, v6, v5
	s_and_saveexec_b32 s1, s2
	s_cbranch_execz .LBB284_516
; %bb.514:
	s_waitcnt lgkmcnt(0)
	v_add_f32_e32 v6, 0x358637bd, v5
	s_mov_b32 s2, 0
	v_div_scale_f32 v8, null, v6, v6, 1.0
	v_div_scale_f32 v11, vcc_lo, 1.0, v6, 1.0
	v_rcp_f32_e32 v9, v8
	v_fma_f32 v10, -v8, v9, 1.0
	v_fmac_f32_e32 v9, v10, v9
	v_mul_f32_e32 v10, v11, v9
	v_fma_f32 v13, -v8, v10, v11
	v_fmac_f32_e32 v10, v13, v9
	v_fma_f32 v8, -v8, v10, v11
	v_div_fmas_f32 v8, v8, v9, v10
	v_div_fixup_f32 v6, v8, v6, 1.0
	v_mov_b32_e32 v8, v0
.LBB284_515:                            ; =>This Inner Loop Header: Depth=1
	ds_read_b32 v9, v7
	v_add_nc_u32_e32 v8, 0x80, v8
	v_cmp_le_i32_e32 vcc_lo, s4, v8
	s_or_b32 s2, vcc_lo, s2
	s_waitcnt lgkmcnt(0)
	v_mul_f32_e32 v9, v6, v9
	ds_write_b32 v7, v9
	v_add_nc_u32_e32 v7, 0x200, v7
	s_andn2_b32 exec_lo, exec_lo, s2
	s_cbranch_execnz .LBB284_515
.LBB284_516:
	s_or_b32 exec_lo, exec_lo, s1
	s_mul_i32 s1, s11, s30
	s_waitcnt lgkmcnt(0)
	s_mul_i32 s2, s1, s9
	s_mov_b32 s1, exec_lo
	s_barrier
	buffer_gl0_inv
	v_cmpx_eq_u32_e32 0, v0
	s_cbranch_execz .LBB284_518
; %bb.517:
	s_ashr_i32 s3, s2, 31
	s_mul_i32 s12, s11, s6
	s_lshl_b64 s[4:5], s[2:3], 2
	v_mov_b32_e32 v6, 0
	s_add_u32 s3, s26, s4
	s_addc_u32 s6, s27, s5
	s_ashr_i32 s13, s12, 31
	s_lshl_b64 s[12:13], s[12:13], 2
	s_add_u32 s3, s3, s12
	s_addc_u32 s6, s6, s13
	s_ashr_i32 s9, s8, 31
	s_lshl_b64 s[26:27], s[8:9], 2
	s_add_u32 s42, s3, s26
	s_addc_u32 s43, s6, s27
	s_add_u32 s3, s24, s4
	s_addc_u32 s4, s25, s5
	;; [unrolled: 2-line block ×4, first 2 shown]
	global_store_dword v6, v4, s[42:43]
	global_store_dword v6, v5, s[4:5]
.LBB284_518:
	s_or_b32 exec_lo, exec_lo, s1
	v_lshrrev_b32_e32 v16, 1, v3
	s_and_saveexec_b32 s1, s0
	s_xor_b32 s0, exec_lo, s1
; %bb.519:
	v_lshrrev_b32_e32 v16, 1, v3
                                        ; implicit-def: $vgpr1
                                        ; implicit-def: $vgpr15
                                        ; implicit-def: $vgpr2
                                        ; kill: killed $vgpr2
; %bb.520:
	s_or_saveexec_b32 s3, s0
	v_mov_b32_e32 v26, 0
	v_mov_b32_e32 v25, 0
	;; [unrolled: 1-line block ×8, first 2 shown]
	s_xor_b32 exec_lo, exec_lo, s3
	s_cbranch_execz .LBB284_1056
; %bb.521:
	s_sub_i32 s9, s40, s21
	s_ashr_i32 s0, s18, 31
	s_add_u32 s4, s38, s18
	s_addc_u32 s5, s39, s0
	s_abs_i32 s12, s22
	v_or_b32_e32 v7, 0x70, v16
	v_cvt_f32_u32_e32 v3, s12
	s_sub_i32 s0, 0, s12
	v_lshlrev_b64 v[4:5], 2, v[1:2]
	v_lshlrev_b32_e32 v2, 5, v27
	v_mov_b32_e32 v9, v61
	v_rcp_iflag_f32_e32 v6, v3
	buffer_load_dword v3, off, s[52:55], 0  ; 4-byte Folded Reload
	v_cmp_gt_u32_e32 vcc_lo, 0x78, v7
	s_mov_b32 s13, s17
	s_add_i32 s17, s7, -1
	v_lshl_or_b32 v2, v9, 6, v2
	v_mov_b32_e32 v60, v27
	v_mov_b32_e32 v27, 0x80
	;; [unrolled: 1-line block ×4, first 2 shown]
	v_mul_f32_e32 v6, 0x4f7ffffe, v6
	v_mov_b32_e32 v30, 8
	v_mov_b32_e32 v19, 0
	;; [unrolled: 1-line block ×4, first 2 shown]
	v_cvt_u32_f32_e32 v6, v6
	v_mov_b32_e32 v22, 0
	v_mov_b32_e32 v23, 0
	;; [unrolled: 1-line block ×4, first 2 shown]
	v_mul_lo_u32 v8, s0, v6
	s_lshl_b64 s[0:1], s[36:37], 2
	v_add_nc_u32_e32 v33, 0x110, v2
	s_add_u32 s0, s34, s0
	s_addc_u32 s1, s35, s1
	v_add_co_u32 v4, s0, s0, v4
	v_add_co_ci_u32_e64 v5, null, s1, v5, s0
	v_mov_b32_e32 v26, 0
	s_mov_b32 s6, -1
	s_mov_b32 s7, 0xffffff
	s_mov_b32 s18, 0
	s_waitcnt vmcnt(0)
	v_and_b32_e32 v17, 8, v3
	v_mov_b32_e32 v3, 0
	v_lshl_or_b32 v32, v7, 4, v17
	v_mul_hi_u32 v7, v6, v8
	v_lshl_or_b32 v31, v16, 4, v17
	v_add_nc_u32_e32 v34, v6, v7
	s_branch .LBB284_525
.LBB284_522:                            ;   in Loop: Header=BB284_525 Depth=1
	s_or_b32 exec_lo, exec_lo, s1
	;;#ASMSTART
	v_pk_mul_f16 v2, v41, v57;

	;;#ASMEND
	;;#ASMSTART
	v_pk_mul_f16 v6, v40, v56;

	;;#ASMEND
	;; [unrolled: 4-line block ×4, first 2 shown]
	;;#ASMSTART
	v_pk_add_f16 v2, v2, v6;

	;;#ASMEND
	;;#ASMSTART
	v_pk_add_f16 v2, v2, v7;

	;;#ASMEND
	;; [unrolled: 4-line block ×3, first 2 shown]
	v_and_b32_e32 v6, 0xffff, v2
	v_lshrrev_b32_e32 v7, 16, v2
	;;#ASMSTART
	v_cvt_f32_f16 v2, v6;
	;;#ASMEND
	;;#ASMSTART
	v_cvt_f32_f16 v6, v7;
	;;#ASMEND
	v_add_f32_e32 v2, v2, v6
	v_add_f32_e32 v19, v19, v2
.LBB284_523:                            ;   in Loop: Header=BB284_525 Depth=1
	s_or_b32 exec_lo, exec_lo, s22
	v_add_f32_e32 v2, v10, v11
	v_add_f32_e32 v6, v48, v49
	;; [unrolled: 1-line block ×14, first 2 shown]
.LBB284_524:                            ;   in Loop: Header=BB284_525 Depth=1
	s_or_b32 exec_lo, exec_lo, s21
	v_add_nc_u32_e32 v1, 4, v1
	v_add_co_u32 v4, s1, v4, 16
	v_add_co_ci_u32_e64 v5, null, 0, v5, s1
	v_cmp_le_i32_e64 s0, s20, v1
	v_add_nc_u32_e32 v15, 64, v15
	v_add_nc_u32_e32 v33, 0x100, v33
	s_or_b32 s18, s0, s18
	s_andn2_b32 exec_lo, exec_lo, s18
	s_cbranch_execz .LBB284_1055
.LBB284_525:                            ; =>This Inner Loop Header: Depth=1
	v_sub_nc_u32_e32 v2, 0, v15
	v_max_i32_e32 v2, v15, v2
	v_mul_hi_u32 v6, v2, s19
	v_mul_lo_u32 v7, v6, s16
	v_sub_nc_u32_e32 v2, v2, v7
	v_add_nc_u32_e32 v7, 1, v6
	v_subrev_nc_u32_e32 v8, s16, v2
	v_cmp_le_u32_e64 s0, s16, v2
	v_cndmask_b32_e64 v6, v6, v7, s0
	v_cndmask_b32_e64 v2, v2, v8, s0
	v_ashrrev_i32_e32 v7, 31, v15
	v_add_nc_u32_e32 v8, 1, v6
	v_cmp_le_u32_e64 s0, s16, v2
	v_xor_b32_e32 v7, s23, v7
	v_cndmask_b32_e64 v2, v6, v8, s0
	v_xor_b32_e32 v2, v2, v7
	v_sub_nc_u32_e32 v2, v2, v7
	v_add_nc_u32_e32 v6, s33, v2
	v_cmp_lt_i32_e64 s1, s9, v2
	v_sub_nc_u32_e32 v7, 0, v6
	v_max_i32_e32 v7, v6, v7
	v_ashrrev_i32_e32 v6, 31, v6
	v_mul_hi_u32 v8, v7, v34
	v_mul_lo_u32 v8, v8, s12
	v_sub_nc_u32_e32 v7, v7, v8
	v_subrev_nc_u32_e32 v8, s12, v7
	v_cmp_le_u32_e64 s0, s12, v7
	v_cndmask_b32_e64 v7, v7, v8, s0
	v_subrev_nc_u32_e32 v8, s12, v7
	v_cmp_le_u32_e64 s0, s12, v7
	v_cndmask_b32_e64 v7, v7, v8, s0
	v_xor_b32_e32 v7, v7, v6
	v_sub_nc_u32_e32 v6, v7, v6
	v_cmp_eq_u32_e64 s0, 0, v6
	s_or_b32 s0, s0, s1
	s_and_saveexec_b32 s21, s0
	s_cbranch_execz .LBB284_524
; %bb.526:                              ;   in Loop: Header=BB284_525 Depth=1
	global_load_dword v2, v[4:5], off
	ds_read2_b64 v[8:11], v33 offset1:1
	ds_read2_b64 v[41:44], v33 offset0:2 offset1:3
	v_mov_b32_e32 v45, 0
	v_mov_b32_e32 v46, 0
	s_waitcnt lgkmcnt(1)
	;;#ASMSTART
	v_cvt_f16_f32 v39, v8;

	;;#ASMEND
	;;#ASMSTART
	v_cvt_f16_f32 v36, v9;

	;;#ASMEND
	;; [unrolled: 4-line block ×4, first 2 shown]
	s_waitcnt lgkmcnt(0)
	;;#ASMSTART
	v_cvt_f16_f32 v41, v41;

	;;#ASMEND
	;;#ASMSTART
	v_cvt_f16_f32 v38, v42;

	;;#ASMEND
	;; [unrolled: 4-line block ×4, first 2 shown]
	global_load_dword v44, v45, s[14:15]
	s_waitcnt vmcnt(1)
	v_mad_i64_i32 v[6:7], null, v2, s13, s[4:5]
	v_add_co_u32 v8, s0, v6, v31
	v_add_co_ci_u32_e64 v9, null, 0, v7, s0
	global_load_dwordx2 v[10:11], v[8:9], off
	s_waitcnt vmcnt(0)
	v_cmp_ne_u16_sdwa s0, v10, v3 src0_sel:BYTE_0 src1_sel:DWORD
	s_and_saveexec_b32 s1, s0
	s_cbranch_execz .LBB284_534
; %bb.527:                              ;   in Loop: Header=BB284_525 Depth=1
	v_cmp_ne_u16_sdwa s0, v10, v27 src0_sel:BYTE_0 src1_sel:DWORD
	v_mov_b32_e32 v46, 0x8000
	s_and_saveexec_b32 s22, s0
	s_cbranch_execz .LBB284_533
; %bb.528:                              ;   in Loop: Header=BB284_525 Depth=1
	v_and_b32_e32 v47, 0x7f, v10
	v_mov_b32_e32 v46, 0x7c01
	s_mov_b32 s24, exec_lo
	v_cmpx_ne_u32_e32 0x7f, v47
	s_cbranch_execz .LBB284_532
; %bb.529:                              ;   in Loop: Header=BB284_525 Depth=1
	v_and_b32_e32 v2, 7, v10
	v_lshrrev_b32_e32 v35, 3, v47
	s_mov_b32 s25, exec_lo
	v_cmpx_gt_u32_e32 8, v47
; %bb.530:                              ;   in Loop: Header=BB284_525 Depth=1
	v_ffbh_u32_e32 v2, v2
	v_min_u32_e32 v2, 32, v2
	v_subrev_nc_u32_e32 v13, 28, v2
	v_sub_nc_u32_e32 v35, 29, v2
	v_lshlrev_b64 v[13:14], v13, v[10:11]
	v_and_b32_e32 v2, 7, v13
; %bb.531:                              ;   in Loop: Header=BB284_525 Depth=1
	s_or_b32 exec_lo, exec_lo, s25
	v_lshlrev_b32_e32 v13, 8, v10
	v_lshl_add_u32 v14, v35, 10, 0x2000
	v_lshlrev_b32_e32 v2, 7, v2
	v_and_b32_e32 v13, 0x8000, v13
	v_and_b32_e32 v14, 0xfc00, v14
	v_or3_b32 v46, v13, v14, v2
.LBB284_532:                            ;   in Loop: Header=BB284_525 Depth=1
	s_or_b32 exec_lo, exec_lo, s24
.LBB284_533:                            ;   in Loop: Header=BB284_525 Depth=1
	s_or_b32 exec_lo, exec_lo, s22
.LBB284_534:                            ;   in Loop: Header=BB284_525 Depth=1
	s_or_b32 exec_lo, exec_lo, s1
	v_lshrrev_b16 v2, 8, v10
	s_mov_b32 s1, exec_lo
	v_cmpx_ne_u16_e32 0, v2
	s_cbranch_execz .LBB284_542
; %bb.535:                              ;   in Loop: Header=BB284_525 Depth=1
	v_bfrev_b32_e32 v45, 1
	s_mov_b32 s22, exec_lo
	v_cmpx_ne_u16_e32 0x80, v2
	s_cbranch_execz .LBB284_541
; %bb.536:                              ;   in Loop: Header=BB284_525 Depth=1
	v_and_b32_sdwa v47, v2, v28 dst_sel:DWORD dst_unused:UNUSED_PAD src0_sel:WORD_0 src1_sel:DWORD
	v_mov_b32_e32 v45, 0x7c010000
	s_mov_b32 s24, exec_lo
	v_cmpx_ne_u32_e32 0x7f, v47
	s_cbranch_execz .LBB284_540
; %bb.537:                              ;   in Loop: Header=BB284_525 Depth=1
	v_and_b32_sdwa v35, v2, v29 dst_sel:DWORD dst_unused:UNUSED_PAD src0_sel:WORD_0 src1_sel:DWORD
	v_lshrrev_b32_e32 v45, 3, v47
	s_mov_b32 s25, exec_lo
	v_cmpx_gt_u32_e32 8, v47
; %bb.538:                              ;   in Loop: Header=BB284_525 Depth=1
	v_ffbh_u32_e32 v13, v35
	v_min_u32_e32 v35, 32, v13
	v_subrev_nc_u32_e32 v13, 28, v35
	v_sub_nc_u32_e32 v45, 29, v35
	v_lshlrev_b64 v[13:14], v13, v[2:3]
	v_and_b32_e32 v35, 7, v13
; %bb.539:                              ;   in Loop: Header=BB284_525 Depth=1
	s_or_b32 exec_lo, exec_lo, s25
	v_lshlrev_b32_sdwa v2, v30, v2 dst_sel:DWORD dst_unused:UNUSED_PAD src0_sel:DWORD src1_sel:WORD_0
	v_lshl_add_u32 v13, v45, 10, 0x2000
	v_and_or_b32 v2, 0x8000, v2, v13
	v_lshlrev_b32_e32 v13, 23, v35
	v_lshl_or_b32 v45, v2, 16, v13
.LBB284_540:                            ;   in Loop: Header=BB284_525 Depth=1
	s_or_b32 exec_lo, exec_lo, s24
.LBB284_541:                            ;   in Loop: Header=BB284_525 Depth=1
	s_or_b32 exec_lo, exec_lo, s22
.LBB284_542:                            ;   in Loop: Header=BB284_525 Depth=1
	s_or_b32 exec_lo, exec_lo, s1
	v_lshrrev_b32_e32 v2, 16, v10
	v_mov_b32_e32 v47, 0
	v_mov_b32_e32 v35, 0
	v_cmp_ne_u16_sdwa s0, v2, v3 src0_sel:BYTE_0 src1_sel:DWORD
	s_and_saveexec_b32 s1, s0
	s_cbranch_execz .LBB284_550
; %bb.543:                              ;   in Loop: Header=BB284_525 Depth=1
	v_cmp_ne_u16_sdwa s0, v2, v27 src0_sel:BYTE_0 src1_sel:DWORD
	v_mov_b32_e32 v35, 0x8000
	s_and_saveexec_b32 s22, s0
	s_cbranch_execz .LBB284_549
; %bb.544:                              ;   in Loop: Header=BB284_525 Depth=1
	v_bfe_u32 v49, v10, 16, 7
	v_mov_b32_e32 v35, 0x7c01
	s_mov_b32 s24, exec_lo
	v_cmpx_ne_u32_e32 0x7f, v49
	s_cbranch_execz .LBB284_548
; %bb.545:                              ;   in Loop: Header=BB284_525 Depth=1
	v_and_b32_e32 v35, 7, v2
	v_lshrrev_b32_e32 v48, 3, v49
	s_mov_b32 s25, exec_lo
	v_cmpx_gt_u32_e32 8, v49
; %bb.546:                              ;   in Loop: Header=BB284_525 Depth=1
	v_ffbh_u32_e32 v13, v35
	v_min_u32_e32 v35, 32, v13
	v_subrev_nc_u32_e32 v13, 28, v35
	v_sub_nc_u32_e32 v48, 29, v35
	v_lshlrev_b64 v[13:14], v13, v[2:3]
	v_and_b32_e32 v35, 7, v13
; %bb.547:                              ;   in Loop: Header=BB284_525 Depth=1
	s_or_b32 exec_lo, exec_lo, s25
	v_lshlrev_b32_e32 v2, 8, v2
	v_lshl_add_u32 v13, v48, 10, 0x2000
	v_lshlrev_b32_e32 v14, 7, v35
	v_and_b32_e32 v2, 0x8000, v2
	v_and_b32_e32 v13, 0xfc00, v13
	v_or3_b32 v35, v2, v13, v14
.LBB284_548:                            ;   in Loop: Header=BB284_525 Depth=1
	s_or_b32 exec_lo, exec_lo, s24
.LBB284_549:                            ;   in Loop: Header=BB284_525 Depth=1
	s_or_b32 exec_lo, exec_lo, s22
.LBB284_550:                            ;   in Loop: Header=BB284_525 Depth=1
	s_or_b32 exec_lo, exec_lo, s1
	s_mov_b32 s1, exec_lo
	v_cmpx_lt_u32_e32 0xffffff, v10
	s_cbranch_execz .LBB284_558
; %bb.551:                              ;   in Loop: Header=BB284_525 Depth=1
	v_lshrrev_b32_e32 v2, 24, v10
	v_bfrev_b32_e32 v47, 1
	s_mov_b32 s22, exec_lo
	v_cmpx_ne_u32_e32 0x80, v2
	s_cbranch_execz .LBB284_557
; %bb.552:                              ;   in Loop: Header=BB284_525 Depth=1
	v_and_b32_e32 v49, 0x7f, v2
	v_mov_b32_e32 v47, 0x7c010000
	s_mov_b32 s24, exec_lo
	v_cmpx_ne_u32_e32 0x7f, v49
	s_cbranch_execz .LBB284_556
; %bb.553:                              ;   in Loop: Header=BB284_525 Depth=1
	v_and_b32_e32 v47, 7, v2
	v_lshrrev_b32_e32 v48, 3, v49
	s_mov_b32 s25, exec_lo
	v_cmpx_gt_u32_e32 8, v49
; %bb.554:                              ;   in Loop: Header=BB284_525 Depth=1
	v_ffbh_u32_e32 v13, v47
	v_min_u32_e32 v47, 32, v13
	v_subrev_nc_u32_e32 v13, 28, v47
	v_sub_nc_u32_e32 v48, 29, v47
	v_lshlrev_b64 v[13:14], v13, v[2:3]
	v_and_b32_e32 v47, 7, v13
; %bb.555:                              ;   in Loop: Header=BB284_525 Depth=1
	s_or_b32 exec_lo, exec_lo, s25
	v_lshlrev_b32_e32 v2, 8, v2
	v_lshl_add_u32 v13, v48, 10, 0x2000
	v_and_or_b32 v2, 0x8000, v2, v13
	v_lshlrev_b32_e32 v13, 23, v47
	v_lshl_or_b32 v47, v2, 16, v13
.LBB284_556:                            ;   in Loop: Header=BB284_525 Depth=1
	s_or_b32 exec_lo, exec_lo, s24
.LBB284_557:                            ;   in Loop: Header=BB284_525 Depth=1
	s_or_b32 exec_lo, exec_lo, s22
.LBB284_558:                            ;   in Loop: Header=BB284_525 Depth=1
	s_or_b32 exec_lo, exec_lo, s1
	v_mov_b32_e32 v2, v11
	v_cmp_ne_u16_sdwa s0, v11, v3 src0_sel:BYTE_0 src1_sel:DWORD
	v_mov_b32_e32 v48, 0
	v_mov_b32_e32 v49, 0
	s_and_saveexec_b32 s1, s0
	s_cbranch_execz .LBB284_566
; %bb.559:                              ;   in Loop: Header=BB284_525 Depth=1
	v_cmp_ne_u16_sdwa s0, v11, v27 src0_sel:BYTE_0 src1_sel:DWORD
	v_mov_b32_e32 v49, 0x8000
	s_and_saveexec_b32 s22, s0
	s_cbranch_execz .LBB284_565
; %bb.560:                              ;   in Loop: Header=BB284_525 Depth=1
	v_and_b32_e32 v51, 0x7f, v11
	v_mov_b32_e32 v49, 0x7c01
	s_mov_b32 s24, exec_lo
	v_cmpx_ne_u32_e32 0x7f, v51
	s_cbranch_execz .LBB284_564
; %bb.561:                              ;   in Loop: Header=BB284_525 Depth=1
	v_and_b32_e32 v49, 7, v11
	v_lshrrev_b32_e32 v50, 3, v51
	s_mov_b32 s25, exec_lo
	v_cmpx_gt_u32_e32 8, v51
; %bb.562:                              ;   in Loop: Header=BB284_525 Depth=1
	v_ffbh_u32_e32 v13, v49
	v_min_u32_e32 v49, 32, v13
	v_subrev_nc_u32_e32 v13, 28, v49
	v_sub_nc_u32_e32 v50, 29, v49
	v_lshlrev_b64 v[13:14], v13, v[2:3]
	v_and_b32_e32 v49, 7, v13
; %bb.563:                              ;   in Loop: Header=BB284_525 Depth=1
	s_or_b32 exec_lo, exec_lo, s25
	v_lshlrev_b32_e32 v13, 8, v11
	v_lshl_add_u32 v14, v50, 10, 0x2000
	v_lshlrev_b32_e32 v49, 7, v49
	v_and_b32_e32 v13, 0x8000, v13
	v_and_b32_e32 v14, 0xfc00, v14
	v_or3_b32 v49, v13, v14, v49
.LBB284_564:                            ;   in Loop: Header=BB284_525 Depth=1
	s_or_b32 exec_lo, exec_lo, s24
.LBB284_565:                            ;   in Loop: Header=BB284_525 Depth=1
	s_or_b32 exec_lo, exec_lo, s22
.LBB284_566:                            ;   in Loop: Header=BB284_525 Depth=1
	s_or_b32 exec_lo, exec_lo, s1
	v_lshrrev_b16 v2, 8, v2
	v_mov_b32_e32 v50, 0
	s_mov_b32 s1, exec_lo
	v_cmpx_ne_u16_e32 0, v2
	s_cbranch_execz .LBB284_574
; %bb.567:                              ;   in Loop: Header=BB284_525 Depth=1
	v_bfrev_b32_e32 v50, 1
	s_mov_b32 s22, exec_lo
	v_cmpx_ne_u16_e32 0x80, v2
	s_cbranch_execz .LBB284_573
; %bb.568:                              ;   in Loop: Header=BB284_525 Depth=1
	v_and_b32_sdwa v52, v2, v28 dst_sel:DWORD dst_unused:UNUSED_PAD src0_sel:WORD_0 src1_sel:DWORD
	v_mov_b32_e32 v50, 0x7c010000
	s_mov_b32 s24, exec_lo
	v_cmpx_ne_u32_e32 0x7f, v52
	s_cbranch_execz .LBB284_572
; %bb.569:                              ;   in Loop: Header=BB284_525 Depth=1
	v_and_b32_sdwa v50, v2, v29 dst_sel:DWORD dst_unused:UNUSED_PAD src0_sel:WORD_0 src1_sel:DWORD
	v_lshrrev_b32_e32 v51, 3, v52
	s_mov_b32 s25, exec_lo
	v_cmpx_gt_u32_e32 8, v52
; %bb.570:                              ;   in Loop: Header=BB284_525 Depth=1
	v_ffbh_u32_e32 v13, v50
	v_min_u32_e32 v50, 32, v13
	v_subrev_nc_u32_e32 v13, 28, v50
	v_sub_nc_u32_e32 v51, 29, v50
	v_lshlrev_b64 v[13:14], v13, v[2:3]
	v_and_b32_e32 v50, 7, v13
; %bb.571:                              ;   in Loop: Header=BB284_525 Depth=1
	s_or_b32 exec_lo, exec_lo, s25
	v_lshlrev_b32_sdwa v2, v30, v2 dst_sel:DWORD dst_unused:UNUSED_PAD src0_sel:DWORD src1_sel:WORD_0
	v_lshl_add_u32 v13, v51, 10, 0x2000
	v_and_or_b32 v2, 0x8000, v2, v13
	v_lshlrev_b32_e32 v13, 23, v50
	v_lshl_or_b32 v50, v2, 16, v13
.LBB284_572:                            ;   in Loop: Header=BB284_525 Depth=1
	s_or_b32 exec_lo, exec_lo, s24
.LBB284_573:                            ;   in Loop: Header=BB284_525 Depth=1
	s_or_b32 exec_lo, exec_lo, s22
.LBB284_574:                            ;   in Loop: Header=BB284_525 Depth=1
	s_or_b32 exec_lo, exec_lo, s1
	v_lshrrev_b32_e32 v2, 16, v11
	v_cmp_ne_u16_sdwa s0, v2, v3 src0_sel:BYTE_0 src1_sel:DWORD
	s_and_saveexec_b32 s1, s0
	s_cbranch_execz .LBB284_582
; %bb.575:                              ;   in Loop: Header=BB284_525 Depth=1
	v_cmp_ne_u16_sdwa s0, v2, v27 src0_sel:BYTE_0 src1_sel:DWORD
	v_mov_b32_e32 v48, 0x8000
	s_and_saveexec_b32 s22, s0
	s_cbranch_execz .LBB284_581
; %bb.576:                              ;   in Loop: Header=BB284_525 Depth=1
	v_bfe_u32 v52, v11, 16, 7
	v_mov_b32_e32 v48, 0x7c01
	s_mov_b32 s24, exec_lo
	v_cmpx_ne_u32_e32 0x7f, v52
	s_cbranch_execz .LBB284_580
; %bb.577:                              ;   in Loop: Header=BB284_525 Depth=1
	v_and_b32_e32 v48, 7, v2
	v_lshrrev_b32_e32 v51, 3, v52
	s_mov_b32 s25, exec_lo
	v_cmpx_gt_u32_e32 8, v52
; %bb.578:                              ;   in Loop: Header=BB284_525 Depth=1
	v_ffbh_u32_e32 v13, v48
	v_min_u32_e32 v48, 32, v13
	v_subrev_nc_u32_e32 v13, 28, v48
	v_sub_nc_u32_e32 v51, 29, v48
	v_lshlrev_b64 v[13:14], v13, v[2:3]
	v_and_b32_e32 v48, 7, v13
; %bb.579:                              ;   in Loop: Header=BB284_525 Depth=1
	s_or_b32 exec_lo, exec_lo, s25
	v_lshlrev_b32_e32 v2, 8, v2
	v_lshl_add_u32 v13, v51, 10, 0x2000
	v_lshlrev_b32_e32 v14, 7, v48
	v_and_b32_e32 v2, 0x8000, v2
	v_and_b32_e32 v13, 0xfc00, v13
	v_or3_b32 v48, v2, v13, v14
.LBB284_580:                            ;   in Loop: Header=BB284_525 Depth=1
	s_or_b32 exec_lo, exec_lo, s24
.LBB284_581:                            ;   in Loop: Header=BB284_525 Depth=1
	s_or_b32 exec_lo, exec_lo, s22
.LBB284_582:                            ;   in Loop: Header=BB284_525 Depth=1
	s_or_b32 exec_lo, exec_lo, s1
	v_cmp_lt_u64_e64 s0, s[6:7], v[10:11]
	v_mov_b32_e32 v10, 0
	s_and_saveexec_b32 s1, s0
	s_cbranch_execz .LBB284_590
; %bb.583:                              ;   in Loop: Header=BB284_525 Depth=1
	v_lshrrev_b32_e32 v2, 24, v11
	v_bfrev_b32_e32 v10, 1
	s_mov_b32 s22, exec_lo
	v_cmpx_ne_u32_e32 0x80, v2
	s_cbranch_execz .LBB284_589
; %bb.584:                              ;   in Loop: Header=BB284_525 Depth=1
	v_and_b32_e32 v51, 0x7f, v2
	v_mov_b32_e32 v10, 0x7c010000
	s_mov_b32 s24, exec_lo
	v_cmpx_ne_u32_e32 0x7f, v51
	s_cbranch_execz .LBB284_588
; %bb.585:                              ;   in Loop: Header=BB284_525 Depth=1
	v_and_b32_e32 v10, 7, v2
	v_lshrrev_b32_e32 v11, 3, v51
	s_mov_b32 s25, exec_lo
	v_cmpx_gt_u32_e32 8, v51
; %bb.586:                              ;   in Loop: Header=BB284_525 Depth=1
	v_ffbh_u32_e32 v10, v10
	v_min_u32_e32 v13, 32, v10
	v_subrev_nc_u32_e32 v10, 28, v13
	v_lshlrev_b64 v[10:11], v10, v[2:3]
	v_sub_nc_u32_e32 v11, 29, v13
	v_and_b32_e32 v10, 7, v10
; %bb.587:                              ;   in Loop: Header=BB284_525 Depth=1
	s_or_b32 exec_lo, exec_lo, s25
	v_lshlrev_b32_e32 v2, 8, v2
	v_lshl_add_u32 v11, v11, 10, 0x2000
	v_lshlrev_b32_e32 v10, 23, v10
	v_and_or_b32 v2, 0x8000, v2, v11
	v_lshl_or_b32 v10, v2, 16, v10
.LBB284_588:                            ;   in Loop: Header=BB284_525 Depth=1
	s_or_b32 exec_lo, exec_lo, s24
.LBB284_589:                            ;   in Loop: Header=BB284_525 Depth=1
	s_or_b32 exec_lo, exec_lo, s22
.LBB284_590:                            ;   in Loop: Header=BB284_525 Depth=1
	s_or_b32 exec_lo, exec_lo, s1
	v_or_b32_e32 v2, v47, v35
	v_fma_mixlo_f16 v11, v44, v47, 0 op_sel:[0,1,0] op_sel_hi:[0,1,0]
	v_or_b32_e32 v13, v45, v46
	v_fma_mixlo_f16 v14, v44, v45, 0 op_sel:[0,1,0] op_sel_hi:[0,1,0]
	v_or_b32_e32 v49, v50, v49
	v_fma_mixlo_f16 v2, v44, v2, 0 op_sel_hi:[0,1,0]
	v_or_b32_e32 v48, v10, v48
	v_lshlrev_b32_e32 v45, 16, v11
	v_lshlrev_b32_e32 v47, 16, v14
	v_fma_mixlo_f16 v11, v44, v50, 0 op_sel:[0,1,0] op_sel_hi:[0,1,0]
	v_and_b32_e32 v46, 0xffff, v2
	v_fma_mixlo_f16 v2, v44, v13, 0 op_sel_hi:[0,1,0]
	v_fma_mixlo_f16 v13, v44, v49, 0 op_sel_hi:[0,1,0]
	v_fma_mixlo_f16 v14, v44, v10, 0 op_sel:[0,1,0] op_sel_hi:[0,1,0]
	v_fma_mixlo_f16 v48, v44, v48, 0 op_sel_hi:[0,1,0]
	v_lshlrev_b32_e32 v10, 16, v11
	v_and_b32_e32 v52, 0xffff, v2
	v_and_b32_e32 v44, 0xffff, v13
	v_lshlrev_b32_e32 v2, 16, v14
	v_and_b32_e32 v11, 0xffff, v48
	v_add_nc_u32_e32 v35, v17, v15
	v_cmp_eq_u32_e64 s0, s17, v1
	v_or_b32_e32 v48, v45, v46
	v_or_b32_e32 v49, v47, v52
	;; [unrolled: 1-line block ×4, first 2 shown]
	s_and_saveexec_b32 s22, s0
	s_cbranch_execz .LBB284_592
; %bb.591:                              ;   in Loop: Header=BB284_525 Depth=1
	v_add_nc_u32_e32 v13, 1, v35
	v_cmp_gt_i32_e64 s1, s31, v35
	v_add_nc_u32_e32 v14, 2, v35
	v_add_nc_u32_e32 v49, 3, v35
	v_cndmask_b32_e64 v48, 0, v52, s1
	v_cmp_gt_i32_e64 s1, s31, v13
	v_cndmask_b32_e64 v13, 0, v47, s1
	v_cmp_gt_i32_e64 s1, s31, v14
	v_add_nc_u32_e32 v47, 5, v35
	v_cndmask_b32_e64 v14, 0, v46, s1
	v_add_nc_u32_e32 v46, 4, v35
	v_cmp_gt_i32_e64 s1, s31, v49
	v_add_nc_u32_e32 v49, 6, v35
	v_cndmask_b32_e64 v45, 0, v45, s1
	v_cmp_gt_i32_e64 s1, s31, v46
	v_add_nc_u32_e32 v46, 7, v35
	v_cndmask_b32_e64 v44, 0, v44, s1
	v_cmp_gt_i32_e64 s1, s31, v47
	v_cndmask_b32_e64 v10, 0, v10, s1
	v_cmp_gt_i32_e64 s1, s31, v49
	v_or_b32_e32 v49, v13, v48
	v_or_b32_e32 v48, v45, v14
	;; [unrolled: 1-line block ×3, first 2 shown]
	v_cndmask_b32_e64 v11, 0, v11, s1
	v_cmp_gt_i32_e64 s1, s31, v46
	v_cndmask_b32_e64 v2, 0, v2, s1
	v_or_b32_e32 v51, v2, v11
.LBB284_592:                            ;   in Loop: Header=BB284_525 Depth=1
	s_or_b32 exec_lo, exec_lo, s22
	v_and_b32_e32 v2, 0xffff, v39
	v_and_b32_e32 v10, 0xffff, v40
	;; [unrolled: 1-line block ×4, first 2 shown]
	v_mov_b32_e32 v43, 0
	v_lshl_or_b32 v41, v36, 16, v2
	;;#ASMSTART
	v_pk_mul_f16 v2, v41, v49;

	;;#ASMEND
	v_lshl_or_b32 v40, v37, 16, v10
	v_lshl_or_b32 v39, v38, 16, v11
	;; [unrolled: 1-line block ×3, first 2 shown]
	;;#ASMSTART
	v_pk_mul_f16 v10, v40, v48;

	;;#ASMEND
	;;#ASMSTART
	v_pk_mul_f16 v11, v39, v50;

	;;#ASMEND
	;; [unrolled: 4-line block ×3, first 2 shown]
	;;#ASMSTART
	v_pk_add_f16 v2, v2, v10;

	;;#ASMEND
	;;#ASMSTART
	v_pk_add_f16 v2, v2, v11;

	;;#ASMEND
	;; [unrolled: 4-line block ×3, first 2 shown]
	v_and_b32_e32 v10, 0xffff, v2
	v_lshrrev_b32_e32 v2, 16, v2
	;;#ASMSTART
	v_cvt_f32_f16 v36, v10;
	;;#ASMEND
	;;#ASMSTART
	v_cvt_f32_f16 v37, v2;
	;;#ASMEND
	global_load_dwordx2 v[10:11], v[8:9], off offset:256
	global_load_dword v42, v43, s[14:15]
	v_mov_b32_e32 v44, 0
	s_waitcnt vmcnt(1)
	v_cmp_ne_u16_sdwa s1, v10, v3 src0_sel:BYTE_0 src1_sel:DWORD
	s_and_saveexec_b32 s22, s1
	s_cbranch_execz .LBB284_600
; %bb.593:                              ;   in Loop: Header=BB284_525 Depth=1
	v_cmp_ne_u16_sdwa s1, v10, v27 src0_sel:BYTE_0 src1_sel:DWORD
	v_mov_b32_e32 v44, 0x8000
	s_and_saveexec_b32 s24, s1
	s_cbranch_execz .LBB284_599
; %bb.594:                              ;   in Loop: Header=BB284_525 Depth=1
	v_and_b32_e32 v45, 0x7f, v10
	v_mov_b32_e32 v44, 0x7c01
	s_mov_b32 s25, exec_lo
	v_cmpx_ne_u32_e32 0x7f, v45
	s_cbranch_execz .LBB284_598
; %bb.595:                              ;   in Loop: Header=BB284_525 Depth=1
	v_and_b32_e32 v2, 7, v10
	v_lshrrev_b32_e32 v44, 3, v45
	s_mov_b32 s26, exec_lo
	v_cmpx_gt_u32_e32 8, v45
; %bb.596:                              ;   in Loop: Header=BB284_525 Depth=1
	v_ffbh_u32_e32 v2, v2
	v_min_u32_e32 v2, 32, v2
	v_subrev_nc_u32_e32 v13, 28, v2
	v_sub_nc_u32_e32 v44, 29, v2
	v_lshlrev_b64 v[13:14], v13, v[10:11]
	v_and_b32_e32 v2, 7, v13
; %bb.597:                              ;   in Loop: Header=BB284_525 Depth=1
	s_or_b32 exec_lo, exec_lo, s26
	v_lshlrev_b32_e32 v13, 8, v10
	v_lshl_add_u32 v14, v44, 10, 0x2000
	v_lshlrev_b32_e32 v2, 7, v2
	v_and_b32_e32 v13, 0x8000, v13
	v_and_b32_e32 v14, 0xfc00, v14
	v_or3_b32 v44, v13, v14, v2
.LBB284_598:                            ;   in Loop: Header=BB284_525 Depth=1
	s_or_b32 exec_lo, exec_lo, s25
.LBB284_599:                            ;   in Loop: Header=BB284_525 Depth=1
	s_or_b32 exec_lo, exec_lo, s24
.LBB284_600:                            ;   in Loop: Header=BB284_525 Depth=1
	s_or_b32 exec_lo, exec_lo, s22
	v_lshrrev_b16 v2, 8, v10
	s_mov_b32 s22, exec_lo
	v_cmpx_ne_u16_e32 0, v2
	s_cbranch_execz .LBB284_608
; %bb.601:                              ;   in Loop: Header=BB284_525 Depth=1
	v_bfrev_b32_e32 v43, 1
	s_mov_b32 s24, exec_lo
	v_cmpx_ne_u16_e32 0x80, v2
	s_cbranch_execz .LBB284_607
; %bb.602:                              ;   in Loop: Header=BB284_525 Depth=1
	v_and_b32_sdwa v46, v2, v28 dst_sel:DWORD dst_unused:UNUSED_PAD src0_sel:WORD_0 src1_sel:DWORD
	v_mov_b32_e32 v43, 0x7c010000
	s_mov_b32 s25, exec_lo
	v_cmpx_ne_u32_e32 0x7f, v46
	s_cbranch_execz .LBB284_606
; %bb.603:                              ;   in Loop: Header=BB284_525 Depth=1
	v_and_b32_sdwa v43, v2, v29 dst_sel:DWORD dst_unused:UNUSED_PAD src0_sel:WORD_0 src1_sel:DWORD
	v_lshrrev_b32_e32 v45, 3, v46
	s_mov_b32 s26, exec_lo
	v_cmpx_gt_u32_e32 8, v46
; %bb.604:                              ;   in Loop: Header=BB284_525 Depth=1
	v_ffbh_u32_e32 v13, v43
	v_min_u32_e32 v43, 32, v13
	v_subrev_nc_u32_e32 v13, 28, v43
	v_sub_nc_u32_e32 v45, 29, v43
	v_lshlrev_b64 v[13:14], v13, v[2:3]
	v_and_b32_e32 v43, 7, v13
; %bb.605:                              ;   in Loop: Header=BB284_525 Depth=1
	s_or_b32 exec_lo, exec_lo, s26
	v_lshlrev_b32_sdwa v2, v30, v2 dst_sel:DWORD dst_unused:UNUSED_PAD src0_sel:DWORD src1_sel:WORD_0
	v_lshl_add_u32 v13, v45, 10, 0x2000
	v_and_or_b32 v2, 0x8000, v2, v13
	v_lshlrev_b32_e32 v13, 23, v43
	v_lshl_or_b32 v43, v2, 16, v13
.LBB284_606:                            ;   in Loop: Header=BB284_525 Depth=1
	s_or_b32 exec_lo, exec_lo, s25
.LBB284_607:                            ;   in Loop: Header=BB284_525 Depth=1
	s_or_b32 exec_lo, exec_lo, s24
.LBB284_608:                            ;   in Loop: Header=BB284_525 Depth=1
	s_or_b32 exec_lo, exec_lo, s22
	v_lshrrev_b32_e32 v2, 16, v10
	v_mov_b32_e32 v45, 0
	v_mov_b32_e32 v46, 0
	v_cmp_ne_u16_sdwa s1, v2, v3 src0_sel:BYTE_0 src1_sel:DWORD
	s_and_saveexec_b32 s22, s1
	s_cbranch_execz .LBB284_616
; %bb.609:                              ;   in Loop: Header=BB284_525 Depth=1
	v_cmp_ne_u16_sdwa s1, v2, v27 src0_sel:BYTE_0 src1_sel:DWORD
	v_mov_b32_e32 v46, 0x8000
	s_and_saveexec_b32 s24, s1
	s_cbranch_execz .LBB284_615
; %bb.610:                              ;   in Loop: Header=BB284_525 Depth=1
	v_bfe_u32 v48, v10, 16, 7
	v_mov_b32_e32 v46, 0x7c01
	s_mov_b32 s25, exec_lo
	v_cmpx_ne_u32_e32 0x7f, v48
	s_cbranch_execz .LBB284_614
; %bb.611:                              ;   in Loop: Header=BB284_525 Depth=1
	v_and_b32_e32 v46, 7, v2
	v_lshrrev_b32_e32 v47, 3, v48
	s_mov_b32 s26, exec_lo
	v_cmpx_gt_u32_e32 8, v48
; %bb.612:                              ;   in Loop: Header=BB284_525 Depth=1
	v_ffbh_u32_e32 v13, v46
	v_min_u32_e32 v46, 32, v13
	v_subrev_nc_u32_e32 v13, 28, v46
	v_sub_nc_u32_e32 v47, 29, v46
	v_lshlrev_b64 v[13:14], v13, v[2:3]
	v_and_b32_e32 v46, 7, v13
; %bb.613:                              ;   in Loop: Header=BB284_525 Depth=1
	s_or_b32 exec_lo, exec_lo, s26
	v_lshlrev_b32_e32 v2, 8, v2
	v_lshl_add_u32 v13, v47, 10, 0x2000
	v_lshlrev_b32_e32 v14, 7, v46
	v_and_b32_e32 v2, 0x8000, v2
	v_and_b32_e32 v13, 0xfc00, v13
	v_or3_b32 v46, v2, v13, v14
.LBB284_614:                            ;   in Loop: Header=BB284_525 Depth=1
	s_or_b32 exec_lo, exec_lo, s25
.LBB284_615:                            ;   in Loop: Header=BB284_525 Depth=1
	s_or_b32 exec_lo, exec_lo, s24
.LBB284_616:                            ;   in Loop: Header=BB284_525 Depth=1
	s_or_b32 exec_lo, exec_lo, s22
	s_mov_b32 s22, exec_lo
	v_cmpx_lt_u32_e32 0xffffff, v10
	s_cbranch_execz .LBB284_624
; %bb.617:                              ;   in Loop: Header=BB284_525 Depth=1
	v_lshrrev_b32_e32 v2, 24, v10
	v_bfrev_b32_e32 v45, 1
	s_mov_b32 s24, exec_lo
	v_cmpx_ne_u32_e32 0x80, v2
	s_cbranch_execz .LBB284_623
; %bb.618:                              ;   in Loop: Header=BB284_525 Depth=1
	v_and_b32_e32 v48, 0x7f, v2
	v_mov_b32_e32 v45, 0x7c010000
	s_mov_b32 s25, exec_lo
	v_cmpx_ne_u32_e32 0x7f, v48
	s_cbranch_execz .LBB284_622
; %bb.619:                              ;   in Loop: Header=BB284_525 Depth=1
	v_and_b32_e32 v45, 7, v2
	v_lshrrev_b32_e32 v47, 3, v48
	s_mov_b32 s26, exec_lo
	v_cmpx_gt_u32_e32 8, v48
; %bb.620:                              ;   in Loop: Header=BB284_525 Depth=1
	v_ffbh_u32_e32 v13, v45
	v_min_u32_e32 v45, 32, v13
	v_subrev_nc_u32_e32 v13, 28, v45
	v_sub_nc_u32_e32 v47, 29, v45
	v_lshlrev_b64 v[13:14], v13, v[2:3]
	v_and_b32_e32 v45, 7, v13
; %bb.621:                              ;   in Loop: Header=BB284_525 Depth=1
	s_or_b32 exec_lo, exec_lo, s26
	v_lshlrev_b32_e32 v2, 8, v2
	v_lshl_add_u32 v13, v47, 10, 0x2000
	v_and_or_b32 v2, 0x8000, v2, v13
	v_lshlrev_b32_e32 v13, 23, v45
	v_lshl_or_b32 v45, v2, 16, v13
.LBB284_622:                            ;   in Loop: Header=BB284_525 Depth=1
	s_or_b32 exec_lo, exec_lo, s25
.LBB284_623:                            ;   in Loop: Header=BB284_525 Depth=1
	s_or_b32 exec_lo, exec_lo, s24
.LBB284_624:                            ;   in Loop: Header=BB284_525 Depth=1
	s_or_b32 exec_lo, exec_lo, s22
	v_mov_b32_e32 v2, v11
	v_cmp_ne_u16_sdwa s1, v11, v3 src0_sel:BYTE_0 src1_sel:DWORD
	v_mov_b32_e32 v47, 0
	v_mov_b32_e32 v48, 0
	s_and_saveexec_b32 s22, s1
	s_cbranch_execz .LBB284_632
; %bb.625:                              ;   in Loop: Header=BB284_525 Depth=1
	v_cmp_ne_u16_sdwa s1, v11, v27 src0_sel:BYTE_0 src1_sel:DWORD
	v_mov_b32_e32 v48, 0x8000
	s_and_saveexec_b32 s24, s1
	s_cbranch_execz .LBB284_631
; %bb.626:                              ;   in Loop: Header=BB284_525 Depth=1
	v_and_b32_e32 v50, 0x7f, v11
	v_mov_b32_e32 v48, 0x7c01
	s_mov_b32 s25, exec_lo
	v_cmpx_ne_u32_e32 0x7f, v50
	s_cbranch_execz .LBB284_630
; %bb.627:                              ;   in Loop: Header=BB284_525 Depth=1
	v_and_b32_e32 v48, 7, v11
	v_lshrrev_b32_e32 v49, 3, v50
	s_mov_b32 s26, exec_lo
	v_cmpx_gt_u32_e32 8, v50
; %bb.628:                              ;   in Loop: Header=BB284_525 Depth=1
	v_ffbh_u32_e32 v13, v48
	v_min_u32_e32 v48, 32, v13
	v_subrev_nc_u32_e32 v13, 28, v48
	v_sub_nc_u32_e32 v49, 29, v48
	v_lshlrev_b64 v[13:14], v13, v[2:3]
	v_and_b32_e32 v48, 7, v13
; %bb.629:                              ;   in Loop: Header=BB284_525 Depth=1
	s_or_b32 exec_lo, exec_lo, s26
	v_lshlrev_b32_e32 v13, 8, v11
	v_lshl_add_u32 v14, v49, 10, 0x2000
	v_lshlrev_b32_e32 v48, 7, v48
	v_and_b32_e32 v13, 0x8000, v13
	v_and_b32_e32 v14, 0xfc00, v14
	v_or3_b32 v48, v13, v14, v48
.LBB284_630:                            ;   in Loop: Header=BB284_525 Depth=1
	s_or_b32 exec_lo, exec_lo, s25
.LBB284_631:                            ;   in Loop: Header=BB284_525 Depth=1
	s_or_b32 exec_lo, exec_lo, s24
.LBB284_632:                            ;   in Loop: Header=BB284_525 Depth=1
	s_or_b32 exec_lo, exec_lo, s22
	v_lshrrev_b16 v2, 8, v2
	v_mov_b32_e32 v49, 0
	s_mov_b32 s22, exec_lo
	v_cmpx_ne_u16_e32 0, v2
	s_cbranch_execz .LBB284_640
; %bb.633:                              ;   in Loop: Header=BB284_525 Depth=1
	v_bfrev_b32_e32 v49, 1
	s_mov_b32 s24, exec_lo
	v_cmpx_ne_u16_e32 0x80, v2
	s_cbranch_execz .LBB284_639
; %bb.634:                              ;   in Loop: Header=BB284_525 Depth=1
	v_and_b32_sdwa v51, v2, v28 dst_sel:DWORD dst_unused:UNUSED_PAD src0_sel:WORD_0 src1_sel:DWORD
	v_mov_b32_e32 v49, 0x7c010000
	s_mov_b32 s25, exec_lo
	v_cmpx_ne_u32_e32 0x7f, v51
	s_cbranch_execz .LBB284_638
; %bb.635:                              ;   in Loop: Header=BB284_525 Depth=1
	v_and_b32_sdwa v49, v2, v29 dst_sel:DWORD dst_unused:UNUSED_PAD src0_sel:WORD_0 src1_sel:DWORD
	v_lshrrev_b32_e32 v50, 3, v51
	s_mov_b32 s26, exec_lo
	v_cmpx_gt_u32_e32 8, v51
; %bb.636:                              ;   in Loop: Header=BB284_525 Depth=1
	v_ffbh_u32_e32 v13, v49
	v_min_u32_e32 v49, 32, v13
	v_subrev_nc_u32_e32 v13, 28, v49
	v_sub_nc_u32_e32 v50, 29, v49
	v_lshlrev_b64 v[13:14], v13, v[2:3]
	v_and_b32_e32 v49, 7, v13
; %bb.637:                              ;   in Loop: Header=BB284_525 Depth=1
	s_or_b32 exec_lo, exec_lo, s26
	v_lshlrev_b32_sdwa v2, v30, v2 dst_sel:DWORD dst_unused:UNUSED_PAD src0_sel:DWORD src1_sel:WORD_0
	v_lshl_add_u32 v13, v50, 10, 0x2000
	v_and_or_b32 v2, 0x8000, v2, v13
	v_lshlrev_b32_e32 v13, 23, v49
	v_lshl_or_b32 v49, v2, 16, v13
.LBB284_638:                            ;   in Loop: Header=BB284_525 Depth=1
	s_or_b32 exec_lo, exec_lo, s25
.LBB284_639:                            ;   in Loop: Header=BB284_525 Depth=1
	s_or_b32 exec_lo, exec_lo, s24
.LBB284_640:                            ;   in Loop: Header=BB284_525 Depth=1
	s_or_b32 exec_lo, exec_lo, s22
	v_lshrrev_b32_e32 v2, 16, v11
	v_cmp_ne_u16_sdwa s1, v2, v3 src0_sel:BYTE_0 src1_sel:DWORD
	s_and_saveexec_b32 s22, s1
	s_cbranch_execz .LBB284_648
; %bb.641:                              ;   in Loop: Header=BB284_525 Depth=1
	v_cmp_ne_u16_sdwa s1, v2, v27 src0_sel:BYTE_0 src1_sel:DWORD
	v_mov_b32_e32 v47, 0x8000
	s_and_saveexec_b32 s24, s1
	s_cbranch_execz .LBB284_647
; %bb.642:                              ;   in Loop: Header=BB284_525 Depth=1
	v_bfe_u32 v51, v11, 16, 7
	v_mov_b32_e32 v47, 0x7c01
	s_mov_b32 s25, exec_lo
	v_cmpx_ne_u32_e32 0x7f, v51
	s_cbranch_execz .LBB284_646
; %bb.643:                              ;   in Loop: Header=BB284_525 Depth=1
	v_and_b32_e32 v47, 7, v2
	v_lshrrev_b32_e32 v50, 3, v51
	s_mov_b32 s26, exec_lo
	v_cmpx_gt_u32_e32 8, v51
; %bb.644:                              ;   in Loop: Header=BB284_525 Depth=1
	v_ffbh_u32_e32 v13, v47
	v_min_u32_e32 v47, 32, v13
	v_subrev_nc_u32_e32 v13, 28, v47
	v_sub_nc_u32_e32 v50, 29, v47
	v_lshlrev_b64 v[13:14], v13, v[2:3]
	v_and_b32_e32 v47, 7, v13
; %bb.645:                              ;   in Loop: Header=BB284_525 Depth=1
	s_or_b32 exec_lo, exec_lo, s26
	v_lshlrev_b32_e32 v2, 8, v2
	v_lshl_add_u32 v13, v50, 10, 0x2000
	v_lshlrev_b32_e32 v14, 7, v47
	v_and_b32_e32 v2, 0x8000, v2
	v_and_b32_e32 v13, 0xfc00, v13
	v_or3_b32 v47, v2, v13, v14
.LBB284_646:                            ;   in Loop: Header=BB284_525 Depth=1
	s_or_b32 exec_lo, exec_lo, s25
.LBB284_647:                            ;   in Loop: Header=BB284_525 Depth=1
	s_or_b32 exec_lo, exec_lo, s24
.LBB284_648:                            ;   in Loop: Header=BB284_525 Depth=1
	s_or_b32 exec_lo, exec_lo, s22
	v_cmp_lt_u64_e64 s1, s[6:7], v[10:11]
	v_mov_b32_e32 v10, 0
	s_and_saveexec_b32 s22, s1
	s_cbranch_execz .LBB284_656
; %bb.649:                              ;   in Loop: Header=BB284_525 Depth=1
	v_lshrrev_b32_e32 v2, 24, v11
	v_bfrev_b32_e32 v10, 1
	s_mov_b32 s24, exec_lo
	v_cmpx_ne_u32_e32 0x80, v2
	s_cbranch_execz .LBB284_655
; %bb.650:                              ;   in Loop: Header=BB284_525 Depth=1
	v_and_b32_e32 v50, 0x7f, v2
	v_mov_b32_e32 v10, 0x7c010000
	s_mov_b32 s25, exec_lo
	v_cmpx_ne_u32_e32 0x7f, v50
	s_cbranch_execz .LBB284_654
; %bb.651:                              ;   in Loop: Header=BB284_525 Depth=1
	v_and_b32_e32 v10, 7, v2
	v_lshrrev_b32_e32 v11, 3, v50
	s_mov_b32 s26, exec_lo
	v_cmpx_gt_u32_e32 8, v50
; %bb.652:                              ;   in Loop: Header=BB284_525 Depth=1
	v_ffbh_u32_e32 v10, v10
	v_min_u32_e32 v13, 32, v10
	v_subrev_nc_u32_e32 v10, 28, v13
	v_lshlrev_b64 v[10:11], v10, v[2:3]
	v_sub_nc_u32_e32 v11, 29, v13
	v_and_b32_e32 v10, 7, v10
; %bb.653:                              ;   in Loop: Header=BB284_525 Depth=1
	s_or_b32 exec_lo, exec_lo, s26
	v_lshlrev_b32_e32 v2, 8, v2
	v_lshl_add_u32 v11, v11, 10, 0x2000
	v_lshlrev_b32_e32 v10, 23, v10
	v_and_or_b32 v2, 0x8000, v2, v11
	v_lshl_or_b32 v10, v2, 16, v10
.LBB284_654:                            ;   in Loop: Header=BB284_525 Depth=1
	s_or_b32 exec_lo, exec_lo, s25
.LBB284_655:                            ;   in Loop: Header=BB284_525 Depth=1
	s_or_b32 exec_lo, exec_lo, s24
.LBB284_656:                            ;   in Loop: Header=BB284_525 Depth=1
	s_or_b32 exec_lo, exec_lo, s22
	v_or_b32_e32 v2, v45, v46
	s_waitcnt vmcnt(0)
	v_fma_mixlo_f16 v11, v42, v45, 0 op_sel:[0,1,0] op_sel_hi:[0,1,0]
	v_or_b32_e32 v13, v43, v44
	v_fma_mixlo_f16 v14, v42, v43, 0 op_sel:[0,1,0] op_sel_hi:[0,1,0]
	v_or_b32_e32 v46, v49, v48
	v_fma_mixlo_f16 v2, v42, v2, 0 op_sel_hi:[0,1,0]
	v_or_b32_e32 v47, v10, v47
	v_lshlrev_b32_e32 v43, 16, v11
	v_lshlrev_b32_e32 v45, 16, v14
	v_fma_mixlo_f16 v11, v42, v13, 0 op_sel_hi:[0,1,0]
	v_and_b32_e32 v44, 0xffff, v2
	v_fma_mixlo_f16 v2, v42, v49, 0 op_sel:[0,1,0] op_sel_hi:[0,1,0]
	v_fma_mixlo_f16 v13, v42, v46, 0 op_sel_hi:[0,1,0]
	v_fma_mixlo_f16 v14, v42, v10, 0 op_sel:[0,1,0] op_sel_hi:[0,1,0]
	v_fma_mixlo_f16 v46, v42, v47, 0 op_sel_hi:[0,1,0]
	v_and_b32_e32 v49, 0xffff, v11
	v_lshlrev_b32_e32 v10, 16, v2
	v_and_b32_e32 v42, 0xffff, v13
	v_lshlrev_b32_e32 v2, 16, v14
	v_and_b32_e32 v11, 0xffff, v46
	v_or_b32_e32 v46, v43, v44
	v_or_b32_e32 v50, v45, v49
	;; [unrolled: 1-line block ×4, first 2 shown]
	s_and_saveexec_b32 s22, s0
	s_cbranch_execz .LBB284_658
; %bb.657:                              ;   in Loop: Header=BB284_525 Depth=1
	v_add_nc_u32_e32 v13, 1, v35
	v_cmp_gt_i32_e64 s1, s31, v35
	v_add_nc_u32_e32 v14, 2, v35
	v_add_nc_u32_e32 v47, 3, v35
	v_cndmask_b32_e64 v46, 0, v49, s1
	v_cmp_gt_i32_e64 s1, s31, v13
	v_cndmask_b32_e64 v13, 0, v45, s1
	v_cmp_gt_i32_e64 s1, s31, v14
	v_add_nc_u32_e32 v45, 5, v35
	v_or_b32_e32 v50, v13, v46
	v_cndmask_b32_e64 v14, 0, v44, s1
	v_add_nc_u32_e32 v44, 4, v35
	v_cmp_gt_i32_e64 s1, s31, v47
	v_add_nc_u32_e32 v47, 6, v35
	v_cndmask_b32_e64 v43, 0, v43, s1
	v_cmp_gt_i32_e64 s1, s31, v44
	v_add_nc_u32_e32 v44, 7, v35
	v_or_b32_e32 v46, v43, v14
	v_cndmask_b32_e64 v42, 0, v42, s1
	v_cmp_gt_i32_e64 s1, s31, v45
	v_cndmask_b32_e64 v10, 0, v10, s1
	v_cmp_gt_i32_e64 s1, s31, v47
	v_or_b32_e32 v48, v10, v42
	v_cndmask_b32_e64 v11, 0, v11, s1
	v_cmp_gt_i32_e64 s1, s31, v44
	v_cndmask_b32_e64 v2, 0, v2, s1
	v_or_b32_e32 v47, v2, v11
.LBB284_658:                            ;   in Loop: Header=BB284_525 Depth=1
	s_or_b32 exec_lo, exec_lo, s22
	;;#ASMSTART
	v_pk_mul_f16 v2, v41, v50;

	;;#ASMEND
	;;#ASMSTART
	v_pk_mul_f16 v10, v40, v46;

	;;#ASMEND
	;; [unrolled: 4-line block ×4, first 2 shown]
	;;#ASMSTART
	v_pk_add_f16 v2, v2, v10;

	;;#ASMEND
	;;#ASMSTART
	v_pk_add_f16 v2, v2, v11;

	;;#ASMEND
	;; [unrolled: 4-line block ×3, first 2 shown]
	v_and_b32_e32 v10, 0xffff, v2
	v_lshrrev_b32_e32 v2, 16, v2
	;;#ASMSTART
	v_cvt_f32_f16 v42, v10;
	;;#ASMEND
	;;#ASMSTART
	v_cvt_f32_f16 v43, v2;
	;;#ASMEND
	global_load_dwordx2 v[10:11], v[8:9], off offset:512
	v_mov_b32_e32 v45, 0
	v_mov_b32_e32 v46, 0
	global_load_dword v44, v45, s[14:15]
	s_waitcnt vmcnt(1)
	v_cmp_ne_u16_sdwa s1, v10, v3 src0_sel:BYTE_0 src1_sel:DWORD
	s_and_saveexec_b32 s22, s1
	s_cbranch_execz .LBB284_666
; %bb.659:                              ;   in Loop: Header=BB284_525 Depth=1
	v_cmp_ne_u16_sdwa s1, v10, v27 src0_sel:BYTE_0 src1_sel:DWORD
	v_mov_b32_e32 v46, 0x8000
	s_and_saveexec_b32 s24, s1
	s_cbranch_execz .LBB284_665
; %bb.660:                              ;   in Loop: Header=BB284_525 Depth=1
	v_and_b32_e32 v47, 0x7f, v10
	v_mov_b32_e32 v46, 0x7c01
	s_mov_b32 s25, exec_lo
	v_cmpx_ne_u32_e32 0x7f, v47
	s_cbranch_execz .LBB284_664
; %bb.661:                              ;   in Loop: Header=BB284_525 Depth=1
	v_and_b32_e32 v2, 7, v10
	v_lshrrev_b32_e32 v46, 3, v47
	s_mov_b32 s26, exec_lo
	v_cmpx_gt_u32_e32 8, v47
; %bb.662:                              ;   in Loop: Header=BB284_525 Depth=1
	v_ffbh_u32_e32 v2, v2
	v_min_u32_e32 v2, 32, v2
	v_subrev_nc_u32_e32 v13, 28, v2
	v_sub_nc_u32_e32 v46, 29, v2
	v_lshlrev_b64 v[13:14], v13, v[10:11]
	v_and_b32_e32 v2, 7, v13
; %bb.663:                              ;   in Loop: Header=BB284_525 Depth=1
	s_or_b32 exec_lo, exec_lo, s26
	v_lshlrev_b32_e32 v13, 8, v10
	v_lshl_add_u32 v14, v46, 10, 0x2000
	v_lshlrev_b32_e32 v2, 7, v2
	v_and_b32_e32 v13, 0x8000, v13
	v_and_b32_e32 v14, 0xfc00, v14
	v_or3_b32 v46, v13, v14, v2
.LBB284_664:                            ;   in Loop: Header=BB284_525 Depth=1
	s_or_b32 exec_lo, exec_lo, s25
.LBB284_665:                            ;   in Loop: Header=BB284_525 Depth=1
	s_or_b32 exec_lo, exec_lo, s24
.LBB284_666:                            ;   in Loop: Header=BB284_525 Depth=1
	s_or_b32 exec_lo, exec_lo, s22
	v_lshrrev_b16 v2, 8, v10
	s_mov_b32 s22, exec_lo
	v_cmpx_ne_u16_e32 0, v2
	s_cbranch_execz .LBB284_674
; %bb.667:                              ;   in Loop: Header=BB284_525 Depth=1
	v_bfrev_b32_e32 v45, 1
	s_mov_b32 s24, exec_lo
	v_cmpx_ne_u16_e32 0x80, v2
	s_cbranch_execz .LBB284_673
; %bb.668:                              ;   in Loop: Header=BB284_525 Depth=1
	v_and_b32_sdwa v48, v2, v28 dst_sel:DWORD dst_unused:UNUSED_PAD src0_sel:WORD_0 src1_sel:DWORD
	v_mov_b32_e32 v45, 0x7c010000
	s_mov_b32 s25, exec_lo
	v_cmpx_ne_u32_e32 0x7f, v48
	s_cbranch_execz .LBB284_672
; %bb.669:                              ;   in Loop: Header=BB284_525 Depth=1
	v_and_b32_sdwa v45, v2, v29 dst_sel:DWORD dst_unused:UNUSED_PAD src0_sel:WORD_0 src1_sel:DWORD
	v_lshrrev_b32_e32 v47, 3, v48
	s_mov_b32 s26, exec_lo
	v_cmpx_gt_u32_e32 8, v48
; %bb.670:                              ;   in Loop: Header=BB284_525 Depth=1
	v_ffbh_u32_e32 v13, v45
	v_min_u32_e32 v45, 32, v13
	v_subrev_nc_u32_e32 v13, 28, v45
	v_sub_nc_u32_e32 v47, 29, v45
	v_lshlrev_b64 v[13:14], v13, v[2:3]
	v_and_b32_e32 v45, 7, v13
; %bb.671:                              ;   in Loop: Header=BB284_525 Depth=1
	s_or_b32 exec_lo, exec_lo, s26
	v_lshlrev_b32_sdwa v2, v30, v2 dst_sel:DWORD dst_unused:UNUSED_PAD src0_sel:DWORD src1_sel:WORD_0
	v_lshl_add_u32 v13, v47, 10, 0x2000
	v_and_or_b32 v2, 0x8000, v2, v13
	v_lshlrev_b32_e32 v13, 23, v45
	v_lshl_or_b32 v45, v2, 16, v13
.LBB284_672:                            ;   in Loop: Header=BB284_525 Depth=1
	s_or_b32 exec_lo, exec_lo, s25
.LBB284_673:                            ;   in Loop: Header=BB284_525 Depth=1
	s_or_b32 exec_lo, exec_lo, s24
.LBB284_674:                            ;   in Loop: Header=BB284_525 Depth=1
	s_or_b32 exec_lo, exec_lo, s22
	v_lshrrev_b32_e32 v2, 16, v10
	v_mov_b32_e32 v47, 0
	v_mov_b32_e32 v48, 0
	v_cmp_ne_u16_sdwa s1, v2, v3 src0_sel:BYTE_0 src1_sel:DWORD
	s_and_saveexec_b32 s22, s1
	s_cbranch_execz .LBB284_682
; %bb.675:                              ;   in Loop: Header=BB284_525 Depth=1
	v_cmp_ne_u16_sdwa s1, v2, v27 src0_sel:BYTE_0 src1_sel:DWORD
	v_mov_b32_e32 v48, 0x8000
	s_and_saveexec_b32 s24, s1
	s_cbranch_execz .LBB284_681
; %bb.676:                              ;   in Loop: Header=BB284_525 Depth=1
	v_bfe_u32 v50, v10, 16, 7
	v_mov_b32_e32 v48, 0x7c01
	s_mov_b32 s25, exec_lo
	v_cmpx_ne_u32_e32 0x7f, v50
	s_cbranch_execz .LBB284_680
; %bb.677:                              ;   in Loop: Header=BB284_525 Depth=1
	v_and_b32_e32 v48, 7, v2
	v_lshrrev_b32_e32 v49, 3, v50
	s_mov_b32 s26, exec_lo
	v_cmpx_gt_u32_e32 8, v50
; %bb.678:                              ;   in Loop: Header=BB284_525 Depth=1
	v_ffbh_u32_e32 v13, v48
	v_min_u32_e32 v48, 32, v13
	v_subrev_nc_u32_e32 v13, 28, v48
	v_sub_nc_u32_e32 v49, 29, v48
	v_lshlrev_b64 v[13:14], v13, v[2:3]
	v_and_b32_e32 v48, 7, v13
; %bb.679:                              ;   in Loop: Header=BB284_525 Depth=1
	s_or_b32 exec_lo, exec_lo, s26
	v_lshlrev_b32_e32 v2, 8, v2
	v_lshl_add_u32 v13, v49, 10, 0x2000
	v_lshlrev_b32_e32 v14, 7, v48
	v_and_b32_e32 v2, 0x8000, v2
	v_and_b32_e32 v13, 0xfc00, v13
	v_or3_b32 v48, v2, v13, v14
.LBB284_680:                            ;   in Loop: Header=BB284_525 Depth=1
	s_or_b32 exec_lo, exec_lo, s25
.LBB284_681:                            ;   in Loop: Header=BB284_525 Depth=1
	s_or_b32 exec_lo, exec_lo, s24
.LBB284_682:                            ;   in Loop: Header=BB284_525 Depth=1
	s_or_b32 exec_lo, exec_lo, s22
	s_mov_b32 s22, exec_lo
	v_cmpx_lt_u32_e32 0xffffff, v10
	s_cbranch_execz .LBB284_690
; %bb.683:                              ;   in Loop: Header=BB284_525 Depth=1
	v_lshrrev_b32_e32 v2, 24, v10
	v_bfrev_b32_e32 v47, 1
	s_mov_b32 s24, exec_lo
	v_cmpx_ne_u32_e32 0x80, v2
	s_cbranch_execz .LBB284_689
; %bb.684:                              ;   in Loop: Header=BB284_525 Depth=1
	v_and_b32_e32 v50, 0x7f, v2
	v_mov_b32_e32 v47, 0x7c010000
	s_mov_b32 s25, exec_lo
	v_cmpx_ne_u32_e32 0x7f, v50
	s_cbranch_execz .LBB284_688
; %bb.685:                              ;   in Loop: Header=BB284_525 Depth=1
	v_and_b32_e32 v47, 7, v2
	v_lshrrev_b32_e32 v49, 3, v50
	s_mov_b32 s26, exec_lo
	v_cmpx_gt_u32_e32 8, v50
; %bb.686:                              ;   in Loop: Header=BB284_525 Depth=1
	v_ffbh_u32_e32 v13, v47
	v_min_u32_e32 v47, 32, v13
	v_subrev_nc_u32_e32 v13, 28, v47
	v_sub_nc_u32_e32 v49, 29, v47
	v_lshlrev_b64 v[13:14], v13, v[2:3]
	v_and_b32_e32 v47, 7, v13
; %bb.687:                              ;   in Loop: Header=BB284_525 Depth=1
	s_or_b32 exec_lo, exec_lo, s26
	v_lshlrev_b32_e32 v2, 8, v2
	v_lshl_add_u32 v13, v49, 10, 0x2000
	v_and_or_b32 v2, 0x8000, v2, v13
	v_lshlrev_b32_e32 v13, 23, v47
	v_lshl_or_b32 v47, v2, 16, v13
.LBB284_688:                            ;   in Loop: Header=BB284_525 Depth=1
	s_or_b32 exec_lo, exec_lo, s25
.LBB284_689:                            ;   in Loop: Header=BB284_525 Depth=1
	s_or_b32 exec_lo, exec_lo, s24
.LBB284_690:                            ;   in Loop: Header=BB284_525 Depth=1
	s_or_b32 exec_lo, exec_lo, s22
	v_mov_b32_e32 v2, v11
	v_cmp_ne_u16_sdwa s1, v11, v3 src0_sel:BYTE_0 src1_sel:DWORD
	v_mov_b32_e32 v49, 0
	v_mov_b32_e32 v50, 0
	s_and_saveexec_b32 s22, s1
	s_cbranch_execz .LBB284_698
; %bb.691:                              ;   in Loop: Header=BB284_525 Depth=1
	v_cmp_ne_u16_sdwa s1, v11, v27 src0_sel:BYTE_0 src1_sel:DWORD
	v_mov_b32_e32 v50, 0x8000
	s_and_saveexec_b32 s24, s1
	s_cbranch_execz .LBB284_697
; %bb.692:                              ;   in Loop: Header=BB284_525 Depth=1
	v_and_b32_e32 v52, 0x7f, v11
	v_mov_b32_e32 v50, 0x7c01
	s_mov_b32 s25, exec_lo
	v_cmpx_ne_u32_e32 0x7f, v52
	s_cbranch_execz .LBB284_696
; %bb.693:                              ;   in Loop: Header=BB284_525 Depth=1
	v_and_b32_e32 v50, 7, v11
	v_lshrrev_b32_e32 v51, 3, v52
	s_mov_b32 s26, exec_lo
	v_cmpx_gt_u32_e32 8, v52
; %bb.694:                              ;   in Loop: Header=BB284_525 Depth=1
	v_ffbh_u32_e32 v13, v50
	v_min_u32_e32 v50, 32, v13
	v_subrev_nc_u32_e32 v13, 28, v50
	v_sub_nc_u32_e32 v51, 29, v50
	v_lshlrev_b64 v[13:14], v13, v[2:3]
	v_and_b32_e32 v50, 7, v13
; %bb.695:                              ;   in Loop: Header=BB284_525 Depth=1
	s_or_b32 exec_lo, exec_lo, s26
	v_lshlrev_b32_e32 v13, 8, v11
	v_lshl_add_u32 v14, v51, 10, 0x2000
	v_lshlrev_b32_e32 v50, 7, v50
	v_and_b32_e32 v13, 0x8000, v13
	v_and_b32_e32 v14, 0xfc00, v14
	v_or3_b32 v50, v13, v14, v50
.LBB284_696:                            ;   in Loop: Header=BB284_525 Depth=1
	s_or_b32 exec_lo, exec_lo, s25
.LBB284_697:                            ;   in Loop: Header=BB284_525 Depth=1
	s_or_b32 exec_lo, exec_lo, s24
.LBB284_698:                            ;   in Loop: Header=BB284_525 Depth=1
	s_or_b32 exec_lo, exec_lo, s22
	v_lshrrev_b16 v2, 8, v2
	v_mov_b32_e32 v51, 0
	s_mov_b32 s22, exec_lo
	v_cmpx_ne_u16_e32 0, v2
	s_cbranch_execz .LBB284_706
; %bb.699:                              ;   in Loop: Header=BB284_525 Depth=1
	v_bfrev_b32_e32 v51, 1
	s_mov_b32 s24, exec_lo
	v_cmpx_ne_u16_e32 0x80, v2
	s_cbranch_execz .LBB284_705
; %bb.700:                              ;   in Loop: Header=BB284_525 Depth=1
	v_and_b32_sdwa v53, v2, v28 dst_sel:DWORD dst_unused:UNUSED_PAD src0_sel:WORD_0 src1_sel:DWORD
	v_mov_b32_e32 v51, 0x7c010000
	s_mov_b32 s25, exec_lo
	v_cmpx_ne_u32_e32 0x7f, v53
	s_cbranch_execz .LBB284_704
; %bb.701:                              ;   in Loop: Header=BB284_525 Depth=1
	v_and_b32_sdwa v51, v2, v29 dst_sel:DWORD dst_unused:UNUSED_PAD src0_sel:WORD_0 src1_sel:DWORD
	v_lshrrev_b32_e32 v52, 3, v53
	s_mov_b32 s26, exec_lo
	v_cmpx_gt_u32_e32 8, v53
; %bb.702:                              ;   in Loop: Header=BB284_525 Depth=1
	v_ffbh_u32_e32 v13, v51
	v_min_u32_e32 v51, 32, v13
	v_subrev_nc_u32_e32 v13, 28, v51
	v_sub_nc_u32_e32 v52, 29, v51
	v_lshlrev_b64 v[13:14], v13, v[2:3]
	v_and_b32_e32 v51, 7, v13
; %bb.703:                              ;   in Loop: Header=BB284_525 Depth=1
	s_or_b32 exec_lo, exec_lo, s26
	v_lshlrev_b32_sdwa v2, v30, v2 dst_sel:DWORD dst_unused:UNUSED_PAD src0_sel:DWORD src1_sel:WORD_0
	v_lshl_add_u32 v13, v52, 10, 0x2000
	v_and_or_b32 v2, 0x8000, v2, v13
	v_lshlrev_b32_e32 v13, 23, v51
	v_lshl_or_b32 v51, v2, 16, v13
.LBB284_704:                            ;   in Loop: Header=BB284_525 Depth=1
	s_or_b32 exec_lo, exec_lo, s25
.LBB284_705:                            ;   in Loop: Header=BB284_525 Depth=1
	s_or_b32 exec_lo, exec_lo, s24
.LBB284_706:                            ;   in Loop: Header=BB284_525 Depth=1
	s_or_b32 exec_lo, exec_lo, s22
	v_lshrrev_b32_e32 v2, 16, v11
	v_cmp_ne_u16_sdwa s1, v2, v3 src0_sel:BYTE_0 src1_sel:DWORD
	s_and_saveexec_b32 s22, s1
	s_cbranch_execz .LBB284_714
; %bb.707:                              ;   in Loop: Header=BB284_525 Depth=1
	v_cmp_ne_u16_sdwa s1, v2, v27 src0_sel:BYTE_0 src1_sel:DWORD
	v_mov_b32_e32 v49, 0x8000
	s_and_saveexec_b32 s24, s1
	s_cbranch_execz .LBB284_713
; %bb.708:                              ;   in Loop: Header=BB284_525 Depth=1
	v_bfe_u32 v53, v11, 16, 7
	v_mov_b32_e32 v49, 0x7c01
	s_mov_b32 s25, exec_lo
	v_cmpx_ne_u32_e32 0x7f, v53
	s_cbranch_execz .LBB284_712
; %bb.709:                              ;   in Loop: Header=BB284_525 Depth=1
	v_and_b32_e32 v49, 7, v2
	v_lshrrev_b32_e32 v52, 3, v53
	s_mov_b32 s26, exec_lo
	v_cmpx_gt_u32_e32 8, v53
; %bb.710:                              ;   in Loop: Header=BB284_525 Depth=1
	v_ffbh_u32_e32 v13, v49
	v_min_u32_e32 v49, 32, v13
	v_subrev_nc_u32_e32 v13, 28, v49
	v_sub_nc_u32_e32 v52, 29, v49
	v_lshlrev_b64 v[13:14], v13, v[2:3]
	v_and_b32_e32 v49, 7, v13
; %bb.711:                              ;   in Loop: Header=BB284_525 Depth=1
	s_or_b32 exec_lo, exec_lo, s26
	v_lshlrev_b32_e32 v2, 8, v2
	v_lshl_add_u32 v13, v52, 10, 0x2000
	v_lshlrev_b32_e32 v14, 7, v49
	v_and_b32_e32 v2, 0x8000, v2
	v_and_b32_e32 v13, 0xfc00, v13
	v_or3_b32 v49, v2, v13, v14
.LBB284_712:                            ;   in Loop: Header=BB284_525 Depth=1
	s_or_b32 exec_lo, exec_lo, s25
.LBB284_713:                            ;   in Loop: Header=BB284_525 Depth=1
	s_or_b32 exec_lo, exec_lo, s24
.LBB284_714:                            ;   in Loop: Header=BB284_525 Depth=1
	s_or_b32 exec_lo, exec_lo, s22
	v_cmp_lt_u64_e64 s1, s[6:7], v[10:11]
	v_mov_b32_e32 v10, 0
	s_and_saveexec_b32 s22, s1
	s_cbranch_execz .LBB284_722
; %bb.715:                              ;   in Loop: Header=BB284_525 Depth=1
	v_lshrrev_b32_e32 v2, 24, v11
	v_bfrev_b32_e32 v10, 1
	s_mov_b32 s24, exec_lo
	v_cmpx_ne_u32_e32 0x80, v2
	s_cbranch_execz .LBB284_721
; %bb.716:                              ;   in Loop: Header=BB284_525 Depth=1
	v_and_b32_e32 v52, 0x7f, v2
	v_mov_b32_e32 v10, 0x7c010000
	s_mov_b32 s25, exec_lo
	v_cmpx_ne_u32_e32 0x7f, v52
	s_cbranch_execz .LBB284_720
; %bb.717:                              ;   in Loop: Header=BB284_525 Depth=1
	v_and_b32_e32 v10, 7, v2
	v_lshrrev_b32_e32 v11, 3, v52
	s_mov_b32 s26, exec_lo
	v_cmpx_gt_u32_e32 8, v52
; %bb.718:                              ;   in Loop: Header=BB284_525 Depth=1
	v_ffbh_u32_e32 v10, v10
	v_min_u32_e32 v13, 32, v10
	v_subrev_nc_u32_e32 v10, 28, v13
	v_lshlrev_b64 v[10:11], v10, v[2:3]
	v_sub_nc_u32_e32 v11, 29, v13
	v_and_b32_e32 v10, 7, v10
; %bb.719:                              ;   in Loop: Header=BB284_525 Depth=1
	s_or_b32 exec_lo, exec_lo, s26
	v_lshlrev_b32_e32 v2, 8, v2
	v_lshl_add_u32 v11, v11, 10, 0x2000
	v_lshlrev_b32_e32 v10, 23, v10
	v_and_or_b32 v2, 0x8000, v2, v11
	v_lshl_or_b32 v10, v2, 16, v10
.LBB284_720:                            ;   in Loop: Header=BB284_525 Depth=1
	s_or_b32 exec_lo, exec_lo, s25
.LBB284_721:                            ;   in Loop: Header=BB284_525 Depth=1
	s_or_b32 exec_lo, exec_lo, s24
.LBB284_722:                            ;   in Loop: Header=BB284_525 Depth=1
	s_or_b32 exec_lo, exec_lo, s22
	v_or_b32_e32 v2, v47, v48
	s_waitcnt vmcnt(0)
	v_fma_mixlo_f16 v11, v44, v47, 0 op_sel:[0,1,0] op_sel_hi:[0,1,0]
	v_or_b32_e32 v13, v45, v46
	v_fma_mixlo_f16 v14, v44, v45, 0 op_sel:[0,1,0] op_sel_hi:[0,1,0]
	v_or_b32_e32 v48, v51, v50
	v_fma_mixlo_f16 v2, v44, v2, 0 op_sel_hi:[0,1,0]
	v_or_b32_e32 v49, v10, v49
	v_lshlrev_b32_e32 v45, 16, v11
	v_lshlrev_b32_e32 v47, 16, v14
	v_fma_mixlo_f16 v11, v44, v13, 0 op_sel_hi:[0,1,0]
	v_and_b32_e32 v46, 0xffff, v2
	v_fma_mixlo_f16 v2, v44, v51, 0 op_sel:[0,1,0] op_sel_hi:[0,1,0]
	v_fma_mixlo_f16 v13, v44, v48, 0 op_sel_hi:[0,1,0]
	v_fma_mixlo_f16 v14, v44, v10, 0 op_sel:[0,1,0] op_sel_hi:[0,1,0]
	v_fma_mixlo_f16 v48, v44, v49, 0 op_sel_hi:[0,1,0]
	v_and_b32_e32 v51, 0xffff, v11
	v_lshlrev_b32_e32 v10, 16, v2
	v_and_b32_e32 v44, 0xffff, v13
	v_lshlrev_b32_e32 v2, 16, v14
	v_and_b32_e32 v11, 0xffff, v48
	v_or_b32_e32 v48, v45, v46
	v_or_b32_e32 v52, v47, v51
	;; [unrolled: 1-line block ×4, first 2 shown]
	s_and_saveexec_b32 s22, s0
	s_cbranch_execz .LBB284_724
; %bb.723:                              ;   in Loop: Header=BB284_525 Depth=1
	v_add_nc_u32_e32 v13, 1, v35
	v_cmp_gt_i32_e64 s1, s31, v35
	v_add_nc_u32_e32 v14, 2, v35
	v_add_nc_u32_e32 v49, 3, v35
	v_cndmask_b32_e64 v48, 0, v51, s1
	v_cmp_gt_i32_e64 s1, s31, v13
	v_cndmask_b32_e64 v13, 0, v47, s1
	v_cmp_gt_i32_e64 s1, s31, v14
	v_add_nc_u32_e32 v47, 5, v35
	v_or_b32_e32 v52, v13, v48
	v_cndmask_b32_e64 v14, 0, v46, s1
	v_add_nc_u32_e32 v46, 4, v35
	v_cmp_gt_i32_e64 s1, s31, v49
	v_add_nc_u32_e32 v49, 6, v35
	v_cndmask_b32_e64 v45, 0, v45, s1
	v_cmp_gt_i32_e64 s1, s31, v46
	v_add_nc_u32_e32 v46, 7, v35
	v_or_b32_e32 v48, v45, v14
	v_cndmask_b32_e64 v44, 0, v44, s1
	v_cmp_gt_i32_e64 s1, s31, v47
	v_cndmask_b32_e64 v10, 0, v10, s1
	v_cmp_gt_i32_e64 s1, s31, v49
	v_or_b32_e32 v50, v10, v44
	v_cndmask_b32_e64 v11, 0, v11, s1
	v_cmp_gt_i32_e64 s1, s31, v46
	v_cndmask_b32_e64 v2, 0, v2, s1
	v_or_b32_e32 v49, v2, v11
.LBB284_724:                            ;   in Loop: Header=BB284_525 Depth=1
	s_or_b32 exec_lo, exec_lo, s22
	;;#ASMSTART
	v_pk_mul_f16 v2, v41, v52;

	;;#ASMEND
	;;#ASMSTART
	v_pk_mul_f16 v10, v40, v48;

	;;#ASMEND
	;; [unrolled: 4-line block ×4, first 2 shown]
	;;#ASMSTART
	v_pk_add_f16 v2, v2, v10;

	;;#ASMEND
	;;#ASMSTART
	v_pk_add_f16 v2, v2, v11;

	;;#ASMEND
	;; [unrolled: 4-line block ×3, first 2 shown]
	v_and_b32_e32 v10, 0xffff, v2
	v_lshrrev_b32_e32 v2, 16, v2
	;;#ASMSTART
	v_cvt_f32_f16 v44, v10;
	;;#ASMEND
	;;#ASMSTART
	v_cvt_f32_f16 v45, v2;
	;;#ASMEND
	global_load_dwordx2 v[10:11], v[8:9], off offset:768
	v_mov_b32_e32 v47, 0
	v_mov_b32_e32 v48, 0
	global_load_dword v46, v47, s[14:15]
	s_waitcnt vmcnt(1)
	v_cmp_ne_u16_sdwa s1, v10, v3 src0_sel:BYTE_0 src1_sel:DWORD
	s_and_saveexec_b32 s22, s1
	s_cbranch_execz .LBB284_732
; %bb.725:                              ;   in Loop: Header=BB284_525 Depth=1
	v_cmp_ne_u16_sdwa s1, v10, v27 src0_sel:BYTE_0 src1_sel:DWORD
	v_mov_b32_e32 v48, 0x8000
	s_and_saveexec_b32 s24, s1
	s_cbranch_execz .LBB284_731
; %bb.726:                              ;   in Loop: Header=BB284_525 Depth=1
	v_and_b32_e32 v49, 0x7f, v10
	v_mov_b32_e32 v48, 0x7c01
	s_mov_b32 s25, exec_lo
	v_cmpx_ne_u32_e32 0x7f, v49
	s_cbranch_execz .LBB284_730
; %bb.727:                              ;   in Loop: Header=BB284_525 Depth=1
	v_and_b32_e32 v2, 7, v10
	v_lshrrev_b32_e32 v48, 3, v49
	s_mov_b32 s26, exec_lo
	v_cmpx_gt_u32_e32 8, v49
; %bb.728:                              ;   in Loop: Header=BB284_525 Depth=1
	v_ffbh_u32_e32 v2, v2
	v_min_u32_e32 v2, 32, v2
	v_subrev_nc_u32_e32 v13, 28, v2
	v_sub_nc_u32_e32 v48, 29, v2
	v_lshlrev_b64 v[13:14], v13, v[10:11]
	v_and_b32_e32 v2, 7, v13
; %bb.729:                              ;   in Loop: Header=BB284_525 Depth=1
	s_or_b32 exec_lo, exec_lo, s26
	v_lshlrev_b32_e32 v13, 8, v10
	v_lshl_add_u32 v14, v48, 10, 0x2000
	v_lshlrev_b32_e32 v2, 7, v2
	v_and_b32_e32 v13, 0x8000, v13
	v_and_b32_e32 v14, 0xfc00, v14
	v_or3_b32 v48, v13, v14, v2
.LBB284_730:                            ;   in Loop: Header=BB284_525 Depth=1
	s_or_b32 exec_lo, exec_lo, s25
.LBB284_731:                            ;   in Loop: Header=BB284_525 Depth=1
	s_or_b32 exec_lo, exec_lo, s24
.LBB284_732:                            ;   in Loop: Header=BB284_525 Depth=1
	s_or_b32 exec_lo, exec_lo, s22
	v_lshrrev_b16 v2, 8, v10
	s_mov_b32 s22, exec_lo
	v_cmpx_ne_u16_e32 0, v2
	s_cbranch_execz .LBB284_740
; %bb.733:                              ;   in Loop: Header=BB284_525 Depth=1
	v_bfrev_b32_e32 v47, 1
	s_mov_b32 s24, exec_lo
	v_cmpx_ne_u16_e32 0x80, v2
	s_cbranch_execz .LBB284_739
; %bb.734:                              ;   in Loop: Header=BB284_525 Depth=1
	v_and_b32_sdwa v50, v2, v28 dst_sel:DWORD dst_unused:UNUSED_PAD src0_sel:WORD_0 src1_sel:DWORD
	v_mov_b32_e32 v47, 0x7c010000
	s_mov_b32 s25, exec_lo
	v_cmpx_ne_u32_e32 0x7f, v50
	s_cbranch_execz .LBB284_738
; %bb.735:                              ;   in Loop: Header=BB284_525 Depth=1
	v_and_b32_sdwa v47, v2, v29 dst_sel:DWORD dst_unused:UNUSED_PAD src0_sel:WORD_0 src1_sel:DWORD
	v_lshrrev_b32_e32 v49, 3, v50
	s_mov_b32 s26, exec_lo
	v_cmpx_gt_u32_e32 8, v50
; %bb.736:                              ;   in Loop: Header=BB284_525 Depth=1
	v_ffbh_u32_e32 v13, v47
	v_min_u32_e32 v47, 32, v13
	v_subrev_nc_u32_e32 v13, 28, v47
	v_sub_nc_u32_e32 v49, 29, v47
	v_lshlrev_b64 v[13:14], v13, v[2:3]
	v_and_b32_e32 v47, 7, v13
; %bb.737:                              ;   in Loop: Header=BB284_525 Depth=1
	s_or_b32 exec_lo, exec_lo, s26
	v_lshlrev_b32_sdwa v2, v30, v2 dst_sel:DWORD dst_unused:UNUSED_PAD src0_sel:DWORD src1_sel:WORD_0
	v_lshl_add_u32 v13, v49, 10, 0x2000
	v_and_or_b32 v2, 0x8000, v2, v13
	v_lshlrev_b32_e32 v13, 23, v47
	v_lshl_or_b32 v47, v2, 16, v13
.LBB284_738:                            ;   in Loop: Header=BB284_525 Depth=1
	s_or_b32 exec_lo, exec_lo, s25
.LBB284_739:                            ;   in Loop: Header=BB284_525 Depth=1
	s_or_b32 exec_lo, exec_lo, s24
.LBB284_740:                            ;   in Loop: Header=BB284_525 Depth=1
	s_or_b32 exec_lo, exec_lo, s22
	v_lshrrev_b32_e32 v2, 16, v10
	v_mov_b32_e32 v49, 0
	v_mov_b32_e32 v50, 0
	v_cmp_ne_u16_sdwa s1, v2, v3 src0_sel:BYTE_0 src1_sel:DWORD
	s_and_saveexec_b32 s22, s1
	s_cbranch_execz .LBB284_748
; %bb.741:                              ;   in Loop: Header=BB284_525 Depth=1
	v_cmp_ne_u16_sdwa s1, v2, v27 src0_sel:BYTE_0 src1_sel:DWORD
	v_mov_b32_e32 v50, 0x8000
	s_and_saveexec_b32 s24, s1
	s_cbranch_execz .LBB284_747
; %bb.742:                              ;   in Loop: Header=BB284_525 Depth=1
	v_bfe_u32 v52, v10, 16, 7
	v_mov_b32_e32 v50, 0x7c01
	s_mov_b32 s25, exec_lo
	v_cmpx_ne_u32_e32 0x7f, v52
	s_cbranch_execz .LBB284_746
; %bb.743:                              ;   in Loop: Header=BB284_525 Depth=1
	v_and_b32_e32 v50, 7, v2
	v_lshrrev_b32_e32 v51, 3, v52
	s_mov_b32 s26, exec_lo
	v_cmpx_gt_u32_e32 8, v52
; %bb.744:                              ;   in Loop: Header=BB284_525 Depth=1
	v_ffbh_u32_e32 v13, v50
	v_min_u32_e32 v50, 32, v13
	v_subrev_nc_u32_e32 v13, 28, v50
	v_sub_nc_u32_e32 v51, 29, v50
	v_lshlrev_b64 v[13:14], v13, v[2:3]
	v_and_b32_e32 v50, 7, v13
; %bb.745:                              ;   in Loop: Header=BB284_525 Depth=1
	s_or_b32 exec_lo, exec_lo, s26
	v_lshlrev_b32_e32 v2, 8, v2
	v_lshl_add_u32 v13, v51, 10, 0x2000
	v_lshlrev_b32_e32 v14, 7, v50
	v_and_b32_e32 v2, 0x8000, v2
	v_and_b32_e32 v13, 0xfc00, v13
	v_or3_b32 v50, v2, v13, v14
.LBB284_746:                            ;   in Loop: Header=BB284_525 Depth=1
	s_or_b32 exec_lo, exec_lo, s25
.LBB284_747:                            ;   in Loop: Header=BB284_525 Depth=1
	s_or_b32 exec_lo, exec_lo, s24
.LBB284_748:                            ;   in Loop: Header=BB284_525 Depth=1
	s_or_b32 exec_lo, exec_lo, s22
	s_mov_b32 s22, exec_lo
	v_cmpx_lt_u32_e32 0xffffff, v10
	s_cbranch_execz .LBB284_756
; %bb.749:                              ;   in Loop: Header=BB284_525 Depth=1
	v_lshrrev_b32_e32 v2, 24, v10
	v_bfrev_b32_e32 v49, 1
	s_mov_b32 s24, exec_lo
	v_cmpx_ne_u32_e32 0x80, v2
	s_cbranch_execz .LBB284_755
; %bb.750:                              ;   in Loop: Header=BB284_525 Depth=1
	v_and_b32_e32 v52, 0x7f, v2
	v_mov_b32_e32 v49, 0x7c010000
	s_mov_b32 s25, exec_lo
	v_cmpx_ne_u32_e32 0x7f, v52
	s_cbranch_execz .LBB284_754
; %bb.751:                              ;   in Loop: Header=BB284_525 Depth=1
	v_and_b32_e32 v49, 7, v2
	v_lshrrev_b32_e32 v51, 3, v52
	s_mov_b32 s26, exec_lo
	v_cmpx_gt_u32_e32 8, v52
; %bb.752:                              ;   in Loop: Header=BB284_525 Depth=1
	v_ffbh_u32_e32 v13, v49
	v_min_u32_e32 v49, 32, v13
	v_subrev_nc_u32_e32 v13, 28, v49
	v_sub_nc_u32_e32 v51, 29, v49
	v_lshlrev_b64 v[13:14], v13, v[2:3]
	v_and_b32_e32 v49, 7, v13
; %bb.753:                              ;   in Loop: Header=BB284_525 Depth=1
	s_or_b32 exec_lo, exec_lo, s26
	v_lshlrev_b32_e32 v2, 8, v2
	v_lshl_add_u32 v13, v51, 10, 0x2000
	v_and_or_b32 v2, 0x8000, v2, v13
	v_lshlrev_b32_e32 v13, 23, v49
	v_lshl_or_b32 v49, v2, 16, v13
.LBB284_754:                            ;   in Loop: Header=BB284_525 Depth=1
	s_or_b32 exec_lo, exec_lo, s25
.LBB284_755:                            ;   in Loop: Header=BB284_525 Depth=1
	s_or_b32 exec_lo, exec_lo, s24
.LBB284_756:                            ;   in Loop: Header=BB284_525 Depth=1
	s_or_b32 exec_lo, exec_lo, s22
	v_mov_b32_e32 v2, v11
	v_cmp_ne_u16_sdwa s1, v11, v3 src0_sel:BYTE_0 src1_sel:DWORD
	v_mov_b32_e32 v51, 0
	v_mov_b32_e32 v52, 0
	s_and_saveexec_b32 s22, s1
	s_cbranch_execz .LBB284_764
; %bb.757:                              ;   in Loop: Header=BB284_525 Depth=1
	v_cmp_ne_u16_sdwa s1, v11, v27 src0_sel:BYTE_0 src1_sel:DWORD
	v_mov_b32_e32 v52, 0x8000
	s_and_saveexec_b32 s24, s1
	s_cbranch_execz .LBB284_763
; %bb.758:                              ;   in Loop: Header=BB284_525 Depth=1
	v_and_b32_e32 v54, 0x7f, v11
	v_mov_b32_e32 v52, 0x7c01
	s_mov_b32 s25, exec_lo
	v_cmpx_ne_u32_e32 0x7f, v54
	s_cbranch_execz .LBB284_762
; %bb.759:                              ;   in Loop: Header=BB284_525 Depth=1
	v_and_b32_e32 v52, 7, v11
	v_lshrrev_b32_e32 v53, 3, v54
	s_mov_b32 s26, exec_lo
	v_cmpx_gt_u32_e32 8, v54
; %bb.760:                              ;   in Loop: Header=BB284_525 Depth=1
	v_ffbh_u32_e32 v13, v52
	v_min_u32_e32 v52, 32, v13
	v_subrev_nc_u32_e32 v13, 28, v52
	v_sub_nc_u32_e32 v53, 29, v52
	v_lshlrev_b64 v[13:14], v13, v[2:3]
	v_and_b32_e32 v52, 7, v13
; %bb.761:                              ;   in Loop: Header=BB284_525 Depth=1
	s_or_b32 exec_lo, exec_lo, s26
	v_lshlrev_b32_e32 v13, 8, v11
	v_lshl_add_u32 v14, v53, 10, 0x2000
	v_lshlrev_b32_e32 v52, 7, v52
	v_and_b32_e32 v13, 0x8000, v13
	v_and_b32_e32 v14, 0xfc00, v14
	v_or3_b32 v52, v13, v14, v52
.LBB284_762:                            ;   in Loop: Header=BB284_525 Depth=1
	s_or_b32 exec_lo, exec_lo, s25
.LBB284_763:                            ;   in Loop: Header=BB284_525 Depth=1
	s_or_b32 exec_lo, exec_lo, s24
.LBB284_764:                            ;   in Loop: Header=BB284_525 Depth=1
	s_or_b32 exec_lo, exec_lo, s22
	v_lshrrev_b16 v2, 8, v2
	v_mov_b32_e32 v53, 0
	s_mov_b32 s22, exec_lo
	v_cmpx_ne_u16_e32 0, v2
	s_cbranch_execz .LBB284_772
; %bb.765:                              ;   in Loop: Header=BB284_525 Depth=1
	v_bfrev_b32_e32 v53, 1
	s_mov_b32 s24, exec_lo
	v_cmpx_ne_u16_e32 0x80, v2
	s_cbranch_execz .LBB284_771
; %bb.766:                              ;   in Loop: Header=BB284_525 Depth=1
	v_and_b32_sdwa v55, v2, v28 dst_sel:DWORD dst_unused:UNUSED_PAD src0_sel:WORD_0 src1_sel:DWORD
	v_mov_b32_e32 v53, 0x7c010000
	s_mov_b32 s25, exec_lo
	v_cmpx_ne_u32_e32 0x7f, v55
	s_cbranch_execz .LBB284_770
; %bb.767:                              ;   in Loop: Header=BB284_525 Depth=1
	v_and_b32_sdwa v53, v2, v29 dst_sel:DWORD dst_unused:UNUSED_PAD src0_sel:WORD_0 src1_sel:DWORD
	v_lshrrev_b32_e32 v54, 3, v55
	s_mov_b32 s26, exec_lo
	v_cmpx_gt_u32_e32 8, v55
; %bb.768:                              ;   in Loop: Header=BB284_525 Depth=1
	v_ffbh_u32_e32 v13, v53
	v_min_u32_e32 v53, 32, v13
	v_subrev_nc_u32_e32 v13, 28, v53
	v_sub_nc_u32_e32 v54, 29, v53
	v_lshlrev_b64 v[13:14], v13, v[2:3]
	v_and_b32_e32 v53, 7, v13
; %bb.769:                              ;   in Loop: Header=BB284_525 Depth=1
	s_or_b32 exec_lo, exec_lo, s26
	v_lshlrev_b32_sdwa v2, v30, v2 dst_sel:DWORD dst_unused:UNUSED_PAD src0_sel:DWORD src1_sel:WORD_0
	v_lshl_add_u32 v13, v54, 10, 0x2000
	v_and_or_b32 v2, 0x8000, v2, v13
	v_lshlrev_b32_e32 v13, 23, v53
	v_lshl_or_b32 v53, v2, 16, v13
.LBB284_770:                            ;   in Loop: Header=BB284_525 Depth=1
	s_or_b32 exec_lo, exec_lo, s25
.LBB284_771:                            ;   in Loop: Header=BB284_525 Depth=1
	s_or_b32 exec_lo, exec_lo, s24
.LBB284_772:                            ;   in Loop: Header=BB284_525 Depth=1
	s_or_b32 exec_lo, exec_lo, s22
	v_lshrrev_b32_e32 v2, 16, v11
	v_cmp_ne_u16_sdwa s1, v2, v3 src0_sel:BYTE_0 src1_sel:DWORD
	s_and_saveexec_b32 s22, s1
	s_cbranch_execz .LBB284_780
; %bb.773:                              ;   in Loop: Header=BB284_525 Depth=1
	v_cmp_ne_u16_sdwa s1, v2, v27 src0_sel:BYTE_0 src1_sel:DWORD
	v_mov_b32_e32 v51, 0x8000
	s_and_saveexec_b32 s24, s1
	s_cbranch_execz .LBB284_779
; %bb.774:                              ;   in Loop: Header=BB284_525 Depth=1
	v_bfe_u32 v55, v11, 16, 7
	v_mov_b32_e32 v51, 0x7c01
	s_mov_b32 s25, exec_lo
	v_cmpx_ne_u32_e32 0x7f, v55
	s_cbranch_execz .LBB284_778
; %bb.775:                              ;   in Loop: Header=BB284_525 Depth=1
	v_and_b32_e32 v51, 7, v2
	v_lshrrev_b32_e32 v54, 3, v55
	s_mov_b32 s26, exec_lo
	v_cmpx_gt_u32_e32 8, v55
; %bb.776:                              ;   in Loop: Header=BB284_525 Depth=1
	v_ffbh_u32_e32 v13, v51
	v_min_u32_e32 v51, 32, v13
	v_subrev_nc_u32_e32 v13, 28, v51
	v_sub_nc_u32_e32 v54, 29, v51
	v_lshlrev_b64 v[13:14], v13, v[2:3]
	v_and_b32_e32 v51, 7, v13
; %bb.777:                              ;   in Loop: Header=BB284_525 Depth=1
	s_or_b32 exec_lo, exec_lo, s26
	v_lshlrev_b32_e32 v2, 8, v2
	v_lshl_add_u32 v13, v54, 10, 0x2000
	v_lshlrev_b32_e32 v14, 7, v51
	v_and_b32_e32 v2, 0x8000, v2
	v_and_b32_e32 v13, 0xfc00, v13
	v_or3_b32 v51, v2, v13, v14
.LBB284_778:                            ;   in Loop: Header=BB284_525 Depth=1
	s_or_b32 exec_lo, exec_lo, s25
.LBB284_779:                            ;   in Loop: Header=BB284_525 Depth=1
	s_or_b32 exec_lo, exec_lo, s24
.LBB284_780:                            ;   in Loop: Header=BB284_525 Depth=1
	s_or_b32 exec_lo, exec_lo, s22
	v_cmp_lt_u64_e64 s1, s[6:7], v[10:11]
	v_mov_b32_e32 v10, 0
	s_and_saveexec_b32 s22, s1
	s_cbranch_execz .LBB284_788
; %bb.781:                              ;   in Loop: Header=BB284_525 Depth=1
	v_lshrrev_b32_e32 v2, 24, v11
	v_bfrev_b32_e32 v10, 1
	s_mov_b32 s24, exec_lo
	v_cmpx_ne_u32_e32 0x80, v2
	s_cbranch_execz .LBB284_787
; %bb.782:                              ;   in Loop: Header=BB284_525 Depth=1
	v_and_b32_e32 v54, 0x7f, v2
	v_mov_b32_e32 v10, 0x7c010000
	s_mov_b32 s25, exec_lo
	v_cmpx_ne_u32_e32 0x7f, v54
	s_cbranch_execz .LBB284_786
; %bb.783:                              ;   in Loop: Header=BB284_525 Depth=1
	v_and_b32_e32 v10, 7, v2
	v_lshrrev_b32_e32 v11, 3, v54
	s_mov_b32 s26, exec_lo
	v_cmpx_gt_u32_e32 8, v54
; %bb.784:                              ;   in Loop: Header=BB284_525 Depth=1
	v_ffbh_u32_e32 v10, v10
	v_min_u32_e32 v13, 32, v10
	v_subrev_nc_u32_e32 v10, 28, v13
	v_lshlrev_b64 v[10:11], v10, v[2:3]
	v_sub_nc_u32_e32 v11, 29, v13
	v_and_b32_e32 v10, 7, v10
; %bb.785:                              ;   in Loop: Header=BB284_525 Depth=1
	s_or_b32 exec_lo, exec_lo, s26
	v_lshlrev_b32_e32 v2, 8, v2
	v_lshl_add_u32 v11, v11, 10, 0x2000
	v_lshlrev_b32_e32 v10, 23, v10
	v_and_or_b32 v2, 0x8000, v2, v11
	v_lshl_or_b32 v10, v2, 16, v10
.LBB284_786:                            ;   in Loop: Header=BB284_525 Depth=1
	s_or_b32 exec_lo, exec_lo, s25
.LBB284_787:                            ;   in Loop: Header=BB284_525 Depth=1
	s_or_b32 exec_lo, exec_lo, s24
.LBB284_788:                            ;   in Loop: Header=BB284_525 Depth=1
	s_or_b32 exec_lo, exec_lo, s22
	v_or_b32_e32 v2, v49, v50
	s_waitcnt vmcnt(0)
	v_fma_mixlo_f16 v11, v46, v49, 0 op_sel:[0,1,0] op_sel_hi:[0,1,0]
	v_or_b32_e32 v13, v47, v48
	v_fma_mixlo_f16 v14, v46, v47, 0 op_sel:[0,1,0] op_sel_hi:[0,1,0]
	v_or_b32_e32 v50, v53, v52
	v_fma_mixlo_f16 v2, v46, v2, 0 op_sel_hi:[0,1,0]
	v_or_b32_e32 v51, v10, v51
	v_lshlrev_b32_e32 v47, 16, v11
	v_lshlrev_b32_e32 v49, 16, v14
	v_fma_mixlo_f16 v11, v46, v13, 0 op_sel_hi:[0,1,0]
	v_and_b32_e32 v48, 0xffff, v2
	v_fma_mixlo_f16 v2, v46, v53, 0 op_sel:[0,1,0] op_sel_hi:[0,1,0]
	v_fma_mixlo_f16 v13, v46, v50, 0 op_sel_hi:[0,1,0]
	v_fma_mixlo_f16 v14, v46, v10, 0 op_sel:[0,1,0] op_sel_hi:[0,1,0]
	v_fma_mixlo_f16 v50, v46, v51, 0 op_sel_hi:[0,1,0]
	v_and_b32_e32 v53, 0xffff, v11
	v_lshlrev_b32_e32 v10, 16, v2
	v_and_b32_e32 v46, 0xffff, v13
	v_lshlrev_b32_e32 v2, 16, v14
	v_and_b32_e32 v11, 0xffff, v50
	v_or_b32_e32 v50, v47, v48
	v_or_b32_e32 v54, v49, v53
	;; [unrolled: 1-line block ×4, first 2 shown]
	s_and_saveexec_b32 s22, s0
	s_cbranch_execz .LBB284_790
; %bb.789:                              ;   in Loop: Header=BB284_525 Depth=1
	v_add_nc_u32_e32 v13, 1, v35
	v_cmp_gt_i32_e64 s1, s31, v35
	v_add_nc_u32_e32 v14, 2, v35
	v_add_nc_u32_e32 v51, 3, v35
	v_cndmask_b32_e64 v50, 0, v53, s1
	v_cmp_gt_i32_e64 s1, s31, v13
	v_cndmask_b32_e64 v13, 0, v49, s1
	v_cmp_gt_i32_e64 s1, s31, v14
	v_add_nc_u32_e32 v49, 5, v35
	v_or_b32_e32 v54, v13, v50
	v_cndmask_b32_e64 v14, 0, v48, s1
	v_add_nc_u32_e32 v48, 4, v35
	v_cmp_gt_i32_e64 s1, s31, v51
	v_add_nc_u32_e32 v51, 6, v35
	v_cndmask_b32_e64 v47, 0, v47, s1
	v_cmp_gt_i32_e64 s1, s31, v48
	v_add_nc_u32_e32 v48, 7, v35
	v_or_b32_e32 v50, v47, v14
	v_cndmask_b32_e64 v46, 0, v46, s1
	v_cmp_gt_i32_e64 s1, s31, v49
	v_cndmask_b32_e64 v10, 0, v10, s1
	v_cmp_gt_i32_e64 s1, s31, v51
	v_or_b32_e32 v52, v10, v46
	v_cndmask_b32_e64 v11, 0, v11, s1
	v_cmp_gt_i32_e64 s1, s31, v48
	v_cndmask_b32_e64 v2, 0, v2, s1
	v_or_b32_e32 v51, v2, v11
.LBB284_790:                            ;   in Loop: Header=BB284_525 Depth=1
	s_or_b32 exec_lo, exec_lo, s22
	;;#ASMSTART
	v_pk_mul_f16 v2, v41, v54;

	;;#ASMEND
	;;#ASMSTART
	v_pk_mul_f16 v10, v40, v50;

	;;#ASMEND
	;; [unrolled: 4-line block ×4, first 2 shown]
	;;#ASMSTART
	v_pk_add_f16 v2, v2, v10;

	;;#ASMEND
	;;#ASMSTART
	v_pk_add_f16 v2, v2, v11;

	;;#ASMEND
	;; [unrolled: 4-line block ×3, first 2 shown]
	v_and_b32_e32 v10, 0xffff, v2
	v_lshrrev_b32_e32 v2, 16, v2
	;;#ASMSTART
	v_cvt_f32_f16 v46, v10;
	;;#ASMEND
	;;#ASMSTART
	v_cvt_f32_f16 v47, v2;
	;;#ASMEND
	global_load_dwordx2 v[10:11], v[8:9], off offset:1024
	v_mov_b32_e32 v49, 0
	v_mov_b32_e32 v50, 0
	global_load_dword v48, v49, s[14:15]
	s_waitcnt vmcnt(1)
	v_cmp_ne_u16_sdwa s1, v10, v3 src0_sel:BYTE_0 src1_sel:DWORD
	s_and_saveexec_b32 s22, s1
	s_cbranch_execz .LBB284_798
; %bb.791:                              ;   in Loop: Header=BB284_525 Depth=1
	v_cmp_ne_u16_sdwa s1, v10, v27 src0_sel:BYTE_0 src1_sel:DWORD
	v_mov_b32_e32 v50, 0x8000
	s_and_saveexec_b32 s24, s1
	s_cbranch_execz .LBB284_797
; %bb.792:                              ;   in Loop: Header=BB284_525 Depth=1
	v_and_b32_e32 v51, 0x7f, v10
	v_mov_b32_e32 v50, 0x7c01
	s_mov_b32 s25, exec_lo
	v_cmpx_ne_u32_e32 0x7f, v51
	s_cbranch_execz .LBB284_796
; %bb.793:                              ;   in Loop: Header=BB284_525 Depth=1
	v_and_b32_e32 v2, 7, v10
	v_lshrrev_b32_e32 v50, 3, v51
	s_mov_b32 s26, exec_lo
	v_cmpx_gt_u32_e32 8, v51
; %bb.794:                              ;   in Loop: Header=BB284_525 Depth=1
	v_ffbh_u32_e32 v2, v2
	v_min_u32_e32 v2, 32, v2
	v_subrev_nc_u32_e32 v13, 28, v2
	v_sub_nc_u32_e32 v50, 29, v2
	v_lshlrev_b64 v[13:14], v13, v[10:11]
	v_and_b32_e32 v2, 7, v13
; %bb.795:                              ;   in Loop: Header=BB284_525 Depth=1
	s_or_b32 exec_lo, exec_lo, s26
	v_lshlrev_b32_e32 v13, 8, v10
	v_lshl_add_u32 v14, v50, 10, 0x2000
	v_lshlrev_b32_e32 v2, 7, v2
	v_and_b32_e32 v13, 0x8000, v13
	v_and_b32_e32 v14, 0xfc00, v14
	v_or3_b32 v50, v13, v14, v2
.LBB284_796:                            ;   in Loop: Header=BB284_525 Depth=1
	s_or_b32 exec_lo, exec_lo, s25
.LBB284_797:                            ;   in Loop: Header=BB284_525 Depth=1
	s_or_b32 exec_lo, exec_lo, s24
.LBB284_798:                            ;   in Loop: Header=BB284_525 Depth=1
	s_or_b32 exec_lo, exec_lo, s22
	v_lshrrev_b16 v2, 8, v10
	s_mov_b32 s22, exec_lo
	v_cmpx_ne_u16_e32 0, v2
	s_cbranch_execz .LBB284_806
; %bb.799:                              ;   in Loop: Header=BB284_525 Depth=1
	v_bfrev_b32_e32 v49, 1
	s_mov_b32 s24, exec_lo
	v_cmpx_ne_u16_e32 0x80, v2
	s_cbranch_execz .LBB284_805
; %bb.800:                              ;   in Loop: Header=BB284_525 Depth=1
	v_and_b32_sdwa v52, v2, v28 dst_sel:DWORD dst_unused:UNUSED_PAD src0_sel:WORD_0 src1_sel:DWORD
	v_mov_b32_e32 v49, 0x7c010000
	s_mov_b32 s25, exec_lo
	v_cmpx_ne_u32_e32 0x7f, v52
	s_cbranch_execz .LBB284_804
; %bb.801:                              ;   in Loop: Header=BB284_525 Depth=1
	v_and_b32_sdwa v49, v2, v29 dst_sel:DWORD dst_unused:UNUSED_PAD src0_sel:WORD_0 src1_sel:DWORD
	v_lshrrev_b32_e32 v51, 3, v52
	s_mov_b32 s26, exec_lo
	v_cmpx_gt_u32_e32 8, v52
; %bb.802:                              ;   in Loop: Header=BB284_525 Depth=1
	v_ffbh_u32_e32 v13, v49
	v_min_u32_e32 v49, 32, v13
	v_subrev_nc_u32_e32 v13, 28, v49
	v_sub_nc_u32_e32 v51, 29, v49
	v_lshlrev_b64 v[13:14], v13, v[2:3]
	v_and_b32_e32 v49, 7, v13
; %bb.803:                              ;   in Loop: Header=BB284_525 Depth=1
	s_or_b32 exec_lo, exec_lo, s26
	v_lshlrev_b32_sdwa v2, v30, v2 dst_sel:DWORD dst_unused:UNUSED_PAD src0_sel:DWORD src1_sel:WORD_0
	v_lshl_add_u32 v13, v51, 10, 0x2000
	v_and_or_b32 v2, 0x8000, v2, v13
	v_lshlrev_b32_e32 v13, 23, v49
	v_lshl_or_b32 v49, v2, 16, v13
.LBB284_804:                            ;   in Loop: Header=BB284_525 Depth=1
	s_or_b32 exec_lo, exec_lo, s25
.LBB284_805:                            ;   in Loop: Header=BB284_525 Depth=1
	s_or_b32 exec_lo, exec_lo, s24
.LBB284_806:                            ;   in Loop: Header=BB284_525 Depth=1
	s_or_b32 exec_lo, exec_lo, s22
	v_lshrrev_b32_e32 v2, 16, v10
	v_mov_b32_e32 v51, 0
	v_mov_b32_e32 v52, 0
	v_cmp_ne_u16_sdwa s1, v2, v3 src0_sel:BYTE_0 src1_sel:DWORD
	s_and_saveexec_b32 s22, s1
	s_cbranch_execz .LBB284_814
; %bb.807:                              ;   in Loop: Header=BB284_525 Depth=1
	v_cmp_ne_u16_sdwa s1, v2, v27 src0_sel:BYTE_0 src1_sel:DWORD
	v_mov_b32_e32 v52, 0x8000
	s_and_saveexec_b32 s24, s1
	s_cbranch_execz .LBB284_813
; %bb.808:                              ;   in Loop: Header=BB284_525 Depth=1
	v_bfe_u32 v54, v10, 16, 7
	v_mov_b32_e32 v52, 0x7c01
	s_mov_b32 s25, exec_lo
	v_cmpx_ne_u32_e32 0x7f, v54
	s_cbranch_execz .LBB284_812
; %bb.809:                              ;   in Loop: Header=BB284_525 Depth=1
	v_and_b32_e32 v52, 7, v2
	v_lshrrev_b32_e32 v53, 3, v54
	s_mov_b32 s26, exec_lo
	v_cmpx_gt_u32_e32 8, v54
; %bb.810:                              ;   in Loop: Header=BB284_525 Depth=1
	v_ffbh_u32_e32 v13, v52
	v_min_u32_e32 v52, 32, v13
	v_subrev_nc_u32_e32 v13, 28, v52
	v_sub_nc_u32_e32 v53, 29, v52
	v_lshlrev_b64 v[13:14], v13, v[2:3]
	v_and_b32_e32 v52, 7, v13
; %bb.811:                              ;   in Loop: Header=BB284_525 Depth=1
	s_or_b32 exec_lo, exec_lo, s26
	v_lshlrev_b32_e32 v2, 8, v2
	v_lshl_add_u32 v13, v53, 10, 0x2000
	v_lshlrev_b32_e32 v14, 7, v52
	v_and_b32_e32 v2, 0x8000, v2
	v_and_b32_e32 v13, 0xfc00, v13
	v_or3_b32 v52, v2, v13, v14
.LBB284_812:                            ;   in Loop: Header=BB284_525 Depth=1
	s_or_b32 exec_lo, exec_lo, s25
.LBB284_813:                            ;   in Loop: Header=BB284_525 Depth=1
	s_or_b32 exec_lo, exec_lo, s24
.LBB284_814:                            ;   in Loop: Header=BB284_525 Depth=1
	s_or_b32 exec_lo, exec_lo, s22
	s_mov_b32 s22, exec_lo
	v_cmpx_lt_u32_e32 0xffffff, v10
	s_cbranch_execz .LBB284_822
; %bb.815:                              ;   in Loop: Header=BB284_525 Depth=1
	v_lshrrev_b32_e32 v2, 24, v10
	v_bfrev_b32_e32 v51, 1
	s_mov_b32 s24, exec_lo
	v_cmpx_ne_u32_e32 0x80, v2
	s_cbranch_execz .LBB284_821
; %bb.816:                              ;   in Loop: Header=BB284_525 Depth=1
	v_and_b32_e32 v54, 0x7f, v2
	v_mov_b32_e32 v51, 0x7c010000
	s_mov_b32 s25, exec_lo
	v_cmpx_ne_u32_e32 0x7f, v54
	s_cbranch_execz .LBB284_820
; %bb.817:                              ;   in Loop: Header=BB284_525 Depth=1
	v_and_b32_e32 v51, 7, v2
	v_lshrrev_b32_e32 v53, 3, v54
	s_mov_b32 s26, exec_lo
	v_cmpx_gt_u32_e32 8, v54
; %bb.818:                              ;   in Loop: Header=BB284_525 Depth=1
	v_ffbh_u32_e32 v13, v51
	v_min_u32_e32 v51, 32, v13
	v_subrev_nc_u32_e32 v13, 28, v51
	v_sub_nc_u32_e32 v53, 29, v51
	v_lshlrev_b64 v[13:14], v13, v[2:3]
	v_and_b32_e32 v51, 7, v13
; %bb.819:                              ;   in Loop: Header=BB284_525 Depth=1
	s_or_b32 exec_lo, exec_lo, s26
	v_lshlrev_b32_e32 v2, 8, v2
	v_lshl_add_u32 v13, v53, 10, 0x2000
	v_and_or_b32 v2, 0x8000, v2, v13
	v_lshlrev_b32_e32 v13, 23, v51
	v_lshl_or_b32 v51, v2, 16, v13
.LBB284_820:                            ;   in Loop: Header=BB284_525 Depth=1
	s_or_b32 exec_lo, exec_lo, s25
.LBB284_821:                            ;   in Loop: Header=BB284_525 Depth=1
	s_or_b32 exec_lo, exec_lo, s24
.LBB284_822:                            ;   in Loop: Header=BB284_525 Depth=1
	s_or_b32 exec_lo, exec_lo, s22
	v_mov_b32_e32 v2, v11
	v_cmp_ne_u16_sdwa s1, v11, v3 src0_sel:BYTE_0 src1_sel:DWORD
	v_mov_b32_e32 v53, 0
	v_mov_b32_e32 v54, 0
	s_and_saveexec_b32 s22, s1
	s_cbranch_execz .LBB284_830
; %bb.823:                              ;   in Loop: Header=BB284_525 Depth=1
	v_cmp_ne_u16_sdwa s1, v11, v27 src0_sel:BYTE_0 src1_sel:DWORD
	v_mov_b32_e32 v54, 0x8000
	s_and_saveexec_b32 s24, s1
	s_cbranch_execz .LBB284_829
; %bb.824:                              ;   in Loop: Header=BB284_525 Depth=1
	v_and_b32_e32 v56, 0x7f, v11
	v_mov_b32_e32 v54, 0x7c01
	s_mov_b32 s25, exec_lo
	v_cmpx_ne_u32_e32 0x7f, v56
	s_cbranch_execz .LBB284_828
; %bb.825:                              ;   in Loop: Header=BB284_525 Depth=1
	v_and_b32_e32 v54, 7, v11
	v_lshrrev_b32_e32 v55, 3, v56
	s_mov_b32 s26, exec_lo
	v_cmpx_gt_u32_e32 8, v56
; %bb.826:                              ;   in Loop: Header=BB284_525 Depth=1
	v_ffbh_u32_e32 v13, v54
	v_min_u32_e32 v54, 32, v13
	v_subrev_nc_u32_e32 v13, 28, v54
	v_sub_nc_u32_e32 v55, 29, v54
	v_lshlrev_b64 v[13:14], v13, v[2:3]
	v_and_b32_e32 v54, 7, v13
; %bb.827:                              ;   in Loop: Header=BB284_525 Depth=1
	s_or_b32 exec_lo, exec_lo, s26
	v_lshlrev_b32_e32 v13, 8, v11
	v_lshl_add_u32 v14, v55, 10, 0x2000
	v_lshlrev_b32_e32 v54, 7, v54
	v_and_b32_e32 v13, 0x8000, v13
	v_and_b32_e32 v14, 0xfc00, v14
	v_or3_b32 v54, v13, v14, v54
.LBB284_828:                            ;   in Loop: Header=BB284_525 Depth=1
	s_or_b32 exec_lo, exec_lo, s25
.LBB284_829:                            ;   in Loop: Header=BB284_525 Depth=1
	s_or_b32 exec_lo, exec_lo, s24
.LBB284_830:                            ;   in Loop: Header=BB284_525 Depth=1
	s_or_b32 exec_lo, exec_lo, s22
	v_lshrrev_b16 v2, 8, v2
	v_mov_b32_e32 v55, 0
	s_mov_b32 s22, exec_lo
	v_cmpx_ne_u16_e32 0, v2
	s_cbranch_execz .LBB284_838
; %bb.831:                              ;   in Loop: Header=BB284_525 Depth=1
	v_bfrev_b32_e32 v55, 1
	s_mov_b32 s24, exec_lo
	v_cmpx_ne_u16_e32 0x80, v2
	s_cbranch_execz .LBB284_837
; %bb.832:                              ;   in Loop: Header=BB284_525 Depth=1
	v_and_b32_sdwa v57, v2, v28 dst_sel:DWORD dst_unused:UNUSED_PAD src0_sel:WORD_0 src1_sel:DWORD
	v_mov_b32_e32 v55, 0x7c010000
	s_mov_b32 s25, exec_lo
	v_cmpx_ne_u32_e32 0x7f, v57
	s_cbranch_execz .LBB284_836
; %bb.833:                              ;   in Loop: Header=BB284_525 Depth=1
	v_and_b32_sdwa v55, v2, v29 dst_sel:DWORD dst_unused:UNUSED_PAD src0_sel:WORD_0 src1_sel:DWORD
	v_lshrrev_b32_e32 v56, 3, v57
	s_mov_b32 s26, exec_lo
	v_cmpx_gt_u32_e32 8, v57
; %bb.834:                              ;   in Loop: Header=BB284_525 Depth=1
	v_ffbh_u32_e32 v13, v55
	v_min_u32_e32 v55, 32, v13
	v_subrev_nc_u32_e32 v13, 28, v55
	v_sub_nc_u32_e32 v56, 29, v55
	v_lshlrev_b64 v[13:14], v13, v[2:3]
	v_and_b32_e32 v55, 7, v13
; %bb.835:                              ;   in Loop: Header=BB284_525 Depth=1
	s_or_b32 exec_lo, exec_lo, s26
	v_lshlrev_b32_sdwa v2, v30, v2 dst_sel:DWORD dst_unused:UNUSED_PAD src0_sel:DWORD src1_sel:WORD_0
	v_lshl_add_u32 v13, v56, 10, 0x2000
	v_and_or_b32 v2, 0x8000, v2, v13
	v_lshlrev_b32_e32 v13, 23, v55
	v_lshl_or_b32 v55, v2, 16, v13
.LBB284_836:                            ;   in Loop: Header=BB284_525 Depth=1
	s_or_b32 exec_lo, exec_lo, s25
.LBB284_837:                            ;   in Loop: Header=BB284_525 Depth=1
	s_or_b32 exec_lo, exec_lo, s24
.LBB284_838:                            ;   in Loop: Header=BB284_525 Depth=1
	s_or_b32 exec_lo, exec_lo, s22
	v_lshrrev_b32_e32 v2, 16, v11
	v_cmp_ne_u16_sdwa s1, v2, v3 src0_sel:BYTE_0 src1_sel:DWORD
	s_and_saveexec_b32 s22, s1
	s_cbranch_execz .LBB284_846
; %bb.839:                              ;   in Loop: Header=BB284_525 Depth=1
	v_cmp_ne_u16_sdwa s1, v2, v27 src0_sel:BYTE_0 src1_sel:DWORD
	v_mov_b32_e32 v53, 0x8000
	s_and_saveexec_b32 s24, s1
	s_cbranch_execz .LBB284_845
; %bb.840:                              ;   in Loop: Header=BB284_525 Depth=1
	v_bfe_u32 v57, v11, 16, 7
	v_mov_b32_e32 v53, 0x7c01
	s_mov_b32 s25, exec_lo
	v_cmpx_ne_u32_e32 0x7f, v57
	s_cbranch_execz .LBB284_844
; %bb.841:                              ;   in Loop: Header=BB284_525 Depth=1
	v_and_b32_e32 v53, 7, v2
	v_lshrrev_b32_e32 v56, 3, v57
	s_mov_b32 s26, exec_lo
	v_cmpx_gt_u32_e32 8, v57
; %bb.842:                              ;   in Loop: Header=BB284_525 Depth=1
	v_ffbh_u32_e32 v13, v53
	v_min_u32_e32 v53, 32, v13
	v_subrev_nc_u32_e32 v13, 28, v53
	v_sub_nc_u32_e32 v56, 29, v53
	v_lshlrev_b64 v[13:14], v13, v[2:3]
	v_and_b32_e32 v53, 7, v13
; %bb.843:                              ;   in Loop: Header=BB284_525 Depth=1
	s_or_b32 exec_lo, exec_lo, s26
	v_lshlrev_b32_e32 v2, 8, v2
	v_lshl_add_u32 v13, v56, 10, 0x2000
	v_lshlrev_b32_e32 v14, 7, v53
	v_and_b32_e32 v2, 0x8000, v2
	v_and_b32_e32 v13, 0xfc00, v13
	v_or3_b32 v53, v2, v13, v14
.LBB284_844:                            ;   in Loop: Header=BB284_525 Depth=1
	s_or_b32 exec_lo, exec_lo, s25
.LBB284_845:                            ;   in Loop: Header=BB284_525 Depth=1
	s_or_b32 exec_lo, exec_lo, s24
.LBB284_846:                            ;   in Loop: Header=BB284_525 Depth=1
	s_or_b32 exec_lo, exec_lo, s22
	v_cmp_lt_u64_e64 s1, s[6:7], v[10:11]
	v_mov_b32_e32 v10, 0
	s_and_saveexec_b32 s22, s1
	s_cbranch_execz .LBB284_854
; %bb.847:                              ;   in Loop: Header=BB284_525 Depth=1
	v_lshrrev_b32_e32 v2, 24, v11
	v_bfrev_b32_e32 v10, 1
	s_mov_b32 s24, exec_lo
	v_cmpx_ne_u32_e32 0x80, v2
	s_cbranch_execz .LBB284_853
; %bb.848:                              ;   in Loop: Header=BB284_525 Depth=1
	v_and_b32_e32 v56, 0x7f, v2
	v_mov_b32_e32 v10, 0x7c010000
	s_mov_b32 s25, exec_lo
	v_cmpx_ne_u32_e32 0x7f, v56
	s_cbranch_execz .LBB284_852
; %bb.849:                              ;   in Loop: Header=BB284_525 Depth=1
	v_and_b32_e32 v10, 7, v2
	v_lshrrev_b32_e32 v11, 3, v56
	s_mov_b32 s26, exec_lo
	v_cmpx_gt_u32_e32 8, v56
; %bb.850:                              ;   in Loop: Header=BB284_525 Depth=1
	v_ffbh_u32_e32 v10, v10
	v_min_u32_e32 v13, 32, v10
	v_subrev_nc_u32_e32 v10, 28, v13
	v_lshlrev_b64 v[10:11], v10, v[2:3]
	v_sub_nc_u32_e32 v11, 29, v13
	v_and_b32_e32 v10, 7, v10
; %bb.851:                              ;   in Loop: Header=BB284_525 Depth=1
	s_or_b32 exec_lo, exec_lo, s26
	v_lshlrev_b32_e32 v2, 8, v2
	v_lshl_add_u32 v11, v11, 10, 0x2000
	v_lshlrev_b32_e32 v10, 23, v10
	v_and_or_b32 v2, 0x8000, v2, v11
	v_lshl_or_b32 v10, v2, 16, v10
.LBB284_852:                            ;   in Loop: Header=BB284_525 Depth=1
	s_or_b32 exec_lo, exec_lo, s25
.LBB284_853:                            ;   in Loop: Header=BB284_525 Depth=1
	s_or_b32 exec_lo, exec_lo, s24
.LBB284_854:                            ;   in Loop: Header=BB284_525 Depth=1
	s_or_b32 exec_lo, exec_lo, s22
	v_or_b32_e32 v2, v51, v52
	s_waitcnt vmcnt(0)
	v_fma_mixlo_f16 v11, v48, v51, 0 op_sel:[0,1,0] op_sel_hi:[0,1,0]
	v_or_b32_e32 v13, v49, v50
	v_fma_mixlo_f16 v14, v48, v49, 0 op_sel:[0,1,0] op_sel_hi:[0,1,0]
	v_or_b32_e32 v52, v55, v54
	v_fma_mixlo_f16 v2, v48, v2, 0 op_sel_hi:[0,1,0]
	v_or_b32_e32 v53, v10, v53
	v_lshlrev_b32_e32 v49, 16, v11
	v_lshlrev_b32_e32 v51, 16, v14
	v_fma_mixlo_f16 v11, v48, v13, 0 op_sel_hi:[0,1,0]
	v_and_b32_e32 v50, 0xffff, v2
	v_fma_mixlo_f16 v2, v48, v55, 0 op_sel:[0,1,0] op_sel_hi:[0,1,0]
	v_fma_mixlo_f16 v13, v48, v52, 0 op_sel_hi:[0,1,0]
	v_fma_mixlo_f16 v14, v48, v10, 0 op_sel:[0,1,0] op_sel_hi:[0,1,0]
	v_fma_mixlo_f16 v52, v48, v53, 0 op_sel_hi:[0,1,0]
	v_and_b32_e32 v55, 0xffff, v11
	v_lshlrev_b32_e32 v10, 16, v2
	v_and_b32_e32 v48, 0xffff, v13
	v_lshlrev_b32_e32 v2, 16, v14
	v_and_b32_e32 v11, 0xffff, v52
	v_or_b32_e32 v52, v49, v50
	v_or_b32_e32 v56, v51, v55
	;; [unrolled: 1-line block ×4, first 2 shown]
	s_and_saveexec_b32 s22, s0
	s_cbranch_execz .LBB284_856
; %bb.855:                              ;   in Loop: Header=BB284_525 Depth=1
	v_add_nc_u32_e32 v13, 1, v35
	v_cmp_gt_i32_e64 s1, s31, v35
	v_add_nc_u32_e32 v14, 2, v35
	v_add_nc_u32_e32 v53, 3, v35
	v_cndmask_b32_e64 v52, 0, v55, s1
	v_cmp_gt_i32_e64 s1, s31, v13
	v_cndmask_b32_e64 v13, 0, v51, s1
	v_cmp_gt_i32_e64 s1, s31, v14
	v_add_nc_u32_e32 v51, 5, v35
	v_or_b32_e32 v56, v13, v52
	v_cndmask_b32_e64 v14, 0, v50, s1
	v_add_nc_u32_e32 v50, 4, v35
	v_cmp_gt_i32_e64 s1, s31, v53
	v_add_nc_u32_e32 v53, 6, v35
	v_cndmask_b32_e64 v49, 0, v49, s1
	v_cmp_gt_i32_e64 s1, s31, v50
	v_add_nc_u32_e32 v50, 7, v35
	v_or_b32_e32 v52, v49, v14
	v_cndmask_b32_e64 v48, 0, v48, s1
	v_cmp_gt_i32_e64 s1, s31, v51
	v_cndmask_b32_e64 v10, 0, v10, s1
	v_cmp_gt_i32_e64 s1, s31, v53
	v_or_b32_e32 v54, v10, v48
	v_cndmask_b32_e64 v11, 0, v11, s1
	v_cmp_gt_i32_e64 s1, s31, v50
	v_cndmask_b32_e64 v2, 0, v2, s1
	v_or_b32_e32 v53, v2, v11
.LBB284_856:                            ;   in Loop: Header=BB284_525 Depth=1
	s_or_b32 exec_lo, exec_lo, s22
	;;#ASMSTART
	v_pk_mul_f16 v2, v41, v56;

	;;#ASMEND
	;;#ASMSTART
	v_pk_mul_f16 v10, v40, v52;

	;;#ASMEND
	;; [unrolled: 4-line block ×4, first 2 shown]
	;;#ASMSTART
	v_pk_add_f16 v2, v2, v10;

	;;#ASMEND
	;;#ASMSTART
	v_pk_add_f16 v2, v2, v11;

	;;#ASMEND
	;; [unrolled: 4-line block ×3, first 2 shown]
	v_and_b32_e32 v10, 0xffff, v2
	v_lshrrev_b32_e32 v2, 16, v2
	;;#ASMSTART
	v_cvt_f32_f16 v48, v10;
	;;#ASMEND
	;;#ASMSTART
	v_cvt_f32_f16 v49, v2;
	;;#ASMEND
	global_load_dwordx2 v[10:11], v[8:9], off offset:1280
	v_mov_b32_e32 v51, 0
	v_mov_b32_e32 v52, 0
	global_load_dword v50, v51, s[14:15]
	s_waitcnt vmcnt(1)
	v_cmp_ne_u16_sdwa s1, v10, v3 src0_sel:BYTE_0 src1_sel:DWORD
	s_and_saveexec_b32 s22, s1
	s_cbranch_execz .LBB284_864
; %bb.857:                              ;   in Loop: Header=BB284_525 Depth=1
	v_cmp_ne_u16_sdwa s1, v10, v27 src0_sel:BYTE_0 src1_sel:DWORD
	v_mov_b32_e32 v52, 0x8000
	s_and_saveexec_b32 s24, s1
	s_cbranch_execz .LBB284_863
; %bb.858:                              ;   in Loop: Header=BB284_525 Depth=1
	v_and_b32_e32 v53, 0x7f, v10
	v_mov_b32_e32 v52, 0x7c01
	s_mov_b32 s25, exec_lo
	v_cmpx_ne_u32_e32 0x7f, v53
	s_cbranch_execz .LBB284_862
; %bb.859:                              ;   in Loop: Header=BB284_525 Depth=1
	v_and_b32_e32 v2, 7, v10
	v_lshrrev_b32_e32 v52, 3, v53
	s_mov_b32 s26, exec_lo
	v_cmpx_gt_u32_e32 8, v53
; %bb.860:                              ;   in Loop: Header=BB284_525 Depth=1
	v_ffbh_u32_e32 v2, v2
	v_min_u32_e32 v2, 32, v2
	v_subrev_nc_u32_e32 v13, 28, v2
	v_sub_nc_u32_e32 v52, 29, v2
	v_lshlrev_b64 v[13:14], v13, v[10:11]
	v_and_b32_e32 v2, 7, v13
; %bb.861:                              ;   in Loop: Header=BB284_525 Depth=1
	s_or_b32 exec_lo, exec_lo, s26
	v_lshlrev_b32_e32 v13, 8, v10
	v_lshl_add_u32 v14, v52, 10, 0x2000
	v_lshlrev_b32_e32 v2, 7, v2
	v_and_b32_e32 v13, 0x8000, v13
	v_and_b32_e32 v14, 0xfc00, v14
	v_or3_b32 v52, v13, v14, v2
.LBB284_862:                            ;   in Loop: Header=BB284_525 Depth=1
	s_or_b32 exec_lo, exec_lo, s25
.LBB284_863:                            ;   in Loop: Header=BB284_525 Depth=1
	s_or_b32 exec_lo, exec_lo, s24
.LBB284_864:                            ;   in Loop: Header=BB284_525 Depth=1
	s_or_b32 exec_lo, exec_lo, s22
	v_lshrrev_b16 v2, 8, v10
	s_mov_b32 s22, exec_lo
	v_cmpx_ne_u16_e32 0, v2
	s_cbranch_execz .LBB284_872
; %bb.865:                              ;   in Loop: Header=BB284_525 Depth=1
	v_bfrev_b32_e32 v51, 1
	s_mov_b32 s24, exec_lo
	v_cmpx_ne_u16_e32 0x80, v2
	s_cbranch_execz .LBB284_871
; %bb.866:                              ;   in Loop: Header=BB284_525 Depth=1
	v_and_b32_sdwa v54, v2, v28 dst_sel:DWORD dst_unused:UNUSED_PAD src0_sel:WORD_0 src1_sel:DWORD
	v_mov_b32_e32 v51, 0x7c010000
	s_mov_b32 s25, exec_lo
	v_cmpx_ne_u32_e32 0x7f, v54
	s_cbranch_execz .LBB284_870
; %bb.867:                              ;   in Loop: Header=BB284_525 Depth=1
	v_and_b32_sdwa v51, v2, v29 dst_sel:DWORD dst_unused:UNUSED_PAD src0_sel:WORD_0 src1_sel:DWORD
	v_lshrrev_b32_e32 v53, 3, v54
	s_mov_b32 s26, exec_lo
	v_cmpx_gt_u32_e32 8, v54
; %bb.868:                              ;   in Loop: Header=BB284_525 Depth=1
	v_ffbh_u32_e32 v13, v51
	v_min_u32_e32 v51, 32, v13
	v_subrev_nc_u32_e32 v13, 28, v51
	v_sub_nc_u32_e32 v53, 29, v51
	v_lshlrev_b64 v[13:14], v13, v[2:3]
	v_and_b32_e32 v51, 7, v13
; %bb.869:                              ;   in Loop: Header=BB284_525 Depth=1
	s_or_b32 exec_lo, exec_lo, s26
	v_lshlrev_b32_sdwa v2, v30, v2 dst_sel:DWORD dst_unused:UNUSED_PAD src0_sel:DWORD src1_sel:WORD_0
	v_lshl_add_u32 v13, v53, 10, 0x2000
	v_and_or_b32 v2, 0x8000, v2, v13
	v_lshlrev_b32_e32 v13, 23, v51
	v_lshl_or_b32 v51, v2, 16, v13
.LBB284_870:                            ;   in Loop: Header=BB284_525 Depth=1
	s_or_b32 exec_lo, exec_lo, s25
.LBB284_871:                            ;   in Loop: Header=BB284_525 Depth=1
	s_or_b32 exec_lo, exec_lo, s24
.LBB284_872:                            ;   in Loop: Header=BB284_525 Depth=1
	s_or_b32 exec_lo, exec_lo, s22
	v_lshrrev_b32_e32 v2, 16, v10
	v_mov_b32_e32 v53, 0
	v_mov_b32_e32 v54, 0
	v_cmp_ne_u16_sdwa s1, v2, v3 src0_sel:BYTE_0 src1_sel:DWORD
	s_and_saveexec_b32 s22, s1
	s_cbranch_execz .LBB284_880
; %bb.873:                              ;   in Loop: Header=BB284_525 Depth=1
	v_cmp_ne_u16_sdwa s1, v2, v27 src0_sel:BYTE_0 src1_sel:DWORD
	v_mov_b32_e32 v54, 0x8000
	s_and_saveexec_b32 s24, s1
	s_cbranch_execz .LBB284_879
; %bb.874:                              ;   in Loop: Header=BB284_525 Depth=1
	v_bfe_u32 v56, v10, 16, 7
	v_mov_b32_e32 v54, 0x7c01
	s_mov_b32 s25, exec_lo
	v_cmpx_ne_u32_e32 0x7f, v56
	s_cbranch_execz .LBB284_878
; %bb.875:                              ;   in Loop: Header=BB284_525 Depth=1
	v_and_b32_e32 v54, 7, v2
	v_lshrrev_b32_e32 v55, 3, v56
	s_mov_b32 s26, exec_lo
	v_cmpx_gt_u32_e32 8, v56
; %bb.876:                              ;   in Loop: Header=BB284_525 Depth=1
	v_ffbh_u32_e32 v13, v54
	v_min_u32_e32 v54, 32, v13
	v_subrev_nc_u32_e32 v13, 28, v54
	v_sub_nc_u32_e32 v55, 29, v54
	v_lshlrev_b64 v[13:14], v13, v[2:3]
	v_and_b32_e32 v54, 7, v13
; %bb.877:                              ;   in Loop: Header=BB284_525 Depth=1
	s_or_b32 exec_lo, exec_lo, s26
	v_lshlrev_b32_e32 v2, 8, v2
	v_lshl_add_u32 v13, v55, 10, 0x2000
	v_lshlrev_b32_e32 v14, 7, v54
	v_and_b32_e32 v2, 0x8000, v2
	v_and_b32_e32 v13, 0xfc00, v13
	v_or3_b32 v54, v2, v13, v14
.LBB284_878:                            ;   in Loop: Header=BB284_525 Depth=1
	s_or_b32 exec_lo, exec_lo, s25
.LBB284_879:                            ;   in Loop: Header=BB284_525 Depth=1
	s_or_b32 exec_lo, exec_lo, s24
.LBB284_880:                            ;   in Loop: Header=BB284_525 Depth=1
	s_or_b32 exec_lo, exec_lo, s22
	s_mov_b32 s22, exec_lo
	v_cmpx_lt_u32_e32 0xffffff, v10
	s_cbranch_execz .LBB284_888
; %bb.881:                              ;   in Loop: Header=BB284_525 Depth=1
	v_lshrrev_b32_e32 v2, 24, v10
	v_bfrev_b32_e32 v53, 1
	s_mov_b32 s24, exec_lo
	v_cmpx_ne_u32_e32 0x80, v2
	s_cbranch_execz .LBB284_887
; %bb.882:                              ;   in Loop: Header=BB284_525 Depth=1
	v_and_b32_e32 v56, 0x7f, v2
	v_mov_b32_e32 v53, 0x7c010000
	s_mov_b32 s25, exec_lo
	v_cmpx_ne_u32_e32 0x7f, v56
	s_cbranch_execz .LBB284_886
; %bb.883:                              ;   in Loop: Header=BB284_525 Depth=1
	v_and_b32_e32 v53, 7, v2
	v_lshrrev_b32_e32 v55, 3, v56
	s_mov_b32 s26, exec_lo
	v_cmpx_gt_u32_e32 8, v56
; %bb.884:                              ;   in Loop: Header=BB284_525 Depth=1
	v_ffbh_u32_e32 v13, v53
	v_min_u32_e32 v53, 32, v13
	v_subrev_nc_u32_e32 v13, 28, v53
	v_sub_nc_u32_e32 v55, 29, v53
	v_lshlrev_b64 v[13:14], v13, v[2:3]
	v_and_b32_e32 v53, 7, v13
; %bb.885:                              ;   in Loop: Header=BB284_525 Depth=1
	s_or_b32 exec_lo, exec_lo, s26
	v_lshlrev_b32_e32 v2, 8, v2
	v_lshl_add_u32 v13, v55, 10, 0x2000
	v_and_or_b32 v2, 0x8000, v2, v13
	v_lshlrev_b32_e32 v13, 23, v53
	v_lshl_or_b32 v53, v2, 16, v13
.LBB284_886:                            ;   in Loop: Header=BB284_525 Depth=1
	s_or_b32 exec_lo, exec_lo, s25
.LBB284_887:                            ;   in Loop: Header=BB284_525 Depth=1
	s_or_b32 exec_lo, exec_lo, s24
.LBB284_888:                            ;   in Loop: Header=BB284_525 Depth=1
	s_or_b32 exec_lo, exec_lo, s22
	v_mov_b32_e32 v2, v11
	v_cmp_ne_u16_sdwa s1, v11, v3 src0_sel:BYTE_0 src1_sel:DWORD
	v_mov_b32_e32 v55, 0
	v_mov_b32_e32 v56, 0
	s_and_saveexec_b32 s22, s1
	s_cbranch_execz .LBB284_896
; %bb.889:                              ;   in Loop: Header=BB284_525 Depth=1
	v_cmp_ne_u16_sdwa s1, v11, v27 src0_sel:BYTE_0 src1_sel:DWORD
	v_mov_b32_e32 v56, 0x8000
	s_and_saveexec_b32 s24, s1
	s_cbranch_execz .LBB284_895
; %bb.890:                              ;   in Loop: Header=BB284_525 Depth=1
	v_and_b32_e32 v58, 0x7f, v11
	v_mov_b32_e32 v56, 0x7c01
	s_mov_b32 s25, exec_lo
	v_cmpx_ne_u32_e32 0x7f, v58
	s_cbranch_execz .LBB284_894
; %bb.891:                              ;   in Loop: Header=BB284_525 Depth=1
	v_and_b32_e32 v56, 7, v11
	v_lshrrev_b32_e32 v57, 3, v58
	s_mov_b32 s26, exec_lo
	v_cmpx_gt_u32_e32 8, v58
; %bb.892:                              ;   in Loop: Header=BB284_525 Depth=1
	v_ffbh_u32_e32 v13, v56
	v_min_u32_e32 v56, 32, v13
	v_subrev_nc_u32_e32 v13, 28, v56
	v_sub_nc_u32_e32 v57, 29, v56
	v_lshlrev_b64 v[13:14], v13, v[2:3]
	v_and_b32_e32 v56, 7, v13
; %bb.893:                              ;   in Loop: Header=BB284_525 Depth=1
	s_or_b32 exec_lo, exec_lo, s26
	v_lshlrev_b32_e32 v13, 8, v11
	v_lshl_add_u32 v14, v57, 10, 0x2000
	v_lshlrev_b32_e32 v56, 7, v56
	v_and_b32_e32 v13, 0x8000, v13
	v_and_b32_e32 v14, 0xfc00, v14
	v_or3_b32 v56, v13, v14, v56
.LBB284_894:                            ;   in Loop: Header=BB284_525 Depth=1
	s_or_b32 exec_lo, exec_lo, s25
.LBB284_895:                            ;   in Loop: Header=BB284_525 Depth=1
	s_or_b32 exec_lo, exec_lo, s24
.LBB284_896:                            ;   in Loop: Header=BB284_525 Depth=1
	s_or_b32 exec_lo, exec_lo, s22
	v_lshrrev_b16 v2, 8, v2
	v_mov_b32_e32 v57, 0
	s_mov_b32 s22, exec_lo
	v_cmpx_ne_u16_e32 0, v2
	s_cbranch_execz .LBB284_904
; %bb.897:                              ;   in Loop: Header=BB284_525 Depth=1
	v_bfrev_b32_e32 v57, 1
	s_mov_b32 s24, exec_lo
	v_cmpx_ne_u16_e32 0x80, v2
	s_cbranch_execz .LBB284_903
; %bb.898:                              ;   in Loop: Header=BB284_525 Depth=1
	v_and_b32_sdwa v59, v2, v28 dst_sel:DWORD dst_unused:UNUSED_PAD src0_sel:WORD_0 src1_sel:DWORD
	v_mov_b32_e32 v57, 0x7c010000
	s_mov_b32 s25, exec_lo
	v_cmpx_ne_u32_e32 0x7f, v59
	s_cbranch_execz .LBB284_902
; %bb.899:                              ;   in Loop: Header=BB284_525 Depth=1
	v_and_b32_sdwa v57, v2, v29 dst_sel:DWORD dst_unused:UNUSED_PAD src0_sel:WORD_0 src1_sel:DWORD
	v_lshrrev_b32_e32 v58, 3, v59
	s_mov_b32 s26, exec_lo
	v_cmpx_gt_u32_e32 8, v59
; %bb.900:                              ;   in Loop: Header=BB284_525 Depth=1
	v_ffbh_u32_e32 v13, v57
	v_min_u32_e32 v57, 32, v13
	v_subrev_nc_u32_e32 v13, 28, v57
	v_sub_nc_u32_e32 v58, 29, v57
	v_lshlrev_b64 v[13:14], v13, v[2:3]
	v_and_b32_e32 v57, 7, v13
; %bb.901:                              ;   in Loop: Header=BB284_525 Depth=1
	s_or_b32 exec_lo, exec_lo, s26
	v_lshlrev_b32_sdwa v2, v30, v2 dst_sel:DWORD dst_unused:UNUSED_PAD src0_sel:DWORD src1_sel:WORD_0
	v_lshl_add_u32 v13, v58, 10, 0x2000
	v_and_or_b32 v2, 0x8000, v2, v13
	v_lshlrev_b32_e32 v13, 23, v57
	v_lshl_or_b32 v57, v2, 16, v13
.LBB284_902:                            ;   in Loop: Header=BB284_525 Depth=1
	s_or_b32 exec_lo, exec_lo, s25
.LBB284_903:                            ;   in Loop: Header=BB284_525 Depth=1
	s_or_b32 exec_lo, exec_lo, s24
.LBB284_904:                            ;   in Loop: Header=BB284_525 Depth=1
	s_or_b32 exec_lo, exec_lo, s22
	v_lshrrev_b32_e32 v2, 16, v11
	v_cmp_ne_u16_sdwa s1, v2, v3 src0_sel:BYTE_0 src1_sel:DWORD
	s_and_saveexec_b32 s22, s1
	s_cbranch_execz .LBB284_912
; %bb.905:                              ;   in Loop: Header=BB284_525 Depth=1
	v_cmp_ne_u16_sdwa s1, v2, v27 src0_sel:BYTE_0 src1_sel:DWORD
	v_mov_b32_e32 v55, 0x8000
	s_and_saveexec_b32 s24, s1
	s_cbranch_execz .LBB284_911
; %bb.906:                              ;   in Loop: Header=BB284_525 Depth=1
	v_bfe_u32 v59, v11, 16, 7
	v_mov_b32_e32 v55, 0x7c01
	s_mov_b32 s25, exec_lo
	v_cmpx_ne_u32_e32 0x7f, v59
	s_cbranch_execz .LBB284_910
; %bb.907:                              ;   in Loop: Header=BB284_525 Depth=1
	v_and_b32_e32 v55, 7, v2
	v_lshrrev_b32_e32 v58, 3, v59
	s_mov_b32 s26, exec_lo
	v_cmpx_gt_u32_e32 8, v59
; %bb.908:                              ;   in Loop: Header=BB284_525 Depth=1
	v_ffbh_u32_e32 v13, v55
	v_min_u32_e32 v55, 32, v13
	v_subrev_nc_u32_e32 v13, 28, v55
	v_sub_nc_u32_e32 v58, 29, v55
	v_lshlrev_b64 v[13:14], v13, v[2:3]
	v_and_b32_e32 v55, 7, v13
; %bb.909:                              ;   in Loop: Header=BB284_525 Depth=1
	s_or_b32 exec_lo, exec_lo, s26
	v_lshlrev_b32_e32 v2, 8, v2
	v_lshl_add_u32 v13, v58, 10, 0x2000
	v_lshlrev_b32_e32 v14, 7, v55
	v_and_b32_e32 v2, 0x8000, v2
	v_and_b32_e32 v13, 0xfc00, v13
	v_or3_b32 v55, v2, v13, v14
.LBB284_910:                            ;   in Loop: Header=BB284_525 Depth=1
	s_or_b32 exec_lo, exec_lo, s25
.LBB284_911:                            ;   in Loop: Header=BB284_525 Depth=1
	s_or_b32 exec_lo, exec_lo, s24
.LBB284_912:                            ;   in Loop: Header=BB284_525 Depth=1
	s_or_b32 exec_lo, exec_lo, s22
	v_cmp_lt_u64_e64 s1, s[6:7], v[10:11]
	v_mov_b32_e32 v10, 0
	s_and_saveexec_b32 s22, s1
	s_cbranch_execz .LBB284_920
; %bb.913:                              ;   in Loop: Header=BB284_525 Depth=1
	v_lshrrev_b32_e32 v2, 24, v11
	v_bfrev_b32_e32 v10, 1
	s_mov_b32 s24, exec_lo
	v_cmpx_ne_u32_e32 0x80, v2
	s_cbranch_execz .LBB284_919
; %bb.914:                              ;   in Loop: Header=BB284_525 Depth=1
	v_and_b32_e32 v58, 0x7f, v2
	v_mov_b32_e32 v10, 0x7c010000
	s_mov_b32 s25, exec_lo
	v_cmpx_ne_u32_e32 0x7f, v58
	s_cbranch_execz .LBB284_918
; %bb.915:                              ;   in Loop: Header=BB284_525 Depth=1
	v_and_b32_e32 v10, 7, v2
	v_lshrrev_b32_e32 v11, 3, v58
	s_mov_b32 s26, exec_lo
	v_cmpx_gt_u32_e32 8, v58
; %bb.916:                              ;   in Loop: Header=BB284_525 Depth=1
	v_ffbh_u32_e32 v10, v10
	v_min_u32_e32 v13, 32, v10
	v_subrev_nc_u32_e32 v10, 28, v13
	v_lshlrev_b64 v[10:11], v10, v[2:3]
	v_sub_nc_u32_e32 v11, 29, v13
	v_and_b32_e32 v10, 7, v10
; %bb.917:                              ;   in Loop: Header=BB284_525 Depth=1
	s_or_b32 exec_lo, exec_lo, s26
	v_lshlrev_b32_e32 v2, 8, v2
	v_lshl_add_u32 v11, v11, 10, 0x2000
	v_lshlrev_b32_e32 v10, 23, v10
	v_and_or_b32 v2, 0x8000, v2, v11
	v_lshl_or_b32 v10, v2, 16, v10
.LBB284_918:                            ;   in Loop: Header=BB284_525 Depth=1
	s_or_b32 exec_lo, exec_lo, s25
.LBB284_919:                            ;   in Loop: Header=BB284_525 Depth=1
	s_or_b32 exec_lo, exec_lo, s24
.LBB284_920:                            ;   in Loop: Header=BB284_525 Depth=1
	s_or_b32 exec_lo, exec_lo, s22
	v_or_b32_e32 v2, v53, v54
	s_waitcnt vmcnt(0)
	v_fma_mixlo_f16 v11, v50, v53, 0 op_sel:[0,1,0] op_sel_hi:[0,1,0]
	v_or_b32_e32 v13, v51, v52
	v_fma_mixlo_f16 v14, v50, v51, 0 op_sel:[0,1,0] op_sel_hi:[0,1,0]
	v_or_b32_e32 v54, v57, v56
	v_fma_mixlo_f16 v2, v50, v2, 0 op_sel_hi:[0,1,0]
	v_or_b32_e32 v55, v10, v55
	v_lshlrev_b32_e32 v51, 16, v11
	v_lshlrev_b32_e32 v53, 16, v14
	v_fma_mixlo_f16 v11, v50, v13, 0 op_sel_hi:[0,1,0]
	v_and_b32_e32 v52, 0xffff, v2
	v_fma_mixlo_f16 v2, v50, v57, 0 op_sel:[0,1,0] op_sel_hi:[0,1,0]
	v_fma_mixlo_f16 v13, v50, v54, 0 op_sel_hi:[0,1,0]
	v_fma_mixlo_f16 v14, v50, v10, 0 op_sel:[0,1,0] op_sel_hi:[0,1,0]
	v_fma_mixlo_f16 v54, v50, v55, 0 op_sel_hi:[0,1,0]
	v_and_b32_e32 v57, 0xffff, v11
	v_lshlrev_b32_e32 v10, 16, v2
	v_and_b32_e32 v50, 0xffff, v13
	v_lshlrev_b32_e32 v2, 16, v14
	v_and_b32_e32 v11, 0xffff, v54
	v_or_b32_e32 v54, v51, v52
	v_or_b32_e32 v58, v53, v57
	;; [unrolled: 1-line block ×4, first 2 shown]
	s_and_saveexec_b32 s22, s0
	s_cbranch_execz .LBB284_922
; %bb.921:                              ;   in Loop: Header=BB284_525 Depth=1
	v_add_nc_u32_e32 v13, 1, v35
	v_cmp_gt_i32_e64 s1, s31, v35
	v_add_nc_u32_e32 v14, 2, v35
	v_add_nc_u32_e32 v55, 3, v35
	v_cndmask_b32_e64 v54, 0, v57, s1
	v_cmp_gt_i32_e64 s1, s31, v13
	v_cndmask_b32_e64 v13, 0, v53, s1
	v_cmp_gt_i32_e64 s1, s31, v14
	v_add_nc_u32_e32 v53, 5, v35
	v_or_b32_e32 v58, v13, v54
	v_cndmask_b32_e64 v14, 0, v52, s1
	v_add_nc_u32_e32 v52, 4, v35
	v_cmp_gt_i32_e64 s1, s31, v55
	v_add_nc_u32_e32 v55, 6, v35
	v_cndmask_b32_e64 v51, 0, v51, s1
	v_cmp_gt_i32_e64 s1, s31, v52
	v_add_nc_u32_e32 v52, 7, v35
	v_or_b32_e32 v54, v51, v14
	v_cndmask_b32_e64 v50, 0, v50, s1
	v_cmp_gt_i32_e64 s1, s31, v53
	v_cndmask_b32_e64 v10, 0, v10, s1
	v_cmp_gt_i32_e64 s1, s31, v55
	v_or_b32_e32 v56, v10, v50
	v_cndmask_b32_e64 v11, 0, v11, s1
	v_cmp_gt_i32_e64 s1, s31, v52
	v_cndmask_b32_e64 v2, 0, v2, s1
	v_or_b32_e32 v55, v2, v11
.LBB284_922:                            ;   in Loop: Header=BB284_525 Depth=1
	s_or_b32 exec_lo, exec_lo, s22
	;;#ASMSTART
	v_pk_mul_f16 v2, v41, v58;

	;;#ASMEND
	;;#ASMSTART
	v_pk_mul_f16 v10, v40, v54;

	;;#ASMEND
	;; [unrolled: 4-line block ×4, first 2 shown]
	;;#ASMSTART
	v_pk_add_f16 v2, v2, v10;

	;;#ASMEND
	;;#ASMSTART
	v_pk_add_f16 v2, v2, v11;

	;;#ASMEND
	;; [unrolled: 4-line block ×3, first 2 shown]
	v_and_b32_e32 v10, 0xffff, v2
	v_lshrrev_b32_e32 v2, 16, v2
	;;#ASMSTART
	v_cvt_f32_f16 v10, v10;
	;;#ASMEND
	;;#ASMSTART
	v_cvt_f32_f16 v11, v2;
	;;#ASMEND
	global_load_dwordx2 v[8:9], v[8:9], off offset:1536
	v_mov_b32_e32 v51, 0
	v_mov_b32_e32 v52, 0
	global_load_dword v50, v51, s[14:15]
	s_waitcnt vmcnt(1)
	v_cmp_ne_u16_sdwa s1, v8, v3 src0_sel:BYTE_0 src1_sel:DWORD
	s_and_saveexec_b32 s22, s1
	s_cbranch_execz .LBB284_930
; %bb.923:                              ;   in Loop: Header=BB284_525 Depth=1
	v_cmp_ne_u16_sdwa s1, v8, v27 src0_sel:BYTE_0 src1_sel:DWORD
	v_mov_b32_e32 v52, 0x8000
	s_and_saveexec_b32 s24, s1
	s_cbranch_execz .LBB284_929
; %bb.924:                              ;   in Loop: Header=BB284_525 Depth=1
	v_and_b32_e32 v53, 0x7f, v8
	v_mov_b32_e32 v52, 0x7c01
	s_mov_b32 s25, exec_lo
	v_cmpx_ne_u32_e32 0x7f, v53
	s_cbranch_execz .LBB284_928
; %bb.925:                              ;   in Loop: Header=BB284_525 Depth=1
	v_and_b32_e32 v2, 7, v8
	v_lshrrev_b32_e32 v52, 3, v53
	s_mov_b32 s26, exec_lo
	v_cmpx_gt_u32_e32 8, v53
; %bb.926:                              ;   in Loop: Header=BB284_525 Depth=1
	v_ffbh_u32_e32 v2, v2
	v_min_u32_e32 v2, 32, v2
	v_subrev_nc_u32_e32 v13, 28, v2
	v_sub_nc_u32_e32 v52, 29, v2
	v_lshlrev_b64 v[13:14], v13, v[8:9]
	v_and_b32_e32 v2, 7, v13
; %bb.927:                              ;   in Loop: Header=BB284_525 Depth=1
	s_or_b32 exec_lo, exec_lo, s26
	v_lshlrev_b32_e32 v13, 8, v8
	v_lshl_add_u32 v14, v52, 10, 0x2000
	v_lshlrev_b32_e32 v2, 7, v2
	v_and_b32_e32 v13, 0x8000, v13
	v_and_b32_e32 v14, 0xfc00, v14
	v_or3_b32 v52, v13, v14, v2
.LBB284_928:                            ;   in Loop: Header=BB284_525 Depth=1
	s_or_b32 exec_lo, exec_lo, s25
.LBB284_929:                            ;   in Loop: Header=BB284_525 Depth=1
	s_or_b32 exec_lo, exec_lo, s24
.LBB284_930:                            ;   in Loop: Header=BB284_525 Depth=1
	s_or_b32 exec_lo, exec_lo, s22
	v_lshrrev_b16 v2, 8, v8
	s_mov_b32 s22, exec_lo
	v_cmpx_ne_u16_e32 0, v2
	s_cbranch_execz .LBB284_938
; %bb.931:                              ;   in Loop: Header=BB284_525 Depth=1
	v_bfrev_b32_e32 v51, 1
	s_mov_b32 s24, exec_lo
	v_cmpx_ne_u16_e32 0x80, v2
	s_cbranch_execz .LBB284_937
; %bb.932:                              ;   in Loop: Header=BB284_525 Depth=1
	v_and_b32_sdwa v54, v2, v28 dst_sel:DWORD dst_unused:UNUSED_PAD src0_sel:WORD_0 src1_sel:DWORD
	v_mov_b32_e32 v51, 0x7c010000
	s_mov_b32 s25, exec_lo
	v_cmpx_ne_u32_e32 0x7f, v54
	s_cbranch_execz .LBB284_936
; %bb.933:                              ;   in Loop: Header=BB284_525 Depth=1
	v_and_b32_sdwa v51, v2, v29 dst_sel:DWORD dst_unused:UNUSED_PAD src0_sel:WORD_0 src1_sel:DWORD
	v_lshrrev_b32_e32 v53, 3, v54
	s_mov_b32 s26, exec_lo
	v_cmpx_gt_u32_e32 8, v54
; %bb.934:                              ;   in Loop: Header=BB284_525 Depth=1
	v_ffbh_u32_e32 v13, v51
	v_min_u32_e32 v51, 32, v13
	v_subrev_nc_u32_e32 v13, 28, v51
	v_sub_nc_u32_e32 v53, 29, v51
	v_lshlrev_b64 v[13:14], v13, v[2:3]
	v_and_b32_e32 v51, 7, v13
; %bb.935:                              ;   in Loop: Header=BB284_525 Depth=1
	s_or_b32 exec_lo, exec_lo, s26
	v_lshlrev_b32_sdwa v2, v30, v2 dst_sel:DWORD dst_unused:UNUSED_PAD src0_sel:DWORD src1_sel:WORD_0
	v_lshl_add_u32 v13, v53, 10, 0x2000
	v_and_or_b32 v2, 0x8000, v2, v13
	v_lshlrev_b32_e32 v13, 23, v51
	v_lshl_or_b32 v51, v2, 16, v13
.LBB284_936:                            ;   in Loop: Header=BB284_525 Depth=1
	s_or_b32 exec_lo, exec_lo, s25
.LBB284_937:                            ;   in Loop: Header=BB284_525 Depth=1
	s_or_b32 exec_lo, exec_lo, s24
.LBB284_938:                            ;   in Loop: Header=BB284_525 Depth=1
	s_or_b32 exec_lo, exec_lo, s22
	v_lshrrev_b32_e32 v2, 16, v8
	v_mov_b32_e32 v53, 0
	v_mov_b32_e32 v54, 0
	v_cmp_ne_u16_sdwa s1, v2, v3 src0_sel:BYTE_0 src1_sel:DWORD
	s_and_saveexec_b32 s22, s1
	s_cbranch_execz .LBB284_946
; %bb.939:                              ;   in Loop: Header=BB284_525 Depth=1
	v_cmp_ne_u16_sdwa s1, v2, v27 src0_sel:BYTE_0 src1_sel:DWORD
	v_mov_b32_e32 v54, 0x8000
	s_and_saveexec_b32 s24, s1
	s_cbranch_execz .LBB284_945
; %bb.940:                              ;   in Loop: Header=BB284_525 Depth=1
	v_bfe_u32 v56, v8, 16, 7
	v_mov_b32_e32 v54, 0x7c01
	s_mov_b32 s25, exec_lo
	v_cmpx_ne_u32_e32 0x7f, v56
	s_cbranch_execz .LBB284_944
; %bb.941:                              ;   in Loop: Header=BB284_525 Depth=1
	v_and_b32_e32 v54, 7, v2
	v_lshrrev_b32_e32 v55, 3, v56
	s_mov_b32 s26, exec_lo
	v_cmpx_gt_u32_e32 8, v56
; %bb.942:                              ;   in Loop: Header=BB284_525 Depth=1
	v_ffbh_u32_e32 v13, v54
	v_min_u32_e32 v54, 32, v13
	v_subrev_nc_u32_e32 v13, 28, v54
	v_sub_nc_u32_e32 v55, 29, v54
	v_lshlrev_b64 v[13:14], v13, v[2:3]
	v_and_b32_e32 v54, 7, v13
; %bb.943:                              ;   in Loop: Header=BB284_525 Depth=1
	s_or_b32 exec_lo, exec_lo, s26
	v_lshlrev_b32_e32 v2, 8, v2
	v_lshl_add_u32 v13, v55, 10, 0x2000
	v_lshlrev_b32_e32 v14, 7, v54
	v_and_b32_e32 v2, 0x8000, v2
	v_and_b32_e32 v13, 0xfc00, v13
	v_or3_b32 v54, v2, v13, v14
.LBB284_944:                            ;   in Loop: Header=BB284_525 Depth=1
	s_or_b32 exec_lo, exec_lo, s25
.LBB284_945:                            ;   in Loop: Header=BB284_525 Depth=1
	s_or_b32 exec_lo, exec_lo, s24
.LBB284_946:                            ;   in Loop: Header=BB284_525 Depth=1
	s_or_b32 exec_lo, exec_lo, s22
	s_mov_b32 s22, exec_lo
	v_cmpx_lt_u32_e32 0xffffff, v8
	s_cbranch_execz .LBB284_954
; %bb.947:                              ;   in Loop: Header=BB284_525 Depth=1
	v_lshrrev_b32_e32 v2, 24, v8
	v_bfrev_b32_e32 v53, 1
	s_mov_b32 s24, exec_lo
	v_cmpx_ne_u32_e32 0x80, v2
	s_cbranch_execz .LBB284_953
; %bb.948:                              ;   in Loop: Header=BB284_525 Depth=1
	v_and_b32_e32 v56, 0x7f, v2
	v_mov_b32_e32 v53, 0x7c010000
	s_mov_b32 s25, exec_lo
	v_cmpx_ne_u32_e32 0x7f, v56
	s_cbranch_execz .LBB284_952
; %bb.949:                              ;   in Loop: Header=BB284_525 Depth=1
	v_and_b32_e32 v53, 7, v2
	v_lshrrev_b32_e32 v55, 3, v56
	s_mov_b32 s26, exec_lo
	v_cmpx_gt_u32_e32 8, v56
; %bb.950:                              ;   in Loop: Header=BB284_525 Depth=1
	v_ffbh_u32_e32 v13, v53
	v_min_u32_e32 v53, 32, v13
	v_subrev_nc_u32_e32 v13, 28, v53
	v_sub_nc_u32_e32 v55, 29, v53
	v_lshlrev_b64 v[13:14], v13, v[2:3]
	v_and_b32_e32 v53, 7, v13
; %bb.951:                              ;   in Loop: Header=BB284_525 Depth=1
	s_or_b32 exec_lo, exec_lo, s26
	v_lshlrev_b32_e32 v2, 8, v2
	v_lshl_add_u32 v13, v55, 10, 0x2000
	v_and_or_b32 v2, 0x8000, v2, v13
	v_lshlrev_b32_e32 v13, 23, v53
	v_lshl_or_b32 v53, v2, 16, v13
.LBB284_952:                            ;   in Loop: Header=BB284_525 Depth=1
	s_or_b32 exec_lo, exec_lo, s25
.LBB284_953:                            ;   in Loop: Header=BB284_525 Depth=1
	s_or_b32 exec_lo, exec_lo, s24
.LBB284_954:                            ;   in Loop: Header=BB284_525 Depth=1
	s_or_b32 exec_lo, exec_lo, s22
	v_mov_b32_e32 v2, v9
	v_cmp_ne_u16_sdwa s1, v9, v3 src0_sel:BYTE_0 src1_sel:DWORD
	v_mov_b32_e32 v55, 0
	v_mov_b32_e32 v56, 0
	s_and_saveexec_b32 s22, s1
	s_cbranch_execz .LBB284_962
; %bb.955:                              ;   in Loop: Header=BB284_525 Depth=1
	v_cmp_ne_u16_sdwa s1, v9, v27 src0_sel:BYTE_0 src1_sel:DWORD
	v_mov_b32_e32 v56, 0x8000
	s_and_saveexec_b32 s24, s1
	s_cbranch_execz .LBB284_961
; %bb.956:                              ;   in Loop: Header=BB284_525 Depth=1
	v_and_b32_e32 v58, 0x7f, v9
	v_mov_b32_e32 v56, 0x7c01
	s_mov_b32 s25, exec_lo
	v_cmpx_ne_u32_e32 0x7f, v58
	s_cbranch_execz .LBB284_960
; %bb.957:                              ;   in Loop: Header=BB284_525 Depth=1
	v_and_b32_e32 v56, 7, v9
	v_lshrrev_b32_e32 v57, 3, v58
	s_mov_b32 s26, exec_lo
	v_cmpx_gt_u32_e32 8, v58
; %bb.958:                              ;   in Loop: Header=BB284_525 Depth=1
	v_ffbh_u32_e32 v13, v56
	v_min_u32_e32 v56, 32, v13
	v_subrev_nc_u32_e32 v13, 28, v56
	v_sub_nc_u32_e32 v57, 29, v56
	v_lshlrev_b64 v[13:14], v13, v[2:3]
	v_and_b32_e32 v56, 7, v13
; %bb.959:                              ;   in Loop: Header=BB284_525 Depth=1
	s_or_b32 exec_lo, exec_lo, s26
	v_lshlrev_b32_e32 v13, 8, v9
	v_lshl_add_u32 v14, v57, 10, 0x2000
	v_lshlrev_b32_e32 v56, 7, v56
	v_and_b32_e32 v13, 0x8000, v13
	v_and_b32_e32 v14, 0xfc00, v14
	v_or3_b32 v56, v13, v14, v56
.LBB284_960:                            ;   in Loop: Header=BB284_525 Depth=1
	s_or_b32 exec_lo, exec_lo, s25
.LBB284_961:                            ;   in Loop: Header=BB284_525 Depth=1
	s_or_b32 exec_lo, exec_lo, s24
.LBB284_962:                            ;   in Loop: Header=BB284_525 Depth=1
	s_or_b32 exec_lo, exec_lo, s22
	v_lshrrev_b16 v2, 8, v2
	v_mov_b32_e32 v57, 0
	s_mov_b32 s22, exec_lo
	v_cmpx_ne_u16_e32 0, v2
	s_cbranch_execz .LBB284_970
; %bb.963:                              ;   in Loop: Header=BB284_525 Depth=1
	v_bfrev_b32_e32 v57, 1
	s_mov_b32 s24, exec_lo
	v_cmpx_ne_u16_e32 0x80, v2
	s_cbranch_execz .LBB284_969
; %bb.964:                              ;   in Loop: Header=BB284_525 Depth=1
	v_and_b32_sdwa v59, v2, v28 dst_sel:DWORD dst_unused:UNUSED_PAD src0_sel:WORD_0 src1_sel:DWORD
	v_mov_b32_e32 v57, 0x7c010000
	s_mov_b32 s25, exec_lo
	v_cmpx_ne_u32_e32 0x7f, v59
	s_cbranch_execz .LBB284_968
; %bb.965:                              ;   in Loop: Header=BB284_525 Depth=1
	v_and_b32_sdwa v57, v2, v29 dst_sel:DWORD dst_unused:UNUSED_PAD src0_sel:WORD_0 src1_sel:DWORD
	v_lshrrev_b32_e32 v58, 3, v59
	s_mov_b32 s26, exec_lo
	v_cmpx_gt_u32_e32 8, v59
; %bb.966:                              ;   in Loop: Header=BB284_525 Depth=1
	v_ffbh_u32_e32 v13, v57
	v_min_u32_e32 v57, 32, v13
	v_subrev_nc_u32_e32 v13, 28, v57
	v_sub_nc_u32_e32 v58, 29, v57
	v_lshlrev_b64 v[13:14], v13, v[2:3]
	v_and_b32_e32 v57, 7, v13
; %bb.967:                              ;   in Loop: Header=BB284_525 Depth=1
	s_or_b32 exec_lo, exec_lo, s26
	v_lshlrev_b32_sdwa v2, v30, v2 dst_sel:DWORD dst_unused:UNUSED_PAD src0_sel:DWORD src1_sel:WORD_0
	v_lshl_add_u32 v13, v58, 10, 0x2000
	v_and_or_b32 v2, 0x8000, v2, v13
	v_lshlrev_b32_e32 v13, 23, v57
	v_lshl_or_b32 v57, v2, 16, v13
.LBB284_968:                            ;   in Loop: Header=BB284_525 Depth=1
	s_or_b32 exec_lo, exec_lo, s25
.LBB284_969:                            ;   in Loop: Header=BB284_525 Depth=1
	s_or_b32 exec_lo, exec_lo, s24
.LBB284_970:                            ;   in Loop: Header=BB284_525 Depth=1
	s_or_b32 exec_lo, exec_lo, s22
	v_lshrrev_b32_e32 v2, 16, v9
	v_cmp_ne_u16_sdwa s1, v2, v3 src0_sel:BYTE_0 src1_sel:DWORD
	s_and_saveexec_b32 s22, s1
	s_cbranch_execz .LBB284_978
; %bb.971:                              ;   in Loop: Header=BB284_525 Depth=1
	v_cmp_ne_u16_sdwa s1, v2, v27 src0_sel:BYTE_0 src1_sel:DWORD
	v_mov_b32_e32 v55, 0x8000
	s_and_saveexec_b32 s24, s1
	s_cbranch_execz .LBB284_977
; %bb.972:                              ;   in Loop: Header=BB284_525 Depth=1
	v_bfe_u32 v59, v9, 16, 7
	v_mov_b32_e32 v55, 0x7c01
	s_mov_b32 s25, exec_lo
	v_cmpx_ne_u32_e32 0x7f, v59
	s_cbranch_execz .LBB284_976
; %bb.973:                              ;   in Loop: Header=BB284_525 Depth=1
	v_and_b32_e32 v55, 7, v2
	v_lshrrev_b32_e32 v58, 3, v59
	s_mov_b32 s26, exec_lo
	v_cmpx_gt_u32_e32 8, v59
; %bb.974:                              ;   in Loop: Header=BB284_525 Depth=1
	v_ffbh_u32_e32 v13, v55
	v_min_u32_e32 v55, 32, v13
	v_subrev_nc_u32_e32 v13, 28, v55
	v_sub_nc_u32_e32 v58, 29, v55
	v_lshlrev_b64 v[13:14], v13, v[2:3]
	v_and_b32_e32 v55, 7, v13
; %bb.975:                              ;   in Loop: Header=BB284_525 Depth=1
	s_or_b32 exec_lo, exec_lo, s26
	v_lshlrev_b32_e32 v2, 8, v2
	v_lshl_add_u32 v13, v58, 10, 0x2000
	v_lshlrev_b32_e32 v14, 7, v55
	v_and_b32_e32 v2, 0x8000, v2
	v_and_b32_e32 v13, 0xfc00, v13
	v_or3_b32 v55, v2, v13, v14
.LBB284_976:                            ;   in Loop: Header=BB284_525 Depth=1
	s_or_b32 exec_lo, exec_lo, s25
.LBB284_977:                            ;   in Loop: Header=BB284_525 Depth=1
	s_or_b32 exec_lo, exec_lo, s24
.LBB284_978:                            ;   in Loop: Header=BB284_525 Depth=1
	s_or_b32 exec_lo, exec_lo, s22
	v_cmp_lt_u64_e64 s1, s[6:7], v[8:9]
	v_mov_b32_e32 v8, 0
	s_and_saveexec_b32 s22, s1
	s_cbranch_execz .LBB284_986
; %bb.979:                              ;   in Loop: Header=BB284_525 Depth=1
	v_lshrrev_b32_e32 v2, 24, v9
	v_bfrev_b32_e32 v8, 1
	s_mov_b32 s24, exec_lo
	v_cmpx_ne_u32_e32 0x80, v2
	s_cbranch_execz .LBB284_985
; %bb.980:                              ;   in Loop: Header=BB284_525 Depth=1
	v_and_b32_e32 v58, 0x7f, v2
	v_mov_b32_e32 v8, 0x7c010000
	s_mov_b32 s25, exec_lo
	v_cmpx_ne_u32_e32 0x7f, v58
	s_cbranch_execz .LBB284_984
; %bb.981:                              ;   in Loop: Header=BB284_525 Depth=1
	v_and_b32_e32 v8, 7, v2
	v_lshrrev_b32_e32 v9, 3, v58
	s_mov_b32 s26, exec_lo
	v_cmpx_gt_u32_e32 8, v58
; %bb.982:                              ;   in Loop: Header=BB284_525 Depth=1
	v_ffbh_u32_e32 v8, v8
	v_min_u32_e32 v13, 32, v8
	v_subrev_nc_u32_e32 v8, 28, v13
	v_lshlrev_b64 v[8:9], v8, v[2:3]
	v_sub_nc_u32_e32 v9, 29, v13
	v_and_b32_e32 v8, 7, v8
; %bb.983:                              ;   in Loop: Header=BB284_525 Depth=1
	s_or_b32 exec_lo, exec_lo, s26
	v_lshlrev_b32_e32 v2, 8, v2
	v_lshl_add_u32 v9, v9, 10, 0x2000
	v_lshlrev_b32_e32 v8, 23, v8
	v_and_or_b32 v2, 0x8000, v2, v9
	v_lshl_or_b32 v8, v2, 16, v8
.LBB284_984:                            ;   in Loop: Header=BB284_525 Depth=1
	s_or_b32 exec_lo, exec_lo, s25
.LBB284_985:                            ;   in Loop: Header=BB284_525 Depth=1
	s_or_b32 exec_lo, exec_lo, s24
.LBB284_986:                            ;   in Loop: Header=BB284_525 Depth=1
	s_or_b32 exec_lo, exec_lo, s22
	v_or_b32_e32 v2, v53, v54
	s_waitcnt vmcnt(0)
	v_fma_mixlo_f16 v9, v50, v53, 0 op_sel:[0,1,0] op_sel_hi:[0,1,0]
	v_or_b32_e32 v13, v51, v52
	v_fma_mixlo_f16 v14, v50, v51, 0 op_sel:[0,1,0] op_sel_hi:[0,1,0]
	v_or_b32_e32 v54, v57, v56
	v_fma_mixlo_f16 v2, v50, v2, 0 op_sel_hi:[0,1,0]
	v_or_b32_e32 v55, v8, v55
	v_lshlrev_b32_e32 v51, 16, v9
	v_lshlrev_b32_e32 v53, 16, v14
	v_fma_mixlo_f16 v9, v50, v13, 0 op_sel_hi:[0,1,0]
	v_and_b32_e32 v52, 0xffff, v2
	v_fma_mixlo_f16 v2, v50, v57, 0 op_sel:[0,1,0] op_sel_hi:[0,1,0]
	v_fma_mixlo_f16 v13, v50, v54, 0 op_sel_hi:[0,1,0]
	v_fma_mixlo_f16 v14, v50, v8, 0 op_sel:[0,1,0] op_sel_hi:[0,1,0]
	v_fma_mixlo_f16 v54, v50, v55, 0 op_sel_hi:[0,1,0]
	v_and_b32_e32 v57, 0xffff, v9
	v_lshlrev_b32_e32 v8, 16, v2
	v_and_b32_e32 v50, 0xffff, v13
	v_lshlrev_b32_e32 v2, 16, v14
	v_and_b32_e32 v9, 0xffff, v54
	v_or_b32_e32 v54, v51, v52
	v_or_b32_e32 v58, v53, v57
	;; [unrolled: 1-line block ×4, first 2 shown]
	s_and_saveexec_b32 s22, s0
	s_cbranch_execz .LBB284_988
; %bb.987:                              ;   in Loop: Header=BB284_525 Depth=1
	v_add_nc_u32_e32 v13, 1, v35
	v_cmp_gt_i32_e64 s1, s31, v35
	v_add_nc_u32_e32 v14, 2, v35
	v_add_nc_u32_e32 v55, 3, v35
	v_cndmask_b32_e64 v54, 0, v57, s1
	v_cmp_gt_i32_e64 s1, s31, v13
	v_cndmask_b32_e64 v13, 0, v53, s1
	v_cmp_gt_i32_e64 s1, s31, v14
	v_add_nc_u32_e32 v53, 5, v35
	v_or_b32_e32 v58, v13, v54
	v_cndmask_b32_e64 v14, 0, v52, s1
	v_add_nc_u32_e32 v52, 4, v35
	v_cmp_gt_i32_e64 s1, s31, v55
	v_add_nc_u32_e32 v55, 6, v35
	v_cndmask_b32_e64 v51, 0, v51, s1
	v_cmp_gt_i32_e64 s1, s31, v52
	v_add_nc_u32_e32 v52, 7, v35
	v_or_b32_e32 v54, v51, v14
	v_cndmask_b32_e64 v50, 0, v50, s1
	v_cmp_gt_i32_e64 s1, s31, v53
	v_cndmask_b32_e64 v8, 0, v8, s1
	v_cmp_gt_i32_e64 s1, s31, v55
	v_or_b32_e32 v56, v8, v50
	v_cndmask_b32_e64 v9, 0, v9, s1
	v_cmp_gt_i32_e64 s1, s31, v52
	v_cndmask_b32_e64 v2, 0, v2, s1
	v_or_b32_e32 v55, v2, v9
.LBB284_988:                            ;   in Loop: Header=BB284_525 Depth=1
	s_or_b32 exec_lo, exec_lo, s22
	;;#ASMSTART
	v_pk_mul_f16 v2, v41, v58;

	;;#ASMEND
	;;#ASMSTART
	v_pk_mul_f16 v8, v40, v54;

	;;#ASMEND
	;; [unrolled: 4-line block ×4, first 2 shown]
	;;#ASMSTART
	v_pk_add_f16 v2, v2, v8;

	;;#ASMEND
	;;#ASMSTART
	v_pk_add_f16 v2, v2, v9;

	;;#ASMEND
	;; [unrolled: 4-line block ×3, first 2 shown]
	v_and_b32_e32 v8, 0xffff, v2
	v_lshrrev_b32_e32 v2, 16, v2
	;;#ASMSTART
	v_cvt_f32_f16 v8, v8;
	;;#ASMEND
	;;#ASMSTART
	v_cvt_f32_f16 v9, v2;
	;;#ASMEND
	s_and_saveexec_b32 s22, vcc_lo
	s_cbranch_execz .LBB284_523
; %bb.989:                              ;   in Loop: Header=BB284_525 Depth=1
	v_add_co_u32 v6, s1, v6, v32
	v_add_co_ci_u32_e64 v7, null, 0, v7, s1
	v_mov_b32_e32 v51, 0
	v_mov_b32_e32 v52, 0
	global_load_dwordx2 v[6:7], v[6:7], off
	global_load_dword v50, v51, s[14:15]
	s_waitcnt vmcnt(1)
	v_cmp_ne_u16_sdwa s1, v6, v3 src0_sel:BYTE_0 src1_sel:DWORD
	s_and_saveexec_b32 s24, s1
	s_cbranch_execz .LBB284_997
; %bb.990:                              ;   in Loop: Header=BB284_525 Depth=1
	v_cmp_ne_u16_sdwa s1, v6, v27 src0_sel:BYTE_0 src1_sel:DWORD
	v_mov_b32_e32 v52, 0x8000
	s_and_saveexec_b32 s25, s1
	s_cbranch_execz .LBB284_996
; %bb.991:                              ;   in Loop: Header=BB284_525 Depth=1
	v_and_b32_e32 v53, 0x7f, v6
	v_mov_b32_e32 v52, 0x7c01
	s_mov_b32 s26, exec_lo
	v_cmpx_ne_u32_e32 0x7f, v53
	s_cbranch_execz .LBB284_995
; %bb.992:                              ;   in Loop: Header=BB284_525 Depth=1
	v_and_b32_e32 v2, 7, v6
	v_lshrrev_b32_e32 v52, 3, v53
	s_mov_b32 s27, exec_lo
	v_cmpx_gt_u32_e32 8, v53
; %bb.993:                              ;   in Loop: Header=BB284_525 Depth=1
	v_ffbh_u32_e32 v2, v2
	v_min_u32_e32 v2, 32, v2
	v_subrev_nc_u32_e32 v13, 28, v2
	v_sub_nc_u32_e32 v52, 29, v2
	v_lshlrev_b64 v[13:14], v13, v[6:7]
	v_and_b32_e32 v2, 7, v13
; %bb.994:                              ;   in Loop: Header=BB284_525 Depth=1
	s_or_b32 exec_lo, exec_lo, s27
	v_lshlrev_b32_e32 v13, 8, v6
	v_lshl_add_u32 v14, v52, 10, 0x2000
	v_lshlrev_b32_e32 v2, 7, v2
	v_and_b32_e32 v13, 0x8000, v13
	v_and_b32_e32 v14, 0xfc00, v14
	v_or3_b32 v52, v13, v14, v2
.LBB284_995:                            ;   in Loop: Header=BB284_525 Depth=1
	s_or_b32 exec_lo, exec_lo, s26
.LBB284_996:                            ;   in Loop: Header=BB284_525 Depth=1
	s_or_b32 exec_lo, exec_lo, s25
.LBB284_997:                            ;   in Loop: Header=BB284_525 Depth=1
	s_or_b32 exec_lo, exec_lo, s24
	v_lshrrev_b16 v2, 8, v6
	s_mov_b32 s24, exec_lo
	v_cmpx_ne_u16_e32 0, v2
	s_cbranch_execz .LBB284_1005
; %bb.998:                              ;   in Loop: Header=BB284_525 Depth=1
	v_bfrev_b32_e32 v51, 1
	s_mov_b32 s25, exec_lo
	v_cmpx_ne_u16_e32 0x80, v2
	s_cbranch_execz .LBB284_1004
; %bb.999:                              ;   in Loop: Header=BB284_525 Depth=1
	v_and_b32_sdwa v54, v2, v28 dst_sel:DWORD dst_unused:UNUSED_PAD src0_sel:WORD_0 src1_sel:DWORD
	v_mov_b32_e32 v51, 0x7c010000
	s_mov_b32 s26, exec_lo
	v_cmpx_ne_u32_e32 0x7f, v54
	s_cbranch_execz .LBB284_1003
; %bb.1000:                             ;   in Loop: Header=BB284_525 Depth=1
	v_and_b32_sdwa v51, v2, v29 dst_sel:DWORD dst_unused:UNUSED_PAD src0_sel:WORD_0 src1_sel:DWORD
	v_lshrrev_b32_e32 v53, 3, v54
	s_mov_b32 s27, exec_lo
	v_cmpx_gt_u32_e32 8, v54
; %bb.1001:                             ;   in Loop: Header=BB284_525 Depth=1
	v_ffbh_u32_e32 v13, v51
	v_min_u32_e32 v51, 32, v13
	v_subrev_nc_u32_e32 v13, 28, v51
	v_sub_nc_u32_e32 v53, 29, v51
	v_lshlrev_b64 v[13:14], v13, v[2:3]
	v_and_b32_e32 v51, 7, v13
; %bb.1002:                             ;   in Loop: Header=BB284_525 Depth=1
	s_or_b32 exec_lo, exec_lo, s27
	v_lshlrev_b32_sdwa v2, v30, v2 dst_sel:DWORD dst_unused:UNUSED_PAD src0_sel:DWORD src1_sel:WORD_0
	v_lshl_add_u32 v13, v53, 10, 0x2000
	v_and_or_b32 v2, 0x8000, v2, v13
	v_lshlrev_b32_e32 v13, 23, v51
	v_lshl_or_b32 v51, v2, 16, v13
.LBB284_1003:                           ;   in Loop: Header=BB284_525 Depth=1
	s_or_b32 exec_lo, exec_lo, s26
.LBB284_1004:                           ;   in Loop: Header=BB284_525 Depth=1
	s_or_b32 exec_lo, exec_lo, s25
.LBB284_1005:                           ;   in Loop: Header=BB284_525 Depth=1
	s_or_b32 exec_lo, exec_lo, s24
	v_lshrrev_b32_e32 v2, 16, v6
	v_mov_b32_e32 v53, 0
	v_mov_b32_e32 v54, 0
	v_cmp_ne_u16_sdwa s1, v2, v3 src0_sel:BYTE_0 src1_sel:DWORD
	s_and_saveexec_b32 s24, s1
	s_cbranch_execz .LBB284_1013
; %bb.1006:                             ;   in Loop: Header=BB284_525 Depth=1
	v_cmp_ne_u16_sdwa s1, v2, v27 src0_sel:BYTE_0 src1_sel:DWORD
	v_mov_b32_e32 v54, 0x8000
	s_and_saveexec_b32 s25, s1
	s_cbranch_execz .LBB284_1012
; %bb.1007:                             ;   in Loop: Header=BB284_525 Depth=1
	v_bfe_u32 v56, v6, 16, 7
	v_mov_b32_e32 v54, 0x7c01
	s_mov_b32 s26, exec_lo
	v_cmpx_ne_u32_e32 0x7f, v56
	s_cbranch_execz .LBB284_1011
; %bb.1008:                             ;   in Loop: Header=BB284_525 Depth=1
	v_and_b32_e32 v54, 7, v2
	v_lshrrev_b32_e32 v55, 3, v56
	s_mov_b32 s27, exec_lo
	v_cmpx_gt_u32_e32 8, v56
; %bb.1009:                             ;   in Loop: Header=BB284_525 Depth=1
	v_ffbh_u32_e32 v13, v54
	v_min_u32_e32 v54, 32, v13
	v_subrev_nc_u32_e32 v13, 28, v54
	v_sub_nc_u32_e32 v55, 29, v54
	v_lshlrev_b64 v[13:14], v13, v[2:3]
	v_and_b32_e32 v54, 7, v13
; %bb.1010:                             ;   in Loop: Header=BB284_525 Depth=1
	s_or_b32 exec_lo, exec_lo, s27
	v_lshlrev_b32_e32 v2, 8, v2
	v_lshl_add_u32 v13, v55, 10, 0x2000
	v_lshlrev_b32_e32 v14, 7, v54
	v_and_b32_e32 v2, 0x8000, v2
	v_and_b32_e32 v13, 0xfc00, v13
	v_or3_b32 v54, v2, v13, v14
.LBB284_1011:                           ;   in Loop: Header=BB284_525 Depth=1
	s_or_b32 exec_lo, exec_lo, s26
.LBB284_1012:                           ;   in Loop: Header=BB284_525 Depth=1
	s_or_b32 exec_lo, exec_lo, s25
.LBB284_1013:                           ;   in Loop: Header=BB284_525 Depth=1
	s_or_b32 exec_lo, exec_lo, s24
	s_mov_b32 s24, exec_lo
	v_cmpx_lt_u32_e32 0xffffff, v6
	s_cbranch_execz .LBB284_1021
; %bb.1014:                             ;   in Loop: Header=BB284_525 Depth=1
	v_lshrrev_b32_e32 v2, 24, v6
	v_bfrev_b32_e32 v53, 1
	s_mov_b32 s25, exec_lo
	v_cmpx_ne_u32_e32 0x80, v2
	s_cbranch_execz .LBB284_1020
; %bb.1015:                             ;   in Loop: Header=BB284_525 Depth=1
	v_and_b32_e32 v56, 0x7f, v2
	v_mov_b32_e32 v53, 0x7c010000
	s_mov_b32 s26, exec_lo
	v_cmpx_ne_u32_e32 0x7f, v56
	s_cbranch_execz .LBB284_1019
; %bb.1016:                             ;   in Loop: Header=BB284_525 Depth=1
	v_and_b32_e32 v53, 7, v2
	v_lshrrev_b32_e32 v55, 3, v56
	s_mov_b32 s27, exec_lo
	v_cmpx_gt_u32_e32 8, v56
; %bb.1017:                             ;   in Loop: Header=BB284_525 Depth=1
	v_ffbh_u32_e32 v13, v53
	v_min_u32_e32 v53, 32, v13
	v_subrev_nc_u32_e32 v13, 28, v53
	v_sub_nc_u32_e32 v55, 29, v53
	v_lshlrev_b64 v[13:14], v13, v[2:3]
	v_and_b32_e32 v53, 7, v13
; %bb.1018:                             ;   in Loop: Header=BB284_525 Depth=1
	s_or_b32 exec_lo, exec_lo, s27
	v_lshlrev_b32_e32 v2, 8, v2
	v_lshl_add_u32 v13, v55, 10, 0x2000
	v_and_or_b32 v2, 0x8000, v2, v13
	v_lshlrev_b32_e32 v13, 23, v53
	v_lshl_or_b32 v53, v2, 16, v13
.LBB284_1019:                           ;   in Loop: Header=BB284_525 Depth=1
	s_or_b32 exec_lo, exec_lo, s26
.LBB284_1020:                           ;   in Loop: Header=BB284_525 Depth=1
	s_or_b32 exec_lo, exec_lo, s25
.LBB284_1021:                           ;   in Loop: Header=BB284_525 Depth=1
	s_or_b32 exec_lo, exec_lo, s24
	v_mov_b32_e32 v2, v7
	v_cmp_ne_u16_sdwa s1, v7, v3 src0_sel:BYTE_0 src1_sel:DWORD
	v_mov_b32_e32 v55, 0
	v_mov_b32_e32 v56, 0
	s_and_saveexec_b32 s24, s1
	s_cbranch_execz .LBB284_1029
; %bb.1022:                             ;   in Loop: Header=BB284_525 Depth=1
	v_cmp_ne_u16_sdwa s1, v7, v27 src0_sel:BYTE_0 src1_sel:DWORD
	v_mov_b32_e32 v56, 0x8000
	s_and_saveexec_b32 s25, s1
	s_cbranch_execz .LBB284_1028
; %bb.1023:                             ;   in Loop: Header=BB284_525 Depth=1
	v_and_b32_e32 v58, 0x7f, v7
	v_mov_b32_e32 v56, 0x7c01
	s_mov_b32 s26, exec_lo
	v_cmpx_ne_u32_e32 0x7f, v58
	s_cbranch_execz .LBB284_1027
; %bb.1024:                             ;   in Loop: Header=BB284_525 Depth=1
	v_and_b32_e32 v56, 7, v7
	v_lshrrev_b32_e32 v57, 3, v58
	s_mov_b32 s27, exec_lo
	v_cmpx_gt_u32_e32 8, v58
; %bb.1025:                             ;   in Loop: Header=BB284_525 Depth=1
	v_ffbh_u32_e32 v13, v56
	v_min_u32_e32 v56, 32, v13
	v_subrev_nc_u32_e32 v13, 28, v56
	v_sub_nc_u32_e32 v57, 29, v56
	v_lshlrev_b64 v[13:14], v13, v[2:3]
	v_and_b32_e32 v56, 7, v13
; %bb.1026:                             ;   in Loop: Header=BB284_525 Depth=1
	s_or_b32 exec_lo, exec_lo, s27
	v_lshlrev_b32_e32 v13, 8, v7
	v_lshl_add_u32 v14, v57, 10, 0x2000
	v_lshlrev_b32_e32 v56, 7, v56
	v_and_b32_e32 v13, 0x8000, v13
	v_and_b32_e32 v14, 0xfc00, v14
	v_or3_b32 v56, v13, v14, v56
.LBB284_1027:                           ;   in Loop: Header=BB284_525 Depth=1
	s_or_b32 exec_lo, exec_lo, s26
.LBB284_1028:                           ;   in Loop: Header=BB284_525 Depth=1
	s_or_b32 exec_lo, exec_lo, s25
.LBB284_1029:                           ;   in Loop: Header=BB284_525 Depth=1
	s_or_b32 exec_lo, exec_lo, s24
	v_lshrrev_b16 v2, 8, v2
	v_mov_b32_e32 v57, 0
	s_mov_b32 s24, exec_lo
	v_cmpx_ne_u16_e32 0, v2
	s_cbranch_execz .LBB284_1037
; %bb.1030:                             ;   in Loop: Header=BB284_525 Depth=1
	v_bfrev_b32_e32 v57, 1
	s_mov_b32 s25, exec_lo
	v_cmpx_ne_u16_e32 0x80, v2
	s_cbranch_execz .LBB284_1036
; %bb.1031:                             ;   in Loop: Header=BB284_525 Depth=1
	v_and_b32_sdwa v59, v2, v28 dst_sel:DWORD dst_unused:UNUSED_PAD src0_sel:WORD_0 src1_sel:DWORD
	v_mov_b32_e32 v57, 0x7c010000
	s_mov_b32 s26, exec_lo
	v_cmpx_ne_u32_e32 0x7f, v59
	s_cbranch_execz .LBB284_1035
; %bb.1032:                             ;   in Loop: Header=BB284_525 Depth=1
	v_and_b32_sdwa v57, v2, v29 dst_sel:DWORD dst_unused:UNUSED_PAD src0_sel:WORD_0 src1_sel:DWORD
	v_lshrrev_b32_e32 v58, 3, v59
	s_mov_b32 s27, exec_lo
	v_cmpx_gt_u32_e32 8, v59
; %bb.1033:                             ;   in Loop: Header=BB284_525 Depth=1
	v_ffbh_u32_e32 v13, v57
	v_min_u32_e32 v57, 32, v13
	v_subrev_nc_u32_e32 v13, 28, v57
	v_sub_nc_u32_e32 v58, 29, v57
	v_lshlrev_b64 v[13:14], v13, v[2:3]
	v_and_b32_e32 v57, 7, v13
; %bb.1034:                             ;   in Loop: Header=BB284_525 Depth=1
	s_or_b32 exec_lo, exec_lo, s27
	v_lshlrev_b32_sdwa v2, v30, v2 dst_sel:DWORD dst_unused:UNUSED_PAD src0_sel:DWORD src1_sel:WORD_0
	v_lshl_add_u32 v13, v58, 10, 0x2000
	v_and_or_b32 v2, 0x8000, v2, v13
	v_lshlrev_b32_e32 v13, 23, v57
	v_lshl_or_b32 v57, v2, 16, v13
.LBB284_1035:                           ;   in Loop: Header=BB284_525 Depth=1
	s_or_b32 exec_lo, exec_lo, s26
.LBB284_1036:                           ;   in Loop: Header=BB284_525 Depth=1
	s_or_b32 exec_lo, exec_lo, s25
.LBB284_1037:                           ;   in Loop: Header=BB284_525 Depth=1
	s_or_b32 exec_lo, exec_lo, s24
	v_lshrrev_b32_e32 v2, 16, v7
	v_cmp_ne_u16_sdwa s1, v2, v3 src0_sel:BYTE_0 src1_sel:DWORD
	s_and_saveexec_b32 s24, s1
	s_cbranch_execz .LBB284_1045
; %bb.1038:                             ;   in Loop: Header=BB284_525 Depth=1
	v_cmp_ne_u16_sdwa s1, v2, v27 src0_sel:BYTE_0 src1_sel:DWORD
	v_mov_b32_e32 v55, 0x8000
	s_and_saveexec_b32 s25, s1
	s_cbranch_execz .LBB284_1044
; %bb.1039:                             ;   in Loop: Header=BB284_525 Depth=1
	v_bfe_u32 v59, v7, 16, 7
	v_mov_b32_e32 v55, 0x7c01
	s_mov_b32 s26, exec_lo
	v_cmpx_ne_u32_e32 0x7f, v59
	s_cbranch_execz .LBB284_1043
; %bb.1040:                             ;   in Loop: Header=BB284_525 Depth=1
	v_and_b32_e32 v55, 7, v2
	v_lshrrev_b32_e32 v58, 3, v59
	s_mov_b32 s27, exec_lo
	v_cmpx_gt_u32_e32 8, v59
; %bb.1041:                             ;   in Loop: Header=BB284_525 Depth=1
	v_ffbh_u32_e32 v13, v55
	v_min_u32_e32 v55, 32, v13
	v_subrev_nc_u32_e32 v13, 28, v55
	v_sub_nc_u32_e32 v58, 29, v55
	v_lshlrev_b64 v[13:14], v13, v[2:3]
	v_and_b32_e32 v55, 7, v13
; %bb.1042:                             ;   in Loop: Header=BB284_525 Depth=1
	s_or_b32 exec_lo, exec_lo, s27
	v_lshlrev_b32_e32 v2, 8, v2
	v_lshl_add_u32 v13, v58, 10, 0x2000
	v_lshlrev_b32_e32 v14, 7, v55
	v_and_b32_e32 v2, 0x8000, v2
	v_and_b32_e32 v13, 0xfc00, v13
	v_or3_b32 v55, v2, v13, v14
.LBB284_1043:                           ;   in Loop: Header=BB284_525 Depth=1
	s_or_b32 exec_lo, exec_lo, s26
.LBB284_1044:                           ;   in Loop: Header=BB284_525 Depth=1
	s_or_b32 exec_lo, exec_lo, s25
.LBB284_1045:                           ;   in Loop: Header=BB284_525 Depth=1
	s_or_b32 exec_lo, exec_lo, s24
	v_cmp_lt_u64_e64 s1, s[6:7], v[6:7]
	v_mov_b32_e32 v6, 0
	s_and_saveexec_b32 s24, s1
	s_cbranch_execz .LBB284_1053
; %bb.1046:                             ;   in Loop: Header=BB284_525 Depth=1
	v_lshrrev_b32_e32 v2, 24, v7
	v_bfrev_b32_e32 v6, 1
	s_mov_b32 s25, exec_lo
	v_cmpx_ne_u32_e32 0x80, v2
	s_cbranch_execz .LBB284_1052
; %bb.1047:                             ;   in Loop: Header=BB284_525 Depth=1
	v_and_b32_e32 v58, 0x7f, v2
	v_mov_b32_e32 v6, 0x7c010000
	s_mov_b32 s26, exec_lo
	v_cmpx_ne_u32_e32 0x7f, v58
	s_cbranch_execz .LBB284_1051
; %bb.1048:                             ;   in Loop: Header=BB284_525 Depth=1
	v_and_b32_e32 v6, 7, v2
	v_lshrrev_b32_e32 v7, 3, v58
	s_mov_b32 s27, exec_lo
	v_cmpx_gt_u32_e32 8, v58
; %bb.1049:                             ;   in Loop: Header=BB284_525 Depth=1
	v_ffbh_u32_e32 v6, v6
	v_min_u32_e32 v13, 32, v6
	v_subrev_nc_u32_e32 v6, 28, v13
	v_lshlrev_b64 v[6:7], v6, v[2:3]
	v_sub_nc_u32_e32 v7, 29, v13
	v_and_b32_e32 v6, 7, v6
; %bb.1050:                             ;   in Loop: Header=BB284_525 Depth=1
	s_or_b32 exec_lo, exec_lo, s27
	v_lshlrev_b32_e32 v2, 8, v2
	v_lshl_add_u32 v7, v7, 10, 0x2000
	v_lshlrev_b32_e32 v6, 23, v6
	v_and_or_b32 v2, 0x8000, v2, v7
	v_lshl_or_b32 v6, v2, 16, v6
.LBB284_1051:                           ;   in Loop: Header=BB284_525 Depth=1
	s_or_b32 exec_lo, exec_lo, s26
.LBB284_1052:                           ;   in Loop: Header=BB284_525 Depth=1
	s_or_b32 exec_lo, exec_lo, s25
.LBB284_1053:                           ;   in Loop: Header=BB284_525 Depth=1
	s_or_b32 exec_lo, exec_lo, s24
	v_or_b32_e32 v2, v53, v54
	s_waitcnt vmcnt(0)
	v_fma_mixlo_f16 v7, v50, v53, 0 op_sel:[0,1,0] op_sel_hi:[0,1,0]
	v_or_b32_e32 v13, v51, v52
	v_fma_mixlo_f16 v14, v50, v51, 0 op_sel:[0,1,0] op_sel_hi:[0,1,0]
	v_or_b32_e32 v54, v57, v56
	v_fma_mixlo_f16 v2, v50, v2, 0 op_sel_hi:[0,1,0]
	v_or_b32_e32 v55, v6, v55
	v_lshlrev_b32_e32 v51, 16, v7
	v_lshlrev_b32_e32 v53, 16, v14
	v_fma_mixlo_f16 v7, v50, v13, 0 op_sel_hi:[0,1,0]
	v_and_b32_e32 v52, 0xffff, v2
	v_fma_mixlo_f16 v2, v50, v57, 0 op_sel:[0,1,0] op_sel_hi:[0,1,0]
	v_fma_mixlo_f16 v13, v50, v54, 0 op_sel_hi:[0,1,0]
	v_fma_mixlo_f16 v14, v50, v6, 0 op_sel:[0,1,0] op_sel_hi:[0,1,0]
	v_fma_mixlo_f16 v54, v50, v55, 0 op_sel_hi:[0,1,0]
	v_and_b32_e32 v58, 0xffff, v7
	v_lshlrev_b32_e32 v6, 16, v2
	v_and_b32_e32 v50, 0xffff, v13
	v_lshlrev_b32_e32 v2, 16, v14
	v_and_b32_e32 v7, 0xffff, v54
	v_or_b32_e32 v56, v51, v52
	v_or_b32_e32 v57, v53, v58
	;; [unrolled: 1-line block ×4, first 2 shown]
	s_and_saveexec_b32 s1, s0
	s_cbranch_execz .LBB284_522
; %bb.1054:                             ;   in Loop: Header=BB284_525 Depth=1
	v_add_nc_u32_e32 v13, 1, v35
	v_cmp_gt_i32_e64 s0, s31, v35
	v_add_nc_u32_e32 v14, 2, v35
	v_add_nc_u32_e32 v55, 3, v35
	v_cndmask_b32_e64 v54, 0, v58, s0
	v_cmp_gt_i32_e64 s0, s31, v13
	v_cndmask_b32_e64 v13, 0, v53, s0
	v_cmp_gt_i32_e64 s0, s31, v14
	v_add_nc_u32_e32 v53, 5, v35
	v_or_b32_e32 v57, v13, v54
	v_cndmask_b32_e64 v14, 0, v52, s0
	v_add_nc_u32_e32 v52, 4, v35
	v_cmp_gt_i32_e64 s0, s31, v55
	v_add_nc_u32_e32 v55, 6, v35
	v_add_nc_u32_e32 v35, 7, v35
	v_cndmask_b32_e64 v51, 0, v51, s0
	v_cmp_gt_i32_e64 s0, s31, v52
	v_or_b32_e32 v56, v51, v14
	v_cndmask_b32_e64 v50, 0, v50, s0
	v_cmp_gt_i32_e64 s0, s31, v53
	v_cndmask_b32_e64 v6, 0, v6, s0
	v_cmp_gt_i32_e64 s0, s31, v55
	v_or_b32_e32 v55, v6, v50
	v_cndmask_b32_e64 v7, 0, v7, s0
	v_cmp_gt_i32_e64 s0, s31, v35
	v_cndmask_b32_e64 v2, 0, v2, s0
	v_or_b32_e32 v54, v2, v7
	s_branch .LBB284_522
.LBB284_1055:
	s_or_b32 exec_lo, exec_lo, s18
	v_mov_b32_e32 v27, v60
.LBB284_1056:
	s_or_b32 exec_lo, exec_lo, s3
	ds_bpermute_b32 v1, v18, v26
	ds_bpermute_b32 v2, v18, v25
	;; [unrolled: 1-line block ×8, first 2 shown]
	s_movk_i32 s0, 0x1e0
	v_and_b32_e32 v15, 0x3c0, v0
	v_mad_u32_u24 v9, v61, s0, 0x110
	s_mov_b32 s1, exec_lo
	v_cmp_eq_u32_e32 vcc_lo, 0, v27
	s_waitcnt lgkmcnt(0)
	s_waitcnt_vscnt null, 0x0
	s_barrier
	buffer_gl0_inv
	v_add_f32_e32 v8, v26, v1
	v_add_f32_e32 v7, v25, v2
	;; [unrolled: 1-line block ×8, first 2 shown]
	v_cmpx_eq_u32_e32 64, v15
	s_cbranch_execz .LBB284_1061
; %bb.1057:
	v_add_nc_u32_e32 v10, 0xfffffc40, v9
	s_and_saveexec_b32 s0, vcc_lo
	s_cbranch_execz .LBB284_1059
; %bb.1058:
	v_lshl_add_u32 v11, v16, 2, v10
	ds_write2_b32 v11, v8, v7 offset1:16
	ds_write2_b32 v11, v6, v5 offset0:32 offset1:48
	ds_write2_b32 v11, v4, v3 offset0:64 offset1:80
	ds_write_b32 v11, v2 offset:384
.LBB284_1059:
	s_or_b32 exec_lo, exec_lo, s0
	v_or_b32_e32 v11, 0x70, v16
	v_cmp_gt_u32_e64 s0, 0x78, v11
	s_and_b32 s0, vcc_lo, s0
	s_and_b32 exec_lo, exec_lo, s0
; %bb.1060:
	v_lshl_add_u32 v10, v11, 2, v10
	ds_write_b32 v10, v1
.LBB284_1061:
	s_or_b32 exec_lo, exec_lo, s1
	s_mov_b32 s1, exec_lo
	s_waitcnt lgkmcnt(0)
	s_barrier
	buffer_gl0_inv
	v_cmpx_gt_u32_e32 64, v0
	s_cbranch_execz .LBB284_1073
; %bb.1062:
	s_and_saveexec_b32 s0, vcc_lo
	s_cbranch_execnz .LBB284_1108
; %bb.1063:
	s_or_b32 exec_lo, exec_lo, s0
	s_and_saveexec_b32 s0, vcc_lo
	s_cbranch_execnz .LBB284_1109
.LBB284_1064:
	s_or_b32 exec_lo, exec_lo, s0
	s_and_saveexec_b32 s0, vcc_lo
	s_cbranch_execnz .LBB284_1110
.LBB284_1065:
	s_or_b32 exec_lo, exec_lo, s0
	s_and_saveexec_b32 s0, vcc_lo
	s_cbranch_execnz .LBB284_1111
.LBB284_1066:
	s_or_b32 exec_lo, exec_lo, s0
	s_and_saveexec_b32 s0, vcc_lo
	s_cbranch_execnz .LBB284_1112
.LBB284_1067:
	s_or_b32 exec_lo, exec_lo, s0
	s_and_saveexec_b32 s0, vcc_lo
	s_cbranch_execnz .LBB284_1113
.LBB284_1068:
	s_or_b32 exec_lo, exec_lo, s0
	s_and_saveexec_b32 s0, vcc_lo
	s_cbranch_execz .LBB284_1070
.LBB284_1069:
	v_lshl_add_u32 v10, v16, 2, v9
	ds_read_b32 v10, v10 offset:384
	s_waitcnt lgkmcnt(0)
	v_add_f32_e32 v2, v2, v10
.LBB284_1070:
	s_or_b32 exec_lo, exec_lo, s0
	v_or_b32_e32 v10, 0x70, v16
	v_cmp_gt_u32_e64 s0, 0x78, v10
	s_and_b32 s3, vcc_lo, s0
	s_and_saveexec_b32 s0, s3
	s_cbranch_execz .LBB284_1072
; %bb.1071:
	v_lshl_add_u32 v10, v16, 2, v9
	ds_read_b32 v10, v10 offset:448
	s_waitcnt lgkmcnt(0)
	v_add_f32_e32 v1, v1, v10
.LBB284_1072:
	s_or_b32 exec_lo, exec_lo, s0
.LBB284_1073:
	s_or_b32 exec_lo, exec_lo, s1
	v_and_b32_e32 v10, 0x3e0, v0
	s_mov_b32 s1, exec_lo
	s_barrier
	buffer_gl0_inv
	v_cmpx_eq_u32_e32 32, v10
	s_cbranch_execz .LBB284_1078
; %bb.1074:
	v_lshl_add_u32 v10, v16, 2, 0x110
	s_and_saveexec_b32 s0, vcc_lo
	s_cbranch_execz .LBB284_1076
; %bb.1075:
	ds_write2_b32 v10, v8, v7 offset1:16
	ds_write2_b32 v10, v6, v5 offset0:32 offset1:48
	ds_write2_b32 v10, v4, v3 offset0:64 offset1:80
	ds_write_b32 v10, v2 offset:384
.LBB284_1076:
	s_or_b32 exec_lo, exec_lo, s0
	v_or_b32_e32 v11, 0x70, v16
	v_cmp_gt_u32_e64 s0, 0x78, v11
	s_and_b32 s0, vcc_lo, s0
	s_and_b32 exec_lo, exec_lo, s0
; %bb.1077:
	ds_write_b32 v10, v1 offset:448
.LBB284_1078:
	s_or_b32 exec_lo, exec_lo, s1
	v_cmp_gt_u32_e64 s0, 32, v0
	s_waitcnt lgkmcnt(0)
	s_barrier
	buffer_gl0_inv
	s_and_saveexec_b32 s3, s0
	s_cbranch_execz .LBB284_1090
; %bb.1079:
	v_lshl_add_u32 v0, v16, 2, v9
	s_and_saveexec_b32 s1, vcc_lo
	s_cbranch_execnz .LBB284_1114
; %bb.1080:
	s_or_b32 exec_lo, exec_lo, s1
	s_and_saveexec_b32 s1, vcc_lo
	s_cbranch_execnz .LBB284_1115
.LBB284_1081:
	s_or_b32 exec_lo, exec_lo, s1
	s_and_saveexec_b32 s1, vcc_lo
	s_cbranch_execnz .LBB284_1116
.LBB284_1082:
	s_or_b32 exec_lo, exec_lo, s1
	s_and_saveexec_b32 s1, vcc_lo
	s_cbranch_execnz .LBB284_1117
.LBB284_1083:
	s_or_b32 exec_lo, exec_lo, s1
	s_and_saveexec_b32 s1, vcc_lo
	s_cbranch_execnz .LBB284_1118
.LBB284_1084:
	s_or_b32 exec_lo, exec_lo, s1
	s_and_saveexec_b32 s1, vcc_lo
	s_cbranch_execnz .LBB284_1119
.LBB284_1085:
	s_or_b32 exec_lo, exec_lo, s1
	s_and_saveexec_b32 s1, vcc_lo
	s_cbranch_execz .LBB284_1087
.LBB284_1086:
	ds_read_b32 v9, v0 offset:384
	s_waitcnt lgkmcnt(0)
	v_add_f32_e32 v2, v2, v9
.LBB284_1087:
	s_or_b32 exec_lo, exec_lo, s1
	v_or_b32_e32 v9, 0x70, v16
	v_cmp_gt_u32_e64 s1, 0x78, v9
	s_and_b32 s4, vcc_lo, s1
	s_and_saveexec_b32 s1, s4
	s_cbranch_execz .LBB284_1089
; %bb.1088:
	ds_read_b32 v0, v0 offset:448
	s_waitcnt lgkmcnt(0)
	v_add_f32_e32 v1, v1, v0
.LBB284_1089:
	s_or_b32 exec_lo, exec_lo, s1
.LBB284_1090:
	s_or_b32 exec_lo, exec_lo, s3
	s_barrier
	buffer_gl0_inv
	s_and_saveexec_b32 s1, s0
	s_cbranch_execz .LBB284_1107
; %bb.1091:
	s_mul_i32 s0, s2, 0x78
	s_mul_i32 s2, s11, s10
	s_ashr_i32 s1, s0, 31
	v_lshlrev_b32_e32 v0, 1, v12
	s_lshl_b64 s[0:1], s[0:1], 1
	s_add_u32 s4, s28, s0
	s_addc_u32 s5, s29, s1
	s_ashr_i32 s3, s2, 31
	s_lshl_b64 s[0:1], s[2:3], 1
	s_mul_i32 s2, s8, 0x78
	s_add_u32 s4, s4, s0
	s_addc_u32 s5, s5, s1
	s_ashr_i32 s3, s2, 31
	s_lshl_b64 s[0:1], s[2:3], 1
	s_add_u32 s2, s4, s0
	s_addc_u32 s3, s5, s1
	s_and_saveexec_b32 s0, vcc_lo
	s_cbranch_execz .LBB284_1093
; %bb.1092:
	;;#ASMSTART
	v_cvt_f16_f32 v8, v8;

	;;#ASMEND
	global_store_short v0, v8, s[2:3]
.LBB284_1093:
	s_or_b32 exec_lo, exec_lo, s0
	v_or_b32_e32 v8, 16, v12
	v_cmp_gt_u32_e64 s0, 0x78, v8
	s_and_b32 s1, vcc_lo, s0
	s_and_saveexec_b32 s0, s1
	s_cbranch_execz .LBB284_1095
; %bb.1094:
	;;#ASMSTART
	v_cvt_f16_f32 v7, v7;

	;;#ASMEND
	global_store_short v0, v7, s[2:3] offset:32
.LBB284_1095:
	s_or_b32 exec_lo, exec_lo, s0
	v_or_b32_e32 v7, 32, v12
	v_cmp_gt_u32_e64 s0, 0x78, v7
	s_and_b32 s1, vcc_lo, s0
	s_and_saveexec_b32 s0, s1
	s_cbranch_execz .LBB284_1097
; %bb.1096:
	;;#ASMSTART
	v_cvt_f16_f32 v6, v6;

	;;#ASMEND
	global_store_short v0, v6, s[2:3] offset:64
.LBB284_1097:
	s_or_b32 exec_lo, exec_lo, s0
	v_or_b32_e32 v6, 48, v12
	v_cmp_gt_u32_e64 s0, 0x78, v6
	s_and_b32 s1, vcc_lo, s0
	s_and_saveexec_b32 s0, s1
	s_cbranch_execz .LBB284_1099
; %bb.1098:
	;;#ASMSTART
	v_cvt_f16_f32 v5, v5;

	;;#ASMEND
	global_store_short v0, v5, s[2:3] offset:96
.LBB284_1099:
	s_or_b32 exec_lo, exec_lo, s0
	v_or_b32_e32 v5, 64, v12
	v_cmp_gt_u32_e64 s0, 0x78, v5
	s_and_b32 s1, vcc_lo, s0
	s_and_saveexec_b32 s0, s1
	s_cbranch_execz .LBB284_1101
; %bb.1100:
	;;#ASMSTART
	v_cvt_f16_f32 v4, v4;

	;;#ASMEND
	global_store_short v0, v4, s[2:3] offset:128
.LBB284_1101:
	s_or_b32 exec_lo, exec_lo, s0
	v_or_b32_e32 v4, 0x50, v12
	v_cmp_gt_u32_e64 s0, 0x78, v4
	s_and_b32 s1, vcc_lo, s0
	s_and_saveexec_b32 s0, s1
	s_cbranch_execz .LBB284_1103
; %bb.1102:
	;;#ASMSTART
	v_cvt_f16_f32 v3, v3;

	;;#ASMEND
	global_store_short v0, v3, s[2:3] offset:160
.LBB284_1103:
	s_or_b32 exec_lo, exec_lo, s0
	v_or_b32_e32 v3, 0x60, v12
	v_cmp_gt_u32_e64 s0, 0x78, v3
	s_and_b32 s1, vcc_lo, s0
	s_and_saveexec_b32 s0, s1
	s_cbranch_execz .LBB284_1105
; %bb.1104:
	;;#ASMSTART
	v_cvt_f16_f32 v2, v2;

	;;#ASMEND
	global_store_short v0, v2, s[2:3] offset:192
.LBB284_1105:
	s_or_b32 exec_lo, exec_lo, s0
	v_or_b32_e32 v2, 0x70, v12
	v_cmp_gt_u32_e64 s0, 0x78, v2
	s_and_b32 s0, vcc_lo, s0
	s_and_b32 exec_lo, exec_lo, s0
	s_cbranch_execz .LBB284_1107
; %bb.1106:
	;;#ASMSTART
	v_cvt_f16_f32 v1, v1;

	;;#ASMEND
	global_store_short v0, v1, s[2:3] offset:224
.LBB284_1107:
	s_endpgm
.LBB284_1108:
	v_lshl_add_u32 v10, v16, 2, v9
	ds_read_b32 v10, v10
	s_waitcnt lgkmcnt(0)
	v_add_f32_e32 v8, v8, v10
	s_or_b32 exec_lo, exec_lo, s0
	s_and_saveexec_b32 s0, vcc_lo
	s_cbranch_execz .LBB284_1064
.LBB284_1109:
	v_lshl_add_u32 v10, v16, 2, v9
	ds_read_b32 v10, v10 offset:64
	s_waitcnt lgkmcnt(0)
	v_add_f32_e32 v7, v7, v10
	s_or_b32 exec_lo, exec_lo, s0
	s_and_saveexec_b32 s0, vcc_lo
	s_cbranch_execz .LBB284_1065
.LBB284_1110:
	v_lshl_add_u32 v10, v16, 2, v9
	ds_read_b32 v10, v10 offset:128
	s_waitcnt lgkmcnt(0)
	v_add_f32_e32 v6, v6, v10
	s_or_b32 exec_lo, exec_lo, s0
	s_and_saveexec_b32 s0, vcc_lo
	s_cbranch_execz .LBB284_1066
.LBB284_1111:
	v_lshl_add_u32 v10, v16, 2, v9
	ds_read_b32 v10, v10 offset:192
	s_waitcnt lgkmcnt(0)
	v_add_f32_e32 v5, v5, v10
	s_or_b32 exec_lo, exec_lo, s0
	s_and_saveexec_b32 s0, vcc_lo
	s_cbranch_execz .LBB284_1067
.LBB284_1112:
	v_lshl_add_u32 v10, v16, 2, v9
	ds_read_b32 v10, v10 offset:256
	s_waitcnt lgkmcnt(0)
	v_add_f32_e32 v4, v4, v10
	s_or_b32 exec_lo, exec_lo, s0
	s_and_saveexec_b32 s0, vcc_lo
	s_cbranch_execz .LBB284_1068
.LBB284_1113:
	v_lshl_add_u32 v10, v16, 2, v9
	ds_read_b32 v10, v10 offset:320
	s_waitcnt lgkmcnt(0)
	v_add_f32_e32 v3, v3, v10
	s_or_b32 exec_lo, exec_lo, s0
	s_and_saveexec_b32 s0, vcc_lo
	s_cbranch_execnz .LBB284_1069
	s_branch .LBB284_1070
.LBB284_1114:
	ds_read_b32 v9, v0
	s_waitcnt lgkmcnt(0)
	v_add_f32_e32 v8, v8, v9
	s_or_b32 exec_lo, exec_lo, s1
	s_and_saveexec_b32 s1, vcc_lo
	s_cbranch_execz .LBB284_1081
.LBB284_1115:
	ds_read_b32 v9, v0 offset:64
	s_waitcnt lgkmcnt(0)
	v_add_f32_e32 v7, v7, v9
	s_or_b32 exec_lo, exec_lo, s1
	s_and_saveexec_b32 s1, vcc_lo
	s_cbranch_execz .LBB284_1082
.LBB284_1116:
	ds_read_b32 v9, v0 offset:128
	s_waitcnt lgkmcnt(0)
	v_add_f32_e32 v6, v6, v9
	s_or_b32 exec_lo, exec_lo, s1
	s_and_saveexec_b32 s1, vcc_lo
	s_cbranch_execz .LBB284_1083
.LBB284_1117:
	ds_read_b32 v9, v0 offset:192
	s_waitcnt lgkmcnt(0)
	v_add_f32_e32 v5, v5, v9
	s_or_b32 exec_lo, exec_lo, s1
	s_and_saveexec_b32 s1, vcc_lo
	s_cbranch_execz .LBB284_1084
.LBB284_1118:
	ds_read_b32 v9, v0 offset:256
	s_waitcnt lgkmcnt(0)
	v_add_f32_e32 v4, v4, v9
	s_or_b32 exec_lo, exec_lo, s1
	s_and_saveexec_b32 s1, vcc_lo
	s_cbranch_execz .LBB284_1085
.LBB284_1119:
	ds_read_b32 v9, v0 offset:320
	s_waitcnt lgkmcnt(0)
	v_add_f32_e32 v3, v3, v9
	s_or_b32 exec_lo, exec_lo, s1
	s_and_saveexec_b32 s1, vcc_lo
	s_cbranch_execnz .LBB284_1086
	s_branch .LBB284_1087
	.section	.rodata,"a",@progbits
	.p2align	6, 0x0
	.amdhsa_kernel _ZN4vllm25paged_attention_v2_kernelIthLi120ELi16ELi128ELNS_18Fp8KVCacheDataTypeE1ELb1ELi512EEEvPfS2_PT_PKS3_PKT0_S9_ifPKiSB_iPKfiiiSD_SD_iiiii
		.amdhsa_group_segment_fixed_size 272
		.amdhsa_private_segment_fixed_size 8
		.amdhsa_kernarg_size 400
		.amdhsa_user_sgpr_count 6
		.amdhsa_user_sgpr_private_segment_buffer 1
		.amdhsa_user_sgpr_dispatch_ptr 0
		.amdhsa_user_sgpr_queue_ptr 0
		.amdhsa_user_sgpr_kernarg_segment_ptr 1
		.amdhsa_user_sgpr_dispatch_id 0
		.amdhsa_user_sgpr_flat_scratch_init 0
		.amdhsa_user_sgpr_private_segment_size 0
		.amdhsa_wavefront_size32 1
		.amdhsa_uses_dynamic_stack 0
		.amdhsa_system_sgpr_private_segment_wavefront_offset 1
		.amdhsa_system_sgpr_workgroup_id_x 1
		.amdhsa_system_sgpr_workgroup_id_y 1
		.amdhsa_system_sgpr_workgroup_id_z 1
		.amdhsa_system_sgpr_workgroup_info 0
		.amdhsa_system_vgpr_workitem_id 0
		.amdhsa_next_free_vgpr 128
		.amdhsa_next_free_sgpr 56
		.amdhsa_reserve_vcc 1
		.amdhsa_reserve_flat_scratch 0
		.amdhsa_float_round_mode_32 0
		.amdhsa_float_round_mode_16_64 0
		.amdhsa_float_denorm_mode_32 3
		.amdhsa_float_denorm_mode_16_64 3
		.amdhsa_dx10_clamp 1
		.amdhsa_ieee_mode 1
		.amdhsa_fp16_overflow 0
		.amdhsa_workgroup_processor_mode 1
		.amdhsa_memory_ordered 1
		.amdhsa_forward_progress 1
		.amdhsa_shared_vgpr_count 0
		.amdhsa_exception_fp_ieee_invalid_op 0
		.amdhsa_exception_fp_denorm_src 0
		.amdhsa_exception_fp_ieee_div_zero 0
		.amdhsa_exception_fp_ieee_overflow 0
		.amdhsa_exception_fp_ieee_underflow 0
		.amdhsa_exception_fp_ieee_inexact 0
		.amdhsa_exception_int_div_zero 0
	.end_amdhsa_kernel
	.section	.text._ZN4vllm25paged_attention_v2_kernelIthLi120ELi16ELi128ELNS_18Fp8KVCacheDataTypeE1ELb1ELi512EEEvPfS2_PT_PKS3_PKT0_S9_ifPKiSB_iPKfiiiSD_SD_iiiii,"axG",@progbits,_ZN4vllm25paged_attention_v2_kernelIthLi120ELi16ELi128ELNS_18Fp8KVCacheDataTypeE1ELb1ELi512EEEvPfS2_PT_PKS3_PKT0_S9_ifPKiSB_iPKfiiiSD_SD_iiiii,comdat
.Lfunc_end284:
	.size	_ZN4vllm25paged_attention_v2_kernelIthLi120ELi16ELi128ELNS_18Fp8KVCacheDataTypeE1ELb1ELi512EEEvPfS2_PT_PKS3_PKT0_S9_ifPKiSB_iPKfiiiSD_SD_iiiii, .Lfunc_end284-_ZN4vllm25paged_attention_v2_kernelIthLi120ELi16ELi128ELNS_18Fp8KVCacheDataTypeE1ELb1ELi512EEEvPfS2_PT_PKS3_PKT0_S9_ifPKiSB_iPKfiiiSD_SD_iiiii
                                        ; -- End function
	.set _ZN4vllm25paged_attention_v2_kernelIthLi120ELi16ELi128ELNS_18Fp8KVCacheDataTypeE1ELb1ELi512EEEvPfS2_PT_PKS3_PKT0_S9_ifPKiSB_iPKfiiiSD_SD_iiiii.num_vgpr, 128
	.set _ZN4vllm25paged_attention_v2_kernelIthLi120ELi16ELi128ELNS_18Fp8KVCacheDataTypeE1ELb1ELi512EEEvPfS2_PT_PKS3_PKT0_S9_ifPKiSB_iPKfiiiSD_SD_iiiii.num_agpr, 0
	.set _ZN4vllm25paged_attention_v2_kernelIthLi120ELi16ELi128ELNS_18Fp8KVCacheDataTypeE1ELb1ELi512EEEvPfS2_PT_PKS3_PKT0_S9_ifPKiSB_iPKfiiiSD_SD_iiiii.numbered_sgpr, 56
	.set _ZN4vllm25paged_attention_v2_kernelIthLi120ELi16ELi128ELNS_18Fp8KVCacheDataTypeE1ELb1ELi512EEEvPfS2_PT_PKS3_PKT0_S9_ifPKiSB_iPKfiiiSD_SD_iiiii.num_named_barrier, 0
	.set _ZN4vllm25paged_attention_v2_kernelIthLi120ELi16ELi128ELNS_18Fp8KVCacheDataTypeE1ELb1ELi512EEEvPfS2_PT_PKS3_PKT0_S9_ifPKiSB_iPKfiiiSD_SD_iiiii.private_seg_size, 8
	.set _ZN4vllm25paged_attention_v2_kernelIthLi120ELi16ELi128ELNS_18Fp8KVCacheDataTypeE1ELb1ELi512EEEvPfS2_PT_PKS3_PKT0_S9_ifPKiSB_iPKfiiiSD_SD_iiiii.uses_vcc, 1
	.set _ZN4vllm25paged_attention_v2_kernelIthLi120ELi16ELi128ELNS_18Fp8KVCacheDataTypeE1ELb1ELi512EEEvPfS2_PT_PKS3_PKT0_S9_ifPKiSB_iPKfiiiSD_SD_iiiii.uses_flat_scratch, 0
	.set _ZN4vllm25paged_attention_v2_kernelIthLi120ELi16ELi128ELNS_18Fp8KVCacheDataTypeE1ELb1ELi512EEEvPfS2_PT_PKS3_PKT0_S9_ifPKiSB_iPKfiiiSD_SD_iiiii.has_dyn_sized_stack, 0
	.set _ZN4vllm25paged_attention_v2_kernelIthLi120ELi16ELi128ELNS_18Fp8KVCacheDataTypeE1ELb1ELi512EEEvPfS2_PT_PKS3_PKT0_S9_ifPKiSB_iPKfiiiSD_SD_iiiii.has_recursion, 0
	.set _ZN4vllm25paged_attention_v2_kernelIthLi120ELi16ELi128ELNS_18Fp8KVCacheDataTypeE1ELb1ELi512EEEvPfS2_PT_PKS3_PKT0_S9_ifPKiSB_iPKfiiiSD_SD_iiiii.has_indirect_call, 0
	.section	.AMDGPU.csdata,"",@progbits
; Kernel info:
; codeLenInByte = 36600
; TotalNumSgprs: 58
; NumVgprs: 128
; ScratchSize: 8
; MemoryBound: 0
; FloatMode: 240
; IeeeMode: 1
; LDSByteSize: 272 bytes/workgroup (compile time only)
; SGPRBlocks: 0
; VGPRBlocks: 15
; NumSGPRsForWavesPerEU: 58
; NumVGPRsForWavesPerEU: 128
; Occupancy: 8
; WaveLimiterHint : 1
; COMPUTE_PGM_RSRC2:SCRATCH_EN: 1
; COMPUTE_PGM_RSRC2:USER_SGPR: 6
; COMPUTE_PGM_RSRC2:TRAP_HANDLER: 0
; COMPUTE_PGM_RSRC2:TGID_X_EN: 1
; COMPUTE_PGM_RSRC2:TGID_Y_EN: 1
; COMPUTE_PGM_RSRC2:TGID_Z_EN: 1
; COMPUTE_PGM_RSRC2:TIDIG_COMP_CNT: 0
	.section	.text._ZN4vllm25paged_attention_v2_kernelIthLi128ELi16ELi128ELNS_18Fp8KVCacheDataTypeE1ELb1ELi512EEEvPfS2_PT_PKS3_PKT0_S9_ifPKiSB_iPKfiiiSD_SD_iiiii,"axG",@progbits,_ZN4vllm25paged_attention_v2_kernelIthLi128ELi16ELi128ELNS_18Fp8KVCacheDataTypeE1ELb1ELi512EEEvPfS2_PT_PKS3_PKT0_S9_ifPKiSB_iPKfiiiSD_SD_iiiii,comdat
	.protected	_ZN4vllm25paged_attention_v2_kernelIthLi128ELi16ELi128ELNS_18Fp8KVCacheDataTypeE1ELb1ELi512EEEvPfS2_PT_PKS3_PKT0_S9_ifPKiSB_iPKfiiiSD_SD_iiiii ; -- Begin function _ZN4vllm25paged_attention_v2_kernelIthLi128ELi16ELi128ELNS_18Fp8KVCacheDataTypeE1ELb1ELi512EEEvPfS2_PT_PKS3_PKT0_S9_ifPKiSB_iPKfiiiSD_SD_iiiii
	.globl	_ZN4vllm25paged_attention_v2_kernelIthLi128ELi16ELi128ELNS_18Fp8KVCacheDataTypeE1ELb1ELi512EEEvPfS2_PT_PKS3_PKT0_S9_ifPKiSB_iPKfiiiSD_SD_iiiii
	.p2align	8
	.type	_ZN4vllm25paged_attention_v2_kernelIthLi128ELi16ELi128ELNS_18Fp8KVCacheDataTypeE1ELb1ELi512EEEvPfS2_PT_PKS3_PKT0_S9_ifPKiSB_iPKfiiiSD_SD_iiiii,@function
_ZN4vllm25paged_attention_v2_kernelIthLi128ELi16ELi128ELNS_18Fp8KVCacheDataTypeE1ELb1ELi512EEEvPfS2_PT_PKS3_PKT0_S9_ifPKiSB_iPKfiiiSD_SD_iiiii: ; @_ZN4vllm25paged_attention_v2_kernelIthLi128ELi16ELi128ELNS_18Fp8KVCacheDataTypeE1ELb1ELi512EEEvPfS2_PT_PKS3_PKT0_S9_ifPKiSB_iPKfiiiSD_SD_iiiii
; %bb.0:
	s_load_dwordx2 s[0:1], s[4:5], 0x40
	s_mov_b32 s30, s7
	s_ashr_i32 s31, s7, 31
	s_lshl_b64 s[2:3], s[30:31], 2
	s_waitcnt lgkmcnt(0)
	s_add_u32 s0, s0, s2
	s_addc_u32 s1, s1, s3
	s_lshl_b32 s42, s8, 9
	s_load_dword s31, s[0:1], 0x0
	s_waitcnt lgkmcnt(0)
	s_cmp_ge_i32 s42, s31
	s_cbranch_scc1 .LBB285_1112
; %bb.1:
	s_clause 0x1
	s_load_dword s9, s[4:5], 0x90
	s_load_dwordx2 s[40:41], s[4:5], 0x30
	s_mov_b32 s43, 0
	s_waitcnt lgkmcnt(0)
	s_abs_i32 s3, s9
	s_abs_i32 s0, s40
	v_cvt_f32_u32_e32 v1, s0
	s_sub_i32 s2, 0, s0
	v_rcp_iflag_f32_e32 v1, v1
	v_mul_f32_e32 v1, 0x4f7ffffe, v1
	v_cvt_u32_f32_e32 v1, v1
	v_readfirstlane_b32 s1, v1
	s_mul_i32 s2, s2, s1
	s_mul_hi_u32 s2, s1, s2
	s_add_i32 s1, s1, s2
	s_xor_b32 s2, s9, s40
	s_mul_hi_u32 s1, s3, s1
	s_ashr_i32 s2, s2, 31
	s_mul_i32 s7, s1, s0
	s_sub_i32 s3, s3, s7
	s_add_i32 s7, s1, 1
	s_sub_i32 s10, s3, s0
	s_cmp_ge_u32 s3, s0
	s_cselect_b32 s1, s7, s1
	s_cselect_b32 s3, s10, s3
	s_add_i32 s7, s1, 1
	s_cmp_ge_u32 s3, s0
	s_cselect_b32 s0, s7, s1
	s_xor_b32 s0, s0, s2
	s_sub_i32 s10, s0, s2
	s_load_dwordx2 s[0:1], s[4:5], 0x50
	s_abs_i32 s2, s10
	v_cvt_f32_u32_e32 v1, s2
	s_sub_i32 s3, 0, s2
	v_rcp_iflag_f32_e32 v1, v1
	v_mul_f32_e32 v1, 0x4f7ffffe, v1
	v_cvt_u32_f32_e32 v1, v1
	v_readfirstlane_b32 s7, v1
	s_mul_i32 s3, s3, s7
	s_mul_hi_u32 s11, s7, s3
	s_abs_i32 s3, s6
	s_add_i32 s7, s7, s11
	s_waitcnt lgkmcnt(0)
	s_cmp_eq_u64 s[0:1], 0
	s_mul_hi_u32 s12, s3, s7
	s_cbranch_scc1 .LBB285_3
; %bb.2:
	s_ashr_i32 s7, s6, 31
	s_lshl_b64 s[14:15], s[6:7], 2
	s_add_u32 s0, s0, s14
	s_addc_u32 s1, s1, s15
	s_load_dword s43, s[0:1], 0x0
.LBB285_3:
	s_load_dwordx4 s[16:19], s[4:5], 0x58
	v_lshrrev_b32_e32 v12, 1, v0
	v_and_b32_e32 v13, 1, v0
	v_cmp_gt_u32_e64 s0, 32, v0
	v_lshlrev_b32_e32 v16, 3, v0
	s_ashr_i32 s1, s6, 31
	s_ashr_i32 s7, s10, 31
	s_lshl_b32 s10, s6, 7
	s_and_saveexec_b32 s13, s0
	s_cbranch_execz .LBB285_5
; %bb.4:
	s_load_dwordx2 s[14:15], s[4:5], 0x18
	s_waitcnt lgkmcnt(0)
	s_mul_i32 s20, s16, s30
	v_lshlrev_b32_e32 v3, 3, v12
	s_ashr_i32 s21, s20, 31
	s_lshl_b64 s[20:21], s[20:21], 1
	v_lshl_add_u32 v3, v13, 7, v3
	s_add_u32 s16, s14, s20
	s_addc_u32 s19, s15, s21
	s_ashr_i32 s11, s10, 31
	s_lshl_b64 s[14:15], s[10:11], 1
	s_add_u32 s14, s16, s14
	s_addc_u32 s15, s19, s15
	global_load_dwordx2 v[1:2], v16, s[14:15]
	s_waitcnt vmcnt(0)
	ds_write_b64 v3, v[1:2]
.LBB285_5:
	s_or_b32 exec_lo, exec_lo, s13
	s_load_dwordx4 s[20:23], s[4:5], 0x78
	s_mul_i32 s11, s12, s2
	s_xor_b32 s1, s1, s7
	s_sub_i32 s3, s3, s11
	s_add_i32 s7, s12, 1
	s_sub_i32 s11, s3, s2
	s_cmp_ge_u32 s3, s2
	s_mov_b32 s13, -1
	s_cselect_b32 s7, s7, s12
	s_cselect_b32 s3, s11, s3
	s_add_i32 s11, s7, 1
	s_cmp_ge_u32 s3, s2
                                        ; implicit-def: $sgpr19
	s_cselect_b32 s2, s11, s7
	s_load_dword s7, s[4:5], 0x88
	s_xor_b32 s2, s2, s1
	s_add_i32 s12, s31, -1
	s_sub_i32 s2, s2, s1
	s_abs_i32 s3, s12
	s_waitcnt lgkmcnt(0)
	s_abs_i32 s11, s23
	s_barrier
	v_cvt_f32_u32_e32 v1, s11
	s_sub_i32 s1, 0, s11
	buffer_gl0_inv
	v_rcp_iflag_f32_e32 v1, v1
	v_mul_f32_e32 v1, 0x4f7ffffe, v1
	v_cvt_u32_f32_e32 v1, v1
	v_readfirstlane_b32 s16, v1
	s_mul_i32 s1, s1, s16
	s_mul_hi_u32 s1, s16, s1
	s_add_i32 s16, s16, s1
	s_cmp_lt_i32 s7, 0
	s_mul_hi_u32 s1, s3, s16
	s_cbranch_scc0 .LBB285_7
; %bb.6:
	s_mul_i32 s13, s20, s40
	s_add_i32 s13, s2, s13
	s_mul_i32 s13, s13, s7
	s_sub_i32 s19, 1, s13
	s_mov_b32 s13, 0
.LBB285_7:
	s_load_dwordx2 s[34:35], s[4:5], 0x38
	s_ashr_i32 s33, s12, 31
	s_andn2_b32 vcc_lo, exec_lo, s13
	s_ashr_i32 s23, s23, 31
	s_cbranch_vccnz .LBB285_9
; %bb.8:
	s_mul_i32 s12, s9, s20
	s_add_i32 s12, s12, s6
	s_mul_i32 s7, s12, s7
	s_add_i32 s19, s7, 1
.LBB285_9:
	s_clause 0x5
	s_load_dword s20, s[4:5], 0x48
	s_load_dwordx2 s[38:39], s[4:5], 0x28
	s_load_dwordx4 s[24:27], s[4:5], 0x0
	s_load_dwordx2 s[28:29], s[4:5], 0x10
	s_load_dword s7, s[4:5], 0x98
	s_load_dwordx4 s[12:15], s[4:5], 0x68
	s_xor_b32 s40, s33, s23
	s_mul_i32 s33, s1, s11
	s_add_i32 s44, s1, 1
	s_sub_i32 s3, s3, s33
	v_lshrrev_b32_e32 v14, 5, v0
	v_mov_b32_e32 v18, 0xff7fffff
	v_mbcnt_lo_u32_b32 v17, -1, 0
	s_mul_i32 s18, s2, s18
	v_lshl_add_u32 v15, v14, 4, s42
	s_waitcnt lgkmcnt(0)
	s_mul_i32 s36, s20, s30
	s_sub_i32 s20, s3, s11
	s_ashr_i32 s37, s36, 31
	s_cmp_ge_u32 s3, s11
	s_cselect_b32 s1, s44, s1
	s_cselect_b32 s3, s20, s3
	s_add_i32 s20, s1, 1
	s_cmp_ge_u32 s3, s11
	s_cselect_b32 s1, s20, s1
	s_add_i32 s3, s31, 15
	s_lshl_b32 s44, s8, 5
	s_ashr_i32 s20, s3, 31
	v_or_b32_e32 v1, s44, v14
	s_lshr_b32 s20, s20, 28
	s_add_i32 s3, s3, s20
	s_add_i32 s20, s44, 32
	s_ashr_i32 s33, s3, 4
	s_xor_b32 s3, s1, s40
	s_min_i32 s20, s20, s33
	v_ashrrev_i32_e32 v2, 31, v1
	v_cmp_gt_i32_e64 s1, s20, v1
	s_sub_i32 s40, s3, s40
	s_and_saveexec_b32 s45, s1
	s_cbranch_execz .LBB285_533
; %bb.10:
	s_load_dwordx2 s[2:3], s[4:5], 0x20
	s_sub_i32 s5, s40, s21
	s_ashr_i32 s4, s18, 31
	v_bfe_u32 v19, v0, 1, 4
	v_lshlrev_b64 v[5:6], 2, v[1:2]
	v_lshlrev_b32_e32 v7, 2, v13
	v_mov_b32_e32 v4, 0
	v_lshlrev_b32_e32 v20, 7, v13
	v_lshlrev_b32_e32 v8, 2, v19
	v_subrev_nc_u32_e32 v9, s31, v19
	v_lshlrev_b32_e32 v10, 4, v19
	v_lshl_add_u32 v21, v14, 4, s42
	v_mov_b32_e32 v22, 0xff7fffff
	v_lshl_or_b32 v8, v14, 6, v8
	v_add_nc_u32_e32 v27, 1, v9
	v_mov_b32_e32 v23, 0x80
	v_mov_b32_e32 v24, 0x7f
	;; [unrolled: 1-line block ×3, first 2 shown]
	v_add_nc_u32_e32 v28, 0x120, v8
	v_mov_b32_e32 v26, 8
	s_waitcnt lgkmcnt(0)
	s_add_u32 s47, s2, s18
	s_addc_u32 s3, s3, s4
	s_abs_i32 s46, s22
	s_lshl_b64 s[48:49], s[36:37], 2
	v_cvt_f32_u32_e32 v3, s46
	s_sub_i32 s4, 0, s46
	v_cmp_neq_f32_e64 s2, s43, 0
	v_mov_b32_e32 v18, 0xff7fffff
	v_mov_b32_e32 v30, v1
	v_rcp_iflag_f32_e32 v3, v3
	v_cmp_eq_u32_e32 vcc_lo, 0, v13
	v_mul_f32_e32 v3, 0x4f7ffffe, v3
	v_cvt_u32_f32_e32 v3, v3
	v_mul_lo_u32 v8, s4, v3
	v_add_co_u32 v9, s4, s47, v10
	v_add_co_ci_u32_e64 v10, null, s3, 0, s4
	s_add_u32 s3, s34, s48
	s_addc_u32 s4, s35, s49
	v_add_co_u32 v5, s3, s3, v5
	v_mul_hi_u32 v11, v3, v8
	v_add_co_ci_u32_e64 v6, null, s4, v6, s3
	v_add_co_u32 v7, s3, v9, v7
	v_add_co_ci_u32_e64 v8, null, 0, v10, s3
	s_mov_b32 s47, 0
	v_add_nc_u32_e32 v29, v3, v11
	s_mov_b32 s48, s17
	s_branch .LBB285_13
.LBB285_11:                             ;   in Loop: Header=BB285_13 Depth=1
	s_or_b32 exec_lo, exec_lo, s49
.LBB285_12:                             ;   in Loop: Header=BB285_13 Depth=1
	s_or_b32 exec_lo, exec_lo, s4
	v_add_nc_u32_e32 v30, 4, v30
	v_add_co_u32 v5, s4, v5, 16
	v_add_co_ci_u32_e64 v6, null, 0, v6, s4
	v_cmp_le_i32_e64 s3, s20, v30
	v_add_nc_u32_e32 v21, 64, v21
	v_add_nc_u32_e32 v28, 0x100, v28
	s_or_b32 s47, s3, s47
	s_andn2_b32 exec_lo, exec_lo, s47
	s_cbranch_execz .LBB285_532
.LBB285_13:                             ; =>This Inner Loop Header: Depth=1
	v_sub_nc_u32_e32 v3, 0, v21
	v_max_i32_e32 v3, v21, v3
	s_waitcnt lgkmcnt(0)
	v_mul_hi_u32 v9, v3, s16
	v_mul_lo_u32 v10, v9, s11
	v_sub_nc_u32_e32 v3, v3, v10
	v_add_nc_u32_e32 v10, 1, v9
	v_subrev_nc_u32_e32 v11, s11, v3
	v_cmp_le_u32_e64 s3, s11, v3
	v_cndmask_b32_e64 v9, v9, v10, s3
	v_cndmask_b32_e64 v3, v3, v11, s3
	v_ashrrev_i32_e32 v10, 31, v21
	v_add_nc_u32_e32 v11, 1, v9
	v_cmp_le_u32_e64 s3, s11, v3
	v_xor_b32_e32 v10, s23, v10
	v_cndmask_b32_e64 v3, v9, v11, s3
	v_xor_b32_e32 v3, v3, v10
	v_sub_nc_u32_e32 v3, v3, v10
	v_add_nc_u32_e32 v9, s19, v3
	v_cmp_ge_i32_e64 s4, s5, v3
	v_sub_nc_u32_e32 v10, 0, v9
	v_max_i32_e32 v10, v9, v10
	v_ashrrev_i32_e32 v9, 31, v9
	v_mul_hi_u32 v11, v10, v29
	v_mul_lo_u32 v11, v11, s46
	v_sub_nc_u32_e32 v10, v10, v11
	v_subrev_nc_u32_e32 v11, s46, v10
	v_cmp_le_u32_e64 s3, s46, v10
	v_cndmask_b32_e64 v10, v10, v11, s3
	v_subrev_nc_u32_e32 v11, s46, v10
	v_cmp_le_u32_e64 s3, s46, v10
	v_cndmask_b32_e64 v10, v10, v11, s3
	v_xor_b32_e32 v10, v10, v9
	v_sub_nc_u32_e32 v9, v10, v9
	v_cmp_ne_u32_e64 s3, 0, v9
	s_and_b32 s3, s3, s4
	s_and_saveexec_b32 s4, s3
	s_xor_b32 s3, exec_lo, s4
	s_cbranch_execz .LBB285_17
; %bb.14:                               ;   in Loop: Header=BB285_13 Depth=1
	s_and_saveexec_b32 s4, vcc_lo
; %bb.15:                               ;   in Loop: Header=BB285_13 Depth=1
	ds_write_b32 v28, v22
; %bb.16:                               ;   in Loop: Header=BB285_13 Depth=1
	s_or_b32 exec_lo, exec_lo, s4
.LBB285_17:                             ;   in Loop: Header=BB285_13 Depth=1
	s_andn2_saveexec_b32 s4, s3
	s_cbranch_execz .LBB285_12
; %bb.18:                               ;   in Loop: Header=BB285_13 Depth=1
	global_load_dword v3, v[5:6], off
	v_mov_b32_e32 v32, 0
	v_mov_b32_e32 v33, 0
	global_load_dword v31, v32, s[12:13]
	s_waitcnt vmcnt(1)
	v_mad_i64_i32 v[9:10], null, v3, s48, v[7:8]
	global_load_dword v11, v[9:10], off
	s_waitcnt vmcnt(0)
	v_cmp_ne_u16_sdwa s3, v11, v4 src0_sel:BYTE_0 src1_sel:DWORD
	s_and_saveexec_b32 s49, s3
	s_cbranch_execz .LBB285_26
; %bb.19:                               ;   in Loop: Header=BB285_13 Depth=1
	v_cmp_ne_u16_sdwa s3, v11, v23 src0_sel:BYTE_0 src1_sel:DWORD
	v_mov_b32_e32 v33, 0x8000
	s_and_saveexec_b32 s50, s3
	s_cbranch_execz .LBB285_25
; %bb.20:                               ;   in Loop: Header=BB285_13 Depth=1
	v_and_b32_e32 v34, 0x7f, v11
	v_mov_b32_e32 v33, 0x7c01
	s_mov_b32 s51, exec_lo
	v_cmpx_ne_u32_e32 0x7f, v34
	s_cbranch_execz .LBB285_24
; %bb.21:                               ;   in Loop: Header=BB285_13 Depth=1
	v_and_b32_e32 v3, 7, v11
	v_lshrrev_b32_e32 v33, 3, v34
	s_mov_b32 s52, exec_lo
	v_cmpx_gt_u32_e32 8, v34
; %bb.22:                               ;   in Loop: Header=BB285_13 Depth=1
	v_ffbh_u32_e32 v3, v3
	v_min_u32_e32 v3, 32, v3
	v_subrev_nc_u32_e32 v33, 28, v3
	v_lshlrev_b64 v[34:35], v33, v[11:12]
	v_sub_nc_u32_e32 v33, 29, v3
	v_and_b32_e32 v3, 7, v34
; %bb.23:                               ;   in Loop: Header=BB285_13 Depth=1
	s_or_b32 exec_lo, exec_lo, s52
	v_lshlrev_b32_e32 v34, 8, v11
	v_lshl_add_u32 v33, v33, 10, 0x2000
	v_lshlrev_b32_e32 v3, 7, v3
	v_and_b32_e32 v34, 0x8000, v34
	v_and_b32_e32 v33, 0xfc00, v33
	v_or3_b32 v33, v34, v33, v3
.LBB285_24:                             ;   in Loop: Header=BB285_13 Depth=1
	s_or_b32 exec_lo, exec_lo, s51
.LBB285_25:                             ;   in Loop: Header=BB285_13 Depth=1
	s_or_b32 exec_lo, exec_lo, s50
.LBB285_26:                             ;   in Loop: Header=BB285_13 Depth=1
	s_or_b32 exec_lo, exec_lo, s49
	v_lshrrev_b16 v3, 8, v11
	s_mov_b32 s49, exec_lo
	v_cmpx_ne_u16_e32 0, v3
	s_cbranch_execz .LBB285_34
; %bb.27:                               ;   in Loop: Header=BB285_13 Depth=1
	v_bfrev_b32_e32 v32, 1
	s_mov_b32 s50, exec_lo
	v_cmpx_ne_u16_e32 0x80, v3
	s_cbranch_execz .LBB285_33
; %bb.28:                               ;   in Loop: Header=BB285_13 Depth=1
	v_and_b32_sdwa v35, v3, v24 dst_sel:DWORD dst_unused:UNUSED_PAD src0_sel:WORD_0 src1_sel:DWORD
	v_mov_b32_e32 v32, 0x7c010000
	s_mov_b32 s51, exec_lo
	v_cmpx_ne_u32_e32 0x7f, v35
	s_cbranch_execz .LBB285_32
; %bb.29:                               ;   in Loop: Header=BB285_13 Depth=1
	v_and_b32_sdwa v32, v3, v25 dst_sel:DWORD dst_unused:UNUSED_PAD src0_sel:WORD_0 src1_sel:DWORD
	v_lshrrev_b32_e32 v34, 3, v35
	s_mov_b32 s52, exec_lo
	v_cmpx_gt_u32_e32 8, v35
; %bb.30:                               ;   in Loop: Header=BB285_13 Depth=1
	v_ffbh_u32_e32 v32, v32
	v_min_u32_e32 v32, 32, v32
	v_subrev_nc_u32_e32 v34, 28, v32
	v_lshlrev_b64 v[35:36], v34, v[3:4]
	v_sub_nc_u32_e32 v34, 29, v32
	v_and_b32_e32 v32, 7, v35
; %bb.31:                               ;   in Loop: Header=BB285_13 Depth=1
	s_or_b32 exec_lo, exec_lo, s52
	v_lshlrev_b32_sdwa v3, v26, v3 dst_sel:DWORD dst_unused:UNUSED_PAD src0_sel:DWORD src1_sel:WORD_0
	v_lshl_add_u32 v34, v34, 10, 0x2000
	v_lshlrev_b32_e32 v32, 23, v32
	v_and_or_b32 v3, 0x8000, v3, v34
	v_lshl_or_b32 v32, v3, 16, v32
.LBB285_32:                             ;   in Loop: Header=BB285_13 Depth=1
	s_or_b32 exec_lo, exec_lo, s51
.LBB285_33:                             ;   in Loop: Header=BB285_13 Depth=1
	s_or_b32 exec_lo, exec_lo, s50
.LBB285_34:                             ;   in Loop: Header=BB285_13 Depth=1
	s_or_b32 exec_lo, exec_lo, s49
	v_lshrrev_b32_e32 v3, 16, v11
	v_mov_b32_e32 v34, 0
	v_mov_b32_e32 v35, 0
	v_cmp_ne_u16_sdwa s3, v3, v4 src0_sel:BYTE_0 src1_sel:DWORD
	s_and_saveexec_b32 s49, s3
	s_cbranch_execz .LBB285_42
; %bb.35:                               ;   in Loop: Header=BB285_13 Depth=1
	v_cmp_ne_u16_sdwa s3, v3, v23 src0_sel:BYTE_0 src1_sel:DWORD
	v_mov_b32_e32 v35, 0x8000
	s_and_saveexec_b32 s50, s3
	s_cbranch_execz .LBB285_41
; %bb.36:                               ;   in Loop: Header=BB285_13 Depth=1
	v_bfe_u32 v37, v11, 16, 7
	v_mov_b32_e32 v35, 0x7c01
	s_mov_b32 s51, exec_lo
	v_cmpx_ne_u32_e32 0x7f, v37
	s_cbranch_execz .LBB285_40
; %bb.37:                               ;   in Loop: Header=BB285_13 Depth=1
	v_and_b32_e32 v35, 7, v3
	v_lshrrev_b32_e32 v36, 3, v37
	s_mov_b32 s52, exec_lo
	v_cmpx_gt_u32_e32 8, v37
; %bb.38:                               ;   in Loop: Header=BB285_13 Depth=1
	v_ffbh_u32_e32 v35, v35
	v_min_u32_e32 v37, 32, v35
	v_subrev_nc_u32_e32 v35, 28, v37
	v_lshlrev_b64 v[35:36], v35, v[3:4]
	v_sub_nc_u32_e32 v36, 29, v37
	v_and_b32_e32 v35, 7, v35
; %bb.39:                               ;   in Loop: Header=BB285_13 Depth=1
	s_or_b32 exec_lo, exec_lo, s52
	v_lshlrev_b32_e32 v3, 8, v3
	v_lshl_add_u32 v36, v36, 10, 0x2000
	v_lshlrev_b32_e32 v35, 7, v35
	v_and_b32_e32 v3, 0x8000, v3
	v_and_b32_e32 v36, 0xfc00, v36
	v_or3_b32 v35, v3, v36, v35
.LBB285_40:                             ;   in Loop: Header=BB285_13 Depth=1
	s_or_b32 exec_lo, exec_lo, s51
.LBB285_41:                             ;   in Loop: Header=BB285_13 Depth=1
	s_or_b32 exec_lo, exec_lo, s50
.LBB285_42:                             ;   in Loop: Header=BB285_13 Depth=1
	s_or_b32 exec_lo, exec_lo, s49
	s_mov_b32 s49, exec_lo
	v_cmpx_lt_u32_e32 0xffffff, v11
	s_cbranch_execz .LBB285_50
; %bb.43:                               ;   in Loop: Header=BB285_13 Depth=1
	v_lshrrev_b32_e32 v3, 24, v11
	v_bfrev_b32_e32 v34, 1
	s_mov_b32 s50, exec_lo
	v_cmpx_ne_u32_e32 0x80, v3
	s_cbranch_execz .LBB285_49
; %bb.44:                               ;   in Loop: Header=BB285_13 Depth=1
	v_and_b32_e32 v36, 0x7f, v3
	v_mov_b32_e32 v34, 0x7c010000
	s_mov_b32 s51, exec_lo
	v_cmpx_ne_u32_e32 0x7f, v36
	s_cbranch_execz .LBB285_48
; %bb.45:                               ;   in Loop: Header=BB285_13 Depth=1
	v_and_b32_e32 v11, 7, v3
	v_lshrrev_b32_e32 v34, 3, v36
	s_mov_b32 s52, exec_lo
	v_cmpx_gt_u32_e32 8, v36
; %bb.46:                               ;   in Loop: Header=BB285_13 Depth=1
	v_ffbh_u32_e32 v11, v11
	v_min_u32_e32 v11, 32, v11
	v_subrev_nc_u32_e32 v34, 28, v11
	v_lshlrev_b64 v[36:37], v34, v[3:4]
	v_sub_nc_u32_e32 v34, 29, v11
	v_and_b32_e32 v11, 7, v36
; %bb.47:                               ;   in Loop: Header=BB285_13 Depth=1
	s_or_b32 exec_lo, exec_lo, s52
	v_lshlrev_b32_e32 v3, 8, v3
	v_lshl_add_u32 v34, v34, 10, 0x2000
	v_lshlrev_b32_e32 v11, 23, v11
	v_and_or_b32 v3, 0x8000, v3, v34
	v_lshl_or_b32 v34, v3, 16, v11
.LBB285_48:                             ;   in Loop: Header=BB285_13 Depth=1
	s_or_b32 exec_lo, exec_lo, s51
.LBB285_49:                             ;   in Loop: Header=BB285_13 Depth=1
	s_or_b32 exec_lo, exec_lo, s50
.LBB285_50:                             ;   in Loop: Header=BB285_13 Depth=1
	s_or_b32 exec_lo, exec_lo, s49
	global_load_dword v11, v[9:10], off offset:8
	v_mov_b32_e32 v36, 0
	v_mov_b32_e32 v37, 0
	s_waitcnt vmcnt(0)
	v_cmp_ne_u16_sdwa s3, v11, v4 src0_sel:BYTE_0 src1_sel:DWORD
	s_and_saveexec_b32 s49, s3
	s_cbranch_execz .LBB285_58
; %bb.51:                               ;   in Loop: Header=BB285_13 Depth=1
	v_cmp_ne_u16_sdwa s3, v11, v23 src0_sel:BYTE_0 src1_sel:DWORD
	v_mov_b32_e32 v37, 0x8000
	s_and_saveexec_b32 s50, s3
	s_cbranch_execz .LBB285_57
; %bb.52:                               ;   in Loop: Header=BB285_13 Depth=1
	v_and_b32_e32 v38, 0x7f, v11
	v_mov_b32_e32 v37, 0x7c01
	s_mov_b32 s51, exec_lo
	v_cmpx_ne_u32_e32 0x7f, v38
	s_cbranch_execz .LBB285_56
; %bb.53:                               ;   in Loop: Header=BB285_13 Depth=1
	v_and_b32_e32 v3, 7, v11
	v_lshrrev_b32_e32 v37, 3, v38
	s_mov_b32 s52, exec_lo
	v_cmpx_gt_u32_e32 8, v38
; %bb.54:                               ;   in Loop: Header=BB285_13 Depth=1
	v_ffbh_u32_e32 v3, v3
	v_min_u32_e32 v3, 32, v3
	v_subrev_nc_u32_e32 v37, 28, v3
	v_lshlrev_b64 v[38:39], v37, v[11:12]
	v_sub_nc_u32_e32 v37, 29, v3
	v_and_b32_e32 v3, 7, v38
; %bb.55:                               ;   in Loop: Header=BB285_13 Depth=1
	s_or_b32 exec_lo, exec_lo, s52
	v_lshlrev_b32_e32 v38, 8, v11
	v_lshl_add_u32 v37, v37, 10, 0x2000
	v_lshlrev_b32_e32 v3, 7, v3
	v_and_b32_e32 v38, 0x8000, v38
	v_and_b32_e32 v37, 0xfc00, v37
	v_or3_b32 v37, v38, v37, v3
.LBB285_56:                             ;   in Loop: Header=BB285_13 Depth=1
	s_or_b32 exec_lo, exec_lo, s51
.LBB285_57:                             ;   in Loop: Header=BB285_13 Depth=1
	s_or_b32 exec_lo, exec_lo, s50
.LBB285_58:                             ;   in Loop: Header=BB285_13 Depth=1
	s_or_b32 exec_lo, exec_lo, s49
	v_lshrrev_b16 v3, 8, v11
	s_mov_b32 s49, exec_lo
	v_cmpx_ne_u16_e32 0, v3
	s_cbranch_execz .LBB285_66
; %bb.59:                               ;   in Loop: Header=BB285_13 Depth=1
	v_bfrev_b32_e32 v36, 1
	s_mov_b32 s50, exec_lo
	v_cmpx_ne_u16_e32 0x80, v3
	s_cbranch_execz .LBB285_65
; %bb.60:                               ;   in Loop: Header=BB285_13 Depth=1
	v_and_b32_sdwa v39, v3, v24 dst_sel:DWORD dst_unused:UNUSED_PAD src0_sel:WORD_0 src1_sel:DWORD
	v_mov_b32_e32 v36, 0x7c010000
	s_mov_b32 s51, exec_lo
	v_cmpx_ne_u32_e32 0x7f, v39
	s_cbranch_execz .LBB285_64
; %bb.61:                               ;   in Loop: Header=BB285_13 Depth=1
	v_and_b32_sdwa v36, v3, v25 dst_sel:DWORD dst_unused:UNUSED_PAD src0_sel:WORD_0 src1_sel:DWORD
	v_lshrrev_b32_e32 v38, 3, v39
	s_mov_b32 s52, exec_lo
	v_cmpx_gt_u32_e32 8, v39
; %bb.62:                               ;   in Loop: Header=BB285_13 Depth=1
	v_ffbh_u32_e32 v36, v36
	v_min_u32_e32 v36, 32, v36
	v_subrev_nc_u32_e32 v38, 28, v36
	v_lshlrev_b64 v[39:40], v38, v[3:4]
	v_sub_nc_u32_e32 v38, 29, v36
	v_and_b32_e32 v36, 7, v39
; %bb.63:                               ;   in Loop: Header=BB285_13 Depth=1
	s_or_b32 exec_lo, exec_lo, s52
	v_lshlrev_b32_sdwa v3, v26, v3 dst_sel:DWORD dst_unused:UNUSED_PAD src0_sel:DWORD src1_sel:WORD_0
	v_lshl_add_u32 v38, v38, 10, 0x2000
	v_lshlrev_b32_e32 v36, 23, v36
	v_and_or_b32 v3, 0x8000, v3, v38
	v_lshl_or_b32 v36, v3, 16, v36
.LBB285_64:                             ;   in Loop: Header=BB285_13 Depth=1
	s_or_b32 exec_lo, exec_lo, s51
.LBB285_65:                             ;   in Loop: Header=BB285_13 Depth=1
	s_or_b32 exec_lo, exec_lo, s50
.LBB285_66:                             ;   in Loop: Header=BB285_13 Depth=1
	s_or_b32 exec_lo, exec_lo, s49
	v_lshrrev_b32_e32 v3, 16, v11
	v_mov_b32_e32 v38, 0
	v_mov_b32_e32 v39, 0
	v_cmp_ne_u16_sdwa s3, v3, v4 src0_sel:BYTE_0 src1_sel:DWORD
	s_and_saveexec_b32 s49, s3
	s_cbranch_execz .LBB285_74
; %bb.67:                               ;   in Loop: Header=BB285_13 Depth=1
	v_cmp_ne_u16_sdwa s3, v3, v23 src0_sel:BYTE_0 src1_sel:DWORD
	v_mov_b32_e32 v39, 0x8000
	s_and_saveexec_b32 s50, s3
	s_cbranch_execz .LBB285_73
; %bb.68:                               ;   in Loop: Header=BB285_13 Depth=1
	v_bfe_u32 v41, v11, 16, 7
	v_mov_b32_e32 v39, 0x7c01
	s_mov_b32 s51, exec_lo
	v_cmpx_ne_u32_e32 0x7f, v41
	s_cbranch_execz .LBB285_72
; %bb.69:                               ;   in Loop: Header=BB285_13 Depth=1
	v_and_b32_e32 v39, 7, v3
	v_lshrrev_b32_e32 v40, 3, v41
	s_mov_b32 s52, exec_lo
	v_cmpx_gt_u32_e32 8, v41
; %bb.70:                               ;   in Loop: Header=BB285_13 Depth=1
	v_ffbh_u32_e32 v39, v39
	v_min_u32_e32 v41, 32, v39
	v_subrev_nc_u32_e32 v39, 28, v41
	v_lshlrev_b64 v[39:40], v39, v[3:4]
	v_sub_nc_u32_e32 v40, 29, v41
	v_and_b32_e32 v39, 7, v39
; %bb.71:                               ;   in Loop: Header=BB285_13 Depth=1
	s_or_b32 exec_lo, exec_lo, s52
	v_lshlrev_b32_e32 v3, 8, v3
	v_lshl_add_u32 v40, v40, 10, 0x2000
	v_lshlrev_b32_e32 v39, 7, v39
	v_and_b32_e32 v3, 0x8000, v3
	v_and_b32_e32 v40, 0xfc00, v40
	v_or3_b32 v39, v3, v40, v39
.LBB285_72:                             ;   in Loop: Header=BB285_13 Depth=1
	s_or_b32 exec_lo, exec_lo, s51
.LBB285_73:                             ;   in Loop: Header=BB285_13 Depth=1
	s_or_b32 exec_lo, exec_lo, s50
.LBB285_74:                             ;   in Loop: Header=BB285_13 Depth=1
	s_or_b32 exec_lo, exec_lo, s49
	s_mov_b32 s49, exec_lo
	v_cmpx_lt_u32_e32 0xffffff, v11
	s_cbranch_execz .LBB285_82
; %bb.75:                               ;   in Loop: Header=BB285_13 Depth=1
	v_lshrrev_b32_e32 v3, 24, v11
	v_bfrev_b32_e32 v38, 1
	s_mov_b32 s50, exec_lo
	v_cmpx_ne_u32_e32 0x80, v3
	s_cbranch_execz .LBB285_81
; %bb.76:                               ;   in Loop: Header=BB285_13 Depth=1
	v_and_b32_e32 v40, 0x7f, v3
	v_mov_b32_e32 v38, 0x7c010000
	s_mov_b32 s51, exec_lo
	v_cmpx_ne_u32_e32 0x7f, v40
	s_cbranch_execz .LBB285_80
; %bb.77:                               ;   in Loop: Header=BB285_13 Depth=1
	v_and_b32_e32 v11, 7, v3
	v_lshrrev_b32_e32 v38, 3, v40
	s_mov_b32 s52, exec_lo
	v_cmpx_gt_u32_e32 8, v40
; %bb.78:                               ;   in Loop: Header=BB285_13 Depth=1
	v_ffbh_u32_e32 v11, v11
	v_min_u32_e32 v11, 32, v11
	v_subrev_nc_u32_e32 v38, 28, v11
	v_lshlrev_b64 v[40:41], v38, v[3:4]
	v_sub_nc_u32_e32 v38, 29, v11
	v_and_b32_e32 v11, 7, v40
; %bb.79:                               ;   in Loop: Header=BB285_13 Depth=1
	s_or_b32 exec_lo, exec_lo, s52
	v_lshlrev_b32_e32 v3, 8, v3
	v_lshl_add_u32 v38, v38, 10, 0x2000
	v_lshlrev_b32_e32 v11, 23, v11
	v_and_or_b32 v3, 0x8000, v3, v38
	v_lshl_or_b32 v38, v3, 16, v11
.LBB285_80:                             ;   in Loop: Header=BB285_13 Depth=1
	s_or_b32 exec_lo, exec_lo, s51
.LBB285_81:                             ;   in Loop: Header=BB285_13 Depth=1
	s_or_b32 exec_lo, exec_lo, s50
.LBB285_82:                             ;   in Loop: Header=BB285_13 Depth=1
	s_or_b32 exec_lo, exec_lo, s49
	global_load_dword v11, v[9:10], off offset:256
	v_mov_b32_e32 v40, 0
	v_mov_b32_e32 v41, 0
	s_waitcnt vmcnt(0)
	v_cmp_ne_u16_sdwa s3, v11, v4 src0_sel:BYTE_0 src1_sel:DWORD
	s_and_saveexec_b32 s49, s3
	s_cbranch_execz .LBB285_90
; %bb.83:                               ;   in Loop: Header=BB285_13 Depth=1
	v_cmp_ne_u16_sdwa s3, v11, v23 src0_sel:BYTE_0 src1_sel:DWORD
	v_mov_b32_e32 v41, 0x8000
	s_and_saveexec_b32 s50, s3
	s_cbranch_execz .LBB285_89
; %bb.84:                               ;   in Loop: Header=BB285_13 Depth=1
	v_and_b32_e32 v42, 0x7f, v11
	v_mov_b32_e32 v41, 0x7c01
	s_mov_b32 s51, exec_lo
	v_cmpx_ne_u32_e32 0x7f, v42
	s_cbranch_execz .LBB285_88
; %bb.85:                               ;   in Loop: Header=BB285_13 Depth=1
	v_and_b32_e32 v3, 7, v11
	v_lshrrev_b32_e32 v41, 3, v42
	s_mov_b32 s52, exec_lo
	v_cmpx_gt_u32_e32 8, v42
; %bb.86:                               ;   in Loop: Header=BB285_13 Depth=1
	v_ffbh_u32_e32 v3, v3
	v_min_u32_e32 v3, 32, v3
	v_subrev_nc_u32_e32 v41, 28, v3
	v_lshlrev_b64 v[42:43], v41, v[11:12]
	v_sub_nc_u32_e32 v41, 29, v3
	v_and_b32_e32 v3, 7, v42
; %bb.87:                               ;   in Loop: Header=BB285_13 Depth=1
	s_or_b32 exec_lo, exec_lo, s52
	v_lshlrev_b32_e32 v42, 8, v11
	v_lshl_add_u32 v41, v41, 10, 0x2000
	v_lshlrev_b32_e32 v3, 7, v3
	v_and_b32_e32 v42, 0x8000, v42
	v_and_b32_e32 v41, 0xfc00, v41
	v_or3_b32 v41, v42, v41, v3
.LBB285_88:                             ;   in Loop: Header=BB285_13 Depth=1
	s_or_b32 exec_lo, exec_lo, s51
.LBB285_89:                             ;   in Loop: Header=BB285_13 Depth=1
	s_or_b32 exec_lo, exec_lo, s50
.LBB285_90:                             ;   in Loop: Header=BB285_13 Depth=1
	s_or_b32 exec_lo, exec_lo, s49
	v_lshrrev_b16 v3, 8, v11
	s_mov_b32 s49, exec_lo
	v_cmpx_ne_u16_e32 0, v3
	s_cbranch_execz .LBB285_98
; %bb.91:                               ;   in Loop: Header=BB285_13 Depth=1
	v_bfrev_b32_e32 v40, 1
	s_mov_b32 s50, exec_lo
	v_cmpx_ne_u16_e32 0x80, v3
	s_cbranch_execz .LBB285_97
; %bb.92:                               ;   in Loop: Header=BB285_13 Depth=1
	v_and_b32_sdwa v43, v3, v24 dst_sel:DWORD dst_unused:UNUSED_PAD src0_sel:WORD_0 src1_sel:DWORD
	v_mov_b32_e32 v40, 0x7c010000
	s_mov_b32 s51, exec_lo
	v_cmpx_ne_u32_e32 0x7f, v43
	s_cbranch_execz .LBB285_96
; %bb.93:                               ;   in Loop: Header=BB285_13 Depth=1
	v_and_b32_sdwa v40, v3, v25 dst_sel:DWORD dst_unused:UNUSED_PAD src0_sel:WORD_0 src1_sel:DWORD
	v_lshrrev_b32_e32 v42, 3, v43
	s_mov_b32 s52, exec_lo
	v_cmpx_gt_u32_e32 8, v43
; %bb.94:                               ;   in Loop: Header=BB285_13 Depth=1
	v_ffbh_u32_e32 v40, v40
	v_min_u32_e32 v40, 32, v40
	v_subrev_nc_u32_e32 v42, 28, v40
	v_lshlrev_b64 v[43:44], v42, v[3:4]
	v_sub_nc_u32_e32 v42, 29, v40
	v_and_b32_e32 v40, 7, v43
; %bb.95:                               ;   in Loop: Header=BB285_13 Depth=1
	s_or_b32 exec_lo, exec_lo, s52
	v_lshlrev_b32_sdwa v3, v26, v3 dst_sel:DWORD dst_unused:UNUSED_PAD src0_sel:DWORD src1_sel:WORD_0
	v_lshl_add_u32 v42, v42, 10, 0x2000
	v_lshlrev_b32_e32 v40, 23, v40
	v_and_or_b32 v3, 0x8000, v3, v42
	v_lshl_or_b32 v40, v3, 16, v40
.LBB285_96:                             ;   in Loop: Header=BB285_13 Depth=1
	s_or_b32 exec_lo, exec_lo, s51
.LBB285_97:                             ;   in Loop: Header=BB285_13 Depth=1
	s_or_b32 exec_lo, exec_lo, s50
.LBB285_98:                             ;   in Loop: Header=BB285_13 Depth=1
	s_or_b32 exec_lo, exec_lo, s49
	v_lshrrev_b32_e32 v3, 16, v11
	v_mov_b32_e32 v42, 0
	v_mov_b32_e32 v43, 0
	v_cmp_ne_u16_sdwa s3, v3, v4 src0_sel:BYTE_0 src1_sel:DWORD
	s_and_saveexec_b32 s49, s3
	s_cbranch_execz .LBB285_106
; %bb.99:                               ;   in Loop: Header=BB285_13 Depth=1
	v_cmp_ne_u16_sdwa s3, v3, v23 src0_sel:BYTE_0 src1_sel:DWORD
	v_mov_b32_e32 v43, 0x8000
	s_and_saveexec_b32 s50, s3
	s_cbranch_execz .LBB285_105
; %bb.100:                              ;   in Loop: Header=BB285_13 Depth=1
	v_bfe_u32 v45, v11, 16, 7
	v_mov_b32_e32 v43, 0x7c01
	s_mov_b32 s51, exec_lo
	v_cmpx_ne_u32_e32 0x7f, v45
	s_cbranch_execz .LBB285_104
; %bb.101:                              ;   in Loop: Header=BB285_13 Depth=1
	v_and_b32_e32 v43, 7, v3
	v_lshrrev_b32_e32 v44, 3, v45
	s_mov_b32 s52, exec_lo
	v_cmpx_gt_u32_e32 8, v45
; %bb.102:                              ;   in Loop: Header=BB285_13 Depth=1
	v_ffbh_u32_e32 v43, v43
	v_min_u32_e32 v45, 32, v43
	v_subrev_nc_u32_e32 v43, 28, v45
	v_lshlrev_b64 v[43:44], v43, v[3:4]
	v_sub_nc_u32_e32 v44, 29, v45
	v_and_b32_e32 v43, 7, v43
; %bb.103:                              ;   in Loop: Header=BB285_13 Depth=1
	s_or_b32 exec_lo, exec_lo, s52
	v_lshlrev_b32_e32 v3, 8, v3
	v_lshl_add_u32 v44, v44, 10, 0x2000
	v_lshlrev_b32_e32 v43, 7, v43
	v_and_b32_e32 v3, 0x8000, v3
	v_and_b32_e32 v44, 0xfc00, v44
	v_or3_b32 v43, v3, v44, v43
.LBB285_104:                            ;   in Loop: Header=BB285_13 Depth=1
	s_or_b32 exec_lo, exec_lo, s51
.LBB285_105:                            ;   in Loop: Header=BB285_13 Depth=1
	s_or_b32 exec_lo, exec_lo, s50
.LBB285_106:                            ;   in Loop: Header=BB285_13 Depth=1
	s_or_b32 exec_lo, exec_lo, s49
	s_mov_b32 s49, exec_lo
	v_cmpx_lt_u32_e32 0xffffff, v11
	s_cbranch_execz .LBB285_114
; %bb.107:                              ;   in Loop: Header=BB285_13 Depth=1
	v_lshrrev_b32_e32 v3, 24, v11
	v_bfrev_b32_e32 v42, 1
	s_mov_b32 s50, exec_lo
	v_cmpx_ne_u32_e32 0x80, v3
	s_cbranch_execz .LBB285_113
; %bb.108:                              ;   in Loop: Header=BB285_13 Depth=1
	v_and_b32_e32 v44, 0x7f, v3
	v_mov_b32_e32 v42, 0x7c010000
	s_mov_b32 s51, exec_lo
	v_cmpx_ne_u32_e32 0x7f, v44
	s_cbranch_execz .LBB285_112
; %bb.109:                              ;   in Loop: Header=BB285_13 Depth=1
	v_and_b32_e32 v11, 7, v3
	v_lshrrev_b32_e32 v42, 3, v44
	s_mov_b32 s52, exec_lo
	v_cmpx_gt_u32_e32 8, v44
; %bb.110:                              ;   in Loop: Header=BB285_13 Depth=1
	v_ffbh_u32_e32 v11, v11
	v_min_u32_e32 v11, 32, v11
	v_subrev_nc_u32_e32 v42, 28, v11
	v_lshlrev_b64 v[44:45], v42, v[3:4]
	v_sub_nc_u32_e32 v42, 29, v11
	v_and_b32_e32 v11, 7, v44
; %bb.111:                              ;   in Loop: Header=BB285_13 Depth=1
	s_or_b32 exec_lo, exec_lo, s52
	v_lshlrev_b32_e32 v3, 8, v3
	v_lshl_add_u32 v42, v42, 10, 0x2000
	v_lshlrev_b32_e32 v11, 23, v11
	v_and_or_b32 v3, 0x8000, v3, v42
	v_lshl_or_b32 v42, v3, 16, v11
.LBB285_112:                            ;   in Loop: Header=BB285_13 Depth=1
	s_or_b32 exec_lo, exec_lo, s51
.LBB285_113:                            ;   in Loop: Header=BB285_13 Depth=1
	s_or_b32 exec_lo, exec_lo, s50
.LBB285_114:                            ;   in Loop: Header=BB285_13 Depth=1
	s_or_b32 exec_lo, exec_lo, s49
	global_load_dword v11, v[9:10], off offset:264
	v_mov_b32_e32 v44, 0
	v_mov_b32_e32 v45, 0
	s_waitcnt vmcnt(0)
	v_cmp_ne_u16_sdwa s3, v11, v4 src0_sel:BYTE_0 src1_sel:DWORD
	s_and_saveexec_b32 s49, s3
	s_cbranch_execz .LBB285_122
; %bb.115:                              ;   in Loop: Header=BB285_13 Depth=1
	v_cmp_ne_u16_sdwa s3, v11, v23 src0_sel:BYTE_0 src1_sel:DWORD
	v_mov_b32_e32 v45, 0x8000
	s_and_saveexec_b32 s50, s3
	s_cbranch_execz .LBB285_121
; %bb.116:                              ;   in Loop: Header=BB285_13 Depth=1
	v_and_b32_e32 v46, 0x7f, v11
	v_mov_b32_e32 v45, 0x7c01
	s_mov_b32 s51, exec_lo
	v_cmpx_ne_u32_e32 0x7f, v46
	s_cbranch_execz .LBB285_120
; %bb.117:                              ;   in Loop: Header=BB285_13 Depth=1
	v_and_b32_e32 v3, 7, v11
	v_lshrrev_b32_e32 v45, 3, v46
	s_mov_b32 s52, exec_lo
	v_cmpx_gt_u32_e32 8, v46
; %bb.118:                              ;   in Loop: Header=BB285_13 Depth=1
	v_ffbh_u32_e32 v3, v3
	v_min_u32_e32 v3, 32, v3
	v_subrev_nc_u32_e32 v45, 28, v3
	v_lshlrev_b64 v[46:47], v45, v[11:12]
	v_sub_nc_u32_e32 v45, 29, v3
	v_and_b32_e32 v3, 7, v46
; %bb.119:                              ;   in Loop: Header=BB285_13 Depth=1
	s_or_b32 exec_lo, exec_lo, s52
	v_lshlrev_b32_e32 v46, 8, v11
	v_lshl_add_u32 v45, v45, 10, 0x2000
	v_lshlrev_b32_e32 v3, 7, v3
	v_and_b32_e32 v46, 0x8000, v46
	v_and_b32_e32 v45, 0xfc00, v45
	v_or3_b32 v45, v46, v45, v3
.LBB285_120:                            ;   in Loop: Header=BB285_13 Depth=1
	s_or_b32 exec_lo, exec_lo, s51
.LBB285_121:                            ;   in Loop: Header=BB285_13 Depth=1
	s_or_b32 exec_lo, exec_lo, s50
.LBB285_122:                            ;   in Loop: Header=BB285_13 Depth=1
	s_or_b32 exec_lo, exec_lo, s49
	v_lshrrev_b16 v3, 8, v11
	s_mov_b32 s49, exec_lo
	v_cmpx_ne_u16_e32 0, v3
	s_cbranch_execz .LBB285_130
; %bb.123:                              ;   in Loop: Header=BB285_13 Depth=1
	v_bfrev_b32_e32 v44, 1
	s_mov_b32 s50, exec_lo
	v_cmpx_ne_u16_e32 0x80, v3
	s_cbranch_execz .LBB285_129
; %bb.124:                              ;   in Loop: Header=BB285_13 Depth=1
	v_and_b32_sdwa v47, v3, v24 dst_sel:DWORD dst_unused:UNUSED_PAD src0_sel:WORD_0 src1_sel:DWORD
	v_mov_b32_e32 v44, 0x7c010000
	s_mov_b32 s51, exec_lo
	v_cmpx_ne_u32_e32 0x7f, v47
	s_cbranch_execz .LBB285_128
; %bb.125:                              ;   in Loop: Header=BB285_13 Depth=1
	v_and_b32_sdwa v44, v3, v25 dst_sel:DWORD dst_unused:UNUSED_PAD src0_sel:WORD_0 src1_sel:DWORD
	v_lshrrev_b32_e32 v46, 3, v47
	s_mov_b32 s52, exec_lo
	v_cmpx_gt_u32_e32 8, v47
; %bb.126:                              ;   in Loop: Header=BB285_13 Depth=1
	v_ffbh_u32_e32 v44, v44
	v_min_u32_e32 v44, 32, v44
	v_subrev_nc_u32_e32 v46, 28, v44
	v_lshlrev_b64 v[47:48], v46, v[3:4]
	v_sub_nc_u32_e32 v46, 29, v44
	v_and_b32_e32 v44, 7, v47
; %bb.127:                              ;   in Loop: Header=BB285_13 Depth=1
	s_or_b32 exec_lo, exec_lo, s52
	v_lshlrev_b32_sdwa v3, v26, v3 dst_sel:DWORD dst_unused:UNUSED_PAD src0_sel:DWORD src1_sel:WORD_0
	v_lshl_add_u32 v46, v46, 10, 0x2000
	v_lshlrev_b32_e32 v44, 23, v44
	v_and_or_b32 v3, 0x8000, v3, v46
	v_lshl_or_b32 v44, v3, 16, v44
.LBB285_128:                            ;   in Loop: Header=BB285_13 Depth=1
	s_or_b32 exec_lo, exec_lo, s51
.LBB285_129:                            ;   in Loop: Header=BB285_13 Depth=1
	s_or_b32 exec_lo, exec_lo, s50
.LBB285_130:                            ;   in Loop: Header=BB285_13 Depth=1
	s_or_b32 exec_lo, exec_lo, s49
	v_lshrrev_b32_e32 v3, 16, v11
	v_mov_b32_e32 v46, 0
	v_mov_b32_e32 v47, 0
	v_cmp_ne_u16_sdwa s3, v3, v4 src0_sel:BYTE_0 src1_sel:DWORD
	s_and_saveexec_b32 s49, s3
	s_cbranch_execz .LBB285_138
; %bb.131:                              ;   in Loop: Header=BB285_13 Depth=1
	v_cmp_ne_u16_sdwa s3, v3, v23 src0_sel:BYTE_0 src1_sel:DWORD
	v_mov_b32_e32 v47, 0x8000
	s_and_saveexec_b32 s50, s3
	s_cbranch_execz .LBB285_137
; %bb.132:                              ;   in Loop: Header=BB285_13 Depth=1
	v_bfe_u32 v49, v11, 16, 7
	v_mov_b32_e32 v47, 0x7c01
	s_mov_b32 s51, exec_lo
	v_cmpx_ne_u32_e32 0x7f, v49
	s_cbranch_execz .LBB285_136
; %bb.133:                              ;   in Loop: Header=BB285_13 Depth=1
	v_and_b32_e32 v47, 7, v3
	v_lshrrev_b32_e32 v48, 3, v49
	s_mov_b32 s52, exec_lo
	v_cmpx_gt_u32_e32 8, v49
; %bb.134:                              ;   in Loop: Header=BB285_13 Depth=1
	v_ffbh_u32_e32 v47, v47
	v_min_u32_e32 v49, 32, v47
	v_subrev_nc_u32_e32 v47, 28, v49
	v_lshlrev_b64 v[47:48], v47, v[3:4]
	v_sub_nc_u32_e32 v48, 29, v49
	v_and_b32_e32 v47, 7, v47
; %bb.135:                              ;   in Loop: Header=BB285_13 Depth=1
	s_or_b32 exec_lo, exec_lo, s52
	v_lshlrev_b32_e32 v3, 8, v3
	v_lshl_add_u32 v48, v48, 10, 0x2000
	v_lshlrev_b32_e32 v47, 7, v47
	v_and_b32_e32 v3, 0x8000, v3
	v_and_b32_e32 v48, 0xfc00, v48
	v_or3_b32 v47, v3, v48, v47
.LBB285_136:                            ;   in Loop: Header=BB285_13 Depth=1
	s_or_b32 exec_lo, exec_lo, s51
.LBB285_137:                            ;   in Loop: Header=BB285_13 Depth=1
	s_or_b32 exec_lo, exec_lo, s50
.LBB285_138:                            ;   in Loop: Header=BB285_13 Depth=1
	s_or_b32 exec_lo, exec_lo, s49
	s_mov_b32 s49, exec_lo
	v_cmpx_lt_u32_e32 0xffffff, v11
	s_cbranch_execz .LBB285_146
; %bb.139:                              ;   in Loop: Header=BB285_13 Depth=1
	v_lshrrev_b32_e32 v3, 24, v11
	v_bfrev_b32_e32 v46, 1
	s_mov_b32 s50, exec_lo
	v_cmpx_ne_u32_e32 0x80, v3
	s_cbranch_execz .LBB285_145
; %bb.140:                              ;   in Loop: Header=BB285_13 Depth=1
	v_and_b32_e32 v48, 0x7f, v3
	v_mov_b32_e32 v46, 0x7c010000
	s_mov_b32 s51, exec_lo
	v_cmpx_ne_u32_e32 0x7f, v48
	s_cbranch_execz .LBB285_144
; %bb.141:                              ;   in Loop: Header=BB285_13 Depth=1
	v_and_b32_e32 v11, 7, v3
	v_lshrrev_b32_e32 v46, 3, v48
	s_mov_b32 s52, exec_lo
	v_cmpx_gt_u32_e32 8, v48
; %bb.142:                              ;   in Loop: Header=BB285_13 Depth=1
	v_ffbh_u32_e32 v11, v11
	v_min_u32_e32 v11, 32, v11
	v_subrev_nc_u32_e32 v46, 28, v11
	v_lshlrev_b64 v[48:49], v46, v[3:4]
	v_sub_nc_u32_e32 v46, 29, v11
	v_and_b32_e32 v11, 7, v48
; %bb.143:                              ;   in Loop: Header=BB285_13 Depth=1
	s_or_b32 exec_lo, exec_lo, s52
	v_lshlrev_b32_e32 v3, 8, v3
	v_lshl_add_u32 v46, v46, 10, 0x2000
	v_lshlrev_b32_e32 v11, 23, v11
	v_and_or_b32 v3, 0x8000, v3, v46
	v_lshl_or_b32 v46, v3, 16, v11
.LBB285_144:                            ;   in Loop: Header=BB285_13 Depth=1
	s_or_b32 exec_lo, exec_lo, s51
.LBB285_145:                            ;   in Loop: Header=BB285_13 Depth=1
	s_or_b32 exec_lo, exec_lo, s50
.LBB285_146:                            ;   in Loop: Header=BB285_13 Depth=1
	s_or_b32 exec_lo, exec_lo, s49
	global_load_dword v11, v[9:10], off offset:512
	v_mov_b32_e32 v48, 0
	v_mov_b32_e32 v49, 0
	s_waitcnt vmcnt(0)
	v_cmp_ne_u16_sdwa s3, v11, v4 src0_sel:BYTE_0 src1_sel:DWORD
	s_and_saveexec_b32 s49, s3
	s_cbranch_execz .LBB285_154
; %bb.147:                              ;   in Loop: Header=BB285_13 Depth=1
	v_cmp_ne_u16_sdwa s3, v11, v23 src0_sel:BYTE_0 src1_sel:DWORD
	v_mov_b32_e32 v49, 0x8000
	s_and_saveexec_b32 s50, s3
	s_cbranch_execz .LBB285_153
; %bb.148:                              ;   in Loop: Header=BB285_13 Depth=1
	v_and_b32_e32 v50, 0x7f, v11
	v_mov_b32_e32 v49, 0x7c01
	s_mov_b32 s51, exec_lo
	v_cmpx_ne_u32_e32 0x7f, v50
	s_cbranch_execz .LBB285_152
; %bb.149:                              ;   in Loop: Header=BB285_13 Depth=1
	v_and_b32_e32 v3, 7, v11
	v_lshrrev_b32_e32 v49, 3, v50
	s_mov_b32 s52, exec_lo
	v_cmpx_gt_u32_e32 8, v50
; %bb.150:                              ;   in Loop: Header=BB285_13 Depth=1
	v_ffbh_u32_e32 v3, v3
	v_min_u32_e32 v3, 32, v3
	v_subrev_nc_u32_e32 v49, 28, v3
	v_lshlrev_b64 v[50:51], v49, v[11:12]
	v_sub_nc_u32_e32 v49, 29, v3
	v_and_b32_e32 v3, 7, v50
; %bb.151:                              ;   in Loop: Header=BB285_13 Depth=1
	s_or_b32 exec_lo, exec_lo, s52
	v_lshlrev_b32_e32 v50, 8, v11
	v_lshl_add_u32 v49, v49, 10, 0x2000
	v_lshlrev_b32_e32 v3, 7, v3
	v_and_b32_e32 v50, 0x8000, v50
	v_and_b32_e32 v49, 0xfc00, v49
	v_or3_b32 v49, v50, v49, v3
.LBB285_152:                            ;   in Loop: Header=BB285_13 Depth=1
	s_or_b32 exec_lo, exec_lo, s51
.LBB285_153:                            ;   in Loop: Header=BB285_13 Depth=1
	s_or_b32 exec_lo, exec_lo, s50
.LBB285_154:                            ;   in Loop: Header=BB285_13 Depth=1
	s_or_b32 exec_lo, exec_lo, s49
	v_lshrrev_b16 v3, 8, v11
	s_mov_b32 s49, exec_lo
	v_cmpx_ne_u16_e32 0, v3
	s_cbranch_execz .LBB285_162
; %bb.155:                              ;   in Loop: Header=BB285_13 Depth=1
	v_bfrev_b32_e32 v48, 1
	s_mov_b32 s50, exec_lo
	v_cmpx_ne_u16_e32 0x80, v3
	s_cbranch_execz .LBB285_161
; %bb.156:                              ;   in Loop: Header=BB285_13 Depth=1
	v_and_b32_sdwa v51, v3, v24 dst_sel:DWORD dst_unused:UNUSED_PAD src0_sel:WORD_0 src1_sel:DWORD
	v_mov_b32_e32 v48, 0x7c010000
	s_mov_b32 s51, exec_lo
	v_cmpx_ne_u32_e32 0x7f, v51
	s_cbranch_execz .LBB285_160
; %bb.157:                              ;   in Loop: Header=BB285_13 Depth=1
	v_and_b32_sdwa v48, v3, v25 dst_sel:DWORD dst_unused:UNUSED_PAD src0_sel:WORD_0 src1_sel:DWORD
	v_lshrrev_b32_e32 v50, 3, v51
	s_mov_b32 s52, exec_lo
	v_cmpx_gt_u32_e32 8, v51
; %bb.158:                              ;   in Loop: Header=BB285_13 Depth=1
	v_ffbh_u32_e32 v48, v48
	v_min_u32_e32 v48, 32, v48
	v_subrev_nc_u32_e32 v50, 28, v48
	v_lshlrev_b64 v[51:52], v50, v[3:4]
	v_sub_nc_u32_e32 v50, 29, v48
	v_and_b32_e32 v48, 7, v51
; %bb.159:                              ;   in Loop: Header=BB285_13 Depth=1
	s_or_b32 exec_lo, exec_lo, s52
	v_lshlrev_b32_sdwa v3, v26, v3 dst_sel:DWORD dst_unused:UNUSED_PAD src0_sel:DWORD src1_sel:WORD_0
	v_lshl_add_u32 v50, v50, 10, 0x2000
	v_lshlrev_b32_e32 v48, 23, v48
	v_and_or_b32 v3, 0x8000, v3, v50
	v_lshl_or_b32 v48, v3, 16, v48
.LBB285_160:                            ;   in Loop: Header=BB285_13 Depth=1
	s_or_b32 exec_lo, exec_lo, s51
.LBB285_161:                            ;   in Loop: Header=BB285_13 Depth=1
	s_or_b32 exec_lo, exec_lo, s50
.LBB285_162:                            ;   in Loop: Header=BB285_13 Depth=1
	s_or_b32 exec_lo, exec_lo, s49
	v_lshrrev_b32_e32 v3, 16, v11
	v_mov_b32_e32 v50, 0
	v_mov_b32_e32 v51, 0
	v_cmp_ne_u16_sdwa s3, v3, v4 src0_sel:BYTE_0 src1_sel:DWORD
	s_and_saveexec_b32 s49, s3
	s_cbranch_execz .LBB285_170
; %bb.163:                              ;   in Loop: Header=BB285_13 Depth=1
	v_cmp_ne_u16_sdwa s3, v3, v23 src0_sel:BYTE_0 src1_sel:DWORD
	v_mov_b32_e32 v51, 0x8000
	s_and_saveexec_b32 s50, s3
	s_cbranch_execz .LBB285_169
; %bb.164:                              ;   in Loop: Header=BB285_13 Depth=1
	v_bfe_u32 v53, v11, 16, 7
	v_mov_b32_e32 v51, 0x7c01
	s_mov_b32 s51, exec_lo
	v_cmpx_ne_u32_e32 0x7f, v53
	s_cbranch_execz .LBB285_168
; %bb.165:                              ;   in Loop: Header=BB285_13 Depth=1
	v_and_b32_e32 v51, 7, v3
	v_lshrrev_b32_e32 v52, 3, v53
	s_mov_b32 s52, exec_lo
	v_cmpx_gt_u32_e32 8, v53
; %bb.166:                              ;   in Loop: Header=BB285_13 Depth=1
	v_ffbh_u32_e32 v51, v51
	v_min_u32_e32 v53, 32, v51
	v_subrev_nc_u32_e32 v51, 28, v53
	v_lshlrev_b64 v[51:52], v51, v[3:4]
	v_sub_nc_u32_e32 v52, 29, v53
	v_and_b32_e32 v51, 7, v51
; %bb.167:                              ;   in Loop: Header=BB285_13 Depth=1
	s_or_b32 exec_lo, exec_lo, s52
	v_lshlrev_b32_e32 v3, 8, v3
	v_lshl_add_u32 v52, v52, 10, 0x2000
	v_lshlrev_b32_e32 v51, 7, v51
	v_and_b32_e32 v3, 0x8000, v3
	v_and_b32_e32 v52, 0xfc00, v52
	v_or3_b32 v51, v3, v52, v51
.LBB285_168:                            ;   in Loop: Header=BB285_13 Depth=1
	s_or_b32 exec_lo, exec_lo, s51
.LBB285_169:                            ;   in Loop: Header=BB285_13 Depth=1
	s_or_b32 exec_lo, exec_lo, s50
.LBB285_170:                            ;   in Loop: Header=BB285_13 Depth=1
	s_or_b32 exec_lo, exec_lo, s49
	s_mov_b32 s49, exec_lo
	v_cmpx_lt_u32_e32 0xffffff, v11
	s_cbranch_execz .LBB285_178
; %bb.171:                              ;   in Loop: Header=BB285_13 Depth=1
	v_lshrrev_b32_e32 v3, 24, v11
	v_bfrev_b32_e32 v50, 1
	s_mov_b32 s50, exec_lo
	v_cmpx_ne_u32_e32 0x80, v3
	s_cbranch_execz .LBB285_177
; %bb.172:                              ;   in Loop: Header=BB285_13 Depth=1
	v_and_b32_e32 v52, 0x7f, v3
	v_mov_b32_e32 v50, 0x7c010000
	s_mov_b32 s51, exec_lo
	v_cmpx_ne_u32_e32 0x7f, v52
	s_cbranch_execz .LBB285_176
; %bb.173:                              ;   in Loop: Header=BB285_13 Depth=1
	v_and_b32_e32 v11, 7, v3
	v_lshrrev_b32_e32 v50, 3, v52
	s_mov_b32 s52, exec_lo
	v_cmpx_gt_u32_e32 8, v52
; %bb.174:                              ;   in Loop: Header=BB285_13 Depth=1
	v_ffbh_u32_e32 v11, v11
	v_min_u32_e32 v11, 32, v11
	v_subrev_nc_u32_e32 v50, 28, v11
	v_lshlrev_b64 v[52:53], v50, v[3:4]
	v_sub_nc_u32_e32 v50, 29, v11
	v_and_b32_e32 v11, 7, v52
; %bb.175:                              ;   in Loop: Header=BB285_13 Depth=1
	s_or_b32 exec_lo, exec_lo, s52
	v_lshlrev_b32_e32 v3, 8, v3
	v_lshl_add_u32 v50, v50, 10, 0x2000
	v_lshlrev_b32_e32 v11, 23, v11
	v_and_or_b32 v3, 0x8000, v3, v50
	v_lshl_or_b32 v50, v3, 16, v11
.LBB285_176:                            ;   in Loop: Header=BB285_13 Depth=1
	s_or_b32 exec_lo, exec_lo, s51
.LBB285_177:                            ;   in Loop: Header=BB285_13 Depth=1
	s_or_b32 exec_lo, exec_lo, s50
.LBB285_178:                            ;   in Loop: Header=BB285_13 Depth=1
	s_or_b32 exec_lo, exec_lo, s49
	global_load_dword v11, v[9:10], off offset:520
	v_mov_b32_e32 v52, 0
	v_mov_b32_e32 v53, 0
	s_waitcnt vmcnt(0)
	v_cmp_ne_u16_sdwa s3, v11, v4 src0_sel:BYTE_0 src1_sel:DWORD
	s_and_saveexec_b32 s49, s3
	s_cbranch_execz .LBB285_186
; %bb.179:                              ;   in Loop: Header=BB285_13 Depth=1
	v_cmp_ne_u16_sdwa s3, v11, v23 src0_sel:BYTE_0 src1_sel:DWORD
	v_mov_b32_e32 v53, 0x8000
	s_and_saveexec_b32 s50, s3
	s_cbranch_execz .LBB285_185
; %bb.180:                              ;   in Loop: Header=BB285_13 Depth=1
	v_and_b32_e32 v54, 0x7f, v11
	v_mov_b32_e32 v53, 0x7c01
	s_mov_b32 s51, exec_lo
	v_cmpx_ne_u32_e32 0x7f, v54
	s_cbranch_execz .LBB285_184
; %bb.181:                              ;   in Loop: Header=BB285_13 Depth=1
	v_and_b32_e32 v3, 7, v11
	v_lshrrev_b32_e32 v53, 3, v54
	s_mov_b32 s52, exec_lo
	v_cmpx_gt_u32_e32 8, v54
; %bb.182:                              ;   in Loop: Header=BB285_13 Depth=1
	v_ffbh_u32_e32 v3, v3
	v_min_u32_e32 v3, 32, v3
	v_subrev_nc_u32_e32 v53, 28, v3
	v_lshlrev_b64 v[54:55], v53, v[11:12]
	v_sub_nc_u32_e32 v53, 29, v3
	v_and_b32_e32 v3, 7, v54
; %bb.183:                              ;   in Loop: Header=BB285_13 Depth=1
	s_or_b32 exec_lo, exec_lo, s52
	v_lshlrev_b32_e32 v54, 8, v11
	v_lshl_add_u32 v53, v53, 10, 0x2000
	v_lshlrev_b32_e32 v3, 7, v3
	v_and_b32_e32 v54, 0x8000, v54
	v_and_b32_e32 v53, 0xfc00, v53
	v_or3_b32 v53, v54, v53, v3
.LBB285_184:                            ;   in Loop: Header=BB285_13 Depth=1
	s_or_b32 exec_lo, exec_lo, s51
.LBB285_185:                            ;   in Loop: Header=BB285_13 Depth=1
	s_or_b32 exec_lo, exec_lo, s50
.LBB285_186:                            ;   in Loop: Header=BB285_13 Depth=1
	s_or_b32 exec_lo, exec_lo, s49
	v_lshrrev_b16 v3, 8, v11
	s_mov_b32 s49, exec_lo
	v_cmpx_ne_u16_e32 0, v3
	s_cbranch_execz .LBB285_194
; %bb.187:                              ;   in Loop: Header=BB285_13 Depth=1
	v_bfrev_b32_e32 v52, 1
	s_mov_b32 s50, exec_lo
	v_cmpx_ne_u16_e32 0x80, v3
	s_cbranch_execz .LBB285_193
; %bb.188:                              ;   in Loop: Header=BB285_13 Depth=1
	v_and_b32_sdwa v55, v3, v24 dst_sel:DWORD dst_unused:UNUSED_PAD src0_sel:WORD_0 src1_sel:DWORD
	v_mov_b32_e32 v52, 0x7c010000
	s_mov_b32 s51, exec_lo
	v_cmpx_ne_u32_e32 0x7f, v55
	s_cbranch_execz .LBB285_192
; %bb.189:                              ;   in Loop: Header=BB285_13 Depth=1
	v_and_b32_sdwa v52, v3, v25 dst_sel:DWORD dst_unused:UNUSED_PAD src0_sel:WORD_0 src1_sel:DWORD
	v_lshrrev_b32_e32 v54, 3, v55
	s_mov_b32 s52, exec_lo
	v_cmpx_gt_u32_e32 8, v55
; %bb.190:                              ;   in Loop: Header=BB285_13 Depth=1
	v_ffbh_u32_e32 v52, v52
	v_min_u32_e32 v52, 32, v52
	v_subrev_nc_u32_e32 v54, 28, v52
	v_lshlrev_b64 v[55:56], v54, v[3:4]
	v_sub_nc_u32_e32 v54, 29, v52
	v_and_b32_e32 v52, 7, v55
; %bb.191:                              ;   in Loop: Header=BB285_13 Depth=1
	s_or_b32 exec_lo, exec_lo, s52
	v_lshlrev_b32_sdwa v3, v26, v3 dst_sel:DWORD dst_unused:UNUSED_PAD src0_sel:DWORD src1_sel:WORD_0
	v_lshl_add_u32 v54, v54, 10, 0x2000
	v_lshlrev_b32_e32 v52, 23, v52
	v_and_or_b32 v3, 0x8000, v3, v54
	v_lshl_or_b32 v52, v3, 16, v52
.LBB285_192:                            ;   in Loop: Header=BB285_13 Depth=1
	s_or_b32 exec_lo, exec_lo, s51
.LBB285_193:                            ;   in Loop: Header=BB285_13 Depth=1
	s_or_b32 exec_lo, exec_lo, s50
.LBB285_194:                            ;   in Loop: Header=BB285_13 Depth=1
	s_or_b32 exec_lo, exec_lo, s49
	v_lshrrev_b32_e32 v3, 16, v11
	v_mov_b32_e32 v54, 0
	v_mov_b32_e32 v55, 0
	v_cmp_ne_u16_sdwa s3, v3, v4 src0_sel:BYTE_0 src1_sel:DWORD
	s_and_saveexec_b32 s49, s3
	s_cbranch_execz .LBB285_202
; %bb.195:                              ;   in Loop: Header=BB285_13 Depth=1
	v_cmp_ne_u16_sdwa s3, v3, v23 src0_sel:BYTE_0 src1_sel:DWORD
	v_mov_b32_e32 v55, 0x8000
	s_and_saveexec_b32 s50, s3
	s_cbranch_execz .LBB285_201
; %bb.196:                              ;   in Loop: Header=BB285_13 Depth=1
	v_bfe_u32 v57, v11, 16, 7
	v_mov_b32_e32 v55, 0x7c01
	s_mov_b32 s51, exec_lo
	v_cmpx_ne_u32_e32 0x7f, v57
	s_cbranch_execz .LBB285_200
; %bb.197:                              ;   in Loop: Header=BB285_13 Depth=1
	v_and_b32_e32 v55, 7, v3
	v_lshrrev_b32_e32 v56, 3, v57
	s_mov_b32 s52, exec_lo
	v_cmpx_gt_u32_e32 8, v57
; %bb.198:                              ;   in Loop: Header=BB285_13 Depth=1
	v_ffbh_u32_e32 v55, v55
	v_min_u32_e32 v57, 32, v55
	v_subrev_nc_u32_e32 v55, 28, v57
	v_lshlrev_b64 v[55:56], v55, v[3:4]
	v_sub_nc_u32_e32 v56, 29, v57
	v_and_b32_e32 v55, 7, v55
; %bb.199:                              ;   in Loop: Header=BB285_13 Depth=1
	s_or_b32 exec_lo, exec_lo, s52
	v_lshlrev_b32_e32 v3, 8, v3
	v_lshl_add_u32 v56, v56, 10, 0x2000
	v_lshlrev_b32_e32 v55, 7, v55
	v_and_b32_e32 v3, 0x8000, v3
	v_and_b32_e32 v56, 0xfc00, v56
	v_or3_b32 v55, v3, v56, v55
.LBB285_200:                            ;   in Loop: Header=BB285_13 Depth=1
	s_or_b32 exec_lo, exec_lo, s51
.LBB285_201:                            ;   in Loop: Header=BB285_13 Depth=1
	s_or_b32 exec_lo, exec_lo, s50
.LBB285_202:                            ;   in Loop: Header=BB285_13 Depth=1
	s_or_b32 exec_lo, exec_lo, s49
	s_mov_b32 s49, exec_lo
	v_cmpx_lt_u32_e32 0xffffff, v11
	s_cbranch_execz .LBB285_210
; %bb.203:                              ;   in Loop: Header=BB285_13 Depth=1
	v_lshrrev_b32_e32 v3, 24, v11
	v_bfrev_b32_e32 v54, 1
	s_mov_b32 s50, exec_lo
	v_cmpx_ne_u32_e32 0x80, v3
	s_cbranch_execz .LBB285_209
; %bb.204:                              ;   in Loop: Header=BB285_13 Depth=1
	v_and_b32_e32 v56, 0x7f, v3
	v_mov_b32_e32 v54, 0x7c010000
	s_mov_b32 s51, exec_lo
	v_cmpx_ne_u32_e32 0x7f, v56
	s_cbranch_execz .LBB285_208
; %bb.205:                              ;   in Loop: Header=BB285_13 Depth=1
	v_and_b32_e32 v11, 7, v3
	v_lshrrev_b32_e32 v54, 3, v56
	s_mov_b32 s52, exec_lo
	v_cmpx_gt_u32_e32 8, v56
; %bb.206:                              ;   in Loop: Header=BB285_13 Depth=1
	v_ffbh_u32_e32 v11, v11
	v_min_u32_e32 v11, 32, v11
	v_subrev_nc_u32_e32 v54, 28, v11
	v_lshlrev_b64 v[56:57], v54, v[3:4]
	v_sub_nc_u32_e32 v54, 29, v11
	v_and_b32_e32 v11, 7, v56
; %bb.207:                              ;   in Loop: Header=BB285_13 Depth=1
	s_or_b32 exec_lo, exec_lo, s52
	v_lshlrev_b32_e32 v3, 8, v3
	v_lshl_add_u32 v54, v54, 10, 0x2000
	v_lshlrev_b32_e32 v11, 23, v11
	v_and_or_b32 v3, 0x8000, v3, v54
	v_lshl_or_b32 v54, v3, 16, v11
.LBB285_208:                            ;   in Loop: Header=BB285_13 Depth=1
	s_or_b32 exec_lo, exec_lo, s51
.LBB285_209:                            ;   in Loop: Header=BB285_13 Depth=1
	s_or_b32 exec_lo, exec_lo, s50
.LBB285_210:                            ;   in Loop: Header=BB285_13 Depth=1
	s_or_b32 exec_lo, exec_lo, s49
	global_load_dword v11, v[9:10], off offset:768
	v_mov_b32_e32 v56, 0
	v_mov_b32_e32 v57, 0
	s_waitcnt vmcnt(0)
	v_cmp_ne_u16_sdwa s3, v11, v4 src0_sel:BYTE_0 src1_sel:DWORD
	s_and_saveexec_b32 s49, s3
	s_cbranch_execz .LBB285_218
; %bb.211:                              ;   in Loop: Header=BB285_13 Depth=1
	v_cmp_ne_u16_sdwa s3, v11, v23 src0_sel:BYTE_0 src1_sel:DWORD
	v_mov_b32_e32 v57, 0x8000
	s_and_saveexec_b32 s50, s3
	s_cbranch_execz .LBB285_217
; %bb.212:                              ;   in Loop: Header=BB285_13 Depth=1
	v_and_b32_e32 v58, 0x7f, v11
	v_mov_b32_e32 v57, 0x7c01
	s_mov_b32 s51, exec_lo
	v_cmpx_ne_u32_e32 0x7f, v58
	s_cbranch_execz .LBB285_216
; %bb.213:                              ;   in Loop: Header=BB285_13 Depth=1
	v_and_b32_e32 v3, 7, v11
	v_lshrrev_b32_e32 v57, 3, v58
	s_mov_b32 s52, exec_lo
	v_cmpx_gt_u32_e32 8, v58
; %bb.214:                              ;   in Loop: Header=BB285_13 Depth=1
	v_ffbh_u32_e32 v3, v3
	v_min_u32_e32 v3, 32, v3
	v_subrev_nc_u32_e32 v57, 28, v3
	v_lshlrev_b64 v[58:59], v57, v[11:12]
	v_sub_nc_u32_e32 v57, 29, v3
	v_and_b32_e32 v3, 7, v58
; %bb.215:                              ;   in Loop: Header=BB285_13 Depth=1
	s_or_b32 exec_lo, exec_lo, s52
	v_lshlrev_b32_e32 v58, 8, v11
	v_lshl_add_u32 v57, v57, 10, 0x2000
	v_lshlrev_b32_e32 v3, 7, v3
	v_and_b32_e32 v58, 0x8000, v58
	v_and_b32_e32 v57, 0xfc00, v57
	v_or3_b32 v57, v58, v57, v3
.LBB285_216:                            ;   in Loop: Header=BB285_13 Depth=1
	s_or_b32 exec_lo, exec_lo, s51
.LBB285_217:                            ;   in Loop: Header=BB285_13 Depth=1
	s_or_b32 exec_lo, exec_lo, s50
.LBB285_218:                            ;   in Loop: Header=BB285_13 Depth=1
	s_or_b32 exec_lo, exec_lo, s49
	v_lshrrev_b16 v3, 8, v11
	s_mov_b32 s49, exec_lo
	v_cmpx_ne_u16_e32 0, v3
	s_cbranch_execz .LBB285_226
; %bb.219:                              ;   in Loop: Header=BB285_13 Depth=1
	v_bfrev_b32_e32 v56, 1
	s_mov_b32 s50, exec_lo
	v_cmpx_ne_u16_e32 0x80, v3
	s_cbranch_execz .LBB285_225
; %bb.220:                              ;   in Loop: Header=BB285_13 Depth=1
	v_and_b32_sdwa v59, v3, v24 dst_sel:DWORD dst_unused:UNUSED_PAD src0_sel:WORD_0 src1_sel:DWORD
	v_mov_b32_e32 v56, 0x7c010000
	s_mov_b32 s51, exec_lo
	v_cmpx_ne_u32_e32 0x7f, v59
	s_cbranch_execz .LBB285_224
; %bb.221:                              ;   in Loop: Header=BB285_13 Depth=1
	v_and_b32_sdwa v56, v3, v25 dst_sel:DWORD dst_unused:UNUSED_PAD src0_sel:WORD_0 src1_sel:DWORD
	v_lshrrev_b32_e32 v58, 3, v59
	s_mov_b32 s52, exec_lo
	v_cmpx_gt_u32_e32 8, v59
; %bb.222:                              ;   in Loop: Header=BB285_13 Depth=1
	v_ffbh_u32_e32 v56, v56
	v_min_u32_e32 v56, 32, v56
	v_subrev_nc_u32_e32 v58, 28, v56
	v_lshlrev_b64 v[59:60], v58, v[3:4]
	v_sub_nc_u32_e32 v58, 29, v56
	v_and_b32_e32 v56, 7, v59
; %bb.223:                              ;   in Loop: Header=BB285_13 Depth=1
	s_or_b32 exec_lo, exec_lo, s52
	v_lshlrev_b32_sdwa v3, v26, v3 dst_sel:DWORD dst_unused:UNUSED_PAD src0_sel:DWORD src1_sel:WORD_0
	v_lshl_add_u32 v58, v58, 10, 0x2000
	v_lshlrev_b32_e32 v56, 23, v56
	v_and_or_b32 v3, 0x8000, v3, v58
	v_lshl_or_b32 v56, v3, 16, v56
.LBB285_224:                            ;   in Loop: Header=BB285_13 Depth=1
	s_or_b32 exec_lo, exec_lo, s51
.LBB285_225:                            ;   in Loop: Header=BB285_13 Depth=1
	s_or_b32 exec_lo, exec_lo, s50
.LBB285_226:                            ;   in Loop: Header=BB285_13 Depth=1
	s_or_b32 exec_lo, exec_lo, s49
	v_lshrrev_b32_e32 v3, 16, v11
	v_mov_b32_e32 v58, 0
	v_mov_b32_e32 v59, 0
	v_cmp_ne_u16_sdwa s3, v3, v4 src0_sel:BYTE_0 src1_sel:DWORD
	s_and_saveexec_b32 s49, s3
	s_cbranch_execz .LBB285_234
; %bb.227:                              ;   in Loop: Header=BB285_13 Depth=1
	v_cmp_ne_u16_sdwa s3, v3, v23 src0_sel:BYTE_0 src1_sel:DWORD
	v_mov_b32_e32 v59, 0x8000
	s_and_saveexec_b32 s50, s3
	s_cbranch_execz .LBB285_233
; %bb.228:                              ;   in Loop: Header=BB285_13 Depth=1
	v_bfe_u32 v61, v11, 16, 7
	v_mov_b32_e32 v59, 0x7c01
	s_mov_b32 s51, exec_lo
	v_cmpx_ne_u32_e32 0x7f, v61
	s_cbranch_execz .LBB285_232
; %bb.229:                              ;   in Loop: Header=BB285_13 Depth=1
	v_and_b32_e32 v59, 7, v3
	v_lshrrev_b32_e32 v60, 3, v61
	s_mov_b32 s52, exec_lo
	v_cmpx_gt_u32_e32 8, v61
; %bb.230:                              ;   in Loop: Header=BB285_13 Depth=1
	v_ffbh_u32_e32 v59, v59
	v_min_u32_e32 v61, 32, v59
	v_subrev_nc_u32_e32 v59, 28, v61
	v_lshlrev_b64 v[59:60], v59, v[3:4]
	v_sub_nc_u32_e32 v60, 29, v61
	v_and_b32_e32 v59, 7, v59
; %bb.231:                              ;   in Loop: Header=BB285_13 Depth=1
	s_or_b32 exec_lo, exec_lo, s52
	v_lshlrev_b32_e32 v3, 8, v3
	v_lshl_add_u32 v60, v60, 10, 0x2000
	v_lshlrev_b32_e32 v59, 7, v59
	v_and_b32_e32 v3, 0x8000, v3
	v_and_b32_e32 v60, 0xfc00, v60
	v_or3_b32 v59, v3, v60, v59
.LBB285_232:                            ;   in Loop: Header=BB285_13 Depth=1
	s_or_b32 exec_lo, exec_lo, s51
.LBB285_233:                            ;   in Loop: Header=BB285_13 Depth=1
	s_or_b32 exec_lo, exec_lo, s50
.LBB285_234:                            ;   in Loop: Header=BB285_13 Depth=1
	s_or_b32 exec_lo, exec_lo, s49
	s_mov_b32 s49, exec_lo
	v_cmpx_lt_u32_e32 0xffffff, v11
	s_cbranch_execz .LBB285_242
; %bb.235:                              ;   in Loop: Header=BB285_13 Depth=1
	v_lshrrev_b32_e32 v3, 24, v11
	v_bfrev_b32_e32 v58, 1
	s_mov_b32 s50, exec_lo
	v_cmpx_ne_u32_e32 0x80, v3
	s_cbranch_execz .LBB285_241
; %bb.236:                              ;   in Loop: Header=BB285_13 Depth=1
	v_and_b32_e32 v60, 0x7f, v3
	v_mov_b32_e32 v58, 0x7c010000
	s_mov_b32 s51, exec_lo
	v_cmpx_ne_u32_e32 0x7f, v60
	s_cbranch_execz .LBB285_240
; %bb.237:                              ;   in Loop: Header=BB285_13 Depth=1
	v_and_b32_e32 v11, 7, v3
	v_lshrrev_b32_e32 v58, 3, v60
	s_mov_b32 s52, exec_lo
	v_cmpx_gt_u32_e32 8, v60
; %bb.238:                              ;   in Loop: Header=BB285_13 Depth=1
	v_ffbh_u32_e32 v11, v11
	v_min_u32_e32 v11, 32, v11
	v_subrev_nc_u32_e32 v58, 28, v11
	v_lshlrev_b64 v[60:61], v58, v[3:4]
	v_sub_nc_u32_e32 v58, 29, v11
	v_and_b32_e32 v11, 7, v60
; %bb.239:                              ;   in Loop: Header=BB285_13 Depth=1
	s_or_b32 exec_lo, exec_lo, s52
	v_lshlrev_b32_e32 v3, 8, v3
	v_lshl_add_u32 v58, v58, 10, 0x2000
	v_lshlrev_b32_e32 v11, 23, v11
	v_and_or_b32 v3, 0x8000, v3, v58
	v_lshl_or_b32 v58, v3, 16, v11
.LBB285_240:                            ;   in Loop: Header=BB285_13 Depth=1
	s_or_b32 exec_lo, exec_lo, s51
.LBB285_241:                            ;   in Loop: Header=BB285_13 Depth=1
	s_or_b32 exec_lo, exec_lo, s50
.LBB285_242:                            ;   in Loop: Header=BB285_13 Depth=1
	s_or_b32 exec_lo, exec_lo, s49
	global_load_dword v11, v[9:10], off offset:776
	v_mov_b32_e32 v60, 0
	v_mov_b32_e32 v61, 0
	s_waitcnt vmcnt(0)
	v_cmp_ne_u16_sdwa s3, v11, v4 src0_sel:BYTE_0 src1_sel:DWORD
	s_and_saveexec_b32 s49, s3
	s_cbranch_execz .LBB285_250
; %bb.243:                              ;   in Loop: Header=BB285_13 Depth=1
	v_cmp_ne_u16_sdwa s3, v11, v23 src0_sel:BYTE_0 src1_sel:DWORD
	v_mov_b32_e32 v61, 0x8000
	s_and_saveexec_b32 s50, s3
	s_cbranch_execz .LBB285_249
; %bb.244:                              ;   in Loop: Header=BB285_13 Depth=1
	v_and_b32_e32 v62, 0x7f, v11
	v_mov_b32_e32 v61, 0x7c01
	s_mov_b32 s51, exec_lo
	v_cmpx_ne_u32_e32 0x7f, v62
	s_cbranch_execz .LBB285_248
; %bb.245:                              ;   in Loop: Header=BB285_13 Depth=1
	v_and_b32_e32 v3, 7, v11
	v_lshrrev_b32_e32 v61, 3, v62
	s_mov_b32 s52, exec_lo
	v_cmpx_gt_u32_e32 8, v62
; %bb.246:                              ;   in Loop: Header=BB285_13 Depth=1
	v_ffbh_u32_e32 v3, v3
	v_min_u32_e32 v3, 32, v3
	v_subrev_nc_u32_e32 v61, 28, v3
	v_lshlrev_b64 v[62:63], v61, v[11:12]
	v_sub_nc_u32_e32 v61, 29, v3
	v_and_b32_e32 v3, 7, v62
; %bb.247:                              ;   in Loop: Header=BB285_13 Depth=1
	s_or_b32 exec_lo, exec_lo, s52
	v_lshlrev_b32_e32 v62, 8, v11
	v_lshl_add_u32 v61, v61, 10, 0x2000
	v_lshlrev_b32_e32 v3, 7, v3
	v_and_b32_e32 v62, 0x8000, v62
	v_and_b32_e32 v61, 0xfc00, v61
	v_or3_b32 v61, v62, v61, v3
.LBB285_248:                            ;   in Loop: Header=BB285_13 Depth=1
	s_or_b32 exec_lo, exec_lo, s51
.LBB285_249:                            ;   in Loop: Header=BB285_13 Depth=1
	s_or_b32 exec_lo, exec_lo, s50
.LBB285_250:                            ;   in Loop: Header=BB285_13 Depth=1
	s_or_b32 exec_lo, exec_lo, s49
	v_lshrrev_b16 v3, 8, v11
	s_mov_b32 s49, exec_lo
	v_cmpx_ne_u16_e32 0, v3
	s_cbranch_execz .LBB285_258
; %bb.251:                              ;   in Loop: Header=BB285_13 Depth=1
	v_bfrev_b32_e32 v60, 1
	s_mov_b32 s50, exec_lo
	v_cmpx_ne_u16_e32 0x80, v3
	s_cbranch_execz .LBB285_257
; %bb.252:                              ;   in Loop: Header=BB285_13 Depth=1
	v_and_b32_sdwa v63, v3, v24 dst_sel:DWORD dst_unused:UNUSED_PAD src0_sel:WORD_0 src1_sel:DWORD
	v_mov_b32_e32 v60, 0x7c010000
	s_mov_b32 s51, exec_lo
	v_cmpx_ne_u32_e32 0x7f, v63
	s_cbranch_execz .LBB285_256
; %bb.253:                              ;   in Loop: Header=BB285_13 Depth=1
	v_and_b32_sdwa v60, v3, v25 dst_sel:DWORD dst_unused:UNUSED_PAD src0_sel:WORD_0 src1_sel:DWORD
	v_lshrrev_b32_e32 v62, 3, v63
	s_mov_b32 s52, exec_lo
	v_cmpx_gt_u32_e32 8, v63
; %bb.254:                              ;   in Loop: Header=BB285_13 Depth=1
	v_ffbh_u32_e32 v60, v60
	v_min_u32_e32 v60, 32, v60
	v_subrev_nc_u32_e32 v62, 28, v60
	v_lshlrev_b64 v[63:64], v62, v[3:4]
	v_sub_nc_u32_e32 v62, 29, v60
	v_and_b32_e32 v60, 7, v63
; %bb.255:                              ;   in Loop: Header=BB285_13 Depth=1
	s_or_b32 exec_lo, exec_lo, s52
	v_lshlrev_b32_sdwa v3, v26, v3 dst_sel:DWORD dst_unused:UNUSED_PAD src0_sel:DWORD src1_sel:WORD_0
	v_lshl_add_u32 v62, v62, 10, 0x2000
	v_lshlrev_b32_e32 v60, 23, v60
	v_and_or_b32 v3, 0x8000, v3, v62
	v_lshl_or_b32 v60, v3, 16, v60
.LBB285_256:                            ;   in Loop: Header=BB285_13 Depth=1
	s_or_b32 exec_lo, exec_lo, s51
.LBB285_257:                            ;   in Loop: Header=BB285_13 Depth=1
	s_or_b32 exec_lo, exec_lo, s50
.LBB285_258:                            ;   in Loop: Header=BB285_13 Depth=1
	s_or_b32 exec_lo, exec_lo, s49
	v_lshrrev_b32_e32 v3, 16, v11
	v_mov_b32_e32 v62, 0
	v_mov_b32_e32 v63, 0
	v_cmp_ne_u16_sdwa s3, v3, v4 src0_sel:BYTE_0 src1_sel:DWORD
	s_and_saveexec_b32 s49, s3
	s_cbranch_execz .LBB285_266
; %bb.259:                              ;   in Loop: Header=BB285_13 Depth=1
	v_cmp_ne_u16_sdwa s3, v3, v23 src0_sel:BYTE_0 src1_sel:DWORD
	v_mov_b32_e32 v63, 0x8000
	s_and_saveexec_b32 s50, s3
	s_cbranch_execz .LBB285_265
; %bb.260:                              ;   in Loop: Header=BB285_13 Depth=1
	v_bfe_u32 v65, v11, 16, 7
	v_mov_b32_e32 v63, 0x7c01
	s_mov_b32 s51, exec_lo
	v_cmpx_ne_u32_e32 0x7f, v65
	s_cbranch_execz .LBB285_264
; %bb.261:                              ;   in Loop: Header=BB285_13 Depth=1
	v_and_b32_e32 v63, 7, v3
	v_lshrrev_b32_e32 v64, 3, v65
	s_mov_b32 s52, exec_lo
	v_cmpx_gt_u32_e32 8, v65
; %bb.262:                              ;   in Loop: Header=BB285_13 Depth=1
	v_ffbh_u32_e32 v63, v63
	v_min_u32_e32 v65, 32, v63
	v_subrev_nc_u32_e32 v63, 28, v65
	v_lshlrev_b64 v[63:64], v63, v[3:4]
	v_sub_nc_u32_e32 v64, 29, v65
	v_and_b32_e32 v63, 7, v63
; %bb.263:                              ;   in Loop: Header=BB285_13 Depth=1
	s_or_b32 exec_lo, exec_lo, s52
	v_lshlrev_b32_e32 v3, 8, v3
	v_lshl_add_u32 v64, v64, 10, 0x2000
	v_lshlrev_b32_e32 v63, 7, v63
	v_and_b32_e32 v3, 0x8000, v3
	v_and_b32_e32 v64, 0xfc00, v64
	v_or3_b32 v63, v3, v64, v63
.LBB285_264:                            ;   in Loop: Header=BB285_13 Depth=1
	s_or_b32 exec_lo, exec_lo, s51
.LBB285_265:                            ;   in Loop: Header=BB285_13 Depth=1
	s_or_b32 exec_lo, exec_lo, s50
.LBB285_266:                            ;   in Loop: Header=BB285_13 Depth=1
	s_or_b32 exec_lo, exec_lo, s49
	s_mov_b32 s49, exec_lo
	v_cmpx_lt_u32_e32 0xffffff, v11
	s_cbranch_execz .LBB285_274
; %bb.267:                              ;   in Loop: Header=BB285_13 Depth=1
	v_lshrrev_b32_e32 v3, 24, v11
	v_bfrev_b32_e32 v62, 1
	s_mov_b32 s50, exec_lo
	v_cmpx_ne_u32_e32 0x80, v3
	s_cbranch_execz .LBB285_273
; %bb.268:                              ;   in Loop: Header=BB285_13 Depth=1
	v_and_b32_e32 v64, 0x7f, v3
	v_mov_b32_e32 v62, 0x7c010000
	s_mov_b32 s51, exec_lo
	v_cmpx_ne_u32_e32 0x7f, v64
	s_cbranch_execz .LBB285_272
; %bb.269:                              ;   in Loop: Header=BB285_13 Depth=1
	v_and_b32_e32 v11, 7, v3
	v_lshrrev_b32_e32 v62, 3, v64
	s_mov_b32 s52, exec_lo
	v_cmpx_gt_u32_e32 8, v64
; %bb.270:                              ;   in Loop: Header=BB285_13 Depth=1
	v_ffbh_u32_e32 v11, v11
	v_min_u32_e32 v11, 32, v11
	v_subrev_nc_u32_e32 v62, 28, v11
	v_lshlrev_b64 v[64:65], v62, v[3:4]
	v_sub_nc_u32_e32 v62, 29, v11
	v_and_b32_e32 v11, 7, v64
; %bb.271:                              ;   in Loop: Header=BB285_13 Depth=1
	s_or_b32 exec_lo, exec_lo, s52
	v_lshlrev_b32_e32 v3, 8, v3
	v_lshl_add_u32 v62, v62, 10, 0x2000
	v_lshlrev_b32_e32 v11, 23, v11
	v_and_or_b32 v3, 0x8000, v3, v62
	v_lshl_or_b32 v62, v3, 16, v11
.LBB285_272:                            ;   in Loop: Header=BB285_13 Depth=1
	s_or_b32 exec_lo, exec_lo, s51
.LBB285_273:                            ;   in Loop: Header=BB285_13 Depth=1
	s_or_b32 exec_lo, exec_lo, s50
.LBB285_274:                            ;   in Loop: Header=BB285_13 Depth=1
	s_or_b32 exec_lo, exec_lo, s49
	global_load_dword v11, v[9:10], off offset:1024
	v_mov_b32_e32 v64, 0
	v_mov_b32_e32 v65, 0
	s_waitcnt vmcnt(0)
	v_cmp_ne_u16_sdwa s3, v11, v4 src0_sel:BYTE_0 src1_sel:DWORD
	s_and_saveexec_b32 s49, s3
	s_cbranch_execz .LBB285_282
; %bb.275:                              ;   in Loop: Header=BB285_13 Depth=1
	v_cmp_ne_u16_sdwa s3, v11, v23 src0_sel:BYTE_0 src1_sel:DWORD
	v_mov_b32_e32 v65, 0x8000
	s_and_saveexec_b32 s50, s3
	s_cbranch_execz .LBB285_281
; %bb.276:                              ;   in Loop: Header=BB285_13 Depth=1
	v_and_b32_e32 v66, 0x7f, v11
	v_mov_b32_e32 v65, 0x7c01
	s_mov_b32 s51, exec_lo
	v_cmpx_ne_u32_e32 0x7f, v66
	s_cbranch_execz .LBB285_280
; %bb.277:                              ;   in Loop: Header=BB285_13 Depth=1
	v_and_b32_e32 v3, 7, v11
	v_lshrrev_b32_e32 v65, 3, v66
	s_mov_b32 s52, exec_lo
	v_cmpx_gt_u32_e32 8, v66
; %bb.278:                              ;   in Loop: Header=BB285_13 Depth=1
	v_ffbh_u32_e32 v3, v3
	v_min_u32_e32 v3, 32, v3
	v_subrev_nc_u32_e32 v65, 28, v3
	v_lshlrev_b64 v[66:67], v65, v[11:12]
	v_sub_nc_u32_e32 v65, 29, v3
	v_and_b32_e32 v3, 7, v66
; %bb.279:                              ;   in Loop: Header=BB285_13 Depth=1
	s_or_b32 exec_lo, exec_lo, s52
	v_lshlrev_b32_e32 v66, 8, v11
	v_lshl_add_u32 v65, v65, 10, 0x2000
	v_lshlrev_b32_e32 v3, 7, v3
	v_and_b32_e32 v66, 0x8000, v66
	v_and_b32_e32 v65, 0xfc00, v65
	v_or3_b32 v65, v66, v65, v3
.LBB285_280:                            ;   in Loop: Header=BB285_13 Depth=1
	s_or_b32 exec_lo, exec_lo, s51
.LBB285_281:                            ;   in Loop: Header=BB285_13 Depth=1
	s_or_b32 exec_lo, exec_lo, s50
.LBB285_282:                            ;   in Loop: Header=BB285_13 Depth=1
	s_or_b32 exec_lo, exec_lo, s49
	v_lshrrev_b16 v3, 8, v11
	s_mov_b32 s49, exec_lo
	v_cmpx_ne_u16_e32 0, v3
	s_cbranch_execz .LBB285_290
; %bb.283:                              ;   in Loop: Header=BB285_13 Depth=1
	v_bfrev_b32_e32 v64, 1
	s_mov_b32 s50, exec_lo
	v_cmpx_ne_u16_e32 0x80, v3
	s_cbranch_execz .LBB285_289
; %bb.284:                              ;   in Loop: Header=BB285_13 Depth=1
	v_and_b32_sdwa v67, v3, v24 dst_sel:DWORD dst_unused:UNUSED_PAD src0_sel:WORD_0 src1_sel:DWORD
	v_mov_b32_e32 v64, 0x7c010000
	s_mov_b32 s51, exec_lo
	v_cmpx_ne_u32_e32 0x7f, v67
	s_cbranch_execz .LBB285_288
; %bb.285:                              ;   in Loop: Header=BB285_13 Depth=1
	v_and_b32_sdwa v64, v3, v25 dst_sel:DWORD dst_unused:UNUSED_PAD src0_sel:WORD_0 src1_sel:DWORD
	v_lshrrev_b32_e32 v66, 3, v67
	s_mov_b32 s52, exec_lo
	v_cmpx_gt_u32_e32 8, v67
; %bb.286:                              ;   in Loop: Header=BB285_13 Depth=1
	v_ffbh_u32_e32 v64, v64
	v_min_u32_e32 v64, 32, v64
	v_subrev_nc_u32_e32 v66, 28, v64
	v_lshlrev_b64 v[67:68], v66, v[3:4]
	v_sub_nc_u32_e32 v66, 29, v64
	v_and_b32_e32 v64, 7, v67
; %bb.287:                              ;   in Loop: Header=BB285_13 Depth=1
	s_or_b32 exec_lo, exec_lo, s52
	v_lshlrev_b32_sdwa v3, v26, v3 dst_sel:DWORD dst_unused:UNUSED_PAD src0_sel:DWORD src1_sel:WORD_0
	v_lshl_add_u32 v66, v66, 10, 0x2000
	v_lshlrev_b32_e32 v64, 23, v64
	v_and_or_b32 v3, 0x8000, v3, v66
	v_lshl_or_b32 v64, v3, 16, v64
.LBB285_288:                            ;   in Loop: Header=BB285_13 Depth=1
	s_or_b32 exec_lo, exec_lo, s51
.LBB285_289:                            ;   in Loop: Header=BB285_13 Depth=1
	s_or_b32 exec_lo, exec_lo, s50
.LBB285_290:                            ;   in Loop: Header=BB285_13 Depth=1
	s_or_b32 exec_lo, exec_lo, s49
	v_lshrrev_b32_e32 v3, 16, v11
	v_mov_b32_e32 v67, 0
	v_mov_b32_e32 v68, 0
	v_cmp_ne_u16_sdwa s3, v3, v4 src0_sel:BYTE_0 src1_sel:DWORD
	s_and_saveexec_b32 s49, s3
	s_cbranch_execz .LBB285_298
; %bb.291:                              ;   in Loop: Header=BB285_13 Depth=1
	v_cmp_ne_u16_sdwa s3, v3, v23 src0_sel:BYTE_0 src1_sel:DWORD
	v_mov_b32_e32 v68, 0x8000
	s_and_saveexec_b32 s50, s3
	s_cbranch_execz .LBB285_297
; %bb.292:                              ;   in Loop: Header=BB285_13 Depth=1
	v_bfe_u32 v69, v11, 16, 7
	v_mov_b32_e32 v68, 0x7c01
	s_mov_b32 s51, exec_lo
	v_cmpx_ne_u32_e32 0x7f, v69
	s_cbranch_execz .LBB285_296
; %bb.293:                              ;   in Loop: Header=BB285_13 Depth=1
	v_and_b32_e32 v66, 7, v3
	v_lshrrev_b32_e32 v68, 3, v69
	s_mov_b32 s52, exec_lo
	v_cmpx_gt_u32_e32 8, v69
; %bb.294:                              ;   in Loop: Header=BB285_13 Depth=1
	v_ffbh_u32_e32 v66, v66
	v_min_u32_e32 v66, 32, v66
	v_subrev_nc_u32_e32 v68, 28, v66
	v_lshlrev_b64 v[69:70], v68, v[3:4]
	v_sub_nc_u32_e32 v68, 29, v66
	v_and_b32_e32 v66, 7, v69
; %bb.295:                              ;   in Loop: Header=BB285_13 Depth=1
	s_or_b32 exec_lo, exec_lo, s52
	v_lshlrev_b32_e32 v3, 8, v3
	v_lshl_add_u32 v68, v68, 10, 0x2000
	v_lshlrev_b32_e32 v66, 7, v66
	v_and_b32_e32 v3, 0x8000, v3
	v_and_b32_e32 v68, 0xfc00, v68
	v_or3_b32 v68, v3, v68, v66
.LBB285_296:                            ;   in Loop: Header=BB285_13 Depth=1
	s_or_b32 exec_lo, exec_lo, s51
.LBB285_297:                            ;   in Loop: Header=BB285_13 Depth=1
	s_or_b32 exec_lo, exec_lo, s50
.LBB285_298:                            ;   in Loop: Header=BB285_13 Depth=1
	s_or_b32 exec_lo, exec_lo, s49
	s_mov_b32 s49, exec_lo
	v_cmpx_lt_u32_e32 0xffffff, v11
	s_cbranch_execz .LBB285_306
; %bb.299:                              ;   in Loop: Header=BB285_13 Depth=1
	v_lshrrev_b32_e32 v3, 24, v11
	v_bfrev_b32_e32 v67, 1
	s_mov_b32 s50, exec_lo
	v_cmpx_ne_u32_e32 0x80, v3
	s_cbranch_execz .LBB285_305
; %bb.300:                              ;   in Loop: Header=BB285_13 Depth=1
	v_and_b32_e32 v69, 0x7f, v3
	v_mov_b32_e32 v67, 0x7c010000
	s_mov_b32 s51, exec_lo
	v_cmpx_ne_u32_e32 0x7f, v69
	s_cbranch_execz .LBB285_304
; %bb.301:                              ;   in Loop: Header=BB285_13 Depth=1
	v_and_b32_e32 v11, 7, v3
	v_lshrrev_b32_e32 v66, 3, v69
	s_mov_b32 s52, exec_lo
	v_cmpx_gt_u32_e32 8, v69
; %bb.302:                              ;   in Loop: Header=BB285_13 Depth=1
	v_ffbh_u32_e32 v11, v11
	v_min_u32_e32 v11, 32, v11
	v_subrev_nc_u32_e32 v66, 28, v11
	v_lshlrev_b64 v[69:70], v66, v[3:4]
	v_sub_nc_u32_e32 v66, 29, v11
	v_and_b32_e32 v11, 7, v69
; %bb.303:                              ;   in Loop: Header=BB285_13 Depth=1
	s_or_b32 exec_lo, exec_lo, s52
	v_lshlrev_b32_e32 v3, 8, v3
	v_lshl_add_u32 v66, v66, 10, 0x2000
	v_lshlrev_b32_e32 v11, 23, v11
	v_and_or_b32 v3, 0x8000, v3, v66
	v_lshl_or_b32 v67, v3, 16, v11
.LBB285_304:                            ;   in Loop: Header=BB285_13 Depth=1
	s_or_b32 exec_lo, exec_lo, s51
.LBB285_305:                            ;   in Loop: Header=BB285_13 Depth=1
	s_or_b32 exec_lo, exec_lo, s50
.LBB285_306:                            ;   in Loop: Header=BB285_13 Depth=1
	s_or_b32 exec_lo, exec_lo, s49
	global_load_dword v11, v[9:10], off offset:1032
	v_mov_b32_e32 v72, 0
	v_mov_b32_e32 v73, 0
	s_waitcnt vmcnt(0)
	v_cmp_ne_u16_sdwa s3, v11, v4 src0_sel:BYTE_0 src1_sel:DWORD
	s_and_saveexec_b32 s49, s3
	s_cbranch_execz .LBB285_314
; %bb.307:                              ;   in Loop: Header=BB285_13 Depth=1
	v_cmp_ne_u16_sdwa s3, v11, v23 src0_sel:BYTE_0 src1_sel:DWORD
	v_mov_b32_e32 v73, 0x8000
	s_and_saveexec_b32 s50, s3
	s_cbranch_execz .LBB285_313
; %bb.308:                              ;   in Loop: Header=BB285_13 Depth=1
	v_and_b32_e32 v69, 0x7f, v11
	v_mov_b32_e32 v73, 0x7c01
	s_mov_b32 s51, exec_lo
	v_cmpx_ne_u32_e32 0x7f, v69
	s_cbranch_execz .LBB285_312
; %bb.309:                              ;   in Loop: Header=BB285_13 Depth=1
	v_and_b32_e32 v3, 7, v11
	v_lshrrev_b32_e32 v66, 3, v69
	s_mov_b32 s52, exec_lo
	v_cmpx_gt_u32_e32 8, v69
; %bb.310:                              ;   in Loop: Header=BB285_13 Depth=1
	v_ffbh_u32_e32 v3, v3
	v_min_u32_e32 v3, 32, v3
	v_subrev_nc_u32_e32 v66, 28, v3
	v_lshlrev_b64 v[69:70], v66, v[11:12]
	v_sub_nc_u32_e32 v66, 29, v3
	v_and_b32_e32 v3, 7, v69
; %bb.311:                              ;   in Loop: Header=BB285_13 Depth=1
	s_or_b32 exec_lo, exec_lo, s52
	v_lshlrev_b32_e32 v69, 8, v11
	v_lshl_add_u32 v66, v66, 10, 0x2000
	v_lshlrev_b32_e32 v3, 7, v3
	v_and_b32_e32 v69, 0x8000, v69
	v_and_b32_e32 v66, 0xfc00, v66
	v_or3_b32 v73, v69, v66, v3
.LBB285_312:                            ;   in Loop: Header=BB285_13 Depth=1
	s_or_b32 exec_lo, exec_lo, s51
.LBB285_313:                            ;   in Loop: Header=BB285_13 Depth=1
	s_or_b32 exec_lo, exec_lo, s50
.LBB285_314:                            ;   in Loop: Header=BB285_13 Depth=1
	s_or_b32 exec_lo, exec_lo, s49
	v_lshrrev_b16 v3, 8, v11
	s_mov_b32 s49, exec_lo
	v_cmpx_ne_u16_e32 0, v3
	s_cbranch_execz .LBB285_322
; %bb.315:                              ;   in Loop: Header=BB285_13 Depth=1
	v_bfrev_b32_e32 v72, 1
	s_mov_b32 s50, exec_lo
	v_cmpx_ne_u16_e32 0x80, v3
	s_cbranch_execz .LBB285_321
; %bb.316:                              ;   in Loop: Header=BB285_13 Depth=1
	v_and_b32_sdwa v70, v3, v24 dst_sel:DWORD dst_unused:UNUSED_PAD src0_sel:WORD_0 src1_sel:DWORD
	v_mov_b32_e32 v72, 0x7c010000
	s_mov_b32 s51, exec_lo
	v_cmpx_ne_u32_e32 0x7f, v70
	s_cbranch_execz .LBB285_320
; %bb.317:                              ;   in Loop: Header=BB285_13 Depth=1
	v_and_b32_sdwa v66, v3, v25 dst_sel:DWORD dst_unused:UNUSED_PAD src0_sel:WORD_0 src1_sel:DWORD
	v_lshrrev_b32_e32 v69, 3, v70
	s_mov_b32 s52, exec_lo
	v_cmpx_gt_u32_e32 8, v70
; %bb.318:                              ;   in Loop: Header=BB285_13 Depth=1
	v_ffbh_u32_e32 v66, v66
	v_min_u32_e32 v66, 32, v66
	v_subrev_nc_u32_e32 v69, 28, v66
	v_lshlrev_b64 v[70:71], v69, v[3:4]
	v_sub_nc_u32_e32 v69, 29, v66
	v_and_b32_e32 v66, 7, v70
; %bb.319:                              ;   in Loop: Header=BB285_13 Depth=1
	s_or_b32 exec_lo, exec_lo, s52
	v_lshlrev_b32_sdwa v3, v26, v3 dst_sel:DWORD dst_unused:UNUSED_PAD src0_sel:DWORD src1_sel:WORD_0
	v_lshl_add_u32 v69, v69, 10, 0x2000
	v_lshlrev_b32_e32 v66, 23, v66
	v_and_or_b32 v3, 0x8000, v3, v69
	v_lshl_or_b32 v72, v3, 16, v66
.LBB285_320:                            ;   in Loop: Header=BB285_13 Depth=1
	s_or_b32 exec_lo, exec_lo, s51
.LBB285_321:                            ;   in Loop: Header=BB285_13 Depth=1
	s_or_b32 exec_lo, exec_lo, s50
.LBB285_322:                            ;   in Loop: Header=BB285_13 Depth=1
	s_or_b32 exec_lo, exec_lo, s49
	v_lshrrev_b32_e32 v3, 16, v11
	v_mov_b32_e32 v79, 0
	v_mov_b32_e32 v80, 0
	v_cmp_ne_u16_sdwa s3, v3, v4 src0_sel:BYTE_0 src1_sel:DWORD
	s_and_saveexec_b32 s49, s3
	s_cbranch_execz .LBB285_330
; %bb.323:                              ;   in Loop: Header=BB285_13 Depth=1
	v_cmp_ne_u16_sdwa s3, v3, v23 src0_sel:BYTE_0 src1_sel:DWORD
	v_mov_b32_e32 v80, 0x8000
	s_and_saveexec_b32 s50, s3
	s_cbranch_execz .LBB285_329
; %bb.324:                              ;   in Loop: Header=BB285_13 Depth=1
	v_bfe_u32 v70, v11, 16, 7
	v_mov_b32_e32 v80, 0x7c01
	s_mov_b32 s51, exec_lo
	v_cmpx_ne_u32_e32 0x7f, v70
	s_cbranch_execz .LBB285_328
; %bb.325:                              ;   in Loop: Header=BB285_13 Depth=1
	v_and_b32_e32 v66, 7, v3
	v_lshrrev_b32_e32 v69, 3, v70
	s_mov_b32 s52, exec_lo
	v_cmpx_gt_u32_e32 8, v70
; %bb.326:                              ;   in Loop: Header=BB285_13 Depth=1
	v_ffbh_u32_e32 v66, v66
	v_min_u32_e32 v66, 32, v66
	v_subrev_nc_u32_e32 v69, 28, v66
	v_lshlrev_b64 v[70:71], v69, v[3:4]
	v_sub_nc_u32_e32 v69, 29, v66
	v_and_b32_e32 v66, 7, v70
; %bb.327:                              ;   in Loop: Header=BB285_13 Depth=1
	s_or_b32 exec_lo, exec_lo, s52
	v_lshlrev_b32_e32 v3, 8, v3
	v_lshl_add_u32 v69, v69, 10, 0x2000
	v_lshlrev_b32_e32 v66, 7, v66
	v_and_b32_e32 v3, 0x8000, v3
	v_and_b32_e32 v69, 0xfc00, v69
	v_or3_b32 v80, v3, v69, v66
.LBB285_328:                            ;   in Loop: Header=BB285_13 Depth=1
	s_or_b32 exec_lo, exec_lo, s51
.LBB285_329:                            ;   in Loop: Header=BB285_13 Depth=1
	s_or_b32 exec_lo, exec_lo, s50
.LBB285_330:                            ;   in Loop: Header=BB285_13 Depth=1
	s_or_b32 exec_lo, exec_lo, s49
	s_mov_b32 s49, exec_lo
	v_cmpx_lt_u32_e32 0xffffff, v11
	s_cbranch_execz .LBB285_338
; %bb.331:                              ;   in Loop: Header=BB285_13 Depth=1
	v_lshrrev_b32_e32 v3, 24, v11
	v_bfrev_b32_e32 v79, 1
	s_mov_b32 s50, exec_lo
	v_cmpx_ne_u32_e32 0x80, v3
	s_cbranch_execz .LBB285_337
; %bb.332:                              ;   in Loop: Header=BB285_13 Depth=1
	v_and_b32_e32 v69, 0x7f, v3
	v_mov_b32_e32 v79, 0x7c010000
	s_mov_b32 s51, exec_lo
	v_cmpx_ne_u32_e32 0x7f, v69
	s_cbranch_execz .LBB285_336
; %bb.333:                              ;   in Loop: Header=BB285_13 Depth=1
	v_and_b32_e32 v11, 7, v3
	v_lshrrev_b32_e32 v66, 3, v69
	s_mov_b32 s52, exec_lo
	v_cmpx_gt_u32_e32 8, v69
; %bb.334:                              ;   in Loop: Header=BB285_13 Depth=1
	v_ffbh_u32_e32 v11, v11
	v_min_u32_e32 v11, 32, v11
	v_subrev_nc_u32_e32 v66, 28, v11
	v_lshlrev_b64 v[69:70], v66, v[3:4]
	v_sub_nc_u32_e32 v66, 29, v11
	v_and_b32_e32 v11, 7, v69
; %bb.335:                              ;   in Loop: Header=BB285_13 Depth=1
	s_or_b32 exec_lo, exec_lo, s52
	v_lshlrev_b32_e32 v3, 8, v3
	v_lshl_add_u32 v66, v66, 10, 0x2000
	v_lshlrev_b32_e32 v11, 23, v11
	v_and_or_b32 v3, 0x8000, v3, v66
	v_lshl_or_b32 v79, v3, 16, v11
.LBB285_336:                            ;   in Loop: Header=BB285_13 Depth=1
	s_or_b32 exec_lo, exec_lo, s51
.LBB285_337:                            ;   in Loop: Header=BB285_13 Depth=1
	s_or_b32 exec_lo, exec_lo, s50
.LBB285_338:                            ;   in Loop: Header=BB285_13 Depth=1
	s_or_b32 exec_lo, exec_lo, s49
	global_load_dword v11, v[9:10], off offset:1280
	v_mov_b32_e32 v85, 0
	v_mov_b32_e32 v86, 0
	s_waitcnt vmcnt(0)
	v_cmp_ne_u16_sdwa s3, v11, v4 src0_sel:BYTE_0 src1_sel:DWORD
	s_and_saveexec_b32 s49, s3
	s_cbranch_execz .LBB285_346
; %bb.339:                              ;   in Loop: Header=BB285_13 Depth=1
	v_cmp_ne_u16_sdwa s3, v11, v23 src0_sel:BYTE_0 src1_sel:DWORD
	v_mov_b32_e32 v86, 0x8000
	s_and_saveexec_b32 s50, s3
	s_cbranch_execz .LBB285_345
; %bb.340:                              ;   in Loop: Header=BB285_13 Depth=1
	v_and_b32_e32 v69, 0x7f, v11
	v_mov_b32_e32 v86, 0x7c01
	s_mov_b32 s51, exec_lo
	v_cmpx_ne_u32_e32 0x7f, v69
	s_cbranch_execz .LBB285_344
; %bb.341:                              ;   in Loop: Header=BB285_13 Depth=1
	v_and_b32_e32 v3, 7, v11
	v_lshrrev_b32_e32 v66, 3, v69
	s_mov_b32 s52, exec_lo
	v_cmpx_gt_u32_e32 8, v69
; %bb.342:                              ;   in Loop: Header=BB285_13 Depth=1
	v_ffbh_u32_e32 v3, v3
	v_min_u32_e32 v3, 32, v3
	v_subrev_nc_u32_e32 v66, 28, v3
	v_lshlrev_b64 v[69:70], v66, v[11:12]
	v_sub_nc_u32_e32 v66, 29, v3
	v_and_b32_e32 v3, 7, v69
; %bb.343:                              ;   in Loop: Header=BB285_13 Depth=1
	s_or_b32 exec_lo, exec_lo, s52
	v_lshlrev_b32_e32 v69, 8, v11
	v_lshl_add_u32 v66, v66, 10, 0x2000
	v_lshlrev_b32_e32 v3, 7, v3
	v_and_b32_e32 v69, 0x8000, v69
	v_and_b32_e32 v66, 0xfc00, v66
	v_or3_b32 v86, v69, v66, v3
.LBB285_344:                            ;   in Loop: Header=BB285_13 Depth=1
	s_or_b32 exec_lo, exec_lo, s51
.LBB285_345:                            ;   in Loop: Header=BB285_13 Depth=1
	s_or_b32 exec_lo, exec_lo, s50
.LBB285_346:                            ;   in Loop: Header=BB285_13 Depth=1
	s_or_b32 exec_lo, exec_lo, s49
	v_lshrrev_b16 v3, 8, v11
	s_mov_b32 s49, exec_lo
	v_cmpx_ne_u16_e32 0, v3
	s_cbranch_execz .LBB285_354
; %bb.347:                              ;   in Loop: Header=BB285_13 Depth=1
	v_bfrev_b32_e32 v85, 1
	s_mov_b32 s50, exec_lo
	v_cmpx_ne_u16_e32 0x80, v3
	s_cbranch_execz .LBB285_353
; %bb.348:                              ;   in Loop: Header=BB285_13 Depth=1
	v_and_b32_sdwa v70, v3, v24 dst_sel:DWORD dst_unused:UNUSED_PAD src0_sel:WORD_0 src1_sel:DWORD
	v_mov_b32_e32 v85, 0x7c010000
	s_mov_b32 s51, exec_lo
	v_cmpx_ne_u32_e32 0x7f, v70
	s_cbranch_execz .LBB285_352
; %bb.349:                              ;   in Loop: Header=BB285_13 Depth=1
	v_and_b32_sdwa v66, v3, v25 dst_sel:DWORD dst_unused:UNUSED_PAD src0_sel:WORD_0 src1_sel:DWORD
	v_lshrrev_b32_e32 v69, 3, v70
	s_mov_b32 s52, exec_lo
	v_cmpx_gt_u32_e32 8, v70
; %bb.350:                              ;   in Loop: Header=BB285_13 Depth=1
	v_ffbh_u32_e32 v66, v66
	v_min_u32_e32 v66, 32, v66
	v_subrev_nc_u32_e32 v69, 28, v66
	v_lshlrev_b64 v[70:71], v69, v[3:4]
	v_sub_nc_u32_e32 v69, 29, v66
	v_and_b32_e32 v66, 7, v70
; %bb.351:                              ;   in Loop: Header=BB285_13 Depth=1
	s_or_b32 exec_lo, exec_lo, s52
	v_lshlrev_b32_sdwa v3, v26, v3 dst_sel:DWORD dst_unused:UNUSED_PAD src0_sel:DWORD src1_sel:WORD_0
	v_lshl_add_u32 v69, v69, 10, 0x2000
	v_lshlrev_b32_e32 v66, 23, v66
	v_and_or_b32 v3, 0x8000, v3, v69
	v_lshl_or_b32 v85, v3, 16, v66
.LBB285_352:                            ;   in Loop: Header=BB285_13 Depth=1
	s_or_b32 exec_lo, exec_lo, s51
.LBB285_353:                            ;   in Loop: Header=BB285_13 Depth=1
	s_or_b32 exec_lo, exec_lo, s50
.LBB285_354:                            ;   in Loop: Header=BB285_13 Depth=1
	s_or_b32 exec_lo, exec_lo, s49
	v_lshrrev_b32_e32 v3, 16, v11
	v_mov_b32_e32 v90, 0
	v_mov_b32_e32 v92, 0
	v_cmp_ne_u16_sdwa s3, v3, v4 src0_sel:BYTE_0 src1_sel:DWORD
	s_and_saveexec_b32 s49, s3
	s_cbranch_execz .LBB285_362
; %bb.355:                              ;   in Loop: Header=BB285_13 Depth=1
	v_cmp_ne_u16_sdwa s3, v3, v23 src0_sel:BYTE_0 src1_sel:DWORD
	v_mov_b32_e32 v92, 0x8000
	s_and_saveexec_b32 s50, s3
	s_cbranch_execz .LBB285_361
; %bb.356:                              ;   in Loop: Header=BB285_13 Depth=1
	v_bfe_u32 v70, v11, 16, 7
	v_mov_b32_e32 v92, 0x7c01
	s_mov_b32 s51, exec_lo
	v_cmpx_ne_u32_e32 0x7f, v70
	s_cbranch_execz .LBB285_360
; %bb.357:                              ;   in Loop: Header=BB285_13 Depth=1
	v_and_b32_e32 v66, 7, v3
	v_lshrrev_b32_e32 v69, 3, v70
	s_mov_b32 s52, exec_lo
	v_cmpx_gt_u32_e32 8, v70
; %bb.358:                              ;   in Loop: Header=BB285_13 Depth=1
	v_ffbh_u32_e32 v66, v66
	v_min_u32_e32 v66, 32, v66
	v_subrev_nc_u32_e32 v69, 28, v66
	v_lshlrev_b64 v[70:71], v69, v[3:4]
	v_sub_nc_u32_e32 v69, 29, v66
	v_and_b32_e32 v66, 7, v70
; %bb.359:                              ;   in Loop: Header=BB285_13 Depth=1
	s_or_b32 exec_lo, exec_lo, s52
	v_lshlrev_b32_e32 v3, 8, v3
	v_lshl_add_u32 v69, v69, 10, 0x2000
	v_lshlrev_b32_e32 v66, 7, v66
	v_and_b32_e32 v3, 0x8000, v3
	v_and_b32_e32 v69, 0xfc00, v69
	v_or3_b32 v92, v3, v69, v66
.LBB285_360:                            ;   in Loop: Header=BB285_13 Depth=1
	s_or_b32 exec_lo, exec_lo, s51
.LBB285_361:                            ;   in Loop: Header=BB285_13 Depth=1
	s_or_b32 exec_lo, exec_lo, s50
.LBB285_362:                            ;   in Loop: Header=BB285_13 Depth=1
	s_or_b32 exec_lo, exec_lo, s49
	s_mov_b32 s49, exec_lo
	v_cmpx_lt_u32_e32 0xffffff, v11
	s_cbranch_execz .LBB285_370
; %bb.363:                              ;   in Loop: Header=BB285_13 Depth=1
	v_lshrrev_b32_e32 v3, 24, v11
	v_bfrev_b32_e32 v90, 1
	s_mov_b32 s50, exec_lo
	v_cmpx_ne_u32_e32 0x80, v3
	s_cbranch_execz .LBB285_369
; %bb.364:                              ;   in Loop: Header=BB285_13 Depth=1
	v_and_b32_e32 v69, 0x7f, v3
	v_mov_b32_e32 v90, 0x7c010000
	s_mov_b32 s51, exec_lo
	v_cmpx_ne_u32_e32 0x7f, v69
	s_cbranch_execz .LBB285_368
; %bb.365:                              ;   in Loop: Header=BB285_13 Depth=1
	v_and_b32_e32 v11, 7, v3
	v_lshrrev_b32_e32 v66, 3, v69
	s_mov_b32 s52, exec_lo
	v_cmpx_gt_u32_e32 8, v69
; %bb.366:                              ;   in Loop: Header=BB285_13 Depth=1
	v_ffbh_u32_e32 v11, v11
	v_min_u32_e32 v11, 32, v11
	v_subrev_nc_u32_e32 v66, 28, v11
	v_lshlrev_b64 v[69:70], v66, v[3:4]
	v_sub_nc_u32_e32 v66, 29, v11
	v_and_b32_e32 v11, 7, v69
; %bb.367:                              ;   in Loop: Header=BB285_13 Depth=1
	s_or_b32 exec_lo, exec_lo, s52
	v_lshlrev_b32_e32 v3, 8, v3
	v_lshl_add_u32 v66, v66, 10, 0x2000
	v_lshlrev_b32_e32 v11, 23, v11
	v_and_or_b32 v3, 0x8000, v3, v66
	v_lshl_or_b32 v90, v3, 16, v11
.LBB285_368:                            ;   in Loop: Header=BB285_13 Depth=1
	s_or_b32 exec_lo, exec_lo, s51
.LBB285_369:                            ;   in Loop: Header=BB285_13 Depth=1
	s_or_b32 exec_lo, exec_lo, s50
.LBB285_370:                            ;   in Loop: Header=BB285_13 Depth=1
	s_or_b32 exec_lo, exec_lo, s49
	global_load_dword v11, v[9:10], off offset:1288
	v_mov_b32_e32 v83, 0
	v_mov_b32_e32 v84, 0
	s_waitcnt vmcnt(0)
	v_cmp_ne_u16_sdwa s3, v11, v4 src0_sel:BYTE_0 src1_sel:DWORD
	s_and_saveexec_b32 s49, s3
	s_cbranch_execz .LBB285_378
; %bb.371:                              ;   in Loop: Header=BB285_13 Depth=1
	v_cmp_ne_u16_sdwa s3, v11, v23 src0_sel:BYTE_0 src1_sel:DWORD
	v_mov_b32_e32 v84, 0x8000
	s_and_saveexec_b32 s50, s3
	s_cbranch_execz .LBB285_377
; %bb.372:                              ;   in Loop: Header=BB285_13 Depth=1
	v_and_b32_e32 v69, 0x7f, v11
	v_mov_b32_e32 v84, 0x7c01
	s_mov_b32 s51, exec_lo
	v_cmpx_ne_u32_e32 0x7f, v69
	s_cbranch_execz .LBB285_376
; %bb.373:                              ;   in Loop: Header=BB285_13 Depth=1
	v_and_b32_e32 v3, 7, v11
	v_lshrrev_b32_e32 v66, 3, v69
	s_mov_b32 s52, exec_lo
	v_cmpx_gt_u32_e32 8, v69
; %bb.374:                              ;   in Loop: Header=BB285_13 Depth=1
	v_ffbh_u32_e32 v3, v3
	v_min_u32_e32 v3, 32, v3
	v_subrev_nc_u32_e32 v66, 28, v3
	v_lshlrev_b64 v[69:70], v66, v[11:12]
	v_sub_nc_u32_e32 v66, 29, v3
	v_and_b32_e32 v3, 7, v69
; %bb.375:                              ;   in Loop: Header=BB285_13 Depth=1
	s_or_b32 exec_lo, exec_lo, s52
	v_lshlrev_b32_e32 v69, 8, v11
	v_lshl_add_u32 v66, v66, 10, 0x2000
	v_lshlrev_b32_e32 v3, 7, v3
	v_and_b32_e32 v69, 0x8000, v69
	v_and_b32_e32 v66, 0xfc00, v66
	v_or3_b32 v84, v69, v66, v3
.LBB285_376:                            ;   in Loop: Header=BB285_13 Depth=1
	s_or_b32 exec_lo, exec_lo, s51
.LBB285_377:                            ;   in Loop: Header=BB285_13 Depth=1
	s_or_b32 exec_lo, exec_lo, s50
.LBB285_378:                            ;   in Loop: Header=BB285_13 Depth=1
	s_or_b32 exec_lo, exec_lo, s49
	v_lshrrev_b16 v3, 8, v11
	s_mov_b32 s49, exec_lo
	v_cmpx_ne_u16_e32 0, v3
	s_cbranch_execz .LBB285_386
; %bb.379:                              ;   in Loop: Header=BB285_13 Depth=1
	v_bfrev_b32_e32 v83, 1
	s_mov_b32 s50, exec_lo
	v_cmpx_ne_u16_e32 0x80, v3
	s_cbranch_execz .LBB285_385
; %bb.380:                              ;   in Loop: Header=BB285_13 Depth=1
	v_and_b32_sdwa v70, v3, v24 dst_sel:DWORD dst_unused:UNUSED_PAD src0_sel:WORD_0 src1_sel:DWORD
	v_mov_b32_e32 v83, 0x7c010000
	s_mov_b32 s51, exec_lo
	v_cmpx_ne_u32_e32 0x7f, v70
	s_cbranch_execz .LBB285_384
; %bb.381:                              ;   in Loop: Header=BB285_13 Depth=1
	v_and_b32_sdwa v66, v3, v25 dst_sel:DWORD dst_unused:UNUSED_PAD src0_sel:WORD_0 src1_sel:DWORD
	v_lshrrev_b32_e32 v69, 3, v70
	s_mov_b32 s52, exec_lo
	v_cmpx_gt_u32_e32 8, v70
; %bb.382:                              ;   in Loop: Header=BB285_13 Depth=1
	v_ffbh_u32_e32 v66, v66
	v_min_u32_e32 v66, 32, v66
	v_subrev_nc_u32_e32 v69, 28, v66
	v_lshlrev_b64 v[70:71], v69, v[3:4]
	v_sub_nc_u32_e32 v69, 29, v66
	v_and_b32_e32 v66, 7, v70
; %bb.383:                              ;   in Loop: Header=BB285_13 Depth=1
	s_or_b32 exec_lo, exec_lo, s52
	v_lshlrev_b32_sdwa v3, v26, v3 dst_sel:DWORD dst_unused:UNUSED_PAD src0_sel:DWORD src1_sel:WORD_0
	v_lshl_add_u32 v69, v69, 10, 0x2000
	v_lshlrev_b32_e32 v66, 23, v66
	v_and_or_b32 v3, 0x8000, v3, v69
	v_lshl_or_b32 v83, v3, 16, v66
.LBB285_384:                            ;   in Loop: Header=BB285_13 Depth=1
	s_or_b32 exec_lo, exec_lo, s51
.LBB285_385:                            ;   in Loop: Header=BB285_13 Depth=1
	s_or_b32 exec_lo, exec_lo, s50
.LBB285_386:                            ;   in Loop: Header=BB285_13 Depth=1
	s_or_b32 exec_lo, exec_lo, s49
	v_lshrrev_b32_e32 v3, 16, v11
	v_mov_b32_e32 v89, 0
	v_mov_b32_e32 v91, 0
	v_cmp_ne_u16_sdwa s3, v3, v4 src0_sel:BYTE_0 src1_sel:DWORD
	s_and_saveexec_b32 s49, s3
	s_cbranch_execz .LBB285_394
; %bb.387:                              ;   in Loop: Header=BB285_13 Depth=1
	v_cmp_ne_u16_sdwa s3, v3, v23 src0_sel:BYTE_0 src1_sel:DWORD
	v_mov_b32_e32 v91, 0x8000
	s_and_saveexec_b32 s50, s3
	s_cbranch_execz .LBB285_393
; %bb.388:                              ;   in Loop: Header=BB285_13 Depth=1
	v_bfe_u32 v70, v11, 16, 7
	v_mov_b32_e32 v91, 0x7c01
	s_mov_b32 s51, exec_lo
	v_cmpx_ne_u32_e32 0x7f, v70
	s_cbranch_execz .LBB285_392
; %bb.389:                              ;   in Loop: Header=BB285_13 Depth=1
	v_and_b32_e32 v66, 7, v3
	v_lshrrev_b32_e32 v69, 3, v70
	s_mov_b32 s52, exec_lo
	v_cmpx_gt_u32_e32 8, v70
; %bb.390:                              ;   in Loop: Header=BB285_13 Depth=1
	v_ffbh_u32_e32 v66, v66
	v_min_u32_e32 v66, 32, v66
	v_subrev_nc_u32_e32 v69, 28, v66
	v_lshlrev_b64 v[70:71], v69, v[3:4]
	v_sub_nc_u32_e32 v69, 29, v66
	v_and_b32_e32 v66, 7, v70
; %bb.391:                              ;   in Loop: Header=BB285_13 Depth=1
	s_or_b32 exec_lo, exec_lo, s52
	v_lshlrev_b32_e32 v3, 8, v3
	v_lshl_add_u32 v69, v69, 10, 0x2000
	v_lshlrev_b32_e32 v66, 7, v66
	v_and_b32_e32 v3, 0x8000, v3
	v_and_b32_e32 v69, 0xfc00, v69
	v_or3_b32 v91, v3, v69, v66
.LBB285_392:                            ;   in Loop: Header=BB285_13 Depth=1
	s_or_b32 exec_lo, exec_lo, s51
.LBB285_393:                            ;   in Loop: Header=BB285_13 Depth=1
	s_or_b32 exec_lo, exec_lo, s50
.LBB285_394:                            ;   in Loop: Header=BB285_13 Depth=1
	s_or_b32 exec_lo, exec_lo, s49
	s_mov_b32 s49, exec_lo
	v_cmpx_lt_u32_e32 0xffffff, v11
	s_cbranch_execz .LBB285_402
; %bb.395:                              ;   in Loop: Header=BB285_13 Depth=1
	v_lshrrev_b32_e32 v3, 24, v11
	v_bfrev_b32_e32 v89, 1
	s_mov_b32 s50, exec_lo
	v_cmpx_ne_u32_e32 0x80, v3
	s_cbranch_execz .LBB285_401
; %bb.396:                              ;   in Loop: Header=BB285_13 Depth=1
	v_and_b32_e32 v69, 0x7f, v3
	v_mov_b32_e32 v89, 0x7c010000
	s_mov_b32 s51, exec_lo
	v_cmpx_ne_u32_e32 0x7f, v69
	s_cbranch_execz .LBB285_400
; %bb.397:                              ;   in Loop: Header=BB285_13 Depth=1
	v_and_b32_e32 v11, 7, v3
	v_lshrrev_b32_e32 v66, 3, v69
	s_mov_b32 s52, exec_lo
	v_cmpx_gt_u32_e32 8, v69
; %bb.398:                              ;   in Loop: Header=BB285_13 Depth=1
	v_ffbh_u32_e32 v11, v11
	v_min_u32_e32 v11, 32, v11
	v_subrev_nc_u32_e32 v66, 28, v11
	v_lshlrev_b64 v[69:70], v66, v[3:4]
	v_sub_nc_u32_e32 v66, 29, v11
	v_and_b32_e32 v11, 7, v69
; %bb.399:                              ;   in Loop: Header=BB285_13 Depth=1
	s_or_b32 exec_lo, exec_lo, s52
	v_lshlrev_b32_e32 v3, 8, v3
	v_lshl_add_u32 v66, v66, 10, 0x2000
	v_lshlrev_b32_e32 v11, 23, v11
	v_and_or_b32 v3, 0x8000, v3, v66
	v_lshl_or_b32 v89, v3, 16, v11
.LBB285_400:                            ;   in Loop: Header=BB285_13 Depth=1
	s_or_b32 exec_lo, exec_lo, s51
.LBB285_401:                            ;   in Loop: Header=BB285_13 Depth=1
	s_or_b32 exec_lo, exec_lo, s50
.LBB285_402:                            ;   in Loop: Header=BB285_13 Depth=1
	s_or_b32 exec_lo, exec_lo, s49
	global_load_dword v11, v[9:10], off offset:1536
	v_mov_b32_e32 v77, 0
	v_mov_b32_e32 v78, 0
	s_waitcnt vmcnt(0)
	v_cmp_ne_u16_sdwa s3, v11, v4 src0_sel:BYTE_0 src1_sel:DWORD
	s_and_saveexec_b32 s49, s3
	s_cbranch_execz .LBB285_410
; %bb.403:                              ;   in Loop: Header=BB285_13 Depth=1
	v_cmp_ne_u16_sdwa s3, v11, v23 src0_sel:BYTE_0 src1_sel:DWORD
	v_mov_b32_e32 v78, 0x8000
	s_and_saveexec_b32 s50, s3
	s_cbranch_execz .LBB285_409
; %bb.404:                              ;   in Loop: Header=BB285_13 Depth=1
	v_and_b32_e32 v69, 0x7f, v11
	v_mov_b32_e32 v78, 0x7c01
	s_mov_b32 s51, exec_lo
	v_cmpx_ne_u32_e32 0x7f, v69
	s_cbranch_execz .LBB285_408
; %bb.405:                              ;   in Loop: Header=BB285_13 Depth=1
	v_and_b32_e32 v3, 7, v11
	v_lshrrev_b32_e32 v66, 3, v69
	s_mov_b32 s52, exec_lo
	v_cmpx_gt_u32_e32 8, v69
; %bb.406:                              ;   in Loop: Header=BB285_13 Depth=1
	v_ffbh_u32_e32 v3, v3
	v_min_u32_e32 v3, 32, v3
	v_subrev_nc_u32_e32 v66, 28, v3
	v_lshlrev_b64 v[69:70], v66, v[11:12]
	v_sub_nc_u32_e32 v66, 29, v3
	v_and_b32_e32 v3, 7, v69
; %bb.407:                              ;   in Loop: Header=BB285_13 Depth=1
	s_or_b32 exec_lo, exec_lo, s52
	v_lshlrev_b32_e32 v69, 8, v11
	v_lshl_add_u32 v66, v66, 10, 0x2000
	v_lshlrev_b32_e32 v3, 7, v3
	v_and_b32_e32 v69, 0x8000, v69
	v_and_b32_e32 v66, 0xfc00, v66
	v_or3_b32 v78, v69, v66, v3
.LBB285_408:                            ;   in Loop: Header=BB285_13 Depth=1
	s_or_b32 exec_lo, exec_lo, s51
.LBB285_409:                            ;   in Loop: Header=BB285_13 Depth=1
	s_or_b32 exec_lo, exec_lo, s50
.LBB285_410:                            ;   in Loop: Header=BB285_13 Depth=1
	s_or_b32 exec_lo, exec_lo, s49
	v_lshrrev_b16 v3, 8, v11
	s_mov_b32 s49, exec_lo
	v_cmpx_ne_u16_e32 0, v3
	s_cbranch_execz .LBB285_418
; %bb.411:                              ;   in Loop: Header=BB285_13 Depth=1
	v_bfrev_b32_e32 v77, 1
	s_mov_b32 s50, exec_lo
	v_cmpx_ne_u16_e32 0x80, v3
	s_cbranch_execz .LBB285_417
; %bb.412:                              ;   in Loop: Header=BB285_13 Depth=1
	v_and_b32_sdwa v70, v3, v24 dst_sel:DWORD dst_unused:UNUSED_PAD src0_sel:WORD_0 src1_sel:DWORD
	v_mov_b32_e32 v77, 0x7c010000
	s_mov_b32 s51, exec_lo
	v_cmpx_ne_u32_e32 0x7f, v70
	s_cbranch_execz .LBB285_416
; %bb.413:                              ;   in Loop: Header=BB285_13 Depth=1
	v_and_b32_sdwa v66, v3, v25 dst_sel:DWORD dst_unused:UNUSED_PAD src0_sel:WORD_0 src1_sel:DWORD
	v_lshrrev_b32_e32 v69, 3, v70
	s_mov_b32 s52, exec_lo
	v_cmpx_gt_u32_e32 8, v70
; %bb.414:                              ;   in Loop: Header=BB285_13 Depth=1
	v_ffbh_u32_e32 v66, v66
	v_min_u32_e32 v66, 32, v66
	v_subrev_nc_u32_e32 v69, 28, v66
	v_lshlrev_b64 v[70:71], v69, v[3:4]
	v_sub_nc_u32_e32 v69, 29, v66
	v_and_b32_e32 v66, 7, v70
; %bb.415:                              ;   in Loop: Header=BB285_13 Depth=1
	s_or_b32 exec_lo, exec_lo, s52
	v_lshlrev_b32_sdwa v3, v26, v3 dst_sel:DWORD dst_unused:UNUSED_PAD src0_sel:DWORD src1_sel:WORD_0
	v_lshl_add_u32 v69, v69, 10, 0x2000
	v_lshlrev_b32_e32 v66, 23, v66
	v_and_or_b32 v3, 0x8000, v3, v69
	v_lshl_or_b32 v77, v3, 16, v66
.LBB285_416:                            ;   in Loop: Header=BB285_13 Depth=1
	s_or_b32 exec_lo, exec_lo, s51
.LBB285_417:                            ;   in Loop: Header=BB285_13 Depth=1
	s_or_b32 exec_lo, exec_lo, s50
.LBB285_418:                            ;   in Loop: Header=BB285_13 Depth=1
	s_or_b32 exec_lo, exec_lo, s49
	v_lshrrev_b32_e32 v3, 16, v11
	v_mov_b32_e32 v87, 0
	v_mov_b32_e32 v88, 0
	v_cmp_ne_u16_sdwa s3, v3, v4 src0_sel:BYTE_0 src1_sel:DWORD
	s_and_saveexec_b32 s49, s3
	s_cbranch_execz .LBB285_426
; %bb.419:                              ;   in Loop: Header=BB285_13 Depth=1
	v_cmp_ne_u16_sdwa s3, v3, v23 src0_sel:BYTE_0 src1_sel:DWORD
	v_mov_b32_e32 v88, 0x8000
	s_and_saveexec_b32 s50, s3
	s_cbranch_execz .LBB285_425
; %bb.420:                              ;   in Loop: Header=BB285_13 Depth=1
	v_bfe_u32 v70, v11, 16, 7
	v_mov_b32_e32 v88, 0x7c01
	s_mov_b32 s51, exec_lo
	v_cmpx_ne_u32_e32 0x7f, v70
	s_cbranch_execz .LBB285_424
; %bb.421:                              ;   in Loop: Header=BB285_13 Depth=1
	v_and_b32_e32 v66, 7, v3
	v_lshrrev_b32_e32 v69, 3, v70
	s_mov_b32 s52, exec_lo
	v_cmpx_gt_u32_e32 8, v70
; %bb.422:                              ;   in Loop: Header=BB285_13 Depth=1
	v_ffbh_u32_e32 v66, v66
	v_min_u32_e32 v66, 32, v66
	v_subrev_nc_u32_e32 v69, 28, v66
	v_lshlrev_b64 v[70:71], v69, v[3:4]
	v_sub_nc_u32_e32 v69, 29, v66
	v_and_b32_e32 v66, 7, v70
; %bb.423:                              ;   in Loop: Header=BB285_13 Depth=1
	s_or_b32 exec_lo, exec_lo, s52
	v_lshlrev_b32_e32 v3, 8, v3
	v_lshl_add_u32 v69, v69, 10, 0x2000
	v_lshlrev_b32_e32 v66, 7, v66
	v_and_b32_e32 v3, 0x8000, v3
	v_and_b32_e32 v69, 0xfc00, v69
	v_or3_b32 v88, v3, v69, v66
.LBB285_424:                            ;   in Loop: Header=BB285_13 Depth=1
	s_or_b32 exec_lo, exec_lo, s51
.LBB285_425:                            ;   in Loop: Header=BB285_13 Depth=1
	s_or_b32 exec_lo, exec_lo, s50
.LBB285_426:                            ;   in Loop: Header=BB285_13 Depth=1
	s_or_b32 exec_lo, exec_lo, s49
	s_mov_b32 s49, exec_lo
	v_cmpx_lt_u32_e32 0xffffff, v11
	s_cbranch_execz .LBB285_434
; %bb.427:                              ;   in Loop: Header=BB285_13 Depth=1
	v_lshrrev_b32_e32 v3, 24, v11
	v_bfrev_b32_e32 v87, 1
	s_mov_b32 s50, exec_lo
	v_cmpx_ne_u32_e32 0x80, v3
	s_cbranch_execz .LBB285_433
; %bb.428:                              ;   in Loop: Header=BB285_13 Depth=1
	v_and_b32_e32 v69, 0x7f, v3
	v_mov_b32_e32 v87, 0x7c010000
	s_mov_b32 s51, exec_lo
	v_cmpx_ne_u32_e32 0x7f, v69
	s_cbranch_execz .LBB285_432
; %bb.429:                              ;   in Loop: Header=BB285_13 Depth=1
	v_and_b32_e32 v11, 7, v3
	v_lshrrev_b32_e32 v66, 3, v69
	s_mov_b32 s52, exec_lo
	v_cmpx_gt_u32_e32 8, v69
; %bb.430:                              ;   in Loop: Header=BB285_13 Depth=1
	v_ffbh_u32_e32 v11, v11
	v_min_u32_e32 v11, 32, v11
	v_subrev_nc_u32_e32 v66, 28, v11
	v_lshlrev_b64 v[69:70], v66, v[3:4]
	v_sub_nc_u32_e32 v66, 29, v11
	v_and_b32_e32 v11, 7, v69
; %bb.431:                              ;   in Loop: Header=BB285_13 Depth=1
	s_or_b32 exec_lo, exec_lo, s52
	v_lshlrev_b32_e32 v3, 8, v3
	v_lshl_add_u32 v66, v66, 10, 0x2000
	v_lshlrev_b32_e32 v11, 23, v11
	v_and_or_b32 v3, 0x8000, v3, v66
	v_lshl_or_b32 v87, v3, 16, v11
.LBB285_432:                            ;   in Loop: Header=BB285_13 Depth=1
	s_or_b32 exec_lo, exec_lo, s51
.LBB285_433:                            ;   in Loop: Header=BB285_13 Depth=1
	s_or_b32 exec_lo, exec_lo, s50
.LBB285_434:                            ;   in Loop: Header=BB285_13 Depth=1
	s_or_b32 exec_lo, exec_lo, s49
	global_load_dword v11, v[9:10], off offset:1544
	v_mov_b32_e32 v71, 0
	v_mov_b32_e32 v74, 0
	s_waitcnt vmcnt(0)
	v_cmp_ne_u16_sdwa s3, v11, v4 src0_sel:BYTE_0 src1_sel:DWORD
	s_and_saveexec_b32 s49, s3
	s_cbranch_execz .LBB285_442
; %bb.435:                              ;   in Loop: Header=BB285_13 Depth=1
	v_cmp_ne_u16_sdwa s3, v11, v23 src0_sel:BYTE_0 src1_sel:DWORD
	v_mov_b32_e32 v74, 0x8000
	s_and_saveexec_b32 s50, s3
	s_cbranch_execz .LBB285_441
; %bb.436:                              ;   in Loop: Header=BB285_13 Depth=1
	v_and_b32_e32 v69, 0x7f, v11
	v_mov_b32_e32 v74, 0x7c01
	s_mov_b32 s51, exec_lo
	v_cmpx_ne_u32_e32 0x7f, v69
	s_cbranch_execz .LBB285_440
; %bb.437:                              ;   in Loop: Header=BB285_13 Depth=1
	v_and_b32_e32 v3, 7, v11
	v_lshrrev_b32_e32 v66, 3, v69
	s_mov_b32 s52, exec_lo
	v_cmpx_gt_u32_e32 8, v69
; %bb.438:                              ;   in Loop: Header=BB285_13 Depth=1
	v_ffbh_u32_e32 v3, v3
	v_min_u32_e32 v3, 32, v3
	v_subrev_nc_u32_e32 v66, 28, v3
	v_lshlrev_b64 v[69:70], v66, v[11:12]
	v_sub_nc_u32_e32 v66, 29, v3
	v_and_b32_e32 v3, 7, v69
; %bb.439:                              ;   in Loop: Header=BB285_13 Depth=1
	s_or_b32 exec_lo, exec_lo, s52
	v_lshlrev_b32_e32 v69, 8, v11
	v_lshl_add_u32 v66, v66, 10, 0x2000
	v_lshlrev_b32_e32 v3, 7, v3
	v_and_b32_e32 v69, 0x8000, v69
	v_and_b32_e32 v66, 0xfc00, v66
	v_or3_b32 v74, v69, v66, v3
.LBB285_440:                            ;   in Loop: Header=BB285_13 Depth=1
	s_or_b32 exec_lo, exec_lo, s51
.LBB285_441:                            ;   in Loop: Header=BB285_13 Depth=1
	s_or_b32 exec_lo, exec_lo, s50
.LBB285_442:                            ;   in Loop: Header=BB285_13 Depth=1
	s_or_b32 exec_lo, exec_lo, s49
	v_lshrrev_b16 v3, 8, v11
	s_mov_b32 s49, exec_lo
	v_cmpx_ne_u16_e32 0, v3
	s_cbranch_execz .LBB285_450
; %bb.443:                              ;   in Loop: Header=BB285_13 Depth=1
	v_bfrev_b32_e32 v71, 1
	s_mov_b32 s50, exec_lo
	v_cmpx_ne_u16_e32 0x80, v3
	s_cbranch_execz .LBB285_449
; %bb.444:                              ;   in Loop: Header=BB285_13 Depth=1
	v_and_b32_sdwa v70, v3, v24 dst_sel:DWORD dst_unused:UNUSED_PAD src0_sel:WORD_0 src1_sel:DWORD
	v_mov_b32_e32 v71, 0x7c010000
	s_mov_b32 s51, exec_lo
	v_cmpx_ne_u32_e32 0x7f, v70
	s_cbranch_execz .LBB285_448
; %bb.445:                              ;   in Loop: Header=BB285_13 Depth=1
	v_and_b32_sdwa v66, v3, v25 dst_sel:DWORD dst_unused:UNUSED_PAD src0_sel:WORD_0 src1_sel:DWORD
	v_lshrrev_b32_e32 v69, 3, v70
	s_mov_b32 s52, exec_lo
	v_cmpx_gt_u32_e32 8, v70
; %bb.446:                              ;   in Loop: Header=BB285_13 Depth=1
	v_ffbh_u32_e32 v66, v66
	v_min_u32_e32 v66, 32, v66
	v_subrev_nc_u32_e32 v69, 28, v66
	v_lshlrev_b64 v[70:71], v69, v[3:4]
	v_sub_nc_u32_e32 v69, 29, v66
	v_and_b32_e32 v66, 7, v70
; %bb.447:                              ;   in Loop: Header=BB285_13 Depth=1
	s_or_b32 exec_lo, exec_lo, s52
	v_lshlrev_b32_sdwa v3, v26, v3 dst_sel:DWORD dst_unused:UNUSED_PAD src0_sel:DWORD src1_sel:WORD_0
	v_lshl_add_u32 v69, v69, 10, 0x2000
	v_lshlrev_b32_e32 v66, 23, v66
	v_and_or_b32 v3, 0x8000, v3, v69
	v_lshl_or_b32 v71, v3, 16, v66
.LBB285_448:                            ;   in Loop: Header=BB285_13 Depth=1
	s_or_b32 exec_lo, exec_lo, s51
.LBB285_449:                            ;   in Loop: Header=BB285_13 Depth=1
	s_or_b32 exec_lo, exec_lo, s50
.LBB285_450:                            ;   in Loop: Header=BB285_13 Depth=1
	s_or_b32 exec_lo, exec_lo, s49
	v_lshrrev_b32_e32 v3, 16, v11
	v_mov_b32_e32 v81, 0
	v_mov_b32_e32 v82, 0
	v_cmp_ne_u16_sdwa s3, v3, v4 src0_sel:BYTE_0 src1_sel:DWORD
	s_and_saveexec_b32 s49, s3
	s_cbranch_execz .LBB285_458
; %bb.451:                              ;   in Loop: Header=BB285_13 Depth=1
	v_cmp_ne_u16_sdwa s3, v3, v23 src0_sel:BYTE_0 src1_sel:DWORD
	v_mov_b32_e32 v82, 0x8000
	s_and_saveexec_b32 s50, s3
	s_cbranch_execz .LBB285_457
; %bb.452:                              ;   in Loop: Header=BB285_13 Depth=1
	v_bfe_u32 v70, v11, 16, 7
	v_mov_b32_e32 v82, 0x7c01
	s_mov_b32 s51, exec_lo
	v_cmpx_ne_u32_e32 0x7f, v70
	s_cbranch_execz .LBB285_456
; %bb.453:                              ;   in Loop: Header=BB285_13 Depth=1
	v_and_b32_e32 v66, 7, v3
	v_lshrrev_b32_e32 v69, 3, v70
	s_mov_b32 s52, exec_lo
	v_cmpx_gt_u32_e32 8, v70
; %bb.454:                              ;   in Loop: Header=BB285_13 Depth=1
	v_ffbh_u32_e32 v66, v66
	v_min_u32_e32 v66, 32, v66
	v_subrev_nc_u32_e32 v69, 28, v66
	v_lshlrev_b64 v[75:76], v69, v[3:4]
	v_sub_nc_u32_e32 v69, 29, v66
	v_and_b32_e32 v66, 7, v75
; %bb.455:                              ;   in Loop: Header=BB285_13 Depth=1
	s_or_b32 exec_lo, exec_lo, s52
	v_lshlrev_b32_e32 v3, 8, v3
	v_lshl_add_u32 v69, v69, 10, 0x2000
	v_lshlrev_b32_e32 v66, 7, v66
	v_and_b32_e32 v3, 0x8000, v3
	v_and_b32_e32 v69, 0xfc00, v69
	v_or3_b32 v82, v3, v69, v66
.LBB285_456:                            ;   in Loop: Header=BB285_13 Depth=1
	s_or_b32 exec_lo, exec_lo, s51
.LBB285_457:                            ;   in Loop: Header=BB285_13 Depth=1
	s_or_b32 exec_lo, exec_lo, s50
.LBB285_458:                            ;   in Loop: Header=BB285_13 Depth=1
	s_or_b32 exec_lo, exec_lo, s49
	s_mov_b32 s49, exec_lo
	v_cmpx_lt_u32_e32 0xffffff, v11
	s_cbranch_execz .LBB285_466
; %bb.459:                              ;   in Loop: Header=BB285_13 Depth=1
	v_lshrrev_b32_e32 v3, 24, v11
	v_bfrev_b32_e32 v81, 1
	s_mov_b32 s50, exec_lo
	v_cmpx_ne_u32_e32 0x80, v3
	s_cbranch_execz .LBB285_465
; %bb.460:                              ;   in Loop: Header=BB285_13 Depth=1
	v_and_b32_e32 v69, 0x7f, v3
	v_mov_b32_e32 v81, 0x7c010000
	s_mov_b32 s51, exec_lo
	v_cmpx_ne_u32_e32 0x7f, v69
	s_cbranch_execz .LBB285_464
; %bb.461:                              ;   in Loop: Header=BB285_13 Depth=1
	v_and_b32_e32 v11, 7, v3
	v_lshrrev_b32_e32 v66, 3, v69
	s_mov_b32 s52, exec_lo
	v_cmpx_gt_u32_e32 8, v69
; %bb.462:                              ;   in Loop: Header=BB285_13 Depth=1
	v_ffbh_u32_e32 v11, v11
	v_min_u32_e32 v11, 32, v11
	v_subrev_nc_u32_e32 v66, 28, v11
	v_lshlrev_b64 v[69:70], v66, v[3:4]
	v_sub_nc_u32_e32 v66, 29, v11
	v_and_b32_e32 v11, 7, v69
; %bb.463:                              ;   in Loop: Header=BB285_13 Depth=1
	s_or_b32 exec_lo, exec_lo, s52
	v_lshlrev_b32_e32 v3, 8, v3
	v_lshl_add_u32 v66, v66, 10, 0x2000
	v_lshlrev_b32_e32 v11, 23, v11
	v_and_or_b32 v3, 0x8000, v3, v66
	v_lshl_or_b32 v81, v3, 16, v11
.LBB285_464:                            ;   in Loop: Header=BB285_13 Depth=1
	s_or_b32 exec_lo, exec_lo, s51
.LBB285_465:                            ;   in Loop: Header=BB285_13 Depth=1
	s_or_b32 exec_lo, exec_lo, s50
.LBB285_466:                            ;   in Loop: Header=BB285_13 Depth=1
	s_or_b32 exec_lo, exec_lo, s49
	global_load_dword v11, v[9:10], off offset:1792
	v_mov_b32_e32 v66, 0
	v_mov_b32_e32 v69, 0
	s_waitcnt vmcnt(0)
	v_cmp_ne_u16_sdwa s3, v11, v4 src0_sel:BYTE_0 src1_sel:DWORD
	s_and_saveexec_b32 s49, s3
	s_cbranch_execz .LBB285_474
; %bb.467:                              ;   in Loop: Header=BB285_13 Depth=1
	v_cmp_ne_u16_sdwa s3, v11, v23 src0_sel:BYTE_0 src1_sel:DWORD
	v_mov_b32_e32 v69, 0x8000
	s_and_saveexec_b32 s50, s3
	s_cbranch_execz .LBB285_473
; %bb.468:                              ;   in Loop: Header=BB285_13 Depth=1
	v_and_b32_e32 v70, 0x7f, v11
	v_mov_b32_e32 v69, 0x7c01
	s_mov_b32 s51, exec_lo
	v_cmpx_ne_u32_e32 0x7f, v70
	s_cbranch_execz .LBB285_472
; %bb.469:                              ;   in Loop: Header=BB285_13 Depth=1
	v_and_b32_e32 v3, 7, v11
	v_lshrrev_b32_e32 v69, 3, v70
	s_mov_b32 s52, exec_lo
	v_cmpx_gt_u32_e32 8, v70
; %bb.470:                              ;   in Loop: Header=BB285_13 Depth=1
	v_ffbh_u32_e32 v3, v3
	v_min_u32_e32 v3, 32, v3
	v_subrev_nc_u32_e32 v69, 28, v3
	v_lshlrev_b64 v[75:76], v69, v[11:12]
	v_sub_nc_u32_e32 v69, 29, v3
	v_and_b32_e32 v3, 7, v75
; %bb.471:                              ;   in Loop: Header=BB285_13 Depth=1
	s_or_b32 exec_lo, exec_lo, s52
	v_lshlrev_b32_e32 v70, 8, v11
	v_lshl_add_u32 v69, v69, 10, 0x2000
	v_lshlrev_b32_e32 v3, 7, v3
	v_and_b32_e32 v70, 0x8000, v70
	v_and_b32_e32 v69, 0xfc00, v69
	v_or3_b32 v69, v70, v69, v3
.LBB285_472:                            ;   in Loop: Header=BB285_13 Depth=1
	s_or_b32 exec_lo, exec_lo, s51
.LBB285_473:                            ;   in Loop: Header=BB285_13 Depth=1
	s_or_b32 exec_lo, exec_lo, s50
.LBB285_474:                            ;   in Loop: Header=BB285_13 Depth=1
	s_or_b32 exec_lo, exec_lo, s49
	v_lshrrev_b16 v3, 8, v11
	s_mov_b32 s49, exec_lo
	v_cmpx_ne_u16_e32 0, v3
	s_cbranch_execz .LBB285_482
; %bb.475:                              ;   in Loop: Header=BB285_13 Depth=1
	v_bfrev_b32_e32 v66, 1
	s_mov_b32 s50, exec_lo
	v_cmpx_ne_u16_e32 0x80, v3
	s_cbranch_execz .LBB285_481
; %bb.476:                              ;   in Loop: Header=BB285_13 Depth=1
	v_and_b32_sdwa v75, v3, v24 dst_sel:DWORD dst_unused:UNUSED_PAD src0_sel:WORD_0 src1_sel:DWORD
	v_mov_b32_e32 v66, 0x7c010000
	s_mov_b32 s51, exec_lo
	v_cmpx_ne_u32_e32 0x7f, v75
	s_cbranch_execz .LBB285_480
; %bb.477:                              ;   in Loop: Header=BB285_13 Depth=1
	v_and_b32_sdwa v66, v3, v25 dst_sel:DWORD dst_unused:UNUSED_PAD src0_sel:WORD_0 src1_sel:DWORD
	v_lshrrev_b32_e32 v70, 3, v75
	s_mov_b32 s52, exec_lo
	v_cmpx_gt_u32_e32 8, v75
; %bb.478:                              ;   in Loop: Header=BB285_13 Depth=1
	v_ffbh_u32_e32 v66, v66
	v_min_u32_e32 v66, 32, v66
	v_subrev_nc_u32_e32 v70, 28, v66
	v_lshlrev_b64 v[75:76], v70, v[3:4]
	v_sub_nc_u32_e32 v70, 29, v66
	v_and_b32_e32 v66, 7, v75
; %bb.479:                              ;   in Loop: Header=BB285_13 Depth=1
	s_or_b32 exec_lo, exec_lo, s52
	v_lshlrev_b32_sdwa v3, v26, v3 dst_sel:DWORD dst_unused:UNUSED_PAD src0_sel:DWORD src1_sel:WORD_0
	v_lshl_add_u32 v70, v70, 10, 0x2000
	v_lshlrev_b32_e32 v66, 23, v66
	v_and_or_b32 v3, 0x8000, v3, v70
	v_lshl_or_b32 v66, v3, 16, v66
.LBB285_480:                            ;   in Loop: Header=BB285_13 Depth=1
	s_or_b32 exec_lo, exec_lo, s51
.LBB285_481:                            ;   in Loop: Header=BB285_13 Depth=1
	s_or_b32 exec_lo, exec_lo, s50
.LBB285_482:                            ;   in Loop: Header=BB285_13 Depth=1
	s_or_b32 exec_lo, exec_lo, s49
	v_lshrrev_b32_e32 v3, 16, v11
	v_mov_b32_e32 v75, 0
	v_mov_b32_e32 v76, 0
	v_cmp_ne_u16_sdwa s3, v3, v4 src0_sel:BYTE_0 src1_sel:DWORD
	s_and_saveexec_b32 s49, s3
	s_cbranch_execz .LBB285_490
; %bb.483:                              ;   in Loop: Header=BB285_13 Depth=1
	v_cmp_ne_u16_sdwa s3, v3, v23 src0_sel:BYTE_0 src1_sel:DWORD
	v_mov_b32_e32 v76, 0x8000
	s_and_saveexec_b32 s50, s3
	s_cbranch_execz .LBB285_489
; %bb.484:                              ;   in Loop: Header=BB285_13 Depth=1
	v_bfe_u32 v93, v11, 16, 7
	v_mov_b32_e32 v76, 0x7c01
	s_mov_b32 s51, exec_lo
	v_cmpx_ne_u32_e32 0x7f, v93
	s_cbranch_execz .LBB285_488
; %bb.485:                              ;   in Loop: Header=BB285_13 Depth=1
	v_and_b32_e32 v70, 7, v3
	v_lshrrev_b32_e32 v76, 3, v93
	s_mov_b32 s52, exec_lo
	v_cmpx_gt_u32_e32 8, v93
; %bb.486:                              ;   in Loop: Header=BB285_13 Depth=1
	v_ffbh_u32_e32 v70, v70
	v_min_u32_e32 v70, 32, v70
	v_subrev_nc_u32_e32 v76, 28, v70
	v_lshlrev_b64 v[93:94], v76, v[3:4]
	v_sub_nc_u32_e32 v76, 29, v70
	v_and_b32_e32 v70, 7, v93
; %bb.487:                              ;   in Loop: Header=BB285_13 Depth=1
	s_or_b32 exec_lo, exec_lo, s52
	v_lshlrev_b32_e32 v3, 8, v3
	v_lshl_add_u32 v76, v76, 10, 0x2000
	v_lshlrev_b32_e32 v70, 7, v70
	v_and_b32_e32 v3, 0x8000, v3
	v_and_b32_e32 v76, 0xfc00, v76
	v_or3_b32 v76, v3, v76, v70
.LBB285_488:                            ;   in Loop: Header=BB285_13 Depth=1
	s_or_b32 exec_lo, exec_lo, s51
.LBB285_489:                            ;   in Loop: Header=BB285_13 Depth=1
	s_or_b32 exec_lo, exec_lo, s50
.LBB285_490:                            ;   in Loop: Header=BB285_13 Depth=1
	s_or_b32 exec_lo, exec_lo, s49
	s_mov_b32 s49, exec_lo
	v_cmpx_lt_u32_e32 0xffffff, v11
	s_cbranch_execz .LBB285_498
; %bb.491:                              ;   in Loop: Header=BB285_13 Depth=1
	v_lshrrev_b32_e32 v3, 24, v11
	v_bfrev_b32_e32 v75, 1
	s_mov_b32 s50, exec_lo
	v_cmpx_ne_u32_e32 0x80, v3
	s_cbranch_execz .LBB285_497
; %bb.492:                              ;   in Loop: Header=BB285_13 Depth=1
	v_and_b32_e32 v93, 0x7f, v3
	v_mov_b32_e32 v75, 0x7c010000
	s_mov_b32 s51, exec_lo
	v_cmpx_ne_u32_e32 0x7f, v93
	s_cbranch_execz .LBB285_496
; %bb.493:                              ;   in Loop: Header=BB285_13 Depth=1
	v_and_b32_e32 v11, 7, v3
	v_lshrrev_b32_e32 v70, 3, v93
	s_mov_b32 s52, exec_lo
	v_cmpx_gt_u32_e32 8, v93
; %bb.494:                              ;   in Loop: Header=BB285_13 Depth=1
	v_ffbh_u32_e32 v11, v11
	v_min_u32_e32 v11, 32, v11
	v_subrev_nc_u32_e32 v70, 28, v11
	v_lshlrev_b64 v[93:94], v70, v[3:4]
	v_sub_nc_u32_e32 v70, 29, v11
	v_and_b32_e32 v11, 7, v93
; %bb.495:                              ;   in Loop: Header=BB285_13 Depth=1
	s_or_b32 exec_lo, exec_lo, s52
	v_lshlrev_b32_e32 v3, 8, v3
	v_lshl_add_u32 v70, v70, 10, 0x2000
	v_lshlrev_b32_e32 v11, 23, v11
	v_and_or_b32 v3, 0x8000, v3, v70
	v_lshl_or_b32 v75, v3, 16, v11
.LBB285_496:                            ;   in Loop: Header=BB285_13 Depth=1
	s_or_b32 exec_lo, exec_lo, s51
.LBB285_497:                            ;   in Loop: Header=BB285_13 Depth=1
	s_or_b32 exec_lo, exec_lo, s50
.LBB285_498:                            ;   in Loop: Header=BB285_13 Depth=1
	s_or_b32 exec_lo, exec_lo, s49
	global_load_dword v9, v[9:10], off offset:1800
	v_mov_b32_e32 v10, 0
	v_mov_b32_e32 v93, 0
	s_waitcnt vmcnt(0)
	v_cmp_ne_u16_sdwa s3, v9, v4 src0_sel:BYTE_0 src1_sel:DWORD
	s_and_saveexec_b32 s49, s3
	s_cbranch_execz .LBB285_506
; %bb.499:                              ;   in Loop: Header=BB285_13 Depth=1
	v_cmp_ne_u16_sdwa s3, v9, v23 src0_sel:BYTE_0 src1_sel:DWORD
	v_mov_b32_e32 v93, 0x8000
	s_and_saveexec_b32 s50, s3
	s_cbranch_execz .LBB285_505
; %bb.500:                              ;   in Loop: Header=BB285_13 Depth=1
	v_and_b32_e32 v70, 0x7f, v9
	v_mov_b32_e32 v93, 0x7c01
	s_mov_b32 s51, exec_lo
	v_cmpx_ne_u32_e32 0x7f, v70
	s_cbranch_execz .LBB285_504
; %bb.501:                              ;   in Loop: Header=BB285_13 Depth=1
	v_and_b32_e32 v3, 7, v9
	v_lshrrev_b32_e32 v11, 3, v70
	s_mov_b32 s52, exec_lo
	v_cmpx_gt_u32_e32 8, v70
; %bb.502:                              ;   in Loop: Header=BB285_13 Depth=1
	v_ffbh_u32_e32 v3, v3
	v_min_u32_e32 v3, 32, v3
	v_subrev_nc_u32_e32 v11, 28, v3
	v_lshlrev_b64 v[93:94], v11, v[9:10]
	v_sub_nc_u32_e32 v11, 29, v3
	v_and_b32_e32 v3, 7, v93
; %bb.503:                              ;   in Loop: Header=BB285_13 Depth=1
	s_or_b32 exec_lo, exec_lo, s52
	v_lshlrev_b32_e32 v70, 8, v9
	v_lshl_add_u32 v11, v11, 10, 0x2000
	v_lshlrev_b32_e32 v3, 7, v3
	v_and_b32_e32 v70, 0x8000, v70
	v_and_b32_e32 v11, 0xfc00, v11
	v_or3_b32 v93, v70, v11, v3
.LBB285_504:                            ;   in Loop: Header=BB285_13 Depth=1
	s_or_b32 exec_lo, exec_lo, s51
.LBB285_505:                            ;   in Loop: Header=BB285_13 Depth=1
	s_or_b32 exec_lo, exec_lo, s50
.LBB285_506:                            ;   in Loop: Header=BB285_13 Depth=1
	s_or_b32 exec_lo, exec_lo, s49
	v_lshrrev_b16 v3, 8, v9
	s_mov_b32 s49, exec_lo
	v_cmpx_ne_u16_e32 0, v3
	s_cbranch_execz .LBB285_514
; %bb.507:                              ;   in Loop: Header=BB285_13 Depth=1
	v_bfrev_b32_e32 v10, 1
	s_mov_b32 s50, exec_lo
	v_cmpx_ne_u16_e32 0x80, v3
	s_cbranch_execz .LBB285_513
; %bb.508:                              ;   in Loop: Header=BB285_13 Depth=1
	v_and_b32_sdwa v70, v3, v24 dst_sel:DWORD dst_unused:UNUSED_PAD src0_sel:WORD_0 src1_sel:DWORD
	v_mov_b32_e32 v10, 0x7c010000
	s_mov_b32 s51, exec_lo
	v_cmpx_ne_u32_e32 0x7f, v70
	s_cbranch_execz .LBB285_512
; %bb.509:                              ;   in Loop: Header=BB285_13 Depth=1
	v_and_b32_sdwa v10, v3, v25 dst_sel:DWORD dst_unused:UNUSED_PAD src0_sel:WORD_0 src1_sel:DWORD
	v_lshrrev_b32_e32 v11, 3, v70
	s_mov_b32 s52, exec_lo
	v_cmpx_gt_u32_e32 8, v70
; %bb.510:                              ;   in Loop: Header=BB285_13 Depth=1
	v_ffbh_u32_e32 v10, v10
	v_min_u32_e32 v70, 32, v10
	v_subrev_nc_u32_e32 v10, 28, v70
	v_lshlrev_b64 v[10:11], v10, v[3:4]
	v_sub_nc_u32_e32 v11, 29, v70
	v_and_b32_e32 v10, 7, v10
; %bb.511:                              ;   in Loop: Header=BB285_13 Depth=1
	s_or_b32 exec_lo, exec_lo, s52
	v_lshlrev_b32_sdwa v3, v26, v3 dst_sel:DWORD dst_unused:UNUSED_PAD src0_sel:DWORD src1_sel:WORD_0
	v_lshl_add_u32 v11, v11, 10, 0x2000
	v_lshlrev_b32_e32 v10, 23, v10
	v_and_or_b32 v3, 0x8000, v3, v11
	v_lshl_or_b32 v10, v3, 16, v10
.LBB285_512:                            ;   in Loop: Header=BB285_13 Depth=1
	s_or_b32 exec_lo, exec_lo, s51
.LBB285_513:                            ;   in Loop: Header=BB285_13 Depth=1
	s_or_b32 exec_lo, exec_lo, s50
.LBB285_514:                            ;   in Loop: Header=BB285_13 Depth=1
	s_or_b32 exec_lo, exec_lo, s49
	v_lshrrev_b32_e32 v3, 16, v9
	v_mov_b32_e32 v94, 0
	v_mov_b32_e32 v95, 0
	v_cmp_ne_u16_sdwa s3, v3, v4 src0_sel:BYTE_0 src1_sel:DWORD
	s_and_saveexec_b32 s49, s3
	s_cbranch_execz .LBB285_522
; %bb.515:                              ;   in Loop: Header=BB285_13 Depth=1
	v_cmp_ne_u16_sdwa s3, v3, v23 src0_sel:BYTE_0 src1_sel:DWORD
	v_mov_b32_e32 v95, 0x8000
	s_and_saveexec_b32 s50, s3
	s_cbranch_execz .LBB285_521
; %bb.516:                              ;   in Loop: Header=BB285_13 Depth=1
	v_bfe_u32 v96, v9, 16, 7
	v_mov_b32_e32 v95, 0x7c01
	s_mov_b32 s51, exec_lo
	v_cmpx_ne_u32_e32 0x7f, v96
	s_cbranch_execz .LBB285_520
; %bb.517:                              ;   in Loop: Header=BB285_13 Depth=1
	v_and_b32_e32 v11, 7, v3
	v_lshrrev_b32_e32 v70, 3, v96
	s_mov_b32 s52, exec_lo
	v_cmpx_gt_u32_e32 8, v96
; %bb.518:                              ;   in Loop: Header=BB285_13 Depth=1
	v_ffbh_u32_e32 v11, v11
	v_min_u32_e32 v11, 32, v11
	v_subrev_nc_u32_e32 v70, 28, v11
	v_lshlrev_b64 v[95:96], v70, v[3:4]
	v_sub_nc_u32_e32 v70, 29, v11
	v_and_b32_e32 v11, 7, v95
; %bb.519:                              ;   in Loop: Header=BB285_13 Depth=1
	s_or_b32 exec_lo, exec_lo, s52
	v_lshlrev_b32_e32 v3, 8, v3
	v_lshl_add_u32 v70, v70, 10, 0x2000
	v_lshlrev_b32_e32 v11, 7, v11
	v_and_b32_e32 v3, 0x8000, v3
	v_and_b32_e32 v70, 0xfc00, v70
	v_or3_b32 v95, v3, v70, v11
.LBB285_520:                            ;   in Loop: Header=BB285_13 Depth=1
	s_or_b32 exec_lo, exec_lo, s51
.LBB285_521:                            ;   in Loop: Header=BB285_13 Depth=1
	s_or_b32 exec_lo, exec_lo, s50
.LBB285_522:                            ;   in Loop: Header=BB285_13 Depth=1
	s_or_b32 exec_lo, exec_lo, s49
	s_mov_b32 s49, exec_lo
	v_cmpx_lt_u32_e32 0xffffff, v9
	s_cbranch_execz .LBB285_530
; %bb.523:                              ;   in Loop: Header=BB285_13 Depth=1
	v_lshrrev_b32_e32 v3, 24, v9
	v_bfrev_b32_e32 v94, 1
	s_mov_b32 s50, exec_lo
	v_cmpx_ne_u32_e32 0x80, v3
	s_cbranch_execz .LBB285_529
; %bb.524:                              ;   in Loop: Header=BB285_13 Depth=1
	v_and_b32_e32 v70, 0x7f, v3
	v_mov_b32_e32 v94, 0x7c010000
	s_mov_b32 s51, exec_lo
	v_cmpx_ne_u32_e32 0x7f, v70
	s_cbranch_execz .LBB285_528
; %bb.525:                              ;   in Loop: Header=BB285_13 Depth=1
	v_and_b32_e32 v9, 7, v3
	v_lshrrev_b32_e32 v11, 3, v70
	s_mov_b32 s52, exec_lo
	v_cmpx_gt_u32_e32 8, v70
; %bb.526:                              ;   in Loop: Header=BB285_13 Depth=1
	v_ffbh_u32_e32 v9, v9
	v_min_u32_e32 v9, 32, v9
	v_subrev_nc_u32_e32 v11, 28, v9
	v_lshlrev_b64 v[96:97], v11, v[3:4]
	v_sub_nc_u32_e32 v11, 29, v9
	v_and_b32_e32 v9, 7, v96
; %bb.527:                              ;   in Loop: Header=BB285_13 Depth=1
	s_or_b32 exec_lo, exec_lo, s52
	v_lshlrev_b32_e32 v3, 8, v3
	v_lshl_add_u32 v11, v11, 10, 0x2000
	v_lshlrev_b32_e32 v9, 23, v9
	v_and_or_b32 v3, 0x8000, v3, v11
	v_lshl_or_b32 v94, v3, 16, v9
.LBB285_528:                            ;   in Loop: Header=BB285_13 Depth=1
	s_or_b32 exec_lo, exec_lo, s51
.LBB285_529:                            ;   in Loop: Header=BB285_13 Depth=1
	s_or_b32 exec_lo, exec_lo, s50
.LBB285_530:                            ;   in Loop: Header=BB285_13 Depth=1
	s_or_b32 exec_lo, exec_lo, s49
	v_or_b32_e32 v3, v66, v69
	v_fma_mixlo_f16 v69, v31, v66, 0 op_sel:[0,1,0] op_sel_hi:[0,1,0]
	v_fma_mixlo_f16 v11, v31, v75, 0 op_sel:[0,1,0] op_sel_hi:[0,1,0]
	v_fma_mixlo_f16 v70, v31, v3, 0 op_sel_hi:[0,1,0]
	v_or_b32_e32 v3, v75, v76
	v_fma_mixlo_f16 v75, v31, v71, 0 op_sel:[0,1,0] op_sel_hi:[0,1,0]
	v_and_b32_e32 v11, 0xffff, v11
	v_fma_mixlo_f16 v66, v31, v3, 0 op_sel_hi:[0,1,0]
	v_or_b32_e32 v3, v71, v74
	v_fma_mixlo_f16 v71, v31, v81, 0 op_sel:[0,1,0] op_sel_hi:[0,1,0]
	v_fma_mixlo_f16 v76, v31, v3, 0 op_sel_hi:[0,1,0]
	v_or_b32_e32 v3, v81, v82
	v_fma_mixlo_f16 v81, v31, v77, 0 op_sel:[0,1,0] op_sel_hi:[0,1,0]
	;; [unrolled: 3-line block ×25, first 2 shown]
	v_and_b32_e32 v42, 0xffff, v42
	v_fma_mixlo_f16 v43, v31, v3, 0 op_sel_hi:[0,1,0]
	v_or_b32_e32 v3, v38, v39
	v_fma_mixlo_f16 v38, v31, v32, 0 op_sel:[0,1,0] op_sel_hi:[0,1,0]
	v_and_b32_e32 v36, 0xffff, v36
	v_and_b32_e32 v43, 0xffff, v43
	v_fma_mixlo_f16 v37, v31, v3, 0 op_sel_hi:[0,1,0]
	v_or_b32_e32 v3, v32, v33
	v_fma_mixlo_f16 v33, v31, v34, 0 op_sel:[0,1,0] op_sel_hi:[0,1,0]
	v_and_b32_e32 v37, 0xffff, v37
	v_fma_mixlo_f16 v39, v31, v3, 0 op_sel_hi:[0,1,0]
	v_or_b32_e32 v3, v34, v35
	v_fma_mixlo_f16 v35, v31, v3, 0 op_sel_hi:[0,1,0]
	v_or_b32_e32 v3, v10, v93
	v_fma_mixlo_f16 v10, v31, v10, 0 op_sel:[0,1,0] op_sel_hi:[0,1,0]
	v_fma_mixlo_f16 v32, v31, v3, 0 op_sel_hi:[0,1,0]
	v_or_b32_e32 v3, v94, v95
	v_and_b32_e32 v10, 0xffff, v10
	v_and_b32_e32 v32, 0xffff, v32
	v_fma_mixlo_f16 v9, v31, v3, 0 op_sel_hi:[0,1,0]
	v_fma_mixlo_f16 v3, v31, v94, 0 op_sel:[0,1,0] op_sel_hi:[0,1,0]
	ds_read_b64 v[93:94], v20
	v_and_b32_e32 v9, 0xffff, v9
	v_and_b32_e32 v3, 0xffff, v3
	s_waitcnt lgkmcnt(0)
	v_lshrrev_b32_e32 v31, 16, v93
	v_and_b32_e32 v34, 0xffff, v93
	;;#ASMSTART
	v_cvt_f32_f16 v93, v34;
	;;#ASMEND
	;;#ASMSTART
	v_cvt_f32_f16 v95, v31;
	;;#ASMEND
	v_and_b32_e32 v31, 0xffff, v39
	;;#ASMSTART
	v_cvt_f32_f16 v39, v31;
	;;#ASMEND
	v_and_b32_e32 v31, 0xffff, v38
	;;#ASMSTART
	v_cvt_f32_f16 v38, v31;
	;;#ASMEND
	v_lshrrev_b32_e32 v31, 16, v94
	v_and_b32_e32 v34, 0xffff, v94
	;;#ASMSTART
	v_cvt_f32_f16 v94, v34;
	;;#ASMEND
	;;#ASMSTART
	v_cvt_f32_f16 v96, v31;
	;;#ASMEND
	v_and_b32_e32 v31, 0xffff, v35
	;;#ASMSTART
	v_cvt_f32_f16 v35, v31;
	;;#ASMEND
	v_and_b32_e32 v31, 0xffff, v33
	;;#ASMSTART
	v_cvt_f32_f16 v97, v31;
	;;#ASMEND
	ds_read_b64 v[33:34], v20 offset:8
	s_waitcnt lgkmcnt(0)
	v_and_b32_e32 v31, 0xffff, v33
	v_lshrrev_b32_e32 v98, 16, v33
	;;#ASMSTART
	v_cvt_f32_f16 v31, v31;
	;;#ASMEND
	;;#ASMSTART
	v_cvt_f32_f16 v33, v98;
	;;#ASMEND
	;; [unrolled: 3-line block ×4, first 2 shown]
	v_mul_f32_e32 v33, v33, v42
	v_mul_f32_e32 v31, v31, v43
	v_and_b32_e32 v42, 0xffff, v46
	v_fmac_f32_e32 v33, v95, v38
	v_lshrrev_b32_e32 v38, 16, v34
	v_and_b32_e32 v34, 0xffff, v34
	;;#ASMSTART
	v_cvt_f32_f16 v34, v34;
	;;#ASMEND
	;;#ASMSTART
	v_cvt_f32_f16 v38, v38;
	;;#ASMEND
	;; [unrolled: 3-line block ×3, first 2 shown]
	v_mul_f32_e32 v34, v34, v37
	;;#ASMSTART
	v_cvt_f32_f16 v36, v36;
	;;#ASMEND
	v_fmac_f32_e32 v31, v93, v39
	v_and_b32_e32 v39, 0xffff, v47
	v_fmac_f32_e32 v34, v94, v35
	v_mul_f32_e32 v35, v38, v36
	ds_read_b64 v[36:37], v20 offset:16
	v_fmac_f32_e32 v35, v96, v97
	s_waitcnt lgkmcnt(0)
	v_lshrrev_b32_e32 v38, 16, v36
	v_and_b32_e32 v36, 0xffff, v36
	;;#ASMSTART
	v_cvt_f32_f16 v36, v36;
	;;#ASMEND
	;;#ASMSTART
	v_cvt_f32_f16 v38, v38;
	;;#ASMEND
	;;#ASMSTART
	v_cvt_f32_f16 v39, v39;
	;;#ASMEND
	;;#ASMSTART
	v_cvt_f32_f16 v42, v42;
	;;#ASMEND
	v_fmac_f32_e32 v31, v36, v39
	v_fmac_f32_e32 v33, v38, v42
	v_lshrrev_b32_e32 v38, 16, v37
	v_and_b32_e32 v36, 0xffff, v37
	;;#ASMSTART
	v_cvt_f32_f16 v36, v36;
	;;#ASMEND
	;;#ASMSTART
	v_cvt_f32_f16 v37, v38;
	;;#ASMEND
	v_and_b32_e32 v38, 0xffff, v41
	v_and_b32_e32 v39, 0xffff, v40
	;;#ASMSTART
	v_cvt_f32_f16 v38, v38;
	;;#ASMEND
	;;#ASMSTART
	v_cvt_f32_f16 v39, v39;
	;;#ASMEND
	v_fmac_f32_e32 v34, v36, v38
	v_fmac_f32_e32 v35, v37, v39
	ds_read_b64 v[36:37], v20 offset:24
	v_and_b32_e32 v39, 0xffff, v51
	v_and_b32_e32 v40, 0xffff, v50
	s_waitcnt lgkmcnt(0)
	v_lshrrev_b32_e32 v38, 16, v36
	v_and_b32_e32 v36, 0xffff, v36
	;;#ASMSTART
	v_cvt_f32_f16 v36, v36;
	;;#ASMEND
	;;#ASMSTART
	v_cvt_f32_f16 v38, v38;
	;;#ASMEND
	;;#ASMSTART
	v_cvt_f32_f16 v39, v39;
	;;#ASMEND
	;;#ASMSTART
	v_cvt_f32_f16 v40, v40;
	;;#ASMEND
	v_fmac_f32_e32 v31, v36, v39
	v_fmac_f32_e32 v33, v38, v40
	v_lshrrev_b32_e32 v38, 16, v37
	v_and_b32_e32 v36, 0xffff, v37
	;;#ASMSTART
	v_cvt_f32_f16 v36, v36;
	;;#ASMEND
	;;#ASMSTART
	v_cvt_f32_f16 v37, v38;
	;;#ASMEND
	v_and_b32_e32 v38, 0xffff, v45
	v_and_b32_e32 v39, 0xffff, v44
	;;#ASMSTART
	v_cvt_f32_f16 v38, v38;
	;;#ASMEND
	;;#ASMSTART
	v_cvt_f32_f16 v39, v39;
	;;#ASMEND
	v_fmac_f32_e32 v34, v36, v38
	v_fmac_f32_e32 v35, v37, v39
	ds_read_b64 v[36:37], v20 offset:32
	v_and_b32_e32 v39, 0xffff, v55
	v_and_b32_e32 v40, 0xffff, v54
	;; [unrolled: 38-line block ×12, first 2 shown]
	s_waitcnt lgkmcnt(0)
	v_lshrrev_b32_e32 v38, 16, v36
	v_and_b32_e32 v36, 0xffff, v36
	;;#ASMSTART
	v_cvt_f32_f16 v36, v36;
	;;#ASMEND
	;;#ASMSTART
	v_cvt_f32_f16 v38, v38;
	;;#ASMEND
	;; [unrolled: 3-line block ×4, first 2 shown]
	v_fmac_f32_e32 v31, v36, v39
	v_fmac_f32_e32 v33, v38, v40
	v_lshrrev_b32_e32 v38, 16, v37
	v_and_b32_e32 v36, 0xffff, v37
	;;#ASMSTART
	v_cvt_f32_f16 v36, v36;
	;;#ASMEND
	;;#ASMSTART
	v_cvt_f32_f16 v37, v38;
	;;#ASMEND
	v_and_b32_e32 v38, 0xffff, v66
	;;#ASMSTART
	v_cvt_f32_f16 v38, v38;
	;;#ASMEND
	;;#ASMSTART
	v_cvt_f32_f16 v11, v11;
	;;#ASMEND
	v_fmac_f32_e32 v34, v36, v38
	v_fmac_f32_e32 v35, v37, v11
	ds_read_b64 v[36:37], v20 offset:120
	s_waitcnt lgkmcnt(0)
	v_and_b32_e32 v11, 0xffff, v36
	v_lshrrev_b32_e32 v38, 16, v36
	;;#ASMSTART
	v_cvt_f32_f16 v11, v11;
	;;#ASMEND
	;;#ASMSTART
	v_cvt_f32_f16 v36, v38;
	;;#ASMEND
	;; [unrolled: 3-line block ×4, first 2 shown]
	v_fmac_f32_e32 v31, v11, v32
	v_fmac_f32_e32 v33, v36, v10
	v_lshrrev_b32_e32 v11, 16, v37
	v_and_b32_e32 v10, 0xffff, v37
	;;#ASMSTART
	v_cvt_f32_f16 v10, v10;
	;;#ASMEND
	;;#ASMSTART
	v_cvt_f32_f16 v11, v11;
	;;#ASMEND
	;; [unrolled: 3-line block ×3, first 2 shown]
	v_fmac_f32_e32 v34, v10, v9
	v_xor_b32_e32 v9, 1, v17
	;;#ASMSTART
	v_cvt_f32_f16 v3, v3;
	;;#ASMEND
	v_fmac_f32_e32 v35, v11, v3
	v_add_f32_e32 v3, v31, v33
	v_cmp_gt_i32_e64 s3, 32, v9
	v_add_f32_e32 v3, v3, v34
	v_cndmask_b32_e64 v9, v17, v9, s3
	v_add_f32_e32 v3, v35, v3
	v_lshlrev_b32_e32 v9, 2, v9
	ds_bpermute_b32 v9, v9, v3
	s_and_saveexec_b32 s49, vcc_lo
	s_cbranch_execz .LBB285_11
; %bb.531:                              ;   in Loop: Header=BB285_13 Depth=1
	v_add_nc_u32_e32 v10, v27, v21
	s_waitcnt lgkmcnt(0)
	v_add_f32_e32 v3, v3, v9
	v_cvt_f32_i32_e32 v10, v10
	v_mul_f32_e32 v10, s43, v10
	v_cndmask_b32_e64 v9, 0, v10, s2
	v_max_f32_e32 v10, v18, v18
	v_fmac_f32_e32 v9, s41, v3
	v_add_nc_u32_e32 v3, v19, v21
	v_max_f32_e32 v10, v10, v9
	v_cmp_gt_i32_e64 s3, s31, v3
	v_cndmask_b32_e64 v3, 0, v9, s3
	v_cndmask_b32_e64 v18, v18, v10, s3
	ds_write_b32 v28, v3
	s_branch .LBB285_11
.LBB285_532:
	s_or_b32 exec_lo, exec_lo, s47
.LBB285_533:
	s_or_b32 exec_lo, exec_lo, s45
	v_xor_b32_e32 v3, 16, v17
	v_xor_b32_e32 v4, 8, v17
	v_max_f32_e32 v6, v18, v18
	s_waitcnt lgkmcnt(0)
	v_lshlrev_b32_e32 v9, 2, v14
	v_cmp_gt_i32_e32 vcc_lo, 32, v3
	v_cndmask_b32_e32 v3, v17, v3, vcc_lo
	v_cmp_gt_i32_e32 vcc_lo, 32, v4
	v_lshlrev_b32_e32 v5, 2, v3
	v_cndmask_b32_e32 v4, v17, v4, vcc_lo
	ds_bpermute_b32 v3, v5, v18
	v_lshlrev_b32_e32 v7, 2, v4
	v_and_b32_e32 v18, 31, v0
	s_waitcnt lgkmcnt(0)
	v_max_f32_e32 v3, v3, v3
	v_max_f32_e32 v3, v6, v3
	v_xor_b32_e32 v6, 4, v17
	ds_bpermute_b32 v4, v7, v3
	v_cmp_gt_i32_e32 vcc_lo, 32, v6
	v_cndmask_b32_e32 v6, v17, v6, vcc_lo
	v_lshlrev_b32_e32 v8, 2, v6
	v_xor_b32_e32 v6, 2, v17
	v_cmp_gt_i32_e32 vcc_lo, 32, v6
	s_waitcnt lgkmcnt(0)
	v_max_f32_e32 v4, v4, v4
	v_cndmask_b32_e32 v6, v17, v6, vcc_lo
	v_cmp_eq_u32_e32 vcc_lo, 0, v18
	v_max_f32_e32 v3, v3, v4
	ds_bpermute_b32 v4, v8, v3
	s_waitcnt lgkmcnt(0)
	v_max_f32_e32 v4, v4, v4
	v_max_f32_e32 v3, v3, v4
	v_lshlrev_b32_e32 v4, 2, v6
	ds_bpermute_b32 v6, v4, v3
	s_and_saveexec_b32 s2, vcc_lo
	s_cbranch_execz .LBB285_535
; %bb.534:
	s_waitcnt lgkmcnt(0)
	v_max_f32_e32 v6, v6, v6
	v_max_f32_e32 v3, v3, v3
	;; [unrolled: 1-line block ×3, first 2 shown]
	ds_write_b32 v9, v3 offset:256
.LBB285_535:
	s_or_b32 exec_lo, exec_lo, s2
	v_cmp_gt_u32_e64 s2, 4, v18
	v_mov_b32_e32 v3, 0xff7fffff
	v_lshlrev_b32_e32 v10, 2, v18
	s_waitcnt lgkmcnt(0)
	s_barrier
	buffer_gl0_inv
	s_and_saveexec_b32 s3, s2
; %bb.536:
	ds_read_b32 v3, v10 offset:256
; %bb.537:
	s_or_b32 exec_lo, exec_lo, s3
	s_waitcnt lgkmcnt(0)
	ds_bpermute_b32 v6, v4, v3
	v_xor_b32_e32 v11, 1, v17
	v_max_f32_e32 v3, v3, v3
	v_cmp_gt_i32_e64 s3, 32, v11
	v_cndmask_b32_e64 v11, v17, v11, s3
	s_sub_i32 s3, s20, s44
	s_lshl_b32 s3, s3, 4
	v_lshlrev_b32_e32 v17, 2, v11
	v_mov_b32_e32 v11, 0
	s_add_i32 s3, s3, s42
	s_min_i32 s3, s3, s31
	s_waitcnt lgkmcnt(0)
	v_max_f32_e32 v6, v6, v6
	s_sub_i32 s5, s3, s42
	v_cmp_gt_i32_e64 s3, s5, v0
	v_max_f32_e32 v3, v3, v6
	ds_bpermute_b32 v6, v17, v3
	s_waitcnt lgkmcnt(0)
	v_max_f32_e32 v6, v6, v6
	v_max_f32_e32 v3, v3, v6
	v_lshl_add_u32 v6, v0, 2, 0x120
	ds_bpermute_b32 v3, v11, v3
	s_and_saveexec_b32 s12, s3
	s_cbranch_execz .LBB285_541
; %bb.538:
	v_lshl_add_u32 v19, v0, 2, 0x120
	v_mov_b32_e32 v11, 0
	v_mov_b32_e32 v20, v0
	s_mov_b32 s13, 0
	.p2align	6
.LBB285_539:                            ; =>This Inner Loop Header: Depth=1
	ds_read_b32 v21, v19
	v_add_nc_u32_e32 v20, 0x80, v20
	v_cmp_le_i32_e64 s4, s5, v20
	s_or_b32 s13, s4, s13
	s_waitcnt lgkmcnt(0)
	v_sub_f32_e32 v21, v21, v3
	v_mul_f32_e32 v21, 0x3fb8aa3b, v21
	v_exp_f32_e32 v21, v21
	ds_write_b32 v19, v21
	v_add_f32_e32 v11, v11, v21
	v_add_nc_u32_e32 v19, 0x200, v19
	s_andn2_b32 exec_lo, exec_lo, s13
	s_cbranch_execnz .LBB285_539
; %bb.540:
	s_or_b32 exec_lo, exec_lo, s13
.LBB285_541:
	s_or_b32 exec_lo, exec_lo, s12
	ds_bpermute_b32 v5, v5, v11
	s_waitcnt lgkmcnt(0)
	v_add_f32_e32 v5, v11, v5
	ds_bpermute_b32 v7, v7, v5
	s_waitcnt lgkmcnt(0)
	v_add_f32_e32 v5, v5, v7
	;; [unrolled: 3-line block ×5, first 2 shown]
	s_and_saveexec_b32 s4, vcc_lo
; %bb.542:
	ds_write_b32 v9, v5 offset:272
; %bb.543:
	s_or_b32 exec_lo, exec_lo, s4
	s_waitcnt lgkmcnt(0)
	s_barrier
	buffer_gl0_inv
	s_and_saveexec_b32 s4, s2
; %bb.544:
	ds_read_b32 v5, v10 offset:272
; %bb.545:
	s_or_b32 exec_lo, exec_lo, s4
	s_waitcnt lgkmcnt(0)
	ds_bpermute_b32 v4, v4, v5
	s_waitcnt lgkmcnt(0)
	v_add_f32_e32 v4, v5, v4
	ds_bpermute_b32 v5, v17, v4
	s_waitcnt lgkmcnt(0)
	v_add_f32_e32 v4, v4, v5
	v_mov_b32_e32 v5, 0
	ds_bpermute_b32 v4, v5, v4
	s_and_saveexec_b32 s2, s3
	s_cbranch_execz .LBB285_548
; %bb.546:
	s_waitcnt lgkmcnt(0)
	v_add_f32_e32 v5, 0x358637bd, v4
	s_mov_b32 s3, 0
	v_div_scale_f32 v7, null, v5, v5, 1.0
	v_div_scale_f32 v10, vcc_lo, 1.0, v5, 1.0
	v_rcp_f32_e32 v8, v7
	v_fma_f32 v9, -v7, v8, 1.0
	v_fmac_f32_e32 v8, v9, v8
	v_mul_f32_e32 v9, v10, v8
	v_fma_f32 v11, -v7, v9, v10
	v_fmac_f32_e32 v9, v11, v8
	v_fma_f32 v7, -v7, v9, v10
	v_div_fmas_f32 v7, v7, v8, v9
	v_div_fixup_f32 v5, v7, v5, 1.0
	v_mov_b32_e32 v7, v0
.LBB285_547:                            ; =>This Inner Loop Header: Depth=1
	ds_read_b32 v8, v6
	v_add_nc_u32_e32 v7, 0x80, v7
	v_cmp_le_i32_e32 vcc_lo, s5, v7
	s_or_b32 s3, vcc_lo, s3
	s_waitcnt lgkmcnt(0)
	v_mul_f32_e32 v8, v5, v8
	ds_write_b32 v6, v8
	v_add_nc_u32_e32 v6, 0x200, v6
	s_andn2_b32 exec_lo, exec_lo, s3
	s_cbranch_execnz .LBB285_547
.LBB285_548:
	s_or_b32 exec_lo, exec_lo, s2
	s_mul_i32 s2, s7, s30
	s_mov_b32 s4, exec_lo
	s_mul_i32 s2, s2, s9
	s_waitcnt lgkmcnt(0)
	s_barrier
	buffer_gl0_inv
	v_cmpx_eq_u32_e32 0, v0
	s_cbranch_execz .LBB285_550
; %bb.549:
	s_ashr_i32 s3, s2, 31
	s_mul_i32 s42, s7, s6
	s_lshl_b64 s[12:13], s[2:3], 2
	v_mov_b32_e32 v5, 0
	s_add_u32 s3, s26, s12
	s_addc_u32 s5, s27, s13
	s_ashr_i32 s43, s42, 31
	s_lshl_b64 s[26:27], s[42:43], 2
	s_add_u32 s3, s3, s26
	s_addc_u32 s5, s5, s27
	s_ashr_i32 s9, s8, 31
	s_lshl_b64 s[42:43], s[8:9], 2
	s_add_u32 s44, s3, s42
	s_addc_u32 s45, s5, s43
	s_add_u32 s3, s24, s12
	s_addc_u32 s5, s25, s13
	;; [unrolled: 2-line block ×4, first 2 shown]
	global_store_dword v5, v3, s[44:45]
	global_store_dword v5, v4, s[12:13]
.LBB285_550:
	s_or_b32 exec_lo, exec_lo, s4
	v_mov_b32_e32 v26, 0
	v_mov_b32_e32 v25, 0
	;; [unrolled: 1-line block ×8, first 2 shown]
	s_and_saveexec_b32 s3, s1
	s_cbranch_execz .LBB285_1084
; %bb.551:
	s_sub_i32 s6, s40, s21
	s_ashr_i32 s1, s18, 31
	s_add_u32 s13, s38, s18
	s_addc_u32 s1, s39, s1
	s_abs_i32 s9, s22
	v_and_b32_e32 v5, 0xf8, v16
	v_cvt_f32_u32_e32 v3, s9
	s_sub_i32 s4, 0, s9
	v_lshlrev_b64 v[6:7], 2, v[1:2]
	v_lshlrev_b32_e32 v2, 5, v13
	s_add_i32 s33, s33, -1
	v_rcp_iflag_f32_e32 v4, v3
	v_and_b32_e32 v27, 8, v16
	v_mov_b32_e32 v3, 0
	v_lshl_or_b32 v2, v14, 6, v2
	v_mov_b32_e32 v16, 0x80
	v_mov_b32_e32 v28, 0x7f
	;; [unrolled: 1-line block ×6, first 2 shown]
	v_mul_f32_e32 v4, 0x4f7ffffe, v4
	v_mov_b32_e32 v21, 0
	v_mov_b32_e32 v22, 0
	v_mov_b32_e32 v23, 0
	v_mov_b32_e32 v24, 0
	v_cvt_u32_f32_e32 v8, v4
	v_add_co_u32 v4, s13, s13, v5
	v_add_co_ci_u32_e64 v5, null, s1, 0, s13
	v_mul_lo_u32 v9, s4, v8
	s_lshl_b64 s[4:5], s[36:37], 2
	v_mov_b32_e32 v25, 0
	s_add_u32 s1, s34, s4
	s_addc_u32 s4, s35, s5
	v_add_co_u32 v6, vcc_lo, s1, v6
	v_add_co_ci_u32_e64 v7, null, s4, v7, vcc_lo
	v_mul_hi_u32 v9, v8, v9
	v_add_nc_u32_e32 v31, 0x120, v2
	v_mov_b32_e32 v26, 0
	s_mov_b32 s4, -1
	s_mov_b32 s12, s17
	s_mov_b32 s5, 0xffffff
	;; [unrolled: 1-line block ×3, first 2 shown]
	v_add_nc_u32_e32 v32, v8, v9
	s_branch .LBB285_554
.LBB285_552:                            ;   in Loop: Header=BB285_554 Depth=1
	s_or_b32 exec_lo, exec_lo, s1
	v_add_f32_e32 v10, v10, v11
	v_add_f32_e32 v11, v55, v56
	;; [unrolled: 1-line block ×5, first 2 shown]
	;;#ASMSTART
	v_pk_mul_f16 v11, v46, v57;

	;;#ASMEND
	;;#ASMSTART
	v_pk_mul_f16 v9, v45, v9;

	;;#ASMEND
	;; [unrolled: 4-line block ×4, first 2 shown]
	;;#ASMSTART
	v_pk_add_f16 v9, v11, v9;

	;;#ASMEND
	;;#ASMSTART
	v_pk_add_f16 v8, v9, v8;

	;;#ASMEND
	;; [unrolled: 4-line block ×3, first 2 shown]
	v_and_b32_e32 v11, 0xffff, v2
	v_add_f32_e32 v22, v22, v33
	v_lshrrev_b32_e32 v33, 16, v2
	;;#ASMSTART
	v_cvt_f32_f16 v11, v11;
	;;#ASMEND
	v_add_f32_e32 v10, v51, v52
	v_add_f32_e32 v2, v49, v50
	;; [unrolled: 1-line block ×4, first 2 shown]
	;;#ASMSTART
	v_cvt_f32_f16 v33, v33;
	;;#ASMEND
	v_add_f32_e32 v11, v11, v33
	v_add_f32_e32 v23, v23, v10
	;; [unrolled: 1-line block ×6, first 2 shown]
.LBB285_553:                            ;   in Loop: Header=BB285_554 Depth=1
	s_or_b32 exec_lo, exec_lo, s17
	v_add_nc_u32_e32 v1, 4, v1
	v_add_co_u32 v6, s1, v6, 16
	v_add_co_ci_u32_e64 v7, null, 0, v7, s1
	v_cmp_le_i32_e32 vcc_lo, s20, v1
	v_add_nc_u32_e32 v15, 64, v15
	v_add_nc_u32_e32 v31, 0x100, v31
	s_or_b32 s13, vcc_lo, s13
	s_andn2_b32 exec_lo, exec_lo, s13
	s_cbranch_execz .LBB285_1083
.LBB285_554:                            ; =>This Inner Loop Header: Depth=1
	v_sub_nc_u32_e32 v2, 0, v15
	v_max_i32_e32 v2, v15, v2
	v_mul_hi_u32 v8, v2, s16
	v_mul_lo_u32 v9, v8, s11
	v_sub_nc_u32_e32 v2, v2, v9
	v_add_nc_u32_e32 v9, 1, v8
	v_subrev_nc_u32_e32 v10, s11, v2
	v_cmp_le_u32_e32 vcc_lo, s11, v2
	v_cndmask_b32_e32 v8, v8, v9, vcc_lo
	v_cndmask_b32_e32 v2, v2, v10, vcc_lo
	v_ashrrev_i32_e32 v9, 31, v15
	v_add_nc_u32_e32 v10, 1, v8
	v_cmp_le_u32_e32 vcc_lo, s11, v2
	v_xor_b32_e32 v9, s23, v9
	v_cndmask_b32_e32 v2, v8, v10, vcc_lo
	v_xor_b32_e32 v2, v2, v9
	v_sub_nc_u32_e32 v2, v2, v9
	v_add_nc_u32_e32 v8, s19, v2
	v_cmp_lt_i32_e64 s1, s6, v2
	v_sub_nc_u32_e32 v9, 0, v8
	v_max_i32_e32 v9, v8, v9
	v_ashrrev_i32_e32 v8, 31, v8
	v_mul_hi_u32 v10, v9, v32
	v_mul_lo_u32 v10, v10, s9
	v_sub_nc_u32_e32 v9, v9, v10
	v_subrev_nc_u32_e32 v10, s9, v9
	v_cmp_le_u32_e32 vcc_lo, s9, v9
	v_cndmask_b32_e32 v9, v9, v10, vcc_lo
	v_subrev_nc_u32_e32 v10, s9, v9
	v_cmp_le_u32_e32 vcc_lo, s9, v9
	v_cndmask_b32_e32 v9, v9, v10, vcc_lo
	v_xor_b32_e32 v9, v9, v8
	v_sub_nc_u32_e32 v8, v9, v8
	v_cmp_eq_u32_e32 vcc_lo, 0, v8
	s_or_b32 s1, vcc_lo, s1
	s_and_saveexec_b32 s17, s1
	s_cbranch_execz .LBB285_553
; %bb.555:                              ;   in Loop: Header=BB285_554 Depth=1
	global_load_dword v2, v[6:7], off
	ds_read2_b64 v[33:36], v31 offset1:1
	ds_read2_b64 v[46:49], v31 offset0:2 offset1:3
	s_waitcnt lgkmcnt(1)
	;;#ASMSTART
	v_cvt_f16_f32 v40, v33;

	;;#ASMEND
	;;#ASMSTART
	v_cvt_f16_f32 v42, v34;

	;;#ASMEND
	;; [unrolled: 4-line block ×4, first 2 shown]
	s_waitcnt lgkmcnt(0)
	;;#ASMSTART
	v_cvt_f16_f32 v46, v46;

	;;#ASMEND
	;;#ASMSTART
	v_cvt_f16_f32 v44, v47;

	;;#ASMEND
	;; [unrolled: 4-line block ×4, first 2 shown]
	v_mov_b32_e32 v35, 0
	v_mov_b32_e32 v36, 0
	global_load_dword v34, v35, s[14:15]
	s_waitcnt vmcnt(1)
	v_mad_i64_i32 v[8:9], null, v2, s12, v[4:5]
	global_load_dwordx2 v[10:11], v[8:9], off
	s_waitcnt vmcnt(0)
	v_cmp_ne_u16_sdwa s18, v10, v3 src0_sel:BYTE_0 src1_sel:DWORD
	s_and_saveexec_b32 s1, s18
	s_cbranch_execz .LBB285_563
; %bb.556:                              ;   in Loop: Header=BB285_554 Depth=1
	v_cmp_ne_u16_sdwa s21, v10, v16 src0_sel:BYTE_0 src1_sel:DWORD
	v_mov_b32_e32 v36, 0x8000
	s_and_saveexec_b32 s18, s21
	s_cbranch_execz .LBB285_562
; %bb.557:                              ;   in Loop: Header=BB285_554 Depth=1
	v_and_b32_e32 v37, 0x7f, v10
	v_mov_b32_e32 v36, 0x7c01
	s_mov_b32 s21, exec_lo
	v_cmpx_ne_u32_e32 0x7f, v37
	s_cbranch_execz .LBB285_561
; %bb.558:                              ;   in Loop: Header=BB285_554 Depth=1
	v_and_b32_e32 v2, 7, v10
	v_lshrrev_b32_e32 v33, 3, v37
	s_mov_b32 s22, exec_lo
	v_cmpx_gt_u32_e32 8, v37
; %bb.559:                              ;   in Loop: Header=BB285_554 Depth=1
	v_ffbh_u32_e32 v2, v2
	v_min_u32_e32 v2, 32, v2
	v_subrev_nc_u32_e32 v33, 28, v2
	v_lshlrev_b64 v[36:37], v33, v[10:11]
	v_sub_nc_u32_e32 v33, 29, v2
	v_and_b32_e32 v2, 7, v36
; %bb.560:                              ;   in Loop: Header=BB285_554 Depth=1
	s_or_b32 exec_lo, exec_lo, s22
	v_lshlrev_b32_e32 v36, 8, v10
	v_lshl_add_u32 v33, v33, 10, 0x2000
	v_lshlrev_b32_e32 v2, 7, v2
	v_and_b32_e32 v36, 0x8000, v36
	v_and_b32_e32 v33, 0xfc00, v33
	v_or3_b32 v36, v36, v33, v2
.LBB285_561:                            ;   in Loop: Header=BB285_554 Depth=1
	s_or_b32 exec_lo, exec_lo, s21
.LBB285_562:                            ;   in Loop: Header=BB285_554 Depth=1
	s_or_b32 exec_lo, exec_lo, s18
.LBB285_563:                            ;   in Loop: Header=BB285_554 Depth=1
	s_or_b32 exec_lo, exec_lo, s1
	v_lshrrev_b16 v2, 8, v10
	s_mov_b32 s1, exec_lo
	v_cmpx_ne_u16_e32 0, v2
	s_cbranch_execz .LBB285_571
; %bb.564:                              ;   in Loop: Header=BB285_554 Depth=1
	v_bfrev_b32_e32 v35, 1
	s_mov_b32 s18, exec_lo
	v_cmpx_ne_u16_e32 0x80, v2
	s_cbranch_execz .LBB285_570
; %bb.565:                              ;   in Loop: Header=BB285_554 Depth=1
	v_and_b32_sdwa v37, v2, v28 dst_sel:DWORD dst_unused:UNUSED_PAD src0_sel:WORD_0 src1_sel:DWORD
	v_mov_b32_e32 v35, 0x7c010000
	s_mov_b32 s21, exec_lo
	v_cmpx_ne_u32_e32 0x7f, v37
	s_cbranch_execz .LBB285_569
; %bb.566:                              ;   in Loop: Header=BB285_554 Depth=1
	v_and_b32_sdwa v33, v2, v29 dst_sel:DWORD dst_unused:UNUSED_PAD src0_sel:WORD_0 src1_sel:DWORD
	v_lshrrev_b32_e32 v35, 3, v37
	s_mov_b32 s22, exec_lo
	v_cmpx_gt_u32_e32 8, v37
; %bb.567:                              ;   in Loop: Header=BB285_554 Depth=1
	v_ffbh_u32_e32 v33, v33
	v_min_u32_e32 v33, 32, v33
	v_subrev_nc_u32_e32 v35, 28, v33
	v_lshlrev_b64 v[37:38], v35, v[2:3]
	v_sub_nc_u32_e32 v35, 29, v33
	v_and_b32_e32 v33, 7, v37
; %bb.568:                              ;   in Loop: Header=BB285_554 Depth=1
	s_or_b32 exec_lo, exec_lo, s22
	v_lshlrev_b32_sdwa v2, v30, v2 dst_sel:DWORD dst_unused:UNUSED_PAD src0_sel:DWORD src1_sel:WORD_0
	v_lshl_add_u32 v35, v35, 10, 0x2000
	v_lshlrev_b32_e32 v33, 23, v33
	v_and_or_b32 v2, 0x8000, v2, v35
	v_lshl_or_b32 v35, v2, 16, v33
.LBB285_569:                            ;   in Loop: Header=BB285_554 Depth=1
	s_or_b32 exec_lo, exec_lo, s21
.LBB285_570:                            ;   in Loop: Header=BB285_554 Depth=1
	s_or_b32 exec_lo, exec_lo, s18
.LBB285_571:                            ;   in Loop: Header=BB285_554 Depth=1
	s_or_b32 exec_lo, exec_lo, s1
	v_lshrrev_b32_e32 v2, 16, v10
	v_mov_b32_e32 v37, 0
	v_mov_b32_e32 v33, 0
	v_cmp_ne_u16_sdwa s18, v2, v3 src0_sel:BYTE_0 src1_sel:DWORD
	s_and_saveexec_b32 s1, s18
	s_cbranch_execz .LBB285_579
; %bb.572:                              ;   in Loop: Header=BB285_554 Depth=1
	v_cmp_ne_u16_sdwa s21, v2, v16 src0_sel:BYTE_0 src1_sel:DWORD
	v_mov_b32_e32 v33, 0x8000
	s_and_saveexec_b32 s18, s21
	s_cbranch_execz .LBB285_578
; %bb.573:                              ;   in Loop: Header=BB285_554 Depth=1
	v_bfe_u32 v39, v10, 16, 7
	v_mov_b32_e32 v33, 0x7c01
	s_mov_b32 s21, exec_lo
	v_cmpx_ne_u32_e32 0x7f, v39
	s_cbranch_execz .LBB285_577
; %bb.574:                              ;   in Loop: Header=BB285_554 Depth=1
	v_and_b32_e32 v33, 7, v2
	v_lshrrev_b32_e32 v38, 3, v39
	s_mov_b32 s22, exec_lo
	v_cmpx_gt_u32_e32 8, v39
; %bb.575:                              ;   in Loop: Header=BB285_554 Depth=1
	v_ffbh_u32_e32 v33, v33
	v_min_u32_e32 v33, 32, v33
	v_subrev_nc_u32_e32 v38, 28, v33
	v_lshlrev_b64 v[49:50], v38, v[2:3]
	v_sub_nc_u32_e32 v38, 29, v33
	v_and_b32_e32 v33, 7, v49
; %bb.576:                              ;   in Loop: Header=BB285_554 Depth=1
	s_or_b32 exec_lo, exec_lo, s22
	v_lshlrev_b32_e32 v2, 8, v2
	v_lshl_add_u32 v38, v38, 10, 0x2000
	v_lshlrev_b32_e32 v33, 7, v33
	v_and_b32_e32 v2, 0x8000, v2
	v_and_b32_e32 v38, 0xfc00, v38
	v_or3_b32 v33, v2, v38, v33
.LBB285_577:                            ;   in Loop: Header=BB285_554 Depth=1
	s_or_b32 exec_lo, exec_lo, s21
.LBB285_578:                            ;   in Loop: Header=BB285_554 Depth=1
	s_or_b32 exec_lo, exec_lo, s18
.LBB285_579:                            ;   in Loop: Header=BB285_554 Depth=1
	s_or_b32 exec_lo, exec_lo, s1
	s_mov_b32 s1, exec_lo
	v_cmpx_lt_u32_e32 0xffffff, v10
	s_cbranch_execz .LBB285_587
; %bb.580:                              ;   in Loop: Header=BB285_554 Depth=1
	v_lshrrev_b32_e32 v2, 24, v10
	v_bfrev_b32_e32 v37, 1
	s_mov_b32 s18, exec_lo
	v_cmpx_ne_u32_e32 0x80, v2
	s_cbranch_execz .LBB285_586
; %bb.581:                              ;   in Loop: Header=BB285_554 Depth=1
	v_and_b32_e32 v39, 0x7f, v2
	v_mov_b32_e32 v37, 0x7c010000
	s_mov_b32 s21, exec_lo
	v_cmpx_ne_u32_e32 0x7f, v39
	s_cbranch_execz .LBB285_585
; %bb.582:                              ;   in Loop: Header=BB285_554 Depth=1
	v_and_b32_e32 v37, 7, v2
	v_lshrrev_b32_e32 v38, 3, v39
	s_mov_b32 s22, exec_lo
	v_cmpx_gt_u32_e32 8, v39
; %bb.583:                              ;   in Loop: Header=BB285_554 Depth=1
	v_ffbh_u32_e32 v37, v37
	v_min_u32_e32 v39, 32, v37
	v_subrev_nc_u32_e32 v37, 28, v39
	v_lshlrev_b64 v[37:38], v37, v[2:3]
	v_sub_nc_u32_e32 v38, 29, v39
	v_and_b32_e32 v37, 7, v37
; %bb.584:                              ;   in Loop: Header=BB285_554 Depth=1
	s_or_b32 exec_lo, exec_lo, s22
	v_lshlrev_b32_e32 v2, 8, v2
	v_lshl_add_u32 v38, v38, 10, 0x2000
	v_lshlrev_b32_e32 v37, 23, v37
	v_and_or_b32 v2, 0x8000, v2, v38
	v_lshl_or_b32 v37, v2, 16, v37
.LBB285_585:                            ;   in Loop: Header=BB285_554 Depth=1
	s_or_b32 exec_lo, exec_lo, s21
.LBB285_586:                            ;   in Loop: Header=BB285_554 Depth=1
	s_or_b32 exec_lo, exec_lo, s18
.LBB285_587:                            ;   in Loop: Header=BB285_554 Depth=1
	s_or_b32 exec_lo, exec_lo, s1
	v_mov_b32_e32 v2, v11
	v_cmp_ne_u16_sdwa s18, v11, v3 src0_sel:BYTE_0 src1_sel:DWORD
	v_mov_b32_e32 v38, 0
	v_mov_b32_e32 v39, 0
	s_and_saveexec_b32 s1, s18
	s_cbranch_execz .LBB285_595
; %bb.588:                              ;   in Loop: Header=BB285_554 Depth=1
	v_cmp_ne_u16_sdwa s21, v11, v16 src0_sel:BYTE_0 src1_sel:DWORD
	v_mov_b32_e32 v39, 0x8000
	s_and_saveexec_b32 s18, s21
	s_cbranch_execz .LBB285_594
; %bb.589:                              ;   in Loop: Header=BB285_554 Depth=1
	v_and_b32_e32 v49, 0x7f, v11
	v_mov_b32_e32 v39, 0x7c01
	s_mov_b32 s21, exec_lo
	v_cmpx_ne_u32_e32 0x7f, v49
	s_cbranch_execz .LBB285_593
; %bb.590:                              ;   in Loop: Header=BB285_554 Depth=1
	v_and_b32_e32 v39, 7, v11
	v_lshrrev_b32_e32 v41, 3, v49
	s_mov_b32 s22, exec_lo
	v_cmpx_gt_u32_e32 8, v49
; %bb.591:                              ;   in Loop: Header=BB285_554 Depth=1
	v_ffbh_u32_e32 v39, v39
	v_min_u32_e32 v39, 32, v39
	v_subrev_nc_u32_e32 v41, 28, v39
	v_lshlrev_b64 v[49:50], v41, v[2:3]
	v_sub_nc_u32_e32 v41, 29, v39
	v_and_b32_e32 v39, 7, v49
; %bb.592:                              ;   in Loop: Header=BB285_554 Depth=1
	s_or_b32 exec_lo, exec_lo, s22
	v_lshlrev_b32_e32 v49, 8, v11
	v_lshl_add_u32 v41, v41, 10, 0x2000
	v_lshlrev_b32_e32 v39, 7, v39
	v_and_b32_e32 v49, 0x8000, v49
	v_and_b32_e32 v41, 0xfc00, v41
	v_or3_b32 v39, v49, v41, v39
.LBB285_593:                            ;   in Loop: Header=BB285_554 Depth=1
	s_or_b32 exec_lo, exec_lo, s21
.LBB285_594:                            ;   in Loop: Header=BB285_554 Depth=1
	s_or_b32 exec_lo, exec_lo, s18
.LBB285_595:                            ;   in Loop: Header=BB285_554 Depth=1
	s_or_b32 exec_lo, exec_lo, s1
	v_lshrrev_b16 v2, 8, v2
	v_mov_b32_e32 v41, 0
	s_mov_b32 s1, exec_lo
	v_cmpx_ne_u16_e32 0, v2
	s_cbranch_execz .LBB285_603
; %bb.596:                              ;   in Loop: Header=BB285_554 Depth=1
	v_bfrev_b32_e32 v41, 1
	s_mov_b32 s18, exec_lo
	v_cmpx_ne_u16_e32 0x80, v2
	s_cbranch_execz .LBB285_602
; %bb.597:                              ;   in Loop: Header=BB285_554 Depth=1
	v_and_b32_sdwa v50, v2, v28 dst_sel:DWORD dst_unused:UNUSED_PAD src0_sel:WORD_0 src1_sel:DWORD
	v_mov_b32_e32 v41, 0x7c010000
	s_mov_b32 s21, exec_lo
	v_cmpx_ne_u32_e32 0x7f, v50
	s_cbranch_execz .LBB285_601
; %bb.598:                              ;   in Loop: Header=BB285_554 Depth=1
	v_and_b32_sdwa v41, v2, v29 dst_sel:DWORD dst_unused:UNUSED_PAD src0_sel:WORD_0 src1_sel:DWORD
	v_lshrrev_b32_e32 v49, 3, v50
	s_mov_b32 s22, exec_lo
	v_cmpx_gt_u32_e32 8, v50
; %bb.599:                              ;   in Loop: Header=BB285_554 Depth=1
	v_ffbh_u32_e32 v41, v41
	v_min_u32_e32 v41, 32, v41
	v_subrev_nc_u32_e32 v49, 28, v41
	v_lshlrev_b64 v[50:51], v49, v[2:3]
	v_sub_nc_u32_e32 v49, 29, v41
	v_and_b32_e32 v41, 7, v50
; %bb.600:                              ;   in Loop: Header=BB285_554 Depth=1
	s_or_b32 exec_lo, exec_lo, s22
	v_lshlrev_b32_sdwa v2, v30, v2 dst_sel:DWORD dst_unused:UNUSED_PAD src0_sel:DWORD src1_sel:WORD_0
	v_lshl_add_u32 v49, v49, 10, 0x2000
	v_lshlrev_b32_e32 v41, 23, v41
	v_and_or_b32 v2, 0x8000, v2, v49
	v_lshl_or_b32 v41, v2, 16, v41
.LBB285_601:                            ;   in Loop: Header=BB285_554 Depth=1
	s_or_b32 exec_lo, exec_lo, s21
.LBB285_602:                            ;   in Loop: Header=BB285_554 Depth=1
	s_or_b32 exec_lo, exec_lo, s18
.LBB285_603:                            ;   in Loop: Header=BB285_554 Depth=1
	s_or_b32 exec_lo, exec_lo, s1
	v_lshrrev_b32_e32 v2, 16, v11
	v_cmp_ne_u16_sdwa s18, v2, v3 src0_sel:BYTE_0 src1_sel:DWORD
	s_and_saveexec_b32 s1, s18
	s_cbranch_execz .LBB285_611
; %bb.604:                              ;   in Loop: Header=BB285_554 Depth=1
	v_cmp_ne_u16_sdwa s21, v2, v16 src0_sel:BYTE_0 src1_sel:DWORD
	v_mov_b32_e32 v38, 0x8000
	s_and_saveexec_b32 s18, s21
	s_cbranch_execz .LBB285_610
; %bb.605:                              ;   in Loop: Header=BB285_554 Depth=1
	v_bfe_u32 v50, v11, 16, 7
	v_mov_b32_e32 v38, 0x7c01
	s_mov_b32 s21, exec_lo
	v_cmpx_ne_u32_e32 0x7f, v50
	s_cbranch_execz .LBB285_609
; %bb.606:                              ;   in Loop: Header=BB285_554 Depth=1
	v_and_b32_e32 v38, 7, v2
	v_lshrrev_b32_e32 v49, 3, v50
	s_mov_b32 s22, exec_lo
	v_cmpx_gt_u32_e32 8, v50
; %bb.607:                              ;   in Loop: Header=BB285_554 Depth=1
	v_ffbh_u32_e32 v38, v38
	v_min_u32_e32 v38, 32, v38
	v_subrev_nc_u32_e32 v49, 28, v38
	v_lshlrev_b64 v[50:51], v49, v[2:3]
	v_sub_nc_u32_e32 v49, 29, v38
	v_and_b32_e32 v38, 7, v50
; %bb.608:                              ;   in Loop: Header=BB285_554 Depth=1
	s_or_b32 exec_lo, exec_lo, s22
	v_lshlrev_b32_e32 v2, 8, v2
	v_lshl_add_u32 v49, v49, 10, 0x2000
	v_lshlrev_b32_e32 v38, 7, v38
	v_and_b32_e32 v2, 0x8000, v2
	v_and_b32_e32 v49, 0xfc00, v49
	v_or3_b32 v38, v2, v49, v38
.LBB285_609:                            ;   in Loop: Header=BB285_554 Depth=1
	s_or_b32 exec_lo, exec_lo, s21
.LBB285_610:                            ;   in Loop: Header=BB285_554 Depth=1
	s_or_b32 exec_lo, exec_lo, s18
.LBB285_611:                            ;   in Loop: Header=BB285_554 Depth=1
	s_or_b32 exec_lo, exec_lo, s1
	v_cmp_lt_u64_e32 vcc_lo, s[4:5], v[10:11]
	v_mov_b32_e32 v10, 0
	s_and_saveexec_b32 s1, vcc_lo
	s_cbranch_execz .LBB285_619
; %bb.612:                              ;   in Loop: Header=BB285_554 Depth=1
	v_lshrrev_b32_e32 v2, 24, v11
	v_bfrev_b32_e32 v10, 1
	s_mov_b32 s18, exec_lo
	v_cmpx_ne_u32_e32 0x80, v2
	s_cbranch_execz .LBB285_618
; %bb.613:                              ;   in Loop: Header=BB285_554 Depth=1
	v_and_b32_e32 v49, 0x7f, v2
	v_mov_b32_e32 v10, 0x7c010000
	s_mov_b32 s21, exec_lo
	v_cmpx_ne_u32_e32 0x7f, v49
	s_cbranch_execz .LBB285_617
; %bb.614:                              ;   in Loop: Header=BB285_554 Depth=1
	v_and_b32_e32 v10, 7, v2
	v_lshrrev_b32_e32 v11, 3, v49
	s_mov_b32 s22, exec_lo
	v_cmpx_gt_u32_e32 8, v49
; %bb.615:                              ;   in Loop: Header=BB285_554 Depth=1
	v_ffbh_u32_e32 v10, v10
	v_min_u32_e32 v49, 32, v10
	v_subrev_nc_u32_e32 v10, 28, v49
	v_lshlrev_b64 v[10:11], v10, v[2:3]
	v_sub_nc_u32_e32 v11, 29, v49
	v_and_b32_e32 v10, 7, v10
; %bb.616:                              ;   in Loop: Header=BB285_554 Depth=1
	s_or_b32 exec_lo, exec_lo, s22
	v_lshlrev_b32_e32 v2, 8, v2
	v_lshl_add_u32 v11, v11, 10, 0x2000
	v_lshlrev_b32_e32 v10, 23, v10
	v_and_or_b32 v2, 0x8000, v2, v11
	v_lshl_or_b32 v10, v2, 16, v10
.LBB285_617:                            ;   in Loop: Header=BB285_554 Depth=1
	s_or_b32 exec_lo, exec_lo, s21
.LBB285_618:                            ;   in Loop: Header=BB285_554 Depth=1
	s_or_b32 exec_lo, exec_lo, s18
.LBB285_619:                            ;   in Loop: Header=BB285_554 Depth=1
	s_or_b32 exec_lo, exec_lo, s1
	v_or_b32_e32 v2, v37, v33
	v_fma_mixlo_f16 v11, v34, v37, 0 op_sel:[0,1,0] op_sel_hi:[0,1,0]
	v_or_b32_e32 v36, v35, v36
	v_fma_mixlo_f16 v35, v34, v35, 0 op_sel:[0,1,0] op_sel_hi:[0,1,0]
	v_or_b32_e32 v37, v41, v39
	v_fma_mixlo_f16 v2, v34, v2, 0 op_sel_hi:[0,1,0]
	v_or_b32_e32 v38, v10, v38
	v_fma_mixlo_f16 v10, v34, v10, 0 op_sel:[0,1,0] op_sel_hi:[0,1,0]
	v_lshlrev_b32_e32 v55, 16, v35
	v_fma_mixlo_f16 v35, v34, v41, 0 op_sel:[0,1,0] op_sel_hi:[0,1,0]
	v_and_b32_e32 v52, 0xffff, v2
	v_fma_mixlo_f16 v2, v34, v36, 0 op_sel_hi:[0,1,0]
	v_fma_mixlo_f16 v36, v34, v37, 0 op_sel_hi:[0,1,0]
	;; [unrolled: 1-line block ×3, first 2 shown]
	v_add_nc_u32_e32 v33, v27, v15
	v_lshlrev_b32_e32 v11, 16, v11
	v_and_b32_e32 v57, 0xffff, v2
	v_lshlrev_b32_e32 v53, 16, v35
	v_and_b32_e32 v56, 0xffff, v36
	;; [unrolled: 2-line block ×3, first 2 shown]
	v_cmp_eq_u32_e32 vcc_lo, s33, v1
	v_or_b32_e32 v2, v11, v52
	v_or_b32_e32 v10, v55, v57
	;; [unrolled: 1-line block ×4, first 2 shown]
	v_add_nc_u32_e32 v41, 1, v33
	v_add_nc_u32_e32 v39, 2, v33
	;; [unrolled: 1-line block ×7, first 2 shown]
	s_and_saveexec_b32 s18, vcc_lo
	s_cbranch_execz .LBB285_621
; %bb.620:                              ;   in Loop: Header=BB285_554 Depth=1
	v_cmp_gt_i32_e64 s1, s31, v33
	v_cndmask_b32_e64 v2, 0, v57, s1
	v_cmp_gt_i32_e64 s1, s31, v41
	v_cndmask_b32_e64 v10, 0, v55, s1
	v_cmp_gt_i32_e64 s1, s31, v39
	v_or_b32_e32 v10, v10, v2
	v_cndmask_b32_e64 v49, 0, v52, s1
	v_cmp_gt_i32_e64 s1, s31, v38
	v_cndmask_b32_e64 v11, 0, v11, s1
	v_cmp_gt_i32_e64 s1, s31, v37
	v_or_b32_e32 v2, v11, v49
	;; [unrolled: 5-line block ×3, first 2 shown]
	v_cndmask_b32_e64 v53, 0, v54, s1
	v_cmp_gt_i32_e64 s1, s31, v34
	v_cndmask_b32_e64 v50, 0, v50, s1
	v_or_b32_e32 v51, v50, v53
.LBB285_621:                            ;   in Loop: Header=BB285_554 Depth=1
	s_or_b32 exec_lo, exec_lo, s18
	v_and_b32_e32 v11, 0xffff, v40
	v_and_b32_e32 v40, 0xffff, v45
	;; [unrolled: 1-line block ×4, first 2 shown]
	v_lshl_or_b32 v46, v42, 16, v11
	v_lshl_or_b32 v45, v43, 16, v40
	;;#ASMSTART
	v_pk_mul_f16 v10, v46, v10;

	;;#ASMEND
	;;#ASMSTART
	v_pk_mul_f16 v2, v45, v2;

	;;#ASMEND
	v_lshl_or_b32 v44, v44, 16, v50
	v_lshl_or_b32 v43, v47, 16, v48
	;;#ASMSTART
	v_pk_mul_f16 v11, v44, v49;

	;;#ASMEND
	;;#ASMSTART
	v_pk_mul_f16 v40, v43, v51;

	;;#ASMEND
	;;#ASMSTART
	v_pk_add_f16 v2, v10, v2;

	;;#ASMEND
	;;#ASMSTART
	v_pk_add_f16 v2, v2, v11;
	;; [unrolled: 4-line block ×3, first 2 shown]

	;;#ASMEND
	v_and_b32_e32 v10, 0xffff, v2
	v_lshrrev_b32_e32 v2, 16, v2
	;;#ASMSTART
	v_cvt_f32_f16 v40, v10;
	;;#ASMEND
	;;#ASMSTART
	v_cvt_f32_f16 v42, v2;
	;;#ASMEND
	global_load_dwordx2 v[10:11], v[8:9], off offset:256
	v_mov_b32_e32 v48, 0
	v_mov_b32_e32 v49, 0
	global_load_dword v47, v48, s[14:15]
	s_waitcnt vmcnt(1)
	v_cmp_ne_u16_sdwa s1, v10, v3 src0_sel:BYTE_0 src1_sel:DWORD
	s_and_saveexec_b32 s18, s1
	s_cbranch_execz .LBB285_629
; %bb.622:                              ;   in Loop: Header=BB285_554 Depth=1
	v_cmp_ne_u16_sdwa s1, v10, v16 src0_sel:BYTE_0 src1_sel:DWORD
	v_mov_b32_e32 v49, 0x8000
	s_and_saveexec_b32 s21, s1
	s_cbranch_execz .LBB285_628
; %bb.623:                              ;   in Loop: Header=BB285_554 Depth=1
	v_and_b32_e32 v50, 0x7f, v10
	v_mov_b32_e32 v49, 0x7c01
	s_mov_b32 s22, exec_lo
	v_cmpx_ne_u32_e32 0x7f, v50
	s_cbranch_execz .LBB285_627
; %bb.624:                              ;   in Loop: Header=BB285_554 Depth=1
	v_and_b32_e32 v2, 7, v10
	v_lshrrev_b32_e32 v49, 3, v50
	s_mov_b32 s24, exec_lo
	v_cmpx_gt_u32_e32 8, v50
; %bb.625:                              ;   in Loop: Header=BB285_554 Depth=1
	v_ffbh_u32_e32 v2, v2
	v_min_u32_e32 v2, 32, v2
	v_subrev_nc_u32_e32 v49, 28, v2
	v_lshlrev_b64 v[50:51], v49, v[10:11]
	v_sub_nc_u32_e32 v49, 29, v2
	v_and_b32_e32 v2, 7, v50
; %bb.626:                              ;   in Loop: Header=BB285_554 Depth=1
	s_or_b32 exec_lo, exec_lo, s24
	v_lshlrev_b32_e32 v50, 8, v10
	v_lshl_add_u32 v49, v49, 10, 0x2000
	v_lshlrev_b32_e32 v2, 7, v2
	v_and_b32_e32 v50, 0x8000, v50
	v_and_b32_e32 v49, 0xfc00, v49
	v_or3_b32 v49, v50, v49, v2
.LBB285_627:                            ;   in Loop: Header=BB285_554 Depth=1
	s_or_b32 exec_lo, exec_lo, s22
.LBB285_628:                            ;   in Loop: Header=BB285_554 Depth=1
	s_or_b32 exec_lo, exec_lo, s21
.LBB285_629:                            ;   in Loop: Header=BB285_554 Depth=1
	s_or_b32 exec_lo, exec_lo, s18
	v_lshrrev_b16 v2, 8, v10
	s_mov_b32 s18, exec_lo
	v_cmpx_ne_u16_e32 0, v2
	s_cbranch_execz .LBB285_637
; %bb.630:                              ;   in Loop: Header=BB285_554 Depth=1
	v_bfrev_b32_e32 v48, 1
	s_mov_b32 s21, exec_lo
	v_cmpx_ne_u16_e32 0x80, v2
	s_cbranch_execz .LBB285_636
; %bb.631:                              ;   in Loop: Header=BB285_554 Depth=1
	v_and_b32_sdwa v51, v2, v28 dst_sel:DWORD dst_unused:UNUSED_PAD src0_sel:WORD_0 src1_sel:DWORD
	v_mov_b32_e32 v48, 0x7c010000
	s_mov_b32 s22, exec_lo
	v_cmpx_ne_u32_e32 0x7f, v51
	s_cbranch_execz .LBB285_635
; %bb.632:                              ;   in Loop: Header=BB285_554 Depth=1
	v_and_b32_sdwa v48, v2, v29 dst_sel:DWORD dst_unused:UNUSED_PAD src0_sel:WORD_0 src1_sel:DWORD
	v_lshrrev_b32_e32 v50, 3, v51
	s_mov_b32 s24, exec_lo
	v_cmpx_gt_u32_e32 8, v51
; %bb.633:                              ;   in Loop: Header=BB285_554 Depth=1
	v_ffbh_u32_e32 v48, v48
	v_min_u32_e32 v48, 32, v48
	v_subrev_nc_u32_e32 v50, 28, v48
	v_lshlrev_b64 v[51:52], v50, v[2:3]
	v_sub_nc_u32_e32 v50, 29, v48
	v_and_b32_e32 v48, 7, v51
; %bb.634:                              ;   in Loop: Header=BB285_554 Depth=1
	s_or_b32 exec_lo, exec_lo, s24
	v_lshlrev_b32_sdwa v2, v30, v2 dst_sel:DWORD dst_unused:UNUSED_PAD src0_sel:DWORD src1_sel:WORD_0
	v_lshl_add_u32 v50, v50, 10, 0x2000
	v_lshlrev_b32_e32 v48, 23, v48
	v_and_or_b32 v2, 0x8000, v2, v50
	v_lshl_or_b32 v48, v2, 16, v48
.LBB285_635:                            ;   in Loop: Header=BB285_554 Depth=1
	s_or_b32 exec_lo, exec_lo, s22
.LBB285_636:                            ;   in Loop: Header=BB285_554 Depth=1
	s_or_b32 exec_lo, exec_lo, s21
.LBB285_637:                            ;   in Loop: Header=BB285_554 Depth=1
	s_or_b32 exec_lo, exec_lo, s18
	v_lshrrev_b32_e32 v2, 16, v10
	v_mov_b32_e32 v50, 0
	v_mov_b32_e32 v51, 0
	v_cmp_ne_u16_sdwa s1, v2, v3 src0_sel:BYTE_0 src1_sel:DWORD
	s_and_saveexec_b32 s18, s1
	s_cbranch_execz .LBB285_645
; %bb.638:                              ;   in Loop: Header=BB285_554 Depth=1
	v_cmp_ne_u16_sdwa s1, v2, v16 src0_sel:BYTE_0 src1_sel:DWORD
	v_mov_b32_e32 v51, 0x8000
	s_and_saveexec_b32 s21, s1
	s_cbranch_execz .LBB285_644
; %bb.639:                              ;   in Loop: Header=BB285_554 Depth=1
	v_bfe_u32 v53, v10, 16, 7
	v_mov_b32_e32 v51, 0x7c01
	s_mov_b32 s22, exec_lo
	v_cmpx_ne_u32_e32 0x7f, v53
	s_cbranch_execz .LBB285_643
; %bb.640:                              ;   in Loop: Header=BB285_554 Depth=1
	v_and_b32_e32 v51, 7, v2
	v_lshrrev_b32_e32 v52, 3, v53
	s_mov_b32 s24, exec_lo
	v_cmpx_gt_u32_e32 8, v53
; %bb.641:                              ;   in Loop: Header=BB285_554 Depth=1
	v_ffbh_u32_e32 v51, v51
	v_min_u32_e32 v53, 32, v51
	v_subrev_nc_u32_e32 v51, 28, v53
	v_lshlrev_b64 v[51:52], v51, v[2:3]
	v_sub_nc_u32_e32 v52, 29, v53
	v_and_b32_e32 v51, 7, v51
; %bb.642:                              ;   in Loop: Header=BB285_554 Depth=1
	s_or_b32 exec_lo, exec_lo, s24
	v_lshlrev_b32_e32 v2, 8, v2
	v_lshl_add_u32 v52, v52, 10, 0x2000
	v_lshlrev_b32_e32 v51, 7, v51
	v_and_b32_e32 v2, 0x8000, v2
	v_and_b32_e32 v52, 0xfc00, v52
	v_or3_b32 v51, v2, v52, v51
.LBB285_643:                            ;   in Loop: Header=BB285_554 Depth=1
	s_or_b32 exec_lo, exec_lo, s22
.LBB285_644:                            ;   in Loop: Header=BB285_554 Depth=1
	s_or_b32 exec_lo, exec_lo, s21
.LBB285_645:                            ;   in Loop: Header=BB285_554 Depth=1
	s_or_b32 exec_lo, exec_lo, s18
	s_mov_b32 s18, exec_lo
	v_cmpx_lt_u32_e32 0xffffff, v10
	s_cbranch_execz .LBB285_653
; %bb.646:                              ;   in Loop: Header=BB285_554 Depth=1
	v_lshrrev_b32_e32 v2, 24, v10
	v_bfrev_b32_e32 v50, 1
	s_mov_b32 s21, exec_lo
	v_cmpx_ne_u32_e32 0x80, v2
	s_cbranch_execz .LBB285_652
; %bb.647:                              ;   in Loop: Header=BB285_554 Depth=1
	v_and_b32_e32 v53, 0x7f, v2
	v_mov_b32_e32 v50, 0x7c010000
	s_mov_b32 s22, exec_lo
	v_cmpx_ne_u32_e32 0x7f, v53
	s_cbranch_execz .LBB285_651
; %bb.648:                              ;   in Loop: Header=BB285_554 Depth=1
	v_and_b32_e32 v50, 7, v2
	v_lshrrev_b32_e32 v52, 3, v53
	s_mov_b32 s24, exec_lo
	v_cmpx_gt_u32_e32 8, v53
; %bb.649:                              ;   in Loop: Header=BB285_554 Depth=1
	v_ffbh_u32_e32 v50, v50
	v_min_u32_e32 v50, 32, v50
	v_subrev_nc_u32_e32 v52, 28, v50
	v_lshlrev_b64 v[53:54], v52, v[2:3]
	v_sub_nc_u32_e32 v52, 29, v50
	v_and_b32_e32 v50, 7, v53
; %bb.650:                              ;   in Loop: Header=BB285_554 Depth=1
	s_or_b32 exec_lo, exec_lo, s24
	v_lshlrev_b32_e32 v2, 8, v2
	v_lshl_add_u32 v52, v52, 10, 0x2000
	v_lshlrev_b32_e32 v50, 23, v50
	v_and_or_b32 v2, 0x8000, v2, v52
	v_lshl_or_b32 v50, v2, 16, v50
.LBB285_651:                            ;   in Loop: Header=BB285_554 Depth=1
	s_or_b32 exec_lo, exec_lo, s22
.LBB285_652:                            ;   in Loop: Header=BB285_554 Depth=1
	s_or_b32 exec_lo, exec_lo, s21
.LBB285_653:                            ;   in Loop: Header=BB285_554 Depth=1
	s_or_b32 exec_lo, exec_lo, s18
	v_mov_b32_e32 v2, v11
	v_cmp_ne_u16_sdwa s1, v11, v3 src0_sel:BYTE_0 src1_sel:DWORD
	v_mov_b32_e32 v52, 0
	v_mov_b32_e32 v53, 0
	s_and_saveexec_b32 s18, s1
	s_cbranch_execz .LBB285_661
; %bb.654:                              ;   in Loop: Header=BB285_554 Depth=1
	v_cmp_ne_u16_sdwa s1, v11, v16 src0_sel:BYTE_0 src1_sel:DWORD
	v_mov_b32_e32 v53, 0x8000
	s_and_saveexec_b32 s21, s1
	s_cbranch_execz .LBB285_660
; %bb.655:                              ;   in Loop: Header=BB285_554 Depth=1
	v_and_b32_e32 v55, 0x7f, v11
	v_mov_b32_e32 v53, 0x7c01
	s_mov_b32 s22, exec_lo
	v_cmpx_ne_u32_e32 0x7f, v55
	s_cbranch_execz .LBB285_659
; %bb.656:                              ;   in Loop: Header=BB285_554 Depth=1
	v_and_b32_e32 v53, 7, v11
	v_lshrrev_b32_e32 v54, 3, v55
	s_mov_b32 s24, exec_lo
	v_cmpx_gt_u32_e32 8, v55
; %bb.657:                              ;   in Loop: Header=BB285_554 Depth=1
	v_ffbh_u32_e32 v53, v53
	v_min_u32_e32 v55, 32, v53
	v_subrev_nc_u32_e32 v53, 28, v55
	v_lshlrev_b64 v[53:54], v53, v[2:3]
	v_sub_nc_u32_e32 v54, 29, v55
	v_and_b32_e32 v53, 7, v53
; %bb.658:                              ;   in Loop: Header=BB285_554 Depth=1
	s_or_b32 exec_lo, exec_lo, s24
	v_lshlrev_b32_e32 v55, 8, v11
	v_lshl_add_u32 v54, v54, 10, 0x2000
	v_lshlrev_b32_e32 v53, 7, v53
	v_and_b32_e32 v55, 0x8000, v55
	v_and_b32_e32 v54, 0xfc00, v54
	v_or3_b32 v53, v55, v54, v53
.LBB285_659:                            ;   in Loop: Header=BB285_554 Depth=1
	s_or_b32 exec_lo, exec_lo, s22
.LBB285_660:                            ;   in Loop: Header=BB285_554 Depth=1
	s_or_b32 exec_lo, exec_lo, s21
.LBB285_661:                            ;   in Loop: Header=BB285_554 Depth=1
	s_or_b32 exec_lo, exec_lo, s18
	v_lshrrev_b16 v2, 8, v2
	v_mov_b32_e32 v54, 0
	s_mov_b32 s18, exec_lo
	v_cmpx_ne_u16_e32 0, v2
	s_cbranch_execz .LBB285_669
; %bb.662:                              ;   in Loop: Header=BB285_554 Depth=1
	v_bfrev_b32_e32 v54, 1
	s_mov_b32 s21, exec_lo
	v_cmpx_ne_u16_e32 0x80, v2
	s_cbranch_execz .LBB285_668
; %bb.663:                              ;   in Loop: Header=BB285_554 Depth=1
	v_and_b32_sdwa v56, v2, v28 dst_sel:DWORD dst_unused:UNUSED_PAD src0_sel:WORD_0 src1_sel:DWORD
	v_mov_b32_e32 v54, 0x7c010000
	s_mov_b32 s22, exec_lo
	v_cmpx_ne_u32_e32 0x7f, v56
	s_cbranch_execz .LBB285_667
; %bb.664:                              ;   in Loop: Header=BB285_554 Depth=1
	v_and_b32_sdwa v54, v2, v29 dst_sel:DWORD dst_unused:UNUSED_PAD src0_sel:WORD_0 src1_sel:DWORD
	v_lshrrev_b32_e32 v55, 3, v56
	s_mov_b32 s24, exec_lo
	v_cmpx_gt_u32_e32 8, v56
; %bb.665:                              ;   in Loop: Header=BB285_554 Depth=1
	v_ffbh_u32_e32 v54, v54
	v_min_u32_e32 v56, 32, v54
	v_subrev_nc_u32_e32 v54, 28, v56
	v_lshlrev_b64 v[54:55], v54, v[2:3]
	v_sub_nc_u32_e32 v55, 29, v56
	v_and_b32_e32 v54, 7, v54
; %bb.666:                              ;   in Loop: Header=BB285_554 Depth=1
	s_or_b32 exec_lo, exec_lo, s24
	v_lshlrev_b32_sdwa v2, v30, v2 dst_sel:DWORD dst_unused:UNUSED_PAD src0_sel:DWORD src1_sel:WORD_0
	v_lshl_add_u32 v55, v55, 10, 0x2000
	v_lshlrev_b32_e32 v54, 23, v54
	v_and_or_b32 v2, 0x8000, v2, v55
	v_lshl_or_b32 v54, v2, 16, v54
.LBB285_667:                            ;   in Loop: Header=BB285_554 Depth=1
	s_or_b32 exec_lo, exec_lo, s22
.LBB285_668:                            ;   in Loop: Header=BB285_554 Depth=1
	s_or_b32 exec_lo, exec_lo, s21
.LBB285_669:                            ;   in Loop: Header=BB285_554 Depth=1
	s_or_b32 exec_lo, exec_lo, s18
	v_lshrrev_b32_e32 v2, 16, v11
	v_cmp_ne_u16_sdwa s1, v2, v3 src0_sel:BYTE_0 src1_sel:DWORD
	s_and_saveexec_b32 s18, s1
	s_cbranch_execz .LBB285_677
; %bb.670:                              ;   in Loop: Header=BB285_554 Depth=1
	v_cmp_ne_u16_sdwa s1, v2, v16 src0_sel:BYTE_0 src1_sel:DWORD
	v_mov_b32_e32 v52, 0x8000
	s_and_saveexec_b32 s21, s1
	s_cbranch_execz .LBB285_676
; %bb.671:                              ;   in Loop: Header=BB285_554 Depth=1
	v_bfe_u32 v56, v11, 16, 7
	v_mov_b32_e32 v52, 0x7c01
	s_mov_b32 s22, exec_lo
	v_cmpx_ne_u32_e32 0x7f, v56
	s_cbranch_execz .LBB285_675
; %bb.672:                              ;   in Loop: Header=BB285_554 Depth=1
	v_and_b32_e32 v52, 7, v2
	v_lshrrev_b32_e32 v55, 3, v56
	s_mov_b32 s24, exec_lo
	v_cmpx_gt_u32_e32 8, v56
; %bb.673:                              ;   in Loop: Header=BB285_554 Depth=1
	v_ffbh_u32_e32 v52, v52
	v_min_u32_e32 v52, 32, v52
	v_subrev_nc_u32_e32 v55, 28, v52
	v_lshlrev_b64 v[56:57], v55, v[2:3]
	v_sub_nc_u32_e32 v55, 29, v52
	v_and_b32_e32 v52, 7, v56
; %bb.674:                              ;   in Loop: Header=BB285_554 Depth=1
	s_or_b32 exec_lo, exec_lo, s24
	v_lshlrev_b32_e32 v2, 8, v2
	v_lshl_add_u32 v55, v55, 10, 0x2000
	v_lshlrev_b32_e32 v52, 7, v52
	v_and_b32_e32 v2, 0x8000, v2
	v_and_b32_e32 v55, 0xfc00, v55
	v_or3_b32 v52, v2, v55, v52
.LBB285_675:                            ;   in Loop: Header=BB285_554 Depth=1
	s_or_b32 exec_lo, exec_lo, s22
.LBB285_676:                            ;   in Loop: Header=BB285_554 Depth=1
	s_or_b32 exec_lo, exec_lo, s21
.LBB285_677:                            ;   in Loop: Header=BB285_554 Depth=1
	s_or_b32 exec_lo, exec_lo, s18
	v_cmp_lt_u64_e64 s1, s[4:5], v[10:11]
	v_mov_b32_e32 v10, 0
	s_and_saveexec_b32 s18, s1
	s_cbranch_execz .LBB285_685
; %bb.678:                              ;   in Loop: Header=BB285_554 Depth=1
	v_lshrrev_b32_e32 v2, 24, v11
	v_bfrev_b32_e32 v10, 1
	s_mov_b32 s21, exec_lo
	v_cmpx_ne_u32_e32 0x80, v2
	s_cbranch_execz .LBB285_684
; %bb.679:                              ;   in Loop: Header=BB285_554 Depth=1
	v_and_b32_e32 v55, 0x7f, v2
	v_mov_b32_e32 v10, 0x7c010000
	s_mov_b32 s22, exec_lo
	v_cmpx_ne_u32_e32 0x7f, v55
	s_cbranch_execz .LBB285_683
; %bb.680:                              ;   in Loop: Header=BB285_554 Depth=1
	v_and_b32_e32 v10, 7, v2
	v_lshrrev_b32_e32 v11, 3, v55
	s_mov_b32 s24, exec_lo
	v_cmpx_gt_u32_e32 8, v55
; %bb.681:                              ;   in Loop: Header=BB285_554 Depth=1
	v_ffbh_u32_e32 v10, v10
	v_min_u32_e32 v55, 32, v10
	v_subrev_nc_u32_e32 v10, 28, v55
	v_lshlrev_b64 v[10:11], v10, v[2:3]
	v_sub_nc_u32_e32 v11, 29, v55
	v_and_b32_e32 v10, 7, v10
; %bb.682:                              ;   in Loop: Header=BB285_554 Depth=1
	s_or_b32 exec_lo, exec_lo, s24
	v_lshlrev_b32_e32 v2, 8, v2
	v_lshl_add_u32 v11, v11, 10, 0x2000
	v_lshlrev_b32_e32 v10, 23, v10
	v_and_or_b32 v2, 0x8000, v2, v11
	v_lshl_or_b32 v10, v2, 16, v10
.LBB285_683:                            ;   in Loop: Header=BB285_554 Depth=1
	s_or_b32 exec_lo, exec_lo, s22
.LBB285_684:                            ;   in Loop: Header=BB285_554 Depth=1
	s_or_b32 exec_lo, exec_lo, s21
.LBB285_685:                            ;   in Loop: Header=BB285_554 Depth=1
	s_or_b32 exec_lo, exec_lo, s18
	v_or_b32_e32 v2, v50, v51
	s_waitcnt vmcnt(0)
	v_fma_mixlo_f16 v11, v47, v50, 0 op_sel:[0,1,0] op_sel_hi:[0,1,0]
	v_or_b32_e32 v50, v48, v49
	v_fma_mixlo_f16 v48, v47, v48, 0 op_sel:[0,1,0] op_sel_hi:[0,1,0]
	v_or_b32_e32 v51, v54, v53
	v_or_b32_e32 v52, v10, v52
	v_fma_mixlo_f16 v53, v47, v2, 0 op_sel_hi:[0,1,0]
	v_fma_mixlo_f16 v10, v47, v10, 0 op_sel:[0,1,0] op_sel_hi:[0,1,0]
	v_lshlrev_b32_e32 v49, 16, v48
	v_fma_mixlo_f16 v48, v47, v50, 0 op_sel_hi:[0,1,0]
	v_fma_mixlo_f16 v50, v47, v54, 0 op_sel:[0,1,0] op_sel_hi:[0,1,0]
	v_fma_mixlo_f16 v51, v47, v51, 0 op_sel_hi:[0,1,0]
	v_fma_mixlo_f16 v52, v47, v52, 0 op_sel_hi:[0,1,0]
	v_lshlrev_b32_e32 v2, 16, v11
	v_and_b32_e32 v11, 0xffff, v53
	v_and_b32_e32 v55, 0xffff, v48
	v_lshlrev_b32_e32 v47, 16, v50
	v_and_b32_e32 v51, 0xffff, v51
	v_lshlrev_b32_e32 v10, 16, v10
	v_and_b32_e32 v48, 0xffff, v52
	v_or_b32_e32 v50, v2, v11
	v_or_b32_e32 v54, v49, v55
	;; [unrolled: 1-line block ×4, first 2 shown]
	s_and_saveexec_b32 s18, vcc_lo
	s_cbranch_execz .LBB285_687
; %bb.686:                              ;   in Loop: Header=BB285_554 Depth=1
	v_cmp_gt_i32_e64 s1, s31, v33
	v_cndmask_b32_e64 v50, 0, v55, s1
	v_cmp_gt_i32_e64 s1, s31, v41
	v_cndmask_b32_e64 v49, 0, v49, s1
	v_cmp_gt_i32_e64 s1, s31, v39
	v_or_b32_e32 v54, v49, v50
	v_cndmask_b32_e64 v11, 0, v11, s1
	v_cmp_gt_i32_e64 s1, s31, v38
	v_cndmask_b32_e64 v2, 0, v2, s1
	v_cmp_gt_i32_e64 s1, s31, v37
	v_or_b32_e32 v50, v2, v11
	;; [unrolled: 5-line block ×3, first 2 shown]
	v_cndmask_b32_e64 v48, 0, v48, s1
	v_cmp_gt_i32_e64 s1, s31, v34
	v_cndmask_b32_e64 v10, 0, v10, s1
	v_or_b32_e32 v52, v10, v48
.LBB285_687:                            ;   in Loop: Header=BB285_554 Depth=1
	s_or_b32 exec_lo, exec_lo, s18
	;;#ASMSTART
	v_pk_mul_f16 v2, v46, v54;

	;;#ASMEND
	;;#ASMSTART
	v_pk_mul_f16 v10, v45, v50;

	;;#ASMEND
	;; [unrolled: 4-line block ×4, first 2 shown]
	;;#ASMSTART
	v_pk_add_f16 v2, v2, v10;

	;;#ASMEND
	;;#ASMSTART
	v_pk_add_f16 v2, v2, v11;

	;;#ASMEND
	;;#ASMSTART
	v_pk_add_f16 v2, v2, v47;

	;;#ASMEND
	v_and_b32_e32 v10, 0xffff, v2
	v_lshrrev_b32_e32 v2, 16, v2
	;;#ASMSTART
	v_cvt_f32_f16 v47, v10;
	;;#ASMEND
	;;#ASMSTART
	v_cvt_f32_f16 v48, v2;
	;;#ASMEND
	global_load_dwordx2 v[10:11], v[8:9], off offset:512
	v_mov_b32_e32 v50, 0
	v_mov_b32_e32 v51, 0
	global_load_dword v49, v50, s[14:15]
	s_waitcnt vmcnt(1)
	v_cmp_ne_u16_sdwa s1, v10, v3 src0_sel:BYTE_0 src1_sel:DWORD
	s_and_saveexec_b32 s18, s1
	s_cbranch_execz .LBB285_695
; %bb.688:                              ;   in Loop: Header=BB285_554 Depth=1
	v_cmp_ne_u16_sdwa s1, v10, v16 src0_sel:BYTE_0 src1_sel:DWORD
	v_mov_b32_e32 v51, 0x8000
	s_and_saveexec_b32 s21, s1
	s_cbranch_execz .LBB285_694
; %bb.689:                              ;   in Loop: Header=BB285_554 Depth=1
	v_and_b32_e32 v52, 0x7f, v10
	v_mov_b32_e32 v51, 0x7c01
	s_mov_b32 s22, exec_lo
	v_cmpx_ne_u32_e32 0x7f, v52
	s_cbranch_execz .LBB285_693
; %bb.690:                              ;   in Loop: Header=BB285_554 Depth=1
	v_and_b32_e32 v2, 7, v10
	v_lshrrev_b32_e32 v51, 3, v52
	s_mov_b32 s24, exec_lo
	v_cmpx_gt_u32_e32 8, v52
; %bb.691:                              ;   in Loop: Header=BB285_554 Depth=1
	v_ffbh_u32_e32 v2, v2
	v_min_u32_e32 v2, 32, v2
	v_subrev_nc_u32_e32 v51, 28, v2
	v_lshlrev_b64 v[52:53], v51, v[10:11]
	v_sub_nc_u32_e32 v51, 29, v2
	v_and_b32_e32 v2, 7, v52
; %bb.692:                              ;   in Loop: Header=BB285_554 Depth=1
	s_or_b32 exec_lo, exec_lo, s24
	v_lshlrev_b32_e32 v52, 8, v10
	v_lshl_add_u32 v51, v51, 10, 0x2000
	v_lshlrev_b32_e32 v2, 7, v2
	v_and_b32_e32 v52, 0x8000, v52
	v_and_b32_e32 v51, 0xfc00, v51
	v_or3_b32 v51, v52, v51, v2
.LBB285_693:                            ;   in Loop: Header=BB285_554 Depth=1
	s_or_b32 exec_lo, exec_lo, s22
.LBB285_694:                            ;   in Loop: Header=BB285_554 Depth=1
	s_or_b32 exec_lo, exec_lo, s21
.LBB285_695:                            ;   in Loop: Header=BB285_554 Depth=1
	s_or_b32 exec_lo, exec_lo, s18
	v_lshrrev_b16 v2, 8, v10
	s_mov_b32 s18, exec_lo
	v_cmpx_ne_u16_e32 0, v2
	s_cbranch_execz .LBB285_703
; %bb.696:                              ;   in Loop: Header=BB285_554 Depth=1
	v_bfrev_b32_e32 v50, 1
	s_mov_b32 s21, exec_lo
	v_cmpx_ne_u16_e32 0x80, v2
	s_cbranch_execz .LBB285_702
; %bb.697:                              ;   in Loop: Header=BB285_554 Depth=1
	v_and_b32_sdwa v53, v2, v28 dst_sel:DWORD dst_unused:UNUSED_PAD src0_sel:WORD_0 src1_sel:DWORD
	v_mov_b32_e32 v50, 0x7c010000
	s_mov_b32 s22, exec_lo
	v_cmpx_ne_u32_e32 0x7f, v53
	s_cbranch_execz .LBB285_701
; %bb.698:                              ;   in Loop: Header=BB285_554 Depth=1
	v_and_b32_sdwa v50, v2, v29 dst_sel:DWORD dst_unused:UNUSED_PAD src0_sel:WORD_0 src1_sel:DWORD
	v_lshrrev_b32_e32 v52, 3, v53
	s_mov_b32 s24, exec_lo
	v_cmpx_gt_u32_e32 8, v53
; %bb.699:                              ;   in Loop: Header=BB285_554 Depth=1
	v_ffbh_u32_e32 v50, v50
	v_min_u32_e32 v50, 32, v50
	v_subrev_nc_u32_e32 v52, 28, v50
	v_lshlrev_b64 v[53:54], v52, v[2:3]
	v_sub_nc_u32_e32 v52, 29, v50
	v_and_b32_e32 v50, 7, v53
; %bb.700:                              ;   in Loop: Header=BB285_554 Depth=1
	s_or_b32 exec_lo, exec_lo, s24
	v_lshlrev_b32_sdwa v2, v30, v2 dst_sel:DWORD dst_unused:UNUSED_PAD src0_sel:DWORD src1_sel:WORD_0
	v_lshl_add_u32 v52, v52, 10, 0x2000
	v_lshlrev_b32_e32 v50, 23, v50
	v_and_or_b32 v2, 0x8000, v2, v52
	v_lshl_or_b32 v50, v2, 16, v50
.LBB285_701:                            ;   in Loop: Header=BB285_554 Depth=1
	s_or_b32 exec_lo, exec_lo, s22
.LBB285_702:                            ;   in Loop: Header=BB285_554 Depth=1
	s_or_b32 exec_lo, exec_lo, s21
.LBB285_703:                            ;   in Loop: Header=BB285_554 Depth=1
	s_or_b32 exec_lo, exec_lo, s18
	v_lshrrev_b32_e32 v2, 16, v10
	v_mov_b32_e32 v52, 0
	v_mov_b32_e32 v53, 0
	v_cmp_ne_u16_sdwa s1, v2, v3 src0_sel:BYTE_0 src1_sel:DWORD
	s_and_saveexec_b32 s18, s1
	s_cbranch_execz .LBB285_711
; %bb.704:                              ;   in Loop: Header=BB285_554 Depth=1
	v_cmp_ne_u16_sdwa s1, v2, v16 src0_sel:BYTE_0 src1_sel:DWORD
	v_mov_b32_e32 v53, 0x8000
	s_and_saveexec_b32 s21, s1
	s_cbranch_execz .LBB285_710
; %bb.705:                              ;   in Loop: Header=BB285_554 Depth=1
	v_bfe_u32 v55, v10, 16, 7
	v_mov_b32_e32 v53, 0x7c01
	s_mov_b32 s22, exec_lo
	v_cmpx_ne_u32_e32 0x7f, v55
	s_cbranch_execz .LBB285_709
; %bb.706:                              ;   in Loop: Header=BB285_554 Depth=1
	v_and_b32_e32 v53, 7, v2
	v_lshrrev_b32_e32 v54, 3, v55
	s_mov_b32 s24, exec_lo
	v_cmpx_gt_u32_e32 8, v55
; %bb.707:                              ;   in Loop: Header=BB285_554 Depth=1
	v_ffbh_u32_e32 v53, v53
	v_min_u32_e32 v55, 32, v53
	v_subrev_nc_u32_e32 v53, 28, v55
	v_lshlrev_b64 v[53:54], v53, v[2:3]
	v_sub_nc_u32_e32 v54, 29, v55
	v_and_b32_e32 v53, 7, v53
; %bb.708:                              ;   in Loop: Header=BB285_554 Depth=1
	s_or_b32 exec_lo, exec_lo, s24
	v_lshlrev_b32_e32 v2, 8, v2
	v_lshl_add_u32 v54, v54, 10, 0x2000
	v_lshlrev_b32_e32 v53, 7, v53
	v_and_b32_e32 v2, 0x8000, v2
	v_and_b32_e32 v54, 0xfc00, v54
	v_or3_b32 v53, v2, v54, v53
.LBB285_709:                            ;   in Loop: Header=BB285_554 Depth=1
	s_or_b32 exec_lo, exec_lo, s22
.LBB285_710:                            ;   in Loop: Header=BB285_554 Depth=1
	s_or_b32 exec_lo, exec_lo, s21
.LBB285_711:                            ;   in Loop: Header=BB285_554 Depth=1
	s_or_b32 exec_lo, exec_lo, s18
	s_mov_b32 s18, exec_lo
	v_cmpx_lt_u32_e32 0xffffff, v10
	s_cbranch_execz .LBB285_719
; %bb.712:                              ;   in Loop: Header=BB285_554 Depth=1
	v_lshrrev_b32_e32 v2, 24, v10
	v_bfrev_b32_e32 v52, 1
	s_mov_b32 s21, exec_lo
	v_cmpx_ne_u32_e32 0x80, v2
	s_cbranch_execz .LBB285_718
; %bb.713:                              ;   in Loop: Header=BB285_554 Depth=1
	v_and_b32_e32 v55, 0x7f, v2
	v_mov_b32_e32 v52, 0x7c010000
	s_mov_b32 s22, exec_lo
	v_cmpx_ne_u32_e32 0x7f, v55
	s_cbranch_execz .LBB285_717
; %bb.714:                              ;   in Loop: Header=BB285_554 Depth=1
	v_and_b32_e32 v52, 7, v2
	v_lshrrev_b32_e32 v54, 3, v55
	s_mov_b32 s24, exec_lo
	v_cmpx_gt_u32_e32 8, v55
; %bb.715:                              ;   in Loop: Header=BB285_554 Depth=1
	v_ffbh_u32_e32 v52, v52
	v_min_u32_e32 v52, 32, v52
	v_subrev_nc_u32_e32 v54, 28, v52
	v_lshlrev_b64 v[55:56], v54, v[2:3]
	v_sub_nc_u32_e32 v54, 29, v52
	v_and_b32_e32 v52, 7, v55
; %bb.716:                              ;   in Loop: Header=BB285_554 Depth=1
	s_or_b32 exec_lo, exec_lo, s24
	v_lshlrev_b32_e32 v2, 8, v2
	v_lshl_add_u32 v54, v54, 10, 0x2000
	v_lshlrev_b32_e32 v52, 23, v52
	v_and_or_b32 v2, 0x8000, v2, v54
	v_lshl_or_b32 v52, v2, 16, v52
.LBB285_717:                            ;   in Loop: Header=BB285_554 Depth=1
	s_or_b32 exec_lo, exec_lo, s22
.LBB285_718:                            ;   in Loop: Header=BB285_554 Depth=1
	s_or_b32 exec_lo, exec_lo, s21
.LBB285_719:                            ;   in Loop: Header=BB285_554 Depth=1
	s_or_b32 exec_lo, exec_lo, s18
	v_mov_b32_e32 v2, v11
	v_cmp_ne_u16_sdwa s1, v11, v3 src0_sel:BYTE_0 src1_sel:DWORD
	v_mov_b32_e32 v54, 0
	v_mov_b32_e32 v55, 0
	s_and_saveexec_b32 s18, s1
	s_cbranch_execz .LBB285_727
; %bb.720:                              ;   in Loop: Header=BB285_554 Depth=1
	v_cmp_ne_u16_sdwa s1, v11, v16 src0_sel:BYTE_0 src1_sel:DWORD
	v_mov_b32_e32 v55, 0x8000
	s_and_saveexec_b32 s21, s1
	s_cbranch_execz .LBB285_726
; %bb.721:                              ;   in Loop: Header=BB285_554 Depth=1
	v_and_b32_e32 v57, 0x7f, v11
	v_mov_b32_e32 v55, 0x7c01
	s_mov_b32 s22, exec_lo
	v_cmpx_ne_u32_e32 0x7f, v57
	s_cbranch_execz .LBB285_725
; %bb.722:                              ;   in Loop: Header=BB285_554 Depth=1
	v_and_b32_e32 v55, 7, v11
	v_lshrrev_b32_e32 v56, 3, v57
	s_mov_b32 s24, exec_lo
	v_cmpx_gt_u32_e32 8, v57
; %bb.723:                              ;   in Loop: Header=BB285_554 Depth=1
	v_ffbh_u32_e32 v55, v55
	v_min_u32_e32 v57, 32, v55
	v_subrev_nc_u32_e32 v55, 28, v57
	v_lshlrev_b64 v[55:56], v55, v[2:3]
	v_sub_nc_u32_e32 v56, 29, v57
	v_and_b32_e32 v55, 7, v55
; %bb.724:                              ;   in Loop: Header=BB285_554 Depth=1
	s_or_b32 exec_lo, exec_lo, s24
	v_lshlrev_b32_e32 v57, 8, v11
	v_lshl_add_u32 v56, v56, 10, 0x2000
	v_lshlrev_b32_e32 v55, 7, v55
	v_and_b32_e32 v57, 0x8000, v57
	v_and_b32_e32 v56, 0xfc00, v56
	v_or3_b32 v55, v57, v56, v55
.LBB285_725:                            ;   in Loop: Header=BB285_554 Depth=1
	s_or_b32 exec_lo, exec_lo, s22
.LBB285_726:                            ;   in Loop: Header=BB285_554 Depth=1
	s_or_b32 exec_lo, exec_lo, s21
.LBB285_727:                            ;   in Loop: Header=BB285_554 Depth=1
	s_or_b32 exec_lo, exec_lo, s18
	v_lshrrev_b16 v2, 8, v2
	v_mov_b32_e32 v56, 0
	s_mov_b32 s18, exec_lo
	v_cmpx_ne_u16_e32 0, v2
	s_cbranch_execz .LBB285_735
; %bb.728:                              ;   in Loop: Header=BB285_554 Depth=1
	v_bfrev_b32_e32 v56, 1
	s_mov_b32 s21, exec_lo
	v_cmpx_ne_u16_e32 0x80, v2
	s_cbranch_execz .LBB285_734
; %bb.729:                              ;   in Loop: Header=BB285_554 Depth=1
	v_and_b32_sdwa v58, v2, v28 dst_sel:DWORD dst_unused:UNUSED_PAD src0_sel:WORD_0 src1_sel:DWORD
	v_mov_b32_e32 v56, 0x7c010000
	s_mov_b32 s22, exec_lo
	v_cmpx_ne_u32_e32 0x7f, v58
	s_cbranch_execz .LBB285_733
; %bb.730:                              ;   in Loop: Header=BB285_554 Depth=1
	v_and_b32_sdwa v56, v2, v29 dst_sel:DWORD dst_unused:UNUSED_PAD src0_sel:WORD_0 src1_sel:DWORD
	v_lshrrev_b32_e32 v57, 3, v58
	s_mov_b32 s24, exec_lo
	v_cmpx_gt_u32_e32 8, v58
; %bb.731:                              ;   in Loop: Header=BB285_554 Depth=1
	v_ffbh_u32_e32 v56, v56
	v_min_u32_e32 v58, 32, v56
	v_subrev_nc_u32_e32 v56, 28, v58
	v_lshlrev_b64 v[56:57], v56, v[2:3]
	v_sub_nc_u32_e32 v57, 29, v58
	v_and_b32_e32 v56, 7, v56
; %bb.732:                              ;   in Loop: Header=BB285_554 Depth=1
	s_or_b32 exec_lo, exec_lo, s24
	v_lshlrev_b32_sdwa v2, v30, v2 dst_sel:DWORD dst_unused:UNUSED_PAD src0_sel:DWORD src1_sel:WORD_0
	v_lshl_add_u32 v57, v57, 10, 0x2000
	v_lshlrev_b32_e32 v56, 23, v56
	v_and_or_b32 v2, 0x8000, v2, v57
	v_lshl_or_b32 v56, v2, 16, v56
.LBB285_733:                            ;   in Loop: Header=BB285_554 Depth=1
	s_or_b32 exec_lo, exec_lo, s22
.LBB285_734:                            ;   in Loop: Header=BB285_554 Depth=1
	s_or_b32 exec_lo, exec_lo, s21
.LBB285_735:                            ;   in Loop: Header=BB285_554 Depth=1
	s_or_b32 exec_lo, exec_lo, s18
	v_lshrrev_b32_e32 v2, 16, v11
	v_cmp_ne_u16_sdwa s1, v2, v3 src0_sel:BYTE_0 src1_sel:DWORD
	s_and_saveexec_b32 s18, s1
	s_cbranch_execz .LBB285_743
; %bb.736:                              ;   in Loop: Header=BB285_554 Depth=1
	v_cmp_ne_u16_sdwa s1, v2, v16 src0_sel:BYTE_0 src1_sel:DWORD
	v_mov_b32_e32 v54, 0x8000
	s_and_saveexec_b32 s21, s1
	s_cbranch_execz .LBB285_742
; %bb.737:                              ;   in Loop: Header=BB285_554 Depth=1
	v_bfe_u32 v58, v11, 16, 7
	v_mov_b32_e32 v54, 0x7c01
	s_mov_b32 s22, exec_lo
	v_cmpx_ne_u32_e32 0x7f, v58
	s_cbranch_execz .LBB285_741
; %bb.738:                              ;   in Loop: Header=BB285_554 Depth=1
	v_and_b32_e32 v54, 7, v2
	v_lshrrev_b32_e32 v57, 3, v58
	s_mov_b32 s24, exec_lo
	v_cmpx_gt_u32_e32 8, v58
; %bb.739:                              ;   in Loop: Header=BB285_554 Depth=1
	v_ffbh_u32_e32 v54, v54
	v_min_u32_e32 v54, 32, v54
	v_subrev_nc_u32_e32 v57, 28, v54
	v_lshlrev_b64 v[58:59], v57, v[2:3]
	v_sub_nc_u32_e32 v57, 29, v54
	v_and_b32_e32 v54, 7, v58
; %bb.740:                              ;   in Loop: Header=BB285_554 Depth=1
	s_or_b32 exec_lo, exec_lo, s24
	v_lshlrev_b32_e32 v2, 8, v2
	v_lshl_add_u32 v57, v57, 10, 0x2000
	v_lshlrev_b32_e32 v54, 7, v54
	v_and_b32_e32 v2, 0x8000, v2
	v_and_b32_e32 v57, 0xfc00, v57
	v_or3_b32 v54, v2, v57, v54
.LBB285_741:                            ;   in Loop: Header=BB285_554 Depth=1
	s_or_b32 exec_lo, exec_lo, s22
.LBB285_742:                            ;   in Loop: Header=BB285_554 Depth=1
	s_or_b32 exec_lo, exec_lo, s21
.LBB285_743:                            ;   in Loop: Header=BB285_554 Depth=1
	s_or_b32 exec_lo, exec_lo, s18
	v_cmp_lt_u64_e64 s1, s[4:5], v[10:11]
	v_mov_b32_e32 v10, 0
	s_and_saveexec_b32 s18, s1
	s_cbranch_execz .LBB285_751
; %bb.744:                              ;   in Loop: Header=BB285_554 Depth=1
	v_lshrrev_b32_e32 v2, 24, v11
	v_bfrev_b32_e32 v10, 1
	s_mov_b32 s21, exec_lo
	v_cmpx_ne_u32_e32 0x80, v2
	s_cbranch_execz .LBB285_750
; %bb.745:                              ;   in Loop: Header=BB285_554 Depth=1
	v_and_b32_e32 v57, 0x7f, v2
	v_mov_b32_e32 v10, 0x7c010000
	s_mov_b32 s22, exec_lo
	v_cmpx_ne_u32_e32 0x7f, v57
	s_cbranch_execz .LBB285_749
; %bb.746:                              ;   in Loop: Header=BB285_554 Depth=1
	v_and_b32_e32 v10, 7, v2
	v_lshrrev_b32_e32 v11, 3, v57
	s_mov_b32 s24, exec_lo
	v_cmpx_gt_u32_e32 8, v57
; %bb.747:                              ;   in Loop: Header=BB285_554 Depth=1
	v_ffbh_u32_e32 v10, v10
	v_min_u32_e32 v57, 32, v10
	v_subrev_nc_u32_e32 v10, 28, v57
	v_lshlrev_b64 v[10:11], v10, v[2:3]
	v_sub_nc_u32_e32 v11, 29, v57
	v_and_b32_e32 v10, 7, v10
; %bb.748:                              ;   in Loop: Header=BB285_554 Depth=1
	s_or_b32 exec_lo, exec_lo, s24
	v_lshlrev_b32_e32 v2, 8, v2
	v_lshl_add_u32 v11, v11, 10, 0x2000
	v_lshlrev_b32_e32 v10, 23, v10
	v_and_or_b32 v2, 0x8000, v2, v11
	v_lshl_or_b32 v10, v2, 16, v10
.LBB285_749:                            ;   in Loop: Header=BB285_554 Depth=1
	s_or_b32 exec_lo, exec_lo, s22
.LBB285_750:                            ;   in Loop: Header=BB285_554 Depth=1
	s_or_b32 exec_lo, exec_lo, s21
.LBB285_751:                            ;   in Loop: Header=BB285_554 Depth=1
	s_or_b32 exec_lo, exec_lo, s18
	v_or_b32_e32 v2, v52, v53
	s_waitcnt vmcnt(0)
	v_fma_mixlo_f16 v11, v49, v52, 0 op_sel:[0,1,0] op_sel_hi:[0,1,0]
	v_or_b32_e32 v52, v50, v51
	v_fma_mixlo_f16 v50, v49, v50, 0 op_sel:[0,1,0] op_sel_hi:[0,1,0]
	v_or_b32_e32 v53, v56, v55
	v_or_b32_e32 v54, v10, v54
	v_fma_mixlo_f16 v55, v49, v2, 0 op_sel_hi:[0,1,0]
	v_fma_mixlo_f16 v10, v49, v10, 0 op_sel:[0,1,0] op_sel_hi:[0,1,0]
	v_lshlrev_b32_e32 v51, 16, v50
	v_fma_mixlo_f16 v50, v49, v52, 0 op_sel_hi:[0,1,0]
	v_fma_mixlo_f16 v52, v49, v56, 0 op_sel:[0,1,0] op_sel_hi:[0,1,0]
	v_fma_mixlo_f16 v53, v49, v53, 0 op_sel_hi:[0,1,0]
	v_fma_mixlo_f16 v54, v49, v54, 0 op_sel_hi:[0,1,0]
	v_lshlrev_b32_e32 v2, 16, v11
	v_and_b32_e32 v11, 0xffff, v55
	v_and_b32_e32 v57, 0xffff, v50
	v_lshlrev_b32_e32 v49, 16, v52
	v_and_b32_e32 v53, 0xffff, v53
	v_lshlrev_b32_e32 v10, 16, v10
	v_and_b32_e32 v50, 0xffff, v54
	v_or_b32_e32 v52, v2, v11
	v_or_b32_e32 v56, v51, v57
	;; [unrolled: 1-line block ×4, first 2 shown]
	s_and_saveexec_b32 s18, vcc_lo
	s_cbranch_execz .LBB285_753
; %bb.752:                              ;   in Loop: Header=BB285_554 Depth=1
	v_cmp_gt_i32_e64 s1, s31, v33
	v_cndmask_b32_e64 v52, 0, v57, s1
	v_cmp_gt_i32_e64 s1, s31, v41
	v_cndmask_b32_e64 v51, 0, v51, s1
	v_cmp_gt_i32_e64 s1, s31, v39
	v_or_b32_e32 v56, v51, v52
	v_cndmask_b32_e64 v11, 0, v11, s1
	v_cmp_gt_i32_e64 s1, s31, v38
	v_cndmask_b32_e64 v2, 0, v2, s1
	v_cmp_gt_i32_e64 s1, s31, v37
	v_or_b32_e32 v52, v2, v11
	;; [unrolled: 5-line block ×3, first 2 shown]
	v_cndmask_b32_e64 v50, 0, v50, s1
	v_cmp_gt_i32_e64 s1, s31, v34
	v_cndmask_b32_e64 v10, 0, v10, s1
	v_or_b32_e32 v54, v10, v50
.LBB285_753:                            ;   in Loop: Header=BB285_554 Depth=1
	s_or_b32 exec_lo, exec_lo, s18
	;;#ASMSTART
	v_pk_mul_f16 v2, v46, v56;

	;;#ASMEND
	;;#ASMSTART
	v_pk_mul_f16 v10, v45, v52;

	;;#ASMEND
	;; [unrolled: 4-line block ×4, first 2 shown]
	;;#ASMSTART
	v_pk_add_f16 v2, v2, v10;

	;;#ASMEND
	;;#ASMSTART
	v_pk_add_f16 v2, v2, v11;

	;;#ASMEND
	;; [unrolled: 4-line block ×3, first 2 shown]
	v_and_b32_e32 v10, 0xffff, v2
	v_lshrrev_b32_e32 v2, 16, v2
	;;#ASMSTART
	v_cvt_f32_f16 v49, v10;
	;;#ASMEND
	;;#ASMSTART
	v_cvt_f32_f16 v50, v2;
	;;#ASMEND
	global_load_dwordx2 v[10:11], v[8:9], off offset:768
	v_mov_b32_e32 v52, 0
	v_mov_b32_e32 v53, 0
	global_load_dword v51, v52, s[14:15]
	s_waitcnt vmcnt(1)
	v_cmp_ne_u16_sdwa s1, v10, v3 src0_sel:BYTE_0 src1_sel:DWORD
	s_and_saveexec_b32 s18, s1
	s_cbranch_execz .LBB285_761
; %bb.754:                              ;   in Loop: Header=BB285_554 Depth=1
	v_cmp_ne_u16_sdwa s1, v10, v16 src0_sel:BYTE_0 src1_sel:DWORD
	v_mov_b32_e32 v53, 0x8000
	s_and_saveexec_b32 s21, s1
	s_cbranch_execz .LBB285_760
; %bb.755:                              ;   in Loop: Header=BB285_554 Depth=1
	v_and_b32_e32 v54, 0x7f, v10
	v_mov_b32_e32 v53, 0x7c01
	s_mov_b32 s22, exec_lo
	v_cmpx_ne_u32_e32 0x7f, v54
	s_cbranch_execz .LBB285_759
; %bb.756:                              ;   in Loop: Header=BB285_554 Depth=1
	v_and_b32_e32 v2, 7, v10
	v_lshrrev_b32_e32 v53, 3, v54
	s_mov_b32 s24, exec_lo
	v_cmpx_gt_u32_e32 8, v54
; %bb.757:                              ;   in Loop: Header=BB285_554 Depth=1
	v_ffbh_u32_e32 v2, v2
	v_min_u32_e32 v2, 32, v2
	v_subrev_nc_u32_e32 v53, 28, v2
	v_lshlrev_b64 v[54:55], v53, v[10:11]
	v_sub_nc_u32_e32 v53, 29, v2
	v_and_b32_e32 v2, 7, v54
; %bb.758:                              ;   in Loop: Header=BB285_554 Depth=1
	s_or_b32 exec_lo, exec_lo, s24
	v_lshlrev_b32_e32 v54, 8, v10
	v_lshl_add_u32 v53, v53, 10, 0x2000
	v_lshlrev_b32_e32 v2, 7, v2
	v_and_b32_e32 v54, 0x8000, v54
	v_and_b32_e32 v53, 0xfc00, v53
	v_or3_b32 v53, v54, v53, v2
.LBB285_759:                            ;   in Loop: Header=BB285_554 Depth=1
	s_or_b32 exec_lo, exec_lo, s22
.LBB285_760:                            ;   in Loop: Header=BB285_554 Depth=1
	s_or_b32 exec_lo, exec_lo, s21
.LBB285_761:                            ;   in Loop: Header=BB285_554 Depth=1
	s_or_b32 exec_lo, exec_lo, s18
	v_lshrrev_b16 v2, 8, v10
	s_mov_b32 s18, exec_lo
	v_cmpx_ne_u16_e32 0, v2
	s_cbranch_execz .LBB285_769
; %bb.762:                              ;   in Loop: Header=BB285_554 Depth=1
	v_bfrev_b32_e32 v52, 1
	s_mov_b32 s21, exec_lo
	v_cmpx_ne_u16_e32 0x80, v2
	s_cbranch_execz .LBB285_768
; %bb.763:                              ;   in Loop: Header=BB285_554 Depth=1
	v_and_b32_sdwa v55, v2, v28 dst_sel:DWORD dst_unused:UNUSED_PAD src0_sel:WORD_0 src1_sel:DWORD
	v_mov_b32_e32 v52, 0x7c010000
	s_mov_b32 s22, exec_lo
	v_cmpx_ne_u32_e32 0x7f, v55
	s_cbranch_execz .LBB285_767
; %bb.764:                              ;   in Loop: Header=BB285_554 Depth=1
	v_and_b32_sdwa v52, v2, v29 dst_sel:DWORD dst_unused:UNUSED_PAD src0_sel:WORD_0 src1_sel:DWORD
	v_lshrrev_b32_e32 v54, 3, v55
	s_mov_b32 s24, exec_lo
	v_cmpx_gt_u32_e32 8, v55
; %bb.765:                              ;   in Loop: Header=BB285_554 Depth=1
	v_ffbh_u32_e32 v52, v52
	v_min_u32_e32 v52, 32, v52
	v_subrev_nc_u32_e32 v54, 28, v52
	v_lshlrev_b64 v[55:56], v54, v[2:3]
	v_sub_nc_u32_e32 v54, 29, v52
	v_and_b32_e32 v52, 7, v55
; %bb.766:                              ;   in Loop: Header=BB285_554 Depth=1
	s_or_b32 exec_lo, exec_lo, s24
	v_lshlrev_b32_sdwa v2, v30, v2 dst_sel:DWORD dst_unused:UNUSED_PAD src0_sel:DWORD src1_sel:WORD_0
	v_lshl_add_u32 v54, v54, 10, 0x2000
	v_lshlrev_b32_e32 v52, 23, v52
	v_and_or_b32 v2, 0x8000, v2, v54
	v_lshl_or_b32 v52, v2, 16, v52
.LBB285_767:                            ;   in Loop: Header=BB285_554 Depth=1
	s_or_b32 exec_lo, exec_lo, s22
.LBB285_768:                            ;   in Loop: Header=BB285_554 Depth=1
	s_or_b32 exec_lo, exec_lo, s21
.LBB285_769:                            ;   in Loop: Header=BB285_554 Depth=1
	s_or_b32 exec_lo, exec_lo, s18
	v_lshrrev_b32_e32 v2, 16, v10
	v_mov_b32_e32 v54, 0
	v_mov_b32_e32 v55, 0
	v_cmp_ne_u16_sdwa s1, v2, v3 src0_sel:BYTE_0 src1_sel:DWORD
	s_and_saveexec_b32 s18, s1
	s_cbranch_execz .LBB285_777
; %bb.770:                              ;   in Loop: Header=BB285_554 Depth=1
	v_cmp_ne_u16_sdwa s1, v2, v16 src0_sel:BYTE_0 src1_sel:DWORD
	v_mov_b32_e32 v55, 0x8000
	s_and_saveexec_b32 s21, s1
	s_cbranch_execz .LBB285_776
; %bb.771:                              ;   in Loop: Header=BB285_554 Depth=1
	v_bfe_u32 v57, v10, 16, 7
	v_mov_b32_e32 v55, 0x7c01
	s_mov_b32 s22, exec_lo
	v_cmpx_ne_u32_e32 0x7f, v57
	s_cbranch_execz .LBB285_775
; %bb.772:                              ;   in Loop: Header=BB285_554 Depth=1
	v_and_b32_e32 v55, 7, v2
	v_lshrrev_b32_e32 v56, 3, v57
	s_mov_b32 s24, exec_lo
	v_cmpx_gt_u32_e32 8, v57
; %bb.773:                              ;   in Loop: Header=BB285_554 Depth=1
	v_ffbh_u32_e32 v55, v55
	v_min_u32_e32 v57, 32, v55
	v_subrev_nc_u32_e32 v55, 28, v57
	v_lshlrev_b64 v[55:56], v55, v[2:3]
	v_sub_nc_u32_e32 v56, 29, v57
	v_and_b32_e32 v55, 7, v55
; %bb.774:                              ;   in Loop: Header=BB285_554 Depth=1
	s_or_b32 exec_lo, exec_lo, s24
	v_lshlrev_b32_e32 v2, 8, v2
	v_lshl_add_u32 v56, v56, 10, 0x2000
	v_lshlrev_b32_e32 v55, 7, v55
	v_and_b32_e32 v2, 0x8000, v2
	v_and_b32_e32 v56, 0xfc00, v56
	v_or3_b32 v55, v2, v56, v55
.LBB285_775:                            ;   in Loop: Header=BB285_554 Depth=1
	s_or_b32 exec_lo, exec_lo, s22
.LBB285_776:                            ;   in Loop: Header=BB285_554 Depth=1
	s_or_b32 exec_lo, exec_lo, s21
.LBB285_777:                            ;   in Loop: Header=BB285_554 Depth=1
	s_or_b32 exec_lo, exec_lo, s18
	s_mov_b32 s18, exec_lo
	v_cmpx_lt_u32_e32 0xffffff, v10
	s_cbranch_execz .LBB285_785
; %bb.778:                              ;   in Loop: Header=BB285_554 Depth=1
	v_lshrrev_b32_e32 v2, 24, v10
	v_bfrev_b32_e32 v54, 1
	s_mov_b32 s21, exec_lo
	v_cmpx_ne_u32_e32 0x80, v2
	s_cbranch_execz .LBB285_784
; %bb.779:                              ;   in Loop: Header=BB285_554 Depth=1
	v_and_b32_e32 v57, 0x7f, v2
	v_mov_b32_e32 v54, 0x7c010000
	s_mov_b32 s22, exec_lo
	v_cmpx_ne_u32_e32 0x7f, v57
	s_cbranch_execz .LBB285_783
; %bb.780:                              ;   in Loop: Header=BB285_554 Depth=1
	v_and_b32_e32 v54, 7, v2
	v_lshrrev_b32_e32 v56, 3, v57
	s_mov_b32 s24, exec_lo
	v_cmpx_gt_u32_e32 8, v57
; %bb.781:                              ;   in Loop: Header=BB285_554 Depth=1
	v_ffbh_u32_e32 v54, v54
	v_min_u32_e32 v54, 32, v54
	v_subrev_nc_u32_e32 v56, 28, v54
	v_lshlrev_b64 v[57:58], v56, v[2:3]
	v_sub_nc_u32_e32 v56, 29, v54
	v_and_b32_e32 v54, 7, v57
; %bb.782:                              ;   in Loop: Header=BB285_554 Depth=1
	s_or_b32 exec_lo, exec_lo, s24
	v_lshlrev_b32_e32 v2, 8, v2
	v_lshl_add_u32 v56, v56, 10, 0x2000
	v_lshlrev_b32_e32 v54, 23, v54
	v_and_or_b32 v2, 0x8000, v2, v56
	v_lshl_or_b32 v54, v2, 16, v54
.LBB285_783:                            ;   in Loop: Header=BB285_554 Depth=1
	s_or_b32 exec_lo, exec_lo, s22
.LBB285_784:                            ;   in Loop: Header=BB285_554 Depth=1
	s_or_b32 exec_lo, exec_lo, s21
.LBB285_785:                            ;   in Loop: Header=BB285_554 Depth=1
	s_or_b32 exec_lo, exec_lo, s18
	v_mov_b32_e32 v2, v11
	v_cmp_ne_u16_sdwa s1, v11, v3 src0_sel:BYTE_0 src1_sel:DWORD
	v_mov_b32_e32 v56, 0
	v_mov_b32_e32 v57, 0
	s_and_saveexec_b32 s18, s1
	s_cbranch_execz .LBB285_793
; %bb.786:                              ;   in Loop: Header=BB285_554 Depth=1
	v_cmp_ne_u16_sdwa s1, v11, v16 src0_sel:BYTE_0 src1_sel:DWORD
	v_mov_b32_e32 v57, 0x8000
	s_and_saveexec_b32 s21, s1
	s_cbranch_execz .LBB285_792
; %bb.787:                              ;   in Loop: Header=BB285_554 Depth=1
	v_and_b32_e32 v59, 0x7f, v11
	v_mov_b32_e32 v57, 0x7c01
	s_mov_b32 s22, exec_lo
	v_cmpx_ne_u32_e32 0x7f, v59
	s_cbranch_execz .LBB285_791
; %bb.788:                              ;   in Loop: Header=BB285_554 Depth=1
	v_and_b32_e32 v57, 7, v11
	v_lshrrev_b32_e32 v58, 3, v59
	s_mov_b32 s24, exec_lo
	v_cmpx_gt_u32_e32 8, v59
; %bb.789:                              ;   in Loop: Header=BB285_554 Depth=1
	v_ffbh_u32_e32 v57, v57
	v_min_u32_e32 v59, 32, v57
	v_subrev_nc_u32_e32 v57, 28, v59
	v_lshlrev_b64 v[57:58], v57, v[2:3]
	v_sub_nc_u32_e32 v58, 29, v59
	v_and_b32_e32 v57, 7, v57
; %bb.790:                              ;   in Loop: Header=BB285_554 Depth=1
	s_or_b32 exec_lo, exec_lo, s24
	v_lshlrev_b32_e32 v59, 8, v11
	v_lshl_add_u32 v58, v58, 10, 0x2000
	v_lshlrev_b32_e32 v57, 7, v57
	v_and_b32_e32 v59, 0x8000, v59
	v_and_b32_e32 v58, 0xfc00, v58
	v_or3_b32 v57, v59, v58, v57
.LBB285_791:                            ;   in Loop: Header=BB285_554 Depth=1
	s_or_b32 exec_lo, exec_lo, s22
.LBB285_792:                            ;   in Loop: Header=BB285_554 Depth=1
	s_or_b32 exec_lo, exec_lo, s21
.LBB285_793:                            ;   in Loop: Header=BB285_554 Depth=1
	s_or_b32 exec_lo, exec_lo, s18
	v_lshrrev_b16 v2, 8, v2
	v_mov_b32_e32 v58, 0
	s_mov_b32 s18, exec_lo
	v_cmpx_ne_u16_e32 0, v2
	s_cbranch_execz .LBB285_801
; %bb.794:                              ;   in Loop: Header=BB285_554 Depth=1
	v_bfrev_b32_e32 v58, 1
	s_mov_b32 s21, exec_lo
	v_cmpx_ne_u16_e32 0x80, v2
	s_cbranch_execz .LBB285_800
; %bb.795:                              ;   in Loop: Header=BB285_554 Depth=1
	v_and_b32_sdwa v60, v2, v28 dst_sel:DWORD dst_unused:UNUSED_PAD src0_sel:WORD_0 src1_sel:DWORD
	v_mov_b32_e32 v58, 0x7c010000
	s_mov_b32 s22, exec_lo
	v_cmpx_ne_u32_e32 0x7f, v60
	s_cbranch_execz .LBB285_799
; %bb.796:                              ;   in Loop: Header=BB285_554 Depth=1
	v_and_b32_sdwa v58, v2, v29 dst_sel:DWORD dst_unused:UNUSED_PAD src0_sel:WORD_0 src1_sel:DWORD
	v_lshrrev_b32_e32 v59, 3, v60
	s_mov_b32 s24, exec_lo
	v_cmpx_gt_u32_e32 8, v60
; %bb.797:                              ;   in Loop: Header=BB285_554 Depth=1
	v_ffbh_u32_e32 v58, v58
	v_min_u32_e32 v60, 32, v58
	v_subrev_nc_u32_e32 v58, 28, v60
	v_lshlrev_b64 v[58:59], v58, v[2:3]
	v_sub_nc_u32_e32 v59, 29, v60
	v_and_b32_e32 v58, 7, v58
; %bb.798:                              ;   in Loop: Header=BB285_554 Depth=1
	s_or_b32 exec_lo, exec_lo, s24
	v_lshlrev_b32_sdwa v2, v30, v2 dst_sel:DWORD dst_unused:UNUSED_PAD src0_sel:DWORD src1_sel:WORD_0
	v_lshl_add_u32 v59, v59, 10, 0x2000
	v_lshlrev_b32_e32 v58, 23, v58
	v_and_or_b32 v2, 0x8000, v2, v59
	v_lshl_or_b32 v58, v2, 16, v58
.LBB285_799:                            ;   in Loop: Header=BB285_554 Depth=1
	s_or_b32 exec_lo, exec_lo, s22
.LBB285_800:                            ;   in Loop: Header=BB285_554 Depth=1
	s_or_b32 exec_lo, exec_lo, s21
.LBB285_801:                            ;   in Loop: Header=BB285_554 Depth=1
	s_or_b32 exec_lo, exec_lo, s18
	v_lshrrev_b32_e32 v2, 16, v11
	v_cmp_ne_u16_sdwa s1, v2, v3 src0_sel:BYTE_0 src1_sel:DWORD
	s_and_saveexec_b32 s18, s1
	s_cbranch_execz .LBB285_809
; %bb.802:                              ;   in Loop: Header=BB285_554 Depth=1
	v_cmp_ne_u16_sdwa s1, v2, v16 src0_sel:BYTE_0 src1_sel:DWORD
	v_mov_b32_e32 v56, 0x8000
	s_and_saveexec_b32 s21, s1
	s_cbranch_execz .LBB285_808
; %bb.803:                              ;   in Loop: Header=BB285_554 Depth=1
	v_bfe_u32 v60, v11, 16, 7
	v_mov_b32_e32 v56, 0x7c01
	s_mov_b32 s22, exec_lo
	v_cmpx_ne_u32_e32 0x7f, v60
	s_cbranch_execz .LBB285_807
; %bb.804:                              ;   in Loop: Header=BB285_554 Depth=1
	v_and_b32_e32 v56, 7, v2
	v_lshrrev_b32_e32 v59, 3, v60
	s_mov_b32 s24, exec_lo
	v_cmpx_gt_u32_e32 8, v60
; %bb.805:                              ;   in Loop: Header=BB285_554 Depth=1
	v_ffbh_u32_e32 v56, v56
	v_min_u32_e32 v56, 32, v56
	v_subrev_nc_u32_e32 v59, 28, v56
	v_lshlrev_b64 v[60:61], v59, v[2:3]
	v_sub_nc_u32_e32 v59, 29, v56
	v_and_b32_e32 v56, 7, v60
; %bb.806:                              ;   in Loop: Header=BB285_554 Depth=1
	s_or_b32 exec_lo, exec_lo, s24
	v_lshlrev_b32_e32 v2, 8, v2
	v_lshl_add_u32 v59, v59, 10, 0x2000
	v_lshlrev_b32_e32 v56, 7, v56
	v_and_b32_e32 v2, 0x8000, v2
	v_and_b32_e32 v59, 0xfc00, v59
	v_or3_b32 v56, v2, v59, v56
.LBB285_807:                            ;   in Loop: Header=BB285_554 Depth=1
	s_or_b32 exec_lo, exec_lo, s22
.LBB285_808:                            ;   in Loop: Header=BB285_554 Depth=1
	s_or_b32 exec_lo, exec_lo, s21
.LBB285_809:                            ;   in Loop: Header=BB285_554 Depth=1
	s_or_b32 exec_lo, exec_lo, s18
	v_cmp_lt_u64_e64 s1, s[4:5], v[10:11]
	v_mov_b32_e32 v10, 0
	s_and_saveexec_b32 s18, s1
	s_cbranch_execz .LBB285_817
; %bb.810:                              ;   in Loop: Header=BB285_554 Depth=1
	v_lshrrev_b32_e32 v2, 24, v11
	v_bfrev_b32_e32 v10, 1
	s_mov_b32 s21, exec_lo
	v_cmpx_ne_u32_e32 0x80, v2
	s_cbranch_execz .LBB285_816
; %bb.811:                              ;   in Loop: Header=BB285_554 Depth=1
	v_and_b32_e32 v59, 0x7f, v2
	v_mov_b32_e32 v10, 0x7c010000
	s_mov_b32 s22, exec_lo
	v_cmpx_ne_u32_e32 0x7f, v59
	s_cbranch_execz .LBB285_815
; %bb.812:                              ;   in Loop: Header=BB285_554 Depth=1
	v_and_b32_e32 v10, 7, v2
	v_lshrrev_b32_e32 v11, 3, v59
	s_mov_b32 s24, exec_lo
	v_cmpx_gt_u32_e32 8, v59
; %bb.813:                              ;   in Loop: Header=BB285_554 Depth=1
	v_ffbh_u32_e32 v10, v10
	v_min_u32_e32 v59, 32, v10
	v_subrev_nc_u32_e32 v10, 28, v59
	v_lshlrev_b64 v[10:11], v10, v[2:3]
	v_sub_nc_u32_e32 v11, 29, v59
	v_and_b32_e32 v10, 7, v10
; %bb.814:                              ;   in Loop: Header=BB285_554 Depth=1
	s_or_b32 exec_lo, exec_lo, s24
	v_lshlrev_b32_e32 v2, 8, v2
	v_lshl_add_u32 v11, v11, 10, 0x2000
	v_lshlrev_b32_e32 v10, 23, v10
	v_and_or_b32 v2, 0x8000, v2, v11
	v_lshl_or_b32 v10, v2, 16, v10
.LBB285_815:                            ;   in Loop: Header=BB285_554 Depth=1
	s_or_b32 exec_lo, exec_lo, s22
.LBB285_816:                            ;   in Loop: Header=BB285_554 Depth=1
	s_or_b32 exec_lo, exec_lo, s21
.LBB285_817:                            ;   in Loop: Header=BB285_554 Depth=1
	s_or_b32 exec_lo, exec_lo, s18
	v_or_b32_e32 v2, v54, v55
	s_waitcnt vmcnt(0)
	v_fma_mixlo_f16 v11, v51, v54, 0 op_sel:[0,1,0] op_sel_hi:[0,1,0]
	v_or_b32_e32 v54, v52, v53
	v_fma_mixlo_f16 v52, v51, v52, 0 op_sel:[0,1,0] op_sel_hi:[0,1,0]
	v_or_b32_e32 v55, v58, v57
	v_or_b32_e32 v56, v10, v56
	v_fma_mixlo_f16 v57, v51, v2, 0 op_sel_hi:[0,1,0]
	v_fma_mixlo_f16 v10, v51, v10, 0 op_sel:[0,1,0] op_sel_hi:[0,1,0]
	v_lshlrev_b32_e32 v53, 16, v52
	v_fma_mixlo_f16 v52, v51, v54, 0 op_sel_hi:[0,1,0]
	v_fma_mixlo_f16 v54, v51, v58, 0 op_sel:[0,1,0] op_sel_hi:[0,1,0]
	v_fma_mixlo_f16 v55, v51, v55, 0 op_sel_hi:[0,1,0]
	v_fma_mixlo_f16 v56, v51, v56, 0 op_sel_hi:[0,1,0]
	v_lshlrev_b32_e32 v2, 16, v11
	v_and_b32_e32 v11, 0xffff, v57
	v_and_b32_e32 v59, 0xffff, v52
	v_lshlrev_b32_e32 v51, 16, v54
	v_and_b32_e32 v55, 0xffff, v55
	v_lshlrev_b32_e32 v10, 16, v10
	v_and_b32_e32 v52, 0xffff, v56
	v_or_b32_e32 v54, v2, v11
	v_or_b32_e32 v58, v53, v59
	;; [unrolled: 1-line block ×4, first 2 shown]
	s_and_saveexec_b32 s18, vcc_lo
	s_cbranch_execz .LBB285_819
; %bb.818:                              ;   in Loop: Header=BB285_554 Depth=1
	v_cmp_gt_i32_e64 s1, s31, v33
	v_cndmask_b32_e64 v54, 0, v59, s1
	v_cmp_gt_i32_e64 s1, s31, v41
	v_cndmask_b32_e64 v53, 0, v53, s1
	v_cmp_gt_i32_e64 s1, s31, v39
	v_or_b32_e32 v58, v53, v54
	v_cndmask_b32_e64 v11, 0, v11, s1
	v_cmp_gt_i32_e64 s1, s31, v38
	v_cndmask_b32_e64 v2, 0, v2, s1
	v_cmp_gt_i32_e64 s1, s31, v37
	v_or_b32_e32 v54, v2, v11
	v_cndmask_b32_e64 v55, 0, v55, s1
	v_cmp_gt_i32_e64 s1, s31, v36
	v_cndmask_b32_e64 v51, 0, v51, s1
	v_cmp_gt_i32_e64 s1, s31, v35
	v_or_b32_e32 v57, v51, v55
	v_cndmask_b32_e64 v52, 0, v52, s1
	v_cmp_gt_i32_e64 s1, s31, v34
	v_cndmask_b32_e64 v10, 0, v10, s1
	v_or_b32_e32 v56, v10, v52
.LBB285_819:                            ;   in Loop: Header=BB285_554 Depth=1
	s_or_b32 exec_lo, exec_lo, s18
	;;#ASMSTART
	v_pk_mul_f16 v2, v46, v58;

	;;#ASMEND
	;;#ASMSTART
	v_pk_mul_f16 v10, v45, v54;

	;;#ASMEND
	;; [unrolled: 4-line block ×4, first 2 shown]
	;;#ASMSTART
	v_pk_add_f16 v2, v2, v10;

	;;#ASMEND
	;;#ASMSTART
	v_pk_add_f16 v2, v2, v11;

	;;#ASMEND
	;; [unrolled: 4-line block ×3, first 2 shown]
	v_and_b32_e32 v10, 0xffff, v2
	v_lshrrev_b32_e32 v2, 16, v2
	;;#ASMSTART
	v_cvt_f32_f16 v51, v10;
	;;#ASMEND
	;;#ASMSTART
	v_cvt_f32_f16 v52, v2;
	;;#ASMEND
	global_load_dwordx2 v[10:11], v[8:9], off offset:1024
	v_mov_b32_e32 v54, 0
	v_mov_b32_e32 v55, 0
	global_load_dword v53, v54, s[14:15]
	s_waitcnt vmcnt(1)
	v_cmp_ne_u16_sdwa s1, v10, v3 src0_sel:BYTE_0 src1_sel:DWORD
	s_and_saveexec_b32 s18, s1
	s_cbranch_execz .LBB285_827
; %bb.820:                              ;   in Loop: Header=BB285_554 Depth=1
	v_cmp_ne_u16_sdwa s1, v10, v16 src0_sel:BYTE_0 src1_sel:DWORD
	v_mov_b32_e32 v55, 0x8000
	s_and_saveexec_b32 s21, s1
	s_cbranch_execz .LBB285_826
; %bb.821:                              ;   in Loop: Header=BB285_554 Depth=1
	v_and_b32_e32 v56, 0x7f, v10
	v_mov_b32_e32 v55, 0x7c01
	s_mov_b32 s22, exec_lo
	v_cmpx_ne_u32_e32 0x7f, v56
	s_cbranch_execz .LBB285_825
; %bb.822:                              ;   in Loop: Header=BB285_554 Depth=1
	v_and_b32_e32 v2, 7, v10
	v_lshrrev_b32_e32 v55, 3, v56
	s_mov_b32 s24, exec_lo
	v_cmpx_gt_u32_e32 8, v56
; %bb.823:                              ;   in Loop: Header=BB285_554 Depth=1
	v_ffbh_u32_e32 v2, v2
	v_min_u32_e32 v2, 32, v2
	v_subrev_nc_u32_e32 v55, 28, v2
	v_lshlrev_b64 v[56:57], v55, v[10:11]
	v_sub_nc_u32_e32 v55, 29, v2
	v_and_b32_e32 v2, 7, v56
; %bb.824:                              ;   in Loop: Header=BB285_554 Depth=1
	s_or_b32 exec_lo, exec_lo, s24
	v_lshlrev_b32_e32 v56, 8, v10
	v_lshl_add_u32 v55, v55, 10, 0x2000
	v_lshlrev_b32_e32 v2, 7, v2
	v_and_b32_e32 v56, 0x8000, v56
	v_and_b32_e32 v55, 0xfc00, v55
	v_or3_b32 v55, v56, v55, v2
.LBB285_825:                            ;   in Loop: Header=BB285_554 Depth=1
	s_or_b32 exec_lo, exec_lo, s22
.LBB285_826:                            ;   in Loop: Header=BB285_554 Depth=1
	s_or_b32 exec_lo, exec_lo, s21
.LBB285_827:                            ;   in Loop: Header=BB285_554 Depth=1
	s_or_b32 exec_lo, exec_lo, s18
	v_lshrrev_b16 v2, 8, v10
	s_mov_b32 s18, exec_lo
	v_cmpx_ne_u16_e32 0, v2
	s_cbranch_execz .LBB285_835
; %bb.828:                              ;   in Loop: Header=BB285_554 Depth=1
	v_bfrev_b32_e32 v54, 1
	s_mov_b32 s21, exec_lo
	v_cmpx_ne_u16_e32 0x80, v2
	s_cbranch_execz .LBB285_834
; %bb.829:                              ;   in Loop: Header=BB285_554 Depth=1
	v_and_b32_sdwa v57, v2, v28 dst_sel:DWORD dst_unused:UNUSED_PAD src0_sel:WORD_0 src1_sel:DWORD
	v_mov_b32_e32 v54, 0x7c010000
	s_mov_b32 s22, exec_lo
	v_cmpx_ne_u32_e32 0x7f, v57
	s_cbranch_execz .LBB285_833
; %bb.830:                              ;   in Loop: Header=BB285_554 Depth=1
	v_and_b32_sdwa v54, v2, v29 dst_sel:DWORD dst_unused:UNUSED_PAD src0_sel:WORD_0 src1_sel:DWORD
	v_lshrrev_b32_e32 v56, 3, v57
	s_mov_b32 s24, exec_lo
	v_cmpx_gt_u32_e32 8, v57
; %bb.831:                              ;   in Loop: Header=BB285_554 Depth=1
	v_ffbh_u32_e32 v54, v54
	v_min_u32_e32 v54, 32, v54
	v_subrev_nc_u32_e32 v56, 28, v54
	v_lshlrev_b64 v[57:58], v56, v[2:3]
	v_sub_nc_u32_e32 v56, 29, v54
	v_and_b32_e32 v54, 7, v57
; %bb.832:                              ;   in Loop: Header=BB285_554 Depth=1
	s_or_b32 exec_lo, exec_lo, s24
	v_lshlrev_b32_sdwa v2, v30, v2 dst_sel:DWORD dst_unused:UNUSED_PAD src0_sel:DWORD src1_sel:WORD_0
	v_lshl_add_u32 v56, v56, 10, 0x2000
	v_lshlrev_b32_e32 v54, 23, v54
	v_and_or_b32 v2, 0x8000, v2, v56
	v_lshl_or_b32 v54, v2, 16, v54
.LBB285_833:                            ;   in Loop: Header=BB285_554 Depth=1
	s_or_b32 exec_lo, exec_lo, s22
.LBB285_834:                            ;   in Loop: Header=BB285_554 Depth=1
	s_or_b32 exec_lo, exec_lo, s21
.LBB285_835:                            ;   in Loop: Header=BB285_554 Depth=1
	s_or_b32 exec_lo, exec_lo, s18
	v_lshrrev_b32_e32 v2, 16, v10
	v_mov_b32_e32 v56, 0
	v_mov_b32_e32 v57, 0
	v_cmp_ne_u16_sdwa s1, v2, v3 src0_sel:BYTE_0 src1_sel:DWORD
	s_and_saveexec_b32 s18, s1
	s_cbranch_execz .LBB285_843
; %bb.836:                              ;   in Loop: Header=BB285_554 Depth=1
	v_cmp_ne_u16_sdwa s1, v2, v16 src0_sel:BYTE_0 src1_sel:DWORD
	v_mov_b32_e32 v57, 0x8000
	s_and_saveexec_b32 s21, s1
	s_cbranch_execz .LBB285_842
; %bb.837:                              ;   in Loop: Header=BB285_554 Depth=1
	v_bfe_u32 v59, v10, 16, 7
	v_mov_b32_e32 v57, 0x7c01
	s_mov_b32 s22, exec_lo
	v_cmpx_ne_u32_e32 0x7f, v59
	s_cbranch_execz .LBB285_841
; %bb.838:                              ;   in Loop: Header=BB285_554 Depth=1
	v_and_b32_e32 v57, 7, v2
	v_lshrrev_b32_e32 v58, 3, v59
	s_mov_b32 s24, exec_lo
	v_cmpx_gt_u32_e32 8, v59
; %bb.839:                              ;   in Loop: Header=BB285_554 Depth=1
	v_ffbh_u32_e32 v57, v57
	v_min_u32_e32 v59, 32, v57
	v_subrev_nc_u32_e32 v57, 28, v59
	v_lshlrev_b64 v[57:58], v57, v[2:3]
	v_sub_nc_u32_e32 v58, 29, v59
	v_and_b32_e32 v57, 7, v57
; %bb.840:                              ;   in Loop: Header=BB285_554 Depth=1
	s_or_b32 exec_lo, exec_lo, s24
	v_lshlrev_b32_e32 v2, 8, v2
	v_lshl_add_u32 v58, v58, 10, 0x2000
	v_lshlrev_b32_e32 v57, 7, v57
	v_and_b32_e32 v2, 0x8000, v2
	v_and_b32_e32 v58, 0xfc00, v58
	v_or3_b32 v57, v2, v58, v57
.LBB285_841:                            ;   in Loop: Header=BB285_554 Depth=1
	s_or_b32 exec_lo, exec_lo, s22
.LBB285_842:                            ;   in Loop: Header=BB285_554 Depth=1
	s_or_b32 exec_lo, exec_lo, s21
.LBB285_843:                            ;   in Loop: Header=BB285_554 Depth=1
	s_or_b32 exec_lo, exec_lo, s18
	s_mov_b32 s18, exec_lo
	v_cmpx_lt_u32_e32 0xffffff, v10
	s_cbranch_execz .LBB285_851
; %bb.844:                              ;   in Loop: Header=BB285_554 Depth=1
	v_lshrrev_b32_e32 v2, 24, v10
	v_bfrev_b32_e32 v56, 1
	s_mov_b32 s21, exec_lo
	v_cmpx_ne_u32_e32 0x80, v2
	s_cbranch_execz .LBB285_850
; %bb.845:                              ;   in Loop: Header=BB285_554 Depth=1
	v_and_b32_e32 v59, 0x7f, v2
	v_mov_b32_e32 v56, 0x7c010000
	s_mov_b32 s22, exec_lo
	v_cmpx_ne_u32_e32 0x7f, v59
	s_cbranch_execz .LBB285_849
; %bb.846:                              ;   in Loop: Header=BB285_554 Depth=1
	v_and_b32_e32 v56, 7, v2
	v_lshrrev_b32_e32 v58, 3, v59
	s_mov_b32 s24, exec_lo
	v_cmpx_gt_u32_e32 8, v59
; %bb.847:                              ;   in Loop: Header=BB285_554 Depth=1
	v_ffbh_u32_e32 v56, v56
	v_min_u32_e32 v56, 32, v56
	v_subrev_nc_u32_e32 v58, 28, v56
	v_lshlrev_b64 v[59:60], v58, v[2:3]
	v_sub_nc_u32_e32 v58, 29, v56
	v_and_b32_e32 v56, 7, v59
; %bb.848:                              ;   in Loop: Header=BB285_554 Depth=1
	s_or_b32 exec_lo, exec_lo, s24
	v_lshlrev_b32_e32 v2, 8, v2
	v_lshl_add_u32 v58, v58, 10, 0x2000
	v_lshlrev_b32_e32 v56, 23, v56
	v_and_or_b32 v2, 0x8000, v2, v58
	v_lshl_or_b32 v56, v2, 16, v56
.LBB285_849:                            ;   in Loop: Header=BB285_554 Depth=1
	s_or_b32 exec_lo, exec_lo, s22
.LBB285_850:                            ;   in Loop: Header=BB285_554 Depth=1
	s_or_b32 exec_lo, exec_lo, s21
.LBB285_851:                            ;   in Loop: Header=BB285_554 Depth=1
	s_or_b32 exec_lo, exec_lo, s18
	v_mov_b32_e32 v2, v11
	v_cmp_ne_u16_sdwa s1, v11, v3 src0_sel:BYTE_0 src1_sel:DWORD
	v_mov_b32_e32 v58, 0
	v_mov_b32_e32 v59, 0
	s_and_saveexec_b32 s18, s1
	s_cbranch_execz .LBB285_859
; %bb.852:                              ;   in Loop: Header=BB285_554 Depth=1
	v_cmp_ne_u16_sdwa s1, v11, v16 src0_sel:BYTE_0 src1_sel:DWORD
	v_mov_b32_e32 v59, 0x8000
	s_and_saveexec_b32 s21, s1
	s_cbranch_execz .LBB285_858
; %bb.853:                              ;   in Loop: Header=BB285_554 Depth=1
	v_and_b32_e32 v61, 0x7f, v11
	v_mov_b32_e32 v59, 0x7c01
	s_mov_b32 s22, exec_lo
	v_cmpx_ne_u32_e32 0x7f, v61
	s_cbranch_execz .LBB285_857
; %bb.854:                              ;   in Loop: Header=BB285_554 Depth=1
	v_and_b32_e32 v59, 7, v11
	v_lshrrev_b32_e32 v60, 3, v61
	s_mov_b32 s24, exec_lo
	v_cmpx_gt_u32_e32 8, v61
; %bb.855:                              ;   in Loop: Header=BB285_554 Depth=1
	v_ffbh_u32_e32 v59, v59
	v_min_u32_e32 v61, 32, v59
	v_subrev_nc_u32_e32 v59, 28, v61
	v_lshlrev_b64 v[59:60], v59, v[2:3]
	v_sub_nc_u32_e32 v60, 29, v61
	v_and_b32_e32 v59, 7, v59
; %bb.856:                              ;   in Loop: Header=BB285_554 Depth=1
	s_or_b32 exec_lo, exec_lo, s24
	v_lshlrev_b32_e32 v61, 8, v11
	v_lshl_add_u32 v60, v60, 10, 0x2000
	v_lshlrev_b32_e32 v59, 7, v59
	v_and_b32_e32 v61, 0x8000, v61
	v_and_b32_e32 v60, 0xfc00, v60
	v_or3_b32 v59, v61, v60, v59
.LBB285_857:                            ;   in Loop: Header=BB285_554 Depth=1
	s_or_b32 exec_lo, exec_lo, s22
.LBB285_858:                            ;   in Loop: Header=BB285_554 Depth=1
	s_or_b32 exec_lo, exec_lo, s21
.LBB285_859:                            ;   in Loop: Header=BB285_554 Depth=1
	s_or_b32 exec_lo, exec_lo, s18
	v_lshrrev_b16 v2, 8, v2
	v_mov_b32_e32 v60, 0
	s_mov_b32 s18, exec_lo
	v_cmpx_ne_u16_e32 0, v2
	s_cbranch_execz .LBB285_867
; %bb.860:                              ;   in Loop: Header=BB285_554 Depth=1
	v_bfrev_b32_e32 v60, 1
	s_mov_b32 s21, exec_lo
	v_cmpx_ne_u16_e32 0x80, v2
	s_cbranch_execz .LBB285_866
; %bb.861:                              ;   in Loop: Header=BB285_554 Depth=1
	v_and_b32_sdwa v62, v2, v28 dst_sel:DWORD dst_unused:UNUSED_PAD src0_sel:WORD_0 src1_sel:DWORD
	v_mov_b32_e32 v60, 0x7c010000
	s_mov_b32 s22, exec_lo
	v_cmpx_ne_u32_e32 0x7f, v62
	s_cbranch_execz .LBB285_865
; %bb.862:                              ;   in Loop: Header=BB285_554 Depth=1
	v_and_b32_sdwa v60, v2, v29 dst_sel:DWORD dst_unused:UNUSED_PAD src0_sel:WORD_0 src1_sel:DWORD
	v_lshrrev_b32_e32 v61, 3, v62
	s_mov_b32 s24, exec_lo
	v_cmpx_gt_u32_e32 8, v62
; %bb.863:                              ;   in Loop: Header=BB285_554 Depth=1
	v_ffbh_u32_e32 v60, v60
	v_min_u32_e32 v62, 32, v60
	v_subrev_nc_u32_e32 v60, 28, v62
	v_lshlrev_b64 v[60:61], v60, v[2:3]
	v_sub_nc_u32_e32 v61, 29, v62
	v_and_b32_e32 v60, 7, v60
; %bb.864:                              ;   in Loop: Header=BB285_554 Depth=1
	s_or_b32 exec_lo, exec_lo, s24
	v_lshlrev_b32_sdwa v2, v30, v2 dst_sel:DWORD dst_unused:UNUSED_PAD src0_sel:DWORD src1_sel:WORD_0
	v_lshl_add_u32 v61, v61, 10, 0x2000
	v_lshlrev_b32_e32 v60, 23, v60
	v_and_or_b32 v2, 0x8000, v2, v61
	v_lshl_or_b32 v60, v2, 16, v60
.LBB285_865:                            ;   in Loop: Header=BB285_554 Depth=1
	s_or_b32 exec_lo, exec_lo, s22
.LBB285_866:                            ;   in Loop: Header=BB285_554 Depth=1
	s_or_b32 exec_lo, exec_lo, s21
.LBB285_867:                            ;   in Loop: Header=BB285_554 Depth=1
	s_or_b32 exec_lo, exec_lo, s18
	v_lshrrev_b32_e32 v2, 16, v11
	v_cmp_ne_u16_sdwa s1, v2, v3 src0_sel:BYTE_0 src1_sel:DWORD
	s_and_saveexec_b32 s18, s1
	s_cbranch_execz .LBB285_875
; %bb.868:                              ;   in Loop: Header=BB285_554 Depth=1
	v_cmp_ne_u16_sdwa s1, v2, v16 src0_sel:BYTE_0 src1_sel:DWORD
	v_mov_b32_e32 v58, 0x8000
	s_and_saveexec_b32 s21, s1
	s_cbranch_execz .LBB285_874
; %bb.869:                              ;   in Loop: Header=BB285_554 Depth=1
	v_bfe_u32 v62, v11, 16, 7
	v_mov_b32_e32 v58, 0x7c01
	s_mov_b32 s22, exec_lo
	v_cmpx_ne_u32_e32 0x7f, v62
	s_cbranch_execz .LBB285_873
; %bb.870:                              ;   in Loop: Header=BB285_554 Depth=1
	v_and_b32_e32 v58, 7, v2
	v_lshrrev_b32_e32 v61, 3, v62
	s_mov_b32 s24, exec_lo
	v_cmpx_gt_u32_e32 8, v62
; %bb.871:                              ;   in Loop: Header=BB285_554 Depth=1
	v_ffbh_u32_e32 v58, v58
	v_min_u32_e32 v58, 32, v58
	v_subrev_nc_u32_e32 v61, 28, v58
	v_lshlrev_b64 v[62:63], v61, v[2:3]
	v_sub_nc_u32_e32 v61, 29, v58
	v_and_b32_e32 v58, 7, v62
; %bb.872:                              ;   in Loop: Header=BB285_554 Depth=1
	s_or_b32 exec_lo, exec_lo, s24
	v_lshlrev_b32_e32 v2, 8, v2
	v_lshl_add_u32 v61, v61, 10, 0x2000
	v_lshlrev_b32_e32 v58, 7, v58
	v_and_b32_e32 v2, 0x8000, v2
	v_and_b32_e32 v61, 0xfc00, v61
	v_or3_b32 v58, v2, v61, v58
.LBB285_873:                            ;   in Loop: Header=BB285_554 Depth=1
	s_or_b32 exec_lo, exec_lo, s22
.LBB285_874:                            ;   in Loop: Header=BB285_554 Depth=1
	s_or_b32 exec_lo, exec_lo, s21
.LBB285_875:                            ;   in Loop: Header=BB285_554 Depth=1
	s_or_b32 exec_lo, exec_lo, s18
	v_cmp_lt_u64_e64 s1, s[4:5], v[10:11]
	v_mov_b32_e32 v10, 0
	s_and_saveexec_b32 s18, s1
	s_cbranch_execz .LBB285_883
; %bb.876:                              ;   in Loop: Header=BB285_554 Depth=1
	v_lshrrev_b32_e32 v2, 24, v11
	v_bfrev_b32_e32 v10, 1
	s_mov_b32 s21, exec_lo
	v_cmpx_ne_u32_e32 0x80, v2
	s_cbranch_execz .LBB285_882
; %bb.877:                              ;   in Loop: Header=BB285_554 Depth=1
	v_and_b32_e32 v61, 0x7f, v2
	v_mov_b32_e32 v10, 0x7c010000
	s_mov_b32 s22, exec_lo
	v_cmpx_ne_u32_e32 0x7f, v61
	s_cbranch_execz .LBB285_881
; %bb.878:                              ;   in Loop: Header=BB285_554 Depth=1
	v_and_b32_e32 v10, 7, v2
	v_lshrrev_b32_e32 v11, 3, v61
	s_mov_b32 s24, exec_lo
	v_cmpx_gt_u32_e32 8, v61
; %bb.879:                              ;   in Loop: Header=BB285_554 Depth=1
	v_ffbh_u32_e32 v10, v10
	v_min_u32_e32 v61, 32, v10
	v_subrev_nc_u32_e32 v10, 28, v61
	v_lshlrev_b64 v[10:11], v10, v[2:3]
	v_sub_nc_u32_e32 v11, 29, v61
	v_and_b32_e32 v10, 7, v10
; %bb.880:                              ;   in Loop: Header=BB285_554 Depth=1
	s_or_b32 exec_lo, exec_lo, s24
	v_lshlrev_b32_e32 v2, 8, v2
	v_lshl_add_u32 v11, v11, 10, 0x2000
	v_lshlrev_b32_e32 v10, 23, v10
	v_and_or_b32 v2, 0x8000, v2, v11
	v_lshl_or_b32 v10, v2, 16, v10
.LBB285_881:                            ;   in Loop: Header=BB285_554 Depth=1
	s_or_b32 exec_lo, exec_lo, s22
.LBB285_882:                            ;   in Loop: Header=BB285_554 Depth=1
	s_or_b32 exec_lo, exec_lo, s21
.LBB285_883:                            ;   in Loop: Header=BB285_554 Depth=1
	s_or_b32 exec_lo, exec_lo, s18
	v_or_b32_e32 v2, v56, v57
	s_waitcnt vmcnt(0)
	v_fma_mixlo_f16 v11, v53, v56, 0 op_sel:[0,1,0] op_sel_hi:[0,1,0]
	v_or_b32_e32 v56, v54, v55
	v_fma_mixlo_f16 v54, v53, v54, 0 op_sel:[0,1,0] op_sel_hi:[0,1,0]
	v_or_b32_e32 v57, v60, v59
	v_or_b32_e32 v58, v10, v58
	v_fma_mixlo_f16 v59, v53, v2, 0 op_sel_hi:[0,1,0]
	v_fma_mixlo_f16 v10, v53, v10, 0 op_sel:[0,1,0] op_sel_hi:[0,1,0]
	v_lshlrev_b32_e32 v55, 16, v54
	v_fma_mixlo_f16 v54, v53, v56, 0 op_sel_hi:[0,1,0]
	v_fma_mixlo_f16 v56, v53, v60, 0 op_sel:[0,1,0] op_sel_hi:[0,1,0]
	v_fma_mixlo_f16 v57, v53, v57, 0 op_sel_hi:[0,1,0]
	v_fma_mixlo_f16 v58, v53, v58, 0 op_sel_hi:[0,1,0]
	v_lshlrev_b32_e32 v2, 16, v11
	v_and_b32_e32 v11, 0xffff, v59
	v_and_b32_e32 v61, 0xffff, v54
	v_lshlrev_b32_e32 v53, 16, v56
	v_and_b32_e32 v57, 0xffff, v57
	v_lshlrev_b32_e32 v10, 16, v10
	v_and_b32_e32 v54, 0xffff, v58
	v_or_b32_e32 v56, v2, v11
	v_or_b32_e32 v60, v55, v61
	v_or_b32_e32 v59, v53, v57
	v_or_b32_e32 v58, v10, v54
	s_and_saveexec_b32 s18, vcc_lo
	s_cbranch_execz .LBB285_885
; %bb.884:                              ;   in Loop: Header=BB285_554 Depth=1
	v_cmp_gt_i32_e64 s1, s31, v33
	v_cndmask_b32_e64 v56, 0, v61, s1
	v_cmp_gt_i32_e64 s1, s31, v41
	v_cndmask_b32_e64 v55, 0, v55, s1
	v_cmp_gt_i32_e64 s1, s31, v39
	v_or_b32_e32 v60, v55, v56
	v_cndmask_b32_e64 v11, 0, v11, s1
	v_cmp_gt_i32_e64 s1, s31, v38
	v_cndmask_b32_e64 v2, 0, v2, s1
	v_cmp_gt_i32_e64 s1, s31, v37
	v_or_b32_e32 v56, v2, v11
	;; [unrolled: 5-line block ×3, first 2 shown]
	v_cndmask_b32_e64 v54, 0, v54, s1
	v_cmp_gt_i32_e64 s1, s31, v34
	v_cndmask_b32_e64 v10, 0, v10, s1
	v_or_b32_e32 v58, v10, v54
.LBB285_885:                            ;   in Loop: Header=BB285_554 Depth=1
	s_or_b32 exec_lo, exec_lo, s18
	;;#ASMSTART
	v_pk_mul_f16 v2, v46, v60;

	;;#ASMEND
	;;#ASMSTART
	v_pk_mul_f16 v10, v45, v56;

	;;#ASMEND
	;; [unrolled: 4-line block ×4, first 2 shown]
	;;#ASMSTART
	v_pk_add_f16 v2, v2, v10;

	;;#ASMEND
	;;#ASMSTART
	v_pk_add_f16 v2, v2, v11;

	;;#ASMEND
	;; [unrolled: 4-line block ×3, first 2 shown]
	v_and_b32_e32 v10, 0xffff, v2
	v_lshrrev_b32_e32 v2, 16, v2
	;;#ASMSTART
	v_cvt_f32_f16 v53, v10;
	;;#ASMEND
	;;#ASMSTART
	v_cvt_f32_f16 v54, v2;
	;;#ASMEND
	global_load_dwordx2 v[10:11], v[8:9], off offset:1280
	v_mov_b32_e32 v56, 0
	v_mov_b32_e32 v57, 0
	global_load_dword v55, v56, s[14:15]
	s_waitcnt vmcnt(1)
	v_cmp_ne_u16_sdwa s1, v10, v3 src0_sel:BYTE_0 src1_sel:DWORD
	s_and_saveexec_b32 s18, s1
	s_cbranch_execz .LBB285_893
; %bb.886:                              ;   in Loop: Header=BB285_554 Depth=1
	v_cmp_ne_u16_sdwa s1, v10, v16 src0_sel:BYTE_0 src1_sel:DWORD
	v_mov_b32_e32 v57, 0x8000
	s_and_saveexec_b32 s21, s1
	s_cbranch_execz .LBB285_892
; %bb.887:                              ;   in Loop: Header=BB285_554 Depth=1
	v_and_b32_e32 v58, 0x7f, v10
	v_mov_b32_e32 v57, 0x7c01
	s_mov_b32 s22, exec_lo
	v_cmpx_ne_u32_e32 0x7f, v58
	s_cbranch_execz .LBB285_891
; %bb.888:                              ;   in Loop: Header=BB285_554 Depth=1
	v_and_b32_e32 v2, 7, v10
	v_lshrrev_b32_e32 v57, 3, v58
	s_mov_b32 s24, exec_lo
	v_cmpx_gt_u32_e32 8, v58
; %bb.889:                              ;   in Loop: Header=BB285_554 Depth=1
	v_ffbh_u32_e32 v2, v2
	v_min_u32_e32 v2, 32, v2
	v_subrev_nc_u32_e32 v57, 28, v2
	v_lshlrev_b64 v[58:59], v57, v[10:11]
	v_sub_nc_u32_e32 v57, 29, v2
	v_and_b32_e32 v2, 7, v58
; %bb.890:                              ;   in Loop: Header=BB285_554 Depth=1
	s_or_b32 exec_lo, exec_lo, s24
	v_lshlrev_b32_e32 v58, 8, v10
	v_lshl_add_u32 v57, v57, 10, 0x2000
	v_lshlrev_b32_e32 v2, 7, v2
	v_and_b32_e32 v58, 0x8000, v58
	v_and_b32_e32 v57, 0xfc00, v57
	v_or3_b32 v57, v58, v57, v2
.LBB285_891:                            ;   in Loop: Header=BB285_554 Depth=1
	s_or_b32 exec_lo, exec_lo, s22
.LBB285_892:                            ;   in Loop: Header=BB285_554 Depth=1
	s_or_b32 exec_lo, exec_lo, s21
.LBB285_893:                            ;   in Loop: Header=BB285_554 Depth=1
	s_or_b32 exec_lo, exec_lo, s18
	v_lshrrev_b16 v2, 8, v10
	s_mov_b32 s18, exec_lo
	v_cmpx_ne_u16_e32 0, v2
	s_cbranch_execz .LBB285_901
; %bb.894:                              ;   in Loop: Header=BB285_554 Depth=1
	v_bfrev_b32_e32 v56, 1
	s_mov_b32 s21, exec_lo
	v_cmpx_ne_u16_e32 0x80, v2
	s_cbranch_execz .LBB285_900
; %bb.895:                              ;   in Loop: Header=BB285_554 Depth=1
	v_and_b32_sdwa v59, v2, v28 dst_sel:DWORD dst_unused:UNUSED_PAD src0_sel:WORD_0 src1_sel:DWORD
	v_mov_b32_e32 v56, 0x7c010000
	s_mov_b32 s22, exec_lo
	v_cmpx_ne_u32_e32 0x7f, v59
	s_cbranch_execz .LBB285_899
; %bb.896:                              ;   in Loop: Header=BB285_554 Depth=1
	v_and_b32_sdwa v56, v2, v29 dst_sel:DWORD dst_unused:UNUSED_PAD src0_sel:WORD_0 src1_sel:DWORD
	v_lshrrev_b32_e32 v58, 3, v59
	s_mov_b32 s24, exec_lo
	v_cmpx_gt_u32_e32 8, v59
; %bb.897:                              ;   in Loop: Header=BB285_554 Depth=1
	v_ffbh_u32_e32 v56, v56
	v_min_u32_e32 v56, 32, v56
	v_subrev_nc_u32_e32 v58, 28, v56
	v_lshlrev_b64 v[59:60], v58, v[2:3]
	v_sub_nc_u32_e32 v58, 29, v56
	v_and_b32_e32 v56, 7, v59
; %bb.898:                              ;   in Loop: Header=BB285_554 Depth=1
	s_or_b32 exec_lo, exec_lo, s24
	v_lshlrev_b32_sdwa v2, v30, v2 dst_sel:DWORD dst_unused:UNUSED_PAD src0_sel:DWORD src1_sel:WORD_0
	v_lshl_add_u32 v58, v58, 10, 0x2000
	v_lshlrev_b32_e32 v56, 23, v56
	v_and_or_b32 v2, 0x8000, v2, v58
	v_lshl_or_b32 v56, v2, 16, v56
.LBB285_899:                            ;   in Loop: Header=BB285_554 Depth=1
	s_or_b32 exec_lo, exec_lo, s22
.LBB285_900:                            ;   in Loop: Header=BB285_554 Depth=1
	s_or_b32 exec_lo, exec_lo, s21
.LBB285_901:                            ;   in Loop: Header=BB285_554 Depth=1
	s_or_b32 exec_lo, exec_lo, s18
	v_lshrrev_b32_e32 v2, 16, v10
	v_mov_b32_e32 v58, 0
	v_mov_b32_e32 v59, 0
	v_cmp_ne_u16_sdwa s1, v2, v3 src0_sel:BYTE_0 src1_sel:DWORD
	s_and_saveexec_b32 s18, s1
	s_cbranch_execz .LBB285_909
; %bb.902:                              ;   in Loop: Header=BB285_554 Depth=1
	v_cmp_ne_u16_sdwa s1, v2, v16 src0_sel:BYTE_0 src1_sel:DWORD
	v_mov_b32_e32 v59, 0x8000
	s_and_saveexec_b32 s21, s1
	s_cbranch_execz .LBB285_908
; %bb.903:                              ;   in Loop: Header=BB285_554 Depth=1
	v_bfe_u32 v61, v10, 16, 7
	v_mov_b32_e32 v59, 0x7c01
	s_mov_b32 s22, exec_lo
	v_cmpx_ne_u32_e32 0x7f, v61
	s_cbranch_execz .LBB285_907
; %bb.904:                              ;   in Loop: Header=BB285_554 Depth=1
	v_and_b32_e32 v59, 7, v2
	v_lshrrev_b32_e32 v60, 3, v61
	s_mov_b32 s24, exec_lo
	v_cmpx_gt_u32_e32 8, v61
; %bb.905:                              ;   in Loop: Header=BB285_554 Depth=1
	v_ffbh_u32_e32 v59, v59
	v_min_u32_e32 v61, 32, v59
	v_subrev_nc_u32_e32 v59, 28, v61
	v_lshlrev_b64 v[59:60], v59, v[2:3]
	v_sub_nc_u32_e32 v60, 29, v61
	v_and_b32_e32 v59, 7, v59
; %bb.906:                              ;   in Loop: Header=BB285_554 Depth=1
	s_or_b32 exec_lo, exec_lo, s24
	v_lshlrev_b32_e32 v2, 8, v2
	v_lshl_add_u32 v60, v60, 10, 0x2000
	v_lshlrev_b32_e32 v59, 7, v59
	v_and_b32_e32 v2, 0x8000, v2
	v_and_b32_e32 v60, 0xfc00, v60
	v_or3_b32 v59, v2, v60, v59
.LBB285_907:                            ;   in Loop: Header=BB285_554 Depth=1
	s_or_b32 exec_lo, exec_lo, s22
.LBB285_908:                            ;   in Loop: Header=BB285_554 Depth=1
	s_or_b32 exec_lo, exec_lo, s21
.LBB285_909:                            ;   in Loop: Header=BB285_554 Depth=1
	s_or_b32 exec_lo, exec_lo, s18
	s_mov_b32 s18, exec_lo
	v_cmpx_lt_u32_e32 0xffffff, v10
	s_cbranch_execz .LBB285_917
; %bb.910:                              ;   in Loop: Header=BB285_554 Depth=1
	v_lshrrev_b32_e32 v2, 24, v10
	v_bfrev_b32_e32 v58, 1
	s_mov_b32 s21, exec_lo
	v_cmpx_ne_u32_e32 0x80, v2
	s_cbranch_execz .LBB285_916
; %bb.911:                              ;   in Loop: Header=BB285_554 Depth=1
	v_and_b32_e32 v61, 0x7f, v2
	v_mov_b32_e32 v58, 0x7c010000
	s_mov_b32 s22, exec_lo
	v_cmpx_ne_u32_e32 0x7f, v61
	s_cbranch_execz .LBB285_915
; %bb.912:                              ;   in Loop: Header=BB285_554 Depth=1
	v_and_b32_e32 v58, 7, v2
	v_lshrrev_b32_e32 v60, 3, v61
	s_mov_b32 s24, exec_lo
	v_cmpx_gt_u32_e32 8, v61
; %bb.913:                              ;   in Loop: Header=BB285_554 Depth=1
	v_ffbh_u32_e32 v58, v58
	v_min_u32_e32 v58, 32, v58
	v_subrev_nc_u32_e32 v60, 28, v58
	v_lshlrev_b64 v[61:62], v60, v[2:3]
	v_sub_nc_u32_e32 v60, 29, v58
	v_and_b32_e32 v58, 7, v61
; %bb.914:                              ;   in Loop: Header=BB285_554 Depth=1
	s_or_b32 exec_lo, exec_lo, s24
	v_lshlrev_b32_e32 v2, 8, v2
	v_lshl_add_u32 v60, v60, 10, 0x2000
	v_lshlrev_b32_e32 v58, 23, v58
	v_and_or_b32 v2, 0x8000, v2, v60
	v_lshl_or_b32 v58, v2, 16, v58
.LBB285_915:                            ;   in Loop: Header=BB285_554 Depth=1
	s_or_b32 exec_lo, exec_lo, s22
.LBB285_916:                            ;   in Loop: Header=BB285_554 Depth=1
	s_or_b32 exec_lo, exec_lo, s21
.LBB285_917:                            ;   in Loop: Header=BB285_554 Depth=1
	s_or_b32 exec_lo, exec_lo, s18
	v_mov_b32_e32 v2, v11
	v_cmp_ne_u16_sdwa s1, v11, v3 src0_sel:BYTE_0 src1_sel:DWORD
	v_mov_b32_e32 v60, 0
	v_mov_b32_e32 v61, 0
	s_and_saveexec_b32 s18, s1
	s_cbranch_execz .LBB285_925
; %bb.918:                              ;   in Loop: Header=BB285_554 Depth=1
	v_cmp_ne_u16_sdwa s1, v11, v16 src0_sel:BYTE_0 src1_sel:DWORD
	v_mov_b32_e32 v61, 0x8000
	s_and_saveexec_b32 s21, s1
	s_cbranch_execz .LBB285_924
; %bb.919:                              ;   in Loop: Header=BB285_554 Depth=1
	v_and_b32_e32 v63, 0x7f, v11
	v_mov_b32_e32 v61, 0x7c01
	s_mov_b32 s22, exec_lo
	v_cmpx_ne_u32_e32 0x7f, v63
	s_cbranch_execz .LBB285_923
; %bb.920:                              ;   in Loop: Header=BB285_554 Depth=1
	v_and_b32_e32 v61, 7, v11
	v_lshrrev_b32_e32 v62, 3, v63
	s_mov_b32 s24, exec_lo
	v_cmpx_gt_u32_e32 8, v63
; %bb.921:                              ;   in Loop: Header=BB285_554 Depth=1
	v_ffbh_u32_e32 v61, v61
	v_min_u32_e32 v63, 32, v61
	v_subrev_nc_u32_e32 v61, 28, v63
	v_lshlrev_b64 v[61:62], v61, v[2:3]
	v_sub_nc_u32_e32 v62, 29, v63
	v_and_b32_e32 v61, 7, v61
; %bb.922:                              ;   in Loop: Header=BB285_554 Depth=1
	s_or_b32 exec_lo, exec_lo, s24
	v_lshlrev_b32_e32 v63, 8, v11
	v_lshl_add_u32 v62, v62, 10, 0x2000
	v_lshlrev_b32_e32 v61, 7, v61
	v_and_b32_e32 v63, 0x8000, v63
	v_and_b32_e32 v62, 0xfc00, v62
	v_or3_b32 v61, v63, v62, v61
.LBB285_923:                            ;   in Loop: Header=BB285_554 Depth=1
	s_or_b32 exec_lo, exec_lo, s22
.LBB285_924:                            ;   in Loop: Header=BB285_554 Depth=1
	s_or_b32 exec_lo, exec_lo, s21
.LBB285_925:                            ;   in Loop: Header=BB285_554 Depth=1
	s_or_b32 exec_lo, exec_lo, s18
	v_lshrrev_b16 v2, 8, v2
	v_mov_b32_e32 v62, 0
	s_mov_b32 s18, exec_lo
	v_cmpx_ne_u16_e32 0, v2
	s_cbranch_execz .LBB285_933
; %bb.926:                              ;   in Loop: Header=BB285_554 Depth=1
	v_bfrev_b32_e32 v62, 1
	s_mov_b32 s21, exec_lo
	v_cmpx_ne_u16_e32 0x80, v2
	s_cbranch_execz .LBB285_932
; %bb.927:                              ;   in Loop: Header=BB285_554 Depth=1
	v_and_b32_sdwa v64, v2, v28 dst_sel:DWORD dst_unused:UNUSED_PAD src0_sel:WORD_0 src1_sel:DWORD
	v_mov_b32_e32 v62, 0x7c010000
	s_mov_b32 s22, exec_lo
	v_cmpx_ne_u32_e32 0x7f, v64
	s_cbranch_execz .LBB285_931
; %bb.928:                              ;   in Loop: Header=BB285_554 Depth=1
	v_and_b32_sdwa v62, v2, v29 dst_sel:DWORD dst_unused:UNUSED_PAD src0_sel:WORD_0 src1_sel:DWORD
	v_lshrrev_b32_e32 v63, 3, v64
	s_mov_b32 s24, exec_lo
	v_cmpx_gt_u32_e32 8, v64
; %bb.929:                              ;   in Loop: Header=BB285_554 Depth=1
	v_ffbh_u32_e32 v62, v62
	v_min_u32_e32 v64, 32, v62
	v_subrev_nc_u32_e32 v62, 28, v64
	v_lshlrev_b64 v[62:63], v62, v[2:3]
	v_sub_nc_u32_e32 v63, 29, v64
	v_and_b32_e32 v62, 7, v62
; %bb.930:                              ;   in Loop: Header=BB285_554 Depth=1
	s_or_b32 exec_lo, exec_lo, s24
	v_lshlrev_b32_sdwa v2, v30, v2 dst_sel:DWORD dst_unused:UNUSED_PAD src0_sel:DWORD src1_sel:WORD_0
	v_lshl_add_u32 v63, v63, 10, 0x2000
	v_lshlrev_b32_e32 v62, 23, v62
	v_and_or_b32 v2, 0x8000, v2, v63
	v_lshl_or_b32 v62, v2, 16, v62
.LBB285_931:                            ;   in Loop: Header=BB285_554 Depth=1
	s_or_b32 exec_lo, exec_lo, s22
.LBB285_932:                            ;   in Loop: Header=BB285_554 Depth=1
	s_or_b32 exec_lo, exec_lo, s21
.LBB285_933:                            ;   in Loop: Header=BB285_554 Depth=1
	s_or_b32 exec_lo, exec_lo, s18
	v_lshrrev_b32_e32 v2, 16, v11
	v_cmp_ne_u16_sdwa s1, v2, v3 src0_sel:BYTE_0 src1_sel:DWORD
	s_and_saveexec_b32 s18, s1
	s_cbranch_execz .LBB285_941
; %bb.934:                              ;   in Loop: Header=BB285_554 Depth=1
	v_cmp_ne_u16_sdwa s1, v2, v16 src0_sel:BYTE_0 src1_sel:DWORD
	v_mov_b32_e32 v60, 0x8000
	s_and_saveexec_b32 s21, s1
	s_cbranch_execz .LBB285_940
; %bb.935:                              ;   in Loop: Header=BB285_554 Depth=1
	v_bfe_u32 v64, v11, 16, 7
	v_mov_b32_e32 v60, 0x7c01
	s_mov_b32 s22, exec_lo
	v_cmpx_ne_u32_e32 0x7f, v64
	s_cbranch_execz .LBB285_939
; %bb.936:                              ;   in Loop: Header=BB285_554 Depth=1
	v_and_b32_e32 v60, 7, v2
	v_lshrrev_b32_e32 v63, 3, v64
	s_mov_b32 s24, exec_lo
	v_cmpx_gt_u32_e32 8, v64
; %bb.937:                              ;   in Loop: Header=BB285_554 Depth=1
	v_ffbh_u32_e32 v60, v60
	v_min_u32_e32 v60, 32, v60
	v_subrev_nc_u32_e32 v63, 28, v60
	v_lshlrev_b64 v[64:65], v63, v[2:3]
	v_sub_nc_u32_e32 v63, 29, v60
	v_and_b32_e32 v60, 7, v64
; %bb.938:                              ;   in Loop: Header=BB285_554 Depth=1
	s_or_b32 exec_lo, exec_lo, s24
	v_lshlrev_b32_e32 v2, 8, v2
	v_lshl_add_u32 v63, v63, 10, 0x2000
	v_lshlrev_b32_e32 v60, 7, v60
	v_and_b32_e32 v2, 0x8000, v2
	v_and_b32_e32 v63, 0xfc00, v63
	v_or3_b32 v60, v2, v63, v60
.LBB285_939:                            ;   in Loop: Header=BB285_554 Depth=1
	s_or_b32 exec_lo, exec_lo, s22
.LBB285_940:                            ;   in Loop: Header=BB285_554 Depth=1
	s_or_b32 exec_lo, exec_lo, s21
.LBB285_941:                            ;   in Loop: Header=BB285_554 Depth=1
	s_or_b32 exec_lo, exec_lo, s18
	v_cmp_lt_u64_e64 s1, s[4:5], v[10:11]
	v_mov_b32_e32 v10, 0
	s_and_saveexec_b32 s18, s1
	s_cbranch_execz .LBB285_949
; %bb.942:                              ;   in Loop: Header=BB285_554 Depth=1
	v_lshrrev_b32_e32 v2, 24, v11
	v_bfrev_b32_e32 v10, 1
	s_mov_b32 s21, exec_lo
	v_cmpx_ne_u32_e32 0x80, v2
	s_cbranch_execz .LBB285_948
; %bb.943:                              ;   in Loop: Header=BB285_554 Depth=1
	v_and_b32_e32 v63, 0x7f, v2
	v_mov_b32_e32 v10, 0x7c010000
	s_mov_b32 s22, exec_lo
	v_cmpx_ne_u32_e32 0x7f, v63
	s_cbranch_execz .LBB285_947
; %bb.944:                              ;   in Loop: Header=BB285_554 Depth=1
	v_and_b32_e32 v10, 7, v2
	v_lshrrev_b32_e32 v11, 3, v63
	s_mov_b32 s24, exec_lo
	v_cmpx_gt_u32_e32 8, v63
; %bb.945:                              ;   in Loop: Header=BB285_554 Depth=1
	v_ffbh_u32_e32 v10, v10
	v_min_u32_e32 v63, 32, v10
	v_subrev_nc_u32_e32 v10, 28, v63
	v_lshlrev_b64 v[10:11], v10, v[2:3]
	v_sub_nc_u32_e32 v11, 29, v63
	v_and_b32_e32 v10, 7, v10
; %bb.946:                              ;   in Loop: Header=BB285_554 Depth=1
	s_or_b32 exec_lo, exec_lo, s24
	v_lshlrev_b32_e32 v2, 8, v2
	v_lshl_add_u32 v11, v11, 10, 0x2000
	v_lshlrev_b32_e32 v10, 23, v10
	v_and_or_b32 v2, 0x8000, v2, v11
	v_lshl_or_b32 v10, v2, 16, v10
.LBB285_947:                            ;   in Loop: Header=BB285_554 Depth=1
	s_or_b32 exec_lo, exec_lo, s22
.LBB285_948:                            ;   in Loop: Header=BB285_554 Depth=1
	s_or_b32 exec_lo, exec_lo, s21
.LBB285_949:                            ;   in Loop: Header=BB285_554 Depth=1
	s_or_b32 exec_lo, exec_lo, s18
	v_or_b32_e32 v2, v58, v59
	s_waitcnt vmcnt(0)
	v_fma_mixlo_f16 v11, v55, v58, 0 op_sel:[0,1,0] op_sel_hi:[0,1,0]
	v_or_b32_e32 v58, v56, v57
	v_fma_mixlo_f16 v56, v55, v56, 0 op_sel:[0,1,0] op_sel_hi:[0,1,0]
	v_or_b32_e32 v59, v62, v61
	v_or_b32_e32 v60, v10, v60
	v_fma_mixlo_f16 v61, v55, v2, 0 op_sel_hi:[0,1,0]
	v_fma_mixlo_f16 v10, v55, v10, 0 op_sel:[0,1,0] op_sel_hi:[0,1,0]
	v_lshlrev_b32_e32 v57, 16, v56
	v_fma_mixlo_f16 v56, v55, v58, 0 op_sel_hi:[0,1,0]
	v_fma_mixlo_f16 v58, v55, v62, 0 op_sel:[0,1,0] op_sel_hi:[0,1,0]
	v_fma_mixlo_f16 v59, v55, v59, 0 op_sel_hi:[0,1,0]
	v_fma_mixlo_f16 v60, v55, v60, 0 op_sel_hi:[0,1,0]
	v_lshlrev_b32_e32 v2, 16, v11
	v_and_b32_e32 v11, 0xffff, v61
	v_and_b32_e32 v63, 0xffff, v56
	v_lshlrev_b32_e32 v55, 16, v58
	v_and_b32_e32 v59, 0xffff, v59
	v_lshlrev_b32_e32 v10, 16, v10
	v_and_b32_e32 v56, 0xffff, v60
	v_or_b32_e32 v58, v2, v11
	v_or_b32_e32 v62, v57, v63
	v_or_b32_e32 v61, v55, v59
	v_or_b32_e32 v60, v10, v56
	s_and_saveexec_b32 s18, vcc_lo
	s_cbranch_execz .LBB285_951
; %bb.950:                              ;   in Loop: Header=BB285_554 Depth=1
	v_cmp_gt_i32_e64 s1, s31, v33
	v_cndmask_b32_e64 v58, 0, v63, s1
	v_cmp_gt_i32_e64 s1, s31, v41
	v_cndmask_b32_e64 v57, 0, v57, s1
	v_cmp_gt_i32_e64 s1, s31, v39
	v_or_b32_e32 v62, v57, v58
	v_cndmask_b32_e64 v11, 0, v11, s1
	v_cmp_gt_i32_e64 s1, s31, v38
	v_cndmask_b32_e64 v2, 0, v2, s1
	v_cmp_gt_i32_e64 s1, s31, v37
	v_or_b32_e32 v58, v2, v11
	;; [unrolled: 5-line block ×3, first 2 shown]
	v_cndmask_b32_e64 v56, 0, v56, s1
	v_cmp_gt_i32_e64 s1, s31, v34
	v_cndmask_b32_e64 v10, 0, v10, s1
	v_or_b32_e32 v60, v10, v56
.LBB285_951:                            ;   in Loop: Header=BB285_554 Depth=1
	s_or_b32 exec_lo, exec_lo, s18
	;;#ASMSTART
	v_pk_mul_f16 v2, v46, v62;

	;;#ASMEND
	;;#ASMSTART
	v_pk_mul_f16 v10, v45, v58;

	;;#ASMEND
	;; [unrolled: 4-line block ×4, first 2 shown]
	;;#ASMSTART
	v_pk_add_f16 v2, v2, v10;

	;;#ASMEND
	;;#ASMSTART
	v_pk_add_f16 v2, v2, v11;

	;;#ASMEND
	;; [unrolled: 4-line block ×3, first 2 shown]
	v_and_b32_e32 v10, 0xffff, v2
	v_lshrrev_b32_e32 v2, 16, v2
	;;#ASMSTART
	v_cvt_f32_f16 v55, v10;
	;;#ASMEND
	;;#ASMSTART
	v_cvt_f32_f16 v56, v2;
	;;#ASMEND
	global_load_dwordx2 v[10:11], v[8:9], off offset:1536
	v_mov_b32_e32 v58, 0
	v_mov_b32_e32 v59, 0
	global_load_dword v57, v58, s[14:15]
	s_waitcnt vmcnt(1)
	v_cmp_ne_u16_sdwa s1, v10, v3 src0_sel:BYTE_0 src1_sel:DWORD
	s_and_saveexec_b32 s18, s1
	s_cbranch_execz .LBB285_959
; %bb.952:                              ;   in Loop: Header=BB285_554 Depth=1
	v_cmp_ne_u16_sdwa s1, v10, v16 src0_sel:BYTE_0 src1_sel:DWORD
	v_mov_b32_e32 v59, 0x8000
	s_and_saveexec_b32 s21, s1
	s_cbranch_execz .LBB285_958
; %bb.953:                              ;   in Loop: Header=BB285_554 Depth=1
	v_and_b32_e32 v60, 0x7f, v10
	v_mov_b32_e32 v59, 0x7c01
	s_mov_b32 s22, exec_lo
	v_cmpx_ne_u32_e32 0x7f, v60
	s_cbranch_execz .LBB285_957
; %bb.954:                              ;   in Loop: Header=BB285_554 Depth=1
	v_and_b32_e32 v2, 7, v10
	v_lshrrev_b32_e32 v59, 3, v60
	s_mov_b32 s24, exec_lo
	v_cmpx_gt_u32_e32 8, v60
; %bb.955:                              ;   in Loop: Header=BB285_554 Depth=1
	v_ffbh_u32_e32 v2, v2
	v_min_u32_e32 v2, 32, v2
	v_subrev_nc_u32_e32 v59, 28, v2
	v_lshlrev_b64 v[60:61], v59, v[10:11]
	v_sub_nc_u32_e32 v59, 29, v2
	v_and_b32_e32 v2, 7, v60
; %bb.956:                              ;   in Loop: Header=BB285_554 Depth=1
	s_or_b32 exec_lo, exec_lo, s24
	v_lshlrev_b32_e32 v60, 8, v10
	v_lshl_add_u32 v59, v59, 10, 0x2000
	v_lshlrev_b32_e32 v2, 7, v2
	v_and_b32_e32 v60, 0x8000, v60
	v_and_b32_e32 v59, 0xfc00, v59
	v_or3_b32 v59, v60, v59, v2
.LBB285_957:                            ;   in Loop: Header=BB285_554 Depth=1
	s_or_b32 exec_lo, exec_lo, s22
.LBB285_958:                            ;   in Loop: Header=BB285_554 Depth=1
	s_or_b32 exec_lo, exec_lo, s21
.LBB285_959:                            ;   in Loop: Header=BB285_554 Depth=1
	s_or_b32 exec_lo, exec_lo, s18
	v_lshrrev_b16 v2, 8, v10
	s_mov_b32 s18, exec_lo
	v_cmpx_ne_u16_e32 0, v2
	s_cbranch_execz .LBB285_967
; %bb.960:                              ;   in Loop: Header=BB285_554 Depth=1
	v_bfrev_b32_e32 v58, 1
	s_mov_b32 s21, exec_lo
	v_cmpx_ne_u16_e32 0x80, v2
	s_cbranch_execz .LBB285_966
; %bb.961:                              ;   in Loop: Header=BB285_554 Depth=1
	v_and_b32_sdwa v61, v2, v28 dst_sel:DWORD dst_unused:UNUSED_PAD src0_sel:WORD_0 src1_sel:DWORD
	v_mov_b32_e32 v58, 0x7c010000
	s_mov_b32 s22, exec_lo
	v_cmpx_ne_u32_e32 0x7f, v61
	s_cbranch_execz .LBB285_965
; %bb.962:                              ;   in Loop: Header=BB285_554 Depth=1
	v_and_b32_sdwa v58, v2, v29 dst_sel:DWORD dst_unused:UNUSED_PAD src0_sel:WORD_0 src1_sel:DWORD
	v_lshrrev_b32_e32 v60, 3, v61
	s_mov_b32 s24, exec_lo
	v_cmpx_gt_u32_e32 8, v61
; %bb.963:                              ;   in Loop: Header=BB285_554 Depth=1
	v_ffbh_u32_e32 v58, v58
	v_min_u32_e32 v58, 32, v58
	v_subrev_nc_u32_e32 v60, 28, v58
	v_lshlrev_b64 v[61:62], v60, v[2:3]
	v_sub_nc_u32_e32 v60, 29, v58
	v_and_b32_e32 v58, 7, v61
; %bb.964:                              ;   in Loop: Header=BB285_554 Depth=1
	s_or_b32 exec_lo, exec_lo, s24
	v_lshlrev_b32_sdwa v2, v30, v2 dst_sel:DWORD dst_unused:UNUSED_PAD src0_sel:DWORD src1_sel:WORD_0
	v_lshl_add_u32 v60, v60, 10, 0x2000
	v_lshlrev_b32_e32 v58, 23, v58
	v_and_or_b32 v2, 0x8000, v2, v60
	v_lshl_or_b32 v58, v2, 16, v58
.LBB285_965:                            ;   in Loop: Header=BB285_554 Depth=1
	s_or_b32 exec_lo, exec_lo, s22
.LBB285_966:                            ;   in Loop: Header=BB285_554 Depth=1
	s_or_b32 exec_lo, exec_lo, s21
.LBB285_967:                            ;   in Loop: Header=BB285_554 Depth=1
	s_or_b32 exec_lo, exec_lo, s18
	v_lshrrev_b32_e32 v2, 16, v10
	v_mov_b32_e32 v60, 0
	v_mov_b32_e32 v61, 0
	v_cmp_ne_u16_sdwa s1, v2, v3 src0_sel:BYTE_0 src1_sel:DWORD
	s_and_saveexec_b32 s18, s1
	s_cbranch_execz .LBB285_975
; %bb.968:                              ;   in Loop: Header=BB285_554 Depth=1
	v_cmp_ne_u16_sdwa s1, v2, v16 src0_sel:BYTE_0 src1_sel:DWORD
	v_mov_b32_e32 v61, 0x8000
	s_and_saveexec_b32 s21, s1
	s_cbranch_execz .LBB285_974
; %bb.969:                              ;   in Loop: Header=BB285_554 Depth=1
	v_bfe_u32 v63, v10, 16, 7
	v_mov_b32_e32 v61, 0x7c01
	s_mov_b32 s22, exec_lo
	v_cmpx_ne_u32_e32 0x7f, v63
	s_cbranch_execz .LBB285_973
; %bb.970:                              ;   in Loop: Header=BB285_554 Depth=1
	v_and_b32_e32 v61, 7, v2
	v_lshrrev_b32_e32 v62, 3, v63
	s_mov_b32 s24, exec_lo
	v_cmpx_gt_u32_e32 8, v63
; %bb.971:                              ;   in Loop: Header=BB285_554 Depth=1
	v_ffbh_u32_e32 v61, v61
	v_min_u32_e32 v63, 32, v61
	v_subrev_nc_u32_e32 v61, 28, v63
	v_lshlrev_b64 v[61:62], v61, v[2:3]
	v_sub_nc_u32_e32 v62, 29, v63
	v_and_b32_e32 v61, 7, v61
; %bb.972:                              ;   in Loop: Header=BB285_554 Depth=1
	s_or_b32 exec_lo, exec_lo, s24
	v_lshlrev_b32_e32 v2, 8, v2
	v_lshl_add_u32 v62, v62, 10, 0x2000
	v_lshlrev_b32_e32 v61, 7, v61
	v_and_b32_e32 v2, 0x8000, v2
	v_and_b32_e32 v62, 0xfc00, v62
	v_or3_b32 v61, v2, v62, v61
.LBB285_973:                            ;   in Loop: Header=BB285_554 Depth=1
	s_or_b32 exec_lo, exec_lo, s22
.LBB285_974:                            ;   in Loop: Header=BB285_554 Depth=1
	s_or_b32 exec_lo, exec_lo, s21
.LBB285_975:                            ;   in Loop: Header=BB285_554 Depth=1
	s_or_b32 exec_lo, exec_lo, s18
	s_mov_b32 s18, exec_lo
	v_cmpx_lt_u32_e32 0xffffff, v10
	s_cbranch_execz .LBB285_983
; %bb.976:                              ;   in Loop: Header=BB285_554 Depth=1
	v_lshrrev_b32_e32 v2, 24, v10
	v_bfrev_b32_e32 v60, 1
	s_mov_b32 s21, exec_lo
	v_cmpx_ne_u32_e32 0x80, v2
	s_cbranch_execz .LBB285_982
; %bb.977:                              ;   in Loop: Header=BB285_554 Depth=1
	v_and_b32_e32 v63, 0x7f, v2
	v_mov_b32_e32 v60, 0x7c010000
	s_mov_b32 s22, exec_lo
	v_cmpx_ne_u32_e32 0x7f, v63
	s_cbranch_execz .LBB285_981
; %bb.978:                              ;   in Loop: Header=BB285_554 Depth=1
	v_and_b32_e32 v60, 7, v2
	v_lshrrev_b32_e32 v62, 3, v63
	s_mov_b32 s24, exec_lo
	v_cmpx_gt_u32_e32 8, v63
; %bb.979:                              ;   in Loop: Header=BB285_554 Depth=1
	v_ffbh_u32_e32 v60, v60
	v_min_u32_e32 v60, 32, v60
	v_subrev_nc_u32_e32 v62, 28, v60
	v_lshlrev_b64 v[63:64], v62, v[2:3]
	v_sub_nc_u32_e32 v62, 29, v60
	v_and_b32_e32 v60, 7, v63
; %bb.980:                              ;   in Loop: Header=BB285_554 Depth=1
	s_or_b32 exec_lo, exec_lo, s24
	v_lshlrev_b32_e32 v2, 8, v2
	v_lshl_add_u32 v62, v62, 10, 0x2000
	v_lshlrev_b32_e32 v60, 23, v60
	v_and_or_b32 v2, 0x8000, v2, v62
	v_lshl_or_b32 v60, v2, 16, v60
.LBB285_981:                            ;   in Loop: Header=BB285_554 Depth=1
	s_or_b32 exec_lo, exec_lo, s22
.LBB285_982:                            ;   in Loop: Header=BB285_554 Depth=1
	s_or_b32 exec_lo, exec_lo, s21
.LBB285_983:                            ;   in Loop: Header=BB285_554 Depth=1
	s_or_b32 exec_lo, exec_lo, s18
	v_mov_b32_e32 v2, v11
	v_cmp_ne_u16_sdwa s1, v11, v3 src0_sel:BYTE_0 src1_sel:DWORD
	v_mov_b32_e32 v62, 0
	v_mov_b32_e32 v63, 0
	s_and_saveexec_b32 s18, s1
	s_cbranch_execz .LBB285_991
; %bb.984:                              ;   in Loop: Header=BB285_554 Depth=1
	v_cmp_ne_u16_sdwa s1, v11, v16 src0_sel:BYTE_0 src1_sel:DWORD
	v_mov_b32_e32 v63, 0x8000
	s_and_saveexec_b32 s21, s1
	s_cbranch_execz .LBB285_990
; %bb.985:                              ;   in Loop: Header=BB285_554 Depth=1
	v_and_b32_e32 v65, 0x7f, v11
	v_mov_b32_e32 v63, 0x7c01
	s_mov_b32 s22, exec_lo
	v_cmpx_ne_u32_e32 0x7f, v65
	s_cbranch_execz .LBB285_989
; %bb.986:                              ;   in Loop: Header=BB285_554 Depth=1
	v_and_b32_e32 v63, 7, v11
	v_lshrrev_b32_e32 v64, 3, v65
	s_mov_b32 s24, exec_lo
	v_cmpx_gt_u32_e32 8, v65
; %bb.987:                              ;   in Loop: Header=BB285_554 Depth=1
	v_ffbh_u32_e32 v63, v63
	v_min_u32_e32 v65, 32, v63
	v_subrev_nc_u32_e32 v63, 28, v65
	v_lshlrev_b64 v[63:64], v63, v[2:3]
	v_sub_nc_u32_e32 v64, 29, v65
	v_and_b32_e32 v63, 7, v63
; %bb.988:                              ;   in Loop: Header=BB285_554 Depth=1
	s_or_b32 exec_lo, exec_lo, s24
	v_lshlrev_b32_e32 v65, 8, v11
	v_lshl_add_u32 v64, v64, 10, 0x2000
	v_lshlrev_b32_e32 v63, 7, v63
	v_and_b32_e32 v65, 0x8000, v65
	v_and_b32_e32 v64, 0xfc00, v64
	v_or3_b32 v63, v65, v64, v63
.LBB285_989:                            ;   in Loop: Header=BB285_554 Depth=1
	s_or_b32 exec_lo, exec_lo, s22
.LBB285_990:                            ;   in Loop: Header=BB285_554 Depth=1
	s_or_b32 exec_lo, exec_lo, s21
.LBB285_991:                            ;   in Loop: Header=BB285_554 Depth=1
	s_or_b32 exec_lo, exec_lo, s18
	v_lshrrev_b16 v2, 8, v2
	v_mov_b32_e32 v64, 0
	s_mov_b32 s18, exec_lo
	v_cmpx_ne_u16_e32 0, v2
	s_cbranch_execz .LBB285_999
; %bb.992:                              ;   in Loop: Header=BB285_554 Depth=1
	v_bfrev_b32_e32 v64, 1
	s_mov_b32 s21, exec_lo
	v_cmpx_ne_u16_e32 0x80, v2
	s_cbranch_execz .LBB285_998
; %bb.993:                              ;   in Loop: Header=BB285_554 Depth=1
	v_and_b32_sdwa v66, v2, v28 dst_sel:DWORD dst_unused:UNUSED_PAD src0_sel:WORD_0 src1_sel:DWORD
	v_mov_b32_e32 v64, 0x7c010000
	s_mov_b32 s22, exec_lo
	v_cmpx_ne_u32_e32 0x7f, v66
	s_cbranch_execz .LBB285_997
; %bb.994:                              ;   in Loop: Header=BB285_554 Depth=1
	v_and_b32_sdwa v64, v2, v29 dst_sel:DWORD dst_unused:UNUSED_PAD src0_sel:WORD_0 src1_sel:DWORD
	v_lshrrev_b32_e32 v65, 3, v66
	s_mov_b32 s24, exec_lo
	v_cmpx_gt_u32_e32 8, v66
; %bb.995:                              ;   in Loop: Header=BB285_554 Depth=1
	v_ffbh_u32_e32 v64, v64
	v_min_u32_e32 v66, 32, v64
	v_subrev_nc_u32_e32 v64, 28, v66
	v_lshlrev_b64 v[64:65], v64, v[2:3]
	v_sub_nc_u32_e32 v65, 29, v66
	v_and_b32_e32 v64, 7, v64
; %bb.996:                              ;   in Loop: Header=BB285_554 Depth=1
	s_or_b32 exec_lo, exec_lo, s24
	v_lshlrev_b32_sdwa v2, v30, v2 dst_sel:DWORD dst_unused:UNUSED_PAD src0_sel:DWORD src1_sel:WORD_0
	v_lshl_add_u32 v65, v65, 10, 0x2000
	v_lshlrev_b32_e32 v64, 23, v64
	v_and_or_b32 v2, 0x8000, v2, v65
	v_lshl_or_b32 v64, v2, 16, v64
.LBB285_997:                            ;   in Loop: Header=BB285_554 Depth=1
	s_or_b32 exec_lo, exec_lo, s22
.LBB285_998:                            ;   in Loop: Header=BB285_554 Depth=1
	s_or_b32 exec_lo, exec_lo, s21
.LBB285_999:                            ;   in Loop: Header=BB285_554 Depth=1
	s_or_b32 exec_lo, exec_lo, s18
	v_lshrrev_b32_e32 v2, 16, v11
	v_cmp_ne_u16_sdwa s1, v2, v3 src0_sel:BYTE_0 src1_sel:DWORD
	s_and_saveexec_b32 s18, s1
	s_cbranch_execz .LBB285_1007
; %bb.1000:                             ;   in Loop: Header=BB285_554 Depth=1
	v_cmp_ne_u16_sdwa s1, v2, v16 src0_sel:BYTE_0 src1_sel:DWORD
	v_mov_b32_e32 v62, 0x8000
	s_and_saveexec_b32 s21, s1
	s_cbranch_execz .LBB285_1006
; %bb.1001:                             ;   in Loop: Header=BB285_554 Depth=1
	v_bfe_u32 v66, v11, 16, 7
	v_mov_b32_e32 v62, 0x7c01
	s_mov_b32 s22, exec_lo
	v_cmpx_ne_u32_e32 0x7f, v66
	s_cbranch_execz .LBB285_1005
; %bb.1002:                             ;   in Loop: Header=BB285_554 Depth=1
	v_and_b32_e32 v62, 7, v2
	v_lshrrev_b32_e32 v65, 3, v66
	s_mov_b32 s24, exec_lo
	v_cmpx_gt_u32_e32 8, v66
; %bb.1003:                             ;   in Loop: Header=BB285_554 Depth=1
	v_ffbh_u32_e32 v62, v62
	v_min_u32_e32 v62, 32, v62
	v_subrev_nc_u32_e32 v65, 28, v62
	v_lshlrev_b64 v[66:67], v65, v[2:3]
	v_sub_nc_u32_e32 v65, 29, v62
	v_and_b32_e32 v62, 7, v66
; %bb.1004:                             ;   in Loop: Header=BB285_554 Depth=1
	s_or_b32 exec_lo, exec_lo, s24
	v_lshlrev_b32_e32 v2, 8, v2
	v_lshl_add_u32 v65, v65, 10, 0x2000
	v_lshlrev_b32_e32 v62, 7, v62
	v_and_b32_e32 v2, 0x8000, v2
	v_and_b32_e32 v65, 0xfc00, v65
	v_or3_b32 v62, v2, v65, v62
.LBB285_1005:                           ;   in Loop: Header=BB285_554 Depth=1
	s_or_b32 exec_lo, exec_lo, s22
.LBB285_1006:                           ;   in Loop: Header=BB285_554 Depth=1
	s_or_b32 exec_lo, exec_lo, s21
.LBB285_1007:                           ;   in Loop: Header=BB285_554 Depth=1
	s_or_b32 exec_lo, exec_lo, s18
	v_cmp_lt_u64_e64 s1, s[4:5], v[10:11]
	v_mov_b32_e32 v10, 0
	s_and_saveexec_b32 s18, s1
	s_cbranch_execz .LBB285_1015
; %bb.1008:                             ;   in Loop: Header=BB285_554 Depth=1
	v_lshrrev_b32_e32 v2, 24, v11
	v_bfrev_b32_e32 v10, 1
	s_mov_b32 s21, exec_lo
	v_cmpx_ne_u32_e32 0x80, v2
	s_cbranch_execz .LBB285_1014
; %bb.1009:                             ;   in Loop: Header=BB285_554 Depth=1
	v_and_b32_e32 v65, 0x7f, v2
	v_mov_b32_e32 v10, 0x7c010000
	s_mov_b32 s22, exec_lo
	v_cmpx_ne_u32_e32 0x7f, v65
	s_cbranch_execz .LBB285_1013
; %bb.1010:                             ;   in Loop: Header=BB285_554 Depth=1
	v_and_b32_e32 v10, 7, v2
	v_lshrrev_b32_e32 v11, 3, v65
	s_mov_b32 s24, exec_lo
	v_cmpx_gt_u32_e32 8, v65
; %bb.1011:                             ;   in Loop: Header=BB285_554 Depth=1
	v_ffbh_u32_e32 v10, v10
	v_min_u32_e32 v65, 32, v10
	v_subrev_nc_u32_e32 v10, 28, v65
	v_lshlrev_b64 v[10:11], v10, v[2:3]
	v_sub_nc_u32_e32 v11, 29, v65
	v_and_b32_e32 v10, 7, v10
; %bb.1012:                             ;   in Loop: Header=BB285_554 Depth=1
	s_or_b32 exec_lo, exec_lo, s24
	v_lshlrev_b32_e32 v2, 8, v2
	v_lshl_add_u32 v11, v11, 10, 0x2000
	v_lshlrev_b32_e32 v10, 23, v10
	v_and_or_b32 v2, 0x8000, v2, v11
	v_lshl_or_b32 v10, v2, 16, v10
.LBB285_1013:                           ;   in Loop: Header=BB285_554 Depth=1
	s_or_b32 exec_lo, exec_lo, s22
.LBB285_1014:                           ;   in Loop: Header=BB285_554 Depth=1
	s_or_b32 exec_lo, exec_lo, s21
.LBB285_1015:                           ;   in Loop: Header=BB285_554 Depth=1
	s_or_b32 exec_lo, exec_lo, s18
	v_or_b32_e32 v2, v60, v61
	s_waitcnt vmcnt(0)
	v_fma_mixlo_f16 v11, v57, v60, 0 op_sel:[0,1,0] op_sel_hi:[0,1,0]
	v_or_b32_e32 v60, v58, v59
	v_fma_mixlo_f16 v58, v57, v58, 0 op_sel:[0,1,0] op_sel_hi:[0,1,0]
	v_or_b32_e32 v61, v64, v63
	v_or_b32_e32 v62, v10, v62
	v_fma_mixlo_f16 v63, v57, v2, 0 op_sel_hi:[0,1,0]
	v_fma_mixlo_f16 v10, v57, v10, 0 op_sel:[0,1,0] op_sel_hi:[0,1,0]
	v_lshlrev_b32_e32 v59, 16, v58
	v_fma_mixlo_f16 v58, v57, v60, 0 op_sel_hi:[0,1,0]
	v_fma_mixlo_f16 v60, v57, v64, 0 op_sel:[0,1,0] op_sel_hi:[0,1,0]
	v_fma_mixlo_f16 v61, v57, v61, 0 op_sel_hi:[0,1,0]
	v_fma_mixlo_f16 v62, v57, v62, 0 op_sel_hi:[0,1,0]
	v_lshlrev_b32_e32 v2, 16, v11
	v_and_b32_e32 v11, 0xffff, v63
	v_and_b32_e32 v65, 0xffff, v58
	v_lshlrev_b32_e32 v57, 16, v60
	v_and_b32_e32 v61, 0xffff, v61
	v_lshlrev_b32_e32 v10, 16, v10
	v_and_b32_e32 v58, 0xffff, v62
	v_or_b32_e32 v60, v2, v11
	v_or_b32_e32 v64, v59, v65
	;; [unrolled: 1-line block ×4, first 2 shown]
	s_and_saveexec_b32 s18, vcc_lo
	s_cbranch_execz .LBB285_1017
; %bb.1016:                             ;   in Loop: Header=BB285_554 Depth=1
	v_cmp_gt_i32_e64 s1, s31, v33
	v_cndmask_b32_e64 v60, 0, v65, s1
	v_cmp_gt_i32_e64 s1, s31, v41
	v_cndmask_b32_e64 v59, 0, v59, s1
	v_cmp_gt_i32_e64 s1, s31, v39
	v_or_b32_e32 v64, v59, v60
	v_cndmask_b32_e64 v11, 0, v11, s1
	v_cmp_gt_i32_e64 s1, s31, v38
	v_cndmask_b32_e64 v2, 0, v2, s1
	v_cmp_gt_i32_e64 s1, s31, v37
	v_or_b32_e32 v60, v2, v11
	;; [unrolled: 5-line block ×3, first 2 shown]
	v_cndmask_b32_e64 v58, 0, v58, s1
	v_cmp_gt_i32_e64 s1, s31, v34
	v_cndmask_b32_e64 v10, 0, v10, s1
	v_or_b32_e32 v62, v10, v58
.LBB285_1017:                           ;   in Loop: Header=BB285_554 Depth=1
	s_or_b32 exec_lo, exec_lo, s18
	;;#ASMSTART
	v_pk_mul_f16 v2, v46, v64;

	;;#ASMEND
	;;#ASMSTART
	v_pk_mul_f16 v10, v45, v60;

	;;#ASMEND
	;; [unrolled: 4-line block ×4, first 2 shown]
	;;#ASMSTART
	v_pk_add_f16 v2, v2, v10;

	;;#ASMEND
	;;#ASMSTART
	v_pk_add_f16 v2, v2, v11;

	;;#ASMEND
	;; [unrolled: 4-line block ×3, first 2 shown]
	v_and_b32_e32 v10, 0xffff, v2
	v_lshrrev_b32_e32 v2, 16, v2
	;;#ASMSTART
	v_cvt_f32_f16 v10, v10;
	;;#ASMEND
	;;#ASMSTART
	v_cvt_f32_f16 v11, v2;
	;;#ASMEND
	global_load_dwordx2 v[8:9], v[8:9], off offset:1792
	v_mov_b32_e32 v58, 0
	v_mov_b32_e32 v59, 0
	global_load_dword v57, v58, s[14:15]
	s_waitcnt vmcnt(1)
	v_cmp_ne_u16_sdwa s1, v8, v3 src0_sel:BYTE_0 src1_sel:DWORD
	s_and_saveexec_b32 s18, s1
	s_cbranch_execz .LBB285_1025
; %bb.1018:                             ;   in Loop: Header=BB285_554 Depth=1
	v_cmp_ne_u16_sdwa s1, v8, v16 src0_sel:BYTE_0 src1_sel:DWORD
	v_mov_b32_e32 v59, 0x8000
	s_and_saveexec_b32 s21, s1
	s_cbranch_execz .LBB285_1024
; %bb.1019:                             ;   in Loop: Header=BB285_554 Depth=1
	v_and_b32_e32 v60, 0x7f, v8
	v_mov_b32_e32 v59, 0x7c01
	s_mov_b32 s22, exec_lo
	v_cmpx_ne_u32_e32 0x7f, v60
	s_cbranch_execz .LBB285_1023
; %bb.1020:                             ;   in Loop: Header=BB285_554 Depth=1
	v_and_b32_e32 v2, 7, v8
	v_lshrrev_b32_e32 v59, 3, v60
	s_mov_b32 s24, exec_lo
	v_cmpx_gt_u32_e32 8, v60
; %bb.1021:                             ;   in Loop: Header=BB285_554 Depth=1
	v_ffbh_u32_e32 v2, v2
	v_min_u32_e32 v2, 32, v2
	v_subrev_nc_u32_e32 v59, 28, v2
	v_lshlrev_b64 v[60:61], v59, v[8:9]
	v_sub_nc_u32_e32 v59, 29, v2
	v_and_b32_e32 v2, 7, v60
; %bb.1022:                             ;   in Loop: Header=BB285_554 Depth=1
	s_or_b32 exec_lo, exec_lo, s24
	v_lshlrev_b32_e32 v60, 8, v8
	v_lshl_add_u32 v59, v59, 10, 0x2000
	v_lshlrev_b32_e32 v2, 7, v2
	v_and_b32_e32 v60, 0x8000, v60
	v_and_b32_e32 v59, 0xfc00, v59
	v_or3_b32 v59, v60, v59, v2
.LBB285_1023:                           ;   in Loop: Header=BB285_554 Depth=1
	s_or_b32 exec_lo, exec_lo, s22
.LBB285_1024:                           ;   in Loop: Header=BB285_554 Depth=1
	s_or_b32 exec_lo, exec_lo, s21
.LBB285_1025:                           ;   in Loop: Header=BB285_554 Depth=1
	s_or_b32 exec_lo, exec_lo, s18
	v_lshrrev_b16 v2, 8, v8
	s_mov_b32 s18, exec_lo
	v_cmpx_ne_u16_e32 0, v2
	s_cbranch_execz .LBB285_1033
; %bb.1026:                             ;   in Loop: Header=BB285_554 Depth=1
	v_bfrev_b32_e32 v58, 1
	s_mov_b32 s21, exec_lo
	v_cmpx_ne_u16_e32 0x80, v2
	s_cbranch_execz .LBB285_1032
; %bb.1027:                             ;   in Loop: Header=BB285_554 Depth=1
	v_and_b32_sdwa v61, v2, v28 dst_sel:DWORD dst_unused:UNUSED_PAD src0_sel:WORD_0 src1_sel:DWORD
	v_mov_b32_e32 v58, 0x7c010000
	s_mov_b32 s22, exec_lo
	v_cmpx_ne_u32_e32 0x7f, v61
	s_cbranch_execz .LBB285_1031
; %bb.1028:                             ;   in Loop: Header=BB285_554 Depth=1
	v_and_b32_sdwa v58, v2, v29 dst_sel:DWORD dst_unused:UNUSED_PAD src0_sel:WORD_0 src1_sel:DWORD
	v_lshrrev_b32_e32 v60, 3, v61
	s_mov_b32 s24, exec_lo
	v_cmpx_gt_u32_e32 8, v61
; %bb.1029:                             ;   in Loop: Header=BB285_554 Depth=1
	v_ffbh_u32_e32 v58, v58
	v_min_u32_e32 v58, 32, v58
	v_subrev_nc_u32_e32 v60, 28, v58
	v_lshlrev_b64 v[61:62], v60, v[2:3]
	v_sub_nc_u32_e32 v60, 29, v58
	v_and_b32_e32 v58, 7, v61
; %bb.1030:                             ;   in Loop: Header=BB285_554 Depth=1
	s_or_b32 exec_lo, exec_lo, s24
	v_lshlrev_b32_sdwa v2, v30, v2 dst_sel:DWORD dst_unused:UNUSED_PAD src0_sel:DWORD src1_sel:WORD_0
	v_lshl_add_u32 v60, v60, 10, 0x2000
	v_lshlrev_b32_e32 v58, 23, v58
	v_and_or_b32 v2, 0x8000, v2, v60
	v_lshl_or_b32 v58, v2, 16, v58
.LBB285_1031:                           ;   in Loop: Header=BB285_554 Depth=1
	s_or_b32 exec_lo, exec_lo, s22
.LBB285_1032:                           ;   in Loop: Header=BB285_554 Depth=1
	s_or_b32 exec_lo, exec_lo, s21
.LBB285_1033:                           ;   in Loop: Header=BB285_554 Depth=1
	s_or_b32 exec_lo, exec_lo, s18
	v_lshrrev_b32_e32 v2, 16, v8
	v_mov_b32_e32 v60, 0
	v_mov_b32_e32 v61, 0
	v_cmp_ne_u16_sdwa s1, v2, v3 src0_sel:BYTE_0 src1_sel:DWORD
	s_and_saveexec_b32 s18, s1
	s_cbranch_execz .LBB285_1041
; %bb.1034:                             ;   in Loop: Header=BB285_554 Depth=1
	v_cmp_ne_u16_sdwa s1, v2, v16 src0_sel:BYTE_0 src1_sel:DWORD
	v_mov_b32_e32 v61, 0x8000
	s_and_saveexec_b32 s21, s1
	s_cbranch_execz .LBB285_1040
; %bb.1035:                             ;   in Loop: Header=BB285_554 Depth=1
	v_bfe_u32 v63, v8, 16, 7
	v_mov_b32_e32 v61, 0x7c01
	s_mov_b32 s22, exec_lo
	v_cmpx_ne_u32_e32 0x7f, v63
	s_cbranch_execz .LBB285_1039
; %bb.1036:                             ;   in Loop: Header=BB285_554 Depth=1
	v_and_b32_e32 v61, 7, v2
	v_lshrrev_b32_e32 v62, 3, v63
	s_mov_b32 s24, exec_lo
	v_cmpx_gt_u32_e32 8, v63
; %bb.1037:                             ;   in Loop: Header=BB285_554 Depth=1
	v_ffbh_u32_e32 v61, v61
	v_min_u32_e32 v63, 32, v61
	v_subrev_nc_u32_e32 v61, 28, v63
	v_lshlrev_b64 v[61:62], v61, v[2:3]
	v_sub_nc_u32_e32 v62, 29, v63
	v_and_b32_e32 v61, 7, v61
; %bb.1038:                             ;   in Loop: Header=BB285_554 Depth=1
	s_or_b32 exec_lo, exec_lo, s24
	v_lshlrev_b32_e32 v2, 8, v2
	v_lshl_add_u32 v62, v62, 10, 0x2000
	v_lshlrev_b32_e32 v61, 7, v61
	v_and_b32_e32 v2, 0x8000, v2
	v_and_b32_e32 v62, 0xfc00, v62
	v_or3_b32 v61, v2, v62, v61
.LBB285_1039:                           ;   in Loop: Header=BB285_554 Depth=1
	s_or_b32 exec_lo, exec_lo, s22
.LBB285_1040:                           ;   in Loop: Header=BB285_554 Depth=1
	s_or_b32 exec_lo, exec_lo, s21
.LBB285_1041:                           ;   in Loop: Header=BB285_554 Depth=1
	s_or_b32 exec_lo, exec_lo, s18
	s_mov_b32 s18, exec_lo
	v_cmpx_lt_u32_e32 0xffffff, v8
	s_cbranch_execz .LBB285_1049
; %bb.1042:                             ;   in Loop: Header=BB285_554 Depth=1
	v_lshrrev_b32_e32 v2, 24, v8
	v_bfrev_b32_e32 v60, 1
	s_mov_b32 s21, exec_lo
	v_cmpx_ne_u32_e32 0x80, v2
	s_cbranch_execz .LBB285_1048
; %bb.1043:                             ;   in Loop: Header=BB285_554 Depth=1
	v_and_b32_e32 v63, 0x7f, v2
	v_mov_b32_e32 v60, 0x7c010000
	s_mov_b32 s22, exec_lo
	v_cmpx_ne_u32_e32 0x7f, v63
	s_cbranch_execz .LBB285_1047
; %bb.1044:                             ;   in Loop: Header=BB285_554 Depth=1
	v_and_b32_e32 v60, 7, v2
	v_lshrrev_b32_e32 v62, 3, v63
	s_mov_b32 s24, exec_lo
	v_cmpx_gt_u32_e32 8, v63
; %bb.1045:                             ;   in Loop: Header=BB285_554 Depth=1
	v_ffbh_u32_e32 v60, v60
	v_min_u32_e32 v60, 32, v60
	v_subrev_nc_u32_e32 v62, 28, v60
	v_lshlrev_b64 v[63:64], v62, v[2:3]
	v_sub_nc_u32_e32 v62, 29, v60
	v_and_b32_e32 v60, 7, v63
; %bb.1046:                             ;   in Loop: Header=BB285_554 Depth=1
	s_or_b32 exec_lo, exec_lo, s24
	v_lshlrev_b32_e32 v2, 8, v2
	v_lshl_add_u32 v62, v62, 10, 0x2000
	v_lshlrev_b32_e32 v60, 23, v60
	v_and_or_b32 v2, 0x8000, v2, v62
	v_lshl_or_b32 v60, v2, 16, v60
.LBB285_1047:                           ;   in Loop: Header=BB285_554 Depth=1
	s_or_b32 exec_lo, exec_lo, s22
.LBB285_1048:                           ;   in Loop: Header=BB285_554 Depth=1
	s_or_b32 exec_lo, exec_lo, s21
.LBB285_1049:                           ;   in Loop: Header=BB285_554 Depth=1
	s_or_b32 exec_lo, exec_lo, s18
	v_mov_b32_e32 v2, v9
	v_cmp_ne_u16_sdwa s1, v9, v3 src0_sel:BYTE_0 src1_sel:DWORD
	v_mov_b32_e32 v62, 0
	v_mov_b32_e32 v63, 0
	s_and_saveexec_b32 s18, s1
	s_cbranch_execz .LBB285_1057
; %bb.1050:                             ;   in Loop: Header=BB285_554 Depth=1
	v_cmp_ne_u16_sdwa s1, v9, v16 src0_sel:BYTE_0 src1_sel:DWORD
	v_mov_b32_e32 v63, 0x8000
	s_and_saveexec_b32 s21, s1
	s_cbranch_execz .LBB285_1056
; %bb.1051:                             ;   in Loop: Header=BB285_554 Depth=1
	v_and_b32_e32 v65, 0x7f, v9
	v_mov_b32_e32 v63, 0x7c01
	s_mov_b32 s22, exec_lo
	v_cmpx_ne_u32_e32 0x7f, v65
	s_cbranch_execz .LBB285_1055
; %bb.1052:                             ;   in Loop: Header=BB285_554 Depth=1
	v_and_b32_e32 v63, 7, v9
	v_lshrrev_b32_e32 v64, 3, v65
	s_mov_b32 s24, exec_lo
	v_cmpx_gt_u32_e32 8, v65
; %bb.1053:                             ;   in Loop: Header=BB285_554 Depth=1
	v_ffbh_u32_e32 v63, v63
	v_min_u32_e32 v65, 32, v63
	v_subrev_nc_u32_e32 v63, 28, v65
	v_lshlrev_b64 v[63:64], v63, v[2:3]
	v_sub_nc_u32_e32 v64, 29, v65
	v_and_b32_e32 v63, 7, v63
; %bb.1054:                             ;   in Loop: Header=BB285_554 Depth=1
	s_or_b32 exec_lo, exec_lo, s24
	v_lshlrev_b32_e32 v65, 8, v9
	v_lshl_add_u32 v64, v64, 10, 0x2000
	v_lshlrev_b32_e32 v63, 7, v63
	v_and_b32_e32 v65, 0x8000, v65
	v_and_b32_e32 v64, 0xfc00, v64
	v_or3_b32 v63, v65, v64, v63
.LBB285_1055:                           ;   in Loop: Header=BB285_554 Depth=1
	s_or_b32 exec_lo, exec_lo, s22
.LBB285_1056:                           ;   in Loop: Header=BB285_554 Depth=1
	s_or_b32 exec_lo, exec_lo, s21
.LBB285_1057:                           ;   in Loop: Header=BB285_554 Depth=1
	s_or_b32 exec_lo, exec_lo, s18
	v_lshrrev_b16 v2, 8, v2
	v_mov_b32_e32 v64, 0
	s_mov_b32 s18, exec_lo
	v_cmpx_ne_u16_e32 0, v2
	s_cbranch_execz .LBB285_1065
; %bb.1058:                             ;   in Loop: Header=BB285_554 Depth=1
	v_bfrev_b32_e32 v64, 1
	s_mov_b32 s21, exec_lo
	v_cmpx_ne_u16_e32 0x80, v2
	s_cbranch_execz .LBB285_1064
; %bb.1059:                             ;   in Loop: Header=BB285_554 Depth=1
	v_and_b32_sdwa v66, v2, v28 dst_sel:DWORD dst_unused:UNUSED_PAD src0_sel:WORD_0 src1_sel:DWORD
	v_mov_b32_e32 v64, 0x7c010000
	s_mov_b32 s22, exec_lo
	v_cmpx_ne_u32_e32 0x7f, v66
	s_cbranch_execz .LBB285_1063
; %bb.1060:                             ;   in Loop: Header=BB285_554 Depth=1
	v_and_b32_sdwa v64, v2, v29 dst_sel:DWORD dst_unused:UNUSED_PAD src0_sel:WORD_0 src1_sel:DWORD
	v_lshrrev_b32_e32 v65, 3, v66
	s_mov_b32 s24, exec_lo
	v_cmpx_gt_u32_e32 8, v66
; %bb.1061:                             ;   in Loop: Header=BB285_554 Depth=1
	v_ffbh_u32_e32 v64, v64
	v_min_u32_e32 v66, 32, v64
	v_subrev_nc_u32_e32 v64, 28, v66
	v_lshlrev_b64 v[64:65], v64, v[2:3]
	v_sub_nc_u32_e32 v65, 29, v66
	v_and_b32_e32 v64, 7, v64
; %bb.1062:                             ;   in Loop: Header=BB285_554 Depth=1
	s_or_b32 exec_lo, exec_lo, s24
	v_lshlrev_b32_sdwa v2, v30, v2 dst_sel:DWORD dst_unused:UNUSED_PAD src0_sel:DWORD src1_sel:WORD_0
	v_lshl_add_u32 v65, v65, 10, 0x2000
	v_lshlrev_b32_e32 v64, 23, v64
	v_and_or_b32 v2, 0x8000, v2, v65
	v_lshl_or_b32 v64, v2, 16, v64
.LBB285_1063:                           ;   in Loop: Header=BB285_554 Depth=1
	s_or_b32 exec_lo, exec_lo, s22
.LBB285_1064:                           ;   in Loop: Header=BB285_554 Depth=1
	s_or_b32 exec_lo, exec_lo, s21
.LBB285_1065:                           ;   in Loop: Header=BB285_554 Depth=1
	s_or_b32 exec_lo, exec_lo, s18
	v_lshrrev_b32_e32 v2, 16, v9
	v_cmp_ne_u16_sdwa s1, v2, v3 src0_sel:BYTE_0 src1_sel:DWORD
	s_and_saveexec_b32 s18, s1
	s_cbranch_execz .LBB285_1073
; %bb.1066:                             ;   in Loop: Header=BB285_554 Depth=1
	v_cmp_ne_u16_sdwa s1, v2, v16 src0_sel:BYTE_0 src1_sel:DWORD
	v_mov_b32_e32 v62, 0x8000
	s_and_saveexec_b32 s21, s1
	s_cbranch_execz .LBB285_1072
; %bb.1067:                             ;   in Loop: Header=BB285_554 Depth=1
	v_bfe_u32 v66, v9, 16, 7
	v_mov_b32_e32 v62, 0x7c01
	s_mov_b32 s22, exec_lo
	v_cmpx_ne_u32_e32 0x7f, v66
	s_cbranch_execz .LBB285_1071
; %bb.1068:                             ;   in Loop: Header=BB285_554 Depth=1
	v_and_b32_e32 v62, 7, v2
	v_lshrrev_b32_e32 v65, 3, v66
	s_mov_b32 s24, exec_lo
	v_cmpx_gt_u32_e32 8, v66
; %bb.1069:                             ;   in Loop: Header=BB285_554 Depth=1
	v_ffbh_u32_e32 v62, v62
	v_min_u32_e32 v62, 32, v62
	v_subrev_nc_u32_e32 v65, 28, v62
	v_lshlrev_b64 v[66:67], v65, v[2:3]
	v_sub_nc_u32_e32 v65, 29, v62
	v_and_b32_e32 v62, 7, v66
; %bb.1070:                             ;   in Loop: Header=BB285_554 Depth=1
	s_or_b32 exec_lo, exec_lo, s24
	v_lshlrev_b32_e32 v2, 8, v2
	v_lshl_add_u32 v65, v65, 10, 0x2000
	v_lshlrev_b32_e32 v62, 7, v62
	v_and_b32_e32 v2, 0x8000, v2
	v_and_b32_e32 v65, 0xfc00, v65
	v_or3_b32 v62, v2, v65, v62
.LBB285_1071:                           ;   in Loop: Header=BB285_554 Depth=1
	s_or_b32 exec_lo, exec_lo, s22
.LBB285_1072:                           ;   in Loop: Header=BB285_554 Depth=1
	s_or_b32 exec_lo, exec_lo, s21
.LBB285_1073:                           ;   in Loop: Header=BB285_554 Depth=1
	s_or_b32 exec_lo, exec_lo, s18
	v_cmp_lt_u64_e64 s1, s[4:5], v[8:9]
	v_mov_b32_e32 v8, 0
	s_and_saveexec_b32 s18, s1
	s_cbranch_execz .LBB285_1081
; %bb.1074:                             ;   in Loop: Header=BB285_554 Depth=1
	v_lshrrev_b32_e32 v2, 24, v9
	v_bfrev_b32_e32 v8, 1
	s_mov_b32 s21, exec_lo
	v_cmpx_ne_u32_e32 0x80, v2
	s_cbranch_execz .LBB285_1080
; %bb.1075:                             ;   in Loop: Header=BB285_554 Depth=1
	v_and_b32_e32 v65, 0x7f, v2
	v_mov_b32_e32 v8, 0x7c010000
	s_mov_b32 s22, exec_lo
	v_cmpx_ne_u32_e32 0x7f, v65
	s_cbranch_execz .LBB285_1079
; %bb.1076:                             ;   in Loop: Header=BB285_554 Depth=1
	v_and_b32_e32 v8, 7, v2
	v_lshrrev_b32_e32 v9, 3, v65
	s_mov_b32 s24, exec_lo
	v_cmpx_gt_u32_e32 8, v65
; %bb.1077:                             ;   in Loop: Header=BB285_554 Depth=1
	v_ffbh_u32_e32 v8, v8
	v_min_u32_e32 v65, 32, v8
	v_subrev_nc_u32_e32 v8, 28, v65
	v_lshlrev_b64 v[8:9], v8, v[2:3]
	v_sub_nc_u32_e32 v9, 29, v65
	v_and_b32_e32 v8, 7, v8
; %bb.1078:                             ;   in Loop: Header=BB285_554 Depth=1
	s_or_b32 exec_lo, exec_lo, s24
	v_lshlrev_b32_e32 v2, 8, v2
	v_lshl_add_u32 v9, v9, 10, 0x2000
	v_lshlrev_b32_e32 v8, 23, v8
	v_and_or_b32 v2, 0x8000, v2, v9
	v_lshl_or_b32 v8, v2, 16, v8
.LBB285_1079:                           ;   in Loop: Header=BB285_554 Depth=1
	s_or_b32 exec_lo, exec_lo, s22
.LBB285_1080:                           ;   in Loop: Header=BB285_554 Depth=1
	s_or_b32 exec_lo, exec_lo, s21
.LBB285_1081:                           ;   in Loop: Header=BB285_554 Depth=1
	s_or_b32 exec_lo, exec_lo, s18
	v_or_b32_e32 v2, v60, v61
	s_waitcnt vmcnt(0)
	v_fma_mixlo_f16 v9, v57, v60, 0 op_sel:[0,1,0] op_sel_hi:[0,1,0]
	v_or_b32_e32 v59, v58, v59
	v_fma_mixlo_f16 v60, v57, v58, 0 op_sel:[0,1,0] op_sel_hi:[0,1,0]
	v_or_b32_e32 v61, v64, v63
	v_fma_mixlo_f16 v2, v57, v2, 0 op_sel_hi:[0,1,0]
	v_or_b32_e32 v62, v8, v62
	v_lshlrev_b32_e32 v58, 16, v9
	v_lshlrev_b32_e32 v63, 16, v60
	v_fma_mixlo_f16 v9, v57, v59, 0 op_sel_hi:[0,1,0]
	v_and_b32_e32 v60, 0xffff, v2
	v_fma_mixlo_f16 v2, v57, v64, 0 op_sel:[0,1,0] op_sel_hi:[0,1,0]
	v_fma_mixlo_f16 v59, v57, v61, 0 op_sel_hi:[0,1,0]
	v_fma_mixlo_f16 v8, v57, v8, 0 op_sel:[0,1,0] op_sel_hi:[0,1,0]
	v_fma_mixlo_f16 v57, v57, v62, 0 op_sel_hi:[0,1,0]
	v_and_b32_e32 v65, 0xffff, v9
	v_lshlrev_b32_e32 v61, 16, v2
	v_and_b32_e32 v64, 0xffff, v59
	v_lshlrev_b32_e32 v59, 16, v8
	v_and_b32_e32 v62, 0xffff, v57
	v_or_b32_e32 v9, v58, v60
	v_or_b32_e32 v57, v63, v65
	v_or_b32_e32 v8, v61, v64
	v_or_b32_e32 v2, v59, v62
	s_and_saveexec_b32 s1, vcc_lo
	s_cbranch_execz .LBB285_552
; %bb.1082:                             ;   in Loop: Header=BB285_554 Depth=1
	v_cmp_gt_i32_e32 vcc_lo, s31, v33
	v_cndmask_b32_e32 v2, 0, v65, vcc_lo
	v_cmp_gt_i32_e32 vcc_lo, s31, v41
	v_cndmask_b32_e32 v8, 0, v63, vcc_lo
	v_cmp_gt_i32_e32 vcc_lo, s31, v39
	v_or_b32_e32 v57, v8, v2
	v_cndmask_b32_e32 v9, 0, v60, vcc_lo
	v_cmp_gt_i32_e32 vcc_lo, s31, v38
	v_cndmask_b32_e32 v33, 0, v58, vcc_lo
	v_cmp_gt_i32_e32 vcc_lo, s31, v37
	v_or_b32_e32 v9, v33, v9
	;; [unrolled: 5-line block ×3, first 2 shown]
	v_cndmask_b32_e32 v35, 0, v62, vcc_lo
	v_cmp_gt_i32_e32 vcc_lo, s31, v34
	v_cndmask_b32_e32 v34, 0, v59, vcc_lo
	v_or_b32_e32 v2, v34, v35
	s_branch .LBB285_552
.LBB285_1083:
	s_or_b32 exec_lo, exec_lo, s13
.LBB285_1084:
	s_or_b32 exec_lo, exec_lo, s3
	ds_bpermute_b32 v1, v17, v26
	ds_bpermute_b32 v2, v17, v25
	;; [unrolled: 1-line block ×8, first 2 shown]
	v_lshrrev_b32_e32 v9, 1, v18
	v_lshlrev_b32_e32 v11, 9, v14
	v_and_b32_e32 v14, 0x3c1, v0
	s_mov_b32 s1, exec_lo
	s_waitcnt lgkmcnt(0)
	s_waitcnt_vscnt null, 0x0
	v_lshl_add_u32 v10, v9, 2, 0x120
	s_barrier
	buffer_gl0_inv
	v_add_f32_e32 v8, v26, v1
	v_add_f32_e32 v7, v25, v2
	;; [unrolled: 1-line block ×8, first 2 shown]
	v_cmpx_eq_u32_e32 64, v14
	s_cbranch_execz .LBB285_1086
; %bb.1085:
	v_add_nc_u32_e32 v14, v10, v11
	v_add_nc_u32_e32 v15, 0xfffffc00, v14
	;; [unrolled: 1-line block ×9, first 2 shown]
	ds_write_b32 v15, v8
	ds_write_b32 v16, v7
	ds_write_b32 v17, v6
	ds_write_b32 v18, v5
	ds_write_b32 v19, v4
	ds_write_b32 v20, v3
	ds_write_b32 v21, v2
	ds_write_b32 v14, v1
.LBB285_1086:
	s_or_b32 exec_lo, exec_lo, s1
	v_lshlrev_b32_e32 v9, 2, v9
	s_mov_b32 s3, exec_lo
	v_cmp_eq_u32_e32 vcc_lo, 0, v13
	s_waitcnt lgkmcnt(0)
	s_barrier
	v_add3_u32 v9, 0x120, v11, v9
	buffer_gl0_inv
	v_cmpx_gt_u32_e32 64, v0
	s_cbranch_execz .LBB285_1097
; %bb.1087:
	s_and_saveexec_b32 s1, vcc_lo
	s_cbranch_execnz .LBB285_1113
; %bb.1088:
	s_or_b32 exec_lo, exec_lo, s1
	s_and_saveexec_b32 s1, vcc_lo
	s_cbranch_execnz .LBB285_1114
.LBB285_1089:
	s_or_b32 exec_lo, exec_lo, s1
	s_and_saveexec_b32 s1, vcc_lo
	s_cbranch_execnz .LBB285_1115
.LBB285_1090:
	s_or_b32 exec_lo, exec_lo, s1
	s_and_saveexec_b32 s1, vcc_lo
	s_cbranch_execnz .LBB285_1116
.LBB285_1091:
	s_or_b32 exec_lo, exec_lo, s1
	s_and_saveexec_b32 s1, vcc_lo
	s_cbranch_execnz .LBB285_1117
.LBB285_1092:
	s_or_b32 exec_lo, exec_lo, s1
	s_and_saveexec_b32 s1, vcc_lo
	s_cbranch_execnz .LBB285_1118
.LBB285_1093:
	s_or_b32 exec_lo, exec_lo, s1
	s_and_saveexec_b32 s1, vcc_lo
	s_cbranch_execnz .LBB285_1119
.LBB285_1094:
	s_or_b32 exec_lo, exec_lo, s1
	s_and_saveexec_b32 s1, vcc_lo
	s_cbranch_execz .LBB285_1096
.LBB285_1095:
	ds_read_b32 v11, v9 offset:448
	s_waitcnt lgkmcnt(0)
	v_add_f32_e32 v1, v1, v11
.LBB285_1096:
	s_or_b32 exec_lo, exec_lo, s1
.LBB285_1097:
	s_or_b32 exec_lo, exec_lo, s3
	v_and_b32_e32 v0, 0x3e1, v0
	s_mov_b32 s3, exec_lo
	s_barrier
	buffer_gl0_inv
	v_cmpx_eq_u32_e32 32, v0
	s_cbranch_execz .LBB285_1099
; %bb.1098:
	ds_write2_b32 v10, v8, v7 offset1:16
	ds_write2_b32 v10, v6, v5 offset0:32 offset1:48
	ds_write2_b32 v10, v4, v3 offset0:64 offset1:80
	;; [unrolled: 1-line block ×3, first 2 shown]
.LBB285_1099:
	s_or_b32 exec_lo, exec_lo, s3
	s_waitcnt lgkmcnt(0)
	s_barrier
	buffer_gl0_inv
	s_and_saveexec_b32 s1, s0
	s_cbranch_execz .LBB285_1110
; %bb.1100:
	s_and_saveexec_b32 s0, vcc_lo
	s_cbranch_execnz .LBB285_1120
; %bb.1101:
	s_or_b32 exec_lo, exec_lo, s0
	s_and_saveexec_b32 s0, vcc_lo
	s_cbranch_execnz .LBB285_1121
.LBB285_1102:
	s_or_b32 exec_lo, exec_lo, s0
	s_and_saveexec_b32 s0, vcc_lo
	s_cbranch_execnz .LBB285_1122
.LBB285_1103:
	s_or_b32 exec_lo, exec_lo, s0
	s_and_saveexec_b32 s0, vcc_lo
	s_cbranch_execnz .LBB285_1123
.LBB285_1104:
	s_or_b32 exec_lo, exec_lo, s0
	s_and_saveexec_b32 s0, vcc_lo
	s_cbranch_execnz .LBB285_1124
.LBB285_1105:
	s_or_b32 exec_lo, exec_lo, s0
	s_and_saveexec_b32 s0, vcc_lo
	s_cbranch_execnz .LBB285_1125
.LBB285_1106:
	s_or_b32 exec_lo, exec_lo, s0
	s_and_saveexec_b32 s0, vcc_lo
	s_cbranch_execnz .LBB285_1126
.LBB285_1107:
	s_or_b32 exec_lo, exec_lo, s0
	s_and_saveexec_b32 s0, vcc_lo
	s_cbranch_execz .LBB285_1109
.LBB285_1108:
	ds_read_b32 v9, v9 offset:448
	s_waitcnt lgkmcnt(0)
	v_add_f32_e32 v1, v1, v9
.LBB285_1109:
	s_or_b32 exec_lo, exec_lo, s0
.LBB285_1110:
	s_or_b32 exec_lo, exec_lo, s1
	s_barrier
	buffer_gl0_inv
	s_mov_b32 s0, exec_lo
	v_cmpx_eq_u32_e32 0, v0
	s_cbranch_execz .LBB285_1112
; %bb.1111:
	s_lshl_b32 s0, s2, 7
	s_mul_i32 s2, s7, s10
	s_ashr_i32 s1, s0, 31
	v_lshlrev_b32_e32 v0, 1, v12
	s_lshl_b64 s[0:1], s[0:1], 1
	;;#ASMSTART
	v_cvt_f16_f32 v8, v8;

	;;#ASMEND
	s_add_u32 s4, s28, s0
	s_addc_u32 s5, s29, s1
	s_ashr_i32 s3, s2, 31
	s_lshl_b64 s[0:1], s[2:3], 1
	s_add_u32 s2, s4, s0
	s_addc_u32 s3, s5, s1
	s_lshl_b32 s0, s8, 7
	s_ashr_i32 s1, s0, 31
	s_lshl_b64 s[0:1], s[0:1], 1
	s_add_u32 s0, s2, s0
	s_addc_u32 s1, s3, s1
	global_store_short v0, v8, s[0:1]
	;;#ASMSTART
	v_cvt_f16_f32 v7, v7;

	;;#ASMEND
	global_store_short v0, v7, s[0:1] offset:32
	;;#ASMSTART
	v_cvt_f16_f32 v6, v6;

	;;#ASMEND
	global_store_short v0, v6, s[0:1] offset:64
	;; [unrolled: 5-line block ×7, first 2 shown]
.LBB285_1112:
	s_endpgm
.LBB285_1113:
	ds_read_b32 v11, v9
	s_waitcnt lgkmcnt(0)
	v_add_f32_e32 v8, v8, v11
	s_or_b32 exec_lo, exec_lo, s1
	s_and_saveexec_b32 s1, vcc_lo
	s_cbranch_execz .LBB285_1089
.LBB285_1114:
	ds_read_b32 v11, v9 offset:64
	s_waitcnt lgkmcnt(0)
	v_add_f32_e32 v7, v7, v11
	s_or_b32 exec_lo, exec_lo, s1
	s_and_saveexec_b32 s1, vcc_lo
	s_cbranch_execz .LBB285_1090
.LBB285_1115:
	ds_read_b32 v11, v9 offset:128
	s_waitcnt lgkmcnt(0)
	v_add_f32_e32 v6, v6, v11
	s_or_b32 exec_lo, exec_lo, s1
	s_and_saveexec_b32 s1, vcc_lo
	s_cbranch_execz .LBB285_1091
.LBB285_1116:
	ds_read_b32 v11, v9 offset:192
	s_waitcnt lgkmcnt(0)
	v_add_f32_e32 v5, v5, v11
	s_or_b32 exec_lo, exec_lo, s1
	s_and_saveexec_b32 s1, vcc_lo
	s_cbranch_execz .LBB285_1092
.LBB285_1117:
	ds_read_b32 v11, v9 offset:256
	s_waitcnt lgkmcnt(0)
	v_add_f32_e32 v4, v4, v11
	s_or_b32 exec_lo, exec_lo, s1
	s_and_saveexec_b32 s1, vcc_lo
	s_cbranch_execz .LBB285_1093
.LBB285_1118:
	ds_read_b32 v11, v9 offset:320
	s_waitcnt lgkmcnt(0)
	v_add_f32_e32 v3, v3, v11
	s_or_b32 exec_lo, exec_lo, s1
	s_and_saveexec_b32 s1, vcc_lo
	s_cbranch_execz .LBB285_1094
.LBB285_1119:
	ds_read_b32 v11, v9 offset:384
	s_waitcnt lgkmcnt(0)
	v_add_f32_e32 v2, v2, v11
	s_or_b32 exec_lo, exec_lo, s1
	s_and_saveexec_b32 s1, vcc_lo
	s_cbranch_execnz .LBB285_1095
	s_branch .LBB285_1096
.LBB285_1120:
	ds_read_b32 v10, v9
	s_waitcnt lgkmcnt(0)
	v_add_f32_e32 v8, v8, v10
	s_or_b32 exec_lo, exec_lo, s0
	s_and_saveexec_b32 s0, vcc_lo
	s_cbranch_execz .LBB285_1102
.LBB285_1121:
	ds_read_b32 v10, v9 offset:64
	s_waitcnt lgkmcnt(0)
	v_add_f32_e32 v7, v7, v10
	s_or_b32 exec_lo, exec_lo, s0
	s_and_saveexec_b32 s0, vcc_lo
	s_cbranch_execz .LBB285_1103
.LBB285_1122:
	ds_read_b32 v10, v9 offset:128
	s_waitcnt lgkmcnt(0)
	v_add_f32_e32 v6, v6, v10
	s_or_b32 exec_lo, exec_lo, s0
	s_and_saveexec_b32 s0, vcc_lo
	s_cbranch_execz .LBB285_1104
.LBB285_1123:
	ds_read_b32 v10, v9 offset:192
	s_waitcnt lgkmcnt(0)
	v_add_f32_e32 v5, v5, v10
	s_or_b32 exec_lo, exec_lo, s0
	s_and_saveexec_b32 s0, vcc_lo
	s_cbranch_execz .LBB285_1105
.LBB285_1124:
	ds_read_b32 v10, v9 offset:256
	s_waitcnt lgkmcnt(0)
	v_add_f32_e32 v4, v4, v10
	s_or_b32 exec_lo, exec_lo, s0
	s_and_saveexec_b32 s0, vcc_lo
	s_cbranch_execz .LBB285_1106
.LBB285_1125:
	ds_read_b32 v10, v9 offset:320
	s_waitcnt lgkmcnt(0)
	v_add_f32_e32 v3, v3, v10
	s_or_b32 exec_lo, exec_lo, s0
	s_and_saveexec_b32 s0, vcc_lo
	s_cbranch_execz .LBB285_1107
.LBB285_1126:
	ds_read_b32 v10, v9 offset:384
	s_waitcnt lgkmcnt(0)
	v_add_f32_e32 v2, v2, v10
	s_or_b32 exec_lo, exec_lo, s0
	s_and_saveexec_b32 s0, vcc_lo
	s_cbranch_execnz .LBB285_1108
	s_branch .LBB285_1109
	.section	.rodata,"a",@progbits
	.p2align	6, 0x0
	.amdhsa_kernel _ZN4vllm25paged_attention_v2_kernelIthLi128ELi16ELi128ELNS_18Fp8KVCacheDataTypeE1ELb1ELi512EEEvPfS2_PT_PKS3_PKT0_S9_ifPKiSB_iPKfiiiSD_SD_iiiii
		.amdhsa_group_segment_fixed_size 288
		.amdhsa_private_segment_fixed_size 0
		.amdhsa_kernarg_size 400
		.amdhsa_user_sgpr_count 6
		.amdhsa_user_sgpr_private_segment_buffer 1
		.amdhsa_user_sgpr_dispatch_ptr 0
		.amdhsa_user_sgpr_queue_ptr 0
		.amdhsa_user_sgpr_kernarg_segment_ptr 1
		.amdhsa_user_sgpr_dispatch_id 0
		.amdhsa_user_sgpr_flat_scratch_init 0
		.amdhsa_user_sgpr_private_segment_size 0
		.amdhsa_wavefront_size32 1
		.amdhsa_uses_dynamic_stack 0
		.amdhsa_system_sgpr_private_segment_wavefront_offset 0
		.amdhsa_system_sgpr_workgroup_id_x 1
		.amdhsa_system_sgpr_workgroup_id_y 1
		.amdhsa_system_sgpr_workgroup_id_z 1
		.amdhsa_system_sgpr_workgroup_info 0
		.amdhsa_system_vgpr_workitem_id 0
		.amdhsa_next_free_vgpr 99
		.amdhsa_next_free_sgpr 53
		.amdhsa_reserve_vcc 1
		.amdhsa_reserve_flat_scratch 0
		.amdhsa_float_round_mode_32 0
		.amdhsa_float_round_mode_16_64 0
		.amdhsa_float_denorm_mode_32 3
		.amdhsa_float_denorm_mode_16_64 3
		.amdhsa_dx10_clamp 1
		.amdhsa_ieee_mode 1
		.amdhsa_fp16_overflow 0
		.amdhsa_workgroup_processor_mode 1
		.amdhsa_memory_ordered 1
		.amdhsa_forward_progress 1
		.amdhsa_shared_vgpr_count 0
		.amdhsa_exception_fp_ieee_invalid_op 0
		.amdhsa_exception_fp_denorm_src 0
		.amdhsa_exception_fp_ieee_div_zero 0
		.amdhsa_exception_fp_ieee_overflow 0
		.amdhsa_exception_fp_ieee_underflow 0
		.amdhsa_exception_fp_ieee_inexact 0
		.amdhsa_exception_int_div_zero 0
	.end_amdhsa_kernel
	.section	.text._ZN4vllm25paged_attention_v2_kernelIthLi128ELi16ELi128ELNS_18Fp8KVCacheDataTypeE1ELb1ELi512EEEvPfS2_PT_PKS3_PKT0_S9_ifPKiSB_iPKfiiiSD_SD_iiiii,"axG",@progbits,_ZN4vllm25paged_attention_v2_kernelIthLi128ELi16ELi128ELNS_18Fp8KVCacheDataTypeE1ELb1ELi512EEEvPfS2_PT_PKS3_PKT0_S9_ifPKiSB_iPKfiiiSD_SD_iiiii,comdat
.Lfunc_end285:
	.size	_ZN4vllm25paged_attention_v2_kernelIthLi128ELi16ELi128ELNS_18Fp8KVCacheDataTypeE1ELb1ELi512EEEvPfS2_PT_PKS3_PKT0_S9_ifPKiSB_iPKfiiiSD_SD_iiiii, .Lfunc_end285-_ZN4vllm25paged_attention_v2_kernelIthLi128ELi16ELi128ELNS_18Fp8KVCacheDataTypeE1ELb1ELi512EEEvPfS2_PT_PKS3_PKT0_S9_ifPKiSB_iPKfiiiSD_SD_iiiii
                                        ; -- End function
	.set _ZN4vllm25paged_attention_v2_kernelIthLi128ELi16ELi128ELNS_18Fp8KVCacheDataTypeE1ELb1ELi512EEEvPfS2_PT_PKS3_PKT0_S9_ifPKiSB_iPKfiiiSD_SD_iiiii.num_vgpr, 99
	.set _ZN4vllm25paged_attention_v2_kernelIthLi128ELi16ELi128ELNS_18Fp8KVCacheDataTypeE1ELb1ELi512EEEvPfS2_PT_PKS3_PKT0_S9_ifPKiSB_iPKfiiiSD_SD_iiiii.num_agpr, 0
	.set _ZN4vllm25paged_attention_v2_kernelIthLi128ELi16ELi128ELNS_18Fp8KVCacheDataTypeE1ELb1ELi512EEEvPfS2_PT_PKS3_PKT0_S9_ifPKiSB_iPKfiiiSD_SD_iiiii.numbered_sgpr, 53
	.set _ZN4vllm25paged_attention_v2_kernelIthLi128ELi16ELi128ELNS_18Fp8KVCacheDataTypeE1ELb1ELi512EEEvPfS2_PT_PKS3_PKT0_S9_ifPKiSB_iPKfiiiSD_SD_iiiii.num_named_barrier, 0
	.set _ZN4vllm25paged_attention_v2_kernelIthLi128ELi16ELi128ELNS_18Fp8KVCacheDataTypeE1ELb1ELi512EEEvPfS2_PT_PKS3_PKT0_S9_ifPKiSB_iPKfiiiSD_SD_iiiii.private_seg_size, 0
	.set _ZN4vllm25paged_attention_v2_kernelIthLi128ELi16ELi128ELNS_18Fp8KVCacheDataTypeE1ELb1ELi512EEEvPfS2_PT_PKS3_PKT0_S9_ifPKiSB_iPKfiiiSD_SD_iiiii.uses_vcc, 1
	.set _ZN4vllm25paged_attention_v2_kernelIthLi128ELi16ELi128ELNS_18Fp8KVCacheDataTypeE1ELb1ELi512EEEvPfS2_PT_PKS3_PKT0_S9_ifPKiSB_iPKfiiiSD_SD_iiiii.uses_flat_scratch, 0
	.set _ZN4vllm25paged_attention_v2_kernelIthLi128ELi16ELi128ELNS_18Fp8KVCacheDataTypeE1ELb1ELi512EEEvPfS2_PT_PKS3_PKT0_S9_ifPKiSB_iPKfiiiSD_SD_iiiii.has_dyn_sized_stack, 0
	.set _ZN4vllm25paged_attention_v2_kernelIthLi128ELi16ELi128ELNS_18Fp8KVCacheDataTypeE1ELb1ELi512EEEvPfS2_PT_PKS3_PKT0_S9_ifPKiSB_iPKfiiiSD_SD_iiiii.has_recursion, 0
	.set _ZN4vllm25paged_attention_v2_kernelIthLi128ELi16ELi128ELNS_18Fp8KVCacheDataTypeE1ELb1ELi512EEEvPfS2_PT_PKS3_PKT0_S9_ifPKiSB_iPKfiiiSD_SD_iiiii.has_indirect_call, 0
	.section	.AMDGPU.csdata,"",@progbits
; Kernel info:
; codeLenInByte = 36788
; TotalNumSgprs: 55
; NumVgprs: 99
; ScratchSize: 0
; MemoryBound: 0
; FloatMode: 240
; IeeeMode: 1
; LDSByteSize: 288 bytes/workgroup (compile time only)
; SGPRBlocks: 0
; VGPRBlocks: 12
; NumSGPRsForWavesPerEU: 55
; NumVGPRsForWavesPerEU: 99
; Occupancy: 9
; WaveLimiterHint : 1
; COMPUTE_PGM_RSRC2:SCRATCH_EN: 0
; COMPUTE_PGM_RSRC2:USER_SGPR: 6
; COMPUTE_PGM_RSRC2:TRAP_HANDLER: 0
; COMPUTE_PGM_RSRC2:TGID_X_EN: 1
; COMPUTE_PGM_RSRC2:TGID_Y_EN: 1
; COMPUTE_PGM_RSRC2:TGID_Z_EN: 1
; COMPUTE_PGM_RSRC2:TIDIG_COMP_CNT: 0
	.text
	.p2align	2                               ; -- Begin function _ZN4vllm22paged_attention_kernelIthLi192ELi16ELi128ELNS_18Fp8KVCacheDataTypeE1ELb1ELi512EEEvPfS2_PT_PKS3_PKT0_S9_ifPKiSB_iPKfiiiSD_SD_iiiii
	.type	_ZN4vllm22paged_attention_kernelIthLi192ELi16ELi128ELNS_18Fp8KVCacheDataTypeE1ELb1ELi512EEEvPfS2_PT_PKS3_PKT0_S9_ifPKiSB_iPKfiiiSD_SD_iiiii,@function
_ZN4vllm22paged_attention_kernelIthLi192ELi16ELi128ELNS_18Fp8KVCacheDataTypeE1ELb1ELi512EEEvPfS2_PT_PKS3_PKT0_S9_ifPKiSB_iPKfiiiSD_SD_iiiii: ; @_ZN4vllm22paged_attention_kernelIthLi192ELi16ELi128ELNS_18Fp8KVCacheDataTypeE1ELb1ELi512EEEvPfS2_PT_PKS3_PKT0_S9_ifPKiSB_iPKfiiiSD_SD_iiiii
; %bb.0:
	s_waitcnt vmcnt(0) expcnt(0) lgkmcnt(0)
	buffer_store_dword v40, off, s[0:3], s32 offset:196 ; 4-byte Folded Spill
	buffer_store_dword v41, off, s[0:3], s32 offset:192 ; 4-byte Folded Spill
	;; [unrolled: 1-line block ×48, first 2 shown]
	s_mov_b32 s18, s13
	s_ashr_i32 s19, s13, 31
	buffer_store_dword v24, off, s[0:3], s32 offset:220 ; 4-byte Folded Spill
	buffer_store_dword v25, off, s[0:3], s32 offset:224 ; 4-byte Folded Spill
	;; [unrolled: 1-line block ×4, first 2 shown]
	s_lshl_b64 s[4:5], s[18:19], 2
	v_mov_b32_e32 v25, v0
	v_add_co_u32 v0, vcc_lo, v16, s4
	v_mov_b32_e32 v24, v1
	v_add_co_ci_u32_e64 v1, null, s5, v17, vcc_lo
	buffer_store_dword v5, off, s[0:3], s32 offset:264 ; 4-byte Folded Spill
	buffer_store_dword v4, off, s[0:3], s32 offset:268 ; 4-byte Folded Spill
	v_mov_b32_e32 v22, v10
	v_mov_b32_e32 v32, v3
	flat_load_dword v38, v[0:1]
	s_clause 0x1
	buffer_load_dword v0, off, s[0:3], s32 offset:4
	buffer_load_dword v1, off, s[0:3], s32
	v_mov_b32_e32 v33, v2
	s_lshl_b32 s20, s14, 9
	s_mov_b32 s19, exec_lo
	s_waitcnt vmcnt(2) lgkmcnt(0)
	v_cmpx_lt_i32_e64 s20, v38
	s_cbranch_execz .LBB286_1640
; %bb.1:
	v_sub_nc_u32_e32 v2, 0, v12
	s_clause 0x1
	s_load_dword s4, s[8:9], 0x10
	s_load_dword s5, s[8:9], 0x0
	s_mov_b32 s16, s15
	v_max_i32_e32 v2, v12, v2
	v_cvt_f32_u32_e32 v3, v2
	v_sub_nc_u32_e32 v4, 0, v2
	v_rcp_iflag_f32_e32 v3, v3
	s_waitcnt lgkmcnt(0)
	s_lshr_b32 s4, s4, 16
	s_cmp_lg_u32 s4, 0
	s_cselect_b32 s4, -1, 0
	v_mul_f32_e32 v3, 0x4f7ffffe, v3
	s_cmp_lg_u32 s4, 0
	s_addc_u32 s15, s5, 0
	s_mov_b32 s5, exec_lo
	v_cvt_u32_f32_e32 v3, v3
	s_abs_i32 s4, s15
	v_mul_lo_u32 v4, v4, v3
	v_mul_hi_u32 v4, v3, v4
	v_add_nc_u32_e32 v3, v3, v4
	v_mul_hi_u32 v3, s4, v3
	v_mul_lo_u32 v4, v3, v2
	v_add_nc_u32_e32 v5, 1, v3
	v_sub_nc_u32_e32 v4, s4, v4
	s_abs_i32 s4, s12
	v_sub_nc_u32_e32 v10, v4, v2
	v_cmp_ge_u32_e32 vcc_lo, v4, v2
	v_cndmask_b32_e32 v3, v3, v5, vcc_lo
	v_cndmask_b32_e32 v4, v4, v10, vcc_lo
	v_xor_b32_e32 v5, s15, v12
	v_add_nc_u32_e32 v10, 1, v3
	v_cmp_ge_u32_e32 vcc_lo, v4, v2
	v_ashrrev_i32_e32 v5, 31, v5
	v_cndmask_b32_e32 v2, v3, v10, vcc_lo
	v_xor_b32_e32 v2, v2, v5
	v_sub_nc_u32_e32 v3, v2, v5
	v_sub_nc_u32_e32 v2, 0, v3
	v_max_i32_e32 v2, v3, v2
	v_cvt_f32_u32_e32 v4, v2
	v_sub_nc_u32_e32 v5, 0, v2
	v_rcp_iflag_f32_e32 v4, v4
	v_mul_f32_e32 v4, 0x4f7ffffe, v4
	v_cvt_u32_f32_e32 v4, v4
	v_mul_lo_u32 v5, v5, v4
	v_mul_hi_u32 v5, v4, v5
	v_add_nc_u32_e32 v4, v4, v5
	v_mad_u64_u32 v[16:17], null, s4, v4, 0
	v_mov_b32_e32 v4, 0
	buffer_store_dword v4, off, s[0:3], s32 offset:244 ; 4-byte Folded Spill
	v_cmpx_ne_u64_e32 0, v[19:20]
	s_cbranch_execz .LBB286_3
; %bb.2:
	s_ashr_i32 s13, s12, 31
	s_lshl_b64 s[6:7], s[12:13], 2
	v_add_co_u32 v4, vcc_lo, v19, s6
	v_add_co_ci_u32_e64 v5, null, s7, v20, vcc_lo
	flat_load_dword v4, v[4:5]
	s_waitcnt vmcnt(0) lgkmcnt(0)
	buffer_store_dword v4, off, s[0:3], s32 offset:244 ; 4-byte Folded Spill
.LBB286_3:
	s_or_b32 exec_lo, exec_lo, s5
	v_and_b32_e32 v5, 0x3ff, v31
	v_bfe_u32 v4, v31, 1, 9
	v_ashrrev_i32_e32 v3, 31, v3
	s_ashr_i32 s5, s12, 31
	s_mul_i32 s10, s12, 0xc0
	v_lshlrev_b32_e32 v19, 3, v5
	buffer_store_dword v4, off, s[0:3], s32 offset:272 ; 4-byte Folded Spill
	v_and_b32_e32 v4, 1, v31
	s_mov_b32 s6, exec_lo
	buffer_store_dword v4, off, s[0:3], s32 offset:260 ; 4-byte Folded Spill
	buffer_store_dword v5, off, s[0:3], s32 offset:216 ; 4-byte Folded Spill
	v_cmpx_gt_u32_e32 48, v5
	s_cbranch_execz .LBB286_5
; %bb.4:
	v_mul_lo_u32 v4, v21, s18
	s_ashr_i32 s11, s10, 31
	s_lshl_b64 s[22:23], s[10:11], 1
	v_ashrrev_i32_e32 v5, 31, v4
	v_lshlrev_b64 v[4:5], 1, v[4:5]
	v_add_co_u32 v4, vcc_lo, v6, v4
	v_add_co_ci_u32_e64 v5, null, v7, v5, vcc_lo
	s_clause 0x1
	buffer_load_dword v6, off, s[0:3], s32 offset:272
	buffer_load_dword v7, off, s[0:3], s32 offset:260
	v_add_co_u32 v4, vcc_lo, v4, s22
	v_add_co_ci_u32_e64 v5, null, s23, v5, vcc_lo
	v_add_co_u32 v4, vcc_lo, v4, v19
	v_add_co_ci_u32_e64 v5, null, 0, v5, vcc_lo
	flat_load_dwordx2 v[4:5], v[4:5]
	s_waitcnt vmcnt(2)
	v_lshlrev_b32_e32 v6, 3, v6
	s_waitcnt vmcnt(1)
	v_mad_u32_u24 v6, 0xc0, v7, v6
	s_waitcnt vmcnt(0) lgkmcnt(0)
	ds_write_b64 v6, v[4:5]
.LBB286_5:
	s_or_b32 exec_lo, exec_lo, s6
	s_waitcnt vmcnt(0)
	v_sub_nc_u32_e32 v4, 0, v1
	v_mul_lo_u32 v5, v17, v2
	v_add_nc_u32_e32 v7, 1, v17
	v_xor_b32_e32 v3, s5, v3
	s_waitcnt lgkmcnt(0)
	s_waitcnt_vscnt null, 0x0
	v_max_i32_e32 v39, v1, v4
	s_barrier
	buffer_gl0_inv
	v_sub_nc_u32_e32 v5, s4, v5
	v_cvt_f32_u32_e32 v4, v39
	s_mov_b32 s4, exec_lo
	v_sub_nc_u32_e32 v10, v5, v2
	v_rcp_iflag_f32_e32 v4, v4
	v_cmp_ge_u32_e32 vcc_lo, v5, v2
	v_cndmask_b32_e32 v7, v17, v7, vcc_lo
	v_cndmask_b32_e32 v5, v5, v10, vcc_lo
	v_mul_f32_e32 v4, 0x4f7ffffe, v4
	v_add_nc_u32_e32 v10, 1, v7
	v_cmp_ge_u32_e32 vcc_lo, v5, v2
	v_cvt_u32_f32_e32 v6, v4
	v_sub_nc_u32_e32 v4, 0, v39
	v_cndmask_b32_e32 v5, v7, v10, vcc_lo
	v_mul_lo_u32 v13, v4, v6
	v_add_nc_u32_e32 v4, -1, v38
	v_xor_b32_e32 v5, v5, v3
	v_mul_hi_u32 v16, v6, v13
	v_sub_nc_u32_e32 v13, 0, v4
	v_max_i32_e32 v2, v4, v13
	v_add_nc_u32_e32 v48, v6, v16
	v_mad_u64_u32 v[16:17], null, v2, v48, 0
	v_sub_nc_u32_e32 v16, v5, v3
                                        ; implicit-def: $vgpr3
	buffer_store_dword v3, off, s[0:3], s32 offset:200 ; 4-byte Folded Spill
	buffer_store_dword v4, off, s[0:3], s32 offset:204 ; 4-byte Folded Spill
	v_cmpx_gt_i32_e32 0, v0
	s_xor_b32 s4, exec_lo, s4
	s_cbranch_execz .LBB286_7
; %bb.6:
	v_mad_u64_u32 v[5:6], null, v28, v12, v[16:17]
                                        ; implicit-def: $vgpr28
	v_mul_lo_u32 v0, v5, v0
	v_sub_nc_u32_e32 v0, 1, v0
	buffer_store_dword v0, off, s[0:3], s32 offset:200 ; 4-byte Folded Spill
	buffer_store_dword v1, off, s[0:3], s32 offset:204 ; 4-byte Folded Spill
                                        ; implicit-def: $vgpr0
.LBB286_7:
	s_or_saveexec_b32 s4, s4
	v_ashrrev_i32_e32 v3, 31, v4
	v_ashrrev_i32_e32 v50, 31, v1
	s_xor_b32 exec_lo, exec_lo, s4
	s_cbranch_execz .LBB286_9
; %bb.8:
	v_mad_u64_u32 v[4:5], null, s15, v28, s[12:13]
	v_mad_u64_u32 v[0:1], null, v4, v0, 1
	buffer_store_dword v0, off, s[0:3], s32 offset:200 ; 4-byte Folded Spill
	buffer_store_dword v1, off, s[0:3], s32 offset:204 ; 4-byte Folded Spill
.LBB286_9:
	s_or_b32 exec_lo, exec_lo, s4
	s_clause 0x1
	s_load_dword s21, s[8:9], 0x14
	s_load_dword s11, s[8:9], 0x8
	buffer_load_dword v7, off, s[0:3], s32 offset:216 ; 4-byte Folded Reload
	v_mul_lo_u32 v0, v17, v39
	v_add_nc_u32_e32 v1, 15, v38
	v_add_nc_u32_e32 v4, 1, v17
	v_xor_b32_e32 v3, v3, v50
	s_lshl_b32 s13, s14, 5
	v_mul_lo_u32 v13, v16, v23
	v_ashrrev_i32_e32 v5, 31, v1
	s_add_i32 s4, s13, 32
	v_sub_nc_u32_e32 v2, v2, v0
	v_mul_lo_u32 v0, v18, s18
	v_mov_b32_e32 v10, 0xff7fffff
	v_lshrrev_b32_e32 v5, 28, v5
	v_sub_nc_u32_e32 v49, 0, v30
	v_sub_nc_u32_e32 v6, v2, v39
	v_cmp_ge_u32_e32 vcc_lo, v2, v39
	v_ashrrev_i32_e32 v53, 31, v13
	v_add_nc_u32_e32 v1, v1, v5
	v_cndmask_b32_e32 v4, v17, v4, vcc_lo
	v_cndmask_b32_e32 v2, v2, v6, vcc_lo
	v_ashrrev_i32_e32 v18, 4, v1
	v_ashrrev_i32_e32 v1, 31, v0
	v_add_nc_u32_e32 v6, 1, v4
	v_cmp_ge_u32_e32 vcc_lo, v2, v39
	v_min_i32_e32 v51, s4, v18
	v_lshlrev_b64 v[36:37], 2, v[0:1]
	v_cndmask_b32_e32 v2, v4, v6, vcc_lo
	v_xor_b32_e32 v2, v2, v3
	v_sub_nc_u32_e32 v2, v2, v3
	v_sub_nc_u32_e32 v52, v2, v29
	s_waitcnt vmcnt(0)
	v_lshrrev_b32_e32 v7, 5, v7
	v_or_b32_e32 v16, s13, v7
	v_lshl_add_u32 v23, v7, 4, s20
	buffer_store_dword v7, off, s[0:3], s32 offset:256 ; 4-byte Folded Spill
	v_ashrrev_i32_e32 v17, 31, v16
	v_cmp_lt_i32_e64 s4, v16, v51
	s_and_saveexec_b32 s22, s4
	s_cbranch_execz .LBB286_789
; %bb.10:
	v_max_i32_e32 v67, v30, v49
	buffer_store_dword v18, off, s[0:3], s32 offset:328 ; 4-byte Folded Spill
	buffer_store_dword v19, off, s[0:3], s32 offset:312 ; 4-byte Folded Spill
	;; [unrolled: 1-line block ×10, first 2 shown]
	s_clause 0x2
	buffer_load_dword v1, off, s[0:3], s32 offset:216
	buffer_load_dword v5, off, s[0:3], s32 offset:260
	;; [unrolled: 1-line block ×3, first 2 shown]
	v_cvt_f32_u32_e32 v0, v67
	v_add_co_u32 v3, s5, v8, v13
	v_add_co_ci_u32_e64 v4, null, v9, v53, s5
	v_rcp_iflag_f32_e32 v2, v0
	buffer_load_dword v0, off, s[0:3], s32 offset:244 ; 4-byte Folded Reload
	s_ashr_i32 s17, s16, 31
	s_getpc_b64 s[6:7]
	s_add_u32 s6, s6, llvm.amdgcn.dynlds.offset.table@rel32@lo+4
	s_addc_u32 s7, s7, llvm.amdgcn.dynlds.offset.table@rel32@hi+12
	s_lshl_b64 s[8:9], s[16:17], 2
	buffer_store_dword v13, off, s[0:3], s32 offset:324 ; 4-byte Folded Spill
	buffer_store_dword v53, off, s[0:3], s32 offset:336 ; 4-byte Folded Spill
	s_add_u32 s8, s6, s8
	s_addc_u32 s9, s7, s9
	v_mov_b32_e32 v8, 0
	v_mul_f32_e32 v2, 0x4f7ffffe, v2
	v_mov_b32_e32 v81, 0x80
	v_mov_b32_e32 v82, 0x7f
	v_mov_b32_e32 v97, v16
	s_mov_b32 s23, 0
	v_cvt_u32_f32_e32 v2, v2
	s_waitcnt vmcnt(3)
	v_bfe_u32 v11, v1, 1, 4
	s_waitcnt vmcnt(2)
	v_cmp_eq_u32_e32 vcc_lo, 0, v5
	v_lshlrev_b32_e32 v69, 2, v5
	v_mul_u32_u24_e32 v70, 0xc0, v5
	v_sub_nc_u32_e32 v5, 0, v67
	buffer_store_dword v11, off, s[0:3], s32 offset:248 ; 4-byte Folded Spill
	v_lshlrev_b32_e32 v6, 4, v11
	v_sub_nc_u32_e32 v9, v11, v38
	v_lshlrev_b32_e32 v7, 2, v11
	s_waitcnt vmcnt(0)
	v_cmp_neq_f32_e64 s5, 0, v0
	v_lshlrev_b64 v[0:1], 2, v[16:17]
	v_mul_lo_u32 v5, v5, v2
	v_lshl_add_u32 v71, v10, 4, s20
	v_lshl_or_b32 v84, v10, 6, v7
	v_add_co_u32 v0, s6, v36, v0
	buffer_store_dword v36, off, s[0:3], s32 offset:316 ; 4-byte Folded Spill
	buffer_store_dword v37, off, s[0:3], s32 offset:320 ; 4-byte Folded Spill
	s_load_dword s17, s[8:9], 0x0
	v_mul_hi_u32 v5, v2, v5
	v_add_co_ci_u32_e64 v1, null, v37, v1, s6
	v_add_co_u32 v3, s6, v3, v6
	v_add_co_ci_u32_e64 v4, null, 0, v4, s6
	buffer_store_dword v3, off, s[0:3], s32 offset:232 ; 4-byte Folded Spill
	buffer_store_dword v4, off, s[0:3], s32 offset:236 ; 4-byte Folded Spill
	v_add_nc_u32_e32 v3, 1, v9
	v_add_co_u32 v28, s6, v14, v0
	v_add_nc_u32_e32 v0, v2, v5
	buffer_store_dword v3, off, s[0:3], s32 offset:252 ; 4-byte Folded Spill
	buffer_store_dword v14, off, s[0:3], s32 offset:280 ; 4-byte Folded Spill
	v_add_co_ci_u32_e64 v29, null, v15, v1, s6
	buffer_store_dword v0, off, s[0:3], s32 offset:212 ; 4-byte Folded Spill
	v_mov_b32_e32 v0, 0xff7fffff
	buffer_store_dword v15, off, s[0:3], s32 offset:276 ; 4-byte Folded Spill
	buffer_store_dword v0, off, s[0:3], s32 offset:228 ; 4-byte Folded Spill
	s_branch .LBB286_13
.LBB286_11:                             ;   in Loop: Header=BB286_13 Depth=1
	s_or_b32 exec_lo, exec_lo, s24
.LBB286_12:                             ;   in Loop: Header=BB286_13 Depth=1
	s_or_b32 exec_lo, exec_lo, s7
	v_add_nc_u32_e32 v97, 4, v97
	v_add_co_u32 v28, s7, v28, 16
	v_add_co_ci_u32_e64 v29, null, 0, v29, s7
	v_cmp_ge_i32_e64 s6, v97, v51
	v_add_nc_u32_e32 v71, 64, v71
	v_add_nc_u32_e32 v84, 0x100, v84
	s_or_b32 s23, s6, s23
	s_andn2_b32 exec_lo, exec_lo, s23
	s_cbranch_execz .LBB286_788
.LBB286_13:                             ; =>This Inner Loop Header: Depth=1
	v_sub_nc_u32_e32 v0, 0, v71
	v_max_i32_e32 v0, v71, v0
	s_waitcnt lgkmcnt(0)
	v_mul_hi_u32 v1, v0, v48
	v_mul_lo_u32 v2, v1, v39
	v_sub_nc_u32_e32 v0, v0, v2
	v_add_nc_u32_e32 v2, 1, v1
	v_sub_nc_u32_e32 v3, v0, v39
	v_cmp_ge_u32_e64 s6, v0, v39
	v_cndmask_b32_e64 v1, v1, v2, s6
	v_cndmask_b32_e64 v0, v0, v3, s6
	v_ashrrev_i32_e32 v2, 31, v71
	v_add_nc_u32_e32 v3, 1, v1
	v_cmp_ge_u32_e64 s6, v0, v39
	v_xor_b32_e32 v2, v2, v50
	v_cndmask_b32_e64 v0, v1, v3, s6
	v_xor_b32_e32 v0, v0, v2
	v_sub_nc_u32_e32 v0, v0, v2
	s_clause 0x2
	buffer_load_dword v1, off, s[0:3], s32 offset:200
	buffer_load_dword v2, off, s[0:3], s32 offset:204
	;; [unrolled: 1-line block ×3, first 2 shown]
	v_cmp_le_i32_e64 s7, v0, v52
	s_waitcnt vmcnt(2)
	v_add_nc_u32_e32 v1, v0, v1
	s_waitcnt vmcnt(1)
	v_sub_nc_u32_e32 v2, 0, v1
	v_max_i32_e32 v2, v1, v2
	v_ashrrev_i32_e32 v1, 31, v1
	s_waitcnt vmcnt(0)
	v_mul_hi_u32 v3, v2, v3
	v_mul_lo_u32 v3, v3, v67
	v_sub_nc_u32_e32 v2, v2, v3
	v_sub_nc_u32_e32 v3, v2, v67
	v_cmp_ge_u32_e64 s6, v2, v67
	v_cndmask_b32_e64 v2, v2, v3, s6
	v_sub_nc_u32_e32 v3, v2, v67
	v_cmp_ge_u32_e64 s6, v2, v67
	v_cndmask_b32_e64 v2, v2, v3, s6
	v_xor_b32_e32 v2, v2, v1
	v_sub_nc_u32_e32 v1, v2, v1
	v_cmp_ne_u32_e64 s6, 0, v1
	s_and_b32 s6, s6, s7
	s_and_saveexec_b32 s7, s6
	s_xor_b32 s6, exec_lo, s7
	s_cbranch_execz .LBB286_17
; %bb.14:                               ;   in Loop: Header=BB286_13 Depth=1
	s_and_saveexec_b32 s7, vcc_lo
	s_cbranch_execz .LBB286_16
; %bb.15:                               ;   in Loop: Header=BB286_13 Depth=1
	s_waitcnt lgkmcnt(0)
	v_add_nc_u32_e32 v0, s17, v84
	v_mov_b32_e32 v1, 0xff7fffff
	ds_write_b32 v0, v1
.LBB286_16:                             ;   in Loop: Header=BB286_13 Depth=1
	s_or_b32 exec_lo, exec_lo, s7
.LBB286_17:                             ;   in Loop: Header=BB286_13 Depth=1
	s_andn2_saveexec_b32 s7, s6
	s_cbranch_execz .LBB286_12
; %bb.18:                               ;   in Loop: Header=BB286_13 Depth=1
	flat_load_dword v0, v[28:29]
	s_clause 0x2
	buffer_load_dword v1, off, s[0:3], s32 offset:208
	buffer_load_dword v2, off, s[0:3], s32 offset:232
	;; [unrolled: 1-line block ×3, first 2 shown]
	v_mov_b32_e32 v99, 0
	v_mov_b32_e32 v100, 0
	s_waitcnt vmcnt(0) lgkmcnt(0)
	v_mad_i64_i32 v[31:32], null, v0, v1, v[2:3]
	v_add_co_u32 v33, s6, v31, v69
	v_add_co_ci_u32_e64 v34, null, 0, v32, s6
	flat_load_dword v9, v[33:34]
	s_clause 0x1
	buffer_load_dword v0, off, s[0:3], s32 offset:220
	buffer_load_dword v1, off, s[0:3], s32 offset:224
	s_waitcnt vmcnt(2) lgkmcnt(0)
	v_cmp_ne_u16_sdwa s6, v9, v8 src0_sel:BYTE_0 src1_sel:DWORD
	s_waitcnt vmcnt(0)
	flat_load_dword v98, v[0:1]
	s_and_saveexec_b32 s24, s6
	s_cbranch_execz .LBB286_26
; %bb.19:                               ;   in Loop: Header=BB286_13 Depth=1
	v_cmp_ne_u16_sdwa s6, v9, v81 src0_sel:BYTE_0 src1_sel:DWORD
	v_mov_b32_e32 v100, 0x8000
	s_and_saveexec_b32 s25, s6
	s_cbranch_execz .LBB286_25
; %bb.20:                               ;   in Loop: Header=BB286_13 Depth=1
	v_and_b32_e32 v2, 0x7f, v9
	v_mov_b32_e32 v100, 0x7c01
	s_mov_b32 s26, exec_lo
	v_cmpx_ne_u32_e32 0x7f, v2
	s_cbranch_execz .LBB286_24
; %bb.21:                               ;   in Loop: Header=BB286_13 Depth=1
	v_and_b32_e32 v0, 7, v9
	v_lshrrev_b32_e32 v1, 3, v2
	s_mov_b32 s27, exec_lo
	v_cmpx_gt_u32_e32 8, v2
; %bb.22:                               ;   in Loop: Header=BB286_13 Depth=1
	v_ffbh_u32_e32 v0, v0
	v_min_u32_e32 v2, 32, v0
	v_subrev_nc_u32_e32 v0, 28, v2
	v_lshlrev_b64 v[0:1], v0, v[9:10]
	v_sub_nc_u32_e32 v1, 29, v2
	v_and_b32_e32 v0, 7, v0
; %bb.23:                               ;   in Loop: Header=BB286_13 Depth=1
	s_or_b32 exec_lo, exec_lo, s27
	v_lshlrev_b32_e32 v2, 8, v9
	v_lshl_add_u32 v1, v1, 10, 0x2000
	v_lshlrev_b32_e32 v0, 7, v0
	v_and_b32_e32 v2, 0x8000, v2
	v_and_b32_e32 v1, 0xfc00, v1
	v_or3_b32 v100, v2, v1, v0
.LBB286_24:                             ;   in Loop: Header=BB286_13 Depth=1
	s_or_b32 exec_lo, exec_lo, s26
.LBB286_25:                             ;   in Loop: Header=BB286_13 Depth=1
	s_or_b32 exec_lo, exec_lo, s25
.LBB286_26:                             ;   in Loop: Header=BB286_13 Depth=1
	s_or_b32 exec_lo, exec_lo, s24
	v_lshrrev_b16 v7, 8, v9
	s_mov_b32 s24, exec_lo
	v_cmpx_ne_u16_e32 0, v7
	s_cbranch_execz .LBB286_34
; %bb.27:                               ;   in Loop: Header=BB286_13 Depth=1
	v_bfrev_b32_e32 v99, 1
	s_mov_b32 s25, exec_lo
	v_cmpx_ne_u16_e32 0x80, v7
	s_cbranch_execz .LBB286_33
; %bb.28:                               ;   in Loop: Header=BB286_13 Depth=1
	v_and_b32_sdwa v2, v7, v82 dst_sel:DWORD dst_unused:UNUSED_PAD src0_sel:WORD_0 src1_sel:DWORD
	v_mov_b32_e32 v99, 0x7c010000
	s_mov_b32 s26, exec_lo
	v_cmpx_ne_u32_e32 0x7f, v2
	s_cbranch_execz .LBB286_32
; %bb.29:                               ;   in Loop: Header=BB286_13 Depth=1
	v_mov_b32_e32 v0, 7
	v_lshrrev_b32_e32 v1, 3, v2
	s_mov_b32 s27, exec_lo
	v_and_b32_sdwa v0, v7, v0 dst_sel:DWORD dst_unused:UNUSED_PAD src0_sel:WORD_0 src1_sel:DWORD
	v_cmpx_gt_u32_e32 8, v2
; %bb.30:                               ;   in Loop: Header=BB286_13 Depth=1
	v_ffbh_u32_e32 v0, v0
	v_min_u32_e32 v2, 32, v0
	v_subrev_nc_u32_e32 v0, 28, v2
	v_lshlrev_b64 v[0:1], v0, v[7:8]
	v_sub_nc_u32_e32 v1, 29, v2
	v_and_b32_e32 v0, 7, v0
; %bb.31:                               ;   in Loop: Header=BB286_13 Depth=1
	s_or_b32 exec_lo, exec_lo, s27
	v_mov_b32_e32 v2, 8
	v_lshl_add_u32 v1, v1, 10, 0x2000
	v_lshlrev_b32_e32 v0, 23, v0
	v_lshlrev_b32_sdwa v2, v2, v7 dst_sel:DWORD dst_unused:UNUSED_PAD src0_sel:DWORD src1_sel:WORD_0
	v_and_or_b32 v1, 0x8000, v2, v1
	v_lshl_or_b32 v99, v1, 16, v0
.LBB286_32:                             ;   in Loop: Header=BB286_13 Depth=1
	s_or_b32 exec_lo, exec_lo, s26
.LBB286_33:                             ;   in Loop: Header=BB286_13 Depth=1
	s_or_b32 exec_lo, exec_lo, s25
.LBB286_34:                             ;   in Loop: Header=BB286_13 Depth=1
	s_or_b32 exec_lo, exec_lo, s24
	v_lshrrev_b32_e32 v7, 16, v9
	v_mov_b32_e32 v101, 0
	v_mov_b32_e32 v102, 0
	v_cmp_ne_u16_sdwa s6, v7, v8 src0_sel:BYTE_0 src1_sel:DWORD
	s_and_saveexec_b32 s24, s6
	s_cbranch_execz .LBB286_42
; %bb.35:                               ;   in Loop: Header=BB286_13 Depth=1
	v_cmp_ne_u16_sdwa s6, v7, v81 src0_sel:BYTE_0 src1_sel:DWORD
	v_mov_b32_e32 v102, 0x8000
	s_and_saveexec_b32 s25, s6
	s_cbranch_execz .LBB286_41
; %bb.36:                               ;   in Loop: Header=BB286_13 Depth=1
	v_bfe_u32 v2, v9, 16, 7
	v_mov_b32_e32 v102, 0x7c01
	s_mov_b32 s26, exec_lo
	v_cmpx_ne_u32_e32 0x7f, v2
	s_cbranch_execz .LBB286_40
; %bb.37:                               ;   in Loop: Header=BB286_13 Depth=1
	v_and_b32_e32 v0, 7, v7
	v_lshrrev_b32_e32 v1, 3, v2
	s_mov_b32 s27, exec_lo
	v_cmpx_gt_u32_e32 8, v2
; %bb.38:                               ;   in Loop: Header=BB286_13 Depth=1
	v_ffbh_u32_e32 v0, v0
	v_min_u32_e32 v2, 32, v0
	v_subrev_nc_u32_e32 v0, 28, v2
	v_lshlrev_b64 v[0:1], v0, v[7:8]
	v_sub_nc_u32_e32 v1, 29, v2
	v_and_b32_e32 v0, 7, v0
; %bb.39:                               ;   in Loop: Header=BB286_13 Depth=1
	s_or_b32 exec_lo, exec_lo, s27
	v_lshlrev_b32_e32 v2, 8, v7
	v_lshl_add_u32 v1, v1, 10, 0x2000
	v_lshlrev_b32_e32 v0, 7, v0
	v_and_b32_e32 v2, 0x8000, v2
	v_and_b32_e32 v1, 0xfc00, v1
	v_or3_b32 v102, v2, v1, v0
.LBB286_40:                             ;   in Loop: Header=BB286_13 Depth=1
	s_or_b32 exec_lo, exec_lo, s26
.LBB286_41:                             ;   in Loop: Header=BB286_13 Depth=1
	s_or_b32 exec_lo, exec_lo, s25
.LBB286_42:                             ;   in Loop: Header=BB286_13 Depth=1
	s_or_b32 exec_lo, exec_lo, s24
	s_mov_b32 s24, exec_lo
	v_cmpx_lt_u32_e32 0xffffff, v9
	s_cbranch_execz .LBB286_50
; %bb.43:                               ;   in Loop: Header=BB286_13 Depth=1
	v_lshrrev_b32_e32 v7, 24, v9
	v_bfrev_b32_e32 v101, 1
	s_mov_b32 s25, exec_lo
	v_cmpx_ne_u32_e32 0x80, v7
	s_cbranch_execz .LBB286_49
; %bb.44:                               ;   in Loop: Header=BB286_13 Depth=1
	v_and_b32_e32 v2, 0x7f, v7
	v_mov_b32_e32 v101, 0x7c010000
	s_mov_b32 s26, exec_lo
	v_cmpx_ne_u32_e32 0x7f, v2
	s_cbranch_execz .LBB286_48
; %bb.45:                               ;   in Loop: Header=BB286_13 Depth=1
	v_and_b32_e32 v0, 7, v7
	v_lshrrev_b32_e32 v1, 3, v2
	s_mov_b32 s27, exec_lo
	v_cmpx_gt_u32_e32 8, v2
; %bb.46:                               ;   in Loop: Header=BB286_13 Depth=1
	v_ffbh_u32_e32 v0, v0
	v_min_u32_e32 v2, 32, v0
	v_subrev_nc_u32_e32 v0, 28, v2
	v_lshlrev_b64 v[0:1], v0, v[7:8]
	v_sub_nc_u32_e32 v1, 29, v2
	v_and_b32_e32 v0, 7, v0
; %bb.47:                               ;   in Loop: Header=BB286_13 Depth=1
	s_or_b32 exec_lo, exec_lo, s27
	v_lshlrev_b32_e32 v2, 8, v7
	v_lshl_add_u32 v1, v1, 10, 0x2000
	v_lshlrev_b32_e32 v0, 23, v0
	v_and_or_b32 v1, 0x8000, v2, v1
	v_lshl_or_b32 v101, v1, 16, v0
.LBB286_48:                             ;   in Loop: Header=BB286_13 Depth=1
	s_or_b32 exec_lo, exec_lo, s26
.LBB286_49:                             ;   in Loop: Header=BB286_13 Depth=1
	s_or_b32 exec_lo, exec_lo, s25
.LBB286_50:                             ;   in Loop: Header=BB286_13 Depth=1
	s_or_b32 exec_lo, exec_lo, s24
	flat_load_dword v9, v[33:34] offset:8
	v_mov_b32_e32 v103, 0
	v_mov_b32_e32 v112, 0
	s_waitcnt vmcnt(0) lgkmcnt(0)
	v_cmp_ne_u16_sdwa s6, v9, v8 src0_sel:BYTE_0 src1_sel:DWORD
	s_and_saveexec_b32 s24, s6
	s_cbranch_execz .LBB286_58
; %bb.51:                               ;   in Loop: Header=BB286_13 Depth=1
	v_cmp_ne_u16_sdwa s6, v9, v81 src0_sel:BYTE_0 src1_sel:DWORD
	v_mov_b32_e32 v112, 0x8000
	s_and_saveexec_b32 s25, s6
	s_cbranch_execz .LBB286_57
; %bb.52:                               ;   in Loop: Header=BB286_13 Depth=1
	v_and_b32_e32 v2, 0x7f, v9
	v_mov_b32_e32 v112, 0x7c01
	s_mov_b32 s26, exec_lo
	v_cmpx_ne_u32_e32 0x7f, v2
	s_cbranch_execz .LBB286_56
; %bb.53:                               ;   in Loop: Header=BB286_13 Depth=1
	v_and_b32_e32 v0, 7, v9
	v_lshrrev_b32_e32 v1, 3, v2
	s_mov_b32 s27, exec_lo
	v_cmpx_gt_u32_e32 8, v2
; %bb.54:                               ;   in Loop: Header=BB286_13 Depth=1
	v_ffbh_u32_e32 v0, v0
	v_min_u32_e32 v2, 32, v0
	v_subrev_nc_u32_e32 v0, 28, v2
	v_lshlrev_b64 v[0:1], v0, v[9:10]
	v_sub_nc_u32_e32 v1, 29, v2
	v_and_b32_e32 v0, 7, v0
; %bb.55:                               ;   in Loop: Header=BB286_13 Depth=1
	s_or_b32 exec_lo, exec_lo, s27
	v_lshlrev_b32_e32 v2, 8, v9
	v_lshl_add_u32 v1, v1, 10, 0x2000
	v_lshlrev_b32_e32 v0, 7, v0
	v_and_b32_e32 v2, 0x8000, v2
	v_and_b32_e32 v1, 0xfc00, v1
	v_or3_b32 v112, v2, v1, v0
.LBB286_56:                             ;   in Loop: Header=BB286_13 Depth=1
	s_or_b32 exec_lo, exec_lo, s26
.LBB286_57:                             ;   in Loop: Header=BB286_13 Depth=1
	s_or_b32 exec_lo, exec_lo, s25
.LBB286_58:                             ;   in Loop: Header=BB286_13 Depth=1
	s_or_b32 exec_lo, exec_lo, s24
	v_lshrrev_b16 v7, 8, v9
	s_mov_b32 s24, exec_lo
	v_cmpx_ne_u16_e32 0, v7
	s_cbranch_execz .LBB286_66
; %bb.59:                               ;   in Loop: Header=BB286_13 Depth=1
	v_bfrev_b32_e32 v103, 1
	s_mov_b32 s25, exec_lo
	v_cmpx_ne_u16_e32 0x80, v7
	s_cbranch_execz .LBB286_65
; %bb.60:                               ;   in Loop: Header=BB286_13 Depth=1
	v_and_b32_sdwa v2, v7, v82 dst_sel:DWORD dst_unused:UNUSED_PAD src0_sel:WORD_0 src1_sel:DWORD
	v_mov_b32_e32 v103, 0x7c010000
	s_mov_b32 s26, exec_lo
	v_cmpx_ne_u32_e32 0x7f, v2
	s_cbranch_execz .LBB286_64
; %bb.61:                               ;   in Loop: Header=BB286_13 Depth=1
	v_mov_b32_e32 v0, 7
	v_lshrrev_b32_e32 v1, 3, v2
	s_mov_b32 s27, exec_lo
	v_and_b32_sdwa v0, v7, v0 dst_sel:DWORD dst_unused:UNUSED_PAD src0_sel:WORD_0 src1_sel:DWORD
	v_cmpx_gt_u32_e32 8, v2
; %bb.62:                               ;   in Loop: Header=BB286_13 Depth=1
	v_ffbh_u32_e32 v0, v0
	v_min_u32_e32 v2, 32, v0
	v_subrev_nc_u32_e32 v0, 28, v2
	v_lshlrev_b64 v[0:1], v0, v[7:8]
	v_sub_nc_u32_e32 v1, 29, v2
	v_and_b32_e32 v0, 7, v0
; %bb.63:                               ;   in Loop: Header=BB286_13 Depth=1
	s_or_b32 exec_lo, exec_lo, s27
	v_mov_b32_e32 v2, 8
	v_lshl_add_u32 v1, v1, 10, 0x2000
	v_lshlrev_b32_e32 v0, 23, v0
	v_lshlrev_b32_sdwa v2, v2, v7 dst_sel:DWORD dst_unused:UNUSED_PAD src0_sel:DWORD src1_sel:WORD_0
	v_and_or_b32 v1, 0x8000, v2, v1
	v_lshl_or_b32 v103, v1, 16, v0
.LBB286_64:                             ;   in Loop: Header=BB286_13 Depth=1
	s_or_b32 exec_lo, exec_lo, s26
.LBB286_65:                             ;   in Loop: Header=BB286_13 Depth=1
	s_or_b32 exec_lo, exec_lo, s25
.LBB286_66:                             ;   in Loop: Header=BB286_13 Depth=1
	s_or_b32 exec_lo, exec_lo, s24
	v_lshrrev_b32_e32 v7, 16, v9
	v_mov_b32_e32 v113, 0
	v_mov_b32_e32 v114, 0
	v_cmp_ne_u16_sdwa s6, v7, v8 src0_sel:BYTE_0 src1_sel:DWORD
	s_and_saveexec_b32 s24, s6
	s_cbranch_execz .LBB286_74
; %bb.67:                               ;   in Loop: Header=BB286_13 Depth=1
	v_cmp_ne_u16_sdwa s6, v7, v81 src0_sel:BYTE_0 src1_sel:DWORD
	v_mov_b32_e32 v114, 0x8000
	s_and_saveexec_b32 s25, s6
	s_cbranch_execz .LBB286_73
; %bb.68:                               ;   in Loop: Header=BB286_13 Depth=1
	v_bfe_u32 v2, v9, 16, 7
	v_mov_b32_e32 v114, 0x7c01
	s_mov_b32 s26, exec_lo
	v_cmpx_ne_u32_e32 0x7f, v2
	s_cbranch_execz .LBB286_72
; %bb.69:                               ;   in Loop: Header=BB286_13 Depth=1
	v_and_b32_e32 v0, 7, v7
	v_lshrrev_b32_e32 v1, 3, v2
	s_mov_b32 s27, exec_lo
	v_cmpx_gt_u32_e32 8, v2
; %bb.70:                               ;   in Loop: Header=BB286_13 Depth=1
	v_ffbh_u32_e32 v0, v0
	v_min_u32_e32 v2, 32, v0
	v_subrev_nc_u32_e32 v0, 28, v2
	v_lshlrev_b64 v[0:1], v0, v[7:8]
	v_sub_nc_u32_e32 v1, 29, v2
	v_and_b32_e32 v0, 7, v0
; %bb.71:                               ;   in Loop: Header=BB286_13 Depth=1
	s_or_b32 exec_lo, exec_lo, s27
	v_lshlrev_b32_e32 v2, 8, v7
	v_lshl_add_u32 v1, v1, 10, 0x2000
	v_lshlrev_b32_e32 v0, 7, v0
	v_and_b32_e32 v2, 0x8000, v2
	v_and_b32_e32 v1, 0xfc00, v1
	v_or3_b32 v114, v2, v1, v0
.LBB286_72:                             ;   in Loop: Header=BB286_13 Depth=1
	s_or_b32 exec_lo, exec_lo, s26
.LBB286_73:                             ;   in Loop: Header=BB286_13 Depth=1
	s_or_b32 exec_lo, exec_lo, s25
.LBB286_74:                             ;   in Loop: Header=BB286_13 Depth=1
	s_or_b32 exec_lo, exec_lo, s24
	s_mov_b32 s24, exec_lo
	v_cmpx_lt_u32_e32 0xffffff, v9
	s_cbranch_execz .LBB286_82
; %bb.75:                               ;   in Loop: Header=BB286_13 Depth=1
	v_lshrrev_b32_e32 v7, 24, v9
	v_bfrev_b32_e32 v113, 1
	s_mov_b32 s25, exec_lo
	v_cmpx_ne_u32_e32 0x80, v7
	s_cbranch_execz .LBB286_81
; %bb.76:                               ;   in Loop: Header=BB286_13 Depth=1
	v_and_b32_e32 v2, 0x7f, v7
	v_mov_b32_e32 v113, 0x7c010000
	s_mov_b32 s26, exec_lo
	v_cmpx_ne_u32_e32 0x7f, v2
	s_cbranch_execz .LBB286_80
; %bb.77:                               ;   in Loop: Header=BB286_13 Depth=1
	v_and_b32_e32 v0, 7, v7
	v_lshrrev_b32_e32 v1, 3, v2
	s_mov_b32 s27, exec_lo
	v_cmpx_gt_u32_e32 8, v2
; %bb.78:                               ;   in Loop: Header=BB286_13 Depth=1
	v_ffbh_u32_e32 v0, v0
	v_min_u32_e32 v2, 32, v0
	v_subrev_nc_u32_e32 v0, 28, v2
	v_lshlrev_b64 v[0:1], v0, v[7:8]
	v_sub_nc_u32_e32 v1, 29, v2
	v_and_b32_e32 v0, 7, v0
; %bb.79:                               ;   in Loop: Header=BB286_13 Depth=1
	s_or_b32 exec_lo, exec_lo, s27
	v_lshlrev_b32_e32 v2, 8, v7
	v_lshl_add_u32 v1, v1, 10, 0x2000
	v_lshlrev_b32_e32 v0, 23, v0
	v_and_or_b32 v1, 0x8000, v2, v1
	v_lshl_or_b32 v113, v1, 16, v0
.LBB286_80:                             ;   in Loop: Header=BB286_13 Depth=1
	s_or_b32 exec_lo, exec_lo, s26
.LBB286_81:                             ;   in Loop: Header=BB286_13 Depth=1
	s_or_b32 exec_lo, exec_lo, s25
.LBB286_82:                             ;   in Loop: Header=BB286_13 Depth=1
	s_or_b32 exec_lo, exec_lo, s24
	flat_load_dword v9, v[33:34] offset:256
	v_mov_b32_e32 v115, 0
	v_mov_b32_e32 v116, 0
	s_waitcnt vmcnt(0) lgkmcnt(0)
	v_cmp_ne_u16_sdwa s6, v9, v8 src0_sel:BYTE_0 src1_sel:DWORD
	s_and_saveexec_b32 s24, s6
	s_cbranch_execz .LBB286_90
; %bb.83:                               ;   in Loop: Header=BB286_13 Depth=1
	v_cmp_ne_u16_sdwa s6, v9, v81 src0_sel:BYTE_0 src1_sel:DWORD
	v_mov_b32_e32 v116, 0x8000
	s_and_saveexec_b32 s25, s6
	s_cbranch_execz .LBB286_89
; %bb.84:                               ;   in Loop: Header=BB286_13 Depth=1
	v_and_b32_e32 v2, 0x7f, v9
	v_mov_b32_e32 v116, 0x7c01
	s_mov_b32 s26, exec_lo
	v_cmpx_ne_u32_e32 0x7f, v2
	s_cbranch_execz .LBB286_88
; %bb.85:                               ;   in Loop: Header=BB286_13 Depth=1
	v_and_b32_e32 v0, 7, v9
	v_lshrrev_b32_e32 v1, 3, v2
	s_mov_b32 s27, exec_lo
	v_cmpx_gt_u32_e32 8, v2
; %bb.86:                               ;   in Loop: Header=BB286_13 Depth=1
	v_ffbh_u32_e32 v0, v0
	v_min_u32_e32 v2, 32, v0
	v_subrev_nc_u32_e32 v0, 28, v2
	v_lshlrev_b64 v[0:1], v0, v[9:10]
	v_sub_nc_u32_e32 v1, 29, v2
	v_and_b32_e32 v0, 7, v0
; %bb.87:                               ;   in Loop: Header=BB286_13 Depth=1
	s_or_b32 exec_lo, exec_lo, s27
	v_lshlrev_b32_e32 v2, 8, v9
	v_lshl_add_u32 v1, v1, 10, 0x2000
	v_lshlrev_b32_e32 v0, 7, v0
	v_and_b32_e32 v2, 0x8000, v2
	v_and_b32_e32 v1, 0xfc00, v1
	v_or3_b32 v116, v2, v1, v0
.LBB286_88:                             ;   in Loop: Header=BB286_13 Depth=1
	s_or_b32 exec_lo, exec_lo, s26
.LBB286_89:                             ;   in Loop: Header=BB286_13 Depth=1
	s_or_b32 exec_lo, exec_lo, s25
.LBB286_90:                             ;   in Loop: Header=BB286_13 Depth=1
	s_or_b32 exec_lo, exec_lo, s24
	v_lshrrev_b16 v7, 8, v9
	s_mov_b32 s24, exec_lo
	v_cmpx_ne_u16_e32 0, v7
	s_cbranch_execz .LBB286_98
; %bb.91:                               ;   in Loop: Header=BB286_13 Depth=1
	v_bfrev_b32_e32 v115, 1
	s_mov_b32 s25, exec_lo
	v_cmpx_ne_u16_e32 0x80, v7
	s_cbranch_execz .LBB286_97
; %bb.92:                               ;   in Loop: Header=BB286_13 Depth=1
	v_and_b32_sdwa v2, v7, v82 dst_sel:DWORD dst_unused:UNUSED_PAD src0_sel:WORD_0 src1_sel:DWORD
	v_mov_b32_e32 v115, 0x7c010000
	s_mov_b32 s26, exec_lo
	v_cmpx_ne_u32_e32 0x7f, v2
	s_cbranch_execz .LBB286_96
; %bb.93:                               ;   in Loop: Header=BB286_13 Depth=1
	v_mov_b32_e32 v0, 7
	v_lshrrev_b32_e32 v1, 3, v2
	s_mov_b32 s27, exec_lo
	v_and_b32_sdwa v0, v7, v0 dst_sel:DWORD dst_unused:UNUSED_PAD src0_sel:WORD_0 src1_sel:DWORD
	v_cmpx_gt_u32_e32 8, v2
; %bb.94:                               ;   in Loop: Header=BB286_13 Depth=1
	v_ffbh_u32_e32 v0, v0
	v_min_u32_e32 v2, 32, v0
	v_subrev_nc_u32_e32 v0, 28, v2
	v_lshlrev_b64 v[0:1], v0, v[7:8]
	v_sub_nc_u32_e32 v1, 29, v2
	v_and_b32_e32 v0, 7, v0
; %bb.95:                               ;   in Loop: Header=BB286_13 Depth=1
	s_or_b32 exec_lo, exec_lo, s27
	v_mov_b32_e32 v2, 8
	v_lshl_add_u32 v1, v1, 10, 0x2000
	v_lshlrev_b32_e32 v0, 23, v0
	v_lshlrev_b32_sdwa v2, v2, v7 dst_sel:DWORD dst_unused:UNUSED_PAD src0_sel:DWORD src1_sel:WORD_0
	v_and_or_b32 v1, 0x8000, v2, v1
	v_lshl_or_b32 v115, v1, 16, v0
.LBB286_96:                             ;   in Loop: Header=BB286_13 Depth=1
	s_or_b32 exec_lo, exec_lo, s26
.LBB286_97:                             ;   in Loop: Header=BB286_13 Depth=1
	s_or_b32 exec_lo, exec_lo, s25
.LBB286_98:                             ;   in Loop: Header=BB286_13 Depth=1
	s_or_b32 exec_lo, exec_lo, s24
	v_lshrrev_b32_e32 v7, 16, v9
	v_mov_b32_e32 v117, 0
	v_mov_b32_e32 v118, 0
	v_cmp_ne_u16_sdwa s6, v7, v8 src0_sel:BYTE_0 src1_sel:DWORD
	s_and_saveexec_b32 s24, s6
	s_cbranch_execz .LBB286_106
; %bb.99:                               ;   in Loop: Header=BB286_13 Depth=1
	v_cmp_ne_u16_sdwa s6, v7, v81 src0_sel:BYTE_0 src1_sel:DWORD
	v_mov_b32_e32 v118, 0x8000
	s_and_saveexec_b32 s25, s6
	s_cbranch_execz .LBB286_105
; %bb.100:                              ;   in Loop: Header=BB286_13 Depth=1
	v_bfe_u32 v2, v9, 16, 7
	v_mov_b32_e32 v118, 0x7c01
	s_mov_b32 s26, exec_lo
	v_cmpx_ne_u32_e32 0x7f, v2
	s_cbranch_execz .LBB286_104
; %bb.101:                              ;   in Loop: Header=BB286_13 Depth=1
	v_and_b32_e32 v0, 7, v7
	v_lshrrev_b32_e32 v1, 3, v2
	s_mov_b32 s27, exec_lo
	v_cmpx_gt_u32_e32 8, v2
; %bb.102:                              ;   in Loop: Header=BB286_13 Depth=1
	v_ffbh_u32_e32 v0, v0
	v_min_u32_e32 v2, 32, v0
	v_subrev_nc_u32_e32 v0, 28, v2
	v_lshlrev_b64 v[0:1], v0, v[7:8]
	v_sub_nc_u32_e32 v1, 29, v2
	v_and_b32_e32 v0, 7, v0
; %bb.103:                              ;   in Loop: Header=BB286_13 Depth=1
	s_or_b32 exec_lo, exec_lo, s27
	v_lshlrev_b32_e32 v2, 8, v7
	v_lshl_add_u32 v1, v1, 10, 0x2000
	v_lshlrev_b32_e32 v0, 7, v0
	v_and_b32_e32 v2, 0x8000, v2
	v_and_b32_e32 v1, 0xfc00, v1
	v_or3_b32 v118, v2, v1, v0
.LBB286_104:                            ;   in Loop: Header=BB286_13 Depth=1
	s_or_b32 exec_lo, exec_lo, s26
.LBB286_105:                            ;   in Loop: Header=BB286_13 Depth=1
	s_or_b32 exec_lo, exec_lo, s25
.LBB286_106:                            ;   in Loop: Header=BB286_13 Depth=1
	s_or_b32 exec_lo, exec_lo, s24
	s_mov_b32 s24, exec_lo
	v_cmpx_lt_u32_e32 0xffffff, v9
	s_cbranch_execz .LBB286_114
; %bb.107:                              ;   in Loop: Header=BB286_13 Depth=1
	v_lshrrev_b32_e32 v7, 24, v9
	v_bfrev_b32_e32 v117, 1
	s_mov_b32 s25, exec_lo
	v_cmpx_ne_u32_e32 0x80, v7
	s_cbranch_execz .LBB286_113
; %bb.108:                              ;   in Loop: Header=BB286_13 Depth=1
	v_and_b32_e32 v2, 0x7f, v7
	v_mov_b32_e32 v117, 0x7c010000
	s_mov_b32 s26, exec_lo
	v_cmpx_ne_u32_e32 0x7f, v2
	s_cbranch_execz .LBB286_112
; %bb.109:                              ;   in Loop: Header=BB286_13 Depth=1
	v_and_b32_e32 v0, 7, v7
	v_lshrrev_b32_e32 v1, 3, v2
	s_mov_b32 s27, exec_lo
	v_cmpx_gt_u32_e32 8, v2
; %bb.110:                              ;   in Loop: Header=BB286_13 Depth=1
	v_ffbh_u32_e32 v0, v0
	v_min_u32_e32 v2, 32, v0
	v_subrev_nc_u32_e32 v0, 28, v2
	v_lshlrev_b64 v[0:1], v0, v[7:8]
	v_sub_nc_u32_e32 v1, 29, v2
	v_and_b32_e32 v0, 7, v0
; %bb.111:                              ;   in Loop: Header=BB286_13 Depth=1
	s_or_b32 exec_lo, exec_lo, s27
	v_lshlrev_b32_e32 v2, 8, v7
	v_lshl_add_u32 v1, v1, 10, 0x2000
	v_lshlrev_b32_e32 v0, 23, v0
	v_and_or_b32 v1, 0x8000, v2, v1
	v_lshl_or_b32 v117, v1, 16, v0
.LBB286_112:                            ;   in Loop: Header=BB286_13 Depth=1
	s_or_b32 exec_lo, exec_lo, s26
.LBB286_113:                            ;   in Loop: Header=BB286_13 Depth=1
	s_or_b32 exec_lo, exec_lo, s25
.LBB286_114:                            ;   in Loop: Header=BB286_13 Depth=1
	s_or_b32 exec_lo, exec_lo, s24
	flat_load_dword v9, v[33:34] offset:264
	v_mov_b32_e32 v119, 0
	v_mov_b32_e32 v40, 0
	s_waitcnt vmcnt(0) lgkmcnt(0)
	v_cmp_ne_u16_sdwa s6, v9, v8 src0_sel:BYTE_0 src1_sel:DWORD
	s_and_saveexec_b32 s24, s6
	s_cbranch_execz .LBB286_122
; %bb.115:                              ;   in Loop: Header=BB286_13 Depth=1
	v_cmp_ne_u16_sdwa s6, v9, v81 src0_sel:BYTE_0 src1_sel:DWORD
	v_mov_b32_e32 v40, 0x8000
	s_and_saveexec_b32 s25, s6
	s_cbranch_execz .LBB286_121
; %bb.116:                              ;   in Loop: Header=BB286_13 Depth=1
	v_and_b32_e32 v2, 0x7f, v9
	v_mov_b32_e32 v40, 0x7c01
	s_mov_b32 s26, exec_lo
	v_cmpx_ne_u32_e32 0x7f, v2
	s_cbranch_execz .LBB286_120
; %bb.117:                              ;   in Loop: Header=BB286_13 Depth=1
	v_and_b32_e32 v0, 7, v9
	v_lshrrev_b32_e32 v1, 3, v2
	s_mov_b32 s27, exec_lo
	v_cmpx_gt_u32_e32 8, v2
; %bb.118:                              ;   in Loop: Header=BB286_13 Depth=1
	v_ffbh_u32_e32 v0, v0
	v_min_u32_e32 v2, 32, v0
	v_subrev_nc_u32_e32 v0, 28, v2
	v_lshlrev_b64 v[0:1], v0, v[9:10]
	v_sub_nc_u32_e32 v1, 29, v2
	v_and_b32_e32 v0, 7, v0
; %bb.119:                              ;   in Loop: Header=BB286_13 Depth=1
	s_or_b32 exec_lo, exec_lo, s27
	v_lshlrev_b32_e32 v2, 8, v9
	v_lshl_add_u32 v1, v1, 10, 0x2000
	v_lshlrev_b32_e32 v0, 7, v0
	v_and_b32_e32 v2, 0x8000, v2
	v_and_b32_e32 v1, 0xfc00, v1
	v_or3_b32 v40, v2, v1, v0
.LBB286_120:                            ;   in Loop: Header=BB286_13 Depth=1
	s_or_b32 exec_lo, exec_lo, s26
.LBB286_121:                            ;   in Loop: Header=BB286_13 Depth=1
	s_or_b32 exec_lo, exec_lo, s25
.LBB286_122:                            ;   in Loop: Header=BB286_13 Depth=1
	s_or_b32 exec_lo, exec_lo, s24
	v_lshrrev_b16 v7, 8, v9
	s_mov_b32 s24, exec_lo
	v_cmpx_ne_u16_e32 0, v7
	s_cbranch_execz .LBB286_130
; %bb.123:                              ;   in Loop: Header=BB286_13 Depth=1
	v_bfrev_b32_e32 v119, 1
	s_mov_b32 s25, exec_lo
	v_cmpx_ne_u16_e32 0x80, v7
	s_cbranch_execz .LBB286_129
; %bb.124:                              ;   in Loop: Header=BB286_13 Depth=1
	v_and_b32_sdwa v2, v7, v82 dst_sel:DWORD dst_unused:UNUSED_PAD src0_sel:WORD_0 src1_sel:DWORD
	v_mov_b32_e32 v119, 0x7c010000
	s_mov_b32 s26, exec_lo
	v_cmpx_ne_u32_e32 0x7f, v2
	s_cbranch_execz .LBB286_128
; %bb.125:                              ;   in Loop: Header=BB286_13 Depth=1
	v_mov_b32_e32 v0, 7
	v_lshrrev_b32_e32 v1, 3, v2
	s_mov_b32 s27, exec_lo
	v_and_b32_sdwa v0, v7, v0 dst_sel:DWORD dst_unused:UNUSED_PAD src0_sel:WORD_0 src1_sel:DWORD
	v_cmpx_gt_u32_e32 8, v2
; %bb.126:                              ;   in Loop: Header=BB286_13 Depth=1
	v_ffbh_u32_e32 v0, v0
	v_min_u32_e32 v2, 32, v0
	v_subrev_nc_u32_e32 v0, 28, v2
	v_lshlrev_b64 v[0:1], v0, v[7:8]
	v_sub_nc_u32_e32 v1, 29, v2
	v_and_b32_e32 v0, 7, v0
; %bb.127:                              ;   in Loop: Header=BB286_13 Depth=1
	s_or_b32 exec_lo, exec_lo, s27
	v_mov_b32_e32 v2, 8
	v_lshl_add_u32 v1, v1, 10, 0x2000
	v_lshlrev_b32_e32 v0, 23, v0
	v_lshlrev_b32_sdwa v2, v2, v7 dst_sel:DWORD dst_unused:UNUSED_PAD src0_sel:DWORD src1_sel:WORD_0
	v_and_or_b32 v1, 0x8000, v2, v1
	v_lshl_or_b32 v119, v1, 16, v0
.LBB286_128:                            ;   in Loop: Header=BB286_13 Depth=1
	s_or_b32 exec_lo, exec_lo, s26
.LBB286_129:                            ;   in Loop: Header=BB286_13 Depth=1
	s_or_b32 exec_lo, exec_lo, s25
.LBB286_130:                            ;   in Loop: Header=BB286_13 Depth=1
	s_or_b32 exec_lo, exec_lo, s24
	v_lshrrev_b32_e32 v7, 16, v9
	v_mov_b32_e32 v41, 0
	v_mov_b32_e32 v42, 0
	v_cmp_ne_u16_sdwa s6, v7, v8 src0_sel:BYTE_0 src1_sel:DWORD
	s_and_saveexec_b32 s24, s6
	s_cbranch_execz .LBB286_138
; %bb.131:                              ;   in Loop: Header=BB286_13 Depth=1
	v_cmp_ne_u16_sdwa s6, v7, v81 src0_sel:BYTE_0 src1_sel:DWORD
	v_mov_b32_e32 v42, 0x8000
	s_and_saveexec_b32 s25, s6
	s_cbranch_execz .LBB286_137
; %bb.132:                              ;   in Loop: Header=BB286_13 Depth=1
	v_bfe_u32 v2, v9, 16, 7
	v_mov_b32_e32 v42, 0x7c01
	s_mov_b32 s26, exec_lo
	v_cmpx_ne_u32_e32 0x7f, v2
	s_cbranch_execz .LBB286_136
; %bb.133:                              ;   in Loop: Header=BB286_13 Depth=1
	v_and_b32_e32 v0, 7, v7
	v_lshrrev_b32_e32 v1, 3, v2
	s_mov_b32 s27, exec_lo
	v_cmpx_gt_u32_e32 8, v2
; %bb.134:                              ;   in Loop: Header=BB286_13 Depth=1
	v_ffbh_u32_e32 v0, v0
	v_min_u32_e32 v2, 32, v0
	v_subrev_nc_u32_e32 v0, 28, v2
	v_lshlrev_b64 v[0:1], v0, v[7:8]
	v_sub_nc_u32_e32 v1, 29, v2
	v_and_b32_e32 v0, 7, v0
; %bb.135:                              ;   in Loop: Header=BB286_13 Depth=1
	s_or_b32 exec_lo, exec_lo, s27
	v_lshlrev_b32_e32 v2, 8, v7
	v_lshl_add_u32 v1, v1, 10, 0x2000
	v_lshlrev_b32_e32 v0, 7, v0
	v_and_b32_e32 v2, 0x8000, v2
	v_and_b32_e32 v1, 0xfc00, v1
	v_or3_b32 v42, v2, v1, v0
.LBB286_136:                            ;   in Loop: Header=BB286_13 Depth=1
	s_or_b32 exec_lo, exec_lo, s26
.LBB286_137:                            ;   in Loop: Header=BB286_13 Depth=1
	s_or_b32 exec_lo, exec_lo, s25
.LBB286_138:                            ;   in Loop: Header=BB286_13 Depth=1
	s_or_b32 exec_lo, exec_lo, s24
	s_mov_b32 s24, exec_lo
	v_cmpx_lt_u32_e32 0xffffff, v9
	s_cbranch_execz .LBB286_146
; %bb.139:                              ;   in Loop: Header=BB286_13 Depth=1
	v_lshrrev_b32_e32 v7, 24, v9
	v_bfrev_b32_e32 v41, 1
	s_mov_b32 s25, exec_lo
	v_cmpx_ne_u32_e32 0x80, v7
	s_cbranch_execz .LBB286_145
; %bb.140:                              ;   in Loop: Header=BB286_13 Depth=1
	v_and_b32_e32 v2, 0x7f, v7
	v_mov_b32_e32 v41, 0x7c010000
	s_mov_b32 s26, exec_lo
	v_cmpx_ne_u32_e32 0x7f, v2
	s_cbranch_execz .LBB286_144
; %bb.141:                              ;   in Loop: Header=BB286_13 Depth=1
	v_and_b32_e32 v0, 7, v7
	v_lshrrev_b32_e32 v1, 3, v2
	s_mov_b32 s27, exec_lo
	v_cmpx_gt_u32_e32 8, v2
; %bb.142:                              ;   in Loop: Header=BB286_13 Depth=1
	v_ffbh_u32_e32 v0, v0
	v_min_u32_e32 v2, 32, v0
	v_subrev_nc_u32_e32 v0, 28, v2
	v_lshlrev_b64 v[0:1], v0, v[7:8]
	v_sub_nc_u32_e32 v1, 29, v2
	v_and_b32_e32 v0, 7, v0
; %bb.143:                              ;   in Loop: Header=BB286_13 Depth=1
	s_or_b32 exec_lo, exec_lo, s27
	v_lshlrev_b32_e32 v2, 8, v7
	v_lshl_add_u32 v1, v1, 10, 0x2000
	v_lshlrev_b32_e32 v0, 23, v0
	v_and_or_b32 v1, 0x8000, v2, v1
	v_lshl_or_b32 v41, v1, 16, v0
.LBB286_144:                            ;   in Loop: Header=BB286_13 Depth=1
	s_or_b32 exec_lo, exec_lo, s26
.LBB286_145:                            ;   in Loop: Header=BB286_13 Depth=1
	s_or_b32 exec_lo, exec_lo, s25
.LBB286_146:                            ;   in Loop: Header=BB286_13 Depth=1
	s_or_b32 exec_lo, exec_lo, s24
	flat_load_dword v9, v[33:34] offset:512
	v_mov_b32_e32 v43, 0
	v_mov_b32_e32 v44, 0
	s_waitcnt vmcnt(0) lgkmcnt(0)
	v_cmp_ne_u16_sdwa s6, v9, v8 src0_sel:BYTE_0 src1_sel:DWORD
	s_and_saveexec_b32 s24, s6
	s_cbranch_execz .LBB286_154
; %bb.147:                              ;   in Loop: Header=BB286_13 Depth=1
	v_cmp_ne_u16_sdwa s6, v9, v81 src0_sel:BYTE_0 src1_sel:DWORD
	v_mov_b32_e32 v44, 0x8000
	s_and_saveexec_b32 s25, s6
	s_cbranch_execz .LBB286_153
; %bb.148:                              ;   in Loop: Header=BB286_13 Depth=1
	v_and_b32_e32 v2, 0x7f, v9
	v_mov_b32_e32 v44, 0x7c01
	s_mov_b32 s26, exec_lo
	v_cmpx_ne_u32_e32 0x7f, v2
	s_cbranch_execz .LBB286_152
; %bb.149:                              ;   in Loop: Header=BB286_13 Depth=1
	v_and_b32_e32 v0, 7, v9
	v_lshrrev_b32_e32 v1, 3, v2
	s_mov_b32 s27, exec_lo
	v_cmpx_gt_u32_e32 8, v2
; %bb.150:                              ;   in Loop: Header=BB286_13 Depth=1
	v_ffbh_u32_e32 v0, v0
	v_min_u32_e32 v2, 32, v0
	v_subrev_nc_u32_e32 v0, 28, v2
	v_lshlrev_b64 v[0:1], v0, v[9:10]
	v_sub_nc_u32_e32 v1, 29, v2
	v_and_b32_e32 v0, 7, v0
; %bb.151:                              ;   in Loop: Header=BB286_13 Depth=1
	s_or_b32 exec_lo, exec_lo, s27
	v_lshlrev_b32_e32 v2, 8, v9
	v_lshl_add_u32 v1, v1, 10, 0x2000
	v_lshlrev_b32_e32 v0, 7, v0
	v_and_b32_e32 v2, 0x8000, v2
	v_and_b32_e32 v1, 0xfc00, v1
	v_or3_b32 v44, v2, v1, v0
.LBB286_152:                            ;   in Loop: Header=BB286_13 Depth=1
	s_or_b32 exec_lo, exec_lo, s26
.LBB286_153:                            ;   in Loop: Header=BB286_13 Depth=1
	s_or_b32 exec_lo, exec_lo, s25
.LBB286_154:                            ;   in Loop: Header=BB286_13 Depth=1
	s_or_b32 exec_lo, exec_lo, s24
	v_lshrrev_b16 v7, 8, v9
	s_mov_b32 s24, exec_lo
	v_cmpx_ne_u16_e32 0, v7
	s_cbranch_execz .LBB286_162
; %bb.155:                              ;   in Loop: Header=BB286_13 Depth=1
	v_bfrev_b32_e32 v43, 1
	s_mov_b32 s25, exec_lo
	v_cmpx_ne_u16_e32 0x80, v7
	s_cbranch_execz .LBB286_161
; %bb.156:                              ;   in Loop: Header=BB286_13 Depth=1
	v_and_b32_sdwa v2, v7, v82 dst_sel:DWORD dst_unused:UNUSED_PAD src0_sel:WORD_0 src1_sel:DWORD
	v_mov_b32_e32 v43, 0x7c010000
	s_mov_b32 s26, exec_lo
	v_cmpx_ne_u32_e32 0x7f, v2
	s_cbranch_execz .LBB286_160
; %bb.157:                              ;   in Loop: Header=BB286_13 Depth=1
	v_mov_b32_e32 v0, 7
	v_lshrrev_b32_e32 v1, 3, v2
	s_mov_b32 s27, exec_lo
	v_and_b32_sdwa v0, v7, v0 dst_sel:DWORD dst_unused:UNUSED_PAD src0_sel:WORD_0 src1_sel:DWORD
	v_cmpx_gt_u32_e32 8, v2
; %bb.158:                              ;   in Loop: Header=BB286_13 Depth=1
	v_ffbh_u32_e32 v0, v0
	v_min_u32_e32 v2, 32, v0
	v_subrev_nc_u32_e32 v0, 28, v2
	v_lshlrev_b64 v[0:1], v0, v[7:8]
	v_sub_nc_u32_e32 v1, 29, v2
	v_and_b32_e32 v0, 7, v0
; %bb.159:                              ;   in Loop: Header=BB286_13 Depth=1
	s_or_b32 exec_lo, exec_lo, s27
	v_mov_b32_e32 v2, 8
	v_lshl_add_u32 v1, v1, 10, 0x2000
	v_lshlrev_b32_e32 v0, 23, v0
	v_lshlrev_b32_sdwa v2, v2, v7 dst_sel:DWORD dst_unused:UNUSED_PAD src0_sel:DWORD src1_sel:WORD_0
	v_and_or_b32 v1, 0x8000, v2, v1
	v_lshl_or_b32 v43, v1, 16, v0
.LBB286_160:                            ;   in Loop: Header=BB286_13 Depth=1
	s_or_b32 exec_lo, exec_lo, s26
.LBB286_161:                            ;   in Loop: Header=BB286_13 Depth=1
	s_or_b32 exec_lo, exec_lo, s25
.LBB286_162:                            ;   in Loop: Header=BB286_13 Depth=1
	s_or_b32 exec_lo, exec_lo, s24
	v_lshrrev_b32_e32 v7, 16, v9
	v_mov_b32_e32 v45, 0
	v_mov_b32_e32 v46, 0
	v_cmp_ne_u16_sdwa s6, v7, v8 src0_sel:BYTE_0 src1_sel:DWORD
	s_and_saveexec_b32 s24, s6
	s_cbranch_execz .LBB286_170
; %bb.163:                              ;   in Loop: Header=BB286_13 Depth=1
	v_cmp_ne_u16_sdwa s6, v7, v81 src0_sel:BYTE_0 src1_sel:DWORD
	v_mov_b32_e32 v46, 0x8000
	s_and_saveexec_b32 s25, s6
	s_cbranch_execz .LBB286_169
; %bb.164:                              ;   in Loop: Header=BB286_13 Depth=1
	v_bfe_u32 v2, v9, 16, 7
	v_mov_b32_e32 v46, 0x7c01
	s_mov_b32 s26, exec_lo
	v_cmpx_ne_u32_e32 0x7f, v2
	s_cbranch_execz .LBB286_168
; %bb.165:                              ;   in Loop: Header=BB286_13 Depth=1
	v_and_b32_e32 v0, 7, v7
	v_lshrrev_b32_e32 v1, 3, v2
	s_mov_b32 s27, exec_lo
	v_cmpx_gt_u32_e32 8, v2
; %bb.166:                              ;   in Loop: Header=BB286_13 Depth=1
	v_ffbh_u32_e32 v0, v0
	v_min_u32_e32 v2, 32, v0
	v_subrev_nc_u32_e32 v0, 28, v2
	v_lshlrev_b64 v[0:1], v0, v[7:8]
	v_sub_nc_u32_e32 v1, 29, v2
	v_and_b32_e32 v0, 7, v0
; %bb.167:                              ;   in Loop: Header=BB286_13 Depth=1
	s_or_b32 exec_lo, exec_lo, s27
	v_lshlrev_b32_e32 v2, 8, v7
	v_lshl_add_u32 v1, v1, 10, 0x2000
	v_lshlrev_b32_e32 v0, 7, v0
	v_and_b32_e32 v2, 0x8000, v2
	v_and_b32_e32 v1, 0xfc00, v1
	v_or3_b32 v46, v2, v1, v0
.LBB286_168:                            ;   in Loop: Header=BB286_13 Depth=1
	s_or_b32 exec_lo, exec_lo, s26
.LBB286_169:                            ;   in Loop: Header=BB286_13 Depth=1
	s_or_b32 exec_lo, exec_lo, s25
.LBB286_170:                            ;   in Loop: Header=BB286_13 Depth=1
	s_or_b32 exec_lo, exec_lo, s24
	s_mov_b32 s24, exec_lo
	v_cmpx_lt_u32_e32 0xffffff, v9
	s_cbranch_execz .LBB286_178
; %bb.171:                              ;   in Loop: Header=BB286_13 Depth=1
	v_lshrrev_b32_e32 v7, 24, v9
	v_bfrev_b32_e32 v45, 1
	s_mov_b32 s25, exec_lo
	v_cmpx_ne_u32_e32 0x80, v7
	s_cbranch_execz .LBB286_177
; %bb.172:                              ;   in Loop: Header=BB286_13 Depth=1
	v_and_b32_e32 v2, 0x7f, v7
	v_mov_b32_e32 v45, 0x7c010000
	s_mov_b32 s26, exec_lo
	v_cmpx_ne_u32_e32 0x7f, v2
	s_cbranch_execz .LBB286_176
; %bb.173:                              ;   in Loop: Header=BB286_13 Depth=1
	v_and_b32_e32 v0, 7, v7
	v_lshrrev_b32_e32 v1, 3, v2
	s_mov_b32 s27, exec_lo
	v_cmpx_gt_u32_e32 8, v2
; %bb.174:                              ;   in Loop: Header=BB286_13 Depth=1
	v_ffbh_u32_e32 v0, v0
	v_min_u32_e32 v2, 32, v0
	v_subrev_nc_u32_e32 v0, 28, v2
	v_lshlrev_b64 v[0:1], v0, v[7:8]
	v_sub_nc_u32_e32 v1, 29, v2
	v_and_b32_e32 v0, 7, v0
; %bb.175:                              ;   in Loop: Header=BB286_13 Depth=1
	s_or_b32 exec_lo, exec_lo, s27
	v_lshlrev_b32_e32 v2, 8, v7
	v_lshl_add_u32 v1, v1, 10, 0x2000
	v_lshlrev_b32_e32 v0, 23, v0
	v_and_or_b32 v1, 0x8000, v2, v1
	v_lshl_or_b32 v45, v1, 16, v0
.LBB286_176:                            ;   in Loop: Header=BB286_13 Depth=1
	s_or_b32 exec_lo, exec_lo, s26
.LBB286_177:                            ;   in Loop: Header=BB286_13 Depth=1
	s_or_b32 exec_lo, exec_lo, s25
.LBB286_178:                            ;   in Loop: Header=BB286_13 Depth=1
	s_or_b32 exec_lo, exec_lo, s24
	flat_load_dword v9, v[33:34] offset:520
	v_mov_b32_e32 v47, 0
	v_mov_b32_e32 v56, 0
	s_waitcnt vmcnt(0) lgkmcnt(0)
	v_cmp_ne_u16_sdwa s6, v9, v8 src0_sel:BYTE_0 src1_sel:DWORD
	s_and_saveexec_b32 s24, s6
	s_cbranch_execz .LBB286_186
; %bb.179:                              ;   in Loop: Header=BB286_13 Depth=1
	v_cmp_ne_u16_sdwa s6, v9, v81 src0_sel:BYTE_0 src1_sel:DWORD
	v_mov_b32_e32 v56, 0x8000
	s_and_saveexec_b32 s25, s6
	s_cbranch_execz .LBB286_185
; %bb.180:                              ;   in Loop: Header=BB286_13 Depth=1
	v_and_b32_e32 v2, 0x7f, v9
	v_mov_b32_e32 v56, 0x7c01
	s_mov_b32 s26, exec_lo
	v_cmpx_ne_u32_e32 0x7f, v2
	s_cbranch_execz .LBB286_184
; %bb.181:                              ;   in Loop: Header=BB286_13 Depth=1
	v_and_b32_e32 v0, 7, v9
	v_lshrrev_b32_e32 v1, 3, v2
	s_mov_b32 s27, exec_lo
	v_cmpx_gt_u32_e32 8, v2
; %bb.182:                              ;   in Loop: Header=BB286_13 Depth=1
	v_ffbh_u32_e32 v0, v0
	v_min_u32_e32 v2, 32, v0
	v_subrev_nc_u32_e32 v0, 28, v2
	v_lshlrev_b64 v[0:1], v0, v[9:10]
	v_sub_nc_u32_e32 v1, 29, v2
	v_and_b32_e32 v0, 7, v0
; %bb.183:                              ;   in Loop: Header=BB286_13 Depth=1
	s_or_b32 exec_lo, exec_lo, s27
	v_lshlrev_b32_e32 v2, 8, v9
	v_lshl_add_u32 v1, v1, 10, 0x2000
	v_lshlrev_b32_e32 v0, 7, v0
	v_and_b32_e32 v2, 0x8000, v2
	v_and_b32_e32 v1, 0xfc00, v1
	v_or3_b32 v56, v2, v1, v0
.LBB286_184:                            ;   in Loop: Header=BB286_13 Depth=1
	s_or_b32 exec_lo, exec_lo, s26
.LBB286_185:                            ;   in Loop: Header=BB286_13 Depth=1
	s_or_b32 exec_lo, exec_lo, s25
.LBB286_186:                            ;   in Loop: Header=BB286_13 Depth=1
	s_or_b32 exec_lo, exec_lo, s24
	v_lshrrev_b16 v7, 8, v9
	s_mov_b32 s24, exec_lo
	v_cmpx_ne_u16_e32 0, v7
	s_cbranch_execz .LBB286_194
; %bb.187:                              ;   in Loop: Header=BB286_13 Depth=1
	v_bfrev_b32_e32 v47, 1
	s_mov_b32 s25, exec_lo
	v_cmpx_ne_u16_e32 0x80, v7
	s_cbranch_execz .LBB286_193
; %bb.188:                              ;   in Loop: Header=BB286_13 Depth=1
	v_and_b32_sdwa v2, v7, v82 dst_sel:DWORD dst_unused:UNUSED_PAD src0_sel:WORD_0 src1_sel:DWORD
	v_mov_b32_e32 v47, 0x7c010000
	s_mov_b32 s26, exec_lo
	v_cmpx_ne_u32_e32 0x7f, v2
	s_cbranch_execz .LBB286_192
; %bb.189:                              ;   in Loop: Header=BB286_13 Depth=1
	v_mov_b32_e32 v0, 7
	v_lshrrev_b32_e32 v1, 3, v2
	s_mov_b32 s27, exec_lo
	v_and_b32_sdwa v0, v7, v0 dst_sel:DWORD dst_unused:UNUSED_PAD src0_sel:WORD_0 src1_sel:DWORD
	v_cmpx_gt_u32_e32 8, v2
; %bb.190:                              ;   in Loop: Header=BB286_13 Depth=1
	v_ffbh_u32_e32 v0, v0
	v_min_u32_e32 v2, 32, v0
	v_subrev_nc_u32_e32 v0, 28, v2
	v_lshlrev_b64 v[0:1], v0, v[7:8]
	v_sub_nc_u32_e32 v1, 29, v2
	v_and_b32_e32 v0, 7, v0
; %bb.191:                              ;   in Loop: Header=BB286_13 Depth=1
	s_or_b32 exec_lo, exec_lo, s27
	v_mov_b32_e32 v2, 8
	v_lshl_add_u32 v1, v1, 10, 0x2000
	v_lshlrev_b32_e32 v0, 23, v0
	v_lshlrev_b32_sdwa v2, v2, v7 dst_sel:DWORD dst_unused:UNUSED_PAD src0_sel:DWORD src1_sel:WORD_0
	v_and_or_b32 v1, 0x8000, v2, v1
	v_lshl_or_b32 v47, v1, 16, v0
.LBB286_192:                            ;   in Loop: Header=BB286_13 Depth=1
	s_or_b32 exec_lo, exec_lo, s26
.LBB286_193:                            ;   in Loop: Header=BB286_13 Depth=1
	s_or_b32 exec_lo, exec_lo, s25
.LBB286_194:                            ;   in Loop: Header=BB286_13 Depth=1
	s_or_b32 exec_lo, exec_lo, s24
	v_lshrrev_b32_e32 v7, 16, v9
	v_mov_b32_e32 v57, 0
	v_mov_b32_e32 v58, 0
	v_cmp_ne_u16_sdwa s6, v7, v8 src0_sel:BYTE_0 src1_sel:DWORD
	s_and_saveexec_b32 s24, s6
	s_cbranch_execz .LBB286_202
; %bb.195:                              ;   in Loop: Header=BB286_13 Depth=1
	v_cmp_ne_u16_sdwa s6, v7, v81 src0_sel:BYTE_0 src1_sel:DWORD
	v_mov_b32_e32 v58, 0x8000
	s_and_saveexec_b32 s25, s6
	s_cbranch_execz .LBB286_201
; %bb.196:                              ;   in Loop: Header=BB286_13 Depth=1
	v_bfe_u32 v2, v9, 16, 7
	v_mov_b32_e32 v58, 0x7c01
	s_mov_b32 s26, exec_lo
	v_cmpx_ne_u32_e32 0x7f, v2
	s_cbranch_execz .LBB286_200
; %bb.197:                              ;   in Loop: Header=BB286_13 Depth=1
	v_and_b32_e32 v0, 7, v7
	v_lshrrev_b32_e32 v1, 3, v2
	s_mov_b32 s27, exec_lo
	v_cmpx_gt_u32_e32 8, v2
; %bb.198:                              ;   in Loop: Header=BB286_13 Depth=1
	v_ffbh_u32_e32 v0, v0
	v_min_u32_e32 v2, 32, v0
	v_subrev_nc_u32_e32 v0, 28, v2
	v_lshlrev_b64 v[0:1], v0, v[7:8]
	v_sub_nc_u32_e32 v1, 29, v2
	v_and_b32_e32 v0, 7, v0
; %bb.199:                              ;   in Loop: Header=BB286_13 Depth=1
	s_or_b32 exec_lo, exec_lo, s27
	v_lshlrev_b32_e32 v2, 8, v7
	v_lshl_add_u32 v1, v1, 10, 0x2000
	v_lshlrev_b32_e32 v0, 7, v0
	v_and_b32_e32 v2, 0x8000, v2
	v_and_b32_e32 v1, 0xfc00, v1
	v_or3_b32 v58, v2, v1, v0
.LBB286_200:                            ;   in Loop: Header=BB286_13 Depth=1
	s_or_b32 exec_lo, exec_lo, s26
.LBB286_201:                            ;   in Loop: Header=BB286_13 Depth=1
	s_or_b32 exec_lo, exec_lo, s25
.LBB286_202:                            ;   in Loop: Header=BB286_13 Depth=1
	s_or_b32 exec_lo, exec_lo, s24
	s_mov_b32 s24, exec_lo
	v_cmpx_lt_u32_e32 0xffffff, v9
	s_cbranch_execz .LBB286_210
; %bb.203:                              ;   in Loop: Header=BB286_13 Depth=1
	v_lshrrev_b32_e32 v7, 24, v9
	v_bfrev_b32_e32 v57, 1
	s_mov_b32 s25, exec_lo
	v_cmpx_ne_u32_e32 0x80, v7
	s_cbranch_execz .LBB286_209
; %bb.204:                              ;   in Loop: Header=BB286_13 Depth=1
	v_and_b32_e32 v2, 0x7f, v7
	v_mov_b32_e32 v57, 0x7c010000
	s_mov_b32 s26, exec_lo
	v_cmpx_ne_u32_e32 0x7f, v2
	s_cbranch_execz .LBB286_208
; %bb.205:                              ;   in Loop: Header=BB286_13 Depth=1
	v_and_b32_e32 v0, 7, v7
	v_lshrrev_b32_e32 v1, 3, v2
	s_mov_b32 s27, exec_lo
	v_cmpx_gt_u32_e32 8, v2
; %bb.206:                              ;   in Loop: Header=BB286_13 Depth=1
	v_ffbh_u32_e32 v0, v0
	v_min_u32_e32 v2, 32, v0
	v_subrev_nc_u32_e32 v0, 28, v2
	v_lshlrev_b64 v[0:1], v0, v[7:8]
	v_sub_nc_u32_e32 v1, 29, v2
	v_and_b32_e32 v0, 7, v0
; %bb.207:                              ;   in Loop: Header=BB286_13 Depth=1
	s_or_b32 exec_lo, exec_lo, s27
	v_lshlrev_b32_e32 v2, 8, v7
	v_lshl_add_u32 v1, v1, 10, 0x2000
	v_lshlrev_b32_e32 v0, 23, v0
	v_and_or_b32 v1, 0x8000, v2, v1
	v_lshl_or_b32 v57, v1, 16, v0
.LBB286_208:                            ;   in Loop: Header=BB286_13 Depth=1
	s_or_b32 exec_lo, exec_lo, s26
.LBB286_209:                            ;   in Loop: Header=BB286_13 Depth=1
	s_or_b32 exec_lo, exec_lo, s25
.LBB286_210:                            ;   in Loop: Header=BB286_13 Depth=1
	s_or_b32 exec_lo, exec_lo, s24
	flat_load_dword v9, v[33:34] offset:768
	v_mov_b32_e32 v59, 0
	v_mov_b32_e32 v60, 0
	s_waitcnt vmcnt(0) lgkmcnt(0)
	v_cmp_ne_u16_sdwa s6, v9, v8 src0_sel:BYTE_0 src1_sel:DWORD
	s_and_saveexec_b32 s24, s6
	s_cbranch_execz .LBB286_218
; %bb.211:                              ;   in Loop: Header=BB286_13 Depth=1
	v_cmp_ne_u16_sdwa s6, v9, v81 src0_sel:BYTE_0 src1_sel:DWORD
	v_mov_b32_e32 v60, 0x8000
	s_and_saveexec_b32 s25, s6
	s_cbranch_execz .LBB286_217
; %bb.212:                              ;   in Loop: Header=BB286_13 Depth=1
	v_and_b32_e32 v2, 0x7f, v9
	v_mov_b32_e32 v60, 0x7c01
	s_mov_b32 s26, exec_lo
	v_cmpx_ne_u32_e32 0x7f, v2
	s_cbranch_execz .LBB286_216
; %bb.213:                              ;   in Loop: Header=BB286_13 Depth=1
	v_and_b32_e32 v0, 7, v9
	v_lshrrev_b32_e32 v1, 3, v2
	s_mov_b32 s27, exec_lo
	v_cmpx_gt_u32_e32 8, v2
; %bb.214:                              ;   in Loop: Header=BB286_13 Depth=1
	v_ffbh_u32_e32 v0, v0
	v_min_u32_e32 v2, 32, v0
	v_subrev_nc_u32_e32 v0, 28, v2
	v_lshlrev_b64 v[0:1], v0, v[9:10]
	v_sub_nc_u32_e32 v1, 29, v2
	v_and_b32_e32 v0, 7, v0
; %bb.215:                              ;   in Loop: Header=BB286_13 Depth=1
	s_or_b32 exec_lo, exec_lo, s27
	v_lshlrev_b32_e32 v2, 8, v9
	v_lshl_add_u32 v1, v1, 10, 0x2000
	v_lshlrev_b32_e32 v0, 7, v0
	v_and_b32_e32 v2, 0x8000, v2
	v_and_b32_e32 v1, 0xfc00, v1
	v_or3_b32 v60, v2, v1, v0
.LBB286_216:                            ;   in Loop: Header=BB286_13 Depth=1
	s_or_b32 exec_lo, exec_lo, s26
.LBB286_217:                            ;   in Loop: Header=BB286_13 Depth=1
	s_or_b32 exec_lo, exec_lo, s25
.LBB286_218:                            ;   in Loop: Header=BB286_13 Depth=1
	s_or_b32 exec_lo, exec_lo, s24
	v_lshrrev_b16 v7, 8, v9
	s_mov_b32 s24, exec_lo
	v_cmpx_ne_u16_e32 0, v7
	s_cbranch_execz .LBB286_226
; %bb.219:                              ;   in Loop: Header=BB286_13 Depth=1
	v_bfrev_b32_e32 v59, 1
	s_mov_b32 s25, exec_lo
	v_cmpx_ne_u16_e32 0x80, v7
	s_cbranch_execz .LBB286_225
; %bb.220:                              ;   in Loop: Header=BB286_13 Depth=1
	v_and_b32_sdwa v2, v7, v82 dst_sel:DWORD dst_unused:UNUSED_PAD src0_sel:WORD_0 src1_sel:DWORD
	v_mov_b32_e32 v59, 0x7c010000
	s_mov_b32 s26, exec_lo
	v_cmpx_ne_u32_e32 0x7f, v2
	s_cbranch_execz .LBB286_224
; %bb.221:                              ;   in Loop: Header=BB286_13 Depth=1
	v_mov_b32_e32 v0, 7
	v_lshrrev_b32_e32 v1, 3, v2
	s_mov_b32 s27, exec_lo
	v_and_b32_sdwa v0, v7, v0 dst_sel:DWORD dst_unused:UNUSED_PAD src0_sel:WORD_0 src1_sel:DWORD
	v_cmpx_gt_u32_e32 8, v2
; %bb.222:                              ;   in Loop: Header=BB286_13 Depth=1
	v_ffbh_u32_e32 v0, v0
	v_min_u32_e32 v2, 32, v0
	v_subrev_nc_u32_e32 v0, 28, v2
	v_lshlrev_b64 v[0:1], v0, v[7:8]
	v_sub_nc_u32_e32 v1, 29, v2
	v_and_b32_e32 v0, 7, v0
; %bb.223:                              ;   in Loop: Header=BB286_13 Depth=1
	s_or_b32 exec_lo, exec_lo, s27
	v_mov_b32_e32 v2, 8
	v_lshl_add_u32 v1, v1, 10, 0x2000
	v_lshlrev_b32_e32 v0, 23, v0
	v_lshlrev_b32_sdwa v2, v2, v7 dst_sel:DWORD dst_unused:UNUSED_PAD src0_sel:DWORD src1_sel:WORD_0
	v_and_or_b32 v1, 0x8000, v2, v1
	v_lshl_or_b32 v59, v1, 16, v0
.LBB286_224:                            ;   in Loop: Header=BB286_13 Depth=1
	s_or_b32 exec_lo, exec_lo, s26
.LBB286_225:                            ;   in Loop: Header=BB286_13 Depth=1
	s_or_b32 exec_lo, exec_lo, s25
.LBB286_226:                            ;   in Loop: Header=BB286_13 Depth=1
	s_or_b32 exec_lo, exec_lo, s24
	v_lshrrev_b32_e32 v7, 16, v9
	v_mov_b32_e32 v61, 0
	v_mov_b32_e32 v62, 0
	v_cmp_ne_u16_sdwa s6, v7, v8 src0_sel:BYTE_0 src1_sel:DWORD
	s_and_saveexec_b32 s24, s6
	s_cbranch_execz .LBB286_234
; %bb.227:                              ;   in Loop: Header=BB286_13 Depth=1
	v_cmp_ne_u16_sdwa s6, v7, v81 src0_sel:BYTE_0 src1_sel:DWORD
	v_mov_b32_e32 v62, 0x8000
	s_and_saveexec_b32 s25, s6
	s_cbranch_execz .LBB286_233
; %bb.228:                              ;   in Loop: Header=BB286_13 Depth=1
	v_bfe_u32 v2, v9, 16, 7
	v_mov_b32_e32 v62, 0x7c01
	s_mov_b32 s26, exec_lo
	v_cmpx_ne_u32_e32 0x7f, v2
	s_cbranch_execz .LBB286_232
; %bb.229:                              ;   in Loop: Header=BB286_13 Depth=1
	v_and_b32_e32 v0, 7, v7
	v_lshrrev_b32_e32 v1, 3, v2
	s_mov_b32 s27, exec_lo
	v_cmpx_gt_u32_e32 8, v2
; %bb.230:                              ;   in Loop: Header=BB286_13 Depth=1
	v_ffbh_u32_e32 v0, v0
	v_min_u32_e32 v2, 32, v0
	v_subrev_nc_u32_e32 v0, 28, v2
	v_lshlrev_b64 v[0:1], v0, v[7:8]
	v_sub_nc_u32_e32 v1, 29, v2
	v_and_b32_e32 v0, 7, v0
; %bb.231:                              ;   in Loop: Header=BB286_13 Depth=1
	s_or_b32 exec_lo, exec_lo, s27
	v_lshlrev_b32_e32 v2, 8, v7
	v_lshl_add_u32 v1, v1, 10, 0x2000
	v_lshlrev_b32_e32 v0, 7, v0
	v_and_b32_e32 v2, 0x8000, v2
	v_and_b32_e32 v1, 0xfc00, v1
	v_or3_b32 v62, v2, v1, v0
.LBB286_232:                            ;   in Loop: Header=BB286_13 Depth=1
	s_or_b32 exec_lo, exec_lo, s26
.LBB286_233:                            ;   in Loop: Header=BB286_13 Depth=1
	s_or_b32 exec_lo, exec_lo, s25
.LBB286_234:                            ;   in Loop: Header=BB286_13 Depth=1
	s_or_b32 exec_lo, exec_lo, s24
	s_mov_b32 s24, exec_lo
	v_cmpx_lt_u32_e32 0xffffff, v9
	s_cbranch_execz .LBB286_242
; %bb.235:                              ;   in Loop: Header=BB286_13 Depth=1
	v_lshrrev_b32_e32 v7, 24, v9
	v_bfrev_b32_e32 v61, 1
	s_mov_b32 s25, exec_lo
	v_cmpx_ne_u32_e32 0x80, v7
	s_cbranch_execz .LBB286_241
; %bb.236:                              ;   in Loop: Header=BB286_13 Depth=1
	v_and_b32_e32 v2, 0x7f, v7
	v_mov_b32_e32 v61, 0x7c010000
	s_mov_b32 s26, exec_lo
	v_cmpx_ne_u32_e32 0x7f, v2
	s_cbranch_execz .LBB286_240
; %bb.237:                              ;   in Loop: Header=BB286_13 Depth=1
	v_and_b32_e32 v0, 7, v7
	v_lshrrev_b32_e32 v1, 3, v2
	s_mov_b32 s27, exec_lo
	v_cmpx_gt_u32_e32 8, v2
; %bb.238:                              ;   in Loop: Header=BB286_13 Depth=1
	v_ffbh_u32_e32 v0, v0
	v_min_u32_e32 v2, 32, v0
	v_subrev_nc_u32_e32 v0, 28, v2
	v_lshlrev_b64 v[0:1], v0, v[7:8]
	v_sub_nc_u32_e32 v1, 29, v2
	v_and_b32_e32 v0, 7, v0
; %bb.239:                              ;   in Loop: Header=BB286_13 Depth=1
	s_or_b32 exec_lo, exec_lo, s27
	v_lshlrev_b32_e32 v2, 8, v7
	v_lshl_add_u32 v1, v1, 10, 0x2000
	v_lshlrev_b32_e32 v0, 23, v0
	v_and_or_b32 v1, 0x8000, v2, v1
	v_lshl_or_b32 v61, v1, 16, v0
.LBB286_240:                            ;   in Loop: Header=BB286_13 Depth=1
	s_or_b32 exec_lo, exec_lo, s26
.LBB286_241:                            ;   in Loop: Header=BB286_13 Depth=1
	s_or_b32 exec_lo, exec_lo, s25
.LBB286_242:                            ;   in Loop: Header=BB286_13 Depth=1
	s_or_b32 exec_lo, exec_lo, s24
	flat_load_dword v9, v[33:34] offset:776
	v_mov_b32_e32 v63, 0
	v_mov_b32_e32 v72, 0
	s_waitcnt vmcnt(0) lgkmcnt(0)
	v_cmp_ne_u16_sdwa s6, v9, v8 src0_sel:BYTE_0 src1_sel:DWORD
	s_and_saveexec_b32 s24, s6
	s_cbranch_execz .LBB286_250
; %bb.243:                              ;   in Loop: Header=BB286_13 Depth=1
	v_cmp_ne_u16_sdwa s6, v9, v81 src0_sel:BYTE_0 src1_sel:DWORD
	v_mov_b32_e32 v72, 0x8000
	s_and_saveexec_b32 s25, s6
	s_cbranch_execz .LBB286_249
; %bb.244:                              ;   in Loop: Header=BB286_13 Depth=1
	v_and_b32_e32 v2, 0x7f, v9
	v_mov_b32_e32 v72, 0x7c01
	s_mov_b32 s26, exec_lo
	v_cmpx_ne_u32_e32 0x7f, v2
	s_cbranch_execz .LBB286_248
; %bb.245:                              ;   in Loop: Header=BB286_13 Depth=1
	v_and_b32_e32 v0, 7, v9
	v_lshrrev_b32_e32 v1, 3, v2
	s_mov_b32 s27, exec_lo
	v_cmpx_gt_u32_e32 8, v2
; %bb.246:                              ;   in Loop: Header=BB286_13 Depth=1
	v_ffbh_u32_e32 v0, v0
	v_min_u32_e32 v2, 32, v0
	v_subrev_nc_u32_e32 v0, 28, v2
	v_lshlrev_b64 v[0:1], v0, v[9:10]
	v_sub_nc_u32_e32 v1, 29, v2
	v_and_b32_e32 v0, 7, v0
; %bb.247:                              ;   in Loop: Header=BB286_13 Depth=1
	s_or_b32 exec_lo, exec_lo, s27
	v_lshlrev_b32_e32 v2, 8, v9
	v_lshl_add_u32 v1, v1, 10, 0x2000
	v_lshlrev_b32_e32 v0, 7, v0
	v_and_b32_e32 v2, 0x8000, v2
	v_and_b32_e32 v1, 0xfc00, v1
	v_or3_b32 v72, v2, v1, v0
.LBB286_248:                            ;   in Loop: Header=BB286_13 Depth=1
	s_or_b32 exec_lo, exec_lo, s26
.LBB286_249:                            ;   in Loop: Header=BB286_13 Depth=1
	s_or_b32 exec_lo, exec_lo, s25
.LBB286_250:                            ;   in Loop: Header=BB286_13 Depth=1
	s_or_b32 exec_lo, exec_lo, s24
	v_lshrrev_b16 v7, 8, v9
	s_mov_b32 s24, exec_lo
	v_cmpx_ne_u16_e32 0, v7
	s_cbranch_execz .LBB286_258
; %bb.251:                              ;   in Loop: Header=BB286_13 Depth=1
	v_bfrev_b32_e32 v63, 1
	s_mov_b32 s25, exec_lo
	v_cmpx_ne_u16_e32 0x80, v7
	s_cbranch_execz .LBB286_257
; %bb.252:                              ;   in Loop: Header=BB286_13 Depth=1
	v_and_b32_sdwa v2, v7, v82 dst_sel:DWORD dst_unused:UNUSED_PAD src0_sel:WORD_0 src1_sel:DWORD
	v_mov_b32_e32 v63, 0x7c010000
	s_mov_b32 s26, exec_lo
	v_cmpx_ne_u32_e32 0x7f, v2
	s_cbranch_execz .LBB286_256
; %bb.253:                              ;   in Loop: Header=BB286_13 Depth=1
	v_mov_b32_e32 v0, 7
	v_lshrrev_b32_e32 v1, 3, v2
	s_mov_b32 s27, exec_lo
	v_and_b32_sdwa v0, v7, v0 dst_sel:DWORD dst_unused:UNUSED_PAD src0_sel:WORD_0 src1_sel:DWORD
	v_cmpx_gt_u32_e32 8, v2
; %bb.254:                              ;   in Loop: Header=BB286_13 Depth=1
	v_ffbh_u32_e32 v0, v0
	v_min_u32_e32 v2, 32, v0
	v_subrev_nc_u32_e32 v0, 28, v2
	v_lshlrev_b64 v[0:1], v0, v[7:8]
	v_sub_nc_u32_e32 v1, 29, v2
	v_and_b32_e32 v0, 7, v0
; %bb.255:                              ;   in Loop: Header=BB286_13 Depth=1
	s_or_b32 exec_lo, exec_lo, s27
	v_mov_b32_e32 v2, 8
	v_lshl_add_u32 v1, v1, 10, 0x2000
	v_lshlrev_b32_e32 v0, 23, v0
	v_lshlrev_b32_sdwa v2, v2, v7 dst_sel:DWORD dst_unused:UNUSED_PAD src0_sel:DWORD src1_sel:WORD_0
	v_and_or_b32 v1, 0x8000, v2, v1
	v_lshl_or_b32 v63, v1, 16, v0
.LBB286_256:                            ;   in Loop: Header=BB286_13 Depth=1
	s_or_b32 exec_lo, exec_lo, s26
.LBB286_257:                            ;   in Loop: Header=BB286_13 Depth=1
	s_or_b32 exec_lo, exec_lo, s25
.LBB286_258:                            ;   in Loop: Header=BB286_13 Depth=1
	s_or_b32 exec_lo, exec_lo, s24
	v_lshrrev_b32_e32 v7, 16, v9
	v_mov_b32_e32 v73, 0
	v_mov_b32_e32 v74, 0
	v_cmp_ne_u16_sdwa s6, v7, v8 src0_sel:BYTE_0 src1_sel:DWORD
	s_and_saveexec_b32 s24, s6
	s_cbranch_execz .LBB286_266
; %bb.259:                              ;   in Loop: Header=BB286_13 Depth=1
	v_cmp_ne_u16_sdwa s6, v7, v81 src0_sel:BYTE_0 src1_sel:DWORD
	v_mov_b32_e32 v74, 0x8000
	s_and_saveexec_b32 s25, s6
	s_cbranch_execz .LBB286_265
; %bb.260:                              ;   in Loop: Header=BB286_13 Depth=1
	v_bfe_u32 v2, v9, 16, 7
	v_mov_b32_e32 v74, 0x7c01
	s_mov_b32 s26, exec_lo
	v_cmpx_ne_u32_e32 0x7f, v2
	s_cbranch_execz .LBB286_264
; %bb.261:                              ;   in Loop: Header=BB286_13 Depth=1
	v_and_b32_e32 v0, 7, v7
	v_lshrrev_b32_e32 v1, 3, v2
	s_mov_b32 s27, exec_lo
	v_cmpx_gt_u32_e32 8, v2
; %bb.262:                              ;   in Loop: Header=BB286_13 Depth=1
	v_ffbh_u32_e32 v0, v0
	v_min_u32_e32 v2, 32, v0
	v_subrev_nc_u32_e32 v0, 28, v2
	v_lshlrev_b64 v[0:1], v0, v[7:8]
	v_sub_nc_u32_e32 v1, 29, v2
	v_and_b32_e32 v0, 7, v0
; %bb.263:                              ;   in Loop: Header=BB286_13 Depth=1
	s_or_b32 exec_lo, exec_lo, s27
	v_lshlrev_b32_e32 v2, 8, v7
	v_lshl_add_u32 v1, v1, 10, 0x2000
	v_lshlrev_b32_e32 v0, 7, v0
	v_and_b32_e32 v2, 0x8000, v2
	v_and_b32_e32 v1, 0xfc00, v1
	v_or3_b32 v74, v2, v1, v0
.LBB286_264:                            ;   in Loop: Header=BB286_13 Depth=1
	s_or_b32 exec_lo, exec_lo, s26
.LBB286_265:                            ;   in Loop: Header=BB286_13 Depth=1
	s_or_b32 exec_lo, exec_lo, s25
.LBB286_266:                            ;   in Loop: Header=BB286_13 Depth=1
	s_or_b32 exec_lo, exec_lo, s24
	s_mov_b32 s24, exec_lo
	v_cmpx_lt_u32_e32 0xffffff, v9
	s_cbranch_execz .LBB286_274
; %bb.267:                              ;   in Loop: Header=BB286_13 Depth=1
	v_lshrrev_b32_e32 v7, 24, v9
	v_bfrev_b32_e32 v73, 1
	s_mov_b32 s25, exec_lo
	v_cmpx_ne_u32_e32 0x80, v7
	s_cbranch_execz .LBB286_273
; %bb.268:                              ;   in Loop: Header=BB286_13 Depth=1
	v_and_b32_e32 v2, 0x7f, v7
	v_mov_b32_e32 v73, 0x7c010000
	s_mov_b32 s26, exec_lo
	v_cmpx_ne_u32_e32 0x7f, v2
	s_cbranch_execz .LBB286_272
; %bb.269:                              ;   in Loop: Header=BB286_13 Depth=1
	v_and_b32_e32 v0, 7, v7
	v_lshrrev_b32_e32 v1, 3, v2
	s_mov_b32 s27, exec_lo
	v_cmpx_gt_u32_e32 8, v2
; %bb.270:                              ;   in Loop: Header=BB286_13 Depth=1
	v_ffbh_u32_e32 v0, v0
	v_min_u32_e32 v2, 32, v0
	v_subrev_nc_u32_e32 v0, 28, v2
	v_lshlrev_b64 v[0:1], v0, v[7:8]
	v_sub_nc_u32_e32 v1, 29, v2
	v_and_b32_e32 v0, 7, v0
; %bb.271:                              ;   in Loop: Header=BB286_13 Depth=1
	s_or_b32 exec_lo, exec_lo, s27
	v_lshlrev_b32_e32 v2, 8, v7
	v_lshl_add_u32 v1, v1, 10, 0x2000
	v_lshlrev_b32_e32 v0, 23, v0
	v_and_or_b32 v1, 0x8000, v2, v1
	v_lshl_or_b32 v73, v1, 16, v0
.LBB286_272:                            ;   in Loop: Header=BB286_13 Depth=1
	s_or_b32 exec_lo, exec_lo, s26
.LBB286_273:                            ;   in Loop: Header=BB286_13 Depth=1
	s_or_b32 exec_lo, exec_lo, s25
.LBB286_274:                            ;   in Loop: Header=BB286_13 Depth=1
	s_or_b32 exec_lo, exec_lo, s24
	flat_load_dword v9, v[33:34] offset:1024
	v_mov_b32_e32 v75, 0
	v_mov_b32_e32 v76, 0
	s_waitcnt vmcnt(0) lgkmcnt(0)
	v_cmp_ne_u16_sdwa s6, v9, v8 src0_sel:BYTE_0 src1_sel:DWORD
	s_and_saveexec_b32 s24, s6
	s_cbranch_execz .LBB286_282
; %bb.275:                              ;   in Loop: Header=BB286_13 Depth=1
	v_cmp_ne_u16_sdwa s6, v9, v81 src0_sel:BYTE_0 src1_sel:DWORD
	v_mov_b32_e32 v76, 0x8000
	s_and_saveexec_b32 s25, s6
	s_cbranch_execz .LBB286_281
; %bb.276:                              ;   in Loop: Header=BB286_13 Depth=1
	v_and_b32_e32 v2, 0x7f, v9
	v_mov_b32_e32 v76, 0x7c01
	s_mov_b32 s26, exec_lo
	v_cmpx_ne_u32_e32 0x7f, v2
	s_cbranch_execz .LBB286_280
; %bb.277:                              ;   in Loop: Header=BB286_13 Depth=1
	v_and_b32_e32 v0, 7, v9
	v_lshrrev_b32_e32 v1, 3, v2
	s_mov_b32 s27, exec_lo
	v_cmpx_gt_u32_e32 8, v2
; %bb.278:                              ;   in Loop: Header=BB286_13 Depth=1
	v_ffbh_u32_e32 v0, v0
	v_min_u32_e32 v2, 32, v0
	v_subrev_nc_u32_e32 v0, 28, v2
	v_lshlrev_b64 v[0:1], v0, v[9:10]
	v_sub_nc_u32_e32 v1, 29, v2
	v_and_b32_e32 v0, 7, v0
; %bb.279:                              ;   in Loop: Header=BB286_13 Depth=1
	s_or_b32 exec_lo, exec_lo, s27
	v_lshlrev_b32_e32 v2, 8, v9
	v_lshl_add_u32 v1, v1, 10, 0x2000
	v_lshlrev_b32_e32 v0, 7, v0
	v_and_b32_e32 v2, 0x8000, v2
	v_and_b32_e32 v1, 0xfc00, v1
	v_or3_b32 v76, v2, v1, v0
.LBB286_280:                            ;   in Loop: Header=BB286_13 Depth=1
	s_or_b32 exec_lo, exec_lo, s26
.LBB286_281:                            ;   in Loop: Header=BB286_13 Depth=1
	s_or_b32 exec_lo, exec_lo, s25
.LBB286_282:                            ;   in Loop: Header=BB286_13 Depth=1
	s_or_b32 exec_lo, exec_lo, s24
	v_lshrrev_b16 v7, 8, v9
	s_mov_b32 s24, exec_lo
	v_cmpx_ne_u16_e32 0, v7
	s_cbranch_execz .LBB286_290
; %bb.283:                              ;   in Loop: Header=BB286_13 Depth=1
	v_bfrev_b32_e32 v75, 1
	s_mov_b32 s25, exec_lo
	v_cmpx_ne_u16_e32 0x80, v7
	s_cbranch_execz .LBB286_289
; %bb.284:                              ;   in Loop: Header=BB286_13 Depth=1
	v_and_b32_sdwa v2, v7, v82 dst_sel:DWORD dst_unused:UNUSED_PAD src0_sel:WORD_0 src1_sel:DWORD
	v_mov_b32_e32 v75, 0x7c010000
	s_mov_b32 s26, exec_lo
	v_cmpx_ne_u32_e32 0x7f, v2
	s_cbranch_execz .LBB286_288
; %bb.285:                              ;   in Loop: Header=BB286_13 Depth=1
	v_mov_b32_e32 v0, 7
	v_lshrrev_b32_e32 v1, 3, v2
	s_mov_b32 s27, exec_lo
	v_and_b32_sdwa v0, v7, v0 dst_sel:DWORD dst_unused:UNUSED_PAD src0_sel:WORD_0 src1_sel:DWORD
	v_cmpx_gt_u32_e32 8, v2
; %bb.286:                              ;   in Loop: Header=BB286_13 Depth=1
	v_ffbh_u32_e32 v0, v0
	v_min_u32_e32 v2, 32, v0
	v_subrev_nc_u32_e32 v0, 28, v2
	v_lshlrev_b64 v[0:1], v0, v[7:8]
	v_sub_nc_u32_e32 v1, 29, v2
	v_and_b32_e32 v0, 7, v0
; %bb.287:                              ;   in Loop: Header=BB286_13 Depth=1
	s_or_b32 exec_lo, exec_lo, s27
	v_mov_b32_e32 v2, 8
	v_lshl_add_u32 v1, v1, 10, 0x2000
	v_lshlrev_b32_e32 v0, 23, v0
	v_lshlrev_b32_sdwa v2, v2, v7 dst_sel:DWORD dst_unused:UNUSED_PAD src0_sel:DWORD src1_sel:WORD_0
	v_and_or_b32 v1, 0x8000, v2, v1
	v_lshl_or_b32 v75, v1, 16, v0
.LBB286_288:                            ;   in Loop: Header=BB286_13 Depth=1
	s_or_b32 exec_lo, exec_lo, s26
.LBB286_289:                            ;   in Loop: Header=BB286_13 Depth=1
	s_or_b32 exec_lo, exec_lo, s25
.LBB286_290:                            ;   in Loop: Header=BB286_13 Depth=1
	s_or_b32 exec_lo, exec_lo, s24
	v_lshrrev_b32_e32 v7, 16, v9
	v_mov_b32_e32 v77, 0
	v_mov_b32_e32 v78, 0
	v_cmp_ne_u16_sdwa s6, v7, v8 src0_sel:BYTE_0 src1_sel:DWORD
	s_and_saveexec_b32 s24, s6
	s_cbranch_execz .LBB286_298
; %bb.291:                              ;   in Loop: Header=BB286_13 Depth=1
	v_cmp_ne_u16_sdwa s6, v7, v81 src0_sel:BYTE_0 src1_sel:DWORD
	v_mov_b32_e32 v78, 0x8000
	s_and_saveexec_b32 s25, s6
	s_cbranch_execz .LBB286_297
; %bb.292:                              ;   in Loop: Header=BB286_13 Depth=1
	v_bfe_u32 v2, v9, 16, 7
	v_mov_b32_e32 v78, 0x7c01
	s_mov_b32 s26, exec_lo
	v_cmpx_ne_u32_e32 0x7f, v2
	s_cbranch_execz .LBB286_296
; %bb.293:                              ;   in Loop: Header=BB286_13 Depth=1
	v_and_b32_e32 v0, 7, v7
	v_lshrrev_b32_e32 v1, 3, v2
	s_mov_b32 s27, exec_lo
	v_cmpx_gt_u32_e32 8, v2
; %bb.294:                              ;   in Loop: Header=BB286_13 Depth=1
	v_ffbh_u32_e32 v0, v0
	v_min_u32_e32 v2, 32, v0
	v_subrev_nc_u32_e32 v0, 28, v2
	v_lshlrev_b64 v[0:1], v0, v[7:8]
	v_sub_nc_u32_e32 v1, 29, v2
	v_and_b32_e32 v0, 7, v0
; %bb.295:                              ;   in Loop: Header=BB286_13 Depth=1
	s_or_b32 exec_lo, exec_lo, s27
	v_lshlrev_b32_e32 v2, 8, v7
	v_lshl_add_u32 v1, v1, 10, 0x2000
	v_lshlrev_b32_e32 v0, 7, v0
	v_and_b32_e32 v2, 0x8000, v2
	v_and_b32_e32 v1, 0xfc00, v1
	v_or3_b32 v78, v2, v1, v0
.LBB286_296:                            ;   in Loop: Header=BB286_13 Depth=1
	s_or_b32 exec_lo, exec_lo, s26
.LBB286_297:                            ;   in Loop: Header=BB286_13 Depth=1
	s_or_b32 exec_lo, exec_lo, s25
.LBB286_298:                            ;   in Loop: Header=BB286_13 Depth=1
	s_or_b32 exec_lo, exec_lo, s24
	s_mov_b32 s24, exec_lo
	v_cmpx_lt_u32_e32 0xffffff, v9
	s_cbranch_execz .LBB286_306
; %bb.299:                              ;   in Loop: Header=BB286_13 Depth=1
	v_lshrrev_b32_e32 v7, 24, v9
	v_bfrev_b32_e32 v77, 1
	s_mov_b32 s25, exec_lo
	v_cmpx_ne_u32_e32 0x80, v7
	s_cbranch_execz .LBB286_305
; %bb.300:                              ;   in Loop: Header=BB286_13 Depth=1
	v_and_b32_e32 v2, 0x7f, v7
	v_mov_b32_e32 v77, 0x7c010000
	s_mov_b32 s26, exec_lo
	v_cmpx_ne_u32_e32 0x7f, v2
	s_cbranch_execz .LBB286_304
; %bb.301:                              ;   in Loop: Header=BB286_13 Depth=1
	v_and_b32_e32 v0, 7, v7
	v_lshrrev_b32_e32 v1, 3, v2
	s_mov_b32 s27, exec_lo
	v_cmpx_gt_u32_e32 8, v2
; %bb.302:                              ;   in Loop: Header=BB286_13 Depth=1
	v_ffbh_u32_e32 v0, v0
	v_min_u32_e32 v2, 32, v0
	v_subrev_nc_u32_e32 v0, 28, v2
	v_lshlrev_b64 v[0:1], v0, v[7:8]
	v_sub_nc_u32_e32 v1, 29, v2
	v_and_b32_e32 v0, 7, v0
; %bb.303:                              ;   in Loop: Header=BB286_13 Depth=1
	s_or_b32 exec_lo, exec_lo, s27
	v_lshlrev_b32_e32 v2, 8, v7
	v_lshl_add_u32 v1, v1, 10, 0x2000
	v_lshlrev_b32_e32 v0, 23, v0
	v_and_or_b32 v1, 0x8000, v2, v1
	v_lshl_or_b32 v77, v1, 16, v0
.LBB286_304:                            ;   in Loop: Header=BB286_13 Depth=1
	s_or_b32 exec_lo, exec_lo, s26
.LBB286_305:                            ;   in Loop: Header=BB286_13 Depth=1
	s_or_b32 exec_lo, exec_lo, s25
.LBB286_306:                            ;   in Loop: Header=BB286_13 Depth=1
	s_or_b32 exec_lo, exec_lo, s24
	flat_load_dword v9, v[33:34] offset:1032
	v_mov_b32_e32 v79, 0
	v_mov_b32_e32 v88, 0
	s_waitcnt vmcnt(0) lgkmcnt(0)
	v_cmp_ne_u16_sdwa s6, v9, v8 src0_sel:BYTE_0 src1_sel:DWORD
	s_and_saveexec_b32 s24, s6
	s_cbranch_execz .LBB286_314
; %bb.307:                              ;   in Loop: Header=BB286_13 Depth=1
	v_cmp_ne_u16_sdwa s6, v9, v81 src0_sel:BYTE_0 src1_sel:DWORD
	v_mov_b32_e32 v88, 0x8000
	s_and_saveexec_b32 s25, s6
	s_cbranch_execz .LBB286_313
; %bb.308:                              ;   in Loop: Header=BB286_13 Depth=1
	v_and_b32_e32 v2, 0x7f, v9
	v_mov_b32_e32 v88, 0x7c01
	s_mov_b32 s26, exec_lo
	v_cmpx_ne_u32_e32 0x7f, v2
	s_cbranch_execz .LBB286_312
; %bb.309:                              ;   in Loop: Header=BB286_13 Depth=1
	v_and_b32_e32 v0, 7, v9
	v_lshrrev_b32_e32 v1, 3, v2
	s_mov_b32 s27, exec_lo
	v_cmpx_gt_u32_e32 8, v2
; %bb.310:                              ;   in Loop: Header=BB286_13 Depth=1
	v_ffbh_u32_e32 v0, v0
	v_min_u32_e32 v2, 32, v0
	v_subrev_nc_u32_e32 v0, 28, v2
	v_lshlrev_b64 v[0:1], v0, v[9:10]
	v_sub_nc_u32_e32 v1, 29, v2
	v_and_b32_e32 v0, 7, v0
; %bb.311:                              ;   in Loop: Header=BB286_13 Depth=1
	s_or_b32 exec_lo, exec_lo, s27
	v_lshlrev_b32_e32 v2, 8, v9
	v_lshl_add_u32 v1, v1, 10, 0x2000
	v_lshlrev_b32_e32 v0, 7, v0
	v_and_b32_e32 v2, 0x8000, v2
	v_and_b32_e32 v1, 0xfc00, v1
	v_or3_b32 v88, v2, v1, v0
.LBB286_312:                            ;   in Loop: Header=BB286_13 Depth=1
	s_or_b32 exec_lo, exec_lo, s26
.LBB286_313:                            ;   in Loop: Header=BB286_13 Depth=1
	s_or_b32 exec_lo, exec_lo, s25
.LBB286_314:                            ;   in Loop: Header=BB286_13 Depth=1
	s_or_b32 exec_lo, exec_lo, s24
	v_lshrrev_b16 v7, 8, v9
	s_mov_b32 s24, exec_lo
	v_cmpx_ne_u16_e32 0, v7
	s_cbranch_execz .LBB286_322
; %bb.315:                              ;   in Loop: Header=BB286_13 Depth=1
	v_bfrev_b32_e32 v79, 1
	s_mov_b32 s25, exec_lo
	v_cmpx_ne_u16_e32 0x80, v7
	s_cbranch_execz .LBB286_321
; %bb.316:                              ;   in Loop: Header=BB286_13 Depth=1
	v_and_b32_sdwa v2, v7, v82 dst_sel:DWORD dst_unused:UNUSED_PAD src0_sel:WORD_0 src1_sel:DWORD
	v_mov_b32_e32 v79, 0x7c010000
	s_mov_b32 s26, exec_lo
	v_cmpx_ne_u32_e32 0x7f, v2
	s_cbranch_execz .LBB286_320
; %bb.317:                              ;   in Loop: Header=BB286_13 Depth=1
	v_mov_b32_e32 v0, 7
	v_lshrrev_b32_e32 v1, 3, v2
	s_mov_b32 s27, exec_lo
	v_and_b32_sdwa v0, v7, v0 dst_sel:DWORD dst_unused:UNUSED_PAD src0_sel:WORD_0 src1_sel:DWORD
	v_cmpx_gt_u32_e32 8, v2
; %bb.318:                              ;   in Loop: Header=BB286_13 Depth=1
	v_ffbh_u32_e32 v0, v0
	v_min_u32_e32 v2, 32, v0
	v_subrev_nc_u32_e32 v0, 28, v2
	v_lshlrev_b64 v[0:1], v0, v[7:8]
	v_sub_nc_u32_e32 v1, 29, v2
	v_and_b32_e32 v0, 7, v0
; %bb.319:                              ;   in Loop: Header=BB286_13 Depth=1
	s_or_b32 exec_lo, exec_lo, s27
	v_mov_b32_e32 v2, 8
	v_lshl_add_u32 v1, v1, 10, 0x2000
	v_lshlrev_b32_e32 v0, 23, v0
	v_lshlrev_b32_sdwa v2, v2, v7 dst_sel:DWORD dst_unused:UNUSED_PAD src0_sel:DWORD src1_sel:WORD_0
	v_and_or_b32 v1, 0x8000, v2, v1
	v_lshl_or_b32 v79, v1, 16, v0
.LBB286_320:                            ;   in Loop: Header=BB286_13 Depth=1
	s_or_b32 exec_lo, exec_lo, s26
.LBB286_321:                            ;   in Loop: Header=BB286_13 Depth=1
	s_or_b32 exec_lo, exec_lo, s25
.LBB286_322:                            ;   in Loop: Header=BB286_13 Depth=1
	s_or_b32 exec_lo, exec_lo, s24
	v_lshrrev_b32_e32 v7, 16, v9
	v_mov_b32_e32 v89, 0
	v_mov_b32_e32 v90, 0
	v_cmp_ne_u16_sdwa s6, v7, v8 src0_sel:BYTE_0 src1_sel:DWORD
	s_and_saveexec_b32 s24, s6
	s_cbranch_execz .LBB286_330
; %bb.323:                              ;   in Loop: Header=BB286_13 Depth=1
	v_cmp_ne_u16_sdwa s6, v7, v81 src0_sel:BYTE_0 src1_sel:DWORD
	v_mov_b32_e32 v90, 0x8000
	s_and_saveexec_b32 s25, s6
	s_cbranch_execz .LBB286_329
; %bb.324:                              ;   in Loop: Header=BB286_13 Depth=1
	v_bfe_u32 v2, v9, 16, 7
	v_mov_b32_e32 v90, 0x7c01
	s_mov_b32 s26, exec_lo
	v_cmpx_ne_u32_e32 0x7f, v2
	s_cbranch_execz .LBB286_328
; %bb.325:                              ;   in Loop: Header=BB286_13 Depth=1
	v_and_b32_e32 v0, 7, v7
	v_lshrrev_b32_e32 v1, 3, v2
	s_mov_b32 s27, exec_lo
	v_cmpx_gt_u32_e32 8, v2
; %bb.326:                              ;   in Loop: Header=BB286_13 Depth=1
	v_ffbh_u32_e32 v0, v0
	v_min_u32_e32 v2, 32, v0
	v_subrev_nc_u32_e32 v0, 28, v2
	v_lshlrev_b64 v[0:1], v0, v[7:8]
	v_sub_nc_u32_e32 v1, 29, v2
	v_and_b32_e32 v0, 7, v0
; %bb.327:                              ;   in Loop: Header=BB286_13 Depth=1
	s_or_b32 exec_lo, exec_lo, s27
	v_lshlrev_b32_e32 v2, 8, v7
	v_lshl_add_u32 v1, v1, 10, 0x2000
	v_lshlrev_b32_e32 v0, 7, v0
	v_and_b32_e32 v2, 0x8000, v2
	v_and_b32_e32 v1, 0xfc00, v1
	v_or3_b32 v90, v2, v1, v0
.LBB286_328:                            ;   in Loop: Header=BB286_13 Depth=1
	s_or_b32 exec_lo, exec_lo, s26
.LBB286_329:                            ;   in Loop: Header=BB286_13 Depth=1
	s_or_b32 exec_lo, exec_lo, s25
.LBB286_330:                            ;   in Loop: Header=BB286_13 Depth=1
	s_or_b32 exec_lo, exec_lo, s24
	s_mov_b32 s24, exec_lo
	v_cmpx_lt_u32_e32 0xffffff, v9
	s_cbranch_execz .LBB286_338
; %bb.331:                              ;   in Loop: Header=BB286_13 Depth=1
	v_lshrrev_b32_e32 v7, 24, v9
	v_bfrev_b32_e32 v89, 1
	s_mov_b32 s25, exec_lo
	v_cmpx_ne_u32_e32 0x80, v7
	s_cbranch_execz .LBB286_337
; %bb.332:                              ;   in Loop: Header=BB286_13 Depth=1
	v_and_b32_e32 v2, 0x7f, v7
	v_mov_b32_e32 v89, 0x7c010000
	s_mov_b32 s26, exec_lo
	v_cmpx_ne_u32_e32 0x7f, v2
	s_cbranch_execz .LBB286_336
; %bb.333:                              ;   in Loop: Header=BB286_13 Depth=1
	v_and_b32_e32 v0, 7, v7
	v_lshrrev_b32_e32 v1, 3, v2
	s_mov_b32 s27, exec_lo
	v_cmpx_gt_u32_e32 8, v2
; %bb.334:                              ;   in Loop: Header=BB286_13 Depth=1
	v_ffbh_u32_e32 v0, v0
	v_min_u32_e32 v2, 32, v0
	v_subrev_nc_u32_e32 v0, 28, v2
	v_lshlrev_b64 v[0:1], v0, v[7:8]
	v_sub_nc_u32_e32 v1, 29, v2
	v_and_b32_e32 v0, 7, v0
; %bb.335:                              ;   in Loop: Header=BB286_13 Depth=1
	s_or_b32 exec_lo, exec_lo, s27
	v_lshlrev_b32_e32 v2, 8, v7
	v_lshl_add_u32 v1, v1, 10, 0x2000
	v_lshlrev_b32_e32 v0, 23, v0
	v_and_or_b32 v1, 0x8000, v2, v1
	v_lshl_or_b32 v89, v1, 16, v0
.LBB286_336:                            ;   in Loop: Header=BB286_13 Depth=1
	s_or_b32 exec_lo, exec_lo, s26
.LBB286_337:                            ;   in Loop: Header=BB286_13 Depth=1
	s_or_b32 exec_lo, exec_lo, s25
.LBB286_338:                            ;   in Loop: Header=BB286_13 Depth=1
	s_or_b32 exec_lo, exec_lo, s24
	flat_load_dword v9, v[33:34] offset:1280
	v_mov_b32_e32 v91, 0
	v_mov_b32_e32 v92, 0
	s_waitcnt vmcnt(0) lgkmcnt(0)
	v_cmp_ne_u16_sdwa s6, v9, v8 src0_sel:BYTE_0 src1_sel:DWORD
	s_and_saveexec_b32 s24, s6
	s_cbranch_execz .LBB286_346
; %bb.339:                              ;   in Loop: Header=BB286_13 Depth=1
	v_cmp_ne_u16_sdwa s6, v9, v81 src0_sel:BYTE_0 src1_sel:DWORD
	v_mov_b32_e32 v92, 0x8000
	s_and_saveexec_b32 s25, s6
	s_cbranch_execz .LBB286_345
; %bb.340:                              ;   in Loop: Header=BB286_13 Depth=1
	v_and_b32_e32 v2, 0x7f, v9
	v_mov_b32_e32 v92, 0x7c01
	s_mov_b32 s26, exec_lo
	v_cmpx_ne_u32_e32 0x7f, v2
	s_cbranch_execz .LBB286_344
; %bb.341:                              ;   in Loop: Header=BB286_13 Depth=1
	v_and_b32_e32 v0, 7, v9
	v_lshrrev_b32_e32 v1, 3, v2
	s_mov_b32 s27, exec_lo
	v_cmpx_gt_u32_e32 8, v2
; %bb.342:                              ;   in Loop: Header=BB286_13 Depth=1
	v_ffbh_u32_e32 v0, v0
	v_min_u32_e32 v2, 32, v0
	v_subrev_nc_u32_e32 v0, 28, v2
	v_lshlrev_b64 v[0:1], v0, v[9:10]
	v_sub_nc_u32_e32 v1, 29, v2
	v_and_b32_e32 v0, 7, v0
; %bb.343:                              ;   in Loop: Header=BB286_13 Depth=1
	s_or_b32 exec_lo, exec_lo, s27
	v_lshlrev_b32_e32 v2, 8, v9
	v_lshl_add_u32 v1, v1, 10, 0x2000
	v_lshlrev_b32_e32 v0, 7, v0
	v_and_b32_e32 v2, 0x8000, v2
	v_and_b32_e32 v1, 0xfc00, v1
	v_or3_b32 v92, v2, v1, v0
.LBB286_344:                            ;   in Loop: Header=BB286_13 Depth=1
	s_or_b32 exec_lo, exec_lo, s26
.LBB286_345:                            ;   in Loop: Header=BB286_13 Depth=1
	s_or_b32 exec_lo, exec_lo, s25
.LBB286_346:                            ;   in Loop: Header=BB286_13 Depth=1
	s_or_b32 exec_lo, exec_lo, s24
	v_lshrrev_b16 v7, 8, v9
	s_mov_b32 s24, exec_lo
	v_cmpx_ne_u16_e32 0, v7
	s_cbranch_execz .LBB286_354
; %bb.347:                              ;   in Loop: Header=BB286_13 Depth=1
	v_bfrev_b32_e32 v91, 1
	s_mov_b32 s25, exec_lo
	v_cmpx_ne_u16_e32 0x80, v7
	s_cbranch_execz .LBB286_353
; %bb.348:                              ;   in Loop: Header=BB286_13 Depth=1
	v_and_b32_sdwa v2, v7, v82 dst_sel:DWORD dst_unused:UNUSED_PAD src0_sel:WORD_0 src1_sel:DWORD
	v_mov_b32_e32 v91, 0x7c010000
	s_mov_b32 s26, exec_lo
	v_cmpx_ne_u32_e32 0x7f, v2
	s_cbranch_execz .LBB286_352
; %bb.349:                              ;   in Loop: Header=BB286_13 Depth=1
	v_mov_b32_e32 v0, 7
	v_lshrrev_b32_e32 v1, 3, v2
	s_mov_b32 s27, exec_lo
	v_and_b32_sdwa v0, v7, v0 dst_sel:DWORD dst_unused:UNUSED_PAD src0_sel:WORD_0 src1_sel:DWORD
	v_cmpx_gt_u32_e32 8, v2
; %bb.350:                              ;   in Loop: Header=BB286_13 Depth=1
	v_ffbh_u32_e32 v0, v0
	v_min_u32_e32 v2, 32, v0
	v_subrev_nc_u32_e32 v0, 28, v2
	v_lshlrev_b64 v[0:1], v0, v[7:8]
	v_sub_nc_u32_e32 v1, 29, v2
	v_and_b32_e32 v0, 7, v0
; %bb.351:                              ;   in Loop: Header=BB286_13 Depth=1
	s_or_b32 exec_lo, exec_lo, s27
	v_mov_b32_e32 v2, 8
	v_lshl_add_u32 v1, v1, 10, 0x2000
	v_lshlrev_b32_e32 v0, 23, v0
	v_lshlrev_b32_sdwa v2, v2, v7 dst_sel:DWORD dst_unused:UNUSED_PAD src0_sel:DWORD src1_sel:WORD_0
	v_and_or_b32 v1, 0x8000, v2, v1
	v_lshl_or_b32 v91, v1, 16, v0
.LBB286_352:                            ;   in Loop: Header=BB286_13 Depth=1
	s_or_b32 exec_lo, exec_lo, s26
.LBB286_353:                            ;   in Loop: Header=BB286_13 Depth=1
	s_or_b32 exec_lo, exec_lo, s25
.LBB286_354:                            ;   in Loop: Header=BB286_13 Depth=1
	s_or_b32 exec_lo, exec_lo, s24
	v_lshrrev_b32_e32 v7, 16, v9
	v_mov_b32_e32 v94, 0
	v_mov_b32_e32 v104, 0
	v_cmp_ne_u16_sdwa s6, v7, v8 src0_sel:BYTE_0 src1_sel:DWORD
	s_and_saveexec_b32 s24, s6
	s_cbranch_execz .LBB286_362
; %bb.355:                              ;   in Loop: Header=BB286_13 Depth=1
	v_cmp_ne_u16_sdwa s6, v7, v81 src0_sel:BYTE_0 src1_sel:DWORD
	v_mov_b32_e32 v104, 0x8000
	s_and_saveexec_b32 s25, s6
	s_cbranch_execz .LBB286_361
; %bb.356:                              ;   in Loop: Header=BB286_13 Depth=1
	v_bfe_u32 v2, v9, 16, 7
	v_mov_b32_e32 v104, 0x7c01
	s_mov_b32 s26, exec_lo
	v_cmpx_ne_u32_e32 0x7f, v2
	s_cbranch_execz .LBB286_360
; %bb.357:                              ;   in Loop: Header=BB286_13 Depth=1
	v_and_b32_e32 v0, 7, v7
	v_lshrrev_b32_e32 v1, 3, v2
	s_mov_b32 s27, exec_lo
	v_cmpx_gt_u32_e32 8, v2
; %bb.358:                              ;   in Loop: Header=BB286_13 Depth=1
	v_ffbh_u32_e32 v0, v0
	v_min_u32_e32 v2, 32, v0
	v_subrev_nc_u32_e32 v0, 28, v2
	v_lshlrev_b64 v[0:1], v0, v[7:8]
	v_sub_nc_u32_e32 v1, 29, v2
	v_and_b32_e32 v0, 7, v0
; %bb.359:                              ;   in Loop: Header=BB286_13 Depth=1
	s_or_b32 exec_lo, exec_lo, s27
	v_lshlrev_b32_e32 v2, 8, v7
	v_lshl_add_u32 v1, v1, 10, 0x2000
	v_lshlrev_b32_e32 v0, 7, v0
	v_and_b32_e32 v2, 0x8000, v2
	v_and_b32_e32 v1, 0xfc00, v1
	v_or3_b32 v104, v2, v1, v0
.LBB286_360:                            ;   in Loop: Header=BB286_13 Depth=1
	s_or_b32 exec_lo, exec_lo, s26
.LBB286_361:                            ;   in Loop: Header=BB286_13 Depth=1
	s_or_b32 exec_lo, exec_lo, s25
.LBB286_362:                            ;   in Loop: Header=BB286_13 Depth=1
	s_or_b32 exec_lo, exec_lo, s24
	s_mov_b32 s24, exec_lo
	v_cmpx_lt_u32_e32 0xffffff, v9
	s_cbranch_execz .LBB286_370
; %bb.363:                              ;   in Loop: Header=BB286_13 Depth=1
	v_lshrrev_b32_e32 v7, 24, v9
	v_bfrev_b32_e32 v94, 1
	s_mov_b32 s25, exec_lo
	v_cmpx_ne_u32_e32 0x80, v7
	s_cbranch_execz .LBB286_369
; %bb.364:                              ;   in Loop: Header=BB286_13 Depth=1
	v_and_b32_e32 v2, 0x7f, v7
	v_mov_b32_e32 v94, 0x7c010000
	s_mov_b32 s26, exec_lo
	v_cmpx_ne_u32_e32 0x7f, v2
	s_cbranch_execz .LBB286_368
; %bb.365:                              ;   in Loop: Header=BB286_13 Depth=1
	v_and_b32_e32 v0, 7, v7
	v_lshrrev_b32_e32 v1, 3, v2
	s_mov_b32 s27, exec_lo
	v_cmpx_gt_u32_e32 8, v2
; %bb.366:                              ;   in Loop: Header=BB286_13 Depth=1
	v_ffbh_u32_e32 v0, v0
	v_min_u32_e32 v2, 32, v0
	v_subrev_nc_u32_e32 v0, 28, v2
	v_lshlrev_b64 v[0:1], v0, v[7:8]
	v_sub_nc_u32_e32 v1, 29, v2
	v_and_b32_e32 v0, 7, v0
; %bb.367:                              ;   in Loop: Header=BB286_13 Depth=1
	s_or_b32 exec_lo, exec_lo, s27
	v_lshlrev_b32_e32 v2, 8, v7
	v_lshl_add_u32 v1, v1, 10, 0x2000
	v_lshlrev_b32_e32 v0, 23, v0
	v_and_or_b32 v1, 0x8000, v2, v1
	v_lshl_or_b32 v94, v1, 16, v0
.LBB286_368:                            ;   in Loop: Header=BB286_13 Depth=1
	s_or_b32 exec_lo, exec_lo, s26
.LBB286_369:                            ;   in Loop: Header=BB286_13 Depth=1
	s_or_b32 exec_lo, exec_lo, s25
.LBB286_370:                            ;   in Loop: Header=BB286_13 Depth=1
	s_or_b32 exec_lo, exec_lo, s24
	flat_load_dword v9, v[33:34] offset:1288
	v_mov_b32_e32 v108, 0
	v_mov_b32_e32 v109, 0
	s_waitcnt vmcnt(0) lgkmcnt(0)
	v_cmp_ne_u16_sdwa s6, v9, v8 src0_sel:BYTE_0 src1_sel:DWORD
	s_and_saveexec_b32 s24, s6
	s_cbranch_execz .LBB286_378
; %bb.371:                              ;   in Loop: Header=BB286_13 Depth=1
	v_cmp_ne_u16_sdwa s6, v9, v81 src0_sel:BYTE_0 src1_sel:DWORD
	v_mov_b32_e32 v109, 0x8000
	s_and_saveexec_b32 s25, s6
	s_cbranch_execz .LBB286_377
; %bb.372:                              ;   in Loop: Header=BB286_13 Depth=1
	v_and_b32_e32 v2, 0x7f, v9
	v_mov_b32_e32 v109, 0x7c01
	s_mov_b32 s26, exec_lo
	v_cmpx_ne_u32_e32 0x7f, v2
	s_cbranch_execz .LBB286_376
; %bb.373:                              ;   in Loop: Header=BB286_13 Depth=1
	v_and_b32_e32 v0, 7, v9
	v_lshrrev_b32_e32 v1, 3, v2
	s_mov_b32 s27, exec_lo
	v_cmpx_gt_u32_e32 8, v2
; %bb.374:                              ;   in Loop: Header=BB286_13 Depth=1
	v_ffbh_u32_e32 v0, v0
	v_min_u32_e32 v2, 32, v0
	v_subrev_nc_u32_e32 v0, 28, v2
	v_lshlrev_b64 v[0:1], v0, v[9:10]
	v_sub_nc_u32_e32 v1, 29, v2
	v_and_b32_e32 v0, 7, v0
; %bb.375:                              ;   in Loop: Header=BB286_13 Depth=1
	s_or_b32 exec_lo, exec_lo, s27
	v_lshlrev_b32_e32 v2, 8, v9
	v_lshl_add_u32 v1, v1, 10, 0x2000
	v_lshlrev_b32_e32 v0, 7, v0
	v_and_b32_e32 v2, 0x8000, v2
	v_and_b32_e32 v1, 0xfc00, v1
	v_or3_b32 v109, v2, v1, v0
.LBB286_376:                            ;   in Loop: Header=BB286_13 Depth=1
	s_or_b32 exec_lo, exec_lo, s26
.LBB286_377:                            ;   in Loop: Header=BB286_13 Depth=1
	s_or_b32 exec_lo, exec_lo, s25
.LBB286_378:                            ;   in Loop: Header=BB286_13 Depth=1
	s_or_b32 exec_lo, exec_lo, s24
	v_lshrrev_b16 v7, 8, v9
	s_mov_b32 s24, exec_lo
	v_cmpx_ne_u16_e32 0, v7
	s_cbranch_execz .LBB286_386
; %bb.379:                              ;   in Loop: Header=BB286_13 Depth=1
	v_bfrev_b32_e32 v108, 1
	s_mov_b32 s25, exec_lo
	v_cmpx_ne_u16_e32 0x80, v7
	s_cbranch_execz .LBB286_385
; %bb.380:                              ;   in Loop: Header=BB286_13 Depth=1
	v_and_b32_sdwa v2, v7, v82 dst_sel:DWORD dst_unused:UNUSED_PAD src0_sel:WORD_0 src1_sel:DWORD
	v_mov_b32_e32 v108, 0x7c010000
	s_mov_b32 s26, exec_lo
	v_cmpx_ne_u32_e32 0x7f, v2
	s_cbranch_execz .LBB286_384
; %bb.381:                              ;   in Loop: Header=BB286_13 Depth=1
	v_mov_b32_e32 v0, 7
	v_lshrrev_b32_e32 v1, 3, v2
	s_mov_b32 s27, exec_lo
	v_and_b32_sdwa v0, v7, v0 dst_sel:DWORD dst_unused:UNUSED_PAD src0_sel:WORD_0 src1_sel:DWORD
	v_cmpx_gt_u32_e32 8, v2
; %bb.382:                              ;   in Loop: Header=BB286_13 Depth=1
	v_ffbh_u32_e32 v0, v0
	v_min_u32_e32 v2, 32, v0
	v_subrev_nc_u32_e32 v0, 28, v2
	v_lshlrev_b64 v[0:1], v0, v[7:8]
	v_sub_nc_u32_e32 v1, 29, v2
	v_and_b32_e32 v0, 7, v0
; %bb.383:                              ;   in Loop: Header=BB286_13 Depth=1
	s_or_b32 exec_lo, exec_lo, s27
	v_mov_b32_e32 v2, 8
	v_lshl_add_u32 v1, v1, 10, 0x2000
	v_lshlrev_b32_e32 v0, 23, v0
	v_lshlrev_b32_sdwa v2, v2, v7 dst_sel:DWORD dst_unused:UNUSED_PAD src0_sel:DWORD src1_sel:WORD_0
	v_and_or_b32 v1, 0x8000, v2, v1
	v_lshl_or_b32 v108, v1, 16, v0
.LBB286_384:                            ;   in Loop: Header=BB286_13 Depth=1
	s_or_b32 exec_lo, exec_lo, s26
.LBB286_385:                            ;   in Loop: Header=BB286_13 Depth=1
	s_or_b32 exec_lo, exec_lo, s25
.LBB286_386:                            ;   in Loop: Header=BB286_13 Depth=1
	s_or_b32 exec_lo, exec_lo, s24
	v_lshrrev_b32_e32 v7, 16, v9
	v_mov_b32_e32 v121, 0
	v_mov_b32_e32 v122, 0
	v_cmp_ne_u16_sdwa s6, v7, v8 src0_sel:BYTE_0 src1_sel:DWORD
	s_and_saveexec_b32 s24, s6
	s_cbranch_execz .LBB286_394
; %bb.387:                              ;   in Loop: Header=BB286_13 Depth=1
	v_cmp_ne_u16_sdwa s6, v7, v81 src0_sel:BYTE_0 src1_sel:DWORD
	v_mov_b32_e32 v122, 0x8000
	s_and_saveexec_b32 s25, s6
	s_cbranch_execz .LBB286_393
; %bb.388:                              ;   in Loop: Header=BB286_13 Depth=1
	v_bfe_u32 v2, v9, 16, 7
	v_mov_b32_e32 v122, 0x7c01
	s_mov_b32 s26, exec_lo
	v_cmpx_ne_u32_e32 0x7f, v2
	s_cbranch_execz .LBB286_392
; %bb.389:                              ;   in Loop: Header=BB286_13 Depth=1
	v_and_b32_e32 v0, 7, v7
	v_lshrrev_b32_e32 v1, 3, v2
	s_mov_b32 s27, exec_lo
	v_cmpx_gt_u32_e32 8, v2
; %bb.390:                              ;   in Loop: Header=BB286_13 Depth=1
	v_ffbh_u32_e32 v0, v0
	v_min_u32_e32 v2, 32, v0
	v_subrev_nc_u32_e32 v0, 28, v2
	v_lshlrev_b64 v[0:1], v0, v[7:8]
	v_sub_nc_u32_e32 v1, 29, v2
	v_and_b32_e32 v0, 7, v0
; %bb.391:                              ;   in Loop: Header=BB286_13 Depth=1
	s_or_b32 exec_lo, exec_lo, s27
	v_lshlrev_b32_e32 v2, 8, v7
	v_lshl_add_u32 v1, v1, 10, 0x2000
	v_lshlrev_b32_e32 v0, 7, v0
	v_and_b32_e32 v2, 0x8000, v2
	v_and_b32_e32 v1, 0xfc00, v1
	v_or3_b32 v122, v2, v1, v0
.LBB286_392:                            ;   in Loop: Header=BB286_13 Depth=1
	s_or_b32 exec_lo, exec_lo, s26
.LBB286_393:                            ;   in Loop: Header=BB286_13 Depth=1
	s_or_b32 exec_lo, exec_lo, s25
.LBB286_394:                            ;   in Loop: Header=BB286_13 Depth=1
	s_or_b32 exec_lo, exec_lo, s24
	s_mov_b32 s24, exec_lo
	v_cmpx_lt_u32_e32 0xffffff, v9
	s_cbranch_execz .LBB286_402
; %bb.395:                              ;   in Loop: Header=BB286_13 Depth=1
	v_lshrrev_b32_e32 v7, 24, v9
	v_bfrev_b32_e32 v121, 1
	s_mov_b32 s25, exec_lo
	v_cmpx_ne_u32_e32 0x80, v7
	s_cbranch_execz .LBB286_401
; %bb.396:                              ;   in Loop: Header=BB286_13 Depth=1
	v_and_b32_e32 v2, 0x7f, v7
	v_mov_b32_e32 v121, 0x7c010000
	s_mov_b32 s26, exec_lo
	v_cmpx_ne_u32_e32 0x7f, v2
	s_cbranch_execz .LBB286_400
; %bb.397:                              ;   in Loop: Header=BB286_13 Depth=1
	v_and_b32_e32 v0, 7, v7
	v_lshrrev_b32_e32 v1, 3, v2
	s_mov_b32 s27, exec_lo
	v_cmpx_gt_u32_e32 8, v2
; %bb.398:                              ;   in Loop: Header=BB286_13 Depth=1
	v_ffbh_u32_e32 v0, v0
	v_min_u32_e32 v2, 32, v0
	v_subrev_nc_u32_e32 v0, 28, v2
	v_lshlrev_b64 v[0:1], v0, v[7:8]
	v_sub_nc_u32_e32 v1, 29, v2
	v_and_b32_e32 v0, 7, v0
; %bb.399:                              ;   in Loop: Header=BB286_13 Depth=1
	s_or_b32 exec_lo, exec_lo, s27
	v_lshlrev_b32_e32 v2, 8, v7
	v_lshl_add_u32 v1, v1, 10, 0x2000
	v_lshlrev_b32_e32 v0, 23, v0
	v_and_or_b32 v1, 0x8000, v2, v1
	v_lshl_or_b32 v121, v1, 16, v0
.LBB286_400:                            ;   in Loop: Header=BB286_13 Depth=1
	s_or_b32 exec_lo, exec_lo, s26
.LBB286_401:                            ;   in Loop: Header=BB286_13 Depth=1
	s_or_b32 exec_lo, exec_lo, s25
.LBB286_402:                            ;   in Loop: Header=BB286_13 Depth=1
	s_or_b32 exec_lo, exec_lo, s24
	flat_load_dword v9, v[33:34] offset:1536
	v_mov_b32_e32 v126, 0
	v_mov_b32_e32 v127, 0
	s_waitcnt vmcnt(0) lgkmcnt(0)
	v_cmp_ne_u16_sdwa s6, v9, v8 src0_sel:BYTE_0 src1_sel:DWORD
	s_and_saveexec_b32 s24, s6
	s_cbranch_execz .LBB286_410
; %bb.403:                              ;   in Loop: Header=BB286_13 Depth=1
	v_cmp_ne_u16_sdwa s6, v9, v81 src0_sel:BYTE_0 src1_sel:DWORD
	v_mov_b32_e32 v127, 0x8000
	s_and_saveexec_b32 s25, s6
	s_cbranch_execz .LBB286_409
; %bb.404:                              ;   in Loop: Header=BB286_13 Depth=1
	v_and_b32_e32 v2, 0x7f, v9
	v_mov_b32_e32 v127, 0x7c01
	s_mov_b32 s26, exec_lo
	v_cmpx_ne_u32_e32 0x7f, v2
	s_cbranch_execz .LBB286_408
; %bb.405:                              ;   in Loop: Header=BB286_13 Depth=1
	v_and_b32_e32 v0, 7, v9
	v_lshrrev_b32_e32 v1, 3, v2
	s_mov_b32 s27, exec_lo
	v_cmpx_gt_u32_e32 8, v2
; %bb.406:                              ;   in Loop: Header=BB286_13 Depth=1
	v_ffbh_u32_e32 v0, v0
	v_min_u32_e32 v2, 32, v0
	v_subrev_nc_u32_e32 v0, 28, v2
	v_lshlrev_b64 v[0:1], v0, v[9:10]
	v_sub_nc_u32_e32 v1, 29, v2
	v_and_b32_e32 v0, 7, v0
; %bb.407:                              ;   in Loop: Header=BB286_13 Depth=1
	s_or_b32 exec_lo, exec_lo, s27
	v_lshlrev_b32_e32 v2, 8, v9
	v_lshl_add_u32 v1, v1, 10, 0x2000
	v_lshlrev_b32_e32 v0, 7, v0
	v_and_b32_e32 v2, 0x8000, v2
	v_and_b32_e32 v1, 0xfc00, v1
	v_or3_b32 v127, v2, v1, v0
.LBB286_408:                            ;   in Loop: Header=BB286_13 Depth=1
	s_or_b32 exec_lo, exec_lo, s26
.LBB286_409:                            ;   in Loop: Header=BB286_13 Depth=1
	s_or_b32 exec_lo, exec_lo, s25
.LBB286_410:                            ;   in Loop: Header=BB286_13 Depth=1
	s_or_b32 exec_lo, exec_lo, s24
	v_lshrrev_b16 v7, 8, v9
	s_mov_b32 s24, exec_lo
	v_cmpx_ne_u16_e32 0, v7
	s_cbranch_execz .LBB286_418
; %bb.411:                              ;   in Loop: Header=BB286_13 Depth=1
	v_bfrev_b32_e32 v126, 1
	s_mov_b32 s25, exec_lo
	v_cmpx_ne_u16_e32 0x80, v7
	s_cbranch_execz .LBB286_417
; %bb.412:                              ;   in Loop: Header=BB286_13 Depth=1
	v_and_b32_sdwa v2, v7, v82 dst_sel:DWORD dst_unused:UNUSED_PAD src0_sel:WORD_0 src1_sel:DWORD
	v_mov_b32_e32 v126, 0x7c010000
	s_mov_b32 s26, exec_lo
	v_cmpx_ne_u32_e32 0x7f, v2
	s_cbranch_execz .LBB286_416
; %bb.413:                              ;   in Loop: Header=BB286_13 Depth=1
	v_mov_b32_e32 v0, 7
	v_lshrrev_b32_e32 v1, 3, v2
	s_mov_b32 s27, exec_lo
	v_and_b32_sdwa v0, v7, v0 dst_sel:DWORD dst_unused:UNUSED_PAD src0_sel:WORD_0 src1_sel:DWORD
	v_cmpx_gt_u32_e32 8, v2
; %bb.414:                              ;   in Loop: Header=BB286_13 Depth=1
	v_ffbh_u32_e32 v0, v0
	v_min_u32_e32 v2, 32, v0
	v_subrev_nc_u32_e32 v0, 28, v2
	v_lshlrev_b64 v[0:1], v0, v[7:8]
	v_sub_nc_u32_e32 v1, 29, v2
	v_and_b32_e32 v0, 7, v0
; %bb.415:                              ;   in Loop: Header=BB286_13 Depth=1
	s_or_b32 exec_lo, exec_lo, s27
	v_mov_b32_e32 v2, 8
	v_lshl_add_u32 v1, v1, 10, 0x2000
	v_lshlrev_b32_e32 v0, 23, v0
	v_lshlrev_b32_sdwa v2, v2, v7 dst_sel:DWORD dst_unused:UNUSED_PAD src0_sel:DWORD src1_sel:WORD_0
	v_and_or_b32 v1, 0x8000, v2, v1
	v_lshl_or_b32 v126, v1, 16, v0
.LBB286_416:                            ;   in Loop: Header=BB286_13 Depth=1
	s_or_b32 exec_lo, exec_lo, s26
.LBB286_417:                            ;   in Loop: Header=BB286_13 Depth=1
	s_or_b32 exec_lo, exec_lo, s25
.LBB286_418:                            ;   in Loop: Header=BB286_13 Depth=1
	s_or_b32 exec_lo, exec_lo, s24
	v_lshrrev_b32_e32 v7, 16, v9
	v_mov_b32_e32 v49, 0
	v_mov_b32_e32 v5, 0
	v_cmp_ne_u16_sdwa s6, v7, v8 src0_sel:BYTE_0 src1_sel:DWORD
	s_and_saveexec_b32 s24, s6
	s_cbranch_execz .LBB286_426
; %bb.419:                              ;   in Loop: Header=BB286_13 Depth=1
	v_cmp_ne_u16_sdwa s6, v7, v81 src0_sel:BYTE_0 src1_sel:DWORD
	v_mov_b32_e32 v5, 0x8000
	s_and_saveexec_b32 s25, s6
	s_cbranch_execz .LBB286_425
; %bb.420:                              ;   in Loop: Header=BB286_13 Depth=1
	v_bfe_u32 v2, v9, 16, 7
	v_mov_b32_e32 v5, 0x7c01
	s_mov_b32 s26, exec_lo
	v_cmpx_ne_u32_e32 0x7f, v2
	s_cbranch_execz .LBB286_424
; %bb.421:                              ;   in Loop: Header=BB286_13 Depth=1
	v_and_b32_e32 v0, 7, v7
	v_lshrrev_b32_e32 v1, 3, v2
	s_mov_b32 s27, exec_lo
	v_cmpx_gt_u32_e32 8, v2
; %bb.422:                              ;   in Loop: Header=BB286_13 Depth=1
	v_ffbh_u32_e32 v0, v0
	v_min_u32_e32 v2, 32, v0
	v_subrev_nc_u32_e32 v0, 28, v2
	v_lshlrev_b64 v[0:1], v0, v[7:8]
	v_sub_nc_u32_e32 v1, 29, v2
	v_and_b32_e32 v0, 7, v0
; %bb.423:                              ;   in Loop: Header=BB286_13 Depth=1
	s_or_b32 exec_lo, exec_lo, s27
	v_lshlrev_b32_e32 v2, 8, v7
	v_lshl_add_u32 v1, v1, 10, 0x2000
	v_lshlrev_b32_e32 v0, 7, v0
	v_and_b32_e32 v2, 0x8000, v2
	v_and_b32_e32 v1, 0xfc00, v1
	v_or3_b32 v5, v2, v1, v0
.LBB286_424:                            ;   in Loop: Header=BB286_13 Depth=1
	s_or_b32 exec_lo, exec_lo, s26
.LBB286_425:                            ;   in Loop: Header=BB286_13 Depth=1
	s_or_b32 exec_lo, exec_lo, s25
.LBB286_426:                            ;   in Loop: Header=BB286_13 Depth=1
	s_or_b32 exec_lo, exec_lo, s24
	s_mov_b32 s24, exec_lo
	v_cmpx_lt_u32_e32 0xffffff, v9
	s_cbranch_execz .LBB286_434
; %bb.427:                              ;   in Loop: Header=BB286_13 Depth=1
	v_lshrrev_b32_e32 v7, 24, v9
	v_bfrev_b32_e32 v49, 1
	s_mov_b32 s25, exec_lo
	v_cmpx_ne_u32_e32 0x80, v7
	s_cbranch_execz .LBB286_433
; %bb.428:                              ;   in Loop: Header=BB286_13 Depth=1
	v_and_b32_e32 v2, 0x7f, v7
	v_mov_b32_e32 v49, 0x7c010000
	s_mov_b32 s26, exec_lo
	v_cmpx_ne_u32_e32 0x7f, v2
	s_cbranch_execz .LBB286_432
; %bb.429:                              ;   in Loop: Header=BB286_13 Depth=1
	v_and_b32_e32 v0, 7, v7
	v_lshrrev_b32_e32 v1, 3, v2
	s_mov_b32 s27, exec_lo
	v_cmpx_gt_u32_e32 8, v2
; %bb.430:                              ;   in Loop: Header=BB286_13 Depth=1
	v_ffbh_u32_e32 v0, v0
	v_min_u32_e32 v2, 32, v0
	v_subrev_nc_u32_e32 v0, 28, v2
	v_lshlrev_b64 v[0:1], v0, v[7:8]
	v_sub_nc_u32_e32 v1, 29, v2
	v_and_b32_e32 v0, 7, v0
; %bb.431:                              ;   in Loop: Header=BB286_13 Depth=1
	s_or_b32 exec_lo, exec_lo, s27
	v_lshlrev_b32_e32 v2, 8, v7
	v_lshl_add_u32 v1, v1, 10, 0x2000
	v_lshlrev_b32_e32 v0, 23, v0
	v_and_or_b32 v1, 0x8000, v2, v1
	v_lshl_or_b32 v49, v1, 16, v0
.LBB286_432:                            ;   in Loop: Header=BB286_13 Depth=1
	s_or_b32 exec_lo, exec_lo, s26
.LBB286_433:                            ;   in Loop: Header=BB286_13 Depth=1
	s_or_b32 exec_lo, exec_lo, s25
.LBB286_434:                            ;   in Loop: Header=BB286_13 Depth=1
	s_or_b32 exec_lo, exec_lo, s24
	flat_load_dword v9, v[33:34] offset:1544
	v_mov_b32_e32 v11, 0
	v_mov_b32_e32 v10, 0
	s_waitcnt vmcnt(0) lgkmcnt(0)
	v_cmp_ne_u16_sdwa s6, v9, v8 src0_sel:BYTE_0 src1_sel:DWORD
	s_and_saveexec_b32 s24, s6
	s_cbranch_execz .LBB286_442
; %bb.435:                              ;   in Loop: Header=BB286_13 Depth=1
	v_cmp_ne_u16_sdwa s6, v9, v81 src0_sel:BYTE_0 src1_sel:DWORD
	v_mov_b32_e32 v10, 0x8000
	s_and_saveexec_b32 s25, s6
	s_cbranch_execz .LBB286_441
; %bb.436:                              ;   in Loop: Header=BB286_13 Depth=1
	v_and_b32_e32 v2, 0x7f, v9
	v_mov_b32_e32 v10, 0x7c01
	s_mov_b32 s26, exec_lo
	v_cmpx_ne_u32_e32 0x7f, v2
	s_cbranch_execz .LBB286_440
; %bb.437:                              ;   in Loop: Header=BB286_13 Depth=1
	v_and_b32_e32 v0, 7, v9
	v_lshrrev_b32_e32 v1, 3, v2
	s_mov_b32 s27, exec_lo
	v_cmpx_gt_u32_e32 8, v2
; %bb.438:                              ;   in Loop: Header=BB286_13 Depth=1
	v_ffbh_u32_e32 v0, v0
	v_min_u32_e32 v2, 32, v0
	v_subrev_nc_u32_e32 v0, 28, v2
	v_lshlrev_b64 v[0:1], v0, v[9:10]
	v_sub_nc_u32_e32 v1, 29, v2
	v_and_b32_e32 v0, 7, v0
; %bb.439:                              ;   in Loop: Header=BB286_13 Depth=1
	s_or_b32 exec_lo, exec_lo, s27
	v_lshlrev_b32_e32 v2, 8, v9
	v_lshl_add_u32 v1, v1, 10, 0x2000
	v_lshlrev_b32_e32 v0, 7, v0
	v_and_b32_e32 v2, 0x8000, v2
	v_and_b32_e32 v1, 0xfc00, v1
	v_or3_b32 v10, v2, v1, v0
.LBB286_440:                            ;   in Loop: Header=BB286_13 Depth=1
	s_or_b32 exec_lo, exec_lo, s26
.LBB286_441:                            ;   in Loop: Header=BB286_13 Depth=1
	s_or_b32 exec_lo, exec_lo, s25
.LBB286_442:                            ;   in Loop: Header=BB286_13 Depth=1
	s_or_b32 exec_lo, exec_lo, s24
	v_lshrrev_b16 v7, 8, v9
	s_mov_b32 s24, exec_lo
	v_cmpx_ne_u16_e32 0, v7
	s_cbranch_execz .LBB286_450
; %bb.443:                              ;   in Loop: Header=BB286_13 Depth=1
	v_bfrev_b32_e32 v11, 1
	s_mov_b32 s25, exec_lo
	v_cmpx_ne_u16_e32 0x80, v7
	s_cbranch_execz .LBB286_449
; %bb.444:                              ;   in Loop: Header=BB286_13 Depth=1
	v_and_b32_sdwa v2, v7, v82 dst_sel:DWORD dst_unused:UNUSED_PAD src0_sel:WORD_0 src1_sel:DWORD
	v_mov_b32_e32 v11, 0x7c010000
	s_mov_b32 s26, exec_lo
	v_cmpx_ne_u32_e32 0x7f, v2
	s_cbranch_execz .LBB286_448
; %bb.445:                              ;   in Loop: Header=BB286_13 Depth=1
	v_mov_b32_e32 v0, 7
	v_lshrrev_b32_e32 v1, 3, v2
	s_mov_b32 s27, exec_lo
	v_and_b32_sdwa v0, v7, v0 dst_sel:DWORD dst_unused:UNUSED_PAD src0_sel:WORD_0 src1_sel:DWORD
	v_cmpx_gt_u32_e32 8, v2
; %bb.446:                              ;   in Loop: Header=BB286_13 Depth=1
	v_ffbh_u32_e32 v0, v0
	v_min_u32_e32 v2, 32, v0
	v_subrev_nc_u32_e32 v0, 28, v2
	v_lshlrev_b64 v[0:1], v0, v[7:8]
	v_sub_nc_u32_e32 v1, 29, v2
	v_and_b32_e32 v0, 7, v0
; %bb.447:                              ;   in Loop: Header=BB286_13 Depth=1
	s_or_b32 exec_lo, exec_lo, s27
	v_mov_b32_e32 v2, 8
	v_lshl_add_u32 v1, v1, 10, 0x2000
	v_lshlrev_b32_e32 v0, 23, v0
	v_lshlrev_b32_sdwa v2, v2, v7 dst_sel:DWORD dst_unused:UNUSED_PAD src0_sel:DWORD src1_sel:WORD_0
	v_and_or_b32 v1, 0x8000, v2, v1
	v_lshl_or_b32 v11, v1, 16, v0
.LBB286_448:                            ;   in Loop: Header=BB286_13 Depth=1
	s_or_b32 exec_lo, exec_lo, s26
.LBB286_449:                            ;   in Loop: Header=BB286_13 Depth=1
	s_or_b32 exec_lo, exec_lo, s25
.LBB286_450:                            ;   in Loop: Header=BB286_13 Depth=1
	s_or_b32 exec_lo, exec_lo, s24
	v_lshrrev_b32_e32 v7, 16, v9
	v_mov_b32_e32 v18, 0
	v_mov_b32_e32 v19, 0
	v_cmp_ne_u16_sdwa s6, v7, v8 src0_sel:BYTE_0 src1_sel:DWORD
	s_and_saveexec_b32 s24, s6
	s_cbranch_execz .LBB286_458
; %bb.451:                              ;   in Loop: Header=BB286_13 Depth=1
	v_cmp_ne_u16_sdwa s6, v7, v81 src0_sel:BYTE_0 src1_sel:DWORD
	v_mov_b32_e32 v19, 0x8000
	s_and_saveexec_b32 s25, s6
	s_cbranch_execz .LBB286_457
; %bb.452:                              ;   in Loop: Header=BB286_13 Depth=1
	v_bfe_u32 v2, v9, 16, 7
	v_mov_b32_e32 v19, 0x7c01
	s_mov_b32 s26, exec_lo
	v_cmpx_ne_u32_e32 0x7f, v2
	s_cbranch_execz .LBB286_456
; %bb.453:                              ;   in Loop: Header=BB286_13 Depth=1
	v_and_b32_e32 v0, 7, v7
	v_lshrrev_b32_e32 v1, 3, v2
	s_mov_b32 s27, exec_lo
	v_cmpx_gt_u32_e32 8, v2
; %bb.454:                              ;   in Loop: Header=BB286_13 Depth=1
	v_ffbh_u32_e32 v0, v0
	v_min_u32_e32 v2, 32, v0
	v_subrev_nc_u32_e32 v0, 28, v2
	v_lshlrev_b64 v[0:1], v0, v[7:8]
	v_sub_nc_u32_e32 v1, 29, v2
	v_and_b32_e32 v0, 7, v0
; %bb.455:                              ;   in Loop: Header=BB286_13 Depth=1
	s_or_b32 exec_lo, exec_lo, s27
	v_lshlrev_b32_e32 v2, 8, v7
	v_lshl_add_u32 v1, v1, 10, 0x2000
	v_lshlrev_b32_e32 v0, 7, v0
	v_and_b32_e32 v2, 0x8000, v2
	v_and_b32_e32 v1, 0xfc00, v1
	v_or3_b32 v19, v2, v1, v0
.LBB286_456:                            ;   in Loop: Header=BB286_13 Depth=1
	s_or_b32 exec_lo, exec_lo, s26
.LBB286_457:                            ;   in Loop: Header=BB286_13 Depth=1
	s_or_b32 exec_lo, exec_lo, s25
.LBB286_458:                            ;   in Loop: Header=BB286_13 Depth=1
	s_or_b32 exec_lo, exec_lo, s24
	s_mov_b32 s24, exec_lo
	v_cmpx_lt_u32_e32 0xffffff, v9
	s_cbranch_execz .LBB286_466
; %bb.459:                              ;   in Loop: Header=BB286_13 Depth=1
	v_lshrrev_b32_e32 v7, 24, v9
	v_bfrev_b32_e32 v18, 1
	s_mov_b32 s25, exec_lo
	v_cmpx_ne_u32_e32 0x80, v7
	s_cbranch_execz .LBB286_465
; %bb.460:                              ;   in Loop: Header=BB286_13 Depth=1
	v_and_b32_e32 v2, 0x7f, v7
	v_mov_b32_e32 v18, 0x7c010000
	s_mov_b32 s26, exec_lo
	v_cmpx_ne_u32_e32 0x7f, v2
	s_cbranch_execz .LBB286_464
; %bb.461:                              ;   in Loop: Header=BB286_13 Depth=1
	v_and_b32_e32 v0, 7, v7
	v_lshrrev_b32_e32 v1, 3, v2
	s_mov_b32 s27, exec_lo
	v_cmpx_gt_u32_e32 8, v2
; %bb.462:                              ;   in Loop: Header=BB286_13 Depth=1
	v_ffbh_u32_e32 v0, v0
	v_min_u32_e32 v2, 32, v0
	v_subrev_nc_u32_e32 v0, 28, v2
	v_lshlrev_b64 v[0:1], v0, v[7:8]
	v_sub_nc_u32_e32 v1, 29, v2
	v_and_b32_e32 v0, 7, v0
; %bb.463:                              ;   in Loop: Header=BB286_13 Depth=1
	s_or_b32 exec_lo, exec_lo, s27
	v_lshlrev_b32_e32 v2, 8, v7
	v_lshl_add_u32 v1, v1, 10, 0x2000
	v_lshlrev_b32_e32 v0, 23, v0
	v_and_or_b32 v1, 0x8000, v2, v1
	v_lshl_or_b32 v18, v1, 16, v0
.LBB286_464:                            ;   in Loop: Header=BB286_13 Depth=1
	s_or_b32 exec_lo, exec_lo, s26
.LBB286_465:                            ;   in Loop: Header=BB286_13 Depth=1
	s_or_b32 exec_lo, exec_lo, s25
.LBB286_466:                            ;   in Loop: Header=BB286_13 Depth=1
	s_or_b32 exec_lo, exec_lo, s24
	flat_load_dword v9, v[33:34] offset:1792
	v_mov_b32_e32 v85, 0
	v_mov_b32_e32 v30, 0
	s_waitcnt vmcnt(0) lgkmcnt(0)
	v_cmp_ne_u16_sdwa s6, v9, v8 src0_sel:BYTE_0 src1_sel:DWORD
	s_and_saveexec_b32 s24, s6
	s_cbranch_execz .LBB286_474
; %bb.467:                              ;   in Loop: Header=BB286_13 Depth=1
	v_cmp_ne_u16_sdwa s6, v9, v81 src0_sel:BYTE_0 src1_sel:DWORD
	v_mov_b32_e32 v30, 0x8000
	s_and_saveexec_b32 s25, s6
	s_cbranch_execz .LBB286_473
; %bb.468:                              ;   in Loop: Header=BB286_13 Depth=1
	v_and_b32_e32 v2, 0x7f, v9
	v_mov_b32_e32 v30, 0x7c01
	s_mov_b32 s26, exec_lo
	v_cmpx_ne_u32_e32 0x7f, v2
	s_cbranch_execz .LBB286_472
; %bb.469:                              ;   in Loop: Header=BB286_13 Depth=1
	v_and_b32_e32 v0, 7, v9
	v_lshrrev_b32_e32 v1, 3, v2
	s_mov_b32 s27, exec_lo
	v_cmpx_gt_u32_e32 8, v2
; %bb.470:                              ;   in Loop: Header=BB286_13 Depth=1
	v_ffbh_u32_e32 v0, v0
	v_min_u32_e32 v2, 32, v0
	v_subrev_nc_u32_e32 v0, 28, v2
	v_lshlrev_b64 v[0:1], v0, v[9:10]
	v_sub_nc_u32_e32 v1, 29, v2
	v_and_b32_e32 v0, 7, v0
; %bb.471:                              ;   in Loop: Header=BB286_13 Depth=1
	s_or_b32 exec_lo, exec_lo, s27
	v_lshlrev_b32_e32 v2, 8, v9
	v_lshl_add_u32 v1, v1, 10, 0x2000
	v_lshlrev_b32_e32 v0, 7, v0
	v_and_b32_e32 v2, 0x8000, v2
	v_and_b32_e32 v1, 0xfc00, v1
	v_or3_b32 v30, v2, v1, v0
.LBB286_472:                            ;   in Loop: Header=BB286_13 Depth=1
	s_or_b32 exec_lo, exec_lo, s26
.LBB286_473:                            ;   in Loop: Header=BB286_13 Depth=1
	s_or_b32 exec_lo, exec_lo, s25
.LBB286_474:                            ;   in Loop: Header=BB286_13 Depth=1
	s_or_b32 exec_lo, exec_lo, s24
	v_lshrrev_b16 v7, 8, v9
	s_mov_b32 s24, exec_lo
	v_cmpx_ne_u16_e32 0, v7
	s_cbranch_execz .LBB286_482
; %bb.475:                              ;   in Loop: Header=BB286_13 Depth=1
	v_bfrev_b32_e32 v85, 1
	s_mov_b32 s25, exec_lo
	v_cmpx_ne_u16_e32 0x80, v7
	s_cbranch_execz .LBB286_481
; %bb.476:                              ;   in Loop: Header=BB286_13 Depth=1
	v_and_b32_sdwa v2, v7, v82 dst_sel:DWORD dst_unused:UNUSED_PAD src0_sel:WORD_0 src1_sel:DWORD
	v_mov_b32_e32 v85, 0x7c010000
	s_mov_b32 s26, exec_lo
	v_cmpx_ne_u32_e32 0x7f, v2
	s_cbranch_execz .LBB286_480
; %bb.477:                              ;   in Loop: Header=BB286_13 Depth=1
	v_mov_b32_e32 v0, 7
	v_lshrrev_b32_e32 v1, 3, v2
	s_mov_b32 s27, exec_lo
	v_and_b32_sdwa v0, v7, v0 dst_sel:DWORD dst_unused:UNUSED_PAD src0_sel:WORD_0 src1_sel:DWORD
	v_cmpx_gt_u32_e32 8, v2
; %bb.478:                              ;   in Loop: Header=BB286_13 Depth=1
	v_ffbh_u32_e32 v0, v0
	v_min_u32_e32 v2, 32, v0
	v_subrev_nc_u32_e32 v0, 28, v2
	v_lshlrev_b64 v[0:1], v0, v[7:8]
	v_sub_nc_u32_e32 v1, 29, v2
	v_and_b32_e32 v0, 7, v0
; %bb.479:                              ;   in Loop: Header=BB286_13 Depth=1
	s_or_b32 exec_lo, exec_lo, s27
	v_mov_b32_e32 v2, 8
	v_lshl_add_u32 v1, v1, 10, 0x2000
	v_lshlrev_b32_e32 v0, 23, v0
	v_lshlrev_b32_sdwa v2, v2, v7 dst_sel:DWORD dst_unused:UNUSED_PAD src0_sel:DWORD src1_sel:WORD_0
	v_and_or_b32 v1, 0x8000, v2, v1
	v_lshl_or_b32 v85, v1, 16, v0
.LBB286_480:                            ;   in Loop: Header=BB286_13 Depth=1
	s_or_b32 exec_lo, exec_lo, s26
.LBB286_481:                            ;   in Loop: Header=BB286_13 Depth=1
	s_or_b32 exec_lo, exec_lo, s25
.LBB286_482:                            ;   in Loop: Header=BB286_13 Depth=1
	s_or_b32 exec_lo, exec_lo, s24
	v_lshrrev_b32_e32 v7, 16, v9
	v_mov_b32_e32 v21, 0
	v_mov_b32_e32 v87, 0
	v_cmp_ne_u16_sdwa s6, v7, v8 src0_sel:BYTE_0 src1_sel:DWORD
	s_and_saveexec_b32 s24, s6
	s_cbranch_execz .LBB286_490
; %bb.483:                              ;   in Loop: Header=BB286_13 Depth=1
	v_cmp_ne_u16_sdwa s6, v7, v81 src0_sel:BYTE_0 src1_sel:DWORD
	v_mov_b32_e32 v87, 0x8000
	s_and_saveexec_b32 s25, s6
	s_cbranch_execz .LBB286_489
; %bb.484:                              ;   in Loop: Header=BB286_13 Depth=1
	v_bfe_u32 v2, v9, 16, 7
	v_mov_b32_e32 v87, 0x7c01
	s_mov_b32 s26, exec_lo
	v_cmpx_ne_u32_e32 0x7f, v2
	s_cbranch_execz .LBB286_488
; %bb.485:                              ;   in Loop: Header=BB286_13 Depth=1
	v_and_b32_e32 v0, 7, v7
	v_lshrrev_b32_e32 v1, 3, v2
	s_mov_b32 s27, exec_lo
	v_cmpx_gt_u32_e32 8, v2
; %bb.486:                              ;   in Loop: Header=BB286_13 Depth=1
	v_ffbh_u32_e32 v0, v0
	v_min_u32_e32 v2, 32, v0
	v_subrev_nc_u32_e32 v0, 28, v2
	v_lshlrev_b64 v[0:1], v0, v[7:8]
	v_sub_nc_u32_e32 v1, 29, v2
	v_and_b32_e32 v0, 7, v0
; %bb.487:                              ;   in Loop: Header=BB286_13 Depth=1
	s_or_b32 exec_lo, exec_lo, s27
	v_lshlrev_b32_e32 v2, 8, v7
	v_lshl_add_u32 v1, v1, 10, 0x2000
	v_lshlrev_b32_e32 v0, 7, v0
	v_and_b32_e32 v2, 0x8000, v2
	v_and_b32_e32 v1, 0xfc00, v1
	v_or3_b32 v87, v2, v1, v0
.LBB286_488:                            ;   in Loop: Header=BB286_13 Depth=1
	s_or_b32 exec_lo, exec_lo, s26
.LBB286_489:                            ;   in Loop: Header=BB286_13 Depth=1
	s_or_b32 exec_lo, exec_lo, s25
.LBB286_490:                            ;   in Loop: Header=BB286_13 Depth=1
	s_or_b32 exec_lo, exec_lo, s24
	s_mov_b32 s24, exec_lo
	v_cmpx_lt_u32_e32 0xffffff, v9
	s_cbranch_execz .LBB286_498
; %bb.491:                              ;   in Loop: Header=BB286_13 Depth=1
	v_lshrrev_b32_e32 v7, 24, v9
	v_bfrev_b32_e32 v21, 1
	s_mov_b32 s25, exec_lo
	v_cmpx_ne_u32_e32 0x80, v7
	s_cbranch_execz .LBB286_497
; %bb.492:                              ;   in Loop: Header=BB286_13 Depth=1
	v_and_b32_e32 v2, 0x7f, v7
	v_mov_b32_e32 v21, 0x7c010000
	s_mov_b32 s26, exec_lo
	v_cmpx_ne_u32_e32 0x7f, v2
	s_cbranch_execz .LBB286_496
; %bb.493:                              ;   in Loop: Header=BB286_13 Depth=1
	v_and_b32_e32 v0, 7, v7
	v_lshrrev_b32_e32 v1, 3, v2
	s_mov_b32 s27, exec_lo
	v_cmpx_gt_u32_e32 8, v2
; %bb.494:                              ;   in Loop: Header=BB286_13 Depth=1
	v_ffbh_u32_e32 v0, v0
	v_min_u32_e32 v2, 32, v0
	v_subrev_nc_u32_e32 v0, 28, v2
	v_lshlrev_b64 v[0:1], v0, v[7:8]
	v_sub_nc_u32_e32 v1, 29, v2
	v_and_b32_e32 v0, 7, v0
; %bb.495:                              ;   in Loop: Header=BB286_13 Depth=1
	s_or_b32 exec_lo, exec_lo, s27
	v_lshlrev_b32_e32 v2, 8, v7
	v_lshl_add_u32 v1, v1, 10, 0x2000
	v_lshlrev_b32_e32 v0, 23, v0
	v_and_or_b32 v1, 0x8000, v2, v1
	v_lshl_or_b32 v21, v1, 16, v0
.LBB286_496:                            ;   in Loop: Header=BB286_13 Depth=1
	s_or_b32 exec_lo, exec_lo, s26
.LBB286_497:                            ;   in Loop: Header=BB286_13 Depth=1
	s_or_b32 exec_lo, exec_lo, s25
.LBB286_498:                            ;   in Loop: Header=BB286_13 Depth=1
	s_or_b32 exec_lo, exec_lo, s24
	flat_load_dword v9, v[33:34] offset:1800
	v_mov_b32_e32 v13, 0
	v_mov_b32_e32 v20, 0
	s_waitcnt vmcnt(0) lgkmcnt(0)
	v_cmp_ne_u16_sdwa s6, v9, v8 src0_sel:BYTE_0 src1_sel:DWORD
	s_and_saveexec_b32 s24, s6
	s_cbranch_execz .LBB286_506
; %bb.499:                              ;   in Loop: Header=BB286_13 Depth=1
	v_cmp_ne_u16_sdwa s6, v9, v81 src0_sel:BYTE_0 src1_sel:DWORD
	v_mov_b32_e32 v20, 0x8000
	s_and_saveexec_b32 s25, s6
	s_cbranch_execz .LBB286_505
; %bb.500:                              ;   in Loop: Header=BB286_13 Depth=1
	v_and_b32_e32 v2, 0x7f, v9
	v_mov_b32_e32 v20, 0x7c01
	s_mov_b32 s26, exec_lo
	v_cmpx_ne_u32_e32 0x7f, v2
	s_cbranch_execz .LBB286_504
; %bb.501:                              ;   in Loop: Header=BB286_13 Depth=1
	v_and_b32_e32 v0, 7, v9
	v_lshrrev_b32_e32 v1, 3, v2
	s_mov_b32 s27, exec_lo
	v_cmpx_gt_u32_e32 8, v2
; %bb.502:                              ;   in Loop: Header=BB286_13 Depth=1
	v_ffbh_u32_e32 v0, v0
	v_min_u32_e32 v2, 32, v0
	v_subrev_nc_u32_e32 v0, 28, v2
	v_lshlrev_b64 v[0:1], v0, v[9:10]
	v_sub_nc_u32_e32 v1, 29, v2
	v_and_b32_e32 v0, 7, v0
; %bb.503:                              ;   in Loop: Header=BB286_13 Depth=1
	s_or_b32 exec_lo, exec_lo, s27
	v_lshlrev_b32_e32 v2, 8, v9
	v_lshl_add_u32 v1, v1, 10, 0x2000
	v_lshlrev_b32_e32 v0, 7, v0
	v_and_b32_e32 v2, 0x8000, v2
	v_and_b32_e32 v1, 0xfc00, v1
	v_or3_b32 v20, v2, v1, v0
.LBB286_504:                            ;   in Loop: Header=BB286_13 Depth=1
	s_or_b32 exec_lo, exec_lo, s26
.LBB286_505:                            ;   in Loop: Header=BB286_13 Depth=1
	s_or_b32 exec_lo, exec_lo, s25
.LBB286_506:                            ;   in Loop: Header=BB286_13 Depth=1
	s_or_b32 exec_lo, exec_lo, s24
	v_lshrrev_b16 v7, 8, v9
	s_mov_b32 s24, exec_lo
	v_cmpx_ne_u16_e32 0, v7
	s_cbranch_execz .LBB286_514
; %bb.507:                              ;   in Loop: Header=BB286_13 Depth=1
	v_bfrev_b32_e32 v13, 1
	s_mov_b32 s25, exec_lo
	v_cmpx_ne_u16_e32 0x80, v7
	s_cbranch_execz .LBB286_513
; %bb.508:                              ;   in Loop: Header=BB286_13 Depth=1
	v_and_b32_sdwa v2, v7, v82 dst_sel:DWORD dst_unused:UNUSED_PAD src0_sel:WORD_0 src1_sel:DWORD
	v_mov_b32_e32 v13, 0x7c010000
	s_mov_b32 s26, exec_lo
	v_cmpx_ne_u32_e32 0x7f, v2
	s_cbranch_execz .LBB286_512
; %bb.509:                              ;   in Loop: Header=BB286_13 Depth=1
	v_mov_b32_e32 v0, 7
	v_lshrrev_b32_e32 v1, 3, v2
	s_mov_b32 s27, exec_lo
	v_and_b32_sdwa v0, v7, v0 dst_sel:DWORD dst_unused:UNUSED_PAD src0_sel:WORD_0 src1_sel:DWORD
	v_cmpx_gt_u32_e32 8, v2
; %bb.510:                              ;   in Loop: Header=BB286_13 Depth=1
	v_ffbh_u32_e32 v0, v0
	v_min_u32_e32 v2, 32, v0
	v_subrev_nc_u32_e32 v0, 28, v2
	v_lshlrev_b64 v[0:1], v0, v[7:8]
	v_sub_nc_u32_e32 v1, 29, v2
	v_and_b32_e32 v0, 7, v0
; %bb.511:                              ;   in Loop: Header=BB286_13 Depth=1
	s_or_b32 exec_lo, exec_lo, s27
	v_mov_b32_e32 v2, 8
	v_lshl_add_u32 v1, v1, 10, 0x2000
	v_lshlrev_b32_e32 v0, 23, v0
	v_lshlrev_b32_sdwa v2, v2, v7 dst_sel:DWORD dst_unused:UNUSED_PAD src0_sel:DWORD src1_sel:WORD_0
	v_and_or_b32 v1, 0x8000, v2, v1
	v_lshl_or_b32 v13, v1, 16, v0
.LBB286_512:                            ;   in Loop: Header=BB286_13 Depth=1
	s_or_b32 exec_lo, exec_lo, s26
.LBB286_513:                            ;   in Loop: Header=BB286_13 Depth=1
	s_or_b32 exec_lo, exec_lo, s25
.LBB286_514:                            ;   in Loop: Header=BB286_13 Depth=1
	s_or_b32 exec_lo, exec_lo, s24
	v_lshrrev_b32_e32 v7, 16, v9
	v_mov_b32_e32 v22, 0
	v_mov_b32_e32 v34, 0
	v_cmp_ne_u16_sdwa s6, v7, v8 src0_sel:BYTE_0 src1_sel:DWORD
	s_and_saveexec_b32 s24, s6
	s_cbranch_execz .LBB286_522
; %bb.515:                              ;   in Loop: Header=BB286_13 Depth=1
	v_cmp_ne_u16_sdwa s6, v7, v81 src0_sel:BYTE_0 src1_sel:DWORD
	v_mov_b32_e32 v34, 0x8000
	s_and_saveexec_b32 s25, s6
	s_cbranch_execz .LBB286_521
; %bb.516:                              ;   in Loop: Header=BB286_13 Depth=1
	v_bfe_u32 v2, v9, 16, 7
	v_mov_b32_e32 v34, 0x7c01
	s_mov_b32 s26, exec_lo
	v_cmpx_ne_u32_e32 0x7f, v2
	s_cbranch_execz .LBB286_520
; %bb.517:                              ;   in Loop: Header=BB286_13 Depth=1
	v_and_b32_e32 v0, 7, v7
	v_lshrrev_b32_e32 v1, 3, v2
	s_mov_b32 s27, exec_lo
	v_cmpx_gt_u32_e32 8, v2
; %bb.518:                              ;   in Loop: Header=BB286_13 Depth=1
	v_ffbh_u32_e32 v0, v0
	v_min_u32_e32 v2, 32, v0
	v_subrev_nc_u32_e32 v0, 28, v2
	v_lshlrev_b64 v[0:1], v0, v[7:8]
	v_sub_nc_u32_e32 v1, 29, v2
	v_and_b32_e32 v0, 7, v0
; %bb.519:                              ;   in Loop: Header=BB286_13 Depth=1
	s_or_b32 exec_lo, exec_lo, s27
	v_lshlrev_b32_e32 v2, 8, v7
	v_lshl_add_u32 v1, v1, 10, 0x2000
	v_lshlrev_b32_e32 v0, 7, v0
	v_and_b32_e32 v2, 0x8000, v2
	v_and_b32_e32 v1, 0xfc00, v1
	v_or3_b32 v34, v2, v1, v0
.LBB286_520:                            ;   in Loop: Header=BB286_13 Depth=1
	s_or_b32 exec_lo, exec_lo, s26
.LBB286_521:                            ;   in Loop: Header=BB286_13 Depth=1
	s_or_b32 exec_lo, exec_lo, s25
.LBB286_522:                            ;   in Loop: Header=BB286_13 Depth=1
	s_or_b32 exec_lo, exec_lo, s24
	s_mov_b32 s24, exec_lo
	v_cmpx_lt_u32_e32 0xffffff, v9
	s_cbranch_execz .LBB286_530
; %bb.523:                              ;   in Loop: Header=BB286_13 Depth=1
	v_lshrrev_b32_e32 v7, 24, v9
	v_bfrev_b32_e32 v22, 1
	s_mov_b32 s25, exec_lo
	v_cmpx_ne_u32_e32 0x80, v7
	s_cbranch_execz .LBB286_529
; %bb.524:                              ;   in Loop: Header=BB286_13 Depth=1
	v_and_b32_e32 v2, 0x7f, v7
	v_mov_b32_e32 v22, 0x7c010000
	s_mov_b32 s26, exec_lo
	v_cmpx_ne_u32_e32 0x7f, v2
	s_cbranch_execz .LBB286_528
; %bb.525:                              ;   in Loop: Header=BB286_13 Depth=1
	v_and_b32_e32 v0, 7, v7
	v_lshrrev_b32_e32 v1, 3, v2
	s_mov_b32 s27, exec_lo
	v_cmpx_gt_u32_e32 8, v2
; %bb.526:                              ;   in Loop: Header=BB286_13 Depth=1
	v_ffbh_u32_e32 v0, v0
	v_min_u32_e32 v2, 32, v0
	v_subrev_nc_u32_e32 v0, 28, v2
	v_lshlrev_b64 v[0:1], v0, v[7:8]
	v_sub_nc_u32_e32 v1, 29, v2
	v_and_b32_e32 v0, 7, v0
; %bb.527:                              ;   in Loop: Header=BB286_13 Depth=1
	s_or_b32 exec_lo, exec_lo, s27
	v_lshlrev_b32_e32 v2, 8, v7
	v_lshl_add_u32 v1, v1, 10, 0x2000
	v_lshlrev_b32_e32 v0, 23, v0
	v_and_or_b32 v1, 0x8000, v2, v1
	v_lshl_or_b32 v22, v1, 16, v0
.LBB286_528:                            ;   in Loop: Header=BB286_13 Depth=1
	s_or_b32 exec_lo, exec_lo, s26
.LBB286_529:                            ;   in Loop: Header=BB286_13 Depth=1
	s_or_b32 exec_lo, exec_lo, s25
.LBB286_530:                            ;   in Loop: Header=BB286_13 Depth=1
	s_or_b32 exec_lo, exec_lo, s24
	v_add_co_u32 v0, s6, 0x800, v31
	v_add_co_ci_u32_e64 v1, null, 0, v32, s6
	v_mov_b32_e32 v12, 0
	v_add_co_u32 v2, s6, v0, v69
	v_add_co_ci_u32_e64 v3, null, 0, v1, s6
	v_mov_b32_e32 v14, 0
	flat_load_dword v9, v[2:3]
	s_waitcnt vmcnt(0) lgkmcnt(0)
	v_cmp_ne_u16_sdwa s6, v9, v8 src0_sel:BYTE_0 src1_sel:DWORD
	s_and_saveexec_b32 s24, s6
	s_cbranch_execz .LBB286_538
; %bb.531:                              ;   in Loop: Header=BB286_13 Depth=1
	v_cmp_ne_u16_sdwa s6, v9, v81 src0_sel:BYTE_0 src1_sel:DWORD
	v_mov_b32_e32 v14, 0x8000
	s_and_saveexec_b32 s25, s6
	s_cbranch_execz .LBB286_537
; %bb.532:                              ;   in Loop: Header=BB286_13 Depth=1
	v_and_b32_e32 v4, 0x7f, v9
	v_mov_b32_e32 v14, 0x7c01
	s_mov_b32 s26, exec_lo
	v_cmpx_ne_u32_e32 0x7f, v4
	s_cbranch_execz .LBB286_536
; %bb.533:                              ;   in Loop: Header=BB286_13 Depth=1
	v_and_b32_e32 v2, 7, v9
	v_lshrrev_b32_e32 v3, 3, v4
	s_mov_b32 s27, exec_lo
	v_cmpx_gt_u32_e32 8, v4
; %bb.534:                              ;   in Loop: Header=BB286_13 Depth=1
	v_ffbh_u32_e32 v2, v2
	v_min_u32_e32 v4, 32, v2
	v_subrev_nc_u32_e32 v2, 28, v4
	v_lshlrev_b64 v[2:3], v2, v[9:10]
	v_sub_nc_u32_e32 v3, 29, v4
	v_and_b32_e32 v2, 7, v2
; %bb.535:                              ;   in Loop: Header=BB286_13 Depth=1
	s_or_b32 exec_lo, exec_lo, s27
	v_lshlrev_b32_e32 v4, 8, v9
	v_lshl_add_u32 v3, v3, 10, 0x2000
	v_lshlrev_b32_e32 v2, 7, v2
	v_and_b32_e32 v4, 0x8000, v4
	v_and_b32_e32 v3, 0xfc00, v3
	v_or3_b32 v14, v4, v3, v2
.LBB286_536:                            ;   in Loop: Header=BB286_13 Depth=1
	s_or_b32 exec_lo, exec_lo, s26
.LBB286_537:                            ;   in Loop: Header=BB286_13 Depth=1
	s_or_b32 exec_lo, exec_lo, s25
.LBB286_538:                            ;   in Loop: Header=BB286_13 Depth=1
	s_or_b32 exec_lo, exec_lo, s24
	v_lshrrev_b16 v7, 8, v9
	s_mov_b32 s24, exec_lo
	v_cmpx_ne_u16_e32 0, v7
	s_cbranch_execz .LBB286_546
; %bb.539:                              ;   in Loop: Header=BB286_13 Depth=1
	v_bfrev_b32_e32 v12, 1
	s_mov_b32 s25, exec_lo
	v_cmpx_ne_u16_e32 0x80, v7
	s_cbranch_execz .LBB286_545
; %bb.540:                              ;   in Loop: Header=BB286_13 Depth=1
	v_and_b32_sdwa v4, v7, v82 dst_sel:DWORD dst_unused:UNUSED_PAD src0_sel:WORD_0 src1_sel:DWORD
	v_mov_b32_e32 v12, 0x7c010000
	s_mov_b32 s26, exec_lo
	v_cmpx_ne_u32_e32 0x7f, v4
	s_cbranch_execz .LBB286_544
; %bb.541:                              ;   in Loop: Header=BB286_13 Depth=1
	v_mov_b32_e32 v2, 7
	v_lshrrev_b32_e32 v3, 3, v4
	s_mov_b32 s27, exec_lo
	v_and_b32_sdwa v2, v7, v2 dst_sel:DWORD dst_unused:UNUSED_PAD src0_sel:WORD_0 src1_sel:DWORD
	v_cmpx_gt_u32_e32 8, v4
; %bb.542:                              ;   in Loop: Header=BB286_13 Depth=1
	v_ffbh_u32_e32 v2, v2
	v_min_u32_e32 v4, 32, v2
	v_subrev_nc_u32_e32 v2, 28, v4
	v_lshlrev_b64 v[2:3], v2, v[7:8]
	v_sub_nc_u32_e32 v3, 29, v4
	v_and_b32_e32 v2, 7, v2
; %bb.543:                              ;   in Loop: Header=BB286_13 Depth=1
	s_or_b32 exec_lo, exec_lo, s27
	v_mov_b32_e32 v4, 8
	v_lshl_add_u32 v3, v3, 10, 0x2000
	v_lshlrev_b32_e32 v2, 23, v2
	v_lshlrev_b32_sdwa v4, v4, v7 dst_sel:DWORD dst_unused:UNUSED_PAD src0_sel:DWORD src1_sel:WORD_0
	v_and_or_b32 v3, 0x8000, v4, v3
	v_lshl_or_b32 v12, v3, 16, v2
.LBB286_544:                            ;   in Loop: Header=BB286_13 Depth=1
	s_or_b32 exec_lo, exec_lo, s26
.LBB286_545:                            ;   in Loop: Header=BB286_13 Depth=1
	s_or_b32 exec_lo, exec_lo, s25
.LBB286_546:                            ;   in Loop: Header=BB286_13 Depth=1
	s_or_b32 exec_lo, exec_lo, s24
	v_lshrrev_b32_e32 v7, 16, v9
	v_mov_b32_e32 v25, 0
	v_mov_b32_e32 v15, 0
	v_cmp_ne_u16_sdwa s6, v7, v8 src0_sel:BYTE_0 src1_sel:DWORD
	s_and_saveexec_b32 s24, s6
	s_cbranch_execz .LBB286_554
; %bb.547:                              ;   in Loop: Header=BB286_13 Depth=1
	v_cmp_ne_u16_sdwa s6, v7, v81 src0_sel:BYTE_0 src1_sel:DWORD
	v_mov_b32_e32 v15, 0x8000
	s_and_saveexec_b32 s25, s6
	s_cbranch_execz .LBB286_553
; %bb.548:                              ;   in Loop: Header=BB286_13 Depth=1
	v_bfe_u32 v4, v9, 16, 7
	v_mov_b32_e32 v15, 0x7c01
	s_mov_b32 s26, exec_lo
	v_cmpx_ne_u32_e32 0x7f, v4
	s_cbranch_execz .LBB286_552
; %bb.549:                              ;   in Loop: Header=BB286_13 Depth=1
	v_and_b32_e32 v2, 7, v7
	v_lshrrev_b32_e32 v3, 3, v4
	s_mov_b32 s27, exec_lo
	v_cmpx_gt_u32_e32 8, v4
; %bb.550:                              ;   in Loop: Header=BB286_13 Depth=1
	v_ffbh_u32_e32 v2, v2
	v_min_u32_e32 v4, 32, v2
	v_subrev_nc_u32_e32 v2, 28, v4
	v_lshlrev_b64 v[2:3], v2, v[7:8]
	v_sub_nc_u32_e32 v3, 29, v4
	v_and_b32_e32 v2, 7, v2
; %bb.551:                              ;   in Loop: Header=BB286_13 Depth=1
	s_or_b32 exec_lo, exec_lo, s27
	v_lshlrev_b32_e32 v4, 8, v7
	v_lshl_add_u32 v3, v3, 10, 0x2000
	v_lshlrev_b32_e32 v2, 7, v2
	v_and_b32_e32 v4, 0x8000, v4
	v_and_b32_e32 v3, 0xfc00, v3
	v_or3_b32 v15, v4, v3, v2
.LBB286_552:                            ;   in Loop: Header=BB286_13 Depth=1
	s_or_b32 exec_lo, exec_lo, s26
.LBB286_553:                            ;   in Loop: Header=BB286_13 Depth=1
	s_or_b32 exec_lo, exec_lo, s25
.LBB286_554:                            ;   in Loop: Header=BB286_13 Depth=1
	s_or_b32 exec_lo, exec_lo, s24
	s_mov_b32 s24, exec_lo
	v_cmpx_lt_u32_e32 0xffffff, v9
	s_cbranch_execz .LBB286_562
; %bb.555:                              ;   in Loop: Header=BB286_13 Depth=1
	v_lshrrev_b32_e32 v7, 24, v9
	v_bfrev_b32_e32 v25, 1
	s_mov_b32 s25, exec_lo
	v_cmpx_ne_u32_e32 0x80, v7
	s_cbranch_execz .LBB286_561
; %bb.556:                              ;   in Loop: Header=BB286_13 Depth=1
	v_and_b32_e32 v4, 0x7f, v7
	v_mov_b32_e32 v25, 0x7c010000
	s_mov_b32 s26, exec_lo
	v_cmpx_ne_u32_e32 0x7f, v4
	s_cbranch_execz .LBB286_560
; %bb.557:                              ;   in Loop: Header=BB286_13 Depth=1
	v_and_b32_e32 v2, 7, v7
	v_lshrrev_b32_e32 v3, 3, v4
	s_mov_b32 s27, exec_lo
	v_cmpx_gt_u32_e32 8, v4
; %bb.558:                              ;   in Loop: Header=BB286_13 Depth=1
	v_ffbh_u32_e32 v2, v2
	v_min_u32_e32 v4, 32, v2
	v_subrev_nc_u32_e32 v2, 28, v4
	v_lshlrev_b64 v[2:3], v2, v[7:8]
	v_sub_nc_u32_e32 v3, 29, v4
	v_and_b32_e32 v2, 7, v2
; %bb.559:                              ;   in Loop: Header=BB286_13 Depth=1
	s_or_b32 exec_lo, exec_lo, s27
	v_lshlrev_b32_e32 v4, 8, v7
	v_lshl_add_u32 v3, v3, 10, 0x2000
	v_lshlrev_b32_e32 v2, 23, v2
	v_and_or_b32 v3, 0x8000, v4, v3
	v_lshl_or_b32 v25, v3, 16, v2
.LBB286_560:                            ;   in Loop: Header=BB286_13 Depth=1
	s_or_b32 exec_lo, exec_lo, s26
.LBB286_561:                            ;   in Loop: Header=BB286_13 Depth=1
	s_or_b32 exec_lo, exec_lo, s25
.LBB286_562:                            ;   in Loop: Header=BB286_13 Depth=1
	s_or_b32 exec_lo, exec_lo, s24
	v_or_b32_e32 v2, 8, v69
	v_add_co_u32 v0, s6, v0, v2
	v_add_co_ci_u32_e64 v1, null, 0, v1, s6
	flat_load_dword v9, v[0:1]
	v_mov_b32_e32 v0, 0
	v_mov_b32_e32 v1, 0
	s_waitcnt vmcnt(0) lgkmcnt(0)
	v_cmp_ne_u16_sdwa s6, v9, v8 src0_sel:BYTE_0 src1_sel:DWORD
	s_and_saveexec_b32 s24, s6
	s_cbranch_execz .LBB286_570
; %bb.563:                              ;   in Loop: Header=BB286_13 Depth=1
	v_cmp_ne_u16_sdwa s6, v9, v81 src0_sel:BYTE_0 src1_sel:DWORD
	v_mov_b32_e32 v1, 0x8000
	s_and_saveexec_b32 s25, s6
	s_cbranch_execz .LBB286_569
; %bb.564:                              ;   in Loop: Header=BB286_13 Depth=1
	v_and_b32_e32 v3, 0x7f, v9
	v_mov_b32_e32 v1, 0x7c01
	s_mov_b32 s26, exec_lo
	v_cmpx_ne_u32_e32 0x7f, v3
	s_cbranch_execz .LBB286_568
; %bb.565:                              ;   in Loop: Header=BB286_13 Depth=1
	v_and_b32_e32 v1, 7, v9
	v_lshrrev_b32_e32 v2, 3, v3
	s_mov_b32 s27, exec_lo
	v_cmpx_gt_u32_e32 8, v3
; %bb.566:                              ;   in Loop: Header=BB286_13 Depth=1
	v_ffbh_u32_e32 v1, v1
	v_min_u32_e32 v3, 32, v1
	v_subrev_nc_u32_e32 v1, 28, v3
	v_lshlrev_b64 v[1:2], v1, v[9:10]
	v_sub_nc_u32_e32 v2, 29, v3
	v_and_b32_e32 v1, 7, v1
; %bb.567:                              ;   in Loop: Header=BB286_13 Depth=1
	s_or_b32 exec_lo, exec_lo, s27
	v_lshlrev_b32_e32 v3, 8, v9
	v_lshl_add_u32 v2, v2, 10, 0x2000
	v_lshlrev_b32_e32 v1, 7, v1
	v_and_b32_e32 v3, 0x8000, v3
	v_and_b32_e32 v2, 0xfc00, v2
	v_or3_b32 v1, v3, v2, v1
.LBB286_568:                            ;   in Loop: Header=BB286_13 Depth=1
	s_or_b32 exec_lo, exec_lo, s26
.LBB286_569:                            ;   in Loop: Header=BB286_13 Depth=1
	s_or_b32 exec_lo, exec_lo, s25
.LBB286_570:                            ;   in Loop: Header=BB286_13 Depth=1
	s_or_b32 exec_lo, exec_lo, s24
	v_lshrrev_b16 v7, 8, v9
	s_mov_b32 s24, exec_lo
	v_cmpx_ne_u16_e32 0, v7
	s_cbranch_execz .LBB286_578
; %bb.571:                              ;   in Loop: Header=BB286_13 Depth=1
	v_bfrev_b32_e32 v0, 1
	s_mov_b32 s25, exec_lo
	v_cmpx_ne_u16_e32 0x80, v7
	s_cbranch_execz .LBB286_577
; %bb.572:                              ;   in Loop: Header=BB286_13 Depth=1
	v_and_b32_sdwa v3, v7, v82 dst_sel:DWORD dst_unused:UNUSED_PAD src0_sel:WORD_0 src1_sel:DWORD
	v_mov_b32_e32 v0, 0x7c010000
	s_mov_b32 s26, exec_lo
	v_cmpx_ne_u32_e32 0x7f, v3
	s_cbranch_execz .LBB286_576
; %bb.573:                              ;   in Loop: Header=BB286_13 Depth=1
	v_mov_b32_e32 v0, 7
	v_lshrrev_b32_e32 v2, 3, v3
	s_mov_b32 s27, exec_lo
	v_and_b32_sdwa v0, v7, v0 dst_sel:DWORD dst_unused:UNUSED_PAD src0_sel:WORD_0 src1_sel:DWORD
	v_cmpx_gt_u32_e32 8, v3
; %bb.574:                              ;   in Loop: Header=BB286_13 Depth=1
	v_ffbh_u32_e32 v0, v0
	v_min_u32_e32 v0, 32, v0
	v_subrev_nc_u32_e32 v2, 28, v0
	v_lshlrev_b64 v[3:4], v2, v[7:8]
	v_sub_nc_u32_e32 v2, 29, v0
	v_and_b32_e32 v0, 7, v3
; %bb.575:                              ;   in Loop: Header=BB286_13 Depth=1
	s_or_b32 exec_lo, exec_lo, s27
	v_mov_b32_e32 v3, 8
	v_lshl_add_u32 v2, v2, 10, 0x2000
	v_lshlrev_b32_e32 v0, 23, v0
	v_lshlrev_b32_sdwa v3, v3, v7 dst_sel:DWORD dst_unused:UNUSED_PAD src0_sel:DWORD src1_sel:WORD_0
	v_and_or_b32 v2, 0x8000, v3, v2
	v_lshl_or_b32 v0, v2, 16, v0
.LBB286_576:                            ;   in Loop: Header=BB286_13 Depth=1
	s_or_b32 exec_lo, exec_lo, s26
.LBB286_577:                            ;   in Loop: Header=BB286_13 Depth=1
	s_or_b32 exec_lo, exec_lo, s25
.LBB286_578:                            ;   in Loop: Header=BB286_13 Depth=1
	s_or_b32 exec_lo, exec_lo, s24
	v_lshrrev_b32_e32 v7, 16, v9
	v_mov_b32_e32 v36, 0
	v_mov_b32_e32 v65, 0
	v_cmp_ne_u16_sdwa s6, v7, v8 src0_sel:BYTE_0 src1_sel:DWORD
	s_and_saveexec_b32 s24, s6
	s_cbranch_execz .LBB286_586
; %bb.579:                              ;   in Loop: Header=BB286_13 Depth=1
	v_cmp_ne_u16_sdwa s6, v7, v81 src0_sel:BYTE_0 src1_sel:DWORD
	v_mov_b32_e32 v65, 0x8000
	s_and_saveexec_b32 s25, s6
	s_cbranch_execz .LBB286_585
; %bb.580:                              ;   in Loop: Header=BB286_13 Depth=1
	v_bfe_u32 v4, v9, 16, 7
	v_mov_b32_e32 v65, 0x7c01
	s_mov_b32 s26, exec_lo
	v_cmpx_ne_u32_e32 0x7f, v4
	s_cbranch_execz .LBB286_584
; %bb.581:                              ;   in Loop: Header=BB286_13 Depth=1
	v_and_b32_e32 v2, 7, v7
	v_lshrrev_b32_e32 v3, 3, v4
	s_mov_b32 s27, exec_lo
	v_cmpx_gt_u32_e32 8, v4
; %bb.582:                              ;   in Loop: Header=BB286_13 Depth=1
	v_ffbh_u32_e32 v2, v2
	v_min_u32_e32 v4, 32, v2
	v_subrev_nc_u32_e32 v2, 28, v4
	v_lshlrev_b64 v[2:3], v2, v[7:8]
	v_sub_nc_u32_e32 v3, 29, v4
	v_and_b32_e32 v2, 7, v2
; %bb.583:                              ;   in Loop: Header=BB286_13 Depth=1
	s_or_b32 exec_lo, exec_lo, s27
	v_lshlrev_b32_e32 v4, 8, v7
	v_lshl_add_u32 v3, v3, 10, 0x2000
	v_lshlrev_b32_e32 v2, 7, v2
	v_and_b32_e32 v4, 0x8000, v4
	v_and_b32_e32 v3, 0xfc00, v3
	v_or3_b32 v65, v4, v3, v2
.LBB286_584:                            ;   in Loop: Header=BB286_13 Depth=1
	s_or_b32 exec_lo, exec_lo, s26
.LBB286_585:                            ;   in Loop: Header=BB286_13 Depth=1
	s_or_b32 exec_lo, exec_lo, s25
.LBB286_586:                            ;   in Loop: Header=BB286_13 Depth=1
	s_or_b32 exec_lo, exec_lo, s24
	s_mov_b32 s24, exec_lo
	v_cmpx_lt_u32_e32 0xffffff, v9
	s_cbranch_execz .LBB286_594
; %bb.587:                              ;   in Loop: Header=BB286_13 Depth=1
	v_lshrrev_b32_e32 v7, 24, v9
	v_bfrev_b32_e32 v36, 1
	s_mov_b32 s25, exec_lo
	v_cmpx_ne_u32_e32 0x80, v7
	s_cbranch_execz .LBB286_593
; %bb.588:                              ;   in Loop: Header=BB286_13 Depth=1
	v_and_b32_e32 v4, 0x7f, v7
	v_mov_b32_e32 v36, 0x7c010000
	s_mov_b32 s26, exec_lo
	v_cmpx_ne_u32_e32 0x7f, v4
	s_cbranch_execz .LBB286_592
; %bb.589:                              ;   in Loop: Header=BB286_13 Depth=1
	v_and_b32_e32 v2, 7, v7
	v_lshrrev_b32_e32 v3, 3, v4
	s_mov_b32 s27, exec_lo
	v_cmpx_gt_u32_e32 8, v4
; %bb.590:                              ;   in Loop: Header=BB286_13 Depth=1
	v_ffbh_u32_e32 v2, v2
	v_min_u32_e32 v4, 32, v2
	v_subrev_nc_u32_e32 v2, 28, v4
	v_lshlrev_b64 v[2:3], v2, v[7:8]
	v_sub_nc_u32_e32 v3, 29, v4
	v_and_b32_e32 v2, 7, v2
; %bb.591:                              ;   in Loop: Header=BB286_13 Depth=1
	s_or_b32 exec_lo, exec_lo, s27
	v_lshlrev_b32_e32 v4, 8, v7
	v_lshl_add_u32 v3, v3, 10, 0x2000
	v_lshlrev_b32_e32 v2, 23, v2
	v_and_or_b32 v3, 0x8000, v4, v3
	v_lshl_or_b32 v36, v3, 16, v2
.LBB286_592:                            ;   in Loop: Header=BB286_13 Depth=1
	s_or_b32 exec_lo, exec_lo, s26
.LBB286_593:                            ;   in Loop: Header=BB286_13 Depth=1
	s_or_b32 exec_lo, exec_lo, s25
.LBB286_594:                            ;   in Loop: Header=BB286_13 Depth=1
	s_or_b32 exec_lo, exec_lo, s24
	v_add_co_u32 v24, s6, 0x900, v31
	v_add_co_ci_u32_e64 v33, null, 0, v32, s6
	v_add_co_u32 v2, s6, v24, v69
	v_add_co_ci_u32_e64 v3, null, 0, v33, s6
	flat_load_dword v9, v[2:3]
	v_mov_b32_e32 v2, 0
	v_mov_b32_e32 v3, 0
	s_waitcnt vmcnt(0) lgkmcnt(0)
	v_cmp_ne_u16_sdwa s6, v9, v8 src0_sel:BYTE_0 src1_sel:DWORD
	s_and_saveexec_b32 s24, s6
	s_cbranch_execz .LBB286_602
; %bb.595:                              ;   in Loop: Header=BB286_13 Depth=1
	v_cmp_ne_u16_sdwa s6, v9, v81 src0_sel:BYTE_0 src1_sel:DWORD
	v_mov_b32_e32 v3, 0x8000
	s_and_saveexec_b32 s25, s6
	s_cbranch_execz .LBB286_601
; %bb.596:                              ;   in Loop: Header=BB286_13 Depth=1
	v_and_b32_e32 v6, 0x7f, v9
	v_mov_b32_e32 v3, 0x7c01
	s_mov_b32 s26, exec_lo
	v_cmpx_ne_u32_e32 0x7f, v6
	s_cbranch_execz .LBB286_600
; %bb.597:                              ;   in Loop: Header=BB286_13 Depth=1
	v_and_b32_e32 v3, 7, v9
	v_lshrrev_b32_e32 v4, 3, v6
	s_mov_b32 s27, exec_lo
	v_cmpx_gt_u32_e32 8, v6
; %bb.598:                              ;   in Loop: Header=BB286_13 Depth=1
	v_ffbh_u32_e32 v3, v3
	v_min_u32_e32 v6, 32, v3
	v_subrev_nc_u32_e32 v3, 28, v6
	v_lshlrev_b64 v[3:4], v3, v[9:10]
	v_sub_nc_u32_e32 v4, 29, v6
	v_and_b32_e32 v3, 7, v3
; %bb.599:                              ;   in Loop: Header=BB286_13 Depth=1
	s_or_b32 exec_lo, exec_lo, s27
	v_lshlrev_b32_e32 v6, 8, v9
	v_lshl_add_u32 v4, v4, 10, 0x2000
	v_lshlrev_b32_e32 v3, 7, v3
	v_and_b32_e32 v6, 0x8000, v6
	v_and_b32_e32 v4, 0xfc00, v4
	v_or3_b32 v3, v6, v4, v3
.LBB286_600:                            ;   in Loop: Header=BB286_13 Depth=1
	s_or_b32 exec_lo, exec_lo, s26
.LBB286_601:                            ;   in Loop: Header=BB286_13 Depth=1
	s_or_b32 exec_lo, exec_lo, s25
.LBB286_602:                            ;   in Loop: Header=BB286_13 Depth=1
	s_or_b32 exec_lo, exec_lo, s24
	v_lshrrev_b16 v7, 8, v9
	s_mov_b32 s24, exec_lo
	v_cmpx_ne_u16_e32 0, v7
	s_cbranch_execz .LBB286_610
; %bb.603:                              ;   in Loop: Header=BB286_13 Depth=1
	v_bfrev_b32_e32 v2, 1
	s_mov_b32 s25, exec_lo
	v_cmpx_ne_u16_e32 0x80, v7
	s_cbranch_execz .LBB286_609
; %bb.604:                              ;   in Loop: Header=BB286_13 Depth=1
	v_and_b32_sdwa v6, v7, v82 dst_sel:DWORD dst_unused:UNUSED_PAD src0_sel:WORD_0 src1_sel:DWORD
	v_mov_b32_e32 v2, 0x7c010000
	s_mov_b32 s26, exec_lo
	v_cmpx_ne_u32_e32 0x7f, v6
	s_cbranch_execz .LBB286_608
; %bb.605:                              ;   in Loop: Header=BB286_13 Depth=1
	v_mov_b32_e32 v2, 7
	v_lshrrev_b32_e32 v4, 3, v6
	s_mov_b32 s27, exec_lo
	v_and_b32_sdwa v2, v7, v2 dst_sel:DWORD dst_unused:UNUSED_PAD src0_sel:WORD_0 src1_sel:DWORD
	v_cmpx_gt_u32_e32 8, v6
; %bb.606:                              ;   in Loop: Header=BB286_13 Depth=1
	v_ffbh_u32_e32 v2, v2
	v_min_u32_e32 v2, 32, v2
	v_subrev_nc_u32_e32 v4, 28, v2
	v_lshlrev_b64 v[53:54], v4, v[7:8]
	v_sub_nc_u32_e32 v4, 29, v2
	v_and_b32_e32 v2, 7, v53
; %bb.607:                              ;   in Loop: Header=BB286_13 Depth=1
	s_or_b32 exec_lo, exec_lo, s27
	v_mov_b32_e32 v6, 8
	v_lshl_add_u32 v4, v4, 10, 0x2000
	v_lshlrev_b32_e32 v2, 23, v2
	v_lshlrev_b32_sdwa v6, v6, v7 dst_sel:DWORD dst_unused:UNUSED_PAD src0_sel:DWORD src1_sel:WORD_0
	v_and_or_b32 v4, 0x8000, v6, v4
	v_lshl_or_b32 v2, v4, 16, v2
.LBB286_608:                            ;   in Loop: Header=BB286_13 Depth=1
	s_or_b32 exec_lo, exec_lo, s26
.LBB286_609:                            ;   in Loop: Header=BB286_13 Depth=1
	s_or_b32 exec_lo, exec_lo, s25
.LBB286_610:                            ;   in Loop: Header=BB286_13 Depth=1
	s_or_b32 exec_lo, exec_lo, s24
	v_lshrrev_b32_e32 v7, 16, v9
	v_mov_b32_e32 v4, 0
	v_mov_b32_e32 v64, 0
	v_cmp_ne_u16_sdwa s6, v7, v8 src0_sel:BYTE_0 src1_sel:DWORD
	s_and_saveexec_b32 s24, s6
	s_cbranch_execz .LBB286_618
; %bb.611:                              ;   in Loop: Header=BB286_13 Depth=1
	v_cmp_ne_u16_sdwa s6, v7, v81 src0_sel:BYTE_0 src1_sel:DWORD
	v_mov_b32_e32 v64, 0x8000
	s_and_saveexec_b32 s25, s6
	s_cbranch_execz .LBB286_617
; %bb.612:                              ;   in Loop: Header=BB286_13 Depth=1
	v_bfe_u32 v37, v9, 16, 7
	v_mov_b32_e32 v64, 0x7c01
	s_mov_b32 s26, exec_lo
	v_cmpx_ne_u32_e32 0x7f, v37
	s_cbranch_execz .LBB286_616
; %bb.613:                              ;   in Loop: Header=BB286_13 Depth=1
	v_and_b32_e32 v6, 7, v7
	v_lshrrev_b32_e32 v35, 3, v37
	s_mov_b32 s27, exec_lo
	v_cmpx_gt_u32_e32 8, v37
; %bb.614:                              ;   in Loop: Header=BB286_13 Depth=1
	v_ffbh_u32_e32 v6, v6
	v_min_u32_e32 v6, 32, v6
	v_subrev_nc_u32_e32 v35, 28, v6
	v_lshlrev_b64 v[53:54], v35, v[7:8]
	v_sub_nc_u32_e32 v35, 29, v6
	v_and_b32_e32 v6, 7, v53
; %bb.615:                              ;   in Loop: Header=BB286_13 Depth=1
	s_or_b32 exec_lo, exec_lo, s27
	v_lshlrev_b32_e32 v7, 8, v7
	v_lshl_add_u32 v35, v35, 10, 0x2000
	v_lshlrev_b32_e32 v6, 7, v6
	v_and_b32_e32 v7, 0x8000, v7
	v_and_b32_e32 v35, 0xfc00, v35
	v_or3_b32 v64, v7, v35, v6
.LBB286_616:                            ;   in Loop: Header=BB286_13 Depth=1
	s_or_b32 exec_lo, exec_lo, s26
.LBB286_617:                            ;   in Loop: Header=BB286_13 Depth=1
	s_or_b32 exec_lo, exec_lo, s25
.LBB286_618:                            ;   in Loop: Header=BB286_13 Depth=1
	s_or_b32 exec_lo, exec_lo, s24
	s_mov_b32 s24, exec_lo
	v_cmpx_lt_u32_e32 0xffffff, v9
	s_cbranch_execz .LBB286_626
; %bb.619:                              ;   in Loop: Header=BB286_13 Depth=1
	v_lshrrev_b32_e32 v7, 24, v9
	v_bfrev_b32_e32 v4, 1
	s_mov_b32 s25, exec_lo
	v_cmpx_ne_u32_e32 0x80, v7
	s_cbranch_execz .LBB286_625
; %bb.620:                              ;   in Loop: Header=BB286_13 Depth=1
	v_and_b32_e32 v9, 0x7f, v7
	v_mov_b32_e32 v4, 0x7c010000
	s_mov_b32 s26, exec_lo
	v_cmpx_ne_u32_e32 0x7f, v9
	s_cbranch_execz .LBB286_624
; %bb.621:                              ;   in Loop: Header=BB286_13 Depth=1
	v_and_b32_e32 v4, 7, v7
	v_lshrrev_b32_e32 v6, 3, v9
	s_mov_b32 s27, exec_lo
	v_cmpx_gt_u32_e32 8, v9
; %bb.622:                              ;   in Loop: Header=BB286_13 Depth=1
	v_ffbh_u32_e32 v4, v4
	v_min_u32_e32 v4, 32, v4
	v_subrev_nc_u32_e32 v6, 28, v4
	v_lshlrev_b64 v[53:54], v6, v[7:8]
	v_sub_nc_u32_e32 v6, 29, v4
	v_and_b32_e32 v4, 7, v53
; %bb.623:                              ;   in Loop: Header=BB286_13 Depth=1
	s_or_b32 exec_lo, exec_lo, s27
	v_lshlrev_b32_e32 v7, 8, v7
	v_lshl_add_u32 v6, v6, 10, 0x2000
	v_lshlrev_b32_e32 v4, 23, v4
	v_and_or_b32 v6, 0x8000, v7, v6
	v_lshl_or_b32 v4, v6, 16, v4
.LBB286_624:                            ;   in Loop: Header=BB286_13 Depth=1
	s_or_b32 exec_lo, exec_lo, s26
.LBB286_625:                            ;   in Loop: Header=BB286_13 Depth=1
	s_or_b32 exec_lo, exec_lo, s25
.LBB286_626:                            ;   in Loop: Header=BB286_13 Depth=1
	s_or_b32 exec_lo, exec_lo, s24
	v_or_b32_e32 v6, 8, v69
	v_mov_b32_e32 v35, 0
	v_mov_b32_e32 v37, 0
	v_add_co_u32 v6, s6, v24, v6
	v_add_co_ci_u32_e64 v7, null, 0, v33, s6
	flat_load_dword v9, v[6:7]
	s_waitcnt vmcnt(0) lgkmcnt(0)
	v_cmp_ne_u16_sdwa s6, v9, v8 src0_sel:BYTE_0 src1_sel:DWORD
	s_and_saveexec_b32 s24, s6
	s_cbranch_execz .LBB286_634
; %bb.627:                              ;   in Loop: Header=BB286_13 Depth=1
	v_cmp_ne_u16_sdwa s6, v9, v81 src0_sel:BYTE_0 src1_sel:DWORD
	v_mov_b32_e32 v37, 0x8000
	s_and_saveexec_b32 s25, s6
	s_cbranch_execz .LBB286_633
; %bb.628:                              ;   in Loop: Header=BB286_13 Depth=1
	v_and_b32_e32 v24, 0x7f, v9
	v_mov_b32_e32 v37, 0x7c01
	s_mov_b32 s26, exec_lo
	v_cmpx_ne_u32_e32 0x7f, v24
	s_cbranch_execz .LBB286_632
; %bb.629:                              ;   in Loop: Header=BB286_13 Depth=1
	v_and_b32_e32 v6, 7, v9
	v_lshrrev_b32_e32 v7, 3, v24
	s_mov_b32 s27, exec_lo
	v_cmpx_gt_u32_e32 8, v24
; %bb.630:                              ;   in Loop: Header=BB286_13 Depth=1
	v_ffbh_u32_e32 v6, v6
	v_min_u32_e32 v24, 32, v6
	v_subrev_nc_u32_e32 v6, 28, v24
	v_lshlrev_b64 v[6:7], v6, v[9:10]
	v_sub_nc_u32_e32 v7, 29, v24
	v_and_b32_e32 v6, 7, v6
; %bb.631:                              ;   in Loop: Header=BB286_13 Depth=1
	s_or_b32 exec_lo, exec_lo, s27
	v_lshlrev_b32_e32 v24, 8, v9
	v_lshl_add_u32 v7, v7, 10, 0x2000
	v_lshlrev_b32_e32 v6, 7, v6
	v_and_b32_e32 v24, 0x8000, v24
	v_and_b32_e32 v7, 0xfc00, v7
	v_or3_b32 v37, v24, v7, v6
.LBB286_632:                            ;   in Loop: Header=BB286_13 Depth=1
	s_or_b32 exec_lo, exec_lo, s26
.LBB286_633:                            ;   in Loop: Header=BB286_13 Depth=1
	s_or_b32 exec_lo, exec_lo, s25
.LBB286_634:                            ;   in Loop: Header=BB286_13 Depth=1
	s_or_b32 exec_lo, exec_lo, s24
	v_lshrrev_b16 v7, 8, v9
	s_mov_b32 s24, exec_lo
	v_cmpx_ne_u16_e32 0, v7
	s_cbranch_execz .LBB286_642
; %bb.635:                              ;   in Loop: Header=BB286_13 Depth=1
	v_bfrev_b32_e32 v35, 1
	s_mov_b32 s25, exec_lo
	v_cmpx_ne_u16_e32 0x80, v7
	s_cbranch_execz .LBB286_641
; %bb.636:                              ;   in Loop: Header=BB286_13 Depth=1
	v_and_b32_sdwa v33, v7, v82 dst_sel:DWORD dst_unused:UNUSED_PAD src0_sel:WORD_0 src1_sel:DWORD
	v_mov_b32_e32 v35, 0x7c010000
	s_mov_b32 s26, exec_lo
	v_cmpx_ne_u32_e32 0x7f, v33
	s_cbranch_execz .LBB286_640
; %bb.637:                              ;   in Loop: Header=BB286_13 Depth=1
	v_mov_b32_e32 v6, 7
	v_lshrrev_b32_e32 v24, 3, v33
	s_mov_b32 s27, exec_lo
	v_and_b32_sdwa v6, v7, v6 dst_sel:DWORD dst_unused:UNUSED_PAD src0_sel:WORD_0 src1_sel:DWORD
	v_cmpx_gt_u32_e32 8, v33
; %bb.638:                              ;   in Loop: Header=BB286_13 Depth=1
	v_ffbh_u32_e32 v6, v6
	v_min_u32_e32 v6, 32, v6
	v_subrev_nc_u32_e32 v24, 28, v6
	v_lshlrev_b64 v[53:54], v24, v[7:8]
	v_sub_nc_u32_e32 v24, 29, v6
	v_and_b32_e32 v6, 7, v53
; %bb.639:                              ;   in Loop: Header=BB286_13 Depth=1
	s_or_b32 exec_lo, exec_lo, s27
	v_mov_b32_e32 v33, 8
	v_lshl_add_u32 v24, v24, 10, 0x2000
	v_lshlrev_b32_e32 v6, 23, v6
	v_lshlrev_b32_sdwa v7, v33, v7 dst_sel:DWORD dst_unused:UNUSED_PAD src0_sel:DWORD src1_sel:WORD_0
	v_and_or_b32 v7, 0x8000, v7, v24
	v_lshl_or_b32 v35, v7, 16, v6
.LBB286_640:                            ;   in Loop: Header=BB286_13 Depth=1
	s_or_b32 exec_lo, exec_lo, s26
.LBB286_641:                            ;   in Loop: Header=BB286_13 Depth=1
	s_or_b32 exec_lo, exec_lo, s25
.LBB286_642:                            ;   in Loop: Header=BB286_13 Depth=1
	s_or_b32 exec_lo, exec_lo, s24
	v_lshrrev_b32_e32 v7, 16, v9
	v_mov_b32_e32 v54, 0
	v_mov_b32_e32 v55, 0
	v_cmp_ne_u16_sdwa s6, v7, v8 src0_sel:BYTE_0 src1_sel:DWORD
	s_and_saveexec_b32 s24, s6
	s_cbranch_execz .LBB286_650
; %bb.643:                              ;   in Loop: Header=BB286_13 Depth=1
	v_cmp_ne_u16_sdwa s6, v7, v81 src0_sel:BYTE_0 src1_sel:DWORD
	v_mov_b32_e32 v55, 0x8000
	s_and_saveexec_b32 s25, s6
	s_cbranch_execz .LBB286_649
; %bb.644:                              ;   in Loop: Header=BB286_13 Depth=1
	v_bfe_u32 v33, v9, 16, 7
	v_mov_b32_e32 v55, 0x7c01
	s_mov_b32 s26, exec_lo
	v_cmpx_ne_u32_e32 0x7f, v33
	s_cbranch_execz .LBB286_648
; %bb.645:                              ;   in Loop: Header=BB286_13 Depth=1
	v_and_b32_e32 v6, 7, v7
	v_lshrrev_b32_e32 v24, 3, v33
	s_mov_b32 s27, exec_lo
	v_cmpx_gt_u32_e32 8, v33
; %bb.646:                              ;   in Loop: Header=BB286_13 Depth=1
	v_ffbh_u32_e32 v6, v6
	v_min_u32_e32 v6, 32, v6
	v_subrev_nc_u32_e32 v24, 28, v6
	v_lshlrev_b64 v[95:96], v24, v[7:8]
	v_sub_nc_u32_e32 v24, 29, v6
	v_and_b32_e32 v6, 7, v95
; %bb.647:                              ;   in Loop: Header=BB286_13 Depth=1
	s_or_b32 exec_lo, exec_lo, s27
	v_lshlrev_b32_e32 v7, 8, v7
	v_lshl_add_u32 v24, v24, 10, 0x2000
	v_lshlrev_b32_e32 v6, 7, v6
	v_and_b32_e32 v7, 0x8000, v7
	v_and_b32_e32 v24, 0xfc00, v24
	v_or3_b32 v55, v7, v24, v6
.LBB286_648:                            ;   in Loop: Header=BB286_13 Depth=1
	s_or_b32 exec_lo, exec_lo, s26
.LBB286_649:                            ;   in Loop: Header=BB286_13 Depth=1
	s_or_b32 exec_lo, exec_lo, s25
.LBB286_650:                            ;   in Loop: Header=BB286_13 Depth=1
	s_or_b32 exec_lo, exec_lo, s24
	s_mov_b32 s24, exec_lo
	v_cmpx_lt_u32_e32 0xffffff, v9
	s_cbranch_execz .LBB286_658
; %bb.651:                              ;   in Loop: Header=BB286_13 Depth=1
	v_lshrrev_b32_e32 v7, 24, v9
	v_bfrev_b32_e32 v54, 1
	s_mov_b32 s25, exec_lo
	v_cmpx_ne_u32_e32 0x80, v7
	s_cbranch_execz .LBB286_657
; %bb.652:                              ;   in Loop: Header=BB286_13 Depth=1
	v_and_b32_e32 v24, 0x7f, v7
	v_mov_b32_e32 v54, 0x7c010000
	s_mov_b32 s26, exec_lo
	v_cmpx_ne_u32_e32 0x7f, v24
	s_cbranch_execz .LBB286_656
; %bb.653:                              ;   in Loop: Header=BB286_13 Depth=1
	v_and_b32_e32 v6, 7, v7
	v_lshrrev_b32_e32 v9, 3, v24
	s_mov_b32 s27, exec_lo
	v_cmpx_gt_u32_e32 8, v24
; %bb.654:                              ;   in Loop: Header=BB286_13 Depth=1
	v_ffbh_u32_e32 v6, v6
	v_min_u32_e32 v6, 32, v6
	v_subrev_nc_u32_e32 v9, 28, v6
	v_lshlrev_b64 v[53:54], v9, v[7:8]
	v_sub_nc_u32_e32 v9, 29, v6
	v_and_b32_e32 v6, 7, v53
; %bb.655:                              ;   in Loop: Header=BB286_13 Depth=1
	s_or_b32 exec_lo, exec_lo, s27
	v_lshlrev_b32_e32 v7, 8, v7
	v_lshl_add_u32 v9, v9, 10, 0x2000
	v_lshlrev_b32_e32 v6, 23, v6
	v_and_or_b32 v7, 0x8000, v7, v9
	v_lshl_or_b32 v54, v7, 16, v6
.LBB286_656:                            ;   in Loop: Header=BB286_13 Depth=1
	s_or_b32 exec_lo, exec_lo, s26
.LBB286_657:                            ;   in Loop: Header=BB286_13 Depth=1
	s_or_b32 exec_lo, exec_lo, s25
.LBB286_658:                            ;   in Loop: Header=BB286_13 Depth=1
	s_or_b32 exec_lo, exec_lo, s24
	v_add_co_u32 v24, s6, 0xa00, v31
	v_add_co_ci_u32_e64 v33, null, 0, v32, s6
	v_mov_b32_e32 v53, 0
	v_add_co_u32 v6, s6, v24, v69
	v_add_co_ci_u32_e64 v7, null, 0, v33, s6
	v_mov_b32_e32 v66, 0
	flat_load_dword v9, v[6:7]
	s_waitcnt vmcnt(0) lgkmcnt(0)
	v_cmp_ne_u16_sdwa s6, v9, v8 src0_sel:BYTE_0 src1_sel:DWORD
	s_and_saveexec_b32 s24, s6
	s_cbranch_execz .LBB286_666
; %bb.659:                              ;   in Loop: Header=BB286_13 Depth=1
	v_cmp_ne_u16_sdwa s6, v9, v81 src0_sel:BYTE_0 src1_sel:DWORD
	v_mov_b32_e32 v66, 0x8000
	s_and_saveexec_b32 s25, s6
	s_cbranch_execz .LBB286_665
; %bb.660:                              ;   in Loop: Header=BB286_13 Depth=1
	v_and_b32_e32 v68, 0x7f, v9
	v_mov_b32_e32 v66, 0x7c01
	s_mov_b32 s26, exec_lo
	v_cmpx_ne_u32_e32 0x7f, v68
	s_cbranch_execz .LBB286_664
; %bb.661:                              ;   in Loop: Header=BB286_13 Depth=1
	v_and_b32_e32 v6, 7, v9
	v_lshrrev_b32_e32 v7, 3, v68
	s_mov_b32 s27, exec_lo
	v_cmpx_gt_u32_e32 8, v68
; %bb.662:                              ;   in Loop: Header=BB286_13 Depth=1
	v_ffbh_u32_e32 v6, v6
	v_min_u32_e32 v66, 32, v6
	v_subrev_nc_u32_e32 v6, 28, v66
	v_lshlrev_b64 v[6:7], v6, v[9:10]
	v_sub_nc_u32_e32 v7, 29, v66
	v_and_b32_e32 v6, 7, v6
; %bb.663:                              ;   in Loop: Header=BB286_13 Depth=1
	s_or_b32 exec_lo, exec_lo, s27
	v_lshlrev_b32_e32 v66, 8, v9
	v_lshl_add_u32 v7, v7, 10, 0x2000
	v_lshlrev_b32_e32 v6, 7, v6
	v_and_b32_e32 v66, 0x8000, v66
	v_and_b32_e32 v7, 0xfc00, v7
	v_or3_b32 v66, v66, v7, v6
.LBB286_664:                            ;   in Loop: Header=BB286_13 Depth=1
	s_or_b32 exec_lo, exec_lo, s26
.LBB286_665:                            ;   in Loop: Header=BB286_13 Depth=1
	s_or_b32 exec_lo, exec_lo, s25
.LBB286_666:                            ;   in Loop: Header=BB286_13 Depth=1
	s_or_b32 exec_lo, exec_lo, s24
	v_lshrrev_b16 v7, 8, v9
	s_mov_b32 s24, exec_lo
	v_cmpx_ne_u16_e32 0, v7
	s_cbranch_execz .LBB286_674
; %bb.667:                              ;   in Loop: Header=BB286_13 Depth=1
	v_bfrev_b32_e32 v53, 1
	s_mov_b32 s25, exec_lo
	v_cmpx_ne_u16_e32 0x80, v7
	s_cbranch_execz .LBB286_673
; %bb.668:                              ;   in Loop: Header=BB286_13 Depth=1
	v_and_b32_sdwa v68, v7, v82 dst_sel:DWORD dst_unused:UNUSED_PAD src0_sel:WORD_0 src1_sel:DWORD
	v_mov_b32_e32 v53, 0x7c010000
	s_mov_b32 s26, exec_lo
	v_cmpx_ne_u32_e32 0x7f, v68
	s_cbranch_execz .LBB286_672
; %bb.669:                              ;   in Loop: Header=BB286_13 Depth=1
	v_mov_b32_e32 v6, 7
	v_lshrrev_b32_e32 v53, 3, v68
	s_mov_b32 s27, exec_lo
	v_and_b32_sdwa v6, v7, v6 dst_sel:DWORD dst_unused:UNUSED_PAD src0_sel:WORD_0 src1_sel:DWORD
	v_cmpx_gt_u32_e32 8, v68
; %bb.670:                              ;   in Loop: Header=BB286_13 Depth=1
	v_ffbh_u32_e32 v6, v6
	v_min_u32_e32 v6, 32, v6
	v_subrev_nc_u32_e32 v53, 28, v6
	v_lshlrev_b64 v[95:96], v53, v[7:8]
	v_sub_nc_u32_e32 v53, 29, v6
	v_and_b32_e32 v6, 7, v95
; %bb.671:                              ;   in Loop: Header=BB286_13 Depth=1
	s_or_b32 exec_lo, exec_lo, s27
	v_mov_b32_e32 v68, 8
	v_lshl_add_u32 v53, v53, 10, 0x2000
	v_lshlrev_b32_e32 v6, 23, v6
	v_lshlrev_b32_sdwa v7, v68, v7 dst_sel:DWORD dst_unused:UNUSED_PAD src0_sel:DWORD src1_sel:WORD_0
	v_and_or_b32 v7, 0x8000, v7, v53
	v_lshl_or_b32 v53, v7, 16, v6
.LBB286_672:                            ;   in Loop: Header=BB286_13 Depth=1
	s_or_b32 exec_lo, exec_lo, s26
.LBB286_673:                            ;   in Loop: Header=BB286_13 Depth=1
	s_or_b32 exec_lo, exec_lo, s25
.LBB286_674:                            ;   in Loop: Header=BB286_13 Depth=1
	s_or_b32 exec_lo, exec_lo, s24
	v_lshrrev_b32_e32 v7, 16, v9
	v_mov_b32_e32 v68, 0
	v_mov_b32_e32 v80, 0
	v_cmp_ne_u16_sdwa s6, v7, v8 src0_sel:BYTE_0 src1_sel:DWORD
	s_and_saveexec_b32 s24, s6
	s_cbranch_execz .LBB286_682
; %bb.675:                              ;   in Loop: Header=BB286_13 Depth=1
	v_cmp_ne_u16_sdwa s6, v7, v81 src0_sel:BYTE_0 src1_sel:DWORD
	v_mov_b32_e32 v80, 0x8000
	s_and_saveexec_b32 s25, s6
	s_cbranch_execz .LBB286_681
; %bb.676:                              ;   in Loop: Header=BB286_13 Depth=1
	v_bfe_u32 v83, v9, 16, 7
	v_mov_b32_e32 v80, 0x7c01
	s_mov_b32 s26, exec_lo
	v_cmpx_ne_u32_e32 0x7f, v83
	s_cbranch_execz .LBB286_680
; %bb.677:                              ;   in Loop: Header=BB286_13 Depth=1
	v_and_b32_e32 v6, 7, v7
	v_lshrrev_b32_e32 v80, 3, v83
	s_mov_b32 s27, exec_lo
	v_cmpx_gt_u32_e32 8, v83
; %bb.678:                              ;   in Loop: Header=BB286_13 Depth=1
	v_ffbh_u32_e32 v6, v6
	v_min_u32_e32 v6, 32, v6
	v_subrev_nc_u32_e32 v80, 28, v6
	v_lshlrev_b64 v[95:96], v80, v[7:8]
	v_sub_nc_u32_e32 v80, 29, v6
	v_and_b32_e32 v6, 7, v95
; %bb.679:                              ;   in Loop: Header=BB286_13 Depth=1
	s_or_b32 exec_lo, exec_lo, s27
	v_lshlrev_b32_e32 v7, 8, v7
	v_lshl_add_u32 v80, v80, 10, 0x2000
	v_lshlrev_b32_e32 v6, 7, v6
	v_and_b32_e32 v7, 0x8000, v7
	v_and_b32_e32 v80, 0xfc00, v80
	v_or3_b32 v80, v7, v80, v6
.LBB286_680:                            ;   in Loop: Header=BB286_13 Depth=1
	s_or_b32 exec_lo, exec_lo, s26
.LBB286_681:                            ;   in Loop: Header=BB286_13 Depth=1
	s_or_b32 exec_lo, exec_lo, s25
.LBB286_682:                            ;   in Loop: Header=BB286_13 Depth=1
	s_or_b32 exec_lo, exec_lo, s24
	s_mov_b32 s24, exec_lo
	v_cmpx_lt_u32_e32 0xffffff, v9
	s_cbranch_execz .LBB286_690
; %bb.683:                              ;   in Loop: Header=BB286_13 Depth=1
	v_lshrrev_b32_e32 v7, 24, v9
	v_bfrev_b32_e32 v68, 1
	s_mov_b32 s25, exec_lo
	v_cmpx_ne_u32_e32 0x80, v7
	s_cbranch_execz .LBB286_689
; %bb.684:                              ;   in Loop: Header=BB286_13 Depth=1
	v_and_b32_e32 v83, 0x7f, v7
	v_mov_b32_e32 v68, 0x7c010000
	s_mov_b32 s26, exec_lo
	v_cmpx_ne_u32_e32 0x7f, v83
	s_cbranch_execz .LBB286_688
; %bb.685:                              ;   in Loop: Header=BB286_13 Depth=1
	v_and_b32_e32 v6, 7, v7
	v_lshrrev_b32_e32 v9, 3, v83
	s_mov_b32 s27, exec_lo
	v_cmpx_gt_u32_e32 8, v83
; %bb.686:                              ;   in Loop: Header=BB286_13 Depth=1
	v_ffbh_u32_e32 v6, v6
	v_min_u32_e32 v6, 32, v6
	v_subrev_nc_u32_e32 v9, 28, v6
	v_lshlrev_b64 v[95:96], v9, v[7:8]
	v_sub_nc_u32_e32 v9, 29, v6
	v_and_b32_e32 v6, 7, v95
; %bb.687:                              ;   in Loop: Header=BB286_13 Depth=1
	s_or_b32 exec_lo, exec_lo, s27
	v_lshlrev_b32_e32 v7, 8, v7
	v_lshl_add_u32 v9, v9, 10, 0x2000
	v_lshlrev_b32_e32 v6, 23, v6
	v_and_or_b32 v7, 0x8000, v7, v9
	v_lshl_or_b32 v68, v7, 16, v6
.LBB286_688:                            ;   in Loop: Header=BB286_13 Depth=1
	s_or_b32 exec_lo, exec_lo, s26
.LBB286_689:                            ;   in Loop: Header=BB286_13 Depth=1
	s_or_b32 exec_lo, exec_lo, s25
.LBB286_690:                            ;   in Loop: Header=BB286_13 Depth=1
	s_or_b32 exec_lo, exec_lo, s24
	v_or_b32_e32 v6, 8, v69
	v_mov_b32_e32 v96, 0
	v_mov_b32_e32 v105, 0
	v_add_co_u32 v6, s6, v24, v6
	v_add_co_ci_u32_e64 v7, null, 0, v33, s6
	flat_load_dword v9, v[6:7]
	s_waitcnt vmcnt(0) lgkmcnt(0)
	v_cmp_ne_u16_sdwa s6, v9, v8 src0_sel:BYTE_0 src1_sel:DWORD
	s_and_saveexec_b32 s24, s6
	s_cbranch_execz .LBB286_698
; %bb.691:                              ;   in Loop: Header=BB286_13 Depth=1
	v_cmp_ne_u16_sdwa s6, v9, v81 src0_sel:BYTE_0 src1_sel:DWORD
	v_mov_b32_e32 v105, 0x8000
	s_and_saveexec_b32 s25, s6
	s_cbranch_execz .LBB286_697
; %bb.692:                              ;   in Loop: Header=BB286_13 Depth=1
	v_and_b32_e32 v24, 0x7f, v9
	v_mov_b32_e32 v105, 0x7c01
	s_mov_b32 s26, exec_lo
	v_cmpx_ne_u32_e32 0x7f, v24
	s_cbranch_execz .LBB286_696
; %bb.693:                              ;   in Loop: Header=BB286_13 Depth=1
	v_and_b32_e32 v6, 7, v9
	v_lshrrev_b32_e32 v7, 3, v24
	s_mov_b32 s27, exec_lo
	v_cmpx_gt_u32_e32 8, v24
; %bb.694:                              ;   in Loop: Header=BB286_13 Depth=1
	v_ffbh_u32_e32 v6, v6
	v_min_u32_e32 v24, 32, v6
	v_subrev_nc_u32_e32 v6, 28, v24
	v_lshlrev_b64 v[6:7], v6, v[9:10]
	v_sub_nc_u32_e32 v7, 29, v24
	v_and_b32_e32 v6, 7, v6
; %bb.695:                              ;   in Loop: Header=BB286_13 Depth=1
	s_or_b32 exec_lo, exec_lo, s27
	v_lshlrev_b32_e32 v24, 8, v9
	v_lshl_add_u32 v7, v7, 10, 0x2000
	v_lshlrev_b32_e32 v6, 7, v6
	v_and_b32_e32 v24, 0x8000, v24
	v_and_b32_e32 v7, 0xfc00, v7
	v_or3_b32 v105, v24, v7, v6
.LBB286_696:                            ;   in Loop: Header=BB286_13 Depth=1
	s_or_b32 exec_lo, exec_lo, s26
.LBB286_697:                            ;   in Loop: Header=BB286_13 Depth=1
	s_or_b32 exec_lo, exec_lo, s25
.LBB286_698:                            ;   in Loop: Header=BB286_13 Depth=1
	s_or_b32 exec_lo, exec_lo, s24
	v_lshrrev_b16 v7, 8, v9
	s_mov_b32 s24, exec_lo
	v_cmpx_ne_u16_e32 0, v7
	s_cbranch_execz .LBB286_706
; %bb.699:                              ;   in Loop: Header=BB286_13 Depth=1
	v_bfrev_b32_e32 v96, 1
	s_mov_b32 s25, exec_lo
	v_cmpx_ne_u16_e32 0x80, v7
	s_cbranch_execz .LBB286_705
; %bb.700:                              ;   in Loop: Header=BB286_13 Depth=1
	v_and_b32_sdwa v33, v7, v82 dst_sel:DWORD dst_unused:UNUSED_PAD src0_sel:WORD_0 src1_sel:DWORD
	v_mov_b32_e32 v96, 0x7c010000
	s_mov_b32 s26, exec_lo
	v_cmpx_ne_u32_e32 0x7f, v33
	s_cbranch_execz .LBB286_704
; %bb.701:                              ;   in Loop: Header=BB286_13 Depth=1
	v_mov_b32_e32 v6, 7
	v_lshrrev_b32_e32 v24, 3, v33
	s_mov_b32 s27, exec_lo
	v_and_b32_sdwa v6, v7, v6 dst_sel:DWORD dst_unused:UNUSED_PAD src0_sel:WORD_0 src1_sel:DWORD
	v_cmpx_gt_u32_e32 8, v33
; %bb.702:                              ;   in Loop: Header=BB286_13 Depth=1
	v_ffbh_u32_e32 v6, v6
	v_min_u32_e32 v6, 32, v6
	v_subrev_nc_u32_e32 v24, 28, v6
	v_lshlrev_b64 v[95:96], v24, v[7:8]
	v_sub_nc_u32_e32 v24, 29, v6
	v_and_b32_e32 v6, 7, v95
; %bb.703:                              ;   in Loop: Header=BB286_13 Depth=1
	s_or_b32 exec_lo, exec_lo, s27
	v_mov_b32_e32 v33, 8
	v_lshl_add_u32 v24, v24, 10, 0x2000
	v_lshlrev_b32_e32 v6, 23, v6
	v_lshlrev_b32_sdwa v7, v33, v7 dst_sel:DWORD dst_unused:UNUSED_PAD src0_sel:DWORD src1_sel:WORD_0
	v_and_or_b32 v7, 0x8000, v7, v24
	v_lshl_or_b32 v96, v7, 16, v6
.LBB286_704:                            ;   in Loop: Header=BB286_13 Depth=1
	s_or_b32 exec_lo, exec_lo, s26
.LBB286_705:                            ;   in Loop: Header=BB286_13 Depth=1
	s_or_b32 exec_lo, exec_lo, s25
.LBB286_706:                            ;   in Loop: Header=BB286_13 Depth=1
	s_or_b32 exec_lo, exec_lo, s24
	v_lshrrev_b32_e32 v7, 16, v9
	v_mov_b32_e32 v111, 0
	v_mov_b32_e32 v106, 0
	v_cmp_ne_u16_sdwa s6, v7, v8 src0_sel:BYTE_0 src1_sel:DWORD
	s_and_saveexec_b32 s24, s6
	s_cbranch_execz .LBB286_714
; %bb.707:                              ;   in Loop: Header=BB286_13 Depth=1
	v_cmp_ne_u16_sdwa s6, v7, v81 src0_sel:BYTE_0 src1_sel:DWORD
	v_mov_b32_e32 v106, 0x8000
	s_and_saveexec_b32 s25, s6
	s_cbranch_execz .LBB286_713
; %bb.708:                              ;   in Loop: Header=BB286_13 Depth=1
	v_bfe_u32 v33, v9, 16, 7
	v_mov_b32_e32 v106, 0x7c01
	s_mov_b32 s26, exec_lo
	v_cmpx_ne_u32_e32 0x7f, v33
	s_cbranch_execz .LBB286_712
; %bb.709:                              ;   in Loop: Header=BB286_13 Depth=1
	v_and_b32_e32 v6, 7, v7
	v_lshrrev_b32_e32 v24, 3, v33
	s_mov_b32 s27, exec_lo
	v_cmpx_gt_u32_e32 8, v33
; %bb.710:                              ;   in Loop: Header=BB286_13 Depth=1
	v_ffbh_u32_e32 v6, v6
	v_min_u32_e32 v6, 32, v6
	v_subrev_nc_u32_e32 v24, 28, v6
	v_lshlrev_b64 v[106:107], v24, v[7:8]
	v_sub_nc_u32_e32 v24, 29, v6
	v_and_b32_e32 v6, 7, v106
; %bb.711:                              ;   in Loop: Header=BB286_13 Depth=1
	s_or_b32 exec_lo, exec_lo, s27
	v_lshlrev_b32_e32 v7, 8, v7
	v_lshl_add_u32 v24, v24, 10, 0x2000
	v_lshlrev_b32_e32 v6, 7, v6
	v_and_b32_e32 v7, 0x8000, v7
	v_and_b32_e32 v24, 0xfc00, v24
	v_or3_b32 v106, v7, v24, v6
.LBB286_712:                            ;   in Loop: Header=BB286_13 Depth=1
	s_or_b32 exec_lo, exec_lo, s26
.LBB286_713:                            ;   in Loop: Header=BB286_13 Depth=1
	s_or_b32 exec_lo, exec_lo, s25
.LBB286_714:                            ;   in Loop: Header=BB286_13 Depth=1
	s_or_b32 exec_lo, exec_lo, s24
	s_mov_b32 s24, exec_lo
	v_cmpx_lt_u32_e32 0xffffff, v9
	s_cbranch_execz .LBB286_722
; %bb.715:                              ;   in Loop: Header=BB286_13 Depth=1
	v_lshrrev_b32_e32 v7, 24, v9
	v_bfrev_b32_e32 v111, 1
	s_mov_b32 s25, exec_lo
	v_cmpx_ne_u32_e32 0x80, v7
	s_cbranch_execz .LBB286_721
; %bb.716:                              ;   in Loop: Header=BB286_13 Depth=1
	v_and_b32_e32 v24, 0x7f, v7
	v_mov_b32_e32 v111, 0x7c010000
	s_mov_b32 s26, exec_lo
	v_cmpx_ne_u32_e32 0x7f, v24
	s_cbranch_execz .LBB286_720
; %bb.717:                              ;   in Loop: Header=BB286_13 Depth=1
	v_and_b32_e32 v6, 7, v7
	v_lshrrev_b32_e32 v9, 3, v24
	s_mov_b32 s27, exec_lo
	v_cmpx_gt_u32_e32 8, v24
; %bb.718:                              ;   in Loop: Header=BB286_13 Depth=1
	v_ffbh_u32_e32 v6, v6
	v_min_u32_e32 v6, 32, v6
	v_subrev_nc_u32_e32 v9, 28, v6
	v_lshlrev_b64 v[110:111], v9, v[7:8]
	v_sub_nc_u32_e32 v9, 29, v6
	v_and_b32_e32 v6, 7, v110
; %bb.719:                              ;   in Loop: Header=BB286_13 Depth=1
	s_or_b32 exec_lo, exec_lo, s27
	v_lshlrev_b32_e32 v7, 8, v7
	v_lshl_add_u32 v9, v9, 10, 0x2000
	v_lshlrev_b32_e32 v6, 23, v6
	v_and_or_b32 v7, 0x8000, v7, v9
	v_lshl_or_b32 v111, v7, 16, v6
.LBB286_720:                            ;   in Loop: Header=BB286_13 Depth=1
	s_or_b32 exec_lo, exec_lo, s26
.LBB286_721:                            ;   in Loop: Header=BB286_13 Depth=1
	s_or_b32 exec_lo, exec_lo, s25
.LBB286_722:                            ;   in Loop: Header=BB286_13 Depth=1
	s_or_b32 exec_lo, exec_lo, s24
	v_add_co_u32 v24, s6, 0xb00, v31
	v_add_co_ci_u32_e64 v83, null, 0, v32, s6
	v_mov_b32_e32 v31, 0
	v_add_co_u32 v6, s6, v24, v69
	v_add_co_ci_u32_e64 v7, null, 0, v83, s6
	v_mov_b32_e32 v32, 0
	flat_load_dword v9, v[6:7]
	s_waitcnt vmcnt(0) lgkmcnt(0)
	v_cmp_ne_u16_sdwa s6, v9, v8 src0_sel:BYTE_0 src1_sel:DWORD
	s_and_saveexec_b32 s24, s6
	s_cbranch_execz .LBB286_730
; %bb.723:                              ;   in Loop: Header=BB286_13 Depth=1
	v_cmp_ne_u16_sdwa s6, v9, v81 src0_sel:BYTE_0 src1_sel:DWORD
	v_mov_b32_e32 v32, 0x8000
	s_and_saveexec_b32 s25, s6
	s_cbranch_execz .LBB286_729
; %bb.724:                              ;   in Loop: Header=BB286_13 Depth=1
	v_and_b32_e32 v33, 0x7f, v9
	v_mov_b32_e32 v32, 0x7c01
	s_mov_b32 s26, exec_lo
	v_cmpx_ne_u32_e32 0x7f, v33
	s_cbranch_execz .LBB286_728
; %bb.725:                              ;   in Loop: Header=BB286_13 Depth=1
	v_and_b32_e32 v6, 7, v9
	v_lshrrev_b32_e32 v7, 3, v33
	s_mov_b32 s27, exec_lo
	v_cmpx_gt_u32_e32 8, v33
; %bb.726:                              ;   in Loop: Header=BB286_13 Depth=1
	v_ffbh_u32_e32 v6, v6
	v_min_u32_e32 v32, 32, v6
	v_subrev_nc_u32_e32 v6, 28, v32
	v_lshlrev_b64 v[6:7], v6, v[9:10]
	v_sub_nc_u32_e32 v7, 29, v32
	v_and_b32_e32 v6, 7, v6
; %bb.727:                              ;   in Loop: Header=BB286_13 Depth=1
	s_or_b32 exec_lo, exec_lo, s27
	v_lshlrev_b32_e32 v32, 8, v9
	v_lshl_add_u32 v7, v7, 10, 0x2000
	v_lshlrev_b32_e32 v6, 7, v6
	v_and_b32_e32 v32, 0x8000, v32
	v_and_b32_e32 v7, 0xfc00, v7
	v_or3_b32 v32, v32, v7, v6
.LBB286_728:                            ;   in Loop: Header=BB286_13 Depth=1
	s_or_b32 exec_lo, exec_lo, s26
.LBB286_729:                            ;   in Loop: Header=BB286_13 Depth=1
	s_or_b32 exec_lo, exec_lo, s25
.LBB286_730:                            ;   in Loop: Header=BB286_13 Depth=1
	s_or_b32 exec_lo, exec_lo, s24
	v_lshrrev_b16 v7, 8, v9
	s_mov_b32 s24, exec_lo
	v_cmpx_ne_u16_e32 0, v7
	s_cbranch_execz .LBB286_738
; %bb.731:                              ;   in Loop: Header=BB286_13 Depth=1
	v_bfrev_b32_e32 v31, 1
	s_mov_b32 s25, exec_lo
	v_cmpx_ne_u16_e32 0x80, v7
	s_cbranch_execz .LBB286_737
; %bb.732:                              ;   in Loop: Header=BB286_13 Depth=1
	v_and_b32_sdwa v33, v7, v82 dst_sel:DWORD dst_unused:UNUSED_PAD src0_sel:WORD_0 src1_sel:DWORD
	v_mov_b32_e32 v31, 0x7c010000
	s_mov_b32 s26, exec_lo
	v_cmpx_ne_u32_e32 0x7f, v33
	s_cbranch_execz .LBB286_736
; %bb.733:                              ;   in Loop: Header=BB286_13 Depth=1
	v_mov_b32_e32 v6, 7
	v_lshrrev_b32_e32 v31, 3, v33
	s_mov_b32 s27, exec_lo
	v_and_b32_sdwa v6, v7, v6 dst_sel:DWORD dst_unused:UNUSED_PAD src0_sel:WORD_0 src1_sel:DWORD
	v_cmpx_gt_u32_e32 8, v33
; %bb.734:                              ;   in Loop: Header=BB286_13 Depth=1
	v_ffbh_u32_e32 v6, v6
	v_min_u32_e32 v6, 32, v6
	v_subrev_nc_u32_e32 v31, 28, v6
	v_lshlrev_b64 v[123:124], v31, v[7:8]
	v_sub_nc_u32_e32 v31, 29, v6
	v_and_b32_e32 v6, 7, v123
; %bb.735:                              ;   in Loop: Header=BB286_13 Depth=1
	s_or_b32 exec_lo, exec_lo, s27
	v_mov_b32_e32 v33, 8
	v_lshl_add_u32 v31, v31, 10, 0x2000
	v_lshlrev_b32_e32 v6, 23, v6
	v_lshlrev_b32_sdwa v7, v33, v7 dst_sel:DWORD dst_unused:UNUSED_PAD src0_sel:DWORD src1_sel:WORD_0
	v_and_or_b32 v7, 0x8000, v7, v31
	v_lshl_or_b32 v31, v7, 16, v6
.LBB286_736:                            ;   in Loop: Header=BB286_13 Depth=1
	s_or_b32 exec_lo, exec_lo, s26
.LBB286_737:                            ;   in Loop: Header=BB286_13 Depth=1
	s_or_b32 exec_lo, exec_lo, s25
.LBB286_738:                            ;   in Loop: Header=BB286_13 Depth=1
	s_or_b32 exec_lo, exec_lo, s24
	v_lshrrev_b32_e32 v7, 16, v9
	v_mov_b32_e32 v107, 0
	v_mov_b32_e32 v33, 0
	v_cmp_ne_u16_sdwa s6, v7, v8 src0_sel:BYTE_0 src1_sel:DWORD
	s_and_saveexec_b32 s24, s6
	s_cbranch_execz .LBB286_746
; %bb.739:                              ;   in Loop: Header=BB286_13 Depth=1
	v_cmp_ne_u16_sdwa s6, v7, v81 src0_sel:BYTE_0 src1_sel:DWORD
	v_mov_b32_e32 v33, 0x8000
	s_and_saveexec_b32 s25, s6
	s_cbranch_execz .LBB286_745
; %bb.740:                              ;   in Loop: Header=BB286_13 Depth=1
	v_bfe_u32 v86, v9, 16, 7
	v_mov_b32_e32 v33, 0x7c01
	s_mov_b32 s26, exec_lo
	v_cmpx_ne_u32_e32 0x7f, v86
	s_cbranch_execz .LBB286_744
; %bb.741:                              ;   in Loop: Header=BB286_13 Depth=1
	v_and_b32_e32 v6, 7, v7
	v_lshrrev_b32_e32 v33, 3, v86
	s_mov_b32 s27, exec_lo
	v_cmpx_gt_u32_e32 8, v86
; %bb.742:                              ;   in Loop: Header=BB286_13 Depth=1
	v_ffbh_u32_e32 v6, v6
	v_min_u32_e32 v6, 32, v6
	v_subrev_nc_u32_e32 v33, 28, v6
	v_lshlrev_b64 v[123:124], v33, v[7:8]
	v_sub_nc_u32_e32 v33, 29, v6
	v_and_b32_e32 v6, 7, v123
; %bb.743:                              ;   in Loop: Header=BB286_13 Depth=1
	s_or_b32 exec_lo, exec_lo, s27
	v_lshlrev_b32_e32 v7, 8, v7
	v_lshl_add_u32 v33, v33, 10, 0x2000
	v_lshlrev_b32_e32 v6, 7, v6
	v_and_b32_e32 v7, 0x8000, v7
	v_and_b32_e32 v33, 0xfc00, v33
	v_or3_b32 v33, v7, v33, v6
.LBB286_744:                            ;   in Loop: Header=BB286_13 Depth=1
	s_or_b32 exec_lo, exec_lo, s26
.LBB286_745:                            ;   in Loop: Header=BB286_13 Depth=1
	s_or_b32 exec_lo, exec_lo, s25
.LBB286_746:                            ;   in Loop: Header=BB286_13 Depth=1
	s_or_b32 exec_lo, exec_lo, s24
	s_mov_b32 s24, exec_lo
	v_cmpx_lt_u32_e32 0xffffff, v9
	s_cbranch_execz .LBB286_754
; %bb.747:                              ;   in Loop: Header=BB286_13 Depth=1
	v_lshrrev_b32_e32 v7, 24, v9
	v_bfrev_b32_e32 v107, 1
	s_mov_b32 s25, exec_lo
	v_cmpx_ne_u32_e32 0x80, v7
	s_cbranch_execz .LBB286_753
; %bb.748:                              ;   in Loop: Header=BB286_13 Depth=1
	v_and_b32_e32 v86, 0x7f, v7
	v_mov_b32_e32 v107, 0x7c010000
	s_mov_b32 s26, exec_lo
	v_cmpx_ne_u32_e32 0x7f, v86
	s_cbranch_execz .LBB286_752
; %bb.749:                              ;   in Loop: Header=BB286_13 Depth=1
	v_and_b32_e32 v6, 7, v7
	v_lshrrev_b32_e32 v9, 3, v86
	s_mov_b32 s27, exec_lo
	v_cmpx_gt_u32_e32 8, v86
; %bb.750:                              ;   in Loop: Header=BB286_13 Depth=1
	v_ffbh_u32_e32 v6, v6
	v_min_u32_e32 v6, 32, v6
	v_subrev_nc_u32_e32 v9, 28, v6
	v_lshlrev_b64 v[123:124], v9, v[7:8]
	v_sub_nc_u32_e32 v9, 29, v6
	v_and_b32_e32 v6, 7, v123
; %bb.751:                              ;   in Loop: Header=BB286_13 Depth=1
	s_or_b32 exec_lo, exec_lo, s27
	v_lshlrev_b32_e32 v7, 8, v7
	v_lshl_add_u32 v9, v9, 10, 0x2000
	v_lshlrev_b32_e32 v6, 23, v6
	v_and_or_b32 v7, 0x8000, v7, v9
	v_lshl_or_b32 v107, v7, 16, v6
.LBB286_752:                            ;   in Loop: Header=BB286_13 Depth=1
	s_or_b32 exec_lo, exec_lo, s26
.LBB286_753:                            ;   in Loop: Header=BB286_13 Depth=1
	s_or_b32 exec_lo, exec_lo, s25
.LBB286_754:                            ;   in Loop: Header=BB286_13 Depth=1
	s_or_b32 exec_lo, exec_lo, s24
	v_or_b32_e32 v6, 8, v69
	v_add_co_u32 v6, s6, v24, v6
	v_add_co_ci_u32_e64 v7, null, 0, v83, s6
	v_mov_b32_e32 v24, 0
	v_mov_b32_e32 v83, 0
	flat_load_dword v9, v[6:7]
	s_waitcnt vmcnt(0) lgkmcnt(0)
	v_cmp_ne_u16_sdwa s6, v9, v8 src0_sel:BYTE_0 src1_sel:DWORD
	s_and_saveexec_b32 s24, s6
	s_cbranch_execz .LBB286_762
; %bb.755:                              ;   in Loop: Header=BB286_13 Depth=1
	v_cmp_ne_u16_sdwa s6, v9, v81 src0_sel:BYTE_0 src1_sel:DWORD
	v_mov_b32_e32 v83, 0x8000
	s_and_saveexec_b32 s25, s6
	s_cbranch_execz .LBB286_761
; %bb.756:                              ;   in Loop: Header=BB286_13 Depth=1
	v_and_b32_e32 v86, 0x7f, v9
	v_mov_b32_e32 v83, 0x7c01
	s_mov_b32 s26, exec_lo
	v_cmpx_ne_u32_e32 0x7f, v86
	s_cbranch_execz .LBB286_760
; %bb.757:                              ;   in Loop: Header=BB286_13 Depth=1
	v_and_b32_e32 v6, 7, v9
	v_lshrrev_b32_e32 v7, 3, v86
	s_mov_b32 s27, exec_lo
	v_cmpx_gt_u32_e32 8, v86
; %bb.758:                              ;   in Loop: Header=BB286_13 Depth=1
	v_ffbh_u32_e32 v6, v6
	v_min_u32_e32 v83, 32, v6
	v_subrev_nc_u32_e32 v6, 28, v83
	v_lshlrev_b64 v[6:7], v6, v[9:10]
	v_sub_nc_u32_e32 v7, 29, v83
	v_and_b32_e32 v6, 7, v6
; %bb.759:                              ;   in Loop: Header=BB286_13 Depth=1
	s_or_b32 exec_lo, exec_lo, s27
	v_lshlrev_b32_e32 v83, 8, v9
	v_lshl_add_u32 v7, v7, 10, 0x2000
	v_lshlrev_b32_e32 v6, 7, v6
	v_and_b32_e32 v83, 0x8000, v83
	v_and_b32_e32 v7, 0xfc00, v7
	v_or3_b32 v83, v83, v7, v6
.LBB286_760:                            ;   in Loop: Header=BB286_13 Depth=1
	s_or_b32 exec_lo, exec_lo, s26
.LBB286_761:                            ;   in Loop: Header=BB286_13 Depth=1
	s_or_b32 exec_lo, exec_lo, s25
.LBB286_762:                            ;   in Loop: Header=BB286_13 Depth=1
	s_or_b32 exec_lo, exec_lo, s24
	v_lshrrev_b16 v7, 8, v9
	s_mov_b32 s24, exec_lo
	v_cmpx_ne_u16_e32 0, v7
	s_cbranch_execz .LBB286_770
; %bb.763:                              ;   in Loop: Header=BB286_13 Depth=1
	v_bfrev_b32_e32 v24, 1
	s_mov_b32 s25, exec_lo
	v_cmpx_ne_u16_e32 0x80, v7
	s_cbranch_execz .LBB286_769
; %bb.764:                              ;   in Loop: Header=BB286_13 Depth=1
	v_and_b32_sdwa v86, v7, v82 dst_sel:DWORD dst_unused:UNUSED_PAD src0_sel:WORD_0 src1_sel:DWORD
	v_mov_b32_e32 v24, 0x7c010000
	s_mov_b32 s26, exec_lo
	v_cmpx_ne_u32_e32 0x7f, v86
	s_cbranch_execz .LBB286_768
; %bb.765:                              ;   in Loop: Header=BB286_13 Depth=1
	v_mov_b32_e32 v6, 7
	v_lshrrev_b32_e32 v24, 3, v86
	s_mov_b32 s27, exec_lo
	v_and_b32_sdwa v6, v7, v6 dst_sel:DWORD dst_unused:UNUSED_PAD src0_sel:WORD_0 src1_sel:DWORD
	v_cmpx_gt_u32_e32 8, v86
; %bb.766:                              ;   in Loop: Header=BB286_13 Depth=1
	v_ffbh_u32_e32 v6, v6
	v_min_u32_e32 v6, 32, v6
	v_subrev_nc_u32_e32 v24, 28, v6
	v_lshlrev_b64 v[123:124], v24, v[7:8]
	v_sub_nc_u32_e32 v24, 29, v6
	v_and_b32_e32 v6, 7, v123
; %bb.767:                              ;   in Loop: Header=BB286_13 Depth=1
	s_or_b32 exec_lo, exec_lo, s27
	v_mov_b32_e32 v86, 8
	v_lshl_add_u32 v24, v24, 10, 0x2000
	v_lshlrev_b32_e32 v6, 23, v6
	v_lshlrev_b32_sdwa v7, v86, v7 dst_sel:DWORD dst_unused:UNUSED_PAD src0_sel:DWORD src1_sel:WORD_0
	v_and_or_b32 v7, 0x8000, v7, v24
	v_lshl_or_b32 v24, v7, 16, v6
.LBB286_768:                            ;   in Loop: Header=BB286_13 Depth=1
	s_or_b32 exec_lo, exec_lo, s26
.LBB286_769:                            ;   in Loop: Header=BB286_13 Depth=1
	s_or_b32 exec_lo, exec_lo, s25
.LBB286_770:                            ;   in Loop: Header=BB286_13 Depth=1
	s_or_b32 exec_lo, exec_lo, s24
	v_lshrrev_b32_e32 v7, 16, v9
	v_mov_b32_e32 v86, 0
	v_mov_b32_e32 v6, 0
	v_cmp_ne_u16_sdwa s6, v7, v8 src0_sel:BYTE_0 src1_sel:DWORD
	s_and_saveexec_b32 s24, s6
	s_cbranch_execz .LBB286_778
; %bb.771:                              ;   in Loop: Header=BB286_13 Depth=1
	v_cmp_ne_u16_sdwa s6, v7, v81 src0_sel:BYTE_0 src1_sel:DWORD
	v_mov_b32_e32 v6, 0x8000
	s_and_saveexec_b32 s25, s6
	s_cbranch_execz .LBB286_777
; %bb.772:                              ;   in Loop: Header=BB286_13 Depth=1
	v_bfe_u32 v95, v9, 16, 7
	v_mov_b32_e32 v6, 0x7c01
	s_mov_b32 s26, exec_lo
	v_cmpx_ne_u32_e32 0x7f, v95
	s_cbranch_execz .LBB286_776
; %bb.773:                              ;   in Loop: Header=BB286_13 Depth=1
	v_and_b32_e32 v6, 7, v7
	v_lshrrev_b32_e32 v93, 3, v95
	s_mov_b32 s27, exec_lo
	v_cmpx_gt_u32_e32 8, v95
; %bb.774:                              ;   in Loop: Header=BB286_13 Depth=1
	v_ffbh_u32_e32 v6, v6
	v_min_u32_e32 v6, 32, v6
	v_subrev_nc_u32_e32 v93, 28, v6
	v_lshlrev_b64 v[123:124], v93, v[7:8]
	v_sub_nc_u32_e32 v93, 29, v6
	v_and_b32_e32 v6, 7, v123
; %bb.775:                              ;   in Loop: Header=BB286_13 Depth=1
	s_or_b32 exec_lo, exec_lo, s27
	v_lshlrev_b32_e32 v7, 8, v7
	v_lshl_add_u32 v93, v93, 10, 0x2000
	v_lshlrev_b32_e32 v6, 7, v6
	v_and_b32_e32 v7, 0x8000, v7
	v_and_b32_e32 v93, 0xfc00, v93
	v_or3_b32 v6, v7, v93, v6
.LBB286_776:                            ;   in Loop: Header=BB286_13 Depth=1
	s_or_b32 exec_lo, exec_lo, s26
.LBB286_777:                            ;   in Loop: Header=BB286_13 Depth=1
	s_or_b32 exec_lo, exec_lo, s25
.LBB286_778:                            ;   in Loop: Header=BB286_13 Depth=1
	s_or_b32 exec_lo, exec_lo, s24
	s_mov_b32 s24, exec_lo
	v_cmpx_lt_u32_e32 0xffffff, v9
	s_cbranch_execz .LBB286_786
; %bb.779:                              ;   in Loop: Header=BB286_13 Depth=1
	v_lshrrev_b32_e32 v7, 24, v9
	v_bfrev_b32_e32 v86, 1
	s_mov_b32 s25, exec_lo
	v_cmpx_ne_u32_e32 0x80, v7
	s_cbranch_execz .LBB286_785
; %bb.780:                              ;   in Loop: Header=BB286_13 Depth=1
	v_and_b32_e32 v93, 0x7f, v7
	v_mov_b32_e32 v86, 0x7c010000
	s_mov_b32 s26, exec_lo
	v_cmpx_ne_u32_e32 0x7f, v93
	s_cbranch_execz .LBB286_784
; %bb.781:                              ;   in Loop: Header=BB286_13 Depth=1
	v_and_b32_e32 v9, 7, v7
	v_lshrrev_b32_e32 v86, 3, v93
	s_mov_b32 s27, exec_lo
	v_cmpx_gt_u32_e32 8, v93
; %bb.782:                              ;   in Loop: Header=BB286_13 Depth=1
	v_ffbh_u32_e32 v9, v9
	v_min_u32_e32 v9, 32, v9
	v_subrev_nc_u32_e32 v86, 28, v9
	v_lshlrev_b64 v[123:124], v86, v[7:8]
	v_sub_nc_u32_e32 v86, 29, v9
	v_and_b32_e32 v9, 7, v123
; %bb.783:                              ;   in Loop: Header=BB286_13 Depth=1
	s_or_b32 exec_lo, exec_lo, s27
	v_lshlrev_b32_e32 v7, 8, v7
	v_lshl_add_u32 v86, v86, 10, 0x2000
	v_lshlrev_b32_e32 v9, 23, v9
	v_and_or_b32 v7, 0x8000, v7, v86
	v_lshl_or_b32 v86, v7, 16, v9
.LBB286_784:                            ;   in Loop: Header=BB286_13 Depth=1
	s_or_b32 exec_lo, exec_lo, s26
.LBB286_785:                            ;   in Loop: Header=BB286_13 Depth=1
	s_or_b32 exec_lo, exec_lo, s25
.LBB286_786:                            ;   in Loop: Header=BB286_13 Depth=1
	s_or_b32 exec_lo, exec_lo, s24
	v_or_b32_e32 v7, v31, v32
	v_fma_mixlo_f16 v123, v98, v53, 0 op_sel:[0,1,0] op_sel_hi:[0,1,0]
	v_or_b32_e32 v3, v2, v3
	v_or_b32_e32 v1, v0, v1
	v_fma_mixlo_f16 v125, v98, v54, 0 op_sel:[0,1,0] op_sel_hi:[0,1,0]
	v_fma_mixlo_f16 v95, v98, v7, 0 op_sel_hi:[0,1,0]
	v_or_b32_e32 v7, v107, v33
	v_or_b32_e32 v5, v49, v5
	v_fma_mixlo_f16 v32, v98, v107, 0 op_sel:[0,1,0] op_sel_hi:[0,1,0]
	v_fma_mixlo_f16 v107, v98, v96, 0 op_sel:[0,1,0] op_sel_hi:[0,1,0]
	v_or_b32_e32 v6, v86, v6
	v_fma_mixlo_f16 v33, v98, v7, 0 op_sel_hi:[0,1,0]
	v_or_b32_e32 v7, v96, v105
	v_fma_mixlo_f16 v105, v98, v111, 0 op_sel:[0,1,0] op_sel_hi:[0,1,0]
	v_fma_mixlo_f16 v93, v98, v31, 0 op_sel:[0,1,0] op_sel_hi:[0,1,0]
	;; [unrolled: 1-line block ×3, first 2 shown]
	v_fma_mixlo_f16 v9, v98, v6, 0 op_sel_hi:[0,1,0]
	v_fma_mixlo_f16 v110, v98, v7, 0 op_sel_hi:[0,1,0]
	v_or_b32_e32 v7, v111, v106
	v_fma_mixlo_f16 v111, v98, v68, 0 op_sel:[0,1,0] op_sel_hi:[0,1,0]
	v_fma_mixlo_f16 v106, v98, v7, 0 op_sel_hi:[0,1,0]
	v_or_b32_e32 v7, v53, v66
	v_fma_mixlo_f16 v66, v98, v108, 0 op_sel:[0,1,0] op_sel_hi:[0,1,0]
	v_fma_mixlo_f16 v124, v98, v7, 0 op_sel_hi:[0,1,0]
	v_or_b32_e32 v7, v68, v80
	v_and_b32_e32 v66, 0xffff, v66
	v_fma_mixlo_f16 v120, v98, v7, 0 op_sel_hi:[0,1,0]
	v_or_b32_e32 v7, v35, v37
	v_fma_mixlo_f16 v37, v98, v2, 0 op_sel:[0,1,0] op_sel_hi:[0,1,0]
	v_or_b32_e32 v2, v4, v64
	v_fma_mixlo_f16 v35, v98, v35, 0 op_sel:[0,1,0] op_sel_hi:[0,1,0]
	v_fma_mixlo_f16 v4, v98, v4, 0 op_sel:[0,1,0] op_sel_hi:[0,1,0]
	v_fma_mixlo_f16 v53, v98, v7, 0 op_sel_hi:[0,1,0]
	v_or_b32_e32 v7, v54, v55
	v_fma_mixlo_f16 v54, v98, v3, 0 op_sel_hi:[0,1,0]
	v_fma_mixlo_f16 v64, v98, v2, 0 op_sel_hi:[0,1,0]
	v_fma_mixlo_f16 v3, v98, v0, 0 op_sel:[0,1,0] op_sel_hi:[0,1,0]
	v_fma_mixlo_f16 v2, v98, v1, 0 op_sel_hi:[0,1,0]
	v_fma_mixlo_f16 v55, v98, v7, 0 op_sel_hi:[0,1,0]
	v_or_b32_e32 v7, v12, v14
	v_or_b32_e32 v0, v36, v65
	v_fma_mixlo_f16 v1, v98, v36, 0 op_sel:[0,1,0] op_sel_hi:[0,1,0]
	v_fma_mixlo_f16 v65, v98, v22, 0 op_sel:[0,1,0] op_sel_hi:[0,1,0]
	;; [unrolled: 1-line block ×3, first 2 shown]
	v_fma_mixlo_f16 v68, v98, v7, 0 op_sel_hi:[0,1,0]
	v_or_b32_e32 v7, v25, v15
	v_fma_mixlo_f16 v0, v98, v0, 0 op_sel_hi:[0,1,0]
	v_fma_mixlo_f16 v14, v98, v25, 0 op_sel:[0,1,0] op_sel_hi:[0,1,0]
	v_fma_mixlo_f16 v25, v98, v94, 0 op_sel:[0,1,0] op_sel_hi:[0,1,0]
	v_and_b32_e32 v12, 0xffff, v12
	v_fma_mixlo_f16 v15, v98, v7, 0 op_sel_hi:[0,1,0]
	v_or_b32_e32 v7, v13, v20
	v_fma_mixlo_f16 v13, v98, v13, 0 op_sel:[0,1,0] op_sel_hi:[0,1,0]
	v_and_b32_e32 v25, 0xffff, v25
	v_and_b32_e32 v2, 0xffff, v2
	;; [unrolled: 1-line block ×3, first 2 shown]
	v_fma_mixlo_f16 v20, v98, v7, 0 op_sel_hi:[0,1,0]
	v_or_b32_e32 v7, v22, v34
	v_and_b32_e32 v13, 0xffff, v13
	v_and_b32_e32 v0, 0xffff, v0
	;; [unrolled: 1-line block ×3, first 2 shown]
	v_fma_mixlo_f16 v36, v98, v7, 0 op_sel_hi:[0,1,0]
	v_or_b32_e32 v7, v85, v30
	v_fma_mixlo_f16 v85, v98, v85, 0 op_sel:[0,1,0] op_sel_hi:[0,1,0]
	v_fma_mixlo_f16 v22, v98, v7, 0 op_sel_hi:[0,1,0]
	v_or_b32_e32 v7, v21, v87
	v_fma_mixlo_f16 v87, v98, v11, 0 op_sel:[0,1,0] op_sel_hi:[0,1,0]
	v_fma_mixlo_f16 v21, v98, v21, 0 op_sel:[0,1,0] op_sel_hi:[0,1,0]
	v_fma_mixlo_f16 v30, v98, v7, 0 op_sel_hi:[0,1,0]
	v_or_b32_e32 v7, v11, v10
	v_fma_mixlo_f16 v10, v98, v18, 0 op_sel:[0,1,0] op_sel_hi:[0,1,0]
	v_fma_mixlo_f16 v96, v98, v7, 0 op_sel_hi:[0,1,0]
	v_or_b32_e32 v7, v18, v19
	v_fma_mixlo_f16 v19, v98, v5, 0 op_sel_hi:[0,1,0]
	v_or_b32_e32 v5, v108, v109
	v_fma_mixlo_f16 v108, v98, v121, 0 op_sel:[0,1,0] op_sel_hi:[0,1,0]
	v_fma_mixlo_f16 v18, v98, v49, 0 op_sel:[0,1,0] op_sel_hi:[0,1,0]
	v_fma_mixlo_f16 v11, v98, v7, 0 op_sel_hi:[0,1,0]
	v_or_b32_e32 v7, v126, v127
	v_fma_mixlo_f16 v80, v98, v5, 0 op_sel_hi:[0,1,0]
	v_or_b32_e32 v5, v121, v122
	v_fma_mixlo_f16 v126, v98, v126, 0 op_sel:[0,1,0] op_sel_hi:[0,1,0]
	v_and_b32_e32 v19, 0xffff, v19
	v_fma_mixlo_f16 v127, v98, v7, 0 op_sel_hi:[0,1,0]
	v_or_b32_e32 v7, v103, v112
	v_fma_mixlo_f16 v109, v98, v5, 0 op_sel_hi:[0,1,0]
	v_or_b32_e32 v5, v91, v92
	v_fma_mixlo_f16 v92, v98, v91, 0 op_sel:[0,1,0] op_sel_hi:[0,1,0]
	v_and_b32_e32 v80, 0xffff, v80
	;; [unrolled: 6-line block ×6, first 2 shown]
	v_fma_mixlo_f16 v34, v98, v7, 0 op_sel_hi:[0,1,0]
	v_fma_mixlo_f16 v7, v98, v86, 0 op_sel:[0,1,0] op_sel_hi:[0,1,0]
	v_fma_mixlo_f16 v90, v98, v5, 0 op_sel_hi:[0,1,0]
	v_or_b32_e32 v5, v77, v78
	v_fma_mixlo_f16 v77, v98, v63, 0 op_sel:[0,1,0] op_sel_hi:[0,1,0]
	v_and_b32_e32 v10, 0xffff, v10
	v_fma_mixlo_f16 v76, v98, v5, 0 op_sel_hi:[0,1,0]
	v_or_b32_e32 v5, v63, v72
	v_fma_mixlo_f16 v63, v98, v73, 0 op_sel:[0,1,0] op_sel_hi:[0,1,0]
	v_fma_mixlo_f16 v78, v98, v5, 0 op_sel_hi:[0,1,0]
	v_or_b32_e32 v5, v73, v74
	v_fma_mixlo_f16 v73, v98, v59, 0 op_sel:[0,1,0] op_sel_hi:[0,1,0]
	;; [unrolled: 3-line block ×11, first 2 shown]
	v_fma_mixlo_f16 v42, v98, v5, 0 op_sel_hi:[0,1,0]
	v_or_b32_e32 v5, v117, v118
	v_fma_mixlo_f16 v116, v98, v5, 0 op_sel_hi:[0,1,0]
	v_fma_mixlo_f16 v5, v98, v103, 0 op_sel:[0,1,0] op_sel_hi:[0,1,0]
	v_fma_mixlo_f16 v103, v98, v113, 0 op_sel:[0,1,0] op_sel_hi:[0,1,0]
	;; [unrolled: 1-line block ×4, first 2 shown]
	ds_read_b64 v[101:102], v70
	v_and_b32_e32 v5, 0xffff, v5
	v_and_b32_e32 v86, 0xffff, v113
	s_waitcnt lgkmcnt(0)
	v_lshrrev_b32_e32 v24, 16, v101
	v_and_b32_e32 v6, 0xffff, v101
	v_lshrrev_b32_e32 v98, 16, v102
	v_and_b32_e32 v101, 0xffff, v102
	;;#ASMSTART
	v_cvt_f32_f16 v6, v6;
	;;#ASMEND
	;;#ASMSTART
	v_cvt_f32_f16 v24, v24;
	;;#ASMEND
	;; [unrolled: 3-line block ×6, first 2 shown]
	v_and_b32_e32 v98, 0xffff, v100
	;;#ASMSTART
	v_cvt_f32_f16 v100, v98;
	;;#ASMEND
	v_and_b32_e32 v98, 0xffff, v99
	;;#ASMSTART
	v_cvt_f32_f16 v113, v98;
	;;#ASMEND
	ds_read_b64 v[98:99], v70 offset:8
	s_waitcnt lgkmcnt(0)
	v_lshrrev_b32_e32 v114, 16, v98
	v_and_b32_e32 v98, 0xffff, v98
	;;#ASMSTART
	v_cvt_f32_f16 v98, v98;
	;;#ASMEND
	;;#ASMSTART
	v_cvt_f32_f16 v114, v114;
	;;#ASMEND
	;; [unrolled: 3-line block ×4, first 2 shown]
	v_mul_f32_e32 v5, v98, v49
	v_mul_f32_e32 v49, v114, v117
	v_fmac_f32_e32 v5, v6, v83
	v_fmac_f32_e32 v49, v24, v86
	v_lshrrev_b32_e32 v24, 16, v99
	v_and_b32_e32 v6, 0xffff, v99
	v_and_b32_e32 v83, 0xffff, v112
	;;#ASMSTART
	v_cvt_f32_f16 v6, v6;
	;;#ASMEND
	;;#ASMSTART
	v_cvt_f32_f16 v24, v24;
	;;#ASMEND
	;; [unrolled: 3-line block ×3, first 2 shown]
	v_mul_f32_e32 v98, v6, v83
	v_and_b32_e32 v86, 0xffff, v103
	;;#ASMSTART
	v_cvt_f32_f16 v86, v86;
	;;#ASMEND
	v_mul_f32_e32 v99, v24, v86
	v_and_b32_e32 v83, 0xffff, v42
	v_fmac_f32_e32 v98, v101, v100
	ds_read_b64 v[100:101], v70 offset:16
	v_and_b32_e32 v86, 0xffff, v41
	v_fmac_f32_e32 v99, v102, v113
	s_waitcnt lgkmcnt(0)
	v_lshrrev_b32_e32 v24, 16, v100
	v_and_b32_e32 v6, 0xffff, v100
	;;#ASMSTART
	v_cvt_f32_f16 v6, v6;
	;;#ASMEND
	;;#ASMSTART
	v_cvt_f32_f16 v24, v24;
	;;#ASMEND
	;;#ASMSTART
	v_cvt_f32_f16 v83, v83;
	;;#ASMEND
	;;#ASMSTART
	v_cvt_f32_f16 v86, v86;
	;;#ASMEND
	v_fmac_f32_e32 v5, v6, v83
	v_fmac_f32_e32 v49, v24, v86
	v_lshrrev_b32_e32 v24, 16, v101
	v_and_b32_e32 v6, 0xffff, v101
	v_and_b32_e32 v83, 0xffff, v116
	v_and_b32_e32 v86, 0xffff, v115
	;;#ASMSTART
	v_cvt_f32_f16 v6, v6;
	;;#ASMEND
	;;#ASMSTART
	v_cvt_f32_f16 v24, v24;
	;;#ASMEND
	;;#ASMSTART
	v_cvt_f32_f16 v83, v83;
	;;#ASMEND
	;;#ASMSTART
	v_cvt_f32_f16 v86, v86;
	;;#ASMEND
	ds_read_b64 v[100:101], v70 offset:24
	v_fmac_f32_e32 v98, v6, v83
	v_fmac_f32_e32 v99, v24, v86
	v_and_b32_e32 v83, 0xffff, v46
	v_and_b32_e32 v86, 0xffff, v45
	s_waitcnt lgkmcnt(0)
	v_lshrrev_b32_e32 v24, 16, v100
	v_and_b32_e32 v6, 0xffff, v100
	;;#ASMSTART
	v_cvt_f32_f16 v6, v6;
	;;#ASMEND
	;;#ASMSTART
	v_cvt_f32_f16 v24, v24;
	;;#ASMEND
	;;#ASMSTART
	v_cvt_f32_f16 v83, v83;
	;;#ASMEND
	;;#ASMSTART
	v_cvt_f32_f16 v86, v86;
	;;#ASMEND
	v_fmac_f32_e32 v5, v6, v83
	v_fmac_f32_e32 v49, v24, v86
	v_lshrrev_b32_e32 v24, 16, v101
	v_and_b32_e32 v6, 0xffff, v101
	v_and_b32_e32 v83, 0xffff, v40
	v_and_b32_e32 v86, 0xffff, v119
	;;#ASMSTART
	v_cvt_f32_f16 v6, v6;
	;;#ASMEND
	;;#ASMSTART
	v_cvt_f32_f16 v24, v24;
	;;#ASMEND
	;;#ASMSTART
	v_cvt_f32_f16 v83, v83;
	;;#ASMEND
	;;#ASMSTART
	v_cvt_f32_f16 v86, v86;
	;;#ASMEND
	ds_read_b64 v[100:101], v70 offset:32
	v_fmac_f32_e32 v98, v6, v83
	v_fmac_f32_e32 v99, v24, v86
	v_and_b32_e32 v83, 0xffff, v58
	v_and_b32_e32 v86, 0xffff, v57
	;; [unrolled: 38-line block ×8, first 2 shown]
	s_waitcnt lgkmcnt(0)
	v_lshrrev_b32_e32 v24, 16, v100
	v_and_b32_e32 v6, 0xffff, v100
	;;#ASMSTART
	v_cvt_f32_f16 v6, v6;
	;;#ASMEND
	;;#ASMSTART
	v_cvt_f32_f16 v24, v24;
	;;#ASMEND
	;; [unrolled: 3-line block ×4, first 2 shown]
	v_fmac_f32_e32 v5, v6, v83
	v_fmac_f32_e32 v49, v24, v86
	v_lshrrev_b32_e32 v24, 16, v101
	v_and_b32_e32 v6, 0xffff, v101
	v_and_b32_e32 v83, 0xffff, v91
	;;#ASMSTART
	v_cvt_f32_f16 v6, v6;
	;;#ASMEND
	;;#ASMSTART
	v_cvt_f32_f16 v24, v24;
	;;#ASMEND
	;;#ASMSTART
	v_cvt_f32_f16 v83, v83;
	;;#ASMEND
	;;#ASMSTART
	v_cvt_f32_f16 v25, v25;
	;;#ASMEND
	v_fmac_f32_e32 v99, v24, v25
	ds_read_b64 v[24:25], v70 offset:88
	v_fmac_f32_e32 v98, v6, v83
	s_waitcnt lgkmcnt(0)
	v_and_b32_e32 v6, 0xffff, v24
	v_lshrrev_b32_e32 v83, 16, v24
	;;#ASMSTART
	v_cvt_f32_f16 v6, v6;
	;;#ASMEND
	;;#ASMSTART
	v_cvt_f32_f16 v24, v83;
	;;#ASMEND
	;; [unrolled: 3-line block ×4, first 2 shown]
	v_fmac_f32_e32 v5, v6, v80
	v_fmac_f32_e32 v49, v24, v66
	v_lshrrev_b32_e32 v24, 16, v25
	v_and_b32_e32 v6, 0xffff, v25
	v_and_b32_e32 v25, 0xffff, v109
	;;#ASMSTART
	v_cvt_f32_f16 v6, v6;
	;;#ASMEND
	;;#ASMSTART
	v_cvt_f32_f16 v24, v24;
	;;#ASMEND
	;; [unrolled: 3-line block ×3, first 2 shown]
	v_and_b32_e32 v66, 0xffff, v108
	;;#ASMSTART
	v_cvt_f32_f16 v66, v66;
	;;#ASMEND
	v_fmac_f32_e32 v98, v6, v25
	v_fmac_f32_e32 v99, v24, v66
	ds_read_b64 v[24:25], v70 offset:96
	v_and_b32_e32 v80, 0xffff, v126
	s_waitcnt lgkmcnt(0)
	v_lshrrev_b32_e32 v66, 16, v24
	v_and_b32_e32 v6, 0xffff, v24
	;;#ASMSTART
	v_cvt_f32_f16 v6, v6;
	;;#ASMEND
	;;#ASMSTART
	v_cvt_f32_f16 v24, v66;
	;;#ASMEND
	v_and_b32_e32 v66, 0xffff, v127
	;;#ASMSTART
	v_cvt_f32_f16 v66, v66;
	;;#ASMEND
	;;#ASMSTART
	v_cvt_f32_f16 v80, v80;
	;;#ASMEND
	v_fmac_f32_e32 v5, v6, v66
	v_fmac_f32_e32 v49, v24, v80
	v_lshrrev_b32_e32 v24, 16, v25
	v_and_b32_e32 v6, 0xffff, v25
	;;#ASMSTART
	v_cvt_f32_f16 v6, v6;
	;;#ASMEND
	;;#ASMSTART
	v_cvt_f32_f16 v24, v24;
	;;#ASMEND
	;;#ASMSTART
	v_cvt_f32_f16 v19, v19;
	;;#ASMEND
	;;#ASMSTART
	v_cvt_f32_f16 v18, v18;
	;;#ASMEND
	v_fmac_f32_e32 v98, v6, v19
	v_fmac_f32_e32 v99, v24, v18
	ds_read_b64 v[18:19], v70 offset:104
	v_and_b32_e32 v25, 0xffff, v87
	s_waitcnt lgkmcnt(0)
	v_lshrrev_b32_e32 v24, 16, v18
	v_and_b32_e32 v6, 0xffff, v18
	;;#ASMSTART
	v_cvt_f32_f16 v6, v6;
	;;#ASMEND
	;;#ASMSTART
	v_cvt_f32_f16 v18, v24;
	;;#ASMEND
	v_and_b32_e32 v24, 0xffff, v96
	;;#ASMSTART
	v_cvt_f32_f16 v24, v24;
	;;#ASMEND
	;;#ASMSTART
	v_cvt_f32_f16 v25, v25;
	;;#ASMEND
	v_fmac_f32_e32 v5, v6, v24
	v_fmac_f32_e32 v49, v18, v25
	v_lshrrev_b32_e32 v18, 16, v19
	v_and_b32_e32 v6, 0xffff, v19
	;;#ASMSTART
	v_cvt_f32_f16 v6, v6;
	;;#ASMEND
	;;#ASMSTART
	v_cvt_f32_f16 v18, v18;
	;;#ASMEND
	;; [unrolled: 3-line block ×4, first 2 shown]
	v_fmac_f32_e32 v98, v6, v11
	v_fmac_f32_e32 v99, v18, v10
	ds_read_b64 v[10:11], v70 offset:112
	v_and_b32_e32 v19, 0xffff, v85
	s_waitcnt lgkmcnt(0)
	v_lshrrev_b32_e32 v18, 16, v10
	v_and_b32_e32 v6, 0xffff, v10
	;;#ASMSTART
	v_cvt_f32_f16 v6, v6;
	;;#ASMEND
	;;#ASMSTART
	v_cvt_f32_f16 v10, v18;
	;;#ASMEND
	v_and_b32_e32 v18, 0xffff, v22
	;;#ASMSTART
	v_cvt_f32_f16 v18, v18;
	;;#ASMEND
	;;#ASMSTART
	v_cvt_f32_f16 v19, v19;
	;;#ASMEND
	v_fmac_f32_e32 v5, v6, v18
	v_fmac_f32_e32 v49, v10, v19
	v_lshrrev_b32_e32 v10, 16, v11
	v_and_b32_e32 v6, 0xffff, v11
	v_and_b32_e32 v11, 0xffff, v30
	;;#ASMSTART
	v_cvt_f32_f16 v6, v6;
	;;#ASMEND
	;;#ASMSTART
	v_cvt_f32_f16 v10, v10;
	;;#ASMEND
	;;#ASMSTART
	v_cvt_f32_f16 v11, v11;
	;;#ASMEND
	v_and_b32_e32 v18, 0xffff, v21
	;;#ASMSTART
	v_cvt_f32_f16 v18, v18;
	;;#ASMEND
	v_fmac_f32_e32 v98, v6, v11
	v_fmac_f32_e32 v99, v10, v18
	ds_read_b64 v[10:11], v70 offset:120
	s_waitcnt lgkmcnt(0)
	v_lshrrev_b32_e32 v18, 16, v10
	v_and_b32_e32 v6, 0xffff, v10
	;;#ASMSTART
	v_cvt_f32_f16 v6, v6;
	;;#ASMEND
	;;#ASMSTART
	v_cvt_f32_f16 v10, v18;
	;;#ASMEND
	v_and_b32_e32 v18, 0xffff, v20
	;;#ASMSTART
	v_cvt_f32_f16 v18, v18;
	;;#ASMEND
	;;#ASMSTART
	v_cvt_f32_f16 v13, v13;
	;;#ASMEND
	v_fmac_f32_e32 v5, v6, v18
	v_fmac_f32_e32 v49, v10, v13
	v_lshrrev_b32_e32 v10, 16, v11
	v_and_b32_e32 v6, 0xffff, v11
	v_and_b32_e32 v11, 0xffff, v36
	;;#ASMSTART
	v_cvt_f32_f16 v6, v6;
	;;#ASMEND
	;;#ASMSTART
	v_cvt_f32_f16 v10, v10;
	;;#ASMEND
	;;#ASMSTART
	v_cvt_f32_f16 v11, v11;
	;;#ASMEND
	v_and_b32_e32 v13, 0xffff, v65
	;;#ASMSTART
	v_cvt_f32_f16 v13, v13;
	;;#ASMEND
	v_fmac_f32_e32 v98, v6, v11
	v_fmac_f32_e32 v99, v10, v13
	ds_read_b64 v[10:11], v70 offset:128
	;; [unrolled: 37-line block ×3, first 2 shown]
	s_waitcnt lgkmcnt(0)
	v_and_b32_e32 v6, 0xffff, v10
	v_lshrrev_b32_e32 v12, 16, v10
	;;#ASMSTART
	v_cvt_f32_f16 v6, v6;
	;;#ASMEND
	;;#ASMSTART
	v_cvt_f32_f16 v10, v12;
	;;#ASMEND
	;; [unrolled: 3-line block ×4, first 2 shown]
	v_fmac_f32_e32 v5, v6, v2
	v_fmac_f32_e32 v49, v10, v3
	v_lshrrev_b32_e32 v3, 16, v11
	v_and_b32_e32 v2, 0xffff, v11
	;;#ASMSTART
	v_cvt_f32_f16 v2, v2;
	;;#ASMEND
	;;#ASMSTART
	v_cvt_f32_f16 v3, v3;
	;;#ASMEND
	;; [unrolled: 3-line block ×4, first 2 shown]
	v_fmac_f32_e32 v98, v2, v0
	v_fmac_f32_e32 v99, v3, v1
	ds_read_b64 v[0:1], v70 offset:144
	v_and_b32_e32 v3, 0xffff, v54
	v_and_b32_e32 v6, 0xffff, v37
	s_waitcnt lgkmcnt(0)
	v_lshrrev_b32_e32 v2, 16, v0
	v_and_b32_e32 v0, 0xffff, v0
	;;#ASMSTART
	v_cvt_f32_f16 v0, v0;
	;;#ASMEND
	;;#ASMSTART
	v_cvt_f32_f16 v2, v2;
	;;#ASMEND
	;;#ASMSTART
	v_cvt_f32_f16 v3, v3;
	;;#ASMEND
	;;#ASMSTART
	v_cvt_f32_f16 v6, v6;
	;;#ASMEND
	v_fmac_f32_e32 v5, v0, v3
	v_fmac_f32_e32 v49, v2, v6
	v_lshrrev_b32_e32 v2, 16, v1
	v_and_b32_e32 v0, 0xffff, v1
	;;#ASMSTART
	v_cvt_f32_f16 v0, v0;
	;;#ASMEND
	;;#ASMSTART
	v_cvt_f32_f16 v1, v2;
	;;#ASMEND
	v_and_b32_e32 v2, 0xffff, v64
	v_and_b32_e32 v3, 0xffff, v4
	;;#ASMSTART
	v_cvt_f32_f16 v2, v2;
	;;#ASMEND
	;;#ASMSTART
	v_cvt_f32_f16 v3, v3;
	;;#ASMEND
	v_fmac_f32_e32 v98, v0, v2
	v_fmac_f32_e32 v99, v1, v3
	ds_read_b64 v[0:1], v70 offset:152
	v_and_b32_e32 v3, 0xffff, v53
	v_and_b32_e32 v4, 0xffff, v35
	s_waitcnt lgkmcnt(0)
	v_lshrrev_b32_e32 v2, 16, v0
	v_and_b32_e32 v0, 0xffff, v0
	;;#ASMSTART
	v_cvt_f32_f16 v0, v0;
	;;#ASMEND
	;;#ASMSTART
	v_cvt_f32_f16 v2, v2;
	;;#ASMEND
	;;#ASMSTART
	v_cvt_f32_f16 v3, v3;
	;;#ASMEND
	;;#ASMSTART
	v_cvt_f32_f16 v4, v4;
	;;#ASMEND
	v_fmac_f32_e32 v5, v0, v3
	v_fmac_f32_e32 v49, v2, v4
	v_lshrrev_b32_e32 v2, 16, v1
	v_and_b32_e32 v0, 0xffff, v1
	;;#ASMSTART
	v_cvt_f32_f16 v0, v0;
	;;#ASMEND
	;;#ASMSTART
	v_cvt_f32_f16 v1, v2;
	;;#ASMEND
	v_and_b32_e32 v2, 0xffff, v55
	v_and_b32_e32 v3, 0xffff, v125
	;;#ASMSTART
	v_cvt_f32_f16 v2, v2;
	;;#ASMEND
	;;#ASMSTART
	v_cvt_f32_f16 v3, v3;
	;;#ASMEND
	;; [unrolled: 38-line block ×5, first 2 shown]
	v_fmac_f32_e32 v98, v0, v2
	v_fmac_f32_e32 v99, v1, v3
	ds_read_b64 v[0:1], v70 offset:184
	v_and_b32_e32 v3, 0xffff, v34
	v_and_b32_e32 v4, 0xffff, v31
	s_waitcnt lgkmcnt(0)
	v_lshrrev_b32_e32 v2, 16, v0
	v_and_b32_e32 v0, 0xffff, v0
	;;#ASMSTART
	v_cvt_f32_f16 v0, v0;
	;;#ASMEND
	;;#ASMSTART
	v_cvt_f32_f16 v2, v2;
	;;#ASMEND
	;; [unrolled: 3-line block ×4, first 2 shown]
	v_fmac_f32_e32 v5, v0, v3
	v_fmac_f32_e32 v49, v2, v4
	v_lshrrev_b32_e32 v2, 16, v1
	v_and_b32_e32 v0, 0xffff, v1
	;;#ASMSTART
	v_cvt_f32_f16 v0, v0;
	;;#ASMEND
	;;#ASMSTART
	v_cvt_f32_f16 v1, v2;
	;;#ASMEND
	v_and_b32_e32 v2, 0xffff, v9
	;;#ASMSTART
	v_cvt_f32_f16 v2, v2;
	;;#ASMEND
	v_fmac_f32_e32 v98, v0, v2
	v_mbcnt_lo_u32_b32 v2, -1, 0
	v_and_b32_e32 v3, 0xffff, v7
	;;#ASMSTART
	v_cvt_f32_f16 v3, v3;
	;;#ASMEND
	v_fmac_f32_e32 v99, v1, v3
	v_add_f32_e32 v0, v5, v49
	v_xor_b32_e32 v1, 1, v2
	v_add_f32_e32 v0, v0, v98
	v_cmp_gt_i32_e64 s6, 32, v1
	v_add_f32_e32 v0, v99, v0
	v_cndmask_b32_e64 v1, v2, v1, s6
	v_lshlrev_b32_e32 v1, 2, v1
	ds_bpermute_b32 v1, v1, v0
	s_and_saveexec_b32 s24, vcc_lo
	s_cbranch_execz .LBB286_11
; %bb.787:                              ;   in Loop: Header=BB286_13 Depth=1
	s_clause 0x1
	buffer_load_dword v2, off, s[0:3], s32 offset:252
	buffer_load_dword v3, off, s[0:3], s32 offset:244
	s_waitcnt lgkmcnt(0)
	v_add_f32_e32 v0, v0, v1
	s_load_dword s25, s[8:9], 0x0
	s_waitcnt vmcnt(1)
	v_add_nc_u32_e32 v2, v2, v71
	v_cvt_f32_i32_e32 v2, v2
	s_waitcnt vmcnt(0)
	v_mul_f32_e32 v2, v3, v2
	buffer_load_dword v3, off, s[0:3], s32 offset:240 ; 4-byte Folded Reload
	v_cndmask_b32_e64 v1, 0, v2, s5
	buffer_load_dword v2, off, s[0:3], s32 offset:248 ; 4-byte Folded Reload
	s_waitcnt vmcnt(1)
	v_fmac_f32_e32 v1, v3, v0
	buffer_load_dword v3, off, s[0:3], s32 offset:228 ; 4-byte Folded Reload
	s_waitcnt vmcnt(1)
	v_add_nc_u32_e32 v2, v2, v71
	v_cmp_lt_i32_e64 s6, v2, v38
	s_waitcnt lgkmcnt(0)
	v_add_nc_u32_e32 v2, s25, v84
	s_waitcnt vmcnt(0)
	v_max_f32_e32 v0, v3, v3
	v_max_f32_e32 v0, v0, v1
	v_cndmask_b32_e64 v1, 0, v1, s6
	v_cndmask_b32_e64 v3, v3, v0, s6
	ds_write_b32 v2, v1
	buffer_store_dword v3, off, s[0:3], s32 offset:228 ; 4-byte Folded Spill
	s_branch .LBB286_11
.LBB286_788:
	s_or_b32 exec_lo, exec_lo, s23
	s_clause 0x10
	buffer_load_dword v15, off, s[0:3], s32 offset:276
	buffer_load_dword v14, off, s[0:3], s32 offset:280
	;; [unrolled: 1-line block ×17, first 2 shown]
.LBB286_789:
	s_or_b32 exec_lo, exec_lo, s22
	v_mbcnt_lo_u32_b32 v6, -1, 0
	s_waitcnt vmcnt(0)
	v_max_f32_e32 v2, v10, v10
	s_waitcnt lgkmcnt(0)
	s_lshr_b32 s8, s21, 16
	v_xor_b32_e32 v0, 16, v6
	v_xor_b32_e32 v1, 8, v6
	v_cmp_gt_i32_e32 vcc_lo, 32, v0
	v_cndmask_b32_e32 v0, v6, v0, vcc_lo
	v_cmp_gt_i32_e32 vcc_lo, 32, v1
	v_lshlrev_b32_e32 v3, 2, v0
	v_cndmask_b32_e32 v1, v6, v1, vcc_lo
	ds_bpermute_b32 v0, v3, v10
	v_lshlrev_b32_e32 v4, 2, v1
	s_waitcnt lgkmcnt(0)
	v_max_f32_e32 v0, v0, v0
	v_max_f32_e32 v0, v2, v0
	v_xor_b32_e32 v2, 4, v6
	ds_bpermute_b32 v1, v4, v0
	v_cmp_gt_i32_e32 vcc_lo, 32, v2
	v_cndmask_b32_e32 v2, v6, v2, vcc_lo
	v_lshlrev_b32_e32 v5, 2, v2
	v_xor_b32_e32 v2, 2, v6
	v_cmp_gt_i32_e32 vcc_lo, 32, v2
	s_waitcnt lgkmcnt(0)
	v_max_f32_e32 v1, v1, v1
	v_cndmask_b32_e32 v2, v6, v2, vcc_lo
	buffer_load_dword v6, off, s[0:3], s32 offset:216 ; 4-byte Folded Reload
	v_max_f32_e32 v0, v0, v1
	v_lshlrev_b32_e32 v2, 2, v2
	ds_bpermute_b32 v1, v5, v0
	s_waitcnt lgkmcnt(0)
	v_max_f32_e32 v1, v1, v1
	v_max_f32_e32 v0, v0, v1
	ds_bpermute_b32 v1, v2, v0
	s_waitcnt vmcnt(0)
	v_and_b32_e32 v35, 31, v6
	buffer_load_dword v6, off, s[0:3], s32 offset:256 ; 4-byte Folded Reload
	v_cmp_eq_u32_e32 vcc_lo, 0, v35
	s_waitcnt vmcnt(0)
	v_lshlrev_b32_e32 v6, 2, v6
	s_and_saveexec_b32 s5, vcc_lo
	s_cbranch_execz .LBB286_791
; %bb.790:
	s_waitcnt lgkmcnt(0)
	v_max_f32_e32 v1, v1, v1
	v_max_f32_e32 v0, v0, v0
	;; [unrolled: 1-line block ×3, first 2 shown]
	ds_write_b32 v6, v0 offset:384
.LBB286_791:
	s_or_b32 exec_lo, exec_lo, s5
	v_cmp_gt_u32_e64 s5, 4, v35
	v_mov_b32_e32 v0, 0xff7fffff
	v_lshlrev_b32_e32 v7, 2, v35
	s_waitcnt lgkmcnt(0)
	s_waitcnt_vscnt null, 0x0
	s_barrier
	buffer_gl0_inv
	s_and_saveexec_b32 s6, s5
; %bb.792:
	ds_read_b32 v0, v7 offset:384
; %bb.793:
	s_or_b32 exec_lo, exec_lo, s6
	s_waitcnt lgkmcnt(0)
	ds_bpermute_b32 v1, v2, v0
	v_mbcnt_lo_u32_b32 v9, -1, 0
	v_max_f32_e32 v0, v0, v0
	v_xor_b32_e32 v8, 1, v9
	v_cmp_gt_i32_e64 s6, 32, v8
	v_cndmask_b32_e64 v8, v9, v8, s6
	v_subrev_nc_u32_e32 v9, s13, v51
	s_waitcnt lgkmcnt(0)
	v_max_f32_e32 v1, v1, v1
	v_lshlrev_b32_e32 v20, 2, v8
	v_mov_b32_e32 v8, 0
	v_max_f32_e32 v0, v0, v1
	ds_bpermute_b32 v1, v20, v0
	s_waitcnt lgkmcnt(0)
	v_max_f32_e32 v1, v1, v1
	v_max_f32_e32 v0, v0, v1
	v_lshl_add_u32 v1, v9, 4, s20
	buffer_load_dword v9, off, s[0:3], s32 offset:216 ; 4-byte Folded Reload
	ds_bpermute_b32 v0, v8, v0
	v_min_i32_e32 v1, v1, v38
	v_subrev_nc_u32_e32 v1, s20, v1
	s_waitcnt vmcnt(0)
	v_cmp_lt_i32_e64 s6, v9, v1
	s_and_saveexec_b32 s9, s6
	s_cbranch_execz .LBB286_797
; %bb.794:
	buffer_load_dword v10, off, s[0:3], s32 offset:216 ; 4-byte Folded Reload
	s_getpc_b64 s[20:21]
	s_add_u32 s20, s20, llvm.amdgcn.dynlds.offset.table@rel32@lo+4
	s_addc_u32 s21, s21, llvm.amdgcn.dynlds.offset.table@rel32@hi+12
	s_ashr_i32 s17, s16, 31
	v_mov_b32_e32 v8, 0
	s_lshl_b64 s[22:23], s[16:17], 2
	s_mov_b32 s13, 0
	s_add_u32 s20, s20, s22
	s_addc_u32 s21, s21, s23
	s_load_dword s7, s[20:21], 0x0
	s_waitcnt vmcnt(0) lgkmcnt(0)
	v_lshl_add_u32 v9, v10, 2, s7
	.p2align	6
.LBB286_795:                            ; =>This Inner Loop Header: Depth=1
	ds_read_b32 v12, v9
	v_add_nc_u32_e32 v10, 0x80, v10
	v_cmp_ge_i32_e64 s7, v10, v1
	s_or_b32 s13, s7, s13
	s_waitcnt lgkmcnt(0)
	v_sub_f32_e32 v12, v12, v0
	v_mul_f32_e32 v12, 0x3fb8aa3b, v12
	v_exp_f32_e32 v12, v12
	ds_write_b32 v9, v12
	v_add_f32_e32 v8, v8, v12
	v_add_nc_u32_e32 v9, 0x200, v9
	s_andn2_b32 exec_lo, exec_lo, s13
	s_cbranch_execnz .LBB286_795
; %bb.796:
	s_or_b32 exec_lo, exec_lo, s13
.LBB286_797:
	s_or_b32 exec_lo, exec_lo, s9
	ds_bpermute_b32 v3, v3, v8
	s_waitcnt lgkmcnt(0)
	v_add_f32_e32 v3, v8, v3
	ds_bpermute_b32 v4, v4, v3
	s_waitcnt lgkmcnt(0)
	v_add_f32_e32 v3, v3, v4
	;; [unrolled: 3-line block ×5, first 2 shown]
	s_and_saveexec_b32 s7, vcc_lo
; %bb.798:
	ds_write_b32 v6, v3 offset:400
; %bb.799:
	s_or_b32 exec_lo, exec_lo, s7
	s_waitcnt lgkmcnt(0)
	s_barrier
	buffer_gl0_inv
	s_and_saveexec_b32 s7, s5
; %bb.800:
	ds_read_b32 v3, v7 offset:400
; %bb.801:
	s_or_b32 exec_lo, exec_lo, s7
	s_waitcnt lgkmcnt(0)
	ds_bpermute_b32 v2, v2, v3
	s_waitcnt lgkmcnt(0)
	v_add_f32_e32 v2, v3, v2
	ds_bpermute_b32 v3, v20, v2
	s_waitcnt lgkmcnt(0)
	v_add_f32_e32 v2, v2, v3
	v_mov_b32_e32 v3, 0
	ds_bpermute_b32 v2, v3, v2
	s_and_saveexec_b32 s5, s6
	s_cbranch_execz .LBB286_804
; %bb.802:
	s_waitcnt lgkmcnt(0)
	v_add_f32_e32 v4, 0x358637bd, v2
	s_getpc_b64 s[6:7]
	s_add_u32 s6, s6, llvm.amdgcn.dynlds.offset.table@rel32@lo+4
	s_addc_u32 s7, s7, llvm.amdgcn.dynlds.offset.table@rel32@hi+12
	s_ashr_i32 s17, s16, 31
	s_lshl_b64 s[20:21], s[16:17], 2
	v_div_scale_f32 v3, null, v4, v4, 1.0
	v_div_scale_f32 v7, vcc_lo, 1.0, v4, 1.0
	s_add_u32 s6, s6, s20
	v_rcp_f32_e32 v5, v3
	s_addc_u32 s7, s7, s21
	s_load_dword s6, s[6:7], 0x0
	v_fma_f32 v6, -v3, v5, 1.0
	v_fmac_f32_e32 v5, v6, v5
	v_mul_f32_e32 v6, v7, v5
	v_fma_f32 v8, -v3, v6, v7
	v_fmac_f32_e32 v6, v8, v5
	v_fma_f32 v3, -v3, v6, v7
	v_div_fmas_f32 v5, v3, v5, v6
	buffer_load_dword v6, off, s[0:3], s32 offset:216 ; 4-byte Folded Reload
	v_div_fixup_f32 v4, v5, v4, 1.0
	s_waitcnt vmcnt(0) lgkmcnt(0)
	v_lshl_add_u32 v3, v6, 2, s6
	v_mov_b32_e32 v5, v6
	s_mov_b32 s6, 0
.LBB286_803:                            ; =>This Inner Loop Header: Depth=1
	ds_read_b32 v6, v3
	v_add_nc_u32_e32 v5, 0x80, v5
	v_cmp_ge_i32_e32 vcc_lo, v5, v1
	s_or_b32 s6, vcc_lo, s6
	s_waitcnt lgkmcnt(0)
	v_mul_f32_e32 v6, v4, v6
	ds_write_b32 v3, v6
	v_add_nc_u32_e32 v3, 0x200, v3
	s_andn2_b32 exec_lo, exec_lo, s6
	s_cbranch_execnz .LBB286_803
.LBB286_804:
	s_or_b32 exec_lo, exec_lo, s5
	s_waitcnt lgkmcnt(0)
	buffer_load_dword v1, off, s[0:3], s32 offset:216 ; 4-byte Folded Reload
	s_and_b32 s5, 0xffff, s8
	s_mov_b32 s8, exec_lo
	s_cmp_lg_u32 s5, 0
	s_barrier
	s_cselect_b32 s5, -1, 0
	s_waitcnt vmcnt(0)
	buffer_gl0_inv
	s_cmp_lg_u32 s5, 0
	s_addc_u32 s5, s11, 0
	s_mul_i32 s6, s5, s18
	s_mul_i32 s6, s6, s15
	v_cmpx_eq_u32_e32 0, v1
	s_cbranch_execz .LBB286_806
; %bb.805:
	s_ashr_i32 s7, s6, 31
	s_mul_i32 s12, s5, s12
	s_lshl_b64 s[20:21], s[6:7], 2
	s_ashr_i32 s13, s12, 31
	v_add_co_u32 v1, vcc_lo, v33, s20
	v_add_co_ci_u32_e64 v3, null, s21, v32, vcc_lo
	s_lshl_b64 s[12:13], s[12:13], 2
	s_ashr_i32 s15, s14, 31
	v_add_co_u32 v1, vcc_lo, v1, s12
	v_add_co_ci_u32_e64 v4, null, s13, v3, vcc_lo
	v_add_co_u32 v3, vcc_lo, v25, s20
	v_add_co_ci_u32_e64 v5, null, s21, v24, vcc_lo
	s_lshl_b64 s[20:21], s[14:15], 2
	v_add_co_u32 v6, vcc_lo, v3, s12
	v_add_co_ci_u32_e64 v7, null, s13, v5, vcc_lo
	v_add_co_u32 v3, vcc_lo, v1, s20
	v_add_co_ci_u32_e64 v4, null, s21, v4, vcc_lo
	;; [unrolled: 2-line block ×3, first 2 shown]
	flat_store_dword v[3:4], v0
	flat_store_dword v[5:6], v2
.LBB286_806:
	s_or_b32 exec_lo, exec_lo, s8
	s_getpc_b64 s[8:9]
	s_add_u32 s8, s8, llvm.amdgcn.dynlds.offset.table@rel32@lo+4
	s_addc_u32 s9, s9, llvm.amdgcn.dynlds.offset.table@rel32@hi+12
	s_ashr_i32 s17, s16, 31
	v_mov_b32_e32 v66, 0
	s_lshl_b64 s[12:13], s[16:17], 2
	v_mov_b32_e32 v67, 0
	s_add_u32 s8, s8, s12
	s_addc_u32 s9, s9, s13
	v_mov_b32_e32 v65, 0
	s_load_dword s11, s[8:9], 0x0
	v_mov_b32_e32 v34, 0
	v_mov_b32_e32 v33, 0
	;; [unrolled: 1-line block ×9, first 2 shown]
	s_waitcnt lgkmcnt(0)
	v_mov_b32_e32 v12, s11
	s_and_saveexec_b32 s7, s4
	s_cbranch_execz .LBB286_1604
; %bb.807:
	buffer_load_dword v7, off, s[0:3], s32 offset:216 ; 4-byte Folded Reload
	v_add_co_u32 v2, vcc_lo, v22, v13
	v_and_b32_e32 v6, 0xf8, v19
	v_add_co_ci_u32_e64 v3, null, v11, v53, vcc_lo
	v_max_i32_e32 v30, v30, v49
	v_lshlrev_b64 v[4:5], 2, v[16:17]
	v_add_co_u32 v2, vcc_lo, v2, v6
	v_add_co_ci_u32_e64 v3, null, 0, v3, vcc_lo
	v_cvt_f32_u32_e32 v0, v30
	v_sub_nc_u32_e32 v8, 0, v30
	v_add_co_u32 v4, vcc_lo, v36, v4
	v_add_co_ci_u32_e64 v5, null, v37, v5, vcc_lo
	v_rcp_iflag_f32_e32 v0, v0
	v_and_b32_e32 v55, 8, v19
	v_add_nc_u32_e32 v53, -1, v18
	v_mov_b32_e32 v1, 0
	v_mov_b32_e32 v17, 0x80
	;; [unrolled: 1-line block ×7, first 2 shown]
	v_mul_f32_e32 v0, 0x4f7ffffe, v0
	v_mov_b32_e32 v25, 0
	v_mov_b32_e32 v28, 0
	;; [unrolled: 1-line block ×4, first 2 shown]
	v_cvt_u32_f32_e32 v0, v0
	v_mov_b32_e32 v32, 0
	v_mov_b32_e32 v33, 0
	;; [unrolled: 1-line block ×4, first 2 shown]
	v_mul_lo_u32 v8, v8, v0
	v_mov_b32_e32 v67, 0
	v_mov_b32_e32 v66, 0
	s_mov_b32 s12, -1
	s_mov_b32 s13, 0xffffff
	v_mul_hi_u32 v9, v0, v8
	s_waitcnt vmcnt(0)
	v_and_b32_e32 v7, 1, v7
	v_lshlrev_b32_e32 v6, 5, v7
	buffer_load_dword v7, off, s[0:3], s32 offset:256 ; 4-byte Folded Reload
	s_waitcnt vmcnt(0)
	v_lshl_or_b32 v6, v7, 6, v6
	v_add_co_u32 v7, vcc_lo, v14, v4
	v_add_co_ci_u32_e64 v8, null, v15, v5, vcc_lo
	v_add_nc_u32_e32 v14, s11, v6
	v_add_nc_u32_e32 v15, v0, v9
	s_mov_b32 s11, 0
	s_branch .LBB286_810
.LBB286_808:                            ;   in Loop: Header=BB286_810 Depth=1
	s_or_b32 exec_lo, exec_lo, s4
	v_add_f32_e32 v4, v4, v5
	v_add_f32_e32 v5, v113, v114
	;; [unrolled: 1-line block ×7, first 2 shown]
	;;#ASMSTART
	v_pk_mul_f16 v5, v85, v10;

	;;#ASMEND
	;;#ASMSTART
	v_pk_mul_f16 v9, v82, v9;

	;;#ASMEND
	;; [unrolled: 4-line block ×4, first 2 shown]
	;;#ASMSTART
	v_pk_add_f16 v5, v5, v9;

	;;#ASMEND
	;;#ASMSTART
	v_pk_add_f16 v5, v5, v6;

	;;#ASMEND
	;; [unrolled: 4-line block ×3, first 2 shown]
	v_and_b32_e32 v9, 0xffff, v0
	v_lshrrev_b32_e32 v10, 16, v0
	;;#ASMSTART
	v_cvt_f32_f16 v9, v9;
	;;#ASMEND
	v_add_f32_e32 v24, v24, v11
	v_add_f32_e32 v11, v103, v112
	;; [unrolled: 1-line block ×7, first 2 shown]
	;;#ASMSTART
	v_cvt_f32_f16 v10, v10;
	;;#ASMEND
	v_add_f32_e32 v9, v9, v10
	v_add_f32_e32 v25, v25, v12
	v_add_f32_e32 v28, v28, v18
	v_add_f32_e32 v29, v29, v13
	v_add_f32_e32 v33, v33, v11
	v_add_f32_e32 v34, v34, v4
	v_add_f32_e32 v65, v65, v0
	v_add_f32_e32 v67, v67, v5
	v_add_f32_e32 v66, v66, v6
	v_add_f32_e32 v21, v21, v9
.LBB286_809:                            ;   in Loop: Header=BB286_810 Depth=1
	s_or_b32 exec_lo, exec_lo, s15
	v_add_nc_u32_e32 v16, 4, v16
	v_add_co_u32 v7, s4, v7, 16
	v_add_co_ci_u32_e64 v8, null, 0, v8, s4
	v_cmp_ge_i32_e32 vcc_lo, v16, v51
	v_add_nc_u32_e32 v23, 64, v23
	v_add_nc_u32_e32 v14, 0x100, v14
	s_or_b32 s11, vcc_lo, s11
	s_andn2_b32 exec_lo, exec_lo, s11
	s_cbranch_execz .LBB286_1603
.LBB286_810:                            ; =>This Inner Loop Header: Depth=1
	v_sub_nc_u32_e32 v0, 0, v23
	v_max_i32_e32 v0, v23, v0
	v_mul_hi_u32 v4, v0, v48
	v_mul_lo_u32 v5, v4, v39
	v_sub_nc_u32_e32 v0, v0, v5
	v_add_nc_u32_e32 v5, 1, v4
	v_sub_nc_u32_e32 v6, v0, v39
	v_cmp_ge_u32_e32 vcc_lo, v0, v39
	v_cndmask_b32_e32 v4, v4, v5, vcc_lo
	v_cndmask_b32_e32 v0, v0, v6, vcc_lo
	v_ashrrev_i32_e32 v5, 31, v23
	v_add_nc_u32_e32 v6, 1, v4
	v_cmp_ge_u32_e32 vcc_lo, v0, v39
	v_xor_b32_e32 v5, v5, v50
	v_cndmask_b32_e32 v0, v4, v6, vcc_lo
	v_xor_b32_e32 v0, v0, v5
	v_sub_nc_u32_e32 v0, v0, v5
	s_clause 0x1
	buffer_load_dword v4, off, s[0:3], s32 offset:200
	buffer_load_dword v5, off, s[0:3], s32 offset:204
	v_cmp_gt_i32_e64 s4, v0, v52
	s_waitcnt vmcnt(1)
	v_add_nc_u32_e32 v4, v0, v4
	s_waitcnt vmcnt(0)
	v_sub_nc_u32_e32 v5, 0, v4
	v_max_i32_e32 v5, v4, v5
	v_ashrrev_i32_e32 v4, 31, v4
	v_mul_hi_u32 v6, v5, v15
	v_mul_lo_u32 v6, v6, v30
	v_sub_nc_u32_e32 v5, v5, v6
	v_sub_nc_u32_e32 v6, v5, v30
	v_cmp_ge_u32_e32 vcc_lo, v5, v30
	v_cndmask_b32_e32 v5, v5, v6, vcc_lo
	v_sub_nc_u32_e32 v6, v5, v30
	v_cmp_ge_u32_e32 vcc_lo, v5, v30
	v_cndmask_b32_e32 v5, v5, v6, vcc_lo
	v_xor_b32_e32 v5, v5, v4
	v_sub_nc_u32_e32 v4, v5, v4
	v_cmp_eq_u32_e32 vcc_lo, 0, v4
	s_or_b32 s4, vcc_lo, s4
	s_and_saveexec_b32 s15, s4
	s_cbranch_execz .LBB286_809
; %bb.811:                              ;   in Loop: Header=BB286_810 Depth=1
	flat_load_dword v0, v[7:8]
	ds_read2_b64 v[10:13], v14 offset1:1
	ds_read2_b64 v[80:83], v14 offset0:2 offset1:3
	v_mov_b32_e32 v70, 0
	v_mov_b32_e32 v71, 0
	s_waitcnt lgkmcnt(1)
	;;#ASMSTART
	v_cvt_f16_f32 v4, v10;

	;;#ASMEND
	buffer_load_dword v5, off, s[0:3], s32 offset:208 ; 4-byte Folded Reload
	s_waitcnt vmcnt(0)
	v_mad_i64_i32 v[9:10], null, v0, v5, v[2:3]
	;;#ASMSTART
	v_cvt_f16_f32 v5, v11;

	;;#ASMEND
	;;#ASMSTART
	v_cvt_f16_f32 v36, v12;

	;;#ASMEND
	;; [unrolled: 4-line block ×3, first 2 shown]
	s_waitcnt lgkmcnt(0)
	;;#ASMSTART
	v_cvt_f16_f32 v37, v80;

	;;#ASMEND
	;;#ASMSTART
	v_cvt_f16_f32 v19, v81;

	;;#ASMEND
	;; [unrolled: 4-line block ×4, first 2 shown]
	flat_load_dwordx2 v[11:12], v[9:10]
	flat_load_dword v69, v[26:27]
	s_waitcnt vmcnt(1) lgkmcnt(1)
	v_cmp_ne_u16_sdwa s16, v11, v1 src0_sel:BYTE_0 src1_sel:DWORD
	s_and_saveexec_b32 s4, s16
	s_cbranch_execz .LBB286_819
; %bb.812:                              ;   in Loop: Header=BB286_810 Depth=1
	v_cmp_ne_u16_sdwa s17, v11, v17 src0_sel:BYTE_0 src1_sel:DWORD
	v_mov_b32_e32 v71, 0x8000
	s_and_saveexec_b32 s16, s17
	s_cbranch_execz .LBB286_818
; %bb.813:                              ;   in Loop: Header=BB286_810 Depth=1
	v_and_b32_e32 v18, 0x7f, v11
	v_mov_b32_e32 v71, 0x7c01
	s_mov_b32 s17, exec_lo
	v_cmpx_ne_u32_e32 0x7f, v18
	s_cbranch_execz .LBB286_817
; %bb.814:                              ;   in Loop: Header=BB286_810 Depth=1
	v_and_b32_e32 v0, 7, v11
	v_lshrrev_b32_e32 v6, 3, v18
	s_mov_b32 s18, exec_lo
	v_cmpx_gt_u32_e32 8, v18
; %bb.815:                              ;   in Loop: Header=BB286_810 Depth=1
	v_ffbh_u32_e32 v0, v0
	v_min_u32_e32 v0, 32, v0
	v_subrev_nc_u32_e32 v6, 28, v0
	v_lshlrev_b64 v[80:81], v6, v[11:12]
	v_sub_nc_u32_e32 v6, 29, v0
	v_and_b32_e32 v0, 7, v80
; %bb.816:                              ;   in Loop: Header=BB286_810 Depth=1
	s_or_b32 exec_lo, exec_lo, s18
	v_lshlrev_b32_e32 v18, 8, v11
	v_lshl_add_u32 v6, v6, 10, 0x2000
	v_lshlrev_b32_e32 v0, 7, v0
	v_and_b32_e32 v18, 0x8000, v18
	v_and_b32_e32 v6, 0xfc00, v6
	v_or3_b32 v71, v18, v6, v0
.LBB286_817:                            ;   in Loop: Header=BB286_810 Depth=1
	s_or_b32 exec_lo, exec_lo, s17
.LBB286_818:                            ;   in Loop: Header=BB286_810 Depth=1
	s_or_b32 exec_lo, exec_lo, s16
.LBB286_819:                            ;   in Loop: Header=BB286_810 Depth=1
	s_or_b32 exec_lo, exec_lo, s4
	v_lshrrev_b16 v0, 8, v11
	s_mov_b32 s4, exec_lo
	v_cmpx_ne_u16_e32 0, v0
	s_cbranch_execz .LBB286_827
; %bb.820:                              ;   in Loop: Header=BB286_810 Depth=1
	v_bfrev_b32_e32 v70, 1
	s_mov_b32 s16, exec_lo
	v_cmpx_ne_u16_e32 0x80, v0
	s_cbranch_execz .LBB286_826
; %bb.821:                              ;   in Loop: Header=BB286_810 Depth=1
	v_and_b32_sdwa v80, v0, v54 dst_sel:DWORD dst_unused:UNUSED_PAD src0_sel:WORD_0 src1_sel:DWORD
	v_mov_b32_e32 v70, 0x7c010000
	s_mov_b32 s17, exec_lo
	v_cmpx_ne_u32_e32 0x7f, v80
	s_cbranch_execz .LBB286_825
; %bb.822:                              ;   in Loop: Header=BB286_810 Depth=1
	v_and_b32_sdwa v6, v0, v64 dst_sel:DWORD dst_unused:UNUSED_PAD src0_sel:WORD_0 src1_sel:DWORD
	v_lshrrev_b32_e32 v18, 3, v80
	s_mov_b32 s18, exec_lo
	v_cmpx_gt_u32_e32 8, v80
; %bb.823:                              ;   in Loop: Header=BB286_810 Depth=1
	v_ffbh_u32_e32 v6, v6
	v_min_u32_e32 v6, 32, v6
	v_subrev_nc_u32_e32 v18, 28, v6
	v_lshlrev_b64 v[80:81], v18, v[0:1]
	v_sub_nc_u32_e32 v18, 29, v6
	v_and_b32_e32 v6, 7, v80
; %bb.824:                              ;   in Loop: Header=BB286_810 Depth=1
	s_or_b32 exec_lo, exec_lo, s18
	v_lshlrev_b32_sdwa v0, v68, v0 dst_sel:DWORD dst_unused:UNUSED_PAD src0_sel:DWORD src1_sel:WORD_0
	v_lshl_add_u32 v18, v18, 10, 0x2000
	v_lshlrev_b32_e32 v6, 23, v6
	v_and_or_b32 v0, 0x8000, v0, v18
	v_lshl_or_b32 v70, v0, 16, v6
.LBB286_825:                            ;   in Loop: Header=BB286_810 Depth=1
	s_or_b32 exec_lo, exec_lo, s17
.LBB286_826:                            ;   in Loop: Header=BB286_810 Depth=1
	s_or_b32 exec_lo, exec_lo, s16
.LBB286_827:                            ;   in Loop: Header=BB286_810 Depth=1
	s_or_b32 exec_lo, exec_lo, s4
	v_lshrrev_b32_e32 v0, 16, v11
	v_mov_b32_e32 v80, 0
	v_mov_b32_e32 v18, 0
	v_cmp_ne_u16_sdwa s16, v0, v1 src0_sel:BYTE_0 src1_sel:DWORD
	s_and_saveexec_b32 s4, s16
	s_cbranch_execz .LBB286_835
; %bb.828:                              ;   in Loop: Header=BB286_810 Depth=1
	v_cmp_ne_u16_sdwa s17, v0, v17 src0_sel:BYTE_0 src1_sel:DWORD
	v_mov_b32_e32 v18, 0x8000
	s_and_saveexec_b32 s16, s17
	s_cbranch_execz .LBB286_834
; %bb.829:                              ;   in Loop: Header=BB286_810 Depth=1
	v_bfe_u32 v81, v11, 16, 7
	v_mov_b32_e32 v18, 0x7c01
	s_mov_b32 s17, exec_lo
	v_cmpx_ne_u32_e32 0x7f, v81
	s_cbranch_execz .LBB286_833
; %bb.830:                              ;   in Loop: Header=BB286_810 Depth=1
	v_and_b32_e32 v6, 7, v0
	v_lshrrev_b32_e32 v18, 3, v81
	s_mov_b32 s18, exec_lo
	v_cmpx_gt_u32_e32 8, v81
; %bb.831:                              ;   in Loop: Header=BB286_810 Depth=1
	v_ffbh_u32_e32 v6, v6
	v_min_u32_e32 v6, 32, v6
	v_subrev_nc_u32_e32 v18, 28, v6
	v_lshlrev_b64 v[81:82], v18, v[0:1]
	v_sub_nc_u32_e32 v18, 29, v6
	v_and_b32_e32 v6, 7, v81
; %bb.832:                              ;   in Loop: Header=BB286_810 Depth=1
	s_or_b32 exec_lo, exec_lo, s18
	v_lshlrev_b32_e32 v0, 8, v0
	v_lshl_add_u32 v18, v18, 10, 0x2000
	v_lshlrev_b32_e32 v6, 7, v6
	v_and_b32_e32 v0, 0x8000, v0
	v_and_b32_e32 v18, 0xfc00, v18
	v_or3_b32 v18, v0, v18, v6
.LBB286_833:                            ;   in Loop: Header=BB286_810 Depth=1
	s_or_b32 exec_lo, exec_lo, s17
.LBB286_834:                            ;   in Loop: Header=BB286_810 Depth=1
	s_or_b32 exec_lo, exec_lo, s16
.LBB286_835:                            ;   in Loop: Header=BB286_810 Depth=1
	s_or_b32 exec_lo, exec_lo, s4
	s_mov_b32 s4, exec_lo
	v_cmpx_lt_u32_e32 0xffffff, v11
	s_cbranch_execz .LBB286_843
; %bb.836:                              ;   in Loop: Header=BB286_810 Depth=1
	v_lshrrev_b32_e32 v0, 24, v11
	v_bfrev_b32_e32 v80, 1
	s_mov_b32 s16, exec_lo
	v_cmpx_ne_u32_e32 0x80, v0
	s_cbranch_execz .LBB286_842
; %bb.837:                              ;   in Loop: Header=BB286_810 Depth=1
	v_and_b32_e32 v81, 0x7f, v0
	v_mov_b32_e32 v80, 0x7c010000
	s_mov_b32 s17, exec_lo
	v_cmpx_ne_u32_e32 0x7f, v81
	s_cbranch_execz .LBB286_841
; %bb.838:                              ;   in Loop: Header=BB286_810 Depth=1
	v_and_b32_e32 v6, 7, v0
	v_lshrrev_b32_e32 v80, 3, v81
	s_mov_b32 s18, exec_lo
	v_cmpx_gt_u32_e32 8, v81
; %bb.839:                              ;   in Loop: Header=BB286_810 Depth=1
	v_ffbh_u32_e32 v6, v6
	v_min_u32_e32 v6, 32, v6
	v_subrev_nc_u32_e32 v80, 28, v6
	v_lshlrev_b64 v[81:82], v80, v[0:1]
	v_sub_nc_u32_e32 v80, 29, v6
	v_and_b32_e32 v6, 7, v81
; %bb.840:                              ;   in Loop: Header=BB286_810 Depth=1
	s_or_b32 exec_lo, exec_lo, s18
	v_lshlrev_b32_e32 v0, 8, v0
	v_lshl_add_u32 v80, v80, 10, 0x2000
	v_lshlrev_b32_e32 v6, 23, v6
	v_and_or_b32 v0, 0x8000, v0, v80
	v_lshl_or_b32 v80, v0, 16, v6
.LBB286_841:                            ;   in Loop: Header=BB286_810 Depth=1
	s_or_b32 exec_lo, exec_lo, s17
.LBB286_842:                            ;   in Loop: Header=BB286_810 Depth=1
	s_or_b32 exec_lo, exec_lo, s16
.LBB286_843:                            ;   in Loop: Header=BB286_810 Depth=1
	s_or_b32 exec_lo, exec_lo, s4
	v_mov_b32_e32 v0, v12
	v_cmp_ne_u16_sdwa s16, v12, v1 src0_sel:BYTE_0 src1_sel:DWORD
	v_mov_b32_e32 v81, 0
	v_mov_b32_e32 v82, 0
	s_and_saveexec_b32 s4, s16
	s_cbranch_execz .LBB286_851
; %bb.844:                              ;   in Loop: Header=BB286_810 Depth=1
	v_cmp_ne_u16_sdwa s17, v12, v17 src0_sel:BYTE_0 src1_sel:DWORD
	v_mov_b32_e32 v82, 0x8000
	s_and_saveexec_b32 s16, s17
	s_cbranch_execz .LBB286_850
; %bb.845:                              ;   in Loop: Header=BB286_810 Depth=1
	v_and_b32_e32 v83, 0x7f, v12
	v_mov_b32_e32 v82, 0x7c01
	s_mov_b32 s17, exec_lo
	v_cmpx_ne_u32_e32 0x7f, v83
	s_cbranch_execz .LBB286_849
; %bb.846:                              ;   in Loop: Header=BB286_810 Depth=1
	v_and_b32_e32 v6, 7, v12
	v_lshrrev_b32_e32 v82, 3, v83
	s_mov_b32 s18, exec_lo
	v_cmpx_gt_u32_e32 8, v83
; %bb.847:                              ;   in Loop: Header=BB286_810 Depth=1
	v_ffbh_u32_e32 v6, v6
	v_min_u32_e32 v6, 32, v6
	v_subrev_nc_u32_e32 v82, 28, v6
	v_lshlrev_b64 v[83:84], v82, v[0:1]
	v_sub_nc_u32_e32 v82, 29, v6
	v_and_b32_e32 v6, 7, v83
; %bb.848:                              ;   in Loop: Header=BB286_810 Depth=1
	s_or_b32 exec_lo, exec_lo, s18
	v_lshlrev_b32_e32 v83, 8, v12
	v_lshl_add_u32 v82, v82, 10, 0x2000
	v_lshlrev_b32_e32 v6, 7, v6
	v_and_b32_e32 v83, 0x8000, v83
	v_and_b32_e32 v82, 0xfc00, v82
	v_or3_b32 v82, v83, v82, v6
.LBB286_849:                            ;   in Loop: Header=BB286_810 Depth=1
	s_or_b32 exec_lo, exec_lo, s17
.LBB286_850:                            ;   in Loop: Header=BB286_810 Depth=1
	s_or_b32 exec_lo, exec_lo, s16
.LBB286_851:                            ;   in Loop: Header=BB286_810 Depth=1
	s_or_b32 exec_lo, exec_lo, s4
	v_lshrrev_b16 v0, 8, v0
	v_mov_b32_e32 v6, 0
	s_mov_b32 s4, exec_lo
	v_cmpx_ne_u16_e32 0, v0
	s_cbranch_execz .LBB286_859
; %bb.852:                              ;   in Loop: Header=BB286_810 Depth=1
	v_bfrev_b32_e32 v6, 1
	s_mov_b32 s16, exec_lo
	v_cmpx_ne_u16_e32 0x80, v0
	s_cbranch_execz .LBB286_858
; %bb.853:                              ;   in Loop: Header=BB286_810 Depth=1
	v_and_b32_sdwa v84, v0, v54 dst_sel:DWORD dst_unused:UNUSED_PAD src0_sel:WORD_0 src1_sel:DWORD
	v_mov_b32_e32 v6, 0x7c010000
	s_mov_b32 s17, exec_lo
	v_cmpx_ne_u32_e32 0x7f, v84
	s_cbranch_execz .LBB286_857
; %bb.854:                              ;   in Loop: Header=BB286_810 Depth=1
	v_and_b32_sdwa v6, v0, v64 dst_sel:DWORD dst_unused:UNUSED_PAD src0_sel:WORD_0 src1_sel:DWORD
	v_lshrrev_b32_e32 v83, 3, v84
	s_mov_b32 s18, exec_lo
	v_cmpx_gt_u32_e32 8, v84
; %bb.855:                              ;   in Loop: Header=BB286_810 Depth=1
	v_ffbh_u32_e32 v6, v6
	v_min_u32_e32 v6, 32, v6
	v_subrev_nc_u32_e32 v83, 28, v6
	v_lshlrev_b64 v[84:85], v83, v[0:1]
	v_sub_nc_u32_e32 v83, 29, v6
	v_and_b32_e32 v6, 7, v84
; %bb.856:                              ;   in Loop: Header=BB286_810 Depth=1
	s_or_b32 exec_lo, exec_lo, s18
	v_lshlrev_b32_sdwa v0, v68, v0 dst_sel:DWORD dst_unused:UNUSED_PAD src0_sel:DWORD src1_sel:WORD_0
	v_lshl_add_u32 v83, v83, 10, 0x2000
	v_lshlrev_b32_e32 v6, 23, v6
	v_and_or_b32 v0, 0x8000, v0, v83
	v_lshl_or_b32 v6, v0, 16, v6
.LBB286_857:                            ;   in Loop: Header=BB286_810 Depth=1
	s_or_b32 exec_lo, exec_lo, s17
.LBB286_858:                            ;   in Loop: Header=BB286_810 Depth=1
	s_or_b32 exec_lo, exec_lo, s16
.LBB286_859:                            ;   in Loop: Header=BB286_810 Depth=1
	s_or_b32 exec_lo, exec_lo, s4
	v_lshrrev_b32_e32 v0, 16, v12
	v_cmp_ne_u16_sdwa s16, v0, v1 src0_sel:BYTE_0 src1_sel:DWORD
	s_and_saveexec_b32 s4, s16
	s_cbranch_execz .LBB286_867
; %bb.860:                              ;   in Loop: Header=BB286_810 Depth=1
	v_cmp_ne_u16_sdwa s17, v0, v17 src0_sel:BYTE_0 src1_sel:DWORD
	v_mov_b32_e32 v81, 0x8000
	s_and_saveexec_b32 s16, s17
	s_cbranch_execz .LBB286_866
; %bb.861:                              ;   in Loop: Header=BB286_810 Depth=1
	v_bfe_u32 v84, v12, 16, 7
	v_mov_b32_e32 v81, 0x7c01
	s_mov_b32 s17, exec_lo
	v_cmpx_ne_u32_e32 0x7f, v84
	s_cbranch_execz .LBB286_865
; %bb.862:                              ;   in Loop: Header=BB286_810 Depth=1
	v_and_b32_e32 v81, 7, v0
	v_lshrrev_b32_e32 v83, 3, v84
	s_mov_b32 s18, exec_lo
	v_cmpx_gt_u32_e32 8, v84
; %bb.863:                              ;   in Loop: Header=BB286_810 Depth=1
	v_ffbh_u32_e32 v81, v81
	v_min_u32_e32 v81, 32, v81
	v_subrev_nc_u32_e32 v83, 28, v81
	v_lshlrev_b64 v[84:85], v83, v[0:1]
	v_sub_nc_u32_e32 v83, 29, v81
	v_and_b32_e32 v81, 7, v84
; %bb.864:                              ;   in Loop: Header=BB286_810 Depth=1
	s_or_b32 exec_lo, exec_lo, s18
	v_lshlrev_b32_e32 v0, 8, v0
	v_lshl_add_u32 v83, v83, 10, 0x2000
	v_lshlrev_b32_e32 v81, 7, v81
	v_and_b32_e32 v0, 0x8000, v0
	v_and_b32_e32 v83, 0xfc00, v83
	v_or3_b32 v81, v0, v83, v81
.LBB286_865:                            ;   in Loop: Header=BB286_810 Depth=1
	s_or_b32 exec_lo, exec_lo, s17
.LBB286_866:                            ;   in Loop: Header=BB286_810 Depth=1
	s_or_b32 exec_lo, exec_lo, s16
.LBB286_867:                            ;   in Loop: Header=BB286_810 Depth=1
	s_or_b32 exec_lo, exec_lo, s4
	v_cmp_lt_u64_e32 vcc_lo, s[12:13], v[11:12]
	v_mov_b32_e32 v11, 0
	s_and_saveexec_b32 s4, vcc_lo
	s_cbranch_execz .LBB286_875
; %bb.868:                              ;   in Loop: Header=BB286_810 Depth=1
	v_lshrrev_b32_e32 v0, 24, v12
	v_bfrev_b32_e32 v11, 1
	s_mov_b32 s16, exec_lo
	v_cmpx_ne_u32_e32 0x80, v0
	s_cbranch_execz .LBB286_874
; %bb.869:                              ;   in Loop: Header=BB286_810 Depth=1
	v_and_b32_e32 v83, 0x7f, v0
	v_mov_b32_e32 v11, 0x7c010000
	s_mov_b32 s17, exec_lo
	v_cmpx_ne_u32_e32 0x7f, v83
	s_cbranch_execz .LBB286_873
; %bb.870:                              ;   in Loop: Header=BB286_810 Depth=1
	v_and_b32_e32 v11, 7, v0
	v_lshrrev_b32_e32 v12, 3, v83
	s_mov_b32 s18, exec_lo
	v_cmpx_gt_u32_e32 8, v83
; %bb.871:                              ;   in Loop: Header=BB286_810 Depth=1
	v_ffbh_u32_e32 v11, v11
	v_min_u32_e32 v83, 32, v11
	v_subrev_nc_u32_e32 v11, 28, v83
	v_lshlrev_b64 v[11:12], v11, v[0:1]
	v_sub_nc_u32_e32 v12, 29, v83
	v_and_b32_e32 v11, 7, v11
; %bb.872:                              ;   in Loop: Header=BB286_810 Depth=1
	s_or_b32 exec_lo, exec_lo, s18
	v_lshlrev_b32_e32 v0, 8, v0
	v_lshl_add_u32 v12, v12, 10, 0x2000
	v_lshlrev_b32_e32 v11, 23, v11
	v_and_or_b32 v0, 0x8000, v0, v12
	v_lshl_or_b32 v11, v0, 16, v11
.LBB286_873:                            ;   in Loop: Header=BB286_810 Depth=1
	s_or_b32 exec_lo, exec_lo, s17
.LBB286_874:                            ;   in Loop: Header=BB286_810 Depth=1
	s_or_b32 exec_lo, exec_lo, s16
.LBB286_875:                            ;   in Loop: Header=BB286_810 Depth=1
	s_or_b32 exec_lo, exec_lo, s4
	v_or_b32_e32 v0, v80, v18
	s_waitcnt vmcnt(0) lgkmcnt(0)
	v_fma_mixlo_f16 v12, v69, v80, 0 op_sel:[0,1,0] op_sel_hi:[0,1,0]
	v_or_b32_e32 v71, v70, v71
	v_fma_mixlo_f16 v70, v69, v70, 0 op_sel:[0,1,0] op_sel_hi:[0,1,0]
	v_or_b32_e32 v80, v6, v82
	v_fma_mixlo_f16 v0, v69, v0, 0 op_sel_hi:[0,1,0]
	v_or_b32_e32 v81, v11, v81
	v_fma_mixlo_f16 v6, v69, v6, 0 op_sel:[0,1,0] op_sel_hi:[0,1,0]
	v_lshlrev_b32_e32 v85, 16, v70
	v_fma_mixlo_f16 v11, v69, v11, 0 op_sel:[0,1,0] op_sel_hi:[0,1,0]
	v_and_b32_e32 v70, 0xffff, v0
	v_fma_mixlo_f16 v0, v69, v71, 0 op_sel_hi:[0,1,0]
	v_fma_mixlo_f16 v71, v69, v80, 0 op_sel_hi:[0,1,0]
	;; [unrolled: 1-line block ×3, first 2 shown]
	v_add_nc_u32_e32 v18, v55, v23
	v_lshlrev_b32_e32 v12, 16, v12
	v_and_b32_e32 v99, 0xffff, v0
	v_lshlrev_b32_e32 v80, 16, v6
	v_and_b32_e32 v98, 0xffff, v71
	;; [unrolled: 2-line block ×3, first 2 shown]
	v_cmp_eq_u32_e32 vcc_lo, v53, v16
	v_or_b32_e32 v0, v12, v70
	v_or_b32_e32 v6, v85, v99
	;; [unrolled: 1-line block ×4, first 2 shown]
	v_add_nc_u32_e32 v96, 1, v18
	v_add_nc_u32_e32 v87, 2, v18
	;; [unrolled: 1-line block ×7, first 2 shown]
	s_and_saveexec_b32 s16, vcc_lo
	s_cbranch_execz .LBB286_877
; %bb.876:                              ;   in Loop: Header=BB286_810 Depth=1
	v_cmp_lt_i32_e64 s4, v18, v38
	v_cndmask_b32_e64 v0, 0, v99, s4
	v_cmp_lt_i32_e64 s4, v96, v38
	v_cndmask_b32_e64 v6, 0, v85, s4
	v_cmp_lt_i32_e64 s4, v87, v38
	v_or_b32_e32 v6, v0, v6
	v_cndmask_b32_e64 v11, 0, v70, s4
	v_cmp_lt_i32_e64 s4, v86, v38
	v_cndmask_b32_e64 v12, 0, v12, s4
	v_cmp_lt_i32_e64 s4, v84, v38
	v_or_b32_e32 v0, v11, v12
	;; [unrolled: 5-line block ×3, first 2 shown]
	v_cndmask_b32_e64 v82, 0, v82, s4
	v_cmp_lt_i32_e64 s4, v71, v38
	v_cndmask_b32_e64 v69, 0, v69, s4
	v_or_b32_e32 v97, v82, v69
.LBB286_877:                            ;   in Loop: Header=BB286_810 Depth=1
	s_or_b32 exec_lo, exec_lo, s16
	v_and_b32_e32 v4, 0xffff, v4
	v_and_b32_e32 v12, 0xffff, v36
	;; [unrolled: 1-line block ×4, first 2 shown]
	v_lshl_or_b32 v85, v5, 16, v4
	v_lshl_or_b32 v82, v13, 16, v12
	;;#ASMSTART
	v_pk_mul_f16 v4, v85, v6;

	;;#ASMEND
	;;#ASMSTART
	v_pk_mul_f16 v0, v82, v0;

	;;#ASMEND
	v_lshl_or_b32 v80, v19, 16, v36
	v_lshl_or_b32 v70, v22, 16, v37
	;;#ASMSTART
	v_pk_mul_f16 v5, v80, v11;

	;;#ASMEND
	;;#ASMSTART
	v_pk_mul_f16 v6, v70, v97;

	;;#ASMEND
	;;#ASMSTART
	v_pk_add_f16 v0, v4, v0;

	;;#ASMEND
	;;#ASMSTART
	v_pk_add_f16 v0, v0, v5;
	;; [unrolled: 4-line block ×3, first 2 shown]

	;;#ASMEND
	v_and_b32_e32 v4, 0xffff, v0
	v_lshrrev_b32_e32 v0, 16, v0
	;;#ASMSTART
	v_cvt_f32_f16 v19, v4;
	;;#ASMEND
	;;#ASMSTART
	v_cvt_f32_f16 v69, v0;
	;;#ASMEND
	flat_load_dwordx2 v[11:12], v[9:10] offset:256
	flat_load_dword v4, v[26:27]
	v_mov_b32_e32 v5, 0
	v_mov_b32_e32 v13, 0
	s_waitcnt vmcnt(1) lgkmcnt(1)
	v_cmp_ne_u16_sdwa s4, v11, v1 src0_sel:BYTE_0 src1_sel:DWORD
	s_and_saveexec_b32 s16, s4
	s_cbranch_execz .LBB286_885
; %bb.878:                              ;   in Loop: Header=BB286_810 Depth=1
	v_cmp_ne_u16_sdwa s4, v11, v17 src0_sel:BYTE_0 src1_sel:DWORD
	v_mov_b32_e32 v13, 0x8000
	s_and_saveexec_b32 s17, s4
	s_cbranch_execz .LBB286_884
; %bb.879:                              ;   in Loop: Header=BB286_810 Depth=1
	v_and_b32_e32 v22, 0x7f, v11
	v_mov_b32_e32 v13, 0x7c01
	s_mov_b32 s18, exec_lo
	v_cmpx_ne_u32_e32 0x7f, v22
	s_cbranch_execz .LBB286_883
; %bb.880:                              ;   in Loop: Header=BB286_810 Depth=1
	v_and_b32_e32 v0, 7, v11
	v_lshrrev_b32_e32 v6, 3, v22
	s_mov_b32 s20, exec_lo
	v_cmpx_gt_u32_e32 8, v22
; %bb.881:                              ;   in Loop: Header=BB286_810 Depth=1
	v_ffbh_u32_e32 v0, v0
	v_min_u32_e32 v0, 32, v0
	v_subrev_nc_u32_e32 v6, 28, v0
	v_lshlrev_b64 v[36:37], v6, v[11:12]
	v_sub_nc_u32_e32 v6, 29, v0
	v_and_b32_e32 v0, 7, v36
; %bb.882:                              ;   in Loop: Header=BB286_810 Depth=1
	s_or_b32 exec_lo, exec_lo, s20
	v_lshlrev_b32_e32 v13, 8, v11
	v_lshl_add_u32 v6, v6, 10, 0x2000
	v_lshlrev_b32_e32 v0, 7, v0
	v_and_b32_e32 v13, 0x8000, v13
	v_and_b32_e32 v6, 0xfc00, v6
	v_or3_b32 v13, v13, v6, v0
.LBB286_883:                            ;   in Loop: Header=BB286_810 Depth=1
	s_or_b32 exec_lo, exec_lo, s18
.LBB286_884:                            ;   in Loop: Header=BB286_810 Depth=1
	s_or_b32 exec_lo, exec_lo, s17
.LBB286_885:                            ;   in Loop: Header=BB286_810 Depth=1
	s_or_b32 exec_lo, exec_lo, s16
	v_lshrrev_b16 v0, 8, v11
	s_mov_b32 s16, exec_lo
	v_cmpx_ne_u16_e32 0, v0
	s_cbranch_execz .LBB286_893
; %bb.886:                              ;   in Loop: Header=BB286_810 Depth=1
	v_bfrev_b32_e32 v5, 1
	s_mov_b32 s17, exec_lo
	v_cmpx_ne_u16_e32 0x80, v0
	s_cbranch_execz .LBB286_892
; %bb.887:                              ;   in Loop: Header=BB286_810 Depth=1
	v_and_b32_sdwa v22, v0, v54 dst_sel:DWORD dst_unused:UNUSED_PAD src0_sel:WORD_0 src1_sel:DWORD
	v_mov_b32_e32 v5, 0x7c010000
	s_mov_b32 s18, exec_lo
	v_cmpx_ne_u32_e32 0x7f, v22
	s_cbranch_execz .LBB286_891
; %bb.888:                              ;   in Loop: Header=BB286_810 Depth=1
	v_and_b32_sdwa v5, v0, v64 dst_sel:DWORD dst_unused:UNUSED_PAD src0_sel:WORD_0 src1_sel:DWORD
	v_lshrrev_b32_e32 v6, 3, v22
	s_mov_b32 s20, exec_lo
	v_cmpx_gt_u32_e32 8, v22
; %bb.889:                              ;   in Loop: Header=BB286_810 Depth=1
	v_ffbh_u32_e32 v5, v5
	v_min_u32_e32 v22, 32, v5
	v_subrev_nc_u32_e32 v5, 28, v22
	v_lshlrev_b64 v[5:6], v5, v[0:1]
	v_sub_nc_u32_e32 v6, 29, v22
	v_and_b32_e32 v5, 7, v5
; %bb.890:                              ;   in Loop: Header=BB286_810 Depth=1
	s_or_b32 exec_lo, exec_lo, s20
	v_lshlrev_b32_sdwa v0, v68, v0 dst_sel:DWORD dst_unused:UNUSED_PAD src0_sel:DWORD src1_sel:WORD_0
	v_lshl_add_u32 v6, v6, 10, 0x2000
	v_lshlrev_b32_e32 v5, 23, v5
	v_and_or_b32 v0, 0x8000, v0, v6
	v_lshl_or_b32 v5, v0, 16, v5
.LBB286_891:                            ;   in Loop: Header=BB286_810 Depth=1
	s_or_b32 exec_lo, exec_lo, s18
.LBB286_892:                            ;   in Loop: Header=BB286_810 Depth=1
	s_or_b32 exec_lo, exec_lo, s17
.LBB286_893:                            ;   in Loop: Header=BB286_810 Depth=1
	s_or_b32 exec_lo, exec_lo, s16
	v_lshrrev_b32_e32 v0, 16, v11
	v_mov_b32_e32 v22, 0
	v_mov_b32_e32 v36, 0
	v_cmp_ne_u16_sdwa s4, v0, v1 src0_sel:BYTE_0 src1_sel:DWORD
	s_and_saveexec_b32 s16, s4
	s_cbranch_execz .LBB286_901
; %bb.894:                              ;   in Loop: Header=BB286_810 Depth=1
	v_cmp_ne_u16_sdwa s4, v0, v17 src0_sel:BYTE_0 src1_sel:DWORD
	v_mov_b32_e32 v36, 0x8000
	s_and_saveexec_b32 s17, s4
	s_cbranch_execz .LBB286_900
; %bb.895:                              ;   in Loop: Header=BB286_810 Depth=1
	v_bfe_u32 v37, v11, 16, 7
	v_mov_b32_e32 v36, 0x7c01
	s_mov_b32 s18, exec_lo
	v_cmpx_ne_u32_e32 0x7f, v37
	s_cbranch_execz .LBB286_899
; %bb.896:                              ;   in Loop: Header=BB286_810 Depth=1
	v_and_b32_e32 v6, 7, v0
	v_lshrrev_b32_e32 v36, 3, v37
	s_mov_b32 s20, exec_lo
	v_cmpx_gt_u32_e32 8, v37
; %bb.897:                              ;   in Loop: Header=BB286_810 Depth=1
	v_ffbh_u32_e32 v6, v6
	v_min_u32_e32 v6, 32, v6
	v_subrev_nc_u32_e32 v36, 28, v6
	v_lshlrev_b64 v[97:98], v36, v[0:1]
	v_sub_nc_u32_e32 v36, 29, v6
	v_and_b32_e32 v6, 7, v97
; %bb.898:                              ;   in Loop: Header=BB286_810 Depth=1
	s_or_b32 exec_lo, exec_lo, s20
	v_lshlrev_b32_e32 v0, 8, v0
	v_lshl_add_u32 v36, v36, 10, 0x2000
	v_lshlrev_b32_e32 v6, 7, v6
	v_and_b32_e32 v0, 0x8000, v0
	v_and_b32_e32 v36, 0xfc00, v36
	v_or3_b32 v36, v0, v36, v6
.LBB286_899:                            ;   in Loop: Header=BB286_810 Depth=1
	s_or_b32 exec_lo, exec_lo, s18
.LBB286_900:                            ;   in Loop: Header=BB286_810 Depth=1
	s_or_b32 exec_lo, exec_lo, s17
.LBB286_901:                            ;   in Loop: Header=BB286_810 Depth=1
	s_or_b32 exec_lo, exec_lo, s16
	s_mov_b32 s16, exec_lo
	v_cmpx_lt_u32_e32 0xffffff, v11
	s_cbranch_execz .LBB286_909
; %bb.902:                              ;   in Loop: Header=BB286_810 Depth=1
	v_lshrrev_b32_e32 v0, 24, v11
	v_bfrev_b32_e32 v22, 1
	s_mov_b32 s17, exec_lo
	v_cmpx_ne_u32_e32 0x80, v0
	s_cbranch_execz .LBB286_908
; %bb.903:                              ;   in Loop: Header=BB286_810 Depth=1
	v_and_b32_e32 v37, 0x7f, v0
	v_mov_b32_e32 v22, 0x7c010000
	s_mov_b32 s18, exec_lo
	v_cmpx_ne_u32_e32 0x7f, v37
	s_cbranch_execz .LBB286_907
; %bb.904:                              ;   in Loop: Header=BB286_810 Depth=1
	v_and_b32_e32 v6, 7, v0
	v_lshrrev_b32_e32 v22, 3, v37
	s_mov_b32 s20, exec_lo
	v_cmpx_gt_u32_e32 8, v37
; %bb.905:                              ;   in Loop: Header=BB286_810 Depth=1
	v_ffbh_u32_e32 v6, v6
	v_min_u32_e32 v6, 32, v6
	v_subrev_nc_u32_e32 v22, 28, v6
	v_lshlrev_b64 v[97:98], v22, v[0:1]
	v_sub_nc_u32_e32 v22, 29, v6
	v_and_b32_e32 v6, 7, v97
; %bb.906:                              ;   in Loop: Header=BB286_810 Depth=1
	s_or_b32 exec_lo, exec_lo, s20
	v_lshlrev_b32_e32 v0, 8, v0
	v_lshl_add_u32 v22, v22, 10, 0x2000
	v_lshlrev_b32_e32 v6, 23, v6
	v_and_or_b32 v0, 0x8000, v0, v22
	v_lshl_or_b32 v22, v0, 16, v6
.LBB286_907:                            ;   in Loop: Header=BB286_810 Depth=1
	s_or_b32 exec_lo, exec_lo, s18
.LBB286_908:                            ;   in Loop: Header=BB286_810 Depth=1
	s_or_b32 exec_lo, exec_lo, s17
.LBB286_909:                            ;   in Loop: Header=BB286_810 Depth=1
	s_or_b32 exec_lo, exec_lo, s16
	v_mov_b32_e32 v0, v12
	v_cmp_ne_u16_sdwa s4, v12, v1 src0_sel:BYTE_0 src1_sel:DWORD
	v_mov_b32_e32 v37, 0
	v_mov_b32_e32 v49, 0
	s_and_saveexec_b32 s16, s4
	s_cbranch_execz .LBB286_917
; %bb.910:                              ;   in Loop: Header=BB286_810 Depth=1
	v_cmp_ne_u16_sdwa s4, v12, v17 src0_sel:BYTE_0 src1_sel:DWORD
	v_mov_b32_e32 v49, 0x8000
	s_and_saveexec_b32 s17, s4
	s_cbranch_execz .LBB286_916
; %bb.911:                              ;   in Loop: Header=BB286_810 Depth=1
	v_and_b32_e32 v97, 0x7f, v12
	v_mov_b32_e32 v49, 0x7c01
	s_mov_b32 s18, exec_lo
	v_cmpx_ne_u32_e32 0x7f, v97
	s_cbranch_execz .LBB286_915
; %bb.912:                              ;   in Loop: Header=BB286_810 Depth=1
	v_and_b32_e32 v6, 7, v12
	v_lshrrev_b32_e32 v49, 3, v97
	s_mov_b32 s20, exec_lo
	v_cmpx_gt_u32_e32 8, v97
; %bb.913:                              ;   in Loop: Header=BB286_810 Depth=1
	v_ffbh_u32_e32 v6, v6
	v_min_u32_e32 v6, 32, v6
	v_subrev_nc_u32_e32 v49, 28, v6
	v_lshlrev_b64 v[97:98], v49, v[0:1]
	v_sub_nc_u32_e32 v49, 29, v6
	v_and_b32_e32 v6, 7, v97
; %bb.914:                              ;   in Loop: Header=BB286_810 Depth=1
	s_or_b32 exec_lo, exec_lo, s20
	v_lshlrev_b32_e32 v97, 8, v12
	v_lshl_add_u32 v49, v49, 10, 0x2000
	v_lshlrev_b32_e32 v6, 7, v6
	v_and_b32_e32 v97, 0x8000, v97
	v_and_b32_e32 v49, 0xfc00, v49
	v_or3_b32 v49, v97, v49, v6
.LBB286_915:                            ;   in Loop: Header=BB286_810 Depth=1
	s_or_b32 exec_lo, exec_lo, s18
.LBB286_916:                            ;   in Loop: Header=BB286_810 Depth=1
	s_or_b32 exec_lo, exec_lo, s17
.LBB286_917:                            ;   in Loop: Header=BB286_810 Depth=1
	s_or_b32 exec_lo, exec_lo, s16
	v_lshrrev_b16 v0, 8, v0
	v_mov_b32_e32 v6, 0
	s_mov_b32 s16, exec_lo
	v_cmpx_ne_u16_e32 0, v0
	s_cbranch_execz .LBB286_925
; %bb.918:                              ;   in Loop: Header=BB286_810 Depth=1
	v_bfrev_b32_e32 v6, 1
	s_mov_b32 s17, exec_lo
	v_cmpx_ne_u16_e32 0x80, v0
	s_cbranch_execz .LBB286_924
; %bb.919:                              ;   in Loop: Header=BB286_810 Depth=1
	v_and_b32_sdwa v98, v0, v54 dst_sel:DWORD dst_unused:UNUSED_PAD src0_sel:WORD_0 src1_sel:DWORD
	v_mov_b32_e32 v6, 0x7c010000
	s_mov_b32 s18, exec_lo
	v_cmpx_ne_u32_e32 0x7f, v98
	s_cbranch_execz .LBB286_923
; %bb.920:                              ;   in Loop: Header=BB286_810 Depth=1
	v_and_b32_sdwa v6, v0, v64 dst_sel:DWORD dst_unused:UNUSED_PAD src0_sel:WORD_0 src1_sel:DWORD
	v_lshrrev_b32_e32 v97, 3, v98
	s_mov_b32 s20, exec_lo
	v_cmpx_gt_u32_e32 8, v98
; %bb.921:                              ;   in Loop: Header=BB286_810 Depth=1
	v_ffbh_u32_e32 v6, v6
	v_min_u32_e32 v6, 32, v6
	v_subrev_nc_u32_e32 v97, 28, v6
	v_lshlrev_b64 v[98:99], v97, v[0:1]
	v_sub_nc_u32_e32 v97, 29, v6
	v_and_b32_e32 v6, 7, v98
; %bb.922:                              ;   in Loop: Header=BB286_810 Depth=1
	s_or_b32 exec_lo, exec_lo, s20
	v_lshlrev_b32_sdwa v0, v68, v0 dst_sel:DWORD dst_unused:UNUSED_PAD src0_sel:DWORD src1_sel:WORD_0
	v_lshl_add_u32 v97, v97, 10, 0x2000
	v_lshlrev_b32_e32 v6, 23, v6
	v_and_or_b32 v0, 0x8000, v0, v97
	v_lshl_or_b32 v6, v0, 16, v6
.LBB286_923:                            ;   in Loop: Header=BB286_810 Depth=1
	s_or_b32 exec_lo, exec_lo, s18
.LBB286_924:                            ;   in Loop: Header=BB286_810 Depth=1
	s_or_b32 exec_lo, exec_lo, s17
.LBB286_925:                            ;   in Loop: Header=BB286_810 Depth=1
	s_or_b32 exec_lo, exec_lo, s16
	v_lshrrev_b32_e32 v0, 16, v12
	v_cmp_ne_u16_sdwa s4, v0, v1 src0_sel:BYTE_0 src1_sel:DWORD
	s_and_saveexec_b32 s16, s4
	s_cbranch_execz .LBB286_933
; %bb.926:                              ;   in Loop: Header=BB286_810 Depth=1
	v_cmp_ne_u16_sdwa s4, v0, v17 src0_sel:BYTE_0 src1_sel:DWORD
	v_mov_b32_e32 v37, 0x8000
	s_and_saveexec_b32 s17, s4
	s_cbranch_execz .LBB286_932
; %bb.927:                              ;   in Loop: Header=BB286_810 Depth=1
	v_bfe_u32 v98, v12, 16, 7
	v_mov_b32_e32 v37, 0x7c01
	s_mov_b32 s18, exec_lo
	v_cmpx_ne_u32_e32 0x7f, v98
	s_cbranch_execz .LBB286_931
; %bb.928:                              ;   in Loop: Header=BB286_810 Depth=1
	v_and_b32_e32 v37, 7, v0
	v_lshrrev_b32_e32 v97, 3, v98
	s_mov_b32 s20, exec_lo
	v_cmpx_gt_u32_e32 8, v98
; %bb.929:                              ;   in Loop: Header=BB286_810 Depth=1
	v_ffbh_u32_e32 v37, v37
	v_min_u32_e32 v37, 32, v37
	v_subrev_nc_u32_e32 v97, 28, v37
	v_lshlrev_b64 v[98:99], v97, v[0:1]
	v_sub_nc_u32_e32 v97, 29, v37
	v_and_b32_e32 v37, 7, v98
; %bb.930:                              ;   in Loop: Header=BB286_810 Depth=1
	s_or_b32 exec_lo, exec_lo, s20
	v_lshlrev_b32_e32 v0, 8, v0
	v_lshl_add_u32 v97, v97, 10, 0x2000
	v_lshlrev_b32_e32 v37, 7, v37
	v_and_b32_e32 v0, 0x8000, v0
	v_and_b32_e32 v97, 0xfc00, v97
	v_or3_b32 v37, v0, v97, v37
.LBB286_931:                            ;   in Loop: Header=BB286_810 Depth=1
	s_or_b32 exec_lo, exec_lo, s18
.LBB286_932:                            ;   in Loop: Header=BB286_810 Depth=1
	s_or_b32 exec_lo, exec_lo, s17
.LBB286_933:                            ;   in Loop: Header=BB286_810 Depth=1
	s_or_b32 exec_lo, exec_lo, s16
	v_cmp_lt_u64_e64 s4, s[12:13], v[11:12]
	v_mov_b32_e32 v11, 0
	s_and_saveexec_b32 s16, s4
	s_cbranch_execz .LBB286_941
; %bb.934:                              ;   in Loop: Header=BB286_810 Depth=1
	v_lshrrev_b32_e32 v0, 24, v12
	v_bfrev_b32_e32 v11, 1
	s_mov_b32 s17, exec_lo
	v_cmpx_ne_u32_e32 0x80, v0
	s_cbranch_execz .LBB286_940
; %bb.935:                              ;   in Loop: Header=BB286_810 Depth=1
	v_and_b32_e32 v97, 0x7f, v0
	v_mov_b32_e32 v11, 0x7c010000
	s_mov_b32 s18, exec_lo
	v_cmpx_ne_u32_e32 0x7f, v97
	s_cbranch_execz .LBB286_939
; %bb.936:                              ;   in Loop: Header=BB286_810 Depth=1
	v_and_b32_e32 v11, 7, v0
	v_lshrrev_b32_e32 v12, 3, v97
	s_mov_b32 s20, exec_lo
	v_cmpx_gt_u32_e32 8, v97
; %bb.937:                              ;   in Loop: Header=BB286_810 Depth=1
	v_ffbh_u32_e32 v11, v11
	v_min_u32_e32 v97, 32, v11
	v_subrev_nc_u32_e32 v11, 28, v97
	v_lshlrev_b64 v[11:12], v11, v[0:1]
	v_sub_nc_u32_e32 v12, 29, v97
	v_and_b32_e32 v11, 7, v11
; %bb.938:                              ;   in Loop: Header=BB286_810 Depth=1
	s_or_b32 exec_lo, exec_lo, s20
	v_lshlrev_b32_e32 v0, 8, v0
	v_lshl_add_u32 v12, v12, 10, 0x2000
	v_lshlrev_b32_e32 v11, 23, v11
	v_and_or_b32 v0, 0x8000, v0, v12
	v_lshl_or_b32 v11, v0, 16, v11
.LBB286_939:                            ;   in Loop: Header=BB286_810 Depth=1
	s_or_b32 exec_lo, exec_lo, s18
.LBB286_940:                            ;   in Loop: Header=BB286_810 Depth=1
	s_or_b32 exec_lo, exec_lo, s17
.LBB286_941:                            ;   in Loop: Header=BB286_810 Depth=1
	s_or_b32 exec_lo, exec_lo, s16
	v_or_b32_e32 v0, v22, v36
	s_waitcnt vmcnt(0) lgkmcnt(0)
	v_fma_mixlo_f16 v12, v4, v22, 0 op_sel:[0,1,0] op_sel_hi:[0,1,0]
	v_or_b32_e32 v13, v5, v13
	v_fma_mixlo_f16 v5, v4, v5, 0 op_sel:[0,1,0] op_sel_hi:[0,1,0]
	v_or_b32_e32 v22, v6, v49
	v_fma_mixlo_f16 v36, v4, v0, 0 op_sel_hi:[0,1,0]
	v_or_b32_e32 v37, v11, v37
	v_lshlrev_b32_e32 v0, 16, v12
	v_lshlrev_b32_e32 v12, 16, v5
	v_fma_mixlo_f16 v13, v4, v13, 0 op_sel_hi:[0,1,0]
	v_and_b32_e32 v5, 0xffff, v36
	v_fma_mixlo_f16 v6, v4, v6, 0 op_sel:[0,1,0] op_sel_hi:[0,1,0]
	v_fma_mixlo_f16 v22, v4, v22, 0 op_sel_hi:[0,1,0]
	v_fma_mixlo_f16 v11, v4, v11, 0 op_sel:[0,1,0] op_sel_hi:[0,1,0]
	v_fma_mixlo_f16 v36, v4, v37, 0 op_sel_hi:[0,1,0]
	v_and_b32_e32 v97, 0xffff, v13
	v_lshlrev_b32_e32 v6, 16, v6
	v_and_b32_e32 v22, 0xffff, v22
	v_lshlrev_b32_e32 v4, 16, v11
	v_and_b32_e32 v11, 0xffff, v36
	v_or_b32_e32 v13, v0, v5
	v_or_b32_e32 v49, v12, v97
	v_or_b32_e32 v37, v6, v22
	v_or_b32_e32 v36, v4, v11
	s_and_saveexec_b32 s16, vcc_lo
	s_cbranch_execz .LBB286_943
; %bb.942:                              ;   in Loop: Header=BB286_810 Depth=1
	v_cmp_lt_i32_e64 s4, v18, v38
	v_cndmask_b32_e64 v13, 0, v97, s4
	v_cmp_lt_i32_e64 s4, v96, v38
	v_cndmask_b32_e64 v12, 0, v12, s4
	v_cmp_lt_i32_e64 s4, v87, v38
	v_or_b32_e32 v49, v13, v12
	v_cndmask_b32_e64 v5, 0, v5, s4
	v_cmp_lt_i32_e64 s4, v86, v38
	v_cndmask_b32_e64 v0, 0, v0, s4
	v_cmp_lt_i32_e64 s4, v84, v38
	v_or_b32_e32 v13, v5, v0
	v_cndmask_b32_e64 v22, 0, v22, s4
	v_cmp_lt_i32_e64 s4, v83, v38
	v_cndmask_b32_e64 v6, 0, v6, s4
	v_cmp_lt_i32_e64 s4, v81, v38
	v_or_b32_e32 v37, v22, v6
	v_cndmask_b32_e64 v11, 0, v11, s4
	v_cmp_lt_i32_e64 s4, v71, v38
	v_cndmask_b32_e64 v4, 0, v4, s4
	v_or_b32_e32 v36, v11, v4
.LBB286_943:                            ;   in Loop: Header=BB286_810 Depth=1
	s_or_b32 exec_lo, exec_lo, s16
	;;#ASMSTART
	v_pk_mul_f16 v0, v85, v49;

	;;#ASMEND
	;;#ASMSTART
	v_pk_mul_f16 v4, v82, v13;

	;;#ASMEND
	;; [unrolled: 4-line block ×4, first 2 shown]
	;;#ASMSTART
	v_pk_add_f16 v0, v0, v4;

	;;#ASMEND
	;;#ASMSTART
	v_pk_add_f16 v0, v0, v5;

	;;#ASMEND
	;; [unrolled: 4-line block ×3, first 2 shown]
	v_and_b32_e32 v4, 0xffff, v0
	v_lshrrev_b32_e32 v0, 16, v0
	;;#ASMSTART
	v_cvt_f32_f16 v97, v4;
	;;#ASMEND
	;;#ASMSTART
	v_cvt_f32_f16 v98, v0;
	;;#ASMEND
	flat_load_dwordx2 v[11:12], v[9:10] offset:512
	flat_load_dword v4, v[26:27]
	v_mov_b32_e32 v5, 0
	v_mov_b32_e32 v13, 0
	s_waitcnt vmcnt(1) lgkmcnt(1)
	v_cmp_ne_u16_sdwa s4, v11, v1 src0_sel:BYTE_0 src1_sel:DWORD
	s_and_saveexec_b32 s16, s4
	s_cbranch_execz .LBB286_951
; %bb.944:                              ;   in Loop: Header=BB286_810 Depth=1
	v_cmp_ne_u16_sdwa s4, v11, v17 src0_sel:BYTE_0 src1_sel:DWORD
	v_mov_b32_e32 v13, 0x8000
	s_and_saveexec_b32 s17, s4
	s_cbranch_execz .LBB286_950
; %bb.945:                              ;   in Loop: Header=BB286_810 Depth=1
	v_and_b32_e32 v22, 0x7f, v11
	v_mov_b32_e32 v13, 0x7c01
	s_mov_b32 s18, exec_lo
	v_cmpx_ne_u32_e32 0x7f, v22
	s_cbranch_execz .LBB286_949
; %bb.946:                              ;   in Loop: Header=BB286_810 Depth=1
	v_and_b32_e32 v0, 7, v11
	v_lshrrev_b32_e32 v6, 3, v22
	s_mov_b32 s20, exec_lo
	v_cmpx_gt_u32_e32 8, v22
; %bb.947:                              ;   in Loop: Header=BB286_810 Depth=1
	v_ffbh_u32_e32 v0, v0
	v_min_u32_e32 v0, 32, v0
	v_subrev_nc_u32_e32 v6, 28, v0
	v_lshlrev_b64 v[36:37], v6, v[11:12]
	v_sub_nc_u32_e32 v6, 29, v0
	v_and_b32_e32 v0, 7, v36
; %bb.948:                              ;   in Loop: Header=BB286_810 Depth=1
	s_or_b32 exec_lo, exec_lo, s20
	v_lshlrev_b32_e32 v13, 8, v11
	v_lshl_add_u32 v6, v6, 10, 0x2000
	v_lshlrev_b32_e32 v0, 7, v0
	v_and_b32_e32 v13, 0x8000, v13
	v_and_b32_e32 v6, 0xfc00, v6
	v_or3_b32 v13, v13, v6, v0
.LBB286_949:                            ;   in Loop: Header=BB286_810 Depth=1
	s_or_b32 exec_lo, exec_lo, s18
.LBB286_950:                            ;   in Loop: Header=BB286_810 Depth=1
	s_or_b32 exec_lo, exec_lo, s17
.LBB286_951:                            ;   in Loop: Header=BB286_810 Depth=1
	s_or_b32 exec_lo, exec_lo, s16
	v_lshrrev_b16 v0, 8, v11
	s_mov_b32 s16, exec_lo
	v_cmpx_ne_u16_e32 0, v0
	s_cbranch_execz .LBB286_959
; %bb.952:                              ;   in Loop: Header=BB286_810 Depth=1
	v_bfrev_b32_e32 v5, 1
	s_mov_b32 s17, exec_lo
	v_cmpx_ne_u16_e32 0x80, v0
	s_cbranch_execz .LBB286_958
; %bb.953:                              ;   in Loop: Header=BB286_810 Depth=1
	v_and_b32_sdwa v22, v0, v54 dst_sel:DWORD dst_unused:UNUSED_PAD src0_sel:WORD_0 src1_sel:DWORD
	v_mov_b32_e32 v5, 0x7c010000
	s_mov_b32 s18, exec_lo
	v_cmpx_ne_u32_e32 0x7f, v22
	s_cbranch_execz .LBB286_957
; %bb.954:                              ;   in Loop: Header=BB286_810 Depth=1
	v_and_b32_sdwa v5, v0, v64 dst_sel:DWORD dst_unused:UNUSED_PAD src0_sel:WORD_0 src1_sel:DWORD
	v_lshrrev_b32_e32 v6, 3, v22
	s_mov_b32 s20, exec_lo
	v_cmpx_gt_u32_e32 8, v22
; %bb.955:                              ;   in Loop: Header=BB286_810 Depth=1
	v_ffbh_u32_e32 v5, v5
	v_min_u32_e32 v22, 32, v5
	v_subrev_nc_u32_e32 v5, 28, v22
	v_lshlrev_b64 v[5:6], v5, v[0:1]
	v_sub_nc_u32_e32 v6, 29, v22
	v_and_b32_e32 v5, 7, v5
; %bb.956:                              ;   in Loop: Header=BB286_810 Depth=1
	s_or_b32 exec_lo, exec_lo, s20
	v_lshlrev_b32_sdwa v0, v68, v0 dst_sel:DWORD dst_unused:UNUSED_PAD src0_sel:DWORD src1_sel:WORD_0
	v_lshl_add_u32 v6, v6, 10, 0x2000
	v_lshlrev_b32_e32 v5, 23, v5
	v_and_or_b32 v0, 0x8000, v0, v6
	v_lshl_or_b32 v5, v0, 16, v5
.LBB286_957:                            ;   in Loop: Header=BB286_810 Depth=1
	s_or_b32 exec_lo, exec_lo, s18
.LBB286_958:                            ;   in Loop: Header=BB286_810 Depth=1
	s_or_b32 exec_lo, exec_lo, s17
.LBB286_959:                            ;   in Loop: Header=BB286_810 Depth=1
	s_or_b32 exec_lo, exec_lo, s16
	v_lshrrev_b32_e32 v0, 16, v11
	v_mov_b32_e32 v22, 0
	v_mov_b32_e32 v36, 0
	v_cmp_ne_u16_sdwa s4, v0, v1 src0_sel:BYTE_0 src1_sel:DWORD
	s_and_saveexec_b32 s16, s4
	s_cbranch_execz .LBB286_967
; %bb.960:                              ;   in Loop: Header=BB286_810 Depth=1
	v_cmp_ne_u16_sdwa s4, v0, v17 src0_sel:BYTE_0 src1_sel:DWORD
	v_mov_b32_e32 v36, 0x8000
	s_and_saveexec_b32 s17, s4
	s_cbranch_execz .LBB286_966
; %bb.961:                              ;   in Loop: Header=BB286_810 Depth=1
	v_bfe_u32 v37, v11, 16, 7
	v_mov_b32_e32 v36, 0x7c01
	s_mov_b32 s18, exec_lo
	v_cmpx_ne_u32_e32 0x7f, v37
	s_cbranch_execz .LBB286_965
; %bb.962:                              ;   in Loop: Header=BB286_810 Depth=1
	v_and_b32_e32 v6, 7, v0
	v_lshrrev_b32_e32 v36, 3, v37
	s_mov_b32 s20, exec_lo
	v_cmpx_gt_u32_e32 8, v37
; %bb.963:                              ;   in Loop: Header=BB286_810 Depth=1
	v_ffbh_u32_e32 v6, v6
	v_min_u32_e32 v6, 32, v6
	v_subrev_nc_u32_e32 v36, 28, v6
	v_lshlrev_b64 v[99:100], v36, v[0:1]
	v_sub_nc_u32_e32 v36, 29, v6
	v_and_b32_e32 v6, 7, v99
; %bb.964:                              ;   in Loop: Header=BB286_810 Depth=1
	s_or_b32 exec_lo, exec_lo, s20
	v_lshlrev_b32_e32 v0, 8, v0
	v_lshl_add_u32 v36, v36, 10, 0x2000
	v_lshlrev_b32_e32 v6, 7, v6
	v_and_b32_e32 v0, 0x8000, v0
	v_and_b32_e32 v36, 0xfc00, v36
	v_or3_b32 v36, v0, v36, v6
.LBB286_965:                            ;   in Loop: Header=BB286_810 Depth=1
	s_or_b32 exec_lo, exec_lo, s18
.LBB286_966:                            ;   in Loop: Header=BB286_810 Depth=1
	s_or_b32 exec_lo, exec_lo, s17
.LBB286_967:                            ;   in Loop: Header=BB286_810 Depth=1
	s_or_b32 exec_lo, exec_lo, s16
	s_mov_b32 s16, exec_lo
	v_cmpx_lt_u32_e32 0xffffff, v11
	s_cbranch_execz .LBB286_975
; %bb.968:                              ;   in Loop: Header=BB286_810 Depth=1
	v_lshrrev_b32_e32 v0, 24, v11
	v_bfrev_b32_e32 v22, 1
	s_mov_b32 s17, exec_lo
	v_cmpx_ne_u32_e32 0x80, v0
	s_cbranch_execz .LBB286_974
; %bb.969:                              ;   in Loop: Header=BB286_810 Depth=1
	v_and_b32_e32 v37, 0x7f, v0
	v_mov_b32_e32 v22, 0x7c010000
	s_mov_b32 s18, exec_lo
	v_cmpx_ne_u32_e32 0x7f, v37
	s_cbranch_execz .LBB286_973
; %bb.970:                              ;   in Loop: Header=BB286_810 Depth=1
	v_and_b32_e32 v6, 7, v0
	v_lshrrev_b32_e32 v22, 3, v37
	s_mov_b32 s20, exec_lo
	v_cmpx_gt_u32_e32 8, v37
; %bb.971:                              ;   in Loop: Header=BB286_810 Depth=1
	v_ffbh_u32_e32 v6, v6
	v_min_u32_e32 v6, 32, v6
	v_subrev_nc_u32_e32 v22, 28, v6
	v_lshlrev_b64 v[99:100], v22, v[0:1]
	v_sub_nc_u32_e32 v22, 29, v6
	v_and_b32_e32 v6, 7, v99
; %bb.972:                              ;   in Loop: Header=BB286_810 Depth=1
	s_or_b32 exec_lo, exec_lo, s20
	v_lshlrev_b32_e32 v0, 8, v0
	v_lshl_add_u32 v22, v22, 10, 0x2000
	v_lshlrev_b32_e32 v6, 23, v6
	v_and_or_b32 v0, 0x8000, v0, v22
	v_lshl_or_b32 v22, v0, 16, v6
.LBB286_973:                            ;   in Loop: Header=BB286_810 Depth=1
	s_or_b32 exec_lo, exec_lo, s18
.LBB286_974:                            ;   in Loop: Header=BB286_810 Depth=1
	s_or_b32 exec_lo, exec_lo, s17
.LBB286_975:                            ;   in Loop: Header=BB286_810 Depth=1
	s_or_b32 exec_lo, exec_lo, s16
	v_mov_b32_e32 v0, v12
	v_cmp_ne_u16_sdwa s4, v12, v1 src0_sel:BYTE_0 src1_sel:DWORD
	v_mov_b32_e32 v37, 0
	v_mov_b32_e32 v49, 0
	s_and_saveexec_b32 s16, s4
	s_cbranch_execz .LBB286_983
; %bb.976:                              ;   in Loop: Header=BB286_810 Depth=1
	v_cmp_ne_u16_sdwa s4, v12, v17 src0_sel:BYTE_0 src1_sel:DWORD
	v_mov_b32_e32 v49, 0x8000
	s_and_saveexec_b32 s17, s4
	s_cbranch_execz .LBB286_982
; %bb.977:                              ;   in Loop: Header=BB286_810 Depth=1
	v_and_b32_e32 v99, 0x7f, v12
	v_mov_b32_e32 v49, 0x7c01
	s_mov_b32 s18, exec_lo
	v_cmpx_ne_u32_e32 0x7f, v99
	s_cbranch_execz .LBB286_981
; %bb.978:                              ;   in Loop: Header=BB286_810 Depth=1
	v_and_b32_e32 v6, 7, v12
	v_lshrrev_b32_e32 v49, 3, v99
	s_mov_b32 s20, exec_lo
	v_cmpx_gt_u32_e32 8, v99
; %bb.979:                              ;   in Loop: Header=BB286_810 Depth=1
	v_ffbh_u32_e32 v6, v6
	v_min_u32_e32 v6, 32, v6
	v_subrev_nc_u32_e32 v49, 28, v6
	v_lshlrev_b64 v[99:100], v49, v[0:1]
	v_sub_nc_u32_e32 v49, 29, v6
	v_and_b32_e32 v6, 7, v99
; %bb.980:                              ;   in Loop: Header=BB286_810 Depth=1
	s_or_b32 exec_lo, exec_lo, s20
	v_lshlrev_b32_e32 v99, 8, v12
	v_lshl_add_u32 v49, v49, 10, 0x2000
	v_lshlrev_b32_e32 v6, 7, v6
	v_and_b32_e32 v99, 0x8000, v99
	v_and_b32_e32 v49, 0xfc00, v49
	v_or3_b32 v49, v99, v49, v6
.LBB286_981:                            ;   in Loop: Header=BB286_810 Depth=1
	s_or_b32 exec_lo, exec_lo, s18
.LBB286_982:                            ;   in Loop: Header=BB286_810 Depth=1
	s_or_b32 exec_lo, exec_lo, s17
.LBB286_983:                            ;   in Loop: Header=BB286_810 Depth=1
	s_or_b32 exec_lo, exec_lo, s16
	v_lshrrev_b16 v0, 8, v0
	v_mov_b32_e32 v6, 0
	s_mov_b32 s16, exec_lo
	v_cmpx_ne_u16_e32 0, v0
	s_cbranch_execz .LBB286_991
; %bb.984:                              ;   in Loop: Header=BB286_810 Depth=1
	v_bfrev_b32_e32 v6, 1
	s_mov_b32 s17, exec_lo
	v_cmpx_ne_u16_e32 0x80, v0
	s_cbranch_execz .LBB286_990
; %bb.985:                              ;   in Loop: Header=BB286_810 Depth=1
	v_and_b32_sdwa v100, v0, v54 dst_sel:DWORD dst_unused:UNUSED_PAD src0_sel:WORD_0 src1_sel:DWORD
	v_mov_b32_e32 v6, 0x7c010000
	s_mov_b32 s18, exec_lo
	v_cmpx_ne_u32_e32 0x7f, v100
	s_cbranch_execz .LBB286_989
; %bb.986:                              ;   in Loop: Header=BB286_810 Depth=1
	v_and_b32_sdwa v6, v0, v64 dst_sel:DWORD dst_unused:UNUSED_PAD src0_sel:WORD_0 src1_sel:DWORD
	v_lshrrev_b32_e32 v99, 3, v100
	s_mov_b32 s20, exec_lo
	v_cmpx_gt_u32_e32 8, v100
; %bb.987:                              ;   in Loop: Header=BB286_810 Depth=1
	v_ffbh_u32_e32 v6, v6
	v_min_u32_e32 v6, 32, v6
	v_subrev_nc_u32_e32 v99, 28, v6
	v_lshlrev_b64 v[100:101], v99, v[0:1]
	v_sub_nc_u32_e32 v99, 29, v6
	v_and_b32_e32 v6, 7, v100
; %bb.988:                              ;   in Loop: Header=BB286_810 Depth=1
	s_or_b32 exec_lo, exec_lo, s20
	v_lshlrev_b32_sdwa v0, v68, v0 dst_sel:DWORD dst_unused:UNUSED_PAD src0_sel:DWORD src1_sel:WORD_0
	v_lshl_add_u32 v99, v99, 10, 0x2000
	v_lshlrev_b32_e32 v6, 23, v6
	v_and_or_b32 v0, 0x8000, v0, v99
	v_lshl_or_b32 v6, v0, 16, v6
.LBB286_989:                            ;   in Loop: Header=BB286_810 Depth=1
	s_or_b32 exec_lo, exec_lo, s18
.LBB286_990:                            ;   in Loop: Header=BB286_810 Depth=1
	s_or_b32 exec_lo, exec_lo, s17
.LBB286_991:                            ;   in Loop: Header=BB286_810 Depth=1
	s_or_b32 exec_lo, exec_lo, s16
	v_lshrrev_b32_e32 v0, 16, v12
	v_cmp_ne_u16_sdwa s4, v0, v1 src0_sel:BYTE_0 src1_sel:DWORD
	s_and_saveexec_b32 s16, s4
	s_cbranch_execz .LBB286_999
; %bb.992:                              ;   in Loop: Header=BB286_810 Depth=1
	v_cmp_ne_u16_sdwa s4, v0, v17 src0_sel:BYTE_0 src1_sel:DWORD
	v_mov_b32_e32 v37, 0x8000
	s_and_saveexec_b32 s17, s4
	s_cbranch_execz .LBB286_998
; %bb.993:                              ;   in Loop: Header=BB286_810 Depth=1
	v_bfe_u32 v100, v12, 16, 7
	v_mov_b32_e32 v37, 0x7c01
	s_mov_b32 s18, exec_lo
	v_cmpx_ne_u32_e32 0x7f, v100
	s_cbranch_execz .LBB286_997
; %bb.994:                              ;   in Loop: Header=BB286_810 Depth=1
	v_and_b32_e32 v37, 7, v0
	v_lshrrev_b32_e32 v99, 3, v100
	s_mov_b32 s20, exec_lo
	v_cmpx_gt_u32_e32 8, v100
; %bb.995:                              ;   in Loop: Header=BB286_810 Depth=1
	v_ffbh_u32_e32 v37, v37
	v_min_u32_e32 v37, 32, v37
	v_subrev_nc_u32_e32 v99, 28, v37
	v_lshlrev_b64 v[100:101], v99, v[0:1]
	v_sub_nc_u32_e32 v99, 29, v37
	v_and_b32_e32 v37, 7, v100
; %bb.996:                              ;   in Loop: Header=BB286_810 Depth=1
	s_or_b32 exec_lo, exec_lo, s20
	v_lshlrev_b32_e32 v0, 8, v0
	v_lshl_add_u32 v99, v99, 10, 0x2000
	v_lshlrev_b32_e32 v37, 7, v37
	v_and_b32_e32 v0, 0x8000, v0
	v_and_b32_e32 v99, 0xfc00, v99
	v_or3_b32 v37, v0, v99, v37
.LBB286_997:                            ;   in Loop: Header=BB286_810 Depth=1
	s_or_b32 exec_lo, exec_lo, s18
.LBB286_998:                            ;   in Loop: Header=BB286_810 Depth=1
	s_or_b32 exec_lo, exec_lo, s17
.LBB286_999:                            ;   in Loop: Header=BB286_810 Depth=1
	s_or_b32 exec_lo, exec_lo, s16
	v_cmp_lt_u64_e64 s4, s[12:13], v[11:12]
	v_mov_b32_e32 v11, 0
	s_and_saveexec_b32 s16, s4
	s_cbranch_execz .LBB286_1007
; %bb.1000:                             ;   in Loop: Header=BB286_810 Depth=1
	v_lshrrev_b32_e32 v0, 24, v12
	v_bfrev_b32_e32 v11, 1
	s_mov_b32 s17, exec_lo
	v_cmpx_ne_u32_e32 0x80, v0
	s_cbranch_execz .LBB286_1006
; %bb.1001:                             ;   in Loop: Header=BB286_810 Depth=1
	v_and_b32_e32 v99, 0x7f, v0
	v_mov_b32_e32 v11, 0x7c010000
	s_mov_b32 s18, exec_lo
	v_cmpx_ne_u32_e32 0x7f, v99
	s_cbranch_execz .LBB286_1005
; %bb.1002:                             ;   in Loop: Header=BB286_810 Depth=1
	v_and_b32_e32 v11, 7, v0
	v_lshrrev_b32_e32 v12, 3, v99
	s_mov_b32 s20, exec_lo
	v_cmpx_gt_u32_e32 8, v99
; %bb.1003:                             ;   in Loop: Header=BB286_810 Depth=1
	v_ffbh_u32_e32 v11, v11
	v_min_u32_e32 v99, 32, v11
	v_subrev_nc_u32_e32 v11, 28, v99
	v_lshlrev_b64 v[11:12], v11, v[0:1]
	v_sub_nc_u32_e32 v12, 29, v99
	v_and_b32_e32 v11, 7, v11
; %bb.1004:                             ;   in Loop: Header=BB286_810 Depth=1
	s_or_b32 exec_lo, exec_lo, s20
	v_lshlrev_b32_e32 v0, 8, v0
	v_lshl_add_u32 v12, v12, 10, 0x2000
	v_lshlrev_b32_e32 v11, 23, v11
	v_and_or_b32 v0, 0x8000, v0, v12
	v_lshl_or_b32 v11, v0, 16, v11
.LBB286_1005:                           ;   in Loop: Header=BB286_810 Depth=1
	s_or_b32 exec_lo, exec_lo, s18
.LBB286_1006:                           ;   in Loop: Header=BB286_810 Depth=1
	s_or_b32 exec_lo, exec_lo, s17
.LBB286_1007:                           ;   in Loop: Header=BB286_810 Depth=1
	s_or_b32 exec_lo, exec_lo, s16
	v_or_b32_e32 v0, v22, v36
	s_waitcnt vmcnt(0) lgkmcnt(0)
	v_fma_mixlo_f16 v12, v4, v22, 0 op_sel:[0,1,0] op_sel_hi:[0,1,0]
	v_or_b32_e32 v13, v5, v13
	v_fma_mixlo_f16 v5, v4, v5, 0 op_sel:[0,1,0] op_sel_hi:[0,1,0]
	v_or_b32_e32 v22, v6, v49
	v_fma_mixlo_f16 v36, v4, v0, 0 op_sel_hi:[0,1,0]
	v_or_b32_e32 v37, v11, v37
	v_lshlrev_b32_e32 v0, 16, v12
	v_lshlrev_b32_e32 v12, 16, v5
	v_fma_mixlo_f16 v13, v4, v13, 0 op_sel_hi:[0,1,0]
	v_and_b32_e32 v5, 0xffff, v36
	v_fma_mixlo_f16 v6, v4, v6, 0 op_sel:[0,1,0] op_sel_hi:[0,1,0]
	v_fma_mixlo_f16 v22, v4, v22, 0 op_sel_hi:[0,1,0]
	v_fma_mixlo_f16 v11, v4, v11, 0 op_sel:[0,1,0] op_sel_hi:[0,1,0]
	v_fma_mixlo_f16 v36, v4, v37, 0 op_sel_hi:[0,1,0]
	v_and_b32_e32 v99, 0xffff, v13
	v_lshlrev_b32_e32 v6, 16, v6
	v_and_b32_e32 v22, 0xffff, v22
	v_lshlrev_b32_e32 v4, 16, v11
	v_and_b32_e32 v11, 0xffff, v36
	v_or_b32_e32 v13, v0, v5
	v_or_b32_e32 v49, v12, v99
	;; [unrolled: 1-line block ×4, first 2 shown]
	s_and_saveexec_b32 s16, vcc_lo
	s_cbranch_execz .LBB286_1009
; %bb.1008:                             ;   in Loop: Header=BB286_810 Depth=1
	v_cmp_lt_i32_e64 s4, v18, v38
	v_cndmask_b32_e64 v13, 0, v99, s4
	v_cmp_lt_i32_e64 s4, v96, v38
	v_cndmask_b32_e64 v12, 0, v12, s4
	v_cmp_lt_i32_e64 s4, v87, v38
	v_or_b32_e32 v49, v13, v12
	v_cndmask_b32_e64 v5, 0, v5, s4
	v_cmp_lt_i32_e64 s4, v86, v38
	v_cndmask_b32_e64 v0, 0, v0, s4
	v_cmp_lt_i32_e64 s4, v84, v38
	v_or_b32_e32 v13, v5, v0
	v_cndmask_b32_e64 v22, 0, v22, s4
	v_cmp_lt_i32_e64 s4, v83, v38
	v_cndmask_b32_e64 v6, 0, v6, s4
	v_cmp_lt_i32_e64 s4, v81, v38
	v_or_b32_e32 v37, v22, v6
	v_cndmask_b32_e64 v11, 0, v11, s4
	v_cmp_lt_i32_e64 s4, v71, v38
	v_cndmask_b32_e64 v4, 0, v4, s4
	v_or_b32_e32 v36, v11, v4
.LBB286_1009:                           ;   in Loop: Header=BB286_810 Depth=1
	s_or_b32 exec_lo, exec_lo, s16
	;;#ASMSTART
	v_pk_mul_f16 v0, v85, v49;

	;;#ASMEND
	;;#ASMSTART
	v_pk_mul_f16 v4, v82, v13;

	;;#ASMEND
	;; [unrolled: 4-line block ×4, first 2 shown]
	;;#ASMSTART
	v_pk_add_f16 v0, v0, v4;

	;;#ASMEND
	;;#ASMSTART
	v_pk_add_f16 v0, v0, v5;

	;;#ASMEND
	;; [unrolled: 4-line block ×3, first 2 shown]
	v_and_b32_e32 v4, 0xffff, v0
	v_lshrrev_b32_e32 v0, 16, v0
	;;#ASMSTART
	v_cvt_f32_f16 v99, v4;
	;;#ASMEND
	;;#ASMSTART
	v_cvt_f32_f16 v100, v0;
	;;#ASMEND
	flat_load_dwordx2 v[11:12], v[9:10] offset:768
	flat_load_dword v4, v[26:27]
	v_mov_b32_e32 v5, 0
	v_mov_b32_e32 v13, 0
	s_waitcnt vmcnt(1) lgkmcnt(1)
	v_cmp_ne_u16_sdwa s4, v11, v1 src0_sel:BYTE_0 src1_sel:DWORD
	s_and_saveexec_b32 s16, s4
	s_cbranch_execz .LBB286_1017
; %bb.1010:                             ;   in Loop: Header=BB286_810 Depth=1
	v_cmp_ne_u16_sdwa s4, v11, v17 src0_sel:BYTE_0 src1_sel:DWORD
	v_mov_b32_e32 v13, 0x8000
	s_and_saveexec_b32 s17, s4
	s_cbranch_execz .LBB286_1016
; %bb.1011:                             ;   in Loop: Header=BB286_810 Depth=1
	v_and_b32_e32 v22, 0x7f, v11
	v_mov_b32_e32 v13, 0x7c01
	s_mov_b32 s18, exec_lo
	v_cmpx_ne_u32_e32 0x7f, v22
	s_cbranch_execz .LBB286_1015
; %bb.1012:                             ;   in Loop: Header=BB286_810 Depth=1
	v_and_b32_e32 v0, 7, v11
	v_lshrrev_b32_e32 v6, 3, v22
	s_mov_b32 s20, exec_lo
	v_cmpx_gt_u32_e32 8, v22
; %bb.1013:                             ;   in Loop: Header=BB286_810 Depth=1
	v_ffbh_u32_e32 v0, v0
	v_min_u32_e32 v0, 32, v0
	v_subrev_nc_u32_e32 v6, 28, v0
	v_lshlrev_b64 v[36:37], v6, v[11:12]
	v_sub_nc_u32_e32 v6, 29, v0
	v_and_b32_e32 v0, 7, v36
; %bb.1014:                             ;   in Loop: Header=BB286_810 Depth=1
	s_or_b32 exec_lo, exec_lo, s20
	v_lshlrev_b32_e32 v13, 8, v11
	v_lshl_add_u32 v6, v6, 10, 0x2000
	v_lshlrev_b32_e32 v0, 7, v0
	v_and_b32_e32 v13, 0x8000, v13
	v_and_b32_e32 v6, 0xfc00, v6
	v_or3_b32 v13, v13, v6, v0
.LBB286_1015:                           ;   in Loop: Header=BB286_810 Depth=1
	s_or_b32 exec_lo, exec_lo, s18
.LBB286_1016:                           ;   in Loop: Header=BB286_810 Depth=1
	s_or_b32 exec_lo, exec_lo, s17
.LBB286_1017:                           ;   in Loop: Header=BB286_810 Depth=1
	s_or_b32 exec_lo, exec_lo, s16
	v_lshrrev_b16 v0, 8, v11
	s_mov_b32 s16, exec_lo
	v_cmpx_ne_u16_e32 0, v0
	s_cbranch_execz .LBB286_1025
; %bb.1018:                             ;   in Loop: Header=BB286_810 Depth=1
	v_bfrev_b32_e32 v5, 1
	s_mov_b32 s17, exec_lo
	v_cmpx_ne_u16_e32 0x80, v0
	s_cbranch_execz .LBB286_1024
; %bb.1019:                             ;   in Loop: Header=BB286_810 Depth=1
	v_and_b32_sdwa v22, v0, v54 dst_sel:DWORD dst_unused:UNUSED_PAD src0_sel:WORD_0 src1_sel:DWORD
	v_mov_b32_e32 v5, 0x7c010000
	s_mov_b32 s18, exec_lo
	v_cmpx_ne_u32_e32 0x7f, v22
	s_cbranch_execz .LBB286_1023
; %bb.1020:                             ;   in Loop: Header=BB286_810 Depth=1
	v_and_b32_sdwa v5, v0, v64 dst_sel:DWORD dst_unused:UNUSED_PAD src0_sel:WORD_0 src1_sel:DWORD
	v_lshrrev_b32_e32 v6, 3, v22
	s_mov_b32 s20, exec_lo
	v_cmpx_gt_u32_e32 8, v22
; %bb.1021:                             ;   in Loop: Header=BB286_810 Depth=1
	v_ffbh_u32_e32 v5, v5
	v_min_u32_e32 v22, 32, v5
	v_subrev_nc_u32_e32 v5, 28, v22
	v_lshlrev_b64 v[5:6], v5, v[0:1]
	v_sub_nc_u32_e32 v6, 29, v22
	v_and_b32_e32 v5, 7, v5
; %bb.1022:                             ;   in Loop: Header=BB286_810 Depth=1
	s_or_b32 exec_lo, exec_lo, s20
	v_lshlrev_b32_sdwa v0, v68, v0 dst_sel:DWORD dst_unused:UNUSED_PAD src0_sel:DWORD src1_sel:WORD_0
	v_lshl_add_u32 v6, v6, 10, 0x2000
	v_lshlrev_b32_e32 v5, 23, v5
	v_and_or_b32 v0, 0x8000, v0, v6
	v_lshl_or_b32 v5, v0, 16, v5
.LBB286_1023:                           ;   in Loop: Header=BB286_810 Depth=1
	s_or_b32 exec_lo, exec_lo, s18
.LBB286_1024:                           ;   in Loop: Header=BB286_810 Depth=1
	s_or_b32 exec_lo, exec_lo, s17
.LBB286_1025:                           ;   in Loop: Header=BB286_810 Depth=1
	s_or_b32 exec_lo, exec_lo, s16
	v_lshrrev_b32_e32 v0, 16, v11
	v_mov_b32_e32 v22, 0
	v_mov_b32_e32 v36, 0
	v_cmp_ne_u16_sdwa s4, v0, v1 src0_sel:BYTE_0 src1_sel:DWORD
	s_and_saveexec_b32 s16, s4
	s_cbranch_execz .LBB286_1033
; %bb.1026:                             ;   in Loop: Header=BB286_810 Depth=1
	v_cmp_ne_u16_sdwa s4, v0, v17 src0_sel:BYTE_0 src1_sel:DWORD
	v_mov_b32_e32 v36, 0x8000
	s_and_saveexec_b32 s17, s4
	s_cbranch_execz .LBB286_1032
; %bb.1027:                             ;   in Loop: Header=BB286_810 Depth=1
	v_bfe_u32 v37, v11, 16, 7
	v_mov_b32_e32 v36, 0x7c01
	s_mov_b32 s18, exec_lo
	v_cmpx_ne_u32_e32 0x7f, v37
	s_cbranch_execz .LBB286_1031
; %bb.1028:                             ;   in Loop: Header=BB286_810 Depth=1
	v_and_b32_e32 v6, 7, v0
	v_lshrrev_b32_e32 v36, 3, v37
	s_mov_b32 s20, exec_lo
	v_cmpx_gt_u32_e32 8, v37
; %bb.1029:                             ;   in Loop: Header=BB286_810 Depth=1
	v_ffbh_u32_e32 v6, v6
	v_min_u32_e32 v6, 32, v6
	v_subrev_nc_u32_e32 v36, 28, v6
	v_lshlrev_b64 v[101:102], v36, v[0:1]
	v_sub_nc_u32_e32 v36, 29, v6
	v_and_b32_e32 v6, 7, v101
; %bb.1030:                             ;   in Loop: Header=BB286_810 Depth=1
	s_or_b32 exec_lo, exec_lo, s20
	v_lshlrev_b32_e32 v0, 8, v0
	v_lshl_add_u32 v36, v36, 10, 0x2000
	v_lshlrev_b32_e32 v6, 7, v6
	v_and_b32_e32 v0, 0x8000, v0
	v_and_b32_e32 v36, 0xfc00, v36
	v_or3_b32 v36, v0, v36, v6
.LBB286_1031:                           ;   in Loop: Header=BB286_810 Depth=1
	s_or_b32 exec_lo, exec_lo, s18
.LBB286_1032:                           ;   in Loop: Header=BB286_810 Depth=1
	s_or_b32 exec_lo, exec_lo, s17
.LBB286_1033:                           ;   in Loop: Header=BB286_810 Depth=1
	s_or_b32 exec_lo, exec_lo, s16
	s_mov_b32 s16, exec_lo
	v_cmpx_lt_u32_e32 0xffffff, v11
	s_cbranch_execz .LBB286_1041
; %bb.1034:                             ;   in Loop: Header=BB286_810 Depth=1
	v_lshrrev_b32_e32 v0, 24, v11
	v_bfrev_b32_e32 v22, 1
	s_mov_b32 s17, exec_lo
	v_cmpx_ne_u32_e32 0x80, v0
	s_cbranch_execz .LBB286_1040
; %bb.1035:                             ;   in Loop: Header=BB286_810 Depth=1
	v_and_b32_e32 v37, 0x7f, v0
	v_mov_b32_e32 v22, 0x7c010000
	s_mov_b32 s18, exec_lo
	v_cmpx_ne_u32_e32 0x7f, v37
	s_cbranch_execz .LBB286_1039
; %bb.1036:                             ;   in Loop: Header=BB286_810 Depth=1
	v_and_b32_e32 v6, 7, v0
	v_lshrrev_b32_e32 v22, 3, v37
	s_mov_b32 s20, exec_lo
	v_cmpx_gt_u32_e32 8, v37
; %bb.1037:                             ;   in Loop: Header=BB286_810 Depth=1
	v_ffbh_u32_e32 v6, v6
	v_min_u32_e32 v6, 32, v6
	v_subrev_nc_u32_e32 v22, 28, v6
	v_lshlrev_b64 v[101:102], v22, v[0:1]
	v_sub_nc_u32_e32 v22, 29, v6
	v_and_b32_e32 v6, 7, v101
; %bb.1038:                             ;   in Loop: Header=BB286_810 Depth=1
	s_or_b32 exec_lo, exec_lo, s20
	v_lshlrev_b32_e32 v0, 8, v0
	v_lshl_add_u32 v22, v22, 10, 0x2000
	v_lshlrev_b32_e32 v6, 23, v6
	v_and_or_b32 v0, 0x8000, v0, v22
	v_lshl_or_b32 v22, v0, 16, v6
.LBB286_1039:                           ;   in Loop: Header=BB286_810 Depth=1
	s_or_b32 exec_lo, exec_lo, s18
.LBB286_1040:                           ;   in Loop: Header=BB286_810 Depth=1
	s_or_b32 exec_lo, exec_lo, s17
.LBB286_1041:                           ;   in Loop: Header=BB286_810 Depth=1
	s_or_b32 exec_lo, exec_lo, s16
	v_mov_b32_e32 v0, v12
	v_cmp_ne_u16_sdwa s4, v12, v1 src0_sel:BYTE_0 src1_sel:DWORD
	v_mov_b32_e32 v37, 0
	v_mov_b32_e32 v49, 0
	s_and_saveexec_b32 s16, s4
	s_cbranch_execz .LBB286_1049
; %bb.1042:                             ;   in Loop: Header=BB286_810 Depth=1
	v_cmp_ne_u16_sdwa s4, v12, v17 src0_sel:BYTE_0 src1_sel:DWORD
	v_mov_b32_e32 v49, 0x8000
	s_and_saveexec_b32 s17, s4
	s_cbranch_execz .LBB286_1048
; %bb.1043:                             ;   in Loop: Header=BB286_810 Depth=1
	v_and_b32_e32 v101, 0x7f, v12
	v_mov_b32_e32 v49, 0x7c01
	s_mov_b32 s18, exec_lo
	v_cmpx_ne_u32_e32 0x7f, v101
	s_cbranch_execz .LBB286_1047
; %bb.1044:                             ;   in Loop: Header=BB286_810 Depth=1
	v_and_b32_e32 v6, 7, v12
	v_lshrrev_b32_e32 v49, 3, v101
	s_mov_b32 s20, exec_lo
	v_cmpx_gt_u32_e32 8, v101
; %bb.1045:                             ;   in Loop: Header=BB286_810 Depth=1
	v_ffbh_u32_e32 v6, v6
	v_min_u32_e32 v6, 32, v6
	v_subrev_nc_u32_e32 v49, 28, v6
	v_lshlrev_b64 v[101:102], v49, v[0:1]
	v_sub_nc_u32_e32 v49, 29, v6
	v_and_b32_e32 v6, 7, v101
; %bb.1046:                             ;   in Loop: Header=BB286_810 Depth=1
	s_or_b32 exec_lo, exec_lo, s20
	v_lshlrev_b32_e32 v101, 8, v12
	v_lshl_add_u32 v49, v49, 10, 0x2000
	v_lshlrev_b32_e32 v6, 7, v6
	v_and_b32_e32 v101, 0x8000, v101
	v_and_b32_e32 v49, 0xfc00, v49
	v_or3_b32 v49, v101, v49, v6
.LBB286_1047:                           ;   in Loop: Header=BB286_810 Depth=1
	s_or_b32 exec_lo, exec_lo, s18
.LBB286_1048:                           ;   in Loop: Header=BB286_810 Depth=1
	s_or_b32 exec_lo, exec_lo, s17
.LBB286_1049:                           ;   in Loop: Header=BB286_810 Depth=1
	s_or_b32 exec_lo, exec_lo, s16
	v_lshrrev_b16 v0, 8, v0
	v_mov_b32_e32 v6, 0
	s_mov_b32 s16, exec_lo
	v_cmpx_ne_u16_e32 0, v0
	s_cbranch_execz .LBB286_1057
; %bb.1050:                             ;   in Loop: Header=BB286_810 Depth=1
	v_bfrev_b32_e32 v6, 1
	s_mov_b32 s17, exec_lo
	v_cmpx_ne_u16_e32 0x80, v0
	s_cbranch_execz .LBB286_1056
; %bb.1051:                             ;   in Loop: Header=BB286_810 Depth=1
	v_and_b32_sdwa v102, v0, v54 dst_sel:DWORD dst_unused:UNUSED_PAD src0_sel:WORD_0 src1_sel:DWORD
	v_mov_b32_e32 v6, 0x7c010000
	s_mov_b32 s18, exec_lo
	v_cmpx_ne_u32_e32 0x7f, v102
	s_cbranch_execz .LBB286_1055
; %bb.1052:                             ;   in Loop: Header=BB286_810 Depth=1
	v_and_b32_sdwa v6, v0, v64 dst_sel:DWORD dst_unused:UNUSED_PAD src0_sel:WORD_0 src1_sel:DWORD
	v_lshrrev_b32_e32 v101, 3, v102
	s_mov_b32 s20, exec_lo
	v_cmpx_gt_u32_e32 8, v102
; %bb.1053:                             ;   in Loop: Header=BB286_810 Depth=1
	v_ffbh_u32_e32 v6, v6
	v_min_u32_e32 v6, 32, v6
	v_subrev_nc_u32_e32 v101, 28, v6
	v_lshlrev_b64 v[102:103], v101, v[0:1]
	v_sub_nc_u32_e32 v101, 29, v6
	v_and_b32_e32 v6, 7, v102
; %bb.1054:                             ;   in Loop: Header=BB286_810 Depth=1
	s_or_b32 exec_lo, exec_lo, s20
	v_lshlrev_b32_sdwa v0, v68, v0 dst_sel:DWORD dst_unused:UNUSED_PAD src0_sel:DWORD src1_sel:WORD_0
	v_lshl_add_u32 v101, v101, 10, 0x2000
	v_lshlrev_b32_e32 v6, 23, v6
	v_and_or_b32 v0, 0x8000, v0, v101
	v_lshl_or_b32 v6, v0, 16, v6
.LBB286_1055:                           ;   in Loop: Header=BB286_810 Depth=1
	s_or_b32 exec_lo, exec_lo, s18
.LBB286_1056:                           ;   in Loop: Header=BB286_810 Depth=1
	s_or_b32 exec_lo, exec_lo, s17
.LBB286_1057:                           ;   in Loop: Header=BB286_810 Depth=1
	s_or_b32 exec_lo, exec_lo, s16
	v_lshrrev_b32_e32 v0, 16, v12
	v_cmp_ne_u16_sdwa s4, v0, v1 src0_sel:BYTE_0 src1_sel:DWORD
	s_and_saveexec_b32 s16, s4
	s_cbranch_execz .LBB286_1065
; %bb.1058:                             ;   in Loop: Header=BB286_810 Depth=1
	v_cmp_ne_u16_sdwa s4, v0, v17 src0_sel:BYTE_0 src1_sel:DWORD
	v_mov_b32_e32 v37, 0x8000
	s_and_saveexec_b32 s17, s4
	s_cbranch_execz .LBB286_1064
; %bb.1059:                             ;   in Loop: Header=BB286_810 Depth=1
	v_bfe_u32 v102, v12, 16, 7
	v_mov_b32_e32 v37, 0x7c01
	s_mov_b32 s18, exec_lo
	v_cmpx_ne_u32_e32 0x7f, v102
	s_cbranch_execz .LBB286_1063
; %bb.1060:                             ;   in Loop: Header=BB286_810 Depth=1
	v_and_b32_e32 v37, 7, v0
	v_lshrrev_b32_e32 v101, 3, v102
	s_mov_b32 s20, exec_lo
	v_cmpx_gt_u32_e32 8, v102
; %bb.1061:                             ;   in Loop: Header=BB286_810 Depth=1
	v_ffbh_u32_e32 v37, v37
	v_min_u32_e32 v37, 32, v37
	v_subrev_nc_u32_e32 v101, 28, v37
	v_lshlrev_b64 v[102:103], v101, v[0:1]
	v_sub_nc_u32_e32 v101, 29, v37
	v_and_b32_e32 v37, 7, v102
; %bb.1062:                             ;   in Loop: Header=BB286_810 Depth=1
	s_or_b32 exec_lo, exec_lo, s20
	v_lshlrev_b32_e32 v0, 8, v0
	v_lshl_add_u32 v101, v101, 10, 0x2000
	v_lshlrev_b32_e32 v37, 7, v37
	v_and_b32_e32 v0, 0x8000, v0
	v_and_b32_e32 v101, 0xfc00, v101
	v_or3_b32 v37, v0, v101, v37
.LBB286_1063:                           ;   in Loop: Header=BB286_810 Depth=1
	s_or_b32 exec_lo, exec_lo, s18
.LBB286_1064:                           ;   in Loop: Header=BB286_810 Depth=1
	s_or_b32 exec_lo, exec_lo, s17
.LBB286_1065:                           ;   in Loop: Header=BB286_810 Depth=1
	s_or_b32 exec_lo, exec_lo, s16
	v_cmp_lt_u64_e64 s4, s[12:13], v[11:12]
	v_mov_b32_e32 v11, 0
	s_and_saveexec_b32 s16, s4
	s_cbranch_execz .LBB286_1073
; %bb.1066:                             ;   in Loop: Header=BB286_810 Depth=1
	v_lshrrev_b32_e32 v0, 24, v12
	v_bfrev_b32_e32 v11, 1
	s_mov_b32 s17, exec_lo
	v_cmpx_ne_u32_e32 0x80, v0
	s_cbranch_execz .LBB286_1072
; %bb.1067:                             ;   in Loop: Header=BB286_810 Depth=1
	v_and_b32_e32 v101, 0x7f, v0
	v_mov_b32_e32 v11, 0x7c010000
	s_mov_b32 s18, exec_lo
	v_cmpx_ne_u32_e32 0x7f, v101
	s_cbranch_execz .LBB286_1071
; %bb.1068:                             ;   in Loop: Header=BB286_810 Depth=1
	v_and_b32_e32 v11, 7, v0
	v_lshrrev_b32_e32 v12, 3, v101
	s_mov_b32 s20, exec_lo
	v_cmpx_gt_u32_e32 8, v101
; %bb.1069:                             ;   in Loop: Header=BB286_810 Depth=1
	v_ffbh_u32_e32 v11, v11
	v_min_u32_e32 v101, 32, v11
	v_subrev_nc_u32_e32 v11, 28, v101
	v_lshlrev_b64 v[11:12], v11, v[0:1]
	v_sub_nc_u32_e32 v12, 29, v101
	v_and_b32_e32 v11, 7, v11
; %bb.1070:                             ;   in Loop: Header=BB286_810 Depth=1
	s_or_b32 exec_lo, exec_lo, s20
	v_lshlrev_b32_e32 v0, 8, v0
	v_lshl_add_u32 v12, v12, 10, 0x2000
	v_lshlrev_b32_e32 v11, 23, v11
	v_and_or_b32 v0, 0x8000, v0, v12
	v_lshl_or_b32 v11, v0, 16, v11
.LBB286_1071:                           ;   in Loop: Header=BB286_810 Depth=1
	s_or_b32 exec_lo, exec_lo, s18
.LBB286_1072:                           ;   in Loop: Header=BB286_810 Depth=1
	s_or_b32 exec_lo, exec_lo, s17
.LBB286_1073:                           ;   in Loop: Header=BB286_810 Depth=1
	s_or_b32 exec_lo, exec_lo, s16
	v_or_b32_e32 v0, v22, v36
	s_waitcnt vmcnt(0) lgkmcnt(0)
	v_fma_mixlo_f16 v12, v4, v22, 0 op_sel:[0,1,0] op_sel_hi:[0,1,0]
	v_or_b32_e32 v13, v5, v13
	v_fma_mixlo_f16 v5, v4, v5, 0 op_sel:[0,1,0] op_sel_hi:[0,1,0]
	v_or_b32_e32 v22, v6, v49
	v_fma_mixlo_f16 v36, v4, v0, 0 op_sel_hi:[0,1,0]
	v_or_b32_e32 v37, v11, v37
	v_lshlrev_b32_e32 v0, 16, v12
	v_lshlrev_b32_e32 v12, 16, v5
	v_fma_mixlo_f16 v13, v4, v13, 0 op_sel_hi:[0,1,0]
	v_and_b32_e32 v5, 0xffff, v36
	v_fma_mixlo_f16 v6, v4, v6, 0 op_sel:[0,1,0] op_sel_hi:[0,1,0]
	v_fma_mixlo_f16 v22, v4, v22, 0 op_sel_hi:[0,1,0]
	v_fma_mixlo_f16 v11, v4, v11, 0 op_sel:[0,1,0] op_sel_hi:[0,1,0]
	v_fma_mixlo_f16 v36, v4, v37, 0 op_sel_hi:[0,1,0]
	v_and_b32_e32 v101, 0xffff, v13
	v_lshlrev_b32_e32 v6, 16, v6
	v_and_b32_e32 v22, 0xffff, v22
	v_lshlrev_b32_e32 v4, 16, v11
	v_and_b32_e32 v11, 0xffff, v36
	v_or_b32_e32 v13, v0, v5
	v_or_b32_e32 v49, v12, v101
	;; [unrolled: 1-line block ×4, first 2 shown]
	s_and_saveexec_b32 s16, vcc_lo
	s_cbranch_execz .LBB286_1075
; %bb.1074:                             ;   in Loop: Header=BB286_810 Depth=1
	v_cmp_lt_i32_e64 s4, v18, v38
	v_cndmask_b32_e64 v13, 0, v101, s4
	v_cmp_lt_i32_e64 s4, v96, v38
	v_cndmask_b32_e64 v12, 0, v12, s4
	v_cmp_lt_i32_e64 s4, v87, v38
	v_or_b32_e32 v49, v13, v12
	v_cndmask_b32_e64 v5, 0, v5, s4
	v_cmp_lt_i32_e64 s4, v86, v38
	v_cndmask_b32_e64 v0, 0, v0, s4
	v_cmp_lt_i32_e64 s4, v84, v38
	v_or_b32_e32 v13, v5, v0
	;; [unrolled: 5-line block ×3, first 2 shown]
	v_cndmask_b32_e64 v11, 0, v11, s4
	v_cmp_lt_i32_e64 s4, v71, v38
	v_cndmask_b32_e64 v4, 0, v4, s4
	v_or_b32_e32 v36, v11, v4
.LBB286_1075:                           ;   in Loop: Header=BB286_810 Depth=1
	s_or_b32 exec_lo, exec_lo, s16
	;;#ASMSTART
	v_pk_mul_f16 v0, v85, v49;

	;;#ASMEND
	;;#ASMSTART
	v_pk_mul_f16 v4, v82, v13;

	;;#ASMEND
	;;#ASMSTART
	v_pk_mul_f16 v5, v80, v37;

	;;#ASMEND
	;;#ASMSTART
	v_pk_mul_f16 v6, v70, v36;

	;;#ASMEND
	;;#ASMSTART
	v_pk_add_f16 v0, v0, v4;

	;;#ASMEND
	;;#ASMSTART
	v_pk_add_f16 v0, v0, v5;

	;;#ASMEND
	;;#ASMSTART
	v_pk_add_f16 v0, v0, v6;

	;;#ASMEND
	v_and_b32_e32 v4, 0xffff, v0
	v_lshrrev_b32_e32 v0, 16, v0
	;;#ASMSTART
	v_cvt_f32_f16 v101, v4;
	;;#ASMEND
	;;#ASMSTART
	v_cvt_f32_f16 v102, v0;
	;;#ASMEND
	flat_load_dwordx2 v[11:12], v[9:10] offset:1024
	flat_load_dword v4, v[26:27]
	v_mov_b32_e32 v5, 0
	v_mov_b32_e32 v13, 0
	s_waitcnt vmcnt(1) lgkmcnt(1)
	v_cmp_ne_u16_sdwa s4, v11, v1 src0_sel:BYTE_0 src1_sel:DWORD
	s_and_saveexec_b32 s16, s4
	s_cbranch_execz .LBB286_1083
; %bb.1076:                             ;   in Loop: Header=BB286_810 Depth=1
	v_cmp_ne_u16_sdwa s4, v11, v17 src0_sel:BYTE_0 src1_sel:DWORD
	v_mov_b32_e32 v13, 0x8000
	s_and_saveexec_b32 s17, s4
	s_cbranch_execz .LBB286_1082
; %bb.1077:                             ;   in Loop: Header=BB286_810 Depth=1
	v_and_b32_e32 v22, 0x7f, v11
	v_mov_b32_e32 v13, 0x7c01
	s_mov_b32 s18, exec_lo
	v_cmpx_ne_u32_e32 0x7f, v22
	s_cbranch_execz .LBB286_1081
; %bb.1078:                             ;   in Loop: Header=BB286_810 Depth=1
	v_and_b32_e32 v0, 7, v11
	v_lshrrev_b32_e32 v6, 3, v22
	s_mov_b32 s20, exec_lo
	v_cmpx_gt_u32_e32 8, v22
; %bb.1079:                             ;   in Loop: Header=BB286_810 Depth=1
	v_ffbh_u32_e32 v0, v0
	v_min_u32_e32 v0, 32, v0
	v_subrev_nc_u32_e32 v6, 28, v0
	v_lshlrev_b64 v[36:37], v6, v[11:12]
	v_sub_nc_u32_e32 v6, 29, v0
	v_and_b32_e32 v0, 7, v36
; %bb.1080:                             ;   in Loop: Header=BB286_810 Depth=1
	s_or_b32 exec_lo, exec_lo, s20
	v_lshlrev_b32_e32 v13, 8, v11
	v_lshl_add_u32 v6, v6, 10, 0x2000
	v_lshlrev_b32_e32 v0, 7, v0
	v_and_b32_e32 v13, 0x8000, v13
	v_and_b32_e32 v6, 0xfc00, v6
	v_or3_b32 v13, v13, v6, v0
.LBB286_1081:                           ;   in Loop: Header=BB286_810 Depth=1
	s_or_b32 exec_lo, exec_lo, s18
.LBB286_1082:                           ;   in Loop: Header=BB286_810 Depth=1
	s_or_b32 exec_lo, exec_lo, s17
.LBB286_1083:                           ;   in Loop: Header=BB286_810 Depth=1
	s_or_b32 exec_lo, exec_lo, s16
	v_lshrrev_b16 v0, 8, v11
	s_mov_b32 s16, exec_lo
	v_cmpx_ne_u16_e32 0, v0
	s_cbranch_execz .LBB286_1091
; %bb.1084:                             ;   in Loop: Header=BB286_810 Depth=1
	v_bfrev_b32_e32 v5, 1
	s_mov_b32 s17, exec_lo
	v_cmpx_ne_u16_e32 0x80, v0
	s_cbranch_execz .LBB286_1090
; %bb.1085:                             ;   in Loop: Header=BB286_810 Depth=1
	v_and_b32_sdwa v22, v0, v54 dst_sel:DWORD dst_unused:UNUSED_PAD src0_sel:WORD_0 src1_sel:DWORD
	v_mov_b32_e32 v5, 0x7c010000
	s_mov_b32 s18, exec_lo
	v_cmpx_ne_u32_e32 0x7f, v22
	s_cbranch_execz .LBB286_1089
; %bb.1086:                             ;   in Loop: Header=BB286_810 Depth=1
	v_and_b32_sdwa v5, v0, v64 dst_sel:DWORD dst_unused:UNUSED_PAD src0_sel:WORD_0 src1_sel:DWORD
	v_lshrrev_b32_e32 v6, 3, v22
	s_mov_b32 s20, exec_lo
	v_cmpx_gt_u32_e32 8, v22
; %bb.1087:                             ;   in Loop: Header=BB286_810 Depth=1
	v_ffbh_u32_e32 v5, v5
	v_min_u32_e32 v22, 32, v5
	v_subrev_nc_u32_e32 v5, 28, v22
	v_lshlrev_b64 v[5:6], v5, v[0:1]
	v_sub_nc_u32_e32 v6, 29, v22
	v_and_b32_e32 v5, 7, v5
; %bb.1088:                             ;   in Loop: Header=BB286_810 Depth=1
	s_or_b32 exec_lo, exec_lo, s20
	v_lshlrev_b32_sdwa v0, v68, v0 dst_sel:DWORD dst_unused:UNUSED_PAD src0_sel:DWORD src1_sel:WORD_0
	v_lshl_add_u32 v6, v6, 10, 0x2000
	v_lshlrev_b32_e32 v5, 23, v5
	v_and_or_b32 v0, 0x8000, v0, v6
	v_lshl_or_b32 v5, v0, 16, v5
.LBB286_1089:                           ;   in Loop: Header=BB286_810 Depth=1
	s_or_b32 exec_lo, exec_lo, s18
.LBB286_1090:                           ;   in Loop: Header=BB286_810 Depth=1
	s_or_b32 exec_lo, exec_lo, s17
.LBB286_1091:                           ;   in Loop: Header=BB286_810 Depth=1
	s_or_b32 exec_lo, exec_lo, s16
	v_lshrrev_b32_e32 v0, 16, v11
	v_mov_b32_e32 v22, 0
	v_mov_b32_e32 v36, 0
	v_cmp_ne_u16_sdwa s4, v0, v1 src0_sel:BYTE_0 src1_sel:DWORD
	s_and_saveexec_b32 s16, s4
	s_cbranch_execz .LBB286_1099
; %bb.1092:                             ;   in Loop: Header=BB286_810 Depth=1
	v_cmp_ne_u16_sdwa s4, v0, v17 src0_sel:BYTE_0 src1_sel:DWORD
	v_mov_b32_e32 v36, 0x8000
	s_and_saveexec_b32 s17, s4
	s_cbranch_execz .LBB286_1098
; %bb.1093:                             ;   in Loop: Header=BB286_810 Depth=1
	v_bfe_u32 v37, v11, 16, 7
	v_mov_b32_e32 v36, 0x7c01
	s_mov_b32 s18, exec_lo
	v_cmpx_ne_u32_e32 0x7f, v37
	s_cbranch_execz .LBB286_1097
; %bb.1094:                             ;   in Loop: Header=BB286_810 Depth=1
	v_and_b32_e32 v6, 7, v0
	v_lshrrev_b32_e32 v36, 3, v37
	s_mov_b32 s20, exec_lo
	v_cmpx_gt_u32_e32 8, v37
; %bb.1095:                             ;   in Loop: Header=BB286_810 Depth=1
	v_ffbh_u32_e32 v6, v6
	v_min_u32_e32 v6, 32, v6
	v_subrev_nc_u32_e32 v36, 28, v6
	v_lshlrev_b64 v[112:113], v36, v[0:1]
	v_sub_nc_u32_e32 v36, 29, v6
	v_and_b32_e32 v6, 7, v112
; %bb.1096:                             ;   in Loop: Header=BB286_810 Depth=1
	s_or_b32 exec_lo, exec_lo, s20
	v_lshlrev_b32_e32 v0, 8, v0
	v_lshl_add_u32 v36, v36, 10, 0x2000
	v_lshlrev_b32_e32 v6, 7, v6
	v_and_b32_e32 v0, 0x8000, v0
	v_and_b32_e32 v36, 0xfc00, v36
	v_or3_b32 v36, v0, v36, v6
.LBB286_1097:                           ;   in Loop: Header=BB286_810 Depth=1
	s_or_b32 exec_lo, exec_lo, s18
.LBB286_1098:                           ;   in Loop: Header=BB286_810 Depth=1
	s_or_b32 exec_lo, exec_lo, s17
.LBB286_1099:                           ;   in Loop: Header=BB286_810 Depth=1
	s_or_b32 exec_lo, exec_lo, s16
	s_mov_b32 s16, exec_lo
	v_cmpx_lt_u32_e32 0xffffff, v11
	s_cbranch_execz .LBB286_1107
; %bb.1100:                             ;   in Loop: Header=BB286_810 Depth=1
	v_lshrrev_b32_e32 v0, 24, v11
	v_bfrev_b32_e32 v22, 1
	s_mov_b32 s17, exec_lo
	v_cmpx_ne_u32_e32 0x80, v0
	s_cbranch_execz .LBB286_1106
; %bb.1101:                             ;   in Loop: Header=BB286_810 Depth=1
	v_and_b32_e32 v37, 0x7f, v0
	v_mov_b32_e32 v22, 0x7c010000
	s_mov_b32 s18, exec_lo
	v_cmpx_ne_u32_e32 0x7f, v37
	s_cbranch_execz .LBB286_1105
; %bb.1102:                             ;   in Loop: Header=BB286_810 Depth=1
	v_and_b32_e32 v6, 7, v0
	v_lshrrev_b32_e32 v22, 3, v37
	s_mov_b32 s20, exec_lo
	v_cmpx_gt_u32_e32 8, v37
; %bb.1103:                             ;   in Loop: Header=BB286_810 Depth=1
	v_ffbh_u32_e32 v6, v6
	v_min_u32_e32 v6, 32, v6
	v_subrev_nc_u32_e32 v22, 28, v6
	v_lshlrev_b64 v[112:113], v22, v[0:1]
	v_sub_nc_u32_e32 v22, 29, v6
	v_and_b32_e32 v6, 7, v112
; %bb.1104:                             ;   in Loop: Header=BB286_810 Depth=1
	s_or_b32 exec_lo, exec_lo, s20
	v_lshlrev_b32_e32 v0, 8, v0
	v_lshl_add_u32 v22, v22, 10, 0x2000
	v_lshlrev_b32_e32 v6, 23, v6
	v_and_or_b32 v0, 0x8000, v0, v22
	v_lshl_or_b32 v22, v0, 16, v6
.LBB286_1105:                           ;   in Loop: Header=BB286_810 Depth=1
	s_or_b32 exec_lo, exec_lo, s18
.LBB286_1106:                           ;   in Loop: Header=BB286_810 Depth=1
	s_or_b32 exec_lo, exec_lo, s17
.LBB286_1107:                           ;   in Loop: Header=BB286_810 Depth=1
	s_or_b32 exec_lo, exec_lo, s16
	v_mov_b32_e32 v0, v12
	v_cmp_ne_u16_sdwa s4, v12, v1 src0_sel:BYTE_0 src1_sel:DWORD
	v_mov_b32_e32 v37, 0
	v_mov_b32_e32 v49, 0
	s_and_saveexec_b32 s16, s4
	s_cbranch_execz .LBB286_1115
; %bb.1108:                             ;   in Loop: Header=BB286_810 Depth=1
	v_cmp_ne_u16_sdwa s4, v12, v17 src0_sel:BYTE_0 src1_sel:DWORD
	v_mov_b32_e32 v49, 0x8000
	s_and_saveexec_b32 s17, s4
	s_cbranch_execz .LBB286_1114
; %bb.1109:                             ;   in Loop: Header=BB286_810 Depth=1
	v_and_b32_e32 v103, 0x7f, v12
	v_mov_b32_e32 v49, 0x7c01
	s_mov_b32 s18, exec_lo
	v_cmpx_ne_u32_e32 0x7f, v103
	s_cbranch_execz .LBB286_1113
; %bb.1110:                             ;   in Loop: Header=BB286_810 Depth=1
	v_and_b32_e32 v6, 7, v12
	v_lshrrev_b32_e32 v49, 3, v103
	s_mov_b32 s20, exec_lo
	v_cmpx_gt_u32_e32 8, v103
; %bb.1111:                             ;   in Loop: Header=BB286_810 Depth=1
	v_ffbh_u32_e32 v6, v6
	v_min_u32_e32 v6, 32, v6
	v_subrev_nc_u32_e32 v49, 28, v6
	v_lshlrev_b64 v[112:113], v49, v[0:1]
	v_sub_nc_u32_e32 v49, 29, v6
	v_and_b32_e32 v6, 7, v112
; %bb.1112:                             ;   in Loop: Header=BB286_810 Depth=1
	s_or_b32 exec_lo, exec_lo, s20
	v_lshlrev_b32_e32 v103, 8, v12
	v_lshl_add_u32 v49, v49, 10, 0x2000
	v_lshlrev_b32_e32 v6, 7, v6
	v_and_b32_e32 v103, 0x8000, v103
	v_and_b32_e32 v49, 0xfc00, v49
	v_or3_b32 v49, v103, v49, v6
.LBB286_1113:                           ;   in Loop: Header=BB286_810 Depth=1
	s_or_b32 exec_lo, exec_lo, s18
.LBB286_1114:                           ;   in Loop: Header=BB286_810 Depth=1
	s_or_b32 exec_lo, exec_lo, s17
.LBB286_1115:                           ;   in Loop: Header=BB286_810 Depth=1
	s_or_b32 exec_lo, exec_lo, s16
	v_lshrrev_b16 v0, 8, v0
	v_mov_b32_e32 v6, 0
	s_mov_b32 s16, exec_lo
	v_cmpx_ne_u16_e32 0, v0
	s_cbranch_execz .LBB286_1123
; %bb.1116:                             ;   in Loop: Header=BB286_810 Depth=1
	v_bfrev_b32_e32 v6, 1
	s_mov_b32 s17, exec_lo
	v_cmpx_ne_u16_e32 0x80, v0
	s_cbranch_execz .LBB286_1122
; %bb.1117:                             ;   in Loop: Header=BB286_810 Depth=1
	v_and_b32_sdwa v112, v0, v54 dst_sel:DWORD dst_unused:UNUSED_PAD src0_sel:WORD_0 src1_sel:DWORD
	v_mov_b32_e32 v6, 0x7c010000
	s_mov_b32 s18, exec_lo
	v_cmpx_ne_u32_e32 0x7f, v112
	s_cbranch_execz .LBB286_1121
; %bb.1118:                             ;   in Loop: Header=BB286_810 Depth=1
	v_and_b32_sdwa v6, v0, v64 dst_sel:DWORD dst_unused:UNUSED_PAD src0_sel:WORD_0 src1_sel:DWORD
	v_lshrrev_b32_e32 v103, 3, v112
	s_mov_b32 s20, exec_lo
	v_cmpx_gt_u32_e32 8, v112
; %bb.1119:                             ;   in Loop: Header=BB286_810 Depth=1
	v_ffbh_u32_e32 v6, v6
	v_min_u32_e32 v6, 32, v6
	v_subrev_nc_u32_e32 v103, 28, v6
	v_lshlrev_b64 v[112:113], v103, v[0:1]
	v_sub_nc_u32_e32 v103, 29, v6
	v_and_b32_e32 v6, 7, v112
; %bb.1120:                             ;   in Loop: Header=BB286_810 Depth=1
	s_or_b32 exec_lo, exec_lo, s20
	v_lshlrev_b32_sdwa v0, v68, v0 dst_sel:DWORD dst_unused:UNUSED_PAD src0_sel:DWORD src1_sel:WORD_0
	v_lshl_add_u32 v103, v103, 10, 0x2000
	v_lshlrev_b32_e32 v6, 23, v6
	v_and_or_b32 v0, 0x8000, v0, v103
	v_lshl_or_b32 v6, v0, 16, v6
.LBB286_1121:                           ;   in Loop: Header=BB286_810 Depth=1
	s_or_b32 exec_lo, exec_lo, s18
.LBB286_1122:                           ;   in Loop: Header=BB286_810 Depth=1
	s_or_b32 exec_lo, exec_lo, s17
.LBB286_1123:                           ;   in Loop: Header=BB286_810 Depth=1
	s_or_b32 exec_lo, exec_lo, s16
	v_lshrrev_b32_e32 v0, 16, v12
	v_cmp_ne_u16_sdwa s4, v0, v1 src0_sel:BYTE_0 src1_sel:DWORD
	s_and_saveexec_b32 s16, s4
	s_cbranch_execz .LBB286_1131
; %bb.1124:                             ;   in Loop: Header=BB286_810 Depth=1
	v_cmp_ne_u16_sdwa s4, v0, v17 src0_sel:BYTE_0 src1_sel:DWORD
	v_mov_b32_e32 v37, 0x8000
	s_and_saveexec_b32 s17, s4
	s_cbranch_execz .LBB286_1130
; %bb.1125:                             ;   in Loop: Header=BB286_810 Depth=1
	v_bfe_u32 v112, v12, 16, 7
	v_mov_b32_e32 v37, 0x7c01
	s_mov_b32 s18, exec_lo
	v_cmpx_ne_u32_e32 0x7f, v112
	s_cbranch_execz .LBB286_1129
; %bb.1126:                             ;   in Loop: Header=BB286_810 Depth=1
	v_and_b32_e32 v37, 7, v0
	v_lshrrev_b32_e32 v103, 3, v112
	s_mov_b32 s20, exec_lo
	v_cmpx_gt_u32_e32 8, v112
; %bb.1127:                             ;   in Loop: Header=BB286_810 Depth=1
	v_ffbh_u32_e32 v37, v37
	v_min_u32_e32 v37, 32, v37
	v_subrev_nc_u32_e32 v103, 28, v37
	v_lshlrev_b64 v[112:113], v103, v[0:1]
	v_sub_nc_u32_e32 v103, 29, v37
	v_and_b32_e32 v37, 7, v112
; %bb.1128:                             ;   in Loop: Header=BB286_810 Depth=1
	s_or_b32 exec_lo, exec_lo, s20
	v_lshlrev_b32_e32 v0, 8, v0
	v_lshl_add_u32 v103, v103, 10, 0x2000
	v_lshlrev_b32_e32 v37, 7, v37
	v_and_b32_e32 v0, 0x8000, v0
	v_and_b32_e32 v103, 0xfc00, v103
	v_or3_b32 v37, v0, v103, v37
.LBB286_1129:                           ;   in Loop: Header=BB286_810 Depth=1
	s_or_b32 exec_lo, exec_lo, s18
.LBB286_1130:                           ;   in Loop: Header=BB286_810 Depth=1
	s_or_b32 exec_lo, exec_lo, s17
.LBB286_1131:                           ;   in Loop: Header=BB286_810 Depth=1
	s_or_b32 exec_lo, exec_lo, s16
	v_cmp_lt_u64_e64 s4, s[12:13], v[11:12]
	v_mov_b32_e32 v11, 0
	s_and_saveexec_b32 s16, s4
	s_cbranch_execz .LBB286_1139
; %bb.1132:                             ;   in Loop: Header=BB286_810 Depth=1
	v_lshrrev_b32_e32 v0, 24, v12
	v_bfrev_b32_e32 v11, 1
	s_mov_b32 s17, exec_lo
	v_cmpx_ne_u32_e32 0x80, v0
	s_cbranch_execz .LBB286_1138
; %bb.1133:                             ;   in Loop: Header=BB286_810 Depth=1
	v_and_b32_e32 v103, 0x7f, v0
	v_mov_b32_e32 v11, 0x7c010000
	s_mov_b32 s18, exec_lo
	v_cmpx_ne_u32_e32 0x7f, v103
	s_cbranch_execz .LBB286_1137
; %bb.1134:                             ;   in Loop: Header=BB286_810 Depth=1
	v_and_b32_e32 v11, 7, v0
	v_lshrrev_b32_e32 v12, 3, v103
	s_mov_b32 s20, exec_lo
	v_cmpx_gt_u32_e32 8, v103
; %bb.1135:                             ;   in Loop: Header=BB286_810 Depth=1
	v_ffbh_u32_e32 v11, v11
	v_min_u32_e32 v103, 32, v11
	v_subrev_nc_u32_e32 v11, 28, v103
	v_lshlrev_b64 v[11:12], v11, v[0:1]
	v_sub_nc_u32_e32 v12, 29, v103
	v_and_b32_e32 v11, 7, v11
; %bb.1136:                             ;   in Loop: Header=BB286_810 Depth=1
	s_or_b32 exec_lo, exec_lo, s20
	v_lshlrev_b32_e32 v0, 8, v0
	v_lshl_add_u32 v12, v12, 10, 0x2000
	v_lshlrev_b32_e32 v11, 23, v11
	v_and_or_b32 v0, 0x8000, v0, v12
	v_lshl_or_b32 v11, v0, 16, v11
.LBB286_1137:                           ;   in Loop: Header=BB286_810 Depth=1
	s_or_b32 exec_lo, exec_lo, s18
.LBB286_1138:                           ;   in Loop: Header=BB286_810 Depth=1
	s_or_b32 exec_lo, exec_lo, s17
.LBB286_1139:                           ;   in Loop: Header=BB286_810 Depth=1
	s_or_b32 exec_lo, exec_lo, s16
	v_or_b32_e32 v0, v22, v36
	s_waitcnt vmcnt(0) lgkmcnt(0)
	v_fma_mixlo_f16 v12, v4, v22, 0 op_sel:[0,1,0] op_sel_hi:[0,1,0]
	v_or_b32_e32 v13, v5, v13
	v_fma_mixlo_f16 v5, v4, v5, 0 op_sel:[0,1,0] op_sel_hi:[0,1,0]
	v_or_b32_e32 v22, v6, v49
	v_fma_mixlo_f16 v36, v4, v0, 0 op_sel_hi:[0,1,0]
	v_or_b32_e32 v37, v11, v37
	v_lshlrev_b32_e32 v0, 16, v12
	v_lshlrev_b32_e32 v12, 16, v5
	v_fma_mixlo_f16 v13, v4, v13, 0 op_sel_hi:[0,1,0]
	v_and_b32_e32 v5, 0xffff, v36
	v_fma_mixlo_f16 v6, v4, v6, 0 op_sel:[0,1,0] op_sel_hi:[0,1,0]
	v_fma_mixlo_f16 v22, v4, v22, 0 op_sel_hi:[0,1,0]
	v_fma_mixlo_f16 v11, v4, v11, 0 op_sel:[0,1,0] op_sel_hi:[0,1,0]
	v_fma_mixlo_f16 v36, v4, v37, 0 op_sel_hi:[0,1,0]
	v_and_b32_e32 v103, 0xffff, v13
	v_lshlrev_b32_e32 v6, 16, v6
	v_and_b32_e32 v22, 0xffff, v22
	v_lshlrev_b32_e32 v4, 16, v11
	v_and_b32_e32 v11, 0xffff, v36
	v_or_b32_e32 v13, v0, v5
	v_or_b32_e32 v49, v12, v103
	;; [unrolled: 1-line block ×4, first 2 shown]
	s_and_saveexec_b32 s16, vcc_lo
	s_cbranch_execz .LBB286_1141
; %bb.1140:                             ;   in Loop: Header=BB286_810 Depth=1
	v_cmp_lt_i32_e64 s4, v18, v38
	v_cndmask_b32_e64 v13, 0, v103, s4
	v_cmp_lt_i32_e64 s4, v96, v38
	v_cndmask_b32_e64 v12, 0, v12, s4
	v_cmp_lt_i32_e64 s4, v87, v38
	v_or_b32_e32 v49, v13, v12
	v_cndmask_b32_e64 v5, 0, v5, s4
	v_cmp_lt_i32_e64 s4, v86, v38
	v_cndmask_b32_e64 v0, 0, v0, s4
	v_cmp_lt_i32_e64 s4, v84, v38
	v_or_b32_e32 v13, v5, v0
	;; [unrolled: 5-line block ×3, first 2 shown]
	v_cndmask_b32_e64 v11, 0, v11, s4
	v_cmp_lt_i32_e64 s4, v71, v38
	v_cndmask_b32_e64 v4, 0, v4, s4
	v_or_b32_e32 v36, v11, v4
.LBB286_1141:                           ;   in Loop: Header=BB286_810 Depth=1
	s_or_b32 exec_lo, exec_lo, s16
	;;#ASMSTART
	v_pk_mul_f16 v0, v85, v49;

	;;#ASMEND
	;;#ASMSTART
	v_pk_mul_f16 v4, v82, v13;

	;;#ASMEND
	;; [unrolled: 4-line block ×4, first 2 shown]
	;;#ASMSTART
	v_pk_add_f16 v0, v0, v4;

	;;#ASMEND
	;;#ASMSTART
	v_pk_add_f16 v0, v0, v5;

	;;#ASMEND
	;; [unrolled: 4-line block ×3, first 2 shown]
	v_and_b32_e32 v4, 0xffff, v0
	v_lshrrev_b32_e32 v0, 16, v0
	;;#ASMSTART
	v_cvt_f32_f16 v103, v4;
	;;#ASMEND
	;;#ASMSTART
	v_cvt_f32_f16 v112, v0;
	;;#ASMEND
	flat_load_dwordx2 v[11:12], v[9:10] offset:1280
	flat_load_dword v4, v[26:27]
	v_mov_b32_e32 v5, 0
	v_mov_b32_e32 v13, 0
	s_waitcnt vmcnt(1) lgkmcnt(1)
	v_cmp_ne_u16_sdwa s4, v11, v1 src0_sel:BYTE_0 src1_sel:DWORD
	s_and_saveexec_b32 s16, s4
	s_cbranch_execz .LBB286_1149
; %bb.1142:                             ;   in Loop: Header=BB286_810 Depth=1
	v_cmp_ne_u16_sdwa s4, v11, v17 src0_sel:BYTE_0 src1_sel:DWORD
	v_mov_b32_e32 v13, 0x8000
	s_and_saveexec_b32 s17, s4
	s_cbranch_execz .LBB286_1148
; %bb.1143:                             ;   in Loop: Header=BB286_810 Depth=1
	v_and_b32_e32 v22, 0x7f, v11
	v_mov_b32_e32 v13, 0x7c01
	s_mov_b32 s18, exec_lo
	v_cmpx_ne_u32_e32 0x7f, v22
	s_cbranch_execz .LBB286_1147
; %bb.1144:                             ;   in Loop: Header=BB286_810 Depth=1
	v_and_b32_e32 v0, 7, v11
	v_lshrrev_b32_e32 v6, 3, v22
	s_mov_b32 s20, exec_lo
	v_cmpx_gt_u32_e32 8, v22
; %bb.1145:                             ;   in Loop: Header=BB286_810 Depth=1
	v_ffbh_u32_e32 v0, v0
	v_min_u32_e32 v0, 32, v0
	v_subrev_nc_u32_e32 v6, 28, v0
	v_lshlrev_b64 v[36:37], v6, v[11:12]
	v_sub_nc_u32_e32 v6, 29, v0
	v_and_b32_e32 v0, 7, v36
; %bb.1146:                             ;   in Loop: Header=BB286_810 Depth=1
	s_or_b32 exec_lo, exec_lo, s20
	v_lshlrev_b32_e32 v13, 8, v11
	v_lshl_add_u32 v6, v6, 10, 0x2000
	v_lshlrev_b32_e32 v0, 7, v0
	v_and_b32_e32 v13, 0x8000, v13
	v_and_b32_e32 v6, 0xfc00, v6
	v_or3_b32 v13, v13, v6, v0
.LBB286_1147:                           ;   in Loop: Header=BB286_810 Depth=1
	s_or_b32 exec_lo, exec_lo, s18
.LBB286_1148:                           ;   in Loop: Header=BB286_810 Depth=1
	s_or_b32 exec_lo, exec_lo, s17
.LBB286_1149:                           ;   in Loop: Header=BB286_810 Depth=1
	s_or_b32 exec_lo, exec_lo, s16
	v_lshrrev_b16 v0, 8, v11
	s_mov_b32 s16, exec_lo
	v_cmpx_ne_u16_e32 0, v0
	s_cbranch_execz .LBB286_1157
; %bb.1150:                             ;   in Loop: Header=BB286_810 Depth=1
	v_bfrev_b32_e32 v5, 1
	s_mov_b32 s17, exec_lo
	v_cmpx_ne_u16_e32 0x80, v0
	s_cbranch_execz .LBB286_1156
; %bb.1151:                             ;   in Loop: Header=BB286_810 Depth=1
	v_and_b32_sdwa v22, v0, v54 dst_sel:DWORD dst_unused:UNUSED_PAD src0_sel:WORD_0 src1_sel:DWORD
	v_mov_b32_e32 v5, 0x7c010000
	s_mov_b32 s18, exec_lo
	v_cmpx_ne_u32_e32 0x7f, v22
	s_cbranch_execz .LBB286_1155
; %bb.1152:                             ;   in Loop: Header=BB286_810 Depth=1
	v_and_b32_sdwa v5, v0, v64 dst_sel:DWORD dst_unused:UNUSED_PAD src0_sel:WORD_0 src1_sel:DWORD
	v_lshrrev_b32_e32 v6, 3, v22
	s_mov_b32 s20, exec_lo
	v_cmpx_gt_u32_e32 8, v22
; %bb.1153:                             ;   in Loop: Header=BB286_810 Depth=1
	v_ffbh_u32_e32 v5, v5
	v_min_u32_e32 v22, 32, v5
	v_subrev_nc_u32_e32 v5, 28, v22
	v_lshlrev_b64 v[5:6], v5, v[0:1]
	v_sub_nc_u32_e32 v6, 29, v22
	v_and_b32_e32 v5, 7, v5
; %bb.1154:                             ;   in Loop: Header=BB286_810 Depth=1
	s_or_b32 exec_lo, exec_lo, s20
	v_lshlrev_b32_sdwa v0, v68, v0 dst_sel:DWORD dst_unused:UNUSED_PAD src0_sel:DWORD src1_sel:WORD_0
	v_lshl_add_u32 v6, v6, 10, 0x2000
	v_lshlrev_b32_e32 v5, 23, v5
	v_and_or_b32 v0, 0x8000, v0, v6
	v_lshl_or_b32 v5, v0, 16, v5
.LBB286_1155:                           ;   in Loop: Header=BB286_810 Depth=1
	s_or_b32 exec_lo, exec_lo, s18
.LBB286_1156:                           ;   in Loop: Header=BB286_810 Depth=1
	s_or_b32 exec_lo, exec_lo, s17
.LBB286_1157:                           ;   in Loop: Header=BB286_810 Depth=1
	s_or_b32 exec_lo, exec_lo, s16
	v_lshrrev_b32_e32 v0, 16, v11
	v_mov_b32_e32 v22, 0
	v_mov_b32_e32 v36, 0
	v_cmp_ne_u16_sdwa s4, v0, v1 src0_sel:BYTE_0 src1_sel:DWORD
	s_and_saveexec_b32 s16, s4
	s_cbranch_execz .LBB286_1165
; %bb.1158:                             ;   in Loop: Header=BB286_810 Depth=1
	v_cmp_ne_u16_sdwa s4, v0, v17 src0_sel:BYTE_0 src1_sel:DWORD
	v_mov_b32_e32 v36, 0x8000
	s_and_saveexec_b32 s17, s4
	s_cbranch_execz .LBB286_1164
; %bb.1159:                             ;   in Loop: Header=BB286_810 Depth=1
	v_bfe_u32 v37, v11, 16, 7
	v_mov_b32_e32 v36, 0x7c01
	s_mov_b32 s18, exec_lo
	v_cmpx_ne_u32_e32 0x7f, v37
	s_cbranch_execz .LBB286_1163
; %bb.1160:                             ;   in Loop: Header=BB286_810 Depth=1
	v_and_b32_e32 v6, 7, v0
	v_lshrrev_b32_e32 v36, 3, v37
	s_mov_b32 s20, exec_lo
	v_cmpx_gt_u32_e32 8, v37
; %bb.1161:                             ;   in Loop: Header=BB286_810 Depth=1
	v_ffbh_u32_e32 v6, v6
	v_min_u32_e32 v6, 32, v6
	v_subrev_nc_u32_e32 v36, 28, v6
	v_lshlrev_b64 v[113:114], v36, v[0:1]
	v_sub_nc_u32_e32 v36, 29, v6
	v_and_b32_e32 v6, 7, v113
; %bb.1162:                             ;   in Loop: Header=BB286_810 Depth=1
	s_or_b32 exec_lo, exec_lo, s20
	v_lshlrev_b32_e32 v0, 8, v0
	v_lshl_add_u32 v36, v36, 10, 0x2000
	v_lshlrev_b32_e32 v6, 7, v6
	v_and_b32_e32 v0, 0x8000, v0
	v_and_b32_e32 v36, 0xfc00, v36
	v_or3_b32 v36, v0, v36, v6
.LBB286_1163:                           ;   in Loop: Header=BB286_810 Depth=1
	s_or_b32 exec_lo, exec_lo, s18
.LBB286_1164:                           ;   in Loop: Header=BB286_810 Depth=1
	s_or_b32 exec_lo, exec_lo, s17
.LBB286_1165:                           ;   in Loop: Header=BB286_810 Depth=1
	s_or_b32 exec_lo, exec_lo, s16
	s_mov_b32 s16, exec_lo
	v_cmpx_lt_u32_e32 0xffffff, v11
	s_cbranch_execz .LBB286_1173
; %bb.1166:                             ;   in Loop: Header=BB286_810 Depth=1
	v_lshrrev_b32_e32 v0, 24, v11
	v_bfrev_b32_e32 v22, 1
	s_mov_b32 s17, exec_lo
	v_cmpx_ne_u32_e32 0x80, v0
	s_cbranch_execz .LBB286_1172
; %bb.1167:                             ;   in Loop: Header=BB286_810 Depth=1
	v_and_b32_e32 v37, 0x7f, v0
	v_mov_b32_e32 v22, 0x7c010000
	s_mov_b32 s18, exec_lo
	v_cmpx_ne_u32_e32 0x7f, v37
	s_cbranch_execz .LBB286_1171
; %bb.1168:                             ;   in Loop: Header=BB286_810 Depth=1
	v_and_b32_e32 v6, 7, v0
	v_lshrrev_b32_e32 v22, 3, v37
	s_mov_b32 s20, exec_lo
	v_cmpx_gt_u32_e32 8, v37
; %bb.1169:                             ;   in Loop: Header=BB286_810 Depth=1
	v_ffbh_u32_e32 v6, v6
	v_min_u32_e32 v6, 32, v6
	v_subrev_nc_u32_e32 v22, 28, v6
	v_lshlrev_b64 v[113:114], v22, v[0:1]
	v_sub_nc_u32_e32 v22, 29, v6
	v_and_b32_e32 v6, 7, v113
; %bb.1170:                             ;   in Loop: Header=BB286_810 Depth=1
	s_or_b32 exec_lo, exec_lo, s20
	v_lshlrev_b32_e32 v0, 8, v0
	v_lshl_add_u32 v22, v22, 10, 0x2000
	v_lshlrev_b32_e32 v6, 23, v6
	v_and_or_b32 v0, 0x8000, v0, v22
	v_lshl_or_b32 v22, v0, 16, v6
.LBB286_1171:                           ;   in Loop: Header=BB286_810 Depth=1
	s_or_b32 exec_lo, exec_lo, s18
.LBB286_1172:                           ;   in Loop: Header=BB286_810 Depth=1
	s_or_b32 exec_lo, exec_lo, s17
.LBB286_1173:                           ;   in Loop: Header=BB286_810 Depth=1
	s_or_b32 exec_lo, exec_lo, s16
	v_mov_b32_e32 v0, v12
	v_cmp_ne_u16_sdwa s4, v12, v1 src0_sel:BYTE_0 src1_sel:DWORD
	v_mov_b32_e32 v37, 0
	v_mov_b32_e32 v49, 0
	s_and_saveexec_b32 s16, s4
	s_cbranch_execz .LBB286_1181
; %bb.1174:                             ;   in Loop: Header=BB286_810 Depth=1
	v_cmp_ne_u16_sdwa s4, v12, v17 src0_sel:BYTE_0 src1_sel:DWORD
	v_mov_b32_e32 v49, 0x8000
	s_and_saveexec_b32 s17, s4
	s_cbranch_execz .LBB286_1180
; %bb.1175:                             ;   in Loop: Header=BB286_810 Depth=1
	v_and_b32_e32 v113, 0x7f, v12
	v_mov_b32_e32 v49, 0x7c01
	s_mov_b32 s18, exec_lo
	v_cmpx_ne_u32_e32 0x7f, v113
	s_cbranch_execz .LBB286_1179
; %bb.1176:                             ;   in Loop: Header=BB286_810 Depth=1
	v_and_b32_e32 v6, 7, v12
	v_lshrrev_b32_e32 v49, 3, v113
	s_mov_b32 s20, exec_lo
	v_cmpx_gt_u32_e32 8, v113
; %bb.1177:                             ;   in Loop: Header=BB286_810 Depth=1
	v_ffbh_u32_e32 v6, v6
	v_min_u32_e32 v6, 32, v6
	v_subrev_nc_u32_e32 v49, 28, v6
	v_lshlrev_b64 v[113:114], v49, v[0:1]
	v_sub_nc_u32_e32 v49, 29, v6
	v_and_b32_e32 v6, 7, v113
; %bb.1178:                             ;   in Loop: Header=BB286_810 Depth=1
	s_or_b32 exec_lo, exec_lo, s20
	v_lshlrev_b32_e32 v113, 8, v12
	v_lshl_add_u32 v49, v49, 10, 0x2000
	v_lshlrev_b32_e32 v6, 7, v6
	v_and_b32_e32 v113, 0x8000, v113
	v_and_b32_e32 v49, 0xfc00, v49
	v_or3_b32 v49, v113, v49, v6
.LBB286_1179:                           ;   in Loop: Header=BB286_810 Depth=1
	s_or_b32 exec_lo, exec_lo, s18
.LBB286_1180:                           ;   in Loop: Header=BB286_810 Depth=1
	s_or_b32 exec_lo, exec_lo, s17
.LBB286_1181:                           ;   in Loop: Header=BB286_810 Depth=1
	s_or_b32 exec_lo, exec_lo, s16
	v_lshrrev_b16 v0, 8, v0
	v_mov_b32_e32 v6, 0
	s_mov_b32 s16, exec_lo
	v_cmpx_ne_u16_e32 0, v0
	s_cbranch_execz .LBB286_1189
; %bb.1182:                             ;   in Loop: Header=BB286_810 Depth=1
	v_bfrev_b32_e32 v6, 1
	s_mov_b32 s17, exec_lo
	v_cmpx_ne_u16_e32 0x80, v0
	s_cbranch_execz .LBB286_1188
; %bb.1183:                             ;   in Loop: Header=BB286_810 Depth=1
	v_and_b32_sdwa v114, v0, v54 dst_sel:DWORD dst_unused:UNUSED_PAD src0_sel:WORD_0 src1_sel:DWORD
	v_mov_b32_e32 v6, 0x7c010000
	s_mov_b32 s18, exec_lo
	v_cmpx_ne_u32_e32 0x7f, v114
	s_cbranch_execz .LBB286_1187
; %bb.1184:                             ;   in Loop: Header=BB286_810 Depth=1
	v_and_b32_sdwa v6, v0, v64 dst_sel:DWORD dst_unused:UNUSED_PAD src0_sel:WORD_0 src1_sel:DWORD
	v_lshrrev_b32_e32 v113, 3, v114
	s_mov_b32 s20, exec_lo
	v_cmpx_gt_u32_e32 8, v114
; %bb.1185:                             ;   in Loop: Header=BB286_810 Depth=1
	v_ffbh_u32_e32 v6, v6
	v_min_u32_e32 v6, 32, v6
	v_subrev_nc_u32_e32 v113, 28, v6
	v_lshlrev_b64 v[114:115], v113, v[0:1]
	v_sub_nc_u32_e32 v113, 29, v6
	v_and_b32_e32 v6, 7, v114
; %bb.1186:                             ;   in Loop: Header=BB286_810 Depth=1
	s_or_b32 exec_lo, exec_lo, s20
	v_lshlrev_b32_sdwa v0, v68, v0 dst_sel:DWORD dst_unused:UNUSED_PAD src0_sel:DWORD src1_sel:WORD_0
	v_lshl_add_u32 v113, v113, 10, 0x2000
	v_lshlrev_b32_e32 v6, 23, v6
	v_and_or_b32 v0, 0x8000, v0, v113
	v_lshl_or_b32 v6, v0, 16, v6
.LBB286_1187:                           ;   in Loop: Header=BB286_810 Depth=1
	s_or_b32 exec_lo, exec_lo, s18
.LBB286_1188:                           ;   in Loop: Header=BB286_810 Depth=1
	s_or_b32 exec_lo, exec_lo, s17
.LBB286_1189:                           ;   in Loop: Header=BB286_810 Depth=1
	s_or_b32 exec_lo, exec_lo, s16
	v_lshrrev_b32_e32 v0, 16, v12
	v_cmp_ne_u16_sdwa s4, v0, v1 src0_sel:BYTE_0 src1_sel:DWORD
	s_and_saveexec_b32 s16, s4
	s_cbranch_execz .LBB286_1197
; %bb.1190:                             ;   in Loop: Header=BB286_810 Depth=1
	v_cmp_ne_u16_sdwa s4, v0, v17 src0_sel:BYTE_0 src1_sel:DWORD
	v_mov_b32_e32 v37, 0x8000
	s_and_saveexec_b32 s17, s4
	s_cbranch_execz .LBB286_1196
; %bb.1191:                             ;   in Loop: Header=BB286_810 Depth=1
	v_bfe_u32 v114, v12, 16, 7
	v_mov_b32_e32 v37, 0x7c01
	s_mov_b32 s18, exec_lo
	v_cmpx_ne_u32_e32 0x7f, v114
	s_cbranch_execz .LBB286_1195
; %bb.1192:                             ;   in Loop: Header=BB286_810 Depth=1
	v_and_b32_e32 v37, 7, v0
	v_lshrrev_b32_e32 v113, 3, v114
	s_mov_b32 s20, exec_lo
	v_cmpx_gt_u32_e32 8, v114
; %bb.1193:                             ;   in Loop: Header=BB286_810 Depth=1
	v_ffbh_u32_e32 v37, v37
	v_min_u32_e32 v37, 32, v37
	v_subrev_nc_u32_e32 v113, 28, v37
	v_lshlrev_b64 v[114:115], v113, v[0:1]
	v_sub_nc_u32_e32 v113, 29, v37
	v_and_b32_e32 v37, 7, v114
; %bb.1194:                             ;   in Loop: Header=BB286_810 Depth=1
	s_or_b32 exec_lo, exec_lo, s20
	v_lshlrev_b32_e32 v0, 8, v0
	v_lshl_add_u32 v113, v113, 10, 0x2000
	v_lshlrev_b32_e32 v37, 7, v37
	v_and_b32_e32 v0, 0x8000, v0
	v_and_b32_e32 v113, 0xfc00, v113
	v_or3_b32 v37, v0, v113, v37
.LBB286_1195:                           ;   in Loop: Header=BB286_810 Depth=1
	s_or_b32 exec_lo, exec_lo, s18
.LBB286_1196:                           ;   in Loop: Header=BB286_810 Depth=1
	s_or_b32 exec_lo, exec_lo, s17
.LBB286_1197:                           ;   in Loop: Header=BB286_810 Depth=1
	s_or_b32 exec_lo, exec_lo, s16
	v_cmp_lt_u64_e64 s4, s[12:13], v[11:12]
	v_mov_b32_e32 v11, 0
	s_and_saveexec_b32 s16, s4
	s_cbranch_execz .LBB286_1205
; %bb.1198:                             ;   in Loop: Header=BB286_810 Depth=1
	v_lshrrev_b32_e32 v0, 24, v12
	v_bfrev_b32_e32 v11, 1
	s_mov_b32 s17, exec_lo
	v_cmpx_ne_u32_e32 0x80, v0
	s_cbranch_execz .LBB286_1204
; %bb.1199:                             ;   in Loop: Header=BB286_810 Depth=1
	v_and_b32_e32 v113, 0x7f, v0
	v_mov_b32_e32 v11, 0x7c010000
	s_mov_b32 s18, exec_lo
	v_cmpx_ne_u32_e32 0x7f, v113
	s_cbranch_execz .LBB286_1203
; %bb.1200:                             ;   in Loop: Header=BB286_810 Depth=1
	v_and_b32_e32 v11, 7, v0
	v_lshrrev_b32_e32 v12, 3, v113
	s_mov_b32 s20, exec_lo
	v_cmpx_gt_u32_e32 8, v113
; %bb.1201:                             ;   in Loop: Header=BB286_810 Depth=1
	v_ffbh_u32_e32 v11, v11
	v_min_u32_e32 v113, 32, v11
	v_subrev_nc_u32_e32 v11, 28, v113
	v_lshlrev_b64 v[11:12], v11, v[0:1]
	v_sub_nc_u32_e32 v12, 29, v113
	v_and_b32_e32 v11, 7, v11
; %bb.1202:                             ;   in Loop: Header=BB286_810 Depth=1
	s_or_b32 exec_lo, exec_lo, s20
	v_lshlrev_b32_e32 v0, 8, v0
	v_lshl_add_u32 v12, v12, 10, 0x2000
	v_lshlrev_b32_e32 v11, 23, v11
	v_and_or_b32 v0, 0x8000, v0, v12
	v_lshl_or_b32 v11, v0, 16, v11
.LBB286_1203:                           ;   in Loop: Header=BB286_810 Depth=1
	s_or_b32 exec_lo, exec_lo, s18
.LBB286_1204:                           ;   in Loop: Header=BB286_810 Depth=1
	s_or_b32 exec_lo, exec_lo, s17
.LBB286_1205:                           ;   in Loop: Header=BB286_810 Depth=1
	s_or_b32 exec_lo, exec_lo, s16
	v_or_b32_e32 v0, v22, v36
	s_waitcnt vmcnt(0) lgkmcnt(0)
	v_fma_mixlo_f16 v12, v4, v22, 0 op_sel:[0,1,0] op_sel_hi:[0,1,0]
	v_or_b32_e32 v13, v5, v13
	v_fma_mixlo_f16 v5, v4, v5, 0 op_sel:[0,1,0] op_sel_hi:[0,1,0]
	v_or_b32_e32 v22, v6, v49
	v_fma_mixlo_f16 v36, v4, v0, 0 op_sel_hi:[0,1,0]
	v_or_b32_e32 v37, v11, v37
	v_lshlrev_b32_e32 v0, 16, v12
	v_lshlrev_b32_e32 v12, 16, v5
	v_fma_mixlo_f16 v13, v4, v13, 0 op_sel_hi:[0,1,0]
	v_and_b32_e32 v5, 0xffff, v36
	v_fma_mixlo_f16 v6, v4, v6, 0 op_sel:[0,1,0] op_sel_hi:[0,1,0]
	v_fma_mixlo_f16 v22, v4, v22, 0 op_sel_hi:[0,1,0]
	v_fma_mixlo_f16 v11, v4, v11, 0 op_sel:[0,1,0] op_sel_hi:[0,1,0]
	v_fma_mixlo_f16 v36, v4, v37, 0 op_sel_hi:[0,1,0]
	v_and_b32_e32 v113, 0xffff, v13
	v_lshlrev_b32_e32 v6, 16, v6
	v_and_b32_e32 v22, 0xffff, v22
	v_lshlrev_b32_e32 v4, 16, v11
	v_and_b32_e32 v11, 0xffff, v36
	v_or_b32_e32 v13, v0, v5
	v_or_b32_e32 v49, v12, v113
	;; [unrolled: 1-line block ×4, first 2 shown]
	s_and_saveexec_b32 s16, vcc_lo
	s_cbranch_execz .LBB286_1207
; %bb.1206:                             ;   in Loop: Header=BB286_810 Depth=1
	v_cmp_lt_i32_e64 s4, v18, v38
	v_cndmask_b32_e64 v13, 0, v113, s4
	v_cmp_lt_i32_e64 s4, v96, v38
	v_cndmask_b32_e64 v12, 0, v12, s4
	v_cmp_lt_i32_e64 s4, v87, v38
	v_or_b32_e32 v49, v13, v12
	v_cndmask_b32_e64 v5, 0, v5, s4
	v_cmp_lt_i32_e64 s4, v86, v38
	v_cndmask_b32_e64 v0, 0, v0, s4
	v_cmp_lt_i32_e64 s4, v84, v38
	v_or_b32_e32 v13, v5, v0
	;; [unrolled: 5-line block ×3, first 2 shown]
	v_cndmask_b32_e64 v11, 0, v11, s4
	v_cmp_lt_i32_e64 s4, v71, v38
	v_cndmask_b32_e64 v4, 0, v4, s4
	v_or_b32_e32 v36, v11, v4
.LBB286_1207:                           ;   in Loop: Header=BB286_810 Depth=1
	s_or_b32 exec_lo, exec_lo, s16
	;;#ASMSTART
	v_pk_mul_f16 v0, v85, v49;

	;;#ASMEND
	;;#ASMSTART
	v_pk_mul_f16 v4, v82, v13;

	;;#ASMEND
	;; [unrolled: 4-line block ×4, first 2 shown]
	;;#ASMSTART
	v_pk_add_f16 v0, v0, v4;

	;;#ASMEND
	;;#ASMSTART
	v_pk_add_f16 v0, v0, v5;

	;;#ASMEND
	;; [unrolled: 4-line block ×3, first 2 shown]
	v_and_b32_e32 v4, 0xffff, v0
	v_lshrrev_b32_e32 v0, 16, v0
	;;#ASMSTART
	v_cvt_f32_f16 v113, v4;
	;;#ASMEND
	;;#ASMSTART
	v_cvt_f32_f16 v114, v0;
	;;#ASMEND
	flat_load_dwordx2 v[11:12], v[9:10] offset:1536
	flat_load_dword v4, v[26:27]
	v_mov_b32_e32 v5, 0
	v_mov_b32_e32 v13, 0
	s_waitcnt vmcnt(1) lgkmcnt(1)
	v_cmp_ne_u16_sdwa s4, v11, v1 src0_sel:BYTE_0 src1_sel:DWORD
	s_and_saveexec_b32 s16, s4
	s_cbranch_execz .LBB286_1215
; %bb.1208:                             ;   in Loop: Header=BB286_810 Depth=1
	v_cmp_ne_u16_sdwa s4, v11, v17 src0_sel:BYTE_0 src1_sel:DWORD
	v_mov_b32_e32 v13, 0x8000
	s_and_saveexec_b32 s17, s4
	s_cbranch_execz .LBB286_1214
; %bb.1209:                             ;   in Loop: Header=BB286_810 Depth=1
	v_and_b32_e32 v22, 0x7f, v11
	v_mov_b32_e32 v13, 0x7c01
	s_mov_b32 s18, exec_lo
	v_cmpx_ne_u32_e32 0x7f, v22
	s_cbranch_execz .LBB286_1213
; %bb.1210:                             ;   in Loop: Header=BB286_810 Depth=1
	v_and_b32_e32 v0, 7, v11
	v_lshrrev_b32_e32 v6, 3, v22
	s_mov_b32 s20, exec_lo
	v_cmpx_gt_u32_e32 8, v22
; %bb.1211:                             ;   in Loop: Header=BB286_810 Depth=1
	v_ffbh_u32_e32 v0, v0
	v_min_u32_e32 v0, 32, v0
	v_subrev_nc_u32_e32 v6, 28, v0
	v_lshlrev_b64 v[36:37], v6, v[11:12]
	v_sub_nc_u32_e32 v6, 29, v0
	v_and_b32_e32 v0, 7, v36
; %bb.1212:                             ;   in Loop: Header=BB286_810 Depth=1
	s_or_b32 exec_lo, exec_lo, s20
	v_lshlrev_b32_e32 v13, 8, v11
	v_lshl_add_u32 v6, v6, 10, 0x2000
	v_lshlrev_b32_e32 v0, 7, v0
	v_and_b32_e32 v13, 0x8000, v13
	v_and_b32_e32 v6, 0xfc00, v6
	v_or3_b32 v13, v13, v6, v0
.LBB286_1213:                           ;   in Loop: Header=BB286_810 Depth=1
	s_or_b32 exec_lo, exec_lo, s18
.LBB286_1214:                           ;   in Loop: Header=BB286_810 Depth=1
	s_or_b32 exec_lo, exec_lo, s17
.LBB286_1215:                           ;   in Loop: Header=BB286_810 Depth=1
	s_or_b32 exec_lo, exec_lo, s16
	v_lshrrev_b16 v0, 8, v11
	s_mov_b32 s16, exec_lo
	v_cmpx_ne_u16_e32 0, v0
	s_cbranch_execz .LBB286_1223
; %bb.1216:                             ;   in Loop: Header=BB286_810 Depth=1
	v_bfrev_b32_e32 v5, 1
	s_mov_b32 s17, exec_lo
	v_cmpx_ne_u16_e32 0x80, v0
	s_cbranch_execz .LBB286_1222
; %bb.1217:                             ;   in Loop: Header=BB286_810 Depth=1
	v_and_b32_sdwa v22, v0, v54 dst_sel:DWORD dst_unused:UNUSED_PAD src0_sel:WORD_0 src1_sel:DWORD
	v_mov_b32_e32 v5, 0x7c010000
	s_mov_b32 s18, exec_lo
	v_cmpx_ne_u32_e32 0x7f, v22
	s_cbranch_execz .LBB286_1221
; %bb.1218:                             ;   in Loop: Header=BB286_810 Depth=1
	v_and_b32_sdwa v5, v0, v64 dst_sel:DWORD dst_unused:UNUSED_PAD src0_sel:WORD_0 src1_sel:DWORD
	v_lshrrev_b32_e32 v6, 3, v22
	s_mov_b32 s20, exec_lo
	v_cmpx_gt_u32_e32 8, v22
; %bb.1219:                             ;   in Loop: Header=BB286_810 Depth=1
	v_ffbh_u32_e32 v5, v5
	v_min_u32_e32 v22, 32, v5
	v_subrev_nc_u32_e32 v5, 28, v22
	v_lshlrev_b64 v[5:6], v5, v[0:1]
	v_sub_nc_u32_e32 v6, 29, v22
	v_and_b32_e32 v5, 7, v5
; %bb.1220:                             ;   in Loop: Header=BB286_810 Depth=1
	s_or_b32 exec_lo, exec_lo, s20
	v_lshlrev_b32_sdwa v0, v68, v0 dst_sel:DWORD dst_unused:UNUSED_PAD src0_sel:DWORD src1_sel:WORD_0
	v_lshl_add_u32 v6, v6, 10, 0x2000
	v_lshlrev_b32_e32 v5, 23, v5
	v_and_or_b32 v0, 0x8000, v0, v6
	v_lshl_or_b32 v5, v0, 16, v5
.LBB286_1221:                           ;   in Loop: Header=BB286_810 Depth=1
	s_or_b32 exec_lo, exec_lo, s18
.LBB286_1222:                           ;   in Loop: Header=BB286_810 Depth=1
	s_or_b32 exec_lo, exec_lo, s17
.LBB286_1223:                           ;   in Loop: Header=BB286_810 Depth=1
	s_or_b32 exec_lo, exec_lo, s16
	v_lshrrev_b32_e32 v0, 16, v11
	v_mov_b32_e32 v22, 0
	v_mov_b32_e32 v36, 0
	v_cmp_ne_u16_sdwa s4, v0, v1 src0_sel:BYTE_0 src1_sel:DWORD
	s_and_saveexec_b32 s16, s4
	s_cbranch_execz .LBB286_1231
; %bb.1224:                             ;   in Loop: Header=BB286_810 Depth=1
	v_cmp_ne_u16_sdwa s4, v0, v17 src0_sel:BYTE_0 src1_sel:DWORD
	v_mov_b32_e32 v36, 0x8000
	s_and_saveexec_b32 s17, s4
	s_cbranch_execz .LBB286_1230
; %bb.1225:                             ;   in Loop: Header=BB286_810 Depth=1
	v_bfe_u32 v37, v11, 16, 7
	v_mov_b32_e32 v36, 0x7c01
	s_mov_b32 s18, exec_lo
	v_cmpx_ne_u32_e32 0x7f, v37
	s_cbranch_execz .LBB286_1229
; %bb.1226:                             ;   in Loop: Header=BB286_810 Depth=1
	v_and_b32_e32 v6, 7, v0
	v_lshrrev_b32_e32 v36, 3, v37
	s_mov_b32 s20, exec_lo
	v_cmpx_gt_u32_e32 8, v37
; %bb.1227:                             ;   in Loop: Header=BB286_810 Depth=1
	v_ffbh_u32_e32 v6, v6
	v_min_u32_e32 v6, 32, v6
	v_subrev_nc_u32_e32 v36, 28, v6
	v_lshlrev_b64 v[115:116], v36, v[0:1]
	v_sub_nc_u32_e32 v36, 29, v6
	v_and_b32_e32 v6, 7, v115
; %bb.1228:                             ;   in Loop: Header=BB286_810 Depth=1
	s_or_b32 exec_lo, exec_lo, s20
	v_lshlrev_b32_e32 v0, 8, v0
	v_lshl_add_u32 v36, v36, 10, 0x2000
	v_lshlrev_b32_e32 v6, 7, v6
	v_and_b32_e32 v0, 0x8000, v0
	v_and_b32_e32 v36, 0xfc00, v36
	v_or3_b32 v36, v0, v36, v6
.LBB286_1229:                           ;   in Loop: Header=BB286_810 Depth=1
	s_or_b32 exec_lo, exec_lo, s18
.LBB286_1230:                           ;   in Loop: Header=BB286_810 Depth=1
	s_or_b32 exec_lo, exec_lo, s17
.LBB286_1231:                           ;   in Loop: Header=BB286_810 Depth=1
	s_or_b32 exec_lo, exec_lo, s16
	s_mov_b32 s16, exec_lo
	v_cmpx_lt_u32_e32 0xffffff, v11
	s_cbranch_execz .LBB286_1239
; %bb.1232:                             ;   in Loop: Header=BB286_810 Depth=1
	v_lshrrev_b32_e32 v0, 24, v11
	v_bfrev_b32_e32 v22, 1
	s_mov_b32 s17, exec_lo
	v_cmpx_ne_u32_e32 0x80, v0
	s_cbranch_execz .LBB286_1238
; %bb.1233:                             ;   in Loop: Header=BB286_810 Depth=1
	v_and_b32_e32 v37, 0x7f, v0
	v_mov_b32_e32 v22, 0x7c010000
	s_mov_b32 s18, exec_lo
	v_cmpx_ne_u32_e32 0x7f, v37
	s_cbranch_execz .LBB286_1237
; %bb.1234:                             ;   in Loop: Header=BB286_810 Depth=1
	v_and_b32_e32 v6, 7, v0
	v_lshrrev_b32_e32 v22, 3, v37
	s_mov_b32 s20, exec_lo
	v_cmpx_gt_u32_e32 8, v37
; %bb.1235:                             ;   in Loop: Header=BB286_810 Depth=1
	v_ffbh_u32_e32 v6, v6
	v_min_u32_e32 v6, 32, v6
	v_subrev_nc_u32_e32 v22, 28, v6
	v_lshlrev_b64 v[115:116], v22, v[0:1]
	v_sub_nc_u32_e32 v22, 29, v6
	v_and_b32_e32 v6, 7, v115
; %bb.1236:                             ;   in Loop: Header=BB286_810 Depth=1
	s_or_b32 exec_lo, exec_lo, s20
	v_lshlrev_b32_e32 v0, 8, v0
	v_lshl_add_u32 v22, v22, 10, 0x2000
	v_lshlrev_b32_e32 v6, 23, v6
	v_and_or_b32 v0, 0x8000, v0, v22
	v_lshl_or_b32 v22, v0, 16, v6
.LBB286_1237:                           ;   in Loop: Header=BB286_810 Depth=1
	s_or_b32 exec_lo, exec_lo, s18
.LBB286_1238:                           ;   in Loop: Header=BB286_810 Depth=1
	s_or_b32 exec_lo, exec_lo, s17
.LBB286_1239:                           ;   in Loop: Header=BB286_810 Depth=1
	s_or_b32 exec_lo, exec_lo, s16
	v_mov_b32_e32 v0, v12
	v_cmp_ne_u16_sdwa s4, v12, v1 src0_sel:BYTE_0 src1_sel:DWORD
	v_mov_b32_e32 v37, 0
	v_mov_b32_e32 v49, 0
	s_and_saveexec_b32 s16, s4
	s_cbranch_execz .LBB286_1247
; %bb.1240:                             ;   in Loop: Header=BB286_810 Depth=1
	v_cmp_ne_u16_sdwa s4, v12, v17 src0_sel:BYTE_0 src1_sel:DWORD
	v_mov_b32_e32 v49, 0x8000
	s_and_saveexec_b32 s17, s4
	s_cbranch_execz .LBB286_1246
; %bb.1241:                             ;   in Loop: Header=BB286_810 Depth=1
	v_and_b32_e32 v115, 0x7f, v12
	v_mov_b32_e32 v49, 0x7c01
	s_mov_b32 s18, exec_lo
	v_cmpx_ne_u32_e32 0x7f, v115
	s_cbranch_execz .LBB286_1245
; %bb.1242:                             ;   in Loop: Header=BB286_810 Depth=1
	v_and_b32_e32 v6, 7, v12
	v_lshrrev_b32_e32 v49, 3, v115
	s_mov_b32 s20, exec_lo
	v_cmpx_gt_u32_e32 8, v115
; %bb.1243:                             ;   in Loop: Header=BB286_810 Depth=1
	v_ffbh_u32_e32 v6, v6
	v_min_u32_e32 v6, 32, v6
	v_subrev_nc_u32_e32 v49, 28, v6
	v_lshlrev_b64 v[115:116], v49, v[0:1]
	v_sub_nc_u32_e32 v49, 29, v6
	v_and_b32_e32 v6, 7, v115
; %bb.1244:                             ;   in Loop: Header=BB286_810 Depth=1
	s_or_b32 exec_lo, exec_lo, s20
	v_lshlrev_b32_e32 v115, 8, v12
	v_lshl_add_u32 v49, v49, 10, 0x2000
	v_lshlrev_b32_e32 v6, 7, v6
	v_and_b32_e32 v115, 0x8000, v115
	v_and_b32_e32 v49, 0xfc00, v49
	v_or3_b32 v49, v115, v49, v6
.LBB286_1245:                           ;   in Loop: Header=BB286_810 Depth=1
	s_or_b32 exec_lo, exec_lo, s18
.LBB286_1246:                           ;   in Loop: Header=BB286_810 Depth=1
	s_or_b32 exec_lo, exec_lo, s17
.LBB286_1247:                           ;   in Loop: Header=BB286_810 Depth=1
	s_or_b32 exec_lo, exec_lo, s16
	v_lshrrev_b16 v0, 8, v0
	v_mov_b32_e32 v6, 0
	s_mov_b32 s16, exec_lo
	v_cmpx_ne_u16_e32 0, v0
	s_cbranch_execz .LBB286_1255
; %bb.1248:                             ;   in Loop: Header=BB286_810 Depth=1
	v_bfrev_b32_e32 v6, 1
	s_mov_b32 s17, exec_lo
	v_cmpx_ne_u16_e32 0x80, v0
	s_cbranch_execz .LBB286_1254
; %bb.1249:                             ;   in Loop: Header=BB286_810 Depth=1
	v_and_b32_sdwa v116, v0, v54 dst_sel:DWORD dst_unused:UNUSED_PAD src0_sel:WORD_0 src1_sel:DWORD
	v_mov_b32_e32 v6, 0x7c010000
	s_mov_b32 s18, exec_lo
	v_cmpx_ne_u32_e32 0x7f, v116
	s_cbranch_execz .LBB286_1253
; %bb.1250:                             ;   in Loop: Header=BB286_810 Depth=1
	v_and_b32_sdwa v6, v0, v64 dst_sel:DWORD dst_unused:UNUSED_PAD src0_sel:WORD_0 src1_sel:DWORD
	v_lshrrev_b32_e32 v115, 3, v116
	s_mov_b32 s20, exec_lo
	v_cmpx_gt_u32_e32 8, v116
; %bb.1251:                             ;   in Loop: Header=BB286_810 Depth=1
	v_ffbh_u32_e32 v6, v6
	v_min_u32_e32 v6, 32, v6
	v_subrev_nc_u32_e32 v115, 28, v6
	v_lshlrev_b64 v[116:117], v115, v[0:1]
	v_sub_nc_u32_e32 v115, 29, v6
	v_and_b32_e32 v6, 7, v116
; %bb.1252:                             ;   in Loop: Header=BB286_810 Depth=1
	s_or_b32 exec_lo, exec_lo, s20
	v_lshlrev_b32_sdwa v0, v68, v0 dst_sel:DWORD dst_unused:UNUSED_PAD src0_sel:DWORD src1_sel:WORD_0
	v_lshl_add_u32 v115, v115, 10, 0x2000
	v_lshlrev_b32_e32 v6, 23, v6
	v_and_or_b32 v0, 0x8000, v0, v115
	v_lshl_or_b32 v6, v0, 16, v6
.LBB286_1253:                           ;   in Loop: Header=BB286_810 Depth=1
	s_or_b32 exec_lo, exec_lo, s18
.LBB286_1254:                           ;   in Loop: Header=BB286_810 Depth=1
	s_or_b32 exec_lo, exec_lo, s17
.LBB286_1255:                           ;   in Loop: Header=BB286_810 Depth=1
	s_or_b32 exec_lo, exec_lo, s16
	v_lshrrev_b32_e32 v0, 16, v12
	v_cmp_ne_u16_sdwa s4, v0, v1 src0_sel:BYTE_0 src1_sel:DWORD
	s_and_saveexec_b32 s16, s4
	s_cbranch_execz .LBB286_1263
; %bb.1256:                             ;   in Loop: Header=BB286_810 Depth=1
	v_cmp_ne_u16_sdwa s4, v0, v17 src0_sel:BYTE_0 src1_sel:DWORD
	v_mov_b32_e32 v37, 0x8000
	s_and_saveexec_b32 s17, s4
	s_cbranch_execz .LBB286_1262
; %bb.1257:                             ;   in Loop: Header=BB286_810 Depth=1
	v_bfe_u32 v116, v12, 16, 7
	v_mov_b32_e32 v37, 0x7c01
	s_mov_b32 s18, exec_lo
	v_cmpx_ne_u32_e32 0x7f, v116
	s_cbranch_execz .LBB286_1261
; %bb.1258:                             ;   in Loop: Header=BB286_810 Depth=1
	v_and_b32_e32 v37, 7, v0
	v_lshrrev_b32_e32 v115, 3, v116
	s_mov_b32 s20, exec_lo
	v_cmpx_gt_u32_e32 8, v116
; %bb.1259:                             ;   in Loop: Header=BB286_810 Depth=1
	v_ffbh_u32_e32 v37, v37
	v_min_u32_e32 v37, 32, v37
	v_subrev_nc_u32_e32 v115, 28, v37
	v_lshlrev_b64 v[116:117], v115, v[0:1]
	v_sub_nc_u32_e32 v115, 29, v37
	v_and_b32_e32 v37, 7, v116
; %bb.1260:                             ;   in Loop: Header=BB286_810 Depth=1
	s_or_b32 exec_lo, exec_lo, s20
	v_lshlrev_b32_e32 v0, 8, v0
	v_lshl_add_u32 v115, v115, 10, 0x2000
	v_lshlrev_b32_e32 v37, 7, v37
	v_and_b32_e32 v0, 0x8000, v0
	v_and_b32_e32 v115, 0xfc00, v115
	v_or3_b32 v37, v0, v115, v37
.LBB286_1261:                           ;   in Loop: Header=BB286_810 Depth=1
	s_or_b32 exec_lo, exec_lo, s18
.LBB286_1262:                           ;   in Loop: Header=BB286_810 Depth=1
	s_or_b32 exec_lo, exec_lo, s17
.LBB286_1263:                           ;   in Loop: Header=BB286_810 Depth=1
	s_or_b32 exec_lo, exec_lo, s16
	v_cmp_lt_u64_e64 s4, s[12:13], v[11:12]
	v_mov_b32_e32 v11, 0
	s_and_saveexec_b32 s16, s4
	s_cbranch_execz .LBB286_1271
; %bb.1264:                             ;   in Loop: Header=BB286_810 Depth=1
	v_lshrrev_b32_e32 v0, 24, v12
	v_bfrev_b32_e32 v11, 1
	s_mov_b32 s17, exec_lo
	v_cmpx_ne_u32_e32 0x80, v0
	s_cbranch_execz .LBB286_1270
; %bb.1265:                             ;   in Loop: Header=BB286_810 Depth=1
	v_and_b32_e32 v115, 0x7f, v0
	v_mov_b32_e32 v11, 0x7c010000
	s_mov_b32 s18, exec_lo
	v_cmpx_ne_u32_e32 0x7f, v115
	s_cbranch_execz .LBB286_1269
; %bb.1266:                             ;   in Loop: Header=BB286_810 Depth=1
	v_and_b32_e32 v11, 7, v0
	v_lshrrev_b32_e32 v12, 3, v115
	s_mov_b32 s20, exec_lo
	v_cmpx_gt_u32_e32 8, v115
; %bb.1267:                             ;   in Loop: Header=BB286_810 Depth=1
	v_ffbh_u32_e32 v11, v11
	v_min_u32_e32 v115, 32, v11
	v_subrev_nc_u32_e32 v11, 28, v115
	v_lshlrev_b64 v[11:12], v11, v[0:1]
	v_sub_nc_u32_e32 v12, 29, v115
	v_and_b32_e32 v11, 7, v11
; %bb.1268:                             ;   in Loop: Header=BB286_810 Depth=1
	s_or_b32 exec_lo, exec_lo, s20
	v_lshlrev_b32_e32 v0, 8, v0
	v_lshl_add_u32 v12, v12, 10, 0x2000
	v_lshlrev_b32_e32 v11, 23, v11
	v_and_or_b32 v0, 0x8000, v0, v12
	v_lshl_or_b32 v11, v0, 16, v11
.LBB286_1269:                           ;   in Loop: Header=BB286_810 Depth=1
	s_or_b32 exec_lo, exec_lo, s18
.LBB286_1270:                           ;   in Loop: Header=BB286_810 Depth=1
	s_or_b32 exec_lo, exec_lo, s17
.LBB286_1271:                           ;   in Loop: Header=BB286_810 Depth=1
	s_or_b32 exec_lo, exec_lo, s16
	v_or_b32_e32 v0, v22, v36
	s_waitcnt vmcnt(0) lgkmcnt(0)
	v_fma_mixlo_f16 v12, v4, v22, 0 op_sel:[0,1,0] op_sel_hi:[0,1,0]
	v_or_b32_e32 v13, v5, v13
	v_fma_mixlo_f16 v5, v4, v5, 0 op_sel:[0,1,0] op_sel_hi:[0,1,0]
	v_or_b32_e32 v22, v6, v49
	v_fma_mixlo_f16 v36, v4, v0, 0 op_sel_hi:[0,1,0]
	v_or_b32_e32 v37, v11, v37
	v_lshlrev_b32_e32 v0, 16, v12
	v_lshlrev_b32_e32 v12, 16, v5
	v_fma_mixlo_f16 v13, v4, v13, 0 op_sel_hi:[0,1,0]
	v_and_b32_e32 v5, 0xffff, v36
	v_fma_mixlo_f16 v6, v4, v6, 0 op_sel:[0,1,0] op_sel_hi:[0,1,0]
	v_fma_mixlo_f16 v22, v4, v22, 0 op_sel_hi:[0,1,0]
	v_fma_mixlo_f16 v11, v4, v11, 0 op_sel:[0,1,0] op_sel_hi:[0,1,0]
	v_fma_mixlo_f16 v36, v4, v37, 0 op_sel_hi:[0,1,0]
	v_and_b32_e32 v115, 0xffff, v13
	v_lshlrev_b32_e32 v6, 16, v6
	v_and_b32_e32 v22, 0xffff, v22
	v_lshlrev_b32_e32 v4, 16, v11
	v_and_b32_e32 v11, 0xffff, v36
	v_or_b32_e32 v13, v0, v5
	v_or_b32_e32 v49, v12, v115
	;; [unrolled: 1-line block ×4, first 2 shown]
	s_and_saveexec_b32 s16, vcc_lo
	s_cbranch_execz .LBB286_1273
; %bb.1272:                             ;   in Loop: Header=BB286_810 Depth=1
	v_cmp_lt_i32_e64 s4, v18, v38
	v_cndmask_b32_e64 v13, 0, v115, s4
	v_cmp_lt_i32_e64 s4, v96, v38
	v_cndmask_b32_e64 v12, 0, v12, s4
	v_cmp_lt_i32_e64 s4, v87, v38
	v_or_b32_e32 v49, v13, v12
	v_cndmask_b32_e64 v5, 0, v5, s4
	v_cmp_lt_i32_e64 s4, v86, v38
	v_cndmask_b32_e64 v0, 0, v0, s4
	v_cmp_lt_i32_e64 s4, v84, v38
	v_or_b32_e32 v13, v5, v0
	;; [unrolled: 5-line block ×3, first 2 shown]
	v_cndmask_b32_e64 v11, 0, v11, s4
	v_cmp_lt_i32_e64 s4, v71, v38
	v_cndmask_b32_e64 v4, 0, v4, s4
	v_or_b32_e32 v36, v11, v4
.LBB286_1273:                           ;   in Loop: Header=BB286_810 Depth=1
	s_or_b32 exec_lo, exec_lo, s16
	;;#ASMSTART
	v_pk_mul_f16 v0, v85, v49;

	;;#ASMEND
	;;#ASMSTART
	v_pk_mul_f16 v4, v82, v13;

	;;#ASMEND
	;; [unrolled: 4-line block ×4, first 2 shown]
	;;#ASMSTART
	v_pk_add_f16 v0, v0, v4;

	;;#ASMEND
	;;#ASMSTART
	v_pk_add_f16 v0, v0, v5;

	;;#ASMEND
	;; [unrolled: 4-line block ×3, first 2 shown]
	v_and_b32_e32 v4, 0xffff, v0
	v_lshrrev_b32_e32 v0, 16, v0
	;;#ASMSTART
	v_cvt_f32_f16 v4, v4;
	;;#ASMEND
	;;#ASMSTART
	v_cvt_f32_f16 v5, v0;
	;;#ASMEND
	flat_load_dwordx2 v[11:12], v[9:10] offset:1792
	flat_load_dword v13, v[26:27]
	v_mov_b32_e32 v22, 0
	v_mov_b32_e32 v36, 0
	s_waitcnt vmcnt(1) lgkmcnt(1)
	v_cmp_ne_u16_sdwa s4, v11, v1 src0_sel:BYTE_0 src1_sel:DWORD
	s_and_saveexec_b32 s16, s4
	s_cbranch_execz .LBB286_1281
; %bb.1274:                             ;   in Loop: Header=BB286_810 Depth=1
	v_cmp_ne_u16_sdwa s4, v11, v17 src0_sel:BYTE_0 src1_sel:DWORD
	v_mov_b32_e32 v36, 0x8000
	s_and_saveexec_b32 s17, s4
	s_cbranch_execz .LBB286_1280
; %bb.1275:                             ;   in Loop: Header=BB286_810 Depth=1
	v_and_b32_e32 v37, 0x7f, v11
	v_mov_b32_e32 v36, 0x7c01
	s_mov_b32 s18, exec_lo
	v_cmpx_ne_u32_e32 0x7f, v37
	s_cbranch_execz .LBB286_1279
; %bb.1276:                             ;   in Loop: Header=BB286_810 Depth=1
	v_and_b32_e32 v0, 7, v11
	v_lshrrev_b32_e32 v6, 3, v37
	s_mov_b32 s20, exec_lo
	v_cmpx_gt_u32_e32 8, v37
; %bb.1277:                             ;   in Loop: Header=BB286_810 Depth=1
	v_ffbh_u32_e32 v0, v0
	v_min_u32_e32 v0, 32, v0
	v_subrev_nc_u32_e32 v6, 28, v0
	v_lshlrev_b64 v[36:37], v6, v[11:12]
	v_sub_nc_u32_e32 v6, 29, v0
	v_and_b32_e32 v0, 7, v36
; %bb.1278:                             ;   in Loop: Header=BB286_810 Depth=1
	s_or_b32 exec_lo, exec_lo, s20
	v_lshlrev_b32_e32 v36, 8, v11
	v_lshl_add_u32 v6, v6, 10, 0x2000
	v_lshlrev_b32_e32 v0, 7, v0
	v_and_b32_e32 v36, 0x8000, v36
	v_and_b32_e32 v6, 0xfc00, v6
	v_or3_b32 v36, v36, v6, v0
.LBB286_1279:                           ;   in Loop: Header=BB286_810 Depth=1
	s_or_b32 exec_lo, exec_lo, s18
.LBB286_1280:                           ;   in Loop: Header=BB286_810 Depth=1
	s_or_b32 exec_lo, exec_lo, s17
.LBB286_1281:                           ;   in Loop: Header=BB286_810 Depth=1
	s_or_b32 exec_lo, exec_lo, s16
	v_lshrrev_b16 v0, 8, v11
	s_mov_b32 s16, exec_lo
	v_cmpx_ne_u16_e32 0, v0
	s_cbranch_execz .LBB286_1289
; %bb.1282:                             ;   in Loop: Header=BB286_810 Depth=1
	v_bfrev_b32_e32 v22, 1
	s_mov_b32 s17, exec_lo
	v_cmpx_ne_u16_e32 0x80, v0
	s_cbranch_execz .LBB286_1288
; %bb.1283:                             ;   in Loop: Header=BB286_810 Depth=1
	v_and_b32_sdwa v37, v0, v54 dst_sel:DWORD dst_unused:UNUSED_PAD src0_sel:WORD_0 src1_sel:DWORD
	v_mov_b32_e32 v22, 0x7c010000
	s_mov_b32 s18, exec_lo
	v_cmpx_ne_u32_e32 0x7f, v37
	s_cbranch_execz .LBB286_1287
; %bb.1284:                             ;   in Loop: Header=BB286_810 Depth=1
	v_and_b32_sdwa v6, v0, v64 dst_sel:DWORD dst_unused:UNUSED_PAD src0_sel:WORD_0 src1_sel:DWORD
	v_lshrrev_b32_e32 v22, 3, v37
	s_mov_b32 s20, exec_lo
	v_cmpx_gt_u32_e32 8, v37
; %bb.1285:                             ;   in Loop: Header=BB286_810 Depth=1
	v_ffbh_u32_e32 v6, v6
	v_min_u32_e32 v6, 32, v6
	v_subrev_nc_u32_e32 v22, 28, v6
	v_lshlrev_b64 v[115:116], v22, v[0:1]
	v_sub_nc_u32_e32 v22, 29, v6
	v_and_b32_e32 v6, 7, v115
; %bb.1286:                             ;   in Loop: Header=BB286_810 Depth=1
	s_or_b32 exec_lo, exec_lo, s20
	v_lshlrev_b32_sdwa v0, v68, v0 dst_sel:DWORD dst_unused:UNUSED_PAD src0_sel:DWORD src1_sel:WORD_0
	v_lshl_add_u32 v22, v22, 10, 0x2000
	v_lshlrev_b32_e32 v6, 23, v6
	v_and_or_b32 v0, 0x8000, v0, v22
	v_lshl_or_b32 v22, v0, 16, v6
.LBB286_1287:                           ;   in Loop: Header=BB286_810 Depth=1
	s_or_b32 exec_lo, exec_lo, s18
.LBB286_1288:                           ;   in Loop: Header=BB286_810 Depth=1
	s_or_b32 exec_lo, exec_lo, s17
.LBB286_1289:                           ;   in Loop: Header=BB286_810 Depth=1
	s_or_b32 exec_lo, exec_lo, s16
	v_lshrrev_b32_e32 v0, 16, v11
	v_mov_b32_e32 v37, 0
	v_mov_b32_e32 v49, 0
	v_cmp_ne_u16_sdwa s4, v0, v1 src0_sel:BYTE_0 src1_sel:DWORD
	s_and_saveexec_b32 s16, s4
	s_cbranch_execz .LBB286_1297
; %bb.1290:                             ;   in Loop: Header=BB286_810 Depth=1
	v_cmp_ne_u16_sdwa s4, v0, v17 src0_sel:BYTE_0 src1_sel:DWORD
	v_mov_b32_e32 v49, 0x8000
	s_and_saveexec_b32 s17, s4
	s_cbranch_execz .LBB286_1296
; %bb.1291:                             ;   in Loop: Header=BB286_810 Depth=1
	v_bfe_u32 v115, v11, 16, 7
	v_mov_b32_e32 v49, 0x7c01
	s_mov_b32 s18, exec_lo
	v_cmpx_ne_u32_e32 0x7f, v115
	s_cbranch_execz .LBB286_1295
; %bb.1292:                             ;   in Loop: Header=BB286_810 Depth=1
	v_and_b32_e32 v6, 7, v0
	v_lshrrev_b32_e32 v49, 3, v115
	s_mov_b32 s20, exec_lo
	v_cmpx_gt_u32_e32 8, v115
; %bb.1293:                             ;   in Loop: Header=BB286_810 Depth=1
	v_ffbh_u32_e32 v6, v6
	v_min_u32_e32 v6, 32, v6
	v_subrev_nc_u32_e32 v49, 28, v6
	v_lshlrev_b64 v[115:116], v49, v[0:1]
	v_sub_nc_u32_e32 v49, 29, v6
	v_and_b32_e32 v6, 7, v115
; %bb.1294:                             ;   in Loop: Header=BB286_810 Depth=1
	s_or_b32 exec_lo, exec_lo, s20
	v_lshlrev_b32_e32 v0, 8, v0
	v_lshl_add_u32 v49, v49, 10, 0x2000
	v_lshlrev_b32_e32 v6, 7, v6
	v_and_b32_e32 v0, 0x8000, v0
	v_and_b32_e32 v49, 0xfc00, v49
	v_or3_b32 v49, v0, v49, v6
.LBB286_1295:                           ;   in Loop: Header=BB286_810 Depth=1
	s_or_b32 exec_lo, exec_lo, s18
.LBB286_1296:                           ;   in Loop: Header=BB286_810 Depth=1
	s_or_b32 exec_lo, exec_lo, s17
.LBB286_1297:                           ;   in Loop: Header=BB286_810 Depth=1
	s_or_b32 exec_lo, exec_lo, s16
	s_mov_b32 s16, exec_lo
	v_cmpx_lt_u32_e32 0xffffff, v11
	s_cbranch_execz .LBB286_1305
; %bb.1298:                             ;   in Loop: Header=BB286_810 Depth=1
	v_lshrrev_b32_e32 v0, 24, v11
	v_bfrev_b32_e32 v37, 1
	s_mov_b32 s17, exec_lo
	v_cmpx_ne_u32_e32 0x80, v0
	s_cbranch_execz .LBB286_1304
; %bb.1299:                             ;   in Loop: Header=BB286_810 Depth=1
	v_and_b32_e32 v115, 0x7f, v0
	v_mov_b32_e32 v37, 0x7c010000
	s_mov_b32 s18, exec_lo
	v_cmpx_ne_u32_e32 0x7f, v115
	s_cbranch_execz .LBB286_1303
; %bb.1300:                             ;   in Loop: Header=BB286_810 Depth=1
	v_and_b32_e32 v6, 7, v0
	v_lshrrev_b32_e32 v37, 3, v115
	s_mov_b32 s20, exec_lo
	v_cmpx_gt_u32_e32 8, v115
; %bb.1301:                             ;   in Loop: Header=BB286_810 Depth=1
	v_ffbh_u32_e32 v6, v6
	v_min_u32_e32 v6, 32, v6
	v_subrev_nc_u32_e32 v37, 28, v6
	v_lshlrev_b64 v[115:116], v37, v[0:1]
	v_sub_nc_u32_e32 v37, 29, v6
	v_and_b32_e32 v6, 7, v115
; %bb.1302:                             ;   in Loop: Header=BB286_810 Depth=1
	s_or_b32 exec_lo, exec_lo, s20
	v_lshlrev_b32_e32 v0, 8, v0
	v_lshl_add_u32 v37, v37, 10, 0x2000
	v_lshlrev_b32_e32 v6, 23, v6
	v_and_or_b32 v0, 0x8000, v0, v37
	v_lshl_or_b32 v37, v0, 16, v6
.LBB286_1303:                           ;   in Loop: Header=BB286_810 Depth=1
	s_or_b32 exec_lo, exec_lo, s18
.LBB286_1304:                           ;   in Loop: Header=BB286_810 Depth=1
	s_or_b32 exec_lo, exec_lo, s17
.LBB286_1305:                           ;   in Loop: Header=BB286_810 Depth=1
	s_or_b32 exec_lo, exec_lo, s16
	v_mov_b32_e32 v0, v12
	v_cmp_ne_u16_sdwa s4, v12, v1 src0_sel:BYTE_0 src1_sel:DWORD
	v_mov_b32_e32 v115, 0
	v_mov_b32_e32 v116, 0
	s_and_saveexec_b32 s16, s4
	s_cbranch_execz .LBB286_1313
; %bb.1306:                             ;   in Loop: Header=BB286_810 Depth=1
	v_cmp_ne_u16_sdwa s4, v12, v17 src0_sel:BYTE_0 src1_sel:DWORD
	v_mov_b32_e32 v116, 0x8000
	s_and_saveexec_b32 s17, s4
	s_cbranch_execz .LBB286_1312
; %bb.1307:                             ;   in Loop: Header=BB286_810 Depth=1
	v_and_b32_e32 v117, 0x7f, v12
	v_mov_b32_e32 v116, 0x7c01
	s_mov_b32 s18, exec_lo
	v_cmpx_ne_u32_e32 0x7f, v117
	s_cbranch_execz .LBB286_1311
; %bb.1308:                             ;   in Loop: Header=BB286_810 Depth=1
	v_and_b32_e32 v6, 7, v12
	v_lshrrev_b32_e32 v116, 3, v117
	s_mov_b32 s20, exec_lo
	v_cmpx_gt_u32_e32 8, v117
; %bb.1309:                             ;   in Loop: Header=BB286_810 Depth=1
	v_ffbh_u32_e32 v6, v6
	v_min_u32_e32 v6, 32, v6
	v_subrev_nc_u32_e32 v116, 28, v6
	v_lshlrev_b64 v[117:118], v116, v[0:1]
	v_sub_nc_u32_e32 v116, 29, v6
	v_and_b32_e32 v6, 7, v117
; %bb.1310:                             ;   in Loop: Header=BB286_810 Depth=1
	s_or_b32 exec_lo, exec_lo, s20
	v_lshlrev_b32_e32 v117, 8, v12
	v_lshl_add_u32 v116, v116, 10, 0x2000
	v_lshlrev_b32_e32 v6, 7, v6
	v_and_b32_e32 v117, 0x8000, v117
	v_and_b32_e32 v116, 0xfc00, v116
	v_or3_b32 v116, v117, v116, v6
.LBB286_1311:                           ;   in Loop: Header=BB286_810 Depth=1
	s_or_b32 exec_lo, exec_lo, s18
.LBB286_1312:                           ;   in Loop: Header=BB286_810 Depth=1
	s_or_b32 exec_lo, exec_lo, s17
.LBB286_1313:                           ;   in Loop: Header=BB286_810 Depth=1
	s_or_b32 exec_lo, exec_lo, s16
	v_lshrrev_b16 v0, 8, v0
	v_mov_b32_e32 v6, 0
	s_mov_b32 s16, exec_lo
	v_cmpx_ne_u16_e32 0, v0
	s_cbranch_execz .LBB286_1321
; %bb.1314:                             ;   in Loop: Header=BB286_810 Depth=1
	v_bfrev_b32_e32 v6, 1
	s_mov_b32 s17, exec_lo
	v_cmpx_ne_u16_e32 0x80, v0
	s_cbranch_execz .LBB286_1320
; %bb.1315:                             ;   in Loop: Header=BB286_810 Depth=1
	v_and_b32_sdwa v118, v0, v54 dst_sel:DWORD dst_unused:UNUSED_PAD src0_sel:WORD_0 src1_sel:DWORD
	v_mov_b32_e32 v6, 0x7c010000
	s_mov_b32 s18, exec_lo
	v_cmpx_ne_u32_e32 0x7f, v118
	s_cbranch_execz .LBB286_1319
; %bb.1316:                             ;   in Loop: Header=BB286_810 Depth=1
	v_and_b32_sdwa v6, v0, v64 dst_sel:DWORD dst_unused:UNUSED_PAD src0_sel:WORD_0 src1_sel:DWORD
	v_lshrrev_b32_e32 v117, 3, v118
	s_mov_b32 s20, exec_lo
	v_cmpx_gt_u32_e32 8, v118
; %bb.1317:                             ;   in Loop: Header=BB286_810 Depth=1
	v_ffbh_u32_e32 v6, v6
	v_min_u32_e32 v6, 32, v6
	v_subrev_nc_u32_e32 v117, 28, v6
	v_lshlrev_b64 v[118:119], v117, v[0:1]
	v_sub_nc_u32_e32 v117, 29, v6
	v_and_b32_e32 v6, 7, v118
; %bb.1318:                             ;   in Loop: Header=BB286_810 Depth=1
	s_or_b32 exec_lo, exec_lo, s20
	v_lshlrev_b32_sdwa v0, v68, v0 dst_sel:DWORD dst_unused:UNUSED_PAD src0_sel:DWORD src1_sel:WORD_0
	v_lshl_add_u32 v117, v117, 10, 0x2000
	v_lshlrev_b32_e32 v6, 23, v6
	v_and_or_b32 v0, 0x8000, v0, v117
	v_lshl_or_b32 v6, v0, 16, v6
.LBB286_1319:                           ;   in Loop: Header=BB286_810 Depth=1
	s_or_b32 exec_lo, exec_lo, s18
.LBB286_1320:                           ;   in Loop: Header=BB286_810 Depth=1
	s_or_b32 exec_lo, exec_lo, s17
.LBB286_1321:                           ;   in Loop: Header=BB286_810 Depth=1
	s_or_b32 exec_lo, exec_lo, s16
	v_lshrrev_b32_e32 v0, 16, v12
	v_cmp_ne_u16_sdwa s4, v0, v1 src0_sel:BYTE_0 src1_sel:DWORD
	s_and_saveexec_b32 s16, s4
	s_cbranch_execz .LBB286_1329
; %bb.1322:                             ;   in Loop: Header=BB286_810 Depth=1
	v_cmp_ne_u16_sdwa s4, v0, v17 src0_sel:BYTE_0 src1_sel:DWORD
	v_mov_b32_e32 v115, 0x8000
	s_and_saveexec_b32 s17, s4
	s_cbranch_execz .LBB286_1328
; %bb.1323:                             ;   in Loop: Header=BB286_810 Depth=1
	v_bfe_u32 v118, v12, 16, 7
	v_mov_b32_e32 v115, 0x7c01
	s_mov_b32 s18, exec_lo
	v_cmpx_ne_u32_e32 0x7f, v118
	s_cbranch_execz .LBB286_1327
; %bb.1324:                             ;   in Loop: Header=BB286_810 Depth=1
	v_and_b32_e32 v115, 7, v0
	v_lshrrev_b32_e32 v117, 3, v118
	s_mov_b32 s20, exec_lo
	v_cmpx_gt_u32_e32 8, v118
; %bb.1325:                             ;   in Loop: Header=BB286_810 Depth=1
	v_ffbh_u32_e32 v115, v115
	v_min_u32_e32 v115, 32, v115
	v_subrev_nc_u32_e32 v117, 28, v115
	v_lshlrev_b64 v[118:119], v117, v[0:1]
	v_sub_nc_u32_e32 v117, 29, v115
	v_and_b32_e32 v115, 7, v118
; %bb.1326:                             ;   in Loop: Header=BB286_810 Depth=1
	s_or_b32 exec_lo, exec_lo, s20
	v_lshlrev_b32_e32 v0, 8, v0
	v_lshl_add_u32 v117, v117, 10, 0x2000
	v_lshlrev_b32_e32 v115, 7, v115
	v_and_b32_e32 v0, 0x8000, v0
	v_and_b32_e32 v117, 0xfc00, v117
	v_or3_b32 v115, v0, v117, v115
.LBB286_1327:                           ;   in Loop: Header=BB286_810 Depth=1
	s_or_b32 exec_lo, exec_lo, s18
.LBB286_1328:                           ;   in Loop: Header=BB286_810 Depth=1
	s_or_b32 exec_lo, exec_lo, s17
.LBB286_1329:                           ;   in Loop: Header=BB286_810 Depth=1
	s_or_b32 exec_lo, exec_lo, s16
	v_cmp_lt_u64_e64 s4, s[12:13], v[11:12]
	v_mov_b32_e32 v11, 0
	s_and_saveexec_b32 s16, s4
	s_cbranch_execz .LBB286_1337
; %bb.1330:                             ;   in Loop: Header=BB286_810 Depth=1
	v_lshrrev_b32_e32 v0, 24, v12
	v_bfrev_b32_e32 v11, 1
	s_mov_b32 s17, exec_lo
	v_cmpx_ne_u32_e32 0x80, v0
	s_cbranch_execz .LBB286_1336
; %bb.1331:                             ;   in Loop: Header=BB286_810 Depth=1
	v_and_b32_e32 v117, 0x7f, v0
	v_mov_b32_e32 v11, 0x7c010000
	s_mov_b32 s18, exec_lo
	v_cmpx_ne_u32_e32 0x7f, v117
	s_cbranch_execz .LBB286_1335
; %bb.1332:                             ;   in Loop: Header=BB286_810 Depth=1
	v_and_b32_e32 v11, 7, v0
	v_lshrrev_b32_e32 v12, 3, v117
	s_mov_b32 s20, exec_lo
	v_cmpx_gt_u32_e32 8, v117
; %bb.1333:                             ;   in Loop: Header=BB286_810 Depth=1
	v_ffbh_u32_e32 v11, v11
	v_min_u32_e32 v117, 32, v11
	v_subrev_nc_u32_e32 v11, 28, v117
	v_lshlrev_b64 v[11:12], v11, v[0:1]
	v_sub_nc_u32_e32 v12, 29, v117
	v_and_b32_e32 v11, 7, v11
; %bb.1334:                             ;   in Loop: Header=BB286_810 Depth=1
	s_or_b32 exec_lo, exec_lo, s20
	v_lshlrev_b32_e32 v0, 8, v0
	v_lshl_add_u32 v12, v12, 10, 0x2000
	v_lshlrev_b32_e32 v11, 23, v11
	v_and_or_b32 v0, 0x8000, v0, v12
	v_lshl_or_b32 v11, v0, 16, v11
.LBB286_1335:                           ;   in Loop: Header=BB286_810 Depth=1
	s_or_b32 exec_lo, exec_lo, s18
.LBB286_1336:                           ;   in Loop: Header=BB286_810 Depth=1
	s_or_b32 exec_lo, exec_lo, s17
.LBB286_1337:                           ;   in Loop: Header=BB286_810 Depth=1
	s_or_b32 exec_lo, exec_lo, s16
	v_or_b32_e32 v0, v37, v49
	s_waitcnt vmcnt(0) lgkmcnt(0)
	v_fma_mixlo_f16 v12, v13, v37, 0 op_sel:[0,1,0] op_sel_hi:[0,1,0]
	v_or_b32_e32 v36, v22, v36
	v_or_b32_e32 v37, v6, v116
	;; [unrolled: 1-line block ×3, first 2 shown]
	v_fma_mixlo_f16 v49, v13, v0, 0 op_sel_hi:[0,1,0]
	v_fma_mixlo_f16 v22, v13, v22, 0 op_sel:[0,1,0] op_sel_hi:[0,1,0]
	v_lshlrev_b32_e32 v0, 16, v12
	v_fma_mixlo_f16 v36, v13, v36, 0 op_sel_hi:[0,1,0]
	v_fma_mixlo_f16 v6, v13, v6, 0 op_sel:[0,1,0] op_sel_hi:[0,1,0]
	v_and_b32_e32 v12, 0xffff, v49
	v_fma_mixlo_f16 v37, v13, v37, 0 op_sel_hi:[0,1,0]
	v_fma_mixlo_f16 v49, v13, v11, 0 op_sel:[0,1,0] op_sel_hi:[0,1,0]
	v_fma_mixlo_f16 v13, v13, v115, 0 op_sel_hi:[0,1,0]
	v_lshlrev_b32_e32 v22, 16, v22
	v_and_b32_e32 v117, 0xffff, v36
	v_lshlrev_b32_e32 v11, 16, v6
	v_and_b32_e32 v37, 0xffff, v37
	v_lshlrev_b32_e32 v6, 16, v49
	v_and_b32_e32 v13, 0xffff, v13
	v_or_b32_e32 v36, v0, v12
	v_or_b32_e32 v116, v22, v117
	;; [unrolled: 1-line block ×4, first 2 shown]
	s_and_saveexec_b32 s16, vcc_lo
	s_cbranch_execz .LBB286_1339
; %bb.1338:                             ;   in Loop: Header=BB286_810 Depth=1
	v_cmp_lt_i32_e64 s4, v18, v38
	v_cndmask_b32_e64 v36, 0, v117, s4
	v_cmp_lt_i32_e64 s4, v96, v38
	v_cndmask_b32_e64 v22, 0, v22, s4
	v_cmp_lt_i32_e64 s4, v87, v38
	v_or_b32_e32 v116, v36, v22
	v_cndmask_b32_e64 v12, 0, v12, s4
	v_cmp_lt_i32_e64 s4, v86, v38
	v_cndmask_b32_e64 v0, 0, v0, s4
	v_cmp_lt_i32_e64 s4, v84, v38
	v_or_b32_e32 v36, v12, v0
	;; [unrolled: 5-line block ×3, first 2 shown]
	v_cndmask_b32_e64 v13, 0, v13, s4
	v_cmp_lt_i32_e64 s4, v71, v38
	v_cndmask_b32_e64 v6, 0, v6, s4
	v_or_b32_e32 v49, v13, v6
.LBB286_1339:                           ;   in Loop: Header=BB286_810 Depth=1
	s_or_b32 exec_lo, exec_lo, s16
	v_add_co_u32 v9, s4, 0x800, v9
	v_add_co_ci_u32_e64 v10, null, 0, v10, s4
	;;#ASMSTART
	v_pk_mul_f16 v0, v85, v116;

	;;#ASMEND
	;;#ASMSTART
	v_pk_mul_f16 v6, v82, v36;

	;;#ASMEND
	;; [unrolled: 4-line block ×4, first 2 shown]
	;;#ASMSTART
	v_pk_add_f16 v0, v0, v6;

	;;#ASMEND
	;;#ASMSTART
	v_pk_add_f16 v0, v0, v11;

	;;#ASMEND
	;; [unrolled: 4-line block ×3, first 2 shown]
	v_lshrrev_b32_e32 v6, 16, v0
	v_and_b32_e32 v0, 0xffff, v0
	;;#ASMSTART
	v_cvt_f32_f16 v13, v0;
	;;#ASMEND
	;;#ASMSTART
	v_cvt_f32_f16 v22, v6;
	;;#ASMEND
	flat_load_dwordx2 v[11:12], v[9:10]
	flat_load_dword v36, v[26:27]
	v_mov_b32_e32 v37, 0
	v_mov_b32_e32 v49, 0
	s_waitcnt vmcnt(1) lgkmcnt(1)
	v_cmp_ne_u16_sdwa s4, v11, v1 src0_sel:BYTE_0 src1_sel:DWORD
	s_and_saveexec_b32 s16, s4
	s_cbranch_execz .LBB286_1347
; %bb.1340:                             ;   in Loop: Header=BB286_810 Depth=1
	v_cmp_ne_u16_sdwa s4, v11, v17 src0_sel:BYTE_0 src1_sel:DWORD
	v_mov_b32_e32 v49, 0x8000
	s_and_saveexec_b32 s17, s4
	s_cbranch_execz .LBB286_1346
; %bb.1341:                             ;   in Loop: Header=BB286_810 Depth=1
	v_and_b32_e32 v115, 0x7f, v11
	v_mov_b32_e32 v49, 0x7c01
	s_mov_b32 s18, exec_lo
	v_cmpx_ne_u32_e32 0x7f, v115
	s_cbranch_execz .LBB286_1345
; %bb.1342:                             ;   in Loop: Header=BB286_810 Depth=1
	v_and_b32_e32 v0, 7, v11
	v_lshrrev_b32_e32 v6, 3, v115
	s_mov_b32 s20, exec_lo
	v_cmpx_gt_u32_e32 8, v115
; %bb.1343:                             ;   in Loop: Header=BB286_810 Depth=1
	v_ffbh_u32_e32 v0, v0
	v_min_u32_e32 v0, 32, v0
	v_subrev_nc_u32_e32 v6, 28, v0
	v_lshlrev_b64 v[115:116], v6, v[11:12]
	v_sub_nc_u32_e32 v6, 29, v0
	v_and_b32_e32 v0, 7, v115
; %bb.1344:                             ;   in Loop: Header=BB286_810 Depth=1
	s_or_b32 exec_lo, exec_lo, s20
	v_lshlrev_b32_e32 v49, 8, v11
	v_lshl_add_u32 v6, v6, 10, 0x2000
	v_lshlrev_b32_e32 v0, 7, v0
	v_and_b32_e32 v49, 0x8000, v49
	v_and_b32_e32 v6, 0xfc00, v6
	v_or3_b32 v49, v49, v6, v0
.LBB286_1345:                           ;   in Loop: Header=BB286_810 Depth=1
	s_or_b32 exec_lo, exec_lo, s18
.LBB286_1346:                           ;   in Loop: Header=BB286_810 Depth=1
	s_or_b32 exec_lo, exec_lo, s17
.LBB286_1347:                           ;   in Loop: Header=BB286_810 Depth=1
	s_or_b32 exec_lo, exec_lo, s16
	v_lshrrev_b16 v0, 8, v11
	s_mov_b32 s16, exec_lo
	v_cmpx_ne_u16_e32 0, v0
	s_cbranch_execz .LBB286_1355
; %bb.1348:                             ;   in Loop: Header=BB286_810 Depth=1
	v_bfrev_b32_e32 v37, 1
	s_mov_b32 s17, exec_lo
	v_cmpx_ne_u16_e32 0x80, v0
	s_cbranch_execz .LBB286_1354
; %bb.1349:                             ;   in Loop: Header=BB286_810 Depth=1
	v_and_b32_sdwa v115, v0, v54 dst_sel:DWORD dst_unused:UNUSED_PAD src0_sel:WORD_0 src1_sel:DWORD
	v_mov_b32_e32 v37, 0x7c010000
	s_mov_b32 s18, exec_lo
	v_cmpx_ne_u32_e32 0x7f, v115
	s_cbranch_execz .LBB286_1353
; %bb.1350:                             ;   in Loop: Header=BB286_810 Depth=1
	v_and_b32_sdwa v6, v0, v64 dst_sel:DWORD dst_unused:UNUSED_PAD src0_sel:WORD_0 src1_sel:DWORD
	v_lshrrev_b32_e32 v37, 3, v115
	s_mov_b32 s20, exec_lo
	v_cmpx_gt_u32_e32 8, v115
; %bb.1351:                             ;   in Loop: Header=BB286_810 Depth=1
	v_ffbh_u32_e32 v6, v6
	v_min_u32_e32 v6, 32, v6
	v_subrev_nc_u32_e32 v37, 28, v6
	v_lshlrev_b64 v[115:116], v37, v[0:1]
	v_sub_nc_u32_e32 v37, 29, v6
	v_and_b32_e32 v6, 7, v115
; %bb.1352:                             ;   in Loop: Header=BB286_810 Depth=1
	s_or_b32 exec_lo, exec_lo, s20
	v_lshlrev_b32_sdwa v0, v68, v0 dst_sel:DWORD dst_unused:UNUSED_PAD src0_sel:DWORD src1_sel:WORD_0
	v_lshl_add_u32 v37, v37, 10, 0x2000
	v_lshlrev_b32_e32 v6, 23, v6
	v_and_or_b32 v0, 0x8000, v0, v37
	v_lshl_or_b32 v37, v0, 16, v6
.LBB286_1353:                           ;   in Loop: Header=BB286_810 Depth=1
	s_or_b32 exec_lo, exec_lo, s18
.LBB286_1354:                           ;   in Loop: Header=BB286_810 Depth=1
	s_or_b32 exec_lo, exec_lo, s17
.LBB286_1355:                           ;   in Loop: Header=BB286_810 Depth=1
	s_or_b32 exec_lo, exec_lo, s16
	v_lshrrev_b32_e32 v0, 16, v11
	v_mov_b32_e32 v115, 0
	v_mov_b32_e32 v116, 0
	v_cmp_ne_u16_sdwa s4, v0, v1 src0_sel:BYTE_0 src1_sel:DWORD
	s_and_saveexec_b32 s16, s4
	s_cbranch_execz .LBB286_1363
; %bb.1356:                             ;   in Loop: Header=BB286_810 Depth=1
	v_cmp_ne_u16_sdwa s4, v0, v17 src0_sel:BYTE_0 src1_sel:DWORD
	v_mov_b32_e32 v116, 0x8000
	s_and_saveexec_b32 s17, s4
	s_cbranch_execz .LBB286_1362
; %bb.1357:                             ;   in Loop: Header=BB286_810 Depth=1
	v_bfe_u32 v117, v11, 16, 7
	v_mov_b32_e32 v116, 0x7c01
	s_mov_b32 s18, exec_lo
	v_cmpx_ne_u32_e32 0x7f, v117
	s_cbranch_execz .LBB286_1361
; %bb.1358:                             ;   in Loop: Header=BB286_810 Depth=1
	v_and_b32_e32 v6, 7, v0
	v_lshrrev_b32_e32 v116, 3, v117
	s_mov_b32 s20, exec_lo
	v_cmpx_gt_u32_e32 8, v117
; %bb.1359:                             ;   in Loop: Header=BB286_810 Depth=1
	v_ffbh_u32_e32 v6, v6
	v_min_u32_e32 v6, 32, v6
	v_subrev_nc_u32_e32 v116, 28, v6
	v_lshlrev_b64 v[117:118], v116, v[0:1]
	v_sub_nc_u32_e32 v116, 29, v6
	v_and_b32_e32 v6, 7, v117
; %bb.1360:                             ;   in Loop: Header=BB286_810 Depth=1
	s_or_b32 exec_lo, exec_lo, s20
	v_lshlrev_b32_e32 v0, 8, v0
	v_lshl_add_u32 v116, v116, 10, 0x2000
	v_lshlrev_b32_e32 v6, 7, v6
	v_and_b32_e32 v0, 0x8000, v0
	v_and_b32_e32 v116, 0xfc00, v116
	v_or3_b32 v116, v0, v116, v6
.LBB286_1361:                           ;   in Loop: Header=BB286_810 Depth=1
	s_or_b32 exec_lo, exec_lo, s18
.LBB286_1362:                           ;   in Loop: Header=BB286_810 Depth=1
	s_or_b32 exec_lo, exec_lo, s17
.LBB286_1363:                           ;   in Loop: Header=BB286_810 Depth=1
	s_or_b32 exec_lo, exec_lo, s16
	s_mov_b32 s16, exec_lo
	v_cmpx_lt_u32_e32 0xffffff, v11
	s_cbranch_execz .LBB286_1371
; %bb.1364:                             ;   in Loop: Header=BB286_810 Depth=1
	v_lshrrev_b32_e32 v0, 24, v11
	v_bfrev_b32_e32 v115, 1
	s_mov_b32 s17, exec_lo
	v_cmpx_ne_u32_e32 0x80, v0
	s_cbranch_execz .LBB286_1370
; %bb.1365:                             ;   in Loop: Header=BB286_810 Depth=1
	v_and_b32_e32 v117, 0x7f, v0
	v_mov_b32_e32 v115, 0x7c010000
	s_mov_b32 s18, exec_lo
	v_cmpx_ne_u32_e32 0x7f, v117
	s_cbranch_execz .LBB286_1369
; %bb.1366:                             ;   in Loop: Header=BB286_810 Depth=1
	v_and_b32_e32 v6, 7, v0
	v_lshrrev_b32_e32 v115, 3, v117
	s_mov_b32 s20, exec_lo
	v_cmpx_gt_u32_e32 8, v117
; %bb.1367:                             ;   in Loop: Header=BB286_810 Depth=1
	v_ffbh_u32_e32 v6, v6
	v_min_u32_e32 v6, 32, v6
	v_subrev_nc_u32_e32 v115, 28, v6
	v_lshlrev_b64 v[117:118], v115, v[0:1]
	v_sub_nc_u32_e32 v115, 29, v6
	v_and_b32_e32 v6, 7, v117
; %bb.1368:                             ;   in Loop: Header=BB286_810 Depth=1
	s_or_b32 exec_lo, exec_lo, s20
	v_lshlrev_b32_e32 v0, 8, v0
	v_lshl_add_u32 v115, v115, 10, 0x2000
	v_lshlrev_b32_e32 v6, 23, v6
	v_and_or_b32 v0, 0x8000, v0, v115
	v_lshl_or_b32 v115, v0, 16, v6
.LBB286_1369:                           ;   in Loop: Header=BB286_810 Depth=1
	s_or_b32 exec_lo, exec_lo, s18
.LBB286_1370:                           ;   in Loop: Header=BB286_810 Depth=1
	s_or_b32 exec_lo, exec_lo, s17
.LBB286_1371:                           ;   in Loop: Header=BB286_810 Depth=1
	s_or_b32 exec_lo, exec_lo, s16
	v_mov_b32_e32 v0, v12
	v_cmp_ne_u16_sdwa s4, v12, v1 src0_sel:BYTE_0 src1_sel:DWORD
	v_mov_b32_e32 v117, 0
	v_mov_b32_e32 v118, 0
	s_and_saveexec_b32 s16, s4
	s_cbranch_execz .LBB286_1379
; %bb.1372:                             ;   in Loop: Header=BB286_810 Depth=1
	v_cmp_ne_u16_sdwa s4, v12, v17 src0_sel:BYTE_0 src1_sel:DWORD
	v_mov_b32_e32 v118, 0x8000
	s_and_saveexec_b32 s17, s4
	s_cbranch_execz .LBB286_1378
; %bb.1373:                             ;   in Loop: Header=BB286_810 Depth=1
	v_and_b32_e32 v119, 0x7f, v12
	v_mov_b32_e32 v118, 0x7c01
	s_mov_b32 s18, exec_lo
	v_cmpx_ne_u32_e32 0x7f, v119
	s_cbranch_execz .LBB286_1377
; %bb.1374:                             ;   in Loop: Header=BB286_810 Depth=1
	v_and_b32_e32 v6, 7, v12
	v_lshrrev_b32_e32 v118, 3, v119
	s_mov_b32 s20, exec_lo
	v_cmpx_gt_u32_e32 8, v119
; %bb.1375:                             ;   in Loop: Header=BB286_810 Depth=1
	v_ffbh_u32_e32 v6, v6
	v_min_u32_e32 v6, 32, v6
	v_subrev_nc_u32_e32 v118, 28, v6
	v_lshlrev_b64 v[40:41], v118, v[0:1]
	v_sub_nc_u32_e32 v118, 29, v6
	v_and_b32_e32 v6, 7, v40
; %bb.1376:                             ;   in Loop: Header=BB286_810 Depth=1
	s_or_b32 exec_lo, exec_lo, s20
	v_lshlrev_b32_e32 v119, 8, v12
	v_lshl_add_u32 v118, v118, 10, 0x2000
	v_lshlrev_b32_e32 v6, 7, v6
	v_and_b32_e32 v119, 0x8000, v119
	v_and_b32_e32 v118, 0xfc00, v118
	v_or3_b32 v118, v119, v118, v6
.LBB286_1377:                           ;   in Loop: Header=BB286_810 Depth=1
	s_or_b32 exec_lo, exec_lo, s18
.LBB286_1378:                           ;   in Loop: Header=BB286_810 Depth=1
	s_or_b32 exec_lo, exec_lo, s17
.LBB286_1379:                           ;   in Loop: Header=BB286_810 Depth=1
	s_or_b32 exec_lo, exec_lo, s16
	v_lshrrev_b16 v0, 8, v0
	v_mov_b32_e32 v6, 0
	s_mov_b32 s16, exec_lo
	v_cmpx_ne_u16_e32 0, v0
	s_cbranch_execz .LBB286_1387
; %bb.1380:                             ;   in Loop: Header=BB286_810 Depth=1
	v_bfrev_b32_e32 v6, 1
	s_mov_b32 s17, exec_lo
	v_cmpx_ne_u16_e32 0x80, v0
	s_cbranch_execz .LBB286_1386
; %bb.1381:                             ;   in Loop: Header=BB286_810 Depth=1
	v_and_b32_sdwa v40, v0, v54 dst_sel:DWORD dst_unused:UNUSED_PAD src0_sel:WORD_0 src1_sel:DWORD
	v_mov_b32_e32 v6, 0x7c010000
	s_mov_b32 s18, exec_lo
	v_cmpx_ne_u32_e32 0x7f, v40
	s_cbranch_execz .LBB286_1385
; %bb.1382:                             ;   in Loop: Header=BB286_810 Depth=1
	v_and_b32_sdwa v6, v0, v64 dst_sel:DWORD dst_unused:UNUSED_PAD src0_sel:WORD_0 src1_sel:DWORD
	v_lshrrev_b32_e32 v119, 3, v40
	s_mov_b32 s20, exec_lo
	v_cmpx_gt_u32_e32 8, v40
; %bb.1383:                             ;   in Loop: Header=BB286_810 Depth=1
	v_ffbh_u32_e32 v6, v6
	v_min_u32_e32 v6, 32, v6
	v_subrev_nc_u32_e32 v119, 28, v6
	v_lshlrev_b64 v[40:41], v119, v[0:1]
	v_sub_nc_u32_e32 v119, 29, v6
	v_and_b32_e32 v6, 7, v40
; %bb.1384:                             ;   in Loop: Header=BB286_810 Depth=1
	s_or_b32 exec_lo, exec_lo, s20
	v_lshlrev_b32_sdwa v0, v68, v0 dst_sel:DWORD dst_unused:UNUSED_PAD src0_sel:DWORD src1_sel:WORD_0
	v_lshl_add_u32 v119, v119, 10, 0x2000
	v_lshlrev_b32_e32 v6, 23, v6
	v_and_or_b32 v0, 0x8000, v0, v119
	v_lshl_or_b32 v6, v0, 16, v6
.LBB286_1385:                           ;   in Loop: Header=BB286_810 Depth=1
	s_or_b32 exec_lo, exec_lo, s18
.LBB286_1386:                           ;   in Loop: Header=BB286_810 Depth=1
	s_or_b32 exec_lo, exec_lo, s17
.LBB286_1387:                           ;   in Loop: Header=BB286_810 Depth=1
	s_or_b32 exec_lo, exec_lo, s16
	v_lshrrev_b32_e32 v0, 16, v12
	v_cmp_ne_u16_sdwa s4, v0, v1 src0_sel:BYTE_0 src1_sel:DWORD
	s_and_saveexec_b32 s16, s4
	s_cbranch_execz .LBB286_1395
; %bb.1388:                             ;   in Loop: Header=BB286_810 Depth=1
	v_cmp_ne_u16_sdwa s4, v0, v17 src0_sel:BYTE_0 src1_sel:DWORD
	v_mov_b32_e32 v117, 0x8000
	s_and_saveexec_b32 s17, s4
	s_cbranch_execz .LBB286_1394
; %bb.1389:                             ;   in Loop: Header=BB286_810 Depth=1
	v_bfe_u32 v40, v12, 16, 7
	v_mov_b32_e32 v117, 0x7c01
	s_mov_b32 s18, exec_lo
	v_cmpx_ne_u32_e32 0x7f, v40
	s_cbranch_execz .LBB286_1393
; %bb.1390:                             ;   in Loop: Header=BB286_810 Depth=1
	v_and_b32_e32 v117, 7, v0
	v_lshrrev_b32_e32 v119, 3, v40
	s_mov_b32 s20, exec_lo
	v_cmpx_gt_u32_e32 8, v40
; %bb.1391:                             ;   in Loop: Header=BB286_810 Depth=1
	v_ffbh_u32_e32 v117, v117
	v_min_u32_e32 v117, 32, v117
	v_subrev_nc_u32_e32 v119, 28, v117
	v_lshlrev_b64 v[40:41], v119, v[0:1]
	v_sub_nc_u32_e32 v119, 29, v117
	v_and_b32_e32 v117, 7, v40
; %bb.1392:                             ;   in Loop: Header=BB286_810 Depth=1
	s_or_b32 exec_lo, exec_lo, s20
	v_lshlrev_b32_e32 v0, 8, v0
	v_lshl_add_u32 v119, v119, 10, 0x2000
	v_lshlrev_b32_e32 v117, 7, v117
	v_and_b32_e32 v0, 0x8000, v0
	v_and_b32_e32 v119, 0xfc00, v119
	v_or3_b32 v117, v0, v119, v117
.LBB286_1393:                           ;   in Loop: Header=BB286_810 Depth=1
	s_or_b32 exec_lo, exec_lo, s18
.LBB286_1394:                           ;   in Loop: Header=BB286_810 Depth=1
	s_or_b32 exec_lo, exec_lo, s17
.LBB286_1395:                           ;   in Loop: Header=BB286_810 Depth=1
	s_or_b32 exec_lo, exec_lo, s16
	v_cmp_lt_u64_e64 s4, s[12:13], v[11:12]
	v_mov_b32_e32 v11, 0
	s_and_saveexec_b32 s16, s4
	s_cbranch_execz .LBB286_1403
; %bb.1396:                             ;   in Loop: Header=BB286_810 Depth=1
	v_lshrrev_b32_e32 v0, 24, v12
	v_bfrev_b32_e32 v11, 1
	s_mov_b32 s17, exec_lo
	v_cmpx_ne_u32_e32 0x80, v0
	s_cbranch_execz .LBB286_1402
; %bb.1397:                             ;   in Loop: Header=BB286_810 Depth=1
	v_and_b32_e32 v119, 0x7f, v0
	v_mov_b32_e32 v11, 0x7c010000
	s_mov_b32 s18, exec_lo
	v_cmpx_ne_u32_e32 0x7f, v119
	s_cbranch_execz .LBB286_1401
; %bb.1398:                             ;   in Loop: Header=BB286_810 Depth=1
	v_and_b32_e32 v11, 7, v0
	v_lshrrev_b32_e32 v12, 3, v119
	s_mov_b32 s20, exec_lo
	v_cmpx_gt_u32_e32 8, v119
; %bb.1399:                             ;   in Loop: Header=BB286_810 Depth=1
	v_ffbh_u32_e32 v11, v11
	v_min_u32_e32 v119, 32, v11
	v_subrev_nc_u32_e32 v11, 28, v119
	v_lshlrev_b64 v[11:12], v11, v[0:1]
	v_sub_nc_u32_e32 v12, 29, v119
	v_and_b32_e32 v11, 7, v11
; %bb.1400:                             ;   in Loop: Header=BB286_810 Depth=1
	s_or_b32 exec_lo, exec_lo, s20
	v_lshlrev_b32_e32 v0, 8, v0
	v_lshl_add_u32 v12, v12, 10, 0x2000
	v_lshlrev_b32_e32 v11, 23, v11
	v_and_or_b32 v0, 0x8000, v0, v12
	v_lshl_or_b32 v11, v0, 16, v11
.LBB286_1401:                           ;   in Loop: Header=BB286_810 Depth=1
	s_or_b32 exec_lo, exec_lo, s18
.LBB286_1402:                           ;   in Loop: Header=BB286_810 Depth=1
	s_or_b32 exec_lo, exec_lo, s17
.LBB286_1403:                           ;   in Loop: Header=BB286_810 Depth=1
	s_or_b32 exec_lo, exec_lo, s16
	v_or_b32_e32 v0, v115, v116
	s_waitcnt vmcnt(0) lgkmcnt(0)
	v_fma_mixlo_f16 v12, v36, v115, 0 op_sel:[0,1,0] op_sel_hi:[0,1,0]
	v_or_b32_e32 v49, v37, v49
	v_or_b32_e32 v115, v6, v118
	;; [unrolled: 1-line block ×3, first 2 shown]
	v_fma_mixlo_f16 v116, v36, v0, 0 op_sel_hi:[0,1,0]
	v_fma_mixlo_f16 v37, v36, v37, 0 op_sel:[0,1,0] op_sel_hi:[0,1,0]
	v_lshlrev_b32_e32 v0, 16, v12
	v_fma_mixlo_f16 v49, v36, v49, 0 op_sel_hi:[0,1,0]
	v_fma_mixlo_f16 v6, v36, v6, 0 op_sel:[0,1,0] op_sel_hi:[0,1,0]
	v_and_b32_e32 v12, 0xffff, v116
	v_fma_mixlo_f16 v115, v36, v115, 0 op_sel_hi:[0,1,0]
	v_fma_mixlo_f16 v116, v36, v11, 0 op_sel:[0,1,0] op_sel_hi:[0,1,0]
	v_fma_mixlo_f16 v36, v36, v117, 0 op_sel_hi:[0,1,0]
	v_lshlrev_b32_e32 v37, 16, v37
	v_and_b32_e32 v119, 0xffff, v49
	v_lshlrev_b32_e32 v11, 16, v6
	v_and_b32_e32 v115, 0xffff, v115
	;; [unrolled: 2-line block ×3, first 2 shown]
	v_or_b32_e32 v49, v0, v12
	v_or_b32_e32 v118, v37, v119
	;; [unrolled: 1-line block ×4, first 2 shown]
	s_and_saveexec_b32 s16, vcc_lo
	s_cbranch_execz .LBB286_1405
; %bb.1404:                             ;   in Loop: Header=BB286_810 Depth=1
	v_cmp_lt_i32_e64 s4, v18, v38
	v_cndmask_b32_e64 v49, 0, v119, s4
	v_cmp_lt_i32_e64 s4, v96, v38
	v_cndmask_b32_e64 v37, 0, v37, s4
	v_cmp_lt_i32_e64 s4, v87, v38
	v_or_b32_e32 v118, v49, v37
	v_cndmask_b32_e64 v12, 0, v12, s4
	v_cmp_lt_i32_e64 s4, v86, v38
	v_cndmask_b32_e64 v0, 0, v0, s4
	v_cmp_lt_i32_e64 s4, v84, v38
	v_or_b32_e32 v49, v12, v0
	;; [unrolled: 5-line block ×3, first 2 shown]
	v_cndmask_b32_e64 v36, 0, v36, s4
	v_cmp_lt_i32_e64 s4, v71, v38
	v_cndmask_b32_e64 v6, 0, v6, s4
	v_or_b32_e32 v116, v36, v6
.LBB286_1405:                           ;   in Loop: Header=BB286_810 Depth=1
	s_or_b32 exec_lo, exec_lo, s16
	;;#ASMSTART
	v_pk_mul_f16 v0, v85, v118;

	;;#ASMEND
	;;#ASMSTART
	v_pk_mul_f16 v6, v82, v49;

	;;#ASMEND
	;; [unrolled: 4-line block ×4, first 2 shown]
	;;#ASMSTART
	v_pk_add_f16 v0, v0, v6;

	;;#ASMEND
	;;#ASMSTART
	v_pk_add_f16 v0, v0, v11;

	;;#ASMEND
	;; [unrolled: 4-line block ×3, first 2 shown]
	v_and_b32_e32 v6, 0xffff, v0
	v_lshrrev_b32_e32 v0, 16, v0
	;;#ASMSTART
	v_cvt_f32_f16 v36, v6;
	;;#ASMEND
	;;#ASMSTART
	v_cvt_f32_f16 v37, v0;
	;;#ASMEND
	flat_load_dwordx2 v[11:12], v[9:10] offset:256
	flat_load_dword v49, v[26:27]
	v_mov_b32_e32 v115, 0
	v_mov_b32_e32 v116, 0
	s_waitcnt vmcnt(1) lgkmcnt(1)
	v_cmp_ne_u16_sdwa s4, v11, v1 src0_sel:BYTE_0 src1_sel:DWORD
	s_and_saveexec_b32 s16, s4
	s_cbranch_execz .LBB286_1413
; %bb.1406:                             ;   in Loop: Header=BB286_810 Depth=1
	v_cmp_ne_u16_sdwa s4, v11, v17 src0_sel:BYTE_0 src1_sel:DWORD
	v_mov_b32_e32 v116, 0x8000
	s_and_saveexec_b32 s17, s4
	s_cbranch_execz .LBB286_1412
; %bb.1407:                             ;   in Loop: Header=BB286_810 Depth=1
	v_and_b32_e32 v117, 0x7f, v11
	v_mov_b32_e32 v116, 0x7c01
	s_mov_b32 s18, exec_lo
	v_cmpx_ne_u32_e32 0x7f, v117
	s_cbranch_execz .LBB286_1411
; %bb.1408:                             ;   in Loop: Header=BB286_810 Depth=1
	v_and_b32_e32 v0, 7, v11
	v_lshrrev_b32_e32 v6, 3, v117
	s_mov_b32 s20, exec_lo
	v_cmpx_gt_u32_e32 8, v117
; %bb.1409:                             ;   in Loop: Header=BB286_810 Depth=1
	v_ffbh_u32_e32 v0, v0
	v_min_u32_e32 v0, 32, v0
	v_subrev_nc_u32_e32 v6, 28, v0
	v_lshlrev_b64 v[116:117], v6, v[11:12]
	v_sub_nc_u32_e32 v6, 29, v0
	v_and_b32_e32 v0, 7, v116
; %bb.1410:                             ;   in Loop: Header=BB286_810 Depth=1
	s_or_b32 exec_lo, exec_lo, s20
	v_lshlrev_b32_e32 v116, 8, v11
	v_lshl_add_u32 v6, v6, 10, 0x2000
	v_lshlrev_b32_e32 v0, 7, v0
	v_and_b32_e32 v116, 0x8000, v116
	v_and_b32_e32 v6, 0xfc00, v6
	v_or3_b32 v116, v116, v6, v0
.LBB286_1411:                           ;   in Loop: Header=BB286_810 Depth=1
	s_or_b32 exec_lo, exec_lo, s18
.LBB286_1412:                           ;   in Loop: Header=BB286_810 Depth=1
	s_or_b32 exec_lo, exec_lo, s17
.LBB286_1413:                           ;   in Loop: Header=BB286_810 Depth=1
	s_or_b32 exec_lo, exec_lo, s16
	v_lshrrev_b16 v0, 8, v11
	s_mov_b32 s16, exec_lo
	v_cmpx_ne_u16_e32 0, v0
	s_cbranch_execz .LBB286_1421
; %bb.1414:                             ;   in Loop: Header=BB286_810 Depth=1
	v_bfrev_b32_e32 v115, 1
	s_mov_b32 s17, exec_lo
	v_cmpx_ne_u16_e32 0x80, v0
	s_cbranch_execz .LBB286_1420
; %bb.1415:                             ;   in Loop: Header=BB286_810 Depth=1
	v_and_b32_sdwa v117, v0, v54 dst_sel:DWORD dst_unused:UNUSED_PAD src0_sel:WORD_0 src1_sel:DWORD
	v_mov_b32_e32 v115, 0x7c010000
	s_mov_b32 s18, exec_lo
	v_cmpx_ne_u32_e32 0x7f, v117
	s_cbranch_execz .LBB286_1419
; %bb.1416:                             ;   in Loop: Header=BB286_810 Depth=1
	v_and_b32_sdwa v6, v0, v64 dst_sel:DWORD dst_unused:UNUSED_PAD src0_sel:WORD_0 src1_sel:DWORD
	v_lshrrev_b32_e32 v115, 3, v117
	s_mov_b32 s20, exec_lo
	v_cmpx_gt_u32_e32 8, v117
; %bb.1417:                             ;   in Loop: Header=BB286_810 Depth=1
	v_ffbh_u32_e32 v6, v6
	v_min_u32_e32 v6, 32, v6
	v_subrev_nc_u32_e32 v115, 28, v6
	v_lshlrev_b64 v[117:118], v115, v[0:1]
	v_sub_nc_u32_e32 v115, 29, v6
	v_and_b32_e32 v6, 7, v117
; %bb.1418:                             ;   in Loop: Header=BB286_810 Depth=1
	s_or_b32 exec_lo, exec_lo, s20
	v_lshlrev_b32_sdwa v0, v68, v0 dst_sel:DWORD dst_unused:UNUSED_PAD src0_sel:DWORD src1_sel:WORD_0
	v_lshl_add_u32 v115, v115, 10, 0x2000
	v_lshlrev_b32_e32 v6, 23, v6
	v_and_or_b32 v0, 0x8000, v0, v115
	v_lshl_or_b32 v115, v0, 16, v6
.LBB286_1419:                           ;   in Loop: Header=BB286_810 Depth=1
	s_or_b32 exec_lo, exec_lo, s18
.LBB286_1420:                           ;   in Loop: Header=BB286_810 Depth=1
	s_or_b32 exec_lo, exec_lo, s17
.LBB286_1421:                           ;   in Loop: Header=BB286_810 Depth=1
	s_or_b32 exec_lo, exec_lo, s16
	v_lshrrev_b32_e32 v0, 16, v11
	v_mov_b32_e32 v117, 0
	v_mov_b32_e32 v118, 0
	v_cmp_ne_u16_sdwa s4, v0, v1 src0_sel:BYTE_0 src1_sel:DWORD
	s_and_saveexec_b32 s16, s4
	s_cbranch_execz .LBB286_1429
; %bb.1422:                             ;   in Loop: Header=BB286_810 Depth=1
	v_cmp_ne_u16_sdwa s4, v0, v17 src0_sel:BYTE_0 src1_sel:DWORD
	v_mov_b32_e32 v118, 0x8000
	s_and_saveexec_b32 s17, s4
	s_cbranch_execz .LBB286_1428
; %bb.1423:                             ;   in Loop: Header=BB286_810 Depth=1
	v_bfe_u32 v119, v11, 16, 7
	v_mov_b32_e32 v118, 0x7c01
	s_mov_b32 s18, exec_lo
	v_cmpx_ne_u32_e32 0x7f, v119
	s_cbranch_execz .LBB286_1427
; %bb.1424:                             ;   in Loop: Header=BB286_810 Depth=1
	v_and_b32_e32 v6, 7, v0
	v_lshrrev_b32_e32 v118, 3, v119
	s_mov_b32 s20, exec_lo
	v_cmpx_gt_u32_e32 8, v119
; %bb.1425:                             ;   in Loop: Header=BB286_810 Depth=1
	v_ffbh_u32_e32 v6, v6
	v_min_u32_e32 v6, 32, v6
	v_subrev_nc_u32_e32 v118, 28, v6
	v_lshlrev_b64 v[40:41], v118, v[0:1]
	v_sub_nc_u32_e32 v118, 29, v6
	v_and_b32_e32 v6, 7, v40
; %bb.1426:                             ;   in Loop: Header=BB286_810 Depth=1
	s_or_b32 exec_lo, exec_lo, s20
	v_lshlrev_b32_e32 v0, 8, v0
	v_lshl_add_u32 v118, v118, 10, 0x2000
	v_lshlrev_b32_e32 v6, 7, v6
	v_and_b32_e32 v0, 0x8000, v0
	v_and_b32_e32 v118, 0xfc00, v118
	v_or3_b32 v118, v0, v118, v6
.LBB286_1427:                           ;   in Loop: Header=BB286_810 Depth=1
	s_or_b32 exec_lo, exec_lo, s18
.LBB286_1428:                           ;   in Loop: Header=BB286_810 Depth=1
	s_or_b32 exec_lo, exec_lo, s17
.LBB286_1429:                           ;   in Loop: Header=BB286_810 Depth=1
	s_or_b32 exec_lo, exec_lo, s16
	s_mov_b32 s16, exec_lo
	v_cmpx_lt_u32_e32 0xffffff, v11
	s_cbranch_execz .LBB286_1437
; %bb.1430:                             ;   in Loop: Header=BB286_810 Depth=1
	v_lshrrev_b32_e32 v0, 24, v11
	v_bfrev_b32_e32 v117, 1
	s_mov_b32 s17, exec_lo
	v_cmpx_ne_u32_e32 0x80, v0
	s_cbranch_execz .LBB286_1436
; %bb.1431:                             ;   in Loop: Header=BB286_810 Depth=1
	v_and_b32_e32 v119, 0x7f, v0
	v_mov_b32_e32 v117, 0x7c010000
	s_mov_b32 s18, exec_lo
	v_cmpx_ne_u32_e32 0x7f, v119
	s_cbranch_execz .LBB286_1435
; %bb.1432:                             ;   in Loop: Header=BB286_810 Depth=1
	v_and_b32_e32 v6, 7, v0
	v_lshrrev_b32_e32 v117, 3, v119
	s_mov_b32 s20, exec_lo
	v_cmpx_gt_u32_e32 8, v119
; %bb.1433:                             ;   in Loop: Header=BB286_810 Depth=1
	v_ffbh_u32_e32 v6, v6
	v_min_u32_e32 v6, 32, v6
	v_subrev_nc_u32_e32 v117, 28, v6
	v_lshlrev_b64 v[40:41], v117, v[0:1]
	v_sub_nc_u32_e32 v117, 29, v6
	v_and_b32_e32 v6, 7, v40
; %bb.1434:                             ;   in Loop: Header=BB286_810 Depth=1
	s_or_b32 exec_lo, exec_lo, s20
	v_lshlrev_b32_e32 v0, 8, v0
	v_lshl_add_u32 v117, v117, 10, 0x2000
	v_lshlrev_b32_e32 v6, 23, v6
	v_and_or_b32 v0, 0x8000, v0, v117
	v_lshl_or_b32 v117, v0, 16, v6
.LBB286_1435:                           ;   in Loop: Header=BB286_810 Depth=1
	s_or_b32 exec_lo, exec_lo, s18
.LBB286_1436:                           ;   in Loop: Header=BB286_810 Depth=1
	s_or_b32 exec_lo, exec_lo, s17
.LBB286_1437:                           ;   in Loop: Header=BB286_810 Depth=1
	s_or_b32 exec_lo, exec_lo, s16
	v_mov_b32_e32 v0, v12
	v_cmp_ne_u16_sdwa s4, v12, v1 src0_sel:BYTE_0 src1_sel:DWORD
	v_mov_b32_e32 v119, 0
	v_mov_b32_e32 v40, 0
	s_and_saveexec_b32 s16, s4
	s_cbranch_execz .LBB286_1445
; %bb.1438:                             ;   in Loop: Header=BB286_810 Depth=1
	v_cmp_ne_u16_sdwa s4, v12, v17 src0_sel:BYTE_0 src1_sel:DWORD
	v_mov_b32_e32 v40, 0x8000
	s_and_saveexec_b32 s17, s4
	s_cbranch_execz .LBB286_1444
; %bb.1439:                             ;   in Loop: Header=BB286_810 Depth=1
	v_and_b32_e32 v41, 0x7f, v12
	v_mov_b32_e32 v40, 0x7c01
	s_mov_b32 s18, exec_lo
	v_cmpx_ne_u32_e32 0x7f, v41
	s_cbranch_execz .LBB286_1443
; %bb.1440:                             ;   in Loop: Header=BB286_810 Depth=1
	v_and_b32_e32 v6, 7, v12
	v_lshrrev_b32_e32 v40, 3, v41
	s_mov_b32 s20, exec_lo
	v_cmpx_gt_u32_e32 8, v41
; %bb.1441:                             ;   in Loop: Header=BB286_810 Depth=1
	v_ffbh_u32_e32 v6, v6
	v_min_u32_e32 v6, 32, v6
	v_subrev_nc_u32_e32 v40, 28, v6
	v_lshlrev_b64 v[41:42], v40, v[0:1]
	v_sub_nc_u32_e32 v40, 29, v6
	v_and_b32_e32 v6, 7, v41
; %bb.1442:                             ;   in Loop: Header=BB286_810 Depth=1
	s_or_b32 exec_lo, exec_lo, s20
	v_lshlrev_b32_e32 v41, 8, v12
	v_lshl_add_u32 v40, v40, 10, 0x2000
	v_lshlrev_b32_e32 v6, 7, v6
	v_and_b32_e32 v41, 0x8000, v41
	v_and_b32_e32 v40, 0xfc00, v40
	v_or3_b32 v40, v41, v40, v6
.LBB286_1443:                           ;   in Loop: Header=BB286_810 Depth=1
	s_or_b32 exec_lo, exec_lo, s18
.LBB286_1444:                           ;   in Loop: Header=BB286_810 Depth=1
	s_or_b32 exec_lo, exec_lo, s17
.LBB286_1445:                           ;   in Loop: Header=BB286_810 Depth=1
	s_or_b32 exec_lo, exec_lo, s16
	v_lshrrev_b16 v0, 8, v0
	v_mov_b32_e32 v6, 0
	s_mov_b32 s16, exec_lo
	v_cmpx_ne_u16_e32 0, v0
	s_cbranch_execz .LBB286_1453
; %bb.1446:                             ;   in Loop: Header=BB286_810 Depth=1
	v_bfrev_b32_e32 v6, 1
	s_mov_b32 s17, exec_lo
	v_cmpx_ne_u16_e32 0x80, v0
	s_cbranch_execz .LBB286_1452
; %bb.1447:                             ;   in Loop: Header=BB286_810 Depth=1
	v_and_b32_sdwa v42, v0, v54 dst_sel:DWORD dst_unused:UNUSED_PAD src0_sel:WORD_0 src1_sel:DWORD
	v_mov_b32_e32 v6, 0x7c010000
	s_mov_b32 s18, exec_lo
	v_cmpx_ne_u32_e32 0x7f, v42
	s_cbranch_execz .LBB286_1451
; %bb.1448:                             ;   in Loop: Header=BB286_810 Depth=1
	v_and_b32_sdwa v6, v0, v64 dst_sel:DWORD dst_unused:UNUSED_PAD src0_sel:WORD_0 src1_sel:DWORD
	v_lshrrev_b32_e32 v41, 3, v42
	s_mov_b32 s20, exec_lo
	v_cmpx_gt_u32_e32 8, v42
; %bb.1449:                             ;   in Loop: Header=BB286_810 Depth=1
	v_ffbh_u32_e32 v6, v6
	v_min_u32_e32 v6, 32, v6
	v_subrev_nc_u32_e32 v41, 28, v6
	v_lshlrev_b64 v[42:43], v41, v[0:1]
	v_sub_nc_u32_e32 v41, 29, v6
	v_and_b32_e32 v6, 7, v42
; %bb.1450:                             ;   in Loop: Header=BB286_810 Depth=1
	s_or_b32 exec_lo, exec_lo, s20
	v_lshlrev_b32_sdwa v0, v68, v0 dst_sel:DWORD dst_unused:UNUSED_PAD src0_sel:DWORD src1_sel:WORD_0
	v_lshl_add_u32 v41, v41, 10, 0x2000
	v_lshlrev_b32_e32 v6, 23, v6
	v_and_or_b32 v0, 0x8000, v0, v41
	v_lshl_or_b32 v6, v0, 16, v6
.LBB286_1451:                           ;   in Loop: Header=BB286_810 Depth=1
	s_or_b32 exec_lo, exec_lo, s18
.LBB286_1452:                           ;   in Loop: Header=BB286_810 Depth=1
	s_or_b32 exec_lo, exec_lo, s17
.LBB286_1453:                           ;   in Loop: Header=BB286_810 Depth=1
	s_or_b32 exec_lo, exec_lo, s16
	v_lshrrev_b32_e32 v0, 16, v12
	v_cmp_ne_u16_sdwa s4, v0, v1 src0_sel:BYTE_0 src1_sel:DWORD
	s_and_saveexec_b32 s16, s4
	s_cbranch_execz .LBB286_1461
; %bb.1454:                             ;   in Loop: Header=BB286_810 Depth=1
	v_cmp_ne_u16_sdwa s4, v0, v17 src0_sel:BYTE_0 src1_sel:DWORD
	v_mov_b32_e32 v119, 0x8000
	s_and_saveexec_b32 s17, s4
	s_cbranch_execz .LBB286_1460
; %bb.1455:                             ;   in Loop: Header=BB286_810 Depth=1
	v_bfe_u32 v42, v12, 16, 7
	v_mov_b32_e32 v119, 0x7c01
	s_mov_b32 s18, exec_lo
	v_cmpx_ne_u32_e32 0x7f, v42
	s_cbranch_execz .LBB286_1459
; %bb.1456:                             ;   in Loop: Header=BB286_810 Depth=1
	v_and_b32_e32 v119, 7, v0
	v_lshrrev_b32_e32 v41, 3, v42
	s_mov_b32 s20, exec_lo
	v_cmpx_gt_u32_e32 8, v42
; %bb.1457:                             ;   in Loop: Header=BB286_810 Depth=1
	v_ffbh_u32_e32 v119, v119
	v_min_u32_e32 v119, 32, v119
	v_subrev_nc_u32_e32 v41, 28, v119
	v_lshlrev_b64 v[42:43], v41, v[0:1]
	v_sub_nc_u32_e32 v41, 29, v119
	v_and_b32_e32 v119, 7, v42
; %bb.1458:                             ;   in Loop: Header=BB286_810 Depth=1
	s_or_b32 exec_lo, exec_lo, s20
	v_lshlrev_b32_e32 v0, 8, v0
	v_lshl_add_u32 v41, v41, 10, 0x2000
	v_lshlrev_b32_e32 v119, 7, v119
	v_and_b32_e32 v0, 0x8000, v0
	v_and_b32_e32 v41, 0xfc00, v41
	v_or3_b32 v119, v0, v41, v119
.LBB286_1459:                           ;   in Loop: Header=BB286_810 Depth=1
	s_or_b32 exec_lo, exec_lo, s18
.LBB286_1460:                           ;   in Loop: Header=BB286_810 Depth=1
	s_or_b32 exec_lo, exec_lo, s17
.LBB286_1461:                           ;   in Loop: Header=BB286_810 Depth=1
	s_or_b32 exec_lo, exec_lo, s16
	v_cmp_lt_u64_e64 s4, s[12:13], v[11:12]
	v_mov_b32_e32 v11, 0
	s_and_saveexec_b32 s16, s4
	s_cbranch_execz .LBB286_1469
; %bb.1462:                             ;   in Loop: Header=BB286_810 Depth=1
	v_lshrrev_b32_e32 v0, 24, v12
	v_bfrev_b32_e32 v11, 1
	s_mov_b32 s17, exec_lo
	v_cmpx_ne_u32_e32 0x80, v0
	s_cbranch_execz .LBB286_1468
; %bb.1463:                             ;   in Loop: Header=BB286_810 Depth=1
	v_and_b32_e32 v41, 0x7f, v0
	v_mov_b32_e32 v11, 0x7c010000
	s_mov_b32 s18, exec_lo
	v_cmpx_ne_u32_e32 0x7f, v41
	s_cbranch_execz .LBB286_1467
; %bb.1464:                             ;   in Loop: Header=BB286_810 Depth=1
	v_and_b32_e32 v11, 7, v0
	v_lshrrev_b32_e32 v12, 3, v41
	s_mov_b32 s20, exec_lo
	v_cmpx_gt_u32_e32 8, v41
; %bb.1465:                             ;   in Loop: Header=BB286_810 Depth=1
	v_ffbh_u32_e32 v11, v11
	v_min_u32_e32 v41, 32, v11
	v_subrev_nc_u32_e32 v11, 28, v41
	v_lshlrev_b64 v[11:12], v11, v[0:1]
	v_sub_nc_u32_e32 v12, 29, v41
	v_and_b32_e32 v11, 7, v11
; %bb.1466:                             ;   in Loop: Header=BB286_810 Depth=1
	s_or_b32 exec_lo, exec_lo, s20
	v_lshlrev_b32_e32 v0, 8, v0
	v_lshl_add_u32 v12, v12, 10, 0x2000
	v_lshlrev_b32_e32 v11, 23, v11
	v_and_or_b32 v0, 0x8000, v0, v12
	v_lshl_or_b32 v11, v0, 16, v11
.LBB286_1467:                           ;   in Loop: Header=BB286_810 Depth=1
	s_or_b32 exec_lo, exec_lo, s18
.LBB286_1468:                           ;   in Loop: Header=BB286_810 Depth=1
	s_or_b32 exec_lo, exec_lo, s17
.LBB286_1469:                           ;   in Loop: Header=BB286_810 Depth=1
	s_or_b32 exec_lo, exec_lo, s16
	v_or_b32_e32 v0, v117, v118
	s_waitcnt vmcnt(0) lgkmcnt(0)
	v_fma_mixlo_f16 v12, v49, v117, 0 op_sel:[0,1,0] op_sel_hi:[0,1,0]
	v_or_b32_e32 v116, v115, v116
	v_or_b32_e32 v117, v6, v40
	;; [unrolled: 1-line block ×3, first 2 shown]
	v_fma_mixlo_f16 v118, v49, v0, 0 op_sel_hi:[0,1,0]
	v_fma_mixlo_f16 v115, v49, v115, 0 op_sel:[0,1,0] op_sel_hi:[0,1,0]
	v_lshlrev_b32_e32 v0, 16, v12
	v_fma_mixlo_f16 v116, v49, v116, 0 op_sel_hi:[0,1,0]
	v_fma_mixlo_f16 v6, v49, v6, 0 op_sel:[0,1,0] op_sel_hi:[0,1,0]
	v_and_b32_e32 v12, 0xffff, v118
	v_fma_mixlo_f16 v117, v49, v117, 0 op_sel_hi:[0,1,0]
	v_fma_mixlo_f16 v118, v49, v11, 0 op_sel:[0,1,0] op_sel_hi:[0,1,0]
	v_fma_mixlo_f16 v49, v49, v119, 0 op_sel_hi:[0,1,0]
	v_lshlrev_b32_e32 v115, 16, v115
	v_and_b32_e32 v41, 0xffff, v116
	v_lshlrev_b32_e32 v11, 16, v6
	v_and_b32_e32 v117, 0xffff, v117
	;; [unrolled: 2-line block ×3, first 2 shown]
	v_or_b32_e32 v116, v0, v12
	v_or_b32_e32 v40, v115, v41
	;; [unrolled: 1-line block ×4, first 2 shown]
	s_and_saveexec_b32 s16, vcc_lo
	s_cbranch_execz .LBB286_1471
; %bb.1470:                             ;   in Loop: Header=BB286_810 Depth=1
	v_cmp_lt_i32_e64 s4, v18, v38
	v_cndmask_b32_e64 v116, 0, v41, s4
	v_cmp_lt_i32_e64 s4, v96, v38
	v_cndmask_b32_e64 v115, 0, v115, s4
	v_cmp_lt_i32_e64 s4, v87, v38
	v_or_b32_e32 v40, v116, v115
	v_cndmask_b32_e64 v12, 0, v12, s4
	v_cmp_lt_i32_e64 s4, v86, v38
	v_cndmask_b32_e64 v0, 0, v0, s4
	v_cmp_lt_i32_e64 s4, v84, v38
	v_or_b32_e32 v116, v12, v0
	;; [unrolled: 5-line block ×3, first 2 shown]
	v_cndmask_b32_e64 v49, 0, v49, s4
	v_cmp_lt_i32_e64 s4, v71, v38
	v_cndmask_b32_e64 v6, 0, v6, s4
	v_or_b32_e32 v118, v49, v6
.LBB286_1471:                           ;   in Loop: Header=BB286_810 Depth=1
	s_or_b32 exec_lo, exec_lo, s16
	;;#ASMSTART
	v_pk_mul_f16 v0, v85, v40;

	;;#ASMEND
	;;#ASMSTART
	v_pk_mul_f16 v6, v82, v116;

	;;#ASMEND
	;;#ASMSTART
	v_pk_mul_f16 v11, v80, v119;

	;;#ASMEND
	;;#ASMSTART
	v_pk_mul_f16 v12, v70, v118;

	;;#ASMEND
	;;#ASMSTART
	v_pk_add_f16 v0, v0, v6;

	;;#ASMEND
	;;#ASMSTART
	v_pk_add_f16 v0, v0, v11;

	;;#ASMEND
	;;#ASMSTART
	v_pk_add_f16 v0, v0, v12;

	;;#ASMEND
	v_and_b32_e32 v6, 0xffff, v0
	v_lshrrev_b32_e32 v0, 16, v0
	;;#ASMSTART
	v_cvt_f32_f16 v49, v6;
	;;#ASMEND
	;;#ASMSTART
	v_cvt_f32_f16 v115, v0;
	;;#ASMEND
	flat_load_dwordx2 v[11:12], v[9:10] offset:512
	flat_load_dword v116, v[26:27]
	v_mov_b32_e32 v117, 0
	v_mov_b32_e32 v118, 0
	s_waitcnt vmcnt(1) lgkmcnt(1)
	v_cmp_ne_u16_sdwa s4, v11, v1 src0_sel:BYTE_0 src1_sel:DWORD
	s_and_saveexec_b32 s16, s4
	s_cbranch_execz .LBB286_1479
; %bb.1472:                             ;   in Loop: Header=BB286_810 Depth=1
	v_cmp_ne_u16_sdwa s4, v11, v17 src0_sel:BYTE_0 src1_sel:DWORD
	v_mov_b32_e32 v118, 0x8000
	s_and_saveexec_b32 s17, s4
	s_cbranch_execz .LBB286_1478
; %bb.1473:                             ;   in Loop: Header=BB286_810 Depth=1
	v_and_b32_e32 v119, 0x7f, v11
	v_mov_b32_e32 v118, 0x7c01
	s_mov_b32 s18, exec_lo
	v_cmpx_ne_u32_e32 0x7f, v119
	s_cbranch_execz .LBB286_1477
; %bb.1474:                             ;   in Loop: Header=BB286_810 Depth=1
	v_and_b32_e32 v0, 7, v11
	v_lshrrev_b32_e32 v6, 3, v119
	s_mov_b32 s20, exec_lo
	v_cmpx_gt_u32_e32 8, v119
; %bb.1475:                             ;   in Loop: Header=BB286_810 Depth=1
	v_ffbh_u32_e32 v0, v0
	v_min_u32_e32 v0, 32, v0
	v_subrev_nc_u32_e32 v6, 28, v0
	v_lshlrev_b64 v[118:119], v6, v[11:12]
	v_sub_nc_u32_e32 v6, 29, v0
	v_and_b32_e32 v0, 7, v118
; %bb.1476:                             ;   in Loop: Header=BB286_810 Depth=1
	s_or_b32 exec_lo, exec_lo, s20
	v_lshlrev_b32_e32 v118, 8, v11
	v_lshl_add_u32 v6, v6, 10, 0x2000
	v_lshlrev_b32_e32 v0, 7, v0
	v_and_b32_e32 v118, 0x8000, v118
	v_and_b32_e32 v6, 0xfc00, v6
	v_or3_b32 v118, v118, v6, v0
.LBB286_1477:                           ;   in Loop: Header=BB286_810 Depth=1
	s_or_b32 exec_lo, exec_lo, s18
.LBB286_1478:                           ;   in Loop: Header=BB286_810 Depth=1
	s_or_b32 exec_lo, exec_lo, s17
.LBB286_1479:                           ;   in Loop: Header=BB286_810 Depth=1
	s_or_b32 exec_lo, exec_lo, s16
	v_lshrrev_b16 v0, 8, v11
	s_mov_b32 s16, exec_lo
	v_cmpx_ne_u16_e32 0, v0
	s_cbranch_execz .LBB286_1487
; %bb.1480:                             ;   in Loop: Header=BB286_810 Depth=1
	v_bfrev_b32_e32 v117, 1
	s_mov_b32 s17, exec_lo
	v_cmpx_ne_u16_e32 0x80, v0
	s_cbranch_execz .LBB286_1486
; %bb.1481:                             ;   in Loop: Header=BB286_810 Depth=1
	v_and_b32_sdwa v119, v0, v54 dst_sel:DWORD dst_unused:UNUSED_PAD src0_sel:WORD_0 src1_sel:DWORD
	v_mov_b32_e32 v117, 0x7c010000
	s_mov_b32 s18, exec_lo
	v_cmpx_ne_u32_e32 0x7f, v119
	s_cbranch_execz .LBB286_1485
; %bb.1482:                             ;   in Loop: Header=BB286_810 Depth=1
	v_and_b32_sdwa v6, v0, v64 dst_sel:DWORD dst_unused:UNUSED_PAD src0_sel:WORD_0 src1_sel:DWORD
	v_lshrrev_b32_e32 v117, 3, v119
	s_mov_b32 s20, exec_lo
	v_cmpx_gt_u32_e32 8, v119
; %bb.1483:                             ;   in Loop: Header=BB286_810 Depth=1
	v_ffbh_u32_e32 v6, v6
	v_min_u32_e32 v6, 32, v6
	v_subrev_nc_u32_e32 v117, 28, v6
	v_lshlrev_b64 v[40:41], v117, v[0:1]
	v_sub_nc_u32_e32 v117, 29, v6
	v_and_b32_e32 v6, 7, v40
; %bb.1484:                             ;   in Loop: Header=BB286_810 Depth=1
	s_or_b32 exec_lo, exec_lo, s20
	v_lshlrev_b32_sdwa v0, v68, v0 dst_sel:DWORD dst_unused:UNUSED_PAD src0_sel:DWORD src1_sel:WORD_0
	v_lshl_add_u32 v117, v117, 10, 0x2000
	v_lshlrev_b32_e32 v6, 23, v6
	v_and_or_b32 v0, 0x8000, v0, v117
	v_lshl_or_b32 v117, v0, 16, v6
.LBB286_1485:                           ;   in Loop: Header=BB286_810 Depth=1
	s_or_b32 exec_lo, exec_lo, s18
.LBB286_1486:                           ;   in Loop: Header=BB286_810 Depth=1
	s_or_b32 exec_lo, exec_lo, s17
.LBB286_1487:                           ;   in Loop: Header=BB286_810 Depth=1
	s_or_b32 exec_lo, exec_lo, s16
	v_lshrrev_b32_e32 v0, 16, v11
	v_mov_b32_e32 v119, 0
	v_mov_b32_e32 v40, 0
	v_cmp_ne_u16_sdwa s4, v0, v1 src0_sel:BYTE_0 src1_sel:DWORD
	s_and_saveexec_b32 s16, s4
	s_cbranch_execz .LBB286_1495
; %bb.1488:                             ;   in Loop: Header=BB286_810 Depth=1
	v_cmp_ne_u16_sdwa s4, v0, v17 src0_sel:BYTE_0 src1_sel:DWORD
	v_mov_b32_e32 v40, 0x8000
	s_and_saveexec_b32 s17, s4
	s_cbranch_execz .LBB286_1494
; %bb.1489:                             ;   in Loop: Header=BB286_810 Depth=1
	v_bfe_u32 v41, v11, 16, 7
	v_mov_b32_e32 v40, 0x7c01
	s_mov_b32 s18, exec_lo
	v_cmpx_ne_u32_e32 0x7f, v41
	s_cbranch_execz .LBB286_1493
; %bb.1490:                             ;   in Loop: Header=BB286_810 Depth=1
	v_and_b32_e32 v6, 7, v0
	v_lshrrev_b32_e32 v40, 3, v41
	s_mov_b32 s20, exec_lo
	v_cmpx_gt_u32_e32 8, v41
; %bb.1491:                             ;   in Loop: Header=BB286_810 Depth=1
	v_ffbh_u32_e32 v6, v6
	v_min_u32_e32 v6, 32, v6
	v_subrev_nc_u32_e32 v40, 28, v6
	v_lshlrev_b64 v[41:42], v40, v[0:1]
	v_sub_nc_u32_e32 v40, 29, v6
	v_and_b32_e32 v6, 7, v41
; %bb.1492:                             ;   in Loop: Header=BB286_810 Depth=1
	s_or_b32 exec_lo, exec_lo, s20
	v_lshlrev_b32_e32 v0, 8, v0
	v_lshl_add_u32 v40, v40, 10, 0x2000
	v_lshlrev_b32_e32 v6, 7, v6
	v_and_b32_e32 v0, 0x8000, v0
	v_and_b32_e32 v40, 0xfc00, v40
	v_or3_b32 v40, v0, v40, v6
.LBB286_1493:                           ;   in Loop: Header=BB286_810 Depth=1
	s_or_b32 exec_lo, exec_lo, s18
.LBB286_1494:                           ;   in Loop: Header=BB286_810 Depth=1
	s_or_b32 exec_lo, exec_lo, s17
.LBB286_1495:                           ;   in Loop: Header=BB286_810 Depth=1
	s_or_b32 exec_lo, exec_lo, s16
	s_mov_b32 s16, exec_lo
	v_cmpx_lt_u32_e32 0xffffff, v11
	s_cbranch_execz .LBB286_1503
; %bb.1496:                             ;   in Loop: Header=BB286_810 Depth=1
	v_lshrrev_b32_e32 v0, 24, v11
	v_bfrev_b32_e32 v119, 1
	s_mov_b32 s17, exec_lo
	v_cmpx_ne_u32_e32 0x80, v0
	s_cbranch_execz .LBB286_1502
; %bb.1497:                             ;   in Loop: Header=BB286_810 Depth=1
	v_and_b32_e32 v41, 0x7f, v0
	v_mov_b32_e32 v119, 0x7c010000
	s_mov_b32 s18, exec_lo
	v_cmpx_ne_u32_e32 0x7f, v41
	s_cbranch_execz .LBB286_1501
; %bb.1498:                             ;   in Loop: Header=BB286_810 Depth=1
	v_and_b32_e32 v6, 7, v0
	v_lshrrev_b32_e32 v119, 3, v41
	s_mov_b32 s20, exec_lo
	v_cmpx_gt_u32_e32 8, v41
; %bb.1499:                             ;   in Loop: Header=BB286_810 Depth=1
	v_ffbh_u32_e32 v6, v6
	v_min_u32_e32 v6, 32, v6
	v_subrev_nc_u32_e32 v119, 28, v6
	v_lshlrev_b64 v[41:42], v119, v[0:1]
	v_sub_nc_u32_e32 v119, 29, v6
	v_and_b32_e32 v6, 7, v41
; %bb.1500:                             ;   in Loop: Header=BB286_810 Depth=1
	s_or_b32 exec_lo, exec_lo, s20
	v_lshlrev_b32_e32 v0, 8, v0
	v_lshl_add_u32 v119, v119, 10, 0x2000
	v_lshlrev_b32_e32 v6, 23, v6
	v_and_or_b32 v0, 0x8000, v0, v119
	v_lshl_or_b32 v119, v0, 16, v6
.LBB286_1501:                           ;   in Loop: Header=BB286_810 Depth=1
	s_or_b32 exec_lo, exec_lo, s18
.LBB286_1502:                           ;   in Loop: Header=BB286_810 Depth=1
	s_or_b32 exec_lo, exec_lo, s17
.LBB286_1503:                           ;   in Loop: Header=BB286_810 Depth=1
	s_or_b32 exec_lo, exec_lo, s16
	v_mov_b32_e32 v0, v12
	v_cmp_ne_u16_sdwa s4, v12, v1 src0_sel:BYTE_0 src1_sel:DWORD
	v_mov_b32_e32 v41, 0
	v_mov_b32_e32 v42, 0
	s_and_saveexec_b32 s16, s4
	s_cbranch_execz .LBB286_1511
; %bb.1504:                             ;   in Loop: Header=BB286_810 Depth=1
	v_cmp_ne_u16_sdwa s4, v12, v17 src0_sel:BYTE_0 src1_sel:DWORD
	v_mov_b32_e32 v42, 0x8000
	s_and_saveexec_b32 s17, s4
	s_cbranch_execz .LBB286_1510
; %bb.1505:                             ;   in Loop: Header=BB286_810 Depth=1
	v_and_b32_e32 v43, 0x7f, v12
	v_mov_b32_e32 v42, 0x7c01
	s_mov_b32 s18, exec_lo
	v_cmpx_ne_u32_e32 0x7f, v43
	s_cbranch_execz .LBB286_1509
; %bb.1506:                             ;   in Loop: Header=BB286_810 Depth=1
	v_and_b32_e32 v6, 7, v12
	v_lshrrev_b32_e32 v42, 3, v43
	s_mov_b32 s20, exec_lo
	v_cmpx_gt_u32_e32 8, v43
; %bb.1507:                             ;   in Loop: Header=BB286_810 Depth=1
	v_ffbh_u32_e32 v6, v6
	v_min_u32_e32 v6, 32, v6
	v_subrev_nc_u32_e32 v42, 28, v6
	v_lshlrev_b64 v[43:44], v42, v[0:1]
	v_sub_nc_u32_e32 v42, 29, v6
	v_and_b32_e32 v6, 7, v43
; %bb.1508:                             ;   in Loop: Header=BB286_810 Depth=1
	s_or_b32 exec_lo, exec_lo, s20
	v_lshlrev_b32_e32 v43, 8, v12
	v_lshl_add_u32 v42, v42, 10, 0x2000
	v_lshlrev_b32_e32 v6, 7, v6
	v_and_b32_e32 v43, 0x8000, v43
	v_and_b32_e32 v42, 0xfc00, v42
	v_or3_b32 v42, v43, v42, v6
.LBB286_1509:                           ;   in Loop: Header=BB286_810 Depth=1
	s_or_b32 exec_lo, exec_lo, s18
.LBB286_1510:                           ;   in Loop: Header=BB286_810 Depth=1
	s_or_b32 exec_lo, exec_lo, s17
.LBB286_1511:                           ;   in Loop: Header=BB286_810 Depth=1
	s_or_b32 exec_lo, exec_lo, s16
	v_lshrrev_b16 v0, 8, v0
	v_mov_b32_e32 v6, 0
	s_mov_b32 s16, exec_lo
	v_cmpx_ne_u16_e32 0, v0
	s_cbranch_execz .LBB286_1519
; %bb.1512:                             ;   in Loop: Header=BB286_810 Depth=1
	v_bfrev_b32_e32 v6, 1
	s_mov_b32 s17, exec_lo
	v_cmpx_ne_u16_e32 0x80, v0
	s_cbranch_execz .LBB286_1518
; %bb.1513:                             ;   in Loop: Header=BB286_810 Depth=1
	v_and_b32_sdwa v44, v0, v54 dst_sel:DWORD dst_unused:UNUSED_PAD src0_sel:WORD_0 src1_sel:DWORD
	v_mov_b32_e32 v6, 0x7c010000
	s_mov_b32 s18, exec_lo
	v_cmpx_ne_u32_e32 0x7f, v44
	s_cbranch_execz .LBB286_1517
; %bb.1514:                             ;   in Loop: Header=BB286_810 Depth=1
	v_and_b32_sdwa v6, v0, v64 dst_sel:DWORD dst_unused:UNUSED_PAD src0_sel:WORD_0 src1_sel:DWORD
	v_lshrrev_b32_e32 v43, 3, v44
	s_mov_b32 s20, exec_lo
	v_cmpx_gt_u32_e32 8, v44
; %bb.1515:                             ;   in Loop: Header=BB286_810 Depth=1
	v_ffbh_u32_e32 v6, v6
	v_min_u32_e32 v6, 32, v6
	v_subrev_nc_u32_e32 v43, 28, v6
	v_lshlrev_b64 v[44:45], v43, v[0:1]
	v_sub_nc_u32_e32 v43, 29, v6
	v_and_b32_e32 v6, 7, v44
; %bb.1516:                             ;   in Loop: Header=BB286_810 Depth=1
	s_or_b32 exec_lo, exec_lo, s20
	v_lshlrev_b32_sdwa v0, v68, v0 dst_sel:DWORD dst_unused:UNUSED_PAD src0_sel:DWORD src1_sel:WORD_0
	v_lshl_add_u32 v43, v43, 10, 0x2000
	v_lshlrev_b32_e32 v6, 23, v6
	v_and_or_b32 v0, 0x8000, v0, v43
	v_lshl_or_b32 v6, v0, 16, v6
.LBB286_1517:                           ;   in Loop: Header=BB286_810 Depth=1
	s_or_b32 exec_lo, exec_lo, s18
.LBB286_1518:                           ;   in Loop: Header=BB286_810 Depth=1
	s_or_b32 exec_lo, exec_lo, s17
.LBB286_1519:                           ;   in Loop: Header=BB286_810 Depth=1
	s_or_b32 exec_lo, exec_lo, s16
	v_lshrrev_b32_e32 v0, 16, v12
	v_cmp_ne_u16_sdwa s4, v0, v1 src0_sel:BYTE_0 src1_sel:DWORD
	s_and_saveexec_b32 s16, s4
	s_cbranch_execz .LBB286_1527
; %bb.1520:                             ;   in Loop: Header=BB286_810 Depth=1
	v_cmp_ne_u16_sdwa s4, v0, v17 src0_sel:BYTE_0 src1_sel:DWORD
	v_mov_b32_e32 v41, 0x8000
	s_and_saveexec_b32 s17, s4
	s_cbranch_execz .LBB286_1526
; %bb.1521:                             ;   in Loop: Header=BB286_810 Depth=1
	v_bfe_u32 v44, v12, 16, 7
	v_mov_b32_e32 v41, 0x7c01
	s_mov_b32 s18, exec_lo
	v_cmpx_ne_u32_e32 0x7f, v44
	s_cbranch_execz .LBB286_1525
; %bb.1522:                             ;   in Loop: Header=BB286_810 Depth=1
	v_and_b32_e32 v41, 7, v0
	v_lshrrev_b32_e32 v43, 3, v44
	s_mov_b32 s20, exec_lo
	v_cmpx_gt_u32_e32 8, v44
; %bb.1523:                             ;   in Loop: Header=BB286_810 Depth=1
	v_ffbh_u32_e32 v41, v41
	v_min_u32_e32 v41, 32, v41
	v_subrev_nc_u32_e32 v43, 28, v41
	v_lshlrev_b64 v[44:45], v43, v[0:1]
	v_sub_nc_u32_e32 v43, 29, v41
	v_and_b32_e32 v41, 7, v44
; %bb.1524:                             ;   in Loop: Header=BB286_810 Depth=1
	s_or_b32 exec_lo, exec_lo, s20
	v_lshlrev_b32_e32 v0, 8, v0
	v_lshl_add_u32 v43, v43, 10, 0x2000
	v_lshlrev_b32_e32 v41, 7, v41
	v_and_b32_e32 v0, 0x8000, v0
	v_and_b32_e32 v43, 0xfc00, v43
	v_or3_b32 v41, v0, v43, v41
.LBB286_1525:                           ;   in Loop: Header=BB286_810 Depth=1
	s_or_b32 exec_lo, exec_lo, s18
.LBB286_1526:                           ;   in Loop: Header=BB286_810 Depth=1
	s_or_b32 exec_lo, exec_lo, s17
.LBB286_1527:                           ;   in Loop: Header=BB286_810 Depth=1
	s_or_b32 exec_lo, exec_lo, s16
	v_cmp_lt_u64_e64 s4, s[12:13], v[11:12]
	v_mov_b32_e32 v11, 0
	s_and_saveexec_b32 s16, s4
	s_cbranch_execz .LBB286_1535
; %bb.1528:                             ;   in Loop: Header=BB286_810 Depth=1
	v_lshrrev_b32_e32 v0, 24, v12
	v_bfrev_b32_e32 v11, 1
	s_mov_b32 s17, exec_lo
	v_cmpx_ne_u32_e32 0x80, v0
	s_cbranch_execz .LBB286_1534
; %bb.1529:                             ;   in Loop: Header=BB286_810 Depth=1
	v_and_b32_e32 v43, 0x7f, v0
	v_mov_b32_e32 v11, 0x7c010000
	s_mov_b32 s18, exec_lo
	v_cmpx_ne_u32_e32 0x7f, v43
	s_cbranch_execz .LBB286_1533
; %bb.1530:                             ;   in Loop: Header=BB286_810 Depth=1
	v_and_b32_e32 v11, 7, v0
	v_lshrrev_b32_e32 v12, 3, v43
	s_mov_b32 s20, exec_lo
	v_cmpx_gt_u32_e32 8, v43
; %bb.1531:                             ;   in Loop: Header=BB286_810 Depth=1
	v_ffbh_u32_e32 v11, v11
	v_min_u32_e32 v43, 32, v11
	v_subrev_nc_u32_e32 v11, 28, v43
	v_lshlrev_b64 v[11:12], v11, v[0:1]
	v_sub_nc_u32_e32 v12, 29, v43
	v_and_b32_e32 v11, 7, v11
; %bb.1532:                             ;   in Loop: Header=BB286_810 Depth=1
	s_or_b32 exec_lo, exec_lo, s20
	v_lshlrev_b32_e32 v0, 8, v0
	v_lshl_add_u32 v12, v12, 10, 0x2000
	v_lshlrev_b32_e32 v11, 23, v11
	v_and_or_b32 v0, 0x8000, v0, v12
	v_lshl_or_b32 v11, v0, 16, v11
.LBB286_1533:                           ;   in Loop: Header=BB286_810 Depth=1
	s_or_b32 exec_lo, exec_lo, s18
.LBB286_1534:                           ;   in Loop: Header=BB286_810 Depth=1
	s_or_b32 exec_lo, exec_lo, s17
.LBB286_1535:                           ;   in Loop: Header=BB286_810 Depth=1
	s_or_b32 exec_lo, exec_lo, s16
	v_or_b32_e32 v0, v119, v40
	s_waitcnt vmcnt(0) lgkmcnt(0)
	v_fma_mixlo_f16 v12, v116, v119, 0 op_sel:[0,1,0] op_sel_hi:[0,1,0]
	v_or_b32_e32 v118, v117, v118
	v_or_b32_e32 v119, v6, v42
	;; [unrolled: 1-line block ×3, first 2 shown]
	v_fma_mixlo_f16 v40, v116, v0, 0 op_sel_hi:[0,1,0]
	v_fma_mixlo_f16 v117, v116, v117, 0 op_sel:[0,1,0] op_sel_hi:[0,1,0]
	v_lshlrev_b32_e32 v0, 16, v12
	v_fma_mixlo_f16 v118, v116, v118, 0 op_sel_hi:[0,1,0]
	v_fma_mixlo_f16 v6, v116, v6, 0 op_sel:[0,1,0] op_sel_hi:[0,1,0]
	v_and_b32_e32 v12, 0xffff, v40
	v_fma_mixlo_f16 v119, v116, v119, 0 op_sel_hi:[0,1,0]
	v_fma_mixlo_f16 v40, v116, v11, 0 op_sel:[0,1,0] op_sel_hi:[0,1,0]
	v_fma_mixlo_f16 v116, v116, v41, 0 op_sel_hi:[0,1,0]
	v_lshlrev_b32_e32 v117, 16, v117
	v_and_b32_e32 v43, 0xffff, v118
	v_lshlrev_b32_e32 v11, 16, v6
	v_and_b32_e32 v119, 0xffff, v119
	;; [unrolled: 2-line block ×3, first 2 shown]
	v_or_b32_e32 v118, v0, v12
	v_or_b32_e32 v42, v117, v43
	;; [unrolled: 1-line block ×4, first 2 shown]
	s_and_saveexec_b32 s16, vcc_lo
	s_cbranch_execz .LBB286_1537
; %bb.1536:                             ;   in Loop: Header=BB286_810 Depth=1
	v_cmp_lt_i32_e64 s4, v18, v38
	v_cndmask_b32_e64 v118, 0, v43, s4
	v_cmp_lt_i32_e64 s4, v96, v38
	v_cndmask_b32_e64 v117, 0, v117, s4
	v_cmp_lt_i32_e64 s4, v87, v38
	v_or_b32_e32 v42, v118, v117
	v_cndmask_b32_e64 v12, 0, v12, s4
	v_cmp_lt_i32_e64 s4, v86, v38
	v_cndmask_b32_e64 v0, 0, v0, s4
	v_cmp_lt_i32_e64 s4, v84, v38
	v_or_b32_e32 v118, v12, v0
	;; [unrolled: 5-line block ×3, first 2 shown]
	v_cndmask_b32_e64 v116, 0, v116, s4
	v_cmp_lt_i32_e64 s4, v71, v38
	v_cndmask_b32_e64 v6, 0, v6, s4
	v_or_b32_e32 v40, v116, v6
.LBB286_1537:                           ;   in Loop: Header=BB286_810 Depth=1
	s_or_b32 exec_lo, exec_lo, s16
	;;#ASMSTART
	v_pk_mul_f16 v0, v85, v42;

	;;#ASMEND
	;;#ASMSTART
	v_pk_mul_f16 v6, v82, v118;

	;;#ASMEND
	;; [unrolled: 4-line block ×4, first 2 shown]
	;;#ASMSTART
	v_pk_add_f16 v0, v0, v6;

	;;#ASMEND
	;;#ASMSTART
	v_pk_add_f16 v0, v0, v11;

	;;#ASMEND
	;; [unrolled: 4-line block ×3, first 2 shown]
	v_and_b32_e32 v6, 0xffff, v0
	v_lshrrev_b32_e32 v0, 16, v0
	;;#ASMSTART
	v_cvt_f32_f16 v11, v6;
	;;#ASMEND
	;;#ASMSTART
	v_cvt_f32_f16 v12, v0;
	;;#ASMEND
	flat_load_dwordx2 v[9:10], v[9:10] offset:768
	flat_load_dword v116, v[26:27]
	v_mov_b32_e32 v117, 0
	v_mov_b32_e32 v118, 0
	s_waitcnt vmcnt(1) lgkmcnt(1)
	v_cmp_ne_u16_sdwa s4, v9, v1 src0_sel:BYTE_0 src1_sel:DWORD
	s_and_saveexec_b32 s16, s4
	s_cbranch_execz .LBB286_1545
; %bb.1538:                             ;   in Loop: Header=BB286_810 Depth=1
	v_cmp_ne_u16_sdwa s4, v9, v17 src0_sel:BYTE_0 src1_sel:DWORD
	v_mov_b32_e32 v118, 0x8000
	s_and_saveexec_b32 s17, s4
	s_cbranch_execz .LBB286_1544
; %bb.1539:                             ;   in Loop: Header=BB286_810 Depth=1
	v_and_b32_e32 v119, 0x7f, v9
	v_mov_b32_e32 v118, 0x7c01
	s_mov_b32 s18, exec_lo
	v_cmpx_ne_u32_e32 0x7f, v119
	s_cbranch_execz .LBB286_1543
; %bb.1540:                             ;   in Loop: Header=BB286_810 Depth=1
	v_and_b32_e32 v0, 7, v9
	v_lshrrev_b32_e32 v6, 3, v119
	s_mov_b32 s20, exec_lo
	v_cmpx_gt_u32_e32 8, v119
; %bb.1541:                             ;   in Loop: Header=BB286_810 Depth=1
	v_ffbh_u32_e32 v0, v0
	v_min_u32_e32 v0, 32, v0
	v_subrev_nc_u32_e32 v6, 28, v0
	v_lshlrev_b64 v[118:119], v6, v[9:10]
	v_sub_nc_u32_e32 v6, 29, v0
	v_and_b32_e32 v0, 7, v118
; %bb.1542:                             ;   in Loop: Header=BB286_810 Depth=1
	s_or_b32 exec_lo, exec_lo, s20
	v_lshlrev_b32_e32 v118, 8, v9
	v_lshl_add_u32 v6, v6, 10, 0x2000
	v_lshlrev_b32_e32 v0, 7, v0
	v_and_b32_e32 v118, 0x8000, v118
	v_and_b32_e32 v6, 0xfc00, v6
	v_or3_b32 v118, v118, v6, v0
.LBB286_1543:                           ;   in Loop: Header=BB286_810 Depth=1
	s_or_b32 exec_lo, exec_lo, s18
.LBB286_1544:                           ;   in Loop: Header=BB286_810 Depth=1
	s_or_b32 exec_lo, exec_lo, s17
.LBB286_1545:                           ;   in Loop: Header=BB286_810 Depth=1
	s_or_b32 exec_lo, exec_lo, s16
	v_lshrrev_b16 v0, 8, v9
	s_mov_b32 s16, exec_lo
	v_cmpx_ne_u16_e32 0, v0
	s_cbranch_execz .LBB286_1553
; %bb.1546:                             ;   in Loop: Header=BB286_810 Depth=1
	v_bfrev_b32_e32 v117, 1
	s_mov_b32 s17, exec_lo
	v_cmpx_ne_u16_e32 0x80, v0
	s_cbranch_execz .LBB286_1552
; %bb.1547:                             ;   in Loop: Header=BB286_810 Depth=1
	v_and_b32_sdwa v119, v0, v54 dst_sel:DWORD dst_unused:UNUSED_PAD src0_sel:WORD_0 src1_sel:DWORD
	v_mov_b32_e32 v117, 0x7c010000
	s_mov_b32 s18, exec_lo
	v_cmpx_ne_u32_e32 0x7f, v119
	s_cbranch_execz .LBB286_1551
; %bb.1548:                             ;   in Loop: Header=BB286_810 Depth=1
	v_and_b32_sdwa v6, v0, v64 dst_sel:DWORD dst_unused:UNUSED_PAD src0_sel:WORD_0 src1_sel:DWORD
	v_lshrrev_b32_e32 v117, 3, v119
	s_mov_b32 s20, exec_lo
	v_cmpx_gt_u32_e32 8, v119
; %bb.1549:                             ;   in Loop: Header=BB286_810 Depth=1
	v_ffbh_u32_e32 v6, v6
	v_min_u32_e32 v6, 32, v6
	v_subrev_nc_u32_e32 v117, 28, v6
	v_lshlrev_b64 v[40:41], v117, v[0:1]
	v_sub_nc_u32_e32 v117, 29, v6
	v_and_b32_e32 v6, 7, v40
; %bb.1550:                             ;   in Loop: Header=BB286_810 Depth=1
	s_or_b32 exec_lo, exec_lo, s20
	v_lshlrev_b32_sdwa v0, v68, v0 dst_sel:DWORD dst_unused:UNUSED_PAD src0_sel:DWORD src1_sel:WORD_0
	v_lshl_add_u32 v117, v117, 10, 0x2000
	v_lshlrev_b32_e32 v6, 23, v6
	v_and_or_b32 v0, 0x8000, v0, v117
	v_lshl_or_b32 v117, v0, 16, v6
.LBB286_1551:                           ;   in Loop: Header=BB286_810 Depth=1
	s_or_b32 exec_lo, exec_lo, s18
.LBB286_1552:                           ;   in Loop: Header=BB286_810 Depth=1
	s_or_b32 exec_lo, exec_lo, s17
.LBB286_1553:                           ;   in Loop: Header=BB286_810 Depth=1
	s_or_b32 exec_lo, exec_lo, s16
	v_lshrrev_b32_e32 v0, 16, v9
	v_mov_b32_e32 v119, 0
	v_mov_b32_e32 v40, 0
	v_cmp_ne_u16_sdwa s4, v0, v1 src0_sel:BYTE_0 src1_sel:DWORD
	s_and_saveexec_b32 s16, s4
	s_cbranch_execz .LBB286_1561
; %bb.1554:                             ;   in Loop: Header=BB286_810 Depth=1
	v_cmp_ne_u16_sdwa s4, v0, v17 src0_sel:BYTE_0 src1_sel:DWORD
	v_mov_b32_e32 v40, 0x8000
	s_and_saveexec_b32 s17, s4
	s_cbranch_execz .LBB286_1560
; %bb.1555:                             ;   in Loop: Header=BB286_810 Depth=1
	v_bfe_u32 v41, v9, 16, 7
	v_mov_b32_e32 v40, 0x7c01
	s_mov_b32 s18, exec_lo
	v_cmpx_ne_u32_e32 0x7f, v41
	s_cbranch_execz .LBB286_1559
; %bb.1556:                             ;   in Loop: Header=BB286_810 Depth=1
	v_and_b32_e32 v6, 7, v0
	v_lshrrev_b32_e32 v40, 3, v41
	s_mov_b32 s20, exec_lo
	v_cmpx_gt_u32_e32 8, v41
; %bb.1557:                             ;   in Loop: Header=BB286_810 Depth=1
	v_ffbh_u32_e32 v6, v6
	v_min_u32_e32 v6, 32, v6
	v_subrev_nc_u32_e32 v40, 28, v6
	v_lshlrev_b64 v[41:42], v40, v[0:1]
	v_sub_nc_u32_e32 v40, 29, v6
	v_and_b32_e32 v6, 7, v41
; %bb.1558:                             ;   in Loop: Header=BB286_810 Depth=1
	s_or_b32 exec_lo, exec_lo, s20
	v_lshlrev_b32_e32 v0, 8, v0
	v_lshl_add_u32 v40, v40, 10, 0x2000
	v_lshlrev_b32_e32 v6, 7, v6
	v_and_b32_e32 v0, 0x8000, v0
	v_and_b32_e32 v40, 0xfc00, v40
	v_or3_b32 v40, v0, v40, v6
.LBB286_1559:                           ;   in Loop: Header=BB286_810 Depth=1
	s_or_b32 exec_lo, exec_lo, s18
.LBB286_1560:                           ;   in Loop: Header=BB286_810 Depth=1
	s_or_b32 exec_lo, exec_lo, s17
.LBB286_1561:                           ;   in Loop: Header=BB286_810 Depth=1
	s_or_b32 exec_lo, exec_lo, s16
	s_mov_b32 s16, exec_lo
	v_cmpx_lt_u32_e32 0xffffff, v9
	s_cbranch_execz .LBB286_1569
; %bb.1562:                             ;   in Loop: Header=BB286_810 Depth=1
	v_lshrrev_b32_e32 v0, 24, v9
	v_bfrev_b32_e32 v119, 1
	s_mov_b32 s17, exec_lo
	v_cmpx_ne_u32_e32 0x80, v0
	s_cbranch_execz .LBB286_1568
; %bb.1563:                             ;   in Loop: Header=BB286_810 Depth=1
	v_and_b32_e32 v41, 0x7f, v0
	v_mov_b32_e32 v119, 0x7c010000
	s_mov_b32 s18, exec_lo
	v_cmpx_ne_u32_e32 0x7f, v41
	s_cbranch_execz .LBB286_1567
; %bb.1564:                             ;   in Loop: Header=BB286_810 Depth=1
	v_and_b32_e32 v6, 7, v0
	v_lshrrev_b32_e32 v119, 3, v41
	s_mov_b32 s20, exec_lo
	v_cmpx_gt_u32_e32 8, v41
; %bb.1565:                             ;   in Loop: Header=BB286_810 Depth=1
	v_ffbh_u32_e32 v6, v6
	v_min_u32_e32 v6, 32, v6
	v_subrev_nc_u32_e32 v119, 28, v6
	v_lshlrev_b64 v[41:42], v119, v[0:1]
	v_sub_nc_u32_e32 v119, 29, v6
	v_and_b32_e32 v6, 7, v41
; %bb.1566:                             ;   in Loop: Header=BB286_810 Depth=1
	s_or_b32 exec_lo, exec_lo, s20
	v_lshlrev_b32_e32 v0, 8, v0
	v_lshl_add_u32 v119, v119, 10, 0x2000
	v_lshlrev_b32_e32 v6, 23, v6
	v_and_or_b32 v0, 0x8000, v0, v119
	v_lshl_or_b32 v119, v0, 16, v6
.LBB286_1567:                           ;   in Loop: Header=BB286_810 Depth=1
	s_or_b32 exec_lo, exec_lo, s18
.LBB286_1568:                           ;   in Loop: Header=BB286_810 Depth=1
	s_or_b32 exec_lo, exec_lo, s17
.LBB286_1569:                           ;   in Loop: Header=BB286_810 Depth=1
	s_or_b32 exec_lo, exec_lo, s16
	v_mov_b32_e32 v0, v10
	v_cmp_ne_u16_sdwa s4, v10, v1 src0_sel:BYTE_0 src1_sel:DWORD
	v_mov_b32_e32 v41, 0
	v_mov_b32_e32 v42, 0
	s_and_saveexec_b32 s16, s4
	s_cbranch_execz .LBB286_1577
; %bb.1570:                             ;   in Loop: Header=BB286_810 Depth=1
	v_cmp_ne_u16_sdwa s4, v10, v17 src0_sel:BYTE_0 src1_sel:DWORD
	v_mov_b32_e32 v42, 0x8000
	s_and_saveexec_b32 s17, s4
	s_cbranch_execz .LBB286_1576
; %bb.1571:                             ;   in Loop: Header=BB286_810 Depth=1
	v_and_b32_e32 v43, 0x7f, v10
	v_mov_b32_e32 v42, 0x7c01
	s_mov_b32 s18, exec_lo
	v_cmpx_ne_u32_e32 0x7f, v43
	s_cbranch_execz .LBB286_1575
; %bb.1572:                             ;   in Loop: Header=BB286_810 Depth=1
	v_and_b32_e32 v6, 7, v10
	v_lshrrev_b32_e32 v42, 3, v43
	s_mov_b32 s20, exec_lo
	v_cmpx_gt_u32_e32 8, v43
; %bb.1573:                             ;   in Loop: Header=BB286_810 Depth=1
	v_ffbh_u32_e32 v6, v6
	v_min_u32_e32 v6, 32, v6
	v_subrev_nc_u32_e32 v42, 28, v6
	v_lshlrev_b64 v[43:44], v42, v[0:1]
	v_sub_nc_u32_e32 v42, 29, v6
	v_and_b32_e32 v6, 7, v43
; %bb.1574:                             ;   in Loop: Header=BB286_810 Depth=1
	s_or_b32 exec_lo, exec_lo, s20
	v_lshlrev_b32_e32 v43, 8, v10
	v_lshl_add_u32 v42, v42, 10, 0x2000
	v_lshlrev_b32_e32 v6, 7, v6
	v_and_b32_e32 v43, 0x8000, v43
	v_and_b32_e32 v42, 0xfc00, v42
	v_or3_b32 v42, v43, v42, v6
.LBB286_1575:                           ;   in Loop: Header=BB286_810 Depth=1
	s_or_b32 exec_lo, exec_lo, s18
.LBB286_1576:                           ;   in Loop: Header=BB286_810 Depth=1
	s_or_b32 exec_lo, exec_lo, s17
.LBB286_1577:                           ;   in Loop: Header=BB286_810 Depth=1
	s_or_b32 exec_lo, exec_lo, s16
	v_lshrrev_b16 v0, 8, v0
	v_mov_b32_e32 v6, 0
	s_mov_b32 s16, exec_lo
	v_cmpx_ne_u16_e32 0, v0
	s_cbranch_execz .LBB286_1585
; %bb.1578:                             ;   in Loop: Header=BB286_810 Depth=1
	v_bfrev_b32_e32 v6, 1
	s_mov_b32 s17, exec_lo
	v_cmpx_ne_u16_e32 0x80, v0
	s_cbranch_execz .LBB286_1584
; %bb.1579:                             ;   in Loop: Header=BB286_810 Depth=1
	v_and_b32_sdwa v44, v0, v54 dst_sel:DWORD dst_unused:UNUSED_PAD src0_sel:WORD_0 src1_sel:DWORD
	v_mov_b32_e32 v6, 0x7c010000
	s_mov_b32 s18, exec_lo
	v_cmpx_ne_u32_e32 0x7f, v44
	s_cbranch_execz .LBB286_1583
; %bb.1580:                             ;   in Loop: Header=BB286_810 Depth=1
	v_and_b32_sdwa v6, v0, v64 dst_sel:DWORD dst_unused:UNUSED_PAD src0_sel:WORD_0 src1_sel:DWORD
	v_lshrrev_b32_e32 v43, 3, v44
	s_mov_b32 s20, exec_lo
	v_cmpx_gt_u32_e32 8, v44
; %bb.1581:                             ;   in Loop: Header=BB286_810 Depth=1
	v_ffbh_u32_e32 v6, v6
	v_min_u32_e32 v6, 32, v6
	v_subrev_nc_u32_e32 v43, 28, v6
	v_lshlrev_b64 v[44:45], v43, v[0:1]
	v_sub_nc_u32_e32 v43, 29, v6
	v_and_b32_e32 v6, 7, v44
; %bb.1582:                             ;   in Loop: Header=BB286_810 Depth=1
	s_or_b32 exec_lo, exec_lo, s20
	v_lshlrev_b32_sdwa v0, v68, v0 dst_sel:DWORD dst_unused:UNUSED_PAD src0_sel:DWORD src1_sel:WORD_0
	v_lshl_add_u32 v43, v43, 10, 0x2000
	v_lshlrev_b32_e32 v6, 23, v6
	v_and_or_b32 v0, 0x8000, v0, v43
	v_lshl_or_b32 v6, v0, 16, v6
.LBB286_1583:                           ;   in Loop: Header=BB286_810 Depth=1
	s_or_b32 exec_lo, exec_lo, s18
.LBB286_1584:                           ;   in Loop: Header=BB286_810 Depth=1
	s_or_b32 exec_lo, exec_lo, s17
.LBB286_1585:                           ;   in Loop: Header=BB286_810 Depth=1
	s_or_b32 exec_lo, exec_lo, s16
	v_lshrrev_b32_e32 v0, 16, v10
	v_cmp_ne_u16_sdwa s4, v0, v1 src0_sel:BYTE_0 src1_sel:DWORD
	s_and_saveexec_b32 s16, s4
	s_cbranch_execz .LBB286_1593
; %bb.1586:                             ;   in Loop: Header=BB286_810 Depth=1
	v_cmp_ne_u16_sdwa s4, v0, v17 src0_sel:BYTE_0 src1_sel:DWORD
	v_mov_b32_e32 v41, 0x8000
	s_and_saveexec_b32 s17, s4
	s_cbranch_execz .LBB286_1592
; %bb.1587:                             ;   in Loop: Header=BB286_810 Depth=1
	v_bfe_u32 v44, v10, 16, 7
	v_mov_b32_e32 v41, 0x7c01
	s_mov_b32 s18, exec_lo
	v_cmpx_ne_u32_e32 0x7f, v44
	s_cbranch_execz .LBB286_1591
; %bb.1588:                             ;   in Loop: Header=BB286_810 Depth=1
	v_and_b32_e32 v41, 7, v0
	v_lshrrev_b32_e32 v43, 3, v44
	s_mov_b32 s20, exec_lo
	v_cmpx_gt_u32_e32 8, v44
; %bb.1589:                             ;   in Loop: Header=BB286_810 Depth=1
	v_ffbh_u32_e32 v41, v41
	v_min_u32_e32 v41, 32, v41
	v_subrev_nc_u32_e32 v43, 28, v41
	v_lshlrev_b64 v[44:45], v43, v[0:1]
	v_sub_nc_u32_e32 v43, 29, v41
	v_and_b32_e32 v41, 7, v44
; %bb.1590:                             ;   in Loop: Header=BB286_810 Depth=1
	s_or_b32 exec_lo, exec_lo, s20
	v_lshlrev_b32_e32 v0, 8, v0
	v_lshl_add_u32 v43, v43, 10, 0x2000
	v_lshlrev_b32_e32 v41, 7, v41
	v_and_b32_e32 v0, 0x8000, v0
	v_and_b32_e32 v43, 0xfc00, v43
	v_or3_b32 v41, v0, v43, v41
.LBB286_1591:                           ;   in Loop: Header=BB286_810 Depth=1
	s_or_b32 exec_lo, exec_lo, s18
.LBB286_1592:                           ;   in Loop: Header=BB286_810 Depth=1
	s_or_b32 exec_lo, exec_lo, s17
.LBB286_1593:                           ;   in Loop: Header=BB286_810 Depth=1
	s_or_b32 exec_lo, exec_lo, s16
	v_cmp_lt_u64_e64 s4, s[12:13], v[9:10]
	v_mov_b32_e32 v9, 0
	s_and_saveexec_b32 s16, s4
	s_cbranch_execz .LBB286_1601
; %bb.1594:                             ;   in Loop: Header=BB286_810 Depth=1
	v_lshrrev_b32_e32 v0, 24, v10
	v_bfrev_b32_e32 v9, 1
	s_mov_b32 s17, exec_lo
	v_cmpx_ne_u32_e32 0x80, v0
	s_cbranch_execz .LBB286_1600
; %bb.1595:                             ;   in Loop: Header=BB286_810 Depth=1
	v_and_b32_e32 v43, 0x7f, v0
	v_mov_b32_e32 v9, 0x7c010000
	s_mov_b32 s18, exec_lo
	v_cmpx_ne_u32_e32 0x7f, v43
	s_cbranch_execz .LBB286_1599
; %bb.1596:                             ;   in Loop: Header=BB286_810 Depth=1
	v_and_b32_e32 v9, 7, v0
	v_lshrrev_b32_e32 v10, 3, v43
	s_mov_b32 s20, exec_lo
	v_cmpx_gt_u32_e32 8, v43
; %bb.1597:                             ;   in Loop: Header=BB286_810 Depth=1
	v_ffbh_u32_e32 v9, v9
	v_min_u32_e32 v43, 32, v9
	v_subrev_nc_u32_e32 v9, 28, v43
	v_lshlrev_b64 v[9:10], v9, v[0:1]
	v_sub_nc_u32_e32 v10, 29, v43
	v_and_b32_e32 v9, 7, v9
; %bb.1598:                             ;   in Loop: Header=BB286_810 Depth=1
	s_or_b32 exec_lo, exec_lo, s20
	v_lshlrev_b32_e32 v0, 8, v0
	v_lshl_add_u32 v10, v10, 10, 0x2000
	v_lshlrev_b32_e32 v9, 23, v9
	v_and_or_b32 v0, 0x8000, v0, v10
	v_lshl_or_b32 v9, v0, 16, v9
.LBB286_1599:                           ;   in Loop: Header=BB286_810 Depth=1
	s_or_b32 exec_lo, exec_lo, s18
.LBB286_1600:                           ;   in Loop: Header=BB286_810 Depth=1
	s_or_b32 exec_lo, exec_lo, s17
.LBB286_1601:                           ;   in Loop: Header=BB286_810 Depth=1
	s_or_b32 exec_lo, exec_lo, s16
	v_or_b32_e32 v0, v119, v40
	s_waitcnt vmcnt(0) lgkmcnt(0)
	v_fma_mixlo_f16 v10, v116, v119, 0 op_sel:[0,1,0] op_sel_hi:[0,1,0]
	v_or_b32_e32 v118, v117, v118
	v_or_b32_e32 v40, v6, v42
	;; [unrolled: 1-line block ×3, first 2 shown]
	v_fma_mixlo_f16 v0, v116, v0, 0 op_sel_hi:[0,1,0]
	v_fma_mixlo_f16 v119, v116, v117, 0 op_sel:[0,1,0] op_sel_hi:[0,1,0]
	v_lshlrev_b32_e32 v117, 16, v10
	v_fma_mixlo_f16 v10, v116, v118, 0 op_sel_hi:[0,1,0]
	v_fma_mixlo_f16 v9, v116, v9, 0 op_sel:[0,1,0] op_sel_hi:[0,1,0]
	v_and_b32_e32 v118, 0xffff, v0
	v_fma_mixlo_f16 v0, v116, v6, 0 op_sel:[0,1,0] op_sel_hi:[0,1,0]
	v_fma_mixlo_f16 v6, v116, v40, 0 op_sel_hi:[0,1,0]
	v_fma_mixlo_f16 v40, v116, v42, 0 op_sel_hi:[0,1,0]
	v_lshlrev_b32_e32 v41, 16, v119
	v_and_b32_e32 v43, 0xffff, v10
	v_lshlrev_b32_e32 v119, 16, v0
	v_and_b32_e32 v42, 0xffff, v6
	;; [unrolled: 2-line block ×3, first 2 shown]
	v_or_b32_e32 v9, v117, v118
	v_or_b32_e32 v10, v41, v43
	;; [unrolled: 1-line block ×4, first 2 shown]
	s_and_saveexec_b32 s4, vcc_lo
	s_cbranch_execz .LBB286_808
; %bb.1602:                             ;   in Loop: Header=BB286_810 Depth=1
	v_cmp_lt_i32_e32 vcc_lo, v18, v38
	v_cndmask_b32_e32 v0, 0, v43, vcc_lo
	v_cmp_lt_i32_e32 vcc_lo, v96, v38
	v_cndmask_b32_e32 v6, 0, v41, vcc_lo
	v_cmp_lt_i32_e32 vcc_lo, v87, v38
	v_or_b32_e32 v10, v0, v6
	v_cndmask_b32_e32 v9, 0, v118, vcc_lo
	v_cmp_lt_i32_e32 vcc_lo, v86, v38
	v_cndmask_b32_e32 v18, 0, v117, vcc_lo
	v_cmp_lt_i32_e32 vcc_lo, v84, v38
	v_or_b32_e32 v9, v9, v18
	;; [unrolled: 5-line block ×3, first 2 shown]
	v_cndmask_b32_e32 v81, 0, v40, vcc_lo
	v_cmp_lt_i32_e32 vcc_lo, v71, v38
	v_cndmask_b32_e32 v71, 0, v116, vcc_lo
	v_or_b32_e32 v0, v81, v71
	s_branch .LBB286_808
.LBB286_1603:
	s_or_b32 exec_lo, exec_lo, s11
	s_load_dword s4, s[8:9], 0x0
	s_waitcnt lgkmcnt(0)
	v_mov_b32_e32 v12, s4
.LBB286_1604:
	s_or_b32 exec_lo, exec_lo, s7
	ds_bpermute_b32 v0, v20, v66
	ds_bpermute_b32 v2, v20, v65
	;; [unrolled: 1-line block ×12, first 2 shown]
	s_mov_b32 s4, exec_lo
	s_waitcnt lgkmcnt(11)
	v_add_f32_e32 v11, v66, v0
	s_waitcnt lgkmcnt(10)
	v_add_f32_e32 v9, v65, v2
	;; [unrolled: 2-line block ×3, first 2 shown]
	s_clause 0x1
	buffer_load_dword v2, off, s[0:3], s32 offset:216
	buffer_load_dword v15, off, s[0:3], s32 offset:256
	s_waitcnt lgkmcnt(8)
	v_add_f32_e32 v10, v67, v1
	s_waitcnt lgkmcnt(7)
	v_add_f32_e32 v1, v29, v14
	v_lshrrev_b32_e32 v14, 1, v35
	s_waitcnt lgkmcnt(6)
	v_add_f32_e32 v8, v34, v3
	s_waitcnt lgkmcnt(5)
	v_add_f32_e32 v7, v33, v4
	;; [unrolled: 2-line block ×6, first 2 shown]
	v_lshl_add_u32 v13, v14, 2, v12
	s_waitcnt vmcnt(0) lgkmcnt(0)
	s_waitcnt_vscnt null, 0x0
	s_barrier
	buffer_gl0_inv
	v_and_b32_e32 v16, 0x3c1, v2
	v_add_f32_e32 v2, v21, v18
	v_mul_u32_u24_e32 v15, 0x300, v15
	v_cmpx_eq_u32_e32 64, v16
	s_cbranch_execz .LBB286_1606
; %bb.1605:
	v_add_nc_u32_e32 v16, v13, v15
	v_add_nc_u32_e32 v17, 0xfffffa00, v16
	;; [unrolled: 1-line block ×8, first 2 shown]
	ds_write_b32 v17, v11
	ds_write_b32 v18, v10
	;; [unrolled: 1-line block ×7, first 2 shown]
	v_add_nc_u32_e32 v17, 0xfffffbc0, v16
	v_add_nc_u32_e32 v18, 0xfffffc00, v16
	;; [unrolled: 1-line block ×5, first 2 shown]
	ds_write_b32 v17, v1
	ds_write_b32 v18, v0
	;; [unrolled: 1-line block ×5, first 2 shown]
.LBB286_1606:
	s_or_b32 exec_lo, exec_lo, s4
	v_lshlrev_b32_e32 v14, 2, v14
	buffer_load_dword v16, off, s[0:3], s32 offset:260 ; 4-byte Folded Reload
	s_mov_b32 s7, exec_lo
	v_add3_u32 v12, v12, v15, v14
	buffer_load_dword v14, off, s[0:3], s32 offset:216 ; 4-byte Folded Reload
	s_waitcnt vmcnt(0) lgkmcnt(0)
	s_barrier
	buffer_gl0_inv
	v_cmp_eq_u32_e32 vcc_lo, 0, v16
	v_cmpx_gt_u32_e32 64, v14
	s_cbranch_execz .LBB286_1621
; %bb.1607:
	s_and_saveexec_b32 s4, vcc_lo
	s_cbranch_execnz .LBB286_1641
; %bb.1608:
	s_or_b32 exec_lo, exec_lo, s4
	s_and_saveexec_b32 s4, vcc_lo
	s_cbranch_execnz .LBB286_1642
.LBB286_1609:
	s_or_b32 exec_lo, exec_lo, s4
	s_and_saveexec_b32 s4, vcc_lo
	s_cbranch_execnz .LBB286_1643
.LBB286_1610:
	s_or_b32 exec_lo, exec_lo, s4
	s_and_saveexec_b32 s4, vcc_lo
	s_cbranch_execnz .LBB286_1644
.LBB286_1611:
	s_or_b32 exec_lo, exec_lo, s4
	s_and_saveexec_b32 s4, vcc_lo
	s_cbranch_execnz .LBB286_1645
.LBB286_1612:
	s_or_b32 exec_lo, exec_lo, s4
	s_and_saveexec_b32 s4, vcc_lo
	s_cbranch_execnz .LBB286_1646
.LBB286_1613:
	s_or_b32 exec_lo, exec_lo, s4
	s_and_saveexec_b32 s4, vcc_lo
	s_cbranch_execnz .LBB286_1647
.LBB286_1614:
	s_or_b32 exec_lo, exec_lo, s4
	s_and_saveexec_b32 s4, vcc_lo
	s_cbranch_execnz .LBB286_1648
.LBB286_1615:
	s_or_b32 exec_lo, exec_lo, s4
	s_and_saveexec_b32 s4, vcc_lo
	s_cbranch_execnz .LBB286_1649
.LBB286_1616:
	s_or_b32 exec_lo, exec_lo, s4
	s_and_saveexec_b32 s4, vcc_lo
	s_cbranch_execnz .LBB286_1650
.LBB286_1617:
	s_or_b32 exec_lo, exec_lo, s4
	s_and_saveexec_b32 s4, vcc_lo
	s_cbranch_execnz .LBB286_1651
.LBB286_1618:
	s_or_b32 exec_lo, exec_lo, s4
	s_and_saveexec_b32 s4, vcc_lo
	s_cbranch_execz .LBB286_1620
.LBB286_1619:
	ds_read_b32 v14, v12 offset:704
	s_waitcnt lgkmcnt(0)
	v_add_f32_e32 v2, v14, v2
.LBB286_1620:
	s_or_b32 exec_lo, exec_lo, s4
.LBB286_1621:
	s_or_b32 exec_lo, exec_lo, s7
	buffer_load_dword v14, off, s[0:3], s32 offset:216 ; 4-byte Folded Reload
	s_mov_b32 s7, exec_lo
	s_waitcnt vmcnt(0)
	s_barrier
	buffer_gl0_inv
	v_and_b32_e32 v14, 0x3e1, v14
	v_cmpx_eq_u32_e32 32, v14
	s_cbranch_execz .LBB286_1623
; %bb.1622:
	ds_write2_b32 v13, v11, v10 offset1:16
	ds_write2_b32 v13, v9, v8 offset0:32 offset1:48
	ds_write2_b32 v13, v7, v6 offset0:64 offset1:80
	;; [unrolled: 1-line block ×5, first 2 shown]
.LBB286_1623:
	s_or_b32 exec_lo, exec_lo, s7
	buffer_load_dword v13, off, s[0:3], s32 offset:216 ; 4-byte Folded Reload
	s_mov_b32 s7, exec_lo
	s_waitcnt vmcnt(0) lgkmcnt(0)
	s_barrier
	buffer_gl0_inv
	v_cmpx_gt_u32_e32 32, v13
	s_cbranch_execz .LBB286_1638
; %bb.1624:
	s_and_saveexec_b32 s4, vcc_lo
	s_cbranch_execnz .LBB286_1652
; %bb.1625:
	s_or_b32 exec_lo, exec_lo, s4
	s_and_saveexec_b32 s4, vcc_lo
	s_cbranch_execnz .LBB286_1653
.LBB286_1626:
	s_or_b32 exec_lo, exec_lo, s4
	s_and_saveexec_b32 s4, vcc_lo
	s_cbranch_execnz .LBB286_1654
.LBB286_1627:
	s_or_b32 exec_lo, exec_lo, s4
	s_and_saveexec_b32 s4, vcc_lo
	s_cbranch_execnz .LBB286_1655
.LBB286_1628:
	s_or_b32 exec_lo, exec_lo, s4
	s_and_saveexec_b32 s4, vcc_lo
	s_cbranch_execnz .LBB286_1656
.LBB286_1629:
	s_or_b32 exec_lo, exec_lo, s4
	s_and_saveexec_b32 s4, vcc_lo
	s_cbranch_execnz .LBB286_1657
.LBB286_1630:
	s_or_b32 exec_lo, exec_lo, s4
	s_and_saveexec_b32 s4, vcc_lo
	s_cbranch_execnz .LBB286_1658
.LBB286_1631:
	s_or_b32 exec_lo, exec_lo, s4
	s_and_saveexec_b32 s4, vcc_lo
	s_cbranch_execnz .LBB286_1659
.LBB286_1632:
	s_or_b32 exec_lo, exec_lo, s4
	s_and_saveexec_b32 s4, vcc_lo
	s_cbranch_execnz .LBB286_1660
.LBB286_1633:
	s_or_b32 exec_lo, exec_lo, s4
	s_and_saveexec_b32 s4, vcc_lo
	s_cbranch_execnz .LBB286_1661
.LBB286_1634:
	s_or_b32 exec_lo, exec_lo, s4
	s_and_saveexec_b32 s4, vcc_lo
	s_cbranch_execnz .LBB286_1662
.LBB286_1635:
	s_or_b32 exec_lo, exec_lo, s4
	s_and_saveexec_b32 s4, vcc_lo
	s_cbranch_execz .LBB286_1637
.LBB286_1636:
	ds_read_b32 v12, v12 offset:704
	s_waitcnt lgkmcnt(0)
	v_add_f32_e32 v2, v12, v2
.LBB286_1637:
	s_or_b32 exec_lo, exec_lo, s4
.LBB286_1638:
	s_or_b32 exec_lo, exec_lo, s7
	v_cmp_eq_u32_e32 vcc_lo, 0, v14
	s_barrier
	buffer_gl0_inv
	s_and_b32 exec_lo, exec_lo, vcc_lo
	s_cbranch_execz .LBB286_1640
; %bb.1639:
	s_clause 0x2
	buffer_load_dword v12, off, s[0:3], s32 offset:268
	buffer_load_dword v14, off, s[0:3], s32 offset:272
	;; [unrolled: 1-line block ×3, first 2 shown]
	s_mulk_i32 s6, 0xc0
	s_mul_i32 s4, s10, s5
	s_ashr_i32 s7, s6, 31
	s_ashr_i32 s5, s4, 31
	s_lshl_b64 s[6:7], s[6:7], 1
	s_lshl_b64 s[4:5], s[4:5], 1
	;;#ASMSTART
	v_cvt_f16_f32 v11, v11;

	;;#ASMEND
	s_waitcnt vmcnt(2)
	v_add_co_u32 v12, vcc_lo, v12, s6
	s_waitcnt vmcnt(0)
	v_add_co_ci_u32_e64 v13, null, s7, v13, vcc_lo
	s_mul_i32 s6, s14, 0xc0
	v_add_co_u32 v12, vcc_lo, v12, s4
	s_ashr_i32 s7, s6, 31
	v_add_co_ci_u32_e64 v13, null, s5, v13, vcc_lo
	s_lshl_b64 s[4:5], s[6:7], 1
	v_lshlrev_b32_e32 v14, 1, v14
	v_add_co_u32 v12, vcc_lo, v12, s4
	v_add_co_ci_u32_e64 v13, null, s5, v13, vcc_lo
	v_add_co_u32 v12, vcc_lo, v12, v14
	v_add_co_ci_u32_e64 v13, null, 0, v13, vcc_lo
	flat_store_short v[12:13], v11
	;;#ASMSTART
	v_cvt_f16_f32 v10, v10;

	;;#ASMEND
	flat_store_short v[12:13], v10 offset:32
	;;#ASMSTART
	v_cvt_f16_f32 v9, v9;

	;;#ASMEND
	flat_store_short v[12:13], v9 offset:64
	;; [unrolled: 5-line block ×11, first 2 shown]
.LBB286_1640:
	s_or_b32 exec_lo, exec_lo, s19
	s_clause 0x2f
	buffer_load_dword v127, off, s[0:3], s32 offset:8
	buffer_load_dword v126, off, s[0:3], s32 offset:12
	;; [unrolled: 1-line block ×48, first 2 shown]
	s_waitcnt vmcnt(0) lgkmcnt(0)
	s_setpc_b64 s[30:31]
.LBB286_1641:
	ds_read_b32 v14, v12
	s_waitcnt lgkmcnt(0)
	v_add_f32_e32 v11, v14, v11
	s_or_b32 exec_lo, exec_lo, s4
	s_and_saveexec_b32 s4, vcc_lo
	s_cbranch_execz .LBB286_1609
.LBB286_1642:
	ds_read_b32 v14, v12 offset:64
	s_waitcnt lgkmcnt(0)
	v_add_f32_e32 v10, v14, v10
	s_or_b32 exec_lo, exec_lo, s4
	s_and_saveexec_b32 s4, vcc_lo
	s_cbranch_execz .LBB286_1610
.LBB286_1643:
	ds_read_b32 v14, v12 offset:128
	s_waitcnt lgkmcnt(0)
	v_add_f32_e32 v9, v14, v9
	s_or_b32 exec_lo, exec_lo, s4
	s_and_saveexec_b32 s4, vcc_lo
	s_cbranch_execz .LBB286_1611
.LBB286_1644:
	ds_read_b32 v14, v12 offset:192
	s_waitcnt lgkmcnt(0)
	v_add_f32_e32 v8, v14, v8
	s_or_b32 exec_lo, exec_lo, s4
	s_and_saveexec_b32 s4, vcc_lo
	s_cbranch_execz .LBB286_1612
.LBB286_1645:
	ds_read_b32 v14, v12 offset:256
	s_waitcnt lgkmcnt(0)
	v_add_f32_e32 v7, v14, v7
	s_or_b32 exec_lo, exec_lo, s4
	s_and_saveexec_b32 s4, vcc_lo
	s_cbranch_execz .LBB286_1613
.LBB286_1646:
	ds_read_b32 v14, v12 offset:320
	s_waitcnt lgkmcnt(0)
	v_add_f32_e32 v6, v14, v6
	s_or_b32 exec_lo, exec_lo, s4
	s_and_saveexec_b32 s4, vcc_lo
	s_cbranch_execz .LBB286_1614
.LBB286_1647:
	ds_read_b32 v14, v12 offset:384
	s_waitcnt lgkmcnt(0)
	v_add_f32_e32 v4, v14, v4
	s_or_b32 exec_lo, exec_lo, s4
	s_and_saveexec_b32 s4, vcc_lo
	s_cbranch_execz .LBB286_1615
.LBB286_1648:
	ds_read_b32 v14, v12 offset:448
	s_waitcnt lgkmcnt(0)
	v_add_f32_e32 v1, v14, v1
	s_or_b32 exec_lo, exec_lo, s4
	s_and_saveexec_b32 s4, vcc_lo
	s_cbranch_execz .LBB286_1616
.LBB286_1649:
	ds_read_b32 v14, v12 offset:512
	s_waitcnt lgkmcnt(0)
	v_add_f32_e32 v0, v14, v0
	s_or_b32 exec_lo, exec_lo, s4
	s_and_saveexec_b32 s4, vcc_lo
	s_cbranch_execz .LBB286_1617
.LBB286_1650:
	ds_read_b32 v14, v12 offset:576
	s_waitcnt lgkmcnt(0)
	v_add_f32_e32 v3, v14, v3
	s_or_b32 exec_lo, exec_lo, s4
	s_and_saveexec_b32 s4, vcc_lo
	s_cbranch_execz .LBB286_1618
.LBB286_1651:
	ds_read_b32 v14, v12 offset:640
	s_waitcnt lgkmcnt(0)
	v_add_f32_e32 v5, v14, v5
	s_or_b32 exec_lo, exec_lo, s4
	s_and_saveexec_b32 s4, vcc_lo
	s_cbranch_execnz .LBB286_1619
	s_branch .LBB286_1620
.LBB286_1652:
	ds_read_b32 v13, v12
	s_waitcnt lgkmcnt(0)
	v_add_f32_e32 v11, v13, v11
	s_or_b32 exec_lo, exec_lo, s4
	s_and_saveexec_b32 s4, vcc_lo
	s_cbranch_execz .LBB286_1626
.LBB286_1653:
	ds_read_b32 v13, v12 offset:64
	s_waitcnt lgkmcnt(0)
	v_add_f32_e32 v10, v13, v10
	s_or_b32 exec_lo, exec_lo, s4
	s_and_saveexec_b32 s4, vcc_lo
	s_cbranch_execz .LBB286_1627
.LBB286_1654:
	ds_read_b32 v13, v12 offset:128
	s_waitcnt lgkmcnt(0)
	v_add_f32_e32 v9, v13, v9
	s_or_b32 exec_lo, exec_lo, s4
	s_and_saveexec_b32 s4, vcc_lo
	s_cbranch_execz .LBB286_1628
.LBB286_1655:
	ds_read_b32 v13, v12 offset:192
	s_waitcnt lgkmcnt(0)
	v_add_f32_e32 v8, v13, v8
	s_or_b32 exec_lo, exec_lo, s4
	s_and_saveexec_b32 s4, vcc_lo
	s_cbranch_execz .LBB286_1629
.LBB286_1656:
	ds_read_b32 v13, v12 offset:256
	s_waitcnt lgkmcnt(0)
	v_add_f32_e32 v7, v13, v7
	s_or_b32 exec_lo, exec_lo, s4
	s_and_saveexec_b32 s4, vcc_lo
	s_cbranch_execz .LBB286_1630
.LBB286_1657:
	ds_read_b32 v13, v12 offset:320
	s_waitcnt lgkmcnt(0)
	v_add_f32_e32 v6, v13, v6
	s_or_b32 exec_lo, exec_lo, s4
	s_and_saveexec_b32 s4, vcc_lo
	s_cbranch_execz .LBB286_1631
.LBB286_1658:
	ds_read_b32 v13, v12 offset:384
	s_waitcnt lgkmcnt(0)
	v_add_f32_e32 v4, v13, v4
	s_or_b32 exec_lo, exec_lo, s4
	s_and_saveexec_b32 s4, vcc_lo
	s_cbranch_execz .LBB286_1632
.LBB286_1659:
	ds_read_b32 v13, v12 offset:448
	s_waitcnt lgkmcnt(0)
	v_add_f32_e32 v1, v13, v1
	s_or_b32 exec_lo, exec_lo, s4
	s_and_saveexec_b32 s4, vcc_lo
	s_cbranch_execz .LBB286_1633
.LBB286_1660:
	ds_read_b32 v13, v12 offset:512
	s_waitcnt lgkmcnt(0)
	v_add_f32_e32 v0, v13, v0
	s_or_b32 exec_lo, exec_lo, s4
	s_and_saveexec_b32 s4, vcc_lo
	s_cbranch_execz .LBB286_1634
.LBB286_1661:
	ds_read_b32 v13, v12 offset:576
	s_waitcnt lgkmcnt(0)
	v_add_f32_e32 v3, v13, v3
	s_or_b32 exec_lo, exec_lo, s4
	s_and_saveexec_b32 s4, vcc_lo
	s_cbranch_execz .LBB286_1635
.LBB286_1662:
	ds_read_b32 v13, v12 offset:640
	s_waitcnt lgkmcnt(0)
	v_add_f32_e32 v5, v13, v5
	s_or_b32 exec_lo, exec_lo, s4
	s_and_saveexec_b32 s4, vcc_lo
	s_cbranch_execnz .LBB286_1636
	s_branch .LBB286_1637
.Lfunc_end286:
	.size	_ZN4vllm22paged_attention_kernelIthLi192ELi16ELi128ELNS_18Fp8KVCacheDataTypeE1ELb1ELi512EEEvPfS2_PT_PKS3_PKT0_S9_ifPKiSB_iPKfiiiSD_SD_iiiii, .Lfunc_end286-_ZN4vllm22paged_attention_kernelIthLi192ELi16ELi128ELNS_18Fp8KVCacheDataTypeE1ELb1ELi512EEEvPfS2_PT_PKS3_PKT0_S9_ifPKiSB_iPKfiiiSD_SD_iiiii
                                        ; -- End function
	.set .L_ZN4vllm22paged_attention_kernelIthLi192ELi16ELi128ELNS_18Fp8KVCacheDataTypeE1ELb1ELi512EEEvPfS2_PT_PKS3_PKT0_S9_ifPKiSB_iPKfiiiSD_SD_iiiii.num_vgpr, 128
	.set .L_ZN4vllm22paged_attention_kernelIthLi192ELi16ELi128ELNS_18Fp8KVCacheDataTypeE1ELb1ELi512EEEvPfS2_PT_PKS3_PKT0_S9_ifPKiSB_iPKfiiiSD_SD_iiiii.num_agpr, 0
	.set .L_ZN4vllm22paged_attention_kernelIthLi192ELi16ELi128ELNS_18Fp8KVCacheDataTypeE1ELb1ELi512EEEvPfS2_PT_PKS3_PKT0_S9_ifPKiSB_iPKfiiiSD_SD_iiiii.numbered_sgpr, 33
	.set .L_ZN4vllm22paged_attention_kernelIthLi192ELi16ELi128ELNS_18Fp8KVCacheDataTypeE1ELb1ELi512EEEvPfS2_PT_PKS3_PKT0_S9_ifPKiSB_iPKfiiiSD_SD_iiiii.num_named_barrier, 0
	.set .L_ZN4vllm22paged_attention_kernelIthLi192ELi16ELi128ELNS_18Fp8KVCacheDataTypeE1ELb1ELi512EEEvPfS2_PT_PKS3_PKT0_S9_ifPKiSB_iPKfiiiSD_SD_iiiii.private_seg_size, 344
	.set .L_ZN4vllm22paged_attention_kernelIthLi192ELi16ELi128ELNS_18Fp8KVCacheDataTypeE1ELb1ELi512EEEvPfS2_PT_PKS3_PKT0_S9_ifPKiSB_iPKfiiiSD_SD_iiiii.uses_vcc, 1
	.set .L_ZN4vllm22paged_attention_kernelIthLi192ELi16ELi128ELNS_18Fp8KVCacheDataTypeE1ELb1ELi512EEEvPfS2_PT_PKS3_PKT0_S9_ifPKiSB_iPKfiiiSD_SD_iiiii.uses_flat_scratch, 0
	.set .L_ZN4vllm22paged_attention_kernelIthLi192ELi16ELi128ELNS_18Fp8KVCacheDataTypeE1ELb1ELi512EEEvPfS2_PT_PKS3_PKT0_S9_ifPKiSB_iPKfiiiSD_SD_iiiii.has_dyn_sized_stack, 0
	.set .L_ZN4vllm22paged_attention_kernelIthLi192ELi16ELi128ELNS_18Fp8KVCacheDataTypeE1ELb1ELi512EEEvPfS2_PT_PKS3_PKT0_S9_ifPKiSB_iPKfiiiSD_SD_iiiii.has_recursion, 0
	.set .L_ZN4vllm22paged_attention_kernelIthLi192ELi16ELi128ELNS_18Fp8KVCacheDataTypeE1ELb1ELi512EEEvPfS2_PT_PKS3_PKT0_S9_ifPKiSB_iPKfiiiSD_SD_iiiii.has_indirect_call, 0
	.section	.AMDGPU.csdata,"",@progbits
; Function info:
; codeLenInByte = 56140
; TotalNumSgprs: 35
; NumVgprs: 128
; ScratchSize: 344
; MemoryBound: 0
	.section	.text._ZN4vllm25paged_attention_v2_kernelIthLi192ELi16ELi128ELNS_18Fp8KVCacheDataTypeE1ELb1ELi512EEEvPfS2_PT_PKS3_PKT0_S9_ifPKiSB_iPKfiiiSD_SD_iiiii,"axG",@progbits,_ZN4vllm25paged_attention_v2_kernelIthLi192ELi16ELi128ELNS_18Fp8KVCacheDataTypeE1ELb1ELi512EEEvPfS2_PT_PKS3_PKT0_S9_ifPKiSB_iPKfiiiSD_SD_iiiii,comdat
	.protected	_ZN4vllm25paged_attention_v2_kernelIthLi192ELi16ELi128ELNS_18Fp8KVCacheDataTypeE1ELb1ELi512EEEvPfS2_PT_PKS3_PKT0_S9_ifPKiSB_iPKfiiiSD_SD_iiiii ; -- Begin function _ZN4vllm25paged_attention_v2_kernelIthLi192ELi16ELi128ELNS_18Fp8KVCacheDataTypeE1ELb1ELi512EEEvPfS2_PT_PKS3_PKT0_S9_ifPKiSB_iPKfiiiSD_SD_iiiii
	.globl	_ZN4vllm25paged_attention_v2_kernelIthLi192ELi16ELi128ELNS_18Fp8KVCacheDataTypeE1ELb1ELi512EEEvPfS2_PT_PKS3_PKT0_S9_ifPKiSB_iPKfiiiSD_SD_iiiii
	.p2align	8
	.type	_ZN4vllm25paged_attention_v2_kernelIthLi192ELi16ELi128ELNS_18Fp8KVCacheDataTypeE1ELb1ELi512EEEvPfS2_PT_PKS3_PKT0_S9_ifPKiSB_iPKfiiiSD_SD_iiiii,@function
_ZN4vllm25paged_attention_v2_kernelIthLi192ELi16ELi128ELNS_18Fp8KVCacheDataTypeE1ELb1ELi512EEEvPfS2_PT_PKS3_PKT0_S9_ifPKiSB_iPKfiiiSD_SD_iiiii: ; @_ZN4vllm25paged_attention_v2_kernelIthLi192ELi16ELi128ELNS_18Fp8KVCacheDataTypeE1ELb1ELi512EEEvPfS2_PT_PKS3_PKT0_S9_ifPKiSB_iPKfiiiSD_SD_iiiii
; %bb.0:
	s_mov_b32 s14, s8
	s_clause 0x7
	s_load_dwordx4 s[36:39], s[4:5], 0x78
	s_load_dword s8, s[4:5], 0x88
	s_load_dwordx8 s[40:47], s[4:5], 0x0
	s_load_dwordx8 s[24:31], s[4:5], 0x20
	s_load_dwordx2 s[10:11], s[4:5], 0x40
	s_load_dwordx2 s[34:35], s[4:5], 0x50
	s_load_dword s13, s[4:5], 0x48
	s_load_dwordx8 s[16:23], s[4:5], 0x58
	s_add_u32 s0, s0, s9
	s_mov_b32 s32, 0
	s_addc_u32 s1, s1, 0
	v_mov_b32_e32 v31, v0
	s_mov_b32 s12, s6
	s_mov_b32 s15, 41
	s_waitcnt lgkmcnt(0)
	v_mov_b32_e32 v1, s39
	v_mov_b32_e32 v2, s8
	;; [unrolled: 1-line block ×4, first 2 shown]
	buffer_store_dword v1, off, s[0:3], s32
	buffer_store_dword v2, off, s[0:3], s32 offset:4
	v_mov_b32_e32 v1, s41
	v_mov_b32_e32 v2, s42
	;; [unrolled: 1-line block ×29, first 2 shown]
	s_add_u32 s8, s4, 0x90
	s_addc_u32 s9, s5, 0
	s_getpc_b64 s[4:5]
	s_add_u32 s4, s4, _ZN4vllm22paged_attention_kernelIthLi192ELi16ELi128ELNS_18Fp8KVCacheDataTypeE1ELb1ELi512EEEvPfS2_PT_PKS3_PKT0_S9_ifPKiSB_iPKfiiiSD_SD_iiiii@rel32@lo+4
	s_addc_u32 s5, s5, _ZN4vllm22paged_attention_kernelIthLi192ELi16ELi128ELNS_18Fp8KVCacheDataTypeE1ELb1ELi512EEEvPfS2_PT_PKS3_PKT0_S9_ifPKiSB_iPKfiiiSD_SD_iiiii@rel32@hi+12
	s_mov_b32 s13, s7
	s_swappc_b64 s[30:31], s[4:5]
	s_endpgm
	.section	.rodata,"a",@progbits
	.p2align	6, 0x0
	.amdhsa_kernel _ZN4vllm25paged_attention_v2_kernelIthLi192ELi16ELi128ELNS_18Fp8KVCacheDataTypeE1ELb1ELi512EEEvPfS2_PT_PKS3_PKT0_S9_ifPKiSB_iPKfiiiSD_SD_iiiii
		.amdhsa_group_segment_fixed_size 416
		.amdhsa_private_segment_fixed_size 344
		.amdhsa_kernarg_size 400
		.amdhsa_user_sgpr_count 6
		.amdhsa_user_sgpr_private_segment_buffer 1
		.amdhsa_user_sgpr_dispatch_ptr 0
		.amdhsa_user_sgpr_queue_ptr 0
		.amdhsa_user_sgpr_kernarg_segment_ptr 1
		.amdhsa_user_sgpr_dispatch_id 0
		.amdhsa_user_sgpr_flat_scratch_init 0
		.amdhsa_user_sgpr_private_segment_size 0
		.amdhsa_wavefront_size32 1
		.amdhsa_uses_dynamic_stack 0
		.amdhsa_system_sgpr_private_segment_wavefront_offset 1
		.amdhsa_system_sgpr_workgroup_id_x 1
		.amdhsa_system_sgpr_workgroup_id_y 1
		.amdhsa_system_sgpr_workgroup_id_z 1
		.amdhsa_system_sgpr_workgroup_info 0
		.amdhsa_system_vgpr_workitem_id 0
		.amdhsa_next_free_vgpr 128
		.amdhsa_next_free_sgpr 48
		.amdhsa_reserve_vcc 1
		.amdhsa_reserve_flat_scratch 0
		.amdhsa_float_round_mode_32 0
		.amdhsa_float_round_mode_16_64 0
		.amdhsa_float_denorm_mode_32 3
		.amdhsa_float_denorm_mode_16_64 3
		.amdhsa_dx10_clamp 1
		.amdhsa_ieee_mode 1
		.amdhsa_fp16_overflow 0
		.amdhsa_workgroup_processor_mode 1
		.amdhsa_memory_ordered 1
		.amdhsa_forward_progress 1
		.amdhsa_shared_vgpr_count 0
		.amdhsa_exception_fp_ieee_invalid_op 0
		.amdhsa_exception_fp_denorm_src 0
		.amdhsa_exception_fp_ieee_div_zero 0
		.amdhsa_exception_fp_ieee_overflow 0
		.amdhsa_exception_fp_ieee_underflow 0
		.amdhsa_exception_fp_ieee_inexact 0
		.amdhsa_exception_int_div_zero 0
	.end_amdhsa_kernel
	.section	.text._ZN4vllm25paged_attention_v2_kernelIthLi192ELi16ELi128ELNS_18Fp8KVCacheDataTypeE1ELb1ELi512EEEvPfS2_PT_PKS3_PKT0_S9_ifPKiSB_iPKfiiiSD_SD_iiiii,"axG",@progbits,_ZN4vllm25paged_attention_v2_kernelIthLi192ELi16ELi128ELNS_18Fp8KVCacheDataTypeE1ELb1ELi512EEEvPfS2_PT_PKS3_PKT0_S9_ifPKiSB_iPKfiiiSD_SD_iiiii,comdat
.Lfunc_end287:
	.size	_ZN4vllm25paged_attention_v2_kernelIthLi192ELi16ELi128ELNS_18Fp8KVCacheDataTypeE1ELb1ELi512EEEvPfS2_PT_PKS3_PKT0_S9_ifPKiSB_iPKfiiiSD_SD_iiiii, .Lfunc_end287-_ZN4vllm25paged_attention_v2_kernelIthLi192ELi16ELi128ELNS_18Fp8KVCacheDataTypeE1ELb1ELi512EEEvPfS2_PT_PKS3_PKT0_S9_ifPKiSB_iPKfiiiSD_SD_iiiii
                                        ; -- End function
	.set _ZN4vllm25paged_attention_v2_kernelIthLi192ELi16ELi128ELNS_18Fp8KVCacheDataTypeE1ELb1ELi512EEEvPfS2_PT_PKS3_PKT0_S9_ifPKiSB_iPKfiiiSD_SD_iiiii.num_vgpr, max(32, .L_ZN4vllm22paged_attention_kernelIthLi192ELi16ELi128ELNS_18Fp8KVCacheDataTypeE1ELb1ELi512EEEvPfS2_PT_PKS3_PKT0_S9_ifPKiSB_iPKfiiiSD_SD_iiiii.num_vgpr)
	.set _ZN4vllm25paged_attention_v2_kernelIthLi192ELi16ELi128ELNS_18Fp8KVCacheDataTypeE1ELb1ELi512EEEvPfS2_PT_PKS3_PKT0_S9_ifPKiSB_iPKfiiiSD_SD_iiiii.num_agpr, max(0, .L_ZN4vllm22paged_attention_kernelIthLi192ELi16ELi128ELNS_18Fp8KVCacheDataTypeE1ELb1ELi512EEEvPfS2_PT_PKS3_PKT0_S9_ifPKiSB_iPKfiiiSD_SD_iiiii.num_agpr)
	.set _ZN4vllm25paged_attention_v2_kernelIthLi192ELi16ELi128ELNS_18Fp8KVCacheDataTypeE1ELb1ELi512EEEvPfS2_PT_PKS3_PKT0_S9_ifPKiSB_iPKfiiiSD_SD_iiiii.numbered_sgpr, max(48, .L_ZN4vllm22paged_attention_kernelIthLi192ELi16ELi128ELNS_18Fp8KVCacheDataTypeE1ELb1ELi512EEEvPfS2_PT_PKS3_PKT0_S9_ifPKiSB_iPKfiiiSD_SD_iiiii.numbered_sgpr)
	.set _ZN4vllm25paged_attention_v2_kernelIthLi192ELi16ELi128ELNS_18Fp8KVCacheDataTypeE1ELb1ELi512EEEvPfS2_PT_PKS3_PKT0_S9_ifPKiSB_iPKfiiiSD_SD_iiiii.num_named_barrier, max(0, .L_ZN4vllm22paged_attention_kernelIthLi192ELi16ELi128ELNS_18Fp8KVCacheDataTypeE1ELb1ELi512EEEvPfS2_PT_PKS3_PKT0_S9_ifPKiSB_iPKfiiiSD_SD_iiiii.num_named_barrier)
	.set _ZN4vllm25paged_attention_v2_kernelIthLi192ELi16ELi128ELNS_18Fp8KVCacheDataTypeE1ELb1ELi512EEEvPfS2_PT_PKS3_PKT0_S9_ifPKiSB_iPKfiiiSD_SD_iiiii.private_seg_size, 0+max(.L_ZN4vllm22paged_attention_kernelIthLi192ELi16ELi128ELNS_18Fp8KVCacheDataTypeE1ELb1ELi512EEEvPfS2_PT_PKS3_PKT0_S9_ifPKiSB_iPKfiiiSD_SD_iiiii.private_seg_size)
	.set _ZN4vllm25paged_attention_v2_kernelIthLi192ELi16ELi128ELNS_18Fp8KVCacheDataTypeE1ELb1ELi512EEEvPfS2_PT_PKS3_PKT0_S9_ifPKiSB_iPKfiiiSD_SD_iiiii.uses_vcc, or(1, .L_ZN4vllm22paged_attention_kernelIthLi192ELi16ELi128ELNS_18Fp8KVCacheDataTypeE1ELb1ELi512EEEvPfS2_PT_PKS3_PKT0_S9_ifPKiSB_iPKfiiiSD_SD_iiiii.uses_vcc)
	.set _ZN4vllm25paged_attention_v2_kernelIthLi192ELi16ELi128ELNS_18Fp8KVCacheDataTypeE1ELb1ELi512EEEvPfS2_PT_PKS3_PKT0_S9_ifPKiSB_iPKfiiiSD_SD_iiiii.uses_flat_scratch, or(0, .L_ZN4vllm22paged_attention_kernelIthLi192ELi16ELi128ELNS_18Fp8KVCacheDataTypeE1ELb1ELi512EEEvPfS2_PT_PKS3_PKT0_S9_ifPKiSB_iPKfiiiSD_SD_iiiii.uses_flat_scratch)
	.set _ZN4vllm25paged_attention_v2_kernelIthLi192ELi16ELi128ELNS_18Fp8KVCacheDataTypeE1ELb1ELi512EEEvPfS2_PT_PKS3_PKT0_S9_ifPKiSB_iPKfiiiSD_SD_iiiii.has_dyn_sized_stack, or(0, .L_ZN4vllm22paged_attention_kernelIthLi192ELi16ELi128ELNS_18Fp8KVCacheDataTypeE1ELb1ELi512EEEvPfS2_PT_PKS3_PKT0_S9_ifPKiSB_iPKfiiiSD_SD_iiiii.has_dyn_sized_stack)
	.set _ZN4vllm25paged_attention_v2_kernelIthLi192ELi16ELi128ELNS_18Fp8KVCacheDataTypeE1ELb1ELi512EEEvPfS2_PT_PKS3_PKT0_S9_ifPKiSB_iPKfiiiSD_SD_iiiii.has_recursion, or(0, .L_ZN4vllm22paged_attention_kernelIthLi192ELi16ELi128ELNS_18Fp8KVCacheDataTypeE1ELb1ELi512EEEvPfS2_PT_PKS3_PKT0_S9_ifPKiSB_iPKfiiiSD_SD_iiiii.has_recursion)
	.set _ZN4vllm25paged_attention_v2_kernelIthLi192ELi16ELi128ELNS_18Fp8KVCacheDataTypeE1ELb1ELi512EEEvPfS2_PT_PKS3_PKT0_S9_ifPKiSB_iPKfiiiSD_SD_iiiii.has_indirect_call, or(0, .L_ZN4vllm22paged_attention_kernelIthLi192ELi16ELi128ELNS_18Fp8KVCacheDataTypeE1ELb1ELi512EEEvPfS2_PT_PKS3_PKT0_S9_ifPKiSB_iPKfiiiSD_SD_iiiii.has_indirect_call)
	.section	.AMDGPU.csdata,"",@progbits
; Kernel info:
; codeLenInByte = 292
; TotalNumSgprs: 50
; NumVgprs: 128
; ScratchSize: 344
; MemoryBound: 0
; FloatMode: 240
; IeeeMode: 1
; LDSByteSize: 416 bytes/workgroup (compile time only)
; SGPRBlocks: 0
; VGPRBlocks: 15
; NumSGPRsForWavesPerEU: 50
; NumVGPRsForWavesPerEU: 128
; Occupancy: 8
; WaveLimiterHint : 1
; COMPUTE_PGM_RSRC2:SCRATCH_EN: 1
; COMPUTE_PGM_RSRC2:USER_SGPR: 6
; COMPUTE_PGM_RSRC2:TRAP_HANDLER: 0
; COMPUTE_PGM_RSRC2:TGID_X_EN: 1
; COMPUTE_PGM_RSRC2:TGID_Y_EN: 1
; COMPUTE_PGM_RSRC2:TGID_Z_EN: 1
; COMPUTE_PGM_RSRC2:TIDIG_COMP_CNT: 0
	.text
	.p2align	2                               ; -- Begin function _ZN4vllm22paged_attention_kernelIthLi256ELi16ELi128ELNS_18Fp8KVCacheDataTypeE1ELb1ELi512EEEvPfS2_PT_PKS3_PKT0_S9_ifPKiSB_iPKfiiiSD_SD_iiiii
	.type	_ZN4vllm22paged_attention_kernelIthLi256ELi16ELi128ELNS_18Fp8KVCacheDataTypeE1ELb1ELi512EEEvPfS2_PT_PKS3_PKT0_S9_ifPKiSB_iPKfiiiSD_SD_iiiii,@function
_ZN4vllm22paged_attention_kernelIthLi256ELi16ELi128ELNS_18Fp8KVCacheDataTypeE1ELb1ELi512EEEvPfS2_PT_PKS3_PKT0_S9_ifPKiSB_iPKfiiiSD_SD_iiiii: ; @_ZN4vllm22paged_attention_kernelIthLi256ELi16ELi128ELNS_18Fp8KVCacheDataTypeE1ELb1ELi512EEEvPfS2_PT_PKS3_PKT0_S9_ifPKiSB_iPKfiiiSD_SD_iiiii
; %bb.0:
	s_waitcnt vmcnt(0) expcnt(0) lgkmcnt(0)
	buffer_store_dword v40, off, s[0:3], s32 offset:196 ; 4-byte Folded Spill
	buffer_store_dword v41, off, s[0:3], s32 offset:192 ; 4-byte Folded Spill
	;; [unrolled: 1-line block ×48, first 2 shown]
	s_mov_b32 s18, s13
	s_ashr_i32 s19, s13, 31
	buffer_store_dword v26, off, s[0:3], s32 offset:200 ; 4-byte Folded Spill
	buffer_store_dword v27, off, s[0:3], s32 offset:204 ; 4-byte Folded Spill
	;; [unrolled: 1-line block ×6, first 2 shown]
	s_lshl_b64 s[4:5], s[18:19], 2
	v_mov_b32_e32 v25, v0
	v_add_co_u32 v0, vcc_lo, v16, s4
	v_mov_b32_e32 v24, v1
	v_add_co_ci_u32_e64 v1, null, s5, v17, vcc_lo
	buffer_store_dword v5, off, s[0:3], s32 offset:444 ; 4-byte Folded Spill
	buffer_store_dword v4, off, s[0:3], s32 offset:448 ; 4-byte Folded Spill
	v_mov_b32_e32 v22, v10
	v_mov_b32_e32 v26, v3
	flat_load_dword v38, v[0:1]
	s_clause 0x1
	buffer_load_dword v0, off, s[0:3], s32 offset:4
	buffer_load_dword v1, off, s[0:3], s32
	v_mov_b32_e32 v27, v2
	s_lshl_b32 s22, s14, 9
	s_mov_b32 s19, exec_lo
	s_waitcnt vmcnt(2) lgkmcnt(0)
	v_cmpx_lt_i32_e64 s22, v38
	s_cbranch_execz .LBB288_2168
; %bb.1:
	v_sub_nc_u32_e32 v2, 0, v12
	s_clause 0x1
	s_load_dword s4, s[8:9], 0x10
	s_load_dword s5, s[8:9], 0x0
	s_mov_b32 s16, s15
	v_max_i32_e32 v2, v12, v2
	v_cvt_f32_u32_e32 v3, v2
	v_sub_nc_u32_e32 v4, 0, v2
	v_rcp_iflag_f32_e32 v3, v3
	s_waitcnt lgkmcnt(0)
	s_lshr_b32 s4, s4, 16
	s_cmp_lg_u32 s4, 0
	s_cselect_b32 s4, -1, 0
	v_mul_f32_e32 v3, 0x4f7ffffe, v3
	s_cmp_lg_u32 s4, 0
	s_addc_u32 s15, s5, 0
	s_abs_i32 s5, s12
	v_cvt_u32_f32_e32 v3, v3
	s_abs_i32 s4, s15
	v_mul_lo_u32 v4, v4, v3
	v_mul_hi_u32 v4, v3, v4
	v_add_nc_u32_e32 v3, v3, v4
	v_mul_hi_u32 v3, s4, v3
	v_mul_lo_u32 v4, v3, v2
	v_add_nc_u32_e32 v5, 1, v3
	v_sub_nc_u32_e32 v4, s4, v4
	s_mov_b32 s4, exec_lo
	v_sub_nc_u32_e32 v10, v4, v2
	v_cmp_ge_u32_e32 vcc_lo, v4, v2
	v_cndmask_b32_e32 v3, v3, v5, vcc_lo
	v_cndmask_b32_e32 v4, v4, v10, vcc_lo
	v_xor_b32_e32 v5, s15, v12
	v_add_nc_u32_e32 v10, 1, v3
	v_cmp_ge_u32_e32 vcc_lo, v4, v2
	v_ashrrev_i32_e32 v5, 31, v5
	v_cndmask_b32_e32 v2, v3, v10, vcc_lo
	v_xor_b32_e32 v2, v2, v5
	v_sub_nc_u32_e32 v3, v2, v5
	v_sub_nc_u32_e32 v2, 0, v3
	v_max_i32_e32 v2, v3, v2
	v_cvt_f32_u32_e32 v4, v2
	v_sub_nc_u32_e32 v5, 0, v2
	v_rcp_iflag_f32_e32 v4, v4
	v_mul_f32_e32 v4, 0x4f7ffffe, v4
	v_cvt_u32_f32_e32 v4, v4
	v_mul_lo_u32 v5, v5, v4
	v_mul_hi_u32 v5, v4, v5
	v_add_nc_u32_e32 v4, v4, v5
	v_mad_u64_u32 v[16:17], null, s5, v4, 0
	v_mov_b32_e32 v4, 0
	buffer_store_dword v4, off, s[0:3], s32 offset:420 ; 4-byte Folded Spill
	v_cmpx_ne_u64_e32 0, v[19:20]
	s_cbranch_execz .LBB288_3
; %bb.2:
	s_ashr_i32 s13, s12, 31
	s_lshl_b64 s[6:7], s[12:13], 2
	v_add_co_u32 v4, vcc_lo, v19, s6
	v_add_co_ci_u32_e64 v5, null, s7, v20, vcc_lo
	flat_load_dword v4, v[4:5]
	s_waitcnt vmcnt(0) lgkmcnt(0)
	buffer_store_dword v4, off, s[0:3], s32 offset:420 ; 4-byte Folded Spill
.LBB288_3:
	s_or_b32 exec_lo, exec_lo, s4
	v_and_b32_e32 v19, 0x3ff, v31
	v_bfe_u32 v4, v31, 1, 9
	v_ashrrev_i32_e32 v3, 31, v3
	s_ashr_i32 s6, s12, 31
	s_lshl_b32 s10, s12, 8
	v_cmp_gt_u32_e64 s4, 64, v19
	buffer_store_dword v4, off, s[0:3], s32 offset:452 ; 4-byte Folded Spill
	v_and_b32_e32 v4, 1, v31
	v_lshlrev_b32_e32 v36, 3, v19
	buffer_store_dword v4, off, s[0:3], s32 offset:440 ; 4-byte Folded Spill
	s_and_saveexec_b32 s7, s4
	s_cbranch_execz .LBB288_5
; %bb.4:
	v_mul_lo_u32 v4, v21, s18
	s_ashr_i32 s11, s10, 31
	s_lshl_b64 s[20:21], s[10:11], 1
	v_ashrrev_i32_e32 v5, 31, v4
	v_lshlrev_b64 v[4:5], 1, v[4:5]
	v_add_co_u32 v4, vcc_lo, v6, v4
	v_add_co_ci_u32_e64 v5, null, v7, v5, vcc_lo
	s_clause 0x1
	buffer_load_dword v6, off, s[0:3], s32 offset:452
	buffer_load_dword v7, off, s[0:3], s32 offset:440
	v_add_co_u32 v4, vcc_lo, v4, s20
	v_add_co_ci_u32_e64 v5, null, s21, v5, vcc_lo
	v_add_co_u32 v4, vcc_lo, v4, v36
	v_add_co_ci_u32_e64 v5, null, 0, v5, vcc_lo
	flat_load_dwordx2 v[4:5], v[4:5]
	s_waitcnt vmcnt(2)
	v_lshlrev_b32_e32 v6, 3, v6
	s_waitcnt vmcnt(1)
	v_lshl_add_u32 v6, v7, 8, v6
	s_waitcnt vmcnt(0) lgkmcnt(0)
	ds_write_b64 v6, v[4:5]
.LBB288_5:
	s_or_b32 exec_lo, exec_lo, s7
	s_waitcnt vmcnt(0)
	v_sub_nc_u32_e32 v4, 0, v1
	v_mul_lo_u32 v5, v17, v2
	v_xor_b32_e32 v3, s6, v3
	v_max_i32_e32 v7, v1, v4
	v_sub_nc_u32_e32 v5, s5, v5
	v_cvt_f32_u32_e32 v4, v7
	buffer_store_dword v7, off, s[0:3], s32 offset:224 ; 4-byte Folded Spill
	s_mov_b32 s5, exec_lo
	v_sub_nc_u32_e32 v10, v5, v2
	v_rcp_iflag_f32_e32 v4, v4
	v_cmp_ge_u32_e32 vcc_lo, v5, v2
	v_cndmask_b32_e32 v5, v5, v10, vcc_lo
	v_mul_f32_e32 v4, 0x4f7ffffe, v4
	v_cvt_u32_f32_e32 v6, v4
	v_sub_nc_u32_e32 v4, 0, v7
	v_add_nc_u32_e32 v7, 1, v17
	v_mul_lo_u32 v13, v4, v6
	v_cndmask_b32_e32 v7, v17, v7, vcc_lo
	v_add_nc_u32_e32 v4, -1, v38
	v_cmp_ge_u32_e32 vcc_lo, v5, v2
	v_add_nc_u32_e32 v10, 1, v7
	v_mul_hi_u32 v16, v6, v13
	v_sub_nc_u32_e32 v13, 0, v4
	v_cndmask_b32_e32 v5, v7, v10, vcc_lo
	v_max_i32_e32 v2, v4, v13
	v_add_nc_u32_e32 v6, v6, v16
	v_xor_b32_e32 v5, v5, v3
	v_mad_u64_u32 v[16:17], null, v2, v6, 0
	v_sub_nc_u32_e32 v16, v5, v3
                                        ; implicit-def: $vgpr3
	buffer_store_dword v6, off, s[0:3], s32 offset:244 ; 4-byte Folded Spill
	s_waitcnt lgkmcnt(0)
	s_waitcnt_vscnt null, 0x0
	s_barrier
	buffer_gl0_inv
	buffer_store_dword v3, off, s[0:3], s32 offset:228 ; 4-byte Folded Spill
	buffer_store_dword v4, off, s[0:3], s32 offset:232 ; 4-byte Folded Spill
	v_cmpx_gt_i32_e32 0, v0
	s_xor_b32 s5, exec_lo, s5
	s_cbranch_execz .LBB288_7
; %bb.6:
	v_mad_u64_u32 v[5:6], null, v28, v12, v[16:17]
                                        ; implicit-def: $vgpr28
	v_mul_lo_u32 v0, v5, v0
	v_sub_nc_u32_e32 v0, 1, v0
	buffer_store_dword v0, off, s[0:3], s32 offset:228 ; 4-byte Folded Spill
	buffer_store_dword v1, off, s[0:3], s32 offset:232 ; 4-byte Folded Spill
                                        ; implicit-def: $vgpr0
.LBB288_7:
	s_or_saveexec_b32 s5, s5
	v_ashrrev_i32_e32 v3, 31, v4
	v_ashrrev_i32_e32 v1, 31, v1
	buffer_store_dword v1, off, s[0:3], s32 offset:236 ; 4-byte Folded Spill
	s_xor_b32 exec_lo, exec_lo, s5
	s_cbranch_execz .LBB288_9
; %bb.8:
	v_mad_u64_u32 v[4:5], null, s15, v28, s[12:13]
	v_mad_u64_u32 v[0:1], null, v4, v0, 1
	buffer_store_dword v0, off, s[0:3], s32 offset:228 ; 4-byte Folded Spill
	buffer_store_dword v1, off, s[0:3], s32 offset:232 ; 4-byte Folded Spill
.LBB288_9:
	s_or_b32 exec_lo, exec_lo, s5
	buffer_load_dword v7, off, s[0:3], s32 offset:224 ; 4-byte Folded Reload
	s_clause 0x1
	s_load_dword s13, s[8:9], 0x14
	s_load_dword s9, s[8:9], 0x8
	buffer_load_dword v10, off, s[0:3], s32 offset:236 ; 4-byte Folded Reload
	v_add_nc_u32_e32 v1, 15, v38
	v_add_nc_u32_e32 v4, 1, v17
	s_lshl_b32 s11, s14, 5
	v_mul_lo_u32 v13, v16, v23
	s_add_i32 s5, s11, 32
	v_ashrrev_i32_e32 v5, 31, v1
	v_mov_b32_e32 v12, 0xff7fffff
	v_lshrrev_b32_e32 v5, 28, v5
	v_ashrrev_i32_e32 v37, 31, v13
	v_add_nc_u32_e32 v1, v1, v5
	s_waitcnt vmcnt(1)
	v_mul_lo_u32 v0, v17, v7
	s_waitcnt vmcnt(0)
	v_xor_b32_e32 v3, v3, v10
	v_lshrrev_b32_e32 v10, 5, v19
	buffer_store_dword v10, off, s[0:3], s32 offset:436 ; 4-byte Folded Spill
	v_sub_nc_u32_e32 v2, v2, v0
	v_mul_lo_u32 v0, v18, s18
	v_sub_nc_u32_e32 v18, 0, v30
	v_lshl_add_u32 v66, v10, 4, s22
	v_sub_nc_u32_e32 v6, v2, v7
	v_cmp_ge_u32_e32 vcc_lo, v2, v7
	v_cndmask_b32_e32 v4, v17, v4, vcc_lo
	v_cndmask_b32_e32 v2, v2, v6, vcc_lo
	v_ashrrev_i32_e32 v17, 4, v1
	v_ashrrev_i32_e32 v1, 31, v0
	v_add_nc_u32_e32 v6, 1, v4
	v_cmp_ge_u32_e32 vcc_lo, v2, v7
	v_lshlrev_b64 v[48:49], 2, v[0:1]
	v_cndmask_b32_e32 v2, v4, v6, vcc_lo
	v_or_b32_e32 v4, s11, v10
	v_min_i32_e32 v6, s5, v17
	v_xor_b32_e32 v2, v2, v3
	v_ashrrev_i32_e32 v5, 31, v4
	buffer_store_dword v4, off, s[0:3], s32 offset:216 ; 4-byte Folded Spill
	buffer_store_dword v5, off, s[0:3], s32 offset:220 ; 4-byte Folded Spill
	;; [unrolled: 1-line block ×3, first 2 shown]
	v_sub_nc_u32_e32 v2, v2, v3
	v_sub_nc_u32_e32 v0, v2, v29
	buffer_store_dword v0, off, s[0:3], s32 offset:248 ; 4-byte Folded Spill
	v_cmp_lt_i32_e64 s5, v4, v6
	s_mov_b32 s23, exec_lo
	s_and_b32 s6, s23, s5
	buffer_store_dword v19, off, s[0:3], s32 offset:432 ; 4-byte Folded Spill
	s_mov_b32 exec_lo, s6
	s_cbranch_execz .LBB288_1045
; %bb.10:
	v_max_i32_e32 v5, v30, v18
	buffer_store_dword v17, off, s[0:3], s32 offset:508 ; 4-byte Folded Spill
	buffer_store_dword v36, off, s[0:3], s32 offset:492 ; 4-byte Folded Spill
	;; [unrolled: 1-line block ×10, first 2 shown]
	buffer_load_dword v1, off, s[0:3], s32 offset:440 ; 4-byte Folded Reload
	buffer_store_dword v13, off, s[0:3], s32 offset:504 ; 4-byte Folded Spill
	buffer_store_dword v37, off, s[0:3], s32 offset:516 ; 4-byte Folded Spill
	v_cvt_f32_u32_e32 v0, v5
	v_add_co_u32 v3, s6, v8, v13
	v_add_co_ci_u32_e64 v4, null, v9, v37, s6
	v_rcp_iflag_f32_e32 v2, v0
	s_clause 0x2
	buffer_load_dword v0, off, s[0:3], s32 offset:420
	buffer_load_dword v11, off, s[0:3], s32 offset:216
	;; [unrolled: 1-line block ×3, first 2 shown]
	v_bfe_u32 v16, v19, 1, 4
	buffer_load_dword v10, off, s[0:3], s32 offset:436 ; 4-byte Folded Reload
	buffer_store_dword v5, off, s[0:3], s32 offset:324 ; 4-byte Folded Spill
	v_sub_nc_u32_e32 v5, 0, v5
	s_ashr_i32 s17, s16, 31
	buffer_store_dword v16, off, s[0:3], s32 offset:424 ; 4-byte Folded Spill
	s_getpc_b64 s[20:21]
	s_add_u32 s20, s20, llvm.amdgcn.dynlds.offset.table@rel32@lo+4
	s_addc_u32 s21, s21, llvm.amdgcn.dynlds.offset.table@rel32@hi+12
	v_mul_f32_e32 v2, 0x4f7ffffe, v2
	s_lshl_b64 s[24:25], s[16:17], 2
	v_lshlrev_b32_e32 v6, 4, v16
	s_add_u32 s20, s20, s24
	s_addc_u32 s21, s21, s25
	v_cvt_u32_f32_e32 v2, v2
	v_sub_nc_u32_e32 v9, v16, v38
	v_mov_b32_e32 v8, 0
	v_mov_b32_e32 v81, 0x80
	s_mov_b32 s24, 0
	v_mul_lo_u32 v5, v5, v2
	v_mul_hi_u32 v5, v2, v5
	s_waitcnt vmcnt(4)
	v_lshlrev_b32_e32 v7, 2, v1
	v_cmp_eq_u32_e32 vcc_lo, 0, v1
	v_lshlrev_b32_e32 v70, 8, v1
	buffer_store_dword v7, off, s[0:3], s32 offset:208 ; 4-byte Folded Spill
	v_or_b32_e32 v7, 8, v7
	s_waitcnt vmcnt(2)
	v_mov_b32_e32 v30, v11
	v_cmp_neq_f32_e64 s6, 0, v0
	s_waitcnt vmcnt(1)
	v_lshlrev_b64 v[0:1], 2, v[11:12]
	buffer_store_dword v7, off, s[0:3], s32 offset:212 ; 4-byte Folded Spill
	v_lshlrev_b32_e32 v7, 2, v16
	s_waitcnt vmcnt(0)
	v_lshl_add_u32 v71, v10, 4, s22
	v_add_co_u32 v0, s7, v48, v0
	buffer_store_dword v48, off, s[0:3], s32 offset:496 ; 4-byte Folded Spill
	buffer_store_dword v49, off, s[0:3], s32 offset:500 ; 4-byte Folded Spill
	s_load_dword s17, s[20:21], 0x0
	v_lshl_or_b32 v84, v10, 6, v7
	v_add_co_ci_u32_e64 v1, null, v49, v1, s7
	v_add_co_u32 v3, s7, v3, v6
	v_add_co_ci_u32_e64 v4, null, 0, v4, s7
	buffer_store_dword v3, off, s[0:3], s32 offset:408 ; 4-byte Folded Spill
	buffer_store_dword v4, off, s[0:3], s32 offset:412 ; 4-byte Folded Spill
	v_add_nc_u32_e32 v3, 1, v9
	v_add_co_u32 v28, s7, v14, v0
	v_add_nc_u32_e32 v0, v2, v5
	buffer_store_dword v3, off, s[0:3], s32 offset:428 ; 4-byte Folded Spill
	buffer_store_dword v14, off, s[0:3], s32 offset:460 ; 4-byte Folded Spill
	v_add_co_ci_u32_e64 v29, null, v15, v1, s7
	buffer_store_dword v0, off, s[0:3], s32 offset:328 ; 4-byte Folded Spill
	v_mov_b32_e32 v0, 0xff7fffff
	buffer_store_dword v15, off, s[0:3], s32 offset:456 ; 4-byte Folded Spill
	buffer_store_dword v0, off, s[0:3], s32 offset:404 ; 4-byte Folded Spill
	s_branch .LBB288_13
.LBB288_11:                             ;   in Loop: Header=BB288_13 Depth=1
	s_or_b32 exec_lo, exec_lo, s25
.LBB288_12:                             ;   in Loop: Header=BB288_13 Depth=1
	s_or_b32 exec_lo, exec_lo, s8
	buffer_load_dword v0, off, s[0:3], s32 offset:240 ; 4-byte Folded Reload
	v_add_nc_u32_e32 v30, 4, v30
	v_add_co_u32 v28, s8, v28, 16
	v_add_co_ci_u32_e64 v29, null, 0, v29, s8
	v_add_nc_u32_e32 v71, 64, v71
	v_add_nc_u32_e32 v84, 0x100, v84
	s_waitcnt vmcnt(0)
	v_cmp_ge_i32_e64 s7, v30, v0
	s_or_b32 s24, s7, s24
	s_andn2_b32 exec_lo, exec_lo, s24
	s_cbranch_execz .LBB288_1044
.LBB288_13:                             ; =>This Inner Loop Header: Depth=1
	s_waitcnt lgkmcnt(0)
	s_clause 0x2
	buffer_load_dword v1, off, s[0:3], s32 offset:244
	buffer_load_dword v4, off, s[0:3], s32 offset:224
	;; [unrolled: 1-line block ×3, first 2 shown]
	v_sub_nc_u32_e32 v0, 0, v71
	v_max_i32_e32 v0, v71, v0
	s_waitcnt vmcnt(2)
	v_mul_hi_u32 v1, v0, v1
	s_waitcnt vmcnt(1)
	v_mul_lo_u32 v2, v1, v4
	v_sub_nc_u32_e32 v0, v0, v2
	v_add_nc_u32_e32 v2, 1, v1
	v_sub_nc_u32_e32 v3, v0, v4
	v_cmp_ge_u32_e64 s7, v0, v4
	v_cndmask_b32_e64 v1, v1, v2, s7
	v_cndmask_b32_e64 v0, v0, v3, s7
	v_ashrrev_i32_e32 v2, 31, v71
	v_add_nc_u32_e32 v3, 1, v1
	v_cmp_ge_u32_e64 s7, v0, v4
	s_waitcnt vmcnt(0)
	v_xor_b32_e32 v2, v2, v5
	v_cndmask_b32_e64 v0, v1, v3, s7
	v_xor_b32_e32 v0, v0, v2
	v_sub_nc_u32_e32 v0, v0, v2
	s_clause 0x3
	buffer_load_dword v1, off, s[0:3], s32 offset:228
	buffer_load_dword v2, off, s[0:3], s32 offset:232
	;; [unrolled: 1-line block ×4, first 2 shown]
	s_waitcnt vmcnt(3)
	v_add_nc_u32_e32 v1, v0, v1
	s_waitcnt vmcnt(2)
	v_sub_nc_u32_e32 v2, 0, v1
	v_max_i32_e32 v2, v1, v2
	v_ashrrev_i32_e32 v1, 31, v1
	s_waitcnt vmcnt(1)
	v_mul_hi_u32 v3, v2, v3
	s_waitcnt vmcnt(0)
	v_mul_lo_u32 v3, v3, v4
	v_sub_nc_u32_e32 v2, v2, v3
	v_sub_nc_u32_e32 v3, v2, v4
	v_cmp_ge_u32_e64 s7, v2, v4
	v_cndmask_b32_e64 v2, v2, v3, s7
	v_sub_nc_u32_e32 v3, v2, v4
	v_cmp_ge_u32_e64 s7, v2, v4
	v_cndmask_b32_e64 v2, v2, v3, s7
	v_xor_b32_e32 v2, v2, v1
	v_sub_nc_u32_e32 v1, v2, v1
	v_cmp_ne_u32_e64 s7, 0, v1
	buffer_load_dword v1, off, s[0:3], s32 offset:248 ; 4-byte Folded Reload
	s_waitcnt vmcnt(0)
	v_cmp_le_i32_e64 s8, v0, v1
	s_and_b32 s7, s7, s8
	s_and_saveexec_b32 s8, s7
	s_xor_b32 s7, exec_lo, s8
	s_cbranch_execz .LBB288_17
; %bb.14:                               ;   in Loop: Header=BB288_13 Depth=1
	s_and_saveexec_b32 s8, vcc_lo
	s_cbranch_execz .LBB288_16
; %bb.15:                               ;   in Loop: Header=BB288_13 Depth=1
	s_waitcnt lgkmcnt(0)
	v_add_nc_u32_e32 v0, s17, v84
	v_mov_b32_e32 v1, 0xff7fffff
	ds_write_b32 v0, v1
.LBB288_16:                             ;   in Loop: Header=BB288_13 Depth=1
	s_or_b32 exec_lo, exec_lo, s8
.LBB288_17:                             ;   in Loop: Header=BB288_13 Depth=1
	s_andn2_saveexec_b32 s8, s7
	s_cbranch_execz .LBB288_12
; %bb.18:                               ;   in Loop: Header=BB288_13 Depth=1
	flat_load_dword v0, v[28:29]
	s_clause 0x2
	buffer_load_dword v1, off, s[0:3], s32 offset:320
	buffer_load_dword v2, off, s[0:3], s32 offset:408
	;; [unrolled: 1-line block ×3, first 2 shown]
	v_mov_b32_e32 v27, 0
	s_waitcnt vmcnt(0) lgkmcnt(0)
	v_mad_i64_i32 v[31:32], null, v0, v1, v[2:3]
	buffer_load_dword v0, off, s[0:3], s32 offset:208 ; 4-byte Folded Reload
	s_waitcnt vmcnt(0)
	v_add_co_u32 v33, s7, v31, v0
	v_add_co_ci_u32_e64 v34, null, 0, v32, s7
	flat_load_dword v9, v[33:34]
	s_clause 0x1
	buffer_load_dword v0, off, s[0:3], s32 offset:396
	buffer_load_dword v1, off, s[0:3], s32 offset:400
	s_waitcnt vmcnt(2) lgkmcnt(0)
	v_cmp_ne_u16_sdwa s7, v9, v8 src0_sel:BYTE_0 src1_sel:DWORD
	s_waitcnt vmcnt(0)
	flat_load_dword v98, v[0:1]
	v_mov_b32_e32 v0, 0
	buffer_store_dword v0, off, s[0:3], s32 offset:256 ; 4-byte Folded Spill
	s_and_saveexec_b32 s25, s7
	s_cbranch_execz .LBB288_26
; %bb.19:                               ;   in Loop: Header=BB288_13 Depth=1
	v_cmp_ne_u16_sdwa s7, v9, v81 src0_sel:BYTE_0 src1_sel:DWORD
	v_mov_b32_e32 v0, 0x8000
	buffer_store_dword v0, off, s[0:3], s32 offset:256 ; 4-byte Folded Spill
	s_and_saveexec_b32 s26, s7
	s_cbranch_execz .LBB288_25
; %bb.20:                               ;   in Loop: Header=BB288_13 Depth=1
	v_and_b32_e32 v2, 0x7f, v9
	v_mov_b32_e32 v0, 0x7c01
	s_mov_b32 s27, exec_lo
	buffer_store_dword v0, off, s[0:3], s32 offset:256 ; 4-byte Folded Spill
	v_cmpx_ne_u32_e32 0x7f, v2
	s_cbranch_execz .LBB288_24
; %bb.21:                               ;   in Loop: Header=BB288_13 Depth=1
	v_and_b32_e32 v0, 7, v9
	v_lshrrev_b32_e32 v1, 3, v2
	s_mov_b32 s28, exec_lo
	v_cmpx_gt_u32_e32 8, v2
; %bb.22:                               ;   in Loop: Header=BB288_13 Depth=1
	v_ffbh_u32_e32 v0, v0
	v_min_u32_e32 v2, 32, v0
	v_subrev_nc_u32_e32 v0, 28, v2
	v_lshlrev_b64 v[0:1], v0, v[9:10]
	v_sub_nc_u32_e32 v1, 29, v2
	v_and_b32_e32 v0, 7, v0
; %bb.23:                               ;   in Loop: Header=BB288_13 Depth=1
	s_or_b32 exec_lo, exec_lo, s28
	v_lshlrev_b32_e32 v2, 8, v9
	v_lshl_add_u32 v1, v1, 10, 0x2000
	v_lshlrev_b32_e32 v0, 7, v0
	v_and_b32_e32 v2, 0x8000, v2
	v_and_b32_e32 v1, 0xfc00, v1
	v_or3_b32 v0, v2, v1, v0
	buffer_store_dword v0, off, s[0:3], s32 offset:256 ; 4-byte Folded Spill
.LBB288_24:                             ;   in Loop: Header=BB288_13 Depth=1
	s_or_b32 exec_lo, exec_lo, s27
.LBB288_25:                             ;   in Loop: Header=BB288_13 Depth=1
	s_or_b32 exec_lo, exec_lo, s26
.LBB288_26:                             ;   in Loop: Header=BB288_13 Depth=1
	s_or_b32 exec_lo, exec_lo, s25
	v_lshrrev_b16 v7, 8, v9
	s_mov_b32 s25, exec_lo
	v_cmpx_ne_u16_e32 0, v7
	s_cbranch_execz .LBB288_34
; %bb.27:                               ;   in Loop: Header=BB288_13 Depth=1
	v_bfrev_b32_e32 v27, 1
	s_mov_b32 s26, exec_lo
	v_cmpx_ne_u16_e32 0x80, v7
	s_cbranch_execz .LBB288_33
; %bb.28:                               ;   in Loop: Header=BB288_13 Depth=1
	v_mov_b32_e32 v0, 0x7f
	v_mov_b32_e32 v27, 0x7c010000
	s_mov_b32 s27, exec_lo
	v_and_b32_sdwa v2, v7, v0 dst_sel:DWORD dst_unused:UNUSED_PAD src0_sel:WORD_0 src1_sel:DWORD
	v_cmpx_ne_u32_e32 0x7f, v2
	s_cbranch_execz .LBB288_32
; %bb.29:                               ;   in Loop: Header=BB288_13 Depth=1
	v_mov_b32_e32 v0, 7
	v_lshrrev_b32_e32 v1, 3, v2
	s_mov_b32 s28, exec_lo
	v_and_b32_sdwa v0, v7, v0 dst_sel:DWORD dst_unused:UNUSED_PAD src0_sel:WORD_0 src1_sel:DWORD
	v_cmpx_gt_u32_e32 8, v2
; %bb.30:                               ;   in Loop: Header=BB288_13 Depth=1
	v_ffbh_u32_e32 v0, v0
	v_min_u32_e32 v2, 32, v0
	v_subrev_nc_u32_e32 v0, 28, v2
	v_lshlrev_b64 v[0:1], v0, v[7:8]
	v_sub_nc_u32_e32 v1, 29, v2
	v_and_b32_e32 v0, 7, v0
; %bb.31:                               ;   in Loop: Header=BB288_13 Depth=1
	s_or_b32 exec_lo, exec_lo, s28
	v_mov_b32_e32 v2, 8
	v_lshl_add_u32 v1, v1, 10, 0x2000
	v_lshlrev_b32_e32 v0, 23, v0
	v_lshlrev_b32_sdwa v2, v2, v7 dst_sel:DWORD dst_unused:UNUSED_PAD src0_sel:DWORD src1_sel:WORD_0
	v_and_or_b32 v1, 0x8000, v2, v1
	v_lshl_or_b32 v27, v1, 16, v0
.LBB288_32:                             ;   in Loop: Header=BB288_13 Depth=1
	s_or_b32 exec_lo, exec_lo, s27
.LBB288_33:                             ;   in Loop: Header=BB288_13 Depth=1
	s_or_b32 exec_lo, exec_lo, s26
.LBB288_34:                             ;   in Loop: Header=BB288_13 Depth=1
	s_or_b32 exec_lo, exec_lo, s25
	v_lshrrev_b32_e32 v7, 16, v9
	v_mov_b32_e32 v41, 0
	v_mov_b32_e32 v0, 0
	v_cmp_ne_u16_sdwa s7, v7, v8 src0_sel:BYTE_0 src1_sel:DWORD
	buffer_store_dword v0, off, s[0:3], s32 offset:252 ; 4-byte Folded Spill
	s_and_saveexec_b32 s25, s7
	s_cbranch_execz .LBB288_42
; %bb.35:                               ;   in Loop: Header=BB288_13 Depth=1
	v_cmp_ne_u16_sdwa s7, v7, v81 src0_sel:BYTE_0 src1_sel:DWORD
	v_mov_b32_e32 v0, 0x8000
	buffer_store_dword v0, off, s[0:3], s32 offset:252 ; 4-byte Folded Spill
	s_and_saveexec_b32 s26, s7
	s_cbranch_execz .LBB288_41
; %bb.36:                               ;   in Loop: Header=BB288_13 Depth=1
	v_bfe_u32 v2, v9, 16, 7
	v_mov_b32_e32 v0, 0x7c01
	s_mov_b32 s27, exec_lo
	buffer_store_dword v0, off, s[0:3], s32 offset:252 ; 4-byte Folded Spill
	v_cmpx_ne_u32_e32 0x7f, v2
	s_cbranch_execz .LBB288_40
; %bb.37:                               ;   in Loop: Header=BB288_13 Depth=1
	v_and_b32_e32 v0, 7, v7
	v_lshrrev_b32_e32 v1, 3, v2
	s_mov_b32 s28, exec_lo
	v_cmpx_gt_u32_e32 8, v2
; %bb.38:                               ;   in Loop: Header=BB288_13 Depth=1
	v_ffbh_u32_e32 v0, v0
	v_min_u32_e32 v2, 32, v0
	v_subrev_nc_u32_e32 v0, 28, v2
	v_lshlrev_b64 v[0:1], v0, v[7:8]
	v_sub_nc_u32_e32 v1, 29, v2
	v_and_b32_e32 v0, 7, v0
; %bb.39:                               ;   in Loop: Header=BB288_13 Depth=1
	s_or_b32 exec_lo, exec_lo, s28
	v_lshlrev_b32_e32 v2, 8, v7
	v_lshl_add_u32 v1, v1, 10, 0x2000
	v_lshlrev_b32_e32 v0, 7, v0
	v_and_b32_e32 v2, 0x8000, v2
	v_and_b32_e32 v1, 0xfc00, v1
	v_or3_b32 v0, v2, v1, v0
	buffer_store_dword v0, off, s[0:3], s32 offset:252 ; 4-byte Folded Spill
.LBB288_40:                             ;   in Loop: Header=BB288_13 Depth=1
	s_or_b32 exec_lo, exec_lo, s27
.LBB288_41:                             ;   in Loop: Header=BB288_13 Depth=1
	s_or_b32 exec_lo, exec_lo, s26
.LBB288_42:                             ;   in Loop: Header=BB288_13 Depth=1
	s_or_b32 exec_lo, exec_lo, s25
	s_mov_b32 s25, exec_lo
	v_cmpx_lt_u32_e32 0xffffff, v9
	s_cbranch_execz .LBB288_50
; %bb.43:                               ;   in Loop: Header=BB288_13 Depth=1
	v_lshrrev_b32_e32 v7, 24, v9
	v_bfrev_b32_e32 v41, 1
	s_mov_b32 s26, exec_lo
	v_cmpx_ne_u32_e32 0x80, v7
	s_cbranch_execz .LBB288_49
; %bb.44:                               ;   in Loop: Header=BB288_13 Depth=1
	v_and_b32_e32 v2, 0x7f, v7
	v_mov_b32_e32 v41, 0x7c010000
	s_mov_b32 s27, exec_lo
	v_cmpx_ne_u32_e32 0x7f, v2
	s_cbranch_execz .LBB288_48
; %bb.45:                               ;   in Loop: Header=BB288_13 Depth=1
	v_and_b32_e32 v0, 7, v7
	v_lshrrev_b32_e32 v1, 3, v2
	s_mov_b32 s28, exec_lo
	v_cmpx_gt_u32_e32 8, v2
; %bb.46:                               ;   in Loop: Header=BB288_13 Depth=1
	v_ffbh_u32_e32 v0, v0
	v_min_u32_e32 v2, 32, v0
	v_subrev_nc_u32_e32 v0, 28, v2
	v_lshlrev_b64 v[0:1], v0, v[7:8]
	v_sub_nc_u32_e32 v1, 29, v2
	v_and_b32_e32 v0, 7, v0
; %bb.47:                               ;   in Loop: Header=BB288_13 Depth=1
	s_or_b32 exec_lo, exec_lo, s28
	v_lshlrev_b32_e32 v2, 8, v7
	v_lshl_add_u32 v1, v1, 10, 0x2000
	v_lshlrev_b32_e32 v0, 23, v0
	v_and_or_b32 v1, 0x8000, v2, v1
	v_lshl_or_b32 v41, v1, 16, v0
.LBB288_48:                             ;   in Loop: Header=BB288_13 Depth=1
	s_or_b32 exec_lo, exec_lo, s27
.LBB288_49:                             ;   in Loop: Header=BB288_13 Depth=1
	s_or_b32 exec_lo, exec_lo, s26
.LBB288_50:                             ;   in Loop: Header=BB288_13 Depth=1
	s_or_b32 exec_lo, exec_lo, s25
	flat_load_dword v9, v[33:34] offset:8
	v_mov_b32_e32 v0, 0
	buffer_store_dword v0, off, s[0:3], s32 offset:272 ; 4-byte Folded Spill
	v_mov_b32_e32 v0, 0
	buffer_store_dword v0, off, s[0:3], s32 offset:260 ; 4-byte Folded Spill
	s_waitcnt vmcnt(0) lgkmcnt(0)
	v_cmp_ne_u16_sdwa s7, v9, v8 src0_sel:BYTE_0 src1_sel:DWORD
	s_and_saveexec_b32 s25, s7
	s_cbranch_execz .LBB288_58
; %bb.51:                               ;   in Loop: Header=BB288_13 Depth=1
	v_cmp_ne_u16_sdwa s7, v9, v81 src0_sel:BYTE_0 src1_sel:DWORD
	v_mov_b32_e32 v0, 0x8000
	buffer_store_dword v0, off, s[0:3], s32 offset:260 ; 4-byte Folded Spill
	s_and_saveexec_b32 s26, s7
	s_cbranch_execz .LBB288_57
; %bb.52:                               ;   in Loop: Header=BB288_13 Depth=1
	v_and_b32_e32 v2, 0x7f, v9
	v_mov_b32_e32 v0, 0x7c01
	s_mov_b32 s27, exec_lo
	buffer_store_dword v0, off, s[0:3], s32 offset:260 ; 4-byte Folded Spill
	v_cmpx_ne_u32_e32 0x7f, v2
	s_cbranch_execz .LBB288_56
; %bb.53:                               ;   in Loop: Header=BB288_13 Depth=1
	v_and_b32_e32 v0, 7, v9
	v_lshrrev_b32_e32 v1, 3, v2
	s_mov_b32 s28, exec_lo
	v_cmpx_gt_u32_e32 8, v2
; %bb.54:                               ;   in Loop: Header=BB288_13 Depth=1
	v_ffbh_u32_e32 v0, v0
	v_min_u32_e32 v2, 32, v0
	v_subrev_nc_u32_e32 v0, 28, v2
	v_lshlrev_b64 v[0:1], v0, v[9:10]
	v_sub_nc_u32_e32 v1, 29, v2
	v_and_b32_e32 v0, 7, v0
; %bb.55:                               ;   in Loop: Header=BB288_13 Depth=1
	s_or_b32 exec_lo, exec_lo, s28
	v_lshlrev_b32_e32 v2, 8, v9
	v_lshl_add_u32 v1, v1, 10, 0x2000
	v_lshlrev_b32_e32 v0, 7, v0
	v_and_b32_e32 v2, 0x8000, v2
	v_and_b32_e32 v1, 0xfc00, v1
	v_or3_b32 v0, v2, v1, v0
	buffer_store_dword v0, off, s[0:3], s32 offset:260 ; 4-byte Folded Spill
.LBB288_56:                             ;   in Loop: Header=BB288_13 Depth=1
	s_or_b32 exec_lo, exec_lo, s27
.LBB288_57:                             ;   in Loop: Header=BB288_13 Depth=1
	s_or_b32 exec_lo, exec_lo, s26
.LBB288_58:                             ;   in Loop: Header=BB288_13 Depth=1
	s_or_b32 exec_lo, exec_lo, s25
	v_lshrrev_b16 v7, 8, v9
	s_mov_b32 s25, exec_lo
	v_cmpx_ne_u16_e32 0, v7
	s_cbranch_execz .LBB288_66
; %bb.59:                               ;   in Loop: Header=BB288_13 Depth=1
	v_bfrev_b32_e32 v0, 1
	s_mov_b32 s26, exec_lo
	buffer_store_dword v0, off, s[0:3], s32 offset:272 ; 4-byte Folded Spill
	v_cmpx_ne_u16_e32 0x80, v7
	s_cbranch_execz .LBB288_65
; %bb.60:                               ;   in Loop: Header=BB288_13 Depth=1
	v_mov_b32_e32 v0, 0x7f
	s_mov_b32 s27, exec_lo
	v_and_b32_sdwa v2, v7, v0 dst_sel:DWORD dst_unused:UNUSED_PAD src0_sel:WORD_0 src1_sel:DWORD
	v_mov_b32_e32 v0, 0x7c010000
	buffer_store_dword v0, off, s[0:3], s32 offset:272 ; 4-byte Folded Spill
	v_cmpx_ne_u32_e32 0x7f, v2
	s_cbranch_execz .LBB288_64
; %bb.61:                               ;   in Loop: Header=BB288_13 Depth=1
	v_mov_b32_e32 v0, 7
	v_lshrrev_b32_e32 v1, 3, v2
	s_mov_b32 s28, exec_lo
	v_and_b32_sdwa v0, v7, v0 dst_sel:DWORD dst_unused:UNUSED_PAD src0_sel:WORD_0 src1_sel:DWORD
	v_cmpx_gt_u32_e32 8, v2
; %bb.62:                               ;   in Loop: Header=BB288_13 Depth=1
	v_ffbh_u32_e32 v0, v0
	v_min_u32_e32 v2, 32, v0
	v_subrev_nc_u32_e32 v0, 28, v2
	v_lshlrev_b64 v[0:1], v0, v[7:8]
	v_sub_nc_u32_e32 v1, 29, v2
	v_and_b32_e32 v0, 7, v0
; %bb.63:                               ;   in Loop: Header=BB288_13 Depth=1
	s_or_b32 exec_lo, exec_lo, s28
	v_mov_b32_e32 v2, 8
	v_lshl_add_u32 v1, v1, 10, 0x2000
	v_lshlrev_b32_e32 v0, 23, v0
	v_lshlrev_b32_sdwa v2, v2, v7 dst_sel:DWORD dst_unused:UNUSED_PAD src0_sel:DWORD src1_sel:WORD_0
	v_and_or_b32 v1, 0x8000, v2, v1
	v_lshl_or_b32 v0, v1, 16, v0
	buffer_store_dword v0, off, s[0:3], s32 offset:272 ; 4-byte Folded Spill
.LBB288_64:                             ;   in Loop: Header=BB288_13 Depth=1
	s_or_b32 exec_lo, exec_lo, s27
.LBB288_65:                             ;   in Loop: Header=BB288_13 Depth=1
	s_or_b32 exec_lo, exec_lo, s26
.LBB288_66:                             ;   in Loop: Header=BB288_13 Depth=1
	s_or_b32 exec_lo, exec_lo, s25
	v_lshrrev_b32_e32 v7, 16, v9
	v_mov_b32_e32 v0, 0
	v_cmp_ne_u16_sdwa s7, v7, v8 src0_sel:BYTE_0 src1_sel:DWORD
	buffer_store_dword v0, off, s[0:3], s32 offset:264 ; 4-byte Folded Spill
	v_mov_b32_e32 v0, 0
	buffer_store_dword v0, off, s[0:3], s32 offset:268 ; 4-byte Folded Spill
	s_and_saveexec_b32 s25, s7
	s_cbranch_execz .LBB288_74
; %bb.67:                               ;   in Loop: Header=BB288_13 Depth=1
	v_cmp_ne_u16_sdwa s7, v7, v81 src0_sel:BYTE_0 src1_sel:DWORD
	v_mov_b32_e32 v0, 0x8000
	buffer_store_dword v0, off, s[0:3], s32 offset:268 ; 4-byte Folded Spill
	s_and_saveexec_b32 s26, s7
	s_cbranch_execz .LBB288_73
; %bb.68:                               ;   in Loop: Header=BB288_13 Depth=1
	v_bfe_u32 v2, v9, 16, 7
	v_mov_b32_e32 v0, 0x7c01
	s_mov_b32 s27, exec_lo
	buffer_store_dword v0, off, s[0:3], s32 offset:268 ; 4-byte Folded Spill
	v_cmpx_ne_u32_e32 0x7f, v2
	s_cbranch_execz .LBB288_72
; %bb.69:                               ;   in Loop: Header=BB288_13 Depth=1
	v_and_b32_e32 v0, 7, v7
	v_lshrrev_b32_e32 v1, 3, v2
	s_mov_b32 s28, exec_lo
	v_cmpx_gt_u32_e32 8, v2
; %bb.70:                               ;   in Loop: Header=BB288_13 Depth=1
	v_ffbh_u32_e32 v0, v0
	v_min_u32_e32 v2, 32, v0
	v_subrev_nc_u32_e32 v0, 28, v2
	v_lshlrev_b64 v[0:1], v0, v[7:8]
	v_sub_nc_u32_e32 v1, 29, v2
	v_and_b32_e32 v0, 7, v0
; %bb.71:                               ;   in Loop: Header=BB288_13 Depth=1
	s_or_b32 exec_lo, exec_lo, s28
	v_lshlrev_b32_e32 v2, 8, v7
	v_lshl_add_u32 v1, v1, 10, 0x2000
	v_lshlrev_b32_e32 v0, 7, v0
	v_and_b32_e32 v2, 0x8000, v2
	v_and_b32_e32 v1, 0xfc00, v1
	v_or3_b32 v0, v2, v1, v0
	buffer_store_dword v0, off, s[0:3], s32 offset:268 ; 4-byte Folded Spill
.LBB288_72:                             ;   in Loop: Header=BB288_13 Depth=1
	s_or_b32 exec_lo, exec_lo, s27
.LBB288_73:                             ;   in Loop: Header=BB288_13 Depth=1
	s_or_b32 exec_lo, exec_lo, s26
.LBB288_74:                             ;   in Loop: Header=BB288_13 Depth=1
	s_or_b32 exec_lo, exec_lo, s25
	s_mov_b32 s25, exec_lo
	v_cmpx_lt_u32_e32 0xffffff, v9
	s_cbranch_execz .LBB288_82
; %bb.75:                               ;   in Loop: Header=BB288_13 Depth=1
	v_lshrrev_b32_e32 v7, 24, v9
	v_bfrev_b32_e32 v0, 1
	s_mov_b32 s26, exec_lo
	buffer_store_dword v0, off, s[0:3], s32 offset:264 ; 4-byte Folded Spill
	v_cmpx_ne_u32_e32 0x80, v7
	s_cbranch_execz .LBB288_81
; %bb.76:                               ;   in Loop: Header=BB288_13 Depth=1
	v_and_b32_e32 v2, 0x7f, v7
	v_mov_b32_e32 v0, 0x7c010000
	s_mov_b32 s27, exec_lo
	buffer_store_dword v0, off, s[0:3], s32 offset:264 ; 4-byte Folded Spill
	v_cmpx_ne_u32_e32 0x7f, v2
	s_cbranch_execz .LBB288_80
; %bb.77:                               ;   in Loop: Header=BB288_13 Depth=1
	v_and_b32_e32 v0, 7, v7
	v_lshrrev_b32_e32 v1, 3, v2
	s_mov_b32 s28, exec_lo
	v_cmpx_gt_u32_e32 8, v2
; %bb.78:                               ;   in Loop: Header=BB288_13 Depth=1
	v_ffbh_u32_e32 v0, v0
	v_min_u32_e32 v2, 32, v0
	v_subrev_nc_u32_e32 v0, 28, v2
	v_lshlrev_b64 v[0:1], v0, v[7:8]
	v_sub_nc_u32_e32 v1, 29, v2
	v_and_b32_e32 v0, 7, v0
; %bb.79:                               ;   in Loop: Header=BB288_13 Depth=1
	s_or_b32 exec_lo, exec_lo, s28
	v_lshlrev_b32_e32 v2, 8, v7
	v_lshl_add_u32 v1, v1, 10, 0x2000
	v_lshlrev_b32_e32 v0, 23, v0
	v_and_or_b32 v1, 0x8000, v2, v1
	v_lshl_or_b32 v0, v1, 16, v0
	buffer_store_dword v0, off, s[0:3], s32 offset:264 ; 4-byte Folded Spill
.LBB288_80:                             ;   in Loop: Header=BB288_13 Depth=1
	s_or_b32 exec_lo, exec_lo, s27
.LBB288_81:                             ;   in Loop: Header=BB288_13 Depth=1
	s_or_b32 exec_lo, exec_lo, s26
.LBB288_82:                             ;   in Loop: Header=BB288_13 Depth=1
	s_or_b32 exec_lo, exec_lo, s25
	flat_load_dword v9, v[33:34] offset:256
	v_mov_b32_e32 v113, 0
	v_mov_b32_e32 v0, 0
	buffer_store_dword v0, off, s[0:3], s32 offset:276 ; 4-byte Folded Spill
	s_waitcnt vmcnt(0) lgkmcnt(0)
	v_cmp_ne_u16_sdwa s7, v9, v8 src0_sel:BYTE_0 src1_sel:DWORD
	s_and_saveexec_b32 s25, s7
	s_cbranch_execz .LBB288_90
; %bb.83:                               ;   in Loop: Header=BB288_13 Depth=1
	v_cmp_ne_u16_sdwa s7, v9, v81 src0_sel:BYTE_0 src1_sel:DWORD
	v_mov_b32_e32 v0, 0x8000
	buffer_store_dword v0, off, s[0:3], s32 offset:276 ; 4-byte Folded Spill
	s_and_saveexec_b32 s26, s7
	s_cbranch_execz .LBB288_89
; %bb.84:                               ;   in Loop: Header=BB288_13 Depth=1
	v_and_b32_e32 v2, 0x7f, v9
	v_mov_b32_e32 v0, 0x7c01
	s_mov_b32 s27, exec_lo
	buffer_store_dword v0, off, s[0:3], s32 offset:276 ; 4-byte Folded Spill
	v_cmpx_ne_u32_e32 0x7f, v2
	s_cbranch_execz .LBB288_88
; %bb.85:                               ;   in Loop: Header=BB288_13 Depth=1
	v_and_b32_e32 v0, 7, v9
	v_lshrrev_b32_e32 v1, 3, v2
	s_mov_b32 s28, exec_lo
	v_cmpx_gt_u32_e32 8, v2
; %bb.86:                               ;   in Loop: Header=BB288_13 Depth=1
	v_ffbh_u32_e32 v0, v0
	v_min_u32_e32 v2, 32, v0
	v_subrev_nc_u32_e32 v0, 28, v2
	v_lshlrev_b64 v[0:1], v0, v[9:10]
	v_sub_nc_u32_e32 v1, 29, v2
	v_and_b32_e32 v0, 7, v0
; %bb.87:                               ;   in Loop: Header=BB288_13 Depth=1
	s_or_b32 exec_lo, exec_lo, s28
	v_lshlrev_b32_e32 v2, 8, v9
	v_lshl_add_u32 v1, v1, 10, 0x2000
	v_lshlrev_b32_e32 v0, 7, v0
	v_and_b32_e32 v2, 0x8000, v2
	v_and_b32_e32 v1, 0xfc00, v1
	v_or3_b32 v0, v2, v1, v0
	buffer_store_dword v0, off, s[0:3], s32 offset:276 ; 4-byte Folded Spill
.LBB288_88:                             ;   in Loop: Header=BB288_13 Depth=1
	s_or_b32 exec_lo, exec_lo, s27
.LBB288_89:                             ;   in Loop: Header=BB288_13 Depth=1
	s_or_b32 exec_lo, exec_lo, s26
.LBB288_90:                             ;   in Loop: Header=BB288_13 Depth=1
	s_or_b32 exec_lo, exec_lo, s25
	v_lshrrev_b16 v7, 8, v9
	s_mov_b32 s25, exec_lo
	v_cmpx_ne_u16_e32 0, v7
	s_cbranch_execz .LBB288_98
; %bb.91:                               ;   in Loop: Header=BB288_13 Depth=1
	v_bfrev_b32_e32 v113, 1
	s_mov_b32 s26, exec_lo
	v_cmpx_ne_u16_e32 0x80, v7
	s_cbranch_execz .LBB288_97
; %bb.92:                               ;   in Loop: Header=BB288_13 Depth=1
	v_mov_b32_e32 v0, 0x7f
	v_mov_b32_e32 v113, 0x7c010000
	s_mov_b32 s27, exec_lo
	v_and_b32_sdwa v2, v7, v0 dst_sel:DWORD dst_unused:UNUSED_PAD src0_sel:WORD_0 src1_sel:DWORD
	v_cmpx_ne_u32_e32 0x7f, v2
	s_cbranch_execz .LBB288_96
; %bb.93:                               ;   in Loop: Header=BB288_13 Depth=1
	v_mov_b32_e32 v0, 7
	v_lshrrev_b32_e32 v1, 3, v2
	s_mov_b32 s28, exec_lo
	v_and_b32_sdwa v0, v7, v0 dst_sel:DWORD dst_unused:UNUSED_PAD src0_sel:WORD_0 src1_sel:DWORD
	v_cmpx_gt_u32_e32 8, v2
; %bb.94:                               ;   in Loop: Header=BB288_13 Depth=1
	v_ffbh_u32_e32 v0, v0
	v_min_u32_e32 v2, 32, v0
	v_subrev_nc_u32_e32 v0, 28, v2
	v_lshlrev_b64 v[0:1], v0, v[7:8]
	v_sub_nc_u32_e32 v1, 29, v2
	v_and_b32_e32 v0, 7, v0
; %bb.95:                               ;   in Loop: Header=BB288_13 Depth=1
	s_or_b32 exec_lo, exec_lo, s28
	v_mov_b32_e32 v2, 8
	v_lshl_add_u32 v1, v1, 10, 0x2000
	v_lshlrev_b32_e32 v0, 23, v0
	v_lshlrev_b32_sdwa v2, v2, v7 dst_sel:DWORD dst_unused:UNUSED_PAD src0_sel:DWORD src1_sel:WORD_0
	v_and_or_b32 v1, 0x8000, v2, v1
	v_lshl_or_b32 v113, v1, 16, v0
.LBB288_96:                             ;   in Loop: Header=BB288_13 Depth=1
	s_or_b32 exec_lo, exec_lo, s27
.LBB288_97:                             ;   in Loop: Header=BB288_13 Depth=1
	s_or_b32 exec_lo, exec_lo, s26
.LBB288_98:                             ;   in Loop: Header=BB288_13 Depth=1
	s_or_b32 exec_lo, exec_lo, s25
	v_lshrrev_b32_e32 v7, 16, v9
	v_mov_b32_e32 v103, 0
	v_mov_b32_e32 v0, 0
	v_cmp_ne_u16_sdwa s7, v7, v8 src0_sel:BYTE_0 src1_sel:DWORD
	buffer_store_dword v0, off, s[0:3], s32 offset:280 ; 4-byte Folded Spill
	s_and_saveexec_b32 s25, s7
	s_cbranch_execz .LBB288_106
; %bb.99:                               ;   in Loop: Header=BB288_13 Depth=1
	v_cmp_ne_u16_sdwa s7, v7, v81 src0_sel:BYTE_0 src1_sel:DWORD
	v_mov_b32_e32 v0, 0x8000
	buffer_store_dword v0, off, s[0:3], s32 offset:280 ; 4-byte Folded Spill
	s_and_saveexec_b32 s26, s7
	s_cbranch_execz .LBB288_105
; %bb.100:                              ;   in Loop: Header=BB288_13 Depth=1
	v_bfe_u32 v2, v9, 16, 7
	v_mov_b32_e32 v0, 0x7c01
	s_mov_b32 s27, exec_lo
	buffer_store_dword v0, off, s[0:3], s32 offset:280 ; 4-byte Folded Spill
	v_cmpx_ne_u32_e32 0x7f, v2
	s_cbranch_execz .LBB288_104
; %bb.101:                              ;   in Loop: Header=BB288_13 Depth=1
	v_and_b32_e32 v0, 7, v7
	v_lshrrev_b32_e32 v1, 3, v2
	s_mov_b32 s28, exec_lo
	v_cmpx_gt_u32_e32 8, v2
; %bb.102:                              ;   in Loop: Header=BB288_13 Depth=1
	v_ffbh_u32_e32 v0, v0
	v_min_u32_e32 v2, 32, v0
	v_subrev_nc_u32_e32 v0, 28, v2
	v_lshlrev_b64 v[0:1], v0, v[7:8]
	v_sub_nc_u32_e32 v1, 29, v2
	v_and_b32_e32 v0, 7, v0
; %bb.103:                              ;   in Loop: Header=BB288_13 Depth=1
	s_or_b32 exec_lo, exec_lo, s28
	v_lshlrev_b32_e32 v2, 8, v7
	v_lshl_add_u32 v1, v1, 10, 0x2000
	v_lshlrev_b32_e32 v0, 7, v0
	v_and_b32_e32 v2, 0x8000, v2
	v_and_b32_e32 v1, 0xfc00, v1
	v_or3_b32 v0, v2, v1, v0
	buffer_store_dword v0, off, s[0:3], s32 offset:280 ; 4-byte Folded Spill
.LBB288_104:                            ;   in Loop: Header=BB288_13 Depth=1
	s_or_b32 exec_lo, exec_lo, s27
.LBB288_105:                            ;   in Loop: Header=BB288_13 Depth=1
	s_or_b32 exec_lo, exec_lo, s26
.LBB288_106:                            ;   in Loop: Header=BB288_13 Depth=1
	s_or_b32 exec_lo, exec_lo, s25
	s_mov_b32 s25, exec_lo
	v_cmpx_lt_u32_e32 0xffffff, v9
	s_cbranch_execz .LBB288_114
; %bb.107:                              ;   in Loop: Header=BB288_13 Depth=1
	v_lshrrev_b32_e32 v7, 24, v9
	v_bfrev_b32_e32 v103, 1
	s_mov_b32 s26, exec_lo
	v_cmpx_ne_u32_e32 0x80, v7
	s_cbranch_execz .LBB288_113
; %bb.108:                              ;   in Loop: Header=BB288_13 Depth=1
	v_and_b32_e32 v2, 0x7f, v7
	v_mov_b32_e32 v103, 0x7c010000
	s_mov_b32 s27, exec_lo
	v_cmpx_ne_u32_e32 0x7f, v2
	s_cbranch_execz .LBB288_112
; %bb.109:                              ;   in Loop: Header=BB288_13 Depth=1
	v_and_b32_e32 v0, 7, v7
	v_lshrrev_b32_e32 v1, 3, v2
	s_mov_b32 s28, exec_lo
	v_cmpx_gt_u32_e32 8, v2
; %bb.110:                              ;   in Loop: Header=BB288_13 Depth=1
	v_ffbh_u32_e32 v0, v0
	v_min_u32_e32 v2, 32, v0
	v_subrev_nc_u32_e32 v0, 28, v2
	v_lshlrev_b64 v[0:1], v0, v[7:8]
	v_sub_nc_u32_e32 v1, 29, v2
	v_and_b32_e32 v0, 7, v0
; %bb.111:                              ;   in Loop: Header=BB288_13 Depth=1
	s_or_b32 exec_lo, exec_lo, s28
	v_lshlrev_b32_e32 v2, 8, v7
	v_lshl_add_u32 v1, v1, 10, 0x2000
	v_lshlrev_b32_e32 v0, 23, v0
	v_and_or_b32 v1, 0x8000, v2, v1
	v_lshl_or_b32 v103, v1, 16, v0
.LBB288_112:                            ;   in Loop: Header=BB288_13 Depth=1
	s_or_b32 exec_lo, exec_lo, s27
.LBB288_113:                            ;   in Loop: Header=BB288_13 Depth=1
	s_or_b32 exec_lo, exec_lo, s26
.LBB288_114:                            ;   in Loop: Header=BB288_13 Depth=1
	s_or_b32 exec_lo, exec_lo, s25
	flat_load_dword v9, v[33:34] offset:264
	v_mov_b32_e32 v119, 0
	v_mov_b32_e32 v0, 0
	buffer_store_dword v0, off, s[0:3], s32 offset:284 ; 4-byte Folded Spill
	s_waitcnt vmcnt(0) lgkmcnt(0)
	v_cmp_ne_u16_sdwa s7, v9, v8 src0_sel:BYTE_0 src1_sel:DWORD
	s_and_saveexec_b32 s25, s7
	s_cbranch_execz .LBB288_122
; %bb.115:                              ;   in Loop: Header=BB288_13 Depth=1
	v_cmp_ne_u16_sdwa s7, v9, v81 src0_sel:BYTE_0 src1_sel:DWORD
	v_mov_b32_e32 v0, 0x8000
	buffer_store_dword v0, off, s[0:3], s32 offset:284 ; 4-byte Folded Spill
	s_and_saveexec_b32 s26, s7
	s_cbranch_execz .LBB288_121
; %bb.116:                              ;   in Loop: Header=BB288_13 Depth=1
	v_and_b32_e32 v2, 0x7f, v9
	v_mov_b32_e32 v0, 0x7c01
	s_mov_b32 s27, exec_lo
	buffer_store_dword v0, off, s[0:3], s32 offset:284 ; 4-byte Folded Spill
	v_cmpx_ne_u32_e32 0x7f, v2
	s_cbranch_execz .LBB288_120
; %bb.117:                              ;   in Loop: Header=BB288_13 Depth=1
	v_and_b32_e32 v0, 7, v9
	v_lshrrev_b32_e32 v1, 3, v2
	s_mov_b32 s28, exec_lo
	v_cmpx_gt_u32_e32 8, v2
; %bb.118:                              ;   in Loop: Header=BB288_13 Depth=1
	v_ffbh_u32_e32 v0, v0
	v_min_u32_e32 v2, 32, v0
	v_subrev_nc_u32_e32 v0, 28, v2
	v_lshlrev_b64 v[0:1], v0, v[9:10]
	v_sub_nc_u32_e32 v1, 29, v2
	v_and_b32_e32 v0, 7, v0
; %bb.119:                              ;   in Loop: Header=BB288_13 Depth=1
	s_or_b32 exec_lo, exec_lo, s28
	v_lshlrev_b32_e32 v2, 8, v9
	v_lshl_add_u32 v1, v1, 10, 0x2000
	v_lshlrev_b32_e32 v0, 7, v0
	v_and_b32_e32 v2, 0x8000, v2
	v_and_b32_e32 v1, 0xfc00, v1
	v_or3_b32 v0, v2, v1, v0
	buffer_store_dword v0, off, s[0:3], s32 offset:284 ; 4-byte Folded Spill
.LBB288_120:                            ;   in Loop: Header=BB288_13 Depth=1
	s_or_b32 exec_lo, exec_lo, s27
.LBB288_121:                            ;   in Loop: Header=BB288_13 Depth=1
	s_or_b32 exec_lo, exec_lo, s26
.LBB288_122:                            ;   in Loop: Header=BB288_13 Depth=1
	s_or_b32 exec_lo, exec_lo, s25
	v_lshrrev_b16 v7, 8, v9
	s_mov_b32 s25, exec_lo
	v_cmpx_ne_u16_e32 0, v7
	s_cbranch_execz .LBB288_130
; %bb.123:                              ;   in Loop: Header=BB288_13 Depth=1
	v_bfrev_b32_e32 v119, 1
	s_mov_b32 s26, exec_lo
	v_cmpx_ne_u16_e32 0x80, v7
	s_cbranch_execz .LBB288_129
; %bb.124:                              ;   in Loop: Header=BB288_13 Depth=1
	v_mov_b32_e32 v0, 0x7f
	v_mov_b32_e32 v119, 0x7c010000
	s_mov_b32 s27, exec_lo
	v_and_b32_sdwa v2, v7, v0 dst_sel:DWORD dst_unused:UNUSED_PAD src0_sel:WORD_0 src1_sel:DWORD
	v_cmpx_ne_u32_e32 0x7f, v2
	s_cbranch_execz .LBB288_128
; %bb.125:                              ;   in Loop: Header=BB288_13 Depth=1
	v_mov_b32_e32 v0, 7
	v_lshrrev_b32_e32 v1, 3, v2
	s_mov_b32 s28, exec_lo
	v_and_b32_sdwa v0, v7, v0 dst_sel:DWORD dst_unused:UNUSED_PAD src0_sel:WORD_0 src1_sel:DWORD
	v_cmpx_gt_u32_e32 8, v2
; %bb.126:                              ;   in Loop: Header=BB288_13 Depth=1
	v_ffbh_u32_e32 v0, v0
	v_min_u32_e32 v2, 32, v0
	v_subrev_nc_u32_e32 v0, 28, v2
	v_lshlrev_b64 v[0:1], v0, v[7:8]
	v_sub_nc_u32_e32 v1, 29, v2
	v_and_b32_e32 v0, 7, v0
; %bb.127:                              ;   in Loop: Header=BB288_13 Depth=1
	s_or_b32 exec_lo, exec_lo, s28
	v_mov_b32_e32 v2, 8
	v_lshl_add_u32 v1, v1, 10, 0x2000
	v_lshlrev_b32_e32 v0, 23, v0
	v_lshlrev_b32_sdwa v2, v2, v7 dst_sel:DWORD dst_unused:UNUSED_PAD src0_sel:DWORD src1_sel:WORD_0
	v_and_or_b32 v1, 0x8000, v2, v1
	v_lshl_or_b32 v119, v1, 16, v0
.LBB288_128:                            ;   in Loop: Header=BB288_13 Depth=1
	s_or_b32 exec_lo, exec_lo, s27
.LBB288_129:                            ;   in Loop: Header=BB288_13 Depth=1
	s_or_b32 exec_lo, exec_lo, s26
.LBB288_130:                            ;   in Loop: Header=BB288_13 Depth=1
	s_or_b32 exec_lo, exec_lo, s25
	v_lshrrev_b32_e32 v7, 16, v9
	v_mov_b32_e32 v115, 0
	v_mov_b32_e32 v0, 0
	v_cmp_ne_u16_sdwa s7, v7, v8 src0_sel:BYTE_0 src1_sel:DWORD
	buffer_store_dword v0, off, s[0:3], s32 offset:288 ; 4-byte Folded Spill
	s_and_saveexec_b32 s25, s7
	s_cbranch_execz .LBB288_138
; %bb.131:                              ;   in Loop: Header=BB288_13 Depth=1
	v_cmp_ne_u16_sdwa s7, v7, v81 src0_sel:BYTE_0 src1_sel:DWORD
	v_mov_b32_e32 v0, 0x8000
	buffer_store_dword v0, off, s[0:3], s32 offset:288 ; 4-byte Folded Spill
	s_and_saveexec_b32 s26, s7
	s_cbranch_execz .LBB288_137
; %bb.132:                              ;   in Loop: Header=BB288_13 Depth=1
	v_bfe_u32 v2, v9, 16, 7
	v_mov_b32_e32 v0, 0x7c01
	s_mov_b32 s27, exec_lo
	buffer_store_dword v0, off, s[0:3], s32 offset:288 ; 4-byte Folded Spill
	v_cmpx_ne_u32_e32 0x7f, v2
	s_cbranch_execz .LBB288_136
; %bb.133:                              ;   in Loop: Header=BB288_13 Depth=1
	v_and_b32_e32 v0, 7, v7
	v_lshrrev_b32_e32 v1, 3, v2
	s_mov_b32 s28, exec_lo
	v_cmpx_gt_u32_e32 8, v2
; %bb.134:                              ;   in Loop: Header=BB288_13 Depth=1
	v_ffbh_u32_e32 v0, v0
	v_min_u32_e32 v2, 32, v0
	v_subrev_nc_u32_e32 v0, 28, v2
	v_lshlrev_b64 v[0:1], v0, v[7:8]
	v_sub_nc_u32_e32 v1, 29, v2
	v_and_b32_e32 v0, 7, v0
; %bb.135:                              ;   in Loop: Header=BB288_13 Depth=1
	s_or_b32 exec_lo, exec_lo, s28
	v_lshlrev_b32_e32 v2, 8, v7
	v_lshl_add_u32 v1, v1, 10, 0x2000
	v_lshlrev_b32_e32 v0, 7, v0
	v_and_b32_e32 v2, 0x8000, v2
	v_and_b32_e32 v1, 0xfc00, v1
	v_or3_b32 v0, v2, v1, v0
	buffer_store_dword v0, off, s[0:3], s32 offset:288 ; 4-byte Folded Spill
.LBB288_136:                            ;   in Loop: Header=BB288_13 Depth=1
	s_or_b32 exec_lo, exec_lo, s27
.LBB288_137:                            ;   in Loop: Header=BB288_13 Depth=1
	s_or_b32 exec_lo, exec_lo, s26
.LBB288_138:                            ;   in Loop: Header=BB288_13 Depth=1
	s_or_b32 exec_lo, exec_lo, s25
	s_mov_b32 s25, exec_lo
	v_cmpx_lt_u32_e32 0xffffff, v9
	s_cbranch_execz .LBB288_146
; %bb.139:                              ;   in Loop: Header=BB288_13 Depth=1
	v_lshrrev_b32_e32 v7, 24, v9
	v_bfrev_b32_e32 v115, 1
	s_mov_b32 s26, exec_lo
	v_cmpx_ne_u32_e32 0x80, v7
	s_cbranch_execz .LBB288_145
; %bb.140:                              ;   in Loop: Header=BB288_13 Depth=1
	v_and_b32_e32 v2, 0x7f, v7
	v_mov_b32_e32 v115, 0x7c010000
	s_mov_b32 s27, exec_lo
	v_cmpx_ne_u32_e32 0x7f, v2
	s_cbranch_execz .LBB288_144
; %bb.141:                              ;   in Loop: Header=BB288_13 Depth=1
	v_and_b32_e32 v0, 7, v7
	v_lshrrev_b32_e32 v1, 3, v2
	s_mov_b32 s28, exec_lo
	v_cmpx_gt_u32_e32 8, v2
; %bb.142:                              ;   in Loop: Header=BB288_13 Depth=1
	v_ffbh_u32_e32 v0, v0
	v_min_u32_e32 v2, 32, v0
	v_subrev_nc_u32_e32 v0, 28, v2
	v_lshlrev_b64 v[0:1], v0, v[7:8]
	v_sub_nc_u32_e32 v1, 29, v2
	v_and_b32_e32 v0, 7, v0
; %bb.143:                              ;   in Loop: Header=BB288_13 Depth=1
	s_or_b32 exec_lo, exec_lo, s28
	v_lshlrev_b32_e32 v2, 8, v7
	v_lshl_add_u32 v1, v1, 10, 0x2000
	v_lshlrev_b32_e32 v0, 23, v0
	v_and_or_b32 v1, 0x8000, v2, v1
	v_lshl_or_b32 v115, v1, 16, v0
.LBB288_144:                            ;   in Loop: Header=BB288_13 Depth=1
	s_or_b32 exec_lo, exec_lo, s27
.LBB288_145:                            ;   in Loop: Header=BB288_13 Depth=1
	s_or_b32 exec_lo, exec_lo, s26
.LBB288_146:                            ;   in Loop: Header=BB288_13 Depth=1
	s_or_b32 exec_lo, exec_lo, s25
	flat_load_dword v9, v[33:34] offset:512
	v_mov_b32_e32 v43, 0
	v_mov_b32_e32 v0, 0
	buffer_store_dword v0, off, s[0:3], s32 offset:292 ; 4-byte Folded Spill
	s_waitcnt vmcnt(0) lgkmcnt(0)
	v_cmp_ne_u16_sdwa s7, v9, v8 src0_sel:BYTE_0 src1_sel:DWORD
	s_and_saveexec_b32 s25, s7
	s_cbranch_execz .LBB288_154
; %bb.147:                              ;   in Loop: Header=BB288_13 Depth=1
	v_cmp_ne_u16_sdwa s7, v9, v81 src0_sel:BYTE_0 src1_sel:DWORD
	v_mov_b32_e32 v0, 0x8000
	buffer_store_dword v0, off, s[0:3], s32 offset:292 ; 4-byte Folded Spill
	s_and_saveexec_b32 s26, s7
	s_cbranch_execz .LBB288_153
; %bb.148:                              ;   in Loop: Header=BB288_13 Depth=1
	v_and_b32_e32 v2, 0x7f, v9
	v_mov_b32_e32 v0, 0x7c01
	s_mov_b32 s27, exec_lo
	buffer_store_dword v0, off, s[0:3], s32 offset:292 ; 4-byte Folded Spill
	v_cmpx_ne_u32_e32 0x7f, v2
	s_cbranch_execz .LBB288_152
; %bb.149:                              ;   in Loop: Header=BB288_13 Depth=1
	v_and_b32_e32 v0, 7, v9
	v_lshrrev_b32_e32 v1, 3, v2
	s_mov_b32 s28, exec_lo
	v_cmpx_gt_u32_e32 8, v2
; %bb.150:                              ;   in Loop: Header=BB288_13 Depth=1
	v_ffbh_u32_e32 v0, v0
	v_min_u32_e32 v2, 32, v0
	v_subrev_nc_u32_e32 v0, 28, v2
	v_lshlrev_b64 v[0:1], v0, v[9:10]
	v_sub_nc_u32_e32 v1, 29, v2
	v_and_b32_e32 v0, 7, v0
; %bb.151:                              ;   in Loop: Header=BB288_13 Depth=1
	s_or_b32 exec_lo, exec_lo, s28
	v_lshlrev_b32_e32 v2, 8, v9
	v_lshl_add_u32 v1, v1, 10, 0x2000
	v_lshlrev_b32_e32 v0, 7, v0
	v_and_b32_e32 v2, 0x8000, v2
	v_and_b32_e32 v1, 0xfc00, v1
	v_or3_b32 v0, v2, v1, v0
	buffer_store_dword v0, off, s[0:3], s32 offset:292 ; 4-byte Folded Spill
.LBB288_152:                            ;   in Loop: Header=BB288_13 Depth=1
	s_or_b32 exec_lo, exec_lo, s27
.LBB288_153:                            ;   in Loop: Header=BB288_13 Depth=1
	s_or_b32 exec_lo, exec_lo, s26
.LBB288_154:                            ;   in Loop: Header=BB288_13 Depth=1
	s_or_b32 exec_lo, exec_lo, s25
	v_lshrrev_b16 v7, 8, v9
	s_mov_b32 s25, exec_lo
	v_cmpx_ne_u16_e32 0, v7
	s_cbranch_execz .LBB288_162
; %bb.155:                              ;   in Loop: Header=BB288_13 Depth=1
	v_bfrev_b32_e32 v43, 1
	s_mov_b32 s26, exec_lo
	v_cmpx_ne_u16_e32 0x80, v7
	s_cbranch_execz .LBB288_161
; %bb.156:                              ;   in Loop: Header=BB288_13 Depth=1
	v_mov_b32_e32 v0, 0x7f
	v_mov_b32_e32 v43, 0x7c010000
	s_mov_b32 s27, exec_lo
	v_and_b32_sdwa v2, v7, v0 dst_sel:DWORD dst_unused:UNUSED_PAD src0_sel:WORD_0 src1_sel:DWORD
	v_cmpx_ne_u32_e32 0x7f, v2
	s_cbranch_execz .LBB288_160
; %bb.157:                              ;   in Loop: Header=BB288_13 Depth=1
	v_mov_b32_e32 v0, 7
	v_lshrrev_b32_e32 v1, 3, v2
	s_mov_b32 s28, exec_lo
	v_and_b32_sdwa v0, v7, v0 dst_sel:DWORD dst_unused:UNUSED_PAD src0_sel:WORD_0 src1_sel:DWORD
	v_cmpx_gt_u32_e32 8, v2
; %bb.158:                              ;   in Loop: Header=BB288_13 Depth=1
	v_ffbh_u32_e32 v0, v0
	v_min_u32_e32 v2, 32, v0
	v_subrev_nc_u32_e32 v0, 28, v2
	v_lshlrev_b64 v[0:1], v0, v[7:8]
	v_sub_nc_u32_e32 v1, 29, v2
	v_and_b32_e32 v0, 7, v0
; %bb.159:                              ;   in Loop: Header=BB288_13 Depth=1
	s_or_b32 exec_lo, exec_lo, s28
	v_mov_b32_e32 v2, 8
	v_lshl_add_u32 v1, v1, 10, 0x2000
	v_lshlrev_b32_e32 v0, 23, v0
	v_lshlrev_b32_sdwa v2, v2, v7 dst_sel:DWORD dst_unused:UNUSED_PAD src0_sel:DWORD src1_sel:WORD_0
	v_and_or_b32 v1, 0x8000, v2, v1
	v_lshl_or_b32 v43, v1, 16, v0
.LBB288_160:                            ;   in Loop: Header=BB288_13 Depth=1
	s_or_b32 exec_lo, exec_lo, s27
.LBB288_161:                            ;   in Loop: Header=BB288_13 Depth=1
	s_or_b32 exec_lo, exec_lo, s26
.LBB288_162:                            ;   in Loop: Header=BB288_13 Depth=1
	s_or_b32 exec_lo, exec_lo, s25
	v_lshrrev_b32_e32 v7, 16, v9
	v_mov_b32_e32 v45, 0
	v_mov_b32_e32 v0, 0
	v_cmp_ne_u16_sdwa s7, v7, v8 src0_sel:BYTE_0 src1_sel:DWORD
	buffer_store_dword v0, off, s[0:3], s32 offset:296 ; 4-byte Folded Spill
	s_and_saveexec_b32 s25, s7
	s_cbranch_execz .LBB288_170
; %bb.163:                              ;   in Loop: Header=BB288_13 Depth=1
	v_cmp_ne_u16_sdwa s7, v7, v81 src0_sel:BYTE_0 src1_sel:DWORD
	v_mov_b32_e32 v0, 0x8000
	buffer_store_dword v0, off, s[0:3], s32 offset:296 ; 4-byte Folded Spill
	s_and_saveexec_b32 s26, s7
	s_cbranch_execz .LBB288_169
; %bb.164:                              ;   in Loop: Header=BB288_13 Depth=1
	v_bfe_u32 v2, v9, 16, 7
	v_mov_b32_e32 v0, 0x7c01
	s_mov_b32 s27, exec_lo
	buffer_store_dword v0, off, s[0:3], s32 offset:296 ; 4-byte Folded Spill
	v_cmpx_ne_u32_e32 0x7f, v2
	s_cbranch_execz .LBB288_168
; %bb.165:                              ;   in Loop: Header=BB288_13 Depth=1
	v_and_b32_e32 v0, 7, v7
	v_lshrrev_b32_e32 v1, 3, v2
	s_mov_b32 s28, exec_lo
	v_cmpx_gt_u32_e32 8, v2
; %bb.166:                              ;   in Loop: Header=BB288_13 Depth=1
	v_ffbh_u32_e32 v0, v0
	v_min_u32_e32 v2, 32, v0
	v_subrev_nc_u32_e32 v0, 28, v2
	v_lshlrev_b64 v[0:1], v0, v[7:8]
	v_sub_nc_u32_e32 v1, 29, v2
	v_and_b32_e32 v0, 7, v0
; %bb.167:                              ;   in Loop: Header=BB288_13 Depth=1
	s_or_b32 exec_lo, exec_lo, s28
	v_lshlrev_b32_e32 v2, 8, v7
	v_lshl_add_u32 v1, v1, 10, 0x2000
	v_lshlrev_b32_e32 v0, 7, v0
	v_and_b32_e32 v2, 0x8000, v2
	v_and_b32_e32 v1, 0xfc00, v1
	v_or3_b32 v0, v2, v1, v0
	buffer_store_dword v0, off, s[0:3], s32 offset:296 ; 4-byte Folded Spill
.LBB288_168:                            ;   in Loop: Header=BB288_13 Depth=1
	s_or_b32 exec_lo, exec_lo, s27
.LBB288_169:                            ;   in Loop: Header=BB288_13 Depth=1
	s_or_b32 exec_lo, exec_lo, s26
.LBB288_170:                            ;   in Loop: Header=BB288_13 Depth=1
	s_or_b32 exec_lo, exec_lo, s25
	s_mov_b32 s25, exec_lo
	v_cmpx_lt_u32_e32 0xffffff, v9
	s_cbranch_execz .LBB288_178
; %bb.171:                              ;   in Loop: Header=BB288_13 Depth=1
	v_lshrrev_b32_e32 v7, 24, v9
	v_bfrev_b32_e32 v45, 1
	s_mov_b32 s26, exec_lo
	v_cmpx_ne_u32_e32 0x80, v7
	s_cbranch_execz .LBB288_177
; %bb.172:                              ;   in Loop: Header=BB288_13 Depth=1
	v_and_b32_e32 v2, 0x7f, v7
	v_mov_b32_e32 v45, 0x7c010000
	s_mov_b32 s27, exec_lo
	v_cmpx_ne_u32_e32 0x7f, v2
	s_cbranch_execz .LBB288_176
; %bb.173:                              ;   in Loop: Header=BB288_13 Depth=1
	v_and_b32_e32 v0, 7, v7
	v_lshrrev_b32_e32 v1, 3, v2
	s_mov_b32 s28, exec_lo
	v_cmpx_gt_u32_e32 8, v2
; %bb.174:                              ;   in Loop: Header=BB288_13 Depth=1
	v_ffbh_u32_e32 v0, v0
	v_min_u32_e32 v2, 32, v0
	v_subrev_nc_u32_e32 v0, 28, v2
	v_lshlrev_b64 v[0:1], v0, v[7:8]
	v_sub_nc_u32_e32 v1, 29, v2
	v_and_b32_e32 v0, 7, v0
; %bb.175:                              ;   in Loop: Header=BB288_13 Depth=1
	s_or_b32 exec_lo, exec_lo, s28
	v_lshlrev_b32_e32 v2, 8, v7
	v_lshl_add_u32 v1, v1, 10, 0x2000
	v_lshlrev_b32_e32 v0, 23, v0
	v_and_or_b32 v1, 0x8000, v2, v1
	v_lshl_or_b32 v45, v1, 16, v0
.LBB288_176:                            ;   in Loop: Header=BB288_13 Depth=1
	s_or_b32 exec_lo, exec_lo, s27
.LBB288_177:                            ;   in Loop: Header=BB288_13 Depth=1
	s_or_b32 exec_lo, exec_lo, s26
.LBB288_178:                            ;   in Loop: Header=BB288_13 Depth=1
	s_or_b32 exec_lo, exec_lo, s25
	flat_load_dword v9, v[33:34] offset:520
	v_mov_b32_e32 v47, 0
	v_mov_b32_e32 v0, 0
	buffer_store_dword v0, off, s[0:3], s32 offset:300 ; 4-byte Folded Spill
	s_waitcnt vmcnt(0) lgkmcnt(0)
	v_cmp_ne_u16_sdwa s7, v9, v8 src0_sel:BYTE_0 src1_sel:DWORD
	s_and_saveexec_b32 s25, s7
	s_cbranch_execz .LBB288_186
; %bb.179:                              ;   in Loop: Header=BB288_13 Depth=1
	v_cmp_ne_u16_sdwa s7, v9, v81 src0_sel:BYTE_0 src1_sel:DWORD
	v_mov_b32_e32 v0, 0x8000
	buffer_store_dword v0, off, s[0:3], s32 offset:300 ; 4-byte Folded Spill
	s_and_saveexec_b32 s26, s7
	s_cbranch_execz .LBB288_185
; %bb.180:                              ;   in Loop: Header=BB288_13 Depth=1
	v_and_b32_e32 v2, 0x7f, v9
	v_mov_b32_e32 v0, 0x7c01
	s_mov_b32 s27, exec_lo
	buffer_store_dword v0, off, s[0:3], s32 offset:300 ; 4-byte Folded Spill
	v_cmpx_ne_u32_e32 0x7f, v2
	s_cbranch_execz .LBB288_184
; %bb.181:                              ;   in Loop: Header=BB288_13 Depth=1
	v_and_b32_e32 v0, 7, v9
	v_lshrrev_b32_e32 v1, 3, v2
	s_mov_b32 s28, exec_lo
	v_cmpx_gt_u32_e32 8, v2
; %bb.182:                              ;   in Loop: Header=BB288_13 Depth=1
	v_ffbh_u32_e32 v0, v0
	v_min_u32_e32 v2, 32, v0
	v_subrev_nc_u32_e32 v0, 28, v2
	v_lshlrev_b64 v[0:1], v0, v[9:10]
	v_sub_nc_u32_e32 v1, 29, v2
	v_and_b32_e32 v0, 7, v0
; %bb.183:                              ;   in Loop: Header=BB288_13 Depth=1
	s_or_b32 exec_lo, exec_lo, s28
	v_lshlrev_b32_e32 v2, 8, v9
	v_lshl_add_u32 v1, v1, 10, 0x2000
	v_lshlrev_b32_e32 v0, 7, v0
	v_and_b32_e32 v2, 0x8000, v2
	v_and_b32_e32 v1, 0xfc00, v1
	v_or3_b32 v0, v2, v1, v0
	buffer_store_dword v0, off, s[0:3], s32 offset:300 ; 4-byte Folded Spill
.LBB288_184:                            ;   in Loop: Header=BB288_13 Depth=1
	s_or_b32 exec_lo, exec_lo, s27
.LBB288_185:                            ;   in Loop: Header=BB288_13 Depth=1
	s_or_b32 exec_lo, exec_lo, s26
.LBB288_186:                            ;   in Loop: Header=BB288_13 Depth=1
	s_or_b32 exec_lo, exec_lo, s25
	v_lshrrev_b16 v7, 8, v9
	s_mov_b32 s25, exec_lo
	v_cmpx_ne_u16_e32 0, v7
	s_cbranch_execz .LBB288_194
; %bb.187:                              ;   in Loop: Header=BB288_13 Depth=1
	v_bfrev_b32_e32 v47, 1
	s_mov_b32 s26, exec_lo
	v_cmpx_ne_u16_e32 0x80, v7
	s_cbranch_execz .LBB288_193
; %bb.188:                              ;   in Loop: Header=BB288_13 Depth=1
	v_mov_b32_e32 v0, 0x7f
	v_mov_b32_e32 v47, 0x7c010000
	s_mov_b32 s27, exec_lo
	v_and_b32_sdwa v2, v7, v0 dst_sel:DWORD dst_unused:UNUSED_PAD src0_sel:WORD_0 src1_sel:DWORD
	v_cmpx_ne_u32_e32 0x7f, v2
	s_cbranch_execz .LBB288_192
; %bb.189:                              ;   in Loop: Header=BB288_13 Depth=1
	v_mov_b32_e32 v0, 7
	v_lshrrev_b32_e32 v1, 3, v2
	s_mov_b32 s28, exec_lo
	v_and_b32_sdwa v0, v7, v0 dst_sel:DWORD dst_unused:UNUSED_PAD src0_sel:WORD_0 src1_sel:DWORD
	v_cmpx_gt_u32_e32 8, v2
; %bb.190:                              ;   in Loop: Header=BB288_13 Depth=1
	v_ffbh_u32_e32 v0, v0
	v_min_u32_e32 v2, 32, v0
	v_subrev_nc_u32_e32 v0, 28, v2
	v_lshlrev_b64 v[0:1], v0, v[7:8]
	v_sub_nc_u32_e32 v1, 29, v2
	v_and_b32_e32 v0, 7, v0
; %bb.191:                              ;   in Loop: Header=BB288_13 Depth=1
	s_or_b32 exec_lo, exec_lo, s28
	v_mov_b32_e32 v2, 8
	v_lshl_add_u32 v1, v1, 10, 0x2000
	v_lshlrev_b32_e32 v0, 23, v0
	v_lshlrev_b32_sdwa v2, v2, v7 dst_sel:DWORD dst_unused:UNUSED_PAD src0_sel:DWORD src1_sel:WORD_0
	v_and_or_b32 v1, 0x8000, v2, v1
	v_lshl_or_b32 v47, v1, 16, v0
.LBB288_192:                            ;   in Loop: Header=BB288_13 Depth=1
	s_or_b32 exec_lo, exec_lo, s27
.LBB288_193:                            ;   in Loop: Header=BB288_13 Depth=1
	s_or_b32 exec_lo, exec_lo, s26
.LBB288_194:                            ;   in Loop: Header=BB288_13 Depth=1
	s_or_b32 exec_lo, exec_lo, s25
	v_lshrrev_b32_e32 v7, 16, v9
	v_mov_b32_e32 v57, 0
	v_mov_b32_e32 v0, 0
	v_cmp_ne_u16_sdwa s7, v7, v8 src0_sel:BYTE_0 src1_sel:DWORD
	buffer_store_dword v0, off, s[0:3], s32 offset:304 ; 4-byte Folded Spill
	s_and_saveexec_b32 s25, s7
	s_cbranch_execz .LBB288_202
; %bb.195:                              ;   in Loop: Header=BB288_13 Depth=1
	v_cmp_ne_u16_sdwa s7, v7, v81 src0_sel:BYTE_0 src1_sel:DWORD
	v_mov_b32_e32 v0, 0x8000
	buffer_store_dword v0, off, s[0:3], s32 offset:304 ; 4-byte Folded Spill
	s_and_saveexec_b32 s26, s7
	s_cbranch_execz .LBB288_201
; %bb.196:                              ;   in Loop: Header=BB288_13 Depth=1
	v_bfe_u32 v2, v9, 16, 7
	v_mov_b32_e32 v0, 0x7c01
	s_mov_b32 s27, exec_lo
	buffer_store_dword v0, off, s[0:3], s32 offset:304 ; 4-byte Folded Spill
	v_cmpx_ne_u32_e32 0x7f, v2
	s_cbranch_execz .LBB288_200
; %bb.197:                              ;   in Loop: Header=BB288_13 Depth=1
	v_and_b32_e32 v0, 7, v7
	v_lshrrev_b32_e32 v1, 3, v2
	s_mov_b32 s28, exec_lo
	v_cmpx_gt_u32_e32 8, v2
; %bb.198:                              ;   in Loop: Header=BB288_13 Depth=1
	v_ffbh_u32_e32 v0, v0
	v_min_u32_e32 v2, 32, v0
	v_subrev_nc_u32_e32 v0, 28, v2
	v_lshlrev_b64 v[0:1], v0, v[7:8]
	v_sub_nc_u32_e32 v1, 29, v2
	v_and_b32_e32 v0, 7, v0
; %bb.199:                              ;   in Loop: Header=BB288_13 Depth=1
	s_or_b32 exec_lo, exec_lo, s28
	v_lshlrev_b32_e32 v2, 8, v7
	v_lshl_add_u32 v1, v1, 10, 0x2000
	v_lshlrev_b32_e32 v0, 7, v0
	v_and_b32_e32 v2, 0x8000, v2
	v_and_b32_e32 v1, 0xfc00, v1
	v_or3_b32 v0, v2, v1, v0
	buffer_store_dword v0, off, s[0:3], s32 offset:304 ; 4-byte Folded Spill
.LBB288_200:                            ;   in Loop: Header=BB288_13 Depth=1
	s_or_b32 exec_lo, exec_lo, s27
.LBB288_201:                            ;   in Loop: Header=BB288_13 Depth=1
	s_or_b32 exec_lo, exec_lo, s26
.LBB288_202:                            ;   in Loop: Header=BB288_13 Depth=1
	s_or_b32 exec_lo, exec_lo, s25
	s_mov_b32 s25, exec_lo
	v_cmpx_lt_u32_e32 0xffffff, v9
	s_cbranch_execz .LBB288_210
; %bb.203:                              ;   in Loop: Header=BB288_13 Depth=1
	v_lshrrev_b32_e32 v7, 24, v9
	v_bfrev_b32_e32 v57, 1
	s_mov_b32 s26, exec_lo
	v_cmpx_ne_u32_e32 0x80, v7
	s_cbranch_execz .LBB288_209
; %bb.204:                              ;   in Loop: Header=BB288_13 Depth=1
	v_and_b32_e32 v2, 0x7f, v7
	v_mov_b32_e32 v57, 0x7c010000
	s_mov_b32 s27, exec_lo
	v_cmpx_ne_u32_e32 0x7f, v2
	s_cbranch_execz .LBB288_208
; %bb.205:                              ;   in Loop: Header=BB288_13 Depth=1
	v_and_b32_e32 v0, 7, v7
	v_lshrrev_b32_e32 v1, 3, v2
	s_mov_b32 s28, exec_lo
	v_cmpx_gt_u32_e32 8, v2
; %bb.206:                              ;   in Loop: Header=BB288_13 Depth=1
	v_ffbh_u32_e32 v0, v0
	v_min_u32_e32 v2, 32, v0
	v_subrev_nc_u32_e32 v0, 28, v2
	v_lshlrev_b64 v[0:1], v0, v[7:8]
	v_sub_nc_u32_e32 v1, 29, v2
	v_and_b32_e32 v0, 7, v0
; %bb.207:                              ;   in Loop: Header=BB288_13 Depth=1
	s_or_b32 exec_lo, exec_lo, s28
	v_lshlrev_b32_e32 v2, 8, v7
	v_lshl_add_u32 v1, v1, 10, 0x2000
	v_lshlrev_b32_e32 v0, 23, v0
	v_and_or_b32 v1, 0x8000, v2, v1
	v_lshl_or_b32 v57, v1, 16, v0
.LBB288_208:                            ;   in Loop: Header=BB288_13 Depth=1
	s_or_b32 exec_lo, exec_lo, s27
.LBB288_209:                            ;   in Loop: Header=BB288_13 Depth=1
	s_or_b32 exec_lo, exec_lo, s26
.LBB288_210:                            ;   in Loop: Header=BB288_13 Depth=1
	s_or_b32 exec_lo, exec_lo, s25
	flat_load_dword v9, v[33:34] offset:768
	v_mov_b32_e32 v59, 0
	v_mov_b32_e32 v0, 0
	buffer_store_dword v0, off, s[0:3], s32 offset:308 ; 4-byte Folded Spill
	s_waitcnt vmcnt(0) lgkmcnt(0)
	v_cmp_ne_u16_sdwa s7, v9, v8 src0_sel:BYTE_0 src1_sel:DWORD
	s_and_saveexec_b32 s25, s7
	s_cbranch_execz .LBB288_218
; %bb.211:                              ;   in Loop: Header=BB288_13 Depth=1
	v_cmp_ne_u16_sdwa s7, v9, v81 src0_sel:BYTE_0 src1_sel:DWORD
	v_mov_b32_e32 v0, 0x8000
	buffer_store_dword v0, off, s[0:3], s32 offset:308 ; 4-byte Folded Spill
	s_and_saveexec_b32 s26, s7
	s_cbranch_execz .LBB288_217
; %bb.212:                              ;   in Loop: Header=BB288_13 Depth=1
	v_and_b32_e32 v2, 0x7f, v9
	v_mov_b32_e32 v0, 0x7c01
	s_mov_b32 s27, exec_lo
	buffer_store_dword v0, off, s[0:3], s32 offset:308 ; 4-byte Folded Spill
	v_cmpx_ne_u32_e32 0x7f, v2
	s_cbranch_execz .LBB288_216
; %bb.213:                              ;   in Loop: Header=BB288_13 Depth=1
	v_and_b32_e32 v0, 7, v9
	v_lshrrev_b32_e32 v1, 3, v2
	s_mov_b32 s28, exec_lo
	v_cmpx_gt_u32_e32 8, v2
; %bb.214:                              ;   in Loop: Header=BB288_13 Depth=1
	v_ffbh_u32_e32 v0, v0
	v_min_u32_e32 v2, 32, v0
	v_subrev_nc_u32_e32 v0, 28, v2
	v_lshlrev_b64 v[0:1], v0, v[9:10]
	v_sub_nc_u32_e32 v1, 29, v2
	v_and_b32_e32 v0, 7, v0
; %bb.215:                              ;   in Loop: Header=BB288_13 Depth=1
	s_or_b32 exec_lo, exec_lo, s28
	v_lshlrev_b32_e32 v2, 8, v9
	v_lshl_add_u32 v1, v1, 10, 0x2000
	v_lshlrev_b32_e32 v0, 7, v0
	v_and_b32_e32 v2, 0x8000, v2
	v_and_b32_e32 v1, 0xfc00, v1
	v_or3_b32 v0, v2, v1, v0
	buffer_store_dword v0, off, s[0:3], s32 offset:308 ; 4-byte Folded Spill
.LBB288_216:                            ;   in Loop: Header=BB288_13 Depth=1
	s_or_b32 exec_lo, exec_lo, s27
.LBB288_217:                            ;   in Loop: Header=BB288_13 Depth=1
	s_or_b32 exec_lo, exec_lo, s26
.LBB288_218:                            ;   in Loop: Header=BB288_13 Depth=1
	s_or_b32 exec_lo, exec_lo, s25
	v_lshrrev_b16 v7, 8, v9
	s_mov_b32 s25, exec_lo
	v_cmpx_ne_u16_e32 0, v7
	s_cbranch_execz .LBB288_226
; %bb.219:                              ;   in Loop: Header=BB288_13 Depth=1
	v_bfrev_b32_e32 v59, 1
	s_mov_b32 s26, exec_lo
	v_cmpx_ne_u16_e32 0x80, v7
	s_cbranch_execz .LBB288_225
; %bb.220:                              ;   in Loop: Header=BB288_13 Depth=1
	v_mov_b32_e32 v0, 0x7f
	v_mov_b32_e32 v59, 0x7c010000
	s_mov_b32 s27, exec_lo
	v_and_b32_sdwa v2, v7, v0 dst_sel:DWORD dst_unused:UNUSED_PAD src0_sel:WORD_0 src1_sel:DWORD
	v_cmpx_ne_u32_e32 0x7f, v2
	s_cbranch_execz .LBB288_224
; %bb.221:                              ;   in Loop: Header=BB288_13 Depth=1
	v_mov_b32_e32 v0, 7
	v_lshrrev_b32_e32 v1, 3, v2
	s_mov_b32 s28, exec_lo
	v_and_b32_sdwa v0, v7, v0 dst_sel:DWORD dst_unused:UNUSED_PAD src0_sel:WORD_0 src1_sel:DWORD
	v_cmpx_gt_u32_e32 8, v2
; %bb.222:                              ;   in Loop: Header=BB288_13 Depth=1
	v_ffbh_u32_e32 v0, v0
	v_min_u32_e32 v2, 32, v0
	v_subrev_nc_u32_e32 v0, 28, v2
	v_lshlrev_b64 v[0:1], v0, v[7:8]
	v_sub_nc_u32_e32 v1, 29, v2
	v_and_b32_e32 v0, 7, v0
; %bb.223:                              ;   in Loop: Header=BB288_13 Depth=1
	s_or_b32 exec_lo, exec_lo, s28
	v_mov_b32_e32 v2, 8
	v_lshl_add_u32 v1, v1, 10, 0x2000
	v_lshlrev_b32_e32 v0, 23, v0
	v_lshlrev_b32_sdwa v2, v2, v7 dst_sel:DWORD dst_unused:UNUSED_PAD src0_sel:DWORD src1_sel:WORD_0
	v_and_or_b32 v1, 0x8000, v2, v1
	v_lshl_or_b32 v59, v1, 16, v0
.LBB288_224:                            ;   in Loop: Header=BB288_13 Depth=1
	s_or_b32 exec_lo, exec_lo, s27
.LBB288_225:                            ;   in Loop: Header=BB288_13 Depth=1
	s_or_b32 exec_lo, exec_lo, s26
.LBB288_226:                            ;   in Loop: Header=BB288_13 Depth=1
	s_or_b32 exec_lo, exec_lo, s25
	v_lshrrev_b32_e32 v7, 16, v9
	v_mov_b32_e32 v61, 0
	v_mov_b32_e32 v0, 0
	v_cmp_ne_u16_sdwa s7, v7, v8 src0_sel:BYTE_0 src1_sel:DWORD
	buffer_store_dword v0, off, s[0:3], s32 offset:312 ; 4-byte Folded Spill
	s_and_saveexec_b32 s25, s7
	s_cbranch_execz .LBB288_234
; %bb.227:                              ;   in Loop: Header=BB288_13 Depth=1
	v_cmp_ne_u16_sdwa s7, v7, v81 src0_sel:BYTE_0 src1_sel:DWORD
	v_mov_b32_e32 v0, 0x8000
	buffer_store_dword v0, off, s[0:3], s32 offset:312 ; 4-byte Folded Spill
	s_and_saveexec_b32 s26, s7
	s_cbranch_execz .LBB288_233
; %bb.228:                              ;   in Loop: Header=BB288_13 Depth=1
	v_bfe_u32 v2, v9, 16, 7
	v_mov_b32_e32 v0, 0x7c01
	s_mov_b32 s27, exec_lo
	buffer_store_dword v0, off, s[0:3], s32 offset:312 ; 4-byte Folded Spill
	v_cmpx_ne_u32_e32 0x7f, v2
	s_cbranch_execz .LBB288_232
; %bb.229:                              ;   in Loop: Header=BB288_13 Depth=1
	v_and_b32_e32 v0, 7, v7
	v_lshrrev_b32_e32 v1, 3, v2
	s_mov_b32 s28, exec_lo
	v_cmpx_gt_u32_e32 8, v2
; %bb.230:                              ;   in Loop: Header=BB288_13 Depth=1
	v_ffbh_u32_e32 v0, v0
	v_min_u32_e32 v2, 32, v0
	v_subrev_nc_u32_e32 v0, 28, v2
	v_lshlrev_b64 v[0:1], v0, v[7:8]
	v_sub_nc_u32_e32 v1, 29, v2
	v_and_b32_e32 v0, 7, v0
; %bb.231:                              ;   in Loop: Header=BB288_13 Depth=1
	s_or_b32 exec_lo, exec_lo, s28
	v_lshlrev_b32_e32 v2, 8, v7
	v_lshl_add_u32 v1, v1, 10, 0x2000
	v_lshlrev_b32_e32 v0, 7, v0
	v_and_b32_e32 v2, 0x8000, v2
	v_and_b32_e32 v1, 0xfc00, v1
	v_or3_b32 v0, v2, v1, v0
	buffer_store_dword v0, off, s[0:3], s32 offset:312 ; 4-byte Folded Spill
.LBB288_232:                            ;   in Loop: Header=BB288_13 Depth=1
	s_or_b32 exec_lo, exec_lo, s27
.LBB288_233:                            ;   in Loop: Header=BB288_13 Depth=1
	s_or_b32 exec_lo, exec_lo, s26
.LBB288_234:                            ;   in Loop: Header=BB288_13 Depth=1
	s_or_b32 exec_lo, exec_lo, s25
	s_mov_b32 s25, exec_lo
	v_cmpx_lt_u32_e32 0xffffff, v9
	s_cbranch_execz .LBB288_242
; %bb.235:                              ;   in Loop: Header=BB288_13 Depth=1
	v_lshrrev_b32_e32 v7, 24, v9
	v_bfrev_b32_e32 v61, 1
	s_mov_b32 s26, exec_lo
	v_cmpx_ne_u32_e32 0x80, v7
	s_cbranch_execz .LBB288_241
; %bb.236:                              ;   in Loop: Header=BB288_13 Depth=1
	v_and_b32_e32 v2, 0x7f, v7
	v_mov_b32_e32 v61, 0x7c010000
	s_mov_b32 s27, exec_lo
	v_cmpx_ne_u32_e32 0x7f, v2
	s_cbranch_execz .LBB288_240
; %bb.237:                              ;   in Loop: Header=BB288_13 Depth=1
	v_and_b32_e32 v0, 7, v7
	v_lshrrev_b32_e32 v1, 3, v2
	s_mov_b32 s28, exec_lo
	v_cmpx_gt_u32_e32 8, v2
; %bb.238:                              ;   in Loop: Header=BB288_13 Depth=1
	v_ffbh_u32_e32 v0, v0
	v_min_u32_e32 v2, 32, v0
	v_subrev_nc_u32_e32 v0, 28, v2
	v_lshlrev_b64 v[0:1], v0, v[7:8]
	v_sub_nc_u32_e32 v1, 29, v2
	v_and_b32_e32 v0, 7, v0
; %bb.239:                              ;   in Loop: Header=BB288_13 Depth=1
	s_or_b32 exec_lo, exec_lo, s28
	v_lshlrev_b32_e32 v2, 8, v7
	v_lshl_add_u32 v1, v1, 10, 0x2000
	v_lshlrev_b32_e32 v0, 23, v0
	v_and_or_b32 v1, 0x8000, v2, v1
	v_lshl_or_b32 v61, v1, 16, v0
.LBB288_240:                            ;   in Loop: Header=BB288_13 Depth=1
	s_or_b32 exec_lo, exec_lo, s27
.LBB288_241:                            ;   in Loop: Header=BB288_13 Depth=1
	s_or_b32 exec_lo, exec_lo, s26
.LBB288_242:                            ;   in Loop: Header=BB288_13 Depth=1
	s_or_b32 exec_lo, exec_lo, s25
	flat_load_dword v9, v[33:34] offset:776
	v_mov_b32_e32 v63, 0
	v_mov_b32_e32 v0, 0
	buffer_store_dword v0, off, s[0:3], s32 offset:316 ; 4-byte Folded Spill
	s_waitcnt vmcnt(0) lgkmcnt(0)
	v_cmp_ne_u16_sdwa s7, v9, v8 src0_sel:BYTE_0 src1_sel:DWORD
	s_and_saveexec_b32 s25, s7
	s_cbranch_execz .LBB288_250
; %bb.243:                              ;   in Loop: Header=BB288_13 Depth=1
	v_cmp_ne_u16_sdwa s7, v9, v81 src0_sel:BYTE_0 src1_sel:DWORD
	v_mov_b32_e32 v0, 0x8000
	buffer_store_dword v0, off, s[0:3], s32 offset:316 ; 4-byte Folded Spill
	s_and_saveexec_b32 s26, s7
	s_cbranch_execz .LBB288_249
; %bb.244:                              ;   in Loop: Header=BB288_13 Depth=1
	v_and_b32_e32 v2, 0x7f, v9
	v_mov_b32_e32 v0, 0x7c01
	s_mov_b32 s27, exec_lo
	buffer_store_dword v0, off, s[0:3], s32 offset:316 ; 4-byte Folded Spill
	v_cmpx_ne_u32_e32 0x7f, v2
	s_cbranch_execz .LBB288_248
; %bb.245:                              ;   in Loop: Header=BB288_13 Depth=1
	v_and_b32_e32 v0, 7, v9
	v_lshrrev_b32_e32 v1, 3, v2
	s_mov_b32 s28, exec_lo
	v_cmpx_gt_u32_e32 8, v2
; %bb.246:                              ;   in Loop: Header=BB288_13 Depth=1
	v_ffbh_u32_e32 v0, v0
	v_min_u32_e32 v2, 32, v0
	v_subrev_nc_u32_e32 v0, 28, v2
	v_lshlrev_b64 v[0:1], v0, v[9:10]
	v_sub_nc_u32_e32 v1, 29, v2
	v_and_b32_e32 v0, 7, v0
; %bb.247:                              ;   in Loop: Header=BB288_13 Depth=1
	s_or_b32 exec_lo, exec_lo, s28
	v_lshlrev_b32_e32 v2, 8, v9
	v_lshl_add_u32 v1, v1, 10, 0x2000
	v_lshlrev_b32_e32 v0, 7, v0
	v_and_b32_e32 v2, 0x8000, v2
	v_and_b32_e32 v1, 0xfc00, v1
	v_or3_b32 v0, v2, v1, v0
	buffer_store_dword v0, off, s[0:3], s32 offset:316 ; 4-byte Folded Spill
.LBB288_248:                            ;   in Loop: Header=BB288_13 Depth=1
	s_or_b32 exec_lo, exec_lo, s27
.LBB288_249:                            ;   in Loop: Header=BB288_13 Depth=1
	s_or_b32 exec_lo, exec_lo, s26
.LBB288_250:                            ;   in Loop: Header=BB288_13 Depth=1
	s_or_b32 exec_lo, exec_lo, s25
	v_lshrrev_b16 v7, 8, v9
	s_mov_b32 s25, exec_lo
	v_cmpx_ne_u16_e32 0, v7
	s_cbranch_execz .LBB288_258
; %bb.251:                              ;   in Loop: Header=BB288_13 Depth=1
	v_bfrev_b32_e32 v63, 1
	s_mov_b32 s26, exec_lo
	v_cmpx_ne_u16_e32 0x80, v7
	s_cbranch_execz .LBB288_257
; %bb.252:                              ;   in Loop: Header=BB288_13 Depth=1
	v_mov_b32_e32 v0, 0x7f
	v_mov_b32_e32 v63, 0x7c010000
	s_mov_b32 s27, exec_lo
	v_and_b32_sdwa v2, v7, v0 dst_sel:DWORD dst_unused:UNUSED_PAD src0_sel:WORD_0 src1_sel:DWORD
	v_cmpx_ne_u32_e32 0x7f, v2
	s_cbranch_execz .LBB288_256
; %bb.253:                              ;   in Loop: Header=BB288_13 Depth=1
	v_mov_b32_e32 v0, 7
	v_lshrrev_b32_e32 v1, 3, v2
	s_mov_b32 s28, exec_lo
	v_and_b32_sdwa v0, v7, v0 dst_sel:DWORD dst_unused:UNUSED_PAD src0_sel:WORD_0 src1_sel:DWORD
	v_cmpx_gt_u32_e32 8, v2
; %bb.254:                              ;   in Loop: Header=BB288_13 Depth=1
	v_ffbh_u32_e32 v0, v0
	v_min_u32_e32 v2, 32, v0
	v_subrev_nc_u32_e32 v0, 28, v2
	v_lshlrev_b64 v[0:1], v0, v[7:8]
	v_sub_nc_u32_e32 v1, 29, v2
	v_and_b32_e32 v0, 7, v0
; %bb.255:                              ;   in Loop: Header=BB288_13 Depth=1
	s_or_b32 exec_lo, exec_lo, s28
	v_mov_b32_e32 v2, 8
	v_lshl_add_u32 v1, v1, 10, 0x2000
	v_lshlrev_b32_e32 v0, 23, v0
	v_lshlrev_b32_sdwa v2, v2, v7 dst_sel:DWORD dst_unused:UNUSED_PAD src0_sel:DWORD src1_sel:WORD_0
	v_and_or_b32 v1, 0x8000, v2, v1
	v_lshl_or_b32 v63, v1, 16, v0
.LBB288_256:                            ;   in Loop: Header=BB288_13 Depth=1
	s_or_b32 exec_lo, exec_lo, s27
.LBB288_257:                            ;   in Loop: Header=BB288_13 Depth=1
	s_or_b32 exec_lo, exec_lo, s26
.LBB288_258:                            ;   in Loop: Header=BB288_13 Depth=1
	s_or_b32 exec_lo, exec_lo, s25
	v_lshrrev_b32_e32 v7, 16, v9
	v_mov_b32_e32 v73, 0
	v_mov_b32_e32 v74, 0
	v_cmp_ne_u16_sdwa s7, v7, v8 src0_sel:BYTE_0 src1_sel:DWORD
	s_and_saveexec_b32 s25, s7
	s_cbranch_execz .LBB288_266
; %bb.259:                              ;   in Loop: Header=BB288_13 Depth=1
	v_cmp_ne_u16_sdwa s7, v7, v81 src0_sel:BYTE_0 src1_sel:DWORD
	v_mov_b32_e32 v74, 0x8000
	s_and_saveexec_b32 s26, s7
	s_cbranch_execz .LBB288_265
; %bb.260:                              ;   in Loop: Header=BB288_13 Depth=1
	v_bfe_u32 v2, v9, 16, 7
	v_mov_b32_e32 v74, 0x7c01
	s_mov_b32 s27, exec_lo
	v_cmpx_ne_u32_e32 0x7f, v2
	s_cbranch_execz .LBB288_264
; %bb.261:                              ;   in Loop: Header=BB288_13 Depth=1
	v_and_b32_e32 v0, 7, v7
	v_lshrrev_b32_e32 v1, 3, v2
	s_mov_b32 s28, exec_lo
	v_cmpx_gt_u32_e32 8, v2
; %bb.262:                              ;   in Loop: Header=BB288_13 Depth=1
	v_ffbh_u32_e32 v0, v0
	v_min_u32_e32 v2, 32, v0
	v_subrev_nc_u32_e32 v0, 28, v2
	v_lshlrev_b64 v[0:1], v0, v[7:8]
	v_sub_nc_u32_e32 v1, 29, v2
	v_and_b32_e32 v0, 7, v0
; %bb.263:                              ;   in Loop: Header=BB288_13 Depth=1
	s_or_b32 exec_lo, exec_lo, s28
	v_lshlrev_b32_e32 v2, 8, v7
	v_lshl_add_u32 v1, v1, 10, 0x2000
	v_lshlrev_b32_e32 v0, 7, v0
	v_and_b32_e32 v2, 0x8000, v2
	v_and_b32_e32 v1, 0xfc00, v1
	v_or3_b32 v74, v2, v1, v0
.LBB288_264:                            ;   in Loop: Header=BB288_13 Depth=1
	s_or_b32 exec_lo, exec_lo, s27
.LBB288_265:                            ;   in Loop: Header=BB288_13 Depth=1
	s_or_b32 exec_lo, exec_lo, s26
.LBB288_266:                            ;   in Loop: Header=BB288_13 Depth=1
	s_or_b32 exec_lo, exec_lo, s25
	s_mov_b32 s25, exec_lo
	v_cmpx_lt_u32_e32 0xffffff, v9
	s_cbranch_execz .LBB288_274
; %bb.267:                              ;   in Loop: Header=BB288_13 Depth=1
	v_lshrrev_b32_e32 v7, 24, v9
	v_bfrev_b32_e32 v73, 1
	s_mov_b32 s26, exec_lo
	v_cmpx_ne_u32_e32 0x80, v7
	s_cbranch_execz .LBB288_273
; %bb.268:                              ;   in Loop: Header=BB288_13 Depth=1
	v_and_b32_e32 v2, 0x7f, v7
	v_mov_b32_e32 v73, 0x7c010000
	s_mov_b32 s27, exec_lo
	v_cmpx_ne_u32_e32 0x7f, v2
	s_cbranch_execz .LBB288_272
; %bb.269:                              ;   in Loop: Header=BB288_13 Depth=1
	v_and_b32_e32 v0, 7, v7
	v_lshrrev_b32_e32 v1, 3, v2
	s_mov_b32 s28, exec_lo
	v_cmpx_gt_u32_e32 8, v2
; %bb.270:                              ;   in Loop: Header=BB288_13 Depth=1
	v_ffbh_u32_e32 v0, v0
	v_min_u32_e32 v2, 32, v0
	v_subrev_nc_u32_e32 v0, 28, v2
	v_lshlrev_b64 v[0:1], v0, v[7:8]
	v_sub_nc_u32_e32 v1, 29, v2
	v_and_b32_e32 v0, 7, v0
; %bb.271:                              ;   in Loop: Header=BB288_13 Depth=1
	s_or_b32 exec_lo, exec_lo, s28
	v_lshlrev_b32_e32 v2, 8, v7
	v_lshl_add_u32 v1, v1, 10, 0x2000
	v_lshlrev_b32_e32 v0, 23, v0
	v_and_or_b32 v1, 0x8000, v2, v1
	v_lshl_or_b32 v73, v1, 16, v0
.LBB288_272:                            ;   in Loop: Header=BB288_13 Depth=1
	s_or_b32 exec_lo, exec_lo, s27
.LBB288_273:                            ;   in Loop: Header=BB288_13 Depth=1
	s_or_b32 exec_lo, exec_lo, s26
.LBB288_274:                            ;   in Loop: Header=BB288_13 Depth=1
	s_or_b32 exec_lo, exec_lo, s25
	flat_load_dword v9, v[33:34] offset:1024
	v_mov_b32_e32 v75, 0
	v_mov_b32_e32 v76, 0
	s_waitcnt vmcnt(0) lgkmcnt(0)
	v_cmp_ne_u16_sdwa s7, v9, v8 src0_sel:BYTE_0 src1_sel:DWORD
	s_and_saveexec_b32 s25, s7
	s_cbranch_execz .LBB288_282
; %bb.275:                              ;   in Loop: Header=BB288_13 Depth=1
	v_cmp_ne_u16_sdwa s7, v9, v81 src0_sel:BYTE_0 src1_sel:DWORD
	v_mov_b32_e32 v76, 0x8000
	s_and_saveexec_b32 s26, s7
	s_cbranch_execz .LBB288_281
; %bb.276:                              ;   in Loop: Header=BB288_13 Depth=1
	v_and_b32_e32 v2, 0x7f, v9
	v_mov_b32_e32 v76, 0x7c01
	s_mov_b32 s27, exec_lo
	v_cmpx_ne_u32_e32 0x7f, v2
	s_cbranch_execz .LBB288_280
; %bb.277:                              ;   in Loop: Header=BB288_13 Depth=1
	v_and_b32_e32 v0, 7, v9
	v_lshrrev_b32_e32 v1, 3, v2
	s_mov_b32 s28, exec_lo
	v_cmpx_gt_u32_e32 8, v2
; %bb.278:                              ;   in Loop: Header=BB288_13 Depth=1
	v_ffbh_u32_e32 v0, v0
	v_min_u32_e32 v2, 32, v0
	v_subrev_nc_u32_e32 v0, 28, v2
	v_lshlrev_b64 v[0:1], v0, v[9:10]
	v_sub_nc_u32_e32 v1, 29, v2
	v_and_b32_e32 v0, 7, v0
; %bb.279:                              ;   in Loop: Header=BB288_13 Depth=1
	s_or_b32 exec_lo, exec_lo, s28
	v_lshlrev_b32_e32 v2, 8, v9
	v_lshl_add_u32 v1, v1, 10, 0x2000
	v_lshlrev_b32_e32 v0, 7, v0
	v_and_b32_e32 v2, 0x8000, v2
	v_and_b32_e32 v1, 0xfc00, v1
	v_or3_b32 v76, v2, v1, v0
.LBB288_280:                            ;   in Loop: Header=BB288_13 Depth=1
	s_or_b32 exec_lo, exec_lo, s27
.LBB288_281:                            ;   in Loop: Header=BB288_13 Depth=1
	s_or_b32 exec_lo, exec_lo, s26
.LBB288_282:                            ;   in Loop: Header=BB288_13 Depth=1
	s_or_b32 exec_lo, exec_lo, s25
	v_lshrrev_b16 v7, 8, v9
	s_mov_b32 s25, exec_lo
	v_cmpx_ne_u16_e32 0, v7
	s_cbranch_execz .LBB288_290
; %bb.283:                              ;   in Loop: Header=BB288_13 Depth=1
	v_bfrev_b32_e32 v75, 1
	s_mov_b32 s26, exec_lo
	v_cmpx_ne_u16_e32 0x80, v7
	s_cbranch_execz .LBB288_289
; %bb.284:                              ;   in Loop: Header=BB288_13 Depth=1
	v_mov_b32_e32 v0, 0x7f
	v_mov_b32_e32 v75, 0x7c010000
	s_mov_b32 s27, exec_lo
	v_and_b32_sdwa v2, v7, v0 dst_sel:DWORD dst_unused:UNUSED_PAD src0_sel:WORD_0 src1_sel:DWORD
	v_cmpx_ne_u32_e32 0x7f, v2
	s_cbranch_execz .LBB288_288
; %bb.285:                              ;   in Loop: Header=BB288_13 Depth=1
	v_mov_b32_e32 v0, 7
	v_lshrrev_b32_e32 v1, 3, v2
	s_mov_b32 s28, exec_lo
	v_and_b32_sdwa v0, v7, v0 dst_sel:DWORD dst_unused:UNUSED_PAD src0_sel:WORD_0 src1_sel:DWORD
	v_cmpx_gt_u32_e32 8, v2
; %bb.286:                              ;   in Loop: Header=BB288_13 Depth=1
	v_ffbh_u32_e32 v0, v0
	v_min_u32_e32 v2, 32, v0
	v_subrev_nc_u32_e32 v0, 28, v2
	v_lshlrev_b64 v[0:1], v0, v[7:8]
	v_sub_nc_u32_e32 v1, 29, v2
	v_and_b32_e32 v0, 7, v0
; %bb.287:                              ;   in Loop: Header=BB288_13 Depth=1
	s_or_b32 exec_lo, exec_lo, s28
	v_mov_b32_e32 v2, 8
	v_lshl_add_u32 v1, v1, 10, 0x2000
	v_lshlrev_b32_e32 v0, 23, v0
	v_lshlrev_b32_sdwa v2, v2, v7 dst_sel:DWORD dst_unused:UNUSED_PAD src0_sel:DWORD src1_sel:WORD_0
	v_and_or_b32 v1, 0x8000, v2, v1
	v_lshl_or_b32 v75, v1, 16, v0
.LBB288_288:                            ;   in Loop: Header=BB288_13 Depth=1
	s_or_b32 exec_lo, exec_lo, s27
.LBB288_289:                            ;   in Loop: Header=BB288_13 Depth=1
	s_or_b32 exec_lo, exec_lo, s26
.LBB288_290:                            ;   in Loop: Header=BB288_13 Depth=1
	s_or_b32 exec_lo, exec_lo, s25
	v_lshrrev_b32_e32 v7, 16, v9
	v_mov_b32_e32 v77, 0
	v_mov_b32_e32 v78, 0
	v_cmp_ne_u16_sdwa s7, v7, v8 src0_sel:BYTE_0 src1_sel:DWORD
	s_and_saveexec_b32 s25, s7
	s_cbranch_execz .LBB288_298
; %bb.291:                              ;   in Loop: Header=BB288_13 Depth=1
	v_cmp_ne_u16_sdwa s7, v7, v81 src0_sel:BYTE_0 src1_sel:DWORD
	v_mov_b32_e32 v78, 0x8000
	s_and_saveexec_b32 s26, s7
	s_cbranch_execz .LBB288_297
; %bb.292:                              ;   in Loop: Header=BB288_13 Depth=1
	v_bfe_u32 v2, v9, 16, 7
	v_mov_b32_e32 v78, 0x7c01
	s_mov_b32 s27, exec_lo
	v_cmpx_ne_u32_e32 0x7f, v2
	s_cbranch_execz .LBB288_296
; %bb.293:                              ;   in Loop: Header=BB288_13 Depth=1
	v_and_b32_e32 v0, 7, v7
	v_lshrrev_b32_e32 v1, 3, v2
	s_mov_b32 s28, exec_lo
	v_cmpx_gt_u32_e32 8, v2
; %bb.294:                              ;   in Loop: Header=BB288_13 Depth=1
	v_ffbh_u32_e32 v0, v0
	v_min_u32_e32 v2, 32, v0
	v_subrev_nc_u32_e32 v0, 28, v2
	v_lshlrev_b64 v[0:1], v0, v[7:8]
	v_sub_nc_u32_e32 v1, 29, v2
	v_and_b32_e32 v0, 7, v0
; %bb.295:                              ;   in Loop: Header=BB288_13 Depth=1
	s_or_b32 exec_lo, exec_lo, s28
	v_lshlrev_b32_e32 v2, 8, v7
	v_lshl_add_u32 v1, v1, 10, 0x2000
	v_lshlrev_b32_e32 v0, 7, v0
	v_and_b32_e32 v2, 0x8000, v2
	v_and_b32_e32 v1, 0xfc00, v1
	v_or3_b32 v78, v2, v1, v0
.LBB288_296:                            ;   in Loop: Header=BB288_13 Depth=1
	s_or_b32 exec_lo, exec_lo, s27
.LBB288_297:                            ;   in Loop: Header=BB288_13 Depth=1
	s_or_b32 exec_lo, exec_lo, s26
.LBB288_298:                            ;   in Loop: Header=BB288_13 Depth=1
	s_or_b32 exec_lo, exec_lo, s25
	s_mov_b32 s25, exec_lo
	v_cmpx_lt_u32_e32 0xffffff, v9
	s_cbranch_execz .LBB288_306
; %bb.299:                              ;   in Loop: Header=BB288_13 Depth=1
	v_lshrrev_b32_e32 v7, 24, v9
	v_bfrev_b32_e32 v77, 1
	s_mov_b32 s26, exec_lo
	v_cmpx_ne_u32_e32 0x80, v7
	s_cbranch_execz .LBB288_305
; %bb.300:                              ;   in Loop: Header=BB288_13 Depth=1
	v_and_b32_e32 v2, 0x7f, v7
	v_mov_b32_e32 v77, 0x7c010000
	s_mov_b32 s27, exec_lo
	v_cmpx_ne_u32_e32 0x7f, v2
	s_cbranch_execz .LBB288_304
; %bb.301:                              ;   in Loop: Header=BB288_13 Depth=1
	v_and_b32_e32 v0, 7, v7
	v_lshrrev_b32_e32 v1, 3, v2
	s_mov_b32 s28, exec_lo
	v_cmpx_gt_u32_e32 8, v2
; %bb.302:                              ;   in Loop: Header=BB288_13 Depth=1
	v_ffbh_u32_e32 v0, v0
	v_min_u32_e32 v2, 32, v0
	v_subrev_nc_u32_e32 v0, 28, v2
	v_lshlrev_b64 v[0:1], v0, v[7:8]
	v_sub_nc_u32_e32 v1, 29, v2
	v_and_b32_e32 v0, 7, v0
; %bb.303:                              ;   in Loop: Header=BB288_13 Depth=1
	s_or_b32 exec_lo, exec_lo, s28
	v_lshlrev_b32_e32 v2, 8, v7
	v_lshl_add_u32 v1, v1, 10, 0x2000
	v_lshlrev_b32_e32 v0, 23, v0
	v_and_or_b32 v1, 0x8000, v2, v1
	v_lshl_or_b32 v77, v1, 16, v0
.LBB288_304:                            ;   in Loop: Header=BB288_13 Depth=1
	s_or_b32 exec_lo, exec_lo, s27
.LBB288_305:                            ;   in Loop: Header=BB288_13 Depth=1
	s_or_b32 exec_lo, exec_lo, s26
.LBB288_306:                            ;   in Loop: Header=BB288_13 Depth=1
	s_or_b32 exec_lo, exec_lo, s25
	flat_load_dword v9, v[33:34] offset:1032
	v_mov_b32_e32 v79, 0
	v_mov_b32_e32 v88, 0
	s_waitcnt vmcnt(0) lgkmcnt(0)
	v_cmp_ne_u16_sdwa s7, v9, v8 src0_sel:BYTE_0 src1_sel:DWORD
	s_and_saveexec_b32 s25, s7
	s_cbranch_execz .LBB288_314
; %bb.307:                              ;   in Loop: Header=BB288_13 Depth=1
	v_cmp_ne_u16_sdwa s7, v9, v81 src0_sel:BYTE_0 src1_sel:DWORD
	v_mov_b32_e32 v88, 0x8000
	s_and_saveexec_b32 s26, s7
	s_cbranch_execz .LBB288_313
; %bb.308:                              ;   in Loop: Header=BB288_13 Depth=1
	v_and_b32_e32 v2, 0x7f, v9
	v_mov_b32_e32 v88, 0x7c01
	s_mov_b32 s27, exec_lo
	v_cmpx_ne_u32_e32 0x7f, v2
	s_cbranch_execz .LBB288_312
; %bb.309:                              ;   in Loop: Header=BB288_13 Depth=1
	v_and_b32_e32 v0, 7, v9
	v_lshrrev_b32_e32 v1, 3, v2
	s_mov_b32 s28, exec_lo
	v_cmpx_gt_u32_e32 8, v2
; %bb.310:                              ;   in Loop: Header=BB288_13 Depth=1
	v_ffbh_u32_e32 v0, v0
	v_min_u32_e32 v2, 32, v0
	v_subrev_nc_u32_e32 v0, 28, v2
	v_lshlrev_b64 v[0:1], v0, v[9:10]
	v_sub_nc_u32_e32 v1, 29, v2
	v_and_b32_e32 v0, 7, v0
; %bb.311:                              ;   in Loop: Header=BB288_13 Depth=1
	s_or_b32 exec_lo, exec_lo, s28
	v_lshlrev_b32_e32 v2, 8, v9
	v_lshl_add_u32 v1, v1, 10, 0x2000
	v_lshlrev_b32_e32 v0, 7, v0
	v_and_b32_e32 v2, 0x8000, v2
	v_and_b32_e32 v1, 0xfc00, v1
	v_or3_b32 v88, v2, v1, v0
.LBB288_312:                            ;   in Loop: Header=BB288_13 Depth=1
	s_or_b32 exec_lo, exec_lo, s27
.LBB288_313:                            ;   in Loop: Header=BB288_13 Depth=1
	s_or_b32 exec_lo, exec_lo, s26
.LBB288_314:                            ;   in Loop: Header=BB288_13 Depth=1
	s_or_b32 exec_lo, exec_lo, s25
	v_lshrrev_b16 v7, 8, v9
	s_mov_b32 s25, exec_lo
	v_cmpx_ne_u16_e32 0, v7
	s_cbranch_execz .LBB288_322
; %bb.315:                              ;   in Loop: Header=BB288_13 Depth=1
	v_bfrev_b32_e32 v79, 1
	s_mov_b32 s26, exec_lo
	v_cmpx_ne_u16_e32 0x80, v7
	s_cbranch_execz .LBB288_321
; %bb.316:                              ;   in Loop: Header=BB288_13 Depth=1
	v_mov_b32_e32 v0, 0x7f
	v_mov_b32_e32 v79, 0x7c010000
	s_mov_b32 s27, exec_lo
	v_and_b32_sdwa v2, v7, v0 dst_sel:DWORD dst_unused:UNUSED_PAD src0_sel:WORD_0 src1_sel:DWORD
	v_cmpx_ne_u32_e32 0x7f, v2
	s_cbranch_execz .LBB288_320
; %bb.317:                              ;   in Loop: Header=BB288_13 Depth=1
	v_mov_b32_e32 v0, 7
	v_lshrrev_b32_e32 v1, 3, v2
	s_mov_b32 s28, exec_lo
	v_and_b32_sdwa v0, v7, v0 dst_sel:DWORD dst_unused:UNUSED_PAD src0_sel:WORD_0 src1_sel:DWORD
	v_cmpx_gt_u32_e32 8, v2
; %bb.318:                              ;   in Loop: Header=BB288_13 Depth=1
	v_ffbh_u32_e32 v0, v0
	v_min_u32_e32 v2, 32, v0
	v_subrev_nc_u32_e32 v0, 28, v2
	v_lshlrev_b64 v[0:1], v0, v[7:8]
	v_sub_nc_u32_e32 v1, 29, v2
	v_and_b32_e32 v0, 7, v0
; %bb.319:                              ;   in Loop: Header=BB288_13 Depth=1
	s_or_b32 exec_lo, exec_lo, s28
	v_mov_b32_e32 v2, 8
	v_lshl_add_u32 v1, v1, 10, 0x2000
	v_lshlrev_b32_e32 v0, 23, v0
	v_lshlrev_b32_sdwa v2, v2, v7 dst_sel:DWORD dst_unused:UNUSED_PAD src0_sel:DWORD src1_sel:WORD_0
	v_and_or_b32 v1, 0x8000, v2, v1
	v_lshl_or_b32 v79, v1, 16, v0
.LBB288_320:                            ;   in Loop: Header=BB288_13 Depth=1
	s_or_b32 exec_lo, exec_lo, s27
.LBB288_321:                            ;   in Loop: Header=BB288_13 Depth=1
	s_or_b32 exec_lo, exec_lo, s26
.LBB288_322:                            ;   in Loop: Header=BB288_13 Depth=1
	s_or_b32 exec_lo, exec_lo, s25
	v_lshrrev_b32_e32 v7, 16, v9
	v_mov_b32_e32 v89, 0
	v_mov_b32_e32 v90, 0
	v_cmp_ne_u16_sdwa s7, v7, v8 src0_sel:BYTE_0 src1_sel:DWORD
	s_and_saveexec_b32 s25, s7
	s_cbranch_execz .LBB288_330
; %bb.323:                              ;   in Loop: Header=BB288_13 Depth=1
	v_cmp_ne_u16_sdwa s7, v7, v81 src0_sel:BYTE_0 src1_sel:DWORD
	v_mov_b32_e32 v90, 0x8000
	s_and_saveexec_b32 s26, s7
	s_cbranch_execz .LBB288_329
; %bb.324:                              ;   in Loop: Header=BB288_13 Depth=1
	v_bfe_u32 v2, v9, 16, 7
	v_mov_b32_e32 v90, 0x7c01
	s_mov_b32 s27, exec_lo
	v_cmpx_ne_u32_e32 0x7f, v2
	s_cbranch_execz .LBB288_328
; %bb.325:                              ;   in Loop: Header=BB288_13 Depth=1
	v_and_b32_e32 v0, 7, v7
	v_lshrrev_b32_e32 v1, 3, v2
	s_mov_b32 s28, exec_lo
	v_cmpx_gt_u32_e32 8, v2
; %bb.326:                              ;   in Loop: Header=BB288_13 Depth=1
	v_ffbh_u32_e32 v0, v0
	v_min_u32_e32 v2, 32, v0
	v_subrev_nc_u32_e32 v0, 28, v2
	v_lshlrev_b64 v[0:1], v0, v[7:8]
	v_sub_nc_u32_e32 v1, 29, v2
	v_and_b32_e32 v0, 7, v0
; %bb.327:                              ;   in Loop: Header=BB288_13 Depth=1
	s_or_b32 exec_lo, exec_lo, s28
	v_lshlrev_b32_e32 v2, 8, v7
	v_lshl_add_u32 v1, v1, 10, 0x2000
	v_lshlrev_b32_e32 v0, 7, v0
	v_and_b32_e32 v2, 0x8000, v2
	v_and_b32_e32 v1, 0xfc00, v1
	v_or3_b32 v90, v2, v1, v0
.LBB288_328:                            ;   in Loop: Header=BB288_13 Depth=1
	s_or_b32 exec_lo, exec_lo, s27
.LBB288_329:                            ;   in Loop: Header=BB288_13 Depth=1
	s_or_b32 exec_lo, exec_lo, s26
.LBB288_330:                            ;   in Loop: Header=BB288_13 Depth=1
	s_or_b32 exec_lo, exec_lo, s25
	s_mov_b32 s25, exec_lo
	v_cmpx_lt_u32_e32 0xffffff, v9
	s_cbranch_execz .LBB288_338
; %bb.331:                              ;   in Loop: Header=BB288_13 Depth=1
	v_lshrrev_b32_e32 v7, 24, v9
	v_bfrev_b32_e32 v89, 1
	s_mov_b32 s26, exec_lo
	v_cmpx_ne_u32_e32 0x80, v7
	s_cbranch_execz .LBB288_337
; %bb.332:                              ;   in Loop: Header=BB288_13 Depth=1
	v_and_b32_e32 v2, 0x7f, v7
	v_mov_b32_e32 v89, 0x7c010000
	s_mov_b32 s27, exec_lo
	v_cmpx_ne_u32_e32 0x7f, v2
	s_cbranch_execz .LBB288_336
; %bb.333:                              ;   in Loop: Header=BB288_13 Depth=1
	v_and_b32_e32 v0, 7, v7
	v_lshrrev_b32_e32 v1, 3, v2
	s_mov_b32 s28, exec_lo
	v_cmpx_gt_u32_e32 8, v2
; %bb.334:                              ;   in Loop: Header=BB288_13 Depth=1
	v_ffbh_u32_e32 v0, v0
	v_min_u32_e32 v2, 32, v0
	v_subrev_nc_u32_e32 v0, 28, v2
	v_lshlrev_b64 v[0:1], v0, v[7:8]
	v_sub_nc_u32_e32 v1, 29, v2
	v_and_b32_e32 v0, 7, v0
; %bb.335:                              ;   in Loop: Header=BB288_13 Depth=1
	s_or_b32 exec_lo, exec_lo, s28
	v_lshlrev_b32_e32 v2, 8, v7
	v_lshl_add_u32 v1, v1, 10, 0x2000
	v_lshlrev_b32_e32 v0, 23, v0
	v_and_or_b32 v1, 0x8000, v2, v1
	v_lshl_or_b32 v89, v1, 16, v0
.LBB288_336:                            ;   in Loop: Header=BB288_13 Depth=1
	s_or_b32 exec_lo, exec_lo, s27
.LBB288_337:                            ;   in Loop: Header=BB288_13 Depth=1
	s_or_b32 exec_lo, exec_lo, s26
.LBB288_338:                            ;   in Loop: Header=BB288_13 Depth=1
	s_or_b32 exec_lo, exec_lo, s25
	flat_load_dword v9, v[33:34] offset:1280
	v_mov_b32_e32 v91, 0
	v_mov_b32_e32 v92, 0
	s_waitcnt vmcnt(0) lgkmcnt(0)
	v_cmp_ne_u16_sdwa s7, v9, v8 src0_sel:BYTE_0 src1_sel:DWORD
	s_and_saveexec_b32 s25, s7
	s_cbranch_execz .LBB288_346
; %bb.339:                              ;   in Loop: Header=BB288_13 Depth=1
	v_cmp_ne_u16_sdwa s7, v9, v81 src0_sel:BYTE_0 src1_sel:DWORD
	v_mov_b32_e32 v92, 0x8000
	s_and_saveexec_b32 s26, s7
	s_cbranch_execz .LBB288_345
; %bb.340:                              ;   in Loop: Header=BB288_13 Depth=1
	v_and_b32_e32 v2, 0x7f, v9
	v_mov_b32_e32 v92, 0x7c01
	s_mov_b32 s27, exec_lo
	v_cmpx_ne_u32_e32 0x7f, v2
	s_cbranch_execz .LBB288_344
; %bb.341:                              ;   in Loop: Header=BB288_13 Depth=1
	v_and_b32_e32 v0, 7, v9
	v_lshrrev_b32_e32 v1, 3, v2
	s_mov_b32 s28, exec_lo
	v_cmpx_gt_u32_e32 8, v2
; %bb.342:                              ;   in Loop: Header=BB288_13 Depth=1
	v_ffbh_u32_e32 v0, v0
	v_min_u32_e32 v2, 32, v0
	v_subrev_nc_u32_e32 v0, 28, v2
	v_lshlrev_b64 v[0:1], v0, v[9:10]
	v_sub_nc_u32_e32 v1, 29, v2
	v_and_b32_e32 v0, 7, v0
; %bb.343:                              ;   in Loop: Header=BB288_13 Depth=1
	s_or_b32 exec_lo, exec_lo, s28
	v_lshlrev_b32_e32 v2, 8, v9
	v_lshl_add_u32 v1, v1, 10, 0x2000
	v_lshlrev_b32_e32 v0, 7, v0
	v_and_b32_e32 v2, 0x8000, v2
	v_and_b32_e32 v1, 0xfc00, v1
	v_or3_b32 v92, v2, v1, v0
.LBB288_344:                            ;   in Loop: Header=BB288_13 Depth=1
	s_or_b32 exec_lo, exec_lo, s27
.LBB288_345:                            ;   in Loop: Header=BB288_13 Depth=1
	s_or_b32 exec_lo, exec_lo, s26
.LBB288_346:                            ;   in Loop: Header=BB288_13 Depth=1
	s_or_b32 exec_lo, exec_lo, s25
	v_lshrrev_b16 v7, 8, v9
	s_mov_b32 s25, exec_lo
	v_cmpx_ne_u16_e32 0, v7
	s_cbranch_execz .LBB288_354
; %bb.347:                              ;   in Loop: Header=BB288_13 Depth=1
	v_bfrev_b32_e32 v91, 1
	s_mov_b32 s26, exec_lo
	v_cmpx_ne_u16_e32 0x80, v7
	s_cbranch_execz .LBB288_353
; %bb.348:                              ;   in Loop: Header=BB288_13 Depth=1
	v_mov_b32_e32 v0, 0x7f
	v_mov_b32_e32 v91, 0x7c010000
	s_mov_b32 s27, exec_lo
	v_and_b32_sdwa v2, v7, v0 dst_sel:DWORD dst_unused:UNUSED_PAD src0_sel:WORD_0 src1_sel:DWORD
	v_cmpx_ne_u32_e32 0x7f, v2
	s_cbranch_execz .LBB288_352
; %bb.349:                              ;   in Loop: Header=BB288_13 Depth=1
	v_mov_b32_e32 v0, 7
	v_lshrrev_b32_e32 v1, 3, v2
	s_mov_b32 s28, exec_lo
	v_and_b32_sdwa v0, v7, v0 dst_sel:DWORD dst_unused:UNUSED_PAD src0_sel:WORD_0 src1_sel:DWORD
	v_cmpx_gt_u32_e32 8, v2
; %bb.350:                              ;   in Loop: Header=BB288_13 Depth=1
	v_ffbh_u32_e32 v0, v0
	v_min_u32_e32 v2, 32, v0
	v_subrev_nc_u32_e32 v0, 28, v2
	v_lshlrev_b64 v[0:1], v0, v[7:8]
	v_sub_nc_u32_e32 v1, 29, v2
	v_and_b32_e32 v0, 7, v0
; %bb.351:                              ;   in Loop: Header=BB288_13 Depth=1
	s_or_b32 exec_lo, exec_lo, s28
	v_mov_b32_e32 v2, 8
	v_lshl_add_u32 v1, v1, 10, 0x2000
	v_lshlrev_b32_e32 v0, 23, v0
	v_lshlrev_b32_sdwa v2, v2, v7 dst_sel:DWORD dst_unused:UNUSED_PAD src0_sel:DWORD src1_sel:WORD_0
	v_and_or_b32 v1, 0x8000, v2, v1
	v_lshl_or_b32 v91, v1, 16, v0
.LBB288_352:                            ;   in Loop: Header=BB288_13 Depth=1
	s_or_b32 exec_lo, exec_lo, s27
.LBB288_353:                            ;   in Loop: Header=BB288_13 Depth=1
	s_or_b32 exec_lo, exec_lo, s26
.LBB288_354:                            ;   in Loop: Header=BB288_13 Depth=1
	s_or_b32 exec_lo, exec_lo, s25
	v_lshrrev_b32_e32 v7, 16, v9
	v_mov_b32_e32 v93, 0
	v_mov_b32_e32 v94, 0
	v_cmp_ne_u16_sdwa s7, v7, v8 src0_sel:BYTE_0 src1_sel:DWORD
	s_and_saveexec_b32 s25, s7
	s_cbranch_execz .LBB288_362
; %bb.355:                              ;   in Loop: Header=BB288_13 Depth=1
	v_cmp_ne_u16_sdwa s7, v7, v81 src0_sel:BYTE_0 src1_sel:DWORD
	v_mov_b32_e32 v94, 0x8000
	s_and_saveexec_b32 s26, s7
	s_cbranch_execz .LBB288_361
; %bb.356:                              ;   in Loop: Header=BB288_13 Depth=1
	v_bfe_u32 v2, v9, 16, 7
	v_mov_b32_e32 v94, 0x7c01
	s_mov_b32 s27, exec_lo
	v_cmpx_ne_u32_e32 0x7f, v2
	s_cbranch_execz .LBB288_360
; %bb.357:                              ;   in Loop: Header=BB288_13 Depth=1
	v_and_b32_e32 v0, 7, v7
	v_lshrrev_b32_e32 v1, 3, v2
	s_mov_b32 s28, exec_lo
	v_cmpx_gt_u32_e32 8, v2
; %bb.358:                              ;   in Loop: Header=BB288_13 Depth=1
	v_ffbh_u32_e32 v0, v0
	v_min_u32_e32 v2, 32, v0
	v_subrev_nc_u32_e32 v0, 28, v2
	v_lshlrev_b64 v[0:1], v0, v[7:8]
	v_sub_nc_u32_e32 v1, 29, v2
	v_and_b32_e32 v0, 7, v0
; %bb.359:                              ;   in Loop: Header=BB288_13 Depth=1
	s_or_b32 exec_lo, exec_lo, s28
	v_lshlrev_b32_e32 v2, 8, v7
	v_lshl_add_u32 v1, v1, 10, 0x2000
	v_lshlrev_b32_e32 v0, 7, v0
	v_and_b32_e32 v2, 0x8000, v2
	v_and_b32_e32 v1, 0xfc00, v1
	v_or3_b32 v94, v2, v1, v0
.LBB288_360:                            ;   in Loop: Header=BB288_13 Depth=1
	s_or_b32 exec_lo, exec_lo, s27
.LBB288_361:                            ;   in Loop: Header=BB288_13 Depth=1
	s_or_b32 exec_lo, exec_lo, s26
.LBB288_362:                            ;   in Loop: Header=BB288_13 Depth=1
	s_or_b32 exec_lo, exec_lo, s25
	s_mov_b32 s25, exec_lo
	v_cmpx_lt_u32_e32 0xffffff, v9
	s_cbranch_execz .LBB288_370
; %bb.363:                              ;   in Loop: Header=BB288_13 Depth=1
	v_lshrrev_b32_e32 v7, 24, v9
	v_bfrev_b32_e32 v93, 1
	s_mov_b32 s26, exec_lo
	v_cmpx_ne_u32_e32 0x80, v7
	s_cbranch_execz .LBB288_369
; %bb.364:                              ;   in Loop: Header=BB288_13 Depth=1
	v_and_b32_e32 v2, 0x7f, v7
	v_mov_b32_e32 v93, 0x7c010000
	s_mov_b32 s27, exec_lo
	v_cmpx_ne_u32_e32 0x7f, v2
	s_cbranch_execz .LBB288_368
; %bb.365:                              ;   in Loop: Header=BB288_13 Depth=1
	v_and_b32_e32 v0, 7, v7
	v_lshrrev_b32_e32 v1, 3, v2
	s_mov_b32 s28, exec_lo
	v_cmpx_gt_u32_e32 8, v2
; %bb.366:                              ;   in Loop: Header=BB288_13 Depth=1
	v_ffbh_u32_e32 v0, v0
	v_min_u32_e32 v2, 32, v0
	v_subrev_nc_u32_e32 v0, 28, v2
	v_lshlrev_b64 v[0:1], v0, v[7:8]
	v_sub_nc_u32_e32 v1, 29, v2
	v_and_b32_e32 v0, 7, v0
; %bb.367:                              ;   in Loop: Header=BB288_13 Depth=1
	s_or_b32 exec_lo, exec_lo, s28
	v_lshlrev_b32_e32 v2, 8, v7
	v_lshl_add_u32 v1, v1, 10, 0x2000
	v_lshlrev_b32_e32 v0, 23, v0
	v_and_or_b32 v1, 0x8000, v2, v1
	v_lshl_or_b32 v93, v1, 16, v0
.LBB288_368:                            ;   in Loop: Header=BB288_13 Depth=1
	s_or_b32 exec_lo, exec_lo, s27
.LBB288_369:                            ;   in Loop: Header=BB288_13 Depth=1
	s_or_b32 exec_lo, exec_lo, s26
.LBB288_370:                            ;   in Loop: Header=BB288_13 Depth=1
	s_or_b32 exec_lo, exec_lo, s25
	flat_load_dword v9, v[33:34] offset:1288
	v_mov_b32_e32 v95, 0
	v_mov_b32_e32 v104, 0
	s_waitcnt vmcnt(0) lgkmcnt(0)
	v_cmp_ne_u16_sdwa s7, v9, v8 src0_sel:BYTE_0 src1_sel:DWORD
	s_and_saveexec_b32 s25, s7
	s_cbranch_execz .LBB288_378
; %bb.371:                              ;   in Loop: Header=BB288_13 Depth=1
	v_cmp_ne_u16_sdwa s7, v9, v81 src0_sel:BYTE_0 src1_sel:DWORD
	v_mov_b32_e32 v104, 0x8000
	s_and_saveexec_b32 s26, s7
	s_cbranch_execz .LBB288_377
; %bb.372:                              ;   in Loop: Header=BB288_13 Depth=1
	v_and_b32_e32 v2, 0x7f, v9
	v_mov_b32_e32 v104, 0x7c01
	s_mov_b32 s27, exec_lo
	v_cmpx_ne_u32_e32 0x7f, v2
	s_cbranch_execz .LBB288_376
; %bb.373:                              ;   in Loop: Header=BB288_13 Depth=1
	v_and_b32_e32 v0, 7, v9
	v_lshrrev_b32_e32 v1, 3, v2
	s_mov_b32 s28, exec_lo
	v_cmpx_gt_u32_e32 8, v2
; %bb.374:                              ;   in Loop: Header=BB288_13 Depth=1
	v_ffbh_u32_e32 v0, v0
	v_min_u32_e32 v2, 32, v0
	v_subrev_nc_u32_e32 v0, 28, v2
	v_lshlrev_b64 v[0:1], v0, v[9:10]
	v_sub_nc_u32_e32 v1, 29, v2
	v_and_b32_e32 v0, 7, v0
; %bb.375:                              ;   in Loop: Header=BB288_13 Depth=1
	s_or_b32 exec_lo, exec_lo, s28
	v_lshlrev_b32_e32 v2, 8, v9
	v_lshl_add_u32 v1, v1, 10, 0x2000
	v_lshlrev_b32_e32 v0, 7, v0
	v_and_b32_e32 v2, 0x8000, v2
	v_and_b32_e32 v1, 0xfc00, v1
	v_or3_b32 v104, v2, v1, v0
.LBB288_376:                            ;   in Loop: Header=BB288_13 Depth=1
	s_or_b32 exec_lo, exec_lo, s27
.LBB288_377:                            ;   in Loop: Header=BB288_13 Depth=1
	s_or_b32 exec_lo, exec_lo, s26
.LBB288_378:                            ;   in Loop: Header=BB288_13 Depth=1
	s_or_b32 exec_lo, exec_lo, s25
	v_lshrrev_b16 v7, 8, v9
	s_mov_b32 s25, exec_lo
	v_cmpx_ne_u16_e32 0, v7
	s_cbranch_execz .LBB288_386
; %bb.379:                              ;   in Loop: Header=BB288_13 Depth=1
	v_bfrev_b32_e32 v95, 1
	s_mov_b32 s26, exec_lo
	v_cmpx_ne_u16_e32 0x80, v7
	s_cbranch_execz .LBB288_385
; %bb.380:                              ;   in Loop: Header=BB288_13 Depth=1
	v_mov_b32_e32 v0, 0x7f
	v_mov_b32_e32 v95, 0x7c010000
	s_mov_b32 s27, exec_lo
	v_and_b32_sdwa v2, v7, v0 dst_sel:DWORD dst_unused:UNUSED_PAD src0_sel:WORD_0 src1_sel:DWORD
	v_cmpx_ne_u32_e32 0x7f, v2
	s_cbranch_execz .LBB288_384
; %bb.381:                              ;   in Loop: Header=BB288_13 Depth=1
	v_mov_b32_e32 v0, 7
	v_lshrrev_b32_e32 v1, 3, v2
	s_mov_b32 s28, exec_lo
	v_and_b32_sdwa v0, v7, v0 dst_sel:DWORD dst_unused:UNUSED_PAD src0_sel:WORD_0 src1_sel:DWORD
	v_cmpx_gt_u32_e32 8, v2
; %bb.382:                              ;   in Loop: Header=BB288_13 Depth=1
	v_ffbh_u32_e32 v0, v0
	v_min_u32_e32 v2, 32, v0
	v_subrev_nc_u32_e32 v0, 28, v2
	v_lshlrev_b64 v[0:1], v0, v[7:8]
	v_sub_nc_u32_e32 v1, 29, v2
	v_and_b32_e32 v0, 7, v0
; %bb.383:                              ;   in Loop: Header=BB288_13 Depth=1
	s_or_b32 exec_lo, exec_lo, s28
	v_mov_b32_e32 v2, 8
	v_lshl_add_u32 v1, v1, 10, 0x2000
	v_lshlrev_b32_e32 v0, 23, v0
	v_lshlrev_b32_sdwa v2, v2, v7 dst_sel:DWORD dst_unused:UNUSED_PAD src0_sel:DWORD src1_sel:WORD_0
	v_and_or_b32 v1, 0x8000, v2, v1
	v_lshl_or_b32 v95, v1, 16, v0
.LBB288_384:                            ;   in Loop: Header=BB288_13 Depth=1
	s_or_b32 exec_lo, exec_lo, s27
.LBB288_385:                            ;   in Loop: Header=BB288_13 Depth=1
	s_or_b32 exec_lo, exec_lo, s26
.LBB288_386:                            ;   in Loop: Header=BB288_13 Depth=1
	s_or_b32 exec_lo, exec_lo, s25
	v_lshrrev_b32_e32 v7, 16, v9
	v_mov_b32_e32 v105, 0
	v_mov_b32_e32 v106, 0
	v_cmp_ne_u16_sdwa s7, v7, v8 src0_sel:BYTE_0 src1_sel:DWORD
	s_and_saveexec_b32 s25, s7
	s_cbranch_execz .LBB288_394
; %bb.387:                              ;   in Loop: Header=BB288_13 Depth=1
	v_cmp_ne_u16_sdwa s7, v7, v81 src0_sel:BYTE_0 src1_sel:DWORD
	v_mov_b32_e32 v106, 0x8000
	s_and_saveexec_b32 s26, s7
	s_cbranch_execz .LBB288_393
; %bb.388:                              ;   in Loop: Header=BB288_13 Depth=1
	v_bfe_u32 v2, v9, 16, 7
	v_mov_b32_e32 v106, 0x7c01
	s_mov_b32 s27, exec_lo
	v_cmpx_ne_u32_e32 0x7f, v2
	s_cbranch_execz .LBB288_392
; %bb.389:                              ;   in Loop: Header=BB288_13 Depth=1
	v_and_b32_e32 v0, 7, v7
	v_lshrrev_b32_e32 v1, 3, v2
	s_mov_b32 s28, exec_lo
	v_cmpx_gt_u32_e32 8, v2
; %bb.390:                              ;   in Loop: Header=BB288_13 Depth=1
	v_ffbh_u32_e32 v0, v0
	v_min_u32_e32 v2, 32, v0
	v_subrev_nc_u32_e32 v0, 28, v2
	v_lshlrev_b64 v[0:1], v0, v[7:8]
	v_sub_nc_u32_e32 v1, 29, v2
	v_and_b32_e32 v0, 7, v0
; %bb.391:                              ;   in Loop: Header=BB288_13 Depth=1
	s_or_b32 exec_lo, exec_lo, s28
	v_lshlrev_b32_e32 v2, 8, v7
	v_lshl_add_u32 v1, v1, 10, 0x2000
	v_lshlrev_b32_e32 v0, 7, v0
	v_and_b32_e32 v2, 0x8000, v2
	v_and_b32_e32 v1, 0xfc00, v1
	v_or3_b32 v106, v2, v1, v0
.LBB288_392:                            ;   in Loop: Header=BB288_13 Depth=1
	s_or_b32 exec_lo, exec_lo, s27
.LBB288_393:                            ;   in Loop: Header=BB288_13 Depth=1
	s_or_b32 exec_lo, exec_lo, s26
.LBB288_394:                            ;   in Loop: Header=BB288_13 Depth=1
	s_or_b32 exec_lo, exec_lo, s25
	s_mov_b32 s25, exec_lo
	v_cmpx_lt_u32_e32 0xffffff, v9
	s_cbranch_execz .LBB288_402
; %bb.395:                              ;   in Loop: Header=BB288_13 Depth=1
	v_lshrrev_b32_e32 v7, 24, v9
	v_bfrev_b32_e32 v105, 1
	s_mov_b32 s26, exec_lo
	v_cmpx_ne_u32_e32 0x80, v7
	s_cbranch_execz .LBB288_401
; %bb.396:                              ;   in Loop: Header=BB288_13 Depth=1
	v_and_b32_e32 v2, 0x7f, v7
	v_mov_b32_e32 v105, 0x7c010000
	s_mov_b32 s27, exec_lo
	v_cmpx_ne_u32_e32 0x7f, v2
	s_cbranch_execz .LBB288_400
; %bb.397:                              ;   in Loop: Header=BB288_13 Depth=1
	v_and_b32_e32 v0, 7, v7
	v_lshrrev_b32_e32 v1, 3, v2
	s_mov_b32 s28, exec_lo
	v_cmpx_gt_u32_e32 8, v2
; %bb.398:                              ;   in Loop: Header=BB288_13 Depth=1
	v_ffbh_u32_e32 v0, v0
	v_min_u32_e32 v2, 32, v0
	v_subrev_nc_u32_e32 v0, 28, v2
	v_lshlrev_b64 v[0:1], v0, v[7:8]
	v_sub_nc_u32_e32 v1, 29, v2
	v_and_b32_e32 v0, 7, v0
; %bb.399:                              ;   in Loop: Header=BB288_13 Depth=1
	s_or_b32 exec_lo, exec_lo, s28
	v_lshlrev_b32_e32 v2, 8, v7
	v_lshl_add_u32 v1, v1, 10, 0x2000
	v_lshlrev_b32_e32 v0, 23, v0
	v_and_or_b32 v1, 0x8000, v2, v1
	v_lshl_or_b32 v105, v1, 16, v0
.LBB288_400:                            ;   in Loop: Header=BB288_13 Depth=1
	s_or_b32 exec_lo, exec_lo, s27
.LBB288_401:                            ;   in Loop: Header=BB288_13 Depth=1
	s_or_b32 exec_lo, exec_lo, s26
.LBB288_402:                            ;   in Loop: Header=BB288_13 Depth=1
	s_or_b32 exec_lo, exec_lo, s25
	flat_load_dword v9, v[33:34] offset:1536
	v_mov_b32_e32 v107, 0
	v_mov_b32_e32 v108, 0
	s_waitcnt vmcnt(0) lgkmcnt(0)
	v_cmp_ne_u16_sdwa s7, v9, v8 src0_sel:BYTE_0 src1_sel:DWORD
	s_and_saveexec_b32 s25, s7
	s_cbranch_execz .LBB288_410
; %bb.403:                              ;   in Loop: Header=BB288_13 Depth=1
	v_cmp_ne_u16_sdwa s7, v9, v81 src0_sel:BYTE_0 src1_sel:DWORD
	v_mov_b32_e32 v108, 0x8000
	s_and_saveexec_b32 s26, s7
	s_cbranch_execz .LBB288_409
; %bb.404:                              ;   in Loop: Header=BB288_13 Depth=1
	v_and_b32_e32 v2, 0x7f, v9
	v_mov_b32_e32 v108, 0x7c01
	s_mov_b32 s27, exec_lo
	v_cmpx_ne_u32_e32 0x7f, v2
	s_cbranch_execz .LBB288_408
; %bb.405:                              ;   in Loop: Header=BB288_13 Depth=1
	v_and_b32_e32 v0, 7, v9
	v_lshrrev_b32_e32 v1, 3, v2
	s_mov_b32 s28, exec_lo
	v_cmpx_gt_u32_e32 8, v2
; %bb.406:                              ;   in Loop: Header=BB288_13 Depth=1
	v_ffbh_u32_e32 v0, v0
	v_min_u32_e32 v2, 32, v0
	v_subrev_nc_u32_e32 v0, 28, v2
	v_lshlrev_b64 v[0:1], v0, v[9:10]
	v_sub_nc_u32_e32 v1, 29, v2
	v_and_b32_e32 v0, 7, v0
; %bb.407:                              ;   in Loop: Header=BB288_13 Depth=1
	s_or_b32 exec_lo, exec_lo, s28
	v_lshlrev_b32_e32 v2, 8, v9
	v_lshl_add_u32 v1, v1, 10, 0x2000
	v_lshlrev_b32_e32 v0, 7, v0
	v_and_b32_e32 v2, 0x8000, v2
	v_and_b32_e32 v1, 0xfc00, v1
	v_or3_b32 v108, v2, v1, v0
.LBB288_408:                            ;   in Loop: Header=BB288_13 Depth=1
	s_or_b32 exec_lo, exec_lo, s27
.LBB288_409:                            ;   in Loop: Header=BB288_13 Depth=1
	s_or_b32 exec_lo, exec_lo, s26
.LBB288_410:                            ;   in Loop: Header=BB288_13 Depth=1
	s_or_b32 exec_lo, exec_lo, s25
	v_lshrrev_b16 v7, 8, v9
	s_mov_b32 s25, exec_lo
	v_cmpx_ne_u16_e32 0, v7
	s_cbranch_execz .LBB288_418
; %bb.411:                              ;   in Loop: Header=BB288_13 Depth=1
	v_bfrev_b32_e32 v107, 1
	s_mov_b32 s26, exec_lo
	v_cmpx_ne_u16_e32 0x80, v7
	s_cbranch_execz .LBB288_417
; %bb.412:                              ;   in Loop: Header=BB288_13 Depth=1
	v_mov_b32_e32 v0, 0x7f
	v_mov_b32_e32 v107, 0x7c010000
	s_mov_b32 s27, exec_lo
	v_and_b32_sdwa v2, v7, v0 dst_sel:DWORD dst_unused:UNUSED_PAD src0_sel:WORD_0 src1_sel:DWORD
	v_cmpx_ne_u32_e32 0x7f, v2
	s_cbranch_execz .LBB288_416
; %bb.413:                              ;   in Loop: Header=BB288_13 Depth=1
	v_mov_b32_e32 v0, 7
	v_lshrrev_b32_e32 v1, 3, v2
	s_mov_b32 s28, exec_lo
	v_and_b32_sdwa v0, v7, v0 dst_sel:DWORD dst_unused:UNUSED_PAD src0_sel:WORD_0 src1_sel:DWORD
	v_cmpx_gt_u32_e32 8, v2
; %bb.414:                              ;   in Loop: Header=BB288_13 Depth=1
	v_ffbh_u32_e32 v0, v0
	v_min_u32_e32 v2, 32, v0
	v_subrev_nc_u32_e32 v0, 28, v2
	v_lshlrev_b64 v[0:1], v0, v[7:8]
	v_sub_nc_u32_e32 v1, 29, v2
	v_and_b32_e32 v0, 7, v0
; %bb.415:                              ;   in Loop: Header=BB288_13 Depth=1
	s_or_b32 exec_lo, exec_lo, s28
	v_mov_b32_e32 v2, 8
	v_lshl_add_u32 v1, v1, 10, 0x2000
	v_lshlrev_b32_e32 v0, 23, v0
	v_lshlrev_b32_sdwa v2, v2, v7 dst_sel:DWORD dst_unused:UNUSED_PAD src0_sel:DWORD src1_sel:WORD_0
	v_and_or_b32 v1, 0x8000, v2, v1
	v_lshl_or_b32 v107, v1, 16, v0
.LBB288_416:                            ;   in Loop: Header=BB288_13 Depth=1
	s_or_b32 exec_lo, exec_lo, s27
.LBB288_417:                            ;   in Loop: Header=BB288_13 Depth=1
	s_or_b32 exec_lo, exec_lo, s26
.LBB288_418:                            ;   in Loop: Header=BB288_13 Depth=1
	s_or_b32 exec_lo, exec_lo, s25
	v_lshrrev_b32_e32 v7, 16, v9
	v_mov_b32_e32 v109, 0
	v_mov_b32_e32 v110, 0
	v_cmp_ne_u16_sdwa s7, v7, v8 src0_sel:BYTE_0 src1_sel:DWORD
	s_and_saveexec_b32 s25, s7
	s_cbranch_execz .LBB288_426
; %bb.419:                              ;   in Loop: Header=BB288_13 Depth=1
	v_cmp_ne_u16_sdwa s7, v7, v81 src0_sel:BYTE_0 src1_sel:DWORD
	v_mov_b32_e32 v110, 0x8000
	s_and_saveexec_b32 s26, s7
	s_cbranch_execz .LBB288_425
; %bb.420:                              ;   in Loop: Header=BB288_13 Depth=1
	v_bfe_u32 v2, v9, 16, 7
	v_mov_b32_e32 v110, 0x7c01
	s_mov_b32 s27, exec_lo
	v_cmpx_ne_u32_e32 0x7f, v2
	s_cbranch_execz .LBB288_424
; %bb.421:                              ;   in Loop: Header=BB288_13 Depth=1
	v_and_b32_e32 v0, 7, v7
	v_lshrrev_b32_e32 v1, 3, v2
	s_mov_b32 s28, exec_lo
	v_cmpx_gt_u32_e32 8, v2
; %bb.422:                              ;   in Loop: Header=BB288_13 Depth=1
	v_ffbh_u32_e32 v0, v0
	v_min_u32_e32 v2, 32, v0
	v_subrev_nc_u32_e32 v0, 28, v2
	v_lshlrev_b64 v[0:1], v0, v[7:8]
	v_sub_nc_u32_e32 v1, 29, v2
	v_and_b32_e32 v0, 7, v0
; %bb.423:                              ;   in Loop: Header=BB288_13 Depth=1
	s_or_b32 exec_lo, exec_lo, s28
	v_lshlrev_b32_e32 v2, 8, v7
	v_lshl_add_u32 v1, v1, 10, 0x2000
	v_lshlrev_b32_e32 v0, 7, v0
	v_and_b32_e32 v2, 0x8000, v2
	v_and_b32_e32 v1, 0xfc00, v1
	v_or3_b32 v110, v2, v1, v0
.LBB288_424:                            ;   in Loop: Header=BB288_13 Depth=1
	s_or_b32 exec_lo, exec_lo, s27
.LBB288_425:                            ;   in Loop: Header=BB288_13 Depth=1
	s_or_b32 exec_lo, exec_lo, s26
.LBB288_426:                            ;   in Loop: Header=BB288_13 Depth=1
	s_or_b32 exec_lo, exec_lo, s25
	s_mov_b32 s25, exec_lo
	v_cmpx_lt_u32_e32 0xffffff, v9
	s_cbranch_execz .LBB288_434
; %bb.427:                              ;   in Loop: Header=BB288_13 Depth=1
	v_lshrrev_b32_e32 v7, 24, v9
	v_bfrev_b32_e32 v109, 1
	s_mov_b32 s26, exec_lo
	v_cmpx_ne_u32_e32 0x80, v7
	s_cbranch_execz .LBB288_433
; %bb.428:                              ;   in Loop: Header=BB288_13 Depth=1
	v_and_b32_e32 v2, 0x7f, v7
	v_mov_b32_e32 v109, 0x7c010000
	s_mov_b32 s27, exec_lo
	v_cmpx_ne_u32_e32 0x7f, v2
	s_cbranch_execz .LBB288_432
; %bb.429:                              ;   in Loop: Header=BB288_13 Depth=1
	v_and_b32_e32 v0, 7, v7
	v_lshrrev_b32_e32 v1, 3, v2
	s_mov_b32 s28, exec_lo
	v_cmpx_gt_u32_e32 8, v2
; %bb.430:                              ;   in Loop: Header=BB288_13 Depth=1
	v_ffbh_u32_e32 v0, v0
	v_min_u32_e32 v2, 32, v0
	v_subrev_nc_u32_e32 v0, 28, v2
	v_lshlrev_b64 v[0:1], v0, v[7:8]
	v_sub_nc_u32_e32 v1, 29, v2
	v_and_b32_e32 v0, 7, v0
; %bb.431:                              ;   in Loop: Header=BB288_13 Depth=1
	s_or_b32 exec_lo, exec_lo, s28
	v_lshlrev_b32_e32 v2, 8, v7
	v_lshl_add_u32 v1, v1, 10, 0x2000
	v_lshlrev_b32_e32 v0, 23, v0
	v_and_or_b32 v1, 0x8000, v2, v1
	v_lshl_or_b32 v109, v1, 16, v0
.LBB288_432:                            ;   in Loop: Header=BB288_13 Depth=1
	s_or_b32 exec_lo, exec_lo, s27
.LBB288_433:                            ;   in Loop: Header=BB288_13 Depth=1
	s_or_b32 exec_lo, exec_lo, s26
.LBB288_434:                            ;   in Loop: Header=BB288_13 Depth=1
	s_or_b32 exec_lo, exec_lo, s25
	flat_load_dword v9, v[33:34] offset:1544
	v_mov_b32_e32 v111, 0
	v_mov_b32_e32 v120, 0
	s_waitcnt vmcnt(0) lgkmcnt(0)
	v_cmp_ne_u16_sdwa s7, v9, v8 src0_sel:BYTE_0 src1_sel:DWORD
	s_and_saveexec_b32 s25, s7
	s_cbranch_execz .LBB288_442
; %bb.435:                              ;   in Loop: Header=BB288_13 Depth=1
	v_cmp_ne_u16_sdwa s7, v9, v81 src0_sel:BYTE_0 src1_sel:DWORD
	v_mov_b32_e32 v120, 0x8000
	s_and_saveexec_b32 s26, s7
	s_cbranch_execz .LBB288_441
; %bb.436:                              ;   in Loop: Header=BB288_13 Depth=1
	v_and_b32_e32 v2, 0x7f, v9
	v_mov_b32_e32 v120, 0x7c01
	s_mov_b32 s27, exec_lo
	v_cmpx_ne_u32_e32 0x7f, v2
	s_cbranch_execz .LBB288_440
; %bb.437:                              ;   in Loop: Header=BB288_13 Depth=1
	v_and_b32_e32 v0, 7, v9
	v_lshrrev_b32_e32 v1, 3, v2
	s_mov_b32 s28, exec_lo
	v_cmpx_gt_u32_e32 8, v2
; %bb.438:                              ;   in Loop: Header=BB288_13 Depth=1
	v_ffbh_u32_e32 v0, v0
	v_min_u32_e32 v2, 32, v0
	v_subrev_nc_u32_e32 v0, 28, v2
	v_lshlrev_b64 v[0:1], v0, v[9:10]
	v_sub_nc_u32_e32 v1, 29, v2
	v_and_b32_e32 v0, 7, v0
; %bb.439:                              ;   in Loop: Header=BB288_13 Depth=1
	s_or_b32 exec_lo, exec_lo, s28
	v_lshlrev_b32_e32 v2, 8, v9
	v_lshl_add_u32 v1, v1, 10, 0x2000
	v_lshlrev_b32_e32 v0, 7, v0
	v_and_b32_e32 v2, 0x8000, v2
	v_and_b32_e32 v1, 0xfc00, v1
	v_or3_b32 v120, v2, v1, v0
.LBB288_440:                            ;   in Loop: Header=BB288_13 Depth=1
	s_or_b32 exec_lo, exec_lo, s27
.LBB288_441:                            ;   in Loop: Header=BB288_13 Depth=1
	s_or_b32 exec_lo, exec_lo, s26
.LBB288_442:                            ;   in Loop: Header=BB288_13 Depth=1
	s_or_b32 exec_lo, exec_lo, s25
	v_lshrrev_b16 v7, 8, v9
	s_mov_b32 s25, exec_lo
	v_cmpx_ne_u16_e32 0, v7
	s_cbranch_execz .LBB288_450
; %bb.443:                              ;   in Loop: Header=BB288_13 Depth=1
	v_bfrev_b32_e32 v111, 1
	s_mov_b32 s26, exec_lo
	v_cmpx_ne_u16_e32 0x80, v7
	s_cbranch_execz .LBB288_449
; %bb.444:                              ;   in Loop: Header=BB288_13 Depth=1
	v_mov_b32_e32 v0, 0x7f
	v_mov_b32_e32 v111, 0x7c010000
	s_mov_b32 s27, exec_lo
	v_and_b32_sdwa v2, v7, v0 dst_sel:DWORD dst_unused:UNUSED_PAD src0_sel:WORD_0 src1_sel:DWORD
	v_cmpx_ne_u32_e32 0x7f, v2
	s_cbranch_execz .LBB288_448
; %bb.445:                              ;   in Loop: Header=BB288_13 Depth=1
	v_mov_b32_e32 v0, 7
	v_lshrrev_b32_e32 v1, 3, v2
	s_mov_b32 s28, exec_lo
	v_and_b32_sdwa v0, v7, v0 dst_sel:DWORD dst_unused:UNUSED_PAD src0_sel:WORD_0 src1_sel:DWORD
	v_cmpx_gt_u32_e32 8, v2
; %bb.446:                              ;   in Loop: Header=BB288_13 Depth=1
	v_ffbh_u32_e32 v0, v0
	v_min_u32_e32 v2, 32, v0
	v_subrev_nc_u32_e32 v0, 28, v2
	v_lshlrev_b64 v[0:1], v0, v[7:8]
	v_sub_nc_u32_e32 v1, 29, v2
	v_and_b32_e32 v0, 7, v0
; %bb.447:                              ;   in Loop: Header=BB288_13 Depth=1
	s_or_b32 exec_lo, exec_lo, s28
	v_mov_b32_e32 v2, 8
	v_lshl_add_u32 v1, v1, 10, 0x2000
	v_lshlrev_b32_e32 v0, 23, v0
	v_lshlrev_b32_sdwa v2, v2, v7 dst_sel:DWORD dst_unused:UNUSED_PAD src0_sel:DWORD src1_sel:WORD_0
	v_and_or_b32 v1, 0x8000, v2, v1
	v_lshl_or_b32 v111, v1, 16, v0
.LBB288_448:                            ;   in Loop: Header=BB288_13 Depth=1
	s_or_b32 exec_lo, exec_lo, s27
.LBB288_449:                            ;   in Loop: Header=BB288_13 Depth=1
	s_or_b32 exec_lo, exec_lo, s26
.LBB288_450:                            ;   in Loop: Header=BB288_13 Depth=1
	s_or_b32 exec_lo, exec_lo, s25
	v_lshrrev_b32_e32 v7, 16, v9
	v_mov_b32_e32 v121, 0
	v_mov_b32_e32 v122, 0
	v_cmp_ne_u16_sdwa s7, v7, v8 src0_sel:BYTE_0 src1_sel:DWORD
	s_and_saveexec_b32 s25, s7
	s_cbranch_execz .LBB288_458
; %bb.451:                              ;   in Loop: Header=BB288_13 Depth=1
	v_cmp_ne_u16_sdwa s7, v7, v81 src0_sel:BYTE_0 src1_sel:DWORD
	v_mov_b32_e32 v122, 0x8000
	s_and_saveexec_b32 s26, s7
	s_cbranch_execz .LBB288_457
; %bb.452:                              ;   in Loop: Header=BB288_13 Depth=1
	v_bfe_u32 v2, v9, 16, 7
	v_mov_b32_e32 v122, 0x7c01
	s_mov_b32 s27, exec_lo
	v_cmpx_ne_u32_e32 0x7f, v2
	s_cbranch_execz .LBB288_456
; %bb.453:                              ;   in Loop: Header=BB288_13 Depth=1
	v_and_b32_e32 v0, 7, v7
	v_lshrrev_b32_e32 v1, 3, v2
	s_mov_b32 s28, exec_lo
	v_cmpx_gt_u32_e32 8, v2
; %bb.454:                              ;   in Loop: Header=BB288_13 Depth=1
	v_ffbh_u32_e32 v0, v0
	v_min_u32_e32 v2, 32, v0
	v_subrev_nc_u32_e32 v0, 28, v2
	v_lshlrev_b64 v[0:1], v0, v[7:8]
	v_sub_nc_u32_e32 v1, 29, v2
	v_and_b32_e32 v0, 7, v0
; %bb.455:                              ;   in Loop: Header=BB288_13 Depth=1
	s_or_b32 exec_lo, exec_lo, s28
	v_lshlrev_b32_e32 v2, 8, v7
	v_lshl_add_u32 v1, v1, 10, 0x2000
	v_lshlrev_b32_e32 v0, 7, v0
	v_and_b32_e32 v2, 0x8000, v2
	v_and_b32_e32 v1, 0xfc00, v1
	v_or3_b32 v122, v2, v1, v0
.LBB288_456:                            ;   in Loop: Header=BB288_13 Depth=1
	s_or_b32 exec_lo, exec_lo, s27
.LBB288_457:                            ;   in Loop: Header=BB288_13 Depth=1
	s_or_b32 exec_lo, exec_lo, s26
.LBB288_458:                            ;   in Loop: Header=BB288_13 Depth=1
	s_or_b32 exec_lo, exec_lo, s25
	s_mov_b32 s25, exec_lo
	v_cmpx_lt_u32_e32 0xffffff, v9
	s_cbranch_execz .LBB288_466
; %bb.459:                              ;   in Loop: Header=BB288_13 Depth=1
	v_lshrrev_b32_e32 v7, 24, v9
	v_bfrev_b32_e32 v121, 1
	s_mov_b32 s26, exec_lo
	v_cmpx_ne_u32_e32 0x80, v7
	s_cbranch_execz .LBB288_465
; %bb.460:                              ;   in Loop: Header=BB288_13 Depth=1
	v_and_b32_e32 v2, 0x7f, v7
	v_mov_b32_e32 v121, 0x7c010000
	s_mov_b32 s27, exec_lo
	v_cmpx_ne_u32_e32 0x7f, v2
	s_cbranch_execz .LBB288_464
; %bb.461:                              ;   in Loop: Header=BB288_13 Depth=1
	v_and_b32_e32 v0, 7, v7
	v_lshrrev_b32_e32 v1, 3, v2
	s_mov_b32 s28, exec_lo
	v_cmpx_gt_u32_e32 8, v2
; %bb.462:                              ;   in Loop: Header=BB288_13 Depth=1
	v_ffbh_u32_e32 v0, v0
	v_min_u32_e32 v2, 32, v0
	v_subrev_nc_u32_e32 v0, 28, v2
	v_lshlrev_b64 v[0:1], v0, v[7:8]
	v_sub_nc_u32_e32 v1, 29, v2
	v_and_b32_e32 v0, 7, v0
; %bb.463:                              ;   in Loop: Header=BB288_13 Depth=1
	s_or_b32 exec_lo, exec_lo, s28
	v_lshlrev_b32_e32 v2, 8, v7
	v_lshl_add_u32 v1, v1, 10, 0x2000
	v_lshlrev_b32_e32 v0, 23, v0
	v_and_or_b32 v1, 0x8000, v2, v1
	v_lshl_or_b32 v121, v1, 16, v0
.LBB288_464:                            ;   in Loop: Header=BB288_13 Depth=1
	s_or_b32 exec_lo, exec_lo, s27
.LBB288_465:                            ;   in Loop: Header=BB288_13 Depth=1
	s_or_b32 exec_lo, exec_lo, s26
.LBB288_466:                            ;   in Loop: Header=BB288_13 Depth=1
	s_or_b32 exec_lo, exec_lo, s25
	flat_load_dword v9, v[33:34] offset:1792
	v_mov_b32_e32 v123, 0
	v_mov_b32_e32 v124, 0
	s_waitcnt vmcnt(0) lgkmcnt(0)
	v_cmp_ne_u16_sdwa s7, v9, v8 src0_sel:BYTE_0 src1_sel:DWORD
	s_and_saveexec_b32 s25, s7
	s_cbranch_execz .LBB288_474
; %bb.467:                              ;   in Loop: Header=BB288_13 Depth=1
	v_cmp_ne_u16_sdwa s7, v9, v81 src0_sel:BYTE_0 src1_sel:DWORD
	v_mov_b32_e32 v124, 0x8000
	s_and_saveexec_b32 s26, s7
	s_cbranch_execz .LBB288_473
; %bb.468:                              ;   in Loop: Header=BB288_13 Depth=1
	v_and_b32_e32 v2, 0x7f, v9
	v_mov_b32_e32 v124, 0x7c01
	s_mov_b32 s27, exec_lo
	v_cmpx_ne_u32_e32 0x7f, v2
	s_cbranch_execz .LBB288_472
; %bb.469:                              ;   in Loop: Header=BB288_13 Depth=1
	v_and_b32_e32 v0, 7, v9
	v_lshrrev_b32_e32 v1, 3, v2
	s_mov_b32 s28, exec_lo
	v_cmpx_gt_u32_e32 8, v2
; %bb.470:                              ;   in Loop: Header=BB288_13 Depth=1
	v_ffbh_u32_e32 v0, v0
	v_min_u32_e32 v2, 32, v0
	v_subrev_nc_u32_e32 v0, 28, v2
	v_lshlrev_b64 v[0:1], v0, v[9:10]
	v_sub_nc_u32_e32 v1, 29, v2
	v_and_b32_e32 v0, 7, v0
; %bb.471:                              ;   in Loop: Header=BB288_13 Depth=1
	s_or_b32 exec_lo, exec_lo, s28
	v_lshlrev_b32_e32 v2, 8, v9
	v_lshl_add_u32 v1, v1, 10, 0x2000
	v_lshlrev_b32_e32 v0, 7, v0
	v_and_b32_e32 v2, 0x8000, v2
	v_and_b32_e32 v1, 0xfc00, v1
	v_or3_b32 v124, v2, v1, v0
.LBB288_472:                            ;   in Loop: Header=BB288_13 Depth=1
	s_or_b32 exec_lo, exec_lo, s27
.LBB288_473:                            ;   in Loop: Header=BB288_13 Depth=1
	s_or_b32 exec_lo, exec_lo, s26
.LBB288_474:                            ;   in Loop: Header=BB288_13 Depth=1
	s_or_b32 exec_lo, exec_lo, s25
	v_lshrrev_b16 v7, 8, v9
	s_mov_b32 s25, exec_lo
	v_cmpx_ne_u16_e32 0, v7
	s_cbranch_execz .LBB288_482
; %bb.475:                              ;   in Loop: Header=BB288_13 Depth=1
	v_bfrev_b32_e32 v123, 1
	s_mov_b32 s26, exec_lo
	v_cmpx_ne_u16_e32 0x80, v7
	s_cbranch_execz .LBB288_481
; %bb.476:                              ;   in Loop: Header=BB288_13 Depth=1
	v_mov_b32_e32 v0, 0x7f
	v_mov_b32_e32 v123, 0x7c010000
	s_mov_b32 s27, exec_lo
	v_and_b32_sdwa v2, v7, v0 dst_sel:DWORD dst_unused:UNUSED_PAD src0_sel:WORD_0 src1_sel:DWORD
	v_cmpx_ne_u32_e32 0x7f, v2
	s_cbranch_execz .LBB288_480
; %bb.477:                              ;   in Loop: Header=BB288_13 Depth=1
	v_mov_b32_e32 v0, 7
	v_lshrrev_b32_e32 v1, 3, v2
	s_mov_b32 s28, exec_lo
	v_and_b32_sdwa v0, v7, v0 dst_sel:DWORD dst_unused:UNUSED_PAD src0_sel:WORD_0 src1_sel:DWORD
	v_cmpx_gt_u32_e32 8, v2
; %bb.478:                              ;   in Loop: Header=BB288_13 Depth=1
	v_ffbh_u32_e32 v0, v0
	v_min_u32_e32 v2, 32, v0
	v_subrev_nc_u32_e32 v0, 28, v2
	v_lshlrev_b64 v[0:1], v0, v[7:8]
	v_sub_nc_u32_e32 v1, 29, v2
	v_and_b32_e32 v0, 7, v0
; %bb.479:                              ;   in Loop: Header=BB288_13 Depth=1
	s_or_b32 exec_lo, exec_lo, s28
	v_mov_b32_e32 v2, 8
	v_lshl_add_u32 v1, v1, 10, 0x2000
	v_lshlrev_b32_e32 v0, 23, v0
	v_lshlrev_b32_sdwa v2, v2, v7 dst_sel:DWORD dst_unused:UNUSED_PAD src0_sel:DWORD src1_sel:WORD_0
	v_and_or_b32 v1, 0x8000, v2, v1
	v_lshl_or_b32 v123, v1, 16, v0
.LBB288_480:                            ;   in Loop: Header=BB288_13 Depth=1
	s_or_b32 exec_lo, exec_lo, s27
.LBB288_481:                            ;   in Loop: Header=BB288_13 Depth=1
	s_or_b32 exec_lo, exec_lo, s26
.LBB288_482:                            ;   in Loop: Header=BB288_13 Depth=1
	s_or_b32 exec_lo, exec_lo, s25
	v_lshrrev_b32_e32 v7, 16, v9
	v_mov_b32_e32 v126, 0
	v_mov_b32_e32 v127, 0
	v_cmp_ne_u16_sdwa s7, v7, v8 src0_sel:BYTE_0 src1_sel:DWORD
	s_and_saveexec_b32 s25, s7
	s_cbranch_execz .LBB288_490
; %bb.483:                              ;   in Loop: Header=BB288_13 Depth=1
	v_cmp_ne_u16_sdwa s7, v7, v81 src0_sel:BYTE_0 src1_sel:DWORD
	v_mov_b32_e32 v127, 0x8000
	s_and_saveexec_b32 s26, s7
	s_cbranch_execz .LBB288_489
; %bb.484:                              ;   in Loop: Header=BB288_13 Depth=1
	v_bfe_u32 v2, v9, 16, 7
	v_mov_b32_e32 v127, 0x7c01
	s_mov_b32 s27, exec_lo
	v_cmpx_ne_u32_e32 0x7f, v2
	s_cbranch_execz .LBB288_488
; %bb.485:                              ;   in Loop: Header=BB288_13 Depth=1
	v_and_b32_e32 v0, 7, v7
	v_lshrrev_b32_e32 v1, 3, v2
	s_mov_b32 s28, exec_lo
	v_cmpx_gt_u32_e32 8, v2
; %bb.486:                              ;   in Loop: Header=BB288_13 Depth=1
	v_ffbh_u32_e32 v0, v0
	v_min_u32_e32 v2, 32, v0
	v_subrev_nc_u32_e32 v0, 28, v2
	v_lshlrev_b64 v[0:1], v0, v[7:8]
	v_sub_nc_u32_e32 v1, 29, v2
	v_and_b32_e32 v0, 7, v0
; %bb.487:                              ;   in Loop: Header=BB288_13 Depth=1
	s_or_b32 exec_lo, exec_lo, s28
	v_lshlrev_b32_e32 v2, 8, v7
	v_lshl_add_u32 v1, v1, 10, 0x2000
	v_lshlrev_b32_e32 v0, 7, v0
	v_and_b32_e32 v2, 0x8000, v2
	v_and_b32_e32 v1, 0xfc00, v1
	v_or3_b32 v127, v2, v1, v0
.LBB288_488:                            ;   in Loop: Header=BB288_13 Depth=1
	s_or_b32 exec_lo, exec_lo, s27
.LBB288_489:                            ;   in Loop: Header=BB288_13 Depth=1
	s_or_b32 exec_lo, exec_lo, s26
.LBB288_490:                            ;   in Loop: Header=BB288_13 Depth=1
	s_or_b32 exec_lo, exec_lo, s25
	s_mov_b32 s25, exec_lo
	v_cmpx_lt_u32_e32 0xffffff, v9
	s_cbranch_execz .LBB288_498
; %bb.491:                              ;   in Loop: Header=BB288_13 Depth=1
	v_lshrrev_b32_e32 v7, 24, v9
	v_bfrev_b32_e32 v126, 1
	s_mov_b32 s26, exec_lo
	v_cmpx_ne_u32_e32 0x80, v7
	s_cbranch_execz .LBB288_497
; %bb.492:                              ;   in Loop: Header=BB288_13 Depth=1
	v_and_b32_e32 v2, 0x7f, v7
	v_mov_b32_e32 v126, 0x7c010000
	s_mov_b32 s27, exec_lo
	v_cmpx_ne_u32_e32 0x7f, v2
	s_cbranch_execz .LBB288_496
; %bb.493:                              ;   in Loop: Header=BB288_13 Depth=1
	v_and_b32_e32 v0, 7, v7
	v_lshrrev_b32_e32 v1, 3, v2
	s_mov_b32 s28, exec_lo
	v_cmpx_gt_u32_e32 8, v2
; %bb.494:                              ;   in Loop: Header=BB288_13 Depth=1
	v_ffbh_u32_e32 v0, v0
	v_min_u32_e32 v2, 32, v0
	v_subrev_nc_u32_e32 v0, 28, v2
	v_lshlrev_b64 v[0:1], v0, v[7:8]
	v_sub_nc_u32_e32 v1, 29, v2
	v_and_b32_e32 v0, 7, v0
; %bb.495:                              ;   in Loop: Header=BB288_13 Depth=1
	s_or_b32 exec_lo, exec_lo, s28
	v_lshlrev_b32_e32 v2, 8, v7
	v_lshl_add_u32 v1, v1, 10, 0x2000
	v_lshlrev_b32_e32 v0, 23, v0
	v_and_or_b32 v1, 0x8000, v2, v1
	v_lshl_or_b32 v126, v1, 16, v0
.LBB288_496:                            ;   in Loop: Header=BB288_13 Depth=1
	s_or_b32 exec_lo, exec_lo, s27
.LBB288_497:                            ;   in Loop: Header=BB288_13 Depth=1
	s_or_b32 exec_lo, exec_lo, s26
.LBB288_498:                            ;   in Loop: Header=BB288_13 Depth=1
	s_or_b32 exec_lo, exec_lo, s25
	flat_load_dword v9, v[33:34] offset:1800
	v_mov_b32_e32 v34, 0
	v_mov_b32_e32 v5, 0
	s_waitcnt vmcnt(0) lgkmcnt(0)
	v_cmp_ne_u16_sdwa s7, v9, v8 src0_sel:BYTE_0 src1_sel:DWORD
	s_and_saveexec_b32 s25, s7
	s_cbranch_execz .LBB288_506
; %bb.499:                              ;   in Loop: Header=BB288_13 Depth=1
	v_cmp_ne_u16_sdwa s7, v9, v81 src0_sel:BYTE_0 src1_sel:DWORD
	v_mov_b32_e32 v5, 0x8000
	s_and_saveexec_b32 s26, s7
	s_cbranch_execz .LBB288_505
; %bb.500:                              ;   in Loop: Header=BB288_13 Depth=1
	v_and_b32_e32 v2, 0x7f, v9
	v_mov_b32_e32 v5, 0x7c01
	s_mov_b32 s27, exec_lo
	v_cmpx_ne_u32_e32 0x7f, v2
	s_cbranch_execz .LBB288_504
; %bb.501:                              ;   in Loop: Header=BB288_13 Depth=1
	v_and_b32_e32 v0, 7, v9
	v_lshrrev_b32_e32 v1, 3, v2
	s_mov_b32 s28, exec_lo
	v_cmpx_gt_u32_e32 8, v2
; %bb.502:                              ;   in Loop: Header=BB288_13 Depth=1
	v_ffbh_u32_e32 v0, v0
	v_min_u32_e32 v2, 32, v0
	v_subrev_nc_u32_e32 v0, 28, v2
	v_lshlrev_b64 v[0:1], v0, v[9:10]
	v_sub_nc_u32_e32 v1, 29, v2
	v_and_b32_e32 v0, 7, v0
; %bb.503:                              ;   in Loop: Header=BB288_13 Depth=1
	s_or_b32 exec_lo, exec_lo, s28
	v_lshlrev_b32_e32 v2, 8, v9
	v_lshl_add_u32 v1, v1, 10, 0x2000
	v_lshlrev_b32_e32 v0, 7, v0
	v_and_b32_e32 v2, 0x8000, v2
	v_and_b32_e32 v1, 0xfc00, v1
	v_or3_b32 v5, v2, v1, v0
.LBB288_504:                            ;   in Loop: Header=BB288_13 Depth=1
	s_or_b32 exec_lo, exec_lo, s27
.LBB288_505:                            ;   in Loop: Header=BB288_13 Depth=1
	s_or_b32 exec_lo, exec_lo, s26
.LBB288_506:                            ;   in Loop: Header=BB288_13 Depth=1
	s_or_b32 exec_lo, exec_lo, s25
	v_lshrrev_b16 v7, 8, v9
	s_mov_b32 s25, exec_lo
	v_cmpx_ne_u16_e32 0, v7
	s_cbranch_execz .LBB288_514
; %bb.507:                              ;   in Loop: Header=BB288_13 Depth=1
	v_bfrev_b32_e32 v34, 1
	s_mov_b32 s26, exec_lo
	v_cmpx_ne_u16_e32 0x80, v7
	s_cbranch_execz .LBB288_513
; %bb.508:                              ;   in Loop: Header=BB288_13 Depth=1
	v_mov_b32_e32 v0, 0x7f
	v_mov_b32_e32 v34, 0x7c010000
	s_mov_b32 s27, exec_lo
	v_and_b32_sdwa v2, v7, v0 dst_sel:DWORD dst_unused:UNUSED_PAD src0_sel:WORD_0 src1_sel:DWORD
	v_cmpx_ne_u32_e32 0x7f, v2
	s_cbranch_execz .LBB288_512
; %bb.509:                              ;   in Loop: Header=BB288_13 Depth=1
	v_mov_b32_e32 v0, 7
	v_lshrrev_b32_e32 v1, 3, v2
	s_mov_b32 s28, exec_lo
	v_and_b32_sdwa v0, v7, v0 dst_sel:DWORD dst_unused:UNUSED_PAD src0_sel:WORD_0 src1_sel:DWORD
	v_cmpx_gt_u32_e32 8, v2
; %bb.510:                              ;   in Loop: Header=BB288_13 Depth=1
	v_ffbh_u32_e32 v0, v0
	v_min_u32_e32 v2, 32, v0
	v_subrev_nc_u32_e32 v0, 28, v2
	v_lshlrev_b64 v[0:1], v0, v[7:8]
	v_sub_nc_u32_e32 v1, 29, v2
	v_and_b32_e32 v0, 7, v0
; %bb.511:                              ;   in Loop: Header=BB288_13 Depth=1
	s_or_b32 exec_lo, exec_lo, s28
	v_mov_b32_e32 v2, 8
	v_lshl_add_u32 v1, v1, 10, 0x2000
	v_lshlrev_b32_e32 v0, 23, v0
	v_lshlrev_b32_sdwa v2, v2, v7 dst_sel:DWORD dst_unused:UNUSED_PAD src0_sel:DWORD src1_sel:WORD_0
	v_and_or_b32 v1, 0x8000, v2, v1
	v_lshl_or_b32 v34, v1, 16, v0
.LBB288_512:                            ;   in Loop: Header=BB288_13 Depth=1
	s_or_b32 exec_lo, exec_lo, s27
.LBB288_513:                            ;   in Loop: Header=BB288_13 Depth=1
	s_or_b32 exec_lo, exec_lo, s26
.LBB288_514:                            ;   in Loop: Header=BB288_13 Depth=1
	s_or_b32 exec_lo, exec_lo, s25
	v_lshrrev_b32_e32 v7, 16, v9
	v_mov_b32_e32 v11, 0
	v_mov_b32_e32 v10, 0
	v_cmp_ne_u16_sdwa s7, v7, v8 src0_sel:BYTE_0 src1_sel:DWORD
	s_and_saveexec_b32 s25, s7
	s_cbranch_execz .LBB288_522
; %bb.515:                              ;   in Loop: Header=BB288_13 Depth=1
	v_cmp_ne_u16_sdwa s7, v7, v81 src0_sel:BYTE_0 src1_sel:DWORD
	v_mov_b32_e32 v10, 0x8000
	s_and_saveexec_b32 s26, s7
	s_cbranch_execz .LBB288_521
; %bb.516:                              ;   in Loop: Header=BB288_13 Depth=1
	v_bfe_u32 v2, v9, 16, 7
	v_mov_b32_e32 v10, 0x7c01
	s_mov_b32 s27, exec_lo
	v_cmpx_ne_u32_e32 0x7f, v2
	s_cbranch_execz .LBB288_520
; %bb.517:                              ;   in Loop: Header=BB288_13 Depth=1
	v_and_b32_e32 v0, 7, v7
	v_lshrrev_b32_e32 v1, 3, v2
	s_mov_b32 s28, exec_lo
	v_cmpx_gt_u32_e32 8, v2
; %bb.518:                              ;   in Loop: Header=BB288_13 Depth=1
	v_ffbh_u32_e32 v0, v0
	v_min_u32_e32 v2, 32, v0
	v_subrev_nc_u32_e32 v0, 28, v2
	v_lshlrev_b64 v[0:1], v0, v[7:8]
	v_sub_nc_u32_e32 v1, 29, v2
	v_and_b32_e32 v0, 7, v0
; %bb.519:                              ;   in Loop: Header=BB288_13 Depth=1
	s_or_b32 exec_lo, exec_lo, s28
	v_lshlrev_b32_e32 v2, 8, v7
	v_lshl_add_u32 v1, v1, 10, 0x2000
	v_lshlrev_b32_e32 v0, 7, v0
	v_and_b32_e32 v2, 0x8000, v2
	v_and_b32_e32 v1, 0xfc00, v1
	v_or3_b32 v10, v2, v1, v0
.LBB288_520:                            ;   in Loop: Header=BB288_13 Depth=1
	s_or_b32 exec_lo, exec_lo, s27
.LBB288_521:                            ;   in Loop: Header=BB288_13 Depth=1
	s_or_b32 exec_lo, exec_lo, s26
.LBB288_522:                            ;   in Loop: Header=BB288_13 Depth=1
	s_or_b32 exec_lo, exec_lo, s25
	s_mov_b32 s25, exec_lo
	v_cmpx_lt_u32_e32 0xffffff, v9
	s_cbranch_execz .LBB288_530
; %bb.523:                              ;   in Loop: Header=BB288_13 Depth=1
	v_lshrrev_b32_e32 v7, 24, v9
	v_bfrev_b32_e32 v11, 1
	s_mov_b32 s26, exec_lo
	v_cmpx_ne_u32_e32 0x80, v7
	s_cbranch_execz .LBB288_529
; %bb.524:                              ;   in Loop: Header=BB288_13 Depth=1
	v_and_b32_e32 v2, 0x7f, v7
	v_mov_b32_e32 v11, 0x7c010000
	s_mov_b32 s27, exec_lo
	v_cmpx_ne_u32_e32 0x7f, v2
	s_cbranch_execz .LBB288_528
; %bb.525:                              ;   in Loop: Header=BB288_13 Depth=1
	v_and_b32_e32 v0, 7, v7
	v_lshrrev_b32_e32 v1, 3, v2
	s_mov_b32 s28, exec_lo
	v_cmpx_gt_u32_e32 8, v2
; %bb.526:                              ;   in Loop: Header=BB288_13 Depth=1
	v_ffbh_u32_e32 v0, v0
	v_min_u32_e32 v2, 32, v0
	v_subrev_nc_u32_e32 v0, 28, v2
	v_lshlrev_b64 v[0:1], v0, v[7:8]
	v_sub_nc_u32_e32 v1, 29, v2
	v_and_b32_e32 v0, 7, v0
; %bb.527:                              ;   in Loop: Header=BB288_13 Depth=1
	s_or_b32 exec_lo, exec_lo, s28
	v_lshlrev_b32_e32 v2, 8, v7
	v_lshl_add_u32 v1, v1, 10, 0x2000
	v_lshlrev_b32_e32 v0, 23, v0
	v_and_or_b32 v1, 0x8000, v2, v1
	v_lshl_or_b32 v11, v1, 16, v0
.LBB288_528:                            ;   in Loop: Header=BB288_13 Depth=1
	s_or_b32 exec_lo, exec_lo, s27
.LBB288_529:                            ;   in Loop: Header=BB288_13 Depth=1
	s_or_b32 exec_lo, exec_lo, s26
.LBB288_530:                            ;   in Loop: Header=BB288_13 Depth=1
	s_or_b32 exec_lo, exec_lo, s25
	buffer_load_dword v2, off, s[0:3], s32 offset:208 ; 4-byte Folded Reload
	v_add_co_u32 v0, s7, 0x800, v31
	v_add_co_ci_u32_e64 v1, null, 0, v32, s7
	v_mov_b32_e32 v18, 0
	v_mov_b32_e32 v19, 0
	s_waitcnt vmcnt(0)
	v_add_co_u32 v2, s7, v0, v2
	v_add_co_ci_u32_e64 v3, null, 0, v1, s7
	flat_load_dword v9, v[2:3]
	s_waitcnt vmcnt(0) lgkmcnt(0)
	v_cmp_ne_u16_sdwa s7, v9, v8 src0_sel:BYTE_0 src1_sel:DWORD
	s_and_saveexec_b32 s25, s7
	s_cbranch_execz .LBB288_538
; %bb.531:                              ;   in Loop: Header=BB288_13 Depth=1
	v_cmp_ne_u16_sdwa s7, v9, v81 src0_sel:BYTE_0 src1_sel:DWORD
	v_mov_b32_e32 v19, 0x8000
	s_and_saveexec_b32 s26, s7
	s_cbranch_execz .LBB288_537
; %bb.532:                              ;   in Loop: Header=BB288_13 Depth=1
	v_and_b32_e32 v4, 0x7f, v9
	v_mov_b32_e32 v19, 0x7c01
	s_mov_b32 s27, exec_lo
	v_cmpx_ne_u32_e32 0x7f, v4
	s_cbranch_execz .LBB288_536
; %bb.533:                              ;   in Loop: Header=BB288_13 Depth=1
	v_and_b32_e32 v2, 7, v9
	v_lshrrev_b32_e32 v3, 3, v4
	s_mov_b32 s28, exec_lo
	v_cmpx_gt_u32_e32 8, v4
; %bb.534:                              ;   in Loop: Header=BB288_13 Depth=1
	v_ffbh_u32_e32 v2, v2
	v_min_u32_e32 v4, 32, v2
	v_subrev_nc_u32_e32 v2, 28, v4
	v_lshlrev_b64 v[2:3], v2, v[9:10]
	v_sub_nc_u32_e32 v3, 29, v4
	v_and_b32_e32 v2, 7, v2
; %bb.535:                              ;   in Loop: Header=BB288_13 Depth=1
	s_or_b32 exec_lo, exec_lo, s28
	v_lshlrev_b32_e32 v4, 8, v9
	v_lshl_add_u32 v3, v3, 10, 0x2000
	v_lshlrev_b32_e32 v2, 7, v2
	v_and_b32_e32 v4, 0x8000, v4
	v_and_b32_e32 v3, 0xfc00, v3
	v_or3_b32 v19, v4, v3, v2
.LBB288_536:                            ;   in Loop: Header=BB288_13 Depth=1
	s_or_b32 exec_lo, exec_lo, s27
.LBB288_537:                            ;   in Loop: Header=BB288_13 Depth=1
	s_or_b32 exec_lo, exec_lo, s26
.LBB288_538:                            ;   in Loop: Header=BB288_13 Depth=1
	s_or_b32 exec_lo, exec_lo, s25
	v_lshrrev_b16 v7, 8, v9
	s_mov_b32 s25, exec_lo
	v_cmpx_ne_u16_e32 0, v7
	s_cbranch_execz .LBB288_546
; %bb.539:                              ;   in Loop: Header=BB288_13 Depth=1
	v_bfrev_b32_e32 v18, 1
	s_mov_b32 s26, exec_lo
	v_cmpx_ne_u16_e32 0x80, v7
	s_cbranch_execz .LBB288_545
; %bb.540:                              ;   in Loop: Header=BB288_13 Depth=1
	v_mov_b32_e32 v2, 0x7f
	v_mov_b32_e32 v18, 0x7c010000
	s_mov_b32 s27, exec_lo
	v_and_b32_sdwa v4, v7, v2 dst_sel:DWORD dst_unused:UNUSED_PAD src0_sel:WORD_0 src1_sel:DWORD
	v_cmpx_ne_u32_e32 0x7f, v4
	s_cbranch_execz .LBB288_544
; %bb.541:                              ;   in Loop: Header=BB288_13 Depth=1
	v_mov_b32_e32 v2, 7
	v_lshrrev_b32_e32 v3, 3, v4
	s_mov_b32 s28, exec_lo
	v_and_b32_sdwa v2, v7, v2 dst_sel:DWORD dst_unused:UNUSED_PAD src0_sel:WORD_0 src1_sel:DWORD
	v_cmpx_gt_u32_e32 8, v4
; %bb.542:                              ;   in Loop: Header=BB288_13 Depth=1
	v_ffbh_u32_e32 v2, v2
	v_min_u32_e32 v4, 32, v2
	v_subrev_nc_u32_e32 v2, 28, v4
	v_lshlrev_b64 v[2:3], v2, v[7:8]
	v_sub_nc_u32_e32 v3, 29, v4
	v_and_b32_e32 v2, 7, v2
; %bb.543:                              ;   in Loop: Header=BB288_13 Depth=1
	s_or_b32 exec_lo, exec_lo, s28
	v_mov_b32_e32 v4, 8
	v_lshl_add_u32 v3, v3, 10, 0x2000
	v_lshlrev_b32_e32 v2, 23, v2
	v_lshlrev_b32_sdwa v4, v4, v7 dst_sel:DWORD dst_unused:UNUSED_PAD src0_sel:DWORD src1_sel:WORD_0
	v_and_or_b32 v3, 0x8000, v4, v3
	v_lshl_or_b32 v18, v3, 16, v2
.LBB288_544:                            ;   in Loop: Header=BB288_13 Depth=1
	s_or_b32 exec_lo, exec_lo, s27
.LBB288_545:                            ;   in Loop: Header=BB288_13 Depth=1
	s_or_b32 exec_lo, exec_lo, s26
.LBB288_546:                            ;   in Loop: Header=BB288_13 Depth=1
	s_or_b32 exec_lo, exec_lo, s25
	v_lshrrev_b32_e32 v7, 16, v9
	v_mov_b32_e32 v85, 0
	v_mov_b32_e32 v97, 0
	v_cmp_ne_u16_sdwa s7, v7, v8 src0_sel:BYTE_0 src1_sel:DWORD
	s_and_saveexec_b32 s25, s7
	s_cbranch_execz .LBB288_554
; %bb.547:                              ;   in Loop: Header=BB288_13 Depth=1
	v_cmp_ne_u16_sdwa s7, v7, v81 src0_sel:BYTE_0 src1_sel:DWORD
	v_mov_b32_e32 v97, 0x8000
	s_and_saveexec_b32 s26, s7
	s_cbranch_execz .LBB288_553
; %bb.548:                              ;   in Loop: Header=BB288_13 Depth=1
	v_bfe_u32 v4, v9, 16, 7
	v_mov_b32_e32 v97, 0x7c01
	s_mov_b32 s27, exec_lo
	v_cmpx_ne_u32_e32 0x7f, v4
	s_cbranch_execz .LBB288_552
; %bb.549:                              ;   in Loop: Header=BB288_13 Depth=1
	v_and_b32_e32 v2, 7, v7
	v_lshrrev_b32_e32 v3, 3, v4
	s_mov_b32 s28, exec_lo
	v_cmpx_gt_u32_e32 8, v4
; %bb.550:                              ;   in Loop: Header=BB288_13 Depth=1
	v_ffbh_u32_e32 v2, v2
	v_min_u32_e32 v4, 32, v2
	v_subrev_nc_u32_e32 v2, 28, v4
	v_lshlrev_b64 v[2:3], v2, v[7:8]
	v_sub_nc_u32_e32 v3, 29, v4
	v_and_b32_e32 v2, 7, v2
; %bb.551:                              ;   in Loop: Header=BB288_13 Depth=1
	s_or_b32 exec_lo, exec_lo, s28
	v_lshlrev_b32_e32 v4, 8, v7
	v_lshl_add_u32 v3, v3, 10, 0x2000
	v_lshlrev_b32_e32 v2, 7, v2
	v_and_b32_e32 v4, 0x8000, v4
	v_and_b32_e32 v3, 0xfc00, v3
	v_or3_b32 v97, v4, v3, v2
.LBB288_552:                            ;   in Loop: Header=BB288_13 Depth=1
	s_or_b32 exec_lo, exec_lo, s27
.LBB288_553:                            ;   in Loop: Header=BB288_13 Depth=1
	s_or_b32 exec_lo, exec_lo, s26
.LBB288_554:                            ;   in Loop: Header=BB288_13 Depth=1
	s_or_b32 exec_lo, exec_lo, s25
	s_mov_b32 s25, exec_lo
	v_cmpx_lt_u32_e32 0xffffff, v9
	s_cbranch_execz .LBB288_562
; %bb.555:                              ;   in Loop: Header=BB288_13 Depth=1
	v_lshrrev_b32_e32 v7, 24, v9
	v_bfrev_b32_e32 v85, 1
	s_mov_b32 s26, exec_lo
	v_cmpx_ne_u32_e32 0x80, v7
	s_cbranch_execz .LBB288_561
; %bb.556:                              ;   in Loop: Header=BB288_13 Depth=1
	v_and_b32_e32 v4, 0x7f, v7
	v_mov_b32_e32 v85, 0x7c010000
	s_mov_b32 s27, exec_lo
	v_cmpx_ne_u32_e32 0x7f, v4
	s_cbranch_execz .LBB288_560
; %bb.557:                              ;   in Loop: Header=BB288_13 Depth=1
	v_and_b32_e32 v2, 7, v7
	v_lshrrev_b32_e32 v3, 3, v4
	s_mov_b32 s28, exec_lo
	v_cmpx_gt_u32_e32 8, v4
; %bb.558:                              ;   in Loop: Header=BB288_13 Depth=1
	v_ffbh_u32_e32 v2, v2
	v_min_u32_e32 v4, 32, v2
	v_subrev_nc_u32_e32 v2, 28, v4
	v_lshlrev_b64 v[2:3], v2, v[7:8]
	v_sub_nc_u32_e32 v3, 29, v4
	v_and_b32_e32 v2, 7, v2
; %bb.559:                              ;   in Loop: Header=BB288_13 Depth=1
	s_or_b32 exec_lo, exec_lo, s28
	v_lshlrev_b32_e32 v4, 8, v7
	v_lshl_add_u32 v3, v3, 10, 0x2000
	v_lshlrev_b32_e32 v2, 23, v2
	v_and_or_b32 v3, 0x8000, v4, v3
	v_lshl_or_b32 v85, v3, 16, v2
.LBB288_560:                            ;   in Loop: Header=BB288_13 Depth=1
	s_or_b32 exec_lo, exec_lo, s27
.LBB288_561:                            ;   in Loop: Header=BB288_13 Depth=1
	s_or_b32 exec_lo, exec_lo, s26
.LBB288_562:                            ;   in Loop: Header=BB288_13 Depth=1
	s_or_b32 exec_lo, exec_lo, s25
	buffer_load_dword v2, off, s[0:3], s32 offset:212 ; 4-byte Folded Reload
	v_mov_b32_e32 v21, 0
	v_mov_b32_e32 v23, 0
	s_waitcnt vmcnt(0)
	v_add_co_u32 v0, s7, v0, v2
	v_add_co_ci_u32_e64 v1, null, 0, v1, s7
	flat_load_dword v9, v[0:1]
	s_waitcnt vmcnt(0) lgkmcnt(0)
	v_cmp_ne_u16_sdwa s7, v9, v8 src0_sel:BYTE_0 src1_sel:DWORD
	s_and_saveexec_b32 s25, s7
	s_cbranch_execz .LBB288_570
; %bb.563:                              ;   in Loop: Header=BB288_13 Depth=1
	v_cmp_ne_u16_sdwa s7, v9, v81 src0_sel:BYTE_0 src1_sel:DWORD
	v_mov_b32_e32 v23, 0x8000
	s_and_saveexec_b32 s26, s7
	s_cbranch_execz .LBB288_569
; %bb.564:                              ;   in Loop: Header=BB288_13 Depth=1
	v_and_b32_e32 v2, 0x7f, v9
	v_mov_b32_e32 v23, 0x7c01
	s_mov_b32 s27, exec_lo
	v_cmpx_ne_u32_e32 0x7f, v2
	s_cbranch_execz .LBB288_568
; %bb.565:                              ;   in Loop: Header=BB288_13 Depth=1
	v_and_b32_e32 v0, 7, v9
	v_lshrrev_b32_e32 v1, 3, v2
	s_mov_b32 s28, exec_lo
	v_cmpx_gt_u32_e32 8, v2
; %bb.566:                              ;   in Loop: Header=BB288_13 Depth=1
	v_ffbh_u32_e32 v0, v0
	v_min_u32_e32 v2, 32, v0
	v_subrev_nc_u32_e32 v0, 28, v2
	v_lshlrev_b64 v[0:1], v0, v[9:10]
	v_sub_nc_u32_e32 v1, 29, v2
	v_and_b32_e32 v0, 7, v0
; %bb.567:                              ;   in Loop: Header=BB288_13 Depth=1
	s_or_b32 exec_lo, exec_lo, s28
	v_lshlrev_b32_e32 v2, 8, v9
	v_lshl_add_u32 v1, v1, 10, 0x2000
	v_lshlrev_b32_e32 v0, 7, v0
	v_and_b32_e32 v2, 0x8000, v2
	v_and_b32_e32 v1, 0xfc00, v1
	v_or3_b32 v23, v2, v1, v0
.LBB288_568:                            ;   in Loop: Header=BB288_13 Depth=1
	s_or_b32 exec_lo, exec_lo, s27
.LBB288_569:                            ;   in Loop: Header=BB288_13 Depth=1
	s_or_b32 exec_lo, exec_lo, s26
.LBB288_570:                            ;   in Loop: Header=BB288_13 Depth=1
	s_or_b32 exec_lo, exec_lo, s25
	v_lshrrev_b16 v7, 8, v9
	s_mov_b32 s25, exec_lo
	v_cmpx_ne_u16_e32 0, v7
	s_cbranch_execz .LBB288_578
; %bb.571:                              ;   in Loop: Header=BB288_13 Depth=1
	v_bfrev_b32_e32 v21, 1
	s_mov_b32 s26, exec_lo
	v_cmpx_ne_u16_e32 0x80, v7
	s_cbranch_execz .LBB288_577
; %bb.572:                              ;   in Loop: Header=BB288_13 Depth=1
	v_mov_b32_e32 v0, 0x7f
	v_mov_b32_e32 v21, 0x7c010000
	s_mov_b32 s27, exec_lo
	v_and_b32_sdwa v2, v7, v0 dst_sel:DWORD dst_unused:UNUSED_PAD src0_sel:WORD_0 src1_sel:DWORD
	v_cmpx_ne_u32_e32 0x7f, v2
	s_cbranch_execz .LBB288_576
; %bb.573:                              ;   in Loop: Header=BB288_13 Depth=1
	v_mov_b32_e32 v0, 7
	v_lshrrev_b32_e32 v1, 3, v2
	s_mov_b32 s28, exec_lo
	v_and_b32_sdwa v0, v7, v0 dst_sel:DWORD dst_unused:UNUSED_PAD src0_sel:WORD_0 src1_sel:DWORD
	v_cmpx_gt_u32_e32 8, v2
; %bb.574:                              ;   in Loop: Header=BB288_13 Depth=1
	v_ffbh_u32_e32 v0, v0
	v_min_u32_e32 v2, 32, v0
	v_subrev_nc_u32_e32 v0, 28, v2
	v_lshlrev_b64 v[0:1], v0, v[7:8]
	v_sub_nc_u32_e32 v1, 29, v2
	v_and_b32_e32 v0, 7, v0
; %bb.575:                              ;   in Loop: Header=BB288_13 Depth=1
	s_or_b32 exec_lo, exec_lo, s28
	v_mov_b32_e32 v2, 8
	v_lshl_add_u32 v1, v1, 10, 0x2000
	v_lshlrev_b32_e32 v0, 23, v0
	v_lshlrev_b32_sdwa v2, v2, v7 dst_sel:DWORD dst_unused:UNUSED_PAD src0_sel:DWORD src1_sel:WORD_0
	v_and_or_b32 v1, 0x8000, v2, v1
	v_lshl_or_b32 v21, v1, 16, v0
.LBB288_576:                            ;   in Loop: Header=BB288_13 Depth=1
	s_or_b32 exec_lo, exec_lo, s27
.LBB288_577:                            ;   in Loop: Header=BB288_13 Depth=1
	s_or_b32 exec_lo, exec_lo, s26
.LBB288_578:                            ;   in Loop: Header=BB288_13 Depth=1
	s_or_b32 exec_lo, exec_lo, s25
	v_lshrrev_b32_e32 v7, 16, v9
	v_mov_b32_e32 v24, 0
	v_mov_b32_e32 v87, 0
	v_cmp_ne_u16_sdwa s7, v7, v8 src0_sel:BYTE_0 src1_sel:DWORD
	s_and_saveexec_b32 s25, s7
	s_cbranch_execz .LBB288_586
; %bb.579:                              ;   in Loop: Header=BB288_13 Depth=1
	v_cmp_ne_u16_sdwa s7, v7, v81 src0_sel:BYTE_0 src1_sel:DWORD
	v_mov_b32_e32 v87, 0x8000
	s_and_saveexec_b32 s26, s7
	s_cbranch_execz .LBB288_585
; %bb.580:                              ;   in Loop: Header=BB288_13 Depth=1
	v_bfe_u32 v2, v9, 16, 7
	v_mov_b32_e32 v87, 0x7c01
	s_mov_b32 s27, exec_lo
	v_cmpx_ne_u32_e32 0x7f, v2
	s_cbranch_execz .LBB288_584
; %bb.581:                              ;   in Loop: Header=BB288_13 Depth=1
	v_and_b32_e32 v0, 7, v7
	v_lshrrev_b32_e32 v1, 3, v2
	s_mov_b32 s28, exec_lo
	v_cmpx_gt_u32_e32 8, v2
; %bb.582:                              ;   in Loop: Header=BB288_13 Depth=1
	v_ffbh_u32_e32 v0, v0
	v_min_u32_e32 v2, 32, v0
	v_subrev_nc_u32_e32 v0, 28, v2
	v_lshlrev_b64 v[0:1], v0, v[7:8]
	v_sub_nc_u32_e32 v1, 29, v2
	v_and_b32_e32 v0, 7, v0
; %bb.583:                              ;   in Loop: Header=BB288_13 Depth=1
	s_or_b32 exec_lo, exec_lo, s28
	v_lshlrev_b32_e32 v2, 8, v7
	v_lshl_add_u32 v1, v1, 10, 0x2000
	v_lshlrev_b32_e32 v0, 7, v0
	v_and_b32_e32 v2, 0x8000, v2
	v_and_b32_e32 v1, 0xfc00, v1
	v_or3_b32 v87, v2, v1, v0
.LBB288_584:                            ;   in Loop: Header=BB288_13 Depth=1
	s_or_b32 exec_lo, exec_lo, s27
.LBB288_585:                            ;   in Loop: Header=BB288_13 Depth=1
	s_or_b32 exec_lo, exec_lo, s26
.LBB288_586:                            ;   in Loop: Header=BB288_13 Depth=1
	s_or_b32 exec_lo, exec_lo, s25
	s_mov_b32 s25, exec_lo
	v_cmpx_lt_u32_e32 0xffffff, v9
	s_cbranch_execz .LBB288_594
; %bb.587:                              ;   in Loop: Header=BB288_13 Depth=1
	v_lshrrev_b32_e32 v7, 24, v9
	v_bfrev_b32_e32 v24, 1
	s_mov_b32 s26, exec_lo
	v_cmpx_ne_u32_e32 0x80, v7
	s_cbranch_execz .LBB288_593
; %bb.588:                              ;   in Loop: Header=BB288_13 Depth=1
	v_and_b32_e32 v2, 0x7f, v7
	v_mov_b32_e32 v24, 0x7c010000
	s_mov_b32 s27, exec_lo
	v_cmpx_ne_u32_e32 0x7f, v2
	s_cbranch_execz .LBB288_592
; %bb.589:                              ;   in Loop: Header=BB288_13 Depth=1
	v_and_b32_e32 v0, 7, v7
	v_lshrrev_b32_e32 v1, 3, v2
	s_mov_b32 s28, exec_lo
	v_cmpx_gt_u32_e32 8, v2
; %bb.590:                              ;   in Loop: Header=BB288_13 Depth=1
	v_ffbh_u32_e32 v0, v0
	v_min_u32_e32 v2, 32, v0
	v_subrev_nc_u32_e32 v0, 28, v2
	v_lshlrev_b64 v[0:1], v0, v[7:8]
	v_sub_nc_u32_e32 v1, 29, v2
	v_and_b32_e32 v0, 7, v0
; %bb.591:                              ;   in Loop: Header=BB288_13 Depth=1
	s_or_b32 exec_lo, exec_lo, s28
	v_lshlrev_b32_e32 v2, 8, v7
	v_lshl_add_u32 v1, v1, 10, 0x2000
	v_lshlrev_b32_e32 v0, 23, v0
	v_and_or_b32 v1, 0x8000, v2, v1
	v_lshl_or_b32 v24, v1, 16, v0
.LBB288_592:                            ;   in Loop: Header=BB288_13 Depth=1
	s_or_b32 exec_lo, exec_lo, s27
.LBB288_593:                            ;   in Loop: Header=BB288_13 Depth=1
	s_or_b32 exec_lo, exec_lo, s26
.LBB288_594:                            ;   in Loop: Header=BB288_13 Depth=1
	s_or_b32 exec_lo, exec_lo, s25
	buffer_load_dword v2, off, s[0:3], s32 offset:208 ; 4-byte Folded Reload
	v_add_co_u32 v0, s7, 0x900, v31
	v_add_co_ci_u32_e64 v1, null, 0, v32, s7
	v_mov_b32_e32 v49, 0
	v_mov_b32_e32 v51, 0
	s_waitcnt vmcnt(0)
	v_add_co_u32 v2, s7, v0, v2
	v_add_co_ci_u32_e64 v3, null, 0, v1, s7
	flat_load_dword v9, v[2:3]
	s_waitcnt vmcnt(0) lgkmcnt(0)
	v_cmp_ne_u16_sdwa s7, v9, v8 src0_sel:BYTE_0 src1_sel:DWORD
	s_and_saveexec_b32 s25, s7
	s_cbranch_execz .LBB288_602
; %bb.595:                              ;   in Loop: Header=BB288_13 Depth=1
	v_cmp_ne_u16_sdwa s7, v9, v81 src0_sel:BYTE_0 src1_sel:DWORD
	v_mov_b32_e32 v51, 0x8000
	s_and_saveexec_b32 s26, s7
	s_cbranch_execz .LBB288_601
; %bb.596:                              ;   in Loop: Header=BB288_13 Depth=1
	v_and_b32_e32 v4, 0x7f, v9
	v_mov_b32_e32 v51, 0x7c01
	s_mov_b32 s27, exec_lo
	v_cmpx_ne_u32_e32 0x7f, v4
	s_cbranch_execz .LBB288_600
; %bb.597:                              ;   in Loop: Header=BB288_13 Depth=1
	v_and_b32_e32 v2, 7, v9
	v_lshrrev_b32_e32 v3, 3, v4
	s_mov_b32 s28, exec_lo
	v_cmpx_gt_u32_e32 8, v4
; %bb.598:                              ;   in Loop: Header=BB288_13 Depth=1
	v_ffbh_u32_e32 v2, v2
	v_min_u32_e32 v4, 32, v2
	v_subrev_nc_u32_e32 v2, 28, v4
	v_lshlrev_b64 v[2:3], v2, v[9:10]
	v_sub_nc_u32_e32 v3, 29, v4
	v_and_b32_e32 v2, 7, v2
; %bb.599:                              ;   in Loop: Header=BB288_13 Depth=1
	s_or_b32 exec_lo, exec_lo, s28
	v_lshlrev_b32_e32 v4, 8, v9
	v_lshl_add_u32 v3, v3, 10, 0x2000
	v_lshlrev_b32_e32 v2, 7, v2
	v_and_b32_e32 v4, 0x8000, v4
	v_and_b32_e32 v3, 0xfc00, v3
	v_or3_b32 v51, v4, v3, v2
.LBB288_600:                            ;   in Loop: Header=BB288_13 Depth=1
	s_or_b32 exec_lo, exec_lo, s27
.LBB288_601:                            ;   in Loop: Header=BB288_13 Depth=1
	s_or_b32 exec_lo, exec_lo, s26
.LBB288_602:                            ;   in Loop: Header=BB288_13 Depth=1
	s_or_b32 exec_lo, exec_lo, s25
	v_lshrrev_b16 v7, 8, v9
	s_mov_b32 s25, exec_lo
	v_cmpx_ne_u16_e32 0, v7
	s_cbranch_execz .LBB288_610
; %bb.603:                              ;   in Loop: Header=BB288_13 Depth=1
	v_bfrev_b32_e32 v49, 1
	s_mov_b32 s26, exec_lo
	v_cmpx_ne_u16_e32 0x80, v7
	s_cbranch_execz .LBB288_609
; %bb.604:                              ;   in Loop: Header=BB288_13 Depth=1
	v_mov_b32_e32 v2, 0x7f
	v_mov_b32_e32 v49, 0x7c010000
	s_mov_b32 s27, exec_lo
	v_and_b32_sdwa v4, v7, v2 dst_sel:DWORD dst_unused:UNUSED_PAD src0_sel:WORD_0 src1_sel:DWORD
	v_cmpx_ne_u32_e32 0x7f, v4
	s_cbranch_execz .LBB288_608
; %bb.605:                              ;   in Loop: Header=BB288_13 Depth=1
	v_mov_b32_e32 v2, 7
	v_lshrrev_b32_e32 v3, 3, v4
	s_mov_b32 s28, exec_lo
	v_and_b32_sdwa v2, v7, v2 dst_sel:DWORD dst_unused:UNUSED_PAD src0_sel:WORD_0 src1_sel:DWORD
	v_cmpx_gt_u32_e32 8, v4
; %bb.606:                              ;   in Loop: Header=BB288_13 Depth=1
	v_ffbh_u32_e32 v2, v2
	v_min_u32_e32 v4, 32, v2
	v_subrev_nc_u32_e32 v2, 28, v4
	v_lshlrev_b64 v[2:3], v2, v[7:8]
	v_sub_nc_u32_e32 v3, 29, v4
	v_and_b32_e32 v2, 7, v2
; %bb.607:                              ;   in Loop: Header=BB288_13 Depth=1
	s_or_b32 exec_lo, exec_lo, s28
	v_mov_b32_e32 v4, 8
	v_lshl_add_u32 v3, v3, 10, 0x2000
	v_lshlrev_b32_e32 v2, 23, v2
	v_lshlrev_b32_sdwa v4, v4, v7 dst_sel:DWORD dst_unused:UNUSED_PAD src0_sel:DWORD src1_sel:WORD_0
	v_and_or_b32 v3, 0x8000, v4, v3
	v_lshl_or_b32 v49, v3, 16, v2
.LBB288_608:                            ;   in Loop: Header=BB288_13 Depth=1
	s_or_b32 exec_lo, exec_lo, s27
.LBB288_609:                            ;   in Loop: Header=BB288_13 Depth=1
	s_or_b32 exec_lo, exec_lo, s26
.LBB288_610:                            ;   in Loop: Header=BB288_13 Depth=1
	s_or_b32 exec_lo, exec_lo, s25
	v_lshrrev_b32_e32 v7, 16, v9
	v_mov_b32_e32 v100, 0
	v_mov_b32_e32 v102, 0
	v_cmp_ne_u16_sdwa s7, v7, v8 src0_sel:BYTE_0 src1_sel:DWORD
	s_and_saveexec_b32 s25, s7
	s_cbranch_execz .LBB288_618
; %bb.611:                              ;   in Loop: Header=BB288_13 Depth=1
	v_cmp_ne_u16_sdwa s7, v7, v81 src0_sel:BYTE_0 src1_sel:DWORD
	v_mov_b32_e32 v102, 0x8000
	s_and_saveexec_b32 s26, s7
	s_cbranch_execz .LBB288_617
; %bb.612:                              ;   in Loop: Header=BB288_13 Depth=1
	v_bfe_u32 v4, v9, 16, 7
	v_mov_b32_e32 v102, 0x7c01
	s_mov_b32 s27, exec_lo
	v_cmpx_ne_u32_e32 0x7f, v4
	s_cbranch_execz .LBB288_616
; %bb.613:                              ;   in Loop: Header=BB288_13 Depth=1
	v_and_b32_e32 v2, 7, v7
	v_lshrrev_b32_e32 v3, 3, v4
	s_mov_b32 s28, exec_lo
	v_cmpx_gt_u32_e32 8, v4
; %bb.614:                              ;   in Loop: Header=BB288_13 Depth=1
	v_ffbh_u32_e32 v2, v2
	v_min_u32_e32 v4, 32, v2
	v_subrev_nc_u32_e32 v2, 28, v4
	v_lshlrev_b64 v[2:3], v2, v[7:8]
	v_sub_nc_u32_e32 v3, 29, v4
	v_and_b32_e32 v2, 7, v2
; %bb.615:                              ;   in Loop: Header=BB288_13 Depth=1
	s_or_b32 exec_lo, exec_lo, s28
	v_lshlrev_b32_e32 v4, 8, v7
	v_lshl_add_u32 v3, v3, 10, 0x2000
	v_lshlrev_b32_e32 v2, 7, v2
	v_and_b32_e32 v4, 0x8000, v4
	v_and_b32_e32 v3, 0xfc00, v3
	v_or3_b32 v102, v4, v3, v2
.LBB288_616:                            ;   in Loop: Header=BB288_13 Depth=1
	s_or_b32 exec_lo, exec_lo, s27
.LBB288_617:                            ;   in Loop: Header=BB288_13 Depth=1
	s_or_b32 exec_lo, exec_lo, s26
.LBB288_618:                            ;   in Loop: Header=BB288_13 Depth=1
	s_or_b32 exec_lo, exec_lo, s25
	s_mov_b32 s25, exec_lo
	v_cmpx_lt_u32_e32 0xffffff, v9
	s_cbranch_execz .LBB288_626
; %bb.619:                              ;   in Loop: Header=BB288_13 Depth=1
	v_lshrrev_b32_e32 v7, 24, v9
	v_bfrev_b32_e32 v100, 1
	s_mov_b32 s26, exec_lo
	v_cmpx_ne_u32_e32 0x80, v7
	s_cbranch_execz .LBB288_625
; %bb.620:                              ;   in Loop: Header=BB288_13 Depth=1
	v_and_b32_e32 v4, 0x7f, v7
	v_mov_b32_e32 v100, 0x7c010000
	s_mov_b32 s27, exec_lo
	v_cmpx_ne_u32_e32 0x7f, v4
	s_cbranch_execz .LBB288_624
; %bb.621:                              ;   in Loop: Header=BB288_13 Depth=1
	v_and_b32_e32 v2, 7, v7
	v_lshrrev_b32_e32 v3, 3, v4
	s_mov_b32 s28, exec_lo
	v_cmpx_gt_u32_e32 8, v4
; %bb.622:                              ;   in Loop: Header=BB288_13 Depth=1
	v_ffbh_u32_e32 v2, v2
	v_min_u32_e32 v4, 32, v2
	v_subrev_nc_u32_e32 v2, 28, v4
	v_lshlrev_b64 v[2:3], v2, v[7:8]
	v_sub_nc_u32_e32 v3, 29, v4
	v_and_b32_e32 v2, 7, v2
; %bb.623:                              ;   in Loop: Header=BB288_13 Depth=1
	s_or_b32 exec_lo, exec_lo, s28
	v_lshlrev_b32_e32 v4, 8, v7
	v_lshl_add_u32 v3, v3, 10, 0x2000
	v_lshlrev_b32_e32 v2, 23, v2
	v_and_or_b32 v3, 0x8000, v4, v3
	v_lshl_or_b32 v100, v3, 16, v2
.LBB288_624:                            ;   in Loop: Header=BB288_13 Depth=1
	s_or_b32 exec_lo, exec_lo, s27
.LBB288_625:                            ;   in Loop: Header=BB288_13 Depth=1
	s_or_b32 exec_lo, exec_lo, s26
.LBB288_626:                            ;   in Loop: Header=BB288_13 Depth=1
	s_or_b32 exec_lo, exec_lo, s25
	buffer_load_dword v2, off, s[0:3], s32 offset:212 ; 4-byte Folded Reload
	v_mov_b32_e32 v118, 0
	v_mov_b32_e32 v67, 0
	s_waitcnt vmcnt(0)
	v_add_co_u32 v0, s7, v0, v2
	v_add_co_ci_u32_e64 v1, null, 0, v1, s7
	flat_load_dword v9, v[0:1]
	s_waitcnt vmcnt(0) lgkmcnt(0)
	v_cmp_ne_u16_sdwa s7, v9, v8 src0_sel:BYTE_0 src1_sel:DWORD
	s_and_saveexec_b32 s25, s7
	s_cbranch_execz .LBB288_634
; %bb.627:                              ;   in Loop: Header=BB288_13 Depth=1
	v_cmp_ne_u16_sdwa s7, v9, v81 src0_sel:BYTE_0 src1_sel:DWORD
	v_mov_b32_e32 v67, 0x8000
	s_and_saveexec_b32 s26, s7
	s_cbranch_execz .LBB288_633
; %bb.628:                              ;   in Loop: Header=BB288_13 Depth=1
	v_and_b32_e32 v2, 0x7f, v9
	v_mov_b32_e32 v67, 0x7c01
	s_mov_b32 s27, exec_lo
	v_cmpx_ne_u32_e32 0x7f, v2
	s_cbranch_execz .LBB288_632
; %bb.629:                              ;   in Loop: Header=BB288_13 Depth=1
	v_and_b32_e32 v0, 7, v9
	v_lshrrev_b32_e32 v1, 3, v2
	s_mov_b32 s28, exec_lo
	v_cmpx_gt_u32_e32 8, v2
; %bb.630:                              ;   in Loop: Header=BB288_13 Depth=1
	v_ffbh_u32_e32 v0, v0
	v_min_u32_e32 v2, 32, v0
	v_subrev_nc_u32_e32 v0, 28, v2
	v_lshlrev_b64 v[0:1], v0, v[9:10]
	v_sub_nc_u32_e32 v1, 29, v2
	v_and_b32_e32 v0, 7, v0
; %bb.631:                              ;   in Loop: Header=BB288_13 Depth=1
	s_or_b32 exec_lo, exec_lo, s28
	v_lshlrev_b32_e32 v2, 8, v9
	v_lshl_add_u32 v1, v1, 10, 0x2000
	v_lshlrev_b32_e32 v0, 7, v0
	v_and_b32_e32 v2, 0x8000, v2
	v_and_b32_e32 v1, 0xfc00, v1
	v_or3_b32 v67, v2, v1, v0
.LBB288_632:                            ;   in Loop: Header=BB288_13 Depth=1
	s_or_b32 exec_lo, exec_lo, s27
.LBB288_633:                            ;   in Loop: Header=BB288_13 Depth=1
	s_or_b32 exec_lo, exec_lo, s26
.LBB288_634:                            ;   in Loop: Header=BB288_13 Depth=1
	s_or_b32 exec_lo, exec_lo, s25
	v_lshrrev_b16 v7, 8, v9
	s_mov_b32 s25, exec_lo
	v_cmpx_ne_u16_e32 0, v7
	s_cbranch_execz .LBB288_642
; %bb.635:                              ;   in Loop: Header=BB288_13 Depth=1
	v_bfrev_b32_e32 v118, 1
	s_mov_b32 s26, exec_lo
	v_cmpx_ne_u16_e32 0x80, v7
	s_cbranch_execz .LBB288_641
; %bb.636:                              ;   in Loop: Header=BB288_13 Depth=1
	v_mov_b32_e32 v0, 0x7f
	v_mov_b32_e32 v118, 0x7c010000
	s_mov_b32 s27, exec_lo
	v_and_b32_sdwa v2, v7, v0 dst_sel:DWORD dst_unused:UNUSED_PAD src0_sel:WORD_0 src1_sel:DWORD
	v_cmpx_ne_u32_e32 0x7f, v2
	s_cbranch_execz .LBB288_640
; %bb.637:                              ;   in Loop: Header=BB288_13 Depth=1
	v_mov_b32_e32 v0, 7
	v_lshrrev_b32_e32 v1, 3, v2
	s_mov_b32 s28, exec_lo
	v_and_b32_sdwa v0, v7, v0 dst_sel:DWORD dst_unused:UNUSED_PAD src0_sel:WORD_0 src1_sel:DWORD
	v_cmpx_gt_u32_e32 8, v2
; %bb.638:                              ;   in Loop: Header=BB288_13 Depth=1
	v_ffbh_u32_e32 v0, v0
	v_min_u32_e32 v2, 32, v0
	v_subrev_nc_u32_e32 v0, 28, v2
	v_lshlrev_b64 v[0:1], v0, v[7:8]
	v_sub_nc_u32_e32 v1, 29, v2
	v_and_b32_e32 v0, 7, v0
; %bb.639:                              ;   in Loop: Header=BB288_13 Depth=1
	s_or_b32 exec_lo, exec_lo, s28
	v_mov_b32_e32 v2, 8
	v_lshl_add_u32 v1, v1, 10, 0x2000
	v_lshlrev_b32_e32 v0, 23, v0
	v_lshlrev_b32_sdwa v2, v2, v7 dst_sel:DWORD dst_unused:UNUSED_PAD src0_sel:DWORD src1_sel:WORD_0
	v_and_or_b32 v1, 0x8000, v2, v1
	v_lshl_or_b32 v118, v1, 16, v0
.LBB288_640:                            ;   in Loop: Header=BB288_13 Depth=1
	s_or_b32 exec_lo, exec_lo, s27
.LBB288_641:                            ;   in Loop: Header=BB288_13 Depth=1
	s_or_b32 exec_lo, exec_lo, s26
.LBB288_642:                            ;   in Loop: Header=BB288_13 Depth=1
	s_or_b32 exec_lo, exec_lo, s25
	v_lshrrev_b32_e32 v7, 16, v9
	v_mov_b32_e32 v56, 0
	v_mov_b32_e32 v58, 0
	v_cmp_ne_u16_sdwa s7, v7, v8 src0_sel:BYTE_0 src1_sel:DWORD
	s_and_saveexec_b32 s25, s7
	s_cbranch_execz .LBB288_650
; %bb.643:                              ;   in Loop: Header=BB288_13 Depth=1
	v_cmp_ne_u16_sdwa s7, v7, v81 src0_sel:BYTE_0 src1_sel:DWORD
	v_mov_b32_e32 v58, 0x8000
	s_and_saveexec_b32 s26, s7
	s_cbranch_execz .LBB288_649
; %bb.644:                              ;   in Loop: Header=BB288_13 Depth=1
	v_bfe_u32 v2, v9, 16, 7
	v_mov_b32_e32 v58, 0x7c01
	s_mov_b32 s27, exec_lo
	v_cmpx_ne_u32_e32 0x7f, v2
	s_cbranch_execz .LBB288_648
; %bb.645:                              ;   in Loop: Header=BB288_13 Depth=1
	v_and_b32_e32 v0, 7, v7
	v_lshrrev_b32_e32 v1, 3, v2
	s_mov_b32 s28, exec_lo
	v_cmpx_gt_u32_e32 8, v2
; %bb.646:                              ;   in Loop: Header=BB288_13 Depth=1
	v_ffbh_u32_e32 v0, v0
	v_min_u32_e32 v2, 32, v0
	v_subrev_nc_u32_e32 v0, 28, v2
	v_lshlrev_b64 v[0:1], v0, v[7:8]
	v_sub_nc_u32_e32 v1, 29, v2
	v_and_b32_e32 v0, 7, v0
; %bb.647:                              ;   in Loop: Header=BB288_13 Depth=1
	s_or_b32 exec_lo, exec_lo, s28
	v_lshlrev_b32_e32 v2, 8, v7
	v_lshl_add_u32 v1, v1, 10, 0x2000
	v_lshlrev_b32_e32 v0, 7, v0
	v_and_b32_e32 v2, 0x8000, v2
	v_and_b32_e32 v1, 0xfc00, v1
	v_or3_b32 v58, v2, v1, v0
.LBB288_648:                            ;   in Loop: Header=BB288_13 Depth=1
	s_or_b32 exec_lo, exec_lo, s27
.LBB288_649:                            ;   in Loop: Header=BB288_13 Depth=1
	s_or_b32 exec_lo, exec_lo, s26
.LBB288_650:                            ;   in Loop: Header=BB288_13 Depth=1
	s_or_b32 exec_lo, exec_lo, s25
	s_mov_b32 s25, exec_lo
	v_cmpx_lt_u32_e32 0xffffff, v9
	s_cbranch_execz .LBB288_658
; %bb.651:                              ;   in Loop: Header=BB288_13 Depth=1
	v_lshrrev_b32_e32 v7, 24, v9
	v_bfrev_b32_e32 v56, 1
	s_mov_b32 s26, exec_lo
	v_cmpx_ne_u32_e32 0x80, v7
	s_cbranch_execz .LBB288_657
; %bb.652:                              ;   in Loop: Header=BB288_13 Depth=1
	v_and_b32_e32 v2, 0x7f, v7
	v_mov_b32_e32 v56, 0x7c010000
	s_mov_b32 s27, exec_lo
	v_cmpx_ne_u32_e32 0x7f, v2
	s_cbranch_execz .LBB288_656
; %bb.653:                              ;   in Loop: Header=BB288_13 Depth=1
	v_and_b32_e32 v0, 7, v7
	v_lshrrev_b32_e32 v1, 3, v2
	s_mov_b32 s28, exec_lo
	v_cmpx_gt_u32_e32 8, v2
; %bb.654:                              ;   in Loop: Header=BB288_13 Depth=1
	v_ffbh_u32_e32 v0, v0
	v_min_u32_e32 v2, 32, v0
	v_subrev_nc_u32_e32 v0, 28, v2
	v_lshlrev_b64 v[0:1], v0, v[7:8]
	v_sub_nc_u32_e32 v1, 29, v2
	v_and_b32_e32 v0, 7, v0
; %bb.655:                              ;   in Loop: Header=BB288_13 Depth=1
	s_or_b32 exec_lo, exec_lo, s28
	v_lshlrev_b32_e32 v2, 8, v7
	v_lshl_add_u32 v1, v1, 10, 0x2000
	v_lshlrev_b32_e32 v0, 23, v0
	v_and_or_b32 v1, 0x8000, v2, v1
	v_lshl_or_b32 v56, v1, 16, v0
.LBB288_656:                            ;   in Loop: Header=BB288_13 Depth=1
	s_or_b32 exec_lo, exec_lo, s27
.LBB288_657:                            ;   in Loop: Header=BB288_13 Depth=1
	s_or_b32 exec_lo, exec_lo, s26
.LBB288_658:                            ;   in Loop: Header=BB288_13 Depth=1
	s_or_b32 exec_lo, exec_lo, s25
	buffer_load_dword v2, off, s[0:3], s32 offset:208 ; 4-byte Folded Reload
	v_add_co_u32 v0, s7, 0xa00, v31
	v_add_co_ci_u32_e64 v1, null, 0, v32, s7
	v_mov_b32_e32 v44, 0
	v_mov_b32_e32 v46, 0
	s_waitcnt vmcnt(0)
	v_add_co_u32 v2, s7, v0, v2
	v_add_co_ci_u32_e64 v3, null, 0, v1, s7
	flat_load_dword v9, v[2:3]
	s_waitcnt vmcnt(0) lgkmcnt(0)
	v_cmp_ne_u16_sdwa s7, v9, v8 src0_sel:BYTE_0 src1_sel:DWORD
	s_and_saveexec_b32 s25, s7
	s_cbranch_execz .LBB288_666
; %bb.659:                              ;   in Loop: Header=BB288_13 Depth=1
	v_cmp_ne_u16_sdwa s7, v9, v81 src0_sel:BYTE_0 src1_sel:DWORD
	v_mov_b32_e32 v46, 0x8000
	s_and_saveexec_b32 s26, s7
	s_cbranch_execz .LBB288_665
; %bb.660:                              ;   in Loop: Header=BB288_13 Depth=1
	v_and_b32_e32 v4, 0x7f, v9
	v_mov_b32_e32 v46, 0x7c01
	s_mov_b32 s27, exec_lo
	v_cmpx_ne_u32_e32 0x7f, v4
	s_cbranch_execz .LBB288_664
; %bb.661:                              ;   in Loop: Header=BB288_13 Depth=1
	v_and_b32_e32 v2, 7, v9
	v_lshrrev_b32_e32 v3, 3, v4
	s_mov_b32 s28, exec_lo
	v_cmpx_gt_u32_e32 8, v4
; %bb.662:                              ;   in Loop: Header=BB288_13 Depth=1
	v_ffbh_u32_e32 v2, v2
	v_min_u32_e32 v4, 32, v2
	v_subrev_nc_u32_e32 v2, 28, v4
	v_lshlrev_b64 v[2:3], v2, v[9:10]
	v_sub_nc_u32_e32 v3, 29, v4
	v_and_b32_e32 v2, 7, v2
; %bb.663:                              ;   in Loop: Header=BB288_13 Depth=1
	s_or_b32 exec_lo, exec_lo, s28
	v_lshlrev_b32_e32 v4, 8, v9
	v_lshl_add_u32 v3, v3, 10, 0x2000
	v_lshlrev_b32_e32 v2, 7, v2
	v_and_b32_e32 v4, 0x8000, v4
	v_and_b32_e32 v3, 0xfc00, v3
	v_or3_b32 v46, v4, v3, v2
.LBB288_664:                            ;   in Loop: Header=BB288_13 Depth=1
	s_or_b32 exec_lo, exec_lo, s27
.LBB288_665:                            ;   in Loop: Header=BB288_13 Depth=1
	s_or_b32 exec_lo, exec_lo, s26
.LBB288_666:                            ;   in Loop: Header=BB288_13 Depth=1
	s_or_b32 exec_lo, exec_lo, s25
	v_lshrrev_b16 v7, 8, v9
	s_mov_b32 s25, exec_lo
	v_cmpx_ne_u16_e32 0, v7
	s_cbranch_execz .LBB288_674
; %bb.667:                              ;   in Loop: Header=BB288_13 Depth=1
	v_bfrev_b32_e32 v44, 1
	s_mov_b32 s26, exec_lo
	v_cmpx_ne_u16_e32 0x80, v7
	s_cbranch_execz .LBB288_673
; %bb.668:                              ;   in Loop: Header=BB288_13 Depth=1
	v_mov_b32_e32 v2, 0x7f
	v_mov_b32_e32 v44, 0x7c010000
	s_mov_b32 s27, exec_lo
	v_and_b32_sdwa v4, v7, v2 dst_sel:DWORD dst_unused:UNUSED_PAD src0_sel:WORD_0 src1_sel:DWORD
	v_cmpx_ne_u32_e32 0x7f, v4
	s_cbranch_execz .LBB288_672
; %bb.669:                              ;   in Loop: Header=BB288_13 Depth=1
	v_mov_b32_e32 v2, 7
	v_lshrrev_b32_e32 v3, 3, v4
	s_mov_b32 s28, exec_lo
	v_and_b32_sdwa v2, v7, v2 dst_sel:DWORD dst_unused:UNUSED_PAD src0_sel:WORD_0 src1_sel:DWORD
	v_cmpx_gt_u32_e32 8, v4
; %bb.670:                              ;   in Loop: Header=BB288_13 Depth=1
	v_ffbh_u32_e32 v2, v2
	v_min_u32_e32 v4, 32, v2
	v_subrev_nc_u32_e32 v2, 28, v4
	v_lshlrev_b64 v[2:3], v2, v[7:8]
	v_sub_nc_u32_e32 v3, 29, v4
	v_and_b32_e32 v2, 7, v2
; %bb.671:                              ;   in Loop: Header=BB288_13 Depth=1
	s_or_b32 exec_lo, exec_lo, s28
	v_mov_b32_e32 v4, 8
	v_lshl_add_u32 v3, v3, 10, 0x2000
	v_lshlrev_b32_e32 v2, 23, v2
	v_lshlrev_b32_sdwa v4, v4, v7 dst_sel:DWORD dst_unused:UNUSED_PAD src0_sel:DWORD src1_sel:WORD_0
	v_and_or_b32 v3, 0x8000, v4, v3
	v_lshl_or_b32 v44, v3, 16, v2
.LBB288_672:                            ;   in Loop: Header=BB288_13 Depth=1
	s_or_b32 exec_lo, exec_lo, s27
.LBB288_673:                            ;   in Loop: Header=BB288_13 Depth=1
	s_or_b32 exec_lo, exec_lo, s26
.LBB288_674:                            ;   in Loop: Header=BB288_13 Depth=1
	s_or_b32 exec_lo, exec_lo, s25
	v_lshrrev_b32_e32 v7, 16, v9
	v_mov_b32_e32 v62, 0
	v_mov_b32_e32 v33, 0
	v_cmp_ne_u16_sdwa s7, v7, v8 src0_sel:BYTE_0 src1_sel:DWORD
	s_and_saveexec_b32 s25, s7
	s_cbranch_execz .LBB288_682
; %bb.675:                              ;   in Loop: Header=BB288_13 Depth=1
	v_cmp_ne_u16_sdwa s7, v7, v81 src0_sel:BYTE_0 src1_sel:DWORD
	v_mov_b32_e32 v33, 0x8000
	s_and_saveexec_b32 s26, s7
	s_cbranch_execz .LBB288_681
; %bb.676:                              ;   in Loop: Header=BB288_13 Depth=1
	v_bfe_u32 v4, v9, 16, 7
	v_mov_b32_e32 v33, 0x7c01
	s_mov_b32 s27, exec_lo
	v_cmpx_ne_u32_e32 0x7f, v4
	s_cbranch_execz .LBB288_680
; %bb.677:                              ;   in Loop: Header=BB288_13 Depth=1
	v_and_b32_e32 v2, 7, v7
	v_lshrrev_b32_e32 v3, 3, v4
	s_mov_b32 s28, exec_lo
	v_cmpx_gt_u32_e32 8, v4
; %bb.678:                              ;   in Loop: Header=BB288_13 Depth=1
	v_ffbh_u32_e32 v2, v2
	v_min_u32_e32 v4, 32, v2
	v_subrev_nc_u32_e32 v2, 28, v4
	v_lshlrev_b64 v[2:3], v2, v[7:8]
	v_sub_nc_u32_e32 v3, 29, v4
	v_and_b32_e32 v2, 7, v2
; %bb.679:                              ;   in Loop: Header=BB288_13 Depth=1
	s_or_b32 exec_lo, exec_lo, s28
	v_lshlrev_b32_e32 v4, 8, v7
	v_lshl_add_u32 v3, v3, 10, 0x2000
	v_lshlrev_b32_e32 v2, 7, v2
	v_and_b32_e32 v4, 0x8000, v4
	v_and_b32_e32 v3, 0xfc00, v3
	v_or3_b32 v33, v4, v3, v2
.LBB288_680:                            ;   in Loop: Header=BB288_13 Depth=1
	s_or_b32 exec_lo, exec_lo, s27
.LBB288_681:                            ;   in Loop: Header=BB288_13 Depth=1
	s_or_b32 exec_lo, exec_lo, s26
.LBB288_682:                            ;   in Loop: Header=BB288_13 Depth=1
	s_or_b32 exec_lo, exec_lo, s25
	s_mov_b32 s25, exec_lo
	v_cmpx_lt_u32_e32 0xffffff, v9
	s_cbranch_execz .LBB288_690
; %bb.683:                              ;   in Loop: Header=BB288_13 Depth=1
	v_lshrrev_b32_e32 v7, 24, v9
	v_bfrev_b32_e32 v62, 1
	s_mov_b32 s26, exec_lo
	v_cmpx_ne_u32_e32 0x80, v7
	s_cbranch_execz .LBB288_689
; %bb.684:                              ;   in Loop: Header=BB288_13 Depth=1
	v_and_b32_e32 v4, 0x7f, v7
	v_mov_b32_e32 v62, 0x7c010000
	s_mov_b32 s27, exec_lo
	v_cmpx_ne_u32_e32 0x7f, v4
	s_cbranch_execz .LBB288_688
; %bb.685:                              ;   in Loop: Header=BB288_13 Depth=1
	v_and_b32_e32 v2, 7, v7
	v_lshrrev_b32_e32 v3, 3, v4
	s_mov_b32 s28, exec_lo
	v_cmpx_gt_u32_e32 8, v4
; %bb.686:                              ;   in Loop: Header=BB288_13 Depth=1
	v_ffbh_u32_e32 v2, v2
	v_min_u32_e32 v4, 32, v2
	v_subrev_nc_u32_e32 v2, 28, v4
	v_lshlrev_b64 v[2:3], v2, v[7:8]
	v_sub_nc_u32_e32 v3, 29, v4
	v_and_b32_e32 v2, 7, v2
; %bb.687:                              ;   in Loop: Header=BB288_13 Depth=1
	s_or_b32 exec_lo, exec_lo, s28
	v_lshlrev_b32_e32 v4, 8, v7
	v_lshl_add_u32 v3, v3, 10, 0x2000
	v_lshlrev_b32_e32 v2, 23, v2
	v_and_or_b32 v3, 0x8000, v4, v3
	v_lshl_or_b32 v62, v3, 16, v2
.LBB288_688:                            ;   in Loop: Header=BB288_13 Depth=1
	s_or_b32 exec_lo, exec_lo, s27
.LBB288_689:                            ;   in Loop: Header=BB288_13 Depth=1
	s_or_b32 exec_lo, exec_lo, s26
.LBB288_690:                            ;   in Loop: Header=BB288_13 Depth=1
	s_or_b32 exec_lo, exec_lo, s25
	buffer_load_dword v2, off, s[0:3], s32 offset:212 ; 4-byte Folded Reload
	v_mov_b32_e32 v114, 0
	v_mov_b32_e32 v116, 0
	s_waitcnt vmcnt(0)
	v_add_co_u32 v0, s7, v0, v2
	v_add_co_ci_u32_e64 v1, null, 0, v1, s7
	flat_load_dword v9, v[0:1]
	s_waitcnt vmcnt(0) lgkmcnt(0)
	v_cmp_ne_u16_sdwa s7, v9, v8 src0_sel:BYTE_0 src1_sel:DWORD
	s_and_saveexec_b32 s25, s7
	s_cbranch_execz .LBB288_698
; %bb.691:                              ;   in Loop: Header=BB288_13 Depth=1
	v_cmp_ne_u16_sdwa s7, v9, v81 src0_sel:BYTE_0 src1_sel:DWORD
	v_mov_b32_e32 v116, 0x8000
	s_and_saveexec_b32 s26, s7
	s_cbranch_execz .LBB288_697
; %bb.692:                              ;   in Loop: Header=BB288_13 Depth=1
	v_and_b32_e32 v2, 0x7f, v9
	v_mov_b32_e32 v116, 0x7c01
	s_mov_b32 s27, exec_lo
	v_cmpx_ne_u32_e32 0x7f, v2
	s_cbranch_execz .LBB288_696
; %bb.693:                              ;   in Loop: Header=BB288_13 Depth=1
	v_and_b32_e32 v0, 7, v9
	v_lshrrev_b32_e32 v1, 3, v2
	s_mov_b32 s28, exec_lo
	v_cmpx_gt_u32_e32 8, v2
; %bb.694:                              ;   in Loop: Header=BB288_13 Depth=1
	v_ffbh_u32_e32 v0, v0
	v_min_u32_e32 v2, 32, v0
	v_subrev_nc_u32_e32 v0, 28, v2
	v_lshlrev_b64 v[0:1], v0, v[9:10]
	v_sub_nc_u32_e32 v1, 29, v2
	v_and_b32_e32 v0, 7, v0
; %bb.695:                              ;   in Loop: Header=BB288_13 Depth=1
	s_or_b32 exec_lo, exec_lo, s28
	v_lshlrev_b32_e32 v2, 8, v9
	v_lshl_add_u32 v1, v1, 10, 0x2000
	v_lshlrev_b32_e32 v0, 7, v0
	v_and_b32_e32 v2, 0x8000, v2
	v_and_b32_e32 v1, 0xfc00, v1
	v_or3_b32 v116, v2, v1, v0
.LBB288_696:                            ;   in Loop: Header=BB288_13 Depth=1
	s_or_b32 exec_lo, exec_lo, s27
.LBB288_697:                            ;   in Loop: Header=BB288_13 Depth=1
	s_or_b32 exec_lo, exec_lo, s26
.LBB288_698:                            ;   in Loop: Header=BB288_13 Depth=1
	s_or_b32 exec_lo, exec_lo, s25
	v_lshrrev_b16 v7, 8, v9
	s_mov_b32 s25, exec_lo
	v_cmpx_ne_u16_e32 0, v7
	s_cbranch_execz .LBB288_706
; %bb.699:                              ;   in Loop: Header=BB288_13 Depth=1
	v_bfrev_b32_e32 v114, 1
	s_mov_b32 s26, exec_lo
	v_cmpx_ne_u16_e32 0x80, v7
	s_cbranch_execz .LBB288_705
; %bb.700:                              ;   in Loop: Header=BB288_13 Depth=1
	v_mov_b32_e32 v0, 0x7f
	v_mov_b32_e32 v114, 0x7c010000
	s_mov_b32 s27, exec_lo
	v_and_b32_sdwa v2, v7, v0 dst_sel:DWORD dst_unused:UNUSED_PAD src0_sel:WORD_0 src1_sel:DWORD
	v_cmpx_ne_u32_e32 0x7f, v2
	s_cbranch_execz .LBB288_704
; %bb.701:                              ;   in Loop: Header=BB288_13 Depth=1
	v_mov_b32_e32 v0, 7
	v_lshrrev_b32_e32 v1, 3, v2
	s_mov_b32 s28, exec_lo
	v_and_b32_sdwa v0, v7, v0 dst_sel:DWORD dst_unused:UNUSED_PAD src0_sel:WORD_0 src1_sel:DWORD
	v_cmpx_gt_u32_e32 8, v2
; %bb.702:                              ;   in Loop: Header=BB288_13 Depth=1
	v_ffbh_u32_e32 v0, v0
	v_min_u32_e32 v2, 32, v0
	v_subrev_nc_u32_e32 v0, 28, v2
	v_lshlrev_b64 v[0:1], v0, v[7:8]
	v_sub_nc_u32_e32 v1, 29, v2
	v_and_b32_e32 v0, 7, v0
; %bb.703:                              ;   in Loop: Header=BB288_13 Depth=1
	s_or_b32 exec_lo, exec_lo, s28
	v_mov_b32_e32 v2, 8
	v_lshl_add_u32 v1, v1, 10, 0x2000
	v_lshlrev_b32_e32 v0, 23, v0
	v_lshlrev_b32_sdwa v2, v2, v7 dst_sel:DWORD dst_unused:UNUSED_PAD src0_sel:DWORD src1_sel:WORD_0
	v_and_or_b32 v1, 0x8000, v2, v1
	v_lshl_or_b32 v114, v1, 16, v0
.LBB288_704:                            ;   in Loop: Header=BB288_13 Depth=1
	s_or_b32 exec_lo, exec_lo, s27
.LBB288_705:                            ;   in Loop: Header=BB288_13 Depth=1
	s_or_b32 exec_lo, exec_lo, s26
.LBB288_706:                            ;   in Loop: Header=BB288_13 Depth=1
	s_or_b32 exec_lo, exec_lo, s25
	v_lshrrev_b32_e32 v7, 16, v9
	v_mov_b32_e32 v60, 0
	v_mov_b32_e32 v125, 0
	v_cmp_ne_u16_sdwa s7, v7, v8 src0_sel:BYTE_0 src1_sel:DWORD
	s_and_saveexec_b32 s25, s7
	s_cbranch_execz .LBB288_714
; %bb.707:                              ;   in Loop: Header=BB288_13 Depth=1
	v_cmp_ne_u16_sdwa s7, v7, v81 src0_sel:BYTE_0 src1_sel:DWORD
	v_mov_b32_e32 v125, 0x8000
	s_and_saveexec_b32 s26, s7
	s_cbranch_execz .LBB288_713
; %bb.708:                              ;   in Loop: Header=BB288_13 Depth=1
	v_bfe_u32 v2, v9, 16, 7
	v_mov_b32_e32 v125, 0x7c01
	s_mov_b32 s27, exec_lo
	v_cmpx_ne_u32_e32 0x7f, v2
	s_cbranch_execz .LBB288_712
; %bb.709:                              ;   in Loop: Header=BB288_13 Depth=1
	v_and_b32_e32 v0, 7, v7
	v_lshrrev_b32_e32 v1, 3, v2
	s_mov_b32 s28, exec_lo
	v_cmpx_gt_u32_e32 8, v2
; %bb.710:                              ;   in Loop: Header=BB288_13 Depth=1
	v_ffbh_u32_e32 v0, v0
	v_min_u32_e32 v2, 32, v0
	v_subrev_nc_u32_e32 v0, 28, v2
	v_lshlrev_b64 v[0:1], v0, v[7:8]
	v_sub_nc_u32_e32 v1, 29, v2
	v_and_b32_e32 v0, 7, v0
; %bb.711:                              ;   in Loop: Header=BB288_13 Depth=1
	s_or_b32 exec_lo, exec_lo, s28
	v_lshlrev_b32_e32 v2, 8, v7
	v_lshl_add_u32 v1, v1, 10, 0x2000
	v_lshlrev_b32_e32 v0, 7, v0
	v_and_b32_e32 v2, 0x8000, v2
	v_and_b32_e32 v1, 0xfc00, v1
	v_or3_b32 v125, v2, v1, v0
.LBB288_712:                            ;   in Loop: Header=BB288_13 Depth=1
	s_or_b32 exec_lo, exec_lo, s27
.LBB288_713:                            ;   in Loop: Header=BB288_13 Depth=1
	s_or_b32 exec_lo, exec_lo, s26
.LBB288_714:                            ;   in Loop: Header=BB288_13 Depth=1
	s_or_b32 exec_lo, exec_lo, s25
	s_mov_b32 s25, exec_lo
	v_cmpx_lt_u32_e32 0xffffff, v9
	s_cbranch_execz .LBB288_722
; %bb.715:                              ;   in Loop: Header=BB288_13 Depth=1
	v_lshrrev_b32_e32 v7, 24, v9
	v_bfrev_b32_e32 v60, 1
	s_mov_b32 s26, exec_lo
	v_cmpx_ne_u32_e32 0x80, v7
	s_cbranch_execz .LBB288_721
; %bb.716:                              ;   in Loop: Header=BB288_13 Depth=1
	v_and_b32_e32 v2, 0x7f, v7
	v_mov_b32_e32 v60, 0x7c010000
	s_mov_b32 s27, exec_lo
	v_cmpx_ne_u32_e32 0x7f, v2
	s_cbranch_execz .LBB288_720
; %bb.717:                              ;   in Loop: Header=BB288_13 Depth=1
	v_and_b32_e32 v0, 7, v7
	v_lshrrev_b32_e32 v1, 3, v2
	s_mov_b32 s28, exec_lo
	v_cmpx_gt_u32_e32 8, v2
; %bb.718:                              ;   in Loop: Header=BB288_13 Depth=1
	v_ffbh_u32_e32 v0, v0
	v_min_u32_e32 v2, 32, v0
	v_subrev_nc_u32_e32 v0, 28, v2
	v_lshlrev_b64 v[0:1], v0, v[7:8]
	v_sub_nc_u32_e32 v1, 29, v2
	v_and_b32_e32 v0, 7, v0
; %bb.719:                              ;   in Loop: Header=BB288_13 Depth=1
	s_or_b32 exec_lo, exec_lo, s28
	v_lshlrev_b32_e32 v2, 8, v7
	v_lshl_add_u32 v1, v1, 10, 0x2000
	v_lshlrev_b32_e32 v0, 23, v0
	v_and_or_b32 v1, 0x8000, v2, v1
	v_lshl_or_b32 v60, v1, 16, v0
.LBB288_720:                            ;   in Loop: Header=BB288_13 Depth=1
	s_or_b32 exec_lo, exec_lo, s27
.LBB288_721:                            ;   in Loop: Header=BB288_13 Depth=1
	s_or_b32 exec_lo, exec_lo, s26
.LBB288_722:                            ;   in Loop: Header=BB288_13 Depth=1
	s_or_b32 exec_lo, exec_lo, s25
	buffer_load_dword v2, off, s[0:3], s32 offset:208 ; 4-byte Folded Reload
	v_add_co_u32 v0, s7, 0xb00, v31
	v_add_co_ci_u32_e64 v1, null, 0, v32, s7
	v_mov_b32_e32 v69, 0
	v_mov_b32_e32 v82, 0
	s_waitcnt vmcnt(0)
	v_add_co_u32 v2, s7, v0, v2
	v_add_co_ci_u32_e64 v3, null, 0, v1, s7
	flat_load_dword v9, v[2:3]
	s_waitcnt vmcnt(0) lgkmcnt(0)
	v_cmp_ne_u16_sdwa s7, v9, v8 src0_sel:BYTE_0 src1_sel:DWORD
	s_and_saveexec_b32 s25, s7
	s_cbranch_execz .LBB288_730
; %bb.723:                              ;   in Loop: Header=BB288_13 Depth=1
	v_cmp_ne_u16_sdwa s7, v9, v81 src0_sel:BYTE_0 src1_sel:DWORD
	v_mov_b32_e32 v82, 0x8000
	s_and_saveexec_b32 s26, s7
	s_cbranch_execz .LBB288_729
; %bb.724:                              ;   in Loop: Header=BB288_13 Depth=1
	v_and_b32_e32 v4, 0x7f, v9
	v_mov_b32_e32 v82, 0x7c01
	s_mov_b32 s27, exec_lo
	v_cmpx_ne_u32_e32 0x7f, v4
	s_cbranch_execz .LBB288_728
; %bb.725:                              ;   in Loop: Header=BB288_13 Depth=1
	v_and_b32_e32 v2, 7, v9
	v_lshrrev_b32_e32 v3, 3, v4
	s_mov_b32 s28, exec_lo
	v_cmpx_gt_u32_e32 8, v4
; %bb.726:                              ;   in Loop: Header=BB288_13 Depth=1
	v_ffbh_u32_e32 v2, v2
	v_min_u32_e32 v4, 32, v2
	v_subrev_nc_u32_e32 v2, 28, v4
	v_lshlrev_b64 v[2:3], v2, v[9:10]
	v_sub_nc_u32_e32 v3, 29, v4
	v_and_b32_e32 v2, 7, v2
; %bb.727:                              ;   in Loop: Header=BB288_13 Depth=1
	s_or_b32 exec_lo, exec_lo, s28
	v_lshlrev_b32_e32 v4, 8, v9
	v_lshl_add_u32 v3, v3, 10, 0x2000
	v_lshlrev_b32_e32 v2, 7, v2
	v_and_b32_e32 v4, 0x8000, v4
	v_and_b32_e32 v3, 0xfc00, v3
	v_or3_b32 v82, v4, v3, v2
.LBB288_728:                            ;   in Loop: Header=BB288_13 Depth=1
	s_or_b32 exec_lo, exec_lo, s27
.LBB288_729:                            ;   in Loop: Header=BB288_13 Depth=1
	s_or_b32 exec_lo, exec_lo, s26
.LBB288_730:                            ;   in Loop: Header=BB288_13 Depth=1
	s_or_b32 exec_lo, exec_lo, s25
	v_lshrrev_b16 v7, 8, v9
	s_mov_b32 s25, exec_lo
	v_cmpx_ne_u16_e32 0, v7
	s_cbranch_execz .LBB288_738
; %bb.731:                              ;   in Loop: Header=BB288_13 Depth=1
	v_bfrev_b32_e32 v69, 1
	s_mov_b32 s26, exec_lo
	v_cmpx_ne_u16_e32 0x80, v7
	s_cbranch_execz .LBB288_737
; %bb.732:                              ;   in Loop: Header=BB288_13 Depth=1
	v_mov_b32_e32 v2, 0x7f
	v_mov_b32_e32 v69, 0x7c010000
	s_mov_b32 s27, exec_lo
	v_and_b32_sdwa v4, v7, v2 dst_sel:DWORD dst_unused:UNUSED_PAD src0_sel:WORD_0 src1_sel:DWORD
	v_cmpx_ne_u32_e32 0x7f, v4
	s_cbranch_execz .LBB288_736
; %bb.733:                              ;   in Loop: Header=BB288_13 Depth=1
	v_mov_b32_e32 v2, 7
	v_lshrrev_b32_e32 v3, 3, v4
	s_mov_b32 s28, exec_lo
	v_and_b32_sdwa v2, v7, v2 dst_sel:DWORD dst_unused:UNUSED_PAD src0_sel:WORD_0 src1_sel:DWORD
	v_cmpx_gt_u32_e32 8, v4
; %bb.734:                              ;   in Loop: Header=BB288_13 Depth=1
	v_ffbh_u32_e32 v2, v2
	v_min_u32_e32 v4, 32, v2
	v_subrev_nc_u32_e32 v2, 28, v4
	v_lshlrev_b64 v[2:3], v2, v[7:8]
	v_sub_nc_u32_e32 v3, 29, v4
	v_and_b32_e32 v2, 7, v2
; %bb.735:                              ;   in Loop: Header=BB288_13 Depth=1
	s_or_b32 exec_lo, exec_lo, s28
	v_mov_b32_e32 v4, 8
	v_lshl_add_u32 v3, v3, 10, 0x2000
	v_lshlrev_b32_e32 v2, 23, v2
	v_lshlrev_b32_sdwa v4, v4, v7 dst_sel:DWORD dst_unused:UNUSED_PAD src0_sel:DWORD src1_sel:WORD_0
	v_and_or_b32 v3, 0x8000, v4, v3
	v_lshl_or_b32 v69, v3, 16, v2
.LBB288_736:                            ;   in Loop: Header=BB288_13 Depth=1
	s_or_b32 exec_lo, exec_lo, s27
.LBB288_737:                            ;   in Loop: Header=BB288_13 Depth=1
	s_or_b32 exec_lo, exec_lo, s26
.LBB288_738:                            ;   in Loop: Header=BB288_13 Depth=1
	s_or_b32 exec_lo, exec_lo, s25
	v_lshrrev_b32_e32 v7, 16, v9
	v_mov_b32_e32 v55, 0
	v_mov_b32_e32 v83, 0
	v_cmp_ne_u16_sdwa s7, v7, v8 src0_sel:BYTE_0 src1_sel:DWORD
	s_and_saveexec_b32 s25, s7
	s_cbranch_execz .LBB288_746
; %bb.739:                              ;   in Loop: Header=BB288_13 Depth=1
	v_cmp_ne_u16_sdwa s7, v7, v81 src0_sel:BYTE_0 src1_sel:DWORD
	v_mov_b32_e32 v83, 0x8000
	s_and_saveexec_b32 s26, s7
	s_cbranch_execz .LBB288_745
; %bb.740:                              ;   in Loop: Header=BB288_13 Depth=1
	v_bfe_u32 v4, v9, 16, 7
	v_mov_b32_e32 v83, 0x7c01
	s_mov_b32 s27, exec_lo
	v_cmpx_ne_u32_e32 0x7f, v4
	s_cbranch_execz .LBB288_744
; %bb.741:                              ;   in Loop: Header=BB288_13 Depth=1
	v_and_b32_e32 v2, 7, v7
	v_lshrrev_b32_e32 v3, 3, v4
	s_mov_b32 s28, exec_lo
	v_cmpx_gt_u32_e32 8, v4
; %bb.742:                              ;   in Loop: Header=BB288_13 Depth=1
	v_ffbh_u32_e32 v2, v2
	v_min_u32_e32 v4, 32, v2
	v_subrev_nc_u32_e32 v2, 28, v4
	v_lshlrev_b64 v[2:3], v2, v[7:8]
	v_sub_nc_u32_e32 v3, 29, v4
	v_and_b32_e32 v2, 7, v2
; %bb.743:                              ;   in Loop: Header=BB288_13 Depth=1
	s_or_b32 exec_lo, exec_lo, s28
	v_lshlrev_b32_e32 v4, 8, v7
	v_lshl_add_u32 v3, v3, 10, 0x2000
	v_lshlrev_b32_e32 v2, 7, v2
	v_and_b32_e32 v4, 0x8000, v4
	v_and_b32_e32 v3, 0xfc00, v3
	v_or3_b32 v83, v4, v3, v2
.LBB288_744:                            ;   in Loop: Header=BB288_13 Depth=1
	s_or_b32 exec_lo, exec_lo, s27
.LBB288_745:                            ;   in Loop: Header=BB288_13 Depth=1
	s_or_b32 exec_lo, exec_lo, s26
.LBB288_746:                            ;   in Loop: Header=BB288_13 Depth=1
	s_or_b32 exec_lo, exec_lo, s25
	s_mov_b32 s25, exec_lo
	v_cmpx_lt_u32_e32 0xffffff, v9
	s_cbranch_execz .LBB288_754
; %bb.747:                              ;   in Loop: Header=BB288_13 Depth=1
	v_lshrrev_b32_e32 v7, 24, v9
	v_bfrev_b32_e32 v55, 1
	s_mov_b32 s26, exec_lo
	v_cmpx_ne_u32_e32 0x80, v7
	s_cbranch_execz .LBB288_753
; %bb.748:                              ;   in Loop: Header=BB288_13 Depth=1
	v_and_b32_e32 v4, 0x7f, v7
	v_mov_b32_e32 v55, 0x7c010000
	s_mov_b32 s27, exec_lo
	v_cmpx_ne_u32_e32 0x7f, v4
	s_cbranch_execz .LBB288_752
; %bb.749:                              ;   in Loop: Header=BB288_13 Depth=1
	v_and_b32_e32 v2, 7, v7
	v_lshrrev_b32_e32 v3, 3, v4
	s_mov_b32 s28, exec_lo
	v_cmpx_gt_u32_e32 8, v4
; %bb.750:                              ;   in Loop: Header=BB288_13 Depth=1
	v_ffbh_u32_e32 v2, v2
	v_min_u32_e32 v4, 32, v2
	v_subrev_nc_u32_e32 v2, 28, v4
	v_lshlrev_b64 v[2:3], v2, v[7:8]
	v_sub_nc_u32_e32 v3, 29, v4
	v_and_b32_e32 v2, 7, v2
; %bb.751:                              ;   in Loop: Header=BB288_13 Depth=1
	s_or_b32 exec_lo, exec_lo, s28
	v_lshlrev_b32_e32 v4, 8, v7
	v_lshl_add_u32 v3, v3, 10, 0x2000
	v_lshlrev_b32_e32 v2, 23, v2
	v_and_or_b32 v3, 0x8000, v4, v3
	v_lshl_or_b32 v55, v3, 16, v2
.LBB288_752:                            ;   in Loop: Header=BB288_13 Depth=1
	s_or_b32 exec_lo, exec_lo, s27
.LBB288_753:                            ;   in Loop: Header=BB288_13 Depth=1
	s_or_b32 exec_lo, exec_lo, s26
.LBB288_754:                            ;   in Loop: Header=BB288_13 Depth=1
	s_or_b32 exec_lo, exec_lo, s25
	buffer_load_dword v2, off, s[0:3], s32 offset:212 ; 4-byte Folded Reload
	v_mov_b32_e32 v6, 0
	v_mov_b32_e32 v50, 0
	s_waitcnt vmcnt(0)
	v_add_co_u32 v0, s7, v0, v2
	v_add_co_ci_u32_e64 v1, null, 0, v1, s7
	flat_load_dword v9, v[0:1]
	s_waitcnt vmcnt(0) lgkmcnt(0)
	v_cmp_ne_u16_sdwa s7, v9, v8 src0_sel:BYTE_0 src1_sel:DWORD
	s_and_saveexec_b32 s25, s7
	s_cbranch_execz .LBB288_762
; %bb.755:                              ;   in Loop: Header=BB288_13 Depth=1
	v_cmp_ne_u16_sdwa s7, v9, v81 src0_sel:BYTE_0 src1_sel:DWORD
	v_mov_b32_e32 v50, 0x8000
	s_and_saveexec_b32 s26, s7
	s_cbranch_execz .LBB288_761
; %bb.756:                              ;   in Loop: Header=BB288_13 Depth=1
	v_and_b32_e32 v2, 0x7f, v9
	v_mov_b32_e32 v50, 0x7c01
	s_mov_b32 s27, exec_lo
	v_cmpx_ne_u32_e32 0x7f, v2
	s_cbranch_execz .LBB288_760
; %bb.757:                              ;   in Loop: Header=BB288_13 Depth=1
	v_and_b32_e32 v0, 7, v9
	v_lshrrev_b32_e32 v1, 3, v2
	s_mov_b32 s28, exec_lo
	v_cmpx_gt_u32_e32 8, v2
; %bb.758:                              ;   in Loop: Header=BB288_13 Depth=1
	v_ffbh_u32_e32 v0, v0
	v_min_u32_e32 v2, 32, v0
	v_subrev_nc_u32_e32 v0, 28, v2
	v_lshlrev_b64 v[0:1], v0, v[9:10]
	v_sub_nc_u32_e32 v1, 29, v2
	v_and_b32_e32 v0, 7, v0
; %bb.759:                              ;   in Loop: Header=BB288_13 Depth=1
	s_or_b32 exec_lo, exec_lo, s28
	v_lshlrev_b32_e32 v2, 8, v9
	v_lshl_add_u32 v1, v1, 10, 0x2000
	v_lshlrev_b32_e32 v0, 7, v0
	v_and_b32_e32 v2, 0x8000, v2
	v_and_b32_e32 v1, 0xfc00, v1
	v_or3_b32 v50, v2, v1, v0
.LBB288_760:                            ;   in Loop: Header=BB288_13 Depth=1
	s_or_b32 exec_lo, exec_lo, s27
.LBB288_761:                            ;   in Loop: Header=BB288_13 Depth=1
	s_or_b32 exec_lo, exec_lo, s26
.LBB288_762:                            ;   in Loop: Header=BB288_13 Depth=1
	s_or_b32 exec_lo, exec_lo, s25
	v_lshrrev_b16 v7, 8, v9
	s_mov_b32 s25, exec_lo
	v_cmpx_ne_u16_e32 0, v7
	s_cbranch_execz .LBB288_770
; %bb.763:                              ;   in Loop: Header=BB288_13 Depth=1
	v_bfrev_b32_e32 v6, 1
	s_mov_b32 s26, exec_lo
	v_cmpx_ne_u16_e32 0x80, v7
	s_cbranch_execz .LBB288_769
; %bb.764:                              ;   in Loop: Header=BB288_13 Depth=1
	v_mov_b32_e32 v0, 0x7f
	v_mov_b32_e32 v6, 0x7c010000
	s_mov_b32 s27, exec_lo
	v_and_b32_sdwa v2, v7, v0 dst_sel:DWORD dst_unused:UNUSED_PAD src0_sel:WORD_0 src1_sel:DWORD
	v_cmpx_ne_u32_e32 0x7f, v2
	s_cbranch_execz .LBB288_768
; %bb.765:                              ;   in Loop: Header=BB288_13 Depth=1
	v_mov_b32_e32 v0, 7
	v_lshrrev_b32_e32 v1, 3, v2
	s_mov_b32 s28, exec_lo
	v_and_b32_sdwa v0, v7, v0 dst_sel:DWORD dst_unused:UNUSED_PAD src0_sel:WORD_0 src1_sel:DWORD
	v_cmpx_gt_u32_e32 8, v2
; %bb.766:                              ;   in Loop: Header=BB288_13 Depth=1
	v_ffbh_u32_e32 v0, v0
	v_min_u32_e32 v2, 32, v0
	v_subrev_nc_u32_e32 v0, 28, v2
	v_lshlrev_b64 v[0:1], v0, v[7:8]
	v_sub_nc_u32_e32 v1, 29, v2
	v_and_b32_e32 v0, 7, v0
; %bb.767:                              ;   in Loop: Header=BB288_13 Depth=1
	s_or_b32 exec_lo, exec_lo, s28
	v_mov_b32_e32 v2, 8
	v_lshl_add_u32 v1, v1, 10, 0x2000
	v_lshlrev_b32_e32 v0, 23, v0
	v_lshlrev_b32_sdwa v2, v2, v7 dst_sel:DWORD dst_unused:UNUSED_PAD src0_sel:DWORD src1_sel:WORD_0
	v_and_or_b32 v1, 0x8000, v2, v1
	v_lshl_or_b32 v6, v1, 16, v0
.LBB288_768:                            ;   in Loop: Header=BB288_13 Depth=1
	s_or_b32 exec_lo, exec_lo, s27
.LBB288_769:                            ;   in Loop: Header=BB288_13 Depth=1
	s_or_b32 exec_lo, exec_lo, s26
.LBB288_770:                            ;   in Loop: Header=BB288_13 Depth=1
	s_or_b32 exec_lo, exec_lo, s25
	v_lshrrev_b32_e32 v7, 16, v9
	v_mov_b32_e32 v86, 0
	v_mov_b32_e32 v112, 0
	v_cmp_ne_u16_sdwa s7, v7, v8 src0_sel:BYTE_0 src1_sel:DWORD
	s_and_saveexec_b32 s25, s7
	s_cbranch_execz .LBB288_778
; %bb.771:                              ;   in Loop: Header=BB288_13 Depth=1
	v_cmp_ne_u16_sdwa s7, v7, v81 src0_sel:BYTE_0 src1_sel:DWORD
	v_mov_b32_e32 v112, 0x8000
	s_and_saveexec_b32 s26, s7
	s_cbranch_execz .LBB288_777
; %bb.772:                              ;   in Loop: Header=BB288_13 Depth=1
	v_bfe_u32 v2, v9, 16, 7
	v_mov_b32_e32 v112, 0x7c01
	s_mov_b32 s27, exec_lo
	v_cmpx_ne_u32_e32 0x7f, v2
	s_cbranch_execz .LBB288_776
; %bb.773:                              ;   in Loop: Header=BB288_13 Depth=1
	v_and_b32_e32 v0, 7, v7
	v_lshrrev_b32_e32 v1, 3, v2
	s_mov_b32 s28, exec_lo
	v_cmpx_gt_u32_e32 8, v2
; %bb.774:                              ;   in Loop: Header=BB288_13 Depth=1
	v_ffbh_u32_e32 v0, v0
	v_min_u32_e32 v2, 32, v0
	v_subrev_nc_u32_e32 v0, 28, v2
	v_lshlrev_b64 v[0:1], v0, v[7:8]
	v_sub_nc_u32_e32 v1, 29, v2
	v_and_b32_e32 v0, 7, v0
; %bb.775:                              ;   in Loop: Header=BB288_13 Depth=1
	s_or_b32 exec_lo, exec_lo, s28
	v_lshlrev_b32_e32 v2, 8, v7
	v_lshl_add_u32 v1, v1, 10, 0x2000
	v_lshlrev_b32_e32 v0, 7, v0
	v_and_b32_e32 v2, 0x8000, v2
	v_and_b32_e32 v1, 0xfc00, v1
	v_or3_b32 v112, v2, v1, v0
.LBB288_776:                            ;   in Loop: Header=BB288_13 Depth=1
	s_or_b32 exec_lo, exec_lo, s27
.LBB288_777:                            ;   in Loop: Header=BB288_13 Depth=1
	s_or_b32 exec_lo, exec_lo, s26
.LBB288_778:                            ;   in Loop: Header=BB288_13 Depth=1
	s_or_b32 exec_lo, exec_lo, s25
	s_mov_b32 s25, exec_lo
	v_cmpx_lt_u32_e32 0xffffff, v9
	s_cbranch_execz .LBB288_786
; %bb.779:                              ;   in Loop: Header=BB288_13 Depth=1
	v_lshrrev_b32_e32 v7, 24, v9
	v_bfrev_b32_e32 v86, 1
	s_mov_b32 s26, exec_lo
	v_cmpx_ne_u32_e32 0x80, v7
	s_cbranch_execz .LBB288_785
; %bb.780:                              ;   in Loop: Header=BB288_13 Depth=1
	v_and_b32_e32 v2, 0x7f, v7
	v_mov_b32_e32 v86, 0x7c010000
	s_mov_b32 s27, exec_lo
	v_cmpx_ne_u32_e32 0x7f, v2
	s_cbranch_execz .LBB288_784
; %bb.781:                              ;   in Loop: Header=BB288_13 Depth=1
	v_and_b32_e32 v0, 7, v7
	v_lshrrev_b32_e32 v1, 3, v2
	s_mov_b32 s28, exec_lo
	v_cmpx_gt_u32_e32 8, v2
; %bb.782:                              ;   in Loop: Header=BB288_13 Depth=1
	v_ffbh_u32_e32 v0, v0
	v_min_u32_e32 v2, 32, v0
	v_subrev_nc_u32_e32 v0, 28, v2
	v_lshlrev_b64 v[0:1], v0, v[7:8]
	v_sub_nc_u32_e32 v1, 29, v2
	v_and_b32_e32 v0, 7, v0
; %bb.783:                              ;   in Loop: Header=BB288_13 Depth=1
	s_or_b32 exec_lo, exec_lo, s28
	v_lshlrev_b32_e32 v2, 8, v7
	v_lshl_add_u32 v1, v1, 10, 0x2000
	v_lshlrev_b32_e32 v0, 23, v0
	v_and_or_b32 v1, 0x8000, v2, v1
	v_lshl_or_b32 v86, v1, 16, v0
.LBB288_784:                            ;   in Loop: Header=BB288_13 Depth=1
	s_or_b32 exec_lo, exec_lo, s27
.LBB288_785:                            ;   in Loop: Header=BB288_13 Depth=1
	s_or_b32 exec_lo, exec_lo, s26
.LBB288_786:                            ;   in Loop: Header=BB288_13 Depth=1
	s_or_b32 exec_lo, exec_lo, s25
	buffer_load_dword v2, off, s[0:3], s32 offset:208 ; 4-byte Folded Reload
	v_add_co_u32 v0, s7, 0xc00, v31
	v_add_co_ci_u32_e64 v1, null, 0, v32, s7
	v_mov_b32_e32 v22, 0
	v_mov_b32_e32 v25, 0
	s_waitcnt vmcnt(0)
	v_add_co_u32 v2, s7, v0, v2
	v_add_co_ci_u32_e64 v3, null, 0, v1, s7
	flat_load_dword v9, v[2:3]
	s_waitcnt vmcnt(0) lgkmcnt(0)
	v_cmp_ne_u16_sdwa s7, v9, v8 src0_sel:BYTE_0 src1_sel:DWORD
	s_and_saveexec_b32 s25, s7
	s_cbranch_execz .LBB288_794
; %bb.787:                              ;   in Loop: Header=BB288_13 Depth=1
	v_cmp_ne_u16_sdwa s7, v9, v81 src0_sel:BYTE_0 src1_sel:DWORD
	v_mov_b32_e32 v25, 0x8000
	s_and_saveexec_b32 s26, s7
	s_cbranch_execz .LBB288_793
; %bb.788:                              ;   in Loop: Header=BB288_13 Depth=1
	v_and_b32_e32 v4, 0x7f, v9
	v_mov_b32_e32 v25, 0x7c01
	s_mov_b32 s27, exec_lo
	v_cmpx_ne_u32_e32 0x7f, v4
	s_cbranch_execz .LBB288_792
; %bb.789:                              ;   in Loop: Header=BB288_13 Depth=1
	v_and_b32_e32 v2, 7, v9
	v_lshrrev_b32_e32 v3, 3, v4
	s_mov_b32 s28, exec_lo
	v_cmpx_gt_u32_e32 8, v4
; %bb.790:                              ;   in Loop: Header=BB288_13 Depth=1
	v_ffbh_u32_e32 v2, v2
	v_min_u32_e32 v4, 32, v2
	v_subrev_nc_u32_e32 v2, 28, v4
	v_lshlrev_b64 v[2:3], v2, v[9:10]
	v_sub_nc_u32_e32 v3, 29, v4
	v_and_b32_e32 v2, 7, v2
; %bb.791:                              ;   in Loop: Header=BB288_13 Depth=1
	s_or_b32 exec_lo, exec_lo, s28
	v_lshlrev_b32_e32 v4, 8, v9
	v_lshl_add_u32 v3, v3, 10, 0x2000
	v_lshlrev_b32_e32 v2, 7, v2
	v_and_b32_e32 v4, 0x8000, v4
	v_and_b32_e32 v3, 0xfc00, v3
	v_or3_b32 v25, v4, v3, v2
.LBB288_792:                            ;   in Loop: Header=BB288_13 Depth=1
	s_or_b32 exec_lo, exec_lo, s27
.LBB288_793:                            ;   in Loop: Header=BB288_13 Depth=1
	s_or_b32 exec_lo, exec_lo, s26
.LBB288_794:                            ;   in Loop: Header=BB288_13 Depth=1
	s_or_b32 exec_lo, exec_lo, s25
	v_lshrrev_b16 v7, 8, v9
	s_mov_b32 s25, exec_lo
	v_cmpx_ne_u16_e32 0, v7
	s_cbranch_execz .LBB288_802
; %bb.795:                              ;   in Loop: Header=BB288_13 Depth=1
	v_bfrev_b32_e32 v22, 1
	s_mov_b32 s26, exec_lo
	v_cmpx_ne_u16_e32 0x80, v7
	s_cbranch_execz .LBB288_801
; %bb.796:                              ;   in Loop: Header=BB288_13 Depth=1
	v_mov_b32_e32 v2, 0x7f
	v_mov_b32_e32 v22, 0x7c010000
	s_mov_b32 s27, exec_lo
	v_and_b32_sdwa v4, v7, v2 dst_sel:DWORD dst_unused:UNUSED_PAD src0_sel:WORD_0 src1_sel:DWORD
	v_cmpx_ne_u32_e32 0x7f, v4
	s_cbranch_execz .LBB288_800
; %bb.797:                              ;   in Loop: Header=BB288_13 Depth=1
	v_mov_b32_e32 v2, 7
	v_lshrrev_b32_e32 v3, 3, v4
	s_mov_b32 s28, exec_lo
	v_and_b32_sdwa v2, v7, v2 dst_sel:DWORD dst_unused:UNUSED_PAD src0_sel:WORD_0 src1_sel:DWORD
	v_cmpx_gt_u32_e32 8, v4
; %bb.798:                              ;   in Loop: Header=BB288_13 Depth=1
	v_ffbh_u32_e32 v2, v2
	v_min_u32_e32 v4, 32, v2
	v_subrev_nc_u32_e32 v2, 28, v4
	v_lshlrev_b64 v[2:3], v2, v[7:8]
	v_sub_nc_u32_e32 v3, 29, v4
	v_and_b32_e32 v2, 7, v2
; %bb.799:                              ;   in Loop: Header=BB288_13 Depth=1
	s_or_b32 exec_lo, exec_lo, s28
	v_mov_b32_e32 v4, 8
	v_lshl_add_u32 v3, v3, 10, 0x2000
	v_lshlrev_b32_e32 v2, 23, v2
	v_lshlrev_b32_sdwa v4, v4, v7 dst_sel:DWORD dst_unused:UNUSED_PAD src0_sel:DWORD src1_sel:WORD_0
	v_and_or_b32 v3, 0x8000, v4, v3
	v_lshl_or_b32 v22, v3, 16, v2
.LBB288_800:                            ;   in Loop: Header=BB288_13 Depth=1
	s_or_b32 exec_lo, exec_lo, s27
.LBB288_801:                            ;   in Loop: Header=BB288_13 Depth=1
	s_or_b32 exec_lo, exec_lo, s26
.LBB288_802:                            ;   in Loop: Header=BB288_13 Depth=1
	s_or_b32 exec_lo, exec_lo, s25
	v_lshrrev_b32_e32 v7, 16, v9
	v_mov_b32_e32 v52, 0
	v_mov_b32_e32 v80, 0
	v_cmp_ne_u16_sdwa s7, v7, v8 src0_sel:BYTE_0 src1_sel:DWORD
	s_and_saveexec_b32 s25, s7
	s_cbranch_execz .LBB288_810
; %bb.803:                              ;   in Loop: Header=BB288_13 Depth=1
	v_cmp_ne_u16_sdwa s7, v7, v81 src0_sel:BYTE_0 src1_sel:DWORD
	v_mov_b32_e32 v80, 0x8000
	s_and_saveexec_b32 s26, s7
	s_cbranch_execz .LBB288_809
; %bb.804:                              ;   in Loop: Header=BB288_13 Depth=1
	v_bfe_u32 v4, v9, 16, 7
	v_mov_b32_e32 v80, 0x7c01
	s_mov_b32 s27, exec_lo
	v_cmpx_ne_u32_e32 0x7f, v4
	s_cbranch_execz .LBB288_808
; %bb.805:                              ;   in Loop: Header=BB288_13 Depth=1
	v_and_b32_e32 v2, 7, v7
	v_lshrrev_b32_e32 v3, 3, v4
	s_mov_b32 s28, exec_lo
	v_cmpx_gt_u32_e32 8, v4
; %bb.806:                              ;   in Loop: Header=BB288_13 Depth=1
	v_ffbh_u32_e32 v2, v2
	v_min_u32_e32 v4, 32, v2
	v_subrev_nc_u32_e32 v2, 28, v4
	v_lshlrev_b64 v[2:3], v2, v[7:8]
	v_sub_nc_u32_e32 v3, 29, v4
	v_and_b32_e32 v2, 7, v2
; %bb.807:                              ;   in Loop: Header=BB288_13 Depth=1
	s_or_b32 exec_lo, exec_lo, s28
	v_lshlrev_b32_e32 v4, 8, v7
	v_lshl_add_u32 v3, v3, 10, 0x2000
	v_lshlrev_b32_e32 v2, 7, v2
	v_and_b32_e32 v4, 0x8000, v4
	v_and_b32_e32 v3, 0xfc00, v3
	v_or3_b32 v80, v4, v3, v2
.LBB288_808:                            ;   in Loop: Header=BB288_13 Depth=1
	s_or_b32 exec_lo, exec_lo, s27
.LBB288_809:                            ;   in Loop: Header=BB288_13 Depth=1
	s_or_b32 exec_lo, exec_lo, s26
.LBB288_810:                            ;   in Loop: Header=BB288_13 Depth=1
	s_or_b32 exec_lo, exec_lo, s25
	s_mov_b32 s25, exec_lo
	v_cmpx_lt_u32_e32 0xffffff, v9
	s_cbranch_execz .LBB288_818
; %bb.811:                              ;   in Loop: Header=BB288_13 Depth=1
	v_lshrrev_b32_e32 v7, 24, v9
	v_bfrev_b32_e32 v52, 1
	s_mov_b32 s26, exec_lo
	v_cmpx_ne_u32_e32 0x80, v7
	s_cbranch_execz .LBB288_817
; %bb.812:                              ;   in Loop: Header=BB288_13 Depth=1
	v_and_b32_e32 v4, 0x7f, v7
	v_mov_b32_e32 v52, 0x7c010000
	s_mov_b32 s27, exec_lo
	v_cmpx_ne_u32_e32 0x7f, v4
	s_cbranch_execz .LBB288_816
; %bb.813:                              ;   in Loop: Header=BB288_13 Depth=1
	v_and_b32_e32 v2, 7, v7
	v_lshrrev_b32_e32 v3, 3, v4
	s_mov_b32 s28, exec_lo
	v_cmpx_gt_u32_e32 8, v4
; %bb.814:                              ;   in Loop: Header=BB288_13 Depth=1
	v_ffbh_u32_e32 v2, v2
	v_min_u32_e32 v4, 32, v2
	v_subrev_nc_u32_e32 v2, 28, v4
	v_lshlrev_b64 v[2:3], v2, v[7:8]
	v_sub_nc_u32_e32 v3, 29, v4
	v_and_b32_e32 v2, 7, v2
; %bb.815:                              ;   in Loop: Header=BB288_13 Depth=1
	s_or_b32 exec_lo, exec_lo, s28
	v_lshlrev_b32_e32 v4, 8, v7
	v_lshl_add_u32 v3, v3, 10, 0x2000
	v_lshlrev_b32_e32 v2, 23, v2
	v_and_or_b32 v3, 0x8000, v4, v3
	v_lshl_or_b32 v52, v3, 16, v2
.LBB288_816:                            ;   in Loop: Header=BB288_13 Depth=1
	s_or_b32 exec_lo, exec_lo, s27
.LBB288_817:                            ;   in Loop: Header=BB288_13 Depth=1
	s_or_b32 exec_lo, exec_lo, s26
.LBB288_818:                            ;   in Loop: Header=BB288_13 Depth=1
	s_or_b32 exec_lo, exec_lo, s25
	buffer_load_dword v2, off, s[0:3], s32 offset:212 ; 4-byte Folded Reload
	v_mov_b32_e32 v13, 0
	v_mov_b32_e32 v20, 0
	s_waitcnt vmcnt(0)
	v_add_co_u32 v0, s7, v0, v2
	v_add_co_ci_u32_e64 v1, null, 0, v1, s7
	flat_load_dword v9, v[0:1]
	s_waitcnt vmcnt(0) lgkmcnt(0)
	v_cmp_ne_u16_sdwa s7, v9, v8 src0_sel:BYTE_0 src1_sel:DWORD
	s_and_saveexec_b32 s25, s7
	s_cbranch_execz .LBB288_826
; %bb.819:                              ;   in Loop: Header=BB288_13 Depth=1
	v_cmp_ne_u16_sdwa s7, v9, v81 src0_sel:BYTE_0 src1_sel:DWORD
	v_mov_b32_e32 v20, 0x8000
	s_and_saveexec_b32 s26, s7
	s_cbranch_execz .LBB288_825
; %bb.820:                              ;   in Loop: Header=BB288_13 Depth=1
	v_and_b32_e32 v2, 0x7f, v9
	v_mov_b32_e32 v20, 0x7c01
	s_mov_b32 s27, exec_lo
	v_cmpx_ne_u32_e32 0x7f, v2
	s_cbranch_execz .LBB288_824
; %bb.821:                              ;   in Loop: Header=BB288_13 Depth=1
	v_and_b32_e32 v0, 7, v9
	v_lshrrev_b32_e32 v1, 3, v2
	s_mov_b32 s28, exec_lo
	v_cmpx_gt_u32_e32 8, v2
; %bb.822:                              ;   in Loop: Header=BB288_13 Depth=1
	v_ffbh_u32_e32 v0, v0
	v_min_u32_e32 v2, 32, v0
	v_subrev_nc_u32_e32 v0, 28, v2
	v_lshlrev_b64 v[0:1], v0, v[9:10]
	v_sub_nc_u32_e32 v1, 29, v2
	v_and_b32_e32 v0, 7, v0
; %bb.823:                              ;   in Loop: Header=BB288_13 Depth=1
	s_or_b32 exec_lo, exec_lo, s28
	v_lshlrev_b32_e32 v2, 8, v9
	v_lshl_add_u32 v1, v1, 10, 0x2000
	v_lshlrev_b32_e32 v0, 7, v0
	v_and_b32_e32 v2, 0x8000, v2
	v_and_b32_e32 v1, 0xfc00, v1
	v_or3_b32 v20, v2, v1, v0
.LBB288_824:                            ;   in Loop: Header=BB288_13 Depth=1
	s_or_b32 exec_lo, exec_lo, s27
.LBB288_825:                            ;   in Loop: Header=BB288_13 Depth=1
	s_or_b32 exec_lo, exec_lo, s26
.LBB288_826:                            ;   in Loop: Header=BB288_13 Depth=1
	s_or_b32 exec_lo, exec_lo, s25
	v_lshrrev_b16 v7, 8, v9
	s_mov_b32 s25, exec_lo
	v_cmpx_ne_u16_e32 0, v7
	s_cbranch_execz .LBB288_834
; %bb.827:                              ;   in Loop: Header=BB288_13 Depth=1
	v_bfrev_b32_e32 v13, 1
	s_mov_b32 s26, exec_lo
	v_cmpx_ne_u16_e32 0x80, v7
	s_cbranch_execz .LBB288_833
; %bb.828:                              ;   in Loop: Header=BB288_13 Depth=1
	v_mov_b32_e32 v0, 0x7f
	v_mov_b32_e32 v13, 0x7c010000
	s_mov_b32 s27, exec_lo
	v_and_b32_sdwa v2, v7, v0 dst_sel:DWORD dst_unused:UNUSED_PAD src0_sel:WORD_0 src1_sel:DWORD
	v_cmpx_ne_u32_e32 0x7f, v2
	s_cbranch_execz .LBB288_832
; %bb.829:                              ;   in Loop: Header=BB288_13 Depth=1
	v_mov_b32_e32 v0, 7
	v_lshrrev_b32_e32 v1, 3, v2
	s_mov_b32 s28, exec_lo
	v_and_b32_sdwa v0, v7, v0 dst_sel:DWORD dst_unused:UNUSED_PAD src0_sel:WORD_0 src1_sel:DWORD
	v_cmpx_gt_u32_e32 8, v2
; %bb.830:                              ;   in Loop: Header=BB288_13 Depth=1
	v_ffbh_u32_e32 v0, v0
	v_min_u32_e32 v2, 32, v0
	v_subrev_nc_u32_e32 v0, 28, v2
	v_lshlrev_b64 v[0:1], v0, v[7:8]
	v_sub_nc_u32_e32 v1, 29, v2
	v_and_b32_e32 v0, 7, v0
; %bb.831:                              ;   in Loop: Header=BB288_13 Depth=1
	s_or_b32 exec_lo, exec_lo, s28
	v_mov_b32_e32 v2, 8
	v_lshl_add_u32 v1, v1, 10, 0x2000
	v_lshlrev_b32_e32 v0, 23, v0
	v_lshlrev_b32_sdwa v2, v2, v7 dst_sel:DWORD dst_unused:UNUSED_PAD src0_sel:DWORD src1_sel:WORD_0
	v_and_or_b32 v1, 0x8000, v2, v1
	v_lshl_or_b32 v13, v1, 16, v0
.LBB288_832:                            ;   in Loop: Header=BB288_13 Depth=1
	s_or_b32 exec_lo, exec_lo, s27
.LBB288_833:                            ;   in Loop: Header=BB288_13 Depth=1
	s_or_b32 exec_lo, exec_lo, s26
.LBB288_834:                            ;   in Loop: Header=BB288_13 Depth=1
	s_or_b32 exec_lo, exec_lo, s25
	v_lshrrev_b32_e32 v7, 16, v9
	v_mov_b32_e32 v65, 0
	v_mov_b32_e32 v36, 0
	v_cmp_ne_u16_sdwa s7, v7, v8 src0_sel:BYTE_0 src1_sel:DWORD
	s_and_saveexec_b32 s25, s7
	s_cbranch_execz .LBB288_842
; %bb.835:                              ;   in Loop: Header=BB288_13 Depth=1
	v_cmp_ne_u16_sdwa s7, v7, v81 src0_sel:BYTE_0 src1_sel:DWORD
	v_mov_b32_e32 v36, 0x8000
	s_and_saveexec_b32 s26, s7
	s_cbranch_execz .LBB288_841
; %bb.836:                              ;   in Loop: Header=BB288_13 Depth=1
	v_bfe_u32 v2, v9, 16, 7
	v_mov_b32_e32 v36, 0x7c01
	s_mov_b32 s27, exec_lo
	v_cmpx_ne_u32_e32 0x7f, v2
	s_cbranch_execz .LBB288_840
; %bb.837:                              ;   in Loop: Header=BB288_13 Depth=1
	v_and_b32_e32 v0, 7, v7
	v_lshrrev_b32_e32 v1, 3, v2
	s_mov_b32 s28, exec_lo
	v_cmpx_gt_u32_e32 8, v2
; %bb.838:                              ;   in Loop: Header=BB288_13 Depth=1
	v_ffbh_u32_e32 v0, v0
	v_min_u32_e32 v2, 32, v0
	v_subrev_nc_u32_e32 v0, 28, v2
	v_lshlrev_b64 v[0:1], v0, v[7:8]
	v_sub_nc_u32_e32 v1, 29, v2
	v_and_b32_e32 v0, 7, v0
; %bb.839:                              ;   in Loop: Header=BB288_13 Depth=1
	s_or_b32 exec_lo, exec_lo, s28
	v_lshlrev_b32_e32 v2, 8, v7
	v_lshl_add_u32 v1, v1, 10, 0x2000
	v_lshlrev_b32_e32 v0, 7, v0
	v_and_b32_e32 v2, 0x8000, v2
	v_and_b32_e32 v1, 0xfc00, v1
	v_or3_b32 v36, v2, v1, v0
.LBB288_840:                            ;   in Loop: Header=BB288_13 Depth=1
	s_or_b32 exec_lo, exec_lo, s27
.LBB288_841:                            ;   in Loop: Header=BB288_13 Depth=1
	s_or_b32 exec_lo, exec_lo, s26
.LBB288_842:                            ;   in Loop: Header=BB288_13 Depth=1
	s_or_b32 exec_lo, exec_lo, s25
	s_mov_b32 s25, exec_lo
	v_cmpx_lt_u32_e32 0xffffff, v9
	s_cbranch_execz .LBB288_850
; %bb.843:                              ;   in Loop: Header=BB288_13 Depth=1
	v_lshrrev_b32_e32 v7, 24, v9
	v_bfrev_b32_e32 v65, 1
	s_mov_b32 s26, exec_lo
	v_cmpx_ne_u32_e32 0x80, v7
	s_cbranch_execz .LBB288_849
; %bb.844:                              ;   in Loop: Header=BB288_13 Depth=1
	v_and_b32_e32 v2, 0x7f, v7
	v_mov_b32_e32 v65, 0x7c010000
	s_mov_b32 s27, exec_lo
	v_cmpx_ne_u32_e32 0x7f, v2
	s_cbranch_execz .LBB288_848
; %bb.845:                              ;   in Loop: Header=BB288_13 Depth=1
	v_and_b32_e32 v0, 7, v7
	v_lshrrev_b32_e32 v1, 3, v2
	s_mov_b32 s28, exec_lo
	v_cmpx_gt_u32_e32 8, v2
; %bb.846:                              ;   in Loop: Header=BB288_13 Depth=1
	v_ffbh_u32_e32 v0, v0
	v_min_u32_e32 v2, 32, v0
	v_subrev_nc_u32_e32 v0, 28, v2
	v_lshlrev_b64 v[0:1], v0, v[7:8]
	v_sub_nc_u32_e32 v1, 29, v2
	v_and_b32_e32 v0, 7, v0
; %bb.847:                              ;   in Loop: Header=BB288_13 Depth=1
	s_or_b32 exec_lo, exec_lo, s28
	v_lshlrev_b32_e32 v2, 8, v7
	v_lshl_add_u32 v1, v1, 10, 0x2000
	v_lshlrev_b32_e32 v0, 23, v0
	v_and_or_b32 v1, 0x8000, v2, v1
	v_lshl_or_b32 v65, v1, 16, v0
.LBB288_848:                            ;   in Loop: Header=BB288_13 Depth=1
	s_or_b32 exec_lo, exec_lo, s27
.LBB288_849:                            ;   in Loop: Header=BB288_13 Depth=1
	s_or_b32 exec_lo, exec_lo, s26
.LBB288_850:                            ;   in Loop: Header=BB288_13 Depth=1
	s_or_b32 exec_lo, exec_lo, s25
	buffer_load_dword v2, off, s[0:3], s32 offset:208 ; 4-byte Folded Reload
	v_add_co_u32 v0, s7, 0xd00, v31
	v_add_co_ci_u32_e64 v1, null, 0, v32, s7
	v_mov_b32_e32 v12, 0
	v_mov_b32_e32 v14, 0
	s_waitcnt vmcnt(0)
	v_add_co_u32 v2, s7, v0, v2
	v_add_co_ci_u32_e64 v3, null, 0, v1, s7
	flat_load_dword v9, v[2:3]
	s_waitcnt vmcnt(0) lgkmcnt(0)
	v_cmp_ne_u16_sdwa s7, v9, v8 src0_sel:BYTE_0 src1_sel:DWORD
	s_and_saveexec_b32 s25, s7
	s_cbranch_execz .LBB288_858
; %bb.851:                              ;   in Loop: Header=BB288_13 Depth=1
	v_cmp_ne_u16_sdwa s7, v9, v81 src0_sel:BYTE_0 src1_sel:DWORD
	v_mov_b32_e32 v14, 0x8000
	s_and_saveexec_b32 s26, s7
	s_cbranch_execz .LBB288_857
; %bb.852:                              ;   in Loop: Header=BB288_13 Depth=1
	v_and_b32_e32 v4, 0x7f, v9
	v_mov_b32_e32 v14, 0x7c01
	s_mov_b32 s27, exec_lo
	v_cmpx_ne_u32_e32 0x7f, v4
	s_cbranch_execz .LBB288_856
; %bb.853:                              ;   in Loop: Header=BB288_13 Depth=1
	v_and_b32_e32 v2, 7, v9
	v_lshrrev_b32_e32 v3, 3, v4
	s_mov_b32 s28, exec_lo
	v_cmpx_gt_u32_e32 8, v4
; %bb.854:                              ;   in Loop: Header=BB288_13 Depth=1
	v_ffbh_u32_e32 v2, v2
	v_min_u32_e32 v4, 32, v2
	v_subrev_nc_u32_e32 v2, 28, v4
	v_lshlrev_b64 v[2:3], v2, v[9:10]
	v_sub_nc_u32_e32 v3, 29, v4
	v_and_b32_e32 v2, 7, v2
; %bb.855:                              ;   in Loop: Header=BB288_13 Depth=1
	s_or_b32 exec_lo, exec_lo, s28
	v_lshlrev_b32_e32 v4, 8, v9
	v_lshl_add_u32 v3, v3, 10, 0x2000
	v_lshlrev_b32_e32 v2, 7, v2
	v_and_b32_e32 v4, 0x8000, v4
	v_and_b32_e32 v3, 0xfc00, v3
	v_or3_b32 v14, v4, v3, v2
.LBB288_856:                            ;   in Loop: Header=BB288_13 Depth=1
	s_or_b32 exec_lo, exec_lo, s27
.LBB288_857:                            ;   in Loop: Header=BB288_13 Depth=1
	s_or_b32 exec_lo, exec_lo, s26
.LBB288_858:                            ;   in Loop: Header=BB288_13 Depth=1
	s_or_b32 exec_lo, exec_lo, s25
	v_lshrrev_b16 v7, 8, v9
	s_mov_b32 s25, exec_lo
	v_cmpx_ne_u16_e32 0, v7
	s_cbranch_execz .LBB288_866
; %bb.859:                              ;   in Loop: Header=BB288_13 Depth=1
	v_bfrev_b32_e32 v12, 1
	s_mov_b32 s26, exec_lo
	v_cmpx_ne_u16_e32 0x80, v7
	s_cbranch_execz .LBB288_865
; %bb.860:                              ;   in Loop: Header=BB288_13 Depth=1
	v_mov_b32_e32 v2, 0x7f
	v_mov_b32_e32 v12, 0x7c010000
	s_mov_b32 s27, exec_lo
	v_and_b32_sdwa v4, v7, v2 dst_sel:DWORD dst_unused:UNUSED_PAD src0_sel:WORD_0 src1_sel:DWORD
	v_cmpx_ne_u32_e32 0x7f, v4
	s_cbranch_execz .LBB288_864
; %bb.861:                              ;   in Loop: Header=BB288_13 Depth=1
	v_mov_b32_e32 v2, 7
	v_lshrrev_b32_e32 v3, 3, v4
	s_mov_b32 s28, exec_lo
	v_and_b32_sdwa v2, v7, v2 dst_sel:DWORD dst_unused:UNUSED_PAD src0_sel:WORD_0 src1_sel:DWORD
	v_cmpx_gt_u32_e32 8, v4
; %bb.862:                              ;   in Loop: Header=BB288_13 Depth=1
	v_ffbh_u32_e32 v2, v2
	v_min_u32_e32 v4, 32, v2
	v_subrev_nc_u32_e32 v2, 28, v4
	v_lshlrev_b64 v[2:3], v2, v[7:8]
	v_sub_nc_u32_e32 v3, 29, v4
	v_and_b32_e32 v2, 7, v2
; %bb.863:                              ;   in Loop: Header=BB288_13 Depth=1
	s_or_b32 exec_lo, exec_lo, s28
	v_mov_b32_e32 v4, 8
	v_lshl_add_u32 v3, v3, 10, 0x2000
	v_lshlrev_b32_e32 v2, 23, v2
	v_lshlrev_b32_sdwa v4, v4, v7 dst_sel:DWORD dst_unused:UNUSED_PAD src0_sel:DWORD src1_sel:WORD_0
	v_and_or_b32 v3, 0x8000, v4, v3
	v_lshl_or_b32 v12, v3, 16, v2
.LBB288_864:                            ;   in Loop: Header=BB288_13 Depth=1
	s_or_b32 exec_lo, exec_lo, s27
.LBB288_865:                            ;   in Loop: Header=BB288_13 Depth=1
	s_or_b32 exec_lo, exec_lo, s26
.LBB288_866:                            ;   in Loop: Header=BB288_13 Depth=1
	s_or_b32 exec_lo, exec_lo, s25
	v_lshrrev_b32_e32 v7, 16, v9
	v_mov_b32_e32 v96, 0
	v_mov_b32_e32 v15, 0
	v_cmp_ne_u16_sdwa s7, v7, v8 src0_sel:BYTE_0 src1_sel:DWORD
	s_and_saveexec_b32 s25, s7
	s_cbranch_execz .LBB288_874
; %bb.867:                              ;   in Loop: Header=BB288_13 Depth=1
	v_cmp_ne_u16_sdwa s7, v7, v81 src0_sel:BYTE_0 src1_sel:DWORD
	v_mov_b32_e32 v15, 0x8000
	s_and_saveexec_b32 s26, s7
	s_cbranch_execz .LBB288_873
; %bb.868:                              ;   in Loop: Header=BB288_13 Depth=1
	v_bfe_u32 v4, v9, 16, 7
	v_mov_b32_e32 v15, 0x7c01
	s_mov_b32 s27, exec_lo
	v_cmpx_ne_u32_e32 0x7f, v4
	s_cbranch_execz .LBB288_872
; %bb.869:                              ;   in Loop: Header=BB288_13 Depth=1
	v_and_b32_e32 v2, 7, v7
	v_lshrrev_b32_e32 v3, 3, v4
	s_mov_b32 s28, exec_lo
	v_cmpx_gt_u32_e32 8, v4
; %bb.870:                              ;   in Loop: Header=BB288_13 Depth=1
	v_ffbh_u32_e32 v2, v2
	v_min_u32_e32 v4, 32, v2
	v_subrev_nc_u32_e32 v2, 28, v4
	v_lshlrev_b64 v[2:3], v2, v[7:8]
	v_sub_nc_u32_e32 v3, 29, v4
	v_and_b32_e32 v2, 7, v2
; %bb.871:                              ;   in Loop: Header=BB288_13 Depth=1
	s_or_b32 exec_lo, exec_lo, s28
	v_lshlrev_b32_e32 v4, 8, v7
	v_lshl_add_u32 v3, v3, 10, 0x2000
	v_lshlrev_b32_e32 v2, 7, v2
	v_and_b32_e32 v4, 0x8000, v4
	v_and_b32_e32 v3, 0xfc00, v3
	v_or3_b32 v15, v4, v3, v2
.LBB288_872:                            ;   in Loop: Header=BB288_13 Depth=1
	s_or_b32 exec_lo, exec_lo, s27
.LBB288_873:                            ;   in Loop: Header=BB288_13 Depth=1
	s_or_b32 exec_lo, exec_lo, s26
.LBB288_874:                            ;   in Loop: Header=BB288_13 Depth=1
	s_or_b32 exec_lo, exec_lo, s25
	s_mov_b32 s25, exec_lo
	v_cmpx_lt_u32_e32 0xffffff, v9
	s_cbranch_execz .LBB288_882
; %bb.875:                              ;   in Loop: Header=BB288_13 Depth=1
	v_lshrrev_b32_e32 v7, 24, v9
	v_bfrev_b32_e32 v96, 1
	s_mov_b32 s26, exec_lo
	v_cmpx_ne_u32_e32 0x80, v7
	s_cbranch_execz .LBB288_881
; %bb.876:                              ;   in Loop: Header=BB288_13 Depth=1
	v_and_b32_e32 v4, 0x7f, v7
	v_mov_b32_e32 v96, 0x7c010000
	s_mov_b32 s27, exec_lo
	v_cmpx_ne_u32_e32 0x7f, v4
	s_cbranch_execz .LBB288_880
; %bb.877:                              ;   in Loop: Header=BB288_13 Depth=1
	v_and_b32_e32 v2, 7, v7
	v_lshrrev_b32_e32 v3, 3, v4
	s_mov_b32 s28, exec_lo
	v_cmpx_gt_u32_e32 8, v4
; %bb.878:                              ;   in Loop: Header=BB288_13 Depth=1
	v_ffbh_u32_e32 v2, v2
	v_min_u32_e32 v4, 32, v2
	v_subrev_nc_u32_e32 v2, 28, v4
	v_lshlrev_b64 v[2:3], v2, v[7:8]
	v_sub_nc_u32_e32 v3, 29, v4
	v_and_b32_e32 v2, 7, v2
; %bb.879:                              ;   in Loop: Header=BB288_13 Depth=1
	s_or_b32 exec_lo, exec_lo, s28
	v_lshlrev_b32_e32 v4, 8, v7
	v_lshl_add_u32 v3, v3, 10, 0x2000
	v_lshlrev_b32_e32 v2, 23, v2
	v_and_or_b32 v3, 0x8000, v4, v3
	v_lshl_or_b32 v96, v3, 16, v2
.LBB288_880:                            ;   in Loop: Header=BB288_13 Depth=1
	s_or_b32 exec_lo, exec_lo, s27
.LBB288_881:                            ;   in Loop: Header=BB288_13 Depth=1
	s_or_b32 exec_lo, exec_lo, s26
.LBB288_882:                            ;   in Loop: Header=BB288_13 Depth=1
	s_or_b32 exec_lo, exec_lo, s25
	buffer_load_dword v2, off, s[0:3], s32 offset:212 ; 4-byte Folded Reload
	s_waitcnt vmcnt(0)
	v_add_co_u32 v0, s7, v0, v2
	v_add_co_ci_u32_e64 v1, null, 0, v1, s7
	flat_load_dword v9, v[0:1]
	v_mov_b32_e32 v0, 0
	v_mov_b32_e32 v1, 0
	s_waitcnt vmcnt(0) lgkmcnt(0)
	v_cmp_ne_u16_sdwa s7, v9, v8 src0_sel:BYTE_0 src1_sel:DWORD
	s_and_saveexec_b32 s25, s7
	s_cbranch_execz .LBB288_890
; %bb.883:                              ;   in Loop: Header=BB288_13 Depth=1
	v_cmp_ne_u16_sdwa s7, v9, v81 src0_sel:BYTE_0 src1_sel:DWORD
	v_mov_b32_e32 v1, 0x8000
	s_and_saveexec_b32 s26, s7
	s_cbranch_execz .LBB288_889
; %bb.884:                              ;   in Loop: Header=BB288_13 Depth=1
	v_and_b32_e32 v3, 0x7f, v9
	v_mov_b32_e32 v1, 0x7c01
	s_mov_b32 s27, exec_lo
	v_cmpx_ne_u32_e32 0x7f, v3
	s_cbranch_execz .LBB288_888
; %bb.885:                              ;   in Loop: Header=BB288_13 Depth=1
	v_and_b32_e32 v1, 7, v9
	v_lshrrev_b32_e32 v2, 3, v3
	s_mov_b32 s28, exec_lo
	v_cmpx_gt_u32_e32 8, v3
; %bb.886:                              ;   in Loop: Header=BB288_13 Depth=1
	v_ffbh_u32_e32 v1, v1
	v_min_u32_e32 v3, 32, v1
	v_subrev_nc_u32_e32 v1, 28, v3
	v_lshlrev_b64 v[1:2], v1, v[9:10]
	v_sub_nc_u32_e32 v2, 29, v3
	v_and_b32_e32 v1, 7, v1
; %bb.887:                              ;   in Loop: Header=BB288_13 Depth=1
	s_or_b32 exec_lo, exec_lo, s28
	v_lshlrev_b32_e32 v3, 8, v9
	v_lshl_add_u32 v2, v2, 10, 0x2000
	v_lshlrev_b32_e32 v1, 7, v1
	v_and_b32_e32 v3, 0x8000, v3
	v_and_b32_e32 v2, 0xfc00, v2
	v_or3_b32 v1, v3, v2, v1
.LBB288_888:                            ;   in Loop: Header=BB288_13 Depth=1
	s_or_b32 exec_lo, exec_lo, s27
.LBB288_889:                            ;   in Loop: Header=BB288_13 Depth=1
	s_or_b32 exec_lo, exec_lo, s26
.LBB288_890:                            ;   in Loop: Header=BB288_13 Depth=1
	s_or_b32 exec_lo, exec_lo, s25
	v_lshrrev_b16 v7, 8, v9
	s_mov_b32 s25, exec_lo
	v_cmpx_ne_u16_e32 0, v7
	s_cbranch_execz .LBB288_898
; %bb.891:                              ;   in Loop: Header=BB288_13 Depth=1
	v_bfrev_b32_e32 v0, 1
	s_mov_b32 s26, exec_lo
	v_cmpx_ne_u16_e32 0x80, v7
	s_cbranch_execz .LBB288_897
; %bb.892:                              ;   in Loop: Header=BB288_13 Depth=1
	v_mov_b32_e32 v0, 0x7f
	s_mov_b32 s27, exec_lo
	v_and_b32_sdwa v3, v7, v0 dst_sel:DWORD dst_unused:UNUSED_PAD src0_sel:WORD_0 src1_sel:DWORD
	v_mov_b32_e32 v0, 0x7c010000
	v_cmpx_ne_u32_e32 0x7f, v3
	s_cbranch_execz .LBB288_896
; %bb.893:                              ;   in Loop: Header=BB288_13 Depth=1
	v_mov_b32_e32 v0, 7
	v_lshrrev_b32_e32 v2, 3, v3
	s_mov_b32 s28, exec_lo
	v_and_b32_sdwa v0, v7, v0 dst_sel:DWORD dst_unused:UNUSED_PAD src0_sel:WORD_0 src1_sel:DWORD
	v_cmpx_gt_u32_e32 8, v3
; %bb.894:                              ;   in Loop: Header=BB288_13 Depth=1
	v_ffbh_u32_e32 v0, v0
	v_min_u32_e32 v0, 32, v0
	v_subrev_nc_u32_e32 v2, 28, v0
	v_lshlrev_b64 v[3:4], v2, v[7:8]
	v_sub_nc_u32_e32 v2, 29, v0
	v_and_b32_e32 v0, 7, v3
; %bb.895:                              ;   in Loop: Header=BB288_13 Depth=1
	s_or_b32 exec_lo, exec_lo, s28
	v_mov_b32_e32 v3, 8
	v_lshl_add_u32 v2, v2, 10, 0x2000
	v_lshlrev_b32_e32 v0, 23, v0
	v_lshlrev_b32_sdwa v3, v3, v7 dst_sel:DWORD dst_unused:UNUSED_PAD src0_sel:DWORD src1_sel:WORD_0
	v_and_or_b32 v2, 0x8000, v3, v2
	v_lshl_or_b32 v0, v2, 16, v0
.LBB288_896:                            ;   in Loop: Header=BB288_13 Depth=1
	s_or_b32 exec_lo, exec_lo, s27
.LBB288_897:                            ;   in Loop: Header=BB288_13 Depth=1
	s_or_b32 exec_lo, exec_lo, s26
.LBB288_898:                            ;   in Loop: Header=BB288_13 Depth=1
	s_or_b32 exec_lo, exec_lo, s25
	v_lshrrev_b32_e32 v7, 16, v9
	v_mov_b32_e32 v4, 0
	v_mov_b32_e32 v48, 0
	v_cmp_ne_u16_sdwa s7, v7, v8 src0_sel:BYTE_0 src1_sel:DWORD
	s_and_saveexec_b32 s25, s7
	s_cbranch_execz .LBB288_906
; %bb.899:                              ;   in Loop: Header=BB288_13 Depth=1
	v_cmp_ne_u16_sdwa s7, v7, v81 src0_sel:BYTE_0 src1_sel:DWORD
	v_mov_b32_e32 v48, 0x8000
	s_and_saveexec_b32 s26, s7
	s_cbranch_execz .LBB288_905
; %bb.900:                              ;   in Loop: Header=BB288_13 Depth=1
	v_bfe_u32 v16, v9, 16, 7
	v_mov_b32_e32 v48, 0x7c01
	s_mov_b32 s27, exec_lo
	v_cmpx_ne_u32_e32 0x7f, v16
	s_cbranch_execz .LBB288_904
; %bb.901:                              ;   in Loop: Header=BB288_13 Depth=1
	v_and_b32_e32 v2, 7, v7
	v_lshrrev_b32_e32 v3, 3, v16
	s_mov_b32 s28, exec_lo
	v_cmpx_gt_u32_e32 8, v16
; %bb.902:                              ;   in Loop: Header=BB288_13 Depth=1
	v_ffbh_u32_e32 v2, v2
	v_min_u32_e32 v16, 32, v2
	v_subrev_nc_u32_e32 v2, 28, v16
	v_lshlrev_b64 v[2:3], v2, v[7:8]
	v_sub_nc_u32_e32 v3, 29, v16
	v_and_b32_e32 v2, 7, v2
; %bb.903:                              ;   in Loop: Header=BB288_13 Depth=1
	s_or_b32 exec_lo, exec_lo, s28
	v_lshlrev_b32_e32 v7, 8, v7
	v_lshl_add_u32 v3, v3, 10, 0x2000
	v_lshlrev_b32_e32 v2, 7, v2
	v_and_b32_e32 v7, 0x8000, v7
	v_and_b32_e32 v3, 0xfc00, v3
	v_or3_b32 v48, v7, v3, v2
.LBB288_904:                            ;   in Loop: Header=BB288_13 Depth=1
	s_or_b32 exec_lo, exec_lo, s27
.LBB288_905:                            ;   in Loop: Header=BB288_13 Depth=1
	s_or_b32 exec_lo, exec_lo, s26
.LBB288_906:                            ;   in Loop: Header=BB288_13 Depth=1
	s_or_b32 exec_lo, exec_lo, s25
	s_mov_b32 s25, exec_lo
	v_cmpx_lt_u32_e32 0xffffff, v9
	s_cbranch_execz .LBB288_914
; %bb.907:                              ;   in Loop: Header=BB288_13 Depth=1
	v_lshrrev_b32_e32 v7, 24, v9
	v_bfrev_b32_e32 v4, 1
	s_mov_b32 s26, exec_lo
	v_cmpx_ne_u32_e32 0x80, v7
	s_cbranch_execz .LBB288_913
; %bb.908:                              ;   in Loop: Header=BB288_13 Depth=1
	v_and_b32_e32 v9, 0x7f, v7
	v_mov_b32_e32 v4, 0x7c010000
	s_mov_b32 s27, exec_lo
	v_cmpx_ne_u32_e32 0x7f, v9
	s_cbranch_execz .LBB288_912
; %bb.909:                              ;   in Loop: Header=BB288_13 Depth=1
	v_and_b32_e32 v2, 7, v7
	v_lshrrev_b32_e32 v3, 3, v9
	s_mov_b32 s28, exec_lo
	v_cmpx_gt_u32_e32 8, v9
; %bb.910:                              ;   in Loop: Header=BB288_13 Depth=1
	v_ffbh_u32_e32 v2, v2
	v_min_u32_e32 v4, 32, v2
	v_subrev_nc_u32_e32 v2, 28, v4
	v_lshlrev_b64 v[2:3], v2, v[7:8]
	v_sub_nc_u32_e32 v3, 29, v4
	v_and_b32_e32 v2, 7, v2
; %bb.911:                              ;   in Loop: Header=BB288_13 Depth=1
	s_or_b32 exec_lo, exec_lo, s28
	v_lshlrev_b32_e32 v4, 8, v7
	v_lshl_add_u32 v3, v3, 10, 0x2000
	v_lshlrev_b32_e32 v2, 23, v2
	v_and_or_b32 v3, 0x8000, v4, v3
	v_lshl_or_b32 v4, v3, 16, v2
.LBB288_912:                            ;   in Loop: Header=BB288_13 Depth=1
	s_or_b32 exec_lo, exec_lo, s27
.LBB288_913:                            ;   in Loop: Header=BB288_13 Depth=1
	s_or_b32 exec_lo, exec_lo, s26
.LBB288_914:                            ;   in Loop: Header=BB288_13 Depth=1
	s_or_b32 exec_lo, exec_lo, s25
	buffer_load_dword v2, off, s[0:3], s32 offset:208 ; 4-byte Folded Reload
	v_add_co_u32 v16, s7, 0xe00, v31
	v_add_co_ci_u32_e64 v17, null, 0, v32, s7
	s_waitcnt vmcnt(0)
	v_add_co_u32 v2, s7, v16, v2
	v_add_co_ci_u32_e64 v3, null, 0, v17, s7
	flat_load_dword v9, v[2:3]
	v_mov_b32_e32 v2, 0
	v_mov_b32_e32 v3, 0
	s_waitcnt vmcnt(0) lgkmcnt(0)
	v_cmp_ne_u16_sdwa s7, v9, v8 src0_sel:BYTE_0 src1_sel:DWORD
	s_and_saveexec_b32 s25, s7
	s_cbranch_execz .LBB288_922
; %bb.915:                              ;   in Loop: Header=BB288_13 Depth=1
	v_cmp_ne_u16_sdwa s7, v9, v81 src0_sel:BYTE_0 src1_sel:DWORD
	v_mov_b32_e32 v3, 0x8000
	s_and_saveexec_b32 s26, s7
	s_cbranch_execz .LBB288_921
; %bb.916:                              ;   in Loop: Header=BB288_13 Depth=1
	v_and_b32_e32 v37, 0x7f, v9
	v_mov_b32_e32 v3, 0x7c01
	s_mov_b32 s27, exec_lo
	v_cmpx_ne_u32_e32 0x7f, v37
	s_cbranch_execz .LBB288_920
; %bb.917:                              ;   in Loop: Header=BB288_13 Depth=1
	v_and_b32_e32 v3, 7, v9
	v_lshrrev_b32_e32 v7, 3, v37
	s_mov_b32 s28, exec_lo
	v_cmpx_gt_u32_e32 8, v37
; %bb.918:                              ;   in Loop: Header=BB288_13 Depth=1
	v_ffbh_u32_e32 v3, v3
	v_min_u32_e32 v3, 32, v3
	v_subrev_nc_u32_e32 v7, 28, v3
	v_lshlrev_b64 v[53:54], v7, v[9:10]
	v_sub_nc_u32_e32 v7, 29, v3
	v_and_b32_e32 v3, 7, v53
; %bb.919:                              ;   in Loop: Header=BB288_13 Depth=1
	s_or_b32 exec_lo, exec_lo, s28
	v_lshlrev_b32_e32 v35, 8, v9
	v_lshl_add_u32 v7, v7, 10, 0x2000
	v_lshlrev_b32_e32 v3, 7, v3
	v_and_b32_e32 v35, 0x8000, v35
	v_and_b32_e32 v7, 0xfc00, v7
	v_or3_b32 v3, v35, v7, v3
.LBB288_920:                            ;   in Loop: Header=BB288_13 Depth=1
	s_or_b32 exec_lo, exec_lo, s27
.LBB288_921:                            ;   in Loop: Header=BB288_13 Depth=1
	s_or_b32 exec_lo, exec_lo, s26
.LBB288_922:                            ;   in Loop: Header=BB288_13 Depth=1
	s_or_b32 exec_lo, exec_lo, s25
	v_lshrrev_b16 v7, 8, v9
	s_mov_b32 s25, exec_lo
	v_cmpx_ne_u16_e32 0, v7
	s_cbranch_execz .LBB288_930
; %bb.923:                              ;   in Loop: Header=BB288_13 Depth=1
	v_bfrev_b32_e32 v2, 1
	s_mov_b32 s26, exec_lo
	v_cmpx_ne_u16_e32 0x80, v7
	s_cbranch_execz .LBB288_929
; %bb.924:                              ;   in Loop: Header=BB288_13 Depth=1
	v_mov_b32_e32 v2, 0x7f
	s_mov_b32 s27, exec_lo
	v_and_b32_sdwa v53, v7, v2 dst_sel:DWORD dst_unused:UNUSED_PAD src0_sel:WORD_0 src1_sel:DWORD
	v_mov_b32_e32 v2, 0x7c010000
	v_cmpx_ne_u32_e32 0x7f, v53
	s_cbranch_execz .LBB288_928
; %bb.925:                              ;   in Loop: Header=BB288_13 Depth=1
	v_mov_b32_e32 v2, 7
	v_lshrrev_b32_e32 v37, 3, v53
	s_mov_b32 s28, exec_lo
	v_and_b32_sdwa v2, v7, v2 dst_sel:DWORD dst_unused:UNUSED_PAD src0_sel:WORD_0 src1_sel:DWORD
	v_cmpx_gt_u32_e32 8, v53
; %bb.926:                              ;   in Loop: Header=BB288_13 Depth=1
	v_ffbh_u32_e32 v2, v2
	v_min_u32_e32 v2, 32, v2
	v_subrev_nc_u32_e32 v35, 28, v2
	v_sub_nc_u32_e32 v37, 29, v2
	v_lshlrev_b64 v[53:54], v35, v[7:8]
	v_and_b32_e32 v2, 7, v53
; %bb.927:                              ;   in Loop: Header=BB288_13 Depth=1
	s_or_b32 exec_lo, exec_lo, s28
	v_mov_b32_e32 v26, 8
	v_lshl_add_u32 v35, v37, 10, 0x2000
	v_lshlrev_b32_e32 v2, 23, v2
	v_lshlrev_b32_sdwa v7, v26, v7 dst_sel:DWORD dst_unused:UNUSED_PAD src0_sel:DWORD src1_sel:WORD_0
	v_and_or_b32 v7, 0x8000, v7, v35
	v_lshl_or_b32 v2, v7, 16, v2
.LBB288_928:                            ;   in Loop: Header=BB288_13 Depth=1
	s_or_b32 exec_lo, exec_lo, s27
.LBB288_929:                            ;   in Loop: Header=BB288_13 Depth=1
	s_or_b32 exec_lo, exec_lo, s26
.LBB288_930:                            ;   in Loop: Header=BB288_13 Depth=1
	s_or_b32 exec_lo, exec_lo, s25
	v_lshrrev_b32_e32 v7, 16, v9
	v_mov_b32_e32 v37, 0
	v_mov_b32_e32 v53, 0
	v_cmp_ne_u16_sdwa s7, v7, v8 src0_sel:BYTE_0 src1_sel:DWORD
	s_and_saveexec_b32 s25, s7
	s_cbranch_execz .LBB288_938
; %bb.931:                              ;   in Loop: Header=BB288_13 Depth=1
	v_cmp_ne_u16_sdwa s7, v7, v81 src0_sel:BYTE_0 src1_sel:DWORD
	v_mov_b32_e32 v53, 0x8000
	s_and_saveexec_b32 s26, s7
	s_cbranch_execz .LBB288_937
; %bb.932:                              ;   in Loop: Header=BB288_13 Depth=1
	v_bfe_u32 v64, v9, 16, 7
	v_mov_b32_e32 v53, 0x7c01
	s_mov_b32 s27, exec_lo
	v_cmpx_ne_u32_e32 0x7f, v64
	s_cbranch_execz .LBB288_936
; %bb.933:                              ;   in Loop: Header=BB288_13 Depth=1
	v_and_b32_e32 v53, 7, v7
	v_lshrrev_b32_e32 v54, 3, v64
	s_mov_b32 s28, exec_lo
	v_cmpx_gt_u32_e32 8, v64
; %bb.934:                              ;   in Loop: Header=BB288_13 Depth=1
	v_ffbh_u32_e32 v35, v53
	v_min_u32_e32 v35, 32, v35
	v_subrev_nc_u32_e32 v39, 28, v35
	v_lshlrev_b64 v[53:54], v39, v[7:8]
	v_sub_nc_u32_e32 v54, 29, v35
	v_and_b32_e32 v53, 7, v53
; %bb.935:                              ;   in Loop: Header=BB288_13 Depth=1
	s_or_b32 exec_lo, exec_lo, s28
	v_lshlrev_b32_e32 v7, 8, v7
	v_lshl_add_u32 v35, v54, 10, 0x2000
	v_lshlrev_b32_e32 v39, 7, v53
	v_and_b32_e32 v7, 0x8000, v7
	v_and_b32_e32 v35, 0xfc00, v35
	v_or3_b32 v53, v7, v35, v39
.LBB288_936:                            ;   in Loop: Header=BB288_13 Depth=1
	s_or_b32 exec_lo, exec_lo, s27
.LBB288_937:                            ;   in Loop: Header=BB288_13 Depth=1
	s_or_b32 exec_lo, exec_lo, s26
.LBB288_938:                            ;   in Loop: Header=BB288_13 Depth=1
	s_or_b32 exec_lo, exec_lo, s25
	s_mov_b32 s25, exec_lo
	v_cmpx_lt_u32_e32 0xffffff, v9
	s_cbranch_execz .LBB288_946
; %bb.939:                              ;   in Loop: Header=BB288_13 Depth=1
	v_lshrrev_b32_e32 v7, 24, v9
	v_bfrev_b32_e32 v37, 1
	s_mov_b32 s26, exec_lo
	v_cmpx_ne_u32_e32 0x80, v7
	s_cbranch_execz .LBB288_945
; %bb.940:                              ;   in Loop: Header=BB288_13 Depth=1
	v_and_b32_e32 v54, 0x7f, v7
	v_mov_b32_e32 v37, 0x7c010000
	s_mov_b32 s27, exec_lo
	v_cmpx_ne_u32_e32 0x7f, v54
	s_cbranch_execz .LBB288_944
; %bb.941:                              ;   in Loop: Header=BB288_13 Depth=1
	v_and_b32_e32 v9, 7, v7
	v_lshrrev_b32_e32 v37, 3, v54
	s_mov_b32 s28, exec_lo
	v_cmpx_gt_u32_e32 8, v54
; %bb.942:                              ;   in Loop: Header=BB288_13 Depth=1
	v_ffbh_u32_e32 v9, v9
	v_min_u32_e32 v9, 32, v9
	v_subrev_nc_u32_e32 v35, 28, v9
	v_sub_nc_u32_e32 v37, 29, v9
	v_lshlrev_b64 v[39:40], v35, v[7:8]
	v_and_b32_e32 v9, 7, v39
; %bb.943:                              ;   in Loop: Header=BB288_13 Depth=1
	s_or_b32 exec_lo, exec_lo, s28
	v_lshlrev_b32_e32 v7, 8, v7
	v_lshl_add_u32 v35, v37, 10, 0x2000
	v_lshlrev_b32_e32 v9, 23, v9
	v_and_or_b32 v7, 0x8000, v7, v35
	v_lshl_or_b32 v37, v7, 16, v9
.LBB288_944:                            ;   in Loop: Header=BB288_13 Depth=1
	s_or_b32 exec_lo, exec_lo, s27
.LBB288_945:                            ;   in Loop: Header=BB288_13 Depth=1
	s_or_b32 exec_lo, exec_lo, s26
.LBB288_946:                            ;   in Loop: Header=BB288_13 Depth=1
	s_or_b32 exec_lo, exec_lo, s25
	buffer_load_dword v7, off, s[0:3], s32 offset:212 ; 4-byte Folded Reload
	s_waitcnt vmcnt(0)
	v_add_co_u32 v16, s7, v16, v7
	v_add_co_ci_u32_e64 v17, null, 0, v17, s7
	flat_load_dword v9, v[16:17]
	v_mov_b32_e32 v16, 0
	v_mov_b32_e32 v17, 0
	s_waitcnt vmcnt(0) lgkmcnt(0)
	v_cmp_ne_u16_sdwa s7, v9, v8 src0_sel:BYTE_0 src1_sel:DWORD
	s_and_saveexec_b32 s25, s7
	s_cbranch_execz .LBB288_954
; %bb.947:                              ;   in Loop: Header=BB288_13 Depth=1
	v_cmp_ne_u16_sdwa s7, v9, v81 src0_sel:BYTE_0 src1_sel:DWORD
	v_mov_b32_e32 v17, 0x8000
	s_and_saveexec_b32 s26, s7
	s_cbranch_execz .LBB288_953
; %bb.948:                              ;   in Loop: Header=BB288_13 Depth=1
	v_and_b32_e32 v54, 0x7f, v9
	v_mov_b32_e32 v17, 0x7c01
	s_mov_b32 s27, exec_lo
	v_cmpx_ne_u32_e32 0x7f, v54
	s_cbranch_execz .LBB288_952
; %bb.949:                              ;   in Loop: Header=BB288_13 Depth=1
	v_and_b32_e32 v7, 7, v9
	v_lshrrev_b32_e32 v17, 3, v54
	s_mov_b32 s28, exec_lo
	v_cmpx_gt_u32_e32 8, v54
; %bb.950:                              ;   in Loop: Header=BB288_13 Depth=1
	v_ffbh_u32_e32 v7, v7
	v_min_u32_e32 v7, 32, v7
	v_subrev_nc_u32_e32 v17, 28, v7
	v_lshlrev_b64 v[39:40], v17, v[9:10]
	v_sub_nc_u32_e32 v17, 29, v7
	v_and_b32_e32 v7, 7, v39
; %bb.951:                              ;   in Loop: Header=BB288_13 Depth=1
	s_or_b32 exec_lo, exec_lo, s28
	v_lshlrev_b32_e32 v35, 8, v9
	v_lshl_add_u32 v17, v17, 10, 0x2000
	v_lshlrev_b32_e32 v7, 7, v7
	v_and_b32_e32 v35, 0x8000, v35
	v_and_b32_e32 v17, 0xfc00, v17
	v_or3_b32 v17, v35, v17, v7
.LBB288_952:                            ;   in Loop: Header=BB288_13 Depth=1
	s_or_b32 exec_lo, exec_lo, s27
.LBB288_953:                            ;   in Loop: Header=BB288_13 Depth=1
	s_or_b32 exec_lo, exec_lo, s26
.LBB288_954:                            ;   in Loop: Header=BB288_13 Depth=1
	s_or_b32 exec_lo, exec_lo, s25
	v_lshrrev_b16 v7, 8, v9
	s_mov_b32 s25, exec_lo
	v_cmpx_ne_u16_e32 0, v7
	s_cbranch_execz .LBB288_962
; %bb.955:                              ;   in Loop: Header=BB288_13 Depth=1
	v_bfrev_b32_e32 v16, 1
	s_mov_b32 s26, exec_lo
	v_cmpx_ne_u16_e32 0x80, v7
	s_cbranch_execz .LBB288_961
; %bb.956:                              ;   in Loop: Header=BB288_13 Depth=1
	v_mov_b32_e32 v16, 0x7f
	s_mov_b32 s27, exec_lo
	v_and_b32_sdwa v64, v7, v16 dst_sel:DWORD dst_unused:UNUSED_PAD src0_sel:WORD_0 src1_sel:DWORD
	v_mov_b32_e32 v16, 0x7c010000
	v_cmpx_ne_u32_e32 0x7f, v64
	s_cbranch_execz .LBB288_960
; %bb.957:                              ;   in Loop: Header=BB288_13 Depth=1
	v_mov_b32_e32 v16, 7
	v_lshrrev_b32_e32 v54, 3, v64
	s_mov_b32 s28, exec_lo
	v_and_b32_sdwa v16, v7, v16 dst_sel:DWORD dst_unused:UNUSED_PAD src0_sel:WORD_0 src1_sel:DWORD
	v_cmpx_gt_u32_e32 8, v64
; %bb.958:                              ;   in Loop: Header=BB288_13 Depth=1
	v_ffbh_u32_e32 v16, v16
	v_min_u32_e32 v16, 32, v16
	v_subrev_nc_u32_e32 v35, 28, v16
	v_sub_nc_u32_e32 v54, 29, v16
	v_lshlrev_b64 v[39:40], v35, v[7:8]
	v_and_b32_e32 v16, 7, v39
; %bb.959:                              ;   in Loop: Header=BB288_13 Depth=1
	s_or_b32 exec_lo, exec_lo, s28
	v_mov_b32_e32 v26, 8
	v_lshl_add_u32 v35, v54, 10, 0x2000
	v_lshlrev_b32_e32 v16, 23, v16
	v_lshlrev_b32_sdwa v7, v26, v7 dst_sel:DWORD dst_unused:UNUSED_PAD src0_sel:DWORD src1_sel:WORD_0
	v_and_or_b32 v7, 0x8000, v7, v35
	v_lshl_or_b32 v16, v7, 16, v16
.LBB288_960:                            ;   in Loop: Header=BB288_13 Depth=1
	s_or_b32 exec_lo, exec_lo, s27
.LBB288_961:                            ;   in Loop: Header=BB288_13 Depth=1
	s_or_b32 exec_lo, exec_lo, s26
.LBB288_962:                            ;   in Loop: Header=BB288_13 Depth=1
	s_or_b32 exec_lo, exec_lo, s25
	v_lshrrev_b32_e32 v7, 16, v9
	v_mov_b32_e32 v54, 0
	v_mov_b32_e32 v64, 0
	v_cmp_ne_u16_sdwa s7, v7, v8 src0_sel:BYTE_0 src1_sel:DWORD
	s_and_saveexec_b32 s25, s7
	s_cbranch_execz .LBB288_970
; %bb.963:                              ;   in Loop: Header=BB288_13 Depth=1
	v_cmp_ne_u16_sdwa s7, v7, v81 src0_sel:BYTE_0 src1_sel:DWORD
	v_mov_b32_e32 v64, 0x8000
	s_and_saveexec_b32 s26, s7
	s_cbranch_execz .LBB288_969
; %bb.964:                              ;   in Loop: Header=BB288_13 Depth=1
	v_bfe_u32 v99, v9, 16, 7
	v_mov_b32_e32 v64, 0x7c01
	s_mov_b32 s27, exec_lo
	v_cmpx_ne_u32_e32 0x7f, v99
	s_cbranch_execz .LBB288_968
; %bb.965:                              ;   in Loop: Header=BB288_13 Depth=1
	v_and_b32_e32 v64, 7, v7
	v_lshrrev_b32_e32 v68, 3, v99
	s_mov_b32 s28, exec_lo
	v_cmpx_gt_u32_e32 8, v99
; %bb.966:                              ;   in Loop: Header=BB288_13 Depth=1
	v_ffbh_u32_e32 v35, v64
	v_min_u32_e32 v35, 32, v35
	v_subrev_nc_u32_e32 v39, 28, v35
	v_sub_nc_u32_e32 v68, 29, v35
	v_lshlrev_b64 v[39:40], v39, v[7:8]
	v_and_b32_e32 v64, 7, v39
; %bb.967:                              ;   in Loop: Header=BB288_13 Depth=1
	s_or_b32 exec_lo, exec_lo, s28
	v_lshlrev_b32_e32 v7, 8, v7
	v_lshl_add_u32 v35, v68, 10, 0x2000
	v_lshlrev_b32_e32 v39, 7, v64
	v_and_b32_e32 v7, 0x8000, v7
	v_and_b32_e32 v35, 0xfc00, v35
	v_or3_b32 v64, v7, v35, v39
.LBB288_968:                            ;   in Loop: Header=BB288_13 Depth=1
	s_or_b32 exec_lo, exec_lo, s27
.LBB288_969:                            ;   in Loop: Header=BB288_13 Depth=1
	s_or_b32 exec_lo, exec_lo, s26
.LBB288_970:                            ;   in Loop: Header=BB288_13 Depth=1
	s_or_b32 exec_lo, exec_lo, s25
	s_mov_b32 s25, exec_lo
	v_cmpx_lt_u32_e32 0xffffff, v9
	s_cbranch_execz .LBB288_978
; %bb.971:                              ;   in Loop: Header=BB288_13 Depth=1
	v_lshrrev_b32_e32 v7, 24, v9
	v_bfrev_b32_e32 v54, 1
	s_mov_b32 s26, exec_lo
	v_cmpx_ne_u32_e32 0x80, v7
	s_cbranch_execz .LBB288_977
; %bb.972:                              ;   in Loop: Header=BB288_13 Depth=1
	v_and_b32_e32 v68, 0x7f, v7
	v_mov_b32_e32 v54, 0x7c010000
	s_mov_b32 s27, exec_lo
	v_cmpx_ne_u32_e32 0x7f, v68
	s_cbranch_execz .LBB288_976
; %bb.973:                              ;   in Loop: Header=BB288_13 Depth=1
	v_and_b32_e32 v9, 7, v7
	v_lshrrev_b32_e32 v54, 3, v68
	s_mov_b32 s28, exec_lo
	v_cmpx_gt_u32_e32 8, v68
; %bb.974:                              ;   in Loop: Header=BB288_13 Depth=1
	v_ffbh_u32_e32 v9, v9
	v_min_u32_e32 v9, 32, v9
	v_subrev_nc_u32_e32 v35, 28, v9
	v_sub_nc_u32_e32 v54, 29, v9
	v_lshlrev_b64 v[39:40], v35, v[7:8]
	v_and_b32_e32 v9, 7, v39
; %bb.975:                              ;   in Loop: Header=BB288_13 Depth=1
	s_or_b32 exec_lo, exec_lo, s28
	v_lshlrev_b32_e32 v7, 8, v7
	v_lshl_add_u32 v35, v54, 10, 0x2000
	v_lshlrev_b32_e32 v9, 23, v9
	v_and_or_b32 v7, 0x8000, v7, v35
	v_lshl_or_b32 v54, v7, 16, v9
.LBB288_976:                            ;   in Loop: Header=BB288_13 Depth=1
	s_or_b32 exec_lo, exec_lo, s27
.LBB288_977:                            ;   in Loop: Header=BB288_13 Depth=1
	s_or_b32 exec_lo, exec_lo, s26
.LBB288_978:                            ;   in Loop: Header=BB288_13 Depth=1
	s_or_b32 exec_lo, exec_lo, s25
	buffer_load_dword v7, off, s[0:3], s32 offset:208 ; 4-byte Folded Reload
	v_add_co_u32 v68, s7, 0xf00, v31
	v_add_co_ci_u32_e64 v117, null, 0, v32, s7
	s_waitcnt vmcnt(0)
	v_add_co_u32 v31, s7, v68, v7
	v_add_co_ci_u32_e64 v32, null, 0, v117, s7
	flat_load_dword v9, v[31:32]
	v_mov_b32_e32 v31, 0
	v_mov_b32_e32 v32, 0
	s_waitcnt vmcnt(0) lgkmcnt(0)
	v_cmp_ne_u16_sdwa s7, v9, v8 src0_sel:BYTE_0 src1_sel:DWORD
	s_and_saveexec_b32 s25, s7
	s_cbranch_execz .LBB288_986
; %bb.979:                              ;   in Loop: Header=BB288_13 Depth=1
	v_cmp_ne_u16_sdwa s7, v9, v81 src0_sel:BYTE_0 src1_sel:DWORD
	v_mov_b32_e32 v32, 0x8000
	s_and_saveexec_b32 s26, s7
	s_cbranch_execz .LBB288_985
; %bb.980:                              ;   in Loop: Header=BB288_13 Depth=1
	v_and_b32_e32 v99, 0x7f, v9
	v_mov_b32_e32 v32, 0x7c01
	s_mov_b32 s27, exec_lo
	v_cmpx_ne_u32_e32 0x7f, v99
	s_cbranch_execz .LBB288_984
; %bb.981:                              ;   in Loop: Header=BB288_13 Depth=1
	v_and_b32_e32 v7, 7, v9
	v_lshrrev_b32_e32 v32, 3, v99
	s_mov_b32 s28, exec_lo
	v_cmpx_gt_u32_e32 8, v99
; %bb.982:                              ;   in Loop: Header=BB288_13 Depth=1
	v_ffbh_u32_e32 v7, v7
	v_min_u32_e32 v7, 32, v7
	v_subrev_nc_u32_e32 v32, 28, v7
	v_lshlrev_b64 v[39:40], v32, v[9:10]
	v_sub_nc_u32_e32 v32, 29, v7
	v_and_b32_e32 v7, 7, v39
; %bb.983:                              ;   in Loop: Header=BB288_13 Depth=1
	s_or_b32 exec_lo, exec_lo, s28
	v_lshlrev_b32_e32 v35, 8, v9
	v_lshl_add_u32 v32, v32, 10, 0x2000
	v_lshlrev_b32_e32 v7, 7, v7
	v_and_b32_e32 v35, 0x8000, v35
	v_and_b32_e32 v32, 0xfc00, v32
	v_or3_b32 v32, v35, v32, v7
.LBB288_984:                            ;   in Loop: Header=BB288_13 Depth=1
	s_or_b32 exec_lo, exec_lo, s27
.LBB288_985:                            ;   in Loop: Header=BB288_13 Depth=1
	s_or_b32 exec_lo, exec_lo, s26
.LBB288_986:                            ;   in Loop: Header=BB288_13 Depth=1
	s_or_b32 exec_lo, exec_lo, s25
	v_lshrrev_b16 v7, 8, v9
	s_mov_b32 s25, exec_lo
	v_cmpx_ne_u16_e32 0, v7
	s_cbranch_execz .LBB288_994
; %bb.987:                              ;   in Loop: Header=BB288_13 Depth=1
	v_bfrev_b32_e32 v31, 1
	s_mov_b32 s26, exec_lo
	v_cmpx_ne_u16_e32 0x80, v7
	s_cbranch_execz .LBB288_993
; %bb.988:                              ;   in Loop: Header=BB288_13 Depth=1
	v_mov_b32_e32 v26, 0x7f
	v_mov_b32_e32 v31, 0x7c010000
	s_mov_b32 s27, exec_lo
	v_and_b32_sdwa v101, v7, v26 dst_sel:DWORD dst_unused:UNUSED_PAD src0_sel:WORD_0 src1_sel:DWORD
	v_cmpx_ne_u32_e32 0x7f, v101
	s_cbranch_execz .LBB288_992
; %bb.989:                              ;   in Loop: Header=BB288_13 Depth=1
	v_mov_b32_e32 v26, 7
	v_lshrrev_b32_e32 v99, 3, v101
	s_mov_b32 s28, exec_lo
	v_and_b32_sdwa v31, v7, v26 dst_sel:DWORD dst_unused:UNUSED_PAD src0_sel:WORD_0 src1_sel:DWORD
	v_cmpx_gt_u32_e32 8, v101
; %bb.990:                              ;   in Loop: Header=BB288_13 Depth=1
	v_ffbh_u32_e32 v31, v31
	v_min_u32_e32 v31, 32, v31
	v_subrev_nc_u32_e32 v35, 28, v31
	v_sub_nc_u32_e32 v99, 29, v31
	v_lshlrev_b64 v[39:40], v35, v[7:8]
	v_and_b32_e32 v31, 7, v39
; %bb.991:                              ;   in Loop: Header=BB288_13 Depth=1
	s_or_b32 exec_lo, exec_lo, s28
	v_mov_b32_e32 v26, 8
	v_lshl_add_u32 v35, v99, 10, 0x2000
	v_lshlrev_b32_e32 v31, 23, v31
	v_lshlrev_b32_sdwa v7, v26, v7 dst_sel:DWORD dst_unused:UNUSED_PAD src0_sel:DWORD src1_sel:WORD_0
	v_and_or_b32 v7, 0x8000, v7, v35
	v_lshl_or_b32 v31, v7, 16, v31
.LBB288_992:                            ;   in Loop: Header=BB288_13 Depth=1
	s_or_b32 exec_lo, exec_lo, s27
.LBB288_993:                            ;   in Loop: Header=BB288_13 Depth=1
	s_or_b32 exec_lo, exec_lo, s26
.LBB288_994:                            ;   in Loop: Header=BB288_13 Depth=1
	s_or_b32 exec_lo, exec_lo, s25
	v_lshrrev_b32_e32 v7, 16, v9
	v_mov_b32_e32 v99, 0
	v_mov_b32_e32 v101, 0
	v_cmp_ne_u16_sdwa s7, v7, v8 src0_sel:BYTE_0 src1_sel:DWORD
	s_and_saveexec_b32 s25, s7
	s_cbranch_execz .LBB288_1002
; %bb.995:                              ;   in Loop: Header=BB288_13 Depth=1
	v_cmp_ne_u16_sdwa s7, v7, v81 src0_sel:BYTE_0 src1_sel:DWORD
	v_mov_b32_e32 v101, 0x8000
	s_and_saveexec_b32 s26, s7
	s_cbranch_execz .LBB288_1001
; %bb.996:                              ;   in Loop: Header=BB288_13 Depth=1
	v_bfe_u32 v42, v9, 16, 7
	v_mov_b32_e32 v101, 0x7c01
	s_mov_b32 s27, exec_lo
	v_cmpx_ne_u32_e32 0x7f, v42
	s_cbranch_execz .LBB288_1000
; %bb.997:                              ;   in Loop: Header=BB288_13 Depth=1
	v_and_b32_e32 v101, 7, v7
	v_lshrrev_b32_e32 v40, 3, v42
	s_mov_b32 s28, exec_lo
	v_cmpx_gt_u32_e32 8, v42
; %bb.998:                              ;   in Loop: Header=BB288_13 Depth=1
	v_ffbh_u32_e32 v35, v101
	v_min_u32_e32 v35, 32, v35
	v_subrev_nc_u32_e32 v39, 28, v35
	v_lshlrev_b64 v[39:40], v39, v[7:8]
	v_sub_nc_u32_e32 v40, 29, v35
	v_and_b32_e32 v101, 7, v39
; %bb.999:                              ;   in Loop: Header=BB288_13 Depth=1
	s_or_b32 exec_lo, exec_lo, s28
	v_lshlrev_b32_e32 v7, 8, v7
	v_lshl_add_u32 v35, v40, 10, 0x2000
	v_lshlrev_b32_e32 v39, 7, v101
	v_and_b32_e32 v7, 0x8000, v7
	v_and_b32_e32 v35, 0xfc00, v35
	v_or3_b32 v101, v7, v35, v39
.LBB288_1000:                           ;   in Loop: Header=BB288_13 Depth=1
	s_or_b32 exec_lo, exec_lo, s27
.LBB288_1001:                           ;   in Loop: Header=BB288_13 Depth=1
	s_or_b32 exec_lo, exec_lo, s26
.LBB288_1002:                           ;   in Loop: Header=BB288_13 Depth=1
	s_or_b32 exec_lo, exec_lo, s25
	s_mov_b32 s25, exec_lo
	v_cmpx_lt_u32_e32 0xffffff, v9
	s_cbranch_execz .LBB288_1010
; %bb.1003:                             ;   in Loop: Header=BB288_13 Depth=1
	v_lshrrev_b32_e32 v7, 24, v9
	v_bfrev_b32_e32 v99, 1
	s_mov_b32 s26, exec_lo
	v_cmpx_ne_u32_e32 0x80, v7
	s_cbranch_execz .LBB288_1009
; %bb.1004:                             ;   in Loop: Header=BB288_13 Depth=1
	v_and_b32_e32 v40, 0x7f, v7
	v_mov_b32_e32 v99, 0x7c010000
	s_mov_b32 s27, exec_lo
	v_cmpx_ne_u32_e32 0x7f, v40
	s_cbranch_execz .LBB288_1008
; %bb.1005:                             ;   in Loop: Header=BB288_13 Depth=1
	v_and_b32_e32 v9, 7, v7
	v_lshrrev_b32_e32 v99, 3, v40
	s_mov_b32 s28, exec_lo
	v_cmpx_gt_u32_e32 8, v40
; %bb.1006:                             ;   in Loop: Header=BB288_13 Depth=1
	v_ffbh_u32_e32 v9, v9
	v_min_u32_e32 v9, 32, v9
	v_subrev_nc_u32_e32 v35, 28, v9
	v_sub_nc_u32_e32 v99, 29, v9
	v_lshlrev_b64 v[39:40], v35, v[7:8]
	v_and_b32_e32 v9, 7, v39
; %bb.1007:                             ;   in Loop: Header=BB288_13 Depth=1
	s_or_b32 exec_lo, exec_lo, s28
	v_lshlrev_b32_e32 v7, 8, v7
	v_lshl_add_u32 v35, v99, 10, 0x2000
	v_lshlrev_b32_e32 v9, 23, v9
	v_and_or_b32 v7, 0x8000, v7, v35
	v_lshl_or_b32 v99, v7, 16, v9
.LBB288_1008:                           ;   in Loop: Header=BB288_13 Depth=1
	s_or_b32 exec_lo, exec_lo, s27
.LBB288_1009:                           ;   in Loop: Header=BB288_13 Depth=1
	s_or_b32 exec_lo, exec_lo, s26
.LBB288_1010:                           ;   in Loop: Header=BB288_13 Depth=1
	s_or_b32 exec_lo, exec_lo, s25
	buffer_load_dword v7, off, s[0:3], s32 offset:212 ; 4-byte Folded Reload
	s_waitcnt vmcnt(0)
	v_add_co_u32 v39, s7, v68, v7
	v_add_co_ci_u32_e64 v40, null, 0, v117, s7
	v_mov_b32_e32 v68, 0
	v_mov_b32_e32 v117, 0
	flat_load_dword v9, v[39:40]
	s_waitcnt vmcnt(0) lgkmcnt(0)
	v_cmp_ne_u16_sdwa s7, v9, v8 src0_sel:BYTE_0 src1_sel:DWORD
	s_and_saveexec_b32 s25, s7
	s_cbranch_execz .LBB288_1018
; %bb.1011:                             ;   in Loop: Header=BB288_13 Depth=1
	v_cmp_ne_u16_sdwa s7, v9, v81 src0_sel:BYTE_0 src1_sel:DWORD
	v_mov_b32_e32 v117, 0x8000
	s_and_saveexec_b32 s26, s7
	s_cbranch_execz .LBB288_1017
; %bb.1012:                             ;   in Loop: Header=BB288_13 Depth=1
	v_and_b32_e32 v40, 0x7f, v9
	v_mov_b32_e32 v117, 0x7c01
	s_mov_b32 s27, exec_lo
	v_cmpx_ne_u32_e32 0x7f, v40
	s_cbranch_execz .LBB288_1016
; %bb.1013:                             ;   in Loop: Header=BB288_13 Depth=1
	v_and_b32_e32 v7, 7, v9
	v_lshrrev_b32_e32 v117, 3, v40
	s_mov_b32 s28, exec_lo
	v_cmpx_gt_u32_e32 8, v40
; %bb.1014:                             ;   in Loop: Header=BB288_13 Depth=1
	v_ffbh_u32_e32 v7, v7
	v_min_u32_e32 v7, 32, v7
	v_subrev_nc_u32_e32 v35, 28, v7
	v_sub_nc_u32_e32 v117, 29, v7
	v_lshlrev_b64 v[39:40], v35, v[9:10]
	v_and_b32_e32 v7, 7, v39
; %bb.1015:                             ;   in Loop: Header=BB288_13 Depth=1
	s_or_b32 exec_lo, exec_lo, s28
	v_lshlrev_b32_e32 v35, 8, v9
	v_lshl_add_u32 v39, v117, 10, 0x2000
	v_lshlrev_b32_e32 v7, 7, v7
	v_and_b32_e32 v35, 0x8000, v35
	v_and_b32_e32 v39, 0xfc00, v39
	v_or3_b32 v117, v35, v39, v7
.LBB288_1016:                           ;   in Loop: Header=BB288_13 Depth=1
	s_or_b32 exec_lo, exec_lo, s27
.LBB288_1017:                           ;   in Loop: Header=BB288_13 Depth=1
	s_or_b32 exec_lo, exec_lo, s26
.LBB288_1018:                           ;   in Loop: Header=BB288_13 Depth=1
	s_or_b32 exec_lo, exec_lo, s25
	v_lshrrev_b16 v7, 8, v9
	s_mov_b32 s25, exec_lo
	v_cmpx_ne_u16_e32 0, v7
	s_cbranch_execz .LBB288_1026
; %bb.1019:                             ;   in Loop: Header=BB288_13 Depth=1
	v_bfrev_b32_e32 v68, 1
	s_mov_b32 s26, exec_lo
	v_cmpx_ne_u16_e32 0x80, v7
	s_cbranch_execz .LBB288_1025
; %bb.1020:                             ;   in Loop: Header=BB288_13 Depth=1
	v_mov_b32_e32 v26, 0x7f
	v_mov_b32_e32 v68, 0x7c010000
	s_mov_b32 s27, exec_lo
	v_and_b32_sdwa v42, v7, v26 dst_sel:DWORD dst_unused:UNUSED_PAD src0_sel:WORD_0 src1_sel:DWORD
	v_cmpx_ne_u32_e32 0x7f, v42
	s_cbranch_execz .LBB288_1024
; %bb.1021:                             ;   in Loop: Header=BB288_13 Depth=1
	v_mov_b32_e32 v26, 7
	v_lshrrev_b32_e32 v40, 3, v42
	s_mov_b32 s28, exec_lo
	v_and_b32_sdwa v68, v7, v26 dst_sel:DWORD dst_unused:UNUSED_PAD src0_sel:WORD_0 src1_sel:DWORD
	v_cmpx_gt_u32_e32 8, v42
; %bb.1022:                             ;   in Loop: Header=BB288_13 Depth=1
	v_ffbh_u32_e32 v35, v68
	v_min_u32_e32 v35, 32, v35
	v_subrev_nc_u32_e32 v39, 28, v35
	v_lshlrev_b64 v[39:40], v39, v[7:8]
	v_sub_nc_u32_e32 v40, 29, v35
	v_and_b32_e32 v68, 7, v39
; %bb.1023:                             ;   in Loop: Header=BB288_13 Depth=1
	s_or_b32 exec_lo, exec_lo, s28
	v_mov_b32_e32 v26, 8
	v_lshl_add_u32 v35, v40, 10, 0x2000
	v_lshlrev_b32_sdwa v7, v26, v7 dst_sel:DWORD dst_unused:UNUSED_PAD src0_sel:DWORD src1_sel:WORD_0
	v_and_or_b32 v7, 0x8000, v7, v35
	v_lshlrev_b32_e32 v35, 23, v68
	v_lshl_or_b32 v68, v7, 16, v35
.LBB288_1024:                           ;   in Loop: Header=BB288_13 Depth=1
	s_or_b32 exec_lo, exec_lo, s27
.LBB288_1025:                           ;   in Loop: Header=BB288_13 Depth=1
	s_or_b32 exec_lo, exec_lo, s26
.LBB288_1026:                           ;   in Loop: Header=BB288_13 Depth=1
	s_or_b32 exec_lo, exec_lo, s25
	v_lshrrev_b32_e32 v7, 16, v9
	v_mov_b32_e32 v40, 0
	v_mov_b32_e32 v42, 0
	v_cmp_ne_u16_sdwa s7, v7, v8 src0_sel:BYTE_0 src1_sel:DWORD
	s_and_saveexec_b32 s25, s7
	s_cbranch_execz .LBB288_1034
; %bb.1027:                             ;   in Loop: Header=BB288_13 Depth=1
	v_cmp_ne_u16_sdwa s7, v7, v81 src0_sel:BYTE_0 src1_sel:DWORD
	v_mov_b32_e32 v42, 0x8000
	s_and_saveexec_b32 s26, s7
	s_cbranch_execz .LBB288_1033
; %bb.1028:                             ;   in Loop: Header=BB288_13 Depth=1
	v_bfe_u32 v35, v9, 16, 7
	v_mov_b32_e32 v42, 0x7c01
	s_mov_b32 s27, exec_lo
	v_cmpx_ne_u32_e32 0x7f, v35
	s_cbranch_execz .LBB288_1032
; %bb.1029:                             ;   in Loop: Header=BB288_13 Depth=1
	v_and_b32_e32 v42, 7, v7
	v_lshrrev_b32_e32 v72, 3, v35
	s_mov_b32 s28, exec_lo
	v_cmpx_gt_u32_e32 8, v35
	s_cbranch_execz .LBB288_1031
; %bb.1030:                             ;   in Loop: Header=BB288_13 Depth=1
	v_ffbh_u32_e32 v35, v42
	v_mov_b32_e32 v26, v41
	v_min_u32_e32 v35, 32, v35
	v_subrev_nc_u32_e32 v39, 28, v35
	v_sub_nc_u32_e32 v72, 29, v35
	v_lshlrev_b64 v[41:42], v39, v[7:8]
	v_and_b32_e32 v42, 7, v41
	v_mov_b32_e32 v41, v26
.LBB288_1031:                           ;   in Loop: Header=BB288_13 Depth=1
	s_or_b32 exec_lo, exec_lo, s28
	v_lshlrev_b32_e32 v7, 8, v7
	v_lshl_add_u32 v35, v72, 10, 0x2000
	v_lshlrev_b32_e32 v39, 7, v42
	v_and_b32_e32 v7, 0x8000, v7
	v_and_b32_e32 v35, 0xfc00, v35
	v_or3_b32 v42, v7, v35, v39
.LBB288_1032:                           ;   in Loop: Header=BB288_13 Depth=1
	s_or_b32 exec_lo, exec_lo, s27
.LBB288_1033:                           ;   in Loop: Header=BB288_13 Depth=1
	s_or_b32 exec_lo, exec_lo, s26
.LBB288_1034:                           ;   in Loop: Header=BB288_13 Depth=1
	s_or_b32 exec_lo, exec_lo, s25
	v_mov_b32_e32 v26, v41
	s_mov_b32 s25, exec_lo
	v_cmpx_lt_u32_e32 0xffffff, v9
	s_cbranch_execz .LBB288_1042
; %bb.1035:                             ;   in Loop: Header=BB288_13 Depth=1
	v_lshrrev_b32_e32 v7, 24, v9
	v_bfrev_b32_e32 v40, 1
	s_mov_b32 s26, exec_lo
	v_cmpx_ne_u32_e32 0x80, v7
	s_cbranch_execz .LBB288_1041
; %bb.1036:                             ;   in Loop: Header=BB288_13 Depth=1
	v_and_b32_e32 v72, 0x7f, v7
	v_mov_b32_e32 v40, 0x7c010000
	s_mov_b32 s27, exec_lo
	v_cmpx_ne_u32_e32 0x7f, v72
	s_cbranch_execz .LBB288_1040
; %bb.1037:                             ;   in Loop: Header=BB288_13 Depth=1
	v_and_b32_e32 v9, 7, v7
	v_lshrrev_b32_e32 v40, 3, v72
	s_mov_b32 s28, exec_lo
	v_cmpx_gt_u32_e32 8, v72
; %bb.1038:                             ;   in Loop: Header=BB288_13 Depth=1
	v_ffbh_u32_e32 v9, v9
	v_min_u32_e32 v9, 32, v9
	v_subrev_nc_u32_e32 v35, 28, v9
	v_lshlrev_b64 v[39:40], v35, v[7:8]
	v_sub_nc_u32_e32 v40, 29, v9
	v_and_b32_e32 v9, 7, v39
; %bb.1039:                             ;   in Loop: Header=BB288_13 Depth=1
	s_or_b32 exec_lo, exec_lo, s28
	v_lshlrev_b32_e32 v7, 8, v7
	v_lshl_add_u32 v35, v40, 10, 0x2000
	v_lshlrev_b32_e32 v9, 23, v9
	v_and_or_b32 v7, 0x8000, v7, v35
	v_lshl_or_b32 v40, v7, 16, v9
.LBB288_1040:                           ;   in Loop: Header=BB288_13 Depth=1
	s_or_b32 exec_lo, exec_lo, s27
.LBB288_1041:                           ;   in Loop: Header=BB288_13 Depth=1
	s_or_b32 exec_lo, exec_lo, s26
.LBB288_1042:                           ;   in Loop: Header=BB288_13 Depth=1
	s_or_b32 exec_lo, exec_lo, s25
	v_or_b32_e32 v1, v0, v1
	v_fma_mixlo_f16 v0, v98, v0, 0 op_sel:[0,1,0] op_sel_hi:[0,1,0]
	v_or_b32_e32 v7, v31, v32
	v_fma_mixlo_f16 v32, v98, v96, 0 op_sel:[0,1,0] op_sel_hi:[0,1,0]
	v_fma_mixlo_f16 v9, v98, v31, 0 op_sel:[0,1,0] op_sel_hi:[0,1,0]
	;; [unrolled: 1-line block ×3, first 2 shown]
	buffer_store_dword v0, off, s[0:3], s32 offset:388 ; 4-byte Folded Spill
	v_fma_mixlo_f16 v0, v98, v1, 0 op_sel_hi:[0,1,0]
	v_fma_mixlo_f16 v7, v98, v7, 0 op_sel_hi:[0,1,0]
	v_or_b32_e32 v3, v2, v3
	v_fma_mixlo_f16 v2, v98, v2, 0 op_sel:[0,1,0] op_sel_hi:[0,1,0]
	buffer_store_dword v9, off, s[0:3], s32 offset:340 ; 4-byte Folded Spill
	buffer_store_dword v0, off, s[0:3], s32 offset:392 ; 4-byte Folded Spill
	v_or_b32_e32 v0, v4, v48
	buffer_store_dword v7, off, s[0:3], s32 offset:344 ; 4-byte Folded Spill
	v_or_b32_e32 v7, v99, v101
	buffer_store_dword v2, off, s[0:3], s32 offset:372 ; 4-byte Folded Spill
	v_fma_mixlo_f16 v2, v98, v3, 0 op_sel_hi:[0,1,0]
	v_fma_mixlo_f16 v0, v98, v0, 0 op_sel_hi:[0,1,0]
	v_fma_mixlo_f16 v9, v98, v16, 0 op_sel:[0,1,0] op_sel_hi:[0,1,0]
	v_fma_mixlo_f16 v7, v98, v7, 0 op_sel_hi:[0,1,0]
	v_fma_mixlo_f16 v1, v98, v85, 0 op_sel:[0,1,0] op_sel_hi:[0,1,0]
	buffer_store_dword v2, off, s[0:3], s32 offset:376 ; 4-byte Folded Spill
	buffer_store_dword v0, off, s[0:3], s32 offset:384 ; 4-byte Folded Spill
	v_fma_mixlo_f16 v0, v98, v4, 0 op_sel:[0,1,0] op_sel_hi:[0,1,0]
	buffer_store_dword v7, off, s[0:3], s32 offset:336 ; 4-byte Folded Spill
	v_fma_mixlo_f16 v7, v98, v99, 0 op_sel:[0,1,0] op_sel_hi:[0,1,0]
	;; [unrolled: 2-line block ×3, first 2 shown]
	buffer_store_dword v0, off, s[0:3], s32 offset:380 ; 4-byte Folded Spill
	v_or_b32_e32 v0, v12, v14
	buffer_store_dword v7, off, s[0:3], s32 offset:332 ; 4-byte Folded Spill
	v_or_b32_e32 v7, v16, v17
	v_or_b32_e32 v2, v37, v53
	v_fma_mixlo_f16 v72, v98, v123, 0 op_sel:[0,1,0] op_sel_hi:[0,1,0]
	v_fma_mixlo_f16 v14, v98, v0, 0 op_sel_hi:[0,1,0]
	v_or_b32_e32 v0, v96, v15
	v_fma_mixlo_f16 v7, v98, v7, 0 op_sel_hi:[0,1,0]
	v_fma_mixlo_f16 v2, v98, v2, 0 op_sel_hi:[0,1,0]
	v_fma_mixlo_f16 v35, v98, v73, 0 op_sel:[0,1,0] op_sel_hi:[0,1,0]
	v_fma_mixlo_f16 v53, v98, v47, 0 op_sel:[0,1,0] op_sel_hi:[0,1,0]
	v_fma_mixlo_f16 v15, v98, v0, 0 op_sel_hi:[0,1,0]
	v_or_b32_e32 v0, v13, v20
	buffer_store_dword v7, off, s[0:3], s32 offset:360 ; 4-byte Folded Spill
	v_or_b32_e32 v7, v54, v64
	buffer_store_dword v2, off, s[0:3], s32 offset:368 ; 4-byte Folded Spill
	v_fma_mixlo_f16 v2, v98, v37, 0 op_sel:[0,1,0] op_sel_hi:[0,1,0]
	v_fma_mixlo_f16 v20, v98, v0, 0 op_sel_hi:[0,1,0]
	v_or_b32_e32 v0, v65, v36
	v_fma_mixlo_f16 v7, v98, v7, 0 op_sel_hi:[0,1,0]
	v_fma_mixlo_f16 v4, v98, v43, 0 op_sel:[0,1,0] op_sel_hi:[0,1,0]
	buffer_store_dword v2, off, s[0:3], s32 offset:364 ; 4-byte Folded Spill
	v_fma_mixlo_f16 v37, v98, v119, 0 op_sel:[0,1,0] op_sel_hi:[0,1,0]
	v_fma_mixlo_f16 v36, v98, v0, 0 op_sel_hi:[0,1,0]
	v_or_b32_e32 v0, v22, v25
	v_fma_mixlo_f16 v25, v98, v22, 0 op_sel:[0,1,0] op_sel_hi:[0,1,0]
	v_fma_mixlo_f16 v22, v98, v52, 0 op_sel:[0,1,0] op_sel_hi:[0,1,0]
	buffer_store_dword v7, off, s[0:3], s32 offset:352 ; 4-byte Folded Spill
	v_fma_mixlo_f16 v7, v98, v54, 0 op_sel:[0,1,0] op_sel_hi:[0,1,0]
	v_fma_mixlo_f16 v96, v98, v0, 0 op_sel_hi:[0,1,0]
	v_or_b32_e32 v0, v52, v80
	v_fma_mixlo_f16 v52, v98, v6, 0 op_sel:[0,1,0] op_sel_hi:[0,1,0]
	;; [unrolled: 6-line block ×3, first 2 shown]
	v_fma_mixlo_f16 v65, v98, v65, 0 op_sel:[0,1,0] op_sel_hi:[0,1,0]
	v_fma_mixlo_f16 v39, v98, v27, 0 op_sel:[0,1,0] op_sel_hi:[0,1,0]
	v_and_b32_e32 v4, 0xffff, v4
	v_fma_mixlo_f16 v50, v98, v0, 0 op_sel_hi:[0,1,0]
	v_or_b32_e32 v0, v86, v112
	v_fma_mixlo_f16 v86, v98, v86, 0 op_sel:[0,1,0] op_sel_hi:[0,1,0]
	v_and_b32_e32 v1, 0xffff, v1
	v_and_b32_e32 v9, 0xffff, v9
	;; [unrolled: 1-line block ×3, first 2 shown]
	v_fma_mixlo_f16 v12, v98, v0, 0 op_sel_hi:[0,1,0]
	v_or_b32_e32 v0, v69, v82
	v_fma_mixlo_f16 v82, v98, v55, 0 op_sel:[0,1,0] op_sel_hi:[0,1,0]
	v_fma_mixlo_f16 v69, v98, v69, 0 op_sel:[0,1,0] op_sel_hi:[0,1,0]
	v_fma_mixlo_f16 v112, v98, v0, 0 op_sel_hi:[0,1,0]
	v_or_b32_e32 v0, v55, v83
	v_fma_mixlo_f16 v83, v98, v0, 0 op_sel_hi:[0,1,0]
	v_or_b32_e32 v0, v114, v116
	v_fma_mixlo_f16 v114, v98, v60, 0 op_sel:[0,1,0] op_sel_hi:[0,1,0]
	v_fma_mixlo_f16 v3, v98, v0, 0 op_sel_hi:[0,1,0]
	v_or_b32_e32 v0, v60, v125
	v_fma_mixlo_f16 v125, v98, v11, 0 op_sel:[0,1,0] op_sel_hi:[0,1,0]
	v_and_b32_e32 v3, 0xffff, v3
	v_fma_mixlo_f16 v116, v98, v0, 0 op_sel_hi:[0,1,0]
	v_or_b32_e32 v0, v44, v46
	v_fma_mixlo_f16 v44, v98, v62, 0 op_sel:[0,1,0] op_sel_hi:[0,1,0]
	v_fma_mixlo_f16 v60, v98, v0, 0 op_sel_hi:[0,1,0]
	v_or_b32_e32 v0, v62, v33
	v_fma_mixlo_f16 v46, v98, v0, 0 op_sel_hi:[0,1,0]
	v_or_b32_e32 v0, v118, v67
	v_fma_mixlo_f16 v67, v98, v56, 0 op_sel:[0,1,0] op_sel_hi:[0,1,0]
	v_fma_mixlo_f16 v62, v98, v0, 0 op_sel_hi:[0,1,0]
	v_or_b32_e32 v0, v56, v58
	v_fma_mixlo_f16 v56, v98, v49, 0 op_sel:[0,1,0] op_sel_hi:[0,1,0]
	v_fma_mixlo_f16 v58, v98, v18, 0 op_sel:[0,1,0] op_sel_hi:[0,1,0]
	v_fma_mixlo_f16 v118, v98, v0, 0 op_sel_hi:[0,1,0]
	v_or_b32_e32 v0, v49, v51
	v_fma_mixlo_f16 v49, v98, v100, 0 op_sel:[0,1,0] op_sel_hi:[0,1,0]
	v_fma_mixlo_f16 v33, v98, v0, 0 op_sel_hi:[0,1,0]
	v_or_b32_e32 v0, v100, v102
	;; [unrolled: 3-line block ×3, first 2 shown]
	v_fma_mixlo_f16 v21, v98, v34, 0 op_sel:[0,1,0] op_sel_hi:[0,1,0]
	v_fma_mixlo_f16 v23, v98, v68, 0 op_sel:[0,1,0] op_sel_hi:[0,1,0]
	v_fma_mixlo_f16 v102, v98, v0, 0 op_sel_hi:[0,1,0]
	v_or_b32_e32 v0, v24, v87
	v_fma_mixlo_f16 v24, v98, v24, 0 op_sel:[0,1,0] op_sel_hi:[0,1,0]
	v_and_b32_e32 v21, 0xffff, v21
	v_fma_mixlo_f16 v2, v98, v0, 0 op_sel_hi:[0,1,0]
	v_or_b32_e32 v0, v18, v19
	v_and_b32_e32 v2, 0xffff, v2
	v_fma_mixlo_f16 v19, v98, v0, 0 op_sel_hi:[0,1,0]
	v_or_b32_e32 v0, v85, v97
	v_or_b32_e32 v97, v68, v117
	;; [unrolled: 1-line block ×3, first 2 shown]
	v_fma_mixlo_f16 v87, v98, v0, 0 op_sel_hi:[0,1,0]
	v_or_b32_e32 v0, v34, v5
	v_fma_mixlo_f16 v117, v98, v97, 0 op_sel_hi:[0,1,0]
	v_fma_mixlo_f16 v34, v98, v0, 0 op_sel_hi:[0,1,0]
	v_or_b32_e32 v0, v11, v10
	v_fma_mixlo_f16 v85, v98, v0, 0 op_sel_hi:[0,1,0]
	v_or_b32_e32 v0, v123, v124
	v_fma_mixlo_f16 v123, v98, v126, 0 op_sel:[0,1,0] op_sel_hi:[0,1,0]
	v_fma_mixlo_f16 v55, v98, v0, 0 op_sel_hi:[0,1,0]
	v_or_b32_e32 v0, v126, v127
	v_fma_mixlo_f16 v126, v98, v111, 0 op_sel:[0,1,0] op_sel_hi:[0,1,0]
	;; [unrolled: 3-line block ×14, first 2 shown]
	v_fma_mixlo_f16 v76, v98, v0, 0 op_sel_hi:[0,1,0]
	buffer_load_dword v0, off, s[0:3], s32 offset:316 ; 4-byte Folded Reload
	s_waitcnt vmcnt(0)
	v_or_b32_e32 v0, v63, v0
	v_fma_mixlo_f16 v78, v98, v0, 0 op_sel_hi:[0,1,0]
	v_or_b32_e32 v0, v73, v74
	v_fma_mixlo_f16 v74, v98, v59, 0 op_sel:[0,1,0] op_sel_hi:[0,1,0]
	v_fma_mixlo_f16 v63, v98, v0, 0 op_sel_hi:[0,1,0]
	buffer_load_dword v0, off, s[0:3], s32 offset:308 ; 4-byte Folded Reload
	s_waitcnt vmcnt(0)
	v_or_b32_e32 v0, v59, v0
	v_fma_mixlo_f16 v59, v98, v61, 0 op_sel:[0,1,0] op_sel_hi:[0,1,0]
	v_fma_mixlo_f16 v99, v98, v0, 0 op_sel_hi:[0,1,0]
	buffer_load_dword v0, off, s[0:3], s32 offset:312 ; 4-byte Folded Reload
	s_waitcnt vmcnt(0)
	v_or_b32_e32 v0, v61, v0
	v_fma_mixlo_f16 v73, v98, v0, 0 op_sel_hi:[0,1,0]
	buffer_load_dword v0, off, s[0:3], s32 offset:300 ; 4-byte Folded Reload
	s_waitcnt vmcnt(0)
	v_or_b32_e32 v0, v47, v0
	v_fma_mixlo_f16 v47, v98, v57, 0 op_sel:[0,1,0] op_sel_hi:[0,1,0]
	v_fma_mixlo_f16 v48, v98, v0, 0 op_sel_hi:[0,1,0]
	buffer_load_dword v0, off, s[0:3], s32 offset:304 ; 4-byte Folded Reload
	s_waitcnt vmcnt(0)
	v_or_b32_e32 v0, v57, v0
	;; [unrolled: 9-line block ×4, first 2 shown]
	v_fma_mixlo_f16 v115, v98, v103, 0 op_sel:[0,1,0] op_sel_hi:[0,1,0]
	v_fma_mixlo_f16 v45, v98, v0, 0 op_sel_hi:[0,1,0]
	buffer_load_dword v0, off, s[0:3], s32 offset:276 ; 4-byte Folded Reload
	s_waitcnt vmcnt(0)
	v_or_b32_e32 v5, v113, v0
	v_fma_mixlo_f16 v0, v98, v113, 0 op_sel:[0,1,0] op_sel_hi:[0,1,0]
	v_fma_mixlo_f16 v101, v98, v5, 0 op_sel_hi:[0,1,0]
	buffer_load_dword v5, off, s[0:3], s32 offset:280 ; 4-byte Folded Reload
	v_and_b32_e32 v0, 0xffff, v0
	s_waitcnt vmcnt(0)
	v_or_b32_e32 v5, v103, v5
	v_fma_mixlo_f16 v41, v98, v5, 0 op_sel_hi:[0,1,0]
	s_clause 0x3
	buffer_load_dword v113, off, s[0:3], s32 offset:272
	buffer_load_dword v5, off, s[0:3], s32 offset:260
	;; [unrolled: 1-line block ×4, first 2 shown]
	s_waitcnt vmcnt(2)
	v_or_b32_e32 v10, v113, v5
	s_waitcnt vmcnt(0)
	v_or_b32_e32 v11, v16, v11
	v_fma_mixlo_f16 v5, v98, v113, 0 op_sel:[0,1,0] op_sel_hi:[0,1,0]
	v_fma_mixlo_f16 v10, v98, v10, 0 op_sel_hi:[0,1,0]
	v_fma_mixlo_f16 v18, v98, v11, 0 op_sel_hi:[0,1,0]
	v_fma_mixlo_f16 v11, v98, v16, 0 op_sel:[0,1,0] op_sel_hi:[0,1,0]
	buffer_load_dword v16, off, s[0:3], s32 offset:256 ; 4-byte Folded Reload
	buffer_store_dword v23, off, s[0:3], s32 offset:256 ; 4-byte Folded Spill
	v_fma_mixlo_f16 v23, v98, v68, 0 op_sel_hi:[0,1,0]
	v_fma_mixlo_f16 v68, v98, v40, 0 op_sel:[0,1,0] op_sel_hi:[0,1,0]
	v_and_b32_e32 v10, 0xffff, v10
	v_and_b32_e32 v5, 0xffff, v5
	;; [unrolled: 1-line block ×4, first 2 shown]
	s_waitcnt vmcnt(0)
	v_or_b32_e32 v16, v27, v16
	v_fma_mixlo_f16 v103, v98, v16, 0 op_sel_hi:[0,1,0]
	buffer_load_dword v16, off, s[0:3], s32 offset:252 ; 4-byte Folded Reload
	buffer_store_dword v23, off, s[0:3], s32 offset:252 ; 4-byte Folded Spill
	s_waitcnt vmcnt(0)
	v_or_b32_e32 v16, v26, v16
	v_fma_mixlo_f16 v17, v98, v16, 0 op_sel_hi:[0,1,0]
	v_fma_mixlo_f16 v16, v98, v26, 0 op_sel:[0,1,0] op_sel_hi:[0,1,0]
	ds_read_b64 v[97:98], v70
	v_and_b32_e32 v17, 0xffff, v17
	v_and_b32_e32 v16, 0xffff, v16
	s_waitcnt lgkmcnt(0)
	v_lshrrev_b32_e32 v23, 16, v97
	v_and_b32_e32 v26, 0xffff, v97
	;;#ASMSTART
	v_cvt_f32_f16 v97, v26;
	;;#ASMEND
	;;#ASMSTART
	v_cvt_f32_f16 v40, v23;
	;;#ASMEND
	v_and_b32_e32 v23, 0xffff, v103
	;;#ASMSTART
	v_cvt_f32_f16 v103, v23;
	;;#ASMEND
	v_and_b32_e32 v23, 0xffff, v39
	;;#ASMSTART
	v_cvt_f32_f16 v39, v23;
	;;#ASMEND
	v_lshrrev_b32_e32 v23, 16, v98
	v_and_b32_e32 v26, 0xffff, v98
	;;#ASMSTART
	v_cvt_f32_f16 v98, v26;
	;;#ASMEND
	;;#ASMSTART
	v_cvt_f32_f16 v42, v23;
	;;#ASMEND
	;; [unrolled: 3-line block ×4, first 2 shown]
	ds_read_b64 v[16:17], v70 offset:8
	s_waitcnt lgkmcnt(0)
	v_lshrrev_b32_e32 v23, 16, v16
	v_and_b32_e32 v16, 0xffff, v16
	;;#ASMSTART
	v_cvt_f32_f16 v16, v16;
	;;#ASMEND
	;;#ASMSTART
	v_cvt_f32_f16 v26, v23;
	;;#ASMEND
	;; [unrolled: 3-line block ×4, first 2 shown]
	v_mul_f32_e32 v5, v16, v10
	v_and_b32_e32 v16, 0xffff, v17
	v_mul_f32_e32 v10, v26, v23
	v_lshrrev_b32_e32 v23, 16, v17
	;;#ASMSTART
	v_cvt_f32_f16 v16, v16;
	;;#ASMEND
	;;#ASMSTART
	v_cvt_f32_f16 v17, v23;
	;;#ASMEND
	;; [unrolled: 3-line block ×4, first 2 shown]
	v_mul_f32_e32 v11, v16, v18
	v_mul_f32_e32 v18, v17, v23
	ds_read_b64 v[16:17], v70 offset:16
	v_fmac_f32_e32 v5, v97, v103
	v_fmac_f32_e32 v10, v40, v39
	;; [unrolled: 1-line block ×4, first 2 shown]
	v_and_b32_e32 v26, 0xffff, v101
	s_waitcnt lgkmcnt(0)
	v_lshrrev_b32_e32 v23, 16, v16
	v_and_b32_e32 v16, 0xffff, v16
	;;#ASMSTART
	v_cvt_f32_f16 v16, v16;
	;;#ASMEND
	;;#ASMSTART
	v_cvt_f32_f16 v23, v23;
	;;#ASMEND
	;; [unrolled: 3-line block ×4, first 2 shown]
	v_fmac_f32_e32 v5, v16, v26
	v_fmac_f32_e32 v10, v23, v0
	v_lshrrev_b32_e32 v16, 16, v17
	v_and_b32_e32 v0, 0xffff, v17
	v_and_b32_e32 v17, 0xffff, v41
	;;#ASMSTART
	v_cvt_f32_f16 v0, v0;
	;;#ASMEND
	;;#ASMSTART
	v_cvt_f32_f16 v16, v16;
	;;#ASMEND
	;; [unrolled: 3-line block ×3, first 2 shown]
	v_and_b32_e32 v23, 0xffff, v115
	;;#ASMSTART
	v_cvt_f32_f16 v23, v23;
	;;#ASMEND
	v_fmac_f32_e32 v11, v0, v17
	v_fmac_f32_e32 v18, v16, v23
	ds_read_b64 v[16:17], v70 offset:24
	v_and_b32_e32 v26, 0xffff, v37
	s_waitcnt lgkmcnt(0)
	v_lshrrev_b32_e32 v23, 16, v16
	v_and_b32_e32 v0, 0xffff, v16
	;;#ASMSTART
	v_cvt_f32_f16 v0, v0;
	;;#ASMEND
	;;#ASMSTART
	v_cvt_f32_f16 v16, v23;
	;;#ASMEND
	v_and_b32_e32 v23, 0xffff, v54
	;;#ASMSTART
	v_cvt_f32_f16 v23, v23;
	;;#ASMEND
	;;#ASMSTART
	v_cvt_f32_f16 v26, v26;
	;;#ASMEND
	v_fmac_f32_e32 v5, v0, v23
	v_fmac_f32_e32 v10, v16, v26
	v_lshrrev_b32_e32 v16, 16, v17
	v_and_b32_e32 v0, 0xffff, v17
	v_and_b32_e32 v17, 0xffff, v45
	;;#ASMSTART
	v_cvt_f32_f16 v0, v0;
	;;#ASMEND
	;;#ASMSTART
	v_cvt_f32_f16 v16, v16;
	;;#ASMEND
	;; [unrolled: 3-line block ×3, first 2 shown]
	v_and_b32_e32 v23, 0xffff, v119
	;;#ASMSTART
	v_cvt_f32_f16 v23, v23;
	;;#ASMEND
	v_fmac_f32_e32 v11, v0, v17
	v_fmac_f32_e32 v18, v16, v23
	ds_read_b64 v[16:17], v70 offset:32
	s_waitcnt lgkmcnt(0)
	v_lshrrev_b32_e32 v23, 16, v16
	v_and_b32_e32 v0, 0xffff, v16
	;;#ASMSTART
	v_cvt_f32_f16 v0, v0;
	;;#ASMEND
	;;#ASMSTART
	v_cvt_f32_f16 v16, v23;
	;;#ASMEND
	v_and_b32_e32 v23, 0xffff, v64
	;;#ASMSTART
	v_cvt_f32_f16 v23, v23;
	;;#ASMEND
	;;#ASMSTART
	v_cvt_f32_f16 v4, v4;
	;;#ASMEND
	v_fmac_f32_e32 v5, v0, v23
	v_fmac_f32_e32 v10, v16, v4
	v_lshrrev_b32_e32 v4, 16, v17
	v_and_b32_e32 v0, 0xffff, v17
	v_and_b32_e32 v16, 0xffff, v57
	v_and_b32_e32 v17, 0xffff, v43
	;;#ASMSTART
	v_cvt_f32_f16 v0, v0;
	;;#ASMEND
	;;#ASMSTART
	v_cvt_f32_f16 v4, v4;
	;;#ASMEND
	;;#ASMSTART
	v_cvt_f32_f16 v16, v16;
	;;#ASMEND
	;;#ASMSTART
	v_cvt_f32_f16 v17, v17;
	;;#ASMEND
	v_fmac_f32_e32 v11, v0, v16
	v_fmac_f32_e32 v18, v4, v17
	ds_read_b64 v[16:17], v70 offset:40
	v_and_b32_e32 v23, 0xffff, v53
	s_waitcnt lgkmcnt(0)
	v_lshrrev_b32_e32 v4, 16, v16
	v_and_b32_e32 v0, 0xffff, v16
	v_and_b32_e32 v16, 0xffff, v48
	;;#ASMSTART
	v_cvt_f32_f16 v0, v0;
	;;#ASMEND
	;;#ASMSTART
	v_cvt_f32_f16 v4, v4;
	;;#ASMEND
	;;#ASMSTART
	v_cvt_f32_f16 v16, v16;
	;;#ASMEND
	;;#ASMSTART
	v_cvt_f32_f16 v23, v23;
	;;#ASMEND
	v_fmac_f32_e32 v5, v0, v16
	v_fmac_f32_e32 v10, v4, v23
	v_lshrrev_b32_e32 v4, 16, v17
	v_and_b32_e32 v0, 0xffff, v17
	v_and_b32_e32 v16, 0xffff, v61
	v_and_b32_e32 v17, 0xffff, v47
	;;#ASMSTART
	v_cvt_f32_f16 v0, v0;
	;;#ASMEND
	;;#ASMSTART
	v_cvt_f32_f16 v4, v4;
	;;#ASMEND
	;;#ASMSTART
	v_cvt_f32_f16 v16, v16;
	;;#ASMEND
	;;#ASMSTART
	v_cvt_f32_f16 v17, v17;
	;;#ASMEND
	v_fmac_f32_e32 v11, v0, v16
	v_fmac_f32_e32 v18, v4, v17
	ds_read_b64 v[16:17], v70 offset:48
	v_and_b32_e32 v23, 0xffff, v74
	s_waitcnt lgkmcnt(0)
	v_lshrrev_b32_e32 v4, 16, v16
	v_and_b32_e32 v0, 0xffff, v16
	v_and_b32_e32 v16, 0xffff, v99
	;;#ASMSTART
	v_cvt_f32_f16 v0, v0;
	;;#ASMEND
	;;#ASMSTART
	v_cvt_f32_f16 v4, v4;
	;;#ASMEND
	;; [unrolled: 38-line block ×10, first 2 shown]
	;;#ASMSTART
	v_cvt_f32_f16 v16, v16;
	;;#ASMEND
	;;#ASMSTART
	v_cvt_f32_f16 v23, v23;
	;;#ASMEND
	v_fmac_f32_e32 v5, v0, v16
	v_fmac_f32_e32 v10, v4, v23
	v_lshrrev_b32_e32 v4, 16, v17
	v_and_b32_e32 v0, 0xffff, v17
	v_and_b32_e32 v16, 0xffff, v124
	;; [unrolled: 1-line block ×3, first 2 shown]
	;;#ASMSTART
	v_cvt_f32_f16 v0, v0;
	;;#ASMEND
	;;#ASMSTART
	v_cvt_f32_f16 v4, v4;
	;;#ASMEND
	;; [unrolled: 3-line block ×4, first 2 shown]
	v_fmac_f32_e32 v11, v0, v16
	v_fmac_f32_e32 v18, v4, v17
	ds_read_b64 v[16:17], v70 offset:120
	s_waitcnt lgkmcnt(0)
	v_lshrrev_b32_e32 v4, 16, v16
	v_and_b32_e32 v0, 0xffff, v16
	v_and_b32_e32 v16, 0xffff, v34
	;;#ASMSTART
	v_cvt_f32_f16 v0, v0;
	;;#ASMEND
	;;#ASMSTART
	v_cvt_f32_f16 v4, v4;
	;;#ASMEND
	;; [unrolled: 3-line block ×4, first 2 shown]
	v_fmac_f32_e32 v5, v0, v16
	v_fmac_f32_e32 v10, v4, v21
	v_lshrrev_b32_e32 v4, 16, v17
	v_and_b32_e32 v0, 0xffff, v17
	v_and_b32_e32 v16, 0xffff, v85
	;; [unrolled: 1-line block ×3, first 2 shown]
	;;#ASMSTART
	v_cvt_f32_f16 v0, v0;
	;;#ASMEND
	;;#ASMSTART
	v_cvt_f32_f16 v4, v4;
	;;#ASMEND
	;; [unrolled: 3-line block ×4, first 2 shown]
	v_fmac_f32_e32 v11, v0, v16
	v_fmac_f32_e32 v18, v4, v17
	ds_read_b64 v[16:17], v70 offset:128
	s_waitcnt lgkmcnt(0)
	v_lshrrev_b32_e32 v4, 16, v16
	v_and_b32_e32 v0, 0xffff, v16
	v_and_b32_e32 v16, 0xffff, v19
	;;#ASMSTART
	v_cvt_f32_f16 v0, v0;
	;;#ASMEND
	;;#ASMSTART
	v_cvt_f32_f16 v4, v4;
	;;#ASMEND
	;; [unrolled: 3-line block ×3, first 2 shown]
	v_and_b32_e32 v19, 0xffff, v58
	;;#ASMSTART
	v_cvt_f32_f16 v19, v19;
	;;#ASMEND
	v_fmac_f32_e32 v5, v0, v16
	v_fmac_f32_e32 v10, v4, v19
	v_lshrrev_b32_e32 v4, 16, v17
	v_and_b32_e32 v0, 0xffff, v17
	v_and_b32_e32 v16, 0xffff, v87
	;;#ASMSTART
	v_cvt_f32_f16 v0, v0;
	;;#ASMEND
	;;#ASMSTART
	v_cvt_f32_f16 v4, v4;
	;;#ASMEND
	;; [unrolled: 3-line block ×4, first 2 shown]
	v_fmac_f32_e32 v11, v0, v16
	v_fmac_f32_e32 v18, v4, v1
	ds_read_b64 v[0:1], v70 offset:136
	v_and_b32_e32 v16, 0xffff, v102
	v_and_b32_e32 v17, 0xffff, v100
	s_waitcnt lgkmcnt(0)
	v_lshrrev_b32_e32 v4, 16, v0
	v_and_b32_e32 v0, 0xffff, v0
	;;#ASMSTART
	v_cvt_f32_f16 v0, v0;
	;;#ASMEND
	;;#ASMSTART
	v_cvt_f32_f16 v4, v4;
	;;#ASMEND
	;; [unrolled: 3-line block ×4, first 2 shown]
	v_fmac_f32_e32 v5, v0, v16
	v_fmac_f32_e32 v10, v4, v17
	v_lshrrev_b32_e32 v4, 16, v1
	v_and_b32_e32 v0, 0xffff, v1
	;;#ASMSTART
	v_cvt_f32_f16 v0, v0;
	;;#ASMEND
	;;#ASMSTART
	v_cvt_f32_f16 v1, v4;
	;;#ASMEND
	v_and_b32_e32 v4, 0xffff, v24
	;;#ASMSTART
	v_cvt_f32_f16 v2, v2;
	;;#ASMEND
	;;#ASMSTART
	v_cvt_f32_f16 v4, v4;
	;;#ASMEND
	v_fmac_f32_e32 v11, v0, v2
	v_fmac_f32_e32 v18, v1, v4
	ds_read_b64 v[0:1], v70 offset:144
	v_and_b32_e32 v4, 0xffff, v33
	v_and_b32_e32 v16, 0xffff, v56
	s_waitcnt lgkmcnt(0)
	v_lshrrev_b32_e32 v2, 16, v0
	v_and_b32_e32 v0, 0xffff, v0
	;;#ASMSTART
	v_cvt_f32_f16 v0, v0;
	;;#ASMEND
	;;#ASMSTART
	v_cvt_f32_f16 v2, v2;
	;;#ASMEND
	;;#ASMSTART
	v_cvt_f32_f16 v4, v4;
	;;#ASMEND
	;;#ASMSTART
	v_cvt_f32_f16 v16, v16;
	;;#ASMEND
	v_fmac_f32_e32 v5, v0, v4
	v_fmac_f32_e32 v10, v2, v16
	v_lshrrev_b32_e32 v2, 16, v1
	v_and_b32_e32 v0, 0xffff, v1
	;;#ASMSTART
	v_cvt_f32_f16 v0, v0;
	;;#ASMEND
	;;#ASMSTART
	v_cvt_f32_f16 v1, v2;
	;;#ASMEND
	v_and_b32_e32 v2, 0xffff, v51
	v_and_b32_e32 v4, 0xffff, v49
	;;#ASMSTART
	v_cvt_f32_f16 v2, v2;
	;;#ASMEND
	;;#ASMSTART
	v_cvt_f32_f16 v4, v4;
	;;#ASMEND
	v_fmac_f32_e32 v11, v0, v2
	v_fmac_f32_e32 v18, v1, v4
	ds_read_b64 v[0:1], v70 offset:152
	v_and_b32_e32 v4, 0xffff, v62
	s_waitcnt lgkmcnt(0)
	v_lshrrev_b32_e32 v2, 16, v0
	v_and_b32_e32 v0, 0xffff, v0
	;;#ASMSTART
	v_cvt_f32_f16 v0, v0;
	;;#ASMEND
	;;#ASMSTART
	v_cvt_f32_f16 v2, v2;
	;;#ASMEND
	;;#ASMSTART
	v_cvt_f32_f16 v4, v4;
	;;#ASMEND
	;;#ASMSTART
	v_cvt_f32_f16 v9, v9;
	;;#ASMEND
	v_fmac_f32_e32 v5, v0, v4
	v_fmac_f32_e32 v10, v2, v9
	v_lshrrev_b32_e32 v2, 16, v1
	v_and_b32_e32 v0, 0xffff, v1
	;;#ASMSTART
	v_cvt_f32_f16 v0, v0;
	;;#ASMEND
	;;#ASMSTART
	v_cvt_f32_f16 v1, v2;
	;;#ASMEND
	v_and_b32_e32 v2, 0xffff, v118
	v_and_b32_e32 v4, 0xffff, v67
	;;#ASMSTART
	v_cvt_f32_f16 v2, v2;
	;;#ASMEND
	;;#ASMSTART
	v_cvt_f32_f16 v4, v4;
	;;#ASMEND
	v_fmac_f32_e32 v11, v0, v2
	v_fmac_f32_e32 v18, v1, v4
	ds_read_b64 v[0:1], v70 offset:160
	;; [unrolled: 37-line block ×4, first 2 shown]
	v_and_b32_e32 v3, 0xffff, v112
	v_and_b32_e32 v4, 0xffff, v69
	s_waitcnt lgkmcnt(0)
	v_lshrrev_b32_e32 v2, 16, v0
	v_and_b32_e32 v0, 0xffff, v0
	;;#ASMSTART
	v_cvt_f32_f16 v0, v0;
	;;#ASMEND
	;;#ASMSTART
	v_cvt_f32_f16 v2, v2;
	;;#ASMEND
	;;#ASMSTART
	v_cvt_f32_f16 v3, v3;
	;;#ASMEND
	;;#ASMSTART
	v_cvt_f32_f16 v4, v4;
	;;#ASMEND
	v_fmac_f32_e32 v5, v0, v3
	v_fmac_f32_e32 v10, v2, v4
	v_lshrrev_b32_e32 v2, 16, v1
	v_and_b32_e32 v0, 0xffff, v1
	;;#ASMSTART
	v_cvt_f32_f16 v0, v0;
	;;#ASMEND
	;;#ASMSTART
	v_cvt_f32_f16 v1, v2;
	;;#ASMEND
	v_and_b32_e32 v2, 0xffff, v83
	v_and_b32_e32 v3, 0xffff, v82
	;;#ASMSTART
	v_cvt_f32_f16 v2, v2;
	;;#ASMEND
	;;#ASMSTART
	v_cvt_f32_f16 v3, v3;
	;;#ASMEND
	v_fmac_f32_e32 v11, v0, v2
	v_fmac_f32_e32 v18, v1, v3
	ds_read_b64 v[0:1], v70 offset:184
	v_and_b32_e32 v3, 0xffff, v50
	v_and_b32_e32 v4, 0xffff, v52
	s_waitcnt lgkmcnt(0)
	v_lshrrev_b32_e32 v2, 16, v0
	v_and_b32_e32 v0, 0xffff, v0
	;;#ASMSTART
	v_cvt_f32_f16 v0, v0;
	;;#ASMEND
	;;#ASMSTART
	v_cvt_f32_f16 v2, v2;
	;;#ASMEND
	;;#ASMSTART
	v_cvt_f32_f16 v3, v3;
	;;#ASMEND
	;;#ASMSTART
	v_cvt_f32_f16 v4, v4;
	;;#ASMEND
	v_fmac_f32_e32 v5, v0, v3
	v_fmac_f32_e32 v10, v2, v4
	v_lshrrev_b32_e32 v2, 16, v1
	v_and_b32_e32 v0, 0xffff, v1
	;;#ASMSTART
	v_cvt_f32_f16 v0, v0;
	;;#ASMEND
	;;#ASMSTART
	v_cvt_f32_f16 v1, v2;
	;;#ASMEND
	v_and_b32_e32 v2, 0xffff, v12
	v_and_b32_e32 v3, 0xffff, v86
	;;#ASMSTART
	v_cvt_f32_f16 v2, v2;
	;;#ASMEND
	;;#ASMSTART
	v_cvt_f32_f16 v3, v3;
	;;#ASMEND
	v_fmac_f32_e32 v11, v0, v2
	v_fmac_f32_e32 v18, v1, v3
	ds_read_b64 v[0:1], v70 offset:192
	;; [unrolled: 38-line block ×5, first 2 shown]
	s_waitcnt lgkmcnt(0)
	v_lshrrev_b32_e32 v2, 16, v0
	v_and_b32_e32 v0, 0xffff, v0
	;;#ASMSTART
	v_cvt_f32_f16 v0, v0;
	;;#ASMEND
	;;#ASMSTART
	v_cvt_f32_f16 v2, v2;
	;;#ASMEND
	buffer_load_dword v3, off, s[0:3], s32 offset:392 ; 4-byte Folded Reload
	s_waitcnt vmcnt(0)
	v_and_b32_e32 v3, 0xffff, v3
	;;#ASMSTART
	v_cvt_f32_f16 v3, v3;
	;;#ASMEND
	buffer_load_dword v4, off, s[0:3], s32 offset:388 ; 4-byte Folded Reload
	v_fmac_f32_e32 v5, v0, v3
	v_and_b32_e32 v0, 0xffff, v1
	s_waitcnt vmcnt(0)
	v_and_b32_e32 v4, 0xffff, v4
	;;#ASMSTART
	v_cvt_f32_f16 v4, v4;
	;;#ASMEND
	v_fmac_f32_e32 v10, v2, v4
	v_lshrrev_b32_e32 v2, 16, v1
	;;#ASMSTART
	v_cvt_f32_f16 v0, v0;
	;;#ASMEND
	;;#ASMSTART
	v_cvt_f32_f16 v1, v2;
	;;#ASMEND
	buffer_load_dword v2, off, s[0:3], s32 offset:384 ; 4-byte Folded Reload
	s_waitcnt vmcnt(0)
	v_and_b32_e32 v2, 0xffff, v2
	;;#ASMSTART
	v_cvt_f32_f16 v2, v2;
	;;#ASMEND
	buffer_load_dword v3, off, s[0:3], s32 offset:380 ; 4-byte Folded Reload
	v_fmac_f32_e32 v11, v0, v2
	s_waitcnt vmcnt(0)
	v_and_b32_e32 v3, 0xffff, v3
	;;#ASMSTART
	v_cvt_f32_f16 v3, v3;
	;;#ASMEND
	v_fmac_f32_e32 v18, v1, v3
	ds_read_b64 v[0:1], v70 offset:224
	s_waitcnt lgkmcnt(0)
	v_lshrrev_b32_e32 v2, 16, v0
	v_and_b32_e32 v0, 0xffff, v0
	;;#ASMSTART
	v_cvt_f32_f16 v0, v0;
	;;#ASMEND
	;;#ASMSTART
	v_cvt_f32_f16 v2, v2;
	;;#ASMEND
	buffer_load_dword v3, off, s[0:3], s32 offset:376 ; 4-byte Folded Reload
	s_waitcnt vmcnt(0)
	v_and_b32_e32 v3, 0xffff, v3
	;;#ASMSTART
	v_cvt_f32_f16 v3, v3;
	;;#ASMEND
	buffer_load_dword v4, off, s[0:3], s32 offset:372 ; 4-byte Folded Reload
	v_fmac_f32_e32 v5, v0, v3
	v_and_b32_e32 v0, 0xffff, v1
	s_waitcnt vmcnt(0)
	v_and_b32_e32 v4, 0xffff, v4
	;;#ASMSTART
	v_cvt_f32_f16 v4, v4;
	;;#ASMEND
	v_fmac_f32_e32 v10, v2, v4
	v_lshrrev_b32_e32 v2, 16, v1
	;;#ASMSTART
	v_cvt_f32_f16 v0, v0;
	;;#ASMEND
	;;#ASMSTART
	v_cvt_f32_f16 v1, v2;
	;;#ASMEND
	buffer_load_dword v2, off, s[0:3], s32 offset:368 ; 4-byte Folded Reload
	s_waitcnt vmcnt(0)
	v_and_b32_e32 v2, 0xffff, v2
	;;#ASMSTART
	v_cvt_f32_f16 v2, v2;
	;;#ASMEND
	buffer_load_dword v3, off, s[0:3], s32 offset:364 ; 4-byte Folded Reload
	v_fmac_f32_e32 v11, v0, v2
	s_waitcnt vmcnt(0)
	v_and_b32_e32 v3, 0xffff, v3
	;;#ASMSTART
	v_cvt_f32_f16 v3, v3;
	;;#ASMEND
	v_fmac_f32_e32 v18, v1, v3
	ds_read_b64 v[0:1], v70 offset:232
	;; [unrolled: 46-line block ×4, first 2 shown]
	v_and_b32_e32 v3, 0xffff, v117
	s_waitcnt lgkmcnt(0)
	v_lshrrev_b32_e32 v2, 16, v0
	v_and_b32_e32 v0, 0xffff, v0
	;;#ASMSTART
	v_cvt_f32_f16 v0, v0;
	;;#ASMEND
	;;#ASMSTART
	v_cvt_f32_f16 v2, v2;
	;;#ASMEND
	;; [unrolled: 3-line block ×3, first 2 shown]
	buffer_load_dword v4, off, s[0:3], s32 offset:256 ; 4-byte Folded Reload
	v_fmac_f32_e32 v5, v0, v3
	v_and_b32_e32 v0, 0xffff, v1
	v_and_b32_e32 v3, 0xffff, v68
	s_waitcnt vmcnt(0)
	v_and_b32_e32 v4, 0xffff, v4
	;;#ASMSTART
	v_cvt_f32_f16 v4, v4;
	;;#ASMEND
	v_fmac_f32_e32 v10, v2, v4
	v_lshrrev_b32_e32 v2, 16, v1
	;;#ASMSTART
	v_cvt_f32_f16 v0, v0;
	;;#ASMEND
	;;#ASMSTART
	v_cvt_f32_f16 v1, v2;
	;;#ASMEND
	buffer_load_dword v2, off, s[0:3], s32 offset:252 ; 4-byte Folded Reload
	s_waitcnt vmcnt(0)
	v_and_b32_e32 v2, 0xffff, v2
	;;#ASMSTART
	v_cvt_f32_f16 v2, v2;
	;;#ASMEND
	v_fmac_f32_e32 v11, v0, v2
	v_mbcnt_lo_u32_b32 v2, -1, 0
	;;#ASMSTART
	v_cvt_f32_f16 v3, v3;
	;;#ASMEND
	v_fmac_f32_e32 v18, v1, v3
	v_add_f32_e32 v0, v5, v10
	v_xor_b32_e32 v1, 1, v2
	v_add_f32_e32 v0, v0, v11
	v_cmp_gt_i32_e64 s7, 32, v1
	v_add_f32_e32 v0, v18, v0
	v_cndmask_b32_e64 v1, v2, v1, s7
	v_lshlrev_b32_e32 v1, 2, v1
	ds_bpermute_b32 v1, v1, v0
	s_and_saveexec_b32 s25, vcc_lo
	s_cbranch_execz .LBB288_11
; %bb.1043:                             ;   in Loop: Header=BB288_13 Depth=1
	s_clause 0x1
	buffer_load_dword v2, off, s[0:3], s32 offset:428
	buffer_load_dword v3, off, s[0:3], s32 offset:420
	s_waitcnt lgkmcnt(0)
	v_add_f32_e32 v0, v0, v1
	s_load_dword s26, s[20:21], 0x0
	s_waitcnt vmcnt(1)
	v_add_nc_u32_e32 v2, v2, v71
	v_cvt_f32_i32_e32 v2, v2
	s_waitcnt vmcnt(0)
	v_mul_f32_e32 v2, v3, v2
	buffer_load_dword v3, off, s[0:3], s32 offset:416 ; 4-byte Folded Reload
	v_cndmask_b32_e64 v1, 0, v2, s6
	buffer_load_dword v2, off, s[0:3], s32 offset:424 ; 4-byte Folded Reload
	s_waitcnt vmcnt(1)
	v_fmac_f32_e32 v1, v3, v0
	buffer_load_dword v3, off, s[0:3], s32 offset:404 ; 4-byte Folded Reload
	s_waitcnt vmcnt(1)
	v_add_nc_u32_e32 v2, v2, v71
	v_cmp_lt_i32_e64 s7, v2, v38
	s_waitcnt lgkmcnt(0)
	v_add_nc_u32_e32 v2, s26, v84
	s_waitcnt vmcnt(0)
	v_max_f32_e32 v0, v3, v3
	v_max_f32_e32 v0, v0, v1
	v_cndmask_b32_e64 v1, 0, v1, s7
	v_cndmask_b32_e64 v3, v3, v0, s7
	ds_write_b32 v2, v1
	buffer_store_dword v3, off, s[0:3], s32 offset:404 ; 4-byte Folded Spill
	s_branch .LBB288_11
.LBB288_1044:
	s_or_b32 exec_lo, exec_lo, s24
	s_clause 0x11
	buffer_load_dword v19, off, s[0:3], s32 offset:432
	buffer_load_dword v15, off, s[0:3], s32 offset:456
	;; [unrolled: 1-line block ×18, first 2 shown]
.LBB288_1045:
	s_or_b32 exec_lo, exec_lo, s23
	v_mbcnt_lo_u32_b32 v6, -1, 0
	s_waitcnt vmcnt(0)
	v_max_f32_e32 v2, v12, v12
	v_and_b32_e32 v35, 31, v19
	s_waitcnt lgkmcnt(0)
	s_lshr_b32 s13, s13, 16
	v_xor_b32_e32 v0, 16, v6
	v_xor_b32_e32 v1, 8, v6
	v_cmp_gt_i32_e32 vcc_lo, 32, v0
	v_cndmask_b32_e32 v0, v6, v0, vcc_lo
	v_cmp_gt_i32_e32 vcc_lo, 32, v1
	v_lshlrev_b32_e32 v3, 2, v0
	v_cndmask_b32_e32 v1, v6, v1, vcc_lo
	ds_bpermute_b32 v0, v3, v12
	v_lshlrev_b32_e32 v4, 2, v1
	s_waitcnt lgkmcnt(0)
	v_max_f32_e32 v0, v0, v0
	v_max_f32_e32 v0, v2, v0
	v_xor_b32_e32 v2, 4, v6
	ds_bpermute_b32 v1, v4, v0
	v_cmp_gt_i32_e32 vcc_lo, 32, v2
	v_cndmask_b32_e32 v2, v6, v2, vcc_lo
	v_lshlrev_b32_e32 v5, 2, v2
	v_xor_b32_e32 v2, 2, v6
	v_cmp_gt_i32_e32 vcc_lo, 32, v2
	s_waitcnt lgkmcnt(0)
	v_max_f32_e32 v1, v1, v1
	v_cndmask_b32_e32 v2, v6, v2, vcc_lo
	buffer_load_dword v6, off, s[0:3], s32 offset:436 ; 4-byte Folded Reload
	v_cmp_eq_u32_e32 vcc_lo, 0, v35
	v_max_f32_e32 v0, v0, v1
	v_lshlrev_b32_e32 v2, 2, v2
	ds_bpermute_b32 v1, v5, v0
	s_waitcnt lgkmcnt(0)
	v_max_f32_e32 v1, v1, v1
	v_max_f32_e32 v0, v0, v1
	ds_bpermute_b32 v1, v2, v0
	s_waitcnt vmcnt(0)
	v_lshlrev_b32_e32 v6, 2, v6
	s_and_saveexec_b32 s6, vcc_lo
	s_cbranch_execz .LBB288_1047
; %bb.1046:
	s_waitcnt lgkmcnt(0)
	v_max_f32_e32 v1, v1, v1
	v_max_f32_e32 v0, v0, v0
	;; [unrolled: 1-line block ×3, first 2 shown]
	ds_write_b32 v6, v0 offset:512
.LBB288_1047:
	s_or_b32 exec_lo, exec_lo, s6
	v_cmp_gt_u32_e64 s6, 4, v35
	v_mov_b32_e32 v0, 0xff7fffff
	v_lshlrev_b32_e32 v7, 2, v35
	s_waitcnt lgkmcnt(0)
	s_waitcnt_vscnt null, 0x0
	s_barrier
	buffer_gl0_inv
	s_and_saveexec_b32 s7, s6
; %bb.1048:
	ds_read_b32 v0, v7 offset:512
; %bb.1049:
	s_or_b32 exec_lo, exec_lo, s7
	v_mbcnt_lo_u32_b32 v9, -1, 0
	s_waitcnt lgkmcnt(0)
	ds_bpermute_b32 v1, v2, v0
	v_max_f32_e32 v0, v0, v0
	v_xor_b32_e32 v8, 1, v9
	v_cmp_gt_i32_e64 s7, 32, v8
	v_cndmask_b32_e64 v8, v9, v8, s7
	v_lshlrev_b32_e32 v20, 2, v8
	buffer_load_dword v8, off, s[0:3], s32 offset:240 ; 4-byte Folded Reload
	s_waitcnt lgkmcnt(0)
	v_max_f32_e32 v1, v1, v1
	v_max_f32_e32 v0, v0, v1
	ds_bpermute_b32 v1, v20, v0
	s_waitcnt lgkmcnt(0)
	v_max_f32_e32 v1, v1, v1
	v_max_f32_e32 v0, v0, v1
	s_waitcnt vmcnt(0)
	v_subrev_nc_u32_e32 v9, s11, v8
	v_mov_b32_e32 v8, 0
	v_lshl_add_u32 v1, v9, 4, s22
	ds_bpermute_b32 v0, v8, v0
	v_min_i32_e32 v1, v1, v38
	v_subrev_nc_u32_e32 v1, s22, v1
	v_cmp_lt_i32_e64 s7, v19, v1
	s_and_saveexec_b32 s11, s7
	s_cbranch_execz .LBB288_1053
; %bb.1050:
	s_getpc_b64 s[20:21]
	s_add_u32 s20, s20, llvm.amdgcn.dynlds.offset.table@rel32@lo+4
	s_addc_u32 s21, s21, llvm.amdgcn.dynlds.offset.table@rel32@hi+12
	s_ashr_i32 s17, s16, 31
	v_mov_b32_e32 v8, 0
	s_lshl_b64 s[22:23], s[16:17], 2
	v_mov_b32_e32 v10, v19
	s_add_u32 s20, s20, s22
	s_addc_u32 s21, s21, s23
	s_mov_b32 s17, 0
	s_load_dword s8, s[20:21], 0x0
	s_waitcnt lgkmcnt(0)
	v_lshl_add_u32 v9, v19, 2, s8
	.p2align	6
.LBB288_1051:                           ; =>This Inner Loop Header: Depth=1
	ds_read_b32 v12, v9
	v_add_nc_u32_e32 v10, 0x80, v10
	v_cmp_ge_i32_e64 s8, v10, v1
	s_or_b32 s17, s8, s17
	s_waitcnt lgkmcnt(0)
	v_sub_f32_e32 v12, v12, v0
	v_mul_f32_e32 v12, 0x3fb8aa3b, v12
	v_exp_f32_e32 v12, v12
	ds_write_b32 v9, v12
	v_add_f32_e32 v8, v8, v12
	v_add_nc_u32_e32 v9, 0x200, v9
	s_andn2_b32 exec_lo, exec_lo, s17
	s_cbranch_execnz .LBB288_1051
; %bb.1052:
	s_or_b32 exec_lo, exec_lo, s17
.LBB288_1053:
	s_or_b32 exec_lo, exec_lo, s11
	ds_bpermute_b32 v3, v3, v8
	s_waitcnt lgkmcnt(0)
	v_add_f32_e32 v3, v8, v3
	ds_bpermute_b32 v4, v4, v3
	s_waitcnt lgkmcnt(0)
	v_add_f32_e32 v3, v3, v4
	;; [unrolled: 3-line block ×5, first 2 shown]
	s_and_saveexec_b32 s8, vcc_lo
; %bb.1054:
	ds_write_b32 v6, v3 offset:528
; %bb.1055:
	s_or_b32 exec_lo, exec_lo, s8
	s_waitcnt lgkmcnt(0)
	s_barrier
	buffer_gl0_inv
	s_and_saveexec_b32 s8, s6
; %bb.1056:
	ds_read_b32 v3, v7 offset:528
; %bb.1057:
	s_or_b32 exec_lo, exec_lo, s8
	s_waitcnt lgkmcnt(0)
	ds_bpermute_b32 v2, v2, v3
	s_waitcnt lgkmcnt(0)
	v_add_f32_e32 v2, v3, v2
	ds_bpermute_b32 v3, v20, v2
	s_waitcnt lgkmcnt(0)
	v_add_f32_e32 v2, v2, v3
	v_mov_b32_e32 v3, 0
	ds_bpermute_b32 v2, v3, v2
	s_and_saveexec_b32 s6, s7
	s_cbranch_execz .LBB288_1060
; %bb.1058:
	s_waitcnt lgkmcnt(0)
	v_add_f32_e32 v4, 0x358637bd, v2
	s_getpc_b64 s[20:21]
	s_add_u32 s20, s20, llvm.amdgcn.dynlds.offset.table@rel32@lo+4
	s_addc_u32 s21, s21, llvm.amdgcn.dynlds.offset.table@rel32@hi+12
	s_ashr_i32 s17, s16, 31
	s_lshl_b64 s[22:23], s[16:17], 2
	v_div_scale_f32 v3, null, v4, v4, 1.0
	v_div_scale_f32 v7, vcc_lo, 1.0, v4, 1.0
	s_add_u32 s20, s20, s22
	v_rcp_f32_e32 v5, v3
	s_addc_u32 s21, s21, s23
	s_load_dword s7, s[20:21], 0x0
	v_fma_f32 v6, -v3, v5, 1.0
	v_fmac_f32_e32 v5, v6, v5
	v_mul_f32_e32 v6, v7, v5
	v_fma_f32 v8, -v3, v6, v7
	v_fmac_f32_e32 v6, v8, v5
	v_fma_f32 v3, -v3, v6, v7
	v_div_fmas_f32 v5, v3, v5, v6
	s_waitcnt lgkmcnt(0)
	v_lshl_add_u32 v3, v19, 2, s7
	s_mov_b32 s7, 0
	v_div_fixup_f32 v4, v5, v4, 1.0
	v_mov_b32_e32 v5, v19
.LBB288_1059:                           ; =>This Inner Loop Header: Depth=1
	ds_read_b32 v6, v3
	v_add_nc_u32_e32 v5, 0x80, v5
	v_cmp_ge_i32_e32 vcc_lo, v5, v1
	s_or_b32 s7, vcc_lo, s7
	s_waitcnt lgkmcnt(0)
	v_mul_f32_e32 v6, v4, v6
	ds_write_b32 v3, v6
	v_add_nc_u32_e32 v3, 0x200, v3
	s_andn2_b32 exec_lo, exec_lo, s7
	s_cbranch_execnz .LBB288_1059
.LBB288_1060:
	s_or_b32 exec_lo, exec_lo, s6
	s_and_b32 s6, 0xffff, s13
	s_mov_b32 s8, exec_lo
	s_cmp_lg_u32 s6, 0
	s_waitcnt lgkmcnt(0)
	s_cselect_b32 s6, -1, 0
	s_barrier
	s_cmp_lg_u32 s6, 0
	buffer_gl0_inv
	s_addc_u32 s11, s9, 0
	s_mul_i32 s6, s11, s18
	s_mul_i32 s6, s6, s15
	v_cmpx_eq_u32_e32 0, v19
	s_cbranch_execz .LBB288_1062
; %bb.1061:
	s_ashr_i32 s7, s6, 31
	s_mul_i32 s12, s11, s12
	s_lshl_b64 s[20:21], s[6:7], 2
	s_ashr_i32 s13, s12, 31
	v_add_co_u32 v1, vcc_lo, v27, s20
	v_add_co_ci_u32_e64 v3, null, s21, v26, vcc_lo
	s_lshl_b64 s[12:13], s[12:13], 2
	s_ashr_i32 s15, s14, 31
	v_add_co_u32 v1, vcc_lo, v1, s12
	v_add_co_ci_u32_e64 v4, null, s13, v3, vcc_lo
	v_add_co_u32 v3, vcc_lo, v25, s20
	v_add_co_ci_u32_e64 v5, null, s21, v24, vcc_lo
	s_lshl_b64 s[20:21], s[14:15], 2
	v_add_co_u32 v6, vcc_lo, v3, s12
	v_add_co_ci_u32_e64 v7, null, s13, v5, vcc_lo
	v_add_co_u32 v3, vcc_lo, v1, s20
	v_add_co_ci_u32_e64 v4, null, s21, v4, vcc_lo
	;; [unrolled: 2-line block ×3, first 2 shown]
	flat_store_dword v[3:4], v0
	flat_store_dword v[5:6], v2
.LBB288_1062:
	s_or_b32 exec_lo, exec_lo, s8
	s_getpc_b64 s[8:9]
	s_add_u32 s8, s8, llvm.amdgcn.dynlds.offset.table@rel32@lo+4
	s_addc_u32 s9, s9, llvm.amdgcn.dynlds.offset.table@rel32@hi+12
	s_ashr_i32 s17, s16, 31
	v_mov_b32_e32 v70, 0
	s_lshl_b64 s[12:13], s[16:17], 2
	v_mov_b32_e32 v71, 0
	s_add_u32 s8, s8, s12
	s_addc_u32 s9, s9, s13
	v_mov_b32_e32 v69, 0
	s_load_dword s12, s[8:9], 0x0
	v_mov_b32_e32 v68, 0
	v_mov_b32_e32 v67, 0
	;; [unrolled: 1-line block ×13, first 2 shown]
	s_waitcnt lgkmcnt(0)
	v_mov_b32_e32 v16, s12
	s_and_saveexec_b32 s7, s5
	s_cbranch_execz .LBB288_2124
; %bb.1063:
	s_clause 0x2
	buffer_load_dword v4, off, s[0:3], s32 offset:216
	buffer_load_dword v5, off, s[0:3], s32 offset:220
	;; [unrolled: 1-line block ×3, first 2 shown]
	v_add_co_u32 v2, vcc_lo, v22, v13
	v_and_b32_e32 v6, 0xf8, v36
	v_add_co_ci_u32_e64 v3, null, v11, v37, vcc_lo
	v_max_i32_e32 v30, v30, v18
	v_and_b32_e32 v55, 8, v36
	v_add_co_u32 v2, vcc_lo, v2, v6
	v_add_co_ci_u32_e64 v3, null, 0, v3, vcc_lo
	v_cvt_f32_u32_e32 v0, v30
	v_sub_nc_u32_e32 v8, 0, v30
	v_add_nc_u32_e32 v53, -1, v17
	v_mov_b32_e32 v1, 0
	v_mov_b32_e32 v17, 0x80
	v_rcp_iflag_f32_e32 v0, v0
	v_mov_b32_e32 v54, 0x7f
	v_mov_b32_e32 v64, 7
	;; [unrolled: 1-line block ×9, first 2 shown]
	v_mul_f32_e32 v0, 0x4f7ffffe, v0
	v_mov_b32_e32 v32, 0
	v_mov_b32_e32 v33, 0
	;; [unrolled: 1-line block ×4, first 2 shown]
	v_cvt_u32_f32_e32 v0, v0
	v_mov_b32_e32 v23, 0
	v_mov_b32_e32 v67, 0
	;; [unrolled: 1-line block ×4, first 2 shown]
	v_mul_lo_u32 v8, v8, v0
	v_mov_b32_e32 v71, 0
	v_mov_b32_e32 v70, 0
	s_mov_b32 s15, 0
	v_mul_hi_u32 v9, v0, v8
	s_waitcnt vmcnt(1)
	v_lshlrev_b64 v[4:5], 2, v[4:5]
	s_waitcnt vmcnt(0)
	v_and_b32_e32 v7, 1, v7
	v_lshlrev_b32_e32 v6, 5, v7
	buffer_load_dword v7, off, s[0:3], s32 offset:436 ; 4-byte Folded Reload
	v_add_co_u32 v4, vcc_lo, v48, v4
	v_add_co_ci_u32_e64 v5, null, v49, v5, vcc_lo
	s_waitcnt vmcnt(0)
	v_lshl_or_b32 v6, v7, 6, v6
	v_add_co_u32 v7, vcc_lo, v14, v4
	v_add_co_ci_u32_e64 v8, null, v15, v5, vcc_lo
	v_add_nc_u32_e32 v14, s12, v6
	v_add_nc_u32_e32 v15, v0, v9
	s_mov_b32 s12, -1
	s_mov_b32 s13, 0xffffff
	s_branch .LBB288_1066
.LBB288_1064:                           ;   in Loop: Header=BB288_1066 Depth=1
	s_or_b32 exec_lo, exec_lo, s5
	v_add_f32_e32 v6, v6, v13
	v_add_f32_e32 v4, v4, v5
	;; [unrolled: 1-line block ×8, first 2 shown]
	;;#ASMSTART
	v_pk_mul_f16 v5, v85, v103;

	;;#ASMEND
	v_add_f32_e32 v18, v49, v50
	v_add_f32_e32 v26, v37, v48
	;; [unrolled: 1-line block ×3, first 2 shown]
	;;#ASMSTART
	v_pk_mul_f16 v6, v84, v10;

	;;#ASMEND
	;;#ASMSTART
	v_pk_mul_f16 v9, v83, v9;

	;;#ASMEND
	;; [unrolled: 4-line block ×3, first 2 shown]
	;;#ASMSTART
	v_pk_add_f16 v5, v5, v6;

	;;#ASMEND
	;;#ASMSTART
	v_pk_add_f16 v5, v5, v9;

	;;#ASMEND
	;; [unrolled: 4-line block ×3, first 2 shown]
	v_and_b32_e32 v9, 0xffff, v0
	v_lshrrev_b32_e32 v10, 16, v0
	;;#ASMSTART
	v_cvt_f32_f16 v9, v9;
	;;#ASMEND
	v_add_f32_e32 v22, v22, v36
	v_add_f32_e32 v24, v24, v11
	;; [unrolled: 1-line block ×10, first 2 shown]
	;;#ASMSTART
	v_cvt_f32_f16 v10, v10;
	;;#ASMEND
	v_add_f32_e32 v9, v9, v10
	v_add_f32_e32 v28, v28, v18
	;; [unrolled: 1-line block ×11, first 2 shown]
.LBB288_1065:                           ;   in Loop: Header=BB288_1066 Depth=1
	s_or_b32 exec_lo, exec_lo, s16
	s_clause 0x1
	buffer_load_dword v4, off, s[0:3], s32 offset:216
	buffer_load_dword v5, off, s[0:3], s32 offset:220
	v_add_co_u32 v7, s5, v7, 16
	v_add_co_ci_u32_e64 v8, null, 0, v8, s5
	v_add_nc_u32_e32 v66, 64, v66
	v_add_nc_u32_e32 v14, 0x100, v14
	s_waitcnt vmcnt(1)
	v_add_nc_u32_e32 v4, 4, v4
	v_mov_b32_e32 v0, v4
	buffer_store_dword v0, off, s[0:3], s32 offset:216 ; 4-byte Folded Spill
	buffer_store_dword v1, off, s[0:3], s32 offset:220 ; 4-byte Folded Spill
	buffer_load_dword v0, off, s[0:3], s32 offset:240 ; 4-byte Folded Reload
	s_waitcnt vmcnt(0)
	v_cmp_ge_i32_e32 vcc_lo, v4, v0
	s_or_b32 s15, vcc_lo, s15
	s_andn2_b32 exec_lo, exec_lo, s15
	s_cbranch_execz .LBB288_2123
.LBB288_1066:                           ; =>This Inner Loop Header: Depth=1
	s_clause 0x2
	buffer_load_dword v4, off, s[0:3], s32 offset:244
	buffer_load_dword v9, off, s[0:3], s32 offset:224
	;; [unrolled: 1-line block ×3, first 2 shown]
	v_sub_nc_u32_e32 v0, 0, v66
	v_max_i32_e32 v0, v66, v0
	s_waitcnt vmcnt(2)
	v_mul_hi_u32 v4, v0, v4
	s_waitcnt vmcnt(1)
	v_mul_lo_u32 v5, v4, v9
	v_sub_nc_u32_e32 v0, v0, v5
	v_add_nc_u32_e32 v5, 1, v4
	v_sub_nc_u32_e32 v6, v0, v9
	v_cmp_ge_u32_e32 vcc_lo, v0, v9
	v_cndmask_b32_e32 v4, v4, v5, vcc_lo
	v_cndmask_b32_e32 v0, v0, v6, vcc_lo
	v_ashrrev_i32_e32 v5, 31, v66
	v_add_nc_u32_e32 v6, 1, v4
	v_cmp_ge_u32_e32 vcc_lo, v0, v9
	s_waitcnt vmcnt(0)
	v_xor_b32_e32 v5, v5, v10
	v_cndmask_b32_e32 v0, v4, v6, vcc_lo
	v_xor_b32_e32 v0, v0, v5
	v_sub_nc_u32_e32 v0, v0, v5
	s_clause 0x1
	buffer_load_dword v4, off, s[0:3], s32 offset:228
	buffer_load_dword v5, off, s[0:3], s32 offset:232
	s_waitcnt vmcnt(1)
	v_add_nc_u32_e32 v4, v0, v4
	s_waitcnt vmcnt(0)
	v_sub_nc_u32_e32 v5, 0, v4
	v_max_i32_e32 v5, v4, v5
	v_ashrrev_i32_e32 v4, 31, v4
	v_mul_hi_u32 v6, v5, v15
	v_mul_lo_u32 v6, v6, v30
	v_sub_nc_u32_e32 v5, v5, v6
	v_sub_nc_u32_e32 v6, v5, v30
	v_cmp_ge_u32_e32 vcc_lo, v5, v30
	v_cndmask_b32_e32 v5, v5, v6, vcc_lo
	v_sub_nc_u32_e32 v6, v5, v30
	v_cmp_ge_u32_e32 vcc_lo, v5, v30
	v_cndmask_b32_e32 v5, v5, v6, vcc_lo
	v_xor_b32_e32 v5, v5, v4
	v_sub_nc_u32_e32 v4, v5, v4
	v_cmp_eq_u32_e32 vcc_lo, 0, v4
	buffer_load_dword v4, off, s[0:3], s32 offset:248 ; 4-byte Folded Reload
	s_waitcnt vmcnt(0)
	v_cmp_gt_i32_e64 s5, v0, v4
	s_or_b32 s5, vcc_lo, s5
	s_and_saveexec_b32 s16, s5
	s_cbranch_execz .LBB288_1065
; %bb.1067:                             ;   in Loop: Header=BB288_1066 Depth=1
	flat_load_dword v0, v[7:8]
	ds_read2_b64 v[10:13], v14 offset1:1
	ds_read2_b64 v[48:51], v14 offset0:2 offset1:3
	v_mov_b32_e32 v39, 0
	s_waitcnt lgkmcnt(1)
	;;#ASMSTART
	v_cvt_f16_f32 v4, v10;

	;;#ASMEND
	buffer_load_dword v5, off, s[0:3], s32 offset:320 ; 4-byte Folded Reload
	s_waitcnt vmcnt(0)
	v_mad_i64_i32 v[9:10], null, v0, v5, v[2:3]
	;;#ASMSTART
	v_cvt_f16_f32 v5, v11;

	;;#ASMEND
	;;#ASMSTART
	v_cvt_f16_f32 v19, v12;

	;;#ASMEND
	;; [unrolled: 4-line block ×3, first 2 shown]
	s_waitcnt lgkmcnt(0)
	;;#ASMSTART
	v_cvt_f16_f32 v22, v48;

	;;#ASMEND
	;;#ASMSTART
	v_cvt_f16_f32 v13, v49;

	;;#ASMEND
	;; [unrolled: 4-line block ×4, first 2 shown]
	flat_load_dwordx2 v[11:12], v[9:10]
	s_clause 0x1
	buffer_load_dword v26, off, s[0:3], s32 offset:200
	buffer_load_dword v27, off, s[0:3], s32 offset:204
	v_mov_b32_e32 v48, 0
	s_waitcnt vmcnt(2) lgkmcnt(0)
	v_cmp_ne_u16_sdwa s17, v11, v1 src0_sel:BYTE_0 src1_sel:DWORD
	s_waitcnt vmcnt(0)
	flat_load_dword v37, v[26:27]
	s_and_saveexec_b32 s5, s17
	s_cbranch_execz .LBB288_1075
; %bb.1068:                             ;   in Loop: Header=BB288_1066 Depth=1
	v_cmp_ne_u16_sdwa s18, v11, v17 src0_sel:BYTE_0 src1_sel:DWORD
	v_mov_b32_e32 v48, 0x8000
	s_and_saveexec_b32 s17, s18
	s_cbranch_execz .LBB288_1074
; %bb.1069:                             ;   in Loop: Header=BB288_1066 Depth=1
	v_and_b32_e32 v49, 0x7f, v11
	v_mov_b32_e32 v48, 0x7c01
	s_mov_b32 s18, exec_lo
	v_cmpx_ne_u32_e32 0x7f, v49
	s_cbranch_execz .LBB288_1073
; %bb.1070:                             ;   in Loop: Header=BB288_1066 Depth=1
	v_and_b32_e32 v0, 7, v11
	v_lshrrev_b32_e32 v18, 3, v49
	s_mov_b32 s20, exec_lo
	v_cmpx_gt_u32_e32 8, v49
; %bb.1071:                             ;   in Loop: Header=BB288_1066 Depth=1
	v_ffbh_u32_e32 v0, v0
	v_min_u32_e32 v0, 32, v0
	v_subrev_nc_u32_e32 v18, 28, v0
	v_lshlrev_b64 v[48:49], v18, v[11:12]
	v_sub_nc_u32_e32 v18, 29, v0
	v_and_b32_e32 v0, 7, v48
; %bb.1072:                             ;   in Loop: Header=BB288_1066 Depth=1
	s_or_b32 exec_lo, exec_lo, s20
	v_lshlrev_b32_e32 v26, 8, v11
	v_lshl_add_u32 v18, v18, 10, 0x2000
	v_lshlrev_b32_e32 v0, 7, v0
	v_and_b32_e32 v26, 0x8000, v26
	v_and_b32_e32 v18, 0xfc00, v18
	v_or3_b32 v48, v26, v18, v0
.LBB288_1073:                           ;   in Loop: Header=BB288_1066 Depth=1
	s_or_b32 exec_lo, exec_lo, s18
.LBB288_1074:                           ;   in Loop: Header=BB288_1066 Depth=1
	s_or_b32 exec_lo, exec_lo, s17
.LBB288_1075:                           ;   in Loop: Header=BB288_1066 Depth=1
	s_or_b32 exec_lo, exec_lo, s5
	v_lshrrev_b16 v0, 8, v11
	s_mov_b32 s5, exec_lo
	v_cmpx_ne_u16_e32 0, v0
	s_cbranch_execz .LBB288_1083
; %bb.1076:                             ;   in Loop: Header=BB288_1066 Depth=1
	v_bfrev_b32_e32 v39, 1
	s_mov_b32 s17, exec_lo
	v_cmpx_ne_u16_e32 0x80, v0
	s_cbranch_execz .LBB288_1082
; %bb.1077:                             ;   in Loop: Header=BB288_1066 Depth=1
	v_and_b32_sdwa v49, v0, v54 dst_sel:DWORD dst_unused:UNUSED_PAD src0_sel:WORD_0 src1_sel:DWORD
	v_mov_b32_e32 v39, 0x7c010000
	s_mov_b32 s18, exec_lo
	v_cmpx_ne_u32_e32 0x7f, v49
	s_cbranch_execz .LBB288_1081
; %bb.1078:                             ;   in Loop: Header=BB288_1066 Depth=1
	v_and_b32_sdwa v18, v0, v64 dst_sel:DWORD dst_unused:UNUSED_PAD src0_sel:WORD_0 src1_sel:DWORD
	v_lshrrev_b32_e32 v39, 3, v49
	s_mov_b32 s20, exec_lo
	v_cmpx_gt_u32_e32 8, v49
; %bb.1079:                             ;   in Loop: Header=BB288_1066 Depth=1
	v_ffbh_u32_e32 v18, v18
	v_min_u32_e32 v18, 32, v18
	v_subrev_nc_u32_e32 v26, 28, v18
	v_sub_nc_u32_e32 v39, 29, v18
	v_lshlrev_b64 v[49:50], v26, v[0:1]
	v_and_b32_e32 v18, 7, v49
; %bb.1080:                             ;   in Loop: Header=BB288_1066 Depth=1
	s_or_b32 exec_lo, exec_lo, s20
	v_lshlrev_b32_sdwa v0, v80, v0 dst_sel:DWORD dst_unused:UNUSED_PAD src0_sel:DWORD src1_sel:WORD_0
	v_lshl_add_u32 v26, v39, 10, 0x2000
	v_lshlrev_b32_e32 v18, 23, v18
	v_and_or_b32 v0, 0x8000, v0, v26
	v_lshl_or_b32 v39, v0, 16, v18
.LBB288_1081:                           ;   in Loop: Header=BB288_1066 Depth=1
	s_or_b32 exec_lo, exec_lo, s18
.LBB288_1082:                           ;   in Loop: Header=BB288_1066 Depth=1
	s_or_b32 exec_lo, exec_lo, s17
.LBB288_1083:                           ;   in Loop: Header=BB288_1066 Depth=1
	s_or_b32 exec_lo, exec_lo, s5
	v_lshrrev_b32_e32 v0, 16, v11
	v_mov_b32_e32 v49, 0
	v_mov_b32_e32 v18, 0
	v_cmp_ne_u16_sdwa s17, v0, v1 src0_sel:BYTE_0 src1_sel:DWORD
	s_and_saveexec_b32 s5, s17
	s_cbranch_execz .LBB288_1091
; %bb.1084:                             ;   in Loop: Header=BB288_1066 Depth=1
	v_cmp_ne_u16_sdwa s18, v0, v17 src0_sel:BYTE_0 src1_sel:DWORD
	v_mov_b32_e32 v18, 0x8000
	s_and_saveexec_b32 s17, s18
	s_cbranch_execz .LBB288_1090
; %bb.1085:                             ;   in Loop: Header=BB288_1066 Depth=1
	v_bfe_u32 v51, v11, 16, 7
	v_mov_b32_e32 v18, 0x7c01
	s_mov_b32 s18, exec_lo
	v_cmpx_ne_u32_e32 0x7f, v51
	s_cbranch_execz .LBB288_1089
; %bb.1086:                             ;   in Loop: Header=BB288_1066 Depth=1
	v_and_b32_e32 v18, 7, v0
	v_lshrrev_b32_e32 v50, 3, v51
	s_mov_b32 s20, exec_lo
	v_cmpx_gt_u32_e32 8, v51
; %bb.1087:                             ;   in Loop: Header=BB288_1066 Depth=1
	v_ffbh_u32_e32 v18, v18
	v_min_u32_e32 v18, 32, v18
	v_subrev_nc_u32_e32 v26, 28, v18
	v_sub_nc_u32_e32 v50, 29, v18
	v_lshlrev_b64 v[51:52], v26, v[0:1]
	v_and_b32_e32 v18, 7, v51
; %bb.1088:                             ;   in Loop: Header=BB288_1066 Depth=1
	s_or_b32 exec_lo, exec_lo, s20
	v_lshlrev_b32_e32 v0, 8, v0
	v_lshl_add_u32 v26, v50, 10, 0x2000
	v_lshlrev_b32_e32 v18, 7, v18
	v_and_b32_e32 v0, 0x8000, v0
	v_and_b32_e32 v26, 0xfc00, v26
	v_or3_b32 v18, v0, v26, v18
.LBB288_1089:                           ;   in Loop: Header=BB288_1066 Depth=1
	s_or_b32 exec_lo, exec_lo, s18
.LBB288_1090:                           ;   in Loop: Header=BB288_1066 Depth=1
	s_or_b32 exec_lo, exec_lo, s17
.LBB288_1091:                           ;   in Loop: Header=BB288_1066 Depth=1
	s_or_b32 exec_lo, exec_lo, s5
	s_mov_b32 s5, exec_lo
	v_cmpx_lt_u32_e32 0xffffff, v11
	s_cbranch_execz .LBB288_1099
; %bb.1092:                             ;   in Loop: Header=BB288_1066 Depth=1
	v_lshrrev_b32_e32 v0, 24, v11
	v_bfrev_b32_e32 v49, 1
	s_mov_b32 s17, exec_lo
	v_cmpx_ne_u32_e32 0x80, v0
	s_cbranch_execz .LBB288_1098
; %bb.1093:                             ;   in Loop: Header=BB288_1066 Depth=1
	v_and_b32_e32 v51, 0x7f, v0
	v_mov_b32_e32 v49, 0x7c010000
	s_mov_b32 s18, exec_lo
	v_cmpx_ne_u32_e32 0x7f, v51
	s_cbranch_execz .LBB288_1097
; %bb.1094:                             ;   in Loop: Header=BB288_1066 Depth=1
	v_and_b32_e32 v49, 7, v0
	v_lshrrev_b32_e32 v50, 3, v51
	s_mov_b32 s20, exec_lo
	v_cmpx_gt_u32_e32 8, v51
; %bb.1095:                             ;   in Loop: Header=BB288_1066 Depth=1
	v_ffbh_u32_e32 v26, v49
	v_min_u32_e32 v26, 32, v26
	v_subrev_nc_u32_e32 v27, 28, v26
	v_lshlrev_b64 v[49:50], v27, v[0:1]
	v_sub_nc_u32_e32 v50, 29, v26
	v_and_b32_e32 v49, 7, v49
; %bb.1096:                             ;   in Loop: Header=BB288_1066 Depth=1
	s_or_b32 exec_lo, exec_lo, s20
	v_lshlrev_b32_e32 v0, 8, v0
	v_lshl_add_u32 v26, v50, 10, 0x2000
	v_and_or_b32 v0, 0x8000, v0, v26
	v_lshlrev_b32_e32 v26, 23, v49
	v_lshl_or_b32 v49, v0, 16, v26
.LBB288_1097:                           ;   in Loop: Header=BB288_1066 Depth=1
	s_or_b32 exec_lo, exec_lo, s18
.LBB288_1098:                           ;   in Loop: Header=BB288_1066 Depth=1
	s_or_b32 exec_lo, exec_lo, s17
.LBB288_1099:                           ;   in Loop: Header=BB288_1066 Depth=1
	s_or_b32 exec_lo, exec_lo, s5
	v_mov_b32_e32 v0, v12
	v_cmp_ne_u16_sdwa s17, v12, v1 src0_sel:BYTE_0 src1_sel:DWORD
	v_mov_b32_e32 v50, 0
	v_mov_b32_e32 v51, 0
	s_and_saveexec_b32 s5, s17
	s_cbranch_execz .LBB288_1107
; %bb.1100:                             ;   in Loop: Header=BB288_1066 Depth=1
	v_cmp_ne_u16_sdwa s18, v12, v17 src0_sel:BYTE_0 src1_sel:DWORD
	v_mov_b32_e32 v51, 0x8000
	s_and_saveexec_b32 s17, s18
	s_cbranch_execz .LBB288_1106
; %bb.1101:                             ;   in Loop: Header=BB288_1066 Depth=1
	v_and_b32_e32 v81, 0x7f, v12
	v_mov_b32_e32 v51, 0x7c01
	s_mov_b32 s18, exec_lo
	v_cmpx_ne_u32_e32 0x7f, v81
	s_cbranch_execz .LBB288_1105
; %bb.1102:                             ;   in Loop: Header=BB288_1066 Depth=1
	v_and_b32_e32 v51, 7, v12
	v_lshrrev_b32_e32 v52, 3, v81
	s_mov_b32 s20, exec_lo
	v_cmpx_gt_u32_e32 8, v81
; %bb.1103:                             ;   in Loop: Header=BB288_1066 Depth=1
	v_ffbh_u32_e32 v26, v51
	v_min_u32_e32 v26, 32, v26
	v_subrev_nc_u32_e32 v27, 28, v26
	v_lshlrev_b64 v[51:52], v27, v[0:1]
	v_sub_nc_u32_e32 v52, 29, v26
	v_and_b32_e32 v51, 7, v51
; %bb.1104:                             ;   in Loop: Header=BB288_1066 Depth=1
	s_or_b32 exec_lo, exec_lo, s20
	v_lshlrev_b32_e32 v26, 8, v12
	v_lshl_add_u32 v27, v52, 10, 0x2000
	v_lshlrev_b32_e32 v51, 7, v51
	v_and_b32_e32 v26, 0x8000, v26
	v_and_b32_e32 v27, 0xfc00, v27
	v_or3_b32 v51, v26, v27, v51
.LBB288_1105:                           ;   in Loop: Header=BB288_1066 Depth=1
	s_or_b32 exec_lo, exec_lo, s18
.LBB288_1106:                           ;   in Loop: Header=BB288_1066 Depth=1
	s_or_b32 exec_lo, exec_lo, s17
.LBB288_1107:                           ;   in Loop: Header=BB288_1066 Depth=1
	s_or_b32 exec_lo, exec_lo, s5
	v_lshrrev_b16 v0, 8, v0
	v_mov_b32_e32 v52, 0
	s_mov_b32 s5, exec_lo
	v_cmpx_ne_u16_e32 0, v0
	s_cbranch_execz .LBB288_1115
; %bb.1108:                             ;   in Loop: Header=BB288_1066 Depth=1
	v_bfrev_b32_e32 v52, 1
	s_mov_b32 s17, exec_lo
	v_cmpx_ne_u16_e32 0x80, v0
	s_cbranch_execz .LBB288_1114
; %bb.1109:                             ;   in Loop: Header=BB288_1066 Depth=1
	v_and_b32_sdwa v82, v0, v54 dst_sel:DWORD dst_unused:UNUSED_PAD src0_sel:WORD_0 src1_sel:DWORD
	v_mov_b32_e32 v52, 0x7c010000
	s_mov_b32 s18, exec_lo
	v_cmpx_ne_u32_e32 0x7f, v82
	s_cbranch_execz .LBB288_1113
; %bb.1110:                             ;   in Loop: Header=BB288_1066 Depth=1
	v_and_b32_sdwa v52, v0, v64 dst_sel:DWORD dst_unused:UNUSED_PAD src0_sel:WORD_0 src1_sel:DWORD
	v_lshrrev_b32_e32 v81, 3, v82
	s_mov_b32 s20, exec_lo
	v_cmpx_gt_u32_e32 8, v82
; %bb.1111:                             ;   in Loop: Header=BB288_1066 Depth=1
	v_ffbh_u32_e32 v26, v52
	v_min_u32_e32 v26, 32, v26
	v_subrev_nc_u32_e32 v27, 28, v26
	v_sub_nc_u32_e32 v81, 29, v26
	v_lshlrev_b64 v[82:83], v27, v[0:1]
	v_and_b32_e32 v52, 7, v82
; %bb.1112:                             ;   in Loop: Header=BB288_1066 Depth=1
	s_or_b32 exec_lo, exec_lo, s20
	v_lshlrev_b32_sdwa v0, v80, v0 dst_sel:DWORD dst_unused:UNUSED_PAD src0_sel:DWORD src1_sel:WORD_0
	v_lshl_add_u32 v26, v81, 10, 0x2000
	v_and_or_b32 v0, 0x8000, v0, v26
	v_lshlrev_b32_e32 v26, 23, v52
	v_lshl_or_b32 v52, v0, 16, v26
.LBB288_1113:                           ;   in Loop: Header=BB288_1066 Depth=1
	s_or_b32 exec_lo, exec_lo, s18
.LBB288_1114:                           ;   in Loop: Header=BB288_1066 Depth=1
	s_or_b32 exec_lo, exec_lo, s17
.LBB288_1115:                           ;   in Loop: Header=BB288_1066 Depth=1
	s_or_b32 exec_lo, exec_lo, s5
	v_lshrrev_b32_e32 v0, 16, v12
	v_cmp_ne_u16_sdwa s17, v0, v1 src0_sel:BYTE_0 src1_sel:DWORD
	s_and_saveexec_b32 s5, s17
	s_cbranch_execz .LBB288_1123
; %bb.1116:                             ;   in Loop: Header=BB288_1066 Depth=1
	v_cmp_ne_u16_sdwa s18, v0, v17 src0_sel:BYTE_0 src1_sel:DWORD
	v_mov_b32_e32 v50, 0x8000
	s_and_saveexec_b32 s17, s18
	s_cbranch_execz .LBB288_1122
; %bb.1117:                             ;   in Loop: Header=BB288_1066 Depth=1
	v_bfe_u32 v82, v12, 16, 7
	v_mov_b32_e32 v50, 0x7c01
	s_mov_b32 s18, exec_lo
	v_cmpx_ne_u32_e32 0x7f, v82
	s_cbranch_execz .LBB288_1121
; %bb.1118:                             ;   in Loop: Header=BB288_1066 Depth=1
	v_and_b32_e32 v50, 7, v0
	v_lshrrev_b32_e32 v81, 3, v82
	s_mov_b32 s20, exec_lo
	v_cmpx_gt_u32_e32 8, v82
; %bb.1119:                             ;   in Loop: Header=BB288_1066 Depth=1
	v_ffbh_u32_e32 v26, v50
	v_min_u32_e32 v26, 32, v26
	v_subrev_nc_u32_e32 v27, 28, v26
	v_sub_nc_u32_e32 v81, 29, v26
	v_lshlrev_b64 v[82:83], v27, v[0:1]
	v_and_b32_e32 v50, 7, v82
; %bb.1120:                             ;   in Loop: Header=BB288_1066 Depth=1
	s_or_b32 exec_lo, exec_lo, s20
	v_lshlrev_b32_e32 v0, 8, v0
	v_lshl_add_u32 v26, v81, 10, 0x2000
	v_lshlrev_b32_e32 v27, 7, v50
	v_and_b32_e32 v0, 0x8000, v0
	v_and_b32_e32 v26, 0xfc00, v26
	v_or3_b32 v50, v0, v26, v27
.LBB288_1121:                           ;   in Loop: Header=BB288_1066 Depth=1
	s_or_b32 exec_lo, exec_lo, s18
.LBB288_1122:                           ;   in Loop: Header=BB288_1066 Depth=1
	s_or_b32 exec_lo, exec_lo, s17
.LBB288_1123:                           ;   in Loop: Header=BB288_1066 Depth=1
	s_or_b32 exec_lo, exec_lo, s5
	v_cmp_lt_u64_e32 vcc_lo, s[12:13], v[11:12]
	v_mov_b32_e32 v11, 0
	s_and_saveexec_b32 s5, vcc_lo
	s_cbranch_execz .LBB288_1131
; %bb.1124:                             ;   in Loop: Header=BB288_1066 Depth=1
	v_lshrrev_b32_e32 v0, 24, v12
	v_bfrev_b32_e32 v11, 1
	s_mov_b32 s17, exec_lo
	v_cmpx_ne_u32_e32 0x80, v0
	s_cbranch_execz .LBB288_1130
; %bb.1125:                             ;   in Loop: Header=BB288_1066 Depth=1
	v_and_b32_e32 v81, 0x7f, v0
	v_mov_b32_e32 v11, 0x7c010000
	s_mov_b32 s18, exec_lo
	v_cmpx_ne_u32_e32 0x7f, v81
	s_cbranch_execz .LBB288_1129
; %bb.1126:                             ;   in Loop: Header=BB288_1066 Depth=1
	v_and_b32_e32 v11, 7, v0
	v_lshrrev_b32_e32 v12, 3, v81
	s_mov_b32 s20, exec_lo
	v_cmpx_gt_u32_e32 8, v81
; %bb.1127:                             ;   in Loop: Header=BB288_1066 Depth=1
	v_ffbh_u32_e32 v11, v11
	v_min_u32_e32 v26, 32, v11
	v_subrev_nc_u32_e32 v11, 28, v26
	v_lshlrev_b64 v[11:12], v11, v[0:1]
	v_sub_nc_u32_e32 v12, 29, v26
	v_and_b32_e32 v11, 7, v11
; %bb.1128:                             ;   in Loop: Header=BB288_1066 Depth=1
	s_or_b32 exec_lo, exec_lo, s20
	v_lshlrev_b32_e32 v0, 8, v0
	v_lshl_add_u32 v12, v12, 10, 0x2000
	v_lshlrev_b32_e32 v11, 23, v11
	v_and_or_b32 v0, 0x8000, v0, v12
	v_lshl_or_b32 v11, v0, 16, v11
.LBB288_1129:                           ;   in Loop: Header=BB288_1066 Depth=1
	s_or_b32 exec_lo, exec_lo, s18
.LBB288_1130:                           ;   in Loop: Header=BB288_1066 Depth=1
	s_or_b32 exec_lo, exec_lo, s17
.LBB288_1131:                           ;   in Loop: Header=BB288_1066 Depth=1
	s_or_b32 exec_lo, exec_lo, s5
	v_or_b32_e32 v0, v49, v18
	v_or_b32_e32 v26, v39, v48
	s_waitcnt vmcnt(0) lgkmcnt(0)
	v_fma_mixlo_f16 v27, v37, v39, 0 op_sel:[0,1,0] op_sel_hi:[0,1,0]
	v_or_b32_e32 v39, v52, v51
	v_fma_mixlo_f16 v12, v37, v49, 0 op_sel:[0,1,0] op_sel_hi:[0,1,0]
	v_fma_mixlo_f16 v0, v37, v0, 0 op_sel_hi:[0,1,0]
	v_or_b32_e32 v48, v11, v50
	v_lshlrev_b32_e32 v81, 16, v27
	v_fma_mixlo_f16 v27, v37, v39, 0 op_sel_hi:[0,1,0]
	v_fma_mixlo_f16 v11, v37, v11, 0 op_sel:[0,1,0] op_sel_hi:[0,1,0]
	v_and_b32_e32 v49, 0xffff, v0
	v_fma_mixlo_f16 v0, v37, v26, 0 op_sel_hi:[0,1,0]
	v_fma_mixlo_f16 v26, v37, v52, 0 op_sel:[0,1,0] op_sel_hi:[0,1,0]
	v_and_b32_e32 v52, 0xffff, v27
	v_fma_mixlo_f16 v37, v37, v48, 0 op_sel_hi:[0,1,0]
	v_add_nc_u32_e32 v18, v55, v66
	v_lshlrev_b32_e32 v12, 16, v12
	v_lshlrev_b32_e32 v50, 16, v26
	s_clause 0x1
	buffer_load_dword v26, off, s[0:3], s32 offset:216
	buffer_load_dword v27, off, s[0:3], s32 offset:220
	v_and_b32_e32 v82, 0xffff, v0
	v_lshlrev_b32_e32 v39, 16, v11
	v_and_b32_e32 v51, 0xffff, v37
	v_or_b32_e32 v0, v12, v49
	v_or_b32_e32 v37, v50, v52
	;; [unrolled: 1-line block ×3, first 2 shown]
	v_add_nc_u32_e32 v100, 1, v18
	v_or_b32_e32 v48, v39, v51
	v_add_nc_u32_e32 v99, 2, v18
	v_add_nc_u32_e32 v98, 3, v18
	;; [unrolled: 1-line block ×6, first 2 shown]
	s_waitcnt vmcnt(1)
	v_cmp_eq_u32_e32 vcc_lo, v53, v26
	s_and_saveexec_b32 s17, vcc_lo
	s_cbranch_execz .LBB288_1133
; %bb.1132:                             ;   in Loop: Header=BB288_1066 Depth=1
	v_cmp_lt_i32_e64 s5, v18, v38
	v_cndmask_b32_e64 v0, 0, v82, s5
	v_cmp_lt_i32_e64 s5, v100, v38
	v_cndmask_b32_e64 v11, 0, v81, s5
	v_cmp_lt_i32_e64 s5, v99, v38
	v_or_b32_e32 v11, v0, v11
	v_cndmask_b32_e64 v26, 0, v49, s5
	v_cmp_lt_i32_e64 s5, v98, v38
	v_cndmask_b32_e64 v12, 0, v12, s5
	v_cmp_lt_i32_e64 s5, v97, v38
	v_or_b32_e32 v0, v26, v12
	s_waitcnt vmcnt(0)
	v_cndmask_b32_e64 v27, 0, v52, s5
	v_cmp_lt_i32_e64 s5, v96, v38
	v_cndmask_b32_e64 v37, 0, v50, s5
	v_cmp_lt_i32_e64 s5, v87, v38
	v_or_b32_e32 v37, v27, v37
	v_cndmask_b32_e64 v48, 0, v51, s5
	v_cmp_lt_i32_e64 s5, v86, v38
	v_cndmask_b32_e64 v39, 0, v39, s5
	v_or_b32_e32 v48, v48, v39
.LBB288_1133:                           ;   in Loop: Header=BB288_1066 Depth=1
	s_or_b32 exec_lo, exec_lo, s17
	v_and_b32_e32 v4, 0xffff, v4
	v_and_b32_e32 v12, 0xffff, v19
	;; [unrolled: 1-line block ×4, first 2 shown]
	v_lshl_or_b32 v85, v5, 16, v4
	v_lshl_or_b32 v84, v6, 16, v12
	;;#ASMSTART
	v_pk_mul_f16 v4, v85, v11;

	;;#ASMEND
	;;#ASMSTART
	v_pk_mul_f16 v0, v84, v0;

	;;#ASMEND
	v_lshl_or_b32 v83, v13, 16, v19
	v_lshl_or_b32 v82, v16, 16, v22
	;;#ASMSTART
	v_pk_mul_f16 v5, v83, v37;

	;;#ASMEND
	;;#ASMSTART
	v_pk_mul_f16 v6, v82, v48;

	;;#ASMEND
	;;#ASMSTART
	v_pk_add_f16 v0, v4, v0;

	;;#ASMEND
	;;#ASMSTART
	v_pk_add_f16 v0, v0, v5;
	;; [unrolled: 4-line block ×3, first 2 shown]

	;;#ASMEND
	v_and_b32_e32 v4, 0xffff, v0
	v_lshrrev_b32_e32 v0, 16, v0
	;;#ASMSTART
	v_cvt_f32_f16 v19, v4;
	;;#ASMEND
	;;#ASMSTART
	v_cvt_f32_f16 v81, v0;
	;;#ASMEND
	flat_load_dwordx2 v[11:12], v[9:10] offset:256
	s_clause 0x1
	buffer_load_dword v4, off, s[0:3], s32 offset:200
	buffer_load_dword v5, off, s[0:3], s32 offset:204
	v_mov_b32_e32 v6, 0
	s_waitcnt vmcnt(2) lgkmcnt(0)
	v_cmp_ne_u16_sdwa s5, v11, v1 src0_sel:BYTE_0 src1_sel:DWORD
	s_waitcnt vmcnt(0)
	flat_load_dword v4, v[4:5]
	v_mov_b32_e32 v5, 0
	s_and_saveexec_b32 s17, s5
	s_cbranch_execz .LBB288_1141
; %bb.1134:                             ;   in Loop: Header=BB288_1066 Depth=1
	v_cmp_ne_u16_sdwa s5, v11, v17 src0_sel:BYTE_0 src1_sel:DWORD
	v_mov_b32_e32 v6, 0x8000
	s_and_saveexec_b32 s18, s5
	s_cbranch_execz .LBB288_1140
; %bb.1135:                             ;   in Loop: Header=BB288_1066 Depth=1
	v_and_b32_e32 v13, 0x7f, v11
	v_mov_b32_e32 v6, 0x7c01
	s_mov_b32 s20, exec_lo
	v_cmpx_ne_u32_e32 0x7f, v13
	s_cbranch_execz .LBB288_1139
; %bb.1136:                             ;   in Loop: Header=BB288_1066 Depth=1
	v_and_b32_e32 v0, 7, v11
	v_lshrrev_b32_e32 v6, 3, v13
	s_mov_b32 s21, exec_lo
	v_cmpx_gt_u32_e32 8, v13
; %bb.1137:                             ;   in Loop: Header=BB288_1066 Depth=1
	v_ffbh_u32_e32 v0, v0
	v_min_u32_e32 v0, 32, v0
	v_subrev_nc_u32_e32 v6, 28, v0
	v_lshlrev_b64 v[36:37], v6, v[11:12]
	v_sub_nc_u32_e32 v6, 29, v0
	v_and_b32_e32 v0, 7, v36
; %bb.1138:                             ;   in Loop: Header=BB288_1066 Depth=1
	s_or_b32 exec_lo, exec_lo, s21
	v_lshlrev_b32_e32 v13, 8, v11
	v_lshl_add_u32 v6, v6, 10, 0x2000
	v_lshlrev_b32_e32 v0, 7, v0
	v_and_b32_e32 v13, 0x8000, v13
	v_and_b32_e32 v6, 0xfc00, v6
	v_or3_b32 v6, v13, v6, v0
.LBB288_1139:                           ;   in Loop: Header=BB288_1066 Depth=1
	s_or_b32 exec_lo, exec_lo, s20
.LBB288_1140:                           ;   in Loop: Header=BB288_1066 Depth=1
	s_or_b32 exec_lo, exec_lo, s18
.LBB288_1141:                           ;   in Loop: Header=BB288_1066 Depth=1
	s_or_b32 exec_lo, exec_lo, s17
	v_lshrrev_b16 v0, 8, v11
	s_mov_b32 s17, exec_lo
	v_cmpx_ne_u16_e32 0, v0
	s_cbranch_execz .LBB288_1149
; %bb.1142:                             ;   in Loop: Header=BB288_1066 Depth=1
	v_bfrev_b32_e32 v5, 1
	s_mov_b32 s18, exec_lo
	v_cmpx_ne_u16_e32 0x80, v0
	s_cbranch_execz .LBB288_1148
; %bb.1143:                             ;   in Loop: Header=BB288_1066 Depth=1
	v_and_b32_sdwa v16, v0, v54 dst_sel:DWORD dst_unused:UNUSED_PAD src0_sel:WORD_0 src1_sel:DWORD
	v_mov_b32_e32 v5, 0x7c010000
	s_mov_b32 s20, exec_lo
	v_cmpx_ne_u32_e32 0x7f, v16
	s_cbranch_execz .LBB288_1147
; %bb.1144:                             ;   in Loop: Header=BB288_1066 Depth=1
	v_and_b32_sdwa v5, v0, v64 dst_sel:DWORD dst_unused:UNUSED_PAD src0_sel:WORD_0 src1_sel:DWORD
	v_lshrrev_b32_e32 v13, 3, v16
	s_mov_b32 s21, exec_lo
	v_cmpx_gt_u32_e32 8, v16
; %bb.1145:                             ;   in Loop: Header=BB288_1066 Depth=1
	v_ffbh_u32_e32 v5, v5
	v_min_u32_e32 v5, 32, v5
	v_subrev_nc_u32_e32 v13, 28, v5
	v_lshlrev_b64 v[36:37], v13, v[0:1]
	v_sub_nc_u32_e32 v13, 29, v5
	v_and_b32_e32 v5, 7, v36
; %bb.1146:                             ;   in Loop: Header=BB288_1066 Depth=1
	s_or_b32 exec_lo, exec_lo, s21
	v_lshlrev_b32_sdwa v0, v80, v0 dst_sel:DWORD dst_unused:UNUSED_PAD src0_sel:DWORD src1_sel:WORD_0
	v_lshl_add_u32 v13, v13, 10, 0x2000
	v_lshlrev_b32_e32 v5, 23, v5
	v_and_or_b32 v0, 0x8000, v0, v13
	v_lshl_or_b32 v5, v0, 16, v5
.LBB288_1147:                           ;   in Loop: Header=BB288_1066 Depth=1
	s_or_b32 exec_lo, exec_lo, s20
.LBB288_1148:                           ;   in Loop: Header=BB288_1066 Depth=1
	s_or_b32 exec_lo, exec_lo, s18
.LBB288_1149:                           ;   in Loop: Header=BB288_1066 Depth=1
	s_or_b32 exec_lo, exec_lo, s17
	v_lshrrev_b32_e32 v0, 16, v11
	v_mov_b32_e32 v13, 0
	v_mov_b32_e32 v16, 0
	v_cmp_ne_u16_sdwa s5, v0, v1 src0_sel:BYTE_0 src1_sel:DWORD
	s_and_saveexec_b32 s17, s5
	s_cbranch_execz .LBB288_1157
; %bb.1150:                             ;   in Loop: Header=BB288_1066 Depth=1
	v_cmp_ne_u16_sdwa s5, v0, v17 src0_sel:BYTE_0 src1_sel:DWORD
	v_mov_b32_e32 v16, 0x8000
	s_and_saveexec_b32 s18, s5
	s_cbranch_execz .LBB288_1156
; %bb.1151:                             ;   in Loop: Header=BB288_1066 Depth=1
	v_bfe_u32 v36, v11, 16, 7
	v_mov_b32_e32 v16, 0x7c01
	s_mov_b32 s20, exec_lo
	v_cmpx_ne_u32_e32 0x7f, v36
	s_cbranch_execz .LBB288_1155
; %bb.1152:                             ;   in Loop: Header=BB288_1066 Depth=1
	v_and_b32_e32 v16, 7, v0
	v_lshrrev_b32_e32 v22, 3, v36
	s_mov_b32 s21, exec_lo
	v_cmpx_gt_u32_e32 8, v36
; %bb.1153:                             ;   in Loop: Header=BB288_1066 Depth=1
	v_ffbh_u32_e32 v16, v16
	v_min_u32_e32 v16, 32, v16
	v_subrev_nc_u32_e32 v22, 28, v16
	v_lshlrev_b64 v[36:37], v22, v[0:1]
	v_sub_nc_u32_e32 v22, 29, v16
	v_and_b32_e32 v16, 7, v36
; %bb.1154:                             ;   in Loop: Header=BB288_1066 Depth=1
	s_or_b32 exec_lo, exec_lo, s21
	v_lshlrev_b32_e32 v0, 8, v0
	v_lshl_add_u32 v22, v22, 10, 0x2000
	v_lshlrev_b32_e32 v16, 7, v16
	v_and_b32_e32 v0, 0x8000, v0
	v_and_b32_e32 v22, 0xfc00, v22
	v_or3_b32 v16, v0, v22, v16
.LBB288_1155:                           ;   in Loop: Header=BB288_1066 Depth=1
	s_or_b32 exec_lo, exec_lo, s20
.LBB288_1156:                           ;   in Loop: Header=BB288_1066 Depth=1
	s_or_b32 exec_lo, exec_lo, s18
.LBB288_1157:                           ;   in Loop: Header=BB288_1066 Depth=1
	s_or_b32 exec_lo, exec_lo, s17
	s_mov_b32 s17, exec_lo
	v_cmpx_lt_u32_e32 0xffffff, v11
	s_cbranch_execz .LBB288_1165
; %bb.1158:                             ;   in Loop: Header=BB288_1066 Depth=1
	v_lshrrev_b32_e32 v0, 24, v11
	v_bfrev_b32_e32 v13, 1
	s_mov_b32 s18, exec_lo
	v_cmpx_ne_u32_e32 0x80, v0
	s_cbranch_execz .LBB288_1164
; %bb.1159:                             ;   in Loop: Header=BB288_1066 Depth=1
	v_and_b32_e32 v36, 0x7f, v0
	v_mov_b32_e32 v13, 0x7c010000
	s_mov_b32 s20, exec_lo
	v_cmpx_ne_u32_e32 0x7f, v36
	s_cbranch_execz .LBB288_1163
; %bb.1160:                             ;   in Loop: Header=BB288_1066 Depth=1
	v_and_b32_e32 v13, 7, v0
	v_lshrrev_b32_e32 v22, 3, v36
	s_mov_b32 s21, exec_lo
	v_cmpx_gt_u32_e32 8, v36
; %bb.1161:                             ;   in Loop: Header=BB288_1066 Depth=1
	v_ffbh_u32_e32 v13, v13
	v_min_u32_e32 v13, 32, v13
	v_subrev_nc_u32_e32 v22, 28, v13
	v_lshlrev_b64 v[36:37], v22, v[0:1]
	v_sub_nc_u32_e32 v22, 29, v13
	v_and_b32_e32 v13, 7, v36
; %bb.1162:                             ;   in Loop: Header=BB288_1066 Depth=1
	s_or_b32 exec_lo, exec_lo, s21
	v_lshlrev_b32_e32 v0, 8, v0
	v_lshl_add_u32 v22, v22, 10, 0x2000
	v_lshlrev_b32_e32 v13, 23, v13
	v_and_or_b32 v0, 0x8000, v0, v22
	v_lshl_or_b32 v13, v0, 16, v13
.LBB288_1163:                           ;   in Loop: Header=BB288_1066 Depth=1
	s_or_b32 exec_lo, exec_lo, s20
.LBB288_1164:                           ;   in Loop: Header=BB288_1066 Depth=1
	s_or_b32 exec_lo, exec_lo, s18
.LBB288_1165:                           ;   in Loop: Header=BB288_1066 Depth=1
	s_or_b32 exec_lo, exec_lo, s17
	v_mov_b32_e32 v0, v12
	v_cmp_ne_u16_sdwa s5, v12, v1 src0_sel:BYTE_0 src1_sel:DWORD
	v_mov_b32_e32 v22, 0
	v_mov_b32_e32 v36, 0
	s_and_saveexec_b32 s17, s5
	s_cbranch_execz .LBB288_1173
; %bb.1166:                             ;   in Loop: Header=BB288_1066 Depth=1
	v_cmp_ne_u16_sdwa s5, v12, v17 src0_sel:BYTE_0 src1_sel:DWORD
	v_mov_b32_e32 v36, 0x8000
	s_and_saveexec_b32 s18, s5
	s_cbranch_execz .LBB288_1172
; %bb.1167:                             ;   in Loop: Header=BB288_1066 Depth=1
	v_and_b32_e32 v39, 0x7f, v12
	v_mov_b32_e32 v36, 0x7c01
	s_mov_b32 s20, exec_lo
	v_cmpx_ne_u32_e32 0x7f, v39
	s_cbranch_execz .LBB288_1171
; %bb.1168:                             ;   in Loop: Header=BB288_1066 Depth=1
	v_and_b32_e32 v36, 7, v12
	v_lshrrev_b32_e32 v37, 3, v39
	s_mov_b32 s21, exec_lo
	v_cmpx_gt_u32_e32 8, v39
; %bb.1169:                             ;   in Loop: Header=BB288_1066 Depth=1
	v_ffbh_u32_e32 v26, v36
	v_min_u32_e32 v26, 32, v26
	v_subrev_nc_u32_e32 v27, 28, v26
	v_lshlrev_b64 v[36:37], v27, v[0:1]
	v_sub_nc_u32_e32 v37, 29, v26
	v_and_b32_e32 v36, 7, v36
; %bb.1170:                             ;   in Loop: Header=BB288_1066 Depth=1
	s_or_b32 exec_lo, exec_lo, s21
	v_lshlrev_b32_e32 v26, 8, v12
	v_lshl_add_u32 v27, v37, 10, 0x2000
	v_lshlrev_b32_e32 v36, 7, v36
	v_and_b32_e32 v26, 0x8000, v26
	v_and_b32_e32 v27, 0xfc00, v27
	v_or3_b32 v36, v26, v27, v36
.LBB288_1171:                           ;   in Loop: Header=BB288_1066 Depth=1
	s_or_b32 exec_lo, exec_lo, s20
.LBB288_1172:                           ;   in Loop: Header=BB288_1066 Depth=1
	s_or_b32 exec_lo, exec_lo, s18
.LBB288_1173:                           ;   in Loop: Header=BB288_1066 Depth=1
	s_or_b32 exec_lo, exec_lo, s17
	v_lshrrev_b16 v0, 8, v0
	v_mov_b32_e32 v37, 0
	s_mov_b32 s17, exec_lo
	v_cmpx_ne_u16_e32 0, v0
	s_cbranch_execz .LBB288_1181
; %bb.1174:                             ;   in Loop: Header=BB288_1066 Depth=1
	v_bfrev_b32_e32 v37, 1
	s_mov_b32 s18, exec_lo
	v_cmpx_ne_u16_e32 0x80, v0
	s_cbranch_execz .LBB288_1180
; %bb.1175:                             ;   in Loop: Header=BB288_1066 Depth=1
	v_and_b32_sdwa v48, v0, v54 dst_sel:DWORD dst_unused:UNUSED_PAD src0_sel:WORD_0 src1_sel:DWORD
	v_mov_b32_e32 v37, 0x7c010000
	s_mov_b32 s20, exec_lo
	v_cmpx_ne_u32_e32 0x7f, v48
	s_cbranch_execz .LBB288_1179
; %bb.1176:                             ;   in Loop: Header=BB288_1066 Depth=1
	v_and_b32_sdwa v37, v0, v64 dst_sel:DWORD dst_unused:UNUSED_PAD src0_sel:WORD_0 src1_sel:DWORD
	v_lshrrev_b32_e32 v39, 3, v48
	s_mov_b32 s21, exec_lo
	v_cmpx_gt_u32_e32 8, v48
; %bb.1177:                             ;   in Loop: Header=BB288_1066 Depth=1
	v_ffbh_u32_e32 v26, v37
	v_min_u32_e32 v26, 32, v26
	v_subrev_nc_u32_e32 v27, 28, v26
	v_sub_nc_u32_e32 v39, 29, v26
	v_lshlrev_b64 v[48:49], v27, v[0:1]
	v_and_b32_e32 v37, 7, v48
; %bb.1178:                             ;   in Loop: Header=BB288_1066 Depth=1
	s_or_b32 exec_lo, exec_lo, s21
	v_lshlrev_b32_sdwa v0, v80, v0 dst_sel:DWORD dst_unused:UNUSED_PAD src0_sel:DWORD src1_sel:WORD_0
	v_lshl_add_u32 v26, v39, 10, 0x2000
	v_and_or_b32 v0, 0x8000, v0, v26
	v_lshlrev_b32_e32 v26, 23, v37
	v_lshl_or_b32 v37, v0, 16, v26
.LBB288_1179:                           ;   in Loop: Header=BB288_1066 Depth=1
	s_or_b32 exec_lo, exec_lo, s20
.LBB288_1180:                           ;   in Loop: Header=BB288_1066 Depth=1
	s_or_b32 exec_lo, exec_lo, s18
.LBB288_1181:                           ;   in Loop: Header=BB288_1066 Depth=1
	s_or_b32 exec_lo, exec_lo, s17
	v_lshrrev_b32_e32 v0, 16, v12
	v_cmp_ne_u16_sdwa s5, v0, v1 src0_sel:BYTE_0 src1_sel:DWORD
	s_and_saveexec_b32 s17, s5
	s_cbranch_execz .LBB288_1189
; %bb.1182:                             ;   in Loop: Header=BB288_1066 Depth=1
	v_cmp_ne_u16_sdwa s5, v0, v17 src0_sel:BYTE_0 src1_sel:DWORD
	v_mov_b32_e32 v22, 0x8000
	s_and_saveexec_b32 s18, s5
	s_cbranch_execz .LBB288_1188
; %bb.1183:                             ;   in Loop: Header=BB288_1066 Depth=1
	v_bfe_u32 v48, v12, 16, 7
	v_mov_b32_e32 v22, 0x7c01
	s_mov_b32 s20, exec_lo
	v_cmpx_ne_u32_e32 0x7f, v48
	s_cbranch_execz .LBB288_1187
; %bb.1184:                             ;   in Loop: Header=BB288_1066 Depth=1
	v_and_b32_e32 v22, 7, v0
	v_lshrrev_b32_e32 v39, 3, v48
	s_mov_b32 s21, exec_lo
	v_cmpx_gt_u32_e32 8, v48
; %bb.1185:                             ;   in Loop: Header=BB288_1066 Depth=1
	v_ffbh_u32_e32 v22, v22
	v_min_u32_e32 v22, 32, v22
	v_subrev_nc_u32_e32 v26, 28, v22
	v_sub_nc_u32_e32 v39, 29, v22
	v_lshlrev_b64 v[48:49], v26, v[0:1]
	v_and_b32_e32 v22, 7, v48
; %bb.1186:                             ;   in Loop: Header=BB288_1066 Depth=1
	s_or_b32 exec_lo, exec_lo, s21
	v_lshlrev_b32_e32 v0, 8, v0
	v_lshl_add_u32 v26, v39, 10, 0x2000
	v_lshlrev_b32_e32 v22, 7, v22
	v_and_b32_e32 v0, 0x8000, v0
	v_and_b32_e32 v26, 0xfc00, v26
	v_or3_b32 v22, v0, v26, v22
.LBB288_1187:                           ;   in Loop: Header=BB288_1066 Depth=1
	s_or_b32 exec_lo, exec_lo, s20
.LBB288_1188:                           ;   in Loop: Header=BB288_1066 Depth=1
	s_or_b32 exec_lo, exec_lo, s18
.LBB288_1189:                           ;   in Loop: Header=BB288_1066 Depth=1
	s_or_b32 exec_lo, exec_lo, s17
	v_cmp_lt_u64_e64 s5, s[12:13], v[11:12]
	v_mov_b32_e32 v11, 0
	s_and_saveexec_b32 s17, s5
	s_cbranch_execz .LBB288_1197
; %bb.1190:                             ;   in Loop: Header=BB288_1066 Depth=1
	v_lshrrev_b32_e32 v0, 24, v12
	v_bfrev_b32_e32 v11, 1
	s_mov_b32 s18, exec_lo
	v_cmpx_ne_u32_e32 0x80, v0
	s_cbranch_execz .LBB288_1196
; %bb.1191:                             ;   in Loop: Header=BB288_1066 Depth=1
	v_and_b32_e32 v39, 0x7f, v0
	v_mov_b32_e32 v11, 0x7c010000
	s_mov_b32 s20, exec_lo
	v_cmpx_ne_u32_e32 0x7f, v39
	s_cbranch_execz .LBB288_1195
; %bb.1192:                             ;   in Loop: Header=BB288_1066 Depth=1
	v_and_b32_e32 v11, 7, v0
	v_lshrrev_b32_e32 v12, 3, v39
	s_mov_b32 s21, exec_lo
	v_cmpx_gt_u32_e32 8, v39
; %bb.1193:                             ;   in Loop: Header=BB288_1066 Depth=1
	v_ffbh_u32_e32 v11, v11
	v_min_u32_e32 v26, 32, v11
	v_subrev_nc_u32_e32 v11, 28, v26
	v_lshlrev_b64 v[11:12], v11, v[0:1]
	v_sub_nc_u32_e32 v12, 29, v26
	v_and_b32_e32 v11, 7, v11
; %bb.1194:                             ;   in Loop: Header=BB288_1066 Depth=1
	s_or_b32 exec_lo, exec_lo, s21
	v_lshlrev_b32_e32 v0, 8, v0
	v_lshl_add_u32 v12, v12, 10, 0x2000
	v_lshlrev_b32_e32 v11, 23, v11
	v_and_or_b32 v0, 0x8000, v0, v12
	v_lshl_or_b32 v11, v0, 16, v11
.LBB288_1195:                           ;   in Loop: Header=BB288_1066 Depth=1
	s_or_b32 exec_lo, exec_lo, s20
.LBB288_1196:                           ;   in Loop: Header=BB288_1066 Depth=1
	s_or_b32 exec_lo, exec_lo, s18
.LBB288_1197:                           ;   in Loop: Header=BB288_1066 Depth=1
	s_or_b32 exec_lo, exec_lo, s17
	v_or_b32_e32 v0, v13, v16
	s_waitcnt vmcnt(0) lgkmcnt(0)
	v_fma_mixlo_f16 v12, v4, v13, 0 op_sel:[0,1,0] op_sel_hi:[0,1,0]
	v_or_b32_e32 v6, v5, v6
	v_fma_mixlo_f16 v5, v4, v5, 0 op_sel:[0,1,0] op_sel_hi:[0,1,0]
	v_or_b32_e32 v13, v37, v36
	v_fma_mixlo_f16 v16, v4, v0, 0 op_sel_hi:[0,1,0]
	v_or_b32_e32 v22, v11, v22
	v_lshlrev_b32_e32 v0, 16, v12
	v_lshlrev_b32_e32 v12, 16, v5
	v_fma_mixlo_f16 v6, v4, v6, 0 op_sel_hi:[0,1,0]
	v_and_b32_e32 v5, 0xffff, v16
	v_fma_mixlo_f16 v16, v4, v37, 0 op_sel:[0,1,0] op_sel_hi:[0,1,0]
	v_fma_mixlo_f16 v13, v4, v13, 0 op_sel_hi:[0,1,0]
	v_fma_mixlo_f16 v11, v4, v11, 0 op_sel:[0,1,0] op_sel_hi:[0,1,0]
	v_fma_mixlo_f16 v22, v4, v22, 0 op_sel_hi:[0,1,0]
	v_and_b32_e32 v39, 0xffff, v6
	v_lshlrev_b32_e32 v6, 16, v16
	v_and_b32_e32 v16, 0xffff, v13
	v_lshlrev_b32_e32 v4, 16, v11
	v_and_b32_e32 v11, 0xffff, v22
	v_or_b32_e32 v13, v0, v5
	v_or_b32_e32 v37, v12, v39
	;; [unrolled: 1-line block ×4, first 2 shown]
	s_and_saveexec_b32 s17, vcc_lo
	s_cbranch_execz .LBB288_1199
; %bb.1198:                             ;   in Loop: Header=BB288_1066 Depth=1
	v_cmp_lt_i32_e64 s5, v18, v38
	v_cndmask_b32_e64 v13, 0, v39, s5
	v_cmp_lt_i32_e64 s5, v100, v38
	v_cndmask_b32_e64 v12, 0, v12, s5
	v_cmp_lt_i32_e64 s5, v99, v38
	v_or_b32_e32 v37, v13, v12
	v_cndmask_b32_e64 v5, 0, v5, s5
	v_cmp_lt_i32_e64 s5, v98, v38
	v_cndmask_b32_e64 v0, 0, v0, s5
	v_cmp_lt_i32_e64 s5, v97, v38
	v_or_b32_e32 v13, v5, v0
	;; [unrolled: 5-line block ×3, first 2 shown]
	v_cndmask_b32_e64 v11, 0, v11, s5
	v_cmp_lt_i32_e64 s5, v86, v38
	v_cndmask_b32_e64 v4, 0, v4, s5
	v_or_b32_e32 v22, v11, v4
.LBB288_1199:                           ;   in Loop: Header=BB288_1066 Depth=1
	s_or_b32 exec_lo, exec_lo, s17
	;;#ASMSTART
	v_pk_mul_f16 v0, v85, v37;

	;;#ASMEND
	;;#ASMSTART
	v_pk_mul_f16 v4, v84, v13;

	;;#ASMEND
	;; [unrolled: 4-line block ×4, first 2 shown]
	;;#ASMSTART
	v_pk_add_f16 v0, v0, v4;

	;;#ASMEND
	;;#ASMSTART
	v_pk_add_f16 v0, v0, v5;

	;;#ASMEND
	;; [unrolled: 4-line block ×3, first 2 shown]
	v_and_b32_e32 v4, 0xffff, v0
	v_lshrrev_b32_e32 v0, 16, v0
	;;#ASMSTART
	v_cvt_f32_f16 v101, v4;
	;;#ASMEND
	;;#ASMSTART
	v_cvt_f32_f16 v102, v0;
	;;#ASMEND
	flat_load_dwordx2 v[11:12], v[9:10] offset:512
	s_clause 0x1
	buffer_load_dword v4, off, s[0:3], s32 offset:200
	buffer_load_dword v5, off, s[0:3], s32 offset:204
	v_mov_b32_e32 v6, 0
	s_waitcnt vmcnt(2) lgkmcnt(0)
	v_cmp_ne_u16_sdwa s5, v11, v1 src0_sel:BYTE_0 src1_sel:DWORD
	s_waitcnt vmcnt(0)
	flat_load_dword v4, v[4:5]
	v_mov_b32_e32 v5, 0
	s_and_saveexec_b32 s17, s5
	s_cbranch_execz .LBB288_1207
; %bb.1200:                             ;   in Loop: Header=BB288_1066 Depth=1
	v_cmp_ne_u16_sdwa s5, v11, v17 src0_sel:BYTE_0 src1_sel:DWORD
	v_mov_b32_e32 v6, 0x8000
	s_and_saveexec_b32 s18, s5
	s_cbranch_execz .LBB288_1206
; %bb.1201:                             ;   in Loop: Header=BB288_1066 Depth=1
	v_and_b32_e32 v13, 0x7f, v11
	v_mov_b32_e32 v6, 0x7c01
	s_mov_b32 s20, exec_lo
	v_cmpx_ne_u32_e32 0x7f, v13
	s_cbranch_execz .LBB288_1205
; %bb.1202:                             ;   in Loop: Header=BB288_1066 Depth=1
	v_and_b32_e32 v0, 7, v11
	v_lshrrev_b32_e32 v6, 3, v13
	s_mov_b32 s21, exec_lo
	v_cmpx_gt_u32_e32 8, v13
; %bb.1203:                             ;   in Loop: Header=BB288_1066 Depth=1
	v_ffbh_u32_e32 v0, v0
	v_min_u32_e32 v0, 32, v0
	v_subrev_nc_u32_e32 v6, 28, v0
	v_lshlrev_b64 v[36:37], v6, v[11:12]
	v_sub_nc_u32_e32 v6, 29, v0
	v_and_b32_e32 v0, 7, v36
; %bb.1204:                             ;   in Loop: Header=BB288_1066 Depth=1
	s_or_b32 exec_lo, exec_lo, s21
	v_lshlrev_b32_e32 v13, 8, v11
	v_lshl_add_u32 v6, v6, 10, 0x2000
	v_lshlrev_b32_e32 v0, 7, v0
	v_and_b32_e32 v13, 0x8000, v13
	v_and_b32_e32 v6, 0xfc00, v6
	v_or3_b32 v6, v13, v6, v0
.LBB288_1205:                           ;   in Loop: Header=BB288_1066 Depth=1
	s_or_b32 exec_lo, exec_lo, s20
.LBB288_1206:                           ;   in Loop: Header=BB288_1066 Depth=1
	s_or_b32 exec_lo, exec_lo, s18
.LBB288_1207:                           ;   in Loop: Header=BB288_1066 Depth=1
	s_or_b32 exec_lo, exec_lo, s17
	v_lshrrev_b16 v0, 8, v11
	s_mov_b32 s17, exec_lo
	v_cmpx_ne_u16_e32 0, v0
	s_cbranch_execz .LBB288_1215
; %bb.1208:                             ;   in Loop: Header=BB288_1066 Depth=1
	v_bfrev_b32_e32 v5, 1
	s_mov_b32 s18, exec_lo
	v_cmpx_ne_u16_e32 0x80, v0
	s_cbranch_execz .LBB288_1214
; %bb.1209:                             ;   in Loop: Header=BB288_1066 Depth=1
	v_and_b32_sdwa v16, v0, v54 dst_sel:DWORD dst_unused:UNUSED_PAD src0_sel:WORD_0 src1_sel:DWORD
	v_mov_b32_e32 v5, 0x7c010000
	s_mov_b32 s20, exec_lo
	v_cmpx_ne_u32_e32 0x7f, v16
	s_cbranch_execz .LBB288_1213
; %bb.1210:                             ;   in Loop: Header=BB288_1066 Depth=1
	v_and_b32_sdwa v5, v0, v64 dst_sel:DWORD dst_unused:UNUSED_PAD src0_sel:WORD_0 src1_sel:DWORD
	v_lshrrev_b32_e32 v13, 3, v16
	s_mov_b32 s21, exec_lo
	v_cmpx_gt_u32_e32 8, v16
; %bb.1211:                             ;   in Loop: Header=BB288_1066 Depth=1
	v_ffbh_u32_e32 v5, v5
	v_min_u32_e32 v5, 32, v5
	v_subrev_nc_u32_e32 v13, 28, v5
	v_lshlrev_b64 v[36:37], v13, v[0:1]
	v_sub_nc_u32_e32 v13, 29, v5
	v_and_b32_e32 v5, 7, v36
; %bb.1212:                             ;   in Loop: Header=BB288_1066 Depth=1
	s_or_b32 exec_lo, exec_lo, s21
	v_lshlrev_b32_sdwa v0, v80, v0 dst_sel:DWORD dst_unused:UNUSED_PAD src0_sel:DWORD src1_sel:WORD_0
	v_lshl_add_u32 v13, v13, 10, 0x2000
	v_lshlrev_b32_e32 v5, 23, v5
	v_and_or_b32 v0, 0x8000, v0, v13
	v_lshl_or_b32 v5, v0, 16, v5
.LBB288_1213:                           ;   in Loop: Header=BB288_1066 Depth=1
	s_or_b32 exec_lo, exec_lo, s20
.LBB288_1214:                           ;   in Loop: Header=BB288_1066 Depth=1
	s_or_b32 exec_lo, exec_lo, s18
.LBB288_1215:                           ;   in Loop: Header=BB288_1066 Depth=1
	s_or_b32 exec_lo, exec_lo, s17
	v_lshrrev_b32_e32 v0, 16, v11
	v_mov_b32_e32 v13, 0
	v_mov_b32_e32 v16, 0
	v_cmp_ne_u16_sdwa s5, v0, v1 src0_sel:BYTE_0 src1_sel:DWORD
	s_and_saveexec_b32 s17, s5
	s_cbranch_execz .LBB288_1223
; %bb.1216:                             ;   in Loop: Header=BB288_1066 Depth=1
	v_cmp_ne_u16_sdwa s5, v0, v17 src0_sel:BYTE_0 src1_sel:DWORD
	v_mov_b32_e32 v16, 0x8000
	s_and_saveexec_b32 s18, s5
	s_cbranch_execz .LBB288_1222
; %bb.1217:                             ;   in Loop: Header=BB288_1066 Depth=1
	v_bfe_u32 v36, v11, 16, 7
	v_mov_b32_e32 v16, 0x7c01
	s_mov_b32 s20, exec_lo
	v_cmpx_ne_u32_e32 0x7f, v36
	s_cbranch_execz .LBB288_1221
; %bb.1218:                             ;   in Loop: Header=BB288_1066 Depth=1
	v_and_b32_e32 v16, 7, v0
	v_lshrrev_b32_e32 v22, 3, v36
	s_mov_b32 s21, exec_lo
	v_cmpx_gt_u32_e32 8, v36
; %bb.1219:                             ;   in Loop: Header=BB288_1066 Depth=1
	v_ffbh_u32_e32 v16, v16
	v_min_u32_e32 v16, 32, v16
	v_subrev_nc_u32_e32 v22, 28, v16
	v_lshlrev_b64 v[36:37], v22, v[0:1]
	v_sub_nc_u32_e32 v22, 29, v16
	v_and_b32_e32 v16, 7, v36
; %bb.1220:                             ;   in Loop: Header=BB288_1066 Depth=1
	s_or_b32 exec_lo, exec_lo, s21
	v_lshlrev_b32_e32 v0, 8, v0
	v_lshl_add_u32 v22, v22, 10, 0x2000
	v_lshlrev_b32_e32 v16, 7, v16
	v_and_b32_e32 v0, 0x8000, v0
	v_and_b32_e32 v22, 0xfc00, v22
	v_or3_b32 v16, v0, v22, v16
.LBB288_1221:                           ;   in Loop: Header=BB288_1066 Depth=1
	s_or_b32 exec_lo, exec_lo, s20
.LBB288_1222:                           ;   in Loop: Header=BB288_1066 Depth=1
	s_or_b32 exec_lo, exec_lo, s18
.LBB288_1223:                           ;   in Loop: Header=BB288_1066 Depth=1
	s_or_b32 exec_lo, exec_lo, s17
	s_mov_b32 s17, exec_lo
	v_cmpx_lt_u32_e32 0xffffff, v11
	s_cbranch_execz .LBB288_1231
; %bb.1224:                             ;   in Loop: Header=BB288_1066 Depth=1
	v_lshrrev_b32_e32 v0, 24, v11
	v_bfrev_b32_e32 v13, 1
	s_mov_b32 s18, exec_lo
	v_cmpx_ne_u32_e32 0x80, v0
	s_cbranch_execz .LBB288_1230
; %bb.1225:                             ;   in Loop: Header=BB288_1066 Depth=1
	v_and_b32_e32 v36, 0x7f, v0
	v_mov_b32_e32 v13, 0x7c010000
	s_mov_b32 s20, exec_lo
	v_cmpx_ne_u32_e32 0x7f, v36
	s_cbranch_execz .LBB288_1229
; %bb.1226:                             ;   in Loop: Header=BB288_1066 Depth=1
	v_and_b32_e32 v13, 7, v0
	v_lshrrev_b32_e32 v22, 3, v36
	s_mov_b32 s21, exec_lo
	v_cmpx_gt_u32_e32 8, v36
; %bb.1227:                             ;   in Loop: Header=BB288_1066 Depth=1
	v_ffbh_u32_e32 v13, v13
	v_min_u32_e32 v13, 32, v13
	v_subrev_nc_u32_e32 v22, 28, v13
	v_lshlrev_b64 v[36:37], v22, v[0:1]
	v_sub_nc_u32_e32 v22, 29, v13
	v_and_b32_e32 v13, 7, v36
; %bb.1228:                             ;   in Loop: Header=BB288_1066 Depth=1
	s_or_b32 exec_lo, exec_lo, s21
	v_lshlrev_b32_e32 v0, 8, v0
	v_lshl_add_u32 v22, v22, 10, 0x2000
	v_lshlrev_b32_e32 v13, 23, v13
	v_and_or_b32 v0, 0x8000, v0, v22
	v_lshl_or_b32 v13, v0, 16, v13
.LBB288_1229:                           ;   in Loop: Header=BB288_1066 Depth=1
	s_or_b32 exec_lo, exec_lo, s20
.LBB288_1230:                           ;   in Loop: Header=BB288_1066 Depth=1
	s_or_b32 exec_lo, exec_lo, s18
.LBB288_1231:                           ;   in Loop: Header=BB288_1066 Depth=1
	s_or_b32 exec_lo, exec_lo, s17
	v_mov_b32_e32 v0, v12
	v_cmp_ne_u16_sdwa s5, v12, v1 src0_sel:BYTE_0 src1_sel:DWORD
	v_mov_b32_e32 v22, 0
	v_mov_b32_e32 v36, 0
	s_and_saveexec_b32 s17, s5
	s_cbranch_execz .LBB288_1239
; %bb.1232:                             ;   in Loop: Header=BB288_1066 Depth=1
	v_cmp_ne_u16_sdwa s5, v12, v17 src0_sel:BYTE_0 src1_sel:DWORD
	v_mov_b32_e32 v36, 0x8000
	s_and_saveexec_b32 s18, s5
	s_cbranch_execz .LBB288_1238
; %bb.1233:                             ;   in Loop: Header=BB288_1066 Depth=1
	v_and_b32_e32 v39, 0x7f, v12
	v_mov_b32_e32 v36, 0x7c01
	s_mov_b32 s20, exec_lo
	v_cmpx_ne_u32_e32 0x7f, v39
	s_cbranch_execz .LBB288_1237
; %bb.1234:                             ;   in Loop: Header=BB288_1066 Depth=1
	v_and_b32_e32 v36, 7, v12
	v_lshrrev_b32_e32 v37, 3, v39
	s_mov_b32 s21, exec_lo
	v_cmpx_gt_u32_e32 8, v39
; %bb.1235:                             ;   in Loop: Header=BB288_1066 Depth=1
	v_ffbh_u32_e32 v26, v36
	v_min_u32_e32 v26, 32, v26
	v_subrev_nc_u32_e32 v27, 28, v26
	v_lshlrev_b64 v[36:37], v27, v[0:1]
	v_sub_nc_u32_e32 v37, 29, v26
	v_and_b32_e32 v36, 7, v36
; %bb.1236:                             ;   in Loop: Header=BB288_1066 Depth=1
	s_or_b32 exec_lo, exec_lo, s21
	v_lshlrev_b32_e32 v26, 8, v12
	v_lshl_add_u32 v27, v37, 10, 0x2000
	v_lshlrev_b32_e32 v36, 7, v36
	v_and_b32_e32 v26, 0x8000, v26
	v_and_b32_e32 v27, 0xfc00, v27
	v_or3_b32 v36, v26, v27, v36
.LBB288_1237:                           ;   in Loop: Header=BB288_1066 Depth=1
	s_or_b32 exec_lo, exec_lo, s20
.LBB288_1238:                           ;   in Loop: Header=BB288_1066 Depth=1
	s_or_b32 exec_lo, exec_lo, s18
.LBB288_1239:                           ;   in Loop: Header=BB288_1066 Depth=1
	s_or_b32 exec_lo, exec_lo, s17
	v_lshrrev_b16 v0, 8, v0
	v_mov_b32_e32 v37, 0
	s_mov_b32 s17, exec_lo
	v_cmpx_ne_u16_e32 0, v0
	s_cbranch_execz .LBB288_1247
; %bb.1240:                             ;   in Loop: Header=BB288_1066 Depth=1
	v_bfrev_b32_e32 v37, 1
	s_mov_b32 s18, exec_lo
	v_cmpx_ne_u16_e32 0x80, v0
	s_cbranch_execz .LBB288_1246
; %bb.1241:                             ;   in Loop: Header=BB288_1066 Depth=1
	v_and_b32_sdwa v48, v0, v54 dst_sel:DWORD dst_unused:UNUSED_PAD src0_sel:WORD_0 src1_sel:DWORD
	v_mov_b32_e32 v37, 0x7c010000
	s_mov_b32 s20, exec_lo
	v_cmpx_ne_u32_e32 0x7f, v48
	s_cbranch_execz .LBB288_1245
; %bb.1242:                             ;   in Loop: Header=BB288_1066 Depth=1
	v_and_b32_sdwa v37, v0, v64 dst_sel:DWORD dst_unused:UNUSED_PAD src0_sel:WORD_0 src1_sel:DWORD
	v_lshrrev_b32_e32 v39, 3, v48
	s_mov_b32 s21, exec_lo
	v_cmpx_gt_u32_e32 8, v48
; %bb.1243:                             ;   in Loop: Header=BB288_1066 Depth=1
	v_ffbh_u32_e32 v26, v37
	v_min_u32_e32 v26, 32, v26
	v_subrev_nc_u32_e32 v27, 28, v26
	v_sub_nc_u32_e32 v39, 29, v26
	v_lshlrev_b64 v[48:49], v27, v[0:1]
	v_and_b32_e32 v37, 7, v48
; %bb.1244:                             ;   in Loop: Header=BB288_1066 Depth=1
	s_or_b32 exec_lo, exec_lo, s21
	v_lshlrev_b32_sdwa v0, v80, v0 dst_sel:DWORD dst_unused:UNUSED_PAD src0_sel:DWORD src1_sel:WORD_0
	v_lshl_add_u32 v26, v39, 10, 0x2000
	v_and_or_b32 v0, 0x8000, v0, v26
	v_lshlrev_b32_e32 v26, 23, v37
	v_lshl_or_b32 v37, v0, 16, v26
.LBB288_1245:                           ;   in Loop: Header=BB288_1066 Depth=1
	s_or_b32 exec_lo, exec_lo, s20
.LBB288_1246:                           ;   in Loop: Header=BB288_1066 Depth=1
	s_or_b32 exec_lo, exec_lo, s18
.LBB288_1247:                           ;   in Loop: Header=BB288_1066 Depth=1
	s_or_b32 exec_lo, exec_lo, s17
	v_lshrrev_b32_e32 v0, 16, v12
	v_cmp_ne_u16_sdwa s5, v0, v1 src0_sel:BYTE_0 src1_sel:DWORD
	s_and_saveexec_b32 s17, s5
	s_cbranch_execz .LBB288_1255
; %bb.1248:                             ;   in Loop: Header=BB288_1066 Depth=1
	v_cmp_ne_u16_sdwa s5, v0, v17 src0_sel:BYTE_0 src1_sel:DWORD
	v_mov_b32_e32 v22, 0x8000
	s_and_saveexec_b32 s18, s5
	s_cbranch_execz .LBB288_1254
; %bb.1249:                             ;   in Loop: Header=BB288_1066 Depth=1
	v_bfe_u32 v48, v12, 16, 7
	v_mov_b32_e32 v22, 0x7c01
	s_mov_b32 s20, exec_lo
	v_cmpx_ne_u32_e32 0x7f, v48
	s_cbranch_execz .LBB288_1253
; %bb.1250:                             ;   in Loop: Header=BB288_1066 Depth=1
	v_and_b32_e32 v22, 7, v0
	v_lshrrev_b32_e32 v39, 3, v48
	s_mov_b32 s21, exec_lo
	v_cmpx_gt_u32_e32 8, v48
; %bb.1251:                             ;   in Loop: Header=BB288_1066 Depth=1
	v_ffbh_u32_e32 v22, v22
	v_min_u32_e32 v22, 32, v22
	v_subrev_nc_u32_e32 v26, 28, v22
	v_sub_nc_u32_e32 v39, 29, v22
	v_lshlrev_b64 v[48:49], v26, v[0:1]
	v_and_b32_e32 v22, 7, v48
; %bb.1252:                             ;   in Loop: Header=BB288_1066 Depth=1
	s_or_b32 exec_lo, exec_lo, s21
	v_lshlrev_b32_e32 v0, 8, v0
	v_lshl_add_u32 v26, v39, 10, 0x2000
	v_lshlrev_b32_e32 v22, 7, v22
	v_and_b32_e32 v0, 0x8000, v0
	v_and_b32_e32 v26, 0xfc00, v26
	v_or3_b32 v22, v0, v26, v22
.LBB288_1253:                           ;   in Loop: Header=BB288_1066 Depth=1
	s_or_b32 exec_lo, exec_lo, s20
.LBB288_1254:                           ;   in Loop: Header=BB288_1066 Depth=1
	s_or_b32 exec_lo, exec_lo, s18
.LBB288_1255:                           ;   in Loop: Header=BB288_1066 Depth=1
	s_or_b32 exec_lo, exec_lo, s17
	v_cmp_lt_u64_e64 s5, s[12:13], v[11:12]
	v_mov_b32_e32 v11, 0
	s_and_saveexec_b32 s17, s5
	s_cbranch_execz .LBB288_1263
; %bb.1256:                             ;   in Loop: Header=BB288_1066 Depth=1
	v_lshrrev_b32_e32 v0, 24, v12
	v_bfrev_b32_e32 v11, 1
	s_mov_b32 s18, exec_lo
	v_cmpx_ne_u32_e32 0x80, v0
	s_cbranch_execz .LBB288_1262
; %bb.1257:                             ;   in Loop: Header=BB288_1066 Depth=1
	v_and_b32_e32 v39, 0x7f, v0
	v_mov_b32_e32 v11, 0x7c010000
	s_mov_b32 s20, exec_lo
	v_cmpx_ne_u32_e32 0x7f, v39
	s_cbranch_execz .LBB288_1261
; %bb.1258:                             ;   in Loop: Header=BB288_1066 Depth=1
	v_and_b32_e32 v11, 7, v0
	v_lshrrev_b32_e32 v12, 3, v39
	s_mov_b32 s21, exec_lo
	v_cmpx_gt_u32_e32 8, v39
; %bb.1259:                             ;   in Loop: Header=BB288_1066 Depth=1
	v_ffbh_u32_e32 v11, v11
	v_min_u32_e32 v26, 32, v11
	v_subrev_nc_u32_e32 v11, 28, v26
	v_lshlrev_b64 v[11:12], v11, v[0:1]
	v_sub_nc_u32_e32 v12, 29, v26
	v_and_b32_e32 v11, 7, v11
; %bb.1260:                             ;   in Loop: Header=BB288_1066 Depth=1
	s_or_b32 exec_lo, exec_lo, s21
	v_lshlrev_b32_e32 v0, 8, v0
	v_lshl_add_u32 v12, v12, 10, 0x2000
	v_lshlrev_b32_e32 v11, 23, v11
	v_and_or_b32 v0, 0x8000, v0, v12
	v_lshl_or_b32 v11, v0, 16, v11
.LBB288_1261:                           ;   in Loop: Header=BB288_1066 Depth=1
	s_or_b32 exec_lo, exec_lo, s20
.LBB288_1262:                           ;   in Loop: Header=BB288_1066 Depth=1
	s_or_b32 exec_lo, exec_lo, s18
.LBB288_1263:                           ;   in Loop: Header=BB288_1066 Depth=1
	s_or_b32 exec_lo, exec_lo, s17
	v_or_b32_e32 v0, v13, v16
	s_waitcnt vmcnt(0) lgkmcnt(0)
	v_fma_mixlo_f16 v12, v4, v13, 0 op_sel:[0,1,0] op_sel_hi:[0,1,0]
	v_or_b32_e32 v6, v5, v6
	v_fma_mixlo_f16 v5, v4, v5, 0 op_sel:[0,1,0] op_sel_hi:[0,1,0]
	v_or_b32_e32 v13, v37, v36
	v_fma_mixlo_f16 v16, v4, v0, 0 op_sel_hi:[0,1,0]
	v_or_b32_e32 v22, v11, v22
	v_lshlrev_b32_e32 v0, 16, v12
	v_lshlrev_b32_e32 v12, 16, v5
	v_fma_mixlo_f16 v6, v4, v6, 0 op_sel_hi:[0,1,0]
	v_and_b32_e32 v5, 0xffff, v16
	v_fma_mixlo_f16 v16, v4, v37, 0 op_sel:[0,1,0] op_sel_hi:[0,1,0]
	v_fma_mixlo_f16 v13, v4, v13, 0 op_sel_hi:[0,1,0]
	v_fma_mixlo_f16 v11, v4, v11, 0 op_sel:[0,1,0] op_sel_hi:[0,1,0]
	v_fma_mixlo_f16 v22, v4, v22, 0 op_sel_hi:[0,1,0]
	v_and_b32_e32 v39, 0xffff, v6
	v_lshlrev_b32_e32 v6, 16, v16
	v_and_b32_e32 v16, 0xffff, v13
	v_lshlrev_b32_e32 v4, 16, v11
	v_and_b32_e32 v11, 0xffff, v22
	v_or_b32_e32 v13, v0, v5
	v_or_b32_e32 v37, v12, v39
	;; [unrolled: 1-line block ×4, first 2 shown]
	s_and_saveexec_b32 s17, vcc_lo
	s_cbranch_execz .LBB288_1265
; %bb.1264:                             ;   in Loop: Header=BB288_1066 Depth=1
	v_cmp_lt_i32_e64 s5, v18, v38
	v_cndmask_b32_e64 v13, 0, v39, s5
	v_cmp_lt_i32_e64 s5, v100, v38
	v_cndmask_b32_e64 v12, 0, v12, s5
	v_cmp_lt_i32_e64 s5, v99, v38
	v_or_b32_e32 v37, v13, v12
	v_cndmask_b32_e64 v5, 0, v5, s5
	v_cmp_lt_i32_e64 s5, v98, v38
	v_cndmask_b32_e64 v0, 0, v0, s5
	v_cmp_lt_i32_e64 s5, v97, v38
	v_or_b32_e32 v13, v5, v0
	;; [unrolled: 5-line block ×3, first 2 shown]
	v_cndmask_b32_e64 v11, 0, v11, s5
	v_cmp_lt_i32_e64 s5, v86, v38
	v_cndmask_b32_e64 v4, 0, v4, s5
	v_or_b32_e32 v22, v11, v4
.LBB288_1265:                           ;   in Loop: Header=BB288_1066 Depth=1
	s_or_b32 exec_lo, exec_lo, s17
	;;#ASMSTART
	v_pk_mul_f16 v0, v85, v37;

	;;#ASMEND
	;;#ASMSTART
	v_pk_mul_f16 v4, v84, v13;

	;;#ASMEND
	;; [unrolled: 4-line block ×4, first 2 shown]
	;;#ASMSTART
	v_pk_add_f16 v0, v0, v4;

	;;#ASMEND
	;;#ASMSTART
	v_pk_add_f16 v0, v0, v5;

	;;#ASMEND
	;; [unrolled: 4-line block ×3, first 2 shown]
	v_and_b32_e32 v4, 0xffff, v0
	v_lshrrev_b32_e32 v0, 16, v0
	;;#ASMSTART
	v_cvt_f32_f16 v16, v4;
	;;#ASMEND
	;;#ASMSTART
	v_cvt_f32_f16 v112, v0;
	;;#ASMEND
	flat_load_dwordx2 v[11:12], v[9:10] offset:768
	s_clause 0x1
	buffer_load_dword v4, off, s[0:3], s32 offset:200
	buffer_load_dword v5, off, s[0:3], s32 offset:204
	v_mov_b32_e32 v6, 0
	s_waitcnt vmcnt(2) lgkmcnt(0)
	v_cmp_ne_u16_sdwa s5, v11, v1 src0_sel:BYTE_0 src1_sel:DWORD
	s_waitcnt vmcnt(0)
	flat_load_dword v4, v[4:5]
	v_mov_b32_e32 v5, 0
	s_and_saveexec_b32 s17, s5
	s_cbranch_execz .LBB288_1273
; %bb.1266:                             ;   in Loop: Header=BB288_1066 Depth=1
	v_cmp_ne_u16_sdwa s5, v11, v17 src0_sel:BYTE_0 src1_sel:DWORD
	v_mov_b32_e32 v6, 0x8000
	s_and_saveexec_b32 s18, s5
	s_cbranch_execz .LBB288_1272
; %bb.1267:                             ;   in Loop: Header=BB288_1066 Depth=1
	v_and_b32_e32 v13, 0x7f, v11
	v_mov_b32_e32 v6, 0x7c01
	s_mov_b32 s20, exec_lo
	v_cmpx_ne_u32_e32 0x7f, v13
	s_cbranch_execz .LBB288_1271
; %bb.1268:                             ;   in Loop: Header=BB288_1066 Depth=1
	v_and_b32_e32 v0, 7, v11
	v_lshrrev_b32_e32 v6, 3, v13
	s_mov_b32 s21, exec_lo
	v_cmpx_gt_u32_e32 8, v13
; %bb.1269:                             ;   in Loop: Header=BB288_1066 Depth=1
	v_ffbh_u32_e32 v0, v0
	v_min_u32_e32 v0, 32, v0
	v_subrev_nc_u32_e32 v6, 28, v0
	v_lshlrev_b64 v[36:37], v6, v[11:12]
	v_sub_nc_u32_e32 v6, 29, v0
	v_and_b32_e32 v0, 7, v36
; %bb.1270:                             ;   in Loop: Header=BB288_1066 Depth=1
	s_or_b32 exec_lo, exec_lo, s21
	v_lshlrev_b32_e32 v13, 8, v11
	v_lshl_add_u32 v6, v6, 10, 0x2000
	v_lshlrev_b32_e32 v0, 7, v0
	v_and_b32_e32 v13, 0x8000, v13
	v_and_b32_e32 v6, 0xfc00, v6
	v_or3_b32 v6, v13, v6, v0
.LBB288_1271:                           ;   in Loop: Header=BB288_1066 Depth=1
	s_or_b32 exec_lo, exec_lo, s20
.LBB288_1272:                           ;   in Loop: Header=BB288_1066 Depth=1
	s_or_b32 exec_lo, exec_lo, s18
.LBB288_1273:                           ;   in Loop: Header=BB288_1066 Depth=1
	s_or_b32 exec_lo, exec_lo, s17
	v_lshrrev_b16 v0, 8, v11
	s_mov_b32 s17, exec_lo
	v_cmpx_ne_u16_e32 0, v0
	s_cbranch_execz .LBB288_1281
; %bb.1274:                             ;   in Loop: Header=BB288_1066 Depth=1
	v_bfrev_b32_e32 v5, 1
	s_mov_b32 s18, exec_lo
	v_cmpx_ne_u16_e32 0x80, v0
	s_cbranch_execz .LBB288_1280
; %bb.1275:                             ;   in Loop: Header=BB288_1066 Depth=1
	v_and_b32_sdwa v22, v0, v54 dst_sel:DWORD dst_unused:UNUSED_PAD src0_sel:WORD_0 src1_sel:DWORD
	v_mov_b32_e32 v5, 0x7c010000
	s_mov_b32 s20, exec_lo
	v_cmpx_ne_u32_e32 0x7f, v22
	s_cbranch_execz .LBB288_1279
; %bb.1276:                             ;   in Loop: Header=BB288_1066 Depth=1
	v_and_b32_sdwa v5, v0, v64 dst_sel:DWORD dst_unused:UNUSED_PAD src0_sel:WORD_0 src1_sel:DWORD
	v_lshrrev_b32_e32 v13, 3, v22
	s_mov_b32 s21, exec_lo
	v_cmpx_gt_u32_e32 8, v22
; %bb.1277:                             ;   in Loop: Header=BB288_1066 Depth=1
	v_ffbh_u32_e32 v5, v5
	v_min_u32_e32 v5, 32, v5
	v_subrev_nc_u32_e32 v13, 28, v5
	v_lshlrev_b64 v[36:37], v13, v[0:1]
	v_sub_nc_u32_e32 v13, 29, v5
	v_and_b32_e32 v5, 7, v36
; %bb.1278:                             ;   in Loop: Header=BB288_1066 Depth=1
	s_or_b32 exec_lo, exec_lo, s21
	v_lshlrev_b32_sdwa v0, v80, v0 dst_sel:DWORD dst_unused:UNUSED_PAD src0_sel:DWORD src1_sel:WORD_0
	v_lshl_add_u32 v13, v13, 10, 0x2000
	v_lshlrev_b32_e32 v5, 23, v5
	v_and_or_b32 v0, 0x8000, v0, v13
	v_lshl_or_b32 v5, v0, 16, v5
.LBB288_1279:                           ;   in Loop: Header=BB288_1066 Depth=1
	s_or_b32 exec_lo, exec_lo, s20
.LBB288_1280:                           ;   in Loop: Header=BB288_1066 Depth=1
	s_or_b32 exec_lo, exec_lo, s18
.LBB288_1281:                           ;   in Loop: Header=BB288_1066 Depth=1
	s_or_b32 exec_lo, exec_lo, s17
	v_lshrrev_b32_e32 v0, 16, v11
	v_mov_b32_e32 v13, 0
	v_mov_b32_e32 v22, 0
	v_cmp_ne_u16_sdwa s5, v0, v1 src0_sel:BYTE_0 src1_sel:DWORD
	s_and_saveexec_b32 s17, s5
	s_cbranch_execz .LBB288_1289
; %bb.1282:                             ;   in Loop: Header=BB288_1066 Depth=1
	v_cmp_ne_u16_sdwa s5, v0, v17 src0_sel:BYTE_0 src1_sel:DWORD
	v_mov_b32_e32 v22, 0x8000
	s_and_saveexec_b32 s18, s5
	s_cbranch_execz .LBB288_1288
; %bb.1283:                             ;   in Loop: Header=BB288_1066 Depth=1
	v_bfe_u32 v37, v11, 16, 7
	v_mov_b32_e32 v22, 0x7c01
	s_mov_b32 s20, exec_lo
	v_cmpx_ne_u32_e32 0x7f, v37
	s_cbranch_execz .LBB288_1287
; %bb.1284:                             ;   in Loop: Header=BB288_1066 Depth=1
	v_and_b32_e32 v22, 7, v0
	v_lshrrev_b32_e32 v36, 3, v37
	s_mov_b32 s21, exec_lo
	v_cmpx_gt_u32_e32 8, v37
; %bb.1285:                             ;   in Loop: Header=BB288_1066 Depth=1
	v_ffbh_u32_e32 v22, v22
	v_min_u32_e32 v22, 32, v22
	v_subrev_nc_u32_e32 v26, 28, v22
	v_sub_nc_u32_e32 v36, 29, v22
	v_lshlrev_b64 v[48:49], v26, v[0:1]
	v_and_b32_e32 v22, 7, v48
; %bb.1286:                             ;   in Loop: Header=BB288_1066 Depth=1
	s_or_b32 exec_lo, exec_lo, s21
	v_lshlrev_b32_e32 v0, 8, v0
	v_lshl_add_u32 v26, v36, 10, 0x2000
	v_lshlrev_b32_e32 v22, 7, v22
	v_and_b32_e32 v0, 0x8000, v0
	v_and_b32_e32 v26, 0xfc00, v26
	v_or3_b32 v22, v0, v26, v22
.LBB288_1287:                           ;   in Loop: Header=BB288_1066 Depth=1
	s_or_b32 exec_lo, exec_lo, s20
.LBB288_1288:                           ;   in Loop: Header=BB288_1066 Depth=1
	s_or_b32 exec_lo, exec_lo, s18
.LBB288_1289:                           ;   in Loop: Header=BB288_1066 Depth=1
	s_or_b32 exec_lo, exec_lo, s17
	s_mov_b32 s17, exec_lo
	v_cmpx_lt_u32_e32 0xffffff, v11
	s_cbranch_execz .LBB288_1297
; %bb.1290:                             ;   in Loop: Header=BB288_1066 Depth=1
	v_lshrrev_b32_e32 v0, 24, v11
	v_bfrev_b32_e32 v13, 1
	s_mov_b32 s18, exec_lo
	v_cmpx_ne_u32_e32 0x80, v0
	s_cbranch_execz .LBB288_1296
; %bb.1291:                             ;   in Loop: Header=BB288_1066 Depth=1
	v_and_b32_e32 v37, 0x7f, v0
	v_mov_b32_e32 v13, 0x7c010000
	s_mov_b32 s20, exec_lo
	v_cmpx_ne_u32_e32 0x7f, v37
	s_cbranch_execz .LBB288_1295
; %bb.1292:                             ;   in Loop: Header=BB288_1066 Depth=1
	v_and_b32_e32 v13, 7, v0
	v_lshrrev_b32_e32 v36, 3, v37
	s_mov_b32 s21, exec_lo
	v_cmpx_gt_u32_e32 8, v37
; %bb.1293:                             ;   in Loop: Header=BB288_1066 Depth=1
	v_ffbh_u32_e32 v13, v13
	v_min_u32_e32 v13, 32, v13
	v_subrev_nc_u32_e32 v26, 28, v13
	v_sub_nc_u32_e32 v36, 29, v13
	v_lshlrev_b64 v[48:49], v26, v[0:1]
	v_and_b32_e32 v13, 7, v48
; %bb.1294:                             ;   in Loop: Header=BB288_1066 Depth=1
	s_or_b32 exec_lo, exec_lo, s21
	v_lshlrev_b32_e32 v0, 8, v0
	v_lshl_add_u32 v26, v36, 10, 0x2000
	v_lshlrev_b32_e32 v13, 23, v13
	v_and_or_b32 v0, 0x8000, v0, v26
	v_lshl_or_b32 v13, v0, 16, v13
.LBB288_1295:                           ;   in Loop: Header=BB288_1066 Depth=1
	s_or_b32 exec_lo, exec_lo, s20
.LBB288_1296:                           ;   in Loop: Header=BB288_1066 Depth=1
	s_or_b32 exec_lo, exec_lo, s18
.LBB288_1297:                           ;   in Loop: Header=BB288_1066 Depth=1
	s_or_b32 exec_lo, exec_lo, s17
	v_mov_b32_e32 v0, v12
	v_cmp_ne_u16_sdwa s5, v12, v1 src0_sel:BYTE_0 src1_sel:DWORD
	v_mov_b32_e32 v36, 0
	v_mov_b32_e32 v37, 0
	s_and_saveexec_b32 s17, s5
	s_cbranch_execz .LBB288_1305
; %bb.1298:                             ;   in Loop: Header=BB288_1066 Depth=1
	v_cmp_ne_u16_sdwa s5, v12, v17 src0_sel:BYTE_0 src1_sel:DWORD
	v_mov_b32_e32 v37, 0x8000
	s_and_saveexec_b32 s18, s5
	s_cbranch_execz .LBB288_1304
; %bb.1299:                             ;   in Loop: Header=BB288_1066 Depth=1
	v_and_b32_e32 v48, 0x7f, v12
	v_mov_b32_e32 v37, 0x7c01
	s_mov_b32 s20, exec_lo
	v_cmpx_ne_u32_e32 0x7f, v48
	s_cbranch_execz .LBB288_1303
; %bb.1300:                             ;   in Loop: Header=BB288_1066 Depth=1
	v_and_b32_e32 v37, 7, v12
	v_lshrrev_b32_e32 v39, 3, v48
	s_mov_b32 s21, exec_lo
	v_cmpx_gt_u32_e32 8, v48
; %bb.1301:                             ;   in Loop: Header=BB288_1066 Depth=1
	v_ffbh_u32_e32 v26, v37
	v_min_u32_e32 v26, 32, v26
	v_subrev_nc_u32_e32 v27, 28, v26
	v_sub_nc_u32_e32 v39, 29, v26
	v_lshlrev_b64 v[48:49], v27, v[0:1]
	v_and_b32_e32 v37, 7, v48
; %bb.1302:                             ;   in Loop: Header=BB288_1066 Depth=1
	s_or_b32 exec_lo, exec_lo, s21
	v_lshlrev_b32_e32 v26, 8, v12
	v_lshl_add_u32 v27, v39, 10, 0x2000
	v_lshlrev_b32_e32 v37, 7, v37
	v_and_b32_e32 v26, 0x8000, v26
	v_and_b32_e32 v27, 0xfc00, v27
	v_or3_b32 v37, v26, v27, v37
.LBB288_1303:                           ;   in Loop: Header=BB288_1066 Depth=1
	s_or_b32 exec_lo, exec_lo, s20
.LBB288_1304:                           ;   in Loop: Header=BB288_1066 Depth=1
	s_or_b32 exec_lo, exec_lo, s18
.LBB288_1305:                           ;   in Loop: Header=BB288_1066 Depth=1
	s_or_b32 exec_lo, exec_lo, s17
	v_lshrrev_b16 v0, 8, v0
	v_mov_b32_e32 v39, 0
	s_mov_b32 s17, exec_lo
	v_cmpx_ne_u16_e32 0, v0
	s_cbranch_execz .LBB288_1313
; %bb.1306:                             ;   in Loop: Header=BB288_1066 Depth=1
	v_bfrev_b32_e32 v39, 1
	s_mov_b32 s18, exec_lo
	v_cmpx_ne_u16_e32 0x80, v0
	s_cbranch_execz .LBB288_1312
; %bb.1307:                             ;   in Loop: Header=BB288_1066 Depth=1
	v_and_b32_sdwa v49, v0, v54 dst_sel:DWORD dst_unused:UNUSED_PAD src0_sel:WORD_0 src1_sel:DWORD
	v_mov_b32_e32 v39, 0x7c010000
	s_mov_b32 s20, exec_lo
	v_cmpx_ne_u32_e32 0x7f, v49
	s_cbranch_execz .LBB288_1311
; %bb.1308:                             ;   in Loop: Header=BB288_1066 Depth=1
	v_and_b32_sdwa v39, v0, v64 dst_sel:DWORD dst_unused:UNUSED_PAD src0_sel:WORD_0 src1_sel:DWORD
	v_lshrrev_b32_e32 v48, 3, v49
	s_mov_b32 s21, exec_lo
	v_cmpx_gt_u32_e32 8, v49
; %bb.1309:                             ;   in Loop: Header=BB288_1066 Depth=1
	v_ffbh_u32_e32 v26, v39
	v_min_u32_e32 v26, 32, v26
	v_subrev_nc_u32_e32 v27, 28, v26
	v_sub_nc_u32_e32 v48, 29, v26
	v_lshlrev_b64 v[49:50], v27, v[0:1]
	v_and_b32_e32 v39, 7, v49
; %bb.1310:                             ;   in Loop: Header=BB288_1066 Depth=1
	s_or_b32 exec_lo, exec_lo, s21
	v_lshlrev_b32_sdwa v0, v80, v0 dst_sel:DWORD dst_unused:UNUSED_PAD src0_sel:DWORD src1_sel:WORD_0
	v_lshl_add_u32 v26, v48, 10, 0x2000
	v_and_or_b32 v0, 0x8000, v0, v26
	v_lshlrev_b32_e32 v26, 23, v39
	v_lshl_or_b32 v39, v0, 16, v26
.LBB288_1311:                           ;   in Loop: Header=BB288_1066 Depth=1
	s_or_b32 exec_lo, exec_lo, s20
.LBB288_1312:                           ;   in Loop: Header=BB288_1066 Depth=1
	s_or_b32 exec_lo, exec_lo, s18
.LBB288_1313:                           ;   in Loop: Header=BB288_1066 Depth=1
	s_or_b32 exec_lo, exec_lo, s17
	v_lshrrev_b32_e32 v0, 16, v12
	v_cmp_ne_u16_sdwa s5, v0, v1 src0_sel:BYTE_0 src1_sel:DWORD
	s_and_saveexec_b32 s17, s5
	s_cbranch_execz .LBB288_1321
; %bb.1314:                             ;   in Loop: Header=BB288_1066 Depth=1
	v_cmp_ne_u16_sdwa s5, v0, v17 src0_sel:BYTE_0 src1_sel:DWORD
	v_mov_b32_e32 v36, 0x8000
	s_and_saveexec_b32 s18, s5
	s_cbranch_execz .LBB288_1320
; %bb.1315:                             ;   in Loop: Header=BB288_1066 Depth=1
	v_bfe_u32 v49, v12, 16, 7
	v_mov_b32_e32 v36, 0x7c01
	s_mov_b32 s20, exec_lo
	v_cmpx_ne_u32_e32 0x7f, v49
	s_cbranch_execz .LBB288_1319
; %bb.1316:                             ;   in Loop: Header=BB288_1066 Depth=1
	v_and_b32_e32 v36, 7, v0
	v_lshrrev_b32_e32 v48, 3, v49
	s_mov_b32 s21, exec_lo
	v_cmpx_gt_u32_e32 8, v49
; %bb.1317:                             ;   in Loop: Header=BB288_1066 Depth=1
	v_ffbh_u32_e32 v26, v36
	v_min_u32_e32 v26, 32, v26
	v_subrev_nc_u32_e32 v27, 28, v26
	v_sub_nc_u32_e32 v48, 29, v26
	v_lshlrev_b64 v[49:50], v27, v[0:1]
	v_and_b32_e32 v36, 7, v49
; %bb.1318:                             ;   in Loop: Header=BB288_1066 Depth=1
	s_or_b32 exec_lo, exec_lo, s21
	v_lshlrev_b32_e32 v0, 8, v0
	v_lshl_add_u32 v26, v48, 10, 0x2000
	v_lshlrev_b32_e32 v27, 7, v36
	v_and_b32_e32 v0, 0x8000, v0
	v_and_b32_e32 v26, 0xfc00, v26
	v_or3_b32 v36, v0, v26, v27
.LBB288_1319:                           ;   in Loop: Header=BB288_1066 Depth=1
	s_or_b32 exec_lo, exec_lo, s20
.LBB288_1320:                           ;   in Loop: Header=BB288_1066 Depth=1
	s_or_b32 exec_lo, exec_lo, s18
.LBB288_1321:                           ;   in Loop: Header=BB288_1066 Depth=1
	s_or_b32 exec_lo, exec_lo, s17
	v_cmp_lt_u64_e64 s5, s[12:13], v[11:12]
	v_mov_b32_e32 v11, 0
	s_and_saveexec_b32 s17, s5
	s_cbranch_execz .LBB288_1329
; %bb.1322:                             ;   in Loop: Header=BB288_1066 Depth=1
	v_lshrrev_b32_e32 v0, 24, v12
	v_bfrev_b32_e32 v11, 1
	s_mov_b32 s18, exec_lo
	v_cmpx_ne_u32_e32 0x80, v0
	s_cbranch_execz .LBB288_1328
; %bb.1323:                             ;   in Loop: Header=BB288_1066 Depth=1
	v_and_b32_e32 v48, 0x7f, v0
	v_mov_b32_e32 v11, 0x7c010000
	s_mov_b32 s20, exec_lo
	v_cmpx_ne_u32_e32 0x7f, v48
	s_cbranch_execz .LBB288_1327
; %bb.1324:                             ;   in Loop: Header=BB288_1066 Depth=1
	v_and_b32_e32 v11, 7, v0
	v_lshrrev_b32_e32 v12, 3, v48
	s_mov_b32 s21, exec_lo
	v_cmpx_gt_u32_e32 8, v48
; %bb.1325:                             ;   in Loop: Header=BB288_1066 Depth=1
	v_ffbh_u32_e32 v11, v11
	v_min_u32_e32 v26, 32, v11
	v_subrev_nc_u32_e32 v11, 28, v26
	v_lshlrev_b64 v[11:12], v11, v[0:1]
	v_sub_nc_u32_e32 v12, 29, v26
	v_and_b32_e32 v11, 7, v11
; %bb.1326:                             ;   in Loop: Header=BB288_1066 Depth=1
	s_or_b32 exec_lo, exec_lo, s21
	v_lshlrev_b32_e32 v0, 8, v0
	v_lshl_add_u32 v12, v12, 10, 0x2000
	v_lshlrev_b32_e32 v11, 23, v11
	v_and_or_b32 v0, 0x8000, v0, v12
	v_lshl_or_b32 v11, v0, 16, v11
.LBB288_1327:                           ;   in Loop: Header=BB288_1066 Depth=1
	s_or_b32 exec_lo, exec_lo, s20
.LBB288_1328:                           ;   in Loop: Header=BB288_1066 Depth=1
	s_or_b32 exec_lo, exec_lo, s18
.LBB288_1329:                           ;   in Loop: Header=BB288_1066 Depth=1
	s_or_b32 exec_lo, exec_lo, s17
	v_or_b32_e32 v0, v13, v22
	s_waitcnt vmcnt(0) lgkmcnt(0)
	v_fma_mixlo_f16 v12, v4, v13, 0 op_sel:[0,1,0] op_sel_hi:[0,1,0]
	v_or_b32_e32 v6, v5, v6
	v_fma_mixlo_f16 v5, v4, v5, 0 op_sel:[0,1,0] op_sel_hi:[0,1,0]
	v_or_b32_e32 v13, v39, v37
	v_fma_mixlo_f16 v22, v4, v0, 0 op_sel_hi:[0,1,0]
	v_or_b32_e32 v26, v11, v36
	v_lshlrev_b32_e32 v0, 16, v12
	v_lshlrev_b32_e32 v12, 16, v5
	v_fma_mixlo_f16 v6, v4, v6, 0 op_sel_hi:[0,1,0]
	v_and_b32_e32 v5, 0xffff, v22
	v_fma_mixlo_f16 v22, v4, v39, 0 op_sel:[0,1,0] op_sel_hi:[0,1,0]
	v_fma_mixlo_f16 v13, v4, v13, 0 op_sel_hi:[0,1,0]
	v_fma_mixlo_f16 v11, v4, v11, 0 op_sel:[0,1,0] op_sel_hi:[0,1,0]
	v_fma_mixlo_f16 v26, v4, v26, 0 op_sel_hi:[0,1,0]
	v_and_b32_e32 v48, 0xffff, v6
	v_lshlrev_b32_e32 v6, 16, v22
	v_and_b32_e32 v22, 0xffff, v13
	v_lshlrev_b32_e32 v4, 16, v11
	v_and_b32_e32 v11, 0xffff, v26
	v_or_b32_e32 v13, v0, v5
	v_or_b32_e32 v39, v12, v48
	;; [unrolled: 1-line block ×4, first 2 shown]
	s_and_saveexec_b32 s17, vcc_lo
	s_cbranch_execz .LBB288_1331
; %bb.1330:                             ;   in Loop: Header=BB288_1066 Depth=1
	v_cmp_lt_i32_e64 s5, v18, v38
	v_cndmask_b32_e64 v13, 0, v48, s5
	v_cmp_lt_i32_e64 s5, v100, v38
	v_cndmask_b32_e64 v12, 0, v12, s5
	v_cmp_lt_i32_e64 s5, v99, v38
	v_or_b32_e32 v39, v13, v12
	v_cndmask_b32_e64 v5, 0, v5, s5
	v_cmp_lt_i32_e64 s5, v98, v38
	v_cndmask_b32_e64 v0, 0, v0, s5
	v_cmp_lt_i32_e64 s5, v97, v38
	v_or_b32_e32 v13, v5, v0
	;; [unrolled: 5-line block ×3, first 2 shown]
	v_cndmask_b32_e64 v11, 0, v11, s5
	v_cmp_lt_i32_e64 s5, v86, v38
	v_cndmask_b32_e64 v4, 0, v4, s5
	v_or_b32_e32 v36, v11, v4
.LBB288_1331:                           ;   in Loop: Header=BB288_1066 Depth=1
	s_or_b32 exec_lo, exec_lo, s17
	;;#ASMSTART
	v_pk_mul_f16 v0, v85, v39;

	;;#ASMEND
	;;#ASMSTART
	v_pk_mul_f16 v4, v84, v13;

	;;#ASMEND
	;; [unrolled: 4-line block ×4, first 2 shown]
	;;#ASMSTART
	v_pk_add_f16 v0, v0, v4;

	;;#ASMEND
	;;#ASMSTART
	v_pk_add_f16 v0, v0, v5;

	;;#ASMEND
	;;#ASMSTART
	v_pk_add_f16 v0, v0, v6;

	;;#ASMEND
	v_and_b32_e32 v4, 0xffff, v0
	v_lshrrev_b32_e32 v0, 16, v0
	;;#ASMSTART
	v_cvt_f32_f16 v39, v4;
	;;#ASMEND
	;;#ASMSTART
	v_cvt_f32_f16 v114, v0;
	;;#ASMEND
	flat_load_dwordx2 v[11:12], v[9:10] offset:1024
	s_clause 0x1
	buffer_load_dword v4, off, s[0:3], s32 offset:200
	buffer_load_dword v5, off, s[0:3], s32 offset:204
	v_mov_b32_e32 v6, 0
	s_waitcnt vmcnt(2) lgkmcnt(0)
	v_cmp_ne_u16_sdwa s5, v11, v1 src0_sel:BYTE_0 src1_sel:DWORD
	s_waitcnt vmcnt(0)
	flat_load_dword v4, v[4:5]
	v_mov_b32_e32 v5, 0
	s_and_saveexec_b32 s17, s5
	s_cbranch_execz .LBB288_1339
; %bb.1332:                             ;   in Loop: Header=BB288_1066 Depth=1
	v_cmp_ne_u16_sdwa s5, v11, v17 src0_sel:BYTE_0 src1_sel:DWORD
	v_mov_b32_e32 v6, 0x8000
	s_and_saveexec_b32 s18, s5
	s_cbranch_execz .LBB288_1338
; %bb.1333:                             ;   in Loop: Header=BB288_1066 Depth=1
	v_and_b32_e32 v13, 0x7f, v11
	v_mov_b32_e32 v6, 0x7c01
	s_mov_b32 s20, exec_lo
	v_cmpx_ne_u32_e32 0x7f, v13
	s_cbranch_execz .LBB288_1337
; %bb.1334:                             ;   in Loop: Header=BB288_1066 Depth=1
	v_and_b32_e32 v0, 7, v11
	v_lshrrev_b32_e32 v6, 3, v13
	s_mov_b32 s21, exec_lo
	v_cmpx_gt_u32_e32 8, v13
; %bb.1335:                             ;   in Loop: Header=BB288_1066 Depth=1
	v_ffbh_u32_e32 v0, v0
	v_min_u32_e32 v0, 32, v0
	v_subrev_nc_u32_e32 v6, 28, v0
	v_lshlrev_b64 v[36:37], v6, v[11:12]
	v_sub_nc_u32_e32 v6, 29, v0
	v_and_b32_e32 v0, 7, v36
; %bb.1336:                             ;   in Loop: Header=BB288_1066 Depth=1
	s_or_b32 exec_lo, exec_lo, s21
	v_lshlrev_b32_e32 v13, 8, v11
	v_lshl_add_u32 v6, v6, 10, 0x2000
	v_lshlrev_b32_e32 v0, 7, v0
	v_and_b32_e32 v13, 0x8000, v13
	v_and_b32_e32 v6, 0xfc00, v6
	v_or3_b32 v6, v13, v6, v0
.LBB288_1337:                           ;   in Loop: Header=BB288_1066 Depth=1
	s_or_b32 exec_lo, exec_lo, s20
.LBB288_1338:                           ;   in Loop: Header=BB288_1066 Depth=1
	s_or_b32 exec_lo, exec_lo, s18
.LBB288_1339:                           ;   in Loop: Header=BB288_1066 Depth=1
	s_or_b32 exec_lo, exec_lo, s17
	v_lshrrev_b16 v0, 8, v11
	s_mov_b32 s17, exec_lo
	v_cmpx_ne_u16_e32 0, v0
	s_cbranch_execz .LBB288_1347
; %bb.1340:                             ;   in Loop: Header=BB288_1066 Depth=1
	v_bfrev_b32_e32 v5, 1
	s_mov_b32 s18, exec_lo
	v_cmpx_ne_u16_e32 0x80, v0
	s_cbranch_execz .LBB288_1346
; %bb.1341:                             ;   in Loop: Header=BB288_1066 Depth=1
	v_and_b32_sdwa v22, v0, v54 dst_sel:DWORD dst_unused:UNUSED_PAD src0_sel:WORD_0 src1_sel:DWORD
	v_mov_b32_e32 v5, 0x7c010000
	s_mov_b32 s20, exec_lo
	v_cmpx_ne_u32_e32 0x7f, v22
	s_cbranch_execz .LBB288_1345
; %bb.1342:                             ;   in Loop: Header=BB288_1066 Depth=1
	v_and_b32_sdwa v5, v0, v64 dst_sel:DWORD dst_unused:UNUSED_PAD src0_sel:WORD_0 src1_sel:DWORD
	v_lshrrev_b32_e32 v13, 3, v22
	s_mov_b32 s21, exec_lo
	v_cmpx_gt_u32_e32 8, v22
; %bb.1343:                             ;   in Loop: Header=BB288_1066 Depth=1
	v_ffbh_u32_e32 v5, v5
	v_min_u32_e32 v5, 32, v5
	v_subrev_nc_u32_e32 v13, 28, v5
	v_lshlrev_b64 v[36:37], v13, v[0:1]
	v_sub_nc_u32_e32 v13, 29, v5
	v_and_b32_e32 v5, 7, v36
; %bb.1344:                             ;   in Loop: Header=BB288_1066 Depth=1
	s_or_b32 exec_lo, exec_lo, s21
	v_lshlrev_b32_sdwa v0, v80, v0 dst_sel:DWORD dst_unused:UNUSED_PAD src0_sel:DWORD src1_sel:WORD_0
	v_lshl_add_u32 v13, v13, 10, 0x2000
	v_lshlrev_b32_e32 v5, 23, v5
	v_and_or_b32 v0, 0x8000, v0, v13
	v_lshl_or_b32 v5, v0, 16, v5
.LBB288_1345:                           ;   in Loop: Header=BB288_1066 Depth=1
	s_or_b32 exec_lo, exec_lo, s20
.LBB288_1346:                           ;   in Loop: Header=BB288_1066 Depth=1
	s_or_b32 exec_lo, exec_lo, s18
.LBB288_1347:                           ;   in Loop: Header=BB288_1066 Depth=1
	s_or_b32 exec_lo, exec_lo, s17
	v_lshrrev_b32_e32 v0, 16, v11
	v_mov_b32_e32 v13, 0
	v_mov_b32_e32 v22, 0
	v_cmp_ne_u16_sdwa s5, v0, v1 src0_sel:BYTE_0 src1_sel:DWORD
	s_and_saveexec_b32 s17, s5
	s_cbranch_execz .LBB288_1355
; %bb.1348:                             ;   in Loop: Header=BB288_1066 Depth=1
	v_cmp_ne_u16_sdwa s5, v0, v17 src0_sel:BYTE_0 src1_sel:DWORD
	v_mov_b32_e32 v22, 0x8000
	s_and_saveexec_b32 s18, s5
	s_cbranch_execz .LBB288_1354
; %bb.1349:                             ;   in Loop: Header=BB288_1066 Depth=1
	v_bfe_u32 v37, v11, 16, 7
	v_mov_b32_e32 v22, 0x7c01
	s_mov_b32 s20, exec_lo
	v_cmpx_ne_u32_e32 0x7f, v37
	s_cbranch_execz .LBB288_1353
; %bb.1350:                             ;   in Loop: Header=BB288_1066 Depth=1
	v_and_b32_e32 v22, 7, v0
	v_lshrrev_b32_e32 v36, 3, v37
	s_mov_b32 s21, exec_lo
	v_cmpx_gt_u32_e32 8, v37
; %bb.1351:                             ;   in Loop: Header=BB288_1066 Depth=1
	v_ffbh_u32_e32 v22, v22
	v_min_u32_e32 v22, 32, v22
	v_subrev_nc_u32_e32 v26, 28, v22
	v_sub_nc_u32_e32 v36, 29, v22
	v_lshlrev_b64 v[48:49], v26, v[0:1]
	v_and_b32_e32 v22, 7, v48
; %bb.1352:                             ;   in Loop: Header=BB288_1066 Depth=1
	s_or_b32 exec_lo, exec_lo, s21
	v_lshlrev_b32_e32 v0, 8, v0
	v_lshl_add_u32 v26, v36, 10, 0x2000
	v_lshlrev_b32_e32 v22, 7, v22
	v_and_b32_e32 v0, 0x8000, v0
	v_and_b32_e32 v26, 0xfc00, v26
	v_or3_b32 v22, v0, v26, v22
.LBB288_1353:                           ;   in Loop: Header=BB288_1066 Depth=1
	s_or_b32 exec_lo, exec_lo, s20
.LBB288_1354:                           ;   in Loop: Header=BB288_1066 Depth=1
	s_or_b32 exec_lo, exec_lo, s18
.LBB288_1355:                           ;   in Loop: Header=BB288_1066 Depth=1
	s_or_b32 exec_lo, exec_lo, s17
	s_mov_b32 s17, exec_lo
	v_cmpx_lt_u32_e32 0xffffff, v11
	s_cbranch_execz .LBB288_1363
; %bb.1356:                             ;   in Loop: Header=BB288_1066 Depth=1
	v_lshrrev_b32_e32 v0, 24, v11
	v_bfrev_b32_e32 v13, 1
	s_mov_b32 s18, exec_lo
	v_cmpx_ne_u32_e32 0x80, v0
	s_cbranch_execz .LBB288_1362
; %bb.1357:                             ;   in Loop: Header=BB288_1066 Depth=1
	v_and_b32_e32 v37, 0x7f, v0
	v_mov_b32_e32 v13, 0x7c010000
	s_mov_b32 s20, exec_lo
	v_cmpx_ne_u32_e32 0x7f, v37
	s_cbranch_execz .LBB288_1361
; %bb.1358:                             ;   in Loop: Header=BB288_1066 Depth=1
	v_and_b32_e32 v13, 7, v0
	v_lshrrev_b32_e32 v36, 3, v37
	s_mov_b32 s21, exec_lo
	v_cmpx_gt_u32_e32 8, v37
; %bb.1359:                             ;   in Loop: Header=BB288_1066 Depth=1
	v_ffbh_u32_e32 v13, v13
	v_min_u32_e32 v13, 32, v13
	v_subrev_nc_u32_e32 v26, 28, v13
	v_sub_nc_u32_e32 v36, 29, v13
	v_lshlrev_b64 v[48:49], v26, v[0:1]
	v_and_b32_e32 v13, 7, v48
; %bb.1360:                             ;   in Loop: Header=BB288_1066 Depth=1
	s_or_b32 exec_lo, exec_lo, s21
	v_lshlrev_b32_e32 v0, 8, v0
	v_lshl_add_u32 v26, v36, 10, 0x2000
	v_lshlrev_b32_e32 v13, 23, v13
	v_and_or_b32 v0, 0x8000, v0, v26
	v_lshl_or_b32 v13, v0, 16, v13
.LBB288_1361:                           ;   in Loop: Header=BB288_1066 Depth=1
	s_or_b32 exec_lo, exec_lo, s20
.LBB288_1362:                           ;   in Loop: Header=BB288_1066 Depth=1
	s_or_b32 exec_lo, exec_lo, s18
.LBB288_1363:                           ;   in Loop: Header=BB288_1066 Depth=1
	s_or_b32 exec_lo, exec_lo, s17
	v_mov_b32_e32 v0, v12
	v_cmp_ne_u16_sdwa s5, v12, v1 src0_sel:BYTE_0 src1_sel:DWORD
	v_mov_b32_e32 v36, 0
	v_mov_b32_e32 v37, 0
	s_and_saveexec_b32 s17, s5
	s_cbranch_execz .LBB288_1371
; %bb.1364:                             ;   in Loop: Header=BB288_1066 Depth=1
	v_cmp_ne_u16_sdwa s5, v12, v17 src0_sel:BYTE_0 src1_sel:DWORD
	v_mov_b32_e32 v37, 0x8000
	s_and_saveexec_b32 s18, s5
	s_cbranch_execz .LBB288_1370
; %bb.1365:                             ;   in Loop: Header=BB288_1066 Depth=1
	v_and_b32_e32 v49, 0x7f, v12
	v_mov_b32_e32 v37, 0x7c01
	s_mov_b32 s20, exec_lo
	v_cmpx_ne_u32_e32 0x7f, v49
	s_cbranch_execz .LBB288_1369
; %bb.1366:                             ;   in Loop: Header=BB288_1066 Depth=1
	v_and_b32_e32 v37, 7, v12
	v_lshrrev_b32_e32 v48, 3, v49
	s_mov_b32 s21, exec_lo
	v_cmpx_gt_u32_e32 8, v49
; %bb.1367:                             ;   in Loop: Header=BB288_1066 Depth=1
	v_ffbh_u32_e32 v26, v37
	v_min_u32_e32 v26, 32, v26
	v_subrev_nc_u32_e32 v27, 28, v26
	v_sub_nc_u32_e32 v48, 29, v26
	v_lshlrev_b64 v[49:50], v27, v[0:1]
	v_and_b32_e32 v37, 7, v49
; %bb.1368:                             ;   in Loop: Header=BB288_1066 Depth=1
	s_or_b32 exec_lo, exec_lo, s21
	v_lshlrev_b32_e32 v26, 8, v12
	v_lshl_add_u32 v27, v48, 10, 0x2000
	v_lshlrev_b32_e32 v37, 7, v37
	v_and_b32_e32 v26, 0x8000, v26
	v_and_b32_e32 v27, 0xfc00, v27
	v_or3_b32 v37, v26, v27, v37
.LBB288_1369:                           ;   in Loop: Header=BB288_1066 Depth=1
	s_or_b32 exec_lo, exec_lo, s20
.LBB288_1370:                           ;   in Loop: Header=BB288_1066 Depth=1
	s_or_b32 exec_lo, exec_lo, s18
.LBB288_1371:                           ;   in Loop: Header=BB288_1066 Depth=1
	s_or_b32 exec_lo, exec_lo, s17
	v_lshrrev_b16 v0, 8, v0
	v_mov_b32_e32 v48, 0
	s_mov_b32 s17, exec_lo
	v_cmpx_ne_u16_e32 0, v0
	s_cbranch_execz .LBB288_1379
; %bb.1372:                             ;   in Loop: Header=BB288_1066 Depth=1
	v_bfrev_b32_e32 v48, 1
	s_mov_b32 s18, exec_lo
	v_cmpx_ne_u16_e32 0x80, v0
	s_cbranch_execz .LBB288_1378
; %bb.1373:                             ;   in Loop: Header=BB288_1066 Depth=1
	v_and_b32_sdwa v50, v0, v54 dst_sel:DWORD dst_unused:UNUSED_PAD src0_sel:WORD_0 src1_sel:DWORD
	v_mov_b32_e32 v48, 0x7c010000
	s_mov_b32 s20, exec_lo
	v_cmpx_ne_u32_e32 0x7f, v50
	s_cbranch_execz .LBB288_1377
; %bb.1374:                             ;   in Loop: Header=BB288_1066 Depth=1
	v_and_b32_sdwa v48, v0, v64 dst_sel:DWORD dst_unused:UNUSED_PAD src0_sel:WORD_0 src1_sel:DWORD
	v_lshrrev_b32_e32 v49, 3, v50
	s_mov_b32 s21, exec_lo
	v_cmpx_gt_u32_e32 8, v50
; %bb.1375:                             ;   in Loop: Header=BB288_1066 Depth=1
	v_ffbh_u32_e32 v26, v48
	v_min_u32_e32 v26, 32, v26
	v_subrev_nc_u32_e32 v27, 28, v26
	v_lshlrev_b64 v[48:49], v27, v[0:1]
	v_sub_nc_u32_e32 v49, 29, v26
	v_and_b32_e32 v48, 7, v48
; %bb.1376:                             ;   in Loop: Header=BB288_1066 Depth=1
	s_or_b32 exec_lo, exec_lo, s21
	v_lshlrev_b32_sdwa v0, v80, v0 dst_sel:DWORD dst_unused:UNUSED_PAD src0_sel:DWORD src1_sel:WORD_0
	v_lshl_add_u32 v26, v49, 10, 0x2000
	v_and_or_b32 v0, 0x8000, v0, v26
	v_lshlrev_b32_e32 v26, 23, v48
	v_lshl_or_b32 v48, v0, 16, v26
.LBB288_1377:                           ;   in Loop: Header=BB288_1066 Depth=1
	s_or_b32 exec_lo, exec_lo, s20
.LBB288_1378:                           ;   in Loop: Header=BB288_1066 Depth=1
	s_or_b32 exec_lo, exec_lo, s18
.LBB288_1379:                           ;   in Loop: Header=BB288_1066 Depth=1
	s_or_b32 exec_lo, exec_lo, s17
	v_lshrrev_b32_e32 v0, 16, v12
	v_cmp_ne_u16_sdwa s5, v0, v1 src0_sel:BYTE_0 src1_sel:DWORD
	s_and_saveexec_b32 s17, s5
	s_cbranch_execz .LBB288_1387
; %bb.1380:                             ;   in Loop: Header=BB288_1066 Depth=1
	v_cmp_ne_u16_sdwa s5, v0, v17 src0_sel:BYTE_0 src1_sel:DWORD
	v_mov_b32_e32 v36, 0x8000
	s_and_saveexec_b32 s18, s5
	s_cbranch_execz .LBB288_1386
; %bb.1381:                             ;   in Loop: Header=BB288_1066 Depth=1
	v_bfe_u32 v50, v12, 16, 7
	v_mov_b32_e32 v36, 0x7c01
	s_mov_b32 s20, exec_lo
	v_cmpx_ne_u32_e32 0x7f, v50
	s_cbranch_execz .LBB288_1385
; %bb.1382:                             ;   in Loop: Header=BB288_1066 Depth=1
	v_and_b32_e32 v36, 7, v0
	v_lshrrev_b32_e32 v49, 3, v50
	s_mov_b32 s21, exec_lo
	v_cmpx_gt_u32_e32 8, v50
; %bb.1383:                             ;   in Loop: Header=BB288_1066 Depth=1
	v_ffbh_u32_e32 v26, v36
	v_min_u32_e32 v26, 32, v26
	v_subrev_nc_u32_e32 v27, 28, v26
	v_sub_nc_u32_e32 v49, 29, v26
	v_lshlrev_b64 v[50:51], v27, v[0:1]
	v_and_b32_e32 v36, 7, v50
; %bb.1384:                             ;   in Loop: Header=BB288_1066 Depth=1
	s_or_b32 exec_lo, exec_lo, s21
	v_lshlrev_b32_e32 v0, 8, v0
	v_lshl_add_u32 v26, v49, 10, 0x2000
	v_lshlrev_b32_e32 v27, 7, v36
	v_and_b32_e32 v0, 0x8000, v0
	v_and_b32_e32 v26, 0xfc00, v26
	v_or3_b32 v36, v0, v26, v27
.LBB288_1385:                           ;   in Loop: Header=BB288_1066 Depth=1
	s_or_b32 exec_lo, exec_lo, s20
.LBB288_1386:                           ;   in Loop: Header=BB288_1066 Depth=1
	s_or_b32 exec_lo, exec_lo, s18
.LBB288_1387:                           ;   in Loop: Header=BB288_1066 Depth=1
	s_or_b32 exec_lo, exec_lo, s17
	v_cmp_lt_u64_e64 s5, s[12:13], v[11:12]
	v_mov_b32_e32 v11, 0
	s_and_saveexec_b32 s17, s5
	s_cbranch_execz .LBB288_1395
; %bb.1388:                             ;   in Loop: Header=BB288_1066 Depth=1
	v_lshrrev_b32_e32 v0, 24, v12
	v_bfrev_b32_e32 v11, 1
	s_mov_b32 s18, exec_lo
	v_cmpx_ne_u32_e32 0x80, v0
	s_cbranch_execz .LBB288_1394
; %bb.1389:                             ;   in Loop: Header=BB288_1066 Depth=1
	v_and_b32_e32 v49, 0x7f, v0
	v_mov_b32_e32 v11, 0x7c010000
	s_mov_b32 s20, exec_lo
	v_cmpx_ne_u32_e32 0x7f, v49
	s_cbranch_execz .LBB288_1393
; %bb.1390:                             ;   in Loop: Header=BB288_1066 Depth=1
	v_and_b32_e32 v11, 7, v0
	v_lshrrev_b32_e32 v12, 3, v49
	s_mov_b32 s21, exec_lo
	v_cmpx_gt_u32_e32 8, v49
; %bb.1391:                             ;   in Loop: Header=BB288_1066 Depth=1
	v_ffbh_u32_e32 v11, v11
	v_min_u32_e32 v26, 32, v11
	v_subrev_nc_u32_e32 v11, 28, v26
	v_lshlrev_b64 v[11:12], v11, v[0:1]
	v_sub_nc_u32_e32 v12, 29, v26
	v_and_b32_e32 v11, 7, v11
; %bb.1392:                             ;   in Loop: Header=BB288_1066 Depth=1
	s_or_b32 exec_lo, exec_lo, s21
	v_lshlrev_b32_e32 v0, 8, v0
	v_lshl_add_u32 v12, v12, 10, 0x2000
	v_lshlrev_b32_e32 v11, 23, v11
	v_and_or_b32 v0, 0x8000, v0, v12
	v_lshl_or_b32 v11, v0, 16, v11
.LBB288_1393:                           ;   in Loop: Header=BB288_1066 Depth=1
	s_or_b32 exec_lo, exec_lo, s20
.LBB288_1394:                           ;   in Loop: Header=BB288_1066 Depth=1
	s_or_b32 exec_lo, exec_lo, s18
.LBB288_1395:                           ;   in Loop: Header=BB288_1066 Depth=1
	s_or_b32 exec_lo, exec_lo, s17
	v_or_b32_e32 v0, v13, v22
	s_waitcnt vmcnt(0) lgkmcnt(0)
	v_fma_mixlo_f16 v12, v4, v13, 0 op_sel:[0,1,0] op_sel_hi:[0,1,0]
	v_or_b32_e32 v6, v5, v6
	v_fma_mixlo_f16 v5, v4, v5, 0 op_sel:[0,1,0] op_sel_hi:[0,1,0]
	v_or_b32_e32 v13, v48, v37
	v_fma_mixlo_f16 v22, v4, v0, 0 op_sel_hi:[0,1,0]
	v_or_b32_e32 v26, v11, v36
	v_lshlrev_b32_e32 v0, 16, v12
	v_lshlrev_b32_e32 v12, 16, v5
	v_fma_mixlo_f16 v6, v4, v6, 0 op_sel_hi:[0,1,0]
	v_and_b32_e32 v5, 0xffff, v22
	v_fma_mixlo_f16 v22, v4, v48, 0 op_sel:[0,1,0] op_sel_hi:[0,1,0]
	v_fma_mixlo_f16 v13, v4, v13, 0 op_sel_hi:[0,1,0]
	v_fma_mixlo_f16 v11, v4, v11, 0 op_sel:[0,1,0] op_sel_hi:[0,1,0]
	v_fma_mixlo_f16 v26, v4, v26, 0 op_sel_hi:[0,1,0]
	v_and_b32_e32 v49, 0xffff, v6
	v_lshlrev_b32_e32 v6, 16, v22
	v_and_b32_e32 v22, 0xffff, v13
	v_lshlrev_b32_e32 v4, 16, v11
	v_and_b32_e32 v11, 0xffff, v26
	v_or_b32_e32 v13, v0, v5
	v_or_b32_e32 v48, v12, v49
	v_or_b32_e32 v37, v6, v22
	v_or_b32_e32 v36, v4, v11
	s_and_saveexec_b32 s17, vcc_lo
	s_cbranch_execz .LBB288_1397
; %bb.1396:                             ;   in Loop: Header=BB288_1066 Depth=1
	v_cmp_lt_i32_e64 s5, v18, v38
	v_cndmask_b32_e64 v13, 0, v49, s5
	v_cmp_lt_i32_e64 s5, v100, v38
	v_cndmask_b32_e64 v12, 0, v12, s5
	v_cmp_lt_i32_e64 s5, v99, v38
	v_or_b32_e32 v48, v13, v12
	v_cndmask_b32_e64 v5, 0, v5, s5
	v_cmp_lt_i32_e64 s5, v98, v38
	v_cndmask_b32_e64 v0, 0, v0, s5
	v_cmp_lt_i32_e64 s5, v97, v38
	v_or_b32_e32 v13, v5, v0
	;; [unrolled: 5-line block ×3, first 2 shown]
	v_cndmask_b32_e64 v11, 0, v11, s5
	v_cmp_lt_i32_e64 s5, v86, v38
	v_cndmask_b32_e64 v4, 0, v4, s5
	v_or_b32_e32 v36, v11, v4
.LBB288_1397:                           ;   in Loop: Header=BB288_1066 Depth=1
	s_or_b32 exec_lo, exec_lo, s17
	;;#ASMSTART
	v_pk_mul_f16 v0, v85, v48;

	;;#ASMEND
	;;#ASMSTART
	v_pk_mul_f16 v4, v84, v13;

	;;#ASMEND
	;; [unrolled: 4-line block ×4, first 2 shown]
	;;#ASMSTART
	v_pk_add_f16 v0, v0, v4;

	;;#ASMEND
	;;#ASMSTART
	v_pk_add_f16 v0, v0, v5;

	;;#ASMEND
	;;#ASMSTART
	v_pk_add_f16 v0, v0, v6;

	;;#ASMEND
	v_and_b32_e32 v4, 0xffff, v0
	v_lshrrev_b32_e32 v0, 16, v0
	;;#ASMSTART
	v_cvt_f32_f16 v115, v4;
	;;#ASMEND
	;;#ASMSTART
	v_cvt_f32_f16 v116, v0;
	;;#ASMEND
	flat_load_dwordx2 v[11:12], v[9:10] offset:1280
	s_clause 0x1
	buffer_load_dword v4, off, s[0:3], s32 offset:200
	buffer_load_dword v5, off, s[0:3], s32 offset:204
	v_mov_b32_e32 v6, 0
	s_waitcnt vmcnt(2) lgkmcnt(0)
	v_cmp_ne_u16_sdwa s5, v11, v1 src0_sel:BYTE_0 src1_sel:DWORD
	s_waitcnt vmcnt(0)
	flat_load_dword v4, v[4:5]
	v_mov_b32_e32 v5, 0
	s_and_saveexec_b32 s17, s5
	s_cbranch_execz .LBB288_1405
; %bb.1398:                             ;   in Loop: Header=BB288_1066 Depth=1
	v_cmp_ne_u16_sdwa s5, v11, v17 src0_sel:BYTE_0 src1_sel:DWORD
	v_mov_b32_e32 v6, 0x8000
	s_and_saveexec_b32 s18, s5
	s_cbranch_execz .LBB288_1404
; %bb.1399:                             ;   in Loop: Header=BB288_1066 Depth=1
	v_and_b32_e32 v13, 0x7f, v11
	v_mov_b32_e32 v6, 0x7c01
	s_mov_b32 s20, exec_lo
	v_cmpx_ne_u32_e32 0x7f, v13
	s_cbranch_execz .LBB288_1403
; %bb.1400:                             ;   in Loop: Header=BB288_1066 Depth=1
	v_and_b32_e32 v0, 7, v11
	v_lshrrev_b32_e32 v6, 3, v13
	s_mov_b32 s21, exec_lo
	v_cmpx_gt_u32_e32 8, v13
; %bb.1401:                             ;   in Loop: Header=BB288_1066 Depth=1
	v_ffbh_u32_e32 v0, v0
	v_min_u32_e32 v0, 32, v0
	v_subrev_nc_u32_e32 v6, 28, v0
	v_lshlrev_b64 v[36:37], v6, v[11:12]
	v_sub_nc_u32_e32 v6, 29, v0
	v_and_b32_e32 v0, 7, v36
; %bb.1402:                             ;   in Loop: Header=BB288_1066 Depth=1
	s_or_b32 exec_lo, exec_lo, s21
	v_lshlrev_b32_e32 v13, 8, v11
	v_lshl_add_u32 v6, v6, 10, 0x2000
	v_lshlrev_b32_e32 v0, 7, v0
	v_and_b32_e32 v13, 0x8000, v13
	v_and_b32_e32 v6, 0xfc00, v6
	v_or3_b32 v6, v13, v6, v0
.LBB288_1403:                           ;   in Loop: Header=BB288_1066 Depth=1
	s_or_b32 exec_lo, exec_lo, s20
.LBB288_1404:                           ;   in Loop: Header=BB288_1066 Depth=1
	s_or_b32 exec_lo, exec_lo, s18
.LBB288_1405:                           ;   in Loop: Header=BB288_1066 Depth=1
	s_or_b32 exec_lo, exec_lo, s17
	v_lshrrev_b16 v0, 8, v11
	s_mov_b32 s17, exec_lo
	v_cmpx_ne_u16_e32 0, v0
	s_cbranch_execz .LBB288_1413
; %bb.1406:                             ;   in Loop: Header=BB288_1066 Depth=1
	v_bfrev_b32_e32 v5, 1
	s_mov_b32 s18, exec_lo
	v_cmpx_ne_u16_e32 0x80, v0
	s_cbranch_execz .LBB288_1412
; %bb.1407:                             ;   in Loop: Header=BB288_1066 Depth=1
	v_and_b32_sdwa v22, v0, v54 dst_sel:DWORD dst_unused:UNUSED_PAD src0_sel:WORD_0 src1_sel:DWORD
	v_mov_b32_e32 v5, 0x7c010000
	s_mov_b32 s20, exec_lo
	v_cmpx_ne_u32_e32 0x7f, v22
	s_cbranch_execz .LBB288_1411
; %bb.1408:                             ;   in Loop: Header=BB288_1066 Depth=1
	v_and_b32_sdwa v5, v0, v64 dst_sel:DWORD dst_unused:UNUSED_PAD src0_sel:WORD_0 src1_sel:DWORD
	v_lshrrev_b32_e32 v13, 3, v22
	s_mov_b32 s21, exec_lo
	v_cmpx_gt_u32_e32 8, v22
; %bb.1409:                             ;   in Loop: Header=BB288_1066 Depth=1
	v_ffbh_u32_e32 v5, v5
	v_min_u32_e32 v5, 32, v5
	v_subrev_nc_u32_e32 v13, 28, v5
	v_lshlrev_b64 v[36:37], v13, v[0:1]
	v_sub_nc_u32_e32 v13, 29, v5
	v_and_b32_e32 v5, 7, v36
; %bb.1410:                             ;   in Loop: Header=BB288_1066 Depth=1
	s_or_b32 exec_lo, exec_lo, s21
	v_lshlrev_b32_sdwa v0, v80, v0 dst_sel:DWORD dst_unused:UNUSED_PAD src0_sel:DWORD src1_sel:WORD_0
	v_lshl_add_u32 v13, v13, 10, 0x2000
	v_lshlrev_b32_e32 v5, 23, v5
	v_and_or_b32 v0, 0x8000, v0, v13
	v_lshl_or_b32 v5, v0, 16, v5
.LBB288_1411:                           ;   in Loop: Header=BB288_1066 Depth=1
	s_or_b32 exec_lo, exec_lo, s20
.LBB288_1412:                           ;   in Loop: Header=BB288_1066 Depth=1
	s_or_b32 exec_lo, exec_lo, s18
.LBB288_1413:                           ;   in Loop: Header=BB288_1066 Depth=1
	s_or_b32 exec_lo, exec_lo, s17
	v_lshrrev_b32_e32 v0, 16, v11
	v_mov_b32_e32 v13, 0
	v_mov_b32_e32 v22, 0
	v_cmp_ne_u16_sdwa s5, v0, v1 src0_sel:BYTE_0 src1_sel:DWORD
	s_and_saveexec_b32 s17, s5
	s_cbranch_execz .LBB288_1421
; %bb.1414:                             ;   in Loop: Header=BB288_1066 Depth=1
	v_cmp_ne_u16_sdwa s5, v0, v17 src0_sel:BYTE_0 src1_sel:DWORD
	v_mov_b32_e32 v22, 0x8000
	s_and_saveexec_b32 s18, s5
	s_cbranch_execz .LBB288_1420
; %bb.1415:                             ;   in Loop: Header=BB288_1066 Depth=1
	v_bfe_u32 v37, v11, 16, 7
	v_mov_b32_e32 v22, 0x7c01
	s_mov_b32 s20, exec_lo
	v_cmpx_ne_u32_e32 0x7f, v37
	s_cbranch_execz .LBB288_1419
; %bb.1416:                             ;   in Loop: Header=BB288_1066 Depth=1
	v_and_b32_e32 v22, 7, v0
	v_lshrrev_b32_e32 v36, 3, v37
	s_mov_b32 s21, exec_lo
	v_cmpx_gt_u32_e32 8, v37
; %bb.1417:                             ;   in Loop: Header=BB288_1066 Depth=1
	v_ffbh_u32_e32 v22, v22
	v_min_u32_e32 v22, 32, v22
	v_subrev_nc_u32_e32 v26, 28, v22
	v_sub_nc_u32_e32 v36, 29, v22
	v_lshlrev_b64 v[48:49], v26, v[0:1]
	v_and_b32_e32 v22, 7, v48
; %bb.1418:                             ;   in Loop: Header=BB288_1066 Depth=1
	s_or_b32 exec_lo, exec_lo, s21
	v_lshlrev_b32_e32 v0, 8, v0
	v_lshl_add_u32 v26, v36, 10, 0x2000
	v_lshlrev_b32_e32 v22, 7, v22
	v_and_b32_e32 v0, 0x8000, v0
	v_and_b32_e32 v26, 0xfc00, v26
	v_or3_b32 v22, v0, v26, v22
.LBB288_1419:                           ;   in Loop: Header=BB288_1066 Depth=1
	s_or_b32 exec_lo, exec_lo, s20
.LBB288_1420:                           ;   in Loop: Header=BB288_1066 Depth=1
	s_or_b32 exec_lo, exec_lo, s18
.LBB288_1421:                           ;   in Loop: Header=BB288_1066 Depth=1
	s_or_b32 exec_lo, exec_lo, s17
	s_mov_b32 s17, exec_lo
	v_cmpx_lt_u32_e32 0xffffff, v11
	s_cbranch_execz .LBB288_1429
; %bb.1422:                             ;   in Loop: Header=BB288_1066 Depth=1
	v_lshrrev_b32_e32 v0, 24, v11
	v_bfrev_b32_e32 v13, 1
	s_mov_b32 s18, exec_lo
	v_cmpx_ne_u32_e32 0x80, v0
	s_cbranch_execz .LBB288_1428
; %bb.1423:                             ;   in Loop: Header=BB288_1066 Depth=1
	v_and_b32_e32 v37, 0x7f, v0
	v_mov_b32_e32 v13, 0x7c010000
	s_mov_b32 s20, exec_lo
	v_cmpx_ne_u32_e32 0x7f, v37
	s_cbranch_execz .LBB288_1427
; %bb.1424:                             ;   in Loop: Header=BB288_1066 Depth=1
	v_and_b32_e32 v13, 7, v0
	v_lshrrev_b32_e32 v36, 3, v37
	s_mov_b32 s21, exec_lo
	v_cmpx_gt_u32_e32 8, v37
; %bb.1425:                             ;   in Loop: Header=BB288_1066 Depth=1
	v_ffbh_u32_e32 v13, v13
	v_min_u32_e32 v13, 32, v13
	v_subrev_nc_u32_e32 v26, 28, v13
	v_sub_nc_u32_e32 v36, 29, v13
	v_lshlrev_b64 v[48:49], v26, v[0:1]
	v_and_b32_e32 v13, 7, v48
; %bb.1426:                             ;   in Loop: Header=BB288_1066 Depth=1
	s_or_b32 exec_lo, exec_lo, s21
	v_lshlrev_b32_e32 v0, 8, v0
	v_lshl_add_u32 v26, v36, 10, 0x2000
	v_lshlrev_b32_e32 v13, 23, v13
	v_and_or_b32 v0, 0x8000, v0, v26
	v_lshl_or_b32 v13, v0, 16, v13
.LBB288_1427:                           ;   in Loop: Header=BB288_1066 Depth=1
	s_or_b32 exec_lo, exec_lo, s20
.LBB288_1428:                           ;   in Loop: Header=BB288_1066 Depth=1
	s_or_b32 exec_lo, exec_lo, s18
.LBB288_1429:                           ;   in Loop: Header=BB288_1066 Depth=1
	s_or_b32 exec_lo, exec_lo, s17
	v_mov_b32_e32 v0, v12
	v_cmp_ne_u16_sdwa s5, v12, v1 src0_sel:BYTE_0 src1_sel:DWORD
	v_mov_b32_e32 v36, 0
	v_mov_b32_e32 v37, 0
	s_and_saveexec_b32 s17, s5
	s_cbranch_execz .LBB288_1437
; %bb.1430:                             ;   in Loop: Header=BB288_1066 Depth=1
	v_cmp_ne_u16_sdwa s5, v12, v17 src0_sel:BYTE_0 src1_sel:DWORD
	v_mov_b32_e32 v37, 0x8000
	s_and_saveexec_b32 s18, s5
	s_cbranch_execz .LBB288_1436
; %bb.1431:                             ;   in Loop: Header=BB288_1066 Depth=1
	v_and_b32_e32 v49, 0x7f, v12
	v_mov_b32_e32 v37, 0x7c01
	s_mov_b32 s20, exec_lo
	v_cmpx_ne_u32_e32 0x7f, v49
	s_cbranch_execz .LBB288_1435
; %bb.1432:                             ;   in Loop: Header=BB288_1066 Depth=1
	v_and_b32_e32 v37, 7, v12
	v_lshrrev_b32_e32 v48, 3, v49
	s_mov_b32 s21, exec_lo
	v_cmpx_gt_u32_e32 8, v49
; %bb.1433:                             ;   in Loop: Header=BB288_1066 Depth=1
	v_ffbh_u32_e32 v26, v37
	v_min_u32_e32 v26, 32, v26
	v_subrev_nc_u32_e32 v27, 28, v26
	v_sub_nc_u32_e32 v48, 29, v26
	v_lshlrev_b64 v[49:50], v27, v[0:1]
	v_and_b32_e32 v37, 7, v49
; %bb.1434:                             ;   in Loop: Header=BB288_1066 Depth=1
	s_or_b32 exec_lo, exec_lo, s21
	v_lshlrev_b32_e32 v26, 8, v12
	v_lshl_add_u32 v27, v48, 10, 0x2000
	v_lshlrev_b32_e32 v37, 7, v37
	v_and_b32_e32 v26, 0x8000, v26
	v_and_b32_e32 v27, 0xfc00, v27
	v_or3_b32 v37, v26, v27, v37
.LBB288_1435:                           ;   in Loop: Header=BB288_1066 Depth=1
	s_or_b32 exec_lo, exec_lo, s20
.LBB288_1436:                           ;   in Loop: Header=BB288_1066 Depth=1
	s_or_b32 exec_lo, exec_lo, s18
.LBB288_1437:                           ;   in Loop: Header=BB288_1066 Depth=1
	s_or_b32 exec_lo, exec_lo, s17
	v_lshrrev_b16 v0, 8, v0
	v_mov_b32_e32 v48, 0
	s_mov_b32 s17, exec_lo
	v_cmpx_ne_u16_e32 0, v0
	s_cbranch_execz .LBB288_1445
; %bb.1438:                             ;   in Loop: Header=BB288_1066 Depth=1
	v_bfrev_b32_e32 v48, 1
	s_mov_b32 s18, exec_lo
	v_cmpx_ne_u16_e32 0x80, v0
	s_cbranch_execz .LBB288_1444
; %bb.1439:                             ;   in Loop: Header=BB288_1066 Depth=1
	v_and_b32_sdwa v50, v0, v54 dst_sel:DWORD dst_unused:UNUSED_PAD src0_sel:WORD_0 src1_sel:DWORD
	v_mov_b32_e32 v48, 0x7c010000
	s_mov_b32 s20, exec_lo
	v_cmpx_ne_u32_e32 0x7f, v50
	s_cbranch_execz .LBB288_1443
; %bb.1440:                             ;   in Loop: Header=BB288_1066 Depth=1
	v_and_b32_sdwa v48, v0, v64 dst_sel:DWORD dst_unused:UNUSED_PAD src0_sel:WORD_0 src1_sel:DWORD
	v_lshrrev_b32_e32 v49, 3, v50
	s_mov_b32 s21, exec_lo
	v_cmpx_gt_u32_e32 8, v50
; %bb.1441:                             ;   in Loop: Header=BB288_1066 Depth=1
	v_ffbh_u32_e32 v26, v48
	v_min_u32_e32 v26, 32, v26
	v_subrev_nc_u32_e32 v27, 28, v26
	v_lshlrev_b64 v[48:49], v27, v[0:1]
	v_sub_nc_u32_e32 v49, 29, v26
	v_and_b32_e32 v48, 7, v48
; %bb.1442:                             ;   in Loop: Header=BB288_1066 Depth=1
	s_or_b32 exec_lo, exec_lo, s21
	v_lshlrev_b32_sdwa v0, v80, v0 dst_sel:DWORD dst_unused:UNUSED_PAD src0_sel:DWORD src1_sel:WORD_0
	v_lshl_add_u32 v26, v49, 10, 0x2000
	v_and_or_b32 v0, 0x8000, v0, v26
	v_lshlrev_b32_e32 v26, 23, v48
	v_lshl_or_b32 v48, v0, 16, v26
.LBB288_1443:                           ;   in Loop: Header=BB288_1066 Depth=1
	s_or_b32 exec_lo, exec_lo, s20
.LBB288_1444:                           ;   in Loop: Header=BB288_1066 Depth=1
	s_or_b32 exec_lo, exec_lo, s18
.LBB288_1445:                           ;   in Loop: Header=BB288_1066 Depth=1
	s_or_b32 exec_lo, exec_lo, s17
	v_lshrrev_b32_e32 v0, 16, v12
	v_cmp_ne_u16_sdwa s5, v0, v1 src0_sel:BYTE_0 src1_sel:DWORD
	s_and_saveexec_b32 s17, s5
	s_cbranch_execz .LBB288_1453
; %bb.1446:                             ;   in Loop: Header=BB288_1066 Depth=1
	v_cmp_ne_u16_sdwa s5, v0, v17 src0_sel:BYTE_0 src1_sel:DWORD
	v_mov_b32_e32 v36, 0x8000
	s_and_saveexec_b32 s18, s5
	s_cbranch_execz .LBB288_1452
; %bb.1447:                             ;   in Loop: Header=BB288_1066 Depth=1
	v_bfe_u32 v50, v12, 16, 7
	v_mov_b32_e32 v36, 0x7c01
	s_mov_b32 s20, exec_lo
	v_cmpx_ne_u32_e32 0x7f, v50
	s_cbranch_execz .LBB288_1451
; %bb.1448:                             ;   in Loop: Header=BB288_1066 Depth=1
	v_and_b32_e32 v36, 7, v0
	v_lshrrev_b32_e32 v49, 3, v50
	s_mov_b32 s21, exec_lo
	v_cmpx_gt_u32_e32 8, v50
; %bb.1449:                             ;   in Loop: Header=BB288_1066 Depth=1
	v_ffbh_u32_e32 v26, v36
	v_min_u32_e32 v26, 32, v26
	v_subrev_nc_u32_e32 v27, 28, v26
	v_sub_nc_u32_e32 v49, 29, v26
	v_lshlrev_b64 v[50:51], v27, v[0:1]
	v_and_b32_e32 v36, 7, v50
; %bb.1450:                             ;   in Loop: Header=BB288_1066 Depth=1
	s_or_b32 exec_lo, exec_lo, s21
	v_lshlrev_b32_e32 v0, 8, v0
	v_lshl_add_u32 v26, v49, 10, 0x2000
	v_lshlrev_b32_e32 v27, 7, v36
	v_and_b32_e32 v0, 0x8000, v0
	v_and_b32_e32 v26, 0xfc00, v26
	v_or3_b32 v36, v0, v26, v27
.LBB288_1451:                           ;   in Loop: Header=BB288_1066 Depth=1
	s_or_b32 exec_lo, exec_lo, s20
.LBB288_1452:                           ;   in Loop: Header=BB288_1066 Depth=1
	s_or_b32 exec_lo, exec_lo, s18
.LBB288_1453:                           ;   in Loop: Header=BB288_1066 Depth=1
	s_or_b32 exec_lo, exec_lo, s17
	v_cmp_lt_u64_e64 s5, s[12:13], v[11:12]
	v_mov_b32_e32 v11, 0
	s_and_saveexec_b32 s17, s5
	s_cbranch_execz .LBB288_1461
; %bb.1454:                             ;   in Loop: Header=BB288_1066 Depth=1
	v_lshrrev_b32_e32 v0, 24, v12
	v_bfrev_b32_e32 v11, 1
	s_mov_b32 s18, exec_lo
	v_cmpx_ne_u32_e32 0x80, v0
	s_cbranch_execz .LBB288_1460
; %bb.1455:                             ;   in Loop: Header=BB288_1066 Depth=1
	v_and_b32_e32 v49, 0x7f, v0
	v_mov_b32_e32 v11, 0x7c010000
	s_mov_b32 s20, exec_lo
	v_cmpx_ne_u32_e32 0x7f, v49
	s_cbranch_execz .LBB288_1459
; %bb.1456:                             ;   in Loop: Header=BB288_1066 Depth=1
	v_and_b32_e32 v11, 7, v0
	v_lshrrev_b32_e32 v12, 3, v49
	s_mov_b32 s21, exec_lo
	v_cmpx_gt_u32_e32 8, v49
; %bb.1457:                             ;   in Loop: Header=BB288_1066 Depth=1
	v_ffbh_u32_e32 v11, v11
	v_min_u32_e32 v26, 32, v11
	v_subrev_nc_u32_e32 v11, 28, v26
	v_lshlrev_b64 v[11:12], v11, v[0:1]
	v_sub_nc_u32_e32 v12, 29, v26
	v_and_b32_e32 v11, 7, v11
; %bb.1458:                             ;   in Loop: Header=BB288_1066 Depth=1
	s_or_b32 exec_lo, exec_lo, s21
	v_lshlrev_b32_e32 v0, 8, v0
	v_lshl_add_u32 v12, v12, 10, 0x2000
	v_lshlrev_b32_e32 v11, 23, v11
	v_and_or_b32 v0, 0x8000, v0, v12
	v_lshl_or_b32 v11, v0, 16, v11
.LBB288_1459:                           ;   in Loop: Header=BB288_1066 Depth=1
	s_or_b32 exec_lo, exec_lo, s20
.LBB288_1460:                           ;   in Loop: Header=BB288_1066 Depth=1
	s_or_b32 exec_lo, exec_lo, s18
.LBB288_1461:                           ;   in Loop: Header=BB288_1066 Depth=1
	s_or_b32 exec_lo, exec_lo, s17
	v_or_b32_e32 v0, v13, v22
	s_waitcnt vmcnt(0) lgkmcnt(0)
	v_fma_mixlo_f16 v12, v4, v13, 0 op_sel:[0,1,0] op_sel_hi:[0,1,0]
	v_or_b32_e32 v6, v5, v6
	v_fma_mixlo_f16 v5, v4, v5, 0 op_sel:[0,1,0] op_sel_hi:[0,1,0]
	v_or_b32_e32 v13, v48, v37
	v_fma_mixlo_f16 v22, v4, v0, 0 op_sel_hi:[0,1,0]
	v_or_b32_e32 v26, v11, v36
	v_lshlrev_b32_e32 v0, 16, v12
	v_lshlrev_b32_e32 v12, 16, v5
	v_fma_mixlo_f16 v6, v4, v6, 0 op_sel_hi:[0,1,0]
	v_and_b32_e32 v5, 0xffff, v22
	v_fma_mixlo_f16 v22, v4, v48, 0 op_sel:[0,1,0] op_sel_hi:[0,1,0]
	v_fma_mixlo_f16 v13, v4, v13, 0 op_sel_hi:[0,1,0]
	v_fma_mixlo_f16 v11, v4, v11, 0 op_sel:[0,1,0] op_sel_hi:[0,1,0]
	v_fma_mixlo_f16 v26, v4, v26, 0 op_sel_hi:[0,1,0]
	v_and_b32_e32 v49, 0xffff, v6
	v_lshlrev_b32_e32 v6, 16, v22
	v_and_b32_e32 v22, 0xffff, v13
	v_lshlrev_b32_e32 v4, 16, v11
	v_and_b32_e32 v11, 0xffff, v26
	v_or_b32_e32 v13, v0, v5
	v_or_b32_e32 v48, v12, v49
	;; [unrolled: 1-line block ×4, first 2 shown]
	s_and_saveexec_b32 s17, vcc_lo
	s_cbranch_execz .LBB288_1463
; %bb.1462:                             ;   in Loop: Header=BB288_1066 Depth=1
	v_cmp_lt_i32_e64 s5, v18, v38
	v_cndmask_b32_e64 v13, 0, v49, s5
	v_cmp_lt_i32_e64 s5, v100, v38
	v_cndmask_b32_e64 v12, 0, v12, s5
	v_cmp_lt_i32_e64 s5, v99, v38
	v_or_b32_e32 v48, v13, v12
	v_cndmask_b32_e64 v5, 0, v5, s5
	v_cmp_lt_i32_e64 s5, v98, v38
	v_cndmask_b32_e64 v0, 0, v0, s5
	v_cmp_lt_i32_e64 s5, v97, v38
	v_or_b32_e32 v13, v5, v0
	;; [unrolled: 5-line block ×3, first 2 shown]
	v_cndmask_b32_e64 v11, 0, v11, s5
	v_cmp_lt_i32_e64 s5, v86, v38
	v_cndmask_b32_e64 v4, 0, v4, s5
	v_or_b32_e32 v36, v11, v4
.LBB288_1463:                           ;   in Loop: Header=BB288_1066 Depth=1
	s_or_b32 exec_lo, exec_lo, s17
	;;#ASMSTART
	v_pk_mul_f16 v0, v85, v48;

	;;#ASMEND
	;;#ASMSTART
	v_pk_mul_f16 v4, v84, v13;

	;;#ASMEND
	;; [unrolled: 4-line block ×4, first 2 shown]
	;;#ASMSTART
	v_pk_add_f16 v0, v0, v4;

	;;#ASMEND
	;;#ASMSTART
	v_pk_add_f16 v0, v0, v5;

	;;#ASMEND
	;; [unrolled: 4-line block ×3, first 2 shown]
	v_and_b32_e32 v4, 0xffff, v0
	v_lshrrev_b32_e32 v0, 16, v0
	;;#ASMSTART
	v_cvt_f32_f16 v117, v4;
	;;#ASMEND
	;;#ASMSTART
	v_cvt_f32_f16 v118, v0;
	;;#ASMEND
	flat_load_dwordx2 v[11:12], v[9:10] offset:1536
	s_clause 0x1
	buffer_load_dword v4, off, s[0:3], s32 offset:200
	buffer_load_dword v5, off, s[0:3], s32 offset:204
	v_mov_b32_e32 v6, 0
	s_waitcnt vmcnt(2) lgkmcnt(0)
	v_cmp_ne_u16_sdwa s5, v11, v1 src0_sel:BYTE_0 src1_sel:DWORD
	s_waitcnt vmcnt(0)
	flat_load_dword v4, v[4:5]
	v_mov_b32_e32 v5, 0
	s_and_saveexec_b32 s17, s5
	s_cbranch_execz .LBB288_1471
; %bb.1464:                             ;   in Loop: Header=BB288_1066 Depth=1
	v_cmp_ne_u16_sdwa s5, v11, v17 src0_sel:BYTE_0 src1_sel:DWORD
	v_mov_b32_e32 v6, 0x8000
	s_and_saveexec_b32 s18, s5
	s_cbranch_execz .LBB288_1470
; %bb.1465:                             ;   in Loop: Header=BB288_1066 Depth=1
	v_and_b32_e32 v13, 0x7f, v11
	v_mov_b32_e32 v6, 0x7c01
	s_mov_b32 s20, exec_lo
	v_cmpx_ne_u32_e32 0x7f, v13
	s_cbranch_execz .LBB288_1469
; %bb.1466:                             ;   in Loop: Header=BB288_1066 Depth=1
	v_and_b32_e32 v0, 7, v11
	v_lshrrev_b32_e32 v6, 3, v13
	s_mov_b32 s21, exec_lo
	v_cmpx_gt_u32_e32 8, v13
; %bb.1467:                             ;   in Loop: Header=BB288_1066 Depth=1
	v_ffbh_u32_e32 v0, v0
	v_min_u32_e32 v0, 32, v0
	v_subrev_nc_u32_e32 v6, 28, v0
	v_lshlrev_b64 v[36:37], v6, v[11:12]
	v_sub_nc_u32_e32 v6, 29, v0
	v_and_b32_e32 v0, 7, v36
; %bb.1468:                             ;   in Loop: Header=BB288_1066 Depth=1
	s_or_b32 exec_lo, exec_lo, s21
	v_lshlrev_b32_e32 v13, 8, v11
	v_lshl_add_u32 v6, v6, 10, 0x2000
	v_lshlrev_b32_e32 v0, 7, v0
	v_and_b32_e32 v13, 0x8000, v13
	v_and_b32_e32 v6, 0xfc00, v6
	v_or3_b32 v6, v13, v6, v0
.LBB288_1469:                           ;   in Loop: Header=BB288_1066 Depth=1
	s_or_b32 exec_lo, exec_lo, s20
.LBB288_1470:                           ;   in Loop: Header=BB288_1066 Depth=1
	s_or_b32 exec_lo, exec_lo, s18
.LBB288_1471:                           ;   in Loop: Header=BB288_1066 Depth=1
	s_or_b32 exec_lo, exec_lo, s17
	v_lshrrev_b16 v0, 8, v11
	s_mov_b32 s17, exec_lo
	v_cmpx_ne_u16_e32 0, v0
	s_cbranch_execz .LBB288_1479
; %bb.1472:                             ;   in Loop: Header=BB288_1066 Depth=1
	v_bfrev_b32_e32 v5, 1
	s_mov_b32 s18, exec_lo
	v_cmpx_ne_u16_e32 0x80, v0
	s_cbranch_execz .LBB288_1478
; %bb.1473:                             ;   in Loop: Header=BB288_1066 Depth=1
	v_and_b32_sdwa v22, v0, v54 dst_sel:DWORD dst_unused:UNUSED_PAD src0_sel:WORD_0 src1_sel:DWORD
	v_mov_b32_e32 v5, 0x7c010000
	s_mov_b32 s20, exec_lo
	v_cmpx_ne_u32_e32 0x7f, v22
	s_cbranch_execz .LBB288_1477
; %bb.1474:                             ;   in Loop: Header=BB288_1066 Depth=1
	v_and_b32_sdwa v5, v0, v64 dst_sel:DWORD dst_unused:UNUSED_PAD src0_sel:WORD_0 src1_sel:DWORD
	v_lshrrev_b32_e32 v13, 3, v22
	s_mov_b32 s21, exec_lo
	v_cmpx_gt_u32_e32 8, v22
; %bb.1475:                             ;   in Loop: Header=BB288_1066 Depth=1
	v_ffbh_u32_e32 v5, v5
	v_min_u32_e32 v5, 32, v5
	v_subrev_nc_u32_e32 v13, 28, v5
	v_lshlrev_b64 v[36:37], v13, v[0:1]
	v_sub_nc_u32_e32 v13, 29, v5
	v_and_b32_e32 v5, 7, v36
; %bb.1476:                             ;   in Loop: Header=BB288_1066 Depth=1
	s_or_b32 exec_lo, exec_lo, s21
	v_lshlrev_b32_sdwa v0, v80, v0 dst_sel:DWORD dst_unused:UNUSED_PAD src0_sel:DWORD src1_sel:WORD_0
	v_lshl_add_u32 v13, v13, 10, 0x2000
	v_lshlrev_b32_e32 v5, 23, v5
	v_and_or_b32 v0, 0x8000, v0, v13
	v_lshl_or_b32 v5, v0, 16, v5
.LBB288_1477:                           ;   in Loop: Header=BB288_1066 Depth=1
	s_or_b32 exec_lo, exec_lo, s20
.LBB288_1478:                           ;   in Loop: Header=BB288_1066 Depth=1
	s_or_b32 exec_lo, exec_lo, s18
.LBB288_1479:                           ;   in Loop: Header=BB288_1066 Depth=1
	s_or_b32 exec_lo, exec_lo, s17
	v_lshrrev_b32_e32 v0, 16, v11
	v_mov_b32_e32 v13, 0
	v_mov_b32_e32 v22, 0
	v_cmp_ne_u16_sdwa s5, v0, v1 src0_sel:BYTE_0 src1_sel:DWORD
	s_and_saveexec_b32 s17, s5
	s_cbranch_execz .LBB288_1487
; %bb.1480:                             ;   in Loop: Header=BB288_1066 Depth=1
	v_cmp_ne_u16_sdwa s5, v0, v17 src0_sel:BYTE_0 src1_sel:DWORD
	v_mov_b32_e32 v22, 0x8000
	s_and_saveexec_b32 s18, s5
	s_cbranch_execz .LBB288_1486
; %bb.1481:                             ;   in Loop: Header=BB288_1066 Depth=1
	v_bfe_u32 v37, v11, 16, 7
	v_mov_b32_e32 v22, 0x7c01
	s_mov_b32 s20, exec_lo
	v_cmpx_ne_u32_e32 0x7f, v37
	s_cbranch_execz .LBB288_1485
; %bb.1482:                             ;   in Loop: Header=BB288_1066 Depth=1
	v_and_b32_e32 v22, 7, v0
	v_lshrrev_b32_e32 v36, 3, v37
	s_mov_b32 s21, exec_lo
	v_cmpx_gt_u32_e32 8, v37
; %bb.1483:                             ;   in Loop: Header=BB288_1066 Depth=1
	v_ffbh_u32_e32 v22, v22
	v_min_u32_e32 v22, 32, v22
	v_subrev_nc_u32_e32 v26, 28, v22
	v_sub_nc_u32_e32 v36, 29, v22
	v_lshlrev_b64 v[48:49], v26, v[0:1]
	v_and_b32_e32 v22, 7, v48
; %bb.1484:                             ;   in Loop: Header=BB288_1066 Depth=1
	s_or_b32 exec_lo, exec_lo, s21
	v_lshlrev_b32_e32 v0, 8, v0
	v_lshl_add_u32 v26, v36, 10, 0x2000
	v_lshlrev_b32_e32 v22, 7, v22
	v_and_b32_e32 v0, 0x8000, v0
	v_and_b32_e32 v26, 0xfc00, v26
	v_or3_b32 v22, v0, v26, v22
.LBB288_1485:                           ;   in Loop: Header=BB288_1066 Depth=1
	s_or_b32 exec_lo, exec_lo, s20
.LBB288_1486:                           ;   in Loop: Header=BB288_1066 Depth=1
	s_or_b32 exec_lo, exec_lo, s18
.LBB288_1487:                           ;   in Loop: Header=BB288_1066 Depth=1
	s_or_b32 exec_lo, exec_lo, s17
	s_mov_b32 s17, exec_lo
	v_cmpx_lt_u32_e32 0xffffff, v11
	s_cbranch_execz .LBB288_1495
; %bb.1488:                             ;   in Loop: Header=BB288_1066 Depth=1
	v_lshrrev_b32_e32 v0, 24, v11
	v_bfrev_b32_e32 v13, 1
	s_mov_b32 s18, exec_lo
	v_cmpx_ne_u32_e32 0x80, v0
	s_cbranch_execz .LBB288_1494
; %bb.1489:                             ;   in Loop: Header=BB288_1066 Depth=1
	v_and_b32_e32 v37, 0x7f, v0
	v_mov_b32_e32 v13, 0x7c010000
	s_mov_b32 s20, exec_lo
	v_cmpx_ne_u32_e32 0x7f, v37
	s_cbranch_execz .LBB288_1493
; %bb.1490:                             ;   in Loop: Header=BB288_1066 Depth=1
	v_and_b32_e32 v13, 7, v0
	v_lshrrev_b32_e32 v36, 3, v37
	s_mov_b32 s21, exec_lo
	v_cmpx_gt_u32_e32 8, v37
; %bb.1491:                             ;   in Loop: Header=BB288_1066 Depth=1
	v_ffbh_u32_e32 v13, v13
	v_min_u32_e32 v13, 32, v13
	v_subrev_nc_u32_e32 v26, 28, v13
	v_sub_nc_u32_e32 v36, 29, v13
	v_lshlrev_b64 v[48:49], v26, v[0:1]
	v_and_b32_e32 v13, 7, v48
; %bb.1492:                             ;   in Loop: Header=BB288_1066 Depth=1
	s_or_b32 exec_lo, exec_lo, s21
	v_lshlrev_b32_e32 v0, 8, v0
	v_lshl_add_u32 v26, v36, 10, 0x2000
	v_lshlrev_b32_e32 v13, 23, v13
	v_and_or_b32 v0, 0x8000, v0, v26
	v_lshl_or_b32 v13, v0, 16, v13
.LBB288_1493:                           ;   in Loop: Header=BB288_1066 Depth=1
	s_or_b32 exec_lo, exec_lo, s20
.LBB288_1494:                           ;   in Loop: Header=BB288_1066 Depth=1
	s_or_b32 exec_lo, exec_lo, s18
.LBB288_1495:                           ;   in Loop: Header=BB288_1066 Depth=1
	s_or_b32 exec_lo, exec_lo, s17
	v_mov_b32_e32 v0, v12
	v_cmp_ne_u16_sdwa s5, v12, v1 src0_sel:BYTE_0 src1_sel:DWORD
	v_mov_b32_e32 v36, 0
	v_mov_b32_e32 v37, 0
	s_and_saveexec_b32 s17, s5
	s_cbranch_execz .LBB288_1503
; %bb.1496:                             ;   in Loop: Header=BB288_1066 Depth=1
	v_cmp_ne_u16_sdwa s5, v12, v17 src0_sel:BYTE_0 src1_sel:DWORD
	v_mov_b32_e32 v37, 0x8000
	s_and_saveexec_b32 s18, s5
	s_cbranch_execz .LBB288_1502
; %bb.1497:                             ;   in Loop: Header=BB288_1066 Depth=1
	v_and_b32_e32 v49, 0x7f, v12
	v_mov_b32_e32 v37, 0x7c01
	s_mov_b32 s20, exec_lo
	v_cmpx_ne_u32_e32 0x7f, v49
	s_cbranch_execz .LBB288_1501
; %bb.1498:                             ;   in Loop: Header=BB288_1066 Depth=1
	v_and_b32_e32 v37, 7, v12
	v_lshrrev_b32_e32 v48, 3, v49
	s_mov_b32 s21, exec_lo
	v_cmpx_gt_u32_e32 8, v49
; %bb.1499:                             ;   in Loop: Header=BB288_1066 Depth=1
	v_ffbh_u32_e32 v26, v37
	v_min_u32_e32 v26, 32, v26
	v_subrev_nc_u32_e32 v27, 28, v26
	v_sub_nc_u32_e32 v48, 29, v26
	v_lshlrev_b64 v[49:50], v27, v[0:1]
	v_and_b32_e32 v37, 7, v49
; %bb.1500:                             ;   in Loop: Header=BB288_1066 Depth=1
	s_or_b32 exec_lo, exec_lo, s21
	v_lshlrev_b32_e32 v26, 8, v12
	v_lshl_add_u32 v27, v48, 10, 0x2000
	v_lshlrev_b32_e32 v37, 7, v37
	v_and_b32_e32 v26, 0x8000, v26
	v_and_b32_e32 v27, 0xfc00, v27
	v_or3_b32 v37, v26, v27, v37
.LBB288_1501:                           ;   in Loop: Header=BB288_1066 Depth=1
	s_or_b32 exec_lo, exec_lo, s20
.LBB288_1502:                           ;   in Loop: Header=BB288_1066 Depth=1
	s_or_b32 exec_lo, exec_lo, s18
.LBB288_1503:                           ;   in Loop: Header=BB288_1066 Depth=1
	s_or_b32 exec_lo, exec_lo, s17
	v_lshrrev_b16 v0, 8, v0
	v_mov_b32_e32 v48, 0
	s_mov_b32 s17, exec_lo
	v_cmpx_ne_u16_e32 0, v0
	s_cbranch_execz .LBB288_1511
; %bb.1504:                             ;   in Loop: Header=BB288_1066 Depth=1
	v_bfrev_b32_e32 v48, 1
	s_mov_b32 s18, exec_lo
	v_cmpx_ne_u16_e32 0x80, v0
	s_cbranch_execz .LBB288_1510
; %bb.1505:                             ;   in Loop: Header=BB288_1066 Depth=1
	v_and_b32_sdwa v50, v0, v54 dst_sel:DWORD dst_unused:UNUSED_PAD src0_sel:WORD_0 src1_sel:DWORD
	v_mov_b32_e32 v48, 0x7c010000
	s_mov_b32 s20, exec_lo
	v_cmpx_ne_u32_e32 0x7f, v50
	s_cbranch_execz .LBB288_1509
; %bb.1506:                             ;   in Loop: Header=BB288_1066 Depth=1
	v_and_b32_sdwa v48, v0, v64 dst_sel:DWORD dst_unused:UNUSED_PAD src0_sel:WORD_0 src1_sel:DWORD
	v_lshrrev_b32_e32 v49, 3, v50
	s_mov_b32 s21, exec_lo
	v_cmpx_gt_u32_e32 8, v50
; %bb.1507:                             ;   in Loop: Header=BB288_1066 Depth=1
	v_ffbh_u32_e32 v26, v48
	v_min_u32_e32 v26, 32, v26
	v_subrev_nc_u32_e32 v27, 28, v26
	v_lshlrev_b64 v[48:49], v27, v[0:1]
	v_sub_nc_u32_e32 v49, 29, v26
	v_and_b32_e32 v48, 7, v48
; %bb.1508:                             ;   in Loop: Header=BB288_1066 Depth=1
	s_or_b32 exec_lo, exec_lo, s21
	v_lshlrev_b32_sdwa v0, v80, v0 dst_sel:DWORD dst_unused:UNUSED_PAD src0_sel:DWORD src1_sel:WORD_0
	v_lshl_add_u32 v26, v49, 10, 0x2000
	v_and_or_b32 v0, 0x8000, v0, v26
	v_lshlrev_b32_e32 v26, 23, v48
	v_lshl_or_b32 v48, v0, 16, v26
.LBB288_1509:                           ;   in Loop: Header=BB288_1066 Depth=1
	s_or_b32 exec_lo, exec_lo, s20
.LBB288_1510:                           ;   in Loop: Header=BB288_1066 Depth=1
	s_or_b32 exec_lo, exec_lo, s18
.LBB288_1511:                           ;   in Loop: Header=BB288_1066 Depth=1
	s_or_b32 exec_lo, exec_lo, s17
	v_lshrrev_b32_e32 v0, 16, v12
	v_cmp_ne_u16_sdwa s5, v0, v1 src0_sel:BYTE_0 src1_sel:DWORD
	s_and_saveexec_b32 s17, s5
	s_cbranch_execz .LBB288_1519
; %bb.1512:                             ;   in Loop: Header=BB288_1066 Depth=1
	v_cmp_ne_u16_sdwa s5, v0, v17 src0_sel:BYTE_0 src1_sel:DWORD
	v_mov_b32_e32 v36, 0x8000
	s_and_saveexec_b32 s18, s5
	s_cbranch_execz .LBB288_1518
; %bb.1513:                             ;   in Loop: Header=BB288_1066 Depth=1
	v_bfe_u32 v50, v12, 16, 7
	v_mov_b32_e32 v36, 0x7c01
	s_mov_b32 s20, exec_lo
	v_cmpx_ne_u32_e32 0x7f, v50
	s_cbranch_execz .LBB288_1517
; %bb.1514:                             ;   in Loop: Header=BB288_1066 Depth=1
	v_and_b32_e32 v36, 7, v0
	v_lshrrev_b32_e32 v49, 3, v50
	s_mov_b32 s21, exec_lo
	v_cmpx_gt_u32_e32 8, v50
; %bb.1515:                             ;   in Loop: Header=BB288_1066 Depth=1
	v_ffbh_u32_e32 v26, v36
	v_min_u32_e32 v26, 32, v26
	v_subrev_nc_u32_e32 v27, 28, v26
	v_sub_nc_u32_e32 v49, 29, v26
	v_lshlrev_b64 v[50:51], v27, v[0:1]
	v_and_b32_e32 v36, 7, v50
; %bb.1516:                             ;   in Loop: Header=BB288_1066 Depth=1
	s_or_b32 exec_lo, exec_lo, s21
	v_lshlrev_b32_e32 v0, 8, v0
	v_lshl_add_u32 v26, v49, 10, 0x2000
	v_lshlrev_b32_e32 v27, 7, v36
	v_and_b32_e32 v0, 0x8000, v0
	v_and_b32_e32 v26, 0xfc00, v26
	v_or3_b32 v36, v0, v26, v27
.LBB288_1517:                           ;   in Loop: Header=BB288_1066 Depth=1
	s_or_b32 exec_lo, exec_lo, s20
.LBB288_1518:                           ;   in Loop: Header=BB288_1066 Depth=1
	s_or_b32 exec_lo, exec_lo, s18
.LBB288_1519:                           ;   in Loop: Header=BB288_1066 Depth=1
	s_or_b32 exec_lo, exec_lo, s17
	v_cmp_lt_u64_e64 s5, s[12:13], v[11:12]
	v_mov_b32_e32 v11, 0
	s_and_saveexec_b32 s17, s5
	s_cbranch_execz .LBB288_1527
; %bb.1520:                             ;   in Loop: Header=BB288_1066 Depth=1
	v_lshrrev_b32_e32 v0, 24, v12
	v_bfrev_b32_e32 v11, 1
	s_mov_b32 s18, exec_lo
	v_cmpx_ne_u32_e32 0x80, v0
	s_cbranch_execz .LBB288_1526
; %bb.1521:                             ;   in Loop: Header=BB288_1066 Depth=1
	v_and_b32_e32 v49, 0x7f, v0
	v_mov_b32_e32 v11, 0x7c010000
	s_mov_b32 s20, exec_lo
	v_cmpx_ne_u32_e32 0x7f, v49
	s_cbranch_execz .LBB288_1525
; %bb.1522:                             ;   in Loop: Header=BB288_1066 Depth=1
	v_and_b32_e32 v11, 7, v0
	v_lshrrev_b32_e32 v12, 3, v49
	s_mov_b32 s21, exec_lo
	v_cmpx_gt_u32_e32 8, v49
; %bb.1523:                             ;   in Loop: Header=BB288_1066 Depth=1
	v_ffbh_u32_e32 v11, v11
	v_min_u32_e32 v26, 32, v11
	v_subrev_nc_u32_e32 v11, 28, v26
	v_lshlrev_b64 v[11:12], v11, v[0:1]
	v_sub_nc_u32_e32 v12, 29, v26
	v_and_b32_e32 v11, 7, v11
; %bb.1524:                             ;   in Loop: Header=BB288_1066 Depth=1
	s_or_b32 exec_lo, exec_lo, s21
	v_lshlrev_b32_e32 v0, 8, v0
	v_lshl_add_u32 v12, v12, 10, 0x2000
	v_lshlrev_b32_e32 v11, 23, v11
	v_and_or_b32 v0, 0x8000, v0, v12
	v_lshl_or_b32 v11, v0, 16, v11
.LBB288_1525:                           ;   in Loop: Header=BB288_1066 Depth=1
	s_or_b32 exec_lo, exec_lo, s20
.LBB288_1526:                           ;   in Loop: Header=BB288_1066 Depth=1
	s_or_b32 exec_lo, exec_lo, s18
.LBB288_1527:                           ;   in Loop: Header=BB288_1066 Depth=1
	s_or_b32 exec_lo, exec_lo, s17
	v_or_b32_e32 v0, v13, v22
	s_waitcnt vmcnt(0) lgkmcnt(0)
	v_fma_mixlo_f16 v12, v4, v13, 0 op_sel:[0,1,0] op_sel_hi:[0,1,0]
	v_or_b32_e32 v6, v5, v6
	v_fma_mixlo_f16 v5, v4, v5, 0 op_sel:[0,1,0] op_sel_hi:[0,1,0]
	v_or_b32_e32 v13, v48, v37
	v_fma_mixlo_f16 v22, v4, v0, 0 op_sel_hi:[0,1,0]
	v_or_b32_e32 v26, v11, v36
	v_lshlrev_b32_e32 v0, 16, v12
	v_lshlrev_b32_e32 v12, 16, v5
	v_fma_mixlo_f16 v6, v4, v6, 0 op_sel_hi:[0,1,0]
	v_and_b32_e32 v5, 0xffff, v22
	v_fma_mixlo_f16 v22, v4, v48, 0 op_sel:[0,1,0] op_sel_hi:[0,1,0]
	v_fma_mixlo_f16 v13, v4, v13, 0 op_sel_hi:[0,1,0]
	v_fma_mixlo_f16 v11, v4, v11, 0 op_sel:[0,1,0] op_sel_hi:[0,1,0]
	v_fma_mixlo_f16 v26, v4, v26, 0 op_sel_hi:[0,1,0]
	v_and_b32_e32 v49, 0xffff, v6
	v_lshlrev_b32_e32 v6, 16, v22
	v_and_b32_e32 v22, 0xffff, v13
	v_lshlrev_b32_e32 v4, 16, v11
	v_and_b32_e32 v11, 0xffff, v26
	v_or_b32_e32 v13, v0, v5
	v_or_b32_e32 v48, v12, v49
	;; [unrolled: 1-line block ×4, first 2 shown]
	s_and_saveexec_b32 s17, vcc_lo
	s_cbranch_execz .LBB288_1529
; %bb.1528:                             ;   in Loop: Header=BB288_1066 Depth=1
	v_cmp_lt_i32_e64 s5, v18, v38
	v_cndmask_b32_e64 v13, 0, v49, s5
	v_cmp_lt_i32_e64 s5, v100, v38
	v_cndmask_b32_e64 v12, 0, v12, s5
	v_cmp_lt_i32_e64 s5, v99, v38
	v_or_b32_e32 v48, v13, v12
	v_cndmask_b32_e64 v5, 0, v5, s5
	v_cmp_lt_i32_e64 s5, v98, v38
	v_cndmask_b32_e64 v0, 0, v0, s5
	v_cmp_lt_i32_e64 s5, v97, v38
	v_or_b32_e32 v13, v5, v0
	;; [unrolled: 5-line block ×3, first 2 shown]
	v_cndmask_b32_e64 v11, 0, v11, s5
	v_cmp_lt_i32_e64 s5, v86, v38
	v_cndmask_b32_e64 v4, 0, v4, s5
	v_or_b32_e32 v36, v11, v4
.LBB288_1529:                           ;   in Loop: Header=BB288_1066 Depth=1
	s_or_b32 exec_lo, exec_lo, s17
	;;#ASMSTART
	v_pk_mul_f16 v0, v85, v48;

	;;#ASMEND
	;;#ASMSTART
	v_pk_mul_f16 v4, v84, v13;

	;;#ASMEND
	;; [unrolled: 4-line block ×4, first 2 shown]
	;;#ASMSTART
	v_pk_add_f16 v0, v0, v4;

	;;#ASMEND
	;;#ASMSTART
	v_pk_add_f16 v0, v0, v5;

	;;#ASMEND
	;; [unrolled: 4-line block ×3, first 2 shown]
	v_and_b32_e32 v4, 0xffff, v0
	v_lshrrev_b32_e32 v0, 16, v0
	;;#ASMSTART
	v_cvt_f32_f16 v119, v4;
	;;#ASMEND
	;;#ASMSTART
	v_cvt_f32_f16 v40, v0;
	;;#ASMEND
	flat_load_dwordx2 v[11:12], v[9:10] offset:1792
	s_clause 0x1
	buffer_load_dword v4, off, s[0:3], s32 offset:200
	buffer_load_dword v5, off, s[0:3], s32 offset:204
	v_mov_b32_e32 v6, 0
	s_waitcnt vmcnt(2) lgkmcnt(0)
	v_cmp_ne_u16_sdwa s5, v11, v1 src0_sel:BYTE_0 src1_sel:DWORD
	s_waitcnt vmcnt(0)
	flat_load_dword v4, v[4:5]
	v_mov_b32_e32 v5, 0
	s_and_saveexec_b32 s17, s5
	s_cbranch_execz .LBB288_1537
; %bb.1530:                             ;   in Loop: Header=BB288_1066 Depth=1
	v_cmp_ne_u16_sdwa s5, v11, v17 src0_sel:BYTE_0 src1_sel:DWORD
	v_mov_b32_e32 v6, 0x8000
	s_and_saveexec_b32 s18, s5
	s_cbranch_execz .LBB288_1536
; %bb.1531:                             ;   in Loop: Header=BB288_1066 Depth=1
	v_and_b32_e32 v13, 0x7f, v11
	v_mov_b32_e32 v6, 0x7c01
	s_mov_b32 s20, exec_lo
	v_cmpx_ne_u32_e32 0x7f, v13
	s_cbranch_execz .LBB288_1535
; %bb.1532:                             ;   in Loop: Header=BB288_1066 Depth=1
	v_and_b32_e32 v0, 7, v11
	v_lshrrev_b32_e32 v6, 3, v13
	s_mov_b32 s21, exec_lo
	v_cmpx_gt_u32_e32 8, v13
; %bb.1533:                             ;   in Loop: Header=BB288_1066 Depth=1
	v_ffbh_u32_e32 v0, v0
	v_min_u32_e32 v0, 32, v0
	v_subrev_nc_u32_e32 v6, 28, v0
	v_lshlrev_b64 v[36:37], v6, v[11:12]
	v_sub_nc_u32_e32 v6, 29, v0
	v_and_b32_e32 v0, 7, v36
; %bb.1534:                             ;   in Loop: Header=BB288_1066 Depth=1
	s_or_b32 exec_lo, exec_lo, s21
	v_lshlrev_b32_e32 v13, 8, v11
	v_lshl_add_u32 v6, v6, 10, 0x2000
	v_lshlrev_b32_e32 v0, 7, v0
	v_and_b32_e32 v13, 0x8000, v13
	v_and_b32_e32 v6, 0xfc00, v6
	v_or3_b32 v6, v13, v6, v0
.LBB288_1535:                           ;   in Loop: Header=BB288_1066 Depth=1
	s_or_b32 exec_lo, exec_lo, s20
.LBB288_1536:                           ;   in Loop: Header=BB288_1066 Depth=1
	s_or_b32 exec_lo, exec_lo, s18
.LBB288_1537:                           ;   in Loop: Header=BB288_1066 Depth=1
	s_or_b32 exec_lo, exec_lo, s17
	v_lshrrev_b16 v0, 8, v11
	s_mov_b32 s17, exec_lo
	v_cmpx_ne_u16_e32 0, v0
	s_cbranch_execz .LBB288_1545
; %bb.1538:                             ;   in Loop: Header=BB288_1066 Depth=1
	v_bfrev_b32_e32 v5, 1
	s_mov_b32 s18, exec_lo
	v_cmpx_ne_u16_e32 0x80, v0
	s_cbranch_execz .LBB288_1544
; %bb.1539:                             ;   in Loop: Header=BB288_1066 Depth=1
	v_and_b32_sdwa v22, v0, v54 dst_sel:DWORD dst_unused:UNUSED_PAD src0_sel:WORD_0 src1_sel:DWORD
	v_mov_b32_e32 v5, 0x7c010000
	s_mov_b32 s20, exec_lo
	v_cmpx_ne_u32_e32 0x7f, v22
	s_cbranch_execz .LBB288_1543
; %bb.1540:                             ;   in Loop: Header=BB288_1066 Depth=1
	v_and_b32_sdwa v5, v0, v64 dst_sel:DWORD dst_unused:UNUSED_PAD src0_sel:WORD_0 src1_sel:DWORD
	v_lshrrev_b32_e32 v13, 3, v22
	s_mov_b32 s21, exec_lo
	v_cmpx_gt_u32_e32 8, v22
; %bb.1541:                             ;   in Loop: Header=BB288_1066 Depth=1
	v_ffbh_u32_e32 v5, v5
	v_min_u32_e32 v5, 32, v5
	v_subrev_nc_u32_e32 v13, 28, v5
	v_lshlrev_b64 v[36:37], v13, v[0:1]
	v_sub_nc_u32_e32 v13, 29, v5
	v_and_b32_e32 v5, 7, v36
; %bb.1542:                             ;   in Loop: Header=BB288_1066 Depth=1
	s_or_b32 exec_lo, exec_lo, s21
	v_lshlrev_b32_sdwa v0, v80, v0 dst_sel:DWORD dst_unused:UNUSED_PAD src0_sel:DWORD src1_sel:WORD_0
	v_lshl_add_u32 v13, v13, 10, 0x2000
	v_lshlrev_b32_e32 v5, 23, v5
	v_and_or_b32 v0, 0x8000, v0, v13
	v_lshl_or_b32 v5, v0, 16, v5
.LBB288_1543:                           ;   in Loop: Header=BB288_1066 Depth=1
	s_or_b32 exec_lo, exec_lo, s20
.LBB288_1544:                           ;   in Loop: Header=BB288_1066 Depth=1
	s_or_b32 exec_lo, exec_lo, s18
.LBB288_1545:                           ;   in Loop: Header=BB288_1066 Depth=1
	s_or_b32 exec_lo, exec_lo, s17
	v_lshrrev_b32_e32 v0, 16, v11
	v_mov_b32_e32 v13, 0
	v_mov_b32_e32 v22, 0
	v_cmp_ne_u16_sdwa s5, v0, v1 src0_sel:BYTE_0 src1_sel:DWORD
	s_and_saveexec_b32 s17, s5
	s_cbranch_execz .LBB288_1553
; %bb.1546:                             ;   in Loop: Header=BB288_1066 Depth=1
	v_cmp_ne_u16_sdwa s5, v0, v17 src0_sel:BYTE_0 src1_sel:DWORD
	v_mov_b32_e32 v22, 0x8000
	s_and_saveexec_b32 s18, s5
	s_cbranch_execz .LBB288_1552
; %bb.1547:                             ;   in Loop: Header=BB288_1066 Depth=1
	v_bfe_u32 v37, v11, 16, 7
	v_mov_b32_e32 v22, 0x7c01
	s_mov_b32 s20, exec_lo
	v_cmpx_ne_u32_e32 0x7f, v37
	s_cbranch_execz .LBB288_1551
; %bb.1548:                             ;   in Loop: Header=BB288_1066 Depth=1
	v_and_b32_e32 v22, 7, v0
	v_lshrrev_b32_e32 v36, 3, v37
	s_mov_b32 s21, exec_lo
	v_cmpx_gt_u32_e32 8, v37
; %bb.1549:                             ;   in Loop: Header=BB288_1066 Depth=1
	v_ffbh_u32_e32 v22, v22
	v_min_u32_e32 v22, 32, v22
	v_subrev_nc_u32_e32 v26, 28, v22
	v_sub_nc_u32_e32 v36, 29, v22
	v_lshlrev_b64 v[48:49], v26, v[0:1]
	v_and_b32_e32 v22, 7, v48
; %bb.1550:                             ;   in Loop: Header=BB288_1066 Depth=1
	s_or_b32 exec_lo, exec_lo, s21
	v_lshlrev_b32_e32 v0, 8, v0
	v_lshl_add_u32 v26, v36, 10, 0x2000
	v_lshlrev_b32_e32 v22, 7, v22
	v_and_b32_e32 v0, 0x8000, v0
	v_and_b32_e32 v26, 0xfc00, v26
	v_or3_b32 v22, v0, v26, v22
.LBB288_1551:                           ;   in Loop: Header=BB288_1066 Depth=1
	s_or_b32 exec_lo, exec_lo, s20
.LBB288_1552:                           ;   in Loop: Header=BB288_1066 Depth=1
	s_or_b32 exec_lo, exec_lo, s18
.LBB288_1553:                           ;   in Loop: Header=BB288_1066 Depth=1
	s_or_b32 exec_lo, exec_lo, s17
	s_mov_b32 s17, exec_lo
	v_cmpx_lt_u32_e32 0xffffff, v11
	s_cbranch_execz .LBB288_1561
; %bb.1554:                             ;   in Loop: Header=BB288_1066 Depth=1
	v_lshrrev_b32_e32 v0, 24, v11
	v_bfrev_b32_e32 v13, 1
	s_mov_b32 s18, exec_lo
	v_cmpx_ne_u32_e32 0x80, v0
	s_cbranch_execz .LBB288_1560
; %bb.1555:                             ;   in Loop: Header=BB288_1066 Depth=1
	v_and_b32_e32 v37, 0x7f, v0
	v_mov_b32_e32 v13, 0x7c010000
	s_mov_b32 s20, exec_lo
	v_cmpx_ne_u32_e32 0x7f, v37
	s_cbranch_execz .LBB288_1559
; %bb.1556:                             ;   in Loop: Header=BB288_1066 Depth=1
	v_and_b32_e32 v13, 7, v0
	v_lshrrev_b32_e32 v36, 3, v37
	s_mov_b32 s21, exec_lo
	v_cmpx_gt_u32_e32 8, v37
; %bb.1557:                             ;   in Loop: Header=BB288_1066 Depth=1
	v_ffbh_u32_e32 v13, v13
	v_min_u32_e32 v13, 32, v13
	v_subrev_nc_u32_e32 v26, 28, v13
	v_sub_nc_u32_e32 v36, 29, v13
	v_lshlrev_b64 v[48:49], v26, v[0:1]
	v_and_b32_e32 v13, 7, v48
; %bb.1558:                             ;   in Loop: Header=BB288_1066 Depth=1
	s_or_b32 exec_lo, exec_lo, s21
	v_lshlrev_b32_e32 v0, 8, v0
	v_lshl_add_u32 v26, v36, 10, 0x2000
	v_lshlrev_b32_e32 v13, 23, v13
	v_and_or_b32 v0, 0x8000, v0, v26
	v_lshl_or_b32 v13, v0, 16, v13
.LBB288_1559:                           ;   in Loop: Header=BB288_1066 Depth=1
	s_or_b32 exec_lo, exec_lo, s20
.LBB288_1560:                           ;   in Loop: Header=BB288_1066 Depth=1
	s_or_b32 exec_lo, exec_lo, s18
.LBB288_1561:                           ;   in Loop: Header=BB288_1066 Depth=1
	s_or_b32 exec_lo, exec_lo, s17
	v_mov_b32_e32 v0, v12
	v_cmp_ne_u16_sdwa s5, v12, v1 src0_sel:BYTE_0 src1_sel:DWORD
	v_mov_b32_e32 v36, 0
	v_mov_b32_e32 v37, 0
	s_and_saveexec_b32 s17, s5
	s_cbranch_execz .LBB288_1569
; %bb.1562:                             ;   in Loop: Header=BB288_1066 Depth=1
	v_cmp_ne_u16_sdwa s5, v12, v17 src0_sel:BYTE_0 src1_sel:DWORD
	v_mov_b32_e32 v37, 0x8000
	s_and_saveexec_b32 s18, s5
	s_cbranch_execz .LBB288_1568
; %bb.1563:                             ;   in Loop: Header=BB288_1066 Depth=1
	v_and_b32_e32 v49, 0x7f, v12
	v_mov_b32_e32 v37, 0x7c01
	s_mov_b32 s20, exec_lo
	v_cmpx_ne_u32_e32 0x7f, v49
	s_cbranch_execz .LBB288_1567
; %bb.1564:                             ;   in Loop: Header=BB288_1066 Depth=1
	v_and_b32_e32 v37, 7, v12
	v_lshrrev_b32_e32 v48, 3, v49
	s_mov_b32 s21, exec_lo
	v_cmpx_gt_u32_e32 8, v49
; %bb.1565:                             ;   in Loop: Header=BB288_1066 Depth=1
	v_ffbh_u32_e32 v26, v37
	v_min_u32_e32 v26, 32, v26
	v_subrev_nc_u32_e32 v27, 28, v26
	v_sub_nc_u32_e32 v48, 29, v26
	v_lshlrev_b64 v[49:50], v27, v[0:1]
	v_and_b32_e32 v37, 7, v49
; %bb.1566:                             ;   in Loop: Header=BB288_1066 Depth=1
	s_or_b32 exec_lo, exec_lo, s21
	v_lshlrev_b32_e32 v26, 8, v12
	v_lshl_add_u32 v27, v48, 10, 0x2000
	v_lshlrev_b32_e32 v37, 7, v37
	v_and_b32_e32 v26, 0x8000, v26
	v_and_b32_e32 v27, 0xfc00, v27
	v_or3_b32 v37, v26, v27, v37
.LBB288_1567:                           ;   in Loop: Header=BB288_1066 Depth=1
	s_or_b32 exec_lo, exec_lo, s20
.LBB288_1568:                           ;   in Loop: Header=BB288_1066 Depth=1
	s_or_b32 exec_lo, exec_lo, s18
.LBB288_1569:                           ;   in Loop: Header=BB288_1066 Depth=1
	s_or_b32 exec_lo, exec_lo, s17
	v_lshrrev_b16 v0, 8, v0
	v_mov_b32_e32 v48, 0
	s_mov_b32 s17, exec_lo
	v_cmpx_ne_u16_e32 0, v0
	s_cbranch_execz .LBB288_1577
; %bb.1570:                             ;   in Loop: Header=BB288_1066 Depth=1
	v_bfrev_b32_e32 v48, 1
	s_mov_b32 s18, exec_lo
	v_cmpx_ne_u16_e32 0x80, v0
	s_cbranch_execz .LBB288_1576
; %bb.1571:                             ;   in Loop: Header=BB288_1066 Depth=1
	v_and_b32_sdwa v50, v0, v54 dst_sel:DWORD dst_unused:UNUSED_PAD src0_sel:WORD_0 src1_sel:DWORD
	v_mov_b32_e32 v48, 0x7c010000
	s_mov_b32 s20, exec_lo
	v_cmpx_ne_u32_e32 0x7f, v50
	s_cbranch_execz .LBB288_1575
; %bb.1572:                             ;   in Loop: Header=BB288_1066 Depth=1
	v_and_b32_sdwa v48, v0, v64 dst_sel:DWORD dst_unused:UNUSED_PAD src0_sel:WORD_0 src1_sel:DWORD
	v_lshrrev_b32_e32 v49, 3, v50
	s_mov_b32 s21, exec_lo
	v_cmpx_gt_u32_e32 8, v50
; %bb.1573:                             ;   in Loop: Header=BB288_1066 Depth=1
	v_ffbh_u32_e32 v26, v48
	v_min_u32_e32 v26, 32, v26
	v_subrev_nc_u32_e32 v27, 28, v26
	v_lshlrev_b64 v[48:49], v27, v[0:1]
	v_sub_nc_u32_e32 v49, 29, v26
	v_and_b32_e32 v48, 7, v48
; %bb.1574:                             ;   in Loop: Header=BB288_1066 Depth=1
	s_or_b32 exec_lo, exec_lo, s21
	v_lshlrev_b32_sdwa v0, v80, v0 dst_sel:DWORD dst_unused:UNUSED_PAD src0_sel:DWORD src1_sel:WORD_0
	v_lshl_add_u32 v26, v49, 10, 0x2000
	v_and_or_b32 v0, 0x8000, v0, v26
	v_lshlrev_b32_e32 v26, 23, v48
	v_lshl_or_b32 v48, v0, 16, v26
.LBB288_1575:                           ;   in Loop: Header=BB288_1066 Depth=1
	s_or_b32 exec_lo, exec_lo, s20
.LBB288_1576:                           ;   in Loop: Header=BB288_1066 Depth=1
	s_or_b32 exec_lo, exec_lo, s18
.LBB288_1577:                           ;   in Loop: Header=BB288_1066 Depth=1
	s_or_b32 exec_lo, exec_lo, s17
	v_lshrrev_b32_e32 v0, 16, v12
	v_cmp_ne_u16_sdwa s5, v0, v1 src0_sel:BYTE_0 src1_sel:DWORD
	s_and_saveexec_b32 s17, s5
	s_cbranch_execz .LBB288_1585
; %bb.1578:                             ;   in Loop: Header=BB288_1066 Depth=1
	v_cmp_ne_u16_sdwa s5, v0, v17 src0_sel:BYTE_0 src1_sel:DWORD
	v_mov_b32_e32 v36, 0x8000
	s_and_saveexec_b32 s18, s5
	s_cbranch_execz .LBB288_1584
; %bb.1579:                             ;   in Loop: Header=BB288_1066 Depth=1
	v_bfe_u32 v50, v12, 16, 7
	v_mov_b32_e32 v36, 0x7c01
	s_mov_b32 s20, exec_lo
	v_cmpx_ne_u32_e32 0x7f, v50
	s_cbranch_execz .LBB288_1583
; %bb.1580:                             ;   in Loop: Header=BB288_1066 Depth=1
	v_and_b32_e32 v36, 7, v0
	v_lshrrev_b32_e32 v49, 3, v50
	s_mov_b32 s21, exec_lo
	v_cmpx_gt_u32_e32 8, v50
; %bb.1581:                             ;   in Loop: Header=BB288_1066 Depth=1
	v_ffbh_u32_e32 v26, v36
	v_min_u32_e32 v26, 32, v26
	v_subrev_nc_u32_e32 v27, 28, v26
	v_sub_nc_u32_e32 v49, 29, v26
	v_lshlrev_b64 v[50:51], v27, v[0:1]
	v_and_b32_e32 v36, 7, v50
; %bb.1582:                             ;   in Loop: Header=BB288_1066 Depth=1
	s_or_b32 exec_lo, exec_lo, s21
	v_lshlrev_b32_e32 v0, 8, v0
	v_lshl_add_u32 v26, v49, 10, 0x2000
	v_lshlrev_b32_e32 v27, 7, v36
	v_and_b32_e32 v0, 0x8000, v0
	v_and_b32_e32 v26, 0xfc00, v26
	v_or3_b32 v36, v0, v26, v27
.LBB288_1583:                           ;   in Loop: Header=BB288_1066 Depth=1
	s_or_b32 exec_lo, exec_lo, s20
.LBB288_1584:                           ;   in Loop: Header=BB288_1066 Depth=1
	s_or_b32 exec_lo, exec_lo, s18
.LBB288_1585:                           ;   in Loop: Header=BB288_1066 Depth=1
	s_or_b32 exec_lo, exec_lo, s17
	v_cmp_lt_u64_e64 s5, s[12:13], v[11:12]
	v_mov_b32_e32 v11, 0
	s_and_saveexec_b32 s17, s5
	s_cbranch_execz .LBB288_1593
; %bb.1586:                             ;   in Loop: Header=BB288_1066 Depth=1
	v_lshrrev_b32_e32 v0, 24, v12
	v_bfrev_b32_e32 v11, 1
	s_mov_b32 s18, exec_lo
	v_cmpx_ne_u32_e32 0x80, v0
	s_cbranch_execz .LBB288_1592
; %bb.1587:                             ;   in Loop: Header=BB288_1066 Depth=1
	v_and_b32_e32 v49, 0x7f, v0
	v_mov_b32_e32 v11, 0x7c010000
	s_mov_b32 s20, exec_lo
	v_cmpx_ne_u32_e32 0x7f, v49
	s_cbranch_execz .LBB288_1591
; %bb.1588:                             ;   in Loop: Header=BB288_1066 Depth=1
	v_and_b32_e32 v11, 7, v0
	v_lshrrev_b32_e32 v12, 3, v49
	s_mov_b32 s21, exec_lo
	v_cmpx_gt_u32_e32 8, v49
; %bb.1589:                             ;   in Loop: Header=BB288_1066 Depth=1
	v_ffbh_u32_e32 v11, v11
	v_min_u32_e32 v26, 32, v11
	v_subrev_nc_u32_e32 v11, 28, v26
	v_lshlrev_b64 v[11:12], v11, v[0:1]
	v_sub_nc_u32_e32 v12, 29, v26
	v_and_b32_e32 v11, 7, v11
; %bb.1590:                             ;   in Loop: Header=BB288_1066 Depth=1
	s_or_b32 exec_lo, exec_lo, s21
	v_lshlrev_b32_e32 v0, 8, v0
	v_lshl_add_u32 v12, v12, 10, 0x2000
	v_lshlrev_b32_e32 v11, 23, v11
	v_and_or_b32 v0, 0x8000, v0, v12
	v_lshl_or_b32 v11, v0, 16, v11
.LBB288_1591:                           ;   in Loop: Header=BB288_1066 Depth=1
	s_or_b32 exec_lo, exec_lo, s20
.LBB288_1592:                           ;   in Loop: Header=BB288_1066 Depth=1
	s_or_b32 exec_lo, exec_lo, s18
.LBB288_1593:                           ;   in Loop: Header=BB288_1066 Depth=1
	s_or_b32 exec_lo, exec_lo, s17
	v_or_b32_e32 v0, v13, v22
	s_waitcnt vmcnt(0) lgkmcnt(0)
	v_fma_mixlo_f16 v12, v4, v13, 0 op_sel:[0,1,0] op_sel_hi:[0,1,0]
	v_or_b32_e32 v6, v5, v6
	v_fma_mixlo_f16 v5, v4, v5, 0 op_sel:[0,1,0] op_sel_hi:[0,1,0]
	v_or_b32_e32 v13, v48, v37
	v_fma_mixlo_f16 v22, v4, v0, 0 op_sel_hi:[0,1,0]
	v_or_b32_e32 v26, v11, v36
	v_lshlrev_b32_e32 v0, 16, v12
	v_lshlrev_b32_e32 v12, 16, v5
	v_fma_mixlo_f16 v6, v4, v6, 0 op_sel_hi:[0,1,0]
	v_and_b32_e32 v5, 0xffff, v22
	v_fma_mixlo_f16 v22, v4, v48, 0 op_sel:[0,1,0] op_sel_hi:[0,1,0]
	v_fma_mixlo_f16 v13, v4, v13, 0 op_sel_hi:[0,1,0]
	v_fma_mixlo_f16 v11, v4, v11, 0 op_sel:[0,1,0] op_sel_hi:[0,1,0]
	v_fma_mixlo_f16 v26, v4, v26, 0 op_sel_hi:[0,1,0]
	v_and_b32_e32 v49, 0xffff, v6
	v_lshlrev_b32_e32 v6, 16, v22
	v_and_b32_e32 v22, 0xffff, v13
	v_lshlrev_b32_e32 v4, 16, v11
	v_and_b32_e32 v11, 0xffff, v26
	v_or_b32_e32 v13, v0, v5
	v_or_b32_e32 v48, v12, v49
	;; [unrolled: 1-line block ×4, first 2 shown]
	s_and_saveexec_b32 s17, vcc_lo
	s_cbranch_execz .LBB288_1595
; %bb.1594:                             ;   in Loop: Header=BB288_1066 Depth=1
	v_cmp_lt_i32_e64 s5, v18, v38
	v_cndmask_b32_e64 v13, 0, v49, s5
	v_cmp_lt_i32_e64 s5, v100, v38
	v_cndmask_b32_e64 v12, 0, v12, s5
	v_cmp_lt_i32_e64 s5, v99, v38
	v_or_b32_e32 v48, v13, v12
	v_cndmask_b32_e64 v5, 0, v5, s5
	v_cmp_lt_i32_e64 s5, v98, v38
	v_cndmask_b32_e64 v0, 0, v0, s5
	v_cmp_lt_i32_e64 s5, v97, v38
	v_or_b32_e32 v13, v5, v0
	;; [unrolled: 5-line block ×3, first 2 shown]
	v_cndmask_b32_e64 v11, 0, v11, s5
	v_cmp_lt_i32_e64 s5, v86, v38
	v_cndmask_b32_e64 v4, 0, v4, s5
	v_or_b32_e32 v36, v11, v4
.LBB288_1595:                           ;   in Loop: Header=BB288_1066 Depth=1
	s_or_b32 exec_lo, exec_lo, s17
	v_add_co_u32 v9, s5, 0x800, v9
	v_add_co_ci_u32_e64 v10, null, 0, v10, s5
	;;#ASMSTART
	v_pk_mul_f16 v0, v85, v48;

	;;#ASMEND
	;;#ASMSTART
	v_pk_mul_f16 v4, v84, v13;

	;;#ASMEND
	;; [unrolled: 4-line block ×4, first 2 shown]
	;;#ASMSTART
	v_pk_add_f16 v0, v0, v4;

	;;#ASMEND
	;;#ASMSTART
	v_pk_add_f16 v0, v0, v5;

	;;#ASMEND
	;;#ASMSTART
	v_pk_add_f16 v0, v0, v6;

	;;#ASMEND
	v_lshrrev_b32_e32 v4, 16, v0
	v_and_b32_e32 v0, 0xffff, v0
	;;#ASMSTART
	v_cvt_f32_f16 v41, v0;
	;;#ASMEND
	;;#ASMSTART
	v_cvt_f32_f16 v42, v4;
	;;#ASMEND
	flat_load_dwordx2 v[11:12], v[9:10]
	s_clause 0x1
	buffer_load_dword v4, off, s[0:3], s32 offset:200
	buffer_load_dword v5, off, s[0:3], s32 offset:204
	v_mov_b32_e32 v6, 0
	s_waitcnt vmcnt(2) lgkmcnt(0)
	v_cmp_ne_u16_sdwa s5, v11, v1 src0_sel:BYTE_0 src1_sel:DWORD
	s_waitcnt vmcnt(0)
	flat_load_dword v4, v[4:5]
	v_mov_b32_e32 v5, 0
	s_and_saveexec_b32 s17, s5
	s_cbranch_execz .LBB288_1603
; %bb.1596:                             ;   in Loop: Header=BB288_1066 Depth=1
	v_cmp_ne_u16_sdwa s5, v11, v17 src0_sel:BYTE_0 src1_sel:DWORD
	v_mov_b32_e32 v6, 0x8000
	s_and_saveexec_b32 s18, s5
	s_cbranch_execz .LBB288_1602
; %bb.1597:                             ;   in Loop: Header=BB288_1066 Depth=1
	v_and_b32_e32 v13, 0x7f, v11
	v_mov_b32_e32 v6, 0x7c01
	s_mov_b32 s20, exec_lo
	v_cmpx_ne_u32_e32 0x7f, v13
	s_cbranch_execz .LBB288_1601
; %bb.1598:                             ;   in Loop: Header=BB288_1066 Depth=1
	v_and_b32_e32 v0, 7, v11
	v_lshrrev_b32_e32 v6, 3, v13
	s_mov_b32 s21, exec_lo
	v_cmpx_gt_u32_e32 8, v13
; %bb.1599:                             ;   in Loop: Header=BB288_1066 Depth=1
	v_ffbh_u32_e32 v0, v0
	v_min_u32_e32 v0, 32, v0
	v_subrev_nc_u32_e32 v6, 28, v0
	v_lshlrev_b64 v[36:37], v6, v[11:12]
	v_sub_nc_u32_e32 v6, 29, v0
	v_and_b32_e32 v0, 7, v36
; %bb.1600:                             ;   in Loop: Header=BB288_1066 Depth=1
	s_or_b32 exec_lo, exec_lo, s21
	v_lshlrev_b32_e32 v13, 8, v11
	v_lshl_add_u32 v6, v6, 10, 0x2000
	v_lshlrev_b32_e32 v0, 7, v0
	v_and_b32_e32 v13, 0x8000, v13
	v_and_b32_e32 v6, 0xfc00, v6
	v_or3_b32 v6, v13, v6, v0
.LBB288_1601:                           ;   in Loop: Header=BB288_1066 Depth=1
	s_or_b32 exec_lo, exec_lo, s20
.LBB288_1602:                           ;   in Loop: Header=BB288_1066 Depth=1
	s_or_b32 exec_lo, exec_lo, s18
.LBB288_1603:                           ;   in Loop: Header=BB288_1066 Depth=1
	s_or_b32 exec_lo, exec_lo, s17
	v_lshrrev_b16 v0, 8, v11
	s_mov_b32 s17, exec_lo
	v_cmpx_ne_u16_e32 0, v0
	s_cbranch_execz .LBB288_1611
; %bb.1604:                             ;   in Loop: Header=BB288_1066 Depth=1
	v_bfrev_b32_e32 v5, 1
	s_mov_b32 s18, exec_lo
	v_cmpx_ne_u16_e32 0x80, v0
	s_cbranch_execz .LBB288_1610
; %bb.1605:                             ;   in Loop: Header=BB288_1066 Depth=1
	v_and_b32_sdwa v22, v0, v54 dst_sel:DWORD dst_unused:UNUSED_PAD src0_sel:WORD_0 src1_sel:DWORD
	v_mov_b32_e32 v5, 0x7c010000
	s_mov_b32 s20, exec_lo
	v_cmpx_ne_u32_e32 0x7f, v22
	s_cbranch_execz .LBB288_1609
; %bb.1606:                             ;   in Loop: Header=BB288_1066 Depth=1
	v_and_b32_sdwa v5, v0, v64 dst_sel:DWORD dst_unused:UNUSED_PAD src0_sel:WORD_0 src1_sel:DWORD
	v_lshrrev_b32_e32 v13, 3, v22
	s_mov_b32 s21, exec_lo
	v_cmpx_gt_u32_e32 8, v22
; %bb.1607:                             ;   in Loop: Header=BB288_1066 Depth=1
	v_ffbh_u32_e32 v5, v5
	v_min_u32_e32 v5, 32, v5
	v_subrev_nc_u32_e32 v13, 28, v5
	v_lshlrev_b64 v[36:37], v13, v[0:1]
	v_sub_nc_u32_e32 v13, 29, v5
	v_and_b32_e32 v5, 7, v36
; %bb.1608:                             ;   in Loop: Header=BB288_1066 Depth=1
	s_or_b32 exec_lo, exec_lo, s21
	v_lshlrev_b32_sdwa v0, v80, v0 dst_sel:DWORD dst_unused:UNUSED_PAD src0_sel:DWORD src1_sel:WORD_0
	v_lshl_add_u32 v13, v13, 10, 0x2000
	v_lshlrev_b32_e32 v5, 23, v5
	v_and_or_b32 v0, 0x8000, v0, v13
	v_lshl_or_b32 v5, v0, 16, v5
.LBB288_1609:                           ;   in Loop: Header=BB288_1066 Depth=1
	s_or_b32 exec_lo, exec_lo, s20
.LBB288_1610:                           ;   in Loop: Header=BB288_1066 Depth=1
	s_or_b32 exec_lo, exec_lo, s18
.LBB288_1611:                           ;   in Loop: Header=BB288_1066 Depth=1
	s_or_b32 exec_lo, exec_lo, s17
	v_lshrrev_b32_e32 v0, 16, v11
	v_mov_b32_e32 v13, 0
	v_mov_b32_e32 v22, 0
	v_cmp_ne_u16_sdwa s5, v0, v1 src0_sel:BYTE_0 src1_sel:DWORD
	s_and_saveexec_b32 s17, s5
	s_cbranch_execz .LBB288_1619
; %bb.1612:                             ;   in Loop: Header=BB288_1066 Depth=1
	v_cmp_ne_u16_sdwa s5, v0, v17 src0_sel:BYTE_0 src1_sel:DWORD
	v_mov_b32_e32 v22, 0x8000
	s_and_saveexec_b32 s18, s5
	s_cbranch_execz .LBB288_1618
; %bb.1613:                             ;   in Loop: Header=BB288_1066 Depth=1
	v_bfe_u32 v37, v11, 16, 7
	v_mov_b32_e32 v22, 0x7c01
	s_mov_b32 s20, exec_lo
	v_cmpx_ne_u32_e32 0x7f, v37
	s_cbranch_execz .LBB288_1617
; %bb.1614:                             ;   in Loop: Header=BB288_1066 Depth=1
	v_and_b32_e32 v22, 7, v0
	v_lshrrev_b32_e32 v36, 3, v37
	s_mov_b32 s21, exec_lo
	v_cmpx_gt_u32_e32 8, v37
; %bb.1615:                             ;   in Loop: Header=BB288_1066 Depth=1
	v_ffbh_u32_e32 v22, v22
	v_min_u32_e32 v22, 32, v22
	v_subrev_nc_u32_e32 v26, 28, v22
	v_sub_nc_u32_e32 v36, 29, v22
	v_lshlrev_b64 v[48:49], v26, v[0:1]
	v_and_b32_e32 v22, 7, v48
; %bb.1616:                             ;   in Loop: Header=BB288_1066 Depth=1
	s_or_b32 exec_lo, exec_lo, s21
	v_lshlrev_b32_e32 v0, 8, v0
	v_lshl_add_u32 v26, v36, 10, 0x2000
	v_lshlrev_b32_e32 v22, 7, v22
	v_and_b32_e32 v0, 0x8000, v0
	v_and_b32_e32 v26, 0xfc00, v26
	v_or3_b32 v22, v0, v26, v22
.LBB288_1617:                           ;   in Loop: Header=BB288_1066 Depth=1
	s_or_b32 exec_lo, exec_lo, s20
.LBB288_1618:                           ;   in Loop: Header=BB288_1066 Depth=1
	s_or_b32 exec_lo, exec_lo, s18
.LBB288_1619:                           ;   in Loop: Header=BB288_1066 Depth=1
	s_or_b32 exec_lo, exec_lo, s17
	s_mov_b32 s17, exec_lo
	v_cmpx_lt_u32_e32 0xffffff, v11
	s_cbranch_execz .LBB288_1627
; %bb.1620:                             ;   in Loop: Header=BB288_1066 Depth=1
	v_lshrrev_b32_e32 v0, 24, v11
	v_bfrev_b32_e32 v13, 1
	s_mov_b32 s18, exec_lo
	v_cmpx_ne_u32_e32 0x80, v0
	s_cbranch_execz .LBB288_1626
; %bb.1621:                             ;   in Loop: Header=BB288_1066 Depth=1
	v_and_b32_e32 v37, 0x7f, v0
	v_mov_b32_e32 v13, 0x7c010000
	s_mov_b32 s20, exec_lo
	v_cmpx_ne_u32_e32 0x7f, v37
	s_cbranch_execz .LBB288_1625
; %bb.1622:                             ;   in Loop: Header=BB288_1066 Depth=1
	v_and_b32_e32 v13, 7, v0
	v_lshrrev_b32_e32 v36, 3, v37
	s_mov_b32 s21, exec_lo
	v_cmpx_gt_u32_e32 8, v37
; %bb.1623:                             ;   in Loop: Header=BB288_1066 Depth=1
	v_ffbh_u32_e32 v13, v13
	v_min_u32_e32 v13, 32, v13
	v_subrev_nc_u32_e32 v26, 28, v13
	v_sub_nc_u32_e32 v36, 29, v13
	v_lshlrev_b64 v[48:49], v26, v[0:1]
	v_and_b32_e32 v13, 7, v48
; %bb.1624:                             ;   in Loop: Header=BB288_1066 Depth=1
	s_or_b32 exec_lo, exec_lo, s21
	v_lshlrev_b32_e32 v0, 8, v0
	v_lshl_add_u32 v26, v36, 10, 0x2000
	v_lshlrev_b32_e32 v13, 23, v13
	v_and_or_b32 v0, 0x8000, v0, v26
	v_lshl_or_b32 v13, v0, 16, v13
.LBB288_1625:                           ;   in Loop: Header=BB288_1066 Depth=1
	s_or_b32 exec_lo, exec_lo, s20
.LBB288_1626:                           ;   in Loop: Header=BB288_1066 Depth=1
	s_or_b32 exec_lo, exec_lo, s18
.LBB288_1627:                           ;   in Loop: Header=BB288_1066 Depth=1
	s_or_b32 exec_lo, exec_lo, s17
	v_mov_b32_e32 v0, v12
	v_cmp_ne_u16_sdwa s5, v12, v1 src0_sel:BYTE_0 src1_sel:DWORD
	v_mov_b32_e32 v36, 0
	v_mov_b32_e32 v37, 0
	s_and_saveexec_b32 s17, s5
	s_cbranch_execz .LBB288_1635
; %bb.1628:                             ;   in Loop: Header=BB288_1066 Depth=1
	v_cmp_ne_u16_sdwa s5, v12, v17 src0_sel:BYTE_0 src1_sel:DWORD
	v_mov_b32_e32 v37, 0x8000
	s_and_saveexec_b32 s18, s5
	s_cbranch_execz .LBB288_1634
; %bb.1629:                             ;   in Loop: Header=BB288_1066 Depth=1
	v_and_b32_e32 v49, 0x7f, v12
	v_mov_b32_e32 v37, 0x7c01
	s_mov_b32 s20, exec_lo
	v_cmpx_ne_u32_e32 0x7f, v49
	s_cbranch_execz .LBB288_1633
; %bb.1630:                             ;   in Loop: Header=BB288_1066 Depth=1
	v_and_b32_e32 v37, 7, v12
	v_lshrrev_b32_e32 v48, 3, v49
	s_mov_b32 s21, exec_lo
	v_cmpx_gt_u32_e32 8, v49
; %bb.1631:                             ;   in Loop: Header=BB288_1066 Depth=1
	v_ffbh_u32_e32 v26, v37
	v_min_u32_e32 v26, 32, v26
	v_subrev_nc_u32_e32 v27, 28, v26
	v_sub_nc_u32_e32 v48, 29, v26
	v_lshlrev_b64 v[49:50], v27, v[0:1]
	v_and_b32_e32 v37, 7, v49
; %bb.1632:                             ;   in Loop: Header=BB288_1066 Depth=1
	s_or_b32 exec_lo, exec_lo, s21
	v_lshlrev_b32_e32 v26, 8, v12
	v_lshl_add_u32 v27, v48, 10, 0x2000
	v_lshlrev_b32_e32 v37, 7, v37
	v_and_b32_e32 v26, 0x8000, v26
	v_and_b32_e32 v27, 0xfc00, v27
	v_or3_b32 v37, v26, v27, v37
.LBB288_1633:                           ;   in Loop: Header=BB288_1066 Depth=1
	s_or_b32 exec_lo, exec_lo, s20
.LBB288_1634:                           ;   in Loop: Header=BB288_1066 Depth=1
	s_or_b32 exec_lo, exec_lo, s18
.LBB288_1635:                           ;   in Loop: Header=BB288_1066 Depth=1
	s_or_b32 exec_lo, exec_lo, s17
	v_lshrrev_b16 v0, 8, v0
	v_mov_b32_e32 v48, 0
	s_mov_b32 s17, exec_lo
	v_cmpx_ne_u16_e32 0, v0
	s_cbranch_execz .LBB288_1643
; %bb.1636:                             ;   in Loop: Header=BB288_1066 Depth=1
	v_bfrev_b32_e32 v48, 1
	s_mov_b32 s18, exec_lo
	v_cmpx_ne_u16_e32 0x80, v0
	s_cbranch_execz .LBB288_1642
; %bb.1637:                             ;   in Loop: Header=BB288_1066 Depth=1
	v_and_b32_sdwa v50, v0, v54 dst_sel:DWORD dst_unused:UNUSED_PAD src0_sel:WORD_0 src1_sel:DWORD
	v_mov_b32_e32 v48, 0x7c010000
	s_mov_b32 s20, exec_lo
	v_cmpx_ne_u32_e32 0x7f, v50
	s_cbranch_execz .LBB288_1641
; %bb.1638:                             ;   in Loop: Header=BB288_1066 Depth=1
	v_and_b32_sdwa v48, v0, v64 dst_sel:DWORD dst_unused:UNUSED_PAD src0_sel:WORD_0 src1_sel:DWORD
	v_lshrrev_b32_e32 v49, 3, v50
	s_mov_b32 s21, exec_lo
	v_cmpx_gt_u32_e32 8, v50
; %bb.1639:                             ;   in Loop: Header=BB288_1066 Depth=1
	v_ffbh_u32_e32 v26, v48
	v_min_u32_e32 v26, 32, v26
	v_subrev_nc_u32_e32 v27, 28, v26
	v_lshlrev_b64 v[48:49], v27, v[0:1]
	v_sub_nc_u32_e32 v49, 29, v26
	v_and_b32_e32 v48, 7, v48
; %bb.1640:                             ;   in Loop: Header=BB288_1066 Depth=1
	s_or_b32 exec_lo, exec_lo, s21
	v_lshlrev_b32_sdwa v0, v80, v0 dst_sel:DWORD dst_unused:UNUSED_PAD src0_sel:DWORD src1_sel:WORD_0
	v_lshl_add_u32 v26, v49, 10, 0x2000
	v_and_or_b32 v0, 0x8000, v0, v26
	v_lshlrev_b32_e32 v26, 23, v48
	v_lshl_or_b32 v48, v0, 16, v26
.LBB288_1641:                           ;   in Loop: Header=BB288_1066 Depth=1
	s_or_b32 exec_lo, exec_lo, s20
.LBB288_1642:                           ;   in Loop: Header=BB288_1066 Depth=1
	s_or_b32 exec_lo, exec_lo, s18
.LBB288_1643:                           ;   in Loop: Header=BB288_1066 Depth=1
	s_or_b32 exec_lo, exec_lo, s17
	v_lshrrev_b32_e32 v0, 16, v12
	v_cmp_ne_u16_sdwa s5, v0, v1 src0_sel:BYTE_0 src1_sel:DWORD
	s_and_saveexec_b32 s17, s5
	s_cbranch_execz .LBB288_1651
; %bb.1644:                             ;   in Loop: Header=BB288_1066 Depth=1
	v_cmp_ne_u16_sdwa s5, v0, v17 src0_sel:BYTE_0 src1_sel:DWORD
	v_mov_b32_e32 v36, 0x8000
	s_and_saveexec_b32 s18, s5
	s_cbranch_execz .LBB288_1650
; %bb.1645:                             ;   in Loop: Header=BB288_1066 Depth=1
	v_bfe_u32 v50, v12, 16, 7
	v_mov_b32_e32 v36, 0x7c01
	s_mov_b32 s20, exec_lo
	v_cmpx_ne_u32_e32 0x7f, v50
	s_cbranch_execz .LBB288_1649
; %bb.1646:                             ;   in Loop: Header=BB288_1066 Depth=1
	v_and_b32_e32 v36, 7, v0
	v_lshrrev_b32_e32 v49, 3, v50
	s_mov_b32 s21, exec_lo
	v_cmpx_gt_u32_e32 8, v50
; %bb.1647:                             ;   in Loop: Header=BB288_1066 Depth=1
	v_ffbh_u32_e32 v26, v36
	v_min_u32_e32 v26, 32, v26
	v_subrev_nc_u32_e32 v27, 28, v26
	v_sub_nc_u32_e32 v49, 29, v26
	v_lshlrev_b64 v[50:51], v27, v[0:1]
	v_and_b32_e32 v36, 7, v50
; %bb.1648:                             ;   in Loop: Header=BB288_1066 Depth=1
	s_or_b32 exec_lo, exec_lo, s21
	v_lshlrev_b32_e32 v0, 8, v0
	v_lshl_add_u32 v26, v49, 10, 0x2000
	v_lshlrev_b32_e32 v27, 7, v36
	v_and_b32_e32 v0, 0x8000, v0
	v_and_b32_e32 v26, 0xfc00, v26
	v_or3_b32 v36, v0, v26, v27
.LBB288_1649:                           ;   in Loop: Header=BB288_1066 Depth=1
	s_or_b32 exec_lo, exec_lo, s20
.LBB288_1650:                           ;   in Loop: Header=BB288_1066 Depth=1
	s_or_b32 exec_lo, exec_lo, s18
.LBB288_1651:                           ;   in Loop: Header=BB288_1066 Depth=1
	s_or_b32 exec_lo, exec_lo, s17
	v_cmp_lt_u64_e64 s5, s[12:13], v[11:12]
	v_mov_b32_e32 v11, 0
	s_and_saveexec_b32 s17, s5
	s_cbranch_execz .LBB288_1659
; %bb.1652:                             ;   in Loop: Header=BB288_1066 Depth=1
	v_lshrrev_b32_e32 v0, 24, v12
	v_bfrev_b32_e32 v11, 1
	s_mov_b32 s18, exec_lo
	v_cmpx_ne_u32_e32 0x80, v0
	s_cbranch_execz .LBB288_1658
; %bb.1653:                             ;   in Loop: Header=BB288_1066 Depth=1
	v_and_b32_e32 v49, 0x7f, v0
	v_mov_b32_e32 v11, 0x7c010000
	s_mov_b32 s20, exec_lo
	v_cmpx_ne_u32_e32 0x7f, v49
	s_cbranch_execz .LBB288_1657
; %bb.1654:                             ;   in Loop: Header=BB288_1066 Depth=1
	v_and_b32_e32 v11, 7, v0
	v_lshrrev_b32_e32 v12, 3, v49
	s_mov_b32 s21, exec_lo
	v_cmpx_gt_u32_e32 8, v49
; %bb.1655:                             ;   in Loop: Header=BB288_1066 Depth=1
	v_ffbh_u32_e32 v11, v11
	v_min_u32_e32 v26, 32, v11
	v_subrev_nc_u32_e32 v11, 28, v26
	v_lshlrev_b64 v[11:12], v11, v[0:1]
	v_sub_nc_u32_e32 v12, 29, v26
	v_and_b32_e32 v11, 7, v11
; %bb.1656:                             ;   in Loop: Header=BB288_1066 Depth=1
	s_or_b32 exec_lo, exec_lo, s21
	v_lshlrev_b32_e32 v0, 8, v0
	v_lshl_add_u32 v12, v12, 10, 0x2000
	v_lshlrev_b32_e32 v11, 23, v11
	v_and_or_b32 v0, 0x8000, v0, v12
	v_lshl_or_b32 v11, v0, 16, v11
.LBB288_1657:                           ;   in Loop: Header=BB288_1066 Depth=1
	s_or_b32 exec_lo, exec_lo, s20
.LBB288_1658:                           ;   in Loop: Header=BB288_1066 Depth=1
	s_or_b32 exec_lo, exec_lo, s18
.LBB288_1659:                           ;   in Loop: Header=BB288_1066 Depth=1
	s_or_b32 exec_lo, exec_lo, s17
	v_or_b32_e32 v0, v13, v22
	s_waitcnt vmcnt(0) lgkmcnt(0)
	v_fma_mixlo_f16 v12, v4, v13, 0 op_sel:[0,1,0] op_sel_hi:[0,1,0]
	v_or_b32_e32 v6, v5, v6
	v_fma_mixlo_f16 v5, v4, v5, 0 op_sel:[0,1,0] op_sel_hi:[0,1,0]
	v_or_b32_e32 v13, v48, v37
	v_fma_mixlo_f16 v22, v4, v0, 0 op_sel_hi:[0,1,0]
	v_or_b32_e32 v26, v11, v36
	v_lshlrev_b32_e32 v0, 16, v12
	v_lshlrev_b32_e32 v12, 16, v5
	v_fma_mixlo_f16 v6, v4, v6, 0 op_sel_hi:[0,1,0]
	v_and_b32_e32 v5, 0xffff, v22
	v_fma_mixlo_f16 v22, v4, v48, 0 op_sel:[0,1,0] op_sel_hi:[0,1,0]
	v_fma_mixlo_f16 v13, v4, v13, 0 op_sel_hi:[0,1,0]
	v_fma_mixlo_f16 v11, v4, v11, 0 op_sel:[0,1,0] op_sel_hi:[0,1,0]
	v_fma_mixlo_f16 v26, v4, v26, 0 op_sel_hi:[0,1,0]
	v_and_b32_e32 v49, 0xffff, v6
	v_lshlrev_b32_e32 v6, 16, v22
	v_and_b32_e32 v22, 0xffff, v13
	v_lshlrev_b32_e32 v4, 16, v11
	v_and_b32_e32 v11, 0xffff, v26
	v_or_b32_e32 v13, v0, v5
	v_or_b32_e32 v48, v12, v49
	;; [unrolled: 1-line block ×4, first 2 shown]
	s_and_saveexec_b32 s17, vcc_lo
	s_cbranch_execz .LBB288_1661
; %bb.1660:                             ;   in Loop: Header=BB288_1066 Depth=1
	v_cmp_lt_i32_e64 s5, v18, v38
	v_cndmask_b32_e64 v13, 0, v49, s5
	v_cmp_lt_i32_e64 s5, v100, v38
	v_cndmask_b32_e64 v12, 0, v12, s5
	v_cmp_lt_i32_e64 s5, v99, v38
	v_or_b32_e32 v48, v13, v12
	v_cndmask_b32_e64 v5, 0, v5, s5
	v_cmp_lt_i32_e64 s5, v98, v38
	v_cndmask_b32_e64 v0, 0, v0, s5
	v_cmp_lt_i32_e64 s5, v97, v38
	v_or_b32_e32 v13, v5, v0
	;; [unrolled: 5-line block ×3, first 2 shown]
	v_cndmask_b32_e64 v11, 0, v11, s5
	v_cmp_lt_i32_e64 s5, v86, v38
	v_cndmask_b32_e64 v4, 0, v4, s5
	v_or_b32_e32 v36, v11, v4
.LBB288_1661:                           ;   in Loop: Header=BB288_1066 Depth=1
	s_or_b32 exec_lo, exec_lo, s17
	;;#ASMSTART
	v_pk_mul_f16 v0, v85, v48;

	;;#ASMEND
	;;#ASMSTART
	v_pk_mul_f16 v4, v84, v13;

	;;#ASMEND
	;; [unrolled: 4-line block ×4, first 2 shown]
	;;#ASMSTART
	v_pk_add_f16 v0, v0, v4;

	;;#ASMEND
	;;#ASMSTART
	v_pk_add_f16 v0, v0, v5;

	;;#ASMEND
	;; [unrolled: 4-line block ×3, first 2 shown]
	v_and_b32_e32 v4, 0xffff, v0
	v_lshrrev_b32_e32 v0, 16, v0
	;;#ASMSTART
	v_cvt_f32_f16 v4, v4;
	;;#ASMEND
	;;#ASMSTART
	v_cvt_f32_f16 v5, v0;
	;;#ASMEND
	flat_load_dwordx2 v[11:12], v[9:10] offset:256
	s_clause 0x1
	buffer_load_dword v26, off, s[0:3], s32 offset:200
	buffer_load_dword v27, off, s[0:3], s32 offset:204
	v_mov_b32_e32 v13, 0
	v_mov_b32_e32 v22, 0
	s_waitcnt vmcnt(2) lgkmcnt(0)
	v_cmp_ne_u16_sdwa s5, v11, v1 src0_sel:BYTE_0 src1_sel:DWORD
	s_waitcnt vmcnt(0)
	flat_load_dword v6, v[26:27]
	s_and_saveexec_b32 s17, s5
	s_cbranch_execz .LBB288_1669
; %bb.1662:                             ;   in Loop: Header=BB288_1066 Depth=1
	v_cmp_ne_u16_sdwa s5, v11, v17 src0_sel:BYTE_0 src1_sel:DWORD
	v_mov_b32_e32 v22, 0x8000
	s_and_saveexec_b32 s18, s5
	s_cbranch_execz .LBB288_1668
; %bb.1663:                             ;   in Loop: Header=BB288_1066 Depth=1
	v_and_b32_e32 v36, 0x7f, v11
	v_mov_b32_e32 v22, 0x7c01
	s_mov_b32 s20, exec_lo
	v_cmpx_ne_u32_e32 0x7f, v36
	s_cbranch_execz .LBB288_1667
; %bb.1664:                             ;   in Loop: Header=BB288_1066 Depth=1
	v_and_b32_e32 v0, 7, v11
	v_lshrrev_b32_e32 v22, 3, v36
	s_mov_b32 s21, exec_lo
	v_cmpx_gt_u32_e32 8, v36
; %bb.1665:                             ;   in Loop: Header=BB288_1066 Depth=1
	v_ffbh_u32_e32 v0, v0
	v_min_u32_e32 v0, 32, v0
	v_subrev_nc_u32_e32 v22, 28, v0
	v_lshlrev_b64 v[36:37], v22, v[11:12]
	v_sub_nc_u32_e32 v22, 29, v0
	v_and_b32_e32 v0, 7, v36
; %bb.1666:                             ;   in Loop: Header=BB288_1066 Depth=1
	s_or_b32 exec_lo, exec_lo, s21
	v_lshlrev_b32_e32 v26, 8, v11
	v_lshl_add_u32 v22, v22, 10, 0x2000
	v_lshlrev_b32_e32 v0, 7, v0
	v_and_b32_e32 v26, 0x8000, v26
	v_and_b32_e32 v22, 0xfc00, v22
	v_or3_b32 v22, v26, v22, v0
.LBB288_1667:                           ;   in Loop: Header=BB288_1066 Depth=1
	s_or_b32 exec_lo, exec_lo, s20
.LBB288_1668:                           ;   in Loop: Header=BB288_1066 Depth=1
	s_or_b32 exec_lo, exec_lo, s18
.LBB288_1669:                           ;   in Loop: Header=BB288_1066 Depth=1
	s_or_b32 exec_lo, exec_lo, s17
	v_lshrrev_b16 v0, 8, v11
	s_mov_b32 s17, exec_lo
	v_cmpx_ne_u16_e32 0, v0
	s_cbranch_execz .LBB288_1677
; %bb.1670:                             ;   in Loop: Header=BB288_1066 Depth=1
	v_bfrev_b32_e32 v13, 1
	s_mov_b32 s18, exec_lo
	v_cmpx_ne_u16_e32 0x80, v0
	s_cbranch_execz .LBB288_1676
; %bb.1671:                             ;   in Loop: Header=BB288_1066 Depth=1
	v_and_b32_sdwa v37, v0, v54 dst_sel:DWORD dst_unused:UNUSED_PAD src0_sel:WORD_0 src1_sel:DWORD
	v_mov_b32_e32 v13, 0x7c010000
	s_mov_b32 s20, exec_lo
	v_cmpx_ne_u32_e32 0x7f, v37
	s_cbranch_execz .LBB288_1675
; %bb.1672:                             ;   in Loop: Header=BB288_1066 Depth=1
	v_and_b32_sdwa v13, v0, v64 dst_sel:DWORD dst_unused:UNUSED_PAD src0_sel:WORD_0 src1_sel:DWORD
	v_lshrrev_b32_e32 v36, 3, v37
	s_mov_b32 s21, exec_lo
	v_cmpx_gt_u32_e32 8, v37
; %bb.1673:                             ;   in Loop: Header=BB288_1066 Depth=1
	v_ffbh_u32_e32 v13, v13
	v_min_u32_e32 v13, 32, v13
	v_subrev_nc_u32_e32 v26, 28, v13
	v_sub_nc_u32_e32 v36, 29, v13
	v_lshlrev_b64 v[48:49], v26, v[0:1]
	v_and_b32_e32 v13, 7, v48
; %bb.1674:                             ;   in Loop: Header=BB288_1066 Depth=1
	s_or_b32 exec_lo, exec_lo, s21
	v_lshlrev_b32_sdwa v0, v80, v0 dst_sel:DWORD dst_unused:UNUSED_PAD src0_sel:DWORD src1_sel:WORD_0
	v_lshl_add_u32 v26, v36, 10, 0x2000
	v_lshlrev_b32_e32 v13, 23, v13
	v_and_or_b32 v0, 0x8000, v0, v26
	v_lshl_or_b32 v13, v0, 16, v13
.LBB288_1675:                           ;   in Loop: Header=BB288_1066 Depth=1
	s_or_b32 exec_lo, exec_lo, s20
.LBB288_1676:                           ;   in Loop: Header=BB288_1066 Depth=1
	s_or_b32 exec_lo, exec_lo, s18
.LBB288_1677:                           ;   in Loop: Header=BB288_1066 Depth=1
	s_or_b32 exec_lo, exec_lo, s17
	v_lshrrev_b32_e32 v0, 16, v11
	v_mov_b32_e32 v36, 0
	v_mov_b32_e32 v37, 0
	v_cmp_ne_u16_sdwa s5, v0, v1 src0_sel:BYTE_0 src1_sel:DWORD
	s_and_saveexec_b32 s17, s5
	s_cbranch_execz .LBB288_1685
; %bb.1678:                             ;   in Loop: Header=BB288_1066 Depth=1
	v_cmp_ne_u16_sdwa s5, v0, v17 src0_sel:BYTE_0 src1_sel:DWORD
	v_mov_b32_e32 v37, 0x8000
	s_and_saveexec_b32 s18, s5
	s_cbranch_execz .LBB288_1684
; %bb.1679:                             ;   in Loop: Header=BB288_1066 Depth=1
	v_bfe_u32 v49, v11, 16, 7
	v_mov_b32_e32 v37, 0x7c01
	s_mov_b32 s20, exec_lo
	v_cmpx_ne_u32_e32 0x7f, v49
	s_cbranch_execz .LBB288_1683
; %bb.1680:                             ;   in Loop: Header=BB288_1066 Depth=1
	v_and_b32_e32 v37, 7, v0
	v_lshrrev_b32_e32 v48, 3, v49
	s_mov_b32 s21, exec_lo
	v_cmpx_gt_u32_e32 8, v49
; %bb.1681:                             ;   in Loop: Header=BB288_1066 Depth=1
	v_ffbh_u32_e32 v26, v37
	v_min_u32_e32 v26, 32, v26
	v_subrev_nc_u32_e32 v27, 28, v26
	v_sub_nc_u32_e32 v48, 29, v26
	v_lshlrev_b64 v[49:50], v27, v[0:1]
	v_and_b32_e32 v37, 7, v49
; %bb.1682:                             ;   in Loop: Header=BB288_1066 Depth=1
	s_or_b32 exec_lo, exec_lo, s21
	v_lshlrev_b32_e32 v0, 8, v0
	v_lshl_add_u32 v26, v48, 10, 0x2000
	v_lshlrev_b32_e32 v27, 7, v37
	v_and_b32_e32 v0, 0x8000, v0
	v_and_b32_e32 v26, 0xfc00, v26
	v_or3_b32 v37, v0, v26, v27
.LBB288_1683:                           ;   in Loop: Header=BB288_1066 Depth=1
	s_or_b32 exec_lo, exec_lo, s20
.LBB288_1684:                           ;   in Loop: Header=BB288_1066 Depth=1
	s_or_b32 exec_lo, exec_lo, s18
.LBB288_1685:                           ;   in Loop: Header=BB288_1066 Depth=1
	s_or_b32 exec_lo, exec_lo, s17
	s_mov_b32 s17, exec_lo
	v_cmpx_lt_u32_e32 0xffffff, v11
	s_cbranch_execz .LBB288_1693
; %bb.1686:                             ;   in Loop: Header=BB288_1066 Depth=1
	v_lshrrev_b32_e32 v0, 24, v11
	v_bfrev_b32_e32 v36, 1
	s_mov_b32 s18, exec_lo
	v_cmpx_ne_u32_e32 0x80, v0
	s_cbranch_execz .LBB288_1692
; %bb.1687:                             ;   in Loop: Header=BB288_1066 Depth=1
	v_and_b32_e32 v49, 0x7f, v0
	v_mov_b32_e32 v36, 0x7c010000
	s_mov_b32 s20, exec_lo
	v_cmpx_ne_u32_e32 0x7f, v49
	s_cbranch_execz .LBB288_1691
; %bb.1688:                             ;   in Loop: Header=BB288_1066 Depth=1
	v_and_b32_e32 v36, 7, v0
	v_lshrrev_b32_e32 v48, 3, v49
	s_mov_b32 s21, exec_lo
	v_cmpx_gt_u32_e32 8, v49
; %bb.1689:                             ;   in Loop: Header=BB288_1066 Depth=1
	v_ffbh_u32_e32 v26, v36
	v_min_u32_e32 v26, 32, v26
	v_subrev_nc_u32_e32 v27, 28, v26
	v_sub_nc_u32_e32 v48, 29, v26
	v_lshlrev_b64 v[49:50], v27, v[0:1]
	v_and_b32_e32 v36, 7, v49
; %bb.1690:                             ;   in Loop: Header=BB288_1066 Depth=1
	s_or_b32 exec_lo, exec_lo, s21
	v_lshlrev_b32_e32 v0, 8, v0
	v_lshl_add_u32 v26, v48, 10, 0x2000
	v_and_or_b32 v0, 0x8000, v0, v26
	v_lshlrev_b32_e32 v26, 23, v36
	v_lshl_or_b32 v36, v0, 16, v26
.LBB288_1691:                           ;   in Loop: Header=BB288_1066 Depth=1
	s_or_b32 exec_lo, exec_lo, s20
.LBB288_1692:                           ;   in Loop: Header=BB288_1066 Depth=1
	s_or_b32 exec_lo, exec_lo, s18
.LBB288_1693:                           ;   in Loop: Header=BB288_1066 Depth=1
	s_or_b32 exec_lo, exec_lo, s17
	v_mov_b32_e32 v0, v12
	v_cmp_ne_u16_sdwa s5, v12, v1 src0_sel:BYTE_0 src1_sel:DWORD
	v_mov_b32_e32 v48, 0
	v_mov_b32_e32 v49, 0
	s_and_saveexec_b32 s17, s5
	s_cbranch_execz .LBB288_1701
; %bb.1694:                             ;   in Loop: Header=BB288_1066 Depth=1
	v_cmp_ne_u16_sdwa s5, v12, v17 src0_sel:BYTE_0 src1_sel:DWORD
	v_mov_b32_e32 v49, 0x8000
	s_and_saveexec_b32 s18, s5
	s_cbranch_execz .LBB288_1700
; %bb.1695:                             ;   in Loop: Header=BB288_1066 Depth=1
	v_and_b32_e32 v51, 0x7f, v12
	v_mov_b32_e32 v49, 0x7c01
	s_mov_b32 s20, exec_lo
	v_cmpx_ne_u32_e32 0x7f, v51
	s_cbranch_execz .LBB288_1699
; %bb.1696:                             ;   in Loop: Header=BB288_1066 Depth=1
	v_and_b32_e32 v49, 7, v12
	v_lshrrev_b32_e32 v50, 3, v51
	s_mov_b32 s21, exec_lo
	v_cmpx_gt_u32_e32 8, v51
; %bb.1697:                             ;   in Loop: Header=BB288_1066 Depth=1
	v_ffbh_u32_e32 v26, v49
	v_min_u32_e32 v26, 32, v26
	v_subrev_nc_u32_e32 v27, 28, v26
	v_lshlrev_b64 v[49:50], v27, v[0:1]
	v_sub_nc_u32_e32 v50, 29, v26
	v_and_b32_e32 v49, 7, v49
; %bb.1698:                             ;   in Loop: Header=BB288_1066 Depth=1
	s_or_b32 exec_lo, exec_lo, s21
	v_lshlrev_b32_e32 v26, 8, v12
	v_lshl_add_u32 v27, v50, 10, 0x2000
	v_lshlrev_b32_e32 v49, 7, v49
	v_and_b32_e32 v26, 0x8000, v26
	v_and_b32_e32 v27, 0xfc00, v27
	v_or3_b32 v49, v26, v27, v49
.LBB288_1699:                           ;   in Loop: Header=BB288_1066 Depth=1
	s_or_b32 exec_lo, exec_lo, s20
.LBB288_1700:                           ;   in Loop: Header=BB288_1066 Depth=1
	s_or_b32 exec_lo, exec_lo, s18
.LBB288_1701:                           ;   in Loop: Header=BB288_1066 Depth=1
	s_or_b32 exec_lo, exec_lo, s17
	v_lshrrev_b16 v0, 8, v0
	v_mov_b32_e32 v50, 0
	s_mov_b32 s17, exec_lo
	v_cmpx_ne_u16_e32 0, v0
	s_cbranch_execz .LBB288_1709
; %bb.1702:                             ;   in Loop: Header=BB288_1066 Depth=1
	v_bfrev_b32_e32 v50, 1
	s_mov_b32 s18, exec_lo
	v_cmpx_ne_u16_e32 0x80, v0
	s_cbranch_execz .LBB288_1708
; %bb.1703:                             ;   in Loop: Header=BB288_1066 Depth=1
	v_and_b32_sdwa v52, v0, v54 dst_sel:DWORD dst_unused:UNUSED_PAD src0_sel:WORD_0 src1_sel:DWORD
	v_mov_b32_e32 v50, 0x7c010000
	s_mov_b32 s20, exec_lo
	v_cmpx_ne_u32_e32 0x7f, v52
	s_cbranch_execz .LBB288_1707
; %bb.1704:                             ;   in Loop: Header=BB288_1066 Depth=1
	v_and_b32_sdwa v50, v0, v64 dst_sel:DWORD dst_unused:UNUSED_PAD src0_sel:WORD_0 src1_sel:DWORD
	v_lshrrev_b32_e32 v51, 3, v52
	s_mov_b32 s21, exec_lo
	v_cmpx_gt_u32_e32 8, v52
; %bb.1705:                             ;   in Loop: Header=BB288_1066 Depth=1
	v_ffbh_u32_e32 v26, v50
	v_min_u32_e32 v26, 32, v26
	v_subrev_nc_u32_e32 v27, 28, v26
	v_lshlrev_b64 v[50:51], v27, v[0:1]
	v_sub_nc_u32_e32 v51, 29, v26
	v_and_b32_e32 v50, 7, v50
; %bb.1706:                             ;   in Loop: Header=BB288_1066 Depth=1
	s_or_b32 exec_lo, exec_lo, s21
	v_lshlrev_b32_sdwa v0, v80, v0 dst_sel:DWORD dst_unused:UNUSED_PAD src0_sel:DWORD src1_sel:WORD_0
	v_lshl_add_u32 v26, v51, 10, 0x2000
	v_and_or_b32 v0, 0x8000, v0, v26
	v_lshlrev_b32_e32 v26, 23, v50
	v_lshl_or_b32 v50, v0, 16, v26
.LBB288_1707:                           ;   in Loop: Header=BB288_1066 Depth=1
	s_or_b32 exec_lo, exec_lo, s20
.LBB288_1708:                           ;   in Loop: Header=BB288_1066 Depth=1
	s_or_b32 exec_lo, exec_lo, s18
.LBB288_1709:                           ;   in Loop: Header=BB288_1066 Depth=1
	s_or_b32 exec_lo, exec_lo, s17
	v_lshrrev_b32_e32 v0, 16, v12
	v_cmp_ne_u16_sdwa s5, v0, v1 src0_sel:BYTE_0 src1_sel:DWORD
	s_and_saveexec_b32 s17, s5
	s_cbranch_execz .LBB288_1717
; %bb.1710:                             ;   in Loop: Header=BB288_1066 Depth=1
	v_cmp_ne_u16_sdwa s5, v0, v17 src0_sel:BYTE_0 src1_sel:DWORD
	v_mov_b32_e32 v48, 0x8000
	s_and_saveexec_b32 s18, s5
	s_cbranch_execz .LBB288_1716
; %bb.1711:                             ;   in Loop: Header=BB288_1066 Depth=1
	v_bfe_u32 v52, v12, 16, 7
	v_mov_b32_e32 v48, 0x7c01
	s_mov_b32 s20, exec_lo
	v_cmpx_ne_u32_e32 0x7f, v52
	s_cbranch_execz .LBB288_1715
; %bb.1712:                             ;   in Loop: Header=BB288_1066 Depth=1
	v_and_b32_e32 v48, 7, v0
	v_lshrrev_b32_e32 v51, 3, v52
	s_mov_b32 s21, exec_lo
	v_cmpx_gt_u32_e32 8, v52
; %bb.1713:                             ;   in Loop: Header=BB288_1066 Depth=1
	v_ffbh_u32_e32 v26, v48
	v_min_u32_e32 v26, 32, v26
	v_subrev_nc_u32_e32 v27, 28, v26
	v_sub_nc_u32_e32 v51, 29, v26
	v_lshlrev_b64 v[43:44], v27, v[0:1]
	v_and_b32_e32 v48, 7, v43
; %bb.1714:                             ;   in Loop: Header=BB288_1066 Depth=1
	s_or_b32 exec_lo, exec_lo, s21
	v_lshlrev_b32_e32 v0, 8, v0
	v_lshl_add_u32 v26, v51, 10, 0x2000
	v_lshlrev_b32_e32 v27, 7, v48
	v_and_b32_e32 v0, 0x8000, v0
	v_and_b32_e32 v26, 0xfc00, v26
	v_or3_b32 v48, v0, v26, v27
.LBB288_1715:                           ;   in Loop: Header=BB288_1066 Depth=1
	s_or_b32 exec_lo, exec_lo, s20
.LBB288_1716:                           ;   in Loop: Header=BB288_1066 Depth=1
	s_or_b32 exec_lo, exec_lo, s18
.LBB288_1717:                           ;   in Loop: Header=BB288_1066 Depth=1
	s_or_b32 exec_lo, exec_lo, s17
	v_cmp_lt_u64_e64 s5, s[12:13], v[11:12]
	v_mov_b32_e32 v11, 0
	s_and_saveexec_b32 s17, s5
	s_cbranch_execz .LBB288_1725
; %bb.1718:                             ;   in Loop: Header=BB288_1066 Depth=1
	v_lshrrev_b32_e32 v0, 24, v12
	v_bfrev_b32_e32 v11, 1
	s_mov_b32 s18, exec_lo
	v_cmpx_ne_u32_e32 0x80, v0
	s_cbranch_execz .LBB288_1724
; %bb.1719:                             ;   in Loop: Header=BB288_1066 Depth=1
	v_and_b32_e32 v51, 0x7f, v0
	v_mov_b32_e32 v11, 0x7c010000
	s_mov_b32 s20, exec_lo
	v_cmpx_ne_u32_e32 0x7f, v51
	s_cbranch_execz .LBB288_1723
; %bb.1720:                             ;   in Loop: Header=BB288_1066 Depth=1
	v_and_b32_e32 v11, 7, v0
	v_lshrrev_b32_e32 v12, 3, v51
	s_mov_b32 s21, exec_lo
	v_cmpx_gt_u32_e32 8, v51
; %bb.1721:                             ;   in Loop: Header=BB288_1066 Depth=1
	v_ffbh_u32_e32 v11, v11
	v_min_u32_e32 v26, 32, v11
	v_subrev_nc_u32_e32 v11, 28, v26
	v_lshlrev_b64 v[11:12], v11, v[0:1]
	v_sub_nc_u32_e32 v12, 29, v26
	v_and_b32_e32 v11, 7, v11
; %bb.1722:                             ;   in Loop: Header=BB288_1066 Depth=1
	s_or_b32 exec_lo, exec_lo, s21
	v_lshlrev_b32_e32 v0, 8, v0
	v_lshl_add_u32 v12, v12, 10, 0x2000
	v_lshlrev_b32_e32 v11, 23, v11
	v_and_or_b32 v0, 0x8000, v0, v12
	v_lshl_or_b32 v11, v0, 16, v11
.LBB288_1723:                           ;   in Loop: Header=BB288_1066 Depth=1
	s_or_b32 exec_lo, exec_lo, s20
.LBB288_1724:                           ;   in Loop: Header=BB288_1066 Depth=1
	s_or_b32 exec_lo, exec_lo, s18
.LBB288_1725:                           ;   in Loop: Header=BB288_1066 Depth=1
	s_or_b32 exec_lo, exec_lo, s17
	v_or_b32_e32 v0, v36, v37
	s_waitcnt vmcnt(0) lgkmcnt(0)
	v_fma_mixlo_f16 v12, v6, v36, 0 op_sel:[0,1,0] op_sel_hi:[0,1,0]
	v_or_b32_e32 v26, v13, v22
	v_fma_mixlo_f16 v13, v6, v13, 0 op_sel:[0,1,0] op_sel_hi:[0,1,0]
	v_or_b32_e32 v27, v50, v49
	v_fma_mixlo_f16 v36, v6, v0, 0 op_sel_hi:[0,1,0]
	v_or_b32_e32 v37, v11, v48
	v_lshlrev_b32_e32 v0, 16, v12
	v_lshlrev_b32_e32 v22, 16, v13
	v_fma_mixlo_f16 v13, v6, v26, 0 op_sel_hi:[0,1,0]
	v_and_b32_e32 v12, 0xffff, v36
	v_fma_mixlo_f16 v26, v6, v50, 0 op_sel:[0,1,0] op_sel_hi:[0,1,0]
	v_fma_mixlo_f16 v27, v6, v27, 0 op_sel_hi:[0,1,0]
	v_fma_mixlo_f16 v36, v6, v11, 0 op_sel:[0,1,0] op_sel_hi:[0,1,0]
	v_fma_mixlo_f16 v48, v6, v37, 0 op_sel_hi:[0,1,0]
	v_and_b32_e32 v51, 0xffff, v13
	v_lshlrev_b32_e32 v11, 16, v26
	v_and_b32_e32 v37, 0xffff, v27
	v_lshlrev_b32_e32 v6, 16, v36
	v_and_b32_e32 v13, 0xffff, v48
	v_or_b32_e32 v36, v0, v12
	v_or_b32_e32 v50, v22, v51
	;; [unrolled: 1-line block ×4, first 2 shown]
	s_and_saveexec_b32 s17, vcc_lo
	s_cbranch_execz .LBB288_1727
; %bb.1726:                             ;   in Loop: Header=BB288_1066 Depth=1
	v_cmp_lt_i32_e64 s5, v18, v38
	v_cndmask_b32_e64 v26, 0, v51, s5
	v_cmp_lt_i32_e64 s5, v100, v38
	v_cndmask_b32_e64 v22, 0, v22, s5
	v_cmp_lt_i32_e64 s5, v99, v38
	v_or_b32_e32 v50, v26, v22
	v_cndmask_b32_e64 v12, 0, v12, s5
	v_cmp_lt_i32_e64 s5, v98, v38
	v_cndmask_b32_e64 v0, 0, v0, s5
	v_cmp_lt_i32_e64 s5, v97, v38
	v_or_b32_e32 v36, v12, v0
	;; [unrolled: 5-line block ×3, first 2 shown]
	v_cndmask_b32_e64 v13, 0, v13, s5
	v_cmp_lt_i32_e64 s5, v86, v38
	v_cndmask_b32_e64 v6, 0, v6, s5
	v_or_b32_e32 v48, v13, v6
.LBB288_1727:                           ;   in Loop: Header=BB288_1066 Depth=1
	s_or_b32 exec_lo, exec_lo, s17
	;;#ASMSTART
	v_pk_mul_f16 v0, v85, v50;

	;;#ASMEND
	;;#ASMSTART
	v_pk_mul_f16 v6, v84, v36;

	;;#ASMEND
	;; [unrolled: 4-line block ×4, first 2 shown]
	;;#ASMSTART
	v_pk_add_f16 v0, v0, v6;

	;;#ASMEND
	;;#ASMSTART
	v_pk_add_f16 v0, v0, v11;

	;;#ASMEND
	;; [unrolled: 4-line block ×3, first 2 shown]
	v_and_b32_e32 v6, 0xffff, v0
	v_lshrrev_b32_e32 v0, 16, v0
	;;#ASMSTART
	v_cvt_f32_f16 v6, v6;
	;;#ASMEND
	;;#ASMSTART
	v_cvt_f32_f16 v13, v0;
	;;#ASMEND
	flat_load_dwordx2 v[11:12], v[9:10] offset:512
	s_clause 0x1
	buffer_load_dword v26, off, s[0:3], s32 offset:200
	buffer_load_dword v27, off, s[0:3], s32 offset:204
	v_mov_b32_e32 v36, 0
	v_mov_b32_e32 v37, 0
	s_waitcnt vmcnt(2) lgkmcnt(0)
	v_cmp_ne_u16_sdwa s5, v11, v1 src0_sel:BYTE_0 src1_sel:DWORD
	s_waitcnt vmcnt(0)
	flat_load_dword v22, v[26:27]
	s_and_saveexec_b32 s17, s5
	s_cbranch_execz .LBB288_1735
; %bb.1728:                             ;   in Loop: Header=BB288_1066 Depth=1
	v_cmp_ne_u16_sdwa s5, v11, v17 src0_sel:BYTE_0 src1_sel:DWORD
	v_mov_b32_e32 v37, 0x8000
	s_and_saveexec_b32 s18, s5
	s_cbranch_execz .LBB288_1734
; %bb.1729:                             ;   in Loop: Header=BB288_1066 Depth=1
	v_and_b32_e32 v48, 0x7f, v11
	v_mov_b32_e32 v37, 0x7c01
	s_mov_b32 s20, exec_lo
	v_cmpx_ne_u32_e32 0x7f, v48
	s_cbranch_execz .LBB288_1733
; %bb.1730:                             ;   in Loop: Header=BB288_1066 Depth=1
	v_and_b32_e32 v0, 7, v11
	v_lshrrev_b32_e32 v37, 3, v48
	s_mov_b32 s21, exec_lo
	v_cmpx_gt_u32_e32 8, v48
; %bb.1731:                             ;   in Loop: Header=BB288_1066 Depth=1
	v_ffbh_u32_e32 v0, v0
	v_min_u32_e32 v0, 32, v0
	v_subrev_nc_u32_e32 v26, 28, v0
	v_sub_nc_u32_e32 v37, 29, v0
	v_lshlrev_b64 v[48:49], v26, v[11:12]
	v_and_b32_e32 v0, 7, v48
; %bb.1732:                             ;   in Loop: Header=BB288_1066 Depth=1
	s_or_b32 exec_lo, exec_lo, s21
	v_lshlrev_b32_e32 v26, 8, v11
	v_lshl_add_u32 v27, v37, 10, 0x2000
	v_lshlrev_b32_e32 v0, 7, v0
	v_and_b32_e32 v26, 0x8000, v26
	v_and_b32_e32 v27, 0xfc00, v27
	v_or3_b32 v37, v26, v27, v0
.LBB288_1733:                           ;   in Loop: Header=BB288_1066 Depth=1
	s_or_b32 exec_lo, exec_lo, s20
.LBB288_1734:                           ;   in Loop: Header=BB288_1066 Depth=1
	s_or_b32 exec_lo, exec_lo, s18
.LBB288_1735:                           ;   in Loop: Header=BB288_1066 Depth=1
	s_or_b32 exec_lo, exec_lo, s17
	v_lshrrev_b16 v0, 8, v11
	s_mov_b32 s17, exec_lo
	v_cmpx_ne_u16_e32 0, v0
	s_cbranch_execz .LBB288_1743
; %bb.1736:                             ;   in Loop: Header=BB288_1066 Depth=1
	v_bfrev_b32_e32 v36, 1
	s_mov_b32 s18, exec_lo
	v_cmpx_ne_u16_e32 0x80, v0
	s_cbranch_execz .LBB288_1742
; %bb.1737:                             ;   in Loop: Header=BB288_1066 Depth=1
	v_and_b32_sdwa v49, v0, v54 dst_sel:DWORD dst_unused:UNUSED_PAD src0_sel:WORD_0 src1_sel:DWORD
	v_mov_b32_e32 v36, 0x7c010000
	s_mov_b32 s20, exec_lo
	v_cmpx_ne_u32_e32 0x7f, v49
	s_cbranch_execz .LBB288_1741
; %bb.1738:                             ;   in Loop: Header=BB288_1066 Depth=1
	v_and_b32_sdwa v36, v0, v64 dst_sel:DWORD dst_unused:UNUSED_PAD src0_sel:WORD_0 src1_sel:DWORD
	v_lshrrev_b32_e32 v48, 3, v49
	s_mov_b32 s21, exec_lo
	v_cmpx_gt_u32_e32 8, v49
; %bb.1739:                             ;   in Loop: Header=BB288_1066 Depth=1
	v_ffbh_u32_e32 v26, v36
	v_min_u32_e32 v26, 32, v26
	v_subrev_nc_u32_e32 v27, 28, v26
	v_sub_nc_u32_e32 v48, 29, v26
	v_lshlrev_b64 v[49:50], v27, v[0:1]
	v_and_b32_e32 v36, 7, v49
; %bb.1740:                             ;   in Loop: Header=BB288_1066 Depth=1
	s_or_b32 exec_lo, exec_lo, s21
	v_lshlrev_b32_sdwa v0, v80, v0 dst_sel:DWORD dst_unused:UNUSED_PAD src0_sel:DWORD src1_sel:WORD_0
	v_lshl_add_u32 v26, v48, 10, 0x2000
	v_and_or_b32 v0, 0x8000, v0, v26
	v_lshlrev_b32_e32 v26, 23, v36
	v_lshl_or_b32 v36, v0, 16, v26
.LBB288_1741:                           ;   in Loop: Header=BB288_1066 Depth=1
	s_or_b32 exec_lo, exec_lo, s20
.LBB288_1742:                           ;   in Loop: Header=BB288_1066 Depth=1
	s_or_b32 exec_lo, exec_lo, s18
.LBB288_1743:                           ;   in Loop: Header=BB288_1066 Depth=1
	s_or_b32 exec_lo, exec_lo, s17
	v_lshrrev_b32_e32 v0, 16, v11
	v_mov_b32_e32 v48, 0
	v_mov_b32_e32 v49, 0
	v_cmp_ne_u16_sdwa s5, v0, v1 src0_sel:BYTE_0 src1_sel:DWORD
	s_and_saveexec_b32 s17, s5
	s_cbranch_execz .LBB288_1751
; %bb.1744:                             ;   in Loop: Header=BB288_1066 Depth=1
	v_cmp_ne_u16_sdwa s5, v0, v17 src0_sel:BYTE_0 src1_sel:DWORD
	v_mov_b32_e32 v49, 0x8000
	s_and_saveexec_b32 s18, s5
	s_cbranch_execz .LBB288_1750
; %bb.1745:                             ;   in Loop: Header=BB288_1066 Depth=1
	v_bfe_u32 v51, v11, 16, 7
	v_mov_b32_e32 v49, 0x7c01
	s_mov_b32 s20, exec_lo
	v_cmpx_ne_u32_e32 0x7f, v51
	s_cbranch_execz .LBB288_1749
; %bb.1746:                             ;   in Loop: Header=BB288_1066 Depth=1
	v_and_b32_e32 v49, 7, v0
	v_lshrrev_b32_e32 v50, 3, v51
	s_mov_b32 s21, exec_lo
	v_cmpx_gt_u32_e32 8, v51
; %bb.1747:                             ;   in Loop: Header=BB288_1066 Depth=1
	v_ffbh_u32_e32 v26, v49
	v_min_u32_e32 v26, 32, v26
	v_subrev_nc_u32_e32 v27, 28, v26
	v_lshlrev_b64 v[49:50], v27, v[0:1]
	v_sub_nc_u32_e32 v50, 29, v26
	v_and_b32_e32 v49, 7, v49
; %bb.1748:                             ;   in Loop: Header=BB288_1066 Depth=1
	s_or_b32 exec_lo, exec_lo, s21
	v_lshlrev_b32_e32 v0, 8, v0
	v_lshl_add_u32 v26, v50, 10, 0x2000
	v_lshlrev_b32_e32 v27, 7, v49
	v_and_b32_e32 v0, 0x8000, v0
	v_and_b32_e32 v26, 0xfc00, v26
	v_or3_b32 v49, v0, v26, v27
.LBB288_1749:                           ;   in Loop: Header=BB288_1066 Depth=1
	s_or_b32 exec_lo, exec_lo, s20
.LBB288_1750:                           ;   in Loop: Header=BB288_1066 Depth=1
	s_or_b32 exec_lo, exec_lo, s18
.LBB288_1751:                           ;   in Loop: Header=BB288_1066 Depth=1
	s_or_b32 exec_lo, exec_lo, s17
	s_mov_b32 s17, exec_lo
	v_cmpx_lt_u32_e32 0xffffff, v11
	s_cbranch_execz .LBB288_1759
; %bb.1752:                             ;   in Loop: Header=BB288_1066 Depth=1
	v_lshrrev_b32_e32 v0, 24, v11
	v_bfrev_b32_e32 v48, 1
	s_mov_b32 s18, exec_lo
	v_cmpx_ne_u32_e32 0x80, v0
	s_cbranch_execz .LBB288_1758
; %bb.1753:                             ;   in Loop: Header=BB288_1066 Depth=1
	v_and_b32_e32 v51, 0x7f, v0
	v_mov_b32_e32 v48, 0x7c010000
	s_mov_b32 s20, exec_lo
	v_cmpx_ne_u32_e32 0x7f, v51
	s_cbranch_execz .LBB288_1757
; %bb.1754:                             ;   in Loop: Header=BB288_1066 Depth=1
	v_and_b32_e32 v48, 7, v0
	v_lshrrev_b32_e32 v50, 3, v51
	s_mov_b32 s21, exec_lo
	v_cmpx_gt_u32_e32 8, v51
; %bb.1755:                             ;   in Loop: Header=BB288_1066 Depth=1
	v_ffbh_u32_e32 v26, v48
	v_min_u32_e32 v26, 32, v26
	v_subrev_nc_u32_e32 v27, 28, v26
	v_sub_nc_u32_e32 v50, 29, v26
	v_lshlrev_b64 v[51:52], v27, v[0:1]
	v_and_b32_e32 v48, 7, v51
; %bb.1756:                             ;   in Loop: Header=BB288_1066 Depth=1
	s_or_b32 exec_lo, exec_lo, s21
	v_lshlrev_b32_e32 v0, 8, v0
	v_lshl_add_u32 v26, v50, 10, 0x2000
	v_and_or_b32 v0, 0x8000, v0, v26
	v_lshlrev_b32_e32 v26, 23, v48
	v_lshl_or_b32 v48, v0, 16, v26
.LBB288_1757:                           ;   in Loop: Header=BB288_1066 Depth=1
	s_or_b32 exec_lo, exec_lo, s20
.LBB288_1758:                           ;   in Loop: Header=BB288_1066 Depth=1
	s_or_b32 exec_lo, exec_lo, s18
.LBB288_1759:                           ;   in Loop: Header=BB288_1066 Depth=1
	s_or_b32 exec_lo, exec_lo, s17
	v_mov_b32_e32 v0, v12
	v_cmp_ne_u16_sdwa s5, v12, v1 src0_sel:BYTE_0 src1_sel:DWORD
	v_mov_b32_e32 v50, 0
	v_mov_b32_e32 v51, 0
	s_and_saveexec_b32 s17, s5
	s_cbranch_execz .LBB288_1767
; %bb.1760:                             ;   in Loop: Header=BB288_1066 Depth=1
	v_cmp_ne_u16_sdwa s5, v12, v17 src0_sel:BYTE_0 src1_sel:DWORD
	v_mov_b32_e32 v51, 0x8000
	s_and_saveexec_b32 s18, s5
	s_cbranch_execz .LBB288_1766
; %bb.1761:                             ;   in Loop: Header=BB288_1066 Depth=1
	v_and_b32_e32 v103, 0x7f, v12
	v_mov_b32_e32 v51, 0x7c01
	s_mov_b32 s20, exec_lo
	v_cmpx_ne_u32_e32 0x7f, v103
	s_cbranch_execz .LBB288_1765
; %bb.1762:                             ;   in Loop: Header=BB288_1066 Depth=1
	v_and_b32_e32 v51, 7, v12
	v_lshrrev_b32_e32 v52, 3, v103
	s_mov_b32 s21, exec_lo
	v_cmpx_gt_u32_e32 8, v103
; %bb.1763:                             ;   in Loop: Header=BB288_1066 Depth=1
	v_ffbh_u32_e32 v26, v51
	v_min_u32_e32 v26, 32, v26
	v_subrev_nc_u32_e32 v27, 28, v26
	v_lshlrev_b64 v[51:52], v27, v[0:1]
	v_sub_nc_u32_e32 v52, 29, v26
	v_and_b32_e32 v51, 7, v51
; %bb.1764:                             ;   in Loop: Header=BB288_1066 Depth=1
	s_or_b32 exec_lo, exec_lo, s21
	v_lshlrev_b32_e32 v26, 8, v12
	v_lshl_add_u32 v27, v52, 10, 0x2000
	v_lshlrev_b32_e32 v51, 7, v51
	v_and_b32_e32 v26, 0x8000, v26
	v_and_b32_e32 v27, 0xfc00, v27
	v_or3_b32 v51, v26, v27, v51
.LBB288_1765:                           ;   in Loop: Header=BB288_1066 Depth=1
	s_or_b32 exec_lo, exec_lo, s20
.LBB288_1766:                           ;   in Loop: Header=BB288_1066 Depth=1
	s_or_b32 exec_lo, exec_lo, s18
.LBB288_1767:                           ;   in Loop: Header=BB288_1066 Depth=1
	s_or_b32 exec_lo, exec_lo, s17
	v_lshrrev_b16 v0, 8, v0
	v_mov_b32_e32 v52, 0
	s_mov_b32 s17, exec_lo
	v_cmpx_ne_u16_e32 0, v0
	s_cbranch_execz .LBB288_1775
; %bb.1768:                             ;   in Loop: Header=BB288_1066 Depth=1
	v_bfrev_b32_e32 v52, 1
	s_mov_b32 s18, exec_lo
	v_cmpx_ne_u16_e32 0x80, v0
	s_cbranch_execz .LBB288_1774
; %bb.1769:                             ;   in Loop: Header=BB288_1066 Depth=1
	v_and_b32_sdwa v43, v0, v54 dst_sel:DWORD dst_unused:UNUSED_PAD src0_sel:WORD_0 src1_sel:DWORD
	v_mov_b32_e32 v52, 0x7c010000
	s_mov_b32 s20, exec_lo
	v_cmpx_ne_u32_e32 0x7f, v43
	s_cbranch_execz .LBB288_1773
; %bb.1770:                             ;   in Loop: Header=BB288_1066 Depth=1
	v_and_b32_sdwa v52, v0, v64 dst_sel:DWORD dst_unused:UNUSED_PAD src0_sel:WORD_0 src1_sel:DWORD
	v_lshrrev_b32_e32 v103, 3, v43
	s_mov_b32 s21, exec_lo
	v_cmpx_gt_u32_e32 8, v43
; %bb.1771:                             ;   in Loop: Header=BB288_1066 Depth=1
	v_ffbh_u32_e32 v26, v52
	v_min_u32_e32 v26, 32, v26
	v_subrev_nc_u32_e32 v27, 28, v26
	v_sub_nc_u32_e32 v103, 29, v26
	v_lshlrev_b64 v[43:44], v27, v[0:1]
	v_and_b32_e32 v52, 7, v43
; %bb.1772:                             ;   in Loop: Header=BB288_1066 Depth=1
	s_or_b32 exec_lo, exec_lo, s21
	v_lshlrev_b32_sdwa v0, v80, v0 dst_sel:DWORD dst_unused:UNUSED_PAD src0_sel:DWORD src1_sel:WORD_0
	v_lshl_add_u32 v26, v103, 10, 0x2000
	v_and_or_b32 v0, 0x8000, v0, v26
	v_lshlrev_b32_e32 v26, 23, v52
	v_lshl_or_b32 v52, v0, 16, v26
.LBB288_1773:                           ;   in Loop: Header=BB288_1066 Depth=1
	s_or_b32 exec_lo, exec_lo, s20
.LBB288_1774:                           ;   in Loop: Header=BB288_1066 Depth=1
	s_or_b32 exec_lo, exec_lo, s18
.LBB288_1775:                           ;   in Loop: Header=BB288_1066 Depth=1
	s_or_b32 exec_lo, exec_lo, s17
	v_lshrrev_b32_e32 v0, 16, v12
	v_cmp_ne_u16_sdwa s5, v0, v1 src0_sel:BYTE_0 src1_sel:DWORD
	s_and_saveexec_b32 s17, s5
	s_cbranch_execz .LBB288_1783
; %bb.1776:                             ;   in Loop: Header=BB288_1066 Depth=1
	v_cmp_ne_u16_sdwa s5, v0, v17 src0_sel:BYTE_0 src1_sel:DWORD
	v_mov_b32_e32 v50, 0x8000
	s_and_saveexec_b32 s18, s5
	s_cbranch_execz .LBB288_1782
; %bb.1777:                             ;   in Loop: Header=BB288_1066 Depth=1
	v_bfe_u32 v43, v12, 16, 7
	v_mov_b32_e32 v50, 0x7c01
	s_mov_b32 s20, exec_lo
	v_cmpx_ne_u32_e32 0x7f, v43
	s_cbranch_execz .LBB288_1781
; %bb.1778:                             ;   in Loop: Header=BB288_1066 Depth=1
	v_and_b32_e32 v50, 7, v0
	v_lshrrev_b32_e32 v103, 3, v43
	s_mov_b32 s21, exec_lo
	v_cmpx_gt_u32_e32 8, v43
; %bb.1779:                             ;   in Loop: Header=BB288_1066 Depth=1
	v_ffbh_u32_e32 v26, v50
	v_min_u32_e32 v26, 32, v26
	v_subrev_nc_u32_e32 v27, 28, v26
	v_sub_nc_u32_e32 v103, 29, v26
	v_lshlrev_b64 v[43:44], v27, v[0:1]
	v_and_b32_e32 v50, 7, v43
; %bb.1780:                             ;   in Loop: Header=BB288_1066 Depth=1
	s_or_b32 exec_lo, exec_lo, s21
	v_lshlrev_b32_e32 v0, 8, v0
	v_lshl_add_u32 v26, v103, 10, 0x2000
	v_lshlrev_b32_e32 v27, 7, v50
	v_and_b32_e32 v0, 0x8000, v0
	v_and_b32_e32 v26, 0xfc00, v26
	v_or3_b32 v50, v0, v26, v27
.LBB288_1781:                           ;   in Loop: Header=BB288_1066 Depth=1
	s_or_b32 exec_lo, exec_lo, s20
.LBB288_1782:                           ;   in Loop: Header=BB288_1066 Depth=1
	s_or_b32 exec_lo, exec_lo, s18
.LBB288_1783:                           ;   in Loop: Header=BB288_1066 Depth=1
	s_or_b32 exec_lo, exec_lo, s17
	v_cmp_lt_u64_e64 s5, s[12:13], v[11:12]
	v_mov_b32_e32 v11, 0
	s_and_saveexec_b32 s17, s5
	s_cbranch_execz .LBB288_1791
; %bb.1784:                             ;   in Loop: Header=BB288_1066 Depth=1
	v_lshrrev_b32_e32 v0, 24, v12
	v_bfrev_b32_e32 v11, 1
	s_mov_b32 s18, exec_lo
	v_cmpx_ne_u32_e32 0x80, v0
	s_cbranch_execz .LBB288_1790
; %bb.1785:                             ;   in Loop: Header=BB288_1066 Depth=1
	v_and_b32_e32 v103, 0x7f, v0
	v_mov_b32_e32 v11, 0x7c010000
	s_mov_b32 s20, exec_lo
	v_cmpx_ne_u32_e32 0x7f, v103
	s_cbranch_execz .LBB288_1789
; %bb.1786:                             ;   in Loop: Header=BB288_1066 Depth=1
	v_and_b32_e32 v11, 7, v0
	v_lshrrev_b32_e32 v12, 3, v103
	s_mov_b32 s21, exec_lo
	v_cmpx_gt_u32_e32 8, v103
; %bb.1787:                             ;   in Loop: Header=BB288_1066 Depth=1
	v_ffbh_u32_e32 v11, v11
	v_min_u32_e32 v26, 32, v11
	v_subrev_nc_u32_e32 v11, 28, v26
	v_lshlrev_b64 v[11:12], v11, v[0:1]
	v_sub_nc_u32_e32 v12, 29, v26
	v_and_b32_e32 v11, 7, v11
; %bb.1788:                             ;   in Loop: Header=BB288_1066 Depth=1
	s_or_b32 exec_lo, exec_lo, s21
	v_lshlrev_b32_e32 v0, 8, v0
	v_lshl_add_u32 v12, v12, 10, 0x2000
	v_lshlrev_b32_e32 v11, 23, v11
	v_and_or_b32 v0, 0x8000, v0, v12
	v_lshl_or_b32 v11, v0, 16, v11
.LBB288_1789:                           ;   in Loop: Header=BB288_1066 Depth=1
	s_or_b32 exec_lo, exec_lo, s20
.LBB288_1790:                           ;   in Loop: Header=BB288_1066 Depth=1
	s_or_b32 exec_lo, exec_lo, s18
.LBB288_1791:                           ;   in Loop: Header=BB288_1066 Depth=1
	s_or_b32 exec_lo, exec_lo, s17
	v_or_b32_e32 v0, v48, v49
	s_waitcnt vmcnt(0) lgkmcnt(0)
	v_fma_mixlo_f16 v12, v22, v48, 0 op_sel:[0,1,0] op_sel_hi:[0,1,0]
	v_or_b32_e32 v26, v36, v37
	v_fma_mixlo_f16 v27, v22, v36, 0 op_sel:[0,1,0] op_sel_hi:[0,1,0]
	v_or_b32_e32 v36, v52, v51
	v_fma_mixlo_f16 v48, v22, v0, 0 op_sel_hi:[0,1,0]
	v_or_b32_e32 v49, v11, v50
	v_lshlrev_b32_e32 v0, 16, v12
	v_lshlrev_b32_e32 v37, 16, v27
	v_fma_mixlo_f16 v26, v22, v26, 0 op_sel_hi:[0,1,0]
	v_and_b32_e32 v12, 0xffff, v48
	v_fma_mixlo_f16 v27, v22, v52, 0 op_sel:[0,1,0] op_sel_hi:[0,1,0]
	v_fma_mixlo_f16 v36, v22, v36, 0 op_sel_hi:[0,1,0]
	v_fma_mixlo_f16 v11, v22, v11, 0 op_sel:[0,1,0] op_sel_hi:[0,1,0]
	v_fma_mixlo_f16 v48, v22, v49, 0 op_sel_hi:[0,1,0]
	v_and_b32_e32 v103, 0xffff, v26
	v_lshlrev_b32_e32 v22, 16, v27
	v_and_b32_e32 v49, 0xffff, v36
	v_lshlrev_b32_e32 v11, 16, v11
	v_and_b32_e32 v36, 0xffff, v48
	v_or_b32_e32 v48, v0, v12
	v_or_b32_e32 v52, v37, v103
	;; [unrolled: 1-line block ×4, first 2 shown]
	s_and_saveexec_b32 s17, vcc_lo
	s_cbranch_execz .LBB288_1793
; %bb.1792:                             ;   in Loop: Header=BB288_1066 Depth=1
	v_cmp_lt_i32_e64 s5, v18, v38
	v_cndmask_b32_e64 v26, 0, v103, s5
	v_cmp_lt_i32_e64 s5, v100, v38
	v_cndmask_b32_e64 v27, 0, v37, s5
	v_cmp_lt_i32_e64 s5, v99, v38
	v_or_b32_e32 v52, v26, v27
	v_cndmask_b32_e64 v12, 0, v12, s5
	v_cmp_lt_i32_e64 s5, v98, v38
	v_cndmask_b32_e64 v0, 0, v0, s5
	v_cmp_lt_i32_e64 s5, v97, v38
	v_or_b32_e32 v48, v12, v0
	;; [unrolled: 5-line block ×3, first 2 shown]
	v_cndmask_b32_e64 v36, 0, v36, s5
	v_cmp_lt_i32_e64 s5, v86, v38
	v_cndmask_b32_e64 v11, 0, v11, s5
	v_or_b32_e32 v50, v36, v11
.LBB288_1793:                           ;   in Loop: Header=BB288_1066 Depth=1
	s_or_b32 exec_lo, exec_lo, s17
	;;#ASMSTART
	v_pk_mul_f16 v0, v85, v52;

	;;#ASMEND
	;;#ASMSTART
	v_pk_mul_f16 v11, v84, v48;

	;;#ASMEND
	;; [unrolled: 4-line block ×4, first 2 shown]
	;;#ASMSTART
	v_pk_add_f16 v0, v0, v11;

	;;#ASMEND
	;;#ASMSTART
	v_pk_add_f16 v0, v0, v12;

	;;#ASMEND
	;; [unrolled: 4-line block ×3, first 2 shown]
	v_and_b32_e32 v11, 0xffff, v0
	v_lshrrev_b32_e32 v0, 16, v0
	;;#ASMSTART
	v_cvt_f32_f16 v22, v11;
	;;#ASMEND
	;;#ASMSTART
	v_cvt_f32_f16 v36, v0;
	;;#ASMEND
	flat_load_dwordx2 v[11:12], v[9:10] offset:768
	s_clause 0x1
	buffer_load_dword v26, off, s[0:3], s32 offset:200
	buffer_load_dword v27, off, s[0:3], s32 offset:204
	v_mov_b32_e32 v48, 0
	v_mov_b32_e32 v49, 0
	s_waitcnt vmcnt(2) lgkmcnt(0)
	v_cmp_ne_u16_sdwa s5, v11, v1 src0_sel:BYTE_0 src1_sel:DWORD
	s_waitcnt vmcnt(0)
	flat_load_dword v37, v[26:27]
	s_and_saveexec_b32 s17, s5
	s_cbranch_execz .LBB288_1801
; %bb.1794:                             ;   in Loop: Header=BB288_1066 Depth=1
	v_cmp_ne_u16_sdwa s5, v11, v17 src0_sel:BYTE_0 src1_sel:DWORD
	v_mov_b32_e32 v49, 0x8000
	s_and_saveexec_b32 s18, s5
	s_cbranch_execz .LBB288_1800
; %bb.1795:                             ;   in Loop: Header=BB288_1066 Depth=1
	v_and_b32_e32 v50, 0x7f, v11
	v_mov_b32_e32 v49, 0x7c01
	s_mov_b32 s20, exec_lo
	v_cmpx_ne_u32_e32 0x7f, v50
	s_cbranch_execz .LBB288_1799
; %bb.1796:                             ;   in Loop: Header=BB288_1066 Depth=1
	v_and_b32_e32 v0, 7, v11
	v_lshrrev_b32_e32 v49, 3, v50
	s_mov_b32 s21, exec_lo
	v_cmpx_gt_u32_e32 8, v50
; %bb.1797:                             ;   in Loop: Header=BB288_1066 Depth=1
	v_ffbh_u32_e32 v0, v0
	v_min_u32_e32 v0, 32, v0
	v_subrev_nc_u32_e32 v26, 28, v0
	v_sub_nc_u32_e32 v49, 29, v0
	v_lshlrev_b64 v[50:51], v26, v[11:12]
	v_and_b32_e32 v0, 7, v50
; %bb.1798:                             ;   in Loop: Header=BB288_1066 Depth=1
	s_or_b32 exec_lo, exec_lo, s21
	v_lshlrev_b32_e32 v26, 8, v11
	v_lshl_add_u32 v27, v49, 10, 0x2000
	v_lshlrev_b32_e32 v0, 7, v0
	v_and_b32_e32 v26, 0x8000, v26
	v_and_b32_e32 v27, 0xfc00, v27
	v_or3_b32 v49, v26, v27, v0
.LBB288_1799:                           ;   in Loop: Header=BB288_1066 Depth=1
	s_or_b32 exec_lo, exec_lo, s20
.LBB288_1800:                           ;   in Loop: Header=BB288_1066 Depth=1
	s_or_b32 exec_lo, exec_lo, s18
.LBB288_1801:                           ;   in Loop: Header=BB288_1066 Depth=1
	s_or_b32 exec_lo, exec_lo, s17
	v_lshrrev_b16 v0, 8, v11
	s_mov_b32 s17, exec_lo
	v_cmpx_ne_u16_e32 0, v0
	s_cbranch_execz .LBB288_1809
; %bb.1802:                             ;   in Loop: Header=BB288_1066 Depth=1
	v_bfrev_b32_e32 v48, 1
	s_mov_b32 s18, exec_lo
	v_cmpx_ne_u16_e32 0x80, v0
	s_cbranch_execz .LBB288_1808
; %bb.1803:                             ;   in Loop: Header=BB288_1066 Depth=1
	v_and_b32_sdwa v51, v0, v54 dst_sel:DWORD dst_unused:UNUSED_PAD src0_sel:WORD_0 src1_sel:DWORD
	v_mov_b32_e32 v48, 0x7c010000
	s_mov_b32 s20, exec_lo
	v_cmpx_ne_u32_e32 0x7f, v51
	s_cbranch_execz .LBB288_1807
; %bb.1804:                             ;   in Loop: Header=BB288_1066 Depth=1
	v_and_b32_sdwa v48, v0, v64 dst_sel:DWORD dst_unused:UNUSED_PAD src0_sel:WORD_0 src1_sel:DWORD
	v_lshrrev_b32_e32 v50, 3, v51
	s_mov_b32 s21, exec_lo
	v_cmpx_gt_u32_e32 8, v51
; %bb.1805:                             ;   in Loop: Header=BB288_1066 Depth=1
	v_ffbh_u32_e32 v26, v48
	v_min_u32_e32 v26, 32, v26
	v_subrev_nc_u32_e32 v27, 28, v26
	v_sub_nc_u32_e32 v50, 29, v26
	v_lshlrev_b64 v[51:52], v27, v[0:1]
	v_and_b32_e32 v48, 7, v51
; %bb.1806:                             ;   in Loop: Header=BB288_1066 Depth=1
	s_or_b32 exec_lo, exec_lo, s21
	v_lshlrev_b32_sdwa v0, v80, v0 dst_sel:DWORD dst_unused:UNUSED_PAD src0_sel:DWORD src1_sel:WORD_0
	v_lshl_add_u32 v26, v50, 10, 0x2000
	v_and_or_b32 v0, 0x8000, v0, v26
	v_lshlrev_b32_e32 v26, 23, v48
	v_lshl_or_b32 v48, v0, 16, v26
.LBB288_1807:                           ;   in Loop: Header=BB288_1066 Depth=1
	s_or_b32 exec_lo, exec_lo, s20
.LBB288_1808:                           ;   in Loop: Header=BB288_1066 Depth=1
	s_or_b32 exec_lo, exec_lo, s18
.LBB288_1809:                           ;   in Loop: Header=BB288_1066 Depth=1
	s_or_b32 exec_lo, exec_lo, s17
	v_lshrrev_b32_e32 v0, 16, v11
	v_mov_b32_e32 v50, 0
	v_mov_b32_e32 v51, 0
	v_cmp_ne_u16_sdwa s5, v0, v1 src0_sel:BYTE_0 src1_sel:DWORD
	s_and_saveexec_b32 s17, s5
	s_cbranch_execz .LBB288_1817
; %bb.1810:                             ;   in Loop: Header=BB288_1066 Depth=1
	v_cmp_ne_u16_sdwa s5, v0, v17 src0_sel:BYTE_0 src1_sel:DWORD
	v_mov_b32_e32 v51, 0x8000
	s_and_saveexec_b32 s18, s5
	s_cbranch_execz .LBB288_1816
; %bb.1811:                             ;   in Loop: Header=BB288_1066 Depth=1
	v_bfe_u32 v103, v11, 16, 7
	v_mov_b32_e32 v51, 0x7c01
	s_mov_b32 s20, exec_lo
	v_cmpx_ne_u32_e32 0x7f, v103
	s_cbranch_execz .LBB288_1815
; %bb.1812:                             ;   in Loop: Header=BB288_1066 Depth=1
	v_and_b32_e32 v51, 7, v0
	v_lshrrev_b32_e32 v52, 3, v103
	s_mov_b32 s21, exec_lo
	v_cmpx_gt_u32_e32 8, v103
; %bb.1813:                             ;   in Loop: Header=BB288_1066 Depth=1
	v_ffbh_u32_e32 v26, v51
	v_min_u32_e32 v26, 32, v26
	v_subrev_nc_u32_e32 v27, 28, v26
	v_lshlrev_b64 v[51:52], v27, v[0:1]
	v_sub_nc_u32_e32 v52, 29, v26
	v_and_b32_e32 v51, 7, v51
; %bb.1814:                             ;   in Loop: Header=BB288_1066 Depth=1
	s_or_b32 exec_lo, exec_lo, s21
	v_lshlrev_b32_e32 v0, 8, v0
	v_lshl_add_u32 v26, v52, 10, 0x2000
	v_lshlrev_b32_e32 v27, 7, v51
	v_and_b32_e32 v0, 0x8000, v0
	v_and_b32_e32 v26, 0xfc00, v26
	v_or3_b32 v51, v0, v26, v27
.LBB288_1815:                           ;   in Loop: Header=BB288_1066 Depth=1
	s_or_b32 exec_lo, exec_lo, s20
.LBB288_1816:                           ;   in Loop: Header=BB288_1066 Depth=1
	s_or_b32 exec_lo, exec_lo, s18
.LBB288_1817:                           ;   in Loop: Header=BB288_1066 Depth=1
	s_or_b32 exec_lo, exec_lo, s17
	s_mov_b32 s17, exec_lo
	v_cmpx_lt_u32_e32 0xffffff, v11
	s_cbranch_execz .LBB288_1825
; %bb.1818:                             ;   in Loop: Header=BB288_1066 Depth=1
	v_lshrrev_b32_e32 v0, 24, v11
	v_bfrev_b32_e32 v50, 1
	s_mov_b32 s18, exec_lo
	v_cmpx_ne_u32_e32 0x80, v0
	s_cbranch_execz .LBB288_1824
; %bb.1819:                             ;   in Loop: Header=BB288_1066 Depth=1
	v_and_b32_e32 v103, 0x7f, v0
	v_mov_b32_e32 v50, 0x7c010000
	s_mov_b32 s20, exec_lo
	v_cmpx_ne_u32_e32 0x7f, v103
	s_cbranch_execz .LBB288_1823
; %bb.1820:                             ;   in Loop: Header=BB288_1066 Depth=1
	v_and_b32_e32 v50, 7, v0
	v_lshrrev_b32_e32 v52, 3, v103
	s_mov_b32 s21, exec_lo
	v_cmpx_gt_u32_e32 8, v103
; %bb.1821:                             ;   in Loop: Header=BB288_1066 Depth=1
	v_ffbh_u32_e32 v26, v50
	v_min_u32_e32 v26, 32, v26
	v_subrev_nc_u32_e32 v27, 28, v26
	v_sub_nc_u32_e32 v52, 29, v26
	v_lshlrev_b64 v[43:44], v27, v[0:1]
	v_and_b32_e32 v50, 7, v43
; %bb.1822:                             ;   in Loop: Header=BB288_1066 Depth=1
	s_or_b32 exec_lo, exec_lo, s21
	v_lshlrev_b32_e32 v0, 8, v0
	v_lshl_add_u32 v26, v52, 10, 0x2000
	v_and_or_b32 v0, 0x8000, v0, v26
	v_lshlrev_b32_e32 v26, 23, v50
	v_lshl_or_b32 v50, v0, 16, v26
.LBB288_1823:                           ;   in Loop: Header=BB288_1066 Depth=1
	s_or_b32 exec_lo, exec_lo, s20
.LBB288_1824:                           ;   in Loop: Header=BB288_1066 Depth=1
	s_or_b32 exec_lo, exec_lo, s18
.LBB288_1825:                           ;   in Loop: Header=BB288_1066 Depth=1
	s_or_b32 exec_lo, exec_lo, s17
	v_mov_b32_e32 v0, v12
	v_cmp_ne_u16_sdwa s5, v12, v1 src0_sel:BYTE_0 src1_sel:DWORD
	v_mov_b32_e32 v52, 0
	v_mov_b32_e32 v103, 0
	s_and_saveexec_b32 s17, s5
	s_cbranch_execz .LBB288_1833
; %bb.1826:                             ;   in Loop: Header=BB288_1066 Depth=1
	v_cmp_ne_u16_sdwa s5, v12, v17 src0_sel:BYTE_0 src1_sel:DWORD
	v_mov_b32_e32 v103, 0x8000
	s_and_saveexec_b32 s18, s5
	s_cbranch_execz .LBB288_1832
; %bb.1827:                             ;   in Loop: Header=BB288_1066 Depth=1
	v_and_b32_e32 v44, 0x7f, v12
	v_mov_b32_e32 v103, 0x7c01
	s_mov_b32 s20, exec_lo
	v_cmpx_ne_u32_e32 0x7f, v44
	s_cbranch_execz .LBB288_1831
; %bb.1828:                             ;   in Loop: Header=BB288_1066 Depth=1
	v_and_b32_e32 v103, 7, v12
	v_lshrrev_b32_e32 v43, 3, v44
	s_mov_b32 s21, exec_lo
	v_cmpx_gt_u32_e32 8, v44
; %bb.1829:                             ;   in Loop: Header=BB288_1066 Depth=1
	v_ffbh_u32_e32 v26, v103
	v_min_u32_e32 v26, 32, v26
	v_subrev_nc_u32_e32 v27, 28, v26
	v_sub_nc_u32_e32 v43, 29, v26
	v_lshlrev_b64 v[44:45], v27, v[0:1]
	v_and_b32_e32 v103, 7, v44
; %bb.1830:                             ;   in Loop: Header=BB288_1066 Depth=1
	s_or_b32 exec_lo, exec_lo, s21
	v_lshlrev_b32_e32 v26, 8, v12
	v_lshl_add_u32 v27, v43, 10, 0x2000
	v_lshlrev_b32_e32 v103, 7, v103
	v_and_b32_e32 v26, 0x8000, v26
	v_and_b32_e32 v27, 0xfc00, v27
	v_or3_b32 v103, v26, v27, v103
.LBB288_1831:                           ;   in Loop: Header=BB288_1066 Depth=1
	s_or_b32 exec_lo, exec_lo, s20
.LBB288_1832:                           ;   in Loop: Header=BB288_1066 Depth=1
	s_or_b32 exec_lo, exec_lo, s18
.LBB288_1833:                           ;   in Loop: Header=BB288_1066 Depth=1
	s_or_b32 exec_lo, exec_lo, s17
	v_lshrrev_b16 v0, 8, v0
	v_mov_b32_e32 v43, 0
	s_mov_b32 s17, exec_lo
	v_cmpx_ne_u16_e32 0, v0
	s_cbranch_execz .LBB288_1841
; %bb.1834:                             ;   in Loop: Header=BB288_1066 Depth=1
	v_bfrev_b32_e32 v43, 1
	s_mov_b32 s18, exec_lo
	v_cmpx_ne_u16_e32 0x80, v0
	s_cbranch_execz .LBB288_1840
; %bb.1835:                             ;   in Loop: Header=BB288_1066 Depth=1
	v_and_b32_sdwa v45, v0, v54 dst_sel:DWORD dst_unused:UNUSED_PAD src0_sel:WORD_0 src1_sel:DWORD
	v_mov_b32_e32 v43, 0x7c010000
	s_mov_b32 s20, exec_lo
	v_cmpx_ne_u32_e32 0x7f, v45
	s_cbranch_execz .LBB288_1839
; %bb.1836:                             ;   in Loop: Header=BB288_1066 Depth=1
	v_and_b32_sdwa v43, v0, v64 dst_sel:DWORD dst_unused:UNUSED_PAD src0_sel:WORD_0 src1_sel:DWORD
	v_lshrrev_b32_e32 v44, 3, v45
	s_mov_b32 s21, exec_lo
	v_cmpx_gt_u32_e32 8, v45
; %bb.1837:                             ;   in Loop: Header=BB288_1066 Depth=1
	v_ffbh_u32_e32 v26, v43
	v_min_u32_e32 v26, 32, v26
	v_subrev_nc_u32_e32 v27, 28, v26
	v_lshlrev_b64 v[43:44], v27, v[0:1]
	v_sub_nc_u32_e32 v44, 29, v26
	v_and_b32_e32 v43, 7, v43
; %bb.1838:                             ;   in Loop: Header=BB288_1066 Depth=1
	s_or_b32 exec_lo, exec_lo, s21
	v_lshlrev_b32_sdwa v0, v80, v0 dst_sel:DWORD dst_unused:UNUSED_PAD src0_sel:DWORD src1_sel:WORD_0
	v_lshl_add_u32 v26, v44, 10, 0x2000
	v_and_or_b32 v0, 0x8000, v0, v26
	v_lshlrev_b32_e32 v26, 23, v43
	v_lshl_or_b32 v43, v0, 16, v26
.LBB288_1839:                           ;   in Loop: Header=BB288_1066 Depth=1
	s_or_b32 exec_lo, exec_lo, s20
.LBB288_1840:                           ;   in Loop: Header=BB288_1066 Depth=1
	s_or_b32 exec_lo, exec_lo, s18
.LBB288_1841:                           ;   in Loop: Header=BB288_1066 Depth=1
	s_or_b32 exec_lo, exec_lo, s17
	v_lshrrev_b32_e32 v0, 16, v12
	v_cmp_ne_u16_sdwa s5, v0, v1 src0_sel:BYTE_0 src1_sel:DWORD
	s_and_saveexec_b32 s17, s5
	s_cbranch_execz .LBB288_1849
; %bb.1842:                             ;   in Loop: Header=BB288_1066 Depth=1
	v_cmp_ne_u16_sdwa s5, v0, v17 src0_sel:BYTE_0 src1_sel:DWORD
	v_mov_b32_e32 v52, 0x8000
	s_and_saveexec_b32 s18, s5
	s_cbranch_execz .LBB288_1848
; %bb.1843:                             ;   in Loop: Header=BB288_1066 Depth=1
	v_bfe_u32 v45, v12, 16, 7
	v_mov_b32_e32 v52, 0x7c01
	s_mov_b32 s20, exec_lo
	v_cmpx_ne_u32_e32 0x7f, v45
	s_cbranch_execz .LBB288_1847
; %bb.1844:                             ;   in Loop: Header=BB288_1066 Depth=1
	v_and_b32_e32 v52, 7, v0
	v_lshrrev_b32_e32 v44, 3, v45
	s_mov_b32 s21, exec_lo
	v_cmpx_gt_u32_e32 8, v45
; %bb.1845:                             ;   in Loop: Header=BB288_1066 Depth=1
	v_ffbh_u32_e32 v26, v52
	v_min_u32_e32 v26, 32, v26
	v_subrev_nc_u32_e32 v27, 28, v26
	v_sub_nc_u32_e32 v44, 29, v26
	v_lshlrev_b64 v[45:46], v27, v[0:1]
	v_and_b32_e32 v52, 7, v45
; %bb.1846:                             ;   in Loop: Header=BB288_1066 Depth=1
	s_or_b32 exec_lo, exec_lo, s21
	v_lshlrev_b32_e32 v0, 8, v0
	v_lshl_add_u32 v26, v44, 10, 0x2000
	v_lshlrev_b32_e32 v27, 7, v52
	v_and_b32_e32 v0, 0x8000, v0
	v_and_b32_e32 v26, 0xfc00, v26
	v_or3_b32 v52, v0, v26, v27
.LBB288_1847:                           ;   in Loop: Header=BB288_1066 Depth=1
	s_or_b32 exec_lo, exec_lo, s20
.LBB288_1848:                           ;   in Loop: Header=BB288_1066 Depth=1
	s_or_b32 exec_lo, exec_lo, s18
.LBB288_1849:                           ;   in Loop: Header=BB288_1066 Depth=1
	s_or_b32 exec_lo, exec_lo, s17
	v_cmp_lt_u64_e64 s5, s[12:13], v[11:12]
	v_mov_b32_e32 v11, 0
	s_and_saveexec_b32 s17, s5
	s_cbranch_execz .LBB288_1857
; %bb.1850:                             ;   in Loop: Header=BB288_1066 Depth=1
	v_lshrrev_b32_e32 v0, 24, v12
	v_bfrev_b32_e32 v11, 1
	s_mov_b32 s18, exec_lo
	v_cmpx_ne_u32_e32 0x80, v0
	s_cbranch_execz .LBB288_1856
; %bb.1851:                             ;   in Loop: Header=BB288_1066 Depth=1
	v_and_b32_e32 v44, 0x7f, v0
	v_mov_b32_e32 v11, 0x7c010000
	s_mov_b32 s20, exec_lo
	v_cmpx_ne_u32_e32 0x7f, v44
	s_cbranch_execz .LBB288_1855
; %bb.1852:                             ;   in Loop: Header=BB288_1066 Depth=1
	v_and_b32_e32 v11, 7, v0
	v_lshrrev_b32_e32 v12, 3, v44
	s_mov_b32 s21, exec_lo
	v_cmpx_gt_u32_e32 8, v44
; %bb.1853:                             ;   in Loop: Header=BB288_1066 Depth=1
	v_ffbh_u32_e32 v11, v11
	v_min_u32_e32 v26, 32, v11
	v_subrev_nc_u32_e32 v11, 28, v26
	v_lshlrev_b64 v[11:12], v11, v[0:1]
	v_sub_nc_u32_e32 v12, 29, v26
	v_and_b32_e32 v11, 7, v11
; %bb.1854:                             ;   in Loop: Header=BB288_1066 Depth=1
	s_or_b32 exec_lo, exec_lo, s21
	v_lshlrev_b32_e32 v0, 8, v0
	v_lshl_add_u32 v12, v12, 10, 0x2000
	v_lshlrev_b32_e32 v11, 23, v11
	v_and_or_b32 v0, 0x8000, v0, v12
	v_lshl_or_b32 v11, v0, 16, v11
.LBB288_1855:                           ;   in Loop: Header=BB288_1066 Depth=1
	s_or_b32 exec_lo, exec_lo, s20
.LBB288_1856:                           ;   in Loop: Header=BB288_1066 Depth=1
	s_or_b32 exec_lo, exec_lo, s18
.LBB288_1857:                           ;   in Loop: Header=BB288_1066 Depth=1
	s_or_b32 exec_lo, exec_lo, s17
	v_or_b32_e32 v0, v50, v51
	s_waitcnt vmcnt(0) lgkmcnt(0)
	v_fma_mixlo_f16 v12, v37, v50, 0 op_sel:[0,1,0] op_sel_hi:[0,1,0]
	v_or_b32_e32 v26, v48, v49
	v_fma_mixlo_f16 v27, v37, v48, 0 op_sel:[0,1,0] op_sel_hi:[0,1,0]
	v_or_b32_e32 v48, v43, v103
	v_fma_mixlo_f16 v50, v37, v0, 0 op_sel_hi:[0,1,0]
	v_or_b32_e32 v51, v11, v52
	v_lshlrev_b32_e32 v0, 16, v12
	v_lshlrev_b32_e32 v49, 16, v27
	v_fma_mixlo_f16 v26, v37, v26, 0 op_sel_hi:[0,1,0]
	v_and_b32_e32 v12, 0xffff, v50
	v_fma_mixlo_f16 v27, v37, v43, 0 op_sel:[0,1,0] op_sel_hi:[0,1,0]
	v_fma_mixlo_f16 v48, v37, v48, 0 op_sel_hi:[0,1,0]
	v_fma_mixlo_f16 v11, v37, v11, 0 op_sel:[0,1,0] op_sel_hi:[0,1,0]
	v_fma_mixlo_f16 v50, v37, v51, 0 op_sel_hi:[0,1,0]
	v_and_b32_e32 v44, 0xffff, v26
	v_lshlrev_b32_e32 v37, 16, v27
	v_and_b32_e32 v51, 0xffff, v48
	v_lshlrev_b32_e32 v11, 16, v11
	v_and_b32_e32 v48, 0xffff, v50
	v_or_b32_e32 v50, v0, v12
	v_or_b32_e32 v43, v49, v44
	;; [unrolled: 1-line block ×4, first 2 shown]
	s_and_saveexec_b32 s17, vcc_lo
	s_cbranch_execz .LBB288_1859
; %bb.1858:                             ;   in Loop: Header=BB288_1066 Depth=1
	v_cmp_lt_i32_e64 s5, v18, v38
	v_cndmask_b32_e64 v26, 0, v44, s5
	v_cmp_lt_i32_e64 s5, v100, v38
	v_cndmask_b32_e64 v27, 0, v49, s5
	v_cmp_lt_i32_e64 s5, v99, v38
	v_or_b32_e32 v43, v26, v27
	v_cndmask_b32_e64 v12, 0, v12, s5
	v_cmp_lt_i32_e64 s5, v98, v38
	v_cndmask_b32_e64 v0, 0, v0, s5
	v_cmp_lt_i32_e64 s5, v97, v38
	v_or_b32_e32 v50, v12, v0
	v_cndmask_b32_e64 v49, 0, v51, s5
	v_cmp_lt_i32_e64 s5, v96, v38
	v_cndmask_b32_e64 v37, 0, v37, s5
	v_cmp_lt_i32_e64 s5, v87, v38
	v_or_b32_e32 v103, v49, v37
	v_cndmask_b32_e64 v48, 0, v48, s5
	v_cmp_lt_i32_e64 s5, v86, v38
	v_cndmask_b32_e64 v11, 0, v11, s5
	v_or_b32_e32 v52, v48, v11
.LBB288_1859:                           ;   in Loop: Header=BB288_1066 Depth=1
	s_or_b32 exec_lo, exec_lo, s17
	;;#ASMSTART
	v_pk_mul_f16 v0, v85, v43;

	;;#ASMEND
	;;#ASMSTART
	v_pk_mul_f16 v11, v84, v50;

	;;#ASMEND
	;; [unrolled: 4-line block ×4, first 2 shown]
	;;#ASMSTART
	v_pk_add_f16 v0, v0, v11;

	;;#ASMEND
	;;#ASMSTART
	v_pk_add_f16 v0, v0, v12;

	;;#ASMEND
	;; [unrolled: 4-line block ×3, first 2 shown]
	v_and_b32_e32 v11, 0xffff, v0
	v_lshrrev_b32_e32 v0, 16, v0
	;;#ASMSTART
	v_cvt_f32_f16 v37, v11;
	;;#ASMEND
	;;#ASMSTART
	v_cvt_f32_f16 v48, v0;
	;;#ASMEND
	flat_load_dwordx2 v[11:12], v[9:10] offset:1024
	s_clause 0x1
	buffer_load_dword v26, off, s[0:3], s32 offset:200
	buffer_load_dword v27, off, s[0:3], s32 offset:204
	v_mov_b32_e32 v50, 0
	v_mov_b32_e32 v51, 0
	s_waitcnt vmcnt(2) lgkmcnt(0)
	v_cmp_ne_u16_sdwa s5, v11, v1 src0_sel:BYTE_0 src1_sel:DWORD
	s_waitcnt vmcnt(0)
	flat_load_dword v49, v[26:27]
	s_and_saveexec_b32 s17, s5
	s_cbranch_execz .LBB288_1867
; %bb.1860:                             ;   in Loop: Header=BB288_1066 Depth=1
	v_cmp_ne_u16_sdwa s5, v11, v17 src0_sel:BYTE_0 src1_sel:DWORD
	v_mov_b32_e32 v51, 0x8000
	s_and_saveexec_b32 s18, s5
	s_cbranch_execz .LBB288_1866
; %bb.1861:                             ;   in Loop: Header=BB288_1066 Depth=1
	v_and_b32_e32 v52, 0x7f, v11
	v_mov_b32_e32 v51, 0x7c01
	s_mov_b32 s20, exec_lo
	v_cmpx_ne_u32_e32 0x7f, v52
	s_cbranch_execz .LBB288_1865
; %bb.1862:                             ;   in Loop: Header=BB288_1066 Depth=1
	v_and_b32_e32 v0, 7, v11
	v_lshrrev_b32_e32 v51, 3, v52
	s_mov_b32 s21, exec_lo
	v_cmpx_gt_u32_e32 8, v52
; %bb.1863:                             ;   in Loop: Header=BB288_1066 Depth=1
	v_ffbh_u32_e32 v0, v0
	v_min_u32_e32 v0, 32, v0
	v_subrev_nc_u32_e32 v26, 28, v0
	v_sub_nc_u32_e32 v51, 29, v0
	v_lshlrev_b64 v[43:44], v26, v[11:12]
	v_and_b32_e32 v0, 7, v43
; %bb.1864:                             ;   in Loop: Header=BB288_1066 Depth=1
	s_or_b32 exec_lo, exec_lo, s21
	v_lshlrev_b32_e32 v26, 8, v11
	v_lshl_add_u32 v27, v51, 10, 0x2000
	v_lshlrev_b32_e32 v0, 7, v0
	v_and_b32_e32 v26, 0x8000, v26
	v_and_b32_e32 v27, 0xfc00, v27
	v_or3_b32 v51, v26, v27, v0
.LBB288_1865:                           ;   in Loop: Header=BB288_1066 Depth=1
	s_or_b32 exec_lo, exec_lo, s20
.LBB288_1866:                           ;   in Loop: Header=BB288_1066 Depth=1
	s_or_b32 exec_lo, exec_lo, s18
.LBB288_1867:                           ;   in Loop: Header=BB288_1066 Depth=1
	s_or_b32 exec_lo, exec_lo, s17
	v_lshrrev_b16 v0, 8, v11
	s_mov_b32 s17, exec_lo
	v_cmpx_ne_u16_e32 0, v0
	s_cbranch_execz .LBB288_1875
; %bb.1868:                             ;   in Loop: Header=BB288_1066 Depth=1
	v_bfrev_b32_e32 v50, 1
	s_mov_b32 s18, exec_lo
	v_cmpx_ne_u16_e32 0x80, v0
	s_cbranch_execz .LBB288_1874
; %bb.1869:                             ;   in Loop: Header=BB288_1066 Depth=1
	v_and_b32_sdwa v103, v0, v54 dst_sel:DWORD dst_unused:UNUSED_PAD src0_sel:WORD_0 src1_sel:DWORD
	v_mov_b32_e32 v50, 0x7c010000
	s_mov_b32 s20, exec_lo
	v_cmpx_ne_u32_e32 0x7f, v103
	s_cbranch_execz .LBB288_1873
; %bb.1870:                             ;   in Loop: Header=BB288_1066 Depth=1
	v_and_b32_sdwa v50, v0, v64 dst_sel:DWORD dst_unused:UNUSED_PAD src0_sel:WORD_0 src1_sel:DWORD
	v_lshrrev_b32_e32 v52, 3, v103
	s_mov_b32 s21, exec_lo
	v_cmpx_gt_u32_e32 8, v103
; %bb.1871:                             ;   in Loop: Header=BB288_1066 Depth=1
	v_ffbh_u32_e32 v26, v50
	v_min_u32_e32 v26, 32, v26
	v_subrev_nc_u32_e32 v27, 28, v26
	v_sub_nc_u32_e32 v52, 29, v26
	v_lshlrev_b64 v[43:44], v27, v[0:1]
	v_and_b32_e32 v50, 7, v43
; %bb.1872:                             ;   in Loop: Header=BB288_1066 Depth=1
	s_or_b32 exec_lo, exec_lo, s21
	v_lshlrev_b32_sdwa v0, v80, v0 dst_sel:DWORD dst_unused:UNUSED_PAD src0_sel:DWORD src1_sel:WORD_0
	v_lshl_add_u32 v26, v52, 10, 0x2000
	v_and_or_b32 v0, 0x8000, v0, v26
	v_lshlrev_b32_e32 v26, 23, v50
	v_lshl_or_b32 v50, v0, 16, v26
.LBB288_1873:                           ;   in Loop: Header=BB288_1066 Depth=1
	s_or_b32 exec_lo, exec_lo, s20
.LBB288_1874:                           ;   in Loop: Header=BB288_1066 Depth=1
	s_or_b32 exec_lo, exec_lo, s18
.LBB288_1875:                           ;   in Loop: Header=BB288_1066 Depth=1
	s_or_b32 exec_lo, exec_lo, s17
	v_lshrrev_b32_e32 v0, 16, v11
	v_mov_b32_e32 v52, 0
	v_mov_b32_e32 v103, 0
	v_cmp_ne_u16_sdwa s5, v0, v1 src0_sel:BYTE_0 src1_sel:DWORD
	s_and_saveexec_b32 s17, s5
	s_cbranch_execz .LBB288_1883
; %bb.1876:                             ;   in Loop: Header=BB288_1066 Depth=1
	v_cmp_ne_u16_sdwa s5, v0, v17 src0_sel:BYTE_0 src1_sel:DWORD
	v_mov_b32_e32 v103, 0x8000
	s_and_saveexec_b32 s18, s5
	s_cbranch_execz .LBB288_1882
; %bb.1877:                             ;   in Loop: Header=BB288_1066 Depth=1
	v_bfe_u32 v44, v11, 16, 7
	v_mov_b32_e32 v103, 0x7c01
	s_mov_b32 s20, exec_lo
	v_cmpx_ne_u32_e32 0x7f, v44
	s_cbranch_execz .LBB288_1881
; %bb.1878:                             ;   in Loop: Header=BB288_1066 Depth=1
	v_and_b32_e32 v103, 7, v0
	v_lshrrev_b32_e32 v43, 3, v44
	s_mov_b32 s21, exec_lo
	v_cmpx_gt_u32_e32 8, v44
; %bb.1879:                             ;   in Loop: Header=BB288_1066 Depth=1
	v_ffbh_u32_e32 v26, v103
	v_min_u32_e32 v26, 32, v26
	v_subrev_nc_u32_e32 v27, 28, v26
	v_sub_nc_u32_e32 v43, 29, v26
	v_lshlrev_b64 v[44:45], v27, v[0:1]
	v_and_b32_e32 v103, 7, v44
; %bb.1880:                             ;   in Loop: Header=BB288_1066 Depth=1
	s_or_b32 exec_lo, exec_lo, s21
	v_lshlrev_b32_e32 v0, 8, v0
	v_lshl_add_u32 v26, v43, 10, 0x2000
	v_lshlrev_b32_e32 v27, 7, v103
	v_and_b32_e32 v0, 0x8000, v0
	v_and_b32_e32 v26, 0xfc00, v26
	v_or3_b32 v103, v0, v26, v27
.LBB288_1881:                           ;   in Loop: Header=BB288_1066 Depth=1
	s_or_b32 exec_lo, exec_lo, s20
.LBB288_1882:                           ;   in Loop: Header=BB288_1066 Depth=1
	s_or_b32 exec_lo, exec_lo, s18
.LBB288_1883:                           ;   in Loop: Header=BB288_1066 Depth=1
	s_or_b32 exec_lo, exec_lo, s17
	s_mov_b32 s17, exec_lo
	v_cmpx_lt_u32_e32 0xffffff, v11
	s_cbranch_execz .LBB288_1891
; %bb.1884:                             ;   in Loop: Header=BB288_1066 Depth=1
	v_lshrrev_b32_e32 v0, 24, v11
	v_bfrev_b32_e32 v52, 1
	s_mov_b32 s18, exec_lo
	v_cmpx_ne_u32_e32 0x80, v0
	s_cbranch_execz .LBB288_1890
; %bb.1885:                             ;   in Loop: Header=BB288_1066 Depth=1
	v_and_b32_e32 v44, 0x7f, v0
	v_mov_b32_e32 v52, 0x7c010000
	s_mov_b32 s20, exec_lo
	v_cmpx_ne_u32_e32 0x7f, v44
	s_cbranch_execz .LBB288_1889
; %bb.1886:                             ;   in Loop: Header=BB288_1066 Depth=1
	v_and_b32_e32 v52, 7, v0
	v_lshrrev_b32_e32 v43, 3, v44
	s_mov_b32 s21, exec_lo
	v_cmpx_gt_u32_e32 8, v44
; %bb.1887:                             ;   in Loop: Header=BB288_1066 Depth=1
	v_ffbh_u32_e32 v26, v52
	v_min_u32_e32 v26, 32, v26
	v_subrev_nc_u32_e32 v27, 28, v26
	v_sub_nc_u32_e32 v43, 29, v26
	v_lshlrev_b64 v[44:45], v27, v[0:1]
	v_and_b32_e32 v52, 7, v44
; %bb.1888:                             ;   in Loop: Header=BB288_1066 Depth=1
	s_or_b32 exec_lo, exec_lo, s21
	v_lshlrev_b32_e32 v0, 8, v0
	v_lshl_add_u32 v26, v43, 10, 0x2000
	v_and_or_b32 v0, 0x8000, v0, v26
	v_lshlrev_b32_e32 v26, 23, v52
	v_lshl_or_b32 v52, v0, 16, v26
.LBB288_1889:                           ;   in Loop: Header=BB288_1066 Depth=1
	s_or_b32 exec_lo, exec_lo, s20
.LBB288_1890:                           ;   in Loop: Header=BB288_1066 Depth=1
	s_or_b32 exec_lo, exec_lo, s18
.LBB288_1891:                           ;   in Loop: Header=BB288_1066 Depth=1
	s_or_b32 exec_lo, exec_lo, s17
	v_mov_b32_e32 v0, v12
	v_cmp_ne_u16_sdwa s5, v12, v1 src0_sel:BYTE_0 src1_sel:DWORD
	v_mov_b32_e32 v43, 0
	v_mov_b32_e32 v44, 0
	s_and_saveexec_b32 s17, s5
	s_cbranch_execz .LBB288_1899
; %bb.1892:                             ;   in Loop: Header=BB288_1066 Depth=1
	v_cmp_ne_u16_sdwa s5, v12, v17 src0_sel:BYTE_0 src1_sel:DWORD
	v_mov_b32_e32 v44, 0x8000
	s_and_saveexec_b32 s18, s5
	s_cbranch_execz .LBB288_1898
; %bb.1893:                             ;   in Loop: Header=BB288_1066 Depth=1
	v_and_b32_e32 v46, 0x7f, v12
	v_mov_b32_e32 v44, 0x7c01
	s_mov_b32 s20, exec_lo
	v_cmpx_ne_u32_e32 0x7f, v46
	s_cbranch_execz .LBB288_1897
; %bb.1894:                             ;   in Loop: Header=BB288_1066 Depth=1
	v_and_b32_e32 v44, 7, v12
	v_lshrrev_b32_e32 v45, 3, v46
	s_mov_b32 s21, exec_lo
	v_cmpx_gt_u32_e32 8, v46
; %bb.1895:                             ;   in Loop: Header=BB288_1066 Depth=1
	v_ffbh_u32_e32 v26, v44
	v_min_u32_e32 v26, 32, v26
	v_subrev_nc_u32_e32 v27, 28, v26
	v_lshlrev_b64 v[44:45], v27, v[0:1]
	v_sub_nc_u32_e32 v45, 29, v26
	v_and_b32_e32 v44, 7, v44
; %bb.1896:                             ;   in Loop: Header=BB288_1066 Depth=1
	s_or_b32 exec_lo, exec_lo, s21
	v_lshlrev_b32_e32 v26, 8, v12
	v_lshl_add_u32 v27, v45, 10, 0x2000
	v_lshlrev_b32_e32 v113, 7, v44
	v_and_b32_e32 v26, 0x8000, v26
	v_and_b32_e32 v27, 0xfc00, v27
	v_or3_b32 v44, v26, v27, v113
.LBB288_1897:                           ;   in Loop: Header=BB288_1066 Depth=1
	s_or_b32 exec_lo, exec_lo, s20
.LBB288_1898:                           ;   in Loop: Header=BB288_1066 Depth=1
	s_or_b32 exec_lo, exec_lo, s18
.LBB288_1899:                           ;   in Loop: Header=BB288_1066 Depth=1
	s_or_b32 exec_lo, exec_lo, s17
	v_lshrrev_b16 v0, 8, v0
	v_mov_b32_e32 v45, 0
	s_mov_b32 s17, exec_lo
	v_cmpx_ne_u16_e32 0, v0
	s_cbranch_execz .LBB288_1907
; %bb.1900:                             ;   in Loop: Header=BB288_1066 Depth=1
	v_bfrev_b32_e32 v45, 1
	s_mov_b32 s18, exec_lo
	v_cmpx_ne_u16_e32 0x80, v0
	s_cbranch_execz .LBB288_1906
; %bb.1901:                             ;   in Loop: Header=BB288_1066 Depth=1
	v_and_b32_sdwa v47, v0, v54 dst_sel:DWORD dst_unused:UNUSED_PAD src0_sel:WORD_0 src1_sel:DWORD
	v_mov_b32_e32 v45, 0x7c010000
	s_mov_b32 s20, exec_lo
	v_cmpx_ne_u32_e32 0x7f, v47
	s_cbranch_execz .LBB288_1905
; %bb.1902:                             ;   in Loop: Header=BB288_1066 Depth=1
	v_and_b32_sdwa v45, v0, v64 dst_sel:DWORD dst_unused:UNUSED_PAD src0_sel:WORD_0 src1_sel:DWORD
	v_lshrrev_b32_e32 v46, 3, v47
	s_mov_b32 s21, exec_lo
	v_cmpx_gt_u32_e32 8, v47
; %bb.1903:                             ;   in Loop: Header=BB288_1066 Depth=1
	v_ffbh_u32_e32 v26, v45
	v_min_u32_e32 v26, 32, v26
	v_subrev_nc_u32_e32 v27, 28, v26
	v_lshlrev_b64 v[45:46], v27, v[0:1]
	v_sub_nc_u32_e32 v46, 29, v26
	v_and_b32_e32 v45, 7, v45
; %bb.1904:                             ;   in Loop: Header=BB288_1066 Depth=1
	s_or_b32 exec_lo, exec_lo, s21
	v_lshlrev_b32_sdwa v0, v80, v0 dst_sel:DWORD dst_unused:UNUSED_PAD src0_sel:DWORD src1_sel:WORD_0
	v_lshl_add_u32 v26, v46, 10, 0x2000
	v_and_or_b32 v0, 0x8000, v0, v26
	v_lshlrev_b32_e32 v26, 23, v45
	v_lshl_or_b32 v45, v0, 16, v26
.LBB288_1905:                           ;   in Loop: Header=BB288_1066 Depth=1
	s_or_b32 exec_lo, exec_lo, s20
.LBB288_1906:                           ;   in Loop: Header=BB288_1066 Depth=1
	s_or_b32 exec_lo, exec_lo, s18
.LBB288_1907:                           ;   in Loop: Header=BB288_1066 Depth=1
	s_or_b32 exec_lo, exec_lo, s17
	v_lshrrev_b32_e32 v0, 16, v12
	v_cmp_ne_u16_sdwa s5, v0, v1 src0_sel:BYTE_0 src1_sel:DWORD
	s_and_saveexec_b32 s17, s5
	s_cbranch_execz .LBB288_1915
; %bb.1908:                             ;   in Loop: Header=BB288_1066 Depth=1
	v_cmp_ne_u16_sdwa s5, v0, v17 src0_sel:BYTE_0 src1_sel:DWORD
	v_mov_b32_e32 v43, 0x8000
	s_and_saveexec_b32 s18, s5
	s_cbranch_execz .LBB288_1914
; %bb.1909:                             ;   in Loop: Header=BB288_1066 Depth=1
	v_bfe_u32 v47, v12, 16, 7
	v_mov_b32_e32 v43, 0x7c01
	s_mov_b32 s20, exec_lo
	v_cmpx_ne_u32_e32 0x7f, v47
	s_cbranch_execz .LBB288_1913
; %bb.1910:                             ;   in Loop: Header=BB288_1066 Depth=1
	v_and_b32_e32 v43, 7, v0
	v_lshrrev_b32_e32 v46, 3, v47
	s_mov_b32 s21, exec_lo
	v_cmpx_gt_u32_e32 8, v47
; %bb.1911:                             ;   in Loop: Header=BB288_1066 Depth=1
	v_ffbh_u32_e32 v26, v43
	v_min_u32_e32 v26, 32, v26
	v_subrev_nc_u32_e32 v27, 28, v26
	v_sub_nc_u32_e32 v46, 29, v26
	v_lshlrev_b64 v[56:57], v27, v[0:1]
	v_and_b32_e32 v43, 7, v56
; %bb.1912:                             ;   in Loop: Header=BB288_1066 Depth=1
	s_or_b32 exec_lo, exec_lo, s21
	v_lshlrev_b32_e32 v0, 8, v0
	v_lshl_add_u32 v26, v46, 10, 0x2000
	v_lshlrev_b32_e32 v27, 7, v43
	v_and_b32_e32 v0, 0x8000, v0
	v_and_b32_e32 v26, 0xfc00, v26
	v_or3_b32 v43, v0, v26, v27
.LBB288_1913:                           ;   in Loop: Header=BB288_1066 Depth=1
	s_or_b32 exec_lo, exec_lo, s20
.LBB288_1914:                           ;   in Loop: Header=BB288_1066 Depth=1
	s_or_b32 exec_lo, exec_lo, s18
.LBB288_1915:                           ;   in Loop: Header=BB288_1066 Depth=1
	s_or_b32 exec_lo, exec_lo, s17
	v_cmp_lt_u64_e64 s5, s[12:13], v[11:12]
	v_mov_b32_e32 v11, 0
	s_and_saveexec_b32 s17, s5
	s_cbranch_execz .LBB288_1923
; %bb.1916:                             ;   in Loop: Header=BB288_1066 Depth=1
	v_lshrrev_b32_e32 v0, 24, v12
	v_bfrev_b32_e32 v11, 1
	s_mov_b32 s18, exec_lo
	v_cmpx_ne_u32_e32 0x80, v0
	s_cbranch_execz .LBB288_1922
; %bb.1917:                             ;   in Loop: Header=BB288_1066 Depth=1
	v_and_b32_e32 v46, 0x7f, v0
	v_mov_b32_e32 v11, 0x7c010000
	s_mov_b32 s20, exec_lo
	v_cmpx_ne_u32_e32 0x7f, v46
	s_cbranch_execz .LBB288_1921
; %bb.1918:                             ;   in Loop: Header=BB288_1066 Depth=1
	v_and_b32_e32 v11, 7, v0
	v_lshrrev_b32_e32 v12, 3, v46
	s_mov_b32 s21, exec_lo
	v_cmpx_gt_u32_e32 8, v46
; %bb.1919:                             ;   in Loop: Header=BB288_1066 Depth=1
	v_ffbh_u32_e32 v11, v11
	v_min_u32_e32 v26, 32, v11
	v_subrev_nc_u32_e32 v11, 28, v26
	v_lshlrev_b64 v[11:12], v11, v[0:1]
	v_sub_nc_u32_e32 v12, 29, v26
	v_and_b32_e32 v11, 7, v11
; %bb.1920:                             ;   in Loop: Header=BB288_1066 Depth=1
	s_or_b32 exec_lo, exec_lo, s21
	v_lshlrev_b32_e32 v0, 8, v0
	v_lshl_add_u32 v12, v12, 10, 0x2000
	v_lshlrev_b32_e32 v11, 23, v11
	v_and_or_b32 v0, 0x8000, v0, v12
	v_lshl_or_b32 v11, v0, 16, v11
.LBB288_1921:                           ;   in Loop: Header=BB288_1066 Depth=1
	s_or_b32 exec_lo, exec_lo, s20
.LBB288_1922:                           ;   in Loop: Header=BB288_1066 Depth=1
	s_or_b32 exec_lo, exec_lo, s18
.LBB288_1923:                           ;   in Loop: Header=BB288_1066 Depth=1
	s_or_b32 exec_lo, exec_lo, s17
	v_or_b32_e32 v0, v52, v103
	s_waitcnt vmcnt(0) lgkmcnt(0)
	v_fma_mixlo_f16 v12, v49, v52, 0 op_sel:[0,1,0] op_sel_hi:[0,1,0]
	v_or_b32_e32 v26, v50, v51
	v_fma_mixlo_f16 v27, v49, v50, 0 op_sel:[0,1,0] op_sel_hi:[0,1,0]
	v_or_b32_e32 v50, v45, v44
	v_fma_mixlo_f16 v52, v49, v0, 0 op_sel_hi:[0,1,0]
	v_or_b32_e32 v103, v11, v43
	v_lshlrev_b32_e32 v0, 16, v12
	v_lshlrev_b32_e32 v51, 16, v27
	v_fma_mixlo_f16 v26, v49, v26, 0 op_sel_hi:[0,1,0]
	v_and_b32_e32 v12, 0xffff, v52
	v_fma_mixlo_f16 v27, v49, v45, 0 op_sel:[0,1,0] op_sel_hi:[0,1,0]
	v_fma_mixlo_f16 v50, v49, v50, 0 op_sel_hi:[0,1,0]
	v_fma_mixlo_f16 v11, v49, v11, 0 op_sel:[0,1,0] op_sel_hi:[0,1,0]
	v_fma_mixlo_f16 v52, v49, v103, 0 op_sel_hi:[0,1,0]
	v_and_b32_e32 v46, 0xffff, v26
	v_lshlrev_b32_e32 v49, 16, v27
	v_and_b32_e32 v103, 0xffff, v50
	v_lshlrev_b32_e32 v11, 16, v11
	v_and_b32_e32 v50, 0xffff, v52
	v_or_b32_e32 v52, v0, v12
	v_or_b32_e32 v45, v51, v46
	;; [unrolled: 1-line block ×4, first 2 shown]
	s_and_saveexec_b32 s17, vcc_lo
	s_cbranch_execz .LBB288_1925
; %bb.1924:                             ;   in Loop: Header=BB288_1066 Depth=1
	v_cmp_lt_i32_e64 s5, v18, v38
	v_cndmask_b32_e64 v26, 0, v46, s5
	v_cmp_lt_i32_e64 s5, v100, v38
	v_cndmask_b32_e64 v27, 0, v51, s5
	v_cmp_lt_i32_e64 s5, v99, v38
	v_or_b32_e32 v45, v26, v27
	v_cndmask_b32_e64 v12, 0, v12, s5
	v_cmp_lt_i32_e64 s5, v98, v38
	v_cndmask_b32_e64 v0, 0, v0, s5
	v_cmp_lt_i32_e64 s5, v97, v38
	v_or_b32_e32 v52, v12, v0
	v_cndmask_b32_e64 v51, 0, v103, s5
	v_cmp_lt_i32_e64 s5, v96, v38
	v_cndmask_b32_e64 v49, 0, v49, s5
	v_cmp_lt_i32_e64 s5, v87, v38
	v_or_b32_e32 v44, v51, v49
	v_cndmask_b32_e64 v50, 0, v50, s5
	v_cmp_lt_i32_e64 s5, v86, v38
	v_cndmask_b32_e64 v11, 0, v11, s5
	v_or_b32_e32 v43, v50, v11
.LBB288_1925:                           ;   in Loop: Header=BB288_1066 Depth=1
	s_or_b32 exec_lo, exec_lo, s17
	;;#ASMSTART
	v_pk_mul_f16 v0, v85, v45;

	;;#ASMEND
	;;#ASMSTART
	v_pk_mul_f16 v11, v84, v52;

	;;#ASMEND
	;; [unrolled: 4-line block ×4, first 2 shown]
	;;#ASMSTART
	v_pk_add_f16 v0, v0, v11;

	;;#ASMEND
	;;#ASMSTART
	v_pk_add_f16 v0, v0, v12;

	;;#ASMEND
	;; [unrolled: 4-line block ×3, first 2 shown]
	v_and_b32_e32 v11, 0xffff, v0
	v_lshrrev_b32_e32 v0, 16, v0
	;;#ASMSTART
	v_cvt_f32_f16 v49, v11;
	;;#ASMEND
	;;#ASMSTART
	v_cvt_f32_f16 v50, v0;
	;;#ASMEND
	flat_load_dwordx2 v[11:12], v[9:10] offset:1280
	s_clause 0x1
	buffer_load_dword v26, off, s[0:3], s32 offset:200
	buffer_load_dword v27, off, s[0:3], s32 offset:204
	v_mov_b32_e32 v52, 0
	v_mov_b32_e32 v103, 0
	s_waitcnt vmcnt(2) lgkmcnt(0)
	v_cmp_ne_u16_sdwa s5, v11, v1 src0_sel:BYTE_0 src1_sel:DWORD
	s_waitcnt vmcnt(0)
	flat_load_dword v51, v[26:27]
	s_and_saveexec_b32 s17, s5
	s_cbranch_execz .LBB288_1933
; %bb.1926:                             ;   in Loop: Header=BB288_1066 Depth=1
	v_cmp_ne_u16_sdwa s5, v11, v17 src0_sel:BYTE_0 src1_sel:DWORD
	v_mov_b32_e32 v103, 0x8000
	s_and_saveexec_b32 s18, s5
	s_cbranch_execz .LBB288_1932
; %bb.1927:                             ;   in Loop: Header=BB288_1066 Depth=1
	v_and_b32_e32 v43, 0x7f, v11
	v_mov_b32_e32 v103, 0x7c01
	s_mov_b32 s20, exec_lo
	v_cmpx_ne_u32_e32 0x7f, v43
	s_cbranch_execz .LBB288_1931
; %bb.1928:                             ;   in Loop: Header=BB288_1066 Depth=1
	v_and_b32_e32 v0, 7, v11
	v_lshrrev_b32_e32 v103, 3, v43
	s_mov_b32 s21, exec_lo
	v_cmpx_gt_u32_e32 8, v43
; %bb.1929:                             ;   in Loop: Header=BB288_1066 Depth=1
	v_ffbh_u32_e32 v0, v0
	v_min_u32_e32 v0, 32, v0
	v_subrev_nc_u32_e32 v26, 28, v0
	v_sub_nc_u32_e32 v103, 29, v0
	v_lshlrev_b64 v[43:44], v26, v[11:12]
	v_and_b32_e32 v0, 7, v43
; %bb.1930:                             ;   in Loop: Header=BB288_1066 Depth=1
	s_or_b32 exec_lo, exec_lo, s21
	v_lshlrev_b32_e32 v26, 8, v11
	v_lshl_add_u32 v27, v103, 10, 0x2000
	v_lshlrev_b32_e32 v0, 7, v0
	v_and_b32_e32 v26, 0x8000, v26
	v_and_b32_e32 v27, 0xfc00, v27
	v_or3_b32 v103, v26, v27, v0
.LBB288_1931:                           ;   in Loop: Header=BB288_1066 Depth=1
	s_or_b32 exec_lo, exec_lo, s20
.LBB288_1932:                           ;   in Loop: Header=BB288_1066 Depth=1
	s_or_b32 exec_lo, exec_lo, s18
.LBB288_1933:                           ;   in Loop: Header=BB288_1066 Depth=1
	s_or_b32 exec_lo, exec_lo, s17
	v_lshrrev_b16 v0, 8, v11
	s_mov_b32 s17, exec_lo
	v_cmpx_ne_u16_e32 0, v0
	s_cbranch_execz .LBB288_1941
; %bb.1934:                             ;   in Loop: Header=BB288_1066 Depth=1
	v_bfrev_b32_e32 v52, 1
	s_mov_b32 s18, exec_lo
	v_cmpx_ne_u16_e32 0x80, v0
	s_cbranch_execz .LBB288_1940
; %bb.1935:                             ;   in Loop: Header=BB288_1066 Depth=1
	v_and_b32_sdwa v44, v0, v54 dst_sel:DWORD dst_unused:UNUSED_PAD src0_sel:WORD_0 src1_sel:DWORD
	v_mov_b32_e32 v52, 0x7c010000
	s_mov_b32 s20, exec_lo
	v_cmpx_ne_u32_e32 0x7f, v44
	s_cbranch_execz .LBB288_1939
; %bb.1936:                             ;   in Loop: Header=BB288_1066 Depth=1
	v_and_b32_sdwa v52, v0, v64 dst_sel:DWORD dst_unused:UNUSED_PAD src0_sel:WORD_0 src1_sel:DWORD
	v_lshrrev_b32_e32 v43, 3, v44
	s_mov_b32 s21, exec_lo
	v_cmpx_gt_u32_e32 8, v44
; %bb.1937:                             ;   in Loop: Header=BB288_1066 Depth=1
	v_ffbh_u32_e32 v26, v52
	v_min_u32_e32 v26, 32, v26
	v_subrev_nc_u32_e32 v27, 28, v26
	v_sub_nc_u32_e32 v43, 29, v26
	v_lshlrev_b64 v[44:45], v27, v[0:1]
	v_and_b32_e32 v52, 7, v44
; %bb.1938:                             ;   in Loop: Header=BB288_1066 Depth=1
	s_or_b32 exec_lo, exec_lo, s21
	v_lshlrev_b32_sdwa v0, v80, v0 dst_sel:DWORD dst_unused:UNUSED_PAD src0_sel:DWORD src1_sel:WORD_0
	v_lshl_add_u32 v26, v43, 10, 0x2000
	v_and_or_b32 v0, 0x8000, v0, v26
	v_lshlrev_b32_e32 v26, 23, v52
	v_lshl_or_b32 v52, v0, 16, v26
.LBB288_1939:                           ;   in Loop: Header=BB288_1066 Depth=1
	s_or_b32 exec_lo, exec_lo, s20
.LBB288_1940:                           ;   in Loop: Header=BB288_1066 Depth=1
	s_or_b32 exec_lo, exec_lo, s18
.LBB288_1941:                           ;   in Loop: Header=BB288_1066 Depth=1
	s_or_b32 exec_lo, exec_lo, s17
	v_lshrrev_b32_e32 v0, 16, v11
	v_mov_b32_e32 v43, 0
	v_mov_b32_e32 v44, 0
	v_cmp_ne_u16_sdwa s5, v0, v1 src0_sel:BYTE_0 src1_sel:DWORD
	s_and_saveexec_b32 s17, s5
	s_cbranch_execz .LBB288_1949
; %bb.1942:                             ;   in Loop: Header=BB288_1066 Depth=1
	v_cmp_ne_u16_sdwa s5, v0, v17 src0_sel:BYTE_0 src1_sel:DWORD
	v_mov_b32_e32 v44, 0x8000
	s_and_saveexec_b32 s18, s5
	s_cbranch_execz .LBB288_1948
; %bb.1943:                             ;   in Loop: Header=BB288_1066 Depth=1
	v_bfe_u32 v46, v11, 16, 7
	v_mov_b32_e32 v44, 0x7c01
	s_mov_b32 s20, exec_lo
	v_cmpx_ne_u32_e32 0x7f, v46
	s_cbranch_execz .LBB288_1947
; %bb.1944:                             ;   in Loop: Header=BB288_1066 Depth=1
	v_and_b32_e32 v44, 7, v0
	v_lshrrev_b32_e32 v45, 3, v46
	s_mov_b32 s21, exec_lo
	v_cmpx_gt_u32_e32 8, v46
; %bb.1945:                             ;   in Loop: Header=BB288_1066 Depth=1
	v_ffbh_u32_e32 v26, v44
	v_min_u32_e32 v26, 32, v26
	v_subrev_nc_u32_e32 v27, 28, v26
	v_lshlrev_b64 v[44:45], v27, v[0:1]
	v_sub_nc_u32_e32 v45, 29, v26
	v_and_b32_e32 v44, 7, v44
; %bb.1946:                             ;   in Loop: Header=BB288_1066 Depth=1
	s_or_b32 exec_lo, exec_lo, s21
	v_lshlrev_b32_e32 v0, 8, v0
	v_lshl_add_u32 v26, v45, 10, 0x2000
	v_lshlrev_b32_e32 v27, 7, v44
	v_and_b32_e32 v0, 0x8000, v0
	v_and_b32_e32 v26, 0xfc00, v26
	v_or3_b32 v44, v0, v26, v27
.LBB288_1947:                           ;   in Loop: Header=BB288_1066 Depth=1
	s_or_b32 exec_lo, exec_lo, s20
.LBB288_1948:                           ;   in Loop: Header=BB288_1066 Depth=1
	s_or_b32 exec_lo, exec_lo, s18
.LBB288_1949:                           ;   in Loop: Header=BB288_1066 Depth=1
	s_or_b32 exec_lo, exec_lo, s17
	s_mov_b32 s17, exec_lo
	v_cmpx_lt_u32_e32 0xffffff, v11
	s_cbranch_execz .LBB288_1957
; %bb.1950:                             ;   in Loop: Header=BB288_1066 Depth=1
	v_lshrrev_b32_e32 v0, 24, v11
	v_bfrev_b32_e32 v43, 1
	s_mov_b32 s18, exec_lo
	v_cmpx_ne_u32_e32 0x80, v0
	s_cbranch_execz .LBB288_1956
; %bb.1951:                             ;   in Loop: Header=BB288_1066 Depth=1
	v_and_b32_e32 v46, 0x7f, v0
	v_mov_b32_e32 v43, 0x7c010000
	s_mov_b32 s20, exec_lo
	v_cmpx_ne_u32_e32 0x7f, v46
	s_cbranch_execz .LBB288_1955
; %bb.1952:                             ;   in Loop: Header=BB288_1066 Depth=1
	v_and_b32_e32 v43, 7, v0
	v_lshrrev_b32_e32 v45, 3, v46
	s_mov_b32 s21, exec_lo
	v_cmpx_gt_u32_e32 8, v46
; %bb.1953:                             ;   in Loop: Header=BB288_1066 Depth=1
	v_ffbh_u32_e32 v26, v43
	v_min_u32_e32 v26, 32, v26
	v_subrev_nc_u32_e32 v27, 28, v26
	v_sub_nc_u32_e32 v45, 29, v26
	v_lshlrev_b64 v[46:47], v27, v[0:1]
	v_and_b32_e32 v43, 7, v46
; %bb.1954:                             ;   in Loop: Header=BB288_1066 Depth=1
	s_or_b32 exec_lo, exec_lo, s21
	v_lshlrev_b32_e32 v0, 8, v0
	v_lshl_add_u32 v26, v45, 10, 0x2000
	v_and_or_b32 v0, 0x8000, v0, v26
	v_lshlrev_b32_e32 v26, 23, v43
	v_lshl_or_b32 v43, v0, 16, v26
.LBB288_1955:                           ;   in Loop: Header=BB288_1066 Depth=1
	s_or_b32 exec_lo, exec_lo, s20
.LBB288_1956:                           ;   in Loop: Header=BB288_1066 Depth=1
	s_or_b32 exec_lo, exec_lo, s18
.LBB288_1957:                           ;   in Loop: Header=BB288_1066 Depth=1
	s_or_b32 exec_lo, exec_lo, s17
	v_mov_b32_e32 v0, v12
	v_cmp_ne_u16_sdwa s5, v12, v1 src0_sel:BYTE_0 src1_sel:DWORD
	v_mov_b32_e32 v45, 0
	v_mov_b32_e32 v46, 0
	s_and_saveexec_b32 s17, s5
	s_cbranch_execz .LBB288_1965
; %bb.1958:                             ;   in Loop: Header=BB288_1066 Depth=1
	v_cmp_ne_u16_sdwa s5, v12, v17 src0_sel:BYTE_0 src1_sel:DWORD
	v_mov_b32_e32 v46, 0x8000
	s_and_saveexec_b32 s18, s5
	s_cbranch_execz .LBB288_1964
; %bb.1959:                             ;   in Loop: Header=BB288_1066 Depth=1
	v_and_b32_e32 v56, 0x7f, v12
	v_mov_b32_e32 v46, 0x7c01
	s_mov_b32 s20, exec_lo
	v_cmpx_ne_u32_e32 0x7f, v56
	s_cbranch_execz .LBB288_1963
; %bb.1960:                             ;   in Loop: Header=BB288_1066 Depth=1
	v_and_b32_e32 v46, 7, v12
	v_lshrrev_b32_e32 v47, 3, v56
	s_mov_b32 s21, exec_lo
	v_cmpx_gt_u32_e32 8, v56
; %bb.1961:                             ;   in Loop: Header=BB288_1066 Depth=1
	v_ffbh_u32_e32 v26, v46
	v_min_u32_e32 v26, 32, v26
	v_subrev_nc_u32_e32 v27, 28, v26
	v_lshlrev_b64 v[46:47], v27, v[0:1]
	v_sub_nc_u32_e32 v47, 29, v26
	v_and_b32_e32 v46, 7, v46
; %bb.1962:                             ;   in Loop: Header=BB288_1066 Depth=1
	s_or_b32 exec_lo, exec_lo, s21
	v_lshlrev_b32_e32 v26, 8, v12
	v_lshl_add_u32 v27, v47, 10, 0x2000
	v_lshlrev_b32_e32 v113, 7, v46
	v_and_b32_e32 v26, 0x8000, v26
	v_and_b32_e32 v27, 0xfc00, v27
	v_or3_b32 v46, v26, v27, v113
.LBB288_1963:                           ;   in Loop: Header=BB288_1066 Depth=1
	s_or_b32 exec_lo, exec_lo, s20
.LBB288_1964:                           ;   in Loop: Header=BB288_1066 Depth=1
	s_or_b32 exec_lo, exec_lo, s18
.LBB288_1965:                           ;   in Loop: Header=BB288_1066 Depth=1
	s_or_b32 exec_lo, exec_lo, s17
	v_lshrrev_b16 v0, 8, v0
	v_mov_b32_e32 v47, 0
	s_mov_b32 s17, exec_lo
	v_cmpx_ne_u16_e32 0, v0
	s_cbranch_execz .LBB288_1973
; %bb.1966:                             ;   in Loop: Header=BB288_1066 Depth=1
	v_bfrev_b32_e32 v47, 1
	s_mov_b32 s18, exec_lo
	v_cmpx_ne_u16_e32 0x80, v0
	s_cbranch_execz .LBB288_1972
; %bb.1967:                             ;   in Loop: Header=BB288_1066 Depth=1
	v_and_b32_sdwa v57, v0, v54 dst_sel:DWORD dst_unused:UNUSED_PAD src0_sel:WORD_0 src1_sel:DWORD
	v_mov_b32_e32 v47, 0x7c010000
	s_mov_b32 s20, exec_lo
	v_cmpx_ne_u32_e32 0x7f, v57
	s_cbranch_execz .LBB288_1971
; %bb.1968:                             ;   in Loop: Header=BB288_1066 Depth=1
	v_and_b32_sdwa v47, v0, v64 dst_sel:DWORD dst_unused:UNUSED_PAD src0_sel:WORD_0 src1_sel:DWORD
	v_lshrrev_b32_e32 v56, 3, v57
	s_mov_b32 s21, exec_lo
	v_cmpx_gt_u32_e32 8, v57
; %bb.1969:                             ;   in Loop: Header=BB288_1066 Depth=1
	v_ffbh_u32_e32 v26, v47
	v_min_u32_e32 v26, 32, v26
	v_subrev_nc_u32_e32 v27, 28, v26
	v_sub_nc_u32_e32 v56, 29, v26
	v_lshlrev_b64 v[57:58], v27, v[0:1]
	v_and_b32_e32 v47, 7, v57
; %bb.1970:                             ;   in Loop: Header=BB288_1066 Depth=1
	s_or_b32 exec_lo, exec_lo, s21
	v_lshlrev_b32_sdwa v0, v80, v0 dst_sel:DWORD dst_unused:UNUSED_PAD src0_sel:DWORD src1_sel:WORD_0
	v_lshl_add_u32 v26, v56, 10, 0x2000
	v_and_or_b32 v0, 0x8000, v0, v26
	v_lshlrev_b32_e32 v26, 23, v47
	v_lshl_or_b32 v47, v0, 16, v26
.LBB288_1971:                           ;   in Loop: Header=BB288_1066 Depth=1
	s_or_b32 exec_lo, exec_lo, s20
.LBB288_1972:                           ;   in Loop: Header=BB288_1066 Depth=1
	s_or_b32 exec_lo, exec_lo, s18
.LBB288_1973:                           ;   in Loop: Header=BB288_1066 Depth=1
	s_or_b32 exec_lo, exec_lo, s17
	v_lshrrev_b32_e32 v0, 16, v12
	v_cmp_ne_u16_sdwa s5, v0, v1 src0_sel:BYTE_0 src1_sel:DWORD
	s_and_saveexec_b32 s17, s5
	s_cbranch_execz .LBB288_1981
; %bb.1974:                             ;   in Loop: Header=BB288_1066 Depth=1
	v_cmp_ne_u16_sdwa s5, v0, v17 src0_sel:BYTE_0 src1_sel:DWORD
	v_mov_b32_e32 v45, 0x8000
	s_and_saveexec_b32 s18, s5
	s_cbranch_execz .LBB288_1980
; %bb.1975:                             ;   in Loop: Header=BB288_1066 Depth=1
	v_bfe_u32 v57, v12, 16, 7
	v_mov_b32_e32 v45, 0x7c01
	s_mov_b32 s20, exec_lo
	v_cmpx_ne_u32_e32 0x7f, v57
	s_cbranch_execz .LBB288_1979
; %bb.1976:                             ;   in Loop: Header=BB288_1066 Depth=1
	v_and_b32_e32 v45, 7, v0
	v_lshrrev_b32_e32 v56, 3, v57
	s_mov_b32 s21, exec_lo
	v_cmpx_gt_u32_e32 8, v57
; %bb.1977:                             ;   in Loop: Header=BB288_1066 Depth=1
	v_ffbh_u32_e32 v26, v45
	v_min_u32_e32 v26, 32, v26
	v_subrev_nc_u32_e32 v27, 28, v26
	v_sub_nc_u32_e32 v56, 29, v26
	v_lshlrev_b64 v[57:58], v27, v[0:1]
	v_and_b32_e32 v45, 7, v57
; %bb.1978:                             ;   in Loop: Header=BB288_1066 Depth=1
	s_or_b32 exec_lo, exec_lo, s21
	v_lshlrev_b32_e32 v0, 8, v0
	v_lshl_add_u32 v26, v56, 10, 0x2000
	v_lshlrev_b32_e32 v27, 7, v45
	v_and_b32_e32 v0, 0x8000, v0
	v_and_b32_e32 v26, 0xfc00, v26
	v_or3_b32 v45, v0, v26, v27
.LBB288_1979:                           ;   in Loop: Header=BB288_1066 Depth=1
	s_or_b32 exec_lo, exec_lo, s20
.LBB288_1980:                           ;   in Loop: Header=BB288_1066 Depth=1
	s_or_b32 exec_lo, exec_lo, s18
.LBB288_1981:                           ;   in Loop: Header=BB288_1066 Depth=1
	s_or_b32 exec_lo, exec_lo, s17
	v_cmp_lt_u64_e64 s5, s[12:13], v[11:12]
	v_mov_b32_e32 v11, 0
	s_and_saveexec_b32 s17, s5
	s_cbranch_execz .LBB288_1989
; %bb.1982:                             ;   in Loop: Header=BB288_1066 Depth=1
	v_lshrrev_b32_e32 v0, 24, v12
	v_bfrev_b32_e32 v11, 1
	s_mov_b32 s18, exec_lo
	v_cmpx_ne_u32_e32 0x80, v0
	s_cbranch_execz .LBB288_1988
; %bb.1983:                             ;   in Loop: Header=BB288_1066 Depth=1
	v_and_b32_e32 v56, 0x7f, v0
	v_mov_b32_e32 v11, 0x7c010000
	s_mov_b32 s20, exec_lo
	v_cmpx_ne_u32_e32 0x7f, v56
	s_cbranch_execz .LBB288_1987
; %bb.1984:                             ;   in Loop: Header=BB288_1066 Depth=1
	v_and_b32_e32 v11, 7, v0
	v_lshrrev_b32_e32 v12, 3, v56
	s_mov_b32 s21, exec_lo
	v_cmpx_gt_u32_e32 8, v56
; %bb.1985:                             ;   in Loop: Header=BB288_1066 Depth=1
	v_ffbh_u32_e32 v11, v11
	v_min_u32_e32 v26, 32, v11
	v_subrev_nc_u32_e32 v11, 28, v26
	v_lshlrev_b64 v[11:12], v11, v[0:1]
	v_sub_nc_u32_e32 v12, 29, v26
	v_and_b32_e32 v11, 7, v11
; %bb.1986:                             ;   in Loop: Header=BB288_1066 Depth=1
	s_or_b32 exec_lo, exec_lo, s21
	v_lshlrev_b32_e32 v0, 8, v0
	v_lshl_add_u32 v12, v12, 10, 0x2000
	v_lshlrev_b32_e32 v11, 23, v11
	v_and_or_b32 v0, 0x8000, v0, v12
	v_lshl_or_b32 v11, v0, 16, v11
.LBB288_1987:                           ;   in Loop: Header=BB288_1066 Depth=1
	s_or_b32 exec_lo, exec_lo, s20
.LBB288_1988:                           ;   in Loop: Header=BB288_1066 Depth=1
	s_or_b32 exec_lo, exec_lo, s18
.LBB288_1989:                           ;   in Loop: Header=BB288_1066 Depth=1
	s_or_b32 exec_lo, exec_lo, s17
	v_or_b32_e32 v0, v43, v44
	s_waitcnt vmcnt(0) lgkmcnt(0)
	v_fma_mixlo_f16 v12, v51, v43, 0 op_sel:[0,1,0] op_sel_hi:[0,1,0]
	v_or_b32_e32 v26, v52, v103
	v_fma_mixlo_f16 v27, v51, v52, 0 op_sel:[0,1,0] op_sel_hi:[0,1,0]
	v_or_b32_e32 v52, v47, v46
	v_fma_mixlo_f16 v113, v51, v0, 0 op_sel_hi:[0,1,0]
	v_or_b32_e32 v43, v11, v45
	v_lshlrev_b32_e32 v0, 16, v12
	v_lshlrev_b32_e32 v103, 16, v27
	v_fma_mixlo_f16 v26, v51, v26, 0 op_sel_hi:[0,1,0]
	v_and_b32_e32 v12, 0xffff, v113
	v_fma_mixlo_f16 v27, v51, v47, 0 op_sel:[0,1,0] op_sel_hi:[0,1,0]
	v_fma_mixlo_f16 v52, v51, v52, 0 op_sel_hi:[0,1,0]
	v_fma_mixlo_f16 v11, v51, v11, 0 op_sel:[0,1,0] op_sel_hi:[0,1,0]
	v_fma_mixlo_f16 v113, v51, v43, 0 op_sel_hi:[0,1,0]
	v_and_b32_e32 v56, 0xffff, v26
	v_lshlrev_b32_e32 v51, 16, v27
	v_and_b32_e32 v44, 0xffff, v52
	v_lshlrev_b32_e32 v11, 16, v11
	v_and_b32_e32 v52, 0xffff, v113
	v_or_b32_e32 v43, v0, v12
	v_or_b32_e32 v47, v103, v56
	;; [unrolled: 1-line block ×4, first 2 shown]
	s_and_saveexec_b32 s17, vcc_lo
	s_cbranch_execz .LBB288_1991
; %bb.1990:                             ;   in Loop: Header=BB288_1066 Depth=1
	v_cmp_lt_i32_e64 s5, v18, v38
	v_cndmask_b32_e64 v26, 0, v56, s5
	v_cmp_lt_i32_e64 s5, v100, v38
	v_cndmask_b32_e64 v27, 0, v103, s5
	v_cmp_lt_i32_e64 s5, v99, v38
	v_or_b32_e32 v47, v26, v27
	v_cndmask_b32_e64 v12, 0, v12, s5
	v_cmp_lt_i32_e64 s5, v98, v38
	v_cndmask_b32_e64 v0, 0, v0, s5
	v_cmp_lt_i32_e64 s5, v97, v38
	v_or_b32_e32 v43, v12, v0
	;; [unrolled: 5-line block ×3, first 2 shown]
	v_cndmask_b32_e64 v52, 0, v52, s5
	v_cmp_lt_i32_e64 s5, v86, v38
	v_cndmask_b32_e64 v11, 0, v11, s5
	v_or_b32_e32 v45, v52, v11
.LBB288_1991:                           ;   in Loop: Header=BB288_1066 Depth=1
	s_or_b32 exec_lo, exec_lo, s17
	;;#ASMSTART
	v_pk_mul_f16 v0, v85, v47;

	;;#ASMEND
	;;#ASMSTART
	v_pk_mul_f16 v11, v84, v43;

	;;#ASMEND
	;; [unrolled: 4-line block ×4, first 2 shown]
	;;#ASMSTART
	v_pk_add_f16 v0, v0, v11;

	;;#ASMEND
	;;#ASMSTART
	v_pk_add_f16 v0, v0, v12;

	;;#ASMEND
	;; [unrolled: 4-line block ×3, first 2 shown]
	v_and_b32_e32 v11, 0xffff, v0
	v_lshrrev_b32_e32 v0, 16, v0
	;;#ASMSTART
	v_cvt_f32_f16 v51, v11;
	;;#ASMEND
	;;#ASMSTART
	v_cvt_f32_f16 v52, v0;
	;;#ASMEND
	flat_load_dwordx2 v[11:12], v[9:10] offset:1536
	s_clause 0x1
	buffer_load_dword v26, off, s[0:3], s32 offset:200
	buffer_load_dword v27, off, s[0:3], s32 offset:204
	v_mov_b32_e32 v43, 0
	v_mov_b32_e32 v44, 0
	s_waitcnt vmcnt(2) lgkmcnt(0)
	v_cmp_ne_u16_sdwa s5, v11, v1 src0_sel:BYTE_0 src1_sel:DWORD
	s_waitcnt vmcnt(0)
	flat_load_dword v103, v[26:27]
	s_and_saveexec_b32 s17, s5
	s_cbranch_execz .LBB288_1999
; %bb.1992:                             ;   in Loop: Header=BB288_1066 Depth=1
	v_cmp_ne_u16_sdwa s5, v11, v17 src0_sel:BYTE_0 src1_sel:DWORD
	v_mov_b32_e32 v44, 0x8000
	s_and_saveexec_b32 s18, s5
	s_cbranch_execz .LBB288_1998
; %bb.1993:                             ;   in Loop: Header=BB288_1066 Depth=1
	v_and_b32_e32 v45, 0x7f, v11
	v_mov_b32_e32 v44, 0x7c01
	s_mov_b32 s20, exec_lo
	v_cmpx_ne_u32_e32 0x7f, v45
	s_cbranch_execz .LBB288_1997
; %bb.1994:                             ;   in Loop: Header=BB288_1066 Depth=1
	v_and_b32_e32 v0, 7, v11
	v_lshrrev_b32_e32 v44, 3, v45
	s_mov_b32 s21, exec_lo
	v_cmpx_gt_u32_e32 8, v45
; %bb.1995:                             ;   in Loop: Header=BB288_1066 Depth=1
	v_ffbh_u32_e32 v0, v0
	v_min_u32_e32 v0, 32, v0
	v_subrev_nc_u32_e32 v26, 28, v0
	v_sub_nc_u32_e32 v44, 29, v0
	v_lshlrev_b64 v[45:46], v26, v[11:12]
	v_and_b32_e32 v0, 7, v45
; %bb.1996:                             ;   in Loop: Header=BB288_1066 Depth=1
	s_or_b32 exec_lo, exec_lo, s21
	v_lshlrev_b32_e32 v26, 8, v11
	v_lshl_add_u32 v27, v44, 10, 0x2000
	v_lshlrev_b32_e32 v0, 7, v0
	v_and_b32_e32 v26, 0x8000, v26
	v_and_b32_e32 v27, 0xfc00, v27
	v_or3_b32 v44, v26, v27, v0
.LBB288_1997:                           ;   in Loop: Header=BB288_1066 Depth=1
	s_or_b32 exec_lo, exec_lo, s20
.LBB288_1998:                           ;   in Loop: Header=BB288_1066 Depth=1
	s_or_b32 exec_lo, exec_lo, s18
.LBB288_1999:                           ;   in Loop: Header=BB288_1066 Depth=1
	s_or_b32 exec_lo, exec_lo, s17
	v_lshrrev_b16 v0, 8, v11
	s_mov_b32 s17, exec_lo
	v_cmpx_ne_u16_e32 0, v0
	s_cbranch_execz .LBB288_2007
; %bb.2000:                             ;   in Loop: Header=BB288_1066 Depth=1
	v_bfrev_b32_e32 v43, 1
	s_mov_b32 s18, exec_lo
	v_cmpx_ne_u16_e32 0x80, v0
	s_cbranch_execz .LBB288_2006
; %bb.2001:                             ;   in Loop: Header=BB288_1066 Depth=1
	v_and_b32_sdwa v46, v0, v54 dst_sel:DWORD dst_unused:UNUSED_PAD src0_sel:WORD_0 src1_sel:DWORD
	v_mov_b32_e32 v43, 0x7c010000
	s_mov_b32 s20, exec_lo
	v_cmpx_ne_u32_e32 0x7f, v46
	s_cbranch_execz .LBB288_2005
; %bb.2002:                             ;   in Loop: Header=BB288_1066 Depth=1
	v_and_b32_sdwa v43, v0, v64 dst_sel:DWORD dst_unused:UNUSED_PAD src0_sel:WORD_0 src1_sel:DWORD
	v_lshrrev_b32_e32 v45, 3, v46
	s_mov_b32 s21, exec_lo
	v_cmpx_gt_u32_e32 8, v46
; %bb.2003:                             ;   in Loop: Header=BB288_1066 Depth=1
	v_ffbh_u32_e32 v26, v43
	v_min_u32_e32 v26, 32, v26
	v_subrev_nc_u32_e32 v27, 28, v26
	v_sub_nc_u32_e32 v45, 29, v26
	v_lshlrev_b64 v[46:47], v27, v[0:1]
	v_and_b32_e32 v43, 7, v46
; %bb.2004:                             ;   in Loop: Header=BB288_1066 Depth=1
	s_or_b32 exec_lo, exec_lo, s21
	v_lshlrev_b32_sdwa v0, v80, v0 dst_sel:DWORD dst_unused:UNUSED_PAD src0_sel:DWORD src1_sel:WORD_0
	v_lshl_add_u32 v26, v45, 10, 0x2000
	v_and_or_b32 v0, 0x8000, v0, v26
	v_lshlrev_b32_e32 v26, 23, v43
	v_lshl_or_b32 v43, v0, 16, v26
.LBB288_2005:                           ;   in Loop: Header=BB288_1066 Depth=1
	s_or_b32 exec_lo, exec_lo, s20
.LBB288_2006:                           ;   in Loop: Header=BB288_1066 Depth=1
	s_or_b32 exec_lo, exec_lo, s18
.LBB288_2007:                           ;   in Loop: Header=BB288_1066 Depth=1
	s_or_b32 exec_lo, exec_lo, s17
	v_lshrrev_b32_e32 v0, 16, v11
	v_mov_b32_e32 v45, 0
	v_mov_b32_e32 v46, 0
	v_cmp_ne_u16_sdwa s5, v0, v1 src0_sel:BYTE_0 src1_sel:DWORD
	s_and_saveexec_b32 s17, s5
	s_cbranch_execz .LBB288_2015
; %bb.2008:                             ;   in Loop: Header=BB288_1066 Depth=1
	v_cmp_ne_u16_sdwa s5, v0, v17 src0_sel:BYTE_0 src1_sel:DWORD
	v_mov_b32_e32 v46, 0x8000
	s_and_saveexec_b32 s18, s5
	s_cbranch_execz .LBB288_2014
; %bb.2009:                             ;   in Loop: Header=BB288_1066 Depth=1
	v_bfe_u32 v56, v11, 16, 7
	v_mov_b32_e32 v46, 0x7c01
	s_mov_b32 s20, exec_lo
	v_cmpx_ne_u32_e32 0x7f, v56
	s_cbranch_execz .LBB288_2013
; %bb.2010:                             ;   in Loop: Header=BB288_1066 Depth=1
	v_and_b32_e32 v46, 7, v0
	v_lshrrev_b32_e32 v47, 3, v56
	s_mov_b32 s21, exec_lo
	v_cmpx_gt_u32_e32 8, v56
; %bb.2011:                             ;   in Loop: Header=BB288_1066 Depth=1
	v_ffbh_u32_e32 v26, v46
	v_min_u32_e32 v26, 32, v26
	v_subrev_nc_u32_e32 v27, 28, v26
	v_lshlrev_b64 v[46:47], v27, v[0:1]
	v_sub_nc_u32_e32 v47, 29, v26
	v_and_b32_e32 v46, 7, v46
; %bb.2012:                             ;   in Loop: Header=BB288_1066 Depth=1
	s_or_b32 exec_lo, exec_lo, s21
	v_lshlrev_b32_e32 v0, 8, v0
	v_lshl_add_u32 v26, v47, 10, 0x2000
	v_lshlrev_b32_e32 v27, 7, v46
	v_and_b32_e32 v0, 0x8000, v0
	v_and_b32_e32 v26, 0xfc00, v26
	v_or3_b32 v46, v0, v26, v27
.LBB288_2013:                           ;   in Loop: Header=BB288_1066 Depth=1
	s_or_b32 exec_lo, exec_lo, s20
.LBB288_2014:                           ;   in Loop: Header=BB288_1066 Depth=1
	s_or_b32 exec_lo, exec_lo, s18
.LBB288_2015:                           ;   in Loop: Header=BB288_1066 Depth=1
	s_or_b32 exec_lo, exec_lo, s17
	s_mov_b32 s17, exec_lo
	v_cmpx_lt_u32_e32 0xffffff, v11
	s_cbranch_execz .LBB288_2023
; %bb.2016:                             ;   in Loop: Header=BB288_1066 Depth=1
	v_lshrrev_b32_e32 v0, 24, v11
	v_bfrev_b32_e32 v45, 1
	s_mov_b32 s18, exec_lo
	v_cmpx_ne_u32_e32 0x80, v0
	s_cbranch_execz .LBB288_2022
; %bb.2017:                             ;   in Loop: Header=BB288_1066 Depth=1
	v_and_b32_e32 v56, 0x7f, v0
	v_mov_b32_e32 v45, 0x7c010000
	s_mov_b32 s20, exec_lo
	v_cmpx_ne_u32_e32 0x7f, v56
	s_cbranch_execz .LBB288_2021
; %bb.2018:                             ;   in Loop: Header=BB288_1066 Depth=1
	v_and_b32_e32 v45, 7, v0
	v_lshrrev_b32_e32 v47, 3, v56
	s_mov_b32 s21, exec_lo
	v_cmpx_gt_u32_e32 8, v56
; %bb.2019:                             ;   in Loop: Header=BB288_1066 Depth=1
	v_ffbh_u32_e32 v26, v45
	v_min_u32_e32 v26, 32, v26
	v_subrev_nc_u32_e32 v27, 28, v26
	v_sub_nc_u32_e32 v47, 29, v26
	v_lshlrev_b64 v[56:57], v27, v[0:1]
	v_and_b32_e32 v45, 7, v56
; %bb.2020:                             ;   in Loop: Header=BB288_1066 Depth=1
	s_or_b32 exec_lo, exec_lo, s21
	v_lshlrev_b32_e32 v0, 8, v0
	v_lshl_add_u32 v26, v47, 10, 0x2000
	v_and_or_b32 v0, 0x8000, v0, v26
	v_lshlrev_b32_e32 v26, 23, v45
	v_lshl_or_b32 v45, v0, 16, v26
.LBB288_2021:                           ;   in Loop: Header=BB288_1066 Depth=1
	s_or_b32 exec_lo, exec_lo, s20
.LBB288_2022:                           ;   in Loop: Header=BB288_1066 Depth=1
	s_or_b32 exec_lo, exec_lo, s18
.LBB288_2023:                           ;   in Loop: Header=BB288_1066 Depth=1
	s_or_b32 exec_lo, exec_lo, s17
	v_mov_b32_e32 v0, v12
	v_cmp_ne_u16_sdwa s5, v12, v1 src0_sel:BYTE_0 src1_sel:DWORD
	v_mov_b32_e32 v47, 0
	v_mov_b32_e32 v56, 0
	s_and_saveexec_b32 s17, s5
	s_cbranch_execz .LBB288_2031
; %bb.2024:                             ;   in Loop: Header=BB288_1066 Depth=1
	v_cmp_ne_u16_sdwa s5, v12, v17 src0_sel:BYTE_0 src1_sel:DWORD
	v_mov_b32_e32 v56, 0x8000
	s_and_saveexec_b32 s18, s5
	s_cbranch_execz .LBB288_2030
; %bb.2025:                             ;   in Loop: Header=BB288_1066 Depth=1
	v_and_b32_e32 v58, 0x7f, v12
	v_mov_b32_e32 v56, 0x7c01
	s_mov_b32 s20, exec_lo
	v_cmpx_ne_u32_e32 0x7f, v58
	s_cbranch_execz .LBB288_2029
; %bb.2026:                             ;   in Loop: Header=BB288_1066 Depth=1
	v_and_b32_e32 v56, 7, v12
	v_lshrrev_b32_e32 v57, 3, v58
	s_mov_b32 s21, exec_lo
	v_cmpx_gt_u32_e32 8, v58
; %bb.2027:                             ;   in Loop: Header=BB288_1066 Depth=1
	v_ffbh_u32_e32 v26, v56
	v_min_u32_e32 v26, 32, v26
	v_subrev_nc_u32_e32 v27, 28, v26
	v_lshlrev_b64 v[56:57], v27, v[0:1]
	v_sub_nc_u32_e32 v57, 29, v26
	v_and_b32_e32 v56, 7, v56
; %bb.2028:                             ;   in Loop: Header=BB288_1066 Depth=1
	s_or_b32 exec_lo, exec_lo, s21
	v_lshlrev_b32_e32 v26, 8, v12
	v_lshl_add_u32 v27, v57, 10, 0x2000
	v_lshlrev_b32_e32 v113, 7, v56
	v_and_b32_e32 v26, 0x8000, v26
	v_and_b32_e32 v27, 0xfc00, v27
	v_or3_b32 v56, v26, v27, v113
.LBB288_2029:                           ;   in Loop: Header=BB288_1066 Depth=1
	s_or_b32 exec_lo, exec_lo, s20
.LBB288_2030:                           ;   in Loop: Header=BB288_1066 Depth=1
	s_or_b32 exec_lo, exec_lo, s18
.LBB288_2031:                           ;   in Loop: Header=BB288_1066 Depth=1
	s_or_b32 exec_lo, exec_lo, s17
	v_lshrrev_b16 v0, 8, v0
	v_mov_b32_e32 v57, 0
	s_mov_b32 s17, exec_lo
	v_cmpx_ne_u16_e32 0, v0
	s_cbranch_execz .LBB288_2039
; %bb.2032:                             ;   in Loop: Header=BB288_1066 Depth=1
	v_bfrev_b32_e32 v57, 1
	s_mov_b32 s18, exec_lo
	v_cmpx_ne_u16_e32 0x80, v0
	s_cbranch_execz .LBB288_2038
; %bb.2033:                             ;   in Loop: Header=BB288_1066 Depth=1
	v_and_b32_sdwa v59, v0, v54 dst_sel:DWORD dst_unused:UNUSED_PAD src0_sel:WORD_0 src1_sel:DWORD
	v_mov_b32_e32 v57, 0x7c010000
	s_mov_b32 s20, exec_lo
	v_cmpx_ne_u32_e32 0x7f, v59
	s_cbranch_execz .LBB288_2037
; %bb.2034:                             ;   in Loop: Header=BB288_1066 Depth=1
	v_and_b32_sdwa v57, v0, v64 dst_sel:DWORD dst_unused:UNUSED_PAD src0_sel:WORD_0 src1_sel:DWORD
	v_lshrrev_b32_e32 v58, 3, v59
	s_mov_b32 s21, exec_lo
	v_cmpx_gt_u32_e32 8, v59
; %bb.2035:                             ;   in Loop: Header=BB288_1066 Depth=1
	v_ffbh_u32_e32 v26, v57
	v_min_u32_e32 v26, 32, v26
	v_subrev_nc_u32_e32 v27, 28, v26
	v_lshlrev_b64 v[57:58], v27, v[0:1]
	v_sub_nc_u32_e32 v58, 29, v26
	v_and_b32_e32 v57, 7, v57
; %bb.2036:                             ;   in Loop: Header=BB288_1066 Depth=1
	s_or_b32 exec_lo, exec_lo, s21
	v_lshlrev_b32_sdwa v0, v80, v0 dst_sel:DWORD dst_unused:UNUSED_PAD src0_sel:DWORD src1_sel:WORD_0
	v_lshl_add_u32 v26, v58, 10, 0x2000
	v_and_or_b32 v0, 0x8000, v0, v26
	v_lshlrev_b32_e32 v26, 23, v57
	v_lshl_or_b32 v57, v0, 16, v26
.LBB288_2037:                           ;   in Loop: Header=BB288_1066 Depth=1
	s_or_b32 exec_lo, exec_lo, s20
.LBB288_2038:                           ;   in Loop: Header=BB288_1066 Depth=1
	s_or_b32 exec_lo, exec_lo, s18
.LBB288_2039:                           ;   in Loop: Header=BB288_1066 Depth=1
	s_or_b32 exec_lo, exec_lo, s17
	v_lshrrev_b32_e32 v0, 16, v12
	v_cmp_ne_u16_sdwa s5, v0, v1 src0_sel:BYTE_0 src1_sel:DWORD
	s_and_saveexec_b32 s17, s5
	s_cbranch_execz .LBB288_2047
; %bb.2040:                             ;   in Loop: Header=BB288_1066 Depth=1
	v_cmp_ne_u16_sdwa s5, v0, v17 src0_sel:BYTE_0 src1_sel:DWORD
	v_mov_b32_e32 v47, 0x8000
	s_and_saveexec_b32 s18, s5
	s_cbranch_execz .LBB288_2046
; %bb.2041:                             ;   in Loop: Header=BB288_1066 Depth=1
	v_bfe_u32 v59, v12, 16, 7
	v_mov_b32_e32 v47, 0x7c01
	s_mov_b32 s20, exec_lo
	v_cmpx_ne_u32_e32 0x7f, v59
	s_cbranch_execz .LBB288_2045
; %bb.2042:                             ;   in Loop: Header=BB288_1066 Depth=1
	v_and_b32_e32 v47, 7, v0
	v_lshrrev_b32_e32 v58, 3, v59
	s_mov_b32 s21, exec_lo
	v_cmpx_gt_u32_e32 8, v59
; %bb.2043:                             ;   in Loop: Header=BB288_1066 Depth=1
	v_ffbh_u32_e32 v26, v47
	v_min_u32_e32 v26, 32, v26
	v_subrev_nc_u32_e32 v27, 28, v26
	v_sub_nc_u32_e32 v58, 29, v26
	v_lshlrev_b64 v[59:60], v27, v[0:1]
	v_and_b32_e32 v47, 7, v59
; %bb.2044:                             ;   in Loop: Header=BB288_1066 Depth=1
	s_or_b32 exec_lo, exec_lo, s21
	v_lshlrev_b32_e32 v0, 8, v0
	v_lshl_add_u32 v26, v58, 10, 0x2000
	v_lshlrev_b32_e32 v27, 7, v47
	v_and_b32_e32 v0, 0x8000, v0
	v_and_b32_e32 v26, 0xfc00, v26
	v_or3_b32 v47, v0, v26, v27
.LBB288_2045:                           ;   in Loop: Header=BB288_1066 Depth=1
	s_or_b32 exec_lo, exec_lo, s20
.LBB288_2046:                           ;   in Loop: Header=BB288_1066 Depth=1
	s_or_b32 exec_lo, exec_lo, s18
.LBB288_2047:                           ;   in Loop: Header=BB288_1066 Depth=1
	s_or_b32 exec_lo, exec_lo, s17
	v_cmp_lt_u64_e64 s5, s[12:13], v[11:12]
	v_mov_b32_e32 v11, 0
	s_and_saveexec_b32 s17, s5
	s_cbranch_execz .LBB288_2055
; %bb.2048:                             ;   in Loop: Header=BB288_1066 Depth=1
	v_lshrrev_b32_e32 v0, 24, v12
	v_bfrev_b32_e32 v11, 1
	s_mov_b32 s18, exec_lo
	v_cmpx_ne_u32_e32 0x80, v0
	s_cbranch_execz .LBB288_2054
; %bb.2049:                             ;   in Loop: Header=BB288_1066 Depth=1
	v_and_b32_e32 v58, 0x7f, v0
	v_mov_b32_e32 v11, 0x7c010000
	s_mov_b32 s20, exec_lo
	v_cmpx_ne_u32_e32 0x7f, v58
	s_cbranch_execz .LBB288_2053
; %bb.2050:                             ;   in Loop: Header=BB288_1066 Depth=1
	v_and_b32_e32 v11, 7, v0
	v_lshrrev_b32_e32 v12, 3, v58
	s_mov_b32 s21, exec_lo
	v_cmpx_gt_u32_e32 8, v58
; %bb.2051:                             ;   in Loop: Header=BB288_1066 Depth=1
	v_ffbh_u32_e32 v11, v11
	v_min_u32_e32 v26, 32, v11
	v_subrev_nc_u32_e32 v11, 28, v26
	v_lshlrev_b64 v[11:12], v11, v[0:1]
	v_sub_nc_u32_e32 v12, 29, v26
	v_and_b32_e32 v11, 7, v11
; %bb.2052:                             ;   in Loop: Header=BB288_1066 Depth=1
	s_or_b32 exec_lo, exec_lo, s21
	v_lshlrev_b32_e32 v0, 8, v0
	v_lshl_add_u32 v12, v12, 10, 0x2000
	v_lshlrev_b32_e32 v11, 23, v11
	v_and_or_b32 v0, 0x8000, v0, v12
	v_lshl_or_b32 v11, v0, 16, v11
.LBB288_2053:                           ;   in Loop: Header=BB288_1066 Depth=1
	s_or_b32 exec_lo, exec_lo, s20
.LBB288_2054:                           ;   in Loop: Header=BB288_1066 Depth=1
	s_or_b32 exec_lo, exec_lo, s18
.LBB288_2055:                           ;   in Loop: Header=BB288_1066 Depth=1
	s_or_b32 exec_lo, exec_lo, s17
	v_or_b32_e32 v0, v45, v46
	s_waitcnt vmcnt(0) lgkmcnt(0)
	v_fma_mixlo_f16 v12, v103, v45, 0 op_sel:[0,1,0] op_sel_hi:[0,1,0]
	v_or_b32_e32 v26, v43, v44
	v_fma_mixlo_f16 v27, v103, v43, 0 op_sel:[0,1,0] op_sel_hi:[0,1,0]
	v_or_b32_e32 v113, v57, v56
	v_fma_mixlo_f16 v43, v103, v0, 0 op_sel_hi:[0,1,0]
	v_or_b32_e32 v45, v11, v47
	v_lshlrev_b32_e32 v0, 16, v12
	v_lshlrev_b32_e32 v44, 16, v27
	v_fma_mixlo_f16 v26, v103, v26, 0 op_sel_hi:[0,1,0]
	v_and_b32_e32 v12, 0xffff, v43
	v_fma_mixlo_f16 v27, v103, v57, 0 op_sel:[0,1,0] op_sel_hi:[0,1,0]
	v_fma_mixlo_f16 v113, v103, v113, 0 op_sel_hi:[0,1,0]
	v_fma_mixlo_f16 v11, v103, v11, 0 op_sel:[0,1,0] op_sel_hi:[0,1,0]
	v_fma_mixlo_f16 v43, v103, v45, 0 op_sel_hi:[0,1,0]
	v_and_b32_e32 v58, 0xffff, v26
	v_lshlrev_b32_e32 v103, 16, v27
	v_and_b32_e32 v46, 0xffff, v113
	v_lshlrev_b32_e32 v11, 16, v11
	v_and_b32_e32 v43, 0xffff, v43
	v_or_b32_e32 v45, v0, v12
	v_or_b32_e32 v57, v44, v58
	;; [unrolled: 1-line block ×4, first 2 shown]
	s_and_saveexec_b32 s17, vcc_lo
	s_cbranch_execz .LBB288_2057
; %bb.2056:                             ;   in Loop: Header=BB288_1066 Depth=1
	v_cmp_lt_i32_e64 s5, v18, v38
	v_cndmask_b32_e64 v26, 0, v58, s5
	v_cmp_lt_i32_e64 s5, v100, v38
	v_cndmask_b32_e64 v27, 0, v44, s5
	v_cmp_lt_i32_e64 s5, v99, v38
	v_or_b32_e32 v57, v26, v27
	v_cndmask_b32_e64 v12, 0, v12, s5
	v_cmp_lt_i32_e64 s5, v98, v38
	v_cndmask_b32_e64 v0, 0, v0, s5
	v_cmp_lt_i32_e64 s5, v97, v38
	v_or_b32_e32 v45, v12, v0
	;; [unrolled: 5-line block ×3, first 2 shown]
	v_cndmask_b32_e64 v43, 0, v43, s5
	v_cmp_lt_i32_e64 s5, v86, v38
	v_cndmask_b32_e64 v11, 0, v11, s5
	v_or_b32_e32 v47, v43, v11
.LBB288_2057:                           ;   in Loop: Header=BB288_1066 Depth=1
	s_or_b32 exec_lo, exec_lo, s17
	;;#ASMSTART
	v_pk_mul_f16 v0, v85, v57;

	;;#ASMEND
	;;#ASMSTART
	v_pk_mul_f16 v11, v84, v45;

	;;#ASMEND
	;; [unrolled: 4-line block ×4, first 2 shown]
	;;#ASMSTART
	v_pk_add_f16 v0, v0, v11;

	;;#ASMEND
	;;#ASMSTART
	v_pk_add_f16 v0, v0, v12;

	;;#ASMEND
	;; [unrolled: 4-line block ×3, first 2 shown]
	v_and_b32_e32 v11, 0xffff, v0
	v_lshrrev_b32_e32 v0, 16, v0
	;;#ASMSTART
	v_cvt_f32_f16 v11, v11;
	;;#ASMEND
	;;#ASMSTART
	v_cvt_f32_f16 v12, v0;
	;;#ASMEND
	flat_load_dwordx2 v[9:10], v[9:10] offset:1792
	s_clause 0x1
	buffer_load_dword v26, off, s[0:3], s32 offset:200
	buffer_load_dword v27, off, s[0:3], s32 offset:204
	v_mov_b32_e32 v43, 0
	v_mov_b32_e32 v44, 0
	s_waitcnt vmcnt(2) lgkmcnt(0)
	v_cmp_ne_u16_sdwa s5, v9, v1 src0_sel:BYTE_0 src1_sel:DWORD
	s_waitcnt vmcnt(0)
	flat_load_dword v103, v[26:27]
	s_and_saveexec_b32 s17, s5
	s_cbranch_execz .LBB288_2065
; %bb.2058:                             ;   in Loop: Header=BB288_1066 Depth=1
	v_cmp_ne_u16_sdwa s5, v9, v17 src0_sel:BYTE_0 src1_sel:DWORD
	v_mov_b32_e32 v44, 0x8000
	s_and_saveexec_b32 s18, s5
	s_cbranch_execz .LBB288_2064
; %bb.2059:                             ;   in Loop: Header=BB288_1066 Depth=1
	v_and_b32_e32 v45, 0x7f, v9
	v_mov_b32_e32 v44, 0x7c01
	s_mov_b32 s20, exec_lo
	v_cmpx_ne_u32_e32 0x7f, v45
	s_cbranch_execz .LBB288_2063
; %bb.2060:                             ;   in Loop: Header=BB288_1066 Depth=1
	v_and_b32_e32 v0, 7, v9
	v_lshrrev_b32_e32 v44, 3, v45
	s_mov_b32 s21, exec_lo
	v_cmpx_gt_u32_e32 8, v45
; %bb.2061:                             ;   in Loop: Header=BB288_1066 Depth=1
	v_ffbh_u32_e32 v0, v0
	v_min_u32_e32 v0, 32, v0
	v_subrev_nc_u32_e32 v26, 28, v0
	v_sub_nc_u32_e32 v44, 29, v0
	v_lshlrev_b64 v[45:46], v26, v[9:10]
	v_and_b32_e32 v0, 7, v45
; %bb.2062:                             ;   in Loop: Header=BB288_1066 Depth=1
	s_or_b32 exec_lo, exec_lo, s21
	v_lshlrev_b32_e32 v26, 8, v9
	v_lshl_add_u32 v27, v44, 10, 0x2000
	v_lshlrev_b32_e32 v0, 7, v0
	v_and_b32_e32 v26, 0x8000, v26
	v_and_b32_e32 v27, 0xfc00, v27
	v_or3_b32 v44, v26, v27, v0
.LBB288_2063:                           ;   in Loop: Header=BB288_1066 Depth=1
	s_or_b32 exec_lo, exec_lo, s20
.LBB288_2064:                           ;   in Loop: Header=BB288_1066 Depth=1
	s_or_b32 exec_lo, exec_lo, s18
.LBB288_2065:                           ;   in Loop: Header=BB288_1066 Depth=1
	s_or_b32 exec_lo, exec_lo, s17
	v_lshrrev_b16 v0, 8, v9
	s_mov_b32 s17, exec_lo
	v_cmpx_ne_u16_e32 0, v0
	s_cbranch_execz .LBB288_2073
; %bb.2066:                             ;   in Loop: Header=BB288_1066 Depth=1
	v_bfrev_b32_e32 v43, 1
	s_mov_b32 s18, exec_lo
	v_cmpx_ne_u16_e32 0x80, v0
	s_cbranch_execz .LBB288_2072
; %bb.2067:                             ;   in Loop: Header=BB288_1066 Depth=1
	v_and_b32_sdwa v46, v0, v54 dst_sel:DWORD dst_unused:UNUSED_PAD src0_sel:WORD_0 src1_sel:DWORD
	v_mov_b32_e32 v43, 0x7c010000
	s_mov_b32 s20, exec_lo
	v_cmpx_ne_u32_e32 0x7f, v46
	s_cbranch_execz .LBB288_2071
; %bb.2068:                             ;   in Loop: Header=BB288_1066 Depth=1
	v_and_b32_sdwa v43, v0, v64 dst_sel:DWORD dst_unused:UNUSED_PAD src0_sel:WORD_0 src1_sel:DWORD
	v_lshrrev_b32_e32 v45, 3, v46
	s_mov_b32 s21, exec_lo
	v_cmpx_gt_u32_e32 8, v46
; %bb.2069:                             ;   in Loop: Header=BB288_1066 Depth=1
	v_ffbh_u32_e32 v26, v43
	v_min_u32_e32 v26, 32, v26
	v_subrev_nc_u32_e32 v27, 28, v26
	v_sub_nc_u32_e32 v45, 29, v26
	v_lshlrev_b64 v[46:47], v27, v[0:1]
	v_and_b32_e32 v43, 7, v46
; %bb.2070:                             ;   in Loop: Header=BB288_1066 Depth=1
	s_or_b32 exec_lo, exec_lo, s21
	v_lshlrev_b32_sdwa v0, v80, v0 dst_sel:DWORD dst_unused:UNUSED_PAD src0_sel:DWORD src1_sel:WORD_0
	v_lshl_add_u32 v26, v45, 10, 0x2000
	v_and_or_b32 v0, 0x8000, v0, v26
	v_lshlrev_b32_e32 v26, 23, v43
	v_lshl_or_b32 v43, v0, 16, v26
.LBB288_2071:                           ;   in Loop: Header=BB288_1066 Depth=1
	s_or_b32 exec_lo, exec_lo, s20
.LBB288_2072:                           ;   in Loop: Header=BB288_1066 Depth=1
	s_or_b32 exec_lo, exec_lo, s18
.LBB288_2073:                           ;   in Loop: Header=BB288_1066 Depth=1
	s_or_b32 exec_lo, exec_lo, s17
	v_lshrrev_b32_e32 v0, 16, v9
	v_mov_b32_e32 v45, 0
	v_mov_b32_e32 v46, 0
	v_cmp_ne_u16_sdwa s5, v0, v1 src0_sel:BYTE_0 src1_sel:DWORD
	s_and_saveexec_b32 s17, s5
	s_cbranch_execz .LBB288_2081
; %bb.2074:                             ;   in Loop: Header=BB288_1066 Depth=1
	v_cmp_ne_u16_sdwa s5, v0, v17 src0_sel:BYTE_0 src1_sel:DWORD
	v_mov_b32_e32 v46, 0x8000
	s_and_saveexec_b32 s18, s5
	s_cbranch_execz .LBB288_2080
; %bb.2075:                             ;   in Loop: Header=BB288_1066 Depth=1
	v_bfe_u32 v56, v9, 16, 7
	v_mov_b32_e32 v46, 0x7c01
	s_mov_b32 s20, exec_lo
	v_cmpx_ne_u32_e32 0x7f, v56
	s_cbranch_execz .LBB288_2079
; %bb.2076:                             ;   in Loop: Header=BB288_1066 Depth=1
	v_and_b32_e32 v46, 7, v0
	v_lshrrev_b32_e32 v47, 3, v56
	s_mov_b32 s21, exec_lo
	v_cmpx_gt_u32_e32 8, v56
; %bb.2077:                             ;   in Loop: Header=BB288_1066 Depth=1
	v_ffbh_u32_e32 v26, v46
	v_min_u32_e32 v26, 32, v26
	v_subrev_nc_u32_e32 v27, 28, v26
	v_lshlrev_b64 v[46:47], v27, v[0:1]
	v_sub_nc_u32_e32 v47, 29, v26
	v_and_b32_e32 v46, 7, v46
; %bb.2078:                             ;   in Loop: Header=BB288_1066 Depth=1
	s_or_b32 exec_lo, exec_lo, s21
	v_lshlrev_b32_e32 v0, 8, v0
	v_lshl_add_u32 v26, v47, 10, 0x2000
	v_lshlrev_b32_e32 v27, 7, v46
	v_and_b32_e32 v0, 0x8000, v0
	v_and_b32_e32 v26, 0xfc00, v26
	v_or3_b32 v46, v0, v26, v27
.LBB288_2079:                           ;   in Loop: Header=BB288_1066 Depth=1
	s_or_b32 exec_lo, exec_lo, s20
.LBB288_2080:                           ;   in Loop: Header=BB288_1066 Depth=1
	s_or_b32 exec_lo, exec_lo, s18
.LBB288_2081:                           ;   in Loop: Header=BB288_1066 Depth=1
	s_or_b32 exec_lo, exec_lo, s17
	s_mov_b32 s17, exec_lo
	v_cmpx_lt_u32_e32 0xffffff, v9
	s_cbranch_execz .LBB288_2089
; %bb.2082:                             ;   in Loop: Header=BB288_1066 Depth=1
	v_lshrrev_b32_e32 v0, 24, v9
	v_bfrev_b32_e32 v45, 1
	s_mov_b32 s18, exec_lo
	v_cmpx_ne_u32_e32 0x80, v0
	s_cbranch_execz .LBB288_2088
; %bb.2083:                             ;   in Loop: Header=BB288_1066 Depth=1
	v_and_b32_e32 v56, 0x7f, v0
	v_mov_b32_e32 v45, 0x7c010000
	s_mov_b32 s20, exec_lo
	v_cmpx_ne_u32_e32 0x7f, v56
	s_cbranch_execz .LBB288_2087
; %bb.2084:                             ;   in Loop: Header=BB288_1066 Depth=1
	v_and_b32_e32 v45, 7, v0
	v_lshrrev_b32_e32 v47, 3, v56
	s_mov_b32 s21, exec_lo
	v_cmpx_gt_u32_e32 8, v56
; %bb.2085:                             ;   in Loop: Header=BB288_1066 Depth=1
	v_ffbh_u32_e32 v26, v45
	v_min_u32_e32 v26, 32, v26
	v_subrev_nc_u32_e32 v27, 28, v26
	v_sub_nc_u32_e32 v47, 29, v26
	v_lshlrev_b64 v[56:57], v27, v[0:1]
	v_and_b32_e32 v45, 7, v56
; %bb.2086:                             ;   in Loop: Header=BB288_1066 Depth=1
	s_or_b32 exec_lo, exec_lo, s21
	v_lshlrev_b32_e32 v0, 8, v0
	v_lshl_add_u32 v26, v47, 10, 0x2000
	v_and_or_b32 v0, 0x8000, v0, v26
	v_lshlrev_b32_e32 v26, 23, v45
	v_lshl_or_b32 v45, v0, 16, v26
.LBB288_2087:                           ;   in Loop: Header=BB288_1066 Depth=1
	s_or_b32 exec_lo, exec_lo, s20
.LBB288_2088:                           ;   in Loop: Header=BB288_1066 Depth=1
	s_or_b32 exec_lo, exec_lo, s18
.LBB288_2089:                           ;   in Loop: Header=BB288_1066 Depth=1
	s_or_b32 exec_lo, exec_lo, s17
	v_mov_b32_e32 v0, v10
	v_cmp_ne_u16_sdwa s5, v10, v1 src0_sel:BYTE_0 src1_sel:DWORD
	v_mov_b32_e32 v47, 0
	v_mov_b32_e32 v56, 0
	s_and_saveexec_b32 s17, s5
	s_cbranch_execz .LBB288_2097
; %bb.2090:                             ;   in Loop: Header=BB288_1066 Depth=1
	v_cmp_ne_u16_sdwa s5, v10, v17 src0_sel:BYTE_0 src1_sel:DWORD
	v_mov_b32_e32 v56, 0x8000
	s_and_saveexec_b32 s18, s5
	s_cbranch_execz .LBB288_2096
; %bb.2091:                             ;   in Loop: Header=BB288_1066 Depth=1
	v_and_b32_e32 v58, 0x7f, v10
	v_mov_b32_e32 v56, 0x7c01
	s_mov_b32 s20, exec_lo
	v_cmpx_ne_u32_e32 0x7f, v58
	s_cbranch_execz .LBB288_2095
; %bb.2092:                             ;   in Loop: Header=BB288_1066 Depth=1
	v_and_b32_e32 v56, 7, v10
	v_lshrrev_b32_e32 v57, 3, v58
	s_mov_b32 s21, exec_lo
	v_cmpx_gt_u32_e32 8, v58
; %bb.2093:                             ;   in Loop: Header=BB288_1066 Depth=1
	v_ffbh_u32_e32 v26, v56
	v_min_u32_e32 v26, 32, v26
	v_subrev_nc_u32_e32 v27, 28, v26
	v_lshlrev_b64 v[56:57], v27, v[0:1]
	v_sub_nc_u32_e32 v57, 29, v26
	v_and_b32_e32 v56, 7, v56
; %bb.2094:                             ;   in Loop: Header=BB288_1066 Depth=1
	s_or_b32 exec_lo, exec_lo, s21
	v_lshlrev_b32_e32 v26, 8, v10
	v_lshl_add_u32 v27, v57, 10, 0x2000
	v_lshlrev_b32_e32 v113, 7, v56
	v_and_b32_e32 v26, 0x8000, v26
	v_and_b32_e32 v27, 0xfc00, v27
	v_or3_b32 v56, v26, v27, v113
.LBB288_2095:                           ;   in Loop: Header=BB288_1066 Depth=1
	s_or_b32 exec_lo, exec_lo, s20
.LBB288_2096:                           ;   in Loop: Header=BB288_1066 Depth=1
	s_or_b32 exec_lo, exec_lo, s18
.LBB288_2097:                           ;   in Loop: Header=BB288_1066 Depth=1
	s_or_b32 exec_lo, exec_lo, s17
	v_lshrrev_b16 v0, 8, v0
	v_mov_b32_e32 v57, 0
	s_mov_b32 s17, exec_lo
	v_cmpx_ne_u16_e32 0, v0
	s_cbranch_execz .LBB288_2105
; %bb.2098:                             ;   in Loop: Header=BB288_1066 Depth=1
	v_bfrev_b32_e32 v57, 1
	s_mov_b32 s18, exec_lo
	v_cmpx_ne_u16_e32 0x80, v0
	s_cbranch_execz .LBB288_2104
; %bb.2099:                             ;   in Loop: Header=BB288_1066 Depth=1
	v_and_b32_sdwa v59, v0, v54 dst_sel:DWORD dst_unused:UNUSED_PAD src0_sel:WORD_0 src1_sel:DWORD
	v_mov_b32_e32 v57, 0x7c010000
	s_mov_b32 s20, exec_lo
	v_cmpx_ne_u32_e32 0x7f, v59
	s_cbranch_execz .LBB288_2103
; %bb.2100:                             ;   in Loop: Header=BB288_1066 Depth=1
	v_and_b32_sdwa v57, v0, v64 dst_sel:DWORD dst_unused:UNUSED_PAD src0_sel:WORD_0 src1_sel:DWORD
	v_lshrrev_b32_e32 v58, 3, v59
	s_mov_b32 s21, exec_lo
	v_cmpx_gt_u32_e32 8, v59
; %bb.2101:                             ;   in Loop: Header=BB288_1066 Depth=1
	v_ffbh_u32_e32 v26, v57
	v_min_u32_e32 v26, 32, v26
	v_subrev_nc_u32_e32 v27, 28, v26
	v_lshlrev_b64 v[57:58], v27, v[0:1]
	v_sub_nc_u32_e32 v58, 29, v26
	v_and_b32_e32 v57, 7, v57
; %bb.2102:                             ;   in Loop: Header=BB288_1066 Depth=1
	s_or_b32 exec_lo, exec_lo, s21
	v_lshlrev_b32_sdwa v0, v80, v0 dst_sel:DWORD dst_unused:UNUSED_PAD src0_sel:DWORD src1_sel:WORD_0
	v_lshl_add_u32 v26, v58, 10, 0x2000
	v_and_or_b32 v0, 0x8000, v0, v26
	v_lshlrev_b32_e32 v26, 23, v57
	v_lshl_or_b32 v57, v0, 16, v26
.LBB288_2103:                           ;   in Loop: Header=BB288_1066 Depth=1
	s_or_b32 exec_lo, exec_lo, s20
.LBB288_2104:                           ;   in Loop: Header=BB288_1066 Depth=1
	s_or_b32 exec_lo, exec_lo, s18
.LBB288_2105:                           ;   in Loop: Header=BB288_1066 Depth=1
	s_or_b32 exec_lo, exec_lo, s17
	v_lshrrev_b32_e32 v0, 16, v10
	v_cmp_ne_u16_sdwa s5, v0, v1 src0_sel:BYTE_0 src1_sel:DWORD
	s_and_saveexec_b32 s17, s5
	s_cbranch_execz .LBB288_2113
; %bb.2106:                             ;   in Loop: Header=BB288_1066 Depth=1
	v_cmp_ne_u16_sdwa s5, v0, v17 src0_sel:BYTE_0 src1_sel:DWORD
	v_mov_b32_e32 v47, 0x8000
	s_and_saveexec_b32 s18, s5
	s_cbranch_execz .LBB288_2112
; %bb.2107:                             ;   in Loop: Header=BB288_1066 Depth=1
	v_bfe_u32 v59, v10, 16, 7
	v_mov_b32_e32 v47, 0x7c01
	s_mov_b32 s20, exec_lo
	v_cmpx_ne_u32_e32 0x7f, v59
	s_cbranch_execz .LBB288_2111
; %bb.2108:                             ;   in Loop: Header=BB288_1066 Depth=1
	v_and_b32_e32 v47, 7, v0
	v_lshrrev_b32_e32 v58, 3, v59
	s_mov_b32 s21, exec_lo
	v_cmpx_gt_u32_e32 8, v59
; %bb.2109:                             ;   in Loop: Header=BB288_1066 Depth=1
	v_ffbh_u32_e32 v26, v47
	v_min_u32_e32 v26, 32, v26
	v_subrev_nc_u32_e32 v27, 28, v26
	v_sub_nc_u32_e32 v58, 29, v26
	v_lshlrev_b64 v[59:60], v27, v[0:1]
	v_and_b32_e32 v47, 7, v59
; %bb.2110:                             ;   in Loop: Header=BB288_1066 Depth=1
	s_or_b32 exec_lo, exec_lo, s21
	v_lshlrev_b32_e32 v0, 8, v0
	v_lshl_add_u32 v26, v58, 10, 0x2000
	v_lshlrev_b32_e32 v27, 7, v47
	v_and_b32_e32 v0, 0x8000, v0
	v_and_b32_e32 v26, 0xfc00, v26
	v_or3_b32 v47, v0, v26, v27
.LBB288_2111:                           ;   in Loop: Header=BB288_1066 Depth=1
	s_or_b32 exec_lo, exec_lo, s20
.LBB288_2112:                           ;   in Loop: Header=BB288_1066 Depth=1
	s_or_b32 exec_lo, exec_lo, s18
.LBB288_2113:                           ;   in Loop: Header=BB288_1066 Depth=1
	s_or_b32 exec_lo, exec_lo, s17
	v_cmp_lt_u64_e64 s5, s[12:13], v[9:10]
	v_mov_b32_e32 v9, 0
	s_and_saveexec_b32 s17, s5
	s_cbranch_execz .LBB288_2121
; %bb.2114:                             ;   in Loop: Header=BB288_1066 Depth=1
	v_lshrrev_b32_e32 v0, 24, v10
	v_bfrev_b32_e32 v9, 1
	s_mov_b32 s18, exec_lo
	v_cmpx_ne_u32_e32 0x80, v0
	s_cbranch_execz .LBB288_2120
; %bb.2115:                             ;   in Loop: Header=BB288_1066 Depth=1
	v_and_b32_e32 v58, 0x7f, v0
	v_mov_b32_e32 v9, 0x7c010000
	s_mov_b32 s20, exec_lo
	v_cmpx_ne_u32_e32 0x7f, v58
	s_cbranch_execz .LBB288_2119
; %bb.2116:                             ;   in Loop: Header=BB288_1066 Depth=1
	v_and_b32_e32 v9, 7, v0
	v_lshrrev_b32_e32 v10, 3, v58
	s_mov_b32 s21, exec_lo
	v_cmpx_gt_u32_e32 8, v58
; %bb.2117:                             ;   in Loop: Header=BB288_1066 Depth=1
	v_ffbh_u32_e32 v9, v9
	v_min_u32_e32 v26, 32, v9
	v_subrev_nc_u32_e32 v9, 28, v26
	v_lshlrev_b64 v[9:10], v9, v[0:1]
	v_sub_nc_u32_e32 v10, 29, v26
	v_and_b32_e32 v9, 7, v9
; %bb.2118:                             ;   in Loop: Header=BB288_1066 Depth=1
	s_or_b32 exec_lo, exec_lo, s21
	v_lshlrev_b32_e32 v0, 8, v0
	v_lshl_add_u32 v10, v10, 10, 0x2000
	v_lshlrev_b32_e32 v9, 23, v9
	v_and_or_b32 v0, 0x8000, v0, v10
	v_lshl_or_b32 v9, v0, 16, v9
.LBB288_2119:                           ;   in Loop: Header=BB288_1066 Depth=1
	s_or_b32 exec_lo, exec_lo, s20
.LBB288_2120:                           ;   in Loop: Header=BB288_1066 Depth=1
	s_or_b32 exec_lo, exec_lo, s18
.LBB288_2121:                           ;   in Loop: Header=BB288_1066 Depth=1
	s_or_b32 exec_lo, exec_lo, s17
	v_or_b32_e32 v0, v45, v46
	s_waitcnt vmcnt(0) lgkmcnt(0)
	v_fma_mixlo_f16 v10, v103, v45, 0 op_sel:[0,1,0] op_sel_hi:[0,1,0]
	v_or_b32_e32 v26, v43, v44
	v_fma_mixlo_f16 v27, v103, v43, 0 op_sel:[0,1,0] op_sel_hi:[0,1,0]
	v_or_b32_e32 v113, v57, v56
	v_fma_mixlo_f16 v0, v103, v0, 0 op_sel_hi:[0,1,0]
	v_or_b32_e32 v44, v9, v47
	v_lshlrev_b32_e32 v43, 16, v10
	v_lshlrev_b32_e32 v56, 16, v27
	v_fma_mixlo_f16 v10, v103, v26, 0 op_sel_hi:[0,1,0]
	v_and_b32_e32 v45, 0xffff, v0
	v_fma_mixlo_f16 v0, v103, v57, 0 op_sel:[0,1,0] op_sel_hi:[0,1,0]
	v_fma_mixlo_f16 v26, v103, v113, 0 op_sel_hi:[0,1,0]
	v_fma_mixlo_f16 v9, v103, v9, 0 op_sel:[0,1,0] op_sel_hi:[0,1,0]
	v_fma_mixlo_f16 v27, v103, v44, 0 op_sel_hi:[0,1,0]
	v_and_b32_e32 v58, 0xffff, v10
	v_lshlrev_b32_e32 v46, 16, v0
	v_and_b32_e32 v57, 0xffff, v26
	v_lshlrev_b32_e32 v44, 16, v9
	v_and_b32_e32 v47, 0xffff, v27
	v_or_b32_e32 v10, v43, v45
	v_or_b32_e32 v103, v56, v58
	;; [unrolled: 1-line block ×4, first 2 shown]
	s_and_saveexec_b32 s5, vcc_lo
	s_cbranch_execz .LBB288_1064
; %bb.2122:                             ;   in Loop: Header=BB288_1066 Depth=1
	v_cmp_lt_i32_e32 vcc_lo, v18, v38
	v_cndmask_b32_e32 v0, 0, v58, vcc_lo
	v_cmp_lt_i32_e32 vcc_lo, v100, v38
	v_cndmask_b32_e32 v9, 0, v56, vcc_lo
	v_cmp_lt_i32_e32 vcc_lo, v99, v38
	v_or_b32_e32 v103, v0, v9
	v_cndmask_b32_e32 v10, 0, v45, vcc_lo
	v_cmp_lt_i32_e32 vcc_lo, v98, v38
	v_cndmask_b32_e32 v18, 0, v43, vcc_lo
	v_cmp_lt_i32_e32 vcc_lo, v97, v38
	v_or_b32_e32 v10, v10, v18
	;; [unrolled: 5-line block ×3, first 2 shown]
	v_cndmask_b32_e32 v87, 0, v47, vcc_lo
	v_cmp_lt_i32_e32 vcc_lo, v86, v38
	v_cndmask_b32_e32 v86, 0, v44, vcc_lo
	v_or_b32_e32 v0, v87, v86
	s_branch .LBB288_1064
.LBB288_2123:
	s_or_b32 exec_lo, exec_lo, s15
	s_load_dword s5, s[8:9], 0x0
	s_waitcnt lgkmcnt(0)
	v_mov_b32_e32 v16, s5
.LBB288_2124:
	s_or_b32 exec_lo, exec_lo, s7
	ds_bpermute_b32 v2, v20, v69
	ds_bpermute_b32 v4, v20, v67
	;; [unrolled: 1-line block ×16, first 2 shown]
	s_mov_b32 s5, exec_lo
	s_waitcnt lgkmcnt(15)
	v_add_f32_e32 v13, v69, v2
	s_waitcnt lgkmcnt(14)
	v_add_f32_e32 v11, v67, v4
	;; [unrolled: 2-line block ×3, first 2 shown]
	s_clause 0x1
	buffer_load_dword v2, off, s[0:3], s32 offset:432
	buffer_load_dword v19, off, s[0:3], s32 offset:436
	s_waitcnt lgkmcnt(12)
	v_add_f32_e32 v9, v65, v6
	s_waitcnt lgkmcnt(11)
	v_add_f32_e32 v6, v32, v18
	v_lshrrev_b32_e32 v18, 1, v35
	s_waitcnt lgkmcnt(10)
	v_add_f32_e32 v15, v70, v0
	s_waitcnt lgkmcnt(9)
	v_add_f32_e32 v14, v71, v1
	;; [unrolled: 2-line block ×10, first 2 shown]
	v_lshl_add_u32 v17, v18, 2, v16
	s_waitcnt vmcnt(0) lgkmcnt(0)
	s_waitcnt_vscnt null, 0x0
	s_barrier
	buffer_gl0_inv
	v_and_b32_e32 v22, 0x3c1, v2
	v_add_f32_e32 v2, v21, v20
	v_lshlrev_b32_e32 v19, 10, v19
	v_cmpx_eq_u32_e32 64, v22
	s_cbranch_execz .LBB288_2126
; %bb.2125:
	v_add_nc_u32_e32 v20, v17, v19
	v_add_nc_u32_e32 v21, 0xfffff800, v20
	;; [unrolled: 1-line block ×7, first 2 shown]
	ds_write_b32 v21, v15
	ds_write_b32 v22, v14
	;; [unrolled: 1-line block ×6, first 2 shown]
	v_add_nc_u32_e32 v21, 0xfffff980, v20
	v_add_nc_u32_e32 v22, 0xfffff9c0, v20
	v_add_nc_u32_e32 v23, 0xfffffa00, v20
	v_add_nc_u32_e32 v24, 0xfffffa40, v20
	v_add_nc_u32_e32 v25, 0xfffffa80, v20
	ds_write_b32 v21, v9
	ds_write_b32 v22, v8
	;; [unrolled: 1-line block ×5, first 2 shown]
	v_add_nc_u32_e32 v21, 0xfffffac0, v20
	v_add_nc_u32_e32 v22, 0xfffffb00, v20
	;; [unrolled: 1-line block ×5, first 2 shown]
	ds_write_b32 v21, v1
	ds_write_b32 v22, v0
	;; [unrolled: 1-line block ×5, first 2 shown]
.LBB288_2126:
	s_or_b32 exec_lo, exec_lo, s5
	buffer_load_dword v20, off, s[0:3], s32 offset:440 ; 4-byte Folded Reload
	v_lshlrev_b32_e32 v18, 2, v18
	s_waitcnt vmcnt(0) lgkmcnt(0)
	s_barrier
	buffer_gl0_inv
	v_add3_u32 v16, v16, v19, v18
	v_cmp_eq_u32_e32 vcc_lo, 0, v20
	s_mov_b32 s5, exec_lo
	buffer_load_dword v19, off, s[0:3], s32 offset:432 ; 4-byte Folded Reload
	s_and_b32 s4, s5, s4
	s_mov_b32 exec_lo, s4
	s_cbranch_execz .LBB288_2145
; %bb.2127:
	s_and_saveexec_b32 s4, vcc_lo
	s_cbranch_execnz .LBB288_2169
; %bb.2128:
	s_or_b32 exec_lo, exec_lo, s4
	s_and_saveexec_b32 s4, vcc_lo
	s_cbranch_execnz .LBB288_2170
.LBB288_2129:
	s_or_b32 exec_lo, exec_lo, s4
	s_and_saveexec_b32 s4, vcc_lo
	s_cbranch_execnz .LBB288_2171
.LBB288_2130:
	s_or_b32 exec_lo, exec_lo, s4
	s_and_saveexec_b32 s4, vcc_lo
	s_cbranch_execnz .LBB288_2172
.LBB288_2131:
	s_or_b32 exec_lo, exec_lo, s4
	s_and_saveexec_b32 s4, vcc_lo
	s_cbranch_execnz .LBB288_2173
.LBB288_2132:
	s_or_b32 exec_lo, exec_lo, s4
	s_and_saveexec_b32 s4, vcc_lo
	s_cbranch_execnz .LBB288_2174
.LBB288_2133:
	s_or_b32 exec_lo, exec_lo, s4
	s_and_saveexec_b32 s4, vcc_lo
	s_cbranch_execnz .LBB288_2175
.LBB288_2134:
	s_or_b32 exec_lo, exec_lo, s4
	s_and_saveexec_b32 s4, vcc_lo
	s_cbranch_execnz .LBB288_2176
.LBB288_2135:
	s_or_b32 exec_lo, exec_lo, s4
	s_and_saveexec_b32 s4, vcc_lo
	s_cbranch_execnz .LBB288_2177
.LBB288_2136:
	s_or_b32 exec_lo, exec_lo, s4
	s_and_saveexec_b32 s4, vcc_lo
	s_cbranch_execnz .LBB288_2178
.LBB288_2137:
	s_or_b32 exec_lo, exec_lo, s4
	s_and_saveexec_b32 s4, vcc_lo
	s_cbranch_execnz .LBB288_2179
.LBB288_2138:
	s_or_b32 exec_lo, exec_lo, s4
	s_and_saveexec_b32 s4, vcc_lo
	s_cbranch_execnz .LBB288_2180
.LBB288_2139:
	s_or_b32 exec_lo, exec_lo, s4
	s_and_saveexec_b32 s4, vcc_lo
	s_cbranch_execnz .LBB288_2181
.LBB288_2140:
	s_or_b32 exec_lo, exec_lo, s4
	s_and_saveexec_b32 s4, vcc_lo
	s_cbranch_execnz .LBB288_2182
.LBB288_2141:
	s_or_b32 exec_lo, exec_lo, s4
	s_and_saveexec_b32 s4, vcc_lo
	s_cbranch_execnz .LBB288_2183
.LBB288_2142:
	s_or_b32 exec_lo, exec_lo, s4
	s_and_saveexec_b32 s4, vcc_lo
	s_cbranch_execz .LBB288_2144
.LBB288_2143:
	ds_read_b32 v18, v16 offset:960
	s_waitcnt lgkmcnt(0)
	v_add_f32_e32 v2, v18, v2
.LBB288_2144:
	s_or_b32 exec_lo, exec_lo, s4
.LBB288_2145:
	s_or_b32 exec_lo, exec_lo, s5
	s_waitcnt vmcnt(0)
	v_and_b32_e32 v18, 0x3e1, v19
	s_mov_b32 s5, exec_lo
	s_barrier
	buffer_gl0_inv
	v_cmpx_eq_u32_e32 32, v18
	s_cbranch_execz .LBB288_2147
; %bb.2146:
	ds_write2_b32 v17, v15, v14 offset1:16
	ds_write2_b32 v17, v13, v12 offset0:32 offset1:48
	ds_write2_b32 v17, v11, v10 offset0:64 offset1:80
	;; [unrolled: 1-line block ×7, first 2 shown]
.LBB288_2147:
	s_or_b32 exec_lo, exec_lo, s5
	s_mov_b32 s5, exec_lo
	s_waitcnt lgkmcnt(0)
	s_barrier
	buffer_gl0_inv
	v_cmpx_gt_u32_e32 32, v19
	s_cbranch_execz .LBB288_2166
; %bb.2148:
	s_and_saveexec_b32 s4, vcc_lo
	s_cbranch_execnz .LBB288_2184
; %bb.2149:
	s_or_b32 exec_lo, exec_lo, s4
	s_and_saveexec_b32 s4, vcc_lo
	s_cbranch_execnz .LBB288_2185
.LBB288_2150:
	s_or_b32 exec_lo, exec_lo, s4
	s_and_saveexec_b32 s4, vcc_lo
	s_cbranch_execnz .LBB288_2186
.LBB288_2151:
	s_or_b32 exec_lo, exec_lo, s4
	s_and_saveexec_b32 s4, vcc_lo
	s_cbranch_execnz .LBB288_2187
.LBB288_2152:
	s_or_b32 exec_lo, exec_lo, s4
	s_and_saveexec_b32 s4, vcc_lo
	s_cbranch_execnz .LBB288_2188
.LBB288_2153:
	s_or_b32 exec_lo, exec_lo, s4
	s_and_saveexec_b32 s4, vcc_lo
	s_cbranch_execnz .LBB288_2189
.LBB288_2154:
	s_or_b32 exec_lo, exec_lo, s4
	s_and_saveexec_b32 s4, vcc_lo
	s_cbranch_execnz .LBB288_2190
.LBB288_2155:
	s_or_b32 exec_lo, exec_lo, s4
	s_and_saveexec_b32 s4, vcc_lo
	s_cbranch_execnz .LBB288_2191
.LBB288_2156:
	s_or_b32 exec_lo, exec_lo, s4
	s_and_saveexec_b32 s4, vcc_lo
	s_cbranch_execnz .LBB288_2192
.LBB288_2157:
	s_or_b32 exec_lo, exec_lo, s4
	s_and_saveexec_b32 s4, vcc_lo
	s_cbranch_execnz .LBB288_2193
.LBB288_2158:
	s_or_b32 exec_lo, exec_lo, s4
	s_and_saveexec_b32 s4, vcc_lo
	s_cbranch_execnz .LBB288_2194
.LBB288_2159:
	s_or_b32 exec_lo, exec_lo, s4
	s_and_saveexec_b32 s4, vcc_lo
	s_cbranch_execnz .LBB288_2195
.LBB288_2160:
	s_or_b32 exec_lo, exec_lo, s4
	s_and_saveexec_b32 s4, vcc_lo
	s_cbranch_execnz .LBB288_2196
.LBB288_2161:
	s_or_b32 exec_lo, exec_lo, s4
	s_and_saveexec_b32 s4, vcc_lo
	s_cbranch_execnz .LBB288_2197
.LBB288_2162:
	s_or_b32 exec_lo, exec_lo, s4
	s_and_saveexec_b32 s4, vcc_lo
	s_cbranch_execnz .LBB288_2198
.LBB288_2163:
	s_or_b32 exec_lo, exec_lo, s4
	s_and_saveexec_b32 s4, vcc_lo
	s_cbranch_execz .LBB288_2165
.LBB288_2164:
	ds_read_b32 v16, v16 offset:960
	s_waitcnt lgkmcnt(0)
	v_add_f32_e32 v2, v16, v2
.LBB288_2165:
	s_or_b32 exec_lo, exec_lo, s4
.LBB288_2166:
	s_or_b32 exec_lo, exec_lo, s5
	v_cmp_eq_u32_e32 vcc_lo, 0, v18
	s_barrier
	buffer_gl0_inv
	s_and_b32 exec_lo, exec_lo, vcc_lo
	s_cbranch_execz .LBB288_2168
; %bb.2167:
	s_clause 0x2
	buffer_load_dword v16, off, s[0:3], s32 offset:448
	buffer_load_dword v18, off, s[0:3], s32 offset:452
	;; [unrolled: 1-line block ×3, first 2 shown]
	s_lshl_b32 s4, s6, 8
	s_mul_i32 s6, s10, s11
	s_ashr_i32 s5, s4, 31
	s_ashr_i32 s7, s6, 31
	s_lshl_b64 s[4:5], s[4:5], 1
	s_lshl_b64 s[6:7], s[6:7], 1
	;;#ASMSTART
	v_cvt_f16_f32 v15, v15;

	;;#ASMEND
	s_waitcnt vmcnt(2)
	v_add_co_u32 v16, vcc_lo, v16, s4
	s_waitcnt vmcnt(0)
	v_add_co_ci_u32_e64 v17, null, s5, v17, vcc_lo
	s_lshl_b32 s4, s14, 8
	v_add_co_u32 v16, vcc_lo, v16, s6
	s_ashr_i32 s5, s4, 31
	v_add_co_ci_u32_e64 v17, null, s7, v17, vcc_lo
	s_lshl_b64 s[4:5], s[4:5], 1
	v_lshlrev_b32_e32 v18, 1, v18
	v_add_co_u32 v16, vcc_lo, v16, s4
	v_add_co_ci_u32_e64 v17, null, s5, v17, vcc_lo
	v_add_co_u32 v16, vcc_lo, v16, v18
	v_add_co_ci_u32_e64 v17, null, 0, v17, vcc_lo
	flat_store_short v[16:17], v15
	;;#ASMSTART
	v_cvt_f16_f32 v14, v14;

	;;#ASMEND
	flat_store_short v[16:17], v14 offset:32
	;;#ASMSTART
	v_cvt_f16_f32 v13, v13;

	;;#ASMEND
	flat_store_short v[16:17], v13 offset:64
	;; [unrolled: 5-line block ×15, first 2 shown]
.LBB288_2168:
	s_or_b32 exec_lo, exec_lo, s19
	s_clause 0x2f
	buffer_load_dword v127, off, s[0:3], s32 offset:8
	buffer_load_dword v126, off, s[0:3], s32 offset:12
	;; [unrolled: 1-line block ×48, first 2 shown]
	s_waitcnt vmcnt(0) lgkmcnt(0)
	s_setpc_b64 s[30:31]
.LBB288_2169:
	ds_read_b32 v18, v16
	s_waitcnt lgkmcnt(0)
	v_add_f32_e32 v15, v18, v15
	s_or_b32 exec_lo, exec_lo, s4
	s_and_saveexec_b32 s4, vcc_lo
	s_cbranch_execz .LBB288_2129
.LBB288_2170:
	ds_read_b32 v18, v16 offset:64
	s_waitcnt lgkmcnt(0)
	v_add_f32_e32 v14, v18, v14
	s_or_b32 exec_lo, exec_lo, s4
	s_and_saveexec_b32 s4, vcc_lo
	s_cbranch_execz .LBB288_2130
.LBB288_2171:
	ds_read_b32 v18, v16 offset:128
	s_waitcnt lgkmcnt(0)
	v_add_f32_e32 v13, v18, v13
	s_or_b32 exec_lo, exec_lo, s4
	s_and_saveexec_b32 s4, vcc_lo
	s_cbranch_execz .LBB288_2131
.LBB288_2172:
	ds_read_b32 v18, v16 offset:192
	s_waitcnt lgkmcnt(0)
	v_add_f32_e32 v12, v18, v12
	s_or_b32 exec_lo, exec_lo, s4
	s_and_saveexec_b32 s4, vcc_lo
	s_cbranch_execz .LBB288_2132
.LBB288_2173:
	ds_read_b32 v18, v16 offset:256
	s_waitcnt lgkmcnt(0)
	v_add_f32_e32 v11, v18, v11
	s_or_b32 exec_lo, exec_lo, s4
	s_and_saveexec_b32 s4, vcc_lo
	s_cbranch_execz .LBB288_2133
.LBB288_2174:
	ds_read_b32 v18, v16 offset:320
	s_waitcnt lgkmcnt(0)
	v_add_f32_e32 v10, v18, v10
	s_or_b32 exec_lo, exec_lo, s4
	s_and_saveexec_b32 s4, vcc_lo
	s_cbranch_execz .LBB288_2134
.LBB288_2175:
	ds_read_b32 v18, v16 offset:384
	s_waitcnt lgkmcnt(0)
	v_add_f32_e32 v9, v18, v9
	s_or_b32 exec_lo, exec_lo, s4
	s_and_saveexec_b32 s4, vcc_lo
	s_cbranch_execz .LBB288_2135
.LBB288_2176:
	ds_read_b32 v18, v16 offset:448
	s_waitcnt lgkmcnt(0)
	v_add_f32_e32 v8, v18, v8
	s_or_b32 exec_lo, exec_lo, s4
	s_and_saveexec_b32 s4, vcc_lo
	s_cbranch_execz .LBB288_2136
.LBB288_2177:
	ds_read_b32 v18, v16 offset:512
	s_waitcnt lgkmcnt(0)
	v_add_f32_e32 v7, v18, v7
	s_or_b32 exec_lo, exec_lo, s4
	s_and_saveexec_b32 s4, vcc_lo
	s_cbranch_execz .LBB288_2137
.LBB288_2178:
	ds_read_b32 v18, v16 offset:576
	s_waitcnt lgkmcnt(0)
	v_add_f32_e32 v6, v18, v6
	s_or_b32 exec_lo, exec_lo, s4
	s_and_saveexec_b32 s4, vcc_lo
	s_cbranch_execz .LBB288_2138
.LBB288_2179:
	ds_read_b32 v18, v16 offset:640
	s_waitcnt lgkmcnt(0)
	v_add_f32_e32 v4, v18, v4
	s_or_b32 exec_lo, exec_lo, s4
	s_and_saveexec_b32 s4, vcc_lo
	s_cbranch_execz .LBB288_2139
.LBB288_2180:
	ds_read_b32 v18, v16 offset:704
	s_waitcnt lgkmcnt(0)
	v_add_f32_e32 v1, v18, v1
	s_or_b32 exec_lo, exec_lo, s4
	s_and_saveexec_b32 s4, vcc_lo
	s_cbranch_execz .LBB288_2140
.LBB288_2181:
	ds_read_b32 v18, v16 offset:768
	s_waitcnt lgkmcnt(0)
	v_add_f32_e32 v0, v18, v0
	s_or_b32 exec_lo, exec_lo, s4
	s_and_saveexec_b32 s4, vcc_lo
	s_cbranch_execz .LBB288_2141
.LBB288_2182:
	ds_read_b32 v18, v16 offset:832
	s_waitcnt lgkmcnt(0)
	v_add_f32_e32 v3, v18, v3
	s_or_b32 exec_lo, exec_lo, s4
	s_and_saveexec_b32 s4, vcc_lo
	s_cbranch_execz .LBB288_2142
.LBB288_2183:
	ds_read_b32 v18, v16 offset:896
	s_waitcnt lgkmcnt(0)
	v_add_f32_e32 v5, v18, v5
	s_or_b32 exec_lo, exec_lo, s4
	s_and_saveexec_b32 s4, vcc_lo
	s_cbranch_execnz .LBB288_2143
	s_branch .LBB288_2144
.LBB288_2184:
	ds_read_b32 v17, v16
	s_waitcnt lgkmcnt(0)
	v_add_f32_e32 v15, v17, v15
	s_or_b32 exec_lo, exec_lo, s4
	s_and_saveexec_b32 s4, vcc_lo
	s_cbranch_execz .LBB288_2150
.LBB288_2185:
	ds_read_b32 v17, v16 offset:64
	s_waitcnt lgkmcnt(0)
	v_add_f32_e32 v14, v17, v14
	s_or_b32 exec_lo, exec_lo, s4
	s_and_saveexec_b32 s4, vcc_lo
	s_cbranch_execz .LBB288_2151
.LBB288_2186:
	ds_read_b32 v17, v16 offset:128
	s_waitcnt lgkmcnt(0)
	v_add_f32_e32 v13, v17, v13
	s_or_b32 exec_lo, exec_lo, s4
	s_and_saveexec_b32 s4, vcc_lo
	s_cbranch_execz .LBB288_2152
.LBB288_2187:
	ds_read_b32 v17, v16 offset:192
	s_waitcnt lgkmcnt(0)
	v_add_f32_e32 v12, v17, v12
	s_or_b32 exec_lo, exec_lo, s4
	s_and_saveexec_b32 s4, vcc_lo
	s_cbranch_execz .LBB288_2153
.LBB288_2188:
	ds_read_b32 v17, v16 offset:256
	s_waitcnt lgkmcnt(0)
	v_add_f32_e32 v11, v17, v11
	s_or_b32 exec_lo, exec_lo, s4
	s_and_saveexec_b32 s4, vcc_lo
	s_cbranch_execz .LBB288_2154
.LBB288_2189:
	ds_read_b32 v17, v16 offset:320
	s_waitcnt lgkmcnt(0)
	v_add_f32_e32 v10, v17, v10
	s_or_b32 exec_lo, exec_lo, s4
	s_and_saveexec_b32 s4, vcc_lo
	s_cbranch_execz .LBB288_2155
.LBB288_2190:
	ds_read_b32 v17, v16 offset:384
	s_waitcnt lgkmcnt(0)
	v_add_f32_e32 v9, v17, v9
	s_or_b32 exec_lo, exec_lo, s4
	s_and_saveexec_b32 s4, vcc_lo
	s_cbranch_execz .LBB288_2156
.LBB288_2191:
	ds_read_b32 v17, v16 offset:448
	s_waitcnt lgkmcnt(0)
	v_add_f32_e32 v8, v17, v8
	s_or_b32 exec_lo, exec_lo, s4
	s_and_saveexec_b32 s4, vcc_lo
	s_cbranch_execz .LBB288_2157
.LBB288_2192:
	ds_read_b32 v17, v16 offset:512
	s_waitcnt lgkmcnt(0)
	v_add_f32_e32 v7, v17, v7
	s_or_b32 exec_lo, exec_lo, s4
	s_and_saveexec_b32 s4, vcc_lo
	s_cbranch_execz .LBB288_2158
.LBB288_2193:
	ds_read_b32 v17, v16 offset:576
	s_waitcnt lgkmcnt(0)
	v_add_f32_e32 v6, v17, v6
	s_or_b32 exec_lo, exec_lo, s4
	s_and_saveexec_b32 s4, vcc_lo
	s_cbranch_execz .LBB288_2159
.LBB288_2194:
	ds_read_b32 v17, v16 offset:640
	s_waitcnt lgkmcnt(0)
	v_add_f32_e32 v4, v17, v4
	s_or_b32 exec_lo, exec_lo, s4
	s_and_saveexec_b32 s4, vcc_lo
	s_cbranch_execz .LBB288_2160
.LBB288_2195:
	ds_read_b32 v17, v16 offset:704
	s_waitcnt lgkmcnt(0)
	v_add_f32_e32 v1, v17, v1
	s_or_b32 exec_lo, exec_lo, s4
	s_and_saveexec_b32 s4, vcc_lo
	s_cbranch_execz .LBB288_2161
.LBB288_2196:
	ds_read_b32 v17, v16 offset:768
	s_waitcnt lgkmcnt(0)
	v_add_f32_e32 v0, v17, v0
	s_or_b32 exec_lo, exec_lo, s4
	s_and_saveexec_b32 s4, vcc_lo
	s_cbranch_execz .LBB288_2162
.LBB288_2197:
	ds_read_b32 v17, v16 offset:832
	s_waitcnt lgkmcnt(0)
	v_add_f32_e32 v3, v17, v3
	s_or_b32 exec_lo, exec_lo, s4
	s_and_saveexec_b32 s4, vcc_lo
	s_cbranch_execz .LBB288_2163
.LBB288_2198:
	ds_read_b32 v17, v16 offset:896
	s_waitcnt lgkmcnt(0)
	v_add_f32_e32 v5, v17, v5
	s_or_b32 exec_lo, exec_lo, s4
	s_and_saveexec_b32 s4, vcc_lo
	s_cbranch_execnz .LBB288_2164
	s_branch .LBB288_2165
.Lfunc_end288:
	.size	_ZN4vllm22paged_attention_kernelIthLi256ELi16ELi128ELNS_18Fp8KVCacheDataTypeE1ELb1ELi512EEEvPfS2_PT_PKS3_PKT0_S9_ifPKiSB_iPKfiiiSD_SD_iiiii, .Lfunc_end288-_ZN4vllm22paged_attention_kernelIthLi256ELi16ELi128ELNS_18Fp8KVCacheDataTypeE1ELb1ELi512EEEvPfS2_PT_PKS3_PKT0_S9_ifPKiSB_iPKfiiiSD_SD_iiiii
                                        ; -- End function
	.set .L_ZN4vllm22paged_attention_kernelIthLi256ELi16ELi128ELNS_18Fp8KVCacheDataTypeE1ELb1ELi512EEEvPfS2_PT_PKS3_PKT0_S9_ifPKiSB_iPKfiiiSD_SD_iiiii.num_vgpr, 128
	.set .L_ZN4vllm22paged_attention_kernelIthLi256ELi16ELi128ELNS_18Fp8KVCacheDataTypeE1ELb1ELi512EEEvPfS2_PT_PKS3_PKT0_S9_ifPKiSB_iPKfiiiSD_SD_iiiii.num_agpr, 0
	.set .L_ZN4vllm22paged_attention_kernelIthLi256ELi16ELi128ELNS_18Fp8KVCacheDataTypeE1ELb1ELi512EEEvPfS2_PT_PKS3_PKT0_S9_ifPKiSB_iPKfiiiSD_SD_iiiii.numbered_sgpr, 33
	.set .L_ZN4vllm22paged_attention_kernelIthLi256ELi16ELi128ELNS_18Fp8KVCacheDataTypeE1ELb1ELi512EEEvPfS2_PT_PKS3_PKT0_S9_ifPKiSB_iPKfiiiSD_SD_iiiii.num_named_barrier, 0
	.set .L_ZN4vllm22paged_attention_kernelIthLi256ELi16ELi128ELNS_18Fp8KVCacheDataTypeE1ELb1ELi512EEEvPfS2_PT_PKS3_PKT0_S9_ifPKiSB_iPKfiiiSD_SD_iiiii.private_seg_size, 524
	.set .L_ZN4vllm22paged_attention_kernelIthLi256ELi16ELi128ELNS_18Fp8KVCacheDataTypeE1ELb1ELi512EEEvPfS2_PT_PKS3_PKT0_S9_ifPKiSB_iPKfiiiSD_SD_iiiii.uses_vcc, 1
	.set .L_ZN4vllm22paged_attention_kernelIthLi256ELi16ELi128ELNS_18Fp8KVCacheDataTypeE1ELb1ELi512EEEvPfS2_PT_PKS3_PKT0_S9_ifPKiSB_iPKfiiiSD_SD_iiiii.uses_flat_scratch, 0
	.set .L_ZN4vllm22paged_attention_kernelIthLi256ELi16ELi128ELNS_18Fp8KVCacheDataTypeE1ELb1ELi512EEEvPfS2_PT_PKS3_PKT0_S9_ifPKiSB_iPKfiiiSD_SD_iiiii.has_dyn_sized_stack, 0
	.set .L_ZN4vllm22paged_attention_kernelIthLi256ELi16ELi128ELNS_18Fp8KVCacheDataTypeE1ELb1ELi512EEEvPfS2_PT_PKS3_PKT0_S9_ifPKiSB_iPKfiiiSD_SD_iiiii.has_recursion, 0
	.set .L_ZN4vllm22paged_attention_kernelIthLi256ELi16ELi128ELNS_18Fp8KVCacheDataTypeE1ELb1ELi512EEEvPfS2_PT_PKS3_PKT0_S9_ifPKiSB_iPKfiiiSD_SD_iiiii.has_indirect_call, 0
	.section	.AMDGPU.csdata,"",@progbits
; Function info:
; codeLenInByte = 75332
; TotalNumSgprs: 35
; NumVgprs: 128
; ScratchSize: 524
; MemoryBound: 0
	.section	.text._ZN4vllm25paged_attention_v2_kernelIthLi256ELi16ELi128ELNS_18Fp8KVCacheDataTypeE1ELb1ELi512EEEvPfS2_PT_PKS3_PKT0_S9_ifPKiSB_iPKfiiiSD_SD_iiiii,"axG",@progbits,_ZN4vllm25paged_attention_v2_kernelIthLi256ELi16ELi128ELNS_18Fp8KVCacheDataTypeE1ELb1ELi512EEEvPfS2_PT_PKS3_PKT0_S9_ifPKiSB_iPKfiiiSD_SD_iiiii,comdat
	.protected	_ZN4vllm25paged_attention_v2_kernelIthLi256ELi16ELi128ELNS_18Fp8KVCacheDataTypeE1ELb1ELi512EEEvPfS2_PT_PKS3_PKT0_S9_ifPKiSB_iPKfiiiSD_SD_iiiii ; -- Begin function _ZN4vllm25paged_attention_v2_kernelIthLi256ELi16ELi128ELNS_18Fp8KVCacheDataTypeE1ELb1ELi512EEEvPfS2_PT_PKS3_PKT0_S9_ifPKiSB_iPKfiiiSD_SD_iiiii
	.globl	_ZN4vllm25paged_attention_v2_kernelIthLi256ELi16ELi128ELNS_18Fp8KVCacheDataTypeE1ELb1ELi512EEEvPfS2_PT_PKS3_PKT0_S9_ifPKiSB_iPKfiiiSD_SD_iiiii
	.p2align	8
	.type	_ZN4vllm25paged_attention_v2_kernelIthLi256ELi16ELi128ELNS_18Fp8KVCacheDataTypeE1ELb1ELi512EEEvPfS2_PT_PKS3_PKT0_S9_ifPKiSB_iPKfiiiSD_SD_iiiii,@function
_ZN4vllm25paged_attention_v2_kernelIthLi256ELi16ELi128ELNS_18Fp8KVCacheDataTypeE1ELb1ELi512EEEvPfS2_PT_PKS3_PKT0_S9_ifPKiSB_iPKfiiiSD_SD_iiiii: ; @_ZN4vllm25paged_attention_v2_kernelIthLi256ELi16ELi128ELNS_18Fp8KVCacheDataTypeE1ELb1ELi512EEEvPfS2_PT_PKS3_PKT0_S9_ifPKiSB_iPKfiiiSD_SD_iiiii
; %bb.0:
	s_mov_b32 s14, s8
	s_clause 0x7
	s_load_dwordx4 s[36:39], s[4:5], 0x78
	s_load_dword s8, s[4:5], 0x88
	s_load_dwordx8 s[40:47], s[4:5], 0x0
	s_load_dwordx8 s[24:31], s[4:5], 0x20
	s_load_dwordx2 s[10:11], s[4:5], 0x40
	s_load_dwordx2 s[34:35], s[4:5], 0x50
	s_load_dword s13, s[4:5], 0x48
	s_load_dwordx8 s[16:23], s[4:5], 0x58
	s_add_u32 s0, s0, s9
	s_mov_b32 s32, 0
	s_addc_u32 s1, s1, 0
	v_mov_b32_e32 v31, v0
	s_mov_b32 s12, s6
	s_mov_b32 s15, 45
	s_waitcnt lgkmcnt(0)
	v_mov_b32_e32 v1, s39
	v_mov_b32_e32 v2, s8
	;; [unrolled: 1-line block ×4, first 2 shown]
	buffer_store_dword v1, off, s[0:3], s32
	buffer_store_dword v2, off, s[0:3], s32 offset:4
	v_mov_b32_e32 v1, s41
	v_mov_b32_e32 v2, s42
	;; [unrolled: 1-line block ×29, first 2 shown]
	s_add_u32 s8, s4, 0x90
	s_addc_u32 s9, s5, 0
	s_getpc_b64 s[4:5]
	s_add_u32 s4, s4, _ZN4vllm22paged_attention_kernelIthLi256ELi16ELi128ELNS_18Fp8KVCacheDataTypeE1ELb1ELi512EEEvPfS2_PT_PKS3_PKT0_S9_ifPKiSB_iPKfiiiSD_SD_iiiii@rel32@lo+4
	s_addc_u32 s5, s5, _ZN4vllm22paged_attention_kernelIthLi256ELi16ELi128ELNS_18Fp8KVCacheDataTypeE1ELb1ELi512EEEvPfS2_PT_PKS3_PKT0_S9_ifPKiSB_iPKfiiiSD_SD_iiiii@rel32@hi+12
	s_mov_b32 s13, s7
	s_swappc_b64 s[30:31], s[4:5]
	s_endpgm
	.section	.rodata,"a",@progbits
	.p2align	6, 0x0
	.amdhsa_kernel _ZN4vllm25paged_attention_v2_kernelIthLi256ELi16ELi128ELNS_18Fp8KVCacheDataTypeE1ELb1ELi512EEEvPfS2_PT_PKS3_PKT0_S9_ifPKiSB_iPKfiiiSD_SD_iiiii
		.amdhsa_group_segment_fixed_size 544
		.amdhsa_private_segment_fixed_size 524
		.amdhsa_kernarg_size 400
		.amdhsa_user_sgpr_count 6
		.amdhsa_user_sgpr_private_segment_buffer 1
		.amdhsa_user_sgpr_dispatch_ptr 0
		.amdhsa_user_sgpr_queue_ptr 0
		.amdhsa_user_sgpr_kernarg_segment_ptr 1
		.amdhsa_user_sgpr_dispatch_id 0
		.amdhsa_user_sgpr_flat_scratch_init 0
		.amdhsa_user_sgpr_private_segment_size 0
		.amdhsa_wavefront_size32 1
		.amdhsa_uses_dynamic_stack 0
		.amdhsa_system_sgpr_private_segment_wavefront_offset 1
		.amdhsa_system_sgpr_workgroup_id_x 1
		.amdhsa_system_sgpr_workgroup_id_y 1
		.amdhsa_system_sgpr_workgroup_id_z 1
		.amdhsa_system_sgpr_workgroup_info 0
		.amdhsa_system_vgpr_workitem_id 0
		.amdhsa_next_free_vgpr 128
		.amdhsa_next_free_sgpr 48
		.amdhsa_reserve_vcc 1
		.amdhsa_reserve_flat_scratch 0
		.amdhsa_float_round_mode_32 0
		.amdhsa_float_round_mode_16_64 0
		.amdhsa_float_denorm_mode_32 3
		.amdhsa_float_denorm_mode_16_64 3
		.amdhsa_dx10_clamp 1
		.amdhsa_ieee_mode 1
		.amdhsa_fp16_overflow 0
		.amdhsa_workgroup_processor_mode 1
		.amdhsa_memory_ordered 1
		.amdhsa_forward_progress 1
		.amdhsa_shared_vgpr_count 0
		.amdhsa_exception_fp_ieee_invalid_op 0
		.amdhsa_exception_fp_denorm_src 0
		.amdhsa_exception_fp_ieee_div_zero 0
		.amdhsa_exception_fp_ieee_overflow 0
		.amdhsa_exception_fp_ieee_underflow 0
		.amdhsa_exception_fp_ieee_inexact 0
		.amdhsa_exception_int_div_zero 0
	.end_amdhsa_kernel
	.section	.text._ZN4vllm25paged_attention_v2_kernelIthLi256ELi16ELi128ELNS_18Fp8KVCacheDataTypeE1ELb1ELi512EEEvPfS2_PT_PKS3_PKT0_S9_ifPKiSB_iPKfiiiSD_SD_iiiii,"axG",@progbits,_ZN4vllm25paged_attention_v2_kernelIthLi256ELi16ELi128ELNS_18Fp8KVCacheDataTypeE1ELb1ELi512EEEvPfS2_PT_PKS3_PKT0_S9_ifPKiSB_iPKfiiiSD_SD_iiiii,comdat
.Lfunc_end289:
	.size	_ZN4vllm25paged_attention_v2_kernelIthLi256ELi16ELi128ELNS_18Fp8KVCacheDataTypeE1ELb1ELi512EEEvPfS2_PT_PKS3_PKT0_S9_ifPKiSB_iPKfiiiSD_SD_iiiii, .Lfunc_end289-_ZN4vllm25paged_attention_v2_kernelIthLi256ELi16ELi128ELNS_18Fp8KVCacheDataTypeE1ELb1ELi512EEEvPfS2_PT_PKS3_PKT0_S9_ifPKiSB_iPKfiiiSD_SD_iiiii
                                        ; -- End function
	.set _ZN4vllm25paged_attention_v2_kernelIthLi256ELi16ELi128ELNS_18Fp8KVCacheDataTypeE1ELb1ELi512EEEvPfS2_PT_PKS3_PKT0_S9_ifPKiSB_iPKfiiiSD_SD_iiiii.num_vgpr, max(32, .L_ZN4vllm22paged_attention_kernelIthLi256ELi16ELi128ELNS_18Fp8KVCacheDataTypeE1ELb1ELi512EEEvPfS2_PT_PKS3_PKT0_S9_ifPKiSB_iPKfiiiSD_SD_iiiii.num_vgpr)
	.set _ZN4vllm25paged_attention_v2_kernelIthLi256ELi16ELi128ELNS_18Fp8KVCacheDataTypeE1ELb1ELi512EEEvPfS2_PT_PKS3_PKT0_S9_ifPKiSB_iPKfiiiSD_SD_iiiii.num_agpr, max(0, .L_ZN4vllm22paged_attention_kernelIthLi256ELi16ELi128ELNS_18Fp8KVCacheDataTypeE1ELb1ELi512EEEvPfS2_PT_PKS3_PKT0_S9_ifPKiSB_iPKfiiiSD_SD_iiiii.num_agpr)
	.set _ZN4vllm25paged_attention_v2_kernelIthLi256ELi16ELi128ELNS_18Fp8KVCacheDataTypeE1ELb1ELi512EEEvPfS2_PT_PKS3_PKT0_S9_ifPKiSB_iPKfiiiSD_SD_iiiii.numbered_sgpr, max(48, .L_ZN4vllm22paged_attention_kernelIthLi256ELi16ELi128ELNS_18Fp8KVCacheDataTypeE1ELb1ELi512EEEvPfS2_PT_PKS3_PKT0_S9_ifPKiSB_iPKfiiiSD_SD_iiiii.numbered_sgpr)
	.set _ZN4vllm25paged_attention_v2_kernelIthLi256ELi16ELi128ELNS_18Fp8KVCacheDataTypeE1ELb1ELi512EEEvPfS2_PT_PKS3_PKT0_S9_ifPKiSB_iPKfiiiSD_SD_iiiii.num_named_barrier, max(0, .L_ZN4vllm22paged_attention_kernelIthLi256ELi16ELi128ELNS_18Fp8KVCacheDataTypeE1ELb1ELi512EEEvPfS2_PT_PKS3_PKT0_S9_ifPKiSB_iPKfiiiSD_SD_iiiii.num_named_barrier)
	.set _ZN4vllm25paged_attention_v2_kernelIthLi256ELi16ELi128ELNS_18Fp8KVCacheDataTypeE1ELb1ELi512EEEvPfS2_PT_PKS3_PKT0_S9_ifPKiSB_iPKfiiiSD_SD_iiiii.private_seg_size, 0+max(.L_ZN4vllm22paged_attention_kernelIthLi256ELi16ELi128ELNS_18Fp8KVCacheDataTypeE1ELb1ELi512EEEvPfS2_PT_PKS3_PKT0_S9_ifPKiSB_iPKfiiiSD_SD_iiiii.private_seg_size)
	.set _ZN4vllm25paged_attention_v2_kernelIthLi256ELi16ELi128ELNS_18Fp8KVCacheDataTypeE1ELb1ELi512EEEvPfS2_PT_PKS3_PKT0_S9_ifPKiSB_iPKfiiiSD_SD_iiiii.uses_vcc, or(1, .L_ZN4vllm22paged_attention_kernelIthLi256ELi16ELi128ELNS_18Fp8KVCacheDataTypeE1ELb1ELi512EEEvPfS2_PT_PKS3_PKT0_S9_ifPKiSB_iPKfiiiSD_SD_iiiii.uses_vcc)
	.set _ZN4vllm25paged_attention_v2_kernelIthLi256ELi16ELi128ELNS_18Fp8KVCacheDataTypeE1ELb1ELi512EEEvPfS2_PT_PKS3_PKT0_S9_ifPKiSB_iPKfiiiSD_SD_iiiii.uses_flat_scratch, or(0, .L_ZN4vllm22paged_attention_kernelIthLi256ELi16ELi128ELNS_18Fp8KVCacheDataTypeE1ELb1ELi512EEEvPfS2_PT_PKS3_PKT0_S9_ifPKiSB_iPKfiiiSD_SD_iiiii.uses_flat_scratch)
	.set _ZN4vllm25paged_attention_v2_kernelIthLi256ELi16ELi128ELNS_18Fp8KVCacheDataTypeE1ELb1ELi512EEEvPfS2_PT_PKS3_PKT0_S9_ifPKiSB_iPKfiiiSD_SD_iiiii.has_dyn_sized_stack, or(0, .L_ZN4vllm22paged_attention_kernelIthLi256ELi16ELi128ELNS_18Fp8KVCacheDataTypeE1ELb1ELi512EEEvPfS2_PT_PKS3_PKT0_S9_ifPKiSB_iPKfiiiSD_SD_iiiii.has_dyn_sized_stack)
	.set _ZN4vllm25paged_attention_v2_kernelIthLi256ELi16ELi128ELNS_18Fp8KVCacheDataTypeE1ELb1ELi512EEEvPfS2_PT_PKS3_PKT0_S9_ifPKiSB_iPKfiiiSD_SD_iiiii.has_recursion, or(0, .L_ZN4vllm22paged_attention_kernelIthLi256ELi16ELi128ELNS_18Fp8KVCacheDataTypeE1ELb1ELi512EEEvPfS2_PT_PKS3_PKT0_S9_ifPKiSB_iPKfiiiSD_SD_iiiii.has_recursion)
	.set _ZN4vllm25paged_attention_v2_kernelIthLi256ELi16ELi128ELNS_18Fp8KVCacheDataTypeE1ELb1ELi512EEEvPfS2_PT_PKS3_PKT0_S9_ifPKiSB_iPKfiiiSD_SD_iiiii.has_indirect_call, or(0, .L_ZN4vllm22paged_attention_kernelIthLi256ELi16ELi128ELNS_18Fp8KVCacheDataTypeE1ELb1ELi512EEEvPfS2_PT_PKS3_PKT0_S9_ifPKiSB_iPKfiiiSD_SD_iiiii.has_indirect_call)
	.section	.AMDGPU.csdata,"",@progbits
; Kernel info:
; codeLenInByte = 292
; TotalNumSgprs: 50
; NumVgprs: 128
; ScratchSize: 524
; MemoryBound: 0
; FloatMode: 240
; IeeeMode: 1
; LDSByteSize: 544 bytes/workgroup (compile time only)
; SGPRBlocks: 0
; VGPRBlocks: 15
; NumSGPRsForWavesPerEU: 50
; NumVGPRsForWavesPerEU: 128
; Occupancy: 8
; WaveLimiterHint : 1
; COMPUTE_PGM_RSRC2:SCRATCH_EN: 1
; COMPUTE_PGM_RSRC2:USER_SGPR: 6
; COMPUTE_PGM_RSRC2:TRAP_HANDLER: 0
; COMPUTE_PGM_RSRC2:TGID_X_EN: 1
; COMPUTE_PGM_RSRC2:TGID_Y_EN: 1
; COMPUTE_PGM_RSRC2:TGID_Z_EN: 1
; COMPUTE_PGM_RSRC2:TIDIG_COMP_CNT: 0
	.section	.text._ZN4vllm25paged_attention_v2_kernelIthLi32ELi16ELi128ELNS_18Fp8KVCacheDataTypeE1ELb0ELi512EEEvPfS2_PT_PKS3_PKT0_S9_ifPKiSB_iPKfiiiSD_SD_iiiii,"axG",@progbits,_ZN4vllm25paged_attention_v2_kernelIthLi32ELi16ELi128ELNS_18Fp8KVCacheDataTypeE1ELb0ELi512EEEvPfS2_PT_PKS3_PKT0_S9_ifPKiSB_iPKfiiiSD_SD_iiiii,comdat
	.protected	_ZN4vllm25paged_attention_v2_kernelIthLi32ELi16ELi128ELNS_18Fp8KVCacheDataTypeE1ELb0ELi512EEEvPfS2_PT_PKS3_PKT0_S9_ifPKiSB_iPKfiiiSD_SD_iiiii ; -- Begin function _ZN4vllm25paged_attention_v2_kernelIthLi32ELi16ELi128ELNS_18Fp8KVCacheDataTypeE1ELb0ELi512EEEvPfS2_PT_PKS3_PKT0_S9_ifPKiSB_iPKfiiiSD_SD_iiiii
	.globl	_ZN4vllm25paged_attention_v2_kernelIthLi32ELi16ELi128ELNS_18Fp8KVCacheDataTypeE1ELb0ELi512EEEvPfS2_PT_PKS3_PKT0_S9_ifPKiSB_iPKfiiiSD_SD_iiiii
	.p2align	8
	.type	_ZN4vllm25paged_attention_v2_kernelIthLi32ELi16ELi128ELNS_18Fp8KVCacheDataTypeE1ELb0ELi512EEEvPfS2_PT_PKS3_PKT0_S9_ifPKiSB_iPKfiiiSD_SD_iiiii,@function
_ZN4vllm25paged_attention_v2_kernelIthLi32ELi16ELi128ELNS_18Fp8KVCacheDataTypeE1ELb0ELi512EEEvPfS2_PT_PKS3_PKT0_S9_ifPKiSB_iPKfiiiSD_SD_iiiii: ; @_ZN4vllm25paged_attention_v2_kernelIthLi32ELi16ELi128ELNS_18Fp8KVCacheDataTypeE1ELb0ELi512EEEvPfS2_PT_PKS3_PKT0_S9_ifPKiSB_iPKfiiiSD_SD_iiiii
; %bb.0:
	s_load_dwordx2 s[0:1], s[4:5], 0x40
	s_mov_b32 s26, s7
	s_ashr_i32 s27, s7, 31
	s_lshl_b64 s[2:3], s[26:27], 2
	s_waitcnt lgkmcnt(0)
	s_add_u32 s0, s0, s2
	s_addc_u32 s1, s1, s3
	s_lshl_b32 s33, s8, 9
	s_load_dword s27, s[0:1], 0x0
	s_waitcnt lgkmcnt(0)
	s_cmp_ge_i32 s33, s27
	s_cbranch_scc1 .LBB290_312
; %bb.1:
	s_clause 0x1
	s_load_dword s9, s[4:5], 0x90
	s_load_dwordx2 s[36:37], s[4:5], 0x30
	s_waitcnt lgkmcnt(0)
	s_abs_i32 s3, s9
	s_abs_i32 s0, s36
	v_cvt_f32_u32_e32 v1, s0
	s_sub_i32 s2, 0, s0
	v_rcp_iflag_f32_e32 v1, v1
	v_mul_f32_e32 v1, 0x4f7ffffe, v1
	v_cvt_u32_f32_e32 v1, v1
	v_readfirstlane_b32 s1, v1
	s_mul_i32 s2, s2, s1
	s_mul_hi_u32 s2, s1, s2
	s_add_i32 s1, s1, s2
	s_xor_b32 s2, s9, s36
	s_mul_hi_u32 s1, s3, s1
	s_ashr_i32 s2, s2, 31
	s_mul_i32 s7, s1, s0
	s_mov_b32 s36, 0
	s_sub_i32 s3, s3, s7
	s_add_i32 s7, s1, 1
	s_sub_i32 s10, s3, s0
	s_cmp_ge_u32 s3, s0
	s_cselect_b32 s1, s7, s1
	s_cselect_b32 s3, s10, s3
	s_add_i32 s7, s1, 1
	s_cmp_ge_u32 s3, s0
	s_cselect_b32 s0, s7, s1
	s_abs_i32 s12, s6
	s_xor_b32 s0, s0, s2
	s_sub_i32 s10, s0, s2
	s_load_dwordx2 s[0:1], s[4:5], 0x50
	s_abs_i32 s2, s10
	v_cvt_f32_u32_e32 v1, s2
	s_sub_i32 s7, 0, s2
	v_rcp_iflag_f32_e32 v1, v1
	v_mul_f32_e32 v1, 0x4f7ffffe, v1
	v_cvt_u32_f32_e32 v1, v1
	v_readfirstlane_b32 s3, v1
	s_mul_i32 s7, s7, s3
	s_mul_hi_u32 s7, s3, s7
	s_add_i32 s3, s3, s7
	s_waitcnt lgkmcnt(0)
	s_cmp_eq_u64 s[0:1], 0
	s_mul_hi_u32 s3, s12, s3
	s_cbranch_scc1 .LBB290_3
; %bb.2:
	s_ashr_i32 s7, s6, 31
	s_lshl_b64 s[14:15], s[6:7], 2
	s_add_u32 s0, s0, s14
	s_addc_u32 s1, s1, s15
	s_load_dword s36, s[0:1], 0x0
.LBB290_3:
	s_load_dwordx4 s[16:19], s[4:5], 0x58
	v_lshrrev_b32_e32 v12, 1, v0
	v_and_b32_e32 v13, 1, v0
	v_lshlrev_b32_e32 v15, 3, v0
	s_ashr_i32 s0, s6, 31
	s_ashr_i32 s1, s10, 31
	s_lshl_b32 s10, s6, 5
	s_mov_b32 s7, exec_lo
	v_cmpx_gt_u32_e32 8, v0
	s_cbranch_execz .LBB290_5
; %bb.4:
	s_load_dwordx2 s[14:15], s[4:5], 0x18
	s_waitcnt lgkmcnt(0)
	s_mul_i32 s20, s16, s26
	v_lshlrev_b32_e32 v3, 3, v12
	s_ashr_i32 s21, s20, 31
	s_lshl_b64 s[20:21], s[20:21], 1
	v_lshl_add_u32 v3, v13, 5, v3
	s_add_u32 s13, s14, s20
	s_addc_u32 s16, s15, s21
	s_ashr_i32 s11, s10, 31
	s_lshl_b64 s[14:15], s[10:11], 1
	s_add_u32 s14, s13, s14
	s_addc_u32 s15, s16, s15
	global_load_dwordx2 v[1:2], v15, s[14:15]
	s_waitcnt vmcnt(0)
	ds_write_b64 v3, v[1:2]
.LBB290_5:
	s_or_b32 exec_lo, exec_lo, s7
	s_add_i32 s7, s27, 15
	s_clause 0x1
	s_load_dwordx2 s[28:29], s[4:5], 0x38
	s_load_dword s13, s[4:5], 0x48
	s_ashr_i32 s11, s7, 31
	s_waitcnt lgkmcnt(0)
	s_lshl_b32 s16, s8, 5
	s_lshr_b32 s11, s11, 28
	s_xor_b32 s0, s0, s1
	s_add_i32 s7, s7, s11
	s_add_i32 s1, s16, 32
	s_ashr_i32 s19, s7, 4
	s_mul_i32 s7, s3, s2
	s_min_i32 s11, s1, s19
	s_sub_i32 s1, s12, s7
	s_add_i32 s7, s3, 1
	s_sub_i32 s12, s1, s2
	s_cmp_ge_u32 s1, s2
	v_lshrrev_b32_e32 v14, 5, v0
	s_cselect_b32 s3, s7, s3
	s_cselect_b32 s1, s12, s1
	s_add_i32 s7, s3, 1
	s_cmp_ge_u32 s1, s2
	v_or_b32_e32 v1, s16, v14
	s_cselect_b32 s1, s7, s3
	v_mbcnt_lo_u32_b32 v16, -1, 0
	s_xor_b32 s1, s1, s0
	s_mul_i32 s30, s13, s26
	s_sub_i32 s1, s1, s0
	v_cmp_gt_i32_e64 s0, s11, v1
	s_ashr_i32 s31, s30, 31
	s_mov_b32 s2, exec_lo
	s_barrier
	buffer_gl0_inv
                                        ; implicit-def: $vgpr4
                                        ; implicit-def: $vgpr18
	v_cmpx_le_i32_e64 s11, v1
	s_xor_b32 s2, exec_lo, s2
; %bb.6:
	v_mov_b32_e32 v4, 0
	v_mbcnt_lo_u32_b32 v16, -1, 0
	v_mov_b32_e32 v18, 32
; %bb.7:
	s_or_saveexec_b32 s38, s2
	s_clause 0x4
	s_load_dwordx4 s[20:23], s[4:5], 0x0
	s_load_dwordx2 s[24:25], s[4:5], 0x10
	s_load_dword s7, s[4:5], 0x98
	s_load_dwordx2 s[34:35], s[4:5], 0x28
	s_load_dwordx4 s[12:15], s[4:5], 0x68
	v_mov_b32_e32 v17, 0xff7fffff
	v_ashrrev_i32_e32 v2, 31, v1
	s_mul_i32 s18, s1, s18
	s_xor_b32 exec_lo, exec_lo, s38
	s_cbranch_execz .LBB290_141
; %bb.8:
	s_load_dwordx2 s[2:3], s[4:5], 0x20
	v_bfe_u32 v3, v0, 1, 4
	v_lshlrev_b32_e32 v9, 4, v14
	s_ashr_i32 s4, s18, 31
	v_lshlrev_b32_e32 v6, 2, v13
	v_lshlrev_b64 v[7:8], 2, v[1:2]
	v_lshlrev_b32_e32 v5, 2, v3
	v_lshlrev_b32_e32 v10, 4, v3
	v_add3_u32 v20, s33, v9, v3
	v_mov_b32_e32 v4, 0
	v_lshlrev_b32_e32 v19, 5, v13
	v_lshl_or_b32 v5, v14, 6, v5
	v_cmp_neq_f32_e64 s1, s36, 0
	v_mov_b32_e32 v17, 0xff7fffff
	v_mov_b32_e32 v18, 32
	v_mov_b32_e32 v22, 0x80
	v_add_nc_u32_e32 v21, 0x60, v5
	v_mov_b32_e32 v23, 0x7f
	v_mov_b32_e32 v24, 7
	;; [unrolled: 1-line block ×3, first 2 shown]
	s_waitcnt lgkmcnt(0)
	s_add_u32 s5, s2, s18
	s_addc_u32 s39, s3, s4
	v_add_co_u32 v3, s5, s5, v10
	v_add_co_ci_u32_e64 v9, null, s39, 0, s5
	s_lshl_b64 s[2:3], s[30:31], 2
	s_sub_i32 s4, 1, s27
	s_add_u32 s5, s28, s2
	v_add_co_u32 v5, s2, v3, v6
	s_addc_u32 s3, s29, s3
	v_add_co_ci_u32_e64 v6, null, 0, v9, s2
	v_add_co_u32 v7, s2, s5, v7
	v_add_co_ci_u32_e64 v8, null, s3, v8, s2
	v_mov_b32_e32 v26, v1
	s_mov_b32 s39, s17
	s_mov_b32 s5, 0
	v_cmp_eq_u32_e32 vcc_lo, 0, v13
	s_branch .LBB290_10
.LBB290_9:                              ;   in Loop: Header=BB290_10 Depth=1
	s_or_b32 exec_lo, exec_lo, s3
	v_add_nc_u32_e32 v26, 4, v26
	v_add_co_u32 v7, s3, v7, 16
	v_add_nc_u32_e32 v20, 64, v20
	v_add_nc_u32_e32 v21, 0x100, v21
	v_cmp_le_i32_e64 s2, s11, v26
	v_add_co_ci_u32_e64 v8, null, 0, v8, s3
	s_or_b32 s5, s2, s5
	s_andn2_b32 exec_lo, exec_lo, s5
	s_cbranch_execz .LBB290_140
.LBB290_10:                             ; =>This Inner Loop Header: Depth=1
	global_load_dword v3, v[7:8], off
	v_mov_b32_e32 v28, 0
	s_waitcnt vmcnt(0) lgkmcnt(0)
	v_mad_i64_i32 v[9:10], null, v3, s39, v[5:6]
	global_load_dword v11, v[9:10], off
	global_load_dword v27, v4, s[12:13]
	s_waitcnt vmcnt(1)
	v_cmp_ne_u16_sdwa s2, v11, v4 src0_sel:BYTE_0 src1_sel:DWORD
	s_and_saveexec_b32 s3, s2
	s_cbranch_execz .LBB290_18
; %bb.11:                               ;   in Loop: Header=BB290_10 Depth=1
	v_cmp_ne_u16_sdwa s2, v11, v22 src0_sel:BYTE_0 src1_sel:DWORD
	v_mov_b32_e32 v28, 0x8000
	s_and_saveexec_b32 s40, s2
	s_cbranch_execz .LBB290_17
; %bb.12:                               ;   in Loop: Header=BB290_10 Depth=1
	v_and_b32_e32 v29, 0x7f, v11
	v_mov_b32_e32 v28, 0x7c01
	s_mov_b32 s41, exec_lo
	v_cmpx_ne_u32_e32 0x7f, v29
	s_cbranch_execz .LBB290_16
; %bb.13:                               ;   in Loop: Header=BB290_10 Depth=1
	v_and_b32_e32 v3, 7, v11
	v_lshrrev_b32_e32 v28, 3, v29
	s_mov_b32 s42, exec_lo
	v_cmpx_gt_u32_e32 8, v29
; %bb.14:                               ;   in Loop: Header=BB290_10 Depth=1
	v_ffbh_u32_e32 v3, v3
	v_min_u32_e32 v3, 32, v3
	v_subrev_nc_u32_e32 v28, 28, v3
	v_lshlrev_b64 v[29:30], v28, v[11:12]
	v_sub_nc_u32_e32 v28, 29, v3
	v_and_b32_e32 v3, 7, v29
; %bb.15:                               ;   in Loop: Header=BB290_10 Depth=1
	s_or_b32 exec_lo, exec_lo, s42
	v_lshlrev_b32_e32 v29, 8, v11
	v_lshl_add_u32 v28, v28, 10, 0x2000
	v_lshlrev_b32_e32 v3, 7, v3
	v_and_b32_e32 v29, 0x8000, v29
	v_and_b32_e32 v28, 0xfc00, v28
	v_or3_b32 v28, v29, v28, v3
.LBB290_16:                             ;   in Loop: Header=BB290_10 Depth=1
	s_or_b32 exec_lo, exec_lo, s41
.LBB290_17:                             ;   in Loop: Header=BB290_10 Depth=1
	s_or_b32 exec_lo, exec_lo, s40
.LBB290_18:                             ;   in Loop: Header=BB290_10 Depth=1
	s_or_b32 exec_lo, exec_lo, s3
	v_lshrrev_b16 v3, 8, v11
	v_mov_b32_e32 v29, 0
	s_mov_b32 s3, exec_lo
	v_cmpx_ne_u16_e32 0, v3
	s_cbranch_execz .LBB290_26
; %bb.19:                               ;   in Loop: Header=BB290_10 Depth=1
	v_bfrev_b32_e32 v29, 1
	s_mov_b32 s40, exec_lo
	v_cmpx_ne_u16_e32 0x80, v3
	s_cbranch_execz .LBB290_25
; %bb.20:                               ;   in Loop: Header=BB290_10 Depth=1
	v_and_b32_sdwa v31, v3, v23 dst_sel:DWORD dst_unused:UNUSED_PAD src0_sel:WORD_0 src1_sel:DWORD
	v_mov_b32_e32 v29, 0x7c010000
	s_mov_b32 s41, exec_lo
	v_cmpx_ne_u32_e32 0x7f, v31
	s_cbranch_execz .LBB290_24
; %bb.21:                               ;   in Loop: Header=BB290_10 Depth=1
	v_and_b32_sdwa v29, v3, v24 dst_sel:DWORD dst_unused:UNUSED_PAD src0_sel:WORD_0 src1_sel:DWORD
	v_lshrrev_b32_e32 v30, 3, v31
	s_mov_b32 s42, exec_lo
	v_cmpx_gt_u32_e32 8, v31
; %bb.22:                               ;   in Loop: Header=BB290_10 Depth=1
	v_ffbh_u32_e32 v29, v29
	v_min_u32_e32 v31, 32, v29
	v_subrev_nc_u32_e32 v29, 28, v31
	v_lshlrev_b64 v[29:30], v29, v[3:4]
	v_sub_nc_u32_e32 v30, 29, v31
	v_and_b32_e32 v29, 7, v29
; %bb.23:                               ;   in Loop: Header=BB290_10 Depth=1
	s_or_b32 exec_lo, exec_lo, s42
	v_lshlrev_b32_sdwa v3, v25, v3 dst_sel:DWORD dst_unused:UNUSED_PAD src0_sel:DWORD src1_sel:WORD_0
	v_lshl_add_u32 v30, v30, 10, 0x2000
	v_lshlrev_b32_e32 v29, 23, v29
	v_and_or_b32 v3, 0x8000, v3, v30
	v_lshl_or_b32 v29, v3, 16, v29
.LBB290_24:                             ;   in Loop: Header=BB290_10 Depth=1
	s_or_b32 exec_lo, exec_lo, s41
.LBB290_25:                             ;   in Loop: Header=BB290_10 Depth=1
	s_or_b32 exec_lo, exec_lo, s40
.LBB290_26:                             ;   in Loop: Header=BB290_10 Depth=1
	s_or_b32 exec_lo, exec_lo, s3
	v_lshrrev_b32_e32 v3, 16, v11
	v_mov_b32_e32 v30, 0
	v_mov_b32_e32 v31, 0
	v_cmp_ne_u16_sdwa s2, v3, v4 src0_sel:BYTE_0 src1_sel:DWORD
	s_and_saveexec_b32 s3, s2
	s_cbranch_execz .LBB290_34
; %bb.27:                               ;   in Loop: Header=BB290_10 Depth=1
	v_cmp_ne_u16_sdwa s2, v3, v22 src0_sel:BYTE_0 src1_sel:DWORD
	v_mov_b32_e32 v31, 0x8000
	s_and_saveexec_b32 s40, s2
	s_cbranch_execz .LBB290_33
; %bb.28:                               ;   in Loop: Header=BB290_10 Depth=1
	v_bfe_u32 v33, v11, 16, 7
	v_mov_b32_e32 v31, 0x7c01
	s_mov_b32 s41, exec_lo
	v_cmpx_ne_u32_e32 0x7f, v33
	s_cbranch_execz .LBB290_32
; %bb.29:                               ;   in Loop: Header=BB290_10 Depth=1
	v_and_b32_e32 v31, 7, v3
	v_lshrrev_b32_e32 v32, 3, v33
	s_mov_b32 s42, exec_lo
	v_cmpx_gt_u32_e32 8, v33
; %bb.30:                               ;   in Loop: Header=BB290_10 Depth=1
	v_ffbh_u32_e32 v31, v31
	v_min_u32_e32 v33, 32, v31
	v_subrev_nc_u32_e32 v31, 28, v33
	v_lshlrev_b64 v[31:32], v31, v[3:4]
	v_sub_nc_u32_e32 v32, 29, v33
	v_and_b32_e32 v31, 7, v31
; %bb.31:                               ;   in Loop: Header=BB290_10 Depth=1
	s_or_b32 exec_lo, exec_lo, s42
	v_lshlrev_b32_e32 v3, 8, v3
	v_lshl_add_u32 v32, v32, 10, 0x2000
	v_lshlrev_b32_e32 v31, 7, v31
	v_and_b32_e32 v3, 0x8000, v3
	v_and_b32_e32 v32, 0xfc00, v32
	v_or3_b32 v31, v3, v32, v31
.LBB290_32:                             ;   in Loop: Header=BB290_10 Depth=1
	s_or_b32 exec_lo, exec_lo, s41
.LBB290_33:                             ;   in Loop: Header=BB290_10 Depth=1
	s_or_b32 exec_lo, exec_lo, s40
.LBB290_34:                             ;   in Loop: Header=BB290_10 Depth=1
	s_or_b32 exec_lo, exec_lo, s3
	s_mov_b32 s3, exec_lo
	v_cmpx_lt_u32_e32 0xffffff, v11
	s_cbranch_execz .LBB290_42
; %bb.35:                               ;   in Loop: Header=BB290_10 Depth=1
	v_lshrrev_b32_e32 v3, 24, v11
	v_bfrev_b32_e32 v30, 1
	s_mov_b32 s40, exec_lo
	v_cmpx_ne_u32_e32 0x80, v3
	s_cbranch_execz .LBB290_41
; %bb.36:                               ;   in Loop: Header=BB290_10 Depth=1
	v_and_b32_e32 v32, 0x7f, v3
	v_mov_b32_e32 v30, 0x7c010000
	s_mov_b32 s41, exec_lo
	v_cmpx_ne_u32_e32 0x7f, v32
	s_cbranch_execz .LBB290_40
; %bb.37:                               ;   in Loop: Header=BB290_10 Depth=1
	v_and_b32_e32 v11, 7, v3
	v_lshrrev_b32_e32 v30, 3, v32
	s_mov_b32 s42, exec_lo
	v_cmpx_gt_u32_e32 8, v32
; %bb.38:                               ;   in Loop: Header=BB290_10 Depth=1
	v_ffbh_u32_e32 v11, v11
	v_min_u32_e32 v11, 32, v11
	v_subrev_nc_u32_e32 v30, 28, v11
	v_lshlrev_b64 v[32:33], v30, v[3:4]
	v_sub_nc_u32_e32 v30, 29, v11
	v_and_b32_e32 v11, 7, v32
; %bb.39:                               ;   in Loop: Header=BB290_10 Depth=1
	s_or_b32 exec_lo, exec_lo, s42
	v_lshlrev_b32_e32 v3, 8, v3
	v_lshl_add_u32 v30, v30, 10, 0x2000
	v_lshlrev_b32_e32 v11, 23, v11
	v_and_or_b32 v3, 0x8000, v3, v30
	v_lshl_or_b32 v30, v3, 16, v11
.LBB290_40:                             ;   in Loop: Header=BB290_10 Depth=1
	s_or_b32 exec_lo, exec_lo, s41
.LBB290_41:                             ;   in Loop: Header=BB290_10 Depth=1
	s_or_b32 exec_lo, exec_lo, s40
.LBB290_42:                             ;   in Loop: Header=BB290_10 Depth=1
	s_or_b32 exec_lo, exec_lo, s3
	global_load_dword v11, v[9:10], off offset:8
	v_mov_b32_e32 v32, 0
	v_mov_b32_e32 v33, 0
	s_waitcnt vmcnt(0)
	v_cmp_ne_u16_sdwa s2, v11, v4 src0_sel:BYTE_0 src1_sel:DWORD
	s_and_saveexec_b32 s3, s2
	s_cbranch_execz .LBB290_50
; %bb.43:                               ;   in Loop: Header=BB290_10 Depth=1
	v_cmp_ne_u16_sdwa s2, v11, v22 src0_sel:BYTE_0 src1_sel:DWORD
	v_mov_b32_e32 v33, 0x8000
	s_and_saveexec_b32 s40, s2
	s_cbranch_execz .LBB290_49
; %bb.44:                               ;   in Loop: Header=BB290_10 Depth=1
	v_and_b32_e32 v34, 0x7f, v11
	v_mov_b32_e32 v33, 0x7c01
	s_mov_b32 s41, exec_lo
	v_cmpx_ne_u32_e32 0x7f, v34
	s_cbranch_execz .LBB290_48
; %bb.45:                               ;   in Loop: Header=BB290_10 Depth=1
	v_and_b32_e32 v3, 7, v11
	v_lshrrev_b32_e32 v33, 3, v34
	s_mov_b32 s42, exec_lo
	v_cmpx_gt_u32_e32 8, v34
; %bb.46:                               ;   in Loop: Header=BB290_10 Depth=1
	v_ffbh_u32_e32 v3, v3
	v_min_u32_e32 v3, 32, v3
	v_subrev_nc_u32_e32 v33, 28, v3
	v_lshlrev_b64 v[34:35], v33, v[11:12]
	v_sub_nc_u32_e32 v33, 29, v3
	v_and_b32_e32 v3, 7, v34
; %bb.47:                               ;   in Loop: Header=BB290_10 Depth=1
	s_or_b32 exec_lo, exec_lo, s42
	v_lshlrev_b32_e32 v34, 8, v11
	v_lshl_add_u32 v33, v33, 10, 0x2000
	v_lshlrev_b32_e32 v3, 7, v3
	v_and_b32_e32 v34, 0x8000, v34
	v_and_b32_e32 v33, 0xfc00, v33
	v_or3_b32 v33, v34, v33, v3
.LBB290_48:                             ;   in Loop: Header=BB290_10 Depth=1
	s_or_b32 exec_lo, exec_lo, s41
.LBB290_49:                             ;   in Loop: Header=BB290_10 Depth=1
	s_or_b32 exec_lo, exec_lo, s40
.LBB290_50:                             ;   in Loop: Header=BB290_10 Depth=1
	s_or_b32 exec_lo, exec_lo, s3
	v_lshrrev_b16 v3, 8, v11
	s_mov_b32 s3, exec_lo
	v_cmpx_ne_u16_e32 0, v3
	s_cbranch_execz .LBB290_58
; %bb.51:                               ;   in Loop: Header=BB290_10 Depth=1
	v_bfrev_b32_e32 v32, 1
	s_mov_b32 s40, exec_lo
	v_cmpx_ne_u16_e32 0x80, v3
	s_cbranch_execz .LBB290_57
; %bb.52:                               ;   in Loop: Header=BB290_10 Depth=1
	v_and_b32_sdwa v35, v3, v23 dst_sel:DWORD dst_unused:UNUSED_PAD src0_sel:WORD_0 src1_sel:DWORD
	v_mov_b32_e32 v32, 0x7c010000
	s_mov_b32 s41, exec_lo
	v_cmpx_ne_u32_e32 0x7f, v35
	s_cbranch_execz .LBB290_56
; %bb.53:                               ;   in Loop: Header=BB290_10 Depth=1
	v_and_b32_sdwa v32, v3, v24 dst_sel:DWORD dst_unused:UNUSED_PAD src0_sel:WORD_0 src1_sel:DWORD
	v_lshrrev_b32_e32 v34, 3, v35
	s_mov_b32 s42, exec_lo
	v_cmpx_gt_u32_e32 8, v35
; %bb.54:                               ;   in Loop: Header=BB290_10 Depth=1
	v_ffbh_u32_e32 v32, v32
	v_min_u32_e32 v32, 32, v32
	v_subrev_nc_u32_e32 v34, 28, v32
	v_lshlrev_b64 v[35:36], v34, v[3:4]
	v_sub_nc_u32_e32 v34, 29, v32
	v_and_b32_e32 v32, 7, v35
; %bb.55:                               ;   in Loop: Header=BB290_10 Depth=1
	s_or_b32 exec_lo, exec_lo, s42
	v_lshlrev_b32_sdwa v3, v25, v3 dst_sel:DWORD dst_unused:UNUSED_PAD src0_sel:DWORD src1_sel:WORD_0
	v_lshl_add_u32 v34, v34, 10, 0x2000
	v_lshlrev_b32_e32 v32, 23, v32
	v_and_or_b32 v3, 0x8000, v3, v34
	v_lshl_or_b32 v32, v3, 16, v32
.LBB290_56:                             ;   in Loop: Header=BB290_10 Depth=1
	s_or_b32 exec_lo, exec_lo, s41
.LBB290_57:                             ;   in Loop: Header=BB290_10 Depth=1
	s_or_b32 exec_lo, exec_lo, s40
.LBB290_58:                             ;   in Loop: Header=BB290_10 Depth=1
	s_or_b32 exec_lo, exec_lo, s3
	v_lshrrev_b32_e32 v3, 16, v11
	v_mov_b32_e32 v34, 0
	v_mov_b32_e32 v35, 0
	v_cmp_ne_u16_sdwa s2, v3, v4 src0_sel:BYTE_0 src1_sel:DWORD
	s_and_saveexec_b32 s3, s2
	s_cbranch_execz .LBB290_66
; %bb.59:                               ;   in Loop: Header=BB290_10 Depth=1
	v_cmp_ne_u16_sdwa s2, v3, v22 src0_sel:BYTE_0 src1_sel:DWORD
	v_mov_b32_e32 v35, 0x8000
	s_and_saveexec_b32 s40, s2
	s_cbranch_execz .LBB290_65
; %bb.60:                               ;   in Loop: Header=BB290_10 Depth=1
	v_bfe_u32 v37, v11, 16, 7
	v_mov_b32_e32 v35, 0x7c01
	s_mov_b32 s41, exec_lo
	v_cmpx_ne_u32_e32 0x7f, v37
	s_cbranch_execz .LBB290_64
; %bb.61:                               ;   in Loop: Header=BB290_10 Depth=1
	v_and_b32_e32 v35, 7, v3
	v_lshrrev_b32_e32 v36, 3, v37
	s_mov_b32 s42, exec_lo
	v_cmpx_gt_u32_e32 8, v37
; %bb.62:                               ;   in Loop: Header=BB290_10 Depth=1
	v_ffbh_u32_e32 v35, v35
	v_min_u32_e32 v37, 32, v35
	v_subrev_nc_u32_e32 v35, 28, v37
	v_lshlrev_b64 v[35:36], v35, v[3:4]
	v_sub_nc_u32_e32 v36, 29, v37
	v_and_b32_e32 v35, 7, v35
; %bb.63:                               ;   in Loop: Header=BB290_10 Depth=1
	s_or_b32 exec_lo, exec_lo, s42
	v_lshlrev_b32_e32 v3, 8, v3
	v_lshl_add_u32 v36, v36, 10, 0x2000
	v_lshlrev_b32_e32 v35, 7, v35
	v_and_b32_e32 v3, 0x8000, v3
	v_and_b32_e32 v36, 0xfc00, v36
	v_or3_b32 v35, v3, v36, v35
.LBB290_64:                             ;   in Loop: Header=BB290_10 Depth=1
	s_or_b32 exec_lo, exec_lo, s41
.LBB290_65:                             ;   in Loop: Header=BB290_10 Depth=1
	s_or_b32 exec_lo, exec_lo, s40
.LBB290_66:                             ;   in Loop: Header=BB290_10 Depth=1
	s_or_b32 exec_lo, exec_lo, s3
	s_mov_b32 s3, exec_lo
	v_cmpx_lt_u32_e32 0xffffff, v11
	s_cbranch_execz .LBB290_74
; %bb.67:                               ;   in Loop: Header=BB290_10 Depth=1
	v_lshrrev_b32_e32 v3, 24, v11
	v_bfrev_b32_e32 v34, 1
	s_mov_b32 s40, exec_lo
	v_cmpx_ne_u32_e32 0x80, v3
	s_cbranch_execz .LBB290_73
; %bb.68:                               ;   in Loop: Header=BB290_10 Depth=1
	v_and_b32_e32 v36, 0x7f, v3
	v_mov_b32_e32 v34, 0x7c010000
	s_mov_b32 s41, exec_lo
	v_cmpx_ne_u32_e32 0x7f, v36
	s_cbranch_execz .LBB290_72
; %bb.69:                               ;   in Loop: Header=BB290_10 Depth=1
	v_and_b32_e32 v11, 7, v3
	v_lshrrev_b32_e32 v34, 3, v36
	s_mov_b32 s42, exec_lo
	v_cmpx_gt_u32_e32 8, v36
; %bb.70:                               ;   in Loop: Header=BB290_10 Depth=1
	v_ffbh_u32_e32 v11, v11
	v_min_u32_e32 v11, 32, v11
	v_subrev_nc_u32_e32 v34, 28, v11
	v_lshlrev_b64 v[36:37], v34, v[3:4]
	v_sub_nc_u32_e32 v34, 29, v11
	v_and_b32_e32 v11, 7, v36
; %bb.71:                               ;   in Loop: Header=BB290_10 Depth=1
	s_or_b32 exec_lo, exec_lo, s42
	v_lshlrev_b32_e32 v3, 8, v3
	v_lshl_add_u32 v34, v34, 10, 0x2000
	v_lshlrev_b32_e32 v11, 23, v11
	v_and_or_b32 v3, 0x8000, v3, v34
	v_lshl_or_b32 v34, v3, 16, v11
.LBB290_72:                             ;   in Loop: Header=BB290_10 Depth=1
	s_or_b32 exec_lo, exec_lo, s41
.LBB290_73:                             ;   in Loop: Header=BB290_10 Depth=1
	s_or_b32 exec_lo, exec_lo, s40
.LBB290_74:                             ;   in Loop: Header=BB290_10 Depth=1
	s_or_b32 exec_lo, exec_lo, s3
	global_load_dword v11, v[9:10], off offset:256
	v_mov_b32_e32 v36, 0
	v_mov_b32_e32 v37, 0
	s_waitcnt vmcnt(0)
	v_cmp_ne_u16_sdwa s2, v11, v4 src0_sel:BYTE_0 src1_sel:DWORD
	s_and_saveexec_b32 s3, s2
	s_cbranch_execz .LBB290_82
; %bb.75:                               ;   in Loop: Header=BB290_10 Depth=1
	v_cmp_ne_u16_sdwa s2, v11, v22 src0_sel:BYTE_0 src1_sel:DWORD
	v_mov_b32_e32 v37, 0x8000
	s_and_saveexec_b32 s40, s2
	s_cbranch_execz .LBB290_81
; %bb.76:                               ;   in Loop: Header=BB290_10 Depth=1
	v_and_b32_e32 v38, 0x7f, v11
	v_mov_b32_e32 v37, 0x7c01
	s_mov_b32 s41, exec_lo
	v_cmpx_ne_u32_e32 0x7f, v38
	s_cbranch_execz .LBB290_80
; %bb.77:                               ;   in Loop: Header=BB290_10 Depth=1
	v_and_b32_e32 v3, 7, v11
	v_lshrrev_b32_e32 v37, 3, v38
	s_mov_b32 s42, exec_lo
	v_cmpx_gt_u32_e32 8, v38
; %bb.78:                               ;   in Loop: Header=BB290_10 Depth=1
	v_ffbh_u32_e32 v3, v3
	v_min_u32_e32 v3, 32, v3
	v_subrev_nc_u32_e32 v37, 28, v3
	v_lshlrev_b64 v[38:39], v37, v[11:12]
	v_sub_nc_u32_e32 v37, 29, v3
	v_and_b32_e32 v3, 7, v38
; %bb.79:                               ;   in Loop: Header=BB290_10 Depth=1
	s_or_b32 exec_lo, exec_lo, s42
	v_lshlrev_b32_e32 v38, 8, v11
	v_lshl_add_u32 v37, v37, 10, 0x2000
	v_lshlrev_b32_e32 v3, 7, v3
	v_and_b32_e32 v38, 0x8000, v38
	v_and_b32_e32 v37, 0xfc00, v37
	v_or3_b32 v37, v38, v37, v3
.LBB290_80:                             ;   in Loop: Header=BB290_10 Depth=1
	s_or_b32 exec_lo, exec_lo, s41
.LBB290_81:                             ;   in Loop: Header=BB290_10 Depth=1
	s_or_b32 exec_lo, exec_lo, s40
.LBB290_82:                             ;   in Loop: Header=BB290_10 Depth=1
	s_or_b32 exec_lo, exec_lo, s3
	v_lshrrev_b16 v3, 8, v11
	s_mov_b32 s3, exec_lo
	v_cmpx_ne_u16_e32 0, v3
	s_cbranch_execz .LBB290_90
; %bb.83:                               ;   in Loop: Header=BB290_10 Depth=1
	v_bfrev_b32_e32 v36, 1
	s_mov_b32 s40, exec_lo
	v_cmpx_ne_u16_e32 0x80, v3
	s_cbranch_execz .LBB290_89
; %bb.84:                               ;   in Loop: Header=BB290_10 Depth=1
	v_and_b32_sdwa v39, v3, v23 dst_sel:DWORD dst_unused:UNUSED_PAD src0_sel:WORD_0 src1_sel:DWORD
	v_mov_b32_e32 v36, 0x7c010000
	s_mov_b32 s41, exec_lo
	v_cmpx_ne_u32_e32 0x7f, v39
	s_cbranch_execz .LBB290_88
; %bb.85:                               ;   in Loop: Header=BB290_10 Depth=1
	v_and_b32_sdwa v36, v3, v24 dst_sel:DWORD dst_unused:UNUSED_PAD src0_sel:WORD_0 src1_sel:DWORD
	v_lshrrev_b32_e32 v38, 3, v39
	s_mov_b32 s42, exec_lo
	v_cmpx_gt_u32_e32 8, v39
; %bb.86:                               ;   in Loop: Header=BB290_10 Depth=1
	v_ffbh_u32_e32 v36, v36
	v_min_u32_e32 v36, 32, v36
	v_subrev_nc_u32_e32 v38, 28, v36
	v_lshlrev_b64 v[39:40], v38, v[3:4]
	v_sub_nc_u32_e32 v38, 29, v36
	v_and_b32_e32 v36, 7, v39
; %bb.87:                               ;   in Loop: Header=BB290_10 Depth=1
	s_or_b32 exec_lo, exec_lo, s42
	v_lshlrev_b32_sdwa v3, v25, v3 dst_sel:DWORD dst_unused:UNUSED_PAD src0_sel:DWORD src1_sel:WORD_0
	v_lshl_add_u32 v38, v38, 10, 0x2000
	v_lshlrev_b32_e32 v36, 23, v36
	v_and_or_b32 v3, 0x8000, v3, v38
	v_lshl_or_b32 v36, v3, 16, v36
.LBB290_88:                             ;   in Loop: Header=BB290_10 Depth=1
	s_or_b32 exec_lo, exec_lo, s41
.LBB290_89:                             ;   in Loop: Header=BB290_10 Depth=1
	s_or_b32 exec_lo, exec_lo, s40
.LBB290_90:                             ;   in Loop: Header=BB290_10 Depth=1
	s_or_b32 exec_lo, exec_lo, s3
	v_lshrrev_b32_e32 v3, 16, v11
	v_mov_b32_e32 v38, 0
	v_mov_b32_e32 v39, 0
	v_cmp_ne_u16_sdwa s2, v3, v4 src0_sel:BYTE_0 src1_sel:DWORD
	s_and_saveexec_b32 s3, s2
	s_cbranch_execz .LBB290_98
; %bb.91:                               ;   in Loop: Header=BB290_10 Depth=1
	v_cmp_ne_u16_sdwa s2, v3, v22 src0_sel:BYTE_0 src1_sel:DWORD
	v_mov_b32_e32 v39, 0x8000
	s_and_saveexec_b32 s40, s2
	s_cbranch_execz .LBB290_97
; %bb.92:                               ;   in Loop: Header=BB290_10 Depth=1
	v_bfe_u32 v41, v11, 16, 7
	v_mov_b32_e32 v39, 0x7c01
	s_mov_b32 s41, exec_lo
	v_cmpx_ne_u32_e32 0x7f, v41
	s_cbranch_execz .LBB290_96
; %bb.93:                               ;   in Loop: Header=BB290_10 Depth=1
	v_and_b32_e32 v39, 7, v3
	v_lshrrev_b32_e32 v40, 3, v41
	s_mov_b32 s42, exec_lo
	v_cmpx_gt_u32_e32 8, v41
; %bb.94:                               ;   in Loop: Header=BB290_10 Depth=1
	v_ffbh_u32_e32 v39, v39
	v_min_u32_e32 v41, 32, v39
	v_subrev_nc_u32_e32 v39, 28, v41
	v_lshlrev_b64 v[39:40], v39, v[3:4]
	v_sub_nc_u32_e32 v40, 29, v41
	v_and_b32_e32 v39, 7, v39
; %bb.95:                               ;   in Loop: Header=BB290_10 Depth=1
	s_or_b32 exec_lo, exec_lo, s42
	v_lshlrev_b32_e32 v3, 8, v3
	v_lshl_add_u32 v40, v40, 10, 0x2000
	v_lshlrev_b32_e32 v39, 7, v39
	v_and_b32_e32 v3, 0x8000, v3
	v_and_b32_e32 v40, 0xfc00, v40
	v_or3_b32 v39, v3, v40, v39
.LBB290_96:                             ;   in Loop: Header=BB290_10 Depth=1
	s_or_b32 exec_lo, exec_lo, s41
.LBB290_97:                             ;   in Loop: Header=BB290_10 Depth=1
	s_or_b32 exec_lo, exec_lo, s40
.LBB290_98:                             ;   in Loop: Header=BB290_10 Depth=1
	s_or_b32 exec_lo, exec_lo, s3
	s_mov_b32 s3, exec_lo
	v_cmpx_lt_u32_e32 0xffffff, v11
	s_cbranch_execz .LBB290_106
; %bb.99:                               ;   in Loop: Header=BB290_10 Depth=1
	v_lshrrev_b32_e32 v3, 24, v11
	v_bfrev_b32_e32 v38, 1
	s_mov_b32 s40, exec_lo
	v_cmpx_ne_u32_e32 0x80, v3
	s_cbranch_execz .LBB290_105
; %bb.100:                              ;   in Loop: Header=BB290_10 Depth=1
	v_and_b32_e32 v40, 0x7f, v3
	v_mov_b32_e32 v38, 0x7c010000
	s_mov_b32 s41, exec_lo
	v_cmpx_ne_u32_e32 0x7f, v40
	s_cbranch_execz .LBB290_104
; %bb.101:                              ;   in Loop: Header=BB290_10 Depth=1
	v_and_b32_e32 v11, 7, v3
	v_lshrrev_b32_e32 v38, 3, v40
	s_mov_b32 s42, exec_lo
	v_cmpx_gt_u32_e32 8, v40
; %bb.102:                              ;   in Loop: Header=BB290_10 Depth=1
	v_ffbh_u32_e32 v11, v11
	v_min_u32_e32 v11, 32, v11
	v_subrev_nc_u32_e32 v38, 28, v11
	v_lshlrev_b64 v[40:41], v38, v[3:4]
	v_sub_nc_u32_e32 v38, 29, v11
	v_and_b32_e32 v11, 7, v40
; %bb.103:                              ;   in Loop: Header=BB290_10 Depth=1
	s_or_b32 exec_lo, exec_lo, s42
	v_lshlrev_b32_e32 v3, 8, v3
	v_lshl_add_u32 v38, v38, 10, 0x2000
	v_lshlrev_b32_e32 v11, 23, v11
	v_and_or_b32 v3, 0x8000, v3, v38
	v_lshl_or_b32 v38, v3, 16, v11
.LBB290_104:                            ;   in Loop: Header=BB290_10 Depth=1
	s_or_b32 exec_lo, exec_lo, s41
.LBB290_105:                            ;   in Loop: Header=BB290_10 Depth=1
	s_or_b32 exec_lo, exec_lo, s40
.LBB290_106:                            ;   in Loop: Header=BB290_10 Depth=1
	s_or_b32 exec_lo, exec_lo, s3
	global_load_dword v9, v[9:10], off offset:264
	v_mov_b32_e32 v10, 0
	v_mov_b32_e32 v11, 0
	s_waitcnt vmcnt(0)
	v_cmp_ne_u16_sdwa s2, v9, v4 src0_sel:BYTE_0 src1_sel:DWORD
	s_and_saveexec_b32 s3, s2
	s_cbranch_execz .LBB290_114
; %bb.107:                              ;   in Loop: Header=BB290_10 Depth=1
	v_cmp_ne_u16_sdwa s2, v9, v22 src0_sel:BYTE_0 src1_sel:DWORD
	v_mov_b32_e32 v11, 0x8000
	s_and_saveexec_b32 s40, s2
	s_cbranch_execz .LBB290_113
; %bb.108:                              ;   in Loop: Header=BB290_10 Depth=1
	v_and_b32_e32 v40, 0x7f, v9
	v_mov_b32_e32 v11, 0x7c01
	s_mov_b32 s41, exec_lo
	v_cmpx_ne_u32_e32 0x7f, v40
	s_cbranch_execz .LBB290_112
; %bb.109:                              ;   in Loop: Header=BB290_10 Depth=1
	v_and_b32_e32 v3, 7, v9
	v_lshrrev_b32_e32 v11, 3, v40
	s_mov_b32 s42, exec_lo
	v_cmpx_gt_u32_e32 8, v40
; %bb.110:                              ;   in Loop: Header=BB290_10 Depth=1
	v_ffbh_u32_e32 v3, v3
	v_min_u32_e32 v3, 32, v3
	v_subrev_nc_u32_e32 v11, 28, v3
	v_lshlrev_b64 v[40:41], v11, v[9:10]
	v_sub_nc_u32_e32 v11, 29, v3
	v_and_b32_e32 v3, 7, v40
; %bb.111:                              ;   in Loop: Header=BB290_10 Depth=1
	s_or_b32 exec_lo, exec_lo, s42
	v_lshlrev_b32_e32 v40, 8, v9
	v_lshl_add_u32 v11, v11, 10, 0x2000
	v_lshlrev_b32_e32 v3, 7, v3
	v_and_b32_e32 v40, 0x8000, v40
	v_and_b32_e32 v11, 0xfc00, v11
	v_or3_b32 v11, v40, v11, v3
.LBB290_112:                            ;   in Loop: Header=BB290_10 Depth=1
	s_or_b32 exec_lo, exec_lo, s41
.LBB290_113:                            ;   in Loop: Header=BB290_10 Depth=1
	s_or_b32 exec_lo, exec_lo, s40
.LBB290_114:                            ;   in Loop: Header=BB290_10 Depth=1
	s_or_b32 exec_lo, exec_lo, s3
	v_lshrrev_b16 v3, 8, v9
	s_mov_b32 s3, exec_lo
	v_cmpx_ne_u16_e32 0, v3
	s_cbranch_execz .LBB290_122
; %bb.115:                              ;   in Loop: Header=BB290_10 Depth=1
	v_bfrev_b32_e32 v10, 1
	s_mov_b32 s40, exec_lo
	v_cmpx_ne_u16_e32 0x80, v3
	s_cbranch_execz .LBB290_121
; %bb.116:                              ;   in Loop: Header=BB290_10 Depth=1
	v_and_b32_sdwa v41, v3, v23 dst_sel:DWORD dst_unused:UNUSED_PAD src0_sel:WORD_0 src1_sel:DWORD
	v_mov_b32_e32 v10, 0x7c010000
	s_mov_b32 s41, exec_lo
	v_cmpx_ne_u32_e32 0x7f, v41
	s_cbranch_execz .LBB290_120
; %bb.117:                              ;   in Loop: Header=BB290_10 Depth=1
	v_and_b32_sdwa v10, v3, v24 dst_sel:DWORD dst_unused:UNUSED_PAD src0_sel:WORD_0 src1_sel:DWORD
	v_lshrrev_b32_e32 v40, 3, v41
	s_mov_b32 s42, exec_lo
	v_cmpx_gt_u32_e32 8, v41
; %bb.118:                              ;   in Loop: Header=BB290_10 Depth=1
	v_ffbh_u32_e32 v10, v10
	v_min_u32_e32 v10, 32, v10
	v_subrev_nc_u32_e32 v40, 28, v10
	v_lshlrev_b64 v[41:42], v40, v[3:4]
	v_sub_nc_u32_e32 v40, 29, v10
	v_and_b32_e32 v10, 7, v41
; %bb.119:                              ;   in Loop: Header=BB290_10 Depth=1
	s_or_b32 exec_lo, exec_lo, s42
	v_lshlrev_b32_sdwa v3, v25, v3 dst_sel:DWORD dst_unused:UNUSED_PAD src0_sel:DWORD src1_sel:WORD_0
	v_lshl_add_u32 v40, v40, 10, 0x2000
	v_lshlrev_b32_e32 v10, 23, v10
	v_and_or_b32 v3, 0x8000, v3, v40
	v_lshl_or_b32 v10, v3, 16, v10
.LBB290_120:                            ;   in Loop: Header=BB290_10 Depth=1
	s_or_b32 exec_lo, exec_lo, s41
.LBB290_121:                            ;   in Loop: Header=BB290_10 Depth=1
	s_or_b32 exec_lo, exec_lo, s40
.LBB290_122:                            ;   in Loop: Header=BB290_10 Depth=1
	s_or_b32 exec_lo, exec_lo, s3
	v_lshrrev_b32_e32 v3, 16, v9
	v_mov_b32_e32 v40, 0
	v_mov_b32_e32 v41, 0
	v_cmp_ne_u16_sdwa s2, v3, v4 src0_sel:BYTE_0 src1_sel:DWORD
	s_and_saveexec_b32 s3, s2
	s_cbranch_execz .LBB290_130
; %bb.123:                              ;   in Loop: Header=BB290_10 Depth=1
	v_cmp_ne_u16_sdwa s2, v3, v22 src0_sel:BYTE_0 src1_sel:DWORD
	v_mov_b32_e32 v41, 0x8000
	s_and_saveexec_b32 s40, s2
	s_cbranch_execz .LBB290_129
; %bb.124:                              ;   in Loop: Header=BB290_10 Depth=1
	v_bfe_u32 v43, v9, 16, 7
	v_mov_b32_e32 v41, 0x7c01
	s_mov_b32 s41, exec_lo
	v_cmpx_ne_u32_e32 0x7f, v43
	s_cbranch_execz .LBB290_128
; %bb.125:                              ;   in Loop: Header=BB290_10 Depth=1
	v_and_b32_e32 v41, 7, v3
	v_lshrrev_b32_e32 v42, 3, v43
	s_mov_b32 s42, exec_lo
	v_cmpx_gt_u32_e32 8, v43
; %bb.126:                              ;   in Loop: Header=BB290_10 Depth=1
	v_ffbh_u32_e32 v41, v41
	v_min_u32_e32 v43, 32, v41
	v_subrev_nc_u32_e32 v41, 28, v43
	v_lshlrev_b64 v[41:42], v41, v[3:4]
	v_sub_nc_u32_e32 v42, 29, v43
	v_and_b32_e32 v41, 7, v41
; %bb.127:                              ;   in Loop: Header=BB290_10 Depth=1
	s_or_b32 exec_lo, exec_lo, s42
	v_lshlrev_b32_e32 v3, 8, v3
	v_lshl_add_u32 v42, v42, 10, 0x2000
	v_lshlrev_b32_e32 v41, 7, v41
	v_and_b32_e32 v3, 0x8000, v3
	v_and_b32_e32 v42, 0xfc00, v42
	v_or3_b32 v41, v3, v42, v41
.LBB290_128:                            ;   in Loop: Header=BB290_10 Depth=1
	s_or_b32 exec_lo, exec_lo, s41
.LBB290_129:                            ;   in Loop: Header=BB290_10 Depth=1
	s_or_b32 exec_lo, exec_lo, s40
.LBB290_130:                            ;   in Loop: Header=BB290_10 Depth=1
	s_or_b32 exec_lo, exec_lo, s3
	s_mov_b32 s3, exec_lo
	v_cmpx_lt_u32_e32 0xffffff, v9
	s_cbranch_execz .LBB290_138
; %bb.131:                              ;   in Loop: Header=BB290_10 Depth=1
	v_lshrrev_b32_e32 v3, 24, v9
	v_bfrev_b32_e32 v40, 1
	s_mov_b32 s40, exec_lo
	v_cmpx_ne_u32_e32 0x80, v3
	s_cbranch_execz .LBB290_137
; %bb.132:                              ;   in Loop: Header=BB290_10 Depth=1
	v_and_b32_e32 v42, 0x7f, v3
	v_mov_b32_e32 v40, 0x7c010000
	s_mov_b32 s41, exec_lo
	v_cmpx_ne_u32_e32 0x7f, v42
	s_cbranch_execz .LBB290_136
; %bb.133:                              ;   in Loop: Header=BB290_10 Depth=1
	v_and_b32_e32 v9, 7, v3
	v_lshrrev_b32_e32 v40, 3, v42
	s_mov_b32 s42, exec_lo
	v_cmpx_gt_u32_e32 8, v42
; %bb.134:                              ;   in Loop: Header=BB290_10 Depth=1
	v_ffbh_u32_e32 v9, v9
	v_min_u32_e32 v9, 32, v9
	v_subrev_nc_u32_e32 v40, 28, v9
	v_lshlrev_b64 v[42:43], v40, v[3:4]
	v_sub_nc_u32_e32 v40, 29, v9
	v_and_b32_e32 v9, 7, v42
; %bb.135:                              ;   in Loop: Header=BB290_10 Depth=1
	s_or_b32 exec_lo, exec_lo, s42
	v_lshlrev_b32_e32 v3, 8, v3
	v_lshl_add_u32 v40, v40, 10, 0x2000
	v_lshlrev_b32_e32 v9, 23, v9
	v_and_or_b32 v3, 0x8000, v3, v40
	v_lshl_or_b32 v40, v3, 16, v9
.LBB290_136:                            ;   in Loop: Header=BB290_10 Depth=1
	s_or_b32 exec_lo, exec_lo, s41
.LBB290_137:                            ;   in Loop: Header=BB290_10 Depth=1
	s_or_b32 exec_lo, exec_lo, s40
.LBB290_138:                            ;   in Loop: Header=BB290_10 Depth=1
	s_or_b32 exec_lo, exec_lo, s3
	ds_read_b64 v[42:43], v19
	v_or_b32_e32 v3, v29, v28
	v_or_b32_e32 v9, v30, v31
	v_fma_mixlo_f16 v28, v27, v29, 0 op_sel:[0,1,0] op_sel_hi:[0,1,0]
	v_fma_mixlo_f16 v29, v27, v30, 0 op_sel:[0,1,0] op_sel_hi:[0,1,0]
	v_or_b32_e32 v11, v10, v11
	v_fma_mixlo_f16 v3, v27, v3, 0 op_sel_hi:[0,1,0]
	v_fma_mixlo_f16 v9, v27, v9, 0 op_sel_hi:[0,1,0]
	v_and_b32_e32 v28, 0xffff, v28
	v_and_b32_e32 v29, 0xffff, v29
	v_or_b32_e32 v41, v40, v41
	v_and_b32_e32 v31, 0xffff, v3
	v_and_b32_e32 v9, 0xffff, v9
	v_fma_mixlo_f16 v11, v27, v11, 0 op_sel_hi:[0,1,0]
	v_fma_mixlo_f16 v40, v27, v40, 0 op_sel:[0,1,0] op_sel_hi:[0,1,0]
	v_and_b32_e32 v40, 0xffff, v40
	s_waitcnt lgkmcnt(0)
	v_and_b32_e32 v3, 0xffff, v42
	v_lshrrev_b32_e32 v30, 16, v42
	v_lshrrev_b32_e32 v44, 16, v43
	v_and_b32_e32 v43, 0xffff, v43
	;;#ASMSTART
	v_cvt_f32_f16 v3, v3;
	;;#ASMEND
	;;#ASMSTART
	v_cvt_f32_f16 v30, v30;
	;;#ASMEND
	;; [unrolled: 3-line block ×8, first 2 shown]
	ds_read_b64 v[28:29], v19 offset:8
	v_or_b32_e32 v9, v32, v33
	v_or_b32_e32 v33, v34, v35
	v_fma_mixlo_f16 v32, v27, v32, 0 op_sel:[0,1,0] op_sel_hi:[0,1,0]
	v_fma_mixlo_f16 v34, v27, v34, 0 op_sel:[0,1,0] op_sel_hi:[0,1,0]
	v_fma_mixlo_f16 v9, v27, v9, 0 op_sel_hi:[0,1,0]
	v_fma_mixlo_f16 v33, v27, v33, 0 op_sel_hi:[0,1,0]
	v_and_b32_e32 v35, 0xffff, v32
	v_and_b32_e32 v50, 0xffff, v34
	;; [unrolled: 1-line block ×4, first 2 shown]
	s_waitcnt lgkmcnt(0)
	v_and_b32_e32 v32, 0xffff, v28
	v_lshrrev_b32_e32 v28, 16, v28
	v_lshrrev_b32_e32 v48, 16, v29
	v_and_b32_e32 v29, 0xffff, v29
	;;#ASMSTART
	v_cvt_f32_f16 v32, v32;
	;;#ASMEND
	;;#ASMSTART
	v_cvt_f32_f16 v33, v28;
	;;#ASMEND
	;; [unrolled: 3-line block ×8, first 2 shown]
	ds_read_b64 v[28:29], v19 offset:16
	v_or_b32_e32 v9, v36, v37
	v_or_b32_e32 v37, v38, v39
	v_fma_mixlo_f16 v36, v27, v36, 0 op_sel:[0,1,0] op_sel_hi:[0,1,0]
	v_fma_mixlo_f16 v38, v27, v38, 0 op_sel:[0,1,0] op_sel_hi:[0,1,0]
	v_fma_mixlo_f16 v39, v27, v10, 0 op_sel:[0,1,0] op_sel_hi:[0,1,0]
	v_fma_mixlo_f16 v9, v27, v9, 0 op_sel_hi:[0,1,0]
	v_fma_mixlo_f16 v10, v27, v37, 0 op_sel_hi:[0,1,0]
	v_and_b32_e32 v37, 0xffff, v36
	v_and_b32_e32 v53, 0xffff, v38
	v_mul_f32_e32 v32, v32, v34
	v_and_b32_e32 v9, 0xffff, v9
	v_and_b32_e32 v10, 0xffff, v10
	v_mul_f32_e32 v33, v33, v35
	v_mul_f32_e32 v34, v47, v49
	v_fmac_f32_e32 v32, v3, v31
	v_fma_mixlo_f16 v27, v27, v41, 0 op_sel_hi:[0,1,0]
	v_and_b32_e32 v35, 0xffff, v11
	v_fmac_f32_e32 v33, v30, v42
	v_fmac_f32_e32 v34, v43, v45
	s_waitcnt lgkmcnt(0)
	v_and_b32_e32 v36, 0xffff, v28
	v_lshrrev_b32_e32 v38, 16, v28
	v_lshrrev_b32_e32 v51, 16, v29
	v_and_b32_e32 v52, 0xffff, v29
	;;#ASMSTART
	v_cvt_f32_f16 v28, v36;
	;;#ASMEND
	;;#ASMSTART
	v_cvt_f32_f16 v29, v38;
	;;#ASMEND
	;;#ASMSTART
	v_cvt_f32_f16 v36, v9;
	;;#ASMEND
	;;#ASMSTART
	v_cvt_f32_f16 v37, v37;
	;;#ASMEND
	;;#ASMSTART
	v_cvt_f32_f16 v38, v52;
	;;#ASMEND
	;;#ASMSTART
	v_cvt_f32_f16 v51, v51;
	;;#ASMEND
	;;#ASMSTART
	v_cvt_f32_f16 v52, v10;
	;;#ASMEND
	;;#ASMSTART
	v_cvt_f32_f16 v53, v53;
	;;#ASMEND
	ds_read_b64 v[9:10], v19 offset:24
	v_fmac_f32_e32 v32, v28, v36
	v_fmac_f32_e32 v33, v29, v37
	v_mul_f32_e32 v11, v48, v50
	v_fmac_f32_e32 v34, v38, v52
	v_and_b32_e32 v39, 0xffff, v39
	v_and_b32_e32 v30, 0xffff, v27
	v_fmac_f32_e32 v11, v44, v46
	v_fmac_f32_e32 v11, v51, v53
	s_waitcnt lgkmcnt(0)
	v_and_b32_e32 v3, 0xffff, v9
	v_lshrrev_b32_e32 v9, 16, v9
	v_lshrrev_b32_e32 v28, 16, v10
	v_and_b32_e32 v29, 0xffff, v10
	;;#ASMSTART
	v_cvt_f32_f16 v3, v3;
	;;#ASMEND
	;;#ASMSTART
	v_cvt_f32_f16 v9, v9;
	;;#ASMEND
	;; [unrolled: 3-line block ×4, first 2 shown]
	v_fmac_f32_e32 v32, v3, v10
	v_fmac_f32_e32 v33, v9, v27
	;;#ASMSTART
	v_cvt_f32_f16 v3, v29;
	;;#ASMEND
	;;#ASMSTART
	v_cvt_f32_f16 v9, v28;
	;;#ASMEND
	;; [unrolled: 3-line block ×3, first 2 shown]
	v_fmac_f32_e32 v34, v3, v10
	v_xor_b32_e32 v10, 1, v16
	v_add_f32_e32 v3, v32, v33
	;;#ASMSTART
	v_cvt_f32_f16 v27, v40;
	;;#ASMEND
	v_fmac_f32_e32 v11, v9, v27
	v_cmp_gt_i32_e64 s2, 32, v10
	v_add_f32_e32 v3, v3, v34
	v_cndmask_b32_e64 v9, v16, v10, s2
	v_add_f32_e32 v3, v11, v3
	v_lshlrev_b32_e32 v9, 2, v9
	ds_bpermute_b32 v9, v9, v3
	s_and_saveexec_b32 s3, vcc_lo
	s_cbranch_execz .LBB290_9
; %bb.139:                              ;   in Loop: Header=BB290_10 Depth=1
	v_add_nc_u32_e32 v10, s4, v20
	s_waitcnt lgkmcnt(0)
	v_add_f32_e32 v3, v3, v9
	v_cmp_gt_i32_e64 s2, s27, v20
	v_cvt_f32_i32_e32 v10, v10
	v_mul_f32_e32 v10, s36, v10
	v_cndmask_b32_e64 v9, 0, v10, s1
	v_max_f32_e32 v10, v17, v17
	v_fmac_f32_e32 v9, s37, v3
	v_max_f32_e32 v3, v10, v9
	v_cndmask_b32_e64 v9, 0, v9, s2
	v_cndmask_b32_e64 v17, v17, v3, s2
	ds_write_b32 v21, v9
	s_branch .LBB290_9
.LBB290_140:
	s_or_b32 exec_lo, exec_lo, s5
.LBB290_141:
	s_or_b32 exec_lo, exec_lo, s38
	v_xor_b32_e32 v3, 16, v16
	v_xor_b32_e32 v5, 8, v16
	v_max_f32_e32 v8, v17, v17
	s_waitcnt lgkmcnt(0)
	v_xor_b32_e32 v9, 2, v16
	v_cmp_lt_i32_e32 vcc_lo, v3, v18
	v_cndmask_b32_e32 v3, v16, v3, vcc_lo
	v_cmp_lt_i32_e32 vcc_lo, v5, v18
	v_lshlrev_b32_e32 v6, 2, v3
	v_cndmask_b32_e32 v5, v16, v5, vcc_lo
	ds_bpermute_b32 v3, v6, v17
	v_lshlrev_b32_e32 v7, 2, v5
	v_and_b32_e32 v17, 31, v0
	s_waitcnt lgkmcnt(0)
	v_max_f32_e32 v3, v3, v3
	v_max_f32_e32 v3, v8, v3
	v_xor_b32_e32 v8, 4, v16
	ds_bpermute_b32 v5, v7, v3
	v_cmp_lt_i32_e32 vcc_lo, v8, v18
	v_cndmask_b32_e32 v8, v16, v8, vcc_lo
	v_cmp_lt_i32_e32 vcc_lo, v9, v18
	v_lshlrev_b32_e32 v8, 2, v8
	v_cndmask_b32_e32 v9, v16, v9, vcc_lo
	v_cmp_eq_u32_e32 vcc_lo, 0, v17
	s_waitcnt lgkmcnt(0)
	v_max_f32_e32 v5, v5, v5
	v_max_f32_e32 v3, v3, v5
	ds_bpermute_b32 v5, v8, v3
	s_waitcnt lgkmcnt(0)
	v_max_f32_e32 v5, v5, v5
	v_max_f32_e32 v3, v3, v5
	v_lshlrev_b32_e32 v5, 2, v9
	v_lshlrev_b32_e32 v9, 2, v14
	ds_bpermute_b32 v10, v5, v3
	s_and_saveexec_b32 s1, vcc_lo
	s_cbranch_execz .LBB290_143
; %bb.142:
	s_waitcnt lgkmcnt(0)
	v_max_f32_e32 v10, v10, v10
	v_max_f32_e32 v3, v3, v3
	;; [unrolled: 1-line block ×3, first 2 shown]
	ds_write_b32 v9, v3 offset:64
.LBB290_143:
	s_or_b32 exec_lo, exec_lo, s1
	v_cmp_gt_u32_e64 s1, 4, v17
	v_mov_b32_e32 v3, 0xff7fffff
	s_waitcnt lgkmcnt(0)
	v_lshlrev_b32_e32 v10, 2, v17
	s_barrier
	buffer_gl0_inv
	s_and_saveexec_b32 s2, s1
; %bb.144:
	ds_read_b32 v3, v10 offset:64
; %bb.145:
	s_or_b32 exec_lo, exec_lo, s2
	s_waitcnt lgkmcnt(0)
	ds_bpermute_b32 v11, v5, v3
	v_xor_b32_e32 v19, 1, v16
	v_max_f32_e32 v3, v3, v3
	v_lshlrev_b32_e32 v4, 2, v4
	v_cmp_lt_i32_e64 s2, v19, v18
	v_cndmask_b32_e64 v18, v16, v19, s2
	s_sub_i32 s2, s11, s16
	s_lshl_b32 s2, s2, 4
	v_lshlrev_b32_e32 v18, 2, v18
	s_add_i32 s2, s2, s33
	s_min_i32 s2, s2, s27
	s_waitcnt lgkmcnt(0)
	v_max_f32_e32 v11, v11, v11
	s_sub_i32 s4, s2, s33
	v_cmp_gt_i32_e64 s2, s4, v0
	v_max_f32_e32 v3, v3, v11
	ds_bpermute_b32 v11, v18, v3
	s_waitcnt lgkmcnt(0)
	v_max_f32_e32 v11, v11, v11
	v_max_f32_e32 v3, v3, v11
	v_mov_b32_e32 v11, 0
	ds_bpermute_b32 v3, v4, v3
	v_lshl_add_u32 v4, v0, 2, 0x60
	s_and_saveexec_b32 s5, s2
	s_cbranch_execz .LBB290_149
; %bb.146:
	v_lshl_add_u32 v19, v0, 2, 0x60
	v_mov_b32_e32 v11, 0
	v_mov_b32_e32 v20, v0
	s_mov_b32 s12, 0
	.p2align	6
.LBB290_147:                            ; =>This Inner Loop Header: Depth=1
	ds_read_b32 v21, v19
	v_add_nc_u32_e32 v20, 0x80, v20
	v_cmp_le_i32_e64 s3, s4, v20
	s_or_b32 s12, s3, s12
	s_waitcnt lgkmcnt(0)
	v_sub_f32_e32 v21, v21, v3
	v_mul_f32_e32 v21, 0x3fb8aa3b, v21
	v_exp_f32_e32 v21, v21
	ds_write_b32 v19, v21
	v_add_f32_e32 v11, v11, v21
	v_add_nc_u32_e32 v19, 0x200, v19
	s_andn2_b32 exec_lo, exec_lo, s12
	s_cbranch_execnz .LBB290_147
; %bb.148:
	s_or_b32 exec_lo, exec_lo, s12
.LBB290_149:
	s_or_b32 exec_lo, exec_lo, s5
	ds_bpermute_b32 v6, v6, v11
	s_waitcnt lgkmcnt(0)
	v_add_f32_e32 v6, v11, v6
	ds_bpermute_b32 v7, v7, v6
	s_waitcnt lgkmcnt(0)
	v_add_f32_e32 v6, v6, v7
	;; [unrolled: 3-line block ×5, first 2 shown]
	s_and_saveexec_b32 s3, vcc_lo
; %bb.150:
	ds_write_b32 v9, v6 offset:80
; %bb.151:
	s_or_b32 exec_lo, exec_lo, s3
	s_waitcnt lgkmcnt(0)
	s_barrier
	buffer_gl0_inv
	s_and_saveexec_b32 s3, s1
; %bb.152:
	ds_read_b32 v6, v10 offset:80
; %bb.153:
	s_or_b32 exec_lo, exec_lo, s3
	s_waitcnt lgkmcnt(0)
	ds_bpermute_b32 v5, v5, v6
	v_lshlrev_b32_e32 v7, 2, v16
	s_waitcnt lgkmcnt(0)
	v_add_f32_e32 v5, v6, v5
	ds_bpermute_b32 v6, v18, v5
	s_waitcnt lgkmcnt(0)
	v_add_f32_e32 v5, v5, v6
	v_and_b32_e32 v6, 0xffffff80, v7
	ds_bpermute_b32 v5, v6, v5
	s_and_saveexec_b32 s1, s2
	s_cbranch_execz .LBB290_156
; %bb.154:
	s_waitcnt lgkmcnt(0)
	v_add_f32_e32 v6, 0x358637bd, v5
	s_mov_b32 s2, 0
	v_div_scale_f32 v7, null, v6, v6, 1.0
	v_div_scale_f32 v10, vcc_lo, 1.0, v6, 1.0
	v_rcp_f32_e32 v8, v7
	v_fma_f32 v9, -v7, v8, 1.0
	v_fmac_f32_e32 v8, v9, v8
	v_mul_f32_e32 v9, v10, v8
	v_fma_f32 v11, -v7, v9, v10
	v_fmac_f32_e32 v9, v11, v8
	v_fma_f32 v7, -v7, v9, v10
	v_div_fmas_f32 v7, v7, v8, v9
	v_div_fixup_f32 v6, v7, v6, 1.0
	v_mov_b32_e32 v7, v0
.LBB290_155:                            ; =>This Inner Loop Header: Depth=1
	ds_read_b32 v8, v4
	v_add_nc_u32_e32 v7, 0x80, v7
	v_cmp_le_i32_e32 vcc_lo, s4, v7
	s_or_b32 s2, vcc_lo, s2
	s_waitcnt lgkmcnt(0)
	v_mul_f32_e32 v8, v6, v8
	ds_write_b32 v4, v8
	v_add_nc_u32_e32 v4, 0x200, v4
	s_andn2_b32 exec_lo, exec_lo, s2
	s_cbranch_execnz .LBB290_155
.LBB290_156:
	s_or_b32 exec_lo, exec_lo, s1
	s_mul_i32 s1, s7, s26
	s_waitcnt lgkmcnt(0)
	s_mul_i32 s2, s1, s9
	s_mov_b32 s1, exec_lo
	s_barrier
	buffer_gl0_inv
	v_cmpx_eq_u32_e32 0, v0
	s_cbranch_execz .LBB290_158
; %bb.157:
	s_ashr_i32 s3, s2, 31
	s_mul_i32 s12, s7, s6
	s_lshl_b64 s[4:5], s[2:3], 2
	v_mov_b32_e32 v4, 0
	s_add_u32 s3, s22, s4
	s_addc_u32 s6, s23, s5
	s_ashr_i32 s13, s12, 31
	s_lshl_b64 s[12:13], s[12:13], 2
	s_add_u32 s3, s3, s12
	s_addc_u32 s6, s6, s13
	s_ashr_i32 s9, s8, 31
	s_lshl_b64 s[8:9], s[8:9], 2
	s_add_u32 s22, s3, s8
	s_addc_u32 s23, s6, s9
	s_add_u32 s3, s20, s4
	s_addc_u32 s4, s21, s5
	s_add_u32 s3, s3, s12
	s_addc_u32 s5, s4, s13
	s_add_u32 s4, s3, s8
	s_addc_u32 s5, s5, s9
	global_store_dword v4, v3, s[22:23]
	global_store_dword v4, v5, s[4:5]
.LBB290_158:
	s_or_b32 exec_lo, exec_lo, s1
	v_mov_b32_e32 v16, 0
	v_mov_b32_e32 v19, 0
	s_and_saveexec_b32 s1, s0
	s_cbranch_execz .LBB290_294
; %bb.159:
	v_and_b32_e32 v6, 8, v15
	v_lshlrev_b32_e32 v4, 5, v13
	v_and_b32_e32 v5, 0xf8, v15
	v_lshl_add_u32 v7, v14, 4, s33
	s_ashr_i32 s0, s18, 31
	s_add_u32 s4, s34, s18
	s_addc_u32 s0, s35, s0
	v_lshl_or_b32 v8, v14, 6, v4
	v_add_co_u32 v4, s4, s4, v5
	v_add3_u32 v15, v7, v6, 7
	v_lshlrev_b64 v[6:7], 2, v[1:2]
	v_add_co_ci_u32_e64 v5, null, s0, 0, s4
	s_lshl_b64 s[4:5], s[30:31], 2
	s_add_i32 s19, s19, -1
	s_add_u32 s0, s28, s4
	s_addc_u32 s4, s29, s5
	v_add_co_u32 v6, vcc_lo, s0, v6
	v_mov_b32_e32 v3, 0
	v_add_nc_u32_e32 v20, 0x60, v8
	v_add_co_ci_u32_e64 v7, null, s4, v7, vcc_lo
	v_mov_b32_e32 v21, 0x80
	v_mov_b32_e32 v22, 0x7f
	;; [unrolled: 1-line block ×6, first 2 shown]
	s_mov_b32 s4, -1
	s_mov_b32 s3, s17
	s_mov_b32 s5, 0xffffff
	;; [unrolled: 1-line block ×3, first 2 shown]
	s_branch .LBB290_161
.LBB290_160:                            ;   in Loop: Header=BB290_161 Depth=1
	s_or_b32 exec_lo, exec_lo, s0
	;;#ASMSTART
	v_pk_mul_f16 v2, v35, v42;

	;;#ASMEND
	;;#ASMSTART
	v_pk_mul_f16 v8, v32, v38;

	;;#ASMEND
	;; [unrolled: 4-line block ×4, first 2 shown]
	;;#ASMSTART
	v_pk_add_f16 v2, v2, v8;

	;;#ASMEND
	;;#ASMSTART
	v_pk_add_f16 v2, v2, v9;

	;;#ASMEND
	;; [unrolled: 4-line block ×3, first 2 shown]
	v_and_b32_e32 v8, 0xffff, v2
	v_add_nc_u32_e32 v1, 4, v1
	v_lshrrev_b32_e32 v9, 16, v2
	;;#ASMSTART
	v_cvt_f32_f16 v8, v8;
	;;#ASMEND
	v_add_f32_e32 v2, v33, v34
	;;#ASMSTART
	v_cvt_f32_f16 v9, v9;
	;;#ASMEND
	v_add_f32_e32 v8, v8, v9
	v_cmp_le_i32_e32 vcc_lo, s11, v1
	v_add_co_u32 v6, s0, v6, 16
	v_add_f32_e32 v19, v19, v2
	v_add_f32_e32 v16, v16, v8
	v_add_nc_u32_e32 v15, 64, v15
	v_add_nc_u32_e32 v20, 0x100, v20
	v_add_co_ci_u32_e64 v7, null, 0, v7, s0
	s_or_b32 s6, vcc_lo, s6
	s_andn2_b32 exec_lo, exec_lo, s6
	s_cbranch_execz .LBB290_293
.LBB290_161:                            ; =>This Inner Loop Header: Depth=1
	global_load_dword v2, v[6:7], off
	ds_read2_b64 v[25:28], v20 offset1:1
	ds_read2_b64 v[36:39], v20 offset0:2 offset1:3
	s_waitcnt lgkmcnt(1)
	;;#ASMSTART
	v_cvt_f16_f32 v30, v25;

	;;#ASMEND
	;;#ASMSTART
	v_cvt_f16_f32 v31, v26;

	;;#ASMEND
	;; [unrolled: 4-line block ×4, first 2 shown]
	s_waitcnt lgkmcnt(0)
	;;#ASMSTART
	v_cvt_f16_f32 v36, v36;

	;;#ASMEND
	;;#ASMSTART
	v_cvt_f16_f32 v33, v37;

	;;#ASMEND
	;;#ASMSTART
	v_cvt_f16_f32 v37, v38;

	;;#ASMEND
	;;#ASMSTART
	v_cvt_f16_f32 v34, v39;

	;;#ASMEND
	v_mov_b32_e32 v26, 0
	s_waitcnt vmcnt(0)
	v_mad_i64_i32 v[8:9], null, v2, s3, v[4:5]
	global_load_dwordx2 v[10:11], v[8:9], off
	global_load_dword v25, v3, s[14:15]
	s_waitcnt vmcnt(1)
	v_cmp_ne_u16_sdwa s8, v10, v3 src0_sel:BYTE_0 src1_sel:DWORD
	s_and_saveexec_b32 s0, s8
	s_cbranch_execz .LBB290_169
; %bb.162:                              ;   in Loop: Header=BB290_161 Depth=1
	v_cmp_ne_u16_sdwa s9, v10, v21 src0_sel:BYTE_0 src1_sel:DWORD
	v_mov_b32_e32 v26, 0x8000
	s_and_saveexec_b32 s8, s9
	s_cbranch_execz .LBB290_168
; %bb.163:                              ;   in Loop: Header=BB290_161 Depth=1
	v_and_b32_e32 v27, 0x7f, v10
	v_mov_b32_e32 v26, 0x7c01
	s_mov_b32 s9, exec_lo
	v_cmpx_ne_u32_e32 0x7f, v27
	s_cbranch_execz .LBB290_167
; %bb.164:                              ;   in Loop: Header=BB290_161 Depth=1
	v_and_b32_e32 v2, 7, v10
	v_lshrrev_b32_e32 v26, 3, v27
	s_mov_b32 s12, exec_lo
	v_cmpx_gt_u32_e32 8, v27
; %bb.165:                              ;   in Loop: Header=BB290_161 Depth=1
	v_ffbh_u32_e32 v2, v2
	v_min_u32_e32 v2, 32, v2
	v_subrev_nc_u32_e32 v26, 28, v2
	v_lshlrev_b64 v[27:28], v26, v[10:11]
	v_sub_nc_u32_e32 v26, 29, v2
	v_and_b32_e32 v2, 7, v27
; %bb.166:                              ;   in Loop: Header=BB290_161 Depth=1
	s_or_b32 exec_lo, exec_lo, s12
	v_lshlrev_b32_e32 v27, 8, v10
	v_lshl_add_u32 v26, v26, 10, 0x2000
	v_lshlrev_b32_e32 v2, 7, v2
	v_and_b32_e32 v27, 0x8000, v27
	v_and_b32_e32 v26, 0xfc00, v26
	v_or3_b32 v26, v27, v26, v2
.LBB290_167:                            ;   in Loop: Header=BB290_161 Depth=1
	s_or_b32 exec_lo, exec_lo, s9
.LBB290_168:                            ;   in Loop: Header=BB290_161 Depth=1
	s_or_b32 exec_lo, exec_lo, s8
.LBB290_169:                            ;   in Loop: Header=BB290_161 Depth=1
	s_or_b32 exec_lo, exec_lo, s0
	v_lshrrev_b16 v2, 8, v10
	v_mov_b32_e32 v28, 0
	v_mov_b32_e32 v27, 0
	s_mov_b32 s0, exec_lo
	v_cmpx_ne_u16_e32 0, v2
	s_cbranch_execz .LBB290_177
; %bb.170:                              ;   in Loop: Header=BB290_161 Depth=1
	v_bfrev_b32_e32 v27, 1
	s_mov_b32 s8, exec_lo
	v_cmpx_ne_u16_e32 0x80, v2
	s_cbranch_execz .LBB290_176
; %bb.171:                              ;   in Loop: Header=BB290_161 Depth=1
	v_and_b32_sdwa v38, v2, v22 dst_sel:DWORD dst_unused:UNUSED_PAD src0_sel:WORD_0 src1_sel:DWORD
	v_mov_b32_e32 v27, 0x7c010000
	s_mov_b32 s9, exec_lo
	v_cmpx_ne_u32_e32 0x7f, v38
	s_cbranch_execz .LBB290_175
; %bb.172:                              ;   in Loop: Header=BB290_161 Depth=1
	v_and_b32_sdwa v27, v2, v23 dst_sel:DWORD dst_unused:UNUSED_PAD src0_sel:WORD_0 src1_sel:DWORD
	v_lshrrev_b32_e32 v29, 3, v38
	s_mov_b32 s12, exec_lo
	v_cmpx_gt_u32_e32 8, v38
; %bb.173:                              ;   in Loop: Header=BB290_161 Depth=1
	v_ffbh_u32_e32 v27, v27
	v_min_u32_e32 v27, 32, v27
	v_subrev_nc_u32_e32 v29, 28, v27
	v_lshlrev_b64 v[38:39], v29, v[2:3]
	v_sub_nc_u32_e32 v29, 29, v27
	v_and_b32_e32 v27, 7, v38
; %bb.174:                              ;   in Loop: Header=BB290_161 Depth=1
	s_or_b32 exec_lo, exec_lo, s12
	v_lshlrev_b32_sdwa v2, v24, v2 dst_sel:DWORD dst_unused:UNUSED_PAD src0_sel:DWORD src1_sel:WORD_0
	v_lshl_add_u32 v29, v29, 10, 0x2000
	v_lshlrev_b32_e32 v27, 23, v27
	v_and_or_b32 v2, 0x8000, v2, v29
	v_lshl_or_b32 v27, v2, 16, v27
.LBB290_175:                            ;   in Loop: Header=BB290_161 Depth=1
	s_or_b32 exec_lo, exec_lo, s9
.LBB290_176:                            ;   in Loop: Header=BB290_161 Depth=1
	s_or_b32 exec_lo, exec_lo, s8
.LBB290_177:                            ;   in Loop: Header=BB290_161 Depth=1
	s_or_b32 exec_lo, exec_lo, s0
	v_lshrrev_b32_e32 v2, 16, v10
	v_cmp_ne_u16_sdwa s8, v2, v3 src0_sel:BYTE_0 src1_sel:DWORD
	s_and_saveexec_b32 s0, s8
	s_cbranch_execz .LBB290_185
; %bb.178:                              ;   in Loop: Header=BB290_161 Depth=1
	v_cmp_ne_u16_sdwa s9, v2, v21 src0_sel:BYTE_0 src1_sel:DWORD
	v_mov_b32_e32 v28, 0x8000
	s_and_saveexec_b32 s8, s9
	s_cbranch_execz .LBB290_184
; %bb.179:                              ;   in Loop: Header=BB290_161 Depth=1
	v_bfe_u32 v38, v10, 16, 7
	v_mov_b32_e32 v28, 0x7c01
	s_mov_b32 s9, exec_lo
	v_cmpx_ne_u32_e32 0x7f, v38
	s_cbranch_execz .LBB290_183
; %bb.180:                              ;   in Loop: Header=BB290_161 Depth=1
	v_and_b32_e32 v28, 7, v2
	v_lshrrev_b32_e32 v29, 3, v38
	s_mov_b32 s12, exec_lo
	v_cmpx_gt_u32_e32 8, v38
; %bb.181:                              ;   in Loop: Header=BB290_161 Depth=1
	v_ffbh_u32_e32 v28, v28
	v_min_u32_e32 v38, 32, v28
	v_subrev_nc_u32_e32 v28, 28, v38
	v_lshlrev_b64 v[28:29], v28, v[2:3]
	v_sub_nc_u32_e32 v29, 29, v38
	v_and_b32_e32 v28, 7, v28
; %bb.182:                              ;   in Loop: Header=BB290_161 Depth=1
	s_or_b32 exec_lo, exec_lo, s12
	v_lshlrev_b32_e32 v2, 8, v2
	v_lshl_add_u32 v29, v29, 10, 0x2000
	v_lshlrev_b32_e32 v28, 7, v28
	v_and_b32_e32 v2, 0x8000, v2
	v_and_b32_e32 v29, 0xfc00, v29
	v_or3_b32 v28, v2, v29, v28
.LBB290_183:                            ;   in Loop: Header=BB290_161 Depth=1
	s_or_b32 exec_lo, exec_lo, s9
.LBB290_184:                            ;   in Loop: Header=BB290_161 Depth=1
	s_or_b32 exec_lo, exec_lo, s8
.LBB290_185:                            ;   in Loop: Header=BB290_161 Depth=1
	s_or_b32 exec_lo, exec_lo, s0
	v_mov_b32_e32 v29, 0
	v_mov_b32_e32 v38, 0
	s_mov_b32 s0, exec_lo
	v_cmpx_lt_u32_e32 0xffffff, v10
	s_cbranch_execz .LBB290_193
; %bb.186:                              ;   in Loop: Header=BB290_161 Depth=1
	v_lshrrev_b32_e32 v2, 24, v10
	v_bfrev_b32_e32 v38, 1
	s_mov_b32 s8, exec_lo
	v_cmpx_ne_u32_e32 0x80, v2
	s_cbranch_execz .LBB290_192
; %bb.187:                              ;   in Loop: Header=BB290_161 Depth=1
	v_and_b32_e32 v40, 0x7f, v2
	v_mov_b32_e32 v38, 0x7c010000
	s_mov_b32 s9, exec_lo
	v_cmpx_ne_u32_e32 0x7f, v40
	s_cbranch_execz .LBB290_191
; %bb.188:                              ;   in Loop: Header=BB290_161 Depth=1
	v_and_b32_e32 v38, 7, v2
	v_lshrrev_b32_e32 v39, 3, v40
	s_mov_b32 s12, exec_lo
	v_cmpx_gt_u32_e32 8, v40
; %bb.189:                              ;   in Loop: Header=BB290_161 Depth=1
	v_ffbh_u32_e32 v38, v38
	v_min_u32_e32 v40, 32, v38
	v_subrev_nc_u32_e32 v38, 28, v40
	v_lshlrev_b64 v[38:39], v38, v[2:3]
	v_sub_nc_u32_e32 v39, 29, v40
	v_and_b32_e32 v38, 7, v38
; %bb.190:                              ;   in Loop: Header=BB290_161 Depth=1
	s_or_b32 exec_lo, exec_lo, s12
	v_lshlrev_b32_e32 v2, 8, v2
	v_lshl_add_u32 v39, v39, 10, 0x2000
	v_lshlrev_b32_e32 v38, 23, v38
	v_and_or_b32 v2, 0x8000, v2, v39
	v_lshl_or_b32 v38, v2, 16, v38
.LBB290_191:                            ;   in Loop: Header=BB290_161 Depth=1
	s_or_b32 exec_lo, exec_lo, s9
.LBB290_192:                            ;   in Loop: Header=BB290_161 Depth=1
	s_or_b32 exec_lo, exec_lo, s8
.LBB290_193:                            ;   in Loop: Header=BB290_161 Depth=1
	s_or_b32 exec_lo, exec_lo, s0
	v_mov_b32_e32 v2, v11
	v_cmp_ne_u16_sdwa s8, v11, v3 src0_sel:BYTE_0 src1_sel:DWORD
	s_and_saveexec_b32 s0, s8
	s_cbranch_execz .LBB290_201
; %bb.194:                              ;   in Loop: Header=BB290_161 Depth=1
	v_cmp_ne_u16_sdwa s9, v11, v21 src0_sel:BYTE_0 src1_sel:DWORD
	v_mov_b32_e32 v29, 0x8000
	s_and_saveexec_b32 s8, s9
	s_cbranch_execz .LBB290_200
; %bb.195:                              ;   in Loop: Header=BB290_161 Depth=1
	v_and_b32_e32 v40, 0x7f, v11
	v_mov_b32_e32 v29, 0x7c01
	s_mov_b32 s9, exec_lo
	v_cmpx_ne_u32_e32 0x7f, v40
	s_cbranch_execz .LBB290_199
; %bb.196:                              ;   in Loop: Header=BB290_161 Depth=1
	v_and_b32_e32 v29, 7, v11
	v_lshrrev_b32_e32 v39, 3, v40
	s_mov_b32 s12, exec_lo
	v_cmpx_gt_u32_e32 8, v40
; %bb.197:                              ;   in Loop: Header=BB290_161 Depth=1
	v_ffbh_u32_e32 v29, v29
	v_min_u32_e32 v29, 32, v29
	v_subrev_nc_u32_e32 v39, 28, v29
	v_lshlrev_b64 v[40:41], v39, v[2:3]
	v_sub_nc_u32_e32 v39, 29, v29
	v_and_b32_e32 v29, 7, v40
; %bb.198:                              ;   in Loop: Header=BB290_161 Depth=1
	s_or_b32 exec_lo, exec_lo, s12
	v_lshlrev_b32_e32 v40, 8, v11
	v_lshl_add_u32 v39, v39, 10, 0x2000
	v_lshlrev_b32_e32 v29, 7, v29
	v_and_b32_e32 v40, 0x8000, v40
	v_and_b32_e32 v39, 0xfc00, v39
	v_or3_b32 v29, v40, v39, v29
.LBB290_199:                            ;   in Loop: Header=BB290_161 Depth=1
	s_or_b32 exec_lo, exec_lo, s9
.LBB290_200:                            ;   in Loop: Header=BB290_161 Depth=1
	s_or_b32 exec_lo, exec_lo, s8
.LBB290_201:                            ;   in Loop: Header=BB290_161 Depth=1
	s_or_b32 exec_lo, exec_lo, s0
	v_lshrrev_b16 v2, 8, v2
	v_mov_b32_e32 v40, 0
	v_mov_b32_e32 v39, 0
	s_mov_b32 s0, exec_lo
	v_cmpx_ne_u16_e32 0, v2
	s_cbranch_execz .LBB290_209
; %bb.202:                              ;   in Loop: Header=BB290_161 Depth=1
	v_bfrev_b32_e32 v39, 1
	s_mov_b32 s8, exec_lo
	v_cmpx_ne_u16_e32 0x80, v2
	s_cbranch_execz .LBB290_208
; %bb.203:                              ;   in Loop: Header=BB290_161 Depth=1
	v_and_b32_sdwa v42, v2, v22 dst_sel:DWORD dst_unused:UNUSED_PAD src0_sel:WORD_0 src1_sel:DWORD
	v_mov_b32_e32 v39, 0x7c010000
	s_mov_b32 s9, exec_lo
	v_cmpx_ne_u32_e32 0x7f, v42
	s_cbranch_execz .LBB290_207
; %bb.204:                              ;   in Loop: Header=BB290_161 Depth=1
	v_and_b32_sdwa v39, v2, v23 dst_sel:DWORD dst_unused:UNUSED_PAD src0_sel:WORD_0 src1_sel:DWORD
	v_lshrrev_b32_e32 v41, 3, v42
	s_mov_b32 s12, exec_lo
	v_cmpx_gt_u32_e32 8, v42
; %bb.205:                              ;   in Loop: Header=BB290_161 Depth=1
	v_ffbh_u32_e32 v39, v39
	v_min_u32_e32 v39, 32, v39
	v_subrev_nc_u32_e32 v41, 28, v39
	v_lshlrev_b64 v[42:43], v41, v[2:3]
	v_sub_nc_u32_e32 v41, 29, v39
	v_and_b32_e32 v39, 7, v42
; %bb.206:                              ;   in Loop: Header=BB290_161 Depth=1
	s_or_b32 exec_lo, exec_lo, s12
	v_lshlrev_b32_sdwa v2, v24, v2 dst_sel:DWORD dst_unused:UNUSED_PAD src0_sel:DWORD src1_sel:WORD_0
	v_lshl_add_u32 v41, v41, 10, 0x2000
	v_lshlrev_b32_e32 v39, 23, v39
	v_and_or_b32 v2, 0x8000, v2, v41
	v_lshl_or_b32 v39, v2, 16, v39
.LBB290_207:                            ;   in Loop: Header=BB290_161 Depth=1
	s_or_b32 exec_lo, exec_lo, s9
.LBB290_208:                            ;   in Loop: Header=BB290_161 Depth=1
	s_or_b32 exec_lo, exec_lo, s8
.LBB290_209:                            ;   in Loop: Header=BB290_161 Depth=1
	s_or_b32 exec_lo, exec_lo, s0
	v_lshrrev_b32_e32 v2, 16, v11
	v_cmp_ne_u16_sdwa s8, v2, v3 src0_sel:BYTE_0 src1_sel:DWORD
	s_and_saveexec_b32 s0, s8
	s_cbranch_execz .LBB290_217
; %bb.210:                              ;   in Loop: Header=BB290_161 Depth=1
	v_cmp_ne_u16_sdwa s9, v2, v21 src0_sel:BYTE_0 src1_sel:DWORD
	v_mov_b32_e32 v40, 0x8000
	s_and_saveexec_b32 s8, s9
	s_cbranch_execz .LBB290_216
; %bb.211:                              ;   in Loop: Header=BB290_161 Depth=1
	v_bfe_u32 v42, v11, 16, 7
	v_mov_b32_e32 v40, 0x7c01
	s_mov_b32 s9, exec_lo
	v_cmpx_ne_u32_e32 0x7f, v42
	s_cbranch_execz .LBB290_215
; %bb.212:                              ;   in Loop: Header=BB290_161 Depth=1
	v_and_b32_e32 v40, 7, v2
	v_lshrrev_b32_e32 v41, 3, v42
	s_mov_b32 s12, exec_lo
	v_cmpx_gt_u32_e32 8, v42
; %bb.213:                              ;   in Loop: Header=BB290_161 Depth=1
	v_ffbh_u32_e32 v40, v40
	v_min_u32_e32 v42, 32, v40
	v_subrev_nc_u32_e32 v40, 28, v42
	v_lshlrev_b64 v[40:41], v40, v[2:3]
	v_sub_nc_u32_e32 v41, 29, v42
	v_and_b32_e32 v40, 7, v40
; %bb.214:                              ;   in Loop: Header=BB290_161 Depth=1
	s_or_b32 exec_lo, exec_lo, s12
	v_lshlrev_b32_e32 v2, 8, v2
	v_lshl_add_u32 v41, v41, 10, 0x2000
	v_lshlrev_b32_e32 v40, 7, v40
	v_and_b32_e32 v2, 0x8000, v2
	v_and_b32_e32 v41, 0xfc00, v41
	v_or3_b32 v40, v2, v41, v40
.LBB290_215:                            ;   in Loop: Header=BB290_161 Depth=1
	s_or_b32 exec_lo, exec_lo, s9
.LBB290_216:                            ;   in Loop: Header=BB290_161 Depth=1
	s_or_b32 exec_lo, exec_lo, s8
.LBB290_217:                            ;   in Loop: Header=BB290_161 Depth=1
	s_or_b32 exec_lo, exec_lo, s0
	v_mov_b32_e32 v41, 0
	s_mov_b32 s0, exec_lo
	v_cmpx_lt_u64_e64 s[4:5], v[10:11]
	s_cbranch_execz .LBB290_225
; %bb.218:                              ;   in Loop: Header=BB290_161 Depth=1
	v_lshrrev_b32_e32 v2, 24, v11
	v_bfrev_b32_e32 v41, 1
	s_mov_b32 s8, exec_lo
	v_cmpx_ne_u32_e32 0x80, v2
	s_cbranch_execz .LBB290_224
; %bb.219:                              ;   in Loop: Header=BB290_161 Depth=1
	v_and_b32_e32 v42, 0x7f, v2
	v_mov_b32_e32 v41, 0x7c010000
	s_mov_b32 s9, exec_lo
	v_cmpx_ne_u32_e32 0x7f, v42
	s_cbranch_execz .LBB290_223
; %bb.220:                              ;   in Loop: Header=BB290_161 Depth=1
	v_and_b32_e32 v10, 7, v2
	v_lshrrev_b32_e32 v11, 3, v42
	s_mov_b32 s12, exec_lo
	v_cmpx_gt_u32_e32 8, v42
; %bb.221:                              ;   in Loop: Header=BB290_161 Depth=1
	v_ffbh_u32_e32 v10, v10
	v_min_u32_e32 v41, 32, v10
	v_subrev_nc_u32_e32 v10, 28, v41
	v_lshlrev_b64 v[10:11], v10, v[2:3]
	v_sub_nc_u32_e32 v11, 29, v41
	v_and_b32_e32 v10, 7, v10
; %bb.222:                              ;   in Loop: Header=BB290_161 Depth=1
	s_or_b32 exec_lo, exec_lo, s12
	v_lshlrev_b32_e32 v2, 8, v2
	v_lshl_add_u32 v11, v11, 10, 0x2000
	v_lshlrev_b32_e32 v10, 23, v10
	v_and_or_b32 v2, 0x8000, v2, v11
	v_lshl_or_b32 v41, v2, 16, v10
.LBB290_223:                            ;   in Loop: Header=BB290_161 Depth=1
	s_or_b32 exec_lo, exec_lo, s9
.LBB290_224:                            ;   in Loop: Header=BB290_161 Depth=1
	s_or_b32 exec_lo, exec_lo, s8
.LBB290_225:                            ;   in Loop: Header=BB290_161 Depth=1
	s_or_b32 exec_lo, exec_lo, s0
	v_or_b32_e32 v2, v38, v28
	s_waitcnt vmcnt(0)
	v_fma_mixlo_f16 v11, v25, v38, 0 op_sel:[0,1,0] op_sel_hi:[0,1,0]
	v_or_b32_e32 v26, v27, v26
	v_fma_mixlo_f16 v27, v25, v27, 0 op_sel:[0,1,0] op_sel_hi:[0,1,0]
	v_or_b32_e32 v28, v39, v29
	v_fma_mixlo_f16 v2, v25, v2, 0 op_sel_hi:[0,1,0]
	v_or_b32_e32 v29, v41, v40
	v_lshlrev_b32_e32 v38, 16, v11
	v_lshlrev_b32_e32 v46, 16, v27
	v_fma_mixlo_f16 v11, v25, v39, 0 op_sel:[0,1,0] op_sel_hi:[0,1,0]
	v_and_b32_e32 v43, 0xffff, v2
	v_fma_mixlo_f16 v2, v25, v26, 0 op_sel_hi:[0,1,0]
	v_fma_mixlo_f16 v26, v25, v28, 0 op_sel_hi:[0,1,0]
	v_fma_mixlo_f16 v27, v25, v41, 0 op_sel:[0,1,0] op_sel_hi:[0,1,0]
	v_fma_mixlo_f16 v25, v25, v29, 0 op_sel_hi:[0,1,0]
	v_lshlrev_b32_e32 v44, 16, v11
	v_and_b32_e32 v48, 0xffff, v2
	v_and_b32_e32 v47, 0xffff, v26
	v_lshlrev_b32_e32 v41, 16, v27
	v_and_b32_e32 v45, 0xffff, v25
	v_add_nc_u32_e32 v10, -7, v15
	v_cmp_eq_u32_e32 vcc_lo, s19, v1
	v_or_b32_e32 v2, v38, v43
	v_or_b32_e32 v39, v46, v48
	;; [unrolled: 1-line block ×4, first 2 shown]
	v_add_nc_u32_e32 v29, -6, v15
	v_add_nc_u32_e32 v28, -5, v15
	;; [unrolled: 1-line block ×6, first 2 shown]
	s_and_saveexec_b32 s8, vcc_lo
	s_cbranch_execz .LBB290_227
; %bb.226:                              ;   in Loop: Header=BB290_161 Depth=1
	v_cmp_gt_i32_e64 s0, s27, v10
	v_cndmask_b32_e64 v2, 0, v48, s0
	v_cmp_gt_i32_e64 s0, s27, v29
	v_cndmask_b32_e64 v39, 0, v46, s0
	v_cmp_gt_i32_e64 s0, s27, v28
	v_or_b32_e32 v39, v39, v2
	v_cndmask_b32_e64 v40, 0, v43, s0
	v_cmp_gt_i32_e64 s0, s27, v27
	v_cndmask_b32_e64 v38, 0, v38, s0
	v_cmp_gt_i32_e64 s0, s27, v26
	v_or_b32_e32 v2, v38, v40
	;; [unrolled: 5-line block ×3, first 2 shown]
	v_cndmask_b32_e64 v44, 0, v45, s0
	v_cmp_gt_i32_e64 s0, s27, v15
	v_cndmask_b32_e64 v41, 0, v41, s0
	v_or_b32_e32 v42, v41, v44
.LBB290_227:                            ;   in Loop: Header=BB290_161 Depth=1
	s_or_b32 exec_lo, exec_lo, s8
	v_and_b32_e32 v30, 0xffff, v30
	v_and_b32_e32 v38, 0xffff, v35
	;; [unrolled: 1-line block ×4, first 2 shown]
	v_lshl_or_b32 v35, v31, 16, v30
	v_lshl_or_b32 v32, v32, 16, v38
	;; [unrolled: 1-line block ×3, first 2 shown]
	;;#ASMSTART
	v_pk_mul_f16 v33, v35, v39;

	;;#ASMEND
	;;#ASMSTART
	v_pk_mul_f16 v2, v32, v2;

	;;#ASMEND
	v_lshl_or_b32 v30, v34, 16, v37
	;;#ASMSTART
	v_pk_mul_f16 v34, v31, v40;

	;;#ASMEND
	;;#ASMSTART
	v_pk_mul_f16 v36, v30, v42;

	;;#ASMEND
	;;#ASMSTART
	v_pk_add_f16 v2, v33, v2;

	;;#ASMEND
	;;#ASMSTART
	v_pk_add_f16 v2, v2, v34;
	;; [unrolled: 4-line block ×3, first 2 shown]

	;;#ASMEND
	v_and_b32_e32 v33, 0xffff, v2
	v_lshrrev_b32_e32 v2, 16, v2
	;;#ASMSTART
	v_cvt_f32_f16 v33, v33;
	;;#ASMEND
	;;#ASMSTART
	v_cvt_f32_f16 v34, v2;
	;;#ASMEND
	global_load_dwordx2 v[8:9], v[8:9], off offset:256
	v_mov_b32_e32 v37, 0
	v_mov_b32_e32 v38, 0
	global_load_dword v36, v37, s[14:15]
	s_waitcnt vmcnt(1)
	v_cmp_ne_u16_sdwa s0, v8, v3 src0_sel:BYTE_0 src1_sel:DWORD
	s_and_saveexec_b32 s8, s0
	s_cbranch_execz .LBB290_235
; %bb.228:                              ;   in Loop: Header=BB290_161 Depth=1
	v_cmp_ne_u16_sdwa s0, v8, v21 src0_sel:BYTE_0 src1_sel:DWORD
	v_mov_b32_e32 v38, 0x8000
	s_and_saveexec_b32 s9, s0
	s_cbranch_execz .LBB290_234
; %bb.229:                              ;   in Loop: Header=BB290_161 Depth=1
	v_and_b32_e32 v39, 0x7f, v8
	v_mov_b32_e32 v38, 0x7c01
	s_mov_b32 s12, exec_lo
	v_cmpx_ne_u32_e32 0x7f, v39
	s_cbranch_execz .LBB290_233
; %bb.230:                              ;   in Loop: Header=BB290_161 Depth=1
	v_and_b32_e32 v2, 7, v8
	v_lshrrev_b32_e32 v38, 3, v39
	s_mov_b32 s13, exec_lo
	v_cmpx_gt_u32_e32 8, v39
; %bb.231:                              ;   in Loop: Header=BB290_161 Depth=1
	v_ffbh_u32_e32 v2, v2
	v_min_u32_e32 v2, 32, v2
	v_subrev_nc_u32_e32 v38, 28, v2
	v_lshlrev_b64 v[39:40], v38, v[8:9]
	v_sub_nc_u32_e32 v38, 29, v2
	v_and_b32_e32 v2, 7, v39
; %bb.232:                              ;   in Loop: Header=BB290_161 Depth=1
	s_or_b32 exec_lo, exec_lo, s13
	v_lshlrev_b32_e32 v39, 8, v8
	v_lshl_add_u32 v38, v38, 10, 0x2000
	v_lshlrev_b32_e32 v2, 7, v2
	v_and_b32_e32 v39, 0x8000, v39
	v_and_b32_e32 v38, 0xfc00, v38
	v_or3_b32 v38, v39, v38, v2
.LBB290_233:                            ;   in Loop: Header=BB290_161 Depth=1
	s_or_b32 exec_lo, exec_lo, s12
.LBB290_234:                            ;   in Loop: Header=BB290_161 Depth=1
	s_or_b32 exec_lo, exec_lo, s9
.LBB290_235:                            ;   in Loop: Header=BB290_161 Depth=1
	s_or_b32 exec_lo, exec_lo, s8
	v_lshrrev_b16 v2, 8, v8
	s_mov_b32 s8, exec_lo
	v_cmpx_ne_u16_e32 0, v2
	s_cbranch_execz .LBB290_243
; %bb.236:                              ;   in Loop: Header=BB290_161 Depth=1
	v_bfrev_b32_e32 v37, 1
	s_mov_b32 s9, exec_lo
	v_cmpx_ne_u16_e32 0x80, v2
	s_cbranch_execz .LBB290_242
; %bb.237:                              ;   in Loop: Header=BB290_161 Depth=1
	v_and_b32_sdwa v40, v2, v22 dst_sel:DWORD dst_unused:UNUSED_PAD src0_sel:WORD_0 src1_sel:DWORD
	v_mov_b32_e32 v37, 0x7c010000
	s_mov_b32 s12, exec_lo
	v_cmpx_ne_u32_e32 0x7f, v40
	s_cbranch_execz .LBB290_241
; %bb.238:                              ;   in Loop: Header=BB290_161 Depth=1
	v_and_b32_sdwa v37, v2, v23 dst_sel:DWORD dst_unused:UNUSED_PAD src0_sel:WORD_0 src1_sel:DWORD
	v_lshrrev_b32_e32 v39, 3, v40
	s_mov_b32 s13, exec_lo
	v_cmpx_gt_u32_e32 8, v40
; %bb.239:                              ;   in Loop: Header=BB290_161 Depth=1
	v_ffbh_u32_e32 v37, v37
	v_min_u32_e32 v37, 32, v37
	v_subrev_nc_u32_e32 v39, 28, v37
	v_lshlrev_b64 v[40:41], v39, v[2:3]
	v_sub_nc_u32_e32 v39, 29, v37
	v_and_b32_e32 v37, 7, v40
; %bb.240:                              ;   in Loop: Header=BB290_161 Depth=1
	s_or_b32 exec_lo, exec_lo, s13
	v_lshlrev_b32_sdwa v2, v24, v2 dst_sel:DWORD dst_unused:UNUSED_PAD src0_sel:DWORD src1_sel:WORD_0
	v_lshl_add_u32 v39, v39, 10, 0x2000
	v_lshlrev_b32_e32 v37, 23, v37
	v_and_or_b32 v2, 0x8000, v2, v39
	v_lshl_or_b32 v37, v2, 16, v37
.LBB290_241:                            ;   in Loop: Header=BB290_161 Depth=1
	s_or_b32 exec_lo, exec_lo, s12
.LBB290_242:                            ;   in Loop: Header=BB290_161 Depth=1
	s_or_b32 exec_lo, exec_lo, s9
.LBB290_243:                            ;   in Loop: Header=BB290_161 Depth=1
	s_or_b32 exec_lo, exec_lo, s8
	v_lshrrev_b32_e32 v2, 16, v8
	v_mov_b32_e32 v39, 0
	v_mov_b32_e32 v40, 0
	v_cmp_ne_u16_sdwa s0, v2, v3 src0_sel:BYTE_0 src1_sel:DWORD
	s_and_saveexec_b32 s8, s0
	s_cbranch_execz .LBB290_251
; %bb.244:                              ;   in Loop: Header=BB290_161 Depth=1
	v_cmp_ne_u16_sdwa s0, v2, v21 src0_sel:BYTE_0 src1_sel:DWORD
	v_mov_b32_e32 v40, 0x8000
	s_and_saveexec_b32 s9, s0
	s_cbranch_execz .LBB290_250
; %bb.245:                              ;   in Loop: Header=BB290_161 Depth=1
	v_bfe_u32 v42, v8, 16, 7
	v_mov_b32_e32 v40, 0x7c01
	s_mov_b32 s12, exec_lo
	v_cmpx_ne_u32_e32 0x7f, v42
	s_cbranch_execz .LBB290_249
; %bb.246:                              ;   in Loop: Header=BB290_161 Depth=1
	v_and_b32_e32 v40, 7, v2
	v_lshrrev_b32_e32 v41, 3, v42
	s_mov_b32 s13, exec_lo
	v_cmpx_gt_u32_e32 8, v42
; %bb.247:                              ;   in Loop: Header=BB290_161 Depth=1
	v_ffbh_u32_e32 v40, v40
	v_min_u32_e32 v42, 32, v40
	v_subrev_nc_u32_e32 v40, 28, v42
	v_lshlrev_b64 v[40:41], v40, v[2:3]
	v_sub_nc_u32_e32 v41, 29, v42
	v_and_b32_e32 v40, 7, v40
; %bb.248:                              ;   in Loop: Header=BB290_161 Depth=1
	s_or_b32 exec_lo, exec_lo, s13
	v_lshlrev_b32_e32 v2, 8, v2
	v_lshl_add_u32 v41, v41, 10, 0x2000
	v_lshlrev_b32_e32 v40, 7, v40
	v_and_b32_e32 v2, 0x8000, v2
	v_and_b32_e32 v41, 0xfc00, v41
	v_or3_b32 v40, v2, v41, v40
.LBB290_249:                            ;   in Loop: Header=BB290_161 Depth=1
	s_or_b32 exec_lo, exec_lo, s12
.LBB290_250:                            ;   in Loop: Header=BB290_161 Depth=1
	s_or_b32 exec_lo, exec_lo, s9
.LBB290_251:                            ;   in Loop: Header=BB290_161 Depth=1
	s_or_b32 exec_lo, exec_lo, s8
	s_mov_b32 s8, exec_lo
	v_cmpx_lt_u32_e32 0xffffff, v8
	s_cbranch_execz .LBB290_259
; %bb.252:                              ;   in Loop: Header=BB290_161 Depth=1
	v_lshrrev_b32_e32 v2, 24, v8
	v_bfrev_b32_e32 v39, 1
	s_mov_b32 s9, exec_lo
	v_cmpx_ne_u32_e32 0x80, v2
	s_cbranch_execz .LBB290_258
; %bb.253:                              ;   in Loop: Header=BB290_161 Depth=1
	v_and_b32_e32 v42, 0x7f, v2
	v_mov_b32_e32 v39, 0x7c010000
	s_mov_b32 s12, exec_lo
	v_cmpx_ne_u32_e32 0x7f, v42
	s_cbranch_execz .LBB290_257
; %bb.254:                              ;   in Loop: Header=BB290_161 Depth=1
	v_and_b32_e32 v39, 7, v2
	v_lshrrev_b32_e32 v41, 3, v42
	s_mov_b32 s13, exec_lo
	v_cmpx_gt_u32_e32 8, v42
; %bb.255:                              ;   in Loop: Header=BB290_161 Depth=1
	v_ffbh_u32_e32 v39, v39
	v_min_u32_e32 v39, 32, v39
	v_subrev_nc_u32_e32 v41, 28, v39
	v_lshlrev_b64 v[42:43], v41, v[2:3]
	v_sub_nc_u32_e32 v41, 29, v39
	v_and_b32_e32 v39, 7, v42
; %bb.256:                              ;   in Loop: Header=BB290_161 Depth=1
	s_or_b32 exec_lo, exec_lo, s13
	v_lshlrev_b32_e32 v2, 8, v2
	v_lshl_add_u32 v41, v41, 10, 0x2000
	v_lshlrev_b32_e32 v39, 23, v39
	v_and_or_b32 v2, 0x8000, v2, v41
	v_lshl_or_b32 v39, v2, 16, v39
.LBB290_257:                            ;   in Loop: Header=BB290_161 Depth=1
	s_or_b32 exec_lo, exec_lo, s12
.LBB290_258:                            ;   in Loop: Header=BB290_161 Depth=1
	s_or_b32 exec_lo, exec_lo, s9
.LBB290_259:                            ;   in Loop: Header=BB290_161 Depth=1
	s_or_b32 exec_lo, exec_lo, s8
	v_mov_b32_e32 v2, v9
	v_cmp_ne_u16_sdwa s0, v9, v3 src0_sel:BYTE_0 src1_sel:DWORD
	v_mov_b32_e32 v41, 0
	v_mov_b32_e32 v42, 0
	s_and_saveexec_b32 s8, s0
	s_cbranch_execz .LBB290_267
; %bb.260:                              ;   in Loop: Header=BB290_161 Depth=1
	v_cmp_ne_u16_sdwa s0, v9, v21 src0_sel:BYTE_0 src1_sel:DWORD
	v_mov_b32_e32 v42, 0x8000
	s_and_saveexec_b32 s9, s0
	s_cbranch_execz .LBB290_266
; %bb.261:                              ;   in Loop: Header=BB290_161 Depth=1
	v_and_b32_e32 v44, 0x7f, v9
	v_mov_b32_e32 v42, 0x7c01
	s_mov_b32 s12, exec_lo
	v_cmpx_ne_u32_e32 0x7f, v44
	s_cbranch_execz .LBB290_265
; %bb.262:                              ;   in Loop: Header=BB290_161 Depth=1
	v_and_b32_e32 v42, 7, v9
	v_lshrrev_b32_e32 v43, 3, v44
	s_mov_b32 s13, exec_lo
	v_cmpx_gt_u32_e32 8, v44
; %bb.263:                              ;   in Loop: Header=BB290_161 Depth=1
	v_ffbh_u32_e32 v42, v42
	v_min_u32_e32 v44, 32, v42
	v_subrev_nc_u32_e32 v42, 28, v44
	v_lshlrev_b64 v[42:43], v42, v[2:3]
	v_sub_nc_u32_e32 v43, 29, v44
	v_and_b32_e32 v42, 7, v42
; %bb.264:                              ;   in Loop: Header=BB290_161 Depth=1
	s_or_b32 exec_lo, exec_lo, s13
	v_lshlrev_b32_e32 v44, 8, v9
	v_lshl_add_u32 v43, v43, 10, 0x2000
	v_lshlrev_b32_e32 v42, 7, v42
	v_and_b32_e32 v44, 0x8000, v44
	v_and_b32_e32 v43, 0xfc00, v43
	v_or3_b32 v42, v44, v43, v42
.LBB290_265:                            ;   in Loop: Header=BB290_161 Depth=1
	s_or_b32 exec_lo, exec_lo, s12
.LBB290_266:                            ;   in Loop: Header=BB290_161 Depth=1
	s_or_b32 exec_lo, exec_lo, s9
.LBB290_267:                            ;   in Loop: Header=BB290_161 Depth=1
	s_or_b32 exec_lo, exec_lo, s8
	v_lshrrev_b16 v2, 8, v2
	v_mov_b32_e32 v43, 0
	s_mov_b32 s8, exec_lo
	v_cmpx_ne_u16_e32 0, v2
	s_cbranch_execz .LBB290_275
; %bb.268:                              ;   in Loop: Header=BB290_161 Depth=1
	v_bfrev_b32_e32 v43, 1
	s_mov_b32 s9, exec_lo
	v_cmpx_ne_u16_e32 0x80, v2
	s_cbranch_execz .LBB290_274
; %bb.269:                              ;   in Loop: Header=BB290_161 Depth=1
	v_and_b32_sdwa v45, v2, v22 dst_sel:DWORD dst_unused:UNUSED_PAD src0_sel:WORD_0 src1_sel:DWORD
	v_mov_b32_e32 v43, 0x7c010000
	s_mov_b32 s12, exec_lo
	v_cmpx_ne_u32_e32 0x7f, v45
	s_cbranch_execz .LBB290_273
; %bb.270:                              ;   in Loop: Header=BB290_161 Depth=1
	v_and_b32_sdwa v43, v2, v23 dst_sel:DWORD dst_unused:UNUSED_PAD src0_sel:WORD_0 src1_sel:DWORD
	v_lshrrev_b32_e32 v44, 3, v45
	s_mov_b32 s13, exec_lo
	v_cmpx_gt_u32_e32 8, v45
; %bb.271:                              ;   in Loop: Header=BB290_161 Depth=1
	v_ffbh_u32_e32 v43, v43
	v_min_u32_e32 v45, 32, v43
	v_subrev_nc_u32_e32 v43, 28, v45
	v_lshlrev_b64 v[43:44], v43, v[2:3]
	v_sub_nc_u32_e32 v44, 29, v45
	v_and_b32_e32 v43, 7, v43
; %bb.272:                              ;   in Loop: Header=BB290_161 Depth=1
	s_or_b32 exec_lo, exec_lo, s13
	v_lshlrev_b32_sdwa v2, v24, v2 dst_sel:DWORD dst_unused:UNUSED_PAD src0_sel:DWORD src1_sel:WORD_0
	v_lshl_add_u32 v44, v44, 10, 0x2000
	v_lshlrev_b32_e32 v43, 23, v43
	v_and_or_b32 v2, 0x8000, v2, v44
	v_lshl_or_b32 v43, v2, 16, v43
.LBB290_273:                            ;   in Loop: Header=BB290_161 Depth=1
	s_or_b32 exec_lo, exec_lo, s12
.LBB290_274:                            ;   in Loop: Header=BB290_161 Depth=1
	s_or_b32 exec_lo, exec_lo, s9
.LBB290_275:                            ;   in Loop: Header=BB290_161 Depth=1
	s_or_b32 exec_lo, exec_lo, s8
	v_lshrrev_b32_e32 v2, 16, v9
	v_cmp_ne_u16_sdwa s0, v2, v3 src0_sel:BYTE_0 src1_sel:DWORD
	s_and_saveexec_b32 s8, s0
	s_cbranch_execz .LBB290_283
; %bb.276:                              ;   in Loop: Header=BB290_161 Depth=1
	v_cmp_ne_u16_sdwa s0, v2, v21 src0_sel:BYTE_0 src1_sel:DWORD
	v_mov_b32_e32 v41, 0x8000
	s_and_saveexec_b32 s9, s0
	s_cbranch_execz .LBB290_282
; %bb.277:                              ;   in Loop: Header=BB290_161 Depth=1
	v_bfe_u32 v45, v9, 16, 7
	v_mov_b32_e32 v41, 0x7c01
	s_mov_b32 s12, exec_lo
	v_cmpx_ne_u32_e32 0x7f, v45
	s_cbranch_execz .LBB290_281
; %bb.278:                              ;   in Loop: Header=BB290_161 Depth=1
	v_and_b32_e32 v41, 7, v2
	v_lshrrev_b32_e32 v44, 3, v45
	s_mov_b32 s13, exec_lo
	v_cmpx_gt_u32_e32 8, v45
; %bb.279:                              ;   in Loop: Header=BB290_161 Depth=1
	v_ffbh_u32_e32 v41, v41
	v_min_u32_e32 v41, 32, v41
	v_subrev_nc_u32_e32 v44, 28, v41
	v_lshlrev_b64 v[45:46], v44, v[2:3]
	v_sub_nc_u32_e32 v44, 29, v41
	v_and_b32_e32 v41, 7, v45
; %bb.280:                              ;   in Loop: Header=BB290_161 Depth=1
	s_or_b32 exec_lo, exec_lo, s13
	v_lshlrev_b32_e32 v2, 8, v2
	v_lshl_add_u32 v44, v44, 10, 0x2000
	v_lshlrev_b32_e32 v41, 7, v41
	v_and_b32_e32 v2, 0x8000, v2
	v_and_b32_e32 v44, 0xfc00, v44
	v_or3_b32 v41, v2, v44, v41
.LBB290_281:                            ;   in Loop: Header=BB290_161 Depth=1
	s_or_b32 exec_lo, exec_lo, s12
.LBB290_282:                            ;   in Loop: Header=BB290_161 Depth=1
	s_or_b32 exec_lo, exec_lo, s9
.LBB290_283:                            ;   in Loop: Header=BB290_161 Depth=1
	s_or_b32 exec_lo, exec_lo, s8
	v_cmp_lt_u64_e64 s0, s[4:5], v[8:9]
	v_mov_b32_e32 v8, 0
	s_and_saveexec_b32 s8, s0
	s_cbranch_execz .LBB290_291
; %bb.284:                              ;   in Loop: Header=BB290_161 Depth=1
	v_lshrrev_b32_e32 v2, 24, v9
	v_bfrev_b32_e32 v8, 1
	s_mov_b32 s9, exec_lo
	v_cmpx_ne_u32_e32 0x80, v2
	s_cbranch_execz .LBB290_290
; %bb.285:                              ;   in Loop: Header=BB290_161 Depth=1
	v_and_b32_e32 v44, 0x7f, v2
	v_mov_b32_e32 v8, 0x7c010000
	s_mov_b32 s12, exec_lo
	v_cmpx_ne_u32_e32 0x7f, v44
	s_cbranch_execz .LBB290_289
; %bb.286:                              ;   in Loop: Header=BB290_161 Depth=1
	v_and_b32_e32 v8, 7, v2
	v_lshrrev_b32_e32 v9, 3, v44
	s_mov_b32 s13, exec_lo
	v_cmpx_gt_u32_e32 8, v44
; %bb.287:                              ;   in Loop: Header=BB290_161 Depth=1
	v_ffbh_u32_e32 v8, v8
	v_min_u32_e32 v44, 32, v8
	v_subrev_nc_u32_e32 v8, 28, v44
	v_lshlrev_b64 v[8:9], v8, v[2:3]
	v_sub_nc_u32_e32 v9, 29, v44
	v_and_b32_e32 v8, 7, v8
; %bb.288:                              ;   in Loop: Header=BB290_161 Depth=1
	s_or_b32 exec_lo, exec_lo, s13
	v_lshlrev_b32_e32 v2, 8, v2
	v_lshl_add_u32 v9, v9, 10, 0x2000
	v_lshlrev_b32_e32 v8, 23, v8
	v_and_or_b32 v2, 0x8000, v2, v9
	v_lshl_or_b32 v8, v2, 16, v8
.LBB290_289:                            ;   in Loop: Header=BB290_161 Depth=1
	s_or_b32 exec_lo, exec_lo, s12
.LBB290_290:                            ;   in Loop: Header=BB290_161 Depth=1
	s_or_b32 exec_lo, exec_lo, s9
.LBB290_291:                            ;   in Loop: Header=BB290_161 Depth=1
	s_or_b32 exec_lo, exec_lo, s8
	v_or_b32_e32 v2, v39, v40
	v_or_b32_e32 v38, v37, v38
	s_waitcnt vmcnt(0)
	v_fma_mixlo_f16 v37, v36, v37, 0 op_sel:[0,1,0] op_sel_hi:[0,1,0]
	v_or_b32_e32 v40, v43, v42
	v_or_b32_e32 v41, v8, v41
	v_fma_mixlo_f16 v9, v36, v39, 0 op_sel:[0,1,0] op_sel_hi:[0,1,0]
	v_fma_mixlo_f16 v42, v36, v2, 0 op_sel_hi:[0,1,0]
	v_lshlrev_b32_e32 v39, 16, v37
	v_fma_mixlo_f16 v37, v36, v38, 0 op_sel_hi:[0,1,0]
	v_fma_mixlo_f16 v38, v36, v43, 0 op_sel:[0,1,0] op_sel_hi:[0,1,0]
	v_fma_mixlo_f16 v40, v36, v40, 0 op_sel_hi:[0,1,0]
	v_fma_mixlo_f16 v8, v36, v8, 0 op_sel:[0,1,0] op_sel_hi:[0,1,0]
	v_fma_mixlo_f16 v41, v36, v41, 0 op_sel_hi:[0,1,0]
	v_lshlrev_b32_e32 v2, 16, v9
	v_and_b32_e32 v9, 0xffff, v42
	v_and_b32_e32 v44, 0xffff, v37
	v_lshlrev_b32_e32 v36, 16, v38
	v_and_b32_e32 v43, 0xffff, v40
	v_lshlrev_b32_e32 v8, 16, v8
	v_and_b32_e32 v37, 0xffff, v41
	v_or_b32_e32 v38, v2, v9
	v_or_b32_e32 v42, v39, v44
	;; [unrolled: 1-line block ×4, first 2 shown]
	s_and_saveexec_b32 s0, vcc_lo
	s_cbranch_execz .LBB290_160
; %bb.292:                              ;   in Loop: Header=BB290_161 Depth=1
	v_cmp_gt_i32_e32 vcc_lo, s27, v10
	v_cndmask_b32_e32 v10, 0, v44, vcc_lo
	v_cmp_gt_i32_e32 vcc_lo, s27, v29
	v_cndmask_b32_e32 v29, 0, v39, vcc_lo
	v_cmp_gt_i32_e32 vcc_lo, s27, v28
	v_or_b32_e32 v42, v29, v10
	v_cndmask_b32_e32 v9, 0, v9, vcc_lo
	v_cmp_gt_i32_e32 vcc_lo, s27, v27
	v_cndmask_b32_e32 v2, 0, v2, vcc_lo
	v_cmp_gt_i32_e32 vcc_lo, s27, v26
	v_or_b32_e32 v38, v2, v9
	;; [unrolled: 5-line block ×3, first 2 shown]
	v_cndmask_b32_e32 v11, 0, v37, vcc_lo
	v_cmp_gt_i32_e32 vcc_lo, s27, v15
	v_cndmask_b32_e32 v8, 0, v8, vcc_lo
	v_or_b32_e32 v40, v8, v11
	s_branch .LBB290_160
.LBB290_293:
	s_or_b32 exec_lo, exec_lo, s6
.LBB290_294:
	s_or_b32 exec_lo, exec_lo, s1
	ds_bpermute_b32 v1, v18, v19
	ds_bpermute_b32 v5, v18, v16
	v_lshrrev_b32_e32 v3, 1, v17
	v_and_b32_e32 v6, 0x3c1, v0
	s_mov_b32 s0, exec_lo
	s_waitcnt lgkmcnt(0)
	s_waitcnt_vscnt null, 0x0
	s_barrier
	v_lshl_add_u32 v4, v3, 2, 0x60
	buffer_gl0_inv
	v_add_f32_e32 v2, v19, v1
	v_add_f32_e32 v1, v16, v5
	v_cmpx_eq_u32_e32 64, v6
	s_cbranch_execz .LBB290_296
; %bb.295:
	v_lshl_add_u32 v5, v14, 7, v4
	v_add_nc_u32_e32 v6, 0xffffff00, v5
	v_add_nc_u32_e32 v5, 0xffffff40, v5
	ds_write_b32 v6, v2
	ds_write_b32 v5, v1
.LBB290_296:
	s_or_b32 exec_lo, exec_lo, s0
	v_and_b32_e32 v5, 0x3e0, v0
	v_lshlrev_b32_e32 v3, 2, v3
	s_mov_b32 s1, exec_lo
	v_cmp_eq_u32_e32 vcc_lo, 0, v13
	s_waitcnt lgkmcnt(0)
	v_lshlrev_b32_e32 v5, 2, v5
	s_barrier
	buffer_gl0_inv
	v_add3_u32 v3, 0x60, v5, v3
	v_cmpx_gt_u32_e32 64, v0
	s_cbranch_execz .LBB290_302
; %bb.297:
	s_and_saveexec_b32 s0, vcc_lo
	s_cbranch_execz .LBB290_299
; %bb.298:
	ds_read_b32 v5, v3
	s_waitcnt lgkmcnt(0)
	v_add_f32_e32 v2, v2, v5
.LBB290_299:
	s_or_b32 exec_lo, exec_lo, s0
	s_and_saveexec_b32 s0, vcc_lo
	s_cbranch_execz .LBB290_301
; %bb.300:
	ds_read_b32 v5, v3 offset:64
	s_waitcnt lgkmcnt(0)
	v_add_f32_e32 v1, v1, v5
.LBB290_301:
	s_or_b32 exec_lo, exec_lo, s0
.LBB290_302:
	s_or_b32 exec_lo, exec_lo, s1
	v_and_b32_e32 v5, 0x3e1, v0
	s_mov_b32 s1, exec_lo
	s_barrier
	buffer_gl0_inv
	v_cmpx_eq_u32_e32 32, v5
; %bb.303:
	ds_write2_b32 v4, v2, v1 offset1:16
; %bb.304:
	s_or_b32 exec_lo, exec_lo, s1
	s_mov_b32 s1, exec_lo
	s_waitcnt lgkmcnt(0)
	s_barrier
	buffer_gl0_inv
	v_cmpx_gt_u32_e32 32, v0
	s_cbranch_execz .LBB290_310
; %bb.305:
	s_and_saveexec_b32 s0, vcc_lo
	s_cbranch_execz .LBB290_307
; %bb.306:
	ds_read_b32 v0, v3
	s_waitcnt lgkmcnt(0)
	v_add_f32_e32 v2, v2, v0
.LBB290_307:
	s_or_b32 exec_lo, exec_lo, s0
	s_and_saveexec_b32 s0, vcc_lo
	s_cbranch_execz .LBB290_309
; %bb.308:
	ds_read_b32 v0, v3 offset:64
	s_waitcnt lgkmcnt(0)
	v_add_f32_e32 v1, v1, v0
.LBB290_309:
	s_or_b32 exec_lo, exec_lo, s0
.LBB290_310:
	s_or_b32 exec_lo, exec_lo, s1
	s_barrier
	buffer_gl0_inv
	s_mov_b32 s0, exec_lo
	v_cmpx_eq_u32_e32 0, v5
	s_cbranch_execz .LBB290_312
; %bb.311:
	s_lshl_b32 s0, s2, 5
	s_mul_i32 s2, s7, s10
	s_ashr_i32 s1, s0, 31
	v_lshlrev_b32_e32 v0, 1, v12
	s_lshl_b64 s[0:1], s[0:1], 1
	;;#ASMSTART
	v_cvt_f16_f32 v2, v2;

	;;#ASMEND
	s_add_u32 s4, s24, s0
	s_addc_u32 s5, s25, s1
	s_ashr_i32 s3, s2, 31
	s_lshl_b64 s[0:1], s[2:3], 1
	s_add_u32 s2, s4, s0
	s_addc_u32 s3, s5, s1
	s_ashr_i32 s17, s16, 31
	s_lshl_b64 s[0:1], s[16:17], 1
	s_add_u32 s0, s2, s0
	s_addc_u32 s1, s3, s1
	global_store_short v0, v2, s[0:1]
	;;#ASMSTART
	v_cvt_f16_f32 v1, v1;

	;;#ASMEND
	global_store_short v0, v1, s[0:1] offset:32
.LBB290_312:
	s_endpgm
	.section	.rodata,"a",@progbits
	.p2align	6, 0x0
	.amdhsa_kernel _ZN4vllm25paged_attention_v2_kernelIthLi32ELi16ELi128ELNS_18Fp8KVCacheDataTypeE1ELb0ELi512EEEvPfS2_PT_PKS3_PKT0_S9_ifPKiSB_iPKfiiiSD_SD_iiiii
		.amdhsa_group_segment_fixed_size 96
		.amdhsa_private_segment_fixed_size 0
		.amdhsa_kernarg_size 400
		.amdhsa_user_sgpr_count 6
		.amdhsa_user_sgpr_private_segment_buffer 1
		.amdhsa_user_sgpr_dispatch_ptr 0
		.amdhsa_user_sgpr_queue_ptr 0
		.amdhsa_user_sgpr_kernarg_segment_ptr 1
		.amdhsa_user_sgpr_dispatch_id 0
		.amdhsa_user_sgpr_flat_scratch_init 0
		.amdhsa_user_sgpr_private_segment_size 0
		.amdhsa_wavefront_size32 1
		.amdhsa_uses_dynamic_stack 0
		.amdhsa_system_sgpr_private_segment_wavefront_offset 0
		.amdhsa_system_sgpr_workgroup_id_x 1
		.amdhsa_system_sgpr_workgroup_id_y 1
		.amdhsa_system_sgpr_workgroup_id_z 1
		.amdhsa_system_sgpr_workgroup_info 0
		.amdhsa_system_vgpr_workitem_id 0
		.amdhsa_next_free_vgpr 54
		.amdhsa_next_free_sgpr 43
		.amdhsa_reserve_vcc 1
		.amdhsa_reserve_flat_scratch 0
		.amdhsa_float_round_mode_32 0
		.amdhsa_float_round_mode_16_64 0
		.amdhsa_float_denorm_mode_32 3
		.amdhsa_float_denorm_mode_16_64 3
		.amdhsa_dx10_clamp 1
		.amdhsa_ieee_mode 1
		.amdhsa_fp16_overflow 0
		.amdhsa_workgroup_processor_mode 1
		.amdhsa_memory_ordered 1
		.amdhsa_forward_progress 1
		.amdhsa_shared_vgpr_count 0
		.amdhsa_exception_fp_ieee_invalid_op 0
		.amdhsa_exception_fp_denorm_src 0
		.amdhsa_exception_fp_ieee_div_zero 0
		.amdhsa_exception_fp_ieee_overflow 0
		.amdhsa_exception_fp_ieee_underflow 0
		.amdhsa_exception_fp_ieee_inexact 0
		.amdhsa_exception_int_div_zero 0
	.end_amdhsa_kernel
	.section	.text._ZN4vllm25paged_attention_v2_kernelIthLi32ELi16ELi128ELNS_18Fp8KVCacheDataTypeE1ELb0ELi512EEEvPfS2_PT_PKS3_PKT0_S9_ifPKiSB_iPKfiiiSD_SD_iiiii,"axG",@progbits,_ZN4vllm25paged_attention_v2_kernelIthLi32ELi16ELi128ELNS_18Fp8KVCacheDataTypeE1ELb0ELi512EEEvPfS2_PT_PKS3_PKT0_S9_ifPKiSB_iPKfiiiSD_SD_iiiii,comdat
.Lfunc_end290:
	.size	_ZN4vllm25paged_attention_v2_kernelIthLi32ELi16ELi128ELNS_18Fp8KVCacheDataTypeE1ELb0ELi512EEEvPfS2_PT_PKS3_PKT0_S9_ifPKiSB_iPKfiiiSD_SD_iiiii, .Lfunc_end290-_ZN4vllm25paged_attention_v2_kernelIthLi32ELi16ELi128ELNS_18Fp8KVCacheDataTypeE1ELb0ELi512EEEvPfS2_PT_PKS3_PKT0_S9_ifPKiSB_iPKfiiiSD_SD_iiiii
                                        ; -- End function
	.set _ZN4vllm25paged_attention_v2_kernelIthLi32ELi16ELi128ELNS_18Fp8KVCacheDataTypeE1ELb0ELi512EEEvPfS2_PT_PKS3_PKT0_S9_ifPKiSB_iPKfiiiSD_SD_iiiii.num_vgpr, 54
	.set _ZN4vllm25paged_attention_v2_kernelIthLi32ELi16ELi128ELNS_18Fp8KVCacheDataTypeE1ELb0ELi512EEEvPfS2_PT_PKS3_PKT0_S9_ifPKiSB_iPKfiiiSD_SD_iiiii.num_agpr, 0
	.set _ZN4vllm25paged_attention_v2_kernelIthLi32ELi16ELi128ELNS_18Fp8KVCacheDataTypeE1ELb0ELi512EEEvPfS2_PT_PKS3_PKT0_S9_ifPKiSB_iPKfiiiSD_SD_iiiii.numbered_sgpr, 43
	.set _ZN4vllm25paged_attention_v2_kernelIthLi32ELi16ELi128ELNS_18Fp8KVCacheDataTypeE1ELb0ELi512EEEvPfS2_PT_PKS3_PKT0_S9_ifPKiSB_iPKfiiiSD_SD_iiiii.num_named_barrier, 0
	.set _ZN4vllm25paged_attention_v2_kernelIthLi32ELi16ELi128ELNS_18Fp8KVCacheDataTypeE1ELb0ELi512EEEvPfS2_PT_PKS3_PKT0_S9_ifPKiSB_iPKfiiiSD_SD_iiiii.private_seg_size, 0
	.set _ZN4vllm25paged_attention_v2_kernelIthLi32ELi16ELi128ELNS_18Fp8KVCacheDataTypeE1ELb0ELi512EEEvPfS2_PT_PKS3_PKT0_S9_ifPKiSB_iPKfiiiSD_SD_iiiii.uses_vcc, 1
	.set _ZN4vllm25paged_attention_v2_kernelIthLi32ELi16ELi128ELNS_18Fp8KVCacheDataTypeE1ELb0ELi512EEEvPfS2_PT_PKS3_PKT0_S9_ifPKiSB_iPKfiiiSD_SD_iiiii.uses_flat_scratch, 0
	.set _ZN4vllm25paged_attention_v2_kernelIthLi32ELi16ELi128ELNS_18Fp8KVCacheDataTypeE1ELb0ELi512EEEvPfS2_PT_PKS3_PKT0_S9_ifPKiSB_iPKfiiiSD_SD_iiiii.has_dyn_sized_stack, 0
	.set _ZN4vllm25paged_attention_v2_kernelIthLi32ELi16ELi128ELNS_18Fp8KVCacheDataTypeE1ELb0ELi512EEEvPfS2_PT_PKS3_PKT0_S9_ifPKiSB_iPKfiiiSD_SD_iiiii.has_recursion, 0
	.set _ZN4vllm25paged_attention_v2_kernelIthLi32ELi16ELi128ELNS_18Fp8KVCacheDataTypeE1ELb0ELi512EEEvPfS2_PT_PKS3_PKT0_S9_ifPKiSB_iPKfiiiSD_SD_iiiii.has_indirect_call, 0
	.section	.AMDGPU.csdata,"",@progbits
; Kernel info:
; codeLenInByte = 11152
; TotalNumSgprs: 45
; NumVgprs: 54
; ScratchSize: 0
; MemoryBound: 0
; FloatMode: 240
; IeeeMode: 1
; LDSByteSize: 96 bytes/workgroup (compile time only)
; SGPRBlocks: 0
; VGPRBlocks: 6
; NumSGPRsForWavesPerEU: 45
; NumVGPRsForWavesPerEU: 54
; Occupancy: 16
; WaveLimiterHint : 1
; COMPUTE_PGM_RSRC2:SCRATCH_EN: 0
; COMPUTE_PGM_RSRC2:USER_SGPR: 6
; COMPUTE_PGM_RSRC2:TRAP_HANDLER: 0
; COMPUTE_PGM_RSRC2:TGID_X_EN: 1
; COMPUTE_PGM_RSRC2:TGID_Y_EN: 1
; COMPUTE_PGM_RSRC2:TGID_Z_EN: 1
; COMPUTE_PGM_RSRC2:TIDIG_COMP_CNT: 0
	.section	.text._ZN4vllm25paged_attention_v2_kernelIthLi64ELi16ELi128ELNS_18Fp8KVCacheDataTypeE1ELb0ELi512EEEvPfS2_PT_PKS3_PKT0_S9_ifPKiSB_iPKfiiiSD_SD_iiiii,"axG",@progbits,_ZN4vllm25paged_attention_v2_kernelIthLi64ELi16ELi128ELNS_18Fp8KVCacheDataTypeE1ELb0ELi512EEEvPfS2_PT_PKS3_PKT0_S9_ifPKiSB_iPKfiiiSD_SD_iiiii,comdat
	.protected	_ZN4vllm25paged_attention_v2_kernelIthLi64ELi16ELi128ELNS_18Fp8KVCacheDataTypeE1ELb0ELi512EEEvPfS2_PT_PKS3_PKT0_S9_ifPKiSB_iPKfiiiSD_SD_iiiii ; -- Begin function _ZN4vllm25paged_attention_v2_kernelIthLi64ELi16ELi128ELNS_18Fp8KVCacheDataTypeE1ELb0ELi512EEEvPfS2_PT_PKS3_PKT0_S9_ifPKiSB_iPKfiiiSD_SD_iiiii
	.globl	_ZN4vllm25paged_attention_v2_kernelIthLi64ELi16ELi128ELNS_18Fp8KVCacheDataTypeE1ELb0ELi512EEEvPfS2_PT_PKS3_PKT0_S9_ifPKiSB_iPKfiiiSD_SD_iiiii
	.p2align	8
	.type	_ZN4vllm25paged_attention_v2_kernelIthLi64ELi16ELi128ELNS_18Fp8KVCacheDataTypeE1ELb0ELi512EEEvPfS2_PT_PKS3_PKT0_S9_ifPKiSB_iPKfiiiSD_SD_iiiii,@function
_ZN4vllm25paged_attention_v2_kernelIthLi64ELi16ELi128ELNS_18Fp8KVCacheDataTypeE1ELb0ELi512EEEvPfS2_PT_PKS3_PKT0_S9_ifPKiSB_iPKfiiiSD_SD_iiiii: ; @_ZN4vllm25paged_attention_v2_kernelIthLi64ELi16ELi128ELNS_18Fp8KVCacheDataTypeE1ELb0ELi512EEEvPfS2_PT_PKS3_PKT0_S9_ifPKiSB_iPKfiiiSD_SD_iiiii
; %bb.0:
	s_load_dwordx2 s[0:1], s[4:5], 0x40
	s_mov_b32 s26, s7
	s_ashr_i32 s27, s7, 31
	s_lshl_b64 s[2:3], s[26:27], 2
	s_waitcnt lgkmcnt(0)
	s_add_u32 s0, s0, s2
	s_addc_u32 s1, s1, s3
	s_lshl_b32 s33, s8, 9
	s_load_dword s27, s[0:1], 0x0
	s_waitcnt lgkmcnt(0)
	s_cmp_ge_i32 s33, s27
	s_cbranch_scc1 .LBB291_574
; %bb.1:
	s_clause 0x1
	s_load_dword s9, s[4:5], 0x90
	s_load_dwordx2 s[36:37], s[4:5], 0x30
	s_waitcnt lgkmcnt(0)
	s_abs_i32 s3, s9
	s_abs_i32 s0, s36
	v_cvt_f32_u32_e32 v1, s0
	s_sub_i32 s2, 0, s0
	v_rcp_iflag_f32_e32 v1, v1
	v_mul_f32_e32 v1, 0x4f7ffffe, v1
	v_cvt_u32_f32_e32 v1, v1
	v_readfirstlane_b32 s1, v1
	s_mul_i32 s2, s2, s1
	s_mul_hi_u32 s2, s1, s2
	s_add_i32 s1, s1, s2
	s_xor_b32 s2, s9, s36
	s_mul_hi_u32 s1, s3, s1
	s_ashr_i32 s2, s2, 31
	s_mul_i32 s7, s1, s0
	s_mov_b32 s36, 0
	s_sub_i32 s3, s3, s7
	s_add_i32 s7, s1, 1
	s_sub_i32 s10, s3, s0
	s_cmp_ge_u32 s3, s0
	s_cselect_b32 s1, s7, s1
	s_cselect_b32 s3, s10, s3
	s_add_i32 s7, s1, 1
	s_cmp_ge_u32 s3, s0
	s_cselect_b32 s0, s7, s1
	s_abs_i32 s12, s6
	s_xor_b32 s0, s0, s2
	s_sub_i32 s10, s0, s2
	s_load_dwordx2 s[0:1], s[4:5], 0x50
	s_abs_i32 s2, s10
	v_cvt_f32_u32_e32 v1, s2
	s_sub_i32 s7, 0, s2
	v_rcp_iflag_f32_e32 v1, v1
	v_mul_f32_e32 v1, 0x4f7ffffe, v1
	v_cvt_u32_f32_e32 v1, v1
	v_readfirstlane_b32 s3, v1
	s_mul_i32 s7, s7, s3
	s_mul_hi_u32 s7, s3, s7
	s_add_i32 s3, s3, s7
	s_waitcnt lgkmcnt(0)
	s_cmp_eq_u64 s[0:1], 0
	s_mul_hi_u32 s3, s12, s3
	s_cbranch_scc1 .LBB291_3
; %bb.2:
	s_ashr_i32 s7, s6, 31
	s_lshl_b64 s[14:15], s[6:7], 2
	s_add_u32 s0, s0, s14
	s_addc_u32 s1, s1, s15
	s_load_dword s36, s[0:1], 0x0
.LBB291_3:
	s_load_dwordx4 s[16:19], s[4:5], 0x58
	v_lshrrev_b32_e32 v12, 1, v0
	v_and_b32_e32 v13, 1, v0
	v_lshlrev_b32_e32 v15, 3, v0
	s_ashr_i32 s0, s6, 31
	s_ashr_i32 s1, s10, 31
	s_lshl_b32 s10, s6, 6
	s_mov_b32 s7, exec_lo
	v_cmpx_gt_u32_e32 16, v0
	s_cbranch_execz .LBB291_5
; %bb.4:
	s_load_dwordx2 s[14:15], s[4:5], 0x18
	s_waitcnt lgkmcnt(0)
	s_mul_i32 s20, s16, s26
	v_lshlrev_b32_e32 v3, 3, v12
	s_ashr_i32 s21, s20, 31
	s_lshl_b64 s[20:21], s[20:21], 1
	v_lshl_add_u32 v3, v13, 6, v3
	s_add_u32 s13, s14, s20
	s_addc_u32 s16, s15, s21
	s_ashr_i32 s11, s10, 31
	s_lshl_b64 s[14:15], s[10:11], 1
	s_add_u32 s14, s13, s14
	s_addc_u32 s15, s16, s15
	global_load_dwordx2 v[1:2], v15, s[14:15]
	s_waitcnt vmcnt(0)
	ds_write_b64 v3, v[1:2]
.LBB291_5:
	s_or_b32 exec_lo, exec_lo, s7
	s_add_i32 s7, s27, 15
	s_clause 0x1
	s_load_dwordx2 s[28:29], s[4:5], 0x38
	s_load_dword s13, s[4:5], 0x48
	s_ashr_i32 s11, s7, 31
	s_waitcnt lgkmcnt(0)
	s_lshl_b32 s19, s8, 5
	s_lshr_b32 s11, s11, 28
	s_xor_b32 s0, s0, s1
	s_add_i32 s7, s7, s11
	s_add_i32 s1, s19, 32
	s_ashr_i32 s16, s7, 4
	s_mul_i32 s7, s3, s2
	s_min_i32 s11, s1, s16
	s_sub_i32 s1, s12, s7
	s_add_i32 s7, s3, 1
	s_sub_i32 s12, s1, s2
	s_cmp_ge_u32 s1, s2
	v_lshrrev_b32_e32 v14, 5, v0
	s_cselect_b32 s3, s7, s3
	s_cselect_b32 s1, s12, s1
	s_add_i32 s7, s3, 1
	s_cmp_ge_u32 s1, s2
	v_or_b32_e32 v1, s19, v14
	s_cselect_b32 s1, s7, s3
	v_mbcnt_lo_u32_b32 v16, -1, 0
	s_xor_b32 s1, s1, s0
	s_mul_i32 s30, s13, s26
	s_sub_i32 s1, s1, s0
	v_cmp_gt_i32_e64 s0, s11, v1
	s_ashr_i32 s31, s30, 31
	s_mov_b32 s2, exec_lo
	s_barrier
	buffer_gl0_inv
                                        ; implicit-def: $vgpr4
                                        ; implicit-def: $vgpr18
	v_cmpx_le_i32_e64 s11, v1
	s_xor_b32 s2, exec_lo, s2
; %bb.6:
	v_mov_b32_e32 v4, 0
	v_mbcnt_lo_u32_b32 v16, -1, 0
	v_mov_b32_e32 v18, 32
; %bb.7:
	s_or_saveexec_b32 s38, s2
	s_clause 0x4
	s_load_dwordx4 s[20:23], s[4:5], 0x0
	s_load_dwordx2 s[24:25], s[4:5], 0x10
	s_load_dword s7, s[4:5], 0x98
	s_load_dwordx2 s[34:35], s[4:5], 0x28
	s_load_dwordx4 s[12:15], s[4:5], 0x68
	v_mov_b32_e32 v17, 0xff7fffff
	v_ashrrev_i32_e32 v2, 31, v1
	s_mul_i32 s18, s1, s18
	s_xor_b32 exec_lo, exec_lo, s38
	s_cbranch_execz .LBB291_269
; %bb.8:
	s_load_dwordx2 s[2:3], s[4:5], 0x20
	v_bfe_u32 v3, v0, 1, 4
	v_lshlrev_b32_e32 v9, 4, v14
	s_ashr_i32 s4, s18, 31
	v_lshlrev_b32_e32 v6, 2, v13
	v_lshlrev_b64 v[7:8], 2, v[1:2]
	v_lshlrev_b32_e32 v5, 2, v3
	v_lshlrev_b32_e32 v10, 4, v3
	v_add3_u32 v20, s33, v9, v3
	v_mov_b32_e32 v4, 0
	v_lshlrev_b32_e32 v19, 6, v13
	v_lshl_or_b32 v5, v14, 6, v5
	v_cmp_neq_f32_e64 s1, s36, 0
	v_mov_b32_e32 v17, 0xff7fffff
	v_mov_b32_e32 v18, 32
	;; [unrolled: 1-line block ×3, first 2 shown]
	v_add_nc_u32_e32 v21, 0xa0, v5
	v_mov_b32_e32 v23, 0x7f
	v_mov_b32_e32 v24, 7
	;; [unrolled: 1-line block ×3, first 2 shown]
	s_waitcnt lgkmcnt(0)
	s_add_u32 s5, s2, s18
	s_addc_u32 s39, s3, s4
	v_add_co_u32 v3, s5, s5, v10
	v_add_co_ci_u32_e64 v9, null, s39, 0, s5
	s_lshl_b64 s[2:3], s[30:31], 2
	s_sub_i32 s4, 1, s27
	s_add_u32 s5, s28, s2
	v_add_co_u32 v5, s2, v3, v6
	s_addc_u32 s3, s29, s3
	v_add_co_ci_u32_e64 v6, null, 0, v9, s2
	v_add_co_u32 v7, s2, s5, v7
	v_add_co_ci_u32_e64 v8, null, s3, v8, s2
	v_mov_b32_e32 v26, v1
	s_mov_b32 s39, s17
	s_mov_b32 s5, 0
	v_cmp_eq_u32_e32 vcc_lo, 0, v13
	s_branch .LBB291_10
.LBB291_9:                              ;   in Loop: Header=BB291_10 Depth=1
	s_or_b32 exec_lo, exec_lo, s3
	v_add_nc_u32_e32 v26, 4, v26
	v_add_co_u32 v7, s3, v7, 16
	v_add_nc_u32_e32 v20, 64, v20
	v_add_nc_u32_e32 v21, 0x100, v21
	v_cmp_le_i32_e64 s2, s11, v26
	v_add_co_ci_u32_e64 v8, null, 0, v8, s3
	s_or_b32 s5, s2, s5
	s_andn2_b32 exec_lo, exec_lo, s5
	s_cbranch_execz .LBB291_268
.LBB291_10:                             ; =>This Inner Loop Header: Depth=1
	global_load_dword v3, v[7:8], off
	v_mov_b32_e32 v28, 0
	s_waitcnt vmcnt(0) lgkmcnt(0)
	v_mad_i64_i32 v[9:10], null, v3, s39, v[5:6]
	global_load_dword v11, v[9:10], off
	global_load_dword v27, v4, s[12:13]
	s_waitcnt vmcnt(1)
	v_cmp_ne_u16_sdwa s2, v11, v4 src0_sel:BYTE_0 src1_sel:DWORD
	s_and_saveexec_b32 s3, s2
	s_cbranch_execz .LBB291_18
; %bb.11:                               ;   in Loop: Header=BB291_10 Depth=1
	v_cmp_ne_u16_sdwa s2, v11, v22 src0_sel:BYTE_0 src1_sel:DWORD
	v_mov_b32_e32 v28, 0x8000
	s_and_saveexec_b32 s40, s2
	s_cbranch_execz .LBB291_17
; %bb.12:                               ;   in Loop: Header=BB291_10 Depth=1
	v_and_b32_e32 v29, 0x7f, v11
	v_mov_b32_e32 v28, 0x7c01
	s_mov_b32 s41, exec_lo
	v_cmpx_ne_u32_e32 0x7f, v29
	s_cbranch_execz .LBB291_16
; %bb.13:                               ;   in Loop: Header=BB291_10 Depth=1
	v_and_b32_e32 v3, 7, v11
	v_lshrrev_b32_e32 v28, 3, v29
	s_mov_b32 s42, exec_lo
	v_cmpx_gt_u32_e32 8, v29
; %bb.14:                               ;   in Loop: Header=BB291_10 Depth=1
	v_ffbh_u32_e32 v3, v3
	v_min_u32_e32 v3, 32, v3
	v_subrev_nc_u32_e32 v28, 28, v3
	v_lshlrev_b64 v[29:30], v28, v[11:12]
	v_sub_nc_u32_e32 v28, 29, v3
	v_and_b32_e32 v3, 7, v29
; %bb.15:                               ;   in Loop: Header=BB291_10 Depth=1
	s_or_b32 exec_lo, exec_lo, s42
	v_lshlrev_b32_e32 v29, 8, v11
	v_lshl_add_u32 v28, v28, 10, 0x2000
	v_lshlrev_b32_e32 v3, 7, v3
	v_and_b32_e32 v29, 0x8000, v29
	v_and_b32_e32 v28, 0xfc00, v28
	v_or3_b32 v28, v29, v28, v3
.LBB291_16:                             ;   in Loop: Header=BB291_10 Depth=1
	s_or_b32 exec_lo, exec_lo, s41
.LBB291_17:                             ;   in Loop: Header=BB291_10 Depth=1
	s_or_b32 exec_lo, exec_lo, s40
.LBB291_18:                             ;   in Loop: Header=BB291_10 Depth=1
	s_or_b32 exec_lo, exec_lo, s3
	v_lshrrev_b16 v3, 8, v11
	v_mov_b32_e32 v29, 0
	s_mov_b32 s3, exec_lo
	v_cmpx_ne_u16_e32 0, v3
	s_cbranch_execz .LBB291_26
; %bb.19:                               ;   in Loop: Header=BB291_10 Depth=1
	v_bfrev_b32_e32 v29, 1
	s_mov_b32 s40, exec_lo
	v_cmpx_ne_u16_e32 0x80, v3
	s_cbranch_execz .LBB291_25
; %bb.20:                               ;   in Loop: Header=BB291_10 Depth=1
	v_and_b32_sdwa v31, v3, v23 dst_sel:DWORD dst_unused:UNUSED_PAD src0_sel:WORD_0 src1_sel:DWORD
	v_mov_b32_e32 v29, 0x7c010000
	s_mov_b32 s41, exec_lo
	v_cmpx_ne_u32_e32 0x7f, v31
	s_cbranch_execz .LBB291_24
; %bb.21:                               ;   in Loop: Header=BB291_10 Depth=1
	v_and_b32_sdwa v29, v3, v24 dst_sel:DWORD dst_unused:UNUSED_PAD src0_sel:WORD_0 src1_sel:DWORD
	v_lshrrev_b32_e32 v30, 3, v31
	s_mov_b32 s42, exec_lo
	v_cmpx_gt_u32_e32 8, v31
; %bb.22:                               ;   in Loop: Header=BB291_10 Depth=1
	v_ffbh_u32_e32 v29, v29
	v_min_u32_e32 v31, 32, v29
	v_subrev_nc_u32_e32 v29, 28, v31
	v_lshlrev_b64 v[29:30], v29, v[3:4]
	v_sub_nc_u32_e32 v30, 29, v31
	v_and_b32_e32 v29, 7, v29
; %bb.23:                               ;   in Loop: Header=BB291_10 Depth=1
	s_or_b32 exec_lo, exec_lo, s42
	v_lshlrev_b32_sdwa v3, v25, v3 dst_sel:DWORD dst_unused:UNUSED_PAD src0_sel:DWORD src1_sel:WORD_0
	v_lshl_add_u32 v30, v30, 10, 0x2000
	v_lshlrev_b32_e32 v29, 23, v29
	v_and_or_b32 v3, 0x8000, v3, v30
	v_lshl_or_b32 v29, v3, 16, v29
.LBB291_24:                             ;   in Loop: Header=BB291_10 Depth=1
	s_or_b32 exec_lo, exec_lo, s41
.LBB291_25:                             ;   in Loop: Header=BB291_10 Depth=1
	s_or_b32 exec_lo, exec_lo, s40
.LBB291_26:                             ;   in Loop: Header=BB291_10 Depth=1
	s_or_b32 exec_lo, exec_lo, s3
	v_lshrrev_b32_e32 v3, 16, v11
	v_mov_b32_e32 v30, 0
	v_mov_b32_e32 v31, 0
	v_cmp_ne_u16_sdwa s2, v3, v4 src0_sel:BYTE_0 src1_sel:DWORD
	s_and_saveexec_b32 s3, s2
	s_cbranch_execz .LBB291_34
; %bb.27:                               ;   in Loop: Header=BB291_10 Depth=1
	v_cmp_ne_u16_sdwa s2, v3, v22 src0_sel:BYTE_0 src1_sel:DWORD
	v_mov_b32_e32 v31, 0x8000
	s_and_saveexec_b32 s40, s2
	s_cbranch_execz .LBB291_33
; %bb.28:                               ;   in Loop: Header=BB291_10 Depth=1
	v_bfe_u32 v33, v11, 16, 7
	v_mov_b32_e32 v31, 0x7c01
	s_mov_b32 s41, exec_lo
	v_cmpx_ne_u32_e32 0x7f, v33
	s_cbranch_execz .LBB291_32
; %bb.29:                               ;   in Loop: Header=BB291_10 Depth=1
	v_and_b32_e32 v31, 7, v3
	v_lshrrev_b32_e32 v32, 3, v33
	s_mov_b32 s42, exec_lo
	v_cmpx_gt_u32_e32 8, v33
; %bb.30:                               ;   in Loop: Header=BB291_10 Depth=1
	v_ffbh_u32_e32 v31, v31
	v_min_u32_e32 v33, 32, v31
	v_subrev_nc_u32_e32 v31, 28, v33
	v_lshlrev_b64 v[31:32], v31, v[3:4]
	v_sub_nc_u32_e32 v32, 29, v33
	v_and_b32_e32 v31, 7, v31
; %bb.31:                               ;   in Loop: Header=BB291_10 Depth=1
	s_or_b32 exec_lo, exec_lo, s42
	v_lshlrev_b32_e32 v3, 8, v3
	v_lshl_add_u32 v32, v32, 10, 0x2000
	v_lshlrev_b32_e32 v31, 7, v31
	v_and_b32_e32 v3, 0x8000, v3
	v_and_b32_e32 v32, 0xfc00, v32
	v_or3_b32 v31, v3, v32, v31
.LBB291_32:                             ;   in Loop: Header=BB291_10 Depth=1
	s_or_b32 exec_lo, exec_lo, s41
.LBB291_33:                             ;   in Loop: Header=BB291_10 Depth=1
	s_or_b32 exec_lo, exec_lo, s40
.LBB291_34:                             ;   in Loop: Header=BB291_10 Depth=1
	s_or_b32 exec_lo, exec_lo, s3
	s_mov_b32 s3, exec_lo
	v_cmpx_lt_u32_e32 0xffffff, v11
	s_cbranch_execz .LBB291_42
; %bb.35:                               ;   in Loop: Header=BB291_10 Depth=1
	v_lshrrev_b32_e32 v3, 24, v11
	v_bfrev_b32_e32 v30, 1
	s_mov_b32 s40, exec_lo
	v_cmpx_ne_u32_e32 0x80, v3
	s_cbranch_execz .LBB291_41
; %bb.36:                               ;   in Loop: Header=BB291_10 Depth=1
	v_and_b32_e32 v32, 0x7f, v3
	v_mov_b32_e32 v30, 0x7c010000
	s_mov_b32 s41, exec_lo
	v_cmpx_ne_u32_e32 0x7f, v32
	s_cbranch_execz .LBB291_40
; %bb.37:                               ;   in Loop: Header=BB291_10 Depth=1
	v_and_b32_e32 v11, 7, v3
	v_lshrrev_b32_e32 v30, 3, v32
	s_mov_b32 s42, exec_lo
	v_cmpx_gt_u32_e32 8, v32
; %bb.38:                               ;   in Loop: Header=BB291_10 Depth=1
	v_ffbh_u32_e32 v11, v11
	v_min_u32_e32 v11, 32, v11
	v_subrev_nc_u32_e32 v30, 28, v11
	v_lshlrev_b64 v[32:33], v30, v[3:4]
	v_sub_nc_u32_e32 v30, 29, v11
	v_and_b32_e32 v11, 7, v32
; %bb.39:                               ;   in Loop: Header=BB291_10 Depth=1
	s_or_b32 exec_lo, exec_lo, s42
	v_lshlrev_b32_e32 v3, 8, v3
	v_lshl_add_u32 v30, v30, 10, 0x2000
	v_lshlrev_b32_e32 v11, 23, v11
	v_and_or_b32 v3, 0x8000, v3, v30
	v_lshl_or_b32 v30, v3, 16, v11
.LBB291_40:                             ;   in Loop: Header=BB291_10 Depth=1
	s_or_b32 exec_lo, exec_lo, s41
.LBB291_41:                             ;   in Loop: Header=BB291_10 Depth=1
	s_or_b32 exec_lo, exec_lo, s40
.LBB291_42:                             ;   in Loop: Header=BB291_10 Depth=1
	s_or_b32 exec_lo, exec_lo, s3
	global_load_dword v11, v[9:10], off offset:8
	v_mov_b32_e32 v32, 0
	v_mov_b32_e32 v33, 0
	s_waitcnt vmcnt(0)
	v_cmp_ne_u16_sdwa s2, v11, v4 src0_sel:BYTE_0 src1_sel:DWORD
	s_and_saveexec_b32 s3, s2
	s_cbranch_execz .LBB291_50
; %bb.43:                               ;   in Loop: Header=BB291_10 Depth=1
	v_cmp_ne_u16_sdwa s2, v11, v22 src0_sel:BYTE_0 src1_sel:DWORD
	v_mov_b32_e32 v33, 0x8000
	s_and_saveexec_b32 s40, s2
	s_cbranch_execz .LBB291_49
; %bb.44:                               ;   in Loop: Header=BB291_10 Depth=1
	v_and_b32_e32 v34, 0x7f, v11
	v_mov_b32_e32 v33, 0x7c01
	s_mov_b32 s41, exec_lo
	v_cmpx_ne_u32_e32 0x7f, v34
	s_cbranch_execz .LBB291_48
; %bb.45:                               ;   in Loop: Header=BB291_10 Depth=1
	v_and_b32_e32 v3, 7, v11
	v_lshrrev_b32_e32 v33, 3, v34
	s_mov_b32 s42, exec_lo
	v_cmpx_gt_u32_e32 8, v34
; %bb.46:                               ;   in Loop: Header=BB291_10 Depth=1
	v_ffbh_u32_e32 v3, v3
	v_min_u32_e32 v3, 32, v3
	v_subrev_nc_u32_e32 v33, 28, v3
	v_lshlrev_b64 v[34:35], v33, v[11:12]
	v_sub_nc_u32_e32 v33, 29, v3
	v_and_b32_e32 v3, 7, v34
; %bb.47:                               ;   in Loop: Header=BB291_10 Depth=1
	s_or_b32 exec_lo, exec_lo, s42
	v_lshlrev_b32_e32 v34, 8, v11
	v_lshl_add_u32 v33, v33, 10, 0x2000
	v_lshlrev_b32_e32 v3, 7, v3
	v_and_b32_e32 v34, 0x8000, v34
	v_and_b32_e32 v33, 0xfc00, v33
	v_or3_b32 v33, v34, v33, v3
.LBB291_48:                             ;   in Loop: Header=BB291_10 Depth=1
	s_or_b32 exec_lo, exec_lo, s41
.LBB291_49:                             ;   in Loop: Header=BB291_10 Depth=1
	s_or_b32 exec_lo, exec_lo, s40
.LBB291_50:                             ;   in Loop: Header=BB291_10 Depth=1
	s_or_b32 exec_lo, exec_lo, s3
	v_lshrrev_b16 v3, 8, v11
	s_mov_b32 s3, exec_lo
	v_cmpx_ne_u16_e32 0, v3
	s_cbranch_execz .LBB291_58
; %bb.51:                               ;   in Loop: Header=BB291_10 Depth=1
	v_bfrev_b32_e32 v32, 1
	s_mov_b32 s40, exec_lo
	v_cmpx_ne_u16_e32 0x80, v3
	s_cbranch_execz .LBB291_57
; %bb.52:                               ;   in Loop: Header=BB291_10 Depth=1
	v_and_b32_sdwa v35, v3, v23 dst_sel:DWORD dst_unused:UNUSED_PAD src0_sel:WORD_0 src1_sel:DWORD
	v_mov_b32_e32 v32, 0x7c010000
	s_mov_b32 s41, exec_lo
	v_cmpx_ne_u32_e32 0x7f, v35
	s_cbranch_execz .LBB291_56
; %bb.53:                               ;   in Loop: Header=BB291_10 Depth=1
	v_and_b32_sdwa v32, v3, v24 dst_sel:DWORD dst_unused:UNUSED_PAD src0_sel:WORD_0 src1_sel:DWORD
	v_lshrrev_b32_e32 v34, 3, v35
	s_mov_b32 s42, exec_lo
	v_cmpx_gt_u32_e32 8, v35
; %bb.54:                               ;   in Loop: Header=BB291_10 Depth=1
	v_ffbh_u32_e32 v32, v32
	v_min_u32_e32 v32, 32, v32
	v_subrev_nc_u32_e32 v34, 28, v32
	v_lshlrev_b64 v[35:36], v34, v[3:4]
	v_sub_nc_u32_e32 v34, 29, v32
	v_and_b32_e32 v32, 7, v35
; %bb.55:                               ;   in Loop: Header=BB291_10 Depth=1
	s_or_b32 exec_lo, exec_lo, s42
	v_lshlrev_b32_sdwa v3, v25, v3 dst_sel:DWORD dst_unused:UNUSED_PAD src0_sel:DWORD src1_sel:WORD_0
	v_lshl_add_u32 v34, v34, 10, 0x2000
	v_lshlrev_b32_e32 v32, 23, v32
	v_and_or_b32 v3, 0x8000, v3, v34
	v_lshl_or_b32 v32, v3, 16, v32
.LBB291_56:                             ;   in Loop: Header=BB291_10 Depth=1
	s_or_b32 exec_lo, exec_lo, s41
.LBB291_57:                             ;   in Loop: Header=BB291_10 Depth=1
	s_or_b32 exec_lo, exec_lo, s40
.LBB291_58:                             ;   in Loop: Header=BB291_10 Depth=1
	s_or_b32 exec_lo, exec_lo, s3
	v_lshrrev_b32_e32 v3, 16, v11
	v_mov_b32_e32 v34, 0
	v_mov_b32_e32 v35, 0
	v_cmp_ne_u16_sdwa s2, v3, v4 src0_sel:BYTE_0 src1_sel:DWORD
	s_and_saveexec_b32 s3, s2
	s_cbranch_execz .LBB291_66
; %bb.59:                               ;   in Loop: Header=BB291_10 Depth=1
	v_cmp_ne_u16_sdwa s2, v3, v22 src0_sel:BYTE_0 src1_sel:DWORD
	v_mov_b32_e32 v35, 0x8000
	s_and_saveexec_b32 s40, s2
	s_cbranch_execz .LBB291_65
; %bb.60:                               ;   in Loop: Header=BB291_10 Depth=1
	v_bfe_u32 v37, v11, 16, 7
	v_mov_b32_e32 v35, 0x7c01
	s_mov_b32 s41, exec_lo
	v_cmpx_ne_u32_e32 0x7f, v37
	s_cbranch_execz .LBB291_64
; %bb.61:                               ;   in Loop: Header=BB291_10 Depth=1
	v_and_b32_e32 v35, 7, v3
	v_lshrrev_b32_e32 v36, 3, v37
	s_mov_b32 s42, exec_lo
	v_cmpx_gt_u32_e32 8, v37
; %bb.62:                               ;   in Loop: Header=BB291_10 Depth=1
	v_ffbh_u32_e32 v35, v35
	v_min_u32_e32 v37, 32, v35
	v_subrev_nc_u32_e32 v35, 28, v37
	v_lshlrev_b64 v[35:36], v35, v[3:4]
	v_sub_nc_u32_e32 v36, 29, v37
	v_and_b32_e32 v35, 7, v35
; %bb.63:                               ;   in Loop: Header=BB291_10 Depth=1
	s_or_b32 exec_lo, exec_lo, s42
	v_lshlrev_b32_e32 v3, 8, v3
	v_lshl_add_u32 v36, v36, 10, 0x2000
	v_lshlrev_b32_e32 v35, 7, v35
	v_and_b32_e32 v3, 0x8000, v3
	v_and_b32_e32 v36, 0xfc00, v36
	v_or3_b32 v35, v3, v36, v35
.LBB291_64:                             ;   in Loop: Header=BB291_10 Depth=1
	s_or_b32 exec_lo, exec_lo, s41
.LBB291_65:                             ;   in Loop: Header=BB291_10 Depth=1
	s_or_b32 exec_lo, exec_lo, s40
.LBB291_66:                             ;   in Loop: Header=BB291_10 Depth=1
	s_or_b32 exec_lo, exec_lo, s3
	s_mov_b32 s3, exec_lo
	v_cmpx_lt_u32_e32 0xffffff, v11
	s_cbranch_execz .LBB291_74
; %bb.67:                               ;   in Loop: Header=BB291_10 Depth=1
	v_lshrrev_b32_e32 v3, 24, v11
	v_bfrev_b32_e32 v34, 1
	s_mov_b32 s40, exec_lo
	v_cmpx_ne_u32_e32 0x80, v3
	s_cbranch_execz .LBB291_73
; %bb.68:                               ;   in Loop: Header=BB291_10 Depth=1
	v_and_b32_e32 v36, 0x7f, v3
	v_mov_b32_e32 v34, 0x7c010000
	s_mov_b32 s41, exec_lo
	v_cmpx_ne_u32_e32 0x7f, v36
	s_cbranch_execz .LBB291_72
; %bb.69:                               ;   in Loop: Header=BB291_10 Depth=1
	v_and_b32_e32 v11, 7, v3
	v_lshrrev_b32_e32 v34, 3, v36
	s_mov_b32 s42, exec_lo
	v_cmpx_gt_u32_e32 8, v36
; %bb.70:                               ;   in Loop: Header=BB291_10 Depth=1
	v_ffbh_u32_e32 v11, v11
	v_min_u32_e32 v11, 32, v11
	v_subrev_nc_u32_e32 v34, 28, v11
	v_lshlrev_b64 v[36:37], v34, v[3:4]
	v_sub_nc_u32_e32 v34, 29, v11
	v_and_b32_e32 v11, 7, v36
; %bb.71:                               ;   in Loop: Header=BB291_10 Depth=1
	s_or_b32 exec_lo, exec_lo, s42
	v_lshlrev_b32_e32 v3, 8, v3
	v_lshl_add_u32 v34, v34, 10, 0x2000
	v_lshlrev_b32_e32 v11, 23, v11
	v_and_or_b32 v3, 0x8000, v3, v34
	v_lshl_or_b32 v34, v3, 16, v11
.LBB291_72:                             ;   in Loop: Header=BB291_10 Depth=1
	s_or_b32 exec_lo, exec_lo, s41
.LBB291_73:                             ;   in Loop: Header=BB291_10 Depth=1
	s_or_b32 exec_lo, exec_lo, s40
.LBB291_74:                             ;   in Loop: Header=BB291_10 Depth=1
	s_or_b32 exec_lo, exec_lo, s3
	global_load_dword v11, v[9:10], off offset:256
	v_mov_b32_e32 v36, 0
	v_mov_b32_e32 v37, 0
	s_waitcnt vmcnt(0)
	v_cmp_ne_u16_sdwa s2, v11, v4 src0_sel:BYTE_0 src1_sel:DWORD
	s_and_saveexec_b32 s3, s2
	s_cbranch_execz .LBB291_82
; %bb.75:                               ;   in Loop: Header=BB291_10 Depth=1
	v_cmp_ne_u16_sdwa s2, v11, v22 src0_sel:BYTE_0 src1_sel:DWORD
	v_mov_b32_e32 v37, 0x8000
	s_and_saveexec_b32 s40, s2
	s_cbranch_execz .LBB291_81
; %bb.76:                               ;   in Loop: Header=BB291_10 Depth=1
	v_and_b32_e32 v38, 0x7f, v11
	v_mov_b32_e32 v37, 0x7c01
	s_mov_b32 s41, exec_lo
	v_cmpx_ne_u32_e32 0x7f, v38
	s_cbranch_execz .LBB291_80
; %bb.77:                               ;   in Loop: Header=BB291_10 Depth=1
	v_and_b32_e32 v3, 7, v11
	v_lshrrev_b32_e32 v37, 3, v38
	s_mov_b32 s42, exec_lo
	v_cmpx_gt_u32_e32 8, v38
; %bb.78:                               ;   in Loop: Header=BB291_10 Depth=1
	v_ffbh_u32_e32 v3, v3
	v_min_u32_e32 v3, 32, v3
	v_subrev_nc_u32_e32 v37, 28, v3
	v_lshlrev_b64 v[38:39], v37, v[11:12]
	v_sub_nc_u32_e32 v37, 29, v3
	v_and_b32_e32 v3, 7, v38
; %bb.79:                               ;   in Loop: Header=BB291_10 Depth=1
	s_or_b32 exec_lo, exec_lo, s42
	v_lshlrev_b32_e32 v38, 8, v11
	v_lshl_add_u32 v37, v37, 10, 0x2000
	v_lshlrev_b32_e32 v3, 7, v3
	v_and_b32_e32 v38, 0x8000, v38
	v_and_b32_e32 v37, 0xfc00, v37
	v_or3_b32 v37, v38, v37, v3
.LBB291_80:                             ;   in Loop: Header=BB291_10 Depth=1
	s_or_b32 exec_lo, exec_lo, s41
.LBB291_81:                             ;   in Loop: Header=BB291_10 Depth=1
	s_or_b32 exec_lo, exec_lo, s40
.LBB291_82:                             ;   in Loop: Header=BB291_10 Depth=1
	s_or_b32 exec_lo, exec_lo, s3
	v_lshrrev_b16 v3, 8, v11
	s_mov_b32 s3, exec_lo
	v_cmpx_ne_u16_e32 0, v3
	s_cbranch_execz .LBB291_90
; %bb.83:                               ;   in Loop: Header=BB291_10 Depth=1
	v_bfrev_b32_e32 v36, 1
	s_mov_b32 s40, exec_lo
	v_cmpx_ne_u16_e32 0x80, v3
	s_cbranch_execz .LBB291_89
; %bb.84:                               ;   in Loop: Header=BB291_10 Depth=1
	v_and_b32_sdwa v39, v3, v23 dst_sel:DWORD dst_unused:UNUSED_PAD src0_sel:WORD_0 src1_sel:DWORD
	v_mov_b32_e32 v36, 0x7c010000
	s_mov_b32 s41, exec_lo
	v_cmpx_ne_u32_e32 0x7f, v39
	s_cbranch_execz .LBB291_88
; %bb.85:                               ;   in Loop: Header=BB291_10 Depth=1
	v_and_b32_sdwa v36, v3, v24 dst_sel:DWORD dst_unused:UNUSED_PAD src0_sel:WORD_0 src1_sel:DWORD
	v_lshrrev_b32_e32 v38, 3, v39
	s_mov_b32 s42, exec_lo
	v_cmpx_gt_u32_e32 8, v39
; %bb.86:                               ;   in Loop: Header=BB291_10 Depth=1
	v_ffbh_u32_e32 v36, v36
	v_min_u32_e32 v36, 32, v36
	v_subrev_nc_u32_e32 v38, 28, v36
	v_lshlrev_b64 v[39:40], v38, v[3:4]
	v_sub_nc_u32_e32 v38, 29, v36
	v_and_b32_e32 v36, 7, v39
; %bb.87:                               ;   in Loop: Header=BB291_10 Depth=1
	s_or_b32 exec_lo, exec_lo, s42
	v_lshlrev_b32_sdwa v3, v25, v3 dst_sel:DWORD dst_unused:UNUSED_PAD src0_sel:DWORD src1_sel:WORD_0
	v_lshl_add_u32 v38, v38, 10, 0x2000
	v_lshlrev_b32_e32 v36, 23, v36
	v_and_or_b32 v3, 0x8000, v3, v38
	v_lshl_or_b32 v36, v3, 16, v36
.LBB291_88:                             ;   in Loop: Header=BB291_10 Depth=1
	s_or_b32 exec_lo, exec_lo, s41
.LBB291_89:                             ;   in Loop: Header=BB291_10 Depth=1
	s_or_b32 exec_lo, exec_lo, s40
.LBB291_90:                             ;   in Loop: Header=BB291_10 Depth=1
	s_or_b32 exec_lo, exec_lo, s3
	v_lshrrev_b32_e32 v3, 16, v11
	v_mov_b32_e32 v38, 0
	v_mov_b32_e32 v39, 0
	v_cmp_ne_u16_sdwa s2, v3, v4 src0_sel:BYTE_0 src1_sel:DWORD
	s_and_saveexec_b32 s3, s2
	s_cbranch_execz .LBB291_98
; %bb.91:                               ;   in Loop: Header=BB291_10 Depth=1
	v_cmp_ne_u16_sdwa s2, v3, v22 src0_sel:BYTE_0 src1_sel:DWORD
	v_mov_b32_e32 v39, 0x8000
	s_and_saveexec_b32 s40, s2
	s_cbranch_execz .LBB291_97
; %bb.92:                               ;   in Loop: Header=BB291_10 Depth=1
	v_bfe_u32 v41, v11, 16, 7
	v_mov_b32_e32 v39, 0x7c01
	s_mov_b32 s41, exec_lo
	v_cmpx_ne_u32_e32 0x7f, v41
	s_cbranch_execz .LBB291_96
; %bb.93:                               ;   in Loop: Header=BB291_10 Depth=1
	v_and_b32_e32 v39, 7, v3
	v_lshrrev_b32_e32 v40, 3, v41
	s_mov_b32 s42, exec_lo
	v_cmpx_gt_u32_e32 8, v41
; %bb.94:                               ;   in Loop: Header=BB291_10 Depth=1
	v_ffbh_u32_e32 v39, v39
	v_min_u32_e32 v41, 32, v39
	v_subrev_nc_u32_e32 v39, 28, v41
	v_lshlrev_b64 v[39:40], v39, v[3:4]
	v_sub_nc_u32_e32 v40, 29, v41
	v_and_b32_e32 v39, 7, v39
; %bb.95:                               ;   in Loop: Header=BB291_10 Depth=1
	s_or_b32 exec_lo, exec_lo, s42
	v_lshlrev_b32_e32 v3, 8, v3
	v_lshl_add_u32 v40, v40, 10, 0x2000
	v_lshlrev_b32_e32 v39, 7, v39
	v_and_b32_e32 v3, 0x8000, v3
	v_and_b32_e32 v40, 0xfc00, v40
	v_or3_b32 v39, v3, v40, v39
.LBB291_96:                             ;   in Loop: Header=BB291_10 Depth=1
	s_or_b32 exec_lo, exec_lo, s41
.LBB291_97:                             ;   in Loop: Header=BB291_10 Depth=1
	s_or_b32 exec_lo, exec_lo, s40
.LBB291_98:                             ;   in Loop: Header=BB291_10 Depth=1
	s_or_b32 exec_lo, exec_lo, s3
	s_mov_b32 s3, exec_lo
	v_cmpx_lt_u32_e32 0xffffff, v11
	s_cbranch_execz .LBB291_106
; %bb.99:                               ;   in Loop: Header=BB291_10 Depth=1
	v_lshrrev_b32_e32 v3, 24, v11
	v_bfrev_b32_e32 v38, 1
	s_mov_b32 s40, exec_lo
	v_cmpx_ne_u32_e32 0x80, v3
	s_cbranch_execz .LBB291_105
; %bb.100:                              ;   in Loop: Header=BB291_10 Depth=1
	v_and_b32_e32 v40, 0x7f, v3
	v_mov_b32_e32 v38, 0x7c010000
	s_mov_b32 s41, exec_lo
	v_cmpx_ne_u32_e32 0x7f, v40
	s_cbranch_execz .LBB291_104
; %bb.101:                              ;   in Loop: Header=BB291_10 Depth=1
	v_and_b32_e32 v11, 7, v3
	v_lshrrev_b32_e32 v38, 3, v40
	s_mov_b32 s42, exec_lo
	v_cmpx_gt_u32_e32 8, v40
; %bb.102:                              ;   in Loop: Header=BB291_10 Depth=1
	v_ffbh_u32_e32 v11, v11
	v_min_u32_e32 v11, 32, v11
	v_subrev_nc_u32_e32 v38, 28, v11
	v_lshlrev_b64 v[40:41], v38, v[3:4]
	v_sub_nc_u32_e32 v38, 29, v11
	v_and_b32_e32 v11, 7, v40
; %bb.103:                              ;   in Loop: Header=BB291_10 Depth=1
	s_or_b32 exec_lo, exec_lo, s42
	v_lshlrev_b32_e32 v3, 8, v3
	v_lshl_add_u32 v38, v38, 10, 0x2000
	v_lshlrev_b32_e32 v11, 23, v11
	v_and_or_b32 v3, 0x8000, v3, v38
	v_lshl_or_b32 v38, v3, 16, v11
.LBB291_104:                            ;   in Loop: Header=BB291_10 Depth=1
	s_or_b32 exec_lo, exec_lo, s41
.LBB291_105:                            ;   in Loop: Header=BB291_10 Depth=1
	s_or_b32 exec_lo, exec_lo, s40
.LBB291_106:                            ;   in Loop: Header=BB291_10 Depth=1
	s_or_b32 exec_lo, exec_lo, s3
	global_load_dword v11, v[9:10], off offset:264
	v_mov_b32_e32 v40, 0
	v_mov_b32_e32 v41, 0
	s_waitcnt vmcnt(0)
	v_cmp_ne_u16_sdwa s2, v11, v4 src0_sel:BYTE_0 src1_sel:DWORD
	s_and_saveexec_b32 s3, s2
	s_cbranch_execz .LBB291_114
; %bb.107:                              ;   in Loop: Header=BB291_10 Depth=1
	v_cmp_ne_u16_sdwa s2, v11, v22 src0_sel:BYTE_0 src1_sel:DWORD
	v_mov_b32_e32 v41, 0x8000
	s_and_saveexec_b32 s40, s2
	s_cbranch_execz .LBB291_113
; %bb.108:                              ;   in Loop: Header=BB291_10 Depth=1
	v_and_b32_e32 v42, 0x7f, v11
	v_mov_b32_e32 v41, 0x7c01
	s_mov_b32 s41, exec_lo
	v_cmpx_ne_u32_e32 0x7f, v42
	s_cbranch_execz .LBB291_112
; %bb.109:                              ;   in Loop: Header=BB291_10 Depth=1
	v_and_b32_e32 v3, 7, v11
	v_lshrrev_b32_e32 v41, 3, v42
	s_mov_b32 s42, exec_lo
	v_cmpx_gt_u32_e32 8, v42
; %bb.110:                              ;   in Loop: Header=BB291_10 Depth=1
	v_ffbh_u32_e32 v3, v3
	v_min_u32_e32 v3, 32, v3
	v_subrev_nc_u32_e32 v41, 28, v3
	v_lshlrev_b64 v[42:43], v41, v[11:12]
	v_sub_nc_u32_e32 v41, 29, v3
	v_and_b32_e32 v3, 7, v42
; %bb.111:                              ;   in Loop: Header=BB291_10 Depth=1
	s_or_b32 exec_lo, exec_lo, s42
	v_lshlrev_b32_e32 v42, 8, v11
	v_lshl_add_u32 v41, v41, 10, 0x2000
	v_lshlrev_b32_e32 v3, 7, v3
	v_and_b32_e32 v42, 0x8000, v42
	v_and_b32_e32 v41, 0xfc00, v41
	v_or3_b32 v41, v42, v41, v3
.LBB291_112:                            ;   in Loop: Header=BB291_10 Depth=1
	s_or_b32 exec_lo, exec_lo, s41
.LBB291_113:                            ;   in Loop: Header=BB291_10 Depth=1
	s_or_b32 exec_lo, exec_lo, s40
.LBB291_114:                            ;   in Loop: Header=BB291_10 Depth=1
	s_or_b32 exec_lo, exec_lo, s3
	v_lshrrev_b16 v3, 8, v11
	s_mov_b32 s3, exec_lo
	v_cmpx_ne_u16_e32 0, v3
	s_cbranch_execz .LBB291_122
; %bb.115:                              ;   in Loop: Header=BB291_10 Depth=1
	v_bfrev_b32_e32 v40, 1
	s_mov_b32 s40, exec_lo
	v_cmpx_ne_u16_e32 0x80, v3
	s_cbranch_execz .LBB291_121
; %bb.116:                              ;   in Loop: Header=BB291_10 Depth=1
	v_and_b32_sdwa v43, v3, v23 dst_sel:DWORD dst_unused:UNUSED_PAD src0_sel:WORD_0 src1_sel:DWORD
	v_mov_b32_e32 v40, 0x7c010000
	s_mov_b32 s41, exec_lo
	v_cmpx_ne_u32_e32 0x7f, v43
	s_cbranch_execz .LBB291_120
; %bb.117:                              ;   in Loop: Header=BB291_10 Depth=1
	v_and_b32_sdwa v40, v3, v24 dst_sel:DWORD dst_unused:UNUSED_PAD src0_sel:WORD_0 src1_sel:DWORD
	v_lshrrev_b32_e32 v42, 3, v43
	s_mov_b32 s42, exec_lo
	v_cmpx_gt_u32_e32 8, v43
; %bb.118:                              ;   in Loop: Header=BB291_10 Depth=1
	v_ffbh_u32_e32 v40, v40
	v_min_u32_e32 v40, 32, v40
	v_subrev_nc_u32_e32 v42, 28, v40
	v_lshlrev_b64 v[43:44], v42, v[3:4]
	v_sub_nc_u32_e32 v42, 29, v40
	v_and_b32_e32 v40, 7, v43
; %bb.119:                              ;   in Loop: Header=BB291_10 Depth=1
	s_or_b32 exec_lo, exec_lo, s42
	v_lshlrev_b32_sdwa v3, v25, v3 dst_sel:DWORD dst_unused:UNUSED_PAD src0_sel:DWORD src1_sel:WORD_0
	v_lshl_add_u32 v42, v42, 10, 0x2000
	v_lshlrev_b32_e32 v40, 23, v40
	v_and_or_b32 v3, 0x8000, v3, v42
	v_lshl_or_b32 v40, v3, 16, v40
.LBB291_120:                            ;   in Loop: Header=BB291_10 Depth=1
	s_or_b32 exec_lo, exec_lo, s41
.LBB291_121:                            ;   in Loop: Header=BB291_10 Depth=1
	s_or_b32 exec_lo, exec_lo, s40
.LBB291_122:                            ;   in Loop: Header=BB291_10 Depth=1
	s_or_b32 exec_lo, exec_lo, s3
	v_lshrrev_b32_e32 v3, 16, v11
	v_mov_b32_e32 v42, 0
	v_mov_b32_e32 v43, 0
	v_cmp_ne_u16_sdwa s2, v3, v4 src0_sel:BYTE_0 src1_sel:DWORD
	s_and_saveexec_b32 s3, s2
	s_cbranch_execz .LBB291_130
; %bb.123:                              ;   in Loop: Header=BB291_10 Depth=1
	v_cmp_ne_u16_sdwa s2, v3, v22 src0_sel:BYTE_0 src1_sel:DWORD
	v_mov_b32_e32 v43, 0x8000
	s_and_saveexec_b32 s40, s2
	s_cbranch_execz .LBB291_129
; %bb.124:                              ;   in Loop: Header=BB291_10 Depth=1
	v_bfe_u32 v45, v11, 16, 7
	v_mov_b32_e32 v43, 0x7c01
	s_mov_b32 s41, exec_lo
	v_cmpx_ne_u32_e32 0x7f, v45
	s_cbranch_execz .LBB291_128
; %bb.125:                              ;   in Loop: Header=BB291_10 Depth=1
	v_and_b32_e32 v43, 7, v3
	v_lshrrev_b32_e32 v44, 3, v45
	s_mov_b32 s42, exec_lo
	v_cmpx_gt_u32_e32 8, v45
; %bb.126:                              ;   in Loop: Header=BB291_10 Depth=1
	v_ffbh_u32_e32 v43, v43
	v_min_u32_e32 v45, 32, v43
	v_subrev_nc_u32_e32 v43, 28, v45
	v_lshlrev_b64 v[43:44], v43, v[3:4]
	v_sub_nc_u32_e32 v44, 29, v45
	v_and_b32_e32 v43, 7, v43
; %bb.127:                              ;   in Loop: Header=BB291_10 Depth=1
	s_or_b32 exec_lo, exec_lo, s42
	v_lshlrev_b32_e32 v3, 8, v3
	v_lshl_add_u32 v44, v44, 10, 0x2000
	v_lshlrev_b32_e32 v43, 7, v43
	v_and_b32_e32 v3, 0x8000, v3
	v_and_b32_e32 v44, 0xfc00, v44
	v_or3_b32 v43, v3, v44, v43
.LBB291_128:                            ;   in Loop: Header=BB291_10 Depth=1
	s_or_b32 exec_lo, exec_lo, s41
.LBB291_129:                            ;   in Loop: Header=BB291_10 Depth=1
	s_or_b32 exec_lo, exec_lo, s40
.LBB291_130:                            ;   in Loop: Header=BB291_10 Depth=1
	s_or_b32 exec_lo, exec_lo, s3
	s_mov_b32 s3, exec_lo
	v_cmpx_lt_u32_e32 0xffffff, v11
	s_cbranch_execz .LBB291_138
; %bb.131:                              ;   in Loop: Header=BB291_10 Depth=1
	v_lshrrev_b32_e32 v3, 24, v11
	v_bfrev_b32_e32 v42, 1
	s_mov_b32 s40, exec_lo
	v_cmpx_ne_u32_e32 0x80, v3
	s_cbranch_execz .LBB291_137
; %bb.132:                              ;   in Loop: Header=BB291_10 Depth=1
	v_and_b32_e32 v44, 0x7f, v3
	v_mov_b32_e32 v42, 0x7c010000
	s_mov_b32 s41, exec_lo
	v_cmpx_ne_u32_e32 0x7f, v44
	s_cbranch_execz .LBB291_136
; %bb.133:                              ;   in Loop: Header=BB291_10 Depth=1
	v_and_b32_e32 v11, 7, v3
	v_lshrrev_b32_e32 v42, 3, v44
	s_mov_b32 s42, exec_lo
	v_cmpx_gt_u32_e32 8, v44
; %bb.134:                              ;   in Loop: Header=BB291_10 Depth=1
	v_ffbh_u32_e32 v11, v11
	v_min_u32_e32 v11, 32, v11
	v_subrev_nc_u32_e32 v42, 28, v11
	v_lshlrev_b64 v[44:45], v42, v[3:4]
	v_sub_nc_u32_e32 v42, 29, v11
	v_and_b32_e32 v11, 7, v44
; %bb.135:                              ;   in Loop: Header=BB291_10 Depth=1
	s_or_b32 exec_lo, exec_lo, s42
	v_lshlrev_b32_e32 v3, 8, v3
	v_lshl_add_u32 v42, v42, 10, 0x2000
	v_lshlrev_b32_e32 v11, 23, v11
	v_and_or_b32 v3, 0x8000, v3, v42
	v_lshl_or_b32 v42, v3, 16, v11
.LBB291_136:                            ;   in Loop: Header=BB291_10 Depth=1
	s_or_b32 exec_lo, exec_lo, s41
.LBB291_137:                            ;   in Loop: Header=BB291_10 Depth=1
	s_or_b32 exec_lo, exec_lo, s40
.LBB291_138:                            ;   in Loop: Header=BB291_10 Depth=1
	s_or_b32 exec_lo, exec_lo, s3
	global_load_dword v11, v[9:10], off offset:512
	v_mov_b32_e32 v44, 0
	v_mov_b32_e32 v45, 0
	s_waitcnt vmcnt(0)
	v_cmp_ne_u16_sdwa s2, v11, v4 src0_sel:BYTE_0 src1_sel:DWORD
	s_and_saveexec_b32 s3, s2
	s_cbranch_execz .LBB291_146
; %bb.139:                              ;   in Loop: Header=BB291_10 Depth=1
	v_cmp_ne_u16_sdwa s2, v11, v22 src0_sel:BYTE_0 src1_sel:DWORD
	v_mov_b32_e32 v45, 0x8000
	s_and_saveexec_b32 s40, s2
	s_cbranch_execz .LBB291_145
; %bb.140:                              ;   in Loop: Header=BB291_10 Depth=1
	v_and_b32_e32 v46, 0x7f, v11
	v_mov_b32_e32 v45, 0x7c01
	s_mov_b32 s41, exec_lo
	v_cmpx_ne_u32_e32 0x7f, v46
	s_cbranch_execz .LBB291_144
; %bb.141:                              ;   in Loop: Header=BB291_10 Depth=1
	v_and_b32_e32 v3, 7, v11
	v_lshrrev_b32_e32 v45, 3, v46
	s_mov_b32 s42, exec_lo
	v_cmpx_gt_u32_e32 8, v46
; %bb.142:                              ;   in Loop: Header=BB291_10 Depth=1
	v_ffbh_u32_e32 v3, v3
	v_min_u32_e32 v3, 32, v3
	v_subrev_nc_u32_e32 v45, 28, v3
	v_lshlrev_b64 v[46:47], v45, v[11:12]
	v_sub_nc_u32_e32 v45, 29, v3
	v_and_b32_e32 v3, 7, v46
; %bb.143:                              ;   in Loop: Header=BB291_10 Depth=1
	s_or_b32 exec_lo, exec_lo, s42
	v_lshlrev_b32_e32 v46, 8, v11
	v_lshl_add_u32 v45, v45, 10, 0x2000
	v_lshlrev_b32_e32 v3, 7, v3
	v_and_b32_e32 v46, 0x8000, v46
	v_and_b32_e32 v45, 0xfc00, v45
	v_or3_b32 v45, v46, v45, v3
.LBB291_144:                            ;   in Loop: Header=BB291_10 Depth=1
	s_or_b32 exec_lo, exec_lo, s41
.LBB291_145:                            ;   in Loop: Header=BB291_10 Depth=1
	s_or_b32 exec_lo, exec_lo, s40
.LBB291_146:                            ;   in Loop: Header=BB291_10 Depth=1
	s_or_b32 exec_lo, exec_lo, s3
	v_lshrrev_b16 v3, 8, v11
	s_mov_b32 s3, exec_lo
	v_cmpx_ne_u16_e32 0, v3
	s_cbranch_execz .LBB291_154
; %bb.147:                              ;   in Loop: Header=BB291_10 Depth=1
	v_bfrev_b32_e32 v44, 1
	s_mov_b32 s40, exec_lo
	v_cmpx_ne_u16_e32 0x80, v3
	s_cbranch_execz .LBB291_153
; %bb.148:                              ;   in Loop: Header=BB291_10 Depth=1
	v_and_b32_sdwa v47, v3, v23 dst_sel:DWORD dst_unused:UNUSED_PAD src0_sel:WORD_0 src1_sel:DWORD
	v_mov_b32_e32 v44, 0x7c010000
	s_mov_b32 s41, exec_lo
	v_cmpx_ne_u32_e32 0x7f, v47
	s_cbranch_execz .LBB291_152
; %bb.149:                              ;   in Loop: Header=BB291_10 Depth=1
	v_and_b32_sdwa v44, v3, v24 dst_sel:DWORD dst_unused:UNUSED_PAD src0_sel:WORD_0 src1_sel:DWORD
	v_lshrrev_b32_e32 v46, 3, v47
	s_mov_b32 s42, exec_lo
	v_cmpx_gt_u32_e32 8, v47
; %bb.150:                              ;   in Loop: Header=BB291_10 Depth=1
	v_ffbh_u32_e32 v44, v44
	v_min_u32_e32 v44, 32, v44
	v_subrev_nc_u32_e32 v46, 28, v44
	v_lshlrev_b64 v[47:48], v46, v[3:4]
	v_sub_nc_u32_e32 v46, 29, v44
	v_and_b32_e32 v44, 7, v47
; %bb.151:                              ;   in Loop: Header=BB291_10 Depth=1
	s_or_b32 exec_lo, exec_lo, s42
	v_lshlrev_b32_sdwa v3, v25, v3 dst_sel:DWORD dst_unused:UNUSED_PAD src0_sel:DWORD src1_sel:WORD_0
	v_lshl_add_u32 v46, v46, 10, 0x2000
	v_lshlrev_b32_e32 v44, 23, v44
	v_and_or_b32 v3, 0x8000, v3, v46
	v_lshl_or_b32 v44, v3, 16, v44
.LBB291_152:                            ;   in Loop: Header=BB291_10 Depth=1
	s_or_b32 exec_lo, exec_lo, s41
.LBB291_153:                            ;   in Loop: Header=BB291_10 Depth=1
	s_or_b32 exec_lo, exec_lo, s40
.LBB291_154:                            ;   in Loop: Header=BB291_10 Depth=1
	s_or_b32 exec_lo, exec_lo, s3
	v_lshrrev_b32_e32 v3, 16, v11
	v_mov_b32_e32 v46, 0
	v_mov_b32_e32 v47, 0
	v_cmp_ne_u16_sdwa s2, v3, v4 src0_sel:BYTE_0 src1_sel:DWORD
	s_and_saveexec_b32 s3, s2
	s_cbranch_execz .LBB291_162
; %bb.155:                              ;   in Loop: Header=BB291_10 Depth=1
	v_cmp_ne_u16_sdwa s2, v3, v22 src0_sel:BYTE_0 src1_sel:DWORD
	v_mov_b32_e32 v47, 0x8000
	s_and_saveexec_b32 s40, s2
	s_cbranch_execz .LBB291_161
; %bb.156:                              ;   in Loop: Header=BB291_10 Depth=1
	v_bfe_u32 v49, v11, 16, 7
	v_mov_b32_e32 v47, 0x7c01
	s_mov_b32 s41, exec_lo
	v_cmpx_ne_u32_e32 0x7f, v49
	s_cbranch_execz .LBB291_160
; %bb.157:                              ;   in Loop: Header=BB291_10 Depth=1
	v_and_b32_e32 v47, 7, v3
	v_lshrrev_b32_e32 v48, 3, v49
	s_mov_b32 s42, exec_lo
	v_cmpx_gt_u32_e32 8, v49
; %bb.158:                              ;   in Loop: Header=BB291_10 Depth=1
	v_ffbh_u32_e32 v47, v47
	v_min_u32_e32 v49, 32, v47
	v_subrev_nc_u32_e32 v47, 28, v49
	v_lshlrev_b64 v[47:48], v47, v[3:4]
	v_sub_nc_u32_e32 v48, 29, v49
	v_and_b32_e32 v47, 7, v47
; %bb.159:                              ;   in Loop: Header=BB291_10 Depth=1
	s_or_b32 exec_lo, exec_lo, s42
	v_lshlrev_b32_e32 v3, 8, v3
	v_lshl_add_u32 v48, v48, 10, 0x2000
	v_lshlrev_b32_e32 v47, 7, v47
	v_and_b32_e32 v3, 0x8000, v3
	v_and_b32_e32 v48, 0xfc00, v48
	v_or3_b32 v47, v3, v48, v47
.LBB291_160:                            ;   in Loop: Header=BB291_10 Depth=1
	s_or_b32 exec_lo, exec_lo, s41
.LBB291_161:                            ;   in Loop: Header=BB291_10 Depth=1
	s_or_b32 exec_lo, exec_lo, s40
.LBB291_162:                            ;   in Loop: Header=BB291_10 Depth=1
	s_or_b32 exec_lo, exec_lo, s3
	s_mov_b32 s3, exec_lo
	v_cmpx_lt_u32_e32 0xffffff, v11
	s_cbranch_execz .LBB291_170
; %bb.163:                              ;   in Loop: Header=BB291_10 Depth=1
	v_lshrrev_b32_e32 v3, 24, v11
	v_bfrev_b32_e32 v46, 1
	s_mov_b32 s40, exec_lo
	v_cmpx_ne_u32_e32 0x80, v3
	s_cbranch_execz .LBB291_169
; %bb.164:                              ;   in Loop: Header=BB291_10 Depth=1
	v_and_b32_e32 v48, 0x7f, v3
	v_mov_b32_e32 v46, 0x7c010000
	s_mov_b32 s41, exec_lo
	v_cmpx_ne_u32_e32 0x7f, v48
	s_cbranch_execz .LBB291_168
; %bb.165:                              ;   in Loop: Header=BB291_10 Depth=1
	v_and_b32_e32 v11, 7, v3
	v_lshrrev_b32_e32 v46, 3, v48
	s_mov_b32 s42, exec_lo
	v_cmpx_gt_u32_e32 8, v48
; %bb.166:                              ;   in Loop: Header=BB291_10 Depth=1
	v_ffbh_u32_e32 v11, v11
	v_min_u32_e32 v11, 32, v11
	v_subrev_nc_u32_e32 v46, 28, v11
	v_lshlrev_b64 v[48:49], v46, v[3:4]
	v_sub_nc_u32_e32 v46, 29, v11
	v_and_b32_e32 v11, 7, v48
; %bb.167:                              ;   in Loop: Header=BB291_10 Depth=1
	s_or_b32 exec_lo, exec_lo, s42
	v_lshlrev_b32_e32 v3, 8, v3
	v_lshl_add_u32 v46, v46, 10, 0x2000
	v_lshlrev_b32_e32 v11, 23, v11
	v_and_or_b32 v3, 0x8000, v3, v46
	v_lshl_or_b32 v46, v3, 16, v11
.LBB291_168:                            ;   in Loop: Header=BB291_10 Depth=1
	s_or_b32 exec_lo, exec_lo, s41
.LBB291_169:                            ;   in Loop: Header=BB291_10 Depth=1
	s_or_b32 exec_lo, exec_lo, s40
.LBB291_170:                            ;   in Loop: Header=BB291_10 Depth=1
	s_or_b32 exec_lo, exec_lo, s3
	global_load_dword v11, v[9:10], off offset:520
	v_mov_b32_e32 v48, 0
	v_mov_b32_e32 v49, 0
	s_waitcnt vmcnt(0)
	v_cmp_ne_u16_sdwa s2, v11, v4 src0_sel:BYTE_0 src1_sel:DWORD
	s_and_saveexec_b32 s3, s2
	s_cbranch_execz .LBB291_178
; %bb.171:                              ;   in Loop: Header=BB291_10 Depth=1
	v_cmp_ne_u16_sdwa s2, v11, v22 src0_sel:BYTE_0 src1_sel:DWORD
	v_mov_b32_e32 v49, 0x8000
	s_and_saveexec_b32 s40, s2
	s_cbranch_execz .LBB291_177
; %bb.172:                              ;   in Loop: Header=BB291_10 Depth=1
	v_and_b32_e32 v50, 0x7f, v11
	v_mov_b32_e32 v49, 0x7c01
	s_mov_b32 s41, exec_lo
	v_cmpx_ne_u32_e32 0x7f, v50
	s_cbranch_execz .LBB291_176
; %bb.173:                              ;   in Loop: Header=BB291_10 Depth=1
	v_and_b32_e32 v3, 7, v11
	v_lshrrev_b32_e32 v49, 3, v50
	s_mov_b32 s42, exec_lo
	v_cmpx_gt_u32_e32 8, v50
; %bb.174:                              ;   in Loop: Header=BB291_10 Depth=1
	v_ffbh_u32_e32 v3, v3
	v_min_u32_e32 v3, 32, v3
	v_subrev_nc_u32_e32 v49, 28, v3
	v_lshlrev_b64 v[50:51], v49, v[11:12]
	v_sub_nc_u32_e32 v49, 29, v3
	v_and_b32_e32 v3, 7, v50
; %bb.175:                              ;   in Loop: Header=BB291_10 Depth=1
	s_or_b32 exec_lo, exec_lo, s42
	v_lshlrev_b32_e32 v50, 8, v11
	v_lshl_add_u32 v49, v49, 10, 0x2000
	v_lshlrev_b32_e32 v3, 7, v3
	v_and_b32_e32 v50, 0x8000, v50
	v_and_b32_e32 v49, 0xfc00, v49
	v_or3_b32 v49, v50, v49, v3
.LBB291_176:                            ;   in Loop: Header=BB291_10 Depth=1
	s_or_b32 exec_lo, exec_lo, s41
.LBB291_177:                            ;   in Loop: Header=BB291_10 Depth=1
	s_or_b32 exec_lo, exec_lo, s40
.LBB291_178:                            ;   in Loop: Header=BB291_10 Depth=1
	s_or_b32 exec_lo, exec_lo, s3
	v_lshrrev_b16 v3, 8, v11
	s_mov_b32 s3, exec_lo
	v_cmpx_ne_u16_e32 0, v3
	s_cbranch_execz .LBB291_186
; %bb.179:                              ;   in Loop: Header=BB291_10 Depth=1
	v_bfrev_b32_e32 v48, 1
	s_mov_b32 s40, exec_lo
	v_cmpx_ne_u16_e32 0x80, v3
	s_cbranch_execz .LBB291_185
; %bb.180:                              ;   in Loop: Header=BB291_10 Depth=1
	v_and_b32_sdwa v51, v3, v23 dst_sel:DWORD dst_unused:UNUSED_PAD src0_sel:WORD_0 src1_sel:DWORD
	v_mov_b32_e32 v48, 0x7c010000
	s_mov_b32 s41, exec_lo
	v_cmpx_ne_u32_e32 0x7f, v51
	s_cbranch_execz .LBB291_184
; %bb.181:                              ;   in Loop: Header=BB291_10 Depth=1
	v_and_b32_sdwa v48, v3, v24 dst_sel:DWORD dst_unused:UNUSED_PAD src0_sel:WORD_0 src1_sel:DWORD
	v_lshrrev_b32_e32 v50, 3, v51
	s_mov_b32 s42, exec_lo
	v_cmpx_gt_u32_e32 8, v51
; %bb.182:                              ;   in Loop: Header=BB291_10 Depth=1
	v_ffbh_u32_e32 v48, v48
	v_min_u32_e32 v48, 32, v48
	v_subrev_nc_u32_e32 v50, 28, v48
	v_lshlrev_b64 v[51:52], v50, v[3:4]
	v_sub_nc_u32_e32 v50, 29, v48
	v_and_b32_e32 v48, 7, v51
; %bb.183:                              ;   in Loop: Header=BB291_10 Depth=1
	s_or_b32 exec_lo, exec_lo, s42
	v_lshlrev_b32_sdwa v3, v25, v3 dst_sel:DWORD dst_unused:UNUSED_PAD src0_sel:DWORD src1_sel:WORD_0
	v_lshl_add_u32 v50, v50, 10, 0x2000
	v_lshlrev_b32_e32 v48, 23, v48
	v_and_or_b32 v3, 0x8000, v3, v50
	v_lshl_or_b32 v48, v3, 16, v48
.LBB291_184:                            ;   in Loop: Header=BB291_10 Depth=1
	s_or_b32 exec_lo, exec_lo, s41
.LBB291_185:                            ;   in Loop: Header=BB291_10 Depth=1
	s_or_b32 exec_lo, exec_lo, s40
.LBB291_186:                            ;   in Loop: Header=BB291_10 Depth=1
	s_or_b32 exec_lo, exec_lo, s3
	v_lshrrev_b32_e32 v3, 16, v11
	v_mov_b32_e32 v50, 0
	v_mov_b32_e32 v51, 0
	v_cmp_ne_u16_sdwa s2, v3, v4 src0_sel:BYTE_0 src1_sel:DWORD
	s_and_saveexec_b32 s3, s2
	s_cbranch_execz .LBB291_194
; %bb.187:                              ;   in Loop: Header=BB291_10 Depth=1
	v_cmp_ne_u16_sdwa s2, v3, v22 src0_sel:BYTE_0 src1_sel:DWORD
	v_mov_b32_e32 v51, 0x8000
	s_and_saveexec_b32 s40, s2
	s_cbranch_execz .LBB291_193
; %bb.188:                              ;   in Loop: Header=BB291_10 Depth=1
	v_bfe_u32 v53, v11, 16, 7
	v_mov_b32_e32 v51, 0x7c01
	s_mov_b32 s41, exec_lo
	v_cmpx_ne_u32_e32 0x7f, v53
	s_cbranch_execz .LBB291_192
; %bb.189:                              ;   in Loop: Header=BB291_10 Depth=1
	v_and_b32_e32 v51, 7, v3
	v_lshrrev_b32_e32 v52, 3, v53
	s_mov_b32 s42, exec_lo
	v_cmpx_gt_u32_e32 8, v53
; %bb.190:                              ;   in Loop: Header=BB291_10 Depth=1
	v_ffbh_u32_e32 v51, v51
	v_min_u32_e32 v53, 32, v51
	v_subrev_nc_u32_e32 v51, 28, v53
	v_lshlrev_b64 v[51:52], v51, v[3:4]
	v_sub_nc_u32_e32 v52, 29, v53
	v_and_b32_e32 v51, 7, v51
; %bb.191:                              ;   in Loop: Header=BB291_10 Depth=1
	s_or_b32 exec_lo, exec_lo, s42
	v_lshlrev_b32_e32 v3, 8, v3
	v_lshl_add_u32 v52, v52, 10, 0x2000
	v_lshlrev_b32_e32 v51, 7, v51
	v_and_b32_e32 v3, 0x8000, v3
	v_and_b32_e32 v52, 0xfc00, v52
	v_or3_b32 v51, v3, v52, v51
.LBB291_192:                            ;   in Loop: Header=BB291_10 Depth=1
	s_or_b32 exec_lo, exec_lo, s41
.LBB291_193:                            ;   in Loop: Header=BB291_10 Depth=1
	s_or_b32 exec_lo, exec_lo, s40
.LBB291_194:                            ;   in Loop: Header=BB291_10 Depth=1
	s_or_b32 exec_lo, exec_lo, s3
	s_mov_b32 s3, exec_lo
	v_cmpx_lt_u32_e32 0xffffff, v11
	s_cbranch_execz .LBB291_202
; %bb.195:                              ;   in Loop: Header=BB291_10 Depth=1
	v_lshrrev_b32_e32 v3, 24, v11
	v_bfrev_b32_e32 v50, 1
	s_mov_b32 s40, exec_lo
	v_cmpx_ne_u32_e32 0x80, v3
	s_cbranch_execz .LBB291_201
; %bb.196:                              ;   in Loop: Header=BB291_10 Depth=1
	v_and_b32_e32 v52, 0x7f, v3
	v_mov_b32_e32 v50, 0x7c010000
	s_mov_b32 s41, exec_lo
	v_cmpx_ne_u32_e32 0x7f, v52
	s_cbranch_execz .LBB291_200
; %bb.197:                              ;   in Loop: Header=BB291_10 Depth=1
	v_and_b32_e32 v11, 7, v3
	v_lshrrev_b32_e32 v50, 3, v52
	s_mov_b32 s42, exec_lo
	v_cmpx_gt_u32_e32 8, v52
; %bb.198:                              ;   in Loop: Header=BB291_10 Depth=1
	v_ffbh_u32_e32 v11, v11
	v_min_u32_e32 v11, 32, v11
	v_subrev_nc_u32_e32 v50, 28, v11
	v_lshlrev_b64 v[52:53], v50, v[3:4]
	v_sub_nc_u32_e32 v50, 29, v11
	v_and_b32_e32 v11, 7, v52
; %bb.199:                              ;   in Loop: Header=BB291_10 Depth=1
	s_or_b32 exec_lo, exec_lo, s42
	v_lshlrev_b32_e32 v3, 8, v3
	v_lshl_add_u32 v50, v50, 10, 0x2000
	v_lshlrev_b32_e32 v11, 23, v11
	v_and_or_b32 v3, 0x8000, v3, v50
	v_lshl_or_b32 v50, v3, 16, v11
.LBB291_200:                            ;   in Loop: Header=BB291_10 Depth=1
	s_or_b32 exec_lo, exec_lo, s41
.LBB291_201:                            ;   in Loop: Header=BB291_10 Depth=1
	s_or_b32 exec_lo, exec_lo, s40
.LBB291_202:                            ;   in Loop: Header=BB291_10 Depth=1
	s_or_b32 exec_lo, exec_lo, s3
	global_load_dword v11, v[9:10], off offset:768
	v_mov_b32_e32 v52, 0
	v_mov_b32_e32 v53, 0
	s_waitcnt vmcnt(0)
	v_cmp_ne_u16_sdwa s2, v11, v4 src0_sel:BYTE_0 src1_sel:DWORD
	s_and_saveexec_b32 s3, s2
	s_cbranch_execz .LBB291_210
; %bb.203:                              ;   in Loop: Header=BB291_10 Depth=1
	v_cmp_ne_u16_sdwa s2, v11, v22 src0_sel:BYTE_0 src1_sel:DWORD
	v_mov_b32_e32 v53, 0x8000
	s_and_saveexec_b32 s40, s2
	s_cbranch_execz .LBB291_209
; %bb.204:                              ;   in Loop: Header=BB291_10 Depth=1
	v_and_b32_e32 v54, 0x7f, v11
	v_mov_b32_e32 v53, 0x7c01
	s_mov_b32 s41, exec_lo
	v_cmpx_ne_u32_e32 0x7f, v54
	s_cbranch_execz .LBB291_208
; %bb.205:                              ;   in Loop: Header=BB291_10 Depth=1
	v_and_b32_e32 v3, 7, v11
	v_lshrrev_b32_e32 v53, 3, v54
	s_mov_b32 s42, exec_lo
	v_cmpx_gt_u32_e32 8, v54
; %bb.206:                              ;   in Loop: Header=BB291_10 Depth=1
	v_ffbh_u32_e32 v3, v3
	v_min_u32_e32 v3, 32, v3
	v_subrev_nc_u32_e32 v53, 28, v3
	v_lshlrev_b64 v[54:55], v53, v[11:12]
	v_sub_nc_u32_e32 v53, 29, v3
	v_and_b32_e32 v3, 7, v54
; %bb.207:                              ;   in Loop: Header=BB291_10 Depth=1
	s_or_b32 exec_lo, exec_lo, s42
	v_lshlrev_b32_e32 v54, 8, v11
	v_lshl_add_u32 v53, v53, 10, 0x2000
	v_lshlrev_b32_e32 v3, 7, v3
	v_and_b32_e32 v54, 0x8000, v54
	v_and_b32_e32 v53, 0xfc00, v53
	v_or3_b32 v53, v54, v53, v3
.LBB291_208:                            ;   in Loop: Header=BB291_10 Depth=1
	s_or_b32 exec_lo, exec_lo, s41
.LBB291_209:                            ;   in Loop: Header=BB291_10 Depth=1
	s_or_b32 exec_lo, exec_lo, s40
.LBB291_210:                            ;   in Loop: Header=BB291_10 Depth=1
	s_or_b32 exec_lo, exec_lo, s3
	v_lshrrev_b16 v3, 8, v11
	s_mov_b32 s3, exec_lo
	v_cmpx_ne_u16_e32 0, v3
	s_cbranch_execz .LBB291_218
; %bb.211:                              ;   in Loop: Header=BB291_10 Depth=1
	v_bfrev_b32_e32 v52, 1
	s_mov_b32 s40, exec_lo
	v_cmpx_ne_u16_e32 0x80, v3
	s_cbranch_execz .LBB291_217
; %bb.212:                              ;   in Loop: Header=BB291_10 Depth=1
	v_and_b32_sdwa v55, v3, v23 dst_sel:DWORD dst_unused:UNUSED_PAD src0_sel:WORD_0 src1_sel:DWORD
	v_mov_b32_e32 v52, 0x7c010000
	s_mov_b32 s41, exec_lo
	v_cmpx_ne_u32_e32 0x7f, v55
	s_cbranch_execz .LBB291_216
; %bb.213:                              ;   in Loop: Header=BB291_10 Depth=1
	v_and_b32_sdwa v52, v3, v24 dst_sel:DWORD dst_unused:UNUSED_PAD src0_sel:WORD_0 src1_sel:DWORD
	v_lshrrev_b32_e32 v54, 3, v55
	s_mov_b32 s42, exec_lo
	v_cmpx_gt_u32_e32 8, v55
; %bb.214:                              ;   in Loop: Header=BB291_10 Depth=1
	v_ffbh_u32_e32 v52, v52
	v_min_u32_e32 v52, 32, v52
	v_subrev_nc_u32_e32 v54, 28, v52
	v_lshlrev_b64 v[55:56], v54, v[3:4]
	v_sub_nc_u32_e32 v54, 29, v52
	v_and_b32_e32 v52, 7, v55
; %bb.215:                              ;   in Loop: Header=BB291_10 Depth=1
	s_or_b32 exec_lo, exec_lo, s42
	v_lshlrev_b32_sdwa v3, v25, v3 dst_sel:DWORD dst_unused:UNUSED_PAD src0_sel:DWORD src1_sel:WORD_0
	v_lshl_add_u32 v54, v54, 10, 0x2000
	v_lshlrev_b32_e32 v52, 23, v52
	v_and_or_b32 v3, 0x8000, v3, v54
	v_lshl_or_b32 v52, v3, 16, v52
.LBB291_216:                            ;   in Loop: Header=BB291_10 Depth=1
	s_or_b32 exec_lo, exec_lo, s41
.LBB291_217:                            ;   in Loop: Header=BB291_10 Depth=1
	s_or_b32 exec_lo, exec_lo, s40
.LBB291_218:                            ;   in Loop: Header=BB291_10 Depth=1
	s_or_b32 exec_lo, exec_lo, s3
	v_lshrrev_b32_e32 v3, 16, v11
	v_mov_b32_e32 v54, 0
	v_mov_b32_e32 v55, 0
	v_cmp_ne_u16_sdwa s2, v3, v4 src0_sel:BYTE_0 src1_sel:DWORD
	s_and_saveexec_b32 s3, s2
	s_cbranch_execz .LBB291_226
; %bb.219:                              ;   in Loop: Header=BB291_10 Depth=1
	v_cmp_ne_u16_sdwa s2, v3, v22 src0_sel:BYTE_0 src1_sel:DWORD
	v_mov_b32_e32 v55, 0x8000
	s_and_saveexec_b32 s40, s2
	s_cbranch_execz .LBB291_225
; %bb.220:                              ;   in Loop: Header=BB291_10 Depth=1
	v_bfe_u32 v57, v11, 16, 7
	v_mov_b32_e32 v55, 0x7c01
	s_mov_b32 s41, exec_lo
	v_cmpx_ne_u32_e32 0x7f, v57
	s_cbranch_execz .LBB291_224
; %bb.221:                              ;   in Loop: Header=BB291_10 Depth=1
	v_and_b32_e32 v55, 7, v3
	v_lshrrev_b32_e32 v56, 3, v57
	s_mov_b32 s42, exec_lo
	v_cmpx_gt_u32_e32 8, v57
; %bb.222:                              ;   in Loop: Header=BB291_10 Depth=1
	v_ffbh_u32_e32 v55, v55
	v_min_u32_e32 v57, 32, v55
	v_subrev_nc_u32_e32 v55, 28, v57
	v_lshlrev_b64 v[55:56], v55, v[3:4]
	v_sub_nc_u32_e32 v56, 29, v57
	v_and_b32_e32 v55, 7, v55
; %bb.223:                              ;   in Loop: Header=BB291_10 Depth=1
	s_or_b32 exec_lo, exec_lo, s42
	v_lshlrev_b32_e32 v3, 8, v3
	v_lshl_add_u32 v56, v56, 10, 0x2000
	v_lshlrev_b32_e32 v55, 7, v55
	v_and_b32_e32 v3, 0x8000, v3
	v_and_b32_e32 v56, 0xfc00, v56
	v_or3_b32 v55, v3, v56, v55
.LBB291_224:                            ;   in Loop: Header=BB291_10 Depth=1
	s_or_b32 exec_lo, exec_lo, s41
.LBB291_225:                            ;   in Loop: Header=BB291_10 Depth=1
	s_or_b32 exec_lo, exec_lo, s40
.LBB291_226:                            ;   in Loop: Header=BB291_10 Depth=1
	s_or_b32 exec_lo, exec_lo, s3
	s_mov_b32 s3, exec_lo
	v_cmpx_lt_u32_e32 0xffffff, v11
	s_cbranch_execz .LBB291_234
; %bb.227:                              ;   in Loop: Header=BB291_10 Depth=1
	v_lshrrev_b32_e32 v3, 24, v11
	v_bfrev_b32_e32 v54, 1
	s_mov_b32 s40, exec_lo
	v_cmpx_ne_u32_e32 0x80, v3
	s_cbranch_execz .LBB291_233
; %bb.228:                              ;   in Loop: Header=BB291_10 Depth=1
	v_and_b32_e32 v56, 0x7f, v3
	v_mov_b32_e32 v54, 0x7c010000
	s_mov_b32 s41, exec_lo
	v_cmpx_ne_u32_e32 0x7f, v56
	s_cbranch_execz .LBB291_232
; %bb.229:                              ;   in Loop: Header=BB291_10 Depth=1
	v_and_b32_e32 v11, 7, v3
	v_lshrrev_b32_e32 v54, 3, v56
	s_mov_b32 s42, exec_lo
	v_cmpx_gt_u32_e32 8, v56
; %bb.230:                              ;   in Loop: Header=BB291_10 Depth=1
	v_ffbh_u32_e32 v11, v11
	v_min_u32_e32 v11, 32, v11
	v_subrev_nc_u32_e32 v54, 28, v11
	v_lshlrev_b64 v[56:57], v54, v[3:4]
	v_sub_nc_u32_e32 v54, 29, v11
	v_and_b32_e32 v11, 7, v56
; %bb.231:                              ;   in Loop: Header=BB291_10 Depth=1
	s_or_b32 exec_lo, exec_lo, s42
	v_lshlrev_b32_e32 v3, 8, v3
	v_lshl_add_u32 v54, v54, 10, 0x2000
	v_lshlrev_b32_e32 v11, 23, v11
	v_and_or_b32 v3, 0x8000, v3, v54
	v_lshl_or_b32 v54, v3, 16, v11
.LBB291_232:                            ;   in Loop: Header=BB291_10 Depth=1
	s_or_b32 exec_lo, exec_lo, s41
.LBB291_233:                            ;   in Loop: Header=BB291_10 Depth=1
	s_or_b32 exec_lo, exec_lo, s40
.LBB291_234:                            ;   in Loop: Header=BB291_10 Depth=1
	s_or_b32 exec_lo, exec_lo, s3
	global_load_dword v9, v[9:10], off offset:776
	v_mov_b32_e32 v10, 0
	v_mov_b32_e32 v11, 0
	s_waitcnt vmcnt(0)
	v_cmp_ne_u16_sdwa s2, v9, v4 src0_sel:BYTE_0 src1_sel:DWORD
	s_and_saveexec_b32 s3, s2
	s_cbranch_execz .LBB291_242
; %bb.235:                              ;   in Loop: Header=BB291_10 Depth=1
	v_cmp_ne_u16_sdwa s2, v9, v22 src0_sel:BYTE_0 src1_sel:DWORD
	v_mov_b32_e32 v11, 0x8000
	s_and_saveexec_b32 s40, s2
	s_cbranch_execz .LBB291_241
; %bb.236:                              ;   in Loop: Header=BB291_10 Depth=1
	v_and_b32_e32 v56, 0x7f, v9
	v_mov_b32_e32 v11, 0x7c01
	s_mov_b32 s41, exec_lo
	v_cmpx_ne_u32_e32 0x7f, v56
	s_cbranch_execz .LBB291_240
; %bb.237:                              ;   in Loop: Header=BB291_10 Depth=1
	v_and_b32_e32 v3, 7, v9
	v_lshrrev_b32_e32 v11, 3, v56
	s_mov_b32 s42, exec_lo
	v_cmpx_gt_u32_e32 8, v56
; %bb.238:                              ;   in Loop: Header=BB291_10 Depth=1
	v_ffbh_u32_e32 v3, v3
	v_min_u32_e32 v3, 32, v3
	v_subrev_nc_u32_e32 v11, 28, v3
	v_lshlrev_b64 v[56:57], v11, v[9:10]
	v_sub_nc_u32_e32 v11, 29, v3
	v_and_b32_e32 v3, 7, v56
; %bb.239:                              ;   in Loop: Header=BB291_10 Depth=1
	s_or_b32 exec_lo, exec_lo, s42
	v_lshlrev_b32_e32 v56, 8, v9
	v_lshl_add_u32 v11, v11, 10, 0x2000
	v_lshlrev_b32_e32 v3, 7, v3
	v_and_b32_e32 v56, 0x8000, v56
	v_and_b32_e32 v11, 0xfc00, v11
	v_or3_b32 v11, v56, v11, v3
.LBB291_240:                            ;   in Loop: Header=BB291_10 Depth=1
	s_or_b32 exec_lo, exec_lo, s41
.LBB291_241:                            ;   in Loop: Header=BB291_10 Depth=1
	s_or_b32 exec_lo, exec_lo, s40
.LBB291_242:                            ;   in Loop: Header=BB291_10 Depth=1
	s_or_b32 exec_lo, exec_lo, s3
	v_lshrrev_b16 v3, 8, v9
	s_mov_b32 s3, exec_lo
	v_cmpx_ne_u16_e32 0, v3
	s_cbranch_execz .LBB291_250
; %bb.243:                              ;   in Loop: Header=BB291_10 Depth=1
	v_bfrev_b32_e32 v10, 1
	s_mov_b32 s40, exec_lo
	v_cmpx_ne_u16_e32 0x80, v3
	s_cbranch_execz .LBB291_249
; %bb.244:                              ;   in Loop: Header=BB291_10 Depth=1
	v_and_b32_sdwa v57, v3, v23 dst_sel:DWORD dst_unused:UNUSED_PAD src0_sel:WORD_0 src1_sel:DWORD
	v_mov_b32_e32 v10, 0x7c010000
	s_mov_b32 s41, exec_lo
	v_cmpx_ne_u32_e32 0x7f, v57
	s_cbranch_execz .LBB291_248
; %bb.245:                              ;   in Loop: Header=BB291_10 Depth=1
	v_and_b32_sdwa v10, v3, v24 dst_sel:DWORD dst_unused:UNUSED_PAD src0_sel:WORD_0 src1_sel:DWORD
	v_lshrrev_b32_e32 v56, 3, v57
	s_mov_b32 s42, exec_lo
	v_cmpx_gt_u32_e32 8, v57
; %bb.246:                              ;   in Loop: Header=BB291_10 Depth=1
	v_ffbh_u32_e32 v10, v10
	v_min_u32_e32 v10, 32, v10
	v_subrev_nc_u32_e32 v56, 28, v10
	v_lshlrev_b64 v[57:58], v56, v[3:4]
	v_sub_nc_u32_e32 v56, 29, v10
	v_and_b32_e32 v10, 7, v57
; %bb.247:                              ;   in Loop: Header=BB291_10 Depth=1
	s_or_b32 exec_lo, exec_lo, s42
	v_lshlrev_b32_sdwa v3, v25, v3 dst_sel:DWORD dst_unused:UNUSED_PAD src0_sel:DWORD src1_sel:WORD_0
	v_lshl_add_u32 v56, v56, 10, 0x2000
	v_lshlrev_b32_e32 v10, 23, v10
	v_and_or_b32 v3, 0x8000, v3, v56
	v_lshl_or_b32 v10, v3, 16, v10
.LBB291_248:                            ;   in Loop: Header=BB291_10 Depth=1
	s_or_b32 exec_lo, exec_lo, s41
.LBB291_249:                            ;   in Loop: Header=BB291_10 Depth=1
	s_or_b32 exec_lo, exec_lo, s40
.LBB291_250:                            ;   in Loop: Header=BB291_10 Depth=1
	s_or_b32 exec_lo, exec_lo, s3
	v_lshrrev_b32_e32 v3, 16, v9
	v_mov_b32_e32 v56, 0
	v_mov_b32_e32 v57, 0
	v_cmp_ne_u16_sdwa s2, v3, v4 src0_sel:BYTE_0 src1_sel:DWORD
	s_and_saveexec_b32 s3, s2
	s_cbranch_execz .LBB291_258
; %bb.251:                              ;   in Loop: Header=BB291_10 Depth=1
	v_cmp_ne_u16_sdwa s2, v3, v22 src0_sel:BYTE_0 src1_sel:DWORD
	v_mov_b32_e32 v57, 0x8000
	s_and_saveexec_b32 s40, s2
	s_cbranch_execz .LBB291_257
; %bb.252:                              ;   in Loop: Header=BB291_10 Depth=1
	v_bfe_u32 v59, v9, 16, 7
	v_mov_b32_e32 v57, 0x7c01
	s_mov_b32 s41, exec_lo
	v_cmpx_ne_u32_e32 0x7f, v59
	s_cbranch_execz .LBB291_256
; %bb.253:                              ;   in Loop: Header=BB291_10 Depth=1
	v_and_b32_e32 v57, 7, v3
	v_lshrrev_b32_e32 v58, 3, v59
	s_mov_b32 s42, exec_lo
	v_cmpx_gt_u32_e32 8, v59
; %bb.254:                              ;   in Loop: Header=BB291_10 Depth=1
	v_ffbh_u32_e32 v57, v57
	v_min_u32_e32 v59, 32, v57
	v_subrev_nc_u32_e32 v57, 28, v59
	v_lshlrev_b64 v[57:58], v57, v[3:4]
	v_sub_nc_u32_e32 v58, 29, v59
	v_and_b32_e32 v57, 7, v57
; %bb.255:                              ;   in Loop: Header=BB291_10 Depth=1
	s_or_b32 exec_lo, exec_lo, s42
	v_lshlrev_b32_e32 v3, 8, v3
	v_lshl_add_u32 v58, v58, 10, 0x2000
	v_lshlrev_b32_e32 v57, 7, v57
	v_and_b32_e32 v3, 0x8000, v3
	v_and_b32_e32 v58, 0xfc00, v58
	v_or3_b32 v57, v3, v58, v57
.LBB291_256:                            ;   in Loop: Header=BB291_10 Depth=1
	s_or_b32 exec_lo, exec_lo, s41
.LBB291_257:                            ;   in Loop: Header=BB291_10 Depth=1
	s_or_b32 exec_lo, exec_lo, s40
.LBB291_258:                            ;   in Loop: Header=BB291_10 Depth=1
	s_or_b32 exec_lo, exec_lo, s3
	s_mov_b32 s3, exec_lo
	v_cmpx_lt_u32_e32 0xffffff, v9
	s_cbranch_execz .LBB291_266
; %bb.259:                              ;   in Loop: Header=BB291_10 Depth=1
	v_lshrrev_b32_e32 v3, 24, v9
	v_bfrev_b32_e32 v56, 1
	s_mov_b32 s40, exec_lo
	v_cmpx_ne_u32_e32 0x80, v3
	s_cbranch_execz .LBB291_265
; %bb.260:                              ;   in Loop: Header=BB291_10 Depth=1
	v_and_b32_e32 v58, 0x7f, v3
	v_mov_b32_e32 v56, 0x7c010000
	s_mov_b32 s41, exec_lo
	v_cmpx_ne_u32_e32 0x7f, v58
	s_cbranch_execz .LBB291_264
; %bb.261:                              ;   in Loop: Header=BB291_10 Depth=1
	v_and_b32_e32 v9, 7, v3
	v_lshrrev_b32_e32 v56, 3, v58
	s_mov_b32 s42, exec_lo
	v_cmpx_gt_u32_e32 8, v58
; %bb.262:                              ;   in Loop: Header=BB291_10 Depth=1
	v_ffbh_u32_e32 v9, v9
	v_min_u32_e32 v9, 32, v9
	v_subrev_nc_u32_e32 v56, 28, v9
	v_lshlrev_b64 v[58:59], v56, v[3:4]
	v_sub_nc_u32_e32 v56, 29, v9
	v_and_b32_e32 v9, 7, v58
; %bb.263:                              ;   in Loop: Header=BB291_10 Depth=1
	s_or_b32 exec_lo, exec_lo, s42
	v_lshlrev_b32_e32 v3, 8, v3
	v_lshl_add_u32 v56, v56, 10, 0x2000
	v_lshlrev_b32_e32 v9, 23, v9
	v_and_or_b32 v3, 0x8000, v3, v56
	v_lshl_or_b32 v56, v3, 16, v9
.LBB291_264:                            ;   in Loop: Header=BB291_10 Depth=1
	s_or_b32 exec_lo, exec_lo, s41
.LBB291_265:                            ;   in Loop: Header=BB291_10 Depth=1
	s_or_b32 exec_lo, exec_lo, s40
.LBB291_266:                            ;   in Loop: Header=BB291_10 Depth=1
	s_or_b32 exec_lo, exec_lo, s3
	ds_read_b64 v[58:59], v19
	v_or_b32_e32 v3, v29, v28
	v_or_b32_e32 v9, v30, v31
	v_fma_mixlo_f16 v28, v27, v29, 0 op_sel:[0,1,0] op_sel_hi:[0,1,0]
	v_fma_mixlo_f16 v29, v27, v30, 0 op_sel:[0,1,0] op_sel_hi:[0,1,0]
	v_or_b32_e32 v33, v32, v33
	v_fma_mixlo_f16 v3, v27, v3, 0 op_sel_hi:[0,1,0]
	v_fma_mixlo_f16 v9, v27, v9, 0 op_sel_hi:[0,1,0]
	v_and_b32_e32 v30, 0xffff, v28
	v_and_b32_e32 v60, 0xffff, v29
	v_or_b32_e32 v35, v34, v35
	v_and_b32_e32 v28, 0xffff, v3
	v_fma_mixlo_f16 v32, v27, v32, 0 op_sel:[0,1,0] op_sel_hi:[0,1,0]
	v_fma_mixlo_f16 v34, v27, v34, 0 op_sel:[0,1,0] op_sel_hi:[0,1,0]
	v_fma_mixlo_f16 v33, v27, v33, 0 op_sel_hi:[0,1,0]
	v_fma_mixlo_f16 v35, v27, v35, 0 op_sel_hi:[0,1,0]
	v_or_b32_e32 v37, v36, v37
	v_and_b32_e32 v62, 0xffff, v32
	v_and_b32_e32 v63, 0xffff, v34
	;; [unrolled: 1-line block ×3, first 2 shown]
	s_waitcnt lgkmcnt(0)
	v_and_b32_e32 v3, 0xffff, v58
	v_lshrrev_b32_e32 v29, 16, v58
	v_and_b32_e32 v58, 0xffff, v9
	v_lshrrev_b32_e32 v31, 16, v59
	v_and_b32_e32 v59, 0xffff, v59
	;;#ASMSTART
	v_cvt_f32_f16 v3, v3;
	;;#ASMEND
	;;#ASMSTART
	v_cvt_f32_f16 v9, v29;
	;;#ASMEND
	;; [unrolled: 3-line block ×8, first 2 shown]
	ds_read_b64 v[60:61], v19 offset:8
	v_and_b32_e32 v64, 0xffff, v35
	v_or_b32_e32 v39, v38, v39
	v_fma_mixlo_f16 v36, v27, v36, 0 op_sel:[0,1,0] op_sel_hi:[0,1,0]
	v_fma_mixlo_f16 v38, v27, v38, 0 op_sel:[0,1,0] op_sel_hi:[0,1,0]
	v_fma_mixlo_f16 v37, v27, v37, 0 op_sel_hi:[0,1,0]
	v_or_b32_e32 v41, v40, v41
	v_fma_mixlo_f16 v39, v27, v39, 0 op_sel_hi:[0,1,0]
	v_and_b32_e32 v36, 0xffff, v36
	v_and_b32_e32 v69, 0xffff, v38
	;; [unrolled: 1-line block ×3, first 2 shown]
	v_or_b32_e32 v43, v42, v43
	v_and_b32_e32 v68, 0xffff, v39
	v_fma_mixlo_f16 v40, v27, v40, 0 op_sel:[0,1,0] op_sel_hi:[0,1,0]
	v_fma_mixlo_f16 v42, v27, v42, 0 op_sel:[0,1,0] op_sel_hi:[0,1,0]
	v_fma_mixlo_f16 v41, v27, v41, 0 op_sel_hi:[0,1,0]
	v_fma_mixlo_f16 v43, v27, v43, 0 op_sel_hi:[0,1,0]
	v_or_b32_e32 v45, v44, v45
	v_and_b32_e32 v70, 0xffff, v40
	v_and_b32_e32 v73, 0xffff, v42
	s_waitcnt lgkmcnt(0)
	v_and_b32_e32 v32, 0xffff, v60
	v_lshrrev_b32_e32 v33, 16, v60
	v_lshrrev_b32_e32 v65, 16, v61
	v_and_b32_e32 v60, 0xffff, v61
	;;#ASMSTART
	v_cvt_f32_f16 v32, v32;
	;;#ASMEND
	;;#ASMSTART
	v_cvt_f32_f16 v33, v33;
	;;#ASMEND
	;; [unrolled: 3-line block ×8, first 2 shown]
	ds_read_b64 v[64:65], v19 offset:16
	v_and_b32_e32 v42, 0xffff, v41
	v_and_b32_e32 v72, 0xffff, v43
	v_or_b32_e32 v47, v46, v47
	v_fma_mixlo_f16 v44, v27, v44, 0 op_sel:[0,1,0] op_sel_hi:[0,1,0]
	v_fma_mixlo_f16 v46, v27, v46, 0 op_sel:[0,1,0] op_sel_hi:[0,1,0]
	v_fma_mixlo_f16 v45, v27, v45, 0 op_sel_hi:[0,1,0]
	v_or_b32_e32 v49, v48, v49
	v_fma_mixlo_f16 v47, v27, v47, 0 op_sel_hi:[0,1,0]
	v_and_b32_e32 v74, 0xffff, v44
	v_and_b32_e32 v77, 0xffff, v46
	;; [unrolled: 1-line block ×3, first 2 shown]
	v_or_b32_e32 v51, v50, v51
	v_and_b32_e32 v76, 0xffff, v47
	v_fma_mixlo_f16 v48, v27, v48, 0 op_sel:[0,1,0] op_sel_hi:[0,1,0]
	v_fma_mixlo_f16 v50, v27, v50, 0 op_sel:[0,1,0] op_sel_hi:[0,1,0]
	v_fma_mixlo_f16 v49, v27, v49, 0 op_sel_hi:[0,1,0]
	v_fma_mixlo_f16 v51, v27, v51, 0 op_sel_hi:[0,1,0]
	v_mul_f32_e32 v32, v32, v34
	v_and_b32_e32 v78, 0xffff, v48
	s_waitcnt lgkmcnt(0)
	v_and_b32_e32 v38, 0xffff, v64
	v_lshrrev_b32_e32 v64, 16, v64
	v_lshrrev_b32_e32 v67, 16, v65
	v_and_b32_e32 v66, 0xffff, v65
	;;#ASMSTART
	v_cvt_f32_f16 v38, v38;
	;;#ASMEND
	;;#ASMSTART
	v_cvt_f32_f16 v39, v64;
	;;#ASMEND
	;; [unrolled: 3-line block ×8, first 2 shown]
	ds_read_b64 v[36:37], v19 offset:24
	v_and_b32_e32 v81, 0xffff, v50
	v_and_b32_e32 v50, 0xffff, v49
	;; [unrolled: 1-line block ×3, first 2 shown]
	v_mul_f32_e32 v33, v33, v35
	v_mul_f32_e32 v34, v60, v62
	v_or_b32_e32 v53, v52, v53
	v_or_b32_e32 v55, v54, v55
	v_fmac_f32_e32 v32, v3, v28
	v_fmac_f32_e32 v33, v9, v29
	;; [unrolled: 1-line block ×3, first 2 shown]
	v_or_b32_e32 v11, v10, v11
	v_fma_mixlo_f16 v82, v27, v10, 0 op_sel:[0,1,0] op_sel_hi:[0,1,0]
	v_fma_mixlo_f16 v10, v27, v53, 0 op_sel_hi:[0,1,0]
	v_mul_f32_e32 v35, v61, v63
	v_fma_mixlo_f16 v52, v27, v52, 0 op_sel:[0,1,0] op_sel_hi:[0,1,0]
	v_fma_mixlo_f16 v54, v27, v54, 0 op_sel:[0,1,0] op_sel_hi:[0,1,0]
	v_fma_mixlo_f16 v53, v27, v55, 0 op_sel_hi:[0,1,0]
	v_fmac_f32_e32 v32, v38, v64
	v_fmac_f32_e32 v33, v39, v65
	s_waitcnt lgkmcnt(0)
	v_and_b32_e32 v40, 0xffff, v36
	v_lshrrev_b32_e32 v36, 16, v36
	v_lshrrev_b32_e32 v71, 16, v37
	v_and_b32_e32 v37, 0xffff, v37
	;;#ASMSTART
	v_cvt_f32_f16 v40, v40;
	;;#ASMEND
	;;#ASMSTART
	v_cvt_f32_f16 v41, v36;
	;;#ASMEND
	;; [unrolled: 3-line block ×8, first 2 shown]
	ds_read_b64 v[36:37], v19 offset:32
	v_fmac_f32_e32 v34, v66, v68
	v_and_b32_e32 v10, 0xffff, v10
	v_fmac_f32_e32 v35, v31, v59
	v_and_b32_e32 v52, 0xffff, v52
	v_and_b32_e32 v54, 0xffff, v54
	;; [unrolled: 1-line block ×3, first 2 shown]
	v_fmac_f32_e32 v32, v40, v42
	v_fmac_f32_e32 v33, v41, v43
	;; [unrolled: 1-line block ×4, first 2 shown]
	v_or_b32_e32 v57, v56, v57
	v_fma_mixlo_f16 v11, v27, v11, 0 op_sel_hi:[0,1,0]
	v_fma_mixlo_f16 v56, v27, v56, 0 op_sel:[0,1,0] op_sel_hi:[0,1,0]
	v_and_b32_e32 v39, 0xffff, v82
	v_fmac_f32_e32 v35, v71, v73
	v_fma_mixlo_f16 v27, v27, v57, 0 op_sel_hi:[0,1,0]
	v_and_b32_e32 v11, 0xffff, v11
	s_waitcnt lgkmcnt(0)
	v_and_b32_e32 v44, 0xffff, v36
	v_lshrrev_b32_e32 v36, 16, v36
	v_lshrrev_b32_e32 v75, 16, v37
	v_and_b32_e32 v37, 0xffff, v37
	;;#ASMSTART
	v_cvt_f32_f16 v44, v44;
	;;#ASMEND
	;;#ASMSTART
	v_cvt_f32_f16 v45, v36;
	;;#ASMEND
	;; [unrolled: 3-line block ×8, first 2 shown]
	ds_read_b64 v[36:37], v19 offset:40
	v_fmac_f32_e32 v32, v44, v46
	v_fmac_f32_e32 v33, v45, v47
	;; [unrolled: 1-line block ×4, first 2 shown]
	v_and_b32_e32 v27, 0xffff, v27
	s_waitcnt lgkmcnt(0)
	v_and_b32_e32 v48, 0xffff, v36
	v_lshrrev_b32_e32 v36, 16, v36
	v_lshrrev_b32_e32 v79, 16, v37
	v_and_b32_e32 v37, 0xffff, v37
	;;#ASMSTART
	v_cvt_f32_f16 v48, v48;
	;;#ASMEND
	;;#ASMSTART
	v_cvt_f32_f16 v49, v36;
	;;#ASMEND
	;;#ASMSTART
	v_cvt_f32_f16 v50, v50;
	;;#ASMEND
	;;#ASMSTART
	v_cvt_f32_f16 v51, v78;
	;;#ASMEND
	;;#ASMSTART
	v_cvt_f32_f16 v78, v37;
	;;#ASMEND
	;;#ASMSTART
	v_cvt_f32_f16 v79, v79;
	;;#ASMEND
	;;#ASMSTART
	v_cvt_f32_f16 v80, v80;
	;;#ASMEND
	;;#ASMSTART
	v_cvt_f32_f16 v81, v81;
	;;#ASMEND
	ds_read_b64 v[36:37], v19 offset:48
	v_fmac_f32_e32 v32, v48, v50
	v_fmac_f32_e32 v33, v49, v51
	v_fmac_f32_e32 v34, v78, v80
	v_fmac_f32_e32 v35, v79, v81
	s_waitcnt lgkmcnt(0)
	v_and_b32_e32 v3, 0xffff, v36
	v_lshrrev_b32_e32 v9, 16, v36
	v_lshrrev_b32_e32 v36, 16, v37
	v_and_b32_e32 v31, 0xffff, v37
	;;#ASMSTART
	v_cvt_f32_f16 v3, v3;
	;;#ASMEND
	;;#ASMSTART
	v_cvt_f32_f16 v28, v9;
	;;#ASMEND
	;; [unrolled: 3-line block ×8, first 2 shown]
	ds_read_b64 v[9:10], v19 offset:56
	v_fmac_f32_e32 v32, v3, v29
	v_fmac_f32_e32 v33, v28, v30
	;; [unrolled: 1-line block ×4, first 2 shown]
	s_waitcnt lgkmcnt(0)
	v_and_b32_e32 v3, 0xffff, v9
	v_lshrrev_b32_e32 v9, 16, v9
	;;#ASMSTART
	v_cvt_f32_f16 v3, v3;
	;;#ASMEND
	;;#ASMSTART
	v_cvt_f32_f16 v9, v9;
	;;#ASMEND
	v_and_b32_e32 v29, 0xffff, v10
	v_lshrrev_b32_e32 v10, 16, v10
	;;#ASMSTART
	v_cvt_f32_f16 v11, v11;
	;;#ASMEND
	;;#ASMSTART
	v_cvt_f32_f16 v28, v39;
	;;#ASMEND
	v_fmac_f32_e32 v32, v3, v11
	v_fmac_f32_e32 v33, v9, v28
	;;#ASMSTART
	v_cvt_f32_f16 v3, v29;
	;;#ASMEND
	;;#ASMSTART
	v_cvt_f32_f16 v9, v10;
	;;#ASMEND
	;;#ASMSTART
	v_cvt_f32_f16 v10, v27;
	;;#ASMEND
	v_fmac_f32_e32 v34, v3, v10
	v_xor_b32_e32 v10, 1, v16
	v_add_f32_e32 v3, v32, v33
	v_and_b32_e32 v11, 0xffff, v56
	;;#ASMSTART
	v_cvt_f32_f16 v11, v11;
	;;#ASMEND
	v_fmac_f32_e32 v35, v9, v11
	v_cmp_gt_i32_e64 s2, 32, v10
	v_add_f32_e32 v3, v3, v34
	v_cndmask_b32_e64 v9, v16, v10, s2
	v_add_f32_e32 v3, v35, v3
	v_lshlrev_b32_e32 v9, 2, v9
	ds_bpermute_b32 v9, v9, v3
	s_and_saveexec_b32 s3, vcc_lo
	s_cbranch_execz .LBB291_9
; %bb.267:                              ;   in Loop: Header=BB291_10 Depth=1
	v_add_nc_u32_e32 v10, s4, v20
	s_waitcnt lgkmcnt(0)
	v_add_f32_e32 v3, v3, v9
	v_cmp_gt_i32_e64 s2, s27, v20
	v_cvt_f32_i32_e32 v10, v10
	v_mul_f32_e32 v10, s36, v10
	v_cndmask_b32_e64 v9, 0, v10, s1
	v_max_f32_e32 v10, v17, v17
	v_fmac_f32_e32 v9, s37, v3
	v_max_f32_e32 v3, v10, v9
	v_cndmask_b32_e64 v9, 0, v9, s2
	v_cndmask_b32_e64 v17, v17, v3, s2
	ds_write_b32 v21, v9
	s_branch .LBB291_9
.LBB291_268:
	s_or_b32 exec_lo, exec_lo, s5
.LBB291_269:
	s_or_b32 exec_lo, exec_lo, s38
	v_xor_b32_e32 v3, 16, v16
	v_xor_b32_e32 v5, 8, v16
	v_max_f32_e32 v8, v17, v17
	s_waitcnt lgkmcnt(0)
	v_xor_b32_e32 v9, 2, v16
	v_cmp_lt_i32_e32 vcc_lo, v3, v18
	v_cndmask_b32_e32 v3, v16, v3, vcc_lo
	v_cmp_lt_i32_e32 vcc_lo, v5, v18
	v_lshlrev_b32_e32 v6, 2, v3
	v_cndmask_b32_e32 v5, v16, v5, vcc_lo
	ds_bpermute_b32 v3, v6, v17
	v_lshlrev_b32_e32 v7, 2, v5
	v_and_b32_e32 v17, 31, v0
	s_waitcnt lgkmcnt(0)
	v_max_f32_e32 v3, v3, v3
	v_max_f32_e32 v3, v8, v3
	v_xor_b32_e32 v8, 4, v16
	ds_bpermute_b32 v5, v7, v3
	v_cmp_lt_i32_e32 vcc_lo, v8, v18
	v_cndmask_b32_e32 v8, v16, v8, vcc_lo
	v_cmp_lt_i32_e32 vcc_lo, v9, v18
	v_lshlrev_b32_e32 v8, 2, v8
	v_cndmask_b32_e32 v9, v16, v9, vcc_lo
	v_cmp_eq_u32_e32 vcc_lo, 0, v17
	s_waitcnt lgkmcnt(0)
	v_max_f32_e32 v5, v5, v5
	v_max_f32_e32 v3, v3, v5
	ds_bpermute_b32 v5, v8, v3
	s_waitcnt lgkmcnt(0)
	v_max_f32_e32 v5, v5, v5
	v_max_f32_e32 v3, v3, v5
	v_lshlrev_b32_e32 v5, 2, v9
	v_lshlrev_b32_e32 v9, 2, v14
	ds_bpermute_b32 v10, v5, v3
	s_and_saveexec_b32 s1, vcc_lo
	s_cbranch_execz .LBB291_271
; %bb.270:
	s_waitcnt lgkmcnt(0)
	v_max_f32_e32 v10, v10, v10
	v_max_f32_e32 v3, v3, v3
	;; [unrolled: 1-line block ×3, first 2 shown]
	ds_write_b32 v9, v3 offset:128
.LBB291_271:
	s_or_b32 exec_lo, exec_lo, s1
	v_cmp_gt_u32_e64 s1, 4, v17
	v_mov_b32_e32 v3, 0xff7fffff
	s_waitcnt lgkmcnt(0)
	v_lshlrev_b32_e32 v10, 2, v17
	s_barrier
	buffer_gl0_inv
	s_and_saveexec_b32 s2, s1
; %bb.272:
	ds_read_b32 v3, v10 offset:128
; %bb.273:
	s_or_b32 exec_lo, exec_lo, s2
	s_waitcnt lgkmcnt(0)
	ds_bpermute_b32 v11, v5, v3
	v_xor_b32_e32 v19, 1, v16
	v_max_f32_e32 v3, v3, v3
	v_lshlrev_b32_e32 v4, 2, v4
	v_cmp_lt_i32_e64 s2, v19, v18
	v_cndmask_b32_e64 v18, v16, v19, s2
	s_sub_i32 s2, s11, s19
	s_lshl_b32 s2, s2, 4
	v_lshlrev_b32_e32 v18, 2, v18
	s_add_i32 s2, s2, s33
	s_min_i32 s2, s2, s27
	s_waitcnt lgkmcnt(0)
	v_max_f32_e32 v11, v11, v11
	s_sub_i32 s4, s2, s33
	v_cmp_gt_i32_e64 s2, s4, v0
	v_max_f32_e32 v3, v3, v11
	ds_bpermute_b32 v11, v18, v3
	s_waitcnt lgkmcnt(0)
	v_max_f32_e32 v11, v11, v11
	v_max_f32_e32 v3, v3, v11
	v_mov_b32_e32 v11, 0
	ds_bpermute_b32 v3, v4, v3
	v_lshl_add_u32 v4, v0, 2, 0xa0
	s_and_saveexec_b32 s5, s2
	s_cbranch_execz .LBB291_277
; %bb.274:
	v_lshl_add_u32 v19, v0, 2, 0xa0
	v_mov_b32_e32 v11, 0
	v_mov_b32_e32 v20, v0
	s_mov_b32 s12, 0
	.p2align	6
.LBB291_275:                            ; =>This Inner Loop Header: Depth=1
	ds_read_b32 v21, v19
	v_add_nc_u32_e32 v20, 0x80, v20
	v_cmp_le_i32_e64 s3, s4, v20
	s_or_b32 s12, s3, s12
	s_waitcnt lgkmcnt(0)
	v_sub_f32_e32 v21, v21, v3
	v_mul_f32_e32 v21, 0x3fb8aa3b, v21
	v_exp_f32_e32 v21, v21
	ds_write_b32 v19, v21
	v_add_f32_e32 v11, v11, v21
	v_add_nc_u32_e32 v19, 0x200, v19
	s_andn2_b32 exec_lo, exec_lo, s12
	s_cbranch_execnz .LBB291_275
; %bb.276:
	s_or_b32 exec_lo, exec_lo, s12
.LBB291_277:
	s_or_b32 exec_lo, exec_lo, s5
	ds_bpermute_b32 v6, v6, v11
	s_waitcnt lgkmcnt(0)
	v_add_f32_e32 v6, v11, v6
	ds_bpermute_b32 v7, v7, v6
	s_waitcnt lgkmcnt(0)
	v_add_f32_e32 v6, v6, v7
	ds_bpermute_b32 v7, v8, v6
	s_waitcnt lgkmcnt(0)
	v_add_f32_e32 v6, v6, v7
	ds_bpermute_b32 v7, v5, v6
	s_waitcnt lgkmcnt(0)
	v_add_f32_e32 v6, v6, v7
	ds_bpermute_b32 v7, v18, v6
	s_waitcnt lgkmcnt(0)
	v_add_f32_e32 v6, v6, v7
	s_and_saveexec_b32 s3, vcc_lo
; %bb.278:
	ds_write_b32 v9, v6 offset:144
; %bb.279:
	s_or_b32 exec_lo, exec_lo, s3
	s_waitcnt lgkmcnt(0)
	s_barrier
	buffer_gl0_inv
	s_and_saveexec_b32 s3, s1
; %bb.280:
	ds_read_b32 v6, v10 offset:144
; %bb.281:
	s_or_b32 exec_lo, exec_lo, s3
	s_waitcnt lgkmcnt(0)
	ds_bpermute_b32 v5, v5, v6
	v_lshlrev_b32_e32 v7, 2, v16
	s_waitcnt lgkmcnt(0)
	v_add_f32_e32 v5, v6, v5
	ds_bpermute_b32 v6, v18, v5
	s_waitcnt lgkmcnt(0)
	v_add_f32_e32 v5, v5, v6
	v_and_b32_e32 v6, 0xffffff80, v7
	ds_bpermute_b32 v5, v6, v5
	s_and_saveexec_b32 s1, s2
	s_cbranch_execz .LBB291_284
; %bb.282:
	s_waitcnt lgkmcnt(0)
	v_add_f32_e32 v6, 0x358637bd, v5
	s_mov_b32 s2, 0
	v_div_scale_f32 v7, null, v6, v6, 1.0
	v_div_scale_f32 v10, vcc_lo, 1.0, v6, 1.0
	v_rcp_f32_e32 v8, v7
	v_fma_f32 v9, -v7, v8, 1.0
	v_fmac_f32_e32 v8, v9, v8
	v_mul_f32_e32 v9, v10, v8
	v_fma_f32 v11, -v7, v9, v10
	v_fmac_f32_e32 v9, v11, v8
	v_fma_f32 v7, -v7, v9, v10
	v_div_fmas_f32 v7, v7, v8, v9
	v_div_fixup_f32 v6, v7, v6, 1.0
	v_mov_b32_e32 v7, v0
.LBB291_283:                            ; =>This Inner Loop Header: Depth=1
	ds_read_b32 v8, v4
	v_add_nc_u32_e32 v7, 0x80, v7
	v_cmp_le_i32_e32 vcc_lo, s4, v7
	s_or_b32 s2, vcc_lo, s2
	s_waitcnt lgkmcnt(0)
	v_mul_f32_e32 v8, v6, v8
	ds_write_b32 v4, v8
	v_add_nc_u32_e32 v4, 0x200, v4
	s_andn2_b32 exec_lo, exec_lo, s2
	s_cbranch_execnz .LBB291_283
.LBB291_284:
	s_or_b32 exec_lo, exec_lo, s1
	s_mul_i32 s1, s7, s26
	s_waitcnt lgkmcnt(0)
	s_mul_i32 s2, s1, s9
	s_mov_b32 s1, exec_lo
	s_barrier
	buffer_gl0_inv
	v_cmpx_eq_u32_e32 0, v0
	s_cbranch_execz .LBB291_286
; %bb.285:
	s_ashr_i32 s3, s2, 31
	s_mul_i32 s12, s7, s6
	s_lshl_b64 s[4:5], s[2:3], 2
	v_mov_b32_e32 v4, 0
	s_add_u32 s3, s22, s4
	s_addc_u32 s6, s23, s5
	s_ashr_i32 s13, s12, 31
	s_lshl_b64 s[12:13], s[12:13], 2
	s_add_u32 s3, s3, s12
	s_addc_u32 s6, s6, s13
	s_ashr_i32 s9, s8, 31
	s_lshl_b64 s[22:23], s[8:9], 2
	s_add_u32 s36, s3, s22
	s_addc_u32 s37, s6, s23
	s_add_u32 s3, s20, s4
	s_addc_u32 s4, s21, s5
	;; [unrolled: 2-line block ×4, first 2 shown]
	global_store_dword v4, v3, s[36:37]
	global_store_dword v4, v5, s[4:5]
.LBB291_286:
	s_or_b32 exec_lo, exec_lo, s1
	v_mov_b32_e32 v20, 0
	v_mov_b32_e32 v21, 0
	;; [unrolled: 1-line block ×4, first 2 shown]
	s_and_saveexec_b32 s1, s0
	s_cbranch_execz .LBB291_554
; %bb.287:
	v_and_b32_e32 v6, 8, v15
	v_lshlrev_b32_e32 v4, 5, v13
	v_and_b32_e32 v5, 0xf8, v15
	v_lshl_add_u32 v7, v14, 4, s33
	s_ashr_i32 s0, s18, 31
	s_add_u32 s4, s34, s18
	s_addc_u32 s0, s35, s0
	v_lshl_or_b32 v8, v14, 6, v4
	v_add_co_u32 v4, s4, s4, v5
	v_add3_u32 v15, v7, v6, 7
	v_lshlrev_b64 v[6:7], 2, v[1:2]
	v_add_co_ci_u32_e64 v5, null, s0, 0, s4
	s_lshl_b64 s[4:5], s[30:31], 2
	s_add_i32 s16, s16, -1
	s_add_u32 s0, s28, s4
	s_addc_u32 s4, s29, s5
	v_add_co_u32 v6, vcc_lo, s0, v6
	v_mov_b32_e32 v3, 0
	v_add_nc_u32_e32 v22, 0xa0, v8
	v_add_co_ci_u32_e64 v7, null, s4, v7, vcc_lo
	v_mov_b32_e32 v23, 0x80
	v_mov_b32_e32 v24, 0x7f
	;; [unrolled: 1-line block ×8, first 2 shown]
	s_mov_b32 s4, -1
	s_mov_b32 s3, s17
	s_mov_b32 s5, 0xffffff
	;; [unrolled: 1-line block ×3, first 2 shown]
	s_branch .LBB291_289
.LBB291_288:                            ;   in Loop: Header=BB291_289 Depth=1
	s_or_b32 exec_lo, exec_lo, s0
	;;#ASMSTART
	v_pk_mul_f16 v2, v38, v44;

	;;#ASMEND
	;;#ASMSTART
	v_pk_mul_f16 v8, v36, v8;

	;;#ASMEND
	;; [unrolled: 4-line block ×4, first 2 shown]
	;;#ASMSTART
	v_pk_add_f16 v2, v2, v8;

	;;#ASMEND
	;;#ASMSTART
	v_pk_add_f16 v2, v2, v9;

	;;#ASMEND
	;; [unrolled: 4-line block ×3, first 2 shown]
	v_add_nc_u32_e32 v1, 4, v1
	v_and_b32_e32 v27, 0xffff, v2
	v_lshrrev_b32_e32 v28, 16, v2
	v_add_f32_e32 v2, v10, v11
	;;#ASMSTART
	v_cvt_f32_f16 v10, v27;
	;;#ASMEND
	v_add_f32_e32 v8, v40, v41
	v_add_f32_e32 v9, v37, v39
	;;#ASMSTART
	v_cvt_f32_f16 v11, v28;
	;;#ASMEND
	v_add_f32_e32 v10, v10, v11
	v_cmp_le_i32_e32 vcc_lo, s11, v1
	v_add_co_u32 v6, s0, v6, 16
	v_add_f32_e32 v19, v19, v2
	v_add_f32_e32 v21, v21, v8
	;; [unrolled: 1-line block ×4, first 2 shown]
	v_add_nc_u32_e32 v15, 64, v15
	v_add_nc_u32_e32 v22, 0x100, v22
	v_add_co_ci_u32_e64 v7, null, 0, v7, s0
	s_or_b32 s6, vcc_lo, s6
	s_andn2_b32 exec_lo, exec_lo, s6
	s_cbranch_execz .LBB291_553
.LBB291_289:                            ; =>This Inner Loop Header: Depth=1
	global_load_dword v2, v[6:7], off
	ds_read2_b64 v[27:30], v22 offset1:1
	ds_read2_b64 v[40:43], v22 offset0:2 offset1:3
	s_waitcnt lgkmcnt(1)
	;;#ASMSTART
	v_cvt_f16_f32 v34, v27;

	;;#ASMEND
	;;#ASMSTART
	v_cvt_f16_f32 v35, v28;

	;;#ASMEND
	;; [unrolled: 4-line block ×4, first 2 shown]
	s_waitcnt lgkmcnt(0)
	;;#ASMSTART
	v_cvt_f16_f32 v40, v40;

	;;#ASMEND
	;;#ASMSTART
	v_cvt_f16_f32 v37, v41;

	;;#ASMEND
	;;#ASMSTART
	v_cvt_f16_f32 v41, v42;

	;;#ASMEND
	;;#ASMSTART
	v_cvt_f16_f32 v39, v43;

	;;#ASMEND
	v_mov_b32_e32 v29, 0
	s_waitcnt vmcnt(0)
	v_mad_i64_i32 v[8:9], null, v2, s3, v[4:5]
	global_load_dwordx2 v[10:11], v[8:9], off
	global_load_dword v28, v3, s[14:15]
	s_waitcnt vmcnt(1)
	v_cmp_ne_u16_sdwa s9, v10, v3 src0_sel:BYTE_0 src1_sel:DWORD
	s_and_saveexec_b32 s0, s9
	s_cbranch_execz .LBB291_297
; %bb.290:                              ;   in Loop: Header=BB291_289 Depth=1
	v_cmp_ne_u16_sdwa s12, v10, v23 src0_sel:BYTE_0 src1_sel:DWORD
	v_mov_b32_e32 v29, 0x8000
	s_and_saveexec_b32 s9, s12
	s_cbranch_execz .LBB291_296
; %bb.291:                              ;   in Loop: Header=BB291_289 Depth=1
	v_and_b32_e32 v30, 0x7f, v10
	v_mov_b32_e32 v29, 0x7c01
	s_mov_b32 s12, exec_lo
	v_cmpx_ne_u32_e32 0x7f, v30
	s_cbranch_execz .LBB291_295
; %bb.292:                              ;   in Loop: Header=BB291_289 Depth=1
	v_and_b32_e32 v2, 7, v10
	v_lshrrev_b32_e32 v27, 3, v30
	s_mov_b32 s13, exec_lo
	v_cmpx_gt_u32_e32 8, v30
; %bb.293:                              ;   in Loop: Header=BB291_289 Depth=1
	v_ffbh_u32_e32 v2, v2
	v_min_u32_e32 v2, 32, v2
	v_subrev_nc_u32_e32 v27, 28, v2
	v_lshlrev_b64 v[29:30], v27, v[10:11]
	v_sub_nc_u32_e32 v27, 29, v2
	v_and_b32_e32 v2, 7, v29
; %bb.294:                              ;   in Loop: Header=BB291_289 Depth=1
	s_or_b32 exec_lo, exec_lo, s13
	v_lshlrev_b32_e32 v29, 8, v10
	v_lshl_add_u32 v27, v27, 10, 0x2000
	v_lshlrev_b32_e32 v2, 7, v2
	v_and_b32_e32 v29, 0x8000, v29
	v_and_b32_e32 v27, 0xfc00, v27
	v_or3_b32 v29, v29, v27, v2
.LBB291_295:                            ;   in Loop: Header=BB291_289 Depth=1
	s_or_b32 exec_lo, exec_lo, s12
.LBB291_296:                            ;   in Loop: Header=BB291_289 Depth=1
	s_or_b32 exec_lo, exec_lo, s9
.LBB291_297:                            ;   in Loop: Header=BB291_289 Depth=1
	s_or_b32 exec_lo, exec_lo, s0
	v_lshrrev_b16 v2, 8, v10
	v_mov_b32_e32 v27, 0
	v_mov_b32_e32 v30, 0
	s_mov_b32 s0, exec_lo
	v_cmpx_ne_u16_e32 0, v2
	s_cbranch_execz .LBB291_305
; %bb.298:                              ;   in Loop: Header=BB291_289 Depth=1
	v_bfrev_b32_e32 v30, 1
	s_mov_b32 s9, exec_lo
	v_cmpx_ne_u16_e32 0x80, v2
	s_cbranch_execz .LBB291_304
; %bb.299:                              ;   in Loop: Header=BB291_289 Depth=1
	v_and_b32_sdwa v32, v2, v24 dst_sel:DWORD dst_unused:UNUSED_PAD src0_sel:WORD_0 src1_sel:DWORD
	v_mov_b32_e32 v30, 0x7c010000
	s_mov_b32 s12, exec_lo
	v_cmpx_ne_u32_e32 0x7f, v32
	s_cbranch_execz .LBB291_303
; %bb.300:                              ;   in Loop: Header=BB291_289 Depth=1
	v_and_b32_sdwa v30, v2, v25 dst_sel:DWORD dst_unused:UNUSED_PAD src0_sel:WORD_0 src1_sel:DWORD
	v_lshrrev_b32_e32 v31, 3, v32
	s_mov_b32 s13, exec_lo
	v_cmpx_gt_u32_e32 8, v32
; %bb.301:                              ;   in Loop: Header=BB291_289 Depth=1
	v_ffbh_u32_e32 v30, v30
	v_min_u32_e32 v32, 32, v30
	v_subrev_nc_u32_e32 v30, 28, v32
	v_lshlrev_b64 v[30:31], v30, v[2:3]
	v_sub_nc_u32_e32 v31, 29, v32
	v_and_b32_e32 v30, 7, v30
; %bb.302:                              ;   in Loop: Header=BB291_289 Depth=1
	s_or_b32 exec_lo, exec_lo, s13
	v_lshlrev_b32_sdwa v2, v26, v2 dst_sel:DWORD dst_unused:UNUSED_PAD src0_sel:DWORD src1_sel:WORD_0
	v_lshl_add_u32 v31, v31, 10, 0x2000
	v_lshlrev_b32_e32 v30, 23, v30
	v_and_or_b32 v2, 0x8000, v2, v31
	v_lshl_or_b32 v30, v2, 16, v30
.LBB291_303:                            ;   in Loop: Header=BB291_289 Depth=1
	s_or_b32 exec_lo, exec_lo, s12
.LBB291_304:                            ;   in Loop: Header=BB291_289 Depth=1
	s_or_b32 exec_lo, exec_lo, s9
.LBB291_305:                            ;   in Loop: Header=BB291_289 Depth=1
	s_or_b32 exec_lo, exec_lo, s0
	v_lshrrev_b32_e32 v2, 16, v10
	v_cmp_ne_u16_sdwa s9, v2, v3 src0_sel:BYTE_0 src1_sel:DWORD
	s_and_saveexec_b32 s0, s9
	s_cbranch_execz .LBB291_313
; %bb.306:                              ;   in Loop: Header=BB291_289 Depth=1
	v_cmp_ne_u16_sdwa s12, v2, v23 src0_sel:BYTE_0 src1_sel:DWORD
	v_mov_b32_e32 v27, 0x8000
	s_and_saveexec_b32 s9, s12
	s_cbranch_execz .LBB291_312
; %bb.307:                              ;   in Loop: Header=BB291_289 Depth=1
	v_bfe_u32 v32, v10, 16, 7
	v_mov_b32_e32 v27, 0x7c01
	s_mov_b32 s12, exec_lo
	v_cmpx_ne_u32_e32 0x7f, v32
	s_cbranch_execz .LBB291_311
; %bb.308:                              ;   in Loop: Header=BB291_289 Depth=1
	v_and_b32_e32 v27, 7, v2
	v_lshrrev_b32_e32 v31, 3, v32
	s_mov_b32 s13, exec_lo
	v_cmpx_gt_u32_e32 8, v32
; %bb.309:                              ;   in Loop: Header=BB291_289 Depth=1
	v_ffbh_u32_e32 v27, v27
	v_min_u32_e32 v27, 32, v27
	v_subrev_nc_u32_e32 v31, 28, v27
	v_lshlrev_b64 v[32:33], v31, v[2:3]
	v_sub_nc_u32_e32 v31, 29, v27
	v_and_b32_e32 v27, 7, v32
; %bb.310:                              ;   in Loop: Header=BB291_289 Depth=1
	s_or_b32 exec_lo, exec_lo, s13
	v_lshlrev_b32_e32 v2, 8, v2
	v_lshl_add_u32 v31, v31, 10, 0x2000
	v_lshlrev_b32_e32 v27, 7, v27
	v_and_b32_e32 v2, 0x8000, v2
	v_and_b32_e32 v31, 0xfc00, v31
	v_or3_b32 v27, v2, v31, v27
.LBB291_311:                            ;   in Loop: Header=BB291_289 Depth=1
	s_or_b32 exec_lo, exec_lo, s12
.LBB291_312:                            ;   in Loop: Header=BB291_289 Depth=1
	s_or_b32 exec_lo, exec_lo, s9
.LBB291_313:                            ;   in Loop: Header=BB291_289 Depth=1
	s_or_b32 exec_lo, exec_lo, s0
	v_mov_b32_e32 v31, 0
	v_mov_b32_e32 v32, 0
	s_mov_b32 s0, exec_lo
	v_cmpx_lt_u32_e32 0xffffff, v10
	s_cbranch_execz .LBB291_321
; %bb.314:                              ;   in Loop: Header=BB291_289 Depth=1
	v_lshrrev_b32_e32 v2, 24, v10
	v_bfrev_b32_e32 v32, 1
	s_mov_b32 s9, exec_lo
	v_cmpx_ne_u32_e32 0x80, v2
	s_cbranch_execz .LBB291_320
; %bb.315:                              ;   in Loop: Header=BB291_289 Depth=1
	v_and_b32_e32 v42, 0x7f, v2
	v_mov_b32_e32 v32, 0x7c010000
	s_mov_b32 s12, exec_lo
	v_cmpx_ne_u32_e32 0x7f, v42
	s_cbranch_execz .LBB291_319
; %bb.316:                              ;   in Loop: Header=BB291_289 Depth=1
	v_and_b32_e32 v32, 7, v2
	v_lshrrev_b32_e32 v33, 3, v42
	s_mov_b32 s13, exec_lo
	v_cmpx_gt_u32_e32 8, v42
; %bb.317:                              ;   in Loop: Header=BB291_289 Depth=1
	v_ffbh_u32_e32 v32, v32
	v_min_u32_e32 v42, 32, v32
	v_subrev_nc_u32_e32 v32, 28, v42
	v_lshlrev_b64 v[32:33], v32, v[2:3]
	v_sub_nc_u32_e32 v33, 29, v42
	v_and_b32_e32 v32, 7, v32
; %bb.318:                              ;   in Loop: Header=BB291_289 Depth=1
	s_or_b32 exec_lo, exec_lo, s13
	v_lshlrev_b32_e32 v2, 8, v2
	v_lshl_add_u32 v33, v33, 10, 0x2000
	v_lshlrev_b32_e32 v32, 23, v32
	v_and_or_b32 v2, 0x8000, v2, v33
	v_lshl_or_b32 v32, v2, 16, v32
.LBB291_319:                            ;   in Loop: Header=BB291_289 Depth=1
	s_or_b32 exec_lo, exec_lo, s12
.LBB291_320:                            ;   in Loop: Header=BB291_289 Depth=1
	s_or_b32 exec_lo, exec_lo, s9
.LBB291_321:                            ;   in Loop: Header=BB291_289 Depth=1
	s_or_b32 exec_lo, exec_lo, s0
	v_mov_b32_e32 v2, v11
	v_cmp_ne_u16_sdwa s9, v11, v3 src0_sel:BYTE_0 src1_sel:DWORD
	s_and_saveexec_b32 s0, s9
	s_cbranch_execz .LBB291_329
; %bb.322:                              ;   in Loop: Header=BB291_289 Depth=1
	v_cmp_ne_u16_sdwa s12, v11, v23 src0_sel:BYTE_0 src1_sel:DWORD
	v_mov_b32_e32 v31, 0x8000
	s_and_saveexec_b32 s9, s12
	s_cbranch_execz .LBB291_328
; %bb.323:                              ;   in Loop: Header=BB291_289 Depth=1
	v_and_b32_e32 v42, 0x7f, v11
	v_mov_b32_e32 v31, 0x7c01
	s_mov_b32 s12, exec_lo
	v_cmpx_ne_u32_e32 0x7f, v42
	s_cbranch_execz .LBB291_327
; %bb.324:                              ;   in Loop: Header=BB291_289 Depth=1
	v_and_b32_e32 v31, 7, v11
	v_lshrrev_b32_e32 v33, 3, v42
	s_mov_b32 s13, exec_lo
	v_cmpx_gt_u32_e32 8, v42
; %bb.325:                              ;   in Loop: Header=BB291_289 Depth=1
	v_ffbh_u32_e32 v31, v31
	v_min_u32_e32 v31, 32, v31
	v_subrev_nc_u32_e32 v33, 28, v31
	v_lshlrev_b64 v[42:43], v33, v[2:3]
	v_sub_nc_u32_e32 v33, 29, v31
	v_and_b32_e32 v31, 7, v42
; %bb.326:                              ;   in Loop: Header=BB291_289 Depth=1
	s_or_b32 exec_lo, exec_lo, s13
	v_lshlrev_b32_e32 v42, 8, v11
	v_lshl_add_u32 v33, v33, 10, 0x2000
	v_lshlrev_b32_e32 v31, 7, v31
	v_and_b32_e32 v42, 0x8000, v42
	v_and_b32_e32 v33, 0xfc00, v33
	v_or3_b32 v31, v42, v33, v31
.LBB291_327:                            ;   in Loop: Header=BB291_289 Depth=1
	s_or_b32 exec_lo, exec_lo, s12
.LBB291_328:                            ;   in Loop: Header=BB291_289 Depth=1
	s_or_b32 exec_lo, exec_lo, s9
.LBB291_329:                            ;   in Loop: Header=BB291_289 Depth=1
	s_or_b32 exec_lo, exec_lo, s0
	v_lshrrev_b16 v2, 8, v2
	v_mov_b32_e32 v42, 0
	v_mov_b32_e32 v33, 0
	s_mov_b32 s0, exec_lo
	v_cmpx_ne_u16_e32 0, v2
	s_cbranch_execz .LBB291_337
; %bb.330:                              ;   in Loop: Header=BB291_289 Depth=1
	v_bfrev_b32_e32 v33, 1
	s_mov_b32 s9, exec_lo
	v_cmpx_ne_u16_e32 0x80, v2
	s_cbranch_execz .LBB291_336
; %bb.331:                              ;   in Loop: Header=BB291_289 Depth=1
	v_and_b32_sdwa v44, v2, v24 dst_sel:DWORD dst_unused:UNUSED_PAD src0_sel:WORD_0 src1_sel:DWORD
	v_mov_b32_e32 v33, 0x7c010000
	s_mov_b32 s12, exec_lo
	v_cmpx_ne_u32_e32 0x7f, v44
	s_cbranch_execz .LBB291_335
; %bb.332:                              ;   in Loop: Header=BB291_289 Depth=1
	v_and_b32_sdwa v33, v2, v25 dst_sel:DWORD dst_unused:UNUSED_PAD src0_sel:WORD_0 src1_sel:DWORD
	v_lshrrev_b32_e32 v43, 3, v44
	s_mov_b32 s13, exec_lo
	v_cmpx_gt_u32_e32 8, v44
; %bb.333:                              ;   in Loop: Header=BB291_289 Depth=1
	v_ffbh_u32_e32 v33, v33
	v_min_u32_e32 v33, 32, v33
	v_subrev_nc_u32_e32 v43, 28, v33
	v_lshlrev_b64 v[44:45], v43, v[2:3]
	v_sub_nc_u32_e32 v43, 29, v33
	v_and_b32_e32 v33, 7, v44
; %bb.334:                              ;   in Loop: Header=BB291_289 Depth=1
	s_or_b32 exec_lo, exec_lo, s13
	v_lshlrev_b32_sdwa v2, v26, v2 dst_sel:DWORD dst_unused:UNUSED_PAD src0_sel:DWORD src1_sel:WORD_0
	v_lshl_add_u32 v43, v43, 10, 0x2000
	v_lshlrev_b32_e32 v33, 23, v33
	v_and_or_b32 v2, 0x8000, v2, v43
	v_lshl_or_b32 v33, v2, 16, v33
.LBB291_335:                            ;   in Loop: Header=BB291_289 Depth=1
	s_or_b32 exec_lo, exec_lo, s12
.LBB291_336:                            ;   in Loop: Header=BB291_289 Depth=1
	s_or_b32 exec_lo, exec_lo, s9
.LBB291_337:                            ;   in Loop: Header=BB291_289 Depth=1
	s_or_b32 exec_lo, exec_lo, s0
	v_lshrrev_b32_e32 v2, 16, v11
	v_cmp_ne_u16_sdwa s9, v2, v3 src0_sel:BYTE_0 src1_sel:DWORD
	s_and_saveexec_b32 s0, s9
	s_cbranch_execz .LBB291_345
; %bb.338:                              ;   in Loop: Header=BB291_289 Depth=1
	v_cmp_ne_u16_sdwa s12, v2, v23 src0_sel:BYTE_0 src1_sel:DWORD
	v_mov_b32_e32 v42, 0x8000
	s_and_saveexec_b32 s9, s12
	s_cbranch_execz .LBB291_344
; %bb.339:                              ;   in Loop: Header=BB291_289 Depth=1
	v_bfe_u32 v44, v11, 16, 7
	v_mov_b32_e32 v42, 0x7c01
	s_mov_b32 s12, exec_lo
	v_cmpx_ne_u32_e32 0x7f, v44
	s_cbranch_execz .LBB291_343
; %bb.340:                              ;   in Loop: Header=BB291_289 Depth=1
	v_and_b32_e32 v42, 7, v2
	v_lshrrev_b32_e32 v43, 3, v44
	s_mov_b32 s13, exec_lo
	v_cmpx_gt_u32_e32 8, v44
; %bb.341:                              ;   in Loop: Header=BB291_289 Depth=1
	v_ffbh_u32_e32 v42, v42
	v_min_u32_e32 v44, 32, v42
	v_subrev_nc_u32_e32 v42, 28, v44
	v_lshlrev_b64 v[42:43], v42, v[2:3]
	v_sub_nc_u32_e32 v43, 29, v44
	v_and_b32_e32 v42, 7, v42
; %bb.342:                              ;   in Loop: Header=BB291_289 Depth=1
	s_or_b32 exec_lo, exec_lo, s13
	v_lshlrev_b32_e32 v2, 8, v2
	v_lshl_add_u32 v43, v43, 10, 0x2000
	v_lshlrev_b32_e32 v42, 7, v42
	v_and_b32_e32 v2, 0x8000, v2
	v_and_b32_e32 v43, 0xfc00, v43
	v_or3_b32 v42, v2, v43, v42
.LBB291_343:                            ;   in Loop: Header=BB291_289 Depth=1
	s_or_b32 exec_lo, exec_lo, s12
.LBB291_344:                            ;   in Loop: Header=BB291_289 Depth=1
	s_or_b32 exec_lo, exec_lo, s9
.LBB291_345:                            ;   in Loop: Header=BB291_289 Depth=1
	s_or_b32 exec_lo, exec_lo, s0
	v_cmp_lt_u64_e32 vcc_lo, s[4:5], v[10:11]
	v_mov_b32_e32 v10, 0
	s_and_saveexec_b32 s0, vcc_lo
	s_cbranch_execz .LBB291_353
; %bb.346:                              ;   in Loop: Header=BB291_289 Depth=1
	v_lshrrev_b32_e32 v2, 24, v11
	v_bfrev_b32_e32 v10, 1
	s_mov_b32 s9, exec_lo
	v_cmpx_ne_u32_e32 0x80, v2
	s_cbranch_execz .LBB291_352
; %bb.347:                              ;   in Loop: Header=BB291_289 Depth=1
	v_and_b32_e32 v43, 0x7f, v2
	v_mov_b32_e32 v10, 0x7c010000
	s_mov_b32 s12, exec_lo
	v_cmpx_ne_u32_e32 0x7f, v43
	s_cbranch_execz .LBB291_351
; %bb.348:                              ;   in Loop: Header=BB291_289 Depth=1
	v_and_b32_e32 v10, 7, v2
	v_lshrrev_b32_e32 v11, 3, v43
	s_mov_b32 s13, exec_lo
	v_cmpx_gt_u32_e32 8, v43
; %bb.349:                              ;   in Loop: Header=BB291_289 Depth=1
	v_ffbh_u32_e32 v10, v10
	v_min_u32_e32 v43, 32, v10
	v_subrev_nc_u32_e32 v10, 28, v43
	v_lshlrev_b64 v[10:11], v10, v[2:3]
	v_sub_nc_u32_e32 v11, 29, v43
	v_and_b32_e32 v10, 7, v10
; %bb.350:                              ;   in Loop: Header=BB291_289 Depth=1
	s_or_b32 exec_lo, exec_lo, s13
	v_lshlrev_b32_e32 v2, 8, v2
	v_lshl_add_u32 v11, v11, 10, 0x2000
	v_lshlrev_b32_e32 v10, 23, v10
	v_and_or_b32 v2, 0x8000, v2, v11
	v_lshl_or_b32 v10, v2, 16, v10
.LBB291_351:                            ;   in Loop: Header=BB291_289 Depth=1
	s_or_b32 exec_lo, exec_lo, s12
.LBB291_352:                            ;   in Loop: Header=BB291_289 Depth=1
	s_or_b32 exec_lo, exec_lo, s9
.LBB291_353:                            ;   in Loop: Header=BB291_289 Depth=1
	s_or_b32 exec_lo, exec_lo, s0
	v_or_b32_e32 v2, v32, v27
	s_waitcnt vmcnt(0)
	v_fma_mixlo_f16 v11, v28, v32, 0 op_sel:[0,1,0] op_sel_hi:[0,1,0]
	v_or_b32_e32 v29, v30, v29
	v_fma_mixlo_f16 v30, v28, v30, 0 op_sel:[0,1,0] op_sel_hi:[0,1,0]
	v_or_b32_e32 v31, v33, v31
	v_fma_mixlo_f16 v2, v28, v2, 0 op_sel_hi:[0,1,0]
	v_or_b32_e32 v32, v10, v42
	v_fma_mixlo_f16 v10, v28, v10, 0 op_sel:[0,1,0] op_sel_hi:[0,1,0]
	v_lshlrev_b32_e32 v48, 16, v30
	v_fma_mixlo_f16 v30, v28, v31, 0 op_sel_hi:[0,1,0]
	v_and_b32_e32 v45, 0xffff, v2
	v_fma_mixlo_f16 v2, v28, v29, 0 op_sel_hi:[0,1,0]
	v_fma_mixlo_f16 v29, v28, v33, 0 op_sel:[0,1,0] op_sel_hi:[0,1,0]
	v_fma_mixlo_f16 v28, v28, v32, 0 op_sel_hi:[0,1,0]
	v_lshlrev_b32_e32 v11, 16, v11
	v_and_b32_e32 v49, 0xffff, v30
	v_and_b32_e32 v50, 0xffff, v2
	v_lshlrev_b32_e32 v46, 16, v29
	v_lshlrev_b32_e32 v43, 16, v10
	v_and_b32_e32 v47, 0xffff, v28
	v_add_nc_u32_e32 v27, -7, v15
	v_cmp_eq_u32_e32 vcc_lo, s16, v1
	v_or_b32_e32 v2, v11, v45
	v_or_b32_e32 v10, v48, v50
	;; [unrolled: 1-line block ×4, first 2 shown]
	v_add_nc_u32_e32 v33, -6, v15
	v_add_nc_u32_e32 v32, -5, v15
	v_add_nc_u32_e32 v31, -4, v15
	v_add_nc_u32_e32 v30, -3, v15
	v_add_nc_u32_e32 v29, -2, v15
	v_add_nc_u32_e32 v28, -1, v15
	s_and_saveexec_b32 s9, vcc_lo
	s_cbranch_execz .LBB291_355
; %bb.354:                              ;   in Loop: Header=BB291_289 Depth=1
	v_cmp_gt_i32_e64 s0, s27, v27
	v_cndmask_b32_e64 v2, 0, v50, s0
	v_cmp_gt_i32_e64 s0, s27, v33
	v_cndmask_b32_e64 v10, 0, v48, s0
	v_cmp_gt_i32_e64 s0, s27, v32
	v_or_b32_e32 v10, v10, v2
	v_cndmask_b32_e64 v42, 0, v45, s0
	v_cmp_gt_i32_e64 s0, s27, v31
	v_cndmask_b32_e64 v11, 0, v11, s0
	v_cmp_gt_i32_e64 s0, s27, v30
	v_or_b32_e32 v2, v11, v42
	;; [unrolled: 5-line block ×3, first 2 shown]
	v_cndmask_b32_e64 v46, 0, v47, s0
	v_cmp_gt_i32_e64 s0, s27, v15
	v_cndmask_b32_e64 v43, 0, v43, s0
	v_or_b32_e32 v44, v43, v46
.LBB291_355:                            ;   in Loop: Header=BB291_289 Depth=1
	s_or_b32 exec_lo, exec_lo, s9
	v_and_b32_e32 v11, 0xffff, v34
	v_and_b32_e32 v34, 0xffff, v38
	;; [unrolled: 1-line block ×4, first 2 shown]
	v_lshl_or_b32 v38, v35, 16, v11
	v_lshl_or_b32 v36, v36, 16, v34
	;;#ASMSTART
	v_pk_mul_f16 v10, v38, v10;

	;;#ASMEND
	;;#ASMSTART
	v_pk_mul_f16 v2, v36, v2;

	;;#ASMEND
	v_lshl_or_b32 v35, v37, 16, v40
	v_lshl_or_b32 v34, v39, 16, v41
	;;#ASMSTART
	v_pk_mul_f16 v11, v35, v42;

	;;#ASMEND
	;;#ASMSTART
	v_pk_mul_f16 v37, v34, v44;

	;;#ASMEND
	;;#ASMSTART
	v_pk_add_f16 v2, v10, v2;

	;;#ASMEND
	;;#ASMSTART
	v_pk_add_f16 v2, v2, v11;

	;;#ASMEND
	;;#ASMSTART
	v_pk_add_f16 v2, v2, v37;

	;;#ASMEND
	v_and_b32_e32 v10, 0xffff, v2
	v_lshrrev_b32_e32 v2, 16, v2
	;;#ASMSTART
	v_cvt_f32_f16 v37, v10;
	;;#ASMEND
	;;#ASMSTART
	v_cvt_f32_f16 v39, v2;
	;;#ASMEND
	global_load_dwordx2 v[10:11], v[8:9], off offset:256
	v_mov_b32_e32 v41, 0
	v_mov_b32_e32 v42, 0
	global_load_dword v40, v41, s[14:15]
	s_waitcnt vmcnt(1)
	v_cmp_ne_u16_sdwa s0, v10, v3 src0_sel:BYTE_0 src1_sel:DWORD
	s_and_saveexec_b32 s9, s0
	s_cbranch_execz .LBB291_363
; %bb.356:                              ;   in Loop: Header=BB291_289 Depth=1
	v_cmp_ne_u16_sdwa s0, v10, v23 src0_sel:BYTE_0 src1_sel:DWORD
	v_mov_b32_e32 v42, 0x8000
	s_and_saveexec_b32 s12, s0
	s_cbranch_execz .LBB291_362
; %bb.357:                              ;   in Loop: Header=BB291_289 Depth=1
	v_and_b32_e32 v43, 0x7f, v10
	v_mov_b32_e32 v42, 0x7c01
	s_mov_b32 s13, exec_lo
	v_cmpx_ne_u32_e32 0x7f, v43
	s_cbranch_execz .LBB291_361
; %bb.358:                              ;   in Loop: Header=BB291_289 Depth=1
	v_and_b32_e32 v2, 7, v10
	v_lshrrev_b32_e32 v42, 3, v43
	s_mov_b32 s17, exec_lo
	v_cmpx_gt_u32_e32 8, v43
; %bb.359:                              ;   in Loop: Header=BB291_289 Depth=1
	v_ffbh_u32_e32 v2, v2
	v_min_u32_e32 v2, 32, v2
	v_subrev_nc_u32_e32 v42, 28, v2
	v_lshlrev_b64 v[43:44], v42, v[10:11]
	v_sub_nc_u32_e32 v42, 29, v2
	v_and_b32_e32 v2, 7, v43
; %bb.360:                              ;   in Loop: Header=BB291_289 Depth=1
	s_or_b32 exec_lo, exec_lo, s17
	v_lshlrev_b32_e32 v43, 8, v10
	v_lshl_add_u32 v42, v42, 10, 0x2000
	v_lshlrev_b32_e32 v2, 7, v2
	v_and_b32_e32 v43, 0x8000, v43
	v_and_b32_e32 v42, 0xfc00, v42
	v_or3_b32 v42, v43, v42, v2
.LBB291_361:                            ;   in Loop: Header=BB291_289 Depth=1
	s_or_b32 exec_lo, exec_lo, s13
.LBB291_362:                            ;   in Loop: Header=BB291_289 Depth=1
	s_or_b32 exec_lo, exec_lo, s12
.LBB291_363:                            ;   in Loop: Header=BB291_289 Depth=1
	s_or_b32 exec_lo, exec_lo, s9
	v_lshrrev_b16 v2, 8, v10
	s_mov_b32 s9, exec_lo
	v_cmpx_ne_u16_e32 0, v2
	s_cbranch_execz .LBB291_371
; %bb.364:                              ;   in Loop: Header=BB291_289 Depth=1
	v_bfrev_b32_e32 v41, 1
	s_mov_b32 s12, exec_lo
	v_cmpx_ne_u16_e32 0x80, v2
	s_cbranch_execz .LBB291_370
; %bb.365:                              ;   in Loop: Header=BB291_289 Depth=1
	v_and_b32_sdwa v44, v2, v24 dst_sel:DWORD dst_unused:UNUSED_PAD src0_sel:WORD_0 src1_sel:DWORD
	v_mov_b32_e32 v41, 0x7c010000
	s_mov_b32 s13, exec_lo
	v_cmpx_ne_u32_e32 0x7f, v44
	s_cbranch_execz .LBB291_369
; %bb.366:                              ;   in Loop: Header=BB291_289 Depth=1
	v_and_b32_sdwa v41, v2, v25 dst_sel:DWORD dst_unused:UNUSED_PAD src0_sel:WORD_0 src1_sel:DWORD
	v_lshrrev_b32_e32 v43, 3, v44
	s_mov_b32 s17, exec_lo
	v_cmpx_gt_u32_e32 8, v44
; %bb.367:                              ;   in Loop: Header=BB291_289 Depth=1
	v_ffbh_u32_e32 v41, v41
	v_min_u32_e32 v41, 32, v41
	v_subrev_nc_u32_e32 v43, 28, v41
	v_lshlrev_b64 v[44:45], v43, v[2:3]
	v_sub_nc_u32_e32 v43, 29, v41
	v_and_b32_e32 v41, 7, v44
; %bb.368:                              ;   in Loop: Header=BB291_289 Depth=1
	s_or_b32 exec_lo, exec_lo, s17
	v_lshlrev_b32_sdwa v2, v26, v2 dst_sel:DWORD dst_unused:UNUSED_PAD src0_sel:DWORD src1_sel:WORD_0
	v_lshl_add_u32 v43, v43, 10, 0x2000
	v_lshlrev_b32_e32 v41, 23, v41
	v_and_or_b32 v2, 0x8000, v2, v43
	v_lshl_or_b32 v41, v2, 16, v41
.LBB291_369:                            ;   in Loop: Header=BB291_289 Depth=1
	s_or_b32 exec_lo, exec_lo, s13
.LBB291_370:                            ;   in Loop: Header=BB291_289 Depth=1
	s_or_b32 exec_lo, exec_lo, s12
.LBB291_371:                            ;   in Loop: Header=BB291_289 Depth=1
	s_or_b32 exec_lo, exec_lo, s9
	v_lshrrev_b32_e32 v2, 16, v10
	v_mov_b32_e32 v43, 0
	v_mov_b32_e32 v44, 0
	v_cmp_ne_u16_sdwa s0, v2, v3 src0_sel:BYTE_0 src1_sel:DWORD
	s_and_saveexec_b32 s9, s0
	s_cbranch_execz .LBB291_379
; %bb.372:                              ;   in Loop: Header=BB291_289 Depth=1
	v_cmp_ne_u16_sdwa s0, v2, v23 src0_sel:BYTE_0 src1_sel:DWORD
	v_mov_b32_e32 v44, 0x8000
	s_and_saveexec_b32 s12, s0
	s_cbranch_execz .LBB291_378
; %bb.373:                              ;   in Loop: Header=BB291_289 Depth=1
	v_bfe_u32 v46, v10, 16, 7
	v_mov_b32_e32 v44, 0x7c01
	s_mov_b32 s13, exec_lo
	v_cmpx_ne_u32_e32 0x7f, v46
	s_cbranch_execz .LBB291_377
; %bb.374:                              ;   in Loop: Header=BB291_289 Depth=1
	v_and_b32_e32 v44, 7, v2
	v_lshrrev_b32_e32 v45, 3, v46
	s_mov_b32 s17, exec_lo
	v_cmpx_gt_u32_e32 8, v46
; %bb.375:                              ;   in Loop: Header=BB291_289 Depth=1
	v_ffbh_u32_e32 v44, v44
	v_min_u32_e32 v46, 32, v44
	v_subrev_nc_u32_e32 v44, 28, v46
	v_lshlrev_b64 v[44:45], v44, v[2:3]
	v_sub_nc_u32_e32 v45, 29, v46
	v_and_b32_e32 v44, 7, v44
; %bb.376:                              ;   in Loop: Header=BB291_289 Depth=1
	s_or_b32 exec_lo, exec_lo, s17
	v_lshlrev_b32_e32 v2, 8, v2
	v_lshl_add_u32 v45, v45, 10, 0x2000
	v_lshlrev_b32_e32 v44, 7, v44
	v_and_b32_e32 v2, 0x8000, v2
	v_and_b32_e32 v45, 0xfc00, v45
	v_or3_b32 v44, v2, v45, v44
.LBB291_377:                            ;   in Loop: Header=BB291_289 Depth=1
	s_or_b32 exec_lo, exec_lo, s13
.LBB291_378:                            ;   in Loop: Header=BB291_289 Depth=1
	s_or_b32 exec_lo, exec_lo, s12
.LBB291_379:                            ;   in Loop: Header=BB291_289 Depth=1
	s_or_b32 exec_lo, exec_lo, s9
	s_mov_b32 s9, exec_lo
	v_cmpx_lt_u32_e32 0xffffff, v10
	s_cbranch_execz .LBB291_387
; %bb.380:                              ;   in Loop: Header=BB291_289 Depth=1
	v_lshrrev_b32_e32 v2, 24, v10
	v_bfrev_b32_e32 v43, 1
	s_mov_b32 s12, exec_lo
	v_cmpx_ne_u32_e32 0x80, v2
	s_cbranch_execz .LBB291_386
; %bb.381:                              ;   in Loop: Header=BB291_289 Depth=1
	v_and_b32_e32 v46, 0x7f, v2
	v_mov_b32_e32 v43, 0x7c010000
	s_mov_b32 s13, exec_lo
	v_cmpx_ne_u32_e32 0x7f, v46
	s_cbranch_execz .LBB291_385
; %bb.382:                              ;   in Loop: Header=BB291_289 Depth=1
	v_and_b32_e32 v43, 7, v2
	v_lshrrev_b32_e32 v45, 3, v46
	s_mov_b32 s17, exec_lo
	v_cmpx_gt_u32_e32 8, v46
; %bb.383:                              ;   in Loop: Header=BB291_289 Depth=1
	v_ffbh_u32_e32 v43, v43
	v_min_u32_e32 v43, 32, v43
	v_subrev_nc_u32_e32 v45, 28, v43
	v_lshlrev_b64 v[46:47], v45, v[2:3]
	v_sub_nc_u32_e32 v45, 29, v43
	v_and_b32_e32 v43, 7, v46
; %bb.384:                              ;   in Loop: Header=BB291_289 Depth=1
	s_or_b32 exec_lo, exec_lo, s17
	v_lshlrev_b32_e32 v2, 8, v2
	v_lshl_add_u32 v45, v45, 10, 0x2000
	v_lshlrev_b32_e32 v43, 23, v43
	v_and_or_b32 v2, 0x8000, v2, v45
	v_lshl_or_b32 v43, v2, 16, v43
.LBB291_385:                            ;   in Loop: Header=BB291_289 Depth=1
	s_or_b32 exec_lo, exec_lo, s13
.LBB291_386:                            ;   in Loop: Header=BB291_289 Depth=1
	s_or_b32 exec_lo, exec_lo, s12
.LBB291_387:                            ;   in Loop: Header=BB291_289 Depth=1
	s_or_b32 exec_lo, exec_lo, s9
	v_mov_b32_e32 v2, v11
	v_cmp_ne_u16_sdwa s0, v11, v3 src0_sel:BYTE_0 src1_sel:DWORD
	v_mov_b32_e32 v45, 0
	v_mov_b32_e32 v46, 0
	s_and_saveexec_b32 s9, s0
	s_cbranch_execz .LBB291_395
; %bb.388:                              ;   in Loop: Header=BB291_289 Depth=1
	v_cmp_ne_u16_sdwa s0, v11, v23 src0_sel:BYTE_0 src1_sel:DWORD
	v_mov_b32_e32 v46, 0x8000
	s_and_saveexec_b32 s12, s0
	s_cbranch_execz .LBB291_394
; %bb.389:                              ;   in Loop: Header=BB291_289 Depth=1
	v_and_b32_e32 v48, 0x7f, v11
	v_mov_b32_e32 v46, 0x7c01
	s_mov_b32 s13, exec_lo
	v_cmpx_ne_u32_e32 0x7f, v48
	s_cbranch_execz .LBB291_393
; %bb.390:                              ;   in Loop: Header=BB291_289 Depth=1
	v_and_b32_e32 v46, 7, v11
	v_lshrrev_b32_e32 v47, 3, v48
	s_mov_b32 s17, exec_lo
	v_cmpx_gt_u32_e32 8, v48
; %bb.391:                              ;   in Loop: Header=BB291_289 Depth=1
	v_ffbh_u32_e32 v46, v46
	v_min_u32_e32 v48, 32, v46
	v_subrev_nc_u32_e32 v46, 28, v48
	v_lshlrev_b64 v[46:47], v46, v[2:3]
	v_sub_nc_u32_e32 v47, 29, v48
	v_and_b32_e32 v46, 7, v46
; %bb.392:                              ;   in Loop: Header=BB291_289 Depth=1
	s_or_b32 exec_lo, exec_lo, s17
	v_lshlrev_b32_e32 v48, 8, v11
	v_lshl_add_u32 v47, v47, 10, 0x2000
	v_lshlrev_b32_e32 v46, 7, v46
	v_and_b32_e32 v48, 0x8000, v48
	v_and_b32_e32 v47, 0xfc00, v47
	v_or3_b32 v46, v48, v47, v46
.LBB291_393:                            ;   in Loop: Header=BB291_289 Depth=1
	s_or_b32 exec_lo, exec_lo, s13
.LBB291_394:                            ;   in Loop: Header=BB291_289 Depth=1
	s_or_b32 exec_lo, exec_lo, s12
.LBB291_395:                            ;   in Loop: Header=BB291_289 Depth=1
	s_or_b32 exec_lo, exec_lo, s9
	v_lshrrev_b16 v2, 8, v2
	v_mov_b32_e32 v47, 0
	s_mov_b32 s9, exec_lo
	v_cmpx_ne_u16_e32 0, v2
	s_cbranch_execz .LBB291_403
; %bb.396:                              ;   in Loop: Header=BB291_289 Depth=1
	v_bfrev_b32_e32 v47, 1
	s_mov_b32 s12, exec_lo
	v_cmpx_ne_u16_e32 0x80, v2
	s_cbranch_execz .LBB291_402
; %bb.397:                              ;   in Loop: Header=BB291_289 Depth=1
	v_and_b32_sdwa v49, v2, v24 dst_sel:DWORD dst_unused:UNUSED_PAD src0_sel:WORD_0 src1_sel:DWORD
	v_mov_b32_e32 v47, 0x7c010000
	s_mov_b32 s13, exec_lo
	v_cmpx_ne_u32_e32 0x7f, v49
	s_cbranch_execz .LBB291_401
; %bb.398:                              ;   in Loop: Header=BB291_289 Depth=1
	v_and_b32_sdwa v47, v2, v25 dst_sel:DWORD dst_unused:UNUSED_PAD src0_sel:WORD_0 src1_sel:DWORD
	v_lshrrev_b32_e32 v48, 3, v49
	s_mov_b32 s17, exec_lo
	v_cmpx_gt_u32_e32 8, v49
; %bb.399:                              ;   in Loop: Header=BB291_289 Depth=1
	v_ffbh_u32_e32 v47, v47
	v_min_u32_e32 v49, 32, v47
	v_subrev_nc_u32_e32 v47, 28, v49
	v_lshlrev_b64 v[47:48], v47, v[2:3]
	v_sub_nc_u32_e32 v48, 29, v49
	v_and_b32_e32 v47, 7, v47
; %bb.400:                              ;   in Loop: Header=BB291_289 Depth=1
	s_or_b32 exec_lo, exec_lo, s17
	v_lshlrev_b32_sdwa v2, v26, v2 dst_sel:DWORD dst_unused:UNUSED_PAD src0_sel:DWORD src1_sel:WORD_0
	v_lshl_add_u32 v48, v48, 10, 0x2000
	v_lshlrev_b32_e32 v47, 23, v47
	v_and_or_b32 v2, 0x8000, v2, v48
	v_lshl_or_b32 v47, v2, 16, v47
.LBB291_401:                            ;   in Loop: Header=BB291_289 Depth=1
	s_or_b32 exec_lo, exec_lo, s13
.LBB291_402:                            ;   in Loop: Header=BB291_289 Depth=1
	s_or_b32 exec_lo, exec_lo, s12
.LBB291_403:                            ;   in Loop: Header=BB291_289 Depth=1
	s_or_b32 exec_lo, exec_lo, s9
	v_lshrrev_b32_e32 v2, 16, v11
	v_cmp_ne_u16_sdwa s0, v2, v3 src0_sel:BYTE_0 src1_sel:DWORD
	s_and_saveexec_b32 s9, s0
	s_cbranch_execz .LBB291_411
; %bb.404:                              ;   in Loop: Header=BB291_289 Depth=1
	v_cmp_ne_u16_sdwa s0, v2, v23 src0_sel:BYTE_0 src1_sel:DWORD
	v_mov_b32_e32 v45, 0x8000
	s_and_saveexec_b32 s12, s0
	s_cbranch_execz .LBB291_410
; %bb.405:                              ;   in Loop: Header=BB291_289 Depth=1
	v_bfe_u32 v49, v11, 16, 7
	v_mov_b32_e32 v45, 0x7c01
	s_mov_b32 s13, exec_lo
	v_cmpx_ne_u32_e32 0x7f, v49
	s_cbranch_execz .LBB291_409
; %bb.406:                              ;   in Loop: Header=BB291_289 Depth=1
	v_and_b32_e32 v45, 7, v2
	v_lshrrev_b32_e32 v48, 3, v49
	s_mov_b32 s17, exec_lo
	v_cmpx_gt_u32_e32 8, v49
; %bb.407:                              ;   in Loop: Header=BB291_289 Depth=1
	v_ffbh_u32_e32 v45, v45
	v_min_u32_e32 v45, 32, v45
	v_subrev_nc_u32_e32 v48, 28, v45
	v_lshlrev_b64 v[49:50], v48, v[2:3]
	v_sub_nc_u32_e32 v48, 29, v45
	v_and_b32_e32 v45, 7, v49
; %bb.408:                              ;   in Loop: Header=BB291_289 Depth=1
	s_or_b32 exec_lo, exec_lo, s17
	v_lshlrev_b32_e32 v2, 8, v2
	v_lshl_add_u32 v48, v48, 10, 0x2000
	v_lshlrev_b32_e32 v45, 7, v45
	v_and_b32_e32 v2, 0x8000, v2
	v_and_b32_e32 v48, 0xfc00, v48
	v_or3_b32 v45, v2, v48, v45
.LBB291_409:                            ;   in Loop: Header=BB291_289 Depth=1
	s_or_b32 exec_lo, exec_lo, s13
.LBB291_410:                            ;   in Loop: Header=BB291_289 Depth=1
	s_or_b32 exec_lo, exec_lo, s12
.LBB291_411:                            ;   in Loop: Header=BB291_289 Depth=1
	s_or_b32 exec_lo, exec_lo, s9
	v_cmp_lt_u64_e64 s0, s[4:5], v[10:11]
	v_mov_b32_e32 v10, 0
	s_and_saveexec_b32 s9, s0
	s_cbranch_execz .LBB291_419
; %bb.412:                              ;   in Loop: Header=BB291_289 Depth=1
	v_lshrrev_b32_e32 v2, 24, v11
	v_bfrev_b32_e32 v10, 1
	s_mov_b32 s12, exec_lo
	v_cmpx_ne_u32_e32 0x80, v2
	s_cbranch_execz .LBB291_418
; %bb.413:                              ;   in Loop: Header=BB291_289 Depth=1
	v_and_b32_e32 v48, 0x7f, v2
	v_mov_b32_e32 v10, 0x7c010000
	s_mov_b32 s13, exec_lo
	v_cmpx_ne_u32_e32 0x7f, v48
	s_cbranch_execz .LBB291_417
; %bb.414:                              ;   in Loop: Header=BB291_289 Depth=1
	v_and_b32_e32 v10, 7, v2
	v_lshrrev_b32_e32 v11, 3, v48
	s_mov_b32 s17, exec_lo
	v_cmpx_gt_u32_e32 8, v48
; %bb.415:                              ;   in Loop: Header=BB291_289 Depth=1
	v_ffbh_u32_e32 v10, v10
	v_min_u32_e32 v48, 32, v10
	v_subrev_nc_u32_e32 v10, 28, v48
	v_lshlrev_b64 v[10:11], v10, v[2:3]
	v_sub_nc_u32_e32 v11, 29, v48
	v_and_b32_e32 v10, 7, v10
; %bb.416:                              ;   in Loop: Header=BB291_289 Depth=1
	s_or_b32 exec_lo, exec_lo, s17
	v_lshlrev_b32_e32 v2, 8, v2
	v_lshl_add_u32 v11, v11, 10, 0x2000
	v_lshlrev_b32_e32 v10, 23, v10
	v_and_or_b32 v2, 0x8000, v2, v11
	v_lshl_or_b32 v10, v2, 16, v10
.LBB291_417:                            ;   in Loop: Header=BB291_289 Depth=1
	s_or_b32 exec_lo, exec_lo, s13
.LBB291_418:                            ;   in Loop: Header=BB291_289 Depth=1
	s_or_b32 exec_lo, exec_lo, s12
.LBB291_419:                            ;   in Loop: Header=BB291_289 Depth=1
	s_or_b32 exec_lo, exec_lo, s9
	v_or_b32_e32 v2, v43, v44
	s_waitcnt vmcnt(0)
	v_fma_mixlo_f16 v11, v40, v43, 0 op_sel:[0,1,0] op_sel_hi:[0,1,0]
	v_or_b32_e32 v43, v41, v42
	v_fma_mixlo_f16 v41, v40, v41, 0 op_sel:[0,1,0] op_sel_hi:[0,1,0]
	v_or_b32_e32 v44, v47, v46
	v_or_b32_e32 v45, v10, v45
	v_fma_mixlo_f16 v46, v40, v2, 0 op_sel_hi:[0,1,0]
	v_fma_mixlo_f16 v10, v40, v10, 0 op_sel:[0,1,0] op_sel_hi:[0,1,0]
	v_lshlrev_b32_e32 v42, 16, v41
	v_fma_mixlo_f16 v41, v40, v43, 0 op_sel_hi:[0,1,0]
	v_fma_mixlo_f16 v43, v40, v47, 0 op_sel:[0,1,0] op_sel_hi:[0,1,0]
	v_fma_mixlo_f16 v44, v40, v44, 0 op_sel_hi:[0,1,0]
	v_fma_mixlo_f16 v45, v40, v45, 0 op_sel_hi:[0,1,0]
	v_lshlrev_b32_e32 v2, 16, v11
	v_and_b32_e32 v11, 0xffff, v46
	v_and_b32_e32 v48, 0xffff, v41
	v_lshlrev_b32_e32 v40, 16, v43
	v_and_b32_e32 v44, 0xffff, v44
	v_lshlrev_b32_e32 v10, 16, v10
	v_and_b32_e32 v41, 0xffff, v45
	v_or_b32_e32 v43, v2, v11
	v_or_b32_e32 v47, v42, v48
	;; [unrolled: 1-line block ×4, first 2 shown]
	s_and_saveexec_b32 s9, vcc_lo
	s_cbranch_execz .LBB291_421
; %bb.420:                              ;   in Loop: Header=BB291_289 Depth=1
	v_cmp_gt_i32_e64 s0, s27, v27
	v_cndmask_b32_e64 v43, 0, v48, s0
	v_cmp_gt_i32_e64 s0, s27, v33
	v_cndmask_b32_e64 v42, 0, v42, s0
	v_cmp_gt_i32_e64 s0, s27, v32
	v_or_b32_e32 v47, v42, v43
	v_cndmask_b32_e64 v11, 0, v11, s0
	v_cmp_gt_i32_e64 s0, s27, v31
	v_cndmask_b32_e64 v2, 0, v2, s0
	v_cmp_gt_i32_e64 s0, s27, v30
	v_or_b32_e32 v43, v2, v11
	v_cndmask_b32_e64 v44, 0, v44, s0
	v_cmp_gt_i32_e64 s0, s27, v29
	v_cndmask_b32_e64 v40, 0, v40, s0
	v_cmp_gt_i32_e64 s0, s27, v28
	v_or_b32_e32 v46, v40, v44
	v_cndmask_b32_e64 v41, 0, v41, s0
	v_cmp_gt_i32_e64 s0, s27, v15
	v_cndmask_b32_e64 v10, 0, v10, s0
	v_or_b32_e32 v45, v10, v41
.LBB291_421:                            ;   in Loop: Header=BB291_289 Depth=1
	s_or_b32 exec_lo, exec_lo, s9
	;;#ASMSTART
	v_pk_mul_f16 v2, v38, v47;

	;;#ASMEND
	;;#ASMSTART
	v_pk_mul_f16 v10, v36, v43;

	;;#ASMEND
	;; [unrolled: 4-line block ×4, first 2 shown]
	;;#ASMSTART
	v_pk_add_f16 v2, v2, v10;

	;;#ASMEND
	;;#ASMSTART
	v_pk_add_f16 v2, v2, v11;

	;;#ASMEND
	;; [unrolled: 4-line block ×3, first 2 shown]
	v_and_b32_e32 v10, 0xffff, v2
	v_lshrrev_b32_e32 v2, 16, v2
	;;#ASMSTART
	v_cvt_f32_f16 v40, v10;
	;;#ASMEND
	;;#ASMSTART
	v_cvt_f32_f16 v41, v2;
	;;#ASMEND
	global_load_dwordx2 v[10:11], v[8:9], off offset:512
	v_mov_b32_e32 v43, 0
	v_mov_b32_e32 v44, 0
	global_load_dword v42, v43, s[14:15]
	s_waitcnt vmcnt(1)
	v_cmp_ne_u16_sdwa s0, v10, v3 src0_sel:BYTE_0 src1_sel:DWORD
	s_and_saveexec_b32 s9, s0
	s_cbranch_execz .LBB291_429
; %bb.422:                              ;   in Loop: Header=BB291_289 Depth=1
	v_cmp_ne_u16_sdwa s0, v10, v23 src0_sel:BYTE_0 src1_sel:DWORD
	v_mov_b32_e32 v44, 0x8000
	s_and_saveexec_b32 s12, s0
	s_cbranch_execz .LBB291_428
; %bb.423:                              ;   in Loop: Header=BB291_289 Depth=1
	v_and_b32_e32 v45, 0x7f, v10
	v_mov_b32_e32 v44, 0x7c01
	s_mov_b32 s13, exec_lo
	v_cmpx_ne_u32_e32 0x7f, v45
	s_cbranch_execz .LBB291_427
; %bb.424:                              ;   in Loop: Header=BB291_289 Depth=1
	v_and_b32_e32 v2, 7, v10
	v_lshrrev_b32_e32 v44, 3, v45
	s_mov_b32 s17, exec_lo
	v_cmpx_gt_u32_e32 8, v45
; %bb.425:                              ;   in Loop: Header=BB291_289 Depth=1
	v_ffbh_u32_e32 v2, v2
	v_min_u32_e32 v2, 32, v2
	v_subrev_nc_u32_e32 v44, 28, v2
	v_lshlrev_b64 v[45:46], v44, v[10:11]
	v_sub_nc_u32_e32 v44, 29, v2
	v_and_b32_e32 v2, 7, v45
; %bb.426:                              ;   in Loop: Header=BB291_289 Depth=1
	s_or_b32 exec_lo, exec_lo, s17
	v_lshlrev_b32_e32 v45, 8, v10
	v_lshl_add_u32 v44, v44, 10, 0x2000
	v_lshlrev_b32_e32 v2, 7, v2
	v_and_b32_e32 v45, 0x8000, v45
	v_and_b32_e32 v44, 0xfc00, v44
	v_or3_b32 v44, v45, v44, v2
.LBB291_427:                            ;   in Loop: Header=BB291_289 Depth=1
	s_or_b32 exec_lo, exec_lo, s13
.LBB291_428:                            ;   in Loop: Header=BB291_289 Depth=1
	s_or_b32 exec_lo, exec_lo, s12
.LBB291_429:                            ;   in Loop: Header=BB291_289 Depth=1
	s_or_b32 exec_lo, exec_lo, s9
	v_lshrrev_b16 v2, 8, v10
	s_mov_b32 s9, exec_lo
	v_cmpx_ne_u16_e32 0, v2
	s_cbranch_execz .LBB291_437
; %bb.430:                              ;   in Loop: Header=BB291_289 Depth=1
	v_bfrev_b32_e32 v43, 1
	s_mov_b32 s12, exec_lo
	v_cmpx_ne_u16_e32 0x80, v2
	s_cbranch_execz .LBB291_436
; %bb.431:                              ;   in Loop: Header=BB291_289 Depth=1
	v_and_b32_sdwa v46, v2, v24 dst_sel:DWORD dst_unused:UNUSED_PAD src0_sel:WORD_0 src1_sel:DWORD
	v_mov_b32_e32 v43, 0x7c010000
	s_mov_b32 s13, exec_lo
	v_cmpx_ne_u32_e32 0x7f, v46
	s_cbranch_execz .LBB291_435
; %bb.432:                              ;   in Loop: Header=BB291_289 Depth=1
	v_and_b32_sdwa v43, v2, v25 dst_sel:DWORD dst_unused:UNUSED_PAD src0_sel:WORD_0 src1_sel:DWORD
	v_lshrrev_b32_e32 v45, 3, v46
	s_mov_b32 s17, exec_lo
	v_cmpx_gt_u32_e32 8, v46
; %bb.433:                              ;   in Loop: Header=BB291_289 Depth=1
	v_ffbh_u32_e32 v43, v43
	v_min_u32_e32 v43, 32, v43
	v_subrev_nc_u32_e32 v45, 28, v43
	v_lshlrev_b64 v[46:47], v45, v[2:3]
	v_sub_nc_u32_e32 v45, 29, v43
	v_and_b32_e32 v43, 7, v46
; %bb.434:                              ;   in Loop: Header=BB291_289 Depth=1
	s_or_b32 exec_lo, exec_lo, s17
	v_lshlrev_b32_sdwa v2, v26, v2 dst_sel:DWORD dst_unused:UNUSED_PAD src0_sel:DWORD src1_sel:WORD_0
	v_lshl_add_u32 v45, v45, 10, 0x2000
	v_lshlrev_b32_e32 v43, 23, v43
	v_and_or_b32 v2, 0x8000, v2, v45
	v_lshl_or_b32 v43, v2, 16, v43
.LBB291_435:                            ;   in Loop: Header=BB291_289 Depth=1
	s_or_b32 exec_lo, exec_lo, s13
.LBB291_436:                            ;   in Loop: Header=BB291_289 Depth=1
	s_or_b32 exec_lo, exec_lo, s12
.LBB291_437:                            ;   in Loop: Header=BB291_289 Depth=1
	s_or_b32 exec_lo, exec_lo, s9
	v_lshrrev_b32_e32 v2, 16, v10
	v_mov_b32_e32 v45, 0
	v_mov_b32_e32 v46, 0
	v_cmp_ne_u16_sdwa s0, v2, v3 src0_sel:BYTE_0 src1_sel:DWORD
	s_and_saveexec_b32 s9, s0
	s_cbranch_execz .LBB291_445
; %bb.438:                              ;   in Loop: Header=BB291_289 Depth=1
	v_cmp_ne_u16_sdwa s0, v2, v23 src0_sel:BYTE_0 src1_sel:DWORD
	v_mov_b32_e32 v46, 0x8000
	s_and_saveexec_b32 s12, s0
	s_cbranch_execz .LBB291_444
; %bb.439:                              ;   in Loop: Header=BB291_289 Depth=1
	v_bfe_u32 v48, v10, 16, 7
	v_mov_b32_e32 v46, 0x7c01
	s_mov_b32 s13, exec_lo
	v_cmpx_ne_u32_e32 0x7f, v48
	s_cbranch_execz .LBB291_443
; %bb.440:                              ;   in Loop: Header=BB291_289 Depth=1
	v_and_b32_e32 v46, 7, v2
	v_lshrrev_b32_e32 v47, 3, v48
	s_mov_b32 s17, exec_lo
	v_cmpx_gt_u32_e32 8, v48
; %bb.441:                              ;   in Loop: Header=BB291_289 Depth=1
	v_ffbh_u32_e32 v46, v46
	v_min_u32_e32 v48, 32, v46
	v_subrev_nc_u32_e32 v46, 28, v48
	v_lshlrev_b64 v[46:47], v46, v[2:3]
	v_sub_nc_u32_e32 v47, 29, v48
	v_and_b32_e32 v46, 7, v46
; %bb.442:                              ;   in Loop: Header=BB291_289 Depth=1
	s_or_b32 exec_lo, exec_lo, s17
	v_lshlrev_b32_e32 v2, 8, v2
	v_lshl_add_u32 v47, v47, 10, 0x2000
	v_lshlrev_b32_e32 v46, 7, v46
	v_and_b32_e32 v2, 0x8000, v2
	v_and_b32_e32 v47, 0xfc00, v47
	v_or3_b32 v46, v2, v47, v46
.LBB291_443:                            ;   in Loop: Header=BB291_289 Depth=1
	s_or_b32 exec_lo, exec_lo, s13
.LBB291_444:                            ;   in Loop: Header=BB291_289 Depth=1
	s_or_b32 exec_lo, exec_lo, s12
.LBB291_445:                            ;   in Loop: Header=BB291_289 Depth=1
	s_or_b32 exec_lo, exec_lo, s9
	s_mov_b32 s9, exec_lo
	v_cmpx_lt_u32_e32 0xffffff, v10
	s_cbranch_execz .LBB291_453
; %bb.446:                              ;   in Loop: Header=BB291_289 Depth=1
	v_lshrrev_b32_e32 v2, 24, v10
	v_bfrev_b32_e32 v45, 1
	s_mov_b32 s12, exec_lo
	v_cmpx_ne_u32_e32 0x80, v2
	s_cbranch_execz .LBB291_452
; %bb.447:                              ;   in Loop: Header=BB291_289 Depth=1
	v_and_b32_e32 v48, 0x7f, v2
	v_mov_b32_e32 v45, 0x7c010000
	s_mov_b32 s13, exec_lo
	v_cmpx_ne_u32_e32 0x7f, v48
	s_cbranch_execz .LBB291_451
; %bb.448:                              ;   in Loop: Header=BB291_289 Depth=1
	v_and_b32_e32 v45, 7, v2
	v_lshrrev_b32_e32 v47, 3, v48
	s_mov_b32 s17, exec_lo
	v_cmpx_gt_u32_e32 8, v48
; %bb.449:                              ;   in Loop: Header=BB291_289 Depth=1
	v_ffbh_u32_e32 v45, v45
	v_min_u32_e32 v45, 32, v45
	v_subrev_nc_u32_e32 v47, 28, v45
	v_lshlrev_b64 v[48:49], v47, v[2:3]
	v_sub_nc_u32_e32 v47, 29, v45
	v_and_b32_e32 v45, 7, v48
; %bb.450:                              ;   in Loop: Header=BB291_289 Depth=1
	s_or_b32 exec_lo, exec_lo, s17
	v_lshlrev_b32_e32 v2, 8, v2
	v_lshl_add_u32 v47, v47, 10, 0x2000
	v_lshlrev_b32_e32 v45, 23, v45
	v_and_or_b32 v2, 0x8000, v2, v47
	v_lshl_or_b32 v45, v2, 16, v45
.LBB291_451:                            ;   in Loop: Header=BB291_289 Depth=1
	s_or_b32 exec_lo, exec_lo, s13
.LBB291_452:                            ;   in Loop: Header=BB291_289 Depth=1
	s_or_b32 exec_lo, exec_lo, s12
.LBB291_453:                            ;   in Loop: Header=BB291_289 Depth=1
	s_or_b32 exec_lo, exec_lo, s9
	v_mov_b32_e32 v2, v11
	v_cmp_ne_u16_sdwa s0, v11, v3 src0_sel:BYTE_0 src1_sel:DWORD
	v_mov_b32_e32 v47, 0
	v_mov_b32_e32 v48, 0
	s_and_saveexec_b32 s9, s0
	s_cbranch_execz .LBB291_461
; %bb.454:                              ;   in Loop: Header=BB291_289 Depth=1
	v_cmp_ne_u16_sdwa s0, v11, v23 src0_sel:BYTE_0 src1_sel:DWORD
	v_mov_b32_e32 v48, 0x8000
	s_and_saveexec_b32 s12, s0
	s_cbranch_execz .LBB291_460
; %bb.455:                              ;   in Loop: Header=BB291_289 Depth=1
	v_and_b32_e32 v50, 0x7f, v11
	v_mov_b32_e32 v48, 0x7c01
	s_mov_b32 s13, exec_lo
	v_cmpx_ne_u32_e32 0x7f, v50
	s_cbranch_execz .LBB291_459
; %bb.456:                              ;   in Loop: Header=BB291_289 Depth=1
	v_and_b32_e32 v48, 7, v11
	v_lshrrev_b32_e32 v49, 3, v50
	s_mov_b32 s17, exec_lo
	v_cmpx_gt_u32_e32 8, v50
; %bb.457:                              ;   in Loop: Header=BB291_289 Depth=1
	v_ffbh_u32_e32 v48, v48
	v_min_u32_e32 v50, 32, v48
	v_subrev_nc_u32_e32 v48, 28, v50
	v_lshlrev_b64 v[48:49], v48, v[2:3]
	v_sub_nc_u32_e32 v49, 29, v50
	v_and_b32_e32 v48, 7, v48
; %bb.458:                              ;   in Loop: Header=BB291_289 Depth=1
	s_or_b32 exec_lo, exec_lo, s17
	v_lshlrev_b32_e32 v50, 8, v11
	v_lshl_add_u32 v49, v49, 10, 0x2000
	v_lshlrev_b32_e32 v48, 7, v48
	v_and_b32_e32 v50, 0x8000, v50
	v_and_b32_e32 v49, 0xfc00, v49
	v_or3_b32 v48, v50, v49, v48
.LBB291_459:                            ;   in Loop: Header=BB291_289 Depth=1
	s_or_b32 exec_lo, exec_lo, s13
.LBB291_460:                            ;   in Loop: Header=BB291_289 Depth=1
	s_or_b32 exec_lo, exec_lo, s12
.LBB291_461:                            ;   in Loop: Header=BB291_289 Depth=1
	s_or_b32 exec_lo, exec_lo, s9
	v_lshrrev_b16 v2, 8, v2
	v_mov_b32_e32 v49, 0
	s_mov_b32 s9, exec_lo
	v_cmpx_ne_u16_e32 0, v2
	s_cbranch_execz .LBB291_469
; %bb.462:                              ;   in Loop: Header=BB291_289 Depth=1
	v_bfrev_b32_e32 v49, 1
	s_mov_b32 s12, exec_lo
	v_cmpx_ne_u16_e32 0x80, v2
	s_cbranch_execz .LBB291_468
; %bb.463:                              ;   in Loop: Header=BB291_289 Depth=1
	v_and_b32_sdwa v51, v2, v24 dst_sel:DWORD dst_unused:UNUSED_PAD src0_sel:WORD_0 src1_sel:DWORD
	v_mov_b32_e32 v49, 0x7c010000
	s_mov_b32 s13, exec_lo
	v_cmpx_ne_u32_e32 0x7f, v51
	s_cbranch_execz .LBB291_467
; %bb.464:                              ;   in Loop: Header=BB291_289 Depth=1
	v_and_b32_sdwa v49, v2, v25 dst_sel:DWORD dst_unused:UNUSED_PAD src0_sel:WORD_0 src1_sel:DWORD
	v_lshrrev_b32_e32 v50, 3, v51
	s_mov_b32 s17, exec_lo
	v_cmpx_gt_u32_e32 8, v51
; %bb.465:                              ;   in Loop: Header=BB291_289 Depth=1
	v_ffbh_u32_e32 v49, v49
	v_min_u32_e32 v51, 32, v49
	v_subrev_nc_u32_e32 v49, 28, v51
	v_lshlrev_b64 v[49:50], v49, v[2:3]
	v_sub_nc_u32_e32 v50, 29, v51
	v_and_b32_e32 v49, 7, v49
; %bb.466:                              ;   in Loop: Header=BB291_289 Depth=1
	s_or_b32 exec_lo, exec_lo, s17
	v_lshlrev_b32_sdwa v2, v26, v2 dst_sel:DWORD dst_unused:UNUSED_PAD src0_sel:DWORD src1_sel:WORD_0
	v_lshl_add_u32 v50, v50, 10, 0x2000
	v_lshlrev_b32_e32 v49, 23, v49
	v_and_or_b32 v2, 0x8000, v2, v50
	v_lshl_or_b32 v49, v2, 16, v49
.LBB291_467:                            ;   in Loop: Header=BB291_289 Depth=1
	s_or_b32 exec_lo, exec_lo, s13
.LBB291_468:                            ;   in Loop: Header=BB291_289 Depth=1
	s_or_b32 exec_lo, exec_lo, s12
.LBB291_469:                            ;   in Loop: Header=BB291_289 Depth=1
	s_or_b32 exec_lo, exec_lo, s9
	v_lshrrev_b32_e32 v2, 16, v11
	v_cmp_ne_u16_sdwa s0, v2, v3 src0_sel:BYTE_0 src1_sel:DWORD
	s_and_saveexec_b32 s9, s0
	s_cbranch_execz .LBB291_477
; %bb.470:                              ;   in Loop: Header=BB291_289 Depth=1
	v_cmp_ne_u16_sdwa s0, v2, v23 src0_sel:BYTE_0 src1_sel:DWORD
	v_mov_b32_e32 v47, 0x8000
	s_and_saveexec_b32 s12, s0
	s_cbranch_execz .LBB291_476
; %bb.471:                              ;   in Loop: Header=BB291_289 Depth=1
	v_bfe_u32 v51, v11, 16, 7
	v_mov_b32_e32 v47, 0x7c01
	s_mov_b32 s13, exec_lo
	v_cmpx_ne_u32_e32 0x7f, v51
	s_cbranch_execz .LBB291_475
; %bb.472:                              ;   in Loop: Header=BB291_289 Depth=1
	v_and_b32_e32 v47, 7, v2
	v_lshrrev_b32_e32 v50, 3, v51
	s_mov_b32 s17, exec_lo
	v_cmpx_gt_u32_e32 8, v51
; %bb.473:                              ;   in Loop: Header=BB291_289 Depth=1
	v_ffbh_u32_e32 v47, v47
	v_min_u32_e32 v47, 32, v47
	v_subrev_nc_u32_e32 v50, 28, v47
	v_lshlrev_b64 v[51:52], v50, v[2:3]
	v_sub_nc_u32_e32 v50, 29, v47
	v_and_b32_e32 v47, 7, v51
; %bb.474:                              ;   in Loop: Header=BB291_289 Depth=1
	s_or_b32 exec_lo, exec_lo, s17
	v_lshlrev_b32_e32 v2, 8, v2
	v_lshl_add_u32 v50, v50, 10, 0x2000
	v_lshlrev_b32_e32 v47, 7, v47
	v_and_b32_e32 v2, 0x8000, v2
	v_and_b32_e32 v50, 0xfc00, v50
	v_or3_b32 v47, v2, v50, v47
.LBB291_475:                            ;   in Loop: Header=BB291_289 Depth=1
	s_or_b32 exec_lo, exec_lo, s13
.LBB291_476:                            ;   in Loop: Header=BB291_289 Depth=1
	s_or_b32 exec_lo, exec_lo, s12
.LBB291_477:                            ;   in Loop: Header=BB291_289 Depth=1
	s_or_b32 exec_lo, exec_lo, s9
	v_cmp_lt_u64_e64 s0, s[4:5], v[10:11]
	v_mov_b32_e32 v10, 0
	s_and_saveexec_b32 s9, s0
	s_cbranch_execz .LBB291_485
; %bb.478:                              ;   in Loop: Header=BB291_289 Depth=1
	v_lshrrev_b32_e32 v2, 24, v11
	v_bfrev_b32_e32 v10, 1
	s_mov_b32 s12, exec_lo
	v_cmpx_ne_u32_e32 0x80, v2
	s_cbranch_execz .LBB291_484
; %bb.479:                              ;   in Loop: Header=BB291_289 Depth=1
	v_and_b32_e32 v50, 0x7f, v2
	v_mov_b32_e32 v10, 0x7c010000
	s_mov_b32 s13, exec_lo
	v_cmpx_ne_u32_e32 0x7f, v50
	s_cbranch_execz .LBB291_483
; %bb.480:                              ;   in Loop: Header=BB291_289 Depth=1
	v_and_b32_e32 v10, 7, v2
	v_lshrrev_b32_e32 v11, 3, v50
	s_mov_b32 s17, exec_lo
	v_cmpx_gt_u32_e32 8, v50
; %bb.481:                              ;   in Loop: Header=BB291_289 Depth=1
	v_ffbh_u32_e32 v10, v10
	v_min_u32_e32 v50, 32, v10
	v_subrev_nc_u32_e32 v10, 28, v50
	v_lshlrev_b64 v[10:11], v10, v[2:3]
	v_sub_nc_u32_e32 v11, 29, v50
	v_and_b32_e32 v10, 7, v10
; %bb.482:                              ;   in Loop: Header=BB291_289 Depth=1
	s_or_b32 exec_lo, exec_lo, s17
	v_lshlrev_b32_e32 v2, 8, v2
	v_lshl_add_u32 v11, v11, 10, 0x2000
	v_lshlrev_b32_e32 v10, 23, v10
	v_and_or_b32 v2, 0x8000, v2, v11
	v_lshl_or_b32 v10, v2, 16, v10
.LBB291_483:                            ;   in Loop: Header=BB291_289 Depth=1
	s_or_b32 exec_lo, exec_lo, s13
.LBB291_484:                            ;   in Loop: Header=BB291_289 Depth=1
	s_or_b32 exec_lo, exec_lo, s12
.LBB291_485:                            ;   in Loop: Header=BB291_289 Depth=1
	s_or_b32 exec_lo, exec_lo, s9
	v_or_b32_e32 v2, v45, v46
	s_waitcnt vmcnt(0)
	v_fma_mixlo_f16 v11, v42, v45, 0 op_sel:[0,1,0] op_sel_hi:[0,1,0]
	v_or_b32_e32 v45, v43, v44
	v_fma_mixlo_f16 v43, v42, v43, 0 op_sel:[0,1,0] op_sel_hi:[0,1,0]
	v_or_b32_e32 v46, v49, v48
	v_or_b32_e32 v47, v10, v47
	v_fma_mixlo_f16 v48, v42, v2, 0 op_sel_hi:[0,1,0]
	v_fma_mixlo_f16 v10, v42, v10, 0 op_sel:[0,1,0] op_sel_hi:[0,1,0]
	v_lshlrev_b32_e32 v44, 16, v43
	v_fma_mixlo_f16 v43, v42, v45, 0 op_sel_hi:[0,1,0]
	v_fma_mixlo_f16 v45, v42, v49, 0 op_sel:[0,1,0] op_sel_hi:[0,1,0]
	v_fma_mixlo_f16 v46, v42, v46, 0 op_sel_hi:[0,1,0]
	v_fma_mixlo_f16 v47, v42, v47, 0 op_sel_hi:[0,1,0]
	v_lshlrev_b32_e32 v2, 16, v11
	v_and_b32_e32 v11, 0xffff, v48
	v_and_b32_e32 v50, 0xffff, v43
	v_lshlrev_b32_e32 v42, 16, v45
	v_and_b32_e32 v46, 0xffff, v46
	v_lshlrev_b32_e32 v10, 16, v10
	v_and_b32_e32 v43, 0xffff, v47
	v_or_b32_e32 v45, v2, v11
	v_or_b32_e32 v49, v44, v50
	;; [unrolled: 1-line block ×4, first 2 shown]
	s_and_saveexec_b32 s9, vcc_lo
	s_cbranch_execz .LBB291_487
; %bb.486:                              ;   in Loop: Header=BB291_289 Depth=1
	v_cmp_gt_i32_e64 s0, s27, v27
	v_cndmask_b32_e64 v45, 0, v50, s0
	v_cmp_gt_i32_e64 s0, s27, v33
	v_cndmask_b32_e64 v44, 0, v44, s0
	v_cmp_gt_i32_e64 s0, s27, v32
	v_or_b32_e32 v49, v44, v45
	v_cndmask_b32_e64 v11, 0, v11, s0
	v_cmp_gt_i32_e64 s0, s27, v31
	v_cndmask_b32_e64 v2, 0, v2, s0
	v_cmp_gt_i32_e64 s0, s27, v30
	v_or_b32_e32 v45, v2, v11
	;; [unrolled: 5-line block ×3, first 2 shown]
	v_cndmask_b32_e64 v43, 0, v43, s0
	v_cmp_gt_i32_e64 s0, s27, v15
	v_cndmask_b32_e64 v10, 0, v10, s0
	v_or_b32_e32 v47, v10, v43
.LBB291_487:                            ;   in Loop: Header=BB291_289 Depth=1
	s_or_b32 exec_lo, exec_lo, s9
	;;#ASMSTART
	v_pk_mul_f16 v2, v38, v49;

	;;#ASMEND
	;;#ASMSTART
	v_pk_mul_f16 v10, v36, v45;

	;;#ASMEND
	;; [unrolled: 4-line block ×4, first 2 shown]
	;;#ASMSTART
	v_pk_add_f16 v2, v2, v10;

	;;#ASMEND
	;;#ASMSTART
	v_pk_add_f16 v2, v2, v11;

	;;#ASMEND
	;; [unrolled: 4-line block ×3, first 2 shown]
	v_and_b32_e32 v10, 0xffff, v2
	v_lshrrev_b32_e32 v2, 16, v2
	;;#ASMSTART
	v_cvt_f32_f16 v10, v10;
	;;#ASMEND
	;;#ASMSTART
	v_cvt_f32_f16 v11, v2;
	;;#ASMEND
	global_load_dwordx2 v[8:9], v[8:9], off offset:768
	v_mov_b32_e32 v43, 0
	v_mov_b32_e32 v44, 0
	global_load_dword v42, v43, s[14:15]
	s_waitcnt vmcnt(1)
	v_cmp_ne_u16_sdwa s0, v8, v3 src0_sel:BYTE_0 src1_sel:DWORD
	s_and_saveexec_b32 s9, s0
	s_cbranch_execz .LBB291_495
; %bb.488:                              ;   in Loop: Header=BB291_289 Depth=1
	v_cmp_ne_u16_sdwa s0, v8, v23 src0_sel:BYTE_0 src1_sel:DWORD
	v_mov_b32_e32 v44, 0x8000
	s_and_saveexec_b32 s12, s0
	s_cbranch_execz .LBB291_494
; %bb.489:                              ;   in Loop: Header=BB291_289 Depth=1
	v_and_b32_e32 v45, 0x7f, v8
	v_mov_b32_e32 v44, 0x7c01
	s_mov_b32 s13, exec_lo
	v_cmpx_ne_u32_e32 0x7f, v45
	s_cbranch_execz .LBB291_493
; %bb.490:                              ;   in Loop: Header=BB291_289 Depth=1
	v_and_b32_e32 v2, 7, v8
	v_lshrrev_b32_e32 v44, 3, v45
	s_mov_b32 s17, exec_lo
	v_cmpx_gt_u32_e32 8, v45
; %bb.491:                              ;   in Loop: Header=BB291_289 Depth=1
	v_ffbh_u32_e32 v2, v2
	v_min_u32_e32 v2, 32, v2
	v_subrev_nc_u32_e32 v44, 28, v2
	v_lshlrev_b64 v[45:46], v44, v[8:9]
	v_sub_nc_u32_e32 v44, 29, v2
	v_and_b32_e32 v2, 7, v45
; %bb.492:                              ;   in Loop: Header=BB291_289 Depth=1
	s_or_b32 exec_lo, exec_lo, s17
	v_lshlrev_b32_e32 v45, 8, v8
	v_lshl_add_u32 v44, v44, 10, 0x2000
	v_lshlrev_b32_e32 v2, 7, v2
	v_and_b32_e32 v45, 0x8000, v45
	v_and_b32_e32 v44, 0xfc00, v44
	v_or3_b32 v44, v45, v44, v2
.LBB291_493:                            ;   in Loop: Header=BB291_289 Depth=1
	s_or_b32 exec_lo, exec_lo, s13
.LBB291_494:                            ;   in Loop: Header=BB291_289 Depth=1
	s_or_b32 exec_lo, exec_lo, s12
.LBB291_495:                            ;   in Loop: Header=BB291_289 Depth=1
	s_or_b32 exec_lo, exec_lo, s9
	v_lshrrev_b16 v2, 8, v8
	s_mov_b32 s9, exec_lo
	v_cmpx_ne_u16_e32 0, v2
	s_cbranch_execz .LBB291_503
; %bb.496:                              ;   in Loop: Header=BB291_289 Depth=1
	v_bfrev_b32_e32 v43, 1
	s_mov_b32 s12, exec_lo
	v_cmpx_ne_u16_e32 0x80, v2
	s_cbranch_execz .LBB291_502
; %bb.497:                              ;   in Loop: Header=BB291_289 Depth=1
	v_and_b32_sdwa v46, v2, v24 dst_sel:DWORD dst_unused:UNUSED_PAD src0_sel:WORD_0 src1_sel:DWORD
	v_mov_b32_e32 v43, 0x7c010000
	s_mov_b32 s13, exec_lo
	v_cmpx_ne_u32_e32 0x7f, v46
	s_cbranch_execz .LBB291_501
; %bb.498:                              ;   in Loop: Header=BB291_289 Depth=1
	v_and_b32_sdwa v43, v2, v25 dst_sel:DWORD dst_unused:UNUSED_PAD src0_sel:WORD_0 src1_sel:DWORD
	v_lshrrev_b32_e32 v45, 3, v46
	s_mov_b32 s17, exec_lo
	v_cmpx_gt_u32_e32 8, v46
; %bb.499:                              ;   in Loop: Header=BB291_289 Depth=1
	v_ffbh_u32_e32 v43, v43
	v_min_u32_e32 v43, 32, v43
	v_subrev_nc_u32_e32 v45, 28, v43
	v_lshlrev_b64 v[46:47], v45, v[2:3]
	v_sub_nc_u32_e32 v45, 29, v43
	v_and_b32_e32 v43, 7, v46
; %bb.500:                              ;   in Loop: Header=BB291_289 Depth=1
	s_or_b32 exec_lo, exec_lo, s17
	v_lshlrev_b32_sdwa v2, v26, v2 dst_sel:DWORD dst_unused:UNUSED_PAD src0_sel:DWORD src1_sel:WORD_0
	v_lshl_add_u32 v45, v45, 10, 0x2000
	v_lshlrev_b32_e32 v43, 23, v43
	v_and_or_b32 v2, 0x8000, v2, v45
	v_lshl_or_b32 v43, v2, 16, v43
.LBB291_501:                            ;   in Loop: Header=BB291_289 Depth=1
	s_or_b32 exec_lo, exec_lo, s13
.LBB291_502:                            ;   in Loop: Header=BB291_289 Depth=1
	s_or_b32 exec_lo, exec_lo, s12
.LBB291_503:                            ;   in Loop: Header=BB291_289 Depth=1
	s_or_b32 exec_lo, exec_lo, s9
	v_lshrrev_b32_e32 v2, 16, v8
	v_mov_b32_e32 v45, 0
	v_mov_b32_e32 v46, 0
	v_cmp_ne_u16_sdwa s0, v2, v3 src0_sel:BYTE_0 src1_sel:DWORD
	s_and_saveexec_b32 s9, s0
	s_cbranch_execz .LBB291_511
; %bb.504:                              ;   in Loop: Header=BB291_289 Depth=1
	v_cmp_ne_u16_sdwa s0, v2, v23 src0_sel:BYTE_0 src1_sel:DWORD
	v_mov_b32_e32 v46, 0x8000
	s_and_saveexec_b32 s12, s0
	s_cbranch_execz .LBB291_510
; %bb.505:                              ;   in Loop: Header=BB291_289 Depth=1
	v_bfe_u32 v48, v8, 16, 7
	v_mov_b32_e32 v46, 0x7c01
	s_mov_b32 s13, exec_lo
	v_cmpx_ne_u32_e32 0x7f, v48
	s_cbranch_execz .LBB291_509
; %bb.506:                              ;   in Loop: Header=BB291_289 Depth=1
	v_and_b32_e32 v46, 7, v2
	v_lshrrev_b32_e32 v47, 3, v48
	s_mov_b32 s17, exec_lo
	v_cmpx_gt_u32_e32 8, v48
; %bb.507:                              ;   in Loop: Header=BB291_289 Depth=1
	v_ffbh_u32_e32 v46, v46
	v_min_u32_e32 v48, 32, v46
	v_subrev_nc_u32_e32 v46, 28, v48
	v_lshlrev_b64 v[46:47], v46, v[2:3]
	v_sub_nc_u32_e32 v47, 29, v48
	v_and_b32_e32 v46, 7, v46
; %bb.508:                              ;   in Loop: Header=BB291_289 Depth=1
	s_or_b32 exec_lo, exec_lo, s17
	v_lshlrev_b32_e32 v2, 8, v2
	v_lshl_add_u32 v47, v47, 10, 0x2000
	v_lshlrev_b32_e32 v46, 7, v46
	v_and_b32_e32 v2, 0x8000, v2
	v_and_b32_e32 v47, 0xfc00, v47
	v_or3_b32 v46, v2, v47, v46
.LBB291_509:                            ;   in Loop: Header=BB291_289 Depth=1
	s_or_b32 exec_lo, exec_lo, s13
.LBB291_510:                            ;   in Loop: Header=BB291_289 Depth=1
	s_or_b32 exec_lo, exec_lo, s12
.LBB291_511:                            ;   in Loop: Header=BB291_289 Depth=1
	s_or_b32 exec_lo, exec_lo, s9
	s_mov_b32 s9, exec_lo
	v_cmpx_lt_u32_e32 0xffffff, v8
	s_cbranch_execz .LBB291_519
; %bb.512:                              ;   in Loop: Header=BB291_289 Depth=1
	v_lshrrev_b32_e32 v2, 24, v8
	v_bfrev_b32_e32 v45, 1
	s_mov_b32 s12, exec_lo
	v_cmpx_ne_u32_e32 0x80, v2
	s_cbranch_execz .LBB291_518
; %bb.513:                              ;   in Loop: Header=BB291_289 Depth=1
	v_and_b32_e32 v48, 0x7f, v2
	v_mov_b32_e32 v45, 0x7c010000
	s_mov_b32 s13, exec_lo
	v_cmpx_ne_u32_e32 0x7f, v48
	s_cbranch_execz .LBB291_517
; %bb.514:                              ;   in Loop: Header=BB291_289 Depth=1
	v_and_b32_e32 v45, 7, v2
	v_lshrrev_b32_e32 v47, 3, v48
	s_mov_b32 s17, exec_lo
	v_cmpx_gt_u32_e32 8, v48
; %bb.515:                              ;   in Loop: Header=BB291_289 Depth=1
	v_ffbh_u32_e32 v45, v45
	v_min_u32_e32 v45, 32, v45
	v_subrev_nc_u32_e32 v47, 28, v45
	v_lshlrev_b64 v[48:49], v47, v[2:3]
	v_sub_nc_u32_e32 v47, 29, v45
	v_and_b32_e32 v45, 7, v48
; %bb.516:                              ;   in Loop: Header=BB291_289 Depth=1
	s_or_b32 exec_lo, exec_lo, s17
	v_lshlrev_b32_e32 v2, 8, v2
	v_lshl_add_u32 v47, v47, 10, 0x2000
	v_lshlrev_b32_e32 v45, 23, v45
	v_and_or_b32 v2, 0x8000, v2, v47
	v_lshl_or_b32 v45, v2, 16, v45
.LBB291_517:                            ;   in Loop: Header=BB291_289 Depth=1
	s_or_b32 exec_lo, exec_lo, s13
.LBB291_518:                            ;   in Loop: Header=BB291_289 Depth=1
	s_or_b32 exec_lo, exec_lo, s12
.LBB291_519:                            ;   in Loop: Header=BB291_289 Depth=1
	s_or_b32 exec_lo, exec_lo, s9
	v_mov_b32_e32 v2, v9
	v_cmp_ne_u16_sdwa s0, v9, v3 src0_sel:BYTE_0 src1_sel:DWORD
	v_mov_b32_e32 v47, 0
	v_mov_b32_e32 v48, 0
	s_and_saveexec_b32 s9, s0
	s_cbranch_execz .LBB291_527
; %bb.520:                              ;   in Loop: Header=BB291_289 Depth=1
	v_cmp_ne_u16_sdwa s0, v9, v23 src0_sel:BYTE_0 src1_sel:DWORD
	v_mov_b32_e32 v48, 0x8000
	s_and_saveexec_b32 s12, s0
	s_cbranch_execz .LBB291_526
; %bb.521:                              ;   in Loop: Header=BB291_289 Depth=1
	v_and_b32_e32 v50, 0x7f, v9
	v_mov_b32_e32 v48, 0x7c01
	s_mov_b32 s13, exec_lo
	v_cmpx_ne_u32_e32 0x7f, v50
	s_cbranch_execz .LBB291_525
; %bb.522:                              ;   in Loop: Header=BB291_289 Depth=1
	v_and_b32_e32 v48, 7, v9
	v_lshrrev_b32_e32 v49, 3, v50
	s_mov_b32 s17, exec_lo
	v_cmpx_gt_u32_e32 8, v50
; %bb.523:                              ;   in Loop: Header=BB291_289 Depth=1
	v_ffbh_u32_e32 v48, v48
	v_min_u32_e32 v50, 32, v48
	v_subrev_nc_u32_e32 v48, 28, v50
	v_lshlrev_b64 v[48:49], v48, v[2:3]
	v_sub_nc_u32_e32 v49, 29, v50
	v_and_b32_e32 v48, 7, v48
; %bb.524:                              ;   in Loop: Header=BB291_289 Depth=1
	s_or_b32 exec_lo, exec_lo, s17
	v_lshlrev_b32_e32 v50, 8, v9
	v_lshl_add_u32 v49, v49, 10, 0x2000
	v_lshlrev_b32_e32 v48, 7, v48
	v_and_b32_e32 v50, 0x8000, v50
	v_and_b32_e32 v49, 0xfc00, v49
	v_or3_b32 v48, v50, v49, v48
.LBB291_525:                            ;   in Loop: Header=BB291_289 Depth=1
	s_or_b32 exec_lo, exec_lo, s13
.LBB291_526:                            ;   in Loop: Header=BB291_289 Depth=1
	s_or_b32 exec_lo, exec_lo, s12
.LBB291_527:                            ;   in Loop: Header=BB291_289 Depth=1
	s_or_b32 exec_lo, exec_lo, s9
	v_lshrrev_b16 v2, 8, v2
	v_mov_b32_e32 v49, 0
	s_mov_b32 s9, exec_lo
	v_cmpx_ne_u16_e32 0, v2
	s_cbranch_execz .LBB291_535
; %bb.528:                              ;   in Loop: Header=BB291_289 Depth=1
	v_bfrev_b32_e32 v49, 1
	s_mov_b32 s12, exec_lo
	v_cmpx_ne_u16_e32 0x80, v2
	s_cbranch_execz .LBB291_534
; %bb.529:                              ;   in Loop: Header=BB291_289 Depth=1
	v_and_b32_sdwa v51, v2, v24 dst_sel:DWORD dst_unused:UNUSED_PAD src0_sel:WORD_0 src1_sel:DWORD
	v_mov_b32_e32 v49, 0x7c010000
	s_mov_b32 s13, exec_lo
	v_cmpx_ne_u32_e32 0x7f, v51
	s_cbranch_execz .LBB291_533
; %bb.530:                              ;   in Loop: Header=BB291_289 Depth=1
	v_and_b32_sdwa v49, v2, v25 dst_sel:DWORD dst_unused:UNUSED_PAD src0_sel:WORD_0 src1_sel:DWORD
	v_lshrrev_b32_e32 v50, 3, v51
	s_mov_b32 s17, exec_lo
	v_cmpx_gt_u32_e32 8, v51
; %bb.531:                              ;   in Loop: Header=BB291_289 Depth=1
	v_ffbh_u32_e32 v49, v49
	v_min_u32_e32 v51, 32, v49
	v_subrev_nc_u32_e32 v49, 28, v51
	v_lshlrev_b64 v[49:50], v49, v[2:3]
	v_sub_nc_u32_e32 v50, 29, v51
	v_and_b32_e32 v49, 7, v49
; %bb.532:                              ;   in Loop: Header=BB291_289 Depth=1
	s_or_b32 exec_lo, exec_lo, s17
	v_lshlrev_b32_sdwa v2, v26, v2 dst_sel:DWORD dst_unused:UNUSED_PAD src0_sel:DWORD src1_sel:WORD_0
	v_lshl_add_u32 v50, v50, 10, 0x2000
	v_lshlrev_b32_e32 v49, 23, v49
	v_and_or_b32 v2, 0x8000, v2, v50
	v_lshl_or_b32 v49, v2, 16, v49
.LBB291_533:                            ;   in Loop: Header=BB291_289 Depth=1
	s_or_b32 exec_lo, exec_lo, s13
.LBB291_534:                            ;   in Loop: Header=BB291_289 Depth=1
	s_or_b32 exec_lo, exec_lo, s12
.LBB291_535:                            ;   in Loop: Header=BB291_289 Depth=1
	s_or_b32 exec_lo, exec_lo, s9
	v_lshrrev_b32_e32 v2, 16, v9
	v_cmp_ne_u16_sdwa s0, v2, v3 src0_sel:BYTE_0 src1_sel:DWORD
	s_and_saveexec_b32 s9, s0
	s_cbranch_execz .LBB291_543
; %bb.536:                              ;   in Loop: Header=BB291_289 Depth=1
	v_cmp_ne_u16_sdwa s0, v2, v23 src0_sel:BYTE_0 src1_sel:DWORD
	v_mov_b32_e32 v47, 0x8000
	s_and_saveexec_b32 s12, s0
	s_cbranch_execz .LBB291_542
; %bb.537:                              ;   in Loop: Header=BB291_289 Depth=1
	v_bfe_u32 v51, v9, 16, 7
	v_mov_b32_e32 v47, 0x7c01
	s_mov_b32 s13, exec_lo
	v_cmpx_ne_u32_e32 0x7f, v51
	s_cbranch_execz .LBB291_541
; %bb.538:                              ;   in Loop: Header=BB291_289 Depth=1
	v_and_b32_e32 v47, 7, v2
	v_lshrrev_b32_e32 v50, 3, v51
	s_mov_b32 s17, exec_lo
	v_cmpx_gt_u32_e32 8, v51
; %bb.539:                              ;   in Loop: Header=BB291_289 Depth=1
	v_ffbh_u32_e32 v47, v47
	v_min_u32_e32 v47, 32, v47
	v_subrev_nc_u32_e32 v50, 28, v47
	v_lshlrev_b64 v[51:52], v50, v[2:3]
	v_sub_nc_u32_e32 v50, 29, v47
	v_and_b32_e32 v47, 7, v51
; %bb.540:                              ;   in Loop: Header=BB291_289 Depth=1
	s_or_b32 exec_lo, exec_lo, s17
	v_lshlrev_b32_e32 v2, 8, v2
	v_lshl_add_u32 v50, v50, 10, 0x2000
	v_lshlrev_b32_e32 v47, 7, v47
	v_and_b32_e32 v2, 0x8000, v2
	v_and_b32_e32 v50, 0xfc00, v50
	v_or3_b32 v47, v2, v50, v47
.LBB291_541:                            ;   in Loop: Header=BB291_289 Depth=1
	s_or_b32 exec_lo, exec_lo, s13
.LBB291_542:                            ;   in Loop: Header=BB291_289 Depth=1
	s_or_b32 exec_lo, exec_lo, s12
.LBB291_543:                            ;   in Loop: Header=BB291_289 Depth=1
	s_or_b32 exec_lo, exec_lo, s9
	v_cmp_lt_u64_e64 s0, s[4:5], v[8:9]
	v_mov_b32_e32 v8, 0
	s_and_saveexec_b32 s9, s0
	s_cbranch_execz .LBB291_551
; %bb.544:                              ;   in Loop: Header=BB291_289 Depth=1
	v_lshrrev_b32_e32 v2, 24, v9
	v_bfrev_b32_e32 v8, 1
	s_mov_b32 s12, exec_lo
	v_cmpx_ne_u32_e32 0x80, v2
	s_cbranch_execz .LBB291_550
; %bb.545:                              ;   in Loop: Header=BB291_289 Depth=1
	v_and_b32_e32 v50, 0x7f, v2
	v_mov_b32_e32 v8, 0x7c010000
	s_mov_b32 s13, exec_lo
	v_cmpx_ne_u32_e32 0x7f, v50
	s_cbranch_execz .LBB291_549
; %bb.546:                              ;   in Loop: Header=BB291_289 Depth=1
	v_and_b32_e32 v8, 7, v2
	v_lshrrev_b32_e32 v9, 3, v50
	s_mov_b32 s17, exec_lo
	v_cmpx_gt_u32_e32 8, v50
; %bb.547:                              ;   in Loop: Header=BB291_289 Depth=1
	v_ffbh_u32_e32 v8, v8
	v_min_u32_e32 v50, 32, v8
	v_subrev_nc_u32_e32 v8, 28, v50
	v_lshlrev_b64 v[8:9], v8, v[2:3]
	v_sub_nc_u32_e32 v9, 29, v50
	v_and_b32_e32 v8, 7, v8
; %bb.548:                              ;   in Loop: Header=BB291_289 Depth=1
	s_or_b32 exec_lo, exec_lo, s17
	v_lshlrev_b32_e32 v2, 8, v2
	v_lshl_add_u32 v9, v9, 10, 0x2000
	v_lshlrev_b32_e32 v8, 23, v8
	v_and_or_b32 v2, 0x8000, v2, v9
	v_lshl_or_b32 v8, v2, 16, v8
.LBB291_549:                            ;   in Loop: Header=BB291_289 Depth=1
	s_or_b32 exec_lo, exec_lo, s13
.LBB291_550:                            ;   in Loop: Header=BB291_289 Depth=1
	s_or_b32 exec_lo, exec_lo, s12
.LBB291_551:                            ;   in Loop: Header=BB291_289 Depth=1
	s_or_b32 exec_lo, exec_lo, s9
	v_or_b32_e32 v2, v45, v46
	s_waitcnt vmcnt(0)
	v_fma_mixlo_f16 v9, v42, v45, 0 op_sel:[0,1,0] op_sel_hi:[0,1,0]
	v_or_b32_e32 v44, v43, v44
	v_fma_mixlo_f16 v43, v42, v43, 0 op_sel:[0,1,0] op_sel_hi:[0,1,0]
	v_or_b32_e32 v46, v49, v48
	v_or_b32_e32 v47, v8, v47
	v_fma_mixlo_f16 v45, v42, v2, 0 op_sel_hi:[0,1,0]
	v_lshlrev_b32_e32 v2, 16, v9
	v_lshlrev_b32_e32 v48, 16, v43
	v_fma_mixlo_f16 v9, v42, v44, 0 op_sel_hi:[0,1,0]
	v_fma_mixlo_f16 v43, v42, v49, 0 op_sel:[0,1,0] op_sel_hi:[0,1,0]
	v_fma_mixlo_f16 v44, v42, v46, 0 op_sel_hi:[0,1,0]
	v_fma_mixlo_f16 v8, v42, v8, 0 op_sel:[0,1,0] op_sel_hi:[0,1,0]
	v_fma_mixlo_f16 v42, v42, v47, 0 op_sel_hi:[0,1,0]
	v_and_b32_e32 v45, 0xffff, v45
	v_and_b32_e32 v50, 0xffff, v9
	v_lshlrev_b32_e32 v46, 16, v43
	v_and_b32_e32 v49, 0xffff, v44
	v_lshlrev_b32_e32 v9, 16, v8
	v_and_b32_e32 v47, 0xffff, v42
	v_or_b32_e32 v8, v2, v45
	v_or_b32_e32 v44, v48, v50
	;; [unrolled: 1-line block ×4, first 2 shown]
	s_and_saveexec_b32 s0, vcc_lo
	s_cbranch_execz .LBB291_288
; %bb.552:                              ;   in Loop: Header=BB291_289 Depth=1
	v_cmp_gt_i32_e32 vcc_lo, s27, v27
	v_cndmask_b32_e32 v8, 0, v50, vcc_lo
	v_cmp_gt_i32_e32 vcc_lo, s27, v33
	v_cndmask_b32_e32 v27, 0, v48, vcc_lo
	v_cmp_gt_i32_e32 vcc_lo, s27, v32
	v_or_b32_e32 v44, v27, v8
	v_cndmask_b32_e32 v32, 0, v45, vcc_lo
	v_cmp_gt_i32_e32 vcc_lo, s27, v31
	v_cndmask_b32_e32 v2, 0, v2, vcc_lo
	v_cmp_gt_i32_e32 vcc_lo, s27, v30
	v_or_b32_e32 v8, v2, v32
	;; [unrolled: 5-line block ×3, first 2 shown]
	v_cndmask_b32_e32 v28, 0, v47, vcc_lo
	v_cmp_gt_i32_e32 vcc_lo, s27, v15
	v_cndmask_b32_e32 v9, 0, v9, vcc_lo
	v_or_b32_e32 v42, v9, v28
	s_branch .LBB291_288
.LBB291_553:
	s_or_b32 exec_lo, exec_lo, s6
.LBB291_554:
	s_or_b32 exec_lo, exec_lo, s1
	ds_bpermute_b32 v1, v18, v20
	ds_bpermute_b32 v2, v18, v21
	;; [unrolled: 1-line block ×4, first 2 shown]
	v_lshrrev_b32_e32 v5, 1, v17
	v_lshlrev_b32_e32 v7, 8, v14
	v_and_b32_e32 v10, 0x3c1, v0
	s_mov_b32 s0, exec_lo
	s_waitcnt lgkmcnt(0)
	s_waitcnt_vscnt null, 0x0
	v_lshl_add_u32 v6, v5, 2, 0xa0
	s_barrier
	buffer_gl0_inv
	v_add_f32_e32 v4, v20, v1
	v_add_f32_e32 v3, v21, v2
	;; [unrolled: 1-line block ×4, first 2 shown]
	v_cmpx_eq_u32_e32 64, v10
	s_cbranch_execz .LBB291_556
; %bb.555:
	v_add_nc_u32_e32 v8, v6, v7
	v_add_nc_u32_e32 v9, 0xfffffe00, v8
	;; [unrolled: 1-line block ×5, first 2 shown]
	ds_write_b32 v9, v4
	ds_write_b32 v10, v3
	;; [unrolled: 1-line block ×4, first 2 shown]
.LBB291_556:
	s_or_b32 exec_lo, exec_lo, s0
	v_lshlrev_b32_e32 v5, 2, v5
	s_mov_b32 s1, exec_lo
	v_cmp_eq_u32_e32 vcc_lo, 0, v13
	s_waitcnt lgkmcnt(0)
	s_barrier
	v_add3_u32 v5, 0xa0, v7, v5
	buffer_gl0_inv
	v_cmpx_gt_u32_e32 64, v0
	s_cbranch_execz .LBB291_563
; %bb.557:
	s_and_saveexec_b32 s0, vcc_lo
	s_cbranch_execnz .LBB291_575
; %bb.558:
	s_or_b32 exec_lo, exec_lo, s0
	s_and_saveexec_b32 s0, vcc_lo
	s_cbranch_execnz .LBB291_576
.LBB291_559:
	s_or_b32 exec_lo, exec_lo, s0
	s_and_saveexec_b32 s0, vcc_lo
	s_cbranch_execnz .LBB291_577
.LBB291_560:
	s_or_b32 exec_lo, exec_lo, s0
	s_and_saveexec_b32 s0, vcc_lo
	s_cbranch_execz .LBB291_562
.LBB291_561:
	ds_read_b32 v7, v5 offset:192
	s_waitcnt lgkmcnt(0)
	v_add_f32_e32 v1, v1, v7
.LBB291_562:
	s_or_b32 exec_lo, exec_lo, s0
.LBB291_563:
	s_or_b32 exec_lo, exec_lo, s1
	v_and_b32_e32 v7, 0x3e1, v0
	s_mov_b32 s1, exec_lo
	s_barrier
	buffer_gl0_inv
	v_cmpx_eq_u32_e32 32, v7
	s_cbranch_execz .LBB291_565
; %bb.564:
	ds_write2_b32 v6, v4, v3 offset1:16
	ds_write2_b32 v6, v2, v1 offset0:32 offset1:48
.LBB291_565:
	s_or_b32 exec_lo, exec_lo, s1
	s_mov_b32 s1, exec_lo
	s_waitcnt lgkmcnt(0)
	s_barrier
	buffer_gl0_inv
	v_cmpx_gt_u32_e32 32, v0
	s_cbranch_execz .LBB291_572
; %bb.566:
	s_and_saveexec_b32 s0, vcc_lo
	s_cbranch_execnz .LBB291_578
; %bb.567:
	s_or_b32 exec_lo, exec_lo, s0
	s_and_saveexec_b32 s0, vcc_lo
	s_cbranch_execnz .LBB291_579
.LBB291_568:
	s_or_b32 exec_lo, exec_lo, s0
	s_and_saveexec_b32 s0, vcc_lo
	s_cbranch_execnz .LBB291_580
.LBB291_569:
	s_or_b32 exec_lo, exec_lo, s0
	s_and_saveexec_b32 s0, vcc_lo
	s_cbranch_execz .LBB291_571
.LBB291_570:
	ds_read_b32 v0, v5 offset:192
	s_waitcnt lgkmcnt(0)
	v_add_f32_e32 v1, v1, v0
.LBB291_571:
	s_or_b32 exec_lo, exec_lo, s0
.LBB291_572:
	s_or_b32 exec_lo, exec_lo, s1
	s_barrier
	buffer_gl0_inv
	s_mov_b32 s0, exec_lo
	v_cmpx_eq_u32_e32 0, v7
	s_cbranch_execz .LBB291_574
; %bb.573:
	s_lshl_b32 s0, s2, 6
	s_mul_i32 s2, s7, s10
	s_ashr_i32 s1, s0, 31
	v_lshlrev_b32_e32 v0, 1, v12
	s_lshl_b64 s[0:1], s[0:1], 1
	;;#ASMSTART
	v_cvt_f16_f32 v4, v4;

	;;#ASMEND
	s_add_u32 s4, s24, s0
	s_addc_u32 s5, s25, s1
	s_ashr_i32 s3, s2, 31
	s_lshl_b64 s[0:1], s[2:3], 1
	s_add_u32 s2, s4, s0
	s_addc_u32 s3, s5, s1
	s_lshl_b32 s0, s8, 6
	s_ashr_i32 s1, s0, 31
	s_lshl_b64 s[0:1], s[0:1], 1
	s_add_u32 s0, s2, s0
	s_addc_u32 s1, s3, s1
	global_store_short v0, v4, s[0:1]
	;;#ASMSTART
	v_cvt_f16_f32 v3, v3;

	;;#ASMEND
	global_store_short v0, v3, s[0:1] offset:32
	;;#ASMSTART
	v_cvt_f16_f32 v2, v2;

	;;#ASMEND
	global_store_short v0, v2, s[0:1] offset:64
	;; [unrolled: 5-line block ×3, first 2 shown]
.LBB291_574:
	s_endpgm
.LBB291_575:
	ds_read_b32 v7, v5
	s_waitcnt lgkmcnt(0)
	v_add_f32_e32 v4, v4, v7
	s_or_b32 exec_lo, exec_lo, s0
	s_and_saveexec_b32 s0, vcc_lo
	s_cbranch_execz .LBB291_559
.LBB291_576:
	ds_read_b32 v7, v5 offset:64
	s_waitcnt lgkmcnt(0)
	v_add_f32_e32 v3, v3, v7
	s_or_b32 exec_lo, exec_lo, s0
	s_and_saveexec_b32 s0, vcc_lo
	s_cbranch_execz .LBB291_560
.LBB291_577:
	ds_read_b32 v7, v5 offset:128
	s_waitcnt lgkmcnt(0)
	v_add_f32_e32 v2, v2, v7
	s_or_b32 exec_lo, exec_lo, s0
	s_and_saveexec_b32 s0, vcc_lo
	s_cbranch_execnz .LBB291_561
	s_branch .LBB291_562
.LBB291_578:
	ds_read_b32 v0, v5
	s_waitcnt lgkmcnt(0)
	v_add_f32_e32 v4, v4, v0
	s_or_b32 exec_lo, exec_lo, s0
	s_and_saveexec_b32 s0, vcc_lo
	s_cbranch_execz .LBB291_568
.LBB291_579:
	ds_read_b32 v0, v5 offset:64
	s_waitcnt lgkmcnt(0)
	v_add_f32_e32 v3, v3, v0
	s_or_b32 exec_lo, exec_lo, s0
	s_and_saveexec_b32 s0, vcc_lo
	s_cbranch_execz .LBB291_569
.LBB291_580:
	ds_read_b32 v0, v5 offset:128
	s_waitcnt lgkmcnt(0)
	v_add_f32_e32 v2, v2, v0
	s_or_b32 exec_lo, exec_lo, s0
	s_and_saveexec_b32 s0, vcc_lo
	s_cbranch_execnz .LBB291_570
	s_branch .LBB291_571
	.section	.rodata,"a",@progbits
	.p2align	6, 0x0
	.amdhsa_kernel _ZN4vllm25paged_attention_v2_kernelIthLi64ELi16ELi128ELNS_18Fp8KVCacheDataTypeE1ELb0ELi512EEEvPfS2_PT_PKS3_PKT0_S9_ifPKiSB_iPKfiiiSD_SD_iiiii
		.amdhsa_group_segment_fixed_size 160
		.amdhsa_private_segment_fixed_size 0
		.amdhsa_kernarg_size 400
		.amdhsa_user_sgpr_count 6
		.amdhsa_user_sgpr_private_segment_buffer 1
		.amdhsa_user_sgpr_dispatch_ptr 0
		.amdhsa_user_sgpr_queue_ptr 0
		.amdhsa_user_sgpr_kernarg_segment_ptr 1
		.amdhsa_user_sgpr_dispatch_id 0
		.amdhsa_user_sgpr_flat_scratch_init 0
		.amdhsa_user_sgpr_private_segment_size 0
		.amdhsa_wavefront_size32 1
		.amdhsa_uses_dynamic_stack 0
		.amdhsa_system_sgpr_private_segment_wavefront_offset 0
		.amdhsa_system_sgpr_workgroup_id_x 1
		.amdhsa_system_sgpr_workgroup_id_y 1
		.amdhsa_system_sgpr_workgroup_id_z 1
		.amdhsa_system_sgpr_workgroup_info 0
		.amdhsa_system_vgpr_workitem_id 0
		.amdhsa_next_free_vgpr 83
		.amdhsa_next_free_sgpr 43
		.amdhsa_reserve_vcc 1
		.amdhsa_reserve_flat_scratch 0
		.amdhsa_float_round_mode_32 0
		.amdhsa_float_round_mode_16_64 0
		.amdhsa_float_denorm_mode_32 3
		.amdhsa_float_denorm_mode_16_64 3
		.amdhsa_dx10_clamp 1
		.amdhsa_ieee_mode 1
		.amdhsa_fp16_overflow 0
		.amdhsa_workgroup_processor_mode 1
		.amdhsa_memory_ordered 1
		.amdhsa_forward_progress 1
		.amdhsa_shared_vgpr_count 0
		.amdhsa_exception_fp_ieee_invalid_op 0
		.amdhsa_exception_fp_denorm_src 0
		.amdhsa_exception_fp_ieee_div_zero 0
		.amdhsa_exception_fp_ieee_overflow 0
		.amdhsa_exception_fp_ieee_underflow 0
		.amdhsa_exception_fp_ieee_inexact 0
		.amdhsa_exception_int_div_zero 0
	.end_amdhsa_kernel
	.section	.text._ZN4vllm25paged_attention_v2_kernelIthLi64ELi16ELi128ELNS_18Fp8KVCacheDataTypeE1ELb0ELi512EEEvPfS2_PT_PKS3_PKT0_S9_ifPKiSB_iPKfiiiSD_SD_iiiii,"axG",@progbits,_ZN4vllm25paged_attention_v2_kernelIthLi64ELi16ELi128ELNS_18Fp8KVCacheDataTypeE1ELb0ELi512EEEvPfS2_PT_PKS3_PKT0_S9_ifPKiSB_iPKfiiiSD_SD_iiiii,comdat
.Lfunc_end291:
	.size	_ZN4vllm25paged_attention_v2_kernelIthLi64ELi16ELi128ELNS_18Fp8KVCacheDataTypeE1ELb0ELi512EEEvPfS2_PT_PKS3_PKT0_S9_ifPKiSB_iPKfiiiSD_SD_iiiii, .Lfunc_end291-_ZN4vllm25paged_attention_v2_kernelIthLi64ELi16ELi128ELNS_18Fp8KVCacheDataTypeE1ELb0ELi512EEEvPfS2_PT_PKS3_PKT0_S9_ifPKiSB_iPKfiiiSD_SD_iiiii
                                        ; -- End function
	.set _ZN4vllm25paged_attention_v2_kernelIthLi64ELi16ELi128ELNS_18Fp8KVCacheDataTypeE1ELb0ELi512EEEvPfS2_PT_PKS3_PKT0_S9_ifPKiSB_iPKfiiiSD_SD_iiiii.num_vgpr, 83
	.set _ZN4vllm25paged_attention_v2_kernelIthLi64ELi16ELi128ELNS_18Fp8KVCacheDataTypeE1ELb0ELi512EEEvPfS2_PT_PKS3_PKT0_S9_ifPKiSB_iPKfiiiSD_SD_iiiii.num_agpr, 0
	.set _ZN4vllm25paged_attention_v2_kernelIthLi64ELi16ELi128ELNS_18Fp8KVCacheDataTypeE1ELb0ELi512EEEvPfS2_PT_PKS3_PKT0_S9_ifPKiSB_iPKfiiiSD_SD_iiiii.numbered_sgpr, 43
	.set _ZN4vllm25paged_attention_v2_kernelIthLi64ELi16ELi128ELNS_18Fp8KVCacheDataTypeE1ELb0ELi512EEEvPfS2_PT_PKS3_PKT0_S9_ifPKiSB_iPKfiiiSD_SD_iiiii.num_named_barrier, 0
	.set _ZN4vllm25paged_attention_v2_kernelIthLi64ELi16ELi128ELNS_18Fp8KVCacheDataTypeE1ELb0ELi512EEEvPfS2_PT_PKS3_PKT0_S9_ifPKiSB_iPKfiiiSD_SD_iiiii.private_seg_size, 0
	.set _ZN4vllm25paged_attention_v2_kernelIthLi64ELi16ELi128ELNS_18Fp8KVCacheDataTypeE1ELb0ELi512EEEvPfS2_PT_PKS3_PKT0_S9_ifPKiSB_iPKfiiiSD_SD_iiiii.uses_vcc, 1
	.set _ZN4vllm25paged_attention_v2_kernelIthLi64ELi16ELi128ELNS_18Fp8KVCacheDataTypeE1ELb0ELi512EEEvPfS2_PT_PKS3_PKT0_S9_ifPKiSB_iPKfiiiSD_SD_iiiii.uses_flat_scratch, 0
	.set _ZN4vllm25paged_attention_v2_kernelIthLi64ELi16ELi128ELNS_18Fp8KVCacheDataTypeE1ELb0ELi512EEEvPfS2_PT_PKS3_PKT0_S9_ifPKiSB_iPKfiiiSD_SD_iiiii.has_dyn_sized_stack, 0
	.set _ZN4vllm25paged_attention_v2_kernelIthLi64ELi16ELi128ELNS_18Fp8KVCacheDataTypeE1ELb0ELi512EEEvPfS2_PT_PKS3_PKT0_S9_ifPKiSB_iPKfiiiSD_SD_iiiii.has_recursion, 0
	.set _ZN4vllm25paged_attention_v2_kernelIthLi64ELi16ELi128ELNS_18Fp8KVCacheDataTypeE1ELb0ELi512EEEvPfS2_PT_PKS3_PKT0_S9_ifPKiSB_iPKfiiiSD_SD_iiiii.has_indirect_call, 0
	.section	.AMDGPU.csdata,"",@progbits
; Kernel info:
; codeLenInByte = 19520
; TotalNumSgprs: 45
; NumVgprs: 83
; ScratchSize: 0
; MemoryBound: 0
; FloatMode: 240
; IeeeMode: 1
; LDSByteSize: 160 bytes/workgroup (compile time only)
; SGPRBlocks: 0
; VGPRBlocks: 10
; NumSGPRsForWavesPerEU: 45
; NumVGPRsForWavesPerEU: 83
; Occupancy: 10
; WaveLimiterHint : 1
; COMPUTE_PGM_RSRC2:SCRATCH_EN: 0
; COMPUTE_PGM_RSRC2:USER_SGPR: 6
; COMPUTE_PGM_RSRC2:TRAP_HANDLER: 0
; COMPUTE_PGM_RSRC2:TGID_X_EN: 1
; COMPUTE_PGM_RSRC2:TGID_Y_EN: 1
; COMPUTE_PGM_RSRC2:TGID_Z_EN: 1
; COMPUTE_PGM_RSRC2:TIDIG_COMP_CNT: 0
	.section	.text._ZN4vllm25paged_attention_v2_kernelIthLi80ELi16ELi128ELNS_18Fp8KVCacheDataTypeE1ELb0ELi512EEEvPfS2_PT_PKS3_PKT0_S9_ifPKiSB_iPKfiiiSD_SD_iiiii,"axG",@progbits,_ZN4vllm25paged_attention_v2_kernelIthLi80ELi16ELi128ELNS_18Fp8KVCacheDataTypeE1ELb0ELi512EEEvPfS2_PT_PKS3_PKT0_S9_ifPKiSB_iPKfiiiSD_SD_iiiii,comdat
	.protected	_ZN4vllm25paged_attention_v2_kernelIthLi80ELi16ELi128ELNS_18Fp8KVCacheDataTypeE1ELb0ELi512EEEvPfS2_PT_PKS3_PKT0_S9_ifPKiSB_iPKfiiiSD_SD_iiiii ; -- Begin function _ZN4vllm25paged_attention_v2_kernelIthLi80ELi16ELi128ELNS_18Fp8KVCacheDataTypeE1ELb0ELi512EEEvPfS2_PT_PKS3_PKT0_S9_ifPKiSB_iPKfiiiSD_SD_iiiii
	.globl	_ZN4vllm25paged_attention_v2_kernelIthLi80ELi16ELi128ELNS_18Fp8KVCacheDataTypeE1ELb0ELi512EEEvPfS2_PT_PKS3_PKT0_S9_ifPKiSB_iPKfiiiSD_SD_iiiii
	.p2align	8
	.type	_ZN4vllm25paged_attention_v2_kernelIthLi80ELi16ELi128ELNS_18Fp8KVCacheDataTypeE1ELb0ELi512EEEvPfS2_PT_PKS3_PKT0_S9_ifPKiSB_iPKfiiiSD_SD_iiiii,@function
_ZN4vllm25paged_attention_v2_kernelIthLi80ELi16ELi128ELNS_18Fp8KVCacheDataTypeE1ELb0ELi512EEEvPfS2_PT_PKS3_PKT0_S9_ifPKiSB_iPKfiiiSD_SD_iiiii: ; @_ZN4vllm25paged_attention_v2_kernelIthLi80ELi16ELi128ELNS_18Fp8KVCacheDataTypeE1ELb0ELi512EEEvPfS2_PT_PKS3_PKT0_S9_ifPKiSB_iPKfiiiSD_SD_iiiii
; %bb.0:
	s_load_dwordx2 s[0:1], s[4:5], 0x40
	s_mov_b32 s26, s7
	s_ashr_i32 s27, s7, 31
	s_lshl_b64 s[2:3], s[26:27], 2
	s_waitcnt lgkmcnt(0)
	s_add_u32 s0, s0, s2
	s_addc_u32 s1, s1, s3
	s_lshl_b32 s33, s8, 9
	s_load_dword s27, s[0:1], 0x0
	s_waitcnt lgkmcnt(0)
	s_cmp_ge_i32 s33, s27
	s_cbranch_scc1 .LBB292_706
; %bb.1:
	s_clause 0x1
	s_load_dword s9, s[4:5], 0x90
	s_load_dwordx2 s[36:37], s[4:5], 0x30
	s_waitcnt lgkmcnt(0)
	s_abs_i32 s3, s9
	s_abs_i32 s0, s36
	v_cvt_f32_u32_e32 v1, s0
	s_sub_i32 s2, 0, s0
	v_rcp_iflag_f32_e32 v1, v1
	v_mul_f32_e32 v1, 0x4f7ffffe, v1
	v_cvt_u32_f32_e32 v1, v1
	v_readfirstlane_b32 s1, v1
	s_mul_i32 s2, s2, s1
	s_mul_hi_u32 s2, s1, s2
	s_add_i32 s1, s1, s2
	s_xor_b32 s2, s9, s36
	s_mul_hi_u32 s1, s3, s1
	s_ashr_i32 s2, s2, 31
	s_mul_i32 s7, s1, s0
	s_mov_b32 s36, 0
	s_sub_i32 s3, s3, s7
	s_add_i32 s7, s1, 1
	s_sub_i32 s10, s3, s0
	s_cmp_ge_u32 s3, s0
	s_cselect_b32 s1, s7, s1
	s_cselect_b32 s3, s10, s3
	s_add_i32 s7, s1, 1
	s_cmp_ge_u32 s3, s0
	s_cselect_b32 s0, s7, s1
	s_abs_i32 s12, s6
	s_xor_b32 s0, s0, s2
	s_sub_i32 s10, s0, s2
	s_load_dwordx2 s[0:1], s[4:5], 0x50
	s_abs_i32 s2, s10
	v_cvt_f32_u32_e32 v1, s2
	s_sub_i32 s7, 0, s2
	v_rcp_iflag_f32_e32 v1, v1
	v_mul_f32_e32 v1, 0x4f7ffffe, v1
	v_cvt_u32_f32_e32 v1, v1
	v_readfirstlane_b32 s3, v1
	s_mul_i32 s7, s7, s3
	s_mul_hi_u32 s7, s3, s7
	s_add_i32 s3, s3, s7
	s_waitcnt lgkmcnt(0)
	s_cmp_eq_u64 s[0:1], 0
	s_mul_hi_u32 s3, s12, s3
	s_cbranch_scc1 .LBB292_3
; %bb.2:
	s_ashr_i32 s7, s6, 31
	s_lshl_b64 s[14:15], s[6:7], 2
	s_add_u32 s0, s0, s14
	s_addc_u32 s1, s1, s15
	s_load_dword s36, s[0:1], 0x0
.LBB292_3:
	s_load_dwordx4 s[16:19], s[4:5], 0x58
	v_lshrrev_b32_e32 v12, 1, v0
	v_and_b32_e32 v13, 1, v0
	v_lshlrev_b32_e32 v15, 3, v0
	s_ashr_i32 s0, s6, 31
	s_ashr_i32 s1, s10, 31
	s_mul_i32 s10, s6, 0x50
	s_mov_b32 s7, exec_lo
	v_cmpx_gt_u32_e32 20, v0
	s_cbranch_execz .LBB292_5
; %bb.4:
	s_load_dwordx2 s[14:15], s[4:5], 0x18
	s_waitcnt lgkmcnt(0)
	s_mul_i32 s20, s16, s26
	v_lshlrev_b32_e32 v3, 3, v12
	s_ashr_i32 s21, s20, 31
	s_lshl_b64 s[20:21], s[20:21], 1
	v_mad_u32_u24 v3, 0x50, v13, v3
	s_add_u32 s13, s14, s20
	s_addc_u32 s16, s15, s21
	s_ashr_i32 s11, s10, 31
	s_lshl_b64 s[14:15], s[10:11], 1
	s_add_u32 s14, s13, s14
	s_addc_u32 s15, s16, s15
	global_load_dwordx2 v[1:2], v15, s[14:15]
	s_waitcnt vmcnt(0)
	ds_write_b64 v3, v[1:2]
.LBB292_5:
	s_or_b32 exec_lo, exec_lo, s7
	s_add_i32 s7, s27, 15
	s_clause 0x1
	s_load_dwordx2 s[28:29], s[4:5], 0x38
	s_load_dword s13, s[4:5], 0x48
	s_ashr_i32 s11, s7, 31
	s_waitcnt lgkmcnt(0)
	s_lshl_b32 s19, s8, 5
	s_lshr_b32 s11, s11, 28
	s_xor_b32 s0, s0, s1
	s_add_i32 s7, s7, s11
	s_add_i32 s1, s19, 32
	s_ashr_i32 s16, s7, 4
	s_mul_i32 s7, s3, s2
	s_min_i32 s11, s1, s16
	s_sub_i32 s1, s12, s7
	s_add_i32 s7, s3, 1
	s_sub_i32 s12, s1, s2
	s_cmp_ge_u32 s1, s2
	v_lshrrev_b32_e32 v14, 5, v0
	s_cselect_b32 s3, s7, s3
	s_cselect_b32 s1, s12, s1
	s_add_i32 s7, s3, 1
	s_cmp_ge_u32 s1, s2
	v_or_b32_e32 v1, s19, v14
	s_cselect_b32 s1, s7, s3
	v_mbcnt_lo_u32_b32 v16, -1, 0
	s_xor_b32 s1, s1, s0
	s_mul_i32 s30, s13, s26
	s_sub_i32 s1, s1, s0
	v_cmp_gt_i32_e64 s0, s11, v1
	s_ashr_i32 s31, s30, 31
	s_mov_b32 s2, exec_lo
	s_barrier
	buffer_gl0_inv
                                        ; implicit-def: $vgpr4
                                        ; implicit-def: $vgpr18
	v_cmpx_le_i32_e64 s11, v1
	s_xor_b32 s2, exec_lo, s2
; %bb.6:
	v_mov_b32_e32 v4, 0
	v_mbcnt_lo_u32_b32 v16, -1, 0
	v_mov_b32_e32 v18, 32
; %bb.7:
	s_or_saveexec_b32 s38, s2
	s_clause 0x4
	s_load_dwordx4 s[20:23], s[4:5], 0x0
	s_load_dwordx2 s[24:25], s[4:5], 0x10
	s_load_dword s7, s[4:5], 0x98
	s_load_dwordx2 s[34:35], s[4:5], 0x28
	s_load_dwordx4 s[12:15], s[4:5], 0x68
	v_mov_b32_e32 v17, 0xff7fffff
	v_ashrrev_i32_e32 v2, 31, v1
	s_mul_i32 s18, s1, s18
	s_xor_b32 exec_lo, exec_lo, s38
	s_cbranch_execz .LBB292_333
; %bb.8:
	s_load_dwordx2 s[2:3], s[4:5], 0x20
	v_bfe_u32 v3, v0, 1, 4
	v_lshlrev_b32_e32 v9, 4, v14
	s_ashr_i32 s4, s18, 31
	v_lshlrev_b32_e32 v6, 2, v13
	v_lshlrev_b64 v[7:8], 2, v[1:2]
	v_lshlrev_b32_e32 v5, 2, v3
	v_lshlrev_b32_e32 v10, 4, v3
	v_add3_u32 v20, s33, v9, v3
	v_mov_b32_e32 v4, 0
	v_mul_u32_u24_e32 v19, 0x50, v13
	v_lshl_or_b32 v5, v14, 6, v5
	v_cmp_neq_f32_e64 s1, s36, 0
	v_mov_b32_e32 v17, 0xff7fffff
	v_mov_b32_e32 v18, 32
	;; [unrolled: 1-line block ×3, first 2 shown]
	v_add_nc_u32_e32 v21, 0xc0, v5
	v_mov_b32_e32 v23, 0x7f
	v_mov_b32_e32 v24, 7
	;; [unrolled: 1-line block ×3, first 2 shown]
	s_waitcnt lgkmcnt(0)
	s_add_u32 s5, s2, s18
	s_addc_u32 s39, s3, s4
	v_add_co_u32 v3, s5, s5, v10
	v_add_co_ci_u32_e64 v9, null, s39, 0, s5
	s_lshl_b64 s[2:3], s[30:31], 2
	s_sub_i32 s4, 1, s27
	s_add_u32 s5, s28, s2
	v_add_co_u32 v5, s2, v3, v6
	s_addc_u32 s3, s29, s3
	v_add_co_ci_u32_e64 v6, null, 0, v9, s2
	v_add_co_u32 v7, s2, s5, v7
	v_add_co_ci_u32_e64 v8, null, s3, v8, s2
	v_mov_b32_e32 v26, v1
	s_mov_b32 s39, s17
	s_mov_b32 s5, 0
	v_cmp_eq_u32_e32 vcc_lo, 0, v13
	s_branch .LBB292_10
.LBB292_9:                              ;   in Loop: Header=BB292_10 Depth=1
	s_or_b32 exec_lo, exec_lo, s3
	v_add_nc_u32_e32 v26, 4, v26
	v_add_co_u32 v7, s3, v7, 16
	v_add_nc_u32_e32 v20, 64, v20
	v_add_nc_u32_e32 v21, 0x100, v21
	v_cmp_le_i32_e64 s2, s11, v26
	v_add_co_ci_u32_e64 v8, null, 0, v8, s3
	s_or_b32 s5, s2, s5
	s_andn2_b32 exec_lo, exec_lo, s5
	s_cbranch_execz .LBB292_332
.LBB292_10:                             ; =>This Inner Loop Header: Depth=1
	global_load_dword v3, v[7:8], off
	v_mov_b32_e32 v28, 0
	s_waitcnt vmcnt(0) lgkmcnt(0)
	v_mad_i64_i32 v[9:10], null, v3, s39, v[5:6]
	global_load_dword v11, v[9:10], off
	global_load_dword v27, v4, s[12:13]
	s_waitcnt vmcnt(1)
	v_cmp_ne_u16_sdwa s2, v11, v4 src0_sel:BYTE_0 src1_sel:DWORD
	s_and_saveexec_b32 s3, s2
	s_cbranch_execz .LBB292_18
; %bb.11:                               ;   in Loop: Header=BB292_10 Depth=1
	v_cmp_ne_u16_sdwa s2, v11, v22 src0_sel:BYTE_0 src1_sel:DWORD
	v_mov_b32_e32 v28, 0x8000
	s_and_saveexec_b32 s40, s2
	s_cbranch_execz .LBB292_17
; %bb.12:                               ;   in Loop: Header=BB292_10 Depth=1
	v_and_b32_e32 v29, 0x7f, v11
	v_mov_b32_e32 v28, 0x7c01
	s_mov_b32 s41, exec_lo
	v_cmpx_ne_u32_e32 0x7f, v29
	s_cbranch_execz .LBB292_16
; %bb.13:                               ;   in Loop: Header=BB292_10 Depth=1
	v_and_b32_e32 v3, 7, v11
	v_lshrrev_b32_e32 v28, 3, v29
	s_mov_b32 s42, exec_lo
	v_cmpx_gt_u32_e32 8, v29
; %bb.14:                               ;   in Loop: Header=BB292_10 Depth=1
	v_ffbh_u32_e32 v3, v3
	v_min_u32_e32 v3, 32, v3
	v_subrev_nc_u32_e32 v28, 28, v3
	v_lshlrev_b64 v[29:30], v28, v[11:12]
	v_sub_nc_u32_e32 v28, 29, v3
	v_and_b32_e32 v3, 7, v29
; %bb.15:                               ;   in Loop: Header=BB292_10 Depth=1
	s_or_b32 exec_lo, exec_lo, s42
	v_lshlrev_b32_e32 v29, 8, v11
	v_lshl_add_u32 v28, v28, 10, 0x2000
	v_lshlrev_b32_e32 v3, 7, v3
	v_and_b32_e32 v29, 0x8000, v29
	v_and_b32_e32 v28, 0xfc00, v28
	v_or3_b32 v28, v29, v28, v3
.LBB292_16:                             ;   in Loop: Header=BB292_10 Depth=1
	s_or_b32 exec_lo, exec_lo, s41
.LBB292_17:                             ;   in Loop: Header=BB292_10 Depth=1
	s_or_b32 exec_lo, exec_lo, s40
.LBB292_18:                             ;   in Loop: Header=BB292_10 Depth=1
	s_or_b32 exec_lo, exec_lo, s3
	v_lshrrev_b16 v3, 8, v11
	v_mov_b32_e32 v29, 0
	s_mov_b32 s3, exec_lo
	v_cmpx_ne_u16_e32 0, v3
	s_cbranch_execz .LBB292_26
; %bb.19:                               ;   in Loop: Header=BB292_10 Depth=1
	v_bfrev_b32_e32 v29, 1
	s_mov_b32 s40, exec_lo
	v_cmpx_ne_u16_e32 0x80, v3
	s_cbranch_execz .LBB292_25
; %bb.20:                               ;   in Loop: Header=BB292_10 Depth=1
	v_and_b32_sdwa v31, v3, v23 dst_sel:DWORD dst_unused:UNUSED_PAD src0_sel:WORD_0 src1_sel:DWORD
	v_mov_b32_e32 v29, 0x7c010000
	s_mov_b32 s41, exec_lo
	v_cmpx_ne_u32_e32 0x7f, v31
	s_cbranch_execz .LBB292_24
; %bb.21:                               ;   in Loop: Header=BB292_10 Depth=1
	v_and_b32_sdwa v29, v3, v24 dst_sel:DWORD dst_unused:UNUSED_PAD src0_sel:WORD_0 src1_sel:DWORD
	v_lshrrev_b32_e32 v30, 3, v31
	s_mov_b32 s42, exec_lo
	v_cmpx_gt_u32_e32 8, v31
; %bb.22:                               ;   in Loop: Header=BB292_10 Depth=1
	v_ffbh_u32_e32 v29, v29
	v_min_u32_e32 v31, 32, v29
	v_subrev_nc_u32_e32 v29, 28, v31
	v_lshlrev_b64 v[29:30], v29, v[3:4]
	v_sub_nc_u32_e32 v30, 29, v31
	v_and_b32_e32 v29, 7, v29
; %bb.23:                               ;   in Loop: Header=BB292_10 Depth=1
	s_or_b32 exec_lo, exec_lo, s42
	v_lshlrev_b32_sdwa v3, v25, v3 dst_sel:DWORD dst_unused:UNUSED_PAD src0_sel:DWORD src1_sel:WORD_0
	v_lshl_add_u32 v30, v30, 10, 0x2000
	v_lshlrev_b32_e32 v29, 23, v29
	v_and_or_b32 v3, 0x8000, v3, v30
	v_lshl_or_b32 v29, v3, 16, v29
.LBB292_24:                             ;   in Loop: Header=BB292_10 Depth=1
	s_or_b32 exec_lo, exec_lo, s41
.LBB292_25:                             ;   in Loop: Header=BB292_10 Depth=1
	s_or_b32 exec_lo, exec_lo, s40
.LBB292_26:                             ;   in Loop: Header=BB292_10 Depth=1
	s_or_b32 exec_lo, exec_lo, s3
	v_lshrrev_b32_e32 v3, 16, v11
	v_mov_b32_e32 v30, 0
	v_mov_b32_e32 v31, 0
	v_cmp_ne_u16_sdwa s2, v3, v4 src0_sel:BYTE_0 src1_sel:DWORD
	s_and_saveexec_b32 s3, s2
	s_cbranch_execz .LBB292_34
; %bb.27:                               ;   in Loop: Header=BB292_10 Depth=1
	v_cmp_ne_u16_sdwa s2, v3, v22 src0_sel:BYTE_0 src1_sel:DWORD
	v_mov_b32_e32 v31, 0x8000
	s_and_saveexec_b32 s40, s2
	s_cbranch_execz .LBB292_33
; %bb.28:                               ;   in Loop: Header=BB292_10 Depth=1
	v_bfe_u32 v33, v11, 16, 7
	v_mov_b32_e32 v31, 0x7c01
	s_mov_b32 s41, exec_lo
	v_cmpx_ne_u32_e32 0x7f, v33
	s_cbranch_execz .LBB292_32
; %bb.29:                               ;   in Loop: Header=BB292_10 Depth=1
	v_and_b32_e32 v31, 7, v3
	v_lshrrev_b32_e32 v32, 3, v33
	s_mov_b32 s42, exec_lo
	v_cmpx_gt_u32_e32 8, v33
; %bb.30:                               ;   in Loop: Header=BB292_10 Depth=1
	v_ffbh_u32_e32 v31, v31
	v_min_u32_e32 v33, 32, v31
	v_subrev_nc_u32_e32 v31, 28, v33
	v_lshlrev_b64 v[31:32], v31, v[3:4]
	v_sub_nc_u32_e32 v32, 29, v33
	v_and_b32_e32 v31, 7, v31
; %bb.31:                               ;   in Loop: Header=BB292_10 Depth=1
	s_or_b32 exec_lo, exec_lo, s42
	v_lshlrev_b32_e32 v3, 8, v3
	v_lshl_add_u32 v32, v32, 10, 0x2000
	v_lshlrev_b32_e32 v31, 7, v31
	v_and_b32_e32 v3, 0x8000, v3
	v_and_b32_e32 v32, 0xfc00, v32
	v_or3_b32 v31, v3, v32, v31
.LBB292_32:                             ;   in Loop: Header=BB292_10 Depth=1
	s_or_b32 exec_lo, exec_lo, s41
.LBB292_33:                             ;   in Loop: Header=BB292_10 Depth=1
	s_or_b32 exec_lo, exec_lo, s40
.LBB292_34:                             ;   in Loop: Header=BB292_10 Depth=1
	s_or_b32 exec_lo, exec_lo, s3
	s_mov_b32 s3, exec_lo
	v_cmpx_lt_u32_e32 0xffffff, v11
	s_cbranch_execz .LBB292_42
; %bb.35:                               ;   in Loop: Header=BB292_10 Depth=1
	v_lshrrev_b32_e32 v3, 24, v11
	v_bfrev_b32_e32 v30, 1
	s_mov_b32 s40, exec_lo
	v_cmpx_ne_u32_e32 0x80, v3
	s_cbranch_execz .LBB292_41
; %bb.36:                               ;   in Loop: Header=BB292_10 Depth=1
	v_and_b32_e32 v32, 0x7f, v3
	v_mov_b32_e32 v30, 0x7c010000
	s_mov_b32 s41, exec_lo
	v_cmpx_ne_u32_e32 0x7f, v32
	s_cbranch_execz .LBB292_40
; %bb.37:                               ;   in Loop: Header=BB292_10 Depth=1
	v_and_b32_e32 v11, 7, v3
	v_lshrrev_b32_e32 v30, 3, v32
	s_mov_b32 s42, exec_lo
	v_cmpx_gt_u32_e32 8, v32
; %bb.38:                               ;   in Loop: Header=BB292_10 Depth=1
	v_ffbh_u32_e32 v11, v11
	v_min_u32_e32 v11, 32, v11
	v_subrev_nc_u32_e32 v30, 28, v11
	v_lshlrev_b64 v[32:33], v30, v[3:4]
	v_sub_nc_u32_e32 v30, 29, v11
	v_and_b32_e32 v11, 7, v32
; %bb.39:                               ;   in Loop: Header=BB292_10 Depth=1
	s_or_b32 exec_lo, exec_lo, s42
	v_lshlrev_b32_e32 v3, 8, v3
	v_lshl_add_u32 v30, v30, 10, 0x2000
	v_lshlrev_b32_e32 v11, 23, v11
	v_and_or_b32 v3, 0x8000, v3, v30
	v_lshl_or_b32 v30, v3, 16, v11
.LBB292_40:                             ;   in Loop: Header=BB292_10 Depth=1
	s_or_b32 exec_lo, exec_lo, s41
.LBB292_41:                             ;   in Loop: Header=BB292_10 Depth=1
	s_or_b32 exec_lo, exec_lo, s40
.LBB292_42:                             ;   in Loop: Header=BB292_10 Depth=1
	s_or_b32 exec_lo, exec_lo, s3
	global_load_dword v11, v[9:10], off offset:8
	v_mov_b32_e32 v32, 0
	v_mov_b32_e32 v33, 0
	s_waitcnt vmcnt(0)
	v_cmp_ne_u16_sdwa s2, v11, v4 src0_sel:BYTE_0 src1_sel:DWORD
	s_and_saveexec_b32 s3, s2
	s_cbranch_execz .LBB292_50
; %bb.43:                               ;   in Loop: Header=BB292_10 Depth=1
	v_cmp_ne_u16_sdwa s2, v11, v22 src0_sel:BYTE_0 src1_sel:DWORD
	v_mov_b32_e32 v33, 0x8000
	s_and_saveexec_b32 s40, s2
	s_cbranch_execz .LBB292_49
; %bb.44:                               ;   in Loop: Header=BB292_10 Depth=1
	v_and_b32_e32 v34, 0x7f, v11
	v_mov_b32_e32 v33, 0x7c01
	s_mov_b32 s41, exec_lo
	v_cmpx_ne_u32_e32 0x7f, v34
	s_cbranch_execz .LBB292_48
; %bb.45:                               ;   in Loop: Header=BB292_10 Depth=1
	v_and_b32_e32 v3, 7, v11
	v_lshrrev_b32_e32 v33, 3, v34
	s_mov_b32 s42, exec_lo
	v_cmpx_gt_u32_e32 8, v34
; %bb.46:                               ;   in Loop: Header=BB292_10 Depth=1
	v_ffbh_u32_e32 v3, v3
	v_min_u32_e32 v3, 32, v3
	v_subrev_nc_u32_e32 v33, 28, v3
	v_lshlrev_b64 v[34:35], v33, v[11:12]
	v_sub_nc_u32_e32 v33, 29, v3
	v_and_b32_e32 v3, 7, v34
; %bb.47:                               ;   in Loop: Header=BB292_10 Depth=1
	s_or_b32 exec_lo, exec_lo, s42
	v_lshlrev_b32_e32 v34, 8, v11
	v_lshl_add_u32 v33, v33, 10, 0x2000
	v_lshlrev_b32_e32 v3, 7, v3
	v_and_b32_e32 v34, 0x8000, v34
	v_and_b32_e32 v33, 0xfc00, v33
	v_or3_b32 v33, v34, v33, v3
.LBB292_48:                             ;   in Loop: Header=BB292_10 Depth=1
	s_or_b32 exec_lo, exec_lo, s41
.LBB292_49:                             ;   in Loop: Header=BB292_10 Depth=1
	s_or_b32 exec_lo, exec_lo, s40
.LBB292_50:                             ;   in Loop: Header=BB292_10 Depth=1
	s_or_b32 exec_lo, exec_lo, s3
	v_lshrrev_b16 v3, 8, v11
	s_mov_b32 s3, exec_lo
	v_cmpx_ne_u16_e32 0, v3
	s_cbranch_execz .LBB292_58
; %bb.51:                               ;   in Loop: Header=BB292_10 Depth=1
	v_bfrev_b32_e32 v32, 1
	s_mov_b32 s40, exec_lo
	v_cmpx_ne_u16_e32 0x80, v3
	s_cbranch_execz .LBB292_57
; %bb.52:                               ;   in Loop: Header=BB292_10 Depth=1
	v_and_b32_sdwa v35, v3, v23 dst_sel:DWORD dst_unused:UNUSED_PAD src0_sel:WORD_0 src1_sel:DWORD
	v_mov_b32_e32 v32, 0x7c010000
	s_mov_b32 s41, exec_lo
	v_cmpx_ne_u32_e32 0x7f, v35
	s_cbranch_execz .LBB292_56
; %bb.53:                               ;   in Loop: Header=BB292_10 Depth=1
	v_and_b32_sdwa v32, v3, v24 dst_sel:DWORD dst_unused:UNUSED_PAD src0_sel:WORD_0 src1_sel:DWORD
	v_lshrrev_b32_e32 v34, 3, v35
	s_mov_b32 s42, exec_lo
	v_cmpx_gt_u32_e32 8, v35
; %bb.54:                               ;   in Loop: Header=BB292_10 Depth=1
	v_ffbh_u32_e32 v32, v32
	v_min_u32_e32 v32, 32, v32
	v_subrev_nc_u32_e32 v34, 28, v32
	v_lshlrev_b64 v[35:36], v34, v[3:4]
	v_sub_nc_u32_e32 v34, 29, v32
	v_and_b32_e32 v32, 7, v35
; %bb.55:                               ;   in Loop: Header=BB292_10 Depth=1
	s_or_b32 exec_lo, exec_lo, s42
	v_lshlrev_b32_sdwa v3, v25, v3 dst_sel:DWORD dst_unused:UNUSED_PAD src0_sel:DWORD src1_sel:WORD_0
	v_lshl_add_u32 v34, v34, 10, 0x2000
	v_lshlrev_b32_e32 v32, 23, v32
	v_and_or_b32 v3, 0x8000, v3, v34
	v_lshl_or_b32 v32, v3, 16, v32
.LBB292_56:                             ;   in Loop: Header=BB292_10 Depth=1
	s_or_b32 exec_lo, exec_lo, s41
.LBB292_57:                             ;   in Loop: Header=BB292_10 Depth=1
	s_or_b32 exec_lo, exec_lo, s40
.LBB292_58:                             ;   in Loop: Header=BB292_10 Depth=1
	s_or_b32 exec_lo, exec_lo, s3
	v_lshrrev_b32_e32 v3, 16, v11
	v_mov_b32_e32 v34, 0
	v_mov_b32_e32 v35, 0
	v_cmp_ne_u16_sdwa s2, v3, v4 src0_sel:BYTE_0 src1_sel:DWORD
	s_and_saveexec_b32 s3, s2
	s_cbranch_execz .LBB292_66
; %bb.59:                               ;   in Loop: Header=BB292_10 Depth=1
	v_cmp_ne_u16_sdwa s2, v3, v22 src0_sel:BYTE_0 src1_sel:DWORD
	v_mov_b32_e32 v35, 0x8000
	s_and_saveexec_b32 s40, s2
	s_cbranch_execz .LBB292_65
; %bb.60:                               ;   in Loop: Header=BB292_10 Depth=1
	v_bfe_u32 v37, v11, 16, 7
	v_mov_b32_e32 v35, 0x7c01
	s_mov_b32 s41, exec_lo
	v_cmpx_ne_u32_e32 0x7f, v37
	s_cbranch_execz .LBB292_64
; %bb.61:                               ;   in Loop: Header=BB292_10 Depth=1
	v_and_b32_e32 v35, 7, v3
	v_lshrrev_b32_e32 v36, 3, v37
	s_mov_b32 s42, exec_lo
	v_cmpx_gt_u32_e32 8, v37
; %bb.62:                               ;   in Loop: Header=BB292_10 Depth=1
	v_ffbh_u32_e32 v35, v35
	v_min_u32_e32 v37, 32, v35
	v_subrev_nc_u32_e32 v35, 28, v37
	v_lshlrev_b64 v[35:36], v35, v[3:4]
	v_sub_nc_u32_e32 v36, 29, v37
	v_and_b32_e32 v35, 7, v35
; %bb.63:                               ;   in Loop: Header=BB292_10 Depth=1
	s_or_b32 exec_lo, exec_lo, s42
	v_lshlrev_b32_e32 v3, 8, v3
	v_lshl_add_u32 v36, v36, 10, 0x2000
	v_lshlrev_b32_e32 v35, 7, v35
	v_and_b32_e32 v3, 0x8000, v3
	v_and_b32_e32 v36, 0xfc00, v36
	v_or3_b32 v35, v3, v36, v35
.LBB292_64:                             ;   in Loop: Header=BB292_10 Depth=1
	s_or_b32 exec_lo, exec_lo, s41
.LBB292_65:                             ;   in Loop: Header=BB292_10 Depth=1
	s_or_b32 exec_lo, exec_lo, s40
.LBB292_66:                             ;   in Loop: Header=BB292_10 Depth=1
	s_or_b32 exec_lo, exec_lo, s3
	s_mov_b32 s3, exec_lo
	v_cmpx_lt_u32_e32 0xffffff, v11
	s_cbranch_execz .LBB292_74
; %bb.67:                               ;   in Loop: Header=BB292_10 Depth=1
	v_lshrrev_b32_e32 v3, 24, v11
	v_bfrev_b32_e32 v34, 1
	s_mov_b32 s40, exec_lo
	v_cmpx_ne_u32_e32 0x80, v3
	s_cbranch_execz .LBB292_73
; %bb.68:                               ;   in Loop: Header=BB292_10 Depth=1
	v_and_b32_e32 v36, 0x7f, v3
	v_mov_b32_e32 v34, 0x7c010000
	s_mov_b32 s41, exec_lo
	v_cmpx_ne_u32_e32 0x7f, v36
	s_cbranch_execz .LBB292_72
; %bb.69:                               ;   in Loop: Header=BB292_10 Depth=1
	v_and_b32_e32 v11, 7, v3
	v_lshrrev_b32_e32 v34, 3, v36
	s_mov_b32 s42, exec_lo
	v_cmpx_gt_u32_e32 8, v36
; %bb.70:                               ;   in Loop: Header=BB292_10 Depth=1
	v_ffbh_u32_e32 v11, v11
	v_min_u32_e32 v11, 32, v11
	v_subrev_nc_u32_e32 v34, 28, v11
	v_lshlrev_b64 v[36:37], v34, v[3:4]
	v_sub_nc_u32_e32 v34, 29, v11
	v_and_b32_e32 v11, 7, v36
; %bb.71:                               ;   in Loop: Header=BB292_10 Depth=1
	s_or_b32 exec_lo, exec_lo, s42
	v_lshlrev_b32_e32 v3, 8, v3
	v_lshl_add_u32 v34, v34, 10, 0x2000
	v_lshlrev_b32_e32 v11, 23, v11
	v_and_or_b32 v3, 0x8000, v3, v34
	v_lshl_or_b32 v34, v3, 16, v11
.LBB292_72:                             ;   in Loop: Header=BB292_10 Depth=1
	s_or_b32 exec_lo, exec_lo, s41
.LBB292_73:                             ;   in Loop: Header=BB292_10 Depth=1
	s_or_b32 exec_lo, exec_lo, s40
.LBB292_74:                             ;   in Loop: Header=BB292_10 Depth=1
	s_or_b32 exec_lo, exec_lo, s3
	global_load_dword v11, v[9:10], off offset:256
	v_mov_b32_e32 v36, 0
	v_mov_b32_e32 v37, 0
	s_waitcnt vmcnt(0)
	v_cmp_ne_u16_sdwa s2, v11, v4 src0_sel:BYTE_0 src1_sel:DWORD
	s_and_saveexec_b32 s3, s2
	s_cbranch_execz .LBB292_82
; %bb.75:                               ;   in Loop: Header=BB292_10 Depth=1
	v_cmp_ne_u16_sdwa s2, v11, v22 src0_sel:BYTE_0 src1_sel:DWORD
	v_mov_b32_e32 v37, 0x8000
	s_and_saveexec_b32 s40, s2
	s_cbranch_execz .LBB292_81
; %bb.76:                               ;   in Loop: Header=BB292_10 Depth=1
	v_and_b32_e32 v38, 0x7f, v11
	v_mov_b32_e32 v37, 0x7c01
	s_mov_b32 s41, exec_lo
	v_cmpx_ne_u32_e32 0x7f, v38
	s_cbranch_execz .LBB292_80
; %bb.77:                               ;   in Loop: Header=BB292_10 Depth=1
	v_and_b32_e32 v3, 7, v11
	v_lshrrev_b32_e32 v37, 3, v38
	s_mov_b32 s42, exec_lo
	v_cmpx_gt_u32_e32 8, v38
; %bb.78:                               ;   in Loop: Header=BB292_10 Depth=1
	v_ffbh_u32_e32 v3, v3
	v_min_u32_e32 v3, 32, v3
	v_subrev_nc_u32_e32 v37, 28, v3
	v_lshlrev_b64 v[38:39], v37, v[11:12]
	v_sub_nc_u32_e32 v37, 29, v3
	v_and_b32_e32 v3, 7, v38
; %bb.79:                               ;   in Loop: Header=BB292_10 Depth=1
	s_or_b32 exec_lo, exec_lo, s42
	v_lshlrev_b32_e32 v38, 8, v11
	v_lshl_add_u32 v37, v37, 10, 0x2000
	v_lshlrev_b32_e32 v3, 7, v3
	v_and_b32_e32 v38, 0x8000, v38
	v_and_b32_e32 v37, 0xfc00, v37
	v_or3_b32 v37, v38, v37, v3
.LBB292_80:                             ;   in Loop: Header=BB292_10 Depth=1
	s_or_b32 exec_lo, exec_lo, s41
.LBB292_81:                             ;   in Loop: Header=BB292_10 Depth=1
	s_or_b32 exec_lo, exec_lo, s40
.LBB292_82:                             ;   in Loop: Header=BB292_10 Depth=1
	s_or_b32 exec_lo, exec_lo, s3
	v_lshrrev_b16 v3, 8, v11
	s_mov_b32 s3, exec_lo
	v_cmpx_ne_u16_e32 0, v3
	s_cbranch_execz .LBB292_90
; %bb.83:                               ;   in Loop: Header=BB292_10 Depth=1
	v_bfrev_b32_e32 v36, 1
	s_mov_b32 s40, exec_lo
	v_cmpx_ne_u16_e32 0x80, v3
	s_cbranch_execz .LBB292_89
; %bb.84:                               ;   in Loop: Header=BB292_10 Depth=1
	v_and_b32_sdwa v39, v3, v23 dst_sel:DWORD dst_unused:UNUSED_PAD src0_sel:WORD_0 src1_sel:DWORD
	v_mov_b32_e32 v36, 0x7c010000
	s_mov_b32 s41, exec_lo
	v_cmpx_ne_u32_e32 0x7f, v39
	s_cbranch_execz .LBB292_88
; %bb.85:                               ;   in Loop: Header=BB292_10 Depth=1
	v_and_b32_sdwa v36, v3, v24 dst_sel:DWORD dst_unused:UNUSED_PAD src0_sel:WORD_0 src1_sel:DWORD
	v_lshrrev_b32_e32 v38, 3, v39
	s_mov_b32 s42, exec_lo
	v_cmpx_gt_u32_e32 8, v39
; %bb.86:                               ;   in Loop: Header=BB292_10 Depth=1
	v_ffbh_u32_e32 v36, v36
	v_min_u32_e32 v36, 32, v36
	v_subrev_nc_u32_e32 v38, 28, v36
	v_lshlrev_b64 v[39:40], v38, v[3:4]
	v_sub_nc_u32_e32 v38, 29, v36
	v_and_b32_e32 v36, 7, v39
; %bb.87:                               ;   in Loop: Header=BB292_10 Depth=1
	s_or_b32 exec_lo, exec_lo, s42
	v_lshlrev_b32_sdwa v3, v25, v3 dst_sel:DWORD dst_unused:UNUSED_PAD src0_sel:DWORD src1_sel:WORD_0
	v_lshl_add_u32 v38, v38, 10, 0x2000
	v_lshlrev_b32_e32 v36, 23, v36
	v_and_or_b32 v3, 0x8000, v3, v38
	v_lshl_or_b32 v36, v3, 16, v36
.LBB292_88:                             ;   in Loop: Header=BB292_10 Depth=1
	s_or_b32 exec_lo, exec_lo, s41
.LBB292_89:                             ;   in Loop: Header=BB292_10 Depth=1
	s_or_b32 exec_lo, exec_lo, s40
.LBB292_90:                             ;   in Loop: Header=BB292_10 Depth=1
	s_or_b32 exec_lo, exec_lo, s3
	v_lshrrev_b32_e32 v3, 16, v11
	v_mov_b32_e32 v38, 0
	v_mov_b32_e32 v39, 0
	v_cmp_ne_u16_sdwa s2, v3, v4 src0_sel:BYTE_0 src1_sel:DWORD
	s_and_saveexec_b32 s3, s2
	s_cbranch_execz .LBB292_98
; %bb.91:                               ;   in Loop: Header=BB292_10 Depth=1
	v_cmp_ne_u16_sdwa s2, v3, v22 src0_sel:BYTE_0 src1_sel:DWORD
	v_mov_b32_e32 v39, 0x8000
	s_and_saveexec_b32 s40, s2
	s_cbranch_execz .LBB292_97
; %bb.92:                               ;   in Loop: Header=BB292_10 Depth=1
	v_bfe_u32 v41, v11, 16, 7
	v_mov_b32_e32 v39, 0x7c01
	s_mov_b32 s41, exec_lo
	v_cmpx_ne_u32_e32 0x7f, v41
	s_cbranch_execz .LBB292_96
; %bb.93:                               ;   in Loop: Header=BB292_10 Depth=1
	v_and_b32_e32 v39, 7, v3
	v_lshrrev_b32_e32 v40, 3, v41
	s_mov_b32 s42, exec_lo
	v_cmpx_gt_u32_e32 8, v41
; %bb.94:                               ;   in Loop: Header=BB292_10 Depth=1
	v_ffbh_u32_e32 v39, v39
	v_min_u32_e32 v41, 32, v39
	v_subrev_nc_u32_e32 v39, 28, v41
	v_lshlrev_b64 v[39:40], v39, v[3:4]
	v_sub_nc_u32_e32 v40, 29, v41
	v_and_b32_e32 v39, 7, v39
; %bb.95:                               ;   in Loop: Header=BB292_10 Depth=1
	s_or_b32 exec_lo, exec_lo, s42
	v_lshlrev_b32_e32 v3, 8, v3
	v_lshl_add_u32 v40, v40, 10, 0x2000
	v_lshlrev_b32_e32 v39, 7, v39
	v_and_b32_e32 v3, 0x8000, v3
	v_and_b32_e32 v40, 0xfc00, v40
	v_or3_b32 v39, v3, v40, v39
.LBB292_96:                             ;   in Loop: Header=BB292_10 Depth=1
	s_or_b32 exec_lo, exec_lo, s41
.LBB292_97:                             ;   in Loop: Header=BB292_10 Depth=1
	s_or_b32 exec_lo, exec_lo, s40
.LBB292_98:                             ;   in Loop: Header=BB292_10 Depth=1
	s_or_b32 exec_lo, exec_lo, s3
	s_mov_b32 s3, exec_lo
	v_cmpx_lt_u32_e32 0xffffff, v11
	s_cbranch_execz .LBB292_106
; %bb.99:                               ;   in Loop: Header=BB292_10 Depth=1
	v_lshrrev_b32_e32 v3, 24, v11
	v_bfrev_b32_e32 v38, 1
	s_mov_b32 s40, exec_lo
	v_cmpx_ne_u32_e32 0x80, v3
	s_cbranch_execz .LBB292_105
; %bb.100:                              ;   in Loop: Header=BB292_10 Depth=1
	v_and_b32_e32 v40, 0x7f, v3
	v_mov_b32_e32 v38, 0x7c010000
	s_mov_b32 s41, exec_lo
	v_cmpx_ne_u32_e32 0x7f, v40
	s_cbranch_execz .LBB292_104
; %bb.101:                              ;   in Loop: Header=BB292_10 Depth=1
	v_and_b32_e32 v11, 7, v3
	v_lshrrev_b32_e32 v38, 3, v40
	s_mov_b32 s42, exec_lo
	v_cmpx_gt_u32_e32 8, v40
; %bb.102:                              ;   in Loop: Header=BB292_10 Depth=1
	v_ffbh_u32_e32 v11, v11
	v_min_u32_e32 v11, 32, v11
	v_subrev_nc_u32_e32 v38, 28, v11
	v_lshlrev_b64 v[40:41], v38, v[3:4]
	v_sub_nc_u32_e32 v38, 29, v11
	v_and_b32_e32 v11, 7, v40
; %bb.103:                              ;   in Loop: Header=BB292_10 Depth=1
	s_or_b32 exec_lo, exec_lo, s42
	v_lshlrev_b32_e32 v3, 8, v3
	v_lshl_add_u32 v38, v38, 10, 0x2000
	v_lshlrev_b32_e32 v11, 23, v11
	v_and_or_b32 v3, 0x8000, v3, v38
	v_lshl_or_b32 v38, v3, 16, v11
.LBB292_104:                            ;   in Loop: Header=BB292_10 Depth=1
	s_or_b32 exec_lo, exec_lo, s41
.LBB292_105:                            ;   in Loop: Header=BB292_10 Depth=1
	s_or_b32 exec_lo, exec_lo, s40
.LBB292_106:                            ;   in Loop: Header=BB292_10 Depth=1
	s_or_b32 exec_lo, exec_lo, s3
	global_load_dword v11, v[9:10], off offset:264
	v_mov_b32_e32 v40, 0
	v_mov_b32_e32 v41, 0
	s_waitcnt vmcnt(0)
	v_cmp_ne_u16_sdwa s2, v11, v4 src0_sel:BYTE_0 src1_sel:DWORD
	s_and_saveexec_b32 s3, s2
	s_cbranch_execz .LBB292_114
; %bb.107:                              ;   in Loop: Header=BB292_10 Depth=1
	v_cmp_ne_u16_sdwa s2, v11, v22 src0_sel:BYTE_0 src1_sel:DWORD
	v_mov_b32_e32 v41, 0x8000
	s_and_saveexec_b32 s40, s2
	s_cbranch_execz .LBB292_113
; %bb.108:                              ;   in Loop: Header=BB292_10 Depth=1
	v_and_b32_e32 v42, 0x7f, v11
	v_mov_b32_e32 v41, 0x7c01
	s_mov_b32 s41, exec_lo
	v_cmpx_ne_u32_e32 0x7f, v42
	s_cbranch_execz .LBB292_112
; %bb.109:                              ;   in Loop: Header=BB292_10 Depth=1
	v_and_b32_e32 v3, 7, v11
	v_lshrrev_b32_e32 v41, 3, v42
	s_mov_b32 s42, exec_lo
	v_cmpx_gt_u32_e32 8, v42
; %bb.110:                              ;   in Loop: Header=BB292_10 Depth=1
	v_ffbh_u32_e32 v3, v3
	v_min_u32_e32 v3, 32, v3
	v_subrev_nc_u32_e32 v41, 28, v3
	v_lshlrev_b64 v[42:43], v41, v[11:12]
	v_sub_nc_u32_e32 v41, 29, v3
	v_and_b32_e32 v3, 7, v42
; %bb.111:                              ;   in Loop: Header=BB292_10 Depth=1
	s_or_b32 exec_lo, exec_lo, s42
	v_lshlrev_b32_e32 v42, 8, v11
	v_lshl_add_u32 v41, v41, 10, 0x2000
	v_lshlrev_b32_e32 v3, 7, v3
	v_and_b32_e32 v42, 0x8000, v42
	v_and_b32_e32 v41, 0xfc00, v41
	v_or3_b32 v41, v42, v41, v3
.LBB292_112:                            ;   in Loop: Header=BB292_10 Depth=1
	s_or_b32 exec_lo, exec_lo, s41
.LBB292_113:                            ;   in Loop: Header=BB292_10 Depth=1
	s_or_b32 exec_lo, exec_lo, s40
.LBB292_114:                            ;   in Loop: Header=BB292_10 Depth=1
	s_or_b32 exec_lo, exec_lo, s3
	v_lshrrev_b16 v3, 8, v11
	s_mov_b32 s3, exec_lo
	v_cmpx_ne_u16_e32 0, v3
	s_cbranch_execz .LBB292_122
; %bb.115:                              ;   in Loop: Header=BB292_10 Depth=1
	v_bfrev_b32_e32 v40, 1
	s_mov_b32 s40, exec_lo
	v_cmpx_ne_u16_e32 0x80, v3
	s_cbranch_execz .LBB292_121
; %bb.116:                              ;   in Loop: Header=BB292_10 Depth=1
	v_and_b32_sdwa v43, v3, v23 dst_sel:DWORD dst_unused:UNUSED_PAD src0_sel:WORD_0 src1_sel:DWORD
	v_mov_b32_e32 v40, 0x7c010000
	s_mov_b32 s41, exec_lo
	v_cmpx_ne_u32_e32 0x7f, v43
	s_cbranch_execz .LBB292_120
; %bb.117:                              ;   in Loop: Header=BB292_10 Depth=1
	v_and_b32_sdwa v40, v3, v24 dst_sel:DWORD dst_unused:UNUSED_PAD src0_sel:WORD_0 src1_sel:DWORD
	v_lshrrev_b32_e32 v42, 3, v43
	s_mov_b32 s42, exec_lo
	v_cmpx_gt_u32_e32 8, v43
; %bb.118:                              ;   in Loop: Header=BB292_10 Depth=1
	v_ffbh_u32_e32 v40, v40
	v_min_u32_e32 v40, 32, v40
	v_subrev_nc_u32_e32 v42, 28, v40
	v_lshlrev_b64 v[43:44], v42, v[3:4]
	v_sub_nc_u32_e32 v42, 29, v40
	v_and_b32_e32 v40, 7, v43
; %bb.119:                              ;   in Loop: Header=BB292_10 Depth=1
	s_or_b32 exec_lo, exec_lo, s42
	v_lshlrev_b32_sdwa v3, v25, v3 dst_sel:DWORD dst_unused:UNUSED_PAD src0_sel:DWORD src1_sel:WORD_0
	v_lshl_add_u32 v42, v42, 10, 0x2000
	v_lshlrev_b32_e32 v40, 23, v40
	v_and_or_b32 v3, 0x8000, v3, v42
	v_lshl_or_b32 v40, v3, 16, v40
.LBB292_120:                            ;   in Loop: Header=BB292_10 Depth=1
	s_or_b32 exec_lo, exec_lo, s41
.LBB292_121:                            ;   in Loop: Header=BB292_10 Depth=1
	s_or_b32 exec_lo, exec_lo, s40
.LBB292_122:                            ;   in Loop: Header=BB292_10 Depth=1
	s_or_b32 exec_lo, exec_lo, s3
	v_lshrrev_b32_e32 v3, 16, v11
	v_mov_b32_e32 v42, 0
	v_mov_b32_e32 v43, 0
	v_cmp_ne_u16_sdwa s2, v3, v4 src0_sel:BYTE_0 src1_sel:DWORD
	s_and_saveexec_b32 s3, s2
	s_cbranch_execz .LBB292_130
; %bb.123:                              ;   in Loop: Header=BB292_10 Depth=1
	v_cmp_ne_u16_sdwa s2, v3, v22 src0_sel:BYTE_0 src1_sel:DWORD
	v_mov_b32_e32 v43, 0x8000
	s_and_saveexec_b32 s40, s2
	s_cbranch_execz .LBB292_129
; %bb.124:                              ;   in Loop: Header=BB292_10 Depth=1
	v_bfe_u32 v45, v11, 16, 7
	v_mov_b32_e32 v43, 0x7c01
	s_mov_b32 s41, exec_lo
	v_cmpx_ne_u32_e32 0x7f, v45
	s_cbranch_execz .LBB292_128
; %bb.125:                              ;   in Loop: Header=BB292_10 Depth=1
	v_and_b32_e32 v43, 7, v3
	v_lshrrev_b32_e32 v44, 3, v45
	s_mov_b32 s42, exec_lo
	v_cmpx_gt_u32_e32 8, v45
; %bb.126:                              ;   in Loop: Header=BB292_10 Depth=1
	v_ffbh_u32_e32 v43, v43
	v_min_u32_e32 v45, 32, v43
	v_subrev_nc_u32_e32 v43, 28, v45
	v_lshlrev_b64 v[43:44], v43, v[3:4]
	v_sub_nc_u32_e32 v44, 29, v45
	v_and_b32_e32 v43, 7, v43
; %bb.127:                              ;   in Loop: Header=BB292_10 Depth=1
	s_or_b32 exec_lo, exec_lo, s42
	v_lshlrev_b32_e32 v3, 8, v3
	v_lshl_add_u32 v44, v44, 10, 0x2000
	v_lshlrev_b32_e32 v43, 7, v43
	v_and_b32_e32 v3, 0x8000, v3
	v_and_b32_e32 v44, 0xfc00, v44
	v_or3_b32 v43, v3, v44, v43
.LBB292_128:                            ;   in Loop: Header=BB292_10 Depth=1
	s_or_b32 exec_lo, exec_lo, s41
.LBB292_129:                            ;   in Loop: Header=BB292_10 Depth=1
	s_or_b32 exec_lo, exec_lo, s40
.LBB292_130:                            ;   in Loop: Header=BB292_10 Depth=1
	s_or_b32 exec_lo, exec_lo, s3
	s_mov_b32 s3, exec_lo
	v_cmpx_lt_u32_e32 0xffffff, v11
	s_cbranch_execz .LBB292_138
; %bb.131:                              ;   in Loop: Header=BB292_10 Depth=1
	v_lshrrev_b32_e32 v3, 24, v11
	v_bfrev_b32_e32 v42, 1
	s_mov_b32 s40, exec_lo
	v_cmpx_ne_u32_e32 0x80, v3
	s_cbranch_execz .LBB292_137
; %bb.132:                              ;   in Loop: Header=BB292_10 Depth=1
	v_and_b32_e32 v44, 0x7f, v3
	v_mov_b32_e32 v42, 0x7c010000
	s_mov_b32 s41, exec_lo
	v_cmpx_ne_u32_e32 0x7f, v44
	s_cbranch_execz .LBB292_136
; %bb.133:                              ;   in Loop: Header=BB292_10 Depth=1
	v_and_b32_e32 v11, 7, v3
	v_lshrrev_b32_e32 v42, 3, v44
	s_mov_b32 s42, exec_lo
	v_cmpx_gt_u32_e32 8, v44
; %bb.134:                              ;   in Loop: Header=BB292_10 Depth=1
	v_ffbh_u32_e32 v11, v11
	v_min_u32_e32 v11, 32, v11
	v_subrev_nc_u32_e32 v42, 28, v11
	v_lshlrev_b64 v[44:45], v42, v[3:4]
	v_sub_nc_u32_e32 v42, 29, v11
	v_and_b32_e32 v11, 7, v44
; %bb.135:                              ;   in Loop: Header=BB292_10 Depth=1
	s_or_b32 exec_lo, exec_lo, s42
	v_lshlrev_b32_e32 v3, 8, v3
	v_lshl_add_u32 v42, v42, 10, 0x2000
	v_lshlrev_b32_e32 v11, 23, v11
	v_and_or_b32 v3, 0x8000, v3, v42
	v_lshl_or_b32 v42, v3, 16, v11
.LBB292_136:                            ;   in Loop: Header=BB292_10 Depth=1
	s_or_b32 exec_lo, exec_lo, s41
.LBB292_137:                            ;   in Loop: Header=BB292_10 Depth=1
	s_or_b32 exec_lo, exec_lo, s40
.LBB292_138:                            ;   in Loop: Header=BB292_10 Depth=1
	s_or_b32 exec_lo, exec_lo, s3
	global_load_dword v11, v[9:10], off offset:512
	v_mov_b32_e32 v44, 0
	v_mov_b32_e32 v45, 0
	s_waitcnt vmcnt(0)
	v_cmp_ne_u16_sdwa s2, v11, v4 src0_sel:BYTE_0 src1_sel:DWORD
	s_and_saveexec_b32 s3, s2
	s_cbranch_execz .LBB292_146
; %bb.139:                              ;   in Loop: Header=BB292_10 Depth=1
	v_cmp_ne_u16_sdwa s2, v11, v22 src0_sel:BYTE_0 src1_sel:DWORD
	v_mov_b32_e32 v45, 0x8000
	s_and_saveexec_b32 s40, s2
	s_cbranch_execz .LBB292_145
; %bb.140:                              ;   in Loop: Header=BB292_10 Depth=1
	v_and_b32_e32 v46, 0x7f, v11
	v_mov_b32_e32 v45, 0x7c01
	s_mov_b32 s41, exec_lo
	v_cmpx_ne_u32_e32 0x7f, v46
	s_cbranch_execz .LBB292_144
; %bb.141:                              ;   in Loop: Header=BB292_10 Depth=1
	v_and_b32_e32 v3, 7, v11
	v_lshrrev_b32_e32 v45, 3, v46
	s_mov_b32 s42, exec_lo
	v_cmpx_gt_u32_e32 8, v46
; %bb.142:                              ;   in Loop: Header=BB292_10 Depth=1
	v_ffbh_u32_e32 v3, v3
	v_min_u32_e32 v3, 32, v3
	v_subrev_nc_u32_e32 v45, 28, v3
	v_lshlrev_b64 v[46:47], v45, v[11:12]
	v_sub_nc_u32_e32 v45, 29, v3
	v_and_b32_e32 v3, 7, v46
; %bb.143:                              ;   in Loop: Header=BB292_10 Depth=1
	s_or_b32 exec_lo, exec_lo, s42
	v_lshlrev_b32_e32 v46, 8, v11
	v_lshl_add_u32 v45, v45, 10, 0x2000
	v_lshlrev_b32_e32 v3, 7, v3
	v_and_b32_e32 v46, 0x8000, v46
	v_and_b32_e32 v45, 0xfc00, v45
	v_or3_b32 v45, v46, v45, v3
.LBB292_144:                            ;   in Loop: Header=BB292_10 Depth=1
	s_or_b32 exec_lo, exec_lo, s41
.LBB292_145:                            ;   in Loop: Header=BB292_10 Depth=1
	s_or_b32 exec_lo, exec_lo, s40
.LBB292_146:                            ;   in Loop: Header=BB292_10 Depth=1
	s_or_b32 exec_lo, exec_lo, s3
	v_lshrrev_b16 v3, 8, v11
	s_mov_b32 s3, exec_lo
	v_cmpx_ne_u16_e32 0, v3
	s_cbranch_execz .LBB292_154
; %bb.147:                              ;   in Loop: Header=BB292_10 Depth=1
	v_bfrev_b32_e32 v44, 1
	s_mov_b32 s40, exec_lo
	v_cmpx_ne_u16_e32 0x80, v3
	s_cbranch_execz .LBB292_153
; %bb.148:                              ;   in Loop: Header=BB292_10 Depth=1
	v_and_b32_sdwa v47, v3, v23 dst_sel:DWORD dst_unused:UNUSED_PAD src0_sel:WORD_0 src1_sel:DWORD
	v_mov_b32_e32 v44, 0x7c010000
	s_mov_b32 s41, exec_lo
	v_cmpx_ne_u32_e32 0x7f, v47
	s_cbranch_execz .LBB292_152
; %bb.149:                              ;   in Loop: Header=BB292_10 Depth=1
	v_and_b32_sdwa v44, v3, v24 dst_sel:DWORD dst_unused:UNUSED_PAD src0_sel:WORD_0 src1_sel:DWORD
	v_lshrrev_b32_e32 v46, 3, v47
	s_mov_b32 s42, exec_lo
	v_cmpx_gt_u32_e32 8, v47
; %bb.150:                              ;   in Loop: Header=BB292_10 Depth=1
	v_ffbh_u32_e32 v44, v44
	v_min_u32_e32 v44, 32, v44
	v_subrev_nc_u32_e32 v46, 28, v44
	v_lshlrev_b64 v[47:48], v46, v[3:4]
	v_sub_nc_u32_e32 v46, 29, v44
	v_and_b32_e32 v44, 7, v47
; %bb.151:                              ;   in Loop: Header=BB292_10 Depth=1
	s_or_b32 exec_lo, exec_lo, s42
	v_lshlrev_b32_sdwa v3, v25, v3 dst_sel:DWORD dst_unused:UNUSED_PAD src0_sel:DWORD src1_sel:WORD_0
	v_lshl_add_u32 v46, v46, 10, 0x2000
	v_lshlrev_b32_e32 v44, 23, v44
	v_and_or_b32 v3, 0x8000, v3, v46
	v_lshl_or_b32 v44, v3, 16, v44
.LBB292_152:                            ;   in Loop: Header=BB292_10 Depth=1
	s_or_b32 exec_lo, exec_lo, s41
.LBB292_153:                            ;   in Loop: Header=BB292_10 Depth=1
	s_or_b32 exec_lo, exec_lo, s40
.LBB292_154:                            ;   in Loop: Header=BB292_10 Depth=1
	s_or_b32 exec_lo, exec_lo, s3
	v_lshrrev_b32_e32 v3, 16, v11
	v_mov_b32_e32 v46, 0
	v_mov_b32_e32 v47, 0
	v_cmp_ne_u16_sdwa s2, v3, v4 src0_sel:BYTE_0 src1_sel:DWORD
	s_and_saveexec_b32 s3, s2
	s_cbranch_execz .LBB292_162
; %bb.155:                              ;   in Loop: Header=BB292_10 Depth=1
	v_cmp_ne_u16_sdwa s2, v3, v22 src0_sel:BYTE_0 src1_sel:DWORD
	v_mov_b32_e32 v47, 0x8000
	s_and_saveexec_b32 s40, s2
	s_cbranch_execz .LBB292_161
; %bb.156:                              ;   in Loop: Header=BB292_10 Depth=1
	v_bfe_u32 v49, v11, 16, 7
	v_mov_b32_e32 v47, 0x7c01
	s_mov_b32 s41, exec_lo
	v_cmpx_ne_u32_e32 0x7f, v49
	s_cbranch_execz .LBB292_160
; %bb.157:                              ;   in Loop: Header=BB292_10 Depth=1
	v_and_b32_e32 v47, 7, v3
	v_lshrrev_b32_e32 v48, 3, v49
	s_mov_b32 s42, exec_lo
	v_cmpx_gt_u32_e32 8, v49
; %bb.158:                              ;   in Loop: Header=BB292_10 Depth=1
	v_ffbh_u32_e32 v47, v47
	v_min_u32_e32 v49, 32, v47
	v_subrev_nc_u32_e32 v47, 28, v49
	v_lshlrev_b64 v[47:48], v47, v[3:4]
	v_sub_nc_u32_e32 v48, 29, v49
	v_and_b32_e32 v47, 7, v47
; %bb.159:                              ;   in Loop: Header=BB292_10 Depth=1
	s_or_b32 exec_lo, exec_lo, s42
	v_lshlrev_b32_e32 v3, 8, v3
	v_lshl_add_u32 v48, v48, 10, 0x2000
	v_lshlrev_b32_e32 v47, 7, v47
	v_and_b32_e32 v3, 0x8000, v3
	v_and_b32_e32 v48, 0xfc00, v48
	v_or3_b32 v47, v3, v48, v47
.LBB292_160:                            ;   in Loop: Header=BB292_10 Depth=1
	s_or_b32 exec_lo, exec_lo, s41
.LBB292_161:                            ;   in Loop: Header=BB292_10 Depth=1
	s_or_b32 exec_lo, exec_lo, s40
.LBB292_162:                            ;   in Loop: Header=BB292_10 Depth=1
	s_or_b32 exec_lo, exec_lo, s3
	s_mov_b32 s3, exec_lo
	v_cmpx_lt_u32_e32 0xffffff, v11
	s_cbranch_execz .LBB292_170
; %bb.163:                              ;   in Loop: Header=BB292_10 Depth=1
	v_lshrrev_b32_e32 v3, 24, v11
	v_bfrev_b32_e32 v46, 1
	s_mov_b32 s40, exec_lo
	v_cmpx_ne_u32_e32 0x80, v3
	s_cbranch_execz .LBB292_169
; %bb.164:                              ;   in Loop: Header=BB292_10 Depth=1
	v_and_b32_e32 v48, 0x7f, v3
	v_mov_b32_e32 v46, 0x7c010000
	s_mov_b32 s41, exec_lo
	v_cmpx_ne_u32_e32 0x7f, v48
	s_cbranch_execz .LBB292_168
; %bb.165:                              ;   in Loop: Header=BB292_10 Depth=1
	v_and_b32_e32 v11, 7, v3
	v_lshrrev_b32_e32 v46, 3, v48
	s_mov_b32 s42, exec_lo
	v_cmpx_gt_u32_e32 8, v48
; %bb.166:                              ;   in Loop: Header=BB292_10 Depth=1
	v_ffbh_u32_e32 v11, v11
	v_min_u32_e32 v11, 32, v11
	v_subrev_nc_u32_e32 v46, 28, v11
	v_lshlrev_b64 v[48:49], v46, v[3:4]
	v_sub_nc_u32_e32 v46, 29, v11
	v_and_b32_e32 v11, 7, v48
; %bb.167:                              ;   in Loop: Header=BB292_10 Depth=1
	s_or_b32 exec_lo, exec_lo, s42
	v_lshlrev_b32_e32 v3, 8, v3
	v_lshl_add_u32 v46, v46, 10, 0x2000
	v_lshlrev_b32_e32 v11, 23, v11
	v_and_or_b32 v3, 0x8000, v3, v46
	v_lshl_or_b32 v46, v3, 16, v11
.LBB292_168:                            ;   in Loop: Header=BB292_10 Depth=1
	s_or_b32 exec_lo, exec_lo, s41
.LBB292_169:                            ;   in Loop: Header=BB292_10 Depth=1
	s_or_b32 exec_lo, exec_lo, s40
.LBB292_170:                            ;   in Loop: Header=BB292_10 Depth=1
	s_or_b32 exec_lo, exec_lo, s3
	global_load_dword v11, v[9:10], off offset:520
	v_mov_b32_e32 v48, 0
	v_mov_b32_e32 v49, 0
	s_waitcnt vmcnt(0)
	v_cmp_ne_u16_sdwa s2, v11, v4 src0_sel:BYTE_0 src1_sel:DWORD
	s_and_saveexec_b32 s3, s2
	s_cbranch_execz .LBB292_178
; %bb.171:                              ;   in Loop: Header=BB292_10 Depth=1
	v_cmp_ne_u16_sdwa s2, v11, v22 src0_sel:BYTE_0 src1_sel:DWORD
	v_mov_b32_e32 v49, 0x8000
	s_and_saveexec_b32 s40, s2
	s_cbranch_execz .LBB292_177
; %bb.172:                              ;   in Loop: Header=BB292_10 Depth=1
	v_and_b32_e32 v50, 0x7f, v11
	v_mov_b32_e32 v49, 0x7c01
	s_mov_b32 s41, exec_lo
	v_cmpx_ne_u32_e32 0x7f, v50
	s_cbranch_execz .LBB292_176
; %bb.173:                              ;   in Loop: Header=BB292_10 Depth=1
	v_and_b32_e32 v3, 7, v11
	v_lshrrev_b32_e32 v49, 3, v50
	s_mov_b32 s42, exec_lo
	v_cmpx_gt_u32_e32 8, v50
; %bb.174:                              ;   in Loop: Header=BB292_10 Depth=1
	v_ffbh_u32_e32 v3, v3
	v_min_u32_e32 v3, 32, v3
	v_subrev_nc_u32_e32 v49, 28, v3
	v_lshlrev_b64 v[50:51], v49, v[11:12]
	v_sub_nc_u32_e32 v49, 29, v3
	v_and_b32_e32 v3, 7, v50
; %bb.175:                              ;   in Loop: Header=BB292_10 Depth=1
	s_or_b32 exec_lo, exec_lo, s42
	v_lshlrev_b32_e32 v50, 8, v11
	v_lshl_add_u32 v49, v49, 10, 0x2000
	v_lshlrev_b32_e32 v3, 7, v3
	v_and_b32_e32 v50, 0x8000, v50
	v_and_b32_e32 v49, 0xfc00, v49
	v_or3_b32 v49, v50, v49, v3
.LBB292_176:                            ;   in Loop: Header=BB292_10 Depth=1
	s_or_b32 exec_lo, exec_lo, s41
.LBB292_177:                            ;   in Loop: Header=BB292_10 Depth=1
	s_or_b32 exec_lo, exec_lo, s40
.LBB292_178:                            ;   in Loop: Header=BB292_10 Depth=1
	s_or_b32 exec_lo, exec_lo, s3
	v_lshrrev_b16 v3, 8, v11
	s_mov_b32 s3, exec_lo
	v_cmpx_ne_u16_e32 0, v3
	s_cbranch_execz .LBB292_186
; %bb.179:                              ;   in Loop: Header=BB292_10 Depth=1
	v_bfrev_b32_e32 v48, 1
	s_mov_b32 s40, exec_lo
	v_cmpx_ne_u16_e32 0x80, v3
	s_cbranch_execz .LBB292_185
; %bb.180:                              ;   in Loop: Header=BB292_10 Depth=1
	v_and_b32_sdwa v51, v3, v23 dst_sel:DWORD dst_unused:UNUSED_PAD src0_sel:WORD_0 src1_sel:DWORD
	v_mov_b32_e32 v48, 0x7c010000
	s_mov_b32 s41, exec_lo
	v_cmpx_ne_u32_e32 0x7f, v51
	s_cbranch_execz .LBB292_184
; %bb.181:                              ;   in Loop: Header=BB292_10 Depth=1
	v_and_b32_sdwa v48, v3, v24 dst_sel:DWORD dst_unused:UNUSED_PAD src0_sel:WORD_0 src1_sel:DWORD
	v_lshrrev_b32_e32 v50, 3, v51
	s_mov_b32 s42, exec_lo
	v_cmpx_gt_u32_e32 8, v51
; %bb.182:                              ;   in Loop: Header=BB292_10 Depth=1
	v_ffbh_u32_e32 v48, v48
	v_min_u32_e32 v48, 32, v48
	v_subrev_nc_u32_e32 v50, 28, v48
	v_lshlrev_b64 v[51:52], v50, v[3:4]
	v_sub_nc_u32_e32 v50, 29, v48
	v_and_b32_e32 v48, 7, v51
; %bb.183:                              ;   in Loop: Header=BB292_10 Depth=1
	s_or_b32 exec_lo, exec_lo, s42
	v_lshlrev_b32_sdwa v3, v25, v3 dst_sel:DWORD dst_unused:UNUSED_PAD src0_sel:DWORD src1_sel:WORD_0
	v_lshl_add_u32 v50, v50, 10, 0x2000
	v_lshlrev_b32_e32 v48, 23, v48
	v_and_or_b32 v3, 0x8000, v3, v50
	v_lshl_or_b32 v48, v3, 16, v48
.LBB292_184:                            ;   in Loop: Header=BB292_10 Depth=1
	s_or_b32 exec_lo, exec_lo, s41
.LBB292_185:                            ;   in Loop: Header=BB292_10 Depth=1
	s_or_b32 exec_lo, exec_lo, s40
.LBB292_186:                            ;   in Loop: Header=BB292_10 Depth=1
	s_or_b32 exec_lo, exec_lo, s3
	v_lshrrev_b32_e32 v3, 16, v11
	v_mov_b32_e32 v50, 0
	v_mov_b32_e32 v51, 0
	v_cmp_ne_u16_sdwa s2, v3, v4 src0_sel:BYTE_0 src1_sel:DWORD
	s_and_saveexec_b32 s3, s2
	s_cbranch_execz .LBB292_194
; %bb.187:                              ;   in Loop: Header=BB292_10 Depth=1
	v_cmp_ne_u16_sdwa s2, v3, v22 src0_sel:BYTE_0 src1_sel:DWORD
	v_mov_b32_e32 v51, 0x8000
	s_and_saveexec_b32 s40, s2
	s_cbranch_execz .LBB292_193
; %bb.188:                              ;   in Loop: Header=BB292_10 Depth=1
	v_bfe_u32 v53, v11, 16, 7
	v_mov_b32_e32 v51, 0x7c01
	s_mov_b32 s41, exec_lo
	v_cmpx_ne_u32_e32 0x7f, v53
	s_cbranch_execz .LBB292_192
; %bb.189:                              ;   in Loop: Header=BB292_10 Depth=1
	v_and_b32_e32 v51, 7, v3
	v_lshrrev_b32_e32 v52, 3, v53
	s_mov_b32 s42, exec_lo
	v_cmpx_gt_u32_e32 8, v53
; %bb.190:                              ;   in Loop: Header=BB292_10 Depth=1
	v_ffbh_u32_e32 v51, v51
	v_min_u32_e32 v53, 32, v51
	v_subrev_nc_u32_e32 v51, 28, v53
	v_lshlrev_b64 v[51:52], v51, v[3:4]
	v_sub_nc_u32_e32 v52, 29, v53
	v_and_b32_e32 v51, 7, v51
; %bb.191:                              ;   in Loop: Header=BB292_10 Depth=1
	s_or_b32 exec_lo, exec_lo, s42
	v_lshlrev_b32_e32 v3, 8, v3
	v_lshl_add_u32 v52, v52, 10, 0x2000
	v_lshlrev_b32_e32 v51, 7, v51
	v_and_b32_e32 v3, 0x8000, v3
	v_and_b32_e32 v52, 0xfc00, v52
	v_or3_b32 v51, v3, v52, v51
.LBB292_192:                            ;   in Loop: Header=BB292_10 Depth=1
	s_or_b32 exec_lo, exec_lo, s41
.LBB292_193:                            ;   in Loop: Header=BB292_10 Depth=1
	s_or_b32 exec_lo, exec_lo, s40
.LBB292_194:                            ;   in Loop: Header=BB292_10 Depth=1
	s_or_b32 exec_lo, exec_lo, s3
	s_mov_b32 s3, exec_lo
	v_cmpx_lt_u32_e32 0xffffff, v11
	s_cbranch_execz .LBB292_202
; %bb.195:                              ;   in Loop: Header=BB292_10 Depth=1
	v_lshrrev_b32_e32 v3, 24, v11
	v_bfrev_b32_e32 v50, 1
	s_mov_b32 s40, exec_lo
	v_cmpx_ne_u32_e32 0x80, v3
	s_cbranch_execz .LBB292_201
; %bb.196:                              ;   in Loop: Header=BB292_10 Depth=1
	v_and_b32_e32 v52, 0x7f, v3
	v_mov_b32_e32 v50, 0x7c010000
	s_mov_b32 s41, exec_lo
	v_cmpx_ne_u32_e32 0x7f, v52
	s_cbranch_execz .LBB292_200
; %bb.197:                              ;   in Loop: Header=BB292_10 Depth=1
	v_and_b32_e32 v11, 7, v3
	v_lshrrev_b32_e32 v50, 3, v52
	s_mov_b32 s42, exec_lo
	v_cmpx_gt_u32_e32 8, v52
; %bb.198:                              ;   in Loop: Header=BB292_10 Depth=1
	v_ffbh_u32_e32 v11, v11
	v_min_u32_e32 v11, 32, v11
	v_subrev_nc_u32_e32 v50, 28, v11
	v_lshlrev_b64 v[52:53], v50, v[3:4]
	v_sub_nc_u32_e32 v50, 29, v11
	v_and_b32_e32 v11, 7, v52
; %bb.199:                              ;   in Loop: Header=BB292_10 Depth=1
	s_or_b32 exec_lo, exec_lo, s42
	v_lshlrev_b32_e32 v3, 8, v3
	v_lshl_add_u32 v50, v50, 10, 0x2000
	v_lshlrev_b32_e32 v11, 23, v11
	v_and_or_b32 v3, 0x8000, v3, v50
	v_lshl_or_b32 v50, v3, 16, v11
.LBB292_200:                            ;   in Loop: Header=BB292_10 Depth=1
	s_or_b32 exec_lo, exec_lo, s41
.LBB292_201:                            ;   in Loop: Header=BB292_10 Depth=1
	s_or_b32 exec_lo, exec_lo, s40
.LBB292_202:                            ;   in Loop: Header=BB292_10 Depth=1
	s_or_b32 exec_lo, exec_lo, s3
	global_load_dword v11, v[9:10], off offset:768
	v_mov_b32_e32 v52, 0
	v_mov_b32_e32 v53, 0
	s_waitcnt vmcnt(0)
	v_cmp_ne_u16_sdwa s2, v11, v4 src0_sel:BYTE_0 src1_sel:DWORD
	s_and_saveexec_b32 s3, s2
	s_cbranch_execz .LBB292_210
; %bb.203:                              ;   in Loop: Header=BB292_10 Depth=1
	v_cmp_ne_u16_sdwa s2, v11, v22 src0_sel:BYTE_0 src1_sel:DWORD
	v_mov_b32_e32 v53, 0x8000
	s_and_saveexec_b32 s40, s2
	s_cbranch_execz .LBB292_209
; %bb.204:                              ;   in Loop: Header=BB292_10 Depth=1
	v_and_b32_e32 v54, 0x7f, v11
	v_mov_b32_e32 v53, 0x7c01
	s_mov_b32 s41, exec_lo
	v_cmpx_ne_u32_e32 0x7f, v54
	s_cbranch_execz .LBB292_208
; %bb.205:                              ;   in Loop: Header=BB292_10 Depth=1
	v_and_b32_e32 v3, 7, v11
	v_lshrrev_b32_e32 v53, 3, v54
	s_mov_b32 s42, exec_lo
	v_cmpx_gt_u32_e32 8, v54
; %bb.206:                              ;   in Loop: Header=BB292_10 Depth=1
	v_ffbh_u32_e32 v3, v3
	v_min_u32_e32 v3, 32, v3
	v_subrev_nc_u32_e32 v53, 28, v3
	v_lshlrev_b64 v[54:55], v53, v[11:12]
	v_sub_nc_u32_e32 v53, 29, v3
	v_and_b32_e32 v3, 7, v54
; %bb.207:                              ;   in Loop: Header=BB292_10 Depth=1
	s_or_b32 exec_lo, exec_lo, s42
	v_lshlrev_b32_e32 v54, 8, v11
	v_lshl_add_u32 v53, v53, 10, 0x2000
	v_lshlrev_b32_e32 v3, 7, v3
	v_and_b32_e32 v54, 0x8000, v54
	v_and_b32_e32 v53, 0xfc00, v53
	v_or3_b32 v53, v54, v53, v3
.LBB292_208:                            ;   in Loop: Header=BB292_10 Depth=1
	s_or_b32 exec_lo, exec_lo, s41
.LBB292_209:                            ;   in Loop: Header=BB292_10 Depth=1
	s_or_b32 exec_lo, exec_lo, s40
.LBB292_210:                            ;   in Loop: Header=BB292_10 Depth=1
	s_or_b32 exec_lo, exec_lo, s3
	v_lshrrev_b16 v3, 8, v11
	s_mov_b32 s3, exec_lo
	v_cmpx_ne_u16_e32 0, v3
	s_cbranch_execz .LBB292_218
; %bb.211:                              ;   in Loop: Header=BB292_10 Depth=1
	v_bfrev_b32_e32 v52, 1
	s_mov_b32 s40, exec_lo
	v_cmpx_ne_u16_e32 0x80, v3
	s_cbranch_execz .LBB292_217
; %bb.212:                              ;   in Loop: Header=BB292_10 Depth=1
	v_and_b32_sdwa v55, v3, v23 dst_sel:DWORD dst_unused:UNUSED_PAD src0_sel:WORD_0 src1_sel:DWORD
	v_mov_b32_e32 v52, 0x7c010000
	s_mov_b32 s41, exec_lo
	v_cmpx_ne_u32_e32 0x7f, v55
	s_cbranch_execz .LBB292_216
; %bb.213:                              ;   in Loop: Header=BB292_10 Depth=1
	v_and_b32_sdwa v52, v3, v24 dst_sel:DWORD dst_unused:UNUSED_PAD src0_sel:WORD_0 src1_sel:DWORD
	v_lshrrev_b32_e32 v54, 3, v55
	s_mov_b32 s42, exec_lo
	v_cmpx_gt_u32_e32 8, v55
; %bb.214:                              ;   in Loop: Header=BB292_10 Depth=1
	v_ffbh_u32_e32 v52, v52
	v_min_u32_e32 v52, 32, v52
	v_subrev_nc_u32_e32 v54, 28, v52
	v_lshlrev_b64 v[55:56], v54, v[3:4]
	v_sub_nc_u32_e32 v54, 29, v52
	v_and_b32_e32 v52, 7, v55
; %bb.215:                              ;   in Loop: Header=BB292_10 Depth=1
	s_or_b32 exec_lo, exec_lo, s42
	v_lshlrev_b32_sdwa v3, v25, v3 dst_sel:DWORD dst_unused:UNUSED_PAD src0_sel:DWORD src1_sel:WORD_0
	v_lshl_add_u32 v54, v54, 10, 0x2000
	v_lshlrev_b32_e32 v52, 23, v52
	v_and_or_b32 v3, 0x8000, v3, v54
	v_lshl_or_b32 v52, v3, 16, v52
.LBB292_216:                            ;   in Loop: Header=BB292_10 Depth=1
	s_or_b32 exec_lo, exec_lo, s41
.LBB292_217:                            ;   in Loop: Header=BB292_10 Depth=1
	s_or_b32 exec_lo, exec_lo, s40
.LBB292_218:                            ;   in Loop: Header=BB292_10 Depth=1
	s_or_b32 exec_lo, exec_lo, s3
	v_lshrrev_b32_e32 v3, 16, v11
	v_mov_b32_e32 v54, 0
	v_mov_b32_e32 v55, 0
	v_cmp_ne_u16_sdwa s2, v3, v4 src0_sel:BYTE_0 src1_sel:DWORD
	s_and_saveexec_b32 s3, s2
	s_cbranch_execz .LBB292_226
; %bb.219:                              ;   in Loop: Header=BB292_10 Depth=1
	v_cmp_ne_u16_sdwa s2, v3, v22 src0_sel:BYTE_0 src1_sel:DWORD
	v_mov_b32_e32 v55, 0x8000
	s_and_saveexec_b32 s40, s2
	s_cbranch_execz .LBB292_225
; %bb.220:                              ;   in Loop: Header=BB292_10 Depth=1
	v_bfe_u32 v57, v11, 16, 7
	v_mov_b32_e32 v55, 0x7c01
	s_mov_b32 s41, exec_lo
	v_cmpx_ne_u32_e32 0x7f, v57
	s_cbranch_execz .LBB292_224
; %bb.221:                              ;   in Loop: Header=BB292_10 Depth=1
	v_and_b32_e32 v55, 7, v3
	v_lshrrev_b32_e32 v56, 3, v57
	s_mov_b32 s42, exec_lo
	v_cmpx_gt_u32_e32 8, v57
; %bb.222:                              ;   in Loop: Header=BB292_10 Depth=1
	v_ffbh_u32_e32 v55, v55
	v_min_u32_e32 v57, 32, v55
	v_subrev_nc_u32_e32 v55, 28, v57
	v_lshlrev_b64 v[55:56], v55, v[3:4]
	v_sub_nc_u32_e32 v56, 29, v57
	v_and_b32_e32 v55, 7, v55
; %bb.223:                              ;   in Loop: Header=BB292_10 Depth=1
	s_or_b32 exec_lo, exec_lo, s42
	v_lshlrev_b32_e32 v3, 8, v3
	v_lshl_add_u32 v56, v56, 10, 0x2000
	v_lshlrev_b32_e32 v55, 7, v55
	v_and_b32_e32 v3, 0x8000, v3
	v_and_b32_e32 v56, 0xfc00, v56
	v_or3_b32 v55, v3, v56, v55
.LBB292_224:                            ;   in Loop: Header=BB292_10 Depth=1
	s_or_b32 exec_lo, exec_lo, s41
.LBB292_225:                            ;   in Loop: Header=BB292_10 Depth=1
	s_or_b32 exec_lo, exec_lo, s40
.LBB292_226:                            ;   in Loop: Header=BB292_10 Depth=1
	s_or_b32 exec_lo, exec_lo, s3
	s_mov_b32 s3, exec_lo
	v_cmpx_lt_u32_e32 0xffffff, v11
	s_cbranch_execz .LBB292_234
; %bb.227:                              ;   in Loop: Header=BB292_10 Depth=1
	v_lshrrev_b32_e32 v3, 24, v11
	v_bfrev_b32_e32 v54, 1
	s_mov_b32 s40, exec_lo
	v_cmpx_ne_u32_e32 0x80, v3
	s_cbranch_execz .LBB292_233
; %bb.228:                              ;   in Loop: Header=BB292_10 Depth=1
	v_and_b32_e32 v56, 0x7f, v3
	v_mov_b32_e32 v54, 0x7c010000
	s_mov_b32 s41, exec_lo
	v_cmpx_ne_u32_e32 0x7f, v56
	s_cbranch_execz .LBB292_232
; %bb.229:                              ;   in Loop: Header=BB292_10 Depth=1
	v_and_b32_e32 v11, 7, v3
	v_lshrrev_b32_e32 v54, 3, v56
	s_mov_b32 s42, exec_lo
	v_cmpx_gt_u32_e32 8, v56
; %bb.230:                              ;   in Loop: Header=BB292_10 Depth=1
	v_ffbh_u32_e32 v11, v11
	v_min_u32_e32 v11, 32, v11
	v_subrev_nc_u32_e32 v54, 28, v11
	v_lshlrev_b64 v[56:57], v54, v[3:4]
	v_sub_nc_u32_e32 v54, 29, v11
	v_and_b32_e32 v11, 7, v56
; %bb.231:                              ;   in Loop: Header=BB292_10 Depth=1
	s_or_b32 exec_lo, exec_lo, s42
	v_lshlrev_b32_e32 v3, 8, v3
	v_lshl_add_u32 v54, v54, 10, 0x2000
	v_lshlrev_b32_e32 v11, 23, v11
	v_and_or_b32 v3, 0x8000, v3, v54
	v_lshl_or_b32 v54, v3, 16, v11
.LBB292_232:                            ;   in Loop: Header=BB292_10 Depth=1
	s_or_b32 exec_lo, exec_lo, s41
.LBB292_233:                            ;   in Loop: Header=BB292_10 Depth=1
	s_or_b32 exec_lo, exec_lo, s40
.LBB292_234:                            ;   in Loop: Header=BB292_10 Depth=1
	s_or_b32 exec_lo, exec_lo, s3
	global_load_dword v11, v[9:10], off offset:776
	v_mov_b32_e32 v56, 0
	v_mov_b32_e32 v57, 0
	s_waitcnt vmcnt(0)
	v_cmp_ne_u16_sdwa s2, v11, v4 src0_sel:BYTE_0 src1_sel:DWORD
	s_and_saveexec_b32 s3, s2
	s_cbranch_execz .LBB292_242
; %bb.235:                              ;   in Loop: Header=BB292_10 Depth=1
	v_cmp_ne_u16_sdwa s2, v11, v22 src0_sel:BYTE_0 src1_sel:DWORD
	v_mov_b32_e32 v57, 0x8000
	s_and_saveexec_b32 s40, s2
	s_cbranch_execz .LBB292_241
; %bb.236:                              ;   in Loop: Header=BB292_10 Depth=1
	v_and_b32_e32 v58, 0x7f, v11
	v_mov_b32_e32 v57, 0x7c01
	s_mov_b32 s41, exec_lo
	v_cmpx_ne_u32_e32 0x7f, v58
	s_cbranch_execz .LBB292_240
; %bb.237:                              ;   in Loop: Header=BB292_10 Depth=1
	v_and_b32_e32 v3, 7, v11
	v_lshrrev_b32_e32 v57, 3, v58
	s_mov_b32 s42, exec_lo
	v_cmpx_gt_u32_e32 8, v58
; %bb.238:                              ;   in Loop: Header=BB292_10 Depth=1
	v_ffbh_u32_e32 v3, v3
	v_min_u32_e32 v3, 32, v3
	v_subrev_nc_u32_e32 v57, 28, v3
	v_lshlrev_b64 v[58:59], v57, v[11:12]
	v_sub_nc_u32_e32 v57, 29, v3
	v_and_b32_e32 v3, 7, v58
; %bb.239:                              ;   in Loop: Header=BB292_10 Depth=1
	s_or_b32 exec_lo, exec_lo, s42
	v_lshlrev_b32_e32 v58, 8, v11
	v_lshl_add_u32 v57, v57, 10, 0x2000
	v_lshlrev_b32_e32 v3, 7, v3
	v_and_b32_e32 v58, 0x8000, v58
	v_and_b32_e32 v57, 0xfc00, v57
	v_or3_b32 v57, v58, v57, v3
.LBB292_240:                            ;   in Loop: Header=BB292_10 Depth=1
	s_or_b32 exec_lo, exec_lo, s41
.LBB292_241:                            ;   in Loop: Header=BB292_10 Depth=1
	s_or_b32 exec_lo, exec_lo, s40
.LBB292_242:                            ;   in Loop: Header=BB292_10 Depth=1
	s_or_b32 exec_lo, exec_lo, s3
	v_lshrrev_b16 v3, 8, v11
	s_mov_b32 s3, exec_lo
	v_cmpx_ne_u16_e32 0, v3
	s_cbranch_execz .LBB292_250
; %bb.243:                              ;   in Loop: Header=BB292_10 Depth=1
	v_bfrev_b32_e32 v56, 1
	s_mov_b32 s40, exec_lo
	v_cmpx_ne_u16_e32 0x80, v3
	s_cbranch_execz .LBB292_249
; %bb.244:                              ;   in Loop: Header=BB292_10 Depth=1
	v_and_b32_sdwa v59, v3, v23 dst_sel:DWORD dst_unused:UNUSED_PAD src0_sel:WORD_0 src1_sel:DWORD
	v_mov_b32_e32 v56, 0x7c010000
	s_mov_b32 s41, exec_lo
	v_cmpx_ne_u32_e32 0x7f, v59
	s_cbranch_execz .LBB292_248
; %bb.245:                              ;   in Loop: Header=BB292_10 Depth=1
	v_and_b32_sdwa v56, v3, v24 dst_sel:DWORD dst_unused:UNUSED_PAD src0_sel:WORD_0 src1_sel:DWORD
	v_lshrrev_b32_e32 v58, 3, v59
	s_mov_b32 s42, exec_lo
	v_cmpx_gt_u32_e32 8, v59
; %bb.246:                              ;   in Loop: Header=BB292_10 Depth=1
	v_ffbh_u32_e32 v56, v56
	v_min_u32_e32 v56, 32, v56
	v_subrev_nc_u32_e32 v58, 28, v56
	v_lshlrev_b64 v[59:60], v58, v[3:4]
	v_sub_nc_u32_e32 v58, 29, v56
	v_and_b32_e32 v56, 7, v59
; %bb.247:                              ;   in Loop: Header=BB292_10 Depth=1
	s_or_b32 exec_lo, exec_lo, s42
	v_lshlrev_b32_sdwa v3, v25, v3 dst_sel:DWORD dst_unused:UNUSED_PAD src0_sel:DWORD src1_sel:WORD_0
	v_lshl_add_u32 v58, v58, 10, 0x2000
	v_lshlrev_b32_e32 v56, 23, v56
	v_and_or_b32 v3, 0x8000, v3, v58
	v_lshl_or_b32 v56, v3, 16, v56
.LBB292_248:                            ;   in Loop: Header=BB292_10 Depth=1
	s_or_b32 exec_lo, exec_lo, s41
.LBB292_249:                            ;   in Loop: Header=BB292_10 Depth=1
	s_or_b32 exec_lo, exec_lo, s40
.LBB292_250:                            ;   in Loop: Header=BB292_10 Depth=1
	s_or_b32 exec_lo, exec_lo, s3
	v_lshrrev_b32_e32 v3, 16, v11
	v_mov_b32_e32 v58, 0
	v_mov_b32_e32 v59, 0
	v_cmp_ne_u16_sdwa s2, v3, v4 src0_sel:BYTE_0 src1_sel:DWORD
	s_and_saveexec_b32 s3, s2
	s_cbranch_execz .LBB292_258
; %bb.251:                              ;   in Loop: Header=BB292_10 Depth=1
	v_cmp_ne_u16_sdwa s2, v3, v22 src0_sel:BYTE_0 src1_sel:DWORD
	v_mov_b32_e32 v59, 0x8000
	s_and_saveexec_b32 s40, s2
	s_cbranch_execz .LBB292_257
; %bb.252:                              ;   in Loop: Header=BB292_10 Depth=1
	v_bfe_u32 v61, v11, 16, 7
	v_mov_b32_e32 v59, 0x7c01
	s_mov_b32 s41, exec_lo
	v_cmpx_ne_u32_e32 0x7f, v61
	s_cbranch_execz .LBB292_256
; %bb.253:                              ;   in Loop: Header=BB292_10 Depth=1
	v_and_b32_e32 v59, 7, v3
	v_lshrrev_b32_e32 v60, 3, v61
	s_mov_b32 s42, exec_lo
	v_cmpx_gt_u32_e32 8, v61
; %bb.254:                              ;   in Loop: Header=BB292_10 Depth=1
	v_ffbh_u32_e32 v59, v59
	v_min_u32_e32 v61, 32, v59
	v_subrev_nc_u32_e32 v59, 28, v61
	v_lshlrev_b64 v[59:60], v59, v[3:4]
	v_sub_nc_u32_e32 v60, 29, v61
	v_and_b32_e32 v59, 7, v59
; %bb.255:                              ;   in Loop: Header=BB292_10 Depth=1
	s_or_b32 exec_lo, exec_lo, s42
	v_lshlrev_b32_e32 v3, 8, v3
	v_lshl_add_u32 v60, v60, 10, 0x2000
	v_lshlrev_b32_e32 v59, 7, v59
	v_and_b32_e32 v3, 0x8000, v3
	v_and_b32_e32 v60, 0xfc00, v60
	v_or3_b32 v59, v3, v60, v59
.LBB292_256:                            ;   in Loop: Header=BB292_10 Depth=1
	s_or_b32 exec_lo, exec_lo, s41
.LBB292_257:                            ;   in Loop: Header=BB292_10 Depth=1
	s_or_b32 exec_lo, exec_lo, s40
.LBB292_258:                            ;   in Loop: Header=BB292_10 Depth=1
	s_or_b32 exec_lo, exec_lo, s3
	s_mov_b32 s3, exec_lo
	v_cmpx_lt_u32_e32 0xffffff, v11
	s_cbranch_execz .LBB292_266
; %bb.259:                              ;   in Loop: Header=BB292_10 Depth=1
	v_lshrrev_b32_e32 v3, 24, v11
	v_bfrev_b32_e32 v58, 1
	s_mov_b32 s40, exec_lo
	v_cmpx_ne_u32_e32 0x80, v3
	s_cbranch_execz .LBB292_265
; %bb.260:                              ;   in Loop: Header=BB292_10 Depth=1
	v_and_b32_e32 v60, 0x7f, v3
	v_mov_b32_e32 v58, 0x7c010000
	s_mov_b32 s41, exec_lo
	v_cmpx_ne_u32_e32 0x7f, v60
	s_cbranch_execz .LBB292_264
; %bb.261:                              ;   in Loop: Header=BB292_10 Depth=1
	v_and_b32_e32 v11, 7, v3
	v_lshrrev_b32_e32 v58, 3, v60
	s_mov_b32 s42, exec_lo
	v_cmpx_gt_u32_e32 8, v60
; %bb.262:                              ;   in Loop: Header=BB292_10 Depth=1
	v_ffbh_u32_e32 v11, v11
	v_min_u32_e32 v11, 32, v11
	v_subrev_nc_u32_e32 v58, 28, v11
	v_lshlrev_b64 v[60:61], v58, v[3:4]
	v_sub_nc_u32_e32 v58, 29, v11
	v_and_b32_e32 v11, 7, v60
; %bb.263:                              ;   in Loop: Header=BB292_10 Depth=1
	s_or_b32 exec_lo, exec_lo, s42
	v_lshlrev_b32_e32 v3, 8, v3
	v_lshl_add_u32 v58, v58, 10, 0x2000
	v_lshlrev_b32_e32 v11, 23, v11
	v_and_or_b32 v3, 0x8000, v3, v58
	v_lshl_or_b32 v58, v3, 16, v11
.LBB292_264:                            ;   in Loop: Header=BB292_10 Depth=1
	s_or_b32 exec_lo, exec_lo, s41
.LBB292_265:                            ;   in Loop: Header=BB292_10 Depth=1
	s_or_b32 exec_lo, exec_lo, s40
.LBB292_266:                            ;   in Loop: Header=BB292_10 Depth=1
	s_or_b32 exec_lo, exec_lo, s3
	global_load_dword v11, v[9:10], off offset:1024
	v_mov_b32_e32 v60, 0
	v_mov_b32_e32 v61, 0
	s_waitcnt vmcnt(0)
	v_cmp_ne_u16_sdwa s2, v11, v4 src0_sel:BYTE_0 src1_sel:DWORD
	s_and_saveexec_b32 s3, s2
	s_cbranch_execz .LBB292_274
; %bb.267:                              ;   in Loop: Header=BB292_10 Depth=1
	v_cmp_ne_u16_sdwa s2, v11, v22 src0_sel:BYTE_0 src1_sel:DWORD
	v_mov_b32_e32 v61, 0x8000
	s_and_saveexec_b32 s40, s2
	s_cbranch_execz .LBB292_273
; %bb.268:                              ;   in Loop: Header=BB292_10 Depth=1
	v_and_b32_e32 v62, 0x7f, v11
	v_mov_b32_e32 v61, 0x7c01
	s_mov_b32 s41, exec_lo
	v_cmpx_ne_u32_e32 0x7f, v62
	s_cbranch_execz .LBB292_272
; %bb.269:                              ;   in Loop: Header=BB292_10 Depth=1
	v_and_b32_e32 v3, 7, v11
	v_lshrrev_b32_e32 v61, 3, v62
	s_mov_b32 s42, exec_lo
	v_cmpx_gt_u32_e32 8, v62
; %bb.270:                              ;   in Loop: Header=BB292_10 Depth=1
	v_ffbh_u32_e32 v3, v3
	v_min_u32_e32 v3, 32, v3
	v_subrev_nc_u32_e32 v61, 28, v3
	v_lshlrev_b64 v[62:63], v61, v[11:12]
	v_sub_nc_u32_e32 v61, 29, v3
	v_and_b32_e32 v3, 7, v62
; %bb.271:                              ;   in Loop: Header=BB292_10 Depth=1
	s_or_b32 exec_lo, exec_lo, s42
	v_lshlrev_b32_e32 v62, 8, v11
	v_lshl_add_u32 v61, v61, 10, 0x2000
	v_lshlrev_b32_e32 v3, 7, v3
	v_and_b32_e32 v62, 0x8000, v62
	v_and_b32_e32 v61, 0xfc00, v61
	v_or3_b32 v61, v62, v61, v3
.LBB292_272:                            ;   in Loop: Header=BB292_10 Depth=1
	s_or_b32 exec_lo, exec_lo, s41
.LBB292_273:                            ;   in Loop: Header=BB292_10 Depth=1
	s_or_b32 exec_lo, exec_lo, s40
.LBB292_274:                            ;   in Loop: Header=BB292_10 Depth=1
	s_or_b32 exec_lo, exec_lo, s3
	v_lshrrev_b16 v3, 8, v11
	s_mov_b32 s3, exec_lo
	v_cmpx_ne_u16_e32 0, v3
	s_cbranch_execz .LBB292_282
; %bb.275:                              ;   in Loop: Header=BB292_10 Depth=1
	v_bfrev_b32_e32 v60, 1
	s_mov_b32 s40, exec_lo
	v_cmpx_ne_u16_e32 0x80, v3
	s_cbranch_execz .LBB292_281
; %bb.276:                              ;   in Loop: Header=BB292_10 Depth=1
	v_and_b32_sdwa v63, v3, v23 dst_sel:DWORD dst_unused:UNUSED_PAD src0_sel:WORD_0 src1_sel:DWORD
	v_mov_b32_e32 v60, 0x7c010000
	s_mov_b32 s41, exec_lo
	v_cmpx_ne_u32_e32 0x7f, v63
	s_cbranch_execz .LBB292_280
; %bb.277:                              ;   in Loop: Header=BB292_10 Depth=1
	v_and_b32_sdwa v60, v3, v24 dst_sel:DWORD dst_unused:UNUSED_PAD src0_sel:WORD_0 src1_sel:DWORD
	v_lshrrev_b32_e32 v62, 3, v63
	s_mov_b32 s42, exec_lo
	v_cmpx_gt_u32_e32 8, v63
; %bb.278:                              ;   in Loop: Header=BB292_10 Depth=1
	v_ffbh_u32_e32 v60, v60
	v_min_u32_e32 v60, 32, v60
	v_subrev_nc_u32_e32 v62, 28, v60
	v_lshlrev_b64 v[63:64], v62, v[3:4]
	v_sub_nc_u32_e32 v62, 29, v60
	v_and_b32_e32 v60, 7, v63
; %bb.279:                              ;   in Loop: Header=BB292_10 Depth=1
	s_or_b32 exec_lo, exec_lo, s42
	v_lshlrev_b32_sdwa v3, v25, v3 dst_sel:DWORD dst_unused:UNUSED_PAD src0_sel:DWORD src1_sel:WORD_0
	v_lshl_add_u32 v62, v62, 10, 0x2000
	v_lshlrev_b32_e32 v60, 23, v60
	v_and_or_b32 v3, 0x8000, v3, v62
	v_lshl_or_b32 v60, v3, 16, v60
.LBB292_280:                            ;   in Loop: Header=BB292_10 Depth=1
	s_or_b32 exec_lo, exec_lo, s41
.LBB292_281:                            ;   in Loop: Header=BB292_10 Depth=1
	s_or_b32 exec_lo, exec_lo, s40
.LBB292_282:                            ;   in Loop: Header=BB292_10 Depth=1
	s_or_b32 exec_lo, exec_lo, s3
	v_lshrrev_b32_e32 v3, 16, v11
	v_mov_b32_e32 v62, 0
	v_mov_b32_e32 v63, 0
	v_cmp_ne_u16_sdwa s2, v3, v4 src0_sel:BYTE_0 src1_sel:DWORD
	s_and_saveexec_b32 s3, s2
	s_cbranch_execz .LBB292_290
; %bb.283:                              ;   in Loop: Header=BB292_10 Depth=1
	v_cmp_ne_u16_sdwa s2, v3, v22 src0_sel:BYTE_0 src1_sel:DWORD
	v_mov_b32_e32 v63, 0x8000
	s_and_saveexec_b32 s40, s2
	s_cbranch_execz .LBB292_289
; %bb.284:                              ;   in Loop: Header=BB292_10 Depth=1
	v_bfe_u32 v65, v11, 16, 7
	v_mov_b32_e32 v63, 0x7c01
	s_mov_b32 s41, exec_lo
	v_cmpx_ne_u32_e32 0x7f, v65
	s_cbranch_execz .LBB292_288
; %bb.285:                              ;   in Loop: Header=BB292_10 Depth=1
	v_and_b32_e32 v63, 7, v3
	v_lshrrev_b32_e32 v64, 3, v65
	s_mov_b32 s42, exec_lo
	v_cmpx_gt_u32_e32 8, v65
; %bb.286:                              ;   in Loop: Header=BB292_10 Depth=1
	v_ffbh_u32_e32 v63, v63
	v_min_u32_e32 v65, 32, v63
	v_subrev_nc_u32_e32 v63, 28, v65
	v_lshlrev_b64 v[63:64], v63, v[3:4]
	v_sub_nc_u32_e32 v64, 29, v65
	v_and_b32_e32 v63, 7, v63
; %bb.287:                              ;   in Loop: Header=BB292_10 Depth=1
	s_or_b32 exec_lo, exec_lo, s42
	v_lshlrev_b32_e32 v3, 8, v3
	v_lshl_add_u32 v64, v64, 10, 0x2000
	v_lshlrev_b32_e32 v63, 7, v63
	v_and_b32_e32 v3, 0x8000, v3
	v_and_b32_e32 v64, 0xfc00, v64
	v_or3_b32 v63, v3, v64, v63
.LBB292_288:                            ;   in Loop: Header=BB292_10 Depth=1
	s_or_b32 exec_lo, exec_lo, s41
.LBB292_289:                            ;   in Loop: Header=BB292_10 Depth=1
	s_or_b32 exec_lo, exec_lo, s40
.LBB292_290:                            ;   in Loop: Header=BB292_10 Depth=1
	s_or_b32 exec_lo, exec_lo, s3
	s_mov_b32 s3, exec_lo
	v_cmpx_lt_u32_e32 0xffffff, v11
	s_cbranch_execz .LBB292_298
; %bb.291:                              ;   in Loop: Header=BB292_10 Depth=1
	v_lshrrev_b32_e32 v3, 24, v11
	v_bfrev_b32_e32 v62, 1
	s_mov_b32 s40, exec_lo
	v_cmpx_ne_u32_e32 0x80, v3
	s_cbranch_execz .LBB292_297
; %bb.292:                              ;   in Loop: Header=BB292_10 Depth=1
	v_and_b32_e32 v64, 0x7f, v3
	v_mov_b32_e32 v62, 0x7c010000
	s_mov_b32 s41, exec_lo
	v_cmpx_ne_u32_e32 0x7f, v64
	s_cbranch_execz .LBB292_296
; %bb.293:                              ;   in Loop: Header=BB292_10 Depth=1
	v_and_b32_e32 v11, 7, v3
	v_lshrrev_b32_e32 v62, 3, v64
	s_mov_b32 s42, exec_lo
	v_cmpx_gt_u32_e32 8, v64
; %bb.294:                              ;   in Loop: Header=BB292_10 Depth=1
	v_ffbh_u32_e32 v11, v11
	v_min_u32_e32 v11, 32, v11
	v_subrev_nc_u32_e32 v62, 28, v11
	v_lshlrev_b64 v[64:65], v62, v[3:4]
	v_sub_nc_u32_e32 v62, 29, v11
	v_and_b32_e32 v11, 7, v64
; %bb.295:                              ;   in Loop: Header=BB292_10 Depth=1
	s_or_b32 exec_lo, exec_lo, s42
	v_lshlrev_b32_e32 v3, 8, v3
	v_lshl_add_u32 v62, v62, 10, 0x2000
	v_lshlrev_b32_e32 v11, 23, v11
	v_and_or_b32 v3, 0x8000, v3, v62
	v_lshl_or_b32 v62, v3, 16, v11
.LBB292_296:                            ;   in Loop: Header=BB292_10 Depth=1
	s_or_b32 exec_lo, exec_lo, s41
.LBB292_297:                            ;   in Loop: Header=BB292_10 Depth=1
	s_or_b32 exec_lo, exec_lo, s40
.LBB292_298:                            ;   in Loop: Header=BB292_10 Depth=1
	s_or_b32 exec_lo, exec_lo, s3
	global_load_dword v9, v[9:10], off offset:1032
	v_mov_b32_e32 v10, 0
	v_mov_b32_e32 v11, 0
	s_waitcnt vmcnt(0)
	v_cmp_ne_u16_sdwa s2, v9, v4 src0_sel:BYTE_0 src1_sel:DWORD
	s_and_saveexec_b32 s3, s2
	s_cbranch_execz .LBB292_306
; %bb.299:                              ;   in Loop: Header=BB292_10 Depth=1
	v_cmp_ne_u16_sdwa s2, v9, v22 src0_sel:BYTE_0 src1_sel:DWORD
	v_mov_b32_e32 v11, 0x8000
	s_and_saveexec_b32 s40, s2
	s_cbranch_execz .LBB292_305
; %bb.300:                              ;   in Loop: Header=BB292_10 Depth=1
	v_and_b32_e32 v64, 0x7f, v9
	v_mov_b32_e32 v11, 0x7c01
	s_mov_b32 s41, exec_lo
	v_cmpx_ne_u32_e32 0x7f, v64
	s_cbranch_execz .LBB292_304
; %bb.301:                              ;   in Loop: Header=BB292_10 Depth=1
	v_and_b32_e32 v3, 7, v9
	v_lshrrev_b32_e32 v11, 3, v64
	s_mov_b32 s42, exec_lo
	v_cmpx_gt_u32_e32 8, v64
; %bb.302:                              ;   in Loop: Header=BB292_10 Depth=1
	v_ffbh_u32_e32 v3, v3
	v_min_u32_e32 v3, 32, v3
	v_subrev_nc_u32_e32 v11, 28, v3
	v_lshlrev_b64 v[64:65], v11, v[9:10]
	v_sub_nc_u32_e32 v11, 29, v3
	v_and_b32_e32 v3, 7, v64
; %bb.303:                              ;   in Loop: Header=BB292_10 Depth=1
	s_or_b32 exec_lo, exec_lo, s42
	v_lshlrev_b32_e32 v64, 8, v9
	v_lshl_add_u32 v11, v11, 10, 0x2000
	v_lshlrev_b32_e32 v3, 7, v3
	v_and_b32_e32 v64, 0x8000, v64
	v_and_b32_e32 v11, 0xfc00, v11
	v_or3_b32 v11, v64, v11, v3
.LBB292_304:                            ;   in Loop: Header=BB292_10 Depth=1
	s_or_b32 exec_lo, exec_lo, s41
.LBB292_305:                            ;   in Loop: Header=BB292_10 Depth=1
	s_or_b32 exec_lo, exec_lo, s40
.LBB292_306:                            ;   in Loop: Header=BB292_10 Depth=1
	s_or_b32 exec_lo, exec_lo, s3
	v_lshrrev_b16 v3, 8, v9
	s_mov_b32 s3, exec_lo
	v_cmpx_ne_u16_e32 0, v3
	s_cbranch_execz .LBB292_314
; %bb.307:                              ;   in Loop: Header=BB292_10 Depth=1
	v_bfrev_b32_e32 v10, 1
	s_mov_b32 s40, exec_lo
	v_cmpx_ne_u16_e32 0x80, v3
	s_cbranch_execz .LBB292_313
; %bb.308:                              ;   in Loop: Header=BB292_10 Depth=1
	v_and_b32_sdwa v65, v3, v23 dst_sel:DWORD dst_unused:UNUSED_PAD src0_sel:WORD_0 src1_sel:DWORD
	v_mov_b32_e32 v10, 0x7c010000
	s_mov_b32 s41, exec_lo
	v_cmpx_ne_u32_e32 0x7f, v65
	s_cbranch_execz .LBB292_312
; %bb.309:                              ;   in Loop: Header=BB292_10 Depth=1
	v_and_b32_sdwa v10, v3, v24 dst_sel:DWORD dst_unused:UNUSED_PAD src0_sel:WORD_0 src1_sel:DWORD
	v_lshrrev_b32_e32 v64, 3, v65
	s_mov_b32 s42, exec_lo
	v_cmpx_gt_u32_e32 8, v65
; %bb.310:                              ;   in Loop: Header=BB292_10 Depth=1
	v_ffbh_u32_e32 v10, v10
	v_min_u32_e32 v10, 32, v10
	v_subrev_nc_u32_e32 v64, 28, v10
	v_lshlrev_b64 v[65:66], v64, v[3:4]
	v_sub_nc_u32_e32 v64, 29, v10
	v_and_b32_e32 v10, 7, v65
; %bb.311:                              ;   in Loop: Header=BB292_10 Depth=1
	s_or_b32 exec_lo, exec_lo, s42
	v_lshlrev_b32_sdwa v3, v25, v3 dst_sel:DWORD dst_unused:UNUSED_PAD src0_sel:DWORD src1_sel:WORD_0
	v_lshl_add_u32 v64, v64, 10, 0x2000
	v_lshlrev_b32_e32 v10, 23, v10
	v_and_or_b32 v3, 0x8000, v3, v64
	v_lshl_or_b32 v10, v3, 16, v10
.LBB292_312:                            ;   in Loop: Header=BB292_10 Depth=1
	s_or_b32 exec_lo, exec_lo, s41
.LBB292_313:                            ;   in Loop: Header=BB292_10 Depth=1
	s_or_b32 exec_lo, exec_lo, s40
.LBB292_314:                            ;   in Loop: Header=BB292_10 Depth=1
	s_or_b32 exec_lo, exec_lo, s3
	v_lshrrev_b32_e32 v3, 16, v9
	v_mov_b32_e32 v64, 0
	v_mov_b32_e32 v65, 0
	v_cmp_ne_u16_sdwa s2, v3, v4 src0_sel:BYTE_0 src1_sel:DWORD
	s_and_saveexec_b32 s3, s2
	s_cbranch_execz .LBB292_322
; %bb.315:                              ;   in Loop: Header=BB292_10 Depth=1
	v_cmp_ne_u16_sdwa s2, v3, v22 src0_sel:BYTE_0 src1_sel:DWORD
	v_mov_b32_e32 v65, 0x8000
	s_and_saveexec_b32 s40, s2
	s_cbranch_execz .LBB292_321
; %bb.316:                              ;   in Loop: Header=BB292_10 Depth=1
	v_bfe_u32 v67, v9, 16, 7
	v_mov_b32_e32 v65, 0x7c01
	s_mov_b32 s41, exec_lo
	v_cmpx_ne_u32_e32 0x7f, v67
	s_cbranch_execz .LBB292_320
; %bb.317:                              ;   in Loop: Header=BB292_10 Depth=1
	v_and_b32_e32 v65, 7, v3
	v_lshrrev_b32_e32 v66, 3, v67
	s_mov_b32 s42, exec_lo
	v_cmpx_gt_u32_e32 8, v67
; %bb.318:                              ;   in Loop: Header=BB292_10 Depth=1
	v_ffbh_u32_e32 v65, v65
	v_min_u32_e32 v67, 32, v65
	v_subrev_nc_u32_e32 v65, 28, v67
	v_lshlrev_b64 v[65:66], v65, v[3:4]
	v_sub_nc_u32_e32 v66, 29, v67
	v_and_b32_e32 v65, 7, v65
; %bb.319:                              ;   in Loop: Header=BB292_10 Depth=1
	s_or_b32 exec_lo, exec_lo, s42
	v_lshlrev_b32_e32 v3, 8, v3
	v_lshl_add_u32 v66, v66, 10, 0x2000
	v_lshlrev_b32_e32 v65, 7, v65
	v_and_b32_e32 v3, 0x8000, v3
	v_and_b32_e32 v66, 0xfc00, v66
	v_or3_b32 v65, v3, v66, v65
.LBB292_320:                            ;   in Loop: Header=BB292_10 Depth=1
	s_or_b32 exec_lo, exec_lo, s41
.LBB292_321:                            ;   in Loop: Header=BB292_10 Depth=1
	s_or_b32 exec_lo, exec_lo, s40
.LBB292_322:                            ;   in Loop: Header=BB292_10 Depth=1
	s_or_b32 exec_lo, exec_lo, s3
	s_mov_b32 s3, exec_lo
	v_cmpx_lt_u32_e32 0xffffff, v9
	s_cbranch_execz .LBB292_330
; %bb.323:                              ;   in Loop: Header=BB292_10 Depth=1
	v_lshrrev_b32_e32 v3, 24, v9
	v_bfrev_b32_e32 v64, 1
	s_mov_b32 s40, exec_lo
	v_cmpx_ne_u32_e32 0x80, v3
	s_cbranch_execz .LBB292_329
; %bb.324:                              ;   in Loop: Header=BB292_10 Depth=1
	v_and_b32_e32 v66, 0x7f, v3
	v_mov_b32_e32 v64, 0x7c010000
	s_mov_b32 s41, exec_lo
	v_cmpx_ne_u32_e32 0x7f, v66
	s_cbranch_execz .LBB292_328
; %bb.325:                              ;   in Loop: Header=BB292_10 Depth=1
	v_and_b32_e32 v9, 7, v3
	v_lshrrev_b32_e32 v64, 3, v66
	s_mov_b32 s42, exec_lo
	v_cmpx_gt_u32_e32 8, v66
; %bb.326:                              ;   in Loop: Header=BB292_10 Depth=1
	v_ffbh_u32_e32 v9, v9
	v_min_u32_e32 v9, 32, v9
	v_subrev_nc_u32_e32 v64, 28, v9
	v_lshlrev_b64 v[66:67], v64, v[3:4]
	v_sub_nc_u32_e32 v64, 29, v9
	v_and_b32_e32 v9, 7, v66
; %bb.327:                              ;   in Loop: Header=BB292_10 Depth=1
	s_or_b32 exec_lo, exec_lo, s42
	v_lshlrev_b32_e32 v3, 8, v3
	v_lshl_add_u32 v64, v64, 10, 0x2000
	v_lshlrev_b32_e32 v9, 23, v9
	v_and_or_b32 v3, 0x8000, v3, v64
	v_lshl_or_b32 v64, v3, 16, v9
.LBB292_328:                            ;   in Loop: Header=BB292_10 Depth=1
	s_or_b32 exec_lo, exec_lo, s41
.LBB292_329:                            ;   in Loop: Header=BB292_10 Depth=1
	s_or_b32 exec_lo, exec_lo, s40
.LBB292_330:                            ;   in Loop: Header=BB292_10 Depth=1
	s_or_b32 exec_lo, exec_lo, s3
	ds_read_b64 v[66:67], v19
	v_or_b32_e32 v3, v29, v28
	v_or_b32_e32 v9, v30, v31
	v_fma_mixlo_f16 v28, v27, v29, 0 op_sel:[0,1,0] op_sel_hi:[0,1,0]
	v_fma_mixlo_f16 v29, v27, v30, 0 op_sel:[0,1,0] op_sel_hi:[0,1,0]
	v_or_b32_e32 v33, v32, v33
	v_fma_mixlo_f16 v3, v27, v3, 0 op_sel_hi:[0,1,0]
	v_fma_mixlo_f16 v9, v27, v9, 0 op_sel_hi:[0,1,0]
	v_and_b32_e32 v28, 0xffff, v28
	v_and_b32_e32 v29, 0xffff, v29
	v_or_b32_e32 v35, v34, v35
	v_and_b32_e32 v3, 0xffff, v3
	v_and_b32_e32 v68, 0xffff, v9
	v_fma_mixlo_f16 v32, v27, v32, 0 op_sel:[0,1,0] op_sel_hi:[0,1,0]
	v_fma_mixlo_f16 v34, v27, v34, 0 op_sel:[0,1,0] op_sel_hi:[0,1,0]
	v_fma_mixlo_f16 v33, v27, v33, 0 op_sel_hi:[0,1,0]
	v_fma_mixlo_f16 v35, v27, v35, 0 op_sel_hi:[0,1,0]
	v_or_b32_e32 v37, v36, v37
	v_and_b32_e32 v32, 0xffff, v32
	v_and_b32_e32 v72, 0xffff, v34
	s_waitcnt lgkmcnt(0)
	v_and_b32_e32 v30, 0xffff, v66
	v_lshrrev_b32_e32 v31, 16, v66
	v_lshrrev_b32_e32 v9, 16, v67
	v_and_b32_e32 v69, 0xffff, v67
	;;#ASMSTART
	v_cvt_f32_f16 v30, v30;
	;;#ASMEND
	;;#ASMSTART
	v_cvt_f32_f16 v31, v31;
	;;#ASMEND
	;; [unrolled: 3-line block ×8, first 2 shown]
	ds_read_b64 v[68:69], v19 offset:8
	v_and_b32_e32 v33, 0xffff, v33
	v_and_b32_e32 v35, 0xffff, v35
	v_or_b32_e32 v39, v38, v39
	v_fma_mixlo_f16 v36, v27, v36, 0 op_sel:[0,1,0] op_sel_hi:[0,1,0]
	v_fma_mixlo_f16 v38, v27, v38, 0 op_sel:[0,1,0] op_sel_hi:[0,1,0]
	v_fma_mixlo_f16 v37, v27, v37, 0 op_sel_hi:[0,1,0]
	v_or_b32_e32 v41, v40, v41
	v_fma_mixlo_f16 v39, v27, v39, 0 op_sel_hi:[0,1,0]
	v_or_b32_e32 v43, v42, v43
	v_and_b32_e32 v75, 0xffff, v38
	v_and_b32_e32 v38, 0xffff, v37
	v_fma_mixlo_f16 v40, v27, v40, 0 op_sel:[0,1,0] op_sel_hi:[0,1,0]
	v_and_b32_e32 v76, 0xffff, v39
	v_fma_mixlo_f16 v42, v27, v42, 0 op_sel:[0,1,0] op_sel_hi:[0,1,0]
	v_fma_mixlo_f16 v41, v27, v41, 0 op_sel_hi:[0,1,0]
	v_fma_mixlo_f16 v43, v27, v43, 0 op_sel_hi:[0,1,0]
	v_and_b32_e32 v78, 0xffff, v40
	v_or_b32_e32 v45, v44, v45
	v_and_b32_e32 v79, 0xffff, v42
	s_waitcnt lgkmcnt(0)
	v_and_b32_e32 v34, 0xffff, v68
	v_lshrrev_b32_e32 v68, 16, v68
	v_lshrrev_b32_e32 v73, 16, v69
	v_and_b32_e32 v74, 0xffff, v69
	;;#ASMSTART
	v_cvt_f32_f16 v69, v34;
	;;#ASMEND
	;;#ASMSTART
	v_cvt_f32_f16 v68, v68;
	;;#ASMEND
	;; [unrolled: 3-line block ×8, first 2 shown]
	ds_read_b64 v[72:73], v19 offset:16
	v_and_b32_e32 v74, 0xffff, v36
	v_and_b32_e32 v42, 0xffff, v41
	;; [unrolled: 1-line block ×3, first 2 shown]
	v_or_b32_e32 v47, v46, v47
	v_fma_mixlo_f16 v44, v27, v44, 0 op_sel:[0,1,0] op_sel_hi:[0,1,0]
	v_fma_mixlo_f16 v46, v27, v46, 0 op_sel:[0,1,0] op_sel_hi:[0,1,0]
	v_fma_mixlo_f16 v45, v27, v45, 0 op_sel_hi:[0,1,0]
	v_or_b32_e32 v49, v48, v49
	v_fma_mixlo_f16 v47, v27, v47, 0 op_sel_hi:[0,1,0]
	v_and_b32_e32 v44, 0xffff, v44
	v_and_b32_e32 v85, 0xffff, v46
	;; [unrolled: 1-line block ×3, first 2 shown]
	v_or_b32_e32 v51, v50, v51
	v_and_b32_e32 v84, 0xffff, v47
	v_fma_mixlo_f16 v48, v27, v48, 0 op_sel:[0,1,0] op_sel_hi:[0,1,0]
	v_fma_mixlo_f16 v50, v27, v50, 0 op_sel:[0,1,0] op_sel_hi:[0,1,0]
	v_fma_mixlo_f16 v49, v27, v49, 0 op_sel_hi:[0,1,0]
	v_fma_mixlo_f16 v51, v27, v51, 0 op_sel_hi:[0,1,0]
	v_or_b32_e32 v53, v52, v53
	s_waitcnt lgkmcnt(0)
	v_and_b32_e32 v36, 0xffff, v72
	v_lshrrev_b32_e32 v37, 16, v72
	v_lshrrev_b32_e32 v39, 16, v73
	v_and_b32_e32 v77, 0xffff, v73
	;;#ASMSTART
	v_cvt_f32_f16 v36, v36;
	;;#ASMEND
	;;#ASMSTART
	v_cvt_f32_f16 v37, v37;
	;;#ASMEND
	;; [unrolled: 3-line block ×8, first 2 shown]
	ds_read_b64 v[76:77], v19 offset:24
	v_and_b32_e32 v86, 0xffff, v48
	v_and_b32_e32 v89, 0xffff, v50
	v_and_b32_e32 v50, 0xffff, v49
	v_and_b32_e32 v88, 0xffff, v51
	v_or_b32_e32 v55, v54, v55
	v_fma_mixlo_f16 v52, v27, v52, 0 op_sel:[0,1,0] op_sel_hi:[0,1,0]
	v_fma_mixlo_f16 v54, v27, v54, 0 op_sel:[0,1,0] op_sel_hi:[0,1,0]
	v_fma_mixlo_f16 v53, v27, v53, 0 op_sel_hi:[0,1,0]
	v_or_b32_e32 v57, v56, v57
	v_fma_mixlo_f16 v55, v27, v55, 0 op_sel_hi:[0,1,0]
	v_and_b32_e32 v90, 0xffff, v52
	v_and_b32_e32 v93, 0xffff, v54
	;; [unrolled: 1-line block ×3, first 2 shown]
	v_or_b32_e32 v59, v58, v59
	v_and_b32_e32 v92, 0xffff, v55
	v_fma_mixlo_f16 v56, v27, v56, 0 op_sel:[0,1,0] op_sel_hi:[0,1,0]
	v_fma_mixlo_f16 v58, v27, v58, 0 op_sel:[0,1,0] op_sel_hi:[0,1,0]
	v_or_b32_e32 v11, v10, v11
	v_fma_mixlo_f16 v94, v27, v10, 0 op_sel:[0,1,0] op_sel_hi:[0,1,0]
	s_waitcnt lgkmcnt(0)
	v_and_b32_e32 v40, 0xffff, v76
	v_lshrrev_b32_e32 v41, 16, v76
	v_lshrrev_b32_e32 v43, 16, v77
	v_and_b32_e32 v81, 0xffff, v77
	;;#ASMSTART
	v_cvt_f32_f16 v40, v40;
	;;#ASMEND
	;;#ASMSTART
	v_cvt_f32_f16 v41, v41;
	;;#ASMEND
	;; [unrolled: 3-line block ×8, first 2 shown]
	ds_read_b64 v[80:81], v19 offset:32
	v_fma_mixlo_f16 v10, v27, v57, 0 op_sel_hi:[0,1,0]
	v_fma_mixlo_f16 v57, v27, v59, 0 op_sel_hi:[0,1,0]
	v_or_b32_e32 v61, v60, v61
	v_fma_mixlo_f16 v60, v27, v60, 0 op_sel:[0,1,0] op_sel_hi:[0,1,0]
	v_fma_mixlo_f16 v59, v27, v11, 0 op_sel_hi:[0,1,0]
	v_and_b32_e32 v11, 0xffff, v56
	v_and_b32_e32 v95, 0xffff, v58
	v_and_b32_e32 v97, 0xffff, v57
	v_mul_f32_e32 v56, v69, v71
	v_and_b32_e32 v10, 0xffff, v10
	v_mul_f32_e32 v32, v32, v34
	v_and_b32_e32 v96, 0xffff, v60
	v_mul_f32_e32 v33, v33, v35
	v_fmac_f32_e32 v56, v30, v66
	v_or_b32_e32 v63, v62, v63
	v_fmac_f32_e32 v32, v3, v28
	v_fma_mixlo_f16 v62, v27, v62, 0 op_sel:[0,1,0] op_sel_hi:[0,1,0]
	v_fmac_f32_e32 v33, v9, v29
	v_fmac_f32_e32 v56, v36, v72
	s_waitcnt lgkmcnt(0)
	v_and_b32_e32 v46, 0xffff, v80
	v_lshrrev_b32_e32 v80, 16, v80
	v_lshrrev_b32_e32 v83, 16, v81
	v_and_b32_e32 v82, 0xffff, v81
	;;#ASMSTART
	v_cvt_f32_f16 v46, v46;
	;;#ASMEND
	;;#ASMSTART
	v_cvt_f32_f16 v47, v80;
	;;#ASMEND
	;; [unrolled: 3-line block ×8, first 2 shown]
	ds_read_b64 v[44:45], v19 offset:40
	v_fmac_f32_e32 v32, v38, v74
	v_fmac_f32_e32 v56, v40, v76
	v_fma_mixlo_f16 v61, v27, v61, 0 op_sel_hi:[0,1,0]
	v_fma_mixlo_f16 v63, v27, v63, 0 op_sel_hi:[0,1,0]
	v_fmac_f32_e32 v33, v39, v75
	v_fmac_f32_e32 v32, v42, v78
	v_fmac_f32_e32 v56, v46, v80
	v_and_b32_e32 v35, 0xffff, v62
	v_and_b32_e32 v9, 0xffff, v61
	;; [unrolled: 1-line block ×3, first 2 shown]
	v_fmac_f32_e32 v32, v82, v84
	v_fmac_f32_e32 v33, v43, v79
	v_or_b32_e32 v36, v64, v65
	v_fmac_f32_e32 v33, v83, v85
	v_fma_mixlo_f16 v36, v27, v36, 0 op_sel_hi:[0,1,0]
	v_fma_mixlo_f16 v27, v27, v64, 0 op_sel:[0,1,0] op_sel_hi:[0,1,0]
	s_waitcnt lgkmcnt(0)
	v_and_b32_e32 v48, 0xffff, v44
	v_lshrrev_b32_e32 v44, 16, v44
	v_lshrrev_b32_e32 v87, 16, v45
	v_and_b32_e32 v45, 0xffff, v45
	;;#ASMSTART
	v_cvt_f32_f16 v48, v48;
	;;#ASMEND
	;;#ASMSTART
	v_cvt_f32_f16 v49, v44;
	;;#ASMEND
	;; [unrolled: 3-line block ×8, first 2 shown]
	ds_read_b64 v[44:45], v19 offset:48
	v_fmac_f32_e32 v56, v48, v50
	v_fmac_f32_e32 v32, v86, v88
	;; [unrolled: 1-line block ×3, first 2 shown]
	s_waitcnt lgkmcnt(0)
	v_and_b32_e32 v52, 0xffff, v44
	v_lshrrev_b32_e32 v44, 16, v44
	v_lshrrev_b32_e32 v91, 16, v45
	v_and_b32_e32 v45, 0xffff, v45
	;;#ASMSTART
	v_cvt_f32_f16 v52, v52;
	;;#ASMEND
	;;#ASMSTART
	v_cvt_f32_f16 v53, v44;
	;;#ASMEND
	;; [unrolled: 3-line block ×8, first 2 shown]
	ds_read_b64 v[44:45], v19 offset:56
	v_fmac_f32_e32 v56, v52, v54
	v_fmac_f32_e32 v32, v90, v92
	;; [unrolled: 1-line block ×3, first 2 shown]
	s_waitcnt lgkmcnt(0)
	v_and_b32_e32 v57, 0xffff, v44
	v_lshrrev_b32_e32 v58, 16, v44
	v_mul_f32_e32 v44, v68, v70
	v_lshrrev_b32_e32 v69, 16, v45
	v_and_b32_e32 v68, 0xffff, v45
	;;#ASMSTART
	v_cvt_f32_f16 v45, v57;
	;;#ASMEND
	;;#ASMSTART
	v_cvt_f32_f16 v57, v58;
	;;#ASMEND
	;; [unrolled: 3-line block ×8, first 2 shown]
	ds_read_b64 v[10:11], v19 offset:64
	v_fmac_f32_e32 v44, v31, v67
	v_fmac_f32_e32 v56, v45, v58
	;; [unrolled: 1-line block ×7, first 2 shown]
	s_waitcnt lgkmcnt(0)
	v_and_b32_e32 v3, 0xffff, v10
	v_lshrrev_b32_e32 v10, 16, v10
	v_lshrrev_b32_e32 v31, 16, v11
	v_and_b32_e32 v30, 0xffff, v11
	;;#ASMSTART
	v_cvt_f32_f16 v3, v3;
	;;#ASMEND
	;;#ASMSTART
	v_cvt_f32_f16 v11, v10;
	;;#ASMEND
	;; [unrolled: 3-line block ×8, first 2 shown]
	ds_read_b64 v[9:10], v19 offset:72
	v_fmac_f32_e32 v44, v49, v51
	v_fmac_f32_e32 v56, v3, v28
	;; [unrolled: 1-line block ×3, first 2 shown]
	v_and_b32_e32 v28, 0xffff, v94
	v_and_b32_e32 v30, 0xffff, v36
	v_fmac_f32_e32 v44, v53, v55
	v_fmac_f32_e32 v33, v31, v35
	v_fmac_f32_e32 v44, v57, v60
	v_fmac_f32_e32 v44, v11, v29
	v_and_b32_e32 v11, 0xffff, v59
	s_waitcnt lgkmcnt(0)
	v_and_b32_e32 v3, 0xffff, v9
	v_lshrrev_b32_e32 v9, 16, v9
	;;#ASMSTART
	v_cvt_f32_f16 v3, v3;
	;;#ASMEND
	;;#ASMSTART
	v_cvt_f32_f16 v9, v9;
	;;#ASMEND
	v_and_b32_e32 v29, 0xffff, v10
	v_lshrrev_b32_e32 v10, 16, v10
	;;#ASMSTART
	v_cvt_f32_f16 v11, v11;
	;;#ASMEND
	;;#ASMSTART
	v_cvt_f32_f16 v28, v28;
	;;#ASMEND
	v_fmac_f32_e32 v56, v3, v11
	v_fmac_f32_e32 v44, v9, v28
	;;#ASMSTART
	v_cvt_f32_f16 v3, v29;
	;;#ASMEND
	;;#ASMSTART
	v_cvt_f32_f16 v9, v10;
	;;#ASMEND
	;;#ASMSTART
	v_cvt_f32_f16 v10, v30;
	;;#ASMEND
	v_fmac_f32_e32 v32, v3, v10
	v_xor_b32_e32 v10, 1, v16
	v_add_f32_e32 v3, v56, v44
	v_and_b32_e32 v11, 0xffff, v27
	;;#ASMSTART
	v_cvt_f32_f16 v11, v11;
	;;#ASMEND
	v_fmac_f32_e32 v33, v9, v11
	v_cmp_gt_i32_e64 s2, 32, v10
	v_add_f32_e32 v3, v3, v32
	v_cndmask_b32_e64 v9, v16, v10, s2
	v_add_f32_e32 v3, v33, v3
	v_lshlrev_b32_e32 v9, 2, v9
	ds_bpermute_b32 v9, v9, v3
	s_and_saveexec_b32 s3, vcc_lo
	s_cbranch_execz .LBB292_9
; %bb.331:                              ;   in Loop: Header=BB292_10 Depth=1
	v_add_nc_u32_e32 v10, s4, v20
	s_waitcnt lgkmcnt(0)
	v_add_f32_e32 v3, v3, v9
	v_cmp_gt_i32_e64 s2, s27, v20
	v_cvt_f32_i32_e32 v10, v10
	v_mul_f32_e32 v10, s36, v10
	v_cndmask_b32_e64 v9, 0, v10, s1
	v_max_f32_e32 v10, v17, v17
	v_fmac_f32_e32 v9, s37, v3
	v_max_f32_e32 v3, v10, v9
	v_cndmask_b32_e64 v9, 0, v9, s2
	v_cndmask_b32_e64 v17, v17, v3, s2
	ds_write_b32 v21, v9
	s_branch .LBB292_9
.LBB292_332:
	s_or_b32 exec_lo, exec_lo, s5
.LBB292_333:
	s_or_b32 exec_lo, exec_lo, s38
	v_xor_b32_e32 v3, 16, v16
	v_xor_b32_e32 v5, 8, v16
	v_max_f32_e32 v8, v17, v17
	s_waitcnt lgkmcnt(0)
	v_xor_b32_e32 v9, 2, v16
	v_cmp_lt_i32_e32 vcc_lo, v3, v18
	v_cndmask_b32_e32 v3, v16, v3, vcc_lo
	v_cmp_lt_i32_e32 vcc_lo, v5, v18
	v_lshlrev_b32_e32 v6, 2, v3
	v_cndmask_b32_e32 v5, v16, v5, vcc_lo
	ds_bpermute_b32 v3, v6, v17
	v_lshlrev_b32_e32 v7, 2, v5
	v_and_b32_e32 v17, 31, v0
	s_waitcnt lgkmcnt(0)
	v_max_f32_e32 v3, v3, v3
	v_max_f32_e32 v3, v8, v3
	v_xor_b32_e32 v8, 4, v16
	ds_bpermute_b32 v5, v7, v3
	v_cmp_lt_i32_e32 vcc_lo, v8, v18
	v_cndmask_b32_e32 v8, v16, v8, vcc_lo
	v_cmp_lt_i32_e32 vcc_lo, v9, v18
	v_lshlrev_b32_e32 v8, 2, v8
	v_cndmask_b32_e32 v9, v16, v9, vcc_lo
	v_cmp_eq_u32_e32 vcc_lo, 0, v17
	s_waitcnt lgkmcnt(0)
	v_max_f32_e32 v5, v5, v5
	v_max_f32_e32 v3, v3, v5
	ds_bpermute_b32 v5, v8, v3
	s_waitcnt lgkmcnt(0)
	v_max_f32_e32 v5, v5, v5
	v_max_f32_e32 v3, v3, v5
	v_lshlrev_b32_e32 v5, 2, v9
	v_lshlrev_b32_e32 v9, 2, v14
	ds_bpermute_b32 v10, v5, v3
	s_and_saveexec_b32 s1, vcc_lo
	s_cbranch_execz .LBB292_335
; %bb.334:
	s_waitcnt lgkmcnt(0)
	v_max_f32_e32 v10, v10, v10
	v_max_f32_e32 v3, v3, v3
	;; [unrolled: 1-line block ×3, first 2 shown]
	ds_write_b32 v9, v3 offset:160
.LBB292_335:
	s_or_b32 exec_lo, exec_lo, s1
	v_cmp_gt_u32_e64 s1, 4, v17
	v_mov_b32_e32 v3, 0xff7fffff
	s_waitcnt lgkmcnt(0)
	v_lshlrev_b32_e32 v10, 2, v17
	s_barrier
	buffer_gl0_inv
	s_and_saveexec_b32 s2, s1
; %bb.336:
	ds_read_b32 v3, v10 offset:160
; %bb.337:
	s_or_b32 exec_lo, exec_lo, s2
	s_waitcnt lgkmcnt(0)
	ds_bpermute_b32 v11, v5, v3
	v_xor_b32_e32 v19, 1, v16
	v_max_f32_e32 v3, v3, v3
	v_lshlrev_b32_e32 v4, 2, v4
	v_cmp_lt_i32_e64 s2, v19, v18
	v_cndmask_b32_e64 v18, v16, v19, s2
	s_sub_i32 s2, s11, s19
	s_lshl_b32 s2, s2, 4
	v_lshlrev_b32_e32 v18, 2, v18
	s_add_i32 s2, s2, s33
	s_min_i32 s2, s2, s27
	s_waitcnt lgkmcnt(0)
	v_max_f32_e32 v11, v11, v11
	s_sub_i32 s4, s2, s33
	v_cmp_gt_i32_e64 s2, s4, v0
	v_max_f32_e32 v3, v3, v11
	ds_bpermute_b32 v11, v18, v3
	s_waitcnt lgkmcnt(0)
	v_max_f32_e32 v11, v11, v11
	v_max_f32_e32 v3, v3, v11
	v_mov_b32_e32 v11, 0
	ds_bpermute_b32 v3, v4, v3
	v_lshl_add_u32 v4, v0, 2, 0xc0
	s_and_saveexec_b32 s5, s2
	s_cbranch_execz .LBB292_341
; %bb.338:
	v_lshl_add_u32 v19, v0, 2, 0xc0
	v_mov_b32_e32 v11, 0
	v_mov_b32_e32 v20, v0
	s_mov_b32 s12, 0
	.p2align	6
.LBB292_339:                            ; =>This Inner Loop Header: Depth=1
	ds_read_b32 v21, v19
	v_add_nc_u32_e32 v20, 0x80, v20
	v_cmp_le_i32_e64 s3, s4, v20
	s_or_b32 s12, s3, s12
	s_waitcnt lgkmcnt(0)
	v_sub_f32_e32 v21, v21, v3
	v_mul_f32_e32 v21, 0x3fb8aa3b, v21
	v_exp_f32_e32 v21, v21
	ds_write_b32 v19, v21
	v_add_f32_e32 v11, v11, v21
	v_add_nc_u32_e32 v19, 0x200, v19
	s_andn2_b32 exec_lo, exec_lo, s12
	s_cbranch_execnz .LBB292_339
; %bb.340:
	s_or_b32 exec_lo, exec_lo, s12
.LBB292_341:
	s_or_b32 exec_lo, exec_lo, s5
	ds_bpermute_b32 v6, v6, v11
	s_waitcnt lgkmcnt(0)
	v_add_f32_e32 v6, v11, v6
	ds_bpermute_b32 v7, v7, v6
	s_waitcnt lgkmcnt(0)
	v_add_f32_e32 v6, v6, v7
	;; [unrolled: 3-line block ×5, first 2 shown]
	s_and_saveexec_b32 s3, vcc_lo
; %bb.342:
	ds_write_b32 v9, v6 offset:176
; %bb.343:
	s_or_b32 exec_lo, exec_lo, s3
	s_waitcnt lgkmcnt(0)
	s_barrier
	buffer_gl0_inv
	s_and_saveexec_b32 s3, s1
; %bb.344:
	ds_read_b32 v6, v10 offset:176
; %bb.345:
	s_or_b32 exec_lo, exec_lo, s3
	s_waitcnt lgkmcnt(0)
	ds_bpermute_b32 v5, v5, v6
	v_lshlrev_b32_e32 v7, 2, v16
	s_waitcnt lgkmcnt(0)
	v_add_f32_e32 v5, v6, v5
	ds_bpermute_b32 v6, v18, v5
	s_waitcnt lgkmcnt(0)
	v_add_f32_e32 v5, v5, v6
	v_and_b32_e32 v6, 0xffffff80, v7
	ds_bpermute_b32 v5, v6, v5
	s_and_saveexec_b32 s1, s2
	s_cbranch_execz .LBB292_348
; %bb.346:
	s_waitcnt lgkmcnt(0)
	v_add_f32_e32 v6, 0x358637bd, v5
	s_mov_b32 s2, 0
	v_div_scale_f32 v7, null, v6, v6, 1.0
	v_div_scale_f32 v10, vcc_lo, 1.0, v6, 1.0
	v_rcp_f32_e32 v8, v7
	v_fma_f32 v9, -v7, v8, 1.0
	v_fmac_f32_e32 v8, v9, v8
	v_mul_f32_e32 v9, v10, v8
	v_fma_f32 v11, -v7, v9, v10
	v_fmac_f32_e32 v9, v11, v8
	v_fma_f32 v7, -v7, v9, v10
	v_div_fmas_f32 v7, v7, v8, v9
	v_div_fixup_f32 v6, v7, v6, 1.0
	v_mov_b32_e32 v7, v0
.LBB292_347:                            ; =>This Inner Loop Header: Depth=1
	ds_read_b32 v8, v4
	v_add_nc_u32_e32 v7, 0x80, v7
	v_cmp_le_i32_e32 vcc_lo, s4, v7
	s_or_b32 s2, vcc_lo, s2
	s_waitcnt lgkmcnt(0)
	v_mul_f32_e32 v8, v6, v8
	ds_write_b32 v4, v8
	v_add_nc_u32_e32 v4, 0x200, v4
	s_andn2_b32 exec_lo, exec_lo, s2
	s_cbranch_execnz .LBB292_347
.LBB292_348:
	s_or_b32 exec_lo, exec_lo, s1
	s_mul_i32 s1, s7, s26
	s_waitcnt lgkmcnt(0)
	s_mul_i32 s2, s1, s9
	s_mov_b32 s1, exec_lo
	s_barrier
	buffer_gl0_inv
	v_cmpx_eq_u32_e32 0, v0
	s_cbranch_execz .LBB292_350
; %bb.349:
	s_ashr_i32 s3, s2, 31
	s_mul_i32 s12, s7, s6
	s_lshl_b64 s[4:5], s[2:3], 2
	v_mov_b32_e32 v4, 0
	s_add_u32 s3, s22, s4
	s_addc_u32 s6, s23, s5
	s_ashr_i32 s13, s12, 31
	s_lshl_b64 s[12:13], s[12:13], 2
	s_add_u32 s3, s3, s12
	s_addc_u32 s6, s6, s13
	s_ashr_i32 s9, s8, 31
	s_lshl_b64 s[22:23], s[8:9], 2
	s_add_u32 s36, s3, s22
	s_addc_u32 s37, s6, s23
	s_add_u32 s3, s20, s4
	s_addc_u32 s4, s21, s5
	;; [unrolled: 2-line block ×4, first 2 shown]
	global_store_dword v4, v3, s[36:37]
	global_store_dword v4, v5, s[4:5]
.LBB292_350:
	s_or_b32 exec_lo, exec_lo, s1
	v_mov_b32_e32 v21, 0
	v_mov_b32_e32 v22, 0
	;; [unrolled: 1-line block ×5, first 2 shown]
	s_and_saveexec_b32 s1, s0
	s_cbranch_execz .LBB292_684
; %bb.351:
	v_and_b32_e32 v6, 8, v15
	v_lshlrev_b32_e32 v4, 5, v13
	v_and_b32_e32 v5, 0xf8, v15
	v_lshl_add_u32 v7, v14, 4, s33
	s_ashr_i32 s0, s18, 31
	s_add_u32 s4, s34, s18
	s_addc_u32 s0, s35, s0
	v_lshl_or_b32 v8, v14, 6, v4
	v_add_co_u32 v4, s4, s4, v5
	v_add3_u32 v15, v7, v6, 7
	v_lshlrev_b64 v[6:7], 2, v[1:2]
	v_add_co_ci_u32_e64 v5, null, s0, 0, s4
	s_lshl_b64 s[4:5], s[30:31], 2
	s_add_i32 s16, s16, -1
	s_add_u32 s0, s28, s4
	s_addc_u32 s4, s29, s5
	v_add_co_u32 v6, vcc_lo, s0, v6
	v_mov_b32_e32 v3, 0
	v_add_nc_u32_e32 v23, 0xc0, v8
	v_add_co_ci_u32_e64 v7, null, s4, v7, vcc_lo
	v_mov_b32_e32 v24, 0x80
	v_mov_b32_e32 v25, 0x7f
	;; [unrolled: 1-line block ×9, first 2 shown]
	s_mov_b32 s4, -1
	s_mov_b32 s3, s17
	s_mov_b32 s5, 0xffffff
	;; [unrolled: 1-line block ×3, first 2 shown]
	s_branch .LBB292_353
.LBB292_352:                            ;   in Loop: Header=BB292_353 Depth=1
	s_or_b32 exec_lo, exec_lo, s0
	v_add_f32_e32 v9, v10, v11
	;;#ASMSTART
	v_pk_mul_f16 v10, v39, v46;

	;;#ASMEND
	;;#ASMSTART
	v_pk_mul_f16 v2, v38, v2;

	;;#ASMEND
	;; [unrolled: 4-line block ×4, first 2 shown]
	;;#ASMSTART
	v_pk_add_f16 v2, v10, v2;

	;;#ASMEND
	;;#ASMSTART
	v_pk_add_f16 v2, v2, v11;

	;;#ASMEND
	;; [unrolled: 4-line block ×3, first 2 shown]
	v_and_b32_e32 v10, 0xffff, v2
	v_add_nc_u32_e32 v1, 4, v1
	v_lshrrev_b32_e32 v11, 16, v2
	;;#ASMSTART
	v_cvt_f32_f16 v10, v10;
	;;#ASMEND
	v_add_f32_e32 v19, v19, v9
	v_add_f32_e32 v2, v43, v44
	;; [unrolled: 1-line block ×4, first 2 shown]
	;;#ASMSTART
	v_cvt_f32_f16 v11, v11;
	;;#ASMEND
	v_add_f32_e32 v10, v10, v11
	v_cmp_le_i32_e32 vcc_lo, s11, v1
	v_add_co_u32 v6, s0, v6, 16
	v_add_f32_e32 v20, v20, v2
	v_add_f32_e32 v22, v22, v8
	;; [unrolled: 1-line block ×4, first 2 shown]
	v_add_nc_u32_e32 v15, 64, v15
	v_add_nc_u32_e32 v23, 0x100, v23
	v_add_co_ci_u32_e64 v7, null, 0, v7, s0
	s_or_b32 s6, vcc_lo, s6
	s_andn2_b32 exec_lo, exec_lo, s6
	s_cbranch_execz .LBB292_683
.LBB292_353:                            ; =>This Inner Loop Header: Depth=1
	global_load_dword v2, v[6:7], off
	ds_read2_b64 v[28:31], v23 offset1:1
	ds_read2_b64 v[40:43], v23 offset0:2 offset1:3
	s_waitcnt lgkmcnt(1)
	;;#ASMSTART
	v_cvt_f16_f32 v35, v28;

	;;#ASMEND
	;;#ASMSTART
	v_cvt_f16_f32 v36, v29;

	;;#ASMEND
	;;#ASMSTART
	v_cvt_f16_f32 v38, v30;

	;;#ASMEND
	;;#ASMSTART
	v_cvt_f16_f32 v37, v31;

	;;#ASMEND
	s_waitcnt lgkmcnt(0)
	;;#ASMSTART
	v_cvt_f16_f32 v39, v40;

	;;#ASMEND
	;;#ASMSTART
	v_cvt_f16_f32 v40, v41;

	;;#ASMEND
	;; [unrolled: 4-line block ×4, first 2 shown]
	v_mov_b32_e32 v30, 0
	s_waitcnt vmcnt(0)
	v_mad_i64_i32 v[8:9], null, v2, s3, v[4:5]
	global_load_dwordx2 v[10:11], v[8:9], off
	global_load_dword v29, v3, s[14:15]
	s_waitcnt vmcnt(1)
	v_cmp_ne_u16_sdwa s9, v10, v3 src0_sel:BYTE_0 src1_sel:DWORD
	s_and_saveexec_b32 s0, s9
	s_cbranch_execz .LBB292_361
; %bb.354:                              ;   in Loop: Header=BB292_353 Depth=1
	v_cmp_ne_u16_sdwa s12, v10, v24 src0_sel:BYTE_0 src1_sel:DWORD
	v_mov_b32_e32 v30, 0x8000
	s_and_saveexec_b32 s9, s12
	s_cbranch_execz .LBB292_360
; %bb.355:                              ;   in Loop: Header=BB292_353 Depth=1
	v_and_b32_e32 v31, 0x7f, v10
	v_mov_b32_e32 v30, 0x7c01
	s_mov_b32 s12, exec_lo
	v_cmpx_ne_u32_e32 0x7f, v31
	s_cbranch_execz .LBB292_359
; %bb.356:                              ;   in Loop: Header=BB292_353 Depth=1
	v_and_b32_e32 v2, 7, v10
	v_lshrrev_b32_e32 v28, 3, v31
	s_mov_b32 s13, exec_lo
	v_cmpx_gt_u32_e32 8, v31
; %bb.357:                              ;   in Loop: Header=BB292_353 Depth=1
	v_ffbh_u32_e32 v2, v2
	v_min_u32_e32 v2, 32, v2
	v_subrev_nc_u32_e32 v28, 28, v2
	v_lshlrev_b64 v[30:31], v28, v[10:11]
	v_sub_nc_u32_e32 v28, 29, v2
	v_and_b32_e32 v2, 7, v30
; %bb.358:                              ;   in Loop: Header=BB292_353 Depth=1
	s_or_b32 exec_lo, exec_lo, s13
	v_lshlrev_b32_e32 v30, 8, v10
	v_lshl_add_u32 v28, v28, 10, 0x2000
	v_lshlrev_b32_e32 v2, 7, v2
	v_and_b32_e32 v30, 0x8000, v30
	v_and_b32_e32 v28, 0xfc00, v28
	v_or3_b32 v30, v30, v28, v2
.LBB292_359:                            ;   in Loop: Header=BB292_353 Depth=1
	s_or_b32 exec_lo, exec_lo, s12
.LBB292_360:                            ;   in Loop: Header=BB292_353 Depth=1
	s_or_b32 exec_lo, exec_lo, s9
.LBB292_361:                            ;   in Loop: Header=BB292_353 Depth=1
	s_or_b32 exec_lo, exec_lo, s0
	v_lshrrev_b16 v2, 8, v10
	v_mov_b32_e32 v28, 0
	v_mov_b32_e32 v31, 0
	s_mov_b32 s0, exec_lo
	v_cmpx_ne_u16_e32 0, v2
	s_cbranch_execz .LBB292_369
; %bb.362:                              ;   in Loop: Header=BB292_353 Depth=1
	v_bfrev_b32_e32 v31, 1
	s_mov_b32 s9, exec_lo
	v_cmpx_ne_u16_e32 0x80, v2
	s_cbranch_execz .LBB292_368
; %bb.363:                              ;   in Loop: Header=BB292_353 Depth=1
	v_and_b32_sdwa v33, v2, v25 dst_sel:DWORD dst_unused:UNUSED_PAD src0_sel:WORD_0 src1_sel:DWORD
	v_mov_b32_e32 v31, 0x7c010000
	s_mov_b32 s12, exec_lo
	v_cmpx_ne_u32_e32 0x7f, v33
	s_cbranch_execz .LBB292_367
; %bb.364:                              ;   in Loop: Header=BB292_353 Depth=1
	v_and_b32_sdwa v31, v2, v26 dst_sel:DWORD dst_unused:UNUSED_PAD src0_sel:WORD_0 src1_sel:DWORD
	v_lshrrev_b32_e32 v32, 3, v33
	s_mov_b32 s13, exec_lo
	v_cmpx_gt_u32_e32 8, v33
; %bb.365:                              ;   in Loop: Header=BB292_353 Depth=1
	v_ffbh_u32_e32 v31, v31
	v_min_u32_e32 v33, 32, v31
	v_subrev_nc_u32_e32 v31, 28, v33
	v_lshlrev_b64 v[31:32], v31, v[2:3]
	v_sub_nc_u32_e32 v32, 29, v33
	v_and_b32_e32 v31, 7, v31
; %bb.366:                              ;   in Loop: Header=BB292_353 Depth=1
	s_or_b32 exec_lo, exec_lo, s13
	v_lshlrev_b32_sdwa v2, v27, v2 dst_sel:DWORD dst_unused:UNUSED_PAD src0_sel:DWORD src1_sel:WORD_0
	v_lshl_add_u32 v32, v32, 10, 0x2000
	v_lshlrev_b32_e32 v31, 23, v31
	v_and_or_b32 v2, 0x8000, v2, v32
	v_lshl_or_b32 v31, v2, 16, v31
.LBB292_367:                            ;   in Loop: Header=BB292_353 Depth=1
	s_or_b32 exec_lo, exec_lo, s12
.LBB292_368:                            ;   in Loop: Header=BB292_353 Depth=1
	s_or_b32 exec_lo, exec_lo, s9
.LBB292_369:                            ;   in Loop: Header=BB292_353 Depth=1
	s_or_b32 exec_lo, exec_lo, s0
	v_lshrrev_b32_e32 v2, 16, v10
	v_cmp_ne_u16_sdwa s9, v2, v3 src0_sel:BYTE_0 src1_sel:DWORD
	s_and_saveexec_b32 s0, s9
	s_cbranch_execz .LBB292_377
; %bb.370:                              ;   in Loop: Header=BB292_353 Depth=1
	v_cmp_ne_u16_sdwa s12, v2, v24 src0_sel:BYTE_0 src1_sel:DWORD
	v_mov_b32_e32 v28, 0x8000
	s_and_saveexec_b32 s9, s12
	s_cbranch_execz .LBB292_376
; %bb.371:                              ;   in Loop: Header=BB292_353 Depth=1
	v_bfe_u32 v33, v10, 16, 7
	v_mov_b32_e32 v28, 0x7c01
	s_mov_b32 s12, exec_lo
	v_cmpx_ne_u32_e32 0x7f, v33
	s_cbranch_execz .LBB292_375
; %bb.372:                              ;   in Loop: Header=BB292_353 Depth=1
	v_and_b32_e32 v28, 7, v2
	v_lshrrev_b32_e32 v32, 3, v33
	s_mov_b32 s13, exec_lo
	v_cmpx_gt_u32_e32 8, v33
; %bb.373:                              ;   in Loop: Header=BB292_353 Depth=1
	v_ffbh_u32_e32 v28, v28
	v_min_u32_e32 v28, 32, v28
	v_subrev_nc_u32_e32 v32, 28, v28
	v_lshlrev_b64 v[33:34], v32, v[2:3]
	v_sub_nc_u32_e32 v32, 29, v28
	v_and_b32_e32 v28, 7, v33
; %bb.374:                              ;   in Loop: Header=BB292_353 Depth=1
	s_or_b32 exec_lo, exec_lo, s13
	v_lshlrev_b32_e32 v2, 8, v2
	v_lshl_add_u32 v32, v32, 10, 0x2000
	v_lshlrev_b32_e32 v28, 7, v28
	v_and_b32_e32 v2, 0x8000, v2
	v_and_b32_e32 v32, 0xfc00, v32
	v_or3_b32 v28, v2, v32, v28
.LBB292_375:                            ;   in Loop: Header=BB292_353 Depth=1
	s_or_b32 exec_lo, exec_lo, s12
.LBB292_376:                            ;   in Loop: Header=BB292_353 Depth=1
	s_or_b32 exec_lo, exec_lo, s9
.LBB292_377:                            ;   in Loop: Header=BB292_353 Depth=1
	s_or_b32 exec_lo, exec_lo, s0
	v_mov_b32_e32 v32, 0
	v_mov_b32_e32 v33, 0
	s_mov_b32 s0, exec_lo
	v_cmpx_lt_u32_e32 0xffffff, v10
	s_cbranch_execz .LBB292_385
; %bb.378:                              ;   in Loop: Header=BB292_353 Depth=1
	v_lshrrev_b32_e32 v2, 24, v10
	v_bfrev_b32_e32 v33, 1
	s_mov_b32 s9, exec_lo
	v_cmpx_ne_u32_e32 0x80, v2
	s_cbranch_execz .LBB292_384
; %bb.379:                              ;   in Loop: Header=BB292_353 Depth=1
	v_and_b32_e32 v43, 0x7f, v2
	v_mov_b32_e32 v33, 0x7c010000
	s_mov_b32 s12, exec_lo
	v_cmpx_ne_u32_e32 0x7f, v43
	s_cbranch_execz .LBB292_383
; %bb.380:                              ;   in Loop: Header=BB292_353 Depth=1
	v_and_b32_e32 v33, 7, v2
	v_lshrrev_b32_e32 v34, 3, v43
	s_mov_b32 s13, exec_lo
	v_cmpx_gt_u32_e32 8, v43
; %bb.381:                              ;   in Loop: Header=BB292_353 Depth=1
	v_ffbh_u32_e32 v33, v33
	v_min_u32_e32 v43, 32, v33
	v_subrev_nc_u32_e32 v33, 28, v43
	v_lshlrev_b64 v[33:34], v33, v[2:3]
	v_sub_nc_u32_e32 v34, 29, v43
	v_and_b32_e32 v33, 7, v33
; %bb.382:                              ;   in Loop: Header=BB292_353 Depth=1
	s_or_b32 exec_lo, exec_lo, s13
	v_lshlrev_b32_e32 v2, 8, v2
	v_lshl_add_u32 v34, v34, 10, 0x2000
	v_lshlrev_b32_e32 v33, 23, v33
	v_and_or_b32 v2, 0x8000, v2, v34
	v_lshl_or_b32 v33, v2, 16, v33
.LBB292_383:                            ;   in Loop: Header=BB292_353 Depth=1
	s_or_b32 exec_lo, exec_lo, s12
.LBB292_384:                            ;   in Loop: Header=BB292_353 Depth=1
	s_or_b32 exec_lo, exec_lo, s9
.LBB292_385:                            ;   in Loop: Header=BB292_353 Depth=1
	s_or_b32 exec_lo, exec_lo, s0
	v_mov_b32_e32 v2, v11
	v_cmp_ne_u16_sdwa s9, v11, v3 src0_sel:BYTE_0 src1_sel:DWORD
	s_and_saveexec_b32 s0, s9
	s_cbranch_execz .LBB292_393
; %bb.386:                              ;   in Loop: Header=BB292_353 Depth=1
	v_cmp_ne_u16_sdwa s12, v11, v24 src0_sel:BYTE_0 src1_sel:DWORD
	v_mov_b32_e32 v32, 0x8000
	s_and_saveexec_b32 s9, s12
	s_cbranch_execz .LBB292_392
; %bb.387:                              ;   in Loop: Header=BB292_353 Depth=1
	v_and_b32_e32 v43, 0x7f, v11
	v_mov_b32_e32 v32, 0x7c01
	s_mov_b32 s12, exec_lo
	v_cmpx_ne_u32_e32 0x7f, v43
	s_cbranch_execz .LBB292_391
; %bb.388:                              ;   in Loop: Header=BB292_353 Depth=1
	v_and_b32_e32 v32, 7, v11
	v_lshrrev_b32_e32 v34, 3, v43
	s_mov_b32 s13, exec_lo
	v_cmpx_gt_u32_e32 8, v43
; %bb.389:                              ;   in Loop: Header=BB292_353 Depth=1
	v_ffbh_u32_e32 v32, v32
	v_min_u32_e32 v32, 32, v32
	v_subrev_nc_u32_e32 v34, 28, v32
	v_lshlrev_b64 v[43:44], v34, v[2:3]
	v_sub_nc_u32_e32 v34, 29, v32
	v_and_b32_e32 v32, 7, v43
; %bb.390:                              ;   in Loop: Header=BB292_353 Depth=1
	s_or_b32 exec_lo, exec_lo, s13
	v_lshlrev_b32_e32 v43, 8, v11
	v_lshl_add_u32 v34, v34, 10, 0x2000
	v_lshlrev_b32_e32 v32, 7, v32
	v_and_b32_e32 v43, 0x8000, v43
	v_and_b32_e32 v34, 0xfc00, v34
	v_or3_b32 v32, v43, v34, v32
.LBB292_391:                            ;   in Loop: Header=BB292_353 Depth=1
	s_or_b32 exec_lo, exec_lo, s12
.LBB292_392:                            ;   in Loop: Header=BB292_353 Depth=1
	s_or_b32 exec_lo, exec_lo, s9
.LBB292_393:                            ;   in Loop: Header=BB292_353 Depth=1
	s_or_b32 exec_lo, exec_lo, s0
	v_lshrrev_b16 v2, 8, v2
	v_mov_b32_e32 v43, 0
	v_mov_b32_e32 v34, 0
	s_mov_b32 s0, exec_lo
	v_cmpx_ne_u16_e32 0, v2
	s_cbranch_execz .LBB292_401
; %bb.394:                              ;   in Loop: Header=BB292_353 Depth=1
	v_bfrev_b32_e32 v34, 1
	s_mov_b32 s9, exec_lo
	v_cmpx_ne_u16_e32 0x80, v2
	s_cbranch_execz .LBB292_400
; %bb.395:                              ;   in Loop: Header=BB292_353 Depth=1
	v_and_b32_sdwa v45, v2, v25 dst_sel:DWORD dst_unused:UNUSED_PAD src0_sel:WORD_0 src1_sel:DWORD
	v_mov_b32_e32 v34, 0x7c010000
	s_mov_b32 s12, exec_lo
	v_cmpx_ne_u32_e32 0x7f, v45
	s_cbranch_execz .LBB292_399
; %bb.396:                              ;   in Loop: Header=BB292_353 Depth=1
	v_and_b32_sdwa v34, v2, v26 dst_sel:DWORD dst_unused:UNUSED_PAD src0_sel:WORD_0 src1_sel:DWORD
	v_lshrrev_b32_e32 v44, 3, v45
	s_mov_b32 s13, exec_lo
	v_cmpx_gt_u32_e32 8, v45
; %bb.397:                              ;   in Loop: Header=BB292_353 Depth=1
	v_ffbh_u32_e32 v34, v34
	v_min_u32_e32 v34, 32, v34
	v_subrev_nc_u32_e32 v44, 28, v34
	v_lshlrev_b64 v[45:46], v44, v[2:3]
	v_sub_nc_u32_e32 v44, 29, v34
	v_and_b32_e32 v34, 7, v45
; %bb.398:                              ;   in Loop: Header=BB292_353 Depth=1
	s_or_b32 exec_lo, exec_lo, s13
	v_lshlrev_b32_sdwa v2, v27, v2 dst_sel:DWORD dst_unused:UNUSED_PAD src0_sel:DWORD src1_sel:WORD_0
	v_lshl_add_u32 v44, v44, 10, 0x2000
	v_lshlrev_b32_e32 v34, 23, v34
	v_and_or_b32 v2, 0x8000, v2, v44
	v_lshl_or_b32 v34, v2, 16, v34
.LBB292_399:                            ;   in Loop: Header=BB292_353 Depth=1
	s_or_b32 exec_lo, exec_lo, s12
.LBB292_400:                            ;   in Loop: Header=BB292_353 Depth=1
	s_or_b32 exec_lo, exec_lo, s9
.LBB292_401:                            ;   in Loop: Header=BB292_353 Depth=1
	s_or_b32 exec_lo, exec_lo, s0
	v_lshrrev_b32_e32 v2, 16, v11
	v_cmp_ne_u16_sdwa s9, v2, v3 src0_sel:BYTE_0 src1_sel:DWORD
	s_and_saveexec_b32 s0, s9
	s_cbranch_execz .LBB292_409
; %bb.402:                              ;   in Loop: Header=BB292_353 Depth=1
	v_cmp_ne_u16_sdwa s12, v2, v24 src0_sel:BYTE_0 src1_sel:DWORD
	v_mov_b32_e32 v43, 0x8000
	s_and_saveexec_b32 s9, s12
	s_cbranch_execz .LBB292_408
; %bb.403:                              ;   in Loop: Header=BB292_353 Depth=1
	v_bfe_u32 v45, v11, 16, 7
	v_mov_b32_e32 v43, 0x7c01
	s_mov_b32 s12, exec_lo
	v_cmpx_ne_u32_e32 0x7f, v45
	s_cbranch_execz .LBB292_407
; %bb.404:                              ;   in Loop: Header=BB292_353 Depth=1
	v_and_b32_e32 v43, 7, v2
	v_lshrrev_b32_e32 v44, 3, v45
	s_mov_b32 s13, exec_lo
	v_cmpx_gt_u32_e32 8, v45
; %bb.405:                              ;   in Loop: Header=BB292_353 Depth=1
	v_ffbh_u32_e32 v43, v43
	v_min_u32_e32 v45, 32, v43
	v_subrev_nc_u32_e32 v43, 28, v45
	v_lshlrev_b64 v[43:44], v43, v[2:3]
	v_sub_nc_u32_e32 v44, 29, v45
	v_and_b32_e32 v43, 7, v43
; %bb.406:                              ;   in Loop: Header=BB292_353 Depth=1
	s_or_b32 exec_lo, exec_lo, s13
	v_lshlrev_b32_e32 v2, 8, v2
	v_lshl_add_u32 v44, v44, 10, 0x2000
	v_lshlrev_b32_e32 v43, 7, v43
	v_and_b32_e32 v2, 0x8000, v2
	v_and_b32_e32 v44, 0xfc00, v44
	v_or3_b32 v43, v2, v44, v43
.LBB292_407:                            ;   in Loop: Header=BB292_353 Depth=1
	s_or_b32 exec_lo, exec_lo, s12
.LBB292_408:                            ;   in Loop: Header=BB292_353 Depth=1
	s_or_b32 exec_lo, exec_lo, s9
.LBB292_409:                            ;   in Loop: Header=BB292_353 Depth=1
	s_or_b32 exec_lo, exec_lo, s0
	v_cmp_lt_u64_e32 vcc_lo, s[4:5], v[10:11]
	v_mov_b32_e32 v10, 0
	s_and_saveexec_b32 s0, vcc_lo
	s_cbranch_execz .LBB292_417
; %bb.410:                              ;   in Loop: Header=BB292_353 Depth=1
	v_lshrrev_b32_e32 v2, 24, v11
	v_bfrev_b32_e32 v10, 1
	s_mov_b32 s9, exec_lo
	v_cmpx_ne_u32_e32 0x80, v2
	s_cbranch_execz .LBB292_416
; %bb.411:                              ;   in Loop: Header=BB292_353 Depth=1
	v_and_b32_e32 v44, 0x7f, v2
	v_mov_b32_e32 v10, 0x7c010000
	s_mov_b32 s12, exec_lo
	v_cmpx_ne_u32_e32 0x7f, v44
	s_cbranch_execz .LBB292_415
; %bb.412:                              ;   in Loop: Header=BB292_353 Depth=1
	v_and_b32_e32 v10, 7, v2
	v_lshrrev_b32_e32 v11, 3, v44
	s_mov_b32 s13, exec_lo
	v_cmpx_gt_u32_e32 8, v44
; %bb.413:                              ;   in Loop: Header=BB292_353 Depth=1
	v_ffbh_u32_e32 v10, v10
	v_min_u32_e32 v44, 32, v10
	v_subrev_nc_u32_e32 v10, 28, v44
	v_lshlrev_b64 v[10:11], v10, v[2:3]
	v_sub_nc_u32_e32 v11, 29, v44
	v_and_b32_e32 v10, 7, v10
; %bb.414:                              ;   in Loop: Header=BB292_353 Depth=1
	s_or_b32 exec_lo, exec_lo, s13
	v_lshlrev_b32_e32 v2, 8, v2
	v_lshl_add_u32 v11, v11, 10, 0x2000
	v_lshlrev_b32_e32 v10, 23, v10
	v_and_or_b32 v2, 0x8000, v2, v11
	v_lshl_or_b32 v10, v2, 16, v10
.LBB292_415:                            ;   in Loop: Header=BB292_353 Depth=1
	s_or_b32 exec_lo, exec_lo, s12
.LBB292_416:                            ;   in Loop: Header=BB292_353 Depth=1
	s_or_b32 exec_lo, exec_lo, s9
.LBB292_417:                            ;   in Loop: Header=BB292_353 Depth=1
	s_or_b32 exec_lo, exec_lo, s0
	v_or_b32_e32 v2, v33, v28
	s_waitcnt vmcnt(0)
	v_fma_mixlo_f16 v11, v29, v33, 0 op_sel:[0,1,0] op_sel_hi:[0,1,0]
	v_or_b32_e32 v30, v31, v30
	v_fma_mixlo_f16 v31, v29, v31, 0 op_sel:[0,1,0] op_sel_hi:[0,1,0]
	v_or_b32_e32 v32, v34, v32
	v_fma_mixlo_f16 v2, v29, v2, 0 op_sel_hi:[0,1,0]
	v_or_b32_e32 v33, v10, v43
	v_fma_mixlo_f16 v10, v29, v10, 0 op_sel:[0,1,0] op_sel_hi:[0,1,0]
	v_lshlrev_b32_e32 v49, 16, v31
	v_fma_mixlo_f16 v31, v29, v32, 0 op_sel_hi:[0,1,0]
	v_and_b32_e32 v46, 0xffff, v2
	v_fma_mixlo_f16 v2, v29, v30, 0 op_sel_hi:[0,1,0]
	v_fma_mixlo_f16 v30, v29, v34, 0 op_sel:[0,1,0] op_sel_hi:[0,1,0]
	v_fma_mixlo_f16 v29, v29, v33, 0 op_sel_hi:[0,1,0]
	v_lshlrev_b32_e32 v11, 16, v11
	v_and_b32_e32 v50, 0xffff, v31
	v_and_b32_e32 v51, 0xffff, v2
	v_lshlrev_b32_e32 v47, 16, v30
	v_lshlrev_b32_e32 v44, 16, v10
	v_and_b32_e32 v48, 0xffff, v29
	v_add_nc_u32_e32 v28, -7, v15
	v_cmp_eq_u32_e32 vcc_lo, s16, v1
	v_or_b32_e32 v2, v11, v46
	v_or_b32_e32 v10, v49, v51
	;; [unrolled: 1-line block ×4, first 2 shown]
	v_add_nc_u32_e32 v34, -6, v15
	v_add_nc_u32_e32 v33, -5, v15
	v_add_nc_u32_e32 v32, -4, v15
	v_add_nc_u32_e32 v31, -3, v15
	v_add_nc_u32_e32 v30, -2, v15
	v_add_nc_u32_e32 v29, -1, v15
	s_and_saveexec_b32 s9, vcc_lo
	s_cbranch_execz .LBB292_419
; %bb.418:                              ;   in Loop: Header=BB292_353 Depth=1
	v_cmp_gt_i32_e64 s0, s27, v28
	v_cndmask_b32_e64 v2, 0, v51, s0
	v_cmp_gt_i32_e64 s0, s27, v34
	v_cndmask_b32_e64 v10, 0, v49, s0
	v_cmp_gt_i32_e64 s0, s27, v33
	v_or_b32_e32 v10, v10, v2
	v_cndmask_b32_e64 v43, 0, v46, s0
	v_cmp_gt_i32_e64 s0, s27, v32
	v_cndmask_b32_e64 v11, 0, v11, s0
	v_cmp_gt_i32_e64 s0, s27, v31
	v_or_b32_e32 v2, v11, v43
	;; [unrolled: 5-line block ×3, first 2 shown]
	v_cndmask_b32_e64 v47, 0, v48, s0
	v_cmp_gt_i32_e64 s0, s27, v15
	v_cndmask_b32_e64 v44, 0, v44, s0
	v_or_b32_e32 v45, v44, v47
.LBB292_419:                            ;   in Loop: Header=BB292_353 Depth=1
	s_or_b32 exec_lo, exec_lo, s9
	v_and_b32_e32 v11, 0xffff, v35
	v_and_b32_e32 v35, 0xffff, v38
	;; [unrolled: 1-line block ×4, first 2 shown]
	v_lshl_or_b32 v39, v36, 16, v11
	v_lshl_or_b32 v38, v37, 16, v35
	;;#ASMSTART
	v_pk_mul_f16 v10, v39, v10;

	;;#ASMEND
	;;#ASMSTART
	v_pk_mul_f16 v2, v38, v2;

	;;#ASMEND
	v_lshl_or_b32 v36, v40, 16, v44
	v_lshl_or_b32 v35, v41, 16, v42
	;;#ASMSTART
	v_pk_mul_f16 v11, v36, v43;

	;;#ASMEND
	;;#ASMSTART
	v_pk_mul_f16 v37, v35, v45;

	;;#ASMEND
	;;#ASMSTART
	v_pk_add_f16 v2, v10, v2;

	;;#ASMEND
	;;#ASMSTART
	v_pk_add_f16 v2, v2, v11;
	;; [unrolled: 4-line block ×3, first 2 shown]

	;;#ASMEND
	v_and_b32_e32 v10, 0xffff, v2
	v_lshrrev_b32_e32 v2, 16, v2
	;;#ASMSTART
	v_cvt_f32_f16 v37, v10;
	;;#ASMEND
	;;#ASMSTART
	v_cvt_f32_f16 v40, v2;
	;;#ASMEND
	global_load_dwordx2 v[10:11], v[8:9], off offset:256
	v_mov_b32_e32 v42, 0
	v_mov_b32_e32 v43, 0
	global_load_dword v41, v42, s[14:15]
	s_waitcnt vmcnt(1)
	v_cmp_ne_u16_sdwa s0, v10, v3 src0_sel:BYTE_0 src1_sel:DWORD
	s_and_saveexec_b32 s9, s0
	s_cbranch_execz .LBB292_427
; %bb.420:                              ;   in Loop: Header=BB292_353 Depth=1
	v_cmp_ne_u16_sdwa s0, v10, v24 src0_sel:BYTE_0 src1_sel:DWORD
	v_mov_b32_e32 v43, 0x8000
	s_and_saveexec_b32 s12, s0
	s_cbranch_execz .LBB292_426
; %bb.421:                              ;   in Loop: Header=BB292_353 Depth=1
	v_and_b32_e32 v44, 0x7f, v10
	v_mov_b32_e32 v43, 0x7c01
	s_mov_b32 s13, exec_lo
	v_cmpx_ne_u32_e32 0x7f, v44
	s_cbranch_execz .LBB292_425
; %bb.422:                              ;   in Loop: Header=BB292_353 Depth=1
	v_and_b32_e32 v2, 7, v10
	v_lshrrev_b32_e32 v43, 3, v44
	s_mov_b32 s17, exec_lo
	v_cmpx_gt_u32_e32 8, v44
; %bb.423:                              ;   in Loop: Header=BB292_353 Depth=1
	v_ffbh_u32_e32 v2, v2
	v_min_u32_e32 v2, 32, v2
	v_subrev_nc_u32_e32 v43, 28, v2
	v_lshlrev_b64 v[44:45], v43, v[10:11]
	v_sub_nc_u32_e32 v43, 29, v2
	v_and_b32_e32 v2, 7, v44
; %bb.424:                              ;   in Loop: Header=BB292_353 Depth=1
	s_or_b32 exec_lo, exec_lo, s17
	v_lshlrev_b32_e32 v44, 8, v10
	v_lshl_add_u32 v43, v43, 10, 0x2000
	v_lshlrev_b32_e32 v2, 7, v2
	v_and_b32_e32 v44, 0x8000, v44
	v_and_b32_e32 v43, 0xfc00, v43
	v_or3_b32 v43, v44, v43, v2
.LBB292_425:                            ;   in Loop: Header=BB292_353 Depth=1
	s_or_b32 exec_lo, exec_lo, s13
.LBB292_426:                            ;   in Loop: Header=BB292_353 Depth=1
	s_or_b32 exec_lo, exec_lo, s12
.LBB292_427:                            ;   in Loop: Header=BB292_353 Depth=1
	s_or_b32 exec_lo, exec_lo, s9
	v_lshrrev_b16 v2, 8, v10
	s_mov_b32 s9, exec_lo
	v_cmpx_ne_u16_e32 0, v2
	s_cbranch_execz .LBB292_435
; %bb.428:                              ;   in Loop: Header=BB292_353 Depth=1
	v_bfrev_b32_e32 v42, 1
	s_mov_b32 s12, exec_lo
	v_cmpx_ne_u16_e32 0x80, v2
	s_cbranch_execz .LBB292_434
; %bb.429:                              ;   in Loop: Header=BB292_353 Depth=1
	v_and_b32_sdwa v45, v2, v25 dst_sel:DWORD dst_unused:UNUSED_PAD src0_sel:WORD_0 src1_sel:DWORD
	v_mov_b32_e32 v42, 0x7c010000
	s_mov_b32 s13, exec_lo
	v_cmpx_ne_u32_e32 0x7f, v45
	s_cbranch_execz .LBB292_433
; %bb.430:                              ;   in Loop: Header=BB292_353 Depth=1
	v_and_b32_sdwa v42, v2, v26 dst_sel:DWORD dst_unused:UNUSED_PAD src0_sel:WORD_0 src1_sel:DWORD
	v_lshrrev_b32_e32 v44, 3, v45
	s_mov_b32 s17, exec_lo
	v_cmpx_gt_u32_e32 8, v45
; %bb.431:                              ;   in Loop: Header=BB292_353 Depth=1
	v_ffbh_u32_e32 v42, v42
	v_min_u32_e32 v42, 32, v42
	v_subrev_nc_u32_e32 v44, 28, v42
	v_lshlrev_b64 v[45:46], v44, v[2:3]
	v_sub_nc_u32_e32 v44, 29, v42
	v_and_b32_e32 v42, 7, v45
; %bb.432:                              ;   in Loop: Header=BB292_353 Depth=1
	s_or_b32 exec_lo, exec_lo, s17
	v_lshlrev_b32_sdwa v2, v27, v2 dst_sel:DWORD dst_unused:UNUSED_PAD src0_sel:DWORD src1_sel:WORD_0
	v_lshl_add_u32 v44, v44, 10, 0x2000
	v_lshlrev_b32_e32 v42, 23, v42
	v_and_or_b32 v2, 0x8000, v2, v44
	v_lshl_or_b32 v42, v2, 16, v42
.LBB292_433:                            ;   in Loop: Header=BB292_353 Depth=1
	s_or_b32 exec_lo, exec_lo, s13
.LBB292_434:                            ;   in Loop: Header=BB292_353 Depth=1
	s_or_b32 exec_lo, exec_lo, s12
.LBB292_435:                            ;   in Loop: Header=BB292_353 Depth=1
	s_or_b32 exec_lo, exec_lo, s9
	v_lshrrev_b32_e32 v2, 16, v10
	v_mov_b32_e32 v44, 0
	v_mov_b32_e32 v45, 0
	v_cmp_ne_u16_sdwa s0, v2, v3 src0_sel:BYTE_0 src1_sel:DWORD
	s_and_saveexec_b32 s9, s0
	s_cbranch_execz .LBB292_443
; %bb.436:                              ;   in Loop: Header=BB292_353 Depth=1
	v_cmp_ne_u16_sdwa s0, v2, v24 src0_sel:BYTE_0 src1_sel:DWORD
	v_mov_b32_e32 v45, 0x8000
	s_and_saveexec_b32 s12, s0
	s_cbranch_execz .LBB292_442
; %bb.437:                              ;   in Loop: Header=BB292_353 Depth=1
	v_bfe_u32 v47, v10, 16, 7
	v_mov_b32_e32 v45, 0x7c01
	s_mov_b32 s13, exec_lo
	v_cmpx_ne_u32_e32 0x7f, v47
	s_cbranch_execz .LBB292_441
; %bb.438:                              ;   in Loop: Header=BB292_353 Depth=1
	v_and_b32_e32 v45, 7, v2
	v_lshrrev_b32_e32 v46, 3, v47
	s_mov_b32 s17, exec_lo
	v_cmpx_gt_u32_e32 8, v47
; %bb.439:                              ;   in Loop: Header=BB292_353 Depth=1
	v_ffbh_u32_e32 v45, v45
	v_min_u32_e32 v47, 32, v45
	v_subrev_nc_u32_e32 v45, 28, v47
	v_lshlrev_b64 v[45:46], v45, v[2:3]
	v_sub_nc_u32_e32 v46, 29, v47
	v_and_b32_e32 v45, 7, v45
; %bb.440:                              ;   in Loop: Header=BB292_353 Depth=1
	s_or_b32 exec_lo, exec_lo, s17
	v_lshlrev_b32_e32 v2, 8, v2
	v_lshl_add_u32 v46, v46, 10, 0x2000
	v_lshlrev_b32_e32 v45, 7, v45
	v_and_b32_e32 v2, 0x8000, v2
	v_and_b32_e32 v46, 0xfc00, v46
	v_or3_b32 v45, v2, v46, v45
.LBB292_441:                            ;   in Loop: Header=BB292_353 Depth=1
	s_or_b32 exec_lo, exec_lo, s13
.LBB292_442:                            ;   in Loop: Header=BB292_353 Depth=1
	s_or_b32 exec_lo, exec_lo, s12
.LBB292_443:                            ;   in Loop: Header=BB292_353 Depth=1
	s_or_b32 exec_lo, exec_lo, s9
	s_mov_b32 s9, exec_lo
	v_cmpx_lt_u32_e32 0xffffff, v10
	s_cbranch_execz .LBB292_451
; %bb.444:                              ;   in Loop: Header=BB292_353 Depth=1
	v_lshrrev_b32_e32 v2, 24, v10
	v_bfrev_b32_e32 v44, 1
	s_mov_b32 s12, exec_lo
	v_cmpx_ne_u32_e32 0x80, v2
	s_cbranch_execz .LBB292_450
; %bb.445:                              ;   in Loop: Header=BB292_353 Depth=1
	v_and_b32_e32 v47, 0x7f, v2
	v_mov_b32_e32 v44, 0x7c010000
	s_mov_b32 s13, exec_lo
	v_cmpx_ne_u32_e32 0x7f, v47
	s_cbranch_execz .LBB292_449
; %bb.446:                              ;   in Loop: Header=BB292_353 Depth=1
	v_and_b32_e32 v44, 7, v2
	v_lshrrev_b32_e32 v46, 3, v47
	s_mov_b32 s17, exec_lo
	v_cmpx_gt_u32_e32 8, v47
; %bb.447:                              ;   in Loop: Header=BB292_353 Depth=1
	v_ffbh_u32_e32 v44, v44
	v_min_u32_e32 v44, 32, v44
	v_subrev_nc_u32_e32 v46, 28, v44
	v_lshlrev_b64 v[47:48], v46, v[2:3]
	v_sub_nc_u32_e32 v46, 29, v44
	v_and_b32_e32 v44, 7, v47
; %bb.448:                              ;   in Loop: Header=BB292_353 Depth=1
	s_or_b32 exec_lo, exec_lo, s17
	v_lshlrev_b32_e32 v2, 8, v2
	v_lshl_add_u32 v46, v46, 10, 0x2000
	v_lshlrev_b32_e32 v44, 23, v44
	v_and_or_b32 v2, 0x8000, v2, v46
	v_lshl_or_b32 v44, v2, 16, v44
.LBB292_449:                            ;   in Loop: Header=BB292_353 Depth=1
	s_or_b32 exec_lo, exec_lo, s13
.LBB292_450:                            ;   in Loop: Header=BB292_353 Depth=1
	s_or_b32 exec_lo, exec_lo, s12
.LBB292_451:                            ;   in Loop: Header=BB292_353 Depth=1
	s_or_b32 exec_lo, exec_lo, s9
	v_mov_b32_e32 v2, v11
	v_cmp_ne_u16_sdwa s0, v11, v3 src0_sel:BYTE_0 src1_sel:DWORD
	v_mov_b32_e32 v46, 0
	v_mov_b32_e32 v47, 0
	s_and_saveexec_b32 s9, s0
	s_cbranch_execz .LBB292_459
; %bb.452:                              ;   in Loop: Header=BB292_353 Depth=1
	v_cmp_ne_u16_sdwa s0, v11, v24 src0_sel:BYTE_0 src1_sel:DWORD
	v_mov_b32_e32 v47, 0x8000
	s_and_saveexec_b32 s12, s0
	s_cbranch_execz .LBB292_458
; %bb.453:                              ;   in Loop: Header=BB292_353 Depth=1
	v_and_b32_e32 v49, 0x7f, v11
	v_mov_b32_e32 v47, 0x7c01
	s_mov_b32 s13, exec_lo
	v_cmpx_ne_u32_e32 0x7f, v49
	s_cbranch_execz .LBB292_457
; %bb.454:                              ;   in Loop: Header=BB292_353 Depth=1
	v_and_b32_e32 v47, 7, v11
	v_lshrrev_b32_e32 v48, 3, v49
	s_mov_b32 s17, exec_lo
	v_cmpx_gt_u32_e32 8, v49
; %bb.455:                              ;   in Loop: Header=BB292_353 Depth=1
	v_ffbh_u32_e32 v47, v47
	v_min_u32_e32 v49, 32, v47
	v_subrev_nc_u32_e32 v47, 28, v49
	v_lshlrev_b64 v[47:48], v47, v[2:3]
	v_sub_nc_u32_e32 v48, 29, v49
	v_and_b32_e32 v47, 7, v47
; %bb.456:                              ;   in Loop: Header=BB292_353 Depth=1
	s_or_b32 exec_lo, exec_lo, s17
	v_lshlrev_b32_e32 v49, 8, v11
	v_lshl_add_u32 v48, v48, 10, 0x2000
	v_lshlrev_b32_e32 v47, 7, v47
	v_and_b32_e32 v49, 0x8000, v49
	v_and_b32_e32 v48, 0xfc00, v48
	v_or3_b32 v47, v49, v48, v47
.LBB292_457:                            ;   in Loop: Header=BB292_353 Depth=1
	s_or_b32 exec_lo, exec_lo, s13
.LBB292_458:                            ;   in Loop: Header=BB292_353 Depth=1
	s_or_b32 exec_lo, exec_lo, s12
.LBB292_459:                            ;   in Loop: Header=BB292_353 Depth=1
	s_or_b32 exec_lo, exec_lo, s9
	v_lshrrev_b16 v2, 8, v2
	v_mov_b32_e32 v48, 0
	s_mov_b32 s9, exec_lo
	v_cmpx_ne_u16_e32 0, v2
	s_cbranch_execz .LBB292_467
; %bb.460:                              ;   in Loop: Header=BB292_353 Depth=1
	v_bfrev_b32_e32 v48, 1
	s_mov_b32 s12, exec_lo
	v_cmpx_ne_u16_e32 0x80, v2
	s_cbranch_execz .LBB292_466
; %bb.461:                              ;   in Loop: Header=BB292_353 Depth=1
	v_and_b32_sdwa v50, v2, v25 dst_sel:DWORD dst_unused:UNUSED_PAD src0_sel:WORD_0 src1_sel:DWORD
	v_mov_b32_e32 v48, 0x7c010000
	s_mov_b32 s13, exec_lo
	v_cmpx_ne_u32_e32 0x7f, v50
	s_cbranch_execz .LBB292_465
; %bb.462:                              ;   in Loop: Header=BB292_353 Depth=1
	v_and_b32_sdwa v48, v2, v26 dst_sel:DWORD dst_unused:UNUSED_PAD src0_sel:WORD_0 src1_sel:DWORD
	v_lshrrev_b32_e32 v49, 3, v50
	s_mov_b32 s17, exec_lo
	v_cmpx_gt_u32_e32 8, v50
; %bb.463:                              ;   in Loop: Header=BB292_353 Depth=1
	v_ffbh_u32_e32 v48, v48
	v_min_u32_e32 v50, 32, v48
	v_subrev_nc_u32_e32 v48, 28, v50
	v_lshlrev_b64 v[48:49], v48, v[2:3]
	v_sub_nc_u32_e32 v49, 29, v50
	v_and_b32_e32 v48, 7, v48
; %bb.464:                              ;   in Loop: Header=BB292_353 Depth=1
	s_or_b32 exec_lo, exec_lo, s17
	v_lshlrev_b32_sdwa v2, v27, v2 dst_sel:DWORD dst_unused:UNUSED_PAD src0_sel:DWORD src1_sel:WORD_0
	v_lshl_add_u32 v49, v49, 10, 0x2000
	v_lshlrev_b32_e32 v48, 23, v48
	v_and_or_b32 v2, 0x8000, v2, v49
	v_lshl_or_b32 v48, v2, 16, v48
.LBB292_465:                            ;   in Loop: Header=BB292_353 Depth=1
	s_or_b32 exec_lo, exec_lo, s13
.LBB292_466:                            ;   in Loop: Header=BB292_353 Depth=1
	s_or_b32 exec_lo, exec_lo, s12
.LBB292_467:                            ;   in Loop: Header=BB292_353 Depth=1
	s_or_b32 exec_lo, exec_lo, s9
	v_lshrrev_b32_e32 v2, 16, v11
	v_cmp_ne_u16_sdwa s0, v2, v3 src0_sel:BYTE_0 src1_sel:DWORD
	s_and_saveexec_b32 s9, s0
	s_cbranch_execz .LBB292_475
; %bb.468:                              ;   in Loop: Header=BB292_353 Depth=1
	v_cmp_ne_u16_sdwa s0, v2, v24 src0_sel:BYTE_0 src1_sel:DWORD
	v_mov_b32_e32 v46, 0x8000
	s_and_saveexec_b32 s12, s0
	s_cbranch_execz .LBB292_474
; %bb.469:                              ;   in Loop: Header=BB292_353 Depth=1
	v_bfe_u32 v50, v11, 16, 7
	v_mov_b32_e32 v46, 0x7c01
	s_mov_b32 s13, exec_lo
	v_cmpx_ne_u32_e32 0x7f, v50
	s_cbranch_execz .LBB292_473
; %bb.470:                              ;   in Loop: Header=BB292_353 Depth=1
	v_and_b32_e32 v46, 7, v2
	v_lshrrev_b32_e32 v49, 3, v50
	s_mov_b32 s17, exec_lo
	v_cmpx_gt_u32_e32 8, v50
; %bb.471:                              ;   in Loop: Header=BB292_353 Depth=1
	v_ffbh_u32_e32 v46, v46
	v_min_u32_e32 v46, 32, v46
	v_subrev_nc_u32_e32 v49, 28, v46
	v_lshlrev_b64 v[50:51], v49, v[2:3]
	v_sub_nc_u32_e32 v49, 29, v46
	v_and_b32_e32 v46, 7, v50
; %bb.472:                              ;   in Loop: Header=BB292_353 Depth=1
	s_or_b32 exec_lo, exec_lo, s17
	v_lshlrev_b32_e32 v2, 8, v2
	v_lshl_add_u32 v49, v49, 10, 0x2000
	v_lshlrev_b32_e32 v46, 7, v46
	v_and_b32_e32 v2, 0x8000, v2
	v_and_b32_e32 v49, 0xfc00, v49
	v_or3_b32 v46, v2, v49, v46
.LBB292_473:                            ;   in Loop: Header=BB292_353 Depth=1
	s_or_b32 exec_lo, exec_lo, s13
.LBB292_474:                            ;   in Loop: Header=BB292_353 Depth=1
	s_or_b32 exec_lo, exec_lo, s12
.LBB292_475:                            ;   in Loop: Header=BB292_353 Depth=1
	s_or_b32 exec_lo, exec_lo, s9
	v_cmp_lt_u64_e64 s0, s[4:5], v[10:11]
	v_mov_b32_e32 v10, 0
	s_and_saveexec_b32 s9, s0
	s_cbranch_execz .LBB292_483
; %bb.476:                              ;   in Loop: Header=BB292_353 Depth=1
	v_lshrrev_b32_e32 v2, 24, v11
	v_bfrev_b32_e32 v10, 1
	s_mov_b32 s12, exec_lo
	v_cmpx_ne_u32_e32 0x80, v2
	s_cbranch_execz .LBB292_482
; %bb.477:                              ;   in Loop: Header=BB292_353 Depth=1
	v_and_b32_e32 v49, 0x7f, v2
	v_mov_b32_e32 v10, 0x7c010000
	s_mov_b32 s13, exec_lo
	v_cmpx_ne_u32_e32 0x7f, v49
	s_cbranch_execz .LBB292_481
; %bb.478:                              ;   in Loop: Header=BB292_353 Depth=1
	v_and_b32_e32 v10, 7, v2
	v_lshrrev_b32_e32 v11, 3, v49
	s_mov_b32 s17, exec_lo
	v_cmpx_gt_u32_e32 8, v49
; %bb.479:                              ;   in Loop: Header=BB292_353 Depth=1
	v_ffbh_u32_e32 v10, v10
	v_min_u32_e32 v49, 32, v10
	v_subrev_nc_u32_e32 v10, 28, v49
	v_lshlrev_b64 v[10:11], v10, v[2:3]
	v_sub_nc_u32_e32 v11, 29, v49
	v_and_b32_e32 v10, 7, v10
; %bb.480:                              ;   in Loop: Header=BB292_353 Depth=1
	s_or_b32 exec_lo, exec_lo, s17
	v_lshlrev_b32_e32 v2, 8, v2
	v_lshl_add_u32 v11, v11, 10, 0x2000
	v_lshlrev_b32_e32 v10, 23, v10
	v_and_or_b32 v2, 0x8000, v2, v11
	v_lshl_or_b32 v10, v2, 16, v10
.LBB292_481:                            ;   in Loop: Header=BB292_353 Depth=1
	s_or_b32 exec_lo, exec_lo, s13
.LBB292_482:                            ;   in Loop: Header=BB292_353 Depth=1
	s_or_b32 exec_lo, exec_lo, s12
.LBB292_483:                            ;   in Loop: Header=BB292_353 Depth=1
	s_or_b32 exec_lo, exec_lo, s9
	v_or_b32_e32 v2, v44, v45
	s_waitcnt vmcnt(0)
	v_fma_mixlo_f16 v11, v41, v44, 0 op_sel:[0,1,0] op_sel_hi:[0,1,0]
	v_or_b32_e32 v44, v42, v43
	v_fma_mixlo_f16 v42, v41, v42, 0 op_sel:[0,1,0] op_sel_hi:[0,1,0]
	v_or_b32_e32 v45, v48, v47
	v_or_b32_e32 v46, v10, v46
	v_fma_mixlo_f16 v47, v41, v2, 0 op_sel_hi:[0,1,0]
	v_fma_mixlo_f16 v10, v41, v10, 0 op_sel:[0,1,0] op_sel_hi:[0,1,0]
	v_lshlrev_b32_e32 v43, 16, v42
	v_fma_mixlo_f16 v42, v41, v44, 0 op_sel_hi:[0,1,0]
	v_fma_mixlo_f16 v44, v41, v48, 0 op_sel:[0,1,0] op_sel_hi:[0,1,0]
	v_fma_mixlo_f16 v45, v41, v45, 0 op_sel_hi:[0,1,0]
	v_fma_mixlo_f16 v46, v41, v46, 0 op_sel_hi:[0,1,0]
	v_lshlrev_b32_e32 v2, 16, v11
	v_and_b32_e32 v11, 0xffff, v47
	v_and_b32_e32 v49, 0xffff, v42
	v_lshlrev_b32_e32 v41, 16, v44
	v_and_b32_e32 v45, 0xffff, v45
	v_lshlrev_b32_e32 v10, 16, v10
	v_and_b32_e32 v42, 0xffff, v46
	v_or_b32_e32 v44, v2, v11
	v_or_b32_e32 v48, v43, v49
	;; [unrolled: 1-line block ×4, first 2 shown]
	s_and_saveexec_b32 s9, vcc_lo
	s_cbranch_execz .LBB292_485
; %bb.484:                              ;   in Loop: Header=BB292_353 Depth=1
	v_cmp_gt_i32_e64 s0, s27, v28
	v_cndmask_b32_e64 v44, 0, v49, s0
	v_cmp_gt_i32_e64 s0, s27, v34
	v_cndmask_b32_e64 v43, 0, v43, s0
	v_cmp_gt_i32_e64 s0, s27, v33
	v_or_b32_e32 v48, v43, v44
	v_cndmask_b32_e64 v11, 0, v11, s0
	v_cmp_gt_i32_e64 s0, s27, v32
	v_cndmask_b32_e64 v2, 0, v2, s0
	v_cmp_gt_i32_e64 s0, s27, v31
	v_or_b32_e32 v44, v2, v11
	;; [unrolled: 5-line block ×3, first 2 shown]
	v_cndmask_b32_e64 v42, 0, v42, s0
	v_cmp_gt_i32_e64 s0, s27, v15
	v_cndmask_b32_e64 v10, 0, v10, s0
	v_or_b32_e32 v46, v10, v42
.LBB292_485:                            ;   in Loop: Header=BB292_353 Depth=1
	s_or_b32 exec_lo, exec_lo, s9
	;;#ASMSTART
	v_pk_mul_f16 v2, v39, v48;

	;;#ASMEND
	;;#ASMSTART
	v_pk_mul_f16 v10, v38, v44;

	;;#ASMEND
	;; [unrolled: 4-line block ×4, first 2 shown]
	;;#ASMSTART
	v_pk_add_f16 v2, v2, v10;

	;;#ASMEND
	;;#ASMSTART
	v_pk_add_f16 v2, v2, v11;

	;;#ASMEND
	;; [unrolled: 4-line block ×3, first 2 shown]
	v_and_b32_e32 v10, 0xffff, v2
	v_lshrrev_b32_e32 v2, 16, v2
	;;#ASMSTART
	v_cvt_f32_f16 v41, v10;
	;;#ASMEND
	;;#ASMSTART
	v_cvt_f32_f16 v42, v2;
	;;#ASMEND
	global_load_dwordx2 v[10:11], v[8:9], off offset:512
	v_mov_b32_e32 v44, 0
	v_mov_b32_e32 v45, 0
	global_load_dword v43, v44, s[14:15]
	s_waitcnt vmcnt(1)
	v_cmp_ne_u16_sdwa s0, v10, v3 src0_sel:BYTE_0 src1_sel:DWORD
	s_and_saveexec_b32 s9, s0
	s_cbranch_execz .LBB292_493
; %bb.486:                              ;   in Loop: Header=BB292_353 Depth=1
	v_cmp_ne_u16_sdwa s0, v10, v24 src0_sel:BYTE_0 src1_sel:DWORD
	v_mov_b32_e32 v45, 0x8000
	s_and_saveexec_b32 s12, s0
	s_cbranch_execz .LBB292_492
; %bb.487:                              ;   in Loop: Header=BB292_353 Depth=1
	v_and_b32_e32 v46, 0x7f, v10
	v_mov_b32_e32 v45, 0x7c01
	s_mov_b32 s13, exec_lo
	v_cmpx_ne_u32_e32 0x7f, v46
	s_cbranch_execz .LBB292_491
; %bb.488:                              ;   in Loop: Header=BB292_353 Depth=1
	v_and_b32_e32 v2, 7, v10
	v_lshrrev_b32_e32 v45, 3, v46
	s_mov_b32 s17, exec_lo
	v_cmpx_gt_u32_e32 8, v46
; %bb.489:                              ;   in Loop: Header=BB292_353 Depth=1
	v_ffbh_u32_e32 v2, v2
	v_min_u32_e32 v2, 32, v2
	v_subrev_nc_u32_e32 v45, 28, v2
	v_lshlrev_b64 v[46:47], v45, v[10:11]
	v_sub_nc_u32_e32 v45, 29, v2
	v_and_b32_e32 v2, 7, v46
; %bb.490:                              ;   in Loop: Header=BB292_353 Depth=1
	s_or_b32 exec_lo, exec_lo, s17
	v_lshlrev_b32_e32 v46, 8, v10
	v_lshl_add_u32 v45, v45, 10, 0x2000
	v_lshlrev_b32_e32 v2, 7, v2
	v_and_b32_e32 v46, 0x8000, v46
	v_and_b32_e32 v45, 0xfc00, v45
	v_or3_b32 v45, v46, v45, v2
.LBB292_491:                            ;   in Loop: Header=BB292_353 Depth=1
	s_or_b32 exec_lo, exec_lo, s13
.LBB292_492:                            ;   in Loop: Header=BB292_353 Depth=1
	s_or_b32 exec_lo, exec_lo, s12
.LBB292_493:                            ;   in Loop: Header=BB292_353 Depth=1
	s_or_b32 exec_lo, exec_lo, s9
	v_lshrrev_b16 v2, 8, v10
	s_mov_b32 s9, exec_lo
	v_cmpx_ne_u16_e32 0, v2
	s_cbranch_execz .LBB292_501
; %bb.494:                              ;   in Loop: Header=BB292_353 Depth=1
	v_bfrev_b32_e32 v44, 1
	s_mov_b32 s12, exec_lo
	v_cmpx_ne_u16_e32 0x80, v2
	s_cbranch_execz .LBB292_500
; %bb.495:                              ;   in Loop: Header=BB292_353 Depth=1
	v_and_b32_sdwa v47, v2, v25 dst_sel:DWORD dst_unused:UNUSED_PAD src0_sel:WORD_0 src1_sel:DWORD
	v_mov_b32_e32 v44, 0x7c010000
	s_mov_b32 s13, exec_lo
	v_cmpx_ne_u32_e32 0x7f, v47
	s_cbranch_execz .LBB292_499
; %bb.496:                              ;   in Loop: Header=BB292_353 Depth=1
	v_and_b32_sdwa v44, v2, v26 dst_sel:DWORD dst_unused:UNUSED_PAD src0_sel:WORD_0 src1_sel:DWORD
	v_lshrrev_b32_e32 v46, 3, v47
	s_mov_b32 s17, exec_lo
	v_cmpx_gt_u32_e32 8, v47
; %bb.497:                              ;   in Loop: Header=BB292_353 Depth=1
	v_ffbh_u32_e32 v44, v44
	v_min_u32_e32 v44, 32, v44
	v_subrev_nc_u32_e32 v46, 28, v44
	v_lshlrev_b64 v[47:48], v46, v[2:3]
	v_sub_nc_u32_e32 v46, 29, v44
	v_and_b32_e32 v44, 7, v47
; %bb.498:                              ;   in Loop: Header=BB292_353 Depth=1
	s_or_b32 exec_lo, exec_lo, s17
	v_lshlrev_b32_sdwa v2, v27, v2 dst_sel:DWORD dst_unused:UNUSED_PAD src0_sel:DWORD src1_sel:WORD_0
	v_lshl_add_u32 v46, v46, 10, 0x2000
	v_lshlrev_b32_e32 v44, 23, v44
	v_and_or_b32 v2, 0x8000, v2, v46
	v_lshl_or_b32 v44, v2, 16, v44
.LBB292_499:                            ;   in Loop: Header=BB292_353 Depth=1
	s_or_b32 exec_lo, exec_lo, s13
.LBB292_500:                            ;   in Loop: Header=BB292_353 Depth=1
	s_or_b32 exec_lo, exec_lo, s12
.LBB292_501:                            ;   in Loop: Header=BB292_353 Depth=1
	s_or_b32 exec_lo, exec_lo, s9
	v_lshrrev_b32_e32 v2, 16, v10
	v_mov_b32_e32 v46, 0
	v_mov_b32_e32 v47, 0
	v_cmp_ne_u16_sdwa s0, v2, v3 src0_sel:BYTE_0 src1_sel:DWORD
	s_and_saveexec_b32 s9, s0
	s_cbranch_execz .LBB292_509
; %bb.502:                              ;   in Loop: Header=BB292_353 Depth=1
	v_cmp_ne_u16_sdwa s0, v2, v24 src0_sel:BYTE_0 src1_sel:DWORD
	v_mov_b32_e32 v47, 0x8000
	s_and_saveexec_b32 s12, s0
	s_cbranch_execz .LBB292_508
; %bb.503:                              ;   in Loop: Header=BB292_353 Depth=1
	v_bfe_u32 v49, v10, 16, 7
	v_mov_b32_e32 v47, 0x7c01
	s_mov_b32 s13, exec_lo
	v_cmpx_ne_u32_e32 0x7f, v49
	s_cbranch_execz .LBB292_507
; %bb.504:                              ;   in Loop: Header=BB292_353 Depth=1
	v_and_b32_e32 v47, 7, v2
	v_lshrrev_b32_e32 v48, 3, v49
	s_mov_b32 s17, exec_lo
	v_cmpx_gt_u32_e32 8, v49
; %bb.505:                              ;   in Loop: Header=BB292_353 Depth=1
	v_ffbh_u32_e32 v47, v47
	v_min_u32_e32 v49, 32, v47
	v_subrev_nc_u32_e32 v47, 28, v49
	v_lshlrev_b64 v[47:48], v47, v[2:3]
	v_sub_nc_u32_e32 v48, 29, v49
	v_and_b32_e32 v47, 7, v47
; %bb.506:                              ;   in Loop: Header=BB292_353 Depth=1
	s_or_b32 exec_lo, exec_lo, s17
	v_lshlrev_b32_e32 v2, 8, v2
	v_lshl_add_u32 v48, v48, 10, 0x2000
	v_lshlrev_b32_e32 v47, 7, v47
	v_and_b32_e32 v2, 0x8000, v2
	v_and_b32_e32 v48, 0xfc00, v48
	v_or3_b32 v47, v2, v48, v47
.LBB292_507:                            ;   in Loop: Header=BB292_353 Depth=1
	s_or_b32 exec_lo, exec_lo, s13
.LBB292_508:                            ;   in Loop: Header=BB292_353 Depth=1
	s_or_b32 exec_lo, exec_lo, s12
.LBB292_509:                            ;   in Loop: Header=BB292_353 Depth=1
	s_or_b32 exec_lo, exec_lo, s9
	s_mov_b32 s9, exec_lo
	v_cmpx_lt_u32_e32 0xffffff, v10
	s_cbranch_execz .LBB292_517
; %bb.510:                              ;   in Loop: Header=BB292_353 Depth=1
	v_lshrrev_b32_e32 v2, 24, v10
	v_bfrev_b32_e32 v46, 1
	s_mov_b32 s12, exec_lo
	v_cmpx_ne_u32_e32 0x80, v2
	s_cbranch_execz .LBB292_516
; %bb.511:                              ;   in Loop: Header=BB292_353 Depth=1
	v_and_b32_e32 v49, 0x7f, v2
	v_mov_b32_e32 v46, 0x7c010000
	s_mov_b32 s13, exec_lo
	v_cmpx_ne_u32_e32 0x7f, v49
	s_cbranch_execz .LBB292_515
; %bb.512:                              ;   in Loop: Header=BB292_353 Depth=1
	v_and_b32_e32 v46, 7, v2
	v_lshrrev_b32_e32 v48, 3, v49
	s_mov_b32 s17, exec_lo
	v_cmpx_gt_u32_e32 8, v49
; %bb.513:                              ;   in Loop: Header=BB292_353 Depth=1
	v_ffbh_u32_e32 v46, v46
	v_min_u32_e32 v46, 32, v46
	v_subrev_nc_u32_e32 v48, 28, v46
	v_lshlrev_b64 v[49:50], v48, v[2:3]
	v_sub_nc_u32_e32 v48, 29, v46
	v_and_b32_e32 v46, 7, v49
; %bb.514:                              ;   in Loop: Header=BB292_353 Depth=1
	s_or_b32 exec_lo, exec_lo, s17
	v_lshlrev_b32_e32 v2, 8, v2
	v_lshl_add_u32 v48, v48, 10, 0x2000
	v_lshlrev_b32_e32 v46, 23, v46
	v_and_or_b32 v2, 0x8000, v2, v48
	v_lshl_or_b32 v46, v2, 16, v46
.LBB292_515:                            ;   in Loop: Header=BB292_353 Depth=1
	s_or_b32 exec_lo, exec_lo, s13
.LBB292_516:                            ;   in Loop: Header=BB292_353 Depth=1
	s_or_b32 exec_lo, exec_lo, s12
.LBB292_517:                            ;   in Loop: Header=BB292_353 Depth=1
	s_or_b32 exec_lo, exec_lo, s9
	v_mov_b32_e32 v2, v11
	v_cmp_ne_u16_sdwa s0, v11, v3 src0_sel:BYTE_0 src1_sel:DWORD
	v_mov_b32_e32 v48, 0
	v_mov_b32_e32 v49, 0
	s_and_saveexec_b32 s9, s0
	s_cbranch_execz .LBB292_525
; %bb.518:                              ;   in Loop: Header=BB292_353 Depth=1
	v_cmp_ne_u16_sdwa s0, v11, v24 src0_sel:BYTE_0 src1_sel:DWORD
	v_mov_b32_e32 v49, 0x8000
	s_and_saveexec_b32 s12, s0
	s_cbranch_execz .LBB292_524
; %bb.519:                              ;   in Loop: Header=BB292_353 Depth=1
	v_and_b32_e32 v51, 0x7f, v11
	v_mov_b32_e32 v49, 0x7c01
	s_mov_b32 s13, exec_lo
	v_cmpx_ne_u32_e32 0x7f, v51
	s_cbranch_execz .LBB292_523
; %bb.520:                              ;   in Loop: Header=BB292_353 Depth=1
	v_and_b32_e32 v49, 7, v11
	v_lshrrev_b32_e32 v50, 3, v51
	s_mov_b32 s17, exec_lo
	v_cmpx_gt_u32_e32 8, v51
; %bb.521:                              ;   in Loop: Header=BB292_353 Depth=1
	v_ffbh_u32_e32 v49, v49
	v_min_u32_e32 v51, 32, v49
	v_subrev_nc_u32_e32 v49, 28, v51
	v_lshlrev_b64 v[49:50], v49, v[2:3]
	v_sub_nc_u32_e32 v50, 29, v51
	v_and_b32_e32 v49, 7, v49
; %bb.522:                              ;   in Loop: Header=BB292_353 Depth=1
	s_or_b32 exec_lo, exec_lo, s17
	v_lshlrev_b32_e32 v51, 8, v11
	v_lshl_add_u32 v50, v50, 10, 0x2000
	v_lshlrev_b32_e32 v49, 7, v49
	v_and_b32_e32 v51, 0x8000, v51
	v_and_b32_e32 v50, 0xfc00, v50
	v_or3_b32 v49, v51, v50, v49
.LBB292_523:                            ;   in Loop: Header=BB292_353 Depth=1
	s_or_b32 exec_lo, exec_lo, s13
.LBB292_524:                            ;   in Loop: Header=BB292_353 Depth=1
	s_or_b32 exec_lo, exec_lo, s12
.LBB292_525:                            ;   in Loop: Header=BB292_353 Depth=1
	s_or_b32 exec_lo, exec_lo, s9
	v_lshrrev_b16 v2, 8, v2
	v_mov_b32_e32 v50, 0
	s_mov_b32 s9, exec_lo
	v_cmpx_ne_u16_e32 0, v2
	s_cbranch_execz .LBB292_533
; %bb.526:                              ;   in Loop: Header=BB292_353 Depth=1
	v_bfrev_b32_e32 v50, 1
	s_mov_b32 s12, exec_lo
	v_cmpx_ne_u16_e32 0x80, v2
	s_cbranch_execz .LBB292_532
; %bb.527:                              ;   in Loop: Header=BB292_353 Depth=1
	v_and_b32_sdwa v52, v2, v25 dst_sel:DWORD dst_unused:UNUSED_PAD src0_sel:WORD_0 src1_sel:DWORD
	v_mov_b32_e32 v50, 0x7c010000
	s_mov_b32 s13, exec_lo
	v_cmpx_ne_u32_e32 0x7f, v52
	s_cbranch_execz .LBB292_531
; %bb.528:                              ;   in Loop: Header=BB292_353 Depth=1
	v_and_b32_sdwa v50, v2, v26 dst_sel:DWORD dst_unused:UNUSED_PAD src0_sel:WORD_0 src1_sel:DWORD
	v_lshrrev_b32_e32 v51, 3, v52
	s_mov_b32 s17, exec_lo
	v_cmpx_gt_u32_e32 8, v52
; %bb.529:                              ;   in Loop: Header=BB292_353 Depth=1
	v_ffbh_u32_e32 v50, v50
	v_min_u32_e32 v52, 32, v50
	v_subrev_nc_u32_e32 v50, 28, v52
	v_lshlrev_b64 v[50:51], v50, v[2:3]
	v_sub_nc_u32_e32 v51, 29, v52
	v_and_b32_e32 v50, 7, v50
; %bb.530:                              ;   in Loop: Header=BB292_353 Depth=1
	s_or_b32 exec_lo, exec_lo, s17
	v_lshlrev_b32_sdwa v2, v27, v2 dst_sel:DWORD dst_unused:UNUSED_PAD src0_sel:DWORD src1_sel:WORD_0
	v_lshl_add_u32 v51, v51, 10, 0x2000
	v_lshlrev_b32_e32 v50, 23, v50
	v_and_or_b32 v2, 0x8000, v2, v51
	v_lshl_or_b32 v50, v2, 16, v50
.LBB292_531:                            ;   in Loop: Header=BB292_353 Depth=1
	s_or_b32 exec_lo, exec_lo, s13
.LBB292_532:                            ;   in Loop: Header=BB292_353 Depth=1
	s_or_b32 exec_lo, exec_lo, s12
.LBB292_533:                            ;   in Loop: Header=BB292_353 Depth=1
	s_or_b32 exec_lo, exec_lo, s9
	v_lshrrev_b32_e32 v2, 16, v11
	v_cmp_ne_u16_sdwa s0, v2, v3 src0_sel:BYTE_0 src1_sel:DWORD
	s_and_saveexec_b32 s9, s0
	s_cbranch_execz .LBB292_541
; %bb.534:                              ;   in Loop: Header=BB292_353 Depth=1
	v_cmp_ne_u16_sdwa s0, v2, v24 src0_sel:BYTE_0 src1_sel:DWORD
	v_mov_b32_e32 v48, 0x8000
	s_and_saveexec_b32 s12, s0
	s_cbranch_execz .LBB292_540
; %bb.535:                              ;   in Loop: Header=BB292_353 Depth=1
	v_bfe_u32 v52, v11, 16, 7
	v_mov_b32_e32 v48, 0x7c01
	s_mov_b32 s13, exec_lo
	v_cmpx_ne_u32_e32 0x7f, v52
	s_cbranch_execz .LBB292_539
; %bb.536:                              ;   in Loop: Header=BB292_353 Depth=1
	v_and_b32_e32 v48, 7, v2
	v_lshrrev_b32_e32 v51, 3, v52
	s_mov_b32 s17, exec_lo
	v_cmpx_gt_u32_e32 8, v52
; %bb.537:                              ;   in Loop: Header=BB292_353 Depth=1
	v_ffbh_u32_e32 v48, v48
	v_min_u32_e32 v48, 32, v48
	v_subrev_nc_u32_e32 v51, 28, v48
	v_lshlrev_b64 v[52:53], v51, v[2:3]
	v_sub_nc_u32_e32 v51, 29, v48
	v_and_b32_e32 v48, 7, v52
; %bb.538:                              ;   in Loop: Header=BB292_353 Depth=1
	s_or_b32 exec_lo, exec_lo, s17
	v_lshlrev_b32_e32 v2, 8, v2
	v_lshl_add_u32 v51, v51, 10, 0x2000
	v_lshlrev_b32_e32 v48, 7, v48
	v_and_b32_e32 v2, 0x8000, v2
	v_and_b32_e32 v51, 0xfc00, v51
	v_or3_b32 v48, v2, v51, v48
.LBB292_539:                            ;   in Loop: Header=BB292_353 Depth=1
	s_or_b32 exec_lo, exec_lo, s13
.LBB292_540:                            ;   in Loop: Header=BB292_353 Depth=1
	s_or_b32 exec_lo, exec_lo, s12
.LBB292_541:                            ;   in Loop: Header=BB292_353 Depth=1
	s_or_b32 exec_lo, exec_lo, s9
	v_cmp_lt_u64_e64 s0, s[4:5], v[10:11]
	v_mov_b32_e32 v10, 0
	s_and_saveexec_b32 s9, s0
	s_cbranch_execz .LBB292_549
; %bb.542:                              ;   in Loop: Header=BB292_353 Depth=1
	v_lshrrev_b32_e32 v2, 24, v11
	v_bfrev_b32_e32 v10, 1
	s_mov_b32 s12, exec_lo
	v_cmpx_ne_u32_e32 0x80, v2
	s_cbranch_execz .LBB292_548
; %bb.543:                              ;   in Loop: Header=BB292_353 Depth=1
	v_and_b32_e32 v51, 0x7f, v2
	v_mov_b32_e32 v10, 0x7c010000
	s_mov_b32 s13, exec_lo
	v_cmpx_ne_u32_e32 0x7f, v51
	s_cbranch_execz .LBB292_547
; %bb.544:                              ;   in Loop: Header=BB292_353 Depth=1
	v_and_b32_e32 v10, 7, v2
	v_lshrrev_b32_e32 v11, 3, v51
	s_mov_b32 s17, exec_lo
	v_cmpx_gt_u32_e32 8, v51
; %bb.545:                              ;   in Loop: Header=BB292_353 Depth=1
	v_ffbh_u32_e32 v10, v10
	v_min_u32_e32 v51, 32, v10
	v_subrev_nc_u32_e32 v10, 28, v51
	v_lshlrev_b64 v[10:11], v10, v[2:3]
	v_sub_nc_u32_e32 v11, 29, v51
	v_and_b32_e32 v10, 7, v10
; %bb.546:                              ;   in Loop: Header=BB292_353 Depth=1
	s_or_b32 exec_lo, exec_lo, s17
	v_lshlrev_b32_e32 v2, 8, v2
	v_lshl_add_u32 v11, v11, 10, 0x2000
	v_lshlrev_b32_e32 v10, 23, v10
	v_and_or_b32 v2, 0x8000, v2, v11
	v_lshl_or_b32 v10, v2, 16, v10
.LBB292_547:                            ;   in Loop: Header=BB292_353 Depth=1
	s_or_b32 exec_lo, exec_lo, s13
.LBB292_548:                            ;   in Loop: Header=BB292_353 Depth=1
	s_or_b32 exec_lo, exec_lo, s12
.LBB292_549:                            ;   in Loop: Header=BB292_353 Depth=1
	s_or_b32 exec_lo, exec_lo, s9
	v_or_b32_e32 v2, v46, v47
	s_waitcnt vmcnt(0)
	v_fma_mixlo_f16 v11, v43, v46, 0 op_sel:[0,1,0] op_sel_hi:[0,1,0]
	v_or_b32_e32 v46, v44, v45
	v_fma_mixlo_f16 v44, v43, v44, 0 op_sel:[0,1,0] op_sel_hi:[0,1,0]
	v_or_b32_e32 v47, v50, v49
	v_or_b32_e32 v48, v10, v48
	v_fma_mixlo_f16 v49, v43, v2, 0 op_sel_hi:[0,1,0]
	v_fma_mixlo_f16 v10, v43, v10, 0 op_sel:[0,1,0] op_sel_hi:[0,1,0]
	v_lshlrev_b32_e32 v45, 16, v44
	v_fma_mixlo_f16 v44, v43, v46, 0 op_sel_hi:[0,1,0]
	v_fma_mixlo_f16 v46, v43, v50, 0 op_sel:[0,1,0] op_sel_hi:[0,1,0]
	v_fma_mixlo_f16 v47, v43, v47, 0 op_sel_hi:[0,1,0]
	v_fma_mixlo_f16 v48, v43, v48, 0 op_sel_hi:[0,1,0]
	v_lshlrev_b32_e32 v2, 16, v11
	v_and_b32_e32 v11, 0xffff, v49
	v_and_b32_e32 v51, 0xffff, v44
	v_lshlrev_b32_e32 v43, 16, v46
	v_and_b32_e32 v47, 0xffff, v47
	v_lshlrev_b32_e32 v10, 16, v10
	v_and_b32_e32 v44, 0xffff, v48
	v_or_b32_e32 v46, v2, v11
	v_or_b32_e32 v50, v45, v51
	;; [unrolled: 1-line block ×4, first 2 shown]
	s_and_saveexec_b32 s9, vcc_lo
	s_cbranch_execz .LBB292_551
; %bb.550:                              ;   in Loop: Header=BB292_353 Depth=1
	v_cmp_gt_i32_e64 s0, s27, v28
	v_cndmask_b32_e64 v46, 0, v51, s0
	v_cmp_gt_i32_e64 s0, s27, v34
	v_cndmask_b32_e64 v45, 0, v45, s0
	v_cmp_gt_i32_e64 s0, s27, v33
	v_or_b32_e32 v50, v45, v46
	v_cndmask_b32_e64 v11, 0, v11, s0
	v_cmp_gt_i32_e64 s0, s27, v32
	v_cndmask_b32_e64 v2, 0, v2, s0
	v_cmp_gt_i32_e64 s0, s27, v31
	v_or_b32_e32 v46, v2, v11
	;; [unrolled: 5-line block ×3, first 2 shown]
	v_cndmask_b32_e64 v44, 0, v44, s0
	v_cmp_gt_i32_e64 s0, s27, v15
	v_cndmask_b32_e64 v10, 0, v10, s0
	v_or_b32_e32 v48, v10, v44
.LBB292_551:                            ;   in Loop: Header=BB292_353 Depth=1
	s_or_b32 exec_lo, exec_lo, s9
	;;#ASMSTART
	v_pk_mul_f16 v2, v39, v50;

	;;#ASMEND
	;;#ASMSTART
	v_pk_mul_f16 v10, v38, v46;

	;;#ASMEND
	;; [unrolled: 4-line block ×4, first 2 shown]
	;;#ASMSTART
	v_pk_add_f16 v2, v2, v10;

	;;#ASMEND
	;;#ASMSTART
	v_pk_add_f16 v2, v2, v11;

	;;#ASMEND
	;; [unrolled: 4-line block ×3, first 2 shown]
	v_and_b32_e32 v10, 0xffff, v2
	v_lshrrev_b32_e32 v2, 16, v2
	;;#ASMSTART
	v_cvt_f32_f16 v43, v10;
	;;#ASMEND
	;;#ASMSTART
	v_cvt_f32_f16 v44, v2;
	;;#ASMEND
	global_load_dwordx2 v[10:11], v[8:9], off offset:768
	v_mov_b32_e32 v46, 0
	v_mov_b32_e32 v47, 0
	global_load_dword v45, v46, s[14:15]
	s_waitcnt vmcnt(1)
	v_cmp_ne_u16_sdwa s0, v10, v3 src0_sel:BYTE_0 src1_sel:DWORD
	s_and_saveexec_b32 s9, s0
	s_cbranch_execz .LBB292_559
; %bb.552:                              ;   in Loop: Header=BB292_353 Depth=1
	v_cmp_ne_u16_sdwa s0, v10, v24 src0_sel:BYTE_0 src1_sel:DWORD
	v_mov_b32_e32 v47, 0x8000
	s_and_saveexec_b32 s12, s0
	s_cbranch_execz .LBB292_558
; %bb.553:                              ;   in Loop: Header=BB292_353 Depth=1
	v_and_b32_e32 v48, 0x7f, v10
	v_mov_b32_e32 v47, 0x7c01
	s_mov_b32 s13, exec_lo
	v_cmpx_ne_u32_e32 0x7f, v48
	s_cbranch_execz .LBB292_557
; %bb.554:                              ;   in Loop: Header=BB292_353 Depth=1
	v_and_b32_e32 v2, 7, v10
	v_lshrrev_b32_e32 v47, 3, v48
	s_mov_b32 s17, exec_lo
	v_cmpx_gt_u32_e32 8, v48
; %bb.555:                              ;   in Loop: Header=BB292_353 Depth=1
	v_ffbh_u32_e32 v2, v2
	v_min_u32_e32 v2, 32, v2
	v_subrev_nc_u32_e32 v47, 28, v2
	v_lshlrev_b64 v[48:49], v47, v[10:11]
	v_sub_nc_u32_e32 v47, 29, v2
	v_and_b32_e32 v2, 7, v48
; %bb.556:                              ;   in Loop: Header=BB292_353 Depth=1
	s_or_b32 exec_lo, exec_lo, s17
	v_lshlrev_b32_e32 v48, 8, v10
	v_lshl_add_u32 v47, v47, 10, 0x2000
	v_lshlrev_b32_e32 v2, 7, v2
	v_and_b32_e32 v48, 0x8000, v48
	v_and_b32_e32 v47, 0xfc00, v47
	v_or3_b32 v47, v48, v47, v2
.LBB292_557:                            ;   in Loop: Header=BB292_353 Depth=1
	s_or_b32 exec_lo, exec_lo, s13
.LBB292_558:                            ;   in Loop: Header=BB292_353 Depth=1
	s_or_b32 exec_lo, exec_lo, s12
.LBB292_559:                            ;   in Loop: Header=BB292_353 Depth=1
	s_or_b32 exec_lo, exec_lo, s9
	v_lshrrev_b16 v2, 8, v10
	s_mov_b32 s9, exec_lo
	v_cmpx_ne_u16_e32 0, v2
	s_cbranch_execz .LBB292_567
; %bb.560:                              ;   in Loop: Header=BB292_353 Depth=1
	v_bfrev_b32_e32 v46, 1
	s_mov_b32 s12, exec_lo
	v_cmpx_ne_u16_e32 0x80, v2
	s_cbranch_execz .LBB292_566
; %bb.561:                              ;   in Loop: Header=BB292_353 Depth=1
	v_and_b32_sdwa v49, v2, v25 dst_sel:DWORD dst_unused:UNUSED_PAD src0_sel:WORD_0 src1_sel:DWORD
	v_mov_b32_e32 v46, 0x7c010000
	s_mov_b32 s13, exec_lo
	v_cmpx_ne_u32_e32 0x7f, v49
	s_cbranch_execz .LBB292_565
; %bb.562:                              ;   in Loop: Header=BB292_353 Depth=1
	v_and_b32_sdwa v46, v2, v26 dst_sel:DWORD dst_unused:UNUSED_PAD src0_sel:WORD_0 src1_sel:DWORD
	v_lshrrev_b32_e32 v48, 3, v49
	s_mov_b32 s17, exec_lo
	v_cmpx_gt_u32_e32 8, v49
; %bb.563:                              ;   in Loop: Header=BB292_353 Depth=1
	v_ffbh_u32_e32 v46, v46
	v_min_u32_e32 v46, 32, v46
	v_subrev_nc_u32_e32 v48, 28, v46
	v_lshlrev_b64 v[49:50], v48, v[2:3]
	v_sub_nc_u32_e32 v48, 29, v46
	v_and_b32_e32 v46, 7, v49
; %bb.564:                              ;   in Loop: Header=BB292_353 Depth=1
	s_or_b32 exec_lo, exec_lo, s17
	v_lshlrev_b32_sdwa v2, v27, v2 dst_sel:DWORD dst_unused:UNUSED_PAD src0_sel:DWORD src1_sel:WORD_0
	v_lshl_add_u32 v48, v48, 10, 0x2000
	v_lshlrev_b32_e32 v46, 23, v46
	v_and_or_b32 v2, 0x8000, v2, v48
	v_lshl_or_b32 v46, v2, 16, v46
.LBB292_565:                            ;   in Loop: Header=BB292_353 Depth=1
	s_or_b32 exec_lo, exec_lo, s13
.LBB292_566:                            ;   in Loop: Header=BB292_353 Depth=1
	s_or_b32 exec_lo, exec_lo, s12
.LBB292_567:                            ;   in Loop: Header=BB292_353 Depth=1
	s_or_b32 exec_lo, exec_lo, s9
	v_lshrrev_b32_e32 v2, 16, v10
	v_mov_b32_e32 v48, 0
	v_mov_b32_e32 v49, 0
	v_cmp_ne_u16_sdwa s0, v2, v3 src0_sel:BYTE_0 src1_sel:DWORD
	s_and_saveexec_b32 s9, s0
	s_cbranch_execz .LBB292_575
; %bb.568:                              ;   in Loop: Header=BB292_353 Depth=1
	v_cmp_ne_u16_sdwa s0, v2, v24 src0_sel:BYTE_0 src1_sel:DWORD
	v_mov_b32_e32 v49, 0x8000
	s_and_saveexec_b32 s12, s0
	s_cbranch_execz .LBB292_574
; %bb.569:                              ;   in Loop: Header=BB292_353 Depth=1
	v_bfe_u32 v51, v10, 16, 7
	v_mov_b32_e32 v49, 0x7c01
	s_mov_b32 s13, exec_lo
	v_cmpx_ne_u32_e32 0x7f, v51
	s_cbranch_execz .LBB292_573
; %bb.570:                              ;   in Loop: Header=BB292_353 Depth=1
	v_and_b32_e32 v49, 7, v2
	v_lshrrev_b32_e32 v50, 3, v51
	s_mov_b32 s17, exec_lo
	v_cmpx_gt_u32_e32 8, v51
; %bb.571:                              ;   in Loop: Header=BB292_353 Depth=1
	v_ffbh_u32_e32 v49, v49
	v_min_u32_e32 v51, 32, v49
	v_subrev_nc_u32_e32 v49, 28, v51
	v_lshlrev_b64 v[49:50], v49, v[2:3]
	v_sub_nc_u32_e32 v50, 29, v51
	v_and_b32_e32 v49, 7, v49
; %bb.572:                              ;   in Loop: Header=BB292_353 Depth=1
	s_or_b32 exec_lo, exec_lo, s17
	v_lshlrev_b32_e32 v2, 8, v2
	v_lshl_add_u32 v50, v50, 10, 0x2000
	v_lshlrev_b32_e32 v49, 7, v49
	v_and_b32_e32 v2, 0x8000, v2
	v_and_b32_e32 v50, 0xfc00, v50
	v_or3_b32 v49, v2, v50, v49
.LBB292_573:                            ;   in Loop: Header=BB292_353 Depth=1
	s_or_b32 exec_lo, exec_lo, s13
.LBB292_574:                            ;   in Loop: Header=BB292_353 Depth=1
	s_or_b32 exec_lo, exec_lo, s12
.LBB292_575:                            ;   in Loop: Header=BB292_353 Depth=1
	s_or_b32 exec_lo, exec_lo, s9
	s_mov_b32 s9, exec_lo
	v_cmpx_lt_u32_e32 0xffffff, v10
	s_cbranch_execz .LBB292_583
; %bb.576:                              ;   in Loop: Header=BB292_353 Depth=1
	v_lshrrev_b32_e32 v2, 24, v10
	v_bfrev_b32_e32 v48, 1
	s_mov_b32 s12, exec_lo
	v_cmpx_ne_u32_e32 0x80, v2
	s_cbranch_execz .LBB292_582
; %bb.577:                              ;   in Loop: Header=BB292_353 Depth=1
	v_and_b32_e32 v51, 0x7f, v2
	v_mov_b32_e32 v48, 0x7c010000
	s_mov_b32 s13, exec_lo
	v_cmpx_ne_u32_e32 0x7f, v51
	s_cbranch_execz .LBB292_581
; %bb.578:                              ;   in Loop: Header=BB292_353 Depth=1
	v_and_b32_e32 v48, 7, v2
	v_lshrrev_b32_e32 v50, 3, v51
	s_mov_b32 s17, exec_lo
	v_cmpx_gt_u32_e32 8, v51
; %bb.579:                              ;   in Loop: Header=BB292_353 Depth=1
	v_ffbh_u32_e32 v48, v48
	v_min_u32_e32 v48, 32, v48
	v_subrev_nc_u32_e32 v50, 28, v48
	v_lshlrev_b64 v[51:52], v50, v[2:3]
	v_sub_nc_u32_e32 v50, 29, v48
	v_and_b32_e32 v48, 7, v51
; %bb.580:                              ;   in Loop: Header=BB292_353 Depth=1
	s_or_b32 exec_lo, exec_lo, s17
	v_lshlrev_b32_e32 v2, 8, v2
	v_lshl_add_u32 v50, v50, 10, 0x2000
	v_lshlrev_b32_e32 v48, 23, v48
	v_and_or_b32 v2, 0x8000, v2, v50
	v_lshl_or_b32 v48, v2, 16, v48
.LBB292_581:                            ;   in Loop: Header=BB292_353 Depth=1
	s_or_b32 exec_lo, exec_lo, s13
.LBB292_582:                            ;   in Loop: Header=BB292_353 Depth=1
	s_or_b32 exec_lo, exec_lo, s12
.LBB292_583:                            ;   in Loop: Header=BB292_353 Depth=1
	s_or_b32 exec_lo, exec_lo, s9
	v_mov_b32_e32 v2, v11
	v_cmp_ne_u16_sdwa s0, v11, v3 src0_sel:BYTE_0 src1_sel:DWORD
	v_mov_b32_e32 v50, 0
	v_mov_b32_e32 v51, 0
	s_and_saveexec_b32 s9, s0
	s_cbranch_execz .LBB292_591
; %bb.584:                              ;   in Loop: Header=BB292_353 Depth=1
	v_cmp_ne_u16_sdwa s0, v11, v24 src0_sel:BYTE_0 src1_sel:DWORD
	v_mov_b32_e32 v51, 0x8000
	s_and_saveexec_b32 s12, s0
	s_cbranch_execz .LBB292_590
; %bb.585:                              ;   in Loop: Header=BB292_353 Depth=1
	v_and_b32_e32 v53, 0x7f, v11
	v_mov_b32_e32 v51, 0x7c01
	s_mov_b32 s13, exec_lo
	v_cmpx_ne_u32_e32 0x7f, v53
	s_cbranch_execz .LBB292_589
; %bb.586:                              ;   in Loop: Header=BB292_353 Depth=1
	v_and_b32_e32 v51, 7, v11
	v_lshrrev_b32_e32 v52, 3, v53
	s_mov_b32 s17, exec_lo
	v_cmpx_gt_u32_e32 8, v53
; %bb.587:                              ;   in Loop: Header=BB292_353 Depth=1
	v_ffbh_u32_e32 v51, v51
	v_min_u32_e32 v53, 32, v51
	v_subrev_nc_u32_e32 v51, 28, v53
	v_lshlrev_b64 v[51:52], v51, v[2:3]
	v_sub_nc_u32_e32 v52, 29, v53
	v_and_b32_e32 v51, 7, v51
; %bb.588:                              ;   in Loop: Header=BB292_353 Depth=1
	s_or_b32 exec_lo, exec_lo, s17
	v_lshlrev_b32_e32 v53, 8, v11
	v_lshl_add_u32 v52, v52, 10, 0x2000
	v_lshlrev_b32_e32 v51, 7, v51
	v_and_b32_e32 v53, 0x8000, v53
	v_and_b32_e32 v52, 0xfc00, v52
	v_or3_b32 v51, v53, v52, v51
.LBB292_589:                            ;   in Loop: Header=BB292_353 Depth=1
	s_or_b32 exec_lo, exec_lo, s13
.LBB292_590:                            ;   in Loop: Header=BB292_353 Depth=1
	s_or_b32 exec_lo, exec_lo, s12
.LBB292_591:                            ;   in Loop: Header=BB292_353 Depth=1
	s_or_b32 exec_lo, exec_lo, s9
	v_lshrrev_b16 v2, 8, v2
	v_mov_b32_e32 v52, 0
	s_mov_b32 s9, exec_lo
	v_cmpx_ne_u16_e32 0, v2
	s_cbranch_execz .LBB292_599
; %bb.592:                              ;   in Loop: Header=BB292_353 Depth=1
	v_bfrev_b32_e32 v52, 1
	s_mov_b32 s12, exec_lo
	v_cmpx_ne_u16_e32 0x80, v2
	s_cbranch_execz .LBB292_598
; %bb.593:                              ;   in Loop: Header=BB292_353 Depth=1
	v_and_b32_sdwa v54, v2, v25 dst_sel:DWORD dst_unused:UNUSED_PAD src0_sel:WORD_0 src1_sel:DWORD
	v_mov_b32_e32 v52, 0x7c010000
	s_mov_b32 s13, exec_lo
	v_cmpx_ne_u32_e32 0x7f, v54
	s_cbranch_execz .LBB292_597
; %bb.594:                              ;   in Loop: Header=BB292_353 Depth=1
	v_and_b32_sdwa v52, v2, v26 dst_sel:DWORD dst_unused:UNUSED_PAD src0_sel:WORD_0 src1_sel:DWORD
	v_lshrrev_b32_e32 v53, 3, v54
	s_mov_b32 s17, exec_lo
	v_cmpx_gt_u32_e32 8, v54
; %bb.595:                              ;   in Loop: Header=BB292_353 Depth=1
	v_ffbh_u32_e32 v52, v52
	v_min_u32_e32 v54, 32, v52
	v_subrev_nc_u32_e32 v52, 28, v54
	v_lshlrev_b64 v[52:53], v52, v[2:3]
	v_sub_nc_u32_e32 v53, 29, v54
	v_and_b32_e32 v52, 7, v52
; %bb.596:                              ;   in Loop: Header=BB292_353 Depth=1
	s_or_b32 exec_lo, exec_lo, s17
	v_lshlrev_b32_sdwa v2, v27, v2 dst_sel:DWORD dst_unused:UNUSED_PAD src0_sel:DWORD src1_sel:WORD_0
	v_lshl_add_u32 v53, v53, 10, 0x2000
	v_lshlrev_b32_e32 v52, 23, v52
	v_and_or_b32 v2, 0x8000, v2, v53
	v_lshl_or_b32 v52, v2, 16, v52
.LBB292_597:                            ;   in Loop: Header=BB292_353 Depth=1
	s_or_b32 exec_lo, exec_lo, s13
.LBB292_598:                            ;   in Loop: Header=BB292_353 Depth=1
	s_or_b32 exec_lo, exec_lo, s12
.LBB292_599:                            ;   in Loop: Header=BB292_353 Depth=1
	s_or_b32 exec_lo, exec_lo, s9
	v_lshrrev_b32_e32 v2, 16, v11
	v_cmp_ne_u16_sdwa s0, v2, v3 src0_sel:BYTE_0 src1_sel:DWORD
	s_and_saveexec_b32 s9, s0
	s_cbranch_execz .LBB292_607
; %bb.600:                              ;   in Loop: Header=BB292_353 Depth=1
	v_cmp_ne_u16_sdwa s0, v2, v24 src0_sel:BYTE_0 src1_sel:DWORD
	v_mov_b32_e32 v50, 0x8000
	s_and_saveexec_b32 s12, s0
	s_cbranch_execz .LBB292_606
; %bb.601:                              ;   in Loop: Header=BB292_353 Depth=1
	v_bfe_u32 v54, v11, 16, 7
	v_mov_b32_e32 v50, 0x7c01
	s_mov_b32 s13, exec_lo
	v_cmpx_ne_u32_e32 0x7f, v54
	s_cbranch_execz .LBB292_605
; %bb.602:                              ;   in Loop: Header=BB292_353 Depth=1
	v_and_b32_e32 v50, 7, v2
	v_lshrrev_b32_e32 v53, 3, v54
	s_mov_b32 s17, exec_lo
	v_cmpx_gt_u32_e32 8, v54
; %bb.603:                              ;   in Loop: Header=BB292_353 Depth=1
	v_ffbh_u32_e32 v50, v50
	v_min_u32_e32 v50, 32, v50
	v_subrev_nc_u32_e32 v53, 28, v50
	v_lshlrev_b64 v[54:55], v53, v[2:3]
	v_sub_nc_u32_e32 v53, 29, v50
	v_and_b32_e32 v50, 7, v54
; %bb.604:                              ;   in Loop: Header=BB292_353 Depth=1
	s_or_b32 exec_lo, exec_lo, s17
	v_lshlrev_b32_e32 v2, 8, v2
	v_lshl_add_u32 v53, v53, 10, 0x2000
	v_lshlrev_b32_e32 v50, 7, v50
	v_and_b32_e32 v2, 0x8000, v2
	v_and_b32_e32 v53, 0xfc00, v53
	v_or3_b32 v50, v2, v53, v50
.LBB292_605:                            ;   in Loop: Header=BB292_353 Depth=1
	s_or_b32 exec_lo, exec_lo, s13
.LBB292_606:                            ;   in Loop: Header=BB292_353 Depth=1
	s_or_b32 exec_lo, exec_lo, s12
.LBB292_607:                            ;   in Loop: Header=BB292_353 Depth=1
	s_or_b32 exec_lo, exec_lo, s9
	v_cmp_lt_u64_e64 s0, s[4:5], v[10:11]
	v_mov_b32_e32 v10, 0
	s_and_saveexec_b32 s9, s0
	s_cbranch_execz .LBB292_615
; %bb.608:                              ;   in Loop: Header=BB292_353 Depth=1
	v_lshrrev_b32_e32 v2, 24, v11
	v_bfrev_b32_e32 v10, 1
	s_mov_b32 s12, exec_lo
	v_cmpx_ne_u32_e32 0x80, v2
	s_cbranch_execz .LBB292_614
; %bb.609:                              ;   in Loop: Header=BB292_353 Depth=1
	v_and_b32_e32 v53, 0x7f, v2
	v_mov_b32_e32 v10, 0x7c010000
	s_mov_b32 s13, exec_lo
	v_cmpx_ne_u32_e32 0x7f, v53
	s_cbranch_execz .LBB292_613
; %bb.610:                              ;   in Loop: Header=BB292_353 Depth=1
	v_and_b32_e32 v10, 7, v2
	v_lshrrev_b32_e32 v11, 3, v53
	s_mov_b32 s17, exec_lo
	v_cmpx_gt_u32_e32 8, v53
; %bb.611:                              ;   in Loop: Header=BB292_353 Depth=1
	v_ffbh_u32_e32 v10, v10
	v_min_u32_e32 v53, 32, v10
	v_subrev_nc_u32_e32 v10, 28, v53
	v_lshlrev_b64 v[10:11], v10, v[2:3]
	v_sub_nc_u32_e32 v11, 29, v53
	v_and_b32_e32 v10, 7, v10
; %bb.612:                              ;   in Loop: Header=BB292_353 Depth=1
	s_or_b32 exec_lo, exec_lo, s17
	v_lshlrev_b32_e32 v2, 8, v2
	v_lshl_add_u32 v11, v11, 10, 0x2000
	v_lshlrev_b32_e32 v10, 23, v10
	v_and_or_b32 v2, 0x8000, v2, v11
	v_lshl_or_b32 v10, v2, 16, v10
.LBB292_613:                            ;   in Loop: Header=BB292_353 Depth=1
	s_or_b32 exec_lo, exec_lo, s13
.LBB292_614:                            ;   in Loop: Header=BB292_353 Depth=1
	s_or_b32 exec_lo, exec_lo, s12
.LBB292_615:                            ;   in Loop: Header=BB292_353 Depth=1
	s_or_b32 exec_lo, exec_lo, s9
	v_or_b32_e32 v2, v48, v49
	s_waitcnt vmcnt(0)
	v_fma_mixlo_f16 v11, v45, v48, 0 op_sel:[0,1,0] op_sel_hi:[0,1,0]
	v_or_b32_e32 v48, v46, v47
	v_fma_mixlo_f16 v46, v45, v46, 0 op_sel:[0,1,0] op_sel_hi:[0,1,0]
	v_or_b32_e32 v49, v52, v51
	v_or_b32_e32 v50, v10, v50
	v_fma_mixlo_f16 v51, v45, v2, 0 op_sel_hi:[0,1,0]
	v_fma_mixlo_f16 v10, v45, v10, 0 op_sel:[0,1,0] op_sel_hi:[0,1,0]
	v_lshlrev_b32_e32 v47, 16, v46
	v_fma_mixlo_f16 v46, v45, v48, 0 op_sel_hi:[0,1,0]
	v_fma_mixlo_f16 v48, v45, v52, 0 op_sel:[0,1,0] op_sel_hi:[0,1,0]
	v_fma_mixlo_f16 v49, v45, v49, 0 op_sel_hi:[0,1,0]
	v_fma_mixlo_f16 v50, v45, v50, 0 op_sel_hi:[0,1,0]
	v_lshlrev_b32_e32 v2, 16, v11
	v_and_b32_e32 v11, 0xffff, v51
	v_and_b32_e32 v53, 0xffff, v46
	v_lshlrev_b32_e32 v45, 16, v48
	v_and_b32_e32 v49, 0xffff, v49
	v_lshlrev_b32_e32 v10, 16, v10
	v_and_b32_e32 v46, 0xffff, v50
	v_or_b32_e32 v48, v2, v11
	v_or_b32_e32 v52, v47, v53
	;; [unrolled: 1-line block ×4, first 2 shown]
	s_and_saveexec_b32 s9, vcc_lo
	s_cbranch_execz .LBB292_617
; %bb.616:                              ;   in Loop: Header=BB292_353 Depth=1
	v_cmp_gt_i32_e64 s0, s27, v28
	v_cndmask_b32_e64 v48, 0, v53, s0
	v_cmp_gt_i32_e64 s0, s27, v34
	v_cndmask_b32_e64 v47, 0, v47, s0
	v_cmp_gt_i32_e64 s0, s27, v33
	v_or_b32_e32 v52, v47, v48
	v_cndmask_b32_e64 v11, 0, v11, s0
	v_cmp_gt_i32_e64 s0, s27, v32
	v_cndmask_b32_e64 v2, 0, v2, s0
	v_cmp_gt_i32_e64 s0, s27, v31
	v_or_b32_e32 v48, v2, v11
	;; [unrolled: 5-line block ×3, first 2 shown]
	v_cndmask_b32_e64 v46, 0, v46, s0
	v_cmp_gt_i32_e64 s0, s27, v15
	v_cndmask_b32_e64 v10, 0, v10, s0
	v_or_b32_e32 v50, v10, v46
.LBB292_617:                            ;   in Loop: Header=BB292_353 Depth=1
	s_or_b32 exec_lo, exec_lo, s9
	;;#ASMSTART
	v_pk_mul_f16 v2, v39, v52;

	;;#ASMEND
	;;#ASMSTART
	v_pk_mul_f16 v10, v38, v48;

	;;#ASMEND
	;; [unrolled: 4-line block ×4, first 2 shown]
	;;#ASMSTART
	v_pk_add_f16 v2, v2, v10;

	;;#ASMEND
	;;#ASMSTART
	v_pk_add_f16 v2, v2, v11;

	;;#ASMEND
	;; [unrolled: 4-line block ×3, first 2 shown]
	v_and_b32_e32 v10, 0xffff, v2
	v_lshrrev_b32_e32 v2, 16, v2
	;;#ASMSTART
	v_cvt_f32_f16 v10, v10;
	;;#ASMEND
	;;#ASMSTART
	v_cvt_f32_f16 v11, v2;
	;;#ASMEND
	global_load_dwordx2 v[8:9], v[8:9], off offset:1024
	v_mov_b32_e32 v46, 0
	v_mov_b32_e32 v47, 0
	global_load_dword v45, v46, s[14:15]
	s_waitcnt vmcnt(1)
	v_cmp_ne_u16_sdwa s0, v8, v3 src0_sel:BYTE_0 src1_sel:DWORD
	s_and_saveexec_b32 s9, s0
	s_cbranch_execz .LBB292_625
; %bb.618:                              ;   in Loop: Header=BB292_353 Depth=1
	v_cmp_ne_u16_sdwa s0, v8, v24 src0_sel:BYTE_0 src1_sel:DWORD
	v_mov_b32_e32 v47, 0x8000
	s_and_saveexec_b32 s12, s0
	s_cbranch_execz .LBB292_624
; %bb.619:                              ;   in Loop: Header=BB292_353 Depth=1
	v_and_b32_e32 v48, 0x7f, v8
	v_mov_b32_e32 v47, 0x7c01
	s_mov_b32 s13, exec_lo
	v_cmpx_ne_u32_e32 0x7f, v48
	s_cbranch_execz .LBB292_623
; %bb.620:                              ;   in Loop: Header=BB292_353 Depth=1
	v_and_b32_e32 v2, 7, v8
	v_lshrrev_b32_e32 v47, 3, v48
	s_mov_b32 s17, exec_lo
	v_cmpx_gt_u32_e32 8, v48
; %bb.621:                              ;   in Loop: Header=BB292_353 Depth=1
	v_ffbh_u32_e32 v2, v2
	v_min_u32_e32 v2, 32, v2
	v_subrev_nc_u32_e32 v47, 28, v2
	v_lshlrev_b64 v[48:49], v47, v[8:9]
	v_sub_nc_u32_e32 v47, 29, v2
	v_and_b32_e32 v2, 7, v48
; %bb.622:                              ;   in Loop: Header=BB292_353 Depth=1
	s_or_b32 exec_lo, exec_lo, s17
	v_lshlrev_b32_e32 v48, 8, v8
	v_lshl_add_u32 v47, v47, 10, 0x2000
	v_lshlrev_b32_e32 v2, 7, v2
	v_and_b32_e32 v48, 0x8000, v48
	v_and_b32_e32 v47, 0xfc00, v47
	v_or3_b32 v47, v48, v47, v2
.LBB292_623:                            ;   in Loop: Header=BB292_353 Depth=1
	s_or_b32 exec_lo, exec_lo, s13
.LBB292_624:                            ;   in Loop: Header=BB292_353 Depth=1
	s_or_b32 exec_lo, exec_lo, s12
.LBB292_625:                            ;   in Loop: Header=BB292_353 Depth=1
	s_or_b32 exec_lo, exec_lo, s9
	v_lshrrev_b16 v2, 8, v8
	s_mov_b32 s9, exec_lo
	v_cmpx_ne_u16_e32 0, v2
	s_cbranch_execz .LBB292_633
; %bb.626:                              ;   in Loop: Header=BB292_353 Depth=1
	v_bfrev_b32_e32 v46, 1
	s_mov_b32 s12, exec_lo
	v_cmpx_ne_u16_e32 0x80, v2
	s_cbranch_execz .LBB292_632
; %bb.627:                              ;   in Loop: Header=BB292_353 Depth=1
	v_and_b32_sdwa v49, v2, v25 dst_sel:DWORD dst_unused:UNUSED_PAD src0_sel:WORD_0 src1_sel:DWORD
	v_mov_b32_e32 v46, 0x7c010000
	s_mov_b32 s13, exec_lo
	v_cmpx_ne_u32_e32 0x7f, v49
	s_cbranch_execz .LBB292_631
; %bb.628:                              ;   in Loop: Header=BB292_353 Depth=1
	v_and_b32_sdwa v46, v2, v26 dst_sel:DWORD dst_unused:UNUSED_PAD src0_sel:WORD_0 src1_sel:DWORD
	v_lshrrev_b32_e32 v48, 3, v49
	s_mov_b32 s17, exec_lo
	v_cmpx_gt_u32_e32 8, v49
; %bb.629:                              ;   in Loop: Header=BB292_353 Depth=1
	v_ffbh_u32_e32 v46, v46
	v_min_u32_e32 v46, 32, v46
	v_subrev_nc_u32_e32 v48, 28, v46
	v_lshlrev_b64 v[49:50], v48, v[2:3]
	v_sub_nc_u32_e32 v48, 29, v46
	v_and_b32_e32 v46, 7, v49
; %bb.630:                              ;   in Loop: Header=BB292_353 Depth=1
	s_or_b32 exec_lo, exec_lo, s17
	v_lshlrev_b32_sdwa v2, v27, v2 dst_sel:DWORD dst_unused:UNUSED_PAD src0_sel:DWORD src1_sel:WORD_0
	v_lshl_add_u32 v48, v48, 10, 0x2000
	v_lshlrev_b32_e32 v46, 23, v46
	v_and_or_b32 v2, 0x8000, v2, v48
	v_lshl_or_b32 v46, v2, 16, v46
.LBB292_631:                            ;   in Loop: Header=BB292_353 Depth=1
	s_or_b32 exec_lo, exec_lo, s13
.LBB292_632:                            ;   in Loop: Header=BB292_353 Depth=1
	s_or_b32 exec_lo, exec_lo, s12
.LBB292_633:                            ;   in Loop: Header=BB292_353 Depth=1
	s_or_b32 exec_lo, exec_lo, s9
	v_lshrrev_b32_e32 v2, 16, v8
	v_mov_b32_e32 v48, 0
	v_mov_b32_e32 v49, 0
	v_cmp_ne_u16_sdwa s0, v2, v3 src0_sel:BYTE_0 src1_sel:DWORD
	s_and_saveexec_b32 s9, s0
	s_cbranch_execz .LBB292_641
; %bb.634:                              ;   in Loop: Header=BB292_353 Depth=1
	v_cmp_ne_u16_sdwa s0, v2, v24 src0_sel:BYTE_0 src1_sel:DWORD
	v_mov_b32_e32 v49, 0x8000
	s_and_saveexec_b32 s12, s0
	s_cbranch_execz .LBB292_640
; %bb.635:                              ;   in Loop: Header=BB292_353 Depth=1
	v_bfe_u32 v51, v8, 16, 7
	v_mov_b32_e32 v49, 0x7c01
	s_mov_b32 s13, exec_lo
	v_cmpx_ne_u32_e32 0x7f, v51
	s_cbranch_execz .LBB292_639
; %bb.636:                              ;   in Loop: Header=BB292_353 Depth=1
	v_and_b32_e32 v49, 7, v2
	v_lshrrev_b32_e32 v50, 3, v51
	s_mov_b32 s17, exec_lo
	v_cmpx_gt_u32_e32 8, v51
; %bb.637:                              ;   in Loop: Header=BB292_353 Depth=1
	v_ffbh_u32_e32 v49, v49
	v_min_u32_e32 v51, 32, v49
	v_subrev_nc_u32_e32 v49, 28, v51
	v_lshlrev_b64 v[49:50], v49, v[2:3]
	v_sub_nc_u32_e32 v50, 29, v51
	v_and_b32_e32 v49, 7, v49
; %bb.638:                              ;   in Loop: Header=BB292_353 Depth=1
	s_or_b32 exec_lo, exec_lo, s17
	v_lshlrev_b32_e32 v2, 8, v2
	v_lshl_add_u32 v50, v50, 10, 0x2000
	v_lshlrev_b32_e32 v49, 7, v49
	v_and_b32_e32 v2, 0x8000, v2
	v_and_b32_e32 v50, 0xfc00, v50
	v_or3_b32 v49, v2, v50, v49
.LBB292_639:                            ;   in Loop: Header=BB292_353 Depth=1
	s_or_b32 exec_lo, exec_lo, s13
.LBB292_640:                            ;   in Loop: Header=BB292_353 Depth=1
	s_or_b32 exec_lo, exec_lo, s12
.LBB292_641:                            ;   in Loop: Header=BB292_353 Depth=1
	s_or_b32 exec_lo, exec_lo, s9
	s_mov_b32 s9, exec_lo
	v_cmpx_lt_u32_e32 0xffffff, v8
	s_cbranch_execz .LBB292_649
; %bb.642:                              ;   in Loop: Header=BB292_353 Depth=1
	v_lshrrev_b32_e32 v2, 24, v8
	v_bfrev_b32_e32 v48, 1
	s_mov_b32 s12, exec_lo
	v_cmpx_ne_u32_e32 0x80, v2
	s_cbranch_execz .LBB292_648
; %bb.643:                              ;   in Loop: Header=BB292_353 Depth=1
	v_and_b32_e32 v51, 0x7f, v2
	v_mov_b32_e32 v48, 0x7c010000
	s_mov_b32 s13, exec_lo
	v_cmpx_ne_u32_e32 0x7f, v51
	s_cbranch_execz .LBB292_647
; %bb.644:                              ;   in Loop: Header=BB292_353 Depth=1
	v_and_b32_e32 v48, 7, v2
	v_lshrrev_b32_e32 v50, 3, v51
	s_mov_b32 s17, exec_lo
	v_cmpx_gt_u32_e32 8, v51
; %bb.645:                              ;   in Loop: Header=BB292_353 Depth=1
	v_ffbh_u32_e32 v48, v48
	v_min_u32_e32 v48, 32, v48
	v_subrev_nc_u32_e32 v50, 28, v48
	v_lshlrev_b64 v[51:52], v50, v[2:3]
	v_sub_nc_u32_e32 v50, 29, v48
	v_and_b32_e32 v48, 7, v51
; %bb.646:                              ;   in Loop: Header=BB292_353 Depth=1
	s_or_b32 exec_lo, exec_lo, s17
	v_lshlrev_b32_e32 v2, 8, v2
	v_lshl_add_u32 v50, v50, 10, 0x2000
	v_lshlrev_b32_e32 v48, 23, v48
	v_and_or_b32 v2, 0x8000, v2, v50
	v_lshl_or_b32 v48, v2, 16, v48
.LBB292_647:                            ;   in Loop: Header=BB292_353 Depth=1
	s_or_b32 exec_lo, exec_lo, s13
.LBB292_648:                            ;   in Loop: Header=BB292_353 Depth=1
	s_or_b32 exec_lo, exec_lo, s12
.LBB292_649:                            ;   in Loop: Header=BB292_353 Depth=1
	s_or_b32 exec_lo, exec_lo, s9
	v_mov_b32_e32 v2, v9
	v_cmp_ne_u16_sdwa s0, v9, v3 src0_sel:BYTE_0 src1_sel:DWORD
	v_mov_b32_e32 v50, 0
	v_mov_b32_e32 v51, 0
	s_and_saveexec_b32 s9, s0
	s_cbranch_execz .LBB292_657
; %bb.650:                              ;   in Loop: Header=BB292_353 Depth=1
	v_cmp_ne_u16_sdwa s0, v9, v24 src0_sel:BYTE_0 src1_sel:DWORD
	v_mov_b32_e32 v51, 0x8000
	s_and_saveexec_b32 s12, s0
	s_cbranch_execz .LBB292_656
; %bb.651:                              ;   in Loop: Header=BB292_353 Depth=1
	v_and_b32_e32 v53, 0x7f, v9
	v_mov_b32_e32 v51, 0x7c01
	s_mov_b32 s13, exec_lo
	v_cmpx_ne_u32_e32 0x7f, v53
	s_cbranch_execz .LBB292_655
; %bb.652:                              ;   in Loop: Header=BB292_353 Depth=1
	v_and_b32_e32 v51, 7, v9
	v_lshrrev_b32_e32 v52, 3, v53
	s_mov_b32 s17, exec_lo
	v_cmpx_gt_u32_e32 8, v53
; %bb.653:                              ;   in Loop: Header=BB292_353 Depth=1
	v_ffbh_u32_e32 v51, v51
	v_min_u32_e32 v53, 32, v51
	v_subrev_nc_u32_e32 v51, 28, v53
	v_lshlrev_b64 v[51:52], v51, v[2:3]
	v_sub_nc_u32_e32 v52, 29, v53
	v_and_b32_e32 v51, 7, v51
; %bb.654:                              ;   in Loop: Header=BB292_353 Depth=1
	s_or_b32 exec_lo, exec_lo, s17
	v_lshlrev_b32_e32 v53, 8, v9
	v_lshl_add_u32 v52, v52, 10, 0x2000
	v_lshlrev_b32_e32 v51, 7, v51
	v_and_b32_e32 v53, 0x8000, v53
	v_and_b32_e32 v52, 0xfc00, v52
	v_or3_b32 v51, v53, v52, v51
.LBB292_655:                            ;   in Loop: Header=BB292_353 Depth=1
	s_or_b32 exec_lo, exec_lo, s13
.LBB292_656:                            ;   in Loop: Header=BB292_353 Depth=1
	s_or_b32 exec_lo, exec_lo, s12
.LBB292_657:                            ;   in Loop: Header=BB292_353 Depth=1
	s_or_b32 exec_lo, exec_lo, s9
	v_lshrrev_b16 v2, 8, v2
	v_mov_b32_e32 v52, 0
	s_mov_b32 s9, exec_lo
	v_cmpx_ne_u16_e32 0, v2
	s_cbranch_execz .LBB292_665
; %bb.658:                              ;   in Loop: Header=BB292_353 Depth=1
	v_bfrev_b32_e32 v52, 1
	s_mov_b32 s12, exec_lo
	v_cmpx_ne_u16_e32 0x80, v2
	s_cbranch_execz .LBB292_664
; %bb.659:                              ;   in Loop: Header=BB292_353 Depth=1
	v_and_b32_sdwa v54, v2, v25 dst_sel:DWORD dst_unused:UNUSED_PAD src0_sel:WORD_0 src1_sel:DWORD
	v_mov_b32_e32 v52, 0x7c010000
	s_mov_b32 s13, exec_lo
	v_cmpx_ne_u32_e32 0x7f, v54
	s_cbranch_execz .LBB292_663
; %bb.660:                              ;   in Loop: Header=BB292_353 Depth=1
	v_and_b32_sdwa v52, v2, v26 dst_sel:DWORD dst_unused:UNUSED_PAD src0_sel:WORD_0 src1_sel:DWORD
	v_lshrrev_b32_e32 v53, 3, v54
	s_mov_b32 s17, exec_lo
	v_cmpx_gt_u32_e32 8, v54
; %bb.661:                              ;   in Loop: Header=BB292_353 Depth=1
	v_ffbh_u32_e32 v52, v52
	v_min_u32_e32 v54, 32, v52
	v_subrev_nc_u32_e32 v52, 28, v54
	v_lshlrev_b64 v[52:53], v52, v[2:3]
	v_sub_nc_u32_e32 v53, 29, v54
	v_and_b32_e32 v52, 7, v52
; %bb.662:                              ;   in Loop: Header=BB292_353 Depth=1
	s_or_b32 exec_lo, exec_lo, s17
	v_lshlrev_b32_sdwa v2, v27, v2 dst_sel:DWORD dst_unused:UNUSED_PAD src0_sel:DWORD src1_sel:WORD_0
	v_lshl_add_u32 v53, v53, 10, 0x2000
	v_lshlrev_b32_e32 v52, 23, v52
	v_and_or_b32 v2, 0x8000, v2, v53
	v_lshl_or_b32 v52, v2, 16, v52
.LBB292_663:                            ;   in Loop: Header=BB292_353 Depth=1
	s_or_b32 exec_lo, exec_lo, s13
.LBB292_664:                            ;   in Loop: Header=BB292_353 Depth=1
	s_or_b32 exec_lo, exec_lo, s12
.LBB292_665:                            ;   in Loop: Header=BB292_353 Depth=1
	s_or_b32 exec_lo, exec_lo, s9
	v_lshrrev_b32_e32 v2, 16, v9
	v_cmp_ne_u16_sdwa s0, v2, v3 src0_sel:BYTE_0 src1_sel:DWORD
	s_and_saveexec_b32 s9, s0
	s_cbranch_execz .LBB292_673
; %bb.666:                              ;   in Loop: Header=BB292_353 Depth=1
	v_cmp_ne_u16_sdwa s0, v2, v24 src0_sel:BYTE_0 src1_sel:DWORD
	v_mov_b32_e32 v50, 0x8000
	s_and_saveexec_b32 s12, s0
	s_cbranch_execz .LBB292_672
; %bb.667:                              ;   in Loop: Header=BB292_353 Depth=1
	v_bfe_u32 v54, v9, 16, 7
	v_mov_b32_e32 v50, 0x7c01
	s_mov_b32 s13, exec_lo
	v_cmpx_ne_u32_e32 0x7f, v54
	s_cbranch_execz .LBB292_671
; %bb.668:                              ;   in Loop: Header=BB292_353 Depth=1
	v_and_b32_e32 v50, 7, v2
	v_lshrrev_b32_e32 v53, 3, v54
	s_mov_b32 s17, exec_lo
	v_cmpx_gt_u32_e32 8, v54
; %bb.669:                              ;   in Loop: Header=BB292_353 Depth=1
	v_ffbh_u32_e32 v50, v50
	v_min_u32_e32 v50, 32, v50
	v_subrev_nc_u32_e32 v53, 28, v50
	v_lshlrev_b64 v[54:55], v53, v[2:3]
	v_sub_nc_u32_e32 v53, 29, v50
	v_and_b32_e32 v50, 7, v54
; %bb.670:                              ;   in Loop: Header=BB292_353 Depth=1
	s_or_b32 exec_lo, exec_lo, s17
	v_lshlrev_b32_e32 v2, 8, v2
	v_lshl_add_u32 v53, v53, 10, 0x2000
	v_lshlrev_b32_e32 v50, 7, v50
	v_and_b32_e32 v2, 0x8000, v2
	v_and_b32_e32 v53, 0xfc00, v53
	v_or3_b32 v50, v2, v53, v50
.LBB292_671:                            ;   in Loop: Header=BB292_353 Depth=1
	s_or_b32 exec_lo, exec_lo, s13
.LBB292_672:                            ;   in Loop: Header=BB292_353 Depth=1
	s_or_b32 exec_lo, exec_lo, s12
.LBB292_673:                            ;   in Loop: Header=BB292_353 Depth=1
	s_or_b32 exec_lo, exec_lo, s9
	v_cmp_lt_u64_e64 s0, s[4:5], v[8:9]
	v_mov_b32_e32 v8, 0
	s_and_saveexec_b32 s9, s0
	s_cbranch_execz .LBB292_681
; %bb.674:                              ;   in Loop: Header=BB292_353 Depth=1
	v_lshrrev_b32_e32 v2, 24, v9
	v_bfrev_b32_e32 v8, 1
	s_mov_b32 s12, exec_lo
	v_cmpx_ne_u32_e32 0x80, v2
	s_cbranch_execz .LBB292_680
; %bb.675:                              ;   in Loop: Header=BB292_353 Depth=1
	v_and_b32_e32 v53, 0x7f, v2
	v_mov_b32_e32 v8, 0x7c010000
	s_mov_b32 s13, exec_lo
	v_cmpx_ne_u32_e32 0x7f, v53
	s_cbranch_execz .LBB292_679
; %bb.676:                              ;   in Loop: Header=BB292_353 Depth=1
	v_and_b32_e32 v8, 7, v2
	v_lshrrev_b32_e32 v9, 3, v53
	s_mov_b32 s17, exec_lo
	v_cmpx_gt_u32_e32 8, v53
; %bb.677:                              ;   in Loop: Header=BB292_353 Depth=1
	v_ffbh_u32_e32 v8, v8
	v_min_u32_e32 v53, 32, v8
	v_subrev_nc_u32_e32 v8, 28, v53
	v_lshlrev_b64 v[8:9], v8, v[2:3]
	v_sub_nc_u32_e32 v9, 29, v53
	v_and_b32_e32 v8, 7, v8
; %bb.678:                              ;   in Loop: Header=BB292_353 Depth=1
	s_or_b32 exec_lo, exec_lo, s17
	v_lshlrev_b32_e32 v2, 8, v2
	v_lshl_add_u32 v9, v9, 10, 0x2000
	v_lshlrev_b32_e32 v8, 23, v8
	v_and_or_b32 v2, 0x8000, v2, v9
	v_lshl_or_b32 v8, v2, 16, v8
.LBB292_679:                            ;   in Loop: Header=BB292_353 Depth=1
	s_or_b32 exec_lo, exec_lo, s13
.LBB292_680:                            ;   in Loop: Header=BB292_353 Depth=1
	s_or_b32 exec_lo, exec_lo, s12
.LBB292_681:                            ;   in Loop: Header=BB292_353 Depth=1
	s_or_b32 exec_lo, exec_lo, s9
	v_or_b32_e32 v2, v48, v49
	v_or_b32_e32 v47, v46, v47
	s_waitcnt vmcnt(0)
	v_fma_mixlo_f16 v46, v45, v46, 0 op_sel:[0,1,0] op_sel_hi:[0,1,0]
	v_or_b32_e32 v49, v52, v51
	v_or_b32_e32 v50, v8, v50
	v_fma_mixlo_f16 v2, v45, v2, 0 op_sel_hi:[0,1,0]
	v_fma_mixlo_f16 v9, v45, v48, 0 op_sel:[0,1,0] op_sel_hi:[0,1,0]
	v_lshlrev_b32_e32 v51, 16, v46
	v_fma_mixlo_f16 v46, v45, v47, 0 op_sel_hi:[0,1,0]
	v_fma_mixlo_f16 v47, v45, v49, 0 op_sel_hi:[0,1,0]
	v_and_b32_e32 v48, 0xffff, v2
	v_fma_mixlo_f16 v2, v45, v52, 0 op_sel:[0,1,0] op_sel_hi:[0,1,0]
	v_fma_mixlo_f16 v8, v45, v8, 0 op_sel:[0,1,0] op_sel_hi:[0,1,0]
	v_fma_mixlo_f16 v45, v45, v50, 0 op_sel_hi:[0,1,0]
	v_lshlrev_b32_e32 v9, 16, v9
	v_and_b32_e32 v53, 0xffff, v46
	v_lshlrev_b32_e32 v49, 16, v2
	v_and_b32_e32 v52, 0xffff, v47
	v_lshlrev_b32_e32 v47, 16, v8
	v_and_b32_e32 v50, 0xffff, v45
	v_or_b32_e32 v2, v9, v48
	v_or_b32_e32 v46, v51, v53
	;; [unrolled: 1-line block ×4, first 2 shown]
	s_and_saveexec_b32 s0, vcc_lo
	s_cbranch_execz .LBB292_352
; %bb.682:                              ;   in Loop: Header=BB292_353 Depth=1
	v_cmp_gt_i32_e32 vcc_lo, s27, v28
	v_cndmask_b32_e32 v2, 0, v53, vcc_lo
	v_cmp_gt_i32_e32 vcc_lo, s27, v34
	v_cndmask_b32_e32 v8, 0, v51, vcc_lo
	v_cmp_gt_i32_e32 vcc_lo, s27, v33
	v_or_b32_e32 v46, v8, v2
	v_cndmask_b32_e32 v28, 0, v48, vcc_lo
	v_cmp_gt_i32_e32 vcc_lo, s27, v32
	v_cndmask_b32_e32 v9, 0, v9, vcc_lo
	v_cmp_gt_i32_e32 vcc_lo, s27, v31
	v_or_b32_e32 v2, v9, v28
	;; [unrolled: 5-line block ×3, first 2 shown]
	v_cndmask_b32_e32 v29, 0, v50, vcc_lo
	v_cmp_gt_i32_e32 vcc_lo, s27, v15
	v_cndmask_b32_e32 v32, 0, v47, vcc_lo
	v_or_b32_e32 v8, v32, v29
	s_branch .LBB292_352
.LBB292_683:
	s_or_b32 exec_lo, exec_lo, s6
.LBB292_684:
	s_or_b32 exec_lo, exec_lo, s1
	ds_bpermute_b32 v1, v18, v21
	ds_bpermute_b32 v2, v18, v22
	;; [unrolled: 1-line block ×5, first 2 shown]
	v_lshrrev_b32_e32 v6, 1, v17
	v_mul_u32_u24_e32 v8, 0x140, v14
	v_and_b32_e32 v11, 0x3c1, v0
	s_mov_b32 s0, exec_lo
	s_waitcnt lgkmcnt(0)
	s_waitcnt_vscnt null, 0x0
	v_lshl_add_u32 v7, v6, 2, 0xc0
	s_barrier
	buffer_gl0_inv
	v_add_f32_e32 v5, v21, v1
	v_add_f32_e32 v4, v22, v2
	;; [unrolled: 1-line block ×5, first 2 shown]
	v_cmpx_eq_u32_e32 64, v11
	s_cbranch_execz .LBB292_686
; %bb.685:
	v_add_nc_u32_e32 v9, v7, v8
	v_add_nc_u32_e32 v10, 0xfffffd80, v9
	;; [unrolled: 1-line block ×6, first 2 shown]
	ds_write_b32 v10, v5
	ds_write_b32 v11, v4
	;; [unrolled: 1-line block ×5, first 2 shown]
.LBB292_686:
	s_or_b32 exec_lo, exec_lo, s0
	v_lshlrev_b32_e32 v6, 2, v6
	s_mov_b32 s1, exec_lo
	v_cmp_eq_u32_e32 vcc_lo, 0, v13
	s_waitcnt lgkmcnt(0)
	s_barrier
	v_add3_u32 v6, 0xc0, v8, v6
	buffer_gl0_inv
	v_cmpx_gt_u32_e32 64, v0
	s_cbranch_execz .LBB292_694
; %bb.687:
	s_and_saveexec_b32 s0, vcc_lo
	s_cbranch_execnz .LBB292_707
; %bb.688:
	s_or_b32 exec_lo, exec_lo, s0
	s_and_saveexec_b32 s0, vcc_lo
	s_cbranch_execnz .LBB292_708
.LBB292_689:
	s_or_b32 exec_lo, exec_lo, s0
	s_and_saveexec_b32 s0, vcc_lo
	s_cbranch_execnz .LBB292_709
.LBB292_690:
	s_or_b32 exec_lo, exec_lo, s0
	s_and_saveexec_b32 s0, vcc_lo
	s_cbranch_execnz .LBB292_710
.LBB292_691:
	s_or_b32 exec_lo, exec_lo, s0
	s_and_saveexec_b32 s0, vcc_lo
	s_cbranch_execz .LBB292_693
.LBB292_692:
	ds_read_b32 v8, v6 offset:256
	s_waitcnt lgkmcnt(0)
	v_add_f32_e32 v1, v1, v8
.LBB292_693:
	s_or_b32 exec_lo, exec_lo, s0
.LBB292_694:
	s_or_b32 exec_lo, exec_lo, s1
	v_and_b32_e32 v8, 0x3e1, v0
	s_mov_b32 s1, exec_lo
	s_barrier
	buffer_gl0_inv
	v_cmpx_eq_u32_e32 32, v8
	s_cbranch_execz .LBB292_696
; %bb.695:
	ds_write2_b32 v7, v5, v4 offset1:16
	ds_write2_b32 v7, v3, v2 offset0:32 offset1:48
	ds_write_b32 v7, v1 offset:256
.LBB292_696:
	s_or_b32 exec_lo, exec_lo, s1
	s_mov_b32 s1, exec_lo
	s_waitcnt lgkmcnt(0)
	s_barrier
	buffer_gl0_inv
	v_cmpx_gt_u32_e32 32, v0
	s_cbranch_execz .LBB292_704
; %bb.697:
	s_and_saveexec_b32 s0, vcc_lo
	s_cbranch_execnz .LBB292_711
; %bb.698:
	s_or_b32 exec_lo, exec_lo, s0
	s_and_saveexec_b32 s0, vcc_lo
	s_cbranch_execnz .LBB292_712
.LBB292_699:
	s_or_b32 exec_lo, exec_lo, s0
	s_and_saveexec_b32 s0, vcc_lo
	s_cbranch_execnz .LBB292_713
.LBB292_700:
	s_or_b32 exec_lo, exec_lo, s0
	s_and_saveexec_b32 s0, vcc_lo
	s_cbranch_execnz .LBB292_714
.LBB292_701:
	s_or_b32 exec_lo, exec_lo, s0
	s_and_saveexec_b32 s0, vcc_lo
	s_cbranch_execz .LBB292_703
.LBB292_702:
	ds_read_b32 v0, v6 offset:256
	s_waitcnt lgkmcnt(0)
	v_add_f32_e32 v1, v1, v0
.LBB292_703:
	s_or_b32 exec_lo, exec_lo, s0
.LBB292_704:
	s_or_b32 exec_lo, exec_lo, s1
	s_barrier
	buffer_gl0_inv
	s_mov_b32 s0, exec_lo
	v_cmpx_eq_u32_e32 0, v8
	s_cbranch_execz .LBB292_706
; %bb.705:
	s_mul_i32 s0, s2, 0x50
	s_mul_i32 s2, s7, s10
	s_ashr_i32 s1, s0, 31
	v_lshlrev_b32_e32 v0, 1, v12
	s_lshl_b64 s[0:1], s[0:1], 1
	;;#ASMSTART
	v_cvt_f16_f32 v5, v5;

	;;#ASMEND
	s_add_u32 s4, s24, s0
	s_addc_u32 s5, s25, s1
	s_ashr_i32 s3, s2, 31
	s_lshl_b64 s[0:1], s[2:3], 1
	s_mul_i32 s2, s8, 0x50
	s_add_u32 s4, s4, s0
	s_addc_u32 s5, s5, s1
	s_ashr_i32 s3, s2, 31
	s_lshl_b64 s[0:1], s[2:3], 1
	s_add_u32 s0, s4, s0
	s_addc_u32 s1, s5, s1
	global_store_short v0, v5, s[0:1]
	;;#ASMSTART
	v_cvt_f16_f32 v4, v4;

	;;#ASMEND
	global_store_short v0, v4, s[0:1] offset:32
	;;#ASMSTART
	v_cvt_f16_f32 v3, v3;

	;;#ASMEND
	global_store_short v0, v3, s[0:1] offset:64
	;; [unrolled: 5-line block ×4, first 2 shown]
.LBB292_706:
	s_endpgm
.LBB292_707:
	ds_read_b32 v8, v6
	s_waitcnt lgkmcnt(0)
	v_add_f32_e32 v5, v5, v8
	s_or_b32 exec_lo, exec_lo, s0
	s_and_saveexec_b32 s0, vcc_lo
	s_cbranch_execz .LBB292_689
.LBB292_708:
	ds_read_b32 v8, v6 offset:64
	s_waitcnt lgkmcnt(0)
	v_add_f32_e32 v4, v4, v8
	s_or_b32 exec_lo, exec_lo, s0
	s_and_saveexec_b32 s0, vcc_lo
	s_cbranch_execz .LBB292_690
.LBB292_709:
	ds_read_b32 v8, v6 offset:128
	s_waitcnt lgkmcnt(0)
	v_add_f32_e32 v3, v3, v8
	s_or_b32 exec_lo, exec_lo, s0
	s_and_saveexec_b32 s0, vcc_lo
	s_cbranch_execz .LBB292_691
.LBB292_710:
	ds_read_b32 v8, v6 offset:192
	s_waitcnt lgkmcnt(0)
	v_add_f32_e32 v2, v2, v8
	s_or_b32 exec_lo, exec_lo, s0
	s_and_saveexec_b32 s0, vcc_lo
	s_cbranch_execnz .LBB292_692
	s_branch .LBB292_693
.LBB292_711:
	ds_read_b32 v0, v6
	s_waitcnt lgkmcnt(0)
	v_add_f32_e32 v5, v5, v0
	s_or_b32 exec_lo, exec_lo, s0
	s_and_saveexec_b32 s0, vcc_lo
	s_cbranch_execz .LBB292_699
.LBB292_712:
	ds_read_b32 v0, v6 offset:64
	s_waitcnt lgkmcnt(0)
	v_add_f32_e32 v4, v4, v0
	s_or_b32 exec_lo, exec_lo, s0
	s_and_saveexec_b32 s0, vcc_lo
	s_cbranch_execz .LBB292_700
.LBB292_713:
	ds_read_b32 v0, v6 offset:128
	s_waitcnt lgkmcnt(0)
	v_add_f32_e32 v3, v3, v0
	s_or_b32 exec_lo, exec_lo, s0
	s_and_saveexec_b32 s0, vcc_lo
	s_cbranch_execz .LBB292_701
.LBB292_714:
	ds_read_b32 v0, v6 offset:192
	s_waitcnt lgkmcnt(0)
	v_add_f32_e32 v2, v2, v0
	s_or_b32 exec_lo, exec_lo, s0
	s_and_saveexec_b32 s0, vcc_lo
	s_cbranch_execnz .LBB292_702
	s_branch .LBB292_703
	.section	.rodata,"a",@progbits
	.p2align	6, 0x0
	.amdhsa_kernel _ZN4vllm25paged_attention_v2_kernelIthLi80ELi16ELi128ELNS_18Fp8KVCacheDataTypeE1ELb0ELi512EEEvPfS2_PT_PKS3_PKT0_S9_ifPKiSB_iPKfiiiSD_SD_iiiii
		.amdhsa_group_segment_fixed_size 192
		.amdhsa_private_segment_fixed_size 0
		.amdhsa_kernarg_size 400
		.amdhsa_user_sgpr_count 6
		.amdhsa_user_sgpr_private_segment_buffer 1
		.amdhsa_user_sgpr_dispatch_ptr 0
		.amdhsa_user_sgpr_queue_ptr 0
		.amdhsa_user_sgpr_kernarg_segment_ptr 1
		.amdhsa_user_sgpr_dispatch_id 0
		.amdhsa_user_sgpr_flat_scratch_init 0
		.amdhsa_user_sgpr_private_segment_size 0
		.amdhsa_wavefront_size32 1
		.amdhsa_uses_dynamic_stack 0
		.amdhsa_system_sgpr_private_segment_wavefront_offset 0
		.amdhsa_system_sgpr_workgroup_id_x 1
		.amdhsa_system_sgpr_workgroup_id_y 1
		.amdhsa_system_sgpr_workgroup_id_z 1
		.amdhsa_system_sgpr_workgroup_info 0
		.amdhsa_system_vgpr_workitem_id 0
		.amdhsa_next_free_vgpr 98
		.amdhsa_next_free_sgpr 43
		.amdhsa_reserve_vcc 1
		.amdhsa_reserve_flat_scratch 0
		.amdhsa_float_round_mode_32 0
		.amdhsa_float_round_mode_16_64 0
		.amdhsa_float_denorm_mode_32 3
		.amdhsa_float_denorm_mode_16_64 3
		.amdhsa_dx10_clamp 1
		.amdhsa_ieee_mode 1
		.amdhsa_fp16_overflow 0
		.amdhsa_workgroup_processor_mode 1
		.amdhsa_memory_ordered 1
		.amdhsa_forward_progress 1
		.amdhsa_shared_vgpr_count 0
		.amdhsa_exception_fp_ieee_invalid_op 0
		.amdhsa_exception_fp_denorm_src 0
		.amdhsa_exception_fp_ieee_div_zero 0
		.amdhsa_exception_fp_ieee_overflow 0
		.amdhsa_exception_fp_ieee_underflow 0
		.amdhsa_exception_fp_ieee_inexact 0
		.amdhsa_exception_int_div_zero 0
	.end_amdhsa_kernel
	.section	.text._ZN4vllm25paged_attention_v2_kernelIthLi80ELi16ELi128ELNS_18Fp8KVCacheDataTypeE1ELb0ELi512EEEvPfS2_PT_PKS3_PKT0_S9_ifPKiSB_iPKfiiiSD_SD_iiiii,"axG",@progbits,_ZN4vllm25paged_attention_v2_kernelIthLi80ELi16ELi128ELNS_18Fp8KVCacheDataTypeE1ELb0ELi512EEEvPfS2_PT_PKS3_PKT0_S9_ifPKiSB_iPKfiiiSD_SD_iiiii,comdat
.Lfunc_end292:
	.size	_ZN4vllm25paged_attention_v2_kernelIthLi80ELi16ELi128ELNS_18Fp8KVCacheDataTypeE1ELb0ELi512EEEvPfS2_PT_PKS3_PKT0_S9_ifPKiSB_iPKfiiiSD_SD_iiiii, .Lfunc_end292-_ZN4vllm25paged_attention_v2_kernelIthLi80ELi16ELi128ELNS_18Fp8KVCacheDataTypeE1ELb0ELi512EEEvPfS2_PT_PKS3_PKT0_S9_ifPKiSB_iPKfiiiSD_SD_iiiii
                                        ; -- End function
	.set _ZN4vllm25paged_attention_v2_kernelIthLi80ELi16ELi128ELNS_18Fp8KVCacheDataTypeE1ELb0ELi512EEEvPfS2_PT_PKS3_PKT0_S9_ifPKiSB_iPKfiiiSD_SD_iiiii.num_vgpr, 98
	.set _ZN4vllm25paged_attention_v2_kernelIthLi80ELi16ELi128ELNS_18Fp8KVCacheDataTypeE1ELb0ELi512EEEvPfS2_PT_PKS3_PKT0_S9_ifPKiSB_iPKfiiiSD_SD_iiiii.num_agpr, 0
	.set _ZN4vllm25paged_attention_v2_kernelIthLi80ELi16ELi128ELNS_18Fp8KVCacheDataTypeE1ELb0ELi512EEEvPfS2_PT_PKS3_PKT0_S9_ifPKiSB_iPKfiiiSD_SD_iiiii.numbered_sgpr, 43
	.set _ZN4vllm25paged_attention_v2_kernelIthLi80ELi16ELi128ELNS_18Fp8KVCacheDataTypeE1ELb0ELi512EEEvPfS2_PT_PKS3_PKT0_S9_ifPKiSB_iPKfiiiSD_SD_iiiii.num_named_barrier, 0
	.set _ZN4vllm25paged_attention_v2_kernelIthLi80ELi16ELi128ELNS_18Fp8KVCacheDataTypeE1ELb0ELi512EEEvPfS2_PT_PKS3_PKT0_S9_ifPKiSB_iPKfiiiSD_SD_iiiii.private_seg_size, 0
	.set _ZN4vllm25paged_attention_v2_kernelIthLi80ELi16ELi128ELNS_18Fp8KVCacheDataTypeE1ELb0ELi512EEEvPfS2_PT_PKS3_PKT0_S9_ifPKiSB_iPKfiiiSD_SD_iiiii.uses_vcc, 1
	.set _ZN4vllm25paged_attention_v2_kernelIthLi80ELi16ELi128ELNS_18Fp8KVCacheDataTypeE1ELb0ELi512EEEvPfS2_PT_PKS3_PKT0_S9_ifPKiSB_iPKfiiiSD_SD_iiiii.uses_flat_scratch, 0
	.set _ZN4vllm25paged_attention_v2_kernelIthLi80ELi16ELi128ELNS_18Fp8KVCacheDataTypeE1ELb0ELi512EEEvPfS2_PT_PKS3_PKT0_S9_ifPKiSB_iPKfiiiSD_SD_iiiii.has_dyn_sized_stack, 0
	.set _ZN4vllm25paged_attention_v2_kernelIthLi80ELi16ELi128ELNS_18Fp8KVCacheDataTypeE1ELb0ELi512EEEvPfS2_PT_PKS3_PKT0_S9_ifPKiSB_iPKfiiiSD_SD_iiiii.has_recursion, 0
	.set _ZN4vllm25paged_attention_v2_kernelIthLi80ELi16ELi128ELNS_18Fp8KVCacheDataTypeE1ELb0ELi512EEEvPfS2_PT_PKS3_PKT0_S9_ifPKiSB_iPKfiiiSD_SD_iiiii.has_indirect_call, 0
	.section	.AMDGPU.csdata,"",@progbits
; Kernel info:
; codeLenInByte = 23708
; TotalNumSgprs: 45
; NumVgprs: 98
; ScratchSize: 0
; MemoryBound: 0
; FloatMode: 240
; IeeeMode: 1
; LDSByteSize: 192 bytes/workgroup (compile time only)
; SGPRBlocks: 0
; VGPRBlocks: 12
; NumSGPRsForWavesPerEU: 45
; NumVGPRsForWavesPerEU: 98
; Occupancy: 9
; WaveLimiterHint : 1
; COMPUTE_PGM_RSRC2:SCRATCH_EN: 0
; COMPUTE_PGM_RSRC2:USER_SGPR: 6
; COMPUTE_PGM_RSRC2:TRAP_HANDLER: 0
; COMPUTE_PGM_RSRC2:TGID_X_EN: 1
; COMPUTE_PGM_RSRC2:TGID_Y_EN: 1
; COMPUTE_PGM_RSRC2:TGID_Z_EN: 1
; COMPUTE_PGM_RSRC2:TIDIG_COMP_CNT: 0
	.section	.text._ZN4vllm25paged_attention_v2_kernelIthLi96ELi16ELi128ELNS_18Fp8KVCacheDataTypeE1ELb0ELi512EEEvPfS2_PT_PKS3_PKT0_S9_ifPKiSB_iPKfiiiSD_SD_iiiii,"axG",@progbits,_ZN4vllm25paged_attention_v2_kernelIthLi96ELi16ELi128ELNS_18Fp8KVCacheDataTypeE1ELb0ELi512EEEvPfS2_PT_PKS3_PKT0_S9_ifPKiSB_iPKfiiiSD_SD_iiiii,comdat
	.protected	_ZN4vllm25paged_attention_v2_kernelIthLi96ELi16ELi128ELNS_18Fp8KVCacheDataTypeE1ELb0ELi512EEEvPfS2_PT_PKS3_PKT0_S9_ifPKiSB_iPKfiiiSD_SD_iiiii ; -- Begin function _ZN4vllm25paged_attention_v2_kernelIthLi96ELi16ELi128ELNS_18Fp8KVCacheDataTypeE1ELb0ELi512EEEvPfS2_PT_PKS3_PKT0_S9_ifPKiSB_iPKfiiiSD_SD_iiiii
	.globl	_ZN4vllm25paged_attention_v2_kernelIthLi96ELi16ELi128ELNS_18Fp8KVCacheDataTypeE1ELb0ELi512EEEvPfS2_PT_PKS3_PKT0_S9_ifPKiSB_iPKfiiiSD_SD_iiiii
	.p2align	8
	.type	_ZN4vllm25paged_attention_v2_kernelIthLi96ELi16ELi128ELNS_18Fp8KVCacheDataTypeE1ELb0ELi512EEEvPfS2_PT_PKS3_PKT0_S9_ifPKiSB_iPKfiiiSD_SD_iiiii,@function
_ZN4vllm25paged_attention_v2_kernelIthLi96ELi16ELi128ELNS_18Fp8KVCacheDataTypeE1ELb0ELi512EEEvPfS2_PT_PKS3_PKT0_S9_ifPKiSB_iPKfiiiSD_SD_iiiii: ; @_ZN4vllm25paged_attention_v2_kernelIthLi96ELi16ELi128ELNS_18Fp8KVCacheDataTypeE1ELb0ELi512EEEvPfS2_PT_PKS3_PKT0_S9_ifPKiSB_iPKfiiiSD_SD_iiiii
; %bb.0:
	s_load_dwordx2 s[0:1], s[4:5], 0x40
	s_mov_b32 s26, s7
	s_ashr_i32 s27, s7, 31
	s_lshl_b64 s[2:3], s[26:27], 2
	s_waitcnt lgkmcnt(0)
	s_add_u32 s0, s0, s2
	s_addc_u32 s1, s1, s3
	s_lshl_b32 s33, s8, 9
	s_load_dword s27, s[0:1], 0x0
	s_waitcnt lgkmcnt(0)
	s_cmp_ge_i32 s33, s27
	s_cbranch_scc1 .LBB293_838
; %bb.1:
	s_clause 0x1
	s_load_dword s9, s[4:5], 0x90
	s_load_dwordx2 s[36:37], s[4:5], 0x30
	s_waitcnt lgkmcnt(0)
	s_abs_i32 s3, s9
	s_abs_i32 s0, s36
	v_cvt_f32_u32_e32 v1, s0
	s_sub_i32 s2, 0, s0
	v_rcp_iflag_f32_e32 v1, v1
	v_mul_f32_e32 v1, 0x4f7ffffe, v1
	v_cvt_u32_f32_e32 v1, v1
	v_readfirstlane_b32 s1, v1
	s_mul_i32 s2, s2, s1
	s_mul_hi_u32 s2, s1, s2
	s_add_i32 s1, s1, s2
	s_xor_b32 s2, s9, s36
	s_mul_hi_u32 s1, s3, s1
	s_ashr_i32 s2, s2, 31
	s_mul_i32 s7, s1, s0
	s_mov_b32 s36, 0
	s_sub_i32 s3, s3, s7
	s_add_i32 s7, s1, 1
	s_sub_i32 s10, s3, s0
	s_cmp_ge_u32 s3, s0
	s_cselect_b32 s1, s7, s1
	s_cselect_b32 s3, s10, s3
	s_add_i32 s7, s1, 1
	s_cmp_ge_u32 s3, s0
	s_cselect_b32 s0, s7, s1
	s_abs_i32 s12, s6
	s_xor_b32 s0, s0, s2
	s_sub_i32 s10, s0, s2
	s_load_dwordx2 s[0:1], s[4:5], 0x50
	s_abs_i32 s2, s10
	v_cvt_f32_u32_e32 v1, s2
	s_sub_i32 s7, 0, s2
	v_rcp_iflag_f32_e32 v1, v1
	v_mul_f32_e32 v1, 0x4f7ffffe, v1
	v_cvt_u32_f32_e32 v1, v1
	v_readfirstlane_b32 s3, v1
	s_mul_i32 s7, s7, s3
	s_mul_hi_u32 s7, s3, s7
	s_add_i32 s3, s3, s7
	s_waitcnt lgkmcnt(0)
	s_cmp_eq_u64 s[0:1], 0
	s_mul_hi_u32 s3, s12, s3
	s_cbranch_scc1 .LBB293_3
; %bb.2:
	s_ashr_i32 s7, s6, 31
	s_lshl_b64 s[14:15], s[6:7], 2
	s_add_u32 s0, s0, s14
	s_addc_u32 s1, s1, s15
	s_load_dword s36, s[0:1], 0x0
.LBB293_3:
	s_load_dwordx4 s[16:19], s[4:5], 0x58
	v_lshrrev_b32_e32 v12, 1, v0
	v_and_b32_e32 v13, 1, v0
	v_lshlrev_b32_e32 v15, 3, v0
	s_ashr_i32 s0, s6, 31
	s_ashr_i32 s1, s10, 31
	s_mul_i32 s10, s6, 0x60
	s_mov_b32 s7, exec_lo
	v_cmpx_gt_u32_e32 24, v0
	s_cbranch_execz .LBB293_5
; %bb.4:
	s_load_dwordx2 s[14:15], s[4:5], 0x18
	s_waitcnt lgkmcnt(0)
	s_mul_i32 s20, s16, s26
	v_lshlrev_b32_e32 v3, 3, v12
	s_ashr_i32 s21, s20, 31
	s_lshl_b64 s[20:21], s[20:21], 1
	v_mad_u32_u24 v3, 0x60, v13, v3
	s_add_u32 s13, s14, s20
	s_addc_u32 s16, s15, s21
	s_ashr_i32 s11, s10, 31
	s_lshl_b64 s[14:15], s[10:11], 1
	s_add_u32 s14, s13, s14
	s_addc_u32 s15, s16, s15
	global_load_dwordx2 v[1:2], v15, s[14:15]
	s_waitcnt vmcnt(0)
	ds_write_b64 v3, v[1:2]
.LBB293_5:
	s_or_b32 exec_lo, exec_lo, s7
	s_add_i32 s7, s27, 15
	s_clause 0x1
	s_load_dwordx2 s[28:29], s[4:5], 0x38
	s_load_dword s13, s[4:5], 0x48
	s_ashr_i32 s11, s7, 31
	s_waitcnt lgkmcnt(0)
	s_lshl_b32 s19, s8, 5
	s_lshr_b32 s11, s11, 28
	s_xor_b32 s0, s0, s1
	s_add_i32 s7, s7, s11
	s_add_i32 s1, s19, 32
	s_ashr_i32 s16, s7, 4
	s_mul_i32 s7, s3, s2
	s_min_i32 s11, s1, s16
	s_sub_i32 s1, s12, s7
	s_add_i32 s7, s3, 1
	s_sub_i32 s12, s1, s2
	s_cmp_ge_u32 s1, s2
	v_lshrrev_b32_e32 v14, 5, v0
	s_cselect_b32 s3, s7, s3
	s_cselect_b32 s1, s12, s1
	s_add_i32 s7, s3, 1
	s_cmp_ge_u32 s1, s2
	v_or_b32_e32 v1, s19, v14
	s_cselect_b32 s1, s7, s3
	v_mbcnt_lo_u32_b32 v16, -1, 0
	s_xor_b32 s1, s1, s0
	s_mul_i32 s30, s13, s26
	s_sub_i32 s1, s1, s0
	v_cmp_gt_i32_e64 s0, s11, v1
	s_ashr_i32 s31, s30, 31
	s_mov_b32 s2, exec_lo
	s_barrier
	buffer_gl0_inv
                                        ; implicit-def: $vgpr4
                                        ; implicit-def: $vgpr18
	v_cmpx_le_i32_e64 s11, v1
	s_xor_b32 s2, exec_lo, s2
; %bb.6:
	v_mov_b32_e32 v4, 0
	v_mbcnt_lo_u32_b32 v16, -1, 0
	v_mov_b32_e32 v18, 32
; %bb.7:
	s_or_saveexec_b32 s38, s2
	s_clause 0x4
	s_load_dwordx4 s[20:23], s[4:5], 0x0
	s_load_dwordx2 s[24:25], s[4:5], 0x10
	s_load_dword s7, s[4:5], 0x98
	s_load_dwordx2 s[34:35], s[4:5], 0x28
	s_load_dwordx4 s[12:15], s[4:5], 0x68
	v_mov_b32_e32 v17, 0xff7fffff
	v_ashrrev_i32_e32 v2, 31, v1
	s_mul_i32 s18, s1, s18
	s_xor_b32 exec_lo, exec_lo, s38
	s_cbranch_execz .LBB293_397
; %bb.8:
	s_load_dwordx2 s[2:3], s[4:5], 0x20
	v_bfe_u32 v3, v0, 1, 4
	v_lshlrev_b32_e32 v9, 4, v14
	s_ashr_i32 s4, s18, 31
	v_lshlrev_b32_e32 v6, 2, v13
	v_lshlrev_b64 v[7:8], 2, v[1:2]
	v_lshlrev_b32_e32 v5, 2, v3
	v_lshlrev_b32_e32 v10, 4, v3
	v_add3_u32 v20, s33, v9, v3
	v_mov_b32_e32 v4, 0
	v_mul_u32_u24_e32 v19, 0x60, v13
	v_lshl_or_b32 v5, v14, 6, v5
	v_cmp_neq_f32_e64 s1, s36, 0
	v_mov_b32_e32 v17, 0xff7fffff
	v_mov_b32_e32 v18, 32
	;; [unrolled: 1-line block ×3, first 2 shown]
	v_add_nc_u32_e32 v21, 0xe0, v5
	v_mov_b32_e32 v23, 0x7f
	v_mov_b32_e32 v24, 7
	;; [unrolled: 1-line block ×3, first 2 shown]
	s_waitcnt lgkmcnt(0)
	s_add_u32 s5, s2, s18
	s_addc_u32 s39, s3, s4
	v_add_co_u32 v3, s5, s5, v10
	v_add_co_ci_u32_e64 v9, null, s39, 0, s5
	s_lshl_b64 s[2:3], s[30:31], 2
	s_sub_i32 s4, 1, s27
	s_add_u32 s5, s28, s2
	v_add_co_u32 v5, s2, v3, v6
	s_addc_u32 s3, s29, s3
	v_add_co_ci_u32_e64 v6, null, 0, v9, s2
	v_add_co_u32 v7, s2, s5, v7
	v_add_co_ci_u32_e64 v8, null, s3, v8, s2
	v_mov_b32_e32 v26, v1
	s_mov_b32 s39, s17
	s_mov_b32 s5, 0
	v_cmp_eq_u32_e32 vcc_lo, 0, v13
	s_branch .LBB293_10
.LBB293_9:                              ;   in Loop: Header=BB293_10 Depth=1
	s_or_b32 exec_lo, exec_lo, s3
	v_add_nc_u32_e32 v26, 4, v26
	v_add_co_u32 v7, s3, v7, 16
	v_add_nc_u32_e32 v20, 64, v20
	v_add_nc_u32_e32 v21, 0x100, v21
	v_cmp_le_i32_e64 s2, s11, v26
	v_add_co_ci_u32_e64 v8, null, 0, v8, s3
	s_or_b32 s5, s2, s5
	s_andn2_b32 exec_lo, exec_lo, s5
	s_cbranch_execz .LBB293_396
.LBB293_10:                             ; =>This Inner Loop Header: Depth=1
	global_load_dword v3, v[7:8], off
	v_mov_b32_e32 v28, 0
	s_waitcnt vmcnt(0) lgkmcnt(0)
	v_mad_i64_i32 v[9:10], null, v3, s39, v[5:6]
	global_load_dword v11, v[9:10], off
	global_load_dword v27, v4, s[12:13]
	s_waitcnt vmcnt(1)
	v_cmp_ne_u16_sdwa s2, v11, v4 src0_sel:BYTE_0 src1_sel:DWORD
	s_and_saveexec_b32 s3, s2
	s_cbranch_execz .LBB293_18
; %bb.11:                               ;   in Loop: Header=BB293_10 Depth=1
	v_cmp_ne_u16_sdwa s2, v11, v22 src0_sel:BYTE_0 src1_sel:DWORD
	v_mov_b32_e32 v28, 0x8000
	s_and_saveexec_b32 s40, s2
	s_cbranch_execz .LBB293_17
; %bb.12:                               ;   in Loop: Header=BB293_10 Depth=1
	v_and_b32_e32 v29, 0x7f, v11
	v_mov_b32_e32 v28, 0x7c01
	s_mov_b32 s41, exec_lo
	v_cmpx_ne_u32_e32 0x7f, v29
	s_cbranch_execz .LBB293_16
; %bb.13:                               ;   in Loop: Header=BB293_10 Depth=1
	v_and_b32_e32 v3, 7, v11
	v_lshrrev_b32_e32 v28, 3, v29
	s_mov_b32 s42, exec_lo
	v_cmpx_gt_u32_e32 8, v29
; %bb.14:                               ;   in Loop: Header=BB293_10 Depth=1
	v_ffbh_u32_e32 v3, v3
	v_min_u32_e32 v3, 32, v3
	v_subrev_nc_u32_e32 v28, 28, v3
	v_lshlrev_b64 v[29:30], v28, v[11:12]
	v_sub_nc_u32_e32 v28, 29, v3
	v_and_b32_e32 v3, 7, v29
; %bb.15:                               ;   in Loop: Header=BB293_10 Depth=1
	s_or_b32 exec_lo, exec_lo, s42
	v_lshlrev_b32_e32 v29, 8, v11
	v_lshl_add_u32 v28, v28, 10, 0x2000
	v_lshlrev_b32_e32 v3, 7, v3
	v_and_b32_e32 v29, 0x8000, v29
	v_and_b32_e32 v28, 0xfc00, v28
	v_or3_b32 v28, v29, v28, v3
.LBB293_16:                             ;   in Loop: Header=BB293_10 Depth=1
	s_or_b32 exec_lo, exec_lo, s41
.LBB293_17:                             ;   in Loop: Header=BB293_10 Depth=1
	s_or_b32 exec_lo, exec_lo, s40
.LBB293_18:                             ;   in Loop: Header=BB293_10 Depth=1
	s_or_b32 exec_lo, exec_lo, s3
	v_lshrrev_b16 v3, 8, v11
	v_mov_b32_e32 v29, 0
	s_mov_b32 s3, exec_lo
	v_cmpx_ne_u16_e32 0, v3
	s_cbranch_execz .LBB293_26
; %bb.19:                               ;   in Loop: Header=BB293_10 Depth=1
	v_bfrev_b32_e32 v29, 1
	s_mov_b32 s40, exec_lo
	v_cmpx_ne_u16_e32 0x80, v3
	s_cbranch_execz .LBB293_25
; %bb.20:                               ;   in Loop: Header=BB293_10 Depth=1
	v_and_b32_sdwa v31, v3, v23 dst_sel:DWORD dst_unused:UNUSED_PAD src0_sel:WORD_0 src1_sel:DWORD
	v_mov_b32_e32 v29, 0x7c010000
	s_mov_b32 s41, exec_lo
	v_cmpx_ne_u32_e32 0x7f, v31
	s_cbranch_execz .LBB293_24
; %bb.21:                               ;   in Loop: Header=BB293_10 Depth=1
	v_and_b32_sdwa v29, v3, v24 dst_sel:DWORD dst_unused:UNUSED_PAD src0_sel:WORD_0 src1_sel:DWORD
	v_lshrrev_b32_e32 v30, 3, v31
	s_mov_b32 s42, exec_lo
	v_cmpx_gt_u32_e32 8, v31
; %bb.22:                               ;   in Loop: Header=BB293_10 Depth=1
	v_ffbh_u32_e32 v29, v29
	v_min_u32_e32 v31, 32, v29
	v_subrev_nc_u32_e32 v29, 28, v31
	v_lshlrev_b64 v[29:30], v29, v[3:4]
	v_sub_nc_u32_e32 v30, 29, v31
	v_and_b32_e32 v29, 7, v29
; %bb.23:                               ;   in Loop: Header=BB293_10 Depth=1
	s_or_b32 exec_lo, exec_lo, s42
	v_lshlrev_b32_sdwa v3, v25, v3 dst_sel:DWORD dst_unused:UNUSED_PAD src0_sel:DWORD src1_sel:WORD_0
	v_lshl_add_u32 v30, v30, 10, 0x2000
	v_lshlrev_b32_e32 v29, 23, v29
	v_and_or_b32 v3, 0x8000, v3, v30
	v_lshl_or_b32 v29, v3, 16, v29
.LBB293_24:                             ;   in Loop: Header=BB293_10 Depth=1
	s_or_b32 exec_lo, exec_lo, s41
.LBB293_25:                             ;   in Loop: Header=BB293_10 Depth=1
	s_or_b32 exec_lo, exec_lo, s40
.LBB293_26:                             ;   in Loop: Header=BB293_10 Depth=1
	s_or_b32 exec_lo, exec_lo, s3
	v_lshrrev_b32_e32 v3, 16, v11
	v_mov_b32_e32 v30, 0
	v_mov_b32_e32 v31, 0
	v_cmp_ne_u16_sdwa s2, v3, v4 src0_sel:BYTE_0 src1_sel:DWORD
	s_and_saveexec_b32 s3, s2
	s_cbranch_execz .LBB293_34
; %bb.27:                               ;   in Loop: Header=BB293_10 Depth=1
	v_cmp_ne_u16_sdwa s2, v3, v22 src0_sel:BYTE_0 src1_sel:DWORD
	v_mov_b32_e32 v31, 0x8000
	s_and_saveexec_b32 s40, s2
	s_cbranch_execz .LBB293_33
; %bb.28:                               ;   in Loop: Header=BB293_10 Depth=1
	v_bfe_u32 v33, v11, 16, 7
	v_mov_b32_e32 v31, 0x7c01
	s_mov_b32 s41, exec_lo
	v_cmpx_ne_u32_e32 0x7f, v33
	s_cbranch_execz .LBB293_32
; %bb.29:                               ;   in Loop: Header=BB293_10 Depth=1
	v_and_b32_e32 v31, 7, v3
	v_lshrrev_b32_e32 v32, 3, v33
	s_mov_b32 s42, exec_lo
	v_cmpx_gt_u32_e32 8, v33
; %bb.30:                               ;   in Loop: Header=BB293_10 Depth=1
	v_ffbh_u32_e32 v31, v31
	v_min_u32_e32 v33, 32, v31
	v_subrev_nc_u32_e32 v31, 28, v33
	v_lshlrev_b64 v[31:32], v31, v[3:4]
	v_sub_nc_u32_e32 v32, 29, v33
	v_and_b32_e32 v31, 7, v31
; %bb.31:                               ;   in Loop: Header=BB293_10 Depth=1
	s_or_b32 exec_lo, exec_lo, s42
	v_lshlrev_b32_e32 v3, 8, v3
	v_lshl_add_u32 v32, v32, 10, 0x2000
	v_lshlrev_b32_e32 v31, 7, v31
	v_and_b32_e32 v3, 0x8000, v3
	v_and_b32_e32 v32, 0xfc00, v32
	v_or3_b32 v31, v3, v32, v31
.LBB293_32:                             ;   in Loop: Header=BB293_10 Depth=1
	s_or_b32 exec_lo, exec_lo, s41
.LBB293_33:                             ;   in Loop: Header=BB293_10 Depth=1
	s_or_b32 exec_lo, exec_lo, s40
.LBB293_34:                             ;   in Loop: Header=BB293_10 Depth=1
	s_or_b32 exec_lo, exec_lo, s3
	s_mov_b32 s3, exec_lo
	v_cmpx_lt_u32_e32 0xffffff, v11
	s_cbranch_execz .LBB293_42
; %bb.35:                               ;   in Loop: Header=BB293_10 Depth=1
	v_lshrrev_b32_e32 v3, 24, v11
	v_bfrev_b32_e32 v30, 1
	s_mov_b32 s40, exec_lo
	v_cmpx_ne_u32_e32 0x80, v3
	s_cbranch_execz .LBB293_41
; %bb.36:                               ;   in Loop: Header=BB293_10 Depth=1
	v_and_b32_e32 v32, 0x7f, v3
	v_mov_b32_e32 v30, 0x7c010000
	s_mov_b32 s41, exec_lo
	v_cmpx_ne_u32_e32 0x7f, v32
	s_cbranch_execz .LBB293_40
; %bb.37:                               ;   in Loop: Header=BB293_10 Depth=1
	v_and_b32_e32 v11, 7, v3
	v_lshrrev_b32_e32 v30, 3, v32
	s_mov_b32 s42, exec_lo
	v_cmpx_gt_u32_e32 8, v32
; %bb.38:                               ;   in Loop: Header=BB293_10 Depth=1
	v_ffbh_u32_e32 v11, v11
	v_min_u32_e32 v11, 32, v11
	v_subrev_nc_u32_e32 v30, 28, v11
	v_lshlrev_b64 v[32:33], v30, v[3:4]
	v_sub_nc_u32_e32 v30, 29, v11
	v_and_b32_e32 v11, 7, v32
; %bb.39:                               ;   in Loop: Header=BB293_10 Depth=1
	s_or_b32 exec_lo, exec_lo, s42
	v_lshlrev_b32_e32 v3, 8, v3
	v_lshl_add_u32 v30, v30, 10, 0x2000
	v_lshlrev_b32_e32 v11, 23, v11
	v_and_or_b32 v3, 0x8000, v3, v30
	v_lshl_or_b32 v30, v3, 16, v11
.LBB293_40:                             ;   in Loop: Header=BB293_10 Depth=1
	s_or_b32 exec_lo, exec_lo, s41
.LBB293_41:                             ;   in Loop: Header=BB293_10 Depth=1
	s_or_b32 exec_lo, exec_lo, s40
.LBB293_42:                             ;   in Loop: Header=BB293_10 Depth=1
	s_or_b32 exec_lo, exec_lo, s3
	global_load_dword v11, v[9:10], off offset:8
	v_mov_b32_e32 v32, 0
	v_mov_b32_e32 v33, 0
	s_waitcnt vmcnt(0)
	v_cmp_ne_u16_sdwa s2, v11, v4 src0_sel:BYTE_0 src1_sel:DWORD
	s_and_saveexec_b32 s3, s2
	s_cbranch_execz .LBB293_50
; %bb.43:                               ;   in Loop: Header=BB293_10 Depth=1
	v_cmp_ne_u16_sdwa s2, v11, v22 src0_sel:BYTE_0 src1_sel:DWORD
	v_mov_b32_e32 v33, 0x8000
	s_and_saveexec_b32 s40, s2
	s_cbranch_execz .LBB293_49
; %bb.44:                               ;   in Loop: Header=BB293_10 Depth=1
	v_and_b32_e32 v34, 0x7f, v11
	v_mov_b32_e32 v33, 0x7c01
	s_mov_b32 s41, exec_lo
	v_cmpx_ne_u32_e32 0x7f, v34
	s_cbranch_execz .LBB293_48
; %bb.45:                               ;   in Loop: Header=BB293_10 Depth=1
	v_and_b32_e32 v3, 7, v11
	v_lshrrev_b32_e32 v33, 3, v34
	s_mov_b32 s42, exec_lo
	v_cmpx_gt_u32_e32 8, v34
; %bb.46:                               ;   in Loop: Header=BB293_10 Depth=1
	v_ffbh_u32_e32 v3, v3
	v_min_u32_e32 v3, 32, v3
	v_subrev_nc_u32_e32 v33, 28, v3
	v_lshlrev_b64 v[34:35], v33, v[11:12]
	v_sub_nc_u32_e32 v33, 29, v3
	v_and_b32_e32 v3, 7, v34
; %bb.47:                               ;   in Loop: Header=BB293_10 Depth=1
	s_or_b32 exec_lo, exec_lo, s42
	v_lshlrev_b32_e32 v34, 8, v11
	v_lshl_add_u32 v33, v33, 10, 0x2000
	v_lshlrev_b32_e32 v3, 7, v3
	v_and_b32_e32 v34, 0x8000, v34
	v_and_b32_e32 v33, 0xfc00, v33
	v_or3_b32 v33, v34, v33, v3
.LBB293_48:                             ;   in Loop: Header=BB293_10 Depth=1
	s_or_b32 exec_lo, exec_lo, s41
.LBB293_49:                             ;   in Loop: Header=BB293_10 Depth=1
	s_or_b32 exec_lo, exec_lo, s40
.LBB293_50:                             ;   in Loop: Header=BB293_10 Depth=1
	s_or_b32 exec_lo, exec_lo, s3
	v_lshrrev_b16 v3, 8, v11
	s_mov_b32 s3, exec_lo
	v_cmpx_ne_u16_e32 0, v3
	s_cbranch_execz .LBB293_58
; %bb.51:                               ;   in Loop: Header=BB293_10 Depth=1
	v_bfrev_b32_e32 v32, 1
	s_mov_b32 s40, exec_lo
	v_cmpx_ne_u16_e32 0x80, v3
	s_cbranch_execz .LBB293_57
; %bb.52:                               ;   in Loop: Header=BB293_10 Depth=1
	v_and_b32_sdwa v35, v3, v23 dst_sel:DWORD dst_unused:UNUSED_PAD src0_sel:WORD_0 src1_sel:DWORD
	v_mov_b32_e32 v32, 0x7c010000
	s_mov_b32 s41, exec_lo
	v_cmpx_ne_u32_e32 0x7f, v35
	s_cbranch_execz .LBB293_56
; %bb.53:                               ;   in Loop: Header=BB293_10 Depth=1
	v_and_b32_sdwa v32, v3, v24 dst_sel:DWORD dst_unused:UNUSED_PAD src0_sel:WORD_0 src1_sel:DWORD
	v_lshrrev_b32_e32 v34, 3, v35
	s_mov_b32 s42, exec_lo
	v_cmpx_gt_u32_e32 8, v35
; %bb.54:                               ;   in Loop: Header=BB293_10 Depth=1
	v_ffbh_u32_e32 v32, v32
	v_min_u32_e32 v32, 32, v32
	v_subrev_nc_u32_e32 v34, 28, v32
	v_lshlrev_b64 v[35:36], v34, v[3:4]
	v_sub_nc_u32_e32 v34, 29, v32
	v_and_b32_e32 v32, 7, v35
; %bb.55:                               ;   in Loop: Header=BB293_10 Depth=1
	s_or_b32 exec_lo, exec_lo, s42
	v_lshlrev_b32_sdwa v3, v25, v3 dst_sel:DWORD dst_unused:UNUSED_PAD src0_sel:DWORD src1_sel:WORD_0
	v_lshl_add_u32 v34, v34, 10, 0x2000
	v_lshlrev_b32_e32 v32, 23, v32
	v_and_or_b32 v3, 0x8000, v3, v34
	v_lshl_or_b32 v32, v3, 16, v32
.LBB293_56:                             ;   in Loop: Header=BB293_10 Depth=1
	s_or_b32 exec_lo, exec_lo, s41
.LBB293_57:                             ;   in Loop: Header=BB293_10 Depth=1
	s_or_b32 exec_lo, exec_lo, s40
.LBB293_58:                             ;   in Loop: Header=BB293_10 Depth=1
	s_or_b32 exec_lo, exec_lo, s3
	v_lshrrev_b32_e32 v3, 16, v11
	v_mov_b32_e32 v34, 0
	v_mov_b32_e32 v35, 0
	v_cmp_ne_u16_sdwa s2, v3, v4 src0_sel:BYTE_0 src1_sel:DWORD
	s_and_saveexec_b32 s3, s2
	s_cbranch_execz .LBB293_66
; %bb.59:                               ;   in Loop: Header=BB293_10 Depth=1
	v_cmp_ne_u16_sdwa s2, v3, v22 src0_sel:BYTE_0 src1_sel:DWORD
	v_mov_b32_e32 v35, 0x8000
	s_and_saveexec_b32 s40, s2
	s_cbranch_execz .LBB293_65
; %bb.60:                               ;   in Loop: Header=BB293_10 Depth=1
	v_bfe_u32 v37, v11, 16, 7
	v_mov_b32_e32 v35, 0x7c01
	s_mov_b32 s41, exec_lo
	v_cmpx_ne_u32_e32 0x7f, v37
	s_cbranch_execz .LBB293_64
; %bb.61:                               ;   in Loop: Header=BB293_10 Depth=1
	v_and_b32_e32 v35, 7, v3
	v_lshrrev_b32_e32 v36, 3, v37
	s_mov_b32 s42, exec_lo
	v_cmpx_gt_u32_e32 8, v37
; %bb.62:                               ;   in Loop: Header=BB293_10 Depth=1
	v_ffbh_u32_e32 v35, v35
	v_min_u32_e32 v37, 32, v35
	v_subrev_nc_u32_e32 v35, 28, v37
	v_lshlrev_b64 v[35:36], v35, v[3:4]
	v_sub_nc_u32_e32 v36, 29, v37
	v_and_b32_e32 v35, 7, v35
; %bb.63:                               ;   in Loop: Header=BB293_10 Depth=1
	s_or_b32 exec_lo, exec_lo, s42
	v_lshlrev_b32_e32 v3, 8, v3
	v_lshl_add_u32 v36, v36, 10, 0x2000
	v_lshlrev_b32_e32 v35, 7, v35
	v_and_b32_e32 v3, 0x8000, v3
	v_and_b32_e32 v36, 0xfc00, v36
	v_or3_b32 v35, v3, v36, v35
.LBB293_64:                             ;   in Loop: Header=BB293_10 Depth=1
	s_or_b32 exec_lo, exec_lo, s41
.LBB293_65:                             ;   in Loop: Header=BB293_10 Depth=1
	s_or_b32 exec_lo, exec_lo, s40
.LBB293_66:                             ;   in Loop: Header=BB293_10 Depth=1
	s_or_b32 exec_lo, exec_lo, s3
	s_mov_b32 s3, exec_lo
	v_cmpx_lt_u32_e32 0xffffff, v11
	s_cbranch_execz .LBB293_74
; %bb.67:                               ;   in Loop: Header=BB293_10 Depth=1
	v_lshrrev_b32_e32 v3, 24, v11
	v_bfrev_b32_e32 v34, 1
	s_mov_b32 s40, exec_lo
	v_cmpx_ne_u32_e32 0x80, v3
	s_cbranch_execz .LBB293_73
; %bb.68:                               ;   in Loop: Header=BB293_10 Depth=1
	v_and_b32_e32 v36, 0x7f, v3
	v_mov_b32_e32 v34, 0x7c010000
	s_mov_b32 s41, exec_lo
	v_cmpx_ne_u32_e32 0x7f, v36
	s_cbranch_execz .LBB293_72
; %bb.69:                               ;   in Loop: Header=BB293_10 Depth=1
	v_and_b32_e32 v11, 7, v3
	v_lshrrev_b32_e32 v34, 3, v36
	s_mov_b32 s42, exec_lo
	v_cmpx_gt_u32_e32 8, v36
; %bb.70:                               ;   in Loop: Header=BB293_10 Depth=1
	v_ffbh_u32_e32 v11, v11
	v_min_u32_e32 v11, 32, v11
	v_subrev_nc_u32_e32 v34, 28, v11
	v_lshlrev_b64 v[36:37], v34, v[3:4]
	v_sub_nc_u32_e32 v34, 29, v11
	v_and_b32_e32 v11, 7, v36
; %bb.71:                               ;   in Loop: Header=BB293_10 Depth=1
	s_or_b32 exec_lo, exec_lo, s42
	v_lshlrev_b32_e32 v3, 8, v3
	v_lshl_add_u32 v34, v34, 10, 0x2000
	v_lshlrev_b32_e32 v11, 23, v11
	v_and_or_b32 v3, 0x8000, v3, v34
	v_lshl_or_b32 v34, v3, 16, v11
.LBB293_72:                             ;   in Loop: Header=BB293_10 Depth=1
	s_or_b32 exec_lo, exec_lo, s41
.LBB293_73:                             ;   in Loop: Header=BB293_10 Depth=1
	s_or_b32 exec_lo, exec_lo, s40
.LBB293_74:                             ;   in Loop: Header=BB293_10 Depth=1
	s_or_b32 exec_lo, exec_lo, s3
	global_load_dword v11, v[9:10], off offset:256
	v_mov_b32_e32 v36, 0
	v_mov_b32_e32 v37, 0
	s_waitcnt vmcnt(0)
	v_cmp_ne_u16_sdwa s2, v11, v4 src0_sel:BYTE_0 src1_sel:DWORD
	s_and_saveexec_b32 s3, s2
	s_cbranch_execz .LBB293_82
; %bb.75:                               ;   in Loop: Header=BB293_10 Depth=1
	v_cmp_ne_u16_sdwa s2, v11, v22 src0_sel:BYTE_0 src1_sel:DWORD
	v_mov_b32_e32 v37, 0x8000
	s_and_saveexec_b32 s40, s2
	s_cbranch_execz .LBB293_81
; %bb.76:                               ;   in Loop: Header=BB293_10 Depth=1
	v_and_b32_e32 v38, 0x7f, v11
	v_mov_b32_e32 v37, 0x7c01
	s_mov_b32 s41, exec_lo
	v_cmpx_ne_u32_e32 0x7f, v38
	s_cbranch_execz .LBB293_80
; %bb.77:                               ;   in Loop: Header=BB293_10 Depth=1
	v_and_b32_e32 v3, 7, v11
	v_lshrrev_b32_e32 v37, 3, v38
	s_mov_b32 s42, exec_lo
	v_cmpx_gt_u32_e32 8, v38
; %bb.78:                               ;   in Loop: Header=BB293_10 Depth=1
	v_ffbh_u32_e32 v3, v3
	v_min_u32_e32 v3, 32, v3
	v_subrev_nc_u32_e32 v37, 28, v3
	v_lshlrev_b64 v[38:39], v37, v[11:12]
	v_sub_nc_u32_e32 v37, 29, v3
	v_and_b32_e32 v3, 7, v38
; %bb.79:                               ;   in Loop: Header=BB293_10 Depth=1
	s_or_b32 exec_lo, exec_lo, s42
	v_lshlrev_b32_e32 v38, 8, v11
	v_lshl_add_u32 v37, v37, 10, 0x2000
	v_lshlrev_b32_e32 v3, 7, v3
	v_and_b32_e32 v38, 0x8000, v38
	v_and_b32_e32 v37, 0xfc00, v37
	v_or3_b32 v37, v38, v37, v3
.LBB293_80:                             ;   in Loop: Header=BB293_10 Depth=1
	s_or_b32 exec_lo, exec_lo, s41
.LBB293_81:                             ;   in Loop: Header=BB293_10 Depth=1
	s_or_b32 exec_lo, exec_lo, s40
.LBB293_82:                             ;   in Loop: Header=BB293_10 Depth=1
	s_or_b32 exec_lo, exec_lo, s3
	v_lshrrev_b16 v3, 8, v11
	s_mov_b32 s3, exec_lo
	v_cmpx_ne_u16_e32 0, v3
	s_cbranch_execz .LBB293_90
; %bb.83:                               ;   in Loop: Header=BB293_10 Depth=1
	v_bfrev_b32_e32 v36, 1
	s_mov_b32 s40, exec_lo
	v_cmpx_ne_u16_e32 0x80, v3
	s_cbranch_execz .LBB293_89
; %bb.84:                               ;   in Loop: Header=BB293_10 Depth=1
	v_and_b32_sdwa v39, v3, v23 dst_sel:DWORD dst_unused:UNUSED_PAD src0_sel:WORD_0 src1_sel:DWORD
	v_mov_b32_e32 v36, 0x7c010000
	s_mov_b32 s41, exec_lo
	v_cmpx_ne_u32_e32 0x7f, v39
	s_cbranch_execz .LBB293_88
; %bb.85:                               ;   in Loop: Header=BB293_10 Depth=1
	v_and_b32_sdwa v36, v3, v24 dst_sel:DWORD dst_unused:UNUSED_PAD src0_sel:WORD_0 src1_sel:DWORD
	v_lshrrev_b32_e32 v38, 3, v39
	s_mov_b32 s42, exec_lo
	v_cmpx_gt_u32_e32 8, v39
; %bb.86:                               ;   in Loop: Header=BB293_10 Depth=1
	v_ffbh_u32_e32 v36, v36
	v_min_u32_e32 v36, 32, v36
	v_subrev_nc_u32_e32 v38, 28, v36
	v_lshlrev_b64 v[39:40], v38, v[3:4]
	v_sub_nc_u32_e32 v38, 29, v36
	v_and_b32_e32 v36, 7, v39
; %bb.87:                               ;   in Loop: Header=BB293_10 Depth=1
	s_or_b32 exec_lo, exec_lo, s42
	v_lshlrev_b32_sdwa v3, v25, v3 dst_sel:DWORD dst_unused:UNUSED_PAD src0_sel:DWORD src1_sel:WORD_0
	v_lshl_add_u32 v38, v38, 10, 0x2000
	v_lshlrev_b32_e32 v36, 23, v36
	v_and_or_b32 v3, 0x8000, v3, v38
	v_lshl_or_b32 v36, v3, 16, v36
.LBB293_88:                             ;   in Loop: Header=BB293_10 Depth=1
	s_or_b32 exec_lo, exec_lo, s41
.LBB293_89:                             ;   in Loop: Header=BB293_10 Depth=1
	s_or_b32 exec_lo, exec_lo, s40
.LBB293_90:                             ;   in Loop: Header=BB293_10 Depth=1
	s_or_b32 exec_lo, exec_lo, s3
	v_lshrrev_b32_e32 v3, 16, v11
	v_mov_b32_e32 v38, 0
	v_mov_b32_e32 v39, 0
	v_cmp_ne_u16_sdwa s2, v3, v4 src0_sel:BYTE_0 src1_sel:DWORD
	s_and_saveexec_b32 s3, s2
	s_cbranch_execz .LBB293_98
; %bb.91:                               ;   in Loop: Header=BB293_10 Depth=1
	v_cmp_ne_u16_sdwa s2, v3, v22 src0_sel:BYTE_0 src1_sel:DWORD
	v_mov_b32_e32 v39, 0x8000
	s_and_saveexec_b32 s40, s2
	s_cbranch_execz .LBB293_97
; %bb.92:                               ;   in Loop: Header=BB293_10 Depth=1
	v_bfe_u32 v41, v11, 16, 7
	v_mov_b32_e32 v39, 0x7c01
	s_mov_b32 s41, exec_lo
	v_cmpx_ne_u32_e32 0x7f, v41
	s_cbranch_execz .LBB293_96
; %bb.93:                               ;   in Loop: Header=BB293_10 Depth=1
	v_and_b32_e32 v39, 7, v3
	v_lshrrev_b32_e32 v40, 3, v41
	s_mov_b32 s42, exec_lo
	v_cmpx_gt_u32_e32 8, v41
; %bb.94:                               ;   in Loop: Header=BB293_10 Depth=1
	v_ffbh_u32_e32 v39, v39
	v_min_u32_e32 v41, 32, v39
	v_subrev_nc_u32_e32 v39, 28, v41
	v_lshlrev_b64 v[39:40], v39, v[3:4]
	v_sub_nc_u32_e32 v40, 29, v41
	v_and_b32_e32 v39, 7, v39
; %bb.95:                               ;   in Loop: Header=BB293_10 Depth=1
	s_or_b32 exec_lo, exec_lo, s42
	v_lshlrev_b32_e32 v3, 8, v3
	v_lshl_add_u32 v40, v40, 10, 0x2000
	v_lshlrev_b32_e32 v39, 7, v39
	v_and_b32_e32 v3, 0x8000, v3
	v_and_b32_e32 v40, 0xfc00, v40
	v_or3_b32 v39, v3, v40, v39
.LBB293_96:                             ;   in Loop: Header=BB293_10 Depth=1
	s_or_b32 exec_lo, exec_lo, s41
.LBB293_97:                             ;   in Loop: Header=BB293_10 Depth=1
	s_or_b32 exec_lo, exec_lo, s40
.LBB293_98:                             ;   in Loop: Header=BB293_10 Depth=1
	s_or_b32 exec_lo, exec_lo, s3
	s_mov_b32 s3, exec_lo
	v_cmpx_lt_u32_e32 0xffffff, v11
	s_cbranch_execz .LBB293_106
; %bb.99:                               ;   in Loop: Header=BB293_10 Depth=1
	v_lshrrev_b32_e32 v3, 24, v11
	v_bfrev_b32_e32 v38, 1
	s_mov_b32 s40, exec_lo
	v_cmpx_ne_u32_e32 0x80, v3
	s_cbranch_execz .LBB293_105
; %bb.100:                              ;   in Loop: Header=BB293_10 Depth=1
	v_and_b32_e32 v40, 0x7f, v3
	v_mov_b32_e32 v38, 0x7c010000
	s_mov_b32 s41, exec_lo
	v_cmpx_ne_u32_e32 0x7f, v40
	s_cbranch_execz .LBB293_104
; %bb.101:                              ;   in Loop: Header=BB293_10 Depth=1
	v_and_b32_e32 v11, 7, v3
	v_lshrrev_b32_e32 v38, 3, v40
	s_mov_b32 s42, exec_lo
	v_cmpx_gt_u32_e32 8, v40
; %bb.102:                              ;   in Loop: Header=BB293_10 Depth=1
	v_ffbh_u32_e32 v11, v11
	v_min_u32_e32 v11, 32, v11
	v_subrev_nc_u32_e32 v38, 28, v11
	v_lshlrev_b64 v[40:41], v38, v[3:4]
	v_sub_nc_u32_e32 v38, 29, v11
	v_and_b32_e32 v11, 7, v40
; %bb.103:                              ;   in Loop: Header=BB293_10 Depth=1
	s_or_b32 exec_lo, exec_lo, s42
	v_lshlrev_b32_e32 v3, 8, v3
	v_lshl_add_u32 v38, v38, 10, 0x2000
	v_lshlrev_b32_e32 v11, 23, v11
	v_and_or_b32 v3, 0x8000, v3, v38
	v_lshl_or_b32 v38, v3, 16, v11
.LBB293_104:                            ;   in Loop: Header=BB293_10 Depth=1
	s_or_b32 exec_lo, exec_lo, s41
.LBB293_105:                            ;   in Loop: Header=BB293_10 Depth=1
	s_or_b32 exec_lo, exec_lo, s40
.LBB293_106:                            ;   in Loop: Header=BB293_10 Depth=1
	s_or_b32 exec_lo, exec_lo, s3
	global_load_dword v11, v[9:10], off offset:264
	v_mov_b32_e32 v40, 0
	v_mov_b32_e32 v41, 0
	s_waitcnt vmcnt(0)
	v_cmp_ne_u16_sdwa s2, v11, v4 src0_sel:BYTE_0 src1_sel:DWORD
	s_and_saveexec_b32 s3, s2
	s_cbranch_execz .LBB293_114
; %bb.107:                              ;   in Loop: Header=BB293_10 Depth=1
	v_cmp_ne_u16_sdwa s2, v11, v22 src0_sel:BYTE_0 src1_sel:DWORD
	v_mov_b32_e32 v41, 0x8000
	s_and_saveexec_b32 s40, s2
	s_cbranch_execz .LBB293_113
; %bb.108:                              ;   in Loop: Header=BB293_10 Depth=1
	v_and_b32_e32 v42, 0x7f, v11
	v_mov_b32_e32 v41, 0x7c01
	s_mov_b32 s41, exec_lo
	v_cmpx_ne_u32_e32 0x7f, v42
	s_cbranch_execz .LBB293_112
; %bb.109:                              ;   in Loop: Header=BB293_10 Depth=1
	v_and_b32_e32 v3, 7, v11
	v_lshrrev_b32_e32 v41, 3, v42
	s_mov_b32 s42, exec_lo
	v_cmpx_gt_u32_e32 8, v42
; %bb.110:                              ;   in Loop: Header=BB293_10 Depth=1
	v_ffbh_u32_e32 v3, v3
	v_min_u32_e32 v3, 32, v3
	v_subrev_nc_u32_e32 v41, 28, v3
	v_lshlrev_b64 v[42:43], v41, v[11:12]
	v_sub_nc_u32_e32 v41, 29, v3
	v_and_b32_e32 v3, 7, v42
; %bb.111:                              ;   in Loop: Header=BB293_10 Depth=1
	s_or_b32 exec_lo, exec_lo, s42
	v_lshlrev_b32_e32 v42, 8, v11
	v_lshl_add_u32 v41, v41, 10, 0x2000
	v_lshlrev_b32_e32 v3, 7, v3
	v_and_b32_e32 v42, 0x8000, v42
	v_and_b32_e32 v41, 0xfc00, v41
	v_or3_b32 v41, v42, v41, v3
.LBB293_112:                            ;   in Loop: Header=BB293_10 Depth=1
	s_or_b32 exec_lo, exec_lo, s41
.LBB293_113:                            ;   in Loop: Header=BB293_10 Depth=1
	s_or_b32 exec_lo, exec_lo, s40
.LBB293_114:                            ;   in Loop: Header=BB293_10 Depth=1
	s_or_b32 exec_lo, exec_lo, s3
	v_lshrrev_b16 v3, 8, v11
	s_mov_b32 s3, exec_lo
	v_cmpx_ne_u16_e32 0, v3
	s_cbranch_execz .LBB293_122
; %bb.115:                              ;   in Loop: Header=BB293_10 Depth=1
	v_bfrev_b32_e32 v40, 1
	s_mov_b32 s40, exec_lo
	v_cmpx_ne_u16_e32 0x80, v3
	s_cbranch_execz .LBB293_121
; %bb.116:                              ;   in Loop: Header=BB293_10 Depth=1
	v_and_b32_sdwa v43, v3, v23 dst_sel:DWORD dst_unused:UNUSED_PAD src0_sel:WORD_0 src1_sel:DWORD
	v_mov_b32_e32 v40, 0x7c010000
	s_mov_b32 s41, exec_lo
	v_cmpx_ne_u32_e32 0x7f, v43
	s_cbranch_execz .LBB293_120
; %bb.117:                              ;   in Loop: Header=BB293_10 Depth=1
	v_and_b32_sdwa v40, v3, v24 dst_sel:DWORD dst_unused:UNUSED_PAD src0_sel:WORD_0 src1_sel:DWORD
	v_lshrrev_b32_e32 v42, 3, v43
	s_mov_b32 s42, exec_lo
	v_cmpx_gt_u32_e32 8, v43
; %bb.118:                              ;   in Loop: Header=BB293_10 Depth=1
	v_ffbh_u32_e32 v40, v40
	v_min_u32_e32 v40, 32, v40
	v_subrev_nc_u32_e32 v42, 28, v40
	v_lshlrev_b64 v[43:44], v42, v[3:4]
	v_sub_nc_u32_e32 v42, 29, v40
	v_and_b32_e32 v40, 7, v43
; %bb.119:                              ;   in Loop: Header=BB293_10 Depth=1
	s_or_b32 exec_lo, exec_lo, s42
	v_lshlrev_b32_sdwa v3, v25, v3 dst_sel:DWORD dst_unused:UNUSED_PAD src0_sel:DWORD src1_sel:WORD_0
	v_lshl_add_u32 v42, v42, 10, 0x2000
	v_lshlrev_b32_e32 v40, 23, v40
	v_and_or_b32 v3, 0x8000, v3, v42
	v_lshl_or_b32 v40, v3, 16, v40
.LBB293_120:                            ;   in Loop: Header=BB293_10 Depth=1
	s_or_b32 exec_lo, exec_lo, s41
.LBB293_121:                            ;   in Loop: Header=BB293_10 Depth=1
	s_or_b32 exec_lo, exec_lo, s40
.LBB293_122:                            ;   in Loop: Header=BB293_10 Depth=1
	s_or_b32 exec_lo, exec_lo, s3
	v_lshrrev_b32_e32 v3, 16, v11
	v_mov_b32_e32 v42, 0
	v_mov_b32_e32 v43, 0
	v_cmp_ne_u16_sdwa s2, v3, v4 src0_sel:BYTE_0 src1_sel:DWORD
	s_and_saveexec_b32 s3, s2
	s_cbranch_execz .LBB293_130
; %bb.123:                              ;   in Loop: Header=BB293_10 Depth=1
	v_cmp_ne_u16_sdwa s2, v3, v22 src0_sel:BYTE_0 src1_sel:DWORD
	v_mov_b32_e32 v43, 0x8000
	s_and_saveexec_b32 s40, s2
	s_cbranch_execz .LBB293_129
; %bb.124:                              ;   in Loop: Header=BB293_10 Depth=1
	v_bfe_u32 v45, v11, 16, 7
	v_mov_b32_e32 v43, 0x7c01
	s_mov_b32 s41, exec_lo
	v_cmpx_ne_u32_e32 0x7f, v45
	s_cbranch_execz .LBB293_128
; %bb.125:                              ;   in Loop: Header=BB293_10 Depth=1
	v_and_b32_e32 v43, 7, v3
	v_lshrrev_b32_e32 v44, 3, v45
	s_mov_b32 s42, exec_lo
	v_cmpx_gt_u32_e32 8, v45
; %bb.126:                              ;   in Loop: Header=BB293_10 Depth=1
	v_ffbh_u32_e32 v43, v43
	v_min_u32_e32 v45, 32, v43
	v_subrev_nc_u32_e32 v43, 28, v45
	v_lshlrev_b64 v[43:44], v43, v[3:4]
	v_sub_nc_u32_e32 v44, 29, v45
	v_and_b32_e32 v43, 7, v43
; %bb.127:                              ;   in Loop: Header=BB293_10 Depth=1
	s_or_b32 exec_lo, exec_lo, s42
	v_lshlrev_b32_e32 v3, 8, v3
	v_lshl_add_u32 v44, v44, 10, 0x2000
	v_lshlrev_b32_e32 v43, 7, v43
	v_and_b32_e32 v3, 0x8000, v3
	v_and_b32_e32 v44, 0xfc00, v44
	v_or3_b32 v43, v3, v44, v43
.LBB293_128:                            ;   in Loop: Header=BB293_10 Depth=1
	s_or_b32 exec_lo, exec_lo, s41
.LBB293_129:                            ;   in Loop: Header=BB293_10 Depth=1
	s_or_b32 exec_lo, exec_lo, s40
.LBB293_130:                            ;   in Loop: Header=BB293_10 Depth=1
	s_or_b32 exec_lo, exec_lo, s3
	s_mov_b32 s3, exec_lo
	v_cmpx_lt_u32_e32 0xffffff, v11
	s_cbranch_execz .LBB293_138
; %bb.131:                              ;   in Loop: Header=BB293_10 Depth=1
	v_lshrrev_b32_e32 v3, 24, v11
	v_bfrev_b32_e32 v42, 1
	s_mov_b32 s40, exec_lo
	v_cmpx_ne_u32_e32 0x80, v3
	s_cbranch_execz .LBB293_137
; %bb.132:                              ;   in Loop: Header=BB293_10 Depth=1
	v_and_b32_e32 v44, 0x7f, v3
	v_mov_b32_e32 v42, 0x7c010000
	s_mov_b32 s41, exec_lo
	v_cmpx_ne_u32_e32 0x7f, v44
	s_cbranch_execz .LBB293_136
; %bb.133:                              ;   in Loop: Header=BB293_10 Depth=1
	v_and_b32_e32 v11, 7, v3
	v_lshrrev_b32_e32 v42, 3, v44
	s_mov_b32 s42, exec_lo
	v_cmpx_gt_u32_e32 8, v44
; %bb.134:                              ;   in Loop: Header=BB293_10 Depth=1
	v_ffbh_u32_e32 v11, v11
	v_min_u32_e32 v11, 32, v11
	v_subrev_nc_u32_e32 v42, 28, v11
	v_lshlrev_b64 v[44:45], v42, v[3:4]
	v_sub_nc_u32_e32 v42, 29, v11
	v_and_b32_e32 v11, 7, v44
; %bb.135:                              ;   in Loop: Header=BB293_10 Depth=1
	s_or_b32 exec_lo, exec_lo, s42
	v_lshlrev_b32_e32 v3, 8, v3
	v_lshl_add_u32 v42, v42, 10, 0x2000
	v_lshlrev_b32_e32 v11, 23, v11
	v_and_or_b32 v3, 0x8000, v3, v42
	v_lshl_or_b32 v42, v3, 16, v11
.LBB293_136:                            ;   in Loop: Header=BB293_10 Depth=1
	s_or_b32 exec_lo, exec_lo, s41
.LBB293_137:                            ;   in Loop: Header=BB293_10 Depth=1
	s_or_b32 exec_lo, exec_lo, s40
.LBB293_138:                            ;   in Loop: Header=BB293_10 Depth=1
	s_or_b32 exec_lo, exec_lo, s3
	global_load_dword v11, v[9:10], off offset:512
	v_mov_b32_e32 v44, 0
	v_mov_b32_e32 v45, 0
	s_waitcnt vmcnt(0)
	v_cmp_ne_u16_sdwa s2, v11, v4 src0_sel:BYTE_0 src1_sel:DWORD
	s_and_saveexec_b32 s3, s2
	s_cbranch_execz .LBB293_146
; %bb.139:                              ;   in Loop: Header=BB293_10 Depth=1
	v_cmp_ne_u16_sdwa s2, v11, v22 src0_sel:BYTE_0 src1_sel:DWORD
	v_mov_b32_e32 v45, 0x8000
	s_and_saveexec_b32 s40, s2
	s_cbranch_execz .LBB293_145
; %bb.140:                              ;   in Loop: Header=BB293_10 Depth=1
	v_and_b32_e32 v46, 0x7f, v11
	v_mov_b32_e32 v45, 0x7c01
	s_mov_b32 s41, exec_lo
	v_cmpx_ne_u32_e32 0x7f, v46
	s_cbranch_execz .LBB293_144
; %bb.141:                              ;   in Loop: Header=BB293_10 Depth=1
	v_and_b32_e32 v3, 7, v11
	v_lshrrev_b32_e32 v45, 3, v46
	s_mov_b32 s42, exec_lo
	v_cmpx_gt_u32_e32 8, v46
; %bb.142:                              ;   in Loop: Header=BB293_10 Depth=1
	v_ffbh_u32_e32 v3, v3
	v_min_u32_e32 v3, 32, v3
	v_subrev_nc_u32_e32 v45, 28, v3
	v_lshlrev_b64 v[46:47], v45, v[11:12]
	v_sub_nc_u32_e32 v45, 29, v3
	v_and_b32_e32 v3, 7, v46
; %bb.143:                              ;   in Loop: Header=BB293_10 Depth=1
	s_or_b32 exec_lo, exec_lo, s42
	v_lshlrev_b32_e32 v46, 8, v11
	v_lshl_add_u32 v45, v45, 10, 0x2000
	v_lshlrev_b32_e32 v3, 7, v3
	v_and_b32_e32 v46, 0x8000, v46
	v_and_b32_e32 v45, 0xfc00, v45
	v_or3_b32 v45, v46, v45, v3
.LBB293_144:                            ;   in Loop: Header=BB293_10 Depth=1
	s_or_b32 exec_lo, exec_lo, s41
.LBB293_145:                            ;   in Loop: Header=BB293_10 Depth=1
	s_or_b32 exec_lo, exec_lo, s40
.LBB293_146:                            ;   in Loop: Header=BB293_10 Depth=1
	s_or_b32 exec_lo, exec_lo, s3
	v_lshrrev_b16 v3, 8, v11
	s_mov_b32 s3, exec_lo
	v_cmpx_ne_u16_e32 0, v3
	s_cbranch_execz .LBB293_154
; %bb.147:                              ;   in Loop: Header=BB293_10 Depth=1
	v_bfrev_b32_e32 v44, 1
	s_mov_b32 s40, exec_lo
	v_cmpx_ne_u16_e32 0x80, v3
	s_cbranch_execz .LBB293_153
; %bb.148:                              ;   in Loop: Header=BB293_10 Depth=1
	v_and_b32_sdwa v47, v3, v23 dst_sel:DWORD dst_unused:UNUSED_PAD src0_sel:WORD_0 src1_sel:DWORD
	v_mov_b32_e32 v44, 0x7c010000
	s_mov_b32 s41, exec_lo
	v_cmpx_ne_u32_e32 0x7f, v47
	s_cbranch_execz .LBB293_152
; %bb.149:                              ;   in Loop: Header=BB293_10 Depth=1
	v_and_b32_sdwa v44, v3, v24 dst_sel:DWORD dst_unused:UNUSED_PAD src0_sel:WORD_0 src1_sel:DWORD
	v_lshrrev_b32_e32 v46, 3, v47
	s_mov_b32 s42, exec_lo
	v_cmpx_gt_u32_e32 8, v47
; %bb.150:                              ;   in Loop: Header=BB293_10 Depth=1
	v_ffbh_u32_e32 v44, v44
	v_min_u32_e32 v44, 32, v44
	v_subrev_nc_u32_e32 v46, 28, v44
	v_lshlrev_b64 v[47:48], v46, v[3:4]
	v_sub_nc_u32_e32 v46, 29, v44
	v_and_b32_e32 v44, 7, v47
; %bb.151:                              ;   in Loop: Header=BB293_10 Depth=1
	s_or_b32 exec_lo, exec_lo, s42
	v_lshlrev_b32_sdwa v3, v25, v3 dst_sel:DWORD dst_unused:UNUSED_PAD src0_sel:DWORD src1_sel:WORD_0
	v_lshl_add_u32 v46, v46, 10, 0x2000
	v_lshlrev_b32_e32 v44, 23, v44
	v_and_or_b32 v3, 0x8000, v3, v46
	v_lshl_or_b32 v44, v3, 16, v44
.LBB293_152:                            ;   in Loop: Header=BB293_10 Depth=1
	s_or_b32 exec_lo, exec_lo, s41
.LBB293_153:                            ;   in Loop: Header=BB293_10 Depth=1
	s_or_b32 exec_lo, exec_lo, s40
.LBB293_154:                            ;   in Loop: Header=BB293_10 Depth=1
	s_or_b32 exec_lo, exec_lo, s3
	v_lshrrev_b32_e32 v3, 16, v11
	v_mov_b32_e32 v46, 0
	v_mov_b32_e32 v47, 0
	v_cmp_ne_u16_sdwa s2, v3, v4 src0_sel:BYTE_0 src1_sel:DWORD
	s_and_saveexec_b32 s3, s2
	s_cbranch_execz .LBB293_162
; %bb.155:                              ;   in Loop: Header=BB293_10 Depth=1
	v_cmp_ne_u16_sdwa s2, v3, v22 src0_sel:BYTE_0 src1_sel:DWORD
	v_mov_b32_e32 v47, 0x8000
	s_and_saveexec_b32 s40, s2
	s_cbranch_execz .LBB293_161
; %bb.156:                              ;   in Loop: Header=BB293_10 Depth=1
	v_bfe_u32 v49, v11, 16, 7
	v_mov_b32_e32 v47, 0x7c01
	s_mov_b32 s41, exec_lo
	v_cmpx_ne_u32_e32 0x7f, v49
	s_cbranch_execz .LBB293_160
; %bb.157:                              ;   in Loop: Header=BB293_10 Depth=1
	v_and_b32_e32 v47, 7, v3
	v_lshrrev_b32_e32 v48, 3, v49
	s_mov_b32 s42, exec_lo
	v_cmpx_gt_u32_e32 8, v49
; %bb.158:                              ;   in Loop: Header=BB293_10 Depth=1
	v_ffbh_u32_e32 v47, v47
	v_min_u32_e32 v49, 32, v47
	v_subrev_nc_u32_e32 v47, 28, v49
	v_lshlrev_b64 v[47:48], v47, v[3:4]
	v_sub_nc_u32_e32 v48, 29, v49
	v_and_b32_e32 v47, 7, v47
; %bb.159:                              ;   in Loop: Header=BB293_10 Depth=1
	s_or_b32 exec_lo, exec_lo, s42
	v_lshlrev_b32_e32 v3, 8, v3
	v_lshl_add_u32 v48, v48, 10, 0x2000
	v_lshlrev_b32_e32 v47, 7, v47
	v_and_b32_e32 v3, 0x8000, v3
	v_and_b32_e32 v48, 0xfc00, v48
	v_or3_b32 v47, v3, v48, v47
.LBB293_160:                            ;   in Loop: Header=BB293_10 Depth=1
	s_or_b32 exec_lo, exec_lo, s41
.LBB293_161:                            ;   in Loop: Header=BB293_10 Depth=1
	s_or_b32 exec_lo, exec_lo, s40
.LBB293_162:                            ;   in Loop: Header=BB293_10 Depth=1
	s_or_b32 exec_lo, exec_lo, s3
	s_mov_b32 s3, exec_lo
	v_cmpx_lt_u32_e32 0xffffff, v11
	s_cbranch_execz .LBB293_170
; %bb.163:                              ;   in Loop: Header=BB293_10 Depth=1
	v_lshrrev_b32_e32 v3, 24, v11
	v_bfrev_b32_e32 v46, 1
	s_mov_b32 s40, exec_lo
	v_cmpx_ne_u32_e32 0x80, v3
	s_cbranch_execz .LBB293_169
; %bb.164:                              ;   in Loop: Header=BB293_10 Depth=1
	v_and_b32_e32 v48, 0x7f, v3
	v_mov_b32_e32 v46, 0x7c010000
	s_mov_b32 s41, exec_lo
	v_cmpx_ne_u32_e32 0x7f, v48
	s_cbranch_execz .LBB293_168
; %bb.165:                              ;   in Loop: Header=BB293_10 Depth=1
	v_and_b32_e32 v11, 7, v3
	v_lshrrev_b32_e32 v46, 3, v48
	s_mov_b32 s42, exec_lo
	v_cmpx_gt_u32_e32 8, v48
; %bb.166:                              ;   in Loop: Header=BB293_10 Depth=1
	v_ffbh_u32_e32 v11, v11
	v_min_u32_e32 v11, 32, v11
	v_subrev_nc_u32_e32 v46, 28, v11
	v_lshlrev_b64 v[48:49], v46, v[3:4]
	v_sub_nc_u32_e32 v46, 29, v11
	v_and_b32_e32 v11, 7, v48
; %bb.167:                              ;   in Loop: Header=BB293_10 Depth=1
	s_or_b32 exec_lo, exec_lo, s42
	v_lshlrev_b32_e32 v3, 8, v3
	v_lshl_add_u32 v46, v46, 10, 0x2000
	v_lshlrev_b32_e32 v11, 23, v11
	v_and_or_b32 v3, 0x8000, v3, v46
	v_lshl_or_b32 v46, v3, 16, v11
.LBB293_168:                            ;   in Loop: Header=BB293_10 Depth=1
	s_or_b32 exec_lo, exec_lo, s41
.LBB293_169:                            ;   in Loop: Header=BB293_10 Depth=1
	s_or_b32 exec_lo, exec_lo, s40
.LBB293_170:                            ;   in Loop: Header=BB293_10 Depth=1
	s_or_b32 exec_lo, exec_lo, s3
	global_load_dword v11, v[9:10], off offset:520
	v_mov_b32_e32 v48, 0
	v_mov_b32_e32 v49, 0
	s_waitcnt vmcnt(0)
	v_cmp_ne_u16_sdwa s2, v11, v4 src0_sel:BYTE_0 src1_sel:DWORD
	s_and_saveexec_b32 s3, s2
	s_cbranch_execz .LBB293_178
; %bb.171:                              ;   in Loop: Header=BB293_10 Depth=1
	v_cmp_ne_u16_sdwa s2, v11, v22 src0_sel:BYTE_0 src1_sel:DWORD
	v_mov_b32_e32 v49, 0x8000
	s_and_saveexec_b32 s40, s2
	s_cbranch_execz .LBB293_177
; %bb.172:                              ;   in Loop: Header=BB293_10 Depth=1
	v_and_b32_e32 v50, 0x7f, v11
	v_mov_b32_e32 v49, 0x7c01
	s_mov_b32 s41, exec_lo
	v_cmpx_ne_u32_e32 0x7f, v50
	s_cbranch_execz .LBB293_176
; %bb.173:                              ;   in Loop: Header=BB293_10 Depth=1
	v_and_b32_e32 v3, 7, v11
	v_lshrrev_b32_e32 v49, 3, v50
	s_mov_b32 s42, exec_lo
	v_cmpx_gt_u32_e32 8, v50
; %bb.174:                              ;   in Loop: Header=BB293_10 Depth=1
	v_ffbh_u32_e32 v3, v3
	v_min_u32_e32 v3, 32, v3
	v_subrev_nc_u32_e32 v49, 28, v3
	v_lshlrev_b64 v[50:51], v49, v[11:12]
	v_sub_nc_u32_e32 v49, 29, v3
	v_and_b32_e32 v3, 7, v50
; %bb.175:                              ;   in Loop: Header=BB293_10 Depth=1
	s_or_b32 exec_lo, exec_lo, s42
	v_lshlrev_b32_e32 v50, 8, v11
	v_lshl_add_u32 v49, v49, 10, 0x2000
	v_lshlrev_b32_e32 v3, 7, v3
	v_and_b32_e32 v50, 0x8000, v50
	v_and_b32_e32 v49, 0xfc00, v49
	v_or3_b32 v49, v50, v49, v3
.LBB293_176:                            ;   in Loop: Header=BB293_10 Depth=1
	s_or_b32 exec_lo, exec_lo, s41
.LBB293_177:                            ;   in Loop: Header=BB293_10 Depth=1
	s_or_b32 exec_lo, exec_lo, s40
.LBB293_178:                            ;   in Loop: Header=BB293_10 Depth=1
	s_or_b32 exec_lo, exec_lo, s3
	v_lshrrev_b16 v3, 8, v11
	s_mov_b32 s3, exec_lo
	v_cmpx_ne_u16_e32 0, v3
	s_cbranch_execz .LBB293_186
; %bb.179:                              ;   in Loop: Header=BB293_10 Depth=1
	v_bfrev_b32_e32 v48, 1
	s_mov_b32 s40, exec_lo
	v_cmpx_ne_u16_e32 0x80, v3
	s_cbranch_execz .LBB293_185
; %bb.180:                              ;   in Loop: Header=BB293_10 Depth=1
	v_and_b32_sdwa v51, v3, v23 dst_sel:DWORD dst_unused:UNUSED_PAD src0_sel:WORD_0 src1_sel:DWORD
	v_mov_b32_e32 v48, 0x7c010000
	s_mov_b32 s41, exec_lo
	v_cmpx_ne_u32_e32 0x7f, v51
	s_cbranch_execz .LBB293_184
; %bb.181:                              ;   in Loop: Header=BB293_10 Depth=1
	v_and_b32_sdwa v48, v3, v24 dst_sel:DWORD dst_unused:UNUSED_PAD src0_sel:WORD_0 src1_sel:DWORD
	v_lshrrev_b32_e32 v50, 3, v51
	s_mov_b32 s42, exec_lo
	v_cmpx_gt_u32_e32 8, v51
; %bb.182:                              ;   in Loop: Header=BB293_10 Depth=1
	v_ffbh_u32_e32 v48, v48
	v_min_u32_e32 v48, 32, v48
	v_subrev_nc_u32_e32 v50, 28, v48
	v_lshlrev_b64 v[51:52], v50, v[3:4]
	v_sub_nc_u32_e32 v50, 29, v48
	v_and_b32_e32 v48, 7, v51
; %bb.183:                              ;   in Loop: Header=BB293_10 Depth=1
	s_or_b32 exec_lo, exec_lo, s42
	v_lshlrev_b32_sdwa v3, v25, v3 dst_sel:DWORD dst_unused:UNUSED_PAD src0_sel:DWORD src1_sel:WORD_0
	v_lshl_add_u32 v50, v50, 10, 0x2000
	v_lshlrev_b32_e32 v48, 23, v48
	v_and_or_b32 v3, 0x8000, v3, v50
	v_lshl_or_b32 v48, v3, 16, v48
.LBB293_184:                            ;   in Loop: Header=BB293_10 Depth=1
	s_or_b32 exec_lo, exec_lo, s41
.LBB293_185:                            ;   in Loop: Header=BB293_10 Depth=1
	s_or_b32 exec_lo, exec_lo, s40
.LBB293_186:                            ;   in Loop: Header=BB293_10 Depth=1
	s_or_b32 exec_lo, exec_lo, s3
	v_lshrrev_b32_e32 v3, 16, v11
	v_mov_b32_e32 v50, 0
	v_mov_b32_e32 v51, 0
	v_cmp_ne_u16_sdwa s2, v3, v4 src0_sel:BYTE_0 src1_sel:DWORD
	s_and_saveexec_b32 s3, s2
	s_cbranch_execz .LBB293_194
; %bb.187:                              ;   in Loop: Header=BB293_10 Depth=1
	v_cmp_ne_u16_sdwa s2, v3, v22 src0_sel:BYTE_0 src1_sel:DWORD
	v_mov_b32_e32 v51, 0x8000
	s_and_saveexec_b32 s40, s2
	s_cbranch_execz .LBB293_193
; %bb.188:                              ;   in Loop: Header=BB293_10 Depth=1
	v_bfe_u32 v53, v11, 16, 7
	v_mov_b32_e32 v51, 0x7c01
	s_mov_b32 s41, exec_lo
	v_cmpx_ne_u32_e32 0x7f, v53
	s_cbranch_execz .LBB293_192
; %bb.189:                              ;   in Loop: Header=BB293_10 Depth=1
	v_and_b32_e32 v51, 7, v3
	v_lshrrev_b32_e32 v52, 3, v53
	s_mov_b32 s42, exec_lo
	v_cmpx_gt_u32_e32 8, v53
; %bb.190:                              ;   in Loop: Header=BB293_10 Depth=1
	v_ffbh_u32_e32 v51, v51
	v_min_u32_e32 v53, 32, v51
	v_subrev_nc_u32_e32 v51, 28, v53
	v_lshlrev_b64 v[51:52], v51, v[3:4]
	v_sub_nc_u32_e32 v52, 29, v53
	v_and_b32_e32 v51, 7, v51
; %bb.191:                              ;   in Loop: Header=BB293_10 Depth=1
	s_or_b32 exec_lo, exec_lo, s42
	v_lshlrev_b32_e32 v3, 8, v3
	v_lshl_add_u32 v52, v52, 10, 0x2000
	v_lshlrev_b32_e32 v51, 7, v51
	v_and_b32_e32 v3, 0x8000, v3
	v_and_b32_e32 v52, 0xfc00, v52
	v_or3_b32 v51, v3, v52, v51
.LBB293_192:                            ;   in Loop: Header=BB293_10 Depth=1
	s_or_b32 exec_lo, exec_lo, s41
.LBB293_193:                            ;   in Loop: Header=BB293_10 Depth=1
	s_or_b32 exec_lo, exec_lo, s40
.LBB293_194:                            ;   in Loop: Header=BB293_10 Depth=1
	s_or_b32 exec_lo, exec_lo, s3
	s_mov_b32 s3, exec_lo
	v_cmpx_lt_u32_e32 0xffffff, v11
	s_cbranch_execz .LBB293_202
; %bb.195:                              ;   in Loop: Header=BB293_10 Depth=1
	v_lshrrev_b32_e32 v3, 24, v11
	v_bfrev_b32_e32 v50, 1
	s_mov_b32 s40, exec_lo
	v_cmpx_ne_u32_e32 0x80, v3
	s_cbranch_execz .LBB293_201
; %bb.196:                              ;   in Loop: Header=BB293_10 Depth=1
	v_and_b32_e32 v52, 0x7f, v3
	v_mov_b32_e32 v50, 0x7c010000
	s_mov_b32 s41, exec_lo
	v_cmpx_ne_u32_e32 0x7f, v52
	s_cbranch_execz .LBB293_200
; %bb.197:                              ;   in Loop: Header=BB293_10 Depth=1
	v_and_b32_e32 v11, 7, v3
	v_lshrrev_b32_e32 v50, 3, v52
	s_mov_b32 s42, exec_lo
	v_cmpx_gt_u32_e32 8, v52
; %bb.198:                              ;   in Loop: Header=BB293_10 Depth=1
	v_ffbh_u32_e32 v11, v11
	v_min_u32_e32 v11, 32, v11
	v_subrev_nc_u32_e32 v50, 28, v11
	v_lshlrev_b64 v[52:53], v50, v[3:4]
	v_sub_nc_u32_e32 v50, 29, v11
	v_and_b32_e32 v11, 7, v52
; %bb.199:                              ;   in Loop: Header=BB293_10 Depth=1
	s_or_b32 exec_lo, exec_lo, s42
	v_lshlrev_b32_e32 v3, 8, v3
	v_lshl_add_u32 v50, v50, 10, 0x2000
	v_lshlrev_b32_e32 v11, 23, v11
	v_and_or_b32 v3, 0x8000, v3, v50
	v_lshl_or_b32 v50, v3, 16, v11
.LBB293_200:                            ;   in Loop: Header=BB293_10 Depth=1
	s_or_b32 exec_lo, exec_lo, s41
.LBB293_201:                            ;   in Loop: Header=BB293_10 Depth=1
	s_or_b32 exec_lo, exec_lo, s40
.LBB293_202:                            ;   in Loop: Header=BB293_10 Depth=1
	s_or_b32 exec_lo, exec_lo, s3
	global_load_dword v11, v[9:10], off offset:768
	v_mov_b32_e32 v52, 0
	v_mov_b32_e32 v53, 0
	s_waitcnt vmcnt(0)
	v_cmp_ne_u16_sdwa s2, v11, v4 src0_sel:BYTE_0 src1_sel:DWORD
	s_and_saveexec_b32 s3, s2
	s_cbranch_execz .LBB293_210
; %bb.203:                              ;   in Loop: Header=BB293_10 Depth=1
	v_cmp_ne_u16_sdwa s2, v11, v22 src0_sel:BYTE_0 src1_sel:DWORD
	v_mov_b32_e32 v53, 0x8000
	s_and_saveexec_b32 s40, s2
	s_cbranch_execz .LBB293_209
; %bb.204:                              ;   in Loop: Header=BB293_10 Depth=1
	v_and_b32_e32 v54, 0x7f, v11
	v_mov_b32_e32 v53, 0x7c01
	s_mov_b32 s41, exec_lo
	v_cmpx_ne_u32_e32 0x7f, v54
	s_cbranch_execz .LBB293_208
; %bb.205:                              ;   in Loop: Header=BB293_10 Depth=1
	v_and_b32_e32 v3, 7, v11
	v_lshrrev_b32_e32 v53, 3, v54
	s_mov_b32 s42, exec_lo
	v_cmpx_gt_u32_e32 8, v54
; %bb.206:                              ;   in Loop: Header=BB293_10 Depth=1
	v_ffbh_u32_e32 v3, v3
	v_min_u32_e32 v3, 32, v3
	v_subrev_nc_u32_e32 v53, 28, v3
	v_lshlrev_b64 v[54:55], v53, v[11:12]
	v_sub_nc_u32_e32 v53, 29, v3
	v_and_b32_e32 v3, 7, v54
; %bb.207:                              ;   in Loop: Header=BB293_10 Depth=1
	s_or_b32 exec_lo, exec_lo, s42
	v_lshlrev_b32_e32 v54, 8, v11
	v_lshl_add_u32 v53, v53, 10, 0x2000
	v_lshlrev_b32_e32 v3, 7, v3
	v_and_b32_e32 v54, 0x8000, v54
	v_and_b32_e32 v53, 0xfc00, v53
	v_or3_b32 v53, v54, v53, v3
.LBB293_208:                            ;   in Loop: Header=BB293_10 Depth=1
	s_or_b32 exec_lo, exec_lo, s41
.LBB293_209:                            ;   in Loop: Header=BB293_10 Depth=1
	s_or_b32 exec_lo, exec_lo, s40
.LBB293_210:                            ;   in Loop: Header=BB293_10 Depth=1
	s_or_b32 exec_lo, exec_lo, s3
	v_lshrrev_b16 v3, 8, v11
	s_mov_b32 s3, exec_lo
	v_cmpx_ne_u16_e32 0, v3
	s_cbranch_execz .LBB293_218
; %bb.211:                              ;   in Loop: Header=BB293_10 Depth=1
	v_bfrev_b32_e32 v52, 1
	s_mov_b32 s40, exec_lo
	v_cmpx_ne_u16_e32 0x80, v3
	s_cbranch_execz .LBB293_217
; %bb.212:                              ;   in Loop: Header=BB293_10 Depth=1
	v_and_b32_sdwa v55, v3, v23 dst_sel:DWORD dst_unused:UNUSED_PAD src0_sel:WORD_0 src1_sel:DWORD
	v_mov_b32_e32 v52, 0x7c010000
	s_mov_b32 s41, exec_lo
	v_cmpx_ne_u32_e32 0x7f, v55
	s_cbranch_execz .LBB293_216
; %bb.213:                              ;   in Loop: Header=BB293_10 Depth=1
	v_and_b32_sdwa v52, v3, v24 dst_sel:DWORD dst_unused:UNUSED_PAD src0_sel:WORD_0 src1_sel:DWORD
	v_lshrrev_b32_e32 v54, 3, v55
	s_mov_b32 s42, exec_lo
	v_cmpx_gt_u32_e32 8, v55
; %bb.214:                              ;   in Loop: Header=BB293_10 Depth=1
	v_ffbh_u32_e32 v52, v52
	v_min_u32_e32 v52, 32, v52
	v_subrev_nc_u32_e32 v54, 28, v52
	v_lshlrev_b64 v[55:56], v54, v[3:4]
	v_sub_nc_u32_e32 v54, 29, v52
	v_and_b32_e32 v52, 7, v55
; %bb.215:                              ;   in Loop: Header=BB293_10 Depth=1
	s_or_b32 exec_lo, exec_lo, s42
	v_lshlrev_b32_sdwa v3, v25, v3 dst_sel:DWORD dst_unused:UNUSED_PAD src0_sel:DWORD src1_sel:WORD_0
	v_lshl_add_u32 v54, v54, 10, 0x2000
	v_lshlrev_b32_e32 v52, 23, v52
	v_and_or_b32 v3, 0x8000, v3, v54
	v_lshl_or_b32 v52, v3, 16, v52
.LBB293_216:                            ;   in Loop: Header=BB293_10 Depth=1
	s_or_b32 exec_lo, exec_lo, s41
.LBB293_217:                            ;   in Loop: Header=BB293_10 Depth=1
	s_or_b32 exec_lo, exec_lo, s40
.LBB293_218:                            ;   in Loop: Header=BB293_10 Depth=1
	s_or_b32 exec_lo, exec_lo, s3
	v_lshrrev_b32_e32 v3, 16, v11
	v_mov_b32_e32 v54, 0
	v_mov_b32_e32 v55, 0
	v_cmp_ne_u16_sdwa s2, v3, v4 src0_sel:BYTE_0 src1_sel:DWORD
	s_and_saveexec_b32 s3, s2
	s_cbranch_execz .LBB293_226
; %bb.219:                              ;   in Loop: Header=BB293_10 Depth=1
	v_cmp_ne_u16_sdwa s2, v3, v22 src0_sel:BYTE_0 src1_sel:DWORD
	v_mov_b32_e32 v55, 0x8000
	s_and_saveexec_b32 s40, s2
	s_cbranch_execz .LBB293_225
; %bb.220:                              ;   in Loop: Header=BB293_10 Depth=1
	v_bfe_u32 v57, v11, 16, 7
	v_mov_b32_e32 v55, 0x7c01
	s_mov_b32 s41, exec_lo
	v_cmpx_ne_u32_e32 0x7f, v57
	s_cbranch_execz .LBB293_224
; %bb.221:                              ;   in Loop: Header=BB293_10 Depth=1
	v_and_b32_e32 v55, 7, v3
	v_lshrrev_b32_e32 v56, 3, v57
	s_mov_b32 s42, exec_lo
	v_cmpx_gt_u32_e32 8, v57
; %bb.222:                              ;   in Loop: Header=BB293_10 Depth=1
	v_ffbh_u32_e32 v55, v55
	v_min_u32_e32 v57, 32, v55
	v_subrev_nc_u32_e32 v55, 28, v57
	v_lshlrev_b64 v[55:56], v55, v[3:4]
	v_sub_nc_u32_e32 v56, 29, v57
	v_and_b32_e32 v55, 7, v55
; %bb.223:                              ;   in Loop: Header=BB293_10 Depth=1
	s_or_b32 exec_lo, exec_lo, s42
	v_lshlrev_b32_e32 v3, 8, v3
	v_lshl_add_u32 v56, v56, 10, 0x2000
	v_lshlrev_b32_e32 v55, 7, v55
	v_and_b32_e32 v3, 0x8000, v3
	v_and_b32_e32 v56, 0xfc00, v56
	v_or3_b32 v55, v3, v56, v55
.LBB293_224:                            ;   in Loop: Header=BB293_10 Depth=1
	s_or_b32 exec_lo, exec_lo, s41
.LBB293_225:                            ;   in Loop: Header=BB293_10 Depth=1
	s_or_b32 exec_lo, exec_lo, s40
.LBB293_226:                            ;   in Loop: Header=BB293_10 Depth=1
	s_or_b32 exec_lo, exec_lo, s3
	s_mov_b32 s3, exec_lo
	v_cmpx_lt_u32_e32 0xffffff, v11
	s_cbranch_execz .LBB293_234
; %bb.227:                              ;   in Loop: Header=BB293_10 Depth=1
	v_lshrrev_b32_e32 v3, 24, v11
	v_bfrev_b32_e32 v54, 1
	s_mov_b32 s40, exec_lo
	v_cmpx_ne_u32_e32 0x80, v3
	s_cbranch_execz .LBB293_233
; %bb.228:                              ;   in Loop: Header=BB293_10 Depth=1
	v_and_b32_e32 v56, 0x7f, v3
	v_mov_b32_e32 v54, 0x7c010000
	s_mov_b32 s41, exec_lo
	v_cmpx_ne_u32_e32 0x7f, v56
	s_cbranch_execz .LBB293_232
; %bb.229:                              ;   in Loop: Header=BB293_10 Depth=1
	v_and_b32_e32 v11, 7, v3
	v_lshrrev_b32_e32 v54, 3, v56
	s_mov_b32 s42, exec_lo
	v_cmpx_gt_u32_e32 8, v56
; %bb.230:                              ;   in Loop: Header=BB293_10 Depth=1
	v_ffbh_u32_e32 v11, v11
	v_min_u32_e32 v11, 32, v11
	v_subrev_nc_u32_e32 v54, 28, v11
	v_lshlrev_b64 v[56:57], v54, v[3:4]
	v_sub_nc_u32_e32 v54, 29, v11
	v_and_b32_e32 v11, 7, v56
; %bb.231:                              ;   in Loop: Header=BB293_10 Depth=1
	s_or_b32 exec_lo, exec_lo, s42
	v_lshlrev_b32_e32 v3, 8, v3
	v_lshl_add_u32 v54, v54, 10, 0x2000
	v_lshlrev_b32_e32 v11, 23, v11
	v_and_or_b32 v3, 0x8000, v3, v54
	v_lshl_or_b32 v54, v3, 16, v11
.LBB293_232:                            ;   in Loop: Header=BB293_10 Depth=1
	s_or_b32 exec_lo, exec_lo, s41
.LBB293_233:                            ;   in Loop: Header=BB293_10 Depth=1
	s_or_b32 exec_lo, exec_lo, s40
.LBB293_234:                            ;   in Loop: Header=BB293_10 Depth=1
	s_or_b32 exec_lo, exec_lo, s3
	global_load_dword v11, v[9:10], off offset:776
	v_mov_b32_e32 v56, 0
	v_mov_b32_e32 v57, 0
	s_waitcnt vmcnt(0)
	v_cmp_ne_u16_sdwa s2, v11, v4 src0_sel:BYTE_0 src1_sel:DWORD
	s_and_saveexec_b32 s3, s2
	s_cbranch_execz .LBB293_242
; %bb.235:                              ;   in Loop: Header=BB293_10 Depth=1
	v_cmp_ne_u16_sdwa s2, v11, v22 src0_sel:BYTE_0 src1_sel:DWORD
	v_mov_b32_e32 v57, 0x8000
	s_and_saveexec_b32 s40, s2
	s_cbranch_execz .LBB293_241
; %bb.236:                              ;   in Loop: Header=BB293_10 Depth=1
	v_and_b32_e32 v58, 0x7f, v11
	v_mov_b32_e32 v57, 0x7c01
	s_mov_b32 s41, exec_lo
	v_cmpx_ne_u32_e32 0x7f, v58
	s_cbranch_execz .LBB293_240
; %bb.237:                              ;   in Loop: Header=BB293_10 Depth=1
	v_and_b32_e32 v3, 7, v11
	v_lshrrev_b32_e32 v57, 3, v58
	s_mov_b32 s42, exec_lo
	v_cmpx_gt_u32_e32 8, v58
; %bb.238:                              ;   in Loop: Header=BB293_10 Depth=1
	v_ffbh_u32_e32 v3, v3
	v_min_u32_e32 v3, 32, v3
	v_subrev_nc_u32_e32 v57, 28, v3
	v_lshlrev_b64 v[58:59], v57, v[11:12]
	v_sub_nc_u32_e32 v57, 29, v3
	v_and_b32_e32 v3, 7, v58
; %bb.239:                              ;   in Loop: Header=BB293_10 Depth=1
	s_or_b32 exec_lo, exec_lo, s42
	v_lshlrev_b32_e32 v58, 8, v11
	v_lshl_add_u32 v57, v57, 10, 0x2000
	v_lshlrev_b32_e32 v3, 7, v3
	v_and_b32_e32 v58, 0x8000, v58
	v_and_b32_e32 v57, 0xfc00, v57
	v_or3_b32 v57, v58, v57, v3
.LBB293_240:                            ;   in Loop: Header=BB293_10 Depth=1
	s_or_b32 exec_lo, exec_lo, s41
.LBB293_241:                            ;   in Loop: Header=BB293_10 Depth=1
	s_or_b32 exec_lo, exec_lo, s40
.LBB293_242:                            ;   in Loop: Header=BB293_10 Depth=1
	s_or_b32 exec_lo, exec_lo, s3
	v_lshrrev_b16 v3, 8, v11
	s_mov_b32 s3, exec_lo
	v_cmpx_ne_u16_e32 0, v3
	s_cbranch_execz .LBB293_250
; %bb.243:                              ;   in Loop: Header=BB293_10 Depth=1
	v_bfrev_b32_e32 v56, 1
	s_mov_b32 s40, exec_lo
	v_cmpx_ne_u16_e32 0x80, v3
	s_cbranch_execz .LBB293_249
; %bb.244:                              ;   in Loop: Header=BB293_10 Depth=1
	v_and_b32_sdwa v59, v3, v23 dst_sel:DWORD dst_unused:UNUSED_PAD src0_sel:WORD_0 src1_sel:DWORD
	v_mov_b32_e32 v56, 0x7c010000
	s_mov_b32 s41, exec_lo
	v_cmpx_ne_u32_e32 0x7f, v59
	s_cbranch_execz .LBB293_248
; %bb.245:                              ;   in Loop: Header=BB293_10 Depth=1
	v_and_b32_sdwa v56, v3, v24 dst_sel:DWORD dst_unused:UNUSED_PAD src0_sel:WORD_0 src1_sel:DWORD
	v_lshrrev_b32_e32 v58, 3, v59
	s_mov_b32 s42, exec_lo
	v_cmpx_gt_u32_e32 8, v59
; %bb.246:                              ;   in Loop: Header=BB293_10 Depth=1
	v_ffbh_u32_e32 v56, v56
	v_min_u32_e32 v56, 32, v56
	v_subrev_nc_u32_e32 v58, 28, v56
	v_lshlrev_b64 v[59:60], v58, v[3:4]
	v_sub_nc_u32_e32 v58, 29, v56
	v_and_b32_e32 v56, 7, v59
; %bb.247:                              ;   in Loop: Header=BB293_10 Depth=1
	s_or_b32 exec_lo, exec_lo, s42
	v_lshlrev_b32_sdwa v3, v25, v3 dst_sel:DWORD dst_unused:UNUSED_PAD src0_sel:DWORD src1_sel:WORD_0
	v_lshl_add_u32 v58, v58, 10, 0x2000
	v_lshlrev_b32_e32 v56, 23, v56
	v_and_or_b32 v3, 0x8000, v3, v58
	v_lshl_or_b32 v56, v3, 16, v56
.LBB293_248:                            ;   in Loop: Header=BB293_10 Depth=1
	s_or_b32 exec_lo, exec_lo, s41
.LBB293_249:                            ;   in Loop: Header=BB293_10 Depth=1
	s_or_b32 exec_lo, exec_lo, s40
.LBB293_250:                            ;   in Loop: Header=BB293_10 Depth=1
	s_or_b32 exec_lo, exec_lo, s3
	v_lshrrev_b32_e32 v3, 16, v11
	v_mov_b32_e32 v58, 0
	v_mov_b32_e32 v59, 0
	v_cmp_ne_u16_sdwa s2, v3, v4 src0_sel:BYTE_0 src1_sel:DWORD
	s_and_saveexec_b32 s3, s2
	s_cbranch_execz .LBB293_258
; %bb.251:                              ;   in Loop: Header=BB293_10 Depth=1
	v_cmp_ne_u16_sdwa s2, v3, v22 src0_sel:BYTE_0 src1_sel:DWORD
	v_mov_b32_e32 v59, 0x8000
	s_and_saveexec_b32 s40, s2
	s_cbranch_execz .LBB293_257
; %bb.252:                              ;   in Loop: Header=BB293_10 Depth=1
	v_bfe_u32 v61, v11, 16, 7
	v_mov_b32_e32 v59, 0x7c01
	s_mov_b32 s41, exec_lo
	v_cmpx_ne_u32_e32 0x7f, v61
	s_cbranch_execz .LBB293_256
; %bb.253:                              ;   in Loop: Header=BB293_10 Depth=1
	v_and_b32_e32 v59, 7, v3
	v_lshrrev_b32_e32 v60, 3, v61
	s_mov_b32 s42, exec_lo
	v_cmpx_gt_u32_e32 8, v61
; %bb.254:                              ;   in Loop: Header=BB293_10 Depth=1
	v_ffbh_u32_e32 v59, v59
	v_min_u32_e32 v61, 32, v59
	v_subrev_nc_u32_e32 v59, 28, v61
	v_lshlrev_b64 v[59:60], v59, v[3:4]
	v_sub_nc_u32_e32 v60, 29, v61
	v_and_b32_e32 v59, 7, v59
; %bb.255:                              ;   in Loop: Header=BB293_10 Depth=1
	s_or_b32 exec_lo, exec_lo, s42
	v_lshlrev_b32_e32 v3, 8, v3
	v_lshl_add_u32 v60, v60, 10, 0x2000
	v_lshlrev_b32_e32 v59, 7, v59
	v_and_b32_e32 v3, 0x8000, v3
	v_and_b32_e32 v60, 0xfc00, v60
	v_or3_b32 v59, v3, v60, v59
.LBB293_256:                            ;   in Loop: Header=BB293_10 Depth=1
	s_or_b32 exec_lo, exec_lo, s41
.LBB293_257:                            ;   in Loop: Header=BB293_10 Depth=1
	s_or_b32 exec_lo, exec_lo, s40
.LBB293_258:                            ;   in Loop: Header=BB293_10 Depth=1
	s_or_b32 exec_lo, exec_lo, s3
	s_mov_b32 s3, exec_lo
	v_cmpx_lt_u32_e32 0xffffff, v11
	s_cbranch_execz .LBB293_266
; %bb.259:                              ;   in Loop: Header=BB293_10 Depth=1
	v_lshrrev_b32_e32 v3, 24, v11
	v_bfrev_b32_e32 v58, 1
	s_mov_b32 s40, exec_lo
	v_cmpx_ne_u32_e32 0x80, v3
	s_cbranch_execz .LBB293_265
; %bb.260:                              ;   in Loop: Header=BB293_10 Depth=1
	v_and_b32_e32 v60, 0x7f, v3
	v_mov_b32_e32 v58, 0x7c010000
	s_mov_b32 s41, exec_lo
	v_cmpx_ne_u32_e32 0x7f, v60
	s_cbranch_execz .LBB293_264
; %bb.261:                              ;   in Loop: Header=BB293_10 Depth=1
	v_and_b32_e32 v11, 7, v3
	v_lshrrev_b32_e32 v58, 3, v60
	s_mov_b32 s42, exec_lo
	v_cmpx_gt_u32_e32 8, v60
; %bb.262:                              ;   in Loop: Header=BB293_10 Depth=1
	v_ffbh_u32_e32 v11, v11
	v_min_u32_e32 v11, 32, v11
	v_subrev_nc_u32_e32 v58, 28, v11
	v_lshlrev_b64 v[60:61], v58, v[3:4]
	v_sub_nc_u32_e32 v58, 29, v11
	v_and_b32_e32 v11, 7, v60
; %bb.263:                              ;   in Loop: Header=BB293_10 Depth=1
	s_or_b32 exec_lo, exec_lo, s42
	v_lshlrev_b32_e32 v3, 8, v3
	v_lshl_add_u32 v58, v58, 10, 0x2000
	v_lshlrev_b32_e32 v11, 23, v11
	v_and_or_b32 v3, 0x8000, v3, v58
	v_lshl_or_b32 v58, v3, 16, v11
.LBB293_264:                            ;   in Loop: Header=BB293_10 Depth=1
	s_or_b32 exec_lo, exec_lo, s41
.LBB293_265:                            ;   in Loop: Header=BB293_10 Depth=1
	s_or_b32 exec_lo, exec_lo, s40
.LBB293_266:                            ;   in Loop: Header=BB293_10 Depth=1
	s_or_b32 exec_lo, exec_lo, s3
	global_load_dword v11, v[9:10], off offset:1024
	v_mov_b32_e32 v60, 0
	v_mov_b32_e32 v61, 0
	s_waitcnt vmcnt(0)
	v_cmp_ne_u16_sdwa s2, v11, v4 src0_sel:BYTE_0 src1_sel:DWORD
	s_and_saveexec_b32 s3, s2
	s_cbranch_execz .LBB293_274
; %bb.267:                              ;   in Loop: Header=BB293_10 Depth=1
	v_cmp_ne_u16_sdwa s2, v11, v22 src0_sel:BYTE_0 src1_sel:DWORD
	v_mov_b32_e32 v61, 0x8000
	s_and_saveexec_b32 s40, s2
	s_cbranch_execz .LBB293_273
; %bb.268:                              ;   in Loop: Header=BB293_10 Depth=1
	v_and_b32_e32 v62, 0x7f, v11
	v_mov_b32_e32 v61, 0x7c01
	s_mov_b32 s41, exec_lo
	v_cmpx_ne_u32_e32 0x7f, v62
	s_cbranch_execz .LBB293_272
; %bb.269:                              ;   in Loop: Header=BB293_10 Depth=1
	v_and_b32_e32 v3, 7, v11
	v_lshrrev_b32_e32 v61, 3, v62
	s_mov_b32 s42, exec_lo
	v_cmpx_gt_u32_e32 8, v62
; %bb.270:                              ;   in Loop: Header=BB293_10 Depth=1
	v_ffbh_u32_e32 v3, v3
	v_min_u32_e32 v3, 32, v3
	v_subrev_nc_u32_e32 v61, 28, v3
	v_lshlrev_b64 v[62:63], v61, v[11:12]
	v_sub_nc_u32_e32 v61, 29, v3
	v_and_b32_e32 v3, 7, v62
; %bb.271:                              ;   in Loop: Header=BB293_10 Depth=1
	s_or_b32 exec_lo, exec_lo, s42
	v_lshlrev_b32_e32 v62, 8, v11
	v_lshl_add_u32 v61, v61, 10, 0x2000
	v_lshlrev_b32_e32 v3, 7, v3
	v_and_b32_e32 v62, 0x8000, v62
	v_and_b32_e32 v61, 0xfc00, v61
	v_or3_b32 v61, v62, v61, v3
.LBB293_272:                            ;   in Loop: Header=BB293_10 Depth=1
	s_or_b32 exec_lo, exec_lo, s41
.LBB293_273:                            ;   in Loop: Header=BB293_10 Depth=1
	s_or_b32 exec_lo, exec_lo, s40
.LBB293_274:                            ;   in Loop: Header=BB293_10 Depth=1
	s_or_b32 exec_lo, exec_lo, s3
	v_lshrrev_b16 v3, 8, v11
	s_mov_b32 s3, exec_lo
	v_cmpx_ne_u16_e32 0, v3
	s_cbranch_execz .LBB293_282
; %bb.275:                              ;   in Loop: Header=BB293_10 Depth=1
	v_bfrev_b32_e32 v60, 1
	s_mov_b32 s40, exec_lo
	v_cmpx_ne_u16_e32 0x80, v3
	s_cbranch_execz .LBB293_281
; %bb.276:                              ;   in Loop: Header=BB293_10 Depth=1
	v_and_b32_sdwa v63, v3, v23 dst_sel:DWORD dst_unused:UNUSED_PAD src0_sel:WORD_0 src1_sel:DWORD
	v_mov_b32_e32 v60, 0x7c010000
	s_mov_b32 s41, exec_lo
	v_cmpx_ne_u32_e32 0x7f, v63
	s_cbranch_execz .LBB293_280
; %bb.277:                              ;   in Loop: Header=BB293_10 Depth=1
	v_and_b32_sdwa v60, v3, v24 dst_sel:DWORD dst_unused:UNUSED_PAD src0_sel:WORD_0 src1_sel:DWORD
	v_lshrrev_b32_e32 v62, 3, v63
	s_mov_b32 s42, exec_lo
	v_cmpx_gt_u32_e32 8, v63
; %bb.278:                              ;   in Loop: Header=BB293_10 Depth=1
	v_ffbh_u32_e32 v60, v60
	v_min_u32_e32 v60, 32, v60
	v_subrev_nc_u32_e32 v62, 28, v60
	v_lshlrev_b64 v[63:64], v62, v[3:4]
	v_sub_nc_u32_e32 v62, 29, v60
	v_and_b32_e32 v60, 7, v63
; %bb.279:                              ;   in Loop: Header=BB293_10 Depth=1
	s_or_b32 exec_lo, exec_lo, s42
	v_lshlrev_b32_sdwa v3, v25, v3 dst_sel:DWORD dst_unused:UNUSED_PAD src0_sel:DWORD src1_sel:WORD_0
	v_lshl_add_u32 v62, v62, 10, 0x2000
	v_lshlrev_b32_e32 v60, 23, v60
	v_and_or_b32 v3, 0x8000, v3, v62
	v_lshl_or_b32 v60, v3, 16, v60
.LBB293_280:                            ;   in Loop: Header=BB293_10 Depth=1
	s_or_b32 exec_lo, exec_lo, s41
.LBB293_281:                            ;   in Loop: Header=BB293_10 Depth=1
	s_or_b32 exec_lo, exec_lo, s40
.LBB293_282:                            ;   in Loop: Header=BB293_10 Depth=1
	s_or_b32 exec_lo, exec_lo, s3
	v_lshrrev_b32_e32 v3, 16, v11
	v_mov_b32_e32 v62, 0
	v_mov_b32_e32 v63, 0
	v_cmp_ne_u16_sdwa s2, v3, v4 src0_sel:BYTE_0 src1_sel:DWORD
	s_and_saveexec_b32 s3, s2
	s_cbranch_execz .LBB293_290
; %bb.283:                              ;   in Loop: Header=BB293_10 Depth=1
	v_cmp_ne_u16_sdwa s2, v3, v22 src0_sel:BYTE_0 src1_sel:DWORD
	v_mov_b32_e32 v63, 0x8000
	s_and_saveexec_b32 s40, s2
	s_cbranch_execz .LBB293_289
; %bb.284:                              ;   in Loop: Header=BB293_10 Depth=1
	v_bfe_u32 v65, v11, 16, 7
	v_mov_b32_e32 v63, 0x7c01
	s_mov_b32 s41, exec_lo
	v_cmpx_ne_u32_e32 0x7f, v65
	s_cbranch_execz .LBB293_288
; %bb.285:                              ;   in Loop: Header=BB293_10 Depth=1
	v_and_b32_e32 v63, 7, v3
	v_lshrrev_b32_e32 v64, 3, v65
	s_mov_b32 s42, exec_lo
	v_cmpx_gt_u32_e32 8, v65
; %bb.286:                              ;   in Loop: Header=BB293_10 Depth=1
	v_ffbh_u32_e32 v63, v63
	v_min_u32_e32 v65, 32, v63
	v_subrev_nc_u32_e32 v63, 28, v65
	v_lshlrev_b64 v[63:64], v63, v[3:4]
	v_sub_nc_u32_e32 v64, 29, v65
	v_and_b32_e32 v63, 7, v63
; %bb.287:                              ;   in Loop: Header=BB293_10 Depth=1
	s_or_b32 exec_lo, exec_lo, s42
	v_lshlrev_b32_e32 v3, 8, v3
	v_lshl_add_u32 v64, v64, 10, 0x2000
	v_lshlrev_b32_e32 v63, 7, v63
	v_and_b32_e32 v3, 0x8000, v3
	v_and_b32_e32 v64, 0xfc00, v64
	v_or3_b32 v63, v3, v64, v63
.LBB293_288:                            ;   in Loop: Header=BB293_10 Depth=1
	s_or_b32 exec_lo, exec_lo, s41
.LBB293_289:                            ;   in Loop: Header=BB293_10 Depth=1
	s_or_b32 exec_lo, exec_lo, s40
.LBB293_290:                            ;   in Loop: Header=BB293_10 Depth=1
	s_or_b32 exec_lo, exec_lo, s3
	s_mov_b32 s3, exec_lo
	v_cmpx_lt_u32_e32 0xffffff, v11
	s_cbranch_execz .LBB293_298
; %bb.291:                              ;   in Loop: Header=BB293_10 Depth=1
	v_lshrrev_b32_e32 v3, 24, v11
	v_bfrev_b32_e32 v62, 1
	s_mov_b32 s40, exec_lo
	v_cmpx_ne_u32_e32 0x80, v3
	s_cbranch_execz .LBB293_297
; %bb.292:                              ;   in Loop: Header=BB293_10 Depth=1
	v_and_b32_e32 v64, 0x7f, v3
	v_mov_b32_e32 v62, 0x7c010000
	s_mov_b32 s41, exec_lo
	v_cmpx_ne_u32_e32 0x7f, v64
	s_cbranch_execz .LBB293_296
; %bb.293:                              ;   in Loop: Header=BB293_10 Depth=1
	v_and_b32_e32 v11, 7, v3
	v_lshrrev_b32_e32 v62, 3, v64
	s_mov_b32 s42, exec_lo
	v_cmpx_gt_u32_e32 8, v64
; %bb.294:                              ;   in Loop: Header=BB293_10 Depth=1
	v_ffbh_u32_e32 v11, v11
	v_min_u32_e32 v11, 32, v11
	v_subrev_nc_u32_e32 v62, 28, v11
	v_lshlrev_b64 v[64:65], v62, v[3:4]
	v_sub_nc_u32_e32 v62, 29, v11
	v_and_b32_e32 v11, 7, v64
; %bb.295:                              ;   in Loop: Header=BB293_10 Depth=1
	s_or_b32 exec_lo, exec_lo, s42
	v_lshlrev_b32_e32 v3, 8, v3
	v_lshl_add_u32 v62, v62, 10, 0x2000
	v_lshlrev_b32_e32 v11, 23, v11
	v_and_or_b32 v3, 0x8000, v3, v62
	v_lshl_or_b32 v62, v3, 16, v11
.LBB293_296:                            ;   in Loop: Header=BB293_10 Depth=1
	s_or_b32 exec_lo, exec_lo, s41
.LBB293_297:                            ;   in Loop: Header=BB293_10 Depth=1
	s_or_b32 exec_lo, exec_lo, s40
.LBB293_298:                            ;   in Loop: Header=BB293_10 Depth=1
	s_or_b32 exec_lo, exec_lo, s3
	global_load_dword v11, v[9:10], off offset:1032
	v_mov_b32_e32 v64, 0
	v_mov_b32_e32 v65, 0
	s_waitcnt vmcnt(0)
	v_cmp_ne_u16_sdwa s2, v11, v4 src0_sel:BYTE_0 src1_sel:DWORD
	s_and_saveexec_b32 s3, s2
	s_cbranch_execz .LBB293_306
; %bb.299:                              ;   in Loop: Header=BB293_10 Depth=1
	v_cmp_ne_u16_sdwa s2, v11, v22 src0_sel:BYTE_0 src1_sel:DWORD
	v_mov_b32_e32 v65, 0x8000
	s_and_saveexec_b32 s40, s2
	s_cbranch_execz .LBB293_305
; %bb.300:                              ;   in Loop: Header=BB293_10 Depth=1
	v_and_b32_e32 v66, 0x7f, v11
	v_mov_b32_e32 v65, 0x7c01
	s_mov_b32 s41, exec_lo
	v_cmpx_ne_u32_e32 0x7f, v66
	s_cbranch_execz .LBB293_304
; %bb.301:                              ;   in Loop: Header=BB293_10 Depth=1
	v_and_b32_e32 v3, 7, v11
	v_lshrrev_b32_e32 v65, 3, v66
	s_mov_b32 s42, exec_lo
	v_cmpx_gt_u32_e32 8, v66
; %bb.302:                              ;   in Loop: Header=BB293_10 Depth=1
	v_ffbh_u32_e32 v3, v3
	v_min_u32_e32 v3, 32, v3
	v_subrev_nc_u32_e32 v65, 28, v3
	v_lshlrev_b64 v[66:67], v65, v[11:12]
	v_sub_nc_u32_e32 v65, 29, v3
	v_and_b32_e32 v3, 7, v66
; %bb.303:                              ;   in Loop: Header=BB293_10 Depth=1
	s_or_b32 exec_lo, exec_lo, s42
	v_lshlrev_b32_e32 v66, 8, v11
	v_lshl_add_u32 v65, v65, 10, 0x2000
	v_lshlrev_b32_e32 v3, 7, v3
	v_and_b32_e32 v66, 0x8000, v66
	v_and_b32_e32 v65, 0xfc00, v65
	v_or3_b32 v65, v66, v65, v3
.LBB293_304:                            ;   in Loop: Header=BB293_10 Depth=1
	s_or_b32 exec_lo, exec_lo, s41
.LBB293_305:                            ;   in Loop: Header=BB293_10 Depth=1
	s_or_b32 exec_lo, exec_lo, s40
.LBB293_306:                            ;   in Loop: Header=BB293_10 Depth=1
	s_or_b32 exec_lo, exec_lo, s3
	v_lshrrev_b16 v3, 8, v11
	s_mov_b32 s3, exec_lo
	v_cmpx_ne_u16_e32 0, v3
	s_cbranch_execz .LBB293_314
; %bb.307:                              ;   in Loop: Header=BB293_10 Depth=1
	v_bfrev_b32_e32 v64, 1
	s_mov_b32 s40, exec_lo
	v_cmpx_ne_u16_e32 0x80, v3
	s_cbranch_execz .LBB293_313
; %bb.308:                              ;   in Loop: Header=BB293_10 Depth=1
	v_and_b32_sdwa v67, v3, v23 dst_sel:DWORD dst_unused:UNUSED_PAD src0_sel:WORD_0 src1_sel:DWORD
	v_mov_b32_e32 v64, 0x7c010000
	s_mov_b32 s41, exec_lo
	v_cmpx_ne_u32_e32 0x7f, v67
	s_cbranch_execz .LBB293_312
; %bb.309:                              ;   in Loop: Header=BB293_10 Depth=1
	v_and_b32_sdwa v64, v3, v24 dst_sel:DWORD dst_unused:UNUSED_PAD src0_sel:WORD_0 src1_sel:DWORD
	v_lshrrev_b32_e32 v66, 3, v67
	s_mov_b32 s42, exec_lo
	v_cmpx_gt_u32_e32 8, v67
; %bb.310:                              ;   in Loop: Header=BB293_10 Depth=1
	v_ffbh_u32_e32 v64, v64
	v_min_u32_e32 v64, 32, v64
	v_subrev_nc_u32_e32 v66, 28, v64
	v_lshlrev_b64 v[67:68], v66, v[3:4]
	v_sub_nc_u32_e32 v66, 29, v64
	v_and_b32_e32 v64, 7, v67
; %bb.311:                              ;   in Loop: Header=BB293_10 Depth=1
	s_or_b32 exec_lo, exec_lo, s42
	v_lshlrev_b32_sdwa v3, v25, v3 dst_sel:DWORD dst_unused:UNUSED_PAD src0_sel:DWORD src1_sel:WORD_0
	v_lshl_add_u32 v66, v66, 10, 0x2000
	v_lshlrev_b32_e32 v64, 23, v64
	v_and_or_b32 v3, 0x8000, v3, v66
	v_lshl_or_b32 v64, v3, 16, v64
.LBB293_312:                            ;   in Loop: Header=BB293_10 Depth=1
	s_or_b32 exec_lo, exec_lo, s41
.LBB293_313:                            ;   in Loop: Header=BB293_10 Depth=1
	s_or_b32 exec_lo, exec_lo, s40
.LBB293_314:                            ;   in Loop: Header=BB293_10 Depth=1
	s_or_b32 exec_lo, exec_lo, s3
	v_lshrrev_b32_e32 v3, 16, v11
	v_mov_b32_e32 v66, 0
	v_mov_b32_e32 v67, 0
	v_cmp_ne_u16_sdwa s2, v3, v4 src0_sel:BYTE_0 src1_sel:DWORD
	s_and_saveexec_b32 s3, s2
	s_cbranch_execz .LBB293_322
; %bb.315:                              ;   in Loop: Header=BB293_10 Depth=1
	v_cmp_ne_u16_sdwa s2, v3, v22 src0_sel:BYTE_0 src1_sel:DWORD
	v_mov_b32_e32 v67, 0x8000
	s_and_saveexec_b32 s40, s2
	s_cbranch_execz .LBB293_321
; %bb.316:                              ;   in Loop: Header=BB293_10 Depth=1
	v_bfe_u32 v69, v11, 16, 7
	v_mov_b32_e32 v67, 0x7c01
	s_mov_b32 s41, exec_lo
	v_cmpx_ne_u32_e32 0x7f, v69
	s_cbranch_execz .LBB293_320
; %bb.317:                              ;   in Loop: Header=BB293_10 Depth=1
	v_and_b32_e32 v67, 7, v3
	v_lshrrev_b32_e32 v68, 3, v69
	s_mov_b32 s42, exec_lo
	v_cmpx_gt_u32_e32 8, v69
; %bb.318:                              ;   in Loop: Header=BB293_10 Depth=1
	v_ffbh_u32_e32 v67, v67
	v_min_u32_e32 v69, 32, v67
	v_subrev_nc_u32_e32 v67, 28, v69
	v_lshlrev_b64 v[67:68], v67, v[3:4]
	v_sub_nc_u32_e32 v68, 29, v69
	v_and_b32_e32 v67, 7, v67
; %bb.319:                              ;   in Loop: Header=BB293_10 Depth=1
	s_or_b32 exec_lo, exec_lo, s42
	v_lshlrev_b32_e32 v3, 8, v3
	v_lshl_add_u32 v68, v68, 10, 0x2000
	v_lshlrev_b32_e32 v67, 7, v67
	v_and_b32_e32 v3, 0x8000, v3
	v_and_b32_e32 v68, 0xfc00, v68
	v_or3_b32 v67, v3, v68, v67
.LBB293_320:                            ;   in Loop: Header=BB293_10 Depth=1
	s_or_b32 exec_lo, exec_lo, s41
.LBB293_321:                            ;   in Loop: Header=BB293_10 Depth=1
	s_or_b32 exec_lo, exec_lo, s40
.LBB293_322:                            ;   in Loop: Header=BB293_10 Depth=1
	s_or_b32 exec_lo, exec_lo, s3
	s_mov_b32 s3, exec_lo
	v_cmpx_lt_u32_e32 0xffffff, v11
	s_cbranch_execz .LBB293_330
; %bb.323:                              ;   in Loop: Header=BB293_10 Depth=1
	v_lshrrev_b32_e32 v3, 24, v11
	v_bfrev_b32_e32 v66, 1
	s_mov_b32 s40, exec_lo
	v_cmpx_ne_u32_e32 0x80, v3
	s_cbranch_execz .LBB293_329
; %bb.324:                              ;   in Loop: Header=BB293_10 Depth=1
	v_and_b32_e32 v68, 0x7f, v3
	v_mov_b32_e32 v66, 0x7c010000
	s_mov_b32 s41, exec_lo
	v_cmpx_ne_u32_e32 0x7f, v68
	s_cbranch_execz .LBB293_328
; %bb.325:                              ;   in Loop: Header=BB293_10 Depth=1
	v_and_b32_e32 v11, 7, v3
	v_lshrrev_b32_e32 v66, 3, v68
	s_mov_b32 s42, exec_lo
	v_cmpx_gt_u32_e32 8, v68
; %bb.326:                              ;   in Loop: Header=BB293_10 Depth=1
	v_ffbh_u32_e32 v11, v11
	v_min_u32_e32 v11, 32, v11
	v_subrev_nc_u32_e32 v66, 28, v11
	v_lshlrev_b64 v[68:69], v66, v[3:4]
	v_sub_nc_u32_e32 v66, 29, v11
	v_and_b32_e32 v11, 7, v68
; %bb.327:                              ;   in Loop: Header=BB293_10 Depth=1
	s_or_b32 exec_lo, exec_lo, s42
	v_lshlrev_b32_e32 v3, 8, v3
	v_lshl_add_u32 v66, v66, 10, 0x2000
	v_lshlrev_b32_e32 v11, 23, v11
	v_and_or_b32 v3, 0x8000, v3, v66
	v_lshl_or_b32 v66, v3, 16, v11
.LBB293_328:                            ;   in Loop: Header=BB293_10 Depth=1
	s_or_b32 exec_lo, exec_lo, s41
.LBB293_329:                            ;   in Loop: Header=BB293_10 Depth=1
	s_or_b32 exec_lo, exec_lo, s40
.LBB293_330:                            ;   in Loop: Header=BB293_10 Depth=1
	s_or_b32 exec_lo, exec_lo, s3
	global_load_dword v11, v[9:10], off offset:1280
	v_mov_b32_e32 v68, 0
	v_mov_b32_e32 v69, 0
	s_waitcnt vmcnt(0)
	v_cmp_ne_u16_sdwa s2, v11, v4 src0_sel:BYTE_0 src1_sel:DWORD
	s_and_saveexec_b32 s3, s2
	s_cbranch_execz .LBB293_338
; %bb.331:                              ;   in Loop: Header=BB293_10 Depth=1
	v_cmp_ne_u16_sdwa s2, v11, v22 src0_sel:BYTE_0 src1_sel:DWORD
	v_mov_b32_e32 v69, 0x8000
	s_and_saveexec_b32 s40, s2
	s_cbranch_execz .LBB293_337
; %bb.332:                              ;   in Loop: Header=BB293_10 Depth=1
	v_and_b32_e32 v70, 0x7f, v11
	v_mov_b32_e32 v69, 0x7c01
	s_mov_b32 s41, exec_lo
	v_cmpx_ne_u32_e32 0x7f, v70
	s_cbranch_execz .LBB293_336
; %bb.333:                              ;   in Loop: Header=BB293_10 Depth=1
	v_and_b32_e32 v3, 7, v11
	v_lshrrev_b32_e32 v69, 3, v70
	s_mov_b32 s42, exec_lo
	v_cmpx_gt_u32_e32 8, v70
; %bb.334:                              ;   in Loop: Header=BB293_10 Depth=1
	v_ffbh_u32_e32 v3, v3
	v_min_u32_e32 v3, 32, v3
	v_subrev_nc_u32_e32 v69, 28, v3
	v_lshlrev_b64 v[70:71], v69, v[11:12]
	v_sub_nc_u32_e32 v69, 29, v3
	v_and_b32_e32 v3, 7, v70
; %bb.335:                              ;   in Loop: Header=BB293_10 Depth=1
	s_or_b32 exec_lo, exec_lo, s42
	v_lshlrev_b32_e32 v70, 8, v11
	v_lshl_add_u32 v69, v69, 10, 0x2000
	v_lshlrev_b32_e32 v3, 7, v3
	v_and_b32_e32 v70, 0x8000, v70
	v_and_b32_e32 v69, 0xfc00, v69
	v_or3_b32 v69, v70, v69, v3
.LBB293_336:                            ;   in Loop: Header=BB293_10 Depth=1
	s_or_b32 exec_lo, exec_lo, s41
.LBB293_337:                            ;   in Loop: Header=BB293_10 Depth=1
	s_or_b32 exec_lo, exec_lo, s40
.LBB293_338:                            ;   in Loop: Header=BB293_10 Depth=1
	s_or_b32 exec_lo, exec_lo, s3
	v_lshrrev_b16 v3, 8, v11
	s_mov_b32 s3, exec_lo
	v_cmpx_ne_u16_e32 0, v3
	s_cbranch_execz .LBB293_346
; %bb.339:                              ;   in Loop: Header=BB293_10 Depth=1
	v_bfrev_b32_e32 v68, 1
	s_mov_b32 s40, exec_lo
	v_cmpx_ne_u16_e32 0x80, v3
	s_cbranch_execz .LBB293_345
; %bb.340:                              ;   in Loop: Header=BB293_10 Depth=1
	v_and_b32_sdwa v71, v3, v23 dst_sel:DWORD dst_unused:UNUSED_PAD src0_sel:WORD_0 src1_sel:DWORD
	v_mov_b32_e32 v68, 0x7c010000
	s_mov_b32 s41, exec_lo
	v_cmpx_ne_u32_e32 0x7f, v71
	s_cbranch_execz .LBB293_344
; %bb.341:                              ;   in Loop: Header=BB293_10 Depth=1
	v_and_b32_sdwa v68, v3, v24 dst_sel:DWORD dst_unused:UNUSED_PAD src0_sel:WORD_0 src1_sel:DWORD
	v_lshrrev_b32_e32 v70, 3, v71
	s_mov_b32 s42, exec_lo
	v_cmpx_gt_u32_e32 8, v71
; %bb.342:                              ;   in Loop: Header=BB293_10 Depth=1
	v_ffbh_u32_e32 v68, v68
	v_min_u32_e32 v68, 32, v68
	v_subrev_nc_u32_e32 v70, 28, v68
	v_lshlrev_b64 v[71:72], v70, v[3:4]
	v_sub_nc_u32_e32 v70, 29, v68
	v_and_b32_e32 v68, 7, v71
; %bb.343:                              ;   in Loop: Header=BB293_10 Depth=1
	s_or_b32 exec_lo, exec_lo, s42
	v_lshlrev_b32_sdwa v3, v25, v3 dst_sel:DWORD dst_unused:UNUSED_PAD src0_sel:DWORD src1_sel:WORD_0
	v_lshl_add_u32 v70, v70, 10, 0x2000
	v_lshlrev_b32_e32 v68, 23, v68
	v_and_or_b32 v3, 0x8000, v3, v70
	v_lshl_or_b32 v68, v3, 16, v68
.LBB293_344:                            ;   in Loop: Header=BB293_10 Depth=1
	s_or_b32 exec_lo, exec_lo, s41
.LBB293_345:                            ;   in Loop: Header=BB293_10 Depth=1
	s_or_b32 exec_lo, exec_lo, s40
.LBB293_346:                            ;   in Loop: Header=BB293_10 Depth=1
	s_or_b32 exec_lo, exec_lo, s3
	v_lshrrev_b32_e32 v3, 16, v11
	v_mov_b32_e32 v70, 0
	v_mov_b32_e32 v71, 0
	v_cmp_ne_u16_sdwa s2, v3, v4 src0_sel:BYTE_0 src1_sel:DWORD
	s_and_saveexec_b32 s3, s2
	s_cbranch_execz .LBB293_354
; %bb.347:                              ;   in Loop: Header=BB293_10 Depth=1
	v_cmp_ne_u16_sdwa s2, v3, v22 src0_sel:BYTE_0 src1_sel:DWORD
	v_mov_b32_e32 v71, 0x8000
	s_and_saveexec_b32 s40, s2
	s_cbranch_execz .LBB293_353
; %bb.348:                              ;   in Loop: Header=BB293_10 Depth=1
	v_bfe_u32 v73, v11, 16, 7
	v_mov_b32_e32 v71, 0x7c01
	s_mov_b32 s41, exec_lo
	v_cmpx_ne_u32_e32 0x7f, v73
	s_cbranch_execz .LBB293_352
; %bb.349:                              ;   in Loop: Header=BB293_10 Depth=1
	v_and_b32_e32 v71, 7, v3
	v_lshrrev_b32_e32 v72, 3, v73
	s_mov_b32 s42, exec_lo
	v_cmpx_gt_u32_e32 8, v73
; %bb.350:                              ;   in Loop: Header=BB293_10 Depth=1
	v_ffbh_u32_e32 v71, v71
	v_min_u32_e32 v73, 32, v71
	v_subrev_nc_u32_e32 v71, 28, v73
	v_lshlrev_b64 v[71:72], v71, v[3:4]
	v_sub_nc_u32_e32 v72, 29, v73
	v_and_b32_e32 v71, 7, v71
; %bb.351:                              ;   in Loop: Header=BB293_10 Depth=1
	s_or_b32 exec_lo, exec_lo, s42
	v_lshlrev_b32_e32 v3, 8, v3
	v_lshl_add_u32 v72, v72, 10, 0x2000
	v_lshlrev_b32_e32 v71, 7, v71
	v_and_b32_e32 v3, 0x8000, v3
	v_and_b32_e32 v72, 0xfc00, v72
	v_or3_b32 v71, v3, v72, v71
.LBB293_352:                            ;   in Loop: Header=BB293_10 Depth=1
	s_or_b32 exec_lo, exec_lo, s41
.LBB293_353:                            ;   in Loop: Header=BB293_10 Depth=1
	s_or_b32 exec_lo, exec_lo, s40
.LBB293_354:                            ;   in Loop: Header=BB293_10 Depth=1
	s_or_b32 exec_lo, exec_lo, s3
	s_mov_b32 s3, exec_lo
	v_cmpx_lt_u32_e32 0xffffff, v11
	s_cbranch_execz .LBB293_362
; %bb.355:                              ;   in Loop: Header=BB293_10 Depth=1
	v_lshrrev_b32_e32 v3, 24, v11
	v_bfrev_b32_e32 v70, 1
	s_mov_b32 s40, exec_lo
	v_cmpx_ne_u32_e32 0x80, v3
	s_cbranch_execz .LBB293_361
; %bb.356:                              ;   in Loop: Header=BB293_10 Depth=1
	v_and_b32_e32 v72, 0x7f, v3
	v_mov_b32_e32 v70, 0x7c010000
	s_mov_b32 s41, exec_lo
	v_cmpx_ne_u32_e32 0x7f, v72
	s_cbranch_execz .LBB293_360
; %bb.357:                              ;   in Loop: Header=BB293_10 Depth=1
	v_and_b32_e32 v11, 7, v3
	v_lshrrev_b32_e32 v70, 3, v72
	s_mov_b32 s42, exec_lo
	v_cmpx_gt_u32_e32 8, v72
; %bb.358:                              ;   in Loop: Header=BB293_10 Depth=1
	v_ffbh_u32_e32 v11, v11
	v_min_u32_e32 v11, 32, v11
	v_subrev_nc_u32_e32 v70, 28, v11
	v_lshlrev_b64 v[72:73], v70, v[3:4]
	v_sub_nc_u32_e32 v70, 29, v11
	v_and_b32_e32 v11, 7, v72
; %bb.359:                              ;   in Loop: Header=BB293_10 Depth=1
	s_or_b32 exec_lo, exec_lo, s42
	v_lshlrev_b32_e32 v3, 8, v3
	v_lshl_add_u32 v70, v70, 10, 0x2000
	v_lshlrev_b32_e32 v11, 23, v11
	v_and_or_b32 v3, 0x8000, v3, v70
	v_lshl_or_b32 v70, v3, 16, v11
.LBB293_360:                            ;   in Loop: Header=BB293_10 Depth=1
	s_or_b32 exec_lo, exec_lo, s41
.LBB293_361:                            ;   in Loop: Header=BB293_10 Depth=1
	s_or_b32 exec_lo, exec_lo, s40
.LBB293_362:                            ;   in Loop: Header=BB293_10 Depth=1
	s_or_b32 exec_lo, exec_lo, s3
	global_load_dword v9, v[9:10], off offset:1288
	v_mov_b32_e32 v11, 0
	v_mov_b32_e32 v72, 0
	s_waitcnt vmcnt(0)
	v_cmp_ne_u16_sdwa s2, v9, v4 src0_sel:BYTE_0 src1_sel:DWORD
	s_and_saveexec_b32 s3, s2
	s_cbranch_execz .LBB293_370
; %bb.363:                              ;   in Loop: Header=BB293_10 Depth=1
	v_cmp_ne_u16_sdwa s2, v9, v22 src0_sel:BYTE_0 src1_sel:DWORD
	v_mov_b32_e32 v72, 0x8000
	s_and_saveexec_b32 s40, s2
	s_cbranch_execz .LBB293_369
; %bb.364:                              ;   in Loop: Header=BB293_10 Depth=1
	v_and_b32_e32 v73, 0x7f, v9
	v_mov_b32_e32 v72, 0x7c01
	s_mov_b32 s41, exec_lo
	v_cmpx_ne_u32_e32 0x7f, v73
	s_cbranch_execz .LBB293_368
; %bb.365:                              ;   in Loop: Header=BB293_10 Depth=1
	v_and_b32_e32 v3, 7, v9
	v_lshrrev_b32_e32 v10, 3, v73
	s_mov_b32 s42, exec_lo
	v_cmpx_gt_u32_e32 8, v73
; %bb.366:                              ;   in Loop: Header=BB293_10 Depth=1
	v_ffbh_u32_e32 v3, v3
	v_min_u32_e32 v3, 32, v3
	v_subrev_nc_u32_e32 v10, 28, v3
	v_lshlrev_b64 v[72:73], v10, v[9:10]
	v_sub_nc_u32_e32 v10, 29, v3
	v_and_b32_e32 v3, 7, v72
; %bb.367:                              ;   in Loop: Header=BB293_10 Depth=1
	s_or_b32 exec_lo, exec_lo, s42
	v_lshlrev_b32_e32 v72, 8, v9
	v_lshl_add_u32 v10, v10, 10, 0x2000
	v_lshlrev_b32_e32 v3, 7, v3
	v_and_b32_e32 v72, 0x8000, v72
	v_and_b32_e32 v10, 0xfc00, v10
	v_or3_b32 v72, v72, v10, v3
.LBB293_368:                            ;   in Loop: Header=BB293_10 Depth=1
	s_or_b32 exec_lo, exec_lo, s41
.LBB293_369:                            ;   in Loop: Header=BB293_10 Depth=1
	s_or_b32 exec_lo, exec_lo, s40
.LBB293_370:                            ;   in Loop: Header=BB293_10 Depth=1
	s_or_b32 exec_lo, exec_lo, s3
	v_lshrrev_b16 v3, 8, v9
	s_mov_b32 s3, exec_lo
	v_cmpx_ne_u16_e32 0, v3
	s_cbranch_execz .LBB293_378
; %bb.371:                              ;   in Loop: Header=BB293_10 Depth=1
	v_bfrev_b32_e32 v11, 1
	s_mov_b32 s40, exec_lo
	v_cmpx_ne_u16_e32 0x80, v3
	s_cbranch_execz .LBB293_377
; %bb.372:                              ;   in Loop: Header=BB293_10 Depth=1
	v_and_b32_sdwa v73, v3, v23 dst_sel:DWORD dst_unused:UNUSED_PAD src0_sel:WORD_0 src1_sel:DWORD
	v_mov_b32_e32 v11, 0x7c010000
	s_mov_b32 s41, exec_lo
	v_cmpx_ne_u32_e32 0x7f, v73
	s_cbranch_execz .LBB293_376
; %bb.373:                              ;   in Loop: Header=BB293_10 Depth=1
	v_and_b32_sdwa v10, v3, v24 dst_sel:DWORD dst_unused:UNUSED_PAD src0_sel:WORD_0 src1_sel:DWORD
	v_lshrrev_b32_e32 v11, 3, v73
	s_mov_b32 s42, exec_lo
	v_cmpx_gt_u32_e32 8, v73
; %bb.374:                              ;   in Loop: Header=BB293_10 Depth=1
	v_ffbh_u32_e32 v10, v10
	v_min_u32_e32 v73, 32, v10
	v_subrev_nc_u32_e32 v10, 28, v73
	v_lshlrev_b64 v[10:11], v10, v[3:4]
	v_sub_nc_u32_e32 v11, 29, v73
	v_and_b32_e32 v10, 7, v10
; %bb.375:                              ;   in Loop: Header=BB293_10 Depth=1
	s_or_b32 exec_lo, exec_lo, s42
	v_lshlrev_b32_sdwa v3, v25, v3 dst_sel:DWORD dst_unused:UNUSED_PAD src0_sel:DWORD src1_sel:WORD_0
	v_lshl_add_u32 v11, v11, 10, 0x2000
	v_lshlrev_b32_e32 v10, 23, v10
	v_and_or_b32 v3, 0x8000, v3, v11
	v_lshl_or_b32 v11, v3, 16, v10
.LBB293_376:                            ;   in Loop: Header=BB293_10 Depth=1
	s_or_b32 exec_lo, exec_lo, s41
.LBB293_377:                            ;   in Loop: Header=BB293_10 Depth=1
	s_or_b32 exec_lo, exec_lo, s40
.LBB293_378:                            ;   in Loop: Header=BB293_10 Depth=1
	s_or_b32 exec_lo, exec_lo, s3
	v_lshrrev_b32_e32 v3, 16, v9
	v_mov_b32_e32 v10, 0
	v_mov_b32_e32 v73, 0
	v_cmp_ne_u16_sdwa s2, v3, v4 src0_sel:BYTE_0 src1_sel:DWORD
	s_and_saveexec_b32 s3, s2
	s_cbranch_execz .LBB293_386
; %bb.379:                              ;   in Loop: Header=BB293_10 Depth=1
	v_cmp_ne_u16_sdwa s2, v3, v22 src0_sel:BYTE_0 src1_sel:DWORD
	v_mov_b32_e32 v73, 0x8000
	s_and_saveexec_b32 s40, s2
	s_cbranch_execz .LBB293_385
; %bb.380:                              ;   in Loop: Header=BB293_10 Depth=1
	v_bfe_u32 v75, v9, 16, 7
	v_mov_b32_e32 v73, 0x7c01
	s_mov_b32 s41, exec_lo
	v_cmpx_ne_u32_e32 0x7f, v75
	s_cbranch_execz .LBB293_384
; %bb.381:                              ;   in Loop: Header=BB293_10 Depth=1
	v_and_b32_e32 v73, 7, v3
	v_lshrrev_b32_e32 v74, 3, v75
	s_mov_b32 s42, exec_lo
	v_cmpx_gt_u32_e32 8, v75
; %bb.382:                              ;   in Loop: Header=BB293_10 Depth=1
	v_ffbh_u32_e32 v73, v73
	v_min_u32_e32 v75, 32, v73
	v_subrev_nc_u32_e32 v73, 28, v75
	v_lshlrev_b64 v[73:74], v73, v[3:4]
	v_sub_nc_u32_e32 v74, 29, v75
	v_and_b32_e32 v73, 7, v73
; %bb.383:                              ;   in Loop: Header=BB293_10 Depth=1
	s_or_b32 exec_lo, exec_lo, s42
	v_lshlrev_b32_e32 v3, 8, v3
	v_lshl_add_u32 v74, v74, 10, 0x2000
	v_lshlrev_b32_e32 v73, 7, v73
	v_and_b32_e32 v3, 0x8000, v3
	v_and_b32_e32 v74, 0xfc00, v74
	v_or3_b32 v73, v3, v74, v73
.LBB293_384:                            ;   in Loop: Header=BB293_10 Depth=1
	s_or_b32 exec_lo, exec_lo, s41
.LBB293_385:                            ;   in Loop: Header=BB293_10 Depth=1
	s_or_b32 exec_lo, exec_lo, s40
.LBB293_386:                            ;   in Loop: Header=BB293_10 Depth=1
	s_or_b32 exec_lo, exec_lo, s3
	s_mov_b32 s3, exec_lo
	v_cmpx_lt_u32_e32 0xffffff, v9
	s_cbranch_execz .LBB293_394
; %bb.387:                              ;   in Loop: Header=BB293_10 Depth=1
	v_lshrrev_b32_e32 v3, 24, v9
	v_bfrev_b32_e32 v10, 1
	s_mov_b32 s40, exec_lo
	v_cmpx_ne_u32_e32 0x80, v3
	s_cbranch_execz .LBB293_393
; %bb.388:                              ;   in Loop: Header=BB293_10 Depth=1
	v_and_b32_e32 v74, 0x7f, v3
	v_mov_b32_e32 v10, 0x7c010000
	s_mov_b32 s41, exec_lo
	v_cmpx_ne_u32_e32 0x7f, v74
	s_cbranch_execz .LBB293_392
; %bb.389:                              ;   in Loop: Header=BB293_10 Depth=1
	v_and_b32_e32 v9, 7, v3
	v_lshrrev_b32_e32 v10, 3, v74
	s_mov_b32 s42, exec_lo
	v_cmpx_gt_u32_e32 8, v74
; %bb.390:                              ;   in Loop: Header=BB293_10 Depth=1
	v_ffbh_u32_e32 v9, v9
	v_min_u32_e32 v74, 32, v9
	v_subrev_nc_u32_e32 v9, 28, v74
	v_lshlrev_b64 v[9:10], v9, v[3:4]
	v_sub_nc_u32_e32 v10, 29, v74
	v_and_b32_e32 v9, 7, v9
; %bb.391:                              ;   in Loop: Header=BB293_10 Depth=1
	s_or_b32 exec_lo, exec_lo, s42
	v_lshlrev_b32_e32 v3, 8, v3
	v_lshl_add_u32 v10, v10, 10, 0x2000
	v_lshlrev_b32_e32 v9, 23, v9
	v_and_or_b32 v3, 0x8000, v3, v10
	v_lshl_or_b32 v10, v3, 16, v9
.LBB293_392:                            ;   in Loop: Header=BB293_10 Depth=1
	s_or_b32 exec_lo, exec_lo, s41
.LBB293_393:                            ;   in Loop: Header=BB293_10 Depth=1
	s_or_b32 exec_lo, exec_lo, s40
.LBB293_394:                            ;   in Loop: Header=BB293_10 Depth=1
	s_or_b32 exec_lo, exec_lo, s3
	ds_read_b64 v[74:75], v19
	v_or_b32_e32 v3, v29, v28
	v_or_b32_e32 v9, v30, v31
	v_fma_mixlo_f16 v28, v27, v29, 0 op_sel:[0,1,0] op_sel_hi:[0,1,0]
	v_fma_mixlo_f16 v29, v27, v30, 0 op_sel:[0,1,0] op_sel_hi:[0,1,0]
	v_or_b32_e32 v33, v32, v33
	v_fma_mixlo_f16 v3, v27, v3, 0 op_sel_hi:[0,1,0]
	v_fma_mixlo_f16 v9, v27, v9, 0 op_sel_hi:[0,1,0]
	v_and_b32_e32 v28, 0xffff, v28
	v_and_b32_e32 v76, 0xffff, v29
	v_or_b32_e32 v35, v34, v35
	v_and_b32_e32 v29, 0xffff, v3
	v_fma_mixlo_f16 v32, v27, v32, 0 op_sel:[0,1,0] op_sel_hi:[0,1,0]
	v_fma_mixlo_f16 v34, v27, v34, 0 op_sel:[0,1,0] op_sel_hi:[0,1,0]
	v_fma_mixlo_f16 v33, v27, v33, 0 op_sel_hi:[0,1,0]
	v_fma_mixlo_f16 v35, v27, v35, 0 op_sel_hi:[0,1,0]
	v_or_b32_e32 v37, v36, v37
	v_and_b32_e32 v78, 0xffff, v32
	v_and_b32_e32 v79, 0xffff, v34
	;; [unrolled: 1-line block ×3, first 2 shown]
	s_waitcnt lgkmcnt(0)
	v_and_b32_e32 v3, 0xffff, v74
	v_lshrrev_b32_e32 v30, 16, v74
	v_and_b32_e32 v74, 0xffff, v9
	v_lshrrev_b32_e32 v77, 16, v75
	v_and_b32_e32 v75, 0xffff, v75
	;;#ASMSTART
	v_cvt_f32_f16 v9, v3;
	;;#ASMEND
	;;#ASMSTART
	v_cvt_f32_f16 v3, v30;
	;;#ASMEND
	;; [unrolled: 3-line block ×8, first 2 shown]
	ds_read_b64 v[76:77], v19 offset:8
	v_and_b32_e32 v80, 0xffff, v35
	v_or_b32_e32 v39, v38, v39
	v_fma_mixlo_f16 v36, v27, v36, 0 op_sel:[0,1,0] op_sel_hi:[0,1,0]
	v_fma_mixlo_f16 v38, v27, v38, 0 op_sel:[0,1,0] op_sel_hi:[0,1,0]
	v_fma_mixlo_f16 v37, v27, v37, 0 op_sel_hi:[0,1,0]
	v_or_b32_e32 v41, v40, v41
	v_fma_mixlo_f16 v39, v27, v39, 0 op_sel_hi:[0,1,0]
	v_and_b32_e32 v36, 0xffff, v36
	v_and_b32_e32 v84, 0xffff, v38
	;; [unrolled: 1-line block ×3, first 2 shown]
	v_or_b32_e32 v43, v42, v43
	v_and_b32_e32 v39, 0xffff, v39
	v_fma_mixlo_f16 v40, v27, v40, 0 op_sel:[0,1,0] op_sel_hi:[0,1,0]
	v_fma_mixlo_f16 v42, v27, v42, 0 op_sel:[0,1,0] op_sel_hi:[0,1,0]
	v_fma_mixlo_f16 v41, v27, v41, 0 op_sel_hi:[0,1,0]
	v_fma_mixlo_f16 v43, v27, v43, 0 op_sel_hi:[0,1,0]
	v_or_b32_e32 v45, v44, v45
	v_or_b32_e32 v47, v46, v47
	v_and_b32_e32 v87, 0xffff, v42
	s_waitcnt lgkmcnt(0)
	v_and_b32_e32 v32, 0xffff, v76
	v_lshrrev_b32_e32 v76, 16, v76
	v_lshrrev_b32_e32 v81, 16, v77
	v_and_b32_e32 v35, 0xffff, v77
	;;#ASMSTART
	v_cvt_f32_f16 v33, v32;
	;;#ASMEND
	;;#ASMSTART
	v_cvt_f32_f16 v32, v76;
	;;#ASMEND
	;; [unrolled: 3-line block ×8, first 2 shown]
	ds_read_b64 v[80:81], v19 offset:16
	v_and_b32_e32 v42, 0xffff, v41
	v_and_b32_e32 v88, 0xffff, v43
	v_fma_mixlo_f16 v44, v27, v44, 0 op_sel:[0,1,0] op_sel_hi:[0,1,0]
	v_fma_mixlo_f16 v46, v27, v46, 0 op_sel:[0,1,0] op_sel_hi:[0,1,0]
	v_fma_mixlo_f16 v45, v27, v45, 0 op_sel_hi:[0,1,0]
	v_fma_mixlo_f16 v47, v27, v47, 0 op_sel_hi:[0,1,0]
	v_or_b32_e32 v49, v48, v49
	v_and_b32_e32 v44, 0xffff, v44
	v_and_b32_e32 v92, 0xffff, v46
	;; [unrolled: 1-line block ×4, first 2 shown]
	v_or_b32_e32 v51, v50, v51
	v_fma_mixlo_f16 v48, v27, v48, 0 op_sel:[0,1,0] op_sel_hi:[0,1,0]
	v_fma_mixlo_f16 v50, v27, v50, 0 op_sel:[0,1,0] op_sel_hi:[0,1,0]
	v_fma_mixlo_f16 v49, v27, v49, 0 op_sel_hi:[0,1,0]
	v_or_b32_e32 v53, v52, v53
	v_fma_mixlo_f16 v51, v27, v51, 0 op_sel_hi:[0,1,0]
	v_or_b32_e32 v55, v54, v55
	v_and_b32_e32 v95, 0xffff, v50
	s_waitcnt lgkmcnt(0)
	v_and_b32_e32 v38, 0xffff, v80
	v_lshrrev_b32_e32 v80, 16, v80
	v_lshrrev_b32_e32 v85, 16, v81
	v_and_b32_e32 v86, 0xffff, v81
	;;#ASMSTART
	v_cvt_f32_f16 v81, v38;
	;;#ASMEND
	;;#ASMSTART
	v_cvt_f32_f16 v80, v80;
	;;#ASMEND
	;;#ASMSTART
	v_cvt_f32_f16 v83, v37;
	;;#ASMEND
	;;#ASMSTART
	v_cvt_f32_f16 v82, v36;
	;;#ASMEND
	;;#ASMSTART
	v_cvt_f32_f16 v36, v86;
	;;#ASMEND
	;;#ASMSTART
	v_cvt_f32_f16 v37, v85;
	;;#ASMEND
	;;#ASMSTART
	v_cvt_f32_f16 v38, v39;
	;;#ASMEND
	;;#ASMSTART
	v_cvt_f32_f16 v39, v84;
	;;#ASMEND
	ds_read_b64 v[84:85], v19 offset:24
	v_and_b32_e32 v86, 0xffff, v40
	v_and_b32_e32 v50, 0xffff, v49
	v_and_b32_e32 v96, 0xffff, v51
	v_fma_mixlo_f16 v52, v27, v52, 0 op_sel:[0,1,0] op_sel_hi:[0,1,0]
	v_fma_mixlo_f16 v54, v27, v54, 0 op_sel:[0,1,0] op_sel_hi:[0,1,0]
	v_fma_mixlo_f16 v53, v27, v53, 0 op_sel_hi:[0,1,0]
	v_fma_mixlo_f16 v55, v27, v55, 0 op_sel_hi:[0,1,0]
	v_or_b32_e32 v57, v56, v57
	v_and_b32_e32 v52, 0xffff, v52
	v_and_b32_e32 v100, 0xffff, v54
	;; [unrolled: 1-line block ×4, first 2 shown]
	v_or_b32_e32 v59, v58, v59
	v_fma_mixlo_f16 v56, v27, v56, 0 op_sel:[0,1,0] op_sel_hi:[0,1,0]
	v_fma_mixlo_f16 v58, v27, v58, 0 op_sel:[0,1,0] op_sel_hi:[0,1,0]
	v_fma_mixlo_f16 v57, v27, v57, 0 op_sel_hi:[0,1,0]
	v_or_b32_e32 v61, v60, v61
	v_fma_mixlo_f16 v59, v27, v59, 0 op_sel_hi:[0,1,0]
	v_or_b32_e32 v63, v62, v63
	s_waitcnt lgkmcnt(0)
	v_and_b32_e32 v40, 0xffff, v84
	v_lshrrev_b32_e32 v41, 16, v84
	v_lshrrev_b32_e32 v43, 16, v85
	v_and_b32_e32 v89, 0xffff, v85
	;;#ASMSTART
	v_cvt_f32_f16 v40, v40;
	;;#ASMEND
	;;#ASMSTART
	v_cvt_f32_f16 v41, v41;
	;;#ASMEND
	;; [unrolled: 3-line block ×8, first 2 shown]
	ds_read_b64 v[88:89], v19 offset:32
	v_and_b32_e32 v103, 0xffff, v58
	v_and_b32_e32 v58, 0xffff, v57
	;; [unrolled: 1-line block ×3, first 2 shown]
	v_fma_mixlo_f16 v60, v27, v60, 0 op_sel:[0,1,0] op_sel_hi:[0,1,0]
	v_fma_mixlo_f16 v62, v27, v62, 0 op_sel:[0,1,0] op_sel_hi:[0,1,0]
	v_fma_mixlo_f16 v61, v27, v61, 0 op_sel_hi:[0,1,0]
	v_fma_mixlo_f16 v63, v27, v63, 0 op_sel_hi:[0,1,0]
	v_or_b32_e32 v65, v64, v65
	v_and_b32_e32 v60, 0xffff, v60
	v_and_b32_e32 v109, 0xffff, v62
	;; [unrolled: 1-line block ×4, first 2 shown]
	v_mul_f32_e32 v33, v33, v77
	v_or_b32_e32 v67, v66, v67
	v_mul_f32_e32 v32, v32, v34
	v_mul_f32_e32 v34, v35, v78
	v_fma_mixlo_f16 v66, v27, v66, 0 op_sel:[0,1,0] op_sel_hi:[0,1,0]
	v_fma_mixlo_f16 v65, v27, v65, 0 op_sel_hi:[0,1,0]
	v_fmac_f32_e32 v33, v9, v31
	s_waitcnt lgkmcnt(0)
	v_and_b32_e32 v46, 0xffff, v88
	v_lshrrev_b32_e32 v90, 16, v88
	v_lshrrev_b32_e32 v93, 16, v89
	v_and_b32_e32 v94, 0xffff, v89
	;;#ASMSTART
	v_cvt_f32_f16 v88, v46;
	;;#ASMEND
	;;#ASMSTART
	v_cvt_f32_f16 v89, v90;
	;;#ASMEND
	;; [unrolled: 3-line block ×8, first 2 shown]
	ds_read_b64 v[92:93], v19 offset:40
	v_and_b32_e32 v94, 0xffff, v48
	v_fma_mixlo_f16 v64, v27, v64, 0 op_sel:[0,1,0] op_sel_hi:[0,1,0]
	v_fma_mixlo_f16 v67, v27, v67, 0 op_sel_hi:[0,1,0]
	v_mul_f32_e32 v35, v76, v79
	v_fmac_f32_e32 v32, v3, v28
	v_fmac_f32_e32 v34, v29, v74
	v_and_b32_e32 v66, 0xffff, v66
	v_and_b32_e32 v65, 0xffff, v65
	v_fmac_f32_e32 v33, v81, v83
	v_and_b32_e32 v110, 0xffff, v64
	v_and_b32_e32 v67, 0xffff, v67
	v_fmac_f32_e32 v35, v30, v75
	v_fmac_f32_e32 v32, v80, v82
	;; [unrolled: 1-line block ×4, first 2 shown]
	v_or_b32_e32 v69, v68, v69
	v_fmac_f32_e32 v35, v37, v39
	v_fmac_f32_e32 v32, v41, v85
	;; [unrolled: 1-line block ×3, first 2 shown]
	s_waitcnt lgkmcnt(0)
	v_and_b32_e32 v48, 0xffff, v92
	v_lshrrev_b32_e32 v49, 16, v92
	v_lshrrev_b32_e32 v51, 16, v93
	v_and_b32_e32 v97, 0xffff, v93
	;;#ASMSTART
	v_cvt_f32_f16 v48, v48;
	;;#ASMEND
	;;#ASMSTART
	v_cvt_f32_f16 v49, v49;
	;;#ASMEND
	;; [unrolled: 3-line block ×8, first 2 shown]
	ds_read_b64 v[96:97], v19 offset:48
	v_fmac_f32_e32 v33, v88, v90
	v_fmac_f32_e32 v32, v89, v91
	;; [unrolled: 1-line block ×3, first 2 shown]
	v_or_b32_e32 v71, v70, v71
	v_fmac_f32_e32 v35, v43, v87
	v_fmac_f32_e32 v33, v48, v92
	v_fmac_f32_e32 v32, v49, v93
	v_fmac_f32_e32 v34, v50, v94
	v_fma_mixlo_f16 v68, v27, v68, 0 op_sel:[0,1,0] op_sel_hi:[0,1,0]
	v_fma_mixlo_f16 v70, v27, v70, 0 op_sel:[0,1,0] op_sel_hi:[0,1,0]
	v_fma_mixlo_f16 v69, v27, v69, 0 op_sel_hi:[0,1,0]
	v_fma_mixlo_f16 v64, v27, v71, 0 op_sel_hi:[0,1,0]
	v_fmac_f32_e32 v35, v45, v47
	v_and_b32_e32 v40, 0xffff, v68
	v_and_b32_e32 v44, 0xffff, v70
	;; [unrolled: 1-line block ×3, first 2 shown]
	v_or_b32_e32 v72, v11, v72
	v_fmac_f32_e32 v35, v51, v95
	v_or_b32_e32 v45, v10, v73
	s_waitcnt lgkmcnt(0)
	v_and_b32_e32 v54, 0xffff, v96
	v_lshrrev_b32_e32 v96, 16, v96
	v_lshrrev_b32_e32 v101, 16, v97
	v_and_b32_e32 v102, 0xffff, v97
	;;#ASMSTART
	v_cvt_f32_f16 v54, v54;
	;;#ASMEND
	;;#ASMSTART
	v_cvt_f32_f16 v55, v96;
	;;#ASMEND
	;; [unrolled: 3-line block ×8, first 2 shown]
	ds_read_b64 v[100:101], v19 offset:56
	v_and_b32_e32 v102, 0xffff, v56
	v_fmac_f32_e32 v33, v54, v97
	v_fmac_f32_e32 v32, v55, v98
	;; [unrolled: 1-line block ×4, first 2 shown]
	v_fma_mixlo_f16 v11, v27, v11, 0 op_sel:[0,1,0] op_sel_hi:[0,1,0]
	v_fma_mixlo_f16 v36, v27, v72, 0 op_sel_hi:[0,1,0]
	v_fma_mixlo_f16 v45, v27, v45, 0 op_sel_hi:[0,1,0]
	s_waitcnt lgkmcnt(0)
	v_and_b32_e32 v56, 0xffff, v100
	v_lshrrev_b32_e32 v57, 16, v100
	v_lshrrev_b32_e32 v105, 16, v101
	v_and_b32_e32 v101, 0xffff, v101
	;;#ASMSTART
	v_cvt_f32_f16 v56, v56;
	;;#ASMEND
	;;#ASMSTART
	v_cvt_f32_f16 v57, v57;
	;;#ASMEND
	;; [unrolled: 3-line block ×8, first 2 shown]
	ds_read_b64 v[102:103], v19 offset:64
	v_fmac_f32_e32 v33, v56, v59
	v_fmac_f32_e32 v32, v57, v100
	;; [unrolled: 1-line block ×4, first 2 shown]
	s_waitcnt lgkmcnt(0)
	v_and_b32_e32 v62, 0xffff, v102
	v_lshrrev_b32_e32 v102, 16, v102
	v_lshrrev_b32_e32 v107, 16, v103
	v_and_b32_e32 v106, 0xffff, v103
	;;#ASMSTART
	v_cvt_f32_f16 v62, v62;
	;;#ASMEND
	;;#ASMSTART
	v_cvt_f32_f16 v63, v102;
	;;#ASMEND
	;; [unrolled: 3-line block ×8, first 2 shown]
	ds_read_b64 v[60:61], v19 offset:72
	v_fmac_f32_e32 v33, v62, v102
	v_fmac_f32_e32 v32, v63, v103
	;; [unrolled: 1-line block ×4, first 2 shown]
	s_waitcnt lgkmcnt(0)
	v_and_b32_e32 v3, 0xffff, v60
	v_lshrrev_b32_e32 v9, 16, v60
	v_lshrrev_b32_e32 v28, 16, v61
	v_and_b32_e32 v29, 0xffff, v61
	;;#ASMSTART
	v_cvt_f32_f16 v3, v3;
	;;#ASMEND
	;;#ASMSTART
	v_cvt_f32_f16 v9, v9;
	;;#ASMEND
	;; [unrolled: 3-line block ×8, first 2 shown]
	ds_read_b64 v[28:29], v19 offset:80
	v_fmac_f32_e32 v33, v3, v30
	v_fmac_f32_e32 v32, v9, v31
	v_fmac_f32_e32 v34, v60, v65
	v_fma_mixlo_f16 v3, v27, v10, 0 op_sel:[0,1,0] op_sel_hi:[0,1,0]
	v_and_b32_e32 v27, 0xffff, v36
	v_fmac_f32_e32 v35, v61, v66
	v_and_b32_e32 v30, 0xffff, v45
	s_waitcnt lgkmcnt(0)
	v_and_b32_e32 v37, 0xffff, v28
	v_lshrrev_b32_e32 v28, 16, v28
	v_lshrrev_b32_e32 v42, 16, v29
	v_and_b32_e32 v29, 0xffff, v29
	;;#ASMSTART
	v_cvt_f32_f16 v37, v37;
	;;#ASMEND
	;;#ASMSTART
	v_cvt_f32_f16 v38, v28;
	;;#ASMEND
	v_and_b32_e32 v28, 0xffff, v64
	;;#ASMSTART
	v_cvt_f32_f16 v39, v39;
	;;#ASMEND
	;;#ASMSTART
	v_cvt_f32_f16 v40, v40;
	;;#ASMEND
	;; [unrolled: 3-line block ×6, first 2 shown]
	ds_read_b64 v[28:29], v19 offset:88
	v_fmac_f32_e32 v33, v37, v39
	v_fmac_f32_e32 v32, v38, v40
	;; [unrolled: 1-line block ×4, first 2 shown]
	s_waitcnt lgkmcnt(0)
	v_and_b32_e32 v9, 0xffff, v28
	v_lshrrev_b32_e32 v10, 16, v28
	v_and_b32_e32 v28, 0xffff, v11
	;;#ASMSTART
	v_cvt_f32_f16 v9, v9;
	;;#ASMEND
	;;#ASMSTART
	v_cvt_f32_f16 v10, v10;
	;;#ASMEND
	;; [unrolled: 3-line block ×4, first 2 shown]
	v_and_b32_e32 v28, 0xffff, v29
	v_fmac_f32_e32 v33, v9, v11
	;;#ASMSTART
	v_cvt_f32_f16 v9, v28;
	;;#ASMEND
	v_lshrrev_b32_e32 v29, 16, v29
	v_fmac_f32_e32 v32, v10, v27
	;;#ASMSTART
	v_cvt_f32_f16 v10, v29;
	;;#ASMEND
	;;#ASMSTART
	v_cvt_f32_f16 v11, v30;
	;;#ASMEND
	v_fmac_f32_e32 v34, v9, v11
	v_xor_b32_e32 v9, 1, v16
	v_and_b32_e32 v27, 0xffff, v3
	v_add_f32_e32 v3, v33, v32
	;;#ASMSTART
	v_cvt_f32_f16 v11, v27;
	;;#ASMEND
	v_fmac_f32_e32 v35, v10, v11
	v_cmp_gt_i32_e64 s2, 32, v9
	v_add_f32_e32 v3, v3, v34
	v_cndmask_b32_e64 v9, v16, v9, s2
	v_add_f32_e32 v3, v35, v3
	v_lshlrev_b32_e32 v9, 2, v9
	ds_bpermute_b32 v9, v9, v3
	s_and_saveexec_b32 s3, vcc_lo
	s_cbranch_execz .LBB293_9
; %bb.395:                              ;   in Loop: Header=BB293_10 Depth=1
	v_add_nc_u32_e32 v10, s4, v20
	s_waitcnt lgkmcnt(0)
	v_add_f32_e32 v3, v3, v9
	v_cmp_gt_i32_e64 s2, s27, v20
	v_cvt_f32_i32_e32 v10, v10
	v_mul_f32_e32 v10, s36, v10
	v_cndmask_b32_e64 v9, 0, v10, s1
	v_max_f32_e32 v10, v17, v17
	v_fmac_f32_e32 v9, s37, v3
	v_max_f32_e32 v3, v10, v9
	v_cndmask_b32_e64 v9, 0, v9, s2
	v_cndmask_b32_e64 v17, v17, v3, s2
	ds_write_b32 v21, v9
	s_branch .LBB293_9
.LBB293_396:
	s_or_b32 exec_lo, exec_lo, s5
.LBB293_397:
	s_or_b32 exec_lo, exec_lo, s38
	v_xor_b32_e32 v3, 16, v16
	v_xor_b32_e32 v5, 8, v16
	v_max_f32_e32 v8, v17, v17
	s_waitcnt lgkmcnt(0)
	v_xor_b32_e32 v9, 2, v16
	v_cmp_lt_i32_e32 vcc_lo, v3, v18
	v_cndmask_b32_e32 v3, v16, v3, vcc_lo
	v_cmp_lt_i32_e32 vcc_lo, v5, v18
	v_lshlrev_b32_e32 v6, 2, v3
	v_cndmask_b32_e32 v5, v16, v5, vcc_lo
	ds_bpermute_b32 v3, v6, v17
	v_lshlrev_b32_e32 v7, 2, v5
	v_and_b32_e32 v17, 31, v0
	s_waitcnt lgkmcnt(0)
	v_max_f32_e32 v3, v3, v3
	v_max_f32_e32 v3, v8, v3
	v_xor_b32_e32 v8, 4, v16
	ds_bpermute_b32 v5, v7, v3
	v_cmp_lt_i32_e32 vcc_lo, v8, v18
	v_cndmask_b32_e32 v8, v16, v8, vcc_lo
	v_cmp_lt_i32_e32 vcc_lo, v9, v18
	v_lshlrev_b32_e32 v8, 2, v8
	v_cndmask_b32_e32 v9, v16, v9, vcc_lo
	v_cmp_eq_u32_e32 vcc_lo, 0, v17
	s_waitcnt lgkmcnt(0)
	v_max_f32_e32 v5, v5, v5
	v_max_f32_e32 v3, v3, v5
	ds_bpermute_b32 v5, v8, v3
	s_waitcnt lgkmcnt(0)
	v_max_f32_e32 v5, v5, v5
	v_max_f32_e32 v3, v3, v5
	v_lshlrev_b32_e32 v5, 2, v9
	v_lshlrev_b32_e32 v9, 2, v14
	ds_bpermute_b32 v10, v5, v3
	s_and_saveexec_b32 s1, vcc_lo
	s_cbranch_execz .LBB293_399
; %bb.398:
	s_waitcnt lgkmcnt(0)
	v_max_f32_e32 v10, v10, v10
	v_max_f32_e32 v3, v3, v3
	;; [unrolled: 1-line block ×3, first 2 shown]
	ds_write_b32 v9, v3 offset:192
.LBB293_399:
	s_or_b32 exec_lo, exec_lo, s1
	v_cmp_gt_u32_e64 s1, 4, v17
	v_mov_b32_e32 v3, 0xff7fffff
	s_waitcnt lgkmcnt(0)
	v_lshlrev_b32_e32 v10, 2, v17
	s_barrier
	buffer_gl0_inv
	s_and_saveexec_b32 s2, s1
; %bb.400:
	ds_read_b32 v3, v10 offset:192
; %bb.401:
	s_or_b32 exec_lo, exec_lo, s2
	s_waitcnt lgkmcnt(0)
	ds_bpermute_b32 v11, v5, v3
	v_xor_b32_e32 v19, 1, v16
	v_max_f32_e32 v3, v3, v3
	v_lshlrev_b32_e32 v4, 2, v4
	v_cmp_lt_i32_e64 s2, v19, v18
	v_cndmask_b32_e64 v18, v16, v19, s2
	s_sub_i32 s2, s11, s19
	s_lshl_b32 s2, s2, 4
	v_lshlrev_b32_e32 v18, 2, v18
	s_add_i32 s2, s2, s33
	s_min_i32 s2, s2, s27
	s_waitcnt lgkmcnt(0)
	v_max_f32_e32 v11, v11, v11
	s_sub_i32 s4, s2, s33
	v_cmp_gt_i32_e64 s2, s4, v0
	v_max_f32_e32 v3, v3, v11
	ds_bpermute_b32 v11, v18, v3
	s_waitcnt lgkmcnt(0)
	v_max_f32_e32 v11, v11, v11
	v_max_f32_e32 v3, v3, v11
	v_mov_b32_e32 v11, 0
	ds_bpermute_b32 v3, v4, v3
	v_lshl_add_u32 v4, v0, 2, 0xe0
	s_and_saveexec_b32 s5, s2
	s_cbranch_execz .LBB293_405
; %bb.402:
	v_lshl_add_u32 v19, v0, 2, 0xe0
	v_mov_b32_e32 v11, 0
	v_mov_b32_e32 v20, v0
	s_mov_b32 s12, 0
	.p2align	6
.LBB293_403:                            ; =>This Inner Loop Header: Depth=1
	ds_read_b32 v21, v19
	v_add_nc_u32_e32 v20, 0x80, v20
	v_cmp_le_i32_e64 s3, s4, v20
	s_or_b32 s12, s3, s12
	s_waitcnt lgkmcnt(0)
	v_sub_f32_e32 v21, v21, v3
	v_mul_f32_e32 v21, 0x3fb8aa3b, v21
	v_exp_f32_e32 v21, v21
	ds_write_b32 v19, v21
	v_add_f32_e32 v11, v11, v21
	v_add_nc_u32_e32 v19, 0x200, v19
	s_andn2_b32 exec_lo, exec_lo, s12
	s_cbranch_execnz .LBB293_403
; %bb.404:
	s_or_b32 exec_lo, exec_lo, s12
.LBB293_405:
	s_or_b32 exec_lo, exec_lo, s5
	ds_bpermute_b32 v6, v6, v11
	s_waitcnt lgkmcnt(0)
	v_add_f32_e32 v6, v11, v6
	ds_bpermute_b32 v7, v7, v6
	s_waitcnt lgkmcnt(0)
	v_add_f32_e32 v6, v6, v7
	;; [unrolled: 3-line block ×5, first 2 shown]
	s_and_saveexec_b32 s3, vcc_lo
; %bb.406:
	ds_write_b32 v9, v6 offset:208
; %bb.407:
	s_or_b32 exec_lo, exec_lo, s3
	s_waitcnt lgkmcnt(0)
	s_barrier
	buffer_gl0_inv
	s_and_saveexec_b32 s3, s1
; %bb.408:
	ds_read_b32 v6, v10 offset:208
; %bb.409:
	s_or_b32 exec_lo, exec_lo, s3
	s_waitcnt lgkmcnt(0)
	ds_bpermute_b32 v5, v5, v6
	v_lshlrev_b32_e32 v7, 2, v16
	s_waitcnt lgkmcnt(0)
	v_add_f32_e32 v5, v6, v5
	ds_bpermute_b32 v6, v18, v5
	s_waitcnt lgkmcnt(0)
	v_add_f32_e32 v5, v5, v6
	v_and_b32_e32 v6, 0xffffff80, v7
	ds_bpermute_b32 v5, v6, v5
	s_and_saveexec_b32 s1, s2
	s_cbranch_execz .LBB293_412
; %bb.410:
	s_waitcnt lgkmcnt(0)
	v_add_f32_e32 v6, 0x358637bd, v5
	s_mov_b32 s2, 0
	v_div_scale_f32 v7, null, v6, v6, 1.0
	v_div_scale_f32 v10, vcc_lo, 1.0, v6, 1.0
	v_rcp_f32_e32 v8, v7
	v_fma_f32 v9, -v7, v8, 1.0
	v_fmac_f32_e32 v8, v9, v8
	v_mul_f32_e32 v9, v10, v8
	v_fma_f32 v11, -v7, v9, v10
	v_fmac_f32_e32 v9, v11, v8
	v_fma_f32 v7, -v7, v9, v10
	v_div_fmas_f32 v7, v7, v8, v9
	v_div_fixup_f32 v6, v7, v6, 1.0
	v_mov_b32_e32 v7, v0
.LBB293_411:                            ; =>This Inner Loop Header: Depth=1
	ds_read_b32 v8, v4
	v_add_nc_u32_e32 v7, 0x80, v7
	v_cmp_le_i32_e32 vcc_lo, s4, v7
	s_or_b32 s2, vcc_lo, s2
	s_waitcnt lgkmcnt(0)
	v_mul_f32_e32 v8, v6, v8
	ds_write_b32 v4, v8
	v_add_nc_u32_e32 v4, 0x200, v4
	s_andn2_b32 exec_lo, exec_lo, s2
	s_cbranch_execnz .LBB293_411
.LBB293_412:
	s_or_b32 exec_lo, exec_lo, s1
	s_mul_i32 s1, s7, s26
	s_waitcnt lgkmcnt(0)
	s_mul_i32 s2, s1, s9
	s_mov_b32 s1, exec_lo
	s_barrier
	buffer_gl0_inv
	v_cmpx_eq_u32_e32 0, v0
	s_cbranch_execz .LBB293_414
; %bb.413:
	s_ashr_i32 s3, s2, 31
	s_mul_i32 s12, s7, s6
	s_lshl_b64 s[4:5], s[2:3], 2
	v_mov_b32_e32 v4, 0
	s_add_u32 s3, s22, s4
	s_addc_u32 s6, s23, s5
	s_ashr_i32 s13, s12, 31
	s_lshl_b64 s[12:13], s[12:13], 2
	s_add_u32 s3, s3, s12
	s_addc_u32 s6, s6, s13
	s_ashr_i32 s9, s8, 31
	s_lshl_b64 s[22:23], s[8:9], 2
	s_add_u32 s36, s3, s22
	s_addc_u32 s37, s6, s23
	s_add_u32 s3, s20, s4
	s_addc_u32 s4, s21, s5
	;; [unrolled: 2-line block ×4, first 2 shown]
	global_store_dword v4, v3, s[36:37]
	global_store_dword v4, v5, s[4:5]
.LBB293_414:
	s_or_b32 exec_lo, exec_lo, s1
	v_mov_b32_e32 v22, 0
	v_mov_b32_e32 v23, 0
	;; [unrolled: 1-line block ×6, first 2 shown]
	s_and_saveexec_b32 s1, s0
	s_cbranch_execz .LBB293_814
; %bb.415:
	v_and_b32_e32 v6, 8, v15
	v_lshlrev_b32_e32 v4, 5, v13
	v_and_b32_e32 v5, 0xf8, v15
	v_lshl_add_u32 v7, v14, 4, s33
	s_ashr_i32 s0, s18, 31
	s_add_u32 s4, s34, s18
	s_addc_u32 s0, s35, s0
	v_lshl_or_b32 v8, v14, 6, v4
	v_add_co_u32 v4, s4, s4, v5
	v_add3_u32 v15, v7, v6, 7
	v_lshlrev_b64 v[6:7], 2, v[1:2]
	v_add_co_ci_u32_e64 v5, null, s0, 0, s4
	s_lshl_b64 s[4:5], s[30:31], 2
	s_add_i32 s16, s16, -1
	s_add_u32 s0, s28, s4
	s_addc_u32 s4, s29, s5
	v_add_co_u32 v6, vcc_lo, s0, v6
	v_mov_b32_e32 v3, 0
	v_add_nc_u32_e32 v24, 0xe0, v8
	v_add_co_ci_u32_e64 v7, null, s4, v7, vcc_lo
	v_mov_b32_e32 v25, 0x80
	v_mov_b32_e32 v26, 0x7f
	;; [unrolled: 1-line block ×10, first 2 shown]
	s_mov_b32 s4, -1
	s_mov_b32 s3, s17
	s_mov_b32 s5, 0xffffff
	;; [unrolled: 1-line block ×3, first 2 shown]
	s_branch .LBB293_417
.LBB293_416:                            ;   in Loop: Header=BB293_417 Depth=1
	s_or_b32 exec_lo, exec_lo, s0
	v_add_f32_e32 v10, v10, v11
	v_add_f32_e32 v11, v46, v47
	;;#ASMSTART
	v_pk_mul_f16 v29, v41, v48;

	;;#ASMEND
	;;#ASMSTART
	v_pk_mul_f16 v9, v39, v9;

	;;#ASMEND
	;; [unrolled: 4-line block ×4, first 2 shown]
	v_add_f32_e32 v19, v19, v10
	;;#ASMSTART
	v_pk_add_f16 v9, v29, v9;

	;;#ASMEND
	;;#ASMSTART
	v_pk_add_f16 v8, v9, v8;

	;;#ASMEND
	;; [unrolled: 4-line block ×3, first 2 shown]
	v_and_b32_e32 v10, 0xffff, v2
	v_add_nc_u32_e32 v1, 4, v1
	v_add_f32_e32 v20, v20, v11
	v_lshrrev_b32_e32 v11, 16, v2
	;;#ASMSTART
	v_cvt_f32_f16 v10, v10;
	;;#ASMEND
	v_add_f32_e32 v2, v44, v45
	v_add_f32_e32 v8, v42, v43
	v_add_f32_e32 v9, v38, v40
	;;#ASMSTART
	v_cvt_f32_f16 v11, v11;
	;;#ASMEND
	v_add_f32_e32 v10, v10, v11
	v_cmp_le_i32_e32 vcc_lo, s11, v1
	v_add_co_u32 v6, s0, v6, 16
	v_add_f32_e32 v21, v21, v2
	v_add_f32_e32 v23, v23, v8
	;; [unrolled: 1-line block ×4, first 2 shown]
	v_add_nc_u32_e32 v15, 64, v15
	v_add_nc_u32_e32 v24, 0x100, v24
	v_add_co_ci_u32_e64 v7, null, 0, v7, s0
	s_or_b32 s6, vcc_lo, s6
	s_andn2_b32 exec_lo, exec_lo, s6
	s_cbranch_execz .LBB293_813
.LBB293_417:                            ; =>This Inner Loop Header: Depth=1
	global_load_dword v2, v[6:7], off
	ds_read2_b64 v[29:32], v24 offset1:1
	ds_read2_b64 v[41:44], v24 offset0:2 offset1:3
	s_waitcnt lgkmcnt(1)
	;;#ASMSTART
	v_cvt_f16_f32 v36, v29;

	;;#ASMEND
	;;#ASMSTART
	v_cvt_f16_f32 v37, v30;

	;;#ASMEND
	;; [unrolled: 4-line block ×4, first 2 shown]
	s_waitcnt lgkmcnt(0)
	;;#ASMSTART
	v_cvt_f16_f32 v41, v41;

	;;#ASMEND
	;;#ASMSTART
	v_cvt_f16_f32 v40, v42;

	;;#ASMEND
	;; [unrolled: 4-line block ×4, first 2 shown]
	v_mov_b32_e32 v31, 0
	s_waitcnt vmcnt(0)
	v_mad_i64_i32 v[8:9], null, v2, s3, v[4:5]
	global_load_dwordx2 v[10:11], v[8:9], off
	global_load_dword v30, v3, s[14:15]
	s_waitcnt vmcnt(1)
	v_cmp_ne_u16_sdwa s9, v10, v3 src0_sel:BYTE_0 src1_sel:DWORD
	s_and_saveexec_b32 s0, s9
	s_cbranch_execz .LBB293_425
; %bb.418:                              ;   in Loop: Header=BB293_417 Depth=1
	v_cmp_ne_u16_sdwa s12, v10, v25 src0_sel:BYTE_0 src1_sel:DWORD
	v_mov_b32_e32 v31, 0x8000
	s_and_saveexec_b32 s9, s12
	s_cbranch_execz .LBB293_424
; %bb.419:                              ;   in Loop: Header=BB293_417 Depth=1
	v_and_b32_e32 v32, 0x7f, v10
	v_mov_b32_e32 v31, 0x7c01
	s_mov_b32 s12, exec_lo
	v_cmpx_ne_u32_e32 0x7f, v32
	s_cbranch_execz .LBB293_423
; %bb.420:                              ;   in Loop: Header=BB293_417 Depth=1
	v_and_b32_e32 v2, 7, v10
	v_lshrrev_b32_e32 v29, 3, v32
	s_mov_b32 s13, exec_lo
	v_cmpx_gt_u32_e32 8, v32
; %bb.421:                              ;   in Loop: Header=BB293_417 Depth=1
	v_ffbh_u32_e32 v2, v2
	v_min_u32_e32 v2, 32, v2
	v_subrev_nc_u32_e32 v29, 28, v2
	v_lshlrev_b64 v[31:32], v29, v[10:11]
	v_sub_nc_u32_e32 v29, 29, v2
	v_and_b32_e32 v2, 7, v31
; %bb.422:                              ;   in Loop: Header=BB293_417 Depth=1
	s_or_b32 exec_lo, exec_lo, s13
	v_lshlrev_b32_e32 v31, 8, v10
	v_lshl_add_u32 v29, v29, 10, 0x2000
	v_lshlrev_b32_e32 v2, 7, v2
	v_and_b32_e32 v31, 0x8000, v31
	v_and_b32_e32 v29, 0xfc00, v29
	v_or3_b32 v31, v31, v29, v2
.LBB293_423:                            ;   in Loop: Header=BB293_417 Depth=1
	s_or_b32 exec_lo, exec_lo, s12
.LBB293_424:                            ;   in Loop: Header=BB293_417 Depth=1
	s_or_b32 exec_lo, exec_lo, s9
.LBB293_425:                            ;   in Loop: Header=BB293_417 Depth=1
	s_or_b32 exec_lo, exec_lo, s0
	v_lshrrev_b16 v2, 8, v10
	v_mov_b32_e32 v29, 0
	v_mov_b32_e32 v32, 0
	s_mov_b32 s0, exec_lo
	v_cmpx_ne_u16_e32 0, v2
	s_cbranch_execz .LBB293_433
; %bb.426:                              ;   in Loop: Header=BB293_417 Depth=1
	v_bfrev_b32_e32 v32, 1
	s_mov_b32 s9, exec_lo
	v_cmpx_ne_u16_e32 0x80, v2
	s_cbranch_execz .LBB293_432
; %bb.427:                              ;   in Loop: Header=BB293_417 Depth=1
	v_and_b32_sdwa v34, v2, v26 dst_sel:DWORD dst_unused:UNUSED_PAD src0_sel:WORD_0 src1_sel:DWORD
	v_mov_b32_e32 v32, 0x7c010000
	s_mov_b32 s12, exec_lo
	v_cmpx_ne_u32_e32 0x7f, v34
	s_cbranch_execz .LBB293_431
; %bb.428:                              ;   in Loop: Header=BB293_417 Depth=1
	v_and_b32_sdwa v32, v2, v27 dst_sel:DWORD dst_unused:UNUSED_PAD src0_sel:WORD_0 src1_sel:DWORD
	v_lshrrev_b32_e32 v33, 3, v34
	s_mov_b32 s13, exec_lo
	v_cmpx_gt_u32_e32 8, v34
; %bb.429:                              ;   in Loop: Header=BB293_417 Depth=1
	v_ffbh_u32_e32 v32, v32
	v_min_u32_e32 v34, 32, v32
	v_subrev_nc_u32_e32 v32, 28, v34
	v_lshlrev_b64 v[32:33], v32, v[2:3]
	v_sub_nc_u32_e32 v33, 29, v34
	v_and_b32_e32 v32, 7, v32
; %bb.430:                              ;   in Loop: Header=BB293_417 Depth=1
	s_or_b32 exec_lo, exec_lo, s13
	v_lshlrev_b32_sdwa v2, v28, v2 dst_sel:DWORD dst_unused:UNUSED_PAD src0_sel:DWORD src1_sel:WORD_0
	v_lshl_add_u32 v33, v33, 10, 0x2000
	v_lshlrev_b32_e32 v32, 23, v32
	v_and_or_b32 v2, 0x8000, v2, v33
	v_lshl_or_b32 v32, v2, 16, v32
.LBB293_431:                            ;   in Loop: Header=BB293_417 Depth=1
	s_or_b32 exec_lo, exec_lo, s12
.LBB293_432:                            ;   in Loop: Header=BB293_417 Depth=1
	s_or_b32 exec_lo, exec_lo, s9
.LBB293_433:                            ;   in Loop: Header=BB293_417 Depth=1
	s_or_b32 exec_lo, exec_lo, s0
	v_lshrrev_b32_e32 v2, 16, v10
	v_cmp_ne_u16_sdwa s9, v2, v3 src0_sel:BYTE_0 src1_sel:DWORD
	s_and_saveexec_b32 s0, s9
	s_cbranch_execz .LBB293_441
; %bb.434:                              ;   in Loop: Header=BB293_417 Depth=1
	v_cmp_ne_u16_sdwa s12, v2, v25 src0_sel:BYTE_0 src1_sel:DWORD
	v_mov_b32_e32 v29, 0x8000
	s_and_saveexec_b32 s9, s12
	s_cbranch_execz .LBB293_440
; %bb.435:                              ;   in Loop: Header=BB293_417 Depth=1
	v_bfe_u32 v34, v10, 16, 7
	v_mov_b32_e32 v29, 0x7c01
	s_mov_b32 s12, exec_lo
	v_cmpx_ne_u32_e32 0x7f, v34
	s_cbranch_execz .LBB293_439
; %bb.436:                              ;   in Loop: Header=BB293_417 Depth=1
	v_and_b32_e32 v29, 7, v2
	v_lshrrev_b32_e32 v33, 3, v34
	s_mov_b32 s13, exec_lo
	v_cmpx_gt_u32_e32 8, v34
; %bb.437:                              ;   in Loop: Header=BB293_417 Depth=1
	v_ffbh_u32_e32 v29, v29
	v_min_u32_e32 v29, 32, v29
	v_subrev_nc_u32_e32 v33, 28, v29
	v_lshlrev_b64 v[34:35], v33, v[2:3]
	v_sub_nc_u32_e32 v33, 29, v29
	v_and_b32_e32 v29, 7, v34
; %bb.438:                              ;   in Loop: Header=BB293_417 Depth=1
	s_or_b32 exec_lo, exec_lo, s13
	v_lshlrev_b32_e32 v2, 8, v2
	v_lshl_add_u32 v33, v33, 10, 0x2000
	v_lshlrev_b32_e32 v29, 7, v29
	v_and_b32_e32 v2, 0x8000, v2
	v_and_b32_e32 v33, 0xfc00, v33
	v_or3_b32 v29, v2, v33, v29
.LBB293_439:                            ;   in Loop: Header=BB293_417 Depth=1
	s_or_b32 exec_lo, exec_lo, s12
.LBB293_440:                            ;   in Loop: Header=BB293_417 Depth=1
	s_or_b32 exec_lo, exec_lo, s9
.LBB293_441:                            ;   in Loop: Header=BB293_417 Depth=1
	s_or_b32 exec_lo, exec_lo, s0
	v_mov_b32_e32 v33, 0
	v_mov_b32_e32 v34, 0
	s_mov_b32 s0, exec_lo
	v_cmpx_lt_u32_e32 0xffffff, v10
	s_cbranch_execz .LBB293_449
; %bb.442:                              ;   in Loop: Header=BB293_417 Depth=1
	v_lshrrev_b32_e32 v2, 24, v10
	v_bfrev_b32_e32 v34, 1
	s_mov_b32 s9, exec_lo
	v_cmpx_ne_u32_e32 0x80, v2
	s_cbranch_execz .LBB293_448
; %bb.443:                              ;   in Loop: Header=BB293_417 Depth=1
	v_and_b32_e32 v44, 0x7f, v2
	v_mov_b32_e32 v34, 0x7c010000
	s_mov_b32 s12, exec_lo
	v_cmpx_ne_u32_e32 0x7f, v44
	s_cbranch_execz .LBB293_447
; %bb.444:                              ;   in Loop: Header=BB293_417 Depth=1
	v_and_b32_e32 v34, 7, v2
	v_lshrrev_b32_e32 v35, 3, v44
	s_mov_b32 s13, exec_lo
	v_cmpx_gt_u32_e32 8, v44
; %bb.445:                              ;   in Loop: Header=BB293_417 Depth=1
	v_ffbh_u32_e32 v34, v34
	v_min_u32_e32 v44, 32, v34
	v_subrev_nc_u32_e32 v34, 28, v44
	v_lshlrev_b64 v[34:35], v34, v[2:3]
	v_sub_nc_u32_e32 v35, 29, v44
	v_and_b32_e32 v34, 7, v34
; %bb.446:                              ;   in Loop: Header=BB293_417 Depth=1
	s_or_b32 exec_lo, exec_lo, s13
	v_lshlrev_b32_e32 v2, 8, v2
	v_lshl_add_u32 v35, v35, 10, 0x2000
	v_lshlrev_b32_e32 v34, 23, v34
	v_and_or_b32 v2, 0x8000, v2, v35
	v_lshl_or_b32 v34, v2, 16, v34
.LBB293_447:                            ;   in Loop: Header=BB293_417 Depth=1
	s_or_b32 exec_lo, exec_lo, s12
.LBB293_448:                            ;   in Loop: Header=BB293_417 Depth=1
	s_or_b32 exec_lo, exec_lo, s9
.LBB293_449:                            ;   in Loop: Header=BB293_417 Depth=1
	s_or_b32 exec_lo, exec_lo, s0
	v_mov_b32_e32 v2, v11
	v_cmp_ne_u16_sdwa s9, v11, v3 src0_sel:BYTE_0 src1_sel:DWORD
	s_and_saveexec_b32 s0, s9
	s_cbranch_execz .LBB293_457
; %bb.450:                              ;   in Loop: Header=BB293_417 Depth=1
	v_cmp_ne_u16_sdwa s12, v11, v25 src0_sel:BYTE_0 src1_sel:DWORD
	v_mov_b32_e32 v33, 0x8000
	s_and_saveexec_b32 s9, s12
	s_cbranch_execz .LBB293_456
; %bb.451:                              ;   in Loop: Header=BB293_417 Depth=1
	v_and_b32_e32 v44, 0x7f, v11
	v_mov_b32_e32 v33, 0x7c01
	s_mov_b32 s12, exec_lo
	v_cmpx_ne_u32_e32 0x7f, v44
	s_cbranch_execz .LBB293_455
; %bb.452:                              ;   in Loop: Header=BB293_417 Depth=1
	v_and_b32_e32 v33, 7, v11
	v_lshrrev_b32_e32 v35, 3, v44
	s_mov_b32 s13, exec_lo
	v_cmpx_gt_u32_e32 8, v44
; %bb.453:                              ;   in Loop: Header=BB293_417 Depth=1
	v_ffbh_u32_e32 v33, v33
	v_min_u32_e32 v33, 32, v33
	v_subrev_nc_u32_e32 v35, 28, v33
	v_lshlrev_b64 v[44:45], v35, v[2:3]
	v_sub_nc_u32_e32 v35, 29, v33
	v_and_b32_e32 v33, 7, v44
; %bb.454:                              ;   in Loop: Header=BB293_417 Depth=1
	s_or_b32 exec_lo, exec_lo, s13
	v_lshlrev_b32_e32 v44, 8, v11
	v_lshl_add_u32 v35, v35, 10, 0x2000
	v_lshlrev_b32_e32 v33, 7, v33
	v_and_b32_e32 v44, 0x8000, v44
	v_and_b32_e32 v35, 0xfc00, v35
	v_or3_b32 v33, v44, v35, v33
.LBB293_455:                            ;   in Loop: Header=BB293_417 Depth=1
	s_or_b32 exec_lo, exec_lo, s12
.LBB293_456:                            ;   in Loop: Header=BB293_417 Depth=1
	s_or_b32 exec_lo, exec_lo, s9
.LBB293_457:                            ;   in Loop: Header=BB293_417 Depth=1
	s_or_b32 exec_lo, exec_lo, s0
	v_lshrrev_b16 v2, 8, v2
	v_mov_b32_e32 v44, 0
	v_mov_b32_e32 v35, 0
	s_mov_b32 s0, exec_lo
	v_cmpx_ne_u16_e32 0, v2
	s_cbranch_execz .LBB293_465
; %bb.458:                              ;   in Loop: Header=BB293_417 Depth=1
	v_bfrev_b32_e32 v35, 1
	s_mov_b32 s9, exec_lo
	v_cmpx_ne_u16_e32 0x80, v2
	s_cbranch_execz .LBB293_464
; %bb.459:                              ;   in Loop: Header=BB293_417 Depth=1
	v_and_b32_sdwa v46, v2, v26 dst_sel:DWORD dst_unused:UNUSED_PAD src0_sel:WORD_0 src1_sel:DWORD
	v_mov_b32_e32 v35, 0x7c010000
	s_mov_b32 s12, exec_lo
	v_cmpx_ne_u32_e32 0x7f, v46
	s_cbranch_execz .LBB293_463
; %bb.460:                              ;   in Loop: Header=BB293_417 Depth=1
	v_and_b32_sdwa v35, v2, v27 dst_sel:DWORD dst_unused:UNUSED_PAD src0_sel:WORD_0 src1_sel:DWORD
	v_lshrrev_b32_e32 v45, 3, v46
	s_mov_b32 s13, exec_lo
	v_cmpx_gt_u32_e32 8, v46
; %bb.461:                              ;   in Loop: Header=BB293_417 Depth=1
	v_ffbh_u32_e32 v35, v35
	v_min_u32_e32 v35, 32, v35
	v_subrev_nc_u32_e32 v45, 28, v35
	v_lshlrev_b64 v[46:47], v45, v[2:3]
	v_sub_nc_u32_e32 v45, 29, v35
	v_and_b32_e32 v35, 7, v46
; %bb.462:                              ;   in Loop: Header=BB293_417 Depth=1
	s_or_b32 exec_lo, exec_lo, s13
	v_lshlrev_b32_sdwa v2, v28, v2 dst_sel:DWORD dst_unused:UNUSED_PAD src0_sel:DWORD src1_sel:WORD_0
	v_lshl_add_u32 v45, v45, 10, 0x2000
	v_lshlrev_b32_e32 v35, 23, v35
	v_and_or_b32 v2, 0x8000, v2, v45
	v_lshl_or_b32 v35, v2, 16, v35
.LBB293_463:                            ;   in Loop: Header=BB293_417 Depth=1
	s_or_b32 exec_lo, exec_lo, s12
.LBB293_464:                            ;   in Loop: Header=BB293_417 Depth=1
	s_or_b32 exec_lo, exec_lo, s9
.LBB293_465:                            ;   in Loop: Header=BB293_417 Depth=1
	s_or_b32 exec_lo, exec_lo, s0
	v_lshrrev_b32_e32 v2, 16, v11
	v_cmp_ne_u16_sdwa s9, v2, v3 src0_sel:BYTE_0 src1_sel:DWORD
	s_and_saveexec_b32 s0, s9
	s_cbranch_execz .LBB293_473
; %bb.466:                              ;   in Loop: Header=BB293_417 Depth=1
	v_cmp_ne_u16_sdwa s12, v2, v25 src0_sel:BYTE_0 src1_sel:DWORD
	v_mov_b32_e32 v44, 0x8000
	s_and_saveexec_b32 s9, s12
	s_cbranch_execz .LBB293_472
; %bb.467:                              ;   in Loop: Header=BB293_417 Depth=1
	v_bfe_u32 v46, v11, 16, 7
	v_mov_b32_e32 v44, 0x7c01
	s_mov_b32 s12, exec_lo
	v_cmpx_ne_u32_e32 0x7f, v46
	s_cbranch_execz .LBB293_471
; %bb.468:                              ;   in Loop: Header=BB293_417 Depth=1
	v_and_b32_e32 v44, 7, v2
	v_lshrrev_b32_e32 v45, 3, v46
	s_mov_b32 s13, exec_lo
	v_cmpx_gt_u32_e32 8, v46
; %bb.469:                              ;   in Loop: Header=BB293_417 Depth=1
	v_ffbh_u32_e32 v44, v44
	v_min_u32_e32 v46, 32, v44
	v_subrev_nc_u32_e32 v44, 28, v46
	v_lshlrev_b64 v[44:45], v44, v[2:3]
	v_sub_nc_u32_e32 v45, 29, v46
	v_and_b32_e32 v44, 7, v44
; %bb.470:                              ;   in Loop: Header=BB293_417 Depth=1
	s_or_b32 exec_lo, exec_lo, s13
	v_lshlrev_b32_e32 v2, 8, v2
	v_lshl_add_u32 v45, v45, 10, 0x2000
	v_lshlrev_b32_e32 v44, 7, v44
	v_and_b32_e32 v2, 0x8000, v2
	v_and_b32_e32 v45, 0xfc00, v45
	v_or3_b32 v44, v2, v45, v44
.LBB293_471:                            ;   in Loop: Header=BB293_417 Depth=1
	s_or_b32 exec_lo, exec_lo, s12
.LBB293_472:                            ;   in Loop: Header=BB293_417 Depth=1
	s_or_b32 exec_lo, exec_lo, s9
.LBB293_473:                            ;   in Loop: Header=BB293_417 Depth=1
	s_or_b32 exec_lo, exec_lo, s0
	v_cmp_lt_u64_e32 vcc_lo, s[4:5], v[10:11]
	v_mov_b32_e32 v10, 0
	s_and_saveexec_b32 s0, vcc_lo
	s_cbranch_execz .LBB293_481
; %bb.474:                              ;   in Loop: Header=BB293_417 Depth=1
	v_lshrrev_b32_e32 v2, 24, v11
	v_bfrev_b32_e32 v10, 1
	s_mov_b32 s9, exec_lo
	v_cmpx_ne_u32_e32 0x80, v2
	s_cbranch_execz .LBB293_480
; %bb.475:                              ;   in Loop: Header=BB293_417 Depth=1
	v_and_b32_e32 v45, 0x7f, v2
	v_mov_b32_e32 v10, 0x7c010000
	s_mov_b32 s12, exec_lo
	v_cmpx_ne_u32_e32 0x7f, v45
	s_cbranch_execz .LBB293_479
; %bb.476:                              ;   in Loop: Header=BB293_417 Depth=1
	v_and_b32_e32 v10, 7, v2
	v_lshrrev_b32_e32 v11, 3, v45
	s_mov_b32 s13, exec_lo
	v_cmpx_gt_u32_e32 8, v45
; %bb.477:                              ;   in Loop: Header=BB293_417 Depth=1
	v_ffbh_u32_e32 v10, v10
	v_min_u32_e32 v45, 32, v10
	v_subrev_nc_u32_e32 v10, 28, v45
	v_lshlrev_b64 v[10:11], v10, v[2:3]
	v_sub_nc_u32_e32 v11, 29, v45
	v_and_b32_e32 v10, 7, v10
; %bb.478:                              ;   in Loop: Header=BB293_417 Depth=1
	s_or_b32 exec_lo, exec_lo, s13
	v_lshlrev_b32_e32 v2, 8, v2
	v_lshl_add_u32 v11, v11, 10, 0x2000
	v_lshlrev_b32_e32 v10, 23, v10
	v_and_or_b32 v2, 0x8000, v2, v11
	v_lshl_or_b32 v10, v2, 16, v10
.LBB293_479:                            ;   in Loop: Header=BB293_417 Depth=1
	s_or_b32 exec_lo, exec_lo, s12
.LBB293_480:                            ;   in Loop: Header=BB293_417 Depth=1
	s_or_b32 exec_lo, exec_lo, s9
.LBB293_481:                            ;   in Loop: Header=BB293_417 Depth=1
	s_or_b32 exec_lo, exec_lo, s0
	v_or_b32_e32 v2, v34, v29
	s_waitcnt vmcnt(0)
	v_fma_mixlo_f16 v11, v30, v34, 0 op_sel:[0,1,0] op_sel_hi:[0,1,0]
	v_or_b32_e32 v31, v32, v31
	v_fma_mixlo_f16 v32, v30, v32, 0 op_sel:[0,1,0] op_sel_hi:[0,1,0]
	v_or_b32_e32 v33, v35, v33
	v_fma_mixlo_f16 v2, v30, v2, 0 op_sel_hi:[0,1,0]
	v_or_b32_e32 v34, v10, v44
	v_fma_mixlo_f16 v10, v30, v10, 0 op_sel:[0,1,0] op_sel_hi:[0,1,0]
	v_lshlrev_b32_e32 v50, 16, v32
	v_fma_mixlo_f16 v32, v30, v33, 0 op_sel_hi:[0,1,0]
	v_and_b32_e32 v47, 0xffff, v2
	v_fma_mixlo_f16 v2, v30, v31, 0 op_sel_hi:[0,1,0]
	v_fma_mixlo_f16 v31, v30, v35, 0 op_sel:[0,1,0] op_sel_hi:[0,1,0]
	v_fma_mixlo_f16 v30, v30, v34, 0 op_sel_hi:[0,1,0]
	v_lshlrev_b32_e32 v11, 16, v11
	v_and_b32_e32 v51, 0xffff, v32
	v_and_b32_e32 v52, 0xffff, v2
	v_lshlrev_b32_e32 v48, 16, v31
	v_lshlrev_b32_e32 v45, 16, v10
	v_and_b32_e32 v49, 0xffff, v30
	v_add_nc_u32_e32 v29, -7, v15
	v_cmp_eq_u32_e32 vcc_lo, s16, v1
	v_or_b32_e32 v2, v11, v47
	v_or_b32_e32 v10, v50, v52
	;; [unrolled: 1-line block ×4, first 2 shown]
	v_add_nc_u32_e32 v35, -6, v15
	v_add_nc_u32_e32 v34, -5, v15
	;; [unrolled: 1-line block ×6, first 2 shown]
	s_and_saveexec_b32 s9, vcc_lo
	s_cbranch_execz .LBB293_483
; %bb.482:                              ;   in Loop: Header=BB293_417 Depth=1
	v_cmp_gt_i32_e64 s0, s27, v29
	v_cndmask_b32_e64 v2, 0, v52, s0
	v_cmp_gt_i32_e64 s0, s27, v35
	v_cndmask_b32_e64 v10, 0, v50, s0
	v_cmp_gt_i32_e64 s0, s27, v34
	v_or_b32_e32 v10, v10, v2
	v_cndmask_b32_e64 v44, 0, v47, s0
	v_cmp_gt_i32_e64 s0, s27, v33
	v_cndmask_b32_e64 v11, 0, v11, s0
	v_cmp_gt_i32_e64 s0, s27, v32
	v_or_b32_e32 v2, v11, v44
	;; [unrolled: 5-line block ×3, first 2 shown]
	v_cndmask_b32_e64 v48, 0, v49, s0
	v_cmp_gt_i32_e64 s0, s27, v15
	v_cndmask_b32_e64 v45, 0, v45, s0
	v_or_b32_e32 v46, v45, v48
.LBB293_483:                            ;   in Loop: Header=BB293_417 Depth=1
	s_or_b32 exec_lo, exec_lo, s9
	v_and_b32_e32 v11, 0xffff, v36
	v_and_b32_e32 v36, 0xffff, v39
	;; [unrolled: 1-line block ×4, first 2 shown]
	v_lshl_or_b32 v41, v37, 16, v11
	v_lshl_or_b32 v39, v38, 16, v36
	;;#ASMSTART
	v_pk_mul_f16 v10, v41, v10;

	;;#ASMEND
	;;#ASMSTART
	v_pk_mul_f16 v2, v39, v2;

	;;#ASMEND
	v_lshl_or_b32 v37, v40, 16, v45
	v_lshl_or_b32 v36, v42, 16, v43
	;;#ASMSTART
	v_pk_mul_f16 v11, v37, v44;

	;;#ASMEND
	;;#ASMSTART
	v_pk_mul_f16 v38, v36, v46;

	;;#ASMEND
	;;#ASMSTART
	v_pk_add_f16 v2, v10, v2;

	;;#ASMEND
	;;#ASMSTART
	v_pk_add_f16 v2, v2, v11;
	;; [unrolled: 4-line block ×3, first 2 shown]

	;;#ASMEND
	v_and_b32_e32 v10, 0xffff, v2
	v_lshrrev_b32_e32 v2, 16, v2
	;;#ASMSTART
	v_cvt_f32_f16 v38, v10;
	;;#ASMEND
	;;#ASMSTART
	v_cvt_f32_f16 v40, v2;
	;;#ASMEND
	global_load_dwordx2 v[10:11], v[8:9], off offset:256
	v_mov_b32_e32 v43, 0
	v_mov_b32_e32 v44, 0
	global_load_dword v42, v43, s[14:15]
	s_waitcnt vmcnt(1)
	v_cmp_ne_u16_sdwa s0, v10, v3 src0_sel:BYTE_0 src1_sel:DWORD
	s_and_saveexec_b32 s9, s0
	s_cbranch_execz .LBB293_491
; %bb.484:                              ;   in Loop: Header=BB293_417 Depth=1
	v_cmp_ne_u16_sdwa s0, v10, v25 src0_sel:BYTE_0 src1_sel:DWORD
	v_mov_b32_e32 v44, 0x8000
	s_and_saveexec_b32 s12, s0
	s_cbranch_execz .LBB293_490
; %bb.485:                              ;   in Loop: Header=BB293_417 Depth=1
	v_and_b32_e32 v45, 0x7f, v10
	v_mov_b32_e32 v44, 0x7c01
	s_mov_b32 s13, exec_lo
	v_cmpx_ne_u32_e32 0x7f, v45
	s_cbranch_execz .LBB293_489
; %bb.486:                              ;   in Loop: Header=BB293_417 Depth=1
	v_and_b32_e32 v2, 7, v10
	v_lshrrev_b32_e32 v44, 3, v45
	s_mov_b32 s17, exec_lo
	v_cmpx_gt_u32_e32 8, v45
; %bb.487:                              ;   in Loop: Header=BB293_417 Depth=1
	v_ffbh_u32_e32 v2, v2
	v_min_u32_e32 v2, 32, v2
	v_subrev_nc_u32_e32 v44, 28, v2
	v_lshlrev_b64 v[45:46], v44, v[10:11]
	v_sub_nc_u32_e32 v44, 29, v2
	v_and_b32_e32 v2, 7, v45
; %bb.488:                              ;   in Loop: Header=BB293_417 Depth=1
	s_or_b32 exec_lo, exec_lo, s17
	v_lshlrev_b32_e32 v45, 8, v10
	v_lshl_add_u32 v44, v44, 10, 0x2000
	v_lshlrev_b32_e32 v2, 7, v2
	v_and_b32_e32 v45, 0x8000, v45
	v_and_b32_e32 v44, 0xfc00, v44
	v_or3_b32 v44, v45, v44, v2
.LBB293_489:                            ;   in Loop: Header=BB293_417 Depth=1
	s_or_b32 exec_lo, exec_lo, s13
.LBB293_490:                            ;   in Loop: Header=BB293_417 Depth=1
	s_or_b32 exec_lo, exec_lo, s12
.LBB293_491:                            ;   in Loop: Header=BB293_417 Depth=1
	s_or_b32 exec_lo, exec_lo, s9
	v_lshrrev_b16 v2, 8, v10
	s_mov_b32 s9, exec_lo
	v_cmpx_ne_u16_e32 0, v2
	s_cbranch_execz .LBB293_499
; %bb.492:                              ;   in Loop: Header=BB293_417 Depth=1
	v_bfrev_b32_e32 v43, 1
	s_mov_b32 s12, exec_lo
	v_cmpx_ne_u16_e32 0x80, v2
	s_cbranch_execz .LBB293_498
; %bb.493:                              ;   in Loop: Header=BB293_417 Depth=1
	v_and_b32_sdwa v46, v2, v26 dst_sel:DWORD dst_unused:UNUSED_PAD src0_sel:WORD_0 src1_sel:DWORD
	v_mov_b32_e32 v43, 0x7c010000
	s_mov_b32 s13, exec_lo
	v_cmpx_ne_u32_e32 0x7f, v46
	s_cbranch_execz .LBB293_497
; %bb.494:                              ;   in Loop: Header=BB293_417 Depth=1
	v_and_b32_sdwa v43, v2, v27 dst_sel:DWORD dst_unused:UNUSED_PAD src0_sel:WORD_0 src1_sel:DWORD
	v_lshrrev_b32_e32 v45, 3, v46
	s_mov_b32 s17, exec_lo
	v_cmpx_gt_u32_e32 8, v46
; %bb.495:                              ;   in Loop: Header=BB293_417 Depth=1
	v_ffbh_u32_e32 v43, v43
	v_min_u32_e32 v43, 32, v43
	v_subrev_nc_u32_e32 v45, 28, v43
	v_lshlrev_b64 v[46:47], v45, v[2:3]
	v_sub_nc_u32_e32 v45, 29, v43
	v_and_b32_e32 v43, 7, v46
; %bb.496:                              ;   in Loop: Header=BB293_417 Depth=1
	s_or_b32 exec_lo, exec_lo, s17
	v_lshlrev_b32_sdwa v2, v28, v2 dst_sel:DWORD dst_unused:UNUSED_PAD src0_sel:DWORD src1_sel:WORD_0
	v_lshl_add_u32 v45, v45, 10, 0x2000
	v_lshlrev_b32_e32 v43, 23, v43
	v_and_or_b32 v2, 0x8000, v2, v45
	v_lshl_or_b32 v43, v2, 16, v43
.LBB293_497:                            ;   in Loop: Header=BB293_417 Depth=1
	s_or_b32 exec_lo, exec_lo, s13
.LBB293_498:                            ;   in Loop: Header=BB293_417 Depth=1
	s_or_b32 exec_lo, exec_lo, s12
.LBB293_499:                            ;   in Loop: Header=BB293_417 Depth=1
	s_or_b32 exec_lo, exec_lo, s9
	v_lshrrev_b32_e32 v2, 16, v10
	v_mov_b32_e32 v45, 0
	v_mov_b32_e32 v46, 0
	v_cmp_ne_u16_sdwa s0, v2, v3 src0_sel:BYTE_0 src1_sel:DWORD
	s_and_saveexec_b32 s9, s0
	s_cbranch_execz .LBB293_507
; %bb.500:                              ;   in Loop: Header=BB293_417 Depth=1
	v_cmp_ne_u16_sdwa s0, v2, v25 src0_sel:BYTE_0 src1_sel:DWORD
	v_mov_b32_e32 v46, 0x8000
	s_and_saveexec_b32 s12, s0
	s_cbranch_execz .LBB293_506
; %bb.501:                              ;   in Loop: Header=BB293_417 Depth=1
	v_bfe_u32 v48, v10, 16, 7
	v_mov_b32_e32 v46, 0x7c01
	s_mov_b32 s13, exec_lo
	v_cmpx_ne_u32_e32 0x7f, v48
	s_cbranch_execz .LBB293_505
; %bb.502:                              ;   in Loop: Header=BB293_417 Depth=1
	v_and_b32_e32 v46, 7, v2
	v_lshrrev_b32_e32 v47, 3, v48
	s_mov_b32 s17, exec_lo
	v_cmpx_gt_u32_e32 8, v48
; %bb.503:                              ;   in Loop: Header=BB293_417 Depth=1
	v_ffbh_u32_e32 v46, v46
	v_min_u32_e32 v48, 32, v46
	v_subrev_nc_u32_e32 v46, 28, v48
	v_lshlrev_b64 v[46:47], v46, v[2:3]
	v_sub_nc_u32_e32 v47, 29, v48
	v_and_b32_e32 v46, 7, v46
; %bb.504:                              ;   in Loop: Header=BB293_417 Depth=1
	s_or_b32 exec_lo, exec_lo, s17
	v_lshlrev_b32_e32 v2, 8, v2
	v_lshl_add_u32 v47, v47, 10, 0x2000
	v_lshlrev_b32_e32 v46, 7, v46
	v_and_b32_e32 v2, 0x8000, v2
	v_and_b32_e32 v47, 0xfc00, v47
	v_or3_b32 v46, v2, v47, v46
.LBB293_505:                            ;   in Loop: Header=BB293_417 Depth=1
	s_or_b32 exec_lo, exec_lo, s13
.LBB293_506:                            ;   in Loop: Header=BB293_417 Depth=1
	s_or_b32 exec_lo, exec_lo, s12
.LBB293_507:                            ;   in Loop: Header=BB293_417 Depth=1
	s_or_b32 exec_lo, exec_lo, s9
	s_mov_b32 s9, exec_lo
	v_cmpx_lt_u32_e32 0xffffff, v10
	s_cbranch_execz .LBB293_515
; %bb.508:                              ;   in Loop: Header=BB293_417 Depth=1
	v_lshrrev_b32_e32 v2, 24, v10
	v_bfrev_b32_e32 v45, 1
	s_mov_b32 s12, exec_lo
	v_cmpx_ne_u32_e32 0x80, v2
	s_cbranch_execz .LBB293_514
; %bb.509:                              ;   in Loop: Header=BB293_417 Depth=1
	v_and_b32_e32 v48, 0x7f, v2
	v_mov_b32_e32 v45, 0x7c010000
	s_mov_b32 s13, exec_lo
	v_cmpx_ne_u32_e32 0x7f, v48
	s_cbranch_execz .LBB293_513
; %bb.510:                              ;   in Loop: Header=BB293_417 Depth=1
	v_and_b32_e32 v45, 7, v2
	v_lshrrev_b32_e32 v47, 3, v48
	s_mov_b32 s17, exec_lo
	v_cmpx_gt_u32_e32 8, v48
; %bb.511:                              ;   in Loop: Header=BB293_417 Depth=1
	v_ffbh_u32_e32 v45, v45
	v_min_u32_e32 v45, 32, v45
	v_subrev_nc_u32_e32 v47, 28, v45
	v_lshlrev_b64 v[48:49], v47, v[2:3]
	v_sub_nc_u32_e32 v47, 29, v45
	v_and_b32_e32 v45, 7, v48
; %bb.512:                              ;   in Loop: Header=BB293_417 Depth=1
	s_or_b32 exec_lo, exec_lo, s17
	v_lshlrev_b32_e32 v2, 8, v2
	v_lshl_add_u32 v47, v47, 10, 0x2000
	v_lshlrev_b32_e32 v45, 23, v45
	v_and_or_b32 v2, 0x8000, v2, v47
	v_lshl_or_b32 v45, v2, 16, v45
.LBB293_513:                            ;   in Loop: Header=BB293_417 Depth=1
	s_or_b32 exec_lo, exec_lo, s13
.LBB293_514:                            ;   in Loop: Header=BB293_417 Depth=1
	s_or_b32 exec_lo, exec_lo, s12
.LBB293_515:                            ;   in Loop: Header=BB293_417 Depth=1
	s_or_b32 exec_lo, exec_lo, s9
	v_mov_b32_e32 v2, v11
	v_cmp_ne_u16_sdwa s0, v11, v3 src0_sel:BYTE_0 src1_sel:DWORD
	v_mov_b32_e32 v47, 0
	v_mov_b32_e32 v48, 0
	s_and_saveexec_b32 s9, s0
	s_cbranch_execz .LBB293_523
; %bb.516:                              ;   in Loop: Header=BB293_417 Depth=1
	v_cmp_ne_u16_sdwa s0, v11, v25 src0_sel:BYTE_0 src1_sel:DWORD
	v_mov_b32_e32 v48, 0x8000
	s_and_saveexec_b32 s12, s0
	s_cbranch_execz .LBB293_522
; %bb.517:                              ;   in Loop: Header=BB293_417 Depth=1
	v_and_b32_e32 v50, 0x7f, v11
	v_mov_b32_e32 v48, 0x7c01
	s_mov_b32 s13, exec_lo
	v_cmpx_ne_u32_e32 0x7f, v50
	s_cbranch_execz .LBB293_521
; %bb.518:                              ;   in Loop: Header=BB293_417 Depth=1
	v_and_b32_e32 v48, 7, v11
	v_lshrrev_b32_e32 v49, 3, v50
	s_mov_b32 s17, exec_lo
	v_cmpx_gt_u32_e32 8, v50
; %bb.519:                              ;   in Loop: Header=BB293_417 Depth=1
	v_ffbh_u32_e32 v48, v48
	v_min_u32_e32 v50, 32, v48
	v_subrev_nc_u32_e32 v48, 28, v50
	v_lshlrev_b64 v[48:49], v48, v[2:3]
	v_sub_nc_u32_e32 v49, 29, v50
	v_and_b32_e32 v48, 7, v48
; %bb.520:                              ;   in Loop: Header=BB293_417 Depth=1
	s_or_b32 exec_lo, exec_lo, s17
	v_lshlrev_b32_e32 v50, 8, v11
	v_lshl_add_u32 v49, v49, 10, 0x2000
	v_lshlrev_b32_e32 v48, 7, v48
	v_and_b32_e32 v50, 0x8000, v50
	v_and_b32_e32 v49, 0xfc00, v49
	v_or3_b32 v48, v50, v49, v48
.LBB293_521:                            ;   in Loop: Header=BB293_417 Depth=1
	s_or_b32 exec_lo, exec_lo, s13
.LBB293_522:                            ;   in Loop: Header=BB293_417 Depth=1
	s_or_b32 exec_lo, exec_lo, s12
.LBB293_523:                            ;   in Loop: Header=BB293_417 Depth=1
	s_or_b32 exec_lo, exec_lo, s9
	v_lshrrev_b16 v2, 8, v2
	v_mov_b32_e32 v49, 0
	s_mov_b32 s9, exec_lo
	v_cmpx_ne_u16_e32 0, v2
	s_cbranch_execz .LBB293_531
; %bb.524:                              ;   in Loop: Header=BB293_417 Depth=1
	v_bfrev_b32_e32 v49, 1
	s_mov_b32 s12, exec_lo
	v_cmpx_ne_u16_e32 0x80, v2
	s_cbranch_execz .LBB293_530
; %bb.525:                              ;   in Loop: Header=BB293_417 Depth=1
	v_and_b32_sdwa v51, v2, v26 dst_sel:DWORD dst_unused:UNUSED_PAD src0_sel:WORD_0 src1_sel:DWORD
	v_mov_b32_e32 v49, 0x7c010000
	s_mov_b32 s13, exec_lo
	v_cmpx_ne_u32_e32 0x7f, v51
	s_cbranch_execz .LBB293_529
; %bb.526:                              ;   in Loop: Header=BB293_417 Depth=1
	v_and_b32_sdwa v49, v2, v27 dst_sel:DWORD dst_unused:UNUSED_PAD src0_sel:WORD_0 src1_sel:DWORD
	v_lshrrev_b32_e32 v50, 3, v51
	s_mov_b32 s17, exec_lo
	v_cmpx_gt_u32_e32 8, v51
; %bb.527:                              ;   in Loop: Header=BB293_417 Depth=1
	v_ffbh_u32_e32 v49, v49
	v_min_u32_e32 v51, 32, v49
	v_subrev_nc_u32_e32 v49, 28, v51
	v_lshlrev_b64 v[49:50], v49, v[2:3]
	v_sub_nc_u32_e32 v50, 29, v51
	v_and_b32_e32 v49, 7, v49
; %bb.528:                              ;   in Loop: Header=BB293_417 Depth=1
	s_or_b32 exec_lo, exec_lo, s17
	v_lshlrev_b32_sdwa v2, v28, v2 dst_sel:DWORD dst_unused:UNUSED_PAD src0_sel:DWORD src1_sel:WORD_0
	v_lshl_add_u32 v50, v50, 10, 0x2000
	v_lshlrev_b32_e32 v49, 23, v49
	v_and_or_b32 v2, 0x8000, v2, v50
	v_lshl_or_b32 v49, v2, 16, v49
.LBB293_529:                            ;   in Loop: Header=BB293_417 Depth=1
	s_or_b32 exec_lo, exec_lo, s13
.LBB293_530:                            ;   in Loop: Header=BB293_417 Depth=1
	s_or_b32 exec_lo, exec_lo, s12
.LBB293_531:                            ;   in Loop: Header=BB293_417 Depth=1
	s_or_b32 exec_lo, exec_lo, s9
	v_lshrrev_b32_e32 v2, 16, v11
	v_cmp_ne_u16_sdwa s0, v2, v3 src0_sel:BYTE_0 src1_sel:DWORD
	s_and_saveexec_b32 s9, s0
	s_cbranch_execz .LBB293_539
; %bb.532:                              ;   in Loop: Header=BB293_417 Depth=1
	v_cmp_ne_u16_sdwa s0, v2, v25 src0_sel:BYTE_0 src1_sel:DWORD
	v_mov_b32_e32 v47, 0x8000
	s_and_saveexec_b32 s12, s0
	s_cbranch_execz .LBB293_538
; %bb.533:                              ;   in Loop: Header=BB293_417 Depth=1
	v_bfe_u32 v51, v11, 16, 7
	v_mov_b32_e32 v47, 0x7c01
	s_mov_b32 s13, exec_lo
	v_cmpx_ne_u32_e32 0x7f, v51
	s_cbranch_execz .LBB293_537
; %bb.534:                              ;   in Loop: Header=BB293_417 Depth=1
	v_and_b32_e32 v47, 7, v2
	v_lshrrev_b32_e32 v50, 3, v51
	s_mov_b32 s17, exec_lo
	v_cmpx_gt_u32_e32 8, v51
; %bb.535:                              ;   in Loop: Header=BB293_417 Depth=1
	v_ffbh_u32_e32 v47, v47
	v_min_u32_e32 v47, 32, v47
	v_subrev_nc_u32_e32 v50, 28, v47
	v_lshlrev_b64 v[51:52], v50, v[2:3]
	v_sub_nc_u32_e32 v50, 29, v47
	v_and_b32_e32 v47, 7, v51
; %bb.536:                              ;   in Loop: Header=BB293_417 Depth=1
	s_or_b32 exec_lo, exec_lo, s17
	v_lshlrev_b32_e32 v2, 8, v2
	v_lshl_add_u32 v50, v50, 10, 0x2000
	v_lshlrev_b32_e32 v47, 7, v47
	v_and_b32_e32 v2, 0x8000, v2
	v_and_b32_e32 v50, 0xfc00, v50
	v_or3_b32 v47, v2, v50, v47
.LBB293_537:                            ;   in Loop: Header=BB293_417 Depth=1
	s_or_b32 exec_lo, exec_lo, s13
.LBB293_538:                            ;   in Loop: Header=BB293_417 Depth=1
	s_or_b32 exec_lo, exec_lo, s12
.LBB293_539:                            ;   in Loop: Header=BB293_417 Depth=1
	s_or_b32 exec_lo, exec_lo, s9
	v_cmp_lt_u64_e64 s0, s[4:5], v[10:11]
	v_mov_b32_e32 v10, 0
	s_and_saveexec_b32 s9, s0
	s_cbranch_execz .LBB293_547
; %bb.540:                              ;   in Loop: Header=BB293_417 Depth=1
	v_lshrrev_b32_e32 v2, 24, v11
	v_bfrev_b32_e32 v10, 1
	s_mov_b32 s12, exec_lo
	v_cmpx_ne_u32_e32 0x80, v2
	s_cbranch_execz .LBB293_546
; %bb.541:                              ;   in Loop: Header=BB293_417 Depth=1
	v_and_b32_e32 v50, 0x7f, v2
	v_mov_b32_e32 v10, 0x7c010000
	s_mov_b32 s13, exec_lo
	v_cmpx_ne_u32_e32 0x7f, v50
	s_cbranch_execz .LBB293_545
; %bb.542:                              ;   in Loop: Header=BB293_417 Depth=1
	v_and_b32_e32 v10, 7, v2
	v_lshrrev_b32_e32 v11, 3, v50
	s_mov_b32 s17, exec_lo
	v_cmpx_gt_u32_e32 8, v50
; %bb.543:                              ;   in Loop: Header=BB293_417 Depth=1
	v_ffbh_u32_e32 v10, v10
	v_min_u32_e32 v50, 32, v10
	v_subrev_nc_u32_e32 v10, 28, v50
	v_lshlrev_b64 v[10:11], v10, v[2:3]
	v_sub_nc_u32_e32 v11, 29, v50
	v_and_b32_e32 v10, 7, v10
; %bb.544:                              ;   in Loop: Header=BB293_417 Depth=1
	s_or_b32 exec_lo, exec_lo, s17
	v_lshlrev_b32_e32 v2, 8, v2
	v_lshl_add_u32 v11, v11, 10, 0x2000
	v_lshlrev_b32_e32 v10, 23, v10
	v_and_or_b32 v2, 0x8000, v2, v11
	v_lshl_or_b32 v10, v2, 16, v10
.LBB293_545:                            ;   in Loop: Header=BB293_417 Depth=1
	s_or_b32 exec_lo, exec_lo, s13
.LBB293_546:                            ;   in Loop: Header=BB293_417 Depth=1
	s_or_b32 exec_lo, exec_lo, s12
.LBB293_547:                            ;   in Loop: Header=BB293_417 Depth=1
	s_or_b32 exec_lo, exec_lo, s9
	v_or_b32_e32 v2, v45, v46
	s_waitcnt vmcnt(0)
	v_fma_mixlo_f16 v11, v42, v45, 0 op_sel:[0,1,0] op_sel_hi:[0,1,0]
	v_or_b32_e32 v45, v43, v44
	v_fma_mixlo_f16 v43, v42, v43, 0 op_sel:[0,1,0] op_sel_hi:[0,1,0]
	v_or_b32_e32 v46, v49, v48
	v_or_b32_e32 v47, v10, v47
	v_fma_mixlo_f16 v48, v42, v2, 0 op_sel_hi:[0,1,0]
	v_fma_mixlo_f16 v10, v42, v10, 0 op_sel:[0,1,0] op_sel_hi:[0,1,0]
	v_lshlrev_b32_e32 v44, 16, v43
	v_fma_mixlo_f16 v43, v42, v45, 0 op_sel_hi:[0,1,0]
	v_fma_mixlo_f16 v45, v42, v49, 0 op_sel:[0,1,0] op_sel_hi:[0,1,0]
	v_fma_mixlo_f16 v46, v42, v46, 0 op_sel_hi:[0,1,0]
	v_fma_mixlo_f16 v47, v42, v47, 0 op_sel_hi:[0,1,0]
	v_lshlrev_b32_e32 v2, 16, v11
	v_and_b32_e32 v11, 0xffff, v48
	v_and_b32_e32 v50, 0xffff, v43
	v_lshlrev_b32_e32 v42, 16, v45
	v_and_b32_e32 v46, 0xffff, v46
	v_lshlrev_b32_e32 v10, 16, v10
	v_and_b32_e32 v43, 0xffff, v47
	v_or_b32_e32 v45, v2, v11
	v_or_b32_e32 v49, v44, v50
	;; [unrolled: 1-line block ×4, first 2 shown]
	s_and_saveexec_b32 s9, vcc_lo
	s_cbranch_execz .LBB293_549
; %bb.548:                              ;   in Loop: Header=BB293_417 Depth=1
	v_cmp_gt_i32_e64 s0, s27, v29
	v_cndmask_b32_e64 v45, 0, v50, s0
	v_cmp_gt_i32_e64 s0, s27, v35
	v_cndmask_b32_e64 v44, 0, v44, s0
	v_cmp_gt_i32_e64 s0, s27, v34
	v_or_b32_e32 v49, v44, v45
	v_cndmask_b32_e64 v11, 0, v11, s0
	v_cmp_gt_i32_e64 s0, s27, v33
	v_cndmask_b32_e64 v2, 0, v2, s0
	v_cmp_gt_i32_e64 s0, s27, v32
	v_or_b32_e32 v45, v2, v11
	;; [unrolled: 5-line block ×3, first 2 shown]
	v_cndmask_b32_e64 v43, 0, v43, s0
	v_cmp_gt_i32_e64 s0, s27, v15
	v_cndmask_b32_e64 v10, 0, v10, s0
	v_or_b32_e32 v47, v10, v43
.LBB293_549:                            ;   in Loop: Header=BB293_417 Depth=1
	s_or_b32 exec_lo, exec_lo, s9
	;;#ASMSTART
	v_pk_mul_f16 v2, v41, v49;

	;;#ASMEND
	;;#ASMSTART
	v_pk_mul_f16 v10, v39, v45;

	;;#ASMEND
	;; [unrolled: 4-line block ×4, first 2 shown]
	;;#ASMSTART
	v_pk_add_f16 v2, v2, v10;

	;;#ASMEND
	;;#ASMSTART
	v_pk_add_f16 v2, v2, v11;

	;;#ASMEND
	;; [unrolled: 4-line block ×3, first 2 shown]
	v_and_b32_e32 v10, 0xffff, v2
	v_lshrrev_b32_e32 v2, 16, v2
	;;#ASMSTART
	v_cvt_f32_f16 v42, v10;
	;;#ASMEND
	;;#ASMSTART
	v_cvt_f32_f16 v43, v2;
	;;#ASMEND
	global_load_dwordx2 v[10:11], v[8:9], off offset:512
	v_mov_b32_e32 v45, 0
	v_mov_b32_e32 v46, 0
	global_load_dword v44, v45, s[14:15]
	s_waitcnt vmcnt(1)
	v_cmp_ne_u16_sdwa s0, v10, v3 src0_sel:BYTE_0 src1_sel:DWORD
	s_and_saveexec_b32 s9, s0
	s_cbranch_execz .LBB293_557
; %bb.550:                              ;   in Loop: Header=BB293_417 Depth=1
	v_cmp_ne_u16_sdwa s0, v10, v25 src0_sel:BYTE_0 src1_sel:DWORD
	v_mov_b32_e32 v46, 0x8000
	s_and_saveexec_b32 s12, s0
	s_cbranch_execz .LBB293_556
; %bb.551:                              ;   in Loop: Header=BB293_417 Depth=1
	v_and_b32_e32 v47, 0x7f, v10
	v_mov_b32_e32 v46, 0x7c01
	s_mov_b32 s13, exec_lo
	v_cmpx_ne_u32_e32 0x7f, v47
	s_cbranch_execz .LBB293_555
; %bb.552:                              ;   in Loop: Header=BB293_417 Depth=1
	v_and_b32_e32 v2, 7, v10
	v_lshrrev_b32_e32 v46, 3, v47
	s_mov_b32 s17, exec_lo
	v_cmpx_gt_u32_e32 8, v47
; %bb.553:                              ;   in Loop: Header=BB293_417 Depth=1
	v_ffbh_u32_e32 v2, v2
	v_min_u32_e32 v2, 32, v2
	v_subrev_nc_u32_e32 v46, 28, v2
	v_lshlrev_b64 v[47:48], v46, v[10:11]
	v_sub_nc_u32_e32 v46, 29, v2
	v_and_b32_e32 v2, 7, v47
; %bb.554:                              ;   in Loop: Header=BB293_417 Depth=1
	s_or_b32 exec_lo, exec_lo, s17
	v_lshlrev_b32_e32 v47, 8, v10
	v_lshl_add_u32 v46, v46, 10, 0x2000
	v_lshlrev_b32_e32 v2, 7, v2
	v_and_b32_e32 v47, 0x8000, v47
	v_and_b32_e32 v46, 0xfc00, v46
	v_or3_b32 v46, v47, v46, v2
.LBB293_555:                            ;   in Loop: Header=BB293_417 Depth=1
	s_or_b32 exec_lo, exec_lo, s13
.LBB293_556:                            ;   in Loop: Header=BB293_417 Depth=1
	s_or_b32 exec_lo, exec_lo, s12
.LBB293_557:                            ;   in Loop: Header=BB293_417 Depth=1
	s_or_b32 exec_lo, exec_lo, s9
	v_lshrrev_b16 v2, 8, v10
	s_mov_b32 s9, exec_lo
	v_cmpx_ne_u16_e32 0, v2
	s_cbranch_execz .LBB293_565
; %bb.558:                              ;   in Loop: Header=BB293_417 Depth=1
	v_bfrev_b32_e32 v45, 1
	s_mov_b32 s12, exec_lo
	v_cmpx_ne_u16_e32 0x80, v2
	s_cbranch_execz .LBB293_564
; %bb.559:                              ;   in Loop: Header=BB293_417 Depth=1
	v_and_b32_sdwa v48, v2, v26 dst_sel:DWORD dst_unused:UNUSED_PAD src0_sel:WORD_0 src1_sel:DWORD
	v_mov_b32_e32 v45, 0x7c010000
	s_mov_b32 s13, exec_lo
	v_cmpx_ne_u32_e32 0x7f, v48
	s_cbranch_execz .LBB293_563
; %bb.560:                              ;   in Loop: Header=BB293_417 Depth=1
	v_and_b32_sdwa v45, v2, v27 dst_sel:DWORD dst_unused:UNUSED_PAD src0_sel:WORD_0 src1_sel:DWORD
	v_lshrrev_b32_e32 v47, 3, v48
	s_mov_b32 s17, exec_lo
	v_cmpx_gt_u32_e32 8, v48
; %bb.561:                              ;   in Loop: Header=BB293_417 Depth=1
	v_ffbh_u32_e32 v45, v45
	v_min_u32_e32 v45, 32, v45
	v_subrev_nc_u32_e32 v47, 28, v45
	v_lshlrev_b64 v[48:49], v47, v[2:3]
	v_sub_nc_u32_e32 v47, 29, v45
	v_and_b32_e32 v45, 7, v48
; %bb.562:                              ;   in Loop: Header=BB293_417 Depth=1
	s_or_b32 exec_lo, exec_lo, s17
	v_lshlrev_b32_sdwa v2, v28, v2 dst_sel:DWORD dst_unused:UNUSED_PAD src0_sel:DWORD src1_sel:WORD_0
	v_lshl_add_u32 v47, v47, 10, 0x2000
	v_lshlrev_b32_e32 v45, 23, v45
	v_and_or_b32 v2, 0x8000, v2, v47
	v_lshl_or_b32 v45, v2, 16, v45
.LBB293_563:                            ;   in Loop: Header=BB293_417 Depth=1
	s_or_b32 exec_lo, exec_lo, s13
.LBB293_564:                            ;   in Loop: Header=BB293_417 Depth=1
	s_or_b32 exec_lo, exec_lo, s12
.LBB293_565:                            ;   in Loop: Header=BB293_417 Depth=1
	s_or_b32 exec_lo, exec_lo, s9
	v_lshrrev_b32_e32 v2, 16, v10
	v_mov_b32_e32 v47, 0
	v_mov_b32_e32 v48, 0
	v_cmp_ne_u16_sdwa s0, v2, v3 src0_sel:BYTE_0 src1_sel:DWORD
	s_and_saveexec_b32 s9, s0
	s_cbranch_execz .LBB293_573
; %bb.566:                              ;   in Loop: Header=BB293_417 Depth=1
	v_cmp_ne_u16_sdwa s0, v2, v25 src0_sel:BYTE_0 src1_sel:DWORD
	v_mov_b32_e32 v48, 0x8000
	s_and_saveexec_b32 s12, s0
	s_cbranch_execz .LBB293_572
; %bb.567:                              ;   in Loop: Header=BB293_417 Depth=1
	v_bfe_u32 v50, v10, 16, 7
	v_mov_b32_e32 v48, 0x7c01
	s_mov_b32 s13, exec_lo
	v_cmpx_ne_u32_e32 0x7f, v50
	s_cbranch_execz .LBB293_571
; %bb.568:                              ;   in Loop: Header=BB293_417 Depth=1
	v_and_b32_e32 v48, 7, v2
	v_lshrrev_b32_e32 v49, 3, v50
	s_mov_b32 s17, exec_lo
	v_cmpx_gt_u32_e32 8, v50
; %bb.569:                              ;   in Loop: Header=BB293_417 Depth=1
	v_ffbh_u32_e32 v48, v48
	v_min_u32_e32 v50, 32, v48
	v_subrev_nc_u32_e32 v48, 28, v50
	v_lshlrev_b64 v[48:49], v48, v[2:3]
	v_sub_nc_u32_e32 v49, 29, v50
	v_and_b32_e32 v48, 7, v48
; %bb.570:                              ;   in Loop: Header=BB293_417 Depth=1
	s_or_b32 exec_lo, exec_lo, s17
	v_lshlrev_b32_e32 v2, 8, v2
	v_lshl_add_u32 v49, v49, 10, 0x2000
	v_lshlrev_b32_e32 v48, 7, v48
	v_and_b32_e32 v2, 0x8000, v2
	v_and_b32_e32 v49, 0xfc00, v49
	v_or3_b32 v48, v2, v49, v48
.LBB293_571:                            ;   in Loop: Header=BB293_417 Depth=1
	s_or_b32 exec_lo, exec_lo, s13
.LBB293_572:                            ;   in Loop: Header=BB293_417 Depth=1
	s_or_b32 exec_lo, exec_lo, s12
.LBB293_573:                            ;   in Loop: Header=BB293_417 Depth=1
	s_or_b32 exec_lo, exec_lo, s9
	s_mov_b32 s9, exec_lo
	v_cmpx_lt_u32_e32 0xffffff, v10
	s_cbranch_execz .LBB293_581
; %bb.574:                              ;   in Loop: Header=BB293_417 Depth=1
	v_lshrrev_b32_e32 v2, 24, v10
	v_bfrev_b32_e32 v47, 1
	s_mov_b32 s12, exec_lo
	v_cmpx_ne_u32_e32 0x80, v2
	s_cbranch_execz .LBB293_580
; %bb.575:                              ;   in Loop: Header=BB293_417 Depth=1
	v_and_b32_e32 v50, 0x7f, v2
	v_mov_b32_e32 v47, 0x7c010000
	s_mov_b32 s13, exec_lo
	v_cmpx_ne_u32_e32 0x7f, v50
	s_cbranch_execz .LBB293_579
; %bb.576:                              ;   in Loop: Header=BB293_417 Depth=1
	v_and_b32_e32 v47, 7, v2
	v_lshrrev_b32_e32 v49, 3, v50
	s_mov_b32 s17, exec_lo
	v_cmpx_gt_u32_e32 8, v50
; %bb.577:                              ;   in Loop: Header=BB293_417 Depth=1
	v_ffbh_u32_e32 v47, v47
	v_min_u32_e32 v47, 32, v47
	v_subrev_nc_u32_e32 v49, 28, v47
	v_lshlrev_b64 v[50:51], v49, v[2:3]
	v_sub_nc_u32_e32 v49, 29, v47
	v_and_b32_e32 v47, 7, v50
; %bb.578:                              ;   in Loop: Header=BB293_417 Depth=1
	s_or_b32 exec_lo, exec_lo, s17
	v_lshlrev_b32_e32 v2, 8, v2
	v_lshl_add_u32 v49, v49, 10, 0x2000
	v_lshlrev_b32_e32 v47, 23, v47
	v_and_or_b32 v2, 0x8000, v2, v49
	v_lshl_or_b32 v47, v2, 16, v47
.LBB293_579:                            ;   in Loop: Header=BB293_417 Depth=1
	s_or_b32 exec_lo, exec_lo, s13
.LBB293_580:                            ;   in Loop: Header=BB293_417 Depth=1
	s_or_b32 exec_lo, exec_lo, s12
.LBB293_581:                            ;   in Loop: Header=BB293_417 Depth=1
	s_or_b32 exec_lo, exec_lo, s9
	v_mov_b32_e32 v2, v11
	v_cmp_ne_u16_sdwa s0, v11, v3 src0_sel:BYTE_0 src1_sel:DWORD
	v_mov_b32_e32 v49, 0
	v_mov_b32_e32 v50, 0
	s_and_saveexec_b32 s9, s0
	s_cbranch_execz .LBB293_589
; %bb.582:                              ;   in Loop: Header=BB293_417 Depth=1
	v_cmp_ne_u16_sdwa s0, v11, v25 src0_sel:BYTE_0 src1_sel:DWORD
	v_mov_b32_e32 v50, 0x8000
	s_and_saveexec_b32 s12, s0
	s_cbranch_execz .LBB293_588
; %bb.583:                              ;   in Loop: Header=BB293_417 Depth=1
	v_and_b32_e32 v52, 0x7f, v11
	v_mov_b32_e32 v50, 0x7c01
	s_mov_b32 s13, exec_lo
	v_cmpx_ne_u32_e32 0x7f, v52
	s_cbranch_execz .LBB293_587
; %bb.584:                              ;   in Loop: Header=BB293_417 Depth=1
	v_and_b32_e32 v50, 7, v11
	v_lshrrev_b32_e32 v51, 3, v52
	s_mov_b32 s17, exec_lo
	v_cmpx_gt_u32_e32 8, v52
; %bb.585:                              ;   in Loop: Header=BB293_417 Depth=1
	v_ffbh_u32_e32 v50, v50
	v_min_u32_e32 v52, 32, v50
	v_subrev_nc_u32_e32 v50, 28, v52
	v_lshlrev_b64 v[50:51], v50, v[2:3]
	v_sub_nc_u32_e32 v51, 29, v52
	v_and_b32_e32 v50, 7, v50
; %bb.586:                              ;   in Loop: Header=BB293_417 Depth=1
	s_or_b32 exec_lo, exec_lo, s17
	v_lshlrev_b32_e32 v52, 8, v11
	v_lshl_add_u32 v51, v51, 10, 0x2000
	v_lshlrev_b32_e32 v50, 7, v50
	v_and_b32_e32 v52, 0x8000, v52
	v_and_b32_e32 v51, 0xfc00, v51
	v_or3_b32 v50, v52, v51, v50
.LBB293_587:                            ;   in Loop: Header=BB293_417 Depth=1
	s_or_b32 exec_lo, exec_lo, s13
.LBB293_588:                            ;   in Loop: Header=BB293_417 Depth=1
	s_or_b32 exec_lo, exec_lo, s12
.LBB293_589:                            ;   in Loop: Header=BB293_417 Depth=1
	s_or_b32 exec_lo, exec_lo, s9
	v_lshrrev_b16 v2, 8, v2
	v_mov_b32_e32 v51, 0
	s_mov_b32 s9, exec_lo
	v_cmpx_ne_u16_e32 0, v2
	s_cbranch_execz .LBB293_597
; %bb.590:                              ;   in Loop: Header=BB293_417 Depth=1
	v_bfrev_b32_e32 v51, 1
	s_mov_b32 s12, exec_lo
	v_cmpx_ne_u16_e32 0x80, v2
	s_cbranch_execz .LBB293_596
; %bb.591:                              ;   in Loop: Header=BB293_417 Depth=1
	v_and_b32_sdwa v53, v2, v26 dst_sel:DWORD dst_unused:UNUSED_PAD src0_sel:WORD_0 src1_sel:DWORD
	v_mov_b32_e32 v51, 0x7c010000
	s_mov_b32 s13, exec_lo
	v_cmpx_ne_u32_e32 0x7f, v53
	s_cbranch_execz .LBB293_595
; %bb.592:                              ;   in Loop: Header=BB293_417 Depth=1
	v_and_b32_sdwa v51, v2, v27 dst_sel:DWORD dst_unused:UNUSED_PAD src0_sel:WORD_0 src1_sel:DWORD
	v_lshrrev_b32_e32 v52, 3, v53
	s_mov_b32 s17, exec_lo
	v_cmpx_gt_u32_e32 8, v53
; %bb.593:                              ;   in Loop: Header=BB293_417 Depth=1
	v_ffbh_u32_e32 v51, v51
	v_min_u32_e32 v53, 32, v51
	v_subrev_nc_u32_e32 v51, 28, v53
	v_lshlrev_b64 v[51:52], v51, v[2:3]
	v_sub_nc_u32_e32 v52, 29, v53
	v_and_b32_e32 v51, 7, v51
; %bb.594:                              ;   in Loop: Header=BB293_417 Depth=1
	s_or_b32 exec_lo, exec_lo, s17
	v_lshlrev_b32_sdwa v2, v28, v2 dst_sel:DWORD dst_unused:UNUSED_PAD src0_sel:DWORD src1_sel:WORD_0
	v_lshl_add_u32 v52, v52, 10, 0x2000
	v_lshlrev_b32_e32 v51, 23, v51
	v_and_or_b32 v2, 0x8000, v2, v52
	v_lshl_or_b32 v51, v2, 16, v51
.LBB293_595:                            ;   in Loop: Header=BB293_417 Depth=1
	s_or_b32 exec_lo, exec_lo, s13
.LBB293_596:                            ;   in Loop: Header=BB293_417 Depth=1
	s_or_b32 exec_lo, exec_lo, s12
.LBB293_597:                            ;   in Loop: Header=BB293_417 Depth=1
	s_or_b32 exec_lo, exec_lo, s9
	v_lshrrev_b32_e32 v2, 16, v11
	v_cmp_ne_u16_sdwa s0, v2, v3 src0_sel:BYTE_0 src1_sel:DWORD
	s_and_saveexec_b32 s9, s0
	s_cbranch_execz .LBB293_605
; %bb.598:                              ;   in Loop: Header=BB293_417 Depth=1
	v_cmp_ne_u16_sdwa s0, v2, v25 src0_sel:BYTE_0 src1_sel:DWORD
	v_mov_b32_e32 v49, 0x8000
	s_and_saveexec_b32 s12, s0
	s_cbranch_execz .LBB293_604
; %bb.599:                              ;   in Loop: Header=BB293_417 Depth=1
	v_bfe_u32 v53, v11, 16, 7
	v_mov_b32_e32 v49, 0x7c01
	s_mov_b32 s13, exec_lo
	v_cmpx_ne_u32_e32 0x7f, v53
	s_cbranch_execz .LBB293_603
; %bb.600:                              ;   in Loop: Header=BB293_417 Depth=1
	v_and_b32_e32 v49, 7, v2
	v_lshrrev_b32_e32 v52, 3, v53
	s_mov_b32 s17, exec_lo
	v_cmpx_gt_u32_e32 8, v53
; %bb.601:                              ;   in Loop: Header=BB293_417 Depth=1
	v_ffbh_u32_e32 v49, v49
	v_min_u32_e32 v49, 32, v49
	v_subrev_nc_u32_e32 v52, 28, v49
	v_lshlrev_b64 v[53:54], v52, v[2:3]
	v_sub_nc_u32_e32 v52, 29, v49
	v_and_b32_e32 v49, 7, v53
; %bb.602:                              ;   in Loop: Header=BB293_417 Depth=1
	s_or_b32 exec_lo, exec_lo, s17
	v_lshlrev_b32_e32 v2, 8, v2
	v_lshl_add_u32 v52, v52, 10, 0x2000
	v_lshlrev_b32_e32 v49, 7, v49
	v_and_b32_e32 v2, 0x8000, v2
	v_and_b32_e32 v52, 0xfc00, v52
	v_or3_b32 v49, v2, v52, v49
.LBB293_603:                            ;   in Loop: Header=BB293_417 Depth=1
	s_or_b32 exec_lo, exec_lo, s13
.LBB293_604:                            ;   in Loop: Header=BB293_417 Depth=1
	s_or_b32 exec_lo, exec_lo, s12
.LBB293_605:                            ;   in Loop: Header=BB293_417 Depth=1
	s_or_b32 exec_lo, exec_lo, s9
	v_cmp_lt_u64_e64 s0, s[4:5], v[10:11]
	v_mov_b32_e32 v10, 0
	s_and_saveexec_b32 s9, s0
	s_cbranch_execz .LBB293_613
; %bb.606:                              ;   in Loop: Header=BB293_417 Depth=1
	v_lshrrev_b32_e32 v2, 24, v11
	v_bfrev_b32_e32 v10, 1
	s_mov_b32 s12, exec_lo
	v_cmpx_ne_u32_e32 0x80, v2
	s_cbranch_execz .LBB293_612
; %bb.607:                              ;   in Loop: Header=BB293_417 Depth=1
	v_and_b32_e32 v52, 0x7f, v2
	v_mov_b32_e32 v10, 0x7c010000
	s_mov_b32 s13, exec_lo
	v_cmpx_ne_u32_e32 0x7f, v52
	s_cbranch_execz .LBB293_611
; %bb.608:                              ;   in Loop: Header=BB293_417 Depth=1
	v_and_b32_e32 v10, 7, v2
	v_lshrrev_b32_e32 v11, 3, v52
	s_mov_b32 s17, exec_lo
	v_cmpx_gt_u32_e32 8, v52
; %bb.609:                              ;   in Loop: Header=BB293_417 Depth=1
	v_ffbh_u32_e32 v10, v10
	v_min_u32_e32 v52, 32, v10
	v_subrev_nc_u32_e32 v10, 28, v52
	v_lshlrev_b64 v[10:11], v10, v[2:3]
	v_sub_nc_u32_e32 v11, 29, v52
	v_and_b32_e32 v10, 7, v10
; %bb.610:                              ;   in Loop: Header=BB293_417 Depth=1
	s_or_b32 exec_lo, exec_lo, s17
	v_lshlrev_b32_e32 v2, 8, v2
	v_lshl_add_u32 v11, v11, 10, 0x2000
	v_lshlrev_b32_e32 v10, 23, v10
	v_and_or_b32 v2, 0x8000, v2, v11
	v_lshl_or_b32 v10, v2, 16, v10
.LBB293_611:                            ;   in Loop: Header=BB293_417 Depth=1
	s_or_b32 exec_lo, exec_lo, s13
.LBB293_612:                            ;   in Loop: Header=BB293_417 Depth=1
	s_or_b32 exec_lo, exec_lo, s12
.LBB293_613:                            ;   in Loop: Header=BB293_417 Depth=1
	s_or_b32 exec_lo, exec_lo, s9
	v_or_b32_e32 v2, v47, v48
	s_waitcnt vmcnt(0)
	v_fma_mixlo_f16 v11, v44, v47, 0 op_sel:[0,1,0] op_sel_hi:[0,1,0]
	v_or_b32_e32 v47, v45, v46
	v_fma_mixlo_f16 v45, v44, v45, 0 op_sel:[0,1,0] op_sel_hi:[0,1,0]
	v_or_b32_e32 v48, v51, v50
	v_or_b32_e32 v49, v10, v49
	v_fma_mixlo_f16 v50, v44, v2, 0 op_sel_hi:[0,1,0]
	v_fma_mixlo_f16 v10, v44, v10, 0 op_sel:[0,1,0] op_sel_hi:[0,1,0]
	v_lshlrev_b32_e32 v46, 16, v45
	v_fma_mixlo_f16 v45, v44, v47, 0 op_sel_hi:[0,1,0]
	v_fma_mixlo_f16 v47, v44, v51, 0 op_sel:[0,1,0] op_sel_hi:[0,1,0]
	v_fma_mixlo_f16 v48, v44, v48, 0 op_sel_hi:[0,1,0]
	v_fma_mixlo_f16 v49, v44, v49, 0 op_sel_hi:[0,1,0]
	v_lshlrev_b32_e32 v2, 16, v11
	v_and_b32_e32 v11, 0xffff, v50
	v_and_b32_e32 v52, 0xffff, v45
	v_lshlrev_b32_e32 v44, 16, v47
	v_and_b32_e32 v48, 0xffff, v48
	v_lshlrev_b32_e32 v10, 16, v10
	v_and_b32_e32 v45, 0xffff, v49
	v_or_b32_e32 v47, v2, v11
	v_or_b32_e32 v51, v46, v52
	;; [unrolled: 1-line block ×4, first 2 shown]
	s_and_saveexec_b32 s9, vcc_lo
	s_cbranch_execz .LBB293_615
; %bb.614:                              ;   in Loop: Header=BB293_417 Depth=1
	v_cmp_gt_i32_e64 s0, s27, v29
	v_cndmask_b32_e64 v47, 0, v52, s0
	v_cmp_gt_i32_e64 s0, s27, v35
	v_cndmask_b32_e64 v46, 0, v46, s0
	v_cmp_gt_i32_e64 s0, s27, v34
	v_or_b32_e32 v51, v46, v47
	v_cndmask_b32_e64 v11, 0, v11, s0
	v_cmp_gt_i32_e64 s0, s27, v33
	v_cndmask_b32_e64 v2, 0, v2, s0
	v_cmp_gt_i32_e64 s0, s27, v32
	v_or_b32_e32 v47, v2, v11
	;; [unrolled: 5-line block ×3, first 2 shown]
	v_cndmask_b32_e64 v45, 0, v45, s0
	v_cmp_gt_i32_e64 s0, s27, v15
	v_cndmask_b32_e64 v10, 0, v10, s0
	v_or_b32_e32 v49, v10, v45
.LBB293_615:                            ;   in Loop: Header=BB293_417 Depth=1
	s_or_b32 exec_lo, exec_lo, s9
	;;#ASMSTART
	v_pk_mul_f16 v2, v41, v51;

	;;#ASMEND
	;;#ASMSTART
	v_pk_mul_f16 v10, v39, v47;

	;;#ASMEND
	;; [unrolled: 4-line block ×4, first 2 shown]
	;;#ASMSTART
	v_pk_add_f16 v2, v2, v10;

	;;#ASMEND
	;;#ASMSTART
	v_pk_add_f16 v2, v2, v11;

	;;#ASMEND
	;; [unrolled: 4-line block ×3, first 2 shown]
	v_and_b32_e32 v10, 0xffff, v2
	v_lshrrev_b32_e32 v2, 16, v2
	;;#ASMSTART
	v_cvt_f32_f16 v44, v10;
	;;#ASMEND
	;;#ASMSTART
	v_cvt_f32_f16 v45, v2;
	;;#ASMEND
	global_load_dwordx2 v[10:11], v[8:9], off offset:768
	v_mov_b32_e32 v47, 0
	v_mov_b32_e32 v48, 0
	global_load_dword v46, v47, s[14:15]
	s_waitcnt vmcnt(1)
	v_cmp_ne_u16_sdwa s0, v10, v3 src0_sel:BYTE_0 src1_sel:DWORD
	s_and_saveexec_b32 s9, s0
	s_cbranch_execz .LBB293_623
; %bb.616:                              ;   in Loop: Header=BB293_417 Depth=1
	v_cmp_ne_u16_sdwa s0, v10, v25 src0_sel:BYTE_0 src1_sel:DWORD
	v_mov_b32_e32 v48, 0x8000
	s_and_saveexec_b32 s12, s0
	s_cbranch_execz .LBB293_622
; %bb.617:                              ;   in Loop: Header=BB293_417 Depth=1
	v_and_b32_e32 v49, 0x7f, v10
	v_mov_b32_e32 v48, 0x7c01
	s_mov_b32 s13, exec_lo
	v_cmpx_ne_u32_e32 0x7f, v49
	s_cbranch_execz .LBB293_621
; %bb.618:                              ;   in Loop: Header=BB293_417 Depth=1
	v_and_b32_e32 v2, 7, v10
	v_lshrrev_b32_e32 v48, 3, v49
	s_mov_b32 s17, exec_lo
	v_cmpx_gt_u32_e32 8, v49
; %bb.619:                              ;   in Loop: Header=BB293_417 Depth=1
	v_ffbh_u32_e32 v2, v2
	v_min_u32_e32 v2, 32, v2
	v_subrev_nc_u32_e32 v48, 28, v2
	v_lshlrev_b64 v[49:50], v48, v[10:11]
	v_sub_nc_u32_e32 v48, 29, v2
	v_and_b32_e32 v2, 7, v49
; %bb.620:                              ;   in Loop: Header=BB293_417 Depth=1
	s_or_b32 exec_lo, exec_lo, s17
	v_lshlrev_b32_e32 v49, 8, v10
	v_lshl_add_u32 v48, v48, 10, 0x2000
	v_lshlrev_b32_e32 v2, 7, v2
	v_and_b32_e32 v49, 0x8000, v49
	v_and_b32_e32 v48, 0xfc00, v48
	v_or3_b32 v48, v49, v48, v2
.LBB293_621:                            ;   in Loop: Header=BB293_417 Depth=1
	s_or_b32 exec_lo, exec_lo, s13
.LBB293_622:                            ;   in Loop: Header=BB293_417 Depth=1
	s_or_b32 exec_lo, exec_lo, s12
.LBB293_623:                            ;   in Loop: Header=BB293_417 Depth=1
	s_or_b32 exec_lo, exec_lo, s9
	v_lshrrev_b16 v2, 8, v10
	s_mov_b32 s9, exec_lo
	v_cmpx_ne_u16_e32 0, v2
	s_cbranch_execz .LBB293_631
; %bb.624:                              ;   in Loop: Header=BB293_417 Depth=1
	v_bfrev_b32_e32 v47, 1
	s_mov_b32 s12, exec_lo
	v_cmpx_ne_u16_e32 0x80, v2
	s_cbranch_execz .LBB293_630
; %bb.625:                              ;   in Loop: Header=BB293_417 Depth=1
	v_and_b32_sdwa v50, v2, v26 dst_sel:DWORD dst_unused:UNUSED_PAD src0_sel:WORD_0 src1_sel:DWORD
	v_mov_b32_e32 v47, 0x7c010000
	s_mov_b32 s13, exec_lo
	v_cmpx_ne_u32_e32 0x7f, v50
	s_cbranch_execz .LBB293_629
; %bb.626:                              ;   in Loop: Header=BB293_417 Depth=1
	v_and_b32_sdwa v47, v2, v27 dst_sel:DWORD dst_unused:UNUSED_PAD src0_sel:WORD_0 src1_sel:DWORD
	v_lshrrev_b32_e32 v49, 3, v50
	s_mov_b32 s17, exec_lo
	v_cmpx_gt_u32_e32 8, v50
; %bb.627:                              ;   in Loop: Header=BB293_417 Depth=1
	v_ffbh_u32_e32 v47, v47
	v_min_u32_e32 v47, 32, v47
	v_subrev_nc_u32_e32 v49, 28, v47
	v_lshlrev_b64 v[50:51], v49, v[2:3]
	v_sub_nc_u32_e32 v49, 29, v47
	v_and_b32_e32 v47, 7, v50
; %bb.628:                              ;   in Loop: Header=BB293_417 Depth=1
	s_or_b32 exec_lo, exec_lo, s17
	v_lshlrev_b32_sdwa v2, v28, v2 dst_sel:DWORD dst_unused:UNUSED_PAD src0_sel:DWORD src1_sel:WORD_0
	v_lshl_add_u32 v49, v49, 10, 0x2000
	v_lshlrev_b32_e32 v47, 23, v47
	v_and_or_b32 v2, 0x8000, v2, v49
	v_lshl_or_b32 v47, v2, 16, v47
.LBB293_629:                            ;   in Loop: Header=BB293_417 Depth=1
	s_or_b32 exec_lo, exec_lo, s13
.LBB293_630:                            ;   in Loop: Header=BB293_417 Depth=1
	s_or_b32 exec_lo, exec_lo, s12
.LBB293_631:                            ;   in Loop: Header=BB293_417 Depth=1
	s_or_b32 exec_lo, exec_lo, s9
	v_lshrrev_b32_e32 v2, 16, v10
	v_mov_b32_e32 v49, 0
	v_mov_b32_e32 v50, 0
	v_cmp_ne_u16_sdwa s0, v2, v3 src0_sel:BYTE_0 src1_sel:DWORD
	s_and_saveexec_b32 s9, s0
	s_cbranch_execz .LBB293_639
; %bb.632:                              ;   in Loop: Header=BB293_417 Depth=1
	v_cmp_ne_u16_sdwa s0, v2, v25 src0_sel:BYTE_0 src1_sel:DWORD
	v_mov_b32_e32 v50, 0x8000
	s_and_saveexec_b32 s12, s0
	s_cbranch_execz .LBB293_638
; %bb.633:                              ;   in Loop: Header=BB293_417 Depth=1
	v_bfe_u32 v52, v10, 16, 7
	v_mov_b32_e32 v50, 0x7c01
	s_mov_b32 s13, exec_lo
	v_cmpx_ne_u32_e32 0x7f, v52
	s_cbranch_execz .LBB293_637
; %bb.634:                              ;   in Loop: Header=BB293_417 Depth=1
	v_and_b32_e32 v50, 7, v2
	v_lshrrev_b32_e32 v51, 3, v52
	s_mov_b32 s17, exec_lo
	v_cmpx_gt_u32_e32 8, v52
; %bb.635:                              ;   in Loop: Header=BB293_417 Depth=1
	v_ffbh_u32_e32 v50, v50
	v_min_u32_e32 v52, 32, v50
	v_subrev_nc_u32_e32 v50, 28, v52
	v_lshlrev_b64 v[50:51], v50, v[2:3]
	v_sub_nc_u32_e32 v51, 29, v52
	v_and_b32_e32 v50, 7, v50
; %bb.636:                              ;   in Loop: Header=BB293_417 Depth=1
	s_or_b32 exec_lo, exec_lo, s17
	v_lshlrev_b32_e32 v2, 8, v2
	v_lshl_add_u32 v51, v51, 10, 0x2000
	v_lshlrev_b32_e32 v50, 7, v50
	v_and_b32_e32 v2, 0x8000, v2
	v_and_b32_e32 v51, 0xfc00, v51
	v_or3_b32 v50, v2, v51, v50
.LBB293_637:                            ;   in Loop: Header=BB293_417 Depth=1
	s_or_b32 exec_lo, exec_lo, s13
.LBB293_638:                            ;   in Loop: Header=BB293_417 Depth=1
	s_or_b32 exec_lo, exec_lo, s12
.LBB293_639:                            ;   in Loop: Header=BB293_417 Depth=1
	s_or_b32 exec_lo, exec_lo, s9
	s_mov_b32 s9, exec_lo
	v_cmpx_lt_u32_e32 0xffffff, v10
	s_cbranch_execz .LBB293_647
; %bb.640:                              ;   in Loop: Header=BB293_417 Depth=1
	v_lshrrev_b32_e32 v2, 24, v10
	v_bfrev_b32_e32 v49, 1
	s_mov_b32 s12, exec_lo
	v_cmpx_ne_u32_e32 0x80, v2
	s_cbranch_execz .LBB293_646
; %bb.641:                              ;   in Loop: Header=BB293_417 Depth=1
	v_and_b32_e32 v52, 0x7f, v2
	v_mov_b32_e32 v49, 0x7c010000
	s_mov_b32 s13, exec_lo
	v_cmpx_ne_u32_e32 0x7f, v52
	s_cbranch_execz .LBB293_645
; %bb.642:                              ;   in Loop: Header=BB293_417 Depth=1
	v_and_b32_e32 v49, 7, v2
	v_lshrrev_b32_e32 v51, 3, v52
	s_mov_b32 s17, exec_lo
	v_cmpx_gt_u32_e32 8, v52
; %bb.643:                              ;   in Loop: Header=BB293_417 Depth=1
	v_ffbh_u32_e32 v49, v49
	v_min_u32_e32 v49, 32, v49
	v_subrev_nc_u32_e32 v51, 28, v49
	v_lshlrev_b64 v[52:53], v51, v[2:3]
	v_sub_nc_u32_e32 v51, 29, v49
	v_and_b32_e32 v49, 7, v52
; %bb.644:                              ;   in Loop: Header=BB293_417 Depth=1
	s_or_b32 exec_lo, exec_lo, s17
	v_lshlrev_b32_e32 v2, 8, v2
	v_lshl_add_u32 v51, v51, 10, 0x2000
	v_lshlrev_b32_e32 v49, 23, v49
	v_and_or_b32 v2, 0x8000, v2, v51
	v_lshl_or_b32 v49, v2, 16, v49
.LBB293_645:                            ;   in Loop: Header=BB293_417 Depth=1
	s_or_b32 exec_lo, exec_lo, s13
.LBB293_646:                            ;   in Loop: Header=BB293_417 Depth=1
	s_or_b32 exec_lo, exec_lo, s12
.LBB293_647:                            ;   in Loop: Header=BB293_417 Depth=1
	s_or_b32 exec_lo, exec_lo, s9
	v_mov_b32_e32 v2, v11
	v_cmp_ne_u16_sdwa s0, v11, v3 src0_sel:BYTE_0 src1_sel:DWORD
	v_mov_b32_e32 v51, 0
	v_mov_b32_e32 v52, 0
	s_and_saveexec_b32 s9, s0
	s_cbranch_execz .LBB293_655
; %bb.648:                              ;   in Loop: Header=BB293_417 Depth=1
	v_cmp_ne_u16_sdwa s0, v11, v25 src0_sel:BYTE_0 src1_sel:DWORD
	v_mov_b32_e32 v52, 0x8000
	s_and_saveexec_b32 s12, s0
	s_cbranch_execz .LBB293_654
; %bb.649:                              ;   in Loop: Header=BB293_417 Depth=1
	v_and_b32_e32 v54, 0x7f, v11
	v_mov_b32_e32 v52, 0x7c01
	s_mov_b32 s13, exec_lo
	v_cmpx_ne_u32_e32 0x7f, v54
	s_cbranch_execz .LBB293_653
; %bb.650:                              ;   in Loop: Header=BB293_417 Depth=1
	v_and_b32_e32 v52, 7, v11
	v_lshrrev_b32_e32 v53, 3, v54
	s_mov_b32 s17, exec_lo
	v_cmpx_gt_u32_e32 8, v54
; %bb.651:                              ;   in Loop: Header=BB293_417 Depth=1
	v_ffbh_u32_e32 v52, v52
	v_min_u32_e32 v54, 32, v52
	v_subrev_nc_u32_e32 v52, 28, v54
	v_lshlrev_b64 v[52:53], v52, v[2:3]
	v_sub_nc_u32_e32 v53, 29, v54
	v_and_b32_e32 v52, 7, v52
; %bb.652:                              ;   in Loop: Header=BB293_417 Depth=1
	s_or_b32 exec_lo, exec_lo, s17
	v_lshlrev_b32_e32 v54, 8, v11
	v_lshl_add_u32 v53, v53, 10, 0x2000
	v_lshlrev_b32_e32 v52, 7, v52
	v_and_b32_e32 v54, 0x8000, v54
	v_and_b32_e32 v53, 0xfc00, v53
	v_or3_b32 v52, v54, v53, v52
.LBB293_653:                            ;   in Loop: Header=BB293_417 Depth=1
	s_or_b32 exec_lo, exec_lo, s13
.LBB293_654:                            ;   in Loop: Header=BB293_417 Depth=1
	s_or_b32 exec_lo, exec_lo, s12
.LBB293_655:                            ;   in Loop: Header=BB293_417 Depth=1
	s_or_b32 exec_lo, exec_lo, s9
	v_lshrrev_b16 v2, 8, v2
	v_mov_b32_e32 v53, 0
	s_mov_b32 s9, exec_lo
	v_cmpx_ne_u16_e32 0, v2
	s_cbranch_execz .LBB293_663
; %bb.656:                              ;   in Loop: Header=BB293_417 Depth=1
	v_bfrev_b32_e32 v53, 1
	s_mov_b32 s12, exec_lo
	v_cmpx_ne_u16_e32 0x80, v2
	s_cbranch_execz .LBB293_662
; %bb.657:                              ;   in Loop: Header=BB293_417 Depth=1
	v_and_b32_sdwa v55, v2, v26 dst_sel:DWORD dst_unused:UNUSED_PAD src0_sel:WORD_0 src1_sel:DWORD
	v_mov_b32_e32 v53, 0x7c010000
	s_mov_b32 s13, exec_lo
	v_cmpx_ne_u32_e32 0x7f, v55
	s_cbranch_execz .LBB293_661
; %bb.658:                              ;   in Loop: Header=BB293_417 Depth=1
	v_and_b32_sdwa v53, v2, v27 dst_sel:DWORD dst_unused:UNUSED_PAD src0_sel:WORD_0 src1_sel:DWORD
	v_lshrrev_b32_e32 v54, 3, v55
	s_mov_b32 s17, exec_lo
	v_cmpx_gt_u32_e32 8, v55
; %bb.659:                              ;   in Loop: Header=BB293_417 Depth=1
	v_ffbh_u32_e32 v53, v53
	v_min_u32_e32 v55, 32, v53
	v_subrev_nc_u32_e32 v53, 28, v55
	v_lshlrev_b64 v[53:54], v53, v[2:3]
	v_sub_nc_u32_e32 v54, 29, v55
	v_and_b32_e32 v53, 7, v53
; %bb.660:                              ;   in Loop: Header=BB293_417 Depth=1
	s_or_b32 exec_lo, exec_lo, s17
	v_lshlrev_b32_sdwa v2, v28, v2 dst_sel:DWORD dst_unused:UNUSED_PAD src0_sel:DWORD src1_sel:WORD_0
	v_lshl_add_u32 v54, v54, 10, 0x2000
	v_lshlrev_b32_e32 v53, 23, v53
	v_and_or_b32 v2, 0x8000, v2, v54
	v_lshl_or_b32 v53, v2, 16, v53
.LBB293_661:                            ;   in Loop: Header=BB293_417 Depth=1
	s_or_b32 exec_lo, exec_lo, s13
.LBB293_662:                            ;   in Loop: Header=BB293_417 Depth=1
	s_or_b32 exec_lo, exec_lo, s12
.LBB293_663:                            ;   in Loop: Header=BB293_417 Depth=1
	s_or_b32 exec_lo, exec_lo, s9
	v_lshrrev_b32_e32 v2, 16, v11
	v_cmp_ne_u16_sdwa s0, v2, v3 src0_sel:BYTE_0 src1_sel:DWORD
	s_and_saveexec_b32 s9, s0
	s_cbranch_execz .LBB293_671
; %bb.664:                              ;   in Loop: Header=BB293_417 Depth=1
	v_cmp_ne_u16_sdwa s0, v2, v25 src0_sel:BYTE_0 src1_sel:DWORD
	v_mov_b32_e32 v51, 0x8000
	s_and_saveexec_b32 s12, s0
	s_cbranch_execz .LBB293_670
; %bb.665:                              ;   in Loop: Header=BB293_417 Depth=1
	v_bfe_u32 v55, v11, 16, 7
	v_mov_b32_e32 v51, 0x7c01
	s_mov_b32 s13, exec_lo
	v_cmpx_ne_u32_e32 0x7f, v55
	s_cbranch_execz .LBB293_669
; %bb.666:                              ;   in Loop: Header=BB293_417 Depth=1
	v_and_b32_e32 v51, 7, v2
	v_lshrrev_b32_e32 v54, 3, v55
	s_mov_b32 s17, exec_lo
	v_cmpx_gt_u32_e32 8, v55
; %bb.667:                              ;   in Loop: Header=BB293_417 Depth=1
	v_ffbh_u32_e32 v51, v51
	v_min_u32_e32 v51, 32, v51
	v_subrev_nc_u32_e32 v54, 28, v51
	v_lshlrev_b64 v[55:56], v54, v[2:3]
	v_sub_nc_u32_e32 v54, 29, v51
	v_and_b32_e32 v51, 7, v55
; %bb.668:                              ;   in Loop: Header=BB293_417 Depth=1
	s_or_b32 exec_lo, exec_lo, s17
	v_lshlrev_b32_e32 v2, 8, v2
	v_lshl_add_u32 v54, v54, 10, 0x2000
	v_lshlrev_b32_e32 v51, 7, v51
	v_and_b32_e32 v2, 0x8000, v2
	v_and_b32_e32 v54, 0xfc00, v54
	v_or3_b32 v51, v2, v54, v51
.LBB293_669:                            ;   in Loop: Header=BB293_417 Depth=1
	s_or_b32 exec_lo, exec_lo, s13
.LBB293_670:                            ;   in Loop: Header=BB293_417 Depth=1
	s_or_b32 exec_lo, exec_lo, s12
.LBB293_671:                            ;   in Loop: Header=BB293_417 Depth=1
	s_or_b32 exec_lo, exec_lo, s9
	v_cmp_lt_u64_e64 s0, s[4:5], v[10:11]
	v_mov_b32_e32 v10, 0
	s_and_saveexec_b32 s9, s0
	s_cbranch_execz .LBB293_679
; %bb.672:                              ;   in Loop: Header=BB293_417 Depth=1
	v_lshrrev_b32_e32 v2, 24, v11
	v_bfrev_b32_e32 v10, 1
	s_mov_b32 s12, exec_lo
	v_cmpx_ne_u32_e32 0x80, v2
	s_cbranch_execz .LBB293_678
; %bb.673:                              ;   in Loop: Header=BB293_417 Depth=1
	v_and_b32_e32 v54, 0x7f, v2
	v_mov_b32_e32 v10, 0x7c010000
	s_mov_b32 s13, exec_lo
	v_cmpx_ne_u32_e32 0x7f, v54
	s_cbranch_execz .LBB293_677
; %bb.674:                              ;   in Loop: Header=BB293_417 Depth=1
	v_and_b32_e32 v10, 7, v2
	v_lshrrev_b32_e32 v11, 3, v54
	s_mov_b32 s17, exec_lo
	v_cmpx_gt_u32_e32 8, v54
; %bb.675:                              ;   in Loop: Header=BB293_417 Depth=1
	v_ffbh_u32_e32 v10, v10
	v_min_u32_e32 v54, 32, v10
	v_subrev_nc_u32_e32 v10, 28, v54
	v_lshlrev_b64 v[10:11], v10, v[2:3]
	v_sub_nc_u32_e32 v11, 29, v54
	v_and_b32_e32 v10, 7, v10
; %bb.676:                              ;   in Loop: Header=BB293_417 Depth=1
	s_or_b32 exec_lo, exec_lo, s17
	v_lshlrev_b32_e32 v2, 8, v2
	v_lshl_add_u32 v11, v11, 10, 0x2000
	v_lshlrev_b32_e32 v10, 23, v10
	v_and_or_b32 v2, 0x8000, v2, v11
	v_lshl_or_b32 v10, v2, 16, v10
.LBB293_677:                            ;   in Loop: Header=BB293_417 Depth=1
	s_or_b32 exec_lo, exec_lo, s13
.LBB293_678:                            ;   in Loop: Header=BB293_417 Depth=1
	s_or_b32 exec_lo, exec_lo, s12
.LBB293_679:                            ;   in Loop: Header=BB293_417 Depth=1
	s_or_b32 exec_lo, exec_lo, s9
	v_or_b32_e32 v2, v49, v50
	s_waitcnt vmcnt(0)
	v_fma_mixlo_f16 v11, v46, v49, 0 op_sel:[0,1,0] op_sel_hi:[0,1,0]
	v_or_b32_e32 v49, v47, v48
	v_fma_mixlo_f16 v47, v46, v47, 0 op_sel:[0,1,0] op_sel_hi:[0,1,0]
	v_or_b32_e32 v50, v53, v52
	v_or_b32_e32 v51, v10, v51
	v_fma_mixlo_f16 v52, v46, v2, 0 op_sel_hi:[0,1,0]
	v_fma_mixlo_f16 v10, v46, v10, 0 op_sel:[0,1,0] op_sel_hi:[0,1,0]
	v_lshlrev_b32_e32 v48, 16, v47
	v_fma_mixlo_f16 v47, v46, v49, 0 op_sel_hi:[0,1,0]
	v_fma_mixlo_f16 v49, v46, v53, 0 op_sel:[0,1,0] op_sel_hi:[0,1,0]
	v_fma_mixlo_f16 v50, v46, v50, 0 op_sel_hi:[0,1,0]
	v_fma_mixlo_f16 v51, v46, v51, 0 op_sel_hi:[0,1,0]
	v_lshlrev_b32_e32 v2, 16, v11
	v_and_b32_e32 v11, 0xffff, v52
	v_and_b32_e32 v54, 0xffff, v47
	v_lshlrev_b32_e32 v46, 16, v49
	v_and_b32_e32 v50, 0xffff, v50
	v_lshlrev_b32_e32 v10, 16, v10
	v_and_b32_e32 v47, 0xffff, v51
	v_or_b32_e32 v49, v2, v11
	v_or_b32_e32 v53, v48, v54
	;; [unrolled: 1-line block ×4, first 2 shown]
	s_and_saveexec_b32 s9, vcc_lo
	s_cbranch_execz .LBB293_681
; %bb.680:                              ;   in Loop: Header=BB293_417 Depth=1
	v_cmp_gt_i32_e64 s0, s27, v29
	v_cndmask_b32_e64 v49, 0, v54, s0
	v_cmp_gt_i32_e64 s0, s27, v35
	v_cndmask_b32_e64 v48, 0, v48, s0
	v_cmp_gt_i32_e64 s0, s27, v34
	v_or_b32_e32 v53, v48, v49
	v_cndmask_b32_e64 v11, 0, v11, s0
	v_cmp_gt_i32_e64 s0, s27, v33
	v_cndmask_b32_e64 v2, 0, v2, s0
	v_cmp_gt_i32_e64 s0, s27, v32
	v_or_b32_e32 v49, v2, v11
	;; [unrolled: 5-line block ×3, first 2 shown]
	v_cndmask_b32_e64 v47, 0, v47, s0
	v_cmp_gt_i32_e64 s0, s27, v15
	v_cndmask_b32_e64 v10, 0, v10, s0
	v_or_b32_e32 v51, v10, v47
.LBB293_681:                            ;   in Loop: Header=BB293_417 Depth=1
	s_or_b32 exec_lo, exec_lo, s9
	;;#ASMSTART
	v_pk_mul_f16 v2, v41, v53;

	;;#ASMEND
	;;#ASMSTART
	v_pk_mul_f16 v10, v39, v49;

	;;#ASMEND
	;; [unrolled: 4-line block ×4, first 2 shown]
	;;#ASMSTART
	v_pk_add_f16 v2, v2, v10;

	;;#ASMEND
	;;#ASMSTART
	v_pk_add_f16 v2, v2, v11;

	;;#ASMEND
	;; [unrolled: 4-line block ×3, first 2 shown]
	v_and_b32_e32 v10, 0xffff, v2
	v_lshrrev_b32_e32 v2, 16, v2
	;;#ASMSTART
	v_cvt_f32_f16 v46, v10;
	;;#ASMEND
	;;#ASMSTART
	v_cvt_f32_f16 v47, v2;
	;;#ASMEND
	global_load_dwordx2 v[10:11], v[8:9], off offset:1024
	v_mov_b32_e32 v49, 0
	v_mov_b32_e32 v50, 0
	global_load_dword v48, v49, s[14:15]
	s_waitcnt vmcnt(1)
	v_cmp_ne_u16_sdwa s0, v10, v3 src0_sel:BYTE_0 src1_sel:DWORD
	s_and_saveexec_b32 s9, s0
	s_cbranch_execz .LBB293_689
; %bb.682:                              ;   in Loop: Header=BB293_417 Depth=1
	v_cmp_ne_u16_sdwa s0, v10, v25 src0_sel:BYTE_0 src1_sel:DWORD
	v_mov_b32_e32 v50, 0x8000
	s_and_saveexec_b32 s12, s0
	s_cbranch_execz .LBB293_688
; %bb.683:                              ;   in Loop: Header=BB293_417 Depth=1
	v_and_b32_e32 v51, 0x7f, v10
	v_mov_b32_e32 v50, 0x7c01
	s_mov_b32 s13, exec_lo
	v_cmpx_ne_u32_e32 0x7f, v51
	s_cbranch_execz .LBB293_687
; %bb.684:                              ;   in Loop: Header=BB293_417 Depth=1
	v_and_b32_e32 v2, 7, v10
	v_lshrrev_b32_e32 v50, 3, v51
	s_mov_b32 s17, exec_lo
	v_cmpx_gt_u32_e32 8, v51
; %bb.685:                              ;   in Loop: Header=BB293_417 Depth=1
	v_ffbh_u32_e32 v2, v2
	v_min_u32_e32 v2, 32, v2
	v_subrev_nc_u32_e32 v50, 28, v2
	v_lshlrev_b64 v[51:52], v50, v[10:11]
	v_sub_nc_u32_e32 v50, 29, v2
	v_and_b32_e32 v2, 7, v51
; %bb.686:                              ;   in Loop: Header=BB293_417 Depth=1
	s_or_b32 exec_lo, exec_lo, s17
	v_lshlrev_b32_e32 v51, 8, v10
	v_lshl_add_u32 v50, v50, 10, 0x2000
	v_lshlrev_b32_e32 v2, 7, v2
	v_and_b32_e32 v51, 0x8000, v51
	v_and_b32_e32 v50, 0xfc00, v50
	v_or3_b32 v50, v51, v50, v2
.LBB293_687:                            ;   in Loop: Header=BB293_417 Depth=1
	s_or_b32 exec_lo, exec_lo, s13
.LBB293_688:                            ;   in Loop: Header=BB293_417 Depth=1
	s_or_b32 exec_lo, exec_lo, s12
.LBB293_689:                            ;   in Loop: Header=BB293_417 Depth=1
	s_or_b32 exec_lo, exec_lo, s9
	v_lshrrev_b16 v2, 8, v10
	s_mov_b32 s9, exec_lo
	v_cmpx_ne_u16_e32 0, v2
	s_cbranch_execz .LBB293_697
; %bb.690:                              ;   in Loop: Header=BB293_417 Depth=1
	v_bfrev_b32_e32 v49, 1
	s_mov_b32 s12, exec_lo
	v_cmpx_ne_u16_e32 0x80, v2
	s_cbranch_execz .LBB293_696
; %bb.691:                              ;   in Loop: Header=BB293_417 Depth=1
	v_and_b32_sdwa v52, v2, v26 dst_sel:DWORD dst_unused:UNUSED_PAD src0_sel:WORD_0 src1_sel:DWORD
	v_mov_b32_e32 v49, 0x7c010000
	s_mov_b32 s13, exec_lo
	v_cmpx_ne_u32_e32 0x7f, v52
	s_cbranch_execz .LBB293_695
; %bb.692:                              ;   in Loop: Header=BB293_417 Depth=1
	v_and_b32_sdwa v49, v2, v27 dst_sel:DWORD dst_unused:UNUSED_PAD src0_sel:WORD_0 src1_sel:DWORD
	v_lshrrev_b32_e32 v51, 3, v52
	s_mov_b32 s17, exec_lo
	v_cmpx_gt_u32_e32 8, v52
; %bb.693:                              ;   in Loop: Header=BB293_417 Depth=1
	v_ffbh_u32_e32 v49, v49
	v_min_u32_e32 v49, 32, v49
	v_subrev_nc_u32_e32 v51, 28, v49
	v_lshlrev_b64 v[52:53], v51, v[2:3]
	v_sub_nc_u32_e32 v51, 29, v49
	v_and_b32_e32 v49, 7, v52
; %bb.694:                              ;   in Loop: Header=BB293_417 Depth=1
	s_or_b32 exec_lo, exec_lo, s17
	v_lshlrev_b32_sdwa v2, v28, v2 dst_sel:DWORD dst_unused:UNUSED_PAD src0_sel:DWORD src1_sel:WORD_0
	v_lshl_add_u32 v51, v51, 10, 0x2000
	v_lshlrev_b32_e32 v49, 23, v49
	v_and_or_b32 v2, 0x8000, v2, v51
	v_lshl_or_b32 v49, v2, 16, v49
.LBB293_695:                            ;   in Loop: Header=BB293_417 Depth=1
	s_or_b32 exec_lo, exec_lo, s13
.LBB293_696:                            ;   in Loop: Header=BB293_417 Depth=1
	s_or_b32 exec_lo, exec_lo, s12
.LBB293_697:                            ;   in Loop: Header=BB293_417 Depth=1
	s_or_b32 exec_lo, exec_lo, s9
	v_lshrrev_b32_e32 v2, 16, v10
	v_mov_b32_e32 v51, 0
	v_mov_b32_e32 v52, 0
	v_cmp_ne_u16_sdwa s0, v2, v3 src0_sel:BYTE_0 src1_sel:DWORD
	s_and_saveexec_b32 s9, s0
	s_cbranch_execz .LBB293_705
; %bb.698:                              ;   in Loop: Header=BB293_417 Depth=1
	v_cmp_ne_u16_sdwa s0, v2, v25 src0_sel:BYTE_0 src1_sel:DWORD
	v_mov_b32_e32 v52, 0x8000
	s_and_saveexec_b32 s12, s0
	s_cbranch_execz .LBB293_704
; %bb.699:                              ;   in Loop: Header=BB293_417 Depth=1
	v_bfe_u32 v54, v10, 16, 7
	v_mov_b32_e32 v52, 0x7c01
	s_mov_b32 s13, exec_lo
	v_cmpx_ne_u32_e32 0x7f, v54
	s_cbranch_execz .LBB293_703
; %bb.700:                              ;   in Loop: Header=BB293_417 Depth=1
	v_and_b32_e32 v52, 7, v2
	v_lshrrev_b32_e32 v53, 3, v54
	s_mov_b32 s17, exec_lo
	v_cmpx_gt_u32_e32 8, v54
; %bb.701:                              ;   in Loop: Header=BB293_417 Depth=1
	v_ffbh_u32_e32 v52, v52
	v_min_u32_e32 v54, 32, v52
	v_subrev_nc_u32_e32 v52, 28, v54
	v_lshlrev_b64 v[52:53], v52, v[2:3]
	v_sub_nc_u32_e32 v53, 29, v54
	v_and_b32_e32 v52, 7, v52
; %bb.702:                              ;   in Loop: Header=BB293_417 Depth=1
	s_or_b32 exec_lo, exec_lo, s17
	v_lshlrev_b32_e32 v2, 8, v2
	v_lshl_add_u32 v53, v53, 10, 0x2000
	v_lshlrev_b32_e32 v52, 7, v52
	v_and_b32_e32 v2, 0x8000, v2
	v_and_b32_e32 v53, 0xfc00, v53
	v_or3_b32 v52, v2, v53, v52
.LBB293_703:                            ;   in Loop: Header=BB293_417 Depth=1
	s_or_b32 exec_lo, exec_lo, s13
.LBB293_704:                            ;   in Loop: Header=BB293_417 Depth=1
	s_or_b32 exec_lo, exec_lo, s12
.LBB293_705:                            ;   in Loop: Header=BB293_417 Depth=1
	s_or_b32 exec_lo, exec_lo, s9
	s_mov_b32 s9, exec_lo
	v_cmpx_lt_u32_e32 0xffffff, v10
	s_cbranch_execz .LBB293_713
; %bb.706:                              ;   in Loop: Header=BB293_417 Depth=1
	v_lshrrev_b32_e32 v2, 24, v10
	v_bfrev_b32_e32 v51, 1
	s_mov_b32 s12, exec_lo
	v_cmpx_ne_u32_e32 0x80, v2
	s_cbranch_execz .LBB293_712
; %bb.707:                              ;   in Loop: Header=BB293_417 Depth=1
	v_and_b32_e32 v54, 0x7f, v2
	v_mov_b32_e32 v51, 0x7c010000
	s_mov_b32 s13, exec_lo
	v_cmpx_ne_u32_e32 0x7f, v54
	s_cbranch_execz .LBB293_711
; %bb.708:                              ;   in Loop: Header=BB293_417 Depth=1
	v_and_b32_e32 v51, 7, v2
	v_lshrrev_b32_e32 v53, 3, v54
	s_mov_b32 s17, exec_lo
	v_cmpx_gt_u32_e32 8, v54
; %bb.709:                              ;   in Loop: Header=BB293_417 Depth=1
	v_ffbh_u32_e32 v51, v51
	v_min_u32_e32 v51, 32, v51
	v_subrev_nc_u32_e32 v53, 28, v51
	v_lshlrev_b64 v[54:55], v53, v[2:3]
	v_sub_nc_u32_e32 v53, 29, v51
	v_and_b32_e32 v51, 7, v54
; %bb.710:                              ;   in Loop: Header=BB293_417 Depth=1
	s_or_b32 exec_lo, exec_lo, s17
	v_lshlrev_b32_e32 v2, 8, v2
	v_lshl_add_u32 v53, v53, 10, 0x2000
	v_lshlrev_b32_e32 v51, 23, v51
	v_and_or_b32 v2, 0x8000, v2, v53
	v_lshl_or_b32 v51, v2, 16, v51
.LBB293_711:                            ;   in Loop: Header=BB293_417 Depth=1
	s_or_b32 exec_lo, exec_lo, s13
.LBB293_712:                            ;   in Loop: Header=BB293_417 Depth=1
	s_or_b32 exec_lo, exec_lo, s12
.LBB293_713:                            ;   in Loop: Header=BB293_417 Depth=1
	s_or_b32 exec_lo, exec_lo, s9
	v_mov_b32_e32 v2, v11
	v_cmp_ne_u16_sdwa s0, v11, v3 src0_sel:BYTE_0 src1_sel:DWORD
	v_mov_b32_e32 v53, 0
	v_mov_b32_e32 v54, 0
	s_and_saveexec_b32 s9, s0
	s_cbranch_execz .LBB293_721
; %bb.714:                              ;   in Loop: Header=BB293_417 Depth=1
	v_cmp_ne_u16_sdwa s0, v11, v25 src0_sel:BYTE_0 src1_sel:DWORD
	v_mov_b32_e32 v54, 0x8000
	s_and_saveexec_b32 s12, s0
	s_cbranch_execz .LBB293_720
; %bb.715:                              ;   in Loop: Header=BB293_417 Depth=1
	v_and_b32_e32 v56, 0x7f, v11
	v_mov_b32_e32 v54, 0x7c01
	s_mov_b32 s13, exec_lo
	v_cmpx_ne_u32_e32 0x7f, v56
	s_cbranch_execz .LBB293_719
; %bb.716:                              ;   in Loop: Header=BB293_417 Depth=1
	v_and_b32_e32 v54, 7, v11
	v_lshrrev_b32_e32 v55, 3, v56
	s_mov_b32 s17, exec_lo
	v_cmpx_gt_u32_e32 8, v56
; %bb.717:                              ;   in Loop: Header=BB293_417 Depth=1
	v_ffbh_u32_e32 v54, v54
	v_min_u32_e32 v56, 32, v54
	v_subrev_nc_u32_e32 v54, 28, v56
	v_lshlrev_b64 v[54:55], v54, v[2:3]
	v_sub_nc_u32_e32 v55, 29, v56
	v_and_b32_e32 v54, 7, v54
; %bb.718:                              ;   in Loop: Header=BB293_417 Depth=1
	s_or_b32 exec_lo, exec_lo, s17
	v_lshlrev_b32_e32 v56, 8, v11
	v_lshl_add_u32 v55, v55, 10, 0x2000
	v_lshlrev_b32_e32 v54, 7, v54
	v_and_b32_e32 v56, 0x8000, v56
	v_and_b32_e32 v55, 0xfc00, v55
	v_or3_b32 v54, v56, v55, v54
.LBB293_719:                            ;   in Loop: Header=BB293_417 Depth=1
	s_or_b32 exec_lo, exec_lo, s13
.LBB293_720:                            ;   in Loop: Header=BB293_417 Depth=1
	s_or_b32 exec_lo, exec_lo, s12
.LBB293_721:                            ;   in Loop: Header=BB293_417 Depth=1
	s_or_b32 exec_lo, exec_lo, s9
	v_lshrrev_b16 v2, 8, v2
	v_mov_b32_e32 v55, 0
	s_mov_b32 s9, exec_lo
	v_cmpx_ne_u16_e32 0, v2
	s_cbranch_execz .LBB293_729
; %bb.722:                              ;   in Loop: Header=BB293_417 Depth=1
	v_bfrev_b32_e32 v55, 1
	s_mov_b32 s12, exec_lo
	v_cmpx_ne_u16_e32 0x80, v2
	s_cbranch_execz .LBB293_728
; %bb.723:                              ;   in Loop: Header=BB293_417 Depth=1
	v_and_b32_sdwa v57, v2, v26 dst_sel:DWORD dst_unused:UNUSED_PAD src0_sel:WORD_0 src1_sel:DWORD
	v_mov_b32_e32 v55, 0x7c010000
	s_mov_b32 s13, exec_lo
	v_cmpx_ne_u32_e32 0x7f, v57
	s_cbranch_execz .LBB293_727
; %bb.724:                              ;   in Loop: Header=BB293_417 Depth=1
	v_and_b32_sdwa v55, v2, v27 dst_sel:DWORD dst_unused:UNUSED_PAD src0_sel:WORD_0 src1_sel:DWORD
	v_lshrrev_b32_e32 v56, 3, v57
	s_mov_b32 s17, exec_lo
	v_cmpx_gt_u32_e32 8, v57
; %bb.725:                              ;   in Loop: Header=BB293_417 Depth=1
	v_ffbh_u32_e32 v55, v55
	v_min_u32_e32 v57, 32, v55
	v_subrev_nc_u32_e32 v55, 28, v57
	v_lshlrev_b64 v[55:56], v55, v[2:3]
	v_sub_nc_u32_e32 v56, 29, v57
	v_and_b32_e32 v55, 7, v55
; %bb.726:                              ;   in Loop: Header=BB293_417 Depth=1
	s_or_b32 exec_lo, exec_lo, s17
	v_lshlrev_b32_sdwa v2, v28, v2 dst_sel:DWORD dst_unused:UNUSED_PAD src0_sel:DWORD src1_sel:WORD_0
	v_lshl_add_u32 v56, v56, 10, 0x2000
	v_lshlrev_b32_e32 v55, 23, v55
	v_and_or_b32 v2, 0x8000, v2, v56
	v_lshl_or_b32 v55, v2, 16, v55
.LBB293_727:                            ;   in Loop: Header=BB293_417 Depth=1
	s_or_b32 exec_lo, exec_lo, s13
.LBB293_728:                            ;   in Loop: Header=BB293_417 Depth=1
	s_or_b32 exec_lo, exec_lo, s12
.LBB293_729:                            ;   in Loop: Header=BB293_417 Depth=1
	s_or_b32 exec_lo, exec_lo, s9
	v_lshrrev_b32_e32 v2, 16, v11
	v_cmp_ne_u16_sdwa s0, v2, v3 src0_sel:BYTE_0 src1_sel:DWORD
	s_and_saveexec_b32 s9, s0
	s_cbranch_execz .LBB293_737
; %bb.730:                              ;   in Loop: Header=BB293_417 Depth=1
	v_cmp_ne_u16_sdwa s0, v2, v25 src0_sel:BYTE_0 src1_sel:DWORD
	v_mov_b32_e32 v53, 0x8000
	s_and_saveexec_b32 s12, s0
	s_cbranch_execz .LBB293_736
; %bb.731:                              ;   in Loop: Header=BB293_417 Depth=1
	v_bfe_u32 v57, v11, 16, 7
	v_mov_b32_e32 v53, 0x7c01
	s_mov_b32 s13, exec_lo
	v_cmpx_ne_u32_e32 0x7f, v57
	s_cbranch_execz .LBB293_735
; %bb.732:                              ;   in Loop: Header=BB293_417 Depth=1
	v_and_b32_e32 v53, 7, v2
	v_lshrrev_b32_e32 v56, 3, v57
	s_mov_b32 s17, exec_lo
	v_cmpx_gt_u32_e32 8, v57
; %bb.733:                              ;   in Loop: Header=BB293_417 Depth=1
	v_ffbh_u32_e32 v53, v53
	v_min_u32_e32 v53, 32, v53
	v_subrev_nc_u32_e32 v56, 28, v53
	v_lshlrev_b64 v[57:58], v56, v[2:3]
	v_sub_nc_u32_e32 v56, 29, v53
	v_and_b32_e32 v53, 7, v57
; %bb.734:                              ;   in Loop: Header=BB293_417 Depth=1
	s_or_b32 exec_lo, exec_lo, s17
	v_lshlrev_b32_e32 v2, 8, v2
	v_lshl_add_u32 v56, v56, 10, 0x2000
	v_lshlrev_b32_e32 v53, 7, v53
	v_and_b32_e32 v2, 0x8000, v2
	v_and_b32_e32 v56, 0xfc00, v56
	v_or3_b32 v53, v2, v56, v53
.LBB293_735:                            ;   in Loop: Header=BB293_417 Depth=1
	s_or_b32 exec_lo, exec_lo, s13
.LBB293_736:                            ;   in Loop: Header=BB293_417 Depth=1
	s_or_b32 exec_lo, exec_lo, s12
.LBB293_737:                            ;   in Loop: Header=BB293_417 Depth=1
	s_or_b32 exec_lo, exec_lo, s9
	v_cmp_lt_u64_e64 s0, s[4:5], v[10:11]
	v_mov_b32_e32 v10, 0
	s_and_saveexec_b32 s9, s0
	s_cbranch_execz .LBB293_745
; %bb.738:                              ;   in Loop: Header=BB293_417 Depth=1
	v_lshrrev_b32_e32 v2, 24, v11
	v_bfrev_b32_e32 v10, 1
	s_mov_b32 s12, exec_lo
	v_cmpx_ne_u32_e32 0x80, v2
	s_cbranch_execz .LBB293_744
; %bb.739:                              ;   in Loop: Header=BB293_417 Depth=1
	v_and_b32_e32 v56, 0x7f, v2
	v_mov_b32_e32 v10, 0x7c010000
	s_mov_b32 s13, exec_lo
	v_cmpx_ne_u32_e32 0x7f, v56
	s_cbranch_execz .LBB293_743
; %bb.740:                              ;   in Loop: Header=BB293_417 Depth=1
	v_and_b32_e32 v10, 7, v2
	v_lshrrev_b32_e32 v11, 3, v56
	s_mov_b32 s17, exec_lo
	v_cmpx_gt_u32_e32 8, v56
; %bb.741:                              ;   in Loop: Header=BB293_417 Depth=1
	v_ffbh_u32_e32 v10, v10
	v_min_u32_e32 v56, 32, v10
	v_subrev_nc_u32_e32 v10, 28, v56
	v_lshlrev_b64 v[10:11], v10, v[2:3]
	v_sub_nc_u32_e32 v11, 29, v56
	v_and_b32_e32 v10, 7, v10
; %bb.742:                              ;   in Loop: Header=BB293_417 Depth=1
	s_or_b32 exec_lo, exec_lo, s17
	v_lshlrev_b32_e32 v2, 8, v2
	v_lshl_add_u32 v11, v11, 10, 0x2000
	v_lshlrev_b32_e32 v10, 23, v10
	v_and_or_b32 v2, 0x8000, v2, v11
	v_lshl_or_b32 v10, v2, 16, v10
.LBB293_743:                            ;   in Loop: Header=BB293_417 Depth=1
	s_or_b32 exec_lo, exec_lo, s13
.LBB293_744:                            ;   in Loop: Header=BB293_417 Depth=1
	s_or_b32 exec_lo, exec_lo, s12
.LBB293_745:                            ;   in Loop: Header=BB293_417 Depth=1
	s_or_b32 exec_lo, exec_lo, s9
	v_or_b32_e32 v2, v51, v52
	s_waitcnt vmcnt(0)
	v_fma_mixlo_f16 v11, v48, v51, 0 op_sel:[0,1,0] op_sel_hi:[0,1,0]
	v_or_b32_e32 v51, v49, v50
	v_fma_mixlo_f16 v49, v48, v49, 0 op_sel:[0,1,0] op_sel_hi:[0,1,0]
	v_or_b32_e32 v52, v55, v54
	v_or_b32_e32 v53, v10, v53
	v_fma_mixlo_f16 v54, v48, v2, 0 op_sel_hi:[0,1,0]
	v_fma_mixlo_f16 v10, v48, v10, 0 op_sel:[0,1,0] op_sel_hi:[0,1,0]
	v_lshlrev_b32_e32 v50, 16, v49
	v_fma_mixlo_f16 v49, v48, v51, 0 op_sel_hi:[0,1,0]
	v_fma_mixlo_f16 v51, v48, v55, 0 op_sel:[0,1,0] op_sel_hi:[0,1,0]
	v_fma_mixlo_f16 v52, v48, v52, 0 op_sel_hi:[0,1,0]
	v_fma_mixlo_f16 v53, v48, v53, 0 op_sel_hi:[0,1,0]
	v_lshlrev_b32_e32 v2, 16, v11
	v_and_b32_e32 v11, 0xffff, v54
	v_and_b32_e32 v56, 0xffff, v49
	v_lshlrev_b32_e32 v48, 16, v51
	v_and_b32_e32 v52, 0xffff, v52
	v_lshlrev_b32_e32 v10, 16, v10
	v_and_b32_e32 v49, 0xffff, v53
	v_or_b32_e32 v51, v2, v11
	v_or_b32_e32 v55, v50, v56
	;; [unrolled: 1-line block ×4, first 2 shown]
	s_and_saveexec_b32 s9, vcc_lo
	s_cbranch_execz .LBB293_747
; %bb.746:                              ;   in Loop: Header=BB293_417 Depth=1
	v_cmp_gt_i32_e64 s0, s27, v29
	v_cndmask_b32_e64 v51, 0, v56, s0
	v_cmp_gt_i32_e64 s0, s27, v35
	v_cndmask_b32_e64 v50, 0, v50, s0
	v_cmp_gt_i32_e64 s0, s27, v34
	v_or_b32_e32 v55, v50, v51
	v_cndmask_b32_e64 v11, 0, v11, s0
	v_cmp_gt_i32_e64 s0, s27, v33
	v_cndmask_b32_e64 v2, 0, v2, s0
	v_cmp_gt_i32_e64 s0, s27, v32
	v_or_b32_e32 v51, v2, v11
	;; [unrolled: 5-line block ×3, first 2 shown]
	v_cndmask_b32_e64 v49, 0, v49, s0
	v_cmp_gt_i32_e64 s0, s27, v15
	v_cndmask_b32_e64 v10, 0, v10, s0
	v_or_b32_e32 v53, v10, v49
.LBB293_747:                            ;   in Loop: Header=BB293_417 Depth=1
	s_or_b32 exec_lo, exec_lo, s9
	;;#ASMSTART
	v_pk_mul_f16 v2, v41, v55;

	;;#ASMEND
	;;#ASMSTART
	v_pk_mul_f16 v10, v39, v51;

	;;#ASMEND
	;; [unrolled: 4-line block ×4, first 2 shown]
	;;#ASMSTART
	v_pk_add_f16 v2, v2, v10;

	;;#ASMEND
	;;#ASMSTART
	v_pk_add_f16 v2, v2, v11;

	;;#ASMEND
	;; [unrolled: 4-line block ×3, first 2 shown]
	v_and_b32_e32 v10, 0xffff, v2
	v_lshrrev_b32_e32 v2, 16, v2
	;;#ASMSTART
	v_cvt_f32_f16 v10, v10;
	;;#ASMEND
	;;#ASMSTART
	v_cvt_f32_f16 v11, v2;
	;;#ASMEND
	global_load_dwordx2 v[8:9], v[8:9], off offset:1280
	v_mov_b32_e32 v49, 0
	v_mov_b32_e32 v50, 0
	global_load_dword v48, v49, s[14:15]
	s_waitcnt vmcnt(1)
	v_cmp_ne_u16_sdwa s0, v8, v3 src0_sel:BYTE_0 src1_sel:DWORD
	s_and_saveexec_b32 s9, s0
	s_cbranch_execz .LBB293_755
; %bb.748:                              ;   in Loop: Header=BB293_417 Depth=1
	v_cmp_ne_u16_sdwa s0, v8, v25 src0_sel:BYTE_0 src1_sel:DWORD
	v_mov_b32_e32 v50, 0x8000
	s_and_saveexec_b32 s12, s0
	s_cbranch_execz .LBB293_754
; %bb.749:                              ;   in Loop: Header=BB293_417 Depth=1
	v_and_b32_e32 v51, 0x7f, v8
	v_mov_b32_e32 v50, 0x7c01
	s_mov_b32 s13, exec_lo
	v_cmpx_ne_u32_e32 0x7f, v51
	s_cbranch_execz .LBB293_753
; %bb.750:                              ;   in Loop: Header=BB293_417 Depth=1
	v_and_b32_e32 v2, 7, v8
	v_lshrrev_b32_e32 v50, 3, v51
	s_mov_b32 s17, exec_lo
	v_cmpx_gt_u32_e32 8, v51
; %bb.751:                              ;   in Loop: Header=BB293_417 Depth=1
	v_ffbh_u32_e32 v2, v2
	v_min_u32_e32 v2, 32, v2
	v_subrev_nc_u32_e32 v50, 28, v2
	v_lshlrev_b64 v[51:52], v50, v[8:9]
	v_sub_nc_u32_e32 v50, 29, v2
	v_and_b32_e32 v2, 7, v51
; %bb.752:                              ;   in Loop: Header=BB293_417 Depth=1
	s_or_b32 exec_lo, exec_lo, s17
	v_lshlrev_b32_e32 v51, 8, v8
	v_lshl_add_u32 v50, v50, 10, 0x2000
	v_lshlrev_b32_e32 v2, 7, v2
	v_and_b32_e32 v51, 0x8000, v51
	v_and_b32_e32 v50, 0xfc00, v50
	v_or3_b32 v50, v51, v50, v2
.LBB293_753:                            ;   in Loop: Header=BB293_417 Depth=1
	s_or_b32 exec_lo, exec_lo, s13
.LBB293_754:                            ;   in Loop: Header=BB293_417 Depth=1
	s_or_b32 exec_lo, exec_lo, s12
.LBB293_755:                            ;   in Loop: Header=BB293_417 Depth=1
	s_or_b32 exec_lo, exec_lo, s9
	v_lshrrev_b16 v2, 8, v8
	s_mov_b32 s9, exec_lo
	v_cmpx_ne_u16_e32 0, v2
	s_cbranch_execz .LBB293_763
; %bb.756:                              ;   in Loop: Header=BB293_417 Depth=1
	v_bfrev_b32_e32 v49, 1
	s_mov_b32 s12, exec_lo
	v_cmpx_ne_u16_e32 0x80, v2
	s_cbranch_execz .LBB293_762
; %bb.757:                              ;   in Loop: Header=BB293_417 Depth=1
	v_and_b32_sdwa v52, v2, v26 dst_sel:DWORD dst_unused:UNUSED_PAD src0_sel:WORD_0 src1_sel:DWORD
	v_mov_b32_e32 v49, 0x7c010000
	s_mov_b32 s13, exec_lo
	v_cmpx_ne_u32_e32 0x7f, v52
	s_cbranch_execz .LBB293_761
; %bb.758:                              ;   in Loop: Header=BB293_417 Depth=1
	v_and_b32_sdwa v49, v2, v27 dst_sel:DWORD dst_unused:UNUSED_PAD src0_sel:WORD_0 src1_sel:DWORD
	v_lshrrev_b32_e32 v51, 3, v52
	s_mov_b32 s17, exec_lo
	v_cmpx_gt_u32_e32 8, v52
; %bb.759:                              ;   in Loop: Header=BB293_417 Depth=1
	v_ffbh_u32_e32 v49, v49
	v_min_u32_e32 v49, 32, v49
	v_subrev_nc_u32_e32 v51, 28, v49
	v_lshlrev_b64 v[52:53], v51, v[2:3]
	v_sub_nc_u32_e32 v51, 29, v49
	v_and_b32_e32 v49, 7, v52
; %bb.760:                              ;   in Loop: Header=BB293_417 Depth=1
	s_or_b32 exec_lo, exec_lo, s17
	v_lshlrev_b32_sdwa v2, v28, v2 dst_sel:DWORD dst_unused:UNUSED_PAD src0_sel:DWORD src1_sel:WORD_0
	v_lshl_add_u32 v51, v51, 10, 0x2000
	v_lshlrev_b32_e32 v49, 23, v49
	v_and_or_b32 v2, 0x8000, v2, v51
	v_lshl_or_b32 v49, v2, 16, v49
.LBB293_761:                            ;   in Loop: Header=BB293_417 Depth=1
	s_or_b32 exec_lo, exec_lo, s13
.LBB293_762:                            ;   in Loop: Header=BB293_417 Depth=1
	s_or_b32 exec_lo, exec_lo, s12
.LBB293_763:                            ;   in Loop: Header=BB293_417 Depth=1
	s_or_b32 exec_lo, exec_lo, s9
	v_lshrrev_b32_e32 v2, 16, v8
	v_mov_b32_e32 v51, 0
	v_mov_b32_e32 v52, 0
	v_cmp_ne_u16_sdwa s0, v2, v3 src0_sel:BYTE_0 src1_sel:DWORD
	s_and_saveexec_b32 s9, s0
	s_cbranch_execz .LBB293_771
; %bb.764:                              ;   in Loop: Header=BB293_417 Depth=1
	v_cmp_ne_u16_sdwa s0, v2, v25 src0_sel:BYTE_0 src1_sel:DWORD
	v_mov_b32_e32 v52, 0x8000
	s_and_saveexec_b32 s12, s0
	s_cbranch_execz .LBB293_770
; %bb.765:                              ;   in Loop: Header=BB293_417 Depth=1
	v_bfe_u32 v54, v8, 16, 7
	v_mov_b32_e32 v52, 0x7c01
	s_mov_b32 s13, exec_lo
	v_cmpx_ne_u32_e32 0x7f, v54
	s_cbranch_execz .LBB293_769
; %bb.766:                              ;   in Loop: Header=BB293_417 Depth=1
	v_and_b32_e32 v52, 7, v2
	v_lshrrev_b32_e32 v53, 3, v54
	s_mov_b32 s17, exec_lo
	v_cmpx_gt_u32_e32 8, v54
; %bb.767:                              ;   in Loop: Header=BB293_417 Depth=1
	v_ffbh_u32_e32 v52, v52
	v_min_u32_e32 v54, 32, v52
	v_subrev_nc_u32_e32 v52, 28, v54
	v_lshlrev_b64 v[52:53], v52, v[2:3]
	v_sub_nc_u32_e32 v53, 29, v54
	v_and_b32_e32 v52, 7, v52
; %bb.768:                              ;   in Loop: Header=BB293_417 Depth=1
	s_or_b32 exec_lo, exec_lo, s17
	v_lshlrev_b32_e32 v2, 8, v2
	v_lshl_add_u32 v53, v53, 10, 0x2000
	v_lshlrev_b32_e32 v52, 7, v52
	v_and_b32_e32 v2, 0x8000, v2
	v_and_b32_e32 v53, 0xfc00, v53
	v_or3_b32 v52, v2, v53, v52
.LBB293_769:                            ;   in Loop: Header=BB293_417 Depth=1
	s_or_b32 exec_lo, exec_lo, s13
.LBB293_770:                            ;   in Loop: Header=BB293_417 Depth=1
	s_or_b32 exec_lo, exec_lo, s12
.LBB293_771:                            ;   in Loop: Header=BB293_417 Depth=1
	s_or_b32 exec_lo, exec_lo, s9
	s_mov_b32 s9, exec_lo
	v_cmpx_lt_u32_e32 0xffffff, v8
	s_cbranch_execz .LBB293_779
; %bb.772:                              ;   in Loop: Header=BB293_417 Depth=1
	v_lshrrev_b32_e32 v2, 24, v8
	v_bfrev_b32_e32 v51, 1
	s_mov_b32 s12, exec_lo
	v_cmpx_ne_u32_e32 0x80, v2
	s_cbranch_execz .LBB293_778
; %bb.773:                              ;   in Loop: Header=BB293_417 Depth=1
	v_and_b32_e32 v54, 0x7f, v2
	v_mov_b32_e32 v51, 0x7c010000
	s_mov_b32 s13, exec_lo
	v_cmpx_ne_u32_e32 0x7f, v54
	s_cbranch_execz .LBB293_777
; %bb.774:                              ;   in Loop: Header=BB293_417 Depth=1
	v_and_b32_e32 v51, 7, v2
	v_lshrrev_b32_e32 v53, 3, v54
	s_mov_b32 s17, exec_lo
	v_cmpx_gt_u32_e32 8, v54
; %bb.775:                              ;   in Loop: Header=BB293_417 Depth=1
	v_ffbh_u32_e32 v51, v51
	v_min_u32_e32 v51, 32, v51
	v_subrev_nc_u32_e32 v53, 28, v51
	v_lshlrev_b64 v[54:55], v53, v[2:3]
	v_sub_nc_u32_e32 v53, 29, v51
	v_and_b32_e32 v51, 7, v54
; %bb.776:                              ;   in Loop: Header=BB293_417 Depth=1
	s_or_b32 exec_lo, exec_lo, s17
	v_lshlrev_b32_e32 v2, 8, v2
	v_lshl_add_u32 v53, v53, 10, 0x2000
	v_lshlrev_b32_e32 v51, 23, v51
	v_and_or_b32 v2, 0x8000, v2, v53
	v_lshl_or_b32 v51, v2, 16, v51
.LBB293_777:                            ;   in Loop: Header=BB293_417 Depth=1
	s_or_b32 exec_lo, exec_lo, s13
.LBB293_778:                            ;   in Loop: Header=BB293_417 Depth=1
	s_or_b32 exec_lo, exec_lo, s12
.LBB293_779:                            ;   in Loop: Header=BB293_417 Depth=1
	s_or_b32 exec_lo, exec_lo, s9
	v_mov_b32_e32 v2, v9
	v_cmp_ne_u16_sdwa s0, v9, v3 src0_sel:BYTE_0 src1_sel:DWORD
	v_mov_b32_e32 v53, 0
	v_mov_b32_e32 v54, 0
	s_and_saveexec_b32 s9, s0
	s_cbranch_execz .LBB293_787
; %bb.780:                              ;   in Loop: Header=BB293_417 Depth=1
	v_cmp_ne_u16_sdwa s0, v9, v25 src0_sel:BYTE_0 src1_sel:DWORD
	v_mov_b32_e32 v54, 0x8000
	s_and_saveexec_b32 s12, s0
	s_cbranch_execz .LBB293_786
; %bb.781:                              ;   in Loop: Header=BB293_417 Depth=1
	v_and_b32_e32 v56, 0x7f, v9
	v_mov_b32_e32 v54, 0x7c01
	s_mov_b32 s13, exec_lo
	v_cmpx_ne_u32_e32 0x7f, v56
	s_cbranch_execz .LBB293_785
; %bb.782:                              ;   in Loop: Header=BB293_417 Depth=1
	v_and_b32_e32 v54, 7, v9
	v_lshrrev_b32_e32 v55, 3, v56
	s_mov_b32 s17, exec_lo
	v_cmpx_gt_u32_e32 8, v56
; %bb.783:                              ;   in Loop: Header=BB293_417 Depth=1
	v_ffbh_u32_e32 v54, v54
	v_min_u32_e32 v56, 32, v54
	v_subrev_nc_u32_e32 v54, 28, v56
	v_lshlrev_b64 v[54:55], v54, v[2:3]
	v_sub_nc_u32_e32 v55, 29, v56
	v_and_b32_e32 v54, 7, v54
; %bb.784:                              ;   in Loop: Header=BB293_417 Depth=1
	s_or_b32 exec_lo, exec_lo, s17
	v_lshlrev_b32_e32 v56, 8, v9
	v_lshl_add_u32 v55, v55, 10, 0x2000
	v_lshlrev_b32_e32 v54, 7, v54
	v_and_b32_e32 v56, 0x8000, v56
	v_and_b32_e32 v55, 0xfc00, v55
	v_or3_b32 v54, v56, v55, v54
.LBB293_785:                            ;   in Loop: Header=BB293_417 Depth=1
	s_or_b32 exec_lo, exec_lo, s13
.LBB293_786:                            ;   in Loop: Header=BB293_417 Depth=1
	s_or_b32 exec_lo, exec_lo, s12
.LBB293_787:                            ;   in Loop: Header=BB293_417 Depth=1
	s_or_b32 exec_lo, exec_lo, s9
	v_lshrrev_b16 v2, 8, v2
	v_mov_b32_e32 v55, 0
	s_mov_b32 s9, exec_lo
	v_cmpx_ne_u16_e32 0, v2
	s_cbranch_execz .LBB293_795
; %bb.788:                              ;   in Loop: Header=BB293_417 Depth=1
	v_bfrev_b32_e32 v55, 1
	s_mov_b32 s12, exec_lo
	v_cmpx_ne_u16_e32 0x80, v2
	s_cbranch_execz .LBB293_794
; %bb.789:                              ;   in Loop: Header=BB293_417 Depth=1
	v_and_b32_sdwa v57, v2, v26 dst_sel:DWORD dst_unused:UNUSED_PAD src0_sel:WORD_0 src1_sel:DWORD
	v_mov_b32_e32 v55, 0x7c010000
	s_mov_b32 s13, exec_lo
	v_cmpx_ne_u32_e32 0x7f, v57
	s_cbranch_execz .LBB293_793
; %bb.790:                              ;   in Loop: Header=BB293_417 Depth=1
	v_and_b32_sdwa v55, v2, v27 dst_sel:DWORD dst_unused:UNUSED_PAD src0_sel:WORD_0 src1_sel:DWORD
	v_lshrrev_b32_e32 v56, 3, v57
	s_mov_b32 s17, exec_lo
	v_cmpx_gt_u32_e32 8, v57
; %bb.791:                              ;   in Loop: Header=BB293_417 Depth=1
	v_ffbh_u32_e32 v55, v55
	v_min_u32_e32 v57, 32, v55
	v_subrev_nc_u32_e32 v55, 28, v57
	v_lshlrev_b64 v[55:56], v55, v[2:3]
	v_sub_nc_u32_e32 v56, 29, v57
	v_and_b32_e32 v55, 7, v55
; %bb.792:                              ;   in Loop: Header=BB293_417 Depth=1
	s_or_b32 exec_lo, exec_lo, s17
	v_lshlrev_b32_sdwa v2, v28, v2 dst_sel:DWORD dst_unused:UNUSED_PAD src0_sel:DWORD src1_sel:WORD_0
	v_lshl_add_u32 v56, v56, 10, 0x2000
	v_lshlrev_b32_e32 v55, 23, v55
	v_and_or_b32 v2, 0x8000, v2, v56
	v_lshl_or_b32 v55, v2, 16, v55
.LBB293_793:                            ;   in Loop: Header=BB293_417 Depth=1
	s_or_b32 exec_lo, exec_lo, s13
.LBB293_794:                            ;   in Loop: Header=BB293_417 Depth=1
	s_or_b32 exec_lo, exec_lo, s12
.LBB293_795:                            ;   in Loop: Header=BB293_417 Depth=1
	s_or_b32 exec_lo, exec_lo, s9
	v_lshrrev_b32_e32 v2, 16, v9
	v_cmp_ne_u16_sdwa s0, v2, v3 src0_sel:BYTE_0 src1_sel:DWORD
	s_and_saveexec_b32 s9, s0
	s_cbranch_execz .LBB293_803
; %bb.796:                              ;   in Loop: Header=BB293_417 Depth=1
	v_cmp_ne_u16_sdwa s0, v2, v25 src0_sel:BYTE_0 src1_sel:DWORD
	v_mov_b32_e32 v53, 0x8000
	s_and_saveexec_b32 s12, s0
	s_cbranch_execz .LBB293_802
; %bb.797:                              ;   in Loop: Header=BB293_417 Depth=1
	v_bfe_u32 v57, v9, 16, 7
	v_mov_b32_e32 v53, 0x7c01
	s_mov_b32 s13, exec_lo
	v_cmpx_ne_u32_e32 0x7f, v57
	s_cbranch_execz .LBB293_801
; %bb.798:                              ;   in Loop: Header=BB293_417 Depth=1
	v_and_b32_e32 v53, 7, v2
	v_lshrrev_b32_e32 v56, 3, v57
	s_mov_b32 s17, exec_lo
	v_cmpx_gt_u32_e32 8, v57
; %bb.799:                              ;   in Loop: Header=BB293_417 Depth=1
	v_ffbh_u32_e32 v53, v53
	v_min_u32_e32 v53, 32, v53
	v_subrev_nc_u32_e32 v56, 28, v53
	v_lshlrev_b64 v[57:58], v56, v[2:3]
	v_sub_nc_u32_e32 v56, 29, v53
	v_and_b32_e32 v53, 7, v57
; %bb.800:                              ;   in Loop: Header=BB293_417 Depth=1
	s_or_b32 exec_lo, exec_lo, s17
	v_lshlrev_b32_e32 v2, 8, v2
	v_lshl_add_u32 v56, v56, 10, 0x2000
	v_lshlrev_b32_e32 v53, 7, v53
	v_and_b32_e32 v2, 0x8000, v2
	v_and_b32_e32 v56, 0xfc00, v56
	v_or3_b32 v53, v2, v56, v53
.LBB293_801:                            ;   in Loop: Header=BB293_417 Depth=1
	s_or_b32 exec_lo, exec_lo, s13
.LBB293_802:                            ;   in Loop: Header=BB293_417 Depth=1
	s_or_b32 exec_lo, exec_lo, s12
.LBB293_803:                            ;   in Loop: Header=BB293_417 Depth=1
	s_or_b32 exec_lo, exec_lo, s9
	v_cmp_lt_u64_e64 s0, s[4:5], v[8:9]
	v_mov_b32_e32 v8, 0
	s_and_saveexec_b32 s9, s0
	s_cbranch_execz .LBB293_811
; %bb.804:                              ;   in Loop: Header=BB293_417 Depth=1
	v_lshrrev_b32_e32 v2, 24, v9
	v_bfrev_b32_e32 v8, 1
	s_mov_b32 s12, exec_lo
	v_cmpx_ne_u32_e32 0x80, v2
	s_cbranch_execz .LBB293_810
; %bb.805:                              ;   in Loop: Header=BB293_417 Depth=1
	v_and_b32_e32 v56, 0x7f, v2
	v_mov_b32_e32 v8, 0x7c010000
	s_mov_b32 s13, exec_lo
	v_cmpx_ne_u32_e32 0x7f, v56
	s_cbranch_execz .LBB293_809
; %bb.806:                              ;   in Loop: Header=BB293_417 Depth=1
	v_and_b32_e32 v8, 7, v2
	v_lshrrev_b32_e32 v9, 3, v56
	s_mov_b32 s17, exec_lo
	v_cmpx_gt_u32_e32 8, v56
; %bb.807:                              ;   in Loop: Header=BB293_417 Depth=1
	v_ffbh_u32_e32 v8, v8
	v_min_u32_e32 v56, 32, v8
	v_subrev_nc_u32_e32 v8, 28, v56
	v_lshlrev_b64 v[8:9], v8, v[2:3]
	v_sub_nc_u32_e32 v9, 29, v56
	v_and_b32_e32 v8, 7, v8
; %bb.808:                              ;   in Loop: Header=BB293_417 Depth=1
	s_or_b32 exec_lo, exec_lo, s17
	v_lshlrev_b32_e32 v2, 8, v2
	v_lshl_add_u32 v9, v9, 10, 0x2000
	v_lshlrev_b32_e32 v8, 23, v8
	v_and_or_b32 v2, 0x8000, v2, v9
	v_lshl_or_b32 v8, v2, 16, v8
.LBB293_809:                            ;   in Loop: Header=BB293_417 Depth=1
	s_or_b32 exec_lo, exec_lo, s13
.LBB293_810:                            ;   in Loop: Header=BB293_417 Depth=1
	s_or_b32 exec_lo, exec_lo, s12
.LBB293_811:                            ;   in Loop: Header=BB293_417 Depth=1
	s_or_b32 exec_lo, exec_lo, s9
	v_or_b32_e32 v2, v51, v52
	s_waitcnt vmcnt(0)
	v_fma_mixlo_f16 v9, v48, v51, 0 op_sel:[0,1,0] op_sel_hi:[0,1,0]
	v_or_b32_e32 v50, v49, v50
	v_fma_mixlo_f16 v51, v48, v49, 0 op_sel:[0,1,0] op_sel_hi:[0,1,0]
	v_or_b32_e32 v52, v55, v54
	v_fma_mixlo_f16 v2, v48, v2, 0 op_sel_hi:[0,1,0]
	v_or_b32_e32 v53, v8, v53
	v_lshlrev_b32_e32 v49, 16, v9
	v_lshlrev_b32_e32 v54, 16, v51
	v_fma_mixlo_f16 v9, v48, v50, 0 op_sel_hi:[0,1,0]
	v_and_b32_e32 v51, 0xffff, v2
	v_fma_mixlo_f16 v2, v48, v55, 0 op_sel:[0,1,0] op_sel_hi:[0,1,0]
	v_fma_mixlo_f16 v50, v48, v52, 0 op_sel_hi:[0,1,0]
	v_fma_mixlo_f16 v8, v48, v8, 0 op_sel:[0,1,0] op_sel_hi:[0,1,0]
	v_fma_mixlo_f16 v48, v48, v53, 0 op_sel_hi:[0,1,0]
	v_and_b32_e32 v56, 0xffff, v9
	v_lshlrev_b32_e32 v52, 16, v2
	v_and_b32_e32 v55, 0xffff, v50
	v_lshlrev_b32_e32 v50, 16, v8
	v_and_b32_e32 v53, 0xffff, v48
	v_or_b32_e32 v9, v49, v51
	v_or_b32_e32 v48, v54, v56
	;; [unrolled: 1-line block ×4, first 2 shown]
	s_and_saveexec_b32 s0, vcc_lo
	s_cbranch_execz .LBB293_416
; %bb.812:                              ;   in Loop: Header=BB293_417 Depth=1
	v_cmp_gt_i32_e32 vcc_lo, s27, v29
	v_cndmask_b32_e32 v2, 0, v56, vcc_lo
	v_cmp_gt_i32_e32 vcc_lo, s27, v35
	v_cndmask_b32_e32 v8, 0, v54, vcc_lo
	v_cmp_gt_i32_e32 vcc_lo, s27, v34
	v_or_b32_e32 v48, v8, v2
	v_cndmask_b32_e32 v9, 0, v51, vcc_lo
	v_cmp_gt_i32_e32 vcc_lo, s27, v33
	v_cndmask_b32_e32 v29, 0, v49, vcc_lo
	v_cmp_gt_i32_e32 vcc_lo, s27, v32
	v_or_b32_e32 v9, v29, v9
	v_cndmask_b32_e32 v32, 0, v55, vcc_lo
	v_cmp_gt_i32_e32 vcc_lo, s27, v31
	v_cndmask_b32_e32 v31, 0, v52, vcc_lo
	v_cmp_gt_i32_e32 vcc_lo, s27, v30
	v_or_b32_e32 v8, v31, v32
	v_cndmask_b32_e32 v30, 0, v53, vcc_lo
	v_cmp_gt_i32_e32 vcc_lo, s27, v15
	v_cndmask_b32_e32 v33, 0, v50, vcc_lo
	v_or_b32_e32 v2, v33, v30
	s_branch .LBB293_416
.LBB293_813:
	s_or_b32 exec_lo, exec_lo, s6
.LBB293_814:
	s_or_b32 exec_lo, exec_lo, s1
	ds_bpermute_b32 v1, v18, v22
	ds_bpermute_b32 v2, v18, v23
	;; [unrolled: 1-line block ×6, first 2 shown]
	v_lshrrev_b32_e32 v7, 1, v17
	v_mul_u32_u24_e32 v9, 0x180, v14
	v_and_b32_e32 v14, 0x3c1, v0
	s_mov_b32 s0, exec_lo
	s_waitcnt lgkmcnt(0)
	s_waitcnt_vscnt null, 0x0
	v_lshl_add_u32 v8, v7, 2, 0xe0
	s_barrier
	buffer_gl0_inv
	v_add_f32_e32 v6, v22, v1
	v_add_f32_e32 v5, v23, v2
	;; [unrolled: 1-line block ×6, first 2 shown]
	v_cmpx_eq_u32_e32 64, v14
	s_cbranch_execz .LBB293_816
; %bb.815:
	v_add_nc_u32_e32 v10, v8, v9
	v_add_nc_u32_e32 v11, 0xfffffd00, v10
	v_add_nc_u32_e32 v14, 0xfffffd40, v10
	v_add_nc_u32_e32 v15, 0xfffffd80, v10
	v_add_nc_u32_e32 v16, 0xfffffdc0, v10
	v_add_nc_u32_e32 v17, 0xfffffe00, v10
	v_add_nc_u32_e32 v10, 0xfffffe40, v10
	ds_write_b32 v11, v6
	ds_write_b32 v14, v5
	;; [unrolled: 1-line block ×6, first 2 shown]
.LBB293_816:
	s_or_b32 exec_lo, exec_lo, s0
	v_lshlrev_b32_e32 v7, 2, v7
	s_mov_b32 s1, exec_lo
	v_cmp_eq_u32_e32 vcc_lo, 0, v13
	s_waitcnt lgkmcnt(0)
	s_barrier
	v_add3_u32 v7, 0xe0, v9, v7
	buffer_gl0_inv
	v_cmpx_gt_u32_e32 64, v0
	s_cbranch_execz .LBB293_825
; %bb.817:
	s_and_saveexec_b32 s0, vcc_lo
	s_cbranch_execnz .LBB293_839
; %bb.818:
	s_or_b32 exec_lo, exec_lo, s0
	s_and_saveexec_b32 s0, vcc_lo
	s_cbranch_execnz .LBB293_840
.LBB293_819:
	s_or_b32 exec_lo, exec_lo, s0
	s_and_saveexec_b32 s0, vcc_lo
	s_cbranch_execnz .LBB293_841
.LBB293_820:
	s_or_b32 exec_lo, exec_lo, s0
	s_and_saveexec_b32 s0, vcc_lo
	s_cbranch_execnz .LBB293_842
.LBB293_821:
	s_or_b32 exec_lo, exec_lo, s0
	s_and_saveexec_b32 s0, vcc_lo
	s_cbranch_execnz .LBB293_843
.LBB293_822:
	s_or_b32 exec_lo, exec_lo, s0
	s_and_saveexec_b32 s0, vcc_lo
	s_cbranch_execz .LBB293_824
.LBB293_823:
	ds_read_b32 v9, v7 offset:320
	s_waitcnt lgkmcnt(0)
	v_add_f32_e32 v1, v1, v9
.LBB293_824:
	s_or_b32 exec_lo, exec_lo, s0
.LBB293_825:
	s_or_b32 exec_lo, exec_lo, s1
	v_and_b32_e32 v9, 0x3e1, v0
	s_mov_b32 s1, exec_lo
	s_barrier
	buffer_gl0_inv
	v_cmpx_eq_u32_e32 32, v9
	s_cbranch_execz .LBB293_827
; %bb.826:
	ds_write2_b32 v8, v6, v5 offset1:16
	ds_write2_b32 v8, v4, v3 offset0:32 offset1:48
	ds_write2_b32 v8, v2, v1 offset0:64 offset1:80
.LBB293_827:
	s_or_b32 exec_lo, exec_lo, s1
	s_mov_b32 s1, exec_lo
	s_waitcnt lgkmcnt(0)
	s_barrier
	buffer_gl0_inv
	v_cmpx_gt_u32_e32 32, v0
	s_cbranch_execz .LBB293_836
; %bb.828:
	s_and_saveexec_b32 s0, vcc_lo
	s_cbranch_execnz .LBB293_844
; %bb.829:
	s_or_b32 exec_lo, exec_lo, s0
	s_and_saveexec_b32 s0, vcc_lo
	s_cbranch_execnz .LBB293_845
.LBB293_830:
	s_or_b32 exec_lo, exec_lo, s0
	s_and_saveexec_b32 s0, vcc_lo
	s_cbranch_execnz .LBB293_846
.LBB293_831:
	s_or_b32 exec_lo, exec_lo, s0
	s_and_saveexec_b32 s0, vcc_lo
	s_cbranch_execnz .LBB293_847
.LBB293_832:
	s_or_b32 exec_lo, exec_lo, s0
	s_and_saveexec_b32 s0, vcc_lo
	s_cbranch_execnz .LBB293_848
.LBB293_833:
	s_or_b32 exec_lo, exec_lo, s0
	s_and_saveexec_b32 s0, vcc_lo
	s_cbranch_execz .LBB293_835
.LBB293_834:
	ds_read_b32 v0, v7 offset:320
	s_waitcnt lgkmcnt(0)
	v_add_f32_e32 v1, v1, v0
.LBB293_835:
	s_or_b32 exec_lo, exec_lo, s0
.LBB293_836:
	s_or_b32 exec_lo, exec_lo, s1
	s_barrier
	buffer_gl0_inv
	s_mov_b32 s0, exec_lo
	v_cmpx_eq_u32_e32 0, v9
	s_cbranch_execz .LBB293_838
; %bb.837:
	s_mul_i32 s0, s2, 0x60
	s_mul_i32 s2, s7, s10
	s_ashr_i32 s1, s0, 31
	v_lshlrev_b32_e32 v0, 1, v12
	s_lshl_b64 s[0:1], s[0:1], 1
	;;#ASMSTART
	v_cvt_f16_f32 v6, v6;

	;;#ASMEND
	s_add_u32 s4, s24, s0
	s_addc_u32 s5, s25, s1
	s_ashr_i32 s3, s2, 31
	s_lshl_b64 s[0:1], s[2:3], 1
	s_mul_i32 s2, s8, 0x60
	s_add_u32 s4, s4, s0
	s_addc_u32 s5, s5, s1
	s_ashr_i32 s3, s2, 31
	s_lshl_b64 s[0:1], s[2:3], 1
	s_add_u32 s0, s4, s0
	s_addc_u32 s1, s5, s1
	global_store_short v0, v6, s[0:1]
	;;#ASMSTART
	v_cvt_f16_f32 v5, v5;

	;;#ASMEND
	global_store_short v0, v5, s[0:1] offset:32
	;;#ASMSTART
	v_cvt_f16_f32 v4, v4;

	;;#ASMEND
	global_store_short v0, v4, s[0:1] offset:64
	;; [unrolled: 5-line block ×5, first 2 shown]
.LBB293_838:
	s_endpgm
.LBB293_839:
	ds_read_b32 v9, v7
	s_waitcnt lgkmcnt(0)
	v_add_f32_e32 v6, v6, v9
	s_or_b32 exec_lo, exec_lo, s0
	s_and_saveexec_b32 s0, vcc_lo
	s_cbranch_execz .LBB293_819
.LBB293_840:
	ds_read_b32 v9, v7 offset:64
	s_waitcnt lgkmcnt(0)
	v_add_f32_e32 v5, v5, v9
	s_or_b32 exec_lo, exec_lo, s0
	s_and_saveexec_b32 s0, vcc_lo
	s_cbranch_execz .LBB293_820
.LBB293_841:
	ds_read_b32 v9, v7 offset:128
	s_waitcnt lgkmcnt(0)
	v_add_f32_e32 v4, v4, v9
	s_or_b32 exec_lo, exec_lo, s0
	s_and_saveexec_b32 s0, vcc_lo
	s_cbranch_execz .LBB293_821
.LBB293_842:
	ds_read_b32 v9, v7 offset:192
	s_waitcnt lgkmcnt(0)
	v_add_f32_e32 v3, v3, v9
	s_or_b32 exec_lo, exec_lo, s0
	s_and_saveexec_b32 s0, vcc_lo
	s_cbranch_execz .LBB293_822
.LBB293_843:
	ds_read_b32 v9, v7 offset:256
	s_waitcnt lgkmcnt(0)
	v_add_f32_e32 v2, v2, v9
	s_or_b32 exec_lo, exec_lo, s0
	s_and_saveexec_b32 s0, vcc_lo
	s_cbranch_execnz .LBB293_823
	s_branch .LBB293_824
.LBB293_844:
	ds_read_b32 v0, v7
	s_waitcnt lgkmcnt(0)
	v_add_f32_e32 v6, v6, v0
	s_or_b32 exec_lo, exec_lo, s0
	s_and_saveexec_b32 s0, vcc_lo
	s_cbranch_execz .LBB293_830
.LBB293_845:
	ds_read_b32 v0, v7 offset:64
	s_waitcnt lgkmcnt(0)
	v_add_f32_e32 v5, v5, v0
	s_or_b32 exec_lo, exec_lo, s0
	s_and_saveexec_b32 s0, vcc_lo
	s_cbranch_execz .LBB293_831
.LBB293_846:
	ds_read_b32 v0, v7 offset:128
	s_waitcnt lgkmcnt(0)
	v_add_f32_e32 v4, v4, v0
	s_or_b32 exec_lo, exec_lo, s0
	s_and_saveexec_b32 s0, vcc_lo
	s_cbranch_execz .LBB293_832
.LBB293_847:
	ds_read_b32 v0, v7 offset:192
	s_waitcnt lgkmcnt(0)
	v_add_f32_e32 v3, v3, v0
	s_or_b32 exec_lo, exec_lo, s0
	s_and_saveexec_b32 s0, vcc_lo
	s_cbranch_execz .LBB293_833
.LBB293_848:
	ds_read_b32 v0, v7 offset:256
	s_waitcnt lgkmcnt(0)
	v_add_f32_e32 v2, v2, v0
	s_or_b32 exec_lo, exec_lo, s0
	s_and_saveexec_b32 s0, vcc_lo
	s_cbranch_execnz .LBB293_834
	s_branch .LBB293_835
	.section	.rodata,"a",@progbits
	.p2align	6, 0x0
	.amdhsa_kernel _ZN4vllm25paged_attention_v2_kernelIthLi96ELi16ELi128ELNS_18Fp8KVCacheDataTypeE1ELb0ELi512EEEvPfS2_PT_PKS3_PKT0_S9_ifPKiSB_iPKfiiiSD_SD_iiiii
		.amdhsa_group_segment_fixed_size 224
		.amdhsa_private_segment_fixed_size 0
		.amdhsa_kernarg_size 400
		.amdhsa_user_sgpr_count 6
		.amdhsa_user_sgpr_private_segment_buffer 1
		.amdhsa_user_sgpr_dispatch_ptr 0
		.amdhsa_user_sgpr_queue_ptr 0
		.amdhsa_user_sgpr_kernarg_segment_ptr 1
		.amdhsa_user_sgpr_dispatch_id 0
		.amdhsa_user_sgpr_flat_scratch_init 0
		.amdhsa_user_sgpr_private_segment_size 0
		.amdhsa_wavefront_size32 1
		.amdhsa_uses_dynamic_stack 0
		.amdhsa_system_sgpr_private_segment_wavefront_offset 0
		.amdhsa_system_sgpr_workgroup_id_x 1
		.amdhsa_system_sgpr_workgroup_id_y 1
		.amdhsa_system_sgpr_workgroup_id_z 1
		.amdhsa_system_sgpr_workgroup_info 0
		.amdhsa_system_vgpr_workitem_id 0
		.amdhsa_next_free_vgpr 111
		.amdhsa_next_free_sgpr 43
		.amdhsa_reserve_vcc 1
		.amdhsa_reserve_flat_scratch 0
		.amdhsa_float_round_mode_32 0
		.amdhsa_float_round_mode_16_64 0
		.amdhsa_float_denorm_mode_32 3
		.amdhsa_float_denorm_mode_16_64 3
		.amdhsa_dx10_clamp 1
		.amdhsa_ieee_mode 1
		.amdhsa_fp16_overflow 0
		.amdhsa_workgroup_processor_mode 1
		.amdhsa_memory_ordered 1
		.amdhsa_forward_progress 1
		.amdhsa_shared_vgpr_count 0
		.amdhsa_exception_fp_ieee_invalid_op 0
		.amdhsa_exception_fp_denorm_src 0
		.amdhsa_exception_fp_ieee_div_zero 0
		.amdhsa_exception_fp_ieee_overflow 0
		.amdhsa_exception_fp_ieee_underflow 0
		.amdhsa_exception_fp_ieee_inexact 0
		.amdhsa_exception_int_div_zero 0
	.end_amdhsa_kernel
	.section	.text._ZN4vllm25paged_attention_v2_kernelIthLi96ELi16ELi128ELNS_18Fp8KVCacheDataTypeE1ELb0ELi512EEEvPfS2_PT_PKS3_PKT0_S9_ifPKiSB_iPKfiiiSD_SD_iiiii,"axG",@progbits,_ZN4vllm25paged_attention_v2_kernelIthLi96ELi16ELi128ELNS_18Fp8KVCacheDataTypeE1ELb0ELi512EEEvPfS2_PT_PKS3_PKT0_S9_ifPKiSB_iPKfiiiSD_SD_iiiii,comdat
.Lfunc_end293:
	.size	_ZN4vllm25paged_attention_v2_kernelIthLi96ELi16ELi128ELNS_18Fp8KVCacheDataTypeE1ELb0ELi512EEEvPfS2_PT_PKS3_PKT0_S9_ifPKiSB_iPKfiiiSD_SD_iiiii, .Lfunc_end293-_ZN4vllm25paged_attention_v2_kernelIthLi96ELi16ELi128ELNS_18Fp8KVCacheDataTypeE1ELb0ELi512EEEvPfS2_PT_PKS3_PKT0_S9_ifPKiSB_iPKfiiiSD_SD_iiiii
                                        ; -- End function
	.set _ZN4vllm25paged_attention_v2_kernelIthLi96ELi16ELi128ELNS_18Fp8KVCacheDataTypeE1ELb0ELi512EEEvPfS2_PT_PKS3_PKT0_S9_ifPKiSB_iPKfiiiSD_SD_iiiii.num_vgpr, 111
	.set _ZN4vllm25paged_attention_v2_kernelIthLi96ELi16ELi128ELNS_18Fp8KVCacheDataTypeE1ELb0ELi512EEEvPfS2_PT_PKS3_PKT0_S9_ifPKiSB_iPKfiiiSD_SD_iiiii.num_agpr, 0
	.set _ZN4vllm25paged_attention_v2_kernelIthLi96ELi16ELi128ELNS_18Fp8KVCacheDataTypeE1ELb0ELi512EEEvPfS2_PT_PKS3_PKT0_S9_ifPKiSB_iPKfiiiSD_SD_iiiii.numbered_sgpr, 43
	.set _ZN4vllm25paged_attention_v2_kernelIthLi96ELi16ELi128ELNS_18Fp8KVCacheDataTypeE1ELb0ELi512EEEvPfS2_PT_PKS3_PKT0_S9_ifPKiSB_iPKfiiiSD_SD_iiiii.num_named_barrier, 0
	.set _ZN4vllm25paged_attention_v2_kernelIthLi96ELi16ELi128ELNS_18Fp8KVCacheDataTypeE1ELb0ELi512EEEvPfS2_PT_PKS3_PKT0_S9_ifPKiSB_iPKfiiiSD_SD_iiiii.private_seg_size, 0
	.set _ZN4vllm25paged_attention_v2_kernelIthLi96ELi16ELi128ELNS_18Fp8KVCacheDataTypeE1ELb0ELi512EEEvPfS2_PT_PKS3_PKT0_S9_ifPKiSB_iPKfiiiSD_SD_iiiii.uses_vcc, 1
	.set _ZN4vllm25paged_attention_v2_kernelIthLi96ELi16ELi128ELNS_18Fp8KVCacheDataTypeE1ELb0ELi512EEEvPfS2_PT_PKS3_PKT0_S9_ifPKiSB_iPKfiiiSD_SD_iiiii.uses_flat_scratch, 0
	.set _ZN4vllm25paged_attention_v2_kernelIthLi96ELi16ELi128ELNS_18Fp8KVCacheDataTypeE1ELb0ELi512EEEvPfS2_PT_PKS3_PKT0_S9_ifPKiSB_iPKfiiiSD_SD_iiiii.has_dyn_sized_stack, 0
	.set _ZN4vllm25paged_attention_v2_kernelIthLi96ELi16ELi128ELNS_18Fp8KVCacheDataTypeE1ELb0ELi512EEEvPfS2_PT_PKS3_PKT0_S9_ifPKiSB_iPKfiiiSD_SD_iiiii.has_recursion, 0
	.set _ZN4vllm25paged_attention_v2_kernelIthLi96ELi16ELi128ELNS_18Fp8KVCacheDataTypeE1ELb0ELi512EEEvPfS2_PT_PKS3_PKT0_S9_ifPKiSB_iPKfiiiSD_SD_iiiii.has_indirect_call, 0
	.section	.AMDGPU.csdata,"",@progbits
; Kernel info:
; codeLenInByte = 27812
; TotalNumSgprs: 45
; NumVgprs: 111
; ScratchSize: 0
; MemoryBound: 0
; FloatMode: 240
; IeeeMode: 1
; LDSByteSize: 224 bytes/workgroup (compile time only)
; SGPRBlocks: 0
; VGPRBlocks: 13
; NumSGPRsForWavesPerEU: 45
; NumVGPRsForWavesPerEU: 111
; Occupancy: 9
; WaveLimiterHint : 1
; COMPUTE_PGM_RSRC2:SCRATCH_EN: 0
; COMPUTE_PGM_RSRC2:USER_SGPR: 6
; COMPUTE_PGM_RSRC2:TRAP_HANDLER: 0
; COMPUTE_PGM_RSRC2:TGID_X_EN: 1
; COMPUTE_PGM_RSRC2:TGID_Y_EN: 1
; COMPUTE_PGM_RSRC2:TGID_Z_EN: 1
; COMPUTE_PGM_RSRC2:TIDIG_COMP_CNT: 0
	.section	.text._ZN4vllm25paged_attention_v2_kernelIthLi112ELi16ELi128ELNS_18Fp8KVCacheDataTypeE1ELb0ELi512EEEvPfS2_PT_PKS3_PKT0_S9_ifPKiSB_iPKfiiiSD_SD_iiiii,"axG",@progbits,_ZN4vllm25paged_attention_v2_kernelIthLi112ELi16ELi128ELNS_18Fp8KVCacheDataTypeE1ELb0ELi512EEEvPfS2_PT_PKS3_PKT0_S9_ifPKiSB_iPKfiiiSD_SD_iiiii,comdat
	.protected	_ZN4vllm25paged_attention_v2_kernelIthLi112ELi16ELi128ELNS_18Fp8KVCacheDataTypeE1ELb0ELi512EEEvPfS2_PT_PKS3_PKT0_S9_ifPKiSB_iPKfiiiSD_SD_iiiii ; -- Begin function _ZN4vllm25paged_attention_v2_kernelIthLi112ELi16ELi128ELNS_18Fp8KVCacheDataTypeE1ELb0ELi512EEEvPfS2_PT_PKS3_PKT0_S9_ifPKiSB_iPKfiiiSD_SD_iiiii
	.globl	_ZN4vllm25paged_attention_v2_kernelIthLi112ELi16ELi128ELNS_18Fp8KVCacheDataTypeE1ELb0ELi512EEEvPfS2_PT_PKS3_PKT0_S9_ifPKiSB_iPKfiiiSD_SD_iiiii
	.p2align	8
	.type	_ZN4vllm25paged_attention_v2_kernelIthLi112ELi16ELi128ELNS_18Fp8KVCacheDataTypeE1ELb0ELi512EEEvPfS2_PT_PKS3_PKT0_S9_ifPKiSB_iPKfiiiSD_SD_iiiii,@function
_ZN4vllm25paged_attention_v2_kernelIthLi112ELi16ELi128ELNS_18Fp8KVCacheDataTypeE1ELb0ELi512EEEvPfS2_PT_PKS3_PKT0_S9_ifPKiSB_iPKfiiiSD_SD_iiiii: ; @_ZN4vllm25paged_attention_v2_kernelIthLi112ELi16ELi128ELNS_18Fp8KVCacheDataTypeE1ELb0ELi512EEEvPfS2_PT_PKS3_PKT0_S9_ifPKiSB_iPKfiiiSD_SD_iiiii
; %bb.0:
	s_load_dwordx2 s[0:1], s[4:5], 0x40
	s_mov_b32 s26, s7
	s_ashr_i32 s27, s7, 31
	s_lshl_b64 s[2:3], s[26:27], 2
	s_waitcnt lgkmcnt(0)
	s_add_u32 s0, s0, s2
	s_addc_u32 s1, s1, s3
	s_lshl_b32 s33, s8, 9
	s_load_dword s27, s[0:1], 0x0
	s_waitcnt lgkmcnt(0)
	s_cmp_ge_i32 s33, s27
	s_cbranch_scc1 .LBB294_970
; %bb.1:
	s_clause 0x1
	s_load_dword s9, s[4:5], 0x90
	s_load_dwordx2 s[36:37], s[4:5], 0x30
	s_waitcnt lgkmcnt(0)
	s_abs_i32 s3, s9
	s_abs_i32 s0, s36
	v_cvt_f32_u32_e32 v1, s0
	s_sub_i32 s2, 0, s0
	v_rcp_iflag_f32_e32 v1, v1
	v_mul_f32_e32 v1, 0x4f7ffffe, v1
	v_cvt_u32_f32_e32 v1, v1
	v_readfirstlane_b32 s1, v1
	s_mul_i32 s2, s2, s1
	s_mul_hi_u32 s2, s1, s2
	s_add_i32 s1, s1, s2
	s_xor_b32 s2, s9, s36
	s_mul_hi_u32 s1, s3, s1
	s_ashr_i32 s2, s2, 31
	s_mul_i32 s7, s1, s0
	s_mov_b32 s36, 0
	s_sub_i32 s3, s3, s7
	s_add_i32 s7, s1, 1
	s_sub_i32 s10, s3, s0
	s_cmp_ge_u32 s3, s0
	s_cselect_b32 s1, s7, s1
	s_cselect_b32 s3, s10, s3
	s_add_i32 s7, s1, 1
	s_cmp_ge_u32 s3, s0
	s_cselect_b32 s0, s7, s1
	s_abs_i32 s12, s6
	s_xor_b32 s0, s0, s2
	s_sub_i32 s10, s0, s2
	s_load_dwordx2 s[0:1], s[4:5], 0x50
	s_abs_i32 s2, s10
	v_cvt_f32_u32_e32 v1, s2
	s_sub_i32 s7, 0, s2
	v_rcp_iflag_f32_e32 v1, v1
	v_mul_f32_e32 v1, 0x4f7ffffe, v1
	v_cvt_u32_f32_e32 v1, v1
	v_readfirstlane_b32 s3, v1
	s_mul_i32 s7, s7, s3
	s_mul_hi_u32 s7, s3, s7
	s_add_i32 s3, s3, s7
	s_waitcnt lgkmcnt(0)
	s_cmp_eq_u64 s[0:1], 0
	s_mul_hi_u32 s3, s12, s3
	s_cbranch_scc1 .LBB294_3
; %bb.2:
	s_ashr_i32 s7, s6, 31
	s_lshl_b64 s[14:15], s[6:7], 2
	s_add_u32 s0, s0, s14
	s_addc_u32 s1, s1, s15
	s_load_dword s36, s[0:1], 0x0
.LBB294_3:
	s_load_dwordx4 s[16:19], s[4:5], 0x58
	v_lshrrev_b32_e32 v12, 1, v0
	v_and_b32_e32 v13, 1, v0
	v_lshlrev_b32_e32 v15, 3, v0
	s_ashr_i32 s0, s6, 31
	s_ashr_i32 s1, s10, 31
	s_mul_i32 s10, s6, 0x70
	s_mov_b32 s7, exec_lo
	v_cmpx_gt_u32_e32 28, v0
	s_cbranch_execz .LBB294_5
; %bb.4:
	s_load_dwordx2 s[14:15], s[4:5], 0x18
	s_waitcnt lgkmcnt(0)
	s_mul_i32 s20, s16, s26
	v_lshlrev_b32_e32 v3, 3, v12
	s_ashr_i32 s21, s20, 31
	s_lshl_b64 s[20:21], s[20:21], 1
	v_mad_u32_u24 v3, 0x70, v13, v3
	s_add_u32 s13, s14, s20
	s_addc_u32 s16, s15, s21
	s_ashr_i32 s11, s10, 31
	s_lshl_b64 s[14:15], s[10:11], 1
	s_add_u32 s14, s13, s14
	s_addc_u32 s15, s16, s15
	global_load_dwordx2 v[1:2], v15, s[14:15]
	s_waitcnt vmcnt(0)
	ds_write_b64 v3, v[1:2]
.LBB294_5:
	s_or_b32 exec_lo, exec_lo, s7
	s_add_i32 s7, s27, 15
	s_clause 0x1
	s_load_dwordx2 s[28:29], s[4:5], 0x38
	s_load_dword s13, s[4:5], 0x48
	s_ashr_i32 s11, s7, 31
	s_waitcnt lgkmcnt(0)
	s_lshl_b32 s19, s8, 5
	s_lshr_b32 s11, s11, 28
	s_xor_b32 s0, s0, s1
	s_add_i32 s7, s7, s11
	s_add_i32 s1, s19, 32
	s_ashr_i32 s16, s7, 4
	s_mul_i32 s7, s3, s2
	s_min_i32 s11, s1, s16
	s_sub_i32 s1, s12, s7
	s_add_i32 s7, s3, 1
	s_sub_i32 s12, s1, s2
	s_cmp_ge_u32 s1, s2
	v_lshrrev_b32_e32 v14, 5, v0
	s_cselect_b32 s3, s7, s3
	s_cselect_b32 s1, s12, s1
	s_add_i32 s7, s3, 1
	s_cmp_ge_u32 s1, s2
	v_or_b32_e32 v1, s19, v14
	s_cselect_b32 s1, s7, s3
	v_mbcnt_lo_u32_b32 v16, -1, 0
	s_xor_b32 s1, s1, s0
	s_mul_i32 s30, s13, s26
	s_sub_i32 s1, s1, s0
	v_cmp_gt_i32_e64 s0, s11, v1
	s_ashr_i32 s31, s30, 31
	s_mov_b32 s2, exec_lo
	s_barrier
	buffer_gl0_inv
                                        ; implicit-def: $vgpr4
                                        ; implicit-def: $vgpr17
	v_cmpx_le_i32_e64 s11, v1
	s_xor_b32 s2, exec_lo, s2
; %bb.6:
	v_mov_b32_e32 v4, 0
	v_mbcnt_lo_u32_b32 v16, -1, 0
	v_mov_b32_e32 v17, 32
; %bb.7:
	s_or_saveexec_b32 s38, s2
	s_clause 0x4
	s_load_dwordx4 s[20:23], s[4:5], 0x0
	s_load_dwordx2 s[24:25], s[4:5], 0x10
	s_load_dword s7, s[4:5], 0x98
	s_load_dwordx2 s[34:35], s[4:5], 0x28
	s_load_dwordx4 s[12:15], s[4:5], 0x68
	v_mov_b32_e32 v18, 0xff7fffff
	v_ashrrev_i32_e32 v2, 31, v1
	s_mul_i32 s18, s1, s18
	s_xor_b32 exec_lo, exec_lo, s38
	s_cbranch_execz .LBB294_461
; %bb.8:
	s_load_dwordx2 s[2:3], s[4:5], 0x20
	v_bfe_u32 v3, v0, 1, 4
	v_lshlrev_b32_e32 v9, 4, v14
	s_ashr_i32 s4, s18, 31
	v_lshlrev_b32_e32 v6, 2, v13
	v_lshlrev_b64 v[7:8], 2, v[1:2]
	v_lshlrev_b32_e32 v5, 2, v3
	v_lshlrev_b32_e32 v10, 4, v3
	v_add3_u32 v20, s33, v9, v3
	v_mov_b32_e32 v4, 0
	v_mul_u32_u24_e32 v19, 0x70, v13
	v_lshl_or_b32 v5, v14, 6, v5
	v_cmp_neq_f32_e64 s1, s36, 0
	v_mov_b32_e32 v18, 0xff7fffff
	v_mov_b32_e32 v17, 32
	;; [unrolled: 1-line block ×3, first 2 shown]
	v_add_nc_u32_e32 v21, 0x100, v5
	v_mov_b32_e32 v23, 0x7f
	v_mov_b32_e32 v24, 7
	;; [unrolled: 1-line block ×3, first 2 shown]
	s_waitcnt lgkmcnt(0)
	s_add_u32 s5, s2, s18
	s_addc_u32 s39, s3, s4
	v_add_co_u32 v3, s5, s5, v10
	v_add_co_ci_u32_e64 v9, null, s39, 0, s5
	s_lshl_b64 s[2:3], s[30:31], 2
	s_sub_i32 s4, 1, s27
	s_add_u32 s5, s28, s2
	v_add_co_u32 v5, s2, v3, v6
	s_addc_u32 s3, s29, s3
	v_add_co_ci_u32_e64 v6, null, 0, v9, s2
	v_add_co_u32 v7, s2, s5, v7
	v_add_co_ci_u32_e64 v8, null, s3, v8, s2
	v_mov_b32_e32 v26, v1
	s_mov_b32 s39, s17
	s_mov_b32 s5, 0
	v_cmp_eq_u32_e32 vcc_lo, 0, v13
	s_branch .LBB294_10
.LBB294_9:                              ;   in Loop: Header=BB294_10 Depth=1
	s_or_b32 exec_lo, exec_lo, s3
	v_add_nc_u32_e32 v26, 4, v26
	v_add_co_u32 v7, s3, v7, 16
	v_add_nc_u32_e32 v20, 64, v20
	v_add_nc_u32_e32 v21, 0x100, v21
	v_cmp_le_i32_e64 s2, s11, v26
	v_add_co_ci_u32_e64 v8, null, 0, v8, s3
	s_or_b32 s5, s2, s5
	s_andn2_b32 exec_lo, exec_lo, s5
	s_cbranch_execz .LBB294_460
.LBB294_10:                             ; =>This Inner Loop Header: Depth=1
	global_load_dword v3, v[7:8], off
	v_mov_b32_e32 v28, 0
	s_waitcnt vmcnt(0) lgkmcnt(0)
	v_mad_i64_i32 v[9:10], null, v3, s39, v[5:6]
	global_load_dword v11, v[9:10], off
	global_load_dword v27, v4, s[12:13]
	s_waitcnt vmcnt(1)
	v_cmp_ne_u16_sdwa s2, v11, v4 src0_sel:BYTE_0 src1_sel:DWORD
	s_and_saveexec_b32 s3, s2
	s_cbranch_execz .LBB294_18
; %bb.11:                               ;   in Loop: Header=BB294_10 Depth=1
	v_cmp_ne_u16_sdwa s2, v11, v22 src0_sel:BYTE_0 src1_sel:DWORD
	v_mov_b32_e32 v28, 0x8000
	s_and_saveexec_b32 s40, s2
	s_cbranch_execz .LBB294_17
; %bb.12:                               ;   in Loop: Header=BB294_10 Depth=1
	v_and_b32_e32 v29, 0x7f, v11
	v_mov_b32_e32 v28, 0x7c01
	s_mov_b32 s41, exec_lo
	v_cmpx_ne_u32_e32 0x7f, v29
	s_cbranch_execz .LBB294_16
; %bb.13:                               ;   in Loop: Header=BB294_10 Depth=1
	v_and_b32_e32 v3, 7, v11
	v_lshrrev_b32_e32 v28, 3, v29
	s_mov_b32 s42, exec_lo
	v_cmpx_gt_u32_e32 8, v29
; %bb.14:                               ;   in Loop: Header=BB294_10 Depth=1
	v_ffbh_u32_e32 v3, v3
	v_min_u32_e32 v3, 32, v3
	v_subrev_nc_u32_e32 v28, 28, v3
	v_lshlrev_b64 v[29:30], v28, v[11:12]
	v_sub_nc_u32_e32 v28, 29, v3
	v_and_b32_e32 v3, 7, v29
; %bb.15:                               ;   in Loop: Header=BB294_10 Depth=1
	s_or_b32 exec_lo, exec_lo, s42
	v_lshlrev_b32_e32 v29, 8, v11
	v_lshl_add_u32 v28, v28, 10, 0x2000
	v_lshlrev_b32_e32 v3, 7, v3
	v_and_b32_e32 v29, 0x8000, v29
	v_and_b32_e32 v28, 0xfc00, v28
	v_or3_b32 v28, v29, v28, v3
.LBB294_16:                             ;   in Loop: Header=BB294_10 Depth=1
	s_or_b32 exec_lo, exec_lo, s41
.LBB294_17:                             ;   in Loop: Header=BB294_10 Depth=1
	s_or_b32 exec_lo, exec_lo, s40
.LBB294_18:                             ;   in Loop: Header=BB294_10 Depth=1
	s_or_b32 exec_lo, exec_lo, s3
	v_lshrrev_b16 v3, 8, v11
	v_mov_b32_e32 v29, 0
	s_mov_b32 s3, exec_lo
	v_cmpx_ne_u16_e32 0, v3
	s_cbranch_execz .LBB294_26
; %bb.19:                               ;   in Loop: Header=BB294_10 Depth=1
	v_bfrev_b32_e32 v29, 1
	s_mov_b32 s40, exec_lo
	v_cmpx_ne_u16_e32 0x80, v3
	s_cbranch_execz .LBB294_25
; %bb.20:                               ;   in Loop: Header=BB294_10 Depth=1
	v_and_b32_sdwa v31, v3, v23 dst_sel:DWORD dst_unused:UNUSED_PAD src0_sel:WORD_0 src1_sel:DWORD
	v_mov_b32_e32 v29, 0x7c010000
	s_mov_b32 s41, exec_lo
	v_cmpx_ne_u32_e32 0x7f, v31
	s_cbranch_execz .LBB294_24
; %bb.21:                               ;   in Loop: Header=BB294_10 Depth=1
	v_and_b32_sdwa v29, v3, v24 dst_sel:DWORD dst_unused:UNUSED_PAD src0_sel:WORD_0 src1_sel:DWORD
	v_lshrrev_b32_e32 v30, 3, v31
	s_mov_b32 s42, exec_lo
	v_cmpx_gt_u32_e32 8, v31
; %bb.22:                               ;   in Loop: Header=BB294_10 Depth=1
	v_ffbh_u32_e32 v29, v29
	v_min_u32_e32 v31, 32, v29
	v_subrev_nc_u32_e32 v29, 28, v31
	v_lshlrev_b64 v[29:30], v29, v[3:4]
	v_sub_nc_u32_e32 v30, 29, v31
	v_and_b32_e32 v29, 7, v29
; %bb.23:                               ;   in Loop: Header=BB294_10 Depth=1
	s_or_b32 exec_lo, exec_lo, s42
	v_lshlrev_b32_sdwa v3, v25, v3 dst_sel:DWORD dst_unused:UNUSED_PAD src0_sel:DWORD src1_sel:WORD_0
	v_lshl_add_u32 v30, v30, 10, 0x2000
	v_lshlrev_b32_e32 v29, 23, v29
	v_and_or_b32 v3, 0x8000, v3, v30
	v_lshl_or_b32 v29, v3, 16, v29
.LBB294_24:                             ;   in Loop: Header=BB294_10 Depth=1
	s_or_b32 exec_lo, exec_lo, s41
.LBB294_25:                             ;   in Loop: Header=BB294_10 Depth=1
	s_or_b32 exec_lo, exec_lo, s40
.LBB294_26:                             ;   in Loop: Header=BB294_10 Depth=1
	s_or_b32 exec_lo, exec_lo, s3
	v_lshrrev_b32_e32 v3, 16, v11
	v_mov_b32_e32 v30, 0
	v_mov_b32_e32 v31, 0
	v_cmp_ne_u16_sdwa s2, v3, v4 src0_sel:BYTE_0 src1_sel:DWORD
	s_and_saveexec_b32 s3, s2
	s_cbranch_execz .LBB294_34
; %bb.27:                               ;   in Loop: Header=BB294_10 Depth=1
	v_cmp_ne_u16_sdwa s2, v3, v22 src0_sel:BYTE_0 src1_sel:DWORD
	v_mov_b32_e32 v31, 0x8000
	s_and_saveexec_b32 s40, s2
	s_cbranch_execz .LBB294_33
; %bb.28:                               ;   in Loop: Header=BB294_10 Depth=1
	v_bfe_u32 v33, v11, 16, 7
	v_mov_b32_e32 v31, 0x7c01
	s_mov_b32 s41, exec_lo
	v_cmpx_ne_u32_e32 0x7f, v33
	s_cbranch_execz .LBB294_32
; %bb.29:                               ;   in Loop: Header=BB294_10 Depth=1
	v_and_b32_e32 v31, 7, v3
	v_lshrrev_b32_e32 v32, 3, v33
	s_mov_b32 s42, exec_lo
	v_cmpx_gt_u32_e32 8, v33
; %bb.30:                               ;   in Loop: Header=BB294_10 Depth=1
	v_ffbh_u32_e32 v31, v31
	v_min_u32_e32 v33, 32, v31
	v_subrev_nc_u32_e32 v31, 28, v33
	v_lshlrev_b64 v[31:32], v31, v[3:4]
	v_sub_nc_u32_e32 v32, 29, v33
	v_and_b32_e32 v31, 7, v31
; %bb.31:                               ;   in Loop: Header=BB294_10 Depth=1
	s_or_b32 exec_lo, exec_lo, s42
	v_lshlrev_b32_e32 v3, 8, v3
	v_lshl_add_u32 v32, v32, 10, 0x2000
	v_lshlrev_b32_e32 v31, 7, v31
	v_and_b32_e32 v3, 0x8000, v3
	v_and_b32_e32 v32, 0xfc00, v32
	v_or3_b32 v31, v3, v32, v31
.LBB294_32:                             ;   in Loop: Header=BB294_10 Depth=1
	s_or_b32 exec_lo, exec_lo, s41
.LBB294_33:                             ;   in Loop: Header=BB294_10 Depth=1
	s_or_b32 exec_lo, exec_lo, s40
.LBB294_34:                             ;   in Loop: Header=BB294_10 Depth=1
	s_or_b32 exec_lo, exec_lo, s3
	s_mov_b32 s3, exec_lo
	v_cmpx_lt_u32_e32 0xffffff, v11
	s_cbranch_execz .LBB294_42
; %bb.35:                               ;   in Loop: Header=BB294_10 Depth=1
	v_lshrrev_b32_e32 v3, 24, v11
	v_bfrev_b32_e32 v30, 1
	s_mov_b32 s40, exec_lo
	v_cmpx_ne_u32_e32 0x80, v3
	s_cbranch_execz .LBB294_41
; %bb.36:                               ;   in Loop: Header=BB294_10 Depth=1
	v_and_b32_e32 v32, 0x7f, v3
	v_mov_b32_e32 v30, 0x7c010000
	s_mov_b32 s41, exec_lo
	v_cmpx_ne_u32_e32 0x7f, v32
	s_cbranch_execz .LBB294_40
; %bb.37:                               ;   in Loop: Header=BB294_10 Depth=1
	v_and_b32_e32 v11, 7, v3
	v_lshrrev_b32_e32 v30, 3, v32
	s_mov_b32 s42, exec_lo
	v_cmpx_gt_u32_e32 8, v32
; %bb.38:                               ;   in Loop: Header=BB294_10 Depth=1
	v_ffbh_u32_e32 v11, v11
	v_min_u32_e32 v11, 32, v11
	v_subrev_nc_u32_e32 v30, 28, v11
	v_lshlrev_b64 v[32:33], v30, v[3:4]
	v_sub_nc_u32_e32 v30, 29, v11
	v_and_b32_e32 v11, 7, v32
; %bb.39:                               ;   in Loop: Header=BB294_10 Depth=1
	s_or_b32 exec_lo, exec_lo, s42
	v_lshlrev_b32_e32 v3, 8, v3
	v_lshl_add_u32 v30, v30, 10, 0x2000
	v_lshlrev_b32_e32 v11, 23, v11
	v_and_or_b32 v3, 0x8000, v3, v30
	v_lshl_or_b32 v30, v3, 16, v11
.LBB294_40:                             ;   in Loop: Header=BB294_10 Depth=1
	s_or_b32 exec_lo, exec_lo, s41
.LBB294_41:                             ;   in Loop: Header=BB294_10 Depth=1
	s_or_b32 exec_lo, exec_lo, s40
.LBB294_42:                             ;   in Loop: Header=BB294_10 Depth=1
	s_or_b32 exec_lo, exec_lo, s3
	global_load_dword v11, v[9:10], off offset:8
	v_mov_b32_e32 v32, 0
	v_mov_b32_e32 v33, 0
	s_waitcnt vmcnt(0)
	v_cmp_ne_u16_sdwa s2, v11, v4 src0_sel:BYTE_0 src1_sel:DWORD
	s_and_saveexec_b32 s3, s2
	s_cbranch_execz .LBB294_50
; %bb.43:                               ;   in Loop: Header=BB294_10 Depth=1
	v_cmp_ne_u16_sdwa s2, v11, v22 src0_sel:BYTE_0 src1_sel:DWORD
	v_mov_b32_e32 v33, 0x8000
	s_and_saveexec_b32 s40, s2
	s_cbranch_execz .LBB294_49
; %bb.44:                               ;   in Loop: Header=BB294_10 Depth=1
	v_and_b32_e32 v34, 0x7f, v11
	v_mov_b32_e32 v33, 0x7c01
	s_mov_b32 s41, exec_lo
	v_cmpx_ne_u32_e32 0x7f, v34
	s_cbranch_execz .LBB294_48
; %bb.45:                               ;   in Loop: Header=BB294_10 Depth=1
	v_and_b32_e32 v3, 7, v11
	v_lshrrev_b32_e32 v33, 3, v34
	s_mov_b32 s42, exec_lo
	v_cmpx_gt_u32_e32 8, v34
; %bb.46:                               ;   in Loop: Header=BB294_10 Depth=1
	v_ffbh_u32_e32 v3, v3
	v_min_u32_e32 v3, 32, v3
	v_subrev_nc_u32_e32 v33, 28, v3
	v_lshlrev_b64 v[34:35], v33, v[11:12]
	v_sub_nc_u32_e32 v33, 29, v3
	v_and_b32_e32 v3, 7, v34
; %bb.47:                               ;   in Loop: Header=BB294_10 Depth=1
	s_or_b32 exec_lo, exec_lo, s42
	v_lshlrev_b32_e32 v34, 8, v11
	v_lshl_add_u32 v33, v33, 10, 0x2000
	v_lshlrev_b32_e32 v3, 7, v3
	v_and_b32_e32 v34, 0x8000, v34
	v_and_b32_e32 v33, 0xfc00, v33
	v_or3_b32 v33, v34, v33, v3
.LBB294_48:                             ;   in Loop: Header=BB294_10 Depth=1
	s_or_b32 exec_lo, exec_lo, s41
.LBB294_49:                             ;   in Loop: Header=BB294_10 Depth=1
	s_or_b32 exec_lo, exec_lo, s40
.LBB294_50:                             ;   in Loop: Header=BB294_10 Depth=1
	s_or_b32 exec_lo, exec_lo, s3
	v_lshrrev_b16 v3, 8, v11
	s_mov_b32 s3, exec_lo
	v_cmpx_ne_u16_e32 0, v3
	s_cbranch_execz .LBB294_58
; %bb.51:                               ;   in Loop: Header=BB294_10 Depth=1
	v_bfrev_b32_e32 v32, 1
	s_mov_b32 s40, exec_lo
	v_cmpx_ne_u16_e32 0x80, v3
	s_cbranch_execz .LBB294_57
; %bb.52:                               ;   in Loop: Header=BB294_10 Depth=1
	v_and_b32_sdwa v35, v3, v23 dst_sel:DWORD dst_unused:UNUSED_PAD src0_sel:WORD_0 src1_sel:DWORD
	v_mov_b32_e32 v32, 0x7c010000
	s_mov_b32 s41, exec_lo
	v_cmpx_ne_u32_e32 0x7f, v35
	s_cbranch_execz .LBB294_56
; %bb.53:                               ;   in Loop: Header=BB294_10 Depth=1
	v_and_b32_sdwa v32, v3, v24 dst_sel:DWORD dst_unused:UNUSED_PAD src0_sel:WORD_0 src1_sel:DWORD
	v_lshrrev_b32_e32 v34, 3, v35
	s_mov_b32 s42, exec_lo
	v_cmpx_gt_u32_e32 8, v35
; %bb.54:                               ;   in Loop: Header=BB294_10 Depth=1
	v_ffbh_u32_e32 v32, v32
	v_min_u32_e32 v32, 32, v32
	v_subrev_nc_u32_e32 v34, 28, v32
	v_lshlrev_b64 v[35:36], v34, v[3:4]
	v_sub_nc_u32_e32 v34, 29, v32
	v_and_b32_e32 v32, 7, v35
; %bb.55:                               ;   in Loop: Header=BB294_10 Depth=1
	s_or_b32 exec_lo, exec_lo, s42
	v_lshlrev_b32_sdwa v3, v25, v3 dst_sel:DWORD dst_unused:UNUSED_PAD src0_sel:DWORD src1_sel:WORD_0
	v_lshl_add_u32 v34, v34, 10, 0x2000
	v_lshlrev_b32_e32 v32, 23, v32
	v_and_or_b32 v3, 0x8000, v3, v34
	v_lshl_or_b32 v32, v3, 16, v32
.LBB294_56:                             ;   in Loop: Header=BB294_10 Depth=1
	s_or_b32 exec_lo, exec_lo, s41
.LBB294_57:                             ;   in Loop: Header=BB294_10 Depth=1
	s_or_b32 exec_lo, exec_lo, s40
.LBB294_58:                             ;   in Loop: Header=BB294_10 Depth=1
	s_or_b32 exec_lo, exec_lo, s3
	v_lshrrev_b32_e32 v3, 16, v11
	v_mov_b32_e32 v34, 0
	v_mov_b32_e32 v35, 0
	v_cmp_ne_u16_sdwa s2, v3, v4 src0_sel:BYTE_0 src1_sel:DWORD
	s_and_saveexec_b32 s3, s2
	s_cbranch_execz .LBB294_66
; %bb.59:                               ;   in Loop: Header=BB294_10 Depth=1
	v_cmp_ne_u16_sdwa s2, v3, v22 src0_sel:BYTE_0 src1_sel:DWORD
	v_mov_b32_e32 v35, 0x8000
	s_and_saveexec_b32 s40, s2
	s_cbranch_execz .LBB294_65
; %bb.60:                               ;   in Loop: Header=BB294_10 Depth=1
	v_bfe_u32 v37, v11, 16, 7
	v_mov_b32_e32 v35, 0x7c01
	s_mov_b32 s41, exec_lo
	v_cmpx_ne_u32_e32 0x7f, v37
	s_cbranch_execz .LBB294_64
; %bb.61:                               ;   in Loop: Header=BB294_10 Depth=1
	v_and_b32_e32 v35, 7, v3
	v_lshrrev_b32_e32 v36, 3, v37
	s_mov_b32 s42, exec_lo
	v_cmpx_gt_u32_e32 8, v37
; %bb.62:                               ;   in Loop: Header=BB294_10 Depth=1
	v_ffbh_u32_e32 v35, v35
	v_min_u32_e32 v37, 32, v35
	v_subrev_nc_u32_e32 v35, 28, v37
	v_lshlrev_b64 v[35:36], v35, v[3:4]
	v_sub_nc_u32_e32 v36, 29, v37
	v_and_b32_e32 v35, 7, v35
; %bb.63:                               ;   in Loop: Header=BB294_10 Depth=1
	s_or_b32 exec_lo, exec_lo, s42
	v_lshlrev_b32_e32 v3, 8, v3
	v_lshl_add_u32 v36, v36, 10, 0x2000
	v_lshlrev_b32_e32 v35, 7, v35
	v_and_b32_e32 v3, 0x8000, v3
	v_and_b32_e32 v36, 0xfc00, v36
	v_or3_b32 v35, v3, v36, v35
.LBB294_64:                             ;   in Loop: Header=BB294_10 Depth=1
	s_or_b32 exec_lo, exec_lo, s41
.LBB294_65:                             ;   in Loop: Header=BB294_10 Depth=1
	s_or_b32 exec_lo, exec_lo, s40
.LBB294_66:                             ;   in Loop: Header=BB294_10 Depth=1
	s_or_b32 exec_lo, exec_lo, s3
	s_mov_b32 s3, exec_lo
	v_cmpx_lt_u32_e32 0xffffff, v11
	s_cbranch_execz .LBB294_74
; %bb.67:                               ;   in Loop: Header=BB294_10 Depth=1
	v_lshrrev_b32_e32 v3, 24, v11
	v_bfrev_b32_e32 v34, 1
	s_mov_b32 s40, exec_lo
	v_cmpx_ne_u32_e32 0x80, v3
	s_cbranch_execz .LBB294_73
; %bb.68:                               ;   in Loop: Header=BB294_10 Depth=1
	v_and_b32_e32 v36, 0x7f, v3
	v_mov_b32_e32 v34, 0x7c010000
	s_mov_b32 s41, exec_lo
	v_cmpx_ne_u32_e32 0x7f, v36
	s_cbranch_execz .LBB294_72
; %bb.69:                               ;   in Loop: Header=BB294_10 Depth=1
	v_and_b32_e32 v11, 7, v3
	v_lshrrev_b32_e32 v34, 3, v36
	s_mov_b32 s42, exec_lo
	v_cmpx_gt_u32_e32 8, v36
; %bb.70:                               ;   in Loop: Header=BB294_10 Depth=1
	v_ffbh_u32_e32 v11, v11
	v_min_u32_e32 v11, 32, v11
	v_subrev_nc_u32_e32 v34, 28, v11
	v_lshlrev_b64 v[36:37], v34, v[3:4]
	v_sub_nc_u32_e32 v34, 29, v11
	v_and_b32_e32 v11, 7, v36
; %bb.71:                               ;   in Loop: Header=BB294_10 Depth=1
	s_or_b32 exec_lo, exec_lo, s42
	v_lshlrev_b32_e32 v3, 8, v3
	v_lshl_add_u32 v34, v34, 10, 0x2000
	v_lshlrev_b32_e32 v11, 23, v11
	v_and_or_b32 v3, 0x8000, v3, v34
	v_lshl_or_b32 v34, v3, 16, v11
.LBB294_72:                             ;   in Loop: Header=BB294_10 Depth=1
	s_or_b32 exec_lo, exec_lo, s41
.LBB294_73:                             ;   in Loop: Header=BB294_10 Depth=1
	s_or_b32 exec_lo, exec_lo, s40
.LBB294_74:                             ;   in Loop: Header=BB294_10 Depth=1
	s_or_b32 exec_lo, exec_lo, s3
	global_load_dword v11, v[9:10], off offset:256
	v_mov_b32_e32 v36, 0
	v_mov_b32_e32 v37, 0
	s_waitcnt vmcnt(0)
	v_cmp_ne_u16_sdwa s2, v11, v4 src0_sel:BYTE_0 src1_sel:DWORD
	s_and_saveexec_b32 s3, s2
	s_cbranch_execz .LBB294_82
; %bb.75:                               ;   in Loop: Header=BB294_10 Depth=1
	v_cmp_ne_u16_sdwa s2, v11, v22 src0_sel:BYTE_0 src1_sel:DWORD
	v_mov_b32_e32 v37, 0x8000
	s_and_saveexec_b32 s40, s2
	s_cbranch_execz .LBB294_81
; %bb.76:                               ;   in Loop: Header=BB294_10 Depth=1
	v_and_b32_e32 v38, 0x7f, v11
	v_mov_b32_e32 v37, 0x7c01
	s_mov_b32 s41, exec_lo
	v_cmpx_ne_u32_e32 0x7f, v38
	s_cbranch_execz .LBB294_80
; %bb.77:                               ;   in Loop: Header=BB294_10 Depth=1
	v_and_b32_e32 v3, 7, v11
	v_lshrrev_b32_e32 v37, 3, v38
	s_mov_b32 s42, exec_lo
	v_cmpx_gt_u32_e32 8, v38
; %bb.78:                               ;   in Loop: Header=BB294_10 Depth=1
	v_ffbh_u32_e32 v3, v3
	v_min_u32_e32 v3, 32, v3
	v_subrev_nc_u32_e32 v37, 28, v3
	v_lshlrev_b64 v[38:39], v37, v[11:12]
	v_sub_nc_u32_e32 v37, 29, v3
	v_and_b32_e32 v3, 7, v38
; %bb.79:                               ;   in Loop: Header=BB294_10 Depth=1
	s_or_b32 exec_lo, exec_lo, s42
	v_lshlrev_b32_e32 v38, 8, v11
	v_lshl_add_u32 v37, v37, 10, 0x2000
	v_lshlrev_b32_e32 v3, 7, v3
	v_and_b32_e32 v38, 0x8000, v38
	v_and_b32_e32 v37, 0xfc00, v37
	v_or3_b32 v37, v38, v37, v3
.LBB294_80:                             ;   in Loop: Header=BB294_10 Depth=1
	s_or_b32 exec_lo, exec_lo, s41
.LBB294_81:                             ;   in Loop: Header=BB294_10 Depth=1
	s_or_b32 exec_lo, exec_lo, s40
.LBB294_82:                             ;   in Loop: Header=BB294_10 Depth=1
	s_or_b32 exec_lo, exec_lo, s3
	v_lshrrev_b16 v3, 8, v11
	s_mov_b32 s3, exec_lo
	v_cmpx_ne_u16_e32 0, v3
	s_cbranch_execz .LBB294_90
; %bb.83:                               ;   in Loop: Header=BB294_10 Depth=1
	v_bfrev_b32_e32 v36, 1
	s_mov_b32 s40, exec_lo
	v_cmpx_ne_u16_e32 0x80, v3
	s_cbranch_execz .LBB294_89
; %bb.84:                               ;   in Loop: Header=BB294_10 Depth=1
	v_and_b32_sdwa v39, v3, v23 dst_sel:DWORD dst_unused:UNUSED_PAD src0_sel:WORD_0 src1_sel:DWORD
	v_mov_b32_e32 v36, 0x7c010000
	s_mov_b32 s41, exec_lo
	v_cmpx_ne_u32_e32 0x7f, v39
	s_cbranch_execz .LBB294_88
; %bb.85:                               ;   in Loop: Header=BB294_10 Depth=1
	v_and_b32_sdwa v36, v3, v24 dst_sel:DWORD dst_unused:UNUSED_PAD src0_sel:WORD_0 src1_sel:DWORD
	v_lshrrev_b32_e32 v38, 3, v39
	s_mov_b32 s42, exec_lo
	v_cmpx_gt_u32_e32 8, v39
; %bb.86:                               ;   in Loop: Header=BB294_10 Depth=1
	v_ffbh_u32_e32 v36, v36
	v_min_u32_e32 v36, 32, v36
	v_subrev_nc_u32_e32 v38, 28, v36
	v_lshlrev_b64 v[39:40], v38, v[3:4]
	v_sub_nc_u32_e32 v38, 29, v36
	v_and_b32_e32 v36, 7, v39
; %bb.87:                               ;   in Loop: Header=BB294_10 Depth=1
	s_or_b32 exec_lo, exec_lo, s42
	v_lshlrev_b32_sdwa v3, v25, v3 dst_sel:DWORD dst_unused:UNUSED_PAD src0_sel:DWORD src1_sel:WORD_0
	v_lshl_add_u32 v38, v38, 10, 0x2000
	v_lshlrev_b32_e32 v36, 23, v36
	v_and_or_b32 v3, 0x8000, v3, v38
	v_lshl_or_b32 v36, v3, 16, v36
.LBB294_88:                             ;   in Loop: Header=BB294_10 Depth=1
	s_or_b32 exec_lo, exec_lo, s41
.LBB294_89:                             ;   in Loop: Header=BB294_10 Depth=1
	s_or_b32 exec_lo, exec_lo, s40
.LBB294_90:                             ;   in Loop: Header=BB294_10 Depth=1
	s_or_b32 exec_lo, exec_lo, s3
	v_lshrrev_b32_e32 v3, 16, v11
	v_mov_b32_e32 v38, 0
	v_mov_b32_e32 v39, 0
	v_cmp_ne_u16_sdwa s2, v3, v4 src0_sel:BYTE_0 src1_sel:DWORD
	s_and_saveexec_b32 s3, s2
	s_cbranch_execz .LBB294_98
; %bb.91:                               ;   in Loop: Header=BB294_10 Depth=1
	v_cmp_ne_u16_sdwa s2, v3, v22 src0_sel:BYTE_0 src1_sel:DWORD
	v_mov_b32_e32 v39, 0x8000
	s_and_saveexec_b32 s40, s2
	s_cbranch_execz .LBB294_97
; %bb.92:                               ;   in Loop: Header=BB294_10 Depth=1
	v_bfe_u32 v41, v11, 16, 7
	v_mov_b32_e32 v39, 0x7c01
	s_mov_b32 s41, exec_lo
	v_cmpx_ne_u32_e32 0x7f, v41
	s_cbranch_execz .LBB294_96
; %bb.93:                               ;   in Loop: Header=BB294_10 Depth=1
	v_and_b32_e32 v39, 7, v3
	v_lshrrev_b32_e32 v40, 3, v41
	s_mov_b32 s42, exec_lo
	v_cmpx_gt_u32_e32 8, v41
; %bb.94:                               ;   in Loop: Header=BB294_10 Depth=1
	v_ffbh_u32_e32 v39, v39
	v_min_u32_e32 v41, 32, v39
	v_subrev_nc_u32_e32 v39, 28, v41
	v_lshlrev_b64 v[39:40], v39, v[3:4]
	v_sub_nc_u32_e32 v40, 29, v41
	v_and_b32_e32 v39, 7, v39
; %bb.95:                               ;   in Loop: Header=BB294_10 Depth=1
	s_or_b32 exec_lo, exec_lo, s42
	v_lshlrev_b32_e32 v3, 8, v3
	v_lshl_add_u32 v40, v40, 10, 0x2000
	v_lshlrev_b32_e32 v39, 7, v39
	v_and_b32_e32 v3, 0x8000, v3
	v_and_b32_e32 v40, 0xfc00, v40
	v_or3_b32 v39, v3, v40, v39
.LBB294_96:                             ;   in Loop: Header=BB294_10 Depth=1
	s_or_b32 exec_lo, exec_lo, s41
.LBB294_97:                             ;   in Loop: Header=BB294_10 Depth=1
	s_or_b32 exec_lo, exec_lo, s40
.LBB294_98:                             ;   in Loop: Header=BB294_10 Depth=1
	s_or_b32 exec_lo, exec_lo, s3
	s_mov_b32 s3, exec_lo
	v_cmpx_lt_u32_e32 0xffffff, v11
	s_cbranch_execz .LBB294_106
; %bb.99:                               ;   in Loop: Header=BB294_10 Depth=1
	v_lshrrev_b32_e32 v3, 24, v11
	v_bfrev_b32_e32 v38, 1
	s_mov_b32 s40, exec_lo
	v_cmpx_ne_u32_e32 0x80, v3
	s_cbranch_execz .LBB294_105
; %bb.100:                              ;   in Loop: Header=BB294_10 Depth=1
	v_and_b32_e32 v40, 0x7f, v3
	v_mov_b32_e32 v38, 0x7c010000
	s_mov_b32 s41, exec_lo
	v_cmpx_ne_u32_e32 0x7f, v40
	s_cbranch_execz .LBB294_104
; %bb.101:                              ;   in Loop: Header=BB294_10 Depth=1
	v_and_b32_e32 v11, 7, v3
	v_lshrrev_b32_e32 v38, 3, v40
	s_mov_b32 s42, exec_lo
	v_cmpx_gt_u32_e32 8, v40
; %bb.102:                              ;   in Loop: Header=BB294_10 Depth=1
	v_ffbh_u32_e32 v11, v11
	v_min_u32_e32 v11, 32, v11
	v_subrev_nc_u32_e32 v38, 28, v11
	v_lshlrev_b64 v[40:41], v38, v[3:4]
	v_sub_nc_u32_e32 v38, 29, v11
	v_and_b32_e32 v11, 7, v40
; %bb.103:                              ;   in Loop: Header=BB294_10 Depth=1
	s_or_b32 exec_lo, exec_lo, s42
	v_lshlrev_b32_e32 v3, 8, v3
	v_lshl_add_u32 v38, v38, 10, 0x2000
	v_lshlrev_b32_e32 v11, 23, v11
	v_and_or_b32 v3, 0x8000, v3, v38
	v_lshl_or_b32 v38, v3, 16, v11
.LBB294_104:                            ;   in Loop: Header=BB294_10 Depth=1
	s_or_b32 exec_lo, exec_lo, s41
.LBB294_105:                            ;   in Loop: Header=BB294_10 Depth=1
	s_or_b32 exec_lo, exec_lo, s40
.LBB294_106:                            ;   in Loop: Header=BB294_10 Depth=1
	s_or_b32 exec_lo, exec_lo, s3
	global_load_dword v11, v[9:10], off offset:264
	v_mov_b32_e32 v40, 0
	v_mov_b32_e32 v41, 0
	s_waitcnt vmcnt(0)
	v_cmp_ne_u16_sdwa s2, v11, v4 src0_sel:BYTE_0 src1_sel:DWORD
	s_and_saveexec_b32 s3, s2
	s_cbranch_execz .LBB294_114
; %bb.107:                              ;   in Loop: Header=BB294_10 Depth=1
	v_cmp_ne_u16_sdwa s2, v11, v22 src0_sel:BYTE_0 src1_sel:DWORD
	v_mov_b32_e32 v41, 0x8000
	s_and_saveexec_b32 s40, s2
	s_cbranch_execz .LBB294_113
; %bb.108:                              ;   in Loop: Header=BB294_10 Depth=1
	v_and_b32_e32 v42, 0x7f, v11
	v_mov_b32_e32 v41, 0x7c01
	s_mov_b32 s41, exec_lo
	v_cmpx_ne_u32_e32 0x7f, v42
	s_cbranch_execz .LBB294_112
; %bb.109:                              ;   in Loop: Header=BB294_10 Depth=1
	v_and_b32_e32 v3, 7, v11
	v_lshrrev_b32_e32 v41, 3, v42
	s_mov_b32 s42, exec_lo
	v_cmpx_gt_u32_e32 8, v42
; %bb.110:                              ;   in Loop: Header=BB294_10 Depth=1
	v_ffbh_u32_e32 v3, v3
	v_min_u32_e32 v3, 32, v3
	v_subrev_nc_u32_e32 v41, 28, v3
	v_lshlrev_b64 v[42:43], v41, v[11:12]
	v_sub_nc_u32_e32 v41, 29, v3
	v_and_b32_e32 v3, 7, v42
; %bb.111:                              ;   in Loop: Header=BB294_10 Depth=1
	s_or_b32 exec_lo, exec_lo, s42
	v_lshlrev_b32_e32 v42, 8, v11
	v_lshl_add_u32 v41, v41, 10, 0x2000
	v_lshlrev_b32_e32 v3, 7, v3
	v_and_b32_e32 v42, 0x8000, v42
	v_and_b32_e32 v41, 0xfc00, v41
	v_or3_b32 v41, v42, v41, v3
.LBB294_112:                            ;   in Loop: Header=BB294_10 Depth=1
	s_or_b32 exec_lo, exec_lo, s41
.LBB294_113:                            ;   in Loop: Header=BB294_10 Depth=1
	s_or_b32 exec_lo, exec_lo, s40
.LBB294_114:                            ;   in Loop: Header=BB294_10 Depth=1
	s_or_b32 exec_lo, exec_lo, s3
	v_lshrrev_b16 v3, 8, v11
	s_mov_b32 s3, exec_lo
	v_cmpx_ne_u16_e32 0, v3
	s_cbranch_execz .LBB294_122
; %bb.115:                              ;   in Loop: Header=BB294_10 Depth=1
	v_bfrev_b32_e32 v40, 1
	s_mov_b32 s40, exec_lo
	v_cmpx_ne_u16_e32 0x80, v3
	s_cbranch_execz .LBB294_121
; %bb.116:                              ;   in Loop: Header=BB294_10 Depth=1
	v_and_b32_sdwa v43, v3, v23 dst_sel:DWORD dst_unused:UNUSED_PAD src0_sel:WORD_0 src1_sel:DWORD
	v_mov_b32_e32 v40, 0x7c010000
	s_mov_b32 s41, exec_lo
	v_cmpx_ne_u32_e32 0x7f, v43
	s_cbranch_execz .LBB294_120
; %bb.117:                              ;   in Loop: Header=BB294_10 Depth=1
	v_and_b32_sdwa v40, v3, v24 dst_sel:DWORD dst_unused:UNUSED_PAD src0_sel:WORD_0 src1_sel:DWORD
	v_lshrrev_b32_e32 v42, 3, v43
	s_mov_b32 s42, exec_lo
	v_cmpx_gt_u32_e32 8, v43
; %bb.118:                              ;   in Loop: Header=BB294_10 Depth=1
	v_ffbh_u32_e32 v40, v40
	v_min_u32_e32 v40, 32, v40
	v_subrev_nc_u32_e32 v42, 28, v40
	v_lshlrev_b64 v[43:44], v42, v[3:4]
	v_sub_nc_u32_e32 v42, 29, v40
	v_and_b32_e32 v40, 7, v43
; %bb.119:                              ;   in Loop: Header=BB294_10 Depth=1
	s_or_b32 exec_lo, exec_lo, s42
	v_lshlrev_b32_sdwa v3, v25, v3 dst_sel:DWORD dst_unused:UNUSED_PAD src0_sel:DWORD src1_sel:WORD_0
	v_lshl_add_u32 v42, v42, 10, 0x2000
	v_lshlrev_b32_e32 v40, 23, v40
	v_and_or_b32 v3, 0x8000, v3, v42
	v_lshl_or_b32 v40, v3, 16, v40
.LBB294_120:                            ;   in Loop: Header=BB294_10 Depth=1
	s_or_b32 exec_lo, exec_lo, s41
.LBB294_121:                            ;   in Loop: Header=BB294_10 Depth=1
	s_or_b32 exec_lo, exec_lo, s40
.LBB294_122:                            ;   in Loop: Header=BB294_10 Depth=1
	s_or_b32 exec_lo, exec_lo, s3
	v_lshrrev_b32_e32 v3, 16, v11
	v_mov_b32_e32 v42, 0
	v_mov_b32_e32 v43, 0
	v_cmp_ne_u16_sdwa s2, v3, v4 src0_sel:BYTE_0 src1_sel:DWORD
	s_and_saveexec_b32 s3, s2
	s_cbranch_execz .LBB294_130
; %bb.123:                              ;   in Loop: Header=BB294_10 Depth=1
	v_cmp_ne_u16_sdwa s2, v3, v22 src0_sel:BYTE_0 src1_sel:DWORD
	v_mov_b32_e32 v43, 0x8000
	s_and_saveexec_b32 s40, s2
	s_cbranch_execz .LBB294_129
; %bb.124:                              ;   in Loop: Header=BB294_10 Depth=1
	v_bfe_u32 v45, v11, 16, 7
	v_mov_b32_e32 v43, 0x7c01
	s_mov_b32 s41, exec_lo
	v_cmpx_ne_u32_e32 0x7f, v45
	s_cbranch_execz .LBB294_128
; %bb.125:                              ;   in Loop: Header=BB294_10 Depth=1
	v_and_b32_e32 v43, 7, v3
	v_lshrrev_b32_e32 v44, 3, v45
	s_mov_b32 s42, exec_lo
	v_cmpx_gt_u32_e32 8, v45
; %bb.126:                              ;   in Loop: Header=BB294_10 Depth=1
	v_ffbh_u32_e32 v43, v43
	v_min_u32_e32 v45, 32, v43
	v_subrev_nc_u32_e32 v43, 28, v45
	v_lshlrev_b64 v[43:44], v43, v[3:4]
	v_sub_nc_u32_e32 v44, 29, v45
	v_and_b32_e32 v43, 7, v43
; %bb.127:                              ;   in Loop: Header=BB294_10 Depth=1
	s_or_b32 exec_lo, exec_lo, s42
	v_lshlrev_b32_e32 v3, 8, v3
	v_lshl_add_u32 v44, v44, 10, 0x2000
	v_lshlrev_b32_e32 v43, 7, v43
	v_and_b32_e32 v3, 0x8000, v3
	v_and_b32_e32 v44, 0xfc00, v44
	v_or3_b32 v43, v3, v44, v43
.LBB294_128:                            ;   in Loop: Header=BB294_10 Depth=1
	s_or_b32 exec_lo, exec_lo, s41
.LBB294_129:                            ;   in Loop: Header=BB294_10 Depth=1
	s_or_b32 exec_lo, exec_lo, s40
.LBB294_130:                            ;   in Loop: Header=BB294_10 Depth=1
	s_or_b32 exec_lo, exec_lo, s3
	s_mov_b32 s3, exec_lo
	v_cmpx_lt_u32_e32 0xffffff, v11
	s_cbranch_execz .LBB294_138
; %bb.131:                              ;   in Loop: Header=BB294_10 Depth=1
	v_lshrrev_b32_e32 v3, 24, v11
	v_bfrev_b32_e32 v42, 1
	s_mov_b32 s40, exec_lo
	v_cmpx_ne_u32_e32 0x80, v3
	s_cbranch_execz .LBB294_137
; %bb.132:                              ;   in Loop: Header=BB294_10 Depth=1
	v_and_b32_e32 v44, 0x7f, v3
	v_mov_b32_e32 v42, 0x7c010000
	s_mov_b32 s41, exec_lo
	v_cmpx_ne_u32_e32 0x7f, v44
	s_cbranch_execz .LBB294_136
; %bb.133:                              ;   in Loop: Header=BB294_10 Depth=1
	v_and_b32_e32 v11, 7, v3
	v_lshrrev_b32_e32 v42, 3, v44
	s_mov_b32 s42, exec_lo
	v_cmpx_gt_u32_e32 8, v44
; %bb.134:                              ;   in Loop: Header=BB294_10 Depth=1
	v_ffbh_u32_e32 v11, v11
	v_min_u32_e32 v11, 32, v11
	v_subrev_nc_u32_e32 v42, 28, v11
	v_lshlrev_b64 v[44:45], v42, v[3:4]
	v_sub_nc_u32_e32 v42, 29, v11
	v_and_b32_e32 v11, 7, v44
; %bb.135:                              ;   in Loop: Header=BB294_10 Depth=1
	s_or_b32 exec_lo, exec_lo, s42
	v_lshlrev_b32_e32 v3, 8, v3
	v_lshl_add_u32 v42, v42, 10, 0x2000
	v_lshlrev_b32_e32 v11, 23, v11
	v_and_or_b32 v3, 0x8000, v3, v42
	v_lshl_or_b32 v42, v3, 16, v11
.LBB294_136:                            ;   in Loop: Header=BB294_10 Depth=1
	s_or_b32 exec_lo, exec_lo, s41
.LBB294_137:                            ;   in Loop: Header=BB294_10 Depth=1
	s_or_b32 exec_lo, exec_lo, s40
.LBB294_138:                            ;   in Loop: Header=BB294_10 Depth=1
	s_or_b32 exec_lo, exec_lo, s3
	global_load_dword v11, v[9:10], off offset:512
	v_mov_b32_e32 v44, 0
	v_mov_b32_e32 v45, 0
	s_waitcnt vmcnt(0)
	v_cmp_ne_u16_sdwa s2, v11, v4 src0_sel:BYTE_0 src1_sel:DWORD
	s_and_saveexec_b32 s3, s2
	s_cbranch_execz .LBB294_146
; %bb.139:                              ;   in Loop: Header=BB294_10 Depth=1
	v_cmp_ne_u16_sdwa s2, v11, v22 src0_sel:BYTE_0 src1_sel:DWORD
	v_mov_b32_e32 v45, 0x8000
	s_and_saveexec_b32 s40, s2
	s_cbranch_execz .LBB294_145
; %bb.140:                              ;   in Loop: Header=BB294_10 Depth=1
	v_and_b32_e32 v46, 0x7f, v11
	v_mov_b32_e32 v45, 0x7c01
	s_mov_b32 s41, exec_lo
	v_cmpx_ne_u32_e32 0x7f, v46
	s_cbranch_execz .LBB294_144
; %bb.141:                              ;   in Loop: Header=BB294_10 Depth=1
	v_and_b32_e32 v3, 7, v11
	v_lshrrev_b32_e32 v45, 3, v46
	s_mov_b32 s42, exec_lo
	v_cmpx_gt_u32_e32 8, v46
; %bb.142:                              ;   in Loop: Header=BB294_10 Depth=1
	v_ffbh_u32_e32 v3, v3
	v_min_u32_e32 v3, 32, v3
	v_subrev_nc_u32_e32 v45, 28, v3
	v_lshlrev_b64 v[46:47], v45, v[11:12]
	v_sub_nc_u32_e32 v45, 29, v3
	v_and_b32_e32 v3, 7, v46
; %bb.143:                              ;   in Loop: Header=BB294_10 Depth=1
	s_or_b32 exec_lo, exec_lo, s42
	v_lshlrev_b32_e32 v46, 8, v11
	v_lshl_add_u32 v45, v45, 10, 0x2000
	v_lshlrev_b32_e32 v3, 7, v3
	v_and_b32_e32 v46, 0x8000, v46
	v_and_b32_e32 v45, 0xfc00, v45
	v_or3_b32 v45, v46, v45, v3
.LBB294_144:                            ;   in Loop: Header=BB294_10 Depth=1
	s_or_b32 exec_lo, exec_lo, s41
.LBB294_145:                            ;   in Loop: Header=BB294_10 Depth=1
	s_or_b32 exec_lo, exec_lo, s40
.LBB294_146:                            ;   in Loop: Header=BB294_10 Depth=1
	s_or_b32 exec_lo, exec_lo, s3
	v_lshrrev_b16 v3, 8, v11
	s_mov_b32 s3, exec_lo
	v_cmpx_ne_u16_e32 0, v3
	s_cbranch_execz .LBB294_154
; %bb.147:                              ;   in Loop: Header=BB294_10 Depth=1
	v_bfrev_b32_e32 v44, 1
	s_mov_b32 s40, exec_lo
	v_cmpx_ne_u16_e32 0x80, v3
	s_cbranch_execz .LBB294_153
; %bb.148:                              ;   in Loop: Header=BB294_10 Depth=1
	v_and_b32_sdwa v47, v3, v23 dst_sel:DWORD dst_unused:UNUSED_PAD src0_sel:WORD_0 src1_sel:DWORD
	v_mov_b32_e32 v44, 0x7c010000
	s_mov_b32 s41, exec_lo
	v_cmpx_ne_u32_e32 0x7f, v47
	s_cbranch_execz .LBB294_152
; %bb.149:                              ;   in Loop: Header=BB294_10 Depth=1
	v_and_b32_sdwa v44, v3, v24 dst_sel:DWORD dst_unused:UNUSED_PAD src0_sel:WORD_0 src1_sel:DWORD
	v_lshrrev_b32_e32 v46, 3, v47
	s_mov_b32 s42, exec_lo
	v_cmpx_gt_u32_e32 8, v47
; %bb.150:                              ;   in Loop: Header=BB294_10 Depth=1
	v_ffbh_u32_e32 v44, v44
	v_min_u32_e32 v44, 32, v44
	v_subrev_nc_u32_e32 v46, 28, v44
	v_lshlrev_b64 v[47:48], v46, v[3:4]
	v_sub_nc_u32_e32 v46, 29, v44
	v_and_b32_e32 v44, 7, v47
; %bb.151:                              ;   in Loop: Header=BB294_10 Depth=1
	s_or_b32 exec_lo, exec_lo, s42
	v_lshlrev_b32_sdwa v3, v25, v3 dst_sel:DWORD dst_unused:UNUSED_PAD src0_sel:DWORD src1_sel:WORD_0
	v_lshl_add_u32 v46, v46, 10, 0x2000
	v_lshlrev_b32_e32 v44, 23, v44
	v_and_or_b32 v3, 0x8000, v3, v46
	v_lshl_or_b32 v44, v3, 16, v44
.LBB294_152:                            ;   in Loop: Header=BB294_10 Depth=1
	s_or_b32 exec_lo, exec_lo, s41
.LBB294_153:                            ;   in Loop: Header=BB294_10 Depth=1
	s_or_b32 exec_lo, exec_lo, s40
.LBB294_154:                            ;   in Loop: Header=BB294_10 Depth=1
	s_or_b32 exec_lo, exec_lo, s3
	v_lshrrev_b32_e32 v3, 16, v11
	v_mov_b32_e32 v46, 0
	v_mov_b32_e32 v47, 0
	v_cmp_ne_u16_sdwa s2, v3, v4 src0_sel:BYTE_0 src1_sel:DWORD
	s_and_saveexec_b32 s3, s2
	s_cbranch_execz .LBB294_162
; %bb.155:                              ;   in Loop: Header=BB294_10 Depth=1
	v_cmp_ne_u16_sdwa s2, v3, v22 src0_sel:BYTE_0 src1_sel:DWORD
	v_mov_b32_e32 v47, 0x8000
	s_and_saveexec_b32 s40, s2
	s_cbranch_execz .LBB294_161
; %bb.156:                              ;   in Loop: Header=BB294_10 Depth=1
	v_bfe_u32 v49, v11, 16, 7
	v_mov_b32_e32 v47, 0x7c01
	s_mov_b32 s41, exec_lo
	v_cmpx_ne_u32_e32 0x7f, v49
	s_cbranch_execz .LBB294_160
; %bb.157:                              ;   in Loop: Header=BB294_10 Depth=1
	v_and_b32_e32 v47, 7, v3
	v_lshrrev_b32_e32 v48, 3, v49
	s_mov_b32 s42, exec_lo
	v_cmpx_gt_u32_e32 8, v49
; %bb.158:                              ;   in Loop: Header=BB294_10 Depth=1
	v_ffbh_u32_e32 v47, v47
	v_min_u32_e32 v49, 32, v47
	v_subrev_nc_u32_e32 v47, 28, v49
	v_lshlrev_b64 v[47:48], v47, v[3:4]
	v_sub_nc_u32_e32 v48, 29, v49
	v_and_b32_e32 v47, 7, v47
; %bb.159:                              ;   in Loop: Header=BB294_10 Depth=1
	s_or_b32 exec_lo, exec_lo, s42
	v_lshlrev_b32_e32 v3, 8, v3
	v_lshl_add_u32 v48, v48, 10, 0x2000
	v_lshlrev_b32_e32 v47, 7, v47
	v_and_b32_e32 v3, 0x8000, v3
	v_and_b32_e32 v48, 0xfc00, v48
	v_or3_b32 v47, v3, v48, v47
.LBB294_160:                            ;   in Loop: Header=BB294_10 Depth=1
	s_or_b32 exec_lo, exec_lo, s41
.LBB294_161:                            ;   in Loop: Header=BB294_10 Depth=1
	s_or_b32 exec_lo, exec_lo, s40
.LBB294_162:                            ;   in Loop: Header=BB294_10 Depth=1
	s_or_b32 exec_lo, exec_lo, s3
	s_mov_b32 s3, exec_lo
	v_cmpx_lt_u32_e32 0xffffff, v11
	s_cbranch_execz .LBB294_170
; %bb.163:                              ;   in Loop: Header=BB294_10 Depth=1
	v_lshrrev_b32_e32 v3, 24, v11
	v_bfrev_b32_e32 v46, 1
	s_mov_b32 s40, exec_lo
	v_cmpx_ne_u32_e32 0x80, v3
	s_cbranch_execz .LBB294_169
; %bb.164:                              ;   in Loop: Header=BB294_10 Depth=1
	v_and_b32_e32 v48, 0x7f, v3
	v_mov_b32_e32 v46, 0x7c010000
	s_mov_b32 s41, exec_lo
	v_cmpx_ne_u32_e32 0x7f, v48
	s_cbranch_execz .LBB294_168
; %bb.165:                              ;   in Loop: Header=BB294_10 Depth=1
	v_and_b32_e32 v11, 7, v3
	v_lshrrev_b32_e32 v46, 3, v48
	s_mov_b32 s42, exec_lo
	v_cmpx_gt_u32_e32 8, v48
; %bb.166:                              ;   in Loop: Header=BB294_10 Depth=1
	v_ffbh_u32_e32 v11, v11
	v_min_u32_e32 v11, 32, v11
	v_subrev_nc_u32_e32 v46, 28, v11
	v_lshlrev_b64 v[48:49], v46, v[3:4]
	v_sub_nc_u32_e32 v46, 29, v11
	v_and_b32_e32 v11, 7, v48
; %bb.167:                              ;   in Loop: Header=BB294_10 Depth=1
	s_or_b32 exec_lo, exec_lo, s42
	v_lshlrev_b32_e32 v3, 8, v3
	v_lshl_add_u32 v46, v46, 10, 0x2000
	v_lshlrev_b32_e32 v11, 23, v11
	v_and_or_b32 v3, 0x8000, v3, v46
	v_lshl_or_b32 v46, v3, 16, v11
.LBB294_168:                            ;   in Loop: Header=BB294_10 Depth=1
	s_or_b32 exec_lo, exec_lo, s41
.LBB294_169:                            ;   in Loop: Header=BB294_10 Depth=1
	s_or_b32 exec_lo, exec_lo, s40
.LBB294_170:                            ;   in Loop: Header=BB294_10 Depth=1
	s_or_b32 exec_lo, exec_lo, s3
	global_load_dword v11, v[9:10], off offset:520
	v_mov_b32_e32 v48, 0
	v_mov_b32_e32 v49, 0
	s_waitcnt vmcnt(0)
	v_cmp_ne_u16_sdwa s2, v11, v4 src0_sel:BYTE_0 src1_sel:DWORD
	s_and_saveexec_b32 s3, s2
	s_cbranch_execz .LBB294_178
; %bb.171:                              ;   in Loop: Header=BB294_10 Depth=1
	v_cmp_ne_u16_sdwa s2, v11, v22 src0_sel:BYTE_0 src1_sel:DWORD
	v_mov_b32_e32 v49, 0x8000
	s_and_saveexec_b32 s40, s2
	s_cbranch_execz .LBB294_177
; %bb.172:                              ;   in Loop: Header=BB294_10 Depth=1
	v_and_b32_e32 v50, 0x7f, v11
	v_mov_b32_e32 v49, 0x7c01
	s_mov_b32 s41, exec_lo
	v_cmpx_ne_u32_e32 0x7f, v50
	s_cbranch_execz .LBB294_176
; %bb.173:                              ;   in Loop: Header=BB294_10 Depth=1
	v_and_b32_e32 v3, 7, v11
	v_lshrrev_b32_e32 v49, 3, v50
	s_mov_b32 s42, exec_lo
	v_cmpx_gt_u32_e32 8, v50
; %bb.174:                              ;   in Loop: Header=BB294_10 Depth=1
	v_ffbh_u32_e32 v3, v3
	v_min_u32_e32 v3, 32, v3
	v_subrev_nc_u32_e32 v49, 28, v3
	v_lshlrev_b64 v[50:51], v49, v[11:12]
	v_sub_nc_u32_e32 v49, 29, v3
	v_and_b32_e32 v3, 7, v50
; %bb.175:                              ;   in Loop: Header=BB294_10 Depth=1
	s_or_b32 exec_lo, exec_lo, s42
	v_lshlrev_b32_e32 v50, 8, v11
	v_lshl_add_u32 v49, v49, 10, 0x2000
	v_lshlrev_b32_e32 v3, 7, v3
	v_and_b32_e32 v50, 0x8000, v50
	v_and_b32_e32 v49, 0xfc00, v49
	v_or3_b32 v49, v50, v49, v3
.LBB294_176:                            ;   in Loop: Header=BB294_10 Depth=1
	s_or_b32 exec_lo, exec_lo, s41
.LBB294_177:                            ;   in Loop: Header=BB294_10 Depth=1
	s_or_b32 exec_lo, exec_lo, s40
.LBB294_178:                            ;   in Loop: Header=BB294_10 Depth=1
	s_or_b32 exec_lo, exec_lo, s3
	v_lshrrev_b16 v3, 8, v11
	s_mov_b32 s3, exec_lo
	v_cmpx_ne_u16_e32 0, v3
	s_cbranch_execz .LBB294_186
; %bb.179:                              ;   in Loop: Header=BB294_10 Depth=1
	v_bfrev_b32_e32 v48, 1
	s_mov_b32 s40, exec_lo
	v_cmpx_ne_u16_e32 0x80, v3
	s_cbranch_execz .LBB294_185
; %bb.180:                              ;   in Loop: Header=BB294_10 Depth=1
	v_and_b32_sdwa v51, v3, v23 dst_sel:DWORD dst_unused:UNUSED_PAD src0_sel:WORD_0 src1_sel:DWORD
	v_mov_b32_e32 v48, 0x7c010000
	s_mov_b32 s41, exec_lo
	v_cmpx_ne_u32_e32 0x7f, v51
	s_cbranch_execz .LBB294_184
; %bb.181:                              ;   in Loop: Header=BB294_10 Depth=1
	v_and_b32_sdwa v48, v3, v24 dst_sel:DWORD dst_unused:UNUSED_PAD src0_sel:WORD_0 src1_sel:DWORD
	v_lshrrev_b32_e32 v50, 3, v51
	s_mov_b32 s42, exec_lo
	v_cmpx_gt_u32_e32 8, v51
; %bb.182:                              ;   in Loop: Header=BB294_10 Depth=1
	v_ffbh_u32_e32 v48, v48
	v_min_u32_e32 v48, 32, v48
	v_subrev_nc_u32_e32 v50, 28, v48
	v_lshlrev_b64 v[51:52], v50, v[3:4]
	v_sub_nc_u32_e32 v50, 29, v48
	v_and_b32_e32 v48, 7, v51
; %bb.183:                              ;   in Loop: Header=BB294_10 Depth=1
	s_or_b32 exec_lo, exec_lo, s42
	v_lshlrev_b32_sdwa v3, v25, v3 dst_sel:DWORD dst_unused:UNUSED_PAD src0_sel:DWORD src1_sel:WORD_0
	v_lshl_add_u32 v50, v50, 10, 0x2000
	v_lshlrev_b32_e32 v48, 23, v48
	v_and_or_b32 v3, 0x8000, v3, v50
	v_lshl_or_b32 v48, v3, 16, v48
.LBB294_184:                            ;   in Loop: Header=BB294_10 Depth=1
	s_or_b32 exec_lo, exec_lo, s41
.LBB294_185:                            ;   in Loop: Header=BB294_10 Depth=1
	s_or_b32 exec_lo, exec_lo, s40
.LBB294_186:                            ;   in Loop: Header=BB294_10 Depth=1
	s_or_b32 exec_lo, exec_lo, s3
	v_lshrrev_b32_e32 v3, 16, v11
	v_mov_b32_e32 v50, 0
	v_mov_b32_e32 v51, 0
	v_cmp_ne_u16_sdwa s2, v3, v4 src0_sel:BYTE_0 src1_sel:DWORD
	s_and_saveexec_b32 s3, s2
	s_cbranch_execz .LBB294_194
; %bb.187:                              ;   in Loop: Header=BB294_10 Depth=1
	v_cmp_ne_u16_sdwa s2, v3, v22 src0_sel:BYTE_0 src1_sel:DWORD
	v_mov_b32_e32 v51, 0x8000
	s_and_saveexec_b32 s40, s2
	s_cbranch_execz .LBB294_193
; %bb.188:                              ;   in Loop: Header=BB294_10 Depth=1
	v_bfe_u32 v53, v11, 16, 7
	v_mov_b32_e32 v51, 0x7c01
	s_mov_b32 s41, exec_lo
	v_cmpx_ne_u32_e32 0x7f, v53
	s_cbranch_execz .LBB294_192
; %bb.189:                              ;   in Loop: Header=BB294_10 Depth=1
	v_and_b32_e32 v51, 7, v3
	v_lshrrev_b32_e32 v52, 3, v53
	s_mov_b32 s42, exec_lo
	v_cmpx_gt_u32_e32 8, v53
; %bb.190:                              ;   in Loop: Header=BB294_10 Depth=1
	v_ffbh_u32_e32 v51, v51
	v_min_u32_e32 v53, 32, v51
	v_subrev_nc_u32_e32 v51, 28, v53
	v_lshlrev_b64 v[51:52], v51, v[3:4]
	v_sub_nc_u32_e32 v52, 29, v53
	v_and_b32_e32 v51, 7, v51
; %bb.191:                              ;   in Loop: Header=BB294_10 Depth=1
	s_or_b32 exec_lo, exec_lo, s42
	v_lshlrev_b32_e32 v3, 8, v3
	v_lshl_add_u32 v52, v52, 10, 0x2000
	v_lshlrev_b32_e32 v51, 7, v51
	v_and_b32_e32 v3, 0x8000, v3
	v_and_b32_e32 v52, 0xfc00, v52
	v_or3_b32 v51, v3, v52, v51
.LBB294_192:                            ;   in Loop: Header=BB294_10 Depth=1
	s_or_b32 exec_lo, exec_lo, s41
.LBB294_193:                            ;   in Loop: Header=BB294_10 Depth=1
	s_or_b32 exec_lo, exec_lo, s40
.LBB294_194:                            ;   in Loop: Header=BB294_10 Depth=1
	s_or_b32 exec_lo, exec_lo, s3
	s_mov_b32 s3, exec_lo
	v_cmpx_lt_u32_e32 0xffffff, v11
	s_cbranch_execz .LBB294_202
; %bb.195:                              ;   in Loop: Header=BB294_10 Depth=1
	v_lshrrev_b32_e32 v3, 24, v11
	v_bfrev_b32_e32 v50, 1
	s_mov_b32 s40, exec_lo
	v_cmpx_ne_u32_e32 0x80, v3
	s_cbranch_execz .LBB294_201
; %bb.196:                              ;   in Loop: Header=BB294_10 Depth=1
	v_and_b32_e32 v52, 0x7f, v3
	v_mov_b32_e32 v50, 0x7c010000
	s_mov_b32 s41, exec_lo
	v_cmpx_ne_u32_e32 0x7f, v52
	s_cbranch_execz .LBB294_200
; %bb.197:                              ;   in Loop: Header=BB294_10 Depth=1
	v_and_b32_e32 v11, 7, v3
	v_lshrrev_b32_e32 v50, 3, v52
	s_mov_b32 s42, exec_lo
	v_cmpx_gt_u32_e32 8, v52
; %bb.198:                              ;   in Loop: Header=BB294_10 Depth=1
	v_ffbh_u32_e32 v11, v11
	v_min_u32_e32 v11, 32, v11
	v_subrev_nc_u32_e32 v50, 28, v11
	v_lshlrev_b64 v[52:53], v50, v[3:4]
	v_sub_nc_u32_e32 v50, 29, v11
	v_and_b32_e32 v11, 7, v52
; %bb.199:                              ;   in Loop: Header=BB294_10 Depth=1
	s_or_b32 exec_lo, exec_lo, s42
	v_lshlrev_b32_e32 v3, 8, v3
	v_lshl_add_u32 v50, v50, 10, 0x2000
	v_lshlrev_b32_e32 v11, 23, v11
	v_and_or_b32 v3, 0x8000, v3, v50
	v_lshl_or_b32 v50, v3, 16, v11
.LBB294_200:                            ;   in Loop: Header=BB294_10 Depth=1
	s_or_b32 exec_lo, exec_lo, s41
.LBB294_201:                            ;   in Loop: Header=BB294_10 Depth=1
	s_or_b32 exec_lo, exec_lo, s40
.LBB294_202:                            ;   in Loop: Header=BB294_10 Depth=1
	s_or_b32 exec_lo, exec_lo, s3
	global_load_dword v11, v[9:10], off offset:768
	v_mov_b32_e32 v52, 0
	v_mov_b32_e32 v53, 0
	s_waitcnt vmcnt(0)
	v_cmp_ne_u16_sdwa s2, v11, v4 src0_sel:BYTE_0 src1_sel:DWORD
	s_and_saveexec_b32 s3, s2
	s_cbranch_execz .LBB294_210
; %bb.203:                              ;   in Loop: Header=BB294_10 Depth=1
	v_cmp_ne_u16_sdwa s2, v11, v22 src0_sel:BYTE_0 src1_sel:DWORD
	v_mov_b32_e32 v53, 0x8000
	s_and_saveexec_b32 s40, s2
	s_cbranch_execz .LBB294_209
; %bb.204:                              ;   in Loop: Header=BB294_10 Depth=1
	v_and_b32_e32 v54, 0x7f, v11
	v_mov_b32_e32 v53, 0x7c01
	s_mov_b32 s41, exec_lo
	v_cmpx_ne_u32_e32 0x7f, v54
	s_cbranch_execz .LBB294_208
; %bb.205:                              ;   in Loop: Header=BB294_10 Depth=1
	v_and_b32_e32 v3, 7, v11
	v_lshrrev_b32_e32 v53, 3, v54
	s_mov_b32 s42, exec_lo
	v_cmpx_gt_u32_e32 8, v54
; %bb.206:                              ;   in Loop: Header=BB294_10 Depth=1
	v_ffbh_u32_e32 v3, v3
	v_min_u32_e32 v3, 32, v3
	v_subrev_nc_u32_e32 v53, 28, v3
	v_lshlrev_b64 v[54:55], v53, v[11:12]
	v_sub_nc_u32_e32 v53, 29, v3
	v_and_b32_e32 v3, 7, v54
; %bb.207:                              ;   in Loop: Header=BB294_10 Depth=1
	s_or_b32 exec_lo, exec_lo, s42
	v_lshlrev_b32_e32 v54, 8, v11
	v_lshl_add_u32 v53, v53, 10, 0x2000
	v_lshlrev_b32_e32 v3, 7, v3
	v_and_b32_e32 v54, 0x8000, v54
	v_and_b32_e32 v53, 0xfc00, v53
	v_or3_b32 v53, v54, v53, v3
.LBB294_208:                            ;   in Loop: Header=BB294_10 Depth=1
	s_or_b32 exec_lo, exec_lo, s41
.LBB294_209:                            ;   in Loop: Header=BB294_10 Depth=1
	s_or_b32 exec_lo, exec_lo, s40
.LBB294_210:                            ;   in Loop: Header=BB294_10 Depth=1
	s_or_b32 exec_lo, exec_lo, s3
	v_lshrrev_b16 v3, 8, v11
	s_mov_b32 s3, exec_lo
	v_cmpx_ne_u16_e32 0, v3
	s_cbranch_execz .LBB294_218
; %bb.211:                              ;   in Loop: Header=BB294_10 Depth=1
	v_bfrev_b32_e32 v52, 1
	s_mov_b32 s40, exec_lo
	v_cmpx_ne_u16_e32 0x80, v3
	s_cbranch_execz .LBB294_217
; %bb.212:                              ;   in Loop: Header=BB294_10 Depth=1
	v_and_b32_sdwa v55, v3, v23 dst_sel:DWORD dst_unused:UNUSED_PAD src0_sel:WORD_0 src1_sel:DWORD
	v_mov_b32_e32 v52, 0x7c010000
	s_mov_b32 s41, exec_lo
	v_cmpx_ne_u32_e32 0x7f, v55
	s_cbranch_execz .LBB294_216
; %bb.213:                              ;   in Loop: Header=BB294_10 Depth=1
	v_and_b32_sdwa v52, v3, v24 dst_sel:DWORD dst_unused:UNUSED_PAD src0_sel:WORD_0 src1_sel:DWORD
	v_lshrrev_b32_e32 v54, 3, v55
	s_mov_b32 s42, exec_lo
	v_cmpx_gt_u32_e32 8, v55
; %bb.214:                              ;   in Loop: Header=BB294_10 Depth=1
	v_ffbh_u32_e32 v52, v52
	v_min_u32_e32 v52, 32, v52
	v_subrev_nc_u32_e32 v54, 28, v52
	v_lshlrev_b64 v[55:56], v54, v[3:4]
	v_sub_nc_u32_e32 v54, 29, v52
	v_and_b32_e32 v52, 7, v55
; %bb.215:                              ;   in Loop: Header=BB294_10 Depth=1
	s_or_b32 exec_lo, exec_lo, s42
	v_lshlrev_b32_sdwa v3, v25, v3 dst_sel:DWORD dst_unused:UNUSED_PAD src0_sel:DWORD src1_sel:WORD_0
	v_lshl_add_u32 v54, v54, 10, 0x2000
	v_lshlrev_b32_e32 v52, 23, v52
	v_and_or_b32 v3, 0x8000, v3, v54
	v_lshl_or_b32 v52, v3, 16, v52
.LBB294_216:                            ;   in Loop: Header=BB294_10 Depth=1
	s_or_b32 exec_lo, exec_lo, s41
.LBB294_217:                            ;   in Loop: Header=BB294_10 Depth=1
	s_or_b32 exec_lo, exec_lo, s40
.LBB294_218:                            ;   in Loop: Header=BB294_10 Depth=1
	s_or_b32 exec_lo, exec_lo, s3
	v_lshrrev_b32_e32 v3, 16, v11
	v_mov_b32_e32 v54, 0
	v_mov_b32_e32 v55, 0
	v_cmp_ne_u16_sdwa s2, v3, v4 src0_sel:BYTE_0 src1_sel:DWORD
	s_and_saveexec_b32 s3, s2
	s_cbranch_execz .LBB294_226
; %bb.219:                              ;   in Loop: Header=BB294_10 Depth=1
	v_cmp_ne_u16_sdwa s2, v3, v22 src0_sel:BYTE_0 src1_sel:DWORD
	v_mov_b32_e32 v55, 0x8000
	s_and_saveexec_b32 s40, s2
	s_cbranch_execz .LBB294_225
; %bb.220:                              ;   in Loop: Header=BB294_10 Depth=1
	v_bfe_u32 v57, v11, 16, 7
	v_mov_b32_e32 v55, 0x7c01
	s_mov_b32 s41, exec_lo
	v_cmpx_ne_u32_e32 0x7f, v57
	s_cbranch_execz .LBB294_224
; %bb.221:                              ;   in Loop: Header=BB294_10 Depth=1
	v_and_b32_e32 v55, 7, v3
	v_lshrrev_b32_e32 v56, 3, v57
	s_mov_b32 s42, exec_lo
	v_cmpx_gt_u32_e32 8, v57
; %bb.222:                              ;   in Loop: Header=BB294_10 Depth=1
	v_ffbh_u32_e32 v55, v55
	v_min_u32_e32 v57, 32, v55
	v_subrev_nc_u32_e32 v55, 28, v57
	v_lshlrev_b64 v[55:56], v55, v[3:4]
	v_sub_nc_u32_e32 v56, 29, v57
	v_and_b32_e32 v55, 7, v55
; %bb.223:                              ;   in Loop: Header=BB294_10 Depth=1
	s_or_b32 exec_lo, exec_lo, s42
	v_lshlrev_b32_e32 v3, 8, v3
	v_lshl_add_u32 v56, v56, 10, 0x2000
	v_lshlrev_b32_e32 v55, 7, v55
	v_and_b32_e32 v3, 0x8000, v3
	v_and_b32_e32 v56, 0xfc00, v56
	v_or3_b32 v55, v3, v56, v55
.LBB294_224:                            ;   in Loop: Header=BB294_10 Depth=1
	s_or_b32 exec_lo, exec_lo, s41
.LBB294_225:                            ;   in Loop: Header=BB294_10 Depth=1
	s_or_b32 exec_lo, exec_lo, s40
.LBB294_226:                            ;   in Loop: Header=BB294_10 Depth=1
	s_or_b32 exec_lo, exec_lo, s3
	s_mov_b32 s3, exec_lo
	v_cmpx_lt_u32_e32 0xffffff, v11
	s_cbranch_execz .LBB294_234
; %bb.227:                              ;   in Loop: Header=BB294_10 Depth=1
	v_lshrrev_b32_e32 v3, 24, v11
	v_bfrev_b32_e32 v54, 1
	s_mov_b32 s40, exec_lo
	v_cmpx_ne_u32_e32 0x80, v3
	s_cbranch_execz .LBB294_233
; %bb.228:                              ;   in Loop: Header=BB294_10 Depth=1
	v_and_b32_e32 v56, 0x7f, v3
	v_mov_b32_e32 v54, 0x7c010000
	s_mov_b32 s41, exec_lo
	v_cmpx_ne_u32_e32 0x7f, v56
	s_cbranch_execz .LBB294_232
; %bb.229:                              ;   in Loop: Header=BB294_10 Depth=1
	v_and_b32_e32 v11, 7, v3
	v_lshrrev_b32_e32 v54, 3, v56
	s_mov_b32 s42, exec_lo
	v_cmpx_gt_u32_e32 8, v56
; %bb.230:                              ;   in Loop: Header=BB294_10 Depth=1
	v_ffbh_u32_e32 v11, v11
	v_min_u32_e32 v11, 32, v11
	v_subrev_nc_u32_e32 v54, 28, v11
	v_lshlrev_b64 v[56:57], v54, v[3:4]
	v_sub_nc_u32_e32 v54, 29, v11
	v_and_b32_e32 v11, 7, v56
; %bb.231:                              ;   in Loop: Header=BB294_10 Depth=1
	s_or_b32 exec_lo, exec_lo, s42
	v_lshlrev_b32_e32 v3, 8, v3
	v_lshl_add_u32 v54, v54, 10, 0x2000
	v_lshlrev_b32_e32 v11, 23, v11
	v_and_or_b32 v3, 0x8000, v3, v54
	v_lshl_or_b32 v54, v3, 16, v11
.LBB294_232:                            ;   in Loop: Header=BB294_10 Depth=1
	s_or_b32 exec_lo, exec_lo, s41
.LBB294_233:                            ;   in Loop: Header=BB294_10 Depth=1
	s_or_b32 exec_lo, exec_lo, s40
.LBB294_234:                            ;   in Loop: Header=BB294_10 Depth=1
	s_or_b32 exec_lo, exec_lo, s3
	global_load_dword v11, v[9:10], off offset:776
	v_mov_b32_e32 v56, 0
	v_mov_b32_e32 v57, 0
	s_waitcnt vmcnt(0)
	v_cmp_ne_u16_sdwa s2, v11, v4 src0_sel:BYTE_0 src1_sel:DWORD
	s_and_saveexec_b32 s3, s2
	s_cbranch_execz .LBB294_242
; %bb.235:                              ;   in Loop: Header=BB294_10 Depth=1
	v_cmp_ne_u16_sdwa s2, v11, v22 src0_sel:BYTE_0 src1_sel:DWORD
	v_mov_b32_e32 v57, 0x8000
	s_and_saveexec_b32 s40, s2
	s_cbranch_execz .LBB294_241
; %bb.236:                              ;   in Loop: Header=BB294_10 Depth=1
	v_and_b32_e32 v58, 0x7f, v11
	v_mov_b32_e32 v57, 0x7c01
	s_mov_b32 s41, exec_lo
	v_cmpx_ne_u32_e32 0x7f, v58
	s_cbranch_execz .LBB294_240
; %bb.237:                              ;   in Loop: Header=BB294_10 Depth=1
	v_and_b32_e32 v3, 7, v11
	v_lshrrev_b32_e32 v57, 3, v58
	s_mov_b32 s42, exec_lo
	v_cmpx_gt_u32_e32 8, v58
; %bb.238:                              ;   in Loop: Header=BB294_10 Depth=1
	v_ffbh_u32_e32 v3, v3
	v_min_u32_e32 v3, 32, v3
	v_subrev_nc_u32_e32 v57, 28, v3
	v_lshlrev_b64 v[58:59], v57, v[11:12]
	v_sub_nc_u32_e32 v57, 29, v3
	v_and_b32_e32 v3, 7, v58
; %bb.239:                              ;   in Loop: Header=BB294_10 Depth=1
	s_or_b32 exec_lo, exec_lo, s42
	v_lshlrev_b32_e32 v58, 8, v11
	v_lshl_add_u32 v57, v57, 10, 0x2000
	v_lshlrev_b32_e32 v3, 7, v3
	v_and_b32_e32 v58, 0x8000, v58
	v_and_b32_e32 v57, 0xfc00, v57
	v_or3_b32 v57, v58, v57, v3
.LBB294_240:                            ;   in Loop: Header=BB294_10 Depth=1
	s_or_b32 exec_lo, exec_lo, s41
.LBB294_241:                            ;   in Loop: Header=BB294_10 Depth=1
	s_or_b32 exec_lo, exec_lo, s40
.LBB294_242:                            ;   in Loop: Header=BB294_10 Depth=1
	s_or_b32 exec_lo, exec_lo, s3
	v_lshrrev_b16 v3, 8, v11
	s_mov_b32 s3, exec_lo
	v_cmpx_ne_u16_e32 0, v3
	s_cbranch_execz .LBB294_250
; %bb.243:                              ;   in Loop: Header=BB294_10 Depth=1
	v_bfrev_b32_e32 v56, 1
	s_mov_b32 s40, exec_lo
	v_cmpx_ne_u16_e32 0x80, v3
	s_cbranch_execz .LBB294_249
; %bb.244:                              ;   in Loop: Header=BB294_10 Depth=1
	v_and_b32_sdwa v59, v3, v23 dst_sel:DWORD dst_unused:UNUSED_PAD src0_sel:WORD_0 src1_sel:DWORD
	v_mov_b32_e32 v56, 0x7c010000
	s_mov_b32 s41, exec_lo
	v_cmpx_ne_u32_e32 0x7f, v59
	s_cbranch_execz .LBB294_248
; %bb.245:                              ;   in Loop: Header=BB294_10 Depth=1
	v_and_b32_sdwa v56, v3, v24 dst_sel:DWORD dst_unused:UNUSED_PAD src0_sel:WORD_0 src1_sel:DWORD
	v_lshrrev_b32_e32 v58, 3, v59
	s_mov_b32 s42, exec_lo
	v_cmpx_gt_u32_e32 8, v59
; %bb.246:                              ;   in Loop: Header=BB294_10 Depth=1
	v_ffbh_u32_e32 v56, v56
	v_min_u32_e32 v56, 32, v56
	v_subrev_nc_u32_e32 v58, 28, v56
	v_lshlrev_b64 v[59:60], v58, v[3:4]
	v_sub_nc_u32_e32 v58, 29, v56
	v_and_b32_e32 v56, 7, v59
; %bb.247:                              ;   in Loop: Header=BB294_10 Depth=1
	s_or_b32 exec_lo, exec_lo, s42
	v_lshlrev_b32_sdwa v3, v25, v3 dst_sel:DWORD dst_unused:UNUSED_PAD src0_sel:DWORD src1_sel:WORD_0
	v_lshl_add_u32 v58, v58, 10, 0x2000
	v_lshlrev_b32_e32 v56, 23, v56
	v_and_or_b32 v3, 0x8000, v3, v58
	v_lshl_or_b32 v56, v3, 16, v56
.LBB294_248:                            ;   in Loop: Header=BB294_10 Depth=1
	s_or_b32 exec_lo, exec_lo, s41
.LBB294_249:                            ;   in Loop: Header=BB294_10 Depth=1
	s_or_b32 exec_lo, exec_lo, s40
.LBB294_250:                            ;   in Loop: Header=BB294_10 Depth=1
	s_or_b32 exec_lo, exec_lo, s3
	v_lshrrev_b32_e32 v3, 16, v11
	v_mov_b32_e32 v58, 0
	v_mov_b32_e32 v59, 0
	v_cmp_ne_u16_sdwa s2, v3, v4 src0_sel:BYTE_0 src1_sel:DWORD
	s_and_saveexec_b32 s3, s2
	s_cbranch_execz .LBB294_258
; %bb.251:                              ;   in Loop: Header=BB294_10 Depth=1
	v_cmp_ne_u16_sdwa s2, v3, v22 src0_sel:BYTE_0 src1_sel:DWORD
	v_mov_b32_e32 v59, 0x8000
	s_and_saveexec_b32 s40, s2
	s_cbranch_execz .LBB294_257
; %bb.252:                              ;   in Loop: Header=BB294_10 Depth=1
	v_bfe_u32 v61, v11, 16, 7
	v_mov_b32_e32 v59, 0x7c01
	s_mov_b32 s41, exec_lo
	v_cmpx_ne_u32_e32 0x7f, v61
	s_cbranch_execz .LBB294_256
; %bb.253:                              ;   in Loop: Header=BB294_10 Depth=1
	v_and_b32_e32 v59, 7, v3
	v_lshrrev_b32_e32 v60, 3, v61
	s_mov_b32 s42, exec_lo
	v_cmpx_gt_u32_e32 8, v61
; %bb.254:                              ;   in Loop: Header=BB294_10 Depth=1
	v_ffbh_u32_e32 v59, v59
	v_min_u32_e32 v61, 32, v59
	v_subrev_nc_u32_e32 v59, 28, v61
	v_lshlrev_b64 v[59:60], v59, v[3:4]
	v_sub_nc_u32_e32 v60, 29, v61
	v_and_b32_e32 v59, 7, v59
; %bb.255:                              ;   in Loop: Header=BB294_10 Depth=1
	s_or_b32 exec_lo, exec_lo, s42
	v_lshlrev_b32_e32 v3, 8, v3
	v_lshl_add_u32 v60, v60, 10, 0x2000
	v_lshlrev_b32_e32 v59, 7, v59
	v_and_b32_e32 v3, 0x8000, v3
	v_and_b32_e32 v60, 0xfc00, v60
	v_or3_b32 v59, v3, v60, v59
.LBB294_256:                            ;   in Loop: Header=BB294_10 Depth=1
	s_or_b32 exec_lo, exec_lo, s41
.LBB294_257:                            ;   in Loop: Header=BB294_10 Depth=1
	s_or_b32 exec_lo, exec_lo, s40
.LBB294_258:                            ;   in Loop: Header=BB294_10 Depth=1
	s_or_b32 exec_lo, exec_lo, s3
	s_mov_b32 s3, exec_lo
	v_cmpx_lt_u32_e32 0xffffff, v11
	s_cbranch_execz .LBB294_266
; %bb.259:                              ;   in Loop: Header=BB294_10 Depth=1
	v_lshrrev_b32_e32 v3, 24, v11
	v_bfrev_b32_e32 v58, 1
	s_mov_b32 s40, exec_lo
	v_cmpx_ne_u32_e32 0x80, v3
	s_cbranch_execz .LBB294_265
; %bb.260:                              ;   in Loop: Header=BB294_10 Depth=1
	v_and_b32_e32 v60, 0x7f, v3
	v_mov_b32_e32 v58, 0x7c010000
	s_mov_b32 s41, exec_lo
	v_cmpx_ne_u32_e32 0x7f, v60
	s_cbranch_execz .LBB294_264
; %bb.261:                              ;   in Loop: Header=BB294_10 Depth=1
	v_and_b32_e32 v11, 7, v3
	v_lshrrev_b32_e32 v58, 3, v60
	s_mov_b32 s42, exec_lo
	v_cmpx_gt_u32_e32 8, v60
; %bb.262:                              ;   in Loop: Header=BB294_10 Depth=1
	v_ffbh_u32_e32 v11, v11
	v_min_u32_e32 v11, 32, v11
	v_subrev_nc_u32_e32 v58, 28, v11
	v_lshlrev_b64 v[60:61], v58, v[3:4]
	v_sub_nc_u32_e32 v58, 29, v11
	v_and_b32_e32 v11, 7, v60
; %bb.263:                              ;   in Loop: Header=BB294_10 Depth=1
	s_or_b32 exec_lo, exec_lo, s42
	v_lshlrev_b32_e32 v3, 8, v3
	v_lshl_add_u32 v58, v58, 10, 0x2000
	v_lshlrev_b32_e32 v11, 23, v11
	v_and_or_b32 v3, 0x8000, v3, v58
	v_lshl_or_b32 v58, v3, 16, v11
.LBB294_264:                            ;   in Loop: Header=BB294_10 Depth=1
	s_or_b32 exec_lo, exec_lo, s41
.LBB294_265:                            ;   in Loop: Header=BB294_10 Depth=1
	s_or_b32 exec_lo, exec_lo, s40
.LBB294_266:                            ;   in Loop: Header=BB294_10 Depth=1
	s_or_b32 exec_lo, exec_lo, s3
	global_load_dword v11, v[9:10], off offset:1024
	v_mov_b32_e32 v60, 0
	v_mov_b32_e32 v61, 0
	s_waitcnt vmcnt(0)
	v_cmp_ne_u16_sdwa s2, v11, v4 src0_sel:BYTE_0 src1_sel:DWORD
	s_and_saveexec_b32 s3, s2
	s_cbranch_execz .LBB294_274
; %bb.267:                              ;   in Loop: Header=BB294_10 Depth=1
	v_cmp_ne_u16_sdwa s2, v11, v22 src0_sel:BYTE_0 src1_sel:DWORD
	v_mov_b32_e32 v61, 0x8000
	s_and_saveexec_b32 s40, s2
	s_cbranch_execz .LBB294_273
; %bb.268:                              ;   in Loop: Header=BB294_10 Depth=1
	v_and_b32_e32 v62, 0x7f, v11
	v_mov_b32_e32 v61, 0x7c01
	s_mov_b32 s41, exec_lo
	v_cmpx_ne_u32_e32 0x7f, v62
	s_cbranch_execz .LBB294_272
; %bb.269:                              ;   in Loop: Header=BB294_10 Depth=1
	v_and_b32_e32 v3, 7, v11
	v_lshrrev_b32_e32 v61, 3, v62
	s_mov_b32 s42, exec_lo
	v_cmpx_gt_u32_e32 8, v62
; %bb.270:                              ;   in Loop: Header=BB294_10 Depth=1
	v_ffbh_u32_e32 v3, v3
	v_min_u32_e32 v3, 32, v3
	v_subrev_nc_u32_e32 v61, 28, v3
	v_lshlrev_b64 v[62:63], v61, v[11:12]
	v_sub_nc_u32_e32 v61, 29, v3
	v_and_b32_e32 v3, 7, v62
; %bb.271:                              ;   in Loop: Header=BB294_10 Depth=1
	s_or_b32 exec_lo, exec_lo, s42
	v_lshlrev_b32_e32 v62, 8, v11
	v_lshl_add_u32 v61, v61, 10, 0x2000
	v_lshlrev_b32_e32 v3, 7, v3
	v_and_b32_e32 v62, 0x8000, v62
	v_and_b32_e32 v61, 0xfc00, v61
	v_or3_b32 v61, v62, v61, v3
.LBB294_272:                            ;   in Loop: Header=BB294_10 Depth=1
	s_or_b32 exec_lo, exec_lo, s41
.LBB294_273:                            ;   in Loop: Header=BB294_10 Depth=1
	s_or_b32 exec_lo, exec_lo, s40
.LBB294_274:                            ;   in Loop: Header=BB294_10 Depth=1
	s_or_b32 exec_lo, exec_lo, s3
	v_lshrrev_b16 v3, 8, v11
	s_mov_b32 s3, exec_lo
	v_cmpx_ne_u16_e32 0, v3
	s_cbranch_execz .LBB294_282
; %bb.275:                              ;   in Loop: Header=BB294_10 Depth=1
	v_bfrev_b32_e32 v60, 1
	s_mov_b32 s40, exec_lo
	v_cmpx_ne_u16_e32 0x80, v3
	s_cbranch_execz .LBB294_281
; %bb.276:                              ;   in Loop: Header=BB294_10 Depth=1
	v_and_b32_sdwa v63, v3, v23 dst_sel:DWORD dst_unused:UNUSED_PAD src0_sel:WORD_0 src1_sel:DWORD
	v_mov_b32_e32 v60, 0x7c010000
	s_mov_b32 s41, exec_lo
	v_cmpx_ne_u32_e32 0x7f, v63
	s_cbranch_execz .LBB294_280
; %bb.277:                              ;   in Loop: Header=BB294_10 Depth=1
	v_and_b32_sdwa v60, v3, v24 dst_sel:DWORD dst_unused:UNUSED_PAD src0_sel:WORD_0 src1_sel:DWORD
	v_lshrrev_b32_e32 v62, 3, v63
	s_mov_b32 s42, exec_lo
	v_cmpx_gt_u32_e32 8, v63
; %bb.278:                              ;   in Loop: Header=BB294_10 Depth=1
	v_ffbh_u32_e32 v60, v60
	v_min_u32_e32 v60, 32, v60
	v_subrev_nc_u32_e32 v62, 28, v60
	v_lshlrev_b64 v[63:64], v62, v[3:4]
	v_sub_nc_u32_e32 v62, 29, v60
	v_and_b32_e32 v60, 7, v63
; %bb.279:                              ;   in Loop: Header=BB294_10 Depth=1
	s_or_b32 exec_lo, exec_lo, s42
	v_lshlrev_b32_sdwa v3, v25, v3 dst_sel:DWORD dst_unused:UNUSED_PAD src0_sel:DWORD src1_sel:WORD_0
	v_lshl_add_u32 v62, v62, 10, 0x2000
	v_lshlrev_b32_e32 v60, 23, v60
	v_and_or_b32 v3, 0x8000, v3, v62
	v_lshl_or_b32 v60, v3, 16, v60
.LBB294_280:                            ;   in Loop: Header=BB294_10 Depth=1
	s_or_b32 exec_lo, exec_lo, s41
.LBB294_281:                            ;   in Loop: Header=BB294_10 Depth=1
	s_or_b32 exec_lo, exec_lo, s40
.LBB294_282:                            ;   in Loop: Header=BB294_10 Depth=1
	s_or_b32 exec_lo, exec_lo, s3
	v_lshrrev_b32_e32 v3, 16, v11
	v_mov_b32_e32 v62, 0
	v_mov_b32_e32 v63, 0
	v_cmp_ne_u16_sdwa s2, v3, v4 src0_sel:BYTE_0 src1_sel:DWORD
	s_and_saveexec_b32 s3, s2
	s_cbranch_execz .LBB294_290
; %bb.283:                              ;   in Loop: Header=BB294_10 Depth=1
	v_cmp_ne_u16_sdwa s2, v3, v22 src0_sel:BYTE_0 src1_sel:DWORD
	v_mov_b32_e32 v63, 0x8000
	s_and_saveexec_b32 s40, s2
	s_cbranch_execz .LBB294_289
; %bb.284:                              ;   in Loop: Header=BB294_10 Depth=1
	v_bfe_u32 v65, v11, 16, 7
	v_mov_b32_e32 v63, 0x7c01
	s_mov_b32 s41, exec_lo
	v_cmpx_ne_u32_e32 0x7f, v65
	s_cbranch_execz .LBB294_288
; %bb.285:                              ;   in Loop: Header=BB294_10 Depth=1
	v_and_b32_e32 v63, 7, v3
	v_lshrrev_b32_e32 v64, 3, v65
	s_mov_b32 s42, exec_lo
	v_cmpx_gt_u32_e32 8, v65
; %bb.286:                              ;   in Loop: Header=BB294_10 Depth=1
	v_ffbh_u32_e32 v63, v63
	v_min_u32_e32 v65, 32, v63
	v_subrev_nc_u32_e32 v63, 28, v65
	v_lshlrev_b64 v[63:64], v63, v[3:4]
	v_sub_nc_u32_e32 v64, 29, v65
	v_and_b32_e32 v63, 7, v63
; %bb.287:                              ;   in Loop: Header=BB294_10 Depth=1
	s_or_b32 exec_lo, exec_lo, s42
	v_lshlrev_b32_e32 v3, 8, v3
	v_lshl_add_u32 v64, v64, 10, 0x2000
	v_lshlrev_b32_e32 v63, 7, v63
	v_and_b32_e32 v3, 0x8000, v3
	v_and_b32_e32 v64, 0xfc00, v64
	v_or3_b32 v63, v3, v64, v63
.LBB294_288:                            ;   in Loop: Header=BB294_10 Depth=1
	s_or_b32 exec_lo, exec_lo, s41
.LBB294_289:                            ;   in Loop: Header=BB294_10 Depth=1
	s_or_b32 exec_lo, exec_lo, s40
.LBB294_290:                            ;   in Loop: Header=BB294_10 Depth=1
	s_or_b32 exec_lo, exec_lo, s3
	s_mov_b32 s3, exec_lo
	v_cmpx_lt_u32_e32 0xffffff, v11
	s_cbranch_execz .LBB294_298
; %bb.291:                              ;   in Loop: Header=BB294_10 Depth=1
	v_lshrrev_b32_e32 v3, 24, v11
	v_bfrev_b32_e32 v62, 1
	s_mov_b32 s40, exec_lo
	v_cmpx_ne_u32_e32 0x80, v3
	s_cbranch_execz .LBB294_297
; %bb.292:                              ;   in Loop: Header=BB294_10 Depth=1
	v_and_b32_e32 v64, 0x7f, v3
	v_mov_b32_e32 v62, 0x7c010000
	s_mov_b32 s41, exec_lo
	v_cmpx_ne_u32_e32 0x7f, v64
	s_cbranch_execz .LBB294_296
; %bb.293:                              ;   in Loop: Header=BB294_10 Depth=1
	v_and_b32_e32 v11, 7, v3
	v_lshrrev_b32_e32 v62, 3, v64
	s_mov_b32 s42, exec_lo
	v_cmpx_gt_u32_e32 8, v64
; %bb.294:                              ;   in Loop: Header=BB294_10 Depth=1
	v_ffbh_u32_e32 v11, v11
	v_min_u32_e32 v11, 32, v11
	v_subrev_nc_u32_e32 v62, 28, v11
	v_lshlrev_b64 v[64:65], v62, v[3:4]
	v_sub_nc_u32_e32 v62, 29, v11
	v_and_b32_e32 v11, 7, v64
; %bb.295:                              ;   in Loop: Header=BB294_10 Depth=1
	s_or_b32 exec_lo, exec_lo, s42
	v_lshlrev_b32_e32 v3, 8, v3
	v_lshl_add_u32 v62, v62, 10, 0x2000
	v_lshlrev_b32_e32 v11, 23, v11
	v_and_or_b32 v3, 0x8000, v3, v62
	v_lshl_or_b32 v62, v3, 16, v11
.LBB294_296:                            ;   in Loop: Header=BB294_10 Depth=1
	s_or_b32 exec_lo, exec_lo, s41
.LBB294_297:                            ;   in Loop: Header=BB294_10 Depth=1
	s_or_b32 exec_lo, exec_lo, s40
.LBB294_298:                            ;   in Loop: Header=BB294_10 Depth=1
	s_or_b32 exec_lo, exec_lo, s3
	global_load_dword v11, v[9:10], off offset:1032
	v_mov_b32_e32 v64, 0
	v_mov_b32_e32 v65, 0
	s_waitcnt vmcnt(0)
	v_cmp_ne_u16_sdwa s2, v11, v4 src0_sel:BYTE_0 src1_sel:DWORD
	s_and_saveexec_b32 s3, s2
	s_cbranch_execz .LBB294_306
; %bb.299:                              ;   in Loop: Header=BB294_10 Depth=1
	v_cmp_ne_u16_sdwa s2, v11, v22 src0_sel:BYTE_0 src1_sel:DWORD
	v_mov_b32_e32 v65, 0x8000
	s_and_saveexec_b32 s40, s2
	s_cbranch_execz .LBB294_305
; %bb.300:                              ;   in Loop: Header=BB294_10 Depth=1
	v_and_b32_e32 v66, 0x7f, v11
	v_mov_b32_e32 v65, 0x7c01
	s_mov_b32 s41, exec_lo
	v_cmpx_ne_u32_e32 0x7f, v66
	s_cbranch_execz .LBB294_304
; %bb.301:                              ;   in Loop: Header=BB294_10 Depth=1
	v_and_b32_e32 v3, 7, v11
	v_lshrrev_b32_e32 v65, 3, v66
	s_mov_b32 s42, exec_lo
	v_cmpx_gt_u32_e32 8, v66
; %bb.302:                              ;   in Loop: Header=BB294_10 Depth=1
	v_ffbh_u32_e32 v3, v3
	v_min_u32_e32 v3, 32, v3
	v_subrev_nc_u32_e32 v65, 28, v3
	v_lshlrev_b64 v[66:67], v65, v[11:12]
	v_sub_nc_u32_e32 v65, 29, v3
	v_and_b32_e32 v3, 7, v66
; %bb.303:                              ;   in Loop: Header=BB294_10 Depth=1
	s_or_b32 exec_lo, exec_lo, s42
	v_lshlrev_b32_e32 v66, 8, v11
	v_lshl_add_u32 v65, v65, 10, 0x2000
	v_lshlrev_b32_e32 v3, 7, v3
	v_and_b32_e32 v66, 0x8000, v66
	v_and_b32_e32 v65, 0xfc00, v65
	v_or3_b32 v65, v66, v65, v3
.LBB294_304:                            ;   in Loop: Header=BB294_10 Depth=1
	s_or_b32 exec_lo, exec_lo, s41
.LBB294_305:                            ;   in Loop: Header=BB294_10 Depth=1
	s_or_b32 exec_lo, exec_lo, s40
.LBB294_306:                            ;   in Loop: Header=BB294_10 Depth=1
	s_or_b32 exec_lo, exec_lo, s3
	v_lshrrev_b16 v3, 8, v11
	s_mov_b32 s3, exec_lo
	v_cmpx_ne_u16_e32 0, v3
	s_cbranch_execz .LBB294_314
; %bb.307:                              ;   in Loop: Header=BB294_10 Depth=1
	v_bfrev_b32_e32 v64, 1
	s_mov_b32 s40, exec_lo
	v_cmpx_ne_u16_e32 0x80, v3
	s_cbranch_execz .LBB294_313
; %bb.308:                              ;   in Loop: Header=BB294_10 Depth=1
	v_and_b32_sdwa v67, v3, v23 dst_sel:DWORD dst_unused:UNUSED_PAD src0_sel:WORD_0 src1_sel:DWORD
	v_mov_b32_e32 v64, 0x7c010000
	s_mov_b32 s41, exec_lo
	v_cmpx_ne_u32_e32 0x7f, v67
	s_cbranch_execz .LBB294_312
; %bb.309:                              ;   in Loop: Header=BB294_10 Depth=1
	v_and_b32_sdwa v64, v3, v24 dst_sel:DWORD dst_unused:UNUSED_PAD src0_sel:WORD_0 src1_sel:DWORD
	v_lshrrev_b32_e32 v66, 3, v67
	s_mov_b32 s42, exec_lo
	v_cmpx_gt_u32_e32 8, v67
; %bb.310:                              ;   in Loop: Header=BB294_10 Depth=1
	v_ffbh_u32_e32 v64, v64
	v_min_u32_e32 v64, 32, v64
	v_subrev_nc_u32_e32 v66, 28, v64
	v_lshlrev_b64 v[67:68], v66, v[3:4]
	v_sub_nc_u32_e32 v66, 29, v64
	v_and_b32_e32 v64, 7, v67
; %bb.311:                              ;   in Loop: Header=BB294_10 Depth=1
	s_or_b32 exec_lo, exec_lo, s42
	v_lshlrev_b32_sdwa v3, v25, v3 dst_sel:DWORD dst_unused:UNUSED_PAD src0_sel:DWORD src1_sel:WORD_0
	v_lshl_add_u32 v66, v66, 10, 0x2000
	v_lshlrev_b32_e32 v64, 23, v64
	v_and_or_b32 v3, 0x8000, v3, v66
	v_lshl_or_b32 v64, v3, 16, v64
.LBB294_312:                            ;   in Loop: Header=BB294_10 Depth=1
	s_or_b32 exec_lo, exec_lo, s41
.LBB294_313:                            ;   in Loop: Header=BB294_10 Depth=1
	s_or_b32 exec_lo, exec_lo, s40
.LBB294_314:                            ;   in Loop: Header=BB294_10 Depth=1
	s_or_b32 exec_lo, exec_lo, s3
	v_lshrrev_b32_e32 v3, 16, v11
	v_mov_b32_e32 v66, 0
	v_mov_b32_e32 v67, 0
	v_cmp_ne_u16_sdwa s2, v3, v4 src0_sel:BYTE_0 src1_sel:DWORD
	s_and_saveexec_b32 s3, s2
	s_cbranch_execz .LBB294_322
; %bb.315:                              ;   in Loop: Header=BB294_10 Depth=1
	v_cmp_ne_u16_sdwa s2, v3, v22 src0_sel:BYTE_0 src1_sel:DWORD
	v_mov_b32_e32 v67, 0x8000
	s_and_saveexec_b32 s40, s2
	s_cbranch_execz .LBB294_321
; %bb.316:                              ;   in Loop: Header=BB294_10 Depth=1
	v_bfe_u32 v69, v11, 16, 7
	v_mov_b32_e32 v67, 0x7c01
	s_mov_b32 s41, exec_lo
	v_cmpx_ne_u32_e32 0x7f, v69
	s_cbranch_execz .LBB294_320
; %bb.317:                              ;   in Loop: Header=BB294_10 Depth=1
	v_and_b32_e32 v67, 7, v3
	v_lshrrev_b32_e32 v68, 3, v69
	s_mov_b32 s42, exec_lo
	v_cmpx_gt_u32_e32 8, v69
; %bb.318:                              ;   in Loop: Header=BB294_10 Depth=1
	v_ffbh_u32_e32 v67, v67
	v_min_u32_e32 v69, 32, v67
	v_subrev_nc_u32_e32 v67, 28, v69
	v_lshlrev_b64 v[67:68], v67, v[3:4]
	v_sub_nc_u32_e32 v68, 29, v69
	v_and_b32_e32 v67, 7, v67
; %bb.319:                              ;   in Loop: Header=BB294_10 Depth=1
	s_or_b32 exec_lo, exec_lo, s42
	v_lshlrev_b32_e32 v3, 8, v3
	v_lshl_add_u32 v68, v68, 10, 0x2000
	v_lshlrev_b32_e32 v67, 7, v67
	v_and_b32_e32 v3, 0x8000, v3
	v_and_b32_e32 v68, 0xfc00, v68
	v_or3_b32 v67, v3, v68, v67
.LBB294_320:                            ;   in Loop: Header=BB294_10 Depth=1
	s_or_b32 exec_lo, exec_lo, s41
.LBB294_321:                            ;   in Loop: Header=BB294_10 Depth=1
	s_or_b32 exec_lo, exec_lo, s40
.LBB294_322:                            ;   in Loop: Header=BB294_10 Depth=1
	s_or_b32 exec_lo, exec_lo, s3
	s_mov_b32 s3, exec_lo
	v_cmpx_lt_u32_e32 0xffffff, v11
	s_cbranch_execz .LBB294_330
; %bb.323:                              ;   in Loop: Header=BB294_10 Depth=1
	v_lshrrev_b32_e32 v3, 24, v11
	v_bfrev_b32_e32 v66, 1
	s_mov_b32 s40, exec_lo
	v_cmpx_ne_u32_e32 0x80, v3
	s_cbranch_execz .LBB294_329
; %bb.324:                              ;   in Loop: Header=BB294_10 Depth=1
	v_and_b32_e32 v68, 0x7f, v3
	v_mov_b32_e32 v66, 0x7c010000
	s_mov_b32 s41, exec_lo
	v_cmpx_ne_u32_e32 0x7f, v68
	s_cbranch_execz .LBB294_328
; %bb.325:                              ;   in Loop: Header=BB294_10 Depth=1
	v_and_b32_e32 v11, 7, v3
	v_lshrrev_b32_e32 v66, 3, v68
	s_mov_b32 s42, exec_lo
	v_cmpx_gt_u32_e32 8, v68
; %bb.326:                              ;   in Loop: Header=BB294_10 Depth=1
	v_ffbh_u32_e32 v11, v11
	v_min_u32_e32 v11, 32, v11
	v_subrev_nc_u32_e32 v66, 28, v11
	v_lshlrev_b64 v[68:69], v66, v[3:4]
	v_sub_nc_u32_e32 v66, 29, v11
	v_and_b32_e32 v11, 7, v68
; %bb.327:                              ;   in Loop: Header=BB294_10 Depth=1
	s_or_b32 exec_lo, exec_lo, s42
	v_lshlrev_b32_e32 v3, 8, v3
	v_lshl_add_u32 v66, v66, 10, 0x2000
	v_lshlrev_b32_e32 v11, 23, v11
	v_and_or_b32 v3, 0x8000, v3, v66
	v_lshl_or_b32 v66, v3, 16, v11
.LBB294_328:                            ;   in Loop: Header=BB294_10 Depth=1
	s_or_b32 exec_lo, exec_lo, s41
.LBB294_329:                            ;   in Loop: Header=BB294_10 Depth=1
	s_or_b32 exec_lo, exec_lo, s40
.LBB294_330:                            ;   in Loop: Header=BB294_10 Depth=1
	s_or_b32 exec_lo, exec_lo, s3
	global_load_dword v11, v[9:10], off offset:1280
	v_mov_b32_e32 v68, 0
	v_mov_b32_e32 v69, 0
	s_waitcnt vmcnt(0)
	v_cmp_ne_u16_sdwa s2, v11, v4 src0_sel:BYTE_0 src1_sel:DWORD
	s_and_saveexec_b32 s3, s2
	s_cbranch_execz .LBB294_338
; %bb.331:                              ;   in Loop: Header=BB294_10 Depth=1
	v_cmp_ne_u16_sdwa s2, v11, v22 src0_sel:BYTE_0 src1_sel:DWORD
	v_mov_b32_e32 v69, 0x8000
	s_and_saveexec_b32 s40, s2
	s_cbranch_execz .LBB294_337
; %bb.332:                              ;   in Loop: Header=BB294_10 Depth=1
	v_and_b32_e32 v70, 0x7f, v11
	v_mov_b32_e32 v69, 0x7c01
	s_mov_b32 s41, exec_lo
	v_cmpx_ne_u32_e32 0x7f, v70
	s_cbranch_execz .LBB294_336
; %bb.333:                              ;   in Loop: Header=BB294_10 Depth=1
	v_and_b32_e32 v3, 7, v11
	v_lshrrev_b32_e32 v69, 3, v70
	s_mov_b32 s42, exec_lo
	v_cmpx_gt_u32_e32 8, v70
; %bb.334:                              ;   in Loop: Header=BB294_10 Depth=1
	v_ffbh_u32_e32 v3, v3
	v_min_u32_e32 v3, 32, v3
	v_subrev_nc_u32_e32 v69, 28, v3
	v_lshlrev_b64 v[70:71], v69, v[11:12]
	v_sub_nc_u32_e32 v69, 29, v3
	v_and_b32_e32 v3, 7, v70
; %bb.335:                              ;   in Loop: Header=BB294_10 Depth=1
	s_or_b32 exec_lo, exec_lo, s42
	v_lshlrev_b32_e32 v70, 8, v11
	v_lshl_add_u32 v69, v69, 10, 0x2000
	v_lshlrev_b32_e32 v3, 7, v3
	v_and_b32_e32 v70, 0x8000, v70
	v_and_b32_e32 v69, 0xfc00, v69
	v_or3_b32 v69, v70, v69, v3
.LBB294_336:                            ;   in Loop: Header=BB294_10 Depth=1
	s_or_b32 exec_lo, exec_lo, s41
.LBB294_337:                            ;   in Loop: Header=BB294_10 Depth=1
	s_or_b32 exec_lo, exec_lo, s40
.LBB294_338:                            ;   in Loop: Header=BB294_10 Depth=1
	s_or_b32 exec_lo, exec_lo, s3
	v_lshrrev_b16 v3, 8, v11
	s_mov_b32 s3, exec_lo
	v_cmpx_ne_u16_e32 0, v3
	s_cbranch_execz .LBB294_346
; %bb.339:                              ;   in Loop: Header=BB294_10 Depth=1
	v_bfrev_b32_e32 v68, 1
	s_mov_b32 s40, exec_lo
	v_cmpx_ne_u16_e32 0x80, v3
	s_cbranch_execz .LBB294_345
; %bb.340:                              ;   in Loop: Header=BB294_10 Depth=1
	v_and_b32_sdwa v71, v3, v23 dst_sel:DWORD dst_unused:UNUSED_PAD src0_sel:WORD_0 src1_sel:DWORD
	v_mov_b32_e32 v68, 0x7c010000
	s_mov_b32 s41, exec_lo
	v_cmpx_ne_u32_e32 0x7f, v71
	s_cbranch_execz .LBB294_344
; %bb.341:                              ;   in Loop: Header=BB294_10 Depth=1
	v_and_b32_sdwa v68, v3, v24 dst_sel:DWORD dst_unused:UNUSED_PAD src0_sel:WORD_0 src1_sel:DWORD
	v_lshrrev_b32_e32 v70, 3, v71
	s_mov_b32 s42, exec_lo
	v_cmpx_gt_u32_e32 8, v71
; %bb.342:                              ;   in Loop: Header=BB294_10 Depth=1
	v_ffbh_u32_e32 v68, v68
	v_min_u32_e32 v68, 32, v68
	v_subrev_nc_u32_e32 v70, 28, v68
	v_lshlrev_b64 v[71:72], v70, v[3:4]
	v_sub_nc_u32_e32 v70, 29, v68
	v_and_b32_e32 v68, 7, v71
; %bb.343:                              ;   in Loop: Header=BB294_10 Depth=1
	s_or_b32 exec_lo, exec_lo, s42
	v_lshlrev_b32_sdwa v3, v25, v3 dst_sel:DWORD dst_unused:UNUSED_PAD src0_sel:DWORD src1_sel:WORD_0
	v_lshl_add_u32 v70, v70, 10, 0x2000
	v_lshlrev_b32_e32 v68, 23, v68
	v_and_or_b32 v3, 0x8000, v3, v70
	v_lshl_or_b32 v68, v3, 16, v68
.LBB294_344:                            ;   in Loop: Header=BB294_10 Depth=1
	s_or_b32 exec_lo, exec_lo, s41
.LBB294_345:                            ;   in Loop: Header=BB294_10 Depth=1
	s_or_b32 exec_lo, exec_lo, s40
.LBB294_346:                            ;   in Loop: Header=BB294_10 Depth=1
	s_or_b32 exec_lo, exec_lo, s3
	v_lshrrev_b32_e32 v3, 16, v11
	v_mov_b32_e32 v70, 0
	v_mov_b32_e32 v71, 0
	v_cmp_ne_u16_sdwa s2, v3, v4 src0_sel:BYTE_0 src1_sel:DWORD
	s_and_saveexec_b32 s3, s2
	s_cbranch_execz .LBB294_354
; %bb.347:                              ;   in Loop: Header=BB294_10 Depth=1
	v_cmp_ne_u16_sdwa s2, v3, v22 src0_sel:BYTE_0 src1_sel:DWORD
	v_mov_b32_e32 v71, 0x8000
	s_and_saveexec_b32 s40, s2
	s_cbranch_execz .LBB294_353
; %bb.348:                              ;   in Loop: Header=BB294_10 Depth=1
	v_bfe_u32 v73, v11, 16, 7
	v_mov_b32_e32 v71, 0x7c01
	s_mov_b32 s41, exec_lo
	v_cmpx_ne_u32_e32 0x7f, v73
	s_cbranch_execz .LBB294_352
; %bb.349:                              ;   in Loop: Header=BB294_10 Depth=1
	v_and_b32_e32 v71, 7, v3
	v_lshrrev_b32_e32 v72, 3, v73
	s_mov_b32 s42, exec_lo
	v_cmpx_gt_u32_e32 8, v73
; %bb.350:                              ;   in Loop: Header=BB294_10 Depth=1
	v_ffbh_u32_e32 v71, v71
	v_min_u32_e32 v73, 32, v71
	v_subrev_nc_u32_e32 v71, 28, v73
	v_lshlrev_b64 v[71:72], v71, v[3:4]
	v_sub_nc_u32_e32 v72, 29, v73
	v_and_b32_e32 v71, 7, v71
; %bb.351:                              ;   in Loop: Header=BB294_10 Depth=1
	s_or_b32 exec_lo, exec_lo, s42
	v_lshlrev_b32_e32 v3, 8, v3
	v_lshl_add_u32 v72, v72, 10, 0x2000
	v_lshlrev_b32_e32 v71, 7, v71
	v_and_b32_e32 v3, 0x8000, v3
	v_and_b32_e32 v72, 0xfc00, v72
	v_or3_b32 v71, v3, v72, v71
.LBB294_352:                            ;   in Loop: Header=BB294_10 Depth=1
	s_or_b32 exec_lo, exec_lo, s41
.LBB294_353:                            ;   in Loop: Header=BB294_10 Depth=1
	s_or_b32 exec_lo, exec_lo, s40
.LBB294_354:                            ;   in Loop: Header=BB294_10 Depth=1
	s_or_b32 exec_lo, exec_lo, s3
	s_mov_b32 s3, exec_lo
	v_cmpx_lt_u32_e32 0xffffff, v11
	s_cbranch_execz .LBB294_362
; %bb.355:                              ;   in Loop: Header=BB294_10 Depth=1
	v_lshrrev_b32_e32 v3, 24, v11
	v_bfrev_b32_e32 v70, 1
	s_mov_b32 s40, exec_lo
	v_cmpx_ne_u32_e32 0x80, v3
	s_cbranch_execz .LBB294_361
; %bb.356:                              ;   in Loop: Header=BB294_10 Depth=1
	v_and_b32_e32 v72, 0x7f, v3
	v_mov_b32_e32 v70, 0x7c010000
	s_mov_b32 s41, exec_lo
	v_cmpx_ne_u32_e32 0x7f, v72
	s_cbranch_execz .LBB294_360
; %bb.357:                              ;   in Loop: Header=BB294_10 Depth=1
	v_and_b32_e32 v11, 7, v3
	v_lshrrev_b32_e32 v70, 3, v72
	s_mov_b32 s42, exec_lo
	v_cmpx_gt_u32_e32 8, v72
; %bb.358:                              ;   in Loop: Header=BB294_10 Depth=1
	v_ffbh_u32_e32 v11, v11
	v_min_u32_e32 v11, 32, v11
	v_subrev_nc_u32_e32 v70, 28, v11
	v_lshlrev_b64 v[72:73], v70, v[3:4]
	v_sub_nc_u32_e32 v70, 29, v11
	v_and_b32_e32 v11, 7, v72
; %bb.359:                              ;   in Loop: Header=BB294_10 Depth=1
	s_or_b32 exec_lo, exec_lo, s42
	v_lshlrev_b32_e32 v3, 8, v3
	v_lshl_add_u32 v70, v70, 10, 0x2000
	v_lshlrev_b32_e32 v11, 23, v11
	v_and_or_b32 v3, 0x8000, v3, v70
	v_lshl_or_b32 v70, v3, 16, v11
.LBB294_360:                            ;   in Loop: Header=BB294_10 Depth=1
	s_or_b32 exec_lo, exec_lo, s41
.LBB294_361:                            ;   in Loop: Header=BB294_10 Depth=1
	s_or_b32 exec_lo, exec_lo, s40
.LBB294_362:                            ;   in Loop: Header=BB294_10 Depth=1
	s_or_b32 exec_lo, exec_lo, s3
	global_load_dword v11, v[9:10], off offset:1288
	v_mov_b32_e32 v72, 0
	v_mov_b32_e32 v73, 0
	s_waitcnt vmcnt(0)
	v_cmp_ne_u16_sdwa s2, v11, v4 src0_sel:BYTE_0 src1_sel:DWORD
	s_and_saveexec_b32 s3, s2
	s_cbranch_execz .LBB294_370
; %bb.363:                              ;   in Loop: Header=BB294_10 Depth=1
	v_cmp_ne_u16_sdwa s2, v11, v22 src0_sel:BYTE_0 src1_sel:DWORD
	v_mov_b32_e32 v73, 0x8000
	s_and_saveexec_b32 s40, s2
	s_cbranch_execz .LBB294_369
; %bb.364:                              ;   in Loop: Header=BB294_10 Depth=1
	v_and_b32_e32 v74, 0x7f, v11
	v_mov_b32_e32 v73, 0x7c01
	s_mov_b32 s41, exec_lo
	v_cmpx_ne_u32_e32 0x7f, v74
	s_cbranch_execz .LBB294_368
; %bb.365:                              ;   in Loop: Header=BB294_10 Depth=1
	v_and_b32_e32 v3, 7, v11
	v_lshrrev_b32_e32 v73, 3, v74
	s_mov_b32 s42, exec_lo
	v_cmpx_gt_u32_e32 8, v74
; %bb.366:                              ;   in Loop: Header=BB294_10 Depth=1
	v_ffbh_u32_e32 v3, v3
	v_min_u32_e32 v3, 32, v3
	v_subrev_nc_u32_e32 v73, 28, v3
	v_lshlrev_b64 v[74:75], v73, v[11:12]
	v_sub_nc_u32_e32 v73, 29, v3
	v_and_b32_e32 v3, 7, v74
; %bb.367:                              ;   in Loop: Header=BB294_10 Depth=1
	s_or_b32 exec_lo, exec_lo, s42
	v_lshlrev_b32_e32 v74, 8, v11
	v_lshl_add_u32 v73, v73, 10, 0x2000
	v_lshlrev_b32_e32 v3, 7, v3
	v_and_b32_e32 v74, 0x8000, v74
	v_and_b32_e32 v73, 0xfc00, v73
	v_or3_b32 v73, v74, v73, v3
.LBB294_368:                            ;   in Loop: Header=BB294_10 Depth=1
	s_or_b32 exec_lo, exec_lo, s41
.LBB294_369:                            ;   in Loop: Header=BB294_10 Depth=1
	s_or_b32 exec_lo, exec_lo, s40
.LBB294_370:                            ;   in Loop: Header=BB294_10 Depth=1
	s_or_b32 exec_lo, exec_lo, s3
	v_lshrrev_b16 v3, 8, v11
	s_mov_b32 s3, exec_lo
	v_cmpx_ne_u16_e32 0, v3
	s_cbranch_execz .LBB294_378
; %bb.371:                              ;   in Loop: Header=BB294_10 Depth=1
	v_bfrev_b32_e32 v72, 1
	s_mov_b32 s40, exec_lo
	v_cmpx_ne_u16_e32 0x80, v3
	s_cbranch_execz .LBB294_377
; %bb.372:                              ;   in Loop: Header=BB294_10 Depth=1
	v_and_b32_sdwa v75, v3, v23 dst_sel:DWORD dst_unused:UNUSED_PAD src0_sel:WORD_0 src1_sel:DWORD
	v_mov_b32_e32 v72, 0x7c010000
	s_mov_b32 s41, exec_lo
	v_cmpx_ne_u32_e32 0x7f, v75
	s_cbranch_execz .LBB294_376
; %bb.373:                              ;   in Loop: Header=BB294_10 Depth=1
	v_and_b32_sdwa v72, v3, v24 dst_sel:DWORD dst_unused:UNUSED_PAD src0_sel:WORD_0 src1_sel:DWORD
	v_lshrrev_b32_e32 v74, 3, v75
	s_mov_b32 s42, exec_lo
	v_cmpx_gt_u32_e32 8, v75
; %bb.374:                              ;   in Loop: Header=BB294_10 Depth=1
	v_ffbh_u32_e32 v72, v72
	v_min_u32_e32 v72, 32, v72
	v_subrev_nc_u32_e32 v74, 28, v72
	v_lshlrev_b64 v[75:76], v74, v[3:4]
	v_sub_nc_u32_e32 v74, 29, v72
	v_and_b32_e32 v72, 7, v75
; %bb.375:                              ;   in Loop: Header=BB294_10 Depth=1
	s_or_b32 exec_lo, exec_lo, s42
	v_lshlrev_b32_sdwa v3, v25, v3 dst_sel:DWORD dst_unused:UNUSED_PAD src0_sel:DWORD src1_sel:WORD_0
	v_lshl_add_u32 v74, v74, 10, 0x2000
	v_lshlrev_b32_e32 v72, 23, v72
	v_and_or_b32 v3, 0x8000, v3, v74
	v_lshl_or_b32 v72, v3, 16, v72
.LBB294_376:                            ;   in Loop: Header=BB294_10 Depth=1
	s_or_b32 exec_lo, exec_lo, s41
.LBB294_377:                            ;   in Loop: Header=BB294_10 Depth=1
	s_or_b32 exec_lo, exec_lo, s40
.LBB294_378:                            ;   in Loop: Header=BB294_10 Depth=1
	s_or_b32 exec_lo, exec_lo, s3
	v_lshrrev_b32_e32 v3, 16, v11
	v_mov_b32_e32 v74, 0
	v_mov_b32_e32 v75, 0
	v_cmp_ne_u16_sdwa s2, v3, v4 src0_sel:BYTE_0 src1_sel:DWORD
	s_and_saveexec_b32 s3, s2
	s_cbranch_execz .LBB294_386
; %bb.379:                              ;   in Loop: Header=BB294_10 Depth=1
	v_cmp_ne_u16_sdwa s2, v3, v22 src0_sel:BYTE_0 src1_sel:DWORD
	v_mov_b32_e32 v75, 0x8000
	s_and_saveexec_b32 s40, s2
	s_cbranch_execz .LBB294_385
; %bb.380:                              ;   in Loop: Header=BB294_10 Depth=1
	v_bfe_u32 v77, v11, 16, 7
	v_mov_b32_e32 v75, 0x7c01
	s_mov_b32 s41, exec_lo
	v_cmpx_ne_u32_e32 0x7f, v77
	s_cbranch_execz .LBB294_384
; %bb.381:                              ;   in Loop: Header=BB294_10 Depth=1
	v_and_b32_e32 v75, 7, v3
	v_lshrrev_b32_e32 v76, 3, v77
	s_mov_b32 s42, exec_lo
	v_cmpx_gt_u32_e32 8, v77
; %bb.382:                              ;   in Loop: Header=BB294_10 Depth=1
	v_ffbh_u32_e32 v75, v75
	v_min_u32_e32 v77, 32, v75
	v_subrev_nc_u32_e32 v75, 28, v77
	v_lshlrev_b64 v[75:76], v75, v[3:4]
	v_sub_nc_u32_e32 v76, 29, v77
	v_and_b32_e32 v75, 7, v75
; %bb.383:                              ;   in Loop: Header=BB294_10 Depth=1
	s_or_b32 exec_lo, exec_lo, s42
	v_lshlrev_b32_e32 v3, 8, v3
	v_lshl_add_u32 v76, v76, 10, 0x2000
	v_lshlrev_b32_e32 v75, 7, v75
	v_and_b32_e32 v3, 0x8000, v3
	v_and_b32_e32 v76, 0xfc00, v76
	v_or3_b32 v75, v3, v76, v75
.LBB294_384:                            ;   in Loop: Header=BB294_10 Depth=1
	s_or_b32 exec_lo, exec_lo, s41
.LBB294_385:                            ;   in Loop: Header=BB294_10 Depth=1
	s_or_b32 exec_lo, exec_lo, s40
.LBB294_386:                            ;   in Loop: Header=BB294_10 Depth=1
	s_or_b32 exec_lo, exec_lo, s3
	s_mov_b32 s3, exec_lo
	v_cmpx_lt_u32_e32 0xffffff, v11
	s_cbranch_execz .LBB294_394
; %bb.387:                              ;   in Loop: Header=BB294_10 Depth=1
	v_lshrrev_b32_e32 v3, 24, v11
	v_bfrev_b32_e32 v74, 1
	s_mov_b32 s40, exec_lo
	v_cmpx_ne_u32_e32 0x80, v3
	s_cbranch_execz .LBB294_393
; %bb.388:                              ;   in Loop: Header=BB294_10 Depth=1
	v_and_b32_e32 v76, 0x7f, v3
	v_mov_b32_e32 v74, 0x7c010000
	s_mov_b32 s41, exec_lo
	v_cmpx_ne_u32_e32 0x7f, v76
	s_cbranch_execz .LBB294_392
; %bb.389:                              ;   in Loop: Header=BB294_10 Depth=1
	v_and_b32_e32 v11, 7, v3
	v_lshrrev_b32_e32 v74, 3, v76
	s_mov_b32 s42, exec_lo
	v_cmpx_gt_u32_e32 8, v76
; %bb.390:                              ;   in Loop: Header=BB294_10 Depth=1
	v_ffbh_u32_e32 v11, v11
	v_min_u32_e32 v11, 32, v11
	v_subrev_nc_u32_e32 v74, 28, v11
	v_lshlrev_b64 v[76:77], v74, v[3:4]
	v_sub_nc_u32_e32 v74, 29, v11
	v_and_b32_e32 v11, 7, v76
; %bb.391:                              ;   in Loop: Header=BB294_10 Depth=1
	s_or_b32 exec_lo, exec_lo, s42
	v_lshlrev_b32_e32 v3, 8, v3
	v_lshl_add_u32 v74, v74, 10, 0x2000
	v_lshlrev_b32_e32 v11, 23, v11
	v_and_or_b32 v3, 0x8000, v3, v74
	v_lshl_or_b32 v74, v3, 16, v11
.LBB294_392:                            ;   in Loop: Header=BB294_10 Depth=1
	s_or_b32 exec_lo, exec_lo, s41
.LBB294_393:                            ;   in Loop: Header=BB294_10 Depth=1
	s_or_b32 exec_lo, exec_lo, s40
.LBB294_394:                            ;   in Loop: Header=BB294_10 Depth=1
	s_or_b32 exec_lo, exec_lo, s3
	global_load_dword v11, v[9:10], off offset:1536
	v_mov_b32_e32 v76, 0
	v_mov_b32_e32 v77, 0
	s_waitcnt vmcnt(0)
	v_cmp_ne_u16_sdwa s2, v11, v4 src0_sel:BYTE_0 src1_sel:DWORD
	s_and_saveexec_b32 s3, s2
	s_cbranch_execz .LBB294_402
; %bb.395:                              ;   in Loop: Header=BB294_10 Depth=1
	v_cmp_ne_u16_sdwa s2, v11, v22 src0_sel:BYTE_0 src1_sel:DWORD
	v_mov_b32_e32 v77, 0x8000
	s_and_saveexec_b32 s40, s2
	s_cbranch_execz .LBB294_401
; %bb.396:                              ;   in Loop: Header=BB294_10 Depth=1
	v_and_b32_e32 v78, 0x7f, v11
	v_mov_b32_e32 v77, 0x7c01
	s_mov_b32 s41, exec_lo
	v_cmpx_ne_u32_e32 0x7f, v78
	s_cbranch_execz .LBB294_400
; %bb.397:                              ;   in Loop: Header=BB294_10 Depth=1
	v_and_b32_e32 v3, 7, v11
	v_lshrrev_b32_e32 v77, 3, v78
	s_mov_b32 s42, exec_lo
	v_cmpx_gt_u32_e32 8, v78
; %bb.398:                              ;   in Loop: Header=BB294_10 Depth=1
	v_ffbh_u32_e32 v3, v3
	v_min_u32_e32 v3, 32, v3
	v_subrev_nc_u32_e32 v77, 28, v3
	v_lshlrev_b64 v[78:79], v77, v[11:12]
	v_sub_nc_u32_e32 v77, 29, v3
	v_and_b32_e32 v3, 7, v78
; %bb.399:                              ;   in Loop: Header=BB294_10 Depth=1
	s_or_b32 exec_lo, exec_lo, s42
	v_lshlrev_b32_e32 v78, 8, v11
	v_lshl_add_u32 v77, v77, 10, 0x2000
	v_lshlrev_b32_e32 v3, 7, v3
	v_and_b32_e32 v78, 0x8000, v78
	v_and_b32_e32 v77, 0xfc00, v77
	v_or3_b32 v77, v78, v77, v3
.LBB294_400:                            ;   in Loop: Header=BB294_10 Depth=1
	s_or_b32 exec_lo, exec_lo, s41
.LBB294_401:                            ;   in Loop: Header=BB294_10 Depth=1
	s_or_b32 exec_lo, exec_lo, s40
.LBB294_402:                            ;   in Loop: Header=BB294_10 Depth=1
	s_or_b32 exec_lo, exec_lo, s3
	v_lshrrev_b16 v3, 8, v11
	s_mov_b32 s3, exec_lo
	v_cmpx_ne_u16_e32 0, v3
	s_cbranch_execz .LBB294_410
; %bb.403:                              ;   in Loop: Header=BB294_10 Depth=1
	v_bfrev_b32_e32 v76, 1
	s_mov_b32 s40, exec_lo
	v_cmpx_ne_u16_e32 0x80, v3
	s_cbranch_execz .LBB294_409
; %bb.404:                              ;   in Loop: Header=BB294_10 Depth=1
	v_and_b32_sdwa v79, v3, v23 dst_sel:DWORD dst_unused:UNUSED_PAD src0_sel:WORD_0 src1_sel:DWORD
	v_mov_b32_e32 v76, 0x7c010000
	s_mov_b32 s41, exec_lo
	v_cmpx_ne_u32_e32 0x7f, v79
	s_cbranch_execz .LBB294_408
; %bb.405:                              ;   in Loop: Header=BB294_10 Depth=1
	v_and_b32_sdwa v76, v3, v24 dst_sel:DWORD dst_unused:UNUSED_PAD src0_sel:WORD_0 src1_sel:DWORD
	v_lshrrev_b32_e32 v78, 3, v79
	s_mov_b32 s42, exec_lo
	v_cmpx_gt_u32_e32 8, v79
; %bb.406:                              ;   in Loop: Header=BB294_10 Depth=1
	v_ffbh_u32_e32 v76, v76
	v_min_u32_e32 v76, 32, v76
	v_subrev_nc_u32_e32 v78, 28, v76
	v_lshlrev_b64 v[79:80], v78, v[3:4]
	v_sub_nc_u32_e32 v78, 29, v76
	v_and_b32_e32 v76, 7, v79
; %bb.407:                              ;   in Loop: Header=BB294_10 Depth=1
	s_or_b32 exec_lo, exec_lo, s42
	v_lshlrev_b32_sdwa v3, v25, v3 dst_sel:DWORD dst_unused:UNUSED_PAD src0_sel:DWORD src1_sel:WORD_0
	v_lshl_add_u32 v78, v78, 10, 0x2000
	v_lshlrev_b32_e32 v76, 23, v76
	v_and_or_b32 v3, 0x8000, v3, v78
	v_lshl_or_b32 v76, v3, 16, v76
.LBB294_408:                            ;   in Loop: Header=BB294_10 Depth=1
	s_or_b32 exec_lo, exec_lo, s41
.LBB294_409:                            ;   in Loop: Header=BB294_10 Depth=1
	s_or_b32 exec_lo, exec_lo, s40
.LBB294_410:                            ;   in Loop: Header=BB294_10 Depth=1
	s_or_b32 exec_lo, exec_lo, s3
	v_lshrrev_b32_e32 v3, 16, v11
	v_mov_b32_e32 v78, 0
	v_mov_b32_e32 v79, 0
	v_cmp_ne_u16_sdwa s2, v3, v4 src0_sel:BYTE_0 src1_sel:DWORD
	s_and_saveexec_b32 s3, s2
	s_cbranch_execz .LBB294_418
; %bb.411:                              ;   in Loop: Header=BB294_10 Depth=1
	v_cmp_ne_u16_sdwa s2, v3, v22 src0_sel:BYTE_0 src1_sel:DWORD
	v_mov_b32_e32 v79, 0x8000
	s_and_saveexec_b32 s40, s2
	s_cbranch_execz .LBB294_417
; %bb.412:                              ;   in Loop: Header=BB294_10 Depth=1
	v_bfe_u32 v81, v11, 16, 7
	v_mov_b32_e32 v79, 0x7c01
	s_mov_b32 s41, exec_lo
	v_cmpx_ne_u32_e32 0x7f, v81
	s_cbranch_execz .LBB294_416
; %bb.413:                              ;   in Loop: Header=BB294_10 Depth=1
	v_and_b32_e32 v79, 7, v3
	v_lshrrev_b32_e32 v80, 3, v81
	s_mov_b32 s42, exec_lo
	v_cmpx_gt_u32_e32 8, v81
; %bb.414:                              ;   in Loop: Header=BB294_10 Depth=1
	v_ffbh_u32_e32 v79, v79
	v_min_u32_e32 v81, 32, v79
	v_subrev_nc_u32_e32 v79, 28, v81
	v_lshlrev_b64 v[79:80], v79, v[3:4]
	v_sub_nc_u32_e32 v80, 29, v81
	v_and_b32_e32 v79, 7, v79
; %bb.415:                              ;   in Loop: Header=BB294_10 Depth=1
	s_or_b32 exec_lo, exec_lo, s42
	v_lshlrev_b32_e32 v3, 8, v3
	v_lshl_add_u32 v80, v80, 10, 0x2000
	v_lshlrev_b32_e32 v79, 7, v79
	v_and_b32_e32 v3, 0x8000, v3
	v_and_b32_e32 v80, 0xfc00, v80
	v_or3_b32 v79, v3, v80, v79
.LBB294_416:                            ;   in Loop: Header=BB294_10 Depth=1
	s_or_b32 exec_lo, exec_lo, s41
.LBB294_417:                            ;   in Loop: Header=BB294_10 Depth=1
	s_or_b32 exec_lo, exec_lo, s40
.LBB294_418:                            ;   in Loop: Header=BB294_10 Depth=1
	s_or_b32 exec_lo, exec_lo, s3
	s_mov_b32 s3, exec_lo
	v_cmpx_lt_u32_e32 0xffffff, v11
	s_cbranch_execz .LBB294_426
; %bb.419:                              ;   in Loop: Header=BB294_10 Depth=1
	v_lshrrev_b32_e32 v3, 24, v11
	v_bfrev_b32_e32 v78, 1
	s_mov_b32 s40, exec_lo
	v_cmpx_ne_u32_e32 0x80, v3
	s_cbranch_execz .LBB294_425
; %bb.420:                              ;   in Loop: Header=BB294_10 Depth=1
	v_and_b32_e32 v80, 0x7f, v3
	v_mov_b32_e32 v78, 0x7c010000
	s_mov_b32 s41, exec_lo
	v_cmpx_ne_u32_e32 0x7f, v80
	s_cbranch_execz .LBB294_424
; %bb.421:                              ;   in Loop: Header=BB294_10 Depth=1
	v_and_b32_e32 v11, 7, v3
	v_lshrrev_b32_e32 v78, 3, v80
	s_mov_b32 s42, exec_lo
	v_cmpx_gt_u32_e32 8, v80
; %bb.422:                              ;   in Loop: Header=BB294_10 Depth=1
	v_ffbh_u32_e32 v11, v11
	v_min_u32_e32 v11, 32, v11
	v_subrev_nc_u32_e32 v78, 28, v11
	v_lshlrev_b64 v[80:81], v78, v[3:4]
	v_sub_nc_u32_e32 v78, 29, v11
	v_and_b32_e32 v11, 7, v80
; %bb.423:                              ;   in Loop: Header=BB294_10 Depth=1
	s_or_b32 exec_lo, exec_lo, s42
	v_lshlrev_b32_e32 v3, 8, v3
	v_lshl_add_u32 v78, v78, 10, 0x2000
	v_lshlrev_b32_e32 v11, 23, v11
	v_and_or_b32 v3, 0x8000, v3, v78
	v_lshl_or_b32 v78, v3, 16, v11
.LBB294_424:                            ;   in Loop: Header=BB294_10 Depth=1
	s_or_b32 exec_lo, exec_lo, s41
.LBB294_425:                            ;   in Loop: Header=BB294_10 Depth=1
	s_or_b32 exec_lo, exec_lo, s40
.LBB294_426:                            ;   in Loop: Header=BB294_10 Depth=1
	s_or_b32 exec_lo, exec_lo, s3
	global_load_dword v9, v[9:10], off offset:1544
	v_mov_b32_e32 v11, 0
	v_mov_b32_e32 v81, 0
	s_waitcnt vmcnt(0)
	v_cmp_ne_u16_sdwa s2, v9, v4 src0_sel:BYTE_0 src1_sel:DWORD
	s_and_saveexec_b32 s3, s2
	s_cbranch_execz .LBB294_434
; %bb.427:                              ;   in Loop: Header=BB294_10 Depth=1
	v_cmp_ne_u16_sdwa s2, v9, v22 src0_sel:BYTE_0 src1_sel:DWORD
	v_mov_b32_e32 v81, 0x8000
	s_and_saveexec_b32 s40, s2
	s_cbranch_execz .LBB294_433
; %bb.428:                              ;   in Loop: Header=BB294_10 Depth=1
	v_and_b32_e32 v80, 0x7f, v9
	v_mov_b32_e32 v81, 0x7c01
	s_mov_b32 s41, exec_lo
	v_cmpx_ne_u32_e32 0x7f, v80
	s_cbranch_execz .LBB294_432
; %bb.429:                              ;   in Loop: Header=BB294_10 Depth=1
	v_and_b32_e32 v3, 7, v9
	v_lshrrev_b32_e32 v10, 3, v80
	s_mov_b32 s42, exec_lo
	v_cmpx_gt_u32_e32 8, v80
; %bb.430:                              ;   in Loop: Header=BB294_10 Depth=1
	v_ffbh_u32_e32 v3, v3
	v_min_u32_e32 v3, 32, v3
	v_subrev_nc_u32_e32 v10, 28, v3
	v_lshlrev_b64 v[80:81], v10, v[9:10]
	v_sub_nc_u32_e32 v10, 29, v3
	v_and_b32_e32 v3, 7, v80
; %bb.431:                              ;   in Loop: Header=BB294_10 Depth=1
	s_or_b32 exec_lo, exec_lo, s42
	v_lshlrev_b32_e32 v80, 8, v9
	v_lshl_add_u32 v10, v10, 10, 0x2000
	v_lshlrev_b32_e32 v3, 7, v3
	v_and_b32_e32 v80, 0x8000, v80
	v_and_b32_e32 v10, 0xfc00, v10
	v_or3_b32 v81, v80, v10, v3
.LBB294_432:                            ;   in Loop: Header=BB294_10 Depth=1
	s_or_b32 exec_lo, exec_lo, s41
.LBB294_433:                            ;   in Loop: Header=BB294_10 Depth=1
	s_or_b32 exec_lo, exec_lo, s40
.LBB294_434:                            ;   in Loop: Header=BB294_10 Depth=1
	s_or_b32 exec_lo, exec_lo, s3
	v_lshrrev_b16 v3, 8, v9
	s_mov_b32 s3, exec_lo
	v_cmpx_ne_u16_e32 0, v3
	s_cbranch_execz .LBB294_442
; %bb.435:                              ;   in Loop: Header=BB294_10 Depth=1
	v_bfrev_b32_e32 v11, 1
	s_mov_b32 s40, exec_lo
	v_cmpx_ne_u16_e32 0x80, v3
	s_cbranch_execz .LBB294_441
; %bb.436:                              ;   in Loop: Header=BB294_10 Depth=1
	v_and_b32_sdwa v80, v3, v23 dst_sel:DWORD dst_unused:UNUSED_PAD src0_sel:WORD_0 src1_sel:DWORD
	v_mov_b32_e32 v11, 0x7c010000
	s_mov_b32 s41, exec_lo
	v_cmpx_ne_u32_e32 0x7f, v80
	s_cbranch_execz .LBB294_440
; %bb.437:                              ;   in Loop: Header=BB294_10 Depth=1
	v_and_b32_sdwa v10, v3, v24 dst_sel:DWORD dst_unused:UNUSED_PAD src0_sel:WORD_0 src1_sel:DWORD
	v_lshrrev_b32_e32 v11, 3, v80
	s_mov_b32 s42, exec_lo
	v_cmpx_gt_u32_e32 8, v80
; %bb.438:                              ;   in Loop: Header=BB294_10 Depth=1
	v_ffbh_u32_e32 v10, v10
	v_min_u32_e32 v80, 32, v10
	v_subrev_nc_u32_e32 v10, 28, v80
	v_lshlrev_b64 v[10:11], v10, v[3:4]
	v_sub_nc_u32_e32 v11, 29, v80
	v_and_b32_e32 v10, 7, v10
; %bb.439:                              ;   in Loop: Header=BB294_10 Depth=1
	s_or_b32 exec_lo, exec_lo, s42
	v_lshlrev_b32_sdwa v3, v25, v3 dst_sel:DWORD dst_unused:UNUSED_PAD src0_sel:DWORD src1_sel:WORD_0
	v_lshl_add_u32 v11, v11, 10, 0x2000
	v_lshlrev_b32_e32 v10, 23, v10
	v_and_or_b32 v3, 0x8000, v3, v11
	v_lshl_or_b32 v11, v3, 16, v10
.LBB294_440:                            ;   in Loop: Header=BB294_10 Depth=1
	s_or_b32 exec_lo, exec_lo, s41
.LBB294_441:                            ;   in Loop: Header=BB294_10 Depth=1
	s_or_b32 exec_lo, exec_lo, s40
.LBB294_442:                            ;   in Loop: Header=BB294_10 Depth=1
	s_or_b32 exec_lo, exec_lo, s3
	v_lshrrev_b32_e32 v3, 16, v9
	v_mov_b32_e32 v10, 0
	v_mov_b32_e32 v80, 0
	v_cmp_ne_u16_sdwa s2, v3, v4 src0_sel:BYTE_0 src1_sel:DWORD
	s_and_saveexec_b32 s3, s2
	s_cbranch_execz .LBB294_450
; %bb.443:                              ;   in Loop: Header=BB294_10 Depth=1
	v_cmp_ne_u16_sdwa s2, v3, v22 src0_sel:BYTE_0 src1_sel:DWORD
	v_mov_b32_e32 v80, 0x8000
	s_and_saveexec_b32 s40, s2
	s_cbranch_execz .LBB294_449
; %bb.444:                              ;   in Loop: Header=BB294_10 Depth=1
	v_bfe_u32 v83, v9, 16, 7
	v_mov_b32_e32 v80, 0x7c01
	s_mov_b32 s41, exec_lo
	v_cmpx_ne_u32_e32 0x7f, v83
	s_cbranch_execz .LBB294_448
; %bb.445:                              ;   in Loop: Header=BB294_10 Depth=1
	v_and_b32_e32 v80, 7, v3
	v_lshrrev_b32_e32 v82, 3, v83
	s_mov_b32 s42, exec_lo
	v_cmpx_gt_u32_e32 8, v83
; %bb.446:                              ;   in Loop: Header=BB294_10 Depth=1
	v_ffbh_u32_e32 v80, v80
	v_min_u32_e32 v80, 32, v80
	v_subrev_nc_u32_e32 v82, 28, v80
	v_lshlrev_b64 v[83:84], v82, v[3:4]
	v_sub_nc_u32_e32 v82, 29, v80
	v_and_b32_e32 v80, 7, v83
; %bb.447:                              ;   in Loop: Header=BB294_10 Depth=1
	s_or_b32 exec_lo, exec_lo, s42
	v_lshlrev_b32_e32 v3, 8, v3
	v_lshl_add_u32 v82, v82, 10, 0x2000
	v_lshlrev_b32_e32 v80, 7, v80
	v_and_b32_e32 v3, 0x8000, v3
	v_and_b32_e32 v82, 0xfc00, v82
	v_or3_b32 v80, v3, v82, v80
.LBB294_448:                            ;   in Loop: Header=BB294_10 Depth=1
	s_or_b32 exec_lo, exec_lo, s41
.LBB294_449:                            ;   in Loop: Header=BB294_10 Depth=1
	s_or_b32 exec_lo, exec_lo, s40
.LBB294_450:                            ;   in Loop: Header=BB294_10 Depth=1
	s_or_b32 exec_lo, exec_lo, s3
	s_mov_b32 s3, exec_lo
	v_cmpx_lt_u32_e32 0xffffff, v9
	s_cbranch_execz .LBB294_458
; %bb.451:                              ;   in Loop: Header=BB294_10 Depth=1
	v_lshrrev_b32_e32 v3, 24, v9
	v_bfrev_b32_e32 v10, 1
	s_mov_b32 s40, exec_lo
	v_cmpx_ne_u32_e32 0x80, v3
	s_cbranch_execz .LBB294_457
; %bb.452:                              ;   in Loop: Header=BB294_10 Depth=1
	v_and_b32_e32 v82, 0x7f, v3
	v_mov_b32_e32 v10, 0x7c010000
	s_mov_b32 s41, exec_lo
	v_cmpx_ne_u32_e32 0x7f, v82
	s_cbranch_execz .LBB294_456
; %bb.453:                              ;   in Loop: Header=BB294_10 Depth=1
	v_and_b32_e32 v9, 7, v3
	v_lshrrev_b32_e32 v10, 3, v82
	s_mov_b32 s42, exec_lo
	v_cmpx_gt_u32_e32 8, v82
; %bb.454:                              ;   in Loop: Header=BB294_10 Depth=1
	v_ffbh_u32_e32 v9, v9
	v_min_u32_e32 v82, 32, v9
	v_subrev_nc_u32_e32 v9, 28, v82
	v_lshlrev_b64 v[9:10], v9, v[3:4]
	v_sub_nc_u32_e32 v10, 29, v82
	v_and_b32_e32 v9, 7, v9
; %bb.455:                              ;   in Loop: Header=BB294_10 Depth=1
	s_or_b32 exec_lo, exec_lo, s42
	v_lshlrev_b32_e32 v3, 8, v3
	v_lshl_add_u32 v10, v10, 10, 0x2000
	v_lshlrev_b32_e32 v9, 23, v9
	v_and_or_b32 v3, 0x8000, v3, v10
	v_lshl_or_b32 v10, v3, 16, v9
.LBB294_456:                            ;   in Loop: Header=BB294_10 Depth=1
	s_or_b32 exec_lo, exec_lo, s41
.LBB294_457:                            ;   in Loop: Header=BB294_10 Depth=1
	s_or_b32 exec_lo, exec_lo, s40
.LBB294_458:                            ;   in Loop: Header=BB294_10 Depth=1
	s_or_b32 exec_lo, exec_lo, s3
	ds_read_b64 v[82:83], v19
	v_or_b32_e32 v3, v29, v28
	v_or_b32_e32 v9, v30, v31
	v_fma_mixlo_f16 v28, v27, v29, 0 op_sel:[0,1,0] op_sel_hi:[0,1,0]
	v_fma_mixlo_f16 v29, v27, v30, 0 op_sel:[0,1,0] op_sel_hi:[0,1,0]
	v_or_b32_e32 v33, v32, v33
	v_fma_mixlo_f16 v3, v27, v3, 0 op_sel_hi:[0,1,0]
	v_fma_mixlo_f16 v9, v27, v9, 0 op_sel_hi:[0,1,0]
	v_and_b32_e32 v28, 0xffff, v28
	v_and_b32_e32 v84, 0xffff, v29
	v_or_b32_e32 v35, v34, v35
	v_and_b32_e32 v29, 0xffff, v3
	v_fma_mixlo_f16 v32, v27, v32, 0 op_sel:[0,1,0] op_sel_hi:[0,1,0]
	v_fma_mixlo_f16 v34, v27, v34, 0 op_sel:[0,1,0] op_sel_hi:[0,1,0]
	v_fma_mixlo_f16 v33, v27, v33, 0 op_sel_hi:[0,1,0]
	v_fma_mixlo_f16 v35, v27, v35, 0 op_sel_hi:[0,1,0]
	v_or_b32_e32 v37, v36, v37
	v_and_b32_e32 v32, 0xffff, v32
	v_and_b32_e32 v88, 0xffff, v34
	;; [unrolled: 1-line block ×3, first 2 shown]
	s_waitcnt lgkmcnt(0)
	v_and_b32_e32 v3, 0xffff, v82
	v_lshrrev_b32_e32 v30, 16, v82
	v_and_b32_e32 v82, 0xffff, v9
	v_lshrrev_b32_e32 v85, 16, v83
	v_and_b32_e32 v31, 0xffff, v83
	;;#ASMSTART
	v_cvt_f32_f16 v3, v3;
	;;#ASMEND
	;;#ASMSTART
	v_cvt_f32_f16 v9, v30;
	;;#ASMEND
	;; [unrolled: 3-line block ×8, first 2 shown]
	ds_read_b64 v[84:85], v19 offset:8
	v_and_b32_e32 v87, 0xffff, v35
	v_or_b32_e32 v39, v38, v39
	v_fma_mixlo_f16 v36, v27, v36, 0 op_sel:[0,1,0] op_sel_hi:[0,1,0]
	v_fma_mixlo_f16 v38, v27, v38, 0 op_sel:[0,1,0] op_sel_hi:[0,1,0]
	v_fma_mixlo_f16 v37, v27, v37, 0 op_sel_hi:[0,1,0]
	v_or_b32_e32 v41, v40, v41
	v_fma_mixlo_f16 v39, v27, v39, 0 op_sel_hi:[0,1,0]
	v_and_b32_e32 v90, 0xffff, v36
	v_and_b32_e32 v91, 0xffff, v38
	;; [unrolled: 1-line block ×3, first 2 shown]
	v_or_b32_e32 v43, v42, v43
	v_and_b32_e32 v92, 0xffff, v39
	v_fma_mixlo_f16 v40, v27, v40, 0 op_sel:[0,1,0] op_sel_hi:[0,1,0]
	v_fma_mixlo_f16 v42, v27, v42, 0 op_sel:[0,1,0] op_sel_hi:[0,1,0]
	v_fma_mixlo_f16 v41, v27, v41, 0 op_sel_hi:[0,1,0]
	v_fma_mixlo_f16 v43, v27, v43, 0 op_sel_hi:[0,1,0]
	v_or_b32_e32 v45, v44, v45
	v_and_b32_e32 v94, 0xffff, v40
	v_and_b32_e32 v96, 0xffff, v42
	s_waitcnt lgkmcnt(0)
	v_and_b32_e32 v34, 0xffff, v84
	v_lshrrev_b32_e32 v84, 16, v84
	v_lshrrev_b32_e32 v89, 16, v85
	v_and_b32_e32 v86, 0xffff, v85
	;;#ASMSTART
	v_cvt_f32_f16 v34, v34;
	;;#ASMEND
	;;#ASMSTART
	v_cvt_f32_f16 v35, v84;
	;;#ASMEND
	;; [unrolled: 3-line block ×8, first 2 shown]
	ds_read_b64 v[88:89], v19 offset:16
	v_and_b32_e32 v42, 0xffff, v41
	v_and_b32_e32 v95, 0xffff, v43
	v_or_b32_e32 v47, v46, v47
	v_fma_mixlo_f16 v44, v27, v44, 0 op_sel:[0,1,0] op_sel_hi:[0,1,0]
	v_fma_mixlo_f16 v46, v27, v46, 0 op_sel:[0,1,0] op_sel_hi:[0,1,0]
	v_fma_mixlo_f16 v45, v27, v45, 0 op_sel_hi:[0,1,0]
	v_or_b32_e32 v49, v48, v49
	v_fma_mixlo_f16 v47, v27, v47, 0 op_sel_hi:[0,1,0]
	v_and_b32_e32 v98, 0xffff, v44
	v_and_b32_e32 v99, 0xffff, v46
	;; [unrolled: 1-line block ×3, first 2 shown]
	v_or_b32_e32 v51, v50, v51
	v_and_b32_e32 v100, 0xffff, v47
	v_fma_mixlo_f16 v48, v27, v48, 0 op_sel:[0,1,0] op_sel_hi:[0,1,0]
	v_fma_mixlo_f16 v50, v27, v50, 0 op_sel:[0,1,0] op_sel_hi:[0,1,0]
	v_fma_mixlo_f16 v49, v27, v49, 0 op_sel_hi:[0,1,0]
	v_fma_mixlo_f16 v51, v27, v51, 0 op_sel_hi:[0,1,0]
	v_or_b32_e32 v53, v52, v53
	v_and_b32_e32 v102, 0xffff, v48
	s_waitcnt lgkmcnt(0)
	v_and_b32_e32 v36, 0xffff, v88
	v_lshrrev_b32_e32 v37, 16, v88
	v_lshrrev_b32_e32 v93, 16, v89
	v_and_b32_e32 v89, 0xffff, v89
	;;#ASMSTART
	v_cvt_f32_f16 v36, v36;
	;;#ASMEND
	;;#ASMSTART
	v_cvt_f32_f16 v37, v37;
	;;#ASMEND
	;; [unrolled: 3-line block ×8, first 2 shown]
	ds_read_b64 v[92:93], v19 offset:24
	v_and_b32_e32 v103, 0xffff, v50
	v_and_b32_e32 v50, 0xffff, v49
	;; [unrolled: 1-line block ×3, first 2 shown]
	v_or_b32_e32 v55, v54, v55
	v_fma_mixlo_f16 v52, v27, v52, 0 op_sel:[0,1,0] op_sel_hi:[0,1,0]
	v_fma_mixlo_f16 v54, v27, v54, 0 op_sel:[0,1,0] op_sel_hi:[0,1,0]
	v_fma_mixlo_f16 v53, v27, v53, 0 op_sel_hi:[0,1,0]
	v_or_b32_e32 v57, v56, v57
	v_fma_mixlo_f16 v55, v27, v55, 0 op_sel_hi:[0,1,0]
	v_and_b32_e32 v106, 0xffff, v52
	v_and_b32_e32 v107, 0xffff, v54
	;; [unrolled: 1-line block ×3, first 2 shown]
	v_or_b32_e32 v59, v58, v59
	v_and_b32_e32 v108, 0xffff, v55
	v_fma_mixlo_f16 v56, v27, v56, 0 op_sel:[0,1,0] op_sel_hi:[0,1,0]
	v_fma_mixlo_f16 v58, v27, v58, 0 op_sel:[0,1,0] op_sel_hi:[0,1,0]
	v_fma_mixlo_f16 v57, v27, v57, 0 op_sel_hi:[0,1,0]
	v_fma_mixlo_f16 v59, v27, v59, 0 op_sel_hi:[0,1,0]
	v_or_b32_e32 v61, v60, v61
	s_waitcnt lgkmcnt(0)
	v_and_b32_e32 v40, 0xffff, v92
	v_lshrrev_b32_e32 v41, 16, v92
	v_lshrrev_b32_e32 v97, 16, v93
	v_and_b32_e32 v93, 0xffff, v93
	;;#ASMSTART
	v_cvt_f32_f16 v40, v40;
	;;#ASMEND
	;;#ASMSTART
	v_cvt_f32_f16 v41, v41;
	;;#ASMEND
	;; [unrolled: 3-line block ×8, first 2 shown]
	ds_read_b64 v[96:97], v19 offset:32
	v_and_b32_e32 v110, 0xffff, v56
	v_and_b32_e32 v111, 0xffff, v58
	;; [unrolled: 1-line block ×4, first 2 shown]
	v_or_b32_e32 v63, v62, v63
	v_fma_mixlo_f16 v60, v27, v60, 0 op_sel:[0,1,0] op_sel_hi:[0,1,0]
	v_fma_mixlo_f16 v62, v27, v62, 0 op_sel:[0,1,0] op_sel_hi:[0,1,0]
	v_fma_mixlo_f16 v61, v27, v61, 0 op_sel_hi:[0,1,0]
	v_or_b32_e32 v65, v64, v65
	v_fma_mixlo_f16 v63, v27, v63, 0 op_sel_hi:[0,1,0]
	v_and_b32_e32 v60, 0xffff, v60
	v_and_b32_e32 v116, 0xffff, v62
	;; [unrolled: 1-line block ×3, first 2 shown]
	v_or_b32_e32 v67, v66, v67
	v_and_b32_e32 v115, 0xffff, v63
	v_fma_mixlo_f16 v64, v27, v64, 0 op_sel:[0,1,0] op_sel_hi:[0,1,0]
	v_fma_mixlo_f16 v66, v27, v66, 0 op_sel:[0,1,0] op_sel_hi:[0,1,0]
	v_fma_mixlo_f16 v65, v27, v65, 0 op_sel_hi:[0,1,0]
	v_fma_mixlo_f16 v67, v27, v67, 0 op_sel_hi:[0,1,0]
	s_waitcnt lgkmcnt(0)
	v_and_b32_e32 v44, 0xffff, v96
	v_lshrrev_b32_e32 v45, 16, v96
	v_lshrrev_b32_e32 v101, 16, v97
	v_and_b32_e32 v96, 0xffff, v97
	;;#ASMSTART
	v_cvt_f32_f16 v44, v44;
	;;#ASMEND
	;;#ASMSTART
	v_cvt_f32_f16 v45, v45;
	;;#ASMEND
	;; [unrolled: 3-line block ×8, first 2 shown]
	ds_read_b64 v[100:101], v19 offset:40
	v_and_b32_e32 v64, 0xffff, v64
	v_and_b32_e32 v121, 0xffff, v66
	;; [unrolled: 1-line block ×4, first 2 shown]
	v_or_b32_e32 v69, v68, v69
	v_or_b32_e32 v71, v70, v71
	v_fma_mixlo_f16 v68, v27, v68, 0 op_sel:[0,1,0] op_sel_hi:[0,1,0]
	v_fma_mixlo_f16 v70, v27, v70, 0 op_sel:[0,1,0] op_sel_hi:[0,1,0]
	v_or_b32_e32 v73, v72, v73
	v_or_b32_e32 v75, v74, v75
	v_fma_mixlo_f16 v69, v27, v69, 0 op_sel_hi:[0,1,0]
	v_fma_mixlo_f16 v71, v27, v71, 0 op_sel_hi:[0,1,0]
	v_or_b32_e32 v77, v76, v77
	v_fma_mixlo_f16 v72, v27, v72, 0 op_sel:[0,1,0] op_sel_hi:[0,1,0]
	v_and_b32_e32 v122, 0xffff, v68
	v_and_b32_e32 v125, 0xffff, v70
	v_fma_mixlo_f16 v68, v27, v73, 0 op_sel_hi:[0,1,0]
	v_fma_mixlo_f16 v73, v27, v75, 0 op_sel_hi:[0,1,0]
	v_and_b32_e32 v75, 0xffff, v69
	s_waitcnt lgkmcnt(0)
	v_and_b32_e32 v48, 0xffff, v100
	v_lshrrev_b32_e32 v49, 16, v100
	v_lshrrev_b32_e32 v105, 16, v101
	v_and_b32_e32 v100, 0xffff, v101
	;;#ASMSTART
	v_cvt_f32_f16 v48, v48;
	;;#ASMEND
	;;#ASMSTART
	v_cvt_f32_f16 v49, v49;
	;;#ASMEND
	;; [unrolled: 3-line block ×8, first 2 shown]
	ds_read_b64 v[104:105], v19 offset:48
	v_and_b32_e32 v124, 0xffff, v71
	v_fma_mixlo_f16 v70, v27, v77, 0 op_sel_hi:[0,1,0]
	v_mul_f32_e32 v34, v34, v84
	v_and_b32_e32 v126, 0xffff, v72
	v_mul_f32_e32 v35, v35, v85
	v_mul_f32_e32 v72, v86, v87
	;; [unrolled: 1-line block ×3, first 2 shown]
	v_fmac_f32_e32 v34, v3, v29
	v_fma_mixlo_f16 v74, v27, v74, 0 op_sel:[0,1,0] op_sel_hi:[0,1,0]
	v_fmac_f32_e32 v35, v9, v30
	v_fmac_f32_e32 v72, v31, v82
	;; [unrolled: 1-line block ×4, first 2 shown]
	v_and_b32_e32 v29, 0xffff, v68
	v_fmac_f32_e32 v35, v37, v88
	v_fmac_f32_e32 v72, v89, v90
	v_and_b32_e32 v28, 0xffff, v73
	v_fmac_f32_e32 v34, v40, v43
	v_and_b32_e32 v74, 0xffff, v74
	s_waitcnt lgkmcnt(0)
	v_and_b32_e32 v52, 0xffff, v104
	v_lshrrev_b32_e32 v53, 16, v104
	v_lshrrev_b32_e32 v109, 16, v105
	v_and_b32_e32 v104, 0xffff, v105
	;;#ASMSTART
	v_cvt_f32_f16 v52, v52;
	;;#ASMEND
	;;#ASMSTART
	v_cvt_f32_f16 v53, v53;
	;;#ASMEND
	;; [unrolled: 3-line block ×8, first 2 shown]
	ds_read_b64 v[108:109], v19 offset:56
	v_fmac_f32_e32 v35, v41, v92
	v_fmac_f32_e32 v72, v93, v95
	;; [unrolled: 1-line block ×4, first 2 shown]
	v_or_b32_e32 v79, v78, v79
	v_fmac_f32_e32 v35, v45, v47
	v_fmac_f32_e32 v72, v96, v98
	v_fmac_f32_e32 v34, v48, v50
	v_fmac_f32_e32 v32, v42, v94
	v_fma_mixlo_f16 v76, v27, v76, 0 op_sel:[0,1,0] op_sel_hi:[0,1,0]
	v_fmac_f32_e32 v35, v49, v51
	v_fmac_f32_e32 v72, v100, v102
	;; [unrolled: 1-line block ×4, first 2 shown]
	v_fma_mixlo_f16 v78, v27, v78, 0 op_sel:[0,1,0] op_sel_hi:[0,1,0]
	v_fmac_f32_e32 v35, v53, v55
	v_fmac_f32_e32 v72, v104, v106
	v_fma_mixlo_f16 v39, v27, v79, 0 op_sel_hi:[0,1,0]
	v_fmac_f32_e32 v32, v101, v103
	s_waitcnt lgkmcnt(0)
	v_and_b32_e32 v56, 0xffff, v108
	v_lshrrev_b32_e32 v57, 16, v108
	v_lshrrev_b32_e32 v113, 16, v109
	v_and_b32_e32 v108, 0xffff, v109
	;;#ASMSTART
	v_cvt_f32_f16 v56, v56;
	;;#ASMEND
	;;#ASMSTART
	v_cvt_f32_f16 v57, v57;
	;;#ASMEND
	;; [unrolled: 3-line block ×8, first 2 shown]
	ds_read_b64 v[112:113], v19 offset:64
	v_fmac_f32_e32 v34, v56, v58
	v_fmac_f32_e32 v35, v57, v59
	;; [unrolled: 1-line block ×4, first 2 shown]
	v_and_b32_e32 v43, 0xffff, v70
	v_and_b32_e32 v46, 0xffff, v39
	;; [unrolled: 1-line block ×3, first 2 shown]
	v_or_b32_e32 v81, v11, v81
	v_fmac_f32_e32 v32, v109, v111
	v_or_b32_e32 v48, v10, v80
	v_fma_mixlo_f16 v11, v27, v11, 0 op_sel:[0,1,0] op_sel_hi:[0,1,0]
	v_fma_mixlo_f16 v40, v27, v81, 0 op_sel_hi:[0,1,0]
	v_fma_mixlo_f16 v48, v27, v48, 0 op_sel_hi:[0,1,0]
	s_waitcnt lgkmcnt(0)
	v_and_b32_e32 v62, 0xffff, v112
	v_lshrrev_b32_e32 v112, 16, v112
	v_lshrrev_b32_e32 v117, 16, v113
	v_and_b32_e32 v114, 0xffff, v113
	;;#ASMSTART
	v_cvt_f32_f16 v62, v62;
	;;#ASMEND
	;;#ASMSTART
	v_cvt_f32_f16 v63, v112;
	;;#ASMEND
	;;#ASMSTART
	v_cvt_f32_f16 v112, v61;
	;;#ASMEND
	;;#ASMSTART
	v_cvt_f32_f16 v113, v60;
	;;#ASMEND
	;;#ASMSTART
	v_cvt_f32_f16 v114, v114;
	;;#ASMEND
	;;#ASMSTART
	v_cvt_f32_f16 v60, v117;
	;;#ASMEND
	;;#ASMSTART
	v_cvt_f32_f16 v115, v115;
	;;#ASMEND
	;;#ASMSTART
	v_cvt_f32_f16 v61, v116;
	;;#ASMEND
	ds_read_b64 v[116:117], v19 offset:72
	v_fmac_f32_e32 v34, v62, v112
	v_fmac_f32_e32 v35, v63, v113
	v_fmac_f32_e32 v72, v114, v115
	v_fmac_f32_e32 v32, v60, v61
	s_waitcnt lgkmcnt(0)
	v_and_b32_e32 v66, 0xffff, v116
	v_lshrrev_b32_e32 v116, 16, v116
	v_lshrrev_b32_e32 v119, 16, v117
	v_and_b32_e32 v118, 0xffff, v117
	;;#ASMSTART
	v_cvt_f32_f16 v66, v66;
	;;#ASMEND
	;;#ASMSTART
	v_cvt_f32_f16 v67, v116;
	;;#ASMEND
	;;#ASMSTART
	v_cvt_f32_f16 v116, v65;
	;;#ASMEND
	;;#ASMSTART
	v_cvt_f32_f16 v117, v64;
	;;#ASMEND
	;;#ASMSTART
	v_cvt_f32_f16 v118, v118;
	;;#ASMEND
	;;#ASMSTART
	v_cvt_f32_f16 v119, v119;
	;;#ASMEND
	;;#ASMSTART
	v_cvt_f32_f16 v120, v120;
	;;#ASMEND
	;;#ASMSTART
	v_cvt_f32_f16 v121, v121;
	;;#ASMEND
	ds_read_b64 v[64:65], v19 offset:80
	v_fmac_f32_e32 v34, v66, v116
	v_fmac_f32_e32 v35, v67, v117
	v_fmac_f32_e32 v72, v118, v120
	v_fmac_f32_e32 v32, v119, v121
	;; [unrolled: 34-line block ×3, first 2 shown]
	s_waitcnt lgkmcnt(0)
	v_and_b32_e32 v3, 0xffff, v64
	v_lshrrev_b32_e32 v9, 16, v64
	v_lshrrev_b32_e32 v36, 16, v65
	v_and_b32_e32 v33, 0xffff, v65
	;;#ASMSTART
	v_cvt_f32_f16 v3, v3;
	;;#ASMEND
	;;#ASMSTART
	v_cvt_f32_f16 v9, v9;
	;;#ASMEND
	;; [unrolled: 3-line block ×8, first 2 shown]
	ds_read_b64 v[28:29], v19 offset:96
	v_fmac_f32_e32 v34, v3, v30
	v_fmac_f32_e32 v35, v9, v31
	;; [unrolled: 1-line block ×3, first 2 shown]
	v_fma_mixlo_f16 v3, v27, v10, 0 op_sel:[0,1,0] op_sel_hi:[0,1,0]
	v_and_b32_e32 v27, 0xffff, v40
	v_fmac_f32_e32 v32, v36, v38
	v_and_b32_e32 v30, 0xffff, v48
	s_waitcnt lgkmcnt(0)
	v_and_b32_e32 v41, 0xffff, v28
	v_lshrrev_b32_e32 v28, 16, v28
	;;#ASMSTART
	v_cvt_f32_f16 v41, v41;
	;;#ASMEND
	;;#ASMSTART
	v_cvt_f32_f16 v42, v28;
	;;#ASMEND
	v_and_b32_e32 v28, 0xffff, v76
	v_and_b32_e32 v44, 0xffff, v29
	v_lshrrev_b32_e32 v29, 16, v29
	;;#ASMSTART
	v_cvt_f32_f16 v43, v43;
	;;#ASMEND
	;;#ASMSTART
	v_cvt_f32_f16 v39, v28;
	;;#ASMEND
	;; [unrolled: 3-line block ×6, first 2 shown]
	ds_read_b64 v[28:29], v19 offset:104
	v_fmac_f32_e32 v34, v41, v43
	v_fmac_f32_e32 v35, v42, v39
	;; [unrolled: 1-line block ×4, first 2 shown]
	s_waitcnt lgkmcnt(0)
	v_and_b32_e32 v9, 0xffff, v28
	v_lshrrev_b32_e32 v10, 16, v28
	v_and_b32_e32 v28, 0xffff, v11
	;;#ASMSTART
	v_cvt_f32_f16 v9, v9;
	;;#ASMEND
	;;#ASMSTART
	v_cvt_f32_f16 v10, v10;
	;;#ASMEND
	;; [unrolled: 3-line block ×4, first 2 shown]
	v_and_b32_e32 v28, 0xffff, v29
	v_fmac_f32_e32 v34, v9, v11
	;;#ASMSTART
	v_cvt_f32_f16 v9, v28;
	;;#ASMEND
	v_lshrrev_b32_e32 v29, 16, v29
	v_fmac_f32_e32 v35, v10, v27
	;;#ASMSTART
	v_cvt_f32_f16 v10, v29;
	;;#ASMEND
	;;#ASMSTART
	v_cvt_f32_f16 v11, v30;
	;;#ASMEND
	v_fmac_f32_e32 v72, v9, v11
	v_xor_b32_e32 v9, 1, v16
	v_and_b32_e32 v27, 0xffff, v3
	v_add_f32_e32 v3, v34, v35
	;;#ASMSTART
	v_cvt_f32_f16 v11, v27;
	;;#ASMEND
	v_fmac_f32_e32 v32, v10, v11
	v_cmp_gt_i32_e64 s2, 32, v9
	v_add_f32_e32 v3, v3, v72
	v_cndmask_b32_e64 v9, v16, v9, s2
	v_add_f32_e32 v3, v32, v3
	v_lshlrev_b32_e32 v9, 2, v9
	ds_bpermute_b32 v9, v9, v3
	s_and_saveexec_b32 s3, vcc_lo
	s_cbranch_execz .LBB294_9
; %bb.459:                              ;   in Loop: Header=BB294_10 Depth=1
	v_add_nc_u32_e32 v10, s4, v20
	s_waitcnt lgkmcnt(0)
	v_add_f32_e32 v3, v3, v9
	v_cmp_gt_i32_e64 s2, s27, v20
	v_cvt_f32_i32_e32 v10, v10
	v_mul_f32_e32 v10, s36, v10
	v_cndmask_b32_e64 v9, 0, v10, s1
	v_max_f32_e32 v10, v18, v18
	v_fmac_f32_e32 v9, s37, v3
	v_max_f32_e32 v3, v10, v9
	v_cndmask_b32_e64 v9, 0, v9, s2
	v_cndmask_b32_e64 v18, v18, v3, s2
	ds_write_b32 v21, v9
	s_branch .LBB294_9
.LBB294_460:
	s_or_b32 exec_lo, exec_lo, s5
.LBB294_461:
	s_or_b32 exec_lo, exec_lo, s38
	v_xor_b32_e32 v3, 16, v16
	v_xor_b32_e32 v5, 8, v16
	v_max_f32_e32 v8, v18, v18
	s_waitcnt lgkmcnt(0)
	v_xor_b32_e32 v9, 2, v16
	v_cmp_lt_i32_e32 vcc_lo, v3, v17
	v_cndmask_b32_e32 v3, v16, v3, vcc_lo
	v_cmp_lt_i32_e32 vcc_lo, v5, v17
	v_lshlrev_b32_e32 v6, 2, v3
	v_cndmask_b32_e32 v5, v16, v5, vcc_lo
	ds_bpermute_b32 v3, v6, v18
	v_lshlrev_b32_e32 v7, 2, v5
	v_and_b32_e32 v18, 31, v0
	s_waitcnt lgkmcnt(0)
	v_max_f32_e32 v3, v3, v3
	v_max_f32_e32 v3, v8, v3
	v_xor_b32_e32 v8, 4, v16
	ds_bpermute_b32 v5, v7, v3
	v_cmp_lt_i32_e32 vcc_lo, v8, v17
	v_cndmask_b32_e32 v8, v16, v8, vcc_lo
	v_cmp_lt_i32_e32 vcc_lo, v9, v17
	v_lshlrev_b32_e32 v8, 2, v8
	v_cndmask_b32_e32 v9, v16, v9, vcc_lo
	v_cmp_eq_u32_e32 vcc_lo, 0, v18
	s_waitcnt lgkmcnt(0)
	v_max_f32_e32 v5, v5, v5
	v_max_f32_e32 v3, v3, v5
	ds_bpermute_b32 v5, v8, v3
	s_waitcnt lgkmcnt(0)
	v_max_f32_e32 v5, v5, v5
	v_max_f32_e32 v3, v3, v5
	v_lshlrev_b32_e32 v5, 2, v9
	v_lshlrev_b32_e32 v9, 2, v14
	ds_bpermute_b32 v10, v5, v3
	s_and_saveexec_b32 s1, vcc_lo
	s_cbranch_execz .LBB294_463
; %bb.462:
	s_waitcnt lgkmcnt(0)
	v_max_f32_e32 v10, v10, v10
	v_max_f32_e32 v3, v3, v3
	v_max_f32_e32 v3, v3, v10
	ds_write_b32 v9, v3 offset:224
.LBB294_463:
	s_or_b32 exec_lo, exec_lo, s1
	v_cmp_gt_u32_e64 s1, 4, v18
	v_mov_b32_e32 v3, 0xff7fffff
	s_waitcnt lgkmcnt(0)
	v_lshlrev_b32_e32 v10, 2, v18
	s_barrier
	buffer_gl0_inv
	s_and_saveexec_b32 s2, s1
; %bb.464:
	ds_read_b32 v3, v10 offset:224
; %bb.465:
	s_or_b32 exec_lo, exec_lo, s2
	s_waitcnt lgkmcnt(0)
	ds_bpermute_b32 v11, v5, v3
	v_xor_b32_e32 v19, 1, v16
	v_max_f32_e32 v3, v3, v3
	v_lshlrev_b32_e32 v4, 2, v4
	v_cmp_lt_i32_e64 s2, v19, v17
	v_cndmask_b32_e64 v17, v16, v19, s2
	s_sub_i32 s2, s11, s19
	s_lshl_b32 s2, s2, 4
	v_lshlrev_b32_e32 v17, 2, v17
	s_add_i32 s2, s2, s33
	s_min_i32 s2, s2, s27
	s_waitcnt lgkmcnt(0)
	v_max_f32_e32 v11, v11, v11
	s_sub_i32 s4, s2, s33
	v_cmp_gt_i32_e64 s2, s4, v0
	v_max_f32_e32 v3, v3, v11
	ds_bpermute_b32 v11, v17, v3
	s_waitcnt lgkmcnt(0)
	v_max_f32_e32 v11, v11, v11
	v_max_f32_e32 v3, v3, v11
	v_mov_b32_e32 v11, 0
	ds_bpermute_b32 v3, v4, v3
	v_lshl_add_u32 v4, v0, 2, 0x100
	s_and_saveexec_b32 s5, s2
	s_cbranch_execz .LBB294_469
; %bb.466:
	v_lshl_add_u32 v19, v0, 2, 0x100
	v_mov_b32_e32 v11, 0
	v_mov_b32_e32 v20, v0
	s_mov_b32 s12, 0
	.p2align	6
.LBB294_467:                            ; =>This Inner Loop Header: Depth=1
	ds_read_b32 v21, v19
	v_add_nc_u32_e32 v20, 0x80, v20
	v_cmp_le_i32_e64 s3, s4, v20
	s_or_b32 s12, s3, s12
	s_waitcnt lgkmcnt(0)
	v_sub_f32_e32 v21, v21, v3
	v_mul_f32_e32 v21, 0x3fb8aa3b, v21
	v_exp_f32_e32 v21, v21
	ds_write_b32 v19, v21
	v_add_f32_e32 v11, v11, v21
	v_add_nc_u32_e32 v19, 0x200, v19
	s_andn2_b32 exec_lo, exec_lo, s12
	s_cbranch_execnz .LBB294_467
; %bb.468:
	s_or_b32 exec_lo, exec_lo, s12
.LBB294_469:
	s_or_b32 exec_lo, exec_lo, s5
	ds_bpermute_b32 v6, v6, v11
	s_waitcnt lgkmcnt(0)
	v_add_f32_e32 v6, v11, v6
	ds_bpermute_b32 v7, v7, v6
	s_waitcnt lgkmcnt(0)
	v_add_f32_e32 v6, v6, v7
	;; [unrolled: 3-line block ×5, first 2 shown]
	s_and_saveexec_b32 s3, vcc_lo
; %bb.470:
	ds_write_b32 v9, v6 offset:240
; %bb.471:
	s_or_b32 exec_lo, exec_lo, s3
	s_waitcnt lgkmcnt(0)
	s_barrier
	buffer_gl0_inv
	s_and_saveexec_b32 s3, s1
; %bb.472:
	ds_read_b32 v6, v10 offset:240
; %bb.473:
	s_or_b32 exec_lo, exec_lo, s3
	s_waitcnt lgkmcnt(0)
	ds_bpermute_b32 v5, v5, v6
	v_lshlrev_b32_e32 v7, 2, v16
	s_waitcnt lgkmcnt(0)
	v_add_f32_e32 v5, v6, v5
	ds_bpermute_b32 v6, v17, v5
	s_waitcnt lgkmcnt(0)
	v_add_f32_e32 v5, v5, v6
	v_and_b32_e32 v6, 0xffffff80, v7
	ds_bpermute_b32 v5, v6, v5
	s_and_saveexec_b32 s1, s2
	s_cbranch_execz .LBB294_476
; %bb.474:
	s_waitcnt lgkmcnt(0)
	v_add_f32_e32 v6, 0x358637bd, v5
	s_mov_b32 s2, 0
	v_div_scale_f32 v7, null, v6, v6, 1.0
	v_div_scale_f32 v10, vcc_lo, 1.0, v6, 1.0
	v_rcp_f32_e32 v8, v7
	v_fma_f32 v9, -v7, v8, 1.0
	v_fmac_f32_e32 v8, v9, v8
	v_mul_f32_e32 v9, v10, v8
	v_fma_f32 v11, -v7, v9, v10
	v_fmac_f32_e32 v9, v11, v8
	v_fma_f32 v7, -v7, v9, v10
	v_div_fmas_f32 v7, v7, v8, v9
	v_div_fixup_f32 v6, v7, v6, 1.0
	v_mov_b32_e32 v7, v0
.LBB294_475:                            ; =>This Inner Loop Header: Depth=1
	ds_read_b32 v8, v4
	v_add_nc_u32_e32 v7, 0x80, v7
	v_cmp_le_i32_e32 vcc_lo, s4, v7
	s_or_b32 s2, vcc_lo, s2
	s_waitcnt lgkmcnt(0)
	v_mul_f32_e32 v8, v6, v8
	ds_write_b32 v4, v8
	v_add_nc_u32_e32 v4, 0x200, v4
	s_andn2_b32 exec_lo, exec_lo, s2
	s_cbranch_execnz .LBB294_475
.LBB294_476:
	s_or_b32 exec_lo, exec_lo, s1
	s_mul_i32 s1, s7, s26
	s_waitcnt lgkmcnt(0)
	s_mul_i32 s2, s1, s9
	s_mov_b32 s1, exec_lo
	s_barrier
	buffer_gl0_inv
	v_cmpx_eq_u32_e32 0, v0
	s_cbranch_execz .LBB294_478
; %bb.477:
	s_ashr_i32 s3, s2, 31
	s_mul_i32 s12, s7, s6
	s_lshl_b64 s[4:5], s[2:3], 2
	v_mov_b32_e32 v4, 0
	s_add_u32 s3, s22, s4
	s_addc_u32 s6, s23, s5
	s_ashr_i32 s13, s12, 31
	s_lshl_b64 s[12:13], s[12:13], 2
	s_add_u32 s3, s3, s12
	s_addc_u32 s6, s6, s13
	s_ashr_i32 s9, s8, 31
	s_lshl_b64 s[22:23], s[8:9], 2
	s_add_u32 s36, s3, s22
	s_addc_u32 s37, s6, s23
	s_add_u32 s3, s20, s4
	s_addc_u32 s4, s21, s5
	;; [unrolled: 2-line block ×4, first 2 shown]
	global_store_dword v4, v3, s[36:37]
	global_store_dword v4, v5, s[4:5]
.LBB294_478:
	s_or_b32 exec_lo, exec_lo, s1
	v_mov_b32_e32 v23, 0
	v_mov_b32_e32 v24, 0
	;; [unrolled: 1-line block ×7, first 2 shown]
	s_and_saveexec_b32 s1, s0
	s_cbranch_execz .LBB294_944
; %bb.479:
	v_and_b32_e32 v6, 8, v15
	v_lshlrev_b32_e32 v4, 5, v13
	v_and_b32_e32 v5, 0xf8, v15
	v_lshl_add_u32 v7, v14, 4, s33
	s_ashr_i32 s0, s18, 31
	s_add_u32 s4, s34, s18
	s_addc_u32 s0, s35, s0
	v_lshl_or_b32 v8, v14, 6, v4
	v_add_co_u32 v4, s4, s4, v5
	v_add3_u32 v15, v7, v6, 7
	v_lshlrev_b64 v[6:7], 2, v[1:2]
	v_add_co_ci_u32_e64 v5, null, s0, 0, s4
	s_lshl_b64 s[4:5], s[30:31], 2
	s_add_i32 s16, s16, -1
	s_add_u32 s0, s28, s4
	s_addc_u32 s4, s29, s5
	v_add_co_u32 v6, vcc_lo, s0, v6
	v_mov_b32_e32 v3, 0
	v_add_nc_u32_e32 v25, 0x100, v8
	v_add_co_ci_u32_e64 v7, null, s4, v7, vcc_lo
	v_mov_b32_e32 v26, 0x80
	v_mov_b32_e32 v27, 0x7f
	;; [unrolled: 1-line block ×11, first 2 shown]
	s_mov_b32 s4, -1
	s_mov_b32 s3, s17
	s_mov_b32 s5, 0xffffff
	;; [unrolled: 1-line block ×3, first 2 shown]
	s_branch .LBB294_481
.LBB294_480:                            ;   in Loop: Header=BB294_481 Depth=1
	s_or_b32 exec_lo, exec_lo, s0
	v_add_f32_e32 v10, v10, v11
	v_add_f32_e32 v11, v49, v50
	v_add_nc_u32_e32 v1, 4, v1
	v_add_f32_e32 v30, v47, v48
	v_add_co_u32 v6, s0, v6, 16
	v_add_f32_e32 v19, v19, v10
	;;#ASMSTART
	v_pk_mul_f16 v10, v41, v51;

	;;#ASMEND
	;;#ASMSTART
	v_pk_mul_f16 v2, v39, v2;

	;;#ASMEND
	;; [unrolled: 4-line block ×4, first 2 shown]
	;;#ASMSTART
	v_pk_add_f16 v2, v10, v2;

	;;#ASMEND
	;;#ASMSTART
	v_pk_add_f16 v2, v2, v9;

	;;#ASMEND
	;; [unrolled: 4-line block ×3, first 2 shown]
	v_and_b32_e32 v10, 0xffff, v2
	v_add_f32_e32 v20, v20, v11
	v_lshrrev_b32_e32 v11, 16, v2
	;;#ASMSTART
	v_cvt_f32_f16 v10, v10;
	;;#ASMEND
	v_add_f32_e32 v2, v45, v46
	v_add_f32_e32 v8, v43, v44
	;; [unrolled: 1-line block ×3, first 2 shown]
	;;#ASMSTART
	v_cvt_f32_f16 v11, v11;
	;;#ASMEND
	v_add_f32_e32 v10, v10, v11
	v_cmp_le_i32_e32 vcc_lo, s11, v1
	v_add_f32_e32 v21, v21, v30
	v_add_f32_e32 v22, v22, v2
	;; [unrolled: 1-line block ×5, first 2 shown]
	v_add_nc_u32_e32 v15, 64, v15
	v_add_nc_u32_e32 v25, 0x100, v25
	v_add_co_ci_u32_e64 v7, null, 0, v7, s0
	s_or_b32 s6, vcc_lo, s6
	s_andn2_b32 exec_lo, exec_lo, s6
	s_cbranch_execz .LBB294_943
.LBB294_481:                            ; =>This Inner Loop Header: Depth=1
	global_load_dword v2, v[6:7], off
	ds_read2_b64 v[30:33], v25 offset1:1
	ds_read2_b64 v[43:46], v25 offset0:2 offset1:3
	s_waitcnt lgkmcnt(1)
	;;#ASMSTART
	v_cvt_f16_f32 v37, v30;

	;;#ASMEND
	;;#ASMSTART
	v_cvt_f16_f32 v38, v31;

	;;#ASMEND
	;; [unrolled: 4-line block ×4, first 2 shown]
	s_waitcnt lgkmcnt(0)
	;;#ASMSTART
	v_cvt_f16_f32 v43, v43;

	;;#ASMEND
	;;#ASMSTART
	v_cvt_f16_f32 v40, v44;

	;;#ASMEND
	;; [unrolled: 4-line block ×4, first 2 shown]
	v_mov_b32_e32 v32, 0
	s_waitcnt vmcnt(0)
	v_mad_i64_i32 v[8:9], null, v2, s3, v[4:5]
	global_load_dwordx2 v[10:11], v[8:9], off
	global_load_dword v31, v3, s[14:15]
	s_waitcnt vmcnt(1)
	v_cmp_ne_u16_sdwa s9, v10, v3 src0_sel:BYTE_0 src1_sel:DWORD
	s_and_saveexec_b32 s0, s9
	s_cbranch_execz .LBB294_489
; %bb.482:                              ;   in Loop: Header=BB294_481 Depth=1
	v_cmp_ne_u16_sdwa s12, v10, v26 src0_sel:BYTE_0 src1_sel:DWORD
	v_mov_b32_e32 v32, 0x8000
	s_and_saveexec_b32 s9, s12
	s_cbranch_execz .LBB294_488
; %bb.483:                              ;   in Loop: Header=BB294_481 Depth=1
	v_and_b32_e32 v33, 0x7f, v10
	v_mov_b32_e32 v32, 0x7c01
	s_mov_b32 s12, exec_lo
	v_cmpx_ne_u32_e32 0x7f, v33
	s_cbranch_execz .LBB294_487
; %bb.484:                              ;   in Loop: Header=BB294_481 Depth=1
	v_and_b32_e32 v2, 7, v10
	v_lshrrev_b32_e32 v30, 3, v33
	s_mov_b32 s13, exec_lo
	v_cmpx_gt_u32_e32 8, v33
; %bb.485:                              ;   in Loop: Header=BB294_481 Depth=1
	v_ffbh_u32_e32 v2, v2
	v_min_u32_e32 v2, 32, v2
	v_subrev_nc_u32_e32 v30, 28, v2
	v_lshlrev_b64 v[32:33], v30, v[10:11]
	v_sub_nc_u32_e32 v30, 29, v2
	v_and_b32_e32 v2, 7, v32
; %bb.486:                              ;   in Loop: Header=BB294_481 Depth=1
	s_or_b32 exec_lo, exec_lo, s13
	v_lshlrev_b32_e32 v32, 8, v10
	v_lshl_add_u32 v30, v30, 10, 0x2000
	v_lshlrev_b32_e32 v2, 7, v2
	v_and_b32_e32 v32, 0x8000, v32
	v_and_b32_e32 v30, 0xfc00, v30
	v_or3_b32 v32, v32, v30, v2
.LBB294_487:                            ;   in Loop: Header=BB294_481 Depth=1
	s_or_b32 exec_lo, exec_lo, s12
.LBB294_488:                            ;   in Loop: Header=BB294_481 Depth=1
	s_or_b32 exec_lo, exec_lo, s9
.LBB294_489:                            ;   in Loop: Header=BB294_481 Depth=1
	s_or_b32 exec_lo, exec_lo, s0
	v_lshrrev_b16 v2, 8, v10
	v_mov_b32_e32 v30, 0
	v_mov_b32_e32 v33, 0
	s_mov_b32 s0, exec_lo
	v_cmpx_ne_u16_e32 0, v2
	s_cbranch_execz .LBB294_497
; %bb.490:                              ;   in Loop: Header=BB294_481 Depth=1
	v_bfrev_b32_e32 v33, 1
	s_mov_b32 s9, exec_lo
	v_cmpx_ne_u16_e32 0x80, v2
	s_cbranch_execz .LBB294_496
; %bb.491:                              ;   in Loop: Header=BB294_481 Depth=1
	v_and_b32_sdwa v35, v2, v27 dst_sel:DWORD dst_unused:UNUSED_PAD src0_sel:WORD_0 src1_sel:DWORD
	v_mov_b32_e32 v33, 0x7c010000
	s_mov_b32 s12, exec_lo
	v_cmpx_ne_u32_e32 0x7f, v35
	s_cbranch_execz .LBB294_495
; %bb.492:                              ;   in Loop: Header=BB294_481 Depth=1
	v_and_b32_sdwa v33, v2, v28 dst_sel:DWORD dst_unused:UNUSED_PAD src0_sel:WORD_0 src1_sel:DWORD
	v_lshrrev_b32_e32 v34, 3, v35
	s_mov_b32 s13, exec_lo
	v_cmpx_gt_u32_e32 8, v35
; %bb.493:                              ;   in Loop: Header=BB294_481 Depth=1
	v_ffbh_u32_e32 v33, v33
	v_min_u32_e32 v35, 32, v33
	v_subrev_nc_u32_e32 v33, 28, v35
	v_lshlrev_b64 v[33:34], v33, v[2:3]
	v_sub_nc_u32_e32 v34, 29, v35
	v_and_b32_e32 v33, 7, v33
; %bb.494:                              ;   in Loop: Header=BB294_481 Depth=1
	s_or_b32 exec_lo, exec_lo, s13
	v_lshlrev_b32_sdwa v2, v29, v2 dst_sel:DWORD dst_unused:UNUSED_PAD src0_sel:DWORD src1_sel:WORD_0
	v_lshl_add_u32 v34, v34, 10, 0x2000
	v_lshlrev_b32_e32 v33, 23, v33
	v_and_or_b32 v2, 0x8000, v2, v34
	v_lshl_or_b32 v33, v2, 16, v33
.LBB294_495:                            ;   in Loop: Header=BB294_481 Depth=1
	s_or_b32 exec_lo, exec_lo, s12
.LBB294_496:                            ;   in Loop: Header=BB294_481 Depth=1
	s_or_b32 exec_lo, exec_lo, s9
.LBB294_497:                            ;   in Loop: Header=BB294_481 Depth=1
	s_or_b32 exec_lo, exec_lo, s0
	v_lshrrev_b32_e32 v2, 16, v10
	v_cmp_ne_u16_sdwa s9, v2, v3 src0_sel:BYTE_0 src1_sel:DWORD
	s_and_saveexec_b32 s0, s9
	s_cbranch_execz .LBB294_505
; %bb.498:                              ;   in Loop: Header=BB294_481 Depth=1
	v_cmp_ne_u16_sdwa s12, v2, v26 src0_sel:BYTE_0 src1_sel:DWORD
	v_mov_b32_e32 v30, 0x8000
	s_and_saveexec_b32 s9, s12
	s_cbranch_execz .LBB294_504
; %bb.499:                              ;   in Loop: Header=BB294_481 Depth=1
	v_bfe_u32 v35, v10, 16, 7
	v_mov_b32_e32 v30, 0x7c01
	s_mov_b32 s12, exec_lo
	v_cmpx_ne_u32_e32 0x7f, v35
	s_cbranch_execz .LBB294_503
; %bb.500:                              ;   in Loop: Header=BB294_481 Depth=1
	v_and_b32_e32 v30, 7, v2
	v_lshrrev_b32_e32 v34, 3, v35
	s_mov_b32 s13, exec_lo
	v_cmpx_gt_u32_e32 8, v35
; %bb.501:                              ;   in Loop: Header=BB294_481 Depth=1
	v_ffbh_u32_e32 v30, v30
	v_min_u32_e32 v30, 32, v30
	v_subrev_nc_u32_e32 v34, 28, v30
	v_lshlrev_b64 v[35:36], v34, v[2:3]
	v_sub_nc_u32_e32 v34, 29, v30
	v_and_b32_e32 v30, 7, v35
; %bb.502:                              ;   in Loop: Header=BB294_481 Depth=1
	s_or_b32 exec_lo, exec_lo, s13
	v_lshlrev_b32_e32 v2, 8, v2
	v_lshl_add_u32 v34, v34, 10, 0x2000
	v_lshlrev_b32_e32 v30, 7, v30
	v_and_b32_e32 v2, 0x8000, v2
	v_and_b32_e32 v34, 0xfc00, v34
	v_or3_b32 v30, v2, v34, v30
.LBB294_503:                            ;   in Loop: Header=BB294_481 Depth=1
	s_or_b32 exec_lo, exec_lo, s12
.LBB294_504:                            ;   in Loop: Header=BB294_481 Depth=1
	s_or_b32 exec_lo, exec_lo, s9
.LBB294_505:                            ;   in Loop: Header=BB294_481 Depth=1
	s_or_b32 exec_lo, exec_lo, s0
	v_mov_b32_e32 v34, 0
	v_mov_b32_e32 v35, 0
	s_mov_b32 s0, exec_lo
	v_cmpx_lt_u32_e32 0xffffff, v10
	s_cbranch_execz .LBB294_513
; %bb.506:                              ;   in Loop: Header=BB294_481 Depth=1
	v_lshrrev_b32_e32 v2, 24, v10
	v_bfrev_b32_e32 v35, 1
	s_mov_b32 s9, exec_lo
	v_cmpx_ne_u32_e32 0x80, v2
	s_cbranch_execz .LBB294_512
; %bb.507:                              ;   in Loop: Header=BB294_481 Depth=1
	v_and_b32_e32 v45, 0x7f, v2
	v_mov_b32_e32 v35, 0x7c010000
	s_mov_b32 s12, exec_lo
	v_cmpx_ne_u32_e32 0x7f, v45
	s_cbranch_execz .LBB294_511
; %bb.508:                              ;   in Loop: Header=BB294_481 Depth=1
	v_and_b32_e32 v35, 7, v2
	v_lshrrev_b32_e32 v36, 3, v45
	s_mov_b32 s13, exec_lo
	v_cmpx_gt_u32_e32 8, v45
; %bb.509:                              ;   in Loop: Header=BB294_481 Depth=1
	v_ffbh_u32_e32 v35, v35
	v_min_u32_e32 v45, 32, v35
	v_subrev_nc_u32_e32 v35, 28, v45
	v_lshlrev_b64 v[35:36], v35, v[2:3]
	v_sub_nc_u32_e32 v36, 29, v45
	v_and_b32_e32 v35, 7, v35
; %bb.510:                              ;   in Loop: Header=BB294_481 Depth=1
	s_or_b32 exec_lo, exec_lo, s13
	v_lshlrev_b32_e32 v2, 8, v2
	v_lshl_add_u32 v36, v36, 10, 0x2000
	v_lshlrev_b32_e32 v35, 23, v35
	v_and_or_b32 v2, 0x8000, v2, v36
	v_lshl_or_b32 v35, v2, 16, v35
.LBB294_511:                            ;   in Loop: Header=BB294_481 Depth=1
	s_or_b32 exec_lo, exec_lo, s12
.LBB294_512:                            ;   in Loop: Header=BB294_481 Depth=1
	s_or_b32 exec_lo, exec_lo, s9
.LBB294_513:                            ;   in Loop: Header=BB294_481 Depth=1
	s_or_b32 exec_lo, exec_lo, s0
	v_mov_b32_e32 v2, v11
	v_cmp_ne_u16_sdwa s9, v11, v3 src0_sel:BYTE_0 src1_sel:DWORD
	s_and_saveexec_b32 s0, s9
	s_cbranch_execz .LBB294_521
; %bb.514:                              ;   in Loop: Header=BB294_481 Depth=1
	v_cmp_ne_u16_sdwa s12, v11, v26 src0_sel:BYTE_0 src1_sel:DWORD
	v_mov_b32_e32 v34, 0x8000
	s_and_saveexec_b32 s9, s12
	s_cbranch_execz .LBB294_520
; %bb.515:                              ;   in Loop: Header=BB294_481 Depth=1
	v_and_b32_e32 v45, 0x7f, v11
	v_mov_b32_e32 v34, 0x7c01
	s_mov_b32 s12, exec_lo
	v_cmpx_ne_u32_e32 0x7f, v45
	s_cbranch_execz .LBB294_519
; %bb.516:                              ;   in Loop: Header=BB294_481 Depth=1
	v_and_b32_e32 v34, 7, v11
	v_lshrrev_b32_e32 v36, 3, v45
	s_mov_b32 s13, exec_lo
	v_cmpx_gt_u32_e32 8, v45
; %bb.517:                              ;   in Loop: Header=BB294_481 Depth=1
	v_ffbh_u32_e32 v34, v34
	v_min_u32_e32 v34, 32, v34
	v_subrev_nc_u32_e32 v36, 28, v34
	v_lshlrev_b64 v[45:46], v36, v[2:3]
	v_sub_nc_u32_e32 v36, 29, v34
	v_and_b32_e32 v34, 7, v45
; %bb.518:                              ;   in Loop: Header=BB294_481 Depth=1
	s_or_b32 exec_lo, exec_lo, s13
	v_lshlrev_b32_e32 v45, 8, v11
	v_lshl_add_u32 v36, v36, 10, 0x2000
	v_lshlrev_b32_e32 v34, 7, v34
	v_and_b32_e32 v45, 0x8000, v45
	v_and_b32_e32 v36, 0xfc00, v36
	v_or3_b32 v34, v45, v36, v34
.LBB294_519:                            ;   in Loop: Header=BB294_481 Depth=1
	s_or_b32 exec_lo, exec_lo, s12
.LBB294_520:                            ;   in Loop: Header=BB294_481 Depth=1
	s_or_b32 exec_lo, exec_lo, s9
.LBB294_521:                            ;   in Loop: Header=BB294_481 Depth=1
	s_or_b32 exec_lo, exec_lo, s0
	v_lshrrev_b16 v2, 8, v2
	v_mov_b32_e32 v45, 0
	v_mov_b32_e32 v36, 0
	s_mov_b32 s0, exec_lo
	v_cmpx_ne_u16_e32 0, v2
	s_cbranch_execz .LBB294_529
; %bb.522:                              ;   in Loop: Header=BB294_481 Depth=1
	v_bfrev_b32_e32 v36, 1
	s_mov_b32 s9, exec_lo
	v_cmpx_ne_u16_e32 0x80, v2
	s_cbranch_execz .LBB294_528
; %bb.523:                              ;   in Loop: Header=BB294_481 Depth=1
	v_and_b32_sdwa v47, v2, v27 dst_sel:DWORD dst_unused:UNUSED_PAD src0_sel:WORD_0 src1_sel:DWORD
	v_mov_b32_e32 v36, 0x7c010000
	s_mov_b32 s12, exec_lo
	v_cmpx_ne_u32_e32 0x7f, v47
	s_cbranch_execz .LBB294_527
; %bb.524:                              ;   in Loop: Header=BB294_481 Depth=1
	v_and_b32_sdwa v36, v2, v28 dst_sel:DWORD dst_unused:UNUSED_PAD src0_sel:WORD_0 src1_sel:DWORD
	v_lshrrev_b32_e32 v46, 3, v47
	s_mov_b32 s13, exec_lo
	v_cmpx_gt_u32_e32 8, v47
; %bb.525:                              ;   in Loop: Header=BB294_481 Depth=1
	v_ffbh_u32_e32 v36, v36
	v_min_u32_e32 v36, 32, v36
	v_subrev_nc_u32_e32 v46, 28, v36
	v_lshlrev_b64 v[47:48], v46, v[2:3]
	v_sub_nc_u32_e32 v46, 29, v36
	v_and_b32_e32 v36, 7, v47
; %bb.526:                              ;   in Loop: Header=BB294_481 Depth=1
	s_or_b32 exec_lo, exec_lo, s13
	v_lshlrev_b32_sdwa v2, v29, v2 dst_sel:DWORD dst_unused:UNUSED_PAD src0_sel:DWORD src1_sel:WORD_0
	v_lshl_add_u32 v46, v46, 10, 0x2000
	v_lshlrev_b32_e32 v36, 23, v36
	v_and_or_b32 v2, 0x8000, v2, v46
	v_lshl_or_b32 v36, v2, 16, v36
.LBB294_527:                            ;   in Loop: Header=BB294_481 Depth=1
	s_or_b32 exec_lo, exec_lo, s12
.LBB294_528:                            ;   in Loop: Header=BB294_481 Depth=1
	s_or_b32 exec_lo, exec_lo, s9
.LBB294_529:                            ;   in Loop: Header=BB294_481 Depth=1
	s_or_b32 exec_lo, exec_lo, s0
	v_lshrrev_b32_e32 v2, 16, v11
	v_cmp_ne_u16_sdwa s9, v2, v3 src0_sel:BYTE_0 src1_sel:DWORD
	s_and_saveexec_b32 s0, s9
	s_cbranch_execz .LBB294_537
; %bb.530:                              ;   in Loop: Header=BB294_481 Depth=1
	v_cmp_ne_u16_sdwa s12, v2, v26 src0_sel:BYTE_0 src1_sel:DWORD
	v_mov_b32_e32 v45, 0x8000
	s_and_saveexec_b32 s9, s12
	s_cbranch_execz .LBB294_536
; %bb.531:                              ;   in Loop: Header=BB294_481 Depth=1
	v_bfe_u32 v47, v11, 16, 7
	v_mov_b32_e32 v45, 0x7c01
	s_mov_b32 s12, exec_lo
	v_cmpx_ne_u32_e32 0x7f, v47
	s_cbranch_execz .LBB294_535
; %bb.532:                              ;   in Loop: Header=BB294_481 Depth=1
	v_and_b32_e32 v45, 7, v2
	v_lshrrev_b32_e32 v46, 3, v47
	s_mov_b32 s13, exec_lo
	v_cmpx_gt_u32_e32 8, v47
; %bb.533:                              ;   in Loop: Header=BB294_481 Depth=1
	v_ffbh_u32_e32 v45, v45
	v_min_u32_e32 v47, 32, v45
	v_subrev_nc_u32_e32 v45, 28, v47
	v_lshlrev_b64 v[45:46], v45, v[2:3]
	v_sub_nc_u32_e32 v46, 29, v47
	v_and_b32_e32 v45, 7, v45
; %bb.534:                              ;   in Loop: Header=BB294_481 Depth=1
	s_or_b32 exec_lo, exec_lo, s13
	v_lshlrev_b32_e32 v2, 8, v2
	v_lshl_add_u32 v46, v46, 10, 0x2000
	v_lshlrev_b32_e32 v45, 7, v45
	v_and_b32_e32 v2, 0x8000, v2
	v_and_b32_e32 v46, 0xfc00, v46
	v_or3_b32 v45, v2, v46, v45
.LBB294_535:                            ;   in Loop: Header=BB294_481 Depth=1
	s_or_b32 exec_lo, exec_lo, s12
.LBB294_536:                            ;   in Loop: Header=BB294_481 Depth=1
	s_or_b32 exec_lo, exec_lo, s9
.LBB294_537:                            ;   in Loop: Header=BB294_481 Depth=1
	s_or_b32 exec_lo, exec_lo, s0
	v_cmp_lt_u64_e32 vcc_lo, s[4:5], v[10:11]
	v_mov_b32_e32 v10, 0
	s_and_saveexec_b32 s0, vcc_lo
	s_cbranch_execz .LBB294_545
; %bb.538:                              ;   in Loop: Header=BB294_481 Depth=1
	v_lshrrev_b32_e32 v2, 24, v11
	v_bfrev_b32_e32 v10, 1
	s_mov_b32 s9, exec_lo
	v_cmpx_ne_u32_e32 0x80, v2
	s_cbranch_execz .LBB294_544
; %bb.539:                              ;   in Loop: Header=BB294_481 Depth=1
	v_and_b32_e32 v46, 0x7f, v2
	v_mov_b32_e32 v10, 0x7c010000
	s_mov_b32 s12, exec_lo
	v_cmpx_ne_u32_e32 0x7f, v46
	s_cbranch_execz .LBB294_543
; %bb.540:                              ;   in Loop: Header=BB294_481 Depth=1
	v_and_b32_e32 v10, 7, v2
	v_lshrrev_b32_e32 v11, 3, v46
	s_mov_b32 s13, exec_lo
	v_cmpx_gt_u32_e32 8, v46
; %bb.541:                              ;   in Loop: Header=BB294_481 Depth=1
	v_ffbh_u32_e32 v10, v10
	v_min_u32_e32 v46, 32, v10
	v_subrev_nc_u32_e32 v10, 28, v46
	v_lshlrev_b64 v[10:11], v10, v[2:3]
	v_sub_nc_u32_e32 v11, 29, v46
	v_and_b32_e32 v10, 7, v10
; %bb.542:                              ;   in Loop: Header=BB294_481 Depth=1
	s_or_b32 exec_lo, exec_lo, s13
	v_lshlrev_b32_e32 v2, 8, v2
	v_lshl_add_u32 v11, v11, 10, 0x2000
	v_lshlrev_b32_e32 v10, 23, v10
	v_and_or_b32 v2, 0x8000, v2, v11
	v_lshl_or_b32 v10, v2, 16, v10
.LBB294_543:                            ;   in Loop: Header=BB294_481 Depth=1
	s_or_b32 exec_lo, exec_lo, s12
.LBB294_544:                            ;   in Loop: Header=BB294_481 Depth=1
	s_or_b32 exec_lo, exec_lo, s9
.LBB294_545:                            ;   in Loop: Header=BB294_481 Depth=1
	s_or_b32 exec_lo, exec_lo, s0
	v_or_b32_e32 v2, v35, v30
	s_waitcnt vmcnt(0)
	v_fma_mixlo_f16 v11, v31, v35, 0 op_sel:[0,1,0] op_sel_hi:[0,1,0]
	v_or_b32_e32 v32, v33, v32
	v_fma_mixlo_f16 v33, v31, v33, 0 op_sel:[0,1,0] op_sel_hi:[0,1,0]
	v_or_b32_e32 v34, v36, v34
	v_fma_mixlo_f16 v2, v31, v2, 0 op_sel_hi:[0,1,0]
	v_or_b32_e32 v35, v10, v45
	v_fma_mixlo_f16 v10, v31, v10, 0 op_sel:[0,1,0] op_sel_hi:[0,1,0]
	v_lshlrev_b32_e32 v51, 16, v33
	v_fma_mixlo_f16 v33, v31, v34, 0 op_sel_hi:[0,1,0]
	v_and_b32_e32 v48, 0xffff, v2
	v_fma_mixlo_f16 v2, v31, v32, 0 op_sel_hi:[0,1,0]
	v_fma_mixlo_f16 v32, v31, v36, 0 op_sel:[0,1,0] op_sel_hi:[0,1,0]
	v_fma_mixlo_f16 v31, v31, v35, 0 op_sel_hi:[0,1,0]
	v_lshlrev_b32_e32 v11, 16, v11
	v_and_b32_e32 v52, 0xffff, v33
	v_and_b32_e32 v53, 0xffff, v2
	v_lshlrev_b32_e32 v49, 16, v32
	v_lshlrev_b32_e32 v46, 16, v10
	v_and_b32_e32 v50, 0xffff, v31
	v_add_nc_u32_e32 v30, -7, v15
	v_cmp_eq_u32_e32 vcc_lo, s16, v1
	v_or_b32_e32 v2, v11, v48
	v_or_b32_e32 v10, v51, v53
	;; [unrolled: 1-line block ×4, first 2 shown]
	v_add_nc_u32_e32 v36, -6, v15
	v_add_nc_u32_e32 v35, -5, v15
	;; [unrolled: 1-line block ×6, first 2 shown]
	s_and_saveexec_b32 s9, vcc_lo
	s_cbranch_execz .LBB294_547
; %bb.546:                              ;   in Loop: Header=BB294_481 Depth=1
	v_cmp_gt_i32_e64 s0, s27, v30
	v_cndmask_b32_e64 v2, 0, v53, s0
	v_cmp_gt_i32_e64 s0, s27, v36
	v_cndmask_b32_e64 v10, 0, v51, s0
	v_cmp_gt_i32_e64 s0, s27, v35
	v_or_b32_e32 v10, v10, v2
	v_cndmask_b32_e64 v45, 0, v48, s0
	v_cmp_gt_i32_e64 s0, s27, v34
	v_cndmask_b32_e64 v11, 0, v11, s0
	v_cmp_gt_i32_e64 s0, s27, v33
	v_or_b32_e32 v2, v11, v45
	;; [unrolled: 5-line block ×3, first 2 shown]
	v_cndmask_b32_e64 v49, 0, v50, s0
	v_cmp_gt_i32_e64 s0, s27, v15
	v_cndmask_b32_e64 v46, 0, v46, s0
	v_or_b32_e32 v47, v46, v49
.LBB294_547:                            ;   in Loop: Header=BB294_481 Depth=1
	s_or_b32 exec_lo, exec_lo, s9
	v_and_b32_e32 v11, 0xffff, v37
	v_and_b32_e32 v37, 0xffff, v41
	;; [unrolled: 1-line block ×4, first 2 shown]
	v_lshl_or_b32 v41, v38, 16, v11
	v_lshl_or_b32 v39, v39, 16, v37
	;;#ASMSTART
	v_pk_mul_f16 v10, v41, v10;

	;;#ASMEND
	;;#ASMSTART
	v_pk_mul_f16 v2, v39, v2;

	;;#ASMEND
	v_lshl_or_b32 v38, v40, 16, v43
	v_lshl_or_b32 v37, v42, 16, v44
	;;#ASMSTART
	v_pk_mul_f16 v11, v38, v45;

	;;#ASMEND
	;;#ASMSTART
	v_pk_mul_f16 v40, v37, v47;

	;;#ASMEND
	;;#ASMSTART
	v_pk_add_f16 v2, v10, v2;

	;;#ASMEND
	;;#ASMSTART
	v_pk_add_f16 v2, v2, v11;
	;; [unrolled: 4-line block ×3, first 2 shown]

	;;#ASMEND
	v_and_b32_e32 v10, 0xffff, v2
	v_lshrrev_b32_e32 v2, 16, v2
	;;#ASMSTART
	v_cvt_f32_f16 v40, v10;
	;;#ASMEND
	;;#ASMSTART
	v_cvt_f32_f16 v42, v2;
	;;#ASMEND
	global_load_dwordx2 v[10:11], v[8:9], off offset:256
	v_mov_b32_e32 v44, 0
	v_mov_b32_e32 v45, 0
	global_load_dword v43, v44, s[14:15]
	s_waitcnt vmcnt(1)
	v_cmp_ne_u16_sdwa s0, v10, v3 src0_sel:BYTE_0 src1_sel:DWORD
	s_and_saveexec_b32 s9, s0
	s_cbranch_execz .LBB294_555
; %bb.548:                              ;   in Loop: Header=BB294_481 Depth=1
	v_cmp_ne_u16_sdwa s0, v10, v26 src0_sel:BYTE_0 src1_sel:DWORD
	v_mov_b32_e32 v45, 0x8000
	s_and_saveexec_b32 s12, s0
	s_cbranch_execz .LBB294_554
; %bb.549:                              ;   in Loop: Header=BB294_481 Depth=1
	v_and_b32_e32 v46, 0x7f, v10
	v_mov_b32_e32 v45, 0x7c01
	s_mov_b32 s13, exec_lo
	v_cmpx_ne_u32_e32 0x7f, v46
	s_cbranch_execz .LBB294_553
; %bb.550:                              ;   in Loop: Header=BB294_481 Depth=1
	v_and_b32_e32 v2, 7, v10
	v_lshrrev_b32_e32 v45, 3, v46
	s_mov_b32 s17, exec_lo
	v_cmpx_gt_u32_e32 8, v46
; %bb.551:                              ;   in Loop: Header=BB294_481 Depth=1
	v_ffbh_u32_e32 v2, v2
	v_min_u32_e32 v2, 32, v2
	v_subrev_nc_u32_e32 v45, 28, v2
	v_lshlrev_b64 v[46:47], v45, v[10:11]
	v_sub_nc_u32_e32 v45, 29, v2
	v_and_b32_e32 v2, 7, v46
; %bb.552:                              ;   in Loop: Header=BB294_481 Depth=1
	s_or_b32 exec_lo, exec_lo, s17
	v_lshlrev_b32_e32 v46, 8, v10
	v_lshl_add_u32 v45, v45, 10, 0x2000
	v_lshlrev_b32_e32 v2, 7, v2
	v_and_b32_e32 v46, 0x8000, v46
	v_and_b32_e32 v45, 0xfc00, v45
	v_or3_b32 v45, v46, v45, v2
.LBB294_553:                            ;   in Loop: Header=BB294_481 Depth=1
	s_or_b32 exec_lo, exec_lo, s13
.LBB294_554:                            ;   in Loop: Header=BB294_481 Depth=1
	s_or_b32 exec_lo, exec_lo, s12
.LBB294_555:                            ;   in Loop: Header=BB294_481 Depth=1
	s_or_b32 exec_lo, exec_lo, s9
	v_lshrrev_b16 v2, 8, v10
	s_mov_b32 s9, exec_lo
	v_cmpx_ne_u16_e32 0, v2
	s_cbranch_execz .LBB294_563
; %bb.556:                              ;   in Loop: Header=BB294_481 Depth=1
	v_bfrev_b32_e32 v44, 1
	s_mov_b32 s12, exec_lo
	v_cmpx_ne_u16_e32 0x80, v2
	s_cbranch_execz .LBB294_562
; %bb.557:                              ;   in Loop: Header=BB294_481 Depth=1
	v_and_b32_sdwa v47, v2, v27 dst_sel:DWORD dst_unused:UNUSED_PAD src0_sel:WORD_0 src1_sel:DWORD
	v_mov_b32_e32 v44, 0x7c010000
	s_mov_b32 s13, exec_lo
	v_cmpx_ne_u32_e32 0x7f, v47
	s_cbranch_execz .LBB294_561
; %bb.558:                              ;   in Loop: Header=BB294_481 Depth=1
	v_and_b32_sdwa v44, v2, v28 dst_sel:DWORD dst_unused:UNUSED_PAD src0_sel:WORD_0 src1_sel:DWORD
	v_lshrrev_b32_e32 v46, 3, v47
	s_mov_b32 s17, exec_lo
	v_cmpx_gt_u32_e32 8, v47
; %bb.559:                              ;   in Loop: Header=BB294_481 Depth=1
	v_ffbh_u32_e32 v44, v44
	v_min_u32_e32 v44, 32, v44
	v_subrev_nc_u32_e32 v46, 28, v44
	v_lshlrev_b64 v[47:48], v46, v[2:3]
	v_sub_nc_u32_e32 v46, 29, v44
	v_and_b32_e32 v44, 7, v47
; %bb.560:                              ;   in Loop: Header=BB294_481 Depth=1
	s_or_b32 exec_lo, exec_lo, s17
	v_lshlrev_b32_sdwa v2, v29, v2 dst_sel:DWORD dst_unused:UNUSED_PAD src0_sel:DWORD src1_sel:WORD_0
	v_lshl_add_u32 v46, v46, 10, 0x2000
	v_lshlrev_b32_e32 v44, 23, v44
	v_and_or_b32 v2, 0x8000, v2, v46
	v_lshl_or_b32 v44, v2, 16, v44
.LBB294_561:                            ;   in Loop: Header=BB294_481 Depth=1
	s_or_b32 exec_lo, exec_lo, s13
.LBB294_562:                            ;   in Loop: Header=BB294_481 Depth=1
	s_or_b32 exec_lo, exec_lo, s12
.LBB294_563:                            ;   in Loop: Header=BB294_481 Depth=1
	s_or_b32 exec_lo, exec_lo, s9
	v_lshrrev_b32_e32 v2, 16, v10
	v_mov_b32_e32 v46, 0
	v_mov_b32_e32 v47, 0
	v_cmp_ne_u16_sdwa s0, v2, v3 src0_sel:BYTE_0 src1_sel:DWORD
	s_and_saveexec_b32 s9, s0
	s_cbranch_execz .LBB294_571
; %bb.564:                              ;   in Loop: Header=BB294_481 Depth=1
	v_cmp_ne_u16_sdwa s0, v2, v26 src0_sel:BYTE_0 src1_sel:DWORD
	v_mov_b32_e32 v47, 0x8000
	s_and_saveexec_b32 s12, s0
	s_cbranch_execz .LBB294_570
; %bb.565:                              ;   in Loop: Header=BB294_481 Depth=1
	v_bfe_u32 v49, v10, 16, 7
	v_mov_b32_e32 v47, 0x7c01
	s_mov_b32 s13, exec_lo
	v_cmpx_ne_u32_e32 0x7f, v49
	s_cbranch_execz .LBB294_569
; %bb.566:                              ;   in Loop: Header=BB294_481 Depth=1
	v_and_b32_e32 v47, 7, v2
	v_lshrrev_b32_e32 v48, 3, v49
	s_mov_b32 s17, exec_lo
	v_cmpx_gt_u32_e32 8, v49
; %bb.567:                              ;   in Loop: Header=BB294_481 Depth=1
	v_ffbh_u32_e32 v47, v47
	v_min_u32_e32 v49, 32, v47
	v_subrev_nc_u32_e32 v47, 28, v49
	v_lshlrev_b64 v[47:48], v47, v[2:3]
	v_sub_nc_u32_e32 v48, 29, v49
	v_and_b32_e32 v47, 7, v47
; %bb.568:                              ;   in Loop: Header=BB294_481 Depth=1
	s_or_b32 exec_lo, exec_lo, s17
	v_lshlrev_b32_e32 v2, 8, v2
	v_lshl_add_u32 v48, v48, 10, 0x2000
	v_lshlrev_b32_e32 v47, 7, v47
	v_and_b32_e32 v2, 0x8000, v2
	v_and_b32_e32 v48, 0xfc00, v48
	v_or3_b32 v47, v2, v48, v47
.LBB294_569:                            ;   in Loop: Header=BB294_481 Depth=1
	s_or_b32 exec_lo, exec_lo, s13
.LBB294_570:                            ;   in Loop: Header=BB294_481 Depth=1
	s_or_b32 exec_lo, exec_lo, s12
.LBB294_571:                            ;   in Loop: Header=BB294_481 Depth=1
	s_or_b32 exec_lo, exec_lo, s9
	s_mov_b32 s9, exec_lo
	v_cmpx_lt_u32_e32 0xffffff, v10
	s_cbranch_execz .LBB294_579
; %bb.572:                              ;   in Loop: Header=BB294_481 Depth=1
	v_lshrrev_b32_e32 v2, 24, v10
	v_bfrev_b32_e32 v46, 1
	s_mov_b32 s12, exec_lo
	v_cmpx_ne_u32_e32 0x80, v2
	s_cbranch_execz .LBB294_578
; %bb.573:                              ;   in Loop: Header=BB294_481 Depth=1
	v_and_b32_e32 v49, 0x7f, v2
	v_mov_b32_e32 v46, 0x7c010000
	s_mov_b32 s13, exec_lo
	v_cmpx_ne_u32_e32 0x7f, v49
	s_cbranch_execz .LBB294_577
; %bb.574:                              ;   in Loop: Header=BB294_481 Depth=1
	v_and_b32_e32 v46, 7, v2
	v_lshrrev_b32_e32 v48, 3, v49
	s_mov_b32 s17, exec_lo
	v_cmpx_gt_u32_e32 8, v49
; %bb.575:                              ;   in Loop: Header=BB294_481 Depth=1
	v_ffbh_u32_e32 v46, v46
	v_min_u32_e32 v46, 32, v46
	v_subrev_nc_u32_e32 v48, 28, v46
	v_lshlrev_b64 v[49:50], v48, v[2:3]
	v_sub_nc_u32_e32 v48, 29, v46
	v_and_b32_e32 v46, 7, v49
; %bb.576:                              ;   in Loop: Header=BB294_481 Depth=1
	s_or_b32 exec_lo, exec_lo, s17
	v_lshlrev_b32_e32 v2, 8, v2
	v_lshl_add_u32 v48, v48, 10, 0x2000
	v_lshlrev_b32_e32 v46, 23, v46
	v_and_or_b32 v2, 0x8000, v2, v48
	v_lshl_or_b32 v46, v2, 16, v46
.LBB294_577:                            ;   in Loop: Header=BB294_481 Depth=1
	s_or_b32 exec_lo, exec_lo, s13
.LBB294_578:                            ;   in Loop: Header=BB294_481 Depth=1
	s_or_b32 exec_lo, exec_lo, s12
.LBB294_579:                            ;   in Loop: Header=BB294_481 Depth=1
	s_or_b32 exec_lo, exec_lo, s9
	v_mov_b32_e32 v2, v11
	v_cmp_ne_u16_sdwa s0, v11, v3 src0_sel:BYTE_0 src1_sel:DWORD
	v_mov_b32_e32 v48, 0
	v_mov_b32_e32 v49, 0
	s_and_saveexec_b32 s9, s0
	s_cbranch_execz .LBB294_587
; %bb.580:                              ;   in Loop: Header=BB294_481 Depth=1
	v_cmp_ne_u16_sdwa s0, v11, v26 src0_sel:BYTE_0 src1_sel:DWORD
	v_mov_b32_e32 v49, 0x8000
	s_and_saveexec_b32 s12, s0
	s_cbranch_execz .LBB294_586
; %bb.581:                              ;   in Loop: Header=BB294_481 Depth=1
	v_and_b32_e32 v51, 0x7f, v11
	v_mov_b32_e32 v49, 0x7c01
	s_mov_b32 s13, exec_lo
	v_cmpx_ne_u32_e32 0x7f, v51
	s_cbranch_execz .LBB294_585
; %bb.582:                              ;   in Loop: Header=BB294_481 Depth=1
	v_and_b32_e32 v49, 7, v11
	v_lshrrev_b32_e32 v50, 3, v51
	s_mov_b32 s17, exec_lo
	v_cmpx_gt_u32_e32 8, v51
; %bb.583:                              ;   in Loop: Header=BB294_481 Depth=1
	v_ffbh_u32_e32 v49, v49
	v_min_u32_e32 v51, 32, v49
	v_subrev_nc_u32_e32 v49, 28, v51
	v_lshlrev_b64 v[49:50], v49, v[2:3]
	v_sub_nc_u32_e32 v50, 29, v51
	v_and_b32_e32 v49, 7, v49
; %bb.584:                              ;   in Loop: Header=BB294_481 Depth=1
	s_or_b32 exec_lo, exec_lo, s17
	v_lshlrev_b32_e32 v51, 8, v11
	v_lshl_add_u32 v50, v50, 10, 0x2000
	v_lshlrev_b32_e32 v49, 7, v49
	v_and_b32_e32 v51, 0x8000, v51
	v_and_b32_e32 v50, 0xfc00, v50
	v_or3_b32 v49, v51, v50, v49
.LBB294_585:                            ;   in Loop: Header=BB294_481 Depth=1
	s_or_b32 exec_lo, exec_lo, s13
.LBB294_586:                            ;   in Loop: Header=BB294_481 Depth=1
	s_or_b32 exec_lo, exec_lo, s12
.LBB294_587:                            ;   in Loop: Header=BB294_481 Depth=1
	s_or_b32 exec_lo, exec_lo, s9
	v_lshrrev_b16 v2, 8, v2
	v_mov_b32_e32 v50, 0
	s_mov_b32 s9, exec_lo
	v_cmpx_ne_u16_e32 0, v2
	s_cbranch_execz .LBB294_595
; %bb.588:                              ;   in Loop: Header=BB294_481 Depth=1
	v_bfrev_b32_e32 v50, 1
	s_mov_b32 s12, exec_lo
	v_cmpx_ne_u16_e32 0x80, v2
	s_cbranch_execz .LBB294_594
; %bb.589:                              ;   in Loop: Header=BB294_481 Depth=1
	v_and_b32_sdwa v52, v2, v27 dst_sel:DWORD dst_unused:UNUSED_PAD src0_sel:WORD_0 src1_sel:DWORD
	v_mov_b32_e32 v50, 0x7c010000
	s_mov_b32 s13, exec_lo
	v_cmpx_ne_u32_e32 0x7f, v52
	s_cbranch_execz .LBB294_593
; %bb.590:                              ;   in Loop: Header=BB294_481 Depth=1
	v_and_b32_sdwa v50, v2, v28 dst_sel:DWORD dst_unused:UNUSED_PAD src0_sel:WORD_0 src1_sel:DWORD
	v_lshrrev_b32_e32 v51, 3, v52
	s_mov_b32 s17, exec_lo
	v_cmpx_gt_u32_e32 8, v52
; %bb.591:                              ;   in Loop: Header=BB294_481 Depth=1
	v_ffbh_u32_e32 v50, v50
	v_min_u32_e32 v52, 32, v50
	v_subrev_nc_u32_e32 v50, 28, v52
	v_lshlrev_b64 v[50:51], v50, v[2:3]
	v_sub_nc_u32_e32 v51, 29, v52
	v_and_b32_e32 v50, 7, v50
; %bb.592:                              ;   in Loop: Header=BB294_481 Depth=1
	s_or_b32 exec_lo, exec_lo, s17
	v_lshlrev_b32_sdwa v2, v29, v2 dst_sel:DWORD dst_unused:UNUSED_PAD src0_sel:DWORD src1_sel:WORD_0
	v_lshl_add_u32 v51, v51, 10, 0x2000
	v_lshlrev_b32_e32 v50, 23, v50
	v_and_or_b32 v2, 0x8000, v2, v51
	v_lshl_or_b32 v50, v2, 16, v50
.LBB294_593:                            ;   in Loop: Header=BB294_481 Depth=1
	s_or_b32 exec_lo, exec_lo, s13
.LBB294_594:                            ;   in Loop: Header=BB294_481 Depth=1
	s_or_b32 exec_lo, exec_lo, s12
.LBB294_595:                            ;   in Loop: Header=BB294_481 Depth=1
	s_or_b32 exec_lo, exec_lo, s9
	v_lshrrev_b32_e32 v2, 16, v11
	v_cmp_ne_u16_sdwa s0, v2, v3 src0_sel:BYTE_0 src1_sel:DWORD
	s_and_saveexec_b32 s9, s0
	s_cbranch_execz .LBB294_603
; %bb.596:                              ;   in Loop: Header=BB294_481 Depth=1
	v_cmp_ne_u16_sdwa s0, v2, v26 src0_sel:BYTE_0 src1_sel:DWORD
	v_mov_b32_e32 v48, 0x8000
	s_and_saveexec_b32 s12, s0
	s_cbranch_execz .LBB294_602
; %bb.597:                              ;   in Loop: Header=BB294_481 Depth=1
	v_bfe_u32 v52, v11, 16, 7
	v_mov_b32_e32 v48, 0x7c01
	s_mov_b32 s13, exec_lo
	v_cmpx_ne_u32_e32 0x7f, v52
	s_cbranch_execz .LBB294_601
; %bb.598:                              ;   in Loop: Header=BB294_481 Depth=1
	v_and_b32_e32 v48, 7, v2
	v_lshrrev_b32_e32 v51, 3, v52
	s_mov_b32 s17, exec_lo
	v_cmpx_gt_u32_e32 8, v52
; %bb.599:                              ;   in Loop: Header=BB294_481 Depth=1
	v_ffbh_u32_e32 v48, v48
	v_min_u32_e32 v48, 32, v48
	v_subrev_nc_u32_e32 v51, 28, v48
	v_lshlrev_b64 v[52:53], v51, v[2:3]
	v_sub_nc_u32_e32 v51, 29, v48
	v_and_b32_e32 v48, 7, v52
; %bb.600:                              ;   in Loop: Header=BB294_481 Depth=1
	s_or_b32 exec_lo, exec_lo, s17
	v_lshlrev_b32_e32 v2, 8, v2
	v_lshl_add_u32 v51, v51, 10, 0x2000
	v_lshlrev_b32_e32 v48, 7, v48
	v_and_b32_e32 v2, 0x8000, v2
	v_and_b32_e32 v51, 0xfc00, v51
	v_or3_b32 v48, v2, v51, v48
.LBB294_601:                            ;   in Loop: Header=BB294_481 Depth=1
	s_or_b32 exec_lo, exec_lo, s13
.LBB294_602:                            ;   in Loop: Header=BB294_481 Depth=1
	s_or_b32 exec_lo, exec_lo, s12
.LBB294_603:                            ;   in Loop: Header=BB294_481 Depth=1
	s_or_b32 exec_lo, exec_lo, s9
	v_cmp_lt_u64_e64 s0, s[4:5], v[10:11]
	v_mov_b32_e32 v10, 0
	s_and_saveexec_b32 s9, s0
	s_cbranch_execz .LBB294_611
; %bb.604:                              ;   in Loop: Header=BB294_481 Depth=1
	v_lshrrev_b32_e32 v2, 24, v11
	v_bfrev_b32_e32 v10, 1
	s_mov_b32 s12, exec_lo
	v_cmpx_ne_u32_e32 0x80, v2
	s_cbranch_execz .LBB294_610
; %bb.605:                              ;   in Loop: Header=BB294_481 Depth=1
	v_and_b32_e32 v51, 0x7f, v2
	v_mov_b32_e32 v10, 0x7c010000
	s_mov_b32 s13, exec_lo
	v_cmpx_ne_u32_e32 0x7f, v51
	s_cbranch_execz .LBB294_609
; %bb.606:                              ;   in Loop: Header=BB294_481 Depth=1
	v_and_b32_e32 v10, 7, v2
	v_lshrrev_b32_e32 v11, 3, v51
	s_mov_b32 s17, exec_lo
	v_cmpx_gt_u32_e32 8, v51
; %bb.607:                              ;   in Loop: Header=BB294_481 Depth=1
	v_ffbh_u32_e32 v10, v10
	v_min_u32_e32 v51, 32, v10
	v_subrev_nc_u32_e32 v10, 28, v51
	v_lshlrev_b64 v[10:11], v10, v[2:3]
	v_sub_nc_u32_e32 v11, 29, v51
	v_and_b32_e32 v10, 7, v10
; %bb.608:                              ;   in Loop: Header=BB294_481 Depth=1
	s_or_b32 exec_lo, exec_lo, s17
	v_lshlrev_b32_e32 v2, 8, v2
	v_lshl_add_u32 v11, v11, 10, 0x2000
	v_lshlrev_b32_e32 v10, 23, v10
	v_and_or_b32 v2, 0x8000, v2, v11
	v_lshl_or_b32 v10, v2, 16, v10
.LBB294_609:                            ;   in Loop: Header=BB294_481 Depth=1
	s_or_b32 exec_lo, exec_lo, s13
.LBB294_610:                            ;   in Loop: Header=BB294_481 Depth=1
	s_or_b32 exec_lo, exec_lo, s12
.LBB294_611:                            ;   in Loop: Header=BB294_481 Depth=1
	s_or_b32 exec_lo, exec_lo, s9
	v_or_b32_e32 v2, v46, v47
	s_waitcnt vmcnt(0)
	v_fma_mixlo_f16 v11, v43, v46, 0 op_sel:[0,1,0] op_sel_hi:[0,1,0]
	v_or_b32_e32 v46, v44, v45
	v_fma_mixlo_f16 v44, v43, v44, 0 op_sel:[0,1,0] op_sel_hi:[0,1,0]
	v_or_b32_e32 v47, v50, v49
	v_or_b32_e32 v48, v10, v48
	v_fma_mixlo_f16 v49, v43, v2, 0 op_sel_hi:[0,1,0]
	v_fma_mixlo_f16 v10, v43, v10, 0 op_sel:[0,1,0] op_sel_hi:[0,1,0]
	v_lshlrev_b32_e32 v45, 16, v44
	v_fma_mixlo_f16 v44, v43, v46, 0 op_sel_hi:[0,1,0]
	v_fma_mixlo_f16 v46, v43, v50, 0 op_sel:[0,1,0] op_sel_hi:[0,1,0]
	v_fma_mixlo_f16 v47, v43, v47, 0 op_sel_hi:[0,1,0]
	v_fma_mixlo_f16 v48, v43, v48, 0 op_sel_hi:[0,1,0]
	v_lshlrev_b32_e32 v2, 16, v11
	v_and_b32_e32 v11, 0xffff, v49
	v_and_b32_e32 v51, 0xffff, v44
	v_lshlrev_b32_e32 v43, 16, v46
	v_and_b32_e32 v47, 0xffff, v47
	v_lshlrev_b32_e32 v10, 16, v10
	v_and_b32_e32 v44, 0xffff, v48
	v_or_b32_e32 v46, v2, v11
	v_or_b32_e32 v50, v45, v51
	;; [unrolled: 1-line block ×4, first 2 shown]
	s_and_saveexec_b32 s9, vcc_lo
	s_cbranch_execz .LBB294_613
; %bb.612:                              ;   in Loop: Header=BB294_481 Depth=1
	v_cmp_gt_i32_e64 s0, s27, v30
	v_cndmask_b32_e64 v46, 0, v51, s0
	v_cmp_gt_i32_e64 s0, s27, v36
	v_cndmask_b32_e64 v45, 0, v45, s0
	v_cmp_gt_i32_e64 s0, s27, v35
	v_or_b32_e32 v50, v45, v46
	v_cndmask_b32_e64 v11, 0, v11, s0
	v_cmp_gt_i32_e64 s0, s27, v34
	v_cndmask_b32_e64 v2, 0, v2, s0
	v_cmp_gt_i32_e64 s0, s27, v33
	v_or_b32_e32 v46, v2, v11
	v_cndmask_b32_e64 v47, 0, v47, s0
	v_cmp_gt_i32_e64 s0, s27, v32
	v_cndmask_b32_e64 v43, 0, v43, s0
	v_cmp_gt_i32_e64 s0, s27, v31
	v_or_b32_e32 v49, v43, v47
	v_cndmask_b32_e64 v44, 0, v44, s0
	v_cmp_gt_i32_e64 s0, s27, v15
	v_cndmask_b32_e64 v10, 0, v10, s0
	v_or_b32_e32 v48, v10, v44
.LBB294_613:                            ;   in Loop: Header=BB294_481 Depth=1
	s_or_b32 exec_lo, exec_lo, s9
	;;#ASMSTART
	v_pk_mul_f16 v2, v41, v50;

	;;#ASMEND
	;;#ASMSTART
	v_pk_mul_f16 v10, v39, v46;

	;;#ASMEND
	;; [unrolled: 4-line block ×4, first 2 shown]
	;;#ASMSTART
	v_pk_add_f16 v2, v2, v10;

	;;#ASMEND
	;;#ASMSTART
	v_pk_add_f16 v2, v2, v11;

	;;#ASMEND
	;; [unrolled: 4-line block ×3, first 2 shown]
	v_and_b32_e32 v10, 0xffff, v2
	v_lshrrev_b32_e32 v2, 16, v2
	;;#ASMSTART
	v_cvt_f32_f16 v43, v10;
	;;#ASMEND
	;;#ASMSTART
	v_cvt_f32_f16 v44, v2;
	;;#ASMEND
	global_load_dwordx2 v[10:11], v[8:9], off offset:512
	v_mov_b32_e32 v46, 0
	v_mov_b32_e32 v47, 0
	global_load_dword v45, v46, s[14:15]
	s_waitcnt vmcnt(1)
	v_cmp_ne_u16_sdwa s0, v10, v3 src0_sel:BYTE_0 src1_sel:DWORD
	s_and_saveexec_b32 s9, s0
	s_cbranch_execz .LBB294_621
; %bb.614:                              ;   in Loop: Header=BB294_481 Depth=1
	v_cmp_ne_u16_sdwa s0, v10, v26 src0_sel:BYTE_0 src1_sel:DWORD
	v_mov_b32_e32 v47, 0x8000
	s_and_saveexec_b32 s12, s0
	s_cbranch_execz .LBB294_620
; %bb.615:                              ;   in Loop: Header=BB294_481 Depth=1
	v_and_b32_e32 v48, 0x7f, v10
	v_mov_b32_e32 v47, 0x7c01
	s_mov_b32 s13, exec_lo
	v_cmpx_ne_u32_e32 0x7f, v48
	s_cbranch_execz .LBB294_619
; %bb.616:                              ;   in Loop: Header=BB294_481 Depth=1
	v_and_b32_e32 v2, 7, v10
	v_lshrrev_b32_e32 v47, 3, v48
	s_mov_b32 s17, exec_lo
	v_cmpx_gt_u32_e32 8, v48
; %bb.617:                              ;   in Loop: Header=BB294_481 Depth=1
	v_ffbh_u32_e32 v2, v2
	v_min_u32_e32 v2, 32, v2
	v_subrev_nc_u32_e32 v47, 28, v2
	v_lshlrev_b64 v[48:49], v47, v[10:11]
	v_sub_nc_u32_e32 v47, 29, v2
	v_and_b32_e32 v2, 7, v48
; %bb.618:                              ;   in Loop: Header=BB294_481 Depth=1
	s_or_b32 exec_lo, exec_lo, s17
	v_lshlrev_b32_e32 v48, 8, v10
	v_lshl_add_u32 v47, v47, 10, 0x2000
	v_lshlrev_b32_e32 v2, 7, v2
	v_and_b32_e32 v48, 0x8000, v48
	v_and_b32_e32 v47, 0xfc00, v47
	v_or3_b32 v47, v48, v47, v2
.LBB294_619:                            ;   in Loop: Header=BB294_481 Depth=1
	s_or_b32 exec_lo, exec_lo, s13
.LBB294_620:                            ;   in Loop: Header=BB294_481 Depth=1
	s_or_b32 exec_lo, exec_lo, s12
.LBB294_621:                            ;   in Loop: Header=BB294_481 Depth=1
	s_or_b32 exec_lo, exec_lo, s9
	v_lshrrev_b16 v2, 8, v10
	s_mov_b32 s9, exec_lo
	v_cmpx_ne_u16_e32 0, v2
	s_cbranch_execz .LBB294_629
; %bb.622:                              ;   in Loop: Header=BB294_481 Depth=1
	v_bfrev_b32_e32 v46, 1
	s_mov_b32 s12, exec_lo
	v_cmpx_ne_u16_e32 0x80, v2
	s_cbranch_execz .LBB294_628
; %bb.623:                              ;   in Loop: Header=BB294_481 Depth=1
	v_and_b32_sdwa v49, v2, v27 dst_sel:DWORD dst_unused:UNUSED_PAD src0_sel:WORD_0 src1_sel:DWORD
	v_mov_b32_e32 v46, 0x7c010000
	s_mov_b32 s13, exec_lo
	v_cmpx_ne_u32_e32 0x7f, v49
	s_cbranch_execz .LBB294_627
; %bb.624:                              ;   in Loop: Header=BB294_481 Depth=1
	v_and_b32_sdwa v46, v2, v28 dst_sel:DWORD dst_unused:UNUSED_PAD src0_sel:WORD_0 src1_sel:DWORD
	v_lshrrev_b32_e32 v48, 3, v49
	s_mov_b32 s17, exec_lo
	v_cmpx_gt_u32_e32 8, v49
; %bb.625:                              ;   in Loop: Header=BB294_481 Depth=1
	v_ffbh_u32_e32 v46, v46
	v_min_u32_e32 v46, 32, v46
	v_subrev_nc_u32_e32 v48, 28, v46
	v_lshlrev_b64 v[49:50], v48, v[2:3]
	v_sub_nc_u32_e32 v48, 29, v46
	v_and_b32_e32 v46, 7, v49
; %bb.626:                              ;   in Loop: Header=BB294_481 Depth=1
	s_or_b32 exec_lo, exec_lo, s17
	v_lshlrev_b32_sdwa v2, v29, v2 dst_sel:DWORD dst_unused:UNUSED_PAD src0_sel:DWORD src1_sel:WORD_0
	v_lshl_add_u32 v48, v48, 10, 0x2000
	v_lshlrev_b32_e32 v46, 23, v46
	v_and_or_b32 v2, 0x8000, v2, v48
	v_lshl_or_b32 v46, v2, 16, v46
.LBB294_627:                            ;   in Loop: Header=BB294_481 Depth=1
	s_or_b32 exec_lo, exec_lo, s13
.LBB294_628:                            ;   in Loop: Header=BB294_481 Depth=1
	s_or_b32 exec_lo, exec_lo, s12
.LBB294_629:                            ;   in Loop: Header=BB294_481 Depth=1
	s_or_b32 exec_lo, exec_lo, s9
	v_lshrrev_b32_e32 v2, 16, v10
	v_mov_b32_e32 v48, 0
	v_mov_b32_e32 v49, 0
	v_cmp_ne_u16_sdwa s0, v2, v3 src0_sel:BYTE_0 src1_sel:DWORD
	s_and_saveexec_b32 s9, s0
	s_cbranch_execz .LBB294_637
; %bb.630:                              ;   in Loop: Header=BB294_481 Depth=1
	v_cmp_ne_u16_sdwa s0, v2, v26 src0_sel:BYTE_0 src1_sel:DWORD
	v_mov_b32_e32 v49, 0x8000
	s_and_saveexec_b32 s12, s0
	s_cbranch_execz .LBB294_636
; %bb.631:                              ;   in Loop: Header=BB294_481 Depth=1
	v_bfe_u32 v51, v10, 16, 7
	v_mov_b32_e32 v49, 0x7c01
	s_mov_b32 s13, exec_lo
	v_cmpx_ne_u32_e32 0x7f, v51
	s_cbranch_execz .LBB294_635
; %bb.632:                              ;   in Loop: Header=BB294_481 Depth=1
	v_and_b32_e32 v49, 7, v2
	v_lshrrev_b32_e32 v50, 3, v51
	s_mov_b32 s17, exec_lo
	v_cmpx_gt_u32_e32 8, v51
; %bb.633:                              ;   in Loop: Header=BB294_481 Depth=1
	v_ffbh_u32_e32 v49, v49
	v_min_u32_e32 v51, 32, v49
	v_subrev_nc_u32_e32 v49, 28, v51
	v_lshlrev_b64 v[49:50], v49, v[2:3]
	v_sub_nc_u32_e32 v50, 29, v51
	v_and_b32_e32 v49, 7, v49
; %bb.634:                              ;   in Loop: Header=BB294_481 Depth=1
	s_or_b32 exec_lo, exec_lo, s17
	v_lshlrev_b32_e32 v2, 8, v2
	v_lshl_add_u32 v50, v50, 10, 0x2000
	v_lshlrev_b32_e32 v49, 7, v49
	v_and_b32_e32 v2, 0x8000, v2
	v_and_b32_e32 v50, 0xfc00, v50
	v_or3_b32 v49, v2, v50, v49
.LBB294_635:                            ;   in Loop: Header=BB294_481 Depth=1
	s_or_b32 exec_lo, exec_lo, s13
.LBB294_636:                            ;   in Loop: Header=BB294_481 Depth=1
	s_or_b32 exec_lo, exec_lo, s12
.LBB294_637:                            ;   in Loop: Header=BB294_481 Depth=1
	s_or_b32 exec_lo, exec_lo, s9
	s_mov_b32 s9, exec_lo
	v_cmpx_lt_u32_e32 0xffffff, v10
	s_cbranch_execz .LBB294_645
; %bb.638:                              ;   in Loop: Header=BB294_481 Depth=1
	v_lshrrev_b32_e32 v2, 24, v10
	v_bfrev_b32_e32 v48, 1
	s_mov_b32 s12, exec_lo
	v_cmpx_ne_u32_e32 0x80, v2
	s_cbranch_execz .LBB294_644
; %bb.639:                              ;   in Loop: Header=BB294_481 Depth=1
	v_and_b32_e32 v51, 0x7f, v2
	v_mov_b32_e32 v48, 0x7c010000
	s_mov_b32 s13, exec_lo
	v_cmpx_ne_u32_e32 0x7f, v51
	s_cbranch_execz .LBB294_643
; %bb.640:                              ;   in Loop: Header=BB294_481 Depth=1
	v_and_b32_e32 v48, 7, v2
	v_lshrrev_b32_e32 v50, 3, v51
	s_mov_b32 s17, exec_lo
	v_cmpx_gt_u32_e32 8, v51
; %bb.641:                              ;   in Loop: Header=BB294_481 Depth=1
	v_ffbh_u32_e32 v48, v48
	v_min_u32_e32 v48, 32, v48
	v_subrev_nc_u32_e32 v50, 28, v48
	v_lshlrev_b64 v[51:52], v50, v[2:3]
	v_sub_nc_u32_e32 v50, 29, v48
	v_and_b32_e32 v48, 7, v51
; %bb.642:                              ;   in Loop: Header=BB294_481 Depth=1
	s_or_b32 exec_lo, exec_lo, s17
	v_lshlrev_b32_e32 v2, 8, v2
	v_lshl_add_u32 v50, v50, 10, 0x2000
	v_lshlrev_b32_e32 v48, 23, v48
	v_and_or_b32 v2, 0x8000, v2, v50
	v_lshl_or_b32 v48, v2, 16, v48
.LBB294_643:                            ;   in Loop: Header=BB294_481 Depth=1
	s_or_b32 exec_lo, exec_lo, s13
.LBB294_644:                            ;   in Loop: Header=BB294_481 Depth=1
	s_or_b32 exec_lo, exec_lo, s12
.LBB294_645:                            ;   in Loop: Header=BB294_481 Depth=1
	s_or_b32 exec_lo, exec_lo, s9
	v_mov_b32_e32 v2, v11
	v_cmp_ne_u16_sdwa s0, v11, v3 src0_sel:BYTE_0 src1_sel:DWORD
	v_mov_b32_e32 v50, 0
	v_mov_b32_e32 v51, 0
	s_and_saveexec_b32 s9, s0
	s_cbranch_execz .LBB294_653
; %bb.646:                              ;   in Loop: Header=BB294_481 Depth=1
	v_cmp_ne_u16_sdwa s0, v11, v26 src0_sel:BYTE_0 src1_sel:DWORD
	v_mov_b32_e32 v51, 0x8000
	s_and_saveexec_b32 s12, s0
	s_cbranch_execz .LBB294_652
; %bb.647:                              ;   in Loop: Header=BB294_481 Depth=1
	v_and_b32_e32 v53, 0x7f, v11
	v_mov_b32_e32 v51, 0x7c01
	s_mov_b32 s13, exec_lo
	v_cmpx_ne_u32_e32 0x7f, v53
	s_cbranch_execz .LBB294_651
; %bb.648:                              ;   in Loop: Header=BB294_481 Depth=1
	v_and_b32_e32 v51, 7, v11
	v_lshrrev_b32_e32 v52, 3, v53
	s_mov_b32 s17, exec_lo
	v_cmpx_gt_u32_e32 8, v53
; %bb.649:                              ;   in Loop: Header=BB294_481 Depth=1
	v_ffbh_u32_e32 v51, v51
	v_min_u32_e32 v53, 32, v51
	v_subrev_nc_u32_e32 v51, 28, v53
	v_lshlrev_b64 v[51:52], v51, v[2:3]
	v_sub_nc_u32_e32 v52, 29, v53
	v_and_b32_e32 v51, 7, v51
; %bb.650:                              ;   in Loop: Header=BB294_481 Depth=1
	s_or_b32 exec_lo, exec_lo, s17
	v_lshlrev_b32_e32 v53, 8, v11
	v_lshl_add_u32 v52, v52, 10, 0x2000
	v_lshlrev_b32_e32 v51, 7, v51
	v_and_b32_e32 v53, 0x8000, v53
	v_and_b32_e32 v52, 0xfc00, v52
	v_or3_b32 v51, v53, v52, v51
.LBB294_651:                            ;   in Loop: Header=BB294_481 Depth=1
	s_or_b32 exec_lo, exec_lo, s13
.LBB294_652:                            ;   in Loop: Header=BB294_481 Depth=1
	s_or_b32 exec_lo, exec_lo, s12
.LBB294_653:                            ;   in Loop: Header=BB294_481 Depth=1
	s_or_b32 exec_lo, exec_lo, s9
	v_lshrrev_b16 v2, 8, v2
	v_mov_b32_e32 v52, 0
	s_mov_b32 s9, exec_lo
	v_cmpx_ne_u16_e32 0, v2
	s_cbranch_execz .LBB294_661
; %bb.654:                              ;   in Loop: Header=BB294_481 Depth=1
	v_bfrev_b32_e32 v52, 1
	s_mov_b32 s12, exec_lo
	v_cmpx_ne_u16_e32 0x80, v2
	s_cbranch_execz .LBB294_660
; %bb.655:                              ;   in Loop: Header=BB294_481 Depth=1
	v_and_b32_sdwa v54, v2, v27 dst_sel:DWORD dst_unused:UNUSED_PAD src0_sel:WORD_0 src1_sel:DWORD
	v_mov_b32_e32 v52, 0x7c010000
	s_mov_b32 s13, exec_lo
	v_cmpx_ne_u32_e32 0x7f, v54
	s_cbranch_execz .LBB294_659
; %bb.656:                              ;   in Loop: Header=BB294_481 Depth=1
	v_and_b32_sdwa v52, v2, v28 dst_sel:DWORD dst_unused:UNUSED_PAD src0_sel:WORD_0 src1_sel:DWORD
	v_lshrrev_b32_e32 v53, 3, v54
	s_mov_b32 s17, exec_lo
	v_cmpx_gt_u32_e32 8, v54
; %bb.657:                              ;   in Loop: Header=BB294_481 Depth=1
	v_ffbh_u32_e32 v52, v52
	v_min_u32_e32 v54, 32, v52
	v_subrev_nc_u32_e32 v52, 28, v54
	v_lshlrev_b64 v[52:53], v52, v[2:3]
	v_sub_nc_u32_e32 v53, 29, v54
	v_and_b32_e32 v52, 7, v52
; %bb.658:                              ;   in Loop: Header=BB294_481 Depth=1
	s_or_b32 exec_lo, exec_lo, s17
	v_lshlrev_b32_sdwa v2, v29, v2 dst_sel:DWORD dst_unused:UNUSED_PAD src0_sel:DWORD src1_sel:WORD_0
	v_lshl_add_u32 v53, v53, 10, 0x2000
	v_lshlrev_b32_e32 v52, 23, v52
	v_and_or_b32 v2, 0x8000, v2, v53
	v_lshl_or_b32 v52, v2, 16, v52
.LBB294_659:                            ;   in Loop: Header=BB294_481 Depth=1
	s_or_b32 exec_lo, exec_lo, s13
.LBB294_660:                            ;   in Loop: Header=BB294_481 Depth=1
	s_or_b32 exec_lo, exec_lo, s12
.LBB294_661:                            ;   in Loop: Header=BB294_481 Depth=1
	s_or_b32 exec_lo, exec_lo, s9
	v_lshrrev_b32_e32 v2, 16, v11
	v_cmp_ne_u16_sdwa s0, v2, v3 src0_sel:BYTE_0 src1_sel:DWORD
	s_and_saveexec_b32 s9, s0
	s_cbranch_execz .LBB294_669
; %bb.662:                              ;   in Loop: Header=BB294_481 Depth=1
	v_cmp_ne_u16_sdwa s0, v2, v26 src0_sel:BYTE_0 src1_sel:DWORD
	v_mov_b32_e32 v50, 0x8000
	s_and_saveexec_b32 s12, s0
	s_cbranch_execz .LBB294_668
; %bb.663:                              ;   in Loop: Header=BB294_481 Depth=1
	v_bfe_u32 v54, v11, 16, 7
	v_mov_b32_e32 v50, 0x7c01
	s_mov_b32 s13, exec_lo
	v_cmpx_ne_u32_e32 0x7f, v54
	s_cbranch_execz .LBB294_667
; %bb.664:                              ;   in Loop: Header=BB294_481 Depth=1
	v_and_b32_e32 v50, 7, v2
	v_lshrrev_b32_e32 v53, 3, v54
	s_mov_b32 s17, exec_lo
	v_cmpx_gt_u32_e32 8, v54
; %bb.665:                              ;   in Loop: Header=BB294_481 Depth=1
	v_ffbh_u32_e32 v50, v50
	v_min_u32_e32 v50, 32, v50
	v_subrev_nc_u32_e32 v53, 28, v50
	v_lshlrev_b64 v[54:55], v53, v[2:3]
	v_sub_nc_u32_e32 v53, 29, v50
	v_and_b32_e32 v50, 7, v54
; %bb.666:                              ;   in Loop: Header=BB294_481 Depth=1
	s_or_b32 exec_lo, exec_lo, s17
	v_lshlrev_b32_e32 v2, 8, v2
	v_lshl_add_u32 v53, v53, 10, 0x2000
	v_lshlrev_b32_e32 v50, 7, v50
	v_and_b32_e32 v2, 0x8000, v2
	v_and_b32_e32 v53, 0xfc00, v53
	v_or3_b32 v50, v2, v53, v50
.LBB294_667:                            ;   in Loop: Header=BB294_481 Depth=1
	s_or_b32 exec_lo, exec_lo, s13
.LBB294_668:                            ;   in Loop: Header=BB294_481 Depth=1
	s_or_b32 exec_lo, exec_lo, s12
.LBB294_669:                            ;   in Loop: Header=BB294_481 Depth=1
	s_or_b32 exec_lo, exec_lo, s9
	v_cmp_lt_u64_e64 s0, s[4:5], v[10:11]
	v_mov_b32_e32 v10, 0
	s_and_saveexec_b32 s9, s0
	s_cbranch_execz .LBB294_677
; %bb.670:                              ;   in Loop: Header=BB294_481 Depth=1
	v_lshrrev_b32_e32 v2, 24, v11
	v_bfrev_b32_e32 v10, 1
	s_mov_b32 s12, exec_lo
	v_cmpx_ne_u32_e32 0x80, v2
	s_cbranch_execz .LBB294_676
; %bb.671:                              ;   in Loop: Header=BB294_481 Depth=1
	v_and_b32_e32 v53, 0x7f, v2
	v_mov_b32_e32 v10, 0x7c010000
	s_mov_b32 s13, exec_lo
	v_cmpx_ne_u32_e32 0x7f, v53
	s_cbranch_execz .LBB294_675
; %bb.672:                              ;   in Loop: Header=BB294_481 Depth=1
	v_and_b32_e32 v10, 7, v2
	v_lshrrev_b32_e32 v11, 3, v53
	s_mov_b32 s17, exec_lo
	v_cmpx_gt_u32_e32 8, v53
; %bb.673:                              ;   in Loop: Header=BB294_481 Depth=1
	v_ffbh_u32_e32 v10, v10
	v_min_u32_e32 v53, 32, v10
	v_subrev_nc_u32_e32 v10, 28, v53
	v_lshlrev_b64 v[10:11], v10, v[2:3]
	v_sub_nc_u32_e32 v11, 29, v53
	v_and_b32_e32 v10, 7, v10
; %bb.674:                              ;   in Loop: Header=BB294_481 Depth=1
	s_or_b32 exec_lo, exec_lo, s17
	v_lshlrev_b32_e32 v2, 8, v2
	v_lshl_add_u32 v11, v11, 10, 0x2000
	v_lshlrev_b32_e32 v10, 23, v10
	v_and_or_b32 v2, 0x8000, v2, v11
	v_lshl_or_b32 v10, v2, 16, v10
.LBB294_675:                            ;   in Loop: Header=BB294_481 Depth=1
	s_or_b32 exec_lo, exec_lo, s13
.LBB294_676:                            ;   in Loop: Header=BB294_481 Depth=1
	s_or_b32 exec_lo, exec_lo, s12
.LBB294_677:                            ;   in Loop: Header=BB294_481 Depth=1
	s_or_b32 exec_lo, exec_lo, s9
	v_or_b32_e32 v2, v48, v49
	s_waitcnt vmcnt(0)
	v_fma_mixlo_f16 v11, v45, v48, 0 op_sel:[0,1,0] op_sel_hi:[0,1,0]
	v_or_b32_e32 v48, v46, v47
	v_fma_mixlo_f16 v46, v45, v46, 0 op_sel:[0,1,0] op_sel_hi:[0,1,0]
	v_or_b32_e32 v49, v52, v51
	v_or_b32_e32 v50, v10, v50
	v_fma_mixlo_f16 v51, v45, v2, 0 op_sel_hi:[0,1,0]
	v_fma_mixlo_f16 v10, v45, v10, 0 op_sel:[0,1,0] op_sel_hi:[0,1,0]
	v_lshlrev_b32_e32 v47, 16, v46
	v_fma_mixlo_f16 v46, v45, v48, 0 op_sel_hi:[0,1,0]
	v_fma_mixlo_f16 v48, v45, v52, 0 op_sel:[0,1,0] op_sel_hi:[0,1,0]
	v_fma_mixlo_f16 v49, v45, v49, 0 op_sel_hi:[0,1,0]
	v_fma_mixlo_f16 v50, v45, v50, 0 op_sel_hi:[0,1,0]
	v_lshlrev_b32_e32 v2, 16, v11
	v_and_b32_e32 v11, 0xffff, v51
	v_and_b32_e32 v53, 0xffff, v46
	v_lshlrev_b32_e32 v45, 16, v48
	v_and_b32_e32 v49, 0xffff, v49
	v_lshlrev_b32_e32 v10, 16, v10
	v_and_b32_e32 v46, 0xffff, v50
	v_or_b32_e32 v48, v2, v11
	v_or_b32_e32 v52, v47, v53
	;; [unrolled: 1-line block ×4, first 2 shown]
	s_and_saveexec_b32 s9, vcc_lo
	s_cbranch_execz .LBB294_679
; %bb.678:                              ;   in Loop: Header=BB294_481 Depth=1
	v_cmp_gt_i32_e64 s0, s27, v30
	v_cndmask_b32_e64 v48, 0, v53, s0
	v_cmp_gt_i32_e64 s0, s27, v36
	v_cndmask_b32_e64 v47, 0, v47, s0
	v_cmp_gt_i32_e64 s0, s27, v35
	v_or_b32_e32 v52, v47, v48
	v_cndmask_b32_e64 v11, 0, v11, s0
	v_cmp_gt_i32_e64 s0, s27, v34
	v_cndmask_b32_e64 v2, 0, v2, s0
	v_cmp_gt_i32_e64 s0, s27, v33
	v_or_b32_e32 v48, v2, v11
	;; [unrolled: 5-line block ×3, first 2 shown]
	v_cndmask_b32_e64 v46, 0, v46, s0
	v_cmp_gt_i32_e64 s0, s27, v15
	v_cndmask_b32_e64 v10, 0, v10, s0
	v_or_b32_e32 v50, v10, v46
.LBB294_679:                            ;   in Loop: Header=BB294_481 Depth=1
	s_or_b32 exec_lo, exec_lo, s9
	;;#ASMSTART
	v_pk_mul_f16 v2, v41, v52;

	;;#ASMEND
	;;#ASMSTART
	v_pk_mul_f16 v10, v39, v48;

	;;#ASMEND
	;; [unrolled: 4-line block ×4, first 2 shown]
	;;#ASMSTART
	v_pk_add_f16 v2, v2, v10;

	;;#ASMEND
	;;#ASMSTART
	v_pk_add_f16 v2, v2, v11;

	;;#ASMEND
	;; [unrolled: 4-line block ×3, first 2 shown]
	v_and_b32_e32 v10, 0xffff, v2
	v_lshrrev_b32_e32 v2, 16, v2
	;;#ASMSTART
	v_cvt_f32_f16 v45, v10;
	;;#ASMEND
	;;#ASMSTART
	v_cvt_f32_f16 v46, v2;
	;;#ASMEND
	global_load_dwordx2 v[10:11], v[8:9], off offset:768
	v_mov_b32_e32 v48, 0
	v_mov_b32_e32 v49, 0
	global_load_dword v47, v48, s[14:15]
	s_waitcnt vmcnt(1)
	v_cmp_ne_u16_sdwa s0, v10, v3 src0_sel:BYTE_0 src1_sel:DWORD
	s_and_saveexec_b32 s9, s0
	s_cbranch_execz .LBB294_687
; %bb.680:                              ;   in Loop: Header=BB294_481 Depth=1
	v_cmp_ne_u16_sdwa s0, v10, v26 src0_sel:BYTE_0 src1_sel:DWORD
	v_mov_b32_e32 v49, 0x8000
	s_and_saveexec_b32 s12, s0
	s_cbranch_execz .LBB294_686
; %bb.681:                              ;   in Loop: Header=BB294_481 Depth=1
	v_and_b32_e32 v50, 0x7f, v10
	v_mov_b32_e32 v49, 0x7c01
	s_mov_b32 s13, exec_lo
	v_cmpx_ne_u32_e32 0x7f, v50
	s_cbranch_execz .LBB294_685
; %bb.682:                              ;   in Loop: Header=BB294_481 Depth=1
	v_and_b32_e32 v2, 7, v10
	v_lshrrev_b32_e32 v49, 3, v50
	s_mov_b32 s17, exec_lo
	v_cmpx_gt_u32_e32 8, v50
; %bb.683:                              ;   in Loop: Header=BB294_481 Depth=1
	v_ffbh_u32_e32 v2, v2
	v_min_u32_e32 v2, 32, v2
	v_subrev_nc_u32_e32 v49, 28, v2
	v_lshlrev_b64 v[50:51], v49, v[10:11]
	v_sub_nc_u32_e32 v49, 29, v2
	v_and_b32_e32 v2, 7, v50
; %bb.684:                              ;   in Loop: Header=BB294_481 Depth=1
	s_or_b32 exec_lo, exec_lo, s17
	v_lshlrev_b32_e32 v50, 8, v10
	v_lshl_add_u32 v49, v49, 10, 0x2000
	v_lshlrev_b32_e32 v2, 7, v2
	v_and_b32_e32 v50, 0x8000, v50
	v_and_b32_e32 v49, 0xfc00, v49
	v_or3_b32 v49, v50, v49, v2
.LBB294_685:                            ;   in Loop: Header=BB294_481 Depth=1
	s_or_b32 exec_lo, exec_lo, s13
.LBB294_686:                            ;   in Loop: Header=BB294_481 Depth=1
	s_or_b32 exec_lo, exec_lo, s12
.LBB294_687:                            ;   in Loop: Header=BB294_481 Depth=1
	s_or_b32 exec_lo, exec_lo, s9
	v_lshrrev_b16 v2, 8, v10
	s_mov_b32 s9, exec_lo
	v_cmpx_ne_u16_e32 0, v2
	s_cbranch_execz .LBB294_695
; %bb.688:                              ;   in Loop: Header=BB294_481 Depth=1
	v_bfrev_b32_e32 v48, 1
	s_mov_b32 s12, exec_lo
	v_cmpx_ne_u16_e32 0x80, v2
	s_cbranch_execz .LBB294_694
; %bb.689:                              ;   in Loop: Header=BB294_481 Depth=1
	v_and_b32_sdwa v51, v2, v27 dst_sel:DWORD dst_unused:UNUSED_PAD src0_sel:WORD_0 src1_sel:DWORD
	v_mov_b32_e32 v48, 0x7c010000
	s_mov_b32 s13, exec_lo
	v_cmpx_ne_u32_e32 0x7f, v51
	s_cbranch_execz .LBB294_693
; %bb.690:                              ;   in Loop: Header=BB294_481 Depth=1
	v_and_b32_sdwa v48, v2, v28 dst_sel:DWORD dst_unused:UNUSED_PAD src0_sel:WORD_0 src1_sel:DWORD
	v_lshrrev_b32_e32 v50, 3, v51
	s_mov_b32 s17, exec_lo
	v_cmpx_gt_u32_e32 8, v51
; %bb.691:                              ;   in Loop: Header=BB294_481 Depth=1
	v_ffbh_u32_e32 v48, v48
	v_min_u32_e32 v48, 32, v48
	v_subrev_nc_u32_e32 v50, 28, v48
	v_lshlrev_b64 v[51:52], v50, v[2:3]
	v_sub_nc_u32_e32 v50, 29, v48
	v_and_b32_e32 v48, 7, v51
; %bb.692:                              ;   in Loop: Header=BB294_481 Depth=1
	s_or_b32 exec_lo, exec_lo, s17
	v_lshlrev_b32_sdwa v2, v29, v2 dst_sel:DWORD dst_unused:UNUSED_PAD src0_sel:DWORD src1_sel:WORD_0
	v_lshl_add_u32 v50, v50, 10, 0x2000
	v_lshlrev_b32_e32 v48, 23, v48
	v_and_or_b32 v2, 0x8000, v2, v50
	v_lshl_or_b32 v48, v2, 16, v48
.LBB294_693:                            ;   in Loop: Header=BB294_481 Depth=1
	s_or_b32 exec_lo, exec_lo, s13
.LBB294_694:                            ;   in Loop: Header=BB294_481 Depth=1
	s_or_b32 exec_lo, exec_lo, s12
.LBB294_695:                            ;   in Loop: Header=BB294_481 Depth=1
	s_or_b32 exec_lo, exec_lo, s9
	v_lshrrev_b32_e32 v2, 16, v10
	v_mov_b32_e32 v50, 0
	v_mov_b32_e32 v51, 0
	v_cmp_ne_u16_sdwa s0, v2, v3 src0_sel:BYTE_0 src1_sel:DWORD
	s_and_saveexec_b32 s9, s0
	s_cbranch_execz .LBB294_703
; %bb.696:                              ;   in Loop: Header=BB294_481 Depth=1
	v_cmp_ne_u16_sdwa s0, v2, v26 src0_sel:BYTE_0 src1_sel:DWORD
	v_mov_b32_e32 v51, 0x8000
	s_and_saveexec_b32 s12, s0
	s_cbranch_execz .LBB294_702
; %bb.697:                              ;   in Loop: Header=BB294_481 Depth=1
	v_bfe_u32 v53, v10, 16, 7
	v_mov_b32_e32 v51, 0x7c01
	s_mov_b32 s13, exec_lo
	v_cmpx_ne_u32_e32 0x7f, v53
	s_cbranch_execz .LBB294_701
; %bb.698:                              ;   in Loop: Header=BB294_481 Depth=1
	v_and_b32_e32 v51, 7, v2
	v_lshrrev_b32_e32 v52, 3, v53
	s_mov_b32 s17, exec_lo
	v_cmpx_gt_u32_e32 8, v53
; %bb.699:                              ;   in Loop: Header=BB294_481 Depth=1
	v_ffbh_u32_e32 v51, v51
	v_min_u32_e32 v53, 32, v51
	v_subrev_nc_u32_e32 v51, 28, v53
	v_lshlrev_b64 v[51:52], v51, v[2:3]
	v_sub_nc_u32_e32 v52, 29, v53
	v_and_b32_e32 v51, 7, v51
; %bb.700:                              ;   in Loop: Header=BB294_481 Depth=1
	s_or_b32 exec_lo, exec_lo, s17
	v_lshlrev_b32_e32 v2, 8, v2
	v_lshl_add_u32 v52, v52, 10, 0x2000
	v_lshlrev_b32_e32 v51, 7, v51
	v_and_b32_e32 v2, 0x8000, v2
	v_and_b32_e32 v52, 0xfc00, v52
	v_or3_b32 v51, v2, v52, v51
.LBB294_701:                            ;   in Loop: Header=BB294_481 Depth=1
	s_or_b32 exec_lo, exec_lo, s13
.LBB294_702:                            ;   in Loop: Header=BB294_481 Depth=1
	s_or_b32 exec_lo, exec_lo, s12
.LBB294_703:                            ;   in Loop: Header=BB294_481 Depth=1
	s_or_b32 exec_lo, exec_lo, s9
	s_mov_b32 s9, exec_lo
	v_cmpx_lt_u32_e32 0xffffff, v10
	s_cbranch_execz .LBB294_711
; %bb.704:                              ;   in Loop: Header=BB294_481 Depth=1
	v_lshrrev_b32_e32 v2, 24, v10
	v_bfrev_b32_e32 v50, 1
	s_mov_b32 s12, exec_lo
	v_cmpx_ne_u32_e32 0x80, v2
	s_cbranch_execz .LBB294_710
; %bb.705:                              ;   in Loop: Header=BB294_481 Depth=1
	v_and_b32_e32 v53, 0x7f, v2
	v_mov_b32_e32 v50, 0x7c010000
	s_mov_b32 s13, exec_lo
	v_cmpx_ne_u32_e32 0x7f, v53
	s_cbranch_execz .LBB294_709
; %bb.706:                              ;   in Loop: Header=BB294_481 Depth=1
	v_and_b32_e32 v50, 7, v2
	v_lshrrev_b32_e32 v52, 3, v53
	s_mov_b32 s17, exec_lo
	v_cmpx_gt_u32_e32 8, v53
; %bb.707:                              ;   in Loop: Header=BB294_481 Depth=1
	v_ffbh_u32_e32 v50, v50
	v_min_u32_e32 v50, 32, v50
	v_subrev_nc_u32_e32 v52, 28, v50
	v_lshlrev_b64 v[53:54], v52, v[2:3]
	v_sub_nc_u32_e32 v52, 29, v50
	v_and_b32_e32 v50, 7, v53
; %bb.708:                              ;   in Loop: Header=BB294_481 Depth=1
	s_or_b32 exec_lo, exec_lo, s17
	v_lshlrev_b32_e32 v2, 8, v2
	v_lshl_add_u32 v52, v52, 10, 0x2000
	v_lshlrev_b32_e32 v50, 23, v50
	v_and_or_b32 v2, 0x8000, v2, v52
	v_lshl_or_b32 v50, v2, 16, v50
.LBB294_709:                            ;   in Loop: Header=BB294_481 Depth=1
	s_or_b32 exec_lo, exec_lo, s13
.LBB294_710:                            ;   in Loop: Header=BB294_481 Depth=1
	s_or_b32 exec_lo, exec_lo, s12
.LBB294_711:                            ;   in Loop: Header=BB294_481 Depth=1
	s_or_b32 exec_lo, exec_lo, s9
	v_mov_b32_e32 v2, v11
	v_cmp_ne_u16_sdwa s0, v11, v3 src0_sel:BYTE_0 src1_sel:DWORD
	v_mov_b32_e32 v52, 0
	v_mov_b32_e32 v53, 0
	s_and_saveexec_b32 s9, s0
	s_cbranch_execz .LBB294_719
; %bb.712:                              ;   in Loop: Header=BB294_481 Depth=1
	v_cmp_ne_u16_sdwa s0, v11, v26 src0_sel:BYTE_0 src1_sel:DWORD
	v_mov_b32_e32 v53, 0x8000
	s_and_saveexec_b32 s12, s0
	s_cbranch_execz .LBB294_718
; %bb.713:                              ;   in Loop: Header=BB294_481 Depth=1
	v_and_b32_e32 v55, 0x7f, v11
	v_mov_b32_e32 v53, 0x7c01
	s_mov_b32 s13, exec_lo
	v_cmpx_ne_u32_e32 0x7f, v55
	s_cbranch_execz .LBB294_717
; %bb.714:                              ;   in Loop: Header=BB294_481 Depth=1
	v_and_b32_e32 v53, 7, v11
	v_lshrrev_b32_e32 v54, 3, v55
	s_mov_b32 s17, exec_lo
	v_cmpx_gt_u32_e32 8, v55
; %bb.715:                              ;   in Loop: Header=BB294_481 Depth=1
	v_ffbh_u32_e32 v53, v53
	v_min_u32_e32 v55, 32, v53
	v_subrev_nc_u32_e32 v53, 28, v55
	v_lshlrev_b64 v[53:54], v53, v[2:3]
	v_sub_nc_u32_e32 v54, 29, v55
	v_and_b32_e32 v53, 7, v53
; %bb.716:                              ;   in Loop: Header=BB294_481 Depth=1
	s_or_b32 exec_lo, exec_lo, s17
	v_lshlrev_b32_e32 v55, 8, v11
	v_lshl_add_u32 v54, v54, 10, 0x2000
	v_lshlrev_b32_e32 v53, 7, v53
	v_and_b32_e32 v55, 0x8000, v55
	v_and_b32_e32 v54, 0xfc00, v54
	v_or3_b32 v53, v55, v54, v53
.LBB294_717:                            ;   in Loop: Header=BB294_481 Depth=1
	s_or_b32 exec_lo, exec_lo, s13
.LBB294_718:                            ;   in Loop: Header=BB294_481 Depth=1
	s_or_b32 exec_lo, exec_lo, s12
.LBB294_719:                            ;   in Loop: Header=BB294_481 Depth=1
	s_or_b32 exec_lo, exec_lo, s9
	v_lshrrev_b16 v2, 8, v2
	v_mov_b32_e32 v54, 0
	s_mov_b32 s9, exec_lo
	v_cmpx_ne_u16_e32 0, v2
	s_cbranch_execz .LBB294_727
; %bb.720:                              ;   in Loop: Header=BB294_481 Depth=1
	v_bfrev_b32_e32 v54, 1
	s_mov_b32 s12, exec_lo
	v_cmpx_ne_u16_e32 0x80, v2
	s_cbranch_execz .LBB294_726
; %bb.721:                              ;   in Loop: Header=BB294_481 Depth=1
	v_and_b32_sdwa v56, v2, v27 dst_sel:DWORD dst_unused:UNUSED_PAD src0_sel:WORD_0 src1_sel:DWORD
	v_mov_b32_e32 v54, 0x7c010000
	s_mov_b32 s13, exec_lo
	v_cmpx_ne_u32_e32 0x7f, v56
	s_cbranch_execz .LBB294_725
; %bb.722:                              ;   in Loop: Header=BB294_481 Depth=1
	v_and_b32_sdwa v54, v2, v28 dst_sel:DWORD dst_unused:UNUSED_PAD src0_sel:WORD_0 src1_sel:DWORD
	v_lshrrev_b32_e32 v55, 3, v56
	s_mov_b32 s17, exec_lo
	v_cmpx_gt_u32_e32 8, v56
; %bb.723:                              ;   in Loop: Header=BB294_481 Depth=1
	v_ffbh_u32_e32 v54, v54
	v_min_u32_e32 v56, 32, v54
	v_subrev_nc_u32_e32 v54, 28, v56
	v_lshlrev_b64 v[54:55], v54, v[2:3]
	v_sub_nc_u32_e32 v55, 29, v56
	v_and_b32_e32 v54, 7, v54
; %bb.724:                              ;   in Loop: Header=BB294_481 Depth=1
	s_or_b32 exec_lo, exec_lo, s17
	v_lshlrev_b32_sdwa v2, v29, v2 dst_sel:DWORD dst_unused:UNUSED_PAD src0_sel:DWORD src1_sel:WORD_0
	v_lshl_add_u32 v55, v55, 10, 0x2000
	v_lshlrev_b32_e32 v54, 23, v54
	v_and_or_b32 v2, 0x8000, v2, v55
	v_lshl_or_b32 v54, v2, 16, v54
.LBB294_725:                            ;   in Loop: Header=BB294_481 Depth=1
	s_or_b32 exec_lo, exec_lo, s13
.LBB294_726:                            ;   in Loop: Header=BB294_481 Depth=1
	s_or_b32 exec_lo, exec_lo, s12
.LBB294_727:                            ;   in Loop: Header=BB294_481 Depth=1
	s_or_b32 exec_lo, exec_lo, s9
	v_lshrrev_b32_e32 v2, 16, v11
	v_cmp_ne_u16_sdwa s0, v2, v3 src0_sel:BYTE_0 src1_sel:DWORD
	s_and_saveexec_b32 s9, s0
	s_cbranch_execz .LBB294_735
; %bb.728:                              ;   in Loop: Header=BB294_481 Depth=1
	v_cmp_ne_u16_sdwa s0, v2, v26 src0_sel:BYTE_0 src1_sel:DWORD
	v_mov_b32_e32 v52, 0x8000
	s_and_saveexec_b32 s12, s0
	s_cbranch_execz .LBB294_734
; %bb.729:                              ;   in Loop: Header=BB294_481 Depth=1
	v_bfe_u32 v56, v11, 16, 7
	v_mov_b32_e32 v52, 0x7c01
	s_mov_b32 s13, exec_lo
	v_cmpx_ne_u32_e32 0x7f, v56
	s_cbranch_execz .LBB294_733
; %bb.730:                              ;   in Loop: Header=BB294_481 Depth=1
	v_and_b32_e32 v52, 7, v2
	v_lshrrev_b32_e32 v55, 3, v56
	s_mov_b32 s17, exec_lo
	v_cmpx_gt_u32_e32 8, v56
; %bb.731:                              ;   in Loop: Header=BB294_481 Depth=1
	v_ffbh_u32_e32 v52, v52
	v_min_u32_e32 v52, 32, v52
	v_subrev_nc_u32_e32 v55, 28, v52
	v_lshlrev_b64 v[56:57], v55, v[2:3]
	v_sub_nc_u32_e32 v55, 29, v52
	v_and_b32_e32 v52, 7, v56
; %bb.732:                              ;   in Loop: Header=BB294_481 Depth=1
	s_or_b32 exec_lo, exec_lo, s17
	v_lshlrev_b32_e32 v2, 8, v2
	v_lshl_add_u32 v55, v55, 10, 0x2000
	v_lshlrev_b32_e32 v52, 7, v52
	v_and_b32_e32 v2, 0x8000, v2
	v_and_b32_e32 v55, 0xfc00, v55
	v_or3_b32 v52, v2, v55, v52
.LBB294_733:                            ;   in Loop: Header=BB294_481 Depth=1
	s_or_b32 exec_lo, exec_lo, s13
.LBB294_734:                            ;   in Loop: Header=BB294_481 Depth=1
	s_or_b32 exec_lo, exec_lo, s12
.LBB294_735:                            ;   in Loop: Header=BB294_481 Depth=1
	s_or_b32 exec_lo, exec_lo, s9
	v_cmp_lt_u64_e64 s0, s[4:5], v[10:11]
	v_mov_b32_e32 v10, 0
	s_and_saveexec_b32 s9, s0
	s_cbranch_execz .LBB294_743
; %bb.736:                              ;   in Loop: Header=BB294_481 Depth=1
	v_lshrrev_b32_e32 v2, 24, v11
	v_bfrev_b32_e32 v10, 1
	s_mov_b32 s12, exec_lo
	v_cmpx_ne_u32_e32 0x80, v2
	s_cbranch_execz .LBB294_742
; %bb.737:                              ;   in Loop: Header=BB294_481 Depth=1
	v_and_b32_e32 v55, 0x7f, v2
	v_mov_b32_e32 v10, 0x7c010000
	s_mov_b32 s13, exec_lo
	v_cmpx_ne_u32_e32 0x7f, v55
	s_cbranch_execz .LBB294_741
; %bb.738:                              ;   in Loop: Header=BB294_481 Depth=1
	v_and_b32_e32 v10, 7, v2
	v_lshrrev_b32_e32 v11, 3, v55
	s_mov_b32 s17, exec_lo
	v_cmpx_gt_u32_e32 8, v55
; %bb.739:                              ;   in Loop: Header=BB294_481 Depth=1
	v_ffbh_u32_e32 v10, v10
	v_min_u32_e32 v55, 32, v10
	v_subrev_nc_u32_e32 v10, 28, v55
	v_lshlrev_b64 v[10:11], v10, v[2:3]
	v_sub_nc_u32_e32 v11, 29, v55
	v_and_b32_e32 v10, 7, v10
; %bb.740:                              ;   in Loop: Header=BB294_481 Depth=1
	s_or_b32 exec_lo, exec_lo, s17
	v_lshlrev_b32_e32 v2, 8, v2
	v_lshl_add_u32 v11, v11, 10, 0x2000
	v_lshlrev_b32_e32 v10, 23, v10
	v_and_or_b32 v2, 0x8000, v2, v11
	v_lshl_or_b32 v10, v2, 16, v10
.LBB294_741:                            ;   in Loop: Header=BB294_481 Depth=1
	s_or_b32 exec_lo, exec_lo, s13
.LBB294_742:                            ;   in Loop: Header=BB294_481 Depth=1
	s_or_b32 exec_lo, exec_lo, s12
.LBB294_743:                            ;   in Loop: Header=BB294_481 Depth=1
	s_or_b32 exec_lo, exec_lo, s9
	v_or_b32_e32 v2, v50, v51
	s_waitcnt vmcnt(0)
	v_fma_mixlo_f16 v11, v47, v50, 0 op_sel:[0,1,0] op_sel_hi:[0,1,0]
	v_or_b32_e32 v50, v48, v49
	v_fma_mixlo_f16 v48, v47, v48, 0 op_sel:[0,1,0] op_sel_hi:[0,1,0]
	v_or_b32_e32 v51, v54, v53
	v_or_b32_e32 v52, v10, v52
	v_fma_mixlo_f16 v53, v47, v2, 0 op_sel_hi:[0,1,0]
	v_fma_mixlo_f16 v10, v47, v10, 0 op_sel:[0,1,0] op_sel_hi:[0,1,0]
	v_lshlrev_b32_e32 v49, 16, v48
	v_fma_mixlo_f16 v48, v47, v50, 0 op_sel_hi:[0,1,0]
	v_fma_mixlo_f16 v50, v47, v54, 0 op_sel:[0,1,0] op_sel_hi:[0,1,0]
	v_fma_mixlo_f16 v51, v47, v51, 0 op_sel_hi:[0,1,0]
	v_fma_mixlo_f16 v52, v47, v52, 0 op_sel_hi:[0,1,0]
	v_lshlrev_b32_e32 v2, 16, v11
	v_and_b32_e32 v11, 0xffff, v53
	v_and_b32_e32 v55, 0xffff, v48
	v_lshlrev_b32_e32 v47, 16, v50
	v_and_b32_e32 v51, 0xffff, v51
	v_lshlrev_b32_e32 v10, 16, v10
	v_and_b32_e32 v48, 0xffff, v52
	v_or_b32_e32 v50, v2, v11
	v_or_b32_e32 v54, v49, v55
	;; [unrolled: 1-line block ×4, first 2 shown]
	s_and_saveexec_b32 s9, vcc_lo
	s_cbranch_execz .LBB294_745
; %bb.744:                              ;   in Loop: Header=BB294_481 Depth=1
	v_cmp_gt_i32_e64 s0, s27, v30
	v_cndmask_b32_e64 v50, 0, v55, s0
	v_cmp_gt_i32_e64 s0, s27, v36
	v_cndmask_b32_e64 v49, 0, v49, s0
	v_cmp_gt_i32_e64 s0, s27, v35
	v_or_b32_e32 v54, v49, v50
	v_cndmask_b32_e64 v11, 0, v11, s0
	v_cmp_gt_i32_e64 s0, s27, v34
	v_cndmask_b32_e64 v2, 0, v2, s0
	v_cmp_gt_i32_e64 s0, s27, v33
	v_or_b32_e32 v50, v2, v11
	;; [unrolled: 5-line block ×3, first 2 shown]
	v_cndmask_b32_e64 v48, 0, v48, s0
	v_cmp_gt_i32_e64 s0, s27, v15
	v_cndmask_b32_e64 v10, 0, v10, s0
	v_or_b32_e32 v52, v10, v48
.LBB294_745:                            ;   in Loop: Header=BB294_481 Depth=1
	s_or_b32 exec_lo, exec_lo, s9
	;;#ASMSTART
	v_pk_mul_f16 v2, v41, v54;

	;;#ASMEND
	;;#ASMSTART
	v_pk_mul_f16 v10, v39, v50;

	;;#ASMEND
	;; [unrolled: 4-line block ×4, first 2 shown]
	;;#ASMSTART
	v_pk_add_f16 v2, v2, v10;

	;;#ASMEND
	;;#ASMSTART
	v_pk_add_f16 v2, v2, v11;

	;;#ASMEND
	;; [unrolled: 4-line block ×3, first 2 shown]
	v_and_b32_e32 v10, 0xffff, v2
	v_lshrrev_b32_e32 v2, 16, v2
	;;#ASMSTART
	v_cvt_f32_f16 v47, v10;
	;;#ASMEND
	;;#ASMSTART
	v_cvt_f32_f16 v48, v2;
	;;#ASMEND
	global_load_dwordx2 v[10:11], v[8:9], off offset:1024
	v_mov_b32_e32 v50, 0
	v_mov_b32_e32 v51, 0
	global_load_dword v49, v50, s[14:15]
	s_waitcnt vmcnt(1)
	v_cmp_ne_u16_sdwa s0, v10, v3 src0_sel:BYTE_0 src1_sel:DWORD
	s_and_saveexec_b32 s9, s0
	s_cbranch_execz .LBB294_753
; %bb.746:                              ;   in Loop: Header=BB294_481 Depth=1
	v_cmp_ne_u16_sdwa s0, v10, v26 src0_sel:BYTE_0 src1_sel:DWORD
	v_mov_b32_e32 v51, 0x8000
	s_and_saveexec_b32 s12, s0
	s_cbranch_execz .LBB294_752
; %bb.747:                              ;   in Loop: Header=BB294_481 Depth=1
	v_and_b32_e32 v52, 0x7f, v10
	v_mov_b32_e32 v51, 0x7c01
	s_mov_b32 s13, exec_lo
	v_cmpx_ne_u32_e32 0x7f, v52
	s_cbranch_execz .LBB294_751
; %bb.748:                              ;   in Loop: Header=BB294_481 Depth=1
	v_and_b32_e32 v2, 7, v10
	v_lshrrev_b32_e32 v51, 3, v52
	s_mov_b32 s17, exec_lo
	v_cmpx_gt_u32_e32 8, v52
; %bb.749:                              ;   in Loop: Header=BB294_481 Depth=1
	v_ffbh_u32_e32 v2, v2
	v_min_u32_e32 v2, 32, v2
	v_subrev_nc_u32_e32 v51, 28, v2
	v_lshlrev_b64 v[52:53], v51, v[10:11]
	v_sub_nc_u32_e32 v51, 29, v2
	v_and_b32_e32 v2, 7, v52
; %bb.750:                              ;   in Loop: Header=BB294_481 Depth=1
	s_or_b32 exec_lo, exec_lo, s17
	v_lshlrev_b32_e32 v52, 8, v10
	v_lshl_add_u32 v51, v51, 10, 0x2000
	v_lshlrev_b32_e32 v2, 7, v2
	v_and_b32_e32 v52, 0x8000, v52
	v_and_b32_e32 v51, 0xfc00, v51
	v_or3_b32 v51, v52, v51, v2
.LBB294_751:                            ;   in Loop: Header=BB294_481 Depth=1
	s_or_b32 exec_lo, exec_lo, s13
.LBB294_752:                            ;   in Loop: Header=BB294_481 Depth=1
	s_or_b32 exec_lo, exec_lo, s12
.LBB294_753:                            ;   in Loop: Header=BB294_481 Depth=1
	s_or_b32 exec_lo, exec_lo, s9
	v_lshrrev_b16 v2, 8, v10
	s_mov_b32 s9, exec_lo
	v_cmpx_ne_u16_e32 0, v2
	s_cbranch_execz .LBB294_761
; %bb.754:                              ;   in Loop: Header=BB294_481 Depth=1
	v_bfrev_b32_e32 v50, 1
	s_mov_b32 s12, exec_lo
	v_cmpx_ne_u16_e32 0x80, v2
	s_cbranch_execz .LBB294_760
; %bb.755:                              ;   in Loop: Header=BB294_481 Depth=1
	v_and_b32_sdwa v53, v2, v27 dst_sel:DWORD dst_unused:UNUSED_PAD src0_sel:WORD_0 src1_sel:DWORD
	v_mov_b32_e32 v50, 0x7c010000
	s_mov_b32 s13, exec_lo
	v_cmpx_ne_u32_e32 0x7f, v53
	s_cbranch_execz .LBB294_759
; %bb.756:                              ;   in Loop: Header=BB294_481 Depth=1
	v_and_b32_sdwa v50, v2, v28 dst_sel:DWORD dst_unused:UNUSED_PAD src0_sel:WORD_0 src1_sel:DWORD
	v_lshrrev_b32_e32 v52, 3, v53
	s_mov_b32 s17, exec_lo
	v_cmpx_gt_u32_e32 8, v53
; %bb.757:                              ;   in Loop: Header=BB294_481 Depth=1
	v_ffbh_u32_e32 v50, v50
	v_min_u32_e32 v50, 32, v50
	v_subrev_nc_u32_e32 v52, 28, v50
	v_lshlrev_b64 v[53:54], v52, v[2:3]
	v_sub_nc_u32_e32 v52, 29, v50
	v_and_b32_e32 v50, 7, v53
; %bb.758:                              ;   in Loop: Header=BB294_481 Depth=1
	s_or_b32 exec_lo, exec_lo, s17
	v_lshlrev_b32_sdwa v2, v29, v2 dst_sel:DWORD dst_unused:UNUSED_PAD src0_sel:DWORD src1_sel:WORD_0
	v_lshl_add_u32 v52, v52, 10, 0x2000
	v_lshlrev_b32_e32 v50, 23, v50
	v_and_or_b32 v2, 0x8000, v2, v52
	v_lshl_or_b32 v50, v2, 16, v50
.LBB294_759:                            ;   in Loop: Header=BB294_481 Depth=1
	s_or_b32 exec_lo, exec_lo, s13
.LBB294_760:                            ;   in Loop: Header=BB294_481 Depth=1
	s_or_b32 exec_lo, exec_lo, s12
.LBB294_761:                            ;   in Loop: Header=BB294_481 Depth=1
	s_or_b32 exec_lo, exec_lo, s9
	v_lshrrev_b32_e32 v2, 16, v10
	v_mov_b32_e32 v52, 0
	v_mov_b32_e32 v53, 0
	v_cmp_ne_u16_sdwa s0, v2, v3 src0_sel:BYTE_0 src1_sel:DWORD
	s_and_saveexec_b32 s9, s0
	s_cbranch_execz .LBB294_769
; %bb.762:                              ;   in Loop: Header=BB294_481 Depth=1
	v_cmp_ne_u16_sdwa s0, v2, v26 src0_sel:BYTE_0 src1_sel:DWORD
	v_mov_b32_e32 v53, 0x8000
	s_and_saveexec_b32 s12, s0
	s_cbranch_execz .LBB294_768
; %bb.763:                              ;   in Loop: Header=BB294_481 Depth=1
	v_bfe_u32 v55, v10, 16, 7
	v_mov_b32_e32 v53, 0x7c01
	s_mov_b32 s13, exec_lo
	v_cmpx_ne_u32_e32 0x7f, v55
	s_cbranch_execz .LBB294_767
; %bb.764:                              ;   in Loop: Header=BB294_481 Depth=1
	v_and_b32_e32 v53, 7, v2
	v_lshrrev_b32_e32 v54, 3, v55
	s_mov_b32 s17, exec_lo
	v_cmpx_gt_u32_e32 8, v55
; %bb.765:                              ;   in Loop: Header=BB294_481 Depth=1
	v_ffbh_u32_e32 v53, v53
	v_min_u32_e32 v55, 32, v53
	v_subrev_nc_u32_e32 v53, 28, v55
	v_lshlrev_b64 v[53:54], v53, v[2:3]
	v_sub_nc_u32_e32 v54, 29, v55
	v_and_b32_e32 v53, 7, v53
; %bb.766:                              ;   in Loop: Header=BB294_481 Depth=1
	s_or_b32 exec_lo, exec_lo, s17
	v_lshlrev_b32_e32 v2, 8, v2
	v_lshl_add_u32 v54, v54, 10, 0x2000
	v_lshlrev_b32_e32 v53, 7, v53
	v_and_b32_e32 v2, 0x8000, v2
	v_and_b32_e32 v54, 0xfc00, v54
	v_or3_b32 v53, v2, v54, v53
.LBB294_767:                            ;   in Loop: Header=BB294_481 Depth=1
	s_or_b32 exec_lo, exec_lo, s13
.LBB294_768:                            ;   in Loop: Header=BB294_481 Depth=1
	s_or_b32 exec_lo, exec_lo, s12
.LBB294_769:                            ;   in Loop: Header=BB294_481 Depth=1
	s_or_b32 exec_lo, exec_lo, s9
	s_mov_b32 s9, exec_lo
	v_cmpx_lt_u32_e32 0xffffff, v10
	s_cbranch_execz .LBB294_777
; %bb.770:                              ;   in Loop: Header=BB294_481 Depth=1
	v_lshrrev_b32_e32 v2, 24, v10
	v_bfrev_b32_e32 v52, 1
	s_mov_b32 s12, exec_lo
	v_cmpx_ne_u32_e32 0x80, v2
	s_cbranch_execz .LBB294_776
; %bb.771:                              ;   in Loop: Header=BB294_481 Depth=1
	v_and_b32_e32 v55, 0x7f, v2
	v_mov_b32_e32 v52, 0x7c010000
	s_mov_b32 s13, exec_lo
	v_cmpx_ne_u32_e32 0x7f, v55
	s_cbranch_execz .LBB294_775
; %bb.772:                              ;   in Loop: Header=BB294_481 Depth=1
	v_and_b32_e32 v52, 7, v2
	v_lshrrev_b32_e32 v54, 3, v55
	s_mov_b32 s17, exec_lo
	v_cmpx_gt_u32_e32 8, v55
; %bb.773:                              ;   in Loop: Header=BB294_481 Depth=1
	v_ffbh_u32_e32 v52, v52
	v_min_u32_e32 v52, 32, v52
	v_subrev_nc_u32_e32 v54, 28, v52
	v_lshlrev_b64 v[55:56], v54, v[2:3]
	v_sub_nc_u32_e32 v54, 29, v52
	v_and_b32_e32 v52, 7, v55
; %bb.774:                              ;   in Loop: Header=BB294_481 Depth=1
	s_or_b32 exec_lo, exec_lo, s17
	v_lshlrev_b32_e32 v2, 8, v2
	v_lshl_add_u32 v54, v54, 10, 0x2000
	v_lshlrev_b32_e32 v52, 23, v52
	v_and_or_b32 v2, 0x8000, v2, v54
	v_lshl_or_b32 v52, v2, 16, v52
.LBB294_775:                            ;   in Loop: Header=BB294_481 Depth=1
	s_or_b32 exec_lo, exec_lo, s13
.LBB294_776:                            ;   in Loop: Header=BB294_481 Depth=1
	s_or_b32 exec_lo, exec_lo, s12
.LBB294_777:                            ;   in Loop: Header=BB294_481 Depth=1
	s_or_b32 exec_lo, exec_lo, s9
	v_mov_b32_e32 v2, v11
	v_cmp_ne_u16_sdwa s0, v11, v3 src0_sel:BYTE_0 src1_sel:DWORD
	v_mov_b32_e32 v54, 0
	v_mov_b32_e32 v55, 0
	s_and_saveexec_b32 s9, s0
	s_cbranch_execz .LBB294_785
; %bb.778:                              ;   in Loop: Header=BB294_481 Depth=1
	v_cmp_ne_u16_sdwa s0, v11, v26 src0_sel:BYTE_0 src1_sel:DWORD
	v_mov_b32_e32 v55, 0x8000
	s_and_saveexec_b32 s12, s0
	s_cbranch_execz .LBB294_784
; %bb.779:                              ;   in Loop: Header=BB294_481 Depth=1
	v_and_b32_e32 v57, 0x7f, v11
	v_mov_b32_e32 v55, 0x7c01
	s_mov_b32 s13, exec_lo
	v_cmpx_ne_u32_e32 0x7f, v57
	s_cbranch_execz .LBB294_783
; %bb.780:                              ;   in Loop: Header=BB294_481 Depth=1
	v_and_b32_e32 v55, 7, v11
	v_lshrrev_b32_e32 v56, 3, v57
	s_mov_b32 s17, exec_lo
	v_cmpx_gt_u32_e32 8, v57
; %bb.781:                              ;   in Loop: Header=BB294_481 Depth=1
	v_ffbh_u32_e32 v55, v55
	v_min_u32_e32 v57, 32, v55
	v_subrev_nc_u32_e32 v55, 28, v57
	v_lshlrev_b64 v[55:56], v55, v[2:3]
	v_sub_nc_u32_e32 v56, 29, v57
	v_and_b32_e32 v55, 7, v55
; %bb.782:                              ;   in Loop: Header=BB294_481 Depth=1
	s_or_b32 exec_lo, exec_lo, s17
	v_lshlrev_b32_e32 v57, 8, v11
	v_lshl_add_u32 v56, v56, 10, 0x2000
	v_lshlrev_b32_e32 v55, 7, v55
	v_and_b32_e32 v57, 0x8000, v57
	v_and_b32_e32 v56, 0xfc00, v56
	v_or3_b32 v55, v57, v56, v55
.LBB294_783:                            ;   in Loop: Header=BB294_481 Depth=1
	s_or_b32 exec_lo, exec_lo, s13
.LBB294_784:                            ;   in Loop: Header=BB294_481 Depth=1
	s_or_b32 exec_lo, exec_lo, s12
.LBB294_785:                            ;   in Loop: Header=BB294_481 Depth=1
	s_or_b32 exec_lo, exec_lo, s9
	v_lshrrev_b16 v2, 8, v2
	v_mov_b32_e32 v56, 0
	s_mov_b32 s9, exec_lo
	v_cmpx_ne_u16_e32 0, v2
	s_cbranch_execz .LBB294_793
; %bb.786:                              ;   in Loop: Header=BB294_481 Depth=1
	v_bfrev_b32_e32 v56, 1
	s_mov_b32 s12, exec_lo
	v_cmpx_ne_u16_e32 0x80, v2
	s_cbranch_execz .LBB294_792
; %bb.787:                              ;   in Loop: Header=BB294_481 Depth=1
	v_and_b32_sdwa v58, v2, v27 dst_sel:DWORD dst_unused:UNUSED_PAD src0_sel:WORD_0 src1_sel:DWORD
	v_mov_b32_e32 v56, 0x7c010000
	s_mov_b32 s13, exec_lo
	v_cmpx_ne_u32_e32 0x7f, v58
	s_cbranch_execz .LBB294_791
; %bb.788:                              ;   in Loop: Header=BB294_481 Depth=1
	v_and_b32_sdwa v56, v2, v28 dst_sel:DWORD dst_unused:UNUSED_PAD src0_sel:WORD_0 src1_sel:DWORD
	v_lshrrev_b32_e32 v57, 3, v58
	s_mov_b32 s17, exec_lo
	v_cmpx_gt_u32_e32 8, v58
; %bb.789:                              ;   in Loop: Header=BB294_481 Depth=1
	v_ffbh_u32_e32 v56, v56
	v_min_u32_e32 v58, 32, v56
	v_subrev_nc_u32_e32 v56, 28, v58
	v_lshlrev_b64 v[56:57], v56, v[2:3]
	v_sub_nc_u32_e32 v57, 29, v58
	v_and_b32_e32 v56, 7, v56
; %bb.790:                              ;   in Loop: Header=BB294_481 Depth=1
	s_or_b32 exec_lo, exec_lo, s17
	v_lshlrev_b32_sdwa v2, v29, v2 dst_sel:DWORD dst_unused:UNUSED_PAD src0_sel:DWORD src1_sel:WORD_0
	v_lshl_add_u32 v57, v57, 10, 0x2000
	v_lshlrev_b32_e32 v56, 23, v56
	v_and_or_b32 v2, 0x8000, v2, v57
	v_lshl_or_b32 v56, v2, 16, v56
.LBB294_791:                            ;   in Loop: Header=BB294_481 Depth=1
	s_or_b32 exec_lo, exec_lo, s13
.LBB294_792:                            ;   in Loop: Header=BB294_481 Depth=1
	s_or_b32 exec_lo, exec_lo, s12
.LBB294_793:                            ;   in Loop: Header=BB294_481 Depth=1
	s_or_b32 exec_lo, exec_lo, s9
	v_lshrrev_b32_e32 v2, 16, v11
	v_cmp_ne_u16_sdwa s0, v2, v3 src0_sel:BYTE_0 src1_sel:DWORD
	s_and_saveexec_b32 s9, s0
	s_cbranch_execz .LBB294_801
; %bb.794:                              ;   in Loop: Header=BB294_481 Depth=1
	v_cmp_ne_u16_sdwa s0, v2, v26 src0_sel:BYTE_0 src1_sel:DWORD
	v_mov_b32_e32 v54, 0x8000
	s_and_saveexec_b32 s12, s0
	s_cbranch_execz .LBB294_800
; %bb.795:                              ;   in Loop: Header=BB294_481 Depth=1
	v_bfe_u32 v58, v11, 16, 7
	v_mov_b32_e32 v54, 0x7c01
	s_mov_b32 s13, exec_lo
	v_cmpx_ne_u32_e32 0x7f, v58
	s_cbranch_execz .LBB294_799
; %bb.796:                              ;   in Loop: Header=BB294_481 Depth=1
	v_and_b32_e32 v54, 7, v2
	v_lshrrev_b32_e32 v57, 3, v58
	s_mov_b32 s17, exec_lo
	v_cmpx_gt_u32_e32 8, v58
; %bb.797:                              ;   in Loop: Header=BB294_481 Depth=1
	v_ffbh_u32_e32 v54, v54
	v_min_u32_e32 v54, 32, v54
	v_subrev_nc_u32_e32 v57, 28, v54
	v_lshlrev_b64 v[58:59], v57, v[2:3]
	v_sub_nc_u32_e32 v57, 29, v54
	v_and_b32_e32 v54, 7, v58
; %bb.798:                              ;   in Loop: Header=BB294_481 Depth=1
	s_or_b32 exec_lo, exec_lo, s17
	v_lshlrev_b32_e32 v2, 8, v2
	v_lshl_add_u32 v57, v57, 10, 0x2000
	v_lshlrev_b32_e32 v54, 7, v54
	v_and_b32_e32 v2, 0x8000, v2
	v_and_b32_e32 v57, 0xfc00, v57
	v_or3_b32 v54, v2, v57, v54
.LBB294_799:                            ;   in Loop: Header=BB294_481 Depth=1
	s_or_b32 exec_lo, exec_lo, s13
.LBB294_800:                            ;   in Loop: Header=BB294_481 Depth=1
	s_or_b32 exec_lo, exec_lo, s12
.LBB294_801:                            ;   in Loop: Header=BB294_481 Depth=1
	s_or_b32 exec_lo, exec_lo, s9
	v_cmp_lt_u64_e64 s0, s[4:5], v[10:11]
	v_mov_b32_e32 v10, 0
	s_and_saveexec_b32 s9, s0
	s_cbranch_execz .LBB294_809
; %bb.802:                              ;   in Loop: Header=BB294_481 Depth=1
	v_lshrrev_b32_e32 v2, 24, v11
	v_bfrev_b32_e32 v10, 1
	s_mov_b32 s12, exec_lo
	v_cmpx_ne_u32_e32 0x80, v2
	s_cbranch_execz .LBB294_808
; %bb.803:                              ;   in Loop: Header=BB294_481 Depth=1
	v_and_b32_e32 v57, 0x7f, v2
	v_mov_b32_e32 v10, 0x7c010000
	s_mov_b32 s13, exec_lo
	v_cmpx_ne_u32_e32 0x7f, v57
	s_cbranch_execz .LBB294_807
; %bb.804:                              ;   in Loop: Header=BB294_481 Depth=1
	v_and_b32_e32 v10, 7, v2
	v_lshrrev_b32_e32 v11, 3, v57
	s_mov_b32 s17, exec_lo
	v_cmpx_gt_u32_e32 8, v57
; %bb.805:                              ;   in Loop: Header=BB294_481 Depth=1
	v_ffbh_u32_e32 v10, v10
	v_min_u32_e32 v57, 32, v10
	v_subrev_nc_u32_e32 v10, 28, v57
	v_lshlrev_b64 v[10:11], v10, v[2:3]
	v_sub_nc_u32_e32 v11, 29, v57
	v_and_b32_e32 v10, 7, v10
; %bb.806:                              ;   in Loop: Header=BB294_481 Depth=1
	s_or_b32 exec_lo, exec_lo, s17
	v_lshlrev_b32_e32 v2, 8, v2
	v_lshl_add_u32 v11, v11, 10, 0x2000
	v_lshlrev_b32_e32 v10, 23, v10
	v_and_or_b32 v2, 0x8000, v2, v11
	v_lshl_or_b32 v10, v2, 16, v10
.LBB294_807:                            ;   in Loop: Header=BB294_481 Depth=1
	s_or_b32 exec_lo, exec_lo, s13
.LBB294_808:                            ;   in Loop: Header=BB294_481 Depth=1
	s_or_b32 exec_lo, exec_lo, s12
.LBB294_809:                            ;   in Loop: Header=BB294_481 Depth=1
	s_or_b32 exec_lo, exec_lo, s9
	v_or_b32_e32 v2, v52, v53
	s_waitcnt vmcnt(0)
	v_fma_mixlo_f16 v11, v49, v52, 0 op_sel:[0,1,0] op_sel_hi:[0,1,0]
	v_or_b32_e32 v52, v50, v51
	v_fma_mixlo_f16 v50, v49, v50, 0 op_sel:[0,1,0] op_sel_hi:[0,1,0]
	v_or_b32_e32 v53, v56, v55
	v_or_b32_e32 v54, v10, v54
	v_fma_mixlo_f16 v55, v49, v2, 0 op_sel_hi:[0,1,0]
	v_fma_mixlo_f16 v10, v49, v10, 0 op_sel:[0,1,0] op_sel_hi:[0,1,0]
	v_lshlrev_b32_e32 v51, 16, v50
	v_fma_mixlo_f16 v50, v49, v52, 0 op_sel_hi:[0,1,0]
	v_fma_mixlo_f16 v52, v49, v56, 0 op_sel:[0,1,0] op_sel_hi:[0,1,0]
	v_fma_mixlo_f16 v53, v49, v53, 0 op_sel_hi:[0,1,0]
	v_fma_mixlo_f16 v54, v49, v54, 0 op_sel_hi:[0,1,0]
	v_lshlrev_b32_e32 v2, 16, v11
	v_and_b32_e32 v11, 0xffff, v55
	v_and_b32_e32 v57, 0xffff, v50
	v_lshlrev_b32_e32 v49, 16, v52
	v_and_b32_e32 v53, 0xffff, v53
	v_lshlrev_b32_e32 v10, 16, v10
	v_and_b32_e32 v50, 0xffff, v54
	v_or_b32_e32 v52, v2, v11
	v_or_b32_e32 v56, v51, v57
	;; [unrolled: 1-line block ×4, first 2 shown]
	s_and_saveexec_b32 s9, vcc_lo
	s_cbranch_execz .LBB294_811
; %bb.810:                              ;   in Loop: Header=BB294_481 Depth=1
	v_cmp_gt_i32_e64 s0, s27, v30
	v_cndmask_b32_e64 v52, 0, v57, s0
	v_cmp_gt_i32_e64 s0, s27, v36
	v_cndmask_b32_e64 v51, 0, v51, s0
	v_cmp_gt_i32_e64 s0, s27, v35
	v_or_b32_e32 v56, v51, v52
	v_cndmask_b32_e64 v11, 0, v11, s0
	v_cmp_gt_i32_e64 s0, s27, v34
	v_cndmask_b32_e64 v2, 0, v2, s0
	v_cmp_gt_i32_e64 s0, s27, v33
	v_or_b32_e32 v52, v2, v11
	;; [unrolled: 5-line block ×3, first 2 shown]
	v_cndmask_b32_e64 v50, 0, v50, s0
	v_cmp_gt_i32_e64 s0, s27, v15
	v_cndmask_b32_e64 v10, 0, v10, s0
	v_or_b32_e32 v54, v10, v50
.LBB294_811:                            ;   in Loop: Header=BB294_481 Depth=1
	s_or_b32 exec_lo, exec_lo, s9
	;;#ASMSTART
	v_pk_mul_f16 v2, v41, v56;

	;;#ASMEND
	;;#ASMSTART
	v_pk_mul_f16 v10, v39, v52;

	;;#ASMEND
	;; [unrolled: 4-line block ×4, first 2 shown]
	;;#ASMSTART
	v_pk_add_f16 v2, v2, v10;

	;;#ASMEND
	;;#ASMSTART
	v_pk_add_f16 v2, v2, v11;

	;;#ASMEND
	;; [unrolled: 4-line block ×3, first 2 shown]
	v_and_b32_e32 v10, 0xffff, v2
	v_lshrrev_b32_e32 v2, 16, v2
	;;#ASMSTART
	v_cvt_f32_f16 v49, v10;
	;;#ASMEND
	;;#ASMSTART
	v_cvt_f32_f16 v50, v2;
	;;#ASMEND
	global_load_dwordx2 v[10:11], v[8:9], off offset:1280
	v_mov_b32_e32 v52, 0
	v_mov_b32_e32 v53, 0
	global_load_dword v51, v52, s[14:15]
	s_waitcnt vmcnt(1)
	v_cmp_ne_u16_sdwa s0, v10, v3 src0_sel:BYTE_0 src1_sel:DWORD
	s_and_saveexec_b32 s9, s0
	s_cbranch_execz .LBB294_819
; %bb.812:                              ;   in Loop: Header=BB294_481 Depth=1
	v_cmp_ne_u16_sdwa s0, v10, v26 src0_sel:BYTE_0 src1_sel:DWORD
	v_mov_b32_e32 v53, 0x8000
	s_and_saveexec_b32 s12, s0
	s_cbranch_execz .LBB294_818
; %bb.813:                              ;   in Loop: Header=BB294_481 Depth=1
	v_and_b32_e32 v54, 0x7f, v10
	v_mov_b32_e32 v53, 0x7c01
	s_mov_b32 s13, exec_lo
	v_cmpx_ne_u32_e32 0x7f, v54
	s_cbranch_execz .LBB294_817
; %bb.814:                              ;   in Loop: Header=BB294_481 Depth=1
	v_and_b32_e32 v2, 7, v10
	v_lshrrev_b32_e32 v53, 3, v54
	s_mov_b32 s17, exec_lo
	v_cmpx_gt_u32_e32 8, v54
; %bb.815:                              ;   in Loop: Header=BB294_481 Depth=1
	v_ffbh_u32_e32 v2, v2
	v_min_u32_e32 v2, 32, v2
	v_subrev_nc_u32_e32 v53, 28, v2
	v_lshlrev_b64 v[54:55], v53, v[10:11]
	v_sub_nc_u32_e32 v53, 29, v2
	v_and_b32_e32 v2, 7, v54
; %bb.816:                              ;   in Loop: Header=BB294_481 Depth=1
	s_or_b32 exec_lo, exec_lo, s17
	v_lshlrev_b32_e32 v54, 8, v10
	v_lshl_add_u32 v53, v53, 10, 0x2000
	v_lshlrev_b32_e32 v2, 7, v2
	v_and_b32_e32 v54, 0x8000, v54
	v_and_b32_e32 v53, 0xfc00, v53
	v_or3_b32 v53, v54, v53, v2
.LBB294_817:                            ;   in Loop: Header=BB294_481 Depth=1
	s_or_b32 exec_lo, exec_lo, s13
.LBB294_818:                            ;   in Loop: Header=BB294_481 Depth=1
	s_or_b32 exec_lo, exec_lo, s12
.LBB294_819:                            ;   in Loop: Header=BB294_481 Depth=1
	s_or_b32 exec_lo, exec_lo, s9
	v_lshrrev_b16 v2, 8, v10
	s_mov_b32 s9, exec_lo
	v_cmpx_ne_u16_e32 0, v2
	s_cbranch_execz .LBB294_827
; %bb.820:                              ;   in Loop: Header=BB294_481 Depth=1
	v_bfrev_b32_e32 v52, 1
	s_mov_b32 s12, exec_lo
	v_cmpx_ne_u16_e32 0x80, v2
	s_cbranch_execz .LBB294_826
; %bb.821:                              ;   in Loop: Header=BB294_481 Depth=1
	v_and_b32_sdwa v55, v2, v27 dst_sel:DWORD dst_unused:UNUSED_PAD src0_sel:WORD_0 src1_sel:DWORD
	v_mov_b32_e32 v52, 0x7c010000
	s_mov_b32 s13, exec_lo
	v_cmpx_ne_u32_e32 0x7f, v55
	s_cbranch_execz .LBB294_825
; %bb.822:                              ;   in Loop: Header=BB294_481 Depth=1
	v_and_b32_sdwa v52, v2, v28 dst_sel:DWORD dst_unused:UNUSED_PAD src0_sel:WORD_0 src1_sel:DWORD
	v_lshrrev_b32_e32 v54, 3, v55
	s_mov_b32 s17, exec_lo
	v_cmpx_gt_u32_e32 8, v55
; %bb.823:                              ;   in Loop: Header=BB294_481 Depth=1
	v_ffbh_u32_e32 v52, v52
	v_min_u32_e32 v52, 32, v52
	v_subrev_nc_u32_e32 v54, 28, v52
	v_lshlrev_b64 v[55:56], v54, v[2:3]
	v_sub_nc_u32_e32 v54, 29, v52
	v_and_b32_e32 v52, 7, v55
; %bb.824:                              ;   in Loop: Header=BB294_481 Depth=1
	s_or_b32 exec_lo, exec_lo, s17
	v_lshlrev_b32_sdwa v2, v29, v2 dst_sel:DWORD dst_unused:UNUSED_PAD src0_sel:DWORD src1_sel:WORD_0
	v_lshl_add_u32 v54, v54, 10, 0x2000
	v_lshlrev_b32_e32 v52, 23, v52
	v_and_or_b32 v2, 0x8000, v2, v54
	v_lshl_or_b32 v52, v2, 16, v52
.LBB294_825:                            ;   in Loop: Header=BB294_481 Depth=1
	s_or_b32 exec_lo, exec_lo, s13
.LBB294_826:                            ;   in Loop: Header=BB294_481 Depth=1
	s_or_b32 exec_lo, exec_lo, s12
.LBB294_827:                            ;   in Loop: Header=BB294_481 Depth=1
	s_or_b32 exec_lo, exec_lo, s9
	v_lshrrev_b32_e32 v2, 16, v10
	v_mov_b32_e32 v54, 0
	v_mov_b32_e32 v55, 0
	v_cmp_ne_u16_sdwa s0, v2, v3 src0_sel:BYTE_0 src1_sel:DWORD
	s_and_saveexec_b32 s9, s0
	s_cbranch_execz .LBB294_835
; %bb.828:                              ;   in Loop: Header=BB294_481 Depth=1
	v_cmp_ne_u16_sdwa s0, v2, v26 src0_sel:BYTE_0 src1_sel:DWORD
	v_mov_b32_e32 v55, 0x8000
	s_and_saveexec_b32 s12, s0
	s_cbranch_execz .LBB294_834
; %bb.829:                              ;   in Loop: Header=BB294_481 Depth=1
	v_bfe_u32 v57, v10, 16, 7
	v_mov_b32_e32 v55, 0x7c01
	s_mov_b32 s13, exec_lo
	v_cmpx_ne_u32_e32 0x7f, v57
	s_cbranch_execz .LBB294_833
; %bb.830:                              ;   in Loop: Header=BB294_481 Depth=1
	v_and_b32_e32 v55, 7, v2
	v_lshrrev_b32_e32 v56, 3, v57
	s_mov_b32 s17, exec_lo
	v_cmpx_gt_u32_e32 8, v57
; %bb.831:                              ;   in Loop: Header=BB294_481 Depth=1
	v_ffbh_u32_e32 v55, v55
	v_min_u32_e32 v57, 32, v55
	v_subrev_nc_u32_e32 v55, 28, v57
	v_lshlrev_b64 v[55:56], v55, v[2:3]
	v_sub_nc_u32_e32 v56, 29, v57
	v_and_b32_e32 v55, 7, v55
; %bb.832:                              ;   in Loop: Header=BB294_481 Depth=1
	s_or_b32 exec_lo, exec_lo, s17
	v_lshlrev_b32_e32 v2, 8, v2
	v_lshl_add_u32 v56, v56, 10, 0x2000
	v_lshlrev_b32_e32 v55, 7, v55
	v_and_b32_e32 v2, 0x8000, v2
	v_and_b32_e32 v56, 0xfc00, v56
	v_or3_b32 v55, v2, v56, v55
.LBB294_833:                            ;   in Loop: Header=BB294_481 Depth=1
	s_or_b32 exec_lo, exec_lo, s13
.LBB294_834:                            ;   in Loop: Header=BB294_481 Depth=1
	s_or_b32 exec_lo, exec_lo, s12
.LBB294_835:                            ;   in Loop: Header=BB294_481 Depth=1
	s_or_b32 exec_lo, exec_lo, s9
	s_mov_b32 s9, exec_lo
	v_cmpx_lt_u32_e32 0xffffff, v10
	s_cbranch_execz .LBB294_843
; %bb.836:                              ;   in Loop: Header=BB294_481 Depth=1
	v_lshrrev_b32_e32 v2, 24, v10
	v_bfrev_b32_e32 v54, 1
	s_mov_b32 s12, exec_lo
	v_cmpx_ne_u32_e32 0x80, v2
	s_cbranch_execz .LBB294_842
; %bb.837:                              ;   in Loop: Header=BB294_481 Depth=1
	v_and_b32_e32 v57, 0x7f, v2
	v_mov_b32_e32 v54, 0x7c010000
	s_mov_b32 s13, exec_lo
	v_cmpx_ne_u32_e32 0x7f, v57
	s_cbranch_execz .LBB294_841
; %bb.838:                              ;   in Loop: Header=BB294_481 Depth=1
	v_and_b32_e32 v54, 7, v2
	v_lshrrev_b32_e32 v56, 3, v57
	s_mov_b32 s17, exec_lo
	v_cmpx_gt_u32_e32 8, v57
; %bb.839:                              ;   in Loop: Header=BB294_481 Depth=1
	v_ffbh_u32_e32 v54, v54
	v_min_u32_e32 v54, 32, v54
	v_subrev_nc_u32_e32 v56, 28, v54
	v_lshlrev_b64 v[57:58], v56, v[2:3]
	v_sub_nc_u32_e32 v56, 29, v54
	v_and_b32_e32 v54, 7, v57
; %bb.840:                              ;   in Loop: Header=BB294_481 Depth=1
	s_or_b32 exec_lo, exec_lo, s17
	v_lshlrev_b32_e32 v2, 8, v2
	v_lshl_add_u32 v56, v56, 10, 0x2000
	v_lshlrev_b32_e32 v54, 23, v54
	v_and_or_b32 v2, 0x8000, v2, v56
	v_lshl_or_b32 v54, v2, 16, v54
.LBB294_841:                            ;   in Loop: Header=BB294_481 Depth=1
	s_or_b32 exec_lo, exec_lo, s13
.LBB294_842:                            ;   in Loop: Header=BB294_481 Depth=1
	s_or_b32 exec_lo, exec_lo, s12
.LBB294_843:                            ;   in Loop: Header=BB294_481 Depth=1
	s_or_b32 exec_lo, exec_lo, s9
	v_mov_b32_e32 v2, v11
	v_cmp_ne_u16_sdwa s0, v11, v3 src0_sel:BYTE_0 src1_sel:DWORD
	v_mov_b32_e32 v56, 0
	v_mov_b32_e32 v57, 0
	s_and_saveexec_b32 s9, s0
	s_cbranch_execz .LBB294_851
; %bb.844:                              ;   in Loop: Header=BB294_481 Depth=1
	v_cmp_ne_u16_sdwa s0, v11, v26 src0_sel:BYTE_0 src1_sel:DWORD
	v_mov_b32_e32 v57, 0x8000
	s_and_saveexec_b32 s12, s0
	s_cbranch_execz .LBB294_850
; %bb.845:                              ;   in Loop: Header=BB294_481 Depth=1
	v_and_b32_e32 v59, 0x7f, v11
	v_mov_b32_e32 v57, 0x7c01
	s_mov_b32 s13, exec_lo
	v_cmpx_ne_u32_e32 0x7f, v59
	s_cbranch_execz .LBB294_849
; %bb.846:                              ;   in Loop: Header=BB294_481 Depth=1
	v_and_b32_e32 v57, 7, v11
	v_lshrrev_b32_e32 v58, 3, v59
	s_mov_b32 s17, exec_lo
	v_cmpx_gt_u32_e32 8, v59
; %bb.847:                              ;   in Loop: Header=BB294_481 Depth=1
	v_ffbh_u32_e32 v57, v57
	v_min_u32_e32 v59, 32, v57
	v_subrev_nc_u32_e32 v57, 28, v59
	v_lshlrev_b64 v[57:58], v57, v[2:3]
	v_sub_nc_u32_e32 v58, 29, v59
	v_and_b32_e32 v57, 7, v57
; %bb.848:                              ;   in Loop: Header=BB294_481 Depth=1
	s_or_b32 exec_lo, exec_lo, s17
	v_lshlrev_b32_e32 v59, 8, v11
	v_lshl_add_u32 v58, v58, 10, 0x2000
	v_lshlrev_b32_e32 v57, 7, v57
	v_and_b32_e32 v59, 0x8000, v59
	v_and_b32_e32 v58, 0xfc00, v58
	v_or3_b32 v57, v59, v58, v57
.LBB294_849:                            ;   in Loop: Header=BB294_481 Depth=1
	s_or_b32 exec_lo, exec_lo, s13
.LBB294_850:                            ;   in Loop: Header=BB294_481 Depth=1
	s_or_b32 exec_lo, exec_lo, s12
.LBB294_851:                            ;   in Loop: Header=BB294_481 Depth=1
	s_or_b32 exec_lo, exec_lo, s9
	v_lshrrev_b16 v2, 8, v2
	v_mov_b32_e32 v58, 0
	s_mov_b32 s9, exec_lo
	v_cmpx_ne_u16_e32 0, v2
	s_cbranch_execz .LBB294_859
; %bb.852:                              ;   in Loop: Header=BB294_481 Depth=1
	v_bfrev_b32_e32 v58, 1
	s_mov_b32 s12, exec_lo
	v_cmpx_ne_u16_e32 0x80, v2
	s_cbranch_execz .LBB294_858
; %bb.853:                              ;   in Loop: Header=BB294_481 Depth=1
	v_and_b32_sdwa v60, v2, v27 dst_sel:DWORD dst_unused:UNUSED_PAD src0_sel:WORD_0 src1_sel:DWORD
	v_mov_b32_e32 v58, 0x7c010000
	s_mov_b32 s13, exec_lo
	v_cmpx_ne_u32_e32 0x7f, v60
	s_cbranch_execz .LBB294_857
; %bb.854:                              ;   in Loop: Header=BB294_481 Depth=1
	v_and_b32_sdwa v58, v2, v28 dst_sel:DWORD dst_unused:UNUSED_PAD src0_sel:WORD_0 src1_sel:DWORD
	v_lshrrev_b32_e32 v59, 3, v60
	s_mov_b32 s17, exec_lo
	v_cmpx_gt_u32_e32 8, v60
; %bb.855:                              ;   in Loop: Header=BB294_481 Depth=1
	v_ffbh_u32_e32 v58, v58
	v_min_u32_e32 v60, 32, v58
	v_subrev_nc_u32_e32 v58, 28, v60
	v_lshlrev_b64 v[58:59], v58, v[2:3]
	v_sub_nc_u32_e32 v59, 29, v60
	v_and_b32_e32 v58, 7, v58
; %bb.856:                              ;   in Loop: Header=BB294_481 Depth=1
	s_or_b32 exec_lo, exec_lo, s17
	v_lshlrev_b32_sdwa v2, v29, v2 dst_sel:DWORD dst_unused:UNUSED_PAD src0_sel:DWORD src1_sel:WORD_0
	v_lshl_add_u32 v59, v59, 10, 0x2000
	v_lshlrev_b32_e32 v58, 23, v58
	v_and_or_b32 v2, 0x8000, v2, v59
	v_lshl_or_b32 v58, v2, 16, v58
.LBB294_857:                            ;   in Loop: Header=BB294_481 Depth=1
	s_or_b32 exec_lo, exec_lo, s13
.LBB294_858:                            ;   in Loop: Header=BB294_481 Depth=1
	s_or_b32 exec_lo, exec_lo, s12
.LBB294_859:                            ;   in Loop: Header=BB294_481 Depth=1
	s_or_b32 exec_lo, exec_lo, s9
	v_lshrrev_b32_e32 v2, 16, v11
	v_cmp_ne_u16_sdwa s0, v2, v3 src0_sel:BYTE_0 src1_sel:DWORD
	s_and_saveexec_b32 s9, s0
	s_cbranch_execz .LBB294_867
; %bb.860:                              ;   in Loop: Header=BB294_481 Depth=1
	v_cmp_ne_u16_sdwa s0, v2, v26 src0_sel:BYTE_0 src1_sel:DWORD
	v_mov_b32_e32 v56, 0x8000
	s_and_saveexec_b32 s12, s0
	s_cbranch_execz .LBB294_866
; %bb.861:                              ;   in Loop: Header=BB294_481 Depth=1
	v_bfe_u32 v60, v11, 16, 7
	v_mov_b32_e32 v56, 0x7c01
	s_mov_b32 s13, exec_lo
	v_cmpx_ne_u32_e32 0x7f, v60
	s_cbranch_execz .LBB294_865
; %bb.862:                              ;   in Loop: Header=BB294_481 Depth=1
	v_and_b32_e32 v56, 7, v2
	v_lshrrev_b32_e32 v59, 3, v60
	s_mov_b32 s17, exec_lo
	v_cmpx_gt_u32_e32 8, v60
; %bb.863:                              ;   in Loop: Header=BB294_481 Depth=1
	v_ffbh_u32_e32 v56, v56
	v_min_u32_e32 v56, 32, v56
	v_subrev_nc_u32_e32 v59, 28, v56
	v_lshlrev_b64 v[60:61], v59, v[2:3]
	v_sub_nc_u32_e32 v59, 29, v56
	v_and_b32_e32 v56, 7, v60
; %bb.864:                              ;   in Loop: Header=BB294_481 Depth=1
	s_or_b32 exec_lo, exec_lo, s17
	v_lshlrev_b32_e32 v2, 8, v2
	v_lshl_add_u32 v59, v59, 10, 0x2000
	v_lshlrev_b32_e32 v56, 7, v56
	v_and_b32_e32 v2, 0x8000, v2
	v_and_b32_e32 v59, 0xfc00, v59
	v_or3_b32 v56, v2, v59, v56
.LBB294_865:                            ;   in Loop: Header=BB294_481 Depth=1
	s_or_b32 exec_lo, exec_lo, s13
.LBB294_866:                            ;   in Loop: Header=BB294_481 Depth=1
	s_or_b32 exec_lo, exec_lo, s12
.LBB294_867:                            ;   in Loop: Header=BB294_481 Depth=1
	s_or_b32 exec_lo, exec_lo, s9
	v_cmp_lt_u64_e64 s0, s[4:5], v[10:11]
	v_mov_b32_e32 v10, 0
	s_and_saveexec_b32 s9, s0
	s_cbranch_execz .LBB294_875
; %bb.868:                              ;   in Loop: Header=BB294_481 Depth=1
	v_lshrrev_b32_e32 v2, 24, v11
	v_bfrev_b32_e32 v10, 1
	s_mov_b32 s12, exec_lo
	v_cmpx_ne_u32_e32 0x80, v2
	s_cbranch_execz .LBB294_874
; %bb.869:                              ;   in Loop: Header=BB294_481 Depth=1
	v_and_b32_e32 v59, 0x7f, v2
	v_mov_b32_e32 v10, 0x7c010000
	s_mov_b32 s13, exec_lo
	v_cmpx_ne_u32_e32 0x7f, v59
	s_cbranch_execz .LBB294_873
; %bb.870:                              ;   in Loop: Header=BB294_481 Depth=1
	v_and_b32_e32 v10, 7, v2
	v_lshrrev_b32_e32 v11, 3, v59
	s_mov_b32 s17, exec_lo
	v_cmpx_gt_u32_e32 8, v59
; %bb.871:                              ;   in Loop: Header=BB294_481 Depth=1
	v_ffbh_u32_e32 v10, v10
	v_min_u32_e32 v59, 32, v10
	v_subrev_nc_u32_e32 v10, 28, v59
	v_lshlrev_b64 v[10:11], v10, v[2:3]
	v_sub_nc_u32_e32 v11, 29, v59
	v_and_b32_e32 v10, 7, v10
; %bb.872:                              ;   in Loop: Header=BB294_481 Depth=1
	s_or_b32 exec_lo, exec_lo, s17
	v_lshlrev_b32_e32 v2, 8, v2
	v_lshl_add_u32 v11, v11, 10, 0x2000
	v_lshlrev_b32_e32 v10, 23, v10
	v_and_or_b32 v2, 0x8000, v2, v11
	v_lshl_or_b32 v10, v2, 16, v10
.LBB294_873:                            ;   in Loop: Header=BB294_481 Depth=1
	s_or_b32 exec_lo, exec_lo, s13
.LBB294_874:                            ;   in Loop: Header=BB294_481 Depth=1
	s_or_b32 exec_lo, exec_lo, s12
.LBB294_875:                            ;   in Loop: Header=BB294_481 Depth=1
	s_or_b32 exec_lo, exec_lo, s9
	v_or_b32_e32 v2, v54, v55
	s_waitcnt vmcnt(0)
	v_fma_mixlo_f16 v11, v51, v54, 0 op_sel:[0,1,0] op_sel_hi:[0,1,0]
	v_or_b32_e32 v54, v52, v53
	v_fma_mixlo_f16 v52, v51, v52, 0 op_sel:[0,1,0] op_sel_hi:[0,1,0]
	v_or_b32_e32 v55, v58, v57
	v_or_b32_e32 v56, v10, v56
	v_fma_mixlo_f16 v57, v51, v2, 0 op_sel_hi:[0,1,0]
	v_fma_mixlo_f16 v10, v51, v10, 0 op_sel:[0,1,0] op_sel_hi:[0,1,0]
	v_lshlrev_b32_e32 v53, 16, v52
	v_fma_mixlo_f16 v52, v51, v54, 0 op_sel_hi:[0,1,0]
	v_fma_mixlo_f16 v54, v51, v58, 0 op_sel:[0,1,0] op_sel_hi:[0,1,0]
	v_fma_mixlo_f16 v55, v51, v55, 0 op_sel_hi:[0,1,0]
	v_fma_mixlo_f16 v56, v51, v56, 0 op_sel_hi:[0,1,0]
	v_lshlrev_b32_e32 v2, 16, v11
	v_and_b32_e32 v11, 0xffff, v57
	v_and_b32_e32 v59, 0xffff, v52
	v_lshlrev_b32_e32 v51, 16, v54
	v_and_b32_e32 v55, 0xffff, v55
	v_lshlrev_b32_e32 v10, 16, v10
	v_and_b32_e32 v52, 0xffff, v56
	v_or_b32_e32 v54, v2, v11
	v_or_b32_e32 v58, v53, v59
	;; [unrolled: 1-line block ×4, first 2 shown]
	s_and_saveexec_b32 s9, vcc_lo
	s_cbranch_execz .LBB294_877
; %bb.876:                              ;   in Loop: Header=BB294_481 Depth=1
	v_cmp_gt_i32_e64 s0, s27, v30
	v_cndmask_b32_e64 v54, 0, v59, s0
	v_cmp_gt_i32_e64 s0, s27, v36
	v_cndmask_b32_e64 v53, 0, v53, s0
	v_cmp_gt_i32_e64 s0, s27, v35
	v_or_b32_e32 v58, v53, v54
	v_cndmask_b32_e64 v11, 0, v11, s0
	v_cmp_gt_i32_e64 s0, s27, v34
	v_cndmask_b32_e64 v2, 0, v2, s0
	v_cmp_gt_i32_e64 s0, s27, v33
	v_or_b32_e32 v54, v2, v11
	;; [unrolled: 5-line block ×3, first 2 shown]
	v_cndmask_b32_e64 v52, 0, v52, s0
	v_cmp_gt_i32_e64 s0, s27, v15
	v_cndmask_b32_e64 v10, 0, v10, s0
	v_or_b32_e32 v56, v10, v52
.LBB294_877:                            ;   in Loop: Header=BB294_481 Depth=1
	s_or_b32 exec_lo, exec_lo, s9
	;;#ASMSTART
	v_pk_mul_f16 v2, v41, v58;

	;;#ASMEND
	;;#ASMSTART
	v_pk_mul_f16 v10, v39, v54;

	;;#ASMEND
	;; [unrolled: 4-line block ×4, first 2 shown]
	;;#ASMSTART
	v_pk_add_f16 v2, v2, v10;

	;;#ASMEND
	;;#ASMSTART
	v_pk_add_f16 v2, v2, v11;

	;;#ASMEND
	;; [unrolled: 4-line block ×3, first 2 shown]
	v_and_b32_e32 v10, 0xffff, v2
	v_lshrrev_b32_e32 v2, 16, v2
	;;#ASMSTART
	v_cvt_f32_f16 v10, v10;
	;;#ASMEND
	;;#ASMSTART
	v_cvt_f32_f16 v11, v2;
	;;#ASMEND
	global_load_dwordx2 v[8:9], v[8:9], off offset:1536
	v_mov_b32_e32 v52, 0
	v_mov_b32_e32 v53, 0
	global_load_dword v51, v52, s[14:15]
	s_waitcnt vmcnt(1)
	v_cmp_ne_u16_sdwa s0, v8, v3 src0_sel:BYTE_0 src1_sel:DWORD
	s_and_saveexec_b32 s9, s0
	s_cbranch_execz .LBB294_885
; %bb.878:                              ;   in Loop: Header=BB294_481 Depth=1
	v_cmp_ne_u16_sdwa s0, v8, v26 src0_sel:BYTE_0 src1_sel:DWORD
	v_mov_b32_e32 v53, 0x8000
	s_and_saveexec_b32 s12, s0
	s_cbranch_execz .LBB294_884
; %bb.879:                              ;   in Loop: Header=BB294_481 Depth=1
	v_and_b32_e32 v54, 0x7f, v8
	v_mov_b32_e32 v53, 0x7c01
	s_mov_b32 s13, exec_lo
	v_cmpx_ne_u32_e32 0x7f, v54
	s_cbranch_execz .LBB294_883
; %bb.880:                              ;   in Loop: Header=BB294_481 Depth=1
	v_and_b32_e32 v2, 7, v8
	v_lshrrev_b32_e32 v53, 3, v54
	s_mov_b32 s17, exec_lo
	v_cmpx_gt_u32_e32 8, v54
; %bb.881:                              ;   in Loop: Header=BB294_481 Depth=1
	v_ffbh_u32_e32 v2, v2
	v_min_u32_e32 v2, 32, v2
	v_subrev_nc_u32_e32 v53, 28, v2
	v_lshlrev_b64 v[54:55], v53, v[8:9]
	v_sub_nc_u32_e32 v53, 29, v2
	v_and_b32_e32 v2, 7, v54
; %bb.882:                              ;   in Loop: Header=BB294_481 Depth=1
	s_or_b32 exec_lo, exec_lo, s17
	v_lshlrev_b32_e32 v54, 8, v8
	v_lshl_add_u32 v53, v53, 10, 0x2000
	v_lshlrev_b32_e32 v2, 7, v2
	v_and_b32_e32 v54, 0x8000, v54
	v_and_b32_e32 v53, 0xfc00, v53
	v_or3_b32 v53, v54, v53, v2
.LBB294_883:                            ;   in Loop: Header=BB294_481 Depth=1
	s_or_b32 exec_lo, exec_lo, s13
.LBB294_884:                            ;   in Loop: Header=BB294_481 Depth=1
	s_or_b32 exec_lo, exec_lo, s12
.LBB294_885:                            ;   in Loop: Header=BB294_481 Depth=1
	s_or_b32 exec_lo, exec_lo, s9
	v_lshrrev_b16 v2, 8, v8
	s_mov_b32 s9, exec_lo
	v_cmpx_ne_u16_e32 0, v2
	s_cbranch_execz .LBB294_893
; %bb.886:                              ;   in Loop: Header=BB294_481 Depth=1
	v_bfrev_b32_e32 v52, 1
	s_mov_b32 s12, exec_lo
	v_cmpx_ne_u16_e32 0x80, v2
	s_cbranch_execz .LBB294_892
; %bb.887:                              ;   in Loop: Header=BB294_481 Depth=1
	v_and_b32_sdwa v55, v2, v27 dst_sel:DWORD dst_unused:UNUSED_PAD src0_sel:WORD_0 src1_sel:DWORD
	v_mov_b32_e32 v52, 0x7c010000
	s_mov_b32 s13, exec_lo
	v_cmpx_ne_u32_e32 0x7f, v55
	s_cbranch_execz .LBB294_891
; %bb.888:                              ;   in Loop: Header=BB294_481 Depth=1
	v_and_b32_sdwa v52, v2, v28 dst_sel:DWORD dst_unused:UNUSED_PAD src0_sel:WORD_0 src1_sel:DWORD
	v_lshrrev_b32_e32 v54, 3, v55
	s_mov_b32 s17, exec_lo
	v_cmpx_gt_u32_e32 8, v55
; %bb.889:                              ;   in Loop: Header=BB294_481 Depth=1
	v_ffbh_u32_e32 v52, v52
	v_min_u32_e32 v52, 32, v52
	v_subrev_nc_u32_e32 v54, 28, v52
	v_lshlrev_b64 v[55:56], v54, v[2:3]
	v_sub_nc_u32_e32 v54, 29, v52
	v_and_b32_e32 v52, 7, v55
; %bb.890:                              ;   in Loop: Header=BB294_481 Depth=1
	s_or_b32 exec_lo, exec_lo, s17
	v_lshlrev_b32_sdwa v2, v29, v2 dst_sel:DWORD dst_unused:UNUSED_PAD src0_sel:DWORD src1_sel:WORD_0
	v_lshl_add_u32 v54, v54, 10, 0x2000
	v_lshlrev_b32_e32 v52, 23, v52
	v_and_or_b32 v2, 0x8000, v2, v54
	v_lshl_or_b32 v52, v2, 16, v52
.LBB294_891:                            ;   in Loop: Header=BB294_481 Depth=1
	s_or_b32 exec_lo, exec_lo, s13
.LBB294_892:                            ;   in Loop: Header=BB294_481 Depth=1
	s_or_b32 exec_lo, exec_lo, s12
.LBB294_893:                            ;   in Loop: Header=BB294_481 Depth=1
	s_or_b32 exec_lo, exec_lo, s9
	v_lshrrev_b32_e32 v2, 16, v8
	v_mov_b32_e32 v54, 0
	v_mov_b32_e32 v55, 0
	v_cmp_ne_u16_sdwa s0, v2, v3 src0_sel:BYTE_0 src1_sel:DWORD
	s_and_saveexec_b32 s9, s0
	s_cbranch_execz .LBB294_901
; %bb.894:                              ;   in Loop: Header=BB294_481 Depth=1
	v_cmp_ne_u16_sdwa s0, v2, v26 src0_sel:BYTE_0 src1_sel:DWORD
	v_mov_b32_e32 v55, 0x8000
	s_and_saveexec_b32 s12, s0
	s_cbranch_execz .LBB294_900
; %bb.895:                              ;   in Loop: Header=BB294_481 Depth=1
	v_bfe_u32 v57, v8, 16, 7
	v_mov_b32_e32 v55, 0x7c01
	s_mov_b32 s13, exec_lo
	v_cmpx_ne_u32_e32 0x7f, v57
	s_cbranch_execz .LBB294_899
; %bb.896:                              ;   in Loop: Header=BB294_481 Depth=1
	v_and_b32_e32 v55, 7, v2
	v_lshrrev_b32_e32 v56, 3, v57
	s_mov_b32 s17, exec_lo
	v_cmpx_gt_u32_e32 8, v57
; %bb.897:                              ;   in Loop: Header=BB294_481 Depth=1
	v_ffbh_u32_e32 v55, v55
	v_min_u32_e32 v57, 32, v55
	v_subrev_nc_u32_e32 v55, 28, v57
	v_lshlrev_b64 v[55:56], v55, v[2:3]
	v_sub_nc_u32_e32 v56, 29, v57
	v_and_b32_e32 v55, 7, v55
; %bb.898:                              ;   in Loop: Header=BB294_481 Depth=1
	s_or_b32 exec_lo, exec_lo, s17
	v_lshlrev_b32_e32 v2, 8, v2
	v_lshl_add_u32 v56, v56, 10, 0x2000
	v_lshlrev_b32_e32 v55, 7, v55
	v_and_b32_e32 v2, 0x8000, v2
	v_and_b32_e32 v56, 0xfc00, v56
	v_or3_b32 v55, v2, v56, v55
.LBB294_899:                            ;   in Loop: Header=BB294_481 Depth=1
	s_or_b32 exec_lo, exec_lo, s13
.LBB294_900:                            ;   in Loop: Header=BB294_481 Depth=1
	s_or_b32 exec_lo, exec_lo, s12
.LBB294_901:                            ;   in Loop: Header=BB294_481 Depth=1
	s_or_b32 exec_lo, exec_lo, s9
	s_mov_b32 s9, exec_lo
	v_cmpx_lt_u32_e32 0xffffff, v8
	s_cbranch_execz .LBB294_909
; %bb.902:                              ;   in Loop: Header=BB294_481 Depth=1
	v_lshrrev_b32_e32 v2, 24, v8
	v_bfrev_b32_e32 v54, 1
	s_mov_b32 s12, exec_lo
	v_cmpx_ne_u32_e32 0x80, v2
	s_cbranch_execz .LBB294_908
; %bb.903:                              ;   in Loop: Header=BB294_481 Depth=1
	v_and_b32_e32 v57, 0x7f, v2
	v_mov_b32_e32 v54, 0x7c010000
	s_mov_b32 s13, exec_lo
	v_cmpx_ne_u32_e32 0x7f, v57
	s_cbranch_execz .LBB294_907
; %bb.904:                              ;   in Loop: Header=BB294_481 Depth=1
	v_and_b32_e32 v54, 7, v2
	v_lshrrev_b32_e32 v56, 3, v57
	s_mov_b32 s17, exec_lo
	v_cmpx_gt_u32_e32 8, v57
; %bb.905:                              ;   in Loop: Header=BB294_481 Depth=1
	v_ffbh_u32_e32 v54, v54
	v_min_u32_e32 v54, 32, v54
	v_subrev_nc_u32_e32 v56, 28, v54
	v_lshlrev_b64 v[57:58], v56, v[2:3]
	v_sub_nc_u32_e32 v56, 29, v54
	v_and_b32_e32 v54, 7, v57
; %bb.906:                              ;   in Loop: Header=BB294_481 Depth=1
	s_or_b32 exec_lo, exec_lo, s17
	v_lshlrev_b32_e32 v2, 8, v2
	v_lshl_add_u32 v56, v56, 10, 0x2000
	v_lshlrev_b32_e32 v54, 23, v54
	v_and_or_b32 v2, 0x8000, v2, v56
	v_lshl_or_b32 v54, v2, 16, v54
.LBB294_907:                            ;   in Loop: Header=BB294_481 Depth=1
	s_or_b32 exec_lo, exec_lo, s13
.LBB294_908:                            ;   in Loop: Header=BB294_481 Depth=1
	s_or_b32 exec_lo, exec_lo, s12
.LBB294_909:                            ;   in Loop: Header=BB294_481 Depth=1
	s_or_b32 exec_lo, exec_lo, s9
	v_mov_b32_e32 v2, v9
	v_cmp_ne_u16_sdwa s0, v9, v3 src0_sel:BYTE_0 src1_sel:DWORD
	v_mov_b32_e32 v56, 0
	v_mov_b32_e32 v57, 0
	s_and_saveexec_b32 s9, s0
	s_cbranch_execz .LBB294_917
; %bb.910:                              ;   in Loop: Header=BB294_481 Depth=1
	v_cmp_ne_u16_sdwa s0, v9, v26 src0_sel:BYTE_0 src1_sel:DWORD
	v_mov_b32_e32 v57, 0x8000
	s_and_saveexec_b32 s12, s0
	s_cbranch_execz .LBB294_916
; %bb.911:                              ;   in Loop: Header=BB294_481 Depth=1
	v_and_b32_e32 v59, 0x7f, v9
	v_mov_b32_e32 v57, 0x7c01
	s_mov_b32 s13, exec_lo
	v_cmpx_ne_u32_e32 0x7f, v59
	s_cbranch_execz .LBB294_915
; %bb.912:                              ;   in Loop: Header=BB294_481 Depth=1
	v_and_b32_e32 v57, 7, v9
	v_lshrrev_b32_e32 v58, 3, v59
	s_mov_b32 s17, exec_lo
	v_cmpx_gt_u32_e32 8, v59
; %bb.913:                              ;   in Loop: Header=BB294_481 Depth=1
	v_ffbh_u32_e32 v57, v57
	v_min_u32_e32 v59, 32, v57
	v_subrev_nc_u32_e32 v57, 28, v59
	v_lshlrev_b64 v[57:58], v57, v[2:3]
	v_sub_nc_u32_e32 v58, 29, v59
	v_and_b32_e32 v57, 7, v57
; %bb.914:                              ;   in Loop: Header=BB294_481 Depth=1
	s_or_b32 exec_lo, exec_lo, s17
	v_lshlrev_b32_e32 v59, 8, v9
	v_lshl_add_u32 v58, v58, 10, 0x2000
	v_lshlrev_b32_e32 v57, 7, v57
	v_and_b32_e32 v59, 0x8000, v59
	v_and_b32_e32 v58, 0xfc00, v58
	v_or3_b32 v57, v59, v58, v57
.LBB294_915:                            ;   in Loop: Header=BB294_481 Depth=1
	s_or_b32 exec_lo, exec_lo, s13
.LBB294_916:                            ;   in Loop: Header=BB294_481 Depth=1
	s_or_b32 exec_lo, exec_lo, s12
.LBB294_917:                            ;   in Loop: Header=BB294_481 Depth=1
	s_or_b32 exec_lo, exec_lo, s9
	v_lshrrev_b16 v2, 8, v2
	v_mov_b32_e32 v58, 0
	s_mov_b32 s9, exec_lo
	v_cmpx_ne_u16_e32 0, v2
	s_cbranch_execz .LBB294_925
; %bb.918:                              ;   in Loop: Header=BB294_481 Depth=1
	v_bfrev_b32_e32 v58, 1
	s_mov_b32 s12, exec_lo
	v_cmpx_ne_u16_e32 0x80, v2
	s_cbranch_execz .LBB294_924
; %bb.919:                              ;   in Loop: Header=BB294_481 Depth=1
	v_and_b32_sdwa v60, v2, v27 dst_sel:DWORD dst_unused:UNUSED_PAD src0_sel:WORD_0 src1_sel:DWORD
	v_mov_b32_e32 v58, 0x7c010000
	s_mov_b32 s13, exec_lo
	v_cmpx_ne_u32_e32 0x7f, v60
	s_cbranch_execz .LBB294_923
; %bb.920:                              ;   in Loop: Header=BB294_481 Depth=1
	v_and_b32_sdwa v58, v2, v28 dst_sel:DWORD dst_unused:UNUSED_PAD src0_sel:WORD_0 src1_sel:DWORD
	v_lshrrev_b32_e32 v59, 3, v60
	s_mov_b32 s17, exec_lo
	v_cmpx_gt_u32_e32 8, v60
; %bb.921:                              ;   in Loop: Header=BB294_481 Depth=1
	v_ffbh_u32_e32 v58, v58
	v_min_u32_e32 v60, 32, v58
	v_subrev_nc_u32_e32 v58, 28, v60
	v_lshlrev_b64 v[58:59], v58, v[2:3]
	v_sub_nc_u32_e32 v59, 29, v60
	v_and_b32_e32 v58, 7, v58
; %bb.922:                              ;   in Loop: Header=BB294_481 Depth=1
	s_or_b32 exec_lo, exec_lo, s17
	v_lshlrev_b32_sdwa v2, v29, v2 dst_sel:DWORD dst_unused:UNUSED_PAD src0_sel:DWORD src1_sel:WORD_0
	v_lshl_add_u32 v59, v59, 10, 0x2000
	v_lshlrev_b32_e32 v58, 23, v58
	v_and_or_b32 v2, 0x8000, v2, v59
	v_lshl_or_b32 v58, v2, 16, v58
.LBB294_923:                            ;   in Loop: Header=BB294_481 Depth=1
	s_or_b32 exec_lo, exec_lo, s13
.LBB294_924:                            ;   in Loop: Header=BB294_481 Depth=1
	s_or_b32 exec_lo, exec_lo, s12
.LBB294_925:                            ;   in Loop: Header=BB294_481 Depth=1
	s_or_b32 exec_lo, exec_lo, s9
	v_lshrrev_b32_e32 v2, 16, v9
	v_cmp_ne_u16_sdwa s0, v2, v3 src0_sel:BYTE_0 src1_sel:DWORD
	s_and_saveexec_b32 s9, s0
	s_cbranch_execz .LBB294_933
; %bb.926:                              ;   in Loop: Header=BB294_481 Depth=1
	v_cmp_ne_u16_sdwa s0, v2, v26 src0_sel:BYTE_0 src1_sel:DWORD
	v_mov_b32_e32 v56, 0x8000
	s_and_saveexec_b32 s12, s0
	s_cbranch_execz .LBB294_932
; %bb.927:                              ;   in Loop: Header=BB294_481 Depth=1
	v_bfe_u32 v60, v9, 16, 7
	v_mov_b32_e32 v56, 0x7c01
	s_mov_b32 s13, exec_lo
	v_cmpx_ne_u32_e32 0x7f, v60
	s_cbranch_execz .LBB294_931
; %bb.928:                              ;   in Loop: Header=BB294_481 Depth=1
	v_and_b32_e32 v56, 7, v2
	v_lshrrev_b32_e32 v59, 3, v60
	s_mov_b32 s17, exec_lo
	v_cmpx_gt_u32_e32 8, v60
; %bb.929:                              ;   in Loop: Header=BB294_481 Depth=1
	v_ffbh_u32_e32 v56, v56
	v_min_u32_e32 v56, 32, v56
	v_subrev_nc_u32_e32 v59, 28, v56
	v_lshlrev_b64 v[60:61], v59, v[2:3]
	v_sub_nc_u32_e32 v59, 29, v56
	v_and_b32_e32 v56, 7, v60
; %bb.930:                              ;   in Loop: Header=BB294_481 Depth=1
	s_or_b32 exec_lo, exec_lo, s17
	v_lshlrev_b32_e32 v2, 8, v2
	v_lshl_add_u32 v59, v59, 10, 0x2000
	v_lshlrev_b32_e32 v56, 7, v56
	v_and_b32_e32 v2, 0x8000, v2
	v_and_b32_e32 v59, 0xfc00, v59
	v_or3_b32 v56, v2, v59, v56
.LBB294_931:                            ;   in Loop: Header=BB294_481 Depth=1
	s_or_b32 exec_lo, exec_lo, s13
.LBB294_932:                            ;   in Loop: Header=BB294_481 Depth=1
	s_or_b32 exec_lo, exec_lo, s12
.LBB294_933:                            ;   in Loop: Header=BB294_481 Depth=1
	s_or_b32 exec_lo, exec_lo, s9
	v_cmp_lt_u64_e64 s0, s[4:5], v[8:9]
	v_mov_b32_e32 v8, 0
	s_and_saveexec_b32 s9, s0
	s_cbranch_execz .LBB294_941
; %bb.934:                              ;   in Loop: Header=BB294_481 Depth=1
	v_lshrrev_b32_e32 v2, 24, v9
	v_bfrev_b32_e32 v8, 1
	s_mov_b32 s12, exec_lo
	v_cmpx_ne_u32_e32 0x80, v2
	s_cbranch_execz .LBB294_940
; %bb.935:                              ;   in Loop: Header=BB294_481 Depth=1
	v_and_b32_e32 v59, 0x7f, v2
	v_mov_b32_e32 v8, 0x7c010000
	s_mov_b32 s13, exec_lo
	v_cmpx_ne_u32_e32 0x7f, v59
	s_cbranch_execz .LBB294_939
; %bb.936:                              ;   in Loop: Header=BB294_481 Depth=1
	v_and_b32_e32 v8, 7, v2
	v_lshrrev_b32_e32 v9, 3, v59
	s_mov_b32 s17, exec_lo
	v_cmpx_gt_u32_e32 8, v59
; %bb.937:                              ;   in Loop: Header=BB294_481 Depth=1
	v_ffbh_u32_e32 v8, v8
	v_min_u32_e32 v59, 32, v8
	v_subrev_nc_u32_e32 v8, 28, v59
	v_lshlrev_b64 v[8:9], v8, v[2:3]
	v_sub_nc_u32_e32 v9, 29, v59
	v_and_b32_e32 v8, 7, v8
; %bb.938:                              ;   in Loop: Header=BB294_481 Depth=1
	s_or_b32 exec_lo, exec_lo, s17
	v_lshlrev_b32_e32 v2, 8, v2
	v_lshl_add_u32 v9, v9, 10, 0x2000
	v_lshlrev_b32_e32 v8, 23, v8
	v_and_or_b32 v2, 0x8000, v2, v9
	v_lshl_or_b32 v8, v2, 16, v8
.LBB294_939:                            ;   in Loop: Header=BB294_481 Depth=1
	s_or_b32 exec_lo, exec_lo, s13
.LBB294_940:                            ;   in Loop: Header=BB294_481 Depth=1
	s_or_b32 exec_lo, exec_lo, s12
.LBB294_941:                            ;   in Loop: Header=BB294_481 Depth=1
	s_or_b32 exec_lo, exec_lo, s9
	v_or_b32_e32 v2, v54, v55
	s_waitcnt vmcnt(0)
	v_fma_mixlo_f16 v9, v51, v54, 0 op_sel:[0,1,0] op_sel_hi:[0,1,0]
	v_or_b32_e32 v53, v52, v53
	v_fma_mixlo_f16 v54, v51, v52, 0 op_sel:[0,1,0] op_sel_hi:[0,1,0]
	v_or_b32_e32 v55, v58, v57
	v_fma_mixlo_f16 v2, v51, v2, 0 op_sel_hi:[0,1,0]
	v_or_b32_e32 v56, v8, v56
	v_lshlrev_b32_e32 v52, 16, v9
	v_lshlrev_b32_e32 v57, 16, v54
	v_fma_mixlo_f16 v9, v51, v53, 0 op_sel_hi:[0,1,0]
	v_and_b32_e32 v54, 0xffff, v2
	v_fma_mixlo_f16 v2, v51, v58, 0 op_sel:[0,1,0] op_sel_hi:[0,1,0]
	v_fma_mixlo_f16 v53, v51, v55, 0 op_sel_hi:[0,1,0]
	v_fma_mixlo_f16 v8, v51, v8, 0 op_sel:[0,1,0] op_sel_hi:[0,1,0]
	v_fma_mixlo_f16 v51, v51, v56, 0 op_sel_hi:[0,1,0]
	v_and_b32_e32 v59, 0xffff, v9
	v_lshlrev_b32_e32 v55, 16, v2
	v_and_b32_e32 v58, 0xffff, v53
	v_lshlrev_b32_e32 v53, 16, v8
	v_and_b32_e32 v56, 0xffff, v51
	v_or_b32_e32 v2, v52, v54
	v_or_b32_e32 v51, v57, v59
	;; [unrolled: 1-line block ×4, first 2 shown]
	s_and_saveexec_b32 s0, vcc_lo
	s_cbranch_execz .LBB294_480
; %bb.942:                              ;   in Loop: Header=BB294_481 Depth=1
	v_cmp_gt_i32_e32 vcc_lo, s27, v30
	v_cndmask_b32_e32 v2, 0, v59, vcc_lo
	v_cmp_gt_i32_e32 vcc_lo, s27, v36
	v_cndmask_b32_e32 v8, 0, v57, vcc_lo
	v_cmp_gt_i32_e32 vcc_lo, s27, v35
	v_or_b32_e32 v51, v8, v2
	v_cndmask_b32_e32 v9, 0, v54, vcc_lo
	v_cmp_gt_i32_e32 vcc_lo, s27, v34
	v_cndmask_b32_e32 v30, 0, v52, vcc_lo
	v_cmp_gt_i32_e32 vcc_lo, s27, v33
	v_or_b32_e32 v2, v30, v9
	;; [unrolled: 5-line block ×3, first 2 shown]
	v_cndmask_b32_e32 v31, 0, v56, vcc_lo
	v_cmp_gt_i32_e32 vcc_lo, s27, v15
	v_cndmask_b32_e32 v34, 0, v53, vcc_lo
	v_or_b32_e32 v8, v34, v31
	s_branch .LBB294_480
.LBB294_943:
	s_or_b32 exec_lo, exec_lo, s6
.LBB294_944:
	s_or_b32 exec_lo, exec_lo, s1
	ds_bpermute_b32 v1, v17, v23
	ds_bpermute_b32 v2, v17, v24
	;; [unrolled: 1-line block ×7, first 2 shown]
	v_lshrrev_b32_e32 v8, 1, v18
	v_mul_u32_u24_e32 v10, 0x1c0, v14
	v_and_b32_e32 v14, 0x3c1, v0
	s_mov_b32 s0, exec_lo
	s_waitcnt lgkmcnt(0)
	s_waitcnt_vscnt null, 0x0
	v_lshl_add_u32 v9, v8, 2, 0x100
	s_barrier
	buffer_gl0_inv
	v_add_f32_e32 v7, v23, v1
	v_add_f32_e32 v6, v24, v2
	;; [unrolled: 1-line block ×7, first 2 shown]
	v_cmpx_eq_u32_e32 64, v14
	s_cbranch_execz .LBB294_946
; %bb.945:
	v_add_nc_u32_e32 v11, v9, v10
	v_add_nc_u32_e32 v14, 0xfffffc80, v11
	;; [unrolled: 1-line block ×8, first 2 shown]
	ds_write_b32 v14, v7
	ds_write_b32 v15, v6
	;; [unrolled: 1-line block ×7, first 2 shown]
.LBB294_946:
	s_or_b32 exec_lo, exec_lo, s0
	v_lshlrev_b32_e32 v8, 2, v8
	s_mov_b32 s1, exec_lo
	v_cmp_eq_u32_e32 vcc_lo, 0, v13
	s_waitcnt lgkmcnt(0)
	s_barrier
	v_add3_u32 v8, 0x100, v10, v8
	buffer_gl0_inv
	v_cmpx_gt_u32_e32 64, v0
	s_cbranch_execz .LBB294_956
; %bb.947:
	s_and_saveexec_b32 s0, vcc_lo
	s_cbranch_execnz .LBB294_971
; %bb.948:
	s_or_b32 exec_lo, exec_lo, s0
	s_and_saveexec_b32 s0, vcc_lo
	s_cbranch_execnz .LBB294_972
.LBB294_949:
	s_or_b32 exec_lo, exec_lo, s0
	s_and_saveexec_b32 s0, vcc_lo
	s_cbranch_execnz .LBB294_973
.LBB294_950:
	s_or_b32 exec_lo, exec_lo, s0
	s_and_saveexec_b32 s0, vcc_lo
	s_cbranch_execnz .LBB294_974
.LBB294_951:
	s_or_b32 exec_lo, exec_lo, s0
	s_and_saveexec_b32 s0, vcc_lo
	s_cbranch_execnz .LBB294_975
.LBB294_952:
	s_or_b32 exec_lo, exec_lo, s0
	s_and_saveexec_b32 s0, vcc_lo
	s_cbranch_execnz .LBB294_976
.LBB294_953:
	s_or_b32 exec_lo, exec_lo, s0
	s_and_saveexec_b32 s0, vcc_lo
	s_cbranch_execz .LBB294_955
.LBB294_954:
	ds_read_b32 v10, v8 offset:384
	s_waitcnt lgkmcnt(0)
	v_add_f32_e32 v1, v1, v10
.LBB294_955:
	s_or_b32 exec_lo, exec_lo, s0
.LBB294_956:
	s_or_b32 exec_lo, exec_lo, s1
	v_and_b32_e32 v10, 0x3e1, v0
	s_mov_b32 s1, exec_lo
	s_barrier
	buffer_gl0_inv
	v_cmpx_eq_u32_e32 32, v10
	s_cbranch_execz .LBB294_958
; %bb.957:
	ds_write2_b32 v9, v7, v6 offset1:16
	ds_write2_b32 v9, v5, v4 offset0:32 offset1:48
	ds_write2_b32 v9, v3, v2 offset0:64 offset1:80
	ds_write_b32 v9, v1 offset:384
.LBB294_958:
	s_or_b32 exec_lo, exec_lo, s1
	s_mov_b32 s1, exec_lo
	s_waitcnt lgkmcnt(0)
	s_barrier
	buffer_gl0_inv
	v_cmpx_gt_u32_e32 32, v0
	s_cbranch_execz .LBB294_968
; %bb.959:
	s_and_saveexec_b32 s0, vcc_lo
	s_cbranch_execnz .LBB294_977
; %bb.960:
	s_or_b32 exec_lo, exec_lo, s0
	s_and_saveexec_b32 s0, vcc_lo
	s_cbranch_execnz .LBB294_978
.LBB294_961:
	s_or_b32 exec_lo, exec_lo, s0
	s_and_saveexec_b32 s0, vcc_lo
	s_cbranch_execnz .LBB294_979
.LBB294_962:
	s_or_b32 exec_lo, exec_lo, s0
	s_and_saveexec_b32 s0, vcc_lo
	s_cbranch_execnz .LBB294_980
.LBB294_963:
	s_or_b32 exec_lo, exec_lo, s0
	s_and_saveexec_b32 s0, vcc_lo
	s_cbranch_execnz .LBB294_981
.LBB294_964:
	s_or_b32 exec_lo, exec_lo, s0
	s_and_saveexec_b32 s0, vcc_lo
	s_cbranch_execnz .LBB294_982
.LBB294_965:
	s_or_b32 exec_lo, exec_lo, s0
	s_and_saveexec_b32 s0, vcc_lo
	s_cbranch_execz .LBB294_967
.LBB294_966:
	ds_read_b32 v0, v8 offset:384
	s_waitcnt lgkmcnt(0)
	v_add_f32_e32 v1, v1, v0
.LBB294_967:
	s_or_b32 exec_lo, exec_lo, s0
.LBB294_968:
	s_or_b32 exec_lo, exec_lo, s1
	s_barrier
	buffer_gl0_inv
	s_mov_b32 s0, exec_lo
	v_cmpx_eq_u32_e32 0, v10
	s_cbranch_execz .LBB294_970
; %bb.969:
	s_mul_i32 s0, s2, 0x70
	s_mul_i32 s2, s7, s10
	s_ashr_i32 s1, s0, 31
	v_lshlrev_b32_e32 v0, 1, v12
	s_lshl_b64 s[0:1], s[0:1], 1
	;;#ASMSTART
	v_cvt_f16_f32 v7, v7;

	;;#ASMEND
	s_add_u32 s4, s24, s0
	s_addc_u32 s5, s25, s1
	s_ashr_i32 s3, s2, 31
	s_lshl_b64 s[0:1], s[2:3], 1
	s_mul_i32 s2, s8, 0x70
	s_add_u32 s4, s4, s0
	s_addc_u32 s5, s5, s1
	s_ashr_i32 s3, s2, 31
	s_lshl_b64 s[0:1], s[2:3], 1
	s_add_u32 s0, s4, s0
	s_addc_u32 s1, s5, s1
	global_store_short v0, v7, s[0:1]
	;;#ASMSTART
	v_cvt_f16_f32 v6, v6;

	;;#ASMEND
	global_store_short v0, v6, s[0:1] offset:32
	;;#ASMSTART
	v_cvt_f16_f32 v5, v5;

	;;#ASMEND
	global_store_short v0, v5, s[0:1] offset:64
	;; [unrolled: 5-line block ×6, first 2 shown]
.LBB294_970:
	s_endpgm
.LBB294_971:
	ds_read_b32 v10, v8
	s_waitcnt lgkmcnt(0)
	v_add_f32_e32 v7, v7, v10
	s_or_b32 exec_lo, exec_lo, s0
	s_and_saveexec_b32 s0, vcc_lo
	s_cbranch_execz .LBB294_949
.LBB294_972:
	ds_read_b32 v10, v8 offset:64
	s_waitcnt lgkmcnt(0)
	v_add_f32_e32 v6, v6, v10
	s_or_b32 exec_lo, exec_lo, s0
	s_and_saveexec_b32 s0, vcc_lo
	s_cbranch_execz .LBB294_950
.LBB294_973:
	ds_read_b32 v10, v8 offset:128
	s_waitcnt lgkmcnt(0)
	v_add_f32_e32 v5, v5, v10
	s_or_b32 exec_lo, exec_lo, s0
	s_and_saveexec_b32 s0, vcc_lo
	s_cbranch_execz .LBB294_951
.LBB294_974:
	ds_read_b32 v10, v8 offset:192
	s_waitcnt lgkmcnt(0)
	v_add_f32_e32 v4, v4, v10
	s_or_b32 exec_lo, exec_lo, s0
	s_and_saveexec_b32 s0, vcc_lo
	s_cbranch_execz .LBB294_952
.LBB294_975:
	ds_read_b32 v10, v8 offset:256
	s_waitcnt lgkmcnt(0)
	v_add_f32_e32 v3, v3, v10
	s_or_b32 exec_lo, exec_lo, s0
	s_and_saveexec_b32 s0, vcc_lo
	s_cbranch_execz .LBB294_953
.LBB294_976:
	ds_read_b32 v10, v8 offset:320
	s_waitcnt lgkmcnt(0)
	v_add_f32_e32 v2, v2, v10
	s_or_b32 exec_lo, exec_lo, s0
	s_and_saveexec_b32 s0, vcc_lo
	s_cbranch_execnz .LBB294_954
	s_branch .LBB294_955
.LBB294_977:
	ds_read_b32 v0, v8
	s_waitcnt lgkmcnt(0)
	v_add_f32_e32 v7, v7, v0
	s_or_b32 exec_lo, exec_lo, s0
	s_and_saveexec_b32 s0, vcc_lo
	s_cbranch_execz .LBB294_961
.LBB294_978:
	ds_read_b32 v0, v8 offset:64
	s_waitcnt lgkmcnt(0)
	v_add_f32_e32 v6, v6, v0
	s_or_b32 exec_lo, exec_lo, s0
	s_and_saveexec_b32 s0, vcc_lo
	s_cbranch_execz .LBB294_962
.LBB294_979:
	ds_read_b32 v0, v8 offset:128
	s_waitcnt lgkmcnt(0)
	v_add_f32_e32 v5, v5, v0
	s_or_b32 exec_lo, exec_lo, s0
	s_and_saveexec_b32 s0, vcc_lo
	s_cbranch_execz .LBB294_963
.LBB294_980:
	ds_read_b32 v0, v8 offset:192
	s_waitcnt lgkmcnt(0)
	v_add_f32_e32 v4, v4, v0
	s_or_b32 exec_lo, exec_lo, s0
	s_and_saveexec_b32 s0, vcc_lo
	s_cbranch_execz .LBB294_964
.LBB294_981:
	ds_read_b32 v0, v8 offset:256
	s_waitcnt lgkmcnt(0)
	v_add_f32_e32 v3, v3, v0
	s_or_b32 exec_lo, exec_lo, s0
	s_and_saveexec_b32 s0, vcc_lo
	s_cbranch_execz .LBB294_965
.LBB294_982:
	ds_read_b32 v0, v8 offset:320
	s_waitcnt lgkmcnt(0)
	v_add_f32_e32 v2, v2, v0
	s_or_b32 exec_lo, exec_lo, s0
	s_and_saveexec_b32 s0, vcc_lo
	s_cbranch_execnz .LBB294_966
	s_branch .LBB294_967
	.section	.rodata,"a",@progbits
	.p2align	6, 0x0
	.amdhsa_kernel _ZN4vllm25paged_attention_v2_kernelIthLi112ELi16ELi128ELNS_18Fp8KVCacheDataTypeE1ELb0ELi512EEEvPfS2_PT_PKS3_PKT0_S9_ifPKiSB_iPKfiiiSD_SD_iiiii
		.amdhsa_group_segment_fixed_size 256
		.amdhsa_private_segment_fixed_size 0
		.amdhsa_kernarg_size 400
		.amdhsa_user_sgpr_count 6
		.amdhsa_user_sgpr_private_segment_buffer 1
		.amdhsa_user_sgpr_dispatch_ptr 0
		.amdhsa_user_sgpr_queue_ptr 0
		.amdhsa_user_sgpr_kernarg_segment_ptr 1
		.amdhsa_user_sgpr_dispatch_id 0
		.amdhsa_user_sgpr_flat_scratch_init 0
		.amdhsa_user_sgpr_private_segment_size 0
		.amdhsa_wavefront_size32 1
		.amdhsa_uses_dynamic_stack 0
		.amdhsa_system_sgpr_private_segment_wavefront_offset 0
		.amdhsa_system_sgpr_workgroup_id_x 1
		.amdhsa_system_sgpr_workgroup_id_y 1
		.amdhsa_system_sgpr_workgroup_id_z 1
		.amdhsa_system_sgpr_workgroup_info 0
		.amdhsa_system_vgpr_workitem_id 0
		.amdhsa_next_free_vgpr 127
		.amdhsa_next_free_sgpr 43
		.amdhsa_reserve_vcc 1
		.amdhsa_reserve_flat_scratch 0
		.amdhsa_float_round_mode_32 0
		.amdhsa_float_round_mode_16_64 0
		.amdhsa_float_denorm_mode_32 3
		.amdhsa_float_denorm_mode_16_64 3
		.amdhsa_dx10_clamp 1
		.amdhsa_ieee_mode 1
		.amdhsa_fp16_overflow 0
		.amdhsa_workgroup_processor_mode 1
		.amdhsa_memory_ordered 1
		.amdhsa_forward_progress 1
		.amdhsa_shared_vgpr_count 0
		.amdhsa_exception_fp_ieee_invalid_op 0
		.amdhsa_exception_fp_denorm_src 0
		.amdhsa_exception_fp_ieee_div_zero 0
		.amdhsa_exception_fp_ieee_overflow 0
		.amdhsa_exception_fp_ieee_underflow 0
		.amdhsa_exception_fp_ieee_inexact 0
		.amdhsa_exception_int_div_zero 0
	.end_amdhsa_kernel
	.section	.text._ZN4vllm25paged_attention_v2_kernelIthLi112ELi16ELi128ELNS_18Fp8KVCacheDataTypeE1ELb0ELi512EEEvPfS2_PT_PKS3_PKT0_S9_ifPKiSB_iPKfiiiSD_SD_iiiii,"axG",@progbits,_ZN4vllm25paged_attention_v2_kernelIthLi112ELi16ELi128ELNS_18Fp8KVCacheDataTypeE1ELb0ELi512EEEvPfS2_PT_PKS3_PKT0_S9_ifPKiSB_iPKfiiiSD_SD_iiiii,comdat
.Lfunc_end294:
	.size	_ZN4vllm25paged_attention_v2_kernelIthLi112ELi16ELi128ELNS_18Fp8KVCacheDataTypeE1ELb0ELi512EEEvPfS2_PT_PKS3_PKT0_S9_ifPKiSB_iPKfiiiSD_SD_iiiii, .Lfunc_end294-_ZN4vllm25paged_attention_v2_kernelIthLi112ELi16ELi128ELNS_18Fp8KVCacheDataTypeE1ELb0ELi512EEEvPfS2_PT_PKS3_PKT0_S9_ifPKiSB_iPKfiiiSD_SD_iiiii
                                        ; -- End function
	.set _ZN4vllm25paged_attention_v2_kernelIthLi112ELi16ELi128ELNS_18Fp8KVCacheDataTypeE1ELb0ELi512EEEvPfS2_PT_PKS3_PKT0_S9_ifPKiSB_iPKfiiiSD_SD_iiiii.num_vgpr, 127
	.set _ZN4vllm25paged_attention_v2_kernelIthLi112ELi16ELi128ELNS_18Fp8KVCacheDataTypeE1ELb0ELi512EEEvPfS2_PT_PKS3_PKT0_S9_ifPKiSB_iPKfiiiSD_SD_iiiii.num_agpr, 0
	.set _ZN4vllm25paged_attention_v2_kernelIthLi112ELi16ELi128ELNS_18Fp8KVCacheDataTypeE1ELb0ELi512EEEvPfS2_PT_PKS3_PKT0_S9_ifPKiSB_iPKfiiiSD_SD_iiiii.numbered_sgpr, 43
	.set _ZN4vllm25paged_attention_v2_kernelIthLi112ELi16ELi128ELNS_18Fp8KVCacheDataTypeE1ELb0ELi512EEEvPfS2_PT_PKS3_PKT0_S9_ifPKiSB_iPKfiiiSD_SD_iiiii.num_named_barrier, 0
	.set _ZN4vllm25paged_attention_v2_kernelIthLi112ELi16ELi128ELNS_18Fp8KVCacheDataTypeE1ELb0ELi512EEEvPfS2_PT_PKS3_PKT0_S9_ifPKiSB_iPKfiiiSD_SD_iiiii.private_seg_size, 0
	.set _ZN4vllm25paged_attention_v2_kernelIthLi112ELi16ELi128ELNS_18Fp8KVCacheDataTypeE1ELb0ELi512EEEvPfS2_PT_PKS3_PKT0_S9_ifPKiSB_iPKfiiiSD_SD_iiiii.uses_vcc, 1
	.set _ZN4vllm25paged_attention_v2_kernelIthLi112ELi16ELi128ELNS_18Fp8KVCacheDataTypeE1ELb0ELi512EEEvPfS2_PT_PKS3_PKT0_S9_ifPKiSB_iPKfiiiSD_SD_iiiii.uses_flat_scratch, 0
	.set _ZN4vllm25paged_attention_v2_kernelIthLi112ELi16ELi128ELNS_18Fp8KVCacheDataTypeE1ELb0ELi512EEEvPfS2_PT_PKS3_PKT0_S9_ifPKiSB_iPKfiiiSD_SD_iiiii.has_dyn_sized_stack, 0
	.set _ZN4vllm25paged_attention_v2_kernelIthLi112ELi16ELi128ELNS_18Fp8KVCacheDataTypeE1ELb0ELi512EEEvPfS2_PT_PKS3_PKT0_S9_ifPKiSB_iPKfiiiSD_SD_iiiii.has_recursion, 0
	.set _ZN4vllm25paged_attention_v2_kernelIthLi112ELi16ELi128ELNS_18Fp8KVCacheDataTypeE1ELb0ELi512EEEvPfS2_PT_PKS3_PKT0_S9_ifPKiSB_iPKfiiiSD_SD_iiiii.has_indirect_call, 0
	.section	.AMDGPU.csdata,"",@progbits
; Kernel info:
; codeLenInByte = 31988
; TotalNumSgprs: 45
; NumVgprs: 127
; ScratchSize: 0
; MemoryBound: 0
; FloatMode: 240
; IeeeMode: 1
; LDSByteSize: 256 bytes/workgroup (compile time only)
; SGPRBlocks: 0
; VGPRBlocks: 15
; NumSGPRsForWavesPerEU: 45
; NumVGPRsForWavesPerEU: 127
; Occupancy: 8
; WaveLimiterHint : 1
; COMPUTE_PGM_RSRC2:SCRATCH_EN: 0
; COMPUTE_PGM_RSRC2:USER_SGPR: 6
; COMPUTE_PGM_RSRC2:TRAP_HANDLER: 0
; COMPUTE_PGM_RSRC2:TGID_X_EN: 1
; COMPUTE_PGM_RSRC2:TGID_Y_EN: 1
; COMPUTE_PGM_RSRC2:TGID_Z_EN: 1
; COMPUTE_PGM_RSRC2:TIDIG_COMP_CNT: 0
	.section	.text._ZN4vllm25paged_attention_v2_kernelIthLi120ELi16ELi128ELNS_18Fp8KVCacheDataTypeE1ELb0ELi512EEEvPfS2_PT_PKS3_PKT0_S9_ifPKiSB_iPKfiiiSD_SD_iiiii,"axG",@progbits,_ZN4vllm25paged_attention_v2_kernelIthLi120ELi16ELi128ELNS_18Fp8KVCacheDataTypeE1ELb0ELi512EEEvPfS2_PT_PKS3_PKT0_S9_ifPKiSB_iPKfiiiSD_SD_iiiii,comdat
	.protected	_ZN4vllm25paged_attention_v2_kernelIthLi120ELi16ELi128ELNS_18Fp8KVCacheDataTypeE1ELb0ELi512EEEvPfS2_PT_PKS3_PKT0_S9_ifPKiSB_iPKfiiiSD_SD_iiiii ; -- Begin function _ZN4vllm25paged_attention_v2_kernelIthLi120ELi16ELi128ELNS_18Fp8KVCacheDataTypeE1ELb0ELi512EEEvPfS2_PT_PKS3_PKT0_S9_ifPKiSB_iPKfiiiSD_SD_iiiii
	.globl	_ZN4vllm25paged_attention_v2_kernelIthLi120ELi16ELi128ELNS_18Fp8KVCacheDataTypeE1ELb0ELi512EEEvPfS2_PT_PKS3_PKT0_S9_ifPKiSB_iPKfiiiSD_SD_iiiii
	.p2align	8
	.type	_ZN4vllm25paged_attention_v2_kernelIthLi120ELi16ELi128ELNS_18Fp8KVCacheDataTypeE1ELb0ELi512EEEvPfS2_PT_PKS3_PKT0_S9_ifPKiSB_iPKfiiiSD_SD_iiiii,@function
_ZN4vllm25paged_attention_v2_kernelIthLi120ELi16ELi128ELNS_18Fp8KVCacheDataTypeE1ELb0ELi512EEEvPfS2_PT_PKS3_PKT0_S9_ifPKiSB_iPKfiiiSD_SD_iiiii: ; @_ZN4vllm25paged_attention_v2_kernelIthLi120ELi16ELi128ELNS_18Fp8KVCacheDataTypeE1ELb0ELi512EEEvPfS2_PT_PKS3_PKT0_S9_ifPKiSB_iPKfiiiSD_SD_iiiii
; %bb.0:
	s_load_dwordx2 s[0:1], s[4:5], 0x40
	s_mov_b32 s26, s7
	s_ashr_i32 s27, s7, 31
	s_lshl_b64 s[2:3], s[26:27], 2
	s_waitcnt lgkmcnt(0)
	s_add_u32 s0, s0, s2
	s_addc_u32 s1, s1, s3
	s_lshl_b32 s33, s8, 9
	s_load_dword s27, s[0:1], 0x0
	s_waitcnt lgkmcnt(0)
	s_cmp_ge_i32 s33, s27
	s_cbranch_scc1 .LBB295_1097
; %bb.1:
	s_clause 0x1
	s_load_dword s9, s[4:5], 0x90
	s_load_dwordx2 s[36:37], s[4:5], 0x30
	s_waitcnt lgkmcnt(0)
	s_abs_i32 s3, s9
	s_abs_i32 s0, s36
	v_cvt_f32_u32_e32 v1, s0
	s_sub_i32 s2, 0, s0
	v_rcp_iflag_f32_e32 v1, v1
	v_mul_f32_e32 v1, 0x4f7ffffe, v1
	v_cvt_u32_f32_e32 v1, v1
	v_readfirstlane_b32 s1, v1
	s_mul_i32 s2, s2, s1
	s_mul_hi_u32 s2, s1, s2
	s_add_i32 s1, s1, s2
	s_xor_b32 s2, s9, s36
	s_mul_hi_u32 s1, s3, s1
	s_ashr_i32 s2, s2, 31
	s_mul_i32 s7, s1, s0
	s_mov_b32 s36, 0
	s_sub_i32 s3, s3, s7
	s_add_i32 s7, s1, 1
	s_sub_i32 s10, s3, s0
	s_cmp_ge_u32 s3, s0
	s_cselect_b32 s1, s7, s1
	s_cselect_b32 s3, s10, s3
	s_add_i32 s7, s1, 1
	s_cmp_ge_u32 s3, s0
	s_cselect_b32 s0, s7, s1
	s_abs_i32 s12, s6
	s_xor_b32 s0, s0, s2
	s_sub_i32 s10, s0, s2
	s_load_dwordx2 s[0:1], s[4:5], 0x50
	s_abs_i32 s2, s10
	v_cvt_f32_u32_e32 v1, s2
	s_sub_i32 s7, 0, s2
	v_rcp_iflag_f32_e32 v1, v1
	v_mul_f32_e32 v1, 0x4f7ffffe, v1
	v_cvt_u32_f32_e32 v1, v1
	v_readfirstlane_b32 s3, v1
	s_mul_i32 s7, s7, s3
	s_mul_hi_u32 s7, s3, s7
	s_add_i32 s3, s3, s7
	s_waitcnt lgkmcnt(0)
	s_cmp_eq_u64 s[0:1], 0
	s_mul_hi_u32 s3, s12, s3
	s_cbranch_scc1 .LBB295_3
; %bb.2:
	s_ashr_i32 s7, s6, 31
	s_lshl_b64 s[14:15], s[6:7], 2
	s_add_u32 s0, s0, s14
	s_addc_u32 s1, s1, s15
	s_load_dword s36, s[0:1], 0x0
.LBB295_3:
	s_load_dwordx4 s[16:19], s[4:5], 0x58
	v_lshrrev_b32_e32 v12, 1, v0
	v_and_b32_e32 v13, 1, v0
	v_lshlrev_b32_e32 v17, 3, v0
	s_ashr_i32 s0, s6, 31
	s_ashr_i32 s1, s10, 31
	s_mul_i32 s10, s6, 0x78
	s_mov_b32 s7, exec_lo
	v_cmpx_gt_u32_e32 30, v0
	s_cbranch_execz .LBB295_5
; %bb.4:
	s_load_dwordx2 s[14:15], s[4:5], 0x18
	s_waitcnt lgkmcnt(0)
	s_mul_i32 s20, s16, s26
	v_lshlrev_b32_e32 v3, 3, v12
	s_ashr_i32 s21, s20, 31
	s_lshl_b64 s[20:21], s[20:21], 1
	v_mad_u32_u24 v3, 0x78, v13, v3
	s_add_u32 s13, s14, s20
	s_addc_u32 s16, s15, s21
	s_ashr_i32 s11, s10, 31
	s_lshl_b64 s[14:15], s[10:11], 1
	s_add_u32 s14, s13, s14
	s_addc_u32 s15, s16, s15
	global_load_dwordx2 v[1:2], v17, s[14:15]
	s_waitcnt vmcnt(0)
	ds_write_b64 v3, v[1:2]
.LBB295_5:
	s_or_b32 exec_lo, exec_lo, s7
	s_add_i32 s7, s27, 15
	s_clause 0x1
	s_load_dwordx2 s[28:29], s[4:5], 0x38
	s_load_dword s14, s[4:5], 0x48
	s_ashr_i32 s11, s7, 31
	s_waitcnt lgkmcnt(0)
	s_lshl_b32 s19, s8, 5
	s_lshr_b32 s11, s11, 28
	s_mul_i32 s13, s3, s2
	s_add_i32 s7, s7, s11
	s_add_i32 s11, s19, 32
	s_ashr_i32 s7, s7, 4
	s_xor_b32 s0, s0, s1
	s_sub_i32 s1, s12, s13
	s_min_i32 s16, s11, s7
	s_add_i32 s11, s3, 1
	s_sub_i32 s12, s1, s2
	s_cmp_ge_u32 s1, s2
	v_lshrrev_b32_e32 v14, 5, v0
	s_cselect_b32 s3, s11, s3
	s_cselect_b32 s1, s12, s1
	s_add_i32 s11, s3, 1
	s_cmp_ge_u32 s1, s2
	v_or_b32_e32 v1, s19, v14
	s_cselect_b32 s1, s11, s3
	v_mbcnt_lo_u32_b32 v15, -1, 0
	s_xor_b32 s1, s1, s0
	s_mul_i32 s30, s14, s26
	s_sub_i32 s1, s1, s0
	v_cmp_le_i32_e64 s0, s16, v1
	s_ashr_i32 s31, s30, 31
	s_barrier
	buffer_gl0_inv
                                        ; implicit-def: $vgpr4
                                        ; implicit-def: $vgpr16
	s_and_saveexec_b32 s2, s0
	s_xor_b32 s2, exec_lo, s2
; %bb.6:
	v_mov_b32_e32 v4, 0
	v_mbcnt_lo_u32_b32 v15, -1, 0
	v_mov_b32_e32 v16, 32
; %bb.7:
	s_or_saveexec_b32 s38, s2
	s_clause 0x4
	s_load_dwordx4 s[20:23], s[4:5], 0x0
	s_load_dwordx2 s[24:25], s[4:5], 0x10
	s_load_dword s11, s[4:5], 0x98
	s_load_dwordx2 s[34:35], s[4:5], 0x28
	s_load_dwordx4 s[12:15], s[4:5], 0x68
	v_mov_b32_e32 v18, 0xff7fffff
	v_ashrrev_i32_e32 v2, 31, v1
	s_mul_i32 s18, s1, s18
	s_xor_b32 exec_lo, exec_lo, s38
	s_cbranch_execz .LBB295_493
; %bb.8:
	s_load_dwordx2 s[2:3], s[4:5], 0x20
	v_bfe_u32 v3, v0, 1, 4
	v_lshlrev_b32_e32 v9, 4, v14
	s_ashr_i32 s4, s18, 31
	v_lshlrev_b32_e32 v6, 2, v13
	v_lshlrev_b64 v[7:8], 2, v[1:2]
	v_lshlrev_b32_e32 v5, 2, v3
	v_lshlrev_b32_e32 v10, 4, v3
	v_add3_u32 v20, s33, v9, v3
	v_mov_b32_e32 v4, 0
	v_mul_u32_u24_e32 v19, 0x78, v13
	v_lshl_or_b32 v5, v14, 6, v5
	v_cmp_neq_f32_e64 s1, s36, 0
	v_mov_b32_e32 v18, 0xff7fffff
	v_mov_b32_e32 v16, 32
	v_mov_b32_e32 v22, 0x80
	v_add_nc_u32_e32 v21, 0x110, v5
	v_mov_b32_e32 v23, 0x7f
	v_mov_b32_e32 v24, 7
	;; [unrolled: 1-line block ×3, first 2 shown]
	s_waitcnt lgkmcnt(0)
	s_add_u32 s5, s2, s18
	s_addc_u32 s39, s3, s4
	v_add_co_u32 v3, s5, s5, v10
	v_add_co_ci_u32_e64 v9, null, s39, 0, s5
	s_lshl_b64 s[2:3], s[30:31], 2
	s_sub_i32 s4, 1, s27
	s_add_u32 s5, s28, s2
	v_add_co_u32 v5, s2, v3, v6
	s_addc_u32 s3, s29, s3
	v_add_co_ci_u32_e64 v6, null, 0, v9, s2
	v_add_co_u32 v7, s2, s5, v7
	v_add_co_ci_u32_e64 v8, null, s3, v8, s2
	v_mov_b32_e32 v26, v1
	s_mov_b32 s39, s17
	s_mov_b32 s5, 0
	v_cmp_eq_u32_e32 vcc_lo, 0, v13
	s_branch .LBB295_10
.LBB295_9:                              ;   in Loop: Header=BB295_10 Depth=1
	s_or_b32 exec_lo, exec_lo, s3
	v_add_nc_u32_e32 v26, 4, v26
	v_add_co_u32 v7, s3, v7, 16
	v_add_nc_u32_e32 v20, 64, v20
	v_add_nc_u32_e32 v21, 0x100, v21
	v_cmp_le_i32_e64 s2, s16, v26
	v_add_co_ci_u32_e64 v8, null, 0, v8, s3
	s_or_b32 s5, s2, s5
	s_andn2_b32 exec_lo, exec_lo, s5
	s_cbranch_execz .LBB295_492
.LBB295_10:                             ; =>This Inner Loop Header: Depth=1
	global_load_dword v3, v[7:8], off
	v_mov_b32_e32 v28, 0
	s_waitcnt vmcnt(0) lgkmcnt(0)
	v_mad_i64_i32 v[9:10], null, v3, s39, v[5:6]
	global_load_dword v11, v[9:10], off
	global_load_dword v27, v4, s[12:13]
	s_waitcnt vmcnt(1)
	v_cmp_ne_u16_sdwa s2, v11, v4 src0_sel:BYTE_0 src1_sel:DWORD
	s_and_saveexec_b32 s3, s2
	s_cbranch_execz .LBB295_18
; %bb.11:                               ;   in Loop: Header=BB295_10 Depth=1
	v_cmp_ne_u16_sdwa s2, v11, v22 src0_sel:BYTE_0 src1_sel:DWORD
	v_mov_b32_e32 v28, 0x8000
	s_and_saveexec_b32 s40, s2
	s_cbranch_execz .LBB295_17
; %bb.12:                               ;   in Loop: Header=BB295_10 Depth=1
	v_and_b32_e32 v29, 0x7f, v11
	v_mov_b32_e32 v28, 0x7c01
	s_mov_b32 s41, exec_lo
	v_cmpx_ne_u32_e32 0x7f, v29
	s_cbranch_execz .LBB295_16
; %bb.13:                               ;   in Loop: Header=BB295_10 Depth=1
	v_and_b32_e32 v3, 7, v11
	v_lshrrev_b32_e32 v28, 3, v29
	s_mov_b32 s42, exec_lo
	v_cmpx_gt_u32_e32 8, v29
; %bb.14:                               ;   in Loop: Header=BB295_10 Depth=1
	v_ffbh_u32_e32 v3, v3
	v_min_u32_e32 v3, 32, v3
	v_subrev_nc_u32_e32 v28, 28, v3
	v_lshlrev_b64 v[29:30], v28, v[11:12]
	v_sub_nc_u32_e32 v28, 29, v3
	v_and_b32_e32 v3, 7, v29
; %bb.15:                               ;   in Loop: Header=BB295_10 Depth=1
	s_or_b32 exec_lo, exec_lo, s42
	v_lshlrev_b32_e32 v29, 8, v11
	v_lshl_add_u32 v28, v28, 10, 0x2000
	v_lshlrev_b32_e32 v3, 7, v3
	v_and_b32_e32 v29, 0x8000, v29
	v_and_b32_e32 v28, 0xfc00, v28
	v_or3_b32 v28, v29, v28, v3
.LBB295_16:                             ;   in Loop: Header=BB295_10 Depth=1
	s_or_b32 exec_lo, exec_lo, s41
.LBB295_17:                             ;   in Loop: Header=BB295_10 Depth=1
	s_or_b32 exec_lo, exec_lo, s40
.LBB295_18:                             ;   in Loop: Header=BB295_10 Depth=1
	s_or_b32 exec_lo, exec_lo, s3
	v_lshrrev_b16 v3, 8, v11
	v_mov_b32_e32 v29, 0
	s_mov_b32 s3, exec_lo
	v_cmpx_ne_u16_e32 0, v3
	s_cbranch_execz .LBB295_26
; %bb.19:                               ;   in Loop: Header=BB295_10 Depth=1
	v_bfrev_b32_e32 v29, 1
	s_mov_b32 s40, exec_lo
	v_cmpx_ne_u16_e32 0x80, v3
	s_cbranch_execz .LBB295_25
; %bb.20:                               ;   in Loop: Header=BB295_10 Depth=1
	v_and_b32_sdwa v31, v3, v23 dst_sel:DWORD dst_unused:UNUSED_PAD src0_sel:WORD_0 src1_sel:DWORD
	v_mov_b32_e32 v29, 0x7c010000
	s_mov_b32 s41, exec_lo
	v_cmpx_ne_u32_e32 0x7f, v31
	s_cbranch_execz .LBB295_24
; %bb.21:                               ;   in Loop: Header=BB295_10 Depth=1
	v_and_b32_sdwa v29, v3, v24 dst_sel:DWORD dst_unused:UNUSED_PAD src0_sel:WORD_0 src1_sel:DWORD
	v_lshrrev_b32_e32 v30, 3, v31
	s_mov_b32 s42, exec_lo
	v_cmpx_gt_u32_e32 8, v31
; %bb.22:                               ;   in Loop: Header=BB295_10 Depth=1
	v_ffbh_u32_e32 v29, v29
	v_min_u32_e32 v31, 32, v29
	v_subrev_nc_u32_e32 v29, 28, v31
	v_lshlrev_b64 v[29:30], v29, v[3:4]
	v_sub_nc_u32_e32 v30, 29, v31
	v_and_b32_e32 v29, 7, v29
; %bb.23:                               ;   in Loop: Header=BB295_10 Depth=1
	s_or_b32 exec_lo, exec_lo, s42
	v_lshlrev_b32_sdwa v3, v25, v3 dst_sel:DWORD dst_unused:UNUSED_PAD src0_sel:DWORD src1_sel:WORD_0
	v_lshl_add_u32 v30, v30, 10, 0x2000
	v_lshlrev_b32_e32 v29, 23, v29
	v_and_or_b32 v3, 0x8000, v3, v30
	v_lshl_or_b32 v29, v3, 16, v29
.LBB295_24:                             ;   in Loop: Header=BB295_10 Depth=1
	s_or_b32 exec_lo, exec_lo, s41
.LBB295_25:                             ;   in Loop: Header=BB295_10 Depth=1
	s_or_b32 exec_lo, exec_lo, s40
.LBB295_26:                             ;   in Loop: Header=BB295_10 Depth=1
	s_or_b32 exec_lo, exec_lo, s3
	v_lshrrev_b32_e32 v3, 16, v11
	v_mov_b32_e32 v30, 0
	v_mov_b32_e32 v31, 0
	v_cmp_ne_u16_sdwa s2, v3, v4 src0_sel:BYTE_0 src1_sel:DWORD
	s_and_saveexec_b32 s3, s2
	s_cbranch_execz .LBB295_34
; %bb.27:                               ;   in Loop: Header=BB295_10 Depth=1
	v_cmp_ne_u16_sdwa s2, v3, v22 src0_sel:BYTE_0 src1_sel:DWORD
	v_mov_b32_e32 v31, 0x8000
	s_and_saveexec_b32 s40, s2
	s_cbranch_execz .LBB295_33
; %bb.28:                               ;   in Loop: Header=BB295_10 Depth=1
	v_bfe_u32 v33, v11, 16, 7
	v_mov_b32_e32 v31, 0x7c01
	s_mov_b32 s41, exec_lo
	v_cmpx_ne_u32_e32 0x7f, v33
	s_cbranch_execz .LBB295_32
; %bb.29:                               ;   in Loop: Header=BB295_10 Depth=1
	v_and_b32_e32 v31, 7, v3
	v_lshrrev_b32_e32 v32, 3, v33
	s_mov_b32 s42, exec_lo
	v_cmpx_gt_u32_e32 8, v33
; %bb.30:                               ;   in Loop: Header=BB295_10 Depth=1
	v_ffbh_u32_e32 v31, v31
	v_min_u32_e32 v33, 32, v31
	v_subrev_nc_u32_e32 v31, 28, v33
	v_lshlrev_b64 v[31:32], v31, v[3:4]
	v_sub_nc_u32_e32 v32, 29, v33
	v_and_b32_e32 v31, 7, v31
; %bb.31:                               ;   in Loop: Header=BB295_10 Depth=1
	s_or_b32 exec_lo, exec_lo, s42
	v_lshlrev_b32_e32 v3, 8, v3
	v_lshl_add_u32 v32, v32, 10, 0x2000
	v_lshlrev_b32_e32 v31, 7, v31
	v_and_b32_e32 v3, 0x8000, v3
	v_and_b32_e32 v32, 0xfc00, v32
	v_or3_b32 v31, v3, v32, v31
.LBB295_32:                             ;   in Loop: Header=BB295_10 Depth=1
	s_or_b32 exec_lo, exec_lo, s41
.LBB295_33:                             ;   in Loop: Header=BB295_10 Depth=1
	s_or_b32 exec_lo, exec_lo, s40
.LBB295_34:                             ;   in Loop: Header=BB295_10 Depth=1
	s_or_b32 exec_lo, exec_lo, s3
	s_mov_b32 s3, exec_lo
	v_cmpx_lt_u32_e32 0xffffff, v11
	s_cbranch_execz .LBB295_42
; %bb.35:                               ;   in Loop: Header=BB295_10 Depth=1
	v_lshrrev_b32_e32 v3, 24, v11
	v_bfrev_b32_e32 v30, 1
	s_mov_b32 s40, exec_lo
	v_cmpx_ne_u32_e32 0x80, v3
	s_cbranch_execz .LBB295_41
; %bb.36:                               ;   in Loop: Header=BB295_10 Depth=1
	v_and_b32_e32 v32, 0x7f, v3
	v_mov_b32_e32 v30, 0x7c010000
	s_mov_b32 s41, exec_lo
	v_cmpx_ne_u32_e32 0x7f, v32
	s_cbranch_execz .LBB295_40
; %bb.37:                               ;   in Loop: Header=BB295_10 Depth=1
	v_and_b32_e32 v11, 7, v3
	v_lshrrev_b32_e32 v30, 3, v32
	s_mov_b32 s42, exec_lo
	v_cmpx_gt_u32_e32 8, v32
; %bb.38:                               ;   in Loop: Header=BB295_10 Depth=1
	v_ffbh_u32_e32 v11, v11
	v_min_u32_e32 v11, 32, v11
	v_subrev_nc_u32_e32 v30, 28, v11
	v_lshlrev_b64 v[32:33], v30, v[3:4]
	v_sub_nc_u32_e32 v30, 29, v11
	v_and_b32_e32 v11, 7, v32
; %bb.39:                               ;   in Loop: Header=BB295_10 Depth=1
	s_or_b32 exec_lo, exec_lo, s42
	v_lshlrev_b32_e32 v3, 8, v3
	v_lshl_add_u32 v30, v30, 10, 0x2000
	v_lshlrev_b32_e32 v11, 23, v11
	v_and_or_b32 v3, 0x8000, v3, v30
	v_lshl_or_b32 v30, v3, 16, v11
.LBB295_40:                             ;   in Loop: Header=BB295_10 Depth=1
	s_or_b32 exec_lo, exec_lo, s41
.LBB295_41:                             ;   in Loop: Header=BB295_10 Depth=1
	s_or_b32 exec_lo, exec_lo, s40
.LBB295_42:                             ;   in Loop: Header=BB295_10 Depth=1
	s_or_b32 exec_lo, exec_lo, s3
	global_load_dword v11, v[9:10], off offset:8
	v_mov_b32_e32 v32, 0
	v_mov_b32_e32 v33, 0
	s_waitcnt vmcnt(0)
	v_cmp_ne_u16_sdwa s2, v11, v4 src0_sel:BYTE_0 src1_sel:DWORD
	s_and_saveexec_b32 s3, s2
	s_cbranch_execz .LBB295_50
; %bb.43:                               ;   in Loop: Header=BB295_10 Depth=1
	v_cmp_ne_u16_sdwa s2, v11, v22 src0_sel:BYTE_0 src1_sel:DWORD
	v_mov_b32_e32 v33, 0x8000
	s_and_saveexec_b32 s40, s2
	s_cbranch_execz .LBB295_49
; %bb.44:                               ;   in Loop: Header=BB295_10 Depth=1
	v_and_b32_e32 v34, 0x7f, v11
	v_mov_b32_e32 v33, 0x7c01
	s_mov_b32 s41, exec_lo
	v_cmpx_ne_u32_e32 0x7f, v34
	s_cbranch_execz .LBB295_48
; %bb.45:                               ;   in Loop: Header=BB295_10 Depth=1
	v_and_b32_e32 v3, 7, v11
	v_lshrrev_b32_e32 v33, 3, v34
	s_mov_b32 s42, exec_lo
	v_cmpx_gt_u32_e32 8, v34
; %bb.46:                               ;   in Loop: Header=BB295_10 Depth=1
	v_ffbh_u32_e32 v3, v3
	v_min_u32_e32 v3, 32, v3
	v_subrev_nc_u32_e32 v33, 28, v3
	v_lshlrev_b64 v[34:35], v33, v[11:12]
	v_sub_nc_u32_e32 v33, 29, v3
	v_and_b32_e32 v3, 7, v34
; %bb.47:                               ;   in Loop: Header=BB295_10 Depth=1
	s_or_b32 exec_lo, exec_lo, s42
	v_lshlrev_b32_e32 v34, 8, v11
	v_lshl_add_u32 v33, v33, 10, 0x2000
	v_lshlrev_b32_e32 v3, 7, v3
	v_and_b32_e32 v34, 0x8000, v34
	v_and_b32_e32 v33, 0xfc00, v33
	v_or3_b32 v33, v34, v33, v3
.LBB295_48:                             ;   in Loop: Header=BB295_10 Depth=1
	s_or_b32 exec_lo, exec_lo, s41
.LBB295_49:                             ;   in Loop: Header=BB295_10 Depth=1
	s_or_b32 exec_lo, exec_lo, s40
.LBB295_50:                             ;   in Loop: Header=BB295_10 Depth=1
	s_or_b32 exec_lo, exec_lo, s3
	v_lshrrev_b16 v3, 8, v11
	s_mov_b32 s3, exec_lo
	v_cmpx_ne_u16_e32 0, v3
	s_cbranch_execz .LBB295_58
; %bb.51:                               ;   in Loop: Header=BB295_10 Depth=1
	v_bfrev_b32_e32 v32, 1
	s_mov_b32 s40, exec_lo
	v_cmpx_ne_u16_e32 0x80, v3
	s_cbranch_execz .LBB295_57
; %bb.52:                               ;   in Loop: Header=BB295_10 Depth=1
	v_and_b32_sdwa v35, v3, v23 dst_sel:DWORD dst_unused:UNUSED_PAD src0_sel:WORD_0 src1_sel:DWORD
	v_mov_b32_e32 v32, 0x7c010000
	s_mov_b32 s41, exec_lo
	v_cmpx_ne_u32_e32 0x7f, v35
	s_cbranch_execz .LBB295_56
; %bb.53:                               ;   in Loop: Header=BB295_10 Depth=1
	v_and_b32_sdwa v32, v3, v24 dst_sel:DWORD dst_unused:UNUSED_PAD src0_sel:WORD_0 src1_sel:DWORD
	v_lshrrev_b32_e32 v34, 3, v35
	s_mov_b32 s42, exec_lo
	v_cmpx_gt_u32_e32 8, v35
; %bb.54:                               ;   in Loop: Header=BB295_10 Depth=1
	v_ffbh_u32_e32 v32, v32
	v_min_u32_e32 v32, 32, v32
	v_subrev_nc_u32_e32 v34, 28, v32
	v_lshlrev_b64 v[35:36], v34, v[3:4]
	v_sub_nc_u32_e32 v34, 29, v32
	v_and_b32_e32 v32, 7, v35
; %bb.55:                               ;   in Loop: Header=BB295_10 Depth=1
	s_or_b32 exec_lo, exec_lo, s42
	v_lshlrev_b32_sdwa v3, v25, v3 dst_sel:DWORD dst_unused:UNUSED_PAD src0_sel:DWORD src1_sel:WORD_0
	v_lshl_add_u32 v34, v34, 10, 0x2000
	v_lshlrev_b32_e32 v32, 23, v32
	v_and_or_b32 v3, 0x8000, v3, v34
	v_lshl_or_b32 v32, v3, 16, v32
.LBB295_56:                             ;   in Loop: Header=BB295_10 Depth=1
	s_or_b32 exec_lo, exec_lo, s41
.LBB295_57:                             ;   in Loop: Header=BB295_10 Depth=1
	s_or_b32 exec_lo, exec_lo, s40
.LBB295_58:                             ;   in Loop: Header=BB295_10 Depth=1
	s_or_b32 exec_lo, exec_lo, s3
	v_lshrrev_b32_e32 v3, 16, v11
	v_mov_b32_e32 v34, 0
	v_mov_b32_e32 v35, 0
	v_cmp_ne_u16_sdwa s2, v3, v4 src0_sel:BYTE_0 src1_sel:DWORD
	s_and_saveexec_b32 s3, s2
	s_cbranch_execz .LBB295_66
; %bb.59:                               ;   in Loop: Header=BB295_10 Depth=1
	v_cmp_ne_u16_sdwa s2, v3, v22 src0_sel:BYTE_0 src1_sel:DWORD
	v_mov_b32_e32 v35, 0x8000
	s_and_saveexec_b32 s40, s2
	s_cbranch_execz .LBB295_65
; %bb.60:                               ;   in Loop: Header=BB295_10 Depth=1
	v_bfe_u32 v37, v11, 16, 7
	v_mov_b32_e32 v35, 0x7c01
	s_mov_b32 s41, exec_lo
	v_cmpx_ne_u32_e32 0x7f, v37
	s_cbranch_execz .LBB295_64
; %bb.61:                               ;   in Loop: Header=BB295_10 Depth=1
	v_and_b32_e32 v35, 7, v3
	v_lshrrev_b32_e32 v36, 3, v37
	s_mov_b32 s42, exec_lo
	v_cmpx_gt_u32_e32 8, v37
; %bb.62:                               ;   in Loop: Header=BB295_10 Depth=1
	v_ffbh_u32_e32 v35, v35
	v_min_u32_e32 v37, 32, v35
	v_subrev_nc_u32_e32 v35, 28, v37
	v_lshlrev_b64 v[35:36], v35, v[3:4]
	v_sub_nc_u32_e32 v36, 29, v37
	v_and_b32_e32 v35, 7, v35
; %bb.63:                               ;   in Loop: Header=BB295_10 Depth=1
	s_or_b32 exec_lo, exec_lo, s42
	v_lshlrev_b32_e32 v3, 8, v3
	v_lshl_add_u32 v36, v36, 10, 0x2000
	v_lshlrev_b32_e32 v35, 7, v35
	v_and_b32_e32 v3, 0x8000, v3
	v_and_b32_e32 v36, 0xfc00, v36
	v_or3_b32 v35, v3, v36, v35
.LBB295_64:                             ;   in Loop: Header=BB295_10 Depth=1
	s_or_b32 exec_lo, exec_lo, s41
.LBB295_65:                             ;   in Loop: Header=BB295_10 Depth=1
	s_or_b32 exec_lo, exec_lo, s40
.LBB295_66:                             ;   in Loop: Header=BB295_10 Depth=1
	s_or_b32 exec_lo, exec_lo, s3
	s_mov_b32 s3, exec_lo
	v_cmpx_lt_u32_e32 0xffffff, v11
	s_cbranch_execz .LBB295_74
; %bb.67:                               ;   in Loop: Header=BB295_10 Depth=1
	v_lshrrev_b32_e32 v3, 24, v11
	v_bfrev_b32_e32 v34, 1
	s_mov_b32 s40, exec_lo
	v_cmpx_ne_u32_e32 0x80, v3
	s_cbranch_execz .LBB295_73
; %bb.68:                               ;   in Loop: Header=BB295_10 Depth=1
	v_and_b32_e32 v36, 0x7f, v3
	v_mov_b32_e32 v34, 0x7c010000
	s_mov_b32 s41, exec_lo
	v_cmpx_ne_u32_e32 0x7f, v36
	s_cbranch_execz .LBB295_72
; %bb.69:                               ;   in Loop: Header=BB295_10 Depth=1
	v_and_b32_e32 v11, 7, v3
	v_lshrrev_b32_e32 v34, 3, v36
	s_mov_b32 s42, exec_lo
	v_cmpx_gt_u32_e32 8, v36
; %bb.70:                               ;   in Loop: Header=BB295_10 Depth=1
	v_ffbh_u32_e32 v11, v11
	v_min_u32_e32 v11, 32, v11
	v_subrev_nc_u32_e32 v34, 28, v11
	v_lshlrev_b64 v[36:37], v34, v[3:4]
	v_sub_nc_u32_e32 v34, 29, v11
	v_and_b32_e32 v11, 7, v36
; %bb.71:                               ;   in Loop: Header=BB295_10 Depth=1
	s_or_b32 exec_lo, exec_lo, s42
	v_lshlrev_b32_e32 v3, 8, v3
	v_lshl_add_u32 v34, v34, 10, 0x2000
	v_lshlrev_b32_e32 v11, 23, v11
	v_and_or_b32 v3, 0x8000, v3, v34
	v_lshl_or_b32 v34, v3, 16, v11
.LBB295_72:                             ;   in Loop: Header=BB295_10 Depth=1
	s_or_b32 exec_lo, exec_lo, s41
.LBB295_73:                             ;   in Loop: Header=BB295_10 Depth=1
	s_or_b32 exec_lo, exec_lo, s40
.LBB295_74:                             ;   in Loop: Header=BB295_10 Depth=1
	s_or_b32 exec_lo, exec_lo, s3
	global_load_dword v11, v[9:10], off offset:256
	v_mov_b32_e32 v36, 0
	v_mov_b32_e32 v37, 0
	s_waitcnt vmcnt(0)
	v_cmp_ne_u16_sdwa s2, v11, v4 src0_sel:BYTE_0 src1_sel:DWORD
	s_and_saveexec_b32 s3, s2
	s_cbranch_execz .LBB295_82
; %bb.75:                               ;   in Loop: Header=BB295_10 Depth=1
	v_cmp_ne_u16_sdwa s2, v11, v22 src0_sel:BYTE_0 src1_sel:DWORD
	v_mov_b32_e32 v37, 0x8000
	s_and_saveexec_b32 s40, s2
	s_cbranch_execz .LBB295_81
; %bb.76:                               ;   in Loop: Header=BB295_10 Depth=1
	v_and_b32_e32 v38, 0x7f, v11
	v_mov_b32_e32 v37, 0x7c01
	s_mov_b32 s41, exec_lo
	v_cmpx_ne_u32_e32 0x7f, v38
	s_cbranch_execz .LBB295_80
; %bb.77:                               ;   in Loop: Header=BB295_10 Depth=1
	v_and_b32_e32 v3, 7, v11
	v_lshrrev_b32_e32 v37, 3, v38
	s_mov_b32 s42, exec_lo
	v_cmpx_gt_u32_e32 8, v38
; %bb.78:                               ;   in Loop: Header=BB295_10 Depth=1
	v_ffbh_u32_e32 v3, v3
	v_min_u32_e32 v3, 32, v3
	v_subrev_nc_u32_e32 v37, 28, v3
	v_lshlrev_b64 v[38:39], v37, v[11:12]
	v_sub_nc_u32_e32 v37, 29, v3
	v_and_b32_e32 v3, 7, v38
; %bb.79:                               ;   in Loop: Header=BB295_10 Depth=1
	s_or_b32 exec_lo, exec_lo, s42
	v_lshlrev_b32_e32 v38, 8, v11
	v_lshl_add_u32 v37, v37, 10, 0x2000
	v_lshlrev_b32_e32 v3, 7, v3
	v_and_b32_e32 v38, 0x8000, v38
	v_and_b32_e32 v37, 0xfc00, v37
	v_or3_b32 v37, v38, v37, v3
.LBB295_80:                             ;   in Loop: Header=BB295_10 Depth=1
	s_or_b32 exec_lo, exec_lo, s41
.LBB295_81:                             ;   in Loop: Header=BB295_10 Depth=1
	s_or_b32 exec_lo, exec_lo, s40
.LBB295_82:                             ;   in Loop: Header=BB295_10 Depth=1
	s_or_b32 exec_lo, exec_lo, s3
	v_lshrrev_b16 v3, 8, v11
	s_mov_b32 s3, exec_lo
	v_cmpx_ne_u16_e32 0, v3
	s_cbranch_execz .LBB295_90
; %bb.83:                               ;   in Loop: Header=BB295_10 Depth=1
	v_bfrev_b32_e32 v36, 1
	s_mov_b32 s40, exec_lo
	v_cmpx_ne_u16_e32 0x80, v3
	s_cbranch_execz .LBB295_89
; %bb.84:                               ;   in Loop: Header=BB295_10 Depth=1
	v_and_b32_sdwa v39, v3, v23 dst_sel:DWORD dst_unused:UNUSED_PAD src0_sel:WORD_0 src1_sel:DWORD
	v_mov_b32_e32 v36, 0x7c010000
	s_mov_b32 s41, exec_lo
	v_cmpx_ne_u32_e32 0x7f, v39
	s_cbranch_execz .LBB295_88
; %bb.85:                               ;   in Loop: Header=BB295_10 Depth=1
	v_and_b32_sdwa v36, v3, v24 dst_sel:DWORD dst_unused:UNUSED_PAD src0_sel:WORD_0 src1_sel:DWORD
	v_lshrrev_b32_e32 v38, 3, v39
	s_mov_b32 s42, exec_lo
	v_cmpx_gt_u32_e32 8, v39
; %bb.86:                               ;   in Loop: Header=BB295_10 Depth=1
	v_ffbh_u32_e32 v36, v36
	v_min_u32_e32 v36, 32, v36
	v_subrev_nc_u32_e32 v38, 28, v36
	v_lshlrev_b64 v[39:40], v38, v[3:4]
	v_sub_nc_u32_e32 v38, 29, v36
	v_and_b32_e32 v36, 7, v39
; %bb.87:                               ;   in Loop: Header=BB295_10 Depth=1
	s_or_b32 exec_lo, exec_lo, s42
	v_lshlrev_b32_sdwa v3, v25, v3 dst_sel:DWORD dst_unused:UNUSED_PAD src0_sel:DWORD src1_sel:WORD_0
	v_lshl_add_u32 v38, v38, 10, 0x2000
	v_lshlrev_b32_e32 v36, 23, v36
	v_and_or_b32 v3, 0x8000, v3, v38
	v_lshl_or_b32 v36, v3, 16, v36
.LBB295_88:                             ;   in Loop: Header=BB295_10 Depth=1
	s_or_b32 exec_lo, exec_lo, s41
.LBB295_89:                             ;   in Loop: Header=BB295_10 Depth=1
	s_or_b32 exec_lo, exec_lo, s40
.LBB295_90:                             ;   in Loop: Header=BB295_10 Depth=1
	s_or_b32 exec_lo, exec_lo, s3
	v_lshrrev_b32_e32 v3, 16, v11
	v_mov_b32_e32 v38, 0
	v_mov_b32_e32 v39, 0
	v_cmp_ne_u16_sdwa s2, v3, v4 src0_sel:BYTE_0 src1_sel:DWORD
	s_and_saveexec_b32 s3, s2
	s_cbranch_execz .LBB295_98
; %bb.91:                               ;   in Loop: Header=BB295_10 Depth=1
	v_cmp_ne_u16_sdwa s2, v3, v22 src0_sel:BYTE_0 src1_sel:DWORD
	v_mov_b32_e32 v39, 0x8000
	s_and_saveexec_b32 s40, s2
	s_cbranch_execz .LBB295_97
; %bb.92:                               ;   in Loop: Header=BB295_10 Depth=1
	v_bfe_u32 v41, v11, 16, 7
	v_mov_b32_e32 v39, 0x7c01
	s_mov_b32 s41, exec_lo
	v_cmpx_ne_u32_e32 0x7f, v41
	s_cbranch_execz .LBB295_96
; %bb.93:                               ;   in Loop: Header=BB295_10 Depth=1
	v_and_b32_e32 v39, 7, v3
	v_lshrrev_b32_e32 v40, 3, v41
	s_mov_b32 s42, exec_lo
	v_cmpx_gt_u32_e32 8, v41
; %bb.94:                               ;   in Loop: Header=BB295_10 Depth=1
	v_ffbh_u32_e32 v39, v39
	v_min_u32_e32 v41, 32, v39
	v_subrev_nc_u32_e32 v39, 28, v41
	v_lshlrev_b64 v[39:40], v39, v[3:4]
	v_sub_nc_u32_e32 v40, 29, v41
	v_and_b32_e32 v39, 7, v39
; %bb.95:                               ;   in Loop: Header=BB295_10 Depth=1
	s_or_b32 exec_lo, exec_lo, s42
	v_lshlrev_b32_e32 v3, 8, v3
	v_lshl_add_u32 v40, v40, 10, 0x2000
	v_lshlrev_b32_e32 v39, 7, v39
	v_and_b32_e32 v3, 0x8000, v3
	v_and_b32_e32 v40, 0xfc00, v40
	v_or3_b32 v39, v3, v40, v39
.LBB295_96:                             ;   in Loop: Header=BB295_10 Depth=1
	s_or_b32 exec_lo, exec_lo, s41
.LBB295_97:                             ;   in Loop: Header=BB295_10 Depth=1
	s_or_b32 exec_lo, exec_lo, s40
.LBB295_98:                             ;   in Loop: Header=BB295_10 Depth=1
	s_or_b32 exec_lo, exec_lo, s3
	s_mov_b32 s3, exec_lo
	v_cmpx_lt_u32_e32 0xffffff, v11
	s_cbranch_execz .LBB295_106
; %bb.99:                               ;   in Loop: Header=BB295_10 Depth=1
	v_lshrrev_b32_e32 v3, 24, v11
	v_bfrev_b32_e32 v38, 1
	s_mov_b32 s40, exec_lo
	v_cmpx_ne_u32_e32 0x80, v3
	s_cbranch_execz .LBB295_105
; %bb.100:                              ;   in Loop: Header=BB295_10 Depth=1
	v_and_b32_e32 v40, 0x7f, v3
	v_mov_b32_e32 v38, 0x7c010000
	s_mov_b32 s41, exec_lo
	v_cmpx_ne_u32_e32 0x7f, v40
	s_cbranch_execz .LBB295_104
; %bb.101:                              ;   in Loop: Header=BB295_10 Depth=1
	v_and_b32_e32 v11, 7, v3
	v_lshrrev_b32_e32 v38, 3, v40
	s_mov_b32 s42, exec_lo
	v_cmpx_gt_u32_e32 8, v40
; %bb.102:                              ;   in Loop: Header=BB295_10 Depth=1
	v_ffbh_u32_e32 v11, v11
	v_min_u32_e32 v11, 32, v11
	v_subrev_nc_u32_e32 v38, 28, v11
	v_lshlrev_b64 v[40:41], v38, v[3:4]
	v_sub_nc_u32_e32 v38, 29, v11
	v_and_b32_e32 v11, 7, v40
; %bb.103:                              ;   in Loop: Header=BB295_10 Depth=1
	s_or_b32 exec_lo, exec_lo, s42
	v_lshlrev_b32_e32 v3, 8, v3
	v_lshl_add_u32 v38, v38, 10, 0x2000
	v_lshlrev_b32_e32 v11, 23, v11
	v_and_or_b32 v3, 0x8000, v3, v38
	v_lshl_or_b32 v38, v3, 16, v11
.LBB295_104:                            ;   in Loop: Header=BB295_10 Depth=1
	s_or_b32 exec_lo, exec_lo, s41
.LBB295_105:                            ;   in Loop: Header=BB295_10 Depth=1
	s_or_b32 exec_lo, exec_lo, s40
.LBB295_106:                            ;   in Loop: Header=BB295_10 Depth=1
	s_or_b32 exec_lo, exec_lo, s3
	global_load_dword v11, v[9:10], off offset:264
	v_mov_b32_e32 v40, 0
	v_mov_b32_e32 v41, 0
	s_waitcnt vmcnt(0)
	v_cmp_ne_u16_sdwa s2, v11, v4 src0_sel:BYTE_0 src1_sel:DWORD
	s_and_saveexec_b32 s3, s2
	s_cbranch_execz .LBB295_114
; %bb.107:                              ;   in Loop: Header=BB295_10 Depth=1
	v_cmp_ne_u16_sdwa s2, v11, v22 src0_sel:BYTE_0 src1_sel:DWORD
	v_mov_b32_e32 v41, 0x8000
	s_and_saveexec_b32 s40, s2
	s_cbranch_execz .LBB295_113
; %bb.108:                              ;   in Loop: Header=BB295_10 Depth=1
	v_and_b32_e32 v42, 0x7f, v11
	v_mov_b32_e32 v41, 0x7c01
	s_mov_b32 s41, exec_lo
	v_cmpx_ne_u32_e32 0x7f, v42
	s_cbranch_execz .LBB295_112
; %bb.109:                              ;   in Loop: Header=BB295_10 Depth=1
	v_and_b32_e32 v3, 7, v11
	v_lshrrev_b32_e32 v41, 3, v42
	s_mov_b32 s42, exec_lo
	v_cmpx_gt_u32_e32 8, v42
; %bb.110:                              ;   in Loop: Header=BB295_10 Depth=1
	v_ffbh_u32_e32 v3, v3
	v_min_u32_e32 v3, 32, v3
	v_subrev_nc_u32_e32 v41, 28, v3
	v_lshlrev_b64 v[42:43], v41, v[11:12]
	v_sub_nc_u32_e32 v41, 29, v3
	v_and_b32_e32 v3, 7, v42
; %bb.111:                              ;   in Loop: Header=BB295_10 Depth=1
	s_or_b32 exec_lo, exec_lo, s42
	v_lshlrev_b32_e32 v42, 8, v11
	v_lshl_add_u32 v41, v41, 10, 0x2000
	v_lshlrev_b32_e32 v3, 7, v3
	v_and_b32_e32 v42, 0x8000, v42
	v_and_b32_e32 v41, 0xfc00, v41
	v_or3_b32 v41, v42, v41, v3
.LBB295_112:                            ;   in Loop: Header=BB295_10 Depth=1
	s_or_b32 exec_lo, exec_lo, s41
.LBB295_113:                            ;   in Loop: Header=BB295_10 Depth=1
	s_or_b32 exec_lo, exec_lo, s40
.LBB295_114:                            ;   in Loop: Header=BB295_10 Depth=1
	s_or_b32 exec_lo, exec_lo, s3
	v_lshrrev_b16 v3, 8, v11
	s_mov_b32 s3, exec_lo
	v_cmpx_ne_u16_e32 0, v3
	s_cbranch_execz .LBB295_122
; %bb.115:                              ;   in Loop: Header=BB295_10 Depth=1
	v_bfrev_b32_e32 v40, 1
	s_mov_b32 s40, exec_lo
	v_cmpx_ne_u16_e32 0x80, v3
	s_cbranch_execz .LBB295_121
; %bb.116:                              ;   in Loop: Header=BB295_10 Depth=1
	v_and_b32_sdwa v43, v3, v23 dst_sel:DWORD dst_unused:UNUSED_PAD src0_sel:WORD_0 src1_sel:DWORD
	v_mov_b32_e32 v40, 0x7c010000
	s_mov_b32 s41, exec_lo
	v_cmpx_ne_u32_e32 0x7f, v43
	s_cbranch_execz .LBB295_120
; %bb.117:                              ;   in Loop: Header=BB295_10 Depth=1
	v_and_b32_sdwa v40, v3, v24 dst_sel:DWORD dst_unused:UNUSED_PAD src0_sel:WORD_0 src1_sel:DWORD
	v_lshrrev_b32_e32 v42, 3, v43
	s_mov_b32 s42, exec_lo
	v_cmpx_gt_u32_e32 8, v43
; %bb.118:                              ;   in Loop: Header=BB295_10 Depth=1
	v_ffbh_u32_e32 v40, v40
	v_min_u32_e32 v40, 32, v40
	v_subrev_nc_u32_e32 v42, 28, v40
	v_lshlrev_b64 v[43:44], v42, v[3:4]
	v_sub_nc_u32_e32 v42, 29, v40
	v_and_b32_e32 v40, 7, v43
; %bb.119:                              ;   in Loop: Header=BB295_10 Depth=1
	s_or_b32 exec_lo, exec_lo, s42
	v_lshlrev_b32_sdwa v3, v25, v3 dst_sel:DWORD dst_unused:UNUSED_PAD src0_sel:DWORD src1_sel:WORD_0
	v_lshl_add_u32 v42, v42, 10, 0x2000
	v_lshlrev_b32_e32 v40, 23, v40
	v_and_or_b32 v3, 0x8000, v3, v42
	v_lshl_or_b32 v40, v3, 16, v40
.LBB295_120:                            ;   in Loop: Header=BB295_10 Depth=1
	s_or_b32 exec_lo, exec_lo, s41
.LBB295_121:                            ;   in Loop: Header=BB295_10 Depth=1
	s_or_b32 exec_lo, exec_lo, s40
.LBB295_122:                            ;   in Loop: Header=BB295_10 Depth=1
	s_or_b32 exec_lo, exec_lo, s3
	v_lshrrev_b32_e32 v3, 16, v11
	v_mov_b32_e32 v42, 0
	v_mov_b32_e32 v43, 0
	v_cmp_ne_u16_sdwa s2, v3, v4 src0_sel:BYTE_0 src1_sel:DWORD
	s_and_saveexec_b32 s3, s2
	s_cbranch_execz .LBB295_130
; %bb.123:                              ;   in Loop: Header=BB295_10 Depth=1
	v_cmp_ne_u16_sdwa s2, v3, v22 src0_sel:BYTE_0 src1_sel:DWORD
	v_mov_b32_e32 v43, 0x8000
	s_and_saveexec_b32 s40, s2
	s_cbranch_execz .LBB295_129
; %bb.124:                              ;   in Loop: Header=BB295_10 Depth=1
	v_bfe_u32 v45, v11, 16, 7
	v_mov_b32_e32 v43, 0x7c01
	s_mov_b32 s41, exec_lo
	v_cmpx_ne_u32_e32 0x7f, v45
	s_cbranch_execz .LBB295_128
; %bb.125:                              ;   in Loop: Header=BB295_10 Depth=1
	v_and_b32_e32 v43, 7, v3
	v_lshrrev_b32_e32 v44, 3, v45
	s_mov_b32 s42, exec_lo
	v_cmpx_gt_u32_e32 8, v45
; %bb.126:                              ;   in Loop: Header=BB295_10 Depth=1
	v_ffbh_u32_e32 v43, v43
	v_min_u32_e32 v45, 32, v43
	v_subrev_nc_u32_e32 v43, 28, v45
	v_lshlrev_b64 v[43:44], v43, v[3:4]
	v_sub_nc_u32_e32 v44, 29, v45
	v_and_b32_e32 v43, 7, v43
; %bb.127:                              ;   in Loop: Header=BB295_10 Depth=1
	s_or_b32 exec_lo, exec_lo, s42
	v_lshlrev_b32_e32 v3, 8, v3
	v_lshl_add_u32 v44, v44, 10, 0x2000
	v_lshlrev_b32_e32 v43, 7, v43
	v_and_b32_e32 v3, 0x8000, v3
	v_and_b32_e32 v44, 0xfc00, v44
	v_or3_b32 v43, v3, v44, v43
.LBB295_128:                            ;   in Loop: Header=BB295_10 Depth=1
	s_or_b32 exec_lo, exec_lo, s41
.LBB295_129:                            ;   in Loop: Header=BB295_10 Depth=1
	s_or_b32 exec_lo, exec_lo, s40
.LBB295_130:                            ;   in Loop: Header=BB295_10 Depth=1
	s_or_b32 exec_lo, exec_lo, s3
	s_mov_b32 s3, exec_lo
	v_cmpx_lt_u32_e32 0xffffff, v11
	s_cbranch_execz .LBB295_138
; %bb.131:                              ;   in Loop: Header=BB295_10 Depth=1
	v_lshrrev_b32_e32 v3, 24, v11
	v_bfrev_b32_e32 v42, 1
	s_mov_b32 s40, exec_lo
	v_cmpx_ne_u32_e32 0x80, v3
	s_cbranch_execz .LBB295_137
; %bb.132:                              ;   in Loop: Header=BB295_10 Depth=1
	v_and_b32_e32 v44, 0x7f, v3
	v_mov_b32_e32 v42, 0x7c010000
	s_mov_b32 s41, exec_lo
	v_cmpx_ne_u32_e32 0x7f, v44
	s_cbranch_execz .LBB295_136
; %bb.133:                              ;   in Loop: Header=BB295_10 Depth=1
	v_and_b32_e32 v11, 7, v3
	v_lshrrev_b32_e32 v42, 3, v44
	s_mov_b32 s42, exec_lo
	v_cmpx_gt_u32_e32 8, v44
; %bb.134:                              ;   in Loop: Header=BB295_10 Depth=1
	v_ffbh_u32_e32 v11, v11
	v_min_u32_e32 v11, 32, v11
	v_subrev_nc_u32_e32 v42, 28, v11
	v_lshlrev_b64 v[44:45], v42, v[3:4]
	v_sub_nc_u32_e32 v42, 29, v11
	v_and_b32_e32 v11, 7, v44
; %bb.135:                              ;   in Loop: Header=BB295_10 Depth=1
	s_or_b32 exec_lo, exec_lo, s42
	v_lshlrev_b32_e32 v3, 8, v3
	v_lshl_add_u32 v42, v42, 10, 0x2000
	v_lshlrev_b32_e32 v11, 23, v11
	v_and_or_b32 v3, 0x8000, v3, v42
	v_lshl_or_b32 v42, v3, 16, v11
.LBB295_136:                            ;   in Loop: Header=BB295_10 Depth=1
	s_or_b32 exec_lo, exec_lo, s41
.LBB295_137:                            ;   in Loop: Header=BB295_10 Depth=1
	s_or_b32 exec_lo, exec_lo, s40
.LBB295_138:                            ;   in Loop: Header=BB295_10 Depth=1
	s_or_b32 exec_lo, exec_lo, s3
	global_load_dword v11, v[9:10], off offset:512
	v_mov_b32_e32 v44, 0
	v_mov_b32_e32 v45, 0
	s_waitcnt vmcnt(0)
	v_cmp_ne_u16_sdwa s2, v11, v4 src0_sel:BYTE_0 src1_sel:DWORD
	s_and_saveexec_b32 s3, s2
	s_cbranch_execz .LBB295_146
; %bb.139:                              ;   in Loop: Header=BB295_10 Depth=1
	v_cmp_ne_u16_sdwa s2, v11, v22 src0_sel:BYTE_0 src1_sel:DWORD
	v_mov_b32_e32 v45, 0x8000
	s_and_saveexec_b32 s40, s2
	s_cbranch_execz .LBB295_145
; %bb.140:                              ;   in Loop: Header=BB295_10 Depth=1
	v_and_b32_e32 v46, 0x7f, v11
	v_mov_b32_e32 v45, 0x7c01
	s_mov_b32 s41, exec_lo
	v_cmpx_ne_u32_e32 0x7f, v46
	s_cbranch_execz .LBB295_144
; %bb.141:                              ;   in Loop: Header=BB295_10 Depth=1
	v_and_b32_e32 v3, 7, v11
	v_lshrrev_b32_e32 v45, 3, v46
	s_mov_b32 s42, exec_lo
	v_cmpx_gt_u32_e32 8, v46
; %bb.142:                              ;   in Loop: Header=BB295_10 Depth=1
	v_ffbh_u32_e32 v3, v3
	v_min_u32_e32 v3, 32, v3
	v_subrev_nc_u32_e32 v45, 28, v3
	v_lshlrev_b64 v[46:47], v45, v[11:12]
	v_sub_nc_u32_e32 v45, 29, v3
	v_and_b32_e32 v3, 7, v46
; %bb.143:                              ;   in Loop: Header=BB295_10 Depth=1
	s_or_b32 exec_lo, exec_lo, s42
	v_lshlrev_b32_e32 v46, 8, v11
	v_lshl_add_u32 v45, v45, 10, 0x2000
	v_lshlrev_b32_e32 v3, 7, v3
	v_and_b32_e32 v46, 0x8000, v46
	v_and_b32_e32 v45, 0xfc00, v45
	v_or3_b32 v45, v46, v45, v3
.LBB295_144:                            ;   in Loop: Header=BB295_10 Depth=1
	s_or_b32 exec_lo, exec_lo, s41
.LBB295_145:                            ;   in Loop: Header=BB295_10 Depth=1
	s_or_b32 exec_lo, exec_lo, s40
.LBB295_146:                            ;   in Loop: Header=BB295_10 Depth=1
	s_or_b32 exec_lo, exec_lo, s3
	v_lshrrev_b16 v3, 8, v11
	s_mov_b32 s3, exec_lo
	v_cmpx_ne_u16_e32 0, v3
	s_cbranch_execz .LBB295_154
; %bb.147:                              ;   in Loop: Header=BB295_10 Depth=1
	v_bfrev_b32_e32 v44, 1
	s_mov_b32 s40, exec_lo
	v_cmpx_ne_u16_e32 0x80, v3
	s_cbranch_execz .LBB295_153
; %bb.148:                              ;   in Loop: Header=BB295_10 Depth=1
	v_and_b32_sdwa v47, v3, v23 dst_sel:DWORD dst_unused:UNUSED_PAD src0_sel:WORD_0 src1_sel:DWORD
	v_mov_b32_e32 v44, 0x7c010000
	s_mov_b32 s41, exec_lo
	v_cmpx_ne_u32_e32 0x7f, v47
	s_cbranch_execz .LBB295_152
; %bb.149:                              ;   in Loop: Header=BB295_10 Depth=1
	v_and_b32_sdwa v44, v3, v24 dst_sel:DWORD dst_unused:UNUSED_PAD src0_sel:WORD_0 src1_sel:DWORD
	v_lshrrev_b32_e32 v46, 3, v47
	s_mov_b32 s42, exec_lo
	v_cmpx_gt_u32_e32 8, v47
; %bb.150:                              ;   in Loop: Header=BB295_10 Depth=1
	v_ffbh_u32_e32 v44, v44
	v_min_u32_e32 v44, 32, v44
	v_subrev_nc_u32_e32 v46, 28, v44
	v_lshlrev_b64 v[47:48], v46, v[3:4]
	v_sub_nc_u32_e32 v46, 29, v44
	v_and_b32_e32 v44, 7, v47
; %bb.151:                              ;   in Loop: Header=BB295_10 Depth=1
	s_or_b32 exec_lo, exec_lo, s42
	v_lshlrev_b32_sdwa v3, v25, v3 dst_sel:DWORD dst_unused:UNUSED_PAD src0_sel:DWORD src1_sel:WORD_0
	v_lshl_add_u32 v46, v46, 10, 0x2000
	v_lshlrev_b32_e32 v44, 23, v44
	v_and_or_b32 v3, 0x8000, v3, v46
	v_lshl_or_b32 v44, v3, 16, v44
.LBB295_152:                            ;   in Loop: Header=BB295_10 Depth=1
	s_or_b32 exec_lo, exec_lo, s41
.LBB295_153:                            ;   in Loop: Header=BB295_10 Depth=1
	s_or_b32 exec_lo, exec_lo, s40
.LBB295_154:                            ;   in Loop: Header=BB295_10 Depth=1
	s_or_b32 exec_lo, exec_lo, s3
	v_lshrrev_b32_e32 v3, 16, v11
	v_mov_b32_e32 v46, 0
	v_mov_b32_e32 v47, 0
	v_cmp_ne_u16_sdwa s2, v3, v4 src0_sel:BYTE_0 src1_sel:DWORD
	s_and_saveexec_b32 s3, s2
	s_cbranch_execz .LBB295_162
; %bb.155:                              ;   in Loop: Header=BB295_10 Depth=1
	v_cmp_ne_u16_sdwa s2, v3, v22 src0_sel:BYTE_0 src1_sel:DWORD
	v_mov_b32_e32 v47, 0x8000
	s_and_saveexec_b32 s40, s2
	s_cbranch_execz .LBB295_161
; %bb.156:                              ;   in Loop: Header=BB295_10 Depth=1
	v_bfe_u32 v49, v11, 16, 7
	v_mov_b32_e32 v47, 0x7c01
	s_mov_b32 s41, exec_lo
	v_cmpx_ne_u32_e32 0x7f, v49
	s_cbranch_execz .LBB295_160
; %bb.157:                              ;   in Loop: Header=BB295_10 Depth=1
	v_and_b32_e32 v47, 7, v3
	v_lshrrev_b32_e32 v48, 3, v49
	s_mov_b32 s42, exec_lo
	v_cmpx_gt_u32_e32 8, v49
; %bb.158:                              ;   in Loop: Header=BB295_10 Depth=1
	v_ffbh_u32_e32 v47, v47
	v_min_u32_e32 v49, 32, v47
	v_subrev_nc_u32_e32 v47, 28, v49
	v_lshlrev_b64 v[47:48], v47, v[3:4]
	v_sub_nc_u32_e32 v48, 29, v49
	v_and_b32_e32 v47, 7, v47
; %bb.159:                              ;   in Loop: Header=BB295_10 Depth=1
	s_or_b32 exec_lo, exec_lo, s42
	v_lshlrev_b32_e32 v3, 8, v3
	v_lshl_add_u32 v48, v48, 10, 0x2000
	v_lshlrev_b32_e32 v47, 7, v47
	v_and_b32_e32 v3, 0x8000, v3
	v_and_b32_e32 v48, 0xfc00, v48
	v_or3_b32 v47, v3, v48, v47
.LBB295_160:                            ;   in Loop: Header=BB295_10 Depth=1
	s_or_b32 exec_lo, exec_lo, s41
.LBB295_161:                            ;   in Loop: Header=BB295_10 Depth=1
	s_or_b32 exec_lo, exec_lo, s40
.LBB295_162:                            ;   in Loop: Header=BB295_10 Depth=1
	s_or_b32 exec_lo, exec_lo, s3
	s_mov_b32 s3, exec_lo
	v_cmpx_lt_u32_e32 0xffffff, v11
	s_cbranch_execz .LBB295_170
; %bb.163:                              ;   in Loop: Header=BB295_10 Depth=1
	v_lshrrev_b32_e32 v3, 24, v11
	v_bfrev_b32_e32 v46, 1
	s_mov_b32 s40, exec_lo
	v_cmpx_ne_u32_e32 0x80, v3
	s_cbranch_execz .LBB295_169
; %bb.164:                              ;   in Loop: Header=BB295_10 Depth=1
	v_and_b32_e32 v48, 0x7f, v3
	v_mov_b32_e32 v46, 0x7c010000
	s_mov_b32 s41, exec_lo
	v_cmpx_ne_u32_e32 0x7f, v48
	s_cbranch_execz .LBB295_168
; %bb.165:                              ;   in Loop: Header=BB295_10 Depth=1
	v_and_b32_e32 v11, 7, v3
	v_lshrrev_b32_e32 v46, 3, v48
	s_mov_b32 s42, exec_lo
	v_cmpx_gt_u32_e32 8, v48
; %bb.166:                              ;   in Loop: Header=BB295_10 Depth=1
	v_ffbh_u32_e32 v11, v11
	v_min_u32_e32 v11, 32, v11
	v_subrev_nc_u32_e32 v46, 28, v11
	v_lshlrev_b64 v[48:49], v46, v[3:4]
	v_sub_nc_u32_e32 v46, 29, v11
	v_and_b32_e32 v11, 7, v48
; %bb.167:                              ;   in Loop: Header=BB295_10 Depth=1
	s_or_b32 exec_lo, exec_lo, s42
	v_lshlrev_b32_e32 v3, 8, v3
	v_lshl_add_u32 v46, v46, 10, 0x2000
	v_lshlrev_b32_e32 v11, 23, v11
	v_and_or_b32 v3, 0x8000, v3, v46
	v_lshl_or_b32 v46, v3, 16, v11
.LBB295_168:                            ;   in Loop: Header=BB295_10 Depth=1
	s_or_b32 exec_lo, exec_lo, s41
.LBB295_169:                            ;   in Loop: Header=BB295_10 Depth=1
	s_or_b32 exec_lo, exec_lo, s40
.LBB295_170:                            ;   in Loop: Header=BB295_10 Depth=1
	s_or_b32 exec_lo, exec_lo, s3
	global_load_dword v11, v[9:10], off offset:520
	v_mov_b32_e32 v48, 0
	v_mov_b32_e32 v49, 0
	s_waitcnt vmcnt(0)
	v_cmp_ne_u16_sdwa s2, v11, v4 src0_sel:BYTE_0 src1_sel:DWORD
	s_and_saveexec_b32 s3, s2
	s_cbranch_execz .LBB295_178
; %bb.171:                              ;   in Loop: Header=BB295_10 Depth=1
	v_cmp_ne_u16_sdwa s2, v11, v22 src0_sel:BYTE_0 src1_sel:DWORD
	v_mov_b32_e32 v49, 0x8000
	s_and_saveexec_b32 s40, s2
	s_cbranch_execz .LBB295_177
; %bb.172:                              ;   in Loop: Header=BB295_10 Depth=1
	v_and_b32_e32 v50, 0x7f, v11
	v_mov_b32_e32 v49, 0x7c01
	s_mov_b32 s41, exec_lo
	v_cmpx_ne_u32_e32 0x7f, v50
	s_cbranch_execz .LBB295_176
; %bb.173:                              ;   in Loop: Header=BB295_10 Depth=1
	v_and_b32_e32 v3, 7, v11
	v_lshrrev_b32_e32 v49, 3, v50
	s_mov_b32 s42, exec_lo
	v_cmpx_gt_u32_e32 8, v50
; %bb.174:                              ;   in Loop: Header=BB295_10 Depth=1
	v_ffbh_u32_e32 v3, v3
	v_min_u32_e32 v3, 32, v3
	v_subrev_nc_u32_e32 v49, 28, v3
	v_lshlrev_b64 v[50:51], v49, v[11:12]
	v_sub_nc_u32_e32 v49, 29, v3
	v_and_b32_e32 v3, 7, v50
; %bb.175:                              ;   in Loop: Header=BB295_10 Depth=1
	s_or_b32 exec_lo, exec_lo, s42
	v_lshlrev_b32_e32 v50, 8, v11
	v_lshl_add_u32 v49, v49, 10, 0x2000
	v_lshlrev_b32_e32 v3, 7, v3
	v_and_b32_e32 v50, 0x8000, v50
	v_and_b32_e32 v49, 0xfc00, v49
	v_or3_b32 v49, v50, v49, v3
.LBB295_176:                            ;   in Loop: Header=BB295_10 Depth=1
	s_or_b32 exec_lo, exec_lo, s41
.LBB295_177:                            ;   in Loop: Header=BB295_10 Depth=1
	s_or_b32 exec_lo, exec_lo, s40
.LBB295_178:                            ;   in Loop: Header=BB295_10 Depth=1
	s_or_b32 exec_lo, exec_lo, s3
	v_lshrrev_b16 v3, 8, v11
	s_mov_b32 s3, exec_lo
	v_cmpx_ne_u16_e32 0, v3
	s_cbranch_execz .LBB295_186
; %bb.179:                              ;   in Loop: Header=BB295_10 Depth=1
	v_bfrev_b32_e32 v48, 1
	s_mov_b32 s40, exec_lo
	v_cmpx_ne_u16_e32 0x80, v3
	s_cbranch_execz .LBB295_185
; %bb.180:                              ;   in Loop: Header=BB295_10 Depth=1
	v_and_b32_sdwa v51, v3, v23 dst_sel:DWORD dst_unused:UNUSED_PAD src0_sel:WORD_0 src1_sel:DWORD
	v_mov_b32_e32 v48, 0x7c010000
	s_mov_b32 s41, exec_lo
	v_cmpx_ne_u32_e32 0x7f, v51
	s_cbranch_execz .LBB295_184
; %bb.181:                              ;   in Loop: Header=BB295_10 Depth=1
	v_and_b32_sdwa v48, v3, v24 dst_sel:DWORD dst_unused:UNUSED_PAD src0_sel:WORD_0 src1_sel:DWORD
	v_lshrrev_b32_e32 v50, 3, v51
	s_mov_b32 s42, exec_lo
	v_cmpx_gt_u32_e32 8, v51
; %bb.182:                              ;   in Loop: Header=BB295_10 Depth=1
	v_ffbh_u32_e32 v48, v48
	v_min_u32_e32 v48, 32, v48
	v_subrev_nc_u32_e32 v50, 28, v48
	v_lshlrev_b64 v[51:52], v50, v[3:4]
	v_sub_nc_u32_e32 v50, 29, v48
	v_and_b32_e32 v48, 7, v51
; %bb.183:                              ;   in Loop: Header=BB295_10 Depth=1
	s_or_b32 exec_lo, exec_lo, s42
	v_lshlrev_b32_sdwa v3, v25, v3 dst_sel:DWORD dst_unused:UNUSED_PAD src0_sel:DWORD src1_sel:WORD_0
	v_lshl_add_u32 v50, v50, 10, 0x2000
	v_lshlrev_b32_e32 v48, 23, v48
	v_and_or_b32 v3, 0x8000, v3, v50
	v_lshl_or_b32 v48, v3, 16, v48
.LBB295_184:                            ;   in Loop: Header=BB295_10 Depth=1
	s_or_b32 exec_lo, exec_lo, s41
.LBB295_185:                            ;   in Loop: Header=BB295_10 Depth=1
	s_or_b32 exec_lo, exec_lo, s40
.LBB295_186:                            ;   in Loop: Header=BB295_10 Depth=1
	s_or_b32 exec_lo, exec_lo, s3
	v_lshrrev_b32_e32 v3, 16, v11
	v_mov_b32_e32 v50, 0
	v_mov_b32_e32 v51, 0
	v_cmp_ne_u16_sdwa s2, v3, v4 src0_sel:BYTE_0 src1_sel:DWORD
	s_and_saveexec_b32 s3, s2
	s_cbranch_execz .LBB295_194
; %bb.187:                              ;   in Loop: Header=BB295_10 Depth=1
	v_cmp_ne_u16_sdwa s2, v3, v22 src0_sel:BYTE_0 src1_sel:DWORD
	v_mov_b32_e32 v51, 0x8000
	s_and_saveexec_b32 s40, s2
	s_cbranch_execz .LBB295_193
; %bb.188:                              ;   in Loop: Header=BB295_10 Depth=1
	v_bfe_u32 v53, v11, 16, 7
	v_mov_b32_e32 v51, 0x7c01
	s_mov_b32 s41, exec_lo
	v_cmpx_ne_u32_e32 0x7f, v53
	s_cbranch_execz .LBB295_192
; %bb.189:                              ;   in Loop: Header=BB295_10 Depth=1
	v_and_b32_e32 v51, 7, v3
	v_lshrrev_b32_e32 v52, 3, v53
	s_mov_b32 s42, exec_lo
	v_cmpx_gt_u32_e32 8, v53
; %bb.190:                              ;   in Loop: Header=BB295_10 Depth=1
	v_ffbh_u32_e32 v51, v51
	v_min_u32_e32 v53, 32, v51
	v_subrev_nc_u32_e32 v51, 28, v53
	v_lshlrev_b64 v[51:52], v51, v[3:4]
	v_sub_nc_u32_e32 v52, 29, v53
	v_and_b32_e32 v51, 7, v51
; %bb.191:                              ;   in Loop: Header=BB295_10 Depth=1
	s_or_b32 exec_lo, exec_lo, s42
	v_lshlrev_b32_e32 v3, 8, v3
	v_lshl_add_u32 v52, v52, 10, 0x2000
	v_lshlrev_b32_e32 v51, 7, v51
	v_and_b32_e32 v3, 0x8000, v3
	v_and_b32_e32 v52, 0xfc00, v52
	v_or3_b32 v51, v3, v52, v51
.LBB295_192:                            ;   in Loop: Header=BB295_10 Depth=1
	s_or_b32 exec_lo, exec_lo, s41
.LBB295_193:                            ;   in Loop: Header=BB295_10 Depth=1
	s_or_b32 exec_lo, exec_lo, s40
.LBB295_194:                            ;   in Loop: Header=BB295_10 Depth=1
	s_or_b32 exec_lo, exec_lo, s3
	s_mov_b32 s3, exec_lo
	v_cmpx_lt_u32_e32 0xffffff, v11
	s_cbranch_execz .LBB295_202
; %bb.195:                              ;   in Loop: Header=BB295_10 Depth=1
	v_lshrrev_b32_e32 v3, 24, v11
	v_bfrev_b32_e32 v50, 1
	s_mov_b32 s40, exec_lo
	v_cmpx_ne_u32_e32 0x80, v3
	s_cbranch_execz .LBB295_201
; %bb.196:                              ;   in Loop: Header=BB295_10 Depth=1
	v_and_b32_e32 v52, 0x7f, v3
	v_mov_b32_e32 v50, 0x7c010000
	s_mov_b32 s41, exec_lo
	v_cmpx_ne_u32_e32 0x7f, v52
	s_cbranch_execz .LBB295_200
; %bb.197:                              ;   in Loop: Header=BB295_10 Depth=1
	v_and_b32_e32 v11, 7, v3
	v_lshrrev_b32_e32 v50, 3, v52
	s_mov_b32 s42, exec_lo
	v_cmpx_gt_u32_e32 8, v52
; %bb.198:                              ;   in Loop: Header=BB295_10 Depth=1
	v_ffbh_u32_e32 v11, v11
	v_min_u32_e32 v11, 32, v11
	v_subrev_nc_u32_e32 v50, 28, v11
	v_lshlrev_b64 v[52:53], v50, v[3:4]
	v_sub_nc_u32_e32 v50, 29, v11
	v_and_b32_e32 v11, 7, v52
; %bb.199:                              ;   in Loop: Header=BB295_10 Depth=1
	s_or_b32 exec_lo, exec_lo, s42
	v_lshlrev_b32_e32 v3, 8, v3
	v_lshl_add_u32 v50, v50, 10, 0x2000
	v_lshlrev_b32_e32 v11, 23, v11
	v_and_or_b32 v3, 0x8000, v3, v50
	v_lshl_or_b32 v50, v3, 16, v11
.LBB295_200:                            ;   in Loop: Header=BB295_10 Depth=1
	s_or_b32 exec_lo, exec_lo, s41
.LBB295_201:                            ;   in Loop: Header=BB295_10 Depth=1
	s_or_b32 exec_lo, exec_lo, s40
.LBB295_202:                            ;   in Loop: Header=BB295_10 Depth=1
	s_or_b32 exec_lo, exec_lo, s3
	global_load_dword v11, v[9:10], off offset:768
	v_mov_b32_e32 v52, 0
	v_mov_b32_e32 v53, 0
	s_waitcnt vmcnt(0)
	v_cmp_ne_u16_sdwa s2, v11, v4 src0_sel:BYTE_0 src1_sel:DWORD
	s_and_saveexec_b32 s3, s2
	s_cbranch_execz .LBB295_210
; %bb.203:                              ;   in Loop: Header=BB295_10 Depth=1
	v_cmp_ne_u16_sdwa s2, v11, v22 src0_sel:BYTE_0 src1_sel:DWORD
	v_mov_b32_e32 v53, 0x8000
	s_and_saveexec_b32 s40, s2
	s_cbranch_execz .LBB295_209
; %bb.204:                              ;   in Loop: Header=BB295_10 Depth=1
	v_and_b32_e32 v54, 0x7f, v11
	v_mov_b32_e32 v53, 0x7c01
	s_mov_b32 s41, exec_lo
	v_cmpx_ne_u32_e32 0x7f, v54
	s_cbranch_execz .LBB295_208
; %bb.205:                              ;   in Loop: Header=BB295_10 Depth=1
	v_and_b32_e32 v3, 7, v11
	v_lshrrev_b32_e32 v53, 3, v54
	s_mov_b32 s42, exec_lo
	v_cmpx_gt_u32_e32 8, v54
; %bb.206:                              ;   in Loop: Header=BB295_10 Depth=1
	v_ffbh_u32_e32 v3, v3
	v_min_u32_e32 v3, 32, v3
	v_subrev_nc_u32_e32 v53, 28, v3
	v_lshlrev_b64 v[54:55], v53, v[11:12]
	v_sub_nc_u32_e32 v53, 29, v3
	v_and_b32_e32 v3, 7, v54
; %bb.207:                              ;   in Loop: Header=BB295_10 Depth=1
	s_or_b32 exec_lo, exec_lo, s42
	v_lshlrev_b32_e32 v54, 8, v11
	v_lshl_add_u32 v53, v53, 10, 0x2000
	v_lshlrev_b32_e32 v3, 7, v3
	v_and_b32_e32 v54, 0x8000, v54
	v_and_b32_e32 v53, 0xfc00, v53
	v_or3_b32 v53, v54, v53, v3
.LBB295_208:                            ;   in Loop: Header=BB295_10 Depth=1
	s_or_b32 exec_lo, exec_lo, s41
.LBB295_209:                            ;   in Loop: Header=BB295_10 Depth=1
	s_or_b32 exec_lo, exec_lo, s40
.LBB295_210:                            ;   in Loop: Header=BB295_10 Depth=1
	s_or_b32 exec_lo, exec_lo, s3
	v_lshrrev_b16 v3, 8, v11
	s_mov_b32 s3, exec_lo
	v_cmpx_ne_u16_e32 0, v3
	s_cbranch_execz .LBB295_218
; %bb.211:                              ;   in Loop: Header=BB295_10 Depth=1
	v_bfrev_b32_e32 v52, 1
	s_mov_b32 s40, exec_lo
	v_cmpx_ne_u16_e32 0x80, v3
	s_cbranch_execz .LBB295_217
; %bb.212:                              ;   in Loop: Header=BB295_10 Depth=1
	v_and_b32_sdwa v55, v3, v23 dst_sel:DWORD dst_unused:UNUSED_PAD src0_sel:WORD_0 src1_sel:DWORD
	v_mov_b32_e32 v52, 0x7c010000
	s_mov_b32 s41, exec_lo
	v_cmpx_ne_u32_e32 0x7f, v55
	s_cbranch_execz .LBB295_216
; %bb.213:                              ;   in Loop: Header=BB295_10 Depth=1
	v_and_b32_sdwa v52, v3, v24 dst_sel:DWORD dst_unused:UNUSED_PAD src0_sel:WORD_0 src1_sel:DWORD
	v_lshrrev_b32_e32 v54, 3, v55
	s_mov_b32 s42, exec_lo
	v_cmpx_gt_u32_e32 8, v55
; %bb.214:                              ;   in Loop: Header=BB295_10 Depth=1
	v_ffbh_u32_e32 v52, v52
	v_min_u32_e32 v52, 32, v52
	v_subrev_nc_u32_e32 v54, 28, v52
	v_lshlrev_b64 v[55:56], v54, v[3:4]
	v_sub_nc_u32_e32 v54, 29, v52
	v_and_b32_e32 v52, 7, v55
; %bb.215:                              ;   in Loop: Header=BB295_10 Depth=1
	s_or_b32 exec_lo, exec_lo, s42
	v_lshlrev_b32_sdwa v3, v25, v3 dst_sel:DWORD dst_unused:UNUSED_PAD src0_sel:DWORD src1_sel:WORD_0
	v_lshl_add_u32 v54, v54, 10, 0x2000
	v_lshlrev_b32_e32 v52, 23, v52
	v_and_or_b32 v3, 0x8000, v3, v54
	v_lshl_or_b32 v52, v3, 16, v52
.LBB295_216:                            ;   in Loop: Header=BB295_10 Depth=1
	s_or_b32 exec_lo, exec_lo, s41
.LBB295_217:                            ;   in Loop: Header=BB295_10 Depth=1
	s_or_b32 exec_lo, exec_lo, s40
.LBB295_218:                            ;   in Loop: Header=BB295_10 Depth=1
	s_or_b32 exec_lo, exec_lo, s3
	v_lshrrev_b32_e32 v3, 16, v11
	v_mov_b32_e32 v54, 0
	v_mov_b32_e32 v55, 0
	v_cmp_ne_u16_sdwa s2, v3, v4 src0_sel:BYTE_0 src1_sel:DWORD
	s_and_saveexec_b32 s3, s2
	s_cbranch_execz .LBB295_226
; %bb.219:                              ;   in Loop: Header=BB295_10 Depth=1
	v_cmp_ne_u16_sdwa s2, v3, v22 src0_sel:BYTE_0 src1_sel:DWORD
	v_mov_b32_e32 v55, 0x8000
	s_and_saveexec_b32 s40, s2
	s_cbranch_execz .LBB295_225
; %bb.220:                              ;   in Loop: Header=BB295_10 Depth=1
	v_bfe_u32 v57, v11, 16, 7
	v_mov_b32_e32 v55, 0x7c01
	s_mov_b32 s41, exec_lo
	v_cmpx_ne_u32_e32 0x7f, v57
	s_cbranch_execz .LBB295_224
; %bb.221:                              ;   in Loop: Header=BB295_10 Depth=1
	v_and_b32_e32 v55, 7, v3
	v_lshrrev_b32_e32 v56, 3, v57
	s_mov_b32 s42, exec_lo
	v_cmpx_gt_u32_e32 8, v57
; %bb.222:                              ;   in Loop: Header=BB295_10 Depth=1
	v_ffbh_u32_e32 v55, v55
	v_min_u32_e32 v57, 32, v55
	v_subrev_nc_u32_e32 v55, 28, v57
	v_lshlrev_b64 v[55:56], v55, v[3:4]
	v_sub_nc_u32_e32 v56, 29, v57
	v_and_b32_e32 v55, 7, v55
; %bb.223:                              ;   in Loop: Header=BB295_10 Depth=1
	s_or_b32 exec_lo, exec_lo, s42
	v_lshlrev_b32_e32 v3, 8, v3
	v_lshl_add_u32 v56, v56, 10, 0x2000
	v_lshlrev_b32_e32 v55, 7, v55
	v_and_b32_e32 v3, 0x8000, v3
	v_and_b32_e32 v56, 0xfc00, v56
	v_or3_b32 v55, v3, v56, v55
.LBB295_224:                            ;   in Loop: Header=BB295_10 Depth=1
	s_or_b32 exec_lo, exec_lo, s41
.LBB295_225:                            ;   in Loop: Header=BB295_10 Depth=1
	s_or_b32 exec_lo, exec_lo, s40
.LBB295_226:                            ;   in Loop: Header=BB295_10 Depth=1
	s_or_b32 exec_lo, exec_lo, s3
	s_mov_b32 s3, exec_lo
	v_cmpx_lt_u32_e32 0xffffff, v11
	s_cbranch_execz .LBB295_234
; %bb.227:                              ;   in Loop: Header=BB295_10 Depth=1
	v_lshrrev_b32_e32 v3, 24, v11
	v_bfrev_b32_e32 v54, 1
	s_mov_b32 s40, exec_lo
	v_cmpx_ne_u32_e32 0x80, v3
	s_cbranch_execz .LBB295_233
; %bb.228:                              ;   in Loop: Header=BB295_10 Depth=1
	v_and_b32_e32 v56, 0x7f, v3
	v_mov_b32_e32 v54, 0x7c010000
	s_mov_b32 s41, exec_lo
	v_cmpx_ne_u32_e32 0x7f, v56
	s_cbranch_execz .LBB295_232
; %bb.229:                              ;   in Loop: Header=BB295_10 Depth=1
	v_and_b32_e32 v11, 7, v3
	v_lshrrev_b32_e32 v54, 3, v56
	s_mov_b32 s42, exec_lo
	v_cmpx_gt_u32_e32 8, v56
; %bb.230:                              ;   in Loop: Header=BB295_10 Depth=1
	v_ffbh_u32_e32 v11, v11
	v_min_u32_e32 v11, 32, v11
	v_subrev_nc_u32_e32 v54, 28, v11
	v_lshlrev_b64 v[56:57], v54, v[3:4]
	v_sub_nc_u32_e32 v54, 29, v11
	v_and_b32_e32 v11, 7, v56
; %bb.231:                              ;   in Loop: Header=BB295_10 Depth=1
	s_or_b32 exec_lo, exec_lo, s42
	v_lshlrev_b32_e32 v3, 8, v3
	v_lshl_add_u32 v54, v54, 10, 0x2000
	v_lshlrev_b32_e32 v11, 23, v11
	v_and_or_b32 v3, 0x8000, v3, v54
	v_lshl_or_b32 v54, v3, 16, v11
.LBB295_232:                            ;   in Loop: Header=BB295_10 Depth=1
	s_or_b32 exec_lo, exec_lo, s41
.LBB295_233:                            ;   in Loop: Header=BB295_10 Depth=1
	s_or_b32 exec_lo, exec_lo, s40
.LBB295_234:                            ;   in Loop: Header=BB295_10 Depth=1
	s_or_b32 exec_lo, exec_lo, s3
	global_load_dword v11, v[9:10], off offset:776
	v_mov_b32_e32 v56, 0
	v_mov_b32_e32 v57, 0
	s_waitcnt vmcnt(0)
	v_cmp_ne_u16_sdwa s2, v11, v4 src0_sel:BYTE_0 src1_sel:DWORD
	s_and_saveexec_b32 s3, s2
	s_cbranch_execz .LBB295_242
; %bb.235:                              ;   in Loop: Header=BB295_10 Depth=1
	v_cmp_ne_u16_sdwa s2, v11, v22 src0_sel:BYTE_0 src1_sel:DWORD
	v_mov_b32_e32 v57, 0x8000
	s_and_saveexec_b32 s40, s2
	s_cbranch_execz .LBB295_241
; %bb.236:                              ;   in Loop: Header=BB295_10 Depth=1
	v_and_b32_e32 v58, 0x7f, v11
	v_mov_b32_e32 v57, 0x7c01
	s_mov_b32 s41, exec_lo
	v_cmpx_ne_u32_e32 0x7f, v58
	s_cbranch_execz .LBB295_240
; %bb.237:                              ;   in Loop: Header=BB295_10 Depth=1
	v_and_b32_e32 v3, 7, v11
	v_lshrrev_b32_e32 v57, 3, v58
	s_mov_b32 s42, exec_lo
	v_cmpx_gt_u32_e32 8, v58
; %bb.238:                              ;   in Loop: Header=BB295_10 Depth=1
	v_ffbh_u32_e32 v3, v3
	v_min_u32_e32 v3, 32, v3
	v_subrev_nc_u32_e32 v57, 28, v3
	v_lshlrev_b64 v[58:59], v57, v[11:12]
	v_sub_nc_u32_e32 v57, 29, v3
	v_and_b32_e32 v3, 7, v58
; %bb.239:                              ;   in Loop: Header=BB295_10 Depth=1
	s_or_b32 exec_lo, exec_lo, s42
	v_lshlrev_b32_e32 v58, 8, v11
	v_lshl_add_u32 v57, v57, 10, 0x2000
	v_lshlrev_b32_e32 v3, 7, v3
	v_and_b32_e32 v58, 0x8000, v58
	v_and_b32_e32 v57, 0xfc00, v57
	v_or3_b32 v57, v58, v57, v3
.LBB295_240:                            ;   in Loop: Header=BB295_10 Depth=1
	s_or_b32 exec_lo, exec_lo, s41
.LBB295_241:                            ;   in Loop: Header=BB295_10 Depth=1
	s_or_b32 exec_lo, exec_lo, s40
.LBB295_242:                            ;   in Loop: Header=BB295_10 Depth=1
	s_or_b32 exec_lo, exec_lo, s3
	v_lshrrev_b16 v3, 8, v11
	s_mov_b32 s3, exec_lo
	v_cmpx_ne_u16_e32 0, v3
	s_cbranch_execz .LBB295_250
; %bb.243:                              ;   in Loop: Header=BB295_10 Depth=1
	v_bfrev_b32_e32 v56, 1
	s_mov_b32 s40, exec_lo
	v_cmpx_ne_u16_e32 0x80, v3
	s_cbranch_execz .LBB295_249
; %bb.244:                              ;   in Loop: Header=BB295_10 Depth=1
	v_and_b32_sdwa v59, v3, v23 dst_sel:DWORD dst_unused:UNUSED_PAD src0_sel:WORD_0 src1_sel:DWORD
	v_mov_b32_e32 v56, 0x7c010000
	s_mov_b32 s41, exec_lo
	v_cmpx_ne_u32_e32 0x7f, v59
	s_cbranch_execz .LBB295_248
; %bb.245:                              ;   in Loop: Header=BB295_10 Depth=1
	v_and_b32_sdwa v56, v3, v24 dst_sel:DWORD dst_unused:UNUSED_PAD src0_sel:WORD_0 src1_sel:DWORD
	v_lshrrev_b32_e32 v58, 3, v59
	s_mov_b32 s42, exec_lo
	v_cmpx_gt_u32_e32 8, v59
; %bb.246:                              ;   in Loop: Header=BB295_10 Depth=1
	v_ffbh_u32_e32 v56, v56
	v_min_u32_e32 v56, 32, v56
	v_subrev_nc_u32_e32 v58, 28, v56
	v_lshlrev_b64 v[59:60], v58, v[3:4]
	v_sub_nc_u32_e32 v58, 29, v56
	v_and_b32_e32 v56, 7, v59
; %bb.247:                              ;   in Loop: Header=BB295_10 Depth=1
	s_or_b32 exec_lo, exec_lo, s42
	v_lshlrev_b32_sdwa v3, v25, v3 dst_sel:DWORD dst_unused:UNUSED_PAD src0_sel:DWORD src1_sel:WORD_0
	v_lshl_add_u32 v58, v58, 10, 0x2000
	v_lshlrev_b32_e32 v56, 23, v56
	v_and_or_b32 v3, 0x8000, v3, v58
	v_lshl_or_b32 v56, v3, 16, v56
.LBB295_248:                            ;   in Loop: Header=BB295_10 Depth=1
	s_or_b32 exec_lo, exec_lo, s41
.LBB295_249:                            ;   in Loop: Header=BB295_10 Depth=1
	s_or_b32 exec_lo, exec_lo, s40
.LBB295_250:                            ;   in Loop: Header=BB295_10 Depth=1
	s_or_b32 exec_lo, exec_lo, s3
	v_lshrrev_b32_e32 v3, 16, v11
	v_mov_b32_e32 v58, 0
	v_mov_b32_e32 v59, 0
	v_cmp_ne_u16_sdwa s2, v3, v4 src0_sel:BYTE_0 src1_sel:DWORD
	s_and_saveexec_b32 s3, s2
	s_cbranch_execz .LBB295_258
; %bb.251:                              ;   in Loop: Header=BB295_10 Depth=1
	v_cmp_ne_u16_sdwa s2, v3, v22 src0_sel:BYTE_0 src1_sel:DWORD
	v_mov_b32_e32 v59, 0x8000
	s_and_saveexec_b32 s40, s2
	s_cbranch_execz .LBB295_257
; %bb.252:                              ;   in Loop: Header=BB295_10 Depth=1
	v_bfe_u32 v61, v11, 16, 7
	v_mov_b32_e32 v59, 0x7c01
	s_mov_b32 s41, exec_lo
	v_cmpx_ne_u32_e32 0x7f, v61
	s_cbranch_execz .LBB295_256
; %bb.253:                              ;   in Loop: Header=BB295_10 Depth=1
	v_and_b32_e32 v59, 7, v3
	v_lshrrev_b32_e32 v60, 3, v61
	s_mov_b32 s42, exec_lo
	v_cmpx_gt_u32_e32 8, v61
; %bb.254:                              ;   in Loop: Header=BB295_10 Depth=1
	v_ffbh_u32_e32 v59, v59
	v_min_u32_e32 v61, 32, v59
	v_subrev_nc_u32_e32 v59, 28, v61
	v_lshlrev_b64 v[59:60], v59, v[3:4]
	v_sub_nc_u32_e32 v60, 29, v61
	v_and_b32_e32 v59, 7, v59
; %bb.255:                              ;   in Loop: Header=BB295_10 Depth=1
	s_or_b32 exec_lo, exec_lo, s42
	v_lshlrev_b32_e32 v3, 8, v3
	v_lshl_add_u32 v60, v60, 10, 0x2000
	v_lshlrev_b32_e32 v59, 7, v59
	v_and_b32_e32 v3, 0x8000, v3
	v_and_b32_e32 v60, 0xfc00, v60
	v_or3_b32 v59, v3, v60, v59
.LBB295_256:                            ;   in Loop: Header=BB295_10 Depth=1
	s_or_b32 exec_lo, exec_lo, s41
.LBB295_257:                            ;   in Loop: Header=BB295_10 Depth=1
	s_or_b32 exec_lo, exec_lo, s40
.LBB295_258:                            ;   in Loop: Header=BB295_10 Depth=1
	s_or_b32 exec_lo, exec_lo, s3
	s_mov_b32 s3, exec_lo
	v_cmpx_lt_u32_e32 0xffffff, v11
	s_cbranch_execz .LBB295_266
; %bb.259:                              ;   in Loop: Header=BB295_10 Depth=1
	v_lshrrev_b32_e32 v3, 24, v11
	v_bfrev_b32_e32 v58, 1
	s_mov_b32 s40, exec_lo
	v_cmpx_ne_u32_e32 0x80, v3
	s_cbranch_execz .LBB295_265
; %bb.260:                              ;   in Loop: Header=BB295_10 Depth=1
	v_and_b32_e32 v60, 0x7f, v3
	v_mov_b32_e32 v58, 0x7c010000
	s_mov_b32 s41, exec_lo
	v_cmpx_ne_u32_e32 0x7f, v60
	s_cbranch_execz .LBB295_264
; %bb.261:                              ;   in Loop: Header=BB295_10 Depth=1
	v_and_b32_e32 v11, 7, v3
	v_lshrrev_b32_e32 v58, 3, v60
	s_mov_b32 s42, exec_lo
	v_cmpx_gt_u32_e32 8, v60
; %bb.262:                              ;   in Loop: Header=BB295_10 Depth=1
	v_ffbh_u32_e32 v11, v11
	v_min_u32_e32 v11, 32, v11
	v_subrev_nc_u32_e32 v58, 28, v11
	v_lshlrev_b64 v[60:61], v58, v[3:4]
	v_sub_nc_u32_e32 v58, 29, v11
	v_and_b32_e32 v11, 7, v60
; %bb.263:                              ;   in Loop: Header=BB295_10 Depth=1
	s_or_b32 exec_lo, exec_lo, s42
	v_lshlrev_b32_e32 v3, 8, v3
	v_lshl_add_u32 v58, v58, 10, 0x2000
	v_lshlrev_b32_e32 v11, 23, v11
	v_and_or_b32 v3, 0x8000, v3, v58
	v_lshl_or_b32 v58, v3, 16, v11
.LBB295_264:                            ;   in Loop: Header=BB295_10 Depth=1
	s_or_b32 exec_lo, exec_lo, s41
.LBB295_265:                            ;   in Loop: Header=BB295_10 Depth=1
	s_or_b32 exec_lo, exec_lo, s40
.LBB295_266:                            ;   in Loop: Header=BB295_10 Depth=1
	s_or_b32 exec_lo, exec_lo, s3
	global_load_dword v11, v[9:10], off offset:1024
	v_mov_b32_e32 v60, 0
	v_mov_b32_e32 v61, 0
	s_waitcnt vmcnt(0)
	v_cmp_ne_u16_sdwa s2, v11, v4 src0_sel:BYTE_0 src1_sel:DWORD
	s_and_saveexec_b32 s3, s2
	s_cbranch_execz .LBB295_274
; %bb.267:                              ;   in Loop: Header=BB295_10 Depth=1
	v_cmp_ne_u16_sdwa s2, v11, v22 src0_sel:BYTE_0 src1_sel:DWORD
	v_mov_b32_e32 v61, 0x8000
	s_and_saveexec_b32 s40, s2
	s_cbranch_execz .LBB295_273
; %bb.268:                              ;   in Loop: Header=BB295_10 Depth=1
	v_and_b32_e32 v62, 0x7f, v11
	v_mov_b32_e32 v61, 0x7c01
	s_mov_b32 s41, exec_lo
	v_cmpx_ne_u32_e32 0x7f, v62
	s_cbranch_execz .LBB295_272
; %bb.269:                              ;   in Loop: Header=BB295_10 Depth=1
	v_and_b32_e32 v3, 7, v11
	v_lshrrev_b32_e32 v61, 3, v62
	s_mov_b32 s42, exec_lo
	v_cmpx_gt_u32_e32 8, v62
; %bb.270:                              ;   in Loop: Header=BB295_10 Depth=1
	v_ffbh_u32_e32 v3, v3
	v_min_u32_e32 v3, 32, v3
	v_subrev_nc_u32_e32 v61, 28, v3
	v_lshlrev_b64 v[62:63], v61, v[11:12]
	v_sub_nc_u32_e32 v61, 29, v3
	v_and_b32_e32 v3, 7, v62
; %bb.271:                              ;   in Loop: Header=BB295_10 Depth=1
	s_or_b32 exec_lo, exec_lo, s42
	v_lshlrev_b32_e32 v62, 8, v11
	v_lshl_add_u32 v61, v61, 10, 0x2000
	v_lshlrev_b32_e32 v3, 7, v3
	v_and_b32_e32 v62, 0x8000, v62
	v_and_b32_e32 v61, 0xfc00, v61
	v_or3_b32 v61, v62, v61, v3
.LBB295_272:                            ;   in Loop: Header=BB295_10 Depth=1
	s_or_b32 exec_lo, exec_lo, s41
.LBB295_273:                            ;   in Loop: Header=BB295_10 Depth=1
	s_or_b32 exec_lo, exec_lo, s40
.LBB295_274:                            ;   in Loop: Header=BB295_10 Depth=1
	s_or_b32 exec_lo, exec_lo, s3
	v_lshrrev_b16 v3, 8, v11
	s_mov_b32 s3, exec_lo
	v_cmpx_ne_u16_e32 0, v3
	s_cbranch_execz .LBB295_282
; %bb.275:                              ;   in Loop: Header=BB295_10 Depth=1
	v_bfrev_b32_e32 v60, 1
	s_mov_b32 s40, exec_lo
	v_cmpx_ne_u16_e32 0x80, v3
	s_cbranch_execz .LBB295_281
; %bb.276:                              ;   in Loop: Header=BB295_10 Depth=1
	v_and_b32_sdwa v63, v3, v23 dst_sel:DWORD dst_unused:UNUSED_PAD src0_sel:WORD_0 src1_sel:DWORD
	v_mov_b32_e32 v60, 0x7c010000
	s_mov_b32 s41, exec_lo
	v_cmpx_ne_u32_e32 0x7f, v63
	s_cbranch_execz .LBB295_280
; %bb.277:                              ;   in Loop: Header=BB295_10 Depth=1
	v_and_b32_sdwa v60, v3, v24 dst_sel:DWORD dst_unused:UNUSED_PAD src0_sel:WORD_0 src1_sel:DWORD
	v_lshrrev_b32_e32 v62, 3, v63
	s_mov_b32 s42, exec_lo
	v_cmpx_gt_u32_e32 8, v63
; %bb.278:                              ;   in Loop: Header=BB295_10 Depth=1
	v_ffbh_u32_e32 v60, v60
	v_min_u32_e32 v60, 32, v60
	v_subrev_nc_u32_e32 v62, 28, v60
	v_lshlrev_b64 v[63:64], v62, v[3:4]
	v_sub_nc_u32_e32 v62, 29, v60
	v_and_b32_e32 v60, 7, v63
; %bb.279:                              ;   in Loop: Header=BB295_10 Depth=1
	s_or_b32 exec_lo, exec_lo, s42
	v_lshlrev_b32_sdwa v3, v25, v3 dst_sel:DWORD dst_unused:UNUSED_PAD src0_sel:DWORD src1_sel:WORD_0
	v_lshl_add_u32 v62, v62, 10, 0x2000
	v_lshlrev_b32_e32 v60, 23, v60
	v_and_or_b32 v3, 0x8000, v3, v62
	v_lshl_or_b32 v60, v3, 16, v60
.LBB295_280:                            ;   in Loop: Header=BB295_10 Depth=1
	s_or_b32 exec_lo, exec_lo, s41
.LBB295_281:                            ;   in Loop: Header=BB295_10 Depth=1
	s_or_b32 exec_lo, exec_lo, s40
.LBB295_282:                            ;   in Loop: Header=BB295_10 Depth=1
	s_or_b32 exec_lo, exec_lo, s3
	v_lshrrev_b32_e32 v3, 16, v11
	v_mov_b32_e32 v62, 0
	v_mov_b32_e32 v63, 0
	v_cmp_ne_u16_sdwa s2, v3, v4 src0_sel:BYTE_0 src1_sel:DWORD
	s_and_saveexec_b32 s3, s2
	s_cbranch_execz .LBB295_290
; %bb.283:                              ;   in Loop: Header=BB295_10 Depth=1
	v_cmp_ne_u16_sdwa s2, v3, v22 src0_sel:BYTE_0 src1_sel:DWORD
	v_mov_b32_e32 v63, 0x8000
	s_and_saveexec_b32 s40, s2
	s_cbranch_execz .LBB295_289
; %bb.284:                              ;   in Loop: Header=BB295_10 Depth=1
	v_bfe_u32 v65, v11, 16, 7
	v_mov_b32_e32 v63, 0x7c01
	s_mov_b32 s41, exec_lo
	v_cmpx_ne_u32_e32 0x7f, v65
	s_cbranch_execz .LBB295_288
; %bb.285:                              ;   in Loop: Header=BB295_10 Depth=1
	v_and_b32_e32 v63, 7, v3
	v_lshrrev_b32_e32 v64, 3, v65
	s_mov_b32 s42, exec_lo
	v_cmpx_gt_u32_e32 8, v65
; %bb.286:                              ;   in Loop: Header=BB295_10 Depth=1
	v_ffbh_u32_e32 v63, v63
	v_min_u32_e32 v65, 32, v63
	v_subrev_nc_u32_e32 v63, 28, v65
	v_lshlrev_b64 v[63:64], v63, v[3:4]
	v_sub_nc_u32_e32 v64, 29, v65
	v_and_b32_e32 v63, 7, v63
; %bb.287:                              ;   in Loop: Header=BB295_10 Depth=1
	s_or_b32 exec_lo, exec_lo, s42
	v_lshlrev_b32_e32 v3, 8, v3
	v_lshl_add_u32 v64, v64, 10, 0x2000
	v_lshlrev_b32_e32 v63, 7, v63
	v_and_b32_e32 v3, 0x8000, v3
	v_and_b32_e32 v64, 0xfc00, v64
	v_or3_b32 v63, v3, v64, v63
.LBB295_288:                            ;   in Loop: Header=BB295_10 Depth=1
	s_or_b32 exec_lo, exec_lo, s41
.LBB295_289:                            ;   in Loop: Header=BB295_10 Depth=1
	s_or_b32 exec_lo, exec_lo, s40
.LBB295_290:                            ;   in Loop: Header=BB295_10 Depth=1
	s_or_b32 exec_lo, exec_lo, s3
	s_mov_b32 s3, exec_lo
	v_cmpx_lt_u32_e32 0xffffff, v11
	s_cbranch_execz .LBB295_298
; %bb.291:                              ;   in Loop: Header=BB295_10 Depth=1
	v_lshrrev_b32_e32 v3, 24, v11
	v_bfrev_b32_e32 v62, 1
	s_mov_b32 s40, exec_lo
	v_cmpx_ne_u32_e32 0x80, v3
	s_cbranch_execz .LBB295_297
; %bb.292:                              ;   in Loop: Header=BB295_10 Depth=1
	v_and_b32_e32 v64, 0x7f, v3
	v_mov_b32_e32 v62, 0x7c010000
	s_mov_b32 s41, exec_lo
	v_cmpx_ne_u32_e32 0x7f, v64
	s_cbranch_execz .LBB295_296
; %bb.293:                              ;   in Loop: Header=BB295_10 Depth=1
	v_and_b32_e32 v11, 7, v3
	v_lshrrev_b32_e32 v62, 3, v64
	s_mov_b32 s42, exec_lo
	v_cmpx_gt_u32_e32 8, v64
; %bb.294:                              ;   in Loop: Header=BB295_10 Depth=1
	v_ffbh_u32_e32 v11, v11
	v_min_u32_e32 v11, 32, v11
	v_subrev_nc_u32_e32 v62, 28, v11
	v_lshlrev_b64 v[64:65], v62, v[3:4]
	v_sub_nc_u32_e32 v62, 29, v11
	v_and_b32_e32 v11, 7, v64
; %bb.295:                              ;   in Loop: Header=BB295_10 Depth=1
	s_or_b32 exec_lo, exec_lo, s42
	v_lshlrev_b32_e32 v3, 8, v3
	v_lshl_add_u32 v62, v62, 10, 0x2000
	v_lshlrev_b32_e32 v11, 23, v11
	v_and_or_b32 v3, 0x8000, v3, v62
	v_lshl_or_b32 v62, v3, 16, v11
.LBB295_296:                            ;   in Loop: Header=BB295_10 Depth=1
	s_or_b32 exec_lo, exec_lo, s41
.LBB295_297:                            ;   in Loop: Header=BB295_10 Depth=1
	s_or_b32 exec_lo, exec_lo, s40
.LBB295_298:                            ;   in Loop: Header=BB295_10 Depth=1
	s_or_b32 exec_lo, exec_lo, s3
	global_load_dword v11, v[9:10], off offset:1032
	v_mov_b32_e32 v64, 0
	v_mov_b32_e32 v65, 0
	s_waitcnt vmcnt(0)
	v_cmp_ne_u16_sdwa s2, v11, v4 src0_sel:BYTE_0 src1_sel:DWORD
	s_and_saveexec_b32 s3, s2
	s_cbranch_execz .LBB295_306
; %bb.299:                              ;   in Loop: Header=BB295_10 Depth=1
	v_cmp_ne_u16_sdwa s2, v11, v22 src0_sel:BYTE_0 src1_sel:DWORD
	v_mov_b32_e32 v65, 0x8000
	s_and_saveexec_b32 s40, s2
	s_cbranch_execz .LBB295_305
; %bb.300:                              ;   in Loop: Header=BB295_10 Depth=1
	v_and_b32_e32 v66, 0x7f, v11
	v_mov_b32_e32 v65, 0x7c01
	s_mov_b32 s41, exec_lo
	v_cmpx_ne_u32_e32 0x7f, v66
	s_cbranch_execz .LBB295_304
; %bb.301:                              ;   in Loop: Header=BB295_10 Depth=1
	v_and_b32_e32 v3, 7, v11
	v_lshrrev_b32_e32 v65, 3, v66
	s_mov_b32 s42, exec_lo
	v_cmpx_gt_u32_e32 8, v66
; %bb.302:                              ;   in Loop: Header=BB295_10 Depth=1
	v_ffbh_u32_e32 v3, v3
	v_min_u32_e32 v3, 32, v3
	v_subrev_nc_u32_e32 v65, 28, v3
	v_lshlrev_b64 v[66:67], v65, v[11:12]
	v_sub_nc_u32_e32 v65, 29, v3
	v_and_b32_e32 v3, 7, v66
; %bb.303:                              ;   in Loop: Header=BB295_10 Depth=1
	s_or_b32 exec_lo, exec_lo, s42
	v_lshlrev_b32_e32 v66, 8, v11
	v_lshl_add_u32 v65, v65, 10, 0x2000
	v_lshlrev_b32_e32 v3, 7, v3
	v_and_b32_e32 v66, 0x8000, v66
	v_and_b32_e32 v65, 0xfc00, v65
	v_or3_b32 v65, v66, v65, v3
.LBB295_304:                            ;   in Loop: Header=BB295_10 Depth=1
	s_or_b32 exec_lo, exec_lo, s41
.LBB295_305:                            ;   in Loop: Header=BB295_10 Depth=1
	s_or_b32 exec_lo, exec_lo, s40
.LBB295_306:                            ;   in Loop: Header=BB295_10 Depth=1
	s_or_b32 exec_lo, exec_lo, s3
	v_lshrrev_b16 v3, 8, v11
	s_mov_b32 s3, exec_lo
	v_cmpx_ne_u16_e32 0, v3
	s_cbranch_execz .LBB295_314
; %bb.307:                              ;   in Loop: Header=BB295_10 Depth=1
	v_bfrev_b32_e32 v64, 1
	s_mov_b32 s40, exec_lo
	v_cmpx_ne_u16_e32 0x80, v3
	s_cbranch_execz .LBB295_313
; %bb.308:                              ;   in Loop: Header=BB295_10 Depth=1
	v_and_b32_sdwa v67, v3, v23 dst_sel:DWORD dst_unused:UNUSED_PAD src0_sel:WORD_0 src1_sel:DWORD
	v_mov_b32_e32 v64, 0x7c010000
	s_mov_b32 s41, exec_lo
	v_cmpx_ne_u32_e32 0x7f, v67
	s_cbranch_execz .LBB295_312
; %bb.309:                              ;   in Loop: Header=BB295_10 Depth=1
	v_and_b32_sdwa v64, v3, v24 dst_sel:DWORD dst_unused:UNUSED_PAD src0_sel:WORD_0 src1_sel:DWORD
	v_lshrrev_b32_e32 v66, 3, v67
	s_mov_b32 s42, exec_lo
	v_cmpx_gt_u32_e32 8, v67
; %bb.310:                              ;   in Loop: Header=BB295_10 Depth=1
	v_ffbh_u32_e32 v64, v64
	v_min_u32_e32 v64, 32, v64
	v_subrev_nc_u32_e32 v66, 28, v64
	v_lshlrev_b64 v[67:68], v66, v[3:4]
	v_sub_nc_u32_e32 v66, 29, v64
	v_and_b32_e32 v64, 7, v67
; %bb.311:                              ;   in Loop: Header=BB295_10 Depth=1
	s_or_b32 exec_lo, exec_lo, s42
	v_lshlrev_b32_sdwa v3, v25, v3 dst_sel:DWORD dst_unused:UNUSED_PAD src0_sel:DWORD src1_sel:WORD_0
	v_lshl_add_u32 v66, v66, 10, 0x2000
	v_lshlrev_b32_e32 v64, 23, v64
	v_and_or_b32 v3, 0x8000, v3, v66
	v_lshl_or_b32 v64, v3, 16, v64
.LBB295_312:                            ;   in Loop: Header=BB295_10 Depth=1
	s_or_b32 exec_lo, exec_lo, s41
.LBB295_313:                            ;   in Loop: Header=BB295_10 Depth=1
	s_or_b32 exec_lo, exec_lo, s40
.LBB295_314:                            ;   in Loop: Header=BB295_10 Depth=1
	s_or_b32 exec_lo, exec_lo, s3
	v_lshrrev_b32_e32 v3, 16, v11
	v_mov_b32_e32 v66, 0
	v_mov_b32_e32 v67, 0
	v_cmp_ne_u16_sdwa s2, v3, v4 src0_sel:BYTE_0 src1_sel:DWORD
	s_and_saveexec_b32 s3, s2
	s_cbranch_execz .LBB295_322
; %bb.315:                              ;   in Loop: Header=BB295_10 Depth=1
	v_cmp_ne_u16_sdwa s2, v3, v22 src0_sel:BYTE_0 src1_sel:DWORD
	v_mov_b32_e32 v67, 0x8000
	s_and_saveexec_b32 s40, s2
	s_cbranch_execz .LBB295_321
; %bb.316:                              ;   in Loop: Header=BB295_10 Depth=1
	v_bfe_u32 v69, v11, 16, 7
	v_mov_b32_e32 v67, 0x7c01
	s_mov_b32 s41, exec_lo
	v_cmpx_ne_u32_e32 0x7f, v69
	s_cbranch_execz .LBB295_320
; %bb.317:                              ;   in Loop: Header=BB295_10 Depth=1
	v_and_b32_e32 v67, 7, v3
	v_lshrrev_b32_e32 v68, 3, v69
	s_mov_b32 s42, exec_lo
	v_cmpx_gt_u32_e32 8, v69
; %bb.318:                              ;   in Loop: Header=BB295_10 Depth=1
	v_ffbh_u32_e32 v67, v67
	v_min_u32_e32 v69, 32, v67
	v_subrev_nc_u32_e32 v67, 28, v69
	v_lshlrev_b64 v[67:68], v67, v[3:4]
	v_sub_nc_u32_e32 v68, 29, v69
	v_and_b32_e32 v67, 7, v67
; %bb.319:                              ;   in Loop: Header=BB295_10 Depth=1
	s_or_b32 exec_lo, exec_lo, s42
	v_lshlrev_b32_e32 v3, 8, v3
	v_lshl_add_u32 v68, v68, 10, 0x2000
	v_lshlrev_b32_e32 v67, 7, v67
	v_and_b32_e32 v3, 0x8000, v3
	v_and_b32_e32 v68, 0xfc00, v68
	v_or3_b32 v67, v3, v68, v67
.LBB295_320:                            ;   in Loop: Header=BB295_10 Depth=1
	s_or_b32 exec_lo, exec_lo, s41
.LBB295_321:                            ;   in Loop: Header=BB295_10 Depth=1
	s_or_b32 exec_lo, exec_lo, s40
.LBB295_322:                            ;   in Loop: Header=BB295_10 Depth=1
	s_or_b32 exec_lo, exec_lo, s3
	s_mov_b32 s3, exec_lo
	v_cmpx_lt_u32_e32 0xffffff, v11
	s_cbranch_execz .LBB295_330
; %bb.323:                              ;   in Loop: Header=BB295_10 Depth=1
	v_lshrrev_b32_e32 v3, 24, v11
	v_bfrev_b32_e32 v66, 1
	s_mov_b32 s40, exec_lo
	v_cmpx_ne_u32_e32 0x80, v3
	s_cbranch_execz .LBB295_329
; %bb.324:                              ;   in Loop: Header=BB295_10 Depth=1
	v_and_b32_e32 v68, 0x7f, v3
	v_mov_b32_e32 v66, 0x7c010000
	s_mov_b32 s41, exec_lo
	v_cmpx_ne_u32_e32 0x7f, v68
	s_cbranch_execz .LBB295_328
; %bb.325:                              ;   in Loop: Header=BB295_10 Depth=1
	v_and_b32_e32 v11, 7, v3
	v_lshrrev_b32_e32 v66, 3, v68
	s_mov_b32 s42, exec_lo
	v_cmpx_gt_u32_e32 8, v68
; %bb.326:                              ;   in Loop: Header=BB295_10 Depth=1
	v_ffbh_u32_e32 v11, v11
	v_min_u32_e32 v11, 32, v11
	v_subrev_nc_u32_e32 v66, 28, v11
	v_lshlrev_b64 v[68:69], v66, v[3:4]
	v_sub_nc_u32_e32 v66, 29, v11
	v_and_b32_e32 v11, 7, v68
; %bb.327:                              ;   in Loop: Header=BB295_10 Depth=1
	s_or_b32 exec_lo, exec_lo, s42
	v_lshlrev_b32_e32 v3, 8, v3
	v_lshl_add_u32 v66, v66, 10, 0x2000
	v_lshlrev_b32_e32 v11, 23, v11
	v_and_or_b32 v3, 0x8000, v3, v66
	v_lshl_or_b32 v66, v3, 16, v11
.LBB295_328:                            ;   in Loop: Header=BB295_10 Depth=1
	s_or_b32 exec_lo, exec_lo, s41
.LBB295_329:                            ;   in Loop: Header=BB295_10 Depth=1
	s_or_b32 exec_lo, exec_lo, s40
.LBB295_330:                            ;   in Loop: Header=BB295_10 Depth=1
	s_or_b32 exec_lo, exec_lo, s3
	global_load_dword v11, v[9:10], off offset:1280
	v_mov_b32_e32 v68, 0
	v_mov_b32_e32 v69, 0
	s_waitcnt vmcnt(0)
	v_cmp_ne_u16_sdwa s2, v11, v4 src0_sel:BYTE_0 src1_sel:DWORD
	s_and_saveexec_b32 s3, s2
	s_cbranch_execz .LBB295_338
; %bb.331:                              ;   in Loop: Header=BB295_10 Depth=1
	v_cmp_ne_u16_sdwa s2, v11, v22 src0_sel:BYTE_0 src1_sel:DWORD
	v_mov_b32_e32 v69, 0x8000
	s_and_saveexec_b32 s40, s2
	s_cbranch_execz .LBB295_337
; %bb.332:                              ;   in Loop: Header=BB295_10 Depth=1
	v_and_b32_e32 v70, 0x7f, v11
	v_mov_b32_e32 v69, 0x7c01
	s_mov_b32 s41, exec_lo
	v_cmpx_ne_u32_e32 0x7f, v70
	s_cbranch_execz .LBB295_336
; %bb.333:                              ;   in Loop: Header=BB295_10 Depth=1
	v_and_b32_e32 v3, 7, v11
	v_lshrrev_b32_e32 v69, 3, v70
	s_mov_b32 s42, exec_lo
	v_cmpx_gt_u32_e32 8, v70
; %bb.334:                              ;   in Loop: Header=BB295_10 Depth=1
	v_ffbh_u32_e32 v3, v3
	v_min_u32_e32 v3, 32, v3
	v_subrev_nc_u32_e32 v69, 28, v3
	v_lshlrev_b64 v[70:71], v69, v[11:12]
	v_sub_nc_u32_e32 v69, 29, v3
	v_and_b32_e32 v3, 7, v70
; %bb.335:                              ;   in Loop: Header=BB295_10 Depth=1
	s_or_b32 exec_lo, exec_lo, s42
	v_lshlrev_b32_e32 v70, 8, v11
	v_lshl_add_u32 v69, v69, 10, 0x2000
	v_lshlrev_b32_e32 v3, 7, v3
	v_and_b32_e32 v70, 0x8000, v70
	v_and_b32_e32 v69, 0xfc00, v69
	v_or3_b32 v69, v70, v69, v3
.LBB295_336:                            ;   in Loop: Header=BB295_10 Depth=1
	s_or_b32 exec_lo, exec_lo, s41
.LBB295_337:                            ;   in Loop: Header=BB295_10 Depth=1
	s_or_b32 exec_lo, exec_lo, s40
.LBB295_338:                            ;   in Loop: Header=BB295_10 Depth=1
	s_or_b32 exec_lo, exec_lo, s3
	v_lshrrev_b16 v3, 8, v11
	s_mov_b32 s3, exec_lo
	v_cmpx_ne_u16_e32 0, v3
	s_cbranch_execz .LBB295_346
; %bb.339:                              ;   in Loop: Header=BB295_10 Depth=1
	v_bfrev_b32_e32 v68, 1
	s_mov_b32 s40, exec_lo
	v_cmpx_ne_u16_e32 0x80, v3
	s_cbranch_execz .LBB295_345
; %bb.340:                              ;   in Loop: Header=BB295_10 Depth=1
	v_and_b32_sdwa v71, v3, v23 dst_sel:DWORD dst_unused:UNUSED_PAD src0_sel:WORD_0 src1_sel:DWORD
	v_mov_b32_e32 v68, 0x7c010000
	s_mov_b32 s41, exec_lo
	v_cmpx_ne_u32_e32 0x7f, v71
	s_cbranch_execz .LBB295_344
; %bb.341:                              ;   in Loop: Header=BB295_10 Depth=1
	v_and_b32_sdwa v68, v3, v24 dst_sel:DWORD dst_unused:UNUSED_PAD src0_sel:WORD_0 src1_sel:DWORD
	v_lshrrev_b32_e32 v70, 3, v71
	s_mov_b32 s42, exec_lo
	v_cmpx_gt_u32_e32 8, v71
; %bb.342:                              ;   in Loop: Header=BB295_10 Depth=1
	v_ffbh_u32_e32 v68, v68
	v_min_u32_e32 v68, 32, v68
	v_subrev_nc_u32_e32 v70, 28, v68
	v_lshlrev_b64 v[71:72], v70, v[3:4]
	v_sub_nc_u32_e32 v70, 29, v68
	v_and_b32_e32 v68, 7, v71
; %bb.343:                              ;   in Loop: Header=BB295_10 Depth=1
	s_or_b32 exec_lo, exec_lo, s42
	v_lshlrev_b32_sdwa v3, v25, v3 dst_sel:DWORD dst_unused:UNUSED_PAD src0_sel:DWORD src1_sel:WORD_0
	v_lshl_add_u32 v70, v70, 10, 0x2000
	v_lshlrev_b32_e32 v68, 23, v68
	v_and_or_b32 v3, 0x8000, v3, v70
	v_lshl_or_b32 v68, v3, 16, v68
.LBB295_344:                            ;   in Loop: Header=BB295_10 Depth=1
	s_or_b32 exec_lo, exec_lo, s41
.LBB295_345:                            ;   in Loop: Header=BB295_10 Depth=1
	s_or_b32 exec_lo, exec_lo, s40
.LBB295_346:                            ;   in Loop: Header=BB295_10 Depth=1
	s_or_b32 exec_lo, exec_lo, s3
	v_lshrrev_b32_e32 v3, 16, v11
	v_mov_b32_e32 v70, 0
	v_mov_b32_e32 v71, 0
	v_cmp_ne_u16_sdwa s2, v3, v4 src0_sel:BYTE_0 src1_sel:DWORD
	s_and_saveexec_b32 s3, s2
	s_cbranch_execz .LBB295_354
; %bb.347:                              ;   in Loop: Header=BB295_10 Depth=1
	v_cmp_ne_u16_sdwa s2, v3, v22 src0_sel:BYTE_0 src1_sel:DWORD
	v_mov_b32_e32 v71, 0x8000
	s_and_saveexec_b32 s40, s2
	s_cbranch_execz .LBB295_353
; %bb.348:                              ;   in Loop: Header=BB295_10 Depth=1
	v_bfe_u32 v73, v11, 16, 7
	v_mov_b32_e32 v71, 0x7c01
	s_mov_b32 s41, exec_lo
	v_cmpx_ne_u32_e32 0x7f, v73
	s_cbranch_execz .LBB295_352
; %bb.349:                              ;   in Loop: Header=BB295_10 Depth=1
	v_and_b32_e32 v71, 7, v3
	v_lshrrev_b32_e32 v72, 3, v73
	s_mov_b32 s42, exec_lo
	v_cmpx_gt_u32_e32 8, v73
; %bb.350:                              ;   in Loop: Header=BB295_10 Depth=1
	v_ffbh_u32_e32 v71, v71
	v_min_u32_e32 v73, 32, v71
	v_subrev_nc_u32_e32 v71, 28, v73
	v_lshlrev_b64 v[71:72], v71, v[3:4]
	v_sub_nc_u32_e32 v72, 29, v73
	v_and_b32_e32 v71, 7, v71
; %bb.351:                              ;   in Loop: Header=BB295_10 Depth=1
	s_or_b32 exec_lo, exec_lo, s42
	v_lshlrev_b32_e32 v3, 8, v3
	v_lshl_add_u32 v72, v72, 10, 0x2000
	v_lshlrev_b32_e32 v71, 7, v71
	v_and_b32_e32 v3, 0x8000, v3
	v_and_b32_e32 v72, 0xfc00, v72
	v_or3_b32 v71, v3, v72, v71
.LBB295_352:                            ;   in Loop: Header=BB295_10 Depth=1
	s_or_b32 exec_lo, exec_lo, s41
.LBB295_353:                            ;   in Loop: Header=BB295_10 Depth=1
	s_or_b32 exec_lo, exec_lo, s40
.LBB295_354:                            ;   in Loop: Header=BB295_10 Depth=1
	s_or_b32 exec_lo, exec_lo, s3
	s_mov_b32 s3, exec_lo
	v_cmpx_lt_u32_e32 0xffffff, v11
	s_cbranch_execz .LBB295_362
; %bb.355:                              ;   in Loop: Header=BB295_10 Depth=1
	v_lshrrev_b32_e32 v3, 24, v11
	v_bfrev_b32_e32 v70, 1
	s_mov_b32 s40, exec_lo
	v_cmpx_ne_u32_e32 0x80, v3
	s_cbranch_execz .LBB295_361
; %bb.356:                              ;   in Loop: Header=BB295_10 Depth=1
	v_and_b32_e32 v72, 0x7f, v3
	v_mov_b32_e32 v70, 0x7c010000
	s_mov_b32 s41, exec_lo
	v_cmpx_ne_u32_e32 0x7f, v72
	s_cbranch_execz .LBB295_360
; %bb.357:                              ;   in Loop: Header=BB295_10 Depth=1
	v_and_b32_e32 v11, 7, v3
	v_lshrrev_b32_e32 v70, 3, v72
	s_mov_b32 s42, exec_lo
	v_cmpx_gt_u32_e32 8, v72
; %bb.358:                              ;   in Loop: Header=BB295_10 Depth=1
	v_ffbh_u32_e32 v11, v11
	v_min_u32_e32 v11, 32, v11
	v_subrev_nc_u32_e32 v70, 28, v11
	v_lshlrev_b64 v[72:73], v70, v[3:4]
	v_sub_nc_u32_e32 v70, 29, v11
	v_and_b32_e32 v11, 7, v72
; %bb.359:                              ;   in Loop: Header=BB295_10 Depth=1
	s_or_b32 exec_lo, exec_lo, s42
	v_lshlrev_b32_e32 v3, 8, v3
	v_lshl_add_u32 v70, v70, 10, 0x2000
	v_lshlrev_b32_e32 v11, 23, v11
	v_and_or_b32 v3, 0x8000, v3, v70
	v_lshl_or_b32 v70, v3, 16, v11
.LBB295_360:                            ;   in Loop: Header=BB295_10 Depth=1
	s_or_b32 exec_lo, exec_lo, s41
.LBB295_361:                            ;   in Loop: Header=BB295_10 Depth=1
	s_or_b32 exec_lo, exec_lo, s40
.LBB295_362:                            ;   in Loop: Header=BB295_10 Depth=1
	s_or_b32 exec_lo, exec_lo, s3
	global_load_dword v11, v[9:10], off offset:1288
	v_mov_b32_e32 v72, 0
	v_mov_b32_e32 v73, 0
	s_waitcnt vmcnt(0)
	v_cmp_ne_u16_sdwa s2, v11, v4 src0_sel:BYTE_0 src1_sel:DWORD
	s_and_saveexec_b32 s3, s2
	s_cbranch_execz .LBB295_370
; %bb.363:                              ;   in Loop: Header=BB295_10 Depth=1
	v_cmp_ne_u16_sdwa s2, v11, v22 src0_sel:BYTE_0 src1_sel:DWORD
	v_mov_b32_e32 v73, 0x8000
	s_and_saveexec_b32 s40, s2
	s_cbranch_execz .LBB295_369
; %bb.364:                              ;   in Loop: Header=BB295_10 Depth=1
	v_and_b32_e32 v74, 0x7f, v11
	v_mov_b32_e32 v73, 0x7c01
	s_mov_b32 s41, exec_lo
	v_cmpx_ne_u32_e32 0x7f, v74
	s_cbranch_execz .LBB295_368
; %bb.365:                              ;   in Loop: Header=BB295_10 Depth=1
	v_and_b32_e32 v3, 7, v11
	v_lshrrev_b32_e32 v73, 3, v74
	s_mov_b32 s42, exec_lo
	v_cmpx_gt_u32_e32 8, v74
; %bb.366:                              ;   in Loop: Header=BB295_10 Depth=1
	v_ffbh_u32_e32 v3, v3
	v_min_u32_e32 v3, 32, v3
	v_subrev_nc_u32_e32 v73, 28, v3
	v_lshlrev_b64 v[74:75], v73, v[11:12]
	v_sub_nc_u32_e32 v73, 29, v3
	v_and_b32_e32 v3, 7, v74
; %bb.367:                              ;   in Loop: Header=BB295_10 Depth=1
	s_or_b32 exec_lo, exec_lo, s42
	v_lshlrev_b32_e32 v74, 8, v11
	v_lshl_add_u32 v73, v73, 10, 0x2000
	v_lshlrev_b32_e32 v3, 7, v3
	v_and_b32_e32 v74, 0x8000, v74
	v_and_b32_e32 v73, 0xfc00, v73
	v_or3_b32 v73, v74, v73, v3
.LBB295_368:                            ;   in Loop: Header=BB295_10 Depth=1
	s_or_b32 exec_lo, exec_lo, s41
.LBB295_369:                            ;   in Loop: Header=BB295_10 Depth=1
	s_or_b32 exec_lo, exec_lo, s40
.LBB295_370:                            ;   in Loop: Header=BB295_10 Depth=1
	s_or_b32 exec_lo, exec_lo, s3
	v_lshrrev_b16 v3, 8, v11
	s_mov_b32 s3, exec_lo
	v_cmpx_ne_u16_e32 0, v3
	s_cbranch_execz .LBB295_378
; %bb.371:                              ;   in Loop: Header=BB295_10 Depth=1
	v_bfrev_b32_e32 v72, 1
	s_mov_b32 s40, exec_lo
	v_cmpx_ne_u16_e32 0x80, v3
	s_cbranch_execz .LBB295_377
; %bb.372:                              ;   in Loop: Header=BB295_10 Depth=1
	v_and_b32_sdwa v75, v3, v23 dst_sel:DWORD dst_unused:UNUSED_PAD src0_sel:WORD_0 src1_sel:DWORD
	v_mov_b32_e32 v72, 0x7c010000
	s_mov_b32 s41, exec_lo
	v_cmpx_ne_u32_e32 0x7f, v75
	s_cbranch_execz .LBB295_376
; %bb.373:                              ;   in Loop: Header=BB295_10 Depth=1
	v_and_b32_sdwa v72, v3, v24 dst_sel:DWORD dst_unused:UNUSED_PAD src0_sel:WORD_0 src1_sel:DWORD
	v_lshrrev_b32_e32 v74, 3, v75
	s_mov_b32 s42, exec_lo
	v_cmpx_gt_u32_e32 8, v75
; %bb.374:                              ;   in Loop: Header=BB295_10 Depth=1
	v_ffbh_u32_e32 v72, v72
	v_min_u32_e32 v72, 32, v72
	v_subrev_nc_u32_e32 v74, 28, v72
	v_lshlrev_b64 v[75:76], v74, v[3:4]
	v_sub_nc_u32_e32 v74, 29, v72
	v_and_b32_e32 v72, 7, v75
; %bb.375:                              ;   in Loop: Header=BB295_10 Depth=1
	s_or_b32 exec_lo, exec_lo, s42
	v_lshlrev_b32_sdwa v3, v25, v3 dst_sel:DWORD dst_unused:UNUSED_PAD src0_sel:DWORD src1_sel:WORD_0
	v_lshl_add_u32 v74, v74, 10, 0x2000
	v_lshlrev_b32_e32 v72, 23, v72
	v_and_or_b32 v3, 0x8000, v3, v74
	v_lshl_or_b32 v72, v3, 16, v72
.LBB295_376:                            ;   in Loop: Header=BB295_10 Depth=1
	s_or_b32 exec_lo, exec_lo, s41
.LBB295_377:                            ;   in Loop: Header=BB295_10 Depth=1
	s_or_b32 exec_lo, exec_lo, s40
.LBB295_378:                            ;   in Loop: Header=BB295_10 Depth=1
	s_or_b32 exec_lo, exec_lo, s3
	v_lshrrev_b32_e32 v3, 16, v11
	v_mov_b32_e32 v74, 0
	v_mov_b32_e32 v75, 0
	v_cmp_ne_u16_sdwa s2, v3, v4 src0_sel:BYTE_0 src1_sel:DWORD
	s_and_saveexec_b32 s3, s2
	s_cbranch_execz .LBB295_386
; %bb.379:                              ;   in Loop: Header=BB295_10 Depth=1
	v_cmp_ne_u16_sdwa s2, v3, v22 src0_sel:BYTE_0 src1_sel:DWORD
	v_mov_b32_e32 v75, 0x8000
	s_and_saveexec_b32 s40, s2
	s_cbranch_execz .LBB295_385
; %bb.380:                              ;   in Loop: Header=BB295_10 Depth=1
	v_bfe_u32 v77, v11, 16, 7
	v_mov_b32_e32 v75, 0x7c01
	s_mov_b32 s41, exec_lo
	v_cmpx_ne_u32_e32 0x7f, v77
	s_cbranch_execz .LBB295_384
; %bb.381:                              ;   in Loop: Header=BB295_10 Depth=1
	v_and_b32_e32 v75, 7, v3
	v_lshrrev_b32_e32 v76, 3, v77
	s_mov_b32 s42, exec_lo
	v_cmpx_gt_u32_e32 8, v77
; %bb.382:                              ;   in Loop: Header=BB295_10 Depth=1
	v_ffbh_u32_e32 v75, v75
	v_min_u32_e32 v77, 32, v75
	v_subrev_nc_u32_e32 v75, 28, v77
	v_lshlrev_b64 v[75:76], v75, v[3:4]
	v_sub_nc_u32_e32 v76, 29, v77
	v_and_b32_e32 v75, 7, v75
; %bb.383:                              ;   in Loop: Header=BB295_10 Depth=1
	s_or_b32 exec_lo, exec_lo, s42
	v_lshlrev_b32_e32 v3, 8, v3
	v_lshl_add_u32 v76, v76, 10, 0x2000
	v_lshlrev_b32_e32 v75, 7, v75
	v_and_b32_e32 v3, 0x8000, v3
	v_and_b32_e32 v76, 0xfc00, v76
	v_or3_b32 v75, v3, v76, v75
.LBB295_384:                            ;   in Loop: Header=BB295_10 Depth=1
	s_or_b32 exec_lo, exec_lo, s41
.LBB295_385:                            ;   in Loop: Header=BB295_10 Depth=1
	s_or_b32 exec_lo, exec_lo, s40
.LBB295_386:                            ;   in Loop: Header=BB295_10 Depth=1
	s_or_b32 exec_lo, exec_lo, s3
	s_mov_b32 s3, exec_lo
	v_cmpx_lt_u32_e32 0xffffff, v11
	s_cbranch_execz .LBB295_394
; %bb.387:                              ;   in Loop: Header=BB295_10 Depth=1
	v_lshrrev_b32_e32 v3, 24, v11
	v_bfrev_b32_e32 v74, 1
	s_mov_b32 s40, exec_lo
	v_cmpx_ne_u32_e32 0x80, v3
	s_cbranch_execz .LBB295_393
; %bb.388:                              ;   in Loop: Header=BB295_10 Depth=1
	v_and_b32_e32 v76, 0x7f, v3
	v_mov_b32_e32 v74, 0x7c010000
	s_mov_b32 s41, exec_lo
	v_cmpx_ne_u32_e32 0x7f, v76
	s_cbranch_execz .LBB295_392
; %bb.389:                              ;   in Loop: Header=BB295_10 Depth=1
	v_and_b32_e32 v11, 7, v3
	v_lshrrev_b32_e32 v74, 3, v76
	s_mov_b32 s42, exec_lo
	v_cmpx_gt_u32_e32 8, v76
; %bb.390:                              ;   in Loop: Header=BB295_10 Depth=1
	v_ffbh_u32_e32 v11, v11
	v_min_u32_e32 v11, 32, v11
	v_subrev_nc_u32_e32 v74, 28, v11
	v_lshlrev_b64 v[76:77], v74, v[3:4]
	v_sub_nc_u32_e32 v74, 29, v11
	v_and_b32_e32 v11, 7, v76
; %bb.391:                              ;   in Loop: Header=BB295_10 Depth=1
	s_or_b32 exec_lo, exec_lo, s42
	v_lshlrev_b32_e32 v3, 8, v3
	v_lshl_add_u32 v74, v74, 10, 0x2000
	v_lshlrev_b32_e32 v11, 23, v11
	v_and_or_b32 v3, 0x8000, v3, v74
	v_lshl_or_b32 v74, v3, 16, v11
.LBB295_392:                            ;   in Loop: Header=BB295_10 Depth=1
	s_or_b32 exec_lo, exec_lo, s41
.LBB295_393:                            ;   in Loop: Header=BB295_10 Depth=1
	s_or_b32 exec_lo, exec_lo, s40
.LBB295_394:                            ;   in Loop: Header=BB295_10 Depth=1
	s_or_b32 exec_lo, exec_lo, s3
	global_load_dword v11, v[9:10], off offset:1536
	v_mov_b32_e32 v76, 0
	v_mov_b32_e32 v77, 0
	s_waitcnt vmcnt(0)
	v_cmp_ne_u16_sdwa s2, v11, v4 src0_sel:BYTE_0 src1_sel:DWORD
	s_and_saveexec_b32 s3, s2
	s_cbranch_execz .LBB295_402
; %bb.395:                              ;   in Loop: Header=BB295_10 Depth=1
	v_cmp_ne_u16_sdwa s2, v11, v22 src0_sel:BYTE_0 src1_sel:DWORD
	v_mov_b32_e32 v77, 0x8000
	s_and_saveexec_b32 s40, s2
	s_cbranch_execz .LBB295_401
; %bb.396:                              ;   in Loop: Header=BB295_10 Depth=1
	v_and_b32_e32 v78, 0x7f, v11
	v_mov_b32_e32 v77, 0x7c01
	s_mov_b32 s41, exec_lo
	v_cmpx_ne_u32_e32 0x7f, v78
	s_cbranch_execz .LBB295_400
; %bb.397:                              ;   in Loop: Header=BB295_10 Depth=1
	v_and_b32_e32 v3, 7, v11
	v_lshrrev_b32_e32 v77, 3, v78
	s_mov_b32 s42, exec_lo
	v_cmpx_gt_u32_e32 8, v78
; %bb.398:                              ;   in Loop: Header=BB295_10 Depth=1
	v_ffbh_u32_e32 v3, v3
	v_min_u32_e32 v3, 32, v3
	v_subrev_nc_u32_e32 v77, 28, v3
	v_lshlrev_b64 v[78:79], v77, v[11:12]
	v_sub_nc_u32_e32 v77, 29, v3
	v_and_b32_e32 v3, 7, v78
; %bb.399:                              ;   in Loop: Header=BB295_10 Depth=1
	s_or_b32 exec_lo, exec_lo, s42
	v_lshlrev_b32_e32 v78, 8, v11
	v_lshl_add_u32 v77, v77, 10, 0x2000
	v_lshlrev_b32_e32 v3, 7, v3
	v_and_b32_e32 v78, 0x8000, v78
	v_and_b32_e32 v77, 0xfc00, v77
	v_or3_b32 v77, v78, v77, v3
.LBB295_400:                            ;   in Loop: Header=BB295_10 Depth=1
	s_or_b32 exec_lo, exec_lo, s41
.LBB295_401:                            ;   in Loop: Header=BB295_10 Depth=1
	s_or_b32 exec_lo, exec_lo, s40
.LBB295_402:                            ;   in Loop: Header=BB295_10 Depth=1
	s_or_b32 exec_lo, exec_lo, s3
	v_lshrrev_b16 v3, 8, v11
	s_mov_b32 s3, exec_lo
	v_cmpx_ne_u16_e32 0, v3
	s_cbranch_execz .LBB295_410
; %bb.403:                              ;   in Loop: Header=BB295_10 Depth=1
	v_bfrev_b32_e32 v76, 1
	s_mov_b32 s40, exec_lo
	v_cmpx_ne_u16_e32 0x80, v3
	s_cbranch_execz .LBB295_409
; %bb.404:                              ;   in Loop: Header=BB295_10 Depth=1
	v_and_b32_sdwa v79, v3, v23 dst_sel:DWORD dst_unused:UNUSED_PAD src0_sel:WORD_0 src1_sel:DWORD
	v_mov_b32_e32 v76, 0x7c010000
	s_mov_b32 s41, exec_lo
	v_cmpx_ne_u32_e32 0x7f, v79
	s_cbranch_execz .LBB295_408
; %bb.405:                              ;   in Loop: Header=BB295_10 Depth=1
	v_and_b32_sdwa v76, v3, v24 dst_sel:DWORD dst_unused:UNUSED_PAD src0_sel:WORD_0 src1_sel:DWORD
	v_lshrrev_b32_e32 v78, 3, v79
	s_mov_b32 s42, exec_lo
	v_cmpx_gt_u32_e32 8, v79
; %bb.406:                              ;   in Loop: Header=BB295_10 Depth=1
	v_ffbh_u32_e32 v76, v76
	v_min_u32_e32 v76, 32, v76
	v_subrev_nc_u32_e32 v78, 28, v76
	v_lshlrev_b64 v[79:80], v78, v[3:4]
	v_sub_nc_u32_e32 v78, 29, v76
	v_and_b32_e32 v76, 7, v79
; %bb.407:                              ;   in Loop: Header=BB295_10 Depth=1
	s_or_b32 exec_lo, exec_lo, s42
	v_lshlrev_b32_sdwa v3, v25, v3 dst_sel:DWORD dst_unused:UNUSED_PAD src0_sel:DWORD src1_sel:WORD_0
	v_lshl_add_u32 v78, v78, 10, 0x2000
	v_lshlrev_b32_e32 v76, 23, v76
	v_and_or_b32 v3, 0x8000, v3, v78
	v_lshl_or_b32 v76, v3, 16, v76
.LBB295_408:                            ;   in Loop: Header=BB295_10 Depth=1
	s_or_b32 exec_lo, exec_lo, s41
.LBB295_409:                            ;   in Loop: Header=BB295_10 Depth=1
	s_or_b32 exec_lo, exec_lo, s40
.LBB295_410:                            ;   in Loop: Header=BB295_10 Depth=1
	s_or_b32 exec_lo, exec_lo, s3
	v_lshrrev_b32_e32 v3, 16, v11
	v_mov_b32_e32 v78, 0
	v_mov_b32_e32 v79, 0
	v_cmp_ne_u16_sdwa s2, v3, v4 src0_sel:BYTE_0 src1_sel:DWORD
	s_and_saveexec_b32 s3, s2
	s_cbranch_execz .LBB295_418
; %bb.411:                              ;   in Loop: Header=BB295_10 Depth=1
	v_cmp_ne_u16_sdwa s2, v3, v22 src0_sel:BYTE_0 src1_sel:DWORD
	v_mov_b32_e32 v79, 0x8000
	s_and_saveexec_b32 s40, s2
	s_cbranch_execz .LBB295_417
; %bb.412:                              ;   in Loop: Header=BB295_10 Depth=1
	v_bfe_u32 v81, v11, 16, 7
	v_mov_b32_e32 v79, 0x7c01
	s_mov_b32 s41, exec_lo
	v_cmpx_ne_u32_e32 0x7f, v81
	s_cbranch_execz .LBB295_416
; %bb.413:                              ;   in Loop: Header=BB295_10 Depth=1
	v_and_b32_e32 v79, 7, v3
	v_lshrrev_b32_e32 v80, 3, v81
	s_mov_b32 s42, exec_lo
	v_cmpx_gt_u32_e32 8, v81
; %bb.414:                              ;   in Loop: Header=BB295_10 Depth=1
	v_ffbh_u32_e32 v79, v79
	v_min_u32_e32 v81, 32, v79
	v_subrev_nc_u32_e32 v79, 28, v81
	v_lshlrev_b64 v[79:80], v79, v[3:4]
	v_sub_nc_u32_e32 v80, 29, v81
	v_and_b32_e32 v79, 7, v79
; %bb.415:                              ;   in Loop: Header=BB295_10 Depth=1
	s_or_b32 exec_lo, exec_lo, s42
	v_lshlrev_b32_e32 v3, 8, v3
	v_lshl_add_u32 v80, v80, 10, 0x2000
	v_lshlrev_b32_e32 v79, 7, v79
	v_and_b32_e32 v3, 0x8000, v3
	v_and_b32_e32 v80, 0xfc00, v80
	v_or3_b32 v79, v3, v80, v79
.LBB295_416:                            ;   in Loop: Header=BB295_10 Depth=1
	s_or_b32 exec_lo, exec_lo, s41
.LBB295_417:                            ;   in Loop: Header=BB295_10 Depth=1
	s_or_b32 exec_lo, exec_lo, s40
.LBB295_418:                            ;   in Loop: Header=BB295_10 Depth=1
	s_or_b32 exec_lo, exec_lo, s3
	s_mov_b32 s3, exec_lo
	v_cmpx_lt_u32_e32 0xffffff, v11
	s_cbranch_execz .LBB295_426
; %bb.419:                              ;   in Loop: Header=BB295_10 Depth=1
	v_lshrrev_b32_e32 v3, 24, v11
	v_bfrev_b32_e32 v78, 1
	s_mov_b32 s40, exec_lo
	v_cmpx_ne_u32_e32 0x80, v3
	s_cbranch_execz .LBB295_425
; %bb.420:                              ;   in Loop: Header=BB295_10 Depth=1
	v_and_b32_e32 v80, 0x7f, v3
	v_mov_b32_e32 v78, 0x7c010000
	s_mov_b32 s41, exec_lo
	v_cmpx_ne_u32_e32 0x7f, v80
	s_cbranch_execz .LBB295_424
; %bb.421:                              ;   in Loop: Header=BB295_10 Depth=1
	v_and_b32_e32 v11, 7, v3
	v_lshrrev_b32_e32 v78, 3, v80
	s_mov_b32 s42, exec_lo
	v_cmpx_gt_u32_e32 8, v80
; %bb.422:                              ;   in Loop: Header=BB295_10 Depth=1
	v_ffbh_u32_e32 v11, v11
	v_min_u32_e32 v11, 32, v11
	v_subrev_nc_u32_e32 v78, 28, v11
	v_lshlrev_b64 v[80:81], v78, v[3:4]
	v_sub_nc_u32_e32 v78, 29, v11
	v_and_b32_e32 v11, 7, v80
; %bb.423:                              ;   in Loop: Header=BB295_10 Depth=1
	s_or_b32 exec_lo, exec_lo, s42
	v_lshlrev_b32_e32 v3, 8, v3
	v_lshl_add_u32 v78, v78, 10, 0x2000
	v_lshlrev_b32_e32 v11, 23, v11
	v_and_or_b32 v3, 0x8000, v3, v78
	v_lshl_or_b32 v78, v3, 16, v11
.LBB295_424:                            ;   in Loop: Header=BB295_10 Depth=1
	s_or_b32 exec_lo, exec_lo, s41
.LBB295_425:                            ;   in Loop: Header=BB295_10 Depth=1
	s_or_b32 exec_lo, exec_lo, s40
.LBB295_426:                            ;   in Loop: Header=BB295_10 Depth=1
	s_or_b32 exec_lo, exec_lo, s3
	global_load_dword v11, v[9:10], off offset:1544
	v_mov_b32_e32 v80, 0
	v_mov_b32_e32 v81, 0
	s_waitcnt vmcnt(0)
	v_cmp_ne_u16_sdwa s2, v11, v4 src0_sel:BYTE_0 src1_sel:DWORD
	s_and_saveexec_b32 s3, s2
	s_cbranch_execz .LBB295_434
; %bb.427:                              ;   in Loop: Header=BB295_10 Depth=1
	v_cmp_ne_u16_sdwa s2, v11, v22 src0_sel:BYTE_0 src1_sel:DWORD
	v_mov_b32_e32 v81, 0x8000
	s_and_saveexec_b32 s40, s2
	s_cbranch_execz .LBB295_433
; %bb.428:                              ;   in Loop: Header=BB295_10 Depth=1
	v_and_b32_e32 v82, 0x7f, v11
	v_mov_b32_e32 v81, 0x7c01
	s_mov_b32 s41, exec_lo
	v_cmpx_ne_u32_e32 0x7f, v82
	s_cbranch_execz .LBB295_432
; %bb.429:                              ;   in Loop: Header=BB295_10 Depth=1
	v_and_b32_e32 v3, 7, v11
	v_lshrrev_b32_e32 v81, 3, v82
	s_mov_b32 s42, exec_lo
	v_cmpx_gt_u32_e32 8, v82
; %bb.430:                              ;   in Loop: Header=BB295_10 Depth=1
	v_ffbh_u32_e32 v3, v3
	v_min_u32_e32 v3, 32, v3
	v_subrev_nc_u32_e32 v81, 28, v3
	v_lshlrev_b64 v[82:83], v81, v[11:12]
	v_sub_nc_u32_e32 v81, 29, v3
	v_and_b32_e32 v3, 7, v82
; %bb.431:                              ;   in Loop: Header=BB295_10 Depth=1
	s_or_b32 exec_lo, exec_lo, s42
	v_lshlrev_b32_e32 v82, 8, v11
	v_lshl_add_u32 v81, v81, 10, 0x2000
	v_lshlrev_b32_e32 v3, 7, v3
	v_and_b32_e32 v82, 0x8000, v82
	v_and_b32_e32 v81, 0xfc00, v81
	v_or3_b32 v81, v82, v81, v3
.LBB295_432:                            ;   in Loop: Header=BB295_10 Depth=1
	s_or_b32 exec_lo, exec_lo, s41
.LBB295_433:                            ;   in Loop: Header=BB295_10 Depth=1
	s_or_b32 exec_lo, exec_lo, s40
.LBB295_434:                            ;   in Loop: Header=BB295_10 Depth=1
	s_or_b32 exec_lo, exec_lo, s3
	v_lshrrev_b16 v3, 8, v11
	s_mov_b32 s3, exec_lo
	v_cmpx_ne_u16_e32 0, v3
	s_cbranch_execz .LBB295_442
; %bb.435:                              ;   in Loop: Header=BB295_10 Depth=1
	v_bfrev_b32_e32 v80, 1
	s_mov_b32 s40, exec_lo
	v_cmpx_ne_u16_e32 0x80, v3
	s_cbranch_execz .LBB295_441
; %bb.436:                              ;   in Loop: Header=BB295_10 Depth=1
	v_and_b32_sdwa v83, v3, v23 dst_sel:DWORD dst_unused:UNUSED_PAD src0_sel:WORD_0 src1_sel:DWORD
	v_mov_b32_e32 v80, 0x7c010000
	s_mov_b32 s41, exec_lo
	v_cmpx_ne_u32_e32 0x7f, v83
	s_cbranch_execz .LBB295_440
; %bb.437:                              ;   in Loop: Header=BB295_10 Depth=1
	v_and_b32_sdwa v80, v3, v24 dst_sel:DWORD dst_unused:UNUSED_PAD src0_sel:WORD_0 src1_sel:DWORD
	v_lshrrev_b32_e32 v82, 3, v83
	s_mov_b32 s42, exec_lo
	v_cmpx_gt_u32_e32 8, v83
; %bb.438:                              ;   in Loop: Header=BB295_10 Depth=1
	v_ffbh_u32_e32 v80, v80
	v_min_u32_e32 v80, 32, v80
	v_subrev_nc_u32_e32 v82, 28, v80
	v_lshlrev_b64 v[83:84], v82, v[3:4]
	v_sub_nc_u32_e32 v82, 29, v80
	v_and_b32_e32 v80, 7, v83
; %bb.439:                              ;   in Loop: Header=BB295_10 Depth=1
	s_or_b32 exec_lo, exec_lo, s42
	v_lshlrev_b32_sdwa v3, v25, v3 dst_sel:DWORD dst_unused:UNUSED_PAD src0_sel:DWORD src1_sel:WORD_0
	v_lshl_add_u32 v82, v82, 10, 0x2000
	v_lshlrev_b32_e32 v80, 23, v80
	v_and_or_b32 v3, 0x8000, v3, v82
	v_lshl_or_b32 v80, v3, 16, v80
.LBB295_440:                            ;   in Loop: Header=BB295_10 Depth=1
	s_or_b32 exec_lo, exec_lo, s41
.LBB295_441:                            ;   in Loop: Header=BB295_10 Depth=1
	s_or_b32 exec_lo, exec_lo, s40
.LBB295_442:                            ;   in Loop: Header=BB295_10 Depth=1
	s_or_b32 exec_lo, exec_lo, s3
	v_lshrrev_b32_e32 v3, 16, v11
	v_mov_b32_e32 v82, 0
	v_mov_b32_e32 v83, 0
	v_cmp_ne_u16_sdwa s2, v3, v4 src0_sel:BYTE_0 src1_sel:DWORD
	s_and_saveexec_b32 s3, s2
	s_cbranch_execz .LBB295_450
; %bb.443:                              ;   in Loop: Header=BB295_10 Depth=1
	v_cmp_ne_u16_sdwa s2, v3, v22 src0_sel:BYTE_0 src1_sel:DWORD
	v_mov_b32_e32 v83, 0x8000
	s_and_saveexec_b32 s40, s2
	s_cbranch_execz .LBB295_449
; %bb.444:                              ;   in Loop: Header=BB295_10 Depth=1
	v_bfe_u32 v85, v11, 16, 7
	v_mov_b32_e32 v83, 0x7c01
	s_mov_b32 s41, exec_lo
	v_cmpx_ne_u32_e32 0x7f, v85
	s_cbranch_execz .LBB295_448
; %bb.445:                              ;   in Loop: Header=BB295_10 Depth=1
	v_and_b32_e32 v83, 7, v3
	v_lshrrev_b32_e32 v84, 3, v85
	s_mov_b32 s42, exec_lo
	v_cmpx_gt_u32_e32 8, v85
; %bb.446:                              ;   in Loop: Header=BB295_10 Depth=1
	v_ffbh_u32_e32 v83, v83
	v_min_u32_e32 v85, 32, v83
	v_subrev_nc_u32_e32 v83, 28, v85
	v_lshlrev_b64 v[83:84], v83, v[3:4]
	v_sub_nc_u32_e32 v84, 29, v85
	v_and_b32_e32 v83, 7, v83
; %bb.447:                              ;   in Loop: Header=BB295_10 Depth=1
	s_or_b32 exec_lo, exec_lo, s42
	v_lshlrev_b32_e32 v3, 8, v3
	v_lshl_add_u32 v84, v84, 10, 0x2000
	v_lshlrev_b32_e32 v83, 7, v83
	v_and_b32_e32 v3, 0x8000, v3
	v_and_b32_e32 v84, 0xfc00, v84
	v_or3_b32 v83, v3, v84, v83
.LBB295_448:                            ;   in Loop: Header=BB295_10 Depth=1
	s_or_b32 exec_lo, exec_lo, s41
.LBB295_449:                            ;   in Loop: Header=BB295_10 Depth=1
	s_or_b32 exec_lo, exec_lo, s40
.LBB295_450:                            ;   in Loop: Header=BB295_10 Depth=1
	s_or_b32 exec_lo, exec_lo, s3
	s_mov_b32 s3, exec_lo
	v_cmpx_lt_u32_e32 0xffffff, v11
	s_cbranch_execz .LBB295_458
; %bb.451:                              ;   in Loop: Header=BB295_10 Depth=1
	v_lshrrev_b32_e32 v3, 24, v11
	v_bfrev_b32_e32 v82, 1
	s_mov_b32 s40, exec_lo
	v_cmpx_ne_u32_e32 0x80, v3
	s_cbranch_execz .LBB295_457
; %bb.452:                              ;   in Loop: Header=BB295_10 Depth=1
	v_and_b32_e32 v84, 0x7f, v3
	v_mov_b32_e32 v82, 0x7c010000
	s_mov_b32 s41, exec_lo
	v_cmpx_ne_u32_e32 0x7f, v84
	s_cbranch_execz .LBB295_456
; %bb.453:                              ;   in Loop: Header=BB295_10 Depth=1
	v_and_b32_e32 v11, 7, v3
	v_lshrrev_b32_e32 v82, 3, v84
	s_mov_b32 s42, exec_lo
	v_cmpx_gt_u32_e32 8, v84
; %bb.454:                              ;   in Loop: Header=BB295_10 Depth=1
	v_ffbh_u32_e32 v11, v11
	v_min_u32_e32 v11, 32, v11
	v_subrev_nc_u32_e32 v82, 28, v11
	v_lshlrev_b64 v[84:85], v82, v[3:4]
	v_sub_nc_u32_e32 v82, 29, v11
	v_and_b32_e32 v11, 7, v84
; %bb.455:                              ;   in Loop: Header=BB295_10 Depth=1
	s_or_b32 exec_lo, exec_lo, s42
	v_lshlrev_b32_e32 v3, 8, v3
	v_lshl_add_u32 v82, v82, 10, 0x2000
	v_lshlrev_b32_e32 v11, 23, v11
	v_and_or_b32 v3, 0x8000, v3, v82
	v_lshl_or_b32 v82, v3, 16, v11
.LBB295_456:                            ;   in Loop: Header=BB295_10 Depth=1
	s_or_b32 exec_lo, exec_lo, s41
.LBB295_457:                            ;   in Loop: Header=BB295_10 Depth=1
	s_or_b32 exec_lo, exec_lo, s40
.LBB295_458:                            ;   in Loop: Header=BB295_10 Depth=1
	s_or_b32 exec_lo, exec_lo, s3
	global_load_dword v9, v[9:10], off offset:1792
	v_mov_b32_e32 v10, 0
	v_mov_b32_e32 v11, 0
	s_waitcnt vmcnt(0)
	v_cmp_ne_u16_sdwa s2, v9, v4 src0_sel:BYTE_0 src1_sel:DWORD
	s_and_saveexec_b32 s3, s2
	s_cbranch_execz .LBB295_466
; %bb.459:                              ;   in Loop: Header=BB295_10 Depth=1
	v_cmp_ne_u16_sdwa s2, v9, v22 src0_sel:BYTE_0 src1_sel:DWORD
	v_mov_b32_e32 v11, 0x8000
	s_and_saveexec_b32 s40, s2
	s_cbranch_execz .LBB295_465
; %bb.460:                              ;   in Loop: Header=BB295_10 Depth=1
	v_and_b32_e32 v84, 0x7f, v9
	v_mov_b32_e32 v11, 0x7c01
	s_mov_b32 s41, exec_lo
	v_cmpx_ne_u32_e32 0x7f, v84
	s_cbranch_execz .LBB295_464
; %bb.461:                              ;   in Loop: Header=BB295_10 Depth=1
	v_and_b32_e32 v3, 7, v9
	v_lshrrev_b32_e32 v11, 3, v84
	s_mov_b32 s42, exec_lo
	v_cmpx_gt_u32_e32 8, v84
; %bb.462:                              ;   in Loop: Header=BB295_10 Depth=1
	v_ffbh_u32_e32 v3, v3
	v_min_u32_e32 v3, 32, v3
	v_subrev_nc_u32_e32 v11, 28, v3
	v_lshlrev_b64 v[84:85], v11, v[9:10]
	v_sub_nc_u32_e32 v11, 29, v3
	v_and_b32_e32 v3, 7, v84
; %bb.463:                              ;   in Loop: Header=BB295_10 Depth=1
	s_or_b32 exec_lo, exec_lo, s42
	v_lshlrev_b32_e32 v84, 8, v9
	v_lshl_add_u32 v11, v11, 10, 0x2000
	v_lshlrev_b32_e32 v3, 7, v3
	v_and_b32_e32 v84, 0x8000, v84
	v_and_b32_e32 v11, 0xfc00, v11
	v_or3_b32 v11, v84, v11, v3
.LBB295_464:                            ;   in Loop: Header=BB295_10 Depth=1
	s_or_b32 exec_lo, exec_lo, s41
.LBB295_465:                            ;   in Loop: Header=BB295_10 Depth=1
	s_or_b32 exec_lo, exec_lo, s40
.LBB295_466:                            ;   in Loop: Header=BB295_10 Depth=1
	s_or_b32 exec_lo, exec_lo, s3
	v_lshrrev_b16 v3, 8, v9
	s_mov_b32 s3, exec_lo
	v_cmpx_ne_u16_e32 0, v3
	s_cbranch_execz .LBB295_474
; %bb.467:                              ;   in Loop: Header=BB295_10 Depth=1
	v_bfrev_b32_e32 v10, 1
	s_mov_b32 s40, exec_lo
	v_cmpx_ne_u16_e32 0x80, v3
	s_cbranch_execz .LBB295_473
; %bb.468:                              ;   in Loop: Header=BB295_10 Depth=1
	v_and_b32_sdwa v85, v3, v23 dst_sel:DWORD dst_unused:UNUSED_PAD src0_sel:WORD_0 src1_sel:DWORD
	v_mov_b32_e32 v10, 0x7c010000
	s_mov_b32 s41, exec_lo
	v_cmpx_ne_u32_e32 0x7f, v85
	s_cbranch_execz .LBB295_472
; %bb.469:                              ;   in Loop: Header=BB295_10 Depth=1
	v_and_b32_sdwa v10, v3, v24 dst_sel:DWORD dst_unused:UNUSED_PAD src0_sel:WORD_0 src1_sel:DWORD
	v_lshrrev_b32_e32 v84, 3, v85
	s_mov_b32 s42, exec_lo
	v_cmpx_gt_u32_e32 8, v85
; %bb.470:                              ;   in Loop: Header=BB295_10 Depth=1
	v_ffbh_u32_e32 v10, v10
	v_min_u32_e32 v10, 32, v10
	v_subrev_nc_u32_e32 v84, 28, v10
	v_lshlrev_b64 v[85:86], v84, v[3:4]
	v_sub_nc_u32_e32 v84, 29, v10
	v_and_b32_e32 v10, 7, v85
; %bb.471:                              ;   in Loop: Header=BB295_10 Depth=1
	s_or_b32 exec_lo, exec_lo, s42
	v_lshlrev_b32_sdwa v3, v25, v3 dst_sel:DWORD dst_unused:UNUSED_PAD src0_sel:DWORD src1_sel:WORD_0
	v_lshl_add_u32 v84, v84, 10, 0x2000
	v_lshlrev_b32_e32 v10, 23, v10
	v_and_or_b32 v3, 0x8000, v3, v84
	v_lshl_or_b32 v10, v3, 16, v10
.LBB295_472:                            ;   in Loop: Header=BB295_10 Depth=1
	s_or_b32 exec_lo, exec_lo, s41
.LBB295_473:                            ;   in Loop: Header=BB295_10 Depth=1
	s_or_b32 exec_lo, exec_lo, s40
.LBB295_474:                            ;   in Loop: Header=BB295_10 Depth=1
	s_or_b32 exec_lo, exec_lo, s3
	v_lshrrev_b32_e32 v3, 16, v9
	v_mov_b32_e32 v84, 0
	v_mov_b32_e32 v85, 0
	v_cmp_ne_u16_sdwa s2, v3, v4 src0_sel:BYTE_0 src1_sel:DWORD
	s_and_saveexec_b32 s3, s2
	s_cbranch_execz .LBB295_482
; %bb.475:                              ;   in Loop: Header=BB295_10 Depth=1
	v_cmp_ne_u16_sdwa s2, v3, v22 src0_sel:BYTE_0 src1_sel:DWORD
	v_mov_b32_e32 v85, 0x8000
	s_and_saveexec_b32 s40, s2
	s_cbranch_execz .LBB295_481
; %bb.476:                              ;   in Loop: Header=BB295_10 Depth=1
	v_bfe_u32 v87, v9, 16, 7
	v_mov_b32_e32 v85, 0x7c01
	s_mov_b32 s41, exec_lo
	v_cmpx_ne_u32_e32 0x7f, v87
	s_cbranch_execz .LBB295_480
; %bb.477:                              ;   in Loop: Header=BB295_10 Depth=1
	v_and_b32_e32 v85, 7, v3
	v_lshrrev_b32_e32 v86, 3, v87
	s_mov_b32 s42, exec_lo
	v_cmpx_gt_u32_e32 8, v87
; %bb.478:                              ;   in Loop: Header=BB295_10 Depth=1
	v_ffbh_u32_e32 v85, v85
	v_min_u32_e32 v87, 32, v85
	v_subrev_nc_u32_e32 v85, 28, v87
	v_lshlrev_b64 v[85:86], v85, v[3:4]
	v_sub_nc_u32_e32 v86, 29, v87
	v_and_b32_e32 v85, 7, v85
; %bb.479:                              ;   in Loop: Header=BB295_10 Depth=1
	s_or_b32 exec_lo, exec_lo, s42
	v_lshlrev_b32_e32 v3, 8, v3
	v_lshl_add_u32 v86, v86, 10, 0x2000
	v_lshlrev_b32_e32 v85, 7, v85
	v_and_b32_e32 v3, 0x8000, v3
	v_and_b32_e32 v86, 0xfc00, v86
	v_or3_b32 v85, v3, v86, v85
.LBB295_480:                            ;   in Loop: Header=BB295_10 Depth=1
	s_or_b32 exec_lo, exec_lo, s41
.LBB295_481:                            ;   in Loop: Header=BB295_10 Depth=1
	s_or_b32 exec_lo, exec_lo, s40
.LBB295_482:                            ;   in Loop: Header=BB295_10 Depth=1
	s_or_b32 exec_lo, exec_lo, s3
	s_mov_b32 s3, exec_lo
	v_cmpx_lt_u32_e32 0xffffff, v9
	s_cbranch_execz .LBB295_490
; %bb.483:                              ;   in Loop: Header=BB295_10 Depth=1
	v_lshrrev_b32_e32 v3, 24, v9
	v_bfrev_b32_e32 v84, 1
	s_mov_b32 s40, exec_lo
	v_cmpx_ne_u32_e32 0x80, v3
	s_cbranch_execz .LBB295_489
; %bb.484:                              ;   in Loop: Header=BB295_10 Depth=1
	v_and_b32_e32 v86, 0x7f, v3
	v_mov_b32_e32 v84, 0x7c010000
	s_mov_b32 s41, exec_lo
	v_cmpx_ne_u32_e32 0x7f, v86
	s_cbranch_execz .LBB295_488
; %bb.485:                              ;   in Loop: Header=BB295_10 Depth=1
	v_and_b32_e32 v9, 7, v3
	v_lshrrev_b32_e32 v84, 3, v86
	s_mov_b32 s42, exec_lo
	v_cmpx_gt_u32_e32 8, v86
; %bb.486:                              ;   in Loop: Header=BB295_10 Depth=1
	v_ffbh_u32_e32 v9, v9
	v_min_u32_e32 v9, 32, v9
	v_subrev_nc_u32_e32 v84, 28, v9
	v_lshlrev_b64 v[86:87], v84, v[3:4]
	v_sub_nc_u32_e32 v84, 29, v9
	v_and_b32_e32 v9, 7, v86
; %bb.487:                              ;   in Loop: Header=BB295_10 Depth=1
	s_or_b32 exec_lo, exec_lo, s42
	v_lshlrev_b32_e32 v3, 8, v3
	v_lshl_add_u32 v84, v84, 10, 0x2000
	v_lshlrev_b32_e32 v9, 23, v9
	v_and_or_b32 v3, 0x8000, v3, v84
	v_lshl_or_b32 v84, v3, 16, v9
.LBB295_488:                            ;   in Loop: Header=BB295_10 Depth=1
	s_or_b32 exec_lo, exec_lo, s41
.LBB295_489:                            ;   in Loop: Header=BB295_10 Depth=1
	s_or_b32 exec_lo, exec_lo, s40
.LBB295_490:                            ;   in Loop: Header=BB295_10 Depth=1
	s_or_b32 exec_lo, exec_lo, s3
	ds_read_b64 v[86:87], v19
	v_or_b32_e32 v3, v29, v28
	v_or_b32_e32 v9, v30, v31
	v_fma_mixlo_f16 v28, v27, v29, 0 op_sel:[0,1,0] op_sel_hi:[0,1,0]
	v_fma_mixlo_f16 v29, v27, v30, 0 op_sel:[0,1,0] op_sel_hi:[0,1,0]
	v_or_b32_e32 v33, v32, v33
	v_fma_mixlo_f16 v3, v27, v3, 0 op_sel_hi:[0,1,0]
	v_fma_mixlo_f16 v9, v27, v9, 0 op_sel_hi:[0,1,0]
	v_and_b32_e32 v28, 0xffff, v28
	v_and_b32_e32 v30, 0xffff, v29
	v_or_b32_e32 v35, v34, v35
	v_and_b32_e32 v3, 0xffff, v3
	v_fma_mixlo_f16 v32, v27, v32, 0 op_sel:[0,1,0] op_sel_hi:[0,1,0]
	v_fma_mixlo_f16 v34, v27, v34, 0 op_sel:[0,1,0] op_sel_hi:[0,1,0]
	v_fma_mixlo_f16 v33, v27, v33, 0 op_sel_hi:[0,1,0]
	v_fma_mixlo_f16 v35, v27, v35, 0 op_sel_hi:[0,1,0]
	v_or_b32_e32 v41, v40, v41
	v_and_b32_e32 v32, 0xffff, v32
	v_and_b32_e32 v34, 0xffff, v34
	;; [unrolled: 1-line block ×3, first 2 shown]
	s_waitcnt lgkmcnt(0)
	v_and_b32_e32 v29, 0xffff, v86
	v_lshrrev_b32_e32 v31, 16, v86
	v_and_b32_e32 v86, 0xffff, v9
	v_and_b32_e32 v9, 0xffff, v87
	v_lshrrev_b32_e32 v88, 16, v87
	;;#ASMSTART
	v_cvt_f32_f16 v93, v29;
	;;#ASMEND
	;;#ASMSTART
	v_cvt_f32_f16 v91, v31;
	;;#ASMEND
	;; [unrolled: 3-line block ×8, first 2 shown]
	ds_read_b64 v[30:31], v19 offset:8
	v_and_b32_e32 v35, 0xffff, v35
	v_or_b32_e32 v43, v42, v43
	v_fma_mixlo_f16 v40, v27, v40, 0 op_sel:[0,1,0] op_sel_hi:[0,1,0]
	v_fma_mixlo_f16 v42, v27, v42, 0 op_sel:[0,1,0] op_sel_hi:[0,1,0]
	v_fma_mixlo_f16 v41, v27, v41, 0 op_sel_hi:[0,1,0]
	v_or_b32_e32 v45, v44, v45
	v_fma_mixlo_f16 v43, v27, v43, 0 op_sel_hi:[0,1,0]
	v_or_b32_e32 v47, v46, v47
	v_fma_mixlo_f16 v44, v27, v44, 0 op_sel:[0,1,0] op_sel_hi:[0,1,0]
	v_fma_mixlo_f16 v46, v27, v46, 0 op_sel:[0,1,0] op_sel_hi:[0,1,0]
	v_fma_mixlo_f16 v45, v27, v45, 0 op_sel_hi:[0,1,0]
	v_and_b32_e32 v88, 0xffff, v43
	v_fma_mixlo_f16 v47, v27, v47, 0 op_sel_hi:[0,1,0]
	v_and_b32_e32 v90, 0xffff, v44
	v_and_b32_e32 v92, 0xffff, v46
	v_and_b32_e32 v46, 0xffff, v45
	v_or_b32_e32 v49, v48, v49
	v_and_b32_e32 v96, 0xffff, v47
	v_or_b32_e32 v51, v50, v51
	s_waitcnt lgkmcnt(0)
	v_and_b32_e32 v86, 0xffff, v30
	v_lshrrev_b32_e32 v30, 16, v30
	v_lshrrev_b32_e32 v87, 16, v31
	v_and_b32_e32 v31, 0xffff, v31
	;;#ASMSTART
	v_cvt_f32_f16 v114, v86;
	;;#ASMEND
	;;#ASMSTART
	v_cvt_f32_f16 v115, v30;
	;;#ASMEND
	;; [unrolled: 3-line block ×8, first 2 shown]
	ds_read_b64 v[30:31], v19 offset:16
	v_or_b32_e32 v32, v36, v37
	v_or_b32_e32 v33, v38, v39
	v_fma_mixlo_f16 v34, v27, v36, 0 op_sel:[0,1,0] op_sel_hi:[0,1,0]
	v_fma_mixlo_f16 v35, v27, v38, 0 op_sel:[0,1,0] op_sel_hi:[0,1,0]
	v_and_b32_e32 v87, 0xffff, v42
	v_fma_mixlo_f16 v32, v27, v32, 0 op_sel_hi:[0,1,0]
	v_fma_mixlo_f16 v33, v27, v33, 0 op_sel_hi:[0,1,0]
	v_and_b32_e32 v34, 0xffff, v34
	v_and_b32_e32 v37, 0xffff, v35
	v_fma_mixlo_f16 v48, v27, v48, 0 op_sel:[0,1,0] op_sel_hi:[0,1,0]
	v_and_b32_e32 v32, 0xffff, v32
	v_and_b32_e32 v38, 0xffff, v33
	v_fma_mixlo_f16 v50, v27, v50, 0 op_sel:[0,1,0] op_sel_hi:[0,1,0]
	v_fma_mixlo_f16 v49, v27, v49, 0 op_sel_hi:[0,1,0]
	v_fma_mixlo_f16 v51, v27, v51, 0 op_sel_hi:[0,1,0]
	v_and_b32_e32 v100, 0xffff, v48
	v_or_b32_e32 v53, v52, v53
	v_and_b32_e32 v101, 0xffff, v50
	v_and_b32_e32 v49, 0xffff, v49
	s_waitcnt lgkmcnt(0)
	v_and_b32_e32 v35, 0xffff, v30
	v_lshrrev_b32_e32 v36, 16, v30
	v_lshrrev_b32_e32 v39, 16, v31
	v_and_b32_e32 v86, 0xffff, v31
	;;#ASMSTART
	v_cvt_f32_f16 v30, v35;
	;;#ASMEND
	;;#ASMSTART
	v_cvt_f32_f16 v31, v36;
	;;#ASMEND
	;; [unrolled: 3-line block ×8, first 2 shown]
	ds_read_b64 v[38:39], v19 offset:24
	v_and_b32_e32 v86, 0xffff, v40
	v_and_b32_e32 v40, 0xffff, v41
	v_or_b32_e32 v55, v54, v55
	v_fma_mixlo_f16 v52, v27, v52, 0 op_sel:[0,1,0] op_sel_hi:[0,1,0]
	v_fma_mixlo_f16 v54, v27, v54, 0 op_sel:[0,1,0] op_sel_hi:[0,1,0]
	v_fma_mixlo_f16 v53, v27, v53, 0 op_sel_hi:[0,1,0]
	v_or_b32_e32 v57, v56, v57
	v_fma_mixlo_f16 v55, v27, v55, 0 op_sel_hi:[0,1,0]
	v_and_b32_e32 v102, 0xffff, v52
	v_and_b32_e32 v103, 0xffff, v54
	;; [unrolled: 1-line block ×3, first 2 shown]
	v_or_b32_e32 v59, v58, v59
	v_and_b32_e32 v104, 0xffff, v55
	v_fma_mixlo_f16 v56, v27, v56, 0 op_sel:[0,1,0] op_sel_hi:[0,1,0]
	v_fma_mixlo_f16 v57, v27, v57, 0 op_sel_hi:[0,1,0]
	v_fma_mixlo_f16 v58, v27, v58, 0 op_sel:[0,1,0] op_sel_hi:[0,1,0]
	v_fma_mixlo_f16 v59, v27, v59, 0 op_sel_hi:[0,1,0]
	v_or_b32_e32 v69, v68, v69
	v_and_b32_e32 v56, 0xffff, v56
	s_waitcnt lgkmcnt(0)
	v_and_b32_e32 v41, 0xffff, v38
	v_lshrrev_b32_e32 v42, 16, v38
	v_lshrrev_b32_e32 v43, 16, v39
	v_and_b32_e32 v89, 0xffff, v39
	;;#ASMSTART
	v_cvt_f32_f16 v38, v41;
	;;#ASMEND
	;;#ASMSTART
	v_cvt_f32_f16 v39, v42;
	;;#ASMEND
	;;#ASMSTART
	v_cvt_f32_f16 v40, v40;
	;;#ASMEND
	;;#ASMSTART
	v_cvt_f32_f16 v41, v86;
	;;#ASMEND
	;;#ASMSTART
	v_cvt_f32_f16 v42, v89;
	;;#ASMEND
	;;#ASMSTART
	v_cvt_f32_f16 v43, v43;
	;;#ASMEND
	;;#ASMSTART
	v_cvt_f32_f16 v86, v88;
	;;#ASMEND
	;;#ASMSTART
	v_cvt_f32_f16 v87, v87;
	;;#ASMEND
	ds_read_b64 v[88:89], v19 offset:32
	v_and_b32_e32 v57, 0xffff, v57
	v_and_b32_e32 v58, 0xffff, v58
	v_and_b32_e32 v59, 0xffff, v59
	v_or_b32_e32 v71, v70, v71
	v_fma_mixlo_f16 v68, v27, v68, 0 op_sel:[0,1,0] op_sel_hi:[0,1,0]
	v_fma_mixlo_f16 v70, v27, v70, 0 op_sel:[0,1,0] op_sel_hi:[0,1,0]
	v_fma_mixlo_f16 v69, v27, v69, 0 op_sel_hi:[0,1,0]
	v_or_b32_e32 v73, v72, v73
	v_fma_mixlo_f16 v71, v27, v71, 0 op_sel_hi:[0,1,0]
	v_or_b32_e32 v75, v74, v75
	v_fma_mixlo_f16 v72, v27, v72, 0 op_sel:[0,1,0] op_sel_hi:[0,1,0]
	v_fma_mixlo_f16 v74, v27, v74, 0 op_sel:[0,1,0] op_sel_hi:[0,1,0]
	v_fma_mixlo_f16 v73, v27, v73, 0 op_sel_hi:[0,1,0]
	v_or_b32_e32 v79, v78, v79
	v_fma_mixlo_f16 v75, v27, v75, 0 op_sel_hi:[0,1,0]
	v_or_b32_e32 v77, v76, v77
	v_fma_mixlo_f16 v76, v27, v76, 0 op_sel:[0,1,0] op_sel_hi:[0,1,0]
	v_fma_mixlo_f16 v78, v27, v78, 0 op_sel:[0,1,0] op_sel_hi:[0,1,0]
	v_fma_mixlo_f16 v79, v27, v79, 0 op_sel_hi:[0,1,0]
	s_waitcnt lgkmcnt(0)
	v_and_b32_e32 v44, 0xffff, v88
	v_lshrrev_b32_e32 v45, 16, v88
	v_lshrrev_b32_e32 v97, 16, v89
	v_and_b32_e32 v88, 0xffff, v89
	;;#ASMSTART
	v_cvt_f32_f16 v44, v44;
	;;#ASMEND
	;;#ASMSTART
	v_cvt_f32_f16 v45, v45;
	;;#ASMEND
	;; [unrolled: 3-line block ×8, first 2 shown]
	ds_read_b64 v[96:97], v19 offset:40
	v_and_b32_e32 v76, 0xffff, v76
	v_and_b32_e32 v78, 0xffff, v78
	v_or_b32_e32 v83, v82, v83
	v_fma_mixlo_f16 v82, v27, v82, 0 op_sel:[0,1,0] op_sel_hi:[0,1,0]
	s_waitcnt lgkmcnt(0)
	v_and_b32_e32 v48, 0xffff, v96
	v_lshrrev_b32_e32 v50, 16, v96
	v_and_b32_e32 v96, 0xffff, v51
	v_lshrrev_b32_e32 v51, 16, v97
	v_and_b32_e32 v97, 0xffff, v97
	;;#ASMSTART
	v_cvt_f32_f16 v98, v48;
	;;#ASMEND
	;;#ASMSTART
	v_cvt_f32_f16 v48, v50;
	;;#ASMEND
	;; [unrolled: 3-line block ×8, first 2 shown]
	ds_read_b64 v[100:101], v19 offset:48
	s_waitcnt lgkmcnt(0)
	v_and_b32_e32 v52, 0xffff, v100
	v_lshrrev_b32_e32 v100, 16, v100
	v_lshrrev_b32_e32 v105, 16, v101
	v_and_b32_e32 v55, 0xffff, v101
	;;#ASMSTART
	v_cvt_f32_f16 v53, v52;
	;;#ASMEND
	;;#ASMSTART
	v_cvt_f32_f16 v52, v100;
	;;#ASMEND
	;; [unrolled: 3-line block ×8, first 2 shown]
	ds_read_b64 v[104:105], v19 offset:56
	s_waitcnt lgkmcnt(0)
	v_and_b32_e32 v106, 0xffff, v104
	v_lshrrev_b32_e32 v104, 16, v104
	v_lshrrev_b32_e32 v108, 16, v105
	v_and_b32_e32 v107, 0xffff, v105
	;;#ASMSTART
	v_cvt_f32_f16 v105, v106;
	;;#ASMEND
	;;#ASMSTART
	v_cvt_f32_f16 v104, v104;
	;;#ASMEND
	;; [unrolled: 3-line block ×8, first 2 shown]
	ds_read_b64 v[56:57], v19 offset:64
	v_or_b32_e32 v58, v60, v61
	v_or_b32_e32 v59, v62, v63
	v_fma_mixlo_f16 v60, v27, v60, 0 op_sel:[0,1,0] op_sel_hi:[0,1,0]
	v_fma_mixlo_f16 v61, v27, v62, 0 op_sel:[0,1,0] op_sel_hi:[0,1,0]
	v_fma_mixlo_f16 v58, v27, v58, 0 op_sel_hi:[0,1,0]
	v_fma_mixlo_f16 v59, v27, v59, 0 op_sel_hi:[0,1,0]
	v_and_b32_e32 v62, 0xffff, v60
	v_and_b32_e32 v123, 0xffff, v61
	;; [unrolled: 1-line block ×4, first 2 shown]
	s_waitcnt lgkmcnt(0)
	v_and_b32_e32 v60, 0xffff, v56
	v_lshrrev_b32_e32 v120, 16, v57
	v_lshrrev_b32_e32 v56, 16, v56
	v_and_b32_e32 v57, 0xffff, v57
	;;#ASMSTART
	v_cvt_f32_f16 v61, v60;
	;;#ASMEND
	;;#ASMSTART
	v_cvt_f32_f16 v60, v56;
	;;#ASMEND
	;; [unrolled: 3-line block ×8, first 2 shown]
	ds_read_b64 v[124:125], v19 offset:72
	v_or_b32_e32 v56, v64, v65
	v_or_b32_e32 v57, v66, v67
	v_fma_mixlo_f16 v58, v27, v64, 0 op_sel:[0,1,0] op_sel_hi:[0,1,0]
	v_fma_mixlo_f16 v59, v27, v66, 0 op_sel:[0,1,0] op_sel_hi:[0,1,0]
	v_fma_mixlo_f16 v56, v27, v56, 0 op_sel_hi:[0,1,0]
	v_fma_mixlo_f16 v57, v27, v57, 0 op_sel_hi:[0,1,0]
	v_and_b32_e32 v64, 0xffff, v58
	v_and_b32_e32 v65, 0xffff, v59
	v_mul_f32_e32 v59, v115, v117
	v_and_b32_e32 v67, 0xffff, v56
	v_and_b32_e32 v126, 0xffff, v57
	v_mul_f32_e32 v57, v112, v113
	v_mul_f32_e32 v58, v114, v116
	;; [unrolled: 1-line block ×3, first 2 shown]
	v_or_b32_e32 v118, v80, v81
	v_and_b32_e32 v81, 0xffff, v68
	v_and_b32_e32 v119, 0xffff, v70
	;; [unrolled: 1-line block ×3, first 2 shown]
	s_waitcnt lgkmcnt(0)
	v_and_b32_e32 v66, 0xffff, v124
	v_lshrrev_b32_e32 v115, 16, v124
	v_lshrrev_b32_e32 v113, 16, v125
	v_and_b32_e32 v112, 0xffff, v125
	;;#ASMSTART
	v_cvt_f32_f16 v114, v66;
	;;#ASMEND
	;;#ASMSTART
	v_cvt_f32_f16 v66, v115;
	;;#ASMEND
	;; [unrolled: 3-line block ×8, first 2 shown]
	ds_read_b64 v[116:117], v19 offset:80
	v_fmac_f32_e32 v58, v93, v95
	v_fmac_f32_e32 v59, v91, v94
	v_and_b32_e32 v124, 0xffff, v71
	v_and_b32_e32 v95, 0xffff, v72
	v_fma_mixlo_f16 v72, v27, v118, 0 op_sel_hi:[0,1,0]
	v_and_b32_e32 v118, 0xffff, v75
	v_fmac_f32_e32 v56, v9, v29
	v_fmac_f32_e32 v57, v3, v28
	;; [unrolled: 1-line block ×4, first 2 shown]
	v_fma_mixlo_f16 v80, v27, v80, 0 op_sel:[0,1,0] op_sel_hi:[0,1,0]
	v_fmac_f32_e32 v56, v34, v36
	v_fmac_f32_e32 v57, v35, v37
	;; [unrolled: 1-line block ×4, first 2 shown]
	v_and_b32_e32 v36, 0xffff, v79
	v_fmac_f32_e32 v56, v42, v86
	v_fmac_f32_e32 v57, v43, v87
	;; [unrolled: 1-line block ×3, first 2 shown]
	s_waitcnt lgkmcnt(0)
	v_and_b32_e32 v68, 0xffff, v116
	v_lshrrev_b32_e32 v69, 16, v116
	v_lshrrev_b32_e32 v93, 16, v117
	v_and_b32_e32 v91, 0xffff, v117
	;;#ASMSTART
	v_cvt_f32_f16 v68, v68;
	;;#ASMEND
	;;#ASMSTART
	v_cvt_f32_f16 v69, v69;
	;;#ASMEND
	;; [unrolled: 3-line block ×8, first 2 shown]
	ds_read_b64 v[116:117], v19 offset:88
	v_and_b32_e32 v119, 0xffff, v74
	v_and_b32_e32 v74, 0xffff, v73
	v_fmac_f32_e32 v59, v45, v47
	v_fmac_f32_e32 v56, v88, v90
	v_fmac_f32_e32 v58, v98, v99
	v_fmac_f32_e32 v57, v89, v92
	v_and_b32_e32 v40, 0xffff, v72
	v_fmac_f32_e32 v59, v48, v49
	v_fmac_f32_e32 v56, v50, v96
	v_fmac_f32_e32 v58, v53, v101
	v_fmac_f32_e32 v57, v51, v97
	;; [unrolled: 5-line block ×3, first 2 shown]
	v_or_b32_e32 v45, v84, v85
	v_fmac_f32_e32 v59, v104, v106
	v_fmac_f32_e32 v56, v107, v110
	s_waitcnt lgkmcnt(0)
	v_and_b32_e32 v9, 0xffff, v116
	v_lshrrev_b32_e32 v29, 16, v116
	v_lshrrev_b32_e32 v28, 16, v117
	v_and_b32_e32 v116, 0xffff, v117
	;;#ASMSTART
	v_cvt_f32_f16 v3, v9;
	;;#ASMEND
	;;#ASMSTART
	v_cvt_f32_f16 v73, v29;
	;;#ASMEND
	;; [unrolled: 3-line block ×8, first 2 shown]
	ds_read_b64 v[28:29], v19 offset:96
	v_fma_mixlo_f16 v9, v27, v77, 0 op_sel_hi:[0,1,0]
	v_fmac_f32_e32 v58, v61, v121
	v_fmac_f32_e32 v59, v60, v62
	v_fma_mixlo_f16 v77, v27, v83, 0 op_sel_hi:[0,1,0]
	v_fmac_f32_e32 v57, v108, v111
	v_and_b32_e32 v9, 0xffff, v9
	v_fmac_f32_e32 v56, v63, v122
	v_fmac_f32_e32 v58, v114, v115
	;; [unrolled: 1-line block ×3, first 2 shown]
	v_and_b32_e32 v43, 0xffff, v77
	v_fmac_f32_e32 v57, v120, v123
	v_fmac_f32_e32 v56, v112, v113
	;; [unrolled: 1-line block ×8, first 2 shown]
	s_waitcnt lgkmcnt(0)
	v_and_b32_e32 v30, 0xffff, v28
	v_lshrrev_b32_e32 v28, 16, v28
	v_lshrrev_b32_e32 v35, 16, v29
	v_and_b32_e32 v29, 0xffff, v29
	;;#ASMSTART
	v_cvt_f32_f16 v30, v30;
	;;#ASMEND
	;;#ASMSTART
	v_cvt_f32_f16 v31, v28;
	;;#ASMEND
	;; [unrolled: 3-line block ×8, first 2 shown]
	ds_read_b64 v[28:29], v19 offset:104
	v_or_b32_e32 v9, v10, v11
	v_fma_mixlo_f16 v11, v27, v10, 0 op_sel:[0,1,0] op_sel_hi:[0,1,0]
	v_fmac_f32_e32 v57, v70, v93
	v_fmac_f32_e32 v56, v95, v117
	v_fmac_f32_e32 v58, v30, v32
	v_fma_mixlo_f16 v38, v27, v9, 0 op_sel_hi:[0,1,0]
	v_fmac_f32_e32 v59, v31, v33
	v_fma_mixlo_f16 v3, v27, v45, 0 op_sel_hi:[0,1,0]
	v_fmac_f32_e32 v57, v116, v118
	v_fmac_f32_e32 v56, v34, v36
	v_and_b32_e32 v30, 0xffff, v38
	v_and_b32_e32 v31, 0xffff, v11
	v_fma_mixlo_f16 v27, v27, v84, 0 op_sel:[0,1,0] op_sel_hi:[0,1,0]
	v_fmac_f32_e32 v57, v35, v37
	v_and_b32_e32 v27, 0xffff, v27
	s_waitcnt lgkmcnt(0)
	v_and_b32_e32 v9, 0xffff, v28
	v_lshrrev_b32_e32 v10, 16, v28
	;;#ASMSTART
	v_cvt_f32_f16 v28, v9;
	;;#ASMEND
	;;#ASMSTART
	v_cvt_f32_f16 v39, v10;
	;;#ASMEND
	v_and_b32_e32 v9, 0xffff, v80
	v_and_b32_e32 v10, 0xffff, v29
	v_lshrrev_b32_e32 v42, 16, v29
	;;#ASMSTART
	v_cvt_f32_f16 v40, v40;
	;;#ASMEND
	;;#ASMSTART
	v_cvt_f32_f16 v29, v9;
	;;#ASMEND
	;; [unrolled: 3-line block ×6, first 2 shown]
	ds_read_b64 v[9:10], v19 offset:112
	v_fmac_f32_e32 v58, v28, v40
	v_fmac_f32_e32 v59, v39, v29
	;; [unrolled: 1-line block ×4, first 2 shown]
	s_waitcnt lgkmcnt(0)
	v_and_b32_e32 v28, 0xffff, v9
	v_lshrrev_b32_e32 v29, 16, v9
	;;#ASMSTART
	v_cvt_f32_f16 v9, v28;
	;;#ASMEND
	;;#ASMSTART
	v_cvt_f32_f16 v11, v29;
	;;#ASMEND
	;; [unrolled: 3-line block ×3, first 2 shown]
	v_and_b32_e32 v30, 0xffff, v10
	v_lshrrev_b32_e32 v10, 16, v10
	;;#ASMSTART
	v_cvt_f32_f16 v29, v31;
	;;#ASMEND
	v_and_b32_e32 v31, 0xffff, v3
	v_fmac_f32_e32 v58, v9, v28
	v_fmac_f32_e32 v59, v11, v29
	;;#ASMSTART
	v_cvt_f32_f16 v3, v30;
	;;#ASMEND
	;;#ASMSTART
	v_cvt_f32_f16 v9, v10;
	;;#ASMEND
	v_xor_b32_e32 v10, 1, v15
	;;#ASMSTART
	v_cvt_f32_f16 v11, v31;
	;;#ASMEND
	v_fmac_f32_e32 v56, v3, v11
	v_add_f32_e32 v3, v58, v59
	;;#ASMSTART
	v_cvt_f32_f16 v11, v27;
	;;#ASMEND
	v_cmp_gt_i32_e64 s2, 32, v10
	v_fmac_f32_e32 v57, v9, v11
	v_add_f32_e32 v3, v3, v56
	v_cndmask_b32_e64 v9, v15, v10, s2
	v_add_f32_e32 v3, v57, v3
	v_lshlrev_b32_e32 v9, 2, v9
	ds_bpermute_b32 v9, v9, v3
	s_and_saveexec_b32 s3, vcc_lo
	s_cbranch_execz .LBB295_9
; %bb.491:                              ;   in Loop: Header=BB295_10 Depth=1
	v_add_nc_u32_e32 v10, s4, v20
	s_waitcnt lgkmcnt(0)
	v_add_f32_e32 v3, v3, v9
	v_cmp_gt_i32_e64 s2, s27, v20
	v_cvt_f32_i32_e32 v10, v10
	v_mul_f32_e32 v10, s36, v10
	v_cndmask_b32_e64 v9, 0, v10, s1
	v_max_f32_e32 v10, v18, v18
	v_fmac_f32_e32 v9, s37, v3
	v_max_f32_e32 v3, v10, v9
	v_cndmask_b32_e64 v9, 0, v9, s2
	v_cndmask_b32_e64 v18, v18, v3, s2
	ds_write_b32 v21, v9
	s_branch .LBB295_9
.LBB295_492:
	s_or_b32 exec_lo, exec_lo, s5
.LBB295_493:
	s_or_b32 exec_lo, exec_lo, s38
	v_xor_b32_e32 v3, 16, v15
	v_xor_b32_e32 v5, 8, v15
	v_max_f32_e32 v7, v18, v18
	v_cmp_lt_i32_e32 vcc_lo, v3, v16
	v_cndmask_b32_e32 v3, v15, v3, vcc_lo
	v_cmp_lt_i32_e32 vcc_lo, v5, v16
	v_lshlrev_b32_e32 v6, 2, v3
	v_cndmask_b32_e32 v5, v15, v5, vcc_lo
	ds_bpermute_b32 v3, v6, v18
	v_lshlrev_b32_e32 v8, 2, v5
	s_waitcnt lgkmcnt(0)
	v_max_f32_e32 v3, v3, v3
	v_max_f32_e32 v3, v7, v3
	v_xor_b32_e32 v7, 4, v15
	ds_bpermute_b32 v5, v8, v3
	v_cmp_lt_i32_e32 vcc_lo, v7, v16
	v_cndmask_b32_e32 v7, v15, v7, vcc_lo
	v_lshlrev_b32_e32 v9, 2, v7
	v_xor_b32_e32 v7, 2, v15
	v_cmp_lt_i32_e32 vcc_lo, v7, v16
	s_waitcnt lgkmcnt(0)
	v_max_f32_e32 v5, v5, v5
	v_cndmask_b32_e32 v10, v15, v7, vcc_lo
	v_max_f32_e32 v3, v3, v5
	ds_bpermute_b32 v5, v9, v3
	s_waitcnt lgkmcnt(0)
	v_max_f32_e32 v5, v5, v5
	v_max_f32_e32 v7, v3, v5
	v_lshlrev_b32_e32 v5, 2, v10
	v_and_b32_e32 v3, 31, v0
	v_lshlrev_b32_e32 v10, 2, v14
	ds_bpermute_b32 v11, v5, v7
	v_cmp_eq_u32_e32 vcc_lo, 0, v3
	s_and_saveexec_b32 s1, vcc_lo
	s_cbranch_execz .LBB295_495
; %bb.494:
	s_waitcnt lgkmcnt(0)
	v_max_f32_e32 v11, v11, v11
	v_max_f32_e32 v7, v7, v7
	;; [unrolled: 1-line block ×3, first 2 shown]
	ds_write_b32 v10, v7 offset:240
.LBB295_495:
	s_or_b32 exec_lo, exec_lo, s1
	v_cmp_gt_u32_e64 s1, 4, v3
	v_mov_b32_e32 v7, 0xff7fffff
	s_waitcnt lgkmcnt(0)
	v_lshlrev_b32_e32 v11, 2, v3
	s_barrier
	buffer_gl0_inv
	s_and_saveexec_b32 s2, s1
; %bb.496:
	ds_read_b32 v7, v11 offset:240
; %bb.497:
	s_or_b32 exec_lo, exec_lo, s2
	s_waitcnt lgkmcnt(0)
	ds_bpermute_b32 v18, v5, v7
	v_xor_b32_e32 v19, 1, v15
	v_max_f32_e32 v7, v7, v7
	v_lshlrev_b32_e32 v4, 2, v4
	v_cmp_lt_i32_e64 s2, v19, v16
	v_cndmask_b32_e64 v16, v15, v19, s2
	s_sub_i32 s2, s16, s19
	s_lshl_b32 s2, s2, 4
	v_lshlrev_b32_e32 v16, 2, v16
	s_add_i32 s2, s2, s33
	s_min_i32 s2, s2, s27
	s_waitcnt lgkmcnt(0)
	v_max_f32_e32 v18, v18, v18
	s_sub_i32 s4, s2, s33
	v_cmp_gt_i32_e64 s2, s4, v0
	v_max_f32_e32 v7, v7, v18
	ds_bpermute_b32 v18, v16, v7
	s_waitcnt lgkmcnt(0)
	v_max_f32_e32 v18, v18, v18
	v_max_f32_e32 v7, v7, v18
	v_mov_b32_e32 v18, 0
	ds_bpermute_b32 v4, v4, v7
	v_lshl_add_u32 v7, v0, 2, 0x110
	s_and_saveexec_b32 s5, s2
	s_cbranch_execz .LBB295_501
; %bb.498:
	v_lshl_add_u32 v19, v0, 2, 0x110
	v_mov_b32_e32 v18, 0
	v_mov_b32_e32 v20, v0
	s_mov_b32 s12, 0
	.p2align	6
.LBB295_499:                            ; =>This Inner Loop Header: Depth=1
	ds_read_b32 v21, v19
	v_add_nc_u32_e32 v20, 0x80, v20
	v_cmp_le_i32_e64 s3, s4, v20
	s_or_b32 s12, s3, s12
	s_waitcnt lgkmcnt(0)
	v_sub_f32_e32 v21, v21, v4
	v_mul_f32_e32 v21, 0x3fb8aa3b, v21
	v_exp_f32_e32 v21, v21
	ds_write_b32 v19, v21
	v_add_f32_e32 v18, v18, v21
	v_add_nc_u32_e32 v19, 0x200, v19
	s_andn2_b32 exec_lo, exec_lo, s12
	s_cbranch_execnz .LBB295_499
; %bb.500:
	s_or_b32 exec_lo, exec_lo, s12
.LBB295_501:
	s_or_b32 exec_lo, exec_lo, s5
	ds_bpermute_b32 v6, v6, v18
	s_waitcnt lgkmcnt(0)
	v_add_f32_e32 v6, v18, v6
	ds_bpermute_b32 v8, v8, v6
	s_waitcnt lgkmcnt(0)
	v_add_f32_e32 v6, v6, v8
	;; [unrolled: 3-line block ×5, first 2 shown]
	s_and_saveexec_b32 s3, vcc_lo
; %bb.502:
	ds_write_b32 v10, v6 offset:256
; %bb.503:
	s_or_b32 exec_lo, exec_lo, s3
	s_waitcnt lgkmcnt(0)
	s_barrier
	buffer_gl0_inv
	s_and_saveexec_b32 s3, s1
; %bb.504:
	ds_read_b32 v6, v11 offset:256
; %bb.505:
	s_or_b32 exec_lo, exec_lo, s3
	s_waitcnt lgkmcnt(0)
	ds_bpermute_b32 v5, v5, v6
	v_lshlrev_b32_e32 v8, 2, v15
	s_waitcnt lgkmcnt(0)
	v_add_f32_e32 v5, v6, v5
	ds_bpermute_b32 v6, v16, v5
	s_waitcnt lgkmcnt(0)
	v_add_f32_e32 v5, v5, v6
	v_and_b32_e32 v6, 0xffffff80, v8
	ds_bpermute_b32 v5, v6, v5
	s_and_saveexec_b32 s1, s2
	s_cbranch_execz .LBB295_508
; %bb.506:
	s_waitcnt lgkmcnt(0)
	v_add_f32_e32 v6, 0x358637bd, v5
	s_mov_b32 s2, 0
	v_div_scale_f32 v8, null, v6, v6, 1.0
	v_div_scale_f32 v11, vcc_lo, 1.0, v6, 1.0
	v_rcp_f32_e32 v9, v8
	v_fma_f32 v10, -v8, v9, 1.0
	v_fmac_f32_e32 v9, v10, v9
	v_mul_f32_e32 v10, v11, v9
	v_fma_f32 v15, -v8, v10, v11
	v_fmac_f32_e32 v10, v15, v9
	v_fma_f32 v8, -v8, v10, v11
	v_div_fmas_f32 v8, v8, v9, v10
	v_div_fixup_f32 v6, v8, v6, 1.0
	v_mov_b32_e32 v8, v0
.LBB295_507:                            ; =>This Inner Loop Header: Depth=1
	ds_read_b32 v9, v7
	v_add_nc_u32_e32 v8, 0x80, v8
	v_cmp_le_i32_e32 vcc_lo, s4, v8
	s_or_b32 s2, vcc_lo, s2
	s_waitcnt lgkmcnt(0)
	v_mul_f32_e32 v9, v6, v9
	ds_write_b32 v7, v9
	v_add_nc_u32_e32 v7, 0x200, v7
	s_andn2_b32 exec_lo, exec_lo, s2
	s_cbranch_execnz .LBB295_507
.LBB295_508:
	s_or_b32 exec_lo, exec_lo, s1
	s_mul_i32 s1, s11, s26
	s_waitcnt lgkmcnt(0)
	s_mul_i32 s2, s1, s9
	s_mov_b32 s1, exec_lo
	s_barrier
	buffer_gl0_inv
	v_cmpx_eq_u32_e32 0, v0
	s_cbranch_execz .LBB295_510
; %bb.509:
	s_ashr_i32 s3, s2, 31
	s_mul_i32 s12, s11, s6
	s_lshl_b64 s[4:5], s[2:3], 2
	v_mov_b32_e32 v6, 0
	s_add_u32 s3, s22, s4
	s_addc_u32 s6, s23, s5
	s_ashr_i32 s13, s12, 31
	s_lshl_b64 s[12:13], s[12:13], 2
	s_add_u32 s3, s3, s12
	s_addc_u32 s6, s6, s13
	s_ashr_i32 s9, s8, 31
	s_lshl_b64 s[22:23], s[8:9], 2
	s_add_u32 s36, s3, s22
	s_addc_u32 s37, s6, s23
	s_add_u32 s3, s20, s4
	s_addc_u32 s4, s21, s5
	;; [unrolled: 2-line block ×4, first 2 shown]
	global_store_dword v6, v4, s[36:37]
	global_store_dword v6, v5, s[4:5]
.LBB295_510:
	s_or_b32 exec_lo, exec_lo, s1
	v_lshrrev_b32_e32 v15, 1, v3
	s_and_saveexec_b32 s1, s0
	s_xor_b32 s0, exec_lo, s1
; %bb.511:
	v_lshrrev_b32_e32 v15, 1, v3
                                        ; implicit-def: $vgpr1
                                        ; implicit-def: $vgpr17
; %bb.512:
	s_or_saveexec_b32 s3, s0
	v_mov_b32_e32 v24, 0
	v_mov_b32_e32 v25, 0
	;; [unrolled: 1-line block ×8, first 2 shown]
	s_xor_b32 exec_lo, exec_lo, s3
	s_cbranch_execz .LBB295_1046
; %bb.513:
	v_and_b32_e32 v4, 8, v17
	v_or_b32_e32 v5, 0x70, v15
	v_lshl_add_u32 v7, v14, 4, s33
	v_lshlrev_b32_e32 v6, 5, v13
	s_ashr_i32 s0, s18, 31
	v_lshl_or_b32 v17, v15, 4, v4
	v_cmp_gt_u32_e32 vcc_lo, 0x78, v5
	v_lshl_or_b32 v26, v5, 4, v4
	v_add3_u32 v27, v7, v4, 7
	v_lshlrev_b64 v[4:5], 2, v[1:2]
	s_add_u32 s4, s34, s18
	s_addc_u32 s5, s35, s0
	s_lshl_b64 s[0:1], s[30:31], 2
	s_add_i32 s12, s7, -1
	v_lshl_or_b32 v6, v14, 6, v6
	s_add_u32 s0, s28, s0
	s_addc_u32 s1, s29, s1
	v_add_co_u32 v4, s0, s0, v4
	v_mov_b32_e32 v3, 0
	v_add_nc_u32_e32 v28, 0x110, v6
	v_add_co_ci_u32_e64 v5, null, s1, v5, s0
	v_mov_b32_e32 v29, 0x80
	v_mov_b32_e32 v30, 0x7f
	v_mov_b32_e32 v31, 7
	v_mov_b32_e32 v32, 8
	v_mov_b32_e32 v18, 0
	v_mov_b32_e32 v19, 0
	v_mov_b32_e32 v20, 0
	v_mov_b32_e32 v21, 0
	v_mov_b32_e32 v22, 0
	v_mov_b32_e32 v23, 0
	v_mov_b32_e32 v25, 0
	v_mov_b32_e32 v24, 0
	s_mov_b32 s6, -1
	s_mov_b32 s9, s17
	s_mov_b32 s7, 0xffffff
	;; [unrolled: 1-line block ×3, first 2 shown]
	s_branch .LBB295_516
.LBB295_514:                            ;   in Loop: Header=BB295_516 Depth=1
	s_or_b32 exec_lo, exec_lo, s1
	;;#ASMSTART
	v_pk_mul_f16 v2, v39, v55;

	;;#ASMEND
	;;#ASMSTART
	v_pk_mul_f16 v6, v38, v54;

	;;#ASMEND
	;; [unrolled: 4-line block ×4, first 2 shown]
	;;#ASMSTART
	v_pk_add_f16 v2, v2, v6;

	;;#ASMEND
	;;#ASMSTART
	v_pk_add_f16 v2, v2, v7;

	;;#ASMEND
	;; [unrolled: 4-line block ×3, first 2 shown]
	v_and_b32_e32 v6, 0xffff, v2
	v_lshrrev_b32_e32 v7, 16, v2
	;;#ASMSTART
	v_cvt_f32_f16 v2, v6;
	;;#ASMEND
	;;#ASMSTART
	v_cvt_f32_f16 v6, v7;
	;;#ASMEND
	v_add_f32_e32 v2, v2, v6
	v_add_f32_e32 v18, v18, v2
.LBB295_515:                            ;   in Loop: Header=BB295_516 Depth=1
	s_or_b32 exec_lo, exec_lo, s17
	v_add_f32_e32 v2, v8, v9
	v_add_f32_e32 v6, v10, v11
	;; [unrolled: 1-line block ×3, first 2 shown]
	v_add_nc_u32_e32 v1, 4, v1
	v_add_f32_e32 v8, v44, v45
	v_add_f32_e32 v19, v19, v2
	;; [unrolled: 1-line block ×7, first 2 shown]
	v_cmp_le_i32_e64 s0, s16, v1
	v_add_co_u32 v4, s1, v4, 16
	v_add_f32_e32 v22, v22, v8
	v_add_f32_e32 v23, v23, v2
	v_add_f32_e32 v25, v25, v6
	v_add_f32_e32 v24, v24, v7
	v_add_nc_u32_e32 v27, 64, v27
	v_add_nc_u32_e32 v28, 0x100, v28
	v_add_co_ci_u32_e64 v5, null, 0, v5, s1
	s_or_b32 s13, s0, s13
	s_andn2_b32 exec_lo, exec_lo, s13
	s_cbranch_execz .LBB295_1045
.LBB295_516:                            ; =>This Inner Loop Header: Depth=1
	global_load_dword v2, v[4:5], off
	ds_read2_b64 v[8:11], v28 offset1:1
	ds_read2_b64 v[39:42], v28 offset0:2 offset1:3
	v_mov_b32_e32 v43, 0
	s_waitcnt lgkmcnt(1)
	;;#ASMSTART
	v_cvt_f16_f32 v37, v8;

	;;#ASMEND
	;;#ASMSTART
	v_cvt_f16_f32 v34, v9;

	;;#ASMEND
	;; [unrolled: 4-line block ×4, first 2 shown]
	s_waitcnt lgkmcnt(0)
	;;#ASMSTART
	v_cvt_f16_f32 v39, v39;

	;;#ASMEND
	;;#ASMSTART
	v_cvt_f16_f32 v36, v40;

	;;#ASMEND
	;; [unrolled: 4-line block ×4, first 2 shown]
	s_waitcnt vmcnt(0)
	v_mad_i64_i32 v[6:7], null, v2, s9, s[4:5]
	v_add_co_u32 v8, s0, v6, v17
	v_add_co_ci_u32_e64 v9, null, 0, v7, s0
	global_load_dwordx2 v[10:11], v[8:9], off
	global_load_dword v42, v3, s[14:15]
	s_waitcnt vmcnt(1)
	v_cmp_ne_u16_sdwa s0, v10, v3 src0_sel:BYTE_0 src1_sel:DWORD
	s_and_saveexec_b32 s1, s0
	s_cbranch_execz .LBB295_524
; %bb.517:                              ;   in Loop: Header=BB295_516 Depth=1
	v_cmp_ne_u16_sdwa s0, v10, v29 src0_sel:BYTE_0 src1_sel:DWORD
	v_mov_b32_e32 v43, 0x8000
	s_and_saveexec_b32 s17, s0
	s_cbranch_execz .LBB295_523
; %bb.518:                              ;   in Loop: Header=BB295_516 Depth=1
	v_and_b32_e32 v44, 0x7f, v10
	v_mov_b32_e32 v43, 0x7c01
	s_mov_b32 s18, exec_lo
	v_cmpx_ne_u32_e32 0x7f, v44
	s_cbranch_execz .LBB295_522
; %bb.519:                              ;   in Loop: Header=BB295_516 Depth=1
	v_and_b32_e32 v2, 7, v10
	v_lshrrev_b32_e32 v33, 3, v44
	s_mov_b32 s19, exec_lo
	v_cmpx_gt_u32_e32 8, v44
; %bb.520:                              ;   in Loop: Header=BB295_516 Depth=1
	v_ffbh_u32_e32 v2, v2
	v_min_u32_e32 v2, 32, v2
	v_subrev_nc_u32_e32 v33, 28, v2
	v_lshlrev_b64 v[43:44], v33, v[10:11]
	v_sub_nc_u32_e32 v33, 29, v2
	v_and_b32_e32 v2, 7, v43
; %bb.521:                              ;   in Loop: Header=BB295_516 Depth=1
	s_or_b32 exec_lo, exec_lo, s19
	v_lshlrev_b32_e32 v43, 8, v10
	v_lshl_add_u32 v33, v33, 10, 0x2000
	v_lshlrev_b32_e32 v2, 7, v2
	v_and_b32_e32 v43, 0x8000, v43
	v_and_b32_e32 v33, 0xfc00, v33
	v_or3_b32 v43, v43, v33, v2
.LBB295_522:                            ;   in Loop: Header=BB295_516 Depth=1
	s_or_b32 exec_lo, exec_lo, s18
.LBB295_523:                            ;   in Loop: Header=BB295_516 Depth=1
	s_or_b32 exec_lo, exec_lo, s17
.LBB295_524:                            ;   in Loop: Header=BB295_516 Depth=1
	s_or_b32 exec_lo, exec_lo, s1
	v_lshrrev_b16 v2, 8, v10
	v_mov_b32_e32 v33, 0
	v_mov_b32_e32 v44, 0
	s_mov_b32 s1, exec_lo
	v_cmpx_ne_u16_e32 0, v2
	s_cbranch_execz .LBB295_532
; %bb.525:                              ;   in Loop: Header=BB295_516 Depth=1
	v_bfrev_b32_e32 v44, 1
	s_mov_b32 s17, exec_lo
	v_cmpx_ne_u16_e32 0x80, v2
	s_cbranch_execz .LBB295_531
; %bb.526:                              ;   in Loop: Header=BB295_516 Depth=1
	v_and_b32_sdwa v46, v2, v30 dst_sel:DWORD dst_unused:UNUSED_PAD src0_sel:WORD_0 src1_sel:DWORD
	v_mov_b32_e32 v44, 0x7c010000
	s_mov_b32 s18, exec_lo
	v_cmpx_ne_u32_e32 0x7f, v46
	s_cbranch_execz .LBB295_530
; %bb.527:                              ;   in Loop: Header=BB295_516 Depth=1
	v_and_b32_sdwa v44, v2, v31 dst_sel:DWORD dst_unused:UNUSED_PAD src0_sel:WORD_0 src1_sel:DWORD
	v_lshrrev_b32_e32 v45, 3, v46
	s_mov_b32 s19, exec_lo
	v_cmpx_gt_u32_e32 8, v46
; %bb.528:                              ;   in Loop: Header=BB295_516 Depth=1
	v_ffbh_u32_e32 v44, v44
	v_min_u32_e32 v46, 32, v44
	v_subrev_nc_u32_e32 v44, 28, v46
	v_lshlrev_b64 v[44:45], v44, v[2:3]
	v_sub_nc_u32_e32 v45, 29, v46
	v_and_b32_e32 v44, 7, v44
; %bb.529:                              ;   in Loop: Header=BB295_516 Depth=1
	s_or_b32 exec_lo, exec_lo, s19
	v_lshlrev_b32_sdwa v2, v32, v2 dst_sel:DWORD dst_unused:UNUSED_PAD src0_sel:DWORD src1_sel:WORD_0
	v_lshl_add_u32 v45, v45, 10, 0x2000
	v_lshlrev_b32_e32 v44, 23, v44
	v_and_or_b32 v2, 0x8000, v2, v45
	v_lshl_or_b32 v44, v2, 16, v44
.LBB295_530:                            ;   in Loop: Header=BB295_516 Depth=1
	s_or_b32 exec_lo, exec_lo, s18
.LBB295_531:                            ;   in Loop: Header=BB295_516 Depth=1
	s_or_b32 exec_lo, exec_lo, s17
.LBB295_532:                            ;   in Loop: Header=BB295_516 Depth=1
	s_or_b32 exec_lo, exec_lo, s1
	v_lshrrev_b32_e32 v2, 16, v10
	v_cmp_ne_u16_sdwa s0, v2, v3 src0_sel:BYTE_0 src1_sel:DWORD
	s_and_saveexec_b32 s1, s0
	s_cbranch_execz .LBB295_540
; %bb.533:                              ;   in Loop: Header=BB295_516 Depth=1
	v_cmp_ne_u16_sdwa s0, v2, v29 src0_sel:BYTE_0 src1_sel:DWORD
	v_mov_b32_e32 v33, 0x8000
	s_and_saveexec_b32 s17, s0
	s_cbranch_execz .LBB295_539
; %bb.534:                              ;   in Loop: Header=BB295_516 Depth=1
	v_bfe_u32 v46, v10, 16, 7
	v_mov_b32_e32 v33, 0x7c01
	s_mov_b32 s18, exec_lo
	v_cmpx_ne_u32_e32 0x7f, v46
	s_cbranch_execz .LBB295_538
; %bb.535:                              ;   in Loop: Header=BB295_516 Depth=1
	v_and_b32_e32 v33, 7, v2
	v_lshrrev_b32_e32 v45, 3, v46
	s_mov_b32 s19, exec_lo
	v_cmpx_gt_u32_e32 8, v46
; %bb.536:                              ;   in Loop: Header=BB295_516 Depth=1
	v_ffbh_u32_e32 v33, v33
	v_min_u32_e32 v33, 32, v33
	v_subrev_nc_u32_e32 v45, 28, v33
	v_lshlrev_b64 v[46:47], v45, v[2:3]
	v_sub_nc_u32_e32 v45, 29, v33
	v_and_b32_e32 v33, 7, v46
; %bb.537:                              ;   in Loop: Header=BB295_516 Depth=1
	s_or_b32 exec_lo, exec_lo, s19
	v_lshlrev_b32_e32 v2, 8, v2
	v_lshl_add_u32 v45, v45, 10, 0x2000
	v_lshlrev_b32_e32 v33, 7, v33
	v_and_b32_e32 v2, 0x8000, v2
	v_and_b32_e32 v45, 0xfc00, v45
	v_or3_b32 v33, v2, v45, v33
.LBB295_538:                            ;   in Loop: Header=BB295_516 Depth=1
	s_or_b32 exec_lo, exec_lo, s18
.LBB295_539:                            ;   in Loop: Header=BB295_516 Depth=1
	s_or_b32 exec_lo, exec_lo, s17
.LBB295_540:                            ;   in Loop: Header=BB295_516 Depth=1
	s_or_b32 exec_lo, exec_lo, s1
	v_mov_b32_e32 v45, 0
	v_mov_b32_e32 v46, 0
	s_mov_b32 s1, exec_lo
	v_cmpx_lt_u32_e32 0xffffff, v10
	s_cbranch_execz .LBB295_548
; %bb.541:                              ;   in Loop: Header=BB295_516 Depth=1
	v_lshrrev_b32_e32 v2, 24, v10
	v_bfrev_b32_e32 v46, 1
	s_mov_b32 s17, exec_lo
	v_cmpx_ne_u32_e32 0x80, v2
	s_cbranch_execz .LBB295_547
; %bb.542:                              ;   in Loop: Header=BB295_516 Depth=1
	v_and_b32_e32 v48, 0x7f, v2
	v_mov_b32_e32 v46, 0x7c010000
	s_mov_b32 s18, exec_lo
	v_cmpx_ne_u32_e32 0x7f, v48
	s_cbranch_execz .LBB295_546
; %bb.543:                              ;   in Loop: Header=BB295_516 Depth=1
	v_and_b32_e32 v46, 7, v2
	v_lshrrev_b32_e32 v47, 3, v48
	s_mov_b32 s19, exec_lo
	v_cmpx_gt_u32_e32 8, v48
; %bb.544:                              ;   in Loop: Header=BB295_516 Depth=1
	v_ffbh_u32_e32 v46, v46
	v_min_u32_e32 v48, 32, v46
	v_subrev_nc_u32_e32 v46, 28, v48
	v_lshlrev_b64 v[46:47], v46, v[2:3]
	v_sub_nc_u32_e32 v47, 29, v48
	v_and_b32_e32 v46, 7, v46
; %bb.545:                              ;   in Loop: Header=BB295_516 Depth=1
	s_or_b32 exec_lo, exec_lo, s19
	v_lshlrev_b32_e32 v2, 8, v2
	v_lshl_add_u32 v47, v47, 10, 0x2000
	v_lshlrev_b32_e32 v46, 23, v46
	v_and_or_b32 v2, 0x8000, v2, v47
	v_lshl_or_b32 v46, v2, 16, v46
.LBB295_546:                            ;   in Loop: Header=BB295_516 Depth=1
	s_or_b32 exec_lo, exec_lo, s18
.LBB295_547:                            ;   in Loop: Header=BB295_516 Depth=1
	s_or_b32 exec_lo, exec_lo, s17
.LBB295_548:                            ;   in Loop: Header=BB295_516 Depth=1
	s_or_b32 exec_lo, exec_lo, s1
	v_mov_b32_e32 v2, v11
	v_cmp_ne_u16_sdwa s0, v11, v3 src0_sel:BYTE_0 src1_sel:DWORD
	s_and_saveexec_b32 s1, s0
	s_cbranch_execz .LBB295_556
; %bb.549:                              ;   in Loop: Header=BB295_516 Depth=1
	v_cmp_ne_u16_sdwa s0, v11, v29 src0_sel:BYTE_0 src1_sel:DWORD
	v_mov_b32_e32 v45, 0x8000
	s_and_saveexec_b32 s17, s0
	s_cbranch_execz .LBB295_555
; %bb.550:                              ;   in Loop: Header=BB295_516 Depth=1
	v_and_b32_e32 v48, 0x7f, v11
	v_mov_b32_e32 v45, 0x7c01
	s_mov_b32 s18, exec_lo
	v_cmpx_ne_u32_e32 0x7f, v48
	s_cbranch_execz .LBB295_554
; %bb.551:                              ;   in Loop: Header=BB295_516 Depth=1
	v_and_b32_e32 v45, 7, v11
	v_lshrrev_b32_e32 v47, 3, v48
	s_mov_b32 s19, exec_lo
	v_cmpx_gt_u32_e32 8, v48
; %bb.552:                              ;   in Loop: Header=BB295_516 Depth=1
	v_ffbh_u32_e32 v45, v45
	v_min_u32_e32 v45, 32, v45
	v_subrev_nc_u32_e32 v47, 28, v45
	v_lshlrev_b64 v[48:49], v47, v[2:3]
	v_sub_nc_u32_e32 v47, 29, v45
	v_and_b32_e32 v45, 7, v48
; %bb.553:                              ;   in Loop: Header=BB295_516 Depth=1
	s_or_b32 exec_lo, exec_lo, s19
	v_lshlrev_b32_e32 v48, 8, v11
	v_lshl_add_u32 v47, v47, 10, 0x2000
	v_lshlrev_b32_e32 v45, 7, v45
	v_and_b32_e32 v48, 0x8000, v48
	v_and_b32_e32 v47, 0xfc00, v47
	v_or3_b32 v45, v48, v47, v45
.LBB295_554:                            ;   in Loop: Header=BB295_516 Depth=1
	s_or_b32 exec_lo, exec_lo, s18
.LBB295_555:                            ;   in Loop: Header=BB295_516 Depth=1
	s_or_b32 exec_lo, exec_lo, s17
.LBB295_556:                            ;   in Loop: Header=BB295_516 Depth=1
	s_or_b32 exec_lo, exec_lo, s1
	v_lshrrev_b16 v2, 8, v2
	v_mov_b32_e32 v48, 0
	v_mov_b32_e32 v47, 0
	s_mov_b32 s1, exec_lo
	v_cmpx_ne_u16_e32 0, v2
	s_cbranch_execz .LBB295_564
; %bb.557:                              ;   in Loop: Header=BB295_516 Depth=1
	v_bfrev_b32_e32 v47, 1
	s_mov_b32 s17, exec_lo
	v_cmpx_ne_u16_e32 0x80, v2
	s_cbranch_execz .LBB295_563
; %bb.558:                              ;   in Loop: Header=BB295_516 Depth=1
	v_and_b32_sdwa v50, v2, v30 dst_sel:DWORD dst_unused:UNUSED_PAD src0_sel:WORD_0 src1_sel:DWORD
	v_mov_b32_e32 v47, 0x7c010000
	s_mov_b32 s18, exec_lo
	v_cmpx_ne_u32_e32 0x7f, v50
	s_cbranch_execz .LBB295_562
; %bb.559:                              ;   in Loop: Header=BB295_516 Depth=1
	v_and_b32_sdwa v47, v2, v31 dst_sel:DWORD dst_unused:UNUSED_PAD src0_sel:WORD_0 src1_sel:DWORD
	v_lshrrev_b32_e32 v49, 3, v50
	s_mov_b32 s19, exec_lo
	v_cmpx_gt_u32_e32 8, v50
; %bb.560:                              ;   in Loop: Header=BB295_516 Depth=1
	v_ffbh_u32_e32 v47, v47
	v_min_u32_e32 v47, 32, v47
	v_subrev_nc_u32_e32 v49, 28, v47
	v_lshlrev_b64 v[50:51], v49, v[2:3]
	v_sub_nc_u32_e32 v49, 29, v47
	v_and_b32_e32 v47, 7, v50
; %bb.561:                              ;   in Loop: Header=BB295_516 Depth=1
	s_or_b32 exec_lo, exec_lo, s19
	v_lshlrev_b32_sdwa v2, v32, v2 dst_sel:DWORD dst_unused:UNUSED_PAD src0_sel:DWORD src1_sel:WORD_0
	v_lshl_add_u32 v49, v49, 10, 0x2000
	v_lshlrev_b32_e32 v47, 23, v47
	v_and_or_b32 v2, 0x8000, v2, v49
	v_lshl_or_b32 v47, v2, 16, v47
.LBB295_562:                            ;   in Loop: Header=BB295_516 Depth=1
	s_or_b32 exec_lo, exec_lo, s18
.LBB295_563:                            ;   in Loop: Header=BB295_516 Depth=1
	s_or_b32 exec_lo, exec_lo, s17
.LBB295_564:                            ;   in Loop: Header=BB295_516 Depth=1
	s_or_b32 exec_lo, exec_lo, s1
	v_lshrrev_b32_e32 v2, 16, v11
	v_cmp_ne_u16_sdwa s0, v2, v3 src0_sel:BYTE_0 src1_sel:DWORD
	s_and_saveexec_b32 s1, s0
	s_cbranch_execz .LBB295_572
; %bb.565:                              ;   in Loop: Header=BB295_516 Depth=1
	v_cmp_ne_u16_sdwa s0, v2, v29 src0_sel:BYTE_0 src1_sel:DWORD
	v_mov_b32_e32 v48, 0x8000
	s_and_saveexec_b32 s17, s0
	s_cbranch_execz .LBB295_571
; %bb.566:                              ;   in Loop: Header=BB295_516 Depth=1
	v_bfe_u32 v50, v11, 16, 7
	v_mov_b32_e32 v48, 0x7c01
	s_mov_b32 s18, exec_lo
	v_cmpx_ne_u32_e32 0x7f, v50
	s_cbranch_execz .LBB295_570
; %bb.567:                              ;   in Loop: Header=BB295_516 Depth=1
	v_and_b32_e32 v48, 7, v2
	v_lshrrev_b32_e32 v49, 3, v50
	s_mov_b32 s19, exec_lo
	v_cmpx_gt_u32_e32 8, v50
; %bb.568:                              ;   in Loop: Header=BB295_516 Depth=1
	v_ffbh_u32_e32 v48, v48
	v_min_u32_e32 v50, 32, v48
	v_subrev_nc_u32_e32 v48, 28, v50
	v_lshlrev_b64 v[48:49], v48, v[2:3]
	v_sub_nc_u32_e32 v49, 29, v50
	v_and_b32_e32 v48, 7, v48
; %bb.569:                              ;   in Loop: Header=BB295_516 Depth=1
	s_or_b32 exec_lo, exec_lo, s19
	v_lshlrev_b32_e32 v2, 8, v2
	v_lshl_add_u32 v49, v49, 10, 0x2000
	v_lshlrev_b32_e32 v48, 7, v48
	v_and_b32_e32 v2, 0x8000, v2
	v_and_b32_e32 v49, 0xfc00, v49
	v_or3_b32 v48, v2, v49, v48
.LBB295_570:                            ;   in Loop: Header=BB295_516 Depth=1
	s_or_b32 exec_lo, exec_lo, s18
.LBB295_571:                            ;   in Loop: Header=BB295_516 Depth=1
	s_or_b32 exec_lo, exec_lo, s17
.LBB295_572:                            ;   in Loop: Header=BB295_516 Depth=1
	s_or_b32 exec_lo, exec_lo, s1
	v_cmp_lt_u64_e64 s0, s[6:7], v[10:11]
	v_mov_b32_e32 v10, 0
	s_and_saveexec_b32 s1, s0
	s_cbranch_execz .LBB295_580
; %bb.573:                              ;   in Loop: Header=BB295_516 Depth=1
	v_lshrrev_b32_e32 v2, 24, v11
	v_bfrev_b32_e32 v10, 1
	s_mov_b32 s17, exec_lo
	v_cmpx_ne_u32_e32 0x80, v2
	s_cbranch_execz .LBB295_579
; %bb.574:                              ;   in Loop: Header=BB295_516 Depth=1
	v_and_b32_e32 v49, 0x7f, v2
	v_mov_b32_e32 v10, 0x7c010000
	s_mov_b32 s18, exec_lo
	v_cmpx_ne_u32_e32 0x7f, v49
	s_cbranch_execz .LBB295_578
; %bb.575:                              ;   in Loop: Header=BB295_516 Depth=1
	v_and_b32_e32 v10, 7, v2
	v_lshrrev_b32_e32 v11, 3, v49
	s_mov_b32 s19, exec_lo
	v_cmpx_gt_u32_e32 8, v49
; %bb.576:                              ;   in Loop: Header=BB295_516 Depth=1
	v_ffbh_u32_e32 v10, v10
	v_min_u32_e32 v49, 32, v10
	v_subrev_nc_u32_e32 v10, 28, v49
	v_lshlrev_b64 v[10:11], v10, v[2:3]
	v_sub_nc_u32_e32 v11, 29, v49
	v_and_b32_e32 v10, 7, v10
; %bb.577:                              ;   in Loop: Header=BB295_516 Depth=1
	s_or_b32 exec_lo, exec_lo, s19
	v_lshlrev_b32_e32 v2, 8, v2
	v_lshl_add_u32 v11, v11, 10, 0x2000
	v_lshlrev_b32_e32 v10, 23, v10
	v_and_or_b32 v2, 0x8000, v2, v11
	v_lshl_or_b32 v10, v2, 16, v10
.LBB295_578:                            ;   in Loop: Header=BB295_516 Depth=1
	s_or_b32 exec_lo, exec_lo, s18
.LBB295_579:                            ;   in Loop: Header=BB295_516 Depth=1
	s_or_b32 exec_lo, exec_lo, s17
.LBB295_580:                            ;   in Loop: Header=BB295_516 Depth=1
	s_or_b32 exec_lo, exec_lo, s1
	v_or_b32_e32 v2, v46, v33
	s_waitcnt vmcnt(0)
	v_fma_mixlo_f16 v11, v42, v46, 0 op_sel:[0,1,0] op_sel_hi:[0,1,0]
	v_or_b32_e32 v43, v44, v43
	v_fma_mixlo_f16 v44, v42, v44, 0 op_sel:[0,1,0] op_sel_hi:[0,1,0]
	v_or_b32_e32 v49, v47, v45
	v_fma_mixlo_f16 v46, v42, v2, 0 op_sel_hi:[0,1,0]
	v_or_b32_e32 v48, v10, v48
	v_lshlrev_b32_e32 v2, 16, v11
	v_lshlrev_b32_e32 v45, 16, v44
	v_fma_mixlo_f16 v11, v42, v43, 0 op_sel_hi:[0,1,0]
	v_and_b32_e32 v44, 0xffff, v46
	v_fma_mixlo_f16 v43, v42, v47, 0 op_sel:[0,1,0] op_sel_hi:[0,1,0]
	v_fma_mixlo_f16 v46, v42, v49, 0 op_sel_hi:[0,1,0]
	v_fma_mixlo_f16 v10, v42, v10, 0 op_sel:[0,1,0] op_sel_hi:[0,1,0]
	v_fma_mixlo_f16 v42, v42, v48, 0 op_sel_hi:[0,1,0]
	v_and_b32_e32 v50, 0xffff, v11
	v_lshlrev_b32_e32 v11, 16, v43
	v_and_b32_e32 v43, 0xffff, v46
	v_lshlrev_b32_e32 v10, 16, v10
	v_and_b32_e32 v42, 0xffff, v42
	v_add_nc_u32_e32 v33, -7, v27
	v_cmp_eq_u32_e64 s0, s12, v1
	v_or_b32_e32 v46, v2, v44
	v_or_b32_e32 v47, v45, v50
	;; [unrolled: 1-line block ×4, first 2 shown]
	s_and_saveexec_b32 s17, s0
	s_cbranch_execz .LBB295_582
; %bb.581:                              ;   in Loop: Header=BB295_516 Depth=1
	v_add_nc_u32_e32 v46, -6, v27
	v_cmp_gt_i32_e64 s1, s27, v33
	v_add_nc_u32_e32 v47, -5, v27
	v_add_nc_u32_e32 v49, -2, v27
	v_cndmask_b32_e64 v48, 0, v50, s1
	v_cmp_gt_i32_e64 s1, s27, v46
	v_add_nc_u32_e32 v46, -4, v27
	v_cndmask_b32_e64 v45, 0, v45, s1
	v_cmp_gt_i32_e64 s1, s27, v47
	;; [unrolled: 3-line block ×4, first 2 shown]
	v_or_b32_e32 v47, v45, v48
	v_cndmask_b32_e64 v43, 0, v43, s1
	v_cmp_gt_i32_e64 s1, s27, v49
	v_cndmask_b32_e64 v11, 0, v11, s1
	v_cmp_gt_i32_e64 s1, s27, v46
	v_or_b32_e32 v46, v2, v44
	v_or_b32_e32 v48, v11, v43
	v_cndmask_b32_e64 v42, 0, v42, s1
	v_cmp_gt_i32_e64 s1, s27, v27
	v_cndmask_b32_e64 v10, 0, v10, s1
	v_or_b32_e32 v49, v10, v42
.LBB295_582:                            ;   in Loop: Header=BB295_516 Depth=1
	s_or_b32 exec_lo, exec_lo, s17
	v_and_b32_e32 v2, 0xffff, v37
	v_and_b32_e32 v10, 0xffff, v38
	;; [unrolled: 1-line block ×4, first 2 shown]
	v_mov_b32_e32 v42, 0
	v_lshl_or_b32 v39, v34, 16, v2
	;;#ASMSTART
	v_pk_mul_f16 v2, v39, v47;

	;;#ASMEND
	v_lshl_or_b32 v38, v35, 16, v10
	v_lshl_or_b32 v37, v36, 16, v11
	;; [unrolled: 1-line block ×3, first 2 shown]
	;;#ASMSTART
	v_pk_mul_f16 v10, v38, v46;

	;;#ASMEND
	;;#ASMSTART
	v_pk_mul_f16 v11, v37, v48;

	;;#ASMEND
	;; [unrolled: 4-line block ×3, first 2 shown]
	;;#ASMSTART
	v_pk_add_f16 v2, v2, v10;

	;;#ASMEND
	;;#ASMSTART
	v_pk_add_f16 v2, v2, v11;

	;;#ASMEND
	;; [unrolled: 4-line block ×3, first 2 shown]
	v_and_b32_e32 v10, 0xffff, v2
	v_lshrrev_b32_e32 v2, 16, v2
	;;#ASMSTART
	v_cvt_f32_f16 v34, v10;
	;;#ASMEND
	;;#ASMSTART
	v_cvt_f32_f16 v35, v2;
	;;#ASMEND
	global_load_dwordx2 v[10:11], v[8:9], off offset:256
	v_mov_b32_e32 v41, 0
	global_load_dword v40, v41, s[14:15]
	s_waitcnt vmcnt(1)
	v_cmp_ne_u16_sdwa s1, v10, v3 src0_sel:BYTE_0 src1_sel:DWORD
	s_and_saveexec_b32 s17, s1
	s_cbranch_execz .LBB295_590
; %bb.583:                              ;   in Loop: Header=BB295_516 Depth=1
	v_cmp_ne_u16_sdwa s1, v10, v29 src0_sel:BYTE_0 src1_sel:DWORD
	v_mov_b32_e32 v42, 0x8000
	s_and_saveexec_b32 s18, s1
	s_cbranch_execz .LBB295_589
; %bb.584:                              ;   in Loop: Header=BB295_516 Depth=1
	v_and_b32_e32 v43, 0x7f, v10
	v_mov_b32_e32 v42, 0x7c01
	s_mov_b32 s19, exec_lo
	v_cmpx_ne_u32_e32 0x7f, v43
	s_cbranch_execz .LBB295_588
; %bb.585:                              ;   in Loop: Header=BB295_516 Depth=1
	v_and_b32_e32 v2, 7, v10
	v_lshrrev_b32_e32 v42, 3, v43
	s_mov_b32 s20, exec_lo
	v_cmpx_gt_u32_e32 8, v43
; %bb.586:                              ;   in Loop: Header=BB295_516 Depth=1
	v_ffbh_u32_e32 v2, v2
	v_min_u32_e32 v2, 32, v2
	v_subrev_nc_u32_e32 v42, 28, v2
	v_lshlrev_b64 v[43:44], v42, v[10:11]
	v_sub_nc_u32_e32 v42, 29, v2
	v_and_b32_e32 v2, 7, v43
; %bb.587:                              ;   in Loop: Header=BB295_516 Depth=1
	s_or_b32 exec_lo, exec_lo, s20
	v_lshlrev_b32_e32 v43, 8, v10
	v_lshl_add_u32 v42, v42, 10, 0x2000
	v_lshlrev_b32_e32 v2, 7, v2
	v_and_b32_e32 v43, 0x8000, v43
	v_and_b32_e32 v42, 0xfc00, v42
	v_or3_b32 v42, v43, v42, v2
.LBB295_588:                            ;   in Loop: Header=BB295_516 Depth=1
	s_or_b32 exec_lo, exec_lo, s19
.LBB295_589:                            ;   in Loop: Header=BB295_516 Depth=1
	s_or_b32 exec_lo, exec_lo, s18
.LBB295_590:                            ;   in Loop: Header=BB295_516 Depth=1
	s_or_b32 exec_lo, exec_lo, s17
	v_lshrrev_b16 v2, 8, v10
	s_mov_b32 s17, exec_lo
	v_cmpx_ne_u16_e32 0, v2
	s_cbranch_execz .LBB295_598
; %bb.591:                              ;   in Loop: Header=BB295_516 Depth=1
	v_bfrev_b32_e32 v41, 1
	s_mov_b32 s18, exec_lo
	v_cmpx_ne_u16_e32 0x80, v2
	s_cbranch_execz .LBB295_597
; %bb.592:                              ;   in Loop: Header=BB295_516 Depth=1
	v_and_b32_sdwa v44, v2, v30 dst_sel:DWORD dst_unused:UNUSED_PAD src0_sel:WORD_0 src1_sel:DWORD
	v_mov_b32_e32 v41, 0x7c010000
	s_mov_b32 s19, exec_lo
	v_cmpx_ne_u32_e32 0x7f, v44
	s_cbranch_execz .LBB295_596
; %bb.593:                              ;   in Loop: Header=BB295_516 Depth=1
	v_and_b32_sdwa v41, v2, v31 dst_sel:DWORD dst_unused:UNUSED_PAD src0_sel:WORD_0 src1_sel:DWORD
	v_lshrrev_b32_e32 v43, 3, v44
	s_mov_b32 s20, exec_lo
	v_cmpx_gt_u32_e32 8, v44
; %bb.594:                              ;   in Loop: Header=BB295_516 Depth=1
	v_ffbh_u32_e32 v41, v41
	v_min_u32_e32 v41, 32, v41
	v_subrev_nc_u32_e32 v43, 28, v41
	v_lshlrev_b64 v[44:45], v43, v[2:3]
	v_sub_nc_u32_e32 v43, 29, v41
	v_and_b32_e32 v41, 7, v44
; %bb.595:                              ;   in Loop: Header=BB295_516 Depth=1
	s_or_b32 exec_lo, exec_lo, s20
	v_lshlrev_b32_sdwa v2, v32, v2 dst_sel:DWORD dst_unused:UNUSED_PAD src0_sel:DWORD src1_sel:WORD_0
	v_lshl_add_u32 v43, v43, 10, 0x2000
	v_lshlrev_b32_e32 v41, 23, v41
	v_and_or_b32 v2, 0x8000, v2, v43
	v_lshl_or_b32 v41, v2, 16, v41
.LBB295_596:                            ;   in Loop: Header=BB295_516 Depth=1
	s_or_b32 exec_lo, exec_lo, s19
.LBB295_597:                            ;   in Loop: Header=BB295_516 Depth=1
	s_or_b32 exec_lo, exec_lo, s18
.LBB295_598:                            ;   in Loop: Header=BB295_516 Depth=1
	s_or_b32 exec_lo, exec_lo, s17
	v_lshrrev_b32_e32 v2, 16, v10
	v_mov_b32_e32 v43, 0
	v_mov_b32_e32 v44, 0
	v_cmp_ne_u16_sdwa s1, v2, v3 src0_sel:BYTE_0 src1_sel:DWORD
	s_and_saveexec_b32 s17, s1
	s_cbranch_execz .LBB295_606
; %bb.599:                              ;   in Loop: Header=BB295_516 Depth=1
	v_cmp_ne_u16_sdwa s1, v2, v29 src0_sel:BYTE_0 src1_sel:DWORD
	v_mov_b32_e32 v44, 0x8000
	s_and_saveexec_b32 s18, s1
	s_cbranch_execz .LBB295_605
; %bb.600:                              ;   in Loop: Header=BB295_516 Depth=1
	v_bfe_u32 v46, v10, 16, 7
	v_mov_b32_e32 v44, 0x7c01
	s_mov_b32 s19, exec_lo
	v_cmpx_ne_u32_e32 0x7f, v46
	s_cbranch_execz .LBB295_604
; %bb.601:                              ;   in Loop: Header=BB295_516 Depth=1
	v_and_b32_e32 v44, 7, v2
	v_lshrrev_b32_e32 v45, 3, v46
	s_mov_b32 s20, exec_lo
	v_cmpx_gt_u32_e32 8, v46
; %bb.602:                              ;   in Loop: Header=BB295_516 Depth=1
	v_ffbh_u32_e32 v44, v44
	v_min_u32_e32 v46, 32, v44
	v_subrev_nc_u32_e32 v44, 28, v46
	v_lshlrev_b64 v[44:45], v44, v[2:3]
	v_sub_nc_u32_e32 v45, 29, v46
	v_and_b32_e32 v44, 7, v44
; %bb.603:                              ;   in Loop: Header=BB295_516 Depth=1
	s_or_b32 exec_lo, exec_lo, s20
	v_lshlrev_b32_e32 v2, 8, v2
	v_lshl_add_u32 v45, v45, 10, 0x2000
	v_lshlrev_b32_e32 v44, 7, v44
	v_and_b32_e32 v2, 0x8000, v2
	v_and_b32_e32 v45, 0xfc00, v45
	v_or3_b32 v44, v2, v45, v44
.LBB295_604:                            ;   in Loop: Header=BB295_516 Depth=1
	s_or_b32 exec_lo, exec_lo, s19
.LBB295_605:                            ;   in Loop: Header=BB295_516 Depth=1
	s_or_b32 exec_lo, exec_lo, s18
.LBB295_606:                            ;   in Loop: Header=BB295_516 Depth=1
	s_or_b32 exec_lo, exec_lo, s17
	s_mov_b32 s17, exec_lo
	v_cmpx_lt_u32_e32 0xffffff, v10
	s_cbranch_execz .LBB295_614
; %bb.607:                              ;   in Loop: Header=BB295_516 Depth=1
	v_lshrrev_b32_e32 v2, 24, v10
	v_bfrev_b32_e32 v43, 1
	s_mov_b32 s18, exec_lo
	v_cmpx_ne_u32_e32 0x80, v2
	s_cbranch_execz .LBB295_613
; %bb.608:                              ;   in Loop: Header=BB295_516 Depth=1
	v_and_b32_e32 v46, 0x7f, v2
	v_mov_b32_e32 v43, 0x7c010000
	s_mov_b32 s19, exec_lo
	v_cmpx_ne_u32_e32 0x7f, v46
	s_cbranch_execz .LBB295_612
; %bb.609:                              ;   in Loop: Header=BB295_516 Depth=1
	v_and_b32_e32 v43, 7, v2
	v_lshrrev_b32_e32 v45, 3, v46
	s_mov_b32 s20, exec_lo
	v_cmpx_gt_u32_e32 8, v46
; %bb.610:                              ;   in Loop: Header=BB295_516 Depth=1
	v_ffbh_u32_e32 v43, v43
	v_min_u32_e32 v43, 32, v43
	v_subrev_nc_u32_e32 v45, 28, v43
	v_lshlrev_b64 v[46:47], v45, v[2:3]
	v_sub_nc_u32_e32 v45, 29, v43
	v_and_b32_e32 v43, 7, v46
; %bb.611:                              ;   in Loop: Header=BB295_516 Depth=1
	s_or_b32 exec_lo, exec_lo, s20
	v_lshlrev_b32_e32 v2, 8, v2
	v_lshl_add_u32 v45, v45, 10, 0x2000
	v_lshlrev_b32_e32 v43, 23, v43
	v_and_or_b32 v2, 0x8000, v2, v45
	v_lshl_or_b32 v43, v2, 16, v43
.LBB295_612:                            ;   in Loop: Header=BB295_516 Depth=1
	s_or_b32 exec_lo, exec_lo, s19
.LBB295_613:                            ;   in Loop: Header=BB295_516 Depth=1
	s_or_b32 exec_lo, exec_lo, s18
.LBB295_614:                            ;   in Loop: Header=BB295_516 Depth=1
	s_or_b32 exec_lo, exec_lo, s17
	v_mov_b32_e32 v2, v11
	v_cmp_ne_u16_sdwa s1, v11, v3 src0_sel:BYTE_0 src1_sel:DWORD
	v_mov_b32_e32 v45, 0
	v_mov_b32_e32 v46, 0
	s_and_saveexec_b32 s17, s1
	s_cbranch_execz .LBB295_622
; %bb.615:                              ;   in Loop: Header=BB295_516 Depth=1
	v_cmp_ne_u16_sdwa s1, v11, v29 src0_sel:BYTE_0 src1_sel:DWORD
	v_mov_b32_e32 v46, 0x8000
	s_and_saveexec_b32 s18, s1
	s_cbranch_execz .LBB295_621
; %bb.616:                              ;   in Loop: Header=BB295_516 Depth=1
	v_and_b32_e32 v48, 0x7f, v11
	v_mov_b32_e32 v46, 0x7c01
	s_mov_b32 s19, exec_lo
	v_cmpx_ne_u32_e32 0x7f, v48
	s_cbranch_execz .LBB295_620
; %bb.617:                              ;   in Loop: Header=BB295_516 Depth=1
	v_and_b32_e32 v46, 7, v11
	v_lshrrev_b32_e32 v47, 3, v48
	s_mov_b32 s20, exec_lo
	v_cmpx_gt_u32_e32 8, v48
; %bb.618:                              ;   in Loop: Header=BB295_516 Depth=1
	v_ffbh_u32_e32 v46, v46
	v_min_u32_e32 v48, 32, v46
	v_subrev_nc_u32_e32 v46, 28, v48
	v_lshlrev_b64 v[46:47], v46, v[2:3]
	v_sub_nc_u32_e32 v47, 29, v48
	v_and_b32_e32 v46, 7, v46
; %bb.619:                              ;   in Loop: Header=BB295_516 Depth=1
	s_or_b32 exec_lo, exec_lo, s20
	v_lshlrev_b32_e32 v48, 8, v11
	v_lshl_add_u32 v47, v47, 10, 0x2000
	v_lshlrev_b32_e32 v46, 7, v46
	v_and_b32_e32 v48, 0x8000, v48
	v_and_b32_e32 v47, 0xfc00, v47
	v_or3_b32 v46, v48, v47, v46
.LBB295_620:                            ;   in Loop: Header=BB295_516 Depth=1
	s_or_b32 exec_lo, exec_lo, s19
.LBB295_621:                            ;   in Loop: Header=BB295_516 Depth=1
	s_or_b32 exec_lo, exec_lo, s18
.LBB295_622:                            ;   in Loop: Header=BB295_516 Depth=1
	s_or_b32 exec_lo, exec_lo, s17
	v_lshrrev_b16 v2, 8, v2
	v_mov_b32_e32 v47, 0
	s_mov_b32 s17, exec_lo
	v_cmpx_ne_u16_e32 0, v2
	s_cbranch_execz .LBB295_630
; %bb.623:                              ;   in Loop: Header=BB295_516 Depth=1
	v_bfrev_b32_e32 v47, 1
	s_mov_b32 s18, exec_lo
	v_cmpx_ne_u16_e32 0x80, v2
	s_cbranch_execz .LBB295_629
; %bb.624:                              ;   in Loop: Header=BB295_516 Depth=1
	v_and_b32_sdwa v49, v2, v30 dst_sel:DWORD dst_unused:UNUSED_PAD src0_sel:WORD_0 src1_sel:DWORD
	v_mov_b32_e32 v47, 0x7c010000
	s_mov_b32 s19, exec_lo
	v_cmpx_ne_u32_e32 0x7f, v49
	s_cbranch_execz .LBB295_628
; %bb.625:                              ;   in Loop: Header=BB295_516 Depth=1
	v_and_b32_sdwa v47, v2, v31 dst_sel:DWORD dst_unused:UNUSED_PAD src0_sel:WORD_0 src1_sel:DWORD
	v_lshrrev_b32_e32 v48, 3, v49
	s_mov_b32 s20, exec_lo
	v_cmpx_gt_u32_e32 8, v49
; %bb.626:                              ;   in Loop: Header=BB295_516 Depth=1
	v_ffbh_u32_e32 v47, v47
	v_min_u32_e32 v49, 32, v47
	v_subrev_nc_u32_e32 v47, 28, v49
	v_lshlrev_b64 v[47:48], v47, v[2:3]
	v_sub_nc_u32_e32 v48, 29, v49
	v_and_b32_e32 v47, 7, v47
; %bb.627:                              ;   in Loop: Header=BB295_516 Depth=1
	s_or_b32 exec_lo, exec_lo, s20
	v_lshlrev_b32_sdwa v2, v32, v2 dst_sel:DWORD dst_unused:UNUSED_PAD src0_sel:DWORD src1_sel:WORD_0
	v_lshl_add_u32 v48, v48, 10, 0x2000
	v_lshlrev_b32_e32 v47, 23, v47
	v_and_or_b32 v2, 0x8000, v2, v48
	v_lshl_or_b32 v47, v2, 16, v47
.LBB295_628:                            ;   in Loop: Header=BB295_516 Depth=1
	s_or_b32 exec_lo, exec_lo, s19
.LBB295_629:                            ;   in Loop: Header=BB295_516 Depth=1
	s_or_b32 exec_lo, exec_lo, s18
.LBB295_630:                            ;   in Loop: Header=BB295_516 Depth=1
	s_or_b32 exec_lo, exec_lo, s17
	v_lshrrev_b32_e32 v2, 16, v11
	v_cmp_ne_u16_sdwa s1, v2, v3 src0_sel:BYTE_0 src1_sel:DWORD
	s_and_saveexec_b32 s17, s1
	s_cbranch_execz .LBB295_638
; %bb.631:                              ;   in Loop: Header=BB295_516 Depth=1
	v_cmp_ne_u16_sdwa s1, v2, v29 src0_sel:BYTE_0 src1_sel:DWORD
	v_mov_b32_e32 v45, 0x8000
	s_and_saveexec_b32 s18, s1
	s_cbranch_execz .LBB295_637
; %bb.632:                              ;   in Loop: Header=BB295_516 Depth=1
	v_bfe_u32 v49, v11, 16, 7
	v_mov_b32_e32 v45, 0x7c01
	s_mov_b32 s19, exec_lo
	v_cmpx_ne_u32_e32 0x7f, v49
	s_cbranch_execz .LBB295_636
; %bb.633:                              ;   in Loop: Header=BB295_516 Depth=1
	v_and_b32_e32 v45, 7, v2
	v_lshrrev_b32_e32 v48, 3, v49
	s_mov_b32 s20, exec_lo
	v_cmpx_gt_u32_e32 8, v49
; %bb.634:                              ;   in Loop: Header=BB295_516 Depth=1
	v_ffbh_u32_e32 v45, v45
	v_min_u32_e32 v45, 32, v45
	v_subrev_nc_u32_e32 v48, 28, v45
	v_lshlrev_b64 v[49:50], v48, v[2:3]
	v_sub_nc_u32_e32 v48, 29, v45
	v_and_b32_e32 v45, 7, v49
; %bb.635:                              ;   in Loop: Header=BB295_516 Depth=1
	s_or_b32 exec_lo, exec_lo, s20
	v_lshlrev_b32_e32 v2, 8, v2
	v_lshl_add_u32 v48, v48, 10, 0x2000
	v_lshlrev_b32_e32 v45, 7, v45
	v_and_b32_e32 v2, 0x8000, v2
	v_and_b32_e32 v48, 0xfc00, v48
	v_or3_b32 v45, v2, v48, v45
.LBB295_636:                            ;   in Loop: Header=BB295_516 Depth=1
	s_or_b32 exec_lo, exec_lo, s19
.LBB295_637:                            ;   in Loop: Header=BB295_516 Depth=1
	s_or_b32 exec_lo, exec_lo, s18
.LBB295_638:                            ;   in Loop: Header=BB295_516 Depth=1
	s_or_b32 exec_lo, exec_lo, s17
	v_cmp_lt_u64_e64 s1, s[6:7], v[10:11]
	v_mov_b32_e32 v10, 0
	s_and_saveexec_b32 s17, s1
	s_cbranch_execz .LBB295_646
; %bb.639:                              ;   in Loop: Header=BB295_516 Depth=1
	v_lshrrev_b32_e32 v2, 24, v11
	v_bfrev_b32_e32 v10, 1
	s_mov_b32 s18, exec_lo
	v_cmpx_ne_u32_e32 0x80, v2
	s_cbranch_execz .LBB295_645
; %bb.640:                              ;   in Loop: Header=BB295_516 Depth=1
	v_and_b32_e32 v48, 0x7f, v2
	v_mov_b32_e32 v10, 0x7c010000
	s_mov_b32 s19, exec_lo
	v_cmpx_ne_u32_e32 0x7f, v48
	s_cbranch_execz .LBB295_644
; %bb.641:                              ;   in Loop: Header=BB295_516 Depth=1
	v_and_b32_e32 v10, 7, v2
	v_lshrrev_b32_e32 v11, 3, v48
	s_mov_b32 s20, exec_lo
	v_cmpx_gt_u32_e32 8, v48
; %bb.642:                              ;   in Loop: Header=BB295_516 Depth=1
	v_ffbh_u32_e32 v10, v10
	v_min_u32_e32 v48, 32, v10
	v_subrev_nc_u32_e32 v10, 28, v48
	v_lshlrev_b64 v[10:11], v10, v[2:3]
	v_sub_nc_u32_e32 v11, 29, v48
	v_and_b32_e32 v10, 7, v10
; %bb.643:                              ;   in Loop: Header=BB295_516 Depth=1
	s_or_b32 exec_lo, exec_lo, s20
	v_lshlrev_b32_e32 v2, 8, v2
	v_lshl_add_u32 v11, v11, 10, 0x2000
	v_lshlrev_b32_e32 v10, 23, v10
	v_and_or_b32 v2, 0x8000, v2, v11
	v_lshl_or_b32 v10, v2, 16, v10
.LBB295_644:                            ;   in Loop: Header=BB295_516 Depth=1
	s_or_b32 exec_lo, exec_lo, s19
.LBB295_645:                            ;   in Loop: Header=BB295_516 Depth=1
	s_or_b32 exec_lo, exec_lo, s18
.LBB295_646:                            ;   in Loop: Header=BB295_516 Depth=1
	s_or_b32 exec_lo, exec_lo, s17
	v_or_b32_e32 v2, v43, v44
	s_waitcnt vmcnt(0)
	v_fma_mixlo_f16 v11, v40, v43, 0 op_sel:[0,1,0] op_sel_hi:[0,1,0]
	v_or_b32_e32 v42, v41, v42
	v_fma_mixlo_f16 v41, v40, v41, 0 op_sel:[0,1,0] op_sel_hi:[0,1,0]
	v_or_b32_e32 v44, v47, v46
	v_or_b32_e32 v45, v10, v45
	v_fma_mixlo_f16 v46, v40, v2, 0 op_sel_hi:[0,1,0]
	v_lshlrev_b32_e32 v2, 16, v11
	v_lshlrev_b32_e32 v43, 16, v41
	v_fma_mixlo_f16 v11, v40, v42, 0 op_sel_hi:[0,1,0]
	v_fma_mixlo_f16 v41, v40, v47, 0 op_sel:[0,1,0] op_sel_hi:[0,1,0]
	v_fma_mixlo_f16 v44, v40, v44, 0 op_sel_hi:[0,1,0]
	v_fma_mixlo_f16 v10, v40, v10, 0 op_sel:[0,1,0] op_sel_hi:[0,1,0]
	v_fma_mixlo_f16 v40, v40, v45, 0 op_sel_hi:[0,1,0]
	v_and_b32_e32 v42, 0xffff, v46
	v_and_b32_e32 v47, 0xffff, v11
	v_lshlrev_b32_e32 v11, 16, v41
	v_and_b32_e32 v41, 0xffff, v44
	v_lshlrev_b32_e32 v10, 16, v10
	v_and_b32_e32 v40, 0xffff, v40
	v_or_b32_e32 v44, v2, v42
	v_or_b32_e32 v48, v43, v47
	;; [unrolled: 1-line block ×4, first 2 shown]
	s_and_saveexec_b32 s17, s0
	s_cbranch_execz .LBB295_648
; %bb.647:                              ;   in Loop: Header=BB295_516 Depth=1
	v_add_nc_u32_e32 v44, -6, v27
	v_cmp_gt_i32_e64 s1, s27, v33
	v_add_nc_u32_e32 v45, -5, v27
	v_cndmask_b32_e64 v46, 0, v47, s1
	v_cmp_gt_i32_e64 s1, s27, v44
	v_add_nc_u32_e32 v44, -4, v27
	v_add_nc_u32_e32 v47, -2, v27
	v_cndmask_b32_e64 v43, 0, v43, s1
	v_cmp_gt_i32_e64 s1, s27, v45
	v_add_nc_u32_e32 v45, -3, v27
	v_or_b32_e32 v48, v43, v46
	v_cndmask_b32_e64 v42, 0, v42, s1
	v_cmp_gt_i32_e64 s1, s27, v44
	v_add_nc_u32_e32 v44, -1, v27
	v_cndmask_b32_e64 v2, 0, v2, s1
	v_cmp_gt_i32_e64 s1, s27, v45
	v_cndmask_b32_e64 v41, 0, v41, s1
	v_cmp_gt_i32_e64 s1, s27, v47
	;; [unrolled: 2-line block ×3, first 2 shown]
	v_or_b32_e32 v44, v2, v42
	v_or_b32_e32 v46, v11, v41
	v_cndmask_b32_e64 v40, 0, v40, s1
	v_cmp_gt_i32_e64 s1, s27, v27
	v_cndmask_b32_e64 v10, 0, v10, s1
	v_or_b32_e32 v45, v10, v40
.LBB295_648:                            ;   in Loop: Header=BB295_516 Depth=1
	s_or_b32 exec_lo, exec_lo, s17
	;;#ASMSTART
	v_pk_mul_f16 v2, v39, v48;

	;;#ASMEND
	;;#ASMSTART
	v_pk_mul_f16 v10, v38, v44;

	;;#ASMEND
	;; [unrolled: 4-line block ×4, first 2 shown]
	;;#ASMSTART
	v_pk_add_f16 v2, v2, v10;

	;;#ASMEND
	;;#ASMSTART
	v_pk_add_f16 v2, v2, v11;

	;;#ASMEND
	;; [unrolled: 4-line block ×3, first 2 shown]
	v_and_b32_e32 v10, 0xffff, v2
	v_lshrrev_b32_e32 v2, 16, v2
	;;#ASMSTART
	v_cvt_f32_f16 v40, v10;
	;;#ASMEND
	;;#ASMSTART
	v_cvt_f32_f16 v41, v2;
	;;#ASMEND
	global_load_dwordx2 v[10:11], v[8:9], off offset:512
	v_mov_b32_e32 v43, 0
	v_mov_b32_e32 v44, 0
	global_load_dword v42, v43, s[14:15]
	s_waitcnt vmcnt(1)
	v_cmp_ne_u16_sdwa s1, v10, v3 src0_sel:BYTE_0 src1_sel:DWORD
	s_and_saveexec_b32 s17, s1
	s_cbranch_execz .LBB295_656
; %bb.649:                              ;   in Loop: Header=BB295_516 Depth=1
	v_cmp_ne_u16_sdwa s1, v10, v29 src0_sel:BYTE_0 src1_sel:DWORD
	v_mov_b32_e32 v44, 0x8000
	s_and_saveexec_b32 s18, s1
	s_cbranch_execz .LBB295_655
; %bb.650:                              ;   in Loop: Header=BB295_516 Depth=1
	v_and_b32_e32 v45, 0x7f, v10
	v_mov_b32_e32 v44, 0x7c01
	s_mov_b32 s19, exec_lo
	v_cmpx_ne_u32_e32 0x7f, v45
	s_cbranch_execz .LBB295_654
; %bb.651:                              ;   in Loop: Header=BB295_516 Depth=1
	v_and_b32_e32 v2, 7, v10
	v_lshrrev_b32_e32 v44, 3, v45
	s_mov_b32 s20, exec_lo
	v_cmpx_gt_u32_e32 8, v45
; %bb.652:                              ;   in Loop: Header=BB295_516 Depth=1
	v_ffbh_u32_e32 v2, v2
	v_min_u32_e32 v2, 32, v2
	v_subrev_nc_u32_e32 v44, 28, v2
	v_lshlrev_b64 v[45:46], v44, v[10:11]
	v_sub_nc_u32_e32 v44, 29, v2
	v_and_b32_e32 v2, 7, v45
; %bb.653:                              ;   in Loop: Header=BB295_516 Depth=1
	s_or_b32 exec_lo, exec_lo, s20
	v_lshlrev_b32_e32 v45, 8, v10
	v_lshl_add_u32 v44, v44, 10, 0x2000
	v_lshlrev_b32_e32 v2, 7, v2
	v_and_b32_e32 v45, 0x8000, v45
	v_and_b32_e32 v44, 0xfc00, v44
	v_or3_b32 v44, v45, v44, v2
.LBB295_654:                            ;   in Loop: Header=BB295_516 Depth=1
	s_or_b32 exec_lo, exec_lo, s19
.LBB295_655:                            ;   in Loop: Header=BB295_516 Depth=1
	s_or_b32 exec_lo, exec_lo, s18
.LBB295_656:                            ;   in Loop: Header=BB295_516 Depth=1
	s_or_b32 exec_lo, exec_lo, s17
	v_lshrrev_b16 v2, 8, v10
	s_mov_b32 s17, exec_lo
	v_cmpx_ne_u16_e32 0, v2
	s_cbranch_execz .LBB295_664
; %bb.657:                              ;   in Loop: Header=BB295_516 Depth=1
	v_bfrev_b32_e32 v43, 1
	s_mov_b32 s18, exec_lo
	v_cmpx_ne_u16_e32 0x80, v2
	s_cbranch_execz .LBB295_663
; %bb.658:                              ;   in Loop: Header=BB295_516 Depth=1
	v_and_b32_sdwa v46, v2, v30 dst_sel:DWORD dst_unused:UNUSED_PAD src0_sel:WORD_0 src1_sel:DWORD
	v_mov_b32_e32 v43, 0x7c010000
	s_mov_b32 s19, exec_lo
	v_cmpx_ne_u32_e32 0x7f, v46
	s_cbranch_execz .LBB295_662
; %bb.659:                              ;   in Loop: Header=BB295_516 Depth=1
	v_and_b32_sdwa v43, v2, v31 dst_sel:DWORD dst_unused:UNUSED_PAD src0_sel:WORD_0 src1_sel:DWORD
	v_lshrrev_b32_e32 v45, 3, v46
	s_mov_b32 s20, exec_lo
	v_cmpx_gt_u32_e32 8, v46
; %bb.660:                              ;   in Loop: Header=BB295_516 Depth=1
	v_ffbh_u32_e32 v43, v43
	v_min_u32_e32 v43, 32, v43
	v_subrev_nc_u32_e32 v45, 28, v43
	v_lshlrev_b64 v[46:47], v45, v[2:3]
	v_sub_nc_u32_e32 v45, 29, v43
	v_and_b32_e32 v43, 7, v46
; %bb.661:                              ;   in Loop: Header=BB295_516 Depth=1
	s_or_b32 exec_lo, exec_lo, s20
	v_lshlrev_b32_sdwa v2, v32, v2 dst_sel:DWORD dst_unused:UNUSED_PAD src0_sel:DWORD src1_sel:WORD_0
	v_lshl_add_u32 v45, v45, 10, 0x2000
	v_lshlrev_b32_e32 v43, 23, v43
	v_and_or_b32 v2, 0x8000, v2, v45
	v_lshl_or_b32 v43, v2, 16, v43
.LBB295_662:                            ;   in Loop: Header=BB295_516 Depth=1
	s_or_b32 exec_lo, exec_lo, s19
.LBB295_663:                            ;   in Loop: Header=BB295_516 Depth=1
	s_or_b32 exec_lo, exec_lo, s18
.LBB295_664:                            ;   in Loop: Header=BB295_516 Depth=1
	s_or_b32 exec_lo, exec_lo, s17
	v_lshrrev_b32_e32 v2, 16, v10
	v_mov_b32_e32 v45, 0
	v_mov_b32_e32 v46, 0
	v_cmp_ne_u16_sdwa s1, v2, v3 src0_sel:BYTE_0 src1_sel:DWORD
	s_and_saveexec_b32 s17, s1
	s_cbranch_execz .LBB295_672
; %bb.665:                              ;   in Loop: Header=BB295_516 Depth=1
	v_cmp_ne_u16_sdwa s1, v2, v29 src0_sel:BYTE_0 src1_sel:DWORD
	v_mov_b32_e32 v46, 0x8000
	s_and_saveexec_b32 s18, s1
	s_cbranch_execz .LBB295_671
; %bb.666:                              ;   in Loop: Header=BB295_516 Depth=1
	v_bfe_u32 v48, v10, 16, 7
	v_mov_b32_e32 v46, 0x7c01
	s_mov_b32 s19, exec_lo
	v_cmpx_ne_u32_e32 0x7f, v48
	s_cbranch_execz .LBB295_670
; %bb.667:                              ;   in Loop: Header=BB295_516 Depth=1
	v_and_b32_e32 v46, 7, v2
	v_lshrrev_b32_e32 v47, 3, v48
	s_mov_b32 s20, exec_lo
	v_cmpx_gt_u32_e32 8, v48
; %bb.668:                              ;   in Loop: Header=BB295_516 Depth=1
	v_ffbh_u32_e32 v46, v46
	v_min_u32_e32 v48, 32, v46
	v_subrev_nc_u32_e32 v46, 28, v48
	v_lshlrev_b64 v[46:47], v46, v[2:3]
	v_sub_nc_u32_e32 v47, 29, v48
	v_and_b32_e32 v46, 7, v46
; %bb.669:                              ;   in Loop: Header=BB295_516 Depth=1
	s_or_b32 exec_lo, exec_lo, s20
	v_lshlrev_b32_e32 v2, 8, v2
	v_lshl_add_u32 v47, v47, 10, 0x2000
	v_lshlrev_b32_e32 v46, 7, v46
	v_and_b32_e32 v2, 0x8000, v2
	v_and_b32_e32 v47, 0xfc00, v47
	v_or3_b32 v46, v2, v47, v46
.LBB295_670:                            ;   in Loop: Header=BB295_516 Depth=1
	s_or_b32 exec_lo, exec_lo, s19
.LBB295_671:                            ;   in Loop: Header=BB295_516 Depth=1
	s_or_b32 exec_lo, exec_lo, s18
.LBB295_672:                            ;   in Loop: Header=BB295_516 Depth=1
	s_or_b32 exec_lo, exec_lo, s17
	s_mov_b32 s17, exec_lo
	v_cmpx_lt_u32_e32 0xffffff, v10
	s_cbranch_execz .LBB295_680
; %bb.673:                              ;   in Loop: Header=BB295_516 Depth=1
	v_lshrrev_b32_e32 v2, 24, v10
	v_bfrev_b32_e32 v45, 1
	s_mov_b32 s18, exec_lo
	v_cmpx_ne_u32_e32 0x80, v2
	s_cbranch_execz .LBB295_679
; %bb.674:                              ;   in Loop: Header=BB295_516 Depth=1
	v_and_b32_e32 v48, 0x7f, v2
	v_mov_b32_e32 v45, 0x7c010000
	s_mov_b32 s19, exec_lo
	v_cmpx_ne_u32_e32 0x7f, v48
	s_cbranch_execz .LBB295_678
; %bb.675:                              ;   in Loop: Header=BB295_516 Depth=1
	v_and_b32_e32 v45, 7, v2
	v_lshrrev_b32_e32 v47, 3, v48
	s_mov_b32 s20, exec_lo
	v_cmpx_gt_u32_e32 8, v48
; %bb.676:                              ;   in Loop: Header=BB295_516 Depth=1
	v_ffbh_u32_e32 v45, v45
	v_min_u32_e32 v45, 32, v45
	v_subrev_nc_u32_e32 v47, 28, v45
	v_lshlrev_b64 v[48:49], v47, v[2:3]
	v_sub_nc_u32_e32 v47, 29, v45
	v_and_b32_e32 v45, 7, v48
; %bb.677:                              ;   in Loop: Header=BB295_516 Depth=1
	s_or_b32 exec_lo, exec_lo, s20
	v_lshlrev_b32_e32 v2, 8, v2
	v_lshl_add_u32 v47, v47, 10, 0x2000
	v_lshlrev_b32_e32 v45, 23, v45
	v_and_or_b32 v2, 0x8000, v2, v47
	v_lshl_or_b32 v45, v2, 16, v45
.LBB295_678:                            ;   in Loop: Header=BB295_516 Depth=1
	s_or_b32 exec_lo, exec_lo, s19
.LBB295_679:                            ;   in Loop: Header=BB295_516 Depth=1
	s_or_b32 exec_lo, exec_lo, s18
.LBB295_680:                            ;   in Loop: Header=BB295_516 Depth=1
	s_or_b32 exec_lo, exec_lo, s17
	v_mov_b32_e32 v2, v11
	v_cmp_ne_u16_sdwa s1, v11, v3 src0_sel:BYTE_0 src1_sel:DWORD
	v_mov_b32_e32 v47, 0
	v_mov_b32_e32 v48, 0
	s_and_saveexec_b32 s17, s1
	s_cbranch_execz .LBB295_688
; %bb.681:                              ;   in Loop: Header=BB295_516 Depth=1
	v_cmp_ne_u16_sdwa s1, v11, v29 src0_sel:BYTE_0 src1_sel:DWORD
	v_mov_b32_e32 v48, 0x8000
	s_and_saveexec_b32 s18, s1
	s_cbranch_execz .LBB295_687
; %bb.682:                              ;   in Loop: Header=BB295_516 Depth=1
	v_and_b32_e32 v50, 0x7f, v11
	v_mov_b32_e32 v48, 0x7c01
	s_mov_b32 s19, exec_lo
	v_cmpx_ne_u32_e32 0x7f, v50
	s_cbranch_execz .LBB295_686
; %bb.683:                              ;   in Loop: Header=BB295_516 Depth=1
	v_and_b32_e32 v48, 7, v11
	v_lshrrev_b32_e32 v49, 3, v50
	s_mov_b32 s20, exec_lo
	v_cmpx_gt_u32_e32 8, v50
; %bb.684:                              ;   in Loop: Header=BB295_516 Depth=1
	v_ffbh_u32_e32 v48, v48
	v_min_u32_e32 v50, 32, v48
	v_subrev_nc_u32_e32 v48, 28, v50
	v_lshlrev_b64 v[48:49], v48, v[2:3]
	v_sub_nc_u32_e32 v49, 29, v50
	v_and_b32_e32 v48, 7, v48
; %bb.685:                              ;   in Loop: Header=BB295_516 Depth=1
	s_or_b32 exec_lo, exec_lo, s20
	v_lshlrev_b32_e32 v50, 8, v11
	v_lshl_add_u32 v49, v49, 10, 0x2000
	v_lshlrev_b32_e32 v48, 7, v48
	v_and_b32_e32 v50, 0x8000, v50
	v_and_b32_e32 v49, 0xfc00, v49
	v_or3_b32 v48, v50, v49, v48
.LBB295_686:                            ;   in Loop: Header=BB295_516 Depth=1
	s_or_b32 exec_lo, exec_lo, s19
.LBB295_687:                            ;   in Loop: Header=BB295_516 Depth=1
	s_or_b32 exec_lo, exec_lo, s18
.LBB295_688:                            ;   in Loop: Header=BB295_516 Depth=1
	s_or_b32 exec_lo, exec_lo, s17
	v_lshrrev_b16 v2, 8, v2
	v_mov_b32_e32 v49, 0
	s_mov_b32 s17, exec_lo
	v_cmpx_ne_u16_e32 0, v2
	s_cbranch_execz .LBB295_696
; %bb.689:                              ;   in Loop: Header=BB295_516 Depth=1
	v_bfrev_b32_e32 v49, 1
	s_mov_b32 s18, exec_lo
	v_cmpx_ne_u16_e32 0x80, v2
	s_cbranch_execz .LBB295_695
; %bb.690:                              ;   in Loop: Header=BB295_516 Depth=1
	v_and_b32_sdwa v51, v2, v30 dst_sel:DWORD dst_unused:UNUSED_PAD src0_sel:WORD_0 src1_sel:DWORD
	v_mov_b32_e32 v49, 0x7c010000
	s_mov_b32 s19, exec_lo
	v_cmpx_ne_u32_e32 0x7f, v51
	s_cbranch_execz .LBB295_694
; %bb.691:                              ;   in Loop: Header=BB295_516 Depth=1
	v_and_b32_sdwa v49, v2, v31 dst_sel:DWORD dst_unused:UNUSED_PAD src0_sel:WORD_0 src1_sel:DWORD
	v_lshrrev_b32_e32 v50, 3, v51
	s_mov_b32 s20, exec_lo
	v_cmpx_gt_u32_e32 8, v51
; %bb.692:                              ;   in Loop: Header=BB295_516 Depth=1
	v_ffbh_u32_e32 v49, v49
	v_min_u32_e32 v51, 32, v49
	v_subrev_nc_u32_e32 v49, 28, v51
	v_lshlrev_b64 v[49:50], v49, v[2:3]
	v_sub_nc_u32_e32 v50, 29, v51
	v_and_b32_e32 v49, 7, v49
; %bb.693:                              ;   in Loop: Header=BB295_516 Depth=1
	s_or_b32 exec_lo, exec_lo, s20
	v_lshlrev_b32_sdwa v2, v32, v2 dst_sel:DWORD dst_unused:UNUSED_PAD src0_sel:DWORD src1_sel:WORD_0
	v_lshl_add_u32 v50, v50, 10, 0x2000
	v_lshlrev_b32_e32 v49, 23, v49
	v_and_or_b32 v2, 0x8000, v2, v50
	v_lshl_or_b32 v49, v2, 16, v49
.LBB295_694:                            ;   in Loop: Header=BB295_516 Depth=1
	s_or_b32 exec_lo, exec_lo, s19
.LBB295_695:                            ;   in Loop: Header=BB295_516 Depth=1
	s_or_b32 exec_lo, exec_lo, s18
.LBB295_696:                            ;   in Loop: Header=BB295_516 Depth=1
	s_or_b32 exec_lo, exec_lo, s17
	v_lshrrev_b32_e32 v2, 16, v11
	v_cmp_ne_u16_sdwa s1, v2, v3 src0_sel:BYTE_0 src1_sel:DWORD
	s_and_saveexec_b32 s17, s1
	s_cbranch_execz .LBB295_704
; %bb.697:                              ;   in Loop: Header=BB295_516 Depth=1
	v_cmp_ne_u16_sdwa s1, v2, v29 src0_sel:BYTE_0 src1_sel:DWORD
	v_mov_b32_e32 v47, 0x8000
	s_and_saveexec_b32 s18, s1
	s_cbranch_execz .LBB295_703
; %bb.698:                              ;   in Loop: Header=BB295_516 Depth=1
	v_bfe_u32 v51, v11, 16, 7
	v_mov_b32_e32 v47, 0x7c01
	s_mov_b32 s19, exec_lo
	v_cmpx_ne_u32_e32 0x7f, v51
	s_cbranch_execz .LBB295_702
; %bb.699:                              ;   in Loop: Header=BB295_516 Depth=1
	v_and_b32_e32 v47, 7, v2
	v_lshrrev_b32_e32 v50, 3, v51
	s_mov_b32 s20, exec_lo
	v_cmpx_gt_u32_e32 8, v51
; %bb.700:                              ;   in Loop: Header=BB295_516 Depth=1
	v_ffbh_u32_e32 v47, v47
	v_min_u32_e32 v47, 32, v47
	v_subrev_nc_u32_e32 v50, 28, v47
	v_lshlrev_b64 v[51:52], v50, v[2:3]
	v_sub_nc_u32_e32 v50, 29, v47
	v_and_b32_e32 v47, 7, v51
; %bb.701:                              ;   in Loop: Header=BB295_516 Depth=1
	s_or_b32 exec_lo, exec_lo, s20
	v_lshlrev_b32_e32 v2, 8, v2
	v_lshl_add_u32 v50, v50, 10, 0x2000
	v_lshlrev_b32_e32 v47, 7, v47
	v_and_b32_e32 v2, 0x8000, v2
	v_and_b32_e32 v50, 0xfc00, v50
	v_or3_b32 v47, v2, v50, v47
.LBB295_702:                            ;   in Loop: Header=BB295_516 Depth=1
	s_or_b32 exec_lo, exec_lo, s19
.LBB295_703:                            ;   in Loop: Header=BB295_516 Depth=1
	s_or_b32 exec_lo, exec_lo, s18
.LBB295_704:                            ;   in Loop: Header=BB295_516 Depth=1
	s_or_b32 exec_lo, exec_lo, s17
	v_cmp_lt_u64_e64 s1, s[6:7], v[10:11]
	v_mov_b32_e32 v10, 0
	s_and_saveexec_b32 s17, s1
	s_cbranch_execz .LBB295_712
; %bb.705:                              ;   in Loop: Header=BB295_516 Depth=1
	v_lshrrev_b32_e32 v2, 24, v11
	v_bfrev_b32_e32 v10, 1
	s_mov_b32 s18, exec_lo
	v_cmpx_ne_u32_e32 0x80, v2
	s_cbranch_execz .LBB295_711
; %bb.706:                              ;   in Loop: Header=BB295_516 Depth=1
	v_and_b32_e32 v50, 0x7f, v2
	v_mov_b32_e32 v10, 0x7c010000
	s_mov_b32 s19, exec_lo
	v_cmpx_ne_u32_e32 0x7f, v50
	s_cbranch_execz .LBB295_710
; %bb.707:                              ;   in Loop: Header=BB295_516 Depth=1
	v_and_b32_e32 v10, 7, v2
	v_lshrrev_b32_e32 v11, 3, v50
	s_mov_b32 s20, exec_lo
	v_cmpx_gt_u32_e32 8, v50
; %bb.708:                              ;   in Loop: Header=BB295_516 Depth=1
	v_ffbh_u32_e32 v10, v10
	v_min_u32_e32 v50, 32, v10
	v_subrev_nc_u32_e32 v10, 28, v50
	v_lshlrev_b64 v[10:11], v10, v[2:3]
	v_sub_nc_u32_e32 v11, 29, v50
	v_and_b32_e32 v10, 7, v10
; %bb.709:                              ;   in Loop: Header=BB295_516 Depth=1
	s_or_b32 exec_lo, exec_lo, s20
	v_lshlrev_b32_e32 v2, 8, v2
	v_lshl_add_u32 v11, v11, 10, 0x2000
	v_lshlrev_b32_e32 v10, 23, v10
	v_and_or_b32 v2, 0x8000, v2, v11
	v_lshl_or_b32 v10, v2, 16, v10
.LBB295_710:                            ;   in Loop: Header=BB295_516 Depth=1
	s_or_b32 exec_lo, exec_lo, s19
.LBB295_711:                            ;   in Loop: Header=BB295_516 Depth=1
	s_or_b32 exec_lo, exec_lo, s18
.LBB295_712:                            ;   in Loop: Header=BB295_516 Depth=1
	s_or_b32 exec_lo, exec_lo, s17
	v_or_b32_e32 v2, v45, v46
	s_waitcnt vmcnt(0)
	v_fma_mixlo_f16 v11, v42, v45, 0 op_sel:[0,1,0] op_sel_hi:[0,1,0]
	v_or_b32_e32 v44, v43, v44
	v_fma_mixlo_f16 v43, v42, v43, 0 op_sel:[0,1,0] op_sel_hi:[0,1,0]
	v_or_b32_e32 v46, v49, v48
	v_or_b32_e32 v47, v10, v47
	v_fma_mixlo_f16 v48, v42, v2, 0 op_sel_hi:[0,1,0]
	v_lshlrev_b32_e32 v2, 16, v11
	v_lshlrev_b32_e32 v45, 16, v43
	v_fma_mixlo_f16 v11, v42, v44, 0 op_sel_hi:[0,1,0]
	v_fma_mixlo_f16 v43, v42, v49, 0 op_sel:[0,1,0] op_sel_hi:[0,1,0]
	v_fma_mixlo_f16 v46, v42, v46, 0 op_sel_hi:[0,1,0]
	v_fma_mixlo_f16 v10, v42, v10, 0 op_sel:[0,1,0] op_sel_hi:[0,1,0]
	v_fma_mixlo_f16 v42, v42, v47, 0 op_sel_hi:[0,1,0]
	v_and_b32_e32 v44, 0xffff, v48
	v_and_b32_e32 v49, 0xffff, v11
	v_lshlrev_b32_e32 v11, 16, v43
	v_and_b32_e32 v43, 0xffff, v46
	v_lshlrev_b32_e32 v10, 16, v10
	v_and_b32_e32 v42, 0xffff, v42
	v_or_b32_e32 v46, v2, v44
	v_or_b32_e32 v50, v45, v49
	;; [unrolled: 1-line block ×4, first 2 shown]
	s_and_saveexec_b32 s17, s0
	s_cbranch_execz .LBB295_714
; %bb.713:                              ;   in Loop: Header=BB295_516 Depth=1
	v_add_nc_u32_e32 v46, -6, v27
	v_cmp_gt_i32_e64 s1, s27, v33
	v_add_nc_u32_e32 v47, -5, v27
	v_cndmask_b32_e64 v48, 0, v49, s1
	v_cmp_gt_i32_e64 s1, s27, v46
	v_add_nc_u32_e32 v46, -4, v27
	v_add_nc_u32_e32 v49, -2, v27
	v_cndmask_b32_e64 v45, 0, v45, s1
	v_cmp_gt_i32_e64 s1, s27, v47
	v_add_nc_u32_e32 v47, -3, v27
	v_or_b32_e32 v50, v45, v48
	v_cndmask_b32_e64 v44, 0, v44, s1
	v_cmp_gt_i32_e64 s1, s27, v46
	v_add_nc_u32_e32 v46, -1, v27
	v_cndmask_b32_e64 v2, 0, v2, s1
	v_cmp_gt_i32_e64 s1, s27, v47
	v_cndmask_b32_e64 v43, 0, v43, s1
	v_cmp_gt_i32_e64 s1, s27, v49
	;; [unrolled: 2-line block ×3, first 2 shown]
	v_or_b32_e32 v46, v2, v44
	v_or_b32_e32 v48, v11, v43
	v_cndmask_b32_e64 v42, 0, v42, s1
	v_cmp_gt_i32_e64 s1, s27, v27
	v_cndmask_b32_e64 v10, 0, v10, s1
	v_or_b32_e32 v47, v10, v42
.LBB295_714:                            ;   in Loop: Header=BB295_516 Depth=1
	s_or_b32 exec_lo, exec_lo, s17
	;;#ASMSTART
	v_pk_mul_f16 v2, v39, v50;

	;;#ASMEND
	;;#ASMSTART
	v_pk_mul_f16 v10, v38, v46;

	;;#ASMEND
	;; [unrolled: 4-line block ×4, first 2 shown]
	;;#ASMSTART
	v_pk_add_f16 v2, v2, v10;

	;;#ASMEND
	;;#ASMSTART
	v_pk_add_f16 v2, v2, v11;

	;;#ASMEND
	;; [unrolled: 4-line block ×3, first 2 shown]
	v_and_b32_e32 v10, 0xffff, v2
	v_lshrrev_b32_e32 v2, 16, v2
	;;#ASMSTART
	v_cvt_f32_f16 v42, v10;
	;;#ASMEND
	;;#ASMSTART
	v_cvt_f32_f16 v43, v2;
	;;#ASMEND
	global_load_dwordx2 v[10:11], v[8:9], off offset:768
	v_mov_b32_e32 v45, 0
	v_mov_b32_e32 v46, 0
	global_load_dword v44, v45, s[14:15]
	s_waitcnt vmcnt(1)
	v_cmp_ne_u16_sdwa s1, v10, v3 src0_sel:BYTE_0 src1_sel:DWORD
	s_and_saveexec_b32 s17, s1
	s_cbranch_execz .LBB295_722
; %bb.715:                              ;   in Loop: Header=BB295_516 Depth=1
	v_cmp_ne_u16_sdwa s1, v10, v29 src0_sel:BYTE_0 src1_sel:DWORD
	v_mov_b32_e32 v46, 0x8000
	s_and_saveexec_b32 s18, s1
	s_cbranch_execz .LBB295_721
; %bb.716:                              ;   in Loop: Header=BB295_516 Depth=1
	v_and_b32_e32 v47, 0x7f, v10
	v_mov_b32_e32 v46, 0x7c01
	s_mov_b32 s19, exec_lo
	v_cmpx_ne_u32_e32 0x7f, v47
	s_cbranch_execz .LBB295_720
; %bb.717:                              ;   in Loop: Header=BB295_516 Depth=1
	v_and_b32_e32 v2, 7, v10
	v_lshrrev_b32_e32 v46, 3, v47
	s_mov_b32 s20, exec_lo
	v_cmpx_gt_u32_e32 8, v47
; %bb.718:                              ;   in Loop: Header=BB295_516 Depth=1
	v_ffbh_u32_e32 v2, v2
	v_min_u32_e32 v2, 32, v2
	v_subrev_nc_u32_e32 v46, 28, v2
	v_lshlrev_b64 v[47:48], v46, v[10:11]
	v_sub_nc_u32_e32 v46, 29, v2
	v_and_b32_e32 v2, 7, v47
; %bb.719:                              ;   in Loop: Header=BB295_516 Depth=1
	s_or_b32 exec_lo, exec_lo, s20
	v_lshlrev_b32_e32 v47, 8, v10
	v_lshl_add_u32 v46, v46, 10, 0x2000
	v_lshlrev_b32_e32 v2, 7, v2
	v_and_b32_e32 v47, 0x8000, v47
	v_and_b32_e32 v46, 0xfc00, v46
	v_or3_b32 v46, v47, v46, v2
.LBB295_720:                            ;   in Loop: Header=BB295_516 Depth=1
	s_or_b32 exec_lo, exec_lo, s19
.LBB295_721:                            ;   in Loop: Header=BB295_516 Depth=1
	s_or_b32 exec_lo, exec_lo, s18
.LBB295_722:                            ;   in Loop: Header=BB295_516 Depth=1
	s_or_b32 exec_lo, exec_lo, s17
	v_lshrrev_b16 v2, 8, v10
	s_mov_b32 s17, exec_lo
	v_cmpx_ne_u16_e32 0, v2
	s_cbranch_execz .LBB295_730
; %bb.723:                              ;   in Loop: Header=BB295_516 Depth=1
	v_bfrev_b32_e32 v45, 1
	s_mov_b32 s18, exec_lo
	v_cmpx_ne_u16_e32 0x80, v2
	s_cbranch_execz .LBB295_729
; %bb.724:                              ;   in Loop: Header=BB295_516 Depth=1
	v_and_b32_sdwa v48, v2, v30 dst_sel:DWORD dst_unused:UNUSED_PAD src0_sel:WORD_0 src1_sel:DWORD
	v_mov_b32_e32 v45, 0x7c010000
	s_mov_b32 s19, exec_lo
	v_cmpx_ne_u32_e32 0x7f, v48
	s_cbranch_execz .LBB295_728
; %bb.725:                              ;   in Loop: Header=BB295_516 Depth=1
	v_and_b32_sdwa v45, v2, v31 dst_sel:DWORD dst_unused:UNUSED_PAD src0_sel:WORD_0 src1_sel:DWORD
	v_lshrrev_b32_e32 v47, 3, v48
	s_mov_b32 s20, exec_lo
	v_cmpx_gt_u32_e32 8, v48
; %bb.726:                              ;   in Loop: Header=BB295_516 Depth=1
	v_ffbh_u32_e32 v45, v45
	v_min_u32_e32 v45, 32, v45
	v_subrev_nc_u32_e32 v47, 28, v45
	v_lshlrev_b64 v[48:49], v47, v[2:3]
	v_sub_nc_u32_e32 v47, 29, v45
	v_and_b32_e32 v45, 7, v48
; %bb.727:                              ;   in Loop: Header=BB295_516 Depth=1
	s_or_b32 exec_lo, exec_lo, s20
	v_lshlrev_b32_sdwa v2, v32, v2 dst_sel:DWORD dst_unused:UNUSED_PAD src0_sel:DWORD src1_sel:WORD_0
	v_lshl_add_u32 v47, v47, 10, 0x2000
	v_lshlrev_b32_e32 v45, 23, v45
	v_and_or_b32 v2, 0x8000, v2, v47
	v_lshl_or_b32 v45, v2, 16, v45
.LBB295_728:                            ;   in Loop: Header=BB295_516 Depth=1
	s_or_b32 exec_lo, exec_lo, s19
.LBB295_729:                            ;   in Loop: Header=BB295_516 Depth=1
	s_or_b32 exec_lo, exec_lo, s18
.LBB295_730:                            ;   in Loop: Header=BB295_516 Depth=1
	s_or_b32 exec_lo, exec_lo, s17
	v_lshrrev_b32_e32 v2, 16, v10
	v_mov_b32_e32 v47, 0
	v_mov_b32_e32 v48, 0
	v_cmp_ne_u16_sdwa s1, v2, v3 src0_sel:BYTE_0 src1_sel:DWORD
	s_and_saveexec_b32 s17, s1
	s_cbranch_execz .LBB295_738
; %bb.731:                              ;   in Loop: Header=BB295_516 Depth=1
	v_cmp_ne_u16_sdwa s1, v2, v29 src0_sel:BYTE_0 src1_sel:DWORD
	v_mov_b32_e32 v48, 0x8000
	s_and_saveexec_b32 s18, s1
	s_cbranch_execz .LBB295_737
; %bb.732:                              ;   in Loop: Header=BB295_516 Depth=1
	v_bfe_u32 v50, v10, 16, 7
	v_mov_b32_e32 v48, 0x7c01
	s_mov_b32 s19, exec_lo
	v_cmpx_ne_u32_e32 0x7f, v50
	s_cbranch_execz .LBB295_736
; %bb.733:                              ;   in Loop: Header=BB295_516 Depth=1
	v_and_b32_e32 v48, 7, v2
	v_lshrrev_b32_e32 v49, 3, v50
	s_mov_b32 s20, exec_lo
	v_cmpx_gt_u32_e32 8, v50
; %bb.734:                              ;   in Loop: Header=BB295_516 Depth=1
	v_ffbh_u32_e32 v48, v48
	v_min_u32_e32 v50, 32, v48
	v_subrev_nc_u32_e32 v48, 28, v50
	v_lshlrev_b64 v[48:49], v48, v[2:3]
	v_sub_nc_u32_e32 v49, 29, v50
	v_and_b32_e32 v48, 7, v48
; %bb.735:                              ;   in Loop: Header=BB295_516 Depth=1
	s_or_b32 exec_lo, exec_lo, s20
	v_lshlrev_b32_e32 v2, 8, v2
	v_lshl_add_u32 v49, v49, 10, 0x2000
	v_lshlrev_b32_e32 v48, 7, v48
	v_and_b32_e32 v2, 0x8000, v2
	v_and_b32_e32 v49, 0xfc00, v49
	v_or3_b32 v48, v2, v49, v48
.LBB295_736:                            ;   in Loop: Header=BB295_516 Depth=1
	s_or_b32 exec_lo, exec_lo, s19
.LBB295_737:                            ;   in Loop: Header=BB295_516 Depth=1
	s_or_b32 exec_lo, exec_lo, s18
.LBB295_738:                            ;   in Loop: Header=BB295_516 Depth=1
	s_or_b32 exec_lo, exec_lo, s17
	s_mov_b32 s17, exec_lo
	v_cmpx_lt_u32_e32 0xffffff, v10
	s_cbranch_execz .LBB295_746
; %bb.739:                              ;   in Loop: Header=BB295_516 Depth=1
	v_lshrrev_b32_e32 v2, 24, v10
	v_bfrev_b32_e32 v47, 1
	s_mov_b32 s18, exec_lo
	v_cmpx_ne_u32_e32 0x80, v2
	s_cbranch_execz .LBB295_745
; %bb.740:                              ;   in Loop: Header=BB295_516 Depth=1
	v_and_b32_e32 v50, 0x7f, v2
	v_mov_b32_e32 v47, 0x7c010000
	s_mov_b32 s19, exec_lo
	v_cmpx_ne_u32_e32 0x7f, v50
	s_cbranch_execz .LBB295_744
; %bb.741:                              ;   in Loop: Header=BB295_516 Depth=1
	v_and_b32_e32 v47, 7, v2
	v_lshrrev_b32_e32 v49, 3, v50
	s_mov_b32 s20, exec_lo
	v_cmpx_gt_u32_e32 8, v50
; %bb.742:                              ;   in Loop: Header=BB295_516 Depth=1
	v_ffbh_u32_e32 v47, v47
	v_min_u32_e32 v47, 32, v47
	v_subrev_nc_u32_e32 v49, 28, v47
	v_lshlrev_b64 v[50:51], v49, v[2:3]
	v_sub_nc_u32_e32 v49, 29, v47
	v_and_b32_e32 v47, 7, v50
; %bb.743:                              ;   in Loop: Header=BB295_516 Depth=1
	s_or_b32 exec_lo, exec_lo, s20
	v_lshlrev_b32_e32 v2, 8, v2
	v_lshl_add_u32 v49, v49, 10, 0x2000
	v_lshlrev_b32_e32 v47, 23, v47
	v_and_or_b32 v2, 0x8000, v2, v49
	v_lshl_or_b32 v47, v2, 16, v47
.LBB295_744:                            ;   in Loop: Header=BB295_516 Depth=1
	s_or_b32 exec_lo, exec_lo, s19
.LBB295_745:                            ;   in Loop: Header=BB295_516 Depth=1
	s_or_b32 exec_lo, exec_lo, s18
.LBB295_746:                            ;   in Loop: Header=BB295_516 Depth=1
	s_or_b32 exec_lo, exec_lo, s17
	v_mov_b32_e32 v2, v11
	v_cmp_ne_u16_sdwa s1, v11, v3 src0_sel:BYTE_0 src1_sel:DWORD
	v_mov_b32_e32 v49, 0
	v_mov_b32_e32 v50, 0
	s_and_saveexec_b32 s17, s1
	s_cbranch_execz .LBB295_754
; %bb.747:                              ;   in Loop: Header=BB295_516 Depth=1
	v_cmp_ne_u16_sdwa s1, v11, v29 src0_sel:BYTE_0 src1_sel:DWORD
	v_mov_b32_e32 v50, 0x8000
	s_and_saveexec_b32 s18, s1
	s_cbranch_execz .LBB295_753
; %bb.748:                              ;   in Loop: Header=BB295_516 Depth=1
	v_and_b32_e32 v52, 0x7f, v11
	v_mov_b32_e32 v50, 0x7c01
	s_mov_b32 s19, exec_lo
	v_cmpx_ne_u32_e32 0x7f, v52
	s_cbranch_execz .LBB295_752
; %bb.749:                              ;   in Loop: Header=BB295_516 Depth=1
	v_and_b32_e32 v50, 7, v11
	v_lshrrev_b32_e32 v51, 3, v52
	s_mov_b32 s20, exec_lo
	v_cmpx_gt_u32_e32 8, v52
; %bb.750:                              ;   in Loop: Header=BB295_516 Depth=1
	v_ffbh_u32_e32 v50, v50
	v_min_u32_e32 v52, 32, v50
	v_subrev_nc_u32_e32 v50, 28, v52
	v_lshlrev_b64 v[50:51], v50, v[2:3]
	v_sub_nc_u32_e32 v51, 29, v52
	v_and_b32_e32 v50, 7, v50
; %bb.751:                              ;   in Loop: Header=BB295_516 Depth=1
	s_or_b32 exec_lo, exec_lo, s20
	v_lshlrev_b32_e32 v52, 8, v11
	v_lshl_add_u32 v51, v51, 10, 0x2000
	v_lshlrev_b32_e32 v50, 7, v50
	v_and_b32_e32 v52, 0x8000, v52
	v_and_b32_e32 v51, 0xfc00, v51
	v_or3_b32 v50, v52, v51, v50
.LBB295_752:                            ;   in Loop: Header=BB295_516 Depth=1
	s_or_b32 exec_lo, exec_lo, s19
.LBB295_753:                            ;   in Loop: Header=BB295_516 Depth=1
	s_or_b32 exec_lo, exec_lo, s18
.LBB295_754:                            ;   in Loop: Header=BB295_516 Depth=1
	s_or_b32 exec_lo, exec_lo, s17
	v_lshrrev_b16 v2, 8, v2
	v_mov_b32_e32 v51, 0
	s_mov_b32 s17, exec_lo
	v_cmpx_ne_u16_e32 0, v2
	s_cbranch_execz .LBB295_762
; %bb.755:                              ;   in Loop: Header=BB295_516 Depth=1
	v_bfrev_b32_e32 v51, 1
	s_mov_b32 s18, exec_lo
	v_cmpx_ne_u16_e32 0x80, v2
	s_cbranch_execz .LBB295_761
; %bb.756:                              ;   in Loop: Header=BB295_516 Depth=1
	v_and_b32_sdwa v53, v2, v30 dst_sel:DWORD dst_unused:UNUSED_PAD src0_sel:WORD_0 src1_sel:DWORD
	v_mov_b32_e32 v51, 0x7c010000
	s_mov_b32 s19, exec_lo
	v_cmpx_ne_u32_e32 0x7f, v53
	s_cbranch_execz .LBB295_760
; %bb.757:                              ;   in Loop: Header=BB295_516 Depth=1
	v_and_b32_sdwa v51, v2, v31 dst_sel:DWORD dst_unused:UNUSED_PAD src0_sel:WORD_0 src1_sel:DWORD
	v_lshrrev_b32_e32 v52, 3, v53
	s_mov_b32 s20, exec_lo
	v_cmpx_gt_u32_e32 8, v53
; %bb.758:                              ;   in Loop: Header=BB295_516 Depth=1
	v_ffbh_u32_e32 v51, v51
	v_min_u32_e32 v53, 32, v51
	v_subrev_nc_u32_e32 v51, 28, v53
	v_lshlrev_b64 v[51:52], v51, v[2:3]
	v_sub_nc_u32_e32 v52, 29, v53
	v_and_b32_e32 v51, 7, v51
; %bb.759:                              ;   in Loop: Header=BB295_516 Depth=1
	s_or_b32 exec_lo, exec_lo, s20
	v_lshlrev_b32_sdwa v2, v32, v2 dst_sel:DWORD dst_unused:UNUSED_PAD src0_sel:DWORD src1_sel:WORD_0
	v_lshl_add_u32 v52, v52, 10, 0x2000
	v_lshlrev_b32_e32 v51, 23, v51
	v_and_or_b32 v2, 0x8000, v2, v52
	v_lshl_or_b32 v51, v2, 16, v51
.LBB295_760:                            ;   in Loop: Header=BB295_516 Depth=1
	s_or_b32 exec_lo, exec_lo, s19
.LBB295_761:                            ;   in Loop: Header=BB295_516 Depth=1
	s_or_b32 exec_lo, exec_lo, s18
.LBB295_762:                            ;   in Loop: Header=BB295_516 Depth=1
	s_or_b32 exec_lo, exec_lo, s17
	v_lshrrev_b32_e32 v2, 16, v11
	v_cmp_ne_u16_sdwa s1, v2, v3 src0_sel:BYTE_0 src1_sel:DWORD
	s_and_saveexec_b32 s17, s1
	s_cbranch_execz .LBB295_770
; %bb.763:                              ;   in Loop: Header=BB295_516 Depth=1
	v_cmp_ne_u16_sdwa s1, v2, v29 src0_sel:BYTE_0 src1_sel:DWORD
	v_mov_b32_e32 v49, 0x8000
	s_and_saveexec_b32 s18, s1
	s_cbranch_execz .LBB295_769
; %bb.764:                              ;   in Loop: Header=BB295_516 Depth=1
	v_bfe_u32 v53, v11, 16, 7
	v_mov_b32_e32 v49, 0x7c01
	s_mov_b32 s19, exec_lo
	v_cmpx_ne_u32_e32 0x7f, v53
	s_cbranch_execz .LBB295_768
; %bb.765:                              ;   in Loop: Header=BB295_516 Depth=1
	v_and_b32_e32 v49, 7, v2
	v_lshrrev_b32_e32 v52, 3, v53
	s_mov_b32 s20, exec_lo
	v_cmpx_gt_u32_e32 8, v53
; %bb.766:                              ;   in Loop: Header=BB295_516 Depth=1
	v_ffbh_u32_e32 v49, v49
	v_min_u32_e32 v49, 32, v49
	v_subrev_nc_u32_e32 v52, 28, v49
	v_lshlrev_b64 v[53:54], v52, v[2:3]
	v_sub_nc_u32_e32 v52, 29, v49
	v_and_b32_e32 v49, 7, v53
; %bb.767:                              ;   in Loop: Header=BB295_516 Depth=1
	s_or_b32 exec_lo, exec_lo, s20
	v_lshlrev_b32_e32 v2, 8, v2
	v_lshl_add_u32 v52, v52, 10, 0x2000
	v_lshlrev_b32_e32 v49, 7, v49
	v_and_b32_e32 v2, 0x8000, v2
	v_and_b32_e32 v52, 0xfc00, v52
	v_or3_b32 v49, v2, v52, v49
.LBB295_768:                            ;   in Loop: Header=BB295_516 Depth=1
	s_or_b32 exec_lo, exec_lo, s19
.LBB295_769:                            ;   in Loop: Header=BB295_516 Depth=1
	s_or_b32 exec_lo, exec_lo, s18
.LBB295_770:                            ;   in Loop: Header=BB295_516 Depth=1
	s_or_b32 exec_lo, exec_lo, s17
	v_cmp_lt_u64_e64 s1, s[6:7], v[10:11]
	v_mov_b32_e32 v10, 0
	s_and_saveexec_b32 s17, s1
	s_cbranch_execz .LBB295_778
; %bb.771:                              ;   in Loop: Header=BB295_516 Depth=1
	v_lshrrev_b32_e32 v2, 24, v11
	v_bfrev_b32_e32 v10, 1
	s_mov_b32 s18, exec_lo
	v_cmpx_ne_u32_e32 0x80, v2
	s_cbranch_execz .LBB295_777
; %bb.772:                              ;   in Loop: Header=BB295_516 Depth=1
	v_and_b32_e32 v52, 0x7f, v2
	v_mov_b32_e32 v10, 0x7c010000
	s_mov_b32 s19, exec_lo
	v_cmpx_ne_u32_e32 0x7f, v52
	s_cbranch_execz .LBB295_776
; %bb.773:                              ;   in Loop: Header=BB295_516 Depth=1
	v_and_b32_e32 v10, 7, v2
	v_lshrrev_b32_e32 v11, 3, v52
	s_mov_b32 s20, exec_lo
	v_cmpx_gt_u32_e32 8, v52
; %bb.774:                              ;   in Loop: Header=BB295_516 Depth=1
	v_ffbh_u32_e32 v10, v10
	v_min_u32_e32 v52, 32, v10
	v_subrev_nc_u32_e32 v10, 28, v52
	v_lshlrev_b64 v[10:11], v10, v[2:3]
	v_sub_nc_u32_e32 v11, 29, v52
	v_and_b32_e32 v10, 7, v10
; %bb.775:                              ;   in Loop: Header=BB295_516 Depth=1
	s_or_b32 exec_lo, exec_lo, s20
	v_lshlrev_b32_e32 v2, 8, v2
	v_lshl_add_u32 v11, v11, 10, 0x2000
	v_lshlrev_b32_e32 v10, 23, v10
	v_and_or_b32 v2, 0x8000, v2, v11
	v_lshl_or_b32 v10, v2, 16, v10
.LBB295_776:                            ;   in Loop: Header=BB295_516 Depth=1
	s_or_b32 exec_lo, exec_lo, s19
.LBB295_777:                            ;   in Loop: Header=BB295_516 Depth=1
	s_or_b32 exec_lo, exec_lo, s18
.LBB295_778:                            ;   in Loop: Header=BB295_516 Depth=1
	s_or_b32 exec_lo, exec_lo, s17
	v_or_b32_e32 v2, v47, v48
	s_waitcnt vmcnt(0)
	v_fma_mixlo_f16 v11, v44, v47, 0 op_sel:[0,1,0] op_sel_hi:[0,1,0]
	v_or_b32_e32 v46, v45, v46
	v_fma_mixlo_f16 v45, v44, v45, 0 op_sel:[0,1,0] op_sel_hi:[0,1,0]
	v_or_b32_e32 v48, v51, v50
	v_or_b32_e32 v49, v10, v49
	v_fma_mixlo_f16 v50, v44, v2, 0 op_sel_hi:[0,1,0]
	v_lshlrev_b32_e32 v2, 16, v11
	v_lshlrev_b32_e32 v47, 16, v45
	v_fma_mixlo_f16 v11, v44, v46, 0 op_sel_hi:[0,1,0]
	v_fma_mixlo_f16 v45, v44, v51, 0 op_sel:[0,1,0] op_sel_hi:[0,1,0]
	v_fma_mixlo_f16 v48, v44, v48, 0 op_sel_hi:[0,1,0]
	v_fma_mixlo_f16 v10, v44, v10, 0 op_sel:[0,1,0] op_sel_hi:[0,1,0]
	v_fma_mixlo_f16 v44, v44, v49, 0 op_sel_hi:[0,1,0]
	v_and_b32_e32 v46, 0xffff, v50
	v_and_b32_e32 v51, 0xffff, v11
	v_lshlrev_b32_e32 v11, 16, v45
	v_and_b32_e32 v45, 0xffff, v48
	v_lshlrev_b32_e32 v10, 16, v10
	v_and_b32_e32 v44, 0xffff, v44
	v_or_b32_e32 v48, v2, v46
	v_or_b32_e32 v52, v47, v51
	;; [unrolled: 1-line block ×4, first 2 shown]
	s_and_saveexec_b32 s17, s0
	s_cbranch_execz .LBB295_780
; %bb.779:                              ;   in Loop: Header=BB295_516 Depth=1
	v_add_nc_u32_e32 v48, -6, v27
	v_cmp_gt_i32_e64 s1, s27, v33
	v_add_nc_u32_e32 v49, -5, v27
	v_cndmask_b32_e64 v50, 0, v51, s1
	v_cmp_gt_i32_e64 s1, s27, v48
	v_add_nc_u32_e32 v48, -4, v27
	v_add_nc_u32_e32 v51, -2, v27
	v_cndmask_b32_e64 v47, 0, v47, s1
	v_cmp_gt_i32_e64 s1, s27, v49
	v_add_nc_u32_e32 v49, -3, v27
	v_or_b32_e32 v52, v47, v50
	v_cndmask_b32_e64 v46, 0, v46, s1
	v_cmp_gt_i32_e64 s1, s27, v48
	v_add_nc_u32_e32 v48, -1, v27
	v_cndmask_b32_e64 v2, 0, v2, s1
	v_cmp_gt_i32_e64 s1, s27, v49
	v_cndmask_b32_e64 v45, 0, v45, s1
	v_cmp_gt_i32_e64 s1, s27, v51
	;; [unrolled: 2-line block ×3, first 2 shown]
	v_or_b32_e32 v48, v2, v46
	v_or_b32_e32 v50, v11, v45
	v_cndmask_b32_e64 v44, 0, v44, s1
	v_cmp_gt_i32_e64 s1, s27, v27
	v_cndmask_b32_e64 v10, 0, v10, s1
	v_or_b32_e32 v49, v10, v44
.LBB295_780:                            ;   in Loop: Header=BB295_516 Depth=1
	s_or_b32 exec_lo, exec_lo, s17
	;;#ASMSTART
	v_pk_mul_f16 v2, v39, v52;

	;;#ASMEND
	;;#ASMSTART
	v_pk_mul_f16 v10, v38, v48;

	;;#ASMEND
	;; [unrolled: 4-line block ×4, first 2 shown]
	;;#ASMSTART
	v_pk_add_f16 v2, v2, v10;

	;;#ASMEND
	;;#ASMSTART
	v_pk_add_f16 v2, v2, v11;

	;;#ASMEND
	;; [unrolled: 4-line block ×3, first 2 shown]
	v_and_b32_e32 v10, 0xffff, v2
	v_lshrrev_b32_e32 v2, 16, v2
	;;#ASMSTART
	v_cvt_f32_f16 v44, v10;
	;;#ASMEND
	;;#ASMSTART
	v_cvt_f32_f16 v45, v2;
	;;#ASMEND
	global_load_dwordx2 v[10:11], v[8:9], off offset:1024
	v_mov_b32_e32 v47, 0
	v_mov_b32_e32 v48, 0
	global_load_dword v46, v47, s[14:15]
	s_waitcnt vmcnt(1)
	v_cmp_ne_u16_sdwa s1, v10, v3 src0_sel:BYTE_0 src1_sel:DWORD
	s_and_saveexec_b32 s17, s1
	s_cbranch_execz .LBB295_788
; %bb.781:                              ;   in Loop: Header=BB295_516 Depth=1
	v_cmp_ne_u16_sdwa s1, v10, v29 src0_sel:BYTE_0 src1_sel:DWORD
	v_mov_b32_e32 v48, 0x8000
	s_and_saveexec_b32 s18, s1
	s_cbranch_execz .LBB295_787
; %bb.782:                              ;   in Loop: Header=BB295_516 Depth=1
	v_and_b32_e32 v49, 0x7f, v10
	v_mov_b32_e32 v48, 0x7c01
	s_mov_b32 s19, exec_lo
	v_cmpx_ne_u32_e32 0x7f, v49
	s_cbranch_execz .LBB295_786
; %bb.783:                              ;   in Loop: Header=BB295_516 Depth=1
	v_and_b32_e32 v2, 7, v10
	v_lshrrev_b32_e32 v48, 3, v49
	s_mov_b32 s20, exec_lo
	v_cmpx_gt_u32_e32 8, v49
; %bb.784:                              ;   in Loop: Header=BB295_516 Depth=1
	v_ffbh_u32_e32 v2, v2
	v_min_u32_e32 v2, 32, v2
	v_subrev_nc_u32_e32 v48, 28, v2
	v_lshlrev_b64 v[49:50], v48, v[10:11]
	v_sub_nc_u32_e32 v48, 29, v2
	v_and_b32_e32 v2, 7, v49
; %bb.785:                              ;   in Loop: Header=BB295_516 Depth=1
	s_or_b32 exec_lo, exec_lo, s20
	v_lshlrev_b32_e32 v49, 8, v10
	v_lshl_add_u32 v48, v48, 10, 0x2000
	v_lshlrev_b32_e32 v2, 7, v2
	v_and_b32_e32 v49, 0x8000, v49
	v_and_b32_e32 v48, 0xfc00, v48
	v_or3_b32 v48, v49, v48, v2
.LBB295_786:                            ;   in Loop: Header=BB295_516 Depth=1
	s_or_b32 exec_lo, exec_lo, s19
.LBB295_787:                            ;   in Loop: Header=BB295_516 Depth=1
	s_or_b32 exec_lo, exec_lo, s18
.LBB295_788:                            ;   in Loop: Header=BB295_516 Depth=1
	s_or_b32 exec_lo, exec_lo, s17
	v_lshrrev_b16 v2, 8, v10
	s_mov_b32 s17, exec_lo
	v_cmpx_ne_u16_e32 0, v2
	s_cbranch_execz .LBB295_796
; %bb.789:                              ;   in Loop: Header=BB295_516 Depth=1
	v_bfrev_b32_e32 v47, 1
	s_mov_b32 s18, exec_lo
	v_cmpx_ne_u16_e32 0x80, v2
	s_cbranch_execz .LBB295_795
; %bb.790:                              ;   in Loop: Header=BB295_516 Depth=1
	v_and_b32_sdwa v50, v2, v30 dst_sel:DWORD dst_unused:UNUSED_PAD src0_sel:WORD_0 src1_sel:DWORD
	v_mov_b32_e32 v47, 0x7c010000
	s_mov_b32 s19, exec_lo
	v_cmpx_ne_u32_e32 0x7f, v50
	s_cbranch_execz .LBB295_794
; %bb.791:                              ;   in Loop: Header=BB295_516 Depth=1
	v_and_b32_sdwa v47, v2, v31 dst_sel:DWORD dst_unused:UNUSED_PAD src0_sel:WORD_0 src1_sel:DWORD
	v_lshrrev_b32_e32 v49, 3, v50
	s_mov_b32 s20, exec_lo
	v_cmpx_gt_u32_e32 8, v50
; %bb.792:                              ;   in Loop: Header=BB295_516 Depth=1
	v_ffbh_u32_e32 v47, v47
	v_min_u32_e32 v47, 32, v47
	v_subrev_nc_u32_e32 v49, 28, v47
	v_lshlrev_b64 v[50:51], v49, v[2:3]
	v_sub_nc_u32_e32 v49, 29, v47
	v_and_b32_e32 v47, 7, v50
; %bb.793:                              ;   in Loop: Header=BB295_516 Depth=1
	s_or_b32 exec_lo, exec_lo, s20
	v_lshlrev_b32_sdwa v2, v32, v2 dst_sel:DWORD dst_unused:UNUSED_PAD src0_sel:DWORD src1_sel:WORD_0
	v_lshl_add_u32 v49, v49, 10, 0x2000
	v_lshlrev_b32_e32 v47, 23, v47
	v_and_or_b32 v2, 0x8000, v2, v49
	v_lshl_or_b32 v47, v2, 16, v47
.LBB295_794:                            ;   in Loop: Header=BB295_516 Depth=1
	s_or_b32 exec_lo, exec_lo, s19
.LBB295_795:                            ;   in Loop: Header=BB295_516 Depth=1
	s_or_b32 exec_lo, exec_lo, s18
.LBB295_796:                            ;   in Loop: Header=BB295_516 Depth=1
	s_or_b32 exec_lo, exec_lo, s17
	v_lshrrev_b32_e32 v2, 16, v10
	v_mov_b32_e32 v49, 0
	v_mov_b32_e32 v50, 0
	v_cmp_ne_u16_sdwa s1, v2, v3 src0_sel:BYTE_0 src1_sel:DWORD
	s_and_saveexec_b32 s17, s1
	s_cbranch_execz .LBB295_804
; %bb.797:                              ;   in Loop: Header=BB295_516 Depth=1
	v_cmp_ne_u16_sdwa s1, v2, v29 src0_sel:BYTE_0 src1_sel:DWORD
	v_mov_b32_e32 v50, 0x8000
	s_and_saveexec_b32 s18, s1
	s_cbranch_execz .LBB295_803
; %bb.798:                              ;   in Loop: Header=BB295_516 Depth=1
	v_bfe_u32 v52, v10, 16, 7
	v_mov_b32_e32 v50, 0x7c01
	s_mov_b32 s19, exec_lo
	v_cmpx_ne_u32_e32 0x7f, v52
	s_cbranch_execz .LBB295_802
; %bb.799:                              ;   in Loop: Header=BB295_516 Depth=1
	v_and_b32_e32 v50, 7, v2
	v_lshrrev_b32_e32 v51, 3, v52
	s_mov_b32 s20, exec_lo
	v_cmpx_gt_u32_e32 8, v52
; %bb.800:                              ;   in Loop: Header=BB295_516 Depth=1
	v_ffbh_u32_e32 v50, v50
	v_min_u32_e32 v52, 32, v50
	v_subrev_nc_u32_e32 v50, 28, v52
	v_lshlrev_b64 v[50:51], v50, v[2:3]
	v_sub_nc_u32_e32 v51, 29, v52
	v_and_b32_e32 v50, 7, v50
; %bb.801:                              ;   in Loop: Header=BB295_516 Depth=1
	s_or_b32 exec_lo, exec_lo, s20
	v_lshlrev_b32_e32 v2, 8, v2
	v_lshl_add_u32 v51, v51, 10, 0x2000
	v_lshlrev_b32_e32 v50, 7, v50
	v_and_b32_e32 v2, 0x8000, v2
	v_and_b32_e32 v51, 0xfc00, v51
	v_or3_b32 v50, v2, v51, v50
.LBB295_802:                            ;   in Loop: Header=BB295_516 Depth=1
	s_or_b32 exec_lo, exec_lo, s19
.LBB295_803:                            ;   in Loop: Header=BB295_516 Depth=1
	s_or_b32 exec_lo, exec_lo, s18
.LBB295_804:                            ;   in Loop: Header=BB295_516 Depth=1
	s_or_b32 exec_lo, exec_lo, s17
	s_mov_b32 s17, exec_lo
	v_cmpx_lt_u32_e32 0xffffff, v10
	s_cbranch_execz .LBB295_812
; %bb.805:                              ;   in Loop: Header=BB295_516 Depth=1
	v_lshrrev_b32_e32 v2, 24, v10
	v_bfrev_b32_e32 v49, 1
	s_mov_b32 s18, exec_lo
	v_cmpx_ne_u32_e32 0x80, v2
	s_cbranch_execz .LBB295_811
; %bb.806:                              ;   in Loop: Header=BB295_516 Depth=1
	v_and_b32_e32 v52, 0x7f, v2
	v_mov_b32_e32 v49, 0x7c010000
	s_mov_b32 s19, exec_lo
	v_cmpx_ne_u32_e32 0x7f, v52
	s_cbranch_execz .LBB295_810
; %bb.807:                              ;   in Loop: Header=BB295_516 Depth=1
	v_and_b32_e32 v49, 7, v2
	v_lshrrev_b32_e32 v51, 3, v52
	s_mov_b32 s20, exec_lo
	v_cmpx_gt_u32_e32 8, v52
; %bb.808:                              ;   in Loop: Header=BB295_516 Depth=1
	v_ffbh_u32_e32 v49, v49
	v_min_u32_e32 v49, 32, v49
	v_subrev_nc_u32_e32 v51, 28, v49
	v_lshlrev_b64 v[52:53], v51, v[2:3]
	v_sub_nc_u32_e32 v51, 29, v49
	v_and_b32_e32 v49, 7, v52
; %bb.809:                              ;   in Loop: Header=BB295_516 Depth=1
	s_or_b32 exec_lo, exec_lo, s20
	v_lshlrev_b32_e32 v2, 8, v2
	v_lshl_add_u32 v51, v51, 10, 0x2000
	v_lshlrev_b32_e32 v49, 23, v49
	v_and_or_b32 v2, 0x8000, v2, v51
	v_lshl_or_b32 v49, v2, 16, v49
.LBB295_810:                            ;   in Loop: Header=BB295_516 Depth=1
	s_or_b32 exec_lo, exec_lo, s19
.LBB295_811:                            ;   in Loop: Header=BB295_516 Depth=1
	s_or_b32 exec_lo, exec_lo, s18
.LBB295_812:                            ;   in Loop: Header=BB295_516 Depth=1
	s_or_b32 exec_lo, exec_lo, s17
	v_mov_b32_e32 v2, v11
	v_cmp_ne_u16_sdwa s1, v11, v3 src0_sel:BYTE_0 src1_sel:DWORD
	v_mov_b32_e32 v51, 0
	v_mov_b32_e32 v52, 0
	s_and_saveexec_b32 s17, s1
	s_cbranch_execz .LBB295_820
; %bb.813:                              ;   in Loop: Header=BB295_516 Depth=1
	v_cmp_ne_u16_sdwa s1, v11, v29 src0_sel:BYTE_0 src1_sel:DWORD
	v_mov_b32_e32 v52, 0x8000
	s_and_saveexec_b32 s18, s1
	s_cbranch_execz .LBB295_819
; %bb.814:                              ;   in Loop: Header=BB295_516 Depth=1
	v_and_b32_e32 v54, 0x7f, v11
	v_mov_b32_e32 v52, 0x7c01
	s_mov_b32 s19, exec_lo
	v_cmpx_ne_u32_e32 0x7f, v54
	s_cbranch_execz .LBB295_818
; %bb.815:                              ;   in Loop: Header=BB295_516 Depth=1
	v_and_b32_e32 v52, 7, v11
	v_lshrrev_b32_e32 v53, 3, v54
	s_mov_b32 s20, exec_lo
	v_cmpx_gt_u32_e32 8, v54
; %bb.816:                              ;   in Loop: Header=BB295_516 Depth=1
	v_ffbh_u32_e32 v52, v52
	v_min_u32_e32 v54, 32, v52
	v_subrev_nc_u32_e32 v52, 28, v54
	v_lshlrev_b64 v[52:53], v52, v[2:3]
	v_sub_nc_u32_e32 v53, 29, v54
	v_and_b32_e32 v52, 7, v52
; %bb.817:                              ;   in Loop: Header=BB295_516 Depth=1
	s_or_b32 exec_lo, exec_lo, s20
	v_lshlrev_b32_e32 v54, 8, v11
	v_lshl_add_u32 v53, v53, 10, 0x2000
	v_lshlrev_b32_e32 v52, 7, v52
	v_and_b32_e32 v54, 0x8000, v54
	v_and_b32_e32 v53, 0xfc00, v53
	v_or3_b32 v52, v54, v53, v52
.LBB295_818:                            ;   in Loop: Header=BB295_516 Depth=1
	s_or_b32 exec_lo, exec_lo, s19
.LBB295_819:                            ;   in Loop: Header=BB295_516 Depth=1
	s_or_b32 exec_lo, exec_lo, s18
.LBB295_820:                            ;   in Loop: Header=BB295_516 Depth=1
	s_or_b32 exec_lo, exec_lo, s17
	v_lshrrev_b16 v2, 8, v2
	v_mov_b32_e32 v53, 0
	s_mov_b32 s17, exec_lo
	v_cmpx_ne_u16_e32 0, v2
	s_cbranch_execz .LBB295_828
; %bb.821:                              ;   in Loop: Header=BB295_516 Depth=1
	v_bfrev_b32_e32 v53, 1
	s_mov_b32 s18, exec_lo
	v_cmpx_ne_u16_e32 0x80, v2
	s_cbranch_execz .LBB295_827
; %bb.822:                              ;   in Loop: Header=BB295_516 Depth=1
	v_and_b32_sdwa v55, v2, v30 dst_sel:DWORD dst_unused:UNUSED_PAD src0_sel:WORD_0 src1_sel:DWORD
	v_mov_b32_e32 v53, 0x7c010000
	s_mov_b32 s19, exec_lo
	v_cmpx_ne_u32_e32 0x7f, v55
	s_cbranch_execz .LBB295_826
; %bb.823:                              ;   in Loop: Header=BB295_516 Depth=1
	v_and_b32_sdwa v53, v2, v31 dst_sel:DWORD dst_unused:UNUSED_PAD src0_sel:WORD_0 src1_sel:DWORD
	v_lshrrev_b32_e32 v54, 3, v55
	s_mov_b32 s20, exec_lo
	v_cmpx_gt_u32_e32 8, v55
; %bb.824:                              ;   in Loop: Header=BB295_516 Depth=1
	v_ffbh_u32_e32 v53, v53
	v_min_u32_e32 v55, 32, v53
	v_subrev_nc_u32_e32 v53, 28, v55
	v_lshlrev_b64 v[53:54], v53, v[2:3]
	v_sub_nc_u32_e32 v54, 29, v55
	v_and_b32_e32 v53, 7, v53
; %bb.825:                              ;   in Loop: Header=BB295_516 Depth=1
	s_or_b32 exec_lo, exec_lo, s20
	v_lshlrev_b32_sdwa v2, v32, v2 dst_sel:DWORD dst_unused:UNUSED_PAD src0_sel:DWORD src1_sel:WORD_0
	v_lshl_add_u32 v54, v54, 10, 0x2000
	v_lshlrev_b32_e32 v53, 23, v53
	v_and_or_b32 v2, 0x8000, v2, v54
	v_lshl_or_b32 v53, v2, 16, v53
.LBB295_826:                            ;   in Loop: Header=BB295_516 Depth=1
	s_or_b32 exec_lo, exec_lo, s19
.LBB295_827:                            ;   in Loop: Header=BB295_516 Depth=1
	s_or_b32 exec_lo, exec_lo, s18
.LBB295_828:                            ;   in Loop: Header=BB295_516 Depth=1
	s_or_b32 exec_lo, exec_lo, s17
	v_lshrrev_b32_e32 v2, 16, v11
	v_cmp_ne_u16_sdwa s1, v2, v3 src0_sel:BYTE_0 src1_sel:DWORD
	s_and_saveexec_b32 s17, s1
	s_cbranch_execz .LBB295_836
; %bb.829:                              ;   in Loop: Header=BB295_516 Depth=1
	v_cmp_ne_u16_sdwa s1, v2, v29 src0_sel:BYTE_0 src1_sel:DWORD
	v_mov_b32_e32 v51, 0x8000
	s_and_saveexec_b32 s18, s1
	s_cbranch_execz .LBB295_835
; %bb.830:                              ;   in Loop: Header=BB295_516 Depth=1
	v_bfe_u32 v55, v11, 16, 7
	v_mov_b32_e32 v51, 0x7c01
	s_mov_b32 s19, exec_lo
	v_cmpx_ne_u32_e32 0x7f, v55
	s_cbranch_execz .LBB295_834
; %bb.831:                              ;   in Loop: Header=BB295_516 Depth=1
	v_and_b32_e32 v51, 7, v2
	v_lshrrev_b32_e32 v54, 3, v55
	s_mov_b32 s20, exec_lo
	v_cmpx_gt_u32_e32 8, v55
; %bb.832:                              ;   in Loop: Header=BB295_516 Depth=1
	v_ffbh_u32_e32 v51, v51
	v_min_u32_e32 v51, 32, v51
	v_subrev_nc_u32_e32 v54, 28, v51
	v_lshlrev_b64 v[55:56], v54, v[2:3]
	v_sub_nc_u32_e32 v54, 29, v51
	v_and_b32_e32 v51, 7, v55
; %bb.833:                              ;   in Loop: Header=BB295_516 Depth=1
	s_or_b32 exec_lo, exec_lo, s20
	v_lshlrev_b32_e32 v2, 8, v2
	v_lshl_add_u32 v54, v54, 10, 0x2000
	v_lshlrev_b32_e32 v51, 7, v51
	v_and_b32_e32 v2, 0x8000, v2
	v_and_b32_e32 v54, 0xfc00, v54
	v_or3_b32 v51, v2, v54, v51
.LBB295_834:                            ;   in Loop: Header=BB295_516 Depth=1
	s_or_b32 exec_lo, exec_lo, s19
.LBB295_835:                            ;   in Loop: Header=BB295_516 Depth=1
	s_or_b32 exec_lo, exec_lo, s18
.LBB295_836:                            ;   in Loop: Header=BB295_516 Depth=1
	s_or_b32 exec_lo, exec_lo, s17
	v_cmp_lt_u64_e64 s1, s[6:7], v[10:11]
	v_mov_b32_e32 v10, 0
	s_and_saveexec_b32 s17, s1
	s_cbranch_execz .LBB295_844
; %bb.837:                              ;   in Loop: Header=BB295_516 Depth=1
	v_lshrrev_b32_e32 v2, 24, v11
	v_bfrev_b32_e32 v10, 1
	s_mov_b32 s18, exec_lo
	v_cmpx_ne_u32_e32 0x80, v2
	s_cbranch_execz .LBB295_843
; %bb.838:                              ;   in Loop: Header=BB295_516 Depth=1
	v_and_b32_e32 v54, 0x7f, v2
	v_mov_b32_e32 v10, 0x7c010000
	s_mov_b32 s19, exec_lo
	v_cmpx_ne_u32_e32 0x7f, v54
	s_cbranch_execz .LBB295_842
; %bb.839:                              ;   in Loop: Header=BB295_516 Depth=1
	v_and_b32_e32 v10, 7, v2
	v_lshrrev_b32_e32 v11, 3, v54
	s_mov_b32 s20, exec_lo
	v_cmpx_gt_u32_e32 8, v54
; %bb.840:                              ;   in Loop: Header=BB295_516 Depth=1
	v_ffbh_u32_e32 v10, v10
	v_min_u32_e32 v54, 32, v10
	v_subrev_nc_u32_e32 v10, 28, v54
	v_lshlrev_b64 v[10:11], v10, v[2:3]
	v_sub_nc_u32_e32 v11, 29, v54
	v_and_b32_e32 v10, 7, v10
; %bb.841:                              ;   in Loop: Header=BB295_516 Depth=1
	s_or_b32 exec_lo, exec_lo, s20
	v_lshlrev_b32_e32 v2, 8, v2
	v_lshl_add_u32 v11, v11, 10, 0x2000
	v_lshlrev_b32_e32 v10, 23, v10
	v_and_or_b32 v2, 0x8000, v2, v11
	v_lshl_or_b32 v10, v2, 16, v10
.LBB295_842:                            ;   in Loop: Header=BB295_516 Depth=1
	s_or_b32 exec_lo, exec_lo, s19
.LBB295_843:                            ;   in Loop: Header=BB295_516 Depth=1
	s_or_b32 exec_lo, exec_lo, s18
.LBB295_844:                            ;   in Loop: Header=BB295_516 Depth=1
	s_or_b32 exec_lo, exec_lo, s17
	v_or_b32_e32 v2, v49, v50
	s_waitcnt vmcnt(0)
	v_fma_mixlo_f16 v11, v46, v49, 0 op_sel:[0,1,0] op_sel_hi:[0,1,0]
	v_or_b32_e32 v48, v47, v48
	v_fma_mixlo_f16 v47, v46, v47, 0 op_sel:[0,1,0] op_sel_hi:[0,1,0]
	v_or_b32_e32 v50, v53, v52
	v_or_b32_e32 v51, v10, v51
	v_fma_mixlo_f16 v52, v46, v2, 0 op_sel_hi:[0,1,0]
	v_lshlrev_b32_e32 v2, 16, v11
	v_lshlrev_b32_e32 v49, 16, v47
	v_fma_mixlo_f16 v11, v46, v48, 0 op_sel_hi:[0,1,0]
	v_fma_mixlo_f16 v47, v46, v53, 0 op_sel:[0,1,0] op_sel_hi:[0,1,0]
	v_fma_mixlo_f16 v50, v46, v50, 0 op_sel_hi:[0,1,0]
	v_fma_mixlo_f16 v10, v46, v10, 0 op_sel:[0,1,0] op_sel_hi:[0,1,0]
	v_fma_mixlo_f16 v46, v46, v51, 0 op_sel_hi:[0,1,0]
	v_and_b32_e32 v48, 0xffff, v52
	v_and_b32_e32 v53, 0xffff, v11
	v_lshlrev_b32_e32 v11, 16, v47
	v_and_b32_e32 v47, 0xffff, v50
	v_lshlrev_b32_e32 v10, 16, v10
	v_and_b32_e32 v46, 0xffff, v46
	v_or_b32_e32 v50, v2, v48
	v_or_b32_e32 v54, v49, v53
	;; [unrolled: 1-line block ×4, first 2 shown]
	s_and_saveexec_b32 s17, s0
	s_cbranch_execz .LBB295_846
; %bb.845:                              ;   in Loop: Header=BB295_516 Depth=1
	v_add_nc_u32_e32 v50, -6, v27
	v_cmp_gt_i32_e64 s1, s27, v33
	v_add_nc_u32_e32 v51, -5, v27
	v_cndmask_b32_e64 v52, 0, v53, s1
	v_cmp_gt_i32_e64 s1, s27, v50
	v_add_nc_u32_e32 v50, -4, v27
	v_add_nc_u32_e32 v53, -2, v27
	v_cndmask_b32_e64 v49, 0, v49, s1
	v_cmp_gt_i32_e64 s1, s27, v51
	v_add_nc_u32_e32 v51, -3, v27
	v_or_b32_e32 v54, v49, v52
	v_cndmask_b32_e64 v48, 0, v48, s1
	v_cmp_gt_i32_e64 s1, s27, v50
	v_add_nc_u32_e32 v50, -1, v27
	v_cndmask_b32_e64 v2, 0, v2, s1
	v_cmp_gt_i32_e64 s1, s27, v51
	v_cndmask_b32_e64 v47, 0, v47, s1
	v_cmp_gt_i32_e64 s1, s27, v53
	;; [unrolled: 2-line block ×3, first 2 shown]
	v_or_b32_e32 v50, v2, v48
	v_or_b32_e32 v52, v11, v47
	v_cndmask_b32_e64 v46, 0, v46, s1
	v_cmp_gt_i32_e64 s1, s27, v27
	v_cndmask_b32_e64 v10, 0, v10, s1
	v_or_b32_e32 v51, v10, v46
.LBB295_846:                            ;   in Loop: Header=BB295_516 Depth=1
	s_or_b32 exec_lo, exec_lo, s17
	;;#ASMSTART
	v_pk_mul_f16 v2, v39, v54;

	;;#ASMEND
	;;#ASMSTART
	v_pk_mul_f16 v10, v38, v50;

	;;#ASMEND
	;; [unrolled: 4-line block ×4, first 2 shown]
	;;#ASMSTART
	v_pk_add_f16 v2, v2, v10;

	;;#ASMEND
	;;#ASMSTART
	v_pk_add_f16 v2, v2, v11;

	;;#ASMEND
	;; [unrolled: 4-line block ×3, first 2 shown]
	v_and_b32_e32 v10, 0xffff, v2
	v_lshrrev_b32_e32 v2, 16, v2
	;;#ASMSTART
	v_cvt_f32_f16 v46, v10;
	;;#ASMEND
	;;#ASMSTART
	v_cvt_f32_f16 v47, v2;
	;;#ASMEND
	global_load_dwordx2 v[10:11], v[8:9], off offset:1280
	v_mov_b32_e32 v49, 0
	v_mov_b32_e32 v50, 0
	global_load_dword v48, v49, s[14:15]
	s_waitcnt vmcnt(1)
	v_cmp_ne_u16_sdwa s1, v10, v3 src0_sel:BYTE_0 src1_sel:DWORD
	s_and_saveexec_b32 s17, s1
	s_cbranch_execz .LBB295_854
; %bb.847:                              ;   in Loop: Header=BB295_516 Depth=1
	v_cmp_ne_u16_sdwa s1, v10, v29 src0_sel:BYTE_0 src1_sel:DWORD
	v_mov_b32_e32 v50, 0x8000
	s_and_saveexec_b32 s18, s1
	s_cbranch_execz .LBB295_853
; %bb.848:                              ;   in Loop: Header=BB295_516 Depth=1
	v_and_b32_e32 v51, 0x7f, v10
	v_mov_b32_e32 v50, 0x7c01
	s_mov_b32 s19, exec_lo
	v_cmpx_ne_u32_e32 0x7f, v51
	s_cbranch_execz .LBB295_852
; %bb.849:                              ;   in Loop: Header=BB295_516 Depth=1
	v_and_b32_e32 v2, 7, v10
	v_lshrrev_b32_e32 v50, 3, v51
	s_mov_b32 s20, exec_lo
	v_cmpx_gt_u32_e32 8, v51
; %bb.850:                              ;   in Loop: Header=BB295_516 Depth=1
	v_ffbh_u32_e32 v2, v2
	v_min_u32_e32 v2, 32, v2
	v_subrev_nc_u32_e32 v50, 28, v2
	v_lshlrev_b64 v[51:52], v50, v[10:11]
	v_sub_nc_u32_e32 v50, 29, v2
	v_and_b32_e32 v2, 7, v51
; %bb.851:                              ;   in Loop: Header=BB295_516 Depth=1
	s_or_b32 exec_lo, exec_lo, s20
	v_lshlrev_b32_e32 v51, 8, v10
	v_lshl_add_u32 v50, v50, 10, 0x2000
	v_lshlrev_b32_e32 v2, 7, v2
	v_and_b32_e32 v51, 0x8000, v51
	v_and_b32_e32 v50, 0xfc00, v50
	v_or3_b32 v50, v51, v50, v2
.LBB295_852:                            ;   in Loop: Header=BB295_516 Depth=1
	s_or_b32 exec_lo, exec_lo, s19
.LBB295_853:                            ;   in Loop: Header=BB295_516 Depth=1
	s_or_b32 exec_lo, exec_lo, s18
.LBB295_854:                            ;   in Loop: Header=BB295_516 Depth=1
	s_or_b32 exec_lo, exec_lo, s17
	v_lshrrev_b16 v2, 8, v10
	s_mov_b32 s17, exec_lo
	v_cmpx_ne_u16_e32 0, v2
	s_cbranch_execz .LBB295_862
; %bb.855:                              ;   in Loop: Header=BB295_516 Depth=1
	v_bfrev_b32_e32 v49, 1
	s_mov_b32 s18, exec_lo
	v_cmpx_ne_u16_e32 0x80, v2
	s_cbranch_execz .LBB295_861
; %bb.856:                              ;   in Loop: Header=BB295_516 Depth=1
	v_and_b32_sdwa v52, v2, v30 dst_sel:DWORD dst_unused:UNUSED_PAD src0_sel:WORD_0 src1_sel:DWORD
	v_mov_b32_e32 v49, 0x7c010000
	s_mov_b32 s19, exec_lo
	v_cmpx_ne_u32_e32 0x7f, v52
	s_cbranch_execz .LBB295_860
; %bb.857:                              ;   in Loop: Header=BB295_516 Depth=1
	v_and_b32_sdwa v49, v2, v31 dst_sel:DWORD dst_unused:UNUSED_PAD src0_sel:WORD_0 src1_sel:DWORD
	v_lshrrev_b32_e32 v51, 3, v52
	s_mov_b32 s20, exec_lo
	v_cmpx_gt_u32_e32 8, v52
; %bb.858:                              ;   in Loop: Header=BB295_516 Depth=1
	v_ffbh_u32_e32 v49, v49
	v_min_u32_e32 v49, 32, v49
	v_subrev_nc_u32_e32 v51, 28, v49
	v_lshlrev_b64 v[52:53], v51, v[2:3]
	v_sub_nc_u32_e32 v51, 29, v49
	v_and_b32_e32 v49, 7, v52
; %bb.859:                              ;   in Loop: Header=BB295_516 Depth=1
	s_or_b32 exec_lo, exec_lo, s20
	v_lshlrev_b32_sdwa v2, v32, v2 dst_sel:DWORD dst_unused:UNUSED_PAD src0_sel:DWORD src1_sel:WORD_0
	v_lshl_add_u32 v51, v51, 10, 0x2000
	v_lshlrev_b32_e32 v49, 23, v49
	v_and_or_b32 v2, 0x8000, v2, v51
	v_lshl_or_b32 v49, v2, 16, v49
.LBB295_860:                            ;   in Loop: Header=BB295_516 Depth=1
	s_or_b32 exec_lo, exec_lo, s19
.LBB295_861:                            ;   in Loop: Header=BB295_516 Depth=1
	s_or_b32 exec_lo, exec_lo, s18
.LBB295_862:                            ;   in Loop: Header=BB295_516 Depth=1
	s_or_b32 exec_lo, exec_lo, s17
	v_lshrrev_b32_e32 v2, 16, v10
	v_mov_b32_e32 v51, 0
	v_mov_b32_e32 v52, 0
	v_cmp_ne_u16_sdwa s1, v2, v3 src0_sel:BYTE_0 src1_sel:DWORD
	s_and_saveexec_b32 s17, s1
	s_cbranch_execz .LBB295_870
; %bb.863:                              ;   in Loop: Header=BB295_516 Depth=1
	v_cmp_ne_u16_sdwa s1, v2, v29 src0_sel:BYTE_0 src1_sel:DWORD
	v_mov_b32_e32 v52, 0x8000
	s_and_saveexec_b32 s18, s1
	s_cbranch_execz .LBB295_869
; %bb.864:                              ;   in Loop: Header=BB295_516 Depth=1
	v_bfe_u32 v54, v10, 16, 7
	v_mov_b32_e32 v52, 0x7c01
	s_mov_b32 s19, exec_lo
	v_cmpx_ne_u32_e32 0x7f, v54
	s_cbranch_execz .LBB295_868
; %bb.865:                              ;   in Loop: Header=BB295_516 Depth=1
	v_and_b32_e32 v52, 7, v2
	v_lshrrev_b32_e32 v53, 3, v54
	s_mov_b32 s20, exec_lo
	v_cmpx_gt_u32_e32 8, v54
; %bb.866:                              ;   in Loop: Header=BB295_516 Depth=1
	v_ffbh_u32_e32 v52, v52
	v_min_u32_e32 v54, 32, v52
	v_subrev_nc_u32_e32 v52, 28, v54
	v_lshlrev_b64 v[52:53], v52, v[2:3]
	v_sub_nc_u32_e32 v53, 29, v54
	v_and_b32_e32 v52, 7, v52
; %bb.867:                              ;   in Loop: Header=BB295_516 Depth=1
	s_or_b32 exec_lo, exec_lo, s20
	v_lshlrev_b32_e32 v2, 8, v2
	v_lshl_add_u32 v53, v53, 10, 0x2000
	v_lshlrev_b32_e32 v52, 7, v52
	v_and_b32_e32 v2, 0x8000, v2
	v_and_b32_e32 v53, 0xfc00, v53
	v_or3_b32 v52, v2, v53, v52
.LBB295_868:                            ;   in Loop: Header=BB295_516 Depth=1
	s_or_b32 exec_lo, exec_lo, s19
.LBB295_869:                            ;   in Loop: Header=BB295_516 Depth=1
	s_or_b32 exec_lo, exec_lo, s18
.LBB295_870:                            ;   in Loop: Header=BB295_516 Depth=1
	s_or_b32 exec_lo, exec_lo, s17
	s_mov_b32 s17, exec_lo
	v_cmpx_lt_u32_e32 0xffffff, v10
	s_cbranch_execz .LBB295_878
; %bb.871:                              ;   in Loop: Header=BB295_516 Depth=1
	v_lshrrev_b32_e32 v2, 24, v10
	v_bfrev_b32_e32 v51, 1
	s_mov_b32 s18, exec_lo
	v_cmpx_ne_u32_e32 0x80, v2
	s_cbranch_execz .LBB295_877
; %bb.872:                              ;   in Loop: Header=BB295_516 Depth=1
	v_and_b32_e32 v54, 0x7f, v2
	v_mov_b32_e32 v51, 0x7c010000
	s_mov_b32 s19, exec_lo
	v_cmpx_ne_u32_e32 0x7f, v54
	s_cbranch_execz .LBB295_876
; %bb.873:                              ;   in Loop: Header=BB295_516 Depth=1
	v_and_b32_e32 v51, 7, v2
	v_lshrrev_b32_e32 v53, 3, v54
	s_mov_b32 s20, exec_lo
	v_cmpx_gt_u32_e32 8, v54
; %bb.874:                              ;   in Loop: Header=BB295_516 Depth=1
	v_ffbh_u32_e32 v51, v51
	v_min_u32_e32 v51, 32, v51
	v_subrev_nc_u32_e32 v53, 28, v51
	v_lshlrev_b64 v[54:55], v53, v[2:3]
	v_sub_nc_u32_e32 v53, 29, v51
	v_and_b32_e32 v51, 7, v54
; %bb.875:                              ;   in Loop: Header=BB295_516 Depth=1
	s_or_b32 exec_lo, exec_lo, s20
	v_lshlrev_b32_e32 v2, 8, v2
	v_lshl_add_u32 v53, v53, 10, 0x2000
	v_lshlrev_b32_e32 v51, 23, v51
	v_and_or_b32 v2, 0x8000, v2, v53
	v_lshl_or_b32 v51, v2, 16, v51
.LBB295_876:                            ;   in Loop: Header=BB295_516 Depth=1
	s_or_b32 exec_lo, exec_lo, s19
.LBB295_877:                            ;   in Loop: Header=BB295_516 Depth=1
	s_or_b32 exec_lo, exec_lo, s18
.LBB295_878:                            ;   in Loop: Header=BB295_516 Depth=1
	s_or_b32 exec_lo, exec_lo, s17
	v_mov_b32_e32 v2, v11
	v_cmp_ne_u16_sdwa s1, v11, v3 src0_sel:BYTE_0 src1_sel:DWORD
	v_mov_b32_e32 v53, 0
	v_mov_b32_e32 v54, 0
	s_and_saveexec_b32 s17, s1
	s_cbranch_execz .LBB295_886
; %bb.879:                              ;   in Loop: Header=BB295_516 Depth=1
	v_cmp_ne_u16_sdwa s1, v11, v29 src0_sel:BYTE_0 src1_sel:DWORD
	v_mov_b32_e32 v54, 0x8000
	s_and_saveexec_b32 s18, s1
	s_cbranch_execz .LBB295_885
; %bb.880:                              ;   in Loop: Header=BB295_516 Depth=1
	v_and_b32_e32 v56, 0x7f, v11
	v_mov_b32_e32 v54, 0x7c01
	s_mov_b32 s19, exec_lo
	v_cmpx_ne_u32_e32 0x7f, v56
	s_cbranch_execz .LBB295_884
; %bb.881:                              ;   in Loop: Header=BB295_516 Depth=1
	v_and_b32_e32 v54, 7, v11
	v_lshrrev_b32_e32 v55, 3, v56
	s_mov_b32 s20, exec_lo
	v_cmpx_gt_u32_e32 8, v56
; %bb.882:                              ;   in Loop: Header=BB295_516 Depth=1
	v_ffbh_u32_e32 v54, v54
	v_min_u32_e32 v56, 32, v54
	v_subrev_nc_u32_e32 v54, 28, v56
	v_lshlrev_b64 v[54:55], v54, v[2:3]
	v_sub_nc_u32_e32 v55, 29, v56
	v_and_b32_e32 v54, 7, v54
; %bb.883:                              ;   in Loop: Header=BB295_516 Depth=1
	s_or_b32 exec_lo, exec_lo, s20
	v_lshlrev_b32_e32 v56, 8, v11
	v_lshl_add_u32 v55, v55, 10, 0x2000
	v_lshlrev_b32_e32 v54, 7, v54
	v_and_b32_e32 v56, 0x8000, v56
	v_and_b32_e32 v55, 0xfc00, v55
	v_or3_b32 v54, v56, v55, v54
.LBB295_884:                            ;   in Loop: Header=BB295_516 Depth=1
	s_or_b32 exec_lo, exec_lo, s19
.LBB295_885:                            ;   in Loop: Header=BB295_516 Depth=1
	s_or_b32 exec_lo, exec_lo, s18
.LBB295_886:                            ;   in Loop: Header=BB295_516 Depth=1
	s_or_b32 exec_lo, exec_lo, s17
	v_lshrrev_b16 v2, 8, v2
	v_mov_b32_e32 v55, 0
	s_mov_b32 s17, exec_lo
	v_cmpx_ne_u16_e32 0, v2
	s_cbranch_execz .LBB295_894
; %bb.887:                              ;   in Loop: Header=BB295_516 Depth=1
	v_bfrev_b32_e32 v55, 1
	s_mov_b32 s18, exec_lo
	v_cmpx_ne_u16_e32 0x80, v2
	s_cbranch_execz .LBB295_893
; %bb.888:                              ;   in Loop: Header=BB295_516 Depth=1
	v_and_b32_sdwa v57, v2, v30 dst_sel:DWORD dst_unused:UNUSED_PAD src0_sel:WORD_0 src1_sel:DWORD
	v_mov_b32_e32 v55, 0x7c010000
	s_mov_b32 s19, exec_lo
	v_cmpx_ne_u32_e32 0x7f, v57
	s_cbranch_execz .LBB295_892
; %bb.889:                              ;   in Loop: Header=BB295_516 Depth=1
	v_and_b32_sdwa v55, v2, v31 dst_sel:DWORD dst_unused:UNUSED_PAD src0_sel:WORD_0 src1_sel:DWORD
	v_lshrrev_b32_e32 v56, 3, v57
	s_mov_b32 s20, exec_lo
	v_cmpx_gt_u32_e32 8, v57
; %bb.890:                              ;   in Loop: Header=BB295_516 Depth=1
	v_ffbh_u32_e32 v55, v55
	v_min_u32_e32 v57, 32, v55
	v_subrev_nc_u32_e32 v55, 28, v57
	v_lshlrev_b64 v[55:56], v55, v[2:3]
	v_sub_nc_u32_e32 v56, 29, v57
	v_and_b32_e32 v55, 7, v55
; %bb.891:                              ;   in Loop: Header=BB295_516 Depth=1
	s_or_b32 exec_lo, exec_lo, s20
	v_lshlrev_b32_sdwa v2, v32, v2 dst_sel:DWORD dst_unused:UNUSED_PAD src0_sel:DWORD src1_sel:WORD_0
	v_lshl_add_u32 v56, v56, 10, 0x2000
	v_lshlrev_b32_e32 v55, 23, v55
	v_and_or_b32 v2, 0x8000, v2, v56
	v_lshl_or_b32 v55, v2, 16, v55
.LBB295_892:                            ;   in Loop: Header=BB295_516 Depth=1
	s_or_b32 exec_lo, exec_lo, s19
.LBB295_893:                            ;   in Loop: Header=BB295_516 Depth=1
	s_or_b32 exec_lo, exec_lo, s18
.LBB295_894:                            ;   in Loop: Header=BB295_516 Depth=1
	s_or_b32 exec_lo, exec_lo, s17
	v_lshrrev_b32_e32 v2, 16, v11
	v_cmp_ne_u16_sdwa s1, v2, v3 src0_sel:BYTE_0 src1_sel:DWORD
	s_and_saveexec_b32 s17, s1
	s_cbranch_execz .LBB295_902
; %bb.895:                              ;   in Loop: Header=BB295_516 Depth=1
	v_cmp_ne_u16_sdwa s1, v2, v29 src0_sel:BYTE_0 src1_sel:DWORD
	v_mov_b32_e32 v53, 0x8000
	s_and_saveexec_b32 s18, s1
	s_cbranch_execz .LBB295_901
; %bb.896:                              ;   in Loop: Header=BB295_516 Depth=1
	v_bfe_u32 v57, v11, 16, 7
	v_mov_b32_e32 v53, 0x7c01
	s_mov_b32 s19, exec_lo
	v_cmpx_ne_u32_e32 0x7f, v57
	s_cbranch_execz .LBB295_900
; %bb.897:                              ;   in Loop: Header=BB295_516 Depth=1
	v_and_b32_e32 v53, 7, v2
	v_lshrrev_b32_e32 v56, 3, v57
	s_mov_b32 s20, exec_lo
	v_cmpx_gt_u32_e32 8, v57
; %bb.898:                              ;   in Loop: Header=BB295_516 Depth=1
	v_ffbh_u32_e32 v53, v53
	v_min_u32_e32 v53, 32, v53
	v_subrev_nc_u32_e32 v56, 28, v53
	v_lshlrev_b64 v[57:58], v56, v[2:3]
	v_sub_nc_u32_e32 v56, 29, v53
	v_and_b32_e32 v53, 7, v57
; %bb.899:                              ;   in Loop: Header=BB295_516 Depth=1
	s_or_b32 exec_lo, exec_lo, s20
	v_lshlrev_b32_e32 v2, 8, v2
	v_lshl_add_u32 v56, v56, 10, 0x2000
	v_lshlrev_b32_e32 v53, 7, v53
	v_and_b32_e32 v2, 0x8000, v2
	v_and_b32_e32 v56, 0xfc00, v56
	v_or3_b32 v53, v2, v56, v53
.LBB295_900:                            ;   in Loop: Header=BB295_516 Depth=1
	s_or_b32 exec_lo, exec_lo, s19
.LBB295_901:                            ;   in Loop: Header=BB295_516 Depth=1
	s_or_b32 exec_lo, exec_lo, s18
.LBB295_902:                            ;   in Loop: Header=BB295_516 Depth=1
	s_or_b32 exec_lo, exec_lo, s17
	v_cmp_lt_u64_e64 s1, s[6:7], v[10:11]
	v_mov_b32_e32 v10, 0
	s_and_saveexec_b32 s17, s1
	s_cbranch_execz .LBB295_910
; %bb.903:                              ;   in Loop: Header=BB295_516 Depth=1
	v_lshrrev_b32_e32 v2, 24, v11
	v_bfrev_b32_e32 v10, 1
	s_mov_b32 s18, exec_lo
	v_cmpx_ne_u32_e32 0x80, v2
	s_cbranch_execz .LBB295_909
; %bb.904:                              ;   in Loop: Header=BB295_516 Depth=1
	v_and_b32_e32 v56, 0x7f, v2
	v_mov_b32_e32 v10, 0x7c010000
	s_mov_b32 s19, exec_lo
	v_cmpx_ne_u32_e32 0x7f, v56
	s_cbranch_execz .LBB295_908
; %bb.905:                              ;   in Loop: Header=BB295_516 Depth=1
	v_and_b32_e32 v10, 7, v2
	v_lshrrev_b32_e32 v11, 3, v56
	s_mov_b32 s20, exec_lo
	v_cmpx_gt_u32_e32 8, v56
; %bb.906:                              ;   in Loop: Header=BB295_516 Depth=1
	v_ffbh_u32_e32 v10, v10
	v_min_u32_e32 v56, 32, v10
	v_subrev_nc_u32_e32 v10, 28, v56
	v_lshlrev_b64 v[10:11], v10, v[2:3]
	v_sub_nc_u32_e32 v11, 29, v56
	v_and_b32_e32 v10, 7, v10
; %bb.907:                              ;   in Loop: Header=BB295_516 Depth=1
	s_or_b32 exec_lo, exec_lo, s20
	v_lshlrev_b32_e32 v2, 8, v2
	v_lshl_add_u32 v11, v11, 10, 0x2000
	v_lshlrev_b32_e32 v10, 23, v10
	v_and_or_b32 v2, 0x8000, v2, v11
	v_lshl_or_b32 v10, v2, 16, v10
.LBB295_908:                            ;   in Loop: Header=BB295_516 Depth=1
	s_or_b32 exec_lo, exec_lo, s19
.LBB295_909:                            ;   in Loop: Header=BB295_516 Depth=1
	s_or_b32 exec_lo, exec_lo, s18
.LBB295_910:                            ;   in Loop: Header=BB295_516 Depth=1
	s_or_b32 exec_lo, exec_lo, s17
	v_or_b32_e32 v2, v51, v52
	s_waitcnt vmcnt(0)
	v_fma_mixlo_f16 v11, v48, v51, 0 op_sel:[0,1,0] op_sel_hi:[0,1,0]
	v_or_b32_e32 v50, v49, v50
	v_fma_mixlo_f16 v49, v48, v49, 0 op_sel:[0,1,0] op_sel_hi:[0,1,0]
	v_or_b32_e32 v52, v55, v54
	v_or_b32_e32 v53, v10, v53
	v_fma_mixlo_f16 v54, v48, v2, 0 op_sel_hi:[0,1,0]
	v_lshlrev_b32_e32 v2, 16, v11
	v_lshlrev_b32_e32 v51, 16, v49
	v_fma_mixlo_f16 v11, v48, v50, 0 op_sel_hi:[0,1,0]
	v_fma_mixlo_f16 v49, v48, v55, 0 op_sel:[0,1,0] op_sel_hi:[0,1,0]
	v_fma_mixlo_f16 v52, v48, v52, 0 op_sel_hi:[0,1,0]
	v_fma_mixlo_f16 v10, v48, v10, 0 op_sel:[0,1,0] op_sel_hi:[0,1,0]
	v_fma_mixlo_f16 v48, v48, v53, 0 op_sel_hi:[0,1,0]
	v_and_b32_e32 v50, 0xffff, v54
	v_and_b32_e32 v55, 0xffff, v11
	v_lshlrev_b32_e32 v11, 16, v49
	v_and_b32_e32 v49, 0xffff, v52
	v_lshlrev_b32_e32 v10, 16, v10
	v_and_b32_e32 v48, 0xffff, v48
	v_or_b32_e32 v52, v2, v50
	v_or_b32_e32 v56, v51, v55
	;; [unrolled: 1-line block ×4, first 2 shown]
	s_and_saveexec_b32 s17, s0
	s_cbranch_execz .LBB295_912
; %bb.911:                              ;   in Loop: Header=BB295_516 Depth=1
	v_add_nc_u32_e32 v52, -6, v27
	v_cmp_gt_i32_e64 s1, s27, v33
	v_add_nc_u32_e32 v53, -5, v27
	v_cndmask_b32_e64 v54, 0, v55, s1
	v_cmp_gt_i32_e64 s1, s27, v52
	v_add_nc_u32_e32 v52, -4, v27
	v_add_nc_u32_e32 v55, -2, v27
	v_cndmask_b32_e64 v51, 0, v51, s1
	v_cmp_gt_i32_e64 s1, s27, v53
	v_add_nc_u32_e32 v53, -3, v27
	v_or_b32_e32 v56, v51, v54
	v_cndmask_b32_e64 v50, 0, v50, s1
	v_cmp_gt_i32_e64 s1, s27, v52
	v_add_nc_u32_e32 v52, -1, v27
	v_cndmask_b32_e64 v2, 0, v2, s1
	v_cmp_gt_i32_e64 s1, s27, v53
	v_cndmask_b32_e64 v49, 0, v49, s1
	v_cmp_gt_i32_e64 s1, s27, v55
	;; [unrolled: 2-line block ×3, first 2 shown]
	v_or_b32_e32 v52, v2, v50
	v_or_b32_e32 v54, v11, v49
	v_cndmask_b32_e64 v48, 0, v48, s1
	v_cmp_gt_i32_e64 s1, s27, v27
	v_cndmask_b32_e64 v10, 0, v10, s1
	v_or_b32_e32 v53, v10, v48
.LBB295_912:                            ;   in Loop: Header=BB295_516 Depth=1
	s_or_b32 exec_lo, exec_lo, s17
	;;#ASMSTART
	v_pk_mul_f16 v2, v39, v56;

	;;#ASMEND
	;;#ASMSTART
	v_pk_mul_f16 v10, v38, v52;

	;;#ASMEND
	;; [unrolled: 4-line block ×4, first 2 shown]
	;;#ASMSTART
	v_pk_add_f16 v2, v2, v10;

	;;#ASMEND
	;;#ASMSTART
	v_pk_add_f16 v2, v2, v11;

	;;#ASMEND
	;;#ASMSTART
	v_pk_add_f16 v2, v2, v48;

	;;#ASMEND
	v_and_b32_e32 v10, 0xffff, v2
	v_lshrrev_b32_e32 v2, 16, v2
	;;#ASMSTART
	v_cvt_f32_f16 v10, v10;
	;;#ASMEND
	;;#ASMSTART
	v_cvt_f32_f16 v11, v2;
	;;#ASMEND
	global_load_dwordx2 v[8:9], v[8:9], off offset:1536
	v_mov_b32_e32 v49, 0
	v_mov_b32_e32 v50, 0
	global_load_dword v48, v49, s[14:15]
	s_waitcnt vmcnt(1)
	v_cmp_ne_u16_sdwa s1, v8, v3 src0_sel:BYTE_0 src1_sel:DWORD
	s_and_saveexec_b32 s17, s1
	s_cbranch_execz .LBB295_920
; %bb.913:                              ;   in Loop: Header=BB295_516 Depth=1
	v_cmp_ne_u16_sdwa s1, v8, v29 src0_sel:BYTE_0 src1_sel:DWORD
	v_mov_b32_e32 v50, 0x8000
	s_and_saveexec_b32 s18, s1
	s_cbranch_execz .LBB295_919
; %bb.914:                              ;   in Loop: Header=BB295_516 Depth=1
	v_and_b32_e32 v51, 0x7f, v8
	v_mov_b32_e32 v50, 0x7c01
	s_mov_b32 s19, exec_lo
	v_cmpx_ne_u32_e32 0x7f, v51
	s_cbranch_execz .LBB295_918
; %bb.915:                              ;   in Loop: Header=BB295_516 Depth=1
	v_and_b32_e32 v2, 7, v8
	v_lshrrev_b32_e32 v50, 3, v51
	s_mov_b32 s20, exec_lo
	v_cmpx_gt_u32_e32 8, v51
; %bb.916:                              ;   in Loop: Header=BB295_516 Depth=1
	v_ffbh_u32_e32 v2, v2
	v_min_u32_e32 v2, 32, v2
	v_subrev_nc_u32_e32 v50, 28, v2
	v_lshlrev_b64 v[51:52], v50, v[8:9]
	v_sub_nc_u32_e32 v50, 29, v2
	v_and_b32_e32 v2, 7, v51
; %bb.917:                              ;   in Loop: Header=BB295_516 Depth=1
	s_or_b32 exec_lo, exec_lo, s20
	v_lshlrev_b32_e32 v51, 8, v8
	v_lshl_add_u32 v50, v50, 10, 0x2000
	v_lshlrev_b32_e32 v2, 7, v2
	v_and_b32_e32 v51, 0x8000, v51
	v_and_b32_e32 v50, 0xfc00, v50
	v_or3_b32 v50, v51, v50, v2
.LBB295_918:                            ;   in Loop: Header=BB295_516 Depth=1
	s_or_b32 exec_lo, exec_lo, s19
.LBB295_919:                            ;   in Loop: Header=BB295_516 Depth=1
	s_or_b32 exec_lo, exec_lo, s18
.LBB295_920:                            ;   in Loop: Header=BB295_516 Depth=1
	s_or_b32 exec_lo, exec_lo, s17
	v_lshrrev_b16 v2, 8, v8
	s_mov_b32 s17, exec_lo
	v_cmpx_ne_u16_e32 0, v2
	s_cbranch_execz .LBB295_928
; %bb.921:                              ;   in Loop: Header=BB295_516 Depth=1
	v_bfrev_b32_e32 v49, 1
	s_mov_b32 s18, exec_lo
	v_cmpx_ne_u16_e32 0x80, v2
	s_cbranch_execz .LBB295_927
; %bb.922:                              ;   in Loop: Header=BB295_516 Depth=1
	v_and_b32_sdwa v52, v2, v30 dst_sel:DWORD dst_unused:UNUSED_PAD src0_sel:WORD_0 src1_sel:DWORD
	v_mov_b32_e32 v49, 0x7c010000
	s_mov_b32 s19, exec_lo
	v_cmpx_ne_u32_e32 0x7f, v52
	s_cbranch_execz .LBB295_926
; %bb.923:                              ;   in Loop: Header=BB295_516 Depth=1
	v_and_b32_sdwa v49, v2, v31 dst_sel:DWORD dst_unused:UNUSED_PAD src0_sel:WORD_0 src1_sel:DWORD
	v_lshrrev_b32_e32 v51, 3, v52
	s_mov_b32 s20, exec_lo
	v_cmpx_gt_u32_e32 8, v52
; %bb.924:                              ;   in Loop: Header=BB295_516 Depth=1
	v_ffbh_u32_e32 v49, v49
	v_min_u32_e32 v49, 32, v49
	v_subrev_nc_u32_e32 v51, 28, v49
	v_lshlrev_b64 v[52:53], v51, v[2:3]
	v_sub_nc_u32_e32 v51, 29, v49
	v_and_b32_e32 v49, 7, v52
; %bb.925:                              ;   in Loop: Header=BB295_516 Depth=1
	s_or_b32 exec_lo, exec_lo, s20
	v_lshlrev_b32_sdwa v2, v32, v2 dst_sel:DWORD dst_unused:UNUSED_PAD src0_sel:DWORD src1_sel:WORD_0
	v_lshl_add_u32 v51, v51, 10, 0x2000
	v_lshlrev_b32_e32 v49, 23, v49
	v_and_or_b32 v2, 0x8000, v2, v51
	v_lshl_or_b32 v49, v2, 16, v49
.LBB295_926:                            ;   in Loop: Header=BB295_516 Depth=1
	s_or_b32 exec_lo, exec_lo, s19
.LBB295_927:                            ;   in Loop: Header=BB295_516 Depth=1
	s_or_b32 exec_lo, exec_lo, s18
.LBB295_928:                            ;   in Loop: Header=BB295_516 Depth=1
	s_or_b32 exec_lo, exec_lo, s17
	v_lshrrev_b32_e32 v2, 16, v8
	v_mov_b32_e32 v51, 0
	v_mov_b32_e32 v52, 0
	v_cmp_ne_u16_sdwa s1, v2, v3 src0_sel:BYTE_0 src1_sel:DWORD
	s_and_saveexec_b32 s17, s1
	s_cbranch_execz .LBB295_936
; %bb.929:                              ;   in Loop: Header=BB295_516 Depth=1
	v_cmp_ne_u16_sdwa s1, v2, v29 src0_sel:BYTE_0 src1_sel:DWORD
	v_mov_b32_e32 v52, 0x8000
	s_and_saveexec_b32 s18, s1
	s_cbranch_execz .LBB295_935
; %bb.930:                              ;   in Loop: Header=BB295_516 Depth=1
	v_bfe_u32 v54, v8, 16, 7
	v_mov_b32_e32 v52, 0x7c01
	s_mov_b32 s19, exec_lo
	v_cmpx_ne_u32_e32 0x7f, v54
	s_cbranch_execz .LBB295_934
; %bb.931:                              ;   in Loop: Header=BB295_516 Depth=1
	v_and_b32_e32 v52, 7, v2
	v_lshrrev_b32_e32 v53, 3, v54
	s_mov_b32 s20, exec_lo
	v_cmpx_gt_u32_e32 8, v54
; %bb.932:                              ;   in Loop: Header=BB295_516 Depth=1
	v_ffbh_u32_e32 v52, v52
	v_min_u32_e32 v54, 32, v52
	v_subrev_nc_u32_e32 v52, 28, v54
	v_lshlrev_b64 v[52:53], v52, v[2:3]
	v_sub_nc_u32_e32 v53, 29, v54
	v_and_b32_e32 v52, 7, v52
; %bb.933:                              ;   in Loop: Header=BB295_516 Depth=1
	s_or_b32 exec_lo, exec_lo, s20
	v_lshlrev_b32_e32 v2, 8, v2
	v_lshl_add_u32 v53, v53, 10, 0x2000
	v_lshlrev_b32_e32 v52, 7, v52
	v_and_b32_e32 v2, 0x8000, v2
	v_and_b32_e32 v53, 0xfc00, v53
	v_or3_b32 v52, v2, v53, v52
.LBB295_934:                            ;   in Loop: Header=BB295_516 Depth=1
	s_or_b32 exec_lo, exec_lo, s19
.LBB295_935:                            ;   in Loop: Header=BB295_516 Depth=1
	s_or_b32 exec_lo, exec_lo, s18
.LBB295_936:                            ;   in Loop: Header=BB295_516 Depth=1
	s_or_b32 exec_lo, exec_lo, s17
	s_mov_b32 s17, exec_lo
	v_cmpx_lt_u32_e32 0xffffff, v8
	s_cbranch_execz .LBB295_944
; %bb.937:                              ;   in Loop: Header=BB295_516 Depth=1
	v_lshrrev_b32_e32 v2, 24, v8
	v_bfrev_b32_e32 v51, 1
	s_mov_b32 s18, exec_lo
	v_cmpx_ne_u32_e32 0x80, v2
	s_cbranch_execz .LBB295_943
; %bb.938:                              ;   in Loop: Header=BB295_516 Depth=1
	v_and_b32_e32 v54, 0x7f, v2
	v_mov_b32_e32 v51, 0x7c010000
	s_mov_b32 s19, exec_lo
	v_cmpx_ne_u32_e32 0x7f, v54
	s_cbranch_execz .LBB295_942
; %bb.939:                              ;   in Loop: Header=BB295_516 Depth=1
	v_and_b32_e32 v51, 7, v2
	v_lshrrev_b32_e32 v53, 3, v54
	s_mov_b32 s20, exec_lo
	v_cmpx_gt_u32_e32 8, v54
; %bb.940:                              ;   in Loop: Header=BB295_516 Depth=1
	v_ffbh_u32_e32 v51, v51
	v_min_u32_e32 v51, 32, v51
	v_subrev_nc_u32_e32 v53, 28, v51
	v_lshlrev_b64 v[54:55], v53, v[2:3]
	v_sub_nc_u32_e32 v53, 29, v51
	v_and_b32_e32 v51, 7, v54
; %bb.941:                              ;   in Loop: Header=BB295_516 Depth=1
	s_or_b32 exec_lo, exec_lo, s20
	v_lshlrev_b32_e32 v2, 8, v2
	v_lshl_add_u32 v53, v53, 10, 0x2000
	v_lshlrev_b32_e32 v51, 23, v51
	v_and_or_b32 v2, 0x8000, v2, v53
	v_lshl_or_b32 v51, v2, 16, v51
.LBB295_942:                            ;   in Loop: Header=BB295_516 Depth=1
	s_or_b32 exec_lo, exec_lo, s19
.LBB295_943:                            ;   in Loop: Header=BB295_516 Depth=1
	s_or_b32 exec_lo, exec_lo, s18
.LBB295_944:                            ;   in Loop: Header=BB295_516 Depth=1
	s_or_b32 exec_lo, exec_lo, s17
	v_mov_b32_e32 v2, v9
	v_cmp_ne_u16_sdwa s1, v9, v3 src0_sel:BYTE_0 src1_sel:DWORD
	v_mov_b32_e32 v53, 0
	v_mov_b32_e32 v54, 0
	s_and_saveexec_b32 s17, s1
	s_cbranch_execz .LBB295_952
; %bb.945:                              ;   in Loop: Header=BB295_516 Depth=1
	v_cmp_ne_u16_sdwa s1, v9, v29 src0_sel:BYTE_0 src1_sel:DWORD
	v_mov_b32_e32 v54, 0x8000
	s_and_saveexec_b32 s18, s1
	s_cbranch_execz .LBB295_951
; %bb.946:                              ;   in Loop: Header=BB295_516 Depth=1
	v_and_b32_e32 v56, 0x7f, v9
	v_mov_b32_e32 v54, 0x7c01
	s_mov_b32 s19, exec_lo
	v_cmpx_ne_u32_e32 0x7f, v56
	s_cbranch_execz .LBB295_950
; %bb.947:                              ;   in Loop: Header=BB295_516 Depth=1
	v_and_b32_e32 v54, 7, v9
	v_lshrrev_b32_e32 v55, 3, v56
	s_mov_b32 s20, exec_lo
	v_cmpx_gt_u32_e32 8, v56
; %bb.948:                              ;   in Loop: Header=BB295_516 Depth=1
	v_ffbh_u32_e32 v54, v54
	v_min_u32_e32 v56, 32, v54
	v_subrev_nc_u32_e32 v54, 28, v56
	v_lshlrev_b64 v[54:55], v54, v[2:3]
	v_sub_nc_u32_e32 v55, 29, v56
	v_and_b32_e32 v54, 7, v54
; %bb.949:                              ;   in Loop: Header=BB295_516 Depth=1
	s_or_b32 exec_lo, exec_lo, s20
	v_lshlrev_b32_e32 v56, 8, v9
	v_lshl_add_u32 v55, v55, 10, 0x2000
	v_lshlrev_b32_e32 v54, 7, v54
	v_and_b32_e32 v56, 0x8000, v56
	v_and_b32_e32 v55, 0xfc00, v55
	v_or3_b32 v54, v56, v55, v54
.LBB295_950:                            ;   in Loop: Header=BB295_516 Depth=1
	s_or_b32 exec_lo, exec_lo, s19
.LBB295_951:                            ;   in Loop: Header=BB295_516 Depth=1
	s_or_b32 exec_lo, exec_lo, s18
.LBB295_952:                            ;   in Loop: Header=BB295_516 Depth=1
	s_or_b32 exec_lo, exec_lo, s17
	v_lshrrev_b16 v2, 8, v2
	v_mov_b32_e32 v55, 0
	s_mov_b32 s17, exec_lo
	v_cmpx_ne_u16_e32 0, v2
	s_cbranch_execz .LBB295_960
; %bb.953:                              ;   in Loop: Header=BB295_516 Depth=1
	v_bfrev_b32_e32 v55, 1
	s_mov_b32 s18, exec_lo
	v_cmpx_ne_u16_e32 0x80, v2
	s_cbranch_execz .LBB295_959
; %bb.954:                              ;   in Loop: Header=BB295_516 Depth=1
	v_and_b32_sdwa v57, v2, v30 dst_sel:DWORD dst_unused:UNUSED_PAD src0_sel:WORD_0 src1_sel:DWORD
	v_mov_b32_e32 v55, 0x7c010000
	s_mov_b32 s19, exec_lo
	v_cmpx_ne_u32_e32 0x7f, v57
	s_cbranch_execz .LBB295_958
; %bb.955:                              ;   in Loop: Header=BB295_516 Depth=1
	v_and_b32_sdwa v55, v2, v31 dst_sel:DWORD dst_unused:UNUSED_PAD src0_sel:WORD_0 src1_sel:DWORD
	v_lshrrev_b32_e32 v56, 3, v57
	s_mov_b32 s20, exec_lo
	v_cmpx_gt_u32_e32 8, v57
; %bb.956:                              ;   in Loop: Header=BB295_516 Depth=1
	v_ffbh_u32_e32 v55, v55
	v_min_u32_e32 v57, 32, v55
	v_subrev_nc_u32_e32 v55, 28, v57
	v_lshlrev_b64 v[55:56], v55, v[2:3]
	v_sub_nc_u32_e32 v56, 29, v57
	v_and_b32_e32 v55, 7, v55
; %bb.957:                              ;   in Loop: Header=BB295_516 Depth=1
	s_or_b32 exec_lo, exec_lo, s20
	v_lshlrev_b32_sdwa v2, v32, v2 dst_sel:DWORD dst_unused:UNUSED_PAD src0_sel:DWORD src1_sel:WORD_0
	v_lshl_add_u32 v56, v56, 10, 0x2000
	v_lshlrev_b32_e32 v55, 23, v55
	v_and_or_b32 v2, 0x8000, v2, v56
	v_lshl_or_b32 v55, v2, 16, v55
.LBB295_958:                            ;   in Loop: Header=BB295_516 Depth=1
	s_or_b32 exec_lo, exec_lo, s19
.LBB295_959:                            ;   in Loop: Header=BB295_516 Depth=1
	s_or_b32 exec_lo, exec_lo, s18
.LBB295_960:                            ;   in Loop: Header=BB295_516 Depth=1
	s_or_b32 exec_lo, exec_lo, s17
	v_lshrrev_b32_e32 v2, 16, v9
	v_cmp_ne_u16_sdwa s1, v2, v3 src0_sel:BYTE_0 src1_sel:DWORD
	s_and_saveexec_b32 s17, s1
	s_cbranch_execz .LBB295_968
; %bb.961:                              ;   in Loop: Header=BB295_516 Depth=1
	v_cmp_ne_u16_sdwa s1, v2, v29 src0_sel:BYTE_0 src1_sel:DWORD
	v_mov_b32_e32 v53, 0x8000
	s_and_saveexec_b32 s18, s1
	s_cbranch_execz .LBB295_967
; %bb.962:                              ;   in Loop: Header=BB295_516 Depth=1
	v_bfe_u32 v57, v9, 16, 7
	v_mov_b32_e32 v53, 0x7c01
	s_mov_b32 s19, exec_lo
	v_cmpx_ne_u32_e32 0x7f, v57
	s_cbranch_execz .LBB295_966
; %bb.963:                              ;   in Loop: Header=BB295_516 Depth=1
	v_and_b32_e32 v53, 7, v2
	v_lshrrev_b32_e32 v56, 3, v57
	s_mov_b32 s20, exec_lo
	v_cmpx_gt_u32_e32 8, v57
; %bb.964:                              ;   in Loop: Header=BB295_516 Depth=1
	v_ffbh_u32_e32 v53, v53
	v_min_u32_e32 v53, 32, v53
	v_subrev_nc_u32_e32 v56, 28, v53
	v_lshlrev_b64 v[57:58], v56, v[2:3]
	v_sub_nc_u32_e32 v56, 29, v53
	v_and_b32_e32 v53, 7, v57
; %bb.965:                              ;   in Loop: Header=BB295_516 Depth=1
	s_or_b32 exec_lo, exec_lo, s20
	v_lshlrev_b32_e32 v2, 8, v2
	v_lshl_add_u32 v56, v56, 10, 0x2000
	v_lshlrev_b32_e32 v53, 7, v53
	v_and_b32_e32 v2, 0x8000, v2
	v_and_b32_e32 v56, 0xfc00, v56
	v_or3_b32 v53, v2, v56, v53
.LBB295_966:                            ;   in Loop: Header=BB295_516 Depth=1
	s_or_b32 exec_lo, exec_lo, s19
.LBB295_967:                            ;   in Loop: Header=BB295_516 Depth=1
	s_or_b32 exec_lo, exec_lo, s18
.LBB295_968:                            ;   in Loop: Header=BB295_516 Depth=1
	s_or_b32 exec_lo, exec_lo, s17
	v_cmp_lt_u64_e64 s1, s[6:7], v[8:9]
	v_mov_b32_e32 v8, 0
	s_and_saveexec_b32 s17, s1
	s_cbranch_execz .LBB295_976
; %bb.969:                              ;   in Loop: Header=BB295_516 Depth=1
	v_lshrrev_b32_e32 v2, 24, v9
	v_bfrev_b32_e32 v8, 1
	s_mov_b32 s18, exec_lo
	v_cmpx_ne_u32_e32 0x80, v2
	s_cbranch_execz .LBB295_975
; %bb.970:                              ;   in Loop: Header=BB295_516 Depth=1
	v_and_b32_e32 v56, 0x7f, v2
	v_mov_b32_e32 v8, 0x7c010000
	s_mov_b32 s19, exec_lo
	v_cmpx_ne_u32_e32 0x7f, v56
	s_cbranch_execz .LBB295_974
; %bb.971:                              ;   in Loop: Header=BB295_516 Depth=1
	v_and_b32_e32 v8, 7, v2
	v_lshrrev_b32_e32 v9, 3, v56
	s_mov_b32 s20, exec_lo
	v_cmpx_gt_u32_e32 8, v56
; %bb.972:                              ;   in Loop: Header=BB295_516 Depth=1
	v_ffbh_u32_e32 v8, v8
	v_min_u32_e32 v56, 32, v8
	v_subrev_nc_u32_e32 v8, 28, v56
	v_lshlrev_b64 v[8:9], v8, v[2:3]
	v_sub_nc_u32_e32 v9, 29, v56
	v_and_b32_e32 v8, 7, v8
; %bb.973:                              ;   in Loop: Header=BB295_516 Depth=1
	s_or_b32 exec_lo, exec_lo, s20
	v_lshlrev_b32_e32 v2, 8, v2
	v_lshl_add_u32 v9, v9, 10, 0x2000
	v_lshlrev_b32_e32 v8, 23, v8
	v_and_or_b32 v2, 0x8000, v2, v9
	v_lshl_or_b32 v8, v2, 16, v8
.LBB295_974:                            ;   in Loop: Header=BB295_516 Depth=1
	s_or_b32 exec_lo, exec_lo, s19
.LBB295_975:                            ;   in Loop: Header=BB295_516 Depth=1
	s_or_b32 exec_lo, exec_lo, s18
.LBB295_976:                            ;   in Loop: Header=BB295_516 Depth=1
	s_or_b32 exec_lo, exec_lo, s17
	v_or_b32_e32 v2, v51, v52
	s_waitcnt vmcnt(0)
	v_fma_mixlo_f16 v9, v48, v51, 0 op_sel:[0,1,0] op_sel_hi:[0,1,0]
	v_or_b32_e32 v50, v49, v50
	v_fma_mixlo_f16 v49, v48, v49, 0 op_sel:[0,1,0] op_sel_hi:[0,1,0]
	v_or_b32_e32 v52, v55, v54
	v_or_b32_e32 v53, v8, v53
	v_fma_mixlo_f16 v54, v48, v2, 0 op_sel_hi:[0,1,0]
	v_lshlrev_b32_e32 v2, 16, v9
	v_lshlrev_b32_e32 v51, 16, v49
	v_fma_mixlo_f16 v9, v48, v50, 0 op_sel_hi:[0,1,0]
	v_fma_mixlo_f16 v49, v48, v55, 0 op_sel:[0,1,0] op_sel_hi:[0,1,0]
	v_fma_mixlo_f16 v52, v48, v52, 0 op_sel_hi:[0,1,0]
	v_fma_mixlo_f16 v8, v48, v8, 0 op_sel:[0,1,0] op_sel_hi:[0,1,0]
	v_fma_mixlo_f16 v48, v48, v53, 0 op_sel_hi:[0,1,0]
	v_and_b32_e32 v50, 0xffff, v54
	v_and_b32_e32 v55, 0xffff, v9
	v_lshlrev_b32_e32 v9, 16, v49
	v_and_b32_e32 v49, 0xffff, v52
	v_lshlrev_b32_e32 v8, 16, v8
	v_and_b32_e32 v48, 0xffff, v48
	v_or_b32_e32 v52, v2, v50
	v_or_b32_e32 v56, v51, v55
	;; [unrolled: 1-line block ×4, first 2 shown]
	s_and_saveexec_b32 s17, s0
	s_cbranch_execz .LBB295_978
; %bb.977:                              ;   in Loop: Header=BB295_516 Depth=1
	v_add_nc_u32_e32 v52, -6, v27
	v_cmp_gt_i32_e64 s1, s27, v33
	v_add_nc_u32_e32 v53, -5, v27
	v_cndmask_b32_e64 v54, 0, v55, s1
	v_cmp_gt_i32_e64 s1, s27, v52
	v_add_nc_u32_e32 v52, -4, v27
	v_add_nc_u32_e32 v55, -2, v27
	v_cndmask_b32_e64 v51, 0, v51, s1
	v_cmp_gt_i32_e64 s1, s27, v53
	v_add_nc_u32_e32 v53, -3, v27
	v_or_b32_e32 v56, v51, v54
	v_cndmask_b32_e64 v50, 0, v50, s1
	v_cmp_gt_i32_e64 s1, s27, v52
	v_add_nc_u32_e32 v52, -1, v27
	v_cndmask_b32_e64 v2, 0, v2, s1
	v_cmp_gt_i32_e64 s1, s27, v53
	v_cndmask_b32_e64 v49, 0, v49, s1
	v_cmp_gt_i32_e64 s1, s27, v55
	;; [unrolled: 2-line block ×3, first 2 shown]
	v_or_b32_e32 v52, v2, v50
	v_or_b32_e32 v54, v9, v49
	v_cndmask_b32_e64 v48, 0, v48, s1
	v_cmp_gt_i32_e64 s1, s27, v27
	v_cndmask_b32_e64 v8, 0, v8, s1
	v_or_b32_e32 v53, v8, v48
.LBB295_978:                            ;   in Loop: Header=BB295_516 Depth=1
	s_or_b32 exec_lo, exec_lo, s17
	;;#ASMSTART
	v_pk_mul_f16 v2, v39, v56;

	;;#ASMEND
	;;#ASMSTART
	v_pk_mul_f16 v8, v38, v52;

	;;#ASMEND
	;; [unrolled: 4-line block ×4, first 2 shown]
	;;#ASMSTART
	v_pk_add_f16 v2, v2, v8;

	;;#ASMEND
	;;#ASMSTART
	v_pk_add_f16 v2, v2, v9;

	;;#ASMEND
	;; [unrolled: 4-line block ×3, first 2 shown]
	v_and_b32_e32 v8, 0xffff, v2
	v_lshrrev_b32_e32 v2, 16, v2
	;;#ASMSTART
	v_cvt_f32_f16 v8, v8;
	;;#ASMEND
	;;#ASMSTART
	v_cvt_f32_f16 v9, v2;
	;;#ASMEND
	s_and_saveexec_b32 s17, vcc_lo
	s_cbranch_execz .LBB295_515
; %bb.979:                              ;   in Loop: Header=BB295_516 Depth=1
	v_add_co_u32 v6, s1, v6, v26
	v_add_co_ci_u32_e64 v7, null, 0, v7, s1
	v_mov_b32_e32 v49, 0
	v_mov_b32_e32 v50, 0
	global_load_dwordx2 v[6:7], v[6:7], off
	global_load_dword v48, v49, s[14:15]
	s_waitcnt vmcnt(1)
	v_cmp_ne_u16_sdwa s1, v6, v3 src0_sel:BYTE_0 src1_sel:DWORD
	s_and_saveexec_b32 s18, s1
	s_cbranch_execz .LBB295_987
; %bb.980:                              ;   in Loop: Header=BB295_516 Depth=1
	v_cmp_ne_u16_sdwa s1, v6, v29 src0_sel:BYTE_0 src1_sel:DWORD
	v_mov_b32_e32 v50, 0x8000
	s_and_saveexec_b32 s19, s1
	s_cbranch_execz .LBB295_986
; %bb.981:                              ;   in Loop: Header=BB295_516 Depth=1
	v_and_b32_e32 v51, 0x7f, v6
	v_mov_b32_e32 v50, 0x7c01
	s_mov_b32 s20, exec_lo
	v_cmpx_ne_u32_e32 0x7f, v51
	s_cbranch_execz .LBB295_985
; %bb.982:                              ;   in Loop: Header=BB295_516 Depth=1
	v_and_b32_e32 v2, 7, v6
	v_lshrrev_b32_e32 v50, 3, v51
	s_mov_b32 s21, exec_lo
	v_cmpx_gt_u32_e32 8, v51
; %bb.983:                              ;   in Loop: Header=BB295_516 Depth=1
	v_ffbh_u32_e32 v2, v2
	v_min_u32_e32 v2, 32, v2
	v_subrev_nc_u32_e32 v50, 28, v2
	v_lshlrev_b64 v[51:52], v50, v[6:7]
	v_sub_nc_u32_e32 v50, 29, v2
	v_and_b32_e32 v2, 7, v51
; %bb.984:                              ;   in Loop: Header=BB295_516 Depth=1
	s_or_b32 exec_lo, exec_lo, s21
	v_lshlrev_b32_e32 v51, 8, v6
	v_lshl_add_u32 v50, v50, 10, 0x2000
	v_lshlrev_b32_e32 v2, 7, v2
	v_and_b32_e32 v51, 0x8000, v51
	v_and_b32_e32 v50, 0xfc00, v50
	v_or3_b32 v50, v51, v50, v2
.LBB295_985:                            ;   in Loop: Header=BB295_516 Depth=1
	s_or_b32 exec_lo, exec_lo, s20
.LBB295_986:                            ;   in Loop: Header=BB295_516 Depth=1
	s_or_b32 exec_lo, exec_lo, s19
.LBB295_987:                            ;   in Loop: Header=BB295_516 Depth=1
	s_or_b32 exec_lo, exec_lo, s18
	v_lshrrev_b16 v2, 8, v6
	s_mov_b32 s18, exec_lo
	v_cmpx_ne_u16_e32 0, v2
	s_cbranch_execz .LBB295_995
; %bb.988:                              ;   in Loop: Header=BB295_516 Depth=1
	v_bfrev_b32_e32 v49, 1
	s_mov_b32 s19, exec_lo
	v_cmpx_ne_u16_e32 0x80, v2
	s_cbranch_execz .LBB295_994
; %bb.989:                              ;   in Loop: Header=BB295_516 Depth=1
	v_and_b32_sdwa v52, v2, v30 dst_sel:DWORD dst_unused:UNUSED_PAD src0_sel:WORD_0 src1_sel:DWORD
	v_mov_b32_e32 v49, 0x7c010000
	s_mov_b32 s20, exec_lo
	v_cmpx_ne_u32_e32 0x7f, v52
	s_cbranch_execz .LBB295_993
; %bb.990:                              ;   in Loop: Header=BB295_516 Depth=1
	v_and_b32_sdwa v49, v2, v31 dst_sel:DWORD dst_unused:UNUSED_PAD src0_sel:WORD_0 src1_sel:DWORD
	v_lshrrev_b32_e32 v51, 3, v52
	s_mov_b32 s21, exec_lo
	v_cmpx_gt_u32_e32 8, v52
; %bb.991:                              ;   in Loop: Header=BB295_516 Depth=1
	v_ffbh_u32_e32 v49, v49
	v_min_u32_e32 v49, 32, v49
	v_subrev_nc_u32_e32 v51, 28, v49
	v_lshlrev_b64 v[52:53], v51, v[2:3]
	v_sub_nc_u32_e32 v51, 29, v49
	v_and_b32_e32 v49, 7, v52
; %bb.992:                              ;   in Loop: Header=BB295_516 Depth=1
	s_or_b32 exec_lo, exec_lo, s21
	v_lshlrev_b32_sdwa v2, v32, v2 dst_sel:DWORD dst_unused:UNUSED_PAD src0_sel:DWORD src1_sel:WORD_0
	v_lshl_add_u32 v51, v51, 10, 0x2000
	v_lshlrev_b32_e32 v49, 23, v49
	v_and_or_b32 v2, 0x8000, v2, v51
	v_lshl_or_b32 v49, v2, 16, v49
.LBB295_993:                            ;   in Loop: Header=BB295_516 Depth=1
	s_or_b32 exec_lo, exec_lo, s20
.LBB295_994:                            ;   in Loop: Header=BB295_516 Depth=1
	s_or_b32 exec_lo, exec_lo, s19
.LBB295_995:                            ;   in Loop: Header=BB295_516 Depth=1
	s_or_b32 exec_lo, exec_lo, s18
	v_lshrrev_b32_e32 v2, 16, v6
	v_mov_b32_e32 v51, 0
	v_mov_b32_e32 v52, 0
	v_cmp_ne_u16_sdwa s1, v2, v3 src0_sel:BYTE_0 src1_sel:DWORD
	s_and_saveexec_b32 s18, s1
	s_cbranch_execz .LBB295_1003
; %bb.996:                              ;   in Loop: Header=BB295_516 Depth=1
	v_cmp_ne_u16_sdwa s1, v2, v29 src0_sel:BYTE_0 src1_sel:DWORD
	v_mov_b32_e32 v52, 0x8000
	s_and_saveexec_b32 s19, s1
	s_cbranch_execz .LBB295_1002
; %bb.997:                              ;   in Loop: Header=BB295_516 Depth=1
	v_bfe_u32 v54, v6, 16, 7
	v_mov_b32_e32 v52, 0x7c01
	s_mov_b32 s20, exec_lo
	v_cmpx_ne_u32_e32 0x7f, v54
	s_cbranch_execz .LBB295_1001
; %bb.998:                              ;   in Loop: Header=BB295_516 Depth=1
	v_and_b32_e32 v52, 7, v2
	v_lshrrev_b32_e32 v53, 3, v54
	s_mov_b32 s21, exec_lo
	v_cmpx_gt_u32_e32 8, v54
; %bb.999:                              ;   in Loop: Header=BB295_516 Depth=1
	v_ffbh_u32_e32 v52, v52
	v_min_u32_e32 v54, 32, v52
	v_subrev_nc_u32_e32 v52, 28, v54
	v_lshlrev_b64 v[52:53], v52, v[2:3]
	v_sub_nc_u32_e32 v53, 29, v54
	v_and_b32_e32 v52, 7, v52
; %bb.1000:                             ;   in Loop: Header=BB295_516 Depth=1
	s_or_b32 exec_lo, exec_lo, s21
	v_lshlrev_b32_e32 v2, 8, v2
	v_lshl_add_u32 v53, v53, 10, 0x2000
	v_lshlrev_b32_e32 v52, 7, v52
	v_and_b32_e32 v2, 0x8000, v2
	v_and_b32_e32 v53, 0xfc00, v53
	v_or3_b32 v52, v2, v53, v52
.LBB295_1001:                           ;   in Loop: Header=BB295_516 Depth=1
	s_or_b32 exec_lo, exec_lo, s20
.LBB295_1002:                           ;   in Loop: Header=BB295_516 Depth=1
	s_or_b32 exec_lo, exec_lo, s19
.LBB295_1003:                           ;   in Loop: Header=BB295_516 Depth=1
	s_or_b32 exec_lo, exec_lo, s18
	s_mov_b32 s18, exec_lo
	v_cmpx_lt_u32_e32 0xffffff, v6
	s_cbranch_execz .LBB295_1011
; %bb.1004:                             ;   in Loop: Header=BB295_516 Depth=1
	v_lshrrev_b32_e32 v2, 24, v6
	v_bfrev_b32_e32 v51, 1
	s_mov_b32 s19, exec_lo
	v_cmpx_ne_u32_e32 0x80, v2
	s_cbranch_execz .LBB295_1010
; %bb.1005:                             ;   in Loop: Header=BB295_516 Depth=1
	v_and_b32_e32 v54, 0x7f, v2
	v_mov_b32_e32 v51, 0x7c010000
	s_mov_b32 s20, exec_lo
	v_cmpx_ne_u32_e32 0x7f, v54
	s_cbranch_execz .LBB295_1009
; %bb.1006:                             ;   in Loop: Header=BB295_516 Depth=1
	v_and_b32_e32 v51, 7, v2
	v_lshrrev_b32_e32 v53, 3, v54
	s_mov_b32 s21, exec_lo
	v_cmpx_gt_u32_e32 8, v54
; %bb.1007:                             ;   in Loop: Header=BB295_516 Depth=1
	v_ffbh_u32_e32 v51, v51
	v_min_u32_e32 v51, 32, v51
	v_subrev_nc_u32_e32 v53, 28, v51
	v_lshlrev_b64 v[54:55], v53, v[2:3]
	v_sub_nc_u32_e32 v53, 29, v51
	v_and_b32_e32 v51, 7, v54
; %bb.1008:                             ;   in Loop: Header=BB295_516 Depth=1
	s_or_b32 exec_lo, exec_lo, s21
	v_lshlrev_b32_e32 v2, 8, v2
	v_lshl_add_u32 v53, v53, 10, 0x2000
	v_lshlrev_b32_e32 v51, 23, v51
	v_and_or_b32 v2, 0x8000, v2, v53
	v_lshl_or_b32 v51, v2, 16, v51
.LBB295_1009:                           ;   in Loop: Header=BB295_516 Depth=1
	s_or_b32 exec_lo, exec_lo, s20
.LBB295_1010:                           ;   in Loop: Header=BB295_516 Depth=1
	s_or_b32 exec_lo, exec_lo, s19
.LBB295_1011:                           ;   in Loop: Header=BB295_516 Depth=1
	s_or_b32 exec_lo, exec_lo, s18
	v_mov_b32_e32 v2, v7
	v_cmp_ne_u16_sdwa s1, v7, v3 src0_sel:BYTE_0 src1_sel:DWORD
	v_mov_b32_e32 v53, 0
	v_mov_b32_e32 v54, 0
	s_and_saveexec_b32 s18, s1
	s_cbranch_execz .LBB295_1019
; %bb.1012:                             ;   in Loop: Header=BB295_516 Depth=1
	v_cmp_ne_u16_sdwa s1, v7, v29 src0_sel:BYTE_0 src1_sel:DWORD
	v_mov_b32_e32 v54, 0x8000
	s_and_saveexec_b32 s19, s1
	s_cbranch_execz .LBB295_1018
; %bb.1013:                             ;   in Loop: Header=BB295_516 Depth=1
	v_and_b32_e32 v56, 0x7f, v7
	v_mov_b32_e32 v54, 0x7c01
	s_mov_b32 s20, exec_lo
	v_cmpx_ne_u32_e32 0x7f, v56
	s_cbranch_execz .LBB295_1017
; %bb.1014:                             ;   in Loop: Header=BB295_516 Depth=1
	v_and_b32_e32 v54, 7, v7
	v_lshrrev_b32_e32 v55, 3, v56
	s_mov_b32 s21, exec_lo
	v_cmpx_gt_u32_e32 8, v56
; %bb.1015:                             ;   in Loop: Header=BB295_516 Depth=1
	v_ffbh_u32_e32 v54, v54
	v_min_u32_e32 v56, 32, v54
	v_subrev_nc_u32_e32 v54, 28, v56
	v_lshlrev_b64 v[54:55], v54, v[2:3]
	v_sub_nc_u32_e32 v55, 29, v56
	v_and_b32_e32 v54, 7, v54
; %bb.1016:                             ;   in Loop: Header=BB295_516 Depth=1
	s_or_b32 exec_lo, exec_lo, s21
	v_lshlrev_b32_e32 v56, 8, v7
	v_lshl_add_u32 v55, v55, 10, 0x2000
	v_lshlrev_b32_e32 v54, 7, v54
	v_and_b32_e32 v56, 0x8000, v56
	v_and_b32_e32 v55, 0xfc00, v55
	v_or3_b32 v54, v56, v55, v54
.LBB295_1017:                           ;   in Loop: Header=BB295_516 Depth=1
	s_or_b32 exec_lo, exec_lo, s20
.LBB295_1018:                           ;   in Loop: Header=BB295_516 Depth=1
	s_or_b32 exec_lo, exec_lo, s19
.LBB295_1019:                           ;   in Loop: Header=BB295_516 Depth=1
	s_or_b32 exec_lo, exec_lo, s18
	v_lshrrev_b16 v2, 8, v2
	v_mov_b32_e32 v55, 0
	s_mov_b32 s18, exec_lo
	v_cmpx_ne_u16_e32 0, v2
	s_cbranch_execz .LBB295_1027
; %bb.1020:                             ;   in Loop: Header=BB295_516 Depth=1
	v_bfrev_b32_e32 v55, 1
	s_mov_b32 s19, exec_lo
	v_cmpx_ne_u16_e32 0x80, v2
	s_cbranch_execz .LBB295_1026
; %bb.1021:                             ;   in Loop: Header=BB295_516 Depth=1
	v_and_b32_sdwa v57, v2, v30 dst_sel:DWORD dst_unused:UNUSED_PAD src0_sel:WORD_0 src1_sel:DWORD
	v_mov_b32_e32 v55, 0x7c010000
	s_mov_b32 s20, exec_lo
	v_cmpx_ne_u32_e32 0x7f, v57
	s_cbranch_execz .LBB295_1025
; %bb.1022:                             ;   in Loop: Header=BB295_516 Depth=1
	v_and_b32_sdwa v55, v2, v31 dst_sel:DWORD dst_unused:UNUSED_PAD src0_sel:WORD_0 src1_sel:DWORD
	v_lshrrev_b32_e32 v56, 3, v57
	s_mov_b32 s21, exec_lo
	v_cmpx_gt_u32_e32 8, v57
; %bb.1023:                             ;   in Loop: Header=BB295_516 Depth=1
	v_ffbh_u32_e32 v55, v55
	v_min_u32_e32 v57, 32, v55
	v_subrev_nc_u32_e32 v55, 28, v57
	v_lshlrev_b64 v[55:56], v55, v[2:3]
	v_sub_nc_u32_e32 v56, 29, v57
	v_and_b32_e32 v55, 7, v55
; %bb.1024:                             ;   in Loop: Header=BB295_516 Depth=1
	s_or_b32 exec_lo, exec_lo, s21
	v_lshlrev_b32_sdwa v2, v32, v2 dst_sel:DWORD dst_unused:UNUSED_PAD src0_sel:DWORD src1_sel:WORD_0
	v_lshl_add_u32 v56, v56, 10, 0x2000
	v_lshlrev_b32_e32 v55, 23, v55
	v_and_or_b32 v2, 0x8000, v2, v56
	v_lshl_or_b32 v55, v2, 16, v55
.LBB295_1025:                           ;   in Loop: Header=BB295_516 Depth=1
	s_or_b32 exec_lo, exec_lo, s20
.LBB295_1026:                           ;   in Loop: Header=BB295_516 Depth=1
	s_or_b32 exec_lo, exec_lo, s19
.LBB295_1027:                           ;   in Loop: Header=BB295_516 Depth=1
	s_or_b32 exec_lo, exec_lo, s18
	v_lshrrev_b32_e32 v2, 16, v7
	v_cmp_ne_u16_sdwa s1, v2, v3 src0_sel:BYTE_0 src1_sel:DWORD
	s_and_saveexec_b32 s18, s1
	s_cbranch_execz .LBB295_1035
; %bb.1028:                             ;   in Loop: Header=BB295_516 Depth=1
	v_cmp_ne_u16_sdwa s1, v2, v29 src0_sel:BYTE_0 src1_sel:DWORD
	v_mov_b32_e32 v53, 0x8000
	s_and_saveexec_b32 s19, s1
	s_cbranch_execz .LBB295_1034
; %bb.1029:                             ;   in Loop: Header=BB295_516 Depth=1
	v_bfe_u32 v57, v7, 16, 7
	v_mov_b32_e32 v53, 0x7c01
	s_mov_b32 s20, exec_lo
	v_cmpx_ne_u32_e32 0x7f, v57
	s_cbranch_execz .LBB295_1033
; %bb.1030:                             ;   in Loop: Header=BB295_516 Depth=1
	v_and_b32_e32 v53, 7, v2
	v_lshrrev_b32_e32 v56, 3, v57
	s_mov_b32 s21, exec_lo
	v_cmpx_gt_u32_e32 8, v57
; %bb.1031:                             ;   in Loop: Header=BB295_516 Depth=1
	v_ffbh_u32_e32 v53, v53
	v_min_u32_e32 v53, 32, v53
	v_subrev_nc_u32_e32 v56, 28, v53
	v_lshlrev_b64 v[57:58], v56, v[2:3]
	v_sub_nc_u32_e32 v56, 29, v53
	v_and_b32_e32 v53, 7, v57
; %bb.1032:                             ;   in Loop: Header=BB295_516 Depth=1
	s_or_b32 exec_lo, exec_lo, s21
	v_lshlrev_b32_e32 v2, 8, v2
	v_lshl_add_u32 v56, v56, 10, 0x2000
	v_lshlrev_b32_e32 v53, 7, v53
	v_and_b32_e32 v2, 0x8000, v2
	v_and_b32_e32 v56, 0xfc00, v56
	v_or3_b32 v53, v2, v56, v53
.LBB295_1033:                           ;   in Loop: Header=BB295_516 Depth=1
	s_or_b32 exec_lo, exec_lo, s20
.LBB295_1034:                           ;   in Loop: Header=BB295_516 Depth=1
	s_or_b32 exec_lo, exec_lo, s19
.LBB295_1035:                           ;   in Loop: Header=BB295_516 Depth=1
	s_or_b32 exec_lo, exec_lo, s18
	v_cmp_lt_u64_e64 s1, s[6:7], v[6:7]
	v_mov_b32_e32 v6, 0
	s_and_saveexec_b32 s18, s1
	s_cbranch_execz .LBB295_1043
; %bb.1036:                             ;   in Loop: Header=BB295_516 Depth=1
	v_lshrrev_b32_e32 v2, 24, v7
	v_bfrev_b32_e32 v6, 1
	s_mov_b32 s19, exec_lo
	v_cmpx_ne_u32_e32 0x80, v2
	s_cbranch_execz .LBB295_1042
; %bb.1037:                             ;   in Loop: Header=BB295_516 Depth=1
	v_and_b32_e32 v56, 0x7f, v2
	v_mov_b32_e32 v6, 0x7c010000
	s_mov_b32 s20, exec_lo
	v_cmpx_ne_u32_e32 0x7f, v56
	s_cbranch_execz .LBB295_1041
; %bb.1038:                             ;   in Loop: Header=BB295_516 Depth=1
	v_and_b32_e32 v6, 7, v2
	v_lshrrev_b32_e32 v7, 3, v56
	s_mov_b32 s21, exec_lo
	v_cmpx_gt_u32_e32 8, v56
; %bb.1039:                             ;   in Loop: Header=BB295_516 Depth=1
	v_ffbh_u32_e32 v6, v6
	v_min_u32_e32 v56, 32, v6
	v_subrev_nc_u32_e32 v6, 28, v56
	v_lshlrev_b64 v[6:7], v6, v[2:3]
	v_sub_nc_u32_e32 v7, 29, v56
	v_and_b32_e32 v6, 7, v6
; %bb.1040:                             ;   in Loop: Header=BB295_516 Depth=1
	s_or_b32 exec_lo, exec_lo, s21
	v_lshlrev_b32_e32 v2, 8, v2
	v_lshl_add_u32 v7, v7, 10, 0x2000
	v_lshlrev_b32_e32 v6, 23, v6
	v_and_or_b32 v2, 0x8000, v2, v7
	v_lshl_or_b32 v6, v2, 16, v6
.LBB295_1041:                           ;   in Loop: Header=BB295_516 Depth=1
	s_or_b32 exec_lo, exec_lo, s20
.LBB295_1042:                           ;   in Loop: Header=BB295_516 Depth=1
	s_or_b32 exec_lo, exec_lo, s19
.LBB295_1043:                           ;   in Loop: Header=BB295_516 Depth=1
	s_or_b32 exec_lo, exec_lo, s18
	v_or_b32_e32 v2, v51, v52
	s_waitcnt vmcnt(0)
	v_fma_mixlo_f16 v7, v48, v51, 0 op_sel:[0,1,0] op_sel_hi:[0,1,0]
	v_or_b32_e32 v50, v49, v50
	v_fma_mixlo_f16 v49, v48, v49, 0 op_sel:[0,1,0] op_sel_hi:[0,1,0]
	v_or_b32_e32 v52, v55, v54
	v_or_b32_e32 v53, v6, v53
	v_fma_mixlo_f16 v54, v48, v2, 0 op_sel_hi:[0,1,0]
	v_lshlrev_b32_e32 v2, 16, v7
	v_lshlrev_b32_e32 v51, 16, v49
	v_fma_mixlo_f16 v7, v48, v50, 0 op_sel_hi:[0,1,0]
	v_fma_mixlo_f16 v49, v48, v55, 0 op_sel:[0,1,0] op_sel_hi:[0,1,0]
	v_fma_mixlo_f16 v52, v48, v52, 0 op_sel_hi:[0,1,0]
	v_fma_mixlo_f16 v6, v48, v6, 0 op_sel:[0,1,0] op_sel_hi:[0,1,0]
	v_fma_mixlo_f16 v48, v48, v53, 0 op_sel_hi:[0,1,0]
	v_and_b32_e32 v50, 0xffff, v54
	v_and_b32_e32 v56, 0xffff, v7
	v_lshlrev_b32_e32 v7, 16, v49
	v_and_b32_e32 v49, 0xffff, v52
	v_lshlrev_b32_e32 v6, 16, v6
	v_and_b32_e32 v48, 0xffff, v48
	v_or_b32_e32 v54, v2, v50
	v_or_b32_e32 v55, v51, v56
	;; [unrolled: 1-line block ×4, first 2 shown]
	s_and_saveexec_b32 s1, s0
	s_cbranch_execz .LBB295_514
; %bb.1044:                             ;   in Loop: Header=BB295_516 Depth=1
	v_add_nc_u32_e32 v52, -6, v27
	v_cmp_gt_i32_e64 s0, s27, v33
	v_add_nc_u32_e32 v53, -5, v27
	v_add_nc_u32_e32 v54, -2, v27
	v_cndmask_b32_e64 v33, 0, v56, s0
	v_cmp_gt_i32_e64 s0, s27, v52
	v_add_nc_u32_e32 v52, -4, v27
	v_cndmask_b32_e64 v51, 0, v51, s0
	v_cmp_gt_i32_e64 s0, s27, v53
	v_add_nc_u32_e32 v53, -3, v27
	v_or_b32_e32 v55, v51, v33
	v_cndmask_b32_e64 v50, 0, v50, s0
	v_cmp_gt_i32_e64 s0, s27, v52
	v_add_nc_u32_e32 v52, -1, v27
	v_cndmask_b32_e64 v2, 0, v2, s0
	v_cmp_gt_i32_e64 s0, s27, v53
	v_cndmask_b32_e64 v49, 0, v49, s0
	v_cmp_gt_i32_e64 s0, s27, v54
	v_or_b32_e32 v54, v2, v50
	v_cndmask_b32_e64 v7, 0, v7, s0
	v_cmp_gt_i32_e64 s0, s27, v52
	v_or_b32_e32 v53, v7, v49
	v_cndmask_b32_e64 v48, 0, v48, s0
	v_cmp_gt_i32_e64 s0, s27, v27
	v_cndmask_b32_e64 v6, 0, v6, s0
	v_or_b32_e32 v52, v6, v48
	s_branch .LBB295_514
.LBB295_1045:
	s_or_b32 exec_lo, exec_lo, s13
.LBB295_1046:
	s_or_b32 exec_lo, exec_lo, s3
	ds_bpermute_b32 v1, v16, v24
	ds_bpermute_b32 v2, v16, v25
	;; [unrolled: 1-line block ×8, first 2 shown]
	s_movk_i32 s0, 0x1e0
	v_cmp_eq_u32_e32 vcc_lo, 0, v13
	v_and_b32_e32 v13, 0x3c0, v0
	v_mad_u32_u24 v9, v14, s0, 0x110
	s_mov_b32 s1, exec_lo
	s_waitcnt lgkmcnt(0)
	s_waitcnt_vscnt null, 0x0
	s_barrier
	buffer_gl0_inv
	v_add_f32_e32 v8, v24, v1
	v_add_f32_e32 v7, v25, v2
	;; [unrolled: 1-line block ×8, first 2 shown]
	v_cmpx_eq_u32_e32 64, v13
	s_cbranch_execz .LBB295_1051
; %bb.1047:
	v_add_nc_u32_e32 v10, 0xfffffc40, v9
	s_and_saveexec_b32 s0, vcc_lo
	s_cbranch_execz .LBB295_1049
; %bb.1048:
	v_lshl_add_u32 v11, v15, 2, v10
	ds_write2_b32 v11, v8, v7 offset1:16
	ds_write2_b32 v11, v6, v5 offset0:32 offset1:48
	ds_write2_b32 v11, v4, v3 offset0:64 offset1:80
	ds_write_b32 v11, v2 offset:384
.LBB295_1049:
	s_or_b32 exec_lo, exec_lo, s0
	v_or_b32_e32 v11, 0x70, v15
	v_cmp_gt_u32_e64 s0, 0x78, v11
	s_and_b32 s0, vcc_lo, s0
	s_and_b32 exec_lo, exec_lo, s0
; %bb.1050:
	v_lshl_add_u32 v10, v11, 2, v10
	ds_write_b32 v10, v1
.LBB295_1051:
	s_or_b32 exec_lo, exec_lo, s1
	s_mov_b32 s1, exec_lo
	s_waitcnt lgkmcnt(0)
	s_barrier
	buffer_gl0_inv
	v_cmpx_gt_u32_e32 64, v0
	s_cbranch_execz .LBB295_1063
; %bb.1052:
	s_and_saveexec_b32 s0, vcc_lo
	s_cbranch_execnz .LBB295_1098
; %bb.1053:
	s_or_b32 exec_lo, exec_lo, s0
	s_and_saveexec_b32 s0, vcc_lo
	s_cbranch_execnz .LBB295_1099
.LBB295_1054:
	s_or_b32 exec_lo, exec_lo, s0
	s_and_saveexec_b32 s0, vcc_lo
	s_cbranch_execnz .LBB295_1100
.LBB295_1055:
	s_or_b32 exec_lo, exec_lo, s0
	s_and_saveexec_b32 s0, vcc_lo
	s_cbranch_execnz .LBB295_1101
.LBB295_1056:
	s_or_b32 exec_lo, exec_lo, s0
	s_and_saveexec_b32 s0, vcc_lo
	s_cbranch_execnz .LBB295_1102
.LBB295_1057:
	s_or_b32 exec_lo, exec_lo, s0
	s_and_saveexec_b32 s0, vcc_lo
	s_cbranch_execnz .LBB295_1103
.LBB295_1058:
	s_or_b32 exec_lo, exec_lo, s0
	s_and_saveexec_b32 s0, vcc_lo
	s_cbranch_execz .LBB295_1060
.LBB295_1059:
	v_lshl_add_u32 v10, v15, 2, v9
	ds_read_b32 v10, v10 offset:384
	s_waitcnt lgkmcnt(0)
	v_add_f32_e32 v2, v2, v10
.LBB295_1060:
	s_or_b32 exec_lo, exec_lo, s0
	v_or_b32_e32 v10, 0x70, v15
	v_cmp_gt_u32_e64 s0, 0x78, v10
	s_and_b32 s3, vcc_lo, s0
	s_and_saveexec_b32 s0, s3
	s_cbranch_execz .LBB295_1062
; %bb.1061:
	v_lshl_add_u32 v10, v15, 2, v9
	ds_read_b32 v10, v10 offset:448
	s_waitcnt lgkmcnt(0)
	v_add_f32_e32 v1, v1, v10
.LBB295_1062:
	s_or_b32 exec_lo, exec_lo, s0
.LBB295_1063:
	s_or_b32 exec_lo, exec_lo, s1
	v_and_b32_e32 v10, 0x3e0, v0
	s_mov_b32 s1, exec_lo
	s_barrier
	buffer_gl0_inv
	v_cmpx_eq_u32_e32 32, v10
	s_cbranch_execz .LBB295_1068
; %bb.1064:
	v_lshl_add_u32 v10, v15, 2, 0x110
	s_and_saveexec_b32 s0, vcc_lo
	s_cbranch_execz .LBB295_1066
; %bb.1065:
	ds_write2_b32 v10, v8, v7 offset1:16
	ds_write2_b32 v10, v6, v5 offset0:32 offset1:48
	ds_write2_b32 v10, v4, v3 offset0:64 offset1:80
	ds_write_b32 v10, v2 offset:384
.LBB295_1066:
	s_or_b32 exec_lo, exec_lo, s0
	v_or_b32_e32 v11, 0x70, v15
	v_cmp_gt_u32_e64 s0, 0x78, v11
	s_and_b32 s0, vcc_lo, s0
	s_and_b32 exec_lo, exec_lo, s0
; %bb.1067:
	ds_write_b32 v10, v1 offset:448
.LBB295_1068:
	s_or_b32 exec_lo, exec_lo, s1
	v_cmp_gt_u32_e64 s0, 32, v0
	s_waitcnt lgkmcnt(0)
	s_barrier
	buffer_gl0_inv
	s_and_saveexec_b32 s3, s0
	s_cbranch_execz .LBB295_1080
; %bb.1069:
	v_lshl_add_u32 v0, v15, 2, v9
	s_and_saveexec_b32 s1, vcc_lo
	s_cbranch_execnz .LBB295_1104
; %bb.1070:
	s_or_b32 exec_lo, exec_lo, s1
	s_and_saveexec_b32 s1, vcc_lo
	s_cbranch_execnz .LBB295_1105
.LBB295_1071:
	s_or_b32 exec_lo, exec_lo, s1
	s_and_saveexec_b32 s1, vcc_lo
	s_cbranch_execnz .LBB295_1106
.LBB295_1072:
	s_or_b32 exec_lo, exec_lo, s1
	s_and_saveexec_b32 s1, vcc_lo
	s_cbranch_execnz .LBB295_1107
.LBB295_1073:
	s_or_b32 exec_lo, exec_lo, s1
	s_and_saveexec_b32 s1, vcc_lo
	s_cbranch_execnz .LBB295_1108
.LBB295_1074:
	s_or_b32 exec_lo, exec_lo, s1
	s_and_saveexec_b32 s1, vcc_lo
	s_cbranch_execnz .LBB295_1109
.LBB295_1075:
	s_or_b32 exec_lo, exec_lo, s1
	s_and_saveexec_b32 s1, vcc_lo
	s_cbranch_execz .LBB295_1077
.LBB295_1076:
	ds_read_b32 v9, v0 offset:384
	s_waitcnt lgkmcnt(0)
	v_add_f32_e32 v2, v2, v9
.LBB295_1077:
	s_or_b32 exec_lo, exec_lo, s1
	v_or_b32_e32 v9, 0x70, v15
	v_cmp_gt_u32_e64 s1, 0x78, v9
	s_and_b32 s4, vcc_lo, s1
	s_and_saveexec_b32 s1, s4
	s_cbranch_execz .LBB295_1079
; %bb.1078:
	ds_read_b32 v0, v0 offset:448
	s_waitcnt lgkmcnt(0)
	v_add_f32_e32 v1, v1, v0
.LBB295_1079:
	s_or_b32 exec_lo, exec_lo, s1
.LBB295_1080:
	s_or_b32 exec_lo, exec_lo, s3
	s_barrier
	buffer_gl0_inv
	s_and_saveexec_b32 s1, s0
	s_cbranch_execz .LBB295_1097
; %bb.1081:
	s_mul_i32 s0, s2, 0x78
	s_mul_i32 s2, s11, s10
	s_ashr_i32 s1, s0, 31
	v_lshlrev_b32_e32 v0, 1, v12
	s_lshl_b64 s[0:1], s[0:1], 1
	s_add_u32 s4, s24, s0
	s_addc_u32 s5, s25, s1
	s_ashr_i32 s3, s2, 31
	s_lshl_b64 s[0:1], s[2:3], 1
	s_mul_i32 s2, s8, 0x78
	s_add_u32 s4, s4, s0
	s_addc_u32 s5, s5, s1
	s_ashr_i32 s3, s2, 31
	s_lshl_b64 s[0:1], s[2:3], 1
	s_add_u32 s2, s4, s0
	s_addc_u32 s3, s5, s1
	s_and_saveexec_b32 s0, vcc_lo
	s_cbranch_execz .LBB295_1083
; %bb.1082:
	;;#ASMSTART
	v_cvt_f16_f32 v8, v8;

	;;#ASMEND
	global_store_short v0, v8, s[2:3]
.LBB295_1083:
	s_or_b32 exec_lo, exec_lo, s0
	v_or_b32_e32 v8, 16, v12
	v_cmp_gt_u32_e64 s0, 0x78, v8
	s_and_b32 s1, vcc_lo, s0
	s_and_saveexec_b32 s0, s1
	s_cbranch_execz .LBB295_1085
; %bb.1084:
	;;#ASMSTART
	v_cvt_f16_f32 v7, v7;

	;;#ASMEND
	global_store_short v0, v7, s[2:3] offset:32
.LBB295_1085:
	s_or_b32 exec_lo, exec_lo, s0
	v_or_b32_e32 v7, 32, v12
	v_cmp_gt_u32_e64 s0, 0x78, v7
	s_and_b32 s1, vcc_lo, s0
	s_and_saveexec_b32 s0, s1
	s_cbranch_execz .LBB295_1087
; %bb.1086:
	;;#ASMSTART
	v_cvt_f16_f32 v6, v6;

	;;#ASMEND
	global_store_short v0, v6, s[2:3] offset:64
.LBB295_1087:
	;; [unrolled: 13-line block ×6, first 2 shown]
	s_or_b32 exec_lo, exec_lo, s0
	v_or_b32_e32 v2, 0x70, v12
	v_cmp_gt_u32_e64 s0, 0x78, v2
	s_and_b32 s0, vcc_lo, s0
	s_and_b32 exec_lo, exec_lo, s0
	s_cbranch_execz .LBB295_1097
; %bb.1096:
	;;#ASMSTART
	v_cvt_f16_f32 v1, v1;

	;;#ASMEND
	global_store_short v0, v1, s[2:3] offset:224
.LBB295_1097:
	s_endpgm
.LBB295_1098:
	v_lshl_add_u32 v10, v15, 2, v9
	ds_read_b32 v10, v10
	s_waitcnt lgkmcnt(0)
	v_add_f32_e32 v8, v8, v10
	s_or_b32 exec_lo, exec_lo, s0
	s_and_saveexec_b32 s0, vcc_lo
	s_cbranch_execz .LBB295_1054
.LBB295_1099:
	v_lshl_add_u32 v10, v15, 2, v9
	ds_read_b32 v10, v10 offset:64
	s_waitcnt lgkmcnt(0)
	v_add_f32_e32 v7, v7, v10
	s_or_b32 exec_lo, exec_lo, s0
	s_and_saveexec_b32 s0, vcc_lo
	s_cbranch_execz .LBB295_1055
.LBB295_1100:
	v_lshl_add_u32 v10, v15, 2, v9
	ds_read_b32 v10, v10 offset:128
	s_waitcnt lgkmcnt(0)
	v_add_f32_e32 v6, v6, v10
	s_or_b32 exec_lo, exec_lo, s0
	s_and_saveexec_b32 s0, vcc_lo
	s_cbranch_execz .LBB295_1056
.LBB295_1101:
	v_lshl_add_u32 v10, v15, 2, v9
	ds_read_b32 v10, v10 offset:192
	s_waitcnt lgkmcnt(0)
	v_add_f32_e32 v5, v5, v10
	s_or_b32 exec_lo, exec_lo, s0
	s_and_saveexec_b32 s0, vcc_lo
	s_cbranch_execz .LBB295_1057
.LBB295_1102:
	v_lshl_add_u32 v10, v15, 2, v9
	ds_read_b32 v10, v10 offset:256
	s_waitcnt lgkmcnt(0)
	v_add_f32_e32 v4, v4, v10
	s_or_b32 exec_lo, exec_lo, s0
	s_and_saveexec_b32 s0, vcc_lo
	s_cbranch_execz .LBB295_1058
.LBB295_1103:
	v_lshl_add_u32 v10, v15, 2, v9
	ds_read_b32 v10, v10 offset:320
	s_waitcnt lgkmcnt(0)
	v_add_f32_e32 v3, v3, v10
	s_or_b32 exec_lo, exec_lo, s0
	s_and_saveexec_b32 s0, vcc_lo
	s_cbranch_execnz .LBB295_1059
	s_branch .LBB295_1060
.LBB295_1104:
	ds_read_b32 v9, v0
	s_waitcnt lgkmcnt(0)
	v_add_f32_e32 v8, v8, v9
	s_or_b32 exec_lo, exec_lo, s1
	s_and_saveexec_b32 s1, vcc_lo
	s_cbranch_execz .LBB295_1071
.LBB295_1105:
	ds_read_b32 v9, v0 offset:64
	s_waitcnt lgkmcnt(0)
	v_add_f32_e32 v7, v7, v9
	s_or_b32 exec_lo, exec_lo, s1
	s_and_saveexec_b32 s1, vcc_lo
	s_cbranch_execz .LBB295_1072
.LBB295_1106:
	ds_read_b32 v9, v0 offset:128
	s_waitcnt lgkmcnt(0)
	v_add_f32_e32 v6, v6, v9
	s_or_b32 exec_lo, exec_lo, s1
	s_and_saveexec_b32 s1, vcc_lo
	s_cbranch_execz .LBB295_1073
.LBB295_1107:
	ds_read_b32 v9, v0 offset:192
	s_waitcnt lgkmcnt(0)
	v_add_f32_e32 v5, v5, v9
	s_or_b32 exec_lo, exec_lo, s1
	s_and_saveexec_b32 s1, vcc_lo
	s_cbranch_execz .LBB295_1074
.LBB295_1108:
	ds_read_b32 v9, v0 offset:256
	s_waitcnt lgkmcnt(0)
	v_add_f32_e32 v4, v4, v9
	s_or_b32 exec_lo, exec_lo, s1
	s_and_saveexec_b32 s1, vcc_lo
	s_cbranch_execz .LBB295_1075
.LBB295_1109:
	ds_read_b32 v9, v0 offset:320
	s_waitcnt lgkmcnt(0)
	v_add_f32_e32 v3, v3, v9
	s_or_b32 exec_lo, exec_lo, s1
	s_and_saveexec_b32 s1, vcc_lo
	s_cbranch_execnz .LBB295_1076
	s_branch .LBB295_1077
	.section	.rodata,"a",@progbits
	.p2align	6, 0x0
	.amdhsa_kernel _ZN4vllm25paged_attention_v2_kernelIthLi120ELi16ELi128ELNS_18Fp8KVCacheDataTypeE1ELb0ELi512EEEvPfS2_PT_PKS3_PKT0_S9_ifPKiSB_iPKfiiiSD_SD_iiiii
		.amdhsa_group_segment_fixed_size 272
		.amdhsa_private_segment_fixed_size 0
		.amdhsa_kernarg_size 400
		.amdhsa_user_sgpr_count 6
		.amdhsa_user_sgpr_private_segment_buffer 1
		.amdhsa_user_sgpr_dispatch_ptr 0
		.amdhsa_user_sgpr_queue_ptr 0
		.amdhsa_user_sgpr_kernarg_segment_ptr 1
		.amdhsa_user_sgpr_dispatch_id 0
		.amdhsa_user_sgpr_flat_scratch_init 0
		.amdhsa_user_sgpr_private_segment_size 0
		.amdhsa_wavefront_size32 1
		.amdhsa_uses_dynamic_stack 0
		.amdhsa_system_sgpr_private_segment_wavefront_offset 0
		.amdhsa_system_sgpr_workgroup_id_x 1
		.amdhsa_system_sgpr_workgroup_id_y 1
		.amdhsa_system_sgpr_workgroup_id_z 1
		.amdhsa_system_sgpr_workgroup_info 0
		.amdhsa_system_vgpr_workitem_id 0
		.amdhsa_next_free_vgpr 127
		.amdhsa_next_free_sgpr 43
		.amdhsa_reserve_vcc 1
		.amdhsa_reserve_flat_scratch 0
		.amdhsa_float_round_mode_32 0
		.amdhsa_float_round_mode_16_64 0
		.amdhsa_float_denorm_mode_32 3
		.amdhsa_float_denorm_mode_16_64 3
		.amdhsa_dx10_clamp 1
		.amdhsa_ieee_mode 1
		.amdhsa_fp16_overflow 0
		.amdhsa_workgroup_processor_mode 1
		.amdhsa_memory_ordered 1
		.amdhsa_forward_progress 1
		.amdhsa_shared_vgpr_count 0
		.amdhsa_exception_fp_ieee_invalid_op 0
		.amdhsa_exception_fp_denorm_src 0
		.amdhsa_exception_fp_ieee_div_zero 0
		.amdhsa_exception_fp_ieee_overflow 0
		.amdhsa_exception_fp_ieee_underflow 0
		.amdhsa_exception_fp_ieee_inexact 0
		.amdhsa_exception_int_div_zero 0
	.end_amdhsa_kernel
	.section	.text._ZN4vllm25paged_attention_v2_kernelIthLi120ELi16ELi128ELNS_18Fp8KVCacheDataTypeE1ELb0ELi512EEEvPfS2_PT_PKS3_PKT0_S9_ifPKiSB_iPKfiiiSD_SD_iiiii,"axG",@progbits,_ZN4vllm25paged_attention_v2_kernelIthLi120ELi16ELi128ELNS_18Fp8KVCacheDataTypeE1ELb0ELi512EEEvPfS2_PT_PKS3_PKT0_S9_ifPKiSB_iPKfiiiSD_SD_iiiii,comdat
.Lfunc_end295:
	.size	_ZN4vllm25paged_attention_v2_kernelIthLi120ELi16ELi128ELNS_18Fp8KVCacheDataTypeE1ELb0ELi512EEEvPfS2_PT_PKS3_PKT0_S9_ifPKiSB_iPKfiiiSD_SD_iiiii, .Lfunc_end295-_ZN4vllm25paged_attention_v2_kernelIthLi120ELi16ELi128ELNS_18Fp8KVCacheDataTypeE1ELb0ELi512EEEvPfS2_PT_PKS3_PKT0_S9_ifPKiSB_iPKfiiiSD_SD_iiiii
                                        ; -- End function
	.set _ZN4vllm25paged_attention_v2_kernelIthLi120ELi16ELi128ELNS_18Fp8KVCacheDataTypeE1ELb0ELi512EEEvPfS2_PT_PKS3_PKT0_S9_ifPKiSB_iPKfiiiSD_SD_iiiii.num_vgpr, 127
	.set _ZN4vllm25paged_attention_v2_kernelIthLi120ELi16ELi128ELNS_18Fp8KVCacheDataTypeE1ELb0ELi512EEEvPfS2_PT_PKS3_PKT0_S9_ifPKiSB_iPKfiiiSD_SD_iiiii.num_agpr, 0
	.set _ZN4vllm25paged_attention_v2_kernelIthLi120ELi16ELi128ELNS_18Fp8KVCacheDataTypeE1ELb0ELi512EEEvPfS2_PT_PKS3_PKT0_S9_ifPKiSB_iPKfiiiSD_SD_iiiii.numbered_sgpr, 43
	.set _ZN4vllm25paged_attention_v2_kernelIthLi120ELi16ELi128ELNS_18Fp8KVCacheDataTypeE1ELb0ELi512EEEvPfS2_PT_PKS3_PKT0_S9_ifPKiSB_iPKfiiiSD_SD_iiiii.num_named_barrier, 0
	.set _ZN4vllm25paged_attention_v2_kernelIthLi120ELi16ELi128ELNS_18Fp8KVCacheDataTypeE1ELb0ELi512EEEvPfS2_PT_PKS3_PKT0_S9_ifPKiSB_iPKfiiiSD_SD_iiiii.private_seg_size, 0
	.set _ZN4vllm25paged_attention_v2_kernelIthLi120ELi16ELi128ELNS_18Fp8KVCacheDataTypeE1ELb0ELi512EEEvPfS2_PT_PKS3_PKT0_S9_ifPKiSB_iPKfiiiSD_SD_iiiii.uses_vcc, 1
	.set _ZN4vllm25paged_attention_v2_kernelIthLi120ELi16ELi128ELNS_18Fp8KVCacheDataTypeE1ELb0ELi512EEEvPfS2_PT_PKS3_PKT0_S9_ifPKiSB_iPKfiiiSD_SD_iiiii.uses_flat_scratch, 0
	.set _ZN4vllm25paged_attention_v2_kernelIthLi120ELi16ELi128ELNS_18Fp8KVCacheDataTypeE1ELb0ELi512EEEvPfS2_PT_PKS3_PKT0_S9_ifPKiSB_iPKfiiiSD_SD_iiiii.has_dyn_sized_stack, 0
	.set _ZN4vllm25paged_attention_v2_kernelIthLi120ELi16ELi128ELNS_18Fp8KVCacheDataTypeE1ELb0ELi512EEEvPfS2_PT_PKS3_PKT0_S9_ifPKiSB_iPKfiiiSD_SD_iiiii.has_recursion, 0
	.set _ZN4vllm25paged_attention_v2_kernelIthLi120ELi16ELi128ELNS_18Fp8KVCacheDataTypeE1ELb0ELi512EEEvPfS2_PT_PKS3_PKT0_S9_ifPKiSB_iPKfiiiSD_SD_iiiii.has_indirect_call, 0
	.section	.AMDGPU.csdata,"",@progbits
; Kernel info:
; codeLenInByte = 35796
; TotalNumSgprs: 45
; NumVgprs: 127
; ScratchSize: 0
; MemoryBound: 0
; FloatMode: 240
; IeeeMode: 1
; LDSByteSize: 272 bytes/workgroup (compile time only)
; SGPRBlocks: 0
; VGPRBlocks: 15
; NumSGPRsForWavesPerEU: 45
; NumVGPRsForWavesPerEU: 127
; Occupancy: 8
; WaveLimiterHint : 1
; COMPUTE_PGM_RSRC2:SCRATCH_EN: 0
; COMPUTE_PGM_RSRC2:USER_SGPR: 6
; COMPUTE_PGM_RSRC2:TRAP_HANDLER: 0
; COMPUTE_PGM_RSRC2:TGID_X_EN: 1
; COMPUTE_PGM_RSRC2:TGID_Y_EN: 1
; COMPUTE_PGM_RSRC2:TGID_Z_EN: 1
; COMPUTE_PGM_RSRC2:TIDIG_COMP_CNT: 0
	.section	.text._ZN4vllm25paged_attention_v2_kernelIthLi128ELi16ELi128ELNS_18Fp8KVCacheDataTypeE1ELb0ELi512EEEvPfS2_PT_PKS3_PKT0_S9_ifPKiSB_iPKfiiiSD_SD_iiiii,"axG",@progbits,_ZN4vllm25paged_attention_v2_kernelIthLi128ELi16ELi128ELNS_18Fp8KVCacheDataTypeE1ELb0ELi512EEEvPfS2_PT_PKS3_PKT0_S9_ifPKiSB_iPKfiiiSD_SD_iiiii,comdat
	.protected	_ZN4vllm25paged_attention_v2_kernelIthLi128ELi16ELi128ELNS_18Fp8KVCacheDataTypeE1ELb0ELi512EEEvPfS2_PT_PKS3_PKT0_S9_ifPKiSB_iPKfiiiSD_SD_iiiii ; -- Begin function _ZN4vllm25paged_attention_v2_kernelIthLi128ELi16ELi128ELNS_18Fp8KVCacheDataTypeE1ELb0ELi512EEEvPfS2_PT_PKS3_PKT0_S9_ifPKiSB_iPKfiiiSD_SD_iiiii
	.globl	_ZN4vllm25paged_attention_v2_kernelIthLi128ELi16ELi128ELNS_18Fp8KVCacheDataTypeE1ELb0ELi512EEEvPfS2_PT_PKS3_PKT0_S9_ifPKiSB_iPKfiiiSD_SD_iiiii
	.p2align	8
	.type	_ZN4vllm25paged_attention_v2_kernelIthLi128ELi16ELi128ELNS_18Fp8KVCacheDataTypeE1ELb0ELi512EEEvPfS2_PT_PKS3_PKT0_S9_ifPKiSB_iPKfiiiSD_SD_iiiii,@function
_ZN4vllm25paged_attention_v2_kernelIthLi128ELi16ELi128ELNS_18Fp8KVCacheDataTypeE1ELb0ELi512EEEvPfS2_PT_PKS3_PKT0_S9_ifPKiSB_iPKfiiiSD_SD_iiiii: ; @_ZN4vllm25paged_attention_v2_kernelIthLi128ELi16ELi128ELNS_18Fp8KVCacheDataTypeE1ELb0ELi512EEEvPfS2_PT_PKS3_PKT0_S9_ifPKiSB_iPKfiiiSD_SD_iiiii
; %bb.0:
	s_load_dwordx2 s[0:1], s[4:5], 0x40
	s_mov_b32 s26, s7
	s_ashr_i32 s27, s7, 31
	s_lshl_b64 s[2:3], s[26:27], 2
	s_waitcnt lgkmcnt(0)
	s_add_u32 s0, s0, s2
	s_addc_u32 s1, s1, s3
	s_lshl_b32 s33, s8, 9
	s_load_dword s27, s[0:1], 0x0
	s_waitcnt lgkmcnt(0)
	s_cmp_ge_i32 s33, s27
	s_cbranch_scc1 .LBB296_1102
; %bb.1:
	s_clause 0x1
	s_load_dword s9, s[4:5], 0x90
	s_load_dwordx2 s[36:37], s[4:5], 0x30
	s_waitcnt lgkmcnt(0)
	s_abs_i32 s3, s9
	s_abs_i32 s0, s36
	v_cvt_f32_u32_e32 v1, s0
	s_sub_i32 s2, 0, s0
	v_rcp_iflag_f32_e32 v1, v1
	v_mul_f32_e32 v1, 0x4f7ffffe, v1
	v_cvt_u32_f32_e32 v1, v1
	v_readfirstlane_b32 s1, v1
	s_mul_i32 s2, s2, s1
	s_mul_hi_u32 s2, s1, s2
	s_add_i32 s1, s1, s2
	s_xor_b32 s2, s9, s36
	s_mul_hi_u32 s1, s3, s1
	s_ashr_i32 s2, s2, 31
	s_mul_i32 s7, s1, s0
	s_mov_b32 s36, 0
	s_sub_i32 s3, s3, s7
	s_add_i32 s7, s1, 1
	s_sub_i32 s10, s3, s0
	s_cmp_ge_u32 s3, s0
	s_cselect_b32 s1, s7, s1
	s_cselect_b32 s3, s10, s3
	s_add_i32 s7, s1, 1
	s_cmp_ge_u32 s3, s0
	s_cselect_b32 s0, s7, s1
	s_abs_i32 s12, s6
	s_xor_b32 s0, s0, s2
	s_sub_i32 s10, s0, s2
	s_load_dwordx2 s[0:1], s[4:5], 0x50
	s_abs_i32 s2, s10
	v_cvt_f32_u32_e32 v1, s2
	s_sub_i32 s7, 0, s2
	v_rcp_iflag_f32_e32 v1, v1
	v_mul_f32_e32 v1, 0x4f7ffffe, v1
	v_cvt_u32_f32_e32 v1, v1
	v_readfirstlane_b32 s3, v1
	s_mul_i32 s7, s7, s3
	s_mul_hi_u32 s7, s3, s7
	s_add_i32 s3, s3, s7
	s_waitcnt lgkmcnt(0)
	s_cmp_eq_u64 s[0:1], 0
	s_mul_hi_u32 s3, s12, s3
	s_cbranch_scc1 .LBB296_3
; %bb.2:
	s_ashr_i32 s7, s6, 31
	s_lshl_b64 s[14:15], s[6:7], 2
	s_add_u32 s0, s0, s14
	s_addc_u32 s1, s1, s15
	s_load_dword s36, s[0:1], 0x0
.LBB296_3:
	s_load_dwordx4 s[16:19], s[4:5], 0x58
	v_lshrrev_b32_e32 v12, 1, v0
	v_and_b32_e32 v13, 1, v0
	v_cmp_gt_u32_e64 s0, 32, v0
	v_lshlrev_b32_e32 v15, 3, v0
	s_ashr_i32 s1, s6, 31
	s_ashr_i32 s7, s10, 31
	s_lshl_b32 s10, s6, 7
	s_and_saveexec_b32 s13, s0
	s_cbranch_execz .LBB296_5
; %bb.4:
	s_load_dwordx2 s[14:15], s[4:5], 0x18
	s_waitcnt lgkmcnt(0)
	s_mul_i32 s20, s16, s26
	v_lshlrev_b32_e32 v3, 3, v12
	s_ashr_i32 s21, s20, 31
	s_lshl_b64 s[20:21], s[20:21], 1
	v_lshl_add_u32 v3, v13, 7, v3
	s_add_u32 s16, s14, s20
	s_addc_u32 s19, s15, s21
	s_ashr_i32 s11, s10, 31
	s_lshl_b64 s[14:15], s[10:11], 1
	s_add_u32 s14, s16, s14
	s_addc_u32 s15, s19, s15
	global_load_dwordx2 v[1:2], v15, s[14:15]
	s_waitcnt vmcnt(0)
	ds_write_b64 v3, v[1:2]
.LBB296_5:
	s_or_b32 exec_lo, exec_lo, s13
	s_add_i32 s11, s27, 15
	s_waitcnt lgkmcnt(0)
	s_lshl_b32 s19, s8, 5
	s_ashr_i32 s13, s11, 31
	s_xor_b32 s1, s1, s7
	s_lshr_b32 s13, s13, 28
	s_add_i32 s7, s19, 32
	s_add_i32 s11, s11, s13
	s_mul_i32 s13, s3, s2
	s_ashr_i32 s16, s11, 4
	s_sub_i32 s12, s12, s13
	s_min_i32 s11, s7, s16
	s_clause 0x1
	s_load_dwordx2 s[28:29], s[4:5], 0x38
	s_load_dword s7, s[4:5], 0x48
	s_add_i32 s13, s3, 1
	s_sub_i32 s14, s12, s2
	s_cmp_ge_u32 s12, s2
	v_lshrrev_b32_e32 v14, 5, v0
	s_cselect_b32 s3, s13, s3
	s_cselect_b32 s12, s14, s12
	s_add_i32 s13, s3, 1
	s_cmp_ge_u32 s12, s2
	v_or_b32_e32 v1, s19, v14
	s_cselect_b32 s2, s13, s3
	v_mbcnt_lo_u32_b32 v16, -1, 0
	s_xor_b32 s2, s2, s1
	s_mov_b32 s3, exec_lo
	s_sub_i32 s2, s2, s1
	v_cmp_gt_i32_e64 s1, s11, v1
	s_waitcnt lgkmcnt(0)
	s_barrier
	buffer_gl0_inv
                                        ; implicit-def: $vgpr4
                                        ; implicit-def: $vgpr17
	s_mul_i32 s30, s7, s26
	s_ashr_i32 s31, s30, 31
	v_cmpx_le_i32_e64 s11, v1
	s_xor_b32 s3, exec_lo, s3
; %bb.6:
	v_mov_b32_e32 v4, 0
	v_mbcnt_lo_u32_b32 v16, -1, 0
	v_mov_b32_e32 v17, 32
; %bb.7:
	s_or_saveexec_b32 s38, s3
	s_clause 0x4
	s_load_dwordx4 s[20:23], s[4:5], 0x0
	s_load_dwordx2 s[24:25], s[4:5], 0x10
	s_load_dword s7, s[4:5], 0x98
	s_load_dwordx2 s[34:35], s[4:5], 0x28
	s_load_dwordx4 s[12:15], s[4:5], 0x68
	v_mov_b32_e32 v18, 0xff7fffff
	v_ashrrev_i32_e32 v2, 31, v1
	s_mul_i32 s18, s2, s18
	s_xor_b32 exec_lo, exec_lo, s38
	s_cbranch_execz .LBB296_525
; %bb.8:
	s_load_dwordx2 s[4:5], s[4:5], 0x20
	v_bfe_u32 v3, v0, 1, 4
	v_lshlrev_b32_e32 v9, 4, v14
	s_ashr_i32 s3, s18, 31
	v_lshlrev_b32_e32 v6, 2, v13
	v_lshlrev_b64 v[7:8], 2, v[1:2]
	v_lshlrev_b32_e32 v5, 2, v3
	v_lshlrev_b32_e32 v10, 4, v3
	v_add3_u32 v20, s33, v9, v3
	v_mov_b32_e32 v4, 0
	v_lshlrev_b32_e32 v19, 7, v13
	v_lshl_or_b32 v5, v14, 6, v5
	v_cmp_neq_f32_e64 s2, s36, 0
	v_mov_b32_e32 v18, 0xff7fffff
	v_mov_b32_e32 v17, 32
	;; [unrolled: 1-line block ×3, first 2 shown]
	v_add_nc_u32_e32 v21, 0x120, v5
	v_mov_b32_e32 v23, 0x7f
	v_mov_b32_e32 v24, 7
	v_mov_b32_e32 v25, 8
	s_waitcnt lgkmcnt(0)
	s_add_u32 s4, s4, s18
	s_addc_u32 s3, s5, s3
	v_add_co_u32 v3, s4, s4, v10
	v_add_co_ci_u32_e64 v9, null, s3, 0, s4
	s_lshl_b64 s[40:41], s[30:31], 2
	s_sub_i32 s5, 1, s27
	s_add_u32 s4, s28, s40
	v_add_co_u32 v5, s3, v3, v6
	s_addc_u32 s39, s29, s41
	v_add_co_ci_u32_e64 v6, null, 0, v9, s3
	v_add_co_u32 v7, s3, s4, v7
	v_add_co_ci_u32_e64 v8, null, s39, v8, s3
	v_mov_b32_e32 v26, v1
	s_mov_b32 s40, s17
	s_mov_b32 s39, 0
	v_cmp_eq_u32_e32 vcc_lo, 0, v13
	s_branch .LBB296_10
.LBB296_9:                              ;   in Loop: Header=BB296_10 Depth=1
	s_or_b32 exec_lo, exec_lo, s4
	v_add_nc_u32_e32 v26, 4, v26
	v_add_co_u32 v7, s4, v7, 16
	v_add_nc_u32_e32 v20, 64, v20
	v_add_nc_u32_e32 v21, 0x100, v21
	v_cmp_le_i32_e64 s3, s11, v26
	v_add_co_ci_u32_e64 v8, null, 0, v8, s4
	s_or_b32 s39, s3, s39
	s_andn2_b32 exec_lo, exec_lo, s39
	s_cbranch_execz .LBB296_524
.LBB296_10:                             ; =>This Inner Loop Header: Depth=1
	global_load_dword v3, v[7:8], off
	v_mov_b32_e32 v28, 0
	s_waitcnt vmcnt(0) lgkmcnt(0)
	v_mad_i64_i32 v[9:10], null, v3, s40, v[5:6]
	global_load_dword v11, v[9:10], off
	global_load_dword v27, v4, s[12:13]
	s_waitcnt vmcnt(1)
	v_cmp_ne_u16_sdwa s3, v11, v4 src0_sel:BYTE_0 src1_sel:DWORD
	s_and_saveexec_b32 s4, s3
	s_cbranch_execz .LBB296_18
; %bb.11:                               ;   in Loop: Header=BB296_10 Depth=1
	v_cmp_ne_u16_sdwa s3, v11, v22 src0_sel:BYTE_0 src1_sel:DWORD
	v_mov_b32_e32 v28, 0x8000
	s_and_saveexec_b32 s41, s3
	s_cbranch_execz .LBB296_17
; %bb.12:                               ;   in Loop: Header=BB296_10 Depth=1
	v_and_b32_e32 v29, 0x7f, v11
	v_mov_b32_e32 v28, 0x7c01
	s_mov_b32 s42, exec_lo
	v_cmpx_ne_u32_e32 0x7f, v29
	s_cbranch_execz .LBB296_16
; %bb.13:                               ;   in Loop: Header=BB296_10 Depth=1
	v_and_b32_e32 v3, 7, v11
	v_lshrrev_b32_e32 v28, 3, v29
	s_mov_b32 s43, exec_lo
	v_cmpx_gt_u32_e32 8, v29
; %bb.14:                               ;   in Loop: Header=BB296_10 Depth=1
	v_ffbh_u32_e32 v3, v3
	v_min_u32_e32 v3, 32, v3
	v_subrev_nc_u32_e32 v28, 28, v3
	v_lshlrev_b64 v[29:30], v28, v[11:12]
	v_sub_nc_u32_e32 v28, 29, v3
	v_and_b32_e32 v3, 7, v29
; %bb.15:                               ;   in Loop: Header=BB296_10 Depth=1
	s_or_b32 exec_lo, exec_lo, s43
	v_lshlrev_b32_e32 v29, 8, v11
	v_lshl_add_u32 v28, v28, 10, 0x2000
	v_lshlrev_b32_e32 v3, 7, v3
	v_and_b32_e32 v29, 0x8000, v29
	v_and_b32_e32 v28, 0xfc00, v28
	v_or3_b32 v28, v29, v28, v3
.LBB296_16:                             ;   in Loop: Header=BB296_10 Depth=1
	s_or_b32 exec_lo, exec_lo, s42
.LBB296_17:                             ;   in Loop: Header=BB296_10 Depth=1
	s_or_b32 exec_lo, exec_lo, s41
.LBB296_18:                             ;   in Loop: Header=BB296_10 Depth=1
	s_or_b32 exec_lo, exec_lo, s4
	v_lshrrev_b16 v3, 8, v11
	v_mov_b32_e32 v29, 0
	s_mov_b32 s4, exec_lo
	v_cmpx_ne_u16_e32 0, v3
	s_cbranch_execz .LBB296_26
; %bb.19:                               ;   in Loop: Header=BB296_10 Depth=1
	v_bfrev_b32_e32 v29, 1
	s_mov_b32 s41, exec_lo
	v_cmpx_ne_u16_e32 0x80, v3
	s_cbranch_execz .LBB296_25
; %bb.20:                               ;   in Loop: Header=BB296_10 Depth=1
	v_and_b32_sdwa v31, v3, v23 dst_sel:DWORD dst_unused:UNUSED_PAD src0_sel:WORD_0 src1_sel:DWORD
	v_mov_b32_e32 v29, 0x7c010000
	s_mov_b32 s42, exec_lo
	v_cmpx_ne_u32_e32 0x7f, v31
	s_cbranch_execz .LBB296_24
; %bb.21:                               ;   in Loop: Header=BB296_10 Depth=1
	v_and_b32_sdwa v29, v3, v24 dst_sel:DWORD dst_unused:UNUSED_PAD src0_sel:WORD_0 src1_sel:DWORD
	v_lshrrev_b32_e32 v30, 3, v31
	s_mov_b32 s43, exec_lo
	v_cmpx_gt_u32_e32 8, v31
; %bb.22:                               ;   in Loop: Header=BB296_10 Depth=1
	v_ffbh_u32_e32 v29, v29
	v_min_u32_e32 v31, 32, v29
	v_subrev_nc_u32_e32 v29, 28, v31
	v_lshlrev_b64 v[29:30], v29, v[3:4]
	v_sub_nc_u32_e32 v30, 29, v31
	v_and_b32_e32 v29, 7, v29
; %bb.23:                               ;   in Loop: Header=BB296_10 Depth=1
	s_or_b32 exec_lo, exec_lo, s43
	v_lshlrev_b32_sdwa v3, v25, v3 dst_sel:DWORD dst_unused:UNUSED_PAD src0_sel:DWORD src1_sel:WORD_0
	v_lshl_add_u32 v30, v30, 10, 0x2000
	v_lshlrev_b32_e32 v29, 23, v29
	v_and_or_b32 v3, 0x8000, v3, v30
	v_lshl_or_b32 v29, v3, 16, v29
.LBB296_24:                             ;   in Loop: Header=BB296_10 Depth=1
	s_or_b32 exec_lo, exec_lo, s42
.LBB296_25:                             ;   in Loop: Header=BB296_10 Depth=1
	s_or_b32 exec_lo, exec_lo, s41
.LBB296_26:                             ;   in Loop: Header=BB296_10 Depth=1
	s_or_b32 exec_lo, exec_lo, s4
	v_lshrrev_b32_e32 v3, 16, v11
	v_mov_b32_e32 v30, 0
	v_mov_b32_e32 v31, 0
	v_cmp_ne_u16_sdwa s3, v3, v4 src0_sel:BYTE_0 src1_sel:DWORD
	s_and_saveexec_b32 s4, s3
	s_cbranch_execz .LBB296_34
; %bb.27:                               ;   in Loop: Header=BB296_10 Depth=1
	v_cmp_ne_u16_sdwa s3, v3, v22 src0_sel:BYTE_0 src1_sel:DWORD
	v_mov_b32_e32 v31, 0x8000
	s_and_saveexec_b32 s41, s3
	s_cbranch_execz .LBB296_33
; %bb.28:                               ;   in Loop: Header=BB296_10 Depth=1
	v_bfe_u32 v33, v11, 16, 7
	v_mov_b32_e32 v31, 0x7c01
	s_mov_b32 s42, exec_lo
	v_cmpx_ne_u32_e32 0x7f, v33
	s_cbranch_execz .LBB296_32
; %bb.29:                               ;   in Loop: Header=BB296_10 Depth=1
	v_and_b32_e32 v31, 7, v3
	v_lshrrev_b32_e32 v32, 3, v33
	s_mov_b32 s43, exec_lo
	v_cmpx_gt_u32_e32 8, v33
; %bb.30:                               ;   in Loop: Header=BB296_10 Depth=1
	v_ffbh_u32_e32 v31, v31
	v_min_u32_e32 v33, 32, v31
	v_subrev_nc_u32_e32 v31, 28, v33
	v_lshlrev_b64 v[31:32], v31, v[3:4]
	v_sub_nc_u32_e32 v32, 29, v33
	v_and_b32_e32 v31, 7, v31
; %bb.31:                               ;   in Loop: Header=BB296_10 Depth=1
	s_or_b32 exec_lo, exec_lo, s43
	v_lshlrev_b32_e32 v3, 8, v3
	v_lshl_add_u32 v32, v32, 10, 0x2000
	v_lshlrev_b32_e32 v31, 7, v31
	v_and_b32_e32 v3, 0x8000, v3
	v_and_b32_e32 v32, 0xfc00, v32
	v_or3_b32 v31, v3, v32, v31
.LBB296_32:                             ;   in Loop: Header=BB296_10 Depth=1
	s_or_b32 exec_lo, exec_lo, s42
.LBB296_33:                             ;   in Loop: Header=BB296_10 Depth=1
	s_or_b32 exec_lo, exec_lo, s41
.LBB296_34:                             ;   in Loop: Header=BB296_10 Depth=1
	s_or_b32 exec_lo, exec_lo, s4
	s_mov_b32 s4, exec_lo
	v_cmpx_lt_u32_e32 0xffffff, v11
	s_cbranch_execz .LBB296_42
; %bb.35:                               ;   in Loop: Header=BB296_10 Depth=1
	v_lshrrev_b32_e32 v3, 24, v11
	v_bfrev_b32_e32 v30, 1
	s_mov_b32 s41, exec_lo
	v_cmpx_ne_u32_e32 0x80, v3
	s_cbranch_execz .LBB296_41
; %bb.36:                               ;   in Loop: Header=BB296_10 Depth=1
	v_and_b32_e32 v32, 0x7f, v3
	v_mov_b32_e32 v30, 0x7c010000
	s_mov_b32 s42, exec_lo
	v_cmpx_ne_u32_e32 0x7f, v32
	s_cbranch_execz .LBB296_40
; %bb.37:                               ;   in Loop: Header=BB296_10 Depth=1
	v_and_b32_e32 v11, 7, v3
	v_lshrrev_b32_e32 v30, 3, v32
	s_mov_b32 s43, exec_lo
	v_cmpx_gt_u32_e32 8, v32
; %bb.38:                               ;   in Loop: Header=BB296_10 Depth=1
	v_ffbh_u32_e32 v11, v11
	v_min_u32_e32 v11, 32, v11
	v_subrev_nc_u32_e32 v30, 28, v11
	v_lshlrev_b64 v[32:33], v30, v[3:4]
	v_sub_nc_u32_e32 v30, 29, v11
	v_and_b32_e32 v11, 7, v32
; %bb.39:                               ;   in Loop: Header=BB296_10 Depth=1
	s_or_b32 exec_lo, exec_lo, s43
	v_lshlrev_b32_e32 v3, 8, v3
	v_lshl_add_u32 v30, v30, 10, 0x2000
	v_lshlrev_b32_e32 v11, 23, v11
	v_and_or_b32 v3, 0x8000, v3, v30
	v_lshl_or_b32 v30, v3, 16, v11
.LBB296_40:                             ;   in Loop: Header=BB296_10 Depth=1
	s_or_b32 exec_lo, exec_lo, s42
.LBB296_41:                             ;   in Loop: Header=BB296_10 Depth=1
	s_or_b32 exec_lo, exec_lo, s41
.LBB296_42:                             ;   in Loop: Header=BB296_10 Depth=1
	s_or_b32 exec_lo, exec_lo, s4
	global_load_dword v11, v[9:10], off offset:8
	v_mov_b32_e32 v32, 0
	v_mov_b32_e32 v33, 0
	s_waitcnt vmcnt(0)
	v_cmp_ne_u16_sdwa s3, v11, v4 src0_sel:BYTE_0 src1_sel:DWORD
	s_and_saveexec_b32 s4, s3
	s_cbranch_execz .LBB296_50
; %bb.43:                               ;   in Loop: Header=BB296_10 Depth=1
	v_cmp_ne_u16_sdwa s3, v11, v22 src0_sel:BYTE_0 src1_sel:DWORD
	v_mov_b32_e32 v33, 0x8000
	s_and_saveexec_b32 s41, s3
	s_cbranch_execz .LBB296_49
; %bb.44:                               ;   in Loop: Header=BB296_10 Depth=1
	v_and_b32_e32 v34, 0x7f, v11
	v_mov_b32_e32 v33, 0x7c01
	s_mov_b32 s42, exec_lo
	v_cmpx_ne_u32_e32 0x7f, v34
	s_cbranch_execz .LBB296_48
; %bb.45:                               ;   in Loop: Header=BB296_10 Depth=1
	v_and_b32_e32 v3, 7, v11
	v_lshrrev_b32_e32 v33, 3, v34
	s_mov_b32 s43, exec_lo
	v_cmpx_gt_u32_e32 8, v34
; %bb.46:                               ;   in Loop: Header=BB296_10 Depth=1
	v_ffbh_u32_e32 v3, v3
	v_min_u32_e32 v3, 32, v3
	v_subrev_nc_u32_e32 v33, 28, v3
	v_lshlrev_b64 v[34:35], v33, v[11:12]
	v_sub_nc_u32_e32 v33, 29, v3
	v_and_b32_e32 v3, 7, v34
; %bb.47:                               ;   in Loop: Header=BB296_10 Depth=1
	s_or_b32 exec_lo, exec_lo, s43
	v_lshlrev_b32_e32 v34, 8, v11
	v_lshl_add_u32 v33, v33, 10, 0x2000
	v_lshlrev_b32_e32 v3, 7, v3
	v_and_b32_e32 v34, 0x8000, v34
	v_and_b32_e32 v33, 0xfc00, v33
	v_or3_b32 v33, v34, v33, v3
.LBB296_48:                             ;   in Loop: Header=BB296_10 Depth=1
	s_or_b32 exec_lo, exec_lo, s42
.LBB296_49:                             ;   in Loop: Header=BB296_10 Depth=1
	s_or_b32 exec_lo, exec_lo, s41
.LBB296_50:                             ;   in Loop: Header=BB296_10 Depth=1
	s_or_b32 exec_lo, exec_lo, s4
	v_lshrrev_b16 v3, 8, v11
	s_mov_b32 s4, exec_lo
	v_cmpx_ne_u16_e32 0, v3
	s_cbranch_execz .LBB296_58
; %bb.51:                               ;   in Loop: Header=BB296_10 Depth=1
	v_bfrev_b32_e32 v32, 1
	s_mov_b32 s41, exec_lo
	v_cmpx_ne_u16_e32 0x80, v3
	s_cbranch_execz .LBB296_57
; %bb.52:                               ;   in Loop: Header=BB296_10 Depth=1
	v_and_b32_sdwa v35, v3, v23 dst_sel:DWORD dst_unused:UNUSED_PAD src0_sel:WORD_0 src1_sel:DWORD
	v_mov_b32_e32 v32, 0x7c010000
	s_mov_b32 s42, exec_lo
	v_cmpx_ne_u32_e32 0x7f, v35
	s_cbranch_execz .LBB296_56
; %bb.53:                               ;   in Loop: Header=BB296_10 Depth=1
	v_and_b32_sdwa v32, v3, v24 dst_sel:DWORD dst_unused:UNUSED_PAD src0_sel:WORD_0 src1_sel:DWORD
	v_lshrrev_b32_e32 v34, 3, v35
	s_mov_b32 s43, exec_lo
	v_cmpx_gt_u32_e32 8, v35
; %bb.54:                               ;   in Loop: Header=BB296_10 Depth=1
	v_ffbh_u32_e32 v32, v32
	v_min_u32_e32 v32, 32, v32
	v_subrev_nc_u32_e32 v34, 28, v32
	v_lshlrev_b64 v[35:36], v34, v[3:4]
	v_sub_nc_u32_e32 v34, 29, v32
	v_and_b32_e32 v32, 7, v35
; %bb.55:                               ;   in Loop: Header=BB296_10 Depth=1
	s_or_b32 exec_lo, exec_lo, s43
	v_lshlrev_b32_sdwa v3, v25, v3 dst_sel:DWORD dst_unused:UNUSED_PAD src0_sel:DWORD src1_sel:WORD_0
	v_lshl_add_u32 v34, v34, 10, 0x2000
	v_lshlrev_b32_e32 v32, 23, v32
	v_and_or_b32 v3, 0x8000, v3, v34
	v_lshl_or_b32 v32, v3, 16, v32
.LBB296_56:                             ;   in Loop: Header=BB296_10 Depth=1
	s_or_b32 exec_lo, exec_lo, s42
.LBB296_57:                             ;   in Loop: Header=BB296_10 Depth=1
	s_or_b32 exec_lo, exec_lo, s41
.LBB296_58:                             ;   in Loop: Header=BB296_10 Depth=1
	s_or_b32 exec_lo, exec_lo, s4
	v_lshrrev_b32_e32 v3, 16, v11
	v_mov_b32_e32 v34, 0
	v_mov_b32_e32 v35, 0
	v_cmp_ne_u16_sdwa s3, v3, v4 src0_sel:BYTE_0 src1_sel:DWORD
	s_and_saveexec_b32 s4, s3
	s_cbranch_execz .LBB296_66
; %bb.59:                               ;   in Loop: Header=BB296_10 Depth=1
	v_cmp_ne_u16_sdwa s3, v3, v22 src0_sel:BYTE_0 src1_sel:DWORD
	v_mov_b32_e32 v35, 0x8000
	s_and_saveexec_b32 s41, s3
	s_cbranch_execz .LBB296_65
; %bb.60:                               ;   in Loop: Header=BB296_10 Depth=1
	v_bfe_u32 v37, v11, 16, 7
	v_mov_b32_e32 v35, 0x7c01
	s_mov_b32 s42, exec_lo
	v_cmpx_ne_u32_e32 0x7f, v37
	s_cbranch_execz .LBB296_64
; %bb.61:                               ;   in Loop: Header=BB296_10 Depth=1
	v_and_b32_e32 v35, 7, v3
	v_lshrrev_b32_e32 v36, 3, v37
	s_mov_b32 s43, exec_lo
	v_cmpx_gt_u32_e32 8, v37
; %bb.62:                               ;   in Loop: Header=BB296_10 Depth=1
	v_ffbh_u32_e32 v35, v35
	v_min_u32_e32 v37, 32, v35
	v_subrev_nc_u32_e32 v35, 28, v37
	v_lshlrev_b64 v[35:36], v35, v[3:4]
	v_sub_nc_u32_e32 v36, 29, v37
	v_and_b32_e32 v35, 7, v35
; %bb.63:                               ;   in Loop: Header=BB296_10 Depth=1
	s_or_b32 exec_lo, exec_lo, s43
	v_lshlrev_b32_e32 v3, 8, v3
	v_lshl_add_u32 v36, v36, 10, 0x2000
	v_lshlrev_b32_e32 v35, 7, v35
	v_and_b32_e32 v3, 0x8000, v3
	v_and_b32_e32 v36, 0xfc00, v36
	v_or3_b32 v35, v3, v36, v35
.LBB296_64:                             ;   in Loop: Header=BB296_10 Depth=1
	s_or_b32 exec_lo, exec_lo, s42
.LBB296_65:                             ;   in Loop: Header=BB296_10 Depth=1
	s_or_b32 exec_lo, exec_lo, s41
.LBB296_66:                             ;   in Loop: Header=BB296_10 Depth=1
	s_or_b32 exec_lo, exec_lo, s4
	s_mov_b32 s4, exec_lo
	v_cmpx_lt_u32_e32 0xffffff, v11
	s_cbranch_execz .LBB296_74
; %bb.67:                               ;   in Loop: Header=BB296_10 Depth=1
	v_lshrrev_b32_e32 v3, 24, v11
	v_bfrev_b32_e32 v34, 1
	s_mov_b32 s41, exec_lo
	v_cmpx_ne_u32_e32 0x80, v3
	s_cbranch_execz .LBB296_73
; %bb.68:                               ;   in Loop: Header=BB296_10 Depth=1
	v_and_b32_e32 v36, 0x7f, v3
	v_mov_b32_e32 v34, 0x7c010000
	s_mov_b32 s42, exec_lo
	v_cmpx_ne_u32_e32 0x7f, v36
	s_cbranch_execz .LBB296_72
; %bb.69:                               ;   in Loop: Header=BB296_10 Depth=1
	v_and_b32_e32 v11, 7, v3
	v_lshrrev_b32_e32 v34, 3, v36
	s_mov_b32 s43, exec_lo
	v_cmpx_gt_u32_e32 8, v36
; %bb.70:                               ;   in Loop: Header=BB296_10 Depth=1
	v_ffbh_u32_e32 v11, v11
	v_min_u32_e32 v11, 32, v11
	v_subrev_nc_u32_e32 v34, 28, v11
	v_lshlrev_b64 v[36:37], v34, v[3:4]
	v_sub_nc_u32_e32 v34, 29, v11
	v_and_b32_e32 v11, 7, v36
; %bb.71:                               ;   in Loop: Header=BB296_10 Depth=1
	s_or_b32 exec_lo, exec_lo, s43
	v_lshlrev_b32_e32 v3, 8, v3
	v_lshl_add_u32 v34, v34, 10, 0x2000
	v_lshlrev_b32_e32 v11, 23, v11
	v_and_or_b32 v3, 0x8000, v3, v34
	v_lshl_or_b32 v34, v3, 16, v11
.LBB296_72:                             ;   in Loop: Header=BB296_10 Depth=1
	s_or_b32 exec_lo, exec_lo, s42
.LBB296_73:                             ;   in Loop: Header=BB296_10 Depth=1
	s_or_b32 exec_lo, exec_lo, s41
.LBB296_74:                             ;   in Loop: Header=BB296_10 Depth=1
	s_or_b32 exec_lo, exec_lo, s4
	global_load_dword v11, v[9:10], off offset:256
	v_mov_b32_e32 v36, 0
	v_mov_b32_e32 v37, 0
	s_waitcnt vmcnt(0)
	v_cmp_ne_u16_sdwa s3, v11, v4 src0_sel:BYTE_0 src1_sel:DWORD
	s_and_saveexec_b32 s4, s3
	s_cbranch_execz .LBB296_82
; %bb.75:                               ;   in Loop: Header=BB296_10 Depth=1
	v_cmp_ne_u16_sdwa s3, v11, v22 src0_sel:BYTE_0 src1_sel:DWORD
	v_mov_b32_e32 v37, 0x8000
	s_and_saveexec_b32 s41, s3
	s_cbranch_execz .LBB296_81
; %bb.76:                               ;   in Loop: Header=BB296_10 Depth=1
	v_and_b32_e32 v38, 0x7f, v11
	v_mov_b32_e32 v37, 0x7c01
	s_mov_b32 s42, exec_lo
	v_cmpx_ne_u32_e32 0x7f, v38
	s_cbranch_execz .LBB296_80
; %bb.77:                               ;   in Loop: Header=BB296_10 Depth=1
	v_and_b32_e32 v3, 7, v11
	v_lshrrev_b32_e32 v37, 3, v38
	s_mov_b32 s43, exec_lo
	v_cmpx_gt_u32_e32 8, v38
; %bb.78:                               ;   in Loop: Header=BB296_10 Depth=1
	v_ffbh_u32_e32 v3, v3
	v_min_u32_e32 v3, 32, v3
	v_subrev_nc_u32_e32 v37, 28, v3
	v_lshlrev_b64 v[38:39], v37, v[11:12]
	v_sub_nc_u32_e32 v37, 29, v3
	v_and_b32_e32 v3, 7, v38
; %bb.79:                               ;   in Loop: Header=BB296_10 Depth=1
	s_or_b32 exec_lo, exec_lo, s43
	v_lshlrev_b32_e32 v38, 8, v11
	v_lshl_add_u32 v37, v37, 10, 0x2000
	v_lshlrev_b32_e32 v3, 7, v3
	v_and_b32_e32 v38, 0x8000, v38
	v_and_b32_e32 v37, 0xfc00, v37
	v_or3_b32 v37, v38, v37, v3
.LBB296_80:                             ;   in Loop: Header=BB296_10 Depth=1
	s_or_b32 exec_lo, exec_lo, s42
.LBB296_81:                             ;   in Loop: Header=BB296_10 Depth=1
	s_or_b32 exec_lo, exec_lo, s41
.LBB296_82:                             ;   in Loop: Header=BB296_10 Depth=1
	s_or_b32 exec_lo, exec_lo, s4
	v_lshrrev_b16 v3, 8, v11
	s_mov_b32 s4, exec_lo
	v_cmpx_ne_u16_e32 0, v3
	s_cbranch_execz .LBB296_90
; %bb.83:                               ;   in Loop: Header=BB296_10 Depth=1
	v_bfrev_b32_e32 v36, 1
	s_mov_b32 s41, exec_lo
	v_cmpx_ne_u16_e32 0x80, v3
	s_cbranch_execz .LBB296_89
; %bb.84:                               ;   in Loop: Header=BB296_10 Depth=1
	v_and_b32_sdwa v39, v3, v23 dst_sel:DWORD dst_unused:UNUSED_PAD src0_sel:WORD_0 src1_sel:DWORD
	v_mov_b32_e32 v36, 0x7c010000
	s_mov_b32 s42, exec_lo
	v_cmpx_ne_u32_e32 0x7f, v39
	s_cbranch_execz .LBB296_88
; %bb.85:                               ;   in Loop: Header=BB296_10 Depth=1
	v_and_b32_sdwa v36, v3, v24 dst_sel:DWORD dst_unused:UNUSED_PAD src0_sel:WORD_0 src1_sel:DWORD
	v_lshrrev_b32_e32 v38, 3, v39
	s_mov_b32 s43, exec_lo
	v_cmpx_gt_u32_e32 8, v39
; %bb.86:                               ;   in Loop: Header=BB296_10 Depth=1
	v_ffbh_u32_e32 v36, v36
	v_min_u32_e32 v36, 32, v36
	v_subrev_nc_u32_e32 v38, 28, v36
	v_lshlrev_b64 v[39:40], v38, v[3:4]
	v_sub_nc_u32_e32 v38, 29, v36
	v_and_b32_e32 v36, 7, v39
; %bb.87:                               ;   in Loop: Header=BB296_10 Depth=1
	s_or_b32 exec_lo, exec_lo, s43
	v_lshlrev_b32_sdwa v3, v25, v3 dst_sel:DWORD dst_unused:UNUSED_PAD src0_sel:DWORD src1_sel:WORD_0
	v_lshl_add_u32 v38, v38, 10, 0x2000
	v_lshlrev_b32_e32 v36, 23, v36
	v_and_or_b32 v3, 0x8000, v3, v38
	v_lshl_or_b32 v36, v3, 16, v36
.LBB296_88:                             ;   in Loop: Header=BB296_10 Depth=1
	s_or_b32 exec_lo, exec_lo, s42
.LBB296_89:                             ;   in Loop: Header=BB296_10 Depth=1
	s_or_b32 exec_lo, exec_lo, s41
.LBB296_90:                             ;   in Loop: Header=BB296_10 Depth=1
	s_or_b32 exec_lo, exec_lo, s4
	v_lshrrev_b32_e32 v3, 16, v11
	v_mov_b32_e32 v38, 0
	v_mov_b32_e32 v39, 0
	v_cmp_ne_u16_sdwa s3, v3, v4 src0_sel:BYTE_0 src1_sel:DWORD
	s_and_saveexec_b32 s4, s3
	s_cbranch_execz .LBB296_98
; %bb.91:                               ;   in Loop: Header=BB296_10 Depth=1
	v_cmp_ne_u16_sdwa s3, v3, v22 src0_sel:BYTE_0 src1_sel:DWORD
	v_mov_b32_e32 v39, 0x8000
	s_and_saveexec_b32 s41, s3
	s_cbranch_execz .LBB296_97
; %bb.92:                               ;   in Loop: Header=BB296_10 Depth=1
	v_bfe_u32 v41, v11, 16, 7
	v_mov_b32_e32 v39, 0x7c01
	s_mov_b32 s42, exec_lo
	v_cmpx_ne_u32_e32 0x7f, v41
	s_cbranch_execz .LBB296_96
; %bb.93:                               ;   in Loop: Header=BB296_10 Depth=1
	v_and_b32_e32 v39, 7, v3
	v_lshrrev_b32_e32 v40, 3, v41
	s_mov_b32 s43, exec_lo
	v_cmpx_gt_u32_e32 8, v41
; %bb.94:                               ;   in Loop: Header=BB296_10 Depth=1
	v_ffbh_u32_e32 v39, v39
	v_min_u32_e32 v41, 32, v39
	v_subrev_nc_u32_e32 v39, 28, v41
	v_lshlrev_b64 v[39:40], v39, v[3:4]
	v_sub_nc_u32_e32 v40, 29, v41
	v_and_b32_e32 v39, 7, v39
; %bb.95:                               ;   in Loop: Header=BB296_10 Depth=1
	s_or_b32 exec_lo, exec_lo, s43
	v_lshlrev_b32_e32 v3, 8, v3
	v_lshl_add_u32 v40, v40, 10, 0x2000
	v_lshlrev_b32_e32 v39, 7, v39
	v_and_b32_e32 v3, 0x8000, v3
	v_and_b32_e32 v40, 0xfc00, v40
	v_or3_b32 v39, v3, v40, v39
.LBB296_96:                             ;   in Loop: Header=BB296_10 Depth=1
	s_or_b32 exec_lo, exec_lo, s42
.LBB296_97:                             ;   in Loop: Header=BB296_10 Depth=1
	s_or_b32 exec_lo, exec_lo, s41
.LBB296_98:                             ;   in Loop: Header=BB296_10 Depth=1
	s_or_b32 exec_lo, exec_lo, s4
	s_mov_b32 s4, exec_lo
	v_cmpx_lt_u32_e32 0xffffff, v11
	s_cbranch_execz .LBB296_106
; %bb.99:                               ;   in Loop: Header=BB296_10 Depth=1
	v_lshrrev_b32_e32 v3, 24, v11
	v_bfrev_b32_e32 v38, 1
	s_mov_b32 s41, exec_lo
	v_cmpx_ne_u32_e32 0x80, v3
	s_cbranch_execz .LBB296_105
; %bb.100:                              ;   in Loop: Header=BB296_10 Depth=1
	v_and_b32_e32 v40, 0x7f, v3
	v_mov_b32_e32 v38, 0x7c010000
	s_mov_b32 s42, exec_lo
	v_cmpx_ne_u32_e32 0x7f, v40
	s_cbranch_execz .LBB296_104
; %bb.101:                              ;   in Loop: Header=BB296_10 Depth=1
	v_and_b32_e32 v11, 7, v3
	v_lshrrev_b32_e32 v38, 3, v40
	s_mov_b32 s43, exec_lo
	v_cmpx_gt_u32_e32 8, v40
; %bb.102:                              ;   in Loop: Header=BB296_10 Depth=1
	v_ffbh_u32_e32 v11, v11
	v_min_u32_e32 v11, 32, v11
	v_subrev_nc_u32_e32 v38, 28, v11
	v_lshlrev_b64 v[40:41], v38, v[3:4]
	v_sub_nc_u32_e32 v38, 29, v11
	v_and_b32_e32 v11, 7, v40
; %bb.103:                              ;   in Loop: Header=BB296_10 Depth=1
	s_or_b32 exec_lo, exec_lo, s43
	v_lshlrev_b32_e32 v3, 8, v3
	v_lshl_add_u32 v38, v38, 10, 0x2000
	v_lshlrev_b32_e32 v11, 23, v11
	v_and_or_b32 v3, 0x8000, v3, v38
	v_lshl_or_b32 v38, v3, 16, v11
.LBB296_104:                            ;   in Loop: Header=BB296_10 Depth=1
	s_or_b32 exec_lo, exec_lo, s42
.LBB296_105:                            ;   in Loop: Header=BB296_10 Depth=1
	s_or_b32 exec_lo, exec_lo, s41
.LBB296_106:                            ;   in Loop: Header=BB296_10 Depth=1
	s_or_b32 exec_lo, exec_lo, s4
	global_load_dword v11, v[9:10], off offset:264
	v_mov_b32_e32 v40, 0
	v_mov_b32_e32 v41, 0
	s_waitcnt vmcnt(0)
	v_cmp_ne_u16_sdwa s3, v11, v4 src0_sel:BYTE_0 src1_sel:DWORD
	s_and_saveexec_b32 s4, s3
	s_cbranch_execz .LBB296_114
; %bb.107:                              ;   in Loop: Header=BB296_10 Depth=1
	v_cmp_ne_u16_sdwa s3, v11, v22 src0_sel:BYTE_0 src1_sel:DWORD
	v_mov_b32_e32 v41, 0x8000
	s_and_saveexec_b32 s41, s3
	s_cbranch_execz .LBB296_113
; %bb.108:                              ;   in Loop: Header=BB296_10 Depth=1
	v_and_b32_e32 v42, 0x7f, v11
	v_mov_b32_e32 v41, 0x7c01
	s_mov_b32 s42, exec_lo
	v_cmpx_ne_u32_e32 0x7f, v42
	s_cbranch_execz .LBB296_112
; %bb.109:                              ;   in Loop: Header=BB296_10 Depth=1
	v_and_b32_e32 v3, 7, v11
	v_lshrrev_b32_e32 v41, 3, v42
	s_mov_b32 s43, exec_lo
	v_cmpx_gt_u32_e32 8, v42
; %bb.110:                              ;   in Loop: Header=BB296_10 Depth=1
	v_ffbh_u32_e32 v3, v3
	v_min_u32_e32 v3, 32, v3
	v_subrev_nc_u32_e32 v41, 28, v3
	v_lshlrev_b64 v[42:43], v41, v[11:12]
	v_sub_nc_u32_e32 v41, 29, v3
	v_and_b32_e32 v3, 7, v42
; %bb.111:                              ;   in Loop: Header=BB296_10 Depth=1
	s_or_b32 exec_lo, exec_lo, s43
	v_lshlrev_b32_e32 v42, 8, v11
	v_lshl_add_u32 v41, v41, 10, 0x2000
	v_lshlrev_b32_e32 v3, 7, v3
	v_and_b32_e32 v42, 0x8000, v42
	v_and_b32_e32 v41, 0xfc00, v41
	v_or3_b32 v41, v42, v41, v3
.LBB296_112:                            ;   in Loop: Header=BB296_10 Depth=1
	s_or_b32 exec_lo, exec_lo, s42
.LBB296_113:                            ;   in Loop: Header=BB296_10 Depth=1
	s_or_b32 exec_lo, exec_lo, s41
.LBB296_114:                            ;   in Loop: Header=BB296_10 Depth=1
	s_or_b32 exec_lo, exec_lo, s4
	v_lshrrev_b16 v3, 8, v11
	s_mov_b32 s4, exec_lo
	v_cmpx_ne_u16_e32 0, v3
	s_cbranch_execz .LBB296_122
; %bb.115:                              ;   in Loop: Header=BB296_10 Depth=1
	v_bfrev_b32_e32 v40, 1
	s_mov_b32 s41, exec_lo
	v_cmpx_ne_u16_e32 0x80, v3
	s_cbranch_execz .LBB296_121
; %bb.116:                              ;   in Loop: Header=BB296_10 Depth=1
	v_and_b32_sdwa v43, v3, v23 dst_sel:DWORD dst_unused:UNUSED_PAD src0_sel:WORD_0 src1_sel:DWORD
	v_mov_b32_e32 v40, 0x7c010000
	s_mov_b32 s42, exec_lo
	v_cmpx_ne_u32_e32 0x7f, v43
	s_cbranch_execz .LBB296_120
; %bb.117:                              ;   in Loop: Header=BB296_10 Depth=1
	v_and_b32_sdwa v40, v3, v24 dst_sel:DWORD dst_unused:UNUSED_PAD src0_sel:WORD_0 src1_sel:DWORD
	v_lshrrev_b32_e32 v42, 3, v43
	s_mov_b32 s43, exec_lo
	v_cmpx_gt_u32_e32 8, v43
; %bb.118:                              ;   in Loop: Header=BB296_10 Depth=1
	v_ffbh_u32_e32 v40, v40
	v_min_u32_e32 v40, 32, v40
	v_subrev_nc_u32_e32 v42, 28, v40
	v_lshlrev_b64 v[43:44], v42, v[3:4]
	v_sub_nc_u32_e32 v42, 29, v40
	v_and_b32_e32 v40, 7, v43
; %bb.119:                              ;   in Loop: Header=BB296_10 Depth=1
	s_or_b32 exec_lo, exec_lo, s43
	v_lshlrev_b32_sdwa v3, v25, v3 dst_sel:DWORD dst_unused:UNUSED_PAD src0_sel:DWORD src1_sel:WORD_0
	v_lshl_add_u32 v42, v42, 10, 0x2000
	v_lshlrev_b32_e32 v40, 23, v40
	v_and_or_b32 v3, 0x8000, v3, v42
	v_lshl_or_b32 v40, v3, 16, v40
.LBB296_120:                            ;   in Loop: Header=BB296_10 Depth=1
	s_or_b32 exec_lo, exec_lo, s42
.LBB296_121:                            ;   in Loop: Header=BB296_10 Depth=1
	s_or_b32 exec_lo, exec_lo, s41
.LBB296_122:                            ;   in Loop: Header=BB296_10 Depth=1
	s_or_b32 exec_lo, exec_lo, s4
	v_lshrrev_b32_e32 v3, 16, v11
	v_mov_b32_e32 v42, 0
	v_mov_b32_e32 v43, 0
	v_cmp_ne_u16_sdwa s3, v3, v4 src0_sel:BYTE_0 src1_sel:DWORD
	s_and_saveexec_b32 s4, s3
	s_cbranch_execz .LBB296_130
; %bb.123:                              ;   in Loop: Header=BB296_10 Depth=1
	v_cmp_ne_u16_sdwa s3, v3, v22 src0_sel:BYTE_0 src1_sel:DWORD
	v_mov_b32_e32 v43, 0x8000
	s_and_saveexec_b32 s41, s3
	s_cbranch_execz .LBB296_129
; %bb.124:                              ;   in Loop: Header=BB296_10 Depth=1
	v_bfe_u32 v45, v11, 16, 7
	v_mov_b32_e32 v43, 0x7c01
	s_mov_b32 s42, exec_lo
	v_cmpx_ne_u32_e32 0x7f, v45
	s_cbranch_execz .LBB296_128
; %bb.125:                              ;   in Loop: Header=BB296_10 Depth=1
	v_and_b32_e32 v43, 7, v3
	v_lshrrev_b32_e32 v44, 3, v45
	s_mov_b32 s43, exec_lo
	v_cmpx_gt_u32_e32 8, v45
; %bb.126:                              ;   in Loop: Header=BB296_10 Depth=1
	v_ffbh_u32_e32 v43, v43
	v_min_u32_e32 v45, 32, v43
	v_subrev_nc_u32_e32 v43, 28, v45
	v_lshlrev_b64 v[43:44], v43, v[3:4]
	v_sub_nc_u32_e32 v44, 29, v45
	v_and_b32_e32 v43, 7, v43
; %bb.127:                              ;   in Loop: Header=BB296_10 Depth=1
	s_or_b32 exec_lo, exec_lo, s43
	v_lshlrev_b32_e32 v3, 8, v3
	v_lshl_add_u32 v44, v44, 10, 0x2000
	v_lshlrev_b32_e32 v43, 7, v43
	v_and_b32_e32 v3, 0x8000, v3
	v_and_b32_e32 v44, 0xfc00, v44
	v_or3_b32 v43, v3, v44, v43
.LBB296_128:                            ;   in Loop: Header=BB296_10 Depth=1
	s_or_b32 exec_lo, exec_lo, s42
.LBB296_129:                            ;   in Loop: Header=BB296_10 Depth=1
	s_or_b32 exec_lo, exec_lo, s41
.LBB296_130:                            ;   in Loop: Header=BB296_10 Depth=1
	s_or_b32 exec_lo, exec_lo, s4
	s_mov_b32 s4, exec_lo
	v_cmpx_lt_u32_e32 0xffffff, v11
	s_cbranch_execz .LBB296_138
; %bb.131:                              ;   in Loop: Header=BB296_10 Depth=1
	v_lshrrev_b32_e32 v3, 24, v11
	v_bfrev_b32_e32 v42, 1
	s_mov_b32 s41, exec_lo
	v_cmpx_ne_u32_e32 0x80, v3
	s_cbranch_execz .LBB296_137
; %bb.132:                              ;   in Loop: Header=BB296_10 Depth=1
	v_and_b32_e32 v44, 0x7f, v3
	v_mov_b32_e32 v42, 0x7c010000
	s_mov_b32 s42, exec_lo
	v_cmpx_ne_u32_e32 0x7f, v44
	s_cbranch_execz .LBB296_136
; %bb.133:                              ;   in Loop: Header=BB296_10 Depth=1
	v_and_b32_e32 v11, 7, v3
	v_lshrrev_b32_e32 v42, 3, v44
	s_mov_b32 s43, exec_lo
	v_cmpx_gt_u32_e32 8, v44
; %bb.134:                              ;   in Loop: Header=BB296_10 Depth=1
	v_ffbh_u32_e32 v11, v11
	v_min_u32_e32 v11, 32, v11
	v_subrev_nc_u32_e32 v42, 28, v11
	v_lshlrev_b64 v[44:45], v42, v[3:4]
	v_sub_nc_u32_e32 v42, 29, v11
	v_and_b32_e32 v11, 7, v44
; %bb.135:                              ;   in Loop: Header=BB296_10 Depth=1
	s_or_b32 exec_lo, exec_lo, s43
	v_lshlrev_b32_e32 v3, 8, v3
	v_lshl_add_u32 v42, v42, 10, 0x2000
	v_lshlrev_b32_e32 v11, 23, v11
	v_and_or_b32 v3, 0x8000, v3, v42
	v_lshl_or_b32 v42, v3, 16, v11
.LBB296_136:                            ;   in Loop: Header=BB296_10 Depth=1
	s_or_b32 exec_lo, exec_lo, s42
.LBB296_137:                            ;   in Loop: Header=BB296_10 Depth=1
	s_or_b32 exec_lo, exec_lo, s41
.LBB296_138:                            ;   in Loop: Header=BB296_10 Depth=1
	s_or_b32 exec_lo, exec_lo, s4
	global_load_dword v11, v[9:10], off offset:512
	v_mov_b32_e32 v44, 0
	v_mov_b32_e32 v45, 0
	s_waitcnt vmcnt(0)
	v_cmp_ne_u16_sdwa s3, v11, v4 src0_sel:BYTE_0 src1_sel:DWORD
	s_and_saveexec_b32 s4, s3
	s_cbranch_execz .LBB296_146
; %bb.139:                              ;   in Loop: Header=BB296_10 Depth=1
	v_cmp_ne_u16_sdwa s3, v11, v22 src0_sel:BYTE_0 src1_sel:DWORD
	v_mov_b32_e32 v45, 0x8000
	s_and_saveexec_b32 s41, s3
	s_cbranch_execz .LBB296_145
; %bb.140:                              ;   in Loop: Header=BB296_10 Depth=1
	v_and_b32_e32 v46, 0x7f, v11
	v_mov_b32_e32 v45, 0x7c01
	s_mov_b32 s42, exec_lo
	v_cmpx_ne_u32_e32 0x7f, v46
	s_cbranch_execz .LBB296_144
; %bb.141:                              ;   in Loop: Header=BB296_10 Depth=1
	v_and_b32_e32 v3, 7, v11
	v_lshrrev_b32_e32 v45, 3, v46
	s_mov_b32 s43, exec_lo
	v_cmpx_gt_u32_e32 8, v46
; %bb.142:                              ;   in Loop: Header=BB296_10 Depth=1
	v_ffbh_u32_e32 v3, v3
	v_min_u32_e32 v3, 32, v3
	v_subrev_nc_u32_e32 v45, 28, v3
	v_lshlrev_b64 v[46:47], v45, v[11:12]
	v_sub_nc_u32_e32 v45, 29, v3
	v_and_b32_e32 v3, 7, v46
; %bb.143:                              ;   in Loop: Header=BB296_10 Depth=1
	s_or_b32 exec_lo, exec_lo, s43
	v_lshlrev_b32_e32 v46, 8, v11
	v_lshl_add_u32 v45, v45, 10, 0x2000
	v_lshlrev_b32_e32 v3, 7, v3
	v_and_b32_e32 v46, 0x8000, v46
	v_and_b32_e32 v45, 0xfc00, v45
	v_or3_b32 v45, v46, v45, v3
.LBB296_144:                            ;   in Loop: Header=BB296_10 Depth=1
	s_or_b32 exec_lo, exec_lo, s42
.LBB296_145:                            ;   in Loop: Header=BB296_10 Depth=1
	s_or_b32 exec_lo, exec_lo, s41
.LBB296_146:                            ;   in Loop: Header=BB296_10 Depth=1
	s_or_b32 exec_lo, exec_lo, s4
	v_lshrrev_b16 v3, 8, v11
	s_mov_b32 s4, exec_lo
	v_cmpx_ne_u16_e32 0, v3
	s_cbranch_execz .LBB296_154
; %bb.147:                              ;   in Loop: Header=BB296_10 Depth=1
	v_bfrev_b32_e32 v44, 1
	s_mov_b32 s41, exec_lo
	v_cmpx_ne_u16_e32 0x80, v3
	s_cbranch_execz .LBB296_153
; %bb.148:                              ;   in Loop: Header=BB296_10 Depth=1
	v_and_b32_sdwa v47, v3, v23 dst_sel:DWORD dst_unused:UNUSED_PAD src0_sel:WORD_0 src1_sel:DWORD
	v_mov_b32_e32 v44, 0x7c010000
	s_mov_b32 s42, exec_lo
	v_cmpx_ne_u32_e32 0x7f, v47
	s_cbranch_execz .LBB296_152
; %bb.149:                              ;   in Loop: Header=BB296_10 Depth=1
	v_and_b32_sdwa v44, v3, v24 dst_sel:DWORD dst_unused:UNUSED_PAD src0_sel:WORD_0 src1_sel:DWORD
	v_lshrrev_b32_e32 v46, 3, v47
	s_mov_b32 s43, exec_lo
	v_cmpx_gt_u32_e32 8, v47
; %bb.150:                              ;   in Loop: Header=BB296_10 Depth=1
	v_ffbh_u32_e32 v44, v44
	v_min_u32_e32 v44, 32, v44
	v_subrev_nc_u32_e32 v46, 28, v44
	v_lshlrev_b64 v[47:48], v46, v[3:4]
	v_sub_nc_u32_e32 v46, 29, v44
	v_and_b32_e32 v44, 7, v47
; %bb.151:                              ;   in Loop: Header=BB296_10 Depth=1
	s_or_b32 exec_lo, exec_lo, s43
	v_lshlrev_b32_sdwa v3, v25, v3 dst_sel:DWORD dst_unused:UNUSED_PAD src0_sel:DWORD src1_sel:WORD_0
	v_lshl_add_u32 v46, v46, 10, 0x2000
	v_lshlrev_b32_e32 v44, 23, v44
	v_and_or_b32 v3, 0x8000, v3, v46
	v_lshl_or_b32 v44, v3, 16, v44
.LBB296_152:                            ;   in Loop: Header=BB296_10 Depth=1
	s_or_b32 exec_lo, exec_lo, s42
.LBB296_153:                            ;   in Loop: Header=BB296_10 Depth=1
	s_or_b32 exec_lo, exec_lo, s41
.LBB296_154:                            ;   in Loop: Header=BB296_10 Depth=1
	s_or_b32 exec_lo, exec_lo, s4
	v_lshrrev_b32_e32 v3, 16, v11
	v_mov_b32_e32 v46, 0
	v_mov_b32_e32 v47, 0
	v_cmp_ne_u16_sdwa s3, v3, v4 src0_sel:BYTE_0 src1_sel:DWORD
	s_and_saveexec_b32 s4, s3
	s_cbranch_execz .LBB296_162
; %bb.155:                              ;   in Loop: Header=BB296_10 Depth=1
	v_cmp_ne_u16_sdwa s3, v3, v22 src0_sel:BYTE_0 src1_sel:DWORD
	v_mov_b32_e32 v47, 0x8000
	s_and_saveexec_b32 s41, s3
	s_cbranch_execz .LBB296_161
; %bb.156:                              ;   in Loop: Header=BB296_10 Depth=1
	v_bfe_u32 v49, v11, 16, 7
	v_mov_b32_e32 v47, 0x7c01
	s_mov_b32 s42, exec_lo
	v_cmpx_ne_u32_e32 0x7f, v49
	s_cbranch_execz .LBB296_160
; %bb.157:                              ;   in Loop: Header=BB296_10 Depth=1
	v_and_b32_e32 v47, 7, v3
	v_lshrrev_b32_e32 v48, 3, v49
	s_mov_b32 s43, exec_lo
	v_cmpx_gt_u32_e32 8, v49
; %bb.158:                              ;   in Loop: Header=BB296_10 Depth=1
	v_ffbh_u32_e32 v47, v47
	v_min_u32_e32 v49, 32, v47
	v_subrev_nc_u32_e32 v47, 28, v49
	v_lshlrev_b64 v[47:48], v47, v[3:4]
	v_sub_nc_u32_e32 v48, 29, v49
	v_and_b32_e32 v47, 7, v47
; %bb.159:                              ;   in Loop: Header=BB296_10 Depth=1
	s_or_b32 exec_lo, exec_lo, s43
	v_lshlrev_b32_e32 v3, 8, v3
	v_lshl_add_u32 v48, v48, 10, 0x2000
	v_lshlrev_b32_e32 v47, 7, v47
	v_and_b32_e32 v3, 0x8000, v3
	v_and_b32_e32 v48, 0xfc00, v48
	v_or3_b32 v47, v3, v48, v47
.LBB296_160:                            ;   in Loop: Header=BB296_10 Depth=1
	s_or_b32 exec_lo, exec_lo, s42
.LBB296_161:                            ;   in Loop: Header=BB296_10 Depth=1
	s_or_b32 exec_lo, exec_lo, s41
.LBB296_162:                            ;   in Loop: Header=BB296_10 Depth=1
	s_or_b32 exec_lo, exec_lo, s4
	s_mov_b32 s4, exec_lo
	v_cmpx_lt_u32_e32 0xffffff, v11
	s_cbranch_execz .LBB296_170
; %bb.163:                              ;   in Loop: Header=BB296_10 Depth=1
	v_lshrrev_b32_e32 v3, 24, v11
	v_bfrev_b32_e32 v46, 1
	s_mov_b32 s41, exec_lo
	v_cmpx_ne_u32_e32 0x80, v3
	s_cbranch_execz .LBB296_169
; %bb.164:                              ;   in Loop: Header=BB296_10 Depth=1
	v_and_b32_e32 v48, 0x7f, v3
	v_mov_b32_e32 v46, 0x7c010000
	s_mov_b32 s42, exec_lo
	v_cmpx_ne_u32_e32 0x7f, v48
	s_cbranch_execz .LBB296_168
; %bb.165:                              ;   in Loop: Header=BB296_10 Depth=1
	v_and_b32_e32 v11, 7, v3
	v_lshrrev_b32_e32 v46, 3, v48
	s_mov_b32 s43, exec_lo
	v_cmpx_gt_u32_e32 8, v48
; %bb.166:                              ;   in Loop: Header=BB296_10 Depth=1
	v_ffbh_u32_e32 v11, v11
	v_min_u32_e32 v11, 32, v11
	v_subrev_nc_u32_e32 v46, 28, v11
	v_lshlrev_b64 v[48:49], v46, v[3:4]
	v_sub_nc_u32_e32 v46, 29, v11
	v_and_b32_e32 v11, 7, v48
; %bb.167:                              ;   in Loop: Header=BB296_10 Depth=1
	s_or_b32 exec_lo, exec_lo, s43
	v_lshlrev_b32_e32 v3, 8, v3
	v_lshl_add_u32 v46, v46, 10, 0x2000
	v_lshlrev_b32_e32 v11, 23, v11
	v_and_or_b32 v3, 0x8000, v3, v46
	v_lshl_or_b32 v46, v3, 16, v11
.LBB296_168:                            ;   in Loop: Header=BB296_10 Depth=1
	s_or_b32 exec_lo, exec_lo, s42
.LBB296_169:                            ;   in Loop: Header=BB296_10 Depth=1
	s_or_b32 exec_lo, exec_lo, s41
.LBB296_170:                            ;   in Loop: Header=BB296_10 Depth=1
	s_or_b32 exec_lo, exec_lo, s4
	global_load_dword v11, v[9:10], off offset:520
	v_mov_b32_e32 v48, 0
	v_mov_b32_e32 v49, 0
	s_waitcnt vmcnt(0)
	v_cmp_ne_u16_sdwa s3, v11, v4 src0_sel:BYTE_0 src1_sel:DWORD
	s_and_saveexec_b32 s4, s3
	s_cbranch_execz .LBB296_178
; %bb.171:                              ;   in Loop: Header=BB296_10 Depth=1
	v_cmp_ne_u16_sdwa s3, v11, v22 src0_sel:BYTE_0 src1_sel:DWORD
	v_mov_b32_e32 v49, 0x8000
	s_and_saveexec_b32 s41, s3
	s_cbranch_execz .LBB296_177
; %bb.172:                              ;   in Loop: Header=BB296_10 Depth=1
	v_and_b32_e32 v50, 0x7f, v11
	v_mov_b32_e32 v49, 0x7c01
	s_mov_b32 s42, exec_lo
	v_cmpx_ne_u32_e32 0x7f, v50
	s_cbranch_execz .LBB296_176
; %bb.173:                              ;   in Loop: Header=BB296_10 Depth=1
	v_and_b32_e32 v3, 7, v11
	v_lshrrev_b32_e32 v49, 3, v50
	s_mov_b32 s43, exec_lo
	v_cmpx_gt_u32_e32 8, v50
; %bb.174:                              ;   in Loop: Header=BB296_10 Depth=1
	v_ffbh_u32_e32 v3, v3
	v_min_u32_e32 v3, 32, v3
	v_subrev_nc_u32_e32 v49, 28, v3
	v_lshlrev_b64 v[50:51], v49, v[11:12]
	v_sub_nc_u32_e32 v49, 29, v3
	v_and_b32_e32 v3, 7, v50
; %bb.175:                              ;   in Loop: Header=BB296_10 Depth=1
	s_or_b32 exec_lo, exec_lo, s43
	v_lshlrev_b32_e32 v50, 8, v11
	v_lshl_add_u32 v49, v49, 10, 0x2000
	v_lshlrev_b32_e32 v3, 7, v3
	v_and_b32_e32 v50, 0x8000, v50
	v_and_b32_e32 v49, 0xfc00, v49
	v_or3_b32 v49, v50, v49, v3
.LBB296_176:                            ;   in Loop: Header=BB296_10 Depth=1
	s_or_b32 exec_lo, exec_lo, s42
.LBB296_177:                            ;   in Loop: Header=BB296_10 Depth=1
	s_or_b32 exec_lo, exec_lo, s41
.LBB296_178:                            ;   in Loop: Header=BB296_10 Depth=1
	s_or_b32 exec_lo, exec_lo, s4
	v_lshrrev_b16 v3, 8, v11
	s_mov_b32 s4, exec_lo
	v_cmpx_ne_u16_e32 0, v3
	s_cbranch_execz .LBB296_186
; %bb.179:                              ;   in Loop: Header=BB296_10 Depth=1
	v_bfrev_b32_e32 v48, 1
	s_mov_b32 s41, exec_lo
	v_cmpx_ne_u16_e32 0x80, v3
	s_cbranch_execz .LBB296_185
; %bb.180:                              ;   in Loop: Header=BB296_10 Depth=1
	v_and_b32_sdwa v51, v3, v23 dst_sel:DWORD dst_unused:UNUSED_PAD src0_sel:WORD_0 src1_sel:DWORD
	v_mov_b32_e32 v48, 0x7c010000
	s_mov_b32 s42, exec_lo
	v_cmpx_ne_u32_e32 0x7f, v51
	s_cbranch_execz .LBB296_184
; %bb.181:                              ;   in Loop: Header=BB296_10 Depth=1
	v_and_b32_sdwa v48, v3, v24 dst_sel:DWORD dst_unused:UNUSED_PAD src0_sel:WORD_0 src1_sel:DWORD
	v_lshrrev_b32_e32 v50, 3, v51
	s_mov_b32 s43, exec_lo
	v_cmpx_gt_u32_e32 8, v51
; %bb.182:                              ;   in Loop: Header=BB296_10 Depth=1
	v_ffbh_u32_e32 v48, v48
	v_min_u32_e32 v48, 32, v48
	v_subrev_nc_u32_e32 v50, 28, v48
	v_lshlrev_b64 v[51:52], v50, v[3:4]
	v_sub_nc_u32_e32 v50, 29, v48
	v_and_b32_e32 v48, 7, v51
; %bb.183:                              ;   in Loop: Header=BB296_10 Depth=1
	s_or_b32 exec_lo, exec_lo, s43
	v_lshlrev_b32_sdwa v3, v25, v3 dst_sel:DWORD dst_unused:UNUSED_PAD src0_sel:DWORD src1_sel:WORD_0
	v_lshl_add_u32 v50, v50, 10, 0x2000
	v_lshlrev_b32_e32 v48, 23, v48
	v_and_or_b32 v3, 0x8000, v3, v50
	v_lshl_or_b32 v48, v3, 16, v48
.LBB296_184:                            ;   in Loop: Header=BB296_10 Depth=1
	s_or_b32 exec_lo, exec_lo, s42
.LBB296_185:                            ;   in Loop: Header=BB296_10 Depth=1
	s_or_b32 exec_lo, exec_lo, s41
.LBB296_186:                            ;   in Loop: Header=BB296_10 Depth=1
	s_or_b32 exec_lo, exec_lo, s4
	v_lshrrev_b32_e32 v3, 16, v11
	v_mov_b32_e32 v50, 0
	v_mov_b32_e32 v51, 0
	v_cmp_ne_u16_sdwa s3, v3, v4 src0_sel:BYTE_0 src1_sel:DWORD
	s_and_saveexec_b32 s4, s3
	s_cbranch_execz .LBB296_194
; %bb.187:                              ;   in Loop: Header=BB296_10 Depth=1
	v_cmp_ne_u16_sdwa s3, v3, v22 src0_sel:BYTE_0 src1_sel:DWORD
	v_mov_b32_e32 v51, 0x8000
	s_and_saveexec_b32 s41, s3
	s_cbranch_execz .LBB296_193
; %bb.188:                              ;   in Loop: Header=BB296_10 Depth=1
	v_bfe_u32 v53, v11, 16, 7
	v_mov_b32_e32 v51, 0x7c01
	s_mov_b32 s42, exec_lo
	v_cmpx_ne_u32_e32 0x7f, v53
	s_cbranch_execz .LBB296_192
; %bb.189:                              ;   in Loop: Header=BB296_10 Depth=1
	v_and_b32_e32 v51, 7, v3
	v_lshrrev_b32_e32 v52, 3, v53
	s_mov_b32 s43, exec_lo
	v_cmpx_gt_u32_e32 8, v53
; %bb.190:                              ;   in Loop: Header=BB296_10 Depth=1
	v_ffbh_u32_e32 v51, v51
	v_min_u32_e32 v53, 32, v51
	v_subrev_nc_u32_e32 v51, 28, v53
	v_lshlrev_b64 v[51:52], v51, v[3:4]
	v_sub_nc_u32_e32 v52, 29, v53
	v_and_b32_e32 v51, 7, v51
; %bb.191:                              ;   in Loop: Header=BB296_10 Depth=1
	s_or_b32 exec_lo, exec_lo, s43
	v_lshlrev_b32_e32 v3, 8, v3
	v_lshl_add_u32 v52, v52, 10, 0x2000
	v_lshlrev_b32_e32 v51, 7, v51
	v_and_b32_e32 v3, 0x8000, v3
	v_and_b32_e32 v52, 0xfc00, v52
	v_or3_b32 v51, v3, v52, v51
.LBB296_192:                            ;   in Loop: Header=BB296_10 Depth=1
	s_or_b32 exec_lo, exec_lo, s42
.LBB296_193:                            ;   in Loop: Header=BB296_10 Depth=1
	s_or_b32 exec_lo, exec_lo, s41
.LBB296_194:                            ;   in Loop: Header=BB296_10 Depth=1
	s_or_b32 exec_lo, exec_lo, s4
	s_mov_b32 s4, exec_lo
	v_cmpx_lt_u32_e32 0xffffff, v11
	s_cbranch_execz .LBB296_202
; %bb.195:                              ;   in Loop: Header=BB296_10 Depth=1
	v_lshrrev_b32_e32 v3, 24, v11
	v_bfrev_b32_e32 v50, 1
	s_mov_b32 s41, exec_lo
	v_cmpx_ne_u32_e32 0x80, v3
	s_cbranch_execz .LBB296_201
; %bb.196:                              ;   in Loop: Header=BB296_10 Depth=1
	v_and_b32_e32 v52, 0x7f, v3
	v_mov_b32_e32 v50, 0x7c010000
	s_mov_b32 s42, exec_lo
	v_cmpx_ne_u32_e32 0x7f, v52
	s_cbranch_execz .LBB296_200
; %bb.197:                              ;   in Loop: Header=BB296_10 Depth=1
	v_and_b32_e32 v11, 7, v3
	v_lshrrev_b32_e32 v50, 3, v52
	s_mov_b32 s43, exec_lo
	v_cmpx_gt_u32_e32 8, v52
; %bb.198:                              ;   in Loop: Header=BB296_10 Depth=1
	v_ffbh_u32_e32 v11, v11
	v_min_u32_e32 v11, 32, v11
	v_subrev_nc_u32_e32 v50, 28, v11
	v_lshlrev_b64 v[52:53], v50, v[3:4]
	v_sub_nc_u32_e32 v50, 29, v11
	v_and_b32_e32 v11, 7, v52
; %bb.199:                              ;   in Loop: Header=BB296_10 Depth=1
	s_or_b32 exec_lo, exec_lo, s43
	v_lshlrev_b32_e32 v3, 8, v3
	v_lshl_add_u32 v50, v50, 10, 0x2000
	v_lshlrev_b32_e32 v11, 23, v11
	v_and_or_b32 v3, 0x8000, v3, v50
	v_lshl_or_b32 v50, v3, 16, v11
.LBB296_200:                            ;   in Loop: Header=BB296_10 Depth=1
	s_or_b32 exec_lo, exec_lo, s42
.LBB296_201:                            ;   in Loop: Header=BB296_10 Depth=1
	s_or_b32 exec_lo, exec_lo, s41
.LBB296_202:                            ;   in Loop: Header=BB296_10 Depth=1
	s_or_b32 exec_lo, exec_lo, s4
	global_load_dword v11, v[9:10], off offset:768
	v_mov_b32_e32 v52, 0
	v_mov_b32_e32 v53, 0
	s_waitcnt vmcnt(0)
	v_cmp_ne_u16_sdwa s3, v11, v4 src0_sel:BYTE_0 src1_sel:DWORD
	s_and_saveexec_b32 s4, s3
	s_cbranch_execz .LBB296_210
; %bb.203:                              ;   in Loop: Header=BB296_10 Depth=1
	v_cmp_ne_u16_sdwa s3, v11, v22 src0_sel:BYTE_0 src1_sel:DWORD
	v_mov_b32_e32 v53, 0x8000
	s_and_saveexec_b32 s41, s3
	s_cbranch_execz .LBB296_209
; %bb.204:                              ;   in Loop: Header=BB296_10 Depth=1
	v_and_b32_e32 v54, 0x7f, v11
	v_mov_b32_e32 v53, 0x7c01
	s_mov_b32 s42, exec_lo
	v_cmpx_ne_u32_e32 0x7f, v54
	s_cbranch_execz .LBB296_208
; %bb.205:                              ;   in Loop: Header=BB296_10 Depth=1
	v_and_b32_e32 v3, 7, v11
	v_lshrrev_b32_e32 v53, 3, v54
	s_mov_b32 s43, exec_lo
	v_cmpx_gt_u32_e32 8, v54
; %bb.206:                              ;   in Loop: Header=BB296_10 Depth=1
	v_ffbh_u32_e32 v3, v3
	v_min_u32_e32 v3, 32, v3
	v_subrev_nc_u32_e32 v53, 28, v3
	v_lshlrev_b64 v[54:55], v53, v[11:12]
	v_sub_nc_u32_e32 v53, 29, v3
	v_and_b32_e32 v3, 7, v54
; %bb.207:                              ;   in Loop: Header=BB296_10 Depth=1
	s_or_b32 exec_lo, exec_lo, s43
	v_lshlrev_b32_e32 v54, 8, v11
	v_lshl_add_u32 v53, v53, 10, 0x2000
	v_lshlrev_b32_e32 v3, 7, v3
	v_and_b32_e32 v54, 0x8000, v54
	v_and_b32_e32 v53, 0xfc00, v53
	v_or3_b32 v53, v54, v53, v3
.LBB296_208:                            ;   in Loop: Header=BB296_10 Depth=1
	s_or_b32 exec_lo, exec_lo, s42
.LBB296_209:                            ;   in Loop: Header=BB296_10 Depth=1
	s_or_b32 exec_lo, exec_lo, s41
.LBB296_210:                            ;   in Loop: Header=BB296_10 Depth=1
	s_or_b32 exec_lo, exec_lo, s4
	v_lshrrev_b16 v3, 8, v11
	s_mov_b32 s4, exec_lo
	v_cmpx_ne_u16_e32 0, v3
	s_cbranch_execz .LBB296_218
; %bb.211:                              ;   in Loop: Header=BB296_10 Depth=1
	v_bfrev_b32_e32 v52, 1
	s_mov_b32 s41, exec_lo
	v_cmpx_ne_u16_e32 0x80, v3
	s_cbranch_execz .LBB296_217
; %bb.212:                              ;   in Loop: Header=BB296_10 Depth=1
	v_and_b32_sdwa v55, v3, v23 dst_sel:DWORD dst_unused:UNUSED_PAD src0_sel:WORD_0 src1_sel:DWORD
	v_mov_b32_e32 v52, 0x7c010000
	s_mov_b32 s42, exec_lo
	v_cmpx_ne_u32_e32 0x7f, v55
	s_cbranch_execz .LBB296_216
; %bb.213:                              ;   in Loop: Header=BB296_10 Depth=1
	v_and_b32_sdwa v52, v3, v24 dst_sel:DWORD dst_unused:UNUSED_PAD src0_sel:WORD_0 src1_sel:DWORD
	v_lshrrev_b32_e32 v54, 3, v55
	s_mov_b32 s43, exec_lo
	v_cmpx_gt_u32_e32 8, v55
; %bb.214:                              ;   in Loop: Header=BB296_10 Depth=1
	v_ffbh_u32_e32 v52, v52
	v_min_u32_e32 v52, 32, v52
	v_subrev_nc_u32_e32 v54, 28, v52
	v_lshlrev_b64 v[55:56], v54, v[3:4]
	v_sub_nc_u32_e32 v54, 29, v52
	v_and_b32_e32 v52, 7, v55
; %bb.215:                              ;   in Loop: Header=BB296_10 Depth=1
	s_or_b32 exec_lo, exec_lo, s43
	v_lshlrev_b32_sdwa v3, v25, v3 dst_sel:DWORD dst_unused:UNUSED_PAD src0_sel:DWORD src1_sel:WORD_0
	v_lshl_add_u32 v54, v54, 10, 0x2000
	v_lshlrev_b32_e32 v52, 23, v52
	v_and_or_b32 v3, 0x8000, v3, v54
	v_lshl_or_b32 v52, v3, 16, v52
.LBB296_216:                            ;   in Loop: Header=BB296_10 Depth=1
	s_or_b32 exec_lo, exec_lo, s42
.LBB296_217:                            ;   in Loop: Header=BB296_10 Depth=1
	s_or_b32 exec_lo, exec_lo, s41
.LBB296_218:                            ;   in Loop: Header=BB296_10 Depth=1
	s_or_b32 exec_lo, exec_lo, s4
	v_lshrrev_b32_e32 v3, 16, v11
	v_mov_b32_e32 v54, 0
	v_mov_b32_e32 v55, 0
	v_cmp_ne_u16_sdwa s3, v3, v4 src0_sel:BYTE_0 src1_sel:DWORD
	s_and_saveexec_b32 s4, s3
	s_cbranch_execz .LBB296_226
; %bb.219:                              ;   in Loop: Header=BB296_10 Depth=1
	v_cmp_ne_u16_sdwa s3, v3, v22 src0_sel:BYTE_0 src1_sel:DWORD
	v_mov_b32_e32 v55, 0x8000
	s_and_saveexec_b32 s41, s3
	s_cbranch_execz .LBB296_225
; %bb.220:                              ;   in Loop: Header=BB296_10 Depth=1
	v_bfe_u32 v57, v11, 16, 7
	v_mov_b32_e32 v55, 0x7c01
	s_mov_b32 s42, exec_lo
	v_cmpx_ne_u32_e32 0x7f, v57
	s_cbranch_execz .LBB296_224
; %bb.221:                              ;   in Loop: Header=BB296_10 Depth=1
	v_and_b32_e32 v55, 7, v3
	v_lshrrev_b32_e32 v56, 3, v57
	s_mov_b32 s43, exec_lo
	v_cmpx_gt_u32_e32 8, v57
; %bb.222:                              ;   in Loop: Header=BB296_10 Depth=1
	v_ffbh_u32_e32 v55, v55
	v_min_u32_e32 v57, 32, v55
	v_subrev_nc_u32_e32 v55, 28, v57
	v_lshlrev_b64 v[55:56], v55, v[3:4]
	v_sub_nc_u32_e32 v56, 29, v57
	v_and_b32_e32 v55, 7, v55
; %bb.223:                              ;   in Loop: Header=BB296_10 Depth=1
	s_or_b32 exec_lo, exec_lo, s43
	v_lshlrev_b32_e32 v3, 8, v3
	v_lshl_add_u32 v56, v56, 10, 0x2000
	v_lshlrev_b32_e32 v55, 7, v55
	v_and_b32_e32 v3, 0x8000, v3
	v_and_b32_e32 v56, 0xfc00, v56
	v_or3_b32 v55, v3, v56, v55
.LBB296_224:                            ;   in Loop: Header=BB296_10 Depth=1
	s_or_b32 exec_lo, exec_lo, s42
.LBB296_225:                            ;   in Loop: Header=BB296_10 Depth=1
	s_or_b32 exec_lo, exec_lo, s41
.LBB296_226:                            ;   in Loop: Header=BB296_10 Depth=1
	s_or_b32 exec_lo, exec_lo, s4
	s_mov_b32 s4, exec_lo
	v_cmpx_lt_u32_e32 0xffffff, v11
	s_cbranch_execz .LBB296_234
; %bb.227:                              ;   in Loop: Header=BB296_10 Depth=1
	v_lshrrev_b32_e32 v3, 24, v11
	v_bfrev_b32_e32 v54, 1
	s_mov_b32 s41, exec_lo
	v_cmpx_ne_u32_e32 0x80, v3
	s_cbranch_execz .LBB296_233
; %bb.228:                              ;   in Loop: Header=BB296_10 Depth=1
	v_and_b32_e32 v56, 0x7f, v3
	v_mov_b32_e32 v54, 0x7c010000
	s_mov_b32 s42, exec_lo
	v_cmpx_ne_u32_e32 0x7f, v56
	s_cbranch_execz .LBB296_232
; %bb.229:                              ;   in Loop: Header=BB296_10 Depth=1
	v_and_b32_e32 v11, 7, v3
	v_lshrrev_b32_e32 v54, 3, v56
	s_mov_b32 s43, exec_lo
	v_cmpx_gt_u32_e32 8, v56
; %bb.230:                              ;   in Loop: Header=BB296_10 Depth=1
	v_ffbh_u32_e32 v11, v11
	v_min_u32_e32 v11, 32, v11
	v_subrev_nc_u32_e32 v54, 28, v11
	v_lshlrev_b64 v[56:57], v54, v[3:4]
	v_sub_nc_u32_e32 v54, 29, v11
	v_and_b32_e32 v11, 7, v56
; %bb.231:                              ;   in Loop: Header=BB296_10 Depth=1
	s_or_b32 exec_lo, exec_lo, s43
	v_lshlrev_b32_e32 v3, 8, v3
	v_lshl_add_u32 v54, v54, 10, 0x2000
	v_lshlrev_b32_e32 v11, 23, v11
	v_and_or_b32 v3, 0x8000, v3, v54
	v_lshl_or_b32 v54, v3, 16, v11
.LBB296_232:                            ;   in Loop: Header=BB296_10 Depth=1
	s_or_b32 exec_lo, exec_lo, s42
.LBB296_233:                            ;   in Loop: Header=BB296_10 Depth=1
	s_or_b32 exec_lo, exec_lo, s41
.LBB296_234:                            ;   in Loop: Header=BB296_10 Depth=1
	s_or_b32 exec_lo, exec_lo, s4
	global_load_dword v11, v[9:10], off offset:776
	v_mov_b32_e32 v56, 0
	v_mov_b32_e32 v57, 0
	s_waitcnt vmcnt(0)
	v_cmp_ne_u16_sdwa s3, v11, v4 src0_sel:BYTE_0 src1_sel:DWORD
	s_and_saveexec_b32 s4, s3
	s_cbranch_execz .LBB296_242
; %bb.235:                              ;   in Loop: Header=BB296_10 Depth=1
	v_cmp_ne_u16_sdwa s3, v11, v22 src0_sel:BYTE_0 src1_sel:DWORD
	v_mov_b32_e32 v57, 0x8000
	s_and_saveexec_b32 s41, s3
	s_cbranch_execz .LBB296_241
; %bb.236:                              ;   in Loop: Header=BB296_10 Depth=1
	v_and_b32_e32 v58, 0x7f, v11
	v_mov_b32_e32 v57, 0x7c01
	s_mov_b32 s42, exec_lo
	v_cmpx_ne_u32_e32 0x7f, v58
	s_cbranch_execz .LBB296_240
; %bb.237:                              ;   in Loop: Header=BB296_10 Depth=1
	v_and_b32_e32 v3, 7, v11
	v_lshrrev_b32_e32 v57, 3, v58
	s_mov_b32 s43, exec_lo
	v_cmpx_gt_u32_e32 8, v58
; %bb.238:                              ;   in Loop: Header=BB296_10 Depth=1
	v_ffbh_u32_e32 v3, v3
	v_min_u32_e32 v3, 32, v3
	v_subrev_nc_u32_e32 v57, 28, v3
	v_lshlrev_b64 v[58:59], v57, v[11:12]
	v_sub_nc_u32_e32 v57, 29, v3
	v_and_b32_e32 v3, 7, v58
; %bb.239:                              ;   in Loop: Header=BB296_10 Depth=1
	s_or_b32 exec_lo, exec_lo, s43
	v_lshlrev_b32_e32 v58, 8, v11
	v_lshl_add_u32 v57, v57, 10, 0x2000
	v_lshlrev_b32_e32 v3, 7, v3
	v_and_b32_e32 v58, 0x8000, v58
	v_and_b32_e32 v57, 0xfc00, v57
	v_or3_b32 v57, v58, v57, v3
.LBB296_240:                            ;   in Loop: Header=BB296_10 Depth=1
	s_or_b32 exec_lo, exec_lo, s42
.LBB296_241:                            ;   in Loop: Header=BB296_10 Depth=1
	s_or_b32 exec_lo, exec_lo, s41
.LBB296_242:                            ;   in Loop: Header=BB296_10 Depth=1
	s_or_b32 exec_lo, exec_lo, s4
	v_lshrrev_b16 v3, 8, v11
	s_mov_b32 s4, exec_lo
	v_cmpx_ne_u16_e32 0, v3
	s_cbranch_execz .LBB296_250
; %bb.243:                              ;   in Loop: Header=BB296_10 Depth=1
	v_bfrev_b32_e32 v56, 1
	s_mov_b32 s41, exec_lo
	v_cmpx_ne_u16_e32 0x80, v3
	s_cbranch_execz .LBB296_249
; %bb.244:                              ;   in Loop: Header=BB296_10 Depth=1
	v_and_b32_sdwa v59, v3, v23 dst_sel:DWORD dst_unused:UNUSED_PAD src0_sel:WORD_0 src1_sel:DWORD
	v_mov_b32_e32 v56, 0x7c010000
	s_mov_b32 s42, exec_lo
	v_cmpx_ne_u32_e32 0x7f, v59
	s_cbranch_execz .LBB296_248
; %bb.245:                              ;   in Loop: Header=BB296_10 Depth=1
	v_and_b32_sdwa v56, v3, v24 dst_sel:DWORD dst_unused:UNUSED_PAD src0_sel:WORD_0 src1_sel:DWORD
	v_lshrrev_b32_e32 v58, 3, v59
	s_mov_b32 s43, exec_lo
	v_cmpx_gt_u32_e32 8, v59
; %bb.246:                              ;   in Loop: Header=BB296_10 Depth=1
	v_ffbh_u32_e32 v56, v56
	v_min_u32_e32 v56, 32, v56
	v_subrev_nc_u32_e32 v58, 28, v56
	v_lshlrev_b64 v[59:60], v58, v[3:4]
	v_sub_nc_u32_e32 v58, 29, v56
	v_and_b32_e32 v56, 7, v59
; %bb.247:                              ;   in Loop: Header=BB296_10 Depth=1
	s_or_b32 exec_lo, exec_lo, s43
	v_lshlrev_b32_sdwa v3, v25, v3 dst_sel:DWORD dst_unused:UNUSED_PAD src0_sel:DWORD src1_sel:WORD_0
	v_lshl_add_u32 v58, v58, 10, 0x2000
	v_lshlrev_b32_e32 v56, 23, v56
	v_and_or_b32 v3, 0x8000, v3, v58
	v_lshl_or_b32 v56, v3, 16, v56
.LBB296_248:                            ;   in Loop: Header=BB296_10 Depth=1
	s_or_b32 exec_lo, exec_lo, s42
.LBB296_249:                            ;   in Loop: Header=BB296_10 Depth=1
	s_or_b32 exec_lo, exec_lo, s41
.LBB296_250:                            ;   in Loop: Header=BB296_10 Depth=1
	s_or_b32 exec_lo, exec_lo, s4
	v_lshrrev_b32_e32 v3, 16, v11
	v_mov_b32_e32 v58, 0
	v_mov_b32_e32 v59, 0
	v_cmp_ne_u16_sdwa s3, v3, v4 src0_sel:BYTE_0 src1_sel:DWORD
	s_and_saveexec_b32 s4, s3
	s_cbranch_execz .LBB296_258
; %bb.251:                              ;   in Loop: Header=BB296_10 Depth=1
	v_cmp_ne_u16_sdwa s3, v3, v22 src0_sel:BYTE_0 src1_sel:DWORD
	v_mov_b32_e32 v59, 0x8000
	s_and_saveexec_b32 s41, s3
	s_cbranch_execz .LBB296_257
; %bb.252:                              ;   in Loop: Header=BB296_10 Depth=1
	v_bfe_u32 v61, v11, 16, 7
	v_mov_b32_e32 v59, 0x7c01
	s_mov_b32 s42, exec_lo
	v_cmpx_ne_u32_e32 0x7f, v61
	s_cbranch_execz .LBB296_256
; %bb.253:                              ;   in Loop: Header=BB296_10 Depth=1
	v_and_b32_e32 v59, 7, v3
	v_lshrrev_b32_e32 v60, 3, v61
	s_mov_b32 s43, exec_lo
	v_cmpx_gt_u32_e32 8, v61
; %bb.254:                              ;   in Loop: Header=BB296_10 Depth=1
	v_ffbh_u32_e32 v59, v59
	v_min_u32_e32 v61, 32, v59
	v_subrev_nc_u32_e32 v59, 28, v61
	v_lshlrev_b64 v[59:60], v59, v[3:4]
	v_sub_nc_u32_e32 v60, 29, v61
	v_and_b32_e32 v59, 7, v59
; %bb.255:                              ;   in Loop: Header=BB296_10 Depth=1
	s_or_b32 exec_lo, exec_lo, s43
	v_lshlrev_b32_e32 v3, 8, v3
	v_lshl_add_u32 v60, v60, 10, 0x2000
	v_lshlrev_b32_e32 v59, 7, v59
	v_and_b32_e32 v3, 0x8000, v3
	v_and_b32_e32 v60, 0xfc00, v60
	v_or3_b32 v59, v3, v60, v59
.LBB296_256:                            ;   in Loop: Header=BB296_10 Depth=1
	s_or_b32 exec_lo, exec_lo, s42
.LBB296_257:                            ;   in Loop: Header=BB296_10 Depth=1
	s_or_b32 exec_lo, exec_lo, s41
.LBB296_258:                            ;   in Loop: Header=BB296_10 Depth=1
	s_or_b32 exec_lo, exec_lo, s4
	s_mov_b32 s4, exec_lo
	v_cmpx_lt_u32_e32 0xffffff, v11
	s_cbranch_execz .LBB296_266
; %bb.259:                              ;   in Loop: Header=BB296_10 Depth=1
	v_lshrrev_b32_e32 v3, 24, v11
	v_bfrev_b32_e32 v58, 1
	s_mov_b32 s41, exec_lo
	v_cmpx_ne_u32_e32 0x80, v3
	s_cbranch_execz .LBB296_265
; %bb.260:                              ;   in Loop: Header=BB296_10 Depth=1
	v_and_b32_e32 v60, 0x7f, v3
	v_mov_b32_e32 v58, 0x7c010000
	s_mov_b32 s42, exec_lo
	v_cmpx_ne_u32_e32 0x7f, v60
	s_cbranch_execz .LBB296_264
; %bb.261:                              ;   in Loop: Header=BB296_10 Depth=1
	v_and_b32_e32 v11, 7, v3
	v_lshrrev_b32_e32 v58, 3, v60
	s_mov_b32 s43, exec_lo
	v_cmpx_gt_u32_e32 8, v60
; %bb.262:                              ;   in Loop: Header=BB296_10 Depth=1
	v_ffbh_u32_e32 v11, v11
	v_min_u32_e32 v11, 32, v11
	v_subrev_nc_u32_e32 v58, 28, v11
	v_lshlrev_b64 v[60:61], v58, v[3:4]
	v_sub_nc_u32_e32 v58, 29, v11
	v_and_b32_e32 v11, 7, v60
; %bb.263:                              ;   in Loop: Header=BB296_10 Depth=1
	s_or_b32 exec_lo, exec_lo, s43
	v_lshlrev_b32_e32 v3, 8, v3
	v_lshl_add_u32 v58, v58, 10, 0x2000
	v_lshlrev_b32_e32 v11, 23, v11
	v_and_or_b32 v3, 0x8000, v3, v58
	v_lshl_or_b32 v58, v3, 16, v11
.LBB296_264:                            ;   in Loop: Header=BB296_10 Depth=1
	s_or_b32 exec_lo, exec_lo, s42
.LBB296_265:                            ;   in Loop: Header=BB296_10 Depth=1
	s_or_b32 exec_lo, exec_lo, s41
.LBB296_266:                            ;   in Loop: Header=BB296_10 Depth=1
	s_or_b32 exec_lo, exec_lo, s4
	global_load_dword v11, v[9:10], off offset:1024
	v_mov_b32_e32 v60, 0
	v_mov_b32_e32 v61, 0
	s_waitcnt vmcnt(0)
	v_cmp_ne_u16_sdwa s3, v11, v4 src0_sel:BYTE_0 src1_sel:DWORD
	s_and_saveexec_b32 s4, s3
	s_cbranch_execz .LBB296_274
; %bb.267:                              ;   in Loop: Header=BB296_10 Depth=1
	v_cmp_ne_u16_sdwa s3, v11, v22 src0_sel:BYTE_0 src1_sel:DWORD
	v_mov_b32_e32 v61, 0x8000
	s_and_saveexec_b32 s41, s3
	s_cbranch_execz .LBB296_273
; %bb.268:                              ;   in Loop: Header=BB296_10 Depth=1
	v_and_b32_e32 v62, 0x7f, v11
	v_mov_b32_e32 v61, 0x7c01
	s_mov_b32 s42, exec_lo
	v_cmpx_ne_u32_e32 0x7f, v62
	s_cbranch_execz .LBB296_272
; %bb.269:                              ;   in Loop: Header=BB296_10 Depth=1
	v_and_b32_e32 v3, 7, v11
	v_lshrrev_b32_e32 v61, 3, v62
	s_mov_b32 s43, exec_lo
	v_cmpx_gt_u32_e32 8, v62
; %bb.270:                              ;   in Loop: Header=BB296_10 Depth=1
	v_ffbh_u32_e32 v3, v3
	v_min_u32_e32 v3, 32, v3
	v_subrev_nc_u32_e32 v61, 28, v3
	v_lshlrev_b64 v[62:63], v61, v[11:12]
	v_sub_nc_u32_e32 v61, 29, v3
	v_and_b32_e32 v3, 7, v62
; %bb.271:                              ;   in Loop: Header=BB296_10 Depth=1
	s_or_b32 exec_lo, exec_lo, s43
	v_lshlrev_b32_e32 v62, 8, v11
	v_lshl_add_u32 v61, v61, 10, 0x2000
	v_lshlrev_b32_e32 v3, 7, v3
	v_and_b32_e32 v62, 0x8000, v62
	v_and_b32_e32 v61, 0xfc00, v61
	v_or3_b32 v61, v62, v61, v3
.LBB296_272:                            ;   in Loop: Header=BB296_10 Depth=1
	s_or_b32 exec_lo, exec_lo, s42
.LBB296_273:                            ;   in Loop: Header=BB296_10 Depth=1
	s_or_b32 exec_lo, exec_lo, s41
.LBB296_274:                            ;   in Loop: Header=BB296_10 Depth=1
	s_or_b32 exec_lo, exec_lo, s4
	v_lshrrev_b16 v3, 8, v11
	s_mov_b32 s4, exec_lo
	v_cmpx_ne_u16_e32 0, v3
	s_cbranch_execz .LBB296_282
; %bb.275:                              ;   in Loop: Header=BB296_10 Depth=1
	v_bfrev_b32_e32 v60, 1
	s_mov_b32 s41, exec_lo
	v_cmpx_ne_u16_e32 0x80, v3
	s_cbranch_execz .LBB296_281
; %bb.276:                              ;   in Loop: Header=BB296_10 Depth=1
	v_and_b32_sdwa v63, v3, v23 dst_sel:DWORD dst_unused:UNUSED_PAD src0_sel:WORD_0 src1_sel:DWORD
	v_mov_b32_e32 v60, 0x7c010000
	s_mov_b32 s42, exec_lo
	v_cmpx_ne_u32_e32 0x7f, v63
	s_cbranch_execz .LBB296_280
; %bb.277:                              ;   in Loop: Header=BB296_10 Depth=1
	v_and_b32_sdwa v60, v3, v24 dst_sel:DWORD dst_unused:UNUSED_PAD src0_sel:WORD_0 src1_sel:DWORD
	v_lshrrev_b32_e32 v62, 3, v63
	s_mov_b32 s43, exec_lo
	v_cmpx_gt_u32_e32 8, v63
; %bb.278:                              ;   in Loop: Header=BB296_10 Depth=1
	v_ffbh_u32_e32 v60, v60
	v_min_u32_e32 v60, 32, v60
	v_subrev_nc_u32_e32 v62, 28, v60
	v_lshlrev_b64 v[63:64], v62, v[3:4]
	v_sub_nc_u32_e32 v62, 29, v60
	v_and_b32_e32 v60, 7, v63
; %bb.279:                              ;   in Loop: Header=BB296_10 Depth=1
	s_or_b32 exec_lo, exec_lo, s43
	v_lshlrev_b32_sdwa v3, v25, v3 dst_sel:DWORD dst_unused:UNUSED_PAD src0_sel:DWORD src1_sel:WORD_0
	v_lshl_add_u32 v62, v62, 10, 0x2000
	v_lshlrev_b32_e32 v60, 23, v60
	v_and_or_b32 v3, 0x8000, v3, v62
	v_lshl_or_b32 v60, v3, 16, v60
.LBB296_280:                            ;   in Loop: Header=BB296_10 Depth=1
	s_or_b32 exec_lo, exec_lo, s42
.LBB296_281:                            ;   in Loop: Header=BB296_10 Depth=1
	s_or_b32 exec_lo, exec_lo, s41
.LBB296_282:                            ;   in Loop: Header=BB296_10 Depth=1
	s_or_b32 exec_lo, exec_lo, s4
	v_lshrrev_b32_e32 v3, 16, v11
	v_mov_b32_e32 v62, 0
	v_mov_b32_e32 v63, 0
	v_cmp_ne_u16_sdwa s3, v3, v4 src0_sel:BYTE_0 src1_sel:DWORD
	s_and_saveexec_b32 s4, s3
	s_cbranch_execz .LBB296_290
; %bb.283:                              ;   in Loop: Header=BB296_10 Depth=1
	v_cmp_ne_u16_sdwa s3, v3, v22 src0_sel:BYTE_0 src1_sel:DWORD
	v_mov_b32_e32 v63, 0x8000
	s_and_saveexec_b32 s41, s3
	s_cbranch_execz .LBB296_289
; %bb.284:                              ;   in Loop: Header=BB296_10 Depth=1
	v_bfe_u32 v65, v11, 16, 7
	v_mov_b32_e32 v63, 0x7c01
	s_mov_b32 s42, exec_lo
	v_cmpx_ne_u32_e32 0x7f, v65
	s_cbranch_execz .LBB296_288
; %bb.285:                              ;   in Loop: Header=BB296_10 Depth=1
	v_and_b32_e32 v63, 7, v3
	v_lshrrev_b32_e32 v64, 3, v65
	s_mov_b32 s43, exec_lo
	v_cmpx_gt_u32_e32 8, v65
; %bb.286:                              ;   in Loop: Header=BB296_10 Depth=1
	v_ffbh_u32_e32 v63, v63
	v_min_u32_e32 v65, 32, v63
	v_subrev_nc_u32_e32 v63, 28, v65
	v_lshlrev_b64 v[63:64], v63, v[3:4]
	v_sub_nc_u32_e32 v64, 29, v65
	v_and_b32_e32 v63, 7, v63
; %bb.287:                              ;   in Loop: Header=BB296_10 Depth=1
	s_or_b32 exec_lo, exec_lo, s43
	v_lshlrev_b32_e32 v3, 8, v3
	v_lshl_add_u32 v64, v64, 10, 0x2000
	v_lshlrev_b32_e32 v63, 7, v63
	v_and_b32_e32 v3, 0x8000, v3
	v_and_b32_e32 v64, 0xfc00, v64
	v_or3_b32 v63, v3, v64, v63
.LBB296_288:                            ;   in Loop: Header=BB296_10 Depth=1
	s_or_b32 exec_lo, exec_lo, s42
.LBB296_289:                            ;   in Loop: Header=BB296_10 Depth=1
	s_or_b32 exec_lo, exec_lo, s41
.LBB296_290:                            ;   in Loop: Header=BB296_10 Depth=1
	s_or_b32 exec_lo, exec_lo, s4
	s_mov_b32 s4, exec_lo
	v_cmpx_lt_u32_e32 0xffffff, v11
	s_cbranch_execz .LBB296_298
; %bb.291:                              ;   in Loop: Header=BB296_10 Depth=1
	v_lshrrev_b32_e32 v3, 24, v11
	v_bfrev_b32_e32 v62, 1
	s_mov_b32 s41, exec_lo
	v_cmpx_ne_u32_e32 0x80, v3
	s_cbranch_execz .LBB296_297
; %bb.292:                              ;   in Loop: Header=BB296_10 Depth=1
	v_and_b32_e32 v64, 0x7f, v3
	v_mov_b32_e32 v62, 0x7c010000
	s_mov_b32 s42, exec_lo
	v_cmpx_ne_u32_e32 0x7f, v64
	s_cbranch_execz .LBB296_296
; %bb.293:                              ;   in Loop: Header=BB296_10 Depth=1
	v_and_b32_e32 v11, 7, v3
	v_lshrrev_b32_e32 v62, 3, v64
	s_mov_b32 s43, exec_lo
	v_cmpx_gt_u32_e32 8, v64
; %bb.294:                              ;   in Loop: Header=BB296_10 Depth=1
	v_ffbh_u32_e32 v11, v11
	v_min_u32_e32 v11, 32, v11
	v_subrev_nc_u32_e32 v62, 28, v11
	v_lshlrev_b64 v[64:65], v62, v[3:4]
	v_sub_nc_u32_e32 v62, 29, v11
	v_and_b32_e32 v11, 7, v64
; %bb.295:                              ;   in Loop: Header=BB296_10 Depth=1
	s_or_b32 exec_lo, exec_lo, s43
	v_lshlrev_b32_e32 v3, 8, v3
	v_lshl_add_u32 v62, v62, 10, 0x2000
	v_lshlrev_b32_e32 v11, 23, v11
	v_and_or_b32 v3, 0x8000, v3, v62
	v_lshl_or_b32 v62, v3, 16, v11
.LBB296_296:                            ;   in Loop: Header=BB296_10 Depth=1
	s_or_b32 exec_lo, exec_lo, s42
.LBB296_297:                            ;   in Loop: Header=BB296_10 Depth=1
	s_or_b32 exec_lo, exec_lo, s41
.LBB296_298:                            ;   in Loop: Header=BB296_10 Depth=1
	s_or_b32 exec_lo, exec_lo, s4
	global_load_dword v11, v[9:10], off offset:1032
	v_mov_b32_e32 v64, 0
	v_mov_b32_e32 v65, 0
	s_waitcnt vmcnt(0)
	v_cmp_ne_u16_sdwa s3, v11, v4 src0_sel:BYTE_0 src1_sel:DWORD
	s_and_saveexec_b32 s4, s3
	s_cbranch_execz .LBB296_306
; %bb.299:                              ;   in Loop: Header=BB296_10 Depth=1
	v_cmp_ne_u16_sdwa s3, v11, v22 src0_sel:BYTE_0 src1_sel:DWORD
	v_mov_b32_e32 v65, 0x8000
	s_and_saveexec_b32 s41, s3
	s_cbranch_execz .LBB296_305
; %bb.300:                              ;   in Loop: Header=BB296_10 Depth=1
	v_and_b32_e32 v66, 0x7f, v11
	v_mov_b32_e32 v65, 0x7c01
	s_mov_b32 s42, exec_lo
	v_cmpx_ne_u32_e32 0x7f, v66
	s_cbranch_execz .LBB296_304
; %bb.301:                              ;   in Loop: Header=BB296_10 Depth=1
	v_and_b32_e32 v3, 7, v11
	v_lshrrev_b32_e32 v65, 3, v66
	s_mov_b32 s43, exec_lo
	v_cmpx_gt_u32_e32 8, v66
; %bb.302:                              ;   in Loop: Header=BB296_10 Depth=1
	v_ffbh_u32_e32 v3, v3
	v_min_u32_e32 v3, 32, v3
	v_subrev_nc_u32_e32 v65, 28, v3
	v_lshlrev_b64 v[66:67], v65, v[11:12]
	v_sub_nc_u32_e32 v65, 29, v3
	v_and_b32_e32 v3, 7, v66
; %bb.303:                              ;   in Loop: Header=BB296_10 Depth=1
	s_or_b32 exec_lo, exec_lo, s43
	v_lshlrev_b32_e32 v66, 8, v11
	v_lshl_add_u32 v65, v65, 10, 0x2000
	v_lshlrev_b32_e32 v3, 7, v3
	v_and_b32_e32 v66, 0x8000, v66
	v_and_b32_e32 v65, 0xfc00, v65
	v_or3_b32 v65, v66, v65, v3
.LBB296_304:                            ;   in Loop: Header=BB296_10 Depth=1
	s_or_b32 exec_lo, exec_lo, s42
.LBB296_305:                            ;   in Loop: Header=BB296_10 Depth=1
	s_or_b32 exec_lo, exec_lo, s41
.LBB296_306:                            ;   in Loop: Header=BB296_10 Depth=1
	s_or_b32 exec_lo, exec_lo, s4
	v_lshrrev_b16 v3, 8, v11
	s_mov_b32 s4, exec_lo
	v_cmpx_ne_u16_e32 0, v3
	s_cbranch_execz .LBB296_314
; %bb.307:                              ;   in Loop: Header=BB296_10 Depth=1
	v_bfrev_b32_e32 v64, 1
	s_mov_b32 s41, exec_lo
	v_cmpx_ne_u16_e32 0x80, v3
	s_cbranch_execz .LBB296_313
; %bb.308:                              ;   in Loop: Header=BB296_10 Depth=1
	v_and_b32_sdwa v67, v3, v23 dst_sel:DWORD dst_unused:UNUSED_PAD src0_sel:WORD_0 src1_sel:DWORD
	v_mov_b32_e32 v64, 0x7c010000
	s_mov_b32 s42, exec_lo
	v_cmpx_ne_u32_e32 0x7f, v67
	s_cbranch_execz .LBB296_312
; %bb.309:                              ;   in Loop: Header=BB296_10 Depth=1
	v_and_b32_sdwa v64, v3, v24 dst_sel:DWORD dst_unused:UNUSED_PAD src0_sel:WORD_0 src1_sel:DWORD
	v_lshrrev_b32_e32 v66, 3, v67
	s_mov_b32 s43, exec_lo
	v_cmpx_gt_u32_e32 8, v67
; %bb.310:                              ;   in Loop: Header=BB296_10 Depth=1
	v_ffbh_u32_e32 v64, v64
	v_min_u32_e32 v64, 32, v64
	v_subrev_nc_u32_e32 v66, 28, v64
	v_lshlrev_b64 v[67:68], v66, v[3:4]
	v_sub_nc_u32_e32 v66, 29, v64
	v_and_b32_e32 v64, 7, v67
; %bb.311:                              ;   in Loop: Header=BB296_10 Depth=1
	s_or_b32 exec_lo, exec_lo, s43
	v_lshlrev_b32_sdwa v3, v25, v3 dst_sel:DWORD dst_unused:UNUSED_PAD src0_sel:DWORD src1_sel:WORD_0
	v_lshl_add_u32 v66, v66, 10, 0x2000
	v_lshlrev_b32_e32 v64, 23, v64
	v_and_or_b32 v3, 0x8000, v3, v66
	v_lshl_or_b32 v64, v3, 16, v64
.LBB296_312:                            ;   in Loop: Header=BB296_10 Depth=1
	s_or_b32 exec_lo, exec_lo, s42
.LBB296_313:                            ;   in Loop: Header=BB296_10 Depth=1
	s_or_b32 exec_lo, exec_lo, s41
.LBB296_314:                            ;   in Loop: Header=BB296_10 Depth=1
	s_or_b32 exec_lo, exec_lo, s4
	v_lshrrev_b32_e32 v3, 16, v11
	v_mov_b32_e32 v66, 0
	v_mov_b32_e32 v67, 0
	v_cmp_ne_u16_sdwa s3, v3, v4 src0_sel:BYTE_0 src1_sel:DWORD
	s_and_saveexec_b32 s4, s3
	s_cbranch_execz .LBB296_322
; %bb.315:                              ;   in Loop: Header=BB296_10 Depth=1
	v_cmp_ne_u16_sdwa s3, v3, v22 src0_sel:BYTE_0 src1_sel:DWORD
	v_mov_b32_e32 v67, 0x8000
	s_and_saveexec_b32 s41, s3
	s_cbranch_execz .LBB296_321
; %bb.316:                              ;   in Loop: Header=BB296_10 Depth=1
	v_bfe_u32 v69, v11, 16, 7
	v_mov_b32_e32 v67, 0x7c01
	s_mov_b32 s42, exec_lo
	v_cmpx_ne_u32_e32 0x7f, v69
	s_cbranch_execz .LBB296_320
; %bb.317:                              ;   in Loop: Header=BB296_10 Depth=1
	v_and_b32_e32 v67, 7, v3
	v_lshrrev_b32_e32 v68, 3, v69
	s_mov_b32 s43, exec_lo
	v_cmpx_gt_u32_e32 8, v69
; %bb.318:                              ;   in Loop: Header=BB296_10 Depth=1
	v_ffbh_u32_e32 v67, v67
	v_min_u32_e32 v69, 32, v67
	v_subrev_nc_u32_e32 v67, 28, v69
	v_lshlrev_b64 v[67:68], v67, v[3:4]
	v_sub_nc_u32_e32 v68, 29, v69
	v_and_b32_e32 v67, 7, v67
; %bb.319:                              ;   in Loop: Header=BB296_10 Depth=1
	s_or_b32 exec_lo, exec_lo, s43
	v_lshlrev_b32_e32 v3, 8, v3
	v_lshl_add_u32 v68, v68, 10, 0x2000
	v_lshlrev_b32_e32 v67, 7, v67
	v_and_b32_e32 v3, 0x8000, v3
	v_and_b32_e32 v68, 0xfc00, v68
	v_or3_b32 v67, v3, v68, v67
.LBB296_320:                            ;   in Loop: Header=BB296_10 Depth=1
	s_or_b32 exec_lo, exec_lo, s42
.LBB296_321:                            ;   in Loop: Header=BB296_10 Depth=1
	s_or_b32 exec_lo, exec_lo, s41
.LBB296_322:                            ;   in Loop: Header=BB296_10 Depth=1
	s_or_b32 exec_lo, exec_lo, s4
	s_mov_b32 s4, exec_lo
	v_cmpx_lt_u32_e32 0xffffff, v11
	s_cbranch_execz .LBB296_330
; %bb.323:                              ;   in Loop: Header=BB296_10 Depth=1
	v_lshrrev_b32_e32 v3, 24, v11
	v_bfrev_b32_e32 v66, 1
	s_mov_b32 s41, exec_lo
	v_cmpx_ne_u32_e32 0x80, v3
	s_cbranch_execz .LBB296_329
; %bb.324:                              ;   in Loop: Header=BB296_10 Depth=1
	v_and_b32_e32 v68, 0x7f, v3
	v_mov_b32_e32 v66, 0x7c010000
	s_mov_b32 s42, exec_lo
	v_cmpx_ne_u32_e32 0x7f, v68
	s_cbranch_execz .LBB296_328
; %bb.325:                              ;   in Loop: Header=BB296_10 Depth=1
	v_and_b32_e32 v11, 7, v3
	v_lshrrev_b32_e32 v66, 3, v68
	s_mov_b32 s43, exec_lo
	v_cmpx_gt_u32_e32 8, v68
; %bb.326:                              ;   in Loop: Header=BB296_10 Depth=1
	v_ffbh_u32_e32 v11, v11
	v_min_u32_e32 v11, 32, v11
	v_subrev_nc_u32_e32 v66, 28, v11
	v_lshlrev_b64 v[68:69], v66, v[3:4]
	v_sub_nc_u32_e32 v66, 29, v11
	v_and_b32_e32 v11, 7, v68
; %bb.327:                              ;   in Loop: Header=BB296_10 Depth=1
	s_or_b32 exec_lo, exec_lo, s43
	v_lshlrev_b32_e32 v3, 8, v3
	v_lshl_add_u32 v66, v66, 10, 0x2000
	v_lshlrev_b32_e32 v11, 23, v11
	v_and_or_b32 v3, 0x8000, v3, v66
	v_lshl_or_b32 v66, v3, 16, v11
.LBB296_328:                            ;   in Loop: Header=BB296_10 Depth=1
	s_or_b32 exec_lo, exec_lo, s42
.LBB296_329:                            ;   in Loop: Header=BB296_10 Depth=1
	s_or_b32 exec_lo, exec_lo, s41
.LBB296_330:                            ;   in Loop: Header=BB296_10 Depth=1
	s_or_b32 exec_lo, exec_lo, s4
	global_load_dword v11, v[9:10], off offset:1280
	v_mov_b32_e32 v68, 0
	v_mov_b32_e32 v69, 0
	s_waitcnt vmcnt(0)
	v_cmp_ne_u16_sdwa s3, v11, v4 src0_sel:BYTE_0 src1_sel:DWORD
	s_and_saveexec_b32 s4, s3
	s_cbranch_execz .LBB296_338
; %bb.331:                              ;   in Loop: Header=BB296_10 Depth=1
	v_cmp_ne_u16_sdwa s3, v11, v22 src0_sel:BYTE_0 src1_sel:DWORD
	v_mov_b32_e32 v69, 0x8000
	s_and_saveexec_b32 s41, s3
	s_cbranch_execz .LBB296_337
; %bb.332:                              ;   in Loop: Header=BB296_10 Depth=1
	v_and_b32_e32 v70, 0x7f, v11
	v_mov_b32_e32 v69, 0x7c01
	s_mov_b32 s42, exec_lo
	v_cmpx_ne_u32_e32 0x7f, v70
	s_cbranch_execz .LBB296_336
; %bb.333:                              ;   in Loop: Header=BB296_10 Depth=1
	v_and_b32_e32 v3, 7, v11
	v_lshrrev_b32_e32 v69, 3, v70
	s_mov_b32 s43, exec_lo
	v_cmpx_gt_u32_e32 8, v70
; %bb.334:                              ;   in Loop: Header=BB296_10 Depth=1
	v_ffbh_u32_e32 v3, v3
	v_min_u32_e32 v3, 32, v3
	v_subrev_nc_u32_e32 v69, 28, v3
	v_lshlrev_b64 v[70:71], v69, v[11:12]
	v_sub_nc_u32_e32 v69, 29, v3
	v_and_b32_e32 v3, 7, v70
; %bb.335:                              ;   in Loop: Header=BB296_10 Depth=1
	s_or_b32 exec_lo, exec_lo, s43
	v_lshlrev_b32_e32 v70, 8, v11
	v_lshl_add_u32 v69, v69, 10, 0x2000
	v_lshlrev_b32_e32 v3, 7, v3
	v_and_b32_e32 v70, 0x8000, v70
	v_and_b32_e32 v69, 0xfc00, v69
	v_or3_b32 v69, v70, v69, v3
.LBB296_336:                            ;   in Loop: Header=BB296_10 Depth=1
	s_or_b32 exec_lo, exec_lo, s42
.LBB296_337:                            ;   in Loop: Header=BB296_10 Depth=1
	s_or_b32 exec_lo, exec_lo, s41
.LBB296_338:                            ;   in Loop: Header=BB296_10 Depth=1
	s_or_b32 exec_lo, exec_lo, s4
	v_lshrrev_b16 v3, 8, v11
	s_mov_b32 s4, exec_lo
	v_cmpx_ne_u16_e32 0, v3
	s_cbranch_execz .LBB296_346
; %bb.339:                              ;   in Loop: Header=BB296_10 Depth=1
	v_bfrev_b32_e32 v68, 1
	s_mov_b32 s41, exec_lo
	v_cmpx_ne_u16_e32 0x80, v3
	s_cbranch_execz .LBB296_345
; %bb.340:                              ;   in Loop: Header=BB296_10 Depth=1
	v_and_b32_sdwa v71, v3, v23 dst_sel:DWORD dst_unused:UNUSED_PAD src0_sel:WORD_0 src1_sel:DWORD
	v_mov_b32_e32 v68, 0x7c010000
	s_mov_b32 s42, exec_lo
	v_cmpx_ne_u32_e32 0x7f, v71
	s_cbranch_execz .LBB296_344
; %bb.341:                              ;   in Loop: Header=BB296_10 Depth=1
	v_and_b32_sdwa v68, v3, v24 dst_sel:DWORD dst_unused:UNUSED_PAD src0_sel:WORD_0 src1_sel:DWORD
	v_lshrrev_b32_e32 v70, 3, v71
	s_mov_b32 s43, exec_lo
	v_cmpx_gt_u32_e32 8, v71
; %bb.342:                              ;   in Loop: Header=BB296_10 Depth=1
	v_ffbh_u32_e32 v68, v68
	v_min_u32_e32 v68, 32, v68
	v_subrev_nc_u32_e32 v70, 28, v68
	v_lshlrev_b64 v[71:72], v70, v[3:4]
	v_sub_nc_u32_e32 v70, 29, v68
	v_and_b32_e32 v68, 7, v71
; %bb.343:                              ;   in Loop: Header=BB296_10 Depth=1
	s_or_b32 exec_lo, exec_lo, s43
	v_lshlrev_b32_sdwa v3, v25, v3 dst_sel:DWORD dst_unused:UNUSED_PAD src0_sel:DWORD src1_sel:WORD_0
	v_lshl_add_u32 v70, v70, 10, 0x2000
	v_lshlrev_b32_e32 v68, 23, v68
	v_and_or_b32 v3, 0x8000, v3, v70
	v_lshl_or_b32 v68, v3, 16, v68
.LBB296_344:                            ;   in Loop: Header=BB296_10 Depth=1
	s_or_b32 exec_lo, exec_lo, s42
.LBB296_345:                            ;   in Loop: Header=BB296_10 Depth=1
	s_or_b32 exec_lo, exec_lo, s41
.LBB296_346:                            ;   in Loop: Header=BB296_10 Depth=1
	s_or_b32 exec_lo, exec_lo, s4
	v_lshrrev_b32_e32 v3, 16, v11
	v_mov_b32_e32 v70, 0
	v_mov_b32_e32 v71, 0
	v_cmp_ne_u16_sdwa s3, v3, v4 src0_sel:BYTE_0 src1_sel:DWORD
	s_and_saveexec_b32 s4, s3
	s_cbranch_execz .LBB296_354
; %bb.347:                              ;   in Loop: Header=BB296_10 Depth=1
	v_cmp_ne_u16_sdwa s3, v3, v22 src0_sel:BYTE_0 src1_sel:DWORD
	v_mov_b32_e32 v71, 0x8000
	s_and_saveexec_b32 s41, s3
	s_cbranch_execz .LBB296_353
; %bb.348:                              ;   in Loop: Header=BB296_10 Depth=1
	v_bfe_u32 v73, v11, 16, 7
	v_mov_b32_e32 v71, 0x7c01
	s_mov_b32 s42, exec_lo
	v_cmpx_ne_u32_e32 0x7f, v73
	s_cbranch_execz .LBB296_352
; %bb.349:                              ;   in Loop: Header=BB296_10 Depth=1
	v_and_b32_e32 v71, 7, v3
	v_lshrrev_b32_e32 v72, 3, v73
	s_mov_b32 s43, exec_lo
	v_cmpx_gt_u32_e32 8, v73
; %bb.350:                              ;   in Loop: Header=BB296_10 Depth=1
	v_ffbh_u32_e32 v71, v71
	v_min_u32_e32 v73, 32, v71
	v_subrev_nc_u32_e32 v71, 28, v73
	v_lshlrev_b64 v[71:72], v71, v[3:4]
	v_sub_nc_u32_e32 v72, 29, v73
	v_and_b32_e32 v71, 7, v71
; %bb.351:                              ;   in Loop: Header=BB296_10 Depth=1
	s_or_b32 exec_lo, exec_lo, s43
	v_lshlrev_b32_e32 v3, 8, v3
	v_lshl_add_u32 v72, v72, 10, 0x2000
	v_lshlrev_b32_e32 v71, 7, v71
	v_and_b32_e32 v3, 0x8000, v3
	v_and_b32_e32 v72, 0xfc00, v72
	v_or3_b32 v71, v3, v72, v71
.LBB296_352:                            ;   in Loop: Header=BB296_10 Depth=1
	s_or_b32 exec_lo, exec_lo, s42
.LBB296_353:                            ;   in Loop: Header=BB296_10 Depth=1
	s_or_b32 exec_lo, exec_lo, s41
.LBB296_354:                            ;   in Loop: Header=BB296_10 Depth=1
	s_or_b32 exec_lo, exec_lo, s4
	s_mov_b32 s4, exec_lo
	v_cmpx_lt_u32_e32 0xffffff, v11
	s_cbranch_execz .LBB296_362
; %bb.355:                              ;   in Loop: Header=BB296_10 Depth=1
	v_lshrrev_b32_e32 v3, 24, v11
	v_bfrev_b32_e32 v70, 1
	s_mov_b32 s41, exec_lo
	v_cmpx_ne_u32_e32 0x80, v3
	s_cbranch_execz .LBB296_361
; %bb.356:                              ;   in Loop: Header=BB296_10 Depth=1
	v_and_b32_e32 v72, 0x7f, v3
	v_mov_b32_e32 v70, 0x7c010000
	s_mov_b32 s42, exec_lo
	v_cmpx_ne_u32_e32 0x7f, v72
	s_cbranch_execz .LBB296_360
; %bb.357:                              ;   in Loop: Header=BB296_10 Depth=1
	v_and_b32_e32 v11, 7, v3
	v_lshrrev_b32_e32 v70, 3, v72
	s_mov_b32 s43, exec_lo
	v_cmpx_gt_u32_e32 8, v72
; %bb.358:                              ;   in Loop: Header=BB296_10 Depth=1
	v_ffbh_u32_e32 v11, v11
	v_min_u32_e32 v11, 32, v11
	v_subrev_nc_u32_e32 v70, 28, v11
	v_lshlrev_b64 v[72:73], v70, v[3:4]
	v_sub_nc_u32_e32 v70, 29, v11
	v_and_b32_e32 v11, 7, v72
; %bb.359:                              ;   in Loop: Header=BB296_10 Depth=1
	s_or_b32 exec_lo, exec_lo, s43
	v_lshlrev_b32_e32 v3, 8, v3
	v_lshl_add_u32 v70, v70, 10, 0x2000
	v_lshlrev_b32_e32 v11, 23, v11
	v_and_or_b32 v3, 0x8000, v3, v70
	v_lshl_or_b32 v70, v3, 16, v11
.LBB296_360:                            ;   in Loop: Header=BB296_10 Depth=1
	s_or_b32 exec_lo, exec_lo, s42
.LBB296_361:                            ;   in Loop: Header=BB296_10 Depth=1
	s_or_b32 exec_lo, exec_lo, s41
.LBB296_362:                            ;   in Loop: Header=BB296_10 Depth=1
	s_or_b32 exec_lo, exec_lo, s4
	global_load_dword v11, v[9:10], off offset:1288
	v_mov_b32_e32 v72, 0
	v_mov_b32_e32 v73, 0
	s_waitcnt vmcnt(0)
	v_cmp_ne_u16_sdwa s3, v11, v4 src0_sel:BYTE_0 src1_sel:DWORD
	s_and_saveexec_b32 s4, s3
	s_cbranch_execz .LBB296_370
; %bb.363:                              ;   in Loop: Header=BB296_10 Depth=1
	v_cmp_ne_u16_sdwa s3, v11, v22 src0_sel:BYTE_0 src1_sel:DWORD
	v_mov_b32_e32 v73, 0x8000
	s_and_saveexec_b32 s41, s3
	s_cbranch_execz .LBB296_369
; %bb.364:                              ;   in Loop: Header=BB296_10 Depth=1
	v_and_b32_e32 v74, 0x7f, v11
	v_mov_b32_e32 v73, 0x7c01
	s_mov_b32 s42, exec_lo
	v_cmpx_ne_u32_e32 0x7f, v74
	s_cbranch_execz .LBB296_368
; %bb.365:                              ;   in Loop: Header=BB296_10 Depth=1
	v_and_b32_e32 v3, 7, v11
	v_lshrrev_b32_e32 v73, 3, v74
	s_mov_b32 s43, exec_lo
	v_cmpx_gt_u32_e32 8, v74
; %bb.366:                              ;   in Loop: Header=BB296_10 Depth=1
	v_ffbh_u32_e32 v3, v3
	v_min_u32_e32 v3, 32, v3
	v_subrev_nc_u32_e32 v73, 28, v3
	v_lshlrev_b64 v[74:75], v73, v[11:12]
	v_sub_nc_u32_e32 v73, 29, v3
	v_and_b32_e32 v3, 7, v74
; %bb.367:                              ;   in Loop: Header=BB296_10 Depth=1
	s_or_b32 exec_lo, exec_lo, s43
	v_lshlrev_b32_e32 v74, 8, v11
	v_lshl_add_u32 v73, v73, 10, 0x2000
	v_lshlrev_b32_e32 v3, 7, v3
	v_and_b32_e32 v74, 0x8000, v74
	v_and_b32_e32 v73, 0xfc00, v73
	v_or3_b32 v73, v74, v73, v3
.LBB296_368:                            ;   in Loop: Header=BB296_10 Depth=1
	s_or_b32 exec_lo, exec_lo, s42
.LBB296_369:                            ;   in Loop: Header=BB296_10 Depth=1
	s_or_b32 exec_lo, exec_lo, s41
.LBB296_370:                            ;   in Loop: Header=BB296_10 Depth=1
	s_or_b32 exec_lo, exec_lo, s4
	v_lshrrev_b16 v3, 8, v11
	s_mov_b32 s4, exec_lo
	v_cmpx_ne_u16_e32 0, v3
	s_cbranch_execz .LBB296_378
; %bb.371:                              ;   in Loop: Header=BB296_10 Depth=1
	v_bfrev_b32_e32 v72, 1
	s_mov_b32 s41, exec_lo
	v_cmpx_ne_u16_e32 0x80, v3
	s_cbranch_execz .LBB296_377
; %bb.372:                              ;   in Loop: Header=BB296_10 Depth=1
	v_and_b32_sdwa v75, v3, v23 dst_sel:DWORD dst_unused:UNUSED_PAD src0_sel:WORD_0 src1_sel:DWORD
	v_mov_b32_e32 v72, 0x7c010000
	s_mov_b32 s42, exec_lo
	v_cmpx_ne_u32_e32 0x7f, v75
	s_cbranch_execz .LBB296_376
; %bb.373:                              ;   in Loop: Header=BB296_10 Depth=1
	v_and_b32_sdwa v72, v3, v24 dst_sel:DWORD dst_unused:UNUSED_PAD src0_sel:WORD_0 src1_sel:DWORD
	v_lshrrev_b32_e32 v74, 3, v75
	s_mov_b32 s43, exec_lo
	v_cmpx_gt_u32_e32 8, v75
; %bb.374:                              ;   in Loop: Header=BB296_10 Depth=1
	v_ffbh_u32_e32 v72, v72
	v_min_u32_e32 v72, 32, v72
	v_subrev_nc_u32_e32 v74, 28, v72
	v_lshlrev_b64 v[75:76], v74, v[3:4]
	v_sub_nc_u32_e32 v74, 29, v72
	v_and_b32_e32 v72, 7, v75
; %bb.375:                              ;   in Loop: Header=BB296_10 Depth=1
	s_or_b32 exec_lo, exec_lo, s43
	v_lshlrev_b32_sdwa v3, v25, v3 dst_sel:DWORD dst_unused:UNUSED_PAD src0_sel:DWORD src1_sel:WORD_0
	v_lshl_add_u32 v74, v74, 10, 0x2000
	v_lshlrev_b32_e32 v72, 23, v72
	v_and_or_b32 v3, 0x8000, v3, v74
	v_lshl_or_b32 v72, v3, 16, v72
.LBB296_376:                            ;   in Loop: Header=BB296_10 Depth=1
	s_or_b32 exec_lo, exec_lo, s42
.LBB296_377:                            ;   in Loop: Header=BB296_10 Depth=1
	s_or_b32 exec_lo, exec_lo, s41
.LBB296_378:                            ;   in Loop: Header=BB296_10 Depth=1
	s_or_b32 exec_lo, exec_lo, s4
	v_lshrrev_b32_e32 v3, 16, v11
	v_mov_b32_e32 v74, 0
	v_mov_b32_e32 v75, 0
	v_cmp_ne_u16_sdwa s3, v3, v4 src0_sel:BYTE_0 src1_sel:DWORD
	s_and_saveexec_b32 s4, s3
	s_cbranch_execz .LBB296_386
; %bb.379:                              ;   in Loop: Header=BB296_10 Depth=1
	v_cmp_ne_u16_sdwa s3, v3, v22 src0_sel:BYTE_0 src1_sel:DWORD
	v_mov_b32_e32 v75, 0x8000
	s_and_saveexec_b32 s41, s3
	s_cbranch_execz .LBB296_385
; %bb.380:                              ;   in Loop: Header=BB296_10 Depth=1
	v_bfe_u32 v77, v11, 16, 7
	v_mov_b32_e32 v75, 0x7c01
	s_mov_b32 s42, exec_lo
	v_cmpx_ne_u32_e32 0x7f, v77
	s_cbranch_execz .LBB296_384
; %bb.381:                              ;   in Loop: Header=BB296_10 Depth=1
	v_and_b32_e32 v75, 7, v3
	v_lshrrev_b32_e32 v76, 3, v77
	s_mov_b32 s43, exec_lo
	v_cmpx_gt_u32_e32 8, v77
; %bb.382:                              ;   in Loop: Header=BB296_10 Depth=1
	v_ffbh_u32_e32 v75, v75
	v_min_u32_e32 v77, 32, v75
	v_subrev_nc_u32_e32 v75, 28, v77
	v_lshlrev_b64 v[75:76], v75, v[3:4]
	v_sub_nc_u32_e32 v76, 29, v77
	v_and_b32_e32 v75, 7, v75
; %bb.383:                              ;   in Loop: Header=BB296_10 Depth=1
	s_or_b32 exec_lo, exec_lo, s43
	v_lshlrev_b32_e32 v3, 8, v3
	v_lshl_add_u32 v76, v76, 10, 0x2000
	v_lshlrev_b32_e32 v75, 7, v75
	v_and_b32_e32 v3, 0x8000, v3
	v_and_b32_e32 v76, 0xfc00, v76
	v_or3_b32 v75, v3, v76, v75
.LBB296_384:                            ;   in Loop: Header=BB296_10 Depth=1
	s_or_b32 exec_lo, exec_lo, s42
.LBB296_385:                            ;   in Loop: Header=BB296_10 Depth=1
	s_or_b32 exec_lo, exec_lo, s41
.LBB296_386:                            ;   in Loop: Header=BB296_10 Depth=1
	s_or_b32 exec_lo, exec_lo, s4
	s_mov_b32 s4, exec_lo
	v_cmpx_lt_u32_e32 0xffffff, v11
	s_cbranch_execz .LBB296_394
; %bb.387:                              ;   in Loop: Header=BB296_10 Depth=1
	v_lshrrev_b32_e32 v3, 24, v11
	v_bfrev_b32_e32 v74, 1
	s_mov_b32 s41, exec_lo
	v_cmpx_ne_u32_e32 0x80, v3
	s_cbranch_execz .LBB296_393
; %bb.388:                              ;   in Loop: Header=BB296_10 Depth=1
	v_and_b32_e32 v76, 0x7f, v3
	v_mov_b32_e32 v74, 0x7c010000
	s_mov_b32 s42, exec_lo
	v_cmpx_ne_u32_e32 0x7f, v76
	s_cbranch_execz .LBB296_392
; %bb.389:                              ;   in Loop: Header=BB296_10 Depth=1
	v_and_b32_e32 v11, 7, v3
	v_lshrrev_b32_e32 v74, 3, v76
	s_mov_b32 s43, exec_lo
	v_cmpx_gt_u32_e32 8, v76
; %bb.390:                              ;   in Loop: Header=BB296_10 Depth=1
	v_ffbh_u32_e32 v11, v11
	v_min_u32_e32 v11, 32, v11
	v_subrev_nc_u32_e32 v74, 28, v11
	v_lshlrev_b64 v[76:77], v74, v[3:4]
	v_sub_nc_u32_e32 v74, 29, v11
	v_and_b32_e32 v11, 7, v76
; %bb.391:                              ;   in Loop: Header=BB296_10 Depth=1
	s_or_b32 exec_lo, exec_lo, s43
	v_lshlrev_b32_e32 v3, 8, v3
	v_lshl_add_u32 v74, v74, 10, 0x2000
	v_lshlrev_b32_e32 v11, 23, v11
	v_and_or_b32 v3, 0x8000, v3, v74
	v_lshl_or_b32 v74, v3, 16, v11
.LBB296_392:                            ;   in Loop: Header=BB296_10 Depth=1
	s_or_b32 exec_lo, exec_lo, s42
.LBB296_393:                            ;   in Loop: Header=BB296_10 Depth=1
	s_or_b32 exec_lo, exec_lo, s41
.LBB296_394:                            ;   in Loop: Header=BB296_10 Depth=1
	s_or_b32 exec_lo, exec_lo, s4
	global_load_dword v11, v[9:10], off offset:1536
	v_mov_b32_e32 v76, 0
	v_mov_b32_e32 v77, 0
	s_waitcnt vmcnt(0)
	v_cmp_ne_u16_sdwa s3, v11, v4 src0_sel:BYTE_0 src1_sel:DWORD
	s_and_saveexec_b32 s4, s3
	s_cbranch_execz .LBB296_402
; %bb.395:                              ;   in Loop: Header=BB296_10 Depth=1
	v_cmp_ne_u16_sdwa s3, v11, v22 src0_sel:BYTE_0 src1_sel:DWORD
	v_mov_b32_e32 v77, 0x8000
	s_and_saveexec_b32 s41, s3
	s_cbranch_execz .LBB296_401
; %bb.396:                              ;   in Loop: Header=BB296_10 Depth=1
	v_and_b32_e32 v78, 0x7f, v11
	v_mov_b32_e32 v77, 0x7c01
	s_mov_b32 s42, exec_lo
	v_cmpx_ne_u32_e32 0x7f, v78
	s_cbranch_execz .LBB296_400
; %bb.397:                              ;   in Loop: Header=BB296_10 Depth=1
	v_and_b32_e32 v3, 7, v11
	v_lshrrev_b32_e32 v77, 3, v78
	s_mov_b32 s43, exec_lo
	v_cmpx_gt_u32_e32 8, v78
; %bb.398:                              ;   in Loop: Header=BB296_10 Depth=1
	v_ffbh_u32_e32 v3, v3
	v_min_u32_e32 v3, 32, v3
	v_subrev_nc_u32_e32 v77, 28, v3
	v_lshlrev_b64 v[78:79], v77, v[11:12]
	v_sub_nc_u32_e32 v77, 29, v3
	v_and_b32_e32 v3, 7, v78
; %bb.399:                              ;   in Loop: Header=BB296_10 Depth=1
	s_or_b32 exec_lo, exec_lo, s43
	v_lshlrev_b32_e32 v78, 8, v11
	v_lshl_add_u32 v77, v77, 10, 0x2000
	v_lshlrev_b32_e32 v3, 7, v3
	v_and_b32_e32 v78, 0x8000, v78
	v_and_b32_e32 v77, 0xfc00, v77
	v_or3_b32 v77, v78, v77, v3
.LBB296_400:                            ;   in Loop: Header=BB296_10 Depth=1
	s_or_b32 exec_lo, exec_lo, s42
.LBB296_401:                            ;   in Loop: Header=BB296_10 Depth=1
	s_or_b32 exec_lo, exec_lo, s41
.LBB296_402:                            ;   in Loop: Header=BB296_10 Depth=1
	s_or_b32 exec_lo, exec_lo, s4
	v_lshrrev_b16 v3, 8, v11
	s_mov_b32 s4, exec_lo
	v_cmpx_ne_u16_e32 0, v3
	s_cbranch_execz .LBB296_410
; %bb.403:                              ;   in Loop: Header=BB296_10 Depth=1
	v_bfrev_b32_e32 v76, 1
	s_mov_b32 s41, exec_lo
	v_cmpx_ne_u16_e32 0x80, v3
	s_cbranch_execz .LBB296_409
; %bb.404:                              ;   in Loop: Header=BB296_10 Depth=1
	v_and_b32_sdwa v79, v3, v23 dst_sel:DWORD dst_unused:UNUSED_PAD src0_sel:WORD_0 src1_sel:DWORD
	v_mov_b32_e32 v76, 0x7c010000
	s_mov_b32 s42, exec_lo
	v_cmpx_ne_u32_e32 0x7f, v79
	s_cbranch_execz .LBB296_408
; %bb.405:                              ;   in Loop: Header=BB296_10 Depth=1
	v_and_b32_sdwa v76, v3, v24 dst_sel:DWORD dst_unused:UNUSED_PAD src0_sel:WORD_0 src1_sel:DWORD
	v_lshrrev_b32_e32 v78, 3, v79
	s_mov_b32 s43, exec_lo
	v_cmpx_gt_u32_e32 8, v79
; %bb.406:                              ;   in Loop: Header=BB296_10 Depth=1
	v_ffbh_u32_e32 v76, v76
	v_min_u32_e32 v76, 32, v76
	v_subrev_nc_u32_e32 v78, 28, v76
	v_lshlrev_b64 v[79:80], v78, v[3:4]
	v_sub_nc_u32_e32 v78, 29, v76
	v_and_b32_e32 v76, 7, v79
; %bb.407:                              ;   in Loop: Header=BB296_10 Depth=1
	s_or_b32 exec_lo, exec_lo, s43
	v_lshlrev_b32_sdwa v3, v25, v3 dst_sel:DWORD dst_unused:UNUSED_PAD src0_sel:DWORD src1_sel:WORD_0
	v_lshl_add_u32 v78, v78, 10, 0x2000
	v_lshlrev_b32_e32 v76, 23, v76
	v_and_or_b32 v3, 0x8000, v3, v78
	v_lshl_or_b32 v76, v3, 16, v76
.LBB296_408:                            ;   in Loop: Header=BB296_10 Depth=1
	s_or_b32 exec_lo, exec_lo, s42
.LBB296_409:                            ;   in Loop: Header=BB296_10 Depth=1
	s_or_b32 exec_lo, exec_lo, s41
.LBB296_410:                            ;   in Loop: Header=BB296_10 Depth=1
	s_or_b32 exec_lo, exec_lo, s4
	v_lshrrev_b32_e32 v3, 16, v11
	v_mov_b32_e32 v78, 0
	v_mov_b32_e32 v79, 0
	v_cmp_ne_u16_sdwa s3, v3, v4 src0_sel:BYTE_0 src1_sel:DWORD
	s_and_saveexec_b32 s4, s3
	s_cbranch_execz .LBB296_418
; %bb.411:                              ;   in Loop: Header=BB296_10 Depth=1
	v_cmp_ne_u16_sdwa s3, v3, v22 src0_sel:BYTE_0 src1_sel:DWORD
	v_mov_b32_e32 v79, 0x8000
	s_and_saveexec_b32 s41, s3
	s_cbranch_execz .LBB296_417
; %bb.412:                              ;   in Loop: Header=BB296_10 Depth=1
	v_bfe_u32 v81, v11, 16, 7
	v_mov_b32_e32 v79, 0x7c01
	s_mov_b32 s42, exec_lo
	v_cmpx_ne_u32_e32 0x7f, v81
	s_cbranch_execz .LBB296_416
; %bb.413:                              ;   in Loop: Header=BB296_10 Depth=1
	v_and_b32_e32 v79, 7, v3
	v_lshrrev_b32_e32 v80, 3, v81
	s_mov_b32 s43, exec_lo
	v_cmpx_gt_u32_e32 8, v81
; %bb.414:                              ;   in Loop: Header=BB296_10 Depth=1
	v_ffbh_u32_e32 v79, v79
	v_min_u32_e32 v81, 32, v79
	v_subrev_nc_u32_e32 v79, 28, v81
	v_lshlrev_b64 v[79:80], v79, v[3:4]
	v_sub_nc_u32_e32 v80, 29, v81
	v_and_b32_e32 v79, 7, v79
; %bb.415:                              ;   in Loop: Header=BB296_10 Depth=1
	s_or_b32 exec_lo, exec_lo, s43
	v_lshlrev_b32_e32 v3, 8, v3
	v_lshl_add_u32 v80, v80, 10, 0x2000
	v_lshlrev_b32_e32 v79, 7, v79
	v_and_b32_e32 v3, 0x8000, v3
	v_and_b32_e32 v80, 0xfc00, v80
	v_or3_b32 v79, v3, v80, v79
.LBB296_416:                            ;   in Loop: Header=BB296_10 Depth=1
	s_or_b32 exec_lo, exec_lo, s42
.LBB296_417:                            ;   in Loop: Header=BB296_10 Depth=1
	s_or_b32 exec_lo, exec_lo, s41
.LBB296_418:                            ;   in Loop: Header=BB296_10 Depth=1
	s_or_b32 exec_lo, exec_lo, s4
	s_mov_b32 s4, exec_lo
	v_cmpx_lt_u32_e32 0xffffff, v11
	s_cbranch_execz .LBB296_426
; %bb.419:                              ;   in Loop: Header=BB296_10 Depth=1
	v_lshrrev_b32_e32 v3, 24, v11
	v_bfrev_b32_e32 v78, 1
	s_mov_b32 s41, exec_lo
	v_cmpx_ne_u32_e32 0x80, v3
	s_cbranch_execz .LBB296_425
; %bb.420:                              ;   in Loop: Header=BB296_10 Depth=1
	v_and_b32_e32 v80, 0x7f, v3
	v_mov_b32_e32 v78, 0x7c010000
	s_mov_b32 s42, exec_lo
	v_cmpx_ne_u32_e32 0x7f, v80
	s_cbranch_execz .LBB296_424
; %bb.421:                              ;   in Loop: Header=BB296_10 Depth=1
	v_and_b32_e32 v11, 7, v3
	v_lshrrev_b32_e32 v78, 3, v80
	s_mov_b32 s43, exec_lo
	v_cmpx_gt_u32_e32 8, v80
; %bb.422:                              ;   in Loop: Header=BB296_10 Depth=1
	v_ffbh_u32_e32 v11, v11
	v_min_u32_e32 v11, 32, v11
	v_subrev_nc_u32_e32 v78, 28, v11
	v_lshlrev_b64 v[80:81], v78, v[3:4]
	v_sub_nc_u32_e32 v78, 29, v11
	v_and_b32_e32 v11, 7, v80
; %bb.423:                              ;   in Loop: Header=BB296_10 Depth=1
	s_or_b32 exec_lo, exec_lo, s43
	v_lshlrev_b32_e32 v3, 8, v3
	v_lshl_add_u32 v78, v78, 10, 0x2000
	v_lshlrev_b32_e32 v11, 23, v11
	v_and_or_b32 v3, 0x8000, v3, v78
	v_lshl_or_b32 v78, v3, 16, v11
.LBB296_424:                            ;   in Loop: Header=BB296_10 Depth=1
	s_or_b32 exec_lo, exec_lo, s42
.LBB296_425:                            ;   in Loop: Header=BB296_10 Depth=1
	s_or_b32 exec_lo, exec_lo, s41
.LBB296_426:                            ;   in Loop: Header=BB296_10 Depth=1
	s_or_b32 exec_lo, exec_lo, s4
	global_load_dword v11, v[9:10], off offset:1544
	v_mov_b32_e32 v80, 0
	v_mov_b32_e32 v81, 0
	s_waitcnt vmcnt(0)
	v_cmp_ne_u16_sdwa s3, v11, v4 src0_sel:BYTE_0 src1_sel:DWORD
	s_and_saveexec_b32 s4, s3
	s_cbranch_execz .LBB296_434
; %bb.427:                              ;   in Loop: Header=BB296_10 Depth=1
	v_cmp_ne_u16_sdwa s3, v11, v22 src0_sel:BYTE_0 src1_sel:DWORD
	v_mov_b32_e32 v81, 0x8000
	s_and_saveexec_b32 s41, s3
	s_cbranch_execz .LBB296_433
; %bb.428:                              ;   in Loop: Header=BB296_10 Depth=1
	v_and_b32_e32 v82, 0x7f, v11
	v_mov_b32_e32 v81, 0x7c01
	s_mov_b32 s42, exec_lo
	v_cmpx_ne_u32_e32 0x7f, v82
	s_cbranch_execz .LBB296_432
; %bb.429:                              ;   in Loop: Header=BB296_10 Depth=1
	v_and_b32_e32 v3, 7, v11
	v_lshrrev_b32_e32 v81, 3, v82
	s_mov_b32 s43, exec_lo
	v_cmpx_gt_u32_e32 8, v82
; %bb.430:                              ;   in Loop: Header=BB296_10 Depth=1
	v_ffbh_u32_e32 v3, v3
	v_min_u32_e32 v3, 32, v3
	v_subrev_nc_u32_e32 v81, 28, v3
	v_lshlrev_b64 v[82:83], v81, v[11:12]
	v_sub_nc_u32_e32 v81, 29, v3
	v_and_b32_e32 v3, 7, v82
; %bb.431:                              ;   in Loop: Header=BB296_10 Depth=1
	s_or_b32 exec_lo, exec_lo, s43
	v_lshlrev_b32_e32 v82, 8, v11
	v_lshl_add_u32 v81, v81, 10, 0x2000
	v_lshlrev_b32_e32 v3, 7, v3
	v_and_b32_e32 v82, 0x8000, v82
	v_and_b32_e32 v81, 0xfc00, v81
	v_or3_b32 v81, v82, v81, v3
.LBB296_432:                            ;   in Loop: Header=BB296_10 Depth=1
	s_or_b32 exec_lo, exec_lo, s42
.LBB296_433:                            ;   in Loop: Header=BB296_10 Depth=1
	s_or_b32 exec_lo, exec_lo, s41
.LBB296_434:                            ;   in Loop: Header=BB296_10 Depth=1
	s_or_b32 exec_lo, exec_lo, s4
	v_lshrrev_b16 v3, 8, v11
	s_mov_b32 s4, exec_lo
	v_cmpx_ne_u16_e32 0, v3
	s_cbranch_execz .LBB296_442
; %bb.435:                              ;   in Loop: Header=BB296_10 Depth=1
	v_bfrev_b32_e32 v80, 1
	s_mov_b32 s41, exec_lo
	v_cmpx_ne_u16_e32 0x80, v3
	s_cbranch_execz .LBB296_441
; %bb.436:                              ;   in Loop: Header=BB296_10 Depth=1
	v_and_b32_sdwa v83, v3, v23 dst_sel:DWORD dst_unused:UNUSED_PAD src0_sel:WORD_0 src1_sel:DWORD
	v_mov_b32_e32 v80, 0x7c010000
	s_mov_b32 s42, exec_lo
	v_cmpx_ne_u32_e32 0x7f, v83
	s_cbranch_execz .LBB296_440
; %bb.437:                              ;   in Loop: Header=BB296_10 Depth=1
	v_and_b32_sdwa v80, v3, v24 dst_sel:DWORD dst_unused:UNUSED_PAD src0_sel:WORD_0 src1_sel:DWORD
	v_lshrrev_b32_e32 v82, 3, v83
	s_mov_b32 s43, exec_lo
	v_cmpx_gt_u32_e32 8, v83
; %bb.438:                              ;   in Loop: Header=BB296_10 Depth=1
	v_ffbh_u32_e32 v80, v80
	v_min_u32_e32 v80, 32, v80
	v_subrev_nc_u32_e32 v82, 28, v80
	v_lshlrev_b64 v[83:84], v82, v[3:4]
	v_sub_nc_u32_e32 v82, 29, v80
	v_and_b32_e32 v80, 7, v83
; %bb.439:                              ;   in Loop: Header=BB296_10 Depth=1
	s_or_b32 exec_lo, exec_lo, s43
	v_lshlrev_b32_sdwa v3, v25, v3 dst_sel:DWORD dst_unused:UNUSED_PAD src0_sel:DWORD src1_sel:WORD_0
	v_lshl_add_u32 v82, v82, 10, 0x2000
	v_lshlrev_b32_e32 v80, 23, v80
	v_and_or_b32 v3, 0x8000, v3, v82
	v_lshl_or_b32 v80, v3, 16, v80
.LBB296_440:                            ;   in Loop: Header=BB296_10 Depth=1
	s_or_b32 exec_lo, exec_lo, s42
.LBB296_441:                            ;   in Loop: Header=BB296_10 Depth=1
	s_or_b32 exec_lo, exec_lo, s41
.LBB296_442:                            ;   in Loop: Header=BB296_10 Depth=1
	s_or_b32 exec_lo, exec_lo, s4
	v_lshrrev_b32_e32 v3, 16, v11
	v_mov_b32_e32 v82, 0
	v_mov_b32_e32 v83, 0
	v_cmp_ne_u16_sdwa s3, v3, v4 src0_sel:BYTE_0 src1_sel:DWORD
	s_and_saveexec_b32 s4, s3
	s_cbranch_execz .LBB296_450
; %bb.443:                              ;   in Loop: Header=BB296_10 Depth=1
	v_cmp_ne_u16_sdwa s3, v3, v22 src0_sel:BYTE_0 src1_sel:DWORD
	v_mov_b32_e32 v83, 0x8000
	s_and_saveexec_b32 s41, s3
	s_cbranch_execz .LBB296_449
; %bb.444:                              ;   in Loop: Header=BB296_10 Depth=1
	v_bfe_u32 v85, v11, 16, 7
	v_mov_b32_e32 v83, 0x7c01
	s_mov_b32 s42, exec_lo
	v_cmpx_ne_u32_e32 0x7f, v85
	s_cbranch_execz .LBB296_448
; %bb.445:                              ;   in Loop: Header=BB296_10 Depth=1
	v_and_b32_e32 v83, 7, v3
	v_lshrrev_b32_e32 v84, 3, v85
	s_mov_b32 s43, exec_lo
	v_cmpx_gt_u32_e32 8, v85
; %bb.446:                              ;   in Loop: Header=BB296_10 Depth=1
	v_ffbh_u32_e32 v83, v83
	v_min_u32_e32 v85, 32, v83
	v_subrev_nc_u32_e32 v83, 28, v85
	v_lshlrev_b64 v[83:84], v83, v[3:4]
	v_sub_nc_u32_e32 v84, 29, v85
	v_and_b32_e32 v83, 7, v83
; %bb.447:                              ;   in Loop: Header=BB296_10 Depth=1
	s_or_b32 exec_lo, exec_lo, s43
	v_lshlrev_b32_e32 v3, 8, v3
	v_lshl_add_u32 v84, v84, 10, 0x2000
	v_lshlrev_b32_e32 v83, 7, v83
	v_and_b32_e32 v3, 0x8000, v3
	v_and_b32_e32 v84, 0xfc00, v84
	v_or3_b32 v83, v3, v84, v83
.LBB296_448:                            ;   in Loop: Header=BB296_10 Depth=1
	s_or_b32 exec_lo, exec_lo, s42
.LBB296_449:                            ;   in Loop: Header=BB296_10 Depth=1
	s_or_b32 exec_lo, exec_lo, s41
.LBB296_450:                            ;   in Loop: Header=BB296_10 Depth=1
	s_or_b32 exec_lo, exec_lo, s4
	s_mov_b32 s4, exec_lo
	v_cmpx_lt_u32_e32 0xffffff, v11
	s_cbranch_execz .LBB296_458
; %bb.451:                              ;   in Loop: Header=BB296_10 Depth=1
	v_lshrrev_b32_e32 v3, 24, v11
	v_bfrev_b32_e32 v82, 1
	s_mov_b32 s41, exec_lo
	v_cmpx_ne_u32_e32 0x80, v3
	s_cbranch_execz .LBB296_457
; %bb.452:                              ;   in Loop: Header=BB296_10 Depth=1
	v_and_b32_e32 v84, 0x7f, v3
	v_mov_b32_e32 v82, 0x7c010000
	s_mov_b32 s42, exec_lo
	v_cmpx_ne_u32_e32 0x7f, v84
	s_cbranch_execz .LBB296_456
; %bb.453:                              ;   in Loop: Header=BB296_10 Depth=1
	v_and_b32_e32 v11, 7, v3
	v_lshrrev_b32_e32 v82, 3, v84
	s_mov_b32 s43, exec_lo
	v_cmpx_gt_u32_e32 8, v84
; %bb.454:                              ;   in Loop: Header=BB296_10 Depth=1
	v_ffbh_u32_e32 v11, v11
	v_min_u32_e32 v11, 32, v11
	v_subrev_nc_u32_e32 v82, 28, v11
	v_lshlrev_b64 v[84:85], v82, v[3:4]
	v_sub_nc_u32_e32 v82, 29, v11
	v_and_b32_e32 v11, 7, v84
; %bb.455:                              ;   in Loop: Header=BB296_10 Depth=1
	s_or_b32 exec_lo, exec_lo, s43
	v_lshlrev_b32_e32 v3, 8, v3
	v_lshl_add_u32 v82, v82, 10, 0x2000
	v_lshlrev_b32_e32 v11, 23, v11
	v_and_or_b32 v3, 0x8000, v3, v82
	v_lshl_or_b32 v82, v3, 16, v11
.LBB296_456:                            ;   in Loop: Header=BB296_10 Depth=1
	s_or_b32 exec_lo, exec_lo, s42
.LBB296_457:                            ;   in Loop: Header=BB296_10 Depth=1
	s_or_b32 exec_lo, exec_lo, s41
.LBB296_458:                            ;   in Loop: Header=BB296_10 Depth=1
	s_or_b32 exec_lo, exec_lo, s4
	global_load_dword v11, v[9:10], off offset:1792
	v_mov_b32_e32 v84, 0
	v_mov_b32_e32 v85, 0
	s_waitcnt vmcnt(0)
	v_cmp_ne_u16_sdwa s3, v11, v4 src0_sel:BYTE_0 src1_sel:DWORD
	s_and_saveexec_b32 s4, s3
	s_cbranch_execz .LBB296_466
; %bb.459:                              ;   in Loop: Header=BB296_10 Depth=1
	v_cmp_ne_u16_sdwa s3, v11, v22 src0_sel:BYTE_0 src1_sel:DWORD
	v_mov_b32_e32 v85, 0x8000
	s_and_saveexec_b32 s41, s3
	s_cbranch_execz .LBB296_465
; %bb.460:                              ;   in Loop: Header=BB296_10 Depth=1
	v_and_b32_e32 v86, 0x7f, v11
	v_mov_b32_e32 v85, 0x7c01
	s_mov_b32 s42, exec_lo
	v_cmpx_ne_u32_e32 0x7f, v86
	s_cbranch_execz .LBB296_464
; %bb.461:                              ;   in Loop: Header=BB296_10 Depth=1
	v_and_b32_e32 v3, 7, v11
	v_lshrrev_b32_e32 v85, 3, v86
	s_mov_b32 s43, exec_lo
	v_cmpx_gt_u32_e32 8, v86
; %bb.462:                              ;   in Loop: Header=BB296_10 Depth=1
	v_ffbh_u32_e32 v3, v3
	v_min_u32_e32 v3, 32, v3
	v_subrev_nc_u32_e32 v85, 28, v3
	v_lshlrev_b64 v[86:87], v85, v[11:12]
	v_sub_nc_u32_e32 v85, 29, v3
	v_and_b32_e32 v3, 7, v86
; %bb.463:                              ;   in Loop: Header=BB296_10 Depth=1
	s_or_b32 exec_lo, exec_lo, s43
	v_lshlrev_b32_e32 v86, 8, v11
	v_lshl_add_u32 v85, v85, 10, 0x2000
	v_lshlrev_b32_e32 v3, 7, v3
	v_and_b32_e32 v86, 0x8000, v86
	v_and_b32_e32 v85, 0xfc00, v85
	v_or3_b32 v85, v86, v85, v3
.LBB296_464:                            ;   in Loop: Header=BB296_10 Depth=1
	s_or_b32 exec_lo, exec_lo, s42
.LBB296_465:                            ;   in Loop: Header=BB296_10 Depth=1
	s_or_b32 exec_lo, exec_lo, s41
.LBB296_466:                            ;   in Loop: Header=BB296_10 Depth=1
	s_or_b32 exec_lo, exec_lo, s4
	v_lshrrev_b16 v3, 8, v11
	s_mov_b32 s4, exec_lo
	v_cmpx_ne_u16_e32 0, v3
	s_cbranch_execz .LBB296_474
; %bb.467:                              ;   in Loop: Header=BB296_10 Depth=1
	v_bfrev_b32_e32 v84, 1
	s_mov_b32 s41, exec_lo
	v_cmpx_ne_u16_e32 0x80, v3
	s_cbranch_execz .LBB296_473
; %bb.468:                              ;   in Loop: Header=BB296_10 Depth=1
	v_and_b32_sdwa v87, v3, v23 dst_sel:DWORD dst_unused:UNUSED_PAD src0_sel:WORD_0 src1_sel:DWORD
	v_mov_b32_e32 v84, 0x7c010000
	s_mov_b32 s42, exec_lo
	v_cmpx_ne_u32_e32 0x7f, v87
	s_cbranch_execz .LBB296_472
; %bb.469:                              ;   in Loop: Header=BB296_10 Depth=1
	v_and_b32_sdwa v84, v3, v24 dst_sel:DWORD dst_unused:UNUSED_PAD src0_sel:WORD_0 src1_sel:DWORD
	v_lshrrev_b32_e32 v86, 3, v87
	s_mov_b32 s43, exec_lo
	v_cmpx_gt_u32_e32 8, v87
; %bb.470:                              ;   in Loop: Header=BB296_10 Depth=1
	v_ffbh_u32_e32 v84, v84
	v_min_u32_e32 v84, 32, v84
	v_subrev_nc_u32_e32 v86, 28, v84
	v_lshlrev_b64 v[87:88], v86, v[3:4]
	v_sub_nc_u32_e32 v86, 29, v84
	v_and_b32_e32 v84, 7, v87
; %bb.471:                              ;   in Loop: Header=BB296_10 Depth=1
	s_or_b32 exec_lo, exec_lo, s43
	v_lshlrev_b32_sdwa v3, v25, v3 dst_sel:DWORD dst_unused:UNUSED_PAD src0_sel:DWORD src1_sel:WORD_0
	v_lshl_add_u32 v86, v86, 10, 0x2000
	v_lshlrev_b32_e32 v84, 23, v84
	v_and_or_b32 v3, 0x8000, v3, v86
	v_lshl_or_b32 v84, v3, 16, v84
.LBB296_472:                            ;   in Loop: Header=BB296_10 Depth=1
	s_or_b32 exec_lo, exec_lo, s42
.LBB296_473:                            ;   in Loop: Header=BB296_10 Depth=1
	s_or_b32 exec_lo, exec_lo, s41
.LBB296_474:                            ;   in Loop: Header=BB296_10 Depth=1
	s_or_b32 exec_lo, exec_lo, s4
	v_lshrrev_b32_e32 v3, 16, v11
	v_mov_b32_e32 v86, 0
	v_mov_b32_e32 v87, 0
	v_cmp_ne_u16_sdwa s3, v3, v4 src0_sel:BYTE_0 src1_sel:DWORD
	s_and_saveexec_b32 s4, s3
	s_cbranch_execz .LBB296_482
; %bb.475:                              ;   in Loop: Header=BB296_10 Depth=1
	v_cmp_ne_u16_sdwa s3, v3, v22 src0_sel:BYTE_0 src1_sel:DWORD
	v_mov_b32_e32 v87, 0x8000
	s_and_saveexec_b32 s41, s3
	s_cbranch_execz .LBB296_481
; %bb.476:                              ;   in Loop: Header=BB296_10 Depth=1
	v_bfe_u32 v89, v11, 16, 7
	v_mov_b32_e32 v87, 0x7c01
	s_mov_b32 s42, exec_lo
	v_cmpx_ne_u32_e32 0x7f, v89
	s_cbranch_execz .LBB296_480
; %bb.477:                              ;   in Loop: Header=BB296_10 Depth=1
	v_and_b32_e32 v87, 7, v3
	v_lshrrev_b32_e32 v88, 3, v89
	s_mov_b32 s43, exec_lo
	v_cmpx_gt_u32_e32 8, v89
; %bb.478:                              ;   in Loop: Header=BB296_10 Depth=1
	v_ffbh_u32_e32 v87, v87
	v_min_u32_e32 v89, 32, v87
	v_subrev_nc_u32_e32 v87, 28, v89
	v_lshlrev_b64 v[87:88], v87, v[3:4]
	v_sub_nc_u32_e32 v88, 29, v89
	v_and_b32_e32 v87, 7, v87
; %bb.479:                              ;   in Loop: Header=BB296_10 Depth=1
	s_or_b32 exec_lo, exec_lo, s43
	v_lshlrev_b32_e32 v3, 8, v3
	v_lshl_add_u32 v88, v88, 10, 0x2000
	v_lshlrev_b32_e32 v87, 7, v87
	v_and_b32_e32 v3, 0x8000, v3
	v_and_b32_e32 v88, 0xfc00, v88
	v_or3_b32 v87, v3, v88, v87
.LBB296_480:                            ;   in Loop: Header=BB296_10 Depth=1
	s_or_b32 exec_lo, exec_lo, s42
.LBB296_481:                            ;   in Loop: Header=BB296_10 Depth=1
	s_or_b32 exec_lo, exec_lo, s41
.LBB296_482:                            ;   in Loop: Header=BB296_10 Depth=1
	s_or_b32 exec_lo, exec_lo, s4
	s_mov_b32 s4, exec_lo
	v_cmpx_lt_u32_e32 0xffffff, v11
	s_cbranch_execz .LBB296_490
; %bb.483:                              ;   in Loop: Header=BB296_10 Depth=1
	v_lshrrev_b32_e32 v3, 24, v11
	v_bfrev_b32_e32 v86, 1
	s_mov_b32 s41, exec_lo
	v_cmpx_ne_u32_e32 0x80, v3
	s_cbranch_execz .LBB296_489
; %bb.484:                              ;   in Loop: Header=BB296_10 Depth=1
	v_and_b32_e32 v88, 0x7f, v3
	v_mov_b32_e32 v86, 0x7c010000
	s_mov_b32 s42, exec_lo
	v_cmpx_ne_u32_e32 0x7f, v88
	s_cbranch_execz .LBB296_488
; %bb.485:                              ;   in Loop: Header=BB296_10 Depth=1
	v_and_b32_e32 v11, 7, v3
	v_lshrrev_b32_e32 v86, 3, v88
	s_mov_b32 s43, exec_lo
	v_cmpx_gt_u32_e32 8, v88
; %bb.486:                              ;   in Loop: Header=BB296_10 Depth=1
	v_ffbh_u32_e32 v11, v11
	v_min_u32_e32 v11, 32, v11
	v_subrev_nc_u32_e32 v86, 28, v11
	v_lshlrev_b64 v[88:89], v86, v[3:4]
	v_sub_nc_u32_e32 v86, 29, v11
	v_and_b32_e32 v11, 7, v88
; %bb.487:                              ;   in Loop: Header=BB296_10 Depth=1
	s_or_b32 exec_lo, exec_lo, s43
	v_lshlrev_b32_e32 v3, 8, v3
	v_lshl_add_u32 v86, v86, 10, 0x2000
	v_lshlrev_b32_e32 v11, 23, v11
	v_and_or_b32 v3, 0x8000, v3, v86
	v_lshl_or_b32 v86, v3, 16, v11
.LBB296_488:                            ;   in Loop: Header=BB296_10 Depth=1
	s_or_b32 exec_lo, exec_lo, s42
.LBB296_489:                            ;   in Loop: Header=BB296_10 Depth=1
	s_or_b32 exec_lo, exec_lo, s41
.LBB296_490:                            ;   in Loop: Header=BB296_10 Depth=1
	s_or_b32 exec_lo, exec_lo, s4
	global_load_dword v9, v[9:10], off offset:1800
	v_mov_b32_e32 v10, 0
	v_mov_b32_e32 v11, 0
	s_waitcnt vmcnt(0)
	v_cmp_ne_u16_sdwa s3, v9, v4 src0_sel:BYTE_0 src1_sel:DWORD
	s_and_saveexec_b32 s4, s3
	s_cbranch_execz .LBB296_498
; %bb.491:                              ;   in Loop: Header=BB296_10 Depth=1
	v_cmp_ne_u16_sdwa s3, v9, v22 src0_sel:BYTE_0 src1_sel:DWORD
	v_mov_b32_e32 v11, 0x8000
	s_and_saveexec_b32 s41, s3
	s_cbranch_execz .LBB296_497
; %bb.492:                              ;   in Loop: Header=BB296_10 Depth=1
	v_and_b32_e32 v88, 0x7f, v9
	v_mov_b32_e32 v11, 0x7c01
	s_mov_b32 s42, exec_lo
	v_cmpx_ne_u32_e32 0x7f, v88
	s_cbranch_execz .LBB296_496
; %bb.493:                              ;   in Loop: Header=BB296_10 Depth=1
	v_and_b32_e32 v3, 7, v9
	v_lshrrev_b32_e32 v11, 3, v88
	s_mov_b32 s43, exec_lo
	v_cmpx_gt_u32_e32 8, v88
; %bb.494:                              ;   in Loop: Header=BB296_10 Depth=1
	v_ffbh_u32_e32 v3, v3
	v_min_u32_e32 v3, 32, v3
	v_subrev_nc_u32_e32 v11, 28, v3
	v_lshlrev_b64 v[88:89], v11, v[9:10]
	v_sub_nc_u32_e32 v11, 29, v3
	v_and_b32_e32 v3, 7, v88
; %bb.495:                              ;   in Loop: Header=BB296_10 Depth=1
	s_or_b32 exec_lo, exec_lo, s43
	v_lshlrev_b32_e32 v88, 8, v9
	v_lshl_add_u32 v11, v11, 10, 0x2000
	v_lshlrev_b32_e32 v3, 7, v3
	v_and_b32_e32 v88, 0x8000, v88
	v_and_b32_e32 v11, 0xfc00, v11
	v_or3_b32 v11, v88, v11, v3
.LBB296_496:                            ;   in Loop: Header=BB296_10 Depth=1
	s_or_b32 exec_lo, exec_lo, s42
.LBB296_497:                            ;   in Loop: Header=BB296_10 Depth=1
	s_or_b32 exec_lo, exec_lo, s41
.LBB296_498:                            ;   in Loop: Header=BB296_10 Depth=1
	s_or_b32 exec_lo, exec_lo, s4
	v_lshrrev_b16 v3, 8, v9
	s_mov_b32 s4, exec_lo
	v_cmpx_ne_u16_e32 0, v3
	s_cbranch_execz .LBB296_506
; %bb.499:                              ;   in Loop: Header=BB296_10 Depth=1
	v_bfrev_b32_e32 v10, 1
	s_mov_b32 s41, exec_lo
	v_cmpx_ne_u16_e32 0x80, v3
	s_cbranch_execz .LBB296_505
; %bb.500:                              ;   in Loop: Header=BB296_10 Depth=1
	v_and_b32_sdwa v89, v3, v23 dst_sel:DWORD dst_unused:UNUSED_PAD src0_sel:WORD_0 src1_sel:DWORD
	v_mov_b32_e32 v10, 0x7c010000
	s_mov_b32 s42, exec_lo
	v_cmpx_ne_u32_e32 0x7f, v89
	s_cbranch_execz .LBB296_504
; %bb.501:                              ;   in Loop: Header=BB296_10 Depth=1
	v_and_b32_sdwa v10, v3, v24 dst_sel:DWORD dst_unused:UNUSED_PAD src0_sel:WORD_0 src1_sel:DWORD
	v_lshrrev_b32_e32 v88, 3, v89
	s_mov_b32 s43, exec_lo
	v_cmpx_gt_u32_e32 8, v89
; %bb.502:                              ;   in Loop: Header=BB296_10 Depth=1
	v_ffbh_u32_e32 v10, v10
	v_min_u32_e32 v10, 32, v10
	v_subrev_nc_u32_e32 v88, 28, v10
	v_lshlrev_b64 v[89:90], v88, v[3:4]
	v_sub_nc_u32_e32 v88, 29, v10
	v_and_b32_e32 v10, 7, v89
; %bb.503:                              ;   in Loop: Header=BB296_10 Depth=1
	s_or_b32 exec_lo, exec_lo, s43
	v_lshlrev_b32_sdwa v3, v25, v3 dst_sel:DWORD dst_unused:UNUSED_PAD src0_sel:DWORD src1_sel:WORD_0
	v_lshl_add_u32 v88, v88, 10, 0x2000
	v_lshlrev_b32_e32 v10, 23, v10
	v_and_or_b32 v3, 0x8000, v3, v88
	v_lshl_or_b32 v10, v3, 16, v10
.LBB296_504:                            ;   in Loop: Header=BB296_10 Depth=1
	s_or_b32 exec_lo, exec_lo, s42
.LBB296_505:                            ;   in Loop: Header=BB296_10 Depth=1
	s_or_b32 exec_lo, exec_lo, s41
.LBB296_506:                            ;   in Loop: Header=BB296_10 Depth=1
	s_or_b32 exec_lo, exec_lo, s4
	v_lshrrev_b32_e32 v3, 16, v9
	v_mov_b32_e32 v88, 0
	v_mov_b32_e32 v89, 0
	v_cmp_ne_u16_sdwa s3, v3, v4 src0_sel:BYTE_0 src1_sel:DWORD
	s_and_saveexec_b32 s4, s3
	s_cbranch_execz .LBB296_514
; %bb.507:                              ;   in Loop: Header=BB296_10 Depth=1
	v_cmp_ne_u16_sdwa s3, v3, v22 src0_sel:BYTE_0 src1_sel:DWORD
	v_mov_b32_e32 v89, 0x8000
	s_and_saveexec_b32 s41, s3
	s_cbranch_execz .LBB296_513
; %bb.508:                              ;   in Loop: Header=BB296_10 Depth=1
	v_bfe_u32 v91, v9, 16, 7
	v_mov_b32_e32 v89, 0x7c01
	s_mov_b32 s42, exec_lo
	v_cmpx_ne_u32_e32 0x7f, v91
	s_cbranch_execz .LBB296_512
; %bb.509:                              ;   in Loop: Header=BB296_10 Depth=1
	v_and_b32_e32 v89, 7, v3
	v_lshrrev_b32_e32 v90, 3, v91
	s_mov_b32 s43, exec_lo
	v_cmpx_gt_u32_e32 8, v91
; %bb.510:                              ;   in Loop: Header=BB296_10 Depth=1
	v_ffbh_u32_e32 v89, v89
	v_min_u32_e32 v91, 32, v89
	v_subrev_nc_u32_e32 v89, 28, v91
	v_lshlrev_b64 v[89:90], v89, v[3:4]
	v_sub_nc_u32_e32 v90, 29, v91
	v_and_b32_e32 v89, 7, v89
; %bb.511:                              ;   in Loop: Header=BB296_10 Depth=1
	s_or_b32 exec_lo, exec_lo, s43
	v_lshlrev_b32_e32 v3, 8, v3
	v_lshl_add_u32 v90, v90, 10, 0x2000
	v_lshlrev_b32_e32 v89, 7, v89
	v_and_b32_e32 v3, 0x8000, v3
	v_and_b32_e32 v90, 0xfc00, v90
	v_or3_b32 v89, v3, v90, v89
.LBB296_512:                            ;   in Loop: Header=BB296_10 Depth=1
	s_or_b32 exec_lo, exec_lo, s42
.LBB296_513:                            ;   in Loop: Header=BB296_10 Depth=1
	s_or_b32 exec_lo, exec_lo, s41
.LBB296_514:                            ;   in Loop: Header=BB296_10 Depth=1
	s_or_b32 exec_lo, exec_lo, s4
	s_mov_b32 s4, exec_lo
	v_cmpx_lt_u32_e32 0xffffff, v9
	s_cbranch_execz .LBB296_522
; %bb.515:                              ;   in Loop: Header=BB296_10 Depth=1
	v_lshrrev_b32_e32 v3, 24, v9
	v_bfrev_b32_e32 v88, 1
	s_mov_b32 s41, exec_lo
	v_cmpx_ne_u32_e32 0x80, v3
	s_cbranch_execz .LBB296_521
; %bb.516:                              ;   in Loop: Header=BB296_10 Depth=1
	v_and_b32_e32 v90, 0x7f, v3
	v_mov_b32_e32 v88, 0x7c010000
	s_mov_b32 s42, exec_lo
	v_cmpx_ne_u32_e32 0x7f, v90
	s_cbranch_execz .LBB296_520
; %bb.517:                              ;   in Loop: Header=BB296_10 Depth=1
	v_and_b32_e32 v9, 7, v3
	v_lshrrev_b32_e32 v88, 3, v90
	s_mov_b32 s43, exec_lo
	v_cmpx_gt_u32_e32 8, v90
; %bb.518:                              ;   in Loop: Header=BB296_10 Depth=1
	v_ffbh_u32_e32 v9, v9
	v_min_u32_e32 v9, 32, v9
	v_subrev_nc_u32_e32 v88, 28, v9
	v_lshlrev_b64 v[90:91], v88, v[3:4]
	v_sub_nc_u32_e32 v88, 29, v9
	v_and_b32_e32 v9, 7, v90
; %bb.519:                              ;   in Loop: Header=BB296_10 Depth=1
	s_or_b32 exec_lo, exec_lo, s43
	v_lshlrev_b32_e32 v3, 8, v3
	v_lshl_add_u32 v88, v88, 10, 0x2000
	v_lshlrev_b32_e32 v9, 23, v9
	v_and_or_b32 v3, 0x8000, v3, v88
	v_lshl_or_b32 v88, v3, 16, v9
.LBB296_520:                            ;   in Loop: Header=BB296_10 Depth=1
	s_or_b32 exec_lo, exec_lo, s42
.LBB296_521:                            ;   in Loop: Header=BB296_10 Depth=1
	s_or_b32 exec_lo, exec_lo, s41
.LBB296_522:                            ;   in Loop: Header=BB296_10 Depth=1
	s_or_b32 exec_lo, exec_lo, s4
	ds_read_b64 v[90:91], v19
	v_or_b32_e32 v3, v29, v28
	v_or_b32_e32 v9, v30, v31
	v_fma_mixlo_f16 v28, v27, v29, 0 op_sel:[0,1,0] op_sel_hi:[0,1,0]
	v_fma_mixlo_f16 v29, v27, v30, 0 op_sel:[0,1,0] op_sel_hi:[0,1,0]
	v_or_b32_e32 v49, v48, v49
	v_fma_mixlo_f16 v3, v27, v3, 0 op_sel_hi:[0,1,0]
	v_fma_mixlo_f16 v9, v27, v9, 0 op_sel_hi:[0,1,0]
	v_and_b32_e32 v28, 0xffff, v28
	v_and_b32_e32 v29, 0xffff, v29
	v_or_b32_e32 v51, v50, v51
	v_and_b32_e32 v3, 0xffff, v3
	v_and_b32_e32 v9, 0xffff, v9
	v_fma_mixlo_f16 v48, v27, v48, 0 op_sel:[0,1,0] op_sel_hi:[0,1,0]
	v_fma_mixlo_f16 v50, v27, v50, 0 op_sel:[0,1,0] op_sel_hi:[0,1,0]
	v_fma_mixlo_f16 v49, v27, v49, 0 op_sel_hi:[0,1,0]
	v_fma_mixlo_f16 v51, v27, v51, 0 op_sel_hi:[0,1,0]
	v_or_b32_e32 v65, v64, v65
	v_or_b32_e32 v67, v66, v67
	v_and_b32_e32 v92, 0xffff, v50
	s_waitcnt lgkmcnt(0)
	v_and_b32_e32 v30, 0xffff, v90
	v_lshrrev_b32_e32 v31, 16, v90
	v_lshrrev_b32_e32 v90, 16, v91
	v_and_b32_e32 v91, 0xffff, v91
	;;#ASMSTART
	v_cvt_f32_f16 v114, v30;
	;;#ASMEND
	;;#ASMSTART
	v_cvt_f32_f16 v112, v31;
	;;#ASMEND
	;; [unrolled: 3-line block ×8, first 2 shown]
	ds_read_b64 v[28:29], v19 offset:8
	v_or_b32_e32 v3, v32, v33
	v_or_b32_e32 v9, v34, v35
	v_fma_mixlo_f16 v30, v27, v32, 0 op_sel:[0,1,0] op_sel_hi:[0,1,0]
	v_fma_mixlo_f16 v31, v27, v34, 0 op_sel:[0,1,0] op_sel_hi:[0,1,0]
	v_and_b32_e32 v49, 0xffff, v49
	v_fma_mixlo_f16 v3, v27, v3, 0 op_sel_hi:[0,1,0]
	v_fma_mixlo_f16 v9, v27, v9, 0 op_sel_hi:[0,1,0]
	v_and_b32_e32 v30, 0xffff, v30
	v_and_b32_e32 v31, 0xffff, v31
	;; [unrolled: 1-line block ×5, first 2 shown]
	v_fma_mixlo_f16 v64, v27, v64, 0 op_sel:[0,1,0] op_sel_hi:[0,1,0]
	v_fma_mixlo_f16 v66, v27, v66, 0 op_sel:[0,1,0] op_sel_hi:[0,1,0]
	v_fma_mixlo_f16 v65, v27, v65, 0 op_sel_hi:[0,1,0]
	v_fma_mixlo_f16 v67, v27, v67, 0 op_sel_hi:[0,1,0]
	v_or_b32_e32 v69, v68, v69
	v_and_b32_e32 v64, 0xffff, v64
	v_or_b32_e32 v71, v70, v71
	s_waitcnt lgkmcnt(0)
	v_and_b32_e32 v32, 0xffff, v28
	v_lshrrev_b32_e32 v28, 16, v28
	v_lshrrev_b32_e32 v33, 16, v29
	v_and_b32_e32 v29, 0xffff, v29
	;;#ASMSTART
	v_cvt_f32_f16 v118, v32;
	;;#ASMEND
	;;#ASMSTART
	v_cvt_f32_f16 v119, v28;
	;;#ASMEND
	;; [unrolled: 3-line block ×8, first 2 shown]
	ds_read_b64 v[28:29], v19 offset:16
	v_or_b32_e32 v3, v36, v37
	v_or_b32_e32 v9, v38, v39
	v_fma_mixlo_f16 v30, v27, v36, 0 op_sel:[0,1,0] op_sel_hi:[0,1,0]
	v_fma_mixlo_f16 v31, v27, v38, 0 op_sel:[0,1,0] op_sel_hi:[0,1,0]
	v_and_b32_e32 v65, 0xffff, v65
	v_fma_mixlo_f16 v3, v27, v3, 0 op_sel_hi:[0,1,0]
	v_fma_mixlo_f16 v9, v27, v9, 0 op_sel_hi:[0,1,0]
	v_and_b32_e32 v30, 0xffff, v30
	v_and_b32_e32 v31, 0xffff, v31
	v_fma_mixlo_f16 v68, v27, v68, 0 op_sel:[0,1,0] op_sel_hi:[0,1,0]
	v_and_b32_e32 v3, 0xffff, v3
	v_and_b32_e32 v9, 0xffff, v9
	v_fma_mixlo_f16 v69, v27, v69, 0 op_sel_hi:[0,1,0]
	v_fma_mixlo_f16 v71, v27, v71, 0 op_sel_hi:[0,1,0]
	v_fma_mixlo_f16 v70, v27, v70, 0 op_sel:[0,1,0] op_sel_hi:[0,1,0]
	v_or_b32_e32 v73, v72, v73
	v_or_b32_e32 v75, v74, v75
	v_and_b32_e32 v69, 0xffff, v69
	v_and_b32_e32 v71, 0xffff, v71
	s_waitcnt lgkmcnt(0)
	v_and_b32_e32 v32, 0xffff, v28
	v_lshrrev_b32_e32 v28, 16, v28
	v_lshrrev_b32_e32 v33, 16, v29
	v_and_b32_e32 v29, 0xffff, v29
	;;#ASMSTART
	v_cvt_f32_f16 v101, v32;
	;;#ASMEND
	;;#ASMSTART
	v_cvt_f32_f16 v100, v28;
	;;#ASMEND
	;; [unrolled: 3-line block ×8, first 2 shown]
	ds_read_b64 v[28:29], v19 offset:24
	v_or_b32_e32 v3, v40, v41
	v_or_b32_e32 v9, v42, v43
	v_fma_mixlo_f16 v30, v27, v40, 0 op_sel:[0,1,0] op_sel_hi:[0,1,0]
	v_fma_mixlo_f16 v31, v27, v42, 0 op_sel:[0,1,0] op_sel_hi:[0,1,0]
	v_or_b32_e32 v40, v44, v45
	v_fma_mixlo_f16 v3, v27, v3, 0 op_sel_hi:[0,1,0]
	v_fma_mixlo_f16 v9, v27, v9, 0 op_sel_hi:[0,1,0]
	v_and_b32_e32 v30, 0xffff, v30
	v_and_b32_e32 v33, 0xffff, v31
	v_or_b32_e32 v41, v46, v47
	v_and_b32_e32 v31, 0xffff, v3
	v_and_b32_e32 v32, 0xffff, v9
	v_fma_mixlo_f16 v42, v27, v44, 0 op_sel:[0,1,0] op_sel_hi:[0,1,0]
	v_fma_mixlo_f16 v43, v27, v46, 0 op_sel:[0,1,0] op_sel_hi:[0,1,0]
	v_fma_mixlo_f16 v40, v27, v40, 0 op_sel_hi:[0,1,0]
	v_fma_mixlo_f16 v41, v27, v41, 0 op_sel_hi:[0,1,0]
	v_fma_mixlo_f16 v72, v27, v72, 0 op_sel:[0,1,0] op_sel_hi:[0,1,0]
	v_and_b32_e32 v42, 0xffff, v42
	v_and_b32_e32 v45, 0xffff, v43
	s_waitcnt lgkmcnt(0)
	v_and_b32_e32 v3, 0xffff, v28
	v_lshrrev_b32_e32 v28, 16, v28
	v_lshrrev_b32_e32 v38, 16, v29
	v_and_b32_e32 v39, 0xffff, v29
	;;#ASMSTART
	v_cvt_f32_f16 v3, v3;
	;;#ASMEND
	;;#ASMSTART
	v_cvt_f32_f16 v9, v28;
	;;#ASMEND
	;; [unrolled: 3-line block ×8, first 2 shown]
	ds_read_b64 v[38:39], v19 offset:32
	v_and_b32_e32 v40, 0xffff, v40
	v_and_b32_e32 v46, 0xffff, v41
	v_fma_mixlo_f16 v74, v27, v74, 0 op_sel:[0,1,0] op_sel_hi:[0,1,0]
	v_fma_mixlo_f16 v73, v27, v73, 0 op_sel_hi:[0,1,0]
	v_fma_mixlo_f16 v75, v27, v75, 0 op_sel_hi:[0,1,0]
	v_or_b32_e32 v77, v76, v77
	v_or_b32_e32 v79, v78, v79
	v_fma_mixlo_f16 v76, v27, v76, 0 op_sel:[0,1,0] op_sel_hi:[0,1,0]
	v_fma_mixlo_f16 v78, v27, v78, 0 op_sel:[0,1,0] op_sel_hi:[0,1,0]
	v_or_b32_e32 v83, v82, v83
	v_fma_mixlo_f16 v77, v27, v77, 0 op_sel_hi:[0,1,0]
	v_fma_mixlo_f16 v79, v27, v79, 0 op_sel_hi:[0,1,0]
	v_or_b32_e32 v81, v80, v81
	v_fma_mixlo_f16 v80, v27, v80, 0 op_sel:[0,1,0] op_sel_hi:[0,1,0]
	v_fma_mixlo_f16 v83, v27, v83, 0 op_sel_hi:[0,1,0]
	v_and_b32_e32 v77, 0xffff, v77
	v_fma_mixlo_f16 v82, v27, v82, 0 op_sel:[0,1,0] op_sel_hi:[0,1,0]
	v_fma_mixlo_f16 v81, v27, v81, 0 op_sel_hi:[0,1,0]
	v_and_b32_e32 v80, 0xffff, v80
	s_waitcnt lgkmcnt(0)
	v_and_b32_e32 v43, 0xffff, v38
	v_lshrrev_b32_e32 v44, 16, v38
	v_lshrrev_b32_e32 v47, 16, v39
	v_and_b32_e32 v90, 0xffff, v39
	;;#ASMSTART
	v_cvt_f32_f16 v38, v43;
	;;#ASMEND
	;;#ASMSTART
	v_cvt_f32_f16 v39, v44;
	;;#ASMEND
	;; [unrolled: 3-line block ×8, first 2 shown]
	ds_read_b64 v[46:47], v19 offset:40
	v_and_b32_e32 v90, 0xffff, v48
	v_and_b32_e32 v82, 0xffff, v82
	v_or_b32_e32 v87, v86, v87
	v_fma_mixlo_f16 v86, v27, v86, 0 op_sel:[0,1,0] op_sel_hi:[0,1,0]
	v_fma_mixlo_f16 v87, v27, v87, 0 op_sel_hi:[0,1,0]
	s_waitcnt lgkmcnt(0)
	v_and_b32_e32 v48, 0xffff, v46
	v_lshrrev_b32_e32 v93, 16, v47
	v_and_b32_e32 v51, 0xffff, v47
	v_lshrrev_b32_e32 v46, 16, v46
	;;#ASMSTART
	v_cvt_f32_f16 v47, v48;
	;;#ASMEND
	;;#ASMSTART
	v_cvt_f32_f16 v48, v46;
	;;#ASMEND
	;; [unrolled: 3-line block ×8, first 2 shown]
	ds_read_b64 v[93:94], v19 offset:48
	v_or_b32_e32 v46, v52, v53
	v_or_b32_e32 v53, v54, v55
	v_fma_mixlo_f16 v52, v27, v52, 0 op_sel:[0,1,0] op_sel_hi:[0,1,0]
	v_fma_mixlo_f16 v54, v27, v54, 0 op_sel:[0,1,0] op_sel_hi:[0,1,0]
	v_fma_mixlo_f16 v46, v27, v46, 0 op_sel_hi:[0,1,0]
	v_fma_mixlo_f16 v53, v27, v53, 0 op_sel_hi:[0,1,0]
	v_and_b32_e32 v52, 0xffff, v52
	v_and_b32_e32 v54, 0xffff, v54
	v_and_b32_e32 v46, 0xffff, v46
	v_and_b32_e32 v53, 0xffff, v53
	s_waitcnt lgkmcnt(0)
	v_and_b32_e32 v55, 0xffff, v93
	v_lshrrev_b32_e32 v93, 16, v93
	v_lshrrev_b32_e32 v95, 16, v94
	v_and_b32_e32 v94, 0xffff, v94
	;;#ASMSTART
	v_cvt_f32_f16 v98, v55;
	;;#ASMEND
	;;#ASMSTART
	v_cvt_f32_f16 v55, v93;
	;;#ASMEND
	;; [unrolled: 3-line block ×8, first 2 shown]
	ds_read_b64 v[52:53], v19 offset:56
	v_or_b32_e32 v46, v56, v57
	v_or_b32_e32 v54, v58, v59
	v_fma_mixlo_f16 v56, v27, v56, 0 op_sel:[0,1,0] op_sel_hi:[0,1,0]
	v_fma_mixlo_f16 v57, v27, v58, 0 op_sel:[0,1,0] op_sel_hi:[0,1,0]
	v_fma_mixlo_f16 v46, v27, v46, 0 op_sel_hi:[0,1,0]
	v_fma_mixlo_f16 v54, v27, v54, 0 op_sel_hi:[0,1,0]
	v_and_b32_e32 v58, 0xffff, v56
	v_and_b32_e32 v107, 0xffff, v57
	;; [unrolled: 1-line block ×4, first 2 shown]
	s_waitcnt lgkmcnt(0)
	v_and_b32_e32 v56, 0xffff, v52
	v_lshrrev_b32_e32 v104, 16, v53
	v_lshrrev_b32_e32 v52, 16, v52
	v_and_b32_e32 v53, 0xffff, v53
	;;#ASMSTART
	v_cvt_f32_f16 v57, v56;
	;;#ASMEND
	;;#ASMSTART
	v_cvt_f32_f16 v56, v52;
	;;#ASMEND
	;;#ASMSTART
	v_cvt_f32_f16 v105, v46;
	;;#ASMEND
	;;#ASMSTART
	v_cvt_f32_f16 v58, v58;
	;;#ASMEND
	;;#ASMSTART
	v_cvt_f32_f16 v59, v53;
	;;#ASMEND
	;;#ASMSTART
	v_cvt_f32_f16 v104, v104;
	;;#ASMEND
	;;#ASMSTART
	v_cvt_f32_f16 v106, v54;
	;;#ASMEND
	;;#ASMSTART
	v_cvt_f32_f16 v107, v107;
	;;#ASMEND
	ds_read_b64 v[124:125], v19 offset:64
	v_or_b32_e32 v46, v60, v61
	v_or_b32_e32 v52, v62, v63
	v_fma_mixlo_f16 v53, v27, v60, 0 op_sel:[0,1,0] op_sel_hi:[0,1,0]
	v_fma_mixlo_f16 v54, v27, v62, 0 op_sel:[0,1,0] op_sel_hi:[0,1,0]
	v_fma_mixlo_f16 v46, v27, v46, 0 op_sel_hi:[0,1,0]
	v_fma_mixlo_f16 v52, v27, v52, 0 op_sel_hi:[0,1,0]
	v_and_b32_e32 v62, 0xffff, v53
	v_and_b32_e32 v126, 0xffff, v54
	v_mul_f32_e32 v53, v118, v120
	v_and_b32_e32 v63, 0xffff, v46
	v_and_b32_e32 v127, 0xffff, v52
	v_mul_f32_e32 v54, v119, v121
	v_mul_f32_e32 v52, v116, v117
	v_mul_f32_e32 v46, v122, v123
	v_and_b32_e32 v122, 0xffff, v66
	v_fmac_f32_e32 v53, v114, v115
	v_fmac_f32_e32 v54, v112, v113
	v_and_b32_e32 v123, 0xffff, v67
	s_waitcnt lgkmcnt(0)
	v_and_b32_e32 v60, 0xffff, v124
	v_lshrrev_b32_e32 v118, 16, v124
	v_lshrrev_b32_e32 v116, 16, v125
	v_and_b32_e32 v119, 0xffff, v125
	;;#ASMSTART
	v_cvt_f32_f16 v61, v60;
	;;#ASMEND
	;;#ASMSTART
	v_cvt_f32_f16 v60, v118;
	;;#ASMEND
	;; [unrolled: 3-line block ×8, first 2 shown]
	ds_read_b64 v[120:121], v19 offset:72
	v_fmac_f32_e32 v52, v108, v110
	v_fmac_f32_e32 v46, v109, v111
	;; [unrolled: 1-line block ×4, first 2 shown]
	v_and_b32_e32 v124, 0xffff, v75
	v_and_b32_e32 v103, 0xffff, v76
	v_fmac_f32_e32 v46, v35, v37
	v_fmac_f32_e32 v52, v34, v36
	;; [unrolled: 1-line block ×4, first 2 shown]
	v_and_b32_e32 v28, 0xffff, v83
	v_fmac_f32_e32 v46, v30, v32
	v_fmac_f32_e32 v52, v31, v33
	;; [unrolled: 1-line block ×4, first 2 shown]
	v_and_b32_e32 v9, 0xffff, v81
	v_fmac_f32_e32 v46, v42, v44
	v_fmac_f32_e32 v52, v43, v45
	;; [unrolled: 1-line block ×3, first 2 shown]
	s_waitcnt lgkmcnt(0)
	v_and_b32_e32 v66, 0xffff, v120
	v_lshrrev_b32_e32 v114, 16, v120
	v_lshrrev_b32_e32 v120, 16, v121
	v_and_b32_e32 v113, 0xffff, v121
	;;#ASMSTART
	v_cvt_f32_f16 v67, v66;
	;;#ASMEND
	;;#ASMSTART
	v_cvt_f32_f16 v66, v114;
	;;#ASMEND
	;; [unrolled: 3-line block ×8, first 2 shown]
	ds_read_b64 v[64:65], v19 offset:80
	v_and_b32_e32 v122, 0xffff, v68
	v_and_b32_e32 v123, 0xffff, v70
	v_fmac_f32_e32 v54, v48, v50
	v_fmac_f32_e32 v46, v51, v91
	v_fmac_f32_e32 v53, v98, v99
	v_fmac_f32_e32 v52, v90, v92
	v_and_b32_e32 v44, 0xffff, v87
	v_fmac_f32_e32 v54, v55, v93
	v_fmac_f32_e32 v46, v94, v96
	v_fmac_f32_e32 v53, v57, v105
	v_fmac_f32_e32 v52, v95, v97
	;; [unrolled: 5-line block ×3, first 2 shown]
	v_or_b32_e32 v47, v88, v89
	v_fmac_f32_e32 v54, v60, v62
	v_fmac_f32_e32 v46, v63, v118
	s_waitcnt lgkmcnt(0)
	v_and_b32_e32 v68, 0xffff, v64
	v_lshrrev_b32_e32 v64, 16, v64
	v_lshrrev_b32_e32 v110, 16, v65
	v_and_b32_e32 v65, 0xffff, v65
	;;#ASMSTART
	v_cvt_f32_f16 v108, v68;
	;;#ASMEND
	;;#ASMSTART
	v_cvt_f32_f16 v68, v64;
	;;#ASMEND
	;; [unrolled: 3-line block ×8, first 2 shown]
	ds_read_b64 v[110:111], v19 offset:88
	v_or_b32_e32 v122, v84, v85
	v_and_b32_e32 v85, 0xffff, v72
	v_and_b32_e32 v123, 0xffff, v74
	;; [unrolled: 1-line block ×3, first 2 shown]
	v_fmac_f32_e32 v53, v67, v115
	v_fma_mixlo_f16 v76, v27, v122, 0 op_sel_hi:[0,1,0]
	v_and_b32_e32 v122, 0xffff, v79
	v_fmac_f32_e32 v54, v66, v112
	v_fma_mixlo_f16 v84, v27, v84, 0 op_sel:[0,1,0] op_sel_hi:[0,1,0]
	v_fmac_f32_e32 v52, v116, v119
	v_fmac_f32_e32 v46, v113, v120
	;; [unrolled: 1-line block ×4, first 2 shown]
	v_and_b32_e32 v41, 0xffff, v76
	v_fmac_f32_e32 v52, v114, v121
	v_fmac_f32_e32 v46, v70, v71
	s_waitcnt lgkmcnt(0)
	v_and_b32_e32 v72, 0xffff, v110
	v_lshrrev_b32_e32 v73, 16, v110
	v_lshrrev_b32_e32 v101, 16, v111
	v_and_b32_e32 v100, 0xffff, v111
	;;#ASMSTART
	v_cvt_f32_f16 v72, v72;
	;;#ASMEND
	;;#ASMSTART
	v_cvt_f32_f16 v73, v73;
	;;#ASMEND
	;; [unrolled: 3-line block ×8, first 2 shown]
	ds_read_b64 v[110:111], v19 offset:96
	v_and_b32_e32 v123, 0xffff, v78
	v_fmac_f32_e32 v53, v72, v75
	v_fmac_f32_e32 v54, v73, v85
	v_fmac_f32_e32 v52, v64, v65
	v_fmac_f32_e32 v46, v100, v102
	v_fmac_f32_e32 v52, v74, v101
	s_waitcnt lgkmcnt(0)
	v_and_b32_e32 v35, 0xffff, v110
	v_lshrrev_b32_e32 v37, 16, v110
	v_lshrrev_b32_e32 v34, 16, v111
	v_and_b32_e32 v79, 0xffff, v111
	;;#ASMSTART
	v_cvt_f32_f16 v36, v35;
	;;#ASMEND
	;;#ASMSTART
	v_cvt_f32_f16 v37, v37;
	;;#ASMEND
	;;#ASMSTART
	v_cvt_f32_f16 v77, v77;
	;;#ASMEND
	;;#ASMSTART
	v_cvt_f32_f16 v78, v103;
	;;#ASMEND
	;;#ASMSTART
	v_cvt_f32_f16 v79, v79;
	;;#ASMEND
	;;#ASMSTART
	v_cvt_f32_f16 v103, v34;
	;;#ASMEND
	;;#ASMSTART
	v_cvt_f32_f16 v110, v122;
	;;#ASMEND
	;;#ASMSTART
	v_cvt_f32_f16 v111, v123;
	;;#ASMEND
	ds_read_b64 v[34:35], v19 offset:104
	v_fmac_f32_e32 v53, v36, v77
	v_fmac_f32_e32 v54, v37, v78
	;; [unrolled: 1-line block ×4, first 2 shown]
	v_fma_mixlo_f16 v36, v27, v47, 0 op_sel_hi:[0,1,0]
	s_waitcnt lgkmcnt(0)
	v_and_b32_e32 v3, 0xffff, v34
	v_lshrrev_b32_e32 v29, 16, v34
	v_lshrrev_b32_e32 v34, 16, v35
	v_and_b32_e32 v33, 0xffff, v35
	;;#ASMSTART
	v_cvt_f32_f16 v3, v3;
	;;#ASMEND
	;;#ASMSTART
	v_cvt_f32_f16 v30, v29;
	;;#ASMEND
	;;#ASMSTART
	v_cvt_f32_f16 v31, v9;
	;;#ASMEND
	;;#ASMSTART
	v_cvt_f32_f16 v32, v80;
	;;#ASMEND
	;;#ASMSTART
	v_cvt_f32_f16 v33, v33;
	;;#ASMEND
	;;#ASMSTART
	v_cvt_f32_f16 v34, v34;
	;;#ASMEND
	;;#ASMSTART
	v_cvt_f32_f16 v35, v28;
	;;#ASMEND
	;;#ASMSTART
	v_cvt_f32_f16 v38, v82;
	;;#ASMEND
	ds_read_b64 v[28:29], v19 offset:112
	v_or_b32_e32 v9, v10, v11
	v_fma_mixlo_f16 v11, v27, v10, 0 op_sel:[0,1,0] op_sel_hi:[0,1,0]
	v_fmac_f32_e32 v53, v3, v31
	v_fmac_f32_e32 v54, v30, v32
	;; [unrolled: 1-line block ×3, first 2 shown]
	v_fma_mixlo_f16 v39, v27, v9, 0 op_sel_hi:[0,1,0]
	v_fma_mixlo_f16 v3, v27, v88, 0 op_sel:[0,1,0] op_sel_hi:[0,1,0]
	v_and_b32_e32 v30, 0xffff, v11
	v_fmac_f32_e32 v52, v34, v38
	s_waitcnt lgkmcnt(0)
	v_and_b32_e32 v9, 0xffff, v28
	v_lshrrev_b32_e32 v10, 16, v28
	;;#ASMSTART
	v_cvt_f32_f16 v28, v9;
	;;#ASMEND
	;;#ASMSTART
	v_cvt_f32_f16 v40, v10;
	;;#ASMEND
	v_and_b32_e32 v9, 0xffff, v84
	v_and_b32_e32 v10, 0xffff, v29
	v_lshrrev_b32_e32 v43, 16, v29
	;;#ASMSTART
	v_cvt_f32_f16 v41, v41;
	;;#ASMEND
	;;#ASMSTART
	v_cvt_f32_f16 v29, v9;
	;;#ASMEND
	;;#ASMSTART
	v_cvt_f32_f16 v42, v10;
	;;#ASMEND
	;;#ASMSTART
	v_cvt_f32_f16 v43, v43;
	;;#ASMEND
	;;#ASMSTART
	v_cvt_f32_f16 v44, v44;
	;;#ASMEND
	;;#ASMSTART
	v_cvt_f32_f16 v45, v45;
	;;#ASMEND
	ds_read_b64 v[9:10], v19 offset:120
	v_fmac_f32_e32 v53, v28, v41
	v_fmac_f32_e32 v54, v40, v29
	v_fmac_f32_e32 v46, v42, v44
	v_and_b32_e32 v29, 0xffff, v39
	v_fmac_f32_e32 v52, v43, v45
	s_waitcnt lgkmcnt(0)
	v_and_b32_e32 v27, 0xffff, v9
	v_lshrrev_b32_e32 v28, 16, v9
	;;#ASMSTART
	v_cvt_f32_f16 v9, v27;
	;;#ASMEND
	;;#ASMSTART
	v_cvt_f32_f16 v11, v28;
	;;#ASMEND
	;; [unrolled: 3-line block ×4, first 2 shown]
	v_fmac_f32_e32 v53, v9, v27
	v_fmac_f32_e32 v54, v11, v28
	v_xor_b32_e32 v11, 1, v16
	v_and_b32_e32 v29, 0xffff, v10
	v_lshrrev_b32_e32 v10, 16, v10
	v_and_b32_e32 v30, 0xffff, v36
	;;#ASMSTART
	v_cvt_f32_f16 v9, v29;
	;;#ASMEND
	;;#ASMSTART
	v_cvt_f32_f16 v10, v10;
	;;#ASMEND
	;; [unrolled: 3-line block ×3, first 2 shown]
	v_and_b32_e32 v28, 0xffff, v3
	v_fmac_f32_e32 v46, v9, v27
	v_add_f32_e32 v3, v53, v54
	v_cmp_gt_i32_e64 s3, 32, v11
	;;#ASMSTART
	v_cvt_f32_f16 v9, v28;
	;;#ASMEND
	v_fmac_f32_e32 v52, v10, v9
	v_add_f32_e32 v3, v3, v46
	v_cndmask_b32_e64 v9, v16, v11, s3
	v_add_f32_e32 v3, v52, v3
	v_lshlrev_b32_e32 v9, 2, v9
	ds_bpermute_b32 v9, v9, v3
	s_and_saveexec_b32 s4, vcc_lo
	s_cbranch_execz .LBB296_9
; %bb.523:                              ;   in Loop: Header=BB296_10 Depth=1
	v_add_nc_u32_e32 v10, s5, v20
	s_waitcnt lgkmcnt(0)
	v_add_f32_e32 v3, v3, v9
	v_cmp_gt_i32_e64 s3, s27, v20
	v_cvt_f32_i32_e32 v10, v10
	v_mul_f32_e32 v10, s36, v10
	v_cndmask_b32_e64 v9, 0, v10, s2
	v_max_f32_e32 v10, v18, v18
	v_fmac_f32_e32 v9, s37, v3
	v_max_f32_e32 v3, v10, v9
	v_cndmask_b32_e64 v9, 0, v9, s3
	v_cndmask_b32_e64 v18, v18, v3, s3
	ds_write_b32 v21, v9
	s_branch .LBB296_9
.LBB296_524:
	s_or_b32 exec_lo, exec_lo, s39
.LBB296_525:
	s_or_b32 exec_lo, exec_lo, s38
	v_xor_b32_e32 v3, 16, v16
	v_xor_b32_e32 v5, 8, v16
	v_max_f32_e32 v8, v18, v18
	s_waitcnt lgkmcnt(0)
	v_xor_b32_e32 v9, 2, v16
	v_cmp_lt_i32_e32 vcc_lo, v3, v17
	v_cndmask_b32_e32 v3, v16, v3, vcc_lo
	v_cmp_lt_i32_e32 vcc_lo, v5, v17
	v_lshlrev_b32_e32 v6, 2, v3
	v_cndmask_b32_e32 v5, v16, v5, vcc_lo
	ds_bpermute_b32 v3, v6, v18
	v_lshlrev_b32_e32 v7, 2, v5
	v_and_b32_e32 v18, 31, v0
	s_waitcnt lgkmcnt(0)
	v_max_f32_e32 v3, v3, v3
	v_max_f32_e32 v3, v8, v3
	v_xor_b32_e32 v8, 4, v16
	ds_bpermute_b32 v5, v7, v3
	v_cmp_lt_i32_e32 vcc_lo, v8, v17
	v_cndmask_b32_e32 v8, v16, v8, vcc_lo
	v_cmp_lt_i32_e32 vcc_lo, v9, v17
	v_lshlrev_b32_e32 v8, 2, v8
	v_cndmask_b32_e32 v9, v16, v9, vcc_lo
	v_cmp_eq_u32_e32 vcc_lo, 0, v18
	s_waitcnt lgkmcnt(0)
	v_max_f32_e32 v5, v5, v5
	v_max_f32_e32 v3, v3, v5
	ds_bpermute_b32 v5, v8, v3
	s_waitcnt lgkmcnt(0)
	v_max_f32_e32 v5, v5, v5
	v_max_f32_e32 v3, v3, v5
	v_lshlrev_b32_e32 v5, 2, v9
	v_lshlrev_b32_e32 v9, 2, v14
	ds_bpermute_b32 v10, v5, v3
	s_and_saveexec_b32 s2, vcc_lo
	s_cbranch_execz .LBB296_527
; %bb.526:
	s_waitcnt lgkmcnt(0)
	v_max_f32_e32 v10, v10, v10
	v_max_f32_e32 v3, v3, v3
	;; [unrolled: 1-line block ×3, first 2 shown]
	ds_write_b32 v9, v3 offset:256
.LBB296_527:
	s_or_b32 exec_lo, exec_lo, s2
	v_cmp_gt_u32_e64 s2, 4, v18
	v_mov_b32_e32 v3, 0xff7fffff
	s_waitcnt lgkmcnt(0)
	v_lshlrev_b32_e32 v10, 2, v18
	s_barrier
	buffer_gl0_inv
	s_and_saveexec_b32 s3, s2
; %bb.528:
	ds_read_b32 v3, v10 offset:256
; %bb.529:
	s_or_b32 exec_lo, exec_lo, s3
	s_waitcnt lgkmcnt(0)
	ds_bpermute_b32 v11, v5, v3
	v_xor_b32_e32 v19, 1, v16
	v_max_f32_e32 v3, v3, v3
	v_lshlrev_b32_e32 v4, 2, v4
	v_cmp_lt_i32_e64 s3, v19, v17
	v_cndmask_b32_e64 v17, v16, v19, s3
	s_sub_i32 s3, s11, s19
	s_lshl_b32 s3, s3, 4
	v_lshlrev_b32_e32 v17, 2, v17
	s_add_i32 s3, s3, s33
	s_min_i32 s3, s3, s27
	s_waitcnt lgkmcnt(0)
	v_max_f32_e32 v11, v11, v11
	s_sub_i32 s5, s3, s33
	v_cmp_gt_i32_e64 s3, s5, v0
	v_max_f32_e32 v3, v3, v11
	ds_bpermute_b32 v11, v17, v3
	s_waitcnt lgkmcnt(0)
	v_max_f32_e32 v11, v11, v11
	v_max_f32_e32 v3, v3, v11
	v_mov_b32_e32 v11, 0
	ds_bpermute_b32 v3, v4, v3
	v_lshl_add_u32 v4, v0, 2, 0x120
	s_and_saveexec_b32 s12, s3
	s_cbranch_execz .LBB296_533
; %bb.530:
	v_lshl_add_u32 v19, v0, 2, 0x120
	v_mov_b32_e32 v11, 0
	v_mov_b32_e32 v20, v0
	s_mov_b32 s13, 0
	.p2align	6
.LBB296_531:                            ; =>This Inner Loop Header: Depth=1
	ds_read_b32 v21, v19
	v_add_nc_u32_e32 v20, 0x80, v20
	v_cmp_le_i32_e64 s4, s5, v20
	s_or_b32 s13, s4, s13
	s_waitcnt lgkmcnt(0)
	v_sub_f32_e32 v21, v21, v3
	v_mul_f32_e32 v21, 0x3fb8aa3b, v21
	v_exp_f32_e32 v21, v21
	ds_write_b32 v19, v21
	v_add_f32_e32 v11, v11, v21
	v_add_nc_u32_e32 v19, 0x200, v19
	s_andn2_b32 exec_lo, exec_lo, s13
	s_cbranch_execnz .LBB296_531
; %bb.532:
	s_or_b32 exec_lo, exec_lo, s13
.LBB296_533:
	s_or_b32 exec_lo, exec_lo, s12
	ds_bpermute_b32 v6, v6, v11
	s_waitcnt lgkmcnt(0)
	v_add_f32_e32 v6, v11, v6
	ds_bpermute_b32 v7, v7, v6
	s_waitcnt lgkmcnt(0)
	v_add_f32_e32 v6, v6, v7
	;; [unrolled: 3-line block ×5, first 2 shown]
	s_and_saveexec_b32 s4, vcc_lo
; %bb.534:
	ds_write_b32 v9, v6 offset:272
; %bb.535:
	s_or_b32 exec_lo, exec_lo, s4
	s_waitcnt lgkmcnt(0)
	s_barrier
	buffer_gl0_inv
	s_and_saveexec_b32 s4, s2
; %bb.536:
	ds_read_b32 v6, v10 offset:272
; %bb.537:
	s_or_b32 exec_lo, exec_lo, s4
	s_waitcnt lgkmcnt(0)
	ds_bpermute_b32 v5, v5, v6
	v_lshlrev_b32_e32 v7, 2, v16
	s_waitcnt lgkmcnt(0)
	v_add_f32_e32 v5, v6, v5
	ds_bpermute_b32 v6, v17, v5
	s_waitcnt lgkmcnt(0)
	v_add_f32_e32 v5, v5, v6
	v_and_b32_e32 v6, 0xffffff80, v7
	ds_bpermute_b32 v5, v6, v5
	s_and_saveexec_b32 s2, s3
	s_cbranch_execz .LBB296_540
; %bb.538:
	s_waitcnt lgkmcnt(0)
	v_add_f32_e32 v6, 0x358637bd, v5
	s_mov_b32 s3, 0
	v_div_scale_f32 v7, null, v6, v6, 1.0
	v_div_scale_f32 v10, vcc_lo, 1.0, v6, 1.0
	v_rcp_f32_e32 v8, v7
	v_fma_f32 v9, -v7, v8, 1.0
	v_fmac_f32_e32 v8, v9, v8
	v_mul_f32_e32 v9, v10, v8
	v_fma_f32 v11, -v7, v9, v10
	v_fmac_f32_e32 v9, v11, v8
	v_fma_f32 v7, -v7, v9, v10
	v_div_fmas_f32 v7, v7, v8, v9
	v_div_fixup_f32 v6, v7, v6, 1.0
	v_mov_b32_e32 v7, v0
.LBB296_539:                            ; =>This Inner Loop Header: Depth=1
	ds_read_b32 v8, v4
	v_add_nc_u32_e32 v7, 0x80, v7
	v_cmp_le_i32_e32 vcc_lo, s5, v7
	s_or_b32 s3, vcc_lo, s3
	s_waitcnt lgkmcnt(0)
	v_mul_f32_e32 v8, v6, v8
	ds_write_b32 v4, v8
	v_add_nc_u32_e32 v4, 0x200, v4
	s_andn2_b32 exec_lo, exec_lo, s3
	s_cbranch_execnz .LBB296_539
.LBB296_540:
	s_or_b32 exec_lo, exec_lo, s2
	s_mul_i32 s2, s7, s26
	s_mov_b32 s4, exec_lo
	s_mul_i32 s2, s2, s9
	s_waitcnt lgkmcnt(0)
	s_barrier
	buffer_gl0_inv
	v_cmpx_eq_u32_e32 0, v0
	s_cbranch_execz .LBB296_542
; %bb.541:
	s_ashr_i32 s3, s2, 31
	s_mul_i32 s36, s7, s6
	s_lshl_b64 s[12:13], s[2:3], 2
	v_mov_b32_e32 v4, 0
	s_add_u32 s3, s22, s12
	s_addc_u32 s5, s23, s13
	s_ashr_i32 s37, s36, 31
	s_lshl_b64 s[22:23], s[36:37], 2
	s_add_u32 s3, s3, s22
	s_addc_u32 s5, s5, s23
	s_ashr_i32 s9, s8, 31
	s_lshl_b64 s[36:37], s[8:9], 2
	s_add_u32 s38, s3, s36
	s_addc_u32 s39, s5, s37
	s_add_u32 s3, s20, s12
	s_addc_u32 s5, s21, s13
	;; [unrolled: 2-line block ×4, first 2 shown]
	global_store_dword v4, v3, s[38:39]
	global_store_dword v4, v5, s[12:13]
.LBB296_542:
	s_or_b32 exec_lo, exec_lo, s4
	v_mov_b32_e32 v24, 0
	v_mov_b32_e32 v25, 0
	;; [unrolled: 1-line block ×8, first 2 shown]
	s_and_saveexec_b32 s3, s1
	s_cbranch_execz .LBB296_1074
; %bb.543:
	v_and_b32_e32 v6, 8, v15
	v_lshlrev_b32_e32 v4, 5, v13
	v_and_b32_e32 v5, 0xf8, v15
	v_lshl_add_u32 v7, v14, 4, s33
	s_ashr_i32 s1, s18, 31
	s_add_u32 s4, s34, s18
	s_addc_u32 s1, s35, s1
	v_lshl_or_b32 v8, v14, 6, v4
	v_add_co_u32 v4, s4, s4, v5
	v_add3_u32 v15, v7, v6, 7
	v_lshlrev_b64 v[6:7], 2, v[1:2]
	v_add_co_ci_u32_e64 v5, null, s1, 0, s4
	s_lshl_b64 s[4:5], s[30:31], 2
	s_add_i32 s16, s16, -1
	s_add_u32 s1, s28, s4
	s_addc_u32 s4, s29, s5
	v_add_co_u32 v6, vcc_lo, s1, v6
	v_mov_b32_e32 v3, 0
	v_add_nc_u32_e32 v26, 0x120, v8
	v_add_co_ci_u32_e64 v7, null, s4, v7, vcc_lo
	v_mov_b32_e32 v27, 0x80
	v_mov_b32_e32 v28, 0x7f
	;; [unrolled: 1-line block ×12, first 2 shown]
	s_mov_b32 s4, -1
	s_mov_b32 s6, s17
	s_mov_b32 s5, 0xffffff
	;; [unrolled: 1-line block ×3, first 2 shown]
	s_branch .LBB296_545
.LBB296_544:                            ;   in Loop: Header=BB296_545 Depth=1
	s_or_b32 exec_lo, exec_lo, s1
	v_add_f32_e32 v10, v10, v11
	v_add_f32_e32 v11, v52, v53
	v_add_nc_u32_e32 v1, 4, v1
	v_add_f32_e32 v31, v50, v51
	v_add_f32_e32 v32, v48, v49
	;; [unrolled: 1-line block ×3, first 2 shown]
	;;#ASMSTART
	v_pk_mul_f16 v10, v42, v54;

	;;#ASMEND
	;;#ASMSTART
	v_pk_mul_f16 v2, v40, v2;

	;;#ASMEND
	;; [unrolled: 4-line block ×4, first 2 shown]
	;;#ASMSTART
	v_pk_add_f16 v2, v10, v2;

	;;#ASMEND
	;;#ASMSTART
	v_pk_add_f16 v2, v2, v9;

	;;#ASMEND
	;; [unrolled: 4-line block ×3, first 2 shown]
	v_and_b32_e32 v10, 0xffff, v2
	v_add_f32_e32 v20, v20, v11
	v_lshrrev_b32_e32 v11, 16, v2
	;;#ASMSTART
	v_cvt_f32_f16 v10, v10;
	;;#ASMEND
	v_add_f32_e32 v2, v46, v47
	v_add_f32_e32 v8, v44, v45
	;; [unrolled: 1-line block ×3, first 2 shown]
	;;#ASMSTART
	v_cvt_f32_f16 v11, v11;
	;;#ASMEND
	v_add_f32_e32 v10, v10, v11
	v_cmp_le_i32_e32 vcc_lo, s11, v1
	v_add_co_u32 v6, s1, v6, 16
	v_add_f32_e32 v21, v21, v31
	v_add_f32_e32 v22, v22, v32
	;; [unrolled: 1-line block ×6, first 2 shown]
	v_add_nc_u32_e32 v15, 64, v15
	v_add_nc_u32_e32 v26, 0x100, v26
	v_add_co_ci_u32_e64 v7, null, 0, v7, s1
	s_or_b32 s9, vcc_lo, s9
	s_andn2_b32 exec_lo, exec_lo, s9
	s_cbranch_execz .LBB296_1073
.LBB296_545:                            ; =>This Inner Loop Header: Depth=1
	global_load_dword v2, v[6:7], off
	ds_read2_b64 v[31:34], v26 offset1:1
	ds_read2_b64 v[44:47], v26 offset0:2 offset1:3
	s_waitcnt lgkmcnt(1)
	;;#ASMSTART
	v_cvt_f16_f32 v38, v31;

	;;#ASMEND
	;;#ASMSTART
	v_cvt_f16_f32 v39, v32;

	;;#ASMEND
	;;#ASMSTART
	v_cvt_f16_f32 v42, v33;

	;;#ASMEND
	;;#ASMSTART
	v_cvt_f16_f32 v40, v34;

	;;#ASMEND
	s_waitcnt lgkmcnt(0)
	;;#ASMSTART
	v_cvt_f16_f32 v44, v44;

	;;#ASMEND
	;;#ASMSTART
	v_cvt_f16_f32 v41, v45;

	;;#ASMEND
	;; [unrolled: 4-line block ×4, first 2 shown]
	v_mov_b32_e32 v33, 0
	s_waitcnt vmcnt(0)
	v_mad_i64_i32 v[8:9], null, v2, s6, v[4:5]
	global_load_dwordx2 v[10:11], v[8:9], off
	global_load_dword v32, v3, s[14:15]
	s_waitcnt vmcnt(1)
	v_cmp_ne_u16_sdwa s12, v10, v3 src0_sel:BYTE_0 src1_sel:DWORD
	s_and_saveexec_b32 s1, s12
	s_cbranch_execz .LBB296_553
; %bb.546:                              ;   in Loop: Header=BB296_545 Depth=1
	v_cmp_ne_u16_sdwa s13, v10, v27 src0_sel:BYTE_0 src1_sel:DWORD
	v_mov_b32_e32 v33, 0x8000
	s_and_saveexec_b32 s12, s13
	s_cbranch_execz .LBB296_552
; %bb.547:                              ;   in Loop: Header=BB296_545 Depth=1
	v_and_b32_e32 v34, 0x7f, v10
	v_mov_b32_e32 v33, 0x7c01
	s_mov_b32 s13, exec_lo
	v_cmpx_ne_u32_e32 0x7f, v34
	s_cbranch_execz .LBB296_551
; %bb.548:                              ;   in Loop: Header=BB296_545 Depth=1
	v_and_b32_e32 v2, 7, v10
	v_lshrrev_b32_e32 v31, 3, v34
	s_mov_b32 s17, exec_lo
	v_cmpx_gt_u32_e32 8, v34
; %bb.549:                              ;   in Loop: Header=BB296_545 Depth=1
	v_ffbh_u32_e32 v2, v2
	v_min_u32_e32 v2, 32, v2
	v_subrev_nc_u32_e32 v31, 28, v2
	v_lshlrev_b64 v[33:34], v31, v[10:11]
	v_sub_nc_u32_e32 v31, 29, v2
	v_and_b32_e32 v2, 7, v33
; %bb.550:                              ;   in Loop: Header=BB296_545 Depth=1
	s_or_b32 exec_lo, exec_lo, s17
	v_lshlrev_b32_e32 v33, 8, v10
	v_lshl_add_u32 v31, v31, 10, 0x2000
	v_lshlrev_b32_e32 v2, 7, v2
	v_and_b32_e32 v33, 0x8000, v33
	v_and_b32_e32 v31, 0xfc00, v31
	v_or3_b32 v33, v33, v31, v2
.LBB296_551:                            ;   in Loop: Header=BB296_545 Depth=1
	s_or_b32 exec_lo, exec_lo, s13
.LBB296_552:                            ;   in Loop: Header=BB296_545 Depth=1
	s_or_b32 exec_lo, exec_lo, s12
.LBB296_553:                            ;   in Loop: Header=BB296_545 Depth=1
	s_or_b32 exec_lo, exec_lo, s1
	v_lshrrev_b16 v2, 8, v10
	v_mov_b32_e32 v31, 0
	v_mov_b32_e32 v34, 0
	s_mov_b32 s1, exec_lo
	v_cmpx_ne_u16_e32 0, v2
	s_cbranch_execz .LBB296_561
; %bb.554:                              ;   in Loop: Header=BB296_545 Depth=1
	v_bfrev_b32_e32 v34, 1
	s_mov_b32 s12, exec_lo
	v_cmpx_ne_u16_e32 0x80, v2
	s_cbranch_execz .LBB296_560
; %bb.555:                              ;   in Loop: Header=BB296_545 Depth=1
	v_and_b32_sdwa v36, v2, v28 dst_sel:DWORD dst_unused:UNUSED_PAD src0_sel:WORD_0 src1_sel:DWORD
	v_mov_b32_e32 v34, 0x7c010000
	s_mov_b32 s13, exec_lo
	v_cmpx_ne_u32_e32 0x7f, v36
	s_cbranch_execz .LBB296_559
; %bb.556:                              ;   in Loop: Header=BB296_545 Depth=1
	v_and_b32_sdwa v34, v2, v29 dst_sel:DWORD dst_unused:UNUSED_PAD src0_sel:WORD_0 src1_sel:DWORD
	v_lshrrev_b32_e32 v35, 3, v36
	s_mov_b32 s17, exec_lo
	v_cmpx_gt_u32_e32 8, v36
; %bb.557:                              ;   in Loop: Header=BB296_545 Depth=1
	v_ffbh_u32_e32 v34, v34
	v_min_u32_e32 v36, 32, v34
	v_subrev_nc_u32_e32 v34, 28, v36
	v_lshlrev_b64 v[34:35], v34, v[2:3]
	v_sub_nc_u32_e32 v35, 29, v36
	v_and_b32_e32 v34, 7, v34
; %bb.558:                              ;   in Loop: Header=BB296_545 Depth=1
	s_or_b32 exec_lo, exec_lo, s17
	v_lshlrev_b32_sdwa v2, v30, v2 dst_sel:DWORD dst_unused:UNUSED_PAD src0_sel:DWORD src1_sel:WORD_0
	v_lshl_add_u32 v35, v35, 10, 0x2000
	v_lshlrev_b32_e32 v34, 23, v34
	v_and_or_b32 v2, 0x8000, v2, v35
	v_lshl_or_b32 v34, v2, 16, v34
.LBB296_559:                            ;   in Loop: Header=BB296_545 Depth=1
	s_or_b32 exec_lo, exec_lo, s13
.LBB296_560:                            ;   in Loop: Header=BB296_545 Depth=1
	s_or_b32 exec_lo, exec_lo, s12
.LBB296_561:                            ;   in Loop: Header=BB296_545 Depth=1
	s_or_b32 exec_lo, exec_lo, s1
	v_lshrrev_b32_e32 v2, 16, v10
	v_cmp_ne_u16_sdwa s12, v2, v3 src0_sel:BYTE_0 src1_sel:DWORD
	s_and_saveexec_b32 s1, s12
	s_cbranch_execz .LBB296_569
; %bb.562:                              ;   in Loop: Header=BB296_545 Depth=1
	v_cmp_ne_u16_sdwa s13, v2, v27 src0_sel:BYTE_0 src1_sel:DWORD
	v_mov_b32_e32 v31, 0x8000
	s_and_saveexec_b32 s12, s13
	s_cbranch_execz .LBB296_568
; %bb.563:                              ;   in Loop: Header=BB296_545 Depth=1
	v_bfe_u32 v36, v10, 16, 7
	v_mov_b32_e32 v31, 0x7c01
	s_mov_b32 s13, exec_lo
	v_cmpx_ne_u32_e32 0x7f, v36
	s_cbranch_execz .LBB296_567
; %bb.564:                              ;   in Loop: Header=BB296_545 Depth=1
	v_and_b32_e32 v31, 7, v2
	v_lshrrev_b32_e32 v35, 3, v36
	s_mov_b32 s17, exec_lo
	v_cmpx_gt_u32_e32 8, v36
; %bb.565:                              ;   in Loop: Header=BB296_545 Depth=1
	v_ffbh_u32_e32 v31, v31
	v_min_u32_e32 v31, 32, v31
	v_subrev_nc_u32_e32 v35, 28, v31
	v_lshlrev_b64 v[36:37], v35, v[2:3]
	v_sub_nc_u32_e32 v35, 29, v31
	v_and_b32_e32 v31, 7, v36
; %bb.566:                              ;   in Loop: Header=BB296_545 Depth=1
	s_or_b32 exec_lo, exec_lo, s17
	v_lshlrev_b32_e32 v2, 8, v2
	v_lshl_add_u32 v35, v35, 10, 0x2000
	v_lshlrev_b32_e32 v31, 7, v31
	v_and_b32_e32 v2, 0x8000, v2
	v_and_b32_e32 v35, 0xfc00, v35
	v_or3_b32 v31, v2, v35, v31
.LBB296_567:                            ;   in Loop: Header=BB296_545 Depth=1
	s_or_b32 exec_lo, exec_lo, s13
.LBB296_568:                            ;   in Loop: Header=BB296_545 Depth=1
	s_or_b32 exec_lo, exec_lo, s12
.LBB296_569:                            ;   in Loop: Header=BB296_545 Depth=1
	s_or_b32 exec_lo, exec_lo, s1
	v_mov_b32_e32 v35, 0
	v_mov_b32_e32 v36, 0
	s_mov_b32 s1, exec_lo
	v_cmpx_lt_u32_e32 0xffffff, v10
	s_cbranch_execz .LBB296_577
; %bb.570:                              ;   in Loop: Header=BB296_545 Depth=1
	v_lshrrev_b32_e32 v2, 24, v10
	v_bfrev_b32_e32 v36, 1
	s_mov_b32 s12, exec_lo
	v_cmpx_ne_u32_e32 0x80, v2
	s_cbranch_execz .LBB296_576
; %bb.571:                              ;   in Loop: Header=BB296_545 Depth=1
	v_and_b32_e32 v46, 0x7f, v2
	v_mov_b32_e32 v36, 0x7c010000
	s_mov_b32 s13, exec_lo
	v_cmpx_ne_u32_e32 0x7f, v46
	s_cbranch_execz .LBB296_575
; %bb.572:                              ;   in Loop: Header=BB296_545 Depth=1
	v_and_b32_e32 v36, 7, v2
	v_lshrrev_b32_e32 v37, 3, v46
	s_mov_b32 s17, exec_lo
	v_cmpx_gt_u32_e32 8, v46
; %bb.573:                              ;   in Loop: Header=BB296_545 Depth=1
	v_ffbh_u32_e32 v36, v36
	v_min_u32_e32 v46, 32, v36
	v_subrev_nc_u32_e32 v36, 28, v46
	v_lshlrev_b64 v[36:37], v36, v[2:3]
	v_sub_nc_u32_e32 v37, 29, v46
	v_and_b32_e32 v36, 7, v36
; %bb.574:                              ;   in Loop: Header=BB296_545 Depth=1
	s_or_b32 exec_lo, exec_lo, s17
	v_lshlrev_b32_e32 v2, 8, v2
	v_lshl_add_u32 v37, v37, 10, 0x2000
	v_lshlrev_b32_e32 v36, 23, v36
	v_and_or_b32 v2, 0x8000, v2, v37
	v_lshl_or_b32 v36, v2, 16, v36
.LBB296_575:                            ;   in Loop: Header=BB296_545 Depth=1
	s_or_b32 exec_lo, exec_lo, s13
.LBB296_576:                            ;   in Loop: Header=BB296_545 Depth=1
	s_or_b32 exec_lo, exec_lo, s12
.LBB296_577:                            ;   in Loop: Header=BB296_545 Depth=1
	s_or_b32 exec_lo, exec_lo, s1
	v_mov_b32_e32 v2, v11
	v_cmp_ne_u16_sdwa s12, v11, v3 src0_sel:BYTE_0 src1_sel:DWORD
	s_and_saveexec_b32 s1, s12
	s_cbranch_execz .LBB296_585
; %bb.578:                              ;   in Loop: Header=BB296_545 Depth=1
	v_cmp_ne_u16_sdwa s13, v11, v27 src0_sel:BYTE_0 src1_sel:DWORD
	v_mov_b32_e32 v35, 0x8000
	s_and_saveexec_b32 s12, s13
	s_cbranch_execz .LBB296_584
; %bb.579:                              ;   in Loop: Header=BB296_545 Depth=1
	v_and_b32_e32 v46, 0x7f, v11
	v_mov_b32_e32 v35, 0x7c01
	s_mov_b32 s13, exec_lo
	v_cmpx_ne_u32_e32 0x7f, v46
	s_cbranch_execz .LBB296_583
; %bb.580:                              ;   in Loop: Header=BB296_545 Depth=1
	v_and_b32_e32 v35, 7, v11
	v_lshrrev_b32_e32 v37, 3, v46
	s_mov_b32 s17, exec_lo
	v_cmpx_gt_u32_e32 8, v46
; %bb.581:                              ;   in Loop: Header=BB296_545 Depth=1
	v_ffbh_u32_e32 v35, v35
	v_min_u32_e32 v35, 32, v35
	v_subrev_nc_u32_e32 v37, 28, v35
	v_lshlrev_b64 v[46:47], v37, v[2:3]
	v_sub_nc_u32_e32 v37, 29, v35
	v_and_b32_e32 v35, 7, v46
; %bb.582:                              ;   in Loop: Header=BB296_545 Depth=1
	s_or_b32 exec_lo, exec_lo, s17
	v_lshlrev_b32_e32 v46, 8, v11
	v_lshl_add_u32 v37, v37, 10, 0x2000
	v_lshlrev_b32_e32 v35, 7, v35
	v_and_b32_e32 v46, 0x8000, v46
	v_and_b32_e32 v37, 0xfc00, v37
	v_or3_b32 v35, v46, v37, v35
.LBB296_583:                            ;   in Loop: Header=BB296_545 Depth=1
	s_or_b32 exec_lo, exec_lo, s13
.LBB296_584:                            ;   in Loop: Header=BB296_545 Depth=1
	s_or_b32 exec_lo, exec_lo, s12
.LBB296_585:                            ;   in Loop: Header=BB296_545 Depth=1
	s_or_b32 exec_lo, exec_lo, s1
	v_lshrrev_b16 v2, 8, v2
	v_mov_b32_e32 v46, 0
	v_mov_b32_e32 v37, 0
	s_mov_b32 s1, exec_lo
	v_cmpx_ne_u16_e32 0, v2
	s_cbranch_execz .LBB296_593
; %bb.586:                              ;   in Loop: Header=BB296_545 Depth=1
	v_bfrev_b32_e32 v37, 1
	s_mov_b32 s12, exec_lo
	v_cmpx_ne_u16_e32 0x80, v2
	s_cbranch_execz .LBB296_592
; %bb.587:                              ;   in Loop: Header=BB296_545 Depth=1
	v_and_b32_sdwa v48, v2, v28 dst_sel:DWORD dst_unused:UNUSED_PAD src0_sel:WORD_0 src1_sel:DWORD
	v_mov_b32_e32 v37, 0x7c010000
	s_mov_b32 s13, exec_lo
	v_cmpx_ne_u32_e32 0x7f, v48
	s_cbranch_execz .LBB296_591
; %bb.588:                              ;   in Loop: Header=BB296_545 Depth=1
	v_and_b32_sdwa v37, v2, v29 dst_sel:DWORD dst_unused:UNUSED_PAD src0_sel:WORD_0 src1_sel:DWORD
	v_lshrrev_b32_e32 v47, 3, v48
	s_mov_b32 s17, exec_lo
	v_cmpx_gt_u32_e32 8, v48
; %bb.589:                              ;   in Loop: Header=BB296_545 Depth=1
	v_ffbh_u32_e32 v37, v37
	v_min_u32_e32 v37, 32, v37
	v_subrev_nc_u32_e32 v47, 28, v37
	v_lshlrev_b64 v[48:49], v47, v[2:3]
	v_sub_nc_u32_e32 v47, 29, v37
	v_and_b32_e32 v37, 7, v48
; %bb.590:                              ;   in Loop: Header=BB296_545 Depth=1
	s_or_b32 exec_lo, exec_lo, s17
	v_lshlrev_b32_sdwa v2, v30, v2 dst_sel:DWORD dst_unused:UNUSED_PAD src0_sel:DWORD src1_sel:WORD_0
	v_lshl_add_u32 v47, v47, 10, 0x2000
	v_lshlrev_b32_e32 v37, 23, v37
	v_and_or_b32 v2, 0x8000, v2, v47
	v_lshl_or_b32 v37, v2, 16, v37
.LBB296_591:                            ;   in Loop: Header=BB296_545 Depth=1
	s_or_b32 exec_lo, exec_lo, s13
.LBB296_592:                            ;   in Loop: Header=BB296_545 Depth=1
	s_or_b32 exec_lo, exec_lo, s12
.LBB296_593:                            ;   in Loop: Header=BB296_545 Depth=1
	s_or_b32 exec_lo, exec_lo, s1
	v_lshrrev_b32_e32 v2, 16, v11
	v_cmp_ne_u16_sdwa s12, v2, v3 src0_sel:BYTE_0 src1_sel:DWORD
	s_and_saveexec_b32 s1, s12
	s_cbranch_execz .LBB296_601
; %bb.594:                              ;   in Loop: Header=BB296_545 Depth=1
	v_cmp_ne_u16_sdwa s13, v2, v27 src0_sel:BYTE_0 src1_sel:DWORD
	v_mov_b32_e32 v46, 0x8000
	s_and_saveexec_b32 s12, s13
	s_cbranch_execz .LBB296_600
; %bb.595:                              ;   in Loop: Header=BB296_545 Depth=1
	v_bfe_u32 v48, v11, 16, 7
	v_mov_b32_e32 v46, 0x7c01
	s_mov_b32 s13, exec_lo
	v_cmpx_ne_u32_e32 0x7f, v48
	s_cbranch_execz .LBB296_599
; %bb.596:                              ;   in Loop: Header=BB296_545 Depth=1
	v_and_b32_e32 v46, 7, v2
	v_lshrrev_b32_e32 v47, 3, v48
	s_mov_b32 s17, exec_lo
	v_cmpx_gt_u32_e32 8, v48
; %bb.597:                              ;   in Loop: Header=BB296_545 Depth=1
	v_ffbh_u32_e32 v46, v46
	v_min_u32_e32 v48, 32, v46
	v_subrev_nc_u32_e32 v46, 28, v48
	v_lshlrev_b64 v[46:47], v46, v[2:3]
	v_sub_nc_u32_e32 v47, 29, v48
	v_and_b32_e32 v46, 7, v46
; %bb.598:                              ;   in Loop: Header=BB296_545 Depth=1
	s_or_b32 exec_lo, exec_lo, s17
	v_lshlrev_b32_e32 v2, 8, v2
	v_lshl_add_u32 v47, v47, 10, 0x2000
	v_lshlrev_b32_e32 v46, 7, v46
	v_and_b32_e32 v2, 0x8000, v2
	v_and_b32_e32 v47, 0xfc00, v47
	v_or3_b32 v46, v2, v47, v46
.LBB296_599:                            ;   in Loop: Header=BB296_545 Depth=1
	s_or_b32 exec_lo, exec_lo, s13
.LBB296_600:                            ;   in Loop: Header=BB296_545 Depth=1
	s_or_b32 exec_lo, exec_lo, s12
.LBB296_601:                            ;   in Loop: Header=BB296_545 Depth=1
	s_or_b32 exec_lo, exec_lo, s1
	v_cmp_lt_u64_e32 vcc_lo, s[4:5], v[10:11]
	v_mov_b32_e32 v10, 0
	s_and_saveexec_b32 s1, vcc_lo
	s_cbranch_execz .LBB296_609
; %bb.602:                              ;   in Loop: Header=BB296_545 Depth=1
	v_lshrrev_b32_e32 v2, 24, v11
	v_bfrev_b32_e32 v10, 1
	s_mov_b32 s12, exec_lo
	v_cmpx_ne_u32_e32 0x80, v2
	s_cbranch_execz .LBB296_608
; %bb.603:                              ;   in Loop: Header=BB296_545 Depth=1
	v_and_b32_e32 v47, 0x7f, v2
	v_mov_b32_e32 v10, 0x7c010000
	s_mov_b32 s13, exec_lo
	v_cmpx_ne_u32_e32 0x7f, v47
	s_cbranch_execz .LBB296_607
; %bb.604:                              ;   in Loop: Header=BB296_545 Depth=1
	v_and_b32_e32 v10, 7, v2
	v_lshrrev_b32_e32 v11, 3, v47
	s_mov_b32 s17, exec_lo
	v_cmpx_gt_u32_e32 8, v47
; %bb.605:                              ;   in Loop: Header=BB296_545 Depth=1
	v_ffbh_u32_e32 v10, v10
	v_min_u32_e32 v47, 32, v10
	v_subrev_nc_u32_e32 v10, 28, v47
	v_lshlrev_b64 v[10:11], v10, v[2:3]
	v_sub_nc_u32_e32 v11, 29, v47
	v_and_b32_e32 v10, 7, v10
; %bb.606:                              ;   in Loop: Header=BB296_545 Depth=1
	s_or_b32 exec_lo, exec_lo, s17
	v_lshlrev_b32_e32 v2, 8, v2
	v_lshl_add_u32 v11, v11, 10, 0x2000
	v_lshlrev_b32_e32 v10, 23, v10
	v_and_or_b32 v2, 0x8000, v2, v11
	v_lshl_or_b32 v10, v2, 16, v10
.LBB296_607:                            ;   in Loop: Header=BB296_545 Depth=1
	s_or_b32 exec_lo, exec_lo, s13
.LBB296_608:                            ;   in Loop: Header=BB296_545 Depth=1
	s_or_b32 exec_lo, exec_lo, s12
.LBB296_609:                            ;   in Loop: Header=BB296_545 Depth=1
	s_or_b32 exec_lo, exec_lo, s1
	v_or_b32_e32 v2, v36, v31
	s_waitcnt vmcnt(0)
	v_fma_mixlo_f16 v11, v32, v36, 0 op_sel:[0,1,0] op_sel_hi:[0,1,0]
	v_or_b32_e32 v33, v34, v33
	v_fma_mixlo_f16 v34, v32, v34, 0 op_sel:[0,1,0] op_sel_hi:[0,1,0]
	v_or_b32_e32 v35, v37, v35
	v_fma_mixlo_f16 v2, v32, v2, 0 op_sel_hi:[0,1,0]
	v_or_b32_e32 v36, v10, v46
	v_fma_mixlo_f16 v10, v32, v10, 0 op_sel:[0,1,0] op_sel_hi:[0,1,0]
	v_lshlrev_b32_e32 v52, 16, v34
	v_fma_mixlo_f16 v34, v32, v35, 0 op_sel_hi:[0,1,0]
	v_and_b32_e32 v49, 0xffff, v2
	v_fma_mixlo_f16 v2, v32, v33, 0 op_sel_hi:[0,1,0]
	v_fma_mixlo_f16 v33, v32, v37, 0 op_sel:[0,1,0] op_sel_hi:[0,1,0]
	v_fma_mixlo_f16 v32, v32, v36, 0 op_sel_hi:[0,1,0]
	v_lshlrev_b32_e32 v11, 16, v11
	v_and_b32_e32 v53, 0xffff, v34
	v_and_b32_e32 v54, 0xffff, v2
	v_lshlrev_b32_e32 v50, 16, v33
	v_lshlrev_b32_e32 v47, 16, v10
	v_and_b32_e32 v51, 0xffff, v32
	v_add_nc_u32_e32 v31, -7, v15
	v_cmp_eq_u32_e32 vcc_lo, s16, v1
	v_or_b32_e32 v2, v11, v49
	v_or_b32_e32 v10, v52, v54
	;; [unrolled: 1-line block ×4, first 2 shown]
	v_add_nc_u32_e32 v37, -6, v15
	v_add_nc_u32_e32 v36, -5, v15
	;; [unrolled: 1-line block ×6, first 2 shown]
	s_and_saveexec_b32 s12, vcc_lo
	s_cbranch_execz .LBB296_611
; %bb.610:                              ;   in Loop: Header=BB296_545 Depth=1
	v_cmp_gt_i32_e64 s1, s27, v31
	v_cndmask_b32_e64 v2, 0, v54, s1
	v_cmp_gt_i32_e64 s1, s27, v37
	v_cndmask_b32_e64 v10, 0, v52, s1
	v_cmp_gt_i32_e64 s1, s27, v36
	v_or_b32_e32 v10, v10, v2
	v_cndmask_b32_e64 v46, 0, v49, s1
	v_cmp_gt_i32_e64 s1, s27, v35
	v_cndmask_b32_e64 v11, 0, v11, s1
	v_cmp_gt_i32_e64 s1, s27, v34
	v_or_b32_e32 v2, v11, v46
	;; [unrolled: 5-line block ×3, first 2 shown]
	v_cndmask_b32_e64 v50, 0, v51, s1
	v_cmp_gt_i32_e64 s1, s27, v15
	v_cndmask_b32_e64 v47, 0, v47, s1
	v_or_b32_e32 v48, v47, v50
.LBB296_611:                            ;   in Loop: Header=BB296_545 Depth=1
	s_or_b32 exec_lo, exec_lo, s12
	v_and_b32_e32 v11, 0xffff, v38
	v_and_b32_e32 v38, 0xffff, v42
	;; [unrolled: 1-line block ×4, first 2 shown]
	v_lshl_or_b32 v42, v39, 16, v11
	v_lshl_or_b32 v40, v40, 16, v38
	;;#ASMSTART
	v_pk_mul_f16 v10, v42, v10;

	;;#ASMEND
	;;#ASMSTART
	v_pk_mul_f16 v2, v40, v2;

	;;#ASMEND
	v_lshl_or_b32 v39, v41, 16, v44
	v_lshl_or_b32 v38, v43, 16, v45
	;;#ASMSTART
	v_pk_mul_f16 v11, v39, v46;

	;;#ASMEND
	;;#ASMSTART
	v_pk_mul_f16 v41, v38, v48;

	;;#ASMEND
	;;#ASMSTART
	v_pk_add_f16 v2, v10, v2;

	;;#ASMEND
	;;#ASMSTART
	v_pk_add_f16 v2, v2, v11;
	;; [unrolled: 4-line block ×3, first 2 shown]

	;;#ASMEND
	v_and_b32_e32 v10, 0xffff, v2
	v_lshrrev_b32_e32 v2, 16, v2
	;;#ASMSTART
	v_cvt_f32_f16 v41, v10;
	;;#ASMEND
	;;#ASMSTART
	v_cvt_f32_f16 v43, v2;
	;;#ASMEND
	global_load_dwordx2 v[10:11], v[8:9], off offset:256
	v_mov_b32_e32 v45, 0
	v_mov_b32_e32 v46, 0
	global_load_dword v44, v45, s[14:15]
	s_waitcnt vmcnt(1)
	v_cmp_ne_u16_sdwa s1, v10, v3 src0_sel:BYTE_0 src1_sel:DWORD
	s_and_saveexec_b32 s12, s1
	s_cbranch_execz .LBB296_619
; %bb.612:                              ;   in Loop: Header=BB296_545 Depth=1
	v_cmp_ne_u16_sdwa s1, v10, v27 src0_sel:BYTE_0 src1_sel:DWORD
	v_mov_b32_e32 v46, 0x8000
	s_and_saveexec_b32 s13, s1
	s_cbranch_execz .LBB296_618
; %bb.613:                              ;   in Loop: Header=BB296_545 Depth=1
	v_and_b32_e32 v47, 0x7f, v10
	v_mov_b32_e32 v46, 0x7c01
	s_mov_b32 s17, exec_lo
	v_cmpx_ne_u32_e32 0x7f, v47
	s_cbranch_execz .LBB296_617
; %bb.614:                              ;   in Loop: Header=BB296_545 Depth=1
	v_and_b32_e32 v2, 7, v10
	v_lshrrev_b32_e32 v46, 3, v47
	s_mov_b32 s18, exec_lo
	v_cmpx_gt_u32_e32 8, v47
; %bb.615:                              ;   in Loop: Header=BB296_545 Depth=1
	v_ffbh_u32_e32 v2, v2
	v_min_u32_e32 v2, 32, v2
	v_subrev_nc_u32_e32 v46, 28, v2
	v_lshlrev_b64 v[47:48], v46, v[10:11]
	v_sub_nc_u32_e32 v46, 29, v2
	v_and_b32_e32 v2, 7, v47
; %bb.616:                              ;   in Loop: Header=BB296_545 Depth=1
	s_or_b32 exec_lo, exec_lo, s18
	v_lshlrev_b32_e32 v47, 8, v10
	v_lshl_add_u32 v46, v46, 10, 0x2000
	v_lshlrev_b32_e32 v2, 7, v2
	v_and_b32_e32 v47, 0x8000, v47
	v_and_b32_e32 v46, 0xfc00, v46
	v_or3_b32 v46, v47, v46, v2
.LBB296_617:                            ;   in Loop: Header=BB296_545 Depth=1
	s_or_b32 exec_lo, exec_lo, s17
.LBB296_618:                            ;   in Loop: Header=BB296_545 Depth=1
	s_or_b32 exec_lo, exec_lo, s13
.LBB296_619:                            ;   in Loop: Header=BB296_545 Depth=1
	s_or_b32 exec_lo, exec_lo, s12
	v_lshrrev_b16 v2, 8, v10
	s_mov_b32 s12, exec_lo
	v_cmpx_ne_u16_e32 0, v2
	s_cbranch_execz .LBB296_627
; %bb.620:                              ;   in Loop: Header=BB296_545 Depth=1
	v_bfrev_b32_e32 v45, 1
	s_mov_b32 s13, exec_lo
	v_cmpx_ne_u16_e32 0x80, v2
	s_cbranch_execz .LBB296_626
; %bb.621:                              ;   in Loop: Header=BB296_545 Depth=1
	v_and_b32_sdwa v48, v2, v28 dst_sel:DWORD dst_unused:UNUSED_PAD src0_sel:WORD_0 src1_sel:DWORD
	v_mov_b32_e32 v45, 0x7c010000
	s_mov_b32 s17, exec_lo
	v_cmpx_ne_u32_e32 0x7f, v48
	s_cbranch_execz .LBB296_625
; %bb.622:                              ;   in Loop: Header=BB296_545 Depth=1
	v_and_b32_sdwa v45, v2, v29 dst_sel:DWORD dst_unused:UNUSED_PAD src0_sel:WORD_0 src1_sel:DWORD
	v_lshrrev_b32_e32 v47, 3, v48
	s_mov_b32 s18, exec_lo
	v_cmpx_gt_u32_e32 8, v48
; %bb.623:                              ;   in Loop: Header=BB296_545 Depth=1
	v_ffbh_u32_e32 v45, v45
	v_min_u32_e32 v45, 32, v45
	v_subrev_nc_u32_e32 v47, 28, v45
	v_lshlrev_b64 v[48:49], v47, v[2:3]
	v_sub_nc_u32_e32 v47, 29, v45
	v_and_b32_e32 v45, 7, v48
; %bb.624:                              ;   in Loop: Header=BB296_545 Depth=1
	s_or_b32 exec_lo, exec_lo, s18
	v_lshlrev_b32_sdwa v2, v30, v2 dst_sel:DWORD dst_unused:UNUSED_PAD src0_sel:DWORD src1_sel:WORD_0
	v_lshl_add_u32 v47, v47, 10, 0x2000
	v_lshlrev_b32_e32 v45, 23, v45
	v_and_or_b32 v2, 0x8000, v2, v47
	v_lshl_or_b32 v45, v2, 16, v45
.LBB296_625:                            ;   in Loop: Header=BB296_545 Depth=1
	s_or_b32 exec_lo, exec_lo, s17
.LBB296_626:                            ;   in Loop: Header=BB296_545 Depth=1
	s_or_b32 exec_lo, exec_lo, s13
.LBB296_627:                            ;   in Loop: Header=BB296_545 Depth=1
	s_or_b32 exec_lo, exec_lo, s12
	v_lshrrev_b32_e32 v2, 16, v10
	v_mov_b32_e32 v47, 0
	v_mov_b32_e32 v48, 0
	v_cmp_ne_u16_sdwa s1, v2, v3 src0_sel:BYTE_0 src1_sel:DWORD
	s_and_saveexec_b32 s12, s1
	s_cbranch_execz .LBB296_635
; %bb.628:                              ;   in Loop: Header=BB296_545 Depth=1
	v_cmp_ne_u16_sdwa s1, v2, v27 src0_sel:BYTE_0 src1_sel:DWORD
	v_mov_b32_e32 v48, 0x8000
	s_and_saveexec_b32 s13, s1
	s_cbranch_execz .LBB296_634
; %bb.629:                              ;   in Loop: Header=BB296_545 Depth=1
	v_bfe_u32 v50, v10, 16, 7
	v_mov_b32_e32 v48, 0x7c01
	s_mov_b32 s17, exec_lo
	v_cmpx_ne_u32_e32 0x7f, v50
	s_cbranch_execz .LBB296_633
; %bb.630:                              ;   in Loop: Header=BB296_545 Depth=1
	v_and_b32_e32 v48, 7, v2
	v_lshrrev_b32_e32 v49, 3, v50
	s_mov_b32 s18, exec_lo
	v_cmpx_gt_u32_e32 8, v50
; %bb.631:                              ;   in Loop: Header=BB296_545 Depth=1
	v_ffbh_u32_e32 v48, v48
	v_min_u32_e32 v50, 32, v48
	v_subrev_nc_u32_e32 v48, 28, v50
	v_lshlrev_b64 v[48:49], v48, v[2:3]
	v_sub_nc_u32_e32 v49, 29, v50
	v_and_b32_e32 v48, 7, v48
; %bb.632:                              ;   in Loop: Header=BB296_545 Depth=1
	s_or_b32 exec_lo, exec_lo, s18
	v_lshlrev_b32_e32 v2, 8, v2
	v_lshl_add_u32 v49, v49, 10, 0x2000
	v_lshlrev_b32_e32 v48, 7, v48
	v_and_b32_e32 v2, 0x8000, v2
	v_and_b32_e32 v49, 0xfc00, v49
	v_or3_b32 v48, v2, v49, v48
.LBB296_633:                            ;   in Loop: Header=BB296_545 Depth=1
	s_or_b32 exec_lo, exec_lo, s17
.LBB296_634:                            ;   in Loop: Header=BB296_545 Depth=1
	s_or_b32 exec_lo, exec_lo, s13
.LBB296_635:                            ;   in Loop: Header=BB296_545 Depth=1
	s_or_b32 exec_lo, exec_lo, s12
	s_mov_b32 s12, exec_lo
	v_cmpx_lt_u32_e32 0xffffff, v10
	s_cbranch_execz .LBB296_643
; %bb.636:                              ;   in Loop: Header=BB296_545 Depth=1
	v_lshrrev_b32_e32 v2, 24, v10
	v_bfrev_b32_e32 v47, 1
	s_mov_b32 s13, exec_lo
	v_cmpx_ne_u32_e32 0x80, v2
	s_cbranch_execz .LBB296_642
; %bb.637:                              ;   in Loop: Header=BB296_545 Depth=1
	v_and_b32_e32 v50, 0x7f, v2
	v_mov_b32_e32 v47, 0x7c010000
	s_mov_b32 s17, exec_lo
	v_cmpx_ne_u32_e32 0x7f, v50
	s_cbranch_execz .LBB296_641
; %bb.638:                              ;   in Loop: Header=BB296_545 Depth=1
	v_and_b32_e32 v47, 7, v2
	v_lshrrev_b32_e32 v49, 3, v50
	s_mov_b32 s18, exec_lo
	v_cmpx_gt_u32_e32 8, v50
; %bb.639:                              ;   in Loop: Header=BB296_545 Depth=1
	v_ffbh_u32_e32 v47, v47
	v_min_u32_e32 v47, 32, v47
	v_subrev_nc_u32_e32 v49, 28, v47
	v_lshlrev_b64 v[50:51], v49, v[2:3]
	v_sub_nc_u32_e32 v49, 29, v47
	v_and_b32_e32 v47, 7, v50
; %bb.640:                              ;   in Loop: Header=BB296_545 Depth=1
	s_or_b32 exec_lo, exec_lo, s18
	v_lshlrev_b32_e32 v2, 8, v2
	v_lshl_add_u32 v49, v49, 10, 0x2000
	v_lshlrev_b32_e32 v47, 23, v47
	v_and_or_b32 v2, 0x8000, v2, v49
	v_lshl_or_b32 v47, v2, 16, v47
.LBB296_641:                            ;   in Loop: Header=BB296_545 Depth=1
	s_or_b32 exec_lo, exec_lo, s17
.LBB296_642:                            ;   in Loop: Header=BB296_545 Depth=1
	s_or_b32 exec_lo, exec_lo, s13
.LBB296_643:                            ;   in Loop: Header=BB296_545 Depth=1
	s_or_b32 exec_lo, exec_lo, s12
	v_mov_b32_e32 v2, v11
	v_cmp_ne_u16_sdwa s1, v11, v3 src0_sel:BYTE_0 src1_sel:DWORD
	v_mov_b32_e32 v49, 0
	v_mov_b32_e32 v50, 0
	s_and_saveexec_b32 s12, s1
	s_cbranch_execz .LBB296_651
; %bb.644:                              ;   in Loop: Header=BB296_545 Depth=1
	v_cmp_ne_u16_sdwa s1, v11, v27 src0_sel:BYTE_0 src1_sel:DWORD
	v_mov_b32_e32 v50, 0x8000
	s_and_saveexec_b32 s13, s1
	s_cbranch_execz .LBB296_650
; %bb.645:                              ;   in Loop: Header=BB296_545 Depth=1
	v_and_b32_e32 v52, 0x7f, v11
	v_mov_b32_e32 v50, 0x7c01
	s_mov_b32 s17, exec_lo
	v_cmpx_ne_u32_e32 0x7f, v52
	s_cbranch_execz .LBB296_649
; %bb.646:                              ;   in Loop: Header=BB296_545 Depth=1
	v_and_b32_e32 v50, 7, v11
	v_lshrrev_b32_e32 v51, 3, v52
	s_mov_b32 s18, exec_lo
	v_cmpx_gt_u32_e32 8, v52
; %bb.647:                              ;   in Loop: Header=BB296_545 Depth=1
	v_ffbh_u32_e32 v50, v50
	v_min_u32_e32 v52, 32, v50
	v_subrev_nc_u32_e32 v50, 28, v52
	v_lshlrev_b64 v[50:51], v50, v[2:3]
	v_sub_nc_u32_e32 v51, 29, v52
	v_and_b32_e32 v50, 7, v50
; %bb.648:                              ;   in Loop: Header=BB296_545 Depth=1
	s_or_b32 exec_lo, exec_lo, s18
	v_lshlrev_b32_e32 v52, 8, v11
	v_lshl_add_u32 v51, v51, 10, 0x2000
	v_lshlrev_b32_e32 v50, 7, v50
	v_and_b32_e32 v52, 0x8000, v52
	v_and_b32_e32 v51, 0xfc00, v51
	v_or3_b32 v50, v52, v51, v50
.LBB296_649:                            ;   in Loop: Header=BB296_545 Depth=1
	s_or_b32 exec_lo, exec_lo, s17
.LBB296_650:                            ;   in Loop: Header=BB296_545 Depth=1
	s_or_b32 exec_lo, exec_lo, s13
.LBB296_651:                            ;   in Loop: Header=BB296_545 Depth=1
	s_or_b32 exec_lo, exec_lo, s12
	v_lshrrev_b16 v2, 8, v2
	v_mov_b32_e32 v51, 0
	s_mov_b32 s12, exec_lo
	v_cmpx_ne_u16_e32 0, v2
	s_cbranch_execz .LBB296_659
; %bb.652:                              ;   in Loop: Header=BB296_545 Depth=1
	v_bfrev_b32_e32 v51, 1
	s_mov_b32 s13, exec_lo
	v_cmpx_ne_u16_e32 0x80, v2
	s_cbranch_execz .LBB296_658
; %bb.653:                              ;   in Loop: Header=BB296_545 Depth=1
	v_and_b32_sdwa v53, v2, v28 dst_sel:DWORD dst_unused:UNUSED_PAD src0_sel:WORD_0 src1_sel:DWORD
	v_mov_b32_e32 v51, 0x7c010000
	s_mov_b32 s17, exec_lo
	v_cmpx_ne_u32_e32 0x7f, v53
	s_cbranch_execz .LBB296_657
; %bb.654:                              ;   in Loop: Header=BB296_545 Depth=1
	v_and_b32_sdwa v51, v2, v29 dst_sel:DWORD dst_unused:UNUSED_PAD src0_sel:WORD_0 src1_sel:DWORD
	v_lshrrev_b32_e32 v52, 3, v53
	s_mov_b32 s18, exec_lo
	v_cmpx_gt_u32_e32 8, v53
; %bb.655:                              ;   in Loop: Header=BB296_545 Depth=1
	v_ffbh_u32_e32 v51, v51
	v_min_u32_e32 v53, 32, v51
	v_subrev_nc_u32_e32 v51, 28, v53
	v_lshlrev_b64 v[51:52], v51, v[2:3]
	v_sub_nc_u32_e32 v52, 29, v53
	v_and_b32_e32 v51, 7, v51
; %bb.656:                              ;   in Loop: Header=BB296_545 Depth=1
	s_or_b32 exec_lo, exec_lo, s18
	v_lshlrev_b32_sdwa v2, v30, v2 dst_sel:DWORD dst_unused:UNUSED_PAD src0_sel:DWORD src1_sel:WORD_0
	v_lshl_add_u32 v52, v52, 10, 0x2000
	v_lshlrev_b32_e32 v51, 23, v51
	v_and_or_b32 v2, 0x8000, v2, v52
	v_lshl_or_b32 v51, v2, 16, v51
.LBB296_657:                            ;   in Loop: Header=BB296_545 Depth=1
	s_or_b32 exec_lo, exec_lo, s17
.LBB296_658:                            ;   in Loop: Header=BB296_545 Depth=1
	s_or_b32 exec_lo, exec_lo, s13
.LBB296_659:                            ;   in Loop: Header=BB296_545 Depth=1
	s_or_b32 exec_lo, exec_lo, s12
	v_lshrrev_b32_e32 v2, 16, v11
	v_cmp_ne_u16_sdwa s1, v2, v3 src0_sel:BYTE_0 src1_sel:DWORD
	s_and_saveexec_b32 s12, s1
	s_cbranch_execz .LBB296_667
; %bb.660:                              ;   in Loop: Header=BB296_545 Depth=1
	v_cmp_ne_u16_sdwa s1, v2, v27 src0_sel:BYTE_0 src1_sel:DWORD
	v_mov_b32_e32 v49, 0x8000
	s_and_saveexec_b32 s13, s1
	s_cbranch_execz .LBB296_666
; %bb.661:                              ;   in Loop: Header=BB296_545 Depth=1
	v_bfe_u32 v53, v11, 16, 7
	v_mov_b32_e32 v49, 0x7c01
	s_mov_b32 s17, exec_lo
	v_cmpx_ne_u32_e32 0x7f, v53
	s_cbranch_execz .LBB296_665
; %bb.662:                              ;   in Loop: Header=BB296_545 Depth=1
	v_and_b32_e32 v49, 7, v2
	v_lshrrev_b32_e32 v52, 3, v53
	s_mov_b32 s18, exec_lo
	v_cmpx_gt_u32_e32 8, v53
; %bb.663:                              ;   in Loop: Header=BB296_545 Depth=1
	v_ffbh_u32_e32 v49, v49
	v_min_u32_e32 v49, 32, v49
	v_subrev_nc_u32_e32 v52, 28, v49
	v_lshlrev_b64 v[53:54], v52, v[2:3]
	v_sub_nc_u32_e32 v52, 29, v49
	v_and_b32_e32 v49, 7, v53
; %bb.664:                              ;   in Loop: Header=BB296_545 Depth=1
	s_or_b32 exec_lo, exec_lo, s18
	v_lshlrev_b32_e32 v2, 8, v2
	v_lshl_add_u32 v52, v52, 10, 0x2000
	v_lshlrev_b32_e32 v49, 7, v49
	v_and_b32_e32 v2, 0x8000, v2
	v_and_b32_e32 v52, 0xfc00, v52
	v_or3_b32 v49, v2, v52, v49
.LBB296_665:                            ;   in Loop: Header=BB296_545 Depth=1
	s_or_b32 exec_lo, exec_lo, s17
.LBB296_666:                            ;   in Loop: Header=BB296_545 Depth=1
	s_or_b32 exec_lo, exec_lo, s13
.LBB296_667:                            ;   in Loop: Header=BB296_545 Depth=1
	s_or_b32 exec_lo, exec_lo, s12
	v_cmp_lt_u64_e64 s1, s[4:5], v[10:11]
	v_mov_b32_e32 v10, 0
	s_and_saveexec_b32 s12, s1
	s_cbranch_execz .LBB296_675
; %bb.668:                              ;   in Loop: Header=BB296_545 Depth=1
	v_lshrrev_b32_e32 v2, 24, v11
	v_bfrev_b32_e32 v10, 1
	s_mov_b32 s13, exec_lo
	v_cmpx_ne_u32_e32 0x80, v2
	s_cbranch_execz .LBB296_674
; %bb.669:                              ;   in Loop: Header=BB296_545 Depth=1
	v_and_b32_e32 v52, 0x7f, v2
	v_mov_b32_e32 v10, 0x7c010000
	s_mov_b32 s17, exec_lo
	v_cmpx_ne_u32_e32 0x7f, v52
	s_cbranch_execz .LBB296_673
; %bb.670:                              ;   in Loop: Header=BB296_545 Depth=1
	v_and_b32_e32 v10, 7, v2
	v_lshrrev_b32_e32 v11, 3, v52
	s_mov_b32 s18, exec_lo
	v_cmpx_gt_u32_e32 8, v52
; %bb.671:                              ;   in Loop: Header=BB296_545 Depth=1
	v_ffbh_u32_e32 v10, v10
	v_min_u32_e32 v52, 32, v10
	v_subrev_nc_u32_e32 v10, 28, v52
	v_lshlrev_b64 v[10:11], v10, v[2:3]
	v_sub_nc_u32_e32 v11, 29, v52
	v_and_b32_e32 v10, 7, v10
; %bb.672:                              ;   in Loop: Header=BB296_545 Depth=1
	s_or_b32 exec_lo, exec_lo, s18
	v_lshlrev_b32_e32 v2, 8, v2
	v_lshl_add_u32 v11, v11, 10, 0x2000
	v_lshlrev_b32_e32 v10, 23, v10
	v_and_or_b32 v2, 0x8000, v2, v11
	v_lshl_or_b32 v10, v2, 16, v10
.LBB296_673:                            ;   in Loop: Header=BB296_545 Depth=1
	s_or_b32 exec_lo, exec_lo, s17
.LBB296_674:                            ;   in Loop: Header=BB296_545 Depth=1
	s_or_b32 exec_lo, exec_lo, s13
.LBB296_675:                            ;   in Loop: Header=BB296_545 Depth=1
	s_or_b32 exec_lo, exec_lo, s12
	v_or_b32_e32 v2, v47, v48
	s_waitcnt vmcnt(0)
	v_fma_mixlo_f16 v11, v44, v47, 0 op_sel:[0,1,0] op_sel_hi:[0,1,0]
	v_or_b32_e32 v47, v45, v46
	v_fma_mixlo_f16 v45, v44, v45, 0 op_sel:[0,1,0] op_sel_hi:[0,1,0]
	v_or_b32_e32 v48, v51, v50
	v_or_b32_e32 v49, v10, v49
	v_fma_mixlo_f16 v50, v44, v2, 0 op_sel_hi:[0,1,0]
	v_fma_mixlo_f16 v10, v44, v10, 0 op_sel:[0,1,0] op_sel_hi:[0,1,0]
	v_lshlrev_b32_e32 v46, 16, v45
	v_fma_mixlo_f16 v45, v44, v47, 0 op_sel_hi:[0,1,0]
	v_fma_mixlo_f16 v47, v44, v51, 0 op_sel:[0,1,0] op_sel_hi:[0,1,0]
	v_fma_mixlo_f16 v48, v44, v48, 0 op_sel_hi:[0,1,0]
	v_fma_mixlo_f16 v49, v44, v49, 0 op_sel_hi:[0,1,0]
	v_lshlrev_b32_e32 v2, 16, v11
	v_and_b32_e32 v11, 0xffff, v50
	v_and_b32_e32 v52, 0xffff, v45
	v_lshlrev_b32_e32 v44, 16, v47
	v_and_b32_e32 v48, 0xffff, v48
	v_lshlrev_b32_e32 v10, 16, v10
	v_and_b32_e32 v45, 0xffff, v49
	v_or_b32_e32 v47, v2, v11
	v_or_b32_e32 v51, v46, v52
	;; [unrolled: 1-line block ×4, first 2 shown]
	s_and_saveexec_b32 s12, vcc_lo
	s_cbranch_execz .LBB296_677
; %bb.676:                              ;   in Loop: Header=BB296_545 Depth=1
	v_cmp_gt_i32_e64 s1, s27, v31
	v_cndmask_b32_e64 v47, 0, v52, s1
	v_cmp_gt_i32_e64 s1, s27, v37
	v_cndmask_b32_e64 v46, 0, v46, s1
	v_cmp_gt_i32_e64 s1, s27, v36
	v_or_b32_e32 v51, v46, v47
	v_cndmask_b32_e64 v11, 0, v11, s1
	v_cmp_gt_i32_e64 s1, s27, v35
	v_cndmask_b32_e64 v2, 0, v2, s1
	v_cmp_gt_i32_e64 s1, s27, v34
	v_or_b32_e32 v47, v2, v11
	;; [unrolled: 5-line block ×3, first 2 shown]
	v_cndmask_b32_e64 v45, 0, v45, s1
	v_cmp_gt_i32_e64 s1, s27, v15
	v_cndmask_b32_e64 v10, 0, v10, s1
	v_or_b32_e32 v49, v10, v45
.LBB296_677:                            ;   in Loop: Header=BB296_545 Depth=1
	s_or_b32 exec_lo, exec_lo, s12
	;;#ASMSTART
	v_pk_mul_f16 v2, v42, v51;

	;;#ASMEND
	;;#ASMSTART
	v_pk_mul_f16 v10, v40, v47;

	;;#ASMEND
	;; [unrolled: 4-line block ×4, first 2 shown]
	;;#ASMSTART
	v_pk_add_f16 v2, v2, v10;

	;;#ASMEND
	;;#ASMSTART
	v_pk_add_f16 v2, v2, v11;

	;;#ASMEND
	;; [unrolled: 4-line block ×3, first 2 shown]
	v_and_b32_e32 v10, 0xffff, v2
	v_lshrrev_b32_e32 v2, 16, v2
	;;#ASMSTART
	v_cvt_f32_f16 v44, v10;
	;;#ASMEND
	;;#ASMSTART
	v_cvt_f32_f16 v45, v2;
	;;#ASMEND
	global_load_dwordx2 v[10:11], v[8:9], off offset:512
	v_mov_b32_e32 v47, 0
	v_mov_b32_e32 v48, 0
	global_load_dword v46, v47, s[14:15]
	s_waitcnt vmcnt(1)
	v_cmp_ne_u16_sdwa s1, v10, v3 src0_sel:BYTE_0 src1_sel:DWORD
	s_and_saveexec_b32 s12, s1
	s_cbranch_execz .LBB296_685
; %bb.678:                              ;   in Loop: Header=BB296_545 Depth=1
	v_cmp_ne_u16_sdwa s1, v10, v27 src0_sel:BYTE_0 src1_sel:DWORD
	v_mov_b32_e32 v48, 0x8000
	s_and_saveexec_b32 s13, s1
	s_cbranch_execz .LBB296_684
; %bb.679:                              ;   in Loop: Header=BB296_545 Depth=1
	v_and_b32_e32 v49, 0x7f, v10
	v_mov_b32_e32 v48, 0x7c01
	s_mov_b32 s17, exec_lo
	v_cmpx_ne_u32_e32 0x7f, v49
	s_cbranch_execz .LBB296_683
; %bb.680:                              ;   in Loop: Header=BB296_545 Depth=1
	v_and_b32_e32 v2, 7, v10
	v_lshrrev_b32_e32 v48, 3, v49
	s_mov_b32 s18, exec_lo
	v_cmpx_gt_u32_e32 8, v49
; %bb.681:                              ;   in Loop: Header=BB296_545 Depth=1
	v_ffbh_u32_e32 v2, v2
	v_min_u32_e32 v2, 32, v2
	v_subrev_nc_u32_e32 v48, 28, v2
	v_lshlrev_b64 v[49:50], v48, v[10:11]
	v_sub_nc_u32_e32 v48, 29, v2
	v_and_b32_e32 v2, 7, v49
; %bb.682:                              ;   in Loop: Header=BB296_545 Depth=1
	s_or_b32 exec_lo, exec_lo, s18
	v_lshlrev_b32_e32 v49, 8, v10
	v_lshl_add_u32 v48, v48, 10, 0x2000
	v_lshlrev_b32_e32 v2, 7, v2
	v_and_b32_e32 v49, 0x8000, v49
	v_and_b32_e32 v48, 0xfc00, v48
	v_or3_b32 v48, v49, v48, v2
.LBB296_683:                            ;   in Loop: Header=BB296_545 Depth=1
	s_or_b32 exec_lo, exec_lo, s17
.LBB296_684:                            ;   in Loop: Header=BB296_545 Depth=1
	s_or_b32 exec_lo, exec_lo, s13
.LBB296_685:                            ;   in Loop: Header=BB296_545 Depth=1
	s_or_b32 exec_lo, exec_lo, s12
	v_lshrrev_b16 v2, 8, v10
	s_mov_b32 s12, exec_lo
	v_cmpx_ne_u16_e32 0, v2
	s_cbranch_execz .LBB296_693
; %bb.686:                              ;   in Loop: Header=BB296_545 Depth=1
	v_bfrev_b32_e32 v47, 1
	s_mov_b32 s13, exec_lo
	v_cmpx_ne_u16_e32 0x80, v2
	s_cbranch_execz .LBB296_692
; %bb.687:                              ;   in Loop: Header=BB296_545 Depth=1
	v_and_b32_sdwa v50, v2, v28 dst_sel:DWORD dst_unused:UNUSED_PAD src0_sel:WORD_0 src1_sel:DWORD
	v_mov_b32_e32 v47, 0x7c010000
	s_mov_b32 s17, exec_lo
	v_cmpx_ne_u32_e32 0x7f, v50
	s_cbranch_execz .LBB296_691
; %bb.688:                              ;   in Loop: Header=BB296_545 Depth=1
	v_and_b32_sdwa v47, v2, v29 dst_sel:DWORD dst_unused:UNUSED_PAD src0_sel:WORD_0 src1_sel:DWORD
	v_lshrrev_b32_e32 v49, 3, v50
	s_mov_b32 s18, exec_lo
	v_cmpx_gt_u32_e32 8, v50
; %bb.689:                              ;   in Loop: Header=BB296_545 Depth=1
	v_ffbh_u32_e32 v47, v47
	v_min_u32_e32 v47, 32, v47
	v_subrev_nc_u32_e32 v49, 28, v47
	v_lshlrev_b64 v[50:51], v49, v[2:3]
	v_sub_nc_u32_e32 v49, 29, v47
	v_and_b32_e32 v47, 7, v50
; %bb.690:                              ;   in Loop: Header=BB296_545 Depth=1
	s_or_b32 exec_lo, exec_lo, s18
	v_lshlrev_b32_sdwa v2, v30, v2 dst_sel:DWORD dst_unused:UNUSED_PAD src0_sel:DWORD src1_sel:WORD_0
	v_lshl_add_u32 v49, v49, 10, 0x2000
	v_lshlrev_b32_e32 v47, 23, v47
	v_and_or_b32 v2, 0x8000, v2, v49
	v_lshl_or_b32 v47, v2, 16, v47
.LBB296_691:                            ;   in Loop: Header=BB296_545 Depth=1
	s_or_b32 exec_lo, exec_lo, s17
.LBB296_692:                            ;   in Loop: Header=BB296_545 Depth=1
	s_or_b32 exec_lo, exec_lo, s13
.LBB296_693:                            ;   in Loop: Header=BB296_545 Depth=1
	s_or_b32 exec_lo, exec_lo, s12
	v_lshrrev_b32_e32 v2, 16, v10
	v_mov_b32_e32 v49, 0
	v_mov_b32_e32 v50, 0
	v_cmp_ne_u16_sdwa s1, v2, v3 src0_sel:BYTE_0 src1_sel:DWORD
	s_and_saveexec_b32 s12, s1
	s_cbranch_execz .LBB296_701
; %bb.694:                              ;   in Loop: Header=BB296_545 Depth=1
	v_cmp_ne_u16_sdwa s1, v2, v27 src0_sel:BYTE_0 src1_sel:DWORD
	v_mov_b32_e32 v50, 0x8000
	s_and_saveexec_b32 s13, s1
	s_cbranch_execz .LBB296_700
; %bb.695:                              ;   in Loop: Header=BB296_545 Depth=1
	v_bfe_u32 v52, v10, 16, 7
	v_mov_b32_e32 v50, 0x7c01
	s_mov_b32 s17, exec_lo
	v_cmpx_ne_u32_e32 0x7f, v52
	s_cbranch_execz .LBB296_699
; %bb.696:                              ;   in Loop: Header=BB296_545 Depth=1
	v_and_b32_e32 v50, 7, v2
	v_lshrrev_b32_e32 v51, 3, v52
	s_mov_b32 s18, exec_lo
	v_cmpx_gt_u32_e32 8, v52
; %bb.697:                              ;   in Loop: Header=BB296_545 Depth=1
	v_ffbh_u32_e32 v50, v50
	v_min_u32_e32 v52, 32, v50
	v_subrev_nc_u32_e32 v50, 28, v52
	v_lshlrev_b64 v[50:51], v50, v[2:3]
	v_sub_nc_u32_e32 v51, 29, v52
	v_and_b32_e32 v50, 7, v50
; %bb.698:                              ;   in Loop: Header=BB296_545 Depth=1
	s_or_b32 exec_lo, exec_lo, s18
	v_lshlrev_b32_e32 v2, 8, v2
	v_lshl_add_u32 v51, v51, 10, 0x2000
	v_lshlrev_b32_e32 v50, 7, v50
	v_and_b32_e32 v2, 0x8000, v2
	v_and_b32_e32 v51, 0xfc00, v51
	v_or3_b32 v50, v2, v51, v50
.LBB296_699:                            ;   in Loop: Header=BB296_545 Depth=1
	s_or_b32 exec_lo, exec_lo, s17
.LBB296_700:                            ;   in Loop: Header=BB296_545 Depth=1
	s_or_b32 exec_lo, exec_lo, s13
.LBB296_701:                            ;   in Loop: Header=BB296_545 Depth=1
	s_or_b32 exec_lo, exec_lo, s12
	s_mov_b32 s12, exec_lo
	v_cmpx_lt_u32_e32 0xffffff, v10
	s_cbranch_execz .LBB296_709
; %bb.702:                              ;   in Loop: Header=BB296_545 Depth=1
	v_lshrrev_b32_e32 v2, 24, v10
	v_bfrev_b32_e32 v49, 1
	s_mov_b32 s13, exec_lo
	v_cmpx_ne_u32_e32 0x80, v2
	s_cbranch_execz .LBB296_708
; %bb.703:                              ;   in Loop: Header=BB296_545 Depth=1
	v_and_b32_e32 v52, 0x7f, v2
	v_mov_b32_e32 v49, 0x7c010000
	s_mov_b32 s17, exec_lo
	v_cmpx_ne_u32_e32 0x7f, v52
	s_cbranch_execz .LBB296_707
; %bb.704:                              ;   in Loop: Header=BB296_545 Depth=1
	v_and_b32_e32 v49, 7, v2
	v_lshrrev_b32_e32 v51, 3, v52
	s_mov_b32 s18, exec_lo
	v_cmpx_gt_u32_e32 8, v52
; %bb.705:                              ;   in Loop: Header=BB296_545 Depth=1
	v_ffbh_u32_e32 v49, v49
	v_min_u32_e32 v49, 32, v49
	v_subrev_nc_u32_e32 v51, 28, v49
	v_lshlrev_b64 v[52:53], v51, v[2:3]
	v_sub_nc_u32_e32 v51, 29, v49
	v_and_b32_e32 v49, 7, v52
; %bb.706:                              ;   in Loop: Header=BB296_545 Depth=1
	s_or_b32 exec_lo, exec_lo, s18
	v_lshlrev_b32_e32 v2, 8, v2
	v_lshl_add_u32 v51, v51, 10, 0x2000
	v_lshlrev_b32_e32 v49, 23, v49
	v_and_or_b32 v2, 0x8000, v2, v51
	v_lshl_or_b32 v49, v2, 16, v49
.LBB296_707:                            ;   in Loop: Header=BB296_545 Depth=1
	s_or_b32 exec_lo, exec_lo, s17
.LBB296_708:                            ;   in Loop: Header=BB296_545 Depth=1
	s_or_b32 exec_lo, exec_lo, s13
.LBB296_709:                            ;   in Loop: Header=BB296_545 Depth=1
	s_or_b32 exec_lo, exec_lo, s12
	v_mov_b32_e32 v2, v11
	v_cmp_ne_u16_sdwa s1, v11, v3 src0_sel:BYTE_0 src1_sel:DWORD
	v_mov_b32_e32 v51, 0
	v_mov_b32_e32 v52, 0
	s_and_saveexec_b32 s12, s1
	s_cbranch_execz .LBB296_717
; %bb.710:                              ;   in Loop: Header=BB296_545 Depth=1
	v_cmp_ne_u16_sdwa s1, v11, v27 src0_sel:BYTE_0 src1_sel:DWORD
	v_mov_b32_e32 v52, 0x8000
	s_and_saveexec_b32 s13, s1
	s_cbranch_execz .LBB296_716
; %bb.711:                              ;   in Loop: Header=BB296_545 Depth=1
	v_and_b32_e32 v54, 0x7f, v11
	v_mov_b32_e32 v52, 0x7c01
	s_mov_b32 s17, exec_lo
	v_cmpx_ne_u32_e32 0x7f, v54
	s_cbranch_execz .LBB296_715
; %bb.712:                              ;   in Loop: Header=BB296_545 Depth=1
	v_and_b32_e32 v52, 7, v11
	v_lshrrev_b32_e32 v53, 3, v54
	s_mov_b32 s18, exec_lo
	v_cmpx_gt_u32_e32 8, v54
; %bb.713:                              ;   in Loop: Header=BB296_545 Depth=1
	v_ffbh_u32_e32 v52, v52
	v_min_u32_e32 v54, 32, v52
	v_subrev_nc_u32_e32 v52, 28, v54
	v_lshlrev_b64 v[52:53], v52, v[2:3]
	v_sub_nc_u32_e32 v53, 29, v54
	v_and_b32_e32 v52, 7, v52
; %bb.714:                              ;   in Loop: Header=BB296_545 Depth=1
	s_or_b32 exec_lo, exec_lo, s18
	v_lshlrev_b32_e32 v54, 8, v11
	v_lshl_add_u32 v53, v53, 10, 0x2000
	v_lshlrev_b32_e32 v52, 7, v52
	v_and_b32_e32 v54, 0x8000, v54
	v_and_b32_e32 v53, 0xfc00, v53
	v_or3_b32 v52, v54, v53, v52
.LBB296_715:                            ;   in Loop: Header=BB296_545 Depth=1
	s_or_b32 exec_lo, exec_lo, s17
.LBB296_716:                            ;   in Loop: Header=BB296_545 Depth=1
	s_or_b32 exec_lo, exec_lo, s13
.LBB296_717:                            ;   in Loop: Header=BB296_545 Depth=1
	s_or_b32 exec_lo, exec_lo, s12
	v_lshrrev_b16 v2, 8, v2
	v_mov_b32_e32 v53, 0
	s_mov_b32 s12, exec_lo
	v_cmpx_ne_u16_e32 0, v2
	s_cbranch_execz .LBB296_725
; %bb.718:                              ;   in Loop: Header=BB296_545 Depth=1
	v_bfrev_b32_e32 v53, 1
	s_mov_b32 s13, exec_lo
	v_cmpx_ne_u16_e32 0x80, v2
	s_cbranch_execz .LBB296_724
; %bb.719:                              ;   in Loop: Header=BB296_545 Depth=1
	v_and_b32_sdwa v55, v2, v28 dst_sel:DWORD dst_unused:UNUSED_PAD src0_sel:WORD_0 src1_sel:DWORD
	v_mov_b32_e32 v53, 0x7c010000
	s_mov_b32 s17, exec_lo
	v_cmpx_ne_u32_e32 0x7f, v55
	s_cbranch_execz .LBB296_723
; %bb.720:                              ;   in Loop: Header=BB296_545 Depth=1
	v_and_b32_sdwa v53, v2, v29 dst_sel:DWORD dst_unused:UNUSED_PAD src0_sel:WORD_0 src1_sel:DWORD
	v_lshrrev_b32_e32 v54, 3, v55
	s_mov_b32 s18, exec_lo
	v_cmpx_gt_u32_e32 8, v55
; %bb.721:                              ;   in Loop: Header=BB296_545 Depth=1
	v_ffbh_u32_e32 v53, v53
	v_min_u32_e32 v55, 32, v53
	v_subrev_nc_u32_e32 v53, 28, v55
	v_lshlrev_b64 v[53:54], v53, v[2:3]
	v_sub_nc_u32_e32 v54, 29, v55
	v_and_b32_e32 v53, 7, v53
; %bb.722:                              ;   in Loop: Header=BB296_545 Depth=1
	s_or_b32 exec_lo, exec_lo, s18
	v_lshlrev_b32_sdwa v2, v30, v2 dst_sel:DWORD dst_unused:UNUSED_PAD src0_sel:DWORD src1_sel:WORD_0
	v_lshl_add_u32 v54, v54, 10, 0x2000
	v_lshlrev_b32_e32 v53, 23, v53
	v_and_or_b32 v2, 0x8000, v2, v54
	v_lshl_or_b32 v53, v2, 16, v53
.LBB296_723:                            ;   in Loop: Header=BB296_545 Depth=1
	s_or_b32 exec_lo, exec_lo, s17
.LBB296_724:                            ;   in Loop: Header=BB296_545 Depth=1
	s_or_b32 exec_lo, exec_lo, s13
.LBB296_725:                            ;   in Loop: Header=BB296_545 Depth=1
	s_or_b32 exec_lo, exec_lo, s12
	v_lshrrev_b32_e32 v2, 16, v11
	v_cmp_ne_u16_sdwa s1, v2, v3 src0_sel:BYTE_0 src1_sel:DWORD
	s_and_saveexec_b32 s12, s1
	s_cbranch_execz .LBB296_733
; %bb.726:                              ;   in Loop: Header=BB296_545 Depth=1
	v_cmp_ne_u16_sdwa s1, v2, v27 src0_sel:BYTE_0 src1_sel:DWORD
	v_mov_b32_e32 v51, 0x8000
	s_and_saveexec_b32 s13, s1
	s_cbranch_execz .LBB296_732
; %bb.727:                              ;   in Loop: Header=BB296_545 Depth=1
	v_bfe_u32 v55, v11, 16, 7
	v_mov_b32_e32 v51, 0x7c01
	s_mov_b32 s17, exec_lo
	v_cmpx_ne_u32_e32 0x7f, v55
	s_cbranch_execz .LBB296_731
; %bb.728:                              ;   in Loop: Header=BB296_545 Depth=1
	v_and_b32_e32 v51, 7, v2
	v_lshrrev_b32_e32 v54, 3, v55
	s_mov_b32 s18, exec_lo
	v_cmpx_gt_u32_e32 8, v55
; %bb.729:                              ;   in Loop: Header=BB296_545 Depth=1
	v_ffbh_u32_e32 v51, v51
	v_min_u32_e32 v51, 32, v51
	v_subrev_nc_u32_e32 v54, 28, v51
	v_lshlrev_b64 v[55:56], v54, v[2:3]
	v_sub_nc_u32_e32 v54, 29, v51
	v_and_b32_e32 v51, 7, v55
; %bb.730:                              ;   in Loop: Header=BB296_545 Depth=1
	s_or_b32 exec_lo, exec_lo, s18
	v_lshlrev_b32_e32 v2, 8, v2
	v_lshl_add_u32 v54, v54, 10, 0x2000
	v_lshlrev_b32_e32 v51, 7, v51
	v_and_b32_e32 v2, 0x8000, v2
	v_and_b32_e32 v54, 0xfc00, v54
	v_or3_b32 v51, v2, v54, v51
.LBB296_731:                            ;   in Loop: Header=BB296_545 Depth=1
	s_or_b32 exec_lo, exec_lo, s17
.LBB296_732:                            ;   in Loop: Header=BB296_545 Depth=1
	s_or_b32 exec_lo, exec_lo, s13
.LBB296_733:                            ;   in Loop: Header=BB296_545 Depth=1
	s_or_b32 exec_lo, exec_lo, s12
	v_cmp_lt_u64_e64 s1, s[4:5], v[10:11]
	v_mov_b32_e32 v10, 0
	s_and_saveexec_b32 s12, s1
	s_cbranch_execz .LBB296_741
; %bb.734:                              ;   in Loop: Header=BB296_545 Depth=1
	v_lshrrev_b32_e32 v2, 24, v11
	v_bfrev_b32_e32 v10, 1
	s_mov_b32 s13, exec_lo
	v_cmpx_ne_u32_e32 0x80, v2
	s_cbranch_execz .LBB296_740
; %bb.735:                              ;   in Loop: Header=BB296_545 Depth=1
	v_and_b32_e32 v54, 0x7f, v2
	v_mov_b32_e32 v10, 0x7c010000
	s_mov_b32 s17, exec_lo
	v_cmpx_ne_u32_e32 0x7f, v54
	s_cbranch_execz .LBB296_739
; %bb.736:                              ;   in Loop: Header=BB296_545 Depth=1
	v_and_b32_e32 v10, 7, v2
	v_lshrrev_b32_e32 v11, 3, v54
	s_mov_b32 s18, exec_lo
	v_cmpx_gt_u32_e32 8, v54
; %bb.737:                              ;   in Loop: Header=BB296_545 Depth=1
	v_ffbh_u32_e32 v10, v10
	v_min_u32_e32 v54, 32, v10
	v_subrev_nc_u32_e32 v10, 28, v54
	v_lshlrev_b64 v[10:11], v10, v[2:3]
	v_sub_nc_u32_e32 v11, 29, v54
	v_and_b32_e32 v10, 7, v10
; %bb.738:                              ;   in Loop: Header=BB296_545 Depth=1
	s_or_b32 exec_lo, exec_lo, s18
	v_lshlrev_b32_e32 v2, 8, v2
	v_lshl_add_u32 v11, v11, 10, 0x2000
	v_lshlrev_b32_e32 v10, 23, v10
	v_and_or_b32 v2, 0x8000, v2, v11
	v_lshl_or_b32 v10, v2, 16, v10
.LBB296_739:                            ;   in Loop: Header=BB296_545 Depth=1
	s_or_b32 exec_lo, exec_lo, s17
.LBB296_740:                            ;   in Loop: Header=BB296_545 Depth=1
	s_or_b32 exec_lo, exec_lo, s13
.LBB296_741:                            ;   in Loop: Header=BB296_545 Depth=1
	s_or_b32 exec_lo, exec_lo, s12
	v_or_b32_e32 v2, v49, v50
	s_waitcnt vmcnt(0)
	v_fma_mixlo_f16 v11, v46, v49, 0 op_sel:[0,1,0] op_sel_hi:[0,1,0]
	v_or_b32_e32 v49, v47, v48
	v_fma_mixlo_f16 v47, v46, v47, 0 op_sel:[0,1,0] op_sel_hi:[0,1,0]
	v_or_b32_e32 v50, v53, v52
	v_or_b32_e32 v51, v10, v51
	v_fma_mixlo_f16 v52, v46, v2, 0 op_sel_hi:[0,1,0]
	v_fma_mixlo_f16 v10, v46, v10, 0 op_sel:[0,1,0] op_sel_hi:[0,1,0]
	v_lshlrev_b32_e32 v48, 16, v47
	v_fma_mixlo_f16 v47, v46, v49, 0 op_sel_hi:[0,1,0]
	v_fma_mixlo_f16 v49, v46, v53, 0 op_sel:[0,1,0] op_sel_hi:[0,1,0]
	v_fma_mixlo_f16 v50, v46, v50, 0 op_sel_hi:[0,1,0]
	v_fma_mixlo_f16 v51, v46, v51, 0 op_sel_hi:[0,1,0]
	v_lshlrev_b32_e32 v2, 16, v11
	v_and_b32_e32 v11, 0xffff, v52
	v_and_b32_e32 v54, 0xffff, v47
	v_lshlrev_b32_e32 v46, 16, v49
	v_and_b32_e32 v50, 0xffff, v50
	v_lshlrev_b32_e32 v10, 16, v10
	v_and_b32_e32 v47, 0xffff, v51
	v_or_b32_e32 v49, v2, v11
	v_or_b32_e32 v53, v48, v54
	;; [unrolled: 1-line block ×4, first 2 shown]
	s_and_saveexec_b32 s12, vcc_lo
	s_cbranch_execz .LBB296_743
; %bb.742:                              ;   in Loop: Header=BB296_545 Depth=1
	v_cmp_gt_i32_e64 s1, s27, v31
	v_cndmask_b32_e64 v49, 0, v54, s1
	v_cmp_gt_i32_e64 s1, s27, v37
	v_cndmask_b32_e64 v48, 0, v48, s1
	v_cmp_gt_i32_e64 s1, s27, v36
	v_or_b32_e32 v53, v48, v49
	v_cndmask_b32_e64 v11, 0, v11, s1
	v_cmp_gt_i32_e64 s1, s27, v35
	v_cndmask_b32_e64 v2, 0, v2, s1
	v_cmp_gt_i32_e64 s1, s27, v34
	v_or_b32_e32 v49, v2, v11
	;; [unrolled: 5-line block ×3, first 2 shown]
	v_cndmask_b32_e64 v47, 0, v47, s1
	v_cmp_gt_i32_e64 s1, s27, v15
	v_cndmask_b32_e64 v10, 0, v10, s1
	v_or_b32_e32 v51, v10, v47
.LBB296_743:                            ;   in Loop: Header=BB296_545 Depth=1
	s_or_b32 exec_lo, exec_lo, s12
	;;#ASMSTART
	v_pk_mul_f16 v2, v42, v53;

	;;#ASMEND
	;;#ASMSTART
	v_pk_mul_f16 v10, v40, v49;

	;;#ASMEND
	;; [unrolled: 4-line block ×4, first 2 shown]
	;;#ASMSTART
	v_pk_add_f16 v2, v2, v10;

	;;#ASMEND
	;;#ASMSTART
	v_pk_add_f16 v2, v2, v11;

	;;#ASMEND
	;; [unrolled: 4-line block ×3, first 2 shown]
	v_and_b32_e32 v10, 0xffff, v2
	v_lshrrev_b32_e32 v2, 16, v2
	;;#ASMSTART
	v_cvt_f32_f16 v46, v10;
	;;#ASMEND
	;;#ASMSTART
	v_cvt_f32_f16 v47, v2;
	;;#ASMEND
	global_load_dwordx2 v[10:11], v[8:9], off offset:768
	v_mov_b32_e32 v49, 0
	v_mov_b32_e32 v50, 0
	global_load_dword v48, v49, s[14:15]
	s_waitcnt vmcnt(1)
	v_cmp_ne_u16_sdwa s1, v10, v3 src0_sel:BYTE_0 src1_sel:DWORD
	s_and_saveexec_b32 s12, s1
	s_cbranch_execz .LBB296_751
; %bb.744:                              ;   in Loop: Header=BB296_545 Depth=1
	v_cmp_ne_u16_sdwa s1, v10, v27 src0_sel:BYTE_0 src1_sel:DWORD
	v_mov_b32_e32 v50, 0x8000
	s_and_saveexec_b32 s13, s1
	s_cbranch_execz .LBB296_750
; %bb.745:                              ;   in Loop: Header=BB296_545 Depth=1
	v_and_b32_e32 v51, 0x7f, v10
	v_mov_b32_e32 v50, 0x7c01
	s_mov_b32 s17, exec_lo
	v_cmpx_ne_u32_e32 0x7f, v51
	s_cbranch_execz .LBB296_749
; %bb.746:                              ;   in Loop: Header=BB296_545 Depth=1
	v_and_b32_e32 v2, 7, v10
	v_lshrrev_b32_e32 v50, 3, v51
	s_mov_b32 s18, exec_lo
	v_cmpx_gt_u32_e32 8, v51
; %bb.747:                              ;   in Loop: Header=BB296_545 Depth=1
	v_ffbh_u32_e32 v2, v2
	v_min_u32_e32 v2, 32, v2
	v_subrev_nc_u32_e32 v50, 28, v2
	v_lshlrev_b64 v[51:52], v50, v[10:11]
	v_sub_nc_u32_e32 v50, 29, v2
	v_and_b32_e32 v2, 7, v51
; %bb.748:                              ;   in Loop: Header=BB296_545 Depth=1
	s_or_b32 exec_lo, exec_lo, s18
	v_lshlrev_b32_e32 v51, 8, v10
	v_lshl_add_u32 v50, v50, 10, 0x2000
	v_lshlrev_b32_e32 v2, 7, v2
	v_and_b32_e32 v51, 0x8000, v51
	v_and_b32_e32 v50, 0xfc00, v50
	v_or3_b32 v50, v51, v50, v2
.LBB296_749:                            ;   in Loop: Header=BB296_545 Depth=1
	s_or_b32 exec_lo, exec_lo, s17
.LBB296_750:                            ;   in Loop: Header=BB296_545 Depth=1
	s_or_b32 exec_lo, exec_lo, s13
.LBB296_751:                            ;   in Loop: Header=BB296_545 Depth=1
	s_or_b32 exec_lo, exec_lo, s12
	v_lshrrev_b16 v2, 8, v10
	s_mov_b32 s12, exec_lo
	v_cmpx_ne_u16_e32 0, v2
	s_cbranch_execz .LBB296_759
; %bb.752:                              ;   in Loop: Header=BB296_545 Depth=1
	v_bfrev_b32_e32 v49, 1
	s_mov_b32 s13, exec_lo
	v_cmpx_ne_u16_e32 0x80, v2
	s_cbranch_execz .LBB296_758
; %bb.753:                              ;   in Loop: Header=BB296_545 Depth=1
	v_and_b32_sdwa v52, v2, v28 dst_sel:DWORD dst_unused:UNUSED_PAD src0_sel:WORD_0 src1_sel:DWORD
	v_mov_b32_e32 v49, 0x7c010000
	s_mov_b32 s17, exec_lo
	v_cmpx_ne_u32_e32 0x7f, v52
	s_cbranch_execz .LBB296_757
; %bb.754:                              ;   in Loop: Header=BB296_545 Depth=1
	v_and_b32_sdwa v49, v2, v29 dst_sel:DWORD dst_unused:UNUSED_PAD src0_sel:WORD_0 src1_sel:DWORD
	v_lshrrev_b32_e32 v51, 3, v52
	s_mov_b32 s18, exec_lo
	v_cmpx_gt_u32_e32 8, v52
; %bb.755:                              ;   in Loop: Header=BB296_545 Depth=1
	v_ffbh_u32_e32 v49, v49
	v_min_u32_e32 v49, 32, v49
	v_subrev_nc_u32_e32 v51, 28, v49
	v_lshlrev_b64 v[52:53], v51, v[2:3]
	v_sub_nc_u32_e32 v51, 29, v49
	v_and_b32_e32 v49, 7, v52
; %bb.756:                              ;   in Loop: Header=BB296_545 Depth=1
	s_or_b32 exec_lo, exec_lo, s18
	v_lshlrev_b32_sdwa v2, v30, v2 dst_sel:DWORD dst_unused:UNUSED_PAD src0_sel:DWORD src1_sel:WORD_0
	v_lshl_add_u32 v51, v51, 10, 0x2000
	v_lshlrev_b32_e32 v49, 23, v49
	v_and_or_b32 v2, 0x8000, v2, v51
	v_lshl_or_b32 v49, v2, 16, v49
.LBB296_757:                            ;   in Loop: Header=BB296_545 Depth=1
	s_or_b32 exec_lo, exec_lo, s17
.LBB296_758:                            ;   in Loop: Header=BB296_545 Depth=1
	s_or_b32 exec_lo, exec_lo, s13
.LBB296_759:                            ;   in Loop: Header=BB296_545 Depth=1
	s_or_b32 exec_lo, exec_lo, s12
	v_lshrrev_b32_e32 v2, 16, v10
	v_mov_b32_e32 v51, 0
	v_mov_b32_e32 v52, 0
	v_cmp_ne_u16_sdwa s1, v2, v3 src0_sel:BYTE_0 src1_sel:DWORD
	s_and_saveexec_b32 s12, s1
	s_cbranch_execz .LBB296_767
; %bb.760:                              ;   in Loop: Header=BB296_545 Depth=1
	v_cmp_ne_u16_sdwa s1, v2, v27 src0_sel:BYTE_0 src1_sel:DWORD
	v_mov_b32_e32 v52, 0x8000
	s_and_saveexec_b32 s13, s1
	s_cbranch_execz .LBB296_766
; %bb.761:                              ;   in Loop: Header=BB296_545 Depth=1
	v_bfe_u32 v54, v10, 16, 7
	v_mov_b32_e32 v52, 0x7c01
	s_mov_b32 s17, exec_lo
	v_cmpx_ne_u32_e32 0x7f, v54
	s_cbranch_execz .LBB296_765
; %bb.762:                              ;   in Loop: Header=BB296_545 Depth=1
	v_and_b32_e32 v52, 7, v2
	v_lshrrev_b32_e32 v53, 3, v54
	s_mov_b32 s18, exec_lo
	v_cmpx_gt_u32_e32 8, v54
; %bb.763:                              ;   in Loop: Header=BB296_545 Depth=1
	v_ffbh_u32_e32 v52, v52
	v_min_u32_e32 v54, 32, v52
	v_subrev_nc_u32_e32 v52, 28, v54
	v_lshlrev_b64 v[52:53], v52, v[2:3]
	v_sub_nc_u32_e32 v53, 29, v54
	v_and_b32_e32 v52, 7, v52
; %bb.764:                              ;   in Loop: Header=BB296_545 Depth=1
	s_or_b32 exec_lo, exec_lo, s18
	v_lshlrev_b32_e32 v2, 8, v2
	v_lshl_add_u32 v53, v53, 10, 0x2000
	v_lshlrev_b32_e32 v52, 7, v52
	v_and_b32_e32 v2, 0x8000, v2
	v_and_b32_e32 v53, 0xfc00, v53
	v_or3_b32 v52, v2, v53, v52
.LBB296_765:                            ;   in Loop: Header=BB296_545 Depth=1
	s_or_b32 exec_lo, exec_lo, s17
.LBB296_766:                            ;   in Loop: Header=BB296_545 Depth=1
	s_or_b32 exec_lo, exec_lo, s13
.LBB296_767:                            ;   in Loop: Header=BB296_545 Depth=1
	s_or_b32 exec_lo, exec_lo, s12
	s_mov_b32 s12, exec_lo
	v_cmpx_lt_u32_e32 0xffffff, v10
	s_cbranch_execz .LBB296_775
; %bb.768:                              ;   in Loop: Header=BB296_545 Depth=1
	v_lshrrev_b32_e32 v2, 24, v10
	v_bfrev_b32_e32 v51, 1
	s_mov_b32 s13, exec_lo
	v_cmpx_ne_u32_e32 0x80, v2
	s_cbranch_execz .LBB296_774
; %bb.769:                              ;   in Loop: Header=BB296_545 Depth=1
	v_and_b32_e32 v54, 0x7f, v2
	v_mov_b32_e32 v51, 0x7c010000
	s_mov_b32 s17, exec_lo
	v_cmpx_ne_u32_e32 0x7f, v54
	s_cbranch_execz .LBB296_773
; %bb.770:                              ;   in Loop: Header=BB296_545 Depth=1
	v_and_b32_e32 v51, 7, v2
	v_lshrrev_b32_e32 v53, 3, v54
	s_mov_b32 s18, exec_lo
	v_cmpx_gt_u32_e32 8, v54
; %bb.771:                              ;   in Loop: Header=BB296_545 Depth=1
	v_ffbh_u32_e32 v51, v51
	v_min_u32_e32 v51, 32, v51
	v_subrev_nc_u32_e32 v53, 28, v51
	v_lshlrev_b64 v[54:55], v53, v[2:3]
	v_sub_nc_u32_e32 v53, 29, v51
	v_and_b32_e32 v51, 7, v54
; %bb.772:                              ;   in Loop: Header=BB296_545 Depth=1
	s_or_b32 exec_lo, exec_lo, s18
	v_lshlrev_b32_e32 v2, 8, v2
	v_lshl_add_u32 v53, v53, 10, 0x2000
	v_lshlrev_b32_e32 v51, 23, v51
	v_and_or_b32 v2, 0x8000, v2, v53
	v_lshl_or_b32 v51, v2, 16, v51
.LBB296_773:                            ;   in Loop: Header=BB296_545 Depth=1
	s_or_b32 exec_lo, exec_lo, s17
.LBB296_774:                            ;   in Loop: Header=BB296_545 Depth=1
	s_or_b32 exec_lo, exec_lo, s13
.LBB296_775:                            ;   in Loop: Header=BB296_545 Depth=1
	s_or_b32 exec_lo, exec_lo, s12
	v_mov_b32_e32 v2, v11
	v_cmp_ne_u16_sdwa s1, v11, v3 src0_sel:BYTE_0 src1_sel:DWORD
	v_mov_b32_e32 v53, 0
	v_mov_b32_e32 v54, 0
	s_and_saveexec_b32 s12, s1
	s_cbranch_execz .LBB296_783
; %bb.776:                              ;   in Loop: Header=BB296_545 Depth=1
	v_cmp_ne_u16_sdwa s1, v11, v27 src0_sel:BYTE_0 src1_sel:DWORD
	v_mov_b32_e32 v54, 0x8000
	s_and_saveexec_b32 s13, s1
	s_cbranch_execz .LBB296_782
; %bb.777:                              ;   in Loop: Header=BB296_545 Depth=1
	v_and_b32_e32 v56, 0x7f, v11
	v_mov_b32_e32 v54, 0x7c01
	s_mov_b32 s17, exec_lo
	v_cmpx_ne_u32_e32 0x7f, v56
	s_cbranch_execz .LBB296_781
; %bb.778:                              ;   in Loop: Header=BB296_545 Depth=1
	v_and_b32_e32 v54, 7, v11
	v_lshrrev_b32_e32 v55, 3, v56
	s_mov_b32 s18, exec_lo
	v_cmpx_gt_u32_e32 8, v56
; %bb.779:                              ;   in Loop: Header=BB296_545 Depth=1
	v_ffbh_u32_e32 v54, v54
	v_min_u32_e32 v56, 32, v54
	v_subrev_nc_u32_e32 v54, 28, v56
	v_lshlrev_b64 v[54:55], v54, v[2:3]
	v_sub_nc_u32_e32 v55, 29, v56
	v_and_b32_e32 v54, 7, v54
; %bb.780:                              ;   in Loop: Header=BB296_545 Depth=1
	s_or_b32 exec_lo, exec_lo, s18
	v_lshlrev_b32_e32 v56, 8, v11
	v_lshl_add_u32 v55, v55, 10, 0x2000
	v_lshlrev_b32_e32 v54, 7, v54
	v_and_b32_e32 v56, 0x8000, v56
	v_and_b32_e32 v55, 0xfc00, v55
	v_or3_b32 v54, v56, v55, v54
.LBB296_781:                            ;   in Loop: Header=BB296_545 Depth=1
	s_or_b32 exec_lo, exec_lo, s17
.LBB296_782:                            ;   in Loop: Header=BB296_545 Depth=1
	s_or_b32 exec_lo, exec_lo, s13
.LBB296_783:                            ;   in Loop: Header=BB296_545 Depth=1
	s_or_b32 exec_lo, exec_lo, s12
	v_lshrrev_b16 v2, 8, v2
	v_mov_b32_e32 v55, 0
	s_mov_b32 s12, exec_lo
	v_cmpx_ne_u16_e32 0, v2
	s_cbranch_execz .LBB296_791
; %bb.784:                              ;   in Loop: Header=BB296_545 Depth=1
	v_bfrev_b32_e32 v55, 1
	s_mov_b32 s13, exec_lo
	v_cmpx_ne_u16_e32 0x80, v2
	s_cbranch_execz .LBB296_790
; %bb.785:                              ;   in Loop: Header=BB296_545 Depth=1
	v_and_b32_sdwa v57, v2, v28 dst_sel:DWORD dst_unused:UNUSED_PAD src0_sel:WORD_0 src1_sel:DWORD
	v_mov_b32_e32 v55, 0x7c010000
	s_mov_b32 s17, exec_lo
	v_cmpx_ne_u32_e32 0x7f, v57
	s_cbranch_execz .LBB296_789
; %bb.786:                              ;   in Loop: Header=BB296_545 Depth=1
	v_and_b32_sdwa v55, v2, v29 dst_sel:DWORD dst_unused:UNUSED_PAD src0_sel:WORD_0 src1_sel:DWORD
	v_lshrrev_b32_e32 v56, 3, v57
	s_mov_b32 s18, exec_lo
	v_cmpx_gt_u32_e32 8, v57
; %bb.787:                              ;   in Loop: Header=BB296_545 Depth=1
	v_ffbh_u32_e32 v55, v55
	v_min_u32_e32 v57, 32, v55
	v_subrev_nc_u32_e32 v55, 28, v57
	v_lshlrev_b64 v[55:56], v55, v[2:3]
	v_sub_nc_u32_e32 v56, 29, v57
	v_and_b32_e32 v55, 7, v55
; %bb.788:                              ;   in Loop: Header=BB296_545 Depth=1
	s_or_b32 exec_lo, exec_lo, s18
	v_lshlrev_b32_sdwa v2, v30, v2 dst_sel:DWORD dst_unused:UNUSED_PAD src0_sel:DWORD src1_sel:WORD_0
	v_lshl_add_u32 v56, v56, 10, 0x2000
	v_lshlrev_b32_e32 v55, 23, v55
	v_and_or_b32 v2, 0x8000, v2, v56
	v_lshl_or_b32 v55, v2, 16, v55
.LBB296_789:                            ;   in Loop: Header=BB296_545 Depth=1
	s_or_b32 exec_lo, exec_lo, s17
.LBB296_790:                            ;   in Loop: Header=BB296_545 Depth=1
	s_or_b32 exec_lo, exec_lo, s13
.LBB296_791:                            ;   in Loop: Header=BB296_545 Depth=1
	s_or_b32 exec_lo, exec_lo, s12
	v_lshrrev_b32_e32 v2, 16, v11
	v_cmp_ne_u16_sdwa s1, v2, v3 src0_sel:BYTE_0 src1_sel:DWORD
	s_and_saveexec_b32 s12, s1
	s_cbranch_execz .LBB296_799
; %bb.792:                              ;   in Loop: Header=BB296_545 Depth=1
	v_cmp_ne_u16_sdwa s1, v2, v27 src0_sel:BYTE_0 src1_sel:DWORD
	v_mov_b32_e32 v53, 0x8000
	s_and_saveexec_b32 s13, s1
	s_cbranch_execz .LBB296_798
; %bb.793:                              ;   in Loop: Header=BB296_545 Depth=1
	v_bfe_u32 v57, v11, 16, 7
	v_mov_b32_e32 v53, 0x7c01
	s_mov_b32 s17, exec_lo
	v_cmpx_ne_u32_e32 0x7f, v57
	s_cbranch_execz .LBB296_797
; %bb.794:                              ;   in Loop: Header=BB296_545 Depth=1
	v_and_b32_e32 v53, 7, v2
	v_lshrrev_b32_e32 v56, 3, v57
	s_mov_b32 s18, exec_lo
	v_cmpx_gt_u32_e32 8, v57
; %bb.795:                              ;   in Loop: Header=BB296_545 Depth=1
	v_ffbh_u32_e32 v53, v53
	v_min_u32_e32 v53, 32, v53
	v_subrev_nc_u32_e32 v56, 28, v53
	v_lshlrev_b64 v[57:58], v56, v[2:3]
	v_sub_nc_u32_e32 v56, 29, v53
	v_and_b32_e32 v53, 7, v57
; %bb.796:                              ;   in Loop: Header=BB296_545 Depth=1
	s_or_b32 exec_lo, exec_lo, s18
	v_lshlrev_b32_e32 v2, 8, v2
	v_lshl_add_u32 v56, v56, 10, 0x2000
	v_lshlrev_b32_e32 v53, 7, v53
	v_and_b32_e32 v2, 0x8000, v2
	v_and_b32_e32 v56, 0xfc00, v56
	v_or3_b32 v53, v2, v56, v53
.LBB296_797:                            ;   in Loop: Header=BB296_545 Depth=1
	s_or_b32 exec_lo, exec_lo, s17
.LBB296_798:                            ;   in Loop: Header=BB296_545 Depth=1
	s_or_b32 exec_lo, exec_lo, s13
.LBB296_799:                            ;   in Loop: Header=BB296_545 Depth=1
	s_or_b32 exec_lo, exec_lo, s12
	v_cmp_lt_u64_e64 s1, s[4:5], v[10:11]
	v_mov_b32_e32 v10, 0
	s_and_saveexec_b32 s12, s1
	s_cbranch_execz .LBB296_807
; %bb.800:                              ;   in Loop: Header=BB296_545 Depth=1
	v_lshrrev_b32_e32 v2, 24, v11
	v_bfrev_b32_e32 v10, 1
	s_mov_b32 s13, exec_lo
	v_cmpx_ne_u32_e32 0x80, v2
	s_cbranch_execz .LBB296_806
; %bb.801:                              ;   in Loop: Header=BB296_545 Depth=1
	v_and_b32_e32 v56, 0x7f, v2
	v_mov_b32_e32 v10, 0x7c010000
	s_mov_b32 s17, exec_lo
	v_cmpx_ne_u32_e32 0x7f, v56
	s_cbranch_execz .LBB296_805
; %bb.802:                              ;   in Loop: Header=BB296_545 Depth=1
	v_and_b32_e32 v10, 7, v2
	v_lshrrev_b32_e32 v11, 3, v56
	s_mov_b32 s18, exec_lo
	v_cmpx_gt_u32_e32 8, v56
; %bb.803:                              ;   in Loop: Header=BB296_545 Depth=1
	v_ffbh_u32_e32 v10, v10
	v_min_u32_e32 v56, 32, v10
	v_subrev_nc_u32_e32 v10, 28, v56
	v_lshlrev_b64 v[10:11], v10, v[2:3]
	v_sub_nc_u32_e32 v11, 29, v56
	v_and_b32_e32 v10, 7, v10
; %bb.804:                              ;   in Loop: Header=BB296_545 Depth=1
	s_or_b32 exec_lo, exec_lo, s18
	v_lshlrev_b32_e32 v2, 8, v2
	v_lshl_add_u32 v11, v11, 10, 0x2000
	v_lshlrev_b32_e32 v10, 23, v10
	v_and_or_b32 v2, 0x8000, v2, v11
	v_lshl_or_b32 v10, v2, 16, v10
.LBB296_805:                            ;   in Loop: Header=BB296_545 Depth=1
	s_or_b32 exec_lo, exec_lo, s17
.LBB296_806:                            ;   in Loop: Header=BB296_545 Depth=1
	s_or_b32 exec_lo, exec_lo, s13
.LBB296_807:                            ;   in Loop: Header=BB296_545 Depth=1
	s_or_b32 exec_lo, exec_lo, s12
	v_or_b32_e32 v2, v51, v52
	s_waitcnt vmcnt(0)
	v_fma_mixlo_f16 v11, v48, v51, 0 op_sel:[0,1,0] op_sel_hi:[0,1,0]
	v_or_b32_e32 v51, v49, v50
	v_fma_mixlo_f16 v49, v48, v49, 0 op_sel:[0,1,0] op_sel_hi:[0,1,0]
	v_or_b32_e32 v52, v55, v54
	v_or_b32_e32 v53, v10, v53
	v_fma_mixlo_f16 v54, v48, v2, 0 op_sel_hi:[0,1,0]
	v_fma_mixlo_f16 v10, v48, v10, 0 op_sel:[0,1,0] op_sel_hi:[0,1,0]
	v_lshlrev_b32_e32 v50, 16, v49
	v_fma_mixlo_f16 v49, v48, v51, 0 op_sel_hi:[0,1,0]
	v_fma_mixlo_f16 v51, v48, v55, 0 op_sel:[0,1,0] op_sel_hi:[0,1,0]
	v_fma_mixlo_f16 v52, v48, v52, 0 op_sel_hi:[0,1,0]
	v_fma_mixlo_f16 v53, v48, v53, 0 op_sel_hi:[0,1,0]
	v_lshlrev_b32_e32 v2, 16, v11
	v_and_b32_e32 v11, 0xffff, v54
	v_and_b32_e32 v56, 0xffff, v49
	v_lshlrev_b32_e32 v48, 16, v51
	v_and_b32_e32 v52, 0xffff, v52
	v_lshlrev_b32_e32 v10, 16, v10
	v_and_b32_e32 v49, 0xffff, v53
	v_or_b32_e32 v51, v2, v11
	v_or_b32_e32 v55, v50, v56
	;; [unrolled: 1-line block ×4, first 2 shown]
	s_and_saveexec_b32 s12, vcc_lo
	s_cbranch_execz .LBB296_809
; %bb.808:                              ;   in Loop: Header=BB296_545 Depth=1
	v_cmp_gt_i32_e64 s1, s27, v31
	v_cndmask_b32_e64 v51, 0, v56, s1
	v_cmp_gt_i32_e64 s1, s27, v37
	v_cndmask_b32_e64 v50, 0, v50, s1
	v_cmp_gt_i32_e64 s1, s27, v36
	v_or_b32_e32 v55, v50, v51
	v_cndmask_b32_e64 v11, 0, v11, s1
	v_cmp_gt_i32_e64 s1, s27, v35
	v_cndmask_b32_e64 v2, 0, v2, s1
	v_cmp_gt_i32_e64 s1, s27, v34
	v_or_b32_e32 v51, v2, v11
	;; [unrolled: 5-line block ×3, first 2 shown]
	v_cndmask_b32_e64 v49, 0, v49, s1
	v_cmp_gt_i32_e64 s1, s27, v15
	v_cndmask_b32_e64 v10, 0, v10, s1
	v_or_b32_e32 v53, v10, v49
.LBB296_809:                            ;   in Loop: Header=BB296_545 Depth=1
	s_or_b32 exec_lo, exec_lo, s12
	;;#ASMSTART
	v_pk_mul_f16 v2, v42, v55;

	;;#ASMEND
	;;#ASMSTART
	v_pk_mul_f16 v10, v40, v51;

	;;#ASMEND
	;; [unrolled: 4-line block ×4, first 2 shown]
	;;#ASMSTART
	v_pk_add_f16 v2, v2, v10;

	;;#ASMEND
	;;#ASMSTART
	v_pk_add_f16 v2, v2, v11;

	;;#ASMEND
	;; [unrolled: 4-line block ×3, first 2 shown]
	v_and_b32_e32 v10, 0xffff, v2
	v_lshrrev_b32_e32 v2, 16, v2
	;;#ASMSTART
	v_cvt_f32_f16 v48, v10;
	;;#ASMEND
	;;#ASMSTART
	v_cvt_f32_f16 v49, v2;
	;;#ASMEND
	global_load_dwordx2 v[10:11], v[8:9], off offset:1024
	v_mov_b32_e32 v51, 0
	v_mov_b32_e32 v52, 0
	global_load_dword v50, v51, s[14:15]
	s_waitcnt vmcnt(1)
	v_cmp_ne_u16_sdwa s1, v10, v3 src0_sel:BYTE_0 src1_sel:DWORD
	s_and_saveexec_b32 s12, s1
	s_cbranch_execz .LBB296_817
; %bb.810:                              ;   in Loop: Header=BB296_545 Depth=1
	v_cmp_ne_u16_sdwa s1, v10, v27 src0_sel:BYTE_0 src1_sel:DWORD
	v_mov_b32_e32 v52, 0x8000
	s_and_saveexec_b32 s13, s1
	s_cbranch_execz .LBB296_816
; %bb.811:                              ;   in Loop: Header=BB296_545 Depth=1
	v_and_b32_e32 v53, 0x7f, v10
	v_mov_b32_e32 v52, 0x7c01
	s_mov_b32 s17, exec_lo
	v_cmpx_ne_u32_e32 0x7f, v53
	s_cbranch_execz .LBB296_815
; %bb.812:                              ;   in Loop: Header=BB296_545 Depth=1
	v_and_b32_e32 v2, 7, v10
	v_lshrrev_b32_e32 v52, 3, v53
	s_mov_b32 s18, exec_lo
	v_cmpx_gt_u32_e32 8, v53
; %bb.813:                              ;   in Loop: Header=BB296_545 Depth=1
	v_ffbh_u32_e32 v2, v2
	v_min_u32_e32 v2, 32, v2
	v_subrev_nc_u32_e32 v52, 28, v2
	v_lshlrev_b64 v[53:54], v52, v[10:11]
	v_sub_nc_u32_e32 v52, 29, v2
	v_and_b32_e32 v2, 7, v53
; %bb.814:                              ;   in Loop: Header=BB296_545 Depth=1
	s_or_b32 exec_lo, exec_lo, s18
	v_lshlrev_b32_e32 v53, 8, v10
	v_lshl_add_u32 v52, v52, 10, 0x2000
	v_lshlrev_b32_e32 v2, 7, v2
	v_and_b32_e32 v53, 0x8000, v53
	v_and_b32_e32 v52, 0xfc00, v52
	v_or3_b32 v52, v53, v52, v2
.LBB296_815:                            ;   in Loop: Header=BB296_545 Depth=1
	s_or_b32 exec_lo, exec_lo, s17
.LBB296_816:                            ;   in Loop: Header=BB296_545 Depth=1
	s_or_b32 exec_lo, exec_lo, s13
.LBB296_817:                            ;   in Loop: Header=BB296_545 Depth=1
	s_or_b32 exec_lo, exec_lo, s12
	v_lshrrev_b16 v2, 8, v10
	s_mov_b32 s12, exec_lo
	v_cmpx_ne_u16_e32 0, v2
	s_cbranch_execz .LBB296_825
; %bb.818:                              ;   in Loop: Header=BB296_545 Depth=1
	v_bfrev_b32_e32 v51, 1
	s_mov_b32 s13, exec_lo
	v_cmpx_ne_u16_e32 0x80, v2
	s_cbranch_execz .LBB296_824
; %bb.819:                              ;   in Loop: Header=BB296_545 Depth=1
	v_and_b32_sdwa v54, v2, v28 dst_sel:DWORD dst_unused:UNUSED_PAD src0_sel:WORD_0 src1_sel:DWORD
	v_mov_b32_e32 v51, 0x7c010000
	s_mov_b32 s17, exec_lo
	v_cmpx_ne_u32_e32 0x7f, v54
	s_cbranch_execz .LBB296_823
; %bb.820:                              ;   in Loop: Header=BB296_545 Depth=1
	v_and_b32_sdwa v51, v2, v29 dst_sel:DWORD dst_unused:UNUSED_PAD src0_sel:WORD_0 src1_sel:DWORD
	v_lshrrev_b32_e32 v53, 3, v54
	s_mov_b32 s18, exec_lo
	v_cmpx_gt_u32_e32 8, v54
; %bb.821:                              ;   in Loop: Header=BB296_545 Depth=1
	v_ffbh_u32_e32 v51, v51
	v_min_u32_e32 v51, 32, v51
	v_subrev_nc_u32_e32 v53, 28, v51
	v_lshlrev_b64 v[54:55], v53, v[2:3]
	v_sub_nc_u32_e32 v53, 29, v51
	v_and_b32_e32 v51, 7, v54
; %bb.822:                              ;   in Loop: Header=BB296_545 Depth=1
	s_or_b32 exec_lo, exec_lo, s18
	v_lshlrev_b32_sdwa v2, v30, v2 dst_sel:DWORD dst_unused:UNUSED_PAD src0_sel:DWORD src1_sel:WORD_0
	v_lshl_add_u32 v53, v53, 10, 0x2000
	v_lshlrev_b32_e32 v51, 23, v51
	v_and_or_b32 v2, 0x8000, v2, v53
	v_lshl_or_b32 v51, v2, 16, v51
.LBB296_823:                            ;   in Loop: Header=BB296_545 Depth=1
	s_or_b32 exec_lo, exec_lo, s17
.LBB296_824:                            ;   in Loop: Header=BB296_545 Depth=1
	s_or_b32 exec_lo, exec_lo, s13
.LBB296_825:                            ;   in Loop: Header=BB296_545 Depth=1
	s_or_b32 exec_lo, exec_lo, s12
	v_lshrrev_b32_e32 v2, 16, v10
	v_mov_b32_e32 v53, 0
	v_mov_b32_e32 v54, 0
	v_cmp_ne_u16_sdwa s1, v2, v3 src0_sel:BYTE_0 src1_sel:DWORD
	s_and_saveexec_b32 s12, s1
	s_cbranch_execz .LBB296_833
; %bb.826:                              ;   in Loop: Header=BB296_545 Depth=1
	v_cmp_ne_u16_sdwa s1, v2, v27 src0_sel:BYTE_0 src1_sel:DWORD
	v_mov_b32_e32 v54, 0x8000
	s_and_saveexec_b32 s13, s1
	s_cbranch_execz .LBB296_832
; %bb.827:                              ;   in Loop: Header=BB296_545 Depth=1
	v_bfe_u32 v56, v10, 16, 7
	v_mov_b32_e32 v54, 0x7c01
	s_mov_b32 s17, exec_lo
	v_cmpx_ne_u32_e32 0x7f, v56
	s_cbranch_execz .LBB296_831
; %bb.828:                              ;   in Loop: Header=BB296_545 Depth=1
	v_and_b32_e32 v54, 7, v2
	v_lshrrev_b32_e32 v55, 3, v56
	s_mov_b32 s18, exec_lo
	v_cmpx_gt_u32_e32 8, v56
; %bb.829:                              ;   in Loop: Header=BB296_545 Depth=1
	v_ffbh_u32_e32 v54, v54
	v_min_u32_e32 v56, 32, v54
	v_subrev_nc_u32_e32 v54, 28, v56
	v_lshlrev_b64 v[54:55], v54, v[2:3]
	v_sub_nc_u32_e32 v55, 29, v56
	v_and_b32_e32 v54, 7, v54
; %bb.830:                              ;   in Loop: Header=BB296_545 Depth=1
	s_or_b32 exec_lo, exec_lo, s18
	v_lshlrev_b32_e32 v2, 8, v2
	v_lshl_add_u32 v55, v55, 10, 0x2000
	v_lshlrev_b32_e32 v54, 7, v54
	v_and_b32_e32 v2, 0x8000, v2
	v_and_b32_e32 v55, 0xfc00, v55
	v_or3_b32 v54, v2, v55, v54
.LBB296_831:                            ;   in Loop: Header=BB296_545 Depth=1
	s_or_b32 exec_lo, exec_lo, s17
.LBB296_832:                            ;   in Loop: Header=BB296_545 Depth=1
	s_or_b32 exec_lo, exec_lo, s13
.LBB296_833:                            ;   in Loop: Header=BB296_545 Depth=1
	s_or_b32 exec_lo, exec_lo, s12
	s_mov_b32 s12, exec_lo
	v_cmpx_lt_u32_e32 0xffffff, v10
	s_cbranch_execz .LBB296_841
; %bb.834:                              ;   in Loop: Header=BB296_545 Depth=1
	v_lshrrev_b32_e32 v2, 24, v10
	v_bfrev_b32_e32 v53, 1
	s_mov_b32 s13, exec_lo
	v_cmpx_ne_u32_e32 0x80, v2
	s_cbranch_execz .LBB296_840
; %bb.835:                              ;   in Loop: Header=BB296_545 Depth=1
	v_and_b32_e32 v56, 0x7f, v2
	v_mov_b32_e32 v53, 0x7c010000
	s_mov_b32 s17, exec_lo
	v_cmpx_ne_u32_e32 0x7f, v56
	s_cbranch_execz .LBB296_839
; %bb.836:                              ;   in Loop: Header=BB296_545 Depth=1
	v_and_b32_e32 v53, 7, v2
	v_lshrrev_b32_e32 v55, 3, v56
	s_mov_b32 s18, exec_lo
	v_cmpx_gt_u32_e32 8, v56
; %bb.837:                              ;   in Loop: Header=BB296_545 Depth=1
	v_ffbh_u32_e32 v53, v53
	v_min_u32_e32 v53, 32, v53
	v_subrev_nc_u32_e32 v55, 28, v53
	v_lshlrev_b64 v[56:57], v55, v[2:3]
	v_sub_nc_u32_e32 v55, 29, v53
	v_and_b32_e32 v53, 7, v56
; %bb.838:                              ;   in Loop: Header=BB296_545 Depth=1
	s_or_b32 exec_lo, exec_lo, s18
	v_lshlrev_b32_e32 v2, 8, v2
	v_lshl_add_u32 v55, v55, 10, 0x2000
	v_lshlrev_b32_e32 v53, 23, v53
	v_and_or_b32 v2, 0x8000, v2, v55
	v_lshl_or_b32 v53, v2, 16, v53
.LBB296_839:                            ;   in Loop: Header=BB296_545 Depth=1
	s_or_b32 exec_lo, exec_lo, s17
.LBB296_840:                            ;   in Loop: Header=BB296_545 Depth=1
	s_or_b32 exec_lo, exec_lo, s13
.LBB296_841:                            ;   in Loop: Header=BB296_545 Depth=1
	s_or_b32 exec_lo, exec_lo, s12
	v_mov_b32_e32 v2, v11
	v_cmp_ne_u16_sdwa s1, v11, v3 src0_sel:BYTE_0 src1_sel:DWORD
	v_mov_b32_e32 v55, 0
	v_mov_b32_e32 v56, 0
	s_and_saveexec_b32 s12, s1
	s_cbranch_execz .LBB296_849
; %bb.842:                              ;   in Loop: Header=BB296_545 Depth=1
	v_cmp_ne_u16_sdwa s1, v11, v27 src0_sel:BYTE_0 src1_sel:DWORD
	v_mov_b32_e32 v56, 0x8000
	s_and_saveexec_b32 s13, s1
	s_cbranch_execz .LBB296_848
; %bb.843:                              ;   in Loop: Header=BB296_545 Depth=1
	v_and_b32_e32 v58, 0x7f, v11
	v_mov_b32_e32 v56, 0x7c01
	s_mov_b32 s17, exec_lo
	v_cmpx_ne_u32_e32 0x7f, v58
	s_cbranch_execz .LBB296_847
; %bb.844:                              ;   in Loop: Header=BB296_545 Depth=1
	v_and_b32_e32 v56, 7, v11
	v_lshrrev_b32_e32 v57, 3, v58
	s_mov_b32 s18, exec_lo
	v_cmpx_gt_u32_e32 8, v58
; %bb.845:                              ;   in Loop: Header=BB296_545 Depth=1
	v_ffbh_u32_e32 v56, v56
	v_min_u32_e32 v58, 32, v56
	v_subrev_nc_u32_e32 v56, 28, v58
	v_lshlrev_b64 v[56:57], v56, v[2:3]
	v_sub_nc_u32_e32 v57, 29, v58
	v_and_b32_e32 v56, 7, v56
; %bb.846:                              ;   in Loop: Header=BB296_545 Depth=1
	s_or_b32 exec_lo, exec_lo, s18
	v_lshlrev_b32_e32 v58, 8, v11
	v_lshl_add_u32 v57, v57, 10, 0x2000
	v_lshlrev_b32_e32 v56, 7, v56
	v_and_b32_e32 v58, 0x8000, v58
	v_and_b32_e32 v57, 0xfc00, v57
	v_or3_b32 v56, v58, v57, v56
.LBB296_847:                            ;   in Loop: Header=BB296_545 Depth=1
	s_or_b32 exec_lo, exec_lo, s17
.LBB296_848:                            ;   in Loop: Header=BB296_545 Depth=1
	s_or_b32 exec_lo, exec_lo, s13
.LBB296_849:                            ;   in Loop: Header=BB296_545 Depth=1
	s_or_b32 exec_lo, exec_lo, s12
	v_lshrrev_b16 v2, 8, v2
	v_mov_b32_e32 v57, 0
	s_mov_b32 s12, exec_lo
	v_cmpx_ne_u16_e32 0, v2
	s_cbranch_execz .LBB296_857
; %bb.850:                              ;   in Loop: Header=BB296_545 Depth=1
	v_bfrev_b32_e32 v57, 1
	s_mov_b32 s13, exec_lo
	v_cmpx_ne_u16_e32 0x80, v2
	s_cbranch_execz .LBB296_856
; %bb.851:                              ;   in Loop: Header=BB296_545 Depth=1
	v_and_b32_sdwa v59, v2, v28 dst_sel:DWORD dst_unused:UNUSED_PAD src0_sel:WORD_0 src1_sel:DWORD
	v_mov_b32_e32 v57, 0x7c010000
	s_mov_b32 s17, exec_lo
	v_cmpx_ne_u32_e32 0x7f, v59
	s_cbranch_execz .LBB296_855
; %bb.852:                              ;   in Loop: Header=BB296_545 Depth=1
	v_and_b32_sdwa v57, v2, v29 dst_sel:DWORD dst_unused:UNUSED_PAD src0_sel:WORD_0 src1_sel:DWORD
	v_lshrrev_b32_e32 v58, 3, v59
	s_mov_b32 s18, exec_lo
	v_cmpx_gt_u32_e32 8, v59
; %bb.853:                              ;   in Loop: Header=BB296_545 Depth=1
	v_ffbh_u32_e32 v57, v57
	v_min_u32_e32 v59, 32, v57
	v_subrev_nc_u32_e32 v57, 28, v59
	v_lshlrev_b64 v[57:58], v57, v[2:3]
	v_sub_nc_u32_e32 v58, 29, v59
	v_and_b32_e32 v57, 7, v57
; %bb.854:                              ;   in Loop: Header=BB296_545 Depth=1
	s_or_b32 exec_lo, exec_lo, s18
	v_lshlrev_b32_sdwa v2, v30, v2 dst_sel:DWORD dst_unused:UNUSED_PAD src0_sel:DWORD src1_sel:WORD_0
	v_lshl_add_u32 v58, v58, 10, 0x2000
	v_lshlrev_b32_e32 v57, 23, v57
	v_and_or_b32 v2, 0x8000, v2, v58
	v_lshl_or_b32 v57, v2, 16, v57
.LBB296_855:                            ;   in Loop: Header=BB296_545 Depth=1
	s_or_b32 exec_lo, exec_lo, s17
.LBB296_856:                            ;   in Loop: Header=BB296_545 Depth=1
	s_or_b32 exec_lo, exec_lo, s13
.LBB296_857:                            ;   in Loop: Header=BB296_545 Depth=1
	s_or_b32 exec_lo, exec_lo, s12
	v_lshrrev_b32_e32 v2, 16, v11
	v_cmp_ne_u16_sdwa s1, v2, v3 src0_sel:BYTE_0 src1_sel:DWORD
	s_and_saveexec_b32 s12, s1
	s_cbranch_execz .LBB296_865
; %bb.858:                              ;   in Loop: Header=BB296_545 Depth=1
	v_cmp_ne_u16_sdwa s1, v2, v27 src0_sel:BYTE_0 src1_sel:DWORD
	v_mov_b32_e32 v55, 0x8000
	s_and_saveexec_b32 s13, s1
	s_cbranch_execz .LBB296_864
; %bb.859:                              ;   in Loop: Header=BB296_545 Depth=1
	v_bfe_u32 v59, v11, 16, 7
	v_mov_b32_e32 v55, 0x7c01
	s_mov_b32 s17, exec_lo
	v_cmpx_ne_u32_e32 0x7f, v59
	s_cbranch_execz .LBB296_863
; %bb.860:                              ;   in Loop: Header=BB296_545 Depth=1
	v_and_b32_e32 v55, 7, v2
	v_lshrrev_b32_e32 v58, 3, v59
	s_mov_b32 s18, exec_lo
	v_cmpx_gt_u32_e32 8, v59
; %bb.861:                              ;   in Loop: Header=BB296_545 Depth=1
	v_ffbh_u32_e32 v55, v55
	v_min_u32_e32 v55, 32, v55
	v_subrev_nc_u32_e32 v58, 28, v55
	v_lshlrev_b64 v[59:60], v58, v[2:3]
	v_sub_nc_u32_e32 v58, 29, v55
	v_and_b32_e32 v55, 7, v59
; %bb.862:                              ;   in Loop: Header=BB296_545 Depth=1
	s_or_b32 exec_lo, exec_lo, s18
	v_lshlrev_b32_e32 v2, 8, v2
	v_lshl_add_u32 v58, v58, 10, 0x2000
	v_lshlrev_b32_e32 v55, 7, v55
	v_and_b32_e32 v2, 0x8000, v2
	v_and_b32_e32 v58, 0xfc00, v58
	v_or3_b32 v55, v2, v58, v55
.LBB296_863:                            ;   in Loop: Header=BB296_545 Depth=1
	s_or_b32 exec_lo, exec_lo, s17
.LBB296_864:                            ;   in Loop: Header=BB296_545 Depth=1
	s_or_b32 exec_lo, exec_lo, s13
.LBB296_865:                            ;   in Loop: Header=BB296_545 Depth=1
	s_or_b32 exec_lo, exec_lo, s12
	v_cmp_lt_u64_e64 s1, s[4:5], v[10:11]
	v_mov_b32_e32 v10, 0
	s_and_saveexec_b32 s12, s1
	s_cbranch_execz .LBB296_873
; %bb.866:                              ;   in Loop: Header=BB296_545 Depth=1
	v_lshrrev_b32_e32 v2, 24, v11
	v_bfrev_b32_e32 v10, 1
	s_mov_b32 s13, exec_lo
	v_cmpx_ne_u32_e32 0x80, v2
	s_cbranch_execz .LBB296_872
; %bb.867:                              ;   in Loop: Header=BB296_545 Depth=1
	v_and_b32_e32 v58, 0x7f, v2
	v_mov_b32_e32 v10, 0x7c010000
	s_mov_b32 s17, exec_lo
	v_cmpx_ne_u32_e32 0x7f, v58
	s_cbranch_execz .LBB296_871
; %bb.868:                              ;   in Loop: Header=BB296_545 Depth=1
	v_and_b32_e32 v10, 7, v2
	v_lshrrev_b32_e32 v11, 3, v58
	s_mov_b32 s18, exec_lo
	v_cmpx_gt_u32_e32 8, v58
; %bb.869:                              ;   in Loop: Header=BB296_545 Depth=1
	v_ffbh_u32_e32 v10, v10
	v_min_u32_e32 v58, 32, v10
	v_subrev_nc_u32_e32 v10, 28, v58
	v_lshlrev_b64 v[10:11], v10, v[2:3]
	v_sub_nc_u32_e32 v11, 29, v58
	v_and_b32_e32 v10, 7, v10
; %bb.870:                              ;   in Loop: Header=BB296_545 Depth=1
	s_or_b32 exec_lo, exec_lo, s18
	v_lshlrev_b32_e32 v2, 8, v2
	v_lshl_add_u32 v11, v11, 10, 0x2000
	v_lshlrev_b32_e32 v10, 23, v10
	v_and_or_b32 v2, 0x8000, v2, v11
	v_lshl_or_b32 v10, v2, 16, v10
.LBB296_871:                            ;   in Loop: Header=BB296_545 Depth=1
	s_or_b32 exec_lo, exec_lo, s17
.LBB296_872:                            ;   in Loop: Header=BB296_545 Depth=1
	s_or_b32 exec_lo, exec_lo, s13
.LBB296_873:                            ;   in Loop: Header=BB296_545 Depth=1
	s_or_b32 exec_lo, exec_lo, s12
	v_or_b32_e32 v2, v53, v54
	s_waitcnt vmcnt(0)
	v_fma_mixlo_f16 v11, v50, v53, 0 op_sel:[0,1,0] op_sel_hi:[0,1,0]
	v_or_b32_e32 v53, v51, v52
	v_fma_mixlo_f16 v51, v50, v51, 0 op_sel:[0,1,0] op_sel_hi:[0,1,0]
	v_or_b32_e32 v54, v57, v56
	v_or_b32_e32 v55, v10, v55
	v_fma_mixlo_f16 v56, v50, v2, 0 op_sel_hi:[0,1,0]
	v_fma_mixlo_f16 v10, v50, v10, 0 op_sel:[0,1,0] op_sel_hi:[0,1,0]
	v_lshlrev_b32_e32 v52, 16, v51
	v_fma_mixlo_f16 v51, v50, v53, 0 op_sel_hi:[0,1,0]
	v_fma_mixlo_f16 v53, v50, v57, 0 op_sel:[0,1,0] op_sel_hi:[0,1,0]
	v_fma_mixlo_f16 v54, v50, v54, 0 op_sel_hi:[0,1,0]
	v_fma_mixlo_f16 v55, v50, v55, 0 op_sel_hi:[0,1,0]
	v_lshlrev_b32_e32 v2, 16, v11
	v_and_b32_e32 v11, 0xffff, v56
	v_and_b32_e32 v58, 0xffff, v51
	v_lshlrev_b32_e32 v50, 16, v53
	v_and_b32_e32 v54, 0xffff, v54
	v_lshlrev_b32_e32 v10, 16, v10
	v_and_b32_e32 v51, 0xffff, v55
	v_or_b32_e32 v53, v2, v11
	v_or_b32_e32 v57, v52, v58
	;; [unrolled: 1-line block ×4, first 2 shown]
	s_and_saveexec_b32 s12, vcc_lo
	s_cbranch_execz .LBB296_875
; %bb.874:                              ;   in Loop: Header=BB296_545 Depth=1
	v_cmp_gt_i32_e64 s1, s27, v31
	v_cndmask_b32_e64 v53, 0, v58, s1
	v_cmp_gt_i32_e64 s1, s27, v37
	v_cndmask_b32_e64 v52, 0, v52, s1
	v_cmp_gt_i32_e64 s1, s27, v36
	v_or_b32_e32 v57, v52, v53
	v_cndmask_b32_e64 v11, 0, v11, s1
	v_cmp_gt_i32_e64 s1, s27, v35
	v_cndmask_b32_e64 v2, 0, v2, s1
	v_cmp_gt_i32_e64 s1, s27, v34
	v_or_b32_e32 v53, v2, v11
	;; [unrolled: 5-line block ×3, first 2 shown]
	v_cndmask_b32_e64 v51, 0, v51, s1
	v_cmp_gt_i32_e64 s1, s27, v15
	v_cndmask_b32_e64 v10, 0, v10, s1
	v_or_b32_e32 v55, v10, v51
.LBB296_875:                            ;   in Loop: Header=BB296_545 Depth=1
	s_or_b32 exec_lo, exec_lo, s12
	;;#ASMSTART
	v_pk_mul_f16 v2, v42, v57;

	;;#ASMEND
	;;#ASMSTART
	v_pk_mul_f16 v10, v40, v53;

	;;#ASMEND
	;; [unrolled: 4-line block ×4, first 2 shown]
	;;#ASMSTART
	v_pk_add_f16 v2, v2, v10;

	;;#ASMEND
	;;#ASMSTART
	v_pk_add_f16 v2, v2, v11;

	;;#ASMEND
	;; [unrolled: 4-line block ×3, first 2 shown]
	v_and_b32_e32 v10, 0xffff, v2
	v_lshrrev_b32_e32 v2, 16, v2
	;;#ASMSTART
	v_cvt_f32_f16 v50, v10;
	;;#ASMEND
	;;#ASMSTART
	v_cvt_f32_f16 v51, v2;
	;;#ASMEND
	global_load_dwordx2 v[10:11], v[8:9], off offset:1280
	v_mov_b32_e32 v53, 0
	v_mov_b32_e32 v54, 0
	global_load_dword v52, v53, s[14:15]
	s_waitcnt vmcnt(1)
	v_cmp_ne_u16_sdwa s1, v10, v3 src0_sel:BYTE_0 src1_sel:DWORD
	s_and_saveexec_b32 s12, s1
	s_cbranch_execz .LBB296_883
; %bb.876:                              ;   in Loop: Header=BB296_545 Depth=1
	v_cmp_ne_u16_sdwa s1, v10, v27 src0_sel:BYTE_0 src1_sel:DWORD
	v_mov_b32_e32 v54, 0x8000
	s_and_saveexec_b32 s13, s1
	s_cbranch_execz .LBB296_882
; %bb.877:                              ;   in Loop: Header=BB296_545 Depth=1
	v_and_b32_e32 v55, 0x7f, v10
	v_mov_b32_e32 v54, 0x7c01
	s_mov_b32 s17, exec_lo
	v_cmpx_ne_u32_e32 0x7f, v55
	s_cbranch_execz .LBB296_881
; %bb.878:                              ;   in Loop: Header=BB296_545 Depth=1
	v_and_b32_e32 v2, 7, v10
	v_lshrrev_b32_e32 v54, 3, v55
	s_mov_b32 s18, exec_lo
	v_cmpx_gt_u32_e32 8, v55
; %bb.879:                              ;   in Loop: Header=BB296_545 Depth=1
	v_ffbh_u32_e32 v2, v2
	v_min_u32_e32 v2, 32, v2
	v_subrev_nc_u32_e32 v54, 28, v2
	v_lshlrev_b64 v[55:56], v54, v[10:11]
	v_sub_nc_u32_e32 v54, 29, v2
	v_and_b32_e32 v2, 7, v55
; %bb.880:                              ;   in Loop: Header=BB296_545 Depth=1
	s_or_b32 exec_lo, exec_lo, s18
	v_lshlrev_b32_e32 v55, 8, v10
	v_lshl_add_u32 v54, v54, 10, 0x2000
	v_lshlrev_b32_e32 v2, 7, v2
	v_and_b32_e32 v55, 0x8000, v55
	v_and_b32_e32 v54, 0xfc00, v54
	v_or3_b32 v54, v55, v54, v2
.LBB296_881:                            ;   in Loop: Header=BB296_545 Depth=1
	s_or_b32 exec_lo, exec_lo, s17
.LBB296_882:                            ;   in Loop: Header=BB296_545 Depth=1
	s_or_b32 exec_lo, exec_lo, s13
.LBB296_883:                            ;   in Loop: Header=BB296_545 Depth=1
	s_or_b32 exec_lo, exec_lo, s12
	v_lshrrev_b16 v2, 8, v10
	s_mov_b32 s12, exec_lo
	v_cmpx_ne_u16_e32 0, v2
	s_cbranch_execz .LBB296_891
; %bb.884:                              ;   in Loop: Header=BB296_545 Depth=1
	v_bfrev_b32_e32 v53, 1
	s_mov_b32 s13, exec_lo
	v_cmpx_ne_u16_e32 0x80, v2
	s_cbranch_execz .LBB296_890
; %bb.885:                              ;   in Loop: Header=BB296_545 Depth=1
	v_and_b32_sdwa v56, v2, v28 dst_sel:DWORD dst_unused:UNUSED_PAD src0_sel:WORD_0 src1_sel:DWORD
	v_mov_b32_e32 v53, 0x7c010000
	s_mov_b32 s17, exec_lo
	v_cmpx_ne_u32_e32 0x7f, v56
	s_cbranch_execz .LBB296_889
; %bb.886:                              ;   in Loop: Header=BB296_545 Depth=1
	v_and_b32_sdwa v53, v2, v29 dst_sel:DWORD dst_unused:UNUSED_PAD src0_sel:WORD_0 src1_sel:DWORD
	v_lshrrev_b32_e32 v55, 3, v56
	s_mov_b32 s18, exec_lo
	v_cmpx_gt_u32_e32 8, v56
; %bb.887:                              ;   in Loop: Header=BB296_545 Depth=1
	v_ffbh_u32_e32 v53, v53
	v_min_u32_e32 v53, 32, v53
	v_subrev_nc_u32_e32 v55, 28, v53
	v_lshlrev_b64 v[56:57], v55, v[2:3]
	v_sub_nc_u32_e32 v55, 29, v53
	v_and_b32_e32 v53, 7, v56
; %bb.888:                              ;   in Loop: Header=BB296_545 Depth=1
	s_or_b32 exec_lo, exec_lo, s18
	v_lshlrev_b32_sdwa v2, v30, v2 dst_sel:DWORD dst_unused:UNUSED_PAD src0_sel:DWORD src1_sel:WORD_0
	v_lshl_add_u32 v55, v55, 10, 0x2000
	v_lshlrev_b32_e32 v53, 23, v53
	v_and_or_b32 v2, 0x8000, v2, v55
	v_lshl_or_b32 v53, v2, 16, v53
.LBB296_889:                            ;   in Loop: Header=BB296_545 Depth=1
	s_or_b32 exec_lo, exec_lo, s17
.LBB296_890:                            ;   in Loop: Header=BB296_545 Depth=1
	s_or_b32 exec_lo, exec_lo, s13
.LBB296_891:                            ;   in Loop: Header=BB296_545 Depth=1
	s_or_b32 exec_lo, exec_lo, s12
	v_lshrrev_b32_e32 v2, 16, v10
	v_mov_b32_e32 v55, 0
	v_mov_b32_e32 v56, 0
	v_cmp_ne_u16_sdwa s1, v2, v3 src0_sel:BYTE_0 src1_sel:DWORD
	s_and_saveexec_b32 s12, s1
	s_cbranch_execz .LBB296_899
; %bb.892:                              ;   in Loop: Header=BB296_545 Depth=1
	v_cmp_ne_u16_sdwa s1, v2, v27 src0_sel:BYTE_0 src1_sel:DWORD
	v_mov_b32_e32 v56, 0x8000
	s_and_saveexec_b32 s13, s1
	s_cbranch_execz .LBB296_898
; %bb.893:                              ;   in Loop: Header=BB296_545 Depth=1
	v_bfe_u32 v58, v10, 16, 7
	v_mov_b32_e32 v56, 0x7c01
	s_mov_b32 s17, exec_lo
	v_cmpx_ne_u32_e32 0x7f, v58
	s_cbranch_execz .LBB296_897
; %bb.894:                              ;   in Loop: Header=BB296_545 Depth=1
	v_and_b32_e32 v56, 7, v2
	v_lshrrev_b32_e32 v57, 3, v58
	s_mov_b32 s18, exec_lo
	v_cmpx_gt_u32_e32 8, v58
; %bb.895:                              ;   in Loop: Header=BB296_545 Depth=1
	v_ffbh_u32_e32 v56, v56
	v_min_u32_e32 v58, 32, v56
	v_subrev_nc_u32_e32 v56, 28, v58
	v_lshlrev_b64 v[56:57], v56, v[2:3]
	v_sub_nc_u32_e32 v57, 29, v58
	v_and_b32_e32 v56, 7, v56
; %bb.896:                              ;   in Loop: Header=BB296_545 Depth=1
	s_or_b32 exec_lo, exec_lo, s18
	v_lshlrev_b32_e32 v2, 8, v2
	v_lshl_add_u32 v57, v57, 10, 0x2000
	v_lshlrev_b32_e32 v56, 7, v56
	v_and_b32_e32 v2, 0x8000, v2
	v_and_b32_e32 v57, 0xfc00, v57
	v_or3_b32 v56, v2, v57, v56
.LBB296_897:                            ;   in Loop: Header=BB296_545 Depth=1
	s_or_b32 exec_lo, exec_lo, s17
.LBB296_898:                            ;   in Loop: Header=BB296_545 Depth=1
	s_or_b32 exec_lo, exec_lo, s13
.LBB296_899:                            ;   in Loop: Header=BB296_545 Depth=1
	s_or_b32 exec_lo, exec_lo, s12
	s_mov_b32 s12, exec_lo
	v_cmpx_lt_u32_e32 0xffffff, v10
	s_cbranch_execz .LBB296_907
; %bb.900:                              ;   in Loop: Header=BB296_545 Depth=1
	v_lshrrev_b32_e32 v2, 24, v10
	v_bfrev_b32_e32 v55, 1
	s_mov_b32 s13, exec_lo
	v_cmpx_ne_u32_e32 0x80, v2
	s_cbranch_execz .LBB296_906
; %bb.901:                              ;   in Loop: Header=BB296_545 Depth=1
	v_and_b32_e32 v58, 0x7f, v2
	v_mov_b32_e32 v55, 0x7c010000
	s_mov_b32 s17, exec_lo
	v_cmpx_ne_u32_e32 0x7f, v58
	s_cbranch_execz .LBB296_905
; %bb.902:                              ;   in Loop: Header=BB296_545 Depth=1
	v_and_b32_e32 v55, 7, v2
	v_lshrrev_b32_e32 v57, 3, v58
	s_mov_b32 s18, exec_lo
	v_cmpx_gt_u32_e32 8, v58
; %bb.903:                              ;   in Loop: Header=BB296_545 Depth=1
	v_ffbh_u32_e32 v55, v55
	v_min_u32_e32 v55, 32, v55
	v_subrev_nc_u32_e32 v57, 28, v55
	v_lshlrev_b64 v[58:59], v57, v[2:3]
	v_sub_nc_u32_e32 v57, 29, v55
	v_and_b32_e32 v55, 7, v58
; %bb.904:                              ;   in Loop: Header=BB296_545 Depth=1
	s_or_b32 exec_lo, exec_lo, s18
	v_lshlrev_b32_e32 v2, 8, v2
	v_lshl_add_u32 v57, v57, 10, 0x2000
	v_lshlrev_b32_e32 v55, 23, v55
	v_and_or_b32 v2, 0x8000, v2, v57
	v_lshl_or_b32 v55, v2, 16, v55
.LBB296_905:                            ;   in Loop: Header=BB296_545 Depth=1
	s_or_b32 exec_lo, exec_lo, s17
.LBB296_906:                            ;   in Loop: Header=BB296_545 Depth=1
	s_or_b32 exec_lo, exec_lo, s13
.LBB296_907:                            ;   in Loop: Header=BB296_545 Depth=1
	s_or_b32 exec_lo, exec_lo, s12
	v_mov_b32_e32 v2, v11
	v_cmp_ne_u16_sdwa s1, v11, v3 src0_sel:BYTE_0 src1_sel:DWORD
	v_mov_b32_e32 v57, 0
	v_mov_b32_e32 v58, 0
	s_and_saveexec_b32 s12, s1
	s_cbranch_execz .LBB296_915
; %bb.908:                              ;   in Loop: Header=BB296_545 Depth=1
	v_cmp_ne_u16_sdwa s1, v11, v27 src0_sel:BYTE_0 src1_sel:DWORD
	v_mov_b32_e32 v58, 0x8000
	s_and_saveexec_b32 s13, s1
	s_cbranch_execz .LBB296_914
; %bb.909:                              ;   in Loop: Header=BB296_545 Depth=1
	v_and_b32_e32 v60, 0x7f, v11
	v_mov_b32_e32 v58, 0x7c01
	s_mov_b32 s17, exec_lo
	v_cmpx_ne_u32_e32 0x7f, v60
	s_cbranch_execz .LBB296_913
; %bb.910:                              ;   in Loop: Header=BB296_545 Depth=1
	v_and_b32_e32 v58, 7, v11
	v_lshrrev_b32_e32 v59, 3, v60
	s_mov_b32 s18, exec_lo
	v_cmpx_gt_u32_e32 8, v60
; %bb.911:                              ;   in Loop: Header=BB296_545 Depth=1
	v_ffbh_u32_e32 v58, v58
	v_min_u32_e32 v60, 32, v58
	v_subrev_nc_u32_e32 v58, 28, v60
	v_lshlrev_b64 v[58:59], v58, v[2:3]
	v_sub_nc_u32_e32 v59, 29, v60
	v_and_b32_e32 v58, 7, v58
; %bb.912:                              ;   in Loop: Header=BB296_545 Depth=1
	s_or_b32 exec_lo, exec_lo, s18
	v_lshlrev_b32_e32 v60, 8, v11
	v_lshl_add_u32 v59, v59, 10, 0x2000
	v_lshlrev_b32_e32 v58, 7, v58
	v_and_b32_e32 v60, 0x8000, v60
	v_and_b32_e32 v59, 0xfc00, v59
	v_or3_b32 v58, v60, v59, v58
.LBB296_913:                            ;   in Loop: Header=BB296_545 Depth=1
	s_or_b32 exec_lo, exec_lo, s17
.LBB296_914:                            ;   in Loop: Header=BB296_545 Depth=1
	s_or_b32 exec_lo, exec_lo, s13
.LBB296_915:                            ;   in Loop: Header=BB296_545 Depth=1
	s_or_b32 exec_lo, exec_lo, s12
	v_lshrrev_b16 v2, 8, v2
	v_mov_b32_e32 v59, 0
	s_mov_b32 s12, exec_lo
	v_cmpx_ne_u16_e32 0, v2
	s_cbranch_execz .LBB296_923
; %bb.916:                              ;   in Loop: Header=BB296_545 Depth=1
	v_bfrev_b32_e32 v59, 1
	s_mov_b32 s13, exec_lo
	v_cmpx_ne_u16_e32 0x80, v2
	s_cbranch_execz .LBB296_922
; %bb.917:                              ;   in Loop: Header=BB296_545 Depth=1
	v_and_b32_sdwa v61, v2, v28 dst_sel:DWORD dst_unused:UNUSED_PAD src0_sel:WORD_0 src1_sel:DWORD
	v_mov_b32_e32 v59, 0x7c010000
	s_mov_b32 s17, exec_lo
	v_cmpx_ne_u32_e32 0x7f, v61
	s_cbranch_execz .LBB296_921
; %bb.918:                              ;   in Loop: Header=BB296_545 Depth=1
	v_and_b32_sdwa v59, v2, v29 dst_sel:DWORD dst_unused:UNUSED_PAD src0_sel:WORD_0 src1_sel:DWORD
	v_lshrrev_b32_e32 v60, 3, v61
	s_mov_b32 s18, exec_lo
	v_cmpx_gt_u32_e32 8, v61
; %bb.919:                              ;   in Loop: Header=BB296_545 Depth=1
	v_ffbh_u32_e32 v59, v59
	v_min_u32_e32 v61, 32, v59
	v_subrev_nc_u32_e32 v59, 28, v61
	v_lshlrev_b64 v[59:60], v59, v[2:3]
	v_sub_nc_u32_e32 v60, 29, v61
	v_and_b32_e32 v59, 7, v59
; %bb.920:                              ;   in Loop: Header=BB296_545 Depth=1
	s_or_b32 exec_lo, exec_lo, s18
	v_lshlrev_b32_sdwa v2, v30, v2 dst_sel:DWORD dst_unused:UNUSED_PAD src0_sel:DWORD src1_sel:WORD_0
	v_lshl_add_u32 v60, v60, 10, 0x2000
	v_lshlrev_b32_e32 v59, 23, v59
	v_and_or_b32 v2, 0x8000, v2, v60
	v_lshl_or_b32 v59, v2, 16, v59
.LBB296_921:                            ;   in Loop: Header=BB296_545 Depth=1
	s_or_b32 exec_lo, exec_lo, s17
.LBB296_922:                            ;   in Loop: Header=BB296_545 Depth=1
	s_or_b32 exec_lo, exec_lo, s13
.LBB296_923:                            ;   in Loop: Header=BB296_545 Depth=1
	s_or_b32 exec_lo, exec_lo, s12
	v_lshrrev_b32_e32 v2, 16, v11
	v_cmp_ne_u16_sdwa s1, v2, v3 src0_sel:BYTE_0 src1_sel:DWORD
	s_and_saveexec_b32 s12, s1
	s_cbranch_execz .LBB296_931
; %bb.924:                              ;   in Loop: Header=BB296_545 Depth=1
	v_cmp_ne_u16_sdwa s1, v2, v27 src0_sel:BYTE_0 src1_sel:DWORD
	v_mov_b32_e32 v57, 0x8000
	s_and_saveexec_b32 s13, s1
	s_cbranch_execz .LBB296_930
; %bb.925:                              ;   in Loop: Header=BB296_545 Depth=1
	v_bfe_u32 v61, v11, 16, 7
	v_mov_b32_e32 v57, 0x7c01
	s_mov_b32 s17, exec_lo
	v_cmpx_ne_u32_e32 0x7f, v61
	s_cbranch_execz .LBB296_929
; %bb.926:                              ;   in Loop: Header=BB296_545 Depth=1
	v_and_b32_e32 v57, 7, v2
	v_lshrrev_b32_e32 v60, 3, v61
	s_mov_b32 s18, exec_lo
	v_cmpx_gt_u32_e32 8, v61
; %bb.927:                              ;   in Loop: Header=BB296_545 Depth=1
	v_ffbh_u32_e32 v57, v57
	v_min_u32_e32 v57, 32, v57
	v_subrev_nc_u32_e32 v60, 28, v57
	v_lshlrev_b64 v[61:62], v60, v[2:3]
	v_sub_nc_u32_e32 v60, 29, v57
	v_and_b32_e32 v57, 7, v61
; %bb.928:                              ;   in Loop: Header=BB296_545 Depth=1
	s_or_b32 exec_lo, exec_lo, s18
	v_lshlrev_b32_e32 v2, 8, v2
	v_lshl_add_u32 v60, v60, 10, 0x2000
	v_lshlrev_b32_e32 v57, 7, v57
	v_and_b32_e32 v2, 0x8000, v2
	v_and_b32_e32 v60, 0xfc00, v60
	v_or3_b32 v57, v2, v60, v57
.LBB296_929:                            ;   in Loop: Header=BB296_545 Depth=1
	s_or_b32 exec_lo, exec_lo, s17
.LBB296_930:                            ;   in Loop: Header=BB296_545 Depth=1
	s_or_b32 exec_lo, exec_lo, s13
.LBB296_931:                            ;   in Loop: Header=BB296_545 Depth=1
	s_or_b32 exec_lo, exec_lo, s12
	v_cmp_lt_u64_e64 s1, s[4:5], v[10:11]
	v_mov_b32_e32 v10, 0
	s_and_saveexec_b32 s12, s1
	s_cbranch_execz .LBB296_939
; %bb.932:                              ;   in Loop: Header=BB296_545 Depth=1
	v_lshrrev_b32_e32 v2, 24, v11
	v_bfrev_b32_e32 v10, 1
	s_mov_b32 s13, exec_lo
	v_cmpx_ne_u32_e32 0x80, v2
	s_cbranch_execz .LBB296_938
; %bb.933:                              ;   in Loop: Header=BB296_545 Depth=1
	v_and_b32_e32 v60, 0x7f, v2
	v_mov_b32_e32 v10, 0x7c010000
	s_mov_b32 s17, exec_lo
	v_cmpx_ne_u32_e32 0x7f, v60
	s_cbranch_execz .LBB296_937
; %bb.934:                              ;   in Loop: Header=BB296_545 Depth=1
	v_and_b32_e32 v10, 7, v2
	v_lshrrev_b32_e32 v11, 3, v60
	s_mov_b32 s18, exec_lo
	v_cmpx_gt_u32_e32 8, v60
; %bb.935:                              ;   in Loop: Header=BB296_545 Depth=1
	v_ffbh_u32_e32 v10, v10
	v_min_u32_e32 v60, 32, v10
	v_subrev_nc_u32_e32 v10, 28, v60
	v_lshlrev_b64 v[10:11], v10, v[2:3]
	v_sub_nc_u32_e32 v11, 29, v60
	v_and_b32_e32 v10, 7, v10
; %bb.936:                              ;   in Loop: Header=BB296_545 Depth=1
	s_or_b32 exec_lo, exec_lo, s18
	v_lshlrev_b32_e32 v2, 8, v2
	v_lshl_add_u32 v11, v11, 10, 0x2000
	v_lshlrev_b32_e32 v10, 23, v10
	v_and_or_b32 v2, 0x8000, v2, v11
	v_lshl_or_b32 v10, v2, 16, v10
.LBB296_937:                            ;   in Loop: Header=BB296_545 Depth=1
	s_or_b32 exec_lo, exec_lo, s17
.LBB296_938:                            ;   in Loop: Header=BB296_545 Depth=1
	s_or_b32 exec_lo, exec_lo, s13
.LBB296_939:                            ;   in Loop: Header=BB296_545 Depth=1
	s_or_b32 exec_lo, exec_lo, s12
	v_or_b32_e32 v2, v55, v56
	s_waitcnt vmcnt(0)
	v_fma_mixlo_f16 v11, v52, v55, 0 op_sel:[0,1,0] op_sel_hi:[0,1,0]
	v_or_b32_e32 v55, v53, v54
	v_fma_mixlo_f16 v53, v52, v53, 0 op_sel:[0,1,0] op_sel_hi:[0,1,0]
	v_or_b32_e32 v56, v59, v58
	v_or_b32_e32 v57, v10, v57
	v_fma_mixlo_f16 v58, v52, v2, 0 op_sel_hi:[0,1,0]
	v_fma_mixlo_f16 v10, v52, v10, 0 op_sel:[0,1,0] op_sel_hi:[0,1,0]
	v_lshlrev_b32_e32 v54, 16, v53
	v_fma_mixlo_f16 v53, v52, v55, 0 op_sel_hi:[0,1,0]
	v_fma_mixlo_f16 v55, v52, v59, 0 op_sel:[0,1,0] op_sel_hi:[0,1,0]
	v_fma_mixlo_f16 v56, v52, v56, 0 op_sel_hi:[0,1,0]
	v_fma_mixlo_f16 v57, v52, v57, 0 op_sel_hi:[0,1,0]
	v_lshlrev_b32_e32 v2, 16, v11
	v_and_b32_e32 v11, 0xffff, v58
	v_and_b32_e32 v60, 0xffff, v53
	v_lshlrev_b32_e32 v52, 16, v55
	v_and_b32_e32 v56, 0xffff, v56
	v_lshlrev_b32_e32 v10, 16, v10
	v_and_b32_e32 v53, 0xffff, v57
	v_or_b32_e32 v55, v2, v11
	v_or_b32_e32 v59, v54, v60
	;; [unrolled: 1-line block ×4, first 2 shown]
	s_and_saveexec_b32 s12, vcc_lo
	s_cbranch_execz .LBB296_941
; %bb.940:                              ;   in Loop: Header=BB296_545 Depth=1
	v_cmp_gt_i32_e64 s1, s27, v31
	v_cndmask_b32_e64 v55, 0, v60, s1
	v_cmp_gt_i32_e64 s1, s27, v37
	v_cndmask_b32_e64 v54, 0, v54, s1
	v_cmp_gt_i32_e64 s1, s27, v36
	v_or_b32_e32 v59, v54, v55
	v_cndmask_b32_e64 v11, 0, v11, s1
	v_cmp_gt_i32_e64 s1, s27, v35
	v_cndmask_b32_e64 v2, 0, v2, s1
	v_cmp_gt_i32_e64 s1, s27, v34
	v_or_b32_e32 v55, v2, v11
	;; [unrolled: 5-line block ×3, first 2 shown]
	v_cndmask_b32_e64 v53, 0, v53, s1
	v_cmp_gt_i32_e64 s1, s27, v15
	v_cndmask_b32_e64 v10, 0, v10, s1
	v_or_b32_e32 v57, v10, v53
.LBB296_941:                            ;   in Loop: Header=BB296_545 Depth=1
	s_or_b32 exec_lo, exec_lo, s12
	;;#ASMSTART
	v_pk_mul_f16 v2, v42, v59;

	;;#ASMEND
	;;#ASMSTART
	v_pk_mul_f16 v10, v40, v55;

	;;#ASMEND
	;; [unrolled: 4-line block ×4, first 2 shown]
	;;#ASMSTART
	v_pk_add_f16 v2, v2, v10;

	;;#ASMEND
	;;#ASMSTART
	v_pk_add_f16 v2, v2, v11;

	;;#ASMEND
	;; [unrolled: 4-line block ×3, first 2 shown]
	v_and_b32_e32 v10, 0xffff, v2
	v_lshrrev_b32_e32 v2, 16, v2
	;;#ASMSTART
	v_cvt_f32_f16 v52, v10;
	;;#ASMEND
	;;#ASMSTART
	v_cvt_f32_f16 v53, v2;
	;;#ASMEND
	global_load_dwordx2 v[10:11], v[8:9], off offset:1536
	v_mov_b32_e32 v55, 0
	v_mov_b32_e32 v56, 0
	global_load_dword v54, v55, s[14:15]
	s_waitcnt vmcnt(1)
	v_cmp_ne_u16_sdwa s1, v10, v3 src0_sel:BYTE_0 src1_sel:DWORD
	s_and_saveexec_b32 s12, s1
	s_cbranch_execz .LBB296_949
; %bb.942:                              ;   in Loop: Header=BB296_545 Depth=1
	v_cmp_ne_u16_sdwa s1, v10, v27 src0_sel:BYTE_0 src1_sel:DWORD
	v_mov_b32_e32 v56, 0x8000
	s_and_saveexec_b32 s13, s1
	s_cbranch_execz .LBB296_948
; %bb.943:                              ;   in Loop: Header=BB296_545 Depth=1
	v_and_b32_e32 v57, 0x7f, v10
	v_mov_b32_e32 v56, 0x7c01
	s_mov_b32 s17, exec_lo
	v_cmpx_ne_u32_e32 0x7f, v57
	s_cbranch_execz .LBB296_947
; %bb.944:                              ;   in Loop: Header=BB296_545 Depth=1
	v_and_b32_e32 v2, 7, v10
	v_lshrrev_b32_e32 v56, 3, v57
	s_mov_b32 s18, exec_lo
	v_cmpx_gt_u32_e32 8, v57
; %bb.945:                              ;   in Loop: Header=BB296_545 Depth=1
	v_ffbh_u32_e32 v2, v2
	v_min_u32_e32 v2, 32, v2
	v_subrev_nc_u32_e32 v56, 28, v2
	v_lshlrev_b64 v[57:58], v56, v[10:11]
	v_sub_nc_u32_e32 v56, 29, v2
	v_and_b32_e32 v2, 7, v57
; %bb.946:                              ;   in Loop: Header=BB296_545 Depth=1
	s_or_b32 exec_lo, exec_lo, s18
	v_lshlrev_b32_e32 v57, 8, v10
	v_lshl_add_u32 v56, v56, 10, 0x2000
	v_lshlrev_b32_e32 v2, 7, v2
	v_and_b32_e32 v57, 0x8000, v57
	v_and_b32_e32 v56, 0xfc00, v56
	v_or3_b32 v56, v57, v56, v2
.LBB296_947:                            ;   in Loop: Header=BB296_545 Depth=1
	s_or_b32 exec_lo, exec_lo, s17
.LBB296_948:                            ;   in Loop: Header=BB296_545 Depth=1
	s_or_b32 exec_lo, exec_lo, s13
.LBB296_949:                            ;   in Loop: Header=BB296_545 Depth=1
	s_or_b32 exec_lo, exec_lo, s12
	v_lshrrev_b16 v2, 8, v10
	s_mov_b32 s12, exec_lo
	v_cmpx_ne_u16_e32 0, v2
	s_cbranch_execz .LBB296_957
; %bb.950:                              ;   in Loop: Header=BB296_545 Depth=1
	v_bfrev_b32_e32 v55, 1
	s_mov_b32 s13, exec_lo
	v_cmpx_ne_u16_e32 0x80, v2
	s_cbranch_execz .LBB296_956
; %bb.951:                              ;   in Loop: Header=BB296_545 Depth=1
	v_and_b32_sdwa v58, v2, v28 dst_sel:DWORD dst_unused:UNUSED_PAD src0_sel:WORD_0 src1_sel:DWORD
	v_mov_b32_e32 v55, 0x7c010000
	s_mov_b32 s17, exec_lo
	v_cmpx_ne_u32_e32 0x7f, v58
	s_cbranch_execz .LBB296_955
; %bb.952:                              ;   in Loop: Header=BB296_545 Depth=1
	v_and_b32_sdwa v55, v2, v29 dst_sel:DWORD dst_unused:UNUSED_PAD src0_sel:WORD_0 src1_sel:DWORD
	v_lshrrev_b32_e32 v57, 3, v58
	s_mov_b32 s18, exec_lo
	v_cmpx_gt_u32_e32 8, v58
; %bb.953:                              ;   in Loop: Header=BB296_545 Depth=1
	v_ffbh_u32_e32 v55, v55
	v_min_u32_e32 v55, 32, v55
	v_subrev_nc_u32_e32 v57, 28, v55
	v_lshlrev_b64 v[58:59], v57, v[2:3]
	v_sub_nc_u32_e32 v57, 29, v55
	v_and_b32_e32 v55, 7, v58
; %bb.954:                              ;   in Loop: Header=BB296_545 Depth=1
	s_or_b32 exec_lo, exec_lo, s18
	v_lshlrev_b32_sdwa v2, v30, v2 dst_sel:DWORD dst_unused:UNUSED_PAD src0_sel:DWORD src1_sel:WORD_0
	v_lshl_add_u32 v57, v57, 10, 0x2000
	v_lshlrev_b32_e32 v55, 23, v55
	v_and_or_b32 v2, 0x8000, v2, v57
	v_lshl_or_b32 v55, v2, 16, v55
.LBB296_955:                            ;   in Loop: Header=BB296_545 Depth=1
	s_or_b32 exec_lo, exec_lo, s17
.LBB296_956:                            ;   in Loop: Header=BB296_545 Depth=1
	s_or_b32 exec_lo, exec_lo, s13
.LBB296_957:                            ;   in Loop: Header=BB296_545 Depth=1
	s_or_b32 exec_lo, exec_lo, s12
	v_lshrrev_b32_e32 v2, 16, v10
	v_mov_b32_e32 v57, 0
	v_mov_b32_e32 v58, 0
	v_cmp_ne_u16_sdwa s1, v2, v3 src0_sel:BYTE_0 src1_sel:DWORD
	s_and_saveexec_b32 s12, s1
	s_cbranch_execz .LBB296_965
; %bb.958:                              ;   in Loop: Header=BB296_545 Depth=1
	v_cmp_ne_u16_sdwa s1, v2, v27 src0_sel:BYTE_0 src1_sel:DWORD
	v_mov_b32_e32 v58, 0x8000
	s_and_saveexec_b32 s13, s1
	s_cbranch_execz .LBB296_964
; %bb.959:                              ;   in Loop: Header=BB296_545 Depth=1
	v_bfe_u32 v60, v10, 16, 7
	v_mov_b32_e32 v58, 0x7c01
	s_mov_b32 s17, exec_lo
	v_cmpx_ne_u32_e32 0x7f, v60
	s_cbranch_execz .LBB296_963
; %bb.960:                              ;   in Loop: Header=BB296_545 Depth=1
	v_and_b32_e32 v58, 7, v2
	v_lshrrev_b32_e32 v59, 3, v60
	s_mov_b32 s18, exec_lo
	v_cmpx_gt_u32_e32 8, v60
; %bb.961:                              ;   in Loop: Header=BB296_545 Depth=1
	v_ffbh_u32_e32 v58, v58
	v_min_u32_e32 v60, 32, v58
	v_subrev_nc_u32_e32 v58, 28, v60
	v_lshlrev_b64 v[58:59], v58, v[2:3]
	v_sub_nc_u32_e32 v59, 29, v60
	v_and_b32_e32 v58, 7, v58
; %bb.962:                              ;   in Loop: Header=BB296_545 Depth=1
	s_or_b32 exec_lo, exec_lo, s18
	v_lshlrev_b32_e32 v2, 8, v2
	v_lshl_add_u32 v59, v59, 10, 0x2000
	v_lshlrev_b32_e32 v58, 7, v58
	v_and_b32_e32 v2, 0x8000, v2
	v_and_b32_e32 v59, 0xfc00, v59
	v_or3_b32 v58, v2, v59, v58
.LBB296_963:                            ;   in Loop: Header=BB296_545 Depth=1
	s_or_b32 exec_lo, exec_lo, s17
.LBB296_964:                            ;   in Loop: Header=BB296_545 Depth=1
	s_or_b32 exec_lo, exec_lo, s13
.LBB296_965:                            ;   in Loop: Header=BB296_545 Depth=1
	s_or_b32 exec_lo, exec_lo, s12
	s_mov_b32 s12, exec_lo
	v_cmpx_lt_u32_e32 0xffffff, v10
	s_cbranch_execz .LBB296_973
; %bb.966:                              ;   in Loop: Header=BB296_545 Depth=1
	v_lshrrev_b32_e32 v2, 24, v10
	v_bfrev_b32_e32 v57, 1
	s_mov_b32 s13, exec_lo
	v_cmpx_ne_u32_e32 0x80, v2
	s_cbranch_execz .LBB296_972
; %bb.967:                              ;   in Loop: Header=BB296_545 Depth=1
	v_and_b32_e32 v60, 0x7f, v2
	v_mov_b32_e32 v57, 0x7c010000
	s_mov_b32 s17, exec_lo
	v_cmpx_ne_u32_e32 0x7f, v60
	s_cbranch_execz .LBB296_971
; %bb.968:                              ;   in Loop: Header=BB296_545 Depth=1
	v_and_b32_e32 v57, 7, v2
	v_lshrrev_b32_e32 v59, 3, v60
	s_mov_b32 s18, exec_lo
	v_cmpx_gt_u32_e32 8, v60
; %bb.969:                              ;   in Loop: Header=BB296_545 Depth=1
	v_ffbh_u32_e32 v57, v57
	v_min_u32_e32 v57, 32, v57
	v_subrev_nc_u32_e32 v59, 28, v57
	v_lshlrev_b64 v[60:61], v59, v[2:3]
	v_sub_nc_u32_e32 v59, 29, v57
	v_and_b32_e32 v57, 7, v60
; %bb.970:                              ;   in Loop: Header=BB296_545 Depth=1
	s_or_b32 exec_lo, exec_lo, s18
	v_lshlrev_b32_e32 v2, 8, v2
	v_lshl_add_u32 v59, v59, 10, 0x2000
	v_lshlrev_b32_e32 v57, 23, v57
	v_and_or_b32 v2, 0x8000, v2, v59
	v_lshl_or_b32 v57, v2, 16, v57
.LBB296_971:                            ;   in Loop: Header=BB296_545 Depth=1
	s_or_b32 exec_lo, exec_lo, s17
.LBB296_972:                            ;   in Loop: Header=BB296_545 Depth=1
	s_or_b32 exec_lo, exec_lo, s13
.LBB296_973:                            ;   in Loop: Header=BB296_545 Depth=1
	s_or_b32 exec_lo, exec_lo, s12
	v_mov_b32_e32 v2, v11
	v_cmp_ne_u16_sdwa s1, v11, v3 src0_sel:BYTE_0 src1_sel:DWORD
	v_mov_b32_e32 v59, 0
	v_mov_b32_e32 v60, 0
	s_and_saveexec_b32 s12, s1
	s_cbranch_execz .LBB296_981
; %bb.974:                              ;   in Loop: Header=BB296_545 Depth=1
	v_cmp_ne_u16_sdwa s1, v11, v27 src0_sel:BYTE_0 src1_sel:DWORD
	v_mov_b32_e32 v60, 0x8000
	s_and_saveexec_b32 s13, s1
	s_cbranch_execz .LBB296_980
; %bb.975:                              ;   in Loop: Header=BB296_545 Depth=1
	v_and_b32_e32 v62, 0x7f, v11
	v_mov_b32_e32 v60, 0x7c01
	s_mov_b32 s17, exec_lo
	v_cmpx_ne_u32_e32 0x7f, v62
	s_cbranch_execz .LBB296_979
; %bb.976:                              ;   in Loop: Header=BB296_545 Depth=1
	v_and_b32_e32 v60, 7, v11
	v_lshrrev_b32_e32 v61, 3, v62
	s_mov_b32 s18, exec_lo
	v_cmpx_gt_u32_e32 8, v62
; %bb.977:                              ;   in Loop: Header=BB296_545 Depth=1
	v_ffbh_u32_e32 v60, v60
	v_min_u32_e32 v62, 32, v60
	v_subrev_nc_u32_e32 v60, 28, v62
	v_lshlrev_b64 v[60:61], v60, v[2:3]
	v_sub_nc_u32_e32 v61, 29, v62
	v_and_b32_e32 v60, 7, v60
; %bb.978:                              ;   in Loop: Header=BB296_545 Depth=1
	s_or_b32 exec_lo, exec_lo, s18
	v_lshlrev_b32_e32 v62, 8, v11
	v_lshl_add_u32 v61, v61, 10, 0x2000
	v_lshlrev_b32_e32 v60, 7, v60
	v_and_b32_e32 v62, 0x8000, v62
	v_and_b32_e32 v61, 0xfc00, v61
	v_or3_b32 v60, v62, v61, v60
.LBB296_979:                            ;   in Loop: Header=BB296_545 Depth=1
	s_or_b32 exec_lo, exec_lo, s17
.LBB296_980:                            ;   in Loop: Header=BB296_545 Depth=1
	s_or_b32 exec_lo, exec_lo, s13
.LBB296_981:                            ;   in Loop: Header=BB296_545 Depth=1
	s_or_b32 exec_lo, exec_lo, s12
	v_lshrrev_b16 v2, 8, v2
	v_mov_b32_e32 v61, 0
	s_mov_b32 s12, exec_lo
	v_cmpx_ne_u16_e32 0, v2
	s_cbranch_execz .LBB296_989
; %bb.982:                              ;   in Loop: Header=BB296_545 Depth=1
	v_bfrev_b32_e32 v61, 1
	s_mov_b32 s13, exec_lo
	v_cmpx_ne_u16_e32 0x80, v2
	s_cbranch_execz .LBB296_988
; %bb.983:                              ;   in Loop: Header=BB296_545 Depth=1
	v_and_b32_sdwa v63, v2, v28 dst_sel:DWORD dst_unused:UNUSED_PAD src0_sel:WORD_0 src1_sel:DWORD
	v_mov_b32_e32 v61, 0x7c010000
	s_mov_b32 s17, exec_lo
	v_cmpx_ne_u32_e32 0x7f, v63
	s_cbranch_execz .LBB296_987
; %bb.984:                              ;   in Loop: Header=BB296_545 Depth=1
	v_and_b32_sdwa v61, v2, v29 dst_sel:DWORD dst_unused:UNUSED_PAD src0_sel:WORD_0 src1_sel:DWORD
	v_lshrrev_b32_e32 v62, 3, v63
	s_mov_b32 s18, exec_lo
	v_cmpx_gt_u32_e32 8, v63
; %bb.985:                              ;   in Loop: Header=BB296_545 Depth=1
	v_ffbh_u32_e32 v61, v61
	v_min_u32_e32 v63, 32, v61
	v_subrev_nc_u32_e32 v61, 28, v63
	v_lshlrev_b64 v[61:62], v61, v[2:3]
	v_sub_nc_u32_e32 v62, 29, v63
	v_and_b32_e32 v61, 7, v61
; %bb.986:                              ;   in Loop: Header=BB296_545 Depth=1
	s_or_b32 exec_lo, exec_lo, s18
	v_lshlrev_b32_sdwa v2, v30, v2 dst_sel:DWORD dst_unused:UNUSED_PAD src0_sel:DWORD src1_sel:WORD_0
	v_lshl_add_u32 v62, v62, 10, 0x2000
	v_lshlrev_b32_e32 v61, 23, v61
	v_and_or_b32 v2, 0x8000, v2, v62
	v_lshl_or_b32 v61, v2, 16, v61
.LBB296_987:                            ;   in Loop: Header=BB296_545 Depth=1
	s_or_b32 exec_lo, exec_lo, s17
.LBB296_988:                            ;   in Loop: Header=BB296_545 Depth=1
	s_or_b32 exec_lo, exec_lo, s13
.LBB296_989:                            ;   in Loop: Header=BB296_545 Depth=1
	s_or_b32 exec_lo, exec_lo, s12
	v_lshrrev_b32_e32 v2, 16, v11
	v_cmp_ne_u16_sdwa s1, v2, v3 src0_sel:BYTE_0 src1_sel:DWORD
	s_and_saveexec_b32 s12, s1
	s_cbranch_execz .LBB296_997
; %bb.990:                              ;   in Loop: Header=BB296_545 Depth=1
	v_cmp_ne_u16_sdwa s1, v2, v27 src0_sel:BYTE_0 src1_sel:DWORD
	v_mov_b32_e32 v59, 0x8000
	s_and_saveexec_b32 s13, s1
	s_cbranch_execz .LBB296_996
; %bb.991:                              ;   in Loop: Header=BB296_545 Depth=1
	v_bfe_u32 v63, v11, 16, 7
	v_mov_b32_e32 v59, 0x7c01
	s_mov_b32 s17, exec_lo
	v_cmpx_ne_u32_e32 0x7f, v63
	s_cbranch_execz .LBB296_995
; %bb.992:                              ;   in Loop: Header=BB296_545 Depth=1
	v_and_b32_e32 v59, 7, v2
	v_lshrrev_b32_e32 v62, 3, v63
	s_mov_b32 s18, exec_lo
	v_cmpx_gt_u32_e32 8, v63
; %bb.993:                              ;   in Loop: Header=BB296_545 Depth=1
	v_ffbh_u32_e32 v59, v59
	v_min_u32_e32 v59, 32, v59
	v_subrev_nc_u32_e32 v62, 28, v59
	v_lshlrev_b64 v[63:64], v62, v[2:3]
	v_sub_nc_u32_e32 v62, 29, v59
	v_and_b32_e32 v59, 7, v63
; %bb.994:                              ;   in Loop: Header=BB296_545 Depth=1
	s_or_b32 exec_lo, exec_lo, s18
	v_lshlrev_b32_e32 v2, 8, v2
	v_lshl_add_u32 v62, v62, 10, 0x2000
	v_lshlrev_b32_e32 v59, 7, v59
	v_and_b32_e32 v2, 0x8000, v2
	v_and_b32_e32 v62, 0xfc00, v62
	v_or3_b32 v59, v2, v62, v59
.LBB296_995:                            ;   in Loop: Header=BB296_545 Depth=1
	s_or_b32 exec_lo, exec_lo, s17
.LBB296_996:                            ;   in Loop: Header=BB296_545 Depth=1
	s_or_b32 exec_lo, exec_lo, s13
.LBB296_997:                            ;   in Loop: Header=BB296_545 Depth=1
	s_or_b32 exec_lo, exec_lo, s12
	v_cmp_lt_u64_e64 s1, s[4:5], v[10:11]
	v_mov_b32_e32 v10, 0
	s_and_saveexec_b32 s12, s1
	s_cbranch_execz .LBB296_1005
; %bb.998:                              ;   in Loop: Header=BB296_545 Depth=1
	v_lshrrev_b32_e32 v2, 24, v11
	v_bfrev_b32_e32 v10, 1
	s_mov_b32 s13, exec_lo
	v_cmpx_ne_u32_e32 0x80, v2
	s_cbranch_execz .LBB296_1004
; %bb.999:                              ;   in Loop: Header=BB296_545 Depth=1
	v_and_b32_e32 v62, 0x7f, v2
	v_mov_b32_e32 v10, 0x7c010000
	s_mov_b32 s17, exec_lo
	v_cmpx_ne_u32_e32 0x7f, v62
	s_cbranch_execz .LBB296_1003
; %bb.1000:                             ;   in Loop: Header=BB296_545 Depth=1
	v_and_b32_e32 v10, 7, v2
	v_lshrrev_b32_e32 v11, 3, v62
	s_mov_b32 s18, exec_lo
	v_cmpx_gt_u32_e32 8, v62
; %bb.1001:                             ;   in Loop: Header=BB296_545 Depth=1
	v_ffbh_u32_e32 v10, v10
	v_min_u32_e32 v62, 32, v10
	v_subrev_nc_u32_e32 v10, 28, v62
	v_lshlrev_b64 v[10:11], v10, v[2:3]
	v_sub_nc_u32_e32 v11, 29, v62
	v_and_b32_e32 v10, 7, v10
; %bb.1002:                             ;   in Loop: Header=BB296_545 Depth=1
	s_or_b32 exec_lo, exec_lo, s18
	v_lshlrev_b32_e32 v2, 8, v2
	v_lshl_add_u32 v11, v11, 10, 0x2000
	v_lshlrev_b32_e32 v10, 23, v10
	v_and_or_b32 v2, 0x8000, v2, v11
	v_lshl_or_b32 v10, v2, 16, v10
.LBB296_1003:                           ;   in Loop: Header=BB296_545 Depth=1
	s_or_b32 exec_lo, exec_lo, s17
.LBB296_1004:                           ;   in Loop: Header=BB296_545 Depth=1
	s_or_b32 exec_lo, exec_lo, s13
.LBB296_1005:                           ;   in Loop: Header=BB296_545 Depth=1
	s_or_b32 exec_lo, exec_lo, s12
	v_or_b32_e32 v2, v57, v58
	s_waitcnt vmcnt(0)
	v_fma_mixlo_f16 v11, v54, v57, 0 op_sel:[0,1,0] op_sel_hi:[0,1,0]
	v_or_b32_e32 v57, v55, v56
	v_fma_mixlo_f16 v55, v54, v55, 0 op_sel:[0,1,0] op_sel_hi:[0,1,0]
	v_or_b32_e32 v58, v61, v60
	v_or_b32_e32 v59, v10, v59
	v_fma_mixlo_f16 v60, v54, v2, 0 op_sel_hi:[0,1,0]
	v_fma_mixlo_f16 v10, v54, v10, 0 op_sel:[0,1,0] op_sel_hi:[0,1,0]
	v_lshlrev_b32_e32 v56, 16, v55
	v_fma_mixlo_f16 v55, v54, v57, 0 op_sel_hi:[0,1,0]
	v_fma_mixlo_f16 v57, v54, v61, 0 op_sel:[0,1,0] op_sel_hi:[0,1,0]
	v_fma_mixlo_f16 v58, v54, v58, 0 op_sel_hi:[0,1,0]
	v_fma_mixlo_f16 v59, v54, v59, 0 op_sel_hi:[0,1,0]
	v_lshlrev_b32_e32 v2, 16, v11
	v_and_b32_e32 v11, 0xffff, v60
	v_and_b32_e32 v62, 0xffff, v55
	v_lshlrev_b32_e32 v54, 16, v57
	v_and_b32_e32 v58, 0xffff, v58
	v_lshlrev_b32_e32 v10, 16, v10
	v_and_b32_e32 v55, 0xffff, v59
	v_or_b32_e32 v57, v2, v11
	v_or_b32_e32 v61, v56, v62
	;; [unrolled: 1-line block ×4, first 2 shown]
	s_and_saveexec_b32 s12, vcc_lo
	s_cbranch_execz .LBB296_1007
; %bb.1006:                             ;   in Loop: Header=BB296_545 Depth=1
	v_cmp_gt_i32_e64 s1, s27, v31
	v_cndmask_b32_e64 v57, 0, v62, s1
	v_cmp_gt_i32_e64 s1, s27, v37
	v_cndmask_b32_e64 v56, 0, v56, s1
	v_cmp_gt_i32_e64 s1, s27, v36
	v_or_b32_e32 v61, v56, v57
	v_cndmask_b32_e64 v11, 0, v11, s1
	v_cmp_gt_i32_e64 s1, s27, v35
	v_cndmask_b32_e64 v2, 0, v2, s1
	v_cmp_gt_i32_e64 s1, s27, v34
	v_or_b32_e32 v57, v2, v11
	;; [unrolled: 5-line block ×3, first 2 shown]
	v_cndmask_b32_e64 v55, 0, v55, s1
	v_cmp_gt_i32_e64 s1, s27, v15
	v_cndmask_b32_e64 v10, 0, v10, s1
	v_or_b32_e32 v59, v10, v55
.LBB296_1007:                           ;   in Loop: Header=BB296_545 Depth=1
	s_or_b32 exec_lo, exec_lo, s12
	;;#ASMSTART
	v_pk_mul_f16 v2, v42, v61;

	;;#ASMEND
	;;#ASMSTART
	v_pk_mul_f16 v10, v40, v57;

	;;#ASMEND
	;; [unrolled: 4-line block ×4, first 2 shown]
	;;#ASMSTART
	v_pk_add_f16 v2, v2, v10;

	;;#ASMEND
	;;#ASMSTART
	v_pk_add_f16 v2, v2, v11;

	;;#ASMEND
	;; [unrolled: 4-line block ×3, first 2 shown]
	v_and_b32_e32 v10, 0xffff, v2
	v_lshrrev_b32_e32 v2, 16, v2
	;;#ASMSTART
	v_cvt_f32_f16 v10, v10;
	;;#ASMEND
	;;#ASMSTART
	v_cvt_f32_f16 v11, v2;
	;;#ASMEND
	global_load_dwordx2 v[8:9], v[8:9], off offset:1792
	v_mov_b32_e32 v55, 0
	v_mov_b32_e32 v56, 0
	global_load_dword v54, v55, s[14:15]
	s_waitcnt vmcnt(1)
	v_cmp_ne_u16_sdwa s1, v8, v3 src0_sel:BYTE_0 src1_sel:DWORD
	s_and_saveexec_b32 s12, s1
	s_cbranch_execz .LBB296_1015
; %bb.1008:                             ;   in Loop: Header=BB296_545 Depth=1
	v_cmp_ne_u16_sdwa s1, v8, v27 src0_sel:BYTE_0 src1_sel:DWORD
	v_mov_b32_e32 v56, 0x8000
	s_and_saveexec_b32 s13, s1
	s_cbranch_execz .LBB296_1014
; %bb.1009:                             ;   in Loop: Header=BB296_545 Depth=1
	v_and_b32_e32 v57, 0x7f, v8
	v_mov_b32_e32 v56, 0x7c01
	s_mov_b32 s17, exec_lo
	v_cmpx_ne_u32_e32 0x7f, v57
	s_cbranch_execz .LBB296_1013
; %bb.1010:                             ;   in Loop: Header=BB296_545 Depth=1
	v_and_b32_e32 v2, 7, v8
	v_lshrrev_b32_e32 v56, 3, v57
	s_mov_b32 s18, exec_lo
	v_cmpx_gt_u32_e32 8, v57
; %bb.1011:                             ;   in Loop: Header=BB296_545 Depth=1
	v_ffbh_u32_e32 v2, v2
	v_min_u32_e32 v2, 32, v2
	v_subrev_nc_u32_e32 v56, 28, v2
	v_lshlrev_b64 v[57:58], v56, v[8:9]
	v_sub_nc_u32_e32 v56, 29, v2
	v_and_b32_e32 v2, 7, v57
; %bb.1012:                             ;   in Loop: Header=BB296_545 Depth=1
	s_or_b32 exec_lo, exec_lo, s18
	v_lshlrev_b32_e32 v57, 8, v8
	v_lshl_add_u32 v56, v56, 10, 0x2000
	v_lshlrev_b32_e32 v2, 7, v2
	v_and_b32_e32 v57, 0x8000, v57
	v_and_b32_e32 v56, 0xfc00, v56
	v_or3_b32 v56, v57, v56, v2
.LBB296_1013:                           ;   in Loop: Header=BB296_545 Depth=1
	s_or_b32 exec_lo, exec_lo, s17
.LBB296_1014:                           ;   in Loop: Header=BB296_545 Depth=1
	s_or_b32 exec_lo, exec_lo, s13
.LBB296_1015:                           ;   in Loop: Header=BB296_545 Depth=1
	s_or_b32 exec_lo, exec_lo, s12
	v_lshrrev_b16 v2, 8, v8
	s_mov_b32 s12, exec_lo
	v_cmpx_ne_u16_e32 0, v2
	s_cbranch_execz .LBB296_1023
; %bb.1016:                             ;   in Loop: Header=BB296_545 Depth=1
	v_bfrev_b32_e32 v55, 1
	s_mov_b32 s13, exec_lo
	v_cmpx_ne_u16_e32 0x80, v2
	s_cbranch_execz .LBB296_1022
; %bb.1017:                             ;   in Loop: Header=BB296_545 Depth=1
	v_and_b32_sdwa v58, v2, v28 dst_sel:DWORD dst_unused:UNUSED_PAD src0_sel:WORD_0 src1_sel:DWORD
	v_mov_b32_e32 v55, 0x7c010000
	s_mov_b32 s17, exec_lo
	v_cmpx_ne_u32_e32 0x7f, v58
	s_cbranch_execz .LBB296_1021
; %bb.1018:                             ;   in Loop: Header=BB296_545 Depth=1
	v_and_b32_sdwa v55, v2, v29 dst_sel:DWORD dst_unused:UNUSED_PAD src0_sel:WORD_0 src1_sel:DWORD
	v_lshrrev_b32_e32 v57, 3, v58
	s_mov_b32 s18, exec_lo
	v_cmpx_gt_u32_e32 8, v58
; %bb.1019:                             ;   in Loop: Header=BB296_545 Depth=1
	v_ffbh_u32_e32 v55, v55
	v_min_u32_e32 v55, 32, v55
	v_subrev_nc_u32_e32 v57, 28, v55
	v_lshlrev_b64 v[58:59], v57, v[2:3]
	v_sub_nc_u32_e32 v57, 29, v55
	v_and_b32_e32 v55, 7, v58
; %bb.1020:                             ;   in Loop: Header=BB296_545 Depth=1
	s_or_b32 exec_lo, exec_lo, s18
	v_lshlrev_b32_sdwa v2, v30, v2 dst_sel:DWORD dst_unused:UNUSED_PAD src0_sel:DWORD src1_sel:WORD_0
	v_lshl_add_u32 v57, v57, 10, 0x2000
	v_lshlrev_b32_e32 v55, 23, v55
	v_and_or_b32 v2, 0x8000, v2, v57
	v_lshl_or_b32 v55, v2, 16, v55
.LBB296_1021:                           ;   in Loop: Header=BB296_545 Depth=1
	s_or_b32 exec_lo, exec_lo, s17
.LBB296_1022:                           ;   in Loop: Header=BB296_545 Depth=1
	s_or_b32 exec_lo, exec_lo, s13
.LBB296_1023:                           ;   in Loop: Header=BB296_545 Depth=1
	s_or_b32 exec_lo, exec_lo, s12
	v_lshrrev_b32_e32 v2, 16, v8
	v_mov_b32_e32 v57, 0
	v_mov_b32_e32 v58, 0
	v_cmp_ne_u16_sdwa s1, v2, v3 src0_sel:BYTE_0 src1_sel:DWORD
	s_and_saveexec_b32 s12, s1
	s_cbranch_execz .LBB296_1031
; %bb.1024:                             ;   in Loop: Header=BB296_545 Depth=1
	v_cmp_ne_u16_sdwa s1, v2, v27 src0_sel:BYTE_0 src1_sel:DWORD
	v_mov_b32_e32 v58, 0x8000
	s_and_saveexec_b32 s13, s1
	s_cbranch_execz .LBB296_1030
; %bb.1025:                             ;   in Loop: Header=BB296_545 Depth=1
	v_bfe_u32 v60, v8, 16, 7
	v_mov_b32_e32 v58, 0x7c01
	s_mov_b32 s17, exec_lo
	v_cmpx_ne_u32_e32 0x7f, v60
	s_cbranch_execz .LBB296_1029
; %bb.1026:                             ;   in Loop: Header=BB296_545 Depth=1
	v_and_b32_e32 v58, 7, v2
	v_lshrrev_b32_e32 v59, 3, v60
	s_mov_b32 s18, exec_lo
	v_cmpx_gt_u32_e32 8, v60
; %bb.1027:                             ;   in Loop: Header=BB296_545 Depth=1
	v_ffbh_u32_e32 v58, v58
	v_min_u32_e32 v60, 32, v58
	v_subrev_nc_u32_e32 v58, 28, v60
	v_lshlrev_b64 v[58:59], v58, v[2:3]
	v_sub_nc_u32_e32 v59, 29, v60
	v_and_b32_e32 v58, 7, v58
; %bb.1028:                             ;   in Loop: Header=BB296_545 Depth=1
	s_or_b32 exec_lo, exec_lo, s18
	v_lshlrev_b32_e32 v2, 8, v2
	v_lshl_add_u32 v59, v59, 10, 0x2000
	v_lshlrev_b32_e32 v58, 7, v58
	v_and_b32_e32 v2, 0x8000, v2
	v_and_b32_e32 v59, 0xfc00, v59
	v_or3_b32 v58, v2, v59, v58
.LBB296_1029:                           ;   in Loop: Header=BB296_545 Depth=1
	s_or_b32 exec_lo, exec_lo, s17
.LBB296_1030:                           ;   in Loop: Header=BB296_545 Depth=1
	s_or_b32 exec_lo, exec_lo, s13
.LBB296_1031:                           ;   in Loop: Header=BB296_545 Depth=1
	s_or_b32 exec_lo, exec_lo, s12
	s_mov_b32 s12, exec_lo
	v_cmpx_lt_u32_e32 0xffffff, v8
	s_cbranch_execz .LBB296_1039
; %bb.1032:                             ;   in Loop: Header=BB296_545 Depth=1
	v_lshrrev_b32_e32 v2, 24, v8
	v_bfrev_b32_e32 v57, 1
	s_mov_b32 s13, exec_lo
	v_cmpx_ne_u32_e32 0x80, v2
	s_cbranch_execz .LBB296_1038
; %bb.1033:                             ;   in Loop: Header=BB296_545 Depth=1
	v_and_b32_e32 v60, 0x7f, v2
	v_mov_b32_e32 v57, 0x7c010000
	s_mov_b32 s17, exec_lo
	v_cmpx_ne_u32_e32 0x7f, v60
	s_cbranch_execz .LBB296_1037
; %bb.1034:                             ;   in Loop: Header=BB296_545 Depth=1
	v_and_b32_e32 v57, 7, v2
	v_lshrrev_b32_e32 v59, 3, v60
	s_mov_b32 s18, exec_lo
	v_cmpx_gt_u32_e32 8, v60
; %bb.1035:                             ;   in Loop: Header=BB296_545 Depth=1
	v_ffbh_u32_e32 v57, v57
	v_min_u32_e32 v57, 32, v57
	v_subrev_nc_u32_e32 v59, 28, v57
	v_lshlrev_b64 v[60:61], v59, v[2:3]
	v_sub_nc_u32_e32 v59, 29, v57
	v_and_b32_e32 v57, 7, v60
; %bb.1036:                             ;   in Loop: Header=BB296_545 Depth=1
	s_or_b32 exec_lo, exec_lo, s18
	v_lshlrev_b32_e32 v2, 8, v2
	v_lshl_add_u32 v59, v59, 10, 0x2000
	v_lshlrev_b32_e32 v57, 23, v57
	v_and_or_b32 v2, 0x8000, v2, v59
	v_lshl_or_b32 v57, v2, 16, v57
.LBB296_1037:                           ;   in Loop: Header=BB296_545 Depth=1
	s_or_b32 exec_lo, exec_lo, s17
.LBB296_1038:                           ;   in Loop: Header=BB296_545 Depth=1
	s_or_b32 exec_lo, exec_lo, s13
.LBB296_1039:                           ;   in Loop: Header=BB296_545 Depth=1
	s_or_b32 exec_lo, exec_lo, s12
	v_mov_b32_e32 v2, v9
	v_cmp_ne_u16_sdwa s1, v9, v3 src0_sel:BYTE_0 src1_sel:DWORD
	v_mov_b32_e32 v59, 0
	v_mov_b32_e32 v60, 0
	s_and_saveexec_b32 s12, s1
	s_cbranch_execz .LBB296_1047
; %bb.1040:                             ;   in Loop: Header=BB296_545 Depth=1
	v_cmp_ne_u16_sdwa s1, v9, v27 src0_sel:BYTE_0 src1_sel:DWORD
	v_mov_b32_e32 v60, 0x8000
	s_and_saveexec_b32 s13, s1
	s_cbranch_execz .LBB296_1046
; %bb.1041:                             ;   in Loop: Header=BB296_545 Depth=1
	v_and_b32_e32 v62, 0x7f, v9
	v_mov_b32_e32 v60, 0x7c01
	s_mov_b32 s17, exec_lo
	v_cmpx_ne_u32_e32 0x7f, v62
	s_cbranch_execz .LBB296_1045
; %bb.1042:                             ;   in Loop: Header=BB296_545 Depth=1
	v_and_b32_e32 v60, 7, v9
	v_lshrrev_b32_e32 v61, 3, v62
	s_mov_b32 s18, exec_lo
	v_cmpx_gt_u32_e32 8, v62
; %bb.1043:                             ;   in Loop: Header=BB296_545 Depth=1
	v_ffbh_u32_e32 v60, v60
	v_min_u32_e32 v62, 32, v60
	v_subrev_nc_u32_e32 v60, 28, v62
	v_lshlrev_b64 v[60:61], v60, v[2:3]
	v_sub_nc_u32_e32 v61, 29, v62
	v_and_b32_e32 v60, 7, v60
; %bb.1044:                             ;   in Loop: Header=BB296_545 Depth=1
	s_or_b32 exec_lo, exec_lo, s18
	v_lshlrev_b32_e32 v62, 8, v9
	v_lshl_add_u32 v61, v61, 10, 0x2000
	v_lshlrev_b32_e32 v60, 7, v60
	v_and_b32_e32 v62, 0x8000, v62
	v_and_b32_e32 v61, 0xfc00, v61
	v_or3_b32 v60, v62, v61, v60
.LBB296_1045:                           ;   in Loop: Header=BB296_545 Depth=1
	s_or_b32 exec_lo, exec_lo, s17
.LBB296_1046:                           ;   in Loop: Header=BB296_545 Depth=1
	s_or_b32 exec_lo, exec_lo, s13
.LBB296_1047:                           ;   in Loop: Header=BB296_545 Depth=1
	s_or_b32 exec_lo, exec_lo, s12
	v_lshrrev_b16 v2, 8, v2
	v_mov_b32_e32 v61, 0
	s_mov_b32 s12, exec_lo
	v_cmpx_ne_u16_e32 0, v2
	s_cbranch_execz .LBB296_1055
; %bb.1048:                             ;   in Loop: Header=BB296_545 Depth=1
	v_bfrev_b32_e32 v61, 1
	s_mov_b32 s13, exec_lo
	v_cmpx_ne_u16_e32 0x80, v2
	s_cbranch_execz .LBB296_1054
; %bb.1049:                             ;   in Loop: Header=BB296_545 Depth=1
	v_and_b32_sdwa v63, v2, v28 dst_sel:DWORD dst_unused:UNUSED_PAD src0_sel:WORD_0 src1_sel:DWORD
	v_mov_b32_e32 v61, 0x7c010000
	s_mov_b32 s17, exec_lo
	v_cmpx_ne_u32_e32 0x7f, v63
	s_cbranch_execz .LBB296_1053
; %bb.1050:                             ;   in Loop: Header=BB296_545 Depth=1
	v_and_b32_sdwa v61, v2, v29 dst_sel:DWORD dst_unused:UNUSED_PAD src0_sel:WORD_0 src1_sel:DWORD
	v_lshrrev_b32_e32 v62, 3, v63
	s_mov_b32 s18, exec_lo
	v_cmpx_gt_u32_e32 8, v63
; %bb.1051:                             ;   in Loop: Header=BB296_545 Depth=1
	v_ffbh_u32_e32 v61, v61
	v_min_u32_e32 v63, 32, v61
	v_subrev_nc_u32_e32 v61, 28, v63
	v_lshlrev_b64 v[61:62], v61, v[2:3]
	v_sub_nc_u32_e32 v62, 29, v63
	v_and_b32_e32 v61, 7, v61
; %bb.1052:                             ;   in Loop: Header=BB296_545 Depth=1
	s_or_b32 exec_lo, exec_lo, s18
	v_lshlrev_b32_sdwa v2, v30, v2 dst_sel:DWORD dst_unused:UNUSED_PAD src0_sel:DWORD src1_sel:WORD_0
	v_lshl_add_u32 v62, v62, 10, 0x2000
	v_lshlrev_b32_e32 v61, 23, v61
	v_and_or_b32 v2, 0x8000, v2, v62
	v_lshl_or_b32 v61, v2, 16, v61
.LBB296_1053:                           ;   in Loop: Header=BB296_545 Depth=1
	s_or_b32 exec_lo, exec_lo, s17
.LBB296_1054:                           ;   in Loop: Header=BB296_545 Depth=1
	s_or_b32 exec_lo, exec_lo, s13
.LBB296_1055:                           ;   in Loop: Header=BB296_545 Depth=1
	s_or_b32 exec_lo, exec_lo, s12
	v_lshrrev_b32_e32 v2, 16, v9
	v_cmp_ne_u16_sdwa s1, v2, v3 src0_sel:BYTE_0 src1_sel:DWORD
	s_and_saveexec_b32 s12, s1
	s_cbranch_execz .LBB296_1063
; %bb.1056:                             ;   in Loop: Header=BB296_545 Depth=1
	v_cmp_ne_u16_sdwa s1, v2, v27 src0_sel:BYTE_0 src1_sel:DWORD
	v_mov_b32_e32 v59, 0x8000
	s_and_saveexec_b32 s13, s1
	s_cbranch_execz .LBB296_1062
; %bb.1057:                             ;   in Loop: Header=BB296_545 Depth=1
	v_bfe_u32 v63, v9, 16, 7
	v_mov_b32_e32 v59, 0x7c01
	s_mov_b32 s17, exec_lo
	v_cmpx_ne_u32_e32 0x7f, v63
	s_cbranch_execz .LBB296_1061
; %bb.1058:                             ;   in Loop: Header=BB296_545 Depth=1
	v_and_b32_e32 v59, 7, v2
	v_lshrrev_b32_e32 v62, 3, v63
	s_mov_b32 s18, exec_lo
	v_cmpx_gt_u32_e32 8, v63
; %bb.1059:                             ;   in Loop: Header=BB296_545 Depth=1
	v_ffbh_u32_e32 v59, v59
	v_min_u32_e32 v59, 32, v59
	v_subrev_nc_u32_e32 v62, 28, v59
	v_lshlrev_b64 v[63:64], v62, v[2:3]
	v_sub_nc_u32_e32 v62, 29, v59
	v_and_b32_e32 v59, 7, v63
; %bb.1060:                             ;   in Loop: Header=BB296_545 Depth=1
	s_or_b32 exec_lo, exec_lo, s18
	v_lshlrev_b32_e32 v2, 8, v2
	v_lshl_add_u32 v62, v62, 10, 0x2000
	v_lshlrev_b32_e32 v59, 7, v59
	v_and_b32_e32 v2, 0x8000, v2
	v_and_b32_e32 v62, 0xfc00, v62
	v_or3_b32 v59, v2, v62, v59
.LBB296_1061:                           ;   in Loop: Header=BB296_545 Depth=1
	s_or_b32 exec_lo, exec_lo, s17
.LBB296_1062:                           ;   in Loop: Header=BB296_545 Depth=1
	s_or_b32 exec_lo, exec_lo, s13
.LBB296_1063:                           ;   in Loop: Header=BB296_545 Depth=1
	s_or_b32 exec_lo, exec_lo, s12
	v_cmp_lt_u64_e64 s1, s[4:5], v[8:9]
	v_mov_b32_e32 v8, 0
	s_and_saveexec_b32 s12, s1
	s_cbranch_execz .LBB296_1071
; %bb.1064:                             ;   in Loop: Header=BB296_545 Depth=1
	v_lshrrev_b32_e32 v2, 24, v9
	v_bfrev_b32_e32 v8, 1
	s_mov_b32 s13, exec_lo
	v_cmpx_ne_u32_e32 0x80, v2
	s_cbranch_execz .LBB296_1070
; %bb.1065:                             ;   in Loop: Header=BB296_545 Depth=1
	v_and_b32_e32 v62, 0x7f, v2
	v_mov_b32_e32 v8, 0x7c010000
	s_mov_b32 s17, exec_lo
	v_cmpx_ne_u32_e32 0x7f, v62
	s_cbranch_execz .LBB296_1069
; %bb.1066:                             ;   in Loop: Header=BB296_545 Depth=1
	v_and_b32_e32 v8, 7, v2
	v_lshrrev_b32_e32 v9, 3, v62
	s_mov_b32 s18, exec_lo
	v_cmpx_gt_u32_e32 8, v62
; %bb.1067:                             ;   in Loop: Header=BB296_545 Depth=1
	v_ffbh_u32_e32 v8, v8
	v_min_u32_e32 v62, 32, v8
	v_subrev_nc_u32_e32 v8, 28, v62
	v_lshlrev_b64 v[8:9], v8, v[2:3]
	v_sub_nc_u32_e32 v9, 29, v62
	v_and_b32_e32 v8, 7, v8
; %bb.1068:                             ;   in Loop: Header=BB296_545 Depth=1
	s_or_b32 exec_lo, exec_lo, s18
	v_lshlrev_b32_e32 v2, 8, v2
	v_lshl_add_u32 v9, v9, 10, 0x2000
	v_lshlrev_b32_e32 v8, 23, v8
	v_and_or_b32 v2, 0x8000, v2, v9
	v_lshl_or_b32 v8, v2, 16, v8
.LBB296_1069:                           ;   in Loop: Header=BB296_545 Depth=1
	s_or_b32 exec_lo, exec_lo, s17
.LBB296_1070:                           ;   in Loop: Header=BB296_545 Depth=1
	s_or_b32 exec_lo, exec_lo, s13
.LBB296_1071:                           ;   in Loop: Header=BB296_545 Depth=1
	s_or_b32 exec_lo, exec_lo, s12
	v_or_b32_e32 v2, v57, v58
	s_waitcnt vmcnt(0)
	v_fma_mixlo_f16 v9, v54, v57, 0 op_sel:[0,1,0] op_sel_hi:[0,1,0]
	v_or_b32_e32 v56, v55, v56
	v_fma_mixlo_f16 v57, v54, v55, 0 op_sel:[0,1,0] op_sel_hi:[0,1,0]
	v_or_b32_e32 v58, v61, v60
	v_fma_mixlo_f16 v2, v54, v2, 0 op_sel_hi:[0,1,0]
	v_or_b32_e32 v59, v8, v59
	v_lshlrev_b32_e32 v55, 16, v9
	v_lshlrev_b32_e32 v60, 16, v57
	v_fma_mixlo_f16 v9, v54, v56, 0 op_sel_hi:[0,1,0]
	v_and_b32_e32 v57, 0xffff, v2
	v_fma_mixlo_f16 v2, v54, v61, 0 op_sel:[0,1,0] op_sel_hi:[0,1,0]
	v_fma_mixlo_f16 v56, v54, v58, 0 op_sel_hi:[0,1,0]
	v_fma_mixlo_f16 v8, v54, v8, 0 op_sel:[0,1,0] op_sel_hi:[0,1,0]
	v_fma_mixlo_f16 v54, v54, v59, 0 op_sel_hi:[0,1,0]
	v_and_b32_e32 v62, 0xffff, v9
	v_lshlrev_b32_e32 v58, 16, v2
	v_and_b32_e32 v61, 0xffff, v56
	v_lshlrev_b32_e32 v56, 16, v8
	v_and_b32_e32 v59, 0xffff, v54
	v_or_b32_e32 v2, v55, v57
	v_or_b32_e32 v54, v60, v62
	;; [unrolled: 1-line block ×4, first 2 shown]
	s_and_saveexec_b32 s1, vcc_lo
	s_cbranch_execz .LBB296_544
; %bb.1072:                             ;   in Loop: Header=BB296_545 Depth=1
	v_cmp_gt_i32_e32 vcc_lo, s27, v31
	v_cndmask_b32_e32 v2, 0, v62, vcc_lo
	v_cmp_gt_i32_e32 vcc_lo, s27, v37
	v_cndmask_b32_e32 v8, 0, v60, vcc_lo
	v_cmp_gt_i32_e32 vcc_lo, s27, v36
	v_or_b32_e32 v54, v8, v2
	v_cndmask_b32_e32 v9, 0, v57, vcc_lo
	v_cmp_gt_i32_e32 vcc_lo, s27, v35
	v_cndmask_b32_e32 v31, 0, v55, vcc_lo
	v_cmp_gt_i32_e32 vcc_lo, s27, v34
	v_or_b32_e32 v2, v31, v9
	;; [unrolled: 5-line block ×3, first 2 shown]
	v_cndmask_b32_e32 v32, 0, v59, vcc_lo
	v_cmp_gt_i32_e32 vcc_lo, s27, v15
	v_cndmask_b32_e32 v35, 0, v56, vcc_lo
	v_or_b32_e32 v8, v35, v32
	s_branch .LBB296_544
.LBB296_1073:
	s_or_b32 exec_lo, exec_lo, s9
.LBB296_1074:
	s_or_b32 exec_lo, exec_lo, s3
	ds_bpermute_b32 v1, v17, v24
	ds_bpermute_b32 v2, v17, v25
	;; [unrolled: 1-line block ×8, first 2 shown]
	v_lshrrev_b32_e32 v9, 1, v18
	v_lshlrev_b32_e32 v11, 9, v14
	v_and_b32_e32 v14, 0x3c1, v0
	s_mov_b32 s1, exec_lo
	s_waitcnt lgkmcnt(0)
	s_waitcnt_vscnt null, 0x0
	v_lshl_add_u32 v10, v9, 2, 0x120
	s_barrier
	buffer_gl0_inv
	v_add_f32_e32 v8, v24, v1
	v_add_f32_e32 v7, v25, v2
	;; [unrolled: 1-line block ×8, first 2 shown]
	v_cmpx_eq_u32_e32 64, v14
	s_cbranch_execz .LBB296_1076
; %bb.1075:
	v_add_nc_u32_e32 v14, v10, v11
	v_add_nc_u32_e32 v15, 0xfffffc00, v14
	;; [unrolled: 1-line block ×9, first 2 shown]
	ds_write_b32 v15, v8
	ds_write_b32 v16, v7
	;; [unrolled: 1-line block ×8, first 2 shown]
.LBB296_1076:
	s_or_b32 exec_lo, exec_lo, s1
	v_lshlrev_b32_e32 v9, 2, v9
	s_mov_b32 s3, exec_lo
	v_cmp_eq_u32_e32 vcc_lo, 0, v13
	s_waitcnt lgkmcnt(0)
	s_barrier
	v_add3_u32 v9, 0x120, v11, v9
	buffer_gl0_inv
	v_cmpx_gt_u32_e32 64, v0
	s_cbranch_execz .LBB296_1087
; %bb.1077:
	s_and_saveexec_b32 s1, vcc_lo
	s_cbranch_execnz .LBB296_1103
; %bb.1078:
	s_or_b32 exec_lo, exec_lo, s1
	s_and_saveexec_b32 s1, vcc_lo
	s_cbranch_execnz .LBB296_1104
.LBB296_1079:
	s_or_b32 exec_lo, exec_lo, s1
	s_and_saveexec_b32 s1, vcc_lo
	s_cbranch_execnz .LBB296_1105
.LBB296_1080:
	s_or_b32 exec_lo, exec_lo, s1
	s_and_saveexec_b32 s1, vcc_lo
	s_cbranch_execnz .LBB296_1106
.LBB296_1081:
	s_or_b32 exec_lo, exec_lo, s1
	s_and_saveexec_b32 s1, vcc_lo
	s_cbranch_execnz .LBB296_1107
.LBB296_1082:
	s_or_b32 exec_lo, exec_lo, s1
	s_and_saveexec_b32 s1, vcc_lo
	s_cbranch_execnz .LBB296_1108
.LBB296_1083:
	s_or_b32 exec_lo, exec_lo, s1
	s_and_saveexec_b32 s1, vcc_lo
	s_cbranch_execnz .LBB296_1109
.LBB296_1084:
	s_or_b32 exec_lo, exec_lo, s1
	s_and_saveexec_b32 s1, vcc_lo
	s_cbranch_execz .LBB296_1086
.LBB296_1085:
	ds_read_b32 v11, v9 offset:448
	s_waitcnt lgkmcnt(0)
	v_add_f32_e32 v1, v1, v11
.LBB296_1086:
	s_or_b32 exec_lo, exec_lo, s1
.LBB296_1087:
	s_or_b32 exec_lo, exec_lo, s3
	v_and_b32_e32 v0, 0x3e1, v0
	s_mov_b32 s3, exec_lo
	s_barrier
	buffer_gl0_inv
	v_cmpx_eq_u32_e32 32, v0
	s_cbranch_execz .LBB296_1089
; %bb.1088:
	ds_write2_b32 v10, v8, v7 offset1:16
	ds_write2_b32 v10, v6, v5 offset0:32 offset1:48
	ds_write2_b32 v10, v4, v3 offset0:64 offset1:80
	;; [unrolled: 1-line block ×3, first 2 shown]
.LBB296_1089:
	s_or_b32 exec_lo, exec_lo, s3
	s_waitcnt lgkmcnt(0)
	s_barrier
	buffer_gl0_inv
	s_and_saveexec_b32 s1, s0
	s_cbranch_execz .LBB296_1100
; %bb.1090:
	s_and_saveexec_b32 s0, vcc_lo
	s_cbranch_execnz .LBB296_1110
; %bb.1091:
	s_or_b32 exec_lo, exec_lo, s0
	s_and_saveexec_b32 s0, vcc_lo
	s_cbranch_execnz .LBB296_1111
.LBB296_1092:
	s_or_b32 exec_lo, exec_lo, s0
	s_and_saveexec_b32 s0, vcc_lo
	s_cbranch_execnz .LBB296_1112
.LBB296_1093:
	s_or_b32 exec_lo, exec_lo, s0
	s_and_saveexec_b32 s0, vcc_lo
	s_cbranch_execnz .LBB296_1113
.LBB296_1094:
	s_or_b32 exec_lo, exec_lo, s0
	s_and_saveexec_b32 s0, vcc_lo
	s_cbranch_execnz .LBB296_1114
.LBB296_1095:
	s_or_b32 exec_lo, exec_lo, s0
	s_and_saveexec_b32 s0, vcc_lo
	s_cbranch_execnz .LBB296_1115
.LBB296_1096:
	s_or_b32 exec_lo, exec_lo, s0
	s_and_saveexec_b32 s0, vcc_lo
	s_cbranch_execnz .LBB296_1116
.LBB296_1097:
	s_or_b32 exec_lo, exec_lo, s0
	s_and_saveexec_b32 s0, vcc_lo
	s_cbranch_execz .LBB296_1099
.LBB296_1098:
	ds_read_b32 v9, v9 offset:448
	s_waitcnt lgkmcnt(0)
	v_add_f32_e32 v1, v1, v9
.LBB296_1099:
	s_or_b32 exec_lo, exec_lo, s0
.LBB296_1100:
	s_or_b32 exec_lo, exec_lo, s1
	s_barrier
	buffer_gl0_inv
	s_mov_b32 s0, exec_lo
	v_cmpx_eq_u32_e32 0, v0
	s_cbranch_execz .LBB296_1102
; %bb.1101:
	s_lshl_b32 s0, s2, 7
	s_mul_i32 s2, s7, s10
	s_ashr_i32 s1, s0, 31
	v_lshlrev_b32_e32 v0, 1, v12
	s_lshl_b64 s[0:1], s[0:1], 1
	;;#ASMSTART
	v_cvt_f16_f32 v8, v8;

	;;#ASMEND
	s_add_u32 s4, s24, s0
	s_addc_u32 s5, s25, s1
	s_ashr_i32 s3, s2, 31
	s_lshl_b64 s[0:1], s[2:3], 1
	s_add_u32 s2, s4, s0
	s_addc_u32 s3, s5, s1
	s_lshl_b32 s0, s8, 7
	s_ashr_i32 s1, s0, 31
	s_lshl_b64 s[0:1], s[0:1], 1
	s_add_u32 s0, s2, s0
	s_addc_u32 s1, s3, s1
	global_store_short v0, v8, s[0:1]
	;;#ASMSTART
	v_cvt_f16_f32 v7, v7;

	;;#ASMEND
	global_store_short v0, v7, s[0:1] offset:32
	;;#ASMSTART
	v_cvt_f16_f32 v6, v6;

	;;#ASMEND
	global_store_short v0, v6, s[0:1] offset:64
	;; [unrolled: 5-line block ×7, first 2 shown]
.LBB296_1102:
	s_endpgm
.LBB296_1103:
	ds_read_b32 v11, v9
	s_waitcnt lgkmcnt(0)
	v_add_f32_e32 v8, v8, v11
	s_or_b32 exec_lo, exec_lo, s1
	s_and_saveexec_b32 s1, vcc_lo
	s_cbranch_execz .LBB296_1079
.LBB296_1104:
	ds_read_b32 v11, v9 offset:64
	s_waitcnt lgkmcnt(0)
	v_add_f32_e32 v7, v7, v11
	s_or_b32 exec_lo, exec_lo, s1
	s_and_saveexec_b32 s1, vcc_lo
	s_cbranch_execz .LBB296_1080
.LBB296_1105:
	ds_read_b32 v11, v9 offset:128
	s_waitcnt lgkmcnt(0)
	v_add_f32_e32 v6, v6, v11
	s_or_b32 exec_lo, exec_lo, s1
	s_and_saveexec_b32 s1, vcc_lo
	s_cbranch_execz .LBB296_1081
.LBB296_1106:
	ds_read_b32 v11, v9 offset:192
	s_waitcnt lgkmcnt(0)
	v_add_f32_e32 v5, v5, v11
	s_or_b32 exec_lo, exec_lo, s1
	s_and_saveexec_b32 s1, vcc_lo
	s_cbranch_execz .LBB296_1082
.LBB296_1107:
	ds_read_b32 v11, v9 offset:256
	s_waitcnt lgkmcnt(0)
	v_add_f32_e32 v4, v4, v11
	s_or_b32 exec_lo, exec_lo, s1
	s_and_saveexec_b32 s1, vcc_lo
	s_cbranch_execz .LBB296_1083
.LBB296_1108:
	ds_read_b32 v11, v9 offset:320
	s_waitcnt lgkmcnt(0)
	v_add_f32_e32 v3, v3, v11
	s_or_b32 exec_lo, exec_lo, s1
	s_and_saveexec_b32 s1, vcc_lo
	s_cbranch_execz .LBB296_1084
.LBB296_1109:
	ds_read_b32 v11, v9 offset:384
	s_waitcnt lgkmcnt(0)
	v_add_f32_e32 v2, v2, v11
	s_or_b32 exec_lo, exec_lo, s1
	s_and_saveexec_b32 s1, vcc_lo
	s_cbranch_execnz .LBB296_1085
	s_branch .LBB296_1086
.LBB296_1110:
	ds_read_b32 v10, v9
	s_waitcnt lgkmcnt(0)
	v_add_f32_e32 v8, v8, v10
	s_or_b32 exec_lo, exec_lo, s0
	s_and_saveexec_b32 s0, vcc_lo
	s_cbranch_execz .LBB296_1092
.LBB296_1111:
	ds_read_b32 v10, v9 offset:64
	s_waitcnt lgkmcnt(0)
	v_add_f32_e32 v7, v7, v10
	s_or_b32 exec_lo, exec_lo, s0
	s_and_saveexec_b32 s0, vcc_lo
	s_cbranch_execz .LBB296_1093
.LBB296_1112:
	ds_read_b32 v10, v9 offset:128
	s_waitcnt lgkmcnt(0)
	v_add_f32_e32 v6, v6, v10
	s_or_b32 exec_lo, exec_lo, s0
	s_and_saveexec_b32 s0, vcc_lo
	s_cbranch_execz .LBB296_1094
.LBB296_1113:
	ds_read_b32 v10, v9 offset:192
	s_waitcnt lgkmcnt(0)
	v_add_f32_e32 v5, v5, v10
	s_or_b32 exec_lo, exec_lo, s0
	s_and_saveexec_b32 s0, vcc_lo
	s_cbranch_execz .LBB296_1095
.LBB296_1114:
	ds_read_b32 v10, v9 offset:256
	s_waitcnt lgkmcnt(0)
	v_add_f32_e32 v4, v4, v10
	s_or_b32 exec_lo, exec_lo, s0
	s_and_saveexec_b32 s0, vcc_lo
	s_cbranch_execz .LBB296_1096
.LBB296_1115:
	ds_read_b32 v10, v9 offset:320
	s_waitcnt lgkmcnt(0)
	v_add_f32_e32 v3, v3, v10
	s_or_b32 exec_lo, exec_lo, s0
	s_and_saveexec_b32 s0, vcc_lo
	s_cbranch_execz .LBB296_1097
.LBB296_1116:
	ds_read_b32 v10, v9 offset:384
	s_waitcnt lgkmcnt(0)
	v_add_f32_e32 v2, v2, v10
	s_or_b32 exec_lo, exec_lo, s0
	s_and_saveexec_b32 s0, vcc_lo
	s_cbranch_execnz .LBB296_1098
	s_branch .LBB296_1099
	.section	.rodata,"a",@progbits
	.p2align	6, 0x0
	.amdhsa_kernel _ZN4vllm25paged_attention_v2_kernelIthLi128ELi16ELi128ELNS_18Fp8KVCacheDataTypeE1ELb0ELi512EEEvPfS2_PT_PKS3_PKT0_S9_ifPKiSB_iPKfiiiSD_SD_iiiii
		.amdhsa_group_segment_fixed_size 288
		.amdhsa_private_segment_fixed_size 0
		.amdhsa_kernarg_size 400
		.amdhsa_user_sgpr_count 6
		.amdhsa_user_sgpr_private_segment_buffer 1
		.amdhsa_user_sgpr_dispatch_ptr 0
		.amdhsa_user_sgpr_queue_ptr 0
		.amdhsa_user_sgpr_kernarg_segment_ptr 1
		.amdhsa_user_sgpr_dispatch_id 0
		.amdhsa_user_sgpr_flat_scratch_init 0
		.amdhsa_user_sgpr_private_segment_size 0
		.amdhsa_wavefront_size32 1
		.amdhsa_uses_dynamic_stack 0
		.amdhsa_system_sgpr_private_segment_wavefront_offset 0
		.amdhsa_system_sgpr_workgroup_id_x 1
		.amdhsa_system_sgpr_workgroup_id_y 1
		.amdhsa_system_sgpr_workgroup_id_z 1
		.amdhsa_system_sgpr_workgroup_info 0
		.amdhsa_system_vgpr_workitem_id 0
		.amdhsa_next_free_vgpr 128
		.amdhsa_next_free_sgpr 44
		.amdhsa_reserve_vcc 1
		.amdhsa_reserve_flat_scratch 0
		.amdhsa_float_round_mode_32 0
		.amdhsa_float_round_mode_16_64 0
		.amdhsa_float_denorm_mode_32 3
		.amdhsa_float_denorm_mode_16_64 3
		.amdhsa_dx10_clamp 1
		.amdhsa_ieee_mode 1
		.amdhsa_fp16_overflow 0
		.amdhsa_workgroup_processor_mode 1
		.amdhsa_memory_ordered 1
		.amdhsa_forward_progress 1
		.amdhsa_shared_vgpr_count 0
		.amdhsa_exception_fp_ieee_invalid_op 0
		.amdhsa_exception_fp_denorm_src 0
		.amdhsa_exception_fp_ieee_div_zero 0
		.amdhsa_exception_fp_ieee_overflow 0
		.amdhsa_exception_fp_ieee_underflow 0
		.amdhsa_exception_fp_ieee_inexact 0
		.amdhsa_exception_int_div_zero 0
	.end_amdhsa_kernel
	.section	.text._ZN4vllm25paged_attention_v2_kernelIthLi128ELi16ELi128ELNS_18Fp8KVCacheDataTypeE1ELb0ELi512EEEvPfS2_PT_PKS3_PKT0_S9_ifPKiSB_iPKfiiiSD_SD_iiiii,"axG",@progbits,_ZN4vllm25paged_attention_v2_kernelIthLi128ELi16ELi128ELNS_18Fp8KVCacheDataTypeE1ELb0ELi512EEEvPfS2_PT_PKS3_PKT0_S9_ifPKiSB_iPKfiiiSD_SD_iiiii,comdat
.Lfunc_end296:
	.size	_ZN4vllm25paged_attention_v2_kernelIthLi128ELi16ELi128ELNS_18Fp8KVCacheDataTypeE1ELb0ELi512EEEvPfS2_PT_PKS3_PKT0_S9_ifPKiSB_iPKfiiiSD_SD_iiiii, .Lfunc_end296-_ZN4vllm25paged_attention_v2_kernelIthLi128ELi16ELi128ELNS_18Fp8KVCacheDataTypeE1ELb0ELi512EEEvPfS2_PT_PKS3_PKT0_S9_ifPKiSB_iPKfiiiSD_SD_iiiii
                                        ; -- End function
	.set _ZN4vllm25paged_attention_v2_kernelIthLi128ELi16ELi128ELNS_18Fp8KVCacheDataTypeE1ELb0ELi512EEEvPfS2_PT_PKS3_PKT0_S9_ifPKiSB_iPKfiiiSD_SD_iiiii.num_vgpr, 128
	.set _ZN4vllm25paged_attention_v2_kernelIthLi128ELi16ELi128ELNS_18Fp8KVCacheDataTypeE1ELb0ELi512EEEvPfS2_PT_PKS3_PKT0_S9_ifPKiSB_iPKfiiiSD_SD_iiiii.num_agpr, 0
	.set _ZN4vllm25paged_attention_v2_kernelIthLi128ELi16ELi128ELNS_18Fp8KVCacheDataTypeE1ELb0ELi512EEEvPfS2_PT_PKS3_PKT0_S9_ifPKiSB_iPKfiiiSD_SD_iiiii.numbered_sgpr, 44
	.set _ZN4vllm25paged_attention_v2_kernelIthLi128ELi16ELi128ELNS_18Fp8KVCacheDataTypeE1ELb0ELi512EEEvPfS2_PT_PKS3_PKT0_S9_ifPKiSB_iPKfiiiSD_SD_iiiii.num_named_barrier, 0
	.set _ZN4vllm25paged_attention_v2_kernelIthLi128ELi16ELi128ELNS_18Fp8KVCacheDataTypeE1ELb0ELi512EEEvPfS2_PT_PKS3_PKT0_S9_ifPKiSB_iPKfiiiSD_SD_iiiii.private_seg_size, 0
	.set _ZN4vllm25paged_attention_v2_kernelIthLi128ELi16ELi128ELNS_18Fp8KVCacheDataTypeE1ELb0ELi512EEEvPfS2_PT_PKS3_PKT0_S9_ifPKiSB_iPKfiiiSD_SD_iiiii.uses_vcc, 1
	.set _ZN4vllm25paged_attention_v2_kernelIthLi128ELi16ELi128ELNS_18Fp8KVCacheDataTypeE1ELb0ELi512EEEvPfS2_PT_PKS3_PKT0_S9_ifPKiSB_iPKfiiiSD_SD_iiiii.uses_flat_scratch, 0
	.set _ZN4vllm25paged_attention_v2_kernelIthLi128ELi16ELi128ELNS_18Fp8KVCacheDataTypeE1ELb0ELi512EEEvPfS2_PT_PKS3_PKT0_S9_ifPKiSB_iPKfiiiSD_SD_iiiii.has_dyn_sized_stack, 0
	.set _ZN4vllm25paged_attention_v2_kernelIthLi128ELi16ELi128ELNS_18Fp8KVCacheDataTypeE1ELb0ELi512EEEvPfS2_PT_PKS3_PKT0_S9_ifPKiSB_iPKfiiiSD_SD_iiiii.has_recursion, 0
	.set _ZN4vllm25paged_attention_v2_kernelIthLi128ELi16ELi128ELNS_18Fp8KVCacheDataTypeE1ELb0ELi512EEEvPfS2_PT_PKS3_PKT0_S9_ifPKiSB_iPKfiiiSD_SD_iiiii.has_indirect_call, 0
	.section	.AMDGPU.csdata,"",@progbits
; Kernel info:
; codeLenInByte = 36140
; TotalNumSgprs: 46
; NumVgprs: 128
; ScratchSize: 0
; MemoryBound: 0
; FloatMode: 240
; IeeeMode: 1
; LDSByteSize: 288 bytes/workgroup (compile time only)
; SGPRBlocks: 0
; VGPRBlocks: 15
; NumSGPRsForWavesPerEU: 46
; NumVGPRsForWavesPerEU: 128
; Occupancy: 8
; WaveLimiterHint : 1
; COMPUTE_PGM_RSRC2:SCRATCH_EN: 0
; COMPUTE_PGM_RSRC2:USER_SGPR: 6
; COMPUTE_PGM_RSRC2:TRAP_HANDLER: 0
; COMPUTE_PGM_RSRC2:TGID_X_EN: 1
; COMPUTE_PGM_RSRC2:TGID_Y_EN: 1
; COMPUTE_PGM_RSRC2:TGID_Z_EN: 1
; COMPUTE_PGM_RSRC2:TIDIG_COMP_CNT: 0
	.text
	.p2align	2                               ; -- Begin function _ZN4vllm22paged_attention_kernelIthLi192ELi16ELi128ELNS_18Fp8KVCacheDataTypeE1ELb0ELi512EEEvPfS2_PT_PKS3_PKT0_S9_ifPKiSB_iPKfiiiSD_SD_iiiii
	.type	_ZN4vllm22paged_attention_kernelIthLi192ELi16ELi128ELNS_18Fp8KVCacheDataTypeE1ELb0ELi512EEEvPfS2_PT_PKS3_PKT0_S9_ifPKiSB_iPKfiiiSD_SD_iiiii,@function
_ZN4vllm22paged_attention_kernelIthLi192ELi16ELi128ELNS_18Fp8KVCacheDataTypeE1ELb0ELi512EEEvPfS2_PT_PKS3_PKT0_S9_ifPKiSB_iPKfiiiSD_SD_iiiii: ; @_ZN4vllm22paged_attention_kernelIthLi192ELi16ELi128ELNS_18Fp8KVCacheDataTypeE1ELb0ELi512EEEvPfS2_PT_PKS3_PKT0_S9_ifPKiSB_iPKfiiiSD_SD_iiiii
; %bb.0:
	s_waitcnt vmcnt(0) expcnt(0) lgkmcnt(0)
	buffer_store_dword v40, off, s[0:3], s32 offset:188 ; 4-byte Folded Spill
	buffer_store_dword v41, off, s[0:3], s32 offset:184 ; 4-byte Folded Spill
	;; [unrolled: 1-line block ×47, first 2 shown]
	buffer_store_dword v127, off, s[0:3], s32 ; 4-byte Folded Spill
	s_mov_b32 s18, s13
	s_ashr_i32 s19, s13, 31
	v_mov_b32_e32 v29, v0
	s_lshl_b64 s[4:5], s[18:19], 2
	v_mov_b32_e32 v28, v1
	v_add_co_u32 v0, vcc_lo, v16, s4
	v_add_co_ci_u32_e64 v1, null, s5, v17, vcc_lo
	buffer_store_dword v22, off, s[0:3], s32 offset:192 ; 4-byte Folded Spill
	buffer_store_dword v13, off, s[0:3], s32 offset:208 ; 4-byte Folded Spill
	v_mov_b32_e32 v34, v10
	v_mov_b32_e32 v32, v5
	flat_load_dword v35, v[0:1]
	v_mov_b32_e32 v33, v4
	v_mov_b32_e32 v30, v3
	;; [unrolled: 1-line block ×3, first 2 shown]
	s_lshl_b32 s20, s14, 9
	s_mov_b32 s19, exec_lo
	s_waitcnt vmcnt(0) lgkmcnt(0)
	v_cmpx_lt_i32_e64 s20, v35
	s_cbranch_execz .LBB297_1632
; %bb.1:
	v_sub_nc_u32_e32 v0, 0, v12
	s_clause 0x1
	s_load_dword s4, s[8:9], 0x10
	s_load_dword s5, s[8:9], 0x0
	s_mov_b32 s16, s15
	v_max_i32_e32 v0, v12, v0
	v_cvt_f32_u32_e32 v1, v0
	v_sub_nc_u32_e32 v2, 0, v0
	v_rcp_iflag_f32_e32 v1, v1
	s_waitcnt lgkmcnt(0)
	s_lshr_b32 s4, s4, 16
	s_cmp_lg_u32 s4, 0
	s_cselect_b32 s4, -1, 0
	v_mul_f32_e32 v1, 0x4f7ffffe, v1
	s_cmp_lg_u32 s4, 0
	s_addc_u32 s15, s5, 0
	s_mov_b32 s5, exec_lo
	v_cvt_u32_f32_e32 v1, v1
	s_abs_i32 s4, s15
	v_mul_lo_u32 v2, v2, v1
	v_mul_hi_u32 v2, v1, v2
	v_add_nc_u32_e32 v1, v1, v2
	v_mul_hi_u32 v1, s4, v1
	v_mul_lo_u32 v2, v1, v0
	v_add_nc_u32_e32 v3, 1, v1
	v_sub_nc_u32_e32 v2, s4, v2
	s_abs_i32 s4, s12
	v_sub_nc_u32_e32 v4, v2, v0
	v_cmp_ge_u32_e32 vcc_lo, v2, v0
	v_cndmask_b32_e32 v1, v1, v3, vcc_lo
	v_cndmask_b32_e32 v2, v2, v4, vcc_lo
	v_xor_b32_e32 v3, s15, v12
	v_add_nc_u32_e32 v4, 1, v1
	v_cmp_ge_u32_e32 vcc_lo, v2, v0
	v_ashrrev_i32_e32 v3, 31, v3
	v_cndmask_b32_e32 v0, v1, v4, vcc_lo
	v_xor_b32_e32 v0, v0, v3
	v_sub_nc_u32_e32 v1, v0, v3
	v_sub_nc_u32_e32 v0, 0, v1
	v_max_i32_e32 v0, v1, v0
	v_cvt_f32_u32_e32 v2, v0
	v_sub_nc_u32_e32 v3, 0, v0
	v_rcp_iflag_f32_e32 v2, v2
	v_mul_f32_e32 v2, 0x4f7ffffe, v2
	v_cvt_u32_f32_e32 v2, v2
	v_mul_lo_u32 v3, v3, v2
	v_mul_hi_u32 v3, v2, v3
	v_add_nc_u32_e32 v2, v2, v3
	v_mad_u64_u32 v[16:17], null, s4, v2, 0
	v_mov_b32_e32 v2, 0
	buffer_store_dword v2, off, s[0:3], s32 offset:212 ; 4-byte Folded Spill
	v_cmpx_ne_u64_e32 0, v[19:20]
	s_cbranch_execz .LBB297_3
; %bb.2:
	s_ashr_i32 s13, s12, 31
	s_lshl_b64 s[6:7], s[12:13], 2
	v_add_co_u32 v2, vcc_lo, v19, s6
	v_add_co_ci_u32_e64 v3, null, s7, v20, vcc_lo
	flat_load_dword v2, v[2:3]
	s_waitcnt vmcnt(0) lgkmcnt(0)
	buffer_store_dword v2, off, s[0:3], s32 offset:212 ; 4-byte Folded Spill
.LBB297_3:
	s_or_b32 exec_lo, exec_lo, s5
	v_and_b32_e32 v3, 0x3ff, v31
	v_bfe_u32 v2, v31, 1, 9
	v_ashrrev_i32_e32 v1, 31, v1
	s_ashr_i32 s5, s12, 31
	s_mul_i32 s10, s12, 0xc0
	v_lshlrev_b32_e32 v38, 3, v3
	buffer_store_dword v2, off, s[0:3], s32 offset:224 ; 4-byte Folded Spill
	v_and_b32_e32 v2, 1, v31
	s_mov_b32 s6, exec_lo
	buffer_store_dword v2, off, s[0:3], s32 offset:220 ; 4-byte Folded Spill
	buffer_store_dword v3, off, s[0:3], s32 offset:204 ; 4-byte Folded Spill
	v_cmpx_gt_u32_e32 48, v3
	s_cbranch_execz .LBB297_5
; %bb.4:
	v_mul_lo_u32 v2, v21, s18
	s_ashr_i32 s11, s10, 31
	s_clause 0x1
	buffer_load_dword v4, off, s[0:3], s32 offset:224
	buffer_load_dword v5, off, s[0:3], s32 offset:220
	s_lshl_b64 s[22:23], s[10:11], 1
	v_ashrrev_i32_e32 v3, 31, v2
	v_lshlrev_b64 v[2:3], 1, v[2:3]
	v_add_co_u32 v2, vcc_lo, v6, v2
	v_add_co_ci_u32_e64 v3, null, v7, v3, vcc_lo
	v_add_co_u32 v2, vcc_lo, v2, s22
	v_add_co_ci_u32_e64 v3, null, s23, v3, vcc_lo
	;; [unrolled: 2-line block ×3, first 2 shown]
	flat_load_dwordx2 v[2:3], v[2:3]
	s_waitcnt vmcnt(2)
	v_lshlrev_b32_e32 v4, 3, v4
	s_waitcnt vmcnt(1)
	v_mad_u32_u24 v4, 0xc0, v5, v4
	s_waitcnt vmcnt(0) lgkmcnt(0)
	ds_write_b64 v4, v[2:3]
.LBB297_5:
	s_or_b32 exec_lo, exec_lo, s6
	buffer_load_dword v7, off, s[0:3], s32 offset:204 ; 4-byte Folded Reload
	v_mul_lo_u32 v2, v17, v0
	v_add_nc_u32_e32 v3, 15, v35
	v_add_nc_u32_e32 v5, 1, v17
	v_xor_b32_e32 v1, s5, v1
	s_lshl_b32 s13, s14, 5
	v_mul_lo_u32 v16, v18, s18
	v_ashrrev_i32_e32 v4, 31, v3
	v_mbcnt_lo_u32_b32 v49, -1, 0
	v_sub_nc_u32_e32 v2, s4, v2
	s_add_i32 s4, s13, 32
                                        ; implicit-def: $vgpr19
                                        ; implicit-def: $vgpr12
	v_lshrrev_b32_e32 v4, 28, v4
	v_sub_nc_u32_e32 v6, v2, v0
	v_cmp_ge_u32_e32 vcc_lo, v2, v0
	v_add_nc_u32_e32 v3, v3, v4
	v_cndmask_b32_e32 v5, v17, v5, vcc_lo
	v_cndmask_b32_e32 v2, v2, v6, vcc_lo
	v_ashrrev_i32_e32 v39, 4, v3
	v_ashrrev_i32_e32 v17, 31, v16
	v_add_nc_u32_e32 v4, 1, v5
	v_cmp_ge_u32_e32 vcc_lo, v2, v0
	v_min_i32_e32 v22, s4, v39
	v_cndmask_b32_e32 v0, v5, v4, vcc_lo
	v_xor_b32_e32 v0, v0, v1
	v_sub_nc_u32_e32 v0, v0, v1
	s_waitcnt vmcnt(0)
	v_lshrrev_b32_e32 v7, 5, v7
	v_or_b32_e32 v6, s13, v7
	buffer_store_dword v7, off, s[0:3], s32 offset:216 ; 4-byte Folded Spill
	s_waitcnt lgkmcnt(0)
	s_waitcnt_vscnt null, 0x0
	s_barrier
	buffer_gl0_inv
	v_cmp_ge_i32_e64 s4, v6, v22
	s_and_saveexec_b32 s5, s4
	s_xor_b32 s5, exec_lo, s5
; %bb.6:
	v_mov_b32_e32 v19, 0
	v_mbcnt_lo_u32_b32 v49, -1, 0
	v_mov_b32_e32 v12, 32
                                        ; implicit-def: $vgpr1
                                        ; kill: killed $vgpr1
                                        ; implicit-def: $vgpr1
                                        ; kill: killed $vgpr1
                                        ; implicit-def: $vgpr24
                                        ; implicit-def: $vgpr8
                                        ; implicit-def: $vgpr9
; %bb.7:
	s_or_saveexec_b32 s21, s5
	s_clause 0x1
	s_load_dword s22, s[8:9], 0x14
	s_load_dword s11, s[8:9], 0x8
	v_mul_lo_u32 v23, v0, v23
	v_lshlrev_b64 v[64:65], 2, v[16:17]
	v_mov_b32_e32 v52, 0xff7fffff
	v_ashrrev_i32_e32 v7, 31, v6
	v_ashrrev_i32_e32 v17, 31, v23
	s_xor_b32 exec_lo, exec_lo, s21
	s_cbranch_execz .LBB297_781
; %bb.8:
	buffer_store_dword v39, off, s[0:3], s32 offset:272 ; 4-byte Folded Spill
	buffer_store_dword v38, off, s[0:3], s32 offset:268 ; 4-byte Folded Spill
	;; [unrolled: 1-line block ×10, first 2 shown]
	buffer_load_dword v0, off, s[0:3], s32 offset:204 ; 4-byte Folded Reload
	v_add_co_u32 v1, vcc_lo, v8, v23
	v_add_co_ci_u32_e64 v3, null, v9, v17, vcc_lo
	buffer_store_dword v23, off, s[0:3], s32 offset:284 ; 4-byte Folded Spill
	buffer_store_dword v17, off, s[0:3], s32 offset:288 ; 4-byte Folded Spill
	s_ashr_i32 s17, s16, 31
	v_mov_b32_e32 v19, 0
	s_lshl_b64 s[8:9], s[16:17], 2
	v_mov_b32_e32 v52, 0xff7fffff
	v_mov_b32_e32 v66, 0x80
	;; [unrolled: 1-line block ×6, first 2 shown]
	s_getpc_b64 s[24:25]
	s_add_u32 s24, s24, llvm.amdgcn.dynlds.offset.table@rel32@lo+4
	s_addc_u32 s25, s25, llvm.amdgcn.dynlds.offset.table@rel32@hi+12
	s_add_u32 s8, s24, s8
	s_mov_b32 s17, 0
	s_addc_u32 s9, s25, s9
	s_waitcnt vmcnt(0)
	v_bfe_u32 v2, v0, 1, 4
	v_lshlrev_b32_e32 v0, 4, v2
	v_lshlrev_b32_e32 v4, 2, v2
	v_add_co_u32 v0, vcc_lo, v1, v0
	v_add_co_ci_u32_e64 v1, null, 0, v3, vcc_lo
	buffer_store_dword v0, off, s[0:3], s32 offset:196 ; 4-byte Folded Spill
	buffer_store_dword v1, off, s[0:3], s32 offset:200 ; 4-byte Folded Spill
	buffer_load_dword v0, off, s[0:3], s32 offset:220 ; 4-byte Folded Reload
	s_waitcnt vmcnt(0)
	v_lshlrev_b32_e32 v53, 2, v0
	v_mul_u32_u24_e32 v54, 0xc0, v0
	v_cmp_eq_u32_e32 vcc_lo, 0, v0
	buffer_load_dword v0, off, s[0:3], s32 offset:212 ; 4-byte Folded Reload
	v_or_b32_e32 v55, 8, v53
	s_waitcnt vmcnt(0)
	v_cmp_neq_f32_e64 s5, 0, v0
	v_lshlrev_b64 v[0:1], 2, v[6:7]
	v_add_co_u32 v0, s6, v64, v0
	buffer_store_dword v64, off, s[0:3], s32 offset:276 ; 4-byte Folded Spill
	buffer_store_dword v65, off, s[0:3], s32 offset:280 ; 4-byte Folded Spill
	buffer_load_dword v5, off, s[0:3], s32 offset:216 ; 4-byte Folded Reload
	buffer_store_dword v14, off, s[0:3], s32 offset:240 ; 4-byte Folded Spill
	buffer_store_dword v15, off, s[0:3], s32 offset:236 ; 4-byte Folded Spill
	v_add_co_ci_u32_e64 v1, null, v65, v1, s6
	s_waitcnt vmcnt(0)
	v_lshlrev_b32_e32 v3, 4, v5
	v_add_co_u32 v20, s6, v14, v0
	v_add_co_ci_u32_e64 v21, null, v15, v1, s6
	v_add3_u32 v64, s20, v3, v2
	v_lshl_or_b32 v65, v5, 6, v4
	s_branch .LBB297_10
.LBB297_9:                              ;   in Loop: Header=BB297_10 Depth=1
	s_or_b32 exec_lo, exec_lo, s7
	v_add_nc_u32_e32 v70, 4, v70
	v_add_co_u32 v20, s7, v20, 16
	v_add_co_ci_u32_e64 v21, null, 0, v21, s7
	v_cmp_ge_i32_e64 s6, v70, v22
	v_add_nc_u32_e32 v64, 64, v64
	v_add_nc_u32_e32 v65, 0x100, v65
	s_or_b32 s17, s6, s17
	s_andn2_b32 exec_lo, exec_lo, s17
	s_cbranch_execz .LBB297_780
.LBB297_10:                             ; =>This Inner Loop Header: Depth=1
	flat_load_dword v0, v[20:21]
	s_waitcnt lgkmcnt(0)
	s_clause 0x2
	buffer_load_dword v1, off, s[0:3], s32 offset:192
	buffer_load_dword v2, off, s[0:3], s32 offset:196
	buffer_load_dword v3, off, s[0:3], s32 offset:200
	v_mov_b32_e32 v80, 0
	s_waitcnt vmcnt(0) lgkmcnt(0)
	v_mad_i64_i32 v[28:29], null, v0, v1, v[2:3]
	v_add_co_u32 v30, s6, v28, v53
	v_add_co_ci_u32_e64 v31, null, 0, v29, s6
	flat_load_dword v12, v[30:31]
	flat_load_dword v71, v[24:25]
	s_waitcnt vmcnt(1) lgkmcnt(1)
	v_cmp_ne_u16_sdwa s6, v12, v19 src0_sel:BYTE_0 src1_sel:DWORD
	s_and_saveexec_b32 s7, s6
	s_cbranch_execz .LBB297_18
; %bb.11:                               ;   in Loop: Header=BB297_10 Depth=1
	v_cmp_ne_u16_sdwa s6, v12, v66 src0_sel:BYTE_0 src1_sel:DWORD
	v_mov_b32_e32 v80, 0x8000
	s_and_saveexec_b32 s23, s6
	s_cbranch_execz .LBB297_17
; %bb.12:                               ;   in Loop: Header=BB297_10 Depth=1
	v_and_b32_e32 v2, 0x7f, v12
	v_mov_b32_e32 v80, 0x7c01
	s_mov_b32 s24, exec_lo
	v_cmpx_ne_u32_e32 0x7f, v2
	s_cbranch_execz .LBB297_16
; %bb.13:                               ;   in Loop: Header=BB297_10 Depth=1
	v_and_b32_e32 v0, 7, v12
	v_lshrrev_b32_e32 v1, 3, v2
	s_mov_b32 s25, exec_lo
	v_cmpx_gt_u32_e32 8, v2
; %bb.14:                               ;   in Loop: Header=BB297_10 Depth=1
	v_ffbh_u32_e32 v0, v0
	v_min_u32_e32 v2, 32, v0
	v_subrev_nc_u32_e32 v0, 28, v2
	v_lshlrev_b64 v[0:1], v0, v[12:13]
	v_sub_nc_u32_e32 v1, 29, v2
	v_and_b32_e32 v0, 7, v0
; %bb.15:                               ;   in Loop: Header=BB297_10 Depth=1
	s_or_b32 exec_lo, exec_lo, s25
	v_lshlrev_b32_e32 v2, 8, v12
	v_lshl_add_u32 v1, v1, 10, 0x2000
	v_lshlrev_b32_e32 v0, 7, v0
	v_and_b32_e32 v2, 0x8000, v2
	v_and_b32_e32 v1, 0xfc00, v1
	v_or3_b32 v80, v2, v1, v0
.LBB297_16:                             ;   in Loop: Header=BB297_10 Depth=1
	s_or_b32 exec_lo, exec_lo, s24
.LBB297_17:                             ;   in Loop: Header=BB297_10 Depth=1
	s_or_b32 exec_lo, exec_lo, s23
.LBB297_18:                             ;   in Loop: Header=BB297_10 Depth=1
	s_or_b32 exec_lo, exec_lo, s7
	v_lshrrev_b16 v18, 8, v12
	v_mov_b32_e32 v81, 0
	s_mov_b32 s7, exec_lo
	v_cmpx_ne_u16_e32 0, v18
	s_cbranch_execz .LBB297_26
; %bb.19:                               ;   in Loop: Header=BB297_10 Depth=1
	v_bfrev_b32_e32 v81, 1
	s_mov_b32 s23, exec_lo
	v_cmpx_ne_u16_e32 0x80, v18
	s_cbranch_execz .LBB297_25
; %bb.20:                               ;   in Loop: Header=BB297_10 Depth=1
	v_and_b32_sdwa v2, v18, v67 dst_sel:DWORD dst_unused:UNUSED_PAD src0_sel:WORD_0 src1_sel:DWORD
	v_mov_b32_e32 v81, 0x7c010000
	s_mov_b32 s24, exec_lo
	v_cmpx_ne_u32_e32 0x7f, v2
	s_cbranch_execz .LBB297_24
; %bb.21:                               ;   in Loop: Header=BB297_10 Depth=1
	v_and_b32_sdwa v0, v18, v68 dst_sel:DWORD dst_unused:UNUSED_PAD src0_sel:WORD_0 src1_sel:DWORD
	v_lshrrev_b32_e32 v1, 3, v2
	s_mov_b32 s25, exec_lo
	v_cmpx_gt_u32_e32 8, v2
; %bb.22:                               ;   in Loop: Header=BB297_10 Depth=1
	v_ffbh_u32_e32 v0, v0
	v_min_u32_e32 v2, 32, v0
	v_subrev_nc_u32_e32 v0, 28, v2
	v_lshlrev_b64 v[0:1], v0, v[18:19]
	v_sub_nc_u32_e32 v1, 29, v2
	v_and_b32_e32 v0, 7, v0
; %bb.23:                               ;   in Loop: Header=BB297_10 Depth=1
	s_or_b32 exec_lo, exec_lo, s25
	v_lshlrev_b32_sdwa v2, v69, v18 dst_sel:DWORD dst_unused:UNUSED_PAD src0_sel:DWORD src1_sel:WORD_0
	v_lshl_add_u32 v1, v1, 10, 0x2000
	v_lshlrev_b32_e32 v0, 23, v0
	v_and_or_b32 v1, 0x8000, v2, v1
	v_lshl_or_b32 v81, v1, 16, v0
.LBB297_24:                             ;   in Loop: Header=BB297_10 Depth=1
	s_or_b32 exec_lo, exec_lo, s24
.LBB297_25:                             ;   in Loop: Header=BB297_10 Depth=1
	s_or_b32 exec_lo, exec_lo, s23
.LBB297_26:                             ;   in Loop: Header=BB297_10 Depth=1
	s_or_b32 exec_lo, exec_lo, s7
	v_lshrrev_b32_e32 v18, 16, v12
	v_mov_b32_e32 v82, 0
	v_mov_b32_e32 v83, 0
	v_cmp_ne_u16_sdwa s6, v18, v19 src0_sel:BYTE_0 src1_sel:DWORD
	s_and_saveexec_b32 s7, s6
	s_cbranch_execz .LBB297_34
; %bb.27:                               ;   in Loop: Header=BB297_10 Depth=1
	v_cmp_ne_u16_sdwa s6, v18, v66 src0_sel:BYTE_0 src1_sel:DWORD
	v_mov_b32_e32 v83, 0x8000
	s_and_saveexec_b32 s23, s6
	s_cbranch_execz .LBB297_33
; %bb.28:                               ;   in Loop: Header=BB297_10 Depth=1
	v_bfe_u32 v2, v12, 16, 7
	v_mov_b32_e32 v83, 0x7c01
	s_mov_b32 s24, exec_lo
	v_cmpx_ne_u32_e32 0x7f, v2
	s_cbranch_execz .LBB297_32
; %bb.29:                               ;   in Loop: Header=BB297_10 Depth=1
	v_and_b32_e32 v0, 7, v18
	v_lshrrev_b32_e32 v1, 3, v2
	s_mov_b32 s25, exec_lo
	v_cmpx_gt_u32_e32 8, v2
; %bb.30:                               ;   in Loop: Header=BB297_10 Depth=1
	v_ffbh_u32_e32 v0, v0
	v_min_u32_e32 v2, 32, v0
	v_subrev_nc_u32_e32 v0, 28, v2
	v_lshlrev_b64 v[0:1], v0, v[18:19]
	v_sub_nc_u32_e32 v1, 29, v2
	v_and_b32_e32 v0, 7, v0
; %bb.31:                               ;   in Loop: Header=BB297_10 Depth=1
	s_or_b32 exec_lo, exec_lo, s25
	v_lshlrev_b32_e32 v2, 8, v18
	v_lshl_add_u32 v1, v1, 10, 0x2000
	v_lshlrev_b32_e32 v0, 7, v0
	v_and_b32_e32 v2, 0x8000, v2
	v_and_b32_e32 v1, 0xfc00, v1
	v_or3_b32 v83, v2, v1, v0
.LBB297_32:                             ;   in Loop: Header=BB297_10 Depth=1
	s_or_b32 exec_lo, exec_lo, s24
.LBB297_33:                             ;   in Loop: Header=BB297_10 Depth=1
	s_or_b32 exec_lo, exec_lo, s23
.LBB297_34:                             ;   in Loop: Header=BB297_10 Depth=1
	s_or_b32 exec_lo, exec_lo, s7
	s_mov_b32 s7, exec_lo
	v_cmpx_lt_u32_e32 0xffffff, v12
	s_cbranch_execz .LBB297_42
; %bb.35:                               ;   in Loop: Header=BB297_10 Depth=1
	v_lshrrev_b32_e32 v18, 24, v12
	v_bfrev_b32_e32 v82, 1
	s_mov_b32 s23, exec_lo
	v_cmpx_ne_u32_e32 0x80, v18
	s_cbranch_execz .LBB297_41
; %bb.36:                               ;   in Loop: Header=BB297_10 Depth=1
	v_and_b32_e32 v2, 0x7f, v18
	v_mov_b32_e32 v82, 0x7c010000
	s_mov_b32 s24, exec_lo
	v_cmpx_ne_u32_e32 0x7f, v2
	s_cbranch_execz .LBB297_40
; %bb.37:                               ;   in Loop: Header=BB297_10 Depth=1
	v_and_b32_e32 v0, 7, v18
	v_lshrrev_b32_e32 v1, 3, v2
	s_mov_b32 s25, exec_lo
	v_cmpx_gt_u32_e32 8, v2
; %bb.38:                               ;   in Loop: Header=BB297_10 Depth=1
	v_ffbh_u32_e32 v0, v0
	v_min_u32_e32 v2, 32, v0
	v_subrev_nc_u32_e32 v0, 28, v2
	v_lshlrev_b64 v[0:1], v0, v[18:19]
	v_sub_nc_u32_e32 v1, 29, v2
	v_and_b32_e32 v0, 7, v0
; %bb.39:                               ;   in Loop: Header=BB297_10 Depth=1
	s_or_b32 exec_lo, exec_lo, s25
	v_lshlrev_b32_e32 v2, 8, v18
	v_lshl_add_u32 v1, v1, 10, 0x2000
	v_lshlrev_b32_e32 v0, 23, v0
	v_and_or_b32 v1, 0x8000, v2, v1
	v_lshl_or_b32 v82, v1, 16, v0
.LBB297_40:                             ;   in Loop: Header=BB297_10 Depth=1
	s_or_b32 exec_lo, exec_lo, s24
.LBB297_41:                             ;   in Loop: Header=BB297_10 Depth=1
	s_or_b32 exec_lo, exec_lo, s23
.LBB297_42:                             ;   in Loop: Header=BB297_10 Depth=1
	s_or_b32 exec_lo, exec_lo, s7
	flat_load_dword v12, v[30:31] offset:8
	v_mov_b32_e32 v84, 0
	v_mov_b32_e32 v85, 0
	s_waitcnt vmcnt(0) lgkmcnt(0)
	v_cmp_ne_u16_sdwa s6, v12, v19 src0_sel:BYTE_0 src1_sel:DWORD
	s_and_saveexec_b32 s7, s6
	s_cbranch_execz .LBB297_50
; %bb.43:                               ;   in Loop: Header=BB297_10 Depth=1
	v_cmp_ne_u16_sdwa s6, v12, v66 src0_sel:BYTE_0 src1_sel:DWORD
	v_mov_b32_e32 v85, 0x8000
	s_and_saveexec_b32 s23, s6
	s_cbranch_execz .LBB297_49
; %bb.44:                               ;   in Loop: Header=BB297_10 Depth=1
	v_and_b32_e32 v2, 0x7f, v12
	v_mov_b32_e32 v85, 0x7c01
	s_mov_b32 s24, exec_lo
	v_cmpx_ne_u32_e32 0x7f, v2
	s_cbranch_execz .LBB297_48
; %bb.45:                               ;   in Loop: Header=BB297_10 Depth=1
	v_and_b32_e32 v0, 7, v12
	v_lshrrev_b32_e32 v1, 3, v2
	s_mov_b32 s25, exec_lo
	v_cmpx_gt_u32_e32 8, v2
; %bb.46:                               ;   in Loop: Header=BB297_10 Depth=1
	v_ffbh_u32_e32 v0, v0
	v_min_u32_e32 v2, 32, v0
	v_subrev_nc_u32_e32 v0, 28, v2
	v_lshlrev_b64 v[0:1], v0, v[12:13]
	v_sub_nc_u32_e32 v1, 29, v2
	v_and_b32_e32 v0, 7, v0
; %bb.47:                               ;   in Loop: Header=BB297_10 Depth=1
	s_or_b32 exec_lo, exec_lo, s25
	v_lshlrev_b32_e32 v2, 8, v12
	v_lshl_add_u32 v1, v1, 10, 0x2000
	v_lshlrev_b32_e32 v0, 7, v0
	v_and_b32_e32 v2, 0x8000, v2
	v_and_b32_e32 v1, 0xfc00, v1
	v_or3_b32 v85, v2, v1, v0
.LBB297_48:                             ;   in Loop: Header=BB297_10 Depth=1
	s_or_b32 exec_lo, exec_lo, s24
.LBB297_49:                             ;   in Loop: Header=BB297_10 Depth=1
	s_or_b32 exec_lo, exec_lo, s23
.LBB297_50:                             ;   in Loop: Header=BB297_10 Depth=1
	s_or_b32 exec_lo, exec_lo, s7
	v_lshrrev_b16 v18, 8, v12
	s_mov_b32 s7, exec_lo
	v_cmpx_ne_u16_e32 0, v18
	s_cbranch_execz .LBB297_58
; %bb.51:                               ;   in Loop: Header=BB297_10 Depth=1
	v_bfrev_b32_e32 v84, 1
	s_mov_b32 s23, exec_lo
	v_cmpx_ne_u16_e32 0x80, v18
	s_cbranch_execz .LBB297_57
; %bb.52:                               ;   in Loop: Header=BB297_10 Depth=1
	v_and_b32_sdwa v2, v18, v67 dst_sel:DWORD dst_unused:UNUSED_PAD src0_sel:WORD_0 src1_sel:DWORD
	v_mov_b32_e32 v84, 0x7c010000
	s_mov_b32 s24, exec_lo
	v_cmpx_ne_u32_e32 0x7f, v2
	s_cbranch_execz .LBB297_56
; %bb.53:                               ;   in Loop: Header=BB297_10 Depth=1
	v_and_b32_sdwa v0, v18, v68 dst_sel:DWORD dst_unused:UNUSED_PAD src0_sel:WORD_0 src1_sel:DWORD
	v_lshrrev_b32_e32 v1, 3, v2
	s_mov_b32 s25, exec_lo
	v_cmpx_gt_u32_e32 8, v2
; %bb.54:                               ;   in Loop: Header=BB297_10 Depth=1
	v_ffbh_u32_e32 v0, v0
	v_min_u32_e32 v2, 32, v0
	v_subrev_nc_u32_e32 v0, 28, v2
	v_lshlrev_b64 v[0:1], v0, v[18:19]
	v_sub_nc_u32_e32 v1, 29, v2
	v_and_b32_e32 v0, 7, v0
; %bb.55:                               ;   in Loop: Header=BB297_10 Depth=1
	s_or_b32 exec_lo, exec_lo, s25
	v_lshlrev_b32_sdwa v2, v69, v18 dst_sel:DWORD dst_unused:UNUSED_PAD src0_sel:DWORD src1_sel:WORD_0
	v_lshl_add_u32 v1, v1, 10, 0x2000
	v_lshlrev_b32_e32 v0, 23, v0
	v_and_or_b32 v1, 0x8000, v2, v1
	v_lshl_or_b32 v84, v1, 16, v0
.LBB297_56:                             ;   in Loop: Header=BB297_10 Depth=1
	s_or_b32 exec_lo, exec_lo, s24
.LBB297_57:                             ;   in Loop: Header=BB297_10 Depth=1
	s_or_b32 exec_lo, exec_lo, s23
.LBB297_58:                             ;   in Loop: Header=BB297_10 Depth=1
	s_or_b32 exec_lo, exec_lo, s7
	v_lshrrev_b32_e32 v18, 16, v12
	v_mov_b32_e32 v86, 0
	v_mov_b32_e32 v87, 0
	v_cmp_ne_u16_sdwa s6, v18, v19 src0_sel:BYTE_0 src1_sel:DWORD
	s_and_saveexec_b32 s7, s6
	s_cbranch_execz .LBB297_66
; %bb.59:                               ;   in Loop: Header=BB297_10 Depth=1
	v_cmp_ne_u16_sdwa s6, v18, v66 src0_sel:BYTE_0 src1_sel:DWORD
	v_mov_b32_e32 v87, 0x8000
	s_and_saveexec_b32 s23, s6
	s_cbranch_execz .LBB297_65
; %bb.60:                               ;   in Loop: Header=BB297_10 Depth=1
	v_bfe_u32 v2, v12, 16, 7
	v_mov_b32_e32 v87, 0x7c01
	s_mov_b32 s24, exec_lo
	v_cmpx_ne_u32_e32 0x7f, v2
	s_cbranch_execz .LBB297_64
; %bb.61:                               ;   in Loop: Header=BB297_10 Depth=1
	v_and_b32_e32 v0, 7, v18
	v_lshrrev_b32_e32 v1, 3, v2
	s_mov_b32 s25, exec_lo
	v_cmpx_gt_u32_e32 8, v2
; %bb.62:                               ;   in Loop: Header=BB297_10 Depth=1
	v_ffbh_u32_e32 v0, v0
	v_min_u32_e32 v2, 32, v0
	v_subrev_nc_u32_e32 v0, 28, v2
	v_lshlrev_b64 v[0:1], v0, v[18:19]
	v_sub_nc_u32_e32 v1, 29, v2
	v_and_b32_e32 v0, 7, v0
; %bb.63:                               ;   in Loop: Header=BB297_10 Depth=1
	s_or_b32 exec_lo, exec_lo, s25
	v_lshlrev_b32_e32 v2, 8, v18
	v_lshl_add_u32 v1, v1, 10, 0x2000
	v_lshlrev_b32_e32 v0, 7, v0
	v_and_b32_e32 v2, 0x8000, v2
	v_and_b32_e32 v1, 0xfc00, v1
	v_or3_b32 v87, v2, v1, v0
.LBB297_64:                             ;   in Loop: Header=BB297_10 Depth=1
	s_or_b32 exec_lo, exec_lo, s24
.LBB297_65:                             ;   in Loop: Header=BB297_10 Depth=1
	s_or_b32 exec_lo, exec_lo, s23
.LBB297_66:                             ;   in Loop: Header=BB297_10 Depth=1
	s_or_b32 exec_lo, exec_lo, s7
	s_mov_b32 s7, exec_lo
	v_cmpx_lt_u32_e32 0xffffff, v12
	s_cbranch_execz .LBB297_74
; %bb.67:                               ;   in Loop: Header=BB297_10 Depth=1
	v_lshrrev_b32_e32 v18, 24, v12
	v_bfrev_b32_e32 v86, 1
	s_mov_b32 s23, exec_lo
	v_cmpx_ne_u32_e32 0x80, v18
	s_cbranch_execz .LBB297_73
; %bb.68:                               ;   in Loop: Header=BB297_10 Depth=1
	v_and_b32_e32 v2, 0x7f, v18
	v_mov_b32_e32 v86, 0x7c010000
	s_mov_b32 s24, exec_lo
	v_cmpx_ne_u32_e32 0x7f, v2
	s_cbranch_execz .LBB297_72
; %bb.69:                               ;   in Loop: Header=BB297_10 Depth=1
	v_and_b32_e32 v0, 7, v18
	v_lshrrev_b32_e32 v1, 3, v2
	s_mov_b32 s25, exec_lo
	v_cmpx_gt_u32_e32 8, v2
; %bb.70:                               ;   in Loop: Header=BB297_10 Depth=1
	v_ffbh_u32_e32 v0, v0
	v_min_u32_e32 v2, 32, v0
	v_subrev_nc_u32_e32 v0, 28, v2
	v_lshlrev_b64 v[0:1], v0, v[18:19]
	v_sub_nc_u32_e32 v1, 29, v2
	v_and_b32_e32 v0, 7, v0
; %bb.71:                               ;   in Loop: Header=BB297_10 Depth=1
	s_or_b32 exec_lo, exec_lo, s25
	v_lshlrev_b32_e32 v2, 8, v18
	v_lshl_add_u32 v1, v1, 10, 0x2000
	v_lshlrev_b32_e32 v0, 23, v0
	v_and_or_b32 v1, 0x8000, v2, v1
	v_lshl_or_b32 v86, v1, 16, v0
.LBB297_72:                             ;   in Loop: Header=BB297_10 Depth=1
	s_or_b32 exec_lo, exec_lo, s24
.LBB297_73:                             ;   in Loop: Header=BB297_10 Depth=1
	s_or_b32 exec_lo, exec_lo, s23
.LBB297_74:                             ;   in Loop: Header=BB297_10 Depth=1
	s_or_b32 exec_lo, exec_lo, s7
	flat_load_dword v12, v[30:31] offset:256
	v_mov_b32_e32 v96, 0
	v_mov_b32_e32 v97, 0
	s_waitcnt vmcnt(0) lgkmcnt(0)
	v_cmp_ne_u16_sdwa s6, v12, v19 src0_sel:BYTE_0 src1_sel:DWORD
	s_and_saveexec_b32 s7, s6
	s_cbranch_execz .LBB297_82
; %bb.75:                               ;   in Loop: Header=BB297_10 Depth=1
	v_cmp_ne_u16_sdwa s6, v12, v66 src0_sel:BYTE_0 src1_sel:DWORD
	v_mov_b32_e32 v97, 0x8000
	s_and_saveexec_b32 s23, s6
	s_cbranch_execz .LBB297_81
; %bb.76:                               ;   in Loop: Header=BB297_10 Depth=1
	v_and_b32_e32 v2, 0x7f, v12
	v_mov_b32_e32 v97, 0x7c01
	s_mov_b32 s24, exec_lo
	v_cmpx_ne_u32_e32 0x7f, v2
	s_cbranch_execz .LBB297_80
; %bb.77:                               ;   in Loop: Header=BB297_10 Depth=1
	v_and_b32_e32 v0, 7, v12
	v_lshrrev_b32_e32 v1, 3, v2
	s_mov_b32 s25, exec_lo
	v_cmpx_gt_u32_e32 8, v2
; %bb.78:                               ;   in Loop: Header=BB297_10 Depth=1
	v_ffbh_u32_e32 v0, v0
	v_min_u32_e32 v2, 32, v0
	v_subrev_nc_u32_e32 v0, 28, v2
	v_lshlrev_b64 v[0:1], v0, v[12:13]
	v_sub_nc_u32_e32 v1, 29, v2
	v_and_b32_e32 v0, 7, v0
; %bb.79:                               ;   in Loop: Header=BB297_10 Depth=1
	s_or_b32 exec_lo, exec_lo, s25
	v_lshlrev_b32_e32 v2, 8, v12
	v_lshl_add_u32 v1, v1, 10, 0x2000
	v_lshlrev_b32_e32 v0, 7, v0
	v_and_b32_e32 v2, 0x8000, v2
	v_and_b32_e32 v1, 0xfc00, v1
	v_or3_b32 v97, v2, v1, v0
.LBB297_80:                             ;   in Loop: Header=BB297_10 Depth=1
	s_or_b32 exec_lo, exec_lo, s24
.LBB297_81:                             ;   in Loop: Header=BB297_10 Depth=1
	s_or_b32 exec_lo, exec_lo, s23
.LBB297_82:                             ;   in Loop: Header=BB297_10 Depth=1
	s_or_b32 exec_lo, exec_lo, s7
	v_lshrrev_b16 v18, 8, v12
	s_mov_b32 s7, exec_lo
	v_cmpx_ne_u16_e32 0, v18
	s_cbranch_execz .LBB297_90
; %bb.83:                               ;   in Loop: Header=BB297_10 Depth=1
	v_bfrev_b32_e32 v96, 1
	s_mov_b32 s23, exec_lo
	v_cmpx_ne_u16_e32 0x80, v18
	s_cbranch_execz .LBB297_89
; %bb.84:                               ;   in Loop: Header=BB297_10 Depth=1
	v_and_b32_sdwa v2, v18, v67 dst_sel:DWORD dst_unused:UNUSED_PAD src0_sel:WORD_0 src1_sel:DWORD
	v_mov_b32_e32 v96, 0x7c010000
	s_mov_b32 s24, exec_lo
	v_cmpx_ne_u32_e32 0x7f, v2
	s_cbranch_execz .LBB297_88
; %bb.85:                               ;   in Loop: Header=BB297_10 Depth=1
	v_and_b32_sdwa v0, v18, v68 dst_sel:DWORD dst_unused:UNUSED_PAD src0_sel:WORD_0 src1_sel:DWORD
	v_lshrrev_b32_e32 v1, 3, v2
	s_mov_b32 s25, exec_lo
	v_cmpx_gt_u32_e32 8, v2
; %bb.86:                               ;   in Loop: Header=BB297_10 Depth=1
	v_ffbh_u32_e32 v0, v0
	v_min_u32_e32 v2, 32, v0
	v_subrev_nc_u32_e32 v0, 28, v2
	v_lshlrev_b64 v[0:1], v0, v[18:19]
	v_sub_nc_u32_e32 v1, 29, v2
	v_and_b32_e32 v0, 7, v0
; %bb.87:                               ;   in Loop: Header=BB297_10 Depth=1
	s_or_b32 exec_lo, exec_lo, s25
	v_lshlrev_b32_sdwa v2, v69, v18 dst_sel:DWORD dst_unused:UNUSED_PAD src0_sel:DWORD src1_sel:WORD_0
	v_lshl_add_u32 v1, v1, 10, 0x2000
	v_lshlrev_b32_e32 v0, 23, v0
	v_and_or_b32 v1, 0x8000, v2, v1
	v_lshl_or_b32 v96, v1, 16, v0
.LBB297_88:                             ;   in Loop: Header=BB297_10 Depth=1
	s_or_b32 exec_lo, exec_lo, s24
.LBB297_89:                             ;   in Loop: Header=BB297_10 Depth=1
	s_or_b32 exec_lo, exec_lo, s23
.LBB297_90:                             ;   in Loop: Header=BB297_10 Depth=1
	s_or_b32 exec_lo, exec_lo, s7
	v_lshrrev_b32_e32 v18, 16, v12
	v_mov_b32_e32 v98, 0
	v_mov_b32_e32 v99, 0
	v_cmp_ne_u16_sdwa s6, v18, v19 src0_sel:BYTE_0 src1_sel:DWORD
	s_and_saveexec_b32 s7, s6
	s_cbranch_execz .LBB297_98
; %bb.91:                               ;   in Loop: Header=BB297_10 Depth=1
	v_cmp_ne_u16_sdwa s6, v18, v66 src0_sel:BYTE_0 src1_sel:DWORD
	v_mov_b32_e32 v99, 0x8000
	s_and_saveexec_b32 s23, s6
	s_cbranch_execz .LBB297_97
; %bb.92:                               ;   in Loop: Header=BB297_10 Depth=1
	v_bfe_u32 v2, v12, 16, 7
	v_mov_b32_e32 v99, 0x7c01
	s_mov_b32 s24, exec_lo
	v_cmpx_ne_u32_e32 0x7f, v2
	s_cbranch_execz .LBB297_96
; %bb.93:                               ;   in Loop: Header=BB297_10 Depth=1
	v_and_b32_e32 v0, 7, v18
	v_lshrrev_b32_e32 v1, 3, v2
	s_mov_b32 s25, exec_lo
	v_cmpx_gt_u32_e32 8, v2
; %bb.94:                               ;   in Loop: Header=BB297_10 Depth=1
	v_ffbh_u32_e32 v0, v0
	v_min_u32_e32 v2, 32, v0
	v_subrev_nc_u32_e32 v0, 28, v2
	v_lshlrev_b64 v[0:1], v0, v[18:19]
	v_sub_nc_u32_e32 v1, 29, v2
	v_and_b32_e32 v0, 7, v0
; %bb.95:                               ;   in Loop: Header=BB297_10 Depth=1
	s_or_b32 exec_lo, exec_lo, s25
	v_lshlrev_b32_e32 v2, 8, v18
	v_lshl_add_u32 v1, v1, 10, 0x2000
	v_lshlrev_b32_e32 v0, 7, v0
	v_and_b32_e32 v2, 0x8000, v2
	v_and_b32_e32 v1, 0xfc00, v1
	v_or3_b32 v99, v2, v1, v0
.LBB297_96:                             ;   in Loop: Header=BB297_10 Depth=1
	s_or_b32 exec_lo, exec_lo, s24
.LBB297_97:                             ;   in Loop: Header=BB297_10 Depth=1
	s_or_b32 exec_lo, exec_lo, s23
.LBB297_98:                             ;   in Loop: Header=BB297_10 Depth=1
	s_or_b32 exec_lo, exec_lo, s7
	s_mov_b32 s7, exec_lo
	v_cmpx_lt_u32_e32 0xffffff, v12
	s_cbranch_execz .LBB297_106
; %bb.99:                               ;   in Loop: Header=BB297_10 Depth=1
	v_lshrrev_b32_e32 v18, 24, v12
	v_bfrev_b32_e32 v98, 1
	s_mov_b32 s23, exec_lo
	v_cmpx_ne_u32_e32 0x80, v18
	s_cbranch_execz .LBB297_105
; %bb.100:                              ;   in Loop: Header=BB297_10 Depth=1
	v_and_b32_e32 v2, 0x7f, v18
	v_mov_b32_e32 v98, 0x7c010000
	s_mov_b32 s24, exec_lo
	v_cmpx_ne_u32_e32 0x7f, v2
	s_cbranch_execz .LBB297_104
; %bb.101:                              ;   in Loop: Header=BB297_10 Depth=1
	v_and_b32_e32 v0, 7, v18
	v_lshrrev_b32_e32 v1, 3, v2
	s_mov_b32 s25, exec_lo
	v_cmpx_gt_u32_e32 8, v2
; %bb.102:                              ;   in Loop: Header=BB297_10 Depth=1
	v_ffbh_u32_e32 v0, v0
	v_min_u32_e32 v2, 32, v0
	v_subrev_nc_u32_e32 v0, 28, v2
	v_lshlrev_b64 v[0:1], v0, v[18:19]
	v_sub_nc_u32_e32 v1, 29, v2
	v_and_b32_e32 v0, 7, v0
; %bb.103:                              ;   in Loop: Header=BB297_10 Depth=1
	s_or_b32 exec_lo, exec_lo, s25
	v_lshlrev_b32_e32 v2, 8, v18
	v_lshl_add_u32 v1, v1, 10, 0x2000
	v_lshlrev_b32_e32 v0, 23, v0
	v_and_or_b32 v1, 0x8000, v2, v1
	v_lshl_or_b32 v98, v1, 16, v0
.LBB297_104:                            ;   in Loop: Header=BB297_10 Depth=1
	s_or_b32 exec_lo, exec_lo, s24
.LBB297_105:                            ;   in Loop: Header=BB297_10 Depth=1
	s_or_b32 exec_lo, exec_lo, s23
.LBB297_106:                            ;   in Loop: Header=BB297_10 Depth=1
	s_or_b32 exec_lo, exec_lo, s7
	flat_load_dword v12, v[30:31] offset:264
	v_mov_b32_e32 v100, 0
	v_mov_b32_e32 v101, 0
	s_waitcnt vmcnt(0) lgkmcnt(0)
	v_cmp_ne_u16_sdwa s6, v12, v19 src0_sel:BYTE_0 src1_sel:DWORD
	s_and_saveexec_b32 s7, s6
	s_cbranch_execz .LBB297_114
; %bb.107:                              ;   in Loop: Header=BB297_10 Depth=1
	v_cmp_ne_u16_sdwa s6, v12, v66 src0_sel:BYTE_0 src1_sel:DWORD
	v_mov_b32_e32 v101, 0x8000
	s_and_saveexec_b32 s23, s6
	s_cbranch_execz .LBB297_113
; %bb.108:                              ;   in Loop: Header=BB297_10 Depth=1
	v_and_b32_e32 v2, 0x7f, v12
	v_mov_b32_e32 v101, 0x7c01
	s_mov_b32 s24, exec_lo
	v_cmpx_ne_u32_e32 0x7f, v2
	s_cbranch_execz .LBB297_112
; %bb.109:                              ;   in Loop: Header=BB297_10 Depth=1
	v_and_b32_e32 v0, 7, v12
	v_lshrrev_b32_e32 v1, 3, v2
	s_mov_b32 s25, exec_lo
	v_cmpx_gt_u32_e32 8, v2
; %bb.110:                              ;   in Loop: Header=BB297_10 Depth=1
	v_ffbh_u32_e32 v0, v0
	v_min_u32_e32 v2, 32, v0
	v_subrev_nc_u32_e32 v0, 28, v2
	v_lshlrev_b64 v[0:1], v0, v[12:13]
	v_sub_nc_u32_e32 v1, 29, v2
	v_and_b32_e32 v0, 7, v0
; %bb.111:                              ;   in Loop: Header=BB297_10 Depth=1
	s_or_b32 exec_lo, exec_lo, s25
	v_lshlrev_b32_e32 v2, 8, v12
	v_lshl_add_u32 v1, v1, 10, 0x2000
	v_lshlrev_b32_e32 v0, 7, v0
	v_and_b32_e32 v2, 0x8000, v2
	v_and_b32_e32 v1, 0xfc00, v1
	v_or3_b32 v101, v2, v1, v0
.LBB297_112:                            ;   in Loop: Header=BB297_10 Depth=1
	s_or_b32 exec_lo, exec_lo, s24
.LBB297_113:                            ;   in Loop: Header=BB297_10 Depth=1
	s_or_b32 exec_lo, exec_lo, s23
.LBB297_114:                            ;   in Loop: Header=BB297_10 Depth=1
	s_or_b32 exec_lo, exec_lo, s7
	v_lshrrev_b16 v18, 8, v12
	s_mov_b32 s7, exec_lo
	v_cmpx_ne_u16_e32 0, v18
	s_cbranch_execz .LBB297_122
; %bb.115:                              ;   in Loop: Header=BB297_10 Depth=1
	v_bfrev_b32_e32 v100, 1
	s_mov_b32 s23, exec_lo
	v_cmpx_ne_u16_e32 0x80, v18
	s_cbranch_execz .LBB297_121
; %bb.116:                              ;   in Loop: Header=BB297_10 Depth=1
	v_and_b32_sdwa v2, v18, v67 dst_sel:DWORD dst_unused:UNUSED_PAD src0_sel:WORD_0 src1_sel:DWORD
	v_mov_b32_e32 v100, 0x7c010000
	s_mov_b32 s24, exec_lo
	v_cmpx_ne_u32_e32 0x7f, v2
	s_cbranch_execz .LBB297_120
; %bb.117:                              ;   in Loop: Header=BB297_10 Depth=1
	v_and_b32_sdwa v0, v18, v68 dst_sel:DWORD dst_unused:UNUSED_PAD src0_sel:WORD_0 src1_sel:DWORD
	v_lshrrev_b32_e32 v1, 3, v2
	s_mov_b32 s25, exec_lo
	v_cmpx_gt_u32_e32 8, v2
; %bb.118:                              ;   in Loop: Header=BB297_10 Depth=1
	v_ffbh_u32_e32 v0, v0
	v_min_u32_e32 v2, 32, v0
	v_subrev_nc_u32_e32 v0, 28, v2
	v_lshlrev_b64 v[0:1], v0, v[18:19]
	v_sub_nc_u32_e32 v1, 29, v2
	v_and_b32_e32 v0, 7, v0
; %bb.119:                              ;   in Loop: Header=BB297_10 Depth=1
	s_or_b32 exec_lo, exec_lo, s25
	v_lshlrev_b32_sdwa v2, v69, v18 dst_sel:DWORD dst_unused:UNUSED_PAD src0_sel:DWORD src1_sel:WORD_0
	v_lshl_add_u32 v1, v1, 10, 0x2000
	v_lshlrev_b32_e32 v0, 23, v0
	v_and_or_b32 v1, 0x8000, v2, v1
	v_lshl_or_b32 v100, v1, 16, v0
.LBB297_120:                            ;   in Loop: Header=BB297_10 Depth=1
	s_or_b32 exec_lo, exec_lo, s24
.LBB297_121:                            ;   in Loop: Header=BB297_10 Depth=1
	s_or_b32 exec_lo, exec_lo, s23
.LBB297_122:                            ;   in Loop: Header=BB297_10 Depth=1
	s_or_b32 exec_lo, exec_lo, s7
	v_lshrrev_b32_e32 v18, 16, v12
	v_mov_b32_e32 v102, 0
	v_mov_b32_e32 v103, 0
	v_cmp_ne_u16_sdwa s6, v18, v19 src0_sel:BYTE_0 src1_sel:DWORD
	s_and_saveexec_b32 s7, s6
	s_cbranch_execz .LBB297_130
; %bb.123:                              ;   in Loop: Header=BB297_10 Depth=1
	v_cmp_ne_u16_sdwa s6, v18, v66 src0_sel:BYTE_0 src1_sel:DWORD
	v_mov_b32_e32 v103, 0x8000
	s_and_saveexec_b32 s23, s6
	s_cbranch_execz .LBB297_129
; %bb.124:                              ;   in Loop: Header=BB297_10 Depth=1
	v_bfe_u32 v2, v12, 16, 7
	v_mov_b32_e32 v103, 0x7c01
	s_mov_b32 s24, exec_lo
	v_cmpx_ne_u32_e32 0x7f, v2
	s_cbranch_execz .LBB297_128
; %bb.125:                              ;   in Loop: Header=BB297_10 Depth=1
	v_and_b32_e32 v0, 7, v18
	v_lshrrev_b32_e32 v1, 3, v2
	s_mov_b32 s25, exec_lo
	v_cmpx_gt_u32_e32 8, v2
; %bb.126:                              ;   in Loop: Header=BB297_10 Depth=1
	v_ffbh_u32_e32 v0, v0
	v_min_u32_e32 v2, 32, v0
	v_subrev_nc_u32_e32 v0, 28, v2
	v_lshlrev_b64 v[0:1], v0, v[18:19]
	v_sub_nc_u32_e32 v1, 29, v2
	v_and_b32_e32 v0, 7, v0
; %bb.127:                              ;   in Loop: Header=BB297_10 Depth=1
	s_or_b32 exec_lo, exec_lo, s25
	v_lshlrev_b32_e32 v2, 8, v18
	v_lshl_add_u32 v1, v1, 10, 0x2000
	v_lshlrev_b32_e32 v0, 7, v0
	v_and_b32_e32 v2, 0x8000, v2
	v_and_b32_e32 v1, 0xfc00, v1
	v_or3_b32 v103, v2, v1, v0
.LBB297_128:                            ;   in Loop: Header=BB297_10 Depth=1
	s_or_b32 exec_lo, exec_lo, s24
.LBB297_129:                            ;   in Loop: Header=BB297_10 Depth=1
	s_or_b32 exec_lo, exec_lo, s23
.LBB297_130:                            ;   in Loop: Header=BB297_10 Depth=1
	s_or_b32 exec_lo, exec_lo, s7
	s_mov_b32 s7, exec_lo
	v_cmpx_lt_u32_e32 0xffffff, v12
	s_cbranch_execz .LBB297_138
; %bb.131:                              ;   in Loop: Header=BB297_10 Depth=1
	v_lshrrev_b32_e32 v18, 24, v12
	v_bfrev_b32_e32 v102, 1
	s_mov_b32 s23, exec_lo
	v_cmpx_ne_u32_e32 0x80, v18
	s_cbranch_execz .LBB297_137
; %bb.132:                              ;   in Loop: Header=BB297_10 Depth=1
	v_and_b32_e32 v2, 0x7f, v18
	v_mov_b32_e32 v102, 0x7c010000
	s_mov_b32 s24, exec_lo
	v_cmpx_ne_u32_e32 0x7f, v2
	s_cbranch_execz .LBB297_136
; %bb.133:                              ;   in Loop: Header=BB297_10 Depth=1
	v_and_b32_e32 v0, 7, v18
	v_lshrrev_b32_e32 v1, 3, v2
	s_mov_b32 s25, exec_lo
	v_cmpx_gt_u32_e32 8, v2
; %bb.134:                              ;   in Loop: Header=BB297_10 Depth=1
	v_ffbh_u32_e32 v0, v0
	v_min_u32_e32 v2, 32, v0
	v_subrev_nc_u32_e32 v0, 28, v2
	v_lshlrev_b64 v[0:1], v0, v[18:19]
	v_sub_nc_u32_e32 v1, 29, v2
	v_and_b32_e32 v0, 7, v0
; %bb.135:                              ;   in Loop: Header=BB297_10 Depth=1
	s_or_b32 exec_lo, exec_lo, s25
	v_lshlrev_b32_e32 v2, 8, v18
	v_lshl_add_u32 v1, v1, 10, 0x2000
	v_lshlrev_b32_e32 v0, 23, v0
	v_and_or_b32 v1, 0x8000, v2, v1
	v_lshl_or_b32 v102, v1, 16, v0
.LBB297_136:                            ;   in Loop: Header=BB297_10 Depth=1
	s_or_b32 exec_lo, exec_lo, s24
.LBB297_137:                            ;   in Loop: Header=BB297_10 Depth=1
	s_or_b32 exec_lo, exec_lo, s23
.LBB297_138:                            ;   in Loop: Header=BB297_10 Depth=1
	s_or_b32 exec_lo, exec_lo, s7
	flat_load_dword v12, v[30:31] offset:512
	v_mov_b32_e32 v112, 0
	v_mov_b32_e32 v113, 0
	s_waitcnt vmcnt(0) lgkmcnt(0)
	v_cmp_ne_u16_sdwa s6, v12, v19 src0_sel:BYTE_0 src1_sel:DWORD
	s_and_saveexec_b32 s7, s6
	s_cbranch_execz .LBB297_146
; %bb.139:                              ;   in Loop: Header=BB297_10 Depth=1
	v_cmp_ne_u16_sdwa s6, v12, v66 src0_sel:BYTE_0 src1_sel:DWORD
	v_mov_b32_e32 v113, 0x8000
	s_and_saveexec_b32 s23, s6
	s_cbranch_execz .LBB297_145
; %bb.140:                              ;   in Loop: Header=BB297_10 Depth=1
	v_and_b32_e32 v2, 0x7f, v12
	v_mov_b32_e32 v113, 0x7c01
	s_mov_b32 s24, exec_lo
	v_cmpx_ne_u32_e32 0x7f, v2
	s_cbranch_execz .LBB297_144
; %bb.141:                              ;   in Loop: Header=BB297_10 Depth=1
	v_and_b32_e32 v0, 7, v12
	v_lshrrev_b32_e32 v1, 3, v2
	s_mov_b32 s25, exec_lo
	v_cmpx_gt_u32_e32 8, v2
; %bb.142:                              ;   in Loop: Header=BB297_10 Depth=1
	v_ffbh_u32_e32 v0, v0
	v_min_u32_e32 v2, 32, v0
	v_subrev_nc_u32_e32 v0, 28, v2
	v_lshlrev_b64 v[0:1], v0, v[12:13]
	v_sub_nc_u32_e32 v1, 29, v2
	v_and_b32_e32 v0, 7, v0
; %bb.143:                              ;   in Loop: Header=BB297_10 Depth=1
	s_or_b32 exec_lo, exec_lo, s25
	v_lshlrev_b32_e32 v2, 8, v12
	v_lshl_add_u32 v1, v1, 10, 0x2000
	v_lshlrev_b32_e32 v0, 7, v0
	v_and_b32_e32 v2, 0x8000, v2
	v_and_b32_e32 v1, 0xfc00, v1
	v_or3_b32 v113, v2, v1, v0
.LBB297_144:                            ;   in Loop: Header=BB297_10 Depth=1
	s_or_b32 exec_lo, exec_lo, s24
.LBB297_145:                            ;   in Loop: Header=BB297_10 Depth=1
	s_or_b32 exec_lo, exec_lo, s23
.LBB297_146:                            ;   in Loop: Header=BB297_10 Depth=1
	s_or_b32 exec_lo, exec_lo, s7
	v_lshrrev_b16 v18, 8, v12
	s_mov_b32 s7, exec_lo
	v_cmpx_ne_u16_e32 0, v18
	s_cbranch_execz .LBB297_154
; %bb.147:                              ;   in Loop: Header=BB297_10 Depth=1
	v_bfrev_b32_e32 v112, 1
	s_mov_b32 s23, exec_lo
	v_cmpx_ne_u16_e32 0x80, v18
	s_cbranch_execz .LBB297_153
; %bb.148:                              ;   in Loop: Header=BB297_10 Depth=1
	v_and_b32_sdwa v2, v18, v67 dst_sel:DWORD dst_unused:UNUSED_PAD src0_sel:WORD_0 src1_sel:DWORD
	v_mov_b32_e32 v112, 0x7c010000
	s_mov_b32 s24, exec_lo
	v_cmpx_ne_u32_e32 0x7f, v2
	s_cbranch_execz .LBB297_152
; %bb.149:                              ;   in Loop: Header=BB297_10 Depth=1
	v_and_b32_sdwa v0, v18, v68 dst_sel:DWORD dst_unused:UNUSED_PAD src0_sel:WORD_0 src1_sel:DWORD
	v_lshrrev_b32_e32 v1, 3, v2
	s_mov_b32 s25, exec_lo
	v_cmpx_gt_u32_e32 8, v2
; %bb.150:                              ;   in Loop: Header=BB297_10 Depth=1
	v_ffbh_u32_e32 v0, v0
	v_min_u32_e32 v2, 32, v0
	v_subrev_nc_u32_e32 v0, 28, v2
	v_lshlrev_b64 v[0:1], v0, v[18:19]
	v_sub_nc_u32_e32 v1, 29, v2
	v_and_b32_e32 v0, 7, v0
; %bb.151:                              ;   in Loop: Header=BB297_10 Depth=1
	s_or_b32 exec_lo, exec_lo, s25
	v_lshlrev_b32_sdwa v2, v69, v18 dst_sel:DWORD dst_unused:UNUSED_PAD src0_sel:DWORD src1_sel:WORD_0
	v_lshl_add_u32 v1, v1, 10, 0x2000
	v_lshlrev_b32_e32 v0, 23, v0
	v_and_or_b32 v1, 0x8000, v2, v1
	v_lshl_or_b32 v112, v1, 16, v0
.LBB297_152:                            ;   in Loop: Header=BB297_10 Depth=1
	s_or_b32 exec_lo, exec_lo, s24
.LBB297_153:                            ;   in Loop: Header=BB297_10 Depth=1
	s_or_b32 exec_lo, exec_lo, s23
.LBB297_154:                            ;   in Loop: Header=BB297_10 Depth=1
	s_or_b32 exec_lo, exec_lo, s7
	v_lshrrev_b32_e32 v18, 16, v12
	v_mov_b32_e32 v114, 0
	v_mov_b32_e32 v115, 0
	v_cmp_ne_u16_sdwa s6, v18, v19 src0_sel:BYTE_0 src1_sel:DWORD
	s_and_saveexec_b32 s7, s6
	s_cbranch_execz .LBB297_162
; %bb.155:                              ;   in Loop: Header=BB297_10 Depth=1
	v_cmp_ne_u16_sdwa s6, v18, v66 src0_sel:BYTE_0 src1_sel:DWORD
	v_mov_b32_e32 v115, 0x8000
	s_and_saveexec_b32 s23, s6
	s_cbranch_execz .LBB297_161
; %bb.156:                              ;   in Loop: Header=BB297_10 Depth=1
	v_bfe_u32 v2, v12, 16, 7
	v_mov_b32_e32 v115, 0x7c01
	s_mov_b32 s24, exec_lo
	v_cmpx_ne_u32_e32 0x7f, v2
	s_cbranch_execz .LBB297_160
; %bb.157:                              ;   in Loop: Header=BB297_10 Depth=1
	v_and_b32_e32 v0, 7, v18
	v_lshrrev_b32_e32 v1, 3, v2
	s_mov_b32 s25, exec_lo
	v_cmpx_gt_u32_e32 8, v2
; %bb.158:                              ;   in Loop: Header=BB297_10 Depth=1
	v_ffbh_u32_e32 v0, v0
	v_min_u32_e32 v2, 32, v0
	v_subrev_nc_u32_e32 v0, 28, v2
	v_lshlrev_b64 v[0:1], v0, v[18:19]
	v_sub_nc_u32_e32 v1, 29, v2
	v_and_b32_e32 v0, 7, v0
; %bb.159:                              ;   in Loop: Header=BB297_10 Depth=1
	s_or_b32 exec_lo, exec_lo, s25
	v_lshlrev_b32_e32 v2, 8, v18
	v_lshl_add_u32 v1, v1, 10, 0x2000
	v_lshlrev_b32_e32 v0, 7, v0
	v_and_b32_e32 v2, 0x8000, v2
	v_and_b32_e32 v1, 0xfc00, v1
	v_or3_b32 v115, v2, v1, v0
.LBB297_160:                            ;   in Loop: Header=BB297_10 Depth=1
	s_or_b32 exec_lo, exec_lo, s24
.LBB297_161:                            ;   in Loop: Header=BB297_10 Depth=1
	s_or_b32 exec_lo, exec_lo, s23
.LBB297_162:                            ;   in Loop: Header=BB297_10 Depth=1
	s_or_b32 exec_lo, exec_lo, s7
	s_mov_b32 s7, exec_lo
	v_cmpx_lt_u32_e32 0xffffff, v12
	s_cbranch_execz .LBB297_170
; %bb.163:                              ;   in Loop: Header=BB297_10 Depth=1
	v_lshrrev_b32_e32 v18, 24, v12
	v_bfrev_b32_e32 v114, 1
	s_mov_b32 s23, exec_lo
	v_cmpx_ne_u32_e32 0x80, v18
	s_cbranch_execz .LBB297_169
; %bb.164:                              ;   in Loop: Header=BB297_10 Depth=1
	v_and_b32_e32 v2, 0x7f, v18
	v_mov_b32_e32 v114, 0x7c010000
	s_mov_b32 s24, exec_lo
	v_cmpx_ne_u32_e32 0x7f, v2
	s_cbranch_execz .LBB297_168
; %bb.165:                              ;   in Loop: Header=BB297_10 Depth=1
	v_and_b32_e32 v0, 7, v18
	v_lshrrev_b32_e32 v1, 3, v2
	s_mov_b32 s25, exec_lo
	v_cmpx_gt_u32_e32 8, v2
; %bb.166:                              ;   in Loop: Header=BB297_10 Depth=1
	v_ffbh_u32_e32 v0, v0
	v_min_u32_e32 v2, 32, v0
	v_subrev_nc_u32_e32 v0, 28, v2
	v_lshlrev_b64 v[0:1], v0, v[18:19]
	v_sub_nc_u32_e32 v1, 29, v2
	v_and_b32_e32 v0, 7, v0
; %bb.167:                              ;   in Loop: Header=BB297_10 Depth=1
	s_or_b32 exec_lo, exec_lo, s25
	v_lshlrev_b32_e32 v2, 8, v18
	v_lshl_add_u32 v1, v1, 10, 0x2000
	v_lshlrev_b32_e32 v0, 23, v0
	v_and_or_b32 v1, 0x8000, v2, v1
	v_lshl_or_b32 v114, v1, 16, v0
.LBB297_168:                            ;   in Loop: Header=BB297_10 Depth=1
	s_or_b32 exec_lo, exec_lo, s24
.LBB297_169:                            ;   in Loop: Header=BB297_10 Depth=1
	s_or_b32 exec_lo, exec_lo, s23
.LBB297_170:                            ;   in Loop: Header=BB297_10 Depth=1
	s_or_b32 exec_lo, exec_lo, s7
	flat_load_dword v12, v[30:31] offset:520
	v_mov_b32_e32 v116, 0
	v_mov_b32_e32 v117, 0
	s_waitcnt vmcnt(0) lgkmcnt(0)
	v_cmp_ne_u16_sdwa s6, v12, v19 src0_sel:BYTE_0 src1_sel:DWORD
	s_and_saveexec_b32 s7, s6
	s_cbranch_execz .LBB297_178
; %bb.171:                              ;   in Loop: Header=BB297_10 Depth=1
	v_cmp_ne_u16_sdwa s6, v12, v66 src0_sel:BYTE_0 src1_sel:DWORD
	v_mov_b32_e32 v117, 0x8000
	s_and_saveexec_b32 s23, s6
	s_cbranch_execz .LBB297_177
; %bb.172:                              ;   in Loop: Header=BB297_10 Depth=1
	v_and_b32_e32 v2, 0x7f, v12
	v_mov_b32_e32 v117, 0x7c01
	s_mov_b32 s24, exec_lo
	v_cmpx_ne_u32_e32 0x7f, v2
	s_cbranch_execz .LBB297_176
; %bb.173:                              ;   in Loop: Header=BB297_10 Depth=1
	v_and_b32_e32 v0, 7, v12
	v_lshrrev_b32_e32 v1, 3, v2
	s_mov_b32 s25, exec_lo
	v_cmpx_gt_u32_e32 8, v2
; %bb.174:                              ;   in Loop: Header=BB297_10 Depth=1
	v_ffbh_u32_e32 v0, v0
	v_min_u32_e32 v2, 32, v0
	v_subrev_nc_u32_e32 v0, 28, v2
	v_lshlrev_b64 v[0:1], v0, v[12:13]
	v_sub_nc_u32_e32 v1, 29, v2
	v_and_b32_e32 v0, 7, v0
; %bb.175:                              ;   in Loop: Header=BB297_10 Depth=1
	s_or_b32 exec_lo, exec_lo, s25
	v_lshlrev_b32_e32 v2, 8, v12
	v_lshl_add_u32 v1, v1, 10, 0x2000
	v_lshlrev_b32_e32 v0, 7, v0
	v_and_b32_e32 v2, 0x8000, v2
	v_and_b32_e32 v1, 0xfc00, v1
	v_or3_b32 v117, v2, v1, v0
.LBB297_176:                            ;   in Loop: Header=BB297_10 Depth=1
	s_or_b32 exec_lo, exec_lo, s24
.LBB297_177:                            ;   in Loop: Header=BB297_10 Depth=1
	s_or_b32 exec_lo, exec_lo, s23
.LBB297_178:                            ;   in Loop: Header=BB297_10 Depth=1
	s_or_b32 exec_lo, exec_lo, s7
	v_lshrrev_b16 v18, 8, v12
	s_mov_b32 s7, exec_lo
	v_cmpx_ne_u16_e32 0, v18
	s_cbranch_execz .LBB297_186
; %bb.179:                              ;   in Loop: Header=BB297_10 Depth=1
	v_bfrev_b32_e32 v116, 1
	s_mov_b32 s23, exec_lo
	v_cmpx_ne_u16_e32 0x80, v18
	s_cbranch_execz .LBB297_185
; %bb.180:                              ;   in Loop: Header=BB297_10 Depth=1
	v_and_b32_sdwa v2, v18, v67 dst_sel:DWORD dst_unused:UNUSED_PAD src0_sel:WORD_0 src1_sel:DWORD
	v_mov_b32_e32 v116, 0x7c010000
	s_mov_b32 s24, exec_lo
	v_cmpx_ne_u32_e32 0x7f, v2
	s_cbranch_execz .LBB297_184
; %bb.181:                              ;   in Loop: Header=BB297_10 Depth=1
	v_and_b32_sdwa v0, v18, v68 dst_sel:DWORD dst_unused:UNUSED_PAD src0_sel:WORD_0 src1_sel:DWORD
	v_lshrrev_b32_e32 v1, 3, v2
	s_mov_b32 s25, exec_lo
	v_cmpx_gt_u32_e32 8, v2
; %bb.182:                              ;   in Loop: Header=BB297_10 Depth=1
	v_ffbh_u32_e32 v0, v0
	v_min_u32_e32 v2, 32, v0
	v_subrev_nc_u32_e32 v0, 28, v2
	v_lshlrev_b64 v[0:1], v0, v[18:19]
	v_sub_nc_u32_e32 v1, 29, v2
	v_and_b32_e32 v0, 7, v0
; %bb.183:                              ;   in Loop: Header=BB297_10 Depth=1
	s_or_b32 exec_lo, exec_lo, s25
	v_lshlrev_b32_sdwa v2, v69, v18 dst_sel:DWORD dst_unused:UNUSED_PAD src0_sel:DWORD src1_sel:WORD_0
	v_lshl_add_u32 v1, v1, 10, 0x2000
	v_lshlrev_b32_e32 v0, 23, v0
	v_and_or_b32 v1, 0x8000, v2, v1
	v_lshl_or_b32 v116, v1, 16, v0
.LBB297_184:                            ;   in Loop: Header=BB297_10 Depth=1
	s_or_b32 exec_lo, exec_lo, s24
.LBB297_185:                            ;   in Loop: Header=BB297_10 Depth=1
	s_or_b32 exec_lo, exec_lo, s23
.LBB297_186:                            ;   in Loop: Header=BB297_10 Depth=1
	s_or_b32 exec_lo, exec_lo, s7
	v_lshrrev_b32_e32 v18, 16, v12
	v_mov_b32_e32 v118, 0
	v_mov_b32_e32 v119, 0
	v_cmp_ne_u16_sdwa s6, v18, v19 src0_sel:BYTE_0 src1_sel:DWORD
	s_and_saveexec_b32 s7, s6
	s_cbranch_execz .LBB297_194
; %bb.187:                              ;   in Loop: Header=BB297_10 Depth=1
	v_cmp_ne_u16_sdwa s6, v18, v66 src0_sel:BYTE_0 src1_sel:DWORD
	v_mov_b32_e32 v119, 0x8000
	s_and_saveexec_b32 s23, s6
	s_cbranch_execz .LBB297_193
; %bb.188:                              ;   in Loop: Header=BB297_10 Depth=1
	v_bfe_u32 v2, v12, 16, 7
	v_mov_b32_e32 v119, 0x7c01
	s_mov_b32 s24, exec_lo
	v_cmpx_ne_u32_e32 0x7f, v2
	s_cbranch_execz .LBB297_192
; %bb.189:                              ;   in Loop: Header=BB297_10 Depth=1
	v_and_b32_e32 v0, 7, v18
	v_lshrrev_b32_e32 v1, 3, v2
	s_mov_b32 s25, exec_lo
	v_cmpx_gt_u32_e32 8, v2
; %bb.190:                              ;   in Loop: Header=BB297_10 Depth=1
	v_ffbh_u32_e32 v0, v0
	v_min_u32_e32 v2, 32, v0
	v_subrev_nc_u32_e32 v0, 28, v2
	v_lshlrev_b64 v[0:1], v0, v[18:19]
	v_sub_nc_u32_e32 v1, 29, v2
	v_and_b32_e32 v0, 7, v0
; %bb.191:                              ;   in Loop: Header=BB297_10 Depth=1
	s_or_b32 exec_lo, exec_lo, s25
	v_lshlrev_b32_e32 v2, 8, v18
	v_lshl_add_u32 v1, v1, 10, 0x2000
	v_lshlrev_b32_e32 v0, 7, v0
	v_and_b32_e32 v2, 0x8000, v2
	v_and_b32_e32 v1, 0xfc00, v1
	v_or3_b32 v119, v2, v1, v0
.LBB297_192:                            ;   in Loop: Header=BB297_10 Depth=1
	s_or_b32 exec_lo, exec_lo, s24
.LBB297_193:                            ;   in Loop: Header=BB297_10 Depth=1
	s_or_b32 exec_lo, exec_lo, s23
.LBB297_194:                            ;   in Loop: Header=BB297_10 Depth=1
	s_or_b32 exec_lo, exec_lo, s7
	s_mov_b32 s7, exec_lo
	v_cmpx_lt_u32_e32 0xffffff, v12
	s_cbranch_execz .LBB297_202
; %bb.195:                              ;   in Loop: Header=BB297_10 Depth=1
	v_lshrrev_b32_e32 v18, 24, v12
	v_bfrev_b32_e32 v118, 1
	s_mov_b32 s23, exec_lo
	v_cmpx_ne_u32_e32 0x80, v18
	s_cbranch_execz .LBB297_201
; %bb.196:                              ;   in Loop: Header=BB297_10 Depth=1
	v_and_b32_e32 v2, 0x7f, v18
	v_mov_b32_e32 v118, 0x7c010000
	s_mov_b32 s24, exec_lo
	v_cmpx_ne_u32_e32 0x7f, v2
	s_cbranch_execz .LBB297_200
; %bb.197:                              ;   in Loop: Header=BB297_10 Depth=1
	v_and_b32_e32 v0, 7, v18
	v_lshrrev_b32_e32 v1, 3, v2
	s_mov_b32 s25, exec_lo
	v_cmpx_gt_u32_e32 8, v2
; %bb.198:                              ;   in Loop: Header=BB297_10 Depth=1
	v_ffbh_u32_e32 v0, v0
	v_min_u32_e32 v2, 32, v0
	v_subrev_nc_u32_e32 v0, 28, v2
	v_lshlrev_b64 v[0:1], v0, v[18:19]
	v_sub_nc_u32_e32 v1, 29, v2
	v_and_b32_e32 v0, 7, v0
; %bb.199:                              ;   in Loop: Header=BB297_10 Depth=1
	s_or_b32 exec_lo, exec_lo, s25
	v_lshlrev_b32_e32 v2, 8, v18
	v_lshl_add_u32 v1, v1, 10, 0x2000
	v_lshlrev_b32_e32 v0, 23, v0
	v_and_or_b32 v1, 0x8000, v2, v1
	v_lshl_or_b32 v118, v1, 16, v0
.LBB297_200:                            ;   in Loop: Header=BB297_10 Depth=1
	s_or_b32 exec_lo, exec_lo, s24
.LBB297_201:                            ;   in Loop: Header=BB297_10 Depth=1
	s_or_b32 exec_lo, exec_lo, s23
.LBB297_202:                            ;   in Loop: Header=BB297_10 Depth=1
	s_or_b32 exec_lo, exec_lo, s7
	flat_load_dword v12, v[30:31] offset:768
	v_mov_b32_e32 v40, 0
	v_mov_b32_e32 v41, 0
	s_waitcnt vmcnt(0) lgkmcnt(0)
	v_cmp_ne_u16_sdwa s6, v12, v19 src0_sel:BYTE_0 src1_sel:DWORD
	s_and_saveexec_b32 s7, s6
	s_cbranch_execz .LBB297_210
; %bb.203:                              ;   in Loop: Header=BB297_10 Depth=1
	v_cmp_ne_u16_sdwa s6, v12, v66 src0_sel:BYTE_0 src1_sel:DWORD
	v_mov_b32_e32 v41, 0x8000
	s_and_saveexec_b32 s23, s6
	s_cbranch_execz .LBB297_209
; %bb.204:                              ;   in Loop: Header=BB297_10 Depth=1
	v_and_b32_e32 v2, 0x7f, v12
	v_mov_b32_e32 v41, 0x7c01
	s_mov_b32 s24, exec_lo
	v_cmpx_ne_u32_e32 0x7f, v2
	s_cbranch_execz .LBB297_208
; %bb.205:                              ;   in Loop: Header=BB297_10 Depth=1
	v_and_b32_e32 v0, 7, v12
	v_lshrrev_b32_e32 v1, 3, v2
	s_mov_b32 s25, exec_lo
	v_cmpx_gt_u32_e32 8, v2
; %bb.206:                              ;   in Loop: Header=BB297_10 Depth=1
	v_ffbh_u32_e32 v0, v0
	v_min_u32_e32 v2, 32, v0
	v_subrev_nc_u32_e32 v0, 28, v2
	v_lshlrev_b64 v[0:1], v0, v[12:13]
	v_sub_nc_u32_e32 v1, 29, v2
	v_and_b32_e32 v0, 7, v0
; %bb.207:                              ;   in Loop: Header=BB297_10 Depth=1
	s_or_b32 exec_lo, exec_lo, s25
	v_lshlrev_b32_e32 v2, 8, v12
	v_lshl_add_u32 v1, v1, 10, 0x2000
	v_lshlrev_b32_e32 v0, 7, v0
	v_and_b32_e32 v2, 0x8000, v2
	v_and_b32_e32 v1, 0xfc00, v1
	v_or3_b32 v41, v2, v1, v0
.LBB297_208:                            ;   in Loop: Header=BB297_10 Depth=1
	s_or_b32 exec_lo, exec_lo, s24
.LBB297_209:                            ;   in Loop: Header=BB297_10 Depth=1
	s_or_b32 exec_lo, exec_lo, s23
.LBB297_210:                            ;   in Loop: Header=BB297_10 Depth=1
	s_or_b32 exec_lo, exec_lo, s7
	v_lshrrev_b16 v18, 8, v12
	s_mov_b32 s7, exec_lo
	v_cmpx_ne_u16_e32 0, v18
	s_cbranch_execz .LBB297_218
; %bb.211:                              ;   in Loop: Header=BB297_10 Depth=1
	v_bfrev_b32_e32 v40, 1
	s_mov_b32 s23, exec_lo
	v_cmpx_ne_u16_e32 0x80, v18
	s_cbranch_execz .LBB297_217
; %bb.212:                              ;   in Loop: Header=BB297_10 Depth=1
	v_and_b32_sdwa v2, v18, v67 dst_sel:DWORD dst_unused:UNUSED_PAD src0_sel:WORD_0 src1_sel:DWORD
	v_mov_b32_e32 v40, 0x7c010000
	s_mov_b32 s24, exec_lo
	v_cmpx_ne_u32_e32 0x7f, v2
	s_cbranch_execz .LBB297_216
; %bb.213:                              ;   in Loop: Header=BB297_10 Depth=1
	v_and_b32_sdwa v0, v18, v68 dst_sel:DWORD dst_unused:UNUSED_PAD src0_sel:WORD_0 src1_sel:DWORD
	v_lshrrev_b32_e32 v1, 3, v2
	s_mov_b32 s25, exec_lo
	v_cmpx_gt_u32_e32 8, v2
; %bb.214:                              ;   in Loop: Header=BB297_10 Depth=1
	v_ffbh_u32_e32 v0, v0
	v_min_u32_e32 v2, 32, v0
	v_subrev_nc_u32_e32 v0, 28, v2
	v_lshlrev_b64 v[0:1], v0, v[18:19]
	v_sub_nc_u32_e32 v1, 29, v2
	v_and_b32_e32 v0, 7, v0
; %bb.215:                              ;   in Loop: Header=BB297_10 Depth=1
	s_or_b32 exec_lo, exec_lo, s25
	v_lshlrev_b32_sdwa v2, v69, v18 dst_sel:DWORD dst_unused:UNUSED_PAD src0_sel:DWORD src1_sel:WORD_0
	v_lshl_add_u32 v1, v1, 10, 0x2000
	v_lshlrev_b32_e32 v0, 23, v0
	v_and_or_b32 v1, 0x8000, v2, v1
	v_lshl_or_b32 v40, v1, 16, v0
.LBB297_216:                            ;   in Loop: Header=BB297_10 Depth=1
	s_or_b32 exec_lo, exec_lo, s24
.LBB297_217:                            ;   in Loop: Header=BB297_10 Depth=1
	s_or_b32 exec_lo, exec_lo, s23
.LBB297_218:                            ;   in Loop: Header=BB297_10 Depth=1
	s_or_b32 exec_lo, exec_lo, s7
	v_lshrrev_b32_e32 v18, 16, v12
	v_mov_b32_e32 v42, 0
	v_mov_b32_e32 v43, 0
	v_cmp_ne_u16_sdwa s6, v18, v19 src0_sel:BYTE_0 src1_sel:DWORD
	s_and_saveexec_b32 s7, s6
	s_cbranch_execz .LBB297_226
; %bb.219:                              ;   in Loop: Header=BB297_10 Depth=1
	v_cmp_ne_u16_sdwa s6, v18, v66 src0_sel:BYTE_0 src1_sel:DWORD
	v_mov_b32_e32 v43, 0x8000
	s_and_saveexec_b32 s23, s6
	s_cbranch_execz .LBB297_225
; %bb.220:                              ;   in Loop: Header=BB297_10 Depth=1
	v_bfe_u32 v2, v12, 16, 7
	v_mov_b32_e32 v43, 0x7c01
	s_mov_b32 s24, exec_lo
	v_cmpx_ne_u32_e32 0x7f, v2
	s_cbranch_execz .LBB297_224
; %bb.221:                              ;   in Loop: Header=BB297_10 Depth=1
	v_and_b32_e32 v0, 7, v18
	v_lshrrev_b32_e32 v1, 3, v2
	s_mov_b32 s25, exec_lo
	v_cmpx_gt_u32_e32 8, v2
; %bb.222:                              ;   in Loop: Header=BB297_10 Depth=1
	v_ffbh_u32_e32 v0, v0
	v_min_u32_e32 v2, 32, v0
	v_subrev_nc_u32_e32 v0, 28, v2
	v_lshlrev_b64 v[0:1], v0, v[18:19]
	v_sub_nc_u32_e32 v1, 29, v2
	v_and_b32_e32 v0, 7, v0
; %bb.223:                              ;   in Loop: Header=BB297_10 Depth=1
	s_or_b32 exec_lo, exec_lo, s25
	v_lshlrev_b32_e32 v2, 8, v18
	v_lshl_add_u32 v1, v1, 10, 0x2000
	v_lshlrev_b32_e32 v0, 7, v0
	v_and_b32_e32 v2, 0x8000, v2
	v_and_b32_e32 v1, 0xfc00, v1
	v_or3_b32 v43, v2, v1, v0
.LBB297_224:                            ;   in Loop: Header=BB297_10 Depth=1
	s_or_b32 exec_lo, exec_lo, s24
.LBB297_225:                            ;   in Loop: Header=BB297_10 Depth=1
	s_or_b32 exec_lo, exec_lo, s23
.LBB297_226:                            ;   in Loop: Header=BB297_10 Depth=1
	s_or_b32 exec_lo, exec_lo, s7
	s_mov_b32 s7, exec_lo
	v_cmpx_lt_u32_e32 0xffffff, v12
	s_cbranch_execz .LBB297_234
; %bb.227:                              ;   in Loop: Header=BB297_10 Depth=1
	v_lshrrev_b32_e32 v18, 24, v12
	v_bfrev_b32_e32 v42, 1
	s_mov_b32 s23, exec_lo
	v_cmpx_ne_u32_e32 0x80, v18
	s_cbranch_execz .LBB297_233
; %bb.228:                              ;   in Loop: Header=BB297_10 Depth=1
	v_and_b32_e32 v2, 0x7f, v18
	v_mov_b32_e32 v42, 0x7c010000
	s_mov_b32 s24, exec_lo
	v_cmpx_ne_u32_e32 0x7f, v2
	s_cbranch_execz .LBB297_232
; %bb.229:                              ;   in Loop: Header=BB297_10 Depth=1
	v_and_b32_e32 v0, 7, v18
	v_lshrrev_b32_e32 v1, 3, v2
	s_mov_b32 s25, exec_lo
	v_cmpx_gt_u32_e32 8, v2
; %bb.230:                              ;   in Loop: Header=BB297_10 Depth=1
	v_ffbh_u32_e32 v0, v0
	v_min_u32_e32 v2, 32, v0
	v_subrev_nc_u32_e32 v0, 28, v2
	v_lshlrev_b64 v[0:1], v0, v[18:19]
	v_sub_nc_u32_e32 v1, 29, v2
	v_and_b32_e32 v0, 7, v0
; %bb.231:                              ;   in Loop: Header=BB297_10 Depth=1
	s_or_b32 exec_lo, exec_lo, s25
	v_lshlrev_b32_e32 v2, 8, v18
	v_lshl_add_u32 v1, v1, 10, 0x2000
	v_lshlrev_b32_e32 v0, 23, v0
	v_and_or_b32 v1, 0x8000, v2, v1
	v_lshl_or_b32 v42, v1, 16, v0
.LBB297_232:                            ;   in Loop: Header=BB297_10 Depth=1
	s_or_b32 exec_lo, exec_lo, s24
.LBB297_233:                            ;   in Loop: Header=BB297_10 Depth=1
	s_or_b32 exec_lo, exec_lo, s23
.LBB297_234:                            ;   in Loop: Header=BB297_10 Depth=1
	s_or_b32 exec_lo, exec_lo, s7
	flat_load_dword v12, v[30:31] offset:776
	v_mov_b32_e32 v44, 0
	v_mov_b32_e32 v45, 0
	s_waitcnt vmcnt(0) lgkmcnt(0)
	v_cmp_ne_u16_sdwa s6, v12, v19 src0_sel:BYTE_0 src1_sel:DWORD
	s_and_saveexec_b32 s7, s6
	s_cbranch_execz .LBB297_242
; %bb.235:                              ;   in Loop: Header=BB297_10 Depth=1
	v_cmp_ne_u16_sdwa s6, v12, v66 src0_sel:BYTE_0 src1_sel:DWORD
	v_mov_b32_e32 v45, 0x8000
	s_and_saveexec_b32 s23, s6
	s_cbranch_execz .LBB297_241
; %bb.236:                              ;   in Loop: Header=BB297_10 Depth=1
	v_and_b32_e32 v2, 0x7f, v12
	v_mov_b32_e32 v45, 0x7c01
	s_mov_b32 s24, exec_lo
	v_cmpx_ne_u32_e32 0x7f, v2
	s_cbranch_execz .LBB297_240
; %bb.237:                              ;   in Loop: Header=BB297_10 Depth=1
	v_and_b32_e32 v0, 7, v12
	v_lshrrev_b32_e32 v1, 3, v2
	s_mov_b32 s25, exec_lo
	v_cmpx_gt_u32_e32 8, v2
; %bb.238:                              ;   in Loop: Header=BB297_10 Depth=1
	v_ffbh_u32_e32 v0, v0
	v_min_u32_e32 v2, 32, v0
	v_subrev_nc_u32_e32 v0, 28, v2
	v_lshlrev_b64 v[0:1], v0, v[12:13]
	v_sub_nc_u32_e32 v1, 29, v2
	v_and_b32_e32 v0, 7, v0
; %bb.239:                              ;   in Loop: Header=BB297_10 Depth=1
	s_or_b32 exec_lo, exec_lo, s25
	v_lshlrev_b32_e32 v2, 8, v12
	v_lshl_add_u32 v1, v1, 10, 0x2000
	v_lshlrev_b32_e32 v0, 7, v0
	v_and_b32_e32 v2, 0x8000, v2
	v_and_b32_e32 v1, 0xfc00, v1
	v_or3_b32 v45, v2, v1, v0
.LBB297_240:                            ;   in Loop: Header=BB297_10 Depth=1
	s_or_b32 exec_lo, exec_lo, s24
.LBB297_241:                            ;   in Loop: Header=BB297_10 Depth=1
	s_or_b32 exec_lo, exec_lo, s23
.LBB297_242:                            ;   in Loop: Header=BB297_10 Depth=1
	s_or_b32 exec_lo, exec_lo, s7
	v_lshrrev_b16 v18, 8, v12
	s_mov_b32 s7, exec_lo
	v_cmpx_ne_u16_e32 0, v18
	s_cbranch_execz .LBB297_250
; %bb.243:                              ;   in Loop: Header=BB297_10 Depth=1
	v_bfrev_b32_e32 v44, 1
	s_mov_b32 s23, exec_lo
	v_cmpx_ne_u16_e32 0x80, v18
	s_cbranch_execz .LBB297_249
; %bb.244:                              ;   in Loop: Header=BB297_10 Depth=1
	v_and_b32_sdwa v2, v18, v67 dst_sel:DWORD dst_unused:UNUSED_PAD src0_sel:WORD_0 src1_sel:DWORD
	v_mov_b32_e32 v44, 0x7c010000
	s_mov_b32 s24, exec_lo
	v_cmpx_ne_u32_e32 0x7f, v2
	s_cbranch_execz .LBB297_248
; %bb.245:                              ;   in Loop: Header=BB297_10 Depth=1
	v_and_b32_sdwa v0, v18, v68 dst_sel:DWORD dst_unused:UNUSED_PAD src0_sel:WORD_0 src1_sel:DWORD
	v_lshrrev_b32_e32 v1, 3, v2
	s_mov_b32 s25, exec_lo
	v_cmpx_gt_u32_e32 8, v2
; %bb.246:                              ;   in Loop: Header=BB297_10 Depth=1
	v_ffbh_u32_e32 v0, v0
	v_min_u32_e32 v2, 32, v0
	v_subrev_nc_u32_e32 v0, 28, v2
	v_lshlrev_b64 v[0:1], v0, v[18:19]
	v_sub_nc_u32_e32 v1, 29, v2
	v_and_b32_e32 v0, 7, v0
; %bb.247:                              ;   in Loop: Header=BB297_10 Depth=1
	s_or_b32 exec_lo, exec_lo, s25
	v_lshlrev_b32_sdwa v2, v69, v18 dst_sel:DWORD dst_unused:UNUSED_PAD src0_sel:DWORD src1_sel:WORD_0
	v_lshl_add_u32 v1, v1, 10, 0x2000
	v_lshlrev_b32_e32 v0, 23, v0
	v_and_or_b32 v1, 0x8000, v2, v1
	v_lshl_or_b32 v44, v1, 16, v0
.LBB297_248:                            ;   in Loop: Header=BB297_10 Depth=1
	s_or_b32 exec_lo, exec_lo, s24
.LBB297_249:                            ;   in Loop: Header=BB297_10 Depth=1
	s_or_b32 exec_lo, exec_lo, s23
.LBB297_250:                            ;   in Loop: Header=BB297_10 Depth=1
	s_or_b32 exec_lo, exec_lo, s7
	v_lshrrev_b32_e32 v18, 16, v12
	v_mov_b32_e32 v46, 0
	v_mov_b32_e32 v47, 0
	v_cmp_ne_u16_sdwa s6, v18, v19 src0_sel:BYTE_0 src1_sel:DWORD
	s_and_saveexec_b32 s7, s6
	s_cbranch_execz .LBB297_258
; %bb.251:                              ;   in Loop: Header=BB297_10 Depth=1
	v_cmp_ne_u16_sdwa s6, v18, v66 src0_sel:BYTE_0 src1_sel:DWORD
	v_mov_b32_e32 v47, 0x8000
	s_and_saveexec_b32 s23, s6
	s_cbranch_execz .LBB297_257
; %bb.252:                              ;   in Loop: Header=BB297_10 Depth=1
	v_bfe_u32 v2, v12, 16, 7
	v_mov_b32_e32 v47, 0x7c01
	s_mov_b32 s24, exec_lo
	v_cmpx_ne_u32_e32 0x7f, v2
	s_cbranch_execz .LBB297_256
; %bb.253:                              ;   in Loop: Header=BB297_10 Depth=1
	v_and_b32_e32 v0, 7, v18
	v_lshrrev_b32_e32 v1, 3, v2
	s_mov_b32 s25, exec_lo
	v_cmpx_gt_u32_e32 8, v2
; %bb.254:                              ;   in Loop: Header=BB297_10 Depth=1
	v_ffbh_u32_e32 v0, v0
	v_min_u32_e32 v2, 32, v0
	v_subrev_nc_u32_e32 v0, 28, v2
	v_lshlrev_b64 v[0:1], v0, v[18:19]
	v_sub_nc_u32_e32 v1, 29, v2
	v_and_b32_e32 v0, 7, v0
; %bb.255:                              ;   in Loop: Header=BB297_10 Depth=1
	s_or_b32 exec_lo, exec_lo, s25
	v_lshlrev_b32_e32 v2, 8, v18
	v_lshl_add_u32 v1, v1, 10, 0x2000
	v_lshlrev_b32_e32 v0, 7, v0
	v_and_b32_e32 v2, 0x8000, v2
	v_and_b32_e32 v1, 0xfc00, v1
	v_or3_b32 v47, v2, v1, v0
.LBB297_256:                            ;   in Loop: Header=BB297_10 Depth=1
	s_or_b32 exec_lo, exec_lo, s24
.LBB297_257:                            ;   in Loop: Header=BB297_10 Depth=1
	s_or_b32 exec_lo, exec_lo, s23
.LBB297_258:                            ;   in Loop: Header=BB297_10 Depth=1
	s_or_b32 exec_lo, exec_lo, s7
	s_mov_b32 s7, exec_lo
	v_cmpx_lt_u32_e32 0xffffff, v12
	s_cbranch_execz .LBB297_266
; %bb.259:                              ;   in Loop: Header=BB297_10 Depth=1
	v_lshrrev_b32_e32 v18, 24, v12
	v_bfrev_b32_e32 v46, 1
	s_mov_b32 s23, exec_lo
	v_cmpx_ne_u32_e32 0x80, v18
	s_cbranch_execz .LBB297_265
; %bb.260:                              ;   in Loop: Header=BB297_10 Depth=1
	v_and_b32_e32 v2, 0x7f, v18
	v_mov_b32_e32 v46, 0x7c010000
	s_mov_b32 s24, exec_lo
	v_cmpx_ne_u32_e32 0x7f, v2
	s_cbranch_execz .LBB297_264
; %bb.261:                              ;   in Loop: Header=BB297_10 Depth=1
	v_and_b32_e32 v0, 7, v18
	v_lshrrev_b32_e32 v1, 3, v2
	s_mov_b32 s25, exec_lo
	v_cmpx_gt_u32_e32 8, v2
; %bb.262:                              ;   in Loop: Header=BB297_10 Depth=1
	v_ffbh_u32_e32 v0, v0
	v_min_u32_e32 v2, 32, v0
	v_subrev_nc_u32_e32 v0, 28, v2
	v_lshlrev_b64 v[0:1], v0, v[18:19]
	v_sub_nc_u32_e32 v1, 29, v2
	v_and_b32_e32 v0, 7, v0
; %bb.263:                              ;   in Loop: Header=BB297_10 Depth=1
	s_or_b32 exec_lo, exec_lo, s25
	v_lshlrev_b32_e32 v2, 8, v18
	v_lshl_add_u32 v1, v1, 10, 0x2000
	v_lshlrev_b32_e32 v0, 23, v0
	v_and_or_b32 v1, 0x8000, v2, v1
	v_lshl_or_b32 v46, v1, 16, v0
.LBB297_264:                            ;   in Loop: Header=BB297_10 Depth=1
	s_or_b32 exec_lo, exec_lo, s24
.LBB297_265:                            ;   in Loop: Header=BB297_10 Depth=1
	s_or_b32 exec_lo, exec_lo, s23
.LBB297_266:                            ;   in Loop: Header=BB297_10 Depth=1
	s_or_b32 exec_lo, exec_lo, s7
	flat_load_dword v12, v[30:31] offset:1024
	v_mov_b32_e32 v56, 0
	v_mov_b32_e32 v57, 0
	s_waitcnt vmcnt(0) lgkmcnt(0)
	v_cmp_ne_u16_sdwa s6, v12, v19 src0_sel:BYTE_0 src1_sel:DWORD
	s_and_saveexec_b32 s7, s6
	s_cbranch_execz .LBB297_274
; %bb.267:                              ;   in Loop: Header=BB297_10 Depth=1
	v_cmp_ne_u16_sdwa s6, v12, v66 src0_sel:BYTE_0 src1_sel:DWORD
	v_mov_b32_e32 v57, 0x8000
	s_and_saveexec_b32 s23, s6
	s_cbranch_execz .LBB297_273
; %bb.268:                              ;   in Loop: Header=BB297_10 Depth=1
	v_and_b32_e32 v2, 0x7f, v12
	v_mov_b32_e32 v57, 0x7c01
	s_mov_b32 s24, exec_lo
	v_cmpx_ne_u32_e32 0x7f, v2
	s_cbranch_execz .LBB297_272
; %bb.269:                              ;   in Loop: Header=BB297_10 Depth=1
	v_and_b32_e32 v0, 7, v12
	v_lshrrev_b32_e32 v1, 3, v2
	s_mov_b32 s25, exec_lo
	v_cmpx_gt_u32_e32 8, v2
; %bb.270:                              ;   in Loop: Header=BB297_10 Depth=1
	v_ffbh_u32_e32 v0, v0
	v_min_u32_e32 v2, 32, v0
	v_subrev_nc_u32_e32 v0, 28, v2
	v_lshlrev_b64 v[0:1], v0, v[12:13]
	v_sub_nc_u32_e32 v1, 29, v2
	v_and_b32_e32 v0, 7, v0
; %bb.271:                              ;   in Loop: Header=BB297_10 Depth=1
	s_or_b32 exec_lo, exec_lo, s25
	v_lshlrev_b32_e32 v2, 8, v12
	v_lshl_add_u32 v1, v1, 10, 0x2000
	v_lshlrev_b32_e32 v0, 7, v0
	v_and_b32_e32 v2, 0x8000, v2
	v_and_b32_e32 v1, 0xfc00, v1
	v_or3_b32 v57, v2, v1, v0
.LBB297_272:                            ;   in Loop: Header=BB297_10 Depth=1
	s_or_b32 exec_lo, exec_lo, s24
.LBB297_273:                            ;   in Loop: Header=BB297_10 Depth=1
	s_or_b32 exec_lo, exec_lo, s23
.LBB297_274:                            ;   in Loop: Header=BB297_10 Depth=1
	s_or_b32 exec_lo, exec_lo, s7
	v_lshrrev_b16 v18, 8, v12
	s_mov_b32 s7, exec_lo
	v_cmpx_ne_u16_e32 0, v18
	s_cbranch_execz .LBB297_282
; %bb.275:                              ;   in Loop: Header=BB297_10 Depth=1
	v_bfrev_b32_e32 v56, 1
	s_mov_b32 s23, exec_lo
	v_cmpx_ne_u16_e32 0x80, v18
	s_cbranch_execz .LBB297_281
; %bb.276:                              ;   in Loop: Header=BB297_10 Depth=1
	v_and_b32_sdwa v2, v18, v67 dst_sel:DWORD dst_unused:UNUSED_PAD src0_sel:WORD_0 src1_sel:DWORD
	v_mov_b32_e32 v56, 0x7c010000
	s_mov_b32 s24, exec_lo
	v_cmpx_ne_u32_e32 0x7f, v2
	s_cbranch_execz .LBB297_280
; %bb.277:                              ;   in Loop: Header=BB297_10 Depth=1
	v_and_b32_sdwa v0, v18, v68 dst_sel:DWORD dst_unused:UNUSED_PAD src0_sel:WORD_0 src1_sel:DWORD
	v_lshrrev_b32_e32 v1, 3, v2
	s_mov_b32 s25, exec_lo
	v_cmpx_gt_u32_e32 8, v2
; %bb.278:                              ;   in Loop: Header=BB297_10 Depth=1
	v_ffbh_u32_e32 v0, v0
	v_min_u32_e32 v2, 32, v0
	v_subrev_nc_u32_e32 v0, 28, v2
	v_lshlrev_b64 v[0:1], v0, v[18:19]
	v_sub_nc_u32_e32 v1, 29, v2
	v_and_b32_e32 v0, 7, v0
; %bb.279:                              ;   in Loop: Header=BB297_10 Depth=1
	s_or_b32 exec_lo, exec_lo, s25
	v_lshlrev_b32_sdwa v2, v69, v18 dst_sel:DWORD dst_unused:UNUSED_PAD src0_sel:DWORD src1_sel:WORD_0
	v_lshl_add_u32 v1, v1, 10, 0x2000
	v_lshlrev_b32_e32 v0, 23, v0
	v_and_or_b32 v1, 0x8000, v2, v1
	v_lshl_or_b32 v56, v1, 16, v0
.LBB297_280:                            ;   in Loop: Header=BB297_10 Depth=1
	s_or_b32 exec_lo, exec_lo, s24
.LBB297_281:                            ;   in Loop: Header=BB297_10 Depth=1
	s_or_b32 exec_lo, exec_lo, s23
.LBB297_282:                            ;   in Loop: Header=BB297_10 Depth=1
	s_or_b32 exec_lo, exec_lo, s7
	v_lshrrev_b32_e32 v18, 16, v12
	v_mov_b32_e32 v58, 0
	v_mov_b32_e32 v59, 0
	v_cmp_ne_u16_sdwa s6, v18, v19 src0_sel:BYTE_0 src1_sel:DWORD
	s_and_saveexec_b32 s7, s6
	s_cbranch_execz .LBB297_290
; %bb.283:                              ;   in Loop: Header=BB297_10 Depth=1
	v_cmp_ne_u16_sdwa s6, v18, v66 src0_sel:BYTE_0 src1_sel:DWORD
	v_mov_b32_e32 v59, 0x8000
	s_and_saveexec_b32 s23, s6
	s_cbranch_execz .LBB297_289
; %bb.284:                              ;   in Loop: Header=BB297_10 Depth=1
	v_bfe_u32 v2, v12, 16, 7
	v_mov_b32_e32 v59, 0x7c01
	s_mov_b32 s24, exec_lo
	v_cmpx_ne_u32_e32 0x7f, v2
	s_cbranch_execz .LBB297_288
; %bb.285:                              ;   in Loop: Header=BB297_10 Depth=1
	v_and_b32_e32 v0, 7, v18
	v_lshrrev_b32_e32 v1, 3, v2
	s_mov_b32 s25, exec_lo
	v_cmpx_gt_u32_e32 8, v2
; %bb.286:                              ;   in Loop: Header=BB297_10 Depth=1
	v_ffbh_u32_e32 v0, v0
	v_min_u32_e32 v2, 32, v0
	v_subrev_nc_u32_e32 v0, 28, v2
	v_lshlrev_b64 v[0:1], v0, v[18:19]
	v_sub_nc_u32_e32 v1, 29, v2
	v_and_b32_e32 v0, 7, v0
; %bb.287:                              ;   in Loop: Header=BB297_10 Depth=1
	s_or_b32 exec_lo, exec_lo, s25
	v_lshlrev_b32_e32 v2, 8, v18
	v_lshl_add_u32 v1, v1, 10, 0x2000
	v_lshlrev_b32_e32 v0, 7, v0
	v_and_b32_e32 v2, 0x8000, v2
	v_and_b32_e32 v1, 0xfc00, v1
	v_or3_b32 v59, v2, v1, v0
.LBB297_288:                            ;   in Loop: Header=BB297_10 Depth=1
	s_or_b32 exec_lo, exec_lo, s24
.LBB297_289:                            ;   in Loop: Header=BB297_10 Depth=1
	s_or_b32 exec_lo, exec_lo, s23
.LBB297_290:                            ;   in Loop: Header=BB297_10 Depth=1
	s_or_b32 exec_lo, exec_lo, s7
	s_mov_b32 s7, exec_lo
	v_cmpx_lt_u32_e32 0xffffff, v12
	s_cbranch_execz .LBB297_298
; %bb.291:                              ;   in Loop: Header=BB297_10 Depth=1
	v_lshrrev_b32_e32 v18, 24, v12
	v_bfrev_b32_e32 v58, 1
	s_mov_b32 s23, exec_lo
	v_cmpx_ne_u32_e32 0x80, v18
	s_cbranch_execz .LBB297_297
; %bb.292:                              ;   in Loop: Header=BB297_10 Depth=1
	v_and_b32_e32 v2, 0x7f, v18
	v_mov_b32_e32 v58, 0x7c010000
	s_mov_b32 s24, exec_lo
	v_cmpx_ne_u32_e32 0x7f, v2
	s_cbranch_execz .LBB297_296
; %bb.293:                              ;   in Loop: Header=BB297_10 Depth=1
	v_and_b32_e32 v0, 7, v18
	v_lshrrev_b32_e32 v1, 3, v2
	s_mov_b32 s25, exec_lo
	v_cmpx_gt_u32_e32 8, v2
; %bb.294:                              ;   in Loop: Header=BB297_10 Depth=1
	v_ffbh_u32_e32 v0, v0
	v_min_u32_e32 v2, 32, v0
	v_subrev_nc_u32_e32 v0, 28, v2
	v_lshlrev_b64 v[0:1], v0, v[18:19]
	v_sub_nc_u32_e32 v1, 29, v2
	v_and_b32_e32 v0, 7, v0
; %bb.295:                              ;   in Loop: Header=BB297_10 Depth=1
	s_or_b32 exec_lo, exec_lo, s25
	v_lshlrev_b32_e32 v2, 8, v18
	v_lshl_add_u32 v1, v1, 10, 0x2000
	v_lshlrev_b32_e32 v0, 23, v0
	v_and_or_b32 v1, 0x8000, v2, v1
	v_lshl_or_b32 v58, v1, 16, v0
.LBB297_296:                            ;   in Loop: Header=BB297_10 Depth=1
	s_or_b32 exec_lo, exec_lo, s24
.LBB297_297:                            ;   in Loop: Header=BB297_10 Depth=1
	s_or_b32 exec_lo, exec_lo, s23
.LBB297_298:                            ;   in Loop: Header=BB297_10 Depth=1
	s_or_b32 exec_lo, exec_lo, s7
	flat_load_dword v12, v[30:31] offset:1032
	v_mov_b32_e32 v60, 0
	v_mov_b32_e32 v61, 0
	s_waitcnt vmcnt(0) lgkmcnt(0)
	v_cmp_ne_u16_sdwa s6, v12, v19 src0_sel:BYTE_0 src1_sel:DWORD
	s_and_saveexec_b32 s7, s6
	s_cbranch_execz .LBB297_306
; %bb.299:                              ;   in Loop: Header=BB297_10 Depth=1
	v_cmp_ne_u16_sdwa s6, v12, v66 src0_sel:BYTE_0 src1_sel:DWORD
	v_mov_b32_e32 v61, 0x8000
	s_and_saveexec_b32 s23, s6
	s_cbranch_execz .LBB297_305
; %bb.300:                              ;   in Loop: Header=BB297_10 Depth=1
	v_and_b32_e32 v2, 0x7f, v12
	v_mov_b32_e32 v61, 0x7c01
	s_mov_b32 s24, exec_lo
	v_cmpx_ne_u32_e32 0x7f, v2
	s_cbranch_execz .LBB297_304
; %bb.301:                              ;   in Loop: Header=BB297_10 Depth=1
	v_and_b32_e32 v0, 7, v12
	v_lshrrev_b32_e32 v1, 3, v2
	s_mov_b32 s25, exec_lo
	v_cmpx_gt_u32_e32 8, v2
; %bb.302:                              ;   in Loop: Header=BB297_10 Depth=1
	v_ffbh_u32_e32 v0, v0
	v_min_u32_e32 v2, 32, v0
	v_subrev_nc_u32_e32 v0, 28, v2
	v_lshlrev_b64 v[0:1], v0, v[12:13]
	v_sub_nc_u32_e32 v1, 29, v2
	v_and_b32_e32 v0, 7, v0
; %bb.303:                              ;   in Loop: Header=BB297_10 Depth=1
	s_or_b32 exec_lo, exec_lo, s25
	v_lshlrev_b32_e32 v2, 8, v12
	v_lshl_add_u32 v1, v1, 10, 0x2000
	v_lshlrev_b32_e32 v0, 7, v0
	v_and_b32_e32 v2, 0x8000, v2
	v_and_b32_e32 v1, 0xfc00, v1
	v_or3_b32 v61, v2, v1, v0
.LBB297_304:                            ;   in Loop: Header=BB297_10 Depth=1
	s_or_b32 exec_lo, exec_lo, s24
.LBB297_305:                            ;   in Loop: Header=BB297_10 Depth=1
	s_or_b32 exec_lo, exec_lo, s23
.LBB297_306:                            ;   in Loop: Header=BB297_10 Depth=1
	s_or_b32 exec_lo, exec_lo, s7
	v_lshrrev_b16 v18, 8, v12
	s_mov_b32 s7, exec_lo
	v_cmpx_ne_u16_e32 0, v18
	s_cbranch_execz .LBB297_314
; %bb.307:                              ;   in Loop: Header=BB297_10 Depth=1
	v_bfrev_b32_e32 v60, 1
	s_mov_b32 s23, exec_lo
	v_cmpx_ne_u16_e32 0x80, v18
	s_cbranch_execz .LBB297_313
; %bb.308:                              ;   in Loop: Header=BB297_10 Depth=1
	v_and_b32_sdwa v2, v18, v67 dst_sel:DWORD dst_unused:UNUSED_PAD src0_sel:WORD_0 src1_sel:DWORD
	v_mov_b32_e32 v60, 0x7c010000
	s_mov_b32 s24, exec_lo
	v_cmpx_ne_u32_e32 0x7f, v2
	s_cbranch_execz .LBB297_312
; %bb.309:                              ;   in Loop: Header=BB297_10 Depth=1
	v_and_b32_sdwa v0, v18, v68 dst_sel:DWORD dst_unused:UNUSED_PAD src0_sel:WORD_0 src1_sel:DWORD
	v_lshrrev_b32_e32 v1, 3, v2
	s_mov_b32 s25, exec_lo
	v_cmpx_gt_u32_e32 8, v2
; %bb.310:                              ;   in Loop: Header=BB297_10 Depth=1
	v_ffbh_u32_e32 v0, v0
	v_min_u32_e32 v2, 32, v0
	v_subrev_nc_u32_e32 v0, 28, v2
	v_lshlrev_b64 v[0:1], v0, v[18:19]
	v_sub_nc_u32_e32 v1, 29, v2
	v_and_b32_e32 v0, 7, v0
; %bb.311:                              ;   in Loop: Header=BB297_10 Depth=1
	s_or_b32 exec_lo, exec_lo, s25
	v_lshlrev_b32_sdwa v2, v69, v18 dst_sel:DWORD dst_unused:UNUSED_PAD src0_sel:DWORD src1_sel:WORD_0
	v_lshl_add_u32 v1, v1, 10, 0x2000
	v_lshlrev_b32_e32 v0, 23, v0
	v_and_or_b32 v1, 0x8000, v2, v1
	v_lshl_or_b32 v60, v1, 16, v0
.LBB297_312:                            ;   in Loop: Header=BB297_10 Depth=1
	s_or_b32 exec_lo, exec_lo, s24
.LBB297_313:                            ;   in Loop: Header=BB297_10 Depth=1
	s_or_b32 exec_lo, exec_lo, s23
.LBB297_314:                            ;   in Loop: Header=BB297_10 Depth=1
	s_or_b32 exec_lo, exec_lo, s7
	v_lshrrev_b32_e32 v18, 16, v12
	v_mov_b32_e32 v62, 0
	v_mov_b32_e32 v63, 0
	v_cmp_ne_u16_sdwa s6, v18, v19 src0_sel:BYTE_0 src1_sel:DWORD
	s_and_saveexec_b32 s7, s6
	s_cbranch_execz .LBB297_322
; %bb.315:                              ;   in Loop: Header=BB297_10 Depth=1
	v_cmp_ne_u16_sdwa s6, v18, v66 src0_sel:BYTE_0 src1_sel:DWORD
	v_mov_b32_e32 v63, 0x8000
	s_and_saveexec_b32 s23, s6
	s_cbranch_execz .LBB297_321
; %bb.316:                              ;   in Loop: Header=BB297_10 Depth=1
	v_bfe_u32 v2, v12, 16, 7
	v_mov_b32_e32 v63, 0x7c01
	s_mov_b32 s24, exec_lo
	v_cmpx_ne_u32_e32 0x7f, v2
	s_cbranch_execz .LBB297_320
; %bb.317:                              ;   in Loop: Header=BB297_10 Depth=1
	v_and_b32_e32 v0, 7, v18
	v_lshrrev_b32_e32 v1, 3, v2
	s_mov_b32 s25, exec_lo
	v_cmpx_gt_u32_e32 8, v2
; %bb.318:                              ;   in Loop: Header=BB297_10 Depth=1
	v_ffbh_u32_e32 v0, v0
	v_min_u32_e32 v2, 32, v0
	v_subrev_nc_u32_e32 v0, 28, v2
	v_lshlrev_b64 v[0:1], v0, v[18:19]
	v_sub_nc_u32_e32 v1, 29, v2
	v_and_b32_e32 v0, 7, v0
; %bb.319:                              ;   in Loop: Header=BB297_10 Depth=1
	s_or_b32 exec_lo, exec_lo, s25
	v_lshlrev_b32_e32 v2, 8, v18
	v_lshl_add_u32 v1, v1, 10, 0x2000
	v_lshlrev_b32_e32 v0, 7, v0
	v_and_b32_e32 v2, 0x8000, v2
	v_and_b32_e32 v1, 0xfc00, v1
	v_or3_b32 v63, v2, v1, v0
.LBB297_320:                            ;   in Loop: Header=BB297_10 Depth=1
	s_or_b32 exec_lo, exec_lo, s24
.LBB297_321:                            ;   in Loop: Header=BB297_10 Depth=1
	s_or_b32 exec_lo, exec_lo, s23
.LBB297_322:                            ;   in Loop: Header=BB297_10 Depth=1
	s_or_b32 exec_lo, exec_lo, s7
	s_mov_b32 s7, exec_lo
	v_cmpx_lt_u32_e32 0xffffff, v12
	s_cbranch_execz .LBB297_330
; %bb.323:                              ;   in Loop: Header=BB297_10 Depth=1
	v_lshrrev_b32_e32 v18, 24, v12
	v_bfrev_b32_e32 v62, 1
	s_mov_b32 s23, exec_lo
	v_cmpx_ne_u32_e32 0x80, v18
	s_cbranch_execz .LBB297_329
; %bb.324:                              ;   in Loop: Header=BB297_10 Depth=1
	v_and_b32_e32 v2, 0x7f, v18
	v_mov_b32_e32 v62, 0x7c010000
	s_mov_b32 s24, exec_lo
	v_cmpx_ne_u32_e32 0x7f, v2
	s_cbranch_execz .LBB297_328
; %bb.325:                              ;   in Loop: Header=BB297_10 Depth=1
	v_and_b32_e32 v0, 7, v18
	v_lshrrev_b32_e32 v1, 3, v2
	s_mov_b32 s25, exec_lo
	v_cmpx_gt_u32_e32 8, v2
; %bb.326:                              ;   in Loop: Header=BB297_10 Depth=1
	v_ffbh_u32_e32 v0, v0
	v_min_u32_e32 v2, 32, v0
	v_subrev_nc_u32_e32 v0, 28, v2
	v_lshlrev_b64 v[0:1], v0, v[18:19]
	v_sub_nc_u32_e32 v1, 29, v2
	v_and_b32_e32 v0, 7, v0
; %bb.327:                              ;   in Loop: Header=BB297_10 Depth=1
	s_or_b32 exec_lo, exec_lo, s25
	v_lshlrev_b32_e32 v2, 8, v18
	v_lshl_add_u32 v1, v1, 10, 0x2000
	v_lshlrev_b32_e32 v0, 23, v0
	v_and_or_b32 v1, 0x8000, v2, v1
	v_lshl_or_b32 v62, v1, 16, v0
.LBB297_328:                            ;   in Loop: Header=BB297_10 Depth=1
	s_or_b32 exec_lo, exec_lo, s24
.LBB297_329:                            ;   in Loop: Header=BB297_10 Depth=1
	s_or_b32 exec_lo, exec_lo, s23
.LBB297_330:                            ;   in Loop: Header=BB297_10 Depth=1
	s_or_b32 exec_lo, exec_lo, s7
	flat_load_dword v12, v[30:31] offset:1280
	v_mov_b32_e32 v72, 0
	v_mov_b32_e32 v73, 0
	s_waitcnt vmcnt(0) lgkmcnt(0)
	v_cmp_ne_u16_sdwa s6, v12, v19 src0_sel:BYTE_0 src1_sel:DWORD
	s_and_saveexec_b32 s7, s6
	s_cbranch_execz .LBB297_338
; %bb.331:                              ;   in Loop: Header=BB297_10 Depth=1
	v_cmp_ne_u16_sdwa s6, v12, v66 src0_sel:BYTE_0 src1_sel:DWORD
	v_mov_b32_e32 v73, 0x8000
	s_and_saveexec_b32 s23, s6
	s_cbranch_execz .LBB297_337
; %bb.332:                              ;   in Loop: Header=BB297_10 Depth=1
	v_and_b32_e32 v2, 0x7f, v12
	v_mov_b32_e32 v73, 0x7c01
	s_mov_b32 s24, exec_lo
	v_cmpx_ne_u32_e32 0x7f, v2
	s_cbranch_execz .LBB297_336
; %bb.333:                              ;   in Loop: Header=BB297_10 Depth=1
	v_and_b32_e32 v0, 7, v12
	v_lshrrev_b32_e32 v1, 3, v2
	s_mov_b32 s25, exec_lo
	v_cmpx_gt_u32_e32 8, v2
; %bb.334:                              ;   in Loop: Header=BB297_10 Depth=1
	v_ffbh_u32_e32 v0, v0
	v_min_u32_e32 v2, 32, v0
	v_subrev_nc_u32_e32 v0, 28, v2
	v_lshlrev_b64 v[0:1], v0, v[12:13]
	v_sub_nc_u32_e32 v1, 29, v2
	v_and_b32_e32 v0, 7, v0
; %bb.335:                              ;   in Loop: Header=BB297_10 Depth=1
	s_or_b32 exec_lo, exec_lo, s25
	v_lshlrev_b32_e32 v2, 8, v12
	v_lshl_add_u32 v1, v1, 10, 0x2000
	v_lshlrev_b32_e32 v0, 7, v0
	v_and_b32_e32 v2, 0x8000, v2
	v_and_b32_e32 v1, 0xfc00, v1
	v_or3_b32 v73, v2, v1, v0
.LBB297_336:                            ;   in Loop: Header=BB297_10 Depth=1
	s_or_b32 exec_lo, exec_lo, s24
.LBB297_337:                            ;   in Loop: Header=BB297_10 Depth=1
	s_or_b32 exec_lo, exec_lo, s23
.LBB297_338:                            ;   in Loop: Header=BB297_10 Depth=1
	s_or_b32 exec_lo, exec_lo, s7
	v_lshrrev_b16 v18, 8, v12
	s_mov_b32 s7, exec_lo
	v_cmpx_ne_u16_e32 0, v18
	s_cbranch_execz .LBB297_346
; %bb.339:                              ;   in Loop: Header=BB297_10 Depth=1
	v_bfrev_b32_e32 v72, 1
	s_mov_b32 s23, exec_lo
	v_cmpx_ne_u16_e32 0x80, v18
	s_cbranch_execz .LBB297_345
; %bb.340:                              ;   in Loop: Header=BB297_10 Depth=1
	v_and_b32_sdwa v2, v18, v67 dst_sel:DWORD dst_unused:UNUSED_PAD src0_sel:WORD_0 src1_sel:DWORD
	v_mov_b32_e32 v72, 0x7c010000
	s_mov_b32 s24, exec_lo
	v_cmpx_ne_u32_e32 0x7f, v2
	s_cbranch_execz .LBB297_344
; %bb.341:                              ;   in Loop: Header=BB297_10 Depth=1
	v_and_b32_sdwa v0, v18, v68 dst_sel:DWORD dst_unused:UNUSED_PAD src0_sel:WORD_0 src1_sel:DWORD
	v_lshrrev_b32_e32 v1, 3, v2
	s_mov_b32 s25, exec_lo
	v_cmpx_gt_u32_e32 8, v2
; %bb.342:                              ;   in Loop: Header=BB297_10 Depth=1
	v_ffbh_u32_e32 v0, v0
	v_min_u32_e32 v2, 32, v0
	v_subrev_nc_u32_e32 v0, 28, v2
	v_lshlrev_b64 v[0:1], v0, v[18:19]
	v_sub_nc_u32_e32 v1, 29, v2
	v_and_b32_e32 v0, 7, v0
; %bb.343:                              ;   in Loop: Header=BB297_10 Depth=1
	s_or_b32 exec_lo, exec_lo, s25
	v_lshlrev_b32_sdwa v2, v69, v18 dst_sel:DWORD dst_unused:UNUSED_PAD src0_sel:DWORD src1_sel:WORD_0
	v_lshl_add_u32 v1, v1, 10, 0x2000
	v_lshlrev_b32_e32 v0, 23, v0
	v_and_or_b32 v1, 0x8000, v2, v1
	v_lshl_or_b32 v72, v1, 16, v0
.LBB297_344:                            ;   in Loop: Header=BB297_10 Depth=1
	s_or_b32 exec_lo, exec_lo, s24
.LBB297_345:                            ;   in Loop: Header=BB297_10 Depth=1
	s_or_b32 exec_lo, exec_lo, s23
.LBB297_346:                            ;   in Loop: Header=BB297_10 Depth=1
	s_or_b32 exec_lo, exec_lo, s7
	v_lshrrev_b32_e32 v18, 16, v12
	v_mov_b32_e32 v74, 0
	v_mov_b32_e32 v75, 0
	v_cmp_ne_u16_sdwa s6, v18, v19 src0_sel:BYTE_0 src1_sel:DWORD
	s_and_saveexec_b32 s7, s6
	s_cbranch_execz .LBB297_354
; %bb.347:                              ;   in Loop: Header=BB297_10 Depth=1
	v_cmp_ne_u16_sdwa s6, v18, v66 src0_sel:BYTE_0 src1_sel:DWORD
	v_mov_b32_e32 v75, 0x8000
	s_and_saveexec_b32 s23, s6
	s_cbranch_execz .LBB297_353
; %bb.348:                              ;   in Loop: Header=BB297_10 Depth=1
	v_bfe_u32 v2, v12, 16, 7
	v_mov_b32_e32 v75, 0x7c01
	s_mov_b32 s24, exec_lo
	v_cmpx_ne_u32_e32 0x7f, v2
	s_cbranch_execz .LBB297_352
; %bb.349:                              ;   in Loop: Header=BB297_10 Depth=1
	v_and_b32_e32 v0, 7, v18
	v_lshrrev_b32_e32 v1, 3, v2
	s_mov_b32 s25, exec_lo
	v_cmpx_gt_u32_e32 8, v2
; %bb.350:                              ;   in Loop: Header=BB297_10 Depth=1
	v_ffbh_u32_e32 v0, v0
	v_min_u32_e32 v2, 32, v0
	v_subrev_nc_u32_e32 v0, 28, v2
	v_lshlrev_b64 v[0:1], v0, v[18:19]
	v_sub_nc_u32_e32 v1, 29, v2
	v_and_b32_e32 v0, 7, v0
; %bb.351:                              ;   in Loop: Header=BB297_10 Depth=1
	s_or_b32 exec_lo, exec_lo, s25
	v_lshlrev_b32_e32 v2, 8, v18
	v_lshl_add_u32 v1, v1, 10, 0x2000
	v_lshlrev_b32_e32 v0, 7, v0
	v_and_b32_e32 v2, 0x8000, v2
	v_and_b32_e32 v1, 0xfc00, v1
	v_or3_b32 v75, v2, v1, v0
.LBB297_352:                            ;   in Loop: Header=BB297_10 Depth=1
	s_or_b32 exec_lo, exec_lo, s24
.LBB297_353:                            ;   in Loop: Header=BB297_10 Depth=1
	s_or_b32 exec_lo, exec_lo, s23
.LBB297_354:                            ;   in Loop: Header=BB297_10 Depth=1
	s_or_b32 exec_lo, exec_lo, s7
	s_mov_b32 s7, exec_lo
	v_cmpx_lt_u32_e32 0xffffff, v12
	s_cbranch_execz .LBB297_362
; %bb.355:                              ;   in Loop: Header=BB297_10 Depth=1
	v_lshrrev_b32_e32 v18, 24, v12
	v_bfrev_b32_e32 v74, 1
	s_mov_b32 s23, exec_lo
	v_cmpx_ne_u32_e32 0x80, v18
	s_cbranch_execz .LBB297_361
; %bb.356:                              ;   in Loop: Header=BB297_10 Depth=1
	v_and_b32_e32 v2, 0x7f, v18
	v_mov_b32_e32 v74, 0x7c010000
	s_mov_b32 s24, exec_lo
	v_cmpx_ne_u32_e32 0x7f, v2
	s_cbranch_execz .LBB297_360
; %bb.357:                              ;   in Loop: Header=BB297_10 Depth=1
	v_and_b32_e32 v0, 7, v18
	v_lshrrev_b32_e32 v1, 3, v2
	s_mov_b32 s25, exec_lo
	v_cmpx_gt_u32_e32 8, v2
; %bb.358:                              ;   in Loop: Header=BB297_10 Depth=1
	v_ffbh_u32_e32 v0, v0
	v_min_u32_e32 v2, 32, v0
	v_subrev_nc_u32_e32 v0, 28, v2
	v_lshlrev_b64 v[0:1], v0, v[18:19]
	v_sub_nc_u32_e32 v1, 29, v2
	v_and_b32_e32 v0, 7, v0
; %bb.359:                              ;   in Loop: Header=BB297_10 Depth=1
	s_or_b32 exec_lo, exec_lo, s25
	v_lshlrev_b32_e32 v2, 8, v18
	v_lshl_add_u32 v1, v1, 10, 0x2000
	v_lshlrev_b32_e32 v0, 23, v0
	v_and_or_b32 v1, 0x8000, v2, v1
	v_lshl_or_b32 v74, v1, 16, v0
.LBB297_360:                            ;   in Loop: Header=BB297_10 Depth=1
	s_or_b32 exec_lo, exec_lo, s24
.LBB297_361:                            ;   in Loop: Header=BB297_10 Depth=1
	s_or_b32 exec_lo, exec_lo, s23
.LBB297_362:                            ;   in Loop: Header=BB297_10 Depth=1
	s_or_b32 exec_lo, exec_lo, s7
	flat_load_dword v12, v[30:31] offset:1288
	v_mov_b32_e32 v78, 0
	v_mov_b32_e32 v79, 0
	s_waitcnt vmcnt(0) lgkmcnt(0)
	v_cmp_ne_u16_sdwa s6, v12, v19 src0_sel:BYTE_0 src1_sel:DWORD
	s_and_saveexec_b32 s7, s6
	s_cbranch_execz .LBB297_370
; %bb.363:                              ;   in Loop: Header=BB297_10 Depth=1
	v_cmp_ne_u16_sdwa s6, v12, v66 src0_sel:BYTE_0 src1_sel:DWORD
	v_mov_b32_e32 v79, 0x8000
	s_and_saveexec_b32 s23, s6
	s_cbranch_execz .LBB297_369
; %bb.364:                              ;   in Loop: Header=BB297_10 Depth=1
	v_and_b32_e32 v2, 0x7f, v12
	v_mov_b32_e32 v79, 0x7c01
	s_mov_b32 s24, exec_lo
	v_cmpx_ne_u32_e32 0x7f, v2
	s_cbranch_execz .LBB297_368
; %bb.365:                              ;   in Loop: Header=BB297_10 Depth=1
	v_and_b32_e32 v0, 7, v12
	v_lshrrev_b32_e32 v1, 3, v2
	s_mov_b32 s25, exec_lo
	v_cmpx_gt_u32_e32 8, v2
; %bb.366:                              ;   in Loop: Header=BB297_10 Depth=1
	v_ffbh_u32_e32 v0, v0
	v_min_u32_e32 v2, 32, v0
	v_subrev_nc_u32_e32 v0, 28, v2
	v_lshlrev_b64 v[0:1], v0, v[12:13]
	v_sub_nc_u32_e32 v1, 29, v2
	v_and_b32_e32 v0, 7, v0
; %bb.367:                              ;   in Loop: Header=BB297_10 Depth=1
	s_or_b32 exec_lo, exec_lo, s25
	v_lshlrev_b32_e32 v2, 8, v12
	v_lshl_add_u32 v1, v1, 10, 0x2000
	v_lshlrev_b32_e32 v0, 7, v0
	v_and_b32_e32 v2, 0x8000, v2
	v_and_b32_e32 v1, 0xfc00, v1
	v_or3_b32 v79, v2, v1, v0
.LBB297_368:                            ;   in Loop: Header=BB297_10 Depth=1
	s_or_b32 exec_lo, exec_lo, s24
.LBB297_369:                            ;   in Loop: Header=BB297_10 Depth=1
	s_or_b32 exec_lo, exec_lo, s23
.LBB297_370:                            ;   in Loop: Header=BB297_10 Depth=1
	s_or_b32 exec_lo, exec_lo, s7
	v_lshrrev_b16 v18, 8, v12
	s_mov_b32 s7, exec_lo
	v_cmpx_ne_u16_e32 0, v18
	s_cbranch_execz .LBB297_378
; %bb.371:                              ;   in Loop: Header=BB297_10 Depth=1
	v_bfrev_b32_e32 v78, 1
	s_mov_b32 s23, exec_lo
	v_cmpx_ne_u16_e32 0x80, v18
	s_cbranch_execz .LBB297_377
; %bb.372:                              ;   in Loop: Header=BB297_10 Depth=1
	v_and_b32_sdwa v2, v18, v67 dst_sel:DWORD dst_unused:UNUSED_PAD src0_sel:WORD_0 src1_sel:DWORD
	v_mov_b32_e32 v78, 0x7c010000
	s_mov_b32 s24, exec_lo
	v_cmpx_ne_u32_e32 0x7f, v2
	s_cbranch_execz .LBB297_376
; %bb.373:                              ;   in Loop: Header=BB297_10 Depth=1
	v_and_b32_sdwa v0, v18, v68 dst_sel:DWORD dst_unused:UNUSED_PAD src0_sel:WORD_0 src1_sel:DWORD
	v_lshrrev_b32_e32 v1, 3, v2
	s_mov_b32 s25, exec_lo
	v_cmpx_gt_u32_e32 8, v2
; %bb.374:                              ;   in Loop: Header=BB297_10 Depth=1
	v_ffbh_u32_e32 v0, v0
	v_min_u32_e32 v2, 32, v0
	v_subrev_nc_u32_e32 v0, 28, v2
	v_lshlrev_b64 v[0:1], v0, v[18:19]
	v_sub_nc_u32_e32 v1, 29, v2
	v_and_b32_e32 v0, 7, v0
; %bb.375:                              ;   in Loop: Header=BB297_10 Depth=1
	s_or_b32 exec_lo, exec_lo, s25
	v_lshlrev_b32_sdwa v2, v69, v18 dst_sel:DWORD dst_unused:UNUSED_PAD src0_sel:DWORD src1_sel:WORD_0
	v_lshl_add_u32 v1, v1, 10, 0x2000
	v_lshlrev_b32_e32 v0, 23, v0
	v_and_or_b32 v1, 0x8000, v2, v1
	v_lshl_or_b32 v78, v1, 16, v0
.LBB297_376:                            ;   in Loop: Header=BB297_10 Depth=1
	s_or_b32 exec_lo, exec_lo, s24
.LBB297_377:                            ;   in Loop: Header=BB297_10 Depth=1
	s_or_b32 exec_lo, exec_lo, s23
.LBB297_378:                            ;   in Loop: Header=BB297_10 Depth=1
	s_or_b32 exec_lo, exec_lo, s7
	v_lshrrev_b32_e32 v18, 16, v12
	v_mov_b32_e32 v92, 0
	v_mov_b32_e32 v93, 0
	v_cmp_ne_u16_sdwa s6, v18, v19 src0_sel:BYTE_0 src1_sel:DWORD
	s_and_saveexec_b32 s7, s6
	s_cbranch_execz .LBB297_386
; %bb.379:                              ;   in Loop: Header=BB297_10 Depth=1
	v_cmp_ne_u16_sdwa s6, v18, v66 src0_sel:BYTE_0 src1_sel:DWORD
	v_mov_b32_e32 v93, 0x8000
	s_and_saveexec_b32 s23, s6
	s_cbranch_execz .LBB297_385
; %bb.380:                              ;   in Loop: Header=BB297_10 Depth=1
	v_bfe_u32 v2, v12, 16, 7
	v_mov_b32_e32 v93, 0x7c01
	s_mov_b32 s24, exec_lo
	v_cmpx_ne_u32_e32 0x7f, v2
	s_cbranch_execz .LBB297_384
; %bb.381:                              ;   in Loop: Header=BB297_10 Depth=1
	v_and_b32_e32 v0, 7, v18
	v_lshrrev_b32_e32 v1, 3, v2
	s_mov_b32 s25, exec_lo
	v_cmpx_gt_u32_e32 8, v2
; %bb.382:                              ;   in Loop: Header=BB297_10 Depth=1
	v_ffbh_u32_e32 v0, v0
	v_min_u32_e32 v2, 32, v0
	v_subrev_nc_u32_e32 v0, 28, v2
	v_lshlrev_b64 v[0:1], v0, v[18:19]
	v_sub_nc_u32_e32 v1, 29, v2
	v_and_b32_e32 v0, 7, v0
; %bb.383:                              ;   in Loop: Header=BB297_10 Depth=1
	s_or_b32 exec_lo, exec_lo, s25
	v_lshlrev_b32_e32 v2, 8, v18
	v_lshl_add_u32 v1, v1, 10, 0x2000
	v_lshlrev_b32_e32 v0, 7, v0
	v_and_b32_e32 v2, 0x8000, v2
	v_and_b32_e32 v1, 0xfc00, v1
	v_or3_b32 v93, v2, v1, v0
.LBB297_384:                            ;   in Loop: Header=BB297_10 Depth=1
	s_or_b32 exec_lo, exec_lo, s24
.LBB297_385:                            ;   in Loop: Header=BB297_10 Depth=1
	s_or_b32 exec_lo, exec_lo, s23
.LBB297_386:                            ;   in Loop: Header=BB297_10 Depth=1
	s_or_b32 exec_lo, exec_lo, s7
	s_mov_b32 s7, exec_lo
	v_cmpx_lt_u32_e32 0xffffff, v12
	s_cbranch_execz .LBB297_394
; %bb.387:                              ;   in Loop: Header=BB297_10 Depth=1
	v_lshrrev_b32_e32 v18, 24, v12
	v_bfrev_b32_e32 v92, 1
	s_mov_b32 s23, exec_lo
	v_cmpx_ne_u32_e32 0x80, v18
	s_cbranch_execz .LBB297_393
; %bb.388:                              ;   in Loop: Header=BB297_10 Depth=1
	v_and_b32_e32 v2, 0x7f, v18
	v_mov_b32_e32 v92, 0x7c010000
	s_mov_b32 s24, exec_lo
	v_cmpx_ne_u32_e32 0x7f, v2
	s_cbranch_execz .LBB297_392
; %bb.389:                              ;   in Loop: Header=BB297_10 Depth=1
	v_and_b32_e32 v0, 7, v18
	v_lshrrev_b32_e32 v1, 3, v2
	s_mov_b32 s25, exec_lo
	v_cmpx_gt_u32_e32 8, v2
; %bb.390:                              ;   in Loop: Header=BB297_10 Depth=1
	v_ffbh_u32_e32 v0, v0
	v_min_u32_e32 v2, 32, v0
	v_subrev_nc_u32_e32 v0, 28, v2
	v_lshlrev_b64 v[0:1], v0, v[18:19]
	v_sub_nc_u32_e32 v1, 29, v2
	v_and_b32_e32 v0, 7, v0
; %bb.391:                              ;   in Loop: Header=BB297_10 Depth=1
	s_or_b32 exec_lo, exec_lo, s25
	v_lshlrev_b32_e32 v2, 8, v18
	v_lshl_add_u32 v1, v1, 10, 0x2000
	v_lshlrev_b32_e32 v0, 23, v0
	v_and_or_b32 v1, 0x8000, v2, v1
	v_lshl_or_b32 v92, v1, 16, v0
.LBB297_392:                            ;   in Loop: Header=BB297_10 Depth=1
	s_or_b32 exec_lo, exec_lo, s24
.LBB297_393:                            ;   in Loop: Header=BB297_10 Depth=1
	s_or_b32 exec_lo, exec_lo, s23
.LBB297_394:                            ;   in Loop: Header=BB297_10 Depth=1
	s_or_b32 exec_lo, exec_lo, s7
	flat_load_dword v12, v[30:31] offset:1536
	v_mov_b32_e32 v106, 0
	v_mov_b32_e32 v107, 0
	s_waitcnt vmcnt(0) lgkmcnt(0)
	v_cmp_ne_u16_sdwa s6, v12, v19 src0_sel:BYTE_0 src1_sel:DWORD
	s_and_saveexec_b32 s7, s6
	s_cbranch_execz .LBB297_402
; %bb.395:                              ;   in Loop: Header=BB297_10 Depth=1
	v_cmp_ne_u16_sdwa s6, v12, v66 src0_sel:BYTE_0 src1_sel:DWORD
	v_mov_b32_e32 v107, 0x8000
	s_and_saveexec_b32 s23, s6
	s_cbranch_execz .LBB297_401
; %bb.396:                              ;   in Loop: Header=BB297_10 Depth=1
	v_and_b32_e32 v2, 0x7f, v12
	v_mov_b32_e32 v107, 0x7c01
	s_mov_b32 s24, exec_lo
	v_cmpx_ne_u32_e32 0x7f, v2
	s_cbranch_execz .LBB297_400
; %bb.397:                              ;   in Loop: Header=BB297_10 Depth=1
	v_and_b32_e32 v0, 7, v12
	v_lshrrev_b32_e32 v1, 3, v2
	s_mov_b32 s25, exec_lo
	v_cmpx_gt_u32_e32 8, v2
; %bb.398:                              ;   in Loop: Header=BB297_10 Depth=1
	v_ffbh_u32_e32 v0, v0
	v_min_u32_e32 v2, 32, v0
	v_subrev_nc_u32_e32 v0, 28, v2
	v_lshlrev_b64 v[0:1], v0, v[12:13]
	v_sub_nc_u32_e32 v1, 29, v2
	v_and_b32_e32 v0, 7, v0
; %bb.399:                              ;   in Loop: Header=BB297_10 Depth=1
	s_or_b32 exec_lo, exec_lo, s25
	v_lshlrev_b32_e32 v2, 8, v12
	v_lshl_add_u32 v1, v1, 10, 0x2000
	v_lshlrev_b32_e32 v0, 7, v0
	v_and_b32_e32 v2, 0x8000, v2
	v_and_b32_e32 v1, 0xfc00, v1
	v_or3_b32 v107, v2, v1, v0
.LBB297_400:                            ;   in Loop: Header=BB297_10 Depth=1
	s_or_b32 exec_lo, exec_lo, s24
.LBB297_401:                            ;   in Loop: Header=BB297_10 Depth=1
	s_or_b32 exec_lo, exec_lo, s23
.LBB297_402:                            ;   in Loop: Header=BB297_10 Depth=1
	s_or_b32 exec_lo, exec_lo, s7
	v_lshrrev_b16 v18, 8, v12
	s_mov_b32 s7, exec_lo
	v_cmpx_ne_u16_e32 0, v18
	s_cbranch_execz .LBB297_410
; %bb.403:                              ;   in Loop: Header=BB297_10 Depth=1
	v_bfrev_b32_e32 v106, 1
	s_mov_b32 s23, exec_lo
	v_cmpx_ne_u16_e32 0x80, v18
	s_cbranch_execz .LBB297_409
; %bb.404:                              ;   in Loop: Header=BB297_10 Depth=1
	v_and_b32_sdwa v2, v18, v67 dst_sel:DWORD dst_unused:UNUSED_PAD src0_sel:WORD_0 src1_sel:DWORD
	v_mov_b32_e32 v106, 0x7c010000
	s_mov_b32 s24, exec_lo
	v_cmpx_ne_u32_e32 0x7f, v2
	s_cbranch_execz .LBB297_408
; %bb.405:                              ;   in Loop: Header=BB297_10 Depth=1
	v_and_b32_sdwa v0, v18, v68 dst_sel:DWORD dst_unused:UNUSED_PAD src0_sel:WORD_0 src1_sel:DWORD
	v_lshrrev_b32_e32 v1, 3, v2
	s_mov_b32 s25, exec_lo
	v_cmpx_gt_u32_e32 8, v2
; %bb.406:                              ;   in Loop: Header=BB297_10 Depth=1
	v_ffbh_u32_e32 v0, v0
	v_min_u32_e32 v2, 32, v0
	v_subrev_nc_u32_e32 v0, 28, v2
	v_lshlrev_b64 v[0:1], v0, v[18:19]
	v_sub_nc_u32_e32 v1, 29, v2
	v_and_b32_e32 v0, 7, v0
; %bb.407:                              ;   in Loop: Header=BB297_10 Depth=1
	s_or_b32 exec_lo, exec_lo, s25
	v_lshlrev_b32_sdwa v2, v69, v18 dst_sel:DWORD dst_unused:UNUSED_PAD src0_sel:DWORD src1_sel:WORD_0
	v_lshl_add_u32 v1, v1, 10, 0x2000
	v_lshlrev_b32_e32 v0, 23, v0
	v_and_or_b32 v1, 0x8000, v2, v1
	v_lshl_or_b32 v106, v1, 16, v0
.LBB297_408:                            ;   in Loop: Header=BB297_10 Depth=1
	s_or_b32 exec_lo, exec_lo, s24
.LBB297_409:                            ;   in Loop: Header=BB297_10 Depth=1
	s_or_b32 exec_lo, exec_lo, s23
.LBB297_410:                            ;   in Loop: Header=BB297_10 Depth=1
	s_or_b32 exec_lo, exec_lo, s7
	v_lshrrev_b32_e32 v18, 16, v12
	v_mov_b32_e32 v120, 0
	v_mov_b32_e32 v121, 0
	v_cmp_ne_u16_sdwa s6, v18, v19 src0_sel:BYTE_0 src1_sel:DWORD
	s_and_saveexec_b32 s7, s6
	s_cbranch_execz .LBB297_418
; %bb.411:                              ;   in Loop: Header=BB297_10 Depth=1
	v_cmp_ne_u16_sdwa s6, v18, v66 src0_sel:BYTE_0 src1_sel:DWORD
	v_mov_b32_e32 v121, 0x8000
	s_and_saveexec_b32 s23, s6
	s_cbranch_execz .LBB297_417
; %bb.412:                              ;   in Loop: Header=BB297_10 Depth=1
	v_bfe_u32 v2, v12, 16, 7
	v_mov_b32_e32 v121, 0x7c01
	s_mov_b32 s24, exec_lo
	v_cmpx_ne_u32_e32 0x7f, v2
	s_cbranch_execz .LBB297_416
; %bb.413:                              ;   in Loop: Header=BB297_10 Depth=1
	v_and_b32_e32 v0, 7, v18
	v_lshrrev_b32_e32 v1, 3, v2
	s_mov_b32 s25, exec_lo
	v_cmpx_gt_u32_e32 8, v2
; %bb.414:                              ;   in Loop: Header=BB297_10 Depth=1
	v_ffbh_u32_e32 v0, v0
	v_min_u32_e32 v2, 32, v0
	v_subrev_nc_u32_e32 v0, 28, v2
	v_lshlrev_b64 v[0:1], v0, v[18:19]
	v_sub_nc_u32_e32 v1, 29, v2
	v_and_b32_e32 v0, 7, v0
; %bb.415:                              ;   in Loop: Header=BB297_10 Depth=1
	s_or_b32 exec_lo, exec_lo, s25
	v_lshlrev_b32_e32 v2, 8, v18
	v_lshl_add_u32 v1, v1, 10, 0x2000
	v_lshlrev_b32_e32 v0, 7, v0
	v_and_b32_e32 v2, 0x8000, v2
	v_and_b32_e32 v1, 0xfc00, v1
	v_or3_b32 v121, v2, v1, v0
.LBB297_416:                            ;   in Loop: Header=BB297_10 Depth=1
	s_or_b32 exec_lo, exec_lo, s24
.LBB297_417:                            ;   in Loop: Header=BB297_10 Depth=1
	s_or_b32 exec_lo, exec_lo, s23
.LBB297_418:                            ;   in Loop: Header=BB297_10 Depth=1
	s_or_b32 exec_lo, exec_lo, s7
	s_mov_b32 s7, exec_lo
	v_cmpx_lt_u32_e32 0xffffff, v12
	s_cbranch_execz .LBB297_426
; %bb.419:                              ;   in Loop: Header=BB297_10 Depth=1
	v_lshrrev_b32_e32 v18, 24, v12
	v_bfrev_b32_e32 v120, 1
	s_mov_b32 s23, exec_lo
	v_cmpx_ne_u32_e32 0x80, v18
	s_cbranch_execz .LBB297_425
; %bb.420:                              ;   in Loop: Header=BB297_10 Depth=1
	v_and_b32_e32 v2, 0x7f, v18
	v_mov_b32_e32 v120, 0x7c010000
	s_mov_b32 s24, exec_lo
	v_cmpx_ne_u32_e32 0x7f, v2
	s_cbranch_execz .LBB297_424
; %bb.421:                              ;   in Loop: Header=BB297_10 Depth=1
	v_and_b32_e32 v0, 7, v18
	v_lshrrev_b32_e32 v1, 3, v2
	s_mov_b32 s25, exec_lo
	v_cmpx_gt_u32_e32 8, v2
; %bb.422:                              ;   in Loop: Header=BB297_10 Depth=1
	v_ffbh_u32_e32 v0, v0
	v_min_u32_e32 v2, 32, v0
	v_subrev_nc_u32_e32 v0, 28, v2
	v_lshlrev_b64 v[0:1], v0, v[18:19]
	v_sub_nc_u32_e32 v1, 29, v2
	v_and_b32_e32 v0, 7, v0
; %bb.423:                              ;   in Loop: Header=BB297_10 Depth=1
	s_or_b32 exec_lo, exec_lo, s25
	v_lshlrev_b32_e32 v2, 8, v18
	v_lshl_add_u32 v1, v1, 10, 0x2000
	v_lshlrev_b32_e32 v0, 23, v0
	v_and_or_b32 v1, 0x8000, v2, v1
	v_lshl_or_b32 v120, v1, 16, v0
.LBB297_424:                            ;   in Loop: Header=BB297_10 Depth=1
	s_or_b32 exec_lo, exec_lo, s24
.LBB297_425:                            ;   in Loop: Header=BB297_10 Depth=1
	s_or_b32 exec_lo, exec_lo, s23
.LBB297_426:                            ;   in Loop: Header=BB297_10 Depth=1
	s_or_b32 exec_lo, exec_lo, s7
	flat_load_dword v12, v[30:31] offset:1544
	v_mov_b32_e32 v126, 0
	v_mov_b32_e32 v127, 0
	s_waitcnt vmcnt(0) lgkmcnt(0)
	v_cmp_ne_u16_sdwa s6, v12, v19 src0_sel:BYTE_0 src1_sel:DWORD
	s_and_saveexec_b32 s7, s6
	s_cbranch_execz .LBB297_434
; %bb.427:                              ;   in Loop: Header=BB297_10 Depth=1
	v_cmp_ne_u16_sdwa s6, v12, v66 src0_sel:BYTE_0 src1_sel:DWORD
	v_mov_b32_e32 v127, 0x8000
	s_and_saveexec_b32 s23, s6
	s_cbranch_execz .LBB297_433
; %bb.428:                              ;   in Loop: Header=BB297_10 Depth=1
	v_and_b32_e32 v2, 0x7f, v12
	v_mov_b32_e32 v127, 0x7c01
	s_mov_b32 s24, exec_lo
	v_cmpx_ne_u32_e32 0x7f, v2
	s_cbranch_execz .LBB297_432
; %bb.429:                              ;   in Loop: Header=BB297_10 Depth=1
	v_and_b32_e32 v0, 7, v12
	v_lshrrev_b32_e32 v1, 3, v2
	s_mov_b32 s25, exec_lo
	v_cmpx_gt_u32_e32 8, v2
; %bb.430:                              ;   in Loop: Header=BB297_10 Depth=1
	v_ffbh_u32_e32 v0, v0
	v_min_u32_e32 v2, 32, v0
	v_subrev_nc_u32_e32 v0, 28, v2
	v_lshlrev_b64 v[0:1], v0, v[12:13]
	v_sub_nc_u32_e32 v1, 29, v2
	v_and_b32_e32 v0, 7, v0
; %bb.431:                              ;   in Loop: Header=BB297_10 Depth=1
	s_or_b32 exec_lo, exec_lo, s25
	v_lshlrev_b32_e32 v2, 8, v12
	v_lshl_add_u32 v1, v1, 10, 0x2000
	v_lshlrev_b32_e32 v0, 7, v0
	v_and_b32_e32 v2, 0x8000, v2
	v_and_b32_e32 v1, 0xfc00, v1
	v_or3_b32 v127, v2, v1, v0
.LBB297_432:                            ;   in Loop: Header=BB297_10 Depth=1
	s_or_b32 exec_lo, exec_lo, s24
.LBB297_433:                            ;   in Loop: Header=BB297_10 Depth=1
	s_or_b32 exec_lo, exec_lo, s23
.LBB297_434:                            ;   in Loop: Header=BB297_10 Depth=1
	s_or_b32 exec_lo, exec_lo, s7
	v_lshrrev_b16 v18, 8, v12
	s_mov_b32 s7, exec_lo
	v_cmpx_ne_u16_e32 0, v18
	s_cbranch_execz .LBB297_442
; %bb.435:                              ;   in Loop: Header=BB297_10 Depth=1
	v_bfrev_b32_e32 v126, 1
	s_mov_b32 s23, exec_lo
	v_cmpx_ne_u16_e32 0x80, v18
	s_cbranch_execz .LBB297_441
; %bb.436:                              ;   in Loop: Header=BB297_10 Depth=1
	v_and_b32_sdwa v2, v18, v67 dst_sel:DWORD dst_unused:UNUSED_PAD src0_sel:WORD_0 src1_sel:DWORD
	v_mov_b32_e32 v126, 0x7c010000
	s_mov_b32 s24, exec_lo
	v_cmpx_ne_u32_e32 0x7f, v2
	s_cbranch_execz .LBB297_440
; %bb.437:                              ;   in Loop: Header=BB297_10 Depth=1
	v_and_b32_sdwa v0, v18, v68 dst_sel:DWORD dst_unused:UNUSED_PAD src0_sel:WORD_0 src1_sel:DWORD
	v_lshrrev_b32_e32 v1, 3, v2
	s_mov_b32 s25, exec_lo
	v_cmpx_gt_u32_e32 8, v2
; %bb.438:                              ;   in Loop: Header=BB297_10 Depth=1
	v_ffbh_u32_e32 v0, v0
	v_min_u32_e32 v2, 32, v0
	v_subrev_nc_u32_e32 v0, 28, v2
	v_lshlrev_b64 v[0:1], v0, v[18:19]
	v_sub_nc_u32_e32 v1, 29, v2
	v_and_b32_e32 v0, 7, v0
; %bb.439:                              ;   in Loop: Header=BB297_10 Depth=1
	s_or_b32 exec_lo, exec_lo, s25
	v_lshlrev_b32_sdwa v2, v69, v18 dst_sel:DWORD dst_unused:UNUSED_PAD src0_sel:DWORD src1_sel:WORD_0
	v_lshl_add_u32 v1, v1, 10, 0x2000
	v_lshlrev_b32_e32 v0, 23, v0
	v_and_or_b32 v1, 0x8000, v2, v1
	v_lshl_or_b32 v126, v1, 16, v0
.LBB297_440:                            ;   in Loop: Header=BB297_10 Depth=1
	s_or_b32 exec_lo, exec_lo, s24
.LBB297_441:                            ;   in Loop: Header=BB297_10 Depth=1
	s_or_b32 exec_lo, exec_lo, s23
.LBB297_442:                            ;   in Loop: Header=BB297_10 Depth=1
	s_or_b32 exec_lo, exec_lo, s7
	v_lshrrev_b32_e32 v18, 16, v12
	v_mov_b32_e32 v48, 0
	v_mov_b32_e32 v34, 0
	v_cmp_ne_u16_sdwa s6, v18, v19 src0_sel:BYTE_0 src1_sel:DWORD
	s_and_saveexec_b32 s7, s6
	s_cbranch_execz .LBB297_450
; %bb.443:                              ;   in Loop: Header=BB297_10 Depth=1
	v_cmp_ne_u16_sdwa s6, v18, v66 src0_sel:BYTE_0 src1_sel:DWORD
	v_mov_b32_e32 v34, 0x8000
	s_and_saveexec_b32 s23, s6
	s_cbranch_execz .LBB297_449
; %bb.444:                              ;   in Loop: Header=BB297_10 Depth=1
	v_bfe_u32 v2, v12, 16, 7
	v_mov_b32_e32 v34, 0x7c01
	s_mov_b32 s24, exec_lo
	v_cmpx_ne_u32_e32 0x7f, v2
	s_cbranch_execz .LBB297_448
; %bb.445:                              ;   in Loop: Header=BB297_10 Depth=1
	v_and_b32_e32 v0, 7, v18
	v_lshrrev_b32_e32 v1, 3, v2
	s_mov_b32 s25, exec_lo
	v_cmpx_gt_u32_e32 8, v2
; %bb.446:                              ;   in Loop: Header=BB297_10 Depth=1
	v_ffbh_u32_e32 v0, v0
	v_min_u32_e32 v2, 32, v0
	v_subrev_nc_u32_e32 v0, 28, v2
	v_lshlrev_b64 v[0:1], v0, v[18:19]
	v_sub_nc_u32_e32 v1, 29, v2
	v_and_b32_e32 v0, 7, v0
; %bb.447:                              ;   in Loop: Header=BB297_10 Depth=1
	s_or_b32 exec_lo, exec_lo, s25
	v_lshlrev_b32_e32 v2, 8, v18
	v_lshl_add_u32 v1, v1, 10, 0x2000
	v_lshlrev_b32_e32 v0, 7, v0
	v_and_b32_e32 v2, 0x8000, v2
	v_and_b32_e32 v1, 0xfc00, v1
	v_or3_b32 v34, v2, v1, v0
.LBB297_448:                            ;   in Loop: Header=BB297_10 Depth=1
	s_or_b32 exec_lo, exec_lo, s24
.LBB297_449:                            ;   in Loop: Header=BB297_10 Depth=1
	s_or_b32 exec_lo, exec_lo, s23
.LBB297_450:                            ;   in Loop: Header=BB297_10 Depth=1
	s_or_b32 exec_lo, exec_lo, s7
	s_mov_b32 s7, exec_lo
	v_cmpx_lt_u32_e32 0xffffff, v12
	s_cbranch_execz .LBB297_458
; %bb.451:                              ;   in Loop: Header=BB297_10 Depth=1
	v_lshrrev_b32_e32 v18, 24, v12
	v_bfrev_b32_e32 v48, 1
	s_mov_b32 s23, exec_lo
	v_cmpx_ne_u32_e32 0x80, v18
	s_cbranch_execz .LBB297_457
; %bb.452:                              ;   in Loop: Header=BB297_10 Depth=1
	v_and_b32_e32 v2, 0x7f, v18
	v_mov_b32_e32 v48, 0x7c010000
	s_mov_b32 s24, exec_lo
	v_cmpx_ne_u32_e32 0x7f, v2
	s_cbranch_execz .LBB297_456
; %bb.453:                              ;   in Loop: Header=BB297_10 Depth=1
	v_and_b32_e32 v0, 7, v18
	v_lshrrev_b32_e32 v1, 3, v2
	s_mov_b32 s25, exec_lo
	v_cmpx_gt_u32_e32 8, v2
; %bb.454:                              ;   in Loop: Header=BB297_10 Depth=1
	v_ffbh_u32_e32 v0, v0
	v_min_u32_e32 v2, 32, v0
	v_subrev_nc_u32_e32 v0, 28, v2
	v_lshlrev_b64 v[0:1], v0, v[18:19]
	v_sub_nc_u32_e32 v1, 29, v2
	v_and_b32_e32 v0, 7, v0
; %bb.455:                              ;   in Loop: Header=BB297_10 Depth=1
	s_or_b32 exec_lo, exec_lo, s25
	v_lshlrev_b32_e32 v2, 8, v18
	v_lshl_add_u32 v1, v1, 10, 0x2000
	v_lshlrev_b32_e32 v0, 23, v0
	v_and_or_b32 v1, 0x8000, v2, v1
	v_lshl_or_b32 v48, v1, 16, v0
.LBB297_456:                            ;   in Loop: Header=BB297_10 Depth=1
	s_or_b32 exec_lo, exec_lo, s24
.LBB297_457:                            ;   in Loop: Header=BB297_10 Depth=1
	s_or_b32 exec_lo, exec_lo, s23
.LBB297_458:                            ;   in Loop: Header=BB297_10 Depth=1
	s_or_b32 exec_lo, exec_lo, s7
	flat_load_dword v12, v[30:31] offset:1792
	v_mov_b32_e32 v16, 0
	v_mov_b32_e32 v17, 0
	s_waitcnt vmcnt(0) lgkmcnt(0)
	v_cmp_ne_u16_sdwa s6, v12, v19 src0_sel:BYTE_0 src1_sel:DWORD
	s_and_saveexec_b32 s7, s6
	s_cbranch_execz .LBB297_466
; %bb.459:                              ;   in Loop: Header=BB297_10 Depth=1
	v_cmp_ne_u16_sdwa s6, v12, v66 src0_sel:BYTE_0 src1_sel:DWORD
	v_mov_b32_e32 v17, 0x8000
	s_and_saveexec_b32 s23, s6
	s_cbranch_execz .LBB297_465
; %bb.460:                              ;   in Loop: Header=BB297_10 Depth=1
	v_and_b32_e32 v2, 0x7f, v12
	v_mov_b32_e32 v17, 0x7c01
	s_mov_b32 s24, exec_lo
	v_cmpx_ne_u32_e32 0x7f, v2
	s_cbranch_execz .LBB297_464
; %bb.461:                              ;   in Loop: Header=BB297_10 Depth=1
	v_and_b32_e32 v0, 7, v12
	v_lshrrev_b32_e32 v1, 3, v2
	s_mov_b32 s25, exec_lo
	v_cmpx_gt_u32_e32 8, v2
; %bb.462:                              ;   in Loop: Header=BB297_10 Depth=1
	v_ffbh_u32_e32 v0, v0
	v_min_u32_e32 v2, 32, v0
	v_subrev_nc_u32_e32 v0, 28, v2
	v_lshlrev_b64 v[0:1], v0, v[12:13]
	v_sub_nc_u32_e32 v1, 29, v2
	v_and_b32_e32 v0, 7, v0
; %bb.463:                              ;   in Loop: Header=BB297_10 Depth=1
	s_or_b32 exec_lo, exec_lo, s25
	v_lshlrev_b32_e32 v2, 8, v12
	v_lshl_add_u32 v1, v1, 10, 0x2000
	v_lshlrev_b32_e32 v0, 7, v0
	v_and_b32_e32 v2, 0x8000, v2
	v_and_b32_e32 v1, 0xfc00, v1
	v_or3_b32 v17, v2, v1, v0
.LBB297_464:                            ;   in Loop: Header=BB297_10 Depth=1
	s_or_b32 exec_lo, exec_lo, s24
.LBB297_465:                            ;   in Loop: Header=BB297_10 Depth=1
	s_or_b32 exec_lo, exec_lo, s23
.LBB297_466:                            ;   in Loop: Header=BB297_10 Depth=1
	s_or_b32 exec_lo, exec_lo, s7
	v_lshrrev_b16 v18, 8, v12
	s_mov_b32 s7, exec_lo
	v_cmpx_ne_u16_e32 0, v18
	s_cbranch_execz .LBB297_474
; %bb.467:                              ;   in Loop: Header=BB297_10 Depth=1
	v_bfrev_b32_e32 v16, 1
	s_mov_b32 s23, exec_lo
	v_cmpx_ne_u16_e32 0x80, v18
	s_cbranch_execz .LBB297_473
; %bb.468:                              ;   in Loop: Header=BB297_10 Depth=1
	v_and_b32_sdwa v2, v18, v67 dst_sel:DWORD dst_unused:UNUSED_PAD src0_sel:WORD_0 src1_sel:DWORD
	v_mov_b32_e32 v16, 0x7c010000
	s_mov_b32 s24, exec_lo
	v_cmpx_ne_u32_e32 0x7f, v2
	s_cbranch_execz .LBB297_472
; %bb.469:                              ;   in Loop: Header=BB297_10 Depth=1
	v_and_b32_sdwa v0, v18, v68 dst_sel:DWORD dst_unused:UNUSED_PAD src0_sel:WORD_0 src1_sel:DWORD
	v_lshrrev_b32_e32 v1, 3, v2
	s_mov_b32 s25, exec_lo
	v_cmpx_gt_u32_e32 8, v2
; %bb.470:                              ;   in Loop: Header=BB297_10 Depth=1
	v_ffbh_u32_e32 v0, v0
	v_min_u32_e32 v2, 32, v0
	v_subrev_nc_u32_e32 v0, 28, v2
	v_lshlrev_b64 v[0:1], v0, v[18:19]
	v_sub_nc_u32_e32 v1, 29, v2
	v_and_b32_e32 v0, 7, v0
; %bb.471:                              ;   in Loop: Header=BB297_10 Depth=1
	s_or_b32 exec_lo, exec_lo, s25
	v_lshlrev_b32_sdwa v2, v69, v18 dst_sel:DWORD dst_unused:UNUSED_PAD src0_sel:DWORD src1_sel:WORD_0
	v_lshl_add_u32 v1, v1, 10, 0x2000
	v_lshlrev_b32_e32 v0, 23, v0
	v_and_or_b32 v1, 0x8000, v2, v1
	v_lshl_or_b32 v16, v1, 16, v0
.LBB297_472:                            ;   in Loop: Header=BB297_10 Depth=1
	s_or_b32 exec_lo, exec_lo, s24
.LBB297_473:                            ;   in Loop: Header=BB297_10 Depth=1
	s_or_b32 exec_lo, exec_lo, s23
.LBB297_474:                            ;   in Loop: Header=BB297_10 Depth=1
	s_or_b32 exec_lo, exec_lo, s7
	v_lshrrev_b32_e32 v18, 16, v12
	v_mov_b32_e32 v2, 0
	v_mov_b32_e32 v51, 0
	v_cmp_ne_u16_sdwa s6, v18, v19 src0_sel:BYTE_0 src1_sel:DWORD
	s_and_saveexec_b32 s7, s6
	s_cbranch_execz .LBB297_482
; %bb.475:                              ;   in Loop: Header=BB297_10 Depth=1
	v_cmp_ne_u16_sdwa s6, v18, v66 src0_sel:BYTE_0 src1_sel:DWORD
	v_mov_b32_e32 v51, 0x8000
	s_and_saveexec_b32 s23, s6
	s_cbranch_execz .LBB297_481
; %bb.476:                              ;   in Loop: Header=BB297_10 Depth=1
	v_bfe_u32 v3, v12, 16, 7
	v_mov_b32_e32 v51, 0x7c01
	s_mov_b32 s24, exec_lo
	v_cmpx_ne_u32_e32 0x7f, v3
	s_cbranch_execz .LBB297_480
; %bb.477:                              ;   in Loop: Header=BB297_10 Depth=1
	v_and_b32_e32 v0, 7, v18
	v_lshrrev_b32_e32 v1, 3, v3
	s_mov_b32 s25, exec_lo
	v_cmpx_gt_u32_e32 8, v3
; %bb.478:                              ;   in Loop: Header=BB297_10 Depth=1
	v_ffbh_u32_e32 v0, v0
	v_min_u32_e32 v3, 32, v0
	v_subrev_nc_u32_e32 v0, 28, v3
	v_lshlrev_b64 v[0:1], v0, v[18:19]
	v_sub_nc_u32_e32 v1, 29, v3
	v_and_b32_e32 v0, 7, v0
; %bb.479:                              ;   in Loop: Header=BB297_10 Depth=1
	s_or_b32 exec_lo, exec_lo, s25
	v_lshlrev_b32_e32 v3, 8, v18
	v_lshl_add_u32 v1, v1, 10, 0x2000
	v_lshlrev_b32_e32 v0, 7, v0
	v_and_b32_e32 v3, 0x8000, v3
	v_and_b32_e32 v1, 0xfc00, v1
	v_or3_b32 v51, v3, v1, v0
.LBB297_480:                            ;   in Loop: Header=BB297_10 Depth=1
	s_or_b32 exec_lo, exec_lo, s24
.LBB297_481:                            ;   in Loop: Header=BB297_10 Depth=1
	s_or_b32 exec_lo, exec_lo, s23
.LBB297_482:                            ;   in Loop: Header=BB297_10 Depth=1
	s_or_b32 exec_lo, exec_lo, s7
	s_mov_b32 s7, exec_lo
	v_cmpx_lt_u32_e32 0xffffff, v12
	s_cbranch_execz .LBB297_490
; %bb.483:                              ;   in Loop: Header=BB297_10 Depth=1
	v_lshrrev_b32_e32 v18, 24, v12
	v_bfrev_b32_e32 v2, 1
	s_mov_b32 s23, exec_lo
	v_cmpx_ne_u32_e32 0x80, v18
	s_cbranch_execz .LBB297_489
; %bb.484:                              ;   in Loop: Header=BB297_10 Depth=1
	v_and_b32_e32 v3, 0x7f, v18
	v_mov_b32_e32 v2, 0x7c010000
	s_mov_b32 s24, exec_lo
	v_cmpx_ne_u32_e32 0x7f, v3
	s_cbranch_execz .LBB297_488
; %bb.485:                              ;   in Loop: Header=BB297_10 Depth=1
	v_and_b32_e32 v0, 7, v18
	v_lshrrev_b32_e32 v1, 3, v3
	s_mov_b32 s25, exec_lo
	v_cmpx_gt_u32_e32 8, v3
; %bb.486:                              ;   in Loop: Header=BB297_10 Depth=1
	v_ffbh_u32_e32 v0, v0
	v_min_u32_e32 v2, 32, v0
	v_subrev_nc_u32_e32 v0, 28, v2
	v_lshlrev_b64 v[0:1], v0, v[18:19]
	v_sub_nc_u32_e32 v1, 29, v2
	v_and_b32_e32 v0, 7, v0
; %bb.487:                              ;   in Loop: Header=BB297_10 Depth=1
	s_or_b32 exec_lo, exec_lo, s25
	v_lshlrev_b32_e32 v2, 8, v18
	v_lshl_add_u32 v1, v1, 10, 0x2000
	v_lshlrev_b32_e32 v0, 23, v0
	v_and_or_b32 v1, 0x8000, v2, v1
	v_lshl_or_b32 v2, v1, 16, v0
.LBB297_488:                            ;   in Loop: Header=BB297_10 Depth=1
	s_or_b32 exec_lo, exec_lo, s24
.LBB297_489:                            ;   in Loop: Header=BB297_10 Depth=1
	s_or_b32 exec_lo, exec_lo, s23
.LBB297_490:                            ;   in Loop: Header=BB297_10 Depth=1
	s_or_b32 exec_lo, exec_lo, s7
	flat_load_dword v12, v[30:31] offset:1800
	v_mov_b32_e32 v1, 0
	v_mov_b32_e32 v3, 0
	s_waitcnt vmcnt(0) lgkmcnt(0)
	v_cmp_ne_u16_sdwa s6, v12, v19 src0_sel:BYTE_0 src1_sel:DWORD
	s_and_saveexec_b32 s7, s6
	s_cbranch_execz .LBB297_498
; %bb.491:                              ;   in Loop: Header=BB297_10 Depth=1
	v_cmp_ne_u16_sdwa s6, v12, v66 src0_sel:BYTE_0 src1_sel:DWORD
	v_mov_b32_e32 v3, 0x8000
	s_and_saveexec_b32 s23, s6
	s_cbranch_execz .LBB297_497
; %bb.492:                              ;   in Loop: Header=BB297_10 Depth=1
	v_and_b32_e32 v4, 0x7f, v12
	v_mov_b32_e32 v3, 0x7c01
	s_mov_b32 s24, exec_lo
	v_cmpx_ne_u32_e32 0x7f, v4
	s_cbranch_execz .LBB297_496
; %bb.493:                              ;   in Loop: Header=BB297_10 Depth=1
	v_and_b32_e32 v0, 7, v12
	v_lshrrev_b32_e32 v3, 3, v4
	s_mov_b32 s25, exec_lo
	v_cmpx_gt_u32_e32 8, v4
; %bb.494:                              ;   in Loop: Header=BB297_10 Depth=1
	v_ffbh_u32_e32 v0, v0
	v_min_u32_e32 v0, 32, v0
	v_subrev_nc_u32_e32 v3, 28, v0
	v_lshlrev_b64 v[4:5], v3, v[12:13]
	v_sub_nc_u32_e32 v3, 29, v0
	v_and_b32_e32 v0, 7, v4
; %bb.495:                              ;   in Loop: Header=BB297_10 Depth=1
	s_or_b32 exec_lo, exec_lo, s25
	v_lshlrev_b32_e32 v4, 8, v12
	v_lshl_add_u32 v3, v3, 10, 0x2000
	v_lshlrev_b32_e32 v0, 7, v0
	v_and_b32_e32 v4, 0x8000, v4
	v_and_b32_e32 v3, 0xfc00, v3
	v_or3_b32 v3, v4, v3, v0
.LBB297_496:                            ;   in Loop: Header=BB297_10 Depth=1
	s_or_b32 exec_lo, exec_lo, s24
.LBB297_497:                            ;   in Loop: Header=BB297_10 Depth=1
	s_or_b32 exec_lo, exec_lo, s23
.LBB297_498:                            ;   in Loop: Header=BB297_10 Depth=1
	s_or_b32 exec_lo, exec_lo, s7
	v_lshrrev_b16 v18, 8, v12
	s_mov_b32 s7, exec_lo
	v_cmpx_ne_u16_e32 0, v18
	s_cbranch_execz .LBB297_506
; %bb.499:                              ;   in Loop: Header=BB297_10 Depth=1
	v_bfrev_b32_e32 v1, 1
	s_mov_b32 s23, exec_lo
	v_cmpx_ne_u16_e32 0x80, v18
	s_cbranch_execz .LBB297_505
; %bb.500:                              ;   in Loop: Header=BB297_10 Depth=1
	v_and_b32_sdwa v4, v18, v67 dst_sel:DWORD dst_unused:UNUSED_PAD src0_sel:WORD_0 src1_sel:DWORD
	v_mov_b32_e32 v1, 0x7c010000
	s_mov_b32 s24, exec_lo
	v_cmpx_ne_u32_e32 0x7f, v4
	s_cbranch_execz .LBB297_504
; %bb.501:                              ;   in Loop: Header=BB297_10 Depth=1
	v_and_b32_sdwa v0, v18, v68 dst_sel:DWORD dst_unused:UNUSED_PAD src0_sel:WORD_0 src1_sel:DWORD
	v_lshrrev_b32_e32 v1, 3, v4
	s_mov_b32 s25, exec_lo
	v_cmpx_gt_u32_e32 8, v4
; %bb.502:                              ;   in Loop: Header=BB297_10 Depth=1
	v_ffbh_u32_e32 v0, v0
	v_min_u32_e32 v4, 32, v0
	v_subrev_nc_u32_e32 v0, 28, v4
	v_lshlrev_b64 v[0:1], v0, v[18:19]
	v_sub_nc_u32_e32 v1, 29, v4
	v_and_b32_e32 v0, 7, v0
; %bb.503:                              ;   in Loop: Header=BB297_10 Depth=1
	s_or_b32 exec_lo, exec_lo, s25
	v_lshlrev_b32_sdwa v4, v69, v18 dst_sel:DWORD dst_unused:UNUSED_PAD src0_sel:DWORD src1_sel:WORD_0
	v_lshl_add_u32 v1, v1, 10, 0x2000
	v_lshlrev_b32_e32 v0, 23, v0
	v_and_or_b32 v1, 0x8000, v4, v1
	v_lshl_or_b32 v1, v1, 16, v0
.LBB297_504:                            ;   in Loop: Header=BB297_10 Depth=1
	s_or_b32 exec_lo, exec_lo, s24
.LBB297_505:                            ;   in Loop: Header=BB297_10 Depth=1
	s_or_b32 exec_lo, exec_lo, s23
.LBB297_506:                            ;   in Loop: Header=BB297_10 Depth=1
	s_or_b32 exec_lo, exec_lo, s7
	v_lshrrev_b32_e32 v18, 16, v12
	v_mov_b32_e32 v14, 0
	v_mov_b32_e32 v15, 0
	v_cmp_ne_u16_sdwa s6, v18, v19 src0_sel:BYTE_0 src1_sel:DWORD
	s_and_saveexec_b32 s7, s6
	s_cbranch_execz .LBB297_514
; %bb.507:                              ;   in Loop: Header=BB297_10 Depth=1
	v_cmp_ne_u16_sdwa s6, v18, v66 src0_sel:BYTE_0 src1_sel:DWORD
	v_mov_b32_e32 v15, 0x8000
	s_and_saveexec_b32 s23, s6
	s_cbranch_execz .LBB297_513
; %bb.508:                              ;   in Loop: Header=BB297_10 Depth=1
	v_bfe_u32 v5, v12, 16, 7
	v_mov_b32_e32 v15, 0x7c01
	s_mov_b32 s24, exec_lo
	v_cmpx_ne_u32_e32 0x7f, v5
	s_cbranch_execz .LBB297_512
; %bb.509:                              ;   in Loop: Header=BB297_10 Depth=1
	v_and_b32_e32 v0, 7, v18
	v_lshrrev_b32_e32 v4, 3, v5
	s_mov_b32 s25, exec_lo
	v_cmpx_gt_u32_e32 8, v5
; %bb.510:                              ;   in Loop: Header=BB297_10 Depth=1
	v_ffbh_u32_e32 v0, v0
	v_min_u32_e32 v0, 32, v0
	v_subrev_nc_u32_e32 v4, 28, v0
	v_lshlrev_b64 v[8:9], v4, v[18:19]
	v_sub_nc_u32_e32 v4, 29, v0
	v_and_b32_e32 v0, 7, v8
; %bb.511:                              ;   in Loop: Header=BB297_10 Depth=1
	s_or_b32 exec_lo, exec_lo, s25
	v_lshlrev_b32_e32 v5, 8, v18
	v_lshl_add_u32 v4, v4, 10, 0x2000
	v_lshlrev_b32_e32 v0, 7, v0
	v_and_b32_e32 v5, 0x8000, v5
	v_and_b32_e32 v4, 0xfc00, v4
	v_or3_b32 v15, v5, v4, v0
.LBB297_512:                            ;   in Loop: Header=BB297_10 Depth=1
	s_or_b32 exec_lo, exec_lo, s24
.LBB297_513:                            ;   in Loop: Header=BB297_10 Depth=1
	s_or_b32 exec_lo, exec_lo, s23
.LBB297_514:                            ;   in Loop: Header=BB297_10 Depth=1
	s_or_b32 exec_lo, exec_lo, s7
	s_mov_b32 s7, exec_lo
	v_cmpx_lt_u32_e32 0xffffff, v12
	s_cbranch_execz .LBB297_522
; %bb.515:                              ;   in Loop: Header=BB297_10 Depth=1
	v_lshrrev_b32_e32 v18, 24, v12
	v_bfrev_b32_e32 v14, 1
	s_mov_b32 s23, exec_lo
	v_cmpx_ne_u32_e32 0x80, v18
	s_cbranch_execz .LBB297_521
; %bb.516:                              ;   in Loop: Header=BB297_10 Depth=1
	v_and_b32_e32 v5, 0x7f, v18
	v_mov_b32_e32 v14, 0x7c010000
	s_mov_b32 s24, exec_lo
	v_cmpx_ne_u32_e32 0x7f, v5
	s_cbranch_execz .LBB297_520
; %bb.517:                              ;   in Loop: Header=BB297_10 Depth=1
	v_and_b32_e32 v0, 7, v18
	v_lshrrev_b32_e32 v4, 3, v5
	s_mov_b32 s25, exec_lo
	v_cmpx_gt_u32_e32 8, v5
; %bb.518:                              ;   in Loop: Header=BB297_10 Depth=1
	v_ffbh_u32_e32 v0, v0
	v_min_u32_e32 v0, 32, v0
	v_subrev_nc_u32_e32 v4, 28, v0
	v_lshlrev_b64 v[8:9], v4, v[18:19]
	v_sub_nc_u32_e32 v4, 29, v0
	v_and_b32_e32 v0, 7, v8
; %bb.519:                              ;   in Loop: Header=BB297_10 Depth=1
	s_or_b32 exec_lo, exec_lo, s25
	v_lshlrev_b32_e32 v5, 8, v18
	v_lshl_add_u32 v4, v4, 10, 0x2000
	v_lshlrev_b32_e32 v0, 23, v0
	v_and_or_b32 v4, 0x8000, v5, v4
	v_lshl_or_b32 v14, v4, 16, v0
.LBB297_520:                            ;   in Loop: Header=BB297_10 Depth=1
	s_or_b32 exec_lo, exec_lo, s24
.LBB297_521:                            ;   in Loop: Header=BB297_10 Depth=1
	s_or_b32 exec_lo, exec_lo, s23
.LBB297_522:                            ;   in Loop: Header=BB297_10 Depth=1
	s_or_b32 exec_lo, exec_lo, s7
	v_add_co_u32 v4, s6, 0x800, v28
	v_add_co_ci_u32_e64 v5, null, 0, v29, s6
	v_mov_b32_e32 v0, 0
	v_add_co_u32 v8, s6, v4, v53
	v_add_co_ci_u32_e64 v9, null, 0, v5, s6
	v_mov_b32_e32 v10, 0
	flat_load_dword v12, v[8:9]
	s_waitcnt vmcnt(0) lgkmcnt(0)
	v_cmp_ne_u16_sdwa s6, v12, v19 src0_sel:BYTE_0 src1_sel:DWORD
	s_and_saveexec_b32 s7, s6
	s_cbranch_execz .LBB297_530
; %bb.523:                              ;   in Loop: Header=BB297_10 Depth=1
	v_cmp_ne_u16_sdwa s6, v12, v66 src0_sel:BYTE_0 src1_sel:DWORD
	v_mov_b32_e32 v10, 0x8000
	s_and_saveexec_b32 s23, s6
	s_cbranch_execz .LBB297_529
; %bb.524:                              ;   in Loop: Header=BB297_10 Depth=1
	v_and_b32_e32 v11, 0x7f, v12
	v_mov_b32_e32 v10, 0x7c01
	s_mov_b32 s24, exec_lo
	v_cmpx_ne_u32_e32 0x7f, v11
	s_cbranch_execz .LBB297_528
; %bb.525:                              ;   in Loop: Header=BB297_10 Depth=1
	v_and_b32_e32 v8, 7, v12
	v_lshrrev_b32_e32 v9, 3, v11
	s_mov_b32 s25, exec_lo
	v_cmpx_gt_u32_e32 8, v11
; %bb.526:                              ;   in Loop: Header=BB297_10 Depth=1
	v_ffbh_u32_e32 v8, v8
	v_min_u32_e32 v10, 32, v8
	v_subrev_nc_u32_e32 v8, 28, v10
	v_lshlrev_b64 v[8:9], v8, v[12:13]
	v_sub_nc_u32_e32 v9, 29, v10
	v_and_b32_e32 v8, 7, v8
; %bb.527:                              ;   in Loop: Header=BB297_10 Depth=1
	s_or_b32 exec_lo, exec_lo, s25
	v_lshlrev_b32_e32 v10, 8, v12
	v_lshl_add_u32 v9, v9, 10, 0x2000
	v_lshlrev_b32_e32 v8, 7, v8
	v_and_b32_e32 v10, 0x8000, v10
	v_and_b32_e32 v9, 0xfc00, v9
	v_or3_b32 v10, v10, v9, v8
.LBB297_528:                            ;   in Loop: Header=BB297_10 Depth=1
	s_or_b32 exec_lo, exec_lo, s24
.LBB297_529:                            ;   in Loop: Header=BB297_10 Depth=1
	s_or_b32 exec_lo, exec_lo, s23
.LBB297_530:                            ;   in Loop: Header=BB297_10 Depth=1
	s_or_b32 exec_lo, exec_lo, s7
	v_lshrrev_b16 v18, 8, v12
	s_mov_b32 s7, exec_lo
	v_cmpx_ne_u16_e32 0, v18
	s_cbranch_execz .LBB297_538
; %bb.531:                              ;   in Loop: Header=BB297_10 Depth=1
	v_bfrev_b32_e32 v0, 1
	s_mov_b32 s23, exec_lo
	v_cmpx_ne_u16_e32 0x80, v18
	s_cbranch_execz .LBB297_537
; %bb.532:                              ;   in Loop: Header=BB297_10 Depth=1
	v_and_b32_sdwa v9, v18, v67 dst_sel:DWORD dst_unused:UNUSED_PAD src0_sel:WORD_0 src1_sel:DWORD
	v_mov_b32_e32 v0, 0x7c010000
	s_mov_b32 s24, exec_lo
	v_cmpx_ne_u32_e32 0x7f, v9
	s_cbranch_execz .LBB297_536
; %bb.533:                              ;   in Loop: Header=BB297_10 Depth=1
	v_and_b32_sdwa v0, v18, v68 dst_sel:DWORD dst_unused:UNUSED_PAD src0_sel:WORD_0 src1_sel:DWORD
	v_lshrrev_b32_e32 v8, 3, v9
	s_mov_b32 s25, exec_lo
	v_cmpx_gt_u32_e32 8, v9
; %bb.534:                              ;   in Loop: Header=BB297_10 Depth=1
	v_ffbh_u32_e32 v0, v0
	v_min_u32_e32 v0, 32, v0
	v_subrev_nc_u32_e32 v8, 28, v0
	v_lshlrev_b64 v[30:31], v8, v[18:19]
	v_sub_nc_u32_e32 v8, 29, v0
	v_and_b32_e32 v0, 7, v30
; %bb.535:                              ;   in Loop: Header=BB297_10 Depth=1
	s_or_b32 exec_lo, exec_lo, s25
	v_lshlrev_b32_sdwa v9, v69, v18 dst_sel:DWORD dst_unused:UNUSED_PAD src0_sel:DWORD src1_sel:WORD_0
	v_lshl_add_u32 v8, v8, 10, 0x2000
	v_lshlrev_b32_e32 v0, 23, v0
	v_and_or_b32 v8, 0x8000, v9, v8
	v_lshl_or_b32 v0, v8, 16, v0
.LBB297_536:                            ;   in Loop: Header=BB297_10 Depth=1
	s_or_b32 exec_lo, exec_lo, s24
.LBB297_537:                            ;   in Loop: Header=BB297_10 Depth=1
	s_or_b32 exec_lo, exec_lo, s23
.LBB297_538:                            ;   in Loop: Header=BB297_10 Depth=1
	s_or_b32 exec_lo, exec_lo, s7
	v_lshrrev_b32_e32 v18, 16, v12
	v_mov_b32_e32 v23, 0
	v_mov_b32_e32 v11, 0
	v_cmp_ne_u16_sdwa s6, v18, v19 src0_sel:BYTE_0 src1_sel:DWORD
	s_and_saveexec_b32 s7, s6
	s_cbranch_execz .LBB297_546
; %bb.539:                              ;   in Loop: Header=BB297_10 Depth=1
	v_cmp_ne_u16_sdwa s6, v18, v66 src0_sel:BYTE_0 src1_sel:DWORD
	v_mov_b32_e32 v11, 0x8000
	s_and_saveexec_b32 s23, s6
	s_cbranch_execz .LBB297_545
; %bb.540:                              ;   in Loop: Header=BB297_10 Depth=1
	v_bfe_u32 v30, v12, 16, 7
	v_mov_b32_e32 v11, 0x7c01
	s_mov_b32 s24, exec_lo
	v_cmpx_ne_u32_e32 0x7f, v30
	s_cbranch_execz .LBB297_544
; %bb.541:                              ;   in Loop: Header=BB297_10 Depth=1
	v_and_b32_e32 v8, 7, v18
	v_lshrrev_b32_e32 v9, 3, v30
	s_mov_b32 s25, exec_lo
	v_cmpx_gt_u32_e32 8, v30
; %bb.542:                              ;   in Loop: Header=BB297_10 Depth=1
	v_ffbh_u32_e32 v8, v8
	v_min_u32_e32 v11, 32, v8
	v_subrev_nc_u32_e32 v8, 28, v11
	v_lshlrev_b64 v[8:9], v8, v[18:19]
	v_sub_nc_u32_e32 v9, 29, v11
	v_and_b32_e32 v8, 7, v8
; %bb.543:                              ;   in Loop: Header=BB297_10 Depth=1
	s_or_b32 exec_lo, exec_lo, s25
	v_lshlrev_b32_e32 v11, 8, v18
	v_lshl_add_u32 v9, v9, 10, 0x2000
	v_lshlrev_b32_e32 v8, 7, v8
	v_and_b32_e32 v11, 0x8000, v11
	v_and_b32_e32 v9, 0xfc00, v9
	v_or3_b32 v11, v11, v9, v8
.LBB297_544:                            ;   in Loop: Header=BB297_10 Depth=1
	s_or_b32 exec_lo, exec_lo, s24
.LBB297_545:                            ;   in Loop: Header=BB297_10 Depth=1
	s_or_b32 exec_lo, exec_lo, s23
.LBB297_546:                            ;   in Loop: Header=BB297_10 Depth=1
	s_or_b32 exec_lo, exec_lo, s7
	s_mov_b32 s7, exec_lo
	v_cmpx_lt_u32_e32 0xffffff, v12
	s_cbranch_execz .LBB297_554
; %bb.547:                              ;   in Loop: Header=BB297_10 Depth=1
	v_lshrrev_b32_e32 v18, 24, v12
	v_bfrev_b32_e32 v23, 1
	s_mov_b32 s23, exec_lo
	v_cmpx_ne_u32_e32 0x80, v18
	s_cbranch_execz .LBB297_553
; %bb.548:                              ;   in Loop: Header=BB297_10 Depth=1
	v_and_b32_e32 v12, 0x7f, v18
	v_mov_b32_e32 v23, 0x7c010000
	s_mov_b32 s24, exec_lo
	v_cmpx_ne_u32_e32 0x7f, v12
	s_cbranch_execz .LBB297_552
; %bb.549:                              ;   in Loop: Header=BB297_10 Depth=1
	v_and_b32_e32 v8, 7, v18
	v_lshrrev_b32_e32 v9, 3, v12
	s_mov_b32 s25, exec_lo
	v_cmpx_gt_u32_e32 8, v12
; %bb.550:                              ;   in Loop: Header=BB297_10 Depth=1
	v_ffbh_u32_e32 v8, v8
	v_min_u32_e32 v12, 32, v8
	v_subrev_nc_u32_e32 v8, 28, v12
	v_lshlrev_b64 v[8:9], v8, v[18:19]
	v_sub_nc_u32_e32 v9, 29, v12
	v_and_b32_e32 v8, 7, v8
; %bb.551:                              ;   in Loop: Header=BB297_10 Depth=1
	s_or_b32 exec_lo, exec_lo, s25
	v_lshlrev_b32_e32 v12, 8, v18
	v_lshl_add_u32 v9, v9, 10, 0x2000
	v_lshlrev_b32_e32 v8, 23, v8
	v_and_or_b32 v9, 0x8000, v12, v9
	v_lshl_or_b32 v23, v9, 16, v8
.LBB297_552:                            ;   in Loop: Header=BB297_10 Depth=1
	s_or_b32 exec_lo, exec_lo, s24
.LBB297_553:                            ;   in Loop: Header=BB297_10 Depth=1
	s_or_b32 exec_lo, exec_lo, s23
.LBB297_554:                            ;   in Loop: Header=BB297_10 Depth=1
	s_or_b32 exec_lo, exec_lo, s7
	v_add_co_u32 v4, s6, v4, v55
	v_add_co_ci_u32_e64 v5, null, 0, v5, s6
	flat_load_dword v12, v[4:5]
	v_mov_b32_e32 v4, 0
	v_mov_b32_e32 v5, 0
	s_waitcnt vmcnt(0) lgkmcnt(0)
	v_cmp_ne_u16_sdwa s6, v12, v19 src0_sel:BYTE_0 src1_sel:DWORD
	s_and_saveexec_b32 s7, s6
	s_cbranch_execz .LBB297_562
; %bb.555:                              ;   in Loop: Header=BB297_10 Depth=1
	v_cmp_ne_u16_sdwa s6, v12, v66 src0_sel:BYTE_0 src1_sel:DWORD
	v_mov_b32_e32 v5, 0x8000
	s_and_saveexec_b32 s23, s6
	s_cbranch_execz .LBB297_561
; %bb.556:                              ;   in Loop: Header=BB297_10 Depth=1
	v_and_b32_e32 v9, 0x7f, v12
	v_mov_b32_e32 v5, 0x7c01
	s_mov_b32 s24, exec_lo
	v_cmpx_ne_u32_e32 0x7f, v9
	s_cbranch_execz .LBB297_560
; %bb.557:                              ;   in Loop: Header=BB297_10 Depth=1
	v_and_b32_e32 v5, 7, v12
	v_lshrrev_b32_e32 v8, 3, v9
	s_mov_b32 s25, exec_lo
	v_cmpx_gt_u32_e32 8, v9
; %bb.558:                              ;   in Loop: Header=BB297_10 Depth=1
	v_ffbh_u32_e32 v5, v5
	v_min_u32_e32 v5, 32, v5
	v_subrev_nc_u32_e32 v8, 28, v5
	v_lshlrev_b64 v[30:31], v8, v[12:13]
	v_sub_nc_u32_e32 v8, 29, v5
	v_and_b32_e32 v5, 7, v30
; %bb.559:                              ;   in Loop: Header=BB297_10 Depth=1
	s_or_b32 exec_lo, exec_lo, s25
	v_lshlrev_b32_e32 v9, 8, v12
	v_lshl_add_u32 v8, v8, 10, 0x2000
	v_lshlrev_b32_e32 v5, 7, v5
	v_and_b32_e32 v9, 0x8000, v9
	v_and_b32_e32 v8, 0xfc00, v8
	v_or3_b32 v5, v9, v8, v5
.LBB297_560:                            ;   in Loop: Header=BB297_10 Depth=1
	s_or_b32 exec_lo, exec_lo, s24
.LBB297_561:                            ;   in Loop: Header=BB297_10 Depth=1
	s_or_b32 exec_lo, exec_lo, s23
.LBB297_562:                            ;   in Loop: Header=BB297_10 Depth=1
	s_or_b32 exec_lo, exec_lo, s7
	v_lshrrev_b16 v18, 8, v12
	s_mov_b32 s7, exec_lo
	v_cmpx_ne_u16_e32 0, v18
	s_cbranch_execz .LBB297_570
; %bb.563:                              ;   in Loop: Header=BB297_10 Depth=1
	v_bfrev_b32_e32 v4, 1
	s_mov_b32 s23, exec_lo
	v_cmpx_ne_u16_e32 0x80, v18
	s_cbranch_execz .LBB297_569
; %bb.564:                              ;   in Loop: Header=BB297_10 Depth=1
	v_and_b32_sdwa v9, v18, v67 dst_sel:DWORD dst_unused:UNUSED_PAD src0_sel:WORD_0 src1_sel:DWORD
	v_mov_b32_e32 v4, 0x7c010000
	s_mov_b32 s24, exec_lo
	v_cmpx_ne_u32_e32 0x7f, v9
	s_cbranch_execz .LBB297_568
; %bb.565:                              ;   in Loop: Header=BB297_10 Depth=1
	v_and_b32_sdwa v4, v18, v68 dst_sel:DWORD dst_unused:UNUSED_PAD src0_sel:WORD_0 src1_sel:DWORD
	v_lshrrev_b32_e32 v8, 3, v9
	s_mov_b32 s25, exec_lo
	v_cmpx_gt_u32_e32 8, v9
; %bb.566:                              ;   in Loop: Header=BB297_10 Depth=1
	v_ffbh_u32_e32 v4, v4
	v_min_u32_e32 v4, 32, v4
	v_subrev_nc_u32_e32 v8, 28, v4
	v_lshlrev_b64 v[30:31], v8, v[18:19]
	v_sub_nc_u32_e32 v8, 29, v4
	v_and_b32_e32 v4, 7, v30
; %bb.567:                              ;   in Loop: Header=BB297_10 Depth=1
	s_or_b32 exec_lo, exec_lo, s25
	v_lshlrev_b32_sdwa v9, v69, v18 dst_sel:DWORD dst_unused:UNUSED_PAD src0_sel:DWORD src1_sel:WORD_0
	v_lshl_add_u32 v8, v8, 10, 0x2000
	v_lshlrev_b32_e32 v4, 23, v4
	v_and_or_b32 v8, 0x8000, v9, v8
	v_lshl_or_b32 v4, v8, 16, v4
.LBB297_568:                            ;   in Loop: Header=BB297_10 Depth=1
	s_or_b32 exec_lo, exec_lo, s24
.LBB297_569:                            ;   in Loop: Header=BB297_10 Depth=1
	s_or_b32 exec_lo, exec_lo, s23
.LBB297_570:                            ;   in Loop: Header=BB297_10 Depth=1
	s_or_b32 exec_lo, exec_lo, s7
	v_lshrrev_b32_e32 v18, 16, v12
	v_mov_b32_e32 v30, 0
	v_mov_b32_e32 v31, 0
	v_cmp_ne_u16_sdwa s6, v18, v19 src0_sel:BYTE_0 src1_sel:DWORD
	s_and_saveexec_b32 s7, s6
	s_cbranch_execz .LBB297_578
; %bb.571:                              ;   in Loop: Header=BB297_10 Depth=1
	v_cmp_ne_u16_sdwa s6, v18, v66 src0_sel:BYTE_0 src1_sel:DWORD
	v_mov_b32_e32 v31, 0x8000
	s_and_saveexec_b32 s23, s6
	s_cbranch_execz .LBB297_577
; %bb.572:                              ;   in Loop: Header=BB297_10 Depth=1
	v_bfe_u32 v32, v12, 16, 7
	v_mov_b32_e32 v31, 0x7c01
	s_mov_b32 s24, exec_lo
	v_cmpx_ne_u32_e32 0x7f, v32
	s_cbranch_execz .LBB297_576
; %bb.573:                              ;   in Loop: Header=BB297_10 Depth=1
	v_and_b32_e32 v8, 7, v18
	v_lshrrev_b32_e32 v9, 3, v32
	s_mov_b32 s25, exec_lo
	v_cmpx_gt_u32_e32 8, v32
; %bb.574:                              ;   in Loop: Header=BB297_10 Depth=1
	v_ffbh_u32_e32 v8, v8
	v_min_u32_e32 v31, 32, v8
	v_subrev_nc_u32_e32 v8, 28, v31
	v_lshlrev_b64 v[8:9], v8, v[18:19]
	v_sub_nc_u32_e32 v9, 29, v31
	v_and_b32_e32 v8, 7, v8
; %bb.575:                              ;   in Loop: Header=BB297_10 Depth=1
	s_or_b32 exec_lo, exec_lo, s25
	v_lshlrev_b32_e32 v18, 8, v18
	v_lshl_add_u32 v9, v9, 10, 0x2000
	v_lshlrev_b32_e32 v8, 7, v8
	v_and_b32_e32 v18, 0x8000, v18
	v_and_b32_e32 v9, 0xfc00, v9
	v_or3_b32 v31, v18, v9, v8
.LBB297_576:                            ;   in Loop: Header=BB297_10 Depth=1
	s_or_b32 exec_lo, exec_lo, s24
.LBB297_577:                            ;   in Loop: Header=BB297_10 Depth=1
	s_or_b32 exec_lo, exec_lo, s23
.LBB297_578:                            ;   in Loop: Header=BB297_10 Depth=1
	s_or_b32 exec_lo, exec_lo, s7
	s_mov_b32 s7, exec_lo
	v_cmpx_lt_u32_e32 0xffffff, v12
	s_cbranch_execz .LBB297_586
; %bb.579:                              ;   in Loop: Header=BB297_10 Depth=1
	v_lshrrev_b32_e32 v18, 24, v12
	v_bfrev_b32_e32 v30, 1
	s_mov_b32 s23, exec_lo
	v_cmpx_ne_u32_e32 0x80, v18
	s_cbranch_execz .LBB297_585
; %bb.580:                              ;   in Loop: Header=BB297_10 Depth=1
	v_and_b32_e32 v12, 0x7f, v18
	v_mov_b32_e32 v30, 0x7c010000
	s_mov_b32 s24, exec_lo
	v_cmpx_ne_u32_e32 0x7f, v12
	s_cbranch_execz .LBB297_584
; %bb.581:                              ;   in Loop: Header=BB297_10 Depth=1
	v_and_b32_e32 v8, 7, v18
	v_lshrrev_b32_e32 v9, 3, v12
	s_mov_b32 s25, exec_lo
	v_cmpx_gt_u32_e32 8, v12
; %bb.582:                              ;   in Loop: Header=BB297_10 Depth=1
	v_ffbh_u32_e32 v8, v8
	v_min_u32_e32 v12, 32, v8
	v_subrev_nc_u32_e32 v8, 28, v12
	v_lshlrev_b64 v[8:9], v8, v[18:19]
	v_sub_nc_u32_e32 v9, 29, v12
	v_and_b32_e32 v8, 7, v8
; %bb.583:                              ;   in Loop: Header=BB297_10 Depth=1
	s_or_b32 exec_lo, exec_lo, s25
	v_lshlrev_b32_e32 v12, 8, v18
	v_lshl_add_u32 v9, v9, 10, 0x2000
	v_lshlrev_b32_e32 v8, 23, v8
	v_and_or_b32 v9, 0x8000, v12, v9
	v_lshl_or_b32 v30, v9, 16, v8
.LBB297_584:                            ;   in Loop: Header=BB297_10 Depth=1
	s_or_b32 exec_lo, exec_lo, s24
.LBB297_585:                            ;   in Loop: Header=BB297_10 Depth=1
	s_or_b32 exec_lo, exec_lo, s23
.LBB297_586:                            ;   in Loop: Header=BB297_10 Depth=1
	s_or_b32 exec_lo, exec_lo, s7
	v_add_co_u32 v33, s6, 0x900, v28
	v_add_co_ci_u32_e64 v50, null, 0, v29, s6
	v_mov_b32_e32 v32, 0
	v_add_co_u32 v8, s6, v33, v53
	v_add_co_ci_u32_e64 v9, null, 0, v50, s6
	v_mov_b32_e32 v36, 0
	flat_load_dword v12, v[8:9]
	s_waitcnt vmcnt(0) lgkmcnt(0)
	v_cmp_ne_u16_sdwa s6, v12, v19 src0_sel:BYTE_0 src1_sel:DWORD
	s_and_saveexec_b32 s7, s6
	s_cbranch_execz .LBB297_594
; %bb.587:                              ;   in Loop: Header=BB297_10 Depth=1
	v_cmp_ne_u16_sdwa s6, v12, v66 src0_sel:BYTE_0 src1_sel:DWORD
	v_mov_b32_e32 v36, 0x8000
	s_and_saveexec_b32 s23, s6
	s_cbranch_execz .LBB297_593
; %bb.588:                              ;   in Loop: Header=BB297_10 Depth=1
	v_and_b32_e32 v18, 0x7f, v12
	v_mov_b32_e32 v36, 0x7c01
	s_mov_b32 s24, exec_lo
	v_cmpx_ne_u32_e32 0x7f, v18
	s_cbranch_execz .LBB297_592
; %bb.589:                              ;   in Loop: Header=BB297_10 Depth=1
	v_and_b32_e32 v8, 7, v12
	v_lshrrev_b32_e32 v9, 3, v18
	s_mov_b32 s25, exec_lo
	v_cmpx_gt_u32_e32 8, v18
; %bb.590:                              ;   in Loop: Header=BB297_10 Depth=1
	v_ffbh_u32_e32 v8, v8
	v_min_u32_e32 v18, 32, v8
	v_subrev_nc_u32_e32 v8, 28, v18
	v_lshlrev_b64 v[8:9], v8, v[12:13]
	v_sub_nc_u32_e32 v9, 29, v18
	v_and_b32_e32 v8, 7, v8
; %bb.591:                              ;   in Loop: Header=BB297_10 Depth=1
	s_or_b32 exec_lo, exec_lo, s25
	v_lshlrev_b32_e32 v18, 8, v12
	v_lshl_add_u32 v9, v9, 10, 0x2000
	v_lshlrev_b32_e32 v8, 7, v8
	v_and_b32_e32 v18, 0x8000, v18
	v_and_b32_e32 v9, 0xfc00, v9
	v_or3_b32 v36, v18, v9, v8
.LBB297_592:                            ;   in Loop: Header=BB297_10 Depth=1
	s_or_b32 exec_lo, exec_lo, s24
.LBB297_593:                            ;   in Loop: Header=BB297_10 Depth=1
	s_or_b32 exec_lo, exec_lo, s23
.LBB297_594:                            ;   in Loop: Header=BB297_10 Depth=1
	s_or_b32 exec_lo, exec_lo, s7
	v_lshrrev_b16 v18, 8, v12
	s_mov_b32 s7, exec_lo
	v_cmpx_ne_u16_e32 0, v18
	s_cbranch_execz .LBB297_602
; %bb.595:                              ;   in Loop: Header=BB297_10 Depth=1
	v_bfrev_b32_e32 v32, 1
	s_mov_b32 s23, exec_lo
	v_cmpx_ne_u16_e32 0x80, v18
	s_cbranch_execz .LBB297_601
; %bb.596:                              ;   in Loop: Header=BB297_10 Depth=1
	v_and_b32_sdwa v38, v18, v67 dst_sel:DWORD dst_unused:UNUSED_PAD src0_sel:WORD_0 src1_sel:DWORD
	v_mov_b32_e32 v32, 0x7c010000
	s_mov_b32 s24, exec_lo
	v_cmpx_ne_u32_e32 0x7f, v38
	s_cbranch_execz .LBB297_600
; %bb.597:                              ;   in Loop: Header=BB297_10 Depth=1
	v_and_b32_sdwa v8, v18, v68 dst_sel:DWORD dst_unused:UNUSED_PAD src0_sel:WORD_0 src1_sel:DWORD
	v_lshrrev_b32_e32 v9, 3, v38
	s_mov_b32 s25, exec_lo
	v_cmpx_gt_u32_e32 8, v38
; %bb.598:                              ;   in Loop: Header=BB297_10 Depth=1
	v_ffbh_u32_e32 v8, v8
	v_min_u32_e32 v32, 32, v8
	v_subrev_nc_u32_e32 v8, 28, v32
	v_lshlrev_b64 v[8:9], v8, v[18:19]
	v_sub_nc_u32_e32 v9, 29, v32
	v_and_b32_e32 v8, 7, v8
; %bb.599:                              ;   in Loop: Header=BB297_10 Depth=1
	s_or_b32 exec_lo, exec_lo, s25
	v_lshlrev_b32_sdwa v18, v69, v18 dst_sel:DWORD dst_unused:UNUSED_PAD src0_sel:DWORD src1_sel:WORD_0
	v_lshl_add_u32 v9, v9, 10, 0x2000
	v_lshlrev_b32_e32 v8, 23, v8
	v_and_or_b32 v9, 0x8000, v18, v9
	v_lshl_or_b32 v32, v9, 16, v8
.LBB297_600:                            ;   in Loop: Header=BB297_10 Depth=1
	s_or_b32 exec_lo, exec_lo, s24
.LBB297_601:                            ;   in Loop: Header=BB297_10 Depth=1
	s_or_b32 exec_lo, exec_lo, s23
.LBB297_602:                            ;   in Loop: Header=BB297_10 Depth=1
	s_or_b32 exec_lo, exec_lo, s7
	v_lshrrev_b32_e32 v18, 16, v12
	v_mov_b32_e32 v38, 0
	v_mov_b32_e32 v39, 0
	v_cmp_ne_u16_sdwa s6, v18, v19 src0_sel:BYTE_0 src1_sel:DWORD
	s_and_saveexec_b32 s7, s6
	s_cbranch_execz .LBB297_610
; %bb.603:                              ;   in Loop: Header=BB297_10 Depth=1
	v_cmp_ne_u16_sdwa s6, v18, v66 src0_sel:BYTE_0 src1_sel:DWORD
	v_mov_b32_e32 v39, 0x8000
	s_and_saveexec_b32 s23, s6
	s_cbranch_execz .LBB297_609
; %bb.604:                              ;   in Loop: Header=BB297_10 Depth=1
	v_bfe_u32 v76, v12, 16, 7
	v_mov_b32_e32 v39, 0x7c01
	s_mov_b32 s24, exec_lo
	v_cmpx_ne_u32_e32 0x7f, v76
	s_cbranch_execz .LBB297_608
; %bb.605:                              ;   in Loop: Header=BB297_10 Depth=1
	v_and_b32_e32 v8, 7, v18
	v_lshrrev_b32_e32 v9, 3, v76
	s_mov_b32 s25, exec_lo
	v_cmpx_gt_u32_e32 8, v76
; %bb.606:                              ;   in Loop: Header=BB297_10 Depth=1
	v_ffbh_u32_e32 v8, v8
	v_min_u32_e32 v39, 32, v8
	v_subrev_nc_u32_e32 v8, 28, v39
	v_lshlrev_b64 v[8:9], v8, v[18:19]
	v_sub_nc_u32_e32 v9, 29, v39
	v_and_b32_e32 v8, 7, v8
; %bb.607:                              ;   in Loop: Header=BB297_10 Depth=1
	s_or_b32 exec_lo, exec_lo, s25
	v_lshlrev_b32_e32 v18, 8, v18
	v_lshl_add_u32 v9, v9, 10, 0x2000
	v_lshlrev_b32_e32 v8, 7, v8
	v_and_b32_e32 v18, 0x8000, v18
	v_and_b32_e32 v9, 0xfc00, v9
	v_or3_b32 v39, v18, v9, v8
.LBB297_608:                            ;   in Loop: Header=BB297_10 Depth=1
	s_or_b32 exec_lo, exec_lo, s24
.LBB297_609:                            ;   in Loop: Header=BB297_10 Depth=1
	s_or_b32 exec_lo, exec_lo, s23
.LBB297_610:                            ;   in Loop: Header=BB297_10 Depth=1
	s_or_b32 exec_lo, exec_lo, s7
	s_mov_b32 s7, exec_lo
	v_cmpx_lt_u32_e32 0xffffff, v12
	s_cbranch_execz .LBB297_618
; %bb.611:                              ;   in Loop: Header=BB297_10 Depth=1
	v_lshrrev_b32_e32 v18, 24, v12
	v_bfrev_b32_e32 v38, 1
	s_mov_b32 s23, exec_lo
	v_cmpx_ne_u32_e32 0x80, v18
	s_cbranch_execz .LBB297_617
; %bb.612:                              ;   in Loop: Header=BB297_10 Depth=1
	v_and_b32_e32 v12, 0x7f, v18
	v_mov_b32_e32 v38, 0x7c010000
	s_mov_b32 s24, exec_lo
	v_cmpx_ne_u32_e32 0x7f, v12
	s_cbranch_execz .LBB297_616
; %bb.613:                              ;   in Loop: Header=BB297_10 Depth=1
	v_and_b32_e32 v8, 7, v18
	v_lshrrev_b32_e32 v9, 3, v12
	s_mov_b32 s25, exec_lo
	v_cmpx_gt_u32_e32 8, v12
; %bb.614:                              ;   in Loop: Header=BB297_10 Depth=1
	v_ffbh_u32_e32 v8, v8
	v_min_u32_e32 v12, 32, v8
	v_subrev_nc_u32_e32 v8, 28, v12
	v_lshlrev_b64 v[8:9], v8, v[18:19]
	v_sub_nc_u32_e32 v9, 29, v12
	v_and_b32_e32 v8, 7, v8
; %bb.615:                              ;   in Loop: Header=BB297_10 Depth=1
	s_or_b32 exec_lo, exec_lo, s25
	v_lshlrev_b32_e32 v12, 8, v18
	v_lshl_add_u32 v9, v9, 10, 0x2000
	v_lshlrev_b32_e32 v8, 23, v8
	v_and_or_b32 v9, 0x8000, v12, v9
	v_lshl_or_b32 v38, v9, 16, v8
.LBB297_616:                            ;   in Loop: Header=BB297_10 Depth=1
	s_or_b32 exec_lo, exec_lo, s24
.LBB297_617:                            ;   in Loop: Header=BB297_10 Depth=1
	s_or_b32 exec_lo, exec_lo, s23
.LBB297_618:                            ;   in Loop: Header=BB297_10 Depth=1
	s_or_b32 exec_lo, exec_lo, s7
	v_add_co_u32 v8, s6, v33, v55
	v_add_co_ci_u32_e64 v9, null, 0, v50, s6
	v_mov_b32_e32 v108, 0
	v_mov_b32_e32 v109, 0
	flat_load_dword v12, v[8:9]
	s_waitcnt vmcnt(0) lgkmcnt(0)
	v_cmp_ne_u16_sdwa s6, v12, v19 src0_sel:BYTE_0 src1_sel:DWORD
	s_and_saveexec_b32 s7, s6
	s_cbranch_execz .LBB297_626
; %bb.619:                              ;   in Loop: Header=BB297_10 Depth=1
	v_cmp_ne_u16_sdwa s6, v12, v66 src0_sel:BYTE_0 src1_sel:DWORD
	v_mov_b32_e32 v109, 0x8000
	s_and_saveexec_b32 s23, s6
	s_cbranch_execz .LBB297_625
; %bb.620:                              ;   in Loop: Header=BB297_10 Depth=1
	v_and_b32_e32 v18, 0x7f, v12
	v_mov_b32_e32 v109, 0x7c01
	s_mov_b32 s24, exec_lo
	v_cmpx_ne_u32_e32 0x7f, v18
	s_cbranch_execz .LBB297_624
; %bb.621:                              ;   in Loop: Header=BB297_10 Depth=1
	v_and_b32_e32 v8, 7, v12
	v_lshrrev_b32_e32 v9, 3, v18
	s_mov_b32 s25, exec_lo
	v_cmpx_gt_u32_e32 8, v18
; %bb.622:                              ;   in Loop: Header=BB297_10 Depth=1
	v_ffbh_u32_e32 v8, v8
	v_min_u32_e32 v18, 32, v8
	v_subrev_nc_u32_e32 v8, 28, v18
	v_lshlrev_b64 v[8:9], v8, v[12:13]
	v_sub_nc_u32_e32 v9, 29, v18
	v_and_b32_e32 v8, 7, v8
; %bb.623:                              ;   in Loop: Header=BB297_10 Depth=1
	s_or_b32 exec_lo, exec_lo, s25
	v_lshlrev_b32_e32 v18, 8, v12
	v_lshl_add_u32 v9, v9, 10, 0x2000
	v_lshlrev_b32_e32 v8, 7, v8
	v_and_b32_e32 v18, 0x8000, v18
	v_and_b32_e32 v9, 0xfc00, v9
	v_or3_b32 v109, v18, v9, v8
.LBB297_624:                            ;   in Loop: Header=BB297_10 Depth=1
	s_or_b32 exec_lo, exec_lo, s24
.LBB297_625:                            ;   in Loop: Header=BB297_10 Depth=1
	s_or_b32 exec_lo, exec_lo, s23
.LBB297_626:                            ;   in Loop: Header=BB297_10 Depth=1
	s_or_b32 exec_lo, exec_lo, s7
	v_lshrrev_b16 v18, 8, v12
	s_mov_b32 s7, exec_lo
	v_cmpx_ne_u16_e32 0, v18
	s_cbranch_execz .LBB297_634
; %bb.627:                              ;   in Loop: Header=BB297_10 Depth=1
	v_bfrev_b32_e32 v108, 1
	s_mov_b32 s23, exec_lo
	v_cmpx_ne_u16_e32 0x80, v18
	s_cbranch_execz .LBB297_633
; %bb.628:                              ;   in Loop: Header=BB297_10 Depth=1
	v_and_b32_sdwa v33, v18, v67 dst_sel:DWORD dst_unused:UNUSED_PAD src0_sel:WORD_0 src1_sel:DWORD
	v_mov_b32_e32 v108, 0x7c010000
	s_mov_b32 s24, exec_lo
	v_cmpx_ne_u32_e32 0x7f, v33
	s_cbranch_execz .LBB297_632
; %bb.629:                              ;   in Loop: Header=BB297_10 Depth=1
	v_and_b32_sdwa v8, v18, v68 dst_sel:DWORD dst_unused:UNUSED_PAD src0_sel:WORD_0 src1_sel:DWORD
	v_lshrrev_b32_e32 v9, 3, v33
	s_mov_b32 s25, exec_lo
	v_cmpx_gt_u32_e32 8, v33
; %bb.630:                              ;   in Loop: Header=BB297_10 Depth=1
	v_ffbh_u32_e32 v8, v8
	v_min_u32_e32 v33, 32, v8
	v_subrev_nc_u32_e32 v8, 28, v33
	v_lshlrev_b64 v[8:9], v8, v[18:19]
	v_sub_nc_u32_e32 v9, 29, v33
	v_and_b32_e32 v8, 7, v8
; %bb.631:                              ;   in Loop: Header=BB297_10 Depth=1
	s_or_b32 exec_lo, exec_lo, s25
	v_lshlrev_b32_sdwa v18, v69, v18 dst_sel:DWORD dst_unused:UNUSED_PAD src0_sel:DWORD src1_sel:WORD_0
	v_lshl_add_u32 v9, v9, 10, 0x2000
	v_lshlrev_b32_e32 v8, 23, v8
	v_and_or_b32 v9, 0x8000, v18, v9
	v_lshl_or_b32 v108, v9, 16, v8
.LBB297_632:                            ;   in Loop: Header=BB297_10 Depth=1
	s_or_b32 exec_lo, exec_lo, s24
.LBB297_633:                            ;   in Loop: Header=BB297_10 Depth=1
	s_or_b32 exec_lo, exec_lo, s23
.LBB297_634:                            ;   in Loop: Header=BB297_10 Depth=1
	s_or_b32 exec_lo, exec_lo, s7
	v_lshrrev_b32_e32 v18, 16, v12
	v_mov_b32_e32 v122, 0
	v_mov_b32_e32 v123, 0
	v_cmp_ne_u16_sdwa s6, v18, v19 src0_sel:BYTE_0 src1_sel:DWORD
	s_and_saveexec_b32 s7, s6
	s_cbranch_execz .LBB297_642
; %bb.635:                              ;   in Loop: Header=BB297_10 Depth=1
	v_cmp_ne_u16_sdwa s6, v18, v66 src0_sel:BYTE_0 src1_sel:DWORD
	v_mov_b32_e32 v123, 0x8000
	s_and_saveexec_b32 s23, s6
	s_cbranch_execz .LBB297_641
; %bb.636:                              ;   in Loop: Header=BB297_10 Depth=1
	v_bfe_u32 v33, v12, 16, 7
	v_mov_b32_e32 v123, 0x7c01
	s_mov_b32 s24, exec_lo
	v_cmpx_ne_u32_e32 0x7f, v33
	s_cbranch_execz .LBB297_640
; %bb.637:                              ;   in Loop: Header=BB297_10 Depth=1
	v_and_b32_e32 v8, 7, v18
	v_lshrrev_b32_e32 v9, 3, v33
	s_mov_b32 s25, exec_lo
	v_cmpx_gt_u32_e32 8, v33
; %bb.638:                              ;   in Loop: Header=BB297_10 Depth=1
	v_ffbh_u32_e32 v8, v8
	v_min_u32_e32 v33, 32, v8
	v_subrev_nc_u32_e32 v8, 28, v33
	v_lshlrev_b64 v[8:9], v8, v[18:19]
	v_sub_nc_u32_e32 v9, 29, v33
	v_and_b32_e32 v8, 7, v8
; %bb.639:                              ;   in Loop: Header=BB297_10 Depth=1
	s_or_b32 exec_lo, exec_lo, s25
	v_lshlrev_b32_e32 v18, 8, v18
	v_lshl_add_u32 v9, v9, 10, 0x2000
	v_lshlrev_b32_e32 v8, 7, v8
	v_and_b32_e32 v18, 0x8000, v18
	v_and_b32_e32 v9, 0xfc00, v9
	v_or3_b32 v123, v18, v9, v8
.LBB297_640:                            ;   in Loop: Header=BB297_10 Depth=1
	s_or_b32 exec_lo, exec_lo, s24
.LBB297_641:                            ;   in Loop: Header=BB297_10 Depth=1
	s_or_b32 exec_lo, exec_lo, s23
.LBB297_642:                            ;   in Loop: Header=BB297_10 Depth=1
	s_or_b32 exec_lo, exec_lo, s7
	s_mov_b32 s7, exec_lo
	v_cmpx_lt_u32_e32 0xffffff, v12
	s_cbranch_execz .LBB297_650
; %bb.643:                              ;   in Loop: Header=BB297_10 Depth=1
	v_lshrrev_b32_e32 v18, 24, v12
	v_bfrev_b32_e32 v122, 1
	s_mov_b32 s23, exec_lo
	v_cmpx_ne_u32_e32 0x80, v18
	s_cbranch_execz .LBB297_649
; %bb.644:                              ;   in Loop: Header=BB297_10 Depth=1
	v_and_b32_e32 v12, 0x7f, v18
	v_mov_b32_e32 v122, 0x7c010000
	s_mov_b32 s24, exec_lo
	v_cmpx_ne_u32_e32 0x7f, v12
	s_cbranch_execz .LBB297_648
; %bb.645:                              ;   in Loop: Header=BB297_10 Depth=1
	v_and_b32_e32 v8, 7, v18
	v_lshrrev_b32_e32 v9, 3, v12
	s_mov_b32 s25, exec_lo
	v_cmpx_gt_u32_e32 8, v12
; %bb.646:                              ;   in Loop: Header=BB297_10 Depth=1
	v_ffbh_u32_e32 v8, v8
	v_min_u32_e32 v12, 32, v8
	v_subrev_nc_u32_e32 v8, 28, v12
	v_lshlrev_b64 v[8:9], v8, v[18:19]
	v_sub_nc_u32_e32 v9, 29, v12
	v_and_b32_e32 v8, 7, v8
; %bb.647:                              ;   in Loop: Header=BB297_10 Depth=1
	s_or_b32 exec_lo, exec_lo, s25
	v_lshlrev_b32_e32 v12, 8, v18
	v_lshl_add_u32 v9, v9, 10, 0x2000
	v_lshlrev_b32_e32 v8, 23, v8
	v_and_or_b32 v9, 0x8000, v12, v9
	v_lshl_or_b32 v122, v9, 16, v8
.LBB297_648:                            ;   in Loop: Header=BB297_10 Depth=1
	s_or_b32 exec_lo, exec_lo, s24
.LBB297_649:                            ;   in Loop: Header=BB297_10 Depth=1
	s_or_b32 exec_lo, exec_lo, s23
.LBB297_650:                            ;   in Loop: Header=BB297_10 Depth=1
	s_or_b32 exec_lo, exec_lo, s7
	v_add_co_u32 v33, s6, 0xa00, v28
	v_add_co_ci_u32_e64 v50, null, 0, v29, s6
	v_mov_b32_e32 v94, 0
	v_add_co_u32 v8, s6, v33, v53
	v_add_co_ci_u32_e64 v9, null, 0, v50, s6
	v_mov_b32_e32 v95, 0
	flat_load_dword v12, v[8:9]
	s_waitcnt vmcnt(0) lgkmcnt(0)
	v_cmp_ne_u16_sdwa s6, v12, v19 src0_sel:BYTE_0 src1_sel:DWORD
	s_and_saveexec_b32 s7, s6
	s_cbranch_execz .LBB297_658
; %bb.651:                              ;   in Loop: Header=BB297_10 Depth=1
	v_cmp_ne_u16_sdwa s6, v12, v66 src0_sel:BYTE_0 src1_sel:DWORD
	v_mov_b32_e32 v95, 0x8000
	s_and_saveexec_b32 s23, s6
	s_cbranch_execz .LBB297_657
; %bb.652:                              ;   in Loop: Header=BB297_10 Depth=1
	v_and_b32_e32 v18, 0x7f, v12
	v_mov_b32_e32 v95, 0x7c01
	s_mov_b32 s24, exec_lo
	v_cmpx_ne_u32_e32 0x7f, v18
	s_cbranch_execz .LBB297_656
; %bb.653:                              ;   in Loop: Header=BB297_10 Depth=1
	v_and_b32_e32 v8, 7, v12
	v_lshrrev_b32_e32 v9, 3, v18
	s_mov_b32 s25, exec_lo
	v_cmpx_gt_u32_e32 8, v18
; %bb.654:                              ;   in Loop: Header=BB297_10 Depth=1
	v_ffbh_u32_e32 v8, v8
	v_min_u32_e32 v18, 32, v8
	v_subrev_nc_u32_e32 v8, 28, v18
	v_lshlrev_b64 v[8:9], v8, v[12:13]
	v_sub_nc_u32_e32 v9, 29, v18
	v_and_b32_e32 v8, 7, v8
; %bb.655:                              ;   in Loop: Header=BB297_10 Depth=1
	s_or_b32 exec_lo, exec_lo, s25
	v_lshlrev_b32_e32 v18, 8, v12
	v_lshl_add_u32 v9, v9, 10, 0x2000
	v_lshlrev_b32_e32 v8, 7, v8
	v_and_b32_e32 v18, 0x8000, v18
	v_and_b32_e32 v9, 0xfc00, v9
	v_or3_b32 v95, v18, v9, v8
.LBB297_656:                            ;   in Loop: Header=BB297_10 Depth=1
	s_or_b32 exec_lo, exec_lo, s24
.LBB297_657:                            ;   in Loop: Header=BB297_10 Depth=1
	s_or_b32 exec_lo, exec_lo, s23
.LBB297_658:                            ;   in Loop: Header=BB297_10 Depth=1
	s_or_b32 exec_lo, exec_lo, s7
	v_lshrrev_b16 v18, 8, v12
	s_mov_b32 s7, exec_lo
	v_cmpx_ne_u16_e32 0, v18
	s_cbranch_execz .LBB297_666
; %bb.659:                              ;   in Loop: Header=BB297_10 Depth=1
	v_bfrev_b32_e32 v94, 1
	s_mov_b32 s23, exec_lo
	v_cmpx_ne_u16_e32 0x80, v18
	s_cbranch_execz .LBB297_665
; %bb.660:                              ;   in Loop: Header=BB297_10 Depth=1
	v_and_b32_sdwa v76, v18, v67 dst_sel:DWORD dst_unused:UNUSED_PAD src0_sel:WORD_0 src1_sel:DWORD
	v_mov_b32_e32 v94, 0x7c010000
	s_mov_b32 s24, exec_lo
	v_cmpx_ne_u32_e32 0x7f, v76
	s_cbranch_execz .LBB297_664
; %bb.661:                              ;   in Loop: Header=BB297_10 Depth=1
	v_and_b32_sdwa v8, v18, v68 dst_sel:DWORD dst_unused:UNUSED_PAD src0_sel:WORD_0 src1_sel:DWORD
	v_lshrrev_b32_e32 v9, 3, v76
	s_mov_b32 s25, exec_lo
	v_cmpx_gt_u32_e32 8, v76
; %bb.662:                              ;   in Loop: Header=BB297_10 Depth=1
	v_ffbh_u32_e32 v8, v8
	v_min_u32_e32 v76, 32, v8
	v_subrev_nc_u32_e32 v8, 28, v76
	v_lshlrev_b64 v[8:9], v8, v[18:19]
	v_sub_nc_u32_e32 v9, 29, v76
	v_and_b32_e32 v8, 7, v8
; %bb.663:                              ;   in Loop: Header=BB297_10 Depth=1
	s_or_b32 exec_lo, exec_lo, s25
	v_lshlrev_b32_sdwa v18, v69, v18 dst_sel:DWORD dst_unused:UNUSED_PAD src0_sel:DWORD src1_sel:WORD_0
	v_lshl_add_u32 v9, v9, 10, 0x2000
	v_lshlrev_b32_e32 v8, 23, v8
	v_and_or_b32 v9, 0x8000, v18, v9
	v_lshl_or_b32 v94, v9, 16, v8
.LBB297_664:                            ;   in Loop: Header=BB297_10 Depth=1
	s_or_b32 exec_lo, exec_lo, s24
.LBB297_665:                            ;   in Loop: Header=BB297_10 Depth=1
	s_or_b32 exec_lo, exec_lo, s23
.LBB297_666:                            ;   in Loop: Header=BB297_10 Depth=1
	s_or_b32 exec_lo, exec_lo, s7
	v_lshrrev_b32_e32 v18, 16, v12
	v_mov_b32_e32 v110, 0
	v_mov_b32_e32 v111, 0
	v_cmp_ne_u16_sdwa s6, v18, v19 src0_sel:BYTE_0 src1_sel:DWORD
	s_and_saveexec_b32 s7, s6
	s_cbranch_execz .LBB297_674
; %bb.667:                              ;   in Loop: Header=BB297_10 Depth=1
	v_cmp_ne_u16_sdwa s6, v18, v66 src0_sel:BYTE_0 src1_sel:DWORD
	v_mov_b32_e32 v111, 0x8000
	s_and_saveexec_b32 s23, s6
	s_cbranch_execz .LBB297_673
; %bb.668:                              ;   in Loop: Header=BB297_10 Depth=1
	v_bfe_u32 v76, v12, 16, 7
	v_mov_b32_e32 v111, 0x7c01
	s_mov_b32 s24, exec_lo
	v_cmpx_ne_u32_e32 0x7f, v76
	s_cbranch_execz .LBB297_672
; %bb.669:                              ;   in Loop: Header=BB297_10 Depth=1
	v_and_b32_e32 v8, 7, v18
	v_lshrrev_b32_e32 v9, 3, v76
	s_mov_b32 s25, exec_lo
	v_cmpx_gt_u32_e32 8, v76
; %bb.670:                              ;   in Loop: Header=BB297_10 Depth=1
	v_ffbh_u32_e32 v8, v8
	v_min_u32_e32 v76, 32, v8
	v_subrev_nc_u32_e32 v8, 28, v76
	v_lshlrev_b64 v[8:9], v8, v[18:19]
	v_sub_nc_u32_e32 v9, 29, v76
	v_and_b32_e32 v8, 7, v8
; %bb.671:                              ;   in Loop: Header=BB297_10 Depth=1
	s_or_b32 exec_lo, exec_lo, s25
	v_lshlrev_b32_e32 v18, 8, v18
	v_lshl_add_u32 v9, v9, 10, 0x2000
	v_lshlrev_b32_e32 v8, 7, v8
	v_and_b32_e32 v18, 0x8000, v18
	v_and_b32_e32 v9, 0xfc00, v9
	v_or3_b32 v111, v18, v9, v8
.LBB297_672:                            ;   in Loop: Header=BB297_10 Depth=1
	s_or_b32 exec_lo, exec_lo, s24
.LBB297_673:                            ;   in Loop: Header=BB297_10 Depth=1
	s_or_b32 exec_lo, exec_lo, s23
.LBB297_674:                            ;   in Loop: Header=BB297_10 Depth=1
	s_or_b32 exec_lo, exec_lo, s7
	s_mov_b32 s7, exec_lo
	v_cmpx_lt_u32_e32 0xffffff, v12
	s_cbranch_execz .LBB297_682
; %bb.675:                              ;   in Loop: Header=BB297_10 Depth=1
	v_lshrrev_b32_e32 v18, 24, v12
	v_bfrev_b32_e32 v110, 1
	s_mov_b32 s23, exec_lo
	v_cmpx_ne_u32_e32 0x80, v18
	s_cbranch_execz .LBB297_681
; %bb.676:                              ;   in Loop: Header=BB297_10 Depth=1
	v_and_b32_e32 v12, 0x7f, v18
	v_mov_b32_e32 v110, 0x7c010000
	s_mov_b32 s24, exec_lo
	v_cmpx_ne_u32_e32 0x7f, v12
	s_cbranch_execz .LBB297_680
; %bb.677:                              ;   in Loop: Header=BB297_10 Depth=1
	v_and_b32_e32 v8, 7, v18
	v_lshrrev_b32_e32 v9, 3, v12
	s_mov_b32 s25, exec_lo
	v_cmpx_gt_u32_e32 8, v12
; %bb.678:                              ;   in Loop: Header=BB297_10 Depth=1
	v_ffbh_u32_e32 v8, v8
	v_min_u32_e32 v12, 32, v8
	v_subrev_nc_u32_e32 v8, 28, v12
	v_lshlrev_b64 v[8:9], v8, v[18:19]
	v_sub_nc_u32_e32 v9, 29, v12
	v_and_b32_e32 v8, 7, v8
; %bb.679:                              ;   in Loop: Header=BB297_10 Depth=1
	s_or_b32 exec_lo, exec_lo, s25
	v_lshlrev_b32_e32 v12, 8, v18
	v_lshl_add_u32 v9, v9, 10, 0x2000
	v_lshlrev_b32_e32 v8, 23, v8
	v_and_or_b32 v9, 0x8000, v12, v9
	v_lshl_or_b32 v110, v9, 16, v8
.LBB297_680:                            ;   in Loop: Header=BB297_10 Depth=1
	s_or_b32 exec_lo, exec_lo, s24
.LBB297_681:                            ;   in Loop: Header=BB297_10 Depth=1
	s_or_b32 exec_lo, exec_lo, s23
.LBB297_682:                            ;   in Loop: Header=BB297_10 Depth=1
	s_or_b32 exec_lo, exec_lo, s7
	v_add_co_u32 v8, s6, v33, v55
	v_add_co_ci_u32_e64 v9, null, 0, v50, s6
	v_mov_b32_e32 v88, 0
	v_mov_b32_e32 v89, 0
	flat_load_dword v12, v[8:9]
	s_waitcnt vmcnt(0) lgkmcnt(0)
	v_cmp_ne_u16_sdwa s6, v12, v19 src0_sel:BYTE_0 src1_sel:DWORD
	s_and_saveexec_b32 s7, s6
	s_cbranch_execz .LBB297_690
; %bb.683:                              ;   in Loop: Header=BB297_10 Depth=1
	v_cmp_ne_u16_sdwa s6, v12, v66 src0_sel:BYTE_0 src1_sel:DWORD
	v_mov_b32_e32 v89, 0x8000
	s_and_saveexec_b32 s23, s6
	s_cbranch_execz .LBB297_689
; %bb.684:                              ;   in Loop: Header=BB297_10 Depth=1
	v_and_b32_e32 v18, 0x7f, v12
	v_mov_b32_e32 v89, 0x7c01
	s_mov_b32 s24, exec_lo
	v_cmpx_ne_u32_e32 0x7f, v18
	s_cbranch_execz .LBB297_688
; %bb.685:                              ;   in Loop: Header=BB297_10 Depth=1
	v_and_b32_e32 v8, 7, v12
	v_lshrrev_b32_e32 v9, 3, v18
	s_mov_b32 s25, exec_lo
	v_cmpx_gt_u32_e32 8, v18
; %bb.686:                              ;   in Loop: Header=BB297_10 Depth=1
	v_ffbh_u32_e32 v8, v8
	v_min_u32_e32 v18, 32, v8
	v_subrev_nc_u32_e32 v8, 28, v18
	v_lshlrev_b64 v[8:9], v8, v[12:13]
	v_sub_nc_u32_e32 v9, 29, v18
	v_and_b32_e32 v8, 7, v8
; %bb.687:                              ;   in Loop: Header=BB297_10 Depth=1
	s_or_b32 exec_lo, exec_lo, s25
	v_lshlrev_b32_e32 v18, 8, v12
	v_lshl_add_u32 v9, v9, 10, 0x2000
	v_lshlrev_b32_e32 v8, 7, v8
	v_and_b32_e32 v18, 0x8000, v18
	v_and_b32_e32 v9, 0xfc00, v9
	v_or3_b32 v89, v18, v9, v8
.LBB297_688:                            ;   in Loop: Header=BB297_10 Depth=1
	s_or_b32 exec_lo, exec_lo, s24
.LBB297_689:                            ;   in Loop: Header=BB297_10 Depth=1
	s_or_b32 exec_lo, exec_lo, s23
.LBB297_690:                            ;   in Loop: Header=BB297_10 Depth=1
	s_or_b32 exec_lo, exec_lo, s7
	v_lshrrev_b16 v18, 8, v12
	s_mov_b32 s7, exec_lo
	v_cmpx_ne_u16_e32 0, v18
	s_cbranch_execz .LBB297_698
; %bb.691:                              ;   in Loop: Header=BB297_10 Depth=1
	v_bfrev_b32_e32 v88, 1
	s_mov_b32 s23, exec_lo
	v_cmpx_ne_u16_e32 0x80, v18
	s_cbranch_execz .LBB297_697
; %bb.692:                              ;   in Loop: Header=BB297_10 Depth=1
	v_and_b32_sdwa v33, v18, v67 dst_sel:DWORD dst_unused:UNUSED_PAD src0_sel:WORD_0 src1_sel:DWORD
	v_mov_b32_e32 v88, 0x7c010000
	s_mov_b32 s24, exec_lo
	v_cmpx_ne_u32_e32 0x7f, v33
	s_cbranch_execz .LBB297_696
; %bb.693:                              ;   in Loop: Header=BB297_10 Depth=1
	v_and_b32_sdwa v8, v18, v68 dst_sel:DWORD dst_unused:UNUSED_PAD src0_sel:WORD_0 src1_sel:DWORD
	v_lshrrev_b32_e32 v9, 3, v33
	s_mov_b32 s25, exec_lo
	v_cmpx_gt_u32_e32 8, v33
; %bb.694:                              ;   in Loop: Header=BB297_10 Depth=1
	v_ffbh_u32_e32 v8, v8
	v_min_u32_e32 v33, 32, v8
	v_subrev_nc_u32_e32 v8, 28, v33
	v_lshlrev_b64 v[8:9], v8, v[18:19]
	v_sub_nc_u32_e32 v9, 29, v33
	v_and_b32_e32 v8, 7, v8
; %bb.695:                              ;   in Loop: Header=BB297_10 Depth=1
	s_or_b32 exec_lo, exec_lo, s25
	v_lshlrev_b32_sdwa v18, v69, v18 dst_sel:DWORD dst_unused:UNUSED_PAD src0_sel:DWORD src1_sel:WORD_0
	v_lshl_add_u32 v9, v9, 10, 0x2000
	v_lshlrev_b32_e32 v8, 23, v8
	v_and_or_b32 v9, 0x8000, v18, v9
	v_lshl_or_b32 v88, v9, 16, v8
.LBB297_696:                            ;   in Loop: Header=BB297_10 Depth=1
	s_or_b32 exec_lo, exec_lo, s24
.LBB297_697:                            ;   in Loop: Header=BB297_10 Depth=1
	s_or_b32 exec_lo, exec_lo, s23
.LBB297_698:                            ;   in Loop: Header=BB297_10 Depth=1
	s_or_b32 exec_lo, exec_lo, s7
	v_lshrrev_b32_e32 v18, 16, v12
	v_mov_b32_e32 v104, 0
	v_mov_b32_e32 v105, 0
	v_cmp_ne_u16_sdwa s6, v18, v19 src0_sel:BYTE_0 src1_sel:DWORD
	s_and_saveexec_b32 s7, s6
	s_cbranch_execz .LBB297_706
; %bb.699:                              ;   in Loop: Header=BB297_10 Depth=1
	v_cmp_ne_u16_sdwa s6, v18, v66 src0_sel:BYTE_0 src1_sel:DWORD
	v_mov_b32_e32 v105, 0x8000
	s_and_saveexec_b32 s23, s6
	s_cbranch_execz .LBB297_705
; %bb.700:                              ;   in Loop: Header=BB297_10 Depth=1
	v_bfe_u32 v33, v12, 16, 7
	v_mov_b32_e32 v105, 0x7c01
	s_mov_b32 s24, exec_lo
	v_cmpx_ne_u32_e32 0x7f, v33
	s_cbranch_execz .LBB297_704
; %bb.701:                              ;   in Loop: Header=BB297_10 Depth=1
	v_and_b32_e32 v8, 7, v18
	v_lshrrev_b32_e32 v9, 3, v33
	s_mov_b32 s25, exec_lo
	v_cmpx_gt_u32_e32 8, v33
; %bb.702:                              ;   in Loop: Header=BB297_10 Depth=1
	v_ffbh_u32_e32 v8, v8
	v_min_u32_e32 v33, 32, v8
	v_subrev_nc_u32_e32 v8, 28, v33
	v_lshlrev_b64 v[8:9], v8, v[18:19]
	v_sub_nc_u32_e32 v9, 29, v33
	v_and_b32_e32 v8, 7, v8
; %bb.703:                              ;   in Loop: Header=BB297_10 Depth=1
	s_or_b32 exec_lo, exec_lo, s25
	v_lshlrev_b32_e32 v18, 8, v18
	v_lshl_add_u32 v9, v9, 10, 0x2000
	v_lshlrev_b32_e32 v8, 7, v8
	v_and_b32_e32 v18, 0x8000, v18
	v_and_b32_e32 v9, 0xfc00, v9
	v_or3_b32 v105, v18, v9, v8
.LBB297_704:                            ;   in Loop: Header=BB297_10 Depth=1
	s_or_b32 exec_lo, exec_lo, s24
.LBB297_705:                            ;   in Loop: Header=BB297_10 Depth=1
	s_or_b32 exec_lo, exec_lo, s23
.LBB297_706:                            ;   in Loop: Header=BB297_10 Depth=1
	s_or_b32 exec_lo, exec_lo, s7
	s_mov_b32 s7, exec_lo
	v_cmpx_lt_u32_e32 0xffffff, v12
	s_cbranch_execz .LBB297_714
; %bb.707:                              ;   in Loop: Header=BB297_10 Depth=1
	v_lshrrev_b32_e32 v18, 24, v12
	v_bfrev_b32_e32 v104, 1
	s_mov_b32 s23, exec_lo
	v_cmpx_ne_u32_e32 0x80, v18
	s_cbranch_execz .LBB297_713
; %bb.708:                              ;   in Loop: Header=BB297_10 Depth=1
	v_and_b32_e32 v12, 0x7f, v18
	v_mov_b32_e32 v104, 0x7c010000
	s_mov_b32 s24, exec_lo
	v_cmpx_ne_u32_e32 0x7f, v12
	s_cbranch_execz .LBB297_712
; %bb.709:                              ;   in Loop: Header=BB297_10 Depth=1
	v_and_b32_e32 v8, 7, v18
	v_lshrrev_b32_e32 v9, 3, v12
	s_mov_b32 s25, exec_lo
	v_cmpx_gt_u32_e32 8, v12
; %bb.710:                              ;   in Loop: Header=BB297_10 Depth=1
	v_ffbh_u32_e32 v8, v8
	v_min_u32_e32 v12, 32, v8
	v_subrev_nc_u32_e32 v8, 28, v12
	v_lshlrev_b64 v[8:9], v8, v[18:19]
	v_sub_nc_u32_e32 v9, 29, v12
	v_and_b32_e32 v8, 7, v8
; %bb.711:                              ;   in Loop: Header=BB297_10 Depth=1
	s_or_b32 exec_lo, exec_lo, s25
	v_lshlrev_b32_e32 v12, 8, v18
	v_lshl_add_u32 v9, v9, 10, 0x2000
	v_lshlrev_b32_e32 v8, 23, v8
	v_and_or_b32 v9, 0x8000, v12, v9
	v_lshl_or_b32 v104, v9, 16, v8
.LBB297_712:                            ;   in Loop: Header=BB297_10 Depth=1
	s_or_b32 exec_lo, exec_lo, s24
.LBB297_713:                            ;   in Loop: Header=BB297_10 Depth=1
	s_or_b32 exec_lo, exec_lo, s23
.LBB297_714:                            ;   in Loop: Header=BB297_10 Depth=1
	s_or_b32 exec_lo, exec_lo, s7
	v_add_co_u32 v33, s6, 0xb00, v28
	v_add_co_ci_u32_e64 v50, null, 0, v29, s6
	v_mov_b32_e32 v28, 0
	v_add_co_u32 v8, s6, v33, v53
	v_add_co_ci_u32_e64 v9, null, 0, v50, s6
	v_mov_b32_e32 v29, 0
	flat_load_dword v12, v[8:9]
	s_waitcnt vmcnt(0) lgkmcnt(0)
	v_cmp_ne_u16_sdwa s6, v12, v19 src0_sel:BYTE_0 src1_sel:DWORD
	s_and_saveexec_b32 s7, s6
	s_cbranch_execz .LBB297_722
; %bb.715:                              ;   in Loop: Header=BB297_10 Depth=1
	v_cmp_ne_u16_sdwa s6, v12, v66 src0_sel:BYTE_0 src1_sel:DWORD
	v_mov_b32_e32 v29, 0x8000
	s_and_saveexec_b32 s23, s6
	s_cbranch_execz .LBB297_721
; %bb.716:                              ;   in Loop: Header=BB297_10 Depth=1
	v_and_b32_e32 v18, 0x7f, v12
	v_mov_b32_e32 v29, 0x7c01
	s_mov_b32 s24, exec_lo
	v_cmpx_ne_u32_e32 0x7f, v18
	s_cbranch_execz .LBB297_720
; %bb.717:                              ;   in Loop: Header=BB297_10 Depth=1
	v_and_b32_e32 v8, 7, v12
	v_lshrrev_b32_e32 v9, 3, v18
	s_mov_b32 s25, exec_lo
	v_cmpx_gt_u32_e32 8, v18
; %bb.718:                              ;   in Loop: Header=BB297_10 Depth=1
	v_ffbh_u32_e32 v8, v8
	v_min_u32_e32 v18, 32, v8
	v_subrev_nc_u32_e32 v8, 28, v18
	v_lshlrev_b64 v[8:9], v8, v[12:13]
	v_sub_nc_u32_e32 v9, 29, v18
	v_and_b32_e32 v8, 7, v8
; %bb.719:                              ;   in Loop: Header=BB297_10 Depth=1
	s_or_b32 exec_lo, exec_lo, s25
	v_lshlrev_b32_e32 v18, 8, v12
	v_lshl_add_u32 v9, v9, 10, 0x2000
	v_lshlrev_b32_e32 v8, 7, v8
	v_and_b32_e32 v18, 0x8000, v18
	v_and_b32_e32 v9, 0xfc00, v9
	v_or3_b32 v29, v18, v9, v8
.LBB297_720:                            ;   in Loop: Header=BB297_10 Depth=1
	s_or_b32 exec_lo, exec_lo, s24
.LBB297_721:                            ;   in Loop: Header=BB297_10 Depth=1
	s_or_b32 exec_lo, exec_lo, s23
.LBB297_722:                            ;   in Loop: Header=BB297_10 Depth=1
	s_or_b32 exec_lo, exec_lo, s7
	v_lshrrev_b16 v18, 8, v12
	s_mov_b32 s7, exec_lo
	v_cmpx_ne_u16_e32 0, v18
	s_cbranch_execz .LBB297_730
; %bb.723:                              ;   in Loop: Header=BB297_10 Depth=1
	v_bfrev_b32_e32 v28, 1
	s_mov_b32 s23, exec_lo
	v_cmpx_ne_u16_e32 0x80, v18
	s_cbranch_execz .LBB297_729
; %bb.724:                              ;   in Loop: Header=BB297_10 Depth=1
	v_and_b32_sdwa v76, v18, v67 dst_sel:DWORD dst_unused:UNUSED_PAD src0_sel:WORD_0 src1_sel:DWORD
	v_mov_b32_e32 v28, 0x7c010000
	s_mov_b32 s24, exec_lo
	v_cmpx_ne_u32_e32 0x7f, v76
	s_cbranch_execz .LBB297_728
; %bb.725:                              ;   in Loop: Header=BB297_10 Depth=1
	v_and_b32_sdwa v8, v18, v68 dst_sel:DWORD dst_unused:UNUSED_PAD src0_sel:WORD_0 src1_sel:DWORD
	v_lshrrev_b32_e32 v9, 3, v76
	s_mov_b32 s25, exec_lo
	v_cmpx_gt_u32_e32 8, v76
; %bb.726:                              ;   in Loop: Header=BB297_10 Depth=1
	v_ffbh_u32_e32 v8, v8
	v_min_u32_e32 v28, 32, v8
	v_subrev_nc_u32_e32 v8, 28, v28
	v_lshlrev_b64 v[8:9], v8, v[18:19]
	v_sub_nc_u32_e32 v9, 29, v28
	v_and_b32_e32 v8, 7, v8
; %bb.727:                              ;   in Loop: Header=BB297_10 Depth=1
	s_or_b32 exec_lo, exec_lo, s25
	v_lshlrev_b32_sdwa v18, v69, v18 dst_sel:DWORD dst_unused:UNUSED_PAD src0_sel:DWORD src1_sel:WORD_0
	v_lshl_add_u32 v9, v9, 10, 0x2000
	v_lshlrev_b32_e32 v8, 23, v8
	v_and_or_b32 v9, 0x8000, v18, v9
	v_lshl_or_b32 v28, v9, 16, v8
.LBB297_728:                            ;   in Loop: Header=BB297_10 Depth=1
	s_or_b32 exec_lo, exec_lo, s24
.LBB297_729:                            ;   in Loop: Header=BB297_10 Depth=1
	s_or_b32 exec_lo, exec_lo, s23
.LBB297_730:                            ;   in Loop: Header=BB297_10 Depth=1
	s_or_b32 exec_lo, exec_lo, s7
	v_lshrrev_b32_e32 v18, 16, v12
	v_mov_b32_e32 v90, 0
	v_mov_b32_e32 v91, 0
	v_cmp_ne_u16_sdwa s6, v18, v19 src0_sel:BYTE_0 src1_sel:DWORD
	s_and_saveexec_b32 s7, s6
	s_cbranch_execz .LBB297_738
; %bb.731:                              ;   in Loop: Header=BB297_10 Depth=1
	v_cmp_ne_u16_sdwa s6, v18, v66 src0_sel:BYTE_0 src1_sel:DWORD
	v_mov_b32_e32 v91, 0x8000
	s_and_saveexec_b32 s23, s6
	s_cbranch_execz .LBB297_737
; %bb.732:                              ;   in Loop: Header=BB297_10 Depth=1
	v_bfe_u32 v76, v12, 16, 7
	v_mov_b32_e32 v91, 0x7c01
	s_mov_b32 s24, exec_lo
	v_cmpx_ne_u32_e32 0x7f, v76
	s_cbranch_execz .LBB297_736
; %bb.733:                              ;   in Loop: Header=BB297_10 Depth=1
	v_and_b32_e32 v8, 7, v18
	v_lshrrev_b32_e32 v9, 3, v76
	s_mov_b32 s25, exec_lo
	v_cmpx_gt_u32_e32 8, v76
; %bb.734:                              ;   in Loop: Header=BB297_10 Depth=1
	v_ffbh_u32_e32 v8, v8
	v_min_u32_e32 v76, 32, v8
	v_subrev_nc_u32_e32 v8, 28, v76
	v_lshlrev_b64 v[8:9], v8, v[18:19]
	v_sub_nc_u32_e32 v9, 29, v76
	v_and_b32_e32 v8, 7, v8
; %bb.735:                              ;   in Loop: Header=BB297_10 Depth=1
	s_or_b32 exec_lo, exec_lo, s25
	v_lshlrev_b32_e32 v18, 8, v18
	v_lshl_add_u32 v9, v9, 10, 0x2000
	v_lshlrev_b32_e32 v8, 7, v8
	v_and_b32_e32 v18, 0x8000, v18
	v_and_b32_e32 v9, 0xfc00, v9
	v_or3_b32 v91, v18, v9, v8
.LBB297_736:                            ;   in Loop: Header=BB297_10 Depth=1
	s_or_b32 exec_lo, exec_lo, s24
.LBB297_737:                            ;   in Loop: Header=BB297_10 Depth=1
	s_or_b32 exec_lo, exec_lo, s23
.LBB297_738:                            ;   in Loop: Header=BB297_10 Depth=1
	s_or_b32 exec_lo, exec_lo, s7
	s_mov_b32 s7, exec_lo
	v_cmpx_lt_u32_e32 0xffffff, v12
	s_cbranch_execz .LBB297_746
; %bb.739:                              ;   in Loop: Header=BB297_10 Depth=1
	v_lshrrev_b32_e32 v18, 24, v12
	v_bfrev_b32_e32 v90, 1
	s_mov_b32 s23, exec_lo
	v_cmpx_ne_u32_e32 0x80, v18
	s_cbranch_execz .LBB297_745
; %bb.740:                              ;   in Loop: Header=BB297_10 Depth=1
	v_and_b32_e32 v12, 0x7f, v18
	v_mov_b32_e32 v90, 0x7c010000
	s_mov_b32 s24, exec_lo
	v_cmpx_ne_u32_e32 0x7f, v12
	s_cbranch_execz .LBB297_744
; %bb.741:                              ;   in Loop: Header=BB297_10 Depth=1
	v_and_b32_e32 v8, 7, v18
	v_lshrrev_b32_e32 v9, 3, v12
	s_mov_b32 s25, exec_lo
	v_cmpx_gt_u32_e32 8, v12
; %bb.742:                              ;   in Loop: Header=BB297_10 Depth=1
	v_ffbh_u32_e32 v8, v8
	v_min_u32_e32 v12, 32, v8
	v_subrev_nc_u32_e32 v8, 28, v12
	v_lshlrev_b64 v[8:9], v8, v[18:19]
	v_sub_nc_u32_e32 v9, 29, v12
	v_and_b32_e32 v8, 7, v8
; %bb.743:                              ;   in Loop: Header=BB297_10 Depth=1
	s_or_b32 exec_lo, exec_lo, s25
	v_lshlrev_b32_e32 v12, 8, v18
	v_lshl_add_u32 v9, v9, 10, 0x2000
	v_lshlrev_b32_e32 v8, 23, v8
	v_and_or_b32 v9, 0x8000, v12, v9
	v_lshl_or_b32 v90, v9, 16, v8
.LBB297_744:                            ;   in Loop: Header=BB297_10 Depth=1
	s_or_b32 exec_lo, exec_lo, s24
.LBB297_745:                            ;   in Loop: Header=BB297_10 Depth=1
	s_or_b32 exec_lo, exec_lo, s23
.LBB297_746:                            ;   in Loop: Header=BB297_10 Depth=1
	s_or_b32 exec_lo, exec_lo, s7
	v_add_co_u32 v8, s6, v33, v55
	v_add_co_ci_u32_e64 v9, null, 0, v50, s6
	v_mov_b32_e32 v33, 0
	v_mov_b32_e32 v50, 0
	flat_load_dword v12, v[8:9]
	s_waitcnt vmcnt(0) lgkmcnt(0)
	v_cmp_ne_u16_sdwa s6, v12, v19 src0_sel:BYTE_0 src1_sel:DWORD
	s_and_saveexec_b32 s7, s6
	s_cbranch_execz .LBB297_754
; %bb.747:                              ;   in Loop: Header=BB297_10 Depth=1
	v_cmp_ne_u16_sdwa s6, v12, v66 src0_sel:BYTE_0 src1_sel:DWORD
	v_mov_b32_e32 v50, 0x8000
	s_and_saveexec_b32 s23, s6
	s_cbranch_execz .LBB297_753
; %bb.748:                              ;   in Loop: Header=BB297_10 Depth=1
	v_and_b32_e32 v18, 0x7f, v12
	v_mov_b32_e32 v50, 0x7c01
	s_mov_b32 s24, exec_lo
	v_cmpx_ne_u32_e32 0x7f, v18
	s_cbranch_execz .LBB297_752
; %bb.749:                              ;   in Loop: Header=BB297_10 Depth=1
	v_and_b32_e32 v8, 7, v12
	v_lshrrev_b32_e32 v9, 3, v18
	s_mov_b32 s25, exec_lo
	v_cmpx_gt_u32_e32 8, v18
; %bb.750:                              ;   in Loop: Header=BB297_10 Depth=1
	v_ffbh_u32_e32 v8, v8
	v_min_u32_e32 v18, 32, v8
	v_subrev_nc_u32_e32 v8, 28, v18
	v_lshlrev_b64 v[8:9], v8, v[12:13]
	v_sub_nc_u32_e32 v9, 29, v18
	v_and_b32_e32 v8, 7, v8
; %bb.751:                              ;   in Loop: Header=BB297_10 Depth=1
	s_or_b32 exec_lo, exec_lo, s25
	v_lshlrev_b32_e32 v18, 8, v12
	v_lshl_add_u32 v9, v9, 10, 0x2000
	v_lshlrev_b32_e32 v8, 7, v8
	v_and_b32_e32 v18, 0x8000, v18
	v_and_b32_e32 v9, 0xfc00, v9
	v_or3_b32 v50, v18, v9, v8
.LBB297_752:                            ;   in Loop: Header=BB297_10 Depth=1
	s_or_b32 exec_lo, exec_lo, s24
.LBB297_753:                            ;   in Loop: Header=BB297_10 Depth=1
	s_or_b32 exec_lo, exec_lo, s23
.LBB297_754:                            ;   in Loop: Header=BB297_10 Depth=1
	s_or_b32 exec_lo, exec_lo, s7
	v_lshrrev_b16 v18, 8, v12
	s_mov_b32 s7, exec_lo
	v_cmpx_ne_u16_e32 0, v18
	s_cbranch_execz .LBB297_762
; %bb.755:                              ;   in Loop: Header=BB297_10 Depth=1
	v_bfrev_b32_e32 v33, 1
	s_mov_b32 s23, exec_lo
	v_cmpx_ne_u16_e32 0x80, v18
	s_cbranch_execz .LBB297_761
; %bb.756:                              ;   in Loop: Header=BB297_10 Depth=1
	v_and_b32_sdwa v76, v18, v67 dst_sel:DWORD dst_unused:UNUSED_PAD src0_sel:WORD_0 src1_sel:DWORD
	v_mov_b32_e32 v33, 0x7c010000
	s_mov_b32 s24, exec_lo
	v_cmpx_ne_u32_e32 0x7f, v76
	s_cbranch_execz .LBB297_760
; %bb.757:                              ;   in Loop: Header=BB297_10 Depth=1
	v_and_b32_sdwa v8, v18, v68 dst_sel:DWORD dst_unused:UNUSED_PAD src0_sel:WORD_0 src1_sel:DWORD
	v_lshrrev_b32_e32 v9, 3, v76
	s_mov_b32 s25, exec_lo
	v_cmpx_gt_u32_e32 8, v76
; %bb.758:                              ;   in Loop: Header=BB297_10 Depth=1
	v_ffbh_u32_e32 v8, v8
	v_min_u32_e32 v33, 32, v8
	v_subrev_nc_u32_e32 v8, 28, v33
	v_lshlrev_b64 v[8:9], v8, v[18:19]
	v_sub_nc_u32_e32 v9, 29, v33
	v_and_b32_e32 v8, 7, v8
; %bb.759:                              ;   in Loop: Header=BB297_10 Depth=1
	s_or_b32 exec_lo, exec_lo, s25
	v_lshlrev_b32_sdwa v18, v69, v18 dst_sel:DWORD dst_unused:UNUSED_PAD src0_sel:DWORD src1_sel:WORD_0
	v_lshl_add_u32 v9, v9, 10, 0x2000
	v_lshlrev_b32_e32 v8, 23, v8
	v_and_or_b32 v9, 0x8000, v18, v9
	v_lshl_or_b32 v33, v9, 16, v8
.LBB297_760:                            ;   in Loop: Header=BB297_10 Depth=1
	s_or_b32 exec_lo, exec_lo, s24
.LBB297_761:                            ;   in Loop: Header=BB297_10 Depth=1
	s_or_b32 exec_lo, exec_lo, s23
.LBB297_762:                            ;   in Loop: Header=BB297_10 Depth=1
	s_or_b32 exec_lo, exec_lo, s7
	v_lshrrev_b32_e32 v18, 16, v12
	v_mov_b32_e32 v8, 0
	v_mov_b32_e32 v9, 0
	v_cmp_ne_u16_sdwa s6, v18, v19 src0_sel:BYTE_0 src1_sel:DWORD
	s_and_saveexec_b32 s7, s6
	s_cbranch_execz .LBB297_770
; %bb.763:                              ;   in Loop: Header=BB297_10 Depth=1
	v_cmp_ne_u16_sdwa s6, v18, v66 src0_sel:BYTE_0 src1_sel:DWORD
	v_mov_b32_e32 v9, 0x8000
	s_and_saveexec_b32 s23, s6
	s_cbranch_execz .LBB297_769
; %bb.764:                              ;   in Loop: Header=BB297_10 Depth=1
	v_bfe_u32 v77, v12, 16, 7
	v_mov_b32_e32 v9, 0x7c01
	s_mov_b32 s24, exec_lo
	v_cmpx_ne_u32_e32 0x7f, v77
	s_cbranch_execz .LBB297_768
; %bb.765:                              ;   in Loop: Header=BB297_10 Depth=1
	v_and_b32_e32 v9, 7, v18
	v_lshrrev_b32_e32 v76, 3, v77
	s_mov_b32 s25, exec_lo
	v_cmpx_gt_u32_e32 8, v77
; %bb.766:                              ;   in Loop: Header=BB297_10 Depth=1
	v_ffbh_u32_e32 v9, v9
	v_min_u32_e32 v9, 32, v9
	v_subrev_nc_u32_e32 v76, 28, v9
	v_lshlrev_b64 v[124:125], v76, v[18:19]
	v_sub_nc_u32_e32 v76, 29, v9
	v_and_b32_e32 v9, 7, v124
; %bb.767:                              ;   in Loop: Header=BB297_10 Depth=1
	s_or_b32 exec_lo, exec_lo, s25
	v_lshlrev_b32_e32 v18, 8, v18
	v_lshl_add_u32 v76, v76, 10, 0x2000
	v_lshlrev_b32_e32 v9, 7, v9
	v_and_b32_e32 v18, 0x8000, v18
	v_and_b32_e32 v76, 0xfc00, v76
	v_or3_b32 v9, v18, v76, v9
.LBB297_768:                            ;   in Loop: Header=BB297_10 Depth=1
	s_or_b32 exec_lo, exec_lo, s24
.LBB297_769:                            ;   in Loop: Header=BB297_10 Depth=1
	s_or_b32 exec_lo, exec_lo, s23
.LBB297_770:                            ;   in Loop: Header=BB297_10 Depth=1
	s_or_b32 exec_lo, exec_lo, s7
	s_mov_b32 s7, exec_lo
	v_cmpx_lt_u32_e32 0xffffff, v12
	s_cbranch_execz .LBB297_778
; %bb.771:                              ;   in Loop: Header=BB297_10 Depth=1
	v_lshrrev_b32_e32 v18, 24, v12
	v_bfrev_b32_e32 v8, 1
	s_mov_b32 s23, exec_lo
	v_cmpx_ne_u32_e32 0x80, v18
	s_cbranch_execz .LBB297_777
; %bb.772:                              ;   in Loop: Header=BB297_10 Depth=1
	v_and_b32_e32 v76, 0x7f, v18
	v_mov_b32_e32 v8, 0x7c010000
	s_mov_b32 s24, exec_lo
	v_cmpx_ne_u32_e32 0x7f, v76
	s_cbranch_execz .LBB297_776
; %bb.773:                              ;   in Loop: Header=BB297_10 Depth=1
	v_and_b32_e32 v8, 7, v18
	v_lshrrev_b32_e32 v12, 3, v76
	s_mov_b32 s25, exec_lo
	v_cmpx_gt_u32_e32 8, v76
; %bb.774:                              ;   in Loop: Header=BB297_10 Depth=1
	v_ffbh_u32_e32 v8, v8
	v_min_u32_e32 v8, 32, v8
	v_subrev_nc_u32_e32 v12, 28, v8
	v_lshlrev_b64 v[76:77], v12, v[18:19]
	v_sub_nc_u32_e32 v12, 29, v8
	v_and_b32_e32 v8, 7, v76
; %bb.775:                              ;   in Loop: Header=BB297_10 Depth=1
	s_or_b32 exec_lo, exec_lo, s25
	v_lshlrev_b32_e32 v18, 8, v18
	v_lshl_add_u32 v12, v12, 10, 0x2000
	v_lshlrev_b32_e32 v8, 23, v8
	v_and_or_b32 v12, 0x8000, v18, v12
	v_lshl_or_b32 v8, v12, 16, v8
.LBB297_776:                            ;   in Loop: Header=BB297_10 Depth=1
	s_or_b32 exec_lo, exec_lo, s24
.LBB297_777:                            ;   in Loop: Header=BB297_10 Depth=1
	s_or_b32 exec_lo, exec_lo, s23
.LBB297_778:                            ;   in Loop: Header=BB297_10 Depth=1
	s_or_b32 exec_lo, exec_lo, s7
	v_or_b32_e32 v12, v28, v29
	v_fma_mixlo_f16 v76, v71, v28, 0 op_sel:[0,1,0] op_sel_hi:[0,1,0]
	v_fma_mixlo_f16 v28, v71, v90, 0 op_sel:[0,1,0] op_sel_hi:[0,1,0]
	v_or_b32_e32 v9, v8, v9
	v_fma_mixlo_f16 v124, v71, v32, 0 op_sel:[0,1,0] op_sel_hi:[0,1,0]
	v_fma_mixlo_f16 v77, v71, v12, 0 op_sel_hi:[0,1,0]
	v_or_b32_e32 v12, v90, v91
	v_fma_mixlo_f16 v90, v71, v88, 0 op_sel:[0,1,0] op_sel_hi:[0,1,0]
	v_fma_mixlo_f16 v18, v71, v9, 0 op_sel_hi:[0,1,0]
	v_fma_mixlo_f16 v29, v71, v12, 0 op_sel_hi:[0,1,0]
	v_or_b32_e32 v12, v88, v89
	v_fma_mixlo_f16 v88, v71, v104, 0 op_sel:[0,1,0] op_sel_hi:[0,1,0]
	v_fma_mixlo_f16 v91, v71, v12, 0 op_sel_hi:[0,1,0]
	v_or_b32_e32 v12, v104, v105
	v_fma_mixlo_f16 v104, v71, v94, 0 op_sel:[0,1,0] op_sel_hi:[0,1,0]
	;; [unrolled: 3-line block ×11, first 2 shown]
	v_or_b32_e32 v0, v23, v11
	v_fma_mixlo_f16 v23, v71, v1, 0 op_sel:[0,1,0] op_sel_hi:[0,1,0]
	v_fma_mixlo_f16 v39, v71, v12, 0 op_sel_hi:[0,1,0]
	v_or_b32_e32 v12, v120, v121
	v_fma_mixlo_f16 v11, v71, v0, 0 op_sel_hi:[0,1,0]
	v_or_b32_e32 v0, v1, v3
	;; [unrolled: 2-line block ×3, first 2 shown]
	v_fma_mixlo_f16 v14, v71, v14, 0 op_sel:[0,1,0] op_sel_hi:[0,1,0]
	v_and_b32_e32 v3, 0xffff, v3
	v_fma_mixlo_f16 v15, v71, v0, 0 op_sel_hi:[0,1,0]
	v_or_b32_e32 v0, v16, v17
	v_fma_mixlo_f16 v17, v71, v16, 0 op_sel:[0,1,0] op_sel_hi:[0,1,0]
	v_fma_mixlo_f16 v1, v71, v0, 0 op_sel_hi:[0,1,0]
	v_or_b32_e32 v0, v2, v51
	v_fma_mixlo_f16 v2, v71, v2, 0 op_sel:[0,1,0] op_sel_hi:[0,1,0]
	v_and_b32_e32 v1, 0xffff, v1
	v_fma_mixlo_f16 v16, v71, v0, 0 op_sel_hi:[0,1,0]
	v_or_b32_e32 v0, v126, v127
	v_fma_mixlo_f16 v126, v71, v126, 0 op_sel:[0,1,0] op_sel_hi:[0,1,0]
	v_and_b32_e32 v2, 0xffff, v2
	v_fma_mixlo_f16 v127, v71, v0, 0 op_sel_hi:[0,1,0]
	v_or_b32_e32 v0, v48, v34
	v_fma_mixlo_f16 v34, v71, v48, 0 op_sel:[0,1,0] op_sel_hi:[0,1,0]
	v_fma_mixlo_f16 v48, v71, v120, 0 op_sel:[0,1,0] op_sel_hi:[0,1,0]
	;; [unrolled: 1-line block ×3, first 2 shown]
	v_fma_mixlo_f16 v51, v71, v0, 0 op_sel_hi:[0,1,0]
	v_or_b32_e32 v0, v106, v107
	v_fma_mixlo_f16 v107, v71, v106, 0 op_sel:[0,1,0] op_sel_hi:[0,1,0]
	v_fma_mixlo_f16 v106, v71, v12, 0 op_sel_hi:[0,1,0]
	v_or_b32_e32 v12, v78, v79
	v_fma_mixlo_f16 v78, v71, v92, 0 op_sel:[0,1,0] op_sel_hi:[0,1,0]
	v_fma_mixlo_f16 v0, v71, v0, 0 op_sel_hi:[0,1,0]
	v_fma_mixlo_f16 v121, v71, v12, 0 op_sel_hi:[0,1,0]
	v_or_b32_e32 v12, v92, v93
	v_fma_mixlo_f16 v92, v71, v72, 0 op_sel:[0,1,0] op_sel_hi:[0,1,0]
	v_and_b32_e32 v0, 0xffff, v0
	v_fma_mixlo_f16 v79, v71, v12, 0 op_sel_hi:[0,1,0]
	v_or_b32_e32 v12, v72, v73
	v_fma_mixlo_f16 v72, v71, v74, 0 op_sel:[0,1,0] op_sel_hi:[0,1,0]
	v_fma_mixlo_f16 v93, v71, v12, 0 op_sel_hi:[0,1,0]
	v_or_b32_e32 v12, v74, v75
	v_fma_mixlo_f16 v74, v71, v60, 0 op_sel:[0,1,0] op_sel_hi:[0,1,0]
	;; [unrolled: 3-line block ×21, first 2 shown]
	v_fma_mixlo_f16 v87, v71, v12, 0 op_sel_hi:[0,1,0]
	v_or_b32_e32 v12, v82, v83
	v_fma_mixlo_f16 v81, v71, v12, 0 op_sel_hi:[0,1,0]
	v_or_b32_e32 v12, v33, v50
	v_fma_mixlo_f16 v31, v71, v12, 0 op_sel_hi:[0,1,0]
	v_fma_mixlo_f16 v12, v71, v8, 0 op_sel:[0,1,0] op_sel_hi:[0,1,0]
	ds_read_b64 v[8:9], v54
	s_waitcnt lgkmcnt(0)
	v_lshrrev_b32_e32 v13, 16, v8
	v_and_b32_e32 v8, 0xffff, v8
	;;#ASMSTART
	v_cvt_f32_f16 v33, v8;
	;;#ASMEND
	v_and_b32_e32 v8, 0xffff, v87
	;;#ASMSTART
	v_cvt_f32_f16 v50, v13;
	;;#ASMEND
	;;#ASMSTART
	v_cvt_f32_f16 v82, v8;
	;;#ASMEND
	v_and_b32_e32 v8, 0xffff, v86
	;;#ASMSTART
	v_cvt_f32_f16 v83, v8;
	;;#ASMEND
	v_lshrrev_b32_e32 v8, 16, v9
	v_and_b32_e32 v9, 0xffff, v9
	;;#ASMSTART
	v_cvt_f32_f16 v86, v9;
	;;#ASMEND
	;;#ASMSTART
	v_cvt_f32_f16 v87, v8;
	;;#ASMEND
	v_and_b32_e32 v8, 0xffff, v81
	;;#ASMSTART
	v_cvt_f32_f16 v37, v8;
	;;#ASMEND
	v_and_b32_e32 v8, 0xffff, v80
	;;#ASMSTART
	v_cvt_f32_f16 v13, v8;
	;;#ASMEND
	ds_read_b64 v[8:9], v54 offset:8
	v_and_b32_e32 v81, 0xffff, v98
	s_waitcnt lgkmcnt(0)
	v_lshrrev_b32_e32 v71, 16, v8
	v_and_b32_e32 v8, 0xffff, v8
	;;#ASMSTART
	v_cvt_f32_f16 v8, v8;
	;;#ASMEND
	;;#ASMSTART
	v_cvt_f32_f16 v80, v71;
	;;#ASMEND
	v_and_b32_e32 v71, 0xffff, v99
	;;#ASMSTART
	v_cvt_f32_f16 v71, v71;
	;;#ASMEND
	v_mul_f32_e32 v71, v8, v71
	;;#ASMSTART
	v_cvt_f32_f16 v81, v81;
	;;#ASMEND
	v_mul_f32_e32 v80, v80, v81
	v_and_b32_e32 v8, 0xffff, v9
	;;#ASMSTART
	v_cvt_f32_f16 v8, v8;
	;;#ASMEND
	v_fmac_f32_e32 v71, v33, v82
	v_lshrrev_b32_e32 v33, 16, v9
	v_fmac_f32_e32 v80, v50, v83
	;;#ASMSTART
	v_cvt_f32_f16 v9, v33;
	;;#ASMEND
	v_and_b32_e32 v33, 0xffff, v85
	v_and_b32_e32 v50, 0xffff, v84
	;;#ASMSTART
	v_cvt_f32_f16 v33, v33;
	;;#ASMEND
	;;#ASMSTART
	v_cvt_f32_f16 v50, v50;
	;;#ASMEND
	v_mul_f32_e32 v81, v8, v33
	v_mul_f32_e32 v82, v9, v50
	ds_read_b64 v[8:9], v54 offset:16
	v_and_b32_e32 v33, 0xffff, v103
	v_fmac_f32_e32 v81, v86, v37
	v_fmac_f32_e32 v82, v87, v13
	v_and_b32_e32 v37, 0xffff, v102
	s_waitcnt lgkmcnt(0)
	v_lshrrev_b32_e32 v13, 16, v8
	v_and_b32_e32 v8, 0xffff, v8
	;;#ASMSTART
	v_cvt_f32_f16 v8, v8;
	;;#ASMEND
	;;#ASMSTART
	v_cvt_f32_f16 v13, v13;
	;;#ASMEND
	;;#ASMSTART
	v_cvt_f32_f16 v33, v33;
	;;#ASMEND
	;;#ASMSTART
	v_cvt_f32_f16 v37, v37;
	;;#ASMEND
	v_fmac_f32_e32 v71, v8, v33
	v_fmac_f32_e32 v80, v13, v37
	v_lshrrev_b32_e32 v13, 16, v9
	v_and_b32_e32 v8, 0xffff, v9
	;;#ASMSTART
	v_cvt_f32_f16 v8, v8;
	;;#ASMEND
	;;#ASMSTART
	v_cvt_f32_f16 v9, v13;
	;;#ASMEND
	v_and_b32_e32 v13, 0xffff, v97
	v_and_b32_e32 v33, 0xffff, v96
	;;#ASMSTART
	v_cvt_f32_f16 v13, v13;
	;;#ASMEND
	;;#ASMSTART
	v_cvt_f32_f16 v33, v33;
	;;#ASMEND
	v_fmac_f32_e32 v81, v8, v13
	v_fmac_f32_e32 v82, v9, v33
	ds_read_b64 v[8:9], v54 offset:24
	v_and_b32_e32 v33, 0xffff, v115
	v_and_b32_e32 v37, 0xffff, v114
	s_waitcnt lgkmcnt(0)
	v_lshrrev_b32_e32 v13, 16, v8
	v_and_b32_e32 v8, 0xffff, v8
	;;#ASMSTART
	v_cvt_f32_f16 v8, v8;
	;;#ASMEND
	;;#ASMSTART
	v_cvt_f32_f16 v13, v13;
	;;#ASMEND
	;;#ASMSTART
	v_cvt_f32_f16 v33, v33;
	;;#ASMEND
	;;#ASMSTART
	v_cvt_f32_f16 v37, v37;
	;;#ASMEND
	v_fmac_f32_e32 v71, v8, v33
	v_fmac_f32_e32 v80, v13, v37
	v_lshrrev_b32_e32 v13, 16, v9
	v_and_b32_e32 v8, 0xffff, v9
	;;#ASMSTART
	v_cvt_f32_f16 v8, v8;
	;;#ASMEND
	;;#ASMSTART
	v_cvt_f32_f16 v9, v13;
	;;#ASMEND
	v_and_b32_e32 v13, 0xffff, v101
	v_and_b32_e32 v33, 0xffff, v100
	;;#ASMSTART
	v_cvt_f32_f16 v13, v13;
	;;#ASMEND
	;;#ASMSTART
	v_cvt_f32_f16 v33, v33;
	;;#ASMEND
	v_fmac_f32_e32 v81, v8, v13
	v_fmac_f32_e32 v82, v9, v33
	ds_read_b64 v[8:9], v54 offset:32
	v_and_b32_e32 v33, 0xffff, v119
	;; [unrolled: 38-line block ×10, first 2 shown]
	s_waitcnt lgkmcnt(0)
	v_lshrrev_b32_e32 v13, 16, v8
	v_and_b32_e32 v8, 0xffff, v8
	;;#ASMSTART
	v_cvt_f32_f16 v8, v8;
	;;#ASMEND
	;;#ASMSTART
	v_cvt_f32_f16 v13, v13;
	;;#ASMEND
	;; [unrolled: 3-line block ×3, first 2 shown]
	v_fmac_f32_e32 v71, v8, v0
	v_lshrrev_b32_e32 v8, 16, v9
	v_and_b32_e32 v0, 0xffff, v9
	v_and_b32_e32 v9, 0xffff, v106
	;;#ASMSTART
	v_cvt_f32_f16 v33, v33;
	;;#ASMEND
	v_fmac_f32_e32 v80, v13, v33
	;;#ASMSTART
	v_cvt_f32_f16 v0, v0;
	;;#ASMEND
	;;#ASMSTART
	v_cvt_f32_f16 v8, v8;
	;;#ASMEND
	;; [unrolled: 3-line block ×3, first 2 shown]
	v_and_b32_e32 v13, 0xffff, v48
	;;#ASMSTART
	v_cvt_f32_f16 v13, v13;
	;;#ASMEND
	v_fmac_f32_e32 v81, v0, v9
	v_fmac_f32_e32 v82, v8, v13
	ds_read_b64 v[8:9], v54 offset:104
	v_and_b32_e32 v33, 0xffff, v126
	s_waitcnt lgkmcnt(0)
	v_lshrrev_b32_e32 v13, 16, v8
	v_and_b32_e32 v0, 0xffff, v8
	;;#ASMSTART
	v_cvt_f32_f16 v0, v0;
	;;#ASMEND
	;;#ASMSTART
	v_cvt_f32_f16 v8, v13;
	;;#ASMEND
	v_and_b32_e32 v13, 0xffff, v127
	;;#ASMSTART
	v_cvt_f32_f16 v13, v13;
	;;#ASMEND
	;;#ASMSTART
	v_cvt_f32_f16 v33, v33;
	;;#ASMEND
	v_fmac_f32_e32 v71, v0, v13
	v_fmac_f32_e32 v80, v8, v33
	v_lshrrev_b32_e32 v8, 16, v9
	v_and_b32_e32 v0, 0xffff, v9
	v_and_b32_e32 v9, 0xffff, v51
	;;#ASMSTART
	v_cvt_f32_f16 v0, v0;
	;;#ASMEND
	;;#ASMSTART
	v_cvt_f32_f16 v8, v8;
	;;#ASMEND
	;; [unrolled: 3-line block ×3, first 2 shown]
	v_and_b32_e32 v13, 0xffff, v34
	;;#ASMSTART
	v_cvt_f32_f16 v13, v13;
	;;#ASMEND
	v_fmac_f32_e32 v81, v0, v9
	v_fmac_f32_e32 v82, v8, v13
	ds_read_b64 v[8:9], v54 offset:112
	s_waitcnt lgkmcnt(0)
	v_and_b32_e32 v0, 0xffff, v8
	v_lshrrev_b32_e32 v13, 16, v8
	;;#ASMSTART
	v_cvt_f32_f16 v0, v0;
	;;#ASMEND
	;;#ASMSTART
	v_cvt_f32_f16 v8, v13;
	;;#ASMEND
	;; [unrolled: 3-line block ×3, first 2 shown]
	v_and_b32_e32 v13, 0xffff, v17
	v_fmac_f32_e32 v71, v0, v1
	v_lshrrev_b32_e32 v1, 16, v9
	v_and_b32_e32 v0, 0xffff, v9
	;;#ASMSTART
	v_cvt_f32_f16 v13, v13;
	;;#ASMEND
	v_fmac_f32_e32 v80, v8, v13
	;;#ASMSTART
	v_cvt_f32_f16 v0, v0;
	;;#ASMEND
	;;#ASMSTART
	v_cvt_f32_f16 v1, v1;
	;;#ASMEND
	v_and_b32_e32 v8, 0xffff, v16
	;;#ASMSTART
	v_cvt_f32_f16 v8, v8;
	;;#ASMEND
	;;#ASMSTART
	v_cvt_f32_f16 v2, v2;
	;;#ASMEND
	v_fmac_f32_e32 v81, v0, v8
	v_fmac_f32_e32 v82, v1, v2
	ds_read_b64 v[0:1], v54 offset:120
	v_and_b32_e32 v8, 0xffff, v23
	s_waitcnt lgkmcnt(0)
	v_lshrrev_b32_e32 v2, 16, v0
	v_and_b32_e32 v0, 0xffff, v0
	;;#ASMSTART
	v_cvt_f32_f16 v0, v0;
	;;#ASMEND
	;;#ASMSTART
	v_cvt_f32_f16 v2, v2;
	;;#ASMEND
	;;#ASMSTART
	v_cvt_f32_f16 v3, v3;
	;;#ASMEND
	;;#ASMSTART
	v_cvt_f32_f16 v8, v8;
	;;#ASMEND
	v_fmac_f32_e32 v71, v0, v3
	v_fmac_f32_e32 v80, v2, v8
	v_lshrrev_b32_e32 v2, 16, v1
	v_and_b32_e32 v0, 0xffff, v1
	;;#ASMSTART
	v_cvt_f32_f16 v0, v0;
	;;#ASMEND
	;;#ASMSTART
	v_cvt_f32_f16 v1, v2;
	;;#ASMEND
	v_and_b32_e32 v2, 0xffff, v15
	v_and_b32_e32 v3, 0xffff, v14
	;;#ASMSTART
	v_cvt_f32_f16 v2, v2;
	;;#ASMEND
	;;#ASMSTART
	v_cvt_f32_f16 v3, v3;
	;;#ASMEND
	v_fmac_f32_e32 v81, v0, v2
	v_fmac_f32_e32 v82, v1, v3
	ds_read_b64 v[0:1], v54 offset:128
	v_and_b32_e32 v3, 0xffff, v39
	v_and_b32_e32 v8, 0xffff, v10
	s_waitcnt lgkmcnt(0)
	v_lshrrev_b32_e32 v2, 16, v0
	v_and_b32_e32 v0, 0xffff, v0
	;;#ASMSTART
	v_cvt_f32_f16 v0, v0;
	;;#ASMEND
	;;#ASMSTART
	v_cvt_f32_f16 v2, v2;
	;;#ASMEND
	;;#ASMSTART
	v_cvt_f32_f16 v3, v3;
	;;#ASMEND
	;;#ASMSTART
	v_cvt_f32_f16 v8, v8;
	;;#ASMEND
	v_fmac_f32_e32 v71, v0, v3
	v_fmac_f32_e32 v80, v2, v8
	v_lshrrev_b32_e32 v2, 16, v1
	v_and_b32_e32 v0, 0xffff, v1
	;;#ASMSTART
	v_cvt_f32_f16 v0, v0;
	;;#ASMEND
	;;#ASMSTART
	v_cvt_f32_f16 v1, v2;
	;;#ASMEND
	v_and_b32_e32 v2, 0xffff, v11
	v_and_b32_e32 v3, 0xffff, v38
	;;#ASMSTART
	v_cvt_f32_f16 v2, v2;
	;;#ASMEND
	;;#ASMSTART
	v_cvt_f32_f16 v3, v3;
	;;#ASMEND
	v_fmac_f32_e32 v81, v0, v2
	v_fmac_f32_e32 v82, v1, v3
	ds_read_b64 v[0:1], v54 offset:136
	v_and_b32_e32 v3, 0xffff, v4
	v_and_b32_e32 v4, 0xffff, v5
	s_waitcnt lgkmcnt(0)
	v_lshrrev_b32_e32 v2, 16, v0
	v_and_b32_e32 v0, 0xffff, v0
	;;#ASMSTART
	v_cvt_f32_f16 v0, v0;
	;;#ASMEND
	;;#ASMSTART
	v_cvt_f32_f16 v2, v2;
	;;#ASMEND
	;;#ASMSTART
	v_cvt_f32_f16 v3, v3;
	;;#ASMEND
	;;#ASMSTART
	v_cvt_f32_f16 v4, v4;
	;;#ASMEND
	v_fmac_f32_e32 v71, v0, v3
	v_fmac_f32_e32 v80, v2, v4
	v_lshrrev_b32_e32 v2, 16, v1
	v_and_b32_e32 v0, 0xffff, v1
	;;#ASMSTART
	v_cvt_f32_f16 v0, v0;
	;;#ASMEND
	;;#ASMSTART
	v_cvt_f32_f16 v1, v2;
	;;#ASMEND
	v_and_b32_e32 v2, 0xffff, v36
	v_and_b32_e32 v3, 0xffff, v32
	;;#ASMSTART
	v_cvt_f32_f16 v2, v2;
	;;#ASMEND
	;;#ASMSTART
	v_cvt_f32_f16 v3, v3;
	;;#ASMEND
	v_fmac_f32_e32 v81, v0, v2
	v_fmac_f32_e32 v82, v1, v3
	ds_read_b64 v[0:1], v54 offset:144
	v_and_b32_e32 v3, 0xffff, v125
	v_and_b32_e32 v4, 0xffff, v124
	s_waitcnt lgkmcnt(0)
	v_lshrrev_b32_e32 v2, 16, v0
	v_and_b32_e32 v0, 0xffff, v0
	;;#ASMSTART
	v_cvt_f32_f16 v0, v0;
	;;#ASMEND
	;;#ASMSTART
	v_cvt_f32_f16 v2, v2;
	;;#ASMEND
	;;#ASMSTART
	v_cvt_f32_f16 v3, v3;
	;;#ASMEND
	;;#ASMSTART
	v_cvt_f32_f16 v4, v4;
	;;#ASMEND
	v_fmac_f32_e32 v71, v0, v3
	v_fmac_f32_e32 v80, v2, v4
	v_lshrrev_b32_e32 v2, 16, v1
	v_and_b32_e32 v0, 0xffff, v1
	;;#ASMSTART
	v_cvt_f32_f16 v0, v0;
	;;#ASMEND
	;;#ASMSTART
	v_cvt_f32_f16 v1, v2;
	;;#ASMEND
	v_and_b32_e32 v2, 0xffff, v123
	v_and_b32_e32 v3, 0xffff, v122
	;;#ASMSTART
	v_cvt_f32_f16 v2, v2;
	;;#ASMEND
	;;#ASMSTART
	v_cvt_f32_f16 v3, v3;
	;;#ASMEND
	v_fmac_f32_e32 v81, v0, v2
	v_fmac_f32_e32 v82, v1, v3
	ds_read_b64 v[0:1], v54 offset:152
	v_and_b32_e32 v3, 0xffff, v111
	v_and_b32_e32 v4, 0xffff, v110
	s_waitcnt lgkmcnt(0)
	v_lshrrev_b32_e32 v2, 16, v0
	v_and_b32_e32 v0, 0xffff, v0
	;;#ASMSTART
	v_cvt_f32_f16 v0, v0;
	;;#ASMEND
	;;#ASMSTART
	v_cvt_f32_f16 v2, v2;
	;;#ASMEND
	;;#ASMSTART
	v_cvt_f32_f16 v3, v3;
	;;#ASMEND
	;;#ASMSTART
	v_cvt_f32_f16 v4, v4;
	;;#ASMEND
	v_fmac_f32_e32 v71, v0, v3
	v_fmac_f32_e32 v80, v2, v4
	v_lshrrev_b32_e32 v2, 16, v1
	v_and_b32_e32 v0, 0xffff, v1
	;;#ASMSTART
	v_cvt_f32_f16 v0, v0;
	;;#ASMEND
	;;#ASMSTART
	v_cvt_f32_f16 v1, v2;
	;;#ASMEND
	v_and_b32_e32 v2, 0xffff, v109
	v_and_b32_e32 v3, 0xffff, v108
	;;#ASMSTART
	v_cvt_f32_f16 v2, v2;
	;;#ASMEND
	;;#ASMSTART
	v_cvt_f32_f16 v3, v3;
	;;#ASMEND
	v_fmac_f32_e32 v81, v0, v2
	v_fmac_f32_e32 v82, v1, v3
	ds_read_b64 v[0:1], v54 offset:160
	v_and_b32_e32 v3, 0xffff, v105
	v_and_b32_e32 v4, 0xffff, v104
	s_waitcnt lgkmcnt(0)
	v_lshrrev_b32_e32 v2, 16, v0
	v_and_b32_e32 v0, 0xffff, v0
	;;#ASMSTART
	v_cvt_f32_f16 v0, v0;
	;;#ASMEND
	;;#ASMSTART
	v_cvt_f32_f16 v2, v2;
	;;#ASMEND
	;;#ASMSTART
	v_cvt_f32_f16 v3, v3;
	;;#ASMEND
	;;#ASMSTART
	v_cvt_f32_f16 v4, v4;
	;;#ASMEND
	v_fmac_f32_e32 v71, v0, v3
	v_fmac_f32_e32 v80, v2, v4
	v_lshrrev_b32_e32 v2, 16, v1
	v_and_b32_e32 v0, 0xffff, v1
	;;#ASMSTART
	v_cvt_f32_f16 v0, v0;
	;;#ASMEND
	;;#ASMSTART
	v_cvt_f32_f16 v1, v2;
	;;#ASMEND
	v_and_b32_e32 v2, 0xffff, v95
	v_and_b32_e32 v3, 0xffff, v94
	;;#ASMSTART
	v_cvt_f32_f16 v2, v2;
	;;#ASMEND
	;;#ASMSTART
	v_cvt_f32_f16 v3, v3;
	;;#ASMEND
	v_fmac_f32_e32 v81, v0, v2
	v_fmac_f32_e32 v82, v1, v3
	ds_read_b64 v[0:1], v54 offset:168
	v_and_b32_e32 v3, 0xffff, v91
	v_and_b32_e32 v4, 0xffff, v90
	s_waitcnt lgkmcnt(0)
	v_lshrrev_b32_e32 v2, 16, v0
	v_and_b32_e32 v0, 0xffff, v0
	;;#ASMSTART
	v_cvt_f32_f16 v0, v0;
	;;#ASMEND
	;;#ASMSTART
	v_cvt_f32_f16 v2, v2;
	;;#ASMEND
	;;#ASMSTART
	v_cvt_f32_f16 v3, v3;
	;;#ASMEND
	;;#ASMSTART
	v_cvt_f32_f16 v4, v4;
	;;#ASMEND
	v_fmac_f32_e32 v71, v0, v3
	v_fmac_f32_e32 v80, v2, v4
	v_lshrrev_b32_e32 v2, 16, v1
	v_and_b32_e32 v0, 0xffff, v1
	;;#ASMSTART
	v_cvt_f32_f16 v0, v0;
	;;#ASMEND
	;;#ASMSTART
	v_cvt_f32_f16 v1, v2;
	;;#ASMEND
	v_and_b32_e32 v2, 0xffff, v89
	v_and_b32_e32 v3, 0xffff, v88
	;;#ASMSTART
	v_cvt_f32_f16 v2, v2;
	;;#ASMEND
	;;#ASMSTART
	v_cvt_f32_f16 v3, v3;
	;;#ASMEND
	v_fmac_f32_e32 v81, v0, v2
	v_fmac_f32_e32 v82, v1, v3
	ds_read_b64 v[0:1], v54 offset:176
	v_and_b32_e32 v3, 0xffff, v77
	v_and_b32_e32 v4, 0xffff, v76
	s_waitcnt lgkmcnt(0)
	v_lshrrev_b32_e32 v2, 16, v0
	v_and_b32_e32 v0, 0xffff, v0
	;;#ASMSTART
	v_cvt_f32_f16 v0, v0;
	;;#ASMEND
	;;#ASMSTART
	v_cvt_f32_f16 v2, v2;
	;;#ASMEND
	;;#ASMSTART
	v_cvt_f32_f16 v3, v3;
	;;#ASMEND
	;;#ASMSTART
	v_cvt_f32_f16 v4, v4;
	;;#ASMEND
	v_fmac_f32_e32 v71, v0, v3
	v_fmac_f32_e32 v80, v2, v4
	v_lshrrev_b32_e32 v2, 16, v1
	v_and_b32_e32 v0, 0xffff, v1
	;;#ASMSTART
	v_cvt_f32_f16 v0, v0;
	;;#ASMEND
	;;#ASMSTART
	v_cvt_f32_f16 v1, v2;
	;;#ASMEND
	v_and_b32_e32 v2, 0xffff, v29
	v_and_b32_e32 v3, 0xffff, v28
	;;#ASMSTART
	v_cvt_f32_f16 v2, v2;
	;;#ASMEND
	;;#ASMSTART
	v_cvt_f32_f16 v3, v3;
	;;#ASMEND
	v_fmac_f32_e32 v81, v0, v2
	v_fmac_f32_e32 v82, v1, v3
	ds_read_b64 v[0:1], v54 offset:184
	v_and_b32_e32 v3, 0xffff, v31
	v_and_b32_e32 v4, 0xffff, v30
	s_waitcnt lgkmcnt(0)
	v_lshrrev_b32_e32 v2, 16, v0
	v_and_b32_e32 v0, 0xffff, v0
	;;#ASMSTART
	v_cvt_f32_f16 v0, v0;
	;;#ASMEND
	;;#ASMSTART
	v_cvt_f32_f16 v2, v2;
	;;#ASMEND
	;; [unrolled: 3-line block ×4, first 2 shown]
	v_fmac_f32_e32 v71, v0, v3
	v_fmac_f32_e32 v80, v2, v4
	v_lshrrev_b32_e32 v2, 16, v1
	v_and_b32_e32 v0, 0xffff, v1
	;;#ASMSTART
	v_cvt_f32_f16 v0, v0;
	;;#ASMEND
	;;#ASMSTART
	v_cvt_f32_f16 v1, v2;
	;;#ASMEND
	v_and_b32_e32 v2, 0xffff, v18
	v_and_b32_e32 v3, 0xffff, v12
	;;#ASMSTART
	v_cvt_f32_f16 v2, v2;
	;;#ASMEND
	;;#ASMSTART
	v_cvt_f32_f16 v3, v3;
	;;#ASMEND
	v_fmac_f32_e32 v82, v1, v3
	v_xor_b32_e32 v1, 1, v49
	v_fmac_f32_e32 v81, v0, v2
	v_add_f32_e32 v0, v71, v80
	v_cmp_gt_i32_e64 s6, 32, v1
	v_add_f32_e32 v0, v0, v81
	v_cndmask_b32_e64 v1, v49, v1, s6
	v_add_f32_e32 v0, v82, v0
	v_lshlrev_b32_e32 v1, 2, v1
	ds_bpermute_b32 v1, v1, v0
	s_and_saveexec_b32 s7, vcc_lo
	s_cbranch_execz .LBB297_9
; %bb.779:                              ;   in Loop: Header=BB297_10 Depth=1
	buffer_load_dword v3, off, s[0:3], s32 offset:212 ; 4-byte Folded Reload
	v_sub_nc_u32_e32 v2, 1, v35
	s_waitcnt lgkmcnt(0)
	v_add_f32_e32 v0, v0, v1
	s_load_dword s23, s[8:9], 0x0
	v_cmp_lt_i32_e64 s6, v64, v35
	v_add_nc_u32_e32 v2, v2, v64
	v_cvt_f32_i32_e32 v2, v2
	s_waitcnt vmcnt(0)
	v_mul_f32_e32 v2, v3, v2
	v_cndmask_b32_e64 v1, 0, v2, s5
	buffer_load_dword v2, off, s[0:3], s32 offset:208 ; 4-byte Folded Reload
	s_waitcnt vmcnt(0)
	v_fmac_f32_e32 v1, v2, v0
	v_max_f32_e32 v0, v52, v52
	s_waitcnt lgkmcnt(0)
	v_add_nc_u32_e32 v2, s23, v65
	v_max_f32_e32 v0, v0, v1
	v_cndmask_b32_e64 v1, 0, v1, s6
	v_cndmask_b32_e64 v52, v52, v0, s6
	ds_write_b32 v2, v1
	s_branch .LBB297_9
.LBB297_780:
	s_or_b32 exec_lo, exec_lo, s17
	s_clause 0xf
	buffer_load_dword v32, off, s[0:3], s32 offset:228
	buffer_load_dword v33, off, s[0:3], s32 offset:232
	;; [unrolled: 1-line block ×16, first 2 shown]
	v_mov_b32_e32 v12, 32
.LBB297_781:
	s_or_b32 exec_lo, exec_lo, s21
	buffer_load_dword v8, off, s[0:3], s32 offset:204 ; 4-byte Folded Reload
	v_xor_b32_e32 v0, 16, v49
	s_waitcnt lgkmcnt(0)
	v_xor_b32_e32 v1, 8, v49
	v_max_f32_e32 v2, v52, v52
	s_lshr_b32 s8, s22, 16
	v_cmp_lt_i32_e32 vcc_lo, v0, v12
	v_cndmask_b32_e32 v0, v49, v0, vcc_lo
	v_cmp_lt_i32_e32 vcc_lo, v1, v12
	v_lshlrev_b32_e32 v3, 2, v0
	v_cndmask_b32_e32 v1, v49, v1, vcc_lo
	ds_bpermute_b32 v0, v3, v52
	v_lshlrev_b32_e32 v4, 2, v1
	s_waitcnt lgkmcnt(0)
	v_max_f32_e32 v0, v0, v0
	v_max_f32_e32 v0, v2, v0
	v_xor_b32_e32 v2, 4, v49
	ds_bpermute_b32 v1, v4, v0
	v_cmp_lt_i32_e32 vcc_lo, v2, v12
	v_cndmask_b32_e32 v2, v49, v2, vcc_lo
	v_lshlrev_b32_e32 v5, 2, v2
	v_xor_b32_e32 v2, 2, v49
	v_cmp_lt_i32_e32 vcc_lo, v2, v12
	s_waitcnt lgkmcnt(0)
	v_max_f32_e32 v1, v1, v1
	v_cndmask_b32_e32 v2, v49, v2, vcc_lo
	v_max_f32_e32 v0, v0, v1
	v_lshlrev_b32_e32 v2, 2, v2
	ds_bpermute_b32 v1, v5, v0
	s_waitcnt lgkmcnt(0)
	v_max_f32_e32 v1, v1, v1
	v_max_f32_e32 v0, v0, v1
	ds_bpermute_b32 v1, v2, v0
	s_waitcnt vmcnt(0)
	v_and_b32_e32 v37, 31, v8
	buffer_load_dword v8, off, s[0:3], s32 offset:216 ; 4-byte Folded Reload
	v_cmp_eq_u32_e32 vcc_lo, 0, v37
	s_waitcnt vmcnt(0)
	v_lshlrev_b32_e32 v8, 2, v8
	s_and_saveexec_b32 s5, vcc_lo
	s_cbranch_execz .LBB297_783
; %bb.782:
	s_waitcnt lgkmcnt(0)
	v_max_f32_e32 v1, v1, v1
	v_max_f32_e32 v0, v0, v0
	;; [unrolled: 1-line block ×3, first 2 shown]
	ds_write_b32 v8, v0 offset:384
.LBB297_783:
	s_or_b32 exec_lo, exec_lo, s5
	v_cmp_gt_u32_e64 s5, 4, v37
	v_mov_b32_e32 v0, 0xff7fffff
	v_lshlrev_b32_e32 v9, 2, v37
	s_waitcnt lgkmcnt(0)
	s_waitcnt_vscnt null, 0x0
	s_barrier
	buffer_gl0_inv
	s_and_saveexec_b32 s6, s5
; %bb.784:
	ds_read_b32 v0, v9 offset:384
; %bb.785:
	s_or_b32 exec_lo, exec_lo, s6
	s_waitcnt lgkmcnt(0)
	ds_bpermute_b32 v1, v2, v0
	v_xor_b32_e32 v10, 1, v49
	v_max_f32_e32 v0, v0, v0
	v_cmp_lt_i32_e64 s6, v10, v12
	v_cndmask_b32_e64 v10, v49, v10, s6
	v_lshlrev_b32_e32 v18, 2, v10
	v_subrev_nc_u32_e32 v10, s13, v22
	s_waitcnt lgkmcnt(0)
	v_max_f32_e32 v1, v1, v1
	v_lshl_add_u32 v10, v10, 4, s20
	v_max_f32_e32 v0, v0, v1
	ds_bpermute_b32 v1, v18, v0
	s_waitcnt lgkmcnt(0)
	v_max_f32_e32 v1, v1, v1
	v_max_f32_e32 v0, v0, v1
	v_lshlrev_b32_e32 v1, 2, v19
	ds_bpermute_b32 v0, v1, v0
	v_min_i32_e32 v1, v10, v35
	buffer_load_dword v10, off, s[0:3], s32 offset:204 ; 4-byte Folded Reload
	v_subrev_nc_u32_e32 v1, s20, v1
	s_waitcnt vmcnt(0)
	v_cmp_lt_i32_e64 s6, v10, v1
	v_mov_b32_e32 v10, 0
	s_and_saveexec_b32 s9, s6
	s_cbranch_execz .LBB297_789
; %bb.786:
	buffer_load_dword v12, off, s[0:3], s32 offset:204 ; 4-byte Folded Reload
	s_getpc_b64 s[22:23]
	s_add_u32 s22, s22, llvm.amdgcn.dynlds.offset.table@rel32@lo+4
	s_addc_u32 s23, s23, llvm.amdgcn.dynlds.offset.table@rel32@hi+12
	s_ashr_i32 s17, s16, 31
	v_mov_b32_e32 v10, 0
	s_lshl_b64 s[24:25], s[16:17], 2
	s_mov_b32 s13, 0
	s_add_u32 s22, s22, s24
	s_addc_u32 s23, s23, s25
	s_load_dword s7, s[22:23], 0x0
	s_waitcnt vmcnt(0) lgkmcnt(0)
	v_lshl_add_u32 v16, v12, 2, s7
	.p2align	6
.LBB297_787:                            ; =>This Inner Loop Header: Depth=1
	ds_read_b32 v13, v16
	v_add_nc_u32_e32 v12, 0x80, v12
	v_cmp_ge_i32_e64 s7, v12, v1
	s_or_b32 s13, s7, s13
	s_waitcnt lgkmcnt(0)
	v_sub_f32_e32 v13, v13, v0
	v_mul_f32_e32 v13, 0x3fb8aa3b, v13
	v_exp_f32_e32 v13, v13
	ds_write_b32 v16, v13
	v_add_f32_e32 v10, v10, v13
	v_add_nc_u32_e32 v16, 0x200, v16
	s_andn2_b32 exec_lo, exec_lo, s13
	s_cbranch_execnz .LBB297_787
; %bb.788:
	s_or_b32 exec_lo, exec_lo, s13
.LBB297_789:
	s_or_b32 exec_lo, exec_lo, s9
	ds_bpermute_b32 v3, v3, v10
	s_waitcnt lgkmcnt(0)
	v_add_f32_e32 v3, v10, v3
	ds_bpermute_b32 v4, v4, v3
	s_waitcnt lgkmcnt(0)
	v_add_f32_e32 v3, v3, v4
	;; [unrolled: 3-line block ×5, first 2 shown]
	s_and_saveexec_b32 s7, vcc_lo
; %bb.790:
	ds_write_b32 v8, v3 offset:400
; %bb.791:
	s_or_b32 exec_lo, exec_lo, s7
	s_waitcnt lgkmcnt(0)
	s_barrier
	buffer_gl0_inv
	s_and_saveexec_b32 s7, s5
; %bb.792:
	ds_read_b32 v3, v9 offset:400
; %bb.793:
	s_or_b32 exec_lo, exec_lo, s7
	s_waitcnt lgkmcnt(0)
	ds_bpermute_b32 v2, v2, v3
	v_lshlrev_b32_e32 v4, 2, v49
	s_waitcnt lgkmcnt(0)
	v_add_f32_e32 v2, v3, v2
	ds_bpermute_b32 v3, v18, v2
	s_waitcnt lgkmcnt(0)
	v_add_f32_e32 v2, v2, v3
	v_and_b32_e32 v3, 0xffffff80, v4
	ds_bpermute_b32 v2, v3, v2
	s_and_saveexec_b32 s5, s6
	s_cbranch_execz .LBB297_796
; %bb.794:
	s_waitcnt lgkmcnt(0)
	v_add_f32_e32 v4, 0x358637bd, v2
	s_getpc_b64 s[6:7]
	s_add_u32 s6, s6, llvm.amdgcn.dynlds.offset.table@rel32@lo+4
	s_addc_u32 s7, s7, llvm.amdgcn.dynlds.offset.table@rel32@hi+12
	s_ashr_i32 s17, s16, 31
	s_lshl_b64 s[22:23], s[16:17], 2
	v_div_scale_f32 v3, null, v4, v4, 1.0
	v_div_scale_f32 v9, vcc_lo, 1.0, v4, 1.0
	s_add_u32 s6, s6, s22
	v_rcp_f32_e32 v5, v3
	s_addc_u32 s7, s7, s23
	s_load_dword s6, s[6:7], 0x0
	v_fma_f32 v8, -v3, v5, 1.0
	v_fmac_f32_e32 v5, v8, v5
	v_mul_f32_e32 v8, v9, v5
	v_fma_f32 v10, -v3, v8, v9
	v_fmac_f32_e32 v8, v10, v5
	v_fma_f32 v3, -v3, v8, v9
	v_div_fmas_f32 v5, v3, v5, v8
	buffer_load_dword v8, off, s[0:3], s32 offset:204 ; 4-byte Folded Reload
	v_div_fixup_f32 v4, v5, v4, 1.0
	s_waitcnt vmcnt(0) lgkmcnt(0)
	v_lshl_add_u32 v3, v8, 2, s6
	v_mov_b32_e32 v5, v8
	s_mov_b32 s6, 0
.LBB297_795:                            ; =>This Inner Loop Header: Depth=1
	ds_read_b32 v8, v3
	v_add_nc_u32_e32 v5, 0x80, v5
	v_cmp_ge_i32_e32 vcc_lo, v5, v1
	s_or_b32 s6, vcc_lo, s6
	s_waitcnt lgkmcnt(0)
	v_mul_f32_e32 v8, v4, v8
	ds_write_b32 v3, v8
	v_add_nc_u32_e32 v3, 0x200, v3
	s_andn2_b32 exec_lo, exec_lo, s6
	s_cbranch_execnz .LBB297_795
.LBB297_796:
	s_or_b32 exec_lo, exec_lo, s5
	s_waitcnt lgkmcnt(0)
	buffer_load_dword v1, off, s[0:3], s32 offset:204 ; 4-byte Folded Reload
	s_and_b32 s5, 0xffff, s8
	s_mov_b32 s8, exec_lo
	s_cmp_lg_u32 s5, 0
	s_barrier
	s_cselect_b32 s5, -1, 0
	s_waitcnt vmcnt(0)
	buffer_gl0_inv
	s_cmp_lg_u32 s5, 0
	s_addc_u32 s5, s11, 0
	s_mul_i32 s6, s5, s18
	s_mul_i32 s6, s6, s15
	v_cmpx_eq_u32_e32 0, v1
	s_cbranch_execz .LBB297_798
; %bb.797:
	s_ashr_i32 s7, s6, 31
	s_mul_i32 s12, s5, s12
	s_lshl_b64 s[22:23], s[6:7], 2
	s_ashr_i32 s13, s12, 31
	v_add_co_u32 v1, vcc_lo, v36, s22
	v_add_co_ci_u32_e64 v3, null, s23, v30, vcc_lo
	s_lshl_b64 s[12:13], s[12:13], 2
	s_ashr_i32 s15, s14, 31
	v_add_co_u32 v1, vcc_lo, v1, s12
	v_add_co_ci_u32_e64 v4, null, s13, v3, vcc_lo
	v_add_co_u32 v3, vcc_lo, v29, s22
	v_add_co_ci_u32_e64 v5, null, s23, v28, vcc_lo
	s_lshl_b64 s[22:23], s[14:15], 2
	v_add_co_u32 v8, vcc_lo, v3, s12
	v_add_co_ci_u32_e64 v5, null, s13, v5, vcc_lo
	v_add_co_u32 v3, vcc_lo, v1, s22
	v_add_co_ci_u32_e64 v4, null, s23, v4, vcc_lo
	;; [unrolled: 2-line block ×3, first 2 shown]
	flat_store_dword v[3:4], v0
	flat_store_dword v[8:9], v2
.LBB297_798:
	s_or_b32 exec_lo, exec_lo, s8
	s_and_saveexec_b32 s7, s4
	s_xor_b32 s4, exec_lo, s7
; %bb.799:
	s_ashr_i32 s17, s16, 31
                                        ; implicit-def: $vgpr35
                                        ; implicit-def: $vgpr39
                                        ; implicit-def: $vgpr22
                                        ; implicit-def: $vgpr6
                                        ; implicit-def: $vgpr34
                                        ; implicit-def: $vgpr11
                                        ; implicit-def: $vgpr14
                                        ; implicit-def: $vgpr15
                                        ; implicit-def: $vgpr0
                                        ; kill: killed $vgpr0
                                        ; implicit-def: $vgpr26_vgpr27
                                        ; implicit-def: $vgpr23
                                        ; implicit-def: $vgpr17
                                        ; implicit-def: $vgpr64_vgpr65
                                        ; implicit-def: $vgpr38
; %bb.800:
	s_or_saveexec_b32 s7, s4
	v_mov_b32_e32 v0, s16
	v_mov_b32_e32 v49, 0
	;; [unrolled: 1-line block ×14, first 2 shown]
	s_xor_b32 exec_lo, exec_lo, s7
	s_cbranch_execz .LBB297_1596
; %bb.801:
	v_lshlrev_b64 v[4:5], 2, v[6:7]
	buffer_load_dword v7, off, s[0:3], s32 offset:204 ; 4-byte Folded Reload
	v_add_co_u32 v2, vcc_lo, v34, v23
	v_and_b32_e32 v8, 0xf8, v38
	v_add_co_ci_u32_e64 v3, null, v11, v17, vcc_lo
	s_getpc_b64 s[8:9]
	s_add_u32 s8, s8, llvm.amdgcn.dynlds.offset.table@rel32@lo+4
	s_addc_u32 s9, s9, llvm.amdgcn.dynlds.offset.table@rel32@hi+12
	s_ashr_i32 s17, s16, 31
	v_add_co_u32 v2, vcc_lo, v2, v8
	buffer_load_dword v8, off, s[0:3], s32 offset:216 ; 4-byte Folded Reload
	s_lshl_b64 s[12:13], s[16:17], 2
	v_add_co_ci_u32_e64 v3, null, 0, v3, vcc_lo
	s_add_u32 s8, s8, s12
	s_addc_u32 s9, s9, s13
	v_add_co_u32 v4, vcc_lo, v64, v4
	s_load_dword s4, s[8:9], 0x0
	v_and_b32_e32 v0, 8, v38
	v_add_co_ci_u32_e64 v5, null, v65, v5, vcc_lo
	v_mov_b32_e32 v40, v33
	v_mov_b32_e32 v119, v32
	v_add_nc_u32_e32 v23, -1, v39
	v_mov_b32_e32 v1, 0
	v_mov_b32_e32 v16, 0x80
	;; [unrolled: 1-line block ×17, first 2 shown]
	s_mov_b32 s8, -1
	s_mov_b32 s9, 0xffffff
	s_mov_b32 s11, 0
	s_waitcnt vmcnt(1)
	v_and_b32_e32 v7, 1, v7
	v_lshlrev_b32_e32 v7, 5, v7
	s_waitcnt vmcnt(0)
	v_lshl_add_u32 v9, v8, 4, s20
	v_lshl_or_b32 v10, v8, 6, v7
	v_add_co_u32 v7, vcc_lo, v14, v4
	v_add_co_ci_u32_e64 v8, null, v15, v5, vcc_lo
	v_add3_u32 v14, v9, v0, 7
	s_waitcnt lgkmcnt(0)
	v_add_nc_u32_e32 v15, s4, v10
	s_branch .LBB297_803
.LBB297_802:                            ;   in Loop: Header=BB297_803 Depth=1
	s_or_b32 exec_lo, exec_lo, s4
	v_add_f32_e32 v4, v4, v5
	v_add_f32_e32 v5, v98, v99
	;; [unrolled: 1-line block ×6, first 2 shown]
	;;#ASMSTART
	v_pk_mul_f16 v4, v67, v33;

	;;#ASMEND
	;;#ASMSTART
	v_pk_mul_f16 v0, v64, v0;

	;;#ASMEND
	v_add_f32_e32 v28, v28, v5
	;;#ASMSTART
	v_pk_mul_f16 v5, v54, v10;

	;;#ASMEND
	;;#ASMSTART
	v_pk_mul_f16 v9, v53, v9;

	;;#ASMEND
	;;#ASMSTART
	v_pk_add_f16 v0, v4, v0;

	;;#ASMEND
	;;#ASMSTART
	v_pk_add_f16 v0, v0, v5;
	;; [unrolled: 4-line block ×3, first 2 shown]

	;;#ASMEND
	v_and_b32_e32 v9, 0xffff, v0
	v_add_nc_u32_e32 v6, 4, v6
	v_lshrrev_b32_e32 v10, 16, v0
	;;#ASMSTART
	v_cvt_f32_f16 v9, v9;
	;;#ASMEND
	v_add_f32_e32 v20, v20, v11
	v_add_f32_e32 v21, v21, v12
	;; [unrolled: 1-line block ×9, first 2 shown]
	;;#ASMSTART
	v_cvt_f32_f16 v10, v10;
	;;#ASMEND
	v_add_f32_e32 v9, v9, v10
	v_cmp_ge_i32_e32 vcc_lo, v6, v22
	v_add_co_u32 v7, s4, v7, 16
	v_add_f32_e32 v29, v29, v11
	v_add_f32_e32 v30, v30, v12
	;; [unrolled: 1-line block ×7, first 2 shown]
	v_add_co_ci_u32_e64 v8, null, 0, v8, s4
	v_add_nc_u32_e32 v14, 64, v14
	v_add_nc_u32_e32 v15, 0x100, v15
	s_or_b32 s11, vcc_lo, s11
	s_andn2_b32 exec_lo, exec_lo, s11
	s_cbranch_execz .LBB297_1595
.LBB297_803:                            ; =>This Inner Loop Header: Depth=1
	flat_load_dword v0, v[7:8]
	ds_read2_b64 v[52:55], v15 offset1:1
	ds_read2_b64 v[64:67], v15 offset0:2 offset1:3
	s_waitcnt lgkmcnt(1)
	;;#ASMSTART
	v_cvt_f16_f32 v4, v52;

	;;#ASMEND
	buffer_load_dword v5, off, s[0:3], s32 offset:192 ; 4-byte Folded Reload
	s_waitcnt vmcnt(0)
	v_mad_i64_i32 v[9:10], null, v0, v5, v[2:3]
	;;#ASMSTART
	v_cvt_f16_f32 v5, v53;

	;;#ASMEND
	;;#ASMSTART
	v_cvt_f16_f32 v53, v54;

	;;#ASMEND
	;; [unrolled: 4-line block ×3, first 2 shown]
	s_waitcnt lgkmcnt(0)
	;;#ASMSTART
	v_cvt_f16_f32 v54, v64;

	;;#ASMEND
	;;#ASMSTART
	v_cvt_f16_f32 v34, v65;

	;;#ASMEND
	;; [unrolled: 4-line block ×4, first 2 shown]
	flat_load_dwordx2 v[11:12], v[9:10]
	flat_load_dword v52, v[26:27]
	v_mov_b32_e32 v55, 0
	s_waitcnt vmcnt(1) lgkmcnt(1)
	v_cmp_ne_u16_sdwa s12, v11, v1 src0_sel:BYTE_0 src1_sel:DWORD
	s_and_saveexec_b32 s4, s12
	s_cbranch_execz .LBB297_811
; %bb.804:                              ;   in Loop: Header=BB297_803 Depth=1
	v_cmp_ne_u16_sdwa s13, v11, v16 src0_sel:BYTE_0 src1_sel:DWORD
	v_mov_b32_e32 v55, 0x8000
	s_and_saveexec_b32 s12, s13
	s_cbranch_execz .LBB297_810
; %bb.805:                              ;   in Loop: Header=BB297_803 Depth=1
	v_and_b32_e32 v48, 0x7f, v11
	v_mov_b32_e32 v55, 0x7c01
	s_mov_b32 s13, exec_lo
	v_cmpx_ne_u32_e32 0x7f, v48
	s_cbranch_execz .LBB297_809
; %bb.806:                              ;   in Loop: Header=BB297_803 Depth=1
	v_and_b32_e32 v0, 7, v11
	v_lshrrev_b32_e32 v33, 3, v48
	s_mov_b32 s15, exec_lo
	v_cmpx_gt_u32_e32 8, v48
; %bb.807:                              ;   in Loop: Header=BB297_803 Depth=1
	v_ffbh_u32_e32 v0, v0
	v_min_u32_e32 v0, 32, v0
	v_subrev_nc_u32_e32 v13, 28, v0
	v_sub_nc_u32_e32 v33, 29, v0
	v_lshlrev_b64 v[65:66], v13, v[11:12]
	v_and_b32_e32 v0, 7, v65
; %bb.808:                              ;   in Loop: Header=BB297_803 Depth=1
	s_or_b32 exec_lo, exec_lo, s15
	v_lshlrev_b32_e32 v13, 8, v11
	v_lshl_add_u32 v33, v33, 10, 0x2000
	v_lshlrev_b32_e32 v0, 7, v0
	v_and_b32_e32 v13, 0x8000, v13
	v_and_b32_e32 v33, 0xfc00, v33
	v_or3_b32 v55, v13, v33, v0
.LBB297_809:                            ;   in Loop: Header=BB297_803 Depth=1
	s_or_b32 exec_lo, exec_lo, s13
.LBB297_810:                            ;   in Loop: Header=BB297_803 Depth=1
	s_or_b32 exec_lo, exec_lo, s12
.LBB297_811:                            ;   in Loop: Header=BB297_803 Depth=1
	s_or_b32 exec_lo, exec_lo, s4
	v_lshrrev_b16 v0, 8, v11
	v_mov_b32_e32 v48, 0
	v_mov_b32_e32 v65, 0
	s_mov_b32 s4, exec_lo
	v_cmpx_ne_u16_e32 0, v0
	s_cbranch_execz .LBB297_819
; %bb.812:                              ;   in Loop: Header=BB297_803 Depth=1
	v_bfrev_b32_e32 v65, 1
	s_mov_b32 s12, exec_lo
	v_cmpx_ne_u16_e32 0x80, v0
	s_cbranch_execz .LBB297_818
; %bb.813:                              ;   in Loop: Header=BB297_803 Depth=1
	v_and_b32_sdwa v66, v0, v17 dst_sel:DWORD dst_unused:UNUSED_PAD src0_sel:WORD_0 src1_sel:DWORD
	v_mov_b32_e32 v65, 0x7c010000
	s_mov_b32 s13, exec_lo
	v_cmpx_ne_u32_e32 0x7f, v66
	s_cbranch_execz .LBB297_817
; %bb.814:                              ;   in Loop: Header=BB297_803 Depth=1
	v_and_b32_sdwa v33, v0, v38 dst_sel:DWORD dst_unused:UNUSED_PAD src0_sel:WORD_0 src1_sel:DWORD
	v_lshrrev_b32_e32 v65, 3, v66
	s_mov_b32 s15, exec_lo
	v_cmpx_gt_u32_e32 8, v66
; %bb.815:                              ;   in Loop: Header=BB297_803 Depth=1
	v_ffbh_u32_e32 v13, v33
	v_min_u32_e32 v13, 32, v13
	v_subrev_nc_u32_e32 v33, 28, v13
	v_sub_nc_u32_e32 v65, 29, v13
	v_lshlrev_b64 v[66:67], v33, v[0:1]
	v_and_b32_e32 v33, 7, v66
; %bb.816:                              ;   in Loop: Header=BB297_803 Depth=1
	s_or_b32 exec_lo, exec_lo, s15
	v_lshlrev_b32_sdwa v0, v39, v0 dst_sel:DWORD dst_unused:UNUSED_PAD src0_sel:DWORD src1_sel:WORD_0
	v_lshl_add_u32 v13, v65, 10, 0x2000
	v_and_or_b32 v0, 0x8000, v0, v13
	v_lshlrev_b32_e32 v13, 23, v33
	v_lshl_or_b32 v65, v0, 16, v13
.LBB297_817:                            ;   in Loop: Header=BB297_803 Depth=1
	s_or_b32 exec_lo, exec_lo, s13
.LBB297_818:                            ;   in Loop: Header=BB297_803 Depth=1
	s_or_b32 exec_lo, exec_lo, s12
.LBB297_819:                            ;   in Loop: Header=BB297_803 Depth=1
	s_or_b32 exec_lo, exec_lo, s4
	v_lshrrev_b32_e32 v0, 16, v11
	v_cmp_ne_u16_sdwa s12, v0, v1 src0_sel:BYTE_0 src1_sel:DWORD
	s_and_saveexec_b32 s4, s12
	s_cbranch_execz .LBB297_827
; %bb.820:                              ;   in Loop: Header=BB297_803 Depth=1
	v_cmp_ne_u16_sdwa s13, v0, v16 src0_sel:BYTE_0 src1_sel:DWORD
	v_mov_b32_e32 v48, 0x8000
	s_and_saveexec_b32 s12, s13
	s_cbranch_execz .LBB297_826
; %bb.821:                              ;   in Loop: Header=BB297_803 Depth=1
	v_bfe_u32 v66, v11, 16, 7
	v_mov_b32_e32 v48, 0x7c01
	s_mov_b32 s13, exec_lo
	v_cmpx_ne_u32_e32 0x7f, v66
	s_cbranch_execz .LBB297_825
; %bb.822:                              ;   in Loop: Header=BB297_803 Depth=1
	v_and_b32_e32 v33, 7, v0
	v_lshrrev_b32_e32 v48, 3, v66
	s_mov_b32 s15, exec_lo
	v_cmpx_gt_u32_e32 8, v66
; %bb.823:                              ;   in Loop: Header=BB297_803 Depth=1
	v_ffbh_u32_e32 v13, v33
	v_min_u32_e32 v13, 32, v13
	v_subrev_nc_u32_e32 v33, 28, v13
	v_sub_nc_u32_e32 v48, 29, v13
	v_lshlrev_b64 v[66:67], v33, v[0:1]
	v_and_b32_e32 v33, 7, v66
; %bb.824:                              ;   in Loop: Header=BB297_803 Depth=1
	s_or_b32 exec_lo, exec_lo, s15
	v_lshlrev_b32_e32 v0, 8, v0
	v_lshl_add_u32 v13, v48, 10, 0x2000
	v_lshlrev_b32_e32 v33, 7, v33
	v_and_b32_e32 v0, 0x8000, v0
	v_and_b32_e32 v13, 0xfc00, v13
	v_or3_b32 v48, v0, v13, v33
.LBB297_825:                            ;   in Loop: Header=BB297_803 Depth=1
	s_or_b32 exec_lo, exec_lo, s13
.LBB297_826:                            ;   in Loop: Header=BB297_803 Depth=1
	s_or_b32 exec_lo, exec_lo, s12
.LBB297_827:                            ;   in Loop: Header=BB297_803 Depth=1
	s_or_b32 exec_lo, exec_lo, s4
	v_mov_b32_e32 v33, 0
	v_mov_b32_e32 v66, 0
	s_mov_b32 s4, exec_lo
	v_cmpx_lt_u32_e32 0xffffff, v11
	s_cbranch_execz .LBB297_835
; %bb.828:                              ;   in Loop: Header=BB297_803 Depth=1
	v_lshrrev_b32_e32 v0, 24, v11
	v_bfrev_b32_e32 v66, 1
	s_mov_b32 s12, exec_lo
	v_cmpx_ne_u32_e32 0x80, v0
	s_cbranch_execz .LBB297_834
; %bb.829:                              ;   in Loop: Header=BB297_803 Depth=1
	v_and_b32_e32 v68, 0x7f, v0
	v_mov_b32_e32 v66, 0x7c010000
	s_mov_b32 s13, exec_lo
	v_cmpx_ne_u32_e32 0x7f, v68
	s_cbranch_execz .LBB297_833
; %bb.830:                              ;   in Loop: Header=BB297_803 Depth=1
	v_and_b32_e32 v66, 7, v0
	v_lshrrev_b32_e32 v67, 3, v68
	s_mov_b32 s15, exec_lo
	v_cmpx_gt_u32_e32 8, v68
; %bb.831:                              ;   in Loop: Header=BB297_803 Depth=1
	v_ffbh_u32_e32 v13, v66
	v_min_u32_e32 v13, 32, v13
	v_subrev_nc_u32_e32 v66, 28, v13
	v_lshlrev_b64 v[66:67], v66, v[0:1]
	v_sub_nc_u32_e32 v67, 29, v13
	v_and_b32_e32 v66, 7, v66
; %bb.832:                              ;   in Loop: Header=BB297_803 Depth=1
	s_or_b32 exec_lo, exec_lo, s15
	v_lshlrev_b32_e32 v0, 8, v0
	v_lshl_add_u32 v13, v67, 10, 0x2000
	v_and_or_b32 v0, 0x8000, v0, v13
	v_lshlrev_b32_e32 v13, 23, v66
	v_lshl_or_b32 v66, v0, 16, v13
.LBB297_833:                            ;   in Loop: Header=BB297_803 Depth=1
	s_or_b32 exec_lo, exec_lo, s13
.LBB297_834:                            ;   in Loop: Header=BB297_803 Depth=1
	s_or_b32 exec_lo, exec_lo, s12
.LBB297_835:                            ;   in Loop: Header=BB297_803 Depth=1
	s_or_b32 exec_lo, exec_lo, s4
	v_mov_b32_e32 v0, v12
	v_cmp_ne_u16_sdwa s12, v12, v1 src0_sel:BYTE_0 src1_sel:DWORD
	s_and_saveexec_b32 s4, s12
	s_cbranch_execz .LBB297_843
; %bb.836:                              ;   in Loop: Header=BB297_803 Depth=1
	v_cmp_ne_u16_sdwa s13, v12, v16 src0_sel:BYTE_0 src1_sel:DWORD
	v_mov_b32_e32 v33, 0x8000
	s_and_saveexec_b32 s12, s13
	s_cbranch_execz .LBB297_842
; %bb.837:                              ;   in Loop: Header=BB297_803 Depth=1
	v_and_b32_e32 v68, 0x7f, v12
	v_mov_b32_e32 v33, 0x7c01
	s_mov_b32 s13, exec_lo
	v_cmpx_ne_u32_e32 0x7f, v68
	s_cbranch_execz .LBB297_841
; %bb.838:                              ;   in Loop: Header=BB297_803 Depth=1
	v_and_b32_e32 v33, 7, v12
	v_lshrrev_b32_e32 v67, 3, v68
	s_mov_b32 s15, exec_lo
	v_cmpx_gt_u32_e32 8, v68
; %bb.839:                              ;   in Loop: Header=BB297_803 Depth=1
	v_ffbh_u32_e32 v13, v33
	v_min_u32_e32 v13, 32, v13
	v_subrev_nc_u32_e32 v33, 28, v13
	v_sub_nc_u32_e32 v67, 29, v13
	v_lshlrev_b64 v[68:69], v33, v[0:1]
	v_and_b32_e32 v33, 7, v68
; %bb.840:                              ;   in Loop: Header=BB297_803 Depth=1
	s_or_b32 exec_lo, exec_lo, s15
	v_lshlrev_b32_e32 v13, 8, v12
	v_lshl_add_u32 v67, v67, 10, 0x2000
	v_lshlrev_b32_e32 v33, 7, v33
	v_and_b32_e32 v13, 0x8000, v13
	v_and_b32_e32 v67, 0xfc00, v67
	v_or3_b32 v33, v13, v67, v33
.LBB297_841:                            ;   in Loop: Header=BB297_803 Depth=1
	s_or_b32 exec_lo, exec_lo, s13
.LBB297_842:                            ;   in Loop: Header=BB297_803 Depth=1
	s_or_b32 exec_lo, exec_lo, s12
.LBB297_843:                            ;   in Loop: Header=BB297_803 Depth=1
	s_or_b32 exec_lo, exec_lo, s4
	v_lshrrev_b16 v0, 8, v0
	v_mov_b32_e32 v68, 0
	v_mov_b32_e32 v67, 0
	s_mov_b32 s4, exec_lo
	v_cmpx_ne_u16_e32 0, v0
	s_cbranch_execz .LBB297_851
; %bb.844:                              ;   in Loop: Header=BB297_803 Depth=1
	v_bfrev_b32_e32 v67, 1
	s_mov_b32 s12, exec_lo
	v_cmpx_ne_u16_e32 0x80, v0
	s_cbranch_execz .LBB297_850
; %bb.845:                              ;   in Loop: Header=BB297_803 Depth=1
	v_and_b32_sdwa v70, v0, v17 dst_sel:DWORD dst_unused:UNUSED_PAD src0_sel:WORD_0 src1_sel:DWORD
	v_mov_b32_e32 v67, 0x7c010000
	s_mov_b32 s13, exec_lo
	v_cmpx_ne_u32_e32 0x7f, v70
	s_cbranch_execz .LBB297_849
; %bb.846:                              ;   in Loop: Header=BB297_803 Depth=1
	v_and_b32_sdwa v67, v0, v38 dst_sel:DWORD dst_unused:UNUSED_PAD src0_sel:WORD_0 src1_sel:DWORD
	v_lshrrev_b32_e32 v69, 3, v70
	s_mov_b32 s15, exec_lo
	v_cmpx_gt_u32_e32 8, v70
; %bb.847:                              ;   in Loop: Header=BB297_803 Depth=1
	v_ffbh_u32_e32 v13, v67
	v_min_u32_e32 v13, 32, v13
	v_subrev_nc_u32_e32 v67, 28, v13
	v_sub_nc_u32_e32 v69, 29, v13
	v_lshlrev_b64 v[70:71], v67, v[0:1]
	v_and_b32_e32 v67, 7, v70
; %bb.848:                              ;   in Loop: Header=BB297_803 Depth=1
	s_or_b32 exec_lo, exec_lo, s15
	v_lshlrev_b32_sdwa v0, v39, v0 dst_sel:DWORD dst_unused:UNUSED_PAD src0_sel:DWORD src1_sel:WORD_0
	v_lshl_add_u32 v13, v69, 10, 0x2000
	v_and_or_b32 v0, 0x8000, v0, v13
	v_lshlrev_b32_e32 v13, 23, v67
	v_lshl_or_b32 v67, v0, 16, v13
.LBB297_849:                            ;   in Loop: Header=BB297_803 Depth=1
	s_or_b32 exec_lo, exec_lo, s13
.LBB297_850:                            ;   in Loop: Header=BB297_803 Depth=1
	s_or_b32 exec_lo, exec_lo, s12
.LBB297_851:                            ;   in Loop: Header=BB297_803 Depth=1
	s_or_b32 exec_lo, exec_lo, s4
	v_lshrrev_b32_e32 v0, 16, v12
	v_cmp_ne_u16_sdwa s12, v0, v1 src0_sel:BYTE_0 src1_sel:DWORD
	s_and_saveexec_b32 s4, s12
	s_cbranch_execz .LBB297_859
; %bb.852:                              ;   in Loop: Header=BB297_803 Depth=1
	v_cmp_ne_u16_sdwa s13, v0, v16 src0_sel:BYTE_0 src1_sel:DWORD
	v_mov_b32_e32 v68, 0x8000
	s_and_saveexec_b32 s12, s13
	s_cbranch_execz .LBB297_858
; %bb.853:                              ;   in Loop: Header=BB297_803 Depth=1
	v_bfe_u32 v70, v12, 16, 7
	v_mov_b32_e32 v68, 0x7c01
	s_mov_b32 s13, exec_lo
	v_cmpx_ne_u32_e32 0x7f, v70
	s_cbranch_execz .LBB297_857
; %bb.854:                              ;   in Loop: Header=BB297_803 Depth=1
	v_and_b32_e32 v68, 7, v0
	v_lshrrev_b32_e32 v69, 3, v70
	s_mov_b32 s15, exec_lo
	v_cmpx_gt_u32_e32 8, v70
; %bb.855:                              ;   in Loop: Header=BB297_803 Depth=1
	v_ffbh_u32_e32 v13, v68
	v_min_u32_e32 v13, 32, v13
	v_subrev_nc_u32_e32 v68, 28, v13
	v_lshlrev_b64 v[68:69], v68, v[0:1]
	v_sub_nc_u32_e32 v69, 29, v13
	v_and_b32_e32 v68, 7, v68
; %bb.856:                              ;   in Loop: Header=BB297_803 Depth=1
	s_or_b32 exec_lo, exec_lo, s15
	v_lshlrev_b32_e32 v0, 8, v0
	v_lshl_add_u32 v13, v69, 10, 0x2000
	v_lshlrev_b32_e32 v68, 7, v68
	v_and_b32_e32 v0, 0x8000, v0
	v_and_b32_e32 v13, 0xfc00, v13
	v_or3_b32 v68, v0, v13, v68
.LBB297_857:                            ;   in Loop: Header=BB297_803 Depth=1
	s_or_b32 exec_lo, exec_lo, s13
.LBB297_858:                            ;   in Loop: Header=BB297_803 Depth=1
	s_or_b32 exec_lo, exec_lo, s12
.LBB297_859:                            ;   in Loop: Header=BB297_803 Depth=1
	s_or_b32 exec_lo, exec_lo, s4
	v_cmp_lt_u64_e32 vcc_lo, s[8:9], v[11:12]
	v_mov_b32_e32 v11, 0
	s_and_saveexec_b32 s4, vcc_lo
	s_cbranch_execz .LBB297_867
; %bb.860:                              ;   in Loop: Header=BB297_803 Depth=1
	v_lshrrev_b32_e32 v0, 24, v12
	v_bfrev_b32_e32 v11, 1
	s_mov_b32 s12, exec_lo
	v_cmpx_ne_u32_e32 0x80, v0
	s_cbranch_execz .LBB297_866
; %bb.861:                              ;   in Loop: Header=BB297_803 Depth=1
	v_and_b32_e32 v69, 0x7f, v0
	v_mov_b32_e32 v11, 0x7c010000
	s_mov_b32 s13, exec_lo
	v_cmpx_ne_u32_e32 0x7f, v69
	s_cbranch_execz .LBB297_865
; %bb.862:                              ;   in Loop: Header=BB297_803 Depth=1
	v_and_b32_e32 v11, 7, v0
	v_lshrrev_b32_e32 v12, 3, v69
	s_mov_b32 s15, exec_lo
	v_cmpx_gt_u32_e32 8, v69
; %bb.863:                              ;   in Loop: Header=BB297_803 Depth=1
	v_ffbh_u32_e32 v11, v11
	v_min_u32_e32 v13, 32, v11
	v_subrev_nc_u32_e32 v11, 28, v13
	v_lshlrev_b64 v[11:12], v11, v[0:1]
	v_sub_nc_u32_e32 v12, 29, v13
	v_and_b32_e32 v11, 7, v11
; %bb.864:                              ;   in Loop: Header=BB297_803 Depth=1
	s_or_b32 exec_lo, exec_lo, s15
	v_lshlrev_b32_e32 v0, 8, v0
	v_lshl_add_u32 v12, v12, 10, 0x2000
	v_lshlrev_b32_e32 v11, 23, v11
	v_and_or_b32 v0, 0x8000, v0, v12
	v_lshl_or_b32 v11, v0, 16, v11
.LBB297_865:                            ;   in Loop: Header=BB297_803 Depth=1
	s_or_b32 exec_lo, exec_lo, s13
.LBB297_866:                            ;   in Loop: Header=BB297_803 Depth=1
	s_or_b32 exec_lo, exec_lo, s12
.LBB297_867:                            ;   in Loop: Header=BB297_803 Depth=1
	s_or_b32 exec_lo, exec_lo, s4
	v_or_b32_e32 v0, v66, v48
	v_or_b32_e32 v13, v65, v55
	s_waitcnt vmcnt(0) lgkmcnt(0)
	v_fma_mixlo_f16 v55, v52, v65, 0 op_sel:[0,1,0] op_sel_hi:[0,1,0]
	v_or_b32_e32 v33, v67, v33
	v_or_b32_e32 v65, v11, v68
	v_fma_mixlo_f16 v0, v52, v0, 0 op_sel_hi:[0,1,0]
	v_fma_mixlo_f16 v12, v52, v66, 0 op_sel:[0,1,0] op_sel_hi:[0,1,0]
	v_fma_mixlo_f16 v11, v52, v11, 0 op_sel:[0,1,0] op_sel_hi:[0,1,0]
	v_fma_mixlo_f16 v33, v52, v33, 0 op_sel_hi:[0,1,0]
	v_lshlrev_b32_e32 v82, 16, v55
	v_and_b32_e32 v80, 0xffff, v0
	v_fma_mixlo_f16 v0, v52, v13, 0 op_sel_hi:[0,1,0]
	v_fma_mixlo_f16 v13, v52, v67, 0 op_sel:[0,1,0] op_sel_hi:[0,1,0]
	v_fma_mixlo_f16 v52, v52, v65, 0 op_sel_hi:[0,1,0]
	v_lshlrev_b32_e32 v12, 16, v12
	v_and_b32_e32 v83, 0xffff, v33
	v_and_b32_e32 v84, 0xffff, v0
	v_lshlrev_b32_e32 v67, 16, v13
	v_lshlrev_b32_e32 v66, 16, v11
	v_and_b32_e32 v81, 0xffff, v52
	v_add_nc_u32_e32 v48, -7, v14
	v_cmp_eq_u32_e32 vcc_lo, v23, v6
	v_or_b32_e32 v0, v12, v80
	v_or_b32_e32 v11, v82, v84
	;; [unrolled: 1-line block ×4, first 2 shown]
	v_add_nc_u32_e32 v71, -6, v14
	v_add_nc_u32_e32 v70, -5, v14
	;; [unrolled: 1-line block ×6, first 2 shown]
	s_and_saveexec_b32 s12, vcc_lo
	s_cbranch_execz .LBB297_869
; %bb.868:                              ;   in Loop: Header=BB297_803 Depth=1
	v_cmp_lt_i32_e64 s4, v48, v35
	v_cndmask_b32_e64 v0, 0, v84, s4
	v_cmp_lt_i32_e64 s4, v71, v35
	v_cndmask_b32_e64 v11, 0, v82, s4
	v_cmp_lt_i32_e64 s4, v70, v35
	v_or_b32_e32 v11, v0, v11
	v_cndmask_b32_e64 v13, 0, v80, s4
	v_cmp_lt_i32_e64 s4, v68, v35
	v_cndmask_b32_e64 v12, 0, v12, s4
	v_cmp_lt_i32_e64 s4, v65, v35
	v_or_b32_e32 v0, v13, v12
	;; [unrolled: 5-line block ×3, first 2 shown]
	v_cndmask_b32_e64 v69, 0, v81, s4
	v_cmp_lt_i32_e64 s4, v14, v35
	v_cndmask_b32_e64 v66, 0, v66, s4
	v_or_b32_e32 v69, v69, v66
.LBB297_869:                            ;   in Loop: Header=BB297_803 Depth=1
	s_or_b32 exec_lo, exec_lo, s12
	v_and_b32_e32 v4, 0xffff, v4
	v_and_b32_e32 v12, 0xffff, v53
	;; [unrolled: 1-line block ×4, first 2 shown]
	v_lshl_or_b32 v67, v5, 16, v4
	v_lshl_or_b32 v64, v32, 16, v12
	;;#ASMSTART
	v_pk_mul_f16 v4, v67, v11;

	;;#ASMEND
	;;#ASMSTART
	v_pk_mul_f16 v0, v64, v0;

	;;#ASMEND
	v_lshl_or_b32 v54, v34, 16, v13
	v_lshl_or_b32 v53, v36, 16, v53
	;;#ASMSTART
	v_pk_mul_f16 v5, v54, v33;

	;;#ASMEND
	;;#ASMSTART
	v_pk_mul_f16 v11, v53, v69;

	;;#ASMEND
	;;#ASMSTART
	v_pk_add_f16 v0, v4, v0;

	;;#ASMEND
	;;#ASMSTART
	v_pk_add_f16 v0, v0, v5;
	;; [unrolled: 4-line block ×3, first 2 shown]

	;;#ASMEND
	v_and_b32_e32 v4, 0xffff, v0
	v_lshrrev_b32_e32 v0, 16, v0
	;;#ASMSTART
	v_cvt_f32_f16 v66, v4;
	;;#ASMEND
	;;#ASMSTART
	v_cvt_f32_f16 v69, v0;
	;;#ASMEND
	flat_load_dwordx2 v[11:12], v[9:10] offset:256
	flat_load_dword v4, v[26:27]
	v_mov_b32_e32 v5, 0
	v_mov_b32_e32 v32, 0
	s_waitcnt vmcnt(1) lgkmcnt(1)
	v_cmp_ne_u16_sdwa s4, v11, v1 src0_sel:BYTE_0 src1_sel:DWORD
	s_and_saveexec_b32 s12, s4
	s_cbranch_execz .LBB297_877
; %bb.870:                              ;   in Loop: Header=BB297_803 Depth=1
	v_cmp_ne_u16_sdwa s4, v11, v16 src0_sel:BYTE_0 src1_sel:DWORD
	v_mov_b32_e32 v32, 0x8000
	s_and_saveexec_b32 s13, s4
	s_cbranch_execz .LBB297_876
; %bb.871:                              ;   in Loop: Header=BB297_803 Depth=1
	v_and_b32_e32 v33, 0x7f, v11
	v_mov_b32_e32 v32, 0x7c01
	s_mov_b32 s15, exec_lo
	v_cmpx_ne_u32_e32 0x7f, v33
	s_cbranch_execz .LBB297_875
; %bb.872:                              ;   in Loop: Header=BB297_803 Depth=1
	v_and_b32_e32 v0, 7, v11
	v_lshrrev_b32_e32 v32, 3, v33
	s_mov_b32 s18, exec_lo
	v_cmpx_gt_u32_e32 8, v33
; %bb.873:                              ;   in Loop: Header=BB297_803 Depth=1
	v_ffbh_u32_e32 v0, v0
	v_min_u32_e32 v0, 32, v0
	v_subrev_nc_u32_e32 v13, 28, v0
	v_sub_nc_u32_e32 v32, 29, v0
	v_lshlrev_b64 v[33:34], v13, v[11:12]
	v_and_b32_e32 v0, 7, v33
; %bb.874:                              ;   in Loop: Header=BB297_803 Depth=1
	s_or_b32 exec_lo, exec_lo, s18
	v_lshlrev_b32_e32 v13, 8, v11
	v_lshl_add_u32 v32, v32, 10, 0x2000
	v_lshlrev_b32_e32 v0, 7, v0
	v_and_b32_e32 v13, 0x8000, v13
	v_and_b32_e32 v32, 0xfc00, v32
	v_or3_b32 v32, v13, v32, v0
.LBB297_875:                            ;   in Loop: Header=BB297_803 Depth=1
	s_or_b32 exec_lo, exec_lo, s15
.LBB297_876:                            ;   in Loop: Header=BB297_803 Depth=1
	s_or_b32 exec_lo, exec_lo, s13
.LBB297_877:                            ;   in Loop: Header=BB297_803 Depth=1
	s_or_b32 exec_lo, exec_lo, s12
	v_lshrrev_b16 v0, 8, v11
	s_mov_b32 s12, exec_lo
	v_cmpx_ne_u16_e32 0, v0
	s_cbranch_execz .LBB297_885
; %bb.878:                              ;   in Loop: Header=BB297_803 Depth=1
	v_bfrev_b32_e32 v5, 1
	s_mov_b32 s13, exec_lo
	v_cmpx_ne_u16_e32 0x80, v0
	s_cbranch_execz .LBB297_884
; %bb.879:                              ;   in Loop: Header=BB297_803 Depth=1
	v_and_b32_sdwa v34, v0, v17 dst_sel:DWORD dst_unused:UNUSED_PAD src0_sel:WORD_0 src1_sel:DWORD
	v_mov_b32_e32 v5, 0x7c010000
	s_mov_b32 s15, exec_lo
	v_cmpx_ne_u32_e32 0x7f, v34
	s_cbranch_execz .LBB297_883
; %bb.880:                              ;   in Loop: Header=BB297_803 Depth=1
	v_and_b32_sdwa v5, v0, v38 dst_sel:DWORD dst_unused:UNUSED_PAD src0_sel:WORD_0 src1_sel:DWORD
	v_lshrrev_b32_e32 v33, 3, v34
	s_mov_b32 s18, exec_lo
	v_cmpx_gt_u32_e32 8, v34
; %bb.881:                              ;   in Loop: Header=BB297_803 Depth=1
	v_ffbh_u32_e32 v5, v5
	v_min_u32_e32 v5, 32, v5
	v_subrev_nc_u32_e32 v13, 28, v5
	v_sub_nc_u32_e32 v33, 29, v5
	v_lshlrev_b64 v[80:81], v13, v[0:1]
	v_and_b32_e32 v5, 7, v80
; %bb.882:                              ;   in Loop: Header=BB297_803 Depth=1
	s_or_b32 exec_lo, exec_lo, s18
	v_lshlrev_b32_sdwa v0, v39, v0 dst_sel:DWORD dst_unused:UNUSED_PAD src0_sel:DWORD src1_sel:WORD_0
	v_lshl_add_u32 v13, v33, 10, 0x2000
	v_lshlrev_b32_e32 v5, 23, v5
	v_and_or_b32 v0, 0x8000, v0, v13
	v_lshl_or_b32 v5, v0, 16, v5
.LBB297_883:                            ;   in Loop: Header=BB297_803 Depth=1
	s_or_b32 exec_lo, exec_lo, s15
.LBB297_884:                            ;   in Loop: Header=BB297_803 Depth=1
	s_or_b32 exec_lo, exec_lo, s13
.LBB297_885:                            ;   in Loop: Header=BB297_803 Depth=1
	s_or_b32 exec_lo, exec_lo, s12
	v_lshrrev_b32_e32 v0, 16, v11
	v_mov_b32_e32 v34, 0
	v_mov_b32_e32 v36, 0
	v_cmp_ne_u16_sdwa s4, v0, v1 src0_sel:BYTE_0 src1_sel:DWORD
	s_and_saveexec_b32 s12, s4
	s_cbranch_execz .LBB297_893
; %bb.886:                              ;   in Loop: Header=BB297_803 Depth=1
	v_cmp_ne_u16_sdwa s4, v0, v16 src0_sel:BYTE_0 src1_sel:DWORD
	v_mov_b32_e32 v36, 0x8000
	s_and_saveexec_b32 s13, s4
	s_cbranch_execz .LBB297_892
; %bb.887:                              ;   in Loop: Header=BB297_803 Depth=1
	v_bfe_u32 v80, v11, 16, 7
	v_mov_b32_e32 v36, 0x7c01
	s_mov_b32 s15, exec_lo
	v_cmpx_ne_u32_e32 0x7f, v80
	s_cbranch_execz .LBB297_891
; %bb.888:                              ;   in Loop: Header=BB297_803 Depth=1
	v_and_b32_e32 v33, 7, v0
	v_lshrrev_b32_e32 v36, 3, v80
	s_mov_b32 s18, exec_lo
	v_cmpx_gt_u32_e32 8, v80
; %bb.889:                              ;   in Loop: Header=BB297_803 Depth=1
	v_ffbh_u32_e32 v13, v33
	v_min_u32_e32 v13, 32, v13
	v_subrev_nc_u32_e32 v33, 28, v13
	v_sub_nc_u32_e32 v36, 29, v13
	v_lshlrev_b64 v[80:81], v33, v[0:1]
	v_and_b32_e32 v33, 7, v80
; %bb.890:                              ;   in Loop: Header=BB297_803 Depth=1
	s_or_b32 exec_lo, exec_lo, s18
	v_lshlrev_b32_e32 v0, 8, v0
	v_lshl_add_u32 v13, v36, 10, 0x2000
	v_lshlrev_b32_e32 v33, 7, v33
	v_and_b32_e32 v0, 0x8000, v0
	v_and_b32_e32 v13, 0xfc00, v13
	v_or3_b32 v36, v0, v13, v33
.LBB297_891:                            ;   in Loop: Header=BB297_803 Depth=1
	s_or_b32 exec_lo, exec_lo, s15
.LBB297_892:                            ;   in Loop: Header=BB297_803 Depth=1
	s_or_b32 exec_lo, exec_lo, s13
.LBB297_893:                            ;   in Loop: Header=BB297_803 Depth=1
	s_or_b32 exec_lo, exec_lo, s12
	s_mov_b32 s12, exec_lo
	v_cmpx_lt_u32_e32 0xffffff, v11
	s_cbranch_execz .LBB297_901
; %bb.894:                              ;   in Loop: Header=BB297_803 Depth=1
	v_lshrrev_b32_e32 v0, 24, v11
	v_bfrev_b32_e32 v34, 1
	s_mov_b32 s13, exec_lo
	v_cmpx_ne_u32_e32 0x80, v0
	s_cbranch_execz .LBB297_900
; %bb.895:                              ;   in Loop: Header=BB297_803 Depth=1
	v_and_b32_e32 v80, 0x7f, v0
	v_mov_b32_e32 v34, 0x7c010000
	s_mov_b32 s15, exec_lo
	v_cmpx_ne_u32_e32 0x7f, v80
	s_cbranch_execz .LBB297_899
; %bb.896:                              ;   in Loop: Header=BB297_803 Depth=1
	v_and_b32_e32 v33, 7, v0
	v_lshrrev_b32_e32 v34, 3, v80
	s_mov_b32 s18, exec_lo
	v_cmpx_gt_u32_e32 8, v80
; %bb.897:                              ;   in Loop: Header=BB297_803 Depth=1
	v_ffbh_u32_e32 v13, v33
	v_min_u32_e32 v13, 32, v13
	v_subrev_nc_u32_e32 v33, 28, v13
	v_lshlrev_b64 v[33:34], v33, v[0:1]
	v_sub_nc_u32_e32 v34, 29, v13
	v_and_b32_e32 v33, 7, v33
; %bb.898:                              ;   in Loop: Header=BB297_803 Depth=1
	s_or_b32 exec_lo, exec_lo, s18
	v_lshlrev_b32_e32 v0, 8, v0
	v_lshl_add_u32 v13, v34, 10, 0x2000
	v_and_or_b32 v0, 0x8000, v0, v13
	v_lshlrev_b32_e32 v13, 23, v33
	v_lshl_or_b32 v34, v0, 16, v13
.LBB297_899:                            ;   in Loop: Header=BB297_803 Depth=1
	s_or_b32 exec_lo, exec_lo, s15
.LBB297_900:                            ;   in Loop: Header=BB297_803 Depth=1
	s_or_b32 exec_lo, exec_lo, s13
.LBB297_901:                            ;   in Loop: Header=BB297_803 Depth=1
	s_or_b32 exec_lo, exec_lo, s12
	v_mov_b32_e32 v0, v12
	v_cmp_ne_u16_sdwa s4, v12, v1 src0_sel:BYTE_0 src1_sel:DWORD
	v_mov_b32_e32 v33, 0
	v_mov_b32_e32 v80, 0
	s_and_saveexec_b32 s12, s4
	s_cbranch_execz .LBB297_909
; %bb.902:                              ;   in Loop: Header=BB297_803 Depth=1
	v_cmp_ne_u16_sdwa s4, v12, v16 src0_sel:BYTE_0 src1_sel:DWORD
	v_mov_b32_e32 v80, 0x8000
	s_and_saveexec_b32 s13, s4
	s_cbranch_execz .LBB297_908
; %bb.903:                              ;   in Loop: Header=BB297_803 Depth=1
	v_and_b32_e32 v82, 0x7f, v12
	v_mov_b32_e32 v80, 0x7c01
	s_mov_b32 s15, exec_lo
	v_cmpx_ne_u32_e32 0x7f, v82
	s_cbranch_execz .LBB297_907
; %bb.904:                              ;   in Loop: Header=BB297_803 Depth=1
	v_and_b32_e32 v80, 7, v12
	v_lshrrev_b32_e32 v81, 3, v82
	s_mov_b32 s18, exec_lo
	v_cmpx_gt_u32_e32 8, v82
; %bb.905:                              ;   in Loop: Header=BB297_803 Depth=1
	v_ffbh_u32_e32 v13, v80
	v_min_u32_e32 v13, 32, v13
	v_subrev_nc_u32_e32 v80, 28, v13
	v_lshlrev_b64 v[80:81], v80, v[0:1]
	v_sub_nc_u32_e32 v81, 29, v13
	v_and_b32_e32 v80, 7, v80
; %bb.906:                              ;   in Loop: Header=BB297_803 Depth=1
	s_or_b32 exec_lo, exec_lo, s18
	v_lshlrev_b32_e32 v13, 8, v12
	v_lshl_add_u32 v81, v81, 10, 0x2000
	v_lshlrev_b32_e32 v80, 7, v80
	v_and_b32_e32 v13, 0x8000, v13
	v_and_b32_e32 v81, 0xfc00, v81
	v_or3_b32 v80, v13, v81, v80
.LBB297_907:                            ;   in Loop: Header=BB297_803 Depth=1
	s_or_b32 exec_lo, exec_lo, s15
.LBB297_908:                            ;   in Loop: Header=BB297_803 Depth=1
	s_or_b32 exec_lo, exec_lo, s13
.LBB297_909:                            ;   in Loop: Header=BB297_803 Depth=1
	s_or_b32 exec_lo, exec_lo, s12
	v_lshrrev_b16 v0, 8, v0
	v_mov_b32_e32 v81, 0
	s_mov_b32 s12, exec_lo
	v_cmpx_ne_u16_e32 0, v0
	s_cbranch_execz .LBB297_917
; %bb.910:                              ;   in Loop: Header=BB297_803 Depth=1
	v_bfrev_b32_e32 v81, 1
	s_mov_b32 s13, exec_lo
	v_cmpx_ne_u16_e32 0x80, v0
	s_cbranch_execz .LBB297_916
; %bb.911:                              ;   in Loop: Header=BB297_803 Depth=1
	v_and_b32_sdwa v83, v0, v17 dst_sel:DWORD dst_unused:UNUSED_PAD src0_sel:WORD_0 src1_sel:DWORD
	v_mov_b32_e32 v81, 0x7c010000
	s_mov_b32 s15, exec_lo
	v_cmpx_ne_u32_e32 0x7f, v83
	s_cbranch_execz .LBB297_915
; %bb.912:                              ;   in Loop: Header=BB297_803 Depth=1
	v_and_b32_sdwa v81, v0, v38 dst_sel:DWORD dst_unused:UNUSED_PAD src0_sel:WORD_0 src1_sel:DWORD
	v_lshrrev_b32_e32 v82, 3, v83
	s_mov_b32 s18, exec_lo
	v_cmpx_gt_u32_e32 8, v83
; %bb.913:                              ;   in Loop: Header=BB297_803 Depth=1
	v_ffbh_u32_e32 v13, v81
	v_min_u32_e32 v13, 32, v13
	v_subrev_nc_u32_e32 v81, 28, v13
	v_lshlrev_b64 v[81:82], v81, v[0:1]
	v_sub_nc_u32_e32 v82, 29, v13
	v_and_b32_e32 v81, 7, v81
; %bb.914:                              ;   in Loop: Header=BB297_803 Depth=1
	s_or_b32 exec_lo, exec_lo, s18
	v_lshlrev_b32_sdwa v0, v39, v0 dst_sel:DWORD dst_unused:UNUSED_PAD src0_sel:DWORD src1_sel:WORD_0
	v_lshl_add_u32 v13, v82, 10, 0x2000
	v_and_or_b32 v0, 0x8000, v0, v13
	v_lshlrev_b32_e32 v13, 23, v81
	v_lshl_or_b32 v81, v0, 16, v13
.LBB297_915:                            ;   in Loop: Header=BB297_803 Depth=1
	s_or_b32 exec_lo, exec_lo, s15
.LBB297_916:                            ;   in Loop: Header=BB297_803 Depth=1
	s_or_b32 exec_lo, exec_lo, s13
.LBB297_917:                            ;   in Loop: Header=BB297_803 Depth=1
	s_or_b32 exec_lo, exec_lo, s12
	v_lshrrev_b32_e32 v0, 16, v12
	v_cmp_ne_u16_sdwa s4, v0, v1 src0_sel:BYTE_0 src1_sel:DWORD
	s_and_saveexec_b32 s12, s4
	s_cbranch_execz .LBB297_925
; %bb.918:                              ;   in Loop: Header=BB297_803 Depth=1
	v_cmp_ne_u16_sdwa s4, v0, v16 src0_sel:BYTE_0 src1_sel:DWORD
	v_mov_b32_e32 v33, 0x8000
	s_and_saveexec_b32 s13, s4
	s_cbranch_execz .LBB297_924
; %bb.919:                              ;   in Loop: Header=BB297_803 Depth=1
	v_bfe_u32 v83, v12, 16, 7
	v_mov_b32_e32 v33, 0x7c01
	s_mov_b32 s15, exec_lo
	v_cmpx_ne_u32_e32 0x7f, v83
	s_cbranch_execz .LBB297_923
; %bb.920:                              ;   in Loop: Header=BB297_803 Depth=1
	v_and_b32_e32 v33, 7, v0
	v_lshrrev_b32_e32 v82, 3, v83
	s_mov_b32 s18, exec_lo
	v_cmpx_gt_u32_e32 8, v83
; %bb.921:                              ;   in Loop: Header=BB297_803 Depth=1
	v_ffbh_u32_e32 v13, v33
	v_min_u32_e32 v13, 32, v13
	v_subrev_nc_u32_e32 v33, 28, v13
	v_sub_nc_u32_e32 v82, 29, v13
	v_lshlrev_b64 v[83:84], v33, v[0:1]
	v_and_b32_e32 v33, 7, v83
; %bb.922:                              ;   in Loop: Header=BB297_803 Depth=1
	s_or_b32 exec_lo, exec_lo, s18
	v_lshlrev_b32_e32 v0, 8, v0
	v_lshl_add_u32 v13, v82, 10, 0x2000
	v_lshlrev_b32_e32 v33, 7, v33
	v_and_b32_e32 v0, 0x8000, v0
	v_and_b32_e32 v13, 0xfc00, v13
	v_or3_b32 v33, v0, v13, v33
.LBB297_923:                            ;   in Loop: Header=BB297_803 Depth=1
	s_or_b32 exec_lo, exec_lo, s15
.LBB297_924:                            ;   in Loop: Header=BB297_803 Depth=1
	s_or_b32 exec_lo, exec_lo, s13
.LBB297_925:                            ;   in Loop: Header=BB297_803 Depth=1
	s_or_b32 exec_lo, exec_lo, s12
	v_cmp_lt_u64_e64 s4, s[8:9], v[11:12]
	v_mov_b32_e32 v11, 0
	s_and_saveexec_b32 s12, s4
	s_cbranch_execz .LBB297_933
; %bb.926:                              ;   in Loop: Header=BB297_803 Depth=1
	v_lshrrev_b32_e32 v0, 24, v12
	v_bfrev_b32_e32 v11, 1
	s_mov_b32 s13, exec_lo
	v_cmpx_ne_u32_e32 0x80, v0
	s_cbranch_execz .LBB297_932
; %bb.927:                              ;   in Loop: Header=BB297_803 Depth=1
	v_and_b32_e32 v82, 0x7f, v0
	v_mov_b32_e32 v11, 0x7c010000
	s_mov_b32 s15, exec_lo
	v_cmpx_ne_u32_e32 0x7f, v82
	s_cbranch_execz .LBB297_931
; %bb.928:                              ;   in Loop: Header=BB297_803 Depth=1
	v_and_b32_e32 v11, 7, v0
	v_lshrrev_b32_e32 v12, 3, v82
	s_mov_b32 s18, exec_lo
	v_cmpx_gt_u32_e32 8, v82
; %bb.929:                              ;   in Loop: Header=BB297_803 Depth=1
	v_ffbh_u32_e32 v11, v11
	v_min_u32_e32 v13, 32, v11
	v_subrev_nc_u32_e32 v11, 28, v13
	v_lshlrev_b64 v[11:12], v11, v[0:1]
	v_sub_nc_u32_e32 v12, 29, v13
	v_and_b32_e32 v11, 7, v11
; %bb.930:                              ;   in Loop: Header=BB297_803 Depth=1
	s_or_b32 exec_lo, exec_lo, s18
	v_lshlrev_b32_e32 v0, 8, v0
	v_lshl_add_u32 v12, v12, 10, 0x2000
	v_lshlrev_b32_e32 v11, 23, v11
	v_and_or_b32 v0, 0x8000, v0, v12
	v_lshl_or_b32 v11, v0, 16, v11
.LBB297_931:                            ;   in Loop: Header=BB297_803 Depth=1
	s_or_b32 exec_lo, exec_lo, s15
.LBB297_932:                            ;   in Loop: Header=BB297_803 Depth=1
	s_or_b32 exec_lo, exec_lo, s13
.LBB297_933:                            ;   in Loop: Header=BB297_803 Depth=1
	s_or_b32 exec_lo, exec_lo, s12
	v_or_b32_e32 v0, v34, v36
	s_waitcnt vmcnt(0) lgkmcnt(0)
	v_fma_mixlo_f16 v12, v4, v34, 0 op_sel:[0,1,0] op_sel_hi:[0,1,0]
	v_or_b32_e32 v13, v5, v32
	v_fma_mixlo_f16 v5, v4, v5, 0 op_sel:[0,1,0] op_sel_hi:[0,1,0]
	v_or_b32_e32 v34, v81, v80
	v_fma_mixlo_f16 v36, v4, v0, 0 op_sel_hi:[0,1,0]
	v_or_b32_e32 v33, v11, v33
	v_lshlrev_b32_e32 v0, 16, v12
	v_lshlrev_b32_e32 v32, 16, v5
	v_fma_mixlo_f16 v12, v4, v13, 0 op_sel_hi:[0,1,0]
	v_and_b32_e32 v5, 0xffff, v36
	v_fma_mixlo_f16 v13, v4, v81, 0 op_sel:[0,1,0] op_sel_hi:[0,1,0]
	v_fma_mixlo_f16 v34, v4, v34, 0 op_sel_hi:[0,1,0]
	v_fma_mixlo_f16 v36, v4, v11, 0 op_sel:[0,1,0] op_sel_hi:[0,1,0]
	v_fma_mixlo_f16 v33, v4, v33, 0 op_sel_hi:[0,1,0]
	v_and_b32_e32 v82, 0xffff, v12
	v_lshlrev_b32_e32 v11, 16, v13
	v_and_b32_e32 v34, 0xffff, v34
	v_lshlrev_b32_e32 v4, 16, v36
	v_and_b32_e32 v12, 0xffff, v33
	v_or_b32_e32 v33, v0, v5
	v_or_b32_e32 v81, v32, v82
	;; [unrolled: 1-line block ×4, first 2 shown]
	s_and_saveexec_b32 s12, vcc_lo
	s_cbranch_execz .LBB297_935
; %bb.934:                              ;   in Loop: Header=BB297_803 Depth=1
	v_cmp_lt_i32_e64 s4, v48, v35
	v_cndmask_b32_e64 v13, 0, v82, s4
	v_cmp_lt_i32_e64 s4, v71, v35
	v_cndmask_b32_e64 v32, 0, v32, s4
	v_cmp_lt_i32_e64 s4, v70, v35
	v_or_b32_e32 v81, v13, v32
	v_cndmask_b32_e64 v5, 0, v5, s4
	v_cmp_lt_i32_e64 s4, v68, v35
	v_cndmask_b32_e64 v0, 0, v0, s4
	v_cmp_lt_i32_e64 s4, v65, v35
	v_or_b32_e32 v33, v5, v0
	;; [unrolled: 5-line block ×3, first 2 shown]
	v_cndmask_b32_e64 v12, 0, v12, s4
	v_cmp_lt_i32_e64 s4, v14, v35
	v_cndmask_b32_e64 v4, 0, v4, s4
	v_or_b32_e32 v36, v12, v4
.LBB297_935:                            ;   in Loop: Header=BB297_803 Depth=1
	s_or_b32 exec_lo, exec_lo, s12
	;;#ASMSTART
	v_pk_mul_f16 v0, v67, v81;

	;;#ASMEND
	;;#ASMSTART
	v_pk_mul_f16 v4, v64, v33;

	;;#ASMEND
	;; [unrolled: 4-line block ×4, first 2 shown]
	;;#ASMSTART
	v_pk_add_f16 v0, v0, v4;

	;;#ASMEND
	;;#ASMSTART
	v_pk_add_f16 v0, v0, v5;

	;;#ASMEND
	;; [unrolled: 4-line block ×3, first 2 shown]
	v_and_b32_e32 v4, 0xffff, v0
	v_lshrrev_b32_e32 v0, 16, v0
	;;#ASMSTART
	v_cvt_f32_f16 v80, v4;
	;;#ASMEND
	;;#ASMSTART
	v_cvt_f32_f16 v81, v0;
	;;#ASMEND
	flat_load_dwordx2 v[11:12], v[9:10] offset:512
	flat_load_dword v4, v[26:27]
	v_mov_b32_e32 v5, 0
	v_mov_b32_e32 v32, 0
	s_waitcnt vmcnt(1) lgkmcnt(1)
	v_cmp_ne_u16_sdwa s4, v11, v1 src0_sel:BYTE_0 src1_sel:DWORD
	s_and_saveexec_b32 s12, s4
	s_cbranch_execz .LBB297_943
; %bb.936:                              ;   in Loop: Header=BB297_803 Depth=1
	v_cmp_ne_u16_sdwa s4, v11, v16 src0_sel:BYTE_0 src1_sel:DWORD
	v_mov_b32_e32 v32, 0x8000
	s_and_saveexec_b32 s13, s4
	s_cbranch_execz .LBB297_942
; %bb.937:                              ;   in Loop: Header=BB297_803 Depth=1
	v_and_b32_e32 v33, 0x7f, v11
	v_mov_b32_e32 v32, 0x7c01
	s_mov_b32 s15, exec_lo
	v_cmpx_ne_u32_e32 0x7f, v33
	s_cbranch_execz .LBB297_941
; %bb.938:                              ;   in Loop: Header=BB297_803 Depth=1
	v_and_b32_e32 v0, 7, v11
	v_lshrrev_b32_e32 v32, 3, v33
	s_mov_b32 s18, exec_lo
	v_cmpx_gt_u32_e32 8, v33
; %bb.939:                              ;   in Loop: Header=BB297_803 Depth=1
	v_ffbh_u32_e32 v0, v0
	v_min_u32_e32 v0, 32, v0
	v_subrev_nc_u32_e32 v13, 28, v0
	v_sub_nc_u32_e32 v32, 29, v0
	v_lshlrev_b64 v[33:34], v13, v[11:12]
	v_and_b32_e32 v0, 7, v33
; %bb.940:                              ;   in Loop: Header=BB297_803 Depth=1
	s_or_b32 exec_lo, exec_lo, s18
	v_lshlrev_b32_e32 v13, 8, v11
	v_lshl_add_u32 v32, v32, 10, 0x2000
	v_lshlrev_b32_e32 v0, 7, v0
	v_and_b32_e32 v13, 0x8000, v13
	v_and_b32_e32 v32, 0xfc00, v32
	v_or3_b32 v32, v13, v32, v0
.LBB297_941:                            ;   in Loop: Header=BB297_803 Depth=1
	s_or_b32 exec_lo, exec_lo, s15
.LBB297_942:                            ;   in Loop: Header=BB297_803 Depth=1
	s_or_b32 exec_lo, exec_lo, s13
.LBB297_943:                            ;   in Loop: Header=BB297_803 Depth=1
	s_or_b32 exec_lo, exec_lo, s12
	v_lshrrev_b16 v0, 8, v11
	s_mov_b32 s12, exec_lo
	v_cmpx_ne_u16_e32 0, v0
	s_cbranch_execz .LBB297_951
; %bb.944:                              ;   in Loop: Header=BB297_803 Depth=1
	v_bfrev_b32_e32 v5, 1
	s_mov_b32 s13, exec_lo
	v_cmpx_ne_u16_e32 0x80, v0
	s_cbranch_execz .LBB297_950
; %bb.945:                              ;   in Loop: Header=BB297_803 Depth=1
	v_and_b32_sdwa v34, v0, v17 dst_sel:DWORD dst_unused:UNUSED_PAD src0_sel:WORD_0 src1_sel:DWORD
	v_mov_b32_e32 v5, 0x7c010000
	s_mov_b32 s15, exec_lo
	v_cmpx_ne_u32_e32 0x7f, v34
	s_cbranch_execz .LBB297_949
; %bb.946:                              ;   in Loop: Header=BB297_803 Depth=1
	v_and_b32_sdwa v5, v0, v38 dst_sel:DWORD dst_unused:UNUSED_PAD src0_sel:WORD_0 src1_sel:DWORD
	v_lshrrev_b32_e32 v33, 3, v34
	s_mov_b32 s18, exec_lo
	v_cmpx_gt_u32_e32 8, v34
; %bb.947:                              ;   in Loop: Header=BB297_803 Depth=1
	v_ffbh_u32_e32 v5, v5
	v_min_u32_e32 v5, 32, v5
	v_subrev_nc_u32_e32 v13, 28, v5
	v_sub_nc_u32_e32 v33, 29, v5
	v_lshlrev_b64 v[82:83], v13, v[0:1]
	v_and_b32_e32 v5, 7, v82
; %bb.948:                              ;   in Loop: Header=BB297_803 Depth=1
	s_or_b32 exec_lo, exec_lo, s18
	v_lshlrev_b32_sdwa v0, v39, v0 dst_sel:DWORD dst_unused:UNUSED_PAD src0_sel:DWORD src1_sel:WORD_0
	v_lshl_add_u32 v13, v33, 10, 0x2000
	v_lshlrev_b32_e32 v5, 23, v5
	v_and_or_b32 v0, 0x8000, v0, v13
	v_lshl_or_b32 v5, v0, 16, v5
.LBB297_949:                            ;   in Loop: Header=BB297_803 Depth=1
	s_or_b32 exec_lo, exec_lo, s15
.LBB297_950:                            ;   in Loop: Header=BB297_803 Depth=1
	s_or_b32 exec_lo, exec_lo, s13
.LBB297_951:                            ;   in Loop: Header=BB297_803 Depth=1
	s_or_b32 exec_lo, exec_lo, s12
	v_lshrrev_b32_e32 v0, 16, v11
	v_mov_b32_e32 v34, 0
	v_mov_b32_e32 v36, 0
	v_cmp_ne_u16_sdwa s4, v0, v1 src0_sel:BYTE_0 src1_sel:DWORD
	s_and_saveexec_b32 s12, s4
	s_cbranch_execz .LBB297_959
; %bb.952:                              ;   in Loop: Header=BB297_803 Depth=1
	v_cmp_ne_u16_sdwa s4, v0, v16 src0_sel:BYTE_0 src1_sel:DWORD
	v_mov_b32_e32 v36, 0x8000
	s_and_saveexec_b32 s13, s4
	s_cbranch_execz .LBB297_958
; %bb.953:                              ;   in Loop: Header=BB297_803 Depth=1
	v_bfe_u32 v82, v11, 16, 7
	v_mov_b32_e32 v36, 0x7c01
	s_mov_b32 s15, exec_lo
	v_cmpx_ne_u32_e32 0x7f, v82
	s_cbranch_execz .LBB297_957
; %bb.954:                              ;   in Loop: Header=BB297_803 Depth=1
	v_and_b32_e32 v33, 7, v0
	v_lshrrev_b32_e32 v36, 3, v82
	s_mov_b32 s18, exec_lo
	v_cmpx_gt_u32_e32 8, v82
; %bb.955:                              ;   in Loop: Header=BB297_803 Depth=1
	v_ffbh_u32_e32 v13, v33
	v_min_u32_e32 v13, 32, v13
	v_subrev_nc_u32_e32 v33, 28, v13
	v_sub_nc_u32_e32 v36, 29, v13
	v_lshlrev_b64 v[82:83], v33, v[0:1]
	v_and_b32_e32 v33, 7, v82
; %bb.956:                              ;   in Loop: Header=BB297_803 Depth=1
	s_or_b32 exec_lo, exec_lo, s18
	v_lshlrev_b32_e32 v0, 8, v0
	v_lshl_add_u32 v13, v36, 10, 0x2000
	v_lshlrev_b32_e32 v33, 7, v33
	v_and_b32_e32 v0, 0x8000, v0
	v_and_b32_e32 v13, 0xfc00, v13
	v_or3_b32 v36, v0, v13, v33
.LBB297_957:                            ;   in Loop: Header=BB297_803 Depth=1
	s_or_b32 exec_lo, exec_lo, s15
.LBB297_958:                            ;   in Loop: Header=BB297_803 Depth=1
	s_or_b32 exec_lo, exec_lo, s13
.LBB297_959:                            ;   in Loop: Header=BB297_803 Depth=1
	s_or_b32 exec_lo, exec_lo, s12
	s_mov_b32 s12, exec_lo
	v_cmpx_lt_u32_e32 0xffffff, v11
	s_cbranch_execz .LBB297_967
; %bb.960:                              ;   in Loop: Header=BB297_803 Depth=1
	v_lshrrev_b32_e32 v0, 24, v11
	v_bfrev_b32_e32 v34, 1
	s_mov_b32 s13, exec_lo
	v_cmpx_ne_u32_e32 0x80, v0
	s_cbranch_execz .LBB297_966
; %bb.961:                              ;   in Loop: Header=BB297_803 Depth=1
	v_and_b32_e32 v82, 0x7f, v0
	v_mov_b32_e32 v34, 0x7c010000
	s_mov_b32 s15, exec_lo
	v_cmpx_ne_u32_e32 0x7f, v82
	s_cbranch_execz .LBB297_965
; %bb.962:                              ;   in Loop: Header=BB297_803 Depth=1
	v_and_b32_e32 v33, 7, v0
	v_lshrrev_b32_e32 v34, 3, v82
	s_mov_b32 s18, exec_lo
	v_cmpx_gt_u32_e32 8, v82
; %bb.963:                              ;   in Loop: Header=BB297_803 Depth=1
	v_ffbh_u32_e32 v13, v33
	v_min_u32_e32 v13, 32, v13
	v_subrev_nc_u32_e32 v33, 28, v13
	v_lshlrev_b64 v[33:34], v33, v[0:1]
	v_sub_nc_u32_e32 v34, 29, v13
	v_and_b32_e32 v33, 7, v33
; %bb.964:                              ;   in Loop: Header=BB297_803 Depth=1
	s_or_b32 exec_lo, exec_lo, s18
	v_lshlrev_b32_e32 v0, 8, v0
	v_lshl_add_u32 v13, v34, 10, 0x2000
	v_and_or_b32 v0, 0x8000, v0, v13
	v_lshlrev_b32_e32 v13, 23, v33
	v_lshl_or_b32 v34, v0, 16, v13
.LBB297_965:                            ;   in Loop: Header=BB297_803 Depth=1
	s_or_b32 exec_lo, exec_lo, s15
.LBB297_966:                            ;   in Loop: Header=BB297_803 Depth=1
	s_or_b32 exec_lo, exec_lo, s13
.LBB297_967:                            ;   in Loop: Header=BB297_803 Depth=1
	s_or_b32 exec_lo, exec_lo, s12
	v_mov_b32_e32 v0, v12
	v_cmp_ne_u16_sdwa s4, v12, v1 src0_sel:BYTE_0 src1_sel:DWORD
	v_mov_b32_e32 v33, 0
	v_mov_b32_e32 v82, 0
	s_and_saveexec_b32 s12, s4
	s_cbranch_execz .LBB297_975
; %bb.968:                              ;   in Loop: Header=BB297_803 Depth=1
	v_cmp_ne_u16_sdwa s4, v12, v16 src0_sel:BYTE_0 src1_sel:DWORD
	v_mov_b32_e32 v82, 0x8000
	s_and_saveexec_b32 s13, s4
	s_cbranch_execz .LBB297_974
; %bb.969:                              ;   in Loop: Header=BB297_803 Depth=1
	v_and_b32_e32 v84, 0x7f, v12
	v_mov_b32_e32 v82, 0x7c01
	s_mov_b32 s15, exec_lo
	v_cmpx_ne_u32_e32 0x7f, v84
	s_cbranch_execz .LBB297_973
; %bb.970:                              ;   in Loop: Header=BB297_803 Depth=1
	v_and_b32_e32 v82, 7, v12
	v_lshrrev_b32_e32 v83, 3, v84
	s_mov_b32 s18, exec_lo
	v_cmpx_gt_u32_e32 8, v84
; %bb.971:                              ;   in Loop: Header=BB297_803 Depth=1
	v_ffbh_u32_e32 v13, v82
	v_min_u32_e32 v13, 32, v13
	v_subrev_nc_u32_e32 v82, 28, v13
	v_lshlrev_b64 v[82:83], v82, v[0:1]
	v_sub_nc_u32_e32 v83, 29, v13
	v_and_b32_e32 v82, 7, v82
; %bb.972:                              ;   in Loop: Header=BB297_803 Depth=1
	s_or_b32 exec_lo, exec_lo, s18
	v_lshlrev_b32_e32 v13, 8, v12
	v_lshl_add_u32 v83, v83, 10, 0x2000
	v_lshlrev_b32_e32 v82, 7, v82
	v_and_b32_e32 v13, 0x8000, v13
	v_and_b32_e32 v83, 0xfc00, v83
	v_or3_b32 v82, v13, v83, v82
.LBB297_973:                            ;   in Loop: Header=BB297_803 Depth=1
	s_or_b32 exec_lo, exec_lo, s15
.LBB297_974:                            ;   in Loop: Header=BB297_803 Depth=1
	s_or_b32 exec_lo, exec_lo, s13
.LBB297_975:                            ;   in Loop: Header=BB297_803 Depth=1
	s_or_b32 exec_lo, exec_lo, s12
	v_lshrrev_b16 v0, 8, v0
	v_mov_b32_e32 v83, 0
	s_mov_b32 s12, exec_lo
	v_cmpx_ne_u16_e32 0, v0
	s_cbranch_execz .LBB297_983
; %bb.976:                              ;   in Loop: Header=BB297_803 Depth=1
	v_bfrev_b32_e32 v83, 1
	s_mov_b32 s13, exec_lo
	v_cmpx_ne_u16_e32 0x80, v0
	s_cbranch_execz .LBB297_982
; %bb.977:                              ;   in Loop: Header=BB297_803 Depth=1
	v_and_b32_sdwa v85, v0, v17 dst_sel:DWORD dst_unused:UNUSED_PAD src0_sel:WORD_0 src1_sel:DWORD
	v_mov_b32_e32 v83, 0x7c010000
	s_mov_b32 s15, exec_lo
	v_cmpx_ne_u32_e32 0x7f, v85
	s_cbranch_execz .LBB297_981
; %bb.978:                              ;   in Loop: Header=BB297_803 Depth=1
	v_and_b32_sdwa v83, v0, v38 dst_sel:DWORD dst_unused:UNUSED_PAD src0_sel:WORD_0 src1_sel:DWORD
	v_lshrrev_b32_e32 v84, 3, v85
	s_mov_b32 s18, exec_lo
	v_cmpx_gt_u32_e32 8, v85
; %bb.979:                              ;   in Loop: Header=BB297_803 Depth=1
	v_ffbh_u32_e32 v13, v83
	v_min_u32_e32 v13, 32, v13
	v_subrev_nc_u32_e32 v83, 28, v13
	v_lshlrev_b64 v[83:84], v83, v[0:1]
	v_sub_nc_u32_e32 v84, 29, v13
	v_and_b32_e32 v83, 7, v83
; %bb.980:                              ;   in Loop: Header=BB297_803 Depth=1
	s_or_b32 exec_lo, exec_lo, s18
	v_lshlrev_b32_sdwa v0, v39, v0 dst_sel:DWORD dst_unused:UNUSED_PAD src0_sel:DWORD src1_sel:WORD_0
	v_lshl_add_u32 v13, v84, 10, 0x2000
	v_and_or_b32 v0, 0x8000, v0, v13
	v_lshlrev_b32_e32 v13, 23, v83
	v_lshl_or_b32 v83, v0, 16, v13
.LBB297_981:                            ;   in Loop: Header=BB297_803 Depth=1
	s_or_b32 exec_lo, exec_lo, s15
.LBB297_982:                            ;   in Loop: Header=BB297_803 Depth=1
	s_or_b32 exec_lo, exec_lo, s13
.LBB297_983:                            ;   in Loop: Header=BB297_803 Depth=1
	s_or_b32 exec_lo, exec_lo, s12
	v_lshrrev_b32_e32 v0, 16, v12
	v_cmp_ne_u16_sdwa s4, v0, v1 src0_sel:BYTE_0 src1_sel:DWORD
	s_and_saveexec_b32 s12, s4
	s_cbranch_execz .LBB297_991
; %bb.984:                              ;   in Loop: Header=BB297_803 Depth=1
	v_cmp_ne_u16_sdwa s4, v0, v16 src0_sel:BYTE_0 src1_sel:DWORD
	v_mov_b32_e32 v33, 0x8000
	s_and_saveexec_b32 s13, s4
	s_cbranch_execz .LBB297_990
; %bb.985:                              ;   in Loop: Header=BB297_803 Depth=1
	v_bfe_u32 v85, v12, 16, 7
	v_mov_b32_e32 v33, 0x7c01
	s_mov_b32 s15, exec_lo
	v_cmpx_ne_u32_e32 0x7f, v85
	s_cbranch_execz .LBB297_989
; %bb.986:                              ;   in Loop: Header=BB297_803 Depth=1
	v_and_b32_e32 v33, 7, v0
	v_lshrrev_b32_e32 v84, 3, v85
	s_mov_b32 s18, exec_lo
	v_cmpx_gt_u32_e32 8, v85
; %bb.987:                              ;   in Loop: Header=BB297_803 Depth=1
	v_ffbh_u32_e32 v13, v33
	v_min_u32_e32 v13, 32, v13
	v_subrev_nc_u32_e32 v33, 28, v13
	v_sub_nc_u32_e32 v84, 29, v13
	v_lshlrev_b64 v[85:86], v33, v[0:1]
	v_and_b32_e32 v33, 7, v85
; %bb.988:                              ;   in Loop: Header=BB297_803 Depth=1
	s_or_b32 exec_lo, exec_lo, s18
	v_lshlrev_b32_e32 v0, 8, v0
	v_lshl_add_u32 v13, v84, 10, 0x2000
	v_lshlrev_b32_e32 v33, 7, v33
	v_and_b32_e32 v0, 0x8000, v0
	v_and_b32_e32 v13, 0xfc00, v13
	v_or3_b32 v33, v0, v13, v33
.LBB297_989:                            ;   in Loop: Header=BB297_803 Depth=1
	s_or_b32 exec_lo, exec_lo, s15
.LBB297_990:                            ;   in Loop: Header=BB297_803 Depth=1
	s_or_b32 exec_lo, exec_lo, s13
.LBB297_991:                            ;   in Loop: Header=BB297_803 Depth=1
	s_or_b32 exec_lo, exec_lo, s12
	v_cmp_lt_u64_e64 s4, s[8:9], v[11:12]
	v_mov_b32_e32 v11, 0
	s_and_saveexec_b32 s12, s4
	s_cbranch_execz .LBB297_999
; %bb.992:                              ;   in Loop: Header=BB297_803 Depth=1
	v_lshrrev_b32_e32 v0, 24, v12
	v_bfrev_b32_e32 v11, 1
	s_mov_b32 s13, exec_lo
	v_cmpx_ne_u32_e32 0x80, v0
	s_cbranch_execz .LBB297_998
; %bb.993:                              ;   in Loop: Header=BB297_803 Depth=1
	v_and_b32_e32 v84, 0x7f, v0
	v_mov_b32_e32 v11, 0x7c010000
	s_mov_b32 s15, exec_lo
	v_cmpx_ne_u32_e32 0x7f, v84
	s_cbranch_execz .LBB297_997
; %bb.994:                              ;   in Loop: Header=BB297_803 Depth=1
	v_and_b32_e32 v11, 7, v0
	v_lshrrev_b32_e32 v12, 3, v84
	s_mov_b32 s18, exec_lo
	v_cmpx_gt_u32_e32 8, v84
; %bb.995:                              ;   in Loop: Header=BB297_803 Depth=1
	v_ffbh_u32_e32 v11, v11
	v_min_u32_e32 v13, 32, v11
	v_subrev_nc_u32_e32 v11, 28, v13
	v_lshlrev_b64 v[11:12], v11, v[0:1]
	v_sub_nc_u32_e32 v12, 29, v13
	v_and_b32_e32 v11, 7, v11
; %bb.996:                              ;   in Loop: Header=BB297_803 Depth=1
	s_or_b32 exec_lo, exec_lo, s18
	v_lshlrev_b32_e32 v0, 8, v0
	v_lshl_add_u32 v12, v12, 10, 0x2000
	v_lshlrev_b32_e32 v11, 23, v11
	v_and_or_b32 v0, 0x8000, v0, v12
	v_lshl_or_b32 v11, v0, 16, v11
.LBB297_997:                            ;   in Loop: Header=BB297_803 Depth=1
	s_or_b32 exec_lo, exec_lo, s15
.LBB297_998:                            ;   in Loop: Header=BB297_803 Depth=1
	s_or_b32 exec_lo, exec_lo, s13
.LBB297_999:                            ;   in Loop: Header=BB297_803 Depth=1
	s_or_b32 exec_lo, exec_lo, s12
	v_or_b32_e32 v0, v34, v36
	s_waitcnt vmcnt(0) lgkmcnt(0)
	v_fma_mixlo_f16 v12, v4, v34, 0 op_sel:[0,1,0] op_sel_hi:[0,1,0]
	v_or_b32_e32 v13, v5, v32
	v_fma_mixlo_f16 v5, v4, v5, 0 op_sel:[0,1,0] op_sel_hi:[0,1,0]
	v_or_b32_e32 v34, v83, v82
	v_fma_mixlo_f16 v36, v4, v0, 0 op_sel_hi:[0,1,0]
	v_or_b32_e32 v33, v11, v33
	v_lshlrev_b32_e32 v0, 16, v12
	v_lshlrev_b32_e32 v32, 16, v5
	v_fma_mixlo_f16 v12, v4, v13, 0 op_sel_hi:[0,1,0]
	v_and_b32_e32 v5, 0xffff, v36
	v_fma_mixlo_f16 v13, v4, v83, 0 op_sel:[0,1,0] op_sel_hi:[0,1,0]
	v_fma_mixlo_f16 v34, v4, v34, 0 op_sel_hi:[0,1,0]
	v_fma_mixlo_f16 v36, v4, v11, 0 op_sel:[0,1,0] op_sel_hi:[0,1,0]
	v_fma_mixlo_f16 v33, v4, v33, 0 op_sel_hi:[0,1,0]
	v_and_b32_e32 v84, 0xffff, v12
	v_lshlrev_b32_e32 v11, 16, v13
	v_and_b32_e32 v34, 0xffff, v34
	v_lshlrev_b32_e32 v4, 16, v36
	v_and_b32_e32 v12, 0xffff, v33
	v_or_b32_e32 v33, v0, v5
	v_or_b32_e32 v83, v32, v84
	;; [unrolled: 1-line block ×4, first 2 shown]
	s_and_saveexec_b32 s12, vcc_lo
	s_cbranch_execz .LBB297_1001
; %bb.1000:                             ;   in Loop: Header=BB297_803 Depth=1
	v_cmp_lt_i32_e64 s4, v48, v35
	v_cndmask_b32_e64 v13, 0, v84, s4
	v_cmp_lt_i32_e64 s4, v71, v35
	v_cndmask_b32_e64 v32, 0, v32, s4
	v_cmp_lt_i32_e64 s4, v70, v35
	v_or_b32_e32 v83, v13, v32
	v_cndmask_b32_e64 v5, 0, v5, s4
	v_cmp_lt_i32_e64 s4, v68, v35
	v_cndmask_b32_e64 v0, 0, v0, s4
	v_cmp_lt_i32_e64 s4, v65, v35
	v_or_b32_e32 v33, v5, v0
	;; [unrolled: 5-line block ×3, first 2 shown]
	v_cndmask_b32_e64 v12, 0, v12, s4
	v_cmp_lt_i32_e64 s4, v14, v35
	v_cndmask_b32_e64 v4, 0, v4, s4
	v_or_b32_e32 v36, v12, v4
.LBB297_1001:                           ;   in Loop: Header=BB297_803 Depth=1
	s_or_b32 exec_lo, exec_lo, s12
	;;#ASMSTART
	v_pk_mul_f16 v0, v67, v83;

	;;#ASMEND
	;;#ASMSTART
	v_pk_mul_f16 v4, v64, v33;

	;;#ASMEND
	;; [unrolled: 4-line block ×4, first 2 shown]
	;;#ASMSTART
	v_pk_add_f16 v0, v0, v4;

	;;#ASMEND
	;;#ASMSTART
	v_pk_add_f16 v0, v0, v5;

	;;#ASMEND
	;; [unrolled: 4-line block ×3, first 2 shown]
	v_and_b32_e32 v4, 0xffff, v0
	v_lshrrev_b32_e32 v0, 16, v0
	;;#ASMSTART
	v_cvt_f32_f16 v82, v4;
	;;#ASMEND
	;;#ASMSTART
	v_cvt_f32_f16 v83, v0;
	;;#ASMEND
	flat_load_dwordx2 v[11:12], v[9:10] offset:768
	flat_load_dword v4, v[26:27]
	v_mov_b32_e32 v5, 0
	v_mov_b32_e32 v32, 0
	s_waitcnt vmcnt(1) lgkmcnt(1)
	v_cmp_ne_u16_sdwa s4, v11, v1 src0_sel:BYTE_0 src1_sel:DWORD
	s_and_saveexec_b32 s12, s4
	s_cbranch_execz .LBB297_1009
; %bb.1002:                             ;   in Loop: Header=BB297_803 Depth=1
	v_cmp_ne_u16_sdwa s4, v11, v16 src0_sel:BYTE_0 src1_sel:DWORD
	v_mov_b32_e32 v32, 0x8000
	s_and_saveexec_b32 s13, s4
	s_cbranch_execz .LBB297_1008
; %bb.1003:                             ;   in Loop: Header=BB297_803 Depth=1
	v_and_b32_e32 v33, 0x7f, v11
	v_mov_b32_e32 v32, 0x7c01
	s_mov_b32 s15, exec_lo
	v_cmpx_ne_u32_e32 0x7f, v33
	s_cbranch_execz .LBB297_1007
; %bb.1004:                             ;   in Loop: Header=BB297_803 Depth=1
	v_and_b32_e32 v0, 7, v11
	v_lshrrev_b32_e32 v32, 3, v33
	s_mov_b32 s18, exec_lo
	v_cmpx_gt_u32_e32 8, v33
; %bb.1005:                             ;   in Loop: Header=BB297_803 Depth=1
	v_ffbh_u32_e32 v0, v0
	v_min_u32_e32 v0, 32, v0
	v_subrev_nc_u32_e32 v13, 28, v0
	v_sub_nc_u32_e32 v32, 29, v0
	v_lshlrev_b64 v[33:34], v13, v[11:12]
	v_and_b32_e32 v0, 7, v33
; %bb.1006:                             ;   in Loop: Header=BB297_803 Depth=1
	s_or_b32 exec_lo, exec_lo, s18
	v_lshlrev_b32_e32 v13, 8, v11
	v_lshl_add_u32 v32, v32, 10, 0x2000
	v_lshlrev_b32_e32 v0, 7, v0
	v_and_b32_e32 v13, 0x8000, v13
	v_and_b32_e32 v32, 0xfc00, v32
	v_or3_b32 v32, v13, v32, v0
.LBB297_1007:                           ;   in Loop: Header=BB297_803 Depth=1
	s_or_b32 exec_lo, exec_lo, s15
.LBB297_1008:                           ;   in Loop: Header=BB297_803 Depth=1
	s_or_b32 exec_lo, exec_lo, s13
.LBB297_1009:                           ;   in Loop: Header=BB297_803 Depth=1
	s_or_b32 exec_lo, exec_lo, s12
	v_lshrrev_b16 v0, 8, v11
	s_mov_b32 s12, exec_lo
	v_cmpx_ne_u16_e32 0, v0
	s_cbranch_execz .LBB297_1017
; %bb.1010:                             ;   in Loop: Header=BB297_803 Depth=1
	v_bfrev_b32_e32 v5, 1
	s_mov_b32 s13, exec_lo
	v_cmpx_ne_u16_e32 0x80, v0
	s_cbranch_execz .LBB297_1016
; %bb.1011:                             ;   in Loop: Header=BB297_803 Depth=1
	v_and_b32_sdwa v34, v0, v17 dst_sel:DWORD dst_unused:UNUSED_PAD src0_sel:WORD_0 src1_sel:DWORD
	v_mov_b32_e32 v5, 0x7c010000
	s_mov_b32 s15, exec_lo
	v_cmpx_ne_u32_e32 0x7f, v34
	s_cbranch_execz .LBB297_1015
; %bb.1012:                             ;   in Loop: Header=BB297_803 Depth=1
	v_and_b32_sdwa v5, v0, v38 dst_sel:DWORD dst_unused:UNUSED_PAD src0_sel:WORD_0 src1_sel:DWORD
	v_lshrrev_b32_e32 v33, 3, v34
	s_mov_b32 s18, exec_lo
	v_cmpx_gt_u32_e32 8, v34
; %bb.1013:                             ;   in Loop: Header=BB297_803 Depth=1
	v_ffbh_u32_e32 v5, v5
	v_min_u32_e32 v5, 32, v5
	v_subrev_nc_u32_e32 v13, 28, v5
	v_sub_nc_u32_e32 v33, 29, v5
	v_lshlrev_b64 v[84:85], v13, v[0:1]
	v_and_b32_e32 v5, 7, v84
; %bb.1014:                             ;   in Loop: Header=BB297_803 Depth=1
	s_or_b32 exec_lo, exec_lo, s18
	v_lshlrev_b32_sdwa v0, v39, v0 dst_sel:DWORD dst_unused:UNUSED_PAD src0_sel:DWORD src1_sel:WORD_0
	v_lshl_add_u32 v13, v33, 10, 0x2000
	v_lshlrev_b32_e32 v5, 23, v5
	v_and_or_b32 v0, 0x8000, v0, v13
	v_lshl_or_b32 v5, v0, 16, v5
.LBB297_1015:                           ;   in Loop: Header=BB297_803 Depth=1
	s_or_b32 exec_lo, exec_lo, s15
.LBB297_1016:                           ;   in Loop: Header=BB297_803 Depth=1
	s_or_b32 exec_lo, exec_lo, s13
.LBB297_1017:                           ;   in Loop: Header=BB297_803 Depth=1
	s_or_b32 exec_lo, exec_lo, s12
	v_lshrrev_b32_e32 v0, 16, v11
	v_mov_b32_e32 v34, 0
	v_mov_b32_e32 v36, 0
	v_cmp_ne_u16_sdwa s4, v0, v1 src0_sel:BYTE_0 src1_sel:DWORD
	s_and_saveexec_b32 s12, s4
	s_cbranch_execz .LBB297_1025
; %bb.1018:                             ;   in Loop: Header=BB297_803 Depth=1
	v_cmp_ne_u16_sdwa s4, v0, v16 src0_sel:BYTE_0 src1_sel:DWORD
	v_mov_b32_e32 v36, 0x8000
	s_and_saveexec_b32 s13, s4
	s_cbranch_execz .LBB297_1024
; %bb.1019:                             ;   in Loop: Header=BB297_803 Depth=1
	v_bfe_u32 v84, v11, 16, 7
	v_mov_b32_e32 v36, 0x7c01
	s_mov_b32 s15, exec_lo
	v_cmpx_ne_u32_e32 0x7f, v84
	s_cbranch_execz .LBB297_1023
; %bb.1020:                             ;   in Loop: Header=BB297_803 Depth=1
	v_and_b32_e32 v33, 7, v0
	v_lshrrev_b32_e32 v36, 3, v84
	s_mov_b32 s18, exec_lo
	v_cmpx_gt_u32_e32 8, v84
; %bb.1021:                             ;   in Loop: Header=BB297_803 Depth=1
	v_ffbh_u32_e32 v13, v33
	v_min_u32_e32 v13, 32, v13
	v_subrev_nc_u32_e32 v33, 28, v13
	v_sub_nc_u32_e32 v36, 29, v13
	v_lshlrev_b64 v[84:85], v33, v[0:1]
	v_and_b32_e32 v33, 7, v84
; %bb.1022:                             ;   in Loop: Header=BB297_803 Depth=1
	s_or_b32 exec_lo, exec_lo, s18
	v_lshlrev_b32_e32 v0, 8, v0
	v_lshl_add_u32 v13, v36, 10, 0x2000
	v_lshlrev_b32_e32 v33, 7, v33
	v_and_b32_e32 v0, 0x8000, v0
	v_and_b32_e32 v13, 0xfc00, v13
	v_or3_b32 v36, v0, v13, v33
.LBB297_1023:                           ;   in Loop: Header=BB297_803 Depth=1
	s_or_b32 exec_lo, exec_lo, s15
.LBB297_1024:                           ;   in Loop: Header=BB297_803 Depth=1
	s_or_b32 exec_lo, exec_lo, s13
.LBB297_1025:                           ;   in Loop: Header=BB297_803 Depth=1
	s_or_b32 exec_lo, exec_lo, s12
	s_mov_b32 s12, exec_lo
	v_cmpx_lt_u32_e32 0xffffff, v11
	s_cbranch_execz .LBB297_1033
; %bb.1026:                             ;   in Loop: Header=BB297_803 Depth=1
	v_lshrrev_b32_e32 v0, 24, v11
	v_bfrev_b32_e32 v34, 1
	s_mov_b32 s13, exec_lo
	v_cmpx_ne_u32_e32 0x80, v0
	s_cbranch_execz .LBB297_1032
; %bb.1027:                             ;   in Loop: Header=BB297_803 Depth=1
	v_and_b32_e32 v84, 0x7f, v0
	v_mov_b32_e32 v34, 0x7c010000
	s_mov_b32 s15, exec_lo
	v_cmpx_ne_u32_e32 0x7f, v84
	s_cbranch_execz .LBB297_1031
; %bb.1028:                             ;   in Loop: Header=BB297_803 Depth=1
	v_and_b32_e32 v33, 7, v0
	v_lshrrev_b32_e32 v34, 3, v84
	s_mov_b32 s18, exec_lo
	v_cmpx_gt_u32_e32 8, v84
; %bb.1029:                             ;   in Loop: Header=BB297_803 Depth=1
	v_ffbh_u32_e32 v13, v33
	v_min_u32_e32 v13, 32, v13
	v_subrev_nc_u32_e32 v33, 28, v13
	v_lshlrev_b64 v[33:34], v33, v[0:1]
	v_sub_nc_u32_e32 v34, 29, v13
	v_and_b32_e32 v33, 7, v33
; %bb.1030:                             ;   in Loop: Header=BB297_803 Depth=1
	s_or_b32 exec_lo, exec_lo, s18
	v_lshlrev_b32_e32 v0, 8, v0
	v_lshl_add_u32 v13, v34, 10, 0x2000
	v_and_or_b32 v0, 0x8000, v0, v13
	v_lshlrev_b32_e32 v13, 23, v33
	v_lshl_or_b32 v34, v0, 16, v13
.LBB297_1031:                           ;   in Loop: Header=BB297_803 Depth=1
	s_or_b32 exec_lo, exec_lo, s15
.LBB297_1032:                           ;   in Loop: Header=BB297_803 Depth=1
	s_or_b32 exec_lo, exec_lo, s13
.LBB297_1033:                           ;   in Loop: Header=BB297_803 Depth=1
	s_or_b32 exec_lo, exec_lo, s12
	v_mov_b32_e32 v0, v12
	v_cmp_ne_u16_sdwa s4, v12, v1 src0_sel:BYTE_0 src1_sel:DWORD
	v_mov_b32_e32 v33, 0
	v_mov_b32_e32 v84, 0
	s_and_saveexec_b32 s12, s4
	s_cbranch_execz .LBB297_1041
; %bb.1034:                             ;   in Loop: Header=BB297_803 Depth=1
	v_cmp_ne_u16_sdwa s4, v12, v16 src0_sel:BYTE_0 src1_sel:DWORD
	v_mov_b32_e32 v84, 0x8000
	s_and_saveexec_b32 s13, s4
	s_cbranch_execz .LBB297_1040
; %bb.1035:                             ;   in Loop: Header=BB297_803 Depth=1
	v_and_b32_e32 v86, 0x7f, v12
	v_mov_b32_e32 v84, 0x7c01
	s_mov_b32 s15, exec_lo
	v_cmpx_ne_u32_e32 0x7f, v86
	s_cbranch_execz .LBB297_1039
; %bb.1036:                             ;   in Loop: Header=BB297_803 Depth=1
	v_and_b32_e32 v84, 7, v12
	v_lshrrev_b32_e32 v85, 3, v86
	s_mov_b32 s18, exec_lo
	v_cmpx_gt_u32_e32 8, v86
; %bb.1037:                             ;   in Loop: Header=BB297_803 Depth=1
	v_ffbh_u32_e32 v13, v84
	v_min_u32_e32 v13, 32, v13
	v_subrev_nc_u32_e32 v84, 28, v13
	v_lshlrev_b64 v[84:85], v84, v[0:1]
	v_sub_nc_u32_e32 v85, 29, v13
	v_and_b32_e32 v84, 7, v84
; %bb.1038:                             ;   in Loop: Header=BB297_803 Depth=1
	s_or_b32 exec_lo, exec_lo, s18
	v_lshlrev_b32_e32 v13, 8, v12
	v_lshl_add_u32 v85, v85, 10, 0x2000
	v_lshlrev_b32_e32 v84, 7, v84
	v_and_b32_e32 v13, 0x8000, v13
	v_and_b32_e32 v85, 0xfc00, v85
	v_or3_b32 v84, v13, v85, v84
.LBB297_1039:                           ;   in Loop: Header=BB297_803 Depth=1
	s_or_b32 exec_lo, exec_lo, s15
.LBB297_1040:                           ;   in Loop: Header=BB297_803 Depth=1
	s_or_b32 exec_lo, exec_lo, s13
.LBB297_1041:                           ;   in Loop: Header=BB297_803 Depth=1
	s_or_b32 exec_lo, exec_lo, s12
	v_lshrrev_b16 v0, 8, v0
	v_mov_b32_e32 v85, 0
	s_mov_b32 s12, exec_lo
	v_cmpx_ne_u16_e32 0, v0
	s_cbranch_execz .LBB297_1049
; %bb.1042:                             ;   in Loop: Header=BB297_803 Depth=1
	v_bfrev_b32_e32 v85, 1
	s_mov_b32 s13, exec_lo
	v_cmpx_ne_u16_e32 0x80, v0
	s_cbranch_execz .LBB297_1048
; %bb.1043:                             ;   in Loop: Header=BB297_803 Depth=1
	v_and_b32_sdwa v87, v0, v17 dst_sel:DWORD dst_unused:UNUSED_PAD src0_sel:WORD_0 src1_sel:DWORD
	v_mov_b32_e32 v85, 0x7c010000
	s_mov_b32 s15, exec_lo
	v_cmpx_ne_u32_e32 0x7f, v87
	s_cbranch_execz .LBB297_1047
; %bb.1044:                             ;   in Loop: Header=BB297_803 Depth=1
	v_and_b32_sdwa v85, v0, v38 dst_sel:DWORD dst_unused:UNUSED_PAD src0_sel:WORD_0 src1_sel:DWORD
	v_lshrrev_b32_e32 v86, 3, v87
	s_mov_b32 s18, exec_lo
	v_cmpx_gt_u32_e32 8, v87
; %bb.1045:                             ;   in Loop: Header=BB297_803 Depth=1
	v_ffbh_u32_e32 v13, v85
	v_min_u32_e32 v13, 32, v13
	v_subrev_nc_u32_e32 v85, 28, v13
	v_lshlrev_b64 v[85:86], v85, v[0:1]
	v_sub_nc_u32_e32 v86, 29, v13
	v_and_b32_e32 v85, 7, v85
; %bb.1046:                             ;   in Loop: Header=BB297_803 Depth=1
	s_or_b32 exec_lo, exec_lo, s18
	v_lshlrev_b32_sdwa v0, v39, v0 dst_sel:DWORD dst_unused:UNUSED_PAD src0_sel:DWORD src1_sel:WORD_0
	v_lshl_add_u32 v13, v86, 10, 0x2000
	v_and_or_b32 v0, 0x8000, v0, v13
	v_lshlrev_b32_e32 v13, 23, v85
	v_lshl_or_b32 v85, v0, 16, v13
.LBB297_1047:                           ;   in Loop: Header=BB297_803 Depth=1
	s_or_b32 exec_lo, exec_lo, s15
.LBB297_1048:                           ;   in Loop: Header=BB297_803 Depth=1
	s_or_b32 exec_lo, exec_lo, s13
.LBB297_1049:                           ;   in Loop: Header=BB297_803 Depth=1
	s_or_b32 exec_lo, exec_lo, s12
	v_lshrrev_b32_e32 v0, 16, v12
	v_cmp_ne_u16_sdwa s4, v0, v1 src0_sel:BYTE_0 src1_sel:DWORD
	s_and_saveexec_b32 s12, s4
	s_cbranch_execz .LBB297_1057
; %bb.1050:                             ;   in Loop: Header=BB297_803 Depth=1
	v_cmp_ne_u16_sdwa s4, v0, v16 src0_sel:BYTE_0 src1_sel:DWORD
	v_mov_b32_e32 v33, 0x8000
	s_and_saveexec_b32 s13, s4
	s_cbranch_execz .LBB297_1056
; %bb.1051:                             ;   in Loop: Header=BB297_803 Depth=1
	v_bfe_u32 v87, v12, 16, 7
	v_mov_b32_e32 v33, 0x7c01
	s_mov_b32 s15, exec_lo
	v_cmpx_ne_u32_e32 0x7f, v87
	s_cbranch_execz .LBB297_1055
; %bb.1052:                             ;   in Loop: Header=BB297_803 Depth=1
	v_and_b32_e32 v33, 7, v0
	v_lshrrev_b32_e32 v86, 3, v87
	s_mov_b32 s18, exec_lo
	v_cmpx_gt_u32_e32 8, v87
; %bb.1053:                             ;   in Loop: Header=BB297_803 Depth=1
	v_ffbh_u32_e32 v13, v33
	v_min_u32_e32 v13, 32, v13
	v_subrev_nc_u32_e32 v33, 28, v13
	v_sub_nc_u32_e32 v86, 29, v13
	v_lshlrev_b64 v[96:97], v33, v[0:1]
	v_and_b32_e32 v33, 7, v96
; %bb.1054:                             ;   in Loop: Header=BB297_803 Depth=1
	s_or_b32 exec_lo, exec_lo, s18
	v_lshlrev_b32_e32 v0, 8, v0
	v_lshl_add_u32 v13, v86, 10, 0x2000
	v_lshlrev_b32_e32 v33, 7, v33
	v_and_b32_e32 v0, 0x8000, v0
	v_and_b32_e32 v13, 0xfc00, v13
	v_or3_b32 v33, v0, v13, v33
.LBB297_1055:                           ;   in Loop: Header=BB297_803 Depth=1
	s_or_b32 exec_lo, exec_lo, s15
.LBB297_1056:                           ;   in Loop: Header=BB297_803 Depth=1
	s_or_b32 exec_lo, exec_lo, s13
.LBB297_1057:                           ;   in Loop: Header=BB297_803 Depth=1
	s_or_b32 exec_lo, exec_lo, s12
	v_cmp_lt_u64_e64 s4, s[8:9], v[11:12]
	v_mov_b32_e32 v11, 0
	s_and_saveexec_b32 s12, s4
	s_cbranch_execz .LBB297_1065
; %bb.1058:                             ;   in Loop: Header=BB297_803 Depth=1
	v_lshrrev_b32_e32 v0, 24, v12
	v_bfrev_b32_e32 v11, 1
	s_mov_b32 s13, exec_lo
	v_cmpx_ne_u32_e32 0x80, v0
	s_cbranch_execz .LBB297_1064
; %bb.1059:                             ;   in Loop: Header=BB297_803 Depth=1
	v_and_b32_e32 v86, 0x7f, v0
	v_mov_b32_e32 v11, 0x7c010000
	s_mov_b32 s15, exec_lo
	v_cmpx_ne_u32_e32 0x7f, v86
	s_cbranch_execz .LBB297_1063
; %bb.1060:                             ;   in Loop: Header=BB297_803 Depth=1
	v_and_b32_e32 v11, 7, v0
	v_lshrrev_b32_e32 v12, 3, v86
	s_mov_b32 s18, exec_lo
	v_cmpx_gt_u32_e32 8, v86
; %bb.1061:                             ;   in Loop: Header=BB297_803 Depth=1
	v_ffbh_u32_e32 v11, v11
	v_min_u32_e32 v13, 32, v11
	v_subrev_nc_u32_e32 v11, 28, v13
	v_lshlrev_b64 v[11:12], v11, v[0:1]
	v_sub_nc_u32_e32 v12, 29, v13
	v_and_b32_e32 v11, 7, v11
; %bb.1062:                             ;   in Loop: Header=BB297_803 Depth=1
	s_or_b32 exec_lo, exec_lo, s18
	v_lshlrev_b32_e32 v0, 8, v0
	v_lshl_add_u32 v12, v12, 10, 0x2000
	v_lshlrev_b32_e32 v11, 23, v11
	v_and_or_b32 v0, 0x8000, v0, v12
	v_lshl_or_b32 v11, v0, 16, v11
.LBB297_1063:                           ;   in Loop: Header=BB297_803 Depth=1
	s_or_b32 exec_lo, exec_lo, s15
.LBB297_1064:                           ;   in Loop: Header=BB297_803 Depth=1
	s_or_b32 exec_lo, exec_lo, s13
.LBB297_1065:                           ;   in Loop: Header=BB297_803 Depth=1
	s_or_b32 exec_lo, exec_lo, s12
	v_or_b32_e32 v0, v34, v36
	s_waitcnt vmcnt(0) lgkmcnt(0)
	v_fma_mixlo_f16 v12, v4, v34, 0 op_sel:[0,1,0] op_sel_hi:[0,1,0]
	v_or_b32_e32 v13, v5, v32
	v_fma_mixlo_f16 v5, v4, v5, 0 op_sel:[0,1,0] op_sel_hi:[0,1,0]
	v_or_b32_e32 v34, v85, v84
	v_fma_mixlo_f16 v36, v4, v0, 0 op_sel_hi:[0,1,0]
	v_or_b32_e32 v33, v11, v33
	v_lshlrev_b32_e32 v0, 16, v12
	v_lshlrev_b32_e32 v32, 16, v5
	v_fma_mixlo_f16 v12, v4, v13, 0 op_sel_hi:[0,1,0]
	v_and_b32_e32 v5, 0xffff, v36
	v_fma_mixlo_f16 v13, v4, v85, 0 op_sel:[0,1,0] op_sel_hi:[0,1,0]
	v_fma_mixlo_f16 v34, v4, v34, 0 op_sel_hi:[0,1,0]
	v_fma_mixlo_f16 v36, v4, v11, 0 op_sel:[0,1,0] op_sel_hi:[0,1,0]
	v_fma_mixlo_f16 v33, v4, v33, 0 op_sel_hi:[0,1,0]
	v_and_b32_e32 v86, 0xffff, v12
	v_lshlrev_b32_e32 v11, 16, v13
	v_and_b32_e32 v34, 0xffff, v34
	v_lshlrev_b32_e32 v4, 16, v36
	v_and_b32_e32 v12, 0xffff, v33
	v_or_b32_e32 v33, v0, v5
	v_or_b32_e32 v85, v32, v86
	;; [unrolled: 1-line block ×4, first 2 shown]
	s_and_saveexec_b32 s12, vcc_lo
	s_cbranch_execz .LBB297_1067
; %bb.1066:                             ;   in Loop: Header=BB297_803 Depth=1
	v_cmp_lt_i32_e64 s4, v48, v35
	v_cndmask_b32_e64 v13, 0, v86, s4
	v_cmp_lt_i32_e64 s4, v71, v35
	v_cndmask_b32_e64 v32, 0, v32, s4
	v_cmp_lt_i32_e64 s4, v70, v35
	v_or_b32_e32 v85, v13, v32
	v_cndmask_b32_e64 v5, 0, v5, s4
	v_cmp_lt_i32_e64 s4, v68, v35
	v_cndmask_b32_e64 v0, 0, v0, s4
	v_cmp_lt_i32_e64 s4, v65, v35
	v_or_b32_e32 v33, v5, v0
	;; [unrolled: 5-line block ×3, first 2 shown]
	v_cndmask_b32_e64 v12, 0, v12, s4
	v_cmp_lt_i32_e64 s4, v14, v35
	v_cndmask_b32_e64 v4, 0, v4, s4
	v_or_b32_e32 v36, v12, v4
.LBB297_1067:                           ;   in Loop: Header=BB297_803 Depth=1
	s_or_b32 exec_lo, exec_lo, s12
	;;#ASMSTART
	v_pk_mul_f16 v0, v67, v85;

	;;#ASMEND
	;;#ASMSTART
	v_pk_mul_f16 v4, v64, v33;

	;;#ASMEND
	;;#ASMSTART
	v_pk_mul_f16 v5, v54, v84;

	;;#ASMEND
	;;#ASMSTART
	v_pk_mul_f16 v11, v53, v36;

	;;#ASMEND
	;;#ASMSTART
	v_pk_add_f16 v0, v0, v4;

	;;#ASMEND
	;;#ASMSTART
	v_pk_add_f16 v0, v0, v5;

	;;#ASMEND
	;; [unrolled: 4-line block ×3, first 2 shown]
	v_and_b32_e32 v4, 0xffff, v0
	v_lshrrev_b32_e32 v0, 16, v0
	;;#ASMSTART
	v_cvt_f32_f16 v84, v4;
	;;#ASMEND
	;;#ASMSTART
	v_cvt_f32_f16 v85, v0;
	;;#ASMEND
	flat_load_dwordx2 v[11:12], v[9:10] offset:1024
	flat_load_dword v4, v[26:27]
	v_mov_b32_e32 v5, 0
	v_mov_b32_e32 v32, 0
	s_waitcnt vmcnt(1) lgkmcnt(1)
	v_cmp_ne_u16_sdwa s4, v11, v1 src0_sel:BYTE_0 src1_sel:DWORD
	s_and_saveexec_b32 s12, s4
	s_cbranch_execz .LBB297_1075
; %bb.1068:                             ;   in Loop: Header=BB297_803 Depth=1
	v_cmp_ne_u16_sdwa s4, v11, v16 src0_sel:BYTE_0 src1_sel:DWORD
	v_mov_b32_e32 v32, 0x8000
	s_and_saveexec_b32 s13, s4
	s_cbranch_execz .LBB297_1074
; %bb.1069:                             ;   in Loop: Header=BB297_803 Depth=1
	v_and_b32_e32 v33, 0x7f, v11
	v_mov_b32_e32 v32, 0x7c01
	s_mov_b32 s15, exec_lo
	v_cmpx_ne_u32_e32 0x7f, v33
	s_cbranch_execz .LBB297_1073
; %bb.1070:                             ;   in Loop: Header=BB297_803 Depth=1
	v_and_b32_e32 v0, 7, v11
	v_lshrrev_b32_e32 v32, 3, v33
	s_mov_b32 s18, exec_lo
	v_cmpx_gt_u32_e32 8, v33
; %bb.1071:                             ;   in Loop: Header=BB297_803 Depth=1
	v_ffbh_u32_e32 v0, v0
	v_min_u32_e32 v0, 32, v0
	v_subrev_nc_u32_e32 v13, 28, v0
	v_sub_nc_u32_e32 v32, 29, v0
	v_lshlrev_b64 v[33:34], v13, v[11:12]
	v_and_b32_e32 v0, 7, v33
; %bb.1072:                             ;   in Loop: Header=BB297_803 Depth=1
	s_or_b32 exec_lo, exec_lo, s18
	v_lshlrev_b32_e32 v13, 8, v11
	v_lshl_add_u32 v32, v32, 10, 0x2000
	v_lshlrev_b32_e32 v0, 7, v0
	v_and_b32_e32 v13, 0x8000, v13
	v_and_b32_e32 v32, 0xfc00, v32
	v_or3_b32 v32, v13, v32, v0
.LBB297_1073:                           ;   in Loop: Header=BB297_803 Depth=1
	s_or_b32 exec_lo, exec_lo, s15
.LBB297_1074:                           ;   in Loop: Header=BB297_803 Depth=1
	s_or_b32 exec_lo, exec_lo, s13
.LBB297_1075:                           ;   in Loop: Header=BB297_803 Depth=1
	s_or_b32 exec_lo, exec_lo, s12
	v_lshrrev_b16 v0, 8, v11
	s_mov_b32 s12, exec_lo
	v_cmpx_ne_u16_e32 0, v0
	s_cbranch_execz .LBB297_1083
; %bb.1076:                             ;   in Loop: Header=BB297_803 Depth=1
	v_bfrev_b32_e32 v5, 1
	s_mov_b32 s13, exec_lo
	v_cmpx_ne_u16_e32 0x80, v0
	s_cbranch_execz .LBB297_1082
; %bb.1077:                             ;   in Loop: Header=BB297_803 Depth=1
	v_and_b32_sdwa v34, v0, v17 dst_sel:DWORD dst_unused:UNUSED_PAD src0_sel:WORD_0 src1_sel:DWORD
	v_mov_b32_e32 v5, 0x7c010000
	s_mov_b32 s15, exec_lo
	v_cmpx_ne_u32_e32 0x7f, v34
	s_cbranch_execz .LBB297_1081
; %bb.1078:                             ;   in Loop: Header=BB297_803 Depth=1
	v_and_b32_sdwa v5, v0, v38 dst_sel:DWORD dst_unused:UNUSED_PAD src0_sel:WORD_0 src1_sel:DWORD
	v_lshrrev_b32_e32 v33, 3, v34
	s_mov_b32 s18, exec_lo
	v_cmpx_gt_u32_e32 8, v34
; %bb.1079:                             ;   in Loop: Header=BB297_803 Depth=1
	v_ffbh_u32_e32 v5, v5
	v_min_u32_e32 v5, 32, v5
	v_subrev_nc_u32_e32 v13, 28, v5
	v_sub_nc_u32_e32 v33, 29, v5
	v_lshlrev_b64 v[86:87], v13, v[0:1]
	v_and_b32_e32 v5, 7, v86
; %bb.1080:                             ;   in Loop: Header=BB297_803 Depth=1
	s_or_b32 exec_lo, exec_lo, s18
	v_lshlrev_b32_sdwa v0, v39, v0 dst_sel:DWORD dst_unused:UNUSED_PAD src0_sel:DWORD src1_sel:WORD_0
	v_lshl_add_u32 v13, v33, 10, 0x2000
	v_lshlrev_b32_e32 v5, 23, v5
	v_and_or_b32 v0, 0x8000, v0, v13
	v_lshl_or_b32 v5, v0, 16, v5
.LBB297_1081:                           ;   in Loop: Header=BB297_803 Depth=1
	s_or_b32 exec_lo, exec_lo, s15
.LBB297_1082:                           ;   in Loop: Header=BB297_803 Depth=1
	s_or_b32 exec_lo, exec_lo, s13
.LBB297_1083:                           ;   in Loop: Header=BB297_803 Depth=1
	s_or_b32 exec_lo, exec_lo, s12
	v_lshrrev_b32_e32 v0, 16, v11
	v_mov_b32_e32 v34, 0
	v_mov_b32_e32 v36, 0
	v_cmp_ne_u16_sdwa s4, v0, v1 src0_sel:BYTE_0 src1_sel:DWORD
	s_and_saveexec_b32 s12, s4
	s_cbranch_execz .LBB297_1091
; %bb.1084:                             ;   in Loop: Header=BB297_803 Depth=1
	v_cmp_ne_u16_sdwa s4, v0, v16 src0_sel:BYTE_0 src1_sel:DWORD
	v_mov_b32_e32 v36, 0x8000
	s_and_saveexec_b32 s13, s4
	s_cbranch_execz .LBB297_1090
; %bb.1085:                             ;   in Loop: Header=BB297_803 Depth=1
	v_bfe_u32 v86, v11, 16, 7
	v_mov_b32_e32 v36, 0x7c01
	s_mov_b32 s15, exec_lo
	v_cmpx_ne_u32_e32 0x7f, v86
	s_cbranch_execz .LBB297_1089
; %bb.1086:                             ;   in Loop: Header=BB297_803 Depth=1
	v_and_b32_e32 v33, 7, v0
	v_lshrrev_b32_e32 v36, 3, v86
	s_mov_b32 s18, exec_lo
	v_cmpx_gt_u32_e32 8, v86
; %bb.1087:                             ;   in Loop: Header=BB297_803 Depth=1
	v_ffbh_u32_e32 v13, v33
	v_min_u32_e32 v13, 32, v13
	v_subrev_nc_u32_e32 v33, 28, v13
	v_sub_nc_u32_e32 v36, 29, v13
	v_lshlrev_b64 v[86:87], v33, v[0:1]
	v_and_b32_e32 v33, 7, v86
; %bb.1088:                             ;   in Loop: Header=BB297_803 Depth=1
	s_or_b32 exec_lo, exec_lo, s18
	v_lshlrev_b32_e32 v0, 8, v0
	v_lshl_add_u32 v13, v36, 10, 0x2000
	v_lshlrev_b32_e32 v33, 7, v33
	v_and_b32_e32 v0, 0x8000, v0
	v_and_b32_e32 v13, 0xfc00, v13
	v_or3_b32 v36, v0, v13, v33
.LBB297_1089:                           ;   in Loop: Header=BB297_803 Depth=1
	s_or_b32 exec_lo, exec_lo, s15
.LBB297_1090:                           ;   in Loop: Header=BB297_803 Depth=1
	s_or_b32 exec_lo, exec_lo, s13
.LBB297_1091:                           ;   in Loop: Header=BB297_803 Depth=1
	s_or_b32 exec_lo, exec_lo, s12
	s_mov_b32 s12, exec_lo
	v_cmpx_lt_u32_e32 0xffffff, v11
	s_cbranch_execz .LBB297_1099
; %bb.1092:                             ;   in Loop: Header=BB297_803 Depth=1
	v_lshrrev_b32_e32 v0, 24, v11
	v_bfrev_b32_e32 v34, 1
	s_mov_b32 s13, exec_lo
	v_cmpx_ne_u32_e32 0x80, v0
	s_cbranch_execz .LBB297_1098
; %bb.1093:                             ;   in Loop: Header=BB297_803 Depth=1
	v_and_b32_e32 v86, 0x7f, v0
	v_mov_b32_e32 v34, 0x7c010000
	s_mov_b32 s15, exec_lo
	v_cmpx_ne_u32_e32 0x7f, v86
	s_cbranch_execz .LBB297_1097
; %bb.1094:                             ;   in Loop: Header=BB297_803 Depth=1
	v_and_b32_e32 v33, 7, v0
	v_lshrrev_b32_e32 v34, 3, v86
	s_mov_b32 s18, exec_lo
	v_cmpx_gt_u32_e32 8, v86
; %bb.1095:                             ;   in Loop: Header=BB297_803 Depth=1
	v_ffbh_u32_e32 v13, v33
	v_min_u32_e32 v13, 32, v13
	v_subrev_nc_u32_e32 v33, 28, v13
	v_lshlrev_b64 v[33:34], v33, v[0:1]
	v_sub_nc_u32_e32 v34, 29, v13
	v_and_b32_e32 v33, 7, v33
; %bb.1096:                             ;   in Loop: Header=BB297_803 Depth=1
	s_or_b32 exec_lo, exec_lo, s18
	v_lshlrev_b32_e32 v0, 8, v0
	v_lshl_add_u32 v13, v34, 10, 0x2000
	v_and_or_b32 v0, 0x8000, v0, v13
	v_lshlrev_b32_e32 v13, 23, v33
	v_lshl_or_b32 v34, v0, 16, v13
.LBB297_1097:                           ;   in Loop: Header=BB297_803 Depth=1
	s_or_b32 exec_lo, exec_lo, s15
.LBB297_1098:                           ;   in Loop: Header=BB297_803 Depth=1
	s_or_b32 exec_lo, exec_lo, s13
.LBB297_1099:                           ;   in Loop: Header=BB297_803 Depth=1
	s_or_b32 exec_lo, exec_lo, s12
	v_mov_b32_e32 v0, v12
	v_cmp_ne_u16_sdwa s4, v12, v1 src0_sel:BYTE_0 src1_sel:DWORD
	v_mov_b32_e32 v33, 0
	v_mov_b32_e32 v86, 0
	s_and_saveexec_b32 s12, s4
	s_cbranch_execz .LBB297_1107
; %bb.1100:                             ;   in Loop: Header=BB297_803 Depth=1
	v_cmp_ne_u16_sdwa s4, v12, v16 src0_sel:BYTE_0 src1_sel:DWORD
	v_mov_b32_e32 v86, 0x8000
	s_and_saveexec_b32 s13, s4
	s_cbranch_execz .LBB297_1106
; %bb.1101:                             ;   in Loop: Header=BB297_803 Depth=1
	v_and_b32_e32 v96, 0x7f, v12
	v_mov_b32_e32 v86, 0x7c01
	s_mov_b32 s15, exec_lo
	v_cmpx_ne_u32_e32 0x7f, v96
	s_cbranch_execz .LBB297_1105
; %bb.1102:                             ;   in Loop: Header=BB297_803 Depth=1
	v_and_b32_e32 v86, 7, v12
	v_lshrrev_b32_e32 v87, 3, v96
	s_mov_b32 s18, exec_lo
	v_cmpx_gt_u32_e32 8, v96
; %bb.1103:                             ;   in Loop: Header=BB297_803 Depth=1
	v_ffbh_u32_e32 v13, v86
	v_min_u32_e32 v13, 32, v13
	v_subrev_nc_u32_e32 v86, 28, v13
	v_lshlrev_b64 v[86:87], v86, v[0:1]
	v_sub_nc_u32_e32 v87, 29, v13
	v_and_b32_e32 v86, 7, v86
; %bb.1104:                             ;   in Loop: Header=BB297_803 Depth=1
	s_or_b32 exec_lo, exec_lo, s18
	v_lshlrev_b32_e32 v13, 8, v12
	v_lshl_add_u32 v87, v87, 10, 0x2000
	v_lshlrev_b32_e32 v86, 7, v86
	v_and_b32_e32 v13, 0x8000, v13
	v_and_b32_e32 v87, 0xfc00, v87
	v_or3_b32 v86, v13, v87, v86
.LBB297_1105:                           ;   in Loop: Header=BB297_803 Depth=1
	s_or_b32 exec_lo, exec_lo, s15
.LBB297_1106:                           ;   in Loop: Header=BB297_803 Depth=1
	s_or_b32 exec_lo, exec_lo, s13
.LBB297_1107:                           ;   in Loop: Header=BB297_803 Depth=1
	s_or_b32 exec_lo, exec_lo, s12
	v_lshrrev_b16 v0, 8, v0
	v_mov_b32_e32 v87, 0
	s_mov_b32 s12, exec_lo
	v_cmpx_ne_u16_e32 0, v0
	s_cbranch_execz .LBB297_1115
; %bb.1108:                             ;   in Loop: Header=BB297_803 Depth=1
	v_bfrev_b32_e32 v87, 1
	s_mov_b32 s13, exec_lo
	v_cmpx_ne_u16_e32 0x80, v0
	s_cbranch_execz .LBB297_1114
; %bb.1109:                             ;   in Loop: Header=BB297_803 Depth=1
	v_and_b32_sdwa v97, v0, v17 dst_sel:DWORD dst_unused:UNUSED_PAD src0_sel:WORD_0 src1_sel:DWORD
	v_mov_b32_e32 v87, 0x7c010000
	s_mov_b32 s15, exec_lo
	v_cmpx_ne_u32_e32 0x7f, v97
	s_cbranch_execz .LBB297_1113
; %bb.1110:                             ;   in Loop: Header=BB297_803 Depth=1
	v_and_b32_sdwa v87, v0, v38 dst_sel:DWORD dst_unused:UNUSED_PAD src0_sel:WORD_0 src1_sel:DWORD
	v_lshrrev_b32_e32 v96, 3, v97
	s_mov_b32 s18, exec_lo
	v_cmpx_gt_u32_e32 8, v97
; %bb.1111:                             ;   in Loop: Header=BB297_803 Depth=1
	v_ffbh_u32_e32 v13, v87
	v_min_u32_e32 v13, 32, v13
	v_subrev_nc_u32_e32 v87, 28, v13
	v_sub_nc_u32_e32 v96, 29, v13
	v_lshlrev_b64 v[97:98], v87, v[0:1]
	v_and_b32_e32 v87, 7, v97
; %bb.1112:                             ;   in Loop: Header=BB297_803 Depth=1
	s_or_b32 exec_lo, exec_lo, s18
	v_lshlrev_b32_sdwa v0, v39, v0 dst_sel:DWORD dst_unused:UNUSED_PAD src0_sel:DWORD src1_sel:WORD_0
	v_lshl_add_u32 v13, v96, 10, 0x2000
	v_and_or_b32 v0, 0x8000, v0, v13
	v_lshlrev_b32_e32 v13, 23, v87
	v_lshl_or_b32 v87, v0, 16, v13
.LBB297_1113:                           ;   in Loop: Header=BB297_803 Depth=1
	s_or_b32 exec_lo, exec_lo, s15
.LBB297_1114:                           ;   in Loop: Header=BB297_803 Depth=1
	s_or_b32 exec_lo, exec_lo, s13
.LBB297_1115:                           ;   in Loop: Header=BB297_803 Depth=1
	s_or_b32 exec_lo, exec_lo, s12
	v_lshrrev_b32_e32 v0, 16, v12
	v_cmp_ne_u16_sdwa s4, v0, v1 src0_sel:BYTE_0 src1_sel:DWORD
	s_and_saveexec_b32 s12, s4
	s_cbranch_execz .LBB297_1123
; %bb.1116:                             ;   in Loop: Header=BB297_803 Depth=1
	v_cmp_ne_u16_sdwa s4, v0, v16 src0_sel:BYTE_0 src1_sel:DWORD
	v_mov_b32_e32 v33, 0x8000
	s_and_saveexec_b32 s13, s4
	s_cbranch_execz .LBB297_1122
; %bb.1117:                             ;   in Loop: Header=BB297_803 Depth=1
	v_bfe_u32 v97, v12, 16, 7
	v_mov_b32_e32 v33, 0x7c01
	s_mov_b32 s15, exec_lo
	v_cmpx_ne_u32_e32 0x7f, v97
	s_cbranch_execz .LBB297_1121
; %bb.1118:                             ;   in Loop: Header=BB297_803 Depth=1
	v_and_b32_e32 v33, 7, v0
	v_lshrrev_b32_e32 v96, 3, v97
	s_mov_b32 s18, exec_lo
	v_cmpx_gt_u32_e32 8, v97
; %bb.1119:                             ;   in Loop: Header=BB297_803 Depth=1
	v_ffbh_u32_e32 v13, v33
	v_min_u32_e32 v13, 32, v13
	v_subrev_nc_u32_e32 v33, 28, v13
	v_sub_nc_u32_e32 v96, 29, v13
	v_lshlrev_b64 v[97:98], v33, v[0:1]
	v_and_b32_e32 v33, 7, v97
; %bb.1120:                             ;   in Loop: Header=BB297_803 Depth=1
	s_or_b32 exec_lo, exec_lo, s18
	v_lshlrev_b32_e32 v0, 8, v0
	v_lshl_add_u32 v13, v96, 10, 0x2000
	v_lshlrev_b32_e32 v33, 7, v33
	v_and_b32_e32 v0, 0x8000, v0
	v_and_b32_e32 v13, 0xfc00, v13
	v_or3_b32 v33, v0, v13, v33
.LBB297_1121:                           ;   in Loop: Header=BB297_803 Depth=1
	s_or_b32 exec_lo, exec_lo, s15
.LBB297_1122:                           ;   in Loop: Header=BB297_803 Depth=1
	s_or_b32 exec_lo, exec_lo, s13
.LBB297_1123:                           ;   in Loop: Header=BB297_803 Depth=1
	s_or_b32 exec_lo, exec_lo, s12
	v_cmp_lt_u64_e64 s4, s[8:9], v[11:12]
	v_mov_b32_e32 v11, 0
	s_and_saveexec_b32 s12, s4
	s_cbranch_execz .LBB297_1131
; %bb.1124:                             ;   in Loop: Header=BB297_803 Depth=1
	v_lshrrev_b32_e32 v0, 24, v12
	v_bfrev_b32_e32 v11, 1
	s_mov_b32 s13, exec_lo
	v_cmpx_ne_u32_e32 0x80, v0
	s_cbranch_execz .LBB297_1130
; %bb.1125:                             ;   in Loop: Header=BB297_803 Depth=1
	v_and_b32_e32 v96, 0x7f, v0
	v_mov_b32_e32 v11, 0x7c010000
	s_mov_b32 s15, exec_lo
	v_cmpx_ne_u32_e32 0x7f, v96
	s_cbranch_execz .LBB297_1129
; %bb.1126:                             ;   in Loop: Header=BB297_803 Depth=1
	v_and_b32_e32 v11, 7, v0
	v_lshrrev_b32_e32 v12, 3, v96
	s_mov_b32 s18, exec_lo
	v_cmpx_gt_u32_e32 8, v96
; %bb.1127:                             ;   in Loop: Header=BB297_803 Depth=1
	v_ffbh_u32_e32 v11, v11
	v_min_u32_e32 v13, 32, v11
	v_subrev_nc_u32_e32 v11, 28, v13
	v_lshlrev_b64 v[11:12], v11, v[0:1]
	v_sub_nc_u32_e32 v12, 29, v13
	v_and_b32_e32 v11, 7, v11
; %bb.1128:                             ;   in Loop: Header=BB297_803 Depth=1
	s_or_b32 exec_lo, exec_lo, s18
	v_lshlrev_b32_e32 v0, 8, v0
	v_lshl_add_u32 v12, v12, 10, 0x2000
	v_lshlrev_b32_e32 v11, 23, v11
	v_and_or_b32 v0, 0x8000, v0, v12
	v_lshl_or_b32 v11, v0, 16, v11
.LBB297_1129:                           ;   in Loop: Header=BB297_803 Depth=1
	s_or_b32 exec_lo, exec_lo, s15
.LBB297_1130:                           ;   in Loop: Header=BB297_803 Depth=1
	s_or_b32 exec_lo, exec_lo, s13
.LBB297_1131:                           ;   in Loop: Header=BB297_803 Depth=1
	s_or_b32 exec_lo, exec_lo, s12
	v_or_b32_e32 v0, v34, v36
	s_waitcnt vmcnt(0) lgkmcnt(0)
	v_fma_mixlo_f16 v12, v4, v34, 0 op_sel:[0,1,0] op_sel_hi:[0,1,0]
	v_or_b32_e32 v13, v5, v32
	v_fma_mixlo_f16 v5, v4, v5, 0 op_sel:[0,1,0] op_sel_hi:[0,1,0]
	v_or_b32_e32 v34, v87, v86
	v_fma_mixlo_f16 v36, v4, v0, 0 op_sel_hi:[0,1,0]
	v_or_b32_e32 v33, v11, v33
	v_lshlrev_b32_e32 v0, 16, v12
	v_lshlrev_b32_e32 v32, 16, v5
	v_fma_mixlo_f16 v12, v4, v13, 0 op_sel_hi:[0,1,0]
	v_and_b32_e32 v5, 0xffff, v36
	v_fma_mixlo_f16 v13, v4, v87, 0 op_sel:[0,1,0] op_sel_hi:[0,1,0]
	v_fma_mixlo_f16 v34, v4, v34, 0 op_sel_hi:[0,1,0]
	v_fma_mixlo_f16 v36, v4, v11, 0 op_sel:[0,1,0] op_sel_hi:[0,1,0]
	v_fma_mixlo_f16 v33, v4, v33, 0 op_sel_hi:[0,1,0]
	v_and_b32_e32 v96, 0xffff, v12
	v_lshlrev_b32_e32 v11, 16, v13
	v_and_b32_e32 v34, 0xffff, v34
	v_lshlrev_b32_e32 v4, 16, v36
	v_and_b32_e32 v12, 0xffff, v33
	v_or_b32_e32 v33, v0, v5
	v_or_b32_e32 v87, v32, v96
	;; [unrolled: 1-line block ×4, first 2 shown]
	s_and_saveexec_b32 s12, vcc_lo
	s_cbranch_execz .LBB297_1133
; %bb.1132:                             ;   in Loop: Header=BB297_803 Depth=1
	v_cmp_lt_i32_e64 s4, v48, v35
	v_cndmask_b32_e64 v13, 0, v96, s4
	v_cmp_lt_i32_e64 s4, v71, v35
	v_cndmask_b32_e64 v32, 0, v32, s4
	v_cmp_lt_i32_e64 s4, v70, v35
	v_or_b32_e32 v87, v13, v32
	v_cndmask_b32_e64 v5, 0, v5, s4
	v_cmp_lt_i32_e64 s4, v68, v35
	v_cndmask_b32_e64 v0, 0, v0, s4
	v_cmp_lt_i32_e64 s4, v65, v35
	v_or_b32_e32 v33, v5, v0
	;; [unrolled: 5-line block ×3, first 2 shown]
	v_cndmask_b32_e64 v12, 0, v12, s4
	v_cmp_lt_i32_e64 s4, v14, v35
	v_cndmask_b32_e64 v4, 0, v4, s4
	v_or_b32_e32 v36, v12, v4
.LBB297_1133:                           ;   in Loop: Header=BB297_803 Depth=1
	s_or_b32 exec_lo, exec_lo, s12
	;;#ASMSTART
	v_pk_mul_f16 v0, v67, v87;

	;;#ASMEND
	;;#ASMSTART
	v_pk_mul_f16 v4, v64, v33;

	;;#ASMEND
	;; [unrolled: 4-line block ×4, first 2 shown]
	;;#ASMSTART
	v_pk_add_f16 v0, v0, v4;

	;;#ASMEND
	;;#ASMSTART
	v_pk_add_f16 v0, v0, v5;

	;;#ASMEND
	;; [unrolled: 4-line block ×3, first 2 shown]
	v_and_b32_e32 v4, 0xffff, v0
	v_lshrrev_b32_e32 v0, 16, v0
	;;#ASMSTART
	v_cvt_f32_f16 v86, v4;
	;;#ASMEND
	;;#ASMSTART
	v_cvt_f32_f16 v87, v0;
	;;#ASMEND
	flat_load_dwordx2 v[11:12], v[9:10] offset:1280
	flat_load_dword v4, v[26:27]
	v_mov_b32_e32 v5, 0
	v_mov_b32_e32 v32, 0
	s_waitcnt vmcnt(1) lgkmcnt(1)
	v_cmp_ne_u16_sdwa s4, v11, v1 src0_sel:BYTE_0 src1_sel:DWORD
	s_and_saveexec_b32 s12, s4
	s_cbranch_execz .LBB297_1141
; %bb.1134:                             ;   in Loop: Header=BB297_803 Depth=1
	v_cmp_ne_u16_sdwa s4, v11, v16 src0_sel:BYTE_0 src1_sel:DWORD
	v_mov_b32_e32 v32, 0x8000
	s_and_saveexec_b32 s13, s4
	s_cbranch_execz .LBB297_1140
; %bb.1135:                             ;   in Loop: Header=BB297_803 Depth=1
	v_and_b32_e32 v33, 0x7f, v11
	v_mov_b32_e32 v32, 0x7c01
	s_mov_b32 s15, exec_lo
	v_cmpx_ne_u32_e32 0x7f, v33
	s_cbranch_execz .LBB297_1139
; %bb.1136:                             ;   in Loop: Header=BB297_803 Depth=1
	v_and_b32_e32 v0, 7, v11
	v_lshrrev_b32_e32 v32, 3, v33
	s_mov_b32 s18, exec_lo
	v_cmpx_gt_u32_e32 8, v33
; %bb.1137:                             ;   in Loop: Header=BB297_803 Depth=1
	v_ffbh_u32_e32 v0, v0
	v_min_u32_e32 v0, 32, v0
	v_subrev_nc_u32_e32 v13, 28, v0
	v_sub_nc_u32_e32 v32, 29, v0
	v_lshlrev_b64 v[33:34], v13, v[11:12]
	v_and_b32_e32 v0, 7, v33
; %bb.1138:                             ;   in Loop: Header=BB297_803 Depth=1
	s_or_b32 exec_lo, exec_lo, s18
	v_lshlrev_b32_e32 v13, 8, v11
	v_lshl_add_u32 v32, v32, 10, 0x2000
	v_lshlrev_b32_e32 v0, 7, v0
	v_and_b32_e32 v13, 0x8000, v13
	v_and_b32_e32 v32, 0xfc00, v32
	v_or3_b32 v32, v13, v32, v0
.LBB297_1139:                           ;   in Loop: Header=BB297_803 Depth=1
	s_or_b32 exec_lo, exec_lo, s15
.LBB297_1140:                           ;   in Loop: Header=BB297_803 Depth=1
	s_or_b32 exec_lo, exec_lo, s13
.LBB297_1141:                           ;   in Loop: Header=BB297_803 Depth=1
	s_or_b32 exec_lo, exec_lo, s12
	v_lshrrev_b16 v0, 8, v11
	s_mov_b32 s12, exec_lo
	v_cmpx_ne_u16_e32 0, v0
	s_cbranch_execz .LBB297_1149
; %bb.1142:                             ;   in Loop: Header=BB297_803 Depth=1
	v_bfrev_b32_e32 v5, 1
	s_mov_b32 s13, exec_lo
	v_cmpx_ne_u16_e32 0x80, v0
	s_cbranch_execz .LBB297_1148
; %bb.1143:                             ;   in Loop: Header=BB297_803 Depth=1
	v_and_b32_sdwa v34, v0, v17 dst_sel:DWORD dst_unused:UNUSED_PAD src0_sel:WORD_0 src1_sel:DWORD
	v_mov_b32_e32 v5, 0x7c010000
	s_mov_b32 s15, exec_lo
	v_cmpx_ne_u32_e32 0x7f, v34
	s_cbranch_execz .LBB297_1147
; %bb.1144:                             ;   in Loop: Header=BB297_803 Depth=1
	v_and_b32_sdwa v5, v0, v38 dst_sel:DWORD dst_unused:UNUSED_PAD src0_sel:WORD_0 src1_sel:DWORD
	v_lshrrev_b32_e32 v33, 3, v34
	s_mov_b32 s18, exec_lo
	v_cmpx_gt_u32_e32 8, v34
; %bb.1145:                             ;   in Loop: Header=BB297_803 Depth=1
	v_ffbh_u32_e32 v5, v5
	v_min_u32_e32 v5, 32, v5
	v_subrev_nc_u32_e32 v13, 28, v5
	v_sub_nc_u32_e32 v33, 29, v5
	v_lshlrev_b64 v[96:97], v13, v[0:1]
	v_and_b32_e32 v5, 7, v96
; %bb.1146:                             ;   in Loop: Header=BB297_803 Depth=1
	s_or_b32 exec_lo, exec_lo, s18
	v_lshlrev_b32_sdwa v0, v39, v0 dst_sel:DWORD dst_unused:UNUSED_PAD src0_sel:DWORD src1_sel:WORD_0
	v_lshl_add_u32 v13, v33, 10, 0x2000
	v_lshlrev_b32_e32 v5, 23, v5
	v_and_or_b32 v0, 0x8000, v0, v13
	v_lshl_or_b32 v5, v0, 16, v5
.LBB297_1147:                           ;   in Loop: Header=BB297_803 Depth=1
	s_or_b32 exec_lo, exec_lo, s15
.LBB297_1148:                           ;   in Loop: Header=BB297_803 Depth=1
	s_or_b32 exec_lo, exec_lo, s13
.LBB297_1149:                           ;   in Loop: Header=BB297_803 Depth=1
	s_or_b32 exec_lo, exec_lo, s12
	v_lshrrev_b32_e32 v0, 16, v11
	v_mov_b32_e32 v34, 0
	v_mov_b32_e32 v36, 0
	v_cmp_ne_u16_sdwa s4, v0, v1 src0_sel:BYTE_0 src1_sel:DWORD
	s_and_saveexec_b32 s12, s4
	s_cbranch_execz .LBB297_1157
; %bb.1150:                             ;   in Loop: Header=BB297_803 Depth=1
	v_cmp_ne_u16_sdwa s4, v0, v16 src0_sel:BYTE_0 src1_sel:DWORD
	v_mov_b32_e32 v36, 0x8000
	s_and_saveexec_b32 s13, s4
	s_cbranch_execz .LBB297_1156
; %bb.1151:                             ;   in Loop: Header=BB297_803 Depth=1
	v_bfe_u32 v96, v11, 16, 7
	v_mov_b32_e32 v36, 0x7c01
	s_mov_b32 s15, exec_lo
	v_cmpx_ne_u32_e32 0x7f, v96
	s_cbranch_execz .LBB297_1155
; %bb.1152:                             ;   in Loop: Header=BB297_803 Depth=1
	v_and_b32_e32 v33, 7, v0
	v_lshrrev_b32_e32 v36, 3, v96
	s_mov_b32 s18, exec_lo
	v_cmpx_gt_u32_e32 8, v96
; %bb.1153:                             ;   in Loop: Header=BB297_803 Depth=1
	v_ffbh_u32_e32 v13, v33
	v_min_u32_e32 v13, 32, v13
	v_subrev_nc_u32_e32 v33, 28, v13
	v_sub_nc_u32_e32 v36, 29, v13
	v_lshlrev_b64 v[96:97], v33, v[0:1]
	v_and_b32_e32 v33, 7, v96
; %bb.1154:                             ;   in Loop: Header=BB297_803 Depth=1
	s_or_b32 exec_lo, exec_lo, s18
	v_lshlrev_b32_e32 v0, 8, v0
	v_lshl_add_u32 v13, v36, 10, 0x2000
	v_lshlrev_b32_e32 v33, 7, v33
	v_and_b32_e32 v0, 0x8000, v0
	v_and_b32_e32 v13, 0xfc00, v13
	v_or3_b32 v36, v0, v13, v33
.LBB297_1155:                           ;   in Loop: Header=BB297_803 Depth=1
	s_or_b32 exec_lo, exec_lo, s15
.LBB297_1156:                           ;   in Loop: Header=BB297_803 Depth=1
	s_or_b32 exec_lo, exec_lo, s13
.LBB297_1157:                           ;   in Loop: Header=BB297_803 Depth=1
	s_or_b32 exec_lo, exec_lo, s12
	s_mov_b32 s12, exec_lo
	v_cmpx_lt_u32_e32 0xffffff, v11
	s_cbranch_execz .LBB297_1165
; %bb.1158:                             ;   in Loop: Header=BB297_803 Depth=1
	v_lshrrev_b32_e32 v0, 24, v11
	v_bfrev_b32_e32 v34, 1
	s_mov_b32 s13, exec_lo
	v_cmpx_ne_u32_e32 0x80, v0
	s_cbranch_execz .LBB297_1164
; %bb.1159:                             ;   in Loop: Header=BB297_803 Depth=1
	v_and_b32_e32 v96, 0x7f, v0
	v_mov_b32_e32 v34, 0x7c010000
	s_mov_b32 s15, exec_lo
	v_cmpx_ne_u32_e32 0x7f, v96
	s_cbranch_execz .LBB297_1163
; %bb.1160:                             ;   in Loop: Header=BB297_803 Depth=1
	v_and_b32_e32 v33, 7, v0
	v_lshrrev_b32_e32 v34, 3, v96
	s_mov_b32 s18, exec_lo
	v_cmpx_gt_u32_e32 8, v96
; %bb.1161:                             ;   in Loop: Header=BB297_803 Depth=1
	v_ffbh_u32_e32 v13, v33
	v_min_u32_e32 v13, 32, v13
	v_subrev_nc_u32_e32 v33, 28, v13
	v_lshlrev_b64 v[33:34], v33, v[0:1]
	v_sub_nc_u32_e32 v34, 29, v13
	v_and_b32_e32 v33, 7, v33
; %bb.1162:                             ;   in Loop: Header=BB297_803 Depth=1
	s_or_b32 exec_lo, exec_lo, s18
	v_lshlrev_b32_e32 v0, 8, v0
	v_lshl_add_u32 v13, v34, 10, 0x2000
	v_and_or_b32 v0, 0x8000, v0, v13
	v_lshlrev_b32_e32 v13, 23, v33
	v_lshl_or_b32 v34, v0, 16, v13
.LBB297_1163:                           ;   in Loop: Header=BB297_803 Depth=1
	s_or_b32 exec_lo, exec_lo, s15
.LBB297_1164:                           ;   in Loop: Header=BB297_803 Depth=1
	s_or_b32 exec_lo, exec_lo, s13
.LBB297_1165:                           ;   in Loop: Header=BB297_803 Depth=1
	s_or_b32 exec_lo, exec_lo, s12
	v_mov_b32_e32 v0, v12
	v_cmp_ne_u16_sdwa s4, v12, v1 src0_sel:BYTE_0 src1_sel:DWORD
	v_mov_b32_e32 v33, 0
	v_mov_b32_e32 v96, 0
	s_and_saveexec_b32 s12, s4
	s_cbranch_execz .LBB297_1173
; %bb.1166:                             ;   in Loop: Header=BB297_803 Depth=1
	v_cmp_ne_u16_sdwa s4, v12, v16 src0_sel:BYTE_0 src1_sel:DWORD
	v_mov_b32_e32 v96, 0x8000
	s_and_saveexec_b32 s13, s4
	s_cbranch_execz .LBB297_1172
; %bb.1167:                             ;   in Loop: Header=BB297_803 Depth=1
	v_and_b32_e32 v98, 0x7f, v12
	v_mov_b32_e32 v96, 0x7c01
	s_mov_b32 s15, exec_lo
	v_cmpx_ne_u32_e32 0x7f, v98
	s_cbranch_execz .LBB297_1171
; %bb.1168:                             ;   in Loop: Header=BB297_803 Depth=1
	v_and_b32_e32 v96, 7, v12
	v_lshrrev_b32_e32 v97, 3, v98
	s_mov_b32 s18, exec_lo
	v_cmpx_gt_u32_e32 8, v98
; %bb.1169:                             ;   in Loop: Header=BB297_803 Depth=1
	v_ffbh_u32_e32 v13, v96
	v_min_u32_e32 v13, 32, v13
	v_subrev_nc_u32_e32 v96, 28, v13
	v_lshlrev_b64 v[96:97], v96, v[0:1]
	v_sub_nc_u32_e32 v97, 29, v13
	v_and_b32_e32 v96, 7, v96
; %bb.1170:                             ;   in Loop: Header=BB297_803 Depth=1
	s_or_b32 exec_lo, exec_lo, s18
	v_lshlrev_b32_e32 v13, 8, v12
	v_lshl_add_u32 v97, v97, 10, 0x2000
	v_lshlrev_b32_e32 v96, 7, v96
	v_and_b32_e32 v13, 0x8000, v13
	v_and_b32_e32 v97, 0xfc00, v97
	v_or3_b32 v96, v13, v97, v96
.LBB297_1171:                           ;   in Loop: Header=BB297_803 Depth=1
	s_or_b32 exec_lo, exec_lo, s15
.LBB297_1172:                           ;   in Loop: Header=BB297_803 Depth=1
	s_or_b32 exec_lo, exec_lo, s13
.LBB297_1173:                           ;   in Loop: Header=BB297_803 Depth=1
	s_or_b32 exec_lo, exec_lo, s12
	v_lshrrev_b16 v0, 8, v0
	v_mov_b32_e32 v97, 0
	s_mov_b32 s12, exec_lo
	v_cmpx_ne_u16_e32 0, v0
	s_cbranch_execz .LBB297_1181
; %bb.1174:                             ;   in Loop: Header=BB297_803 Depth=1
	v_bfrev_b32_e32 v97, 1
	s_mov_b32 s13, exec_lo
	v_cmpx_ne_u16_e32 0x80, v0
	s_cbranch_execz .LBB297_1180
; %bb.1175:                             ;   in Loop: Header=BB297_803 Depth=1
	v_and_b32_sdwa v99, v0, v17 dst_sel:DWORD dst_unused:UNUSED_PAD src0_sel:WORD_0 src1_sel:DWORD
	v_mov_b32_e32 v97, 0x7c010000
	s_mov_b32 s15, exec_lo
	v_cmpx_ne_u32_e32 0x7f, v99
	s_cbranch_execz .LBB297_1179
; %bb.1176:                             ;   in Loop: Header=BB297_803 Depth=1
	v_and_b32_sdwa v97, v0, v38 dst_sel:DWORD dst_unused:UNUSED_PAD src0_sel:WORD_0 src1_sel:DWORD
	v_lshrrev_b32_e32 v98, 3, v99
	s_mov_b32 s18, exec_lo
	v_cmpx_gt_u32_e32 8, v99
; %bb.1177:                             ;   in Loop: Header=BB297_803 Depth=1
	v_ffbh_u32_e32 v13, v97
	v_min_u32_e32 v13, 32, v13
	v_subrev_nc_u32_e32 v97, 28, v13
	v_lshlrev_b64 v[97:98], v97, v[0:1]
	v_sub_nc_u32_e32 v98, 29, v13
	v_and_b32_e32 v97, 7, v97
; %bb.1178:                             ;   in Loop: Header=BB297_803 Depth=1
	s_or_b32 exec_lo, exec_lo, s18
	v_lshlrev_b32_sdwa v0, v39, v0 dst_sel:DWORD dst_unused:UNUSED_PAD src0_sel:DWORD src1_sel:WORD_0
	v_lshl_add_u32 v13, v98, 10, 0x2000
	v_and_or_b32 v0, 0x8000, v0, v13
	v_lshlrev_b32_e32 v13, 23, v97
	v_lshl_or_b32 v97, v0, 16, v13
.LBB297_1179:                           ;   in Loop: Header=BB297_803 Depth=1
	s_or_b32 exec_lo, exec_lo, s15
.LBB297_1180:                           ;   in Loop: Header=BB297_803 Depth=1
	s_or_b32 exec_lo, exec_lo, s13
.LBB297_1181:                           ;   in Loop: Header=BB297_803 Depth=1
	s_or_b32 exec_lo, exec_lo, s12
	v_lshrrev_b32_e32 v0, 16, v12
	v_cmp_ne_u16_sdwa s4, v0, v1 src0_sel:BYTE_0 src1_sel:DWORD
	s_and_saveexec_b32 s12, s4
	s_cbranch_execz .LBB297_1189
; %bb.1182:                             ;   in Loop: Header=BB297_803 Depth=1
	v_cmp_ne_u16_sdwa s4, v0, v16 src0_sel:BYTE_0 src1_sel:DWORD
	v_mov_b32_e32 v33, 0x8000
	s_and_saveexec_b32 s13, s4
	s_cbranch_execz .LBB297_1188
; %bb.1183:                             ;   in Loop: Header=BB297_803 Depth=1
	v_bfe_u32 v99, v12, 16, 7
	v_mov_b32_e32 v33, 0x7c01
	s_mov_b32 s15, exec_lo
	v_cmpx_ne_u32_e32 0x7f, v99
	s_cbranch_execz .LBB297_1187
; %bb.1184:                             ;   in Loop: Header=BB297_803 Depth=1
	v_and_b32_e32 v33, 7, v0
	v_lshrrev_b32_e32 v98, 3, v99
	s_mov_b32 s18, exec_lo
	v_cmpx_gt_u32_e32 8, v99
; %bb.1185:                             ;   in Loop: Header=BB297_803 Depth=1
	v_ffbh_u32_e32 v13, v33
	v_min_u32_e32 v13, 32, v13
	v_subrev_nc_u32_e32 v33, 28, v13
	v_sub_nc_u32_e32 v98, 29, v13
	v_lshlrev_b64 v[99:100], v33, v[0:1]
	v_and_b32_e32 v33, 7, v99
; %bb.1186:                             ;   in Loop: Header=BB297_803 Depth=1
	s_or_b32 exec_lo, exec_lo, s18
	v_lshlrev_b32_e32 v0, 8, v0
	v_lshl_add_u32 v13, v98, 10, 0x2000
	v_lshlrev_b32_e32 v33, 7, v33
	v_and_b32_e32 v0, 0x8000, v0
	v_and_b32_e32 v13, 0xfc00, v13
	v_or3_b32 v33, v0, v13, v33
.LBB297_1187:                           ;   in Loop: Header=BB297_803 Depth=1
	s_or_b32 exec_lo, exec_lo, s15
.LBB297_1188:                           ;   in Loop: Header=BB297_803 Depth=1
	s_or_b32 exec_lo, exec_lo, s13
.LBB297_1189:                           ;   in Loop: Header=BB297_803 Depth=1
	s_or_b32 exec_lo, exec_lo, s12
	v_cmp_lt_u64_e64 s4, s[8:9], v[11:12]
	v_mov_b32_e32 v11, 0
	s_and_saveexec_b32 s12, s4
	s_cbranch_execz .LBB297_1197
; %bb.1190:                             ;   in Loop: Header=BB297_803 Depth=1
	v_lshrrev_b32_e32 v0, 24, v12
	v_bfrev_b32_e32 v11, 1
	s_mov_b32 s13, exec_lo
	v_cmpx_ne_u32_e32 0x80, v0
	s_cbranch_execz .LBB297_1196
; %bb.1191:                             ;   in Loop: Header=BB297_803 Depth=1
	v_and_b32_e32 v98, 0x7f, v0
	v_mov_b32_e32 v11, 0x7c010000
	s_mov_b32 s15, exec_lo
	v_cmpx_ne_u32_e32 0x7f, v98
	s_cbranch_execz .LBB297_1195
; %bb.1192:                             ;   in Loop: Header=BB297_803 Depth=1
	v_and_b32_e32 v11, 7, v0
	v_lshrrev_b32_e32 v12, 3, v98
	s_mov_b32 s18, exec_lo
	v_cmpx_gt_u32_e32 8, v98
; %bb.1193:                             ;   in Loop: Header=BB297_803 Depth=1
	v_ffbh_u32_e32 v11, v11
	v_min_u32_e32 v13, 32, v11
	v_subrev_nc_u32_e32 v11, 28, v13
	v_lshlrev_b64 v[11:12], v11, v[0:1]
	v_sub_nc_u32_e32 v12, 29, v13
	v_and_b32_e32 v11, 7, v11
; %bb.1194:                             ;   in Loop: Header=BB297_803 Depth=1
	s_or_b32 exec_lo, exec_lo, s18
	v_lshlrev_b32_e32 v0, 8, v0
	v_lshl_add_u32 v12, v12, 10, 0x2000
	v_lshlrev_b32_e32 v11, 23, v11
	v_and_or_b32 v0, 0x8000, v0, v12
	v_lshl_or_b32 v11, v0, 16, v11
.LBB297_1195:                           ;   in Loop: Header=BB297_803 Depth=1
	s_or_b32 exec_lo, exec_lo, s15
.LBB297_1196:                           ;   in Loop: Header=BB297_803 Depth=1
	s_or_b32 exec_lo, exec_lo, s13
.LBB297_1197:                           ;   in Loop: Header=BB297_803 Depth=1
	s_or_b32 exec_lo, exec_lo, s12
	v_or_b32_e32 v0, v34, v36
	s_waitcnt vmcnt(0) lgkmcnt(0)
	v_fma_mixlo_f16 v12, v4, v34, 0 op_sel:[0,1,0] op_sel_hi:[0,1,0]
	v_or_b32_e32 v13, v5, v32
	v_fma_mixlo_f16 v5, v4, v5, 0 op_sel:[0,1,0] op_sel_hi:[0,1,0]
	v_or_b32_e32 v34, v97, v96
	v_fma_mixlo_f16 v36, v4, v0, 0 op_sel_hi:[0,1,0]
	v_or_b32_e32 v33, v11, v33
	v_lshlrev_b32_e32 v0, 16, v12
	v_lshlrev_b32_e32 v32, 16, v5
	v_fma_mixlo_f16 v12, v4, v13, 0 op_sel_hi:[0,1,0]
	v_and_b32_e32 v5, 0xffff, v36
	v_fma_mixlo_f16 v13, v4, v97, 0 op_sel:[0,1,0] op_sel_hi:[0,1,0]
	v_fma_mixlo_f16 v34, v4, v34, 0 op_sel_hi:[0,1,0]
	v_fma_mixlo_f16 v36, v4, v11, 0 op_sel:[0,1,0] op_sel_hi:[0,1,0]
	v_fma_mixlo_f16 v33, v4, v33, 0 op_sel_hi:[0,1,0]
	v_and_b32_e32 v98, 0xffff, v12
	v_lshlrev_b32_e32 v11, 16, v13
	v_and_b32_e32 v34, 0xffff, v34
	v_lshlrev_b32_e32 v4, 16, v36
	v_and_b32_e32 v12, 0xffff, v33
	v_or_b32_e32 v33, v0, v5
	v_or_b32_e32 v97, v32, v98
	;; [unrolled: 1-line block ×4, first 2 shown]
	s_and_saveexec_b32 s12, vcc_lo
	s_cbranch_execz .LBB297_1199
; %bb.1198:                             ;   in Loop: Header=BB297_803 Depth=1
	v_cmp_lt_i32_e64 s4, v48, v35
	v_cndmask_b32_e64 v13, 0, v98, s4
	v_cmp_lt_i32_e64 s4, v71, v35
	v_cndmask_b32_e64 v32, 0, v32, s4
	v_cmp_lt_i32_e64 s4, v70, v35
	v_or_b32_e32 v97, v13, v32
	v_cndmask_b32_e64 v5, 0, v5, s4
	v_cmp_lt_i32_e64 s4, v68, v35
	v_cndmask_b32_e64 v0, 0, v0, s4
	v_cmp_lt_i32_e64 s4, v65, v35
	v_or_b32_e32 v33, v5, v0
	;; [unrolled: 5-line block ×3, first 2 shown]
	v_cndmask_b32_e64 v12, 0, v12, s4
	v_cmp_lt_i32_e64 s4, v14, v35
	v_cndmask_b32_e64 v4, 0, v4, s4
	v_or_b32_e32 v36, v12, v4
.LBB297_1199:                           ;   in Loop: Header=BB297_803 Depth=1
	s_or_b32 exec_lo, exec_lo, s12
	;;#ASMSTART
	v_pk_mul_f16 v0, v67, v97;

	;;#ASMEND
	;;#ASMSTART
	v_pk_mul_f16 v4, v64, v33;

	;;#ASMEND
	;; [unrolled: 4-line block ×4, first 2 shown]
	;;#ASMSTART
	v_pk_add_f16 v0, v0, v4;

	;;#ASMEND
	;;#ASMSTART
	v_pk_add_f16 v0, v0, v5;

	;;#ASMEND
	;;#ASMSTART
	v_pk_add_f16 v0, v0, v11;

	;;#ASMEND
	v_and_b32_e32 v4, 0xffff, v0
	v_lshrrev_b32_e32 v0, 16, v0
	;;#ASMSTART
	v_cvt_f32_f16 v96, v4;
	;;#ASMEND
	;;#ASMSTART
	v_cvt_f32_f16 v97, v0;
	;;#ASMEND
	flat_load_dwordx2 v[11:12], v[9:10] offset:1536
	flat_load_dword v4, v[26:27]
	v_mov_b32_e32 v5, 0
	v_mov_b32_e32 v32, 0
	s_waitcnt vmcnt(1) lgkmcnt(1)
	v_cmp_ne_u16_sdwa s4, v11, v1 src0_sel:BYTE_0 src1_sel:DWORD
	s_and_saveexec_b32 s12, s4
	s_cbranch_execz .LBB297_1207
; %bb.1200:                             ;   in Loop: Header=BB297_803 Depth=1
	v_cmp_ne_u16_sdwa s4, v11, v16 src0_sel:BYTE_0 src1_sel:DWORD
	v_mov_b32_e32 v32, 0x8000
	s_and_saveexec_b32 s13, s4
	s_cbranch_execz .LBB297_1206
; %bb.1201:                             ;   in Loop: Header=BB297_803 Depth=1
	v_and_b32_e32 v33, 0x7f, v11
	v_mov_b32_e32 v32, 0x7c01
	s_mov_b32 s15, exec_lo
	v_cmpx_ne_u32_e32 0x7f, v33
	s_cbranch_execz .LBB297_1205
; %bb.1202:                             ;   in Loop: Header=BB297_803 Depth=1
	v_and_b32_e32 v0, 7, v11
	v_lshrrev_b32_e32 v32, 3, v33
	s_mov_b32 s18, exec_lo
	v_cmpx_gt_u32_e32 8, v33
; %bb.1203:                             ;   in Loop: Header=BB297_803 Depth=1
	v_ffbh_u32_e32 v0, v0
	v_min_u32_e32 v0, 32, v0
	v_subrev_nc_u32_e32 v13, 28, v0
	v_sub_nc_u32_e32 v32, 29, v0
	v_lshlrev_b64 v[33:34], v13, v[11:12]
	v_and_b32_e32 v0, 7, v33
; %bb.1204:                             ;   in Loop: Header=BB297_803 Depth=1
	s_or_b32 exec_lo, exec_lo, s18
	v_lshlrev_b32_e32 v13, 8, v11
	v_lshl_add_u32 v32, v32, 10, 0x2000
	v_lshlrev_b32_e32 v0, 7, v0
	v_and_b32_e32 v13, 0x8000, v13
	v_and_b32_e32 v32, 0xfc00, v32
	v_or3_b32 v32, v13, v32, v0
.LBB297_1205:                           ;   in Loop: Header=BB297_803 Depth=1
	s_or_b32 exec_lo, exec_lo, s15
.LBB297_1206:                           ;   in Loop: Header=BB297_803 Depth=1
	s_or_b32 exec_lo, exec_lo, s13
.LBB297_1207:                           ;   in Loop: Header=BB297_803 Depth=1
	s_or_b32 exec_lo, exec_lo, s12
	v_lshrrev_b16 v0, 8, v11
	s_mov_b32 s12, exec_lo
	v_cmpx_ne_u16_e32 0, v0
	s_cbranch_execz .LBB297_1215
; %bb.1208:                             ;   in Loop: Header=BB297_803 Depth=1
	v_bfrev_b32_e32 v5, 1
	s_mov_b32 s13, exec_lo
	v_cmpx_ne_u16_e32 0x80, v0
	s_cbranch_execz .LBB297_1214
; %bb.1209:                             ;   in Loop: Header=BB297_803 Depth=1
	v_and_b32_sdwa v34, v0, v17 dst_sel:DWORD dst_unused:UNUSED_PAD src0_sel:WORD_0 src1_sel:DWORD
	v_mov_b32_e32 v5, 0x7c010000
	s_mov_b32 s15, exec_lo
	v_cmpx_ne_u32_e32 0x7f, v34
	s_cbranch_execz .LBB297_1213
; %bb.1210:                             ;   in Loop: Header=BB297_803 Depth=1
	v_and_b32_sdwa v5, v0, v38 dst_sel:DWORD dst_unused:UNUSED_PAD src0_sel:WORD_0 src1_sel:DWORD
	v_lshrrev_b32_e32 v33, 3, v34
	s_mov_b32 s18, exec_lo
	v_cmpx_gt_u32_e32 8, v34
; %bb.1211:                             ;   in Loop: Header=BB297_803 Depth=1
	v_ffbh_u32_e32 v5, v5
	v_min_u32_e32 v5, 32, v5
	v_subrev_nc_u32_e32 v13, 28, v5
	v_sub_nc_u32_e32 v33, 29, v5
	v_lshlrev_b64 v[98:99], v13, v[0:1]
	v_and_b32_e32 v5, 7, v98
; %bb.1212:                             ;   in Loop: Header=BB297_803 Depth=1
	s_or_b32 exec_lo, exec_lo, s18
	v_lshlrev_b32_sdwa v0, v39, v0 dst_sel:DWORD dst_unused:UNUSED_PAD src0_sel:DWORD src1_sel:WORD_0
	v_lshl_add_u32 v13, v33, 10, 0x2000
	v_lshlrev_b32_e32 v5, 23, v5
	v_and_or_b32 v0, 0x8000, v0, v13
	v_lshl_or_b32 v5, v0, 16, v5
.LBB297_1213:                           ;   in Loop: Header=BB297_803 Depth=1
	s_or_b32 exec_lo, exec_lo, s15
.LBB297_1214:                           ;   in Loop: Header=BB297_803 Depth=1
	s_or_b32 exec_lo, exec_lo, s13
.LBB297_1215:                           ;   in Loop: Header=BB297_803 Depth=1
	s_or_b32 exec_lo, exec_lo, s12
	v_lshrrev_b32_e32 v0, 16, v11
	v_mov_b32_e32 v34, 0
	v_mov_b32_e32 v36, 0
	v_cmp_ne_u16_sdwa s4, v0, v1 src0_sel:BYTE_0 src1_sel:DWORD
	s_and_saveexec_b32 s12, s4
	s_cbranch_execz .LBB297_1223
; %bb.1216:                             ;   in Loop: Header=BB297_803 Depth=1
	v_cmp_ne_u16_sdwa s4, v0, v16 src0_sel:BYTE_0 src1_sel:DWORD
	v_mov_b32_e32 v36, 0x8000
	s_and_saveexec_b32 s13, s4
	s_cbranch_execz .LBB297_1222
; %bb.1217:                             ;   in Loop: Header=BB297_803 Depth=1
	v_bfe_u32 v98, v11, 16, 7
	v_mov_b32_e32 v36, 0x7c01
	s_mov_b32 s15, exec_lo
	v_cmpx_ne_u32_e32 0x7f, v98
	s_cbranch_execz .LBB297_1221
; %bb.1218:                             ;   in Loop: Header=BB297_803 Depth=1
	v_and_b32_e32 v33, 7, v0
	v_lshrrev_b32_e32 v36, 3, v98
	s_mov_b32 s18, exec_lo
	v_cmpx_gt_u32_e32 8, v98
; %bb.1219:                             ;   in Loop: Header=BB297_803 Depth=1
	v_ffbh_u32_e32 v13, v33
	v_min_u32_e32 v13, 32, v13
	v_subrev_nc_u32_e32 v33, 28, v13
	v_sub_nc_u32_e32 v36, 29, v13
	v_lshlrev_b64 v[98:99], v33, v[0:1]
	v_and_b32_e32 v33, 7, v98
; %bb.1220:                             ;   in Loop: Header=BB297_803 Depth=1
	s_or_b32 exec_lo, exec_lo, s18
	v_lshlrev_b32_e32 v0, 8, v0
	v_lshl_add_u32 v13, v36, 10, 0x2000
	v_lshlrev_b32_e32 v33, 7, v33
	v_and_b32_e32 v0, 0x8000, v0
	v_and_b32_e32 v13, 0xfc00, v13
	v_or3_b32 v36, v0, v13, v33
.LBB297_1221:                           ;   in Loop: Header=BB297_803 Depth=1
	s_or_b32 exec_lo, exec_lo, s15
.LBB297_1222:                           ;   in Loop: Header=BB297_803 Depth=1
	s_or_b32 exec_lo, exec_lo, s13
.LBB297_1223:                           ;   in Loop: Header=BB297_803 Depth=1
	s_or_b32 exec_lo, exec_lo, s12
	s_mov_b32 s12, exec_lo
	v_cmpx_lt_u32_e32 0xffffff, v11
	s_cbranch_execz .LBB297_1231
; %bb.1224:                             ;   in Loop: Header=BB297_803 Depth=1
	v_lshrrev_b32_e32 v0, 24, v11
	v_bfrev_b32_e32 v34, 1
	s_mov_b32 s13, exec_lo
	v_cmpx_ne_u32_e32 0x80, v0
	s_cbranch_execz .LBB297_1230
; %bb.1225:                             ;   in Loop: Header=BB297_803 Depth=1
	v_and_b32_e32 v98, 0x7f, v0
	v_mov_b32_e32 v34, 0x7c010000
	s_mov_b32 s15, exec_lo
	v_cmpx_ne_u32_e32 0x7f, v98
	s_cbranch_execz .LBB297_1229
; %bb.1226:                             ;   in Loop: Header=BB297_803 Depth=1
	v_and_b32_e32 v33, 7, v0
	v_lshrrev_b32_e32 v34, 3, v98
	s_mov_b32 s18, exec_lo
	v_cmpx_gt_u32_e32 8, v98
; %bb.1227:                             ;   in Loop: Header=BB297_803 Depth=1
	v_ffbh_u32_e32 v13, v33
	v_min_u32_e32 v13, 32, v13
	v_subrev_nc_u32_e32 v33, 28, v13
	v_lshlrev_b64 v[33:34], v33, v[0:1]
	v_sub_nc_u32_e32 v34, 29, v13
	v_and_b32_e32 v33, 7, v33
; %bb.1228:                             ;   in Loop: Header=BB297_803 Depth=1
	s_or_b32 exec_lo, exec_lo, s18
	v_lshlrev_b32_e32 v0, 8, v0
	v_lshl_add_u32 v13, v34, 10, 0x2000
	v_and_or_b32 v0, 0x8000, v0, v13
	v_lshlrev_b32_e32 v13, 23, v33
	v_lshl_or_b32 v34, v0, 16, v13
.LBB297_1229:                           ;   in Loop: Header=BB297_803 Depth=1
	s_or_b32 exec_lo, exec_lo, s15
.LBB297_1230:                           ;   in Loop: Header=BB297_803 Depth=1
	s_or_b32 exec_lo, exec_lo, s13
.LBB297_1231:                           ;   in Loop: Header=BB297_803 Depth=1
	s_or_b32 exec_lo, exec_lo, s12
	v_mov_b32_e32 v0, v12
	v_cmp_ne_u16_sdwa s4, v12, v1 src0_sel:BYTE_0 src1_sel:DWORD
	v_mov_b32_e32 v33, 0
	v_mov_b32_e32 v98, 0
	s_and_saveexec_b32 s12, s4
	s_cbranch_execz .LBB297_1239
; %bb.1232:                             ;   in Loop: Header=BB297_803 Depth=1
	v_cmp_ne_u16_sdwa s4, v12, v16 src0_sel:BYTE_0 src1_sel:DWORD
	v_mov_b32_e32 v98, 0x8000
	s_and_saveexec_b32 s13, s4
	s_cbranch_execz .LBB297_1238
; %bb.1233:                             ;   in Loop: Header=BB297_803 Depth=1
	v_and_b32_e32 v100, 0x7f, v12
	v_mov_b32_e32 v98, 0x7c01
	s_mov_b32 s15, exec_lo
	v_cmpx_ne_u32_e32 0x7f, v100
	s_cbranch_execz .LBB297_1237
; %bb.1234:                             ;   in Loop: Header=BB297_803 Depth=1
	v_and_b32_e32 v98, 7, v12
	v_lshrrev_b32_e32 v99, 3, v100
	s_mov_b32 s18, exec_lo
	v_cmpx_gt_u32_e32 8, v100
; %bb.1235:                             ;   in Loop: Header=BB297_803 Depth=1
	v_ffbh_u32_e32 v13, v98
	v_min_u32_e32 v13, 32, v13
	v_subrev_nc_u32_e32 v98, 28, v13
	v_lshlrev_b64 v[98:99], v98, v[0:1]
	v_sub_nc_u32_e32 v99, 29, v13
	v_and_b32_e32 v98, 7, v98
; %bb.1236:                             ;   in Loop: Header=BB297_803 Depth=1
	s_or_b32 exec_lo, exec_lo, s18
	v_lshlrev_b32_e32 v13, 8, v12
	v_lshl_add_u32 v99, v99, 10, 0x2000
	v_lshlrev_b32_e32 v98, 7, v98
	v_and_b32_e32 v13, 0x8000, v13
	v_and_b32_e32 v99, 0xfc00, v99
	v_or3_b32 v98, v13, v99, v98
.LBB297_1237:                           ;   in Loop: Header=BB297_803 Depth=1
	s_or_b32 exec_lo, exec_lo, s15
.LBB297_1238:                           ;   in Loop: Header=BB297_803 Depth=1
	s_or_b32 exec_lo, exec_lo, s13
.LBB297_1239:                           ;   in Loop: Header=BB297_803 Depth=1
	s_or_b32 exec_lo, exec_lo, s12
	v_lshrrev_b16 v0, 8, v0
	v_mov_b32_e32 v99, 0
	s_mov_b32 s12, exec_lo
	v_cmpx_ne_u16_e32 0, v0
	s_cbranch_execz .LBB297_1247
; %bb.1240:                             ;   in Loop: Header=BB297_803 Depth=1
	v_bfrev_b32_e32 v99, 1
	s_mov_b32 s13, exec_lo
	v_cmpx_ne_u16_e32 0x80, v0
	s_cbranch_execz .LBB297_1246
; %bb.1241:                             ;   in Loop: Header=BB297_803 Depth=1
	v_and_b32_sdwa v101, v0, v17 dst_sel:DWORD dst_unused:UNUSED_PAD src0_sel:WORD_0 src1_sel:DWORD
	v_mov_b32_e32 v99, 0x7c010000
	s_mov_b32 s15, exec_lo
	v_cmpx_ne_u32_e32 0x7f, v101
	s_cbranch_execz .LBB297_1245
; %bb.1242:                             ;   in Loop: Header=BB297_803 Depth=1
	v_and_b32_sdwa v99, v0, v38 dst_sel:DWORD dst_unused:UNUSED_PAD src0_sel:WORD_0 src1_sel:DWORD
	v_lshrrev_b32_e32 v100, 3, v101
	s_mov_b32 s18, exec_lo
	v_cmpx_gt_u32_e32 8, v101
; %bb.1243:                             ;   in Loop: Header=BB297_803 Depth=1
	v_ffbh_u32_e32 v13, v99
	v_min_u32_e32 v13, 32, v13
	v_subrev_nc_u32_e32 v99, 28, v13
	v_lshlrev_b64 v[99:100], v99, v[0:1]
	v_sub_nc_u32_e32 v100, 29, v13
	v_and_b32_e32 v99, 7, v99
; %bb.1244:                             ;   in Loop: Header=BB297_803 Depth=1
	s_or_b32 exec_lo, exec_lo, s18
	v_lshlrev_b32_sdwa v0, v39, v0 dst_sel:DWORD dst_unused:UNUSED_PAD src0_sel:DWORD src1_sel:WORD_0
	v_lshl_add_u32 v13, v100, 10, 0x2000
	v_and_or_b32 v0, 0x8000, v0, v13
	v_lshlrev_b32_e32 v13, 23, v99
	v_lshl_or_b32 v99, v0, 16, v13
.LBB297_1245:                           ;   in Loop: Header=BB297_803 Depth=1
	s_or_b32 exec_lo, exec_lo, s15
.LBB297_1246:                           ;   in Loop: Header=BB297_803 Depth=1
	s_or_b32 exec_lo, exec_lo, s13
.LBB297_1247:                           ;   in Loop: Header=BB297_803 Depth=1
	s_or_b32 exec_lo, exec_lo, s12
	v_lshrrev_b32_e32 v0, 16, v12
	v_cmp_ne_u16_sdwa s4, v0, v1 src0_sel:BYTE_0 src1_sel:DWORD
	s_and_saveexec_b32 s12, s4
	s_cbranch_execz .LBB297_1255
; %bb.1248:                             ;   in Loop: Header=BB297_803 Depth=1
	v_cmp_ne_u16_sdwa s4, v0, v16 src0_sel:BYTE_0 src1_sel:DWORD
	v_mov_b32_e32 v33, 0x8000
	s_and_saveexec_b32 s13, s4
	s_cbranch_execz .LBB297_1254
; %bb.1249:                             ;   in Loop: Header=BB297_803 Depth=1
	v_bfe_u32 v101, v12, 16, 7
	v_mov_b32_e32 v33, 0x7c01
	s_mov_b32 s15, exec_lo
	v_cmpx_ne_u32_e32 0x7f, v101
	s_cbranch_execz .LBB297_1253
; %bb.1250:                             ;   in Loop: Header=BB297_803 Depth=1
	v_and_b32_e32 v33, 7, v0
	v_lshrrev_b32_e32 v100, 3, v101
	s_mov_b32 s18, exec_lo
	v_cmpx_gt_u32_e32 8, v101
; %bb.1251:                             ;   in Loop: Header=BB297_803 Depth=1
	v_ffbh_u32_e32 v13, v33
	v_min_u32_e32 v13, 32, v13
	v_subrev_nc_u32_e32 v33, 28, v13
	v_sub_nc_u32_e32 v100, 29, v13
	v_lshlrev_b64 v[101:102], v33, v[0:1]
	v_and_b32_e32 v33, 7, v101
; %bb.1252:                             ;   in Loop: Header=BB297_803 Depth=1
	s_or_b32 exec_lo, exec_lo, s18
	v_lshlrev_b32_e32 v0, 8, v0
	v_lshl_add_u32 v13, v100, 10, 0x2000
	v_lshlrev_b32_e32 v33, 7, v33
	v_and_b32_e32 v0, 0x8000, v0
	v_and_b32_e32 v13, 0xfc00, v13
	v_or3_b32 v33, v0, v13, v33
.LBB297_1253:                           ;   in Loop: Header=BB297_803 Depth=1
	s_or_b32 exec_lo, exec_lo, s15
.LBB297_1254:                           ;   in Loop: Header=BB297_803 Depth=1
	s_or_b32 exec_lo, exec_lo, s13
.LBB297_1255:                           ;   in Loop: Header=BB297_803 Depth=1
	s_or_b32 exec_lo, exec_lo, s12
	v_cmp_lt_u64_e64 s4, s[8:9], v[11:12]
	v_mov_b32_e32 v11, 0
	s_and_saveexec_b32 s12, s4
	s_cbranch_execz .LBB297_1263
; %bb.1256:                             ;   in Loop: Header=BB297_803 Depth=1
	v_lshrrev_b32_e32 v0, 24, v12
	v_bfrev_b32_e32 v11, 1
	s_mov_b32 s13, exec_lo
	v_cmpx_ne_u32_e32 0x80, v0
	s_cbranch_execz .LBB297_1262
; %bb.1257:                             ;   in Loop: Header=BB297_803 Depth=1
	v_and_b32_e32 v100, 0x7f, v0
	v_mov_b32_e32 v11, 0x7c010000
	s_mov_b32 s15, exec_lo
	v_cmpx_ne_u32_e32 0x7f, v100
	s_cbranch_execz .LBB297_1261
; %bb.1258:                             ;   in Loop: Header=BB297_803 Depth=1
	v_and_b32_e32 v11, 7, v0
	v_lshrrev_b32_e32 v12, 3, v100
	s_mov_b32 s18, exec_lo
	v_cmpx_gt_u32_e32 8, v100
; %bb.1259:                             ;   in Loop: Header=BB297_803 Depth=1
	v_ffbh_u32_e32 v11, v11
	v_min_u32_e32 v13, 32, v11
	v_subrev_nc_u32_e32 v11, 28, v13
	v_lshlrev_b64 v[11:12], v11, v[0:1]
	v_sub_nc_u32_e32 v12, 29, v13
	v_and_b32_e32 v11, 7, v11
; %bb.1260:                             ;   in Loop: Header=BB297_803 Depth=1
	s_or_b32 exec_lo, exec_lo, s18
	v_lshlrev_b32_e32 v0, 8, v0
	v_lshl_add_u32 v12, v12, 10, 0x2000
	v_lshlrev_b32_e32 v11, 23, v11
	v_and_or_b32 v0, 0x8000, v0, v12
	v_lshl_or_b32 v11, v0, 16, v11
.LBB297_1261:                           ;   in Loop: Header=BB297_803 Depth=1
	s_or_b32 exec_lo, exec_lo, s15
.LBB297_1262:                           ;   in Loop: Header=BB297_803 Depth=1
	s_or_b32 exec_lo, exec_lo, s13
.LBB297_1263:                           ;   in Loop: Header=BB297_803 Depth=1
	s_or_b32 exec_lo, exec_lo, s12
	v_or_b32_e32 v0, v34, v36
	s_waitcnt vmcnt(0) lgkmcnt(0)
	v_fma_mixlo_f16 v12, v4, v34, 0 op_sel:[0,1,0] op_sel_hi:[0,1,0]
	v_or_b32_e32 v13, v5, v32
	v_fma_mixlo_f16 v5, v4, v5, 0 op_sel:[0,1,0] op_sel_hi:[0,1,0]
	v_or_b32_e32 v34, v99, v98
	v_fma_mixlo_f16 v36, v4, v0, 0 op_sel_hi:[0,1,0]
	v_or_b32_e32 v33, v11, v33
	v_lshlrev_b32_e32 v0, 16, v12
	v_lshlrev_b32_e32 v32, 16, v5
	v_fma_mixlo_f16 v12, v4, v13, 0 op_sel_hi:[0,1,0]
	v_and_b32_e32 v5, 0xffff, v36
	v_fma_mixlo_f16 v13, v4, v99, 0 op_sel:[0,1,0] op_sel_hi:[0,1,0]
	v_fma_mixlo_f16 v34, v4, v34, 0 op_sel_hi:[0,1,0]
	v_fma_mixlo_f16 v36, v4, v11, 0 op_sel:[0,1,0] op_sel_hi:[0,1,0]
	v_fma_mixlo_f16 v33, v4, v33, 0 op_sel_hi:[0,1,0]
	v_and_b32_e32 v100, 0xffff, v12
	v_lshlrev_b32_e32 v11, 16, v13
	v_and_b32_e32 v34, 0xffff, v34
	v_lshlrev_b32_e32 v4, 16, v36
	v_and_b32_e32 v12, 0xffff, v33
	v_or_b32_e32 v33, v0, v5
	v_or_b32_e32 v99, v32, v100
	;; [unrolled: 1-line block ×4, first 2 shown]
	s_and_saveexec_b32 s12, vcc_lo
	s_cbranch_execz .LBB297_1265
; %bb.1264:                             ;   in Loop: Header=BB297_803 Depth=1
	v_cmp_lt_i32_e64 s4, v48, v35
	v_cndmask_b32_e64 v13, 0, v100, s4
	v_cmp_lt_i32_e64 s4, v71, v35
	v_cndmask_b32_e64 v32, 0, v32, s4
	v_cmp_lt_i32_e64 s4, v70, v35
	v_or_b32_e32 v99, v13, v32
	v_cndmask_b32_e64 v5, 0, v5, s4
	v_cmp_lt_i32_e64 s4, v68, v35
	v_cndmask_b32_e64 v0, 0, v0, s4
	v_cmp_lt_i32_e64 s4, v65, v35
	v_or_b32_e32 v33, v5, v0
	;; [unrolled: 5-line block ×3, first 2 shown]
	v_cndmask_b32_e64 v12, 0, v12, s4
	v_cmp_lt_i32_e64 s4, v14, v35
	v_cndmask_b32_e64 v4, 0, v4, s4
	v_or_b32_e32 v36, v12, v4
.LBB297_1265:                           ;   in Loop: Header=BB297_803 Depth=1
	s_or_b32 exec_lo, exec_lo, s12
	;;#ASMSTART
	v_pk_mul_f16 v0, v67, v99;

	;;#ASMEND
	;;#ASMSTART
	v_pk_mul_f16 v4, v64, v33;

	;;#ASMEND
	;; [unrolled: 4-line block ×4, first 2 shown]
	;;#ASMSTART
	v_pk_add_f16 v0, v0, v4;

	;;#ASMEND
	;;#ASMSTART
	v_pk_add_f16 v0, v0, v5;

	;;#ASMEND
	;;#ASMSTART
	v_pk_add_f16 v0, v0, v11;

	;;#ASMEND
	v_and_b32_e32 v4, 0xffff, v0
	v_lshrrev_b32_e32 v0, 16, v0
	;;#ASMSTART
	v_cvt_f32_f16 v98, v4;
	;;#ASMEND
	;;#ASMSTART
	v_cvt_f32_f16 v99, v0;
	;;#ASMEND
	flat_load_dwordx2 v[11:12], v[9:10] offset:1792
	flat_load_dword v4, v[26:27]
	v_mov_b32_e32 v5, 0
	v_mov_b32_e32 v32, 0
	s_waitcnt vmcnt(1) lgkmcnt(1)
	v_cmp_ne_u16_sdwa s4, v11, v1 src0_sel:BYTE_0 src1_sel:DWORD
	s_and_saveexec_b32 s12, s4
	s_cbranch_execz .LBB297_1273
; %bb.1266:                             ;   in Loop: Header=BB297_803 Depth=1
	v_cmp_ne_u16_sdwa s4, v11, v16 src0_sel:BYTE_0 src1_sel:DWORD
	v_mov_b32_e32 v32, 0x8000
	s_and_saveexec_b32 s13, s4
	s_cbranch_execz .LBB297_1272
; %bb.1267:                             ;   in Loop: Header=BB297_803 Depth=1
	v_and_b32_e32 v33, 0x7f, v11
	v_mov_b32_e32 v32, 0x7c01
	s_mov_b32 s15, exec_lo
	v_cmpx_ne_u32_e32 0x7f, v33
	s_cbranch_execz .LBB297_1271
; %bb.1268:                             ;   in Loop: Header=BB297_803 Depth=1
	v_and_b32_e32 v0, 7, v11
	v_lshrrev_b32_e32 v32, 3, v33
	s_mov_b32 s18, exec_lo
	v_cmpx_gt_u32_e32 8, v33
; %bb.1269:                             ;   in Loop: Header=BB297_803 Depth=1
	v_ffbh_u32_e32 v0, v0
	v_min_u32_e32 v0, 32, v0
	v_subrev_nc_u32_e32 v13, 28, v0
	v_sub_nc_u32_e32 v32, 29, v0
	v_lshlrev_b64 v[33:34], v13, v[11:12]
	v_and_b32_e32 v0, 7, v33
; %bb.1270:                             ;   in Loop: Header=BB297_803 Depth=1
	s_or_b32 exec_lo, exec_lo, s18
	v_lshlrev_b32_e32 v13, 8, v11
	v_lshl_add_u32 v32, v32, 10, 0x2000
	v_lshlrev_b32_e32 v0, 7, v0
	v_and_b32_e32 v13, 0x8000, v13
	v_and_b32_e32 v32, 0xfc00, v32
	v_or3_b32 v32, v13, v32, v0
.LBB297_1271:                           ;   in Loop: Header=BB297_803 Depth=1
	s_or_b32 exec_lo, exec_lo, s15
.LBB297_1272:                           ;   in Loop: Header=BB297_803 Depth=1
	s_or_b32 exec_lo, exec_lo, s13
.LBB297_1273:                           ;   in Loop: Header=BB297_803 Depth=1
	s_or_b32 exec_lo, exec_lo, s12
	v_lshrrev_b16 v0, 8, v11
	s_mov_b32 s12, exec_lo
	v_cmpx_ne_u16_e32 0, v0
	s_cbranch_execz .LBB297_1281
; %bb.1274:                             ;   in Loop: Header=BB297_803 Depth=1
	v_bfrev_b32_e32 v5, 1
	s_mov_b32 s13, exec_lo
	v_cmpx_ne_u16_e32 0x80, v0
	s_cbranch_execz .LBB297_1280
; %bb.1275:                             ;   in Loop: Header=BB297_803 Depth=1
	v_and_b32_sdwa v34, v0, v17 dst_sel:DWORD dst_unused:UNUSED_PAD src0_sel:WORD_0 src1_sel:DWORD
	v_mov_b32_e32 v5, 0x7c010000
	s_mov_b32 s15, exec_lo
	v_cmpx_ne_u32_e32 0x7f, v34
	s_cbranch_execz .LBB297_1279
; %bb.1276:                             ;   in Loop: Header=BB297_803 Depth=1
	v_and_b32_sdwa v5, v0, v38 dst_sel:DWORD dst_unused:UNUSED_PAD src0_sel:WORD_0 src1_sel:DWORD
	v_lshrrev_b32_e32 v33, 3, v34
	s_mov_b32 s18, exec_lo
	v_cmpx_gt_u32_e32 8, v34
; %bb.1277:                             ;   in Loop: Header=BB297_803 Depth=1
	v_ffbh_u32_e32 v5, v5
	v_min_u32_e32 v5, 32, v5
	v_subrev_nc_u32_e32 v13, 28, v5
	v_sub_nc_u32_e32 v33, 29, v5
	v_lshlrev_b64 v[100:101], v13, v[0:1]
	v_and_b32_e32 v5, 7, v100
; %bb.1278:                             ;   in Loop: Header=BB297_803 Depth=1
	s_or_b32 exec_lo, exec_lo, s18
	v_lshlrev_b32_sdwa v0, v39, v0 dst_sel:DWORD dst_unused:UNUSED_PAD src0_sel:DWORD src1_sel:WORD_0
	v_lshl_add_u32 v13, v33, 10, 0x2000
	v_lshlrev_b32_e32 v5, 23, v5
	v_and_or_b32 v0, 0x8000, v0, v13
	v_lshl_or_b32 v5, v0, 16, v5
.LBB297_1279:                           ;   in Loop: Header=BB297_803 Depth=1
	s_or_b32 exec_lo, exec_lo, s15
.LBB297_1280:                           ;   in Loop: Header=BB297_803 Depth=1
	s_or_b32 exec_lo, exec_lo, s13
.LBB297_1281:                           ;   in Loop: Header=BB297_803 Depth=1
	s_or_b32 exec_lo, exec_lo, s12
	v_lshrrev_b32_e32 v0, 16, v11
	v_mov_b32_e32 v34, 0
	v_mov_b32_e32 v36, 0
	v_cmp_ne_u16_sdwa s4, v0, v1 src0_sel:BYTE_0 src1_sel:DWORD
	s_and_saveexec_b32 s12, s4
	s_cbranch_execz .LBB297_1289
; %bb.1282:                             ;   in Loop: Header=BB297_803 Depth=1
	v_cmp_ne_u16_sdwa s4, v0, v16 src0_sel:BYTE_0 src1_sel:DWORD
	v_mov_b32_e32 v36, 0x8000
	s_and_saveexec_b32 s13, s4
	s_cbranch_execz .LBB297_1288
; %bb.1283:                             ;   in Loop: Header=BB297_803 Depth=1
	v_bfe_u32 v100, v11, 16, 7
	v_mov_b32_e32 v36, 0x7c01
	s_mov_b32 s15, exec_lo
	v_cmpx_ne_u32_e32 0x7f, v100
	s_cbranch_execz .LBB297_1287
; %bb.1284:                             ;   in Loop: Header=BB297_803 Depth=1
	v_and_b32_e32 v33, 7, v0
	v_lshrrev_b32_e32 v36, 3, v100
	s_mov_b32 s18, exec_lo
	v_cmpx_gt_u32_e32 8, v100
; %bb.1285:                             ;   in Loop: Header=BB297_803 Depth=1
	v_ffbh_u32_e32 v13, v33
	v_min_u32_e32 v13, 32, v13
	v_subrev_nc_u32_e32 v33, 28, v13
	v_sub_nc_u32_e32 v36, 29, v13
	v_lshlrev_b64 v[100:101], v33, v[0:1]
	v_and_b32_e32 v33, 7, v100
; %bb.1286:                             ;   in Loop: Header=BB297_803 Depth=1
	s_or_b32 exec_lo, exec_lo, s18
	v_lshlrev_b32_e32 v0, 8, v0
	v_lshl_add_u32 v13, v36, 10, 0x2000
	v_lshlrev_b32_e32 v33, 7, v33
	v_and_b32_e32 v0, 0x8000, v0
	v_and_b32_e32 v13, 0xfc00, v13
	v_or3_b32 v36, v0, v13, v33
.LBB297_1287:                           ;   in Loop: Header=BB297_803 Depth=1
	s_or_b32 exec_lo, exec_lo, s15
.LBB297_1288:                           ;   in Loop: Header=BB297_803 Depth=1
	s_or_b32 exec_lo, exec_lo, s13
.LBB297_1289:                           ;   in Loop: Header=BB297_803 Depth=1
	s_or_b32 exec_lo, exec_lo, s12
	s_mov_b32 s12, exec_lo
	v_cmpx_lt_u32_e32 0xffffff, v11
	s_cbranch_execz .LBB297_1297
; %bb.1290:                             ;   in Loop: Header=BB297_803 Depth=1
	v_lshrrev_b32_e32 v0, 24, v11
	v_bfrev_b32_e32 v34, 1
	s_mov_b32 s13, exec_lo
	v_cmpx_ne_u32_e32 0x80, v0
	s_cbranch_execz .LBB297_1296
; %bb.1291:                             ;   in Loop: Header=BB297_803 Depth=1
	v_and_b32_e32 v100, 0x7f, v0
	v_mov_b32_e32 v34, 0x7c010000
	s_mov_b32 s15, exec_lo
	v_cmpx_ne_u32_e32 0x7f, v100
	s_cbranch_execz .LBB297_1295
; %bb.1292:                             ;   in Loop: Header=BB297_803 Depth=1
	v_and_b32_e32 v33, 7, v0
	v_lshrrev_b32_e32 v34, 3, v100
	s_mov_b32 s18, exec_lo
	v_cmpx_gt_u32_e32 8, v100
; %bb.1293:                             ;   in Loop: Header=BB297_803 Depth=1
	v_ffbh_u32_e32 v13, v33
	v_min_u32_e32 v13, 32, v13
	v_subrev_nc_u32_e32 v33, 28, v13
	v_lshlrev_b64 v[33:34], v33, v[0:1]
	v_sub_nc_u32_e32 v34, 29, v13
	v_and_b32_e32 v33, 7, v33
; %bb.1294:                             ;   in Loop: Header=BB297_803 Depth=1
	s_or_b32 exec_lo, exec_lo, s18
	v_lshlrev_b32_e32 v0, 8, v0
	v_lshl_add_u32 v13, v34, 10, 0x2000
	v_and_or_b32 v0, 0x8000, v0, v13
	v_lshlrev_b32_e32 v13, 23, v33
	v_lshl_or_b32 v34, v0, 16, v13
.LBB297_1295:                           ;   in Loop: Header=BB297_803 Depth=1
	s_or_b32 exec_lo, exec_lo, s15
.LBB297_1296:                           ;   in Loop: Header=BB297_803 Depth=1
	s_or_b32 exec_lo, exec_lo, s13
.LBB297_1297:                           ;   in Loop: Header=BB297_803 Depth=1
	s_or_b32 exec_lo, exec_lo, s12
	v_mov_b32_e32 v0, v12
	v_cmp_ne_u16_sdwa s4, v12, v1 src0_sel:BYTE_0 src1_sel:DWORD
	v_mov_b32_e32 v33, 0
	v_mov_b32_e32 v100, 0
	s_and_saveexec_b32 s12, s4
	s_cbranch_execz .LBB297_1305
; %bb.1298:                             ;   in Loop: Header=BB297_803 Depth=1
	v_cmp_ne_u16_sdwa s4, v12, v16 src0_sel:BYTE_0 src1_sel:DWORD
	v_mov_b32_e32 v100, 0x8000
	s_and_saveexec_b32 s13, s4
	s_cbranch_execz .LBB297_1304
; %bb.1299:                             ;   in Loop: Header=BB297_803 Depth=1
	v_and_b32_e32 v102, 0x7f, v12
	v_mov_b32_e32 v100, 0x7c01
	s_mov_b32 s15, exec_lo
	v_cmpx_ne_u32_e32 0x7f, v102
	s_cbranch_execz .LBB297_1303
; %bb.1300:                             ;   in Loop: Header=BB297_803 Depth=1
	v_and_b32_e32 v100, 7, v12
	v_lshrrev_b32_e32 v101, 3, v102
	s_mov_b32 s18, exec_lo
	v_cmpx_gt_u32_e32 8, v102
; %bb.1301:                             ;   in Loop: Header=BB297_803 Depth=1
	v_ffbh_u32_e32 v13, v100
	v_min_u32_e32 v13, 32, v13
	v_subrev_nc_u32_e32 v100, 28, v13
	v_lshlrev_b64 v[100:101], v100, v[0:1]
	v_sub_nc_u32_e32 v101, 29, v13
	v_and_b32_e32 v100, 7, v100
; %bb.1302:                             ;   in Loop: Header=BB297_803 Depth=1
	s_or_b32 exec_lo, exec_lo, s18
	v_lshlrev_b32_e32 v13, 8, v12
	v_lshl_add_u32 v101, v101, 10, 0x2000
	v_lshlrev_b32_e32 v100, 7, v100
	v_and_b32_e32 v13, 0x8000, v13
	v_and_b32_e32 v101, 0xfc00, v101
	v_or3_b32 v100, v13, v101, v100
.LBB297_1303:                           ;   in Loop: Header=BB297_803 Depth=1
	s_or_b32 exec_lo, exec_lo, s15
.LBB297_1304:                           ;   in Loop: Header=BB297_803 Depth=1
	s_or_b32 exec_lo, exec_lo, s13
.LBB297_1305:                           ;   in Loop: Header=BB297_803 Depth=1
	s_or_b32 exec_lo, exec_lo, s12
	v_lshrrev_b16 v0, 8, v0
	v_mov_b32_e32 v101, 0
	s_mov_b32 s12, exec_lo
	v_cmpx_ne_u16_e32 0, v0
	s_cbranch_execz .LBB297_1313
; %bb.1306:                             ;   in Loop: Header=BB297_803 Depth=1
	v_bfrev_b32_e32 v101, 1
	s_mov_b32 s13, exec_lo
	v_cmpx_ne_u16_e32 0x80, v0
	s_cbranch_execz .LBB297_1312
; %bb.1307:                             ;   in Loop: Header=BB297_803 Depth=1
	v_and_b32_sdwa v103, v0, v17 dst_sel:DWORD dst_unused:UNUSED_PAD src0_sel:WORD_0 src1_sel:DWORD
	v_mov_b32_e32 v101, 0x7c010000
	s_mov_b32 s15, exec_lo
	v_cmpx_ne_u32_e32 0x7f, v103
	s_cbranch_execz .LBB297_1311
; %bb.1308:                             ;   in Loop: Header=BB297_803 Depth=1
	v_and_b32_sdwa v101, v0, v38 dst_sel:DWORD dst_unused:UNUSED_PAD src0_sel:WORD_0 src1_sel:DWORD
	v_lshrrev_b32_e32 v102, 3, v103
	s_mov_b32 s18, exec_lo
	v_cmpx_gt_u32_e32 8, v103
; %bb.1309:                             ;   in Loop: Header=BB297_803 Depth=1
	v_ffbh_u32_e32 v13, v101
	v_min_u32_e32 v13, 32, v13
	v_subrev_nc_u32_e32 v101, 28, v13
	v_lshlrev_b64 v[101:102], v101, v[0:1]
	v_sub_nc_u32_e32 v102, 29, v13
	v_and_b32_e32 v101, 7, v101
; %bb.1310:                             ;   in Loop: Header=BB297_803 Depth=1
	s_or_b32 exec_lo, exec_lo, s18
	v_lshlrev_b32_sdwa v0, v39, v0 dst_sel:DWORD dst_unused:UNUSED_PAD src0_sel:DWORD src1_sel:WORD_0
	v_lshl_add_u32 v13, v102, 10, 0x2000
	v_and_or_b32 v0, 0x8000, v0, v13
	v_lshlrev_b32_e32 v13, 23, v101
	v_lshl_or_b32 v101, v0, 16, v13
.LBB297_1311:                           ;   in Loop: Header=BB297_803 Depth=1
	s_or_b32 exec_lo, exec_lo, s15
.LBB297_1312:                           ;   in Loop: Header=BB297_803 Depth=1
	s_or_b32 exec_lo, exec_lo, s13
.LBB297_1313:                           ;   in Loop: Header=BB297_803 Depth=1
	s_or_b32 exec_lo, exec_lo, s12
	v_lshrrev_b32_e32 v0, 16, v12
	v_cmp_ne_u16_sdwa s4, v0, v1 src0_sel:BYTE_0 src1_sel:DWORD
	s_and_saveexec_b32 s12, s4
	s_cbranch_execz .LBB297_1321
; %bb.1314:                             ;   in Loop: Header=BB297_803 Depth=1
	v_cmp_ne_u16_sdwa s4, v0, v16 src0_sel:BYTE_0 src1_sel:DWORD
	v_mov_b32_e32 v33, 0x8000
	s_and_saveexec_b32 s13, s4
	s_cbranch_execz .LBB297_1320
; %bb.1315:                             ;   in Loop: Header=BB297_803 Depth=1
	v_bfe_u32 v103, v12, 16, 7
	v_mov_b32_e32 v33, 0x7c01
	s_mov_b32 s15, exec_lo
	v_cmpx_ne_u32_e32 0x7f, v103
	s_cbranch_execz .LBB297_1319
; %bb.1316:                             ;   in Loop: Header=BB297_803 Depth=1
	v_and_b32_e32 v33, 7, v0
	v_lshrrev_b32_e32 v102, 3, v103
	s_mov_b32 s18, exec_lo
	v_cmpx_gt_u32_e32 8, v103
; %bb.1317:                             ;   in Loop: Header=BB297_803 Depth=1
	v_ffbh_u32_e32 v13, v33
	v_min_u32_e32 v13, 32, v13
	v_subrev_nc_u32_e32 v33, 28, v13
	v_sub_nc_u32_e32 v102, 29, v13
	v_lshlrev_b64 v[112:113], v33, v[0:1]
	v_and_b32_e32 v33, 7, v112
; %bb.1318:                             ;   in Loop: Header=BB297_803 Depth=1
	s_or_b32 exec_lo, exec_lo, s18
	v_lshlrev_b32_e32 v0, 8, v0
	v_lshl_add_u32 v13, v102, 10, 0x2000
	v_lshlrev_b32_e32 v33, 7, v33
	v_and_b32_e32 v0, 0x8000, v0
	v_and_b32_e32 v13, 0xfc00, v13
	v_or3_b32 v33, v0, v13, v33
.LBB297_1319:                           ;   in Loop: Header=BB297_803 Depth=1
	s_or_b32 exec_lo, exec_lo, s15
.LBB297_1320:                           ;   in Loop: Header=BB297_803 Depth=1
	s_or_b32 exec_lo, exec_lo, s13
.LBB297_1321:                           ;   in Loop: Header=BB297_803 Depth=1
	s_or_b32 exec_lo, exec_lo, s12
	v_cmp_lt_u64_e64 s4, s[8:9], v[11:12]
	v_mov_b32_e32 v11, 0
	s_and_saveexec_b32 s12, s4
	s_cbranch_execz .LBB297_1329
; %bb.1322:                             ;   in Loop: Header=BB297_803 Depth=1
	v_lshrrev_b32_e32 v0, 24, v12
	v_bfrev_b32_e32 v11, 1
	s_mov_b32 s13, exec_lo
	v_cmpx_ne_u32_e32 0x80, v0
	s_cbranch_execz .LBB297_1328
; %bb.1323:                             ;   in Loop: Header=BB297_803 Depth=1
	v_and_b32_e32 v102, 0x7f, v0
	v_mov_b32_e32 v11, 0x7c010000
	s_mov_b32 s15, exec_lo
	v_cmpx_ne_u32_e32 0x7f, v102
	s_cbranch_execz .LBB297_1327
; %bb.1324:                             ;   in Loop: Header=BB297_803 Depth=1
	v_and_b32_e32 v11, 7, v0
	v_lshrrev_b32_e32 v12, 3, v102
	s_mov_b32 s18, exec_lo
	v_cmpx_gt_u32_e32 8, v102
; %bb.1325:                             ;   in Loop: Header=BB297_803 Depth=1
	v_ffbh_u32_e32 v11, v11
	v_min_u32_e32 v13, 32, v11
	v_subrev_nc_u32_e32 v11, 28, v13
	v_lshlrev_b64 v[11:12], v11, v[0:1]
	v_sub_nc_u32_e32 v12, 29, v13
	v_and_b32_e32 v11, 7, v11
; %bb.1326:                             ;   in Loop: Header=BB297_803 Depth=1
	s_or_b32 exec_lo, exec_lo, s18
	v_lshlrev_b32_e32 v0, 8, v0
	v_lshl_add_u32 v12, v12, 10, 0x2000
	v_lshlrev_b32_e32 v11, 23, v11
	v_and_or_b32 v0, 0x8000, v0, v12
	v_lshl_or_b32 v11, v0, 16, v11
.LBB297_1327:                           ;   in Loop: Header=BB297_803 Depth=1
	s_or_b32 exec_lo, exec_lo, s15
.LBB297_1328:                           ;   in Loop: Header=BB297_803 Depth=1
	s_or_b32 exec_lo, exec_lo, s13
.LBB297_1329:                           ;   in Loop: Header=BB297_803 Depth=1
	s_or_b32 exec_lo, exec_lo, s12
	v_or_b32_e32 v0, v34, v36
	s_waitcnt vmcnt(0) lgkmcnt(0)
	v_fma_mixlo_f16 v12, v4, v34, 0 op_sel:[0,1,0] op_sel_hi:[0,1,0]
	v_or_b32_e32 v13, v5, v32
	v_fma_mixlo_f16 v5, v4, v5, 0 op_sel:[0,1,0] op_sel_hi:[0,1,0]
	v_or_b32_e32 v34, v101, v100
	v_fma_mixlo_f16 v36, v4, v0, 0 op_sel_hi:[0,1,0]
	v_or_b32_e32 v33, v11, v33
	v_lshlrev_b32_e32 v0, 16, v12
	v_lshlrev_b32_e32 v32, 16, v5
	v_fma_mixlo_f16 v12, v4, v13, 0 op_sel_hi:[0,1,0]
	v_and_b32_e32 v5, 0xffff, v36
	v_fma_mixlo_f16 v13, v4, v101, 0 op_sel:[0,1,0] op_sel_hi:[0,1,0]
	v_fma_mixlo_f16 v34, v4, v34, 0 op_sel_hi:[0,1,0]
	v_fma_mixlo_f16 v36, v4, v11, 0 op_sel:[0,1,0] op_sel_hi:[0,1,0]
	v_fma_mixlo_f16 v33, v4, v33, 0 op_sel_hi:[0,1,0]
	v_and_b32_e32 v102, 0xffff, v12
	v_lshlrev_b32_e32 v11, 16, v13
	v_and_b32_e32 v34, 0xffff, v34
	v_lshlrev_b32_e32 v4, 16, v36
	v_and_b32_e32 v12, 0xffff, v33
	v_or_b32_e32 v33, v0, v5
	v_or_b32_e32 v101, v32, v102
	;; [unrolled: 1-line block ×4, first 2 shown]
	s_and_saveexec_b32 s12, vcc_lo
	s_cbranch_execz .LBB297_1331
; %bb.1330:                             ;   in Loop: Header=BB297_803 Depth=1
	v_cmp_lt_i32_e64 s4, v48, v35
	v_cndmask_b32_e64 v13, 0, v102, s4
	v_cmp_lt_i32_e64 s4, v71, v35
	v_cndmask_b32_e64 v32, 0, v32, s4
	v_cmp_lt_i32_e64 s4, v70, v35
	v_or_b32_e32 v101, v13, v32
	v_cndmask_b32_e64 v5, 0, v5, s4
	v_cmp_lt_i32_e64 s4, v68, v35
	v_cndmask_b32_e64 v0, 0, v0, s4
	v_cmp_lt_i32_e64 s4, v65, v35
	v_or_b32_e32 v33, v5, v0
	v_cndmask_b32_e64 v34, 0, v34, s4
	v_cmp_lt_i32_e64 s4, v55, v35
	v_cndmask_b32_e64 v11, 0, v11, s4
	v_cmp_lt_i32_e64 s4, v52, v35
	v_or_b32_e32 v100, v34, v11
	v_cndmask_b32_e64 v12, 0, v12, s4
	v_cmp_lt_i32_e64 s4, v14, v35
	v_cndmask_b32_e64 v4, 0, v4, s4
	v_or_b32_e32 v36, v12, v4
.LBB297_1331:                           ;   in Loop: Header=BB297_803 Depth=1
	s_or_b32 exec_lo, exec_lo, s12
	v_add_co_u32 v9, s4, 0x800, v9
	v_add_co_ci_u32_e64 v10, null, 0, v10, s4
	;;#ASMSTART
	v_pk_mul_f16 v0, v67, v101;

	;;#ASMEND
	;;#ASMSTART
	v_pk_mul_f16 v4, v64, v33;

	;;#ASMEND
	;; [unrolled: 4-line block ×4, first 2 shown]
	;;#ASMSTART
	v_pk_add_f16 v0, v0, v4;

	;;#ASMEND
	;;#ASMSTART
	v_pk_add_f16 v0, v0, v5;

	;;#ASMEND
	;; [unrolled: 4-line block ×3, first 2 shown]
	v_lshrrev_b32_e32 v5, 16, v0
	v_and_b32_e32 v0, 0xffff, v0
	;;#ASMSTART
	v_cvt_f32_f16 v4, v0;
	;;#ASMEND
	;;#ASMSTART
	v_cvt_f32_f16 v5, v5;
	;;#ASMEND
	flat_load_dwordx2 v[11:12], v[9:10]
	flat_load_dword v32, v[26:27]
	v_mov_b32_e32 v34, 0
	v_mov_b32_e32 v36, 0
	s_waitcnt vmcnt(1) lgkmcnt(1)
	v_cmp_ne_u16_sdwa s4, v11, v1 src0_sel:BYTE_0 src1_sel:DWORD
	s_and_saveexec_b32 s12, s4
	s_cbranch_execz .LBB297_1339
; %bb.1332:                             ;   in Loop: Header=BB297_803 Depth=1
	v_cmp_ne_u16_sdwa s4, v11, v16 src0_sel:BYTE_0 src1_sel:DWORD
	v_mov_b32_e32 v36, 0x8000
	s_and_saveexec_b32 s13, s4
	s_cbranch_execz .LBB297_1338
; %bb.1333:                             ;   in Loop: Header=BB297_803 Depth=1
	v_and_b32_e32 v100, 0x7f, v11
	v_mov_b32_e32 v36, 0x7c01
	s_mov_b32 s15, exec_lo
	v_cmpx_ne_u32_e32 0x7f, v100
	s_cbranch_execz .LBB297_1337
; %bb.1334:                             ;   in Loop: Header=BB297_803 Depth=1
	v_and_b32_e32 v0, 7, v11
	v_lshrrev_b32_e32 v33, 3, v100
	s_mov_b32 s18, exec_lo
	v_cmpx_gt_u32_e32 8, v100
; %bb.1335:                             ;   in Loop: Header=BB297_803 Depth=1
	v_ffbh_u32_e32 v0, v0
	v_min_u32_e32 v0, 32, v0
	v_subrev_nc_u32_e32 v13, 28, v0
	v_sub_nc_u32_e32 v33, 29, v0
	v_lshlrev_b64 v[100:101], v13, v[11:12]
	v_and_b32_e32 v0, 7, v100
; %bb.1336:                             ;   in Loop: Header=BB297_803 Depth=1
	s_or_b32 exec_lo, exec_lo, s18
	v_lshlrev_b32_e32 v13, 8, v11
	v_lshl_add_u32 v33, v33, 10, 0x2000
	v_lshlrev_b32_e32 v0, 7, v0
	v_and_b32_e32 v13, 0x8000, v13
	v_and_b32_e32 v33, 0xfc00, v33
	v_or3_b32 v36, v13, v33, v0
.LBB297_1337:                           ;   in Loop: Header=BB297_803 Depth=1
	s_or_b32 exec_lo, exec_lo, s15
.LBB297_1338:                           ;   in Loop: Header=BB297_803 Depth=1
	s_or_b32 exec_lo, exec_lo, s13
.LBB297_1339:                           ;   in Loop: Header=BB297_803 Depth=1
	s_or_b32 exec_lo, exec_lo, s12
	v_lshrrev_b16 v0, 8, v11
	s_mov_b32 s12, exec_lo
	v_cmpx_ne_u16_e32 0, v0
	s_cbranch_execz .LBB297_1347
; %bb.1340:                             ;   in Loop: Header=BB297_803 Depth=1
	v_bfrev_b32_e32 v34, 1
	s_mov_b32 s13, exec_lo
	v_cmpx_ne_u16_e32 0x80, v0
	s_cbranch_execz .LBB297_1346
; %bb.1341:                             ;   in Loop: Header=BB297_803 Depth=1
	v_and_b32_sdwa v100, v0, v17 dst_sel:DWORD dst_unused:UNUSED_PAD src0_sel:WORD_0 src1_sel:DWORD
	v_mov_b32_e32 v34, 0x7c010000
	s_mov_b32 s15, exec_lo
	v_cmpx_ne_u32_e32 0x7f, v100
	s_cbranch_execz .LBB297_1345
; %bb.1342:                             ;   in Loop: Header=BB297_803 Depth=1
	v_and_b32_sdwa v33, v0, v38 dst_sel:DWORD dst_unused:UNUSED_PAD src0_sel:WORD_0 src1_sel:DWORD
	v_lshrrev_b32_e32 v34, 3, v100
	s_mov_b32 s18, exec_lo
	v_cmpx_gt_u32_e32 8, v100
; %bb.1343:                             ;   in Loop: Header=BB297_803 Depth=1
	v_ffbh_u32_e32 v13, v33
	v_min_u32_e32 v13, 32, v13
	v_subrev_nc_u32_e32 v33, 28, v13
	v_lshlrev_b64 v[33:34], v33, v[0:1]
	v_sub_nc_u32_e32 v34, 29, v13
	v_and_b32_e32 v33, 7, v33
; %bb.1344:                             ;   in Loop: Header=BB297_803 Depth=1
	s_or_b32 exec_lo, exec_lo, s18
	v_lshlrev_b32_sdwa v0, v39, v0 dst_sel:DWORD dst_unused:UNUSED_PAD src0_sel:DWORD src1_sel:WORD_0
	v_lshl_add_u32 v13, v34, 10, 0x2000
	v_and_or_b32 v0, 0x8000, v0, v13
	v_lshlrev_b32_e32 v13, 23, v33
	v_lshl_or_b32 v34, v0, 16, v13
.LBB297_1345:                           ;   in Loop: Header=BB297_803 Depth=1
	s_or_b32 exec_lo, exec_lo, s15
.LBB297_1346:                           ;   in Loop: Header=BB297_803 Depth=1
	s_or_b32 exec_lo, exec_lo, s13
.LBB297_1347:                           ;   in Loop: Header=BB297_803 Depth=1
	s_or_b32 exec_lo, exec_lo, s12
	v_lshrrev_b32_e32 v0, 16, v11
	v_mov_b32_e32 v100, 0
	v_mov_b32_e32 v101, 0
	v_cmp_ne_u16_sdwa s4, v0, v1 src0_sel:BYTE_0 src1_sel:DWORD
	s_and_saveexec_b32 s12, s4
	s_cbranch_execz .LBB297_1355
; %bb.1348:                             ;   in Loop: Header=BB297_803 Depth=1
	v_cmp_ne_u16_sdwa s4, v0, v16 src0_sel:BYTE_0 src1_sel:DWORD
	v_mov_b32_e32 v101, 0x8000
	s_and_saveexec_b32 s13, s4
	s_cbranch_execz .LBB297_1354
; %bb.1349:                             ;   in Loop: Header=BB297_803 Depth=1
	v_bfe_u32 v102, v11, 16, 7
	v_mov_b32_e32 v101, 0x7c01
	s_mov_b32 s15, exec_lo
	v_cmpx_ne_u32_e32 0x7f, v102
	s_cbranch_execz .LBB297_1353
; %bb.1350:                             ;   in Loop: Header=BB297_803 Depth=1
	v_and_b32_e32 v33, 7, v0
	v_lshrrev_b32_e32 v101, 3, v102
	s_mov_b32 s18, exec_lo
	v_cmpx_gt_u32_e32 8, v102
; %bb.1351:                             ;   in Loop: Header=BB297_803 Depth=1
	v_ffbh_u32_e32 v13, v33
	v_min_u32_e32 v13, 32, v13
	v_subrev_nc_u32_e32 v33, 28, v13
	v_sub_nc_u32_e32 v101, 29, v13
	v_lshlrev_b64 v[102:103], v33, v[0:1]
	v_and_b32_e32 v33, 7, v102
; %bb.1352:                             ;   in Loop: Header=BB297_803 Depth=1
	s_or_b32 exec_lo, exec_lo, s18
	v_lshlrev_b32_e32 v0, 8, v0
	v_lshl_add_u32 v13, v101, 10, 0x2000
	v_lshlrev_b32_e32 v33, 7, v33
	v_and_b32_e32 v0, 0x8000, v0
	v_and_b32_e32 v13, 0xfc00, v13
	v_or3_b32 v101, v0, v13, v33
.LBB297_1353:                           ;   in Loop: Header=BB297_803 Depth=1
	s_or_b32 exec_lo, exec_lo, s15
.LBB297_1354:                           ;   in Loop: Header=BB297_803 Depth=1
	s_or_b32 exec_lo, exec_lo, s13
.LBB297_1355:                           ;   in Loop: Header=BB297_803 Depth=1
	s_or_b32 exec_lo, exec_lo, s12
	s_mov_b32 s12, exec_lo
	v_cmpx_lt_u32_e32 0xffffff, v11
	s_cbranch_execz .LBB297_1363
; %bb.1356:                             ;   in Loop: Header=BB297_803 Depth=1
	v_lshrrev_b32_e32 v0, 24, v11
	v_bfrev_b32_e32 v100, 1
	s_mov_b32 s13, exec_lo
	v_cmpx_ne_u32_e32 0x80, v0
	s_cbranch_execz .LBB297_1362
; %bb.1357:                             ;   in Loop: Header=BB297_803 Depth=1
	v_and_b32_e32 v102, 0x7f, v0
	v_mov_b32_e32 v100, 0x7c010000
	s_mov_b32 s15, exec_lo
	v_cmpx_ne_u32_e32 0x7f, v102
	s_cbranch_execz .LBB297_1361
; %bb.1358:                             ;   in Loop: Header=BB297_803 Depth=1
	v_and_b32_e32 v33, 7, v0
	v_lshrrev_b32_e32 v100, 3, v102
	s_mov_b32 s18, exec_lo
	v_cmpx_gt_u32_e32 8, v102
; %bb.1359:                             ;   in Loop: Header=BB297_803 Depth=1
	v_ffbh_u32_e32 v13, v33
	v_min_u32_e32 v13, 32, v13
	v_subrev_nc_u32_e32 v33, 28, v13
	v_sub_nc_u32_e32 v100, 29, v13
	v_lshlrev_b64 v[102:103], v33, v[0:1]
	v_and_b32_e32 v33, 7, v102
; %bb.1360:                             ;   in Loop: Header=BB297_803 Depth=1
	s_or_b32 exec_lo, exec_lo, s18
	v_lshlrev_b32_e32 v0, 8, v0
	v_lshl_add_u32 v13, v100, 10, 0x2000
	v_and_or_b32 v0, 0x8000, v0, v13
	v_lshlrev_b32_e32 v13, 23, v33
	v_lshl_or_b32 v100, v0, 16, v13
.LBB297_1361:                           ;   in Loop: Header=BB297_803 Depth=1
	s_or_b32 exec_lo, exec_lo, s15
.LBB297_1362:                           ;   in Loop: Header=BB297_803 Depth=1
	s_or_b32 exec_lo, exec_lo, s13
.LBB297_1363:                           ;   in Loop: Header=BB297_803 Depth=1
	s_or_b32 exec_lo, exec_lo, s12
	v_mov_b32_e32 v0, v12
	v_cmp_ne_u16_sdwa s4, v12, v1 src0_sel:BYTE_0 src1_sel:DWORD
	v_mov_b32_e32 v33, 0
	v_mov_b32_e32 v102, 0
	s_and_saveexec_b32 s12, s4
	s_cbranch_execz .LBB297_1371
; %bb.1364:                             ;   in Loop: Header=BB297_803 Depth=1
	v_cmp_ne_u16_sdwa s4, v12, v16 src0_sel:BYTE_0 src1_sel:DWORD
	v_mov_b32_e32 v102, 0x8000
	s_and_saveexec_b32 s13, s4
	s_cbranch_execz .LBB297_1370
; %bb.1365:                             ;   in Loop: Header=BB297_803 Depth=1
	v_and_b32_e32 v112, 0x7f, v12
	v_mov_b32_e32 v102, 0x7c01
	s_mov_b32 s15, exec_lo
	v_cmpx_ne_u32_e32 0x7f, v112
	s_cbranch_execz .LBB297_1369
; %bb.1366:                             ;   in Loop: Header=BB297_803 Depth=1
	v_and_b32_e32 v102, 7, v12
	v_lshrrev_b32_e32 v103, 3, v112
	s_mov_b32 s18, exec_lo
	v_cmpx_gt_u32_e32 8, v112
; %bb.1367:                             ;   in Loop: Header=BB297_803 Depth=1
	v_ffbh_u32_e32 v13, v102
	v_min_u32_e32 v13, 32, v13
	v_subrev_nc_u32_e32 v102, 28, v13
	v_lshlrev_b64 v[102:103], v102, v[0:1]
	v_sub_nc_u32_e32 v103, 29, v13
	v_and_b32_e32 v102, 7, v102
; %bb.1368:                             ;   in Loop: Header=BB297_803 Depth=1
	s_or_b32 exec_lo, exec_lo, s18
	v_lshlrev_b32_e32 v13, 8, v12
	v_lshl_add_u32 v103, v103, 10, 0x2000
	v_lshlrev_b32_e32 v102, 7, v102
	v_and_b32_e32 v13, 0x8000, v13
	v_and_b32_e32 v103, 0xfc00, v103
	v_or3_b32 v102, v13, v103, v102
.LBB297_1369:                           ;   in Loop: Header=BB297_803 Depth=1
	s_or_b32 exec_lo, exec_lo, s15
.LBB297_1370:                           ;   in Loop: Header=BB297_803 Depth=1
	s_or_b32 exec_lo, exec_lo, s13
.LBB297_1371:                           ;   in Loop: Header=BB297_803 Depth=1
	s_or_b32 exec_lo, exec_lo, s12
	v_lshrrev_b16 v0, 8, v0
	v_mov_b32_e32 v103, 0
	s_mov_b32 s12, exec_lo
	v_cmpx_ne_u16_e32 0, v0
	s_cbranch_execz .LBB297_1379
; %bb.1372:                             ;   in Loop: Header=BB297_803 Depth=1
	v_bfrev_b32_e32 v103, 1
	s_mov_b32 s13, exec_lo
	v_cmpx_ne_u16_e32 0x80, v0
	s_cbranch_execz .LBB297_1378
; %bb.1373:                             ;   in Loop: Header=BB297_803 Depth=1
	v_and_b32_sdwa v113, v0, v17 dst_sel:DWORD dst_unused:UNUSED_PAD src0_sel:WORD_0 src1_sel:DWORD
	v_mov_b32_e32 v103, 0x7c010000
	s_mov_b32 s15, exec_lo
	v_cmpx_ne_u32_e32 0x7f, v113
	s_cbranch_execz .LBB297_1377
; %bb.1374:                             ;   in Loop: Header=BB297_803 Depth=1
	v_and_b32_sdwa v103, v0, v38 dst_sel:DWORD dst_unused:UNUSED_PAD src0_sel:WORD_0 src1_sel:DWORD
	v_lshrrev_b32_e32 v112, 3, v113
	s_mov_b32 s18, exec_lo
	v_cmpx_gt_u32_e32 8, v113
; %bb.1375:                             ;   in Loop: Header=BB297_803 Depth=1
	v_ffbh_u32_e32 v13, v103
	v_min_u32_e32 v13, 32, v13
	v_subrev_nc_u32_e32 v103, 28, v13
	v_sub_nc_u32_e32 v112, 29, v13
	v_lshlrev_b64 v[113:114], v103, v[0:1]
	v_and_b32_e32 v103, 7, v113
; %bb.1376:                             ;   in Loop: Header=BB297_803 Depth=1
	s_or_b32 exec_lo, exec_lo, s18
	v_lshlrev_b32_sdwa v0, v39, v0 dst_sel:DWORD dst_unused:UNUSED_PAD src0_sel:DWORD src1_sel:WORD_0
	v_lshl_add_u32 v13, v112, 10, 0x2000
	v_and_or_b32 v0, 0x8000, v0, v13
	v_lshlrev_b32_e32 v13, 23, v103
	v_lshl_or_b32 v103, v0, 16, v13
.LBB297_1377:                           ;   in Loop: Header=BB297_803 Depth=1
	s_or_b32 exec_lo, exec_lo, s15
.LBB297_1378:                           ;   in Loop: Header=BB297_803 Depth=1
	s_or_b32 exec_lo, exec_lo, s13
.LBB297_1379:                           ;   in Loop: Header=BB297_803 Depth=1
	s_or_b32 exec_lo, exec_lo, s12
	v_lshrrev_b32_e32 v0, 16, v12
	v_cmp_ne_u16_sdwa s4, v0, v1 src0_sel:BYTE_0 src1_sel:DWORD
	s_and_saveexec_b32 s12, s4
	s_cbranch_execz .LBB297_1387
; %bb.1380:                             ;   in Loop: Header=BB297_803 Depth=1
	v_cmp_ne_u16_sdwa s4, v0, v16 src0_sel:BYTE_0 src1_sel:DWORD
	v_mov_b32_e32 v33, 0x8000
	s_and_saveexec_b32 s13, s4
	s_cbranch_execz .LBB297_1386
; %bb.1381:                             ;   in Loop: Header=BB297_803 Depth=1
	v_bfe_u32 v113, v12, 16, 7
	v_mov_b32_e32 v33, 0x7c01
	s_mov_b32 s15, exec_lo
	v_cmpx_ne_u32_e32 0x7f, v113
	s_cbranch_execz .LBB297_1385
; %bb.1382:                             ;   in Loop: Header=BB297_803 Depth=1
	v_and_b32_e32 v33, 7, v0
	v_lshrrev_b32_e32 v112, 3, v113
	s_mov_b32 s18, exec_lo
	v_cmpx_gt_u32_e32 8, v113
; %bb.1383:                             ;   in Loop: Header=BB297_803 Depth=1
	v_ffbh_u32_e32 v13, v33
	v_min_u32_e32 v13, 32, v13
	v_subrev_nc_u32_e32 v33, 28, v13
	v_sub_nc_u32_e32 v112, 29, v13
	v_lshlrev_b64 v[113:114], v33, v[0:1]
	v_and_b32_e32 v33, 7, v113
; %bb.1384:                             ;   in Loop: Header=BB297_803 Depth=1
	s_or_b32 exec_lo, exec_lo, s18
	v_lshlrev_b32_e32 v0, 8, v0
	v_lshl_add_u32 v13, v112, 10, 0x2000
	v_lshlrev_b32_e32 v33, 7, v33
	v_and_b32_e32 v0, 0x8000, v0
	v_and_b32_e32 v13, 0xfc00, v13
	v_or3_b32 v33, v0, v13, v33
.LBB297_1385:                           ;   in Loop: Header=BB297_803 Depth=1
	s_or_b32 exec_lo, exec_lo, s15
.LBB297_1386:                           ;   in Loop: Header=BB297_803 Depth=1
	s_or_b32 exec_lo, exec_lo, s13
.LBB297_1387:                           ;   in Loop: Header=BB297_803 Depth=1
	s_or_b32 exec_lo, exec_lo, s12
	v_cmp_lt_u64_e64 s4, s[8:9], v[11:12]
	v_mov_b32_e32 v11, 0
	s_and_saveexec_b32 s12, s4
	s_cbranch_execz .LBB297_1395
; %bb.1388:                             ;   in Loop: Header=BB297_803 Depth=1
	v_lshrrev_b32_e32 v0, 24, v12
	v_bfrev_b32_e32 v11, 1
	s_mov_b32 s13, exec_lo
	v_cmpx_ne_u32_e32 0x80, v0
	s_cbranch_execz .LBB297_1394
; %bb.1389:                             ;   in Loop: Header=BB297_803 Depth=1
	v_and_b32_e32 v112, 0x7f, v0
	v_mov_b32_e32 v11, 0x7c010000
	s_mov_b32 s15, exec_lo
	v_cmpx_ne_u32_e32 0x7f, v112
	s_cbranch_execz .LBB297_1393
; %bb.1390:                             ;   in Loop: Header=BB297_803 Depth=1
	v_and_b32_e32 v11, 7, v0
	v_lshrrev_b32_e32 v12, 3, v112
	s_mov_b32 s18, exec_lo
	v_cmpx_gt_u32_e32 8, v112
; %bb.1391:                             ;   in Loop: Header=BB297_803 Depth=1
	v_ffbh_u32_e32 v11, v11
	v_min_u32_e32 v13, 32, v11
	v_subrev_nc_u32_e32 v11, 28, v13
	v_lshlrev_b64 v[11:12], v11, v[0:1]
	v_sub_nc_u32_e32 v12, 29, v13
	v_and_b32_e32 v11, 7, v11
; %bb.1392:                             ;   in Loop: Header=BB297_803 Depth=1
	s_or_b32 exec_lo, exec_lo, s18
	v_lshlrev_b32_e32 v0, 8, v0
	v_lshl_add_u32 v12, v12, 10, 0x2000
	v_lshlrev_b32_e32 v11, 23, v11
	v_and_or_b32 v0, 0x8000, v0, v12
	v_lshl_or_b32 v11, v0, 16, v11
.LBB297_1393:                           ;   in Loop: Header=BB297_803 Depth=1
	s_or_b32 exec_lo, exec_lo, s15
.LBB297_1394:                           ;   in Loop: Header=BB297_803 Depth=1
	s_or_b32 exec_lo, exec_lo, s13
.LBB297_1395:                           ;   in Loop: Header=BB297_803 Depth=1
	s_or_b32 exec_lo, exec_lo, s12
	v_or_b32_e32 v0, v100, v101
	s_waitcnt vmcnt(0) lgkmcnt(0)
	v_fma_mixlo_f16 v12, v32, v100, 0 op_sel:[0,1,0] op_sel_hi:[0,1,0]
	v_or_b32_e32 v13, v34, v36
	v_or_b32_e32 v36, v103, v102
	;; [unrolled: 1-line block ×3, first 2 shown]
	v_fma_mixlo_f16 v100, v32, v0, 0 op_sel_hi:[0,1,0]
	v_fma_mixlo_f16 v34, v32, v34, 0 op_sel:[0,1,0] op_sel_hi:[0,1,0]
	v_lshlrev_b32_e32 v0, 16, v12
	v_fma_mixlo_f16 v13, v32, v13, 0 op_sel_hi:[0,1,0]
	v_fma_mixlo_f16 v36, v32, v36, 0 op_sel_hi:[0,1,0]
	v_and_b32_e32 v12, 0xffff, v100
	v_fma_mixlo_f16 v100, v32, v103, 0 op_sel:[0,1,0] op_sel_hi:[0,1,0]
	v_fma_mixlo_f16 v11, v32, v11, 0 op_sel:[0,1,0] op_sel_hi:[0,1,0]
	v_fma_mixlo_f16 v33, v32, v33, 0 op_sel_hi:[0,1,0]
	v_lshlrev_b32_e32 v34, 16, v34
	v_and_b32_e32 v112, 0xffff, v13
	v_lshlrev_b32_e32 v32, 16, v100
	v_and_b32_e32 v100, 0xffff, v36
	v_lshlrev_b32_e32 v11, 16, v11
	v_and_b32_e32 v33, 0xffff, v33
	v_or_b32_e32 v36, v0, v12
	v_or_b32_e32 v103, v34, v112
	;; [unrolled: 1-line block ×4, first 2 shown]
	s_and_saveexec_b32 s12, vcc_lo
	s_cbranch_execz .LBB297_1397
; %bb.1396:                             ;   in Loop: Header=BB297_803 Depth=1
	v_cmp_lt_i32_e64 s4, v48, v35
	v_cndmask_b32_e64 v13, 0, v112, s4
	v_cmp_lt_i32_e64 s4, v71, v35
	v_cndmask_b32_e64 v34, 0, v34, s4
	v_cmp_lt_i32_e64 s4, v70, v35
	v_or_b32_e32 v103, v13, v34
	v_cndmask_b32_e64 v12, 0, v12, s4
	v_cmp_lt_i32_e64 s4, v68, v35
	v_cndmask_b32_e64 v0, 0, v0, s4
	v_cmp_lt_i32_e64 s4, v65, v35
	v_or_b32_e32 v36, v12, v0
	;; [unrolled: 5-line block ×3, first 2 shown]
	v_cndmask_b32_e64 v33, 0, v33, s4
	v_cmp_lt_i32_e64 s4, v14, v35
	v_cndmask_b32_e64 v11, 0, v11, s4
	v_or_b32_e32 v101, v33, v11
.LBB297_1397:                           ;   in Loop: Header=BB297_803 Depth=1
	s_or_b32 exec_lo, exec_lo, s12
	;;#ASMSTART
	v_pk_mul_f16 v0, v67, v103;

	;;#ASMEND
	;;#ASMSTART
	v_pk_mul_f16 v11, v64, v36;

	;;#ASMEND
	;; [unrolled: 4-line block ×4, first 2 shown]
	;;#ASMSTART
	v_pk_add_f16 v0, v0, v11;

	;;#ASMEND
	;;#ASMSTART
	v_pk_add_f16 v0, v0, v12;

	;;#ASMEND
	;; [unrolled: 4-line block ×3, first 2 shown]
	v_and_b32_e32 v11, 0xffff, v0
	v_lshrrev_b32_e32 v0, 16, v0
	;;#ASMSTART
	v_cvt_f32_f16 v32, v11;
	;;#ASMEND
	;;#ASMSTART
	v_cvt_f32_f16 v34, v0;
	;;#ASMEND
	flat_load_dwordx2 v[11:12], v[9:10] offset:256
	flat_load_dword v36, v[26:27]
	v_mov_b32_e32 v100, 0
	v_mov_b32_e32 v101, 0
	s_waitcnt vmcnt(1) lgkmcnt(1)
	v_cmp_ne_u16_sdwa s4, v11, v1 src0_sel:BYTE_0 src1_sel:DWORD
	s_and_saveexec_b32 s12, s4
	s_cbranch_execz .LBB297_1405
; %bb.1398:                             ;   in Loop: Header=BB297_803 Depth=1
	v_cmp_ne_u16_sdwa s4, v11, v16 src0_sel:BYTE_0 src1_sel:DWORD
	v_mov_b32_e32 v101, 0x8000
	s_and_saveexec_b32 s13, s4
	s_cbranch_execz .LBB297_1404
; %bb.1399:                             ;   in Loop: Header=BB297_803 Depth=1
	v_and_b32_e32 v102, 0x7f, v11
	v_mov_b32_e32 v101, 0x7c01
	s_mov_b32 s15, exec_lo
	v_cmpx_ne_u32_e32 0x7f, v102
	s_cbranch_execz .LBB297_1403
; %bb.1400:                             ;   in Loop: Header=BB297_803 Depth=1
	v_and_b32_e32 v0, 7, v11
	v_lshrrev_b32_e32 v33, 3, v102
	s_mov_b32 s18, exec_lo
	v_cmpx_gt_u32_e32 8, v102
; %bb.1401:                             ;   in Loop: Header=BB297_803 Depth=1
	v_ffbh_u32_e32 v0, v0
	v_min_u32_e32 v0, 32, v0
	v_subrev_nc_u32_e32 v13, 28, v0
	v_sub_nc_u32_e32 v33, 29, v0
	v_lshlrev_b64 v[101:102], v13, v[11:12]
	v_and_b32_e32 v0, 7, v101
; %bb.1402:                             ;   in Loop: Header=BB297_803 Depth=1
	s_or_b32 exec_lo, exec_lo, s18
	v_lshlrev_b32_e32 v13, 8, v11
	v_lshl_add_u32 v33, v33, 10, 0x2000
	v_lshlrev_b32_e32 v0, 7, v0
	v_and_b32_e32 v13, 0x8000, v13
	v_and_b32_e32 v33, 0xfc00, v33
	v_or3_b32 v101, v13, v33, v0
.LBB297_1403:                           ;   in Loop: Header=BB297_803 Depth=1
	s_or_b32 exec_lo, exec_lo, s15
.LBB297_1404:                           ;   in Loop: Header=BB297_803 Depth=1
	s_or_b32 exec_lo, exec_lo, s13
.LBB297_1405:                           ;   in Loop: Header=BB297_803 Depth=1
	s_or_b32 exec_lo, exec_lo, s12
	v_lshrrev_b16 v0, 8, v11
	s_mov_b32 s12, exec_lo
	v_cmpx_ne_u16_e32 0, v0
	s_cbranch_execz .LBB297_1413
; %bb.1406:                             ;   in Loop: Header=BB297_803 Depth=1
	v_bfrev_b32_e32 v100, 1
	s_mov_b32 s13, exec_lo
	v_cmpx_ne_u16_e32 0x80, v0
	s_cbranch_execz .LBB297_1412
; %bb.1407:                             ;   in Loop: Header=BB297_803 Depth=1
	v_and_b32_sdwa v102, v0, v17 dst_sel:DWORD dst_unused:UNUSED_PAD src0_sel:WORD_0 src1_sel:DWORD
	v_mov_b32_e32 v100, 0x7c010000
	s_mov_b32 s15, exec_lo
	v_cmpx_ne_u32_e32 0x7f, v102
	s_cbranch_execz .LBB297_1411
; %bb.1408:                             ;   in Loop: Header=BB297_803 Depth=1
	v_and_b32_sdwa v33, v0, v38 dst_sel:DWORD dst_unused:UNUSED_PAD src0_sel:WORD_0 src1_sel:DWORD
	v_lshrrev_b32_e32 v100, 3, v102
	s_mov_b32 s18, exec_lo
	v_cmpx_gt_u32_e32 8, v102
; %bb.1409:                             ;   in Loop: Header=BB297_803 Depth=1
	v_ffbh_u32_e32 v13, v33
	v_min_u32_e32 v13, 32, v13
	v_subrev_nc_u32_e32 v33, 28, v13
	v_sub_nc_u32_e32 v100, 29, v13
	v_lshlrev_b64 v[102:103], v33, v[0:1]
	v_and_b32_e32 v33, 7, v102
; %bb.1410:                             ;   in Loop: Header=BB297_803 Depth=1
	s_or_b32 exec_lo, exec_lo, s18
	v_lshlrev_b32_sdwa v0, v39, v0 dst_sel:DWORD dst_unused:UNUSED_PAD src0_sel:DWORD src1_sel:WORD_0
	v_lshl_add_u32 v13, v100, 10, 0x2000
	v_and_or_b32 v0, 0x8000, v0, v13
	v_lshlrev_b32_e32 v13, 23, v33
	v_lshl_or_b32 v100, v0, 16, v13
.LBB297_1411:                           ;   in Loop: Header=BB297_803 Depth=1
	s_or_b32 exec_lo, exec_lo, s15
.LBB297_1412:                           ;   in Loop: Header=BB297_803 Depth=1
	s_or_b32 exec_lo, exec_lo, s13
.LBB297_1413:                           ;   in Loop: Header=BB297_803 Depth=1
	s_or_b32 exec_lo, exec_lo, s12
	v_lshrrev_b32_e32 v0, 16, v11
	v_mov_b32_e32 v102, 0
	v_mov_b32_e32 v103, 0
	v_cmp_ne_u16_sdwa s4, v0, v1 src0_sel:BYTE_0 src1_sel:DWORD
	s_and_saveexec_b32 s12, s4
	s_cbranch_execz .LBB297_1421
; %bb.1414:                             ;   in Loop: Header=BB297_803 Depth=1
	v_cmp_ne_u16_sdwa s4, v0, v16 src0_sel:BYTE_0 src1_sel:DWORD
	v_mov_b32_e32 v103, 0x8000
	s_and_saveexec_b32 s13, s4
	s_cbranch_execz .LBB297_1420
; %bb.1415:                             ;   in Loop: Header=BB297_803 Depth=1
	v_bfe_u32 v112, v11, 16, 7
	v_mov_b32_e32 v103, 0x7c01
	s_mov_b32 s15, exec_lo
	v_cmpx_ne_u32_e32 0x7f, v112
	s_cbranch_execz .LBB297_1419
; %bb.1416:                             ;   in Loop: Header=BB297_803 Depth=1
	v_and_b32_e32 v33, 7, v0
	v_lshrrev_b32_e32 v103, 3, v112
	s_mov_b32 s18, exec_lo
	v_cmpx_gt_u32_e32 8, v112
; %bb.1417:                             ;   in Loop: Header=BB297_803 Depth=1
	v_ffbh_u32_e32 v13, v33
	v_min_u32_e32 v13, 32, v13
	v_subrev_nc_u32_e32 v33, 28, v13
	v_sub_nc_u32_e32 v103, 29, v13
	v_lshlrev_b64 v[112:113], v33, v[0:1]
	v_and_b32_e32 v33, 7, v112
; %bb.1418:                             ;   in Loop: Header=BB297_803 Depth=1
	s_or_b32 exec_lo, exec_lo, s18
	v_lshlrev_b32_e32 v0, 8, v0
	v_lshl_add_u32 v13, v103, 10, 0x2000
	v_lshlrev_b32_e32 v33, 7, v33
	v_and_b32_e32 v0, 0x8000, v0
	v_and_b32_e32 v13, 0xfc00, v13
	v_or3_b32 v103, v0, v13, v33
.LBB297_1419:                           ;   in Loop: Header=BB297_803 Depth=1
	s_or_b32 exec_lo, exec_lo, s15
.LBB297_1420:                           ;   in Loop: Header=BB297_803 Depth=1
	s_or_b32 exec_lo, exec_lo, s13
.LBB297_1421:                           ;   in Loop: Header=BB297_803 Depth=1
	s_or_b32 exec_lo, exec_lo, s12
	s_mov_b32 s12, exec_lo
	v_cmpx_lt_u32_e32 0xffffff, v11
	s_cbranch_execz .LBB297_1429
; %bb.1422:                             ;   in Loop: Header=BB297_803 Depth=1
	v_lshrrev_b32_e32 v0, 24, v11
	v_bfrev_b32_e32 v102, 1
	s_mov_b32 s13, exec_lo
	v_cmpx_ne_u32_e32 0x80, v0
	s_cbranch_execz .LBB297_1428
; %bb.1423:                             ;   in Loop: Header=BB297_803 Depth=1
	v_and_b32_e32 v112, 0x7f, v0
	v_mov_b32_e32 v102, 0x7c010000
	s_mov_b32 s15, exec_lo
	v_cmpx_ne_u32_e32 0x7f, v112
	s_cbranch_execz .LBB297_1427
; %bb.1424:                             ;   in Loop: Header=BB297_803 Depth=1
	v_and_b32_e32 v33, 7, v0
	v_lshrrev_b32_e32 v102, 3, v112
	s_mov_b32 s18, exec_lo
	v_cmpx_gt_u32_e32 8, v112
; %bb.1425:                             ;   in Loop: Header=BB297_803 Depth=1
	v_ffbh_u32_e32 v13, v33
	v_min_u32_e32 v13, 32, v13
	v_subrev_nc_u32_e32 v33, 28, v13
	v_sub_nc_u32_e32 v102, 29, v13
	v_lshlrev_b64 v[112:113], v33, v[0:1]
	v_and_b32_e32 v33, 7, v112
; %bb.1426:                             ;   in Loop: Header=BB297_803 Depth=1
	s_or_b32 exec_lo, exec_lo, s18
	v_lshlrev_b32_e32 v0, 8, v0
	v_lshl_add_u32 v13, v102, 10, 0x2000
	v_and_or_b32 v0, 0x8000, v0, v13
	v_lshlrev_b32_e32 v13, 23, v33
	v_lshl_or_b32 v102, v0, 16, v13
.LBB297_1427:                           ;   in Loop: Header=BB297_803 Depth=1
	s_or_b32 exec_lo, exec_lo, s15
.LBB297_1428:                           ;   in Loop: Header=BB297_803 Depth=1
	s_or_b32 exec_lo, exec_lo, s13
.LBB297_1429:                           ;   in Loop: Header=BB297_803 Depth=1
	s_or_b32 exec_lo, exec_lo, s12
	v_mov_b32_e32 v0, v12
	v_cmp_ne_u16_sdwa s4, v12, v1 src0_sel:BYTE_0 src1_sel:DWORD
	v_mov_b32_e32 v33, 0
	v_mov_b32_e32 v112, 0
	s_and_saveexec_b32 s12, s4
	s_cbranch_execz .LBB297_1437
; %bb.1430:                             ;   in Loop: Header=BB297_803 Depth=1
	v_cmp_ne_u16_sdwa s4, v12, v16 src0_sel:BYTE_0 src1_sel:DWORD
	v_mov_b32_e32 v112, 0x8000
	s_and_saveexec_b32 s13, s4
	s_cbranch_execz .LBB297_1436
; %bb.1431:                             ;   in Loop: Header=BB297_803 Depth=1
	v_and_b32_e32 v114, 0x7f, v12
	v_mov_b32_e32 v112, 0x7c01
	s_mov_b32 s15, exec_lo
	v_cmpx_ne_u32_e32 0x7f, v114
	s_cbranch_execz .LBB297_1435
; %bb.1432:                             ;   in Loop: Header=BB297_803 Depth=1
	v_and_b32_e32 v112, 7, v12
	v_lshrrev_b32_e32 v113, 3, v114
	s_mov_b32 s18, exec_lo
	v_cmpx_gt_u32_e32 8, v114
; %bb.1433:                             ;   in Loop: Header=BB297_803 Depth=1
	v_ffbh_u32_e32 v13, v112
	v_min_u32_e32 v13, 32, v13
	v_subrev_nc_u32_e32 v112, 28, v13
	v_lshlrev_b64 v[112:113], v112, v[0:1]
	v_sub_nc_u32_e32 v113, 29, v13
	v_and_b32_e32 v112, 7, v112
; %bb.1434:                             ;   in Loop: Header=BB297_803 Depth=1
	s_or_b32 exec_lo, exec_lo, s18
	v_lshlrev_b32_e32 v13, 8, v12
	v_lshl_add_u32 v113, v113, 10, 0x2000
	v_lshlrev_b32_e32 v112, 7, v112
	v_and_b32_e32 v13, 0x8000, v13
	v_and_b32_e32 v113, 0xfc00, v113
	v_or3_b32 v112, v13, v113, v112
.LBB297_1435:                           ;   in Loop: Header=BB297_803 Depth=1
	s_or_b32 exec_lo, exec_lo, s15
.LBB297_1436:                           ;   in Loop: Header=BB297_803 Depth=1
	s_or_b32 exec_lo, exec_lo, s13
.LBB297_1437:                           ;   in Loop: Header=BB297_803 Depth=1
	s_or_b32 exec_lo, exec_lo, s12
	v_lshrrev_b16 v0, 8, v0
	v_mov_b32_e32 v113, 0
	s_mov_b32 s12, exec_lo
	v_cmpx_ne_u16_e32 0, v0
	s_cbranch_execz .LBB297_1445
; %bb.1438:                             ;   in Loop: Header=BB297_803 Depth=1
	v_bfrev_b32_e32 v113, 1
	s_mov_b32 s13, exec_lo
	v_cmpx_ne_u16_e32 0x80, v0
	s_cbranch_execz .LBB297_1444
; %bb.1439:                             ;   in Loop: Header=BB297_803 Depth=1
	v_and_b32_sdwa v115, v0, v17 dst_sel:DWORD dst_unused:UNUSED_PAD src0_sel:WORD_0 src1_sel:DWORD
	v_mov_b32_e32 v113, 0x7c010000
	s_mov_b32 s15, exec_lo
	v_cmpx_ne_u32_e32 0x7f, v115
	s_cbranch_execz .LBB297_1443
; %bb.1440:                             ;   in Loop: Header=BB297_803 Depth=1
	v_and_b32_sdwa v113, v0, v38 dst_sel:DWORD dst_unused:UNUSED_PAD src0_sel:WORD_0 src1_sel:DWORD
	v_lshrrev_b32_e32 v114, 3, v115
	s_mov_b32 s18, exec_lo
	v_cmpx_gt_u32_e32 8, v115
; %bb.1441:                             ;   in Loop: Header=BB297_803 Depth=1
	v_ffbh_u32_e32 v13, v113
	v_min_u32_e32 v13, 32, v13
	v_subrev_nc_u32_e32 v113, 28, v13
	v_lshlrev_b64 v[113:114], v113, v[0:1]
	v_sub_nc_u32_e32 v114, 29, v13
	v_and_b32_e32 v113, 7, v113
; %bb.1442:                             ;   in Loop: Header=BB297_803 Depth=1
	s_or_b32 exec_lo, exec_lo, s18
	v_lshlrev_b32_sdwa v0, v39, v0 dst_sel:DWORD dst_unused:UNUSED_PAD src0_sel:DWORD src1_sel:WORD_0
	v_lshl_add_u32 v13, v114, 10, 0x2000
	v_and_or_b32 v0, 0x8000, v0, v13
	v_lshlrev_b32_e32 v13, 23, v113
	v_lshl_or_b32 v113, v0, 16, v13
.LBB297_1443:                           ;   in Loop: Header=BB297_803 Depth=1
	s_or_b32 exec_lo, exec_lo, s15
.LBB297_1444:                           ;   in Loop: Header=BB297_803 Depth=1
	s_or_b32 exec_lo, exec_lo, s13
.LBB297_1445:                           ;   in Loop: Header=BB297_803 Depth=1
	s_or_b32 exec_lo, exec_lo, s12
	v_lshrrev_b32_e32 v0, 16, v12
	v_cmp_ne_u16_sdwa s4, v0, v1 src0_sel:BYTE_0 src1_sel:DWORD
	s_and_saveexec_b32 s12, s4
	s_cbranch_execz .LBB297_1453
; %bb.1446:                             ;   in Loop: Header=BB297_803 Depth=1
	v_cmp_ne_u16_sdwa s4, v0, v16 src0_sel:BYTE_0 src1_sel:DWORD
	v_mov_b32_e32 v33, 0x8000
	s_and_saveexec_b32 s13, s4
	s_cbranch_execz .LBB297_1452
; %bb.1447:                             ;   in Loop: Header=BB297_803 Depth=1
	v_bfe_u32 v115, v12, 16, 7
	v_mov_b32_e32 v33, 0x7c01
	s_mov_b32 s15, exec_lo
	v_cmpx_ne_u32_e32 0x7f, v115
	s_cbranch_execz .LBB297_1451
; %bb.1448:                             ;   in Loop: Header=BB297_803 Depth=1
	v_and_b32_e32 v33, 7, v0
	v_lshrrev_b32_e32 v114, 3, v115
	s_mov_b32 s18, exec_lo
	v_cmpx_gt_u32_e32 8, v115
; %bb.1449:                             ;   in Loop: Header=BB297_803 Depth=1
	v_ffbh_u32_e32 v13, v33
	v_min_u32_e32 v13, 32, v13
	v_subrev_nc_u32_e32 v33, 28, v13
	v_sub_nc_u32_e32 v114, 29, v13
	v_lshlrev_b64 v[115:116], v33, v[0:1]
	v_and_b32_e32 v33, 7, v115
; %bb.1450:                             ;   in Loop: Header=BB297_803 Depth=1
	s_or_b32 exec_lo, exec_lo, s18
	v_lshlrev_b32_e32 v0, 8, v0
	v_lshl_add_u32 v13, v114, 10, 0x2000
	v_lshlrev_b32_e32 v33, 7, v33
	v_and_b32_e32 v0, 0x8000, v0
	v_and_b32_e32 v13, 0xfc00, v13
	v_or3_b32 v33, v0, v13, v33
.LBB297_1451:                           ;   in Loop: Header=BB297_803 Depth=1
	s_or_b32 exec_lo, exec_lo, s15
.LBB297_1452:                           ;   in Loop: Header=BB297_803 Depth=1
	s_or_b32 exec_lo, exec_lo, s13
.LBB297_1453:                           ;   in Loop: Header=BB297_803 Depth=1
	s_or_b32 exec_lo, exec_lo, s12
	v_cmp_lt_u64_e64 s4, s[8:9], v[11:12]
	v_mov_b32_e32 v11, 0
	s_and_saveexec_b32 s12, s4
	s_cbranch_execz .LBB297_1461
; %bb.1454:                             ;   in Loop: Header=BB297_803 Depth=1
	v_lshrrev_b32_e32 v0, 24, v12
	v_bfrev_b32_e32 v11, 1
	s_mov_b32 s13, exec_lo
	v_cmpx_ne_u32_e32 0x80, v0
	s_cbranch_execz .LBB297_1460
; %bb.1455:                             ;   in Loop: Header=BB297_803 Depth=1
	v_and_b32_e32 v114, 0x7f, v0
	v_mov_b32_e32 v11, 0x7c010000
	s_mov_b32 s15, exec_lo
	v_cmpx_ne_u32_e32 0x7f, v114
	s_cbranch_execz .LBB297_1459
; %bb.1456:                             ;   in Loop: Header=BB297_803 Depth=1
	v_and_b32_e32 v11, 7, v0
	v_lshrrev_b32_e32 v12, 3, v114
	s_mov_b32 s18, exec_lo
	v_cmpx_gt_u32_e32 8, v114
; %bb.1457:                             ;   in Loop: Header=BB297_803 Depth=1
	v_ffbh_u32_e32 v11, v11
	v_min_u32_e32 v13, 32, v11
	v_subrev_nc_u32_e32 v11, 28, v13
	v_lshlrev_b64 v[11:12], v11, v[0:1]
	v_sub_nc_u32_e32 v12, 29, v13
	v_and_b32_e32 v11, 7, v11
; %bb.1458:                             ;   in Loop: Header=BB297_803 Depth=1
	s_or_b32 exec_lo, exec_lo, s18
	v_lshlrev_b32_e32 v0, 8, v0
	v_lshl_add_u32 v12, v12, 10, 0x2000
	v_lshlrev_b32_e32 v11, 23, v11
	v_and_or_b32 v0, 0x8000, v0, v12
	v_lshl_or_b32 v11, v0, 16, v11
.LBB297_1459:                           ;   in Loop: Header=BB297_803 Depth=1
	s_or_b32 exec_lo, exec_lo, s15
.LBB297_1460:                           ;   in Loop: Header=BB297_803 Depth=1
	s_or_b32 exec_lo, exec_lo, s13
.LBB297_1461:                           ;   in Loop: Header=BB297_803 Depth=1
	s_or_b32 exec_lo, exec_lo, s12
	v_or_b32_e32 v0, v102, v103
	s_waitcnt vmcnt(0) lgkmcnt(0)
	v_fma_mixlo_f16 v12, v36, v102, 0 op_sel:[0,1,0] op_sel_hi:[0,1,0]
	v_or_b32_e32 v13, v100, v101
	v_or_b32_e32 v101, v113, v112
	;; [unrolled: 1-line block ×3, first 2 shown]
	v_fma_mixlo_f16 v102, v36, v0, 0 op_sel_hi:[0,1,0]
	v_fma_mixlo_f16 v100, v36, v100, 0 op_sel:[0,1,0] op_sel_hi:[0,1,0]
	v_lshlrev_b32_e32 v0, 16, v12
	v_fma_mixlo_f16 v13, v36, v13, 0 op_sel_hi:[0,1,0]
	v_fma_mixlo_f16 v101, v36, v101, 0 op_sel_hi:[0,1,0]
	v_and_b32_e32 v12, 0xffff, v102
	v_fma_mixlo_f16 v102, v36, v113, 0 op_sel:[0,1,0] op_sel_hi:[0,1,0]
	v_fma_mixlo_f16 v11, v36, v11, 0 op_sel:[0,1,0] op_sel_hi:[0,1,0]
	v_fma_mixlo_f16 v36, v36, v33, 0 op_sel_hi:[0,1,0]
	v_lshlrev_b32_e32 v100, 16, v100
	v_and_b32_e32 v114, 0xffff, v13
	v_lshlrev_b32_e32 v33, 16, v102
	v_and_b32_e32 v102, 0xffff, v101
	;; [unrolled: 2-line block ×3, first 2 shown]
	v_or_b32_e32 v101, v0, v12
	v_or_b32_e32 v113, v100, v114
	;; [unrolled: 1-line block ×4, first 2 shown]
	s_and_saveexec_b32 s12, vcc_lo
	s_cbranch_execz .LBB297_1463
; %bb.1462:                             ;   in Loop: Header=BB297_803 Depth=1
	v_cmp_lt_i32_e64 s4, v48, v35
	v_cndmask_b32_e64 v13, 0, v114, s4
	v_cmp_lt_i32_e64 s4, v71, v35
	v_cndmask_b32_e64 v100, 0, v100, s4
	v_cmp_lt_i32_e64 s4, v70, v35
	v_or_b32_e32 v113, v13, v100
	v_cndmask_b32_e64 v12, 0, v12, s4
	v_cmp_lt_i32_e64 s4, v68, v35
	v_cndmask_b32_e64 v0, 0, v0, s4
	v_cmp_lt_i32_e64 s4, v65, v35
	v_or_b32_e32 v101, v12, v0
	;; [unrolled: 5-line block ×3, first 2 shown]
	v_cndmask_b32_e64 v36, 0, v36, s4
	v_cmp_lt_i32_e64 s4, v14, v35
	v_cndmask_b32_e64 v11, 0, v11, s4
	v_or_b32_e32 v103, v36, v11
.LBB297_1463:                           ;   in Loop: Header=BB297_803 Depth=1
	s_or_b32 exec_lo, exec_lo, s12
	;;#ASMSTART
	v_pk_mul_f16 v0, v67, v113;

	;;#ASMEND
	;;#ASMSTART
	v_pk_mul_f16 v11, v64, v101;

	;;#ASMEND
	;; [unrolled: 4-line block ×4, first 2 shown]
	;;#ASMSTART
	v_pk_add_f16 v0, v0, v11;

	;;#ASMEND
	;;#ASMSTART
	v_pk_add_f16 v0, v0, v12;

	;;#ASMEND
	;; [unrolled: 4-line block ×3, first 2 shown]
	v_and_b32_e32 v11, 0xffff, v0
	v_lshrrev_b32_e32 v0, 16, v0
	;;#ASMSTART
	v_cvt_f32_f16 v36, v11;
	;;#ASMEND
	;;#ASMSTART
	v_cvt_f32_f16 v100, v0;
	;;#ASMEND
	flat_load_dwordx2 v[11:12], v[9:10] offset:512
	flat_load_dword v101, v[26:27]
	v_mov_b32_e32 v102, 0
	v_mov_b32_e32 v103, 0
	s_waitcnt vmcnt(1) lgkmcnt(1)
	v_cmp_ne_u16_sdwa s4, v11, v1 src0_sel:BYTE_0 src1_sel:DWORD
	s_and_saveexec_b32 s12, s4
	s_cbranch_execz .LBB297_1471
; %bb.1464:                             ;   in Loop: Header=BB297_803 Depth=1
	v_cmp_ne_u16_sdwa s4, v11, v16 src0_sel:BYTE_0 src1_sel:DWORD
	v_mov_b32_e32 v103, 0x8000
	s_and_saveexec_b32 s13, s4
	s_cbranch_execz .LBB297_1470
; %bb.1465:                             ;   in Loop: Header=BB297_803 Depth=1
	v_and_b32_e32 v112, 0x7f, v11
	v_mov_b32_e32 v103, 0x7c01
	s_mov_b32 s15, exec_lo
	v_cmpx_ne_u32_e32 0x7f, v112
	s_cbranch_execz .LBB297_1469
; %bb.1466:                             ;   in Loop: Header=BB297_803 Depth=1
	v_and_b32_e32 v0, 7, v11
	v_lshrrev_b32_e32 v33, 3, v112
	s_mov_b32 s18, exec_lo
	v_cmpx_gt_u32_e32 8, v112
; %bb.1467:                             ;   in Loop: Header=BB297_803 Depth=1
	v_ffbh_u32_e32 v0, v0
	v_min_u32_e32 v0, 32, v0
	v_subrev_nc_u32_e32 v13, 28, v0
	v_sub_nc_u32_e32 v33, 29, v0
	v_lshlrev_b64 v[112:113], v13, v[11:12]
	v_and_b32_e32 v0, 7, v112
; %bb.1468:                             ;   in Loop: Header=BB297_803 Depth=1
	s_or_b32 exec_lo, exec_lo, s18
	v_lshlrev_b32_e32 v13, 8, v11
	v_lshl_add_u32 v33, v33, 10, 0x2000
	v_lshlrev_b32_e32 v0, 7, v0
	v_and_b32_e32 v13, 0x8000, v13
	v_and_b32_e32 v33, 0xfc00, v33
	v_or3_b32 v103, v13, v33, v0
.LBB297_1469:                           ;   in Loop: Header=BB297_803 Depth=1
	s_or_b32 exec_lo, exec_lo, s15
.LBB297_1470:                           ;   in Loop: Header=BB297_803 Depth=1
	s_or_b32 exec_lo, exec_lo, s13
.LBB297_1471:                           ;   in Loop: Header=BB297_803 Depth=1
	s_or_b32 exec_lo, exec_lo, s12
	v_lshrrev_b16 v0, 8, v11
	s_mov_b32 s12, exec_lo
	v_cmpx_ne_u16_e32 0, v0
	s_cbranch_execz .LBB297_1479
; %bb.1472:                             ;   in Loop: Header=BB297_803 Depth=1
	v_bfrev_b32_e32 v102, 1
	s_mov_b32 s13, exec_lo
	v_cmpx_ne_u16_e32 0x80, v0
	s_cbranch_execz .LBB297_1478
; %bb.1473:                             ;   in Loop: Header=BB297_803 Depth=1
	v_and_b32_sdwa v112, v0, v17 dst_sel:DWORD dst_unused:UNUSED_PAD src0_sel:WORD_0 src1_sel:DWORD
	v_mov_b32_e32 v102, 0x7c010000
	s_mov_b32 s15, exec_lo
	v_cmpx_ne_u32_e32 0x7f, v112
	s_cbranch_execz .LBB297_1477
; %bb.1474:                             ;   in Loop: Header=BB297_803 Depth=1
	v_and_b32_sdwa v33, v0, v38 dst_sel:DWORD dst_unused:UNUSED_PAD src0_sel:WORD_0 src1_sel:DWORD
	v_lshrrev_b32_e32 v102, 3, v112
	s_mov_b32 s18, exec_lo
	v_cmpx_gt_u32_e32 8, v112
; %bb.1475:                             ;   in Loop: Header=BB297_803 Depth=1
	v_ffbh_u32_e32 v13, v33
	v_min_u32_e32 v13, 32, v13
	v_subrev_nc_u32_e32 v33, 28, v13
	v_sub_nc_u32_e32 v102, 29, v13
	v_lshlrev_b64 v[112:113], v33, v[0:1]
	v_and_b32_e32 v33, 7, v112
; %bb.1476:                             ;   in Loop: Header=BB297_803 Depth=1
	s_or_b32 exec_lo, exec_lo, s18
	v_lshlrev_b32_sdwa v0, v39, v0 dst_sel:DWORD dst_unused:UNUSED_PAD src0_sel:DWORD src1_sel:WORD_0
	v_lshl_add_u32 v13, v102, 10, 0x2000
	v_and_or_b32 v0, 0x8000, v0, v13
	v_lshlrev_b32_e32 v13, 23, v33
	v_lshl_or_b32 v102, v0, 16, v13
.LBB297_1477:                           ;   in Loop: Header=BB297_803 Depth=1
	s_or_b32 exec_lo, exec_lo, s15
.LBB297_1478:                           ;   in Loop: Header=BB297_803 Depth=1
	s_or_b32 exec_lo, exec_lo, s13
.LBB297_1479:                           ;   in Loop: Header=BB297_803 Depth=1
	s_or_b32 exec_lo, exec_lo, s12
	v_lshrrev_b32_e32 v0, 16, v11
	v_mov_b32_e32 v112, 0
	v_mov_b32_e32 v113, 0
	v_cmp_ne_u16_sdwa s4, v0, v1 src0_sel:BYTE_0 src1_sel:DWORD
	s_and_saveexec_b32 s12, s4
	s_cbranch_execz .LBB297_1487
; %bb.1480:                             ;   in Loop: Header=BB297_803 Depth=1
	v_cmp_ne_u16_sdwa s4, v0, v16 src0_sel:BYTE_0 src1_sel:DWORD
	v_mov_b32_e32 v113, 0x8000
	s_and_saveexec_b32 s13, s4
	s_cbranch_execz .LBB297_1486
; %bb.1481:                             ;   in Loop: Header=BB297_803 Depth=1
	v_bfe_u32 v114, v11, 16, 7
	v_mov_b32_e32 v113, 0x7c01
	s_mov_b32 s15, exec_lo
	v_cmpx_ne_u32_e32 0x7f, v114
	s_cbranch_execz .LBB297_1485
; %bb.1482:                             ;   in Loop: Header=BB297_803 Depth=1
	v_and_b32_e32 v33, 7, v0
	v_lshrrev_b32_e32 v113, 3, v114
	s_mov_b32 s18, exec_lo
	v_cmpx_gt_u32_e32 8, v114
; %bb.1483:                             ;   in Loop: Header=BB297_803 Depth=1
	v_ffbh_u32_e32 v13, v33
	v_min_u32_e32 v13, 32, v13
	v_subrev_nc_u32_e32 v33, 28, v13
	v_sub_nc_u32_e32 v113, 29, v13
	v_lshlrev_b64 v[114:115], v33, v[0:1]
	v_and_b32_e32 v33, 7, v114
; %bb.1484:                             ;   in Loop: Header=BB297_803 Depth=1
	s_or_b32 exec_lo, exec_lo, s18
	v_lshlrev_b32_e32 v0, 8, v0
	v_lshl_add_u32 v13, v113, 10, 0x2000
	v_lshlrev_b32_e32 v33, 7, v33
	v_and_b32_e32 v0, 0x8000, v0
	v_and_b32_e32 v13, 0xfc00, v13
	v_or3_b32 v113, v0, v13, v33
.LBB297_1485:                           ;   in Loop: Header=BB297_803 Depth=1
	s_or_b32 exec_lo, exec_lo, s15
.LBB297_1486:                           ;   in Loop: Header=BB297_803 Depth=1
	s_or_b32 exec_lo, exec_lo, s13
.LBB297_1487:                           ;   in Loop: Header=BB297_803 Depth=1
	s_or_b32 exec_lo, exec_lo, s12
	s_mov_b32 s12, exec_lo
	v_cmpx_lt_u32_e32 0xffffff, v11
	s_cbranch_execz .LBB297_1495
; %bb.1488:                             ;   in Loop: Header=BB297_803 Depth=1
	v_lshrrev_b32_e32 v0, 24, v11
	v_bfrev_b32_e32 v112, 1
	s_mov_b32 s13, exec_lo
	v_cmpx_ne_u32_e32 0x80, v0
	s_cbranch_execz .LBB297_1494
; %bb.1489:                             ;   in Loop: Header=BB297_803 Depth=1
	v_and_b32_e32 v114, 0x7f, v0
	v_mov_b32_e32 v112, 0x7c010000
	s_mov_b32 s15, exec_lo
	v_cmpx_ne_u32_e32 0x7f, v114
	s_cbranch_execz .LBB297_1493
; %bb.1490:                             ;   in Loop: Header=BB297_803 Depth=1
	v_and_b32_e32 v33, 7, v0
	v_lshrrev_b32_e32 v112, 3, v114
	s_mov_b32 s18, exec_lo
	v_cmpx_gt_u32_e32 8, v114
; %bb.1491:                             ;   in Loop: Header=BB297_803 Depth=1
	v_ffbh_u32_e32 v13, v33
	v_min_u32_e32 v13, 32, v13
	v_subrev_nc_u32_e32 v33, 28, v13
	v_sub_nc_u32_e32 v112, 29, v13
	v_lshlrev_b64 v[114:115], v33, v[0:1]
	v_and_b32_e32 v33, 7, v114
; %bb.1492:                             ;   in Loop: Header=BB297_803 Depth=1
	s_or_b32 exec_lo, exec_lo, s18
	v_lshlrev_b32_e32 v0, 8, v0
	v_lshl_add_u32 v13, v112, 10, 0x2000
	v_and_or_b32 v0, 0x8000, v0, v13
	v_lshlrev_b32_e32 v13, 23, v33
	v_lshl_or_b32 v112, v0, 16, v13
.LBB297_1493:                           ;   in Loop: Header=BB297_803 Depth=1
	s_or_b32 exec_lo, exec_lo, s15
.LBB297_1494:                           ;   in Loop: Header=BB297_803 Depth=1
	s_or_b32 exec_lo, exec_lo, s13
.LBB297_1495:                           ;   in Loop: Header=BB297_803 Depth=1
	s_or_b32 exec_lo, exec_lo, s12
	v_mov_b32_e32 v0, v12
	v_cmp_ne_u16_sdwa s4, v12, v1 src0_sel:BYTE_0 src1_sel:DWORD
	v_mov_b32_e32 v33, 0
	v_mov_b32_e32 v114, 0
	s_and_saveexec_b32 s12, s4
	s_cbranch_execz .LBB297_1503
; %bb.1496:                             ;   in Loop: Header=BB297_803 Depth=1
	v_cmp_ne_u16_sdwa s4, v12, v16 src0_sel:BYTE_0 src1_sel:DWORD
	v_mov_b32_e32 v114, 0x8000
	s_and_saveexec_b32 s13, s4
	s_cbranch_execz .LBB297_1502
; %bb.1497:                             ;   in Loop: Header=BB297_803 Depth=1
	v_and_b32_e32 v116, 0x7f, v12
	v_mov_b32_e32 v114, 0x7c01
	s_mov_b32 s15, exec_lo
	v_cmpx_ne_u32_e32 0x7f, v116
	s_cbranch_execz .LBB297_1501
; %bb.1498:                             ;   in Loop: Header=BB297_803 Depth=1
	v_and_b32_e32 v114, 7, v12
	v_lshrrev_b32_e32 v115, 3, v116
	s_mov_b32 s18, exec_lo
	v_cmpx_gt_u32_e32 8, v116
; %bb.1499:                             ;   in Loop: Header=BB297_803 Depth=1
	v_ffbh_u32_e32 v13, v114
	v_min_u32_e32 v13, 32, v13
	v_subrev_nc_u32_e32 v114, 28, v13
	v_lshlrev_b64 v[114:115], v114, v[0:1]
	v_sub_nc_u32_e32 v115, 29, v13
	v_and_b32_e32 v114, 7, v114
; %bb.1500:                             ;   in Loop: Header=BB297_803 Depth=1
	s_or_b32 exec_lo, exec_lo, s18
	v_lshlrev_b32_e32 v13, 8, v12
	v_lshl_add_u32 v115, v115, 10, 0x2000
	v_lshlrev_b32_e32 v114, 7, v114
	v_and_b32_e32 v13, 0x8000, v13
	v_and_b32_e32 v115, 0xfc00, v115
	v_or3_b32 v114, v13, v115, v114
.LBB297_1501:                           ;   in Loop: Header=BB297_803 Depth=1
	s_or_b32 exec_lo, exec_lo, s15
.LBB297_1502:                           ;   in Loop: Header=BB297_803 Depth=1
	s_or_b32 exec_lo, exec_lo, s13
.LBB297_1503:                           ;   in Loop: Header=BB297_803 Depth=1
	s_or_b32 exec_lo, exec_lo, s12
	v_lshrrev_b16 v0, 8, v0
	v_mov_b32_e32 v115, 0
	s_mov_b32 s12, exec_lo
	v_cmpx_ne_u16_e32 0, v0
	s_cbranch_execz .LBB297_1511
; %bb.1504:                             ;   in Loop: Header=BB297_803 Depth=1
	v_bfrev_b32_e32 v115, 1
	s_mov_b32 s13, exec_lo
	v_cmpx_ne_u16_e32 0x80, v0
	s_cbranch_execz .LBB297_1510
; %bb.1505:                             ;   in Loop: Header=BB297_803 Depth=1
	v_and_b32_sdwa v117, v0, v17 dst_sel:DWORD dst_unused:UNUSED_PAD src0_sel:WORD_0 src1_sel:DWORD
	v_mov_b32_e32 v115, 0x7c010000
	s_mov_b32 s15, exec_lo
	v_cmpx_ne_u32_e32 0x7f, v117
	s_cbranch_execz .LBB297_1509
; %bb.1506:                             ;   in Loop: Header=BB297_803 Depth=1
	v_and_b32_sdwa v115, v0, v38 dst_sel:DWORD dst_unused:UNUSED_PAD src0_sel:WORD_0 src1_sel:DWORD
	v_lshrrev_b32_e32 v116, 3, v117
	s_mov_b32 s18, exec_lo
	v_cmpx_gt_u32_e32 8, v117
; %bb.1507:                             ;   in Loop: Header=BB297_803 Depth=1
	v_ffbh_u32_e32 v13, v115
	v_min_u32_e32 v13, 32, v13
	v_subrev_nc_u32_e32 v115, 28, v13
	v_lshlrev_b64 v[115:116], v115, v[0:1]
	v_sub_nc_u32_e32 v116, 29, v13
	v_and_b32_e32 v115, 7, v115
; %bb.1508:                             ;   in Loop: Header=BB297_803 Depth=1
	s_or_b32 exec_lo, exec_lo, s18
	v_lshlrev_b32_sdwa v0, v39, v0 dst_sel:DWORD dst_unused:UNUSED_PAD src0_sel:DWORD src1_sel:WORD_0
	v_lshl_add_u32 v13, v116, 10, 0x2000
	v_and_or_b32 v0, 0x8000, v0, v13
	v_lshlrev_b32_e32 v13, 23, v115
	v_lshl_or_b32 v115, v0, 16, v13
.LBB297_1509:                           ;   in Loop: Header=BB297_803 Depth=1
	s_or_b32 exec_lo, exec_lo, s15
.LBB297_1510:                           ;   in Loop: Header=BB297_803 Depth=1
	s_or_b32 exec_lo, exec_lo, s13
.LBB297_1511:                           ;   in Loop: Header=BB297_803 Depth=1
	s_or_b32 exec_lo, exec_lo, s12
	v_lshrrev_b32_e32 v0, 16, v12
	v_cmp_ne_u16_sdwa s4, v0, v1 src0_sel:BYTE_0 src1_sel:DWORD
	s_and_saveexec_b32 s12, s4
	s_cbranch_execz .LBB297_1519
; %bb.1512:                             ;   in Loop: Header=BB297_803 Depth=1
	v_cmp_ne_u16_sdwa s4, v0, v16 src0_sel:BYTE_0 src1_sel:DWORD
	v_mov_b32_e32 v33, 0x8000
	s_and_saveexec_b32 s13, s4
	s_cbranch_execz .LBB297_1518
; %bb.1513:                             ;   in Loop: Header=BB297_803 Depth=1
	v_bfe_u32 v117, v12, 16, 7
	v_mov_b32_e32 v33, 0x7c01
	s_mov_b32 s15, exec_lo
	v_cmpx_ne_u32_e32 0x7f, v117
	s_cbranch_execz .LBB297_1517
; %bb.1514:                             ;   in Loop: Header=BB297_803 Depth=1
	v_and_b32_e32 v33, 7, v0
	v_lshrrev_b32_e32 v116, 3, v117
	s_mov_b32 s18, exec_lo
	v_cmpx_gt_u32_e32 8, v117
; %bb.1515:                             ;   in Loop: Header=BB297_803 Depth=1
	v_ffbh_u32_e32 v13, v33
	v_min_u32_e32 v13, 32, v13
	v_subrev_nc_u32_e32 v33, 28, v13
	v_sub_nc_u32_e32 v116, 29, v13
	v_lshlrev_b64 v[117:118], v33, v[0:1]
	v_and_b32_e32 v33, 7, v117
; %bb.1516:                             ;   in Loop: Header=BB297_803 Depth=1
	s_or_b32 exec_lo, exec_lo, s18
	v_lshlrev_b32_e32 v0, 8, v0
	v_lshl_add_u32 v13, v116, 10, 0x2000
	v_lshlrev_b32_e32 v33, 7, v33
	v_and_b32_e32 v0, 0x8000, v0
	v_and_b32_e32 v13, 0xfc00, v13
	v_or3_b32 v33, v0, v13, v33
.LBB297_1517:                           ;   in Loop: Header=BB297_803 Depth=1
	s_or_b32 exec_lo, exec_lo, s15
.LBB297_1518:                           ;   in Loop: Header=BB297_803 Depth=1
	s_or_b32 exec_lo, exec_lo, s13
.LBB297_1519:                           ;   in Loop: Header=BB297_803 Depth=1
	s_or_b32 exec_lo, exec_lo, s12
	v_cmp_lt_u64_e64 s4, s[8:9], v[11:12]
	v_mov_b32_e32 v11, 0
	s_and_saveexec_b32 s12, s4
	s_cbranch_execz .LBB297_1527
; %bb.1520:                             ;   in Loop: Header=BB297_803 Depth=1
	v_lshrrev_b32_e32 v0, 24, v12
	v_bfrev_b32_e32 v11, 1
	s_mov_b32 s13, exec_lo
	v_cmpx_ne_u32_e32 0x80, v0
	s_cbranch_execz .LBB297_1526
; %bb.1521:                             ;   in Loop: Header=BB297_803 Depth=1
	v_and_b32_e32 v116, 0x7f, v0
	v_mov_b32_e32 v11, 0x7c010000
	s_mov_b32 s15, exec_lo
	v_cmpx_ne_u32_e32 0x7f, v116
	s_cbranch_execz .LBB297_1525
; %bb.1522:                             ;   in Loop: Header=BB297_803 Depth=1
	v_and_b32_e32 v11, 7, v0
	v_lshrrev_b32_e32 v12, 3, v116
	s_mov_b32 s18, exec_lo
	v_cmpx_gt_u32_e32 8, v116
; %bb.1523:                             ;   in Loop: Header=BB297_803 Depth=1
	v_ffbh_u32_e32 v11, v11
	v_min_u32_e32 v13, 32, v11
	v_subrev_nc_u32_e32 v11, 28, v13
	v_lshlrev_b64 v[11:12], v11, v[0:1]
	v_sub_nc_u32_e32 v12, 29, v13
	v_and_b32_e32 v11, 7, v11
; %bb.1524:                             ;   in Loop: Header=BB297_803 Depth=1
	s_or_b32 exec_lo, exec_lo, s18
	v_lshlrev_b32_e32 v0, 8, v0
	v_lshl_add_u32 v12, v12, 10, 0x2000
	v_lshlrev_b32_e32 v11, 23, v11
	v_and_or_b32 v0, 0x8000, v0, v12
	v_lshl_or_b32 v11, v0, 16, v11
.LBB297_1525:                           ;   in Loop: Header=BB297_803 Depth=1
	s_or_b32 exec_lo, exec_lo, s15
.LBB297_1526:                           ;   in Loop: Header=BB297_803 Depth=1
	s_or_b32 exec_lo, exec_lo, s13
.LBB297_1527:                           ;   in Loop: Header=BB297_803 Depth=1
	s_or_b32 exec_lo, exec_lo, s12
	v_or_b32_e32 v0, v112, v113
	s_waitcnt vmcnt(0) lgkmcnt(0)
	v_fma_mixlo_f16 v12, v101, v112, 0 op_sel:[0,1,0] op_sel_hi:[0,1,0]
	v_or_b32_e32 v13, v102, v103
	v_or_b32_e32 v103, v115, v114
	;; [unrolled: 1-line block ×3, first 2 shown]
	v_fma_mixlo_f16 v112, v101, v0, 0 op_sel_hi:[0,1,0]
	v_fma_mixlo_f16 v102, v101, v102, 0 op_sel:[0,1,0] op_sel_hi:[0,1,0]
	v_lshlrev_b32_e32 v0, 16, v12
	v_fma_mixlo_f16 v13, v101, v13, 0 op_sel_hi:[0,1,0]
	v_fma_mixlo_f16 v103, v101, v103, 0 op_sel_hi:[0,1,0]
	v_and_b32_e32 v12, 0xffff, v112
	v_fma_mixlo_f16 v112, v101, v115, 0 op_sel:[0,1,0] op_sel_hi:[0,1,0]
	v_fma_mixlo_f16 v11, v101, v11, 0 op_sel:[0,1,0] op_sel_hi:[0,1,0]
	v_fma_mixlo_f16 v101, v101, v33, 0 op_sel_hi:[0,1,0]
	v_lshlrev_b32_e32 v102, 16, v102
	v_and_b32_e32 v116, 0xffff, v13
	v_lshlrev_b32_e32 v33, 16, v112
	v_and_b32_e32 v112, 0xffff, v103
	;; [unrolled: 2-line block ×3, first 2 shown]
	v_or_b32_e32 v103, v0, v12
	v_or_b32_e32 v115, v102, v116
	;; [unrolled: 1-line block ×4, first 2 shown]
	s_and_saveexec_b32 s12, vcc_lo
	s_cbranch_execz .LBB297_1529
; %bb.1528:                             ;   in Loop: Header=BB297_803 Depth=1
	v_cmp_lt_i32_e64 s4, v48, v35
	v_cndmask_b32_e64 v13, 0, v116, s4
	v_cmp_lt_i32_e64 s4, v71, v35
	v_cndmask_b32_e64 v102, 0, v102, s4
	v_cmp_lt_i32_e64 s4, v70, v35
	v_or_b32_e32 v115, v13, v102
	v_cndmask_b32_e64 v12, 0, v12, s4
	v_cmp_lt_i32_e64 s4, v68, v35
	v_cndmask_b32_e64 v0, 0, v0, s4
	v_cmp_lt_i32_e64 s4, v65, v35
	v_or_b32_e32 v103, v12, v0
	;; [unrolled: 5-line block ×3, first 2 shown]
	v_cndmask_b32_e64 v101, 0, v101, s4
	v_cmp_lt_i32_e64 s4, v14, v35
	v_cndmask_b32_e64 v11, 0, v11, s4
	v_or_b32_e32 v113, v101, v11
.LBB297_1529:                           ;   in Loop: Header=BB297_803 Depth=1
	s_or_b32 exec_lo, exec_lo, s12
	;;#ASMSTART
	v_pk_mul_f16 v0, v67, v115;

	;;#ASMEND
	;;#ASMSTART
	v_pk_mul_f16 v11, v64, v103;

	;;#ASMEND
	;; [unrolled: 4-line block ×4, first 2 shown]
	;;#ASMSTART
	v_pk_add_f16 v0, v0, v11;

	;;#ASMEND
	;;#ASMSTART
	v_pk_add_f16 v0, v0, v12;

	;;#ASMEND
	;; [unrolled: 4-line block ×3, first 2 shown]
	v_and_b32_e32 v11, 0xffff, v0
	v_lshrrev_b32_e32 v0, 16, v0
	;;#ASMSTART
	v_cvt_f32_f16 v11, v11;
	;;#ASMEND
	;;#ASMSTART
	v_cvt_f32_f16 v12, v0;
	;;#ASMEND
	flat_load_dwordx2 v[9:10], v[9:10] offset:768
	flat_load_dword v101, v[26:27]
	v_mov_b32_e32 v102, 0
	v_mov_b32_e32 v103, 0
	s_waitcnt vmcnt(1) lgkmcnt(1)
	v_cmp_ne_u16_sdwa s4, v9, v1 src0_sel:BYTE_0 src1_sel:DWORD
	s_and_saveexec_b32 s12, s4
	s_cbranch_execz .LBB297_1537
; %bb.1530:                             ;   in Loop: Header=BB297_803 Depth=1
	v_cmp_ne_u16_sdwa s4, v9, v16 src0_sel:BYTE_0 src1_sel:DWORD
	v_mov_b32_e32 v103, 0x8000
	s_and_saveexec_b32 s13, s4
	s_cbranch_execz .LBB297_1536
; %bb.1531:                             ;   in Loop: Header=BB297_803 Depth=1
	v_and_b32_e32 v112, 0x7f, v9
	v_mov_b32_e32 v103, 0x7c01
	s_mov_b32 s15, exec_lo
	v_cmpx_ne_u32_e32 0x7f, v112
	s_cbranch_execz .LBB297_1535
; %bb.1532:                             ;   in Loop: Header=BB297_803 Depth=1
	v_and_b32_e32 v0, 7, v9
	v_lshrrev_b32_e32 v33, 3, v112
	s_mov_b32 s18, exec_lo
	v_cmpx_gt_u32_e32 8, v112
; %bb.1533:                             ;   in Loop: Header=BB297_803 Depth=1
	v_ffbh_u32_e32 v0, v0
	v_min_u32_e32 v0, 32, v0
	v_subrev_nc_u32_e32 v13, 28, v0
	v_sub_nc_u32_e32 v33, 29, v0
	v_lshlrev_b64 v[112:113], v13, v[9:10]
	v_and_b32_e32 v0, 7, v112
; %bb.1534:                             ;   in Loop: Header=BB297_803 Depth=1
	s_or_b32 exec_lo, exec_lo, s18
	v_lshlrev_b32_e32 v13, 8, v9
	v_lshl_add_u32 v33, v33, 10, 0x2000
	v_lshlrev_b32_e32 v0, 7, v0
	v_and_b32_e32 v13, 0x8000, v13
	v_and_b32_e32 v33, 0xfc00, v33
	v_or3_b32 v103, v13, v33, v0
.LBB297_1535:                           ;   in Loop: Header=BB297_803 Depth=1
	s_or_b32 exec_lo, exec_lo, s15
.LBB297_1536:                           ;   in Loop: Header=BB297_803 Depth=1
	s_or_b32 exec_lo, exec_lo, s13
.LBB297_1537:                           ;   in Loop: Header=BB297_803 Depth=1
	s_or_b32 exec_lo, exec_lo, s12
	v_lshrrev_b16 v0, 8, v9
	s_mov_b32 s12, exec_lo
	v_cmpx_ne_u16_e32 0, v0
	s_cbranch_execz .LBB297_1545
; %bb.1538:                             ;   in Loop: Header=BB297_803 Depth=1
	v_bfrev_b32_e32 v102, 1
	s_mov_b32 s13, exec_lo
	v_cmpx_ne_u16_e32 0x80, v0
	s_cbranch_execz .LBB297_1544
; %bb.1539:                             ;   in Loop: Header=BB297_803 Depth=1
	v_and_b32_sdwa v112, v0, v17 dst_sel:DWORD dst_unused:UNUSED_PAD src0_sel:WORD_0 src1_sel:DWORD
	v_mov_b32_e32 v102, 0x7c010000
	s_mov_b32 s15, exec_lo
	v_cmpx_ne_u32_e32 0x7f, v112
	s_cbranch_execz .LBB297_1543
; %bb.1540:                             ;   in Loop: Header=BB297_803 Depth=1
	v_and_b32_sdwa v33, v0, v38 dst_sel:DWORD dst_unused:UNUSED_PAD src0_sel:WORD_0 src1_sel:DWORD
	v_lshrrev_b32_e32 v102, 3, v112
	s_mov_b32 s18, exec_lo
	v_cmpx_gt_u32_e32 8, v112
; %bb.1541:                             ;   in Loop: Header=BB297_803 Depth=1
	v_ffbh_u32_e32 v13, v33
	v_min_u32_e32 v13, 32, v13
	v_subrev_nc_u32_e32 v33, 28, v13
	v_sub_nc_u32_e32 v102, 29, v13
	v_lshlrev_b64 v[112:113], v33, v[0:1]
	v_and_b32_e32 v33, 7, v112
; %bb.1542:                             ;   in Loop: Header=BB297_803 Depth=1
	s_or_b32 exec_lo, exec_lo, s18
	v_lshlrev_b32_sdwa v0, v39, v0 dst_sel:DWORD dst_unused:UNUSED_PAD src0_sel:DWORD src1_sel:WORD_0
	v_lshl_add_u32 v13, v102, 10, 0x2000
	v_and_or_b32 v0, 0x8000, v0, v13
	v_lshlrev_b32_e32 v13, 23, v33
	v_lshl_or_b32 v102, v0, 16, v13
.LBB297_1543:                           ;   in Loop: Header=BB297_803 Depth=1
	s_or_b32 exec_lo, exec_lo, s15
.LBB297_1544:                           ;   in Loop: Header=BB297_803 Depth=1
	s_or_b32 exec_lo, exec_lo, s13
.LBB297_1545:                           ;   in Loop: Header=BB297_803 Depth=1
	s_or_b32 exec_lo, exec_lo, s12
	v_lshrrev_b32_e32 v0, 16, v9
	v_mov_b32_e32 v112, 0
	v_mov_b32_e32 v113, 0
	v_cmp_ne_u16_sdwa s4, v0, v1 src0_sel:BYTE_0 src1_sel:DWORD
	s_and_saveexec_b32 s12, s4
	s_cbranch_execz .LBB297_1553
; %bb.1546:                             ;   in Loop: Header=BB297_803 Depth=1
	v_cmp_ne_u16_sdwa s4, v0, v16 src0_sel:BYTE_0 src1_sel:DWORD
	v_mov_b32_e32 v113, 0x8000
	s_and_saveexec_b32 s13, s4
	s_cbranch_execz .LBB297_1552
; %bb.1547:                             ;   in Loop: Header=BB297_803 Depth=1
	v_bfe_u32 v114, v9, 16, 7
	v_mov_b32_e32 v113, 0x7c01
	s_mov_b32 s15, exec_lo
	v_cmpx_ne_u32_e32 0x7f, v114
	s_cbranch_execz .LBB297_1551
; %bb.1548:                             ;   in Loop: Header=BB297_803 Depth=1
	v_and_b32_e32 v33, 7, v0
	v_lshrrev_b32_e32 v113, 3, v114
	s_mov_b32 s18, exec_lo
	v_cmpx_gt_u32_e32 8, v114
; %bb.1549:                             ;   in Loop: Header=BB297_803 Depth=1
	v_ffbh_u32_e32 v13, v33
	v_min_u32_e32 v13, 32, v13
	v_subrev_nc_u32_e32 v33, 28, v13
	v_sub_nc_u32_e32 v113, 29, v13
	v_lshlrev_b64 v[114:115], v33, v[0:1]
	v_and_b32_e32 v33, 7, v114
; %bb.1550:                             ;   in Loop: Header=BB297_803 Depth=1
	s_or_b32 exec_lo, exec_lo, s18
	v_lshlrev_b32_e32 v0, 8, v0
	v_lshl_add_u32 v13, v113, 10, 0x2000
	v_lshlrev_b32_e32 v33, 7, v33
	v_and_b32_e32 v0, 0x8000, v0
	v_and_b32_e32 v13, 0xfc00, v13
	v_or3_b32 v113, v0, v13, v33
.LBB297_1551:                           ;   in Loop: Header=BB297_803 Depth=1
	s_or_b32 exec_lo, exec_lo, s15
.LBB297_1552:                           ;   in Loop: Header=BB297_803 Depth=1
	s_or_b32 exec_lo, exec_lo, s13
.LBB297_1553:                           ;   in Loop: Header=BB297_803 Depth=1
	s_or_b32 exec_lo, exec_lo, s12
	s_mov_b32 s12, exec_lo
	v_cmpx_lt_u32_e32 0xffffff, v9
	s_cbranch_execz .LBB297_1561
; %bb.1554:                             ;   in Loop: Header=BB297_803 Depth=1
	v_lshrrev_b32_e32 v0, 24, v9
	v_bfrev_b32_e32 v112, 1
	s_mov_b32 s13, exec_lo
	v_cmpx_ne_u32_e32 0x80, v0
	s_cbranch_execz .LBB297_1560
; %bb.1555:                             ;   in Loop: Header=BB297_803 Depth=1
	v_and_b32_e32 v114, 0x7f, v0
	v_mov_b32_e32 v112, 0x7c010000
	s_mov_b32 s15, exec_lo
	v_cmpx_ne_u32_e32 0x7f, v114
	s_cbranch_execz .LBB297_1559
; %bb.1556:                             ;   in Loop: Header=BB297_803 Depth=1
	v_and_b32_e32 v33, 7, v0
	v_lshrrev_b32_e32 v112, 3, v114
	s_mov_b32 s18, exec_lo
	v_cmpx_gt_u32_e32 8, v114
; %bb.1557:                             ;   in Loop: Header=BB297_803 Depth=1
	v_ffbh_u32_e32 v13, v33
	v_min_u32_e32 v13, 32, v13
	v_subrev_nc_u32_e32 v33, 28, v13
	v_sub_nc_u32_e32 v112, 29, v13
	v_lshlrev_b64 v[114:115], v33, v[0:1]
	v_and_b32_e32 v33, 7, v114
; %bb.1558:                             ;   in Loop: Header=BB297_803 Depth=1
	s_or_b32 exec_lo, exec_lo, s18
	v_lshlrev_b32_e32 v0, 8, v0
	v_lshl_add_u32 v13, v112, 10, 0x2000
	v_and_or_b32 v0, 0x8000, v0, v13
	v_lshlrev_b32_e32 v13, 23, v33
	v_lshl_or_b32 v112, v0, 16, v13
.LBB297_1559:                           ;   in Loop: Header=BB297_803 Depth=1
	s_or_b32 exec_lo, exec_lo, s15
.LBB297_1560:                           ;   in Loop: Header=BB297_803 Depth=1
	s_or_b32 exec_lo, exec_lo, s13
.LBB297_1561:                           ;   in Loop: Header=BB297_803 Depth=1
	s_or_b32 exec_lo, exec_lo, s12
	v_mov_b32_e32 v0, v10
	v_cmp_ne_u16_sdwa s4, v10, v1 src0_sel:BYTE_0 src1_sel:DWORD
	v_mov_b32_e32 v33, 0
	v_mov_b32_e32 v114, 0
	s_and_saveexec_b32 s12, s4
	s_cbranch_execz .LBB297_1569
; %bb.1562:                             ;   in Loop: Header=BB297_803 Depth=1
	v_cmp_ne_u16_sdwa s4, v10, v16 src0_sel:BYTE_0 src1_sel:DWORD
	v_mov_b32_e32 v114, 0x8000
	s_and_saveexec_b32 s13, s4
	s_cbranch_execz .LBB297_1568
; %bb.1563:                             ;   in Loop: Header=BB297_803 Depth=1
	v_and_b32_e32 v116, 0x7f, v10
	v_mov_b32_e32 v114, 0x7c01
	s_mov_b32 s15, exec_lo
	v_cmpx_ne_u32_e32 0x7f, v116
	s_cbranch_execz .LBB297_1567
; %bb.1564:                             ;   in Loop: Header=BB297_803 Depth=1
	v_and_b32_e32 v114, 7, v10
	v_lshrrev_b32_e32 v115, 3, v116
	s_mov_b32 s18, exec_lo
	v_cmpx_gt_u32_e32 8, v116
; %bb.1565:                             ;   in Loop: Header=BB297_803 Depth=1
	v_ffbh_u32_e32 v13, v114
	v_min_u32_e32 v13, 32, v13
	v_subrev_nc_u32_e32 v114, 28, v13
	v_lshlrev_b64 v[114:115], v114, v[0:1]
	v_sub_nc_u32_e32 v115, 29, v13
	v_and_b32_e32 v114, 7, v114
; %bb.1566:                             ;   in Loop: Header=BB297_803 Depth=1
	s_or_b32 exec_lo, exec_lo, s18
	v_lshlrev_b32_e32 v13, 8, v10
	v_lshl_add_u32 v115, v115, 10, 0x2000
	v_lshlrev_b32_e32 v114, 7, v114
	v_and_b32_e32 v13, 0x8000, v13
	v_and_b32_e32 v115, 0xfc00, v115
	v_or3_b32 v114, v13, v115, v114
.LBB297_1567:                           ;   in Loop: Header=BB297_803 Depth=1
	s_or_b32 exec_lo, exec_lo, s15
.LBB297_1568:                           ;   in Loop: Header=BB297_803 Depth=1
	s_or_b32 exec_lo, exec_lo, s13
.LBB297_1569:                           ;   in Loop: Header=BB297_803 Depth=1
	s_or_b32 exec_lo, exec_lo, s12
	v_lshrrev_b16 v0, 8, v0
	v_mov_b32_e32 v115, 0
	s_mov_b32 s12, exec_lo
	v_cmpx_ne_u16_e32 0, v0
	s_cbranch_execz .LBB297_1577
; %bb.1570:                             ;   in Loop: Header=BB297_803 Depth=1
	v_bfrev_b32_e32 v115, 1
	s_mov_b32 s13, exec_lo
	v_cmpx_ne_u16_e32 0x80, v0
	s_cbranch_execz .LBB297_1576
; %bb.1571:                             ;   in Loop: Header=BB297_803 Depth=1
	v_and_b32_sdwa v117, v0, v17 dst_sel:DWORD dst_unused:UNUSED_PAD src0_sel:WORD_0 src1_sel:DWORD
	v_mov_b32_e32 v115, 0x7c010000
	s_mov_b32 s15, exec_lo
	v_cmpx_ne_u32_e32 0x7f, v117
	s_cbranch_execz .LBB297_1575
; %bb.1572:                             ;   in Loop: Header=BB297_803 Depth=1
	v_and_b32_sdwa v115, v0, v38 dst_sel:DWORD dst_unused:UNUSED_PAD src0_sel:WORD_0 src1_sel:DWORD
	v_lshrrev_b32_e32 v116, 3, v117
	s_mov_b32 s18, exec_lo
	v_cmpx_gt_u32_e32 8, v117
; %bb.1573:                             ;   in Loop: Header=BB297_803 Depth=1
	v_ffbh_u32_e32 v13, v115
	v_min_u32_e32 v13, 32, v13
	v_subrev_nc_u32_e32 v115, 28, v13
	v_lshlrev_b64 v[115:116], v115, v[0:1]
	v_sub_nc_u32_e32 v116, 29, v13
	v_and_b32_e32 v115, 7, v115
; %bb.1574:                             ;   in Loop: Header=BB297_803 Depth=1
	s_or_b32 exec_lo, exec_lo, s18
	v_lshlrev_b32_sdwa v0, v39, v0 dst_sel:DWORD dst_unused:UNUSED_PAD src0_sel:DWORD src1_sel:WORD_0
	v_lshl_add_u32 v13, v116, 10, 0x2000
	v_and_or_b32 v0, 0x8000, v0, v13
	v_lshlrev_b32_e32 v13, 23, v115
	v_lshl_or_b32 v115, v0, 16, v13
.LBB297_1575:                           ;   in Loop: Header=BB297_803 Depth=1
	s_or_b32 exec_lo, exec_lo, s15
.LBB297_1576:                           ;   in Loop: Header=BB297_803 Depth=1
	s_or_b32 exec_lo, exec_lo, s13
.LBB297_1577:                           ;   in Loop: Header=BB297_803 Depth=1
	s_or_b32 exec_lo, exec_lo, s12
	v_lshrrev_b32_e32 v0, 16, v10
	v_cmp_ne_u16_sdwa s4, v0, v1 src0_sel:BYTE_0 src1_sel:DWORD
	s_and_saveexec_b32 s12, s4
	s_cbranch_execz .LBB297_1585
; %bb.1578:                             ;   in Loop: Header=BB297_803 Depth=1
	v_cmp_ne_u16_sdwa s4, v0, v16 src0_sel:BYTE_0 src1_sel:DWORD
	v_mov_b32_e32 v33, 0x8000
	s_and_saveexec_b32 s13, s4
	s_cbranch_execz .LBB297_1584
; %bb.1579:                             ;   in Loop: Header=BB297_803 Depth=1
	v_bfe_u32 v117, v10, 16, 7
	v_mov_b32_e32 v33, 0x7c01
	s_mov_b32 s15, exec_lo
	v_cmpx_ne_u32_e32 0x7f, v117
	s_cbranch_execz .LBB297_1583
; %bb.1580:                             ;   in Loop: Header=BB297_803 Depth=1
	v_and_b32_e32 v33, 7, v0
	v_lshrrev_b32_e32 v116, 3, v117
	s_mov_b32 s18, exec_lo
	v_cmpx_gt_u32_e32 8, v117
; %bb.1581:                             ;   in Loop: Header=BB297_803 Depth=1
	v_ffbh_u32_e32 v13, v33
	v_min_u32_e32 v13, 32, v13
	v_subrev_nc_u32_e32 v33, 28, v13
	v_sub_nc_u32_e32 v116, 29, v13
	v_lshlrev_b64 v[117:118], v33, v[0:1]
	v_and_b32_e32 v33, 7, v117
; %bb.1582:                             ;   in Loop: Header=BB297_803 Depth=1
	s_or_b32 exec_lo, exec_lo, s18
	v_lshlrev_b32_e32 v0, 8, v0
	v_lshl_add_u32 v13, v116, 10, 0x2000
	v_lshlrev_b32_e32 v33, 7, v33
	v_and_b32_e32 v0, 0x8000, v0
	v_and_b32_e32 v13, 0xfc00, v13
	v_or3_b32 v33, v0, v13, v33
.LBB297_1583:                           ;   in Loop: Header=BB297_803 Depth=1
	s_or_b32 exec_lo, exec_lo, s15
.LBB297_1584:                           ;   in Loop: Header=BB297_803 Depth=1
	s_or_b32 exec_lo, exec_lo, s13
.LBB297_1585:                           ;   in Loop: Header=BB297_803 Depth=1
	s_or_b32 exec_lo, exec_lo, s12
	v_cmp_lt_u64_e64 s4, s[8:9], v[9:10]
	v_mov_b32_e32 v9, 0
	s_and_saveexec_b32 s12, s4
	s_cbranch_execz .LBB297_1593
; %bb.1586:                             ;   in Loop: Header=BB297_803 Depth=1
	v_lshrrev_b32_e32 v0, 24, v10
	v_bfrev_b32_e32 v9, 1
	s_mov_b32 s13, exec_lo
	v_cmpx_ne_u32_e32 0x80, v0
	s_cbranch_execz .LBB297_1592
; %bb.1587:                             ;   in Loop: Header=BB297_803 Depth=1
	v_and_b32_e32 v116, 0x7f, v0
	v_mov_b32_e32 v9, 0x7c010000
	s_mov_b32 s15, exec_lo
	v_cmpx_ne_u32_e32 0x7f, v116
	s_cbranch_execz .LBB297_1591
; %bb.1588:                             ;   in Loop: Header=BB297_803 Depth=1
	v_and_b32_e32 v9, 7, v0
	v_lshrrev_b32_e32 v10, 3, v116
	s_mov_b32 s18, exec_lo
	v_cmpx_gt_u32_e32 8, v116
; %bb.1589:                             ;   in Loop: Header=BB297_803 Depth=1
	v_ffbh_u32_e32 v9, v9
	v_min_u32_e32 v13, 32, v9
	v_subrev_nc_u32_e32 v9, 28, v13
	v_lshlrev_b64 v[9:10], v9, v[0:1]
	v_sub_nc_u32_e32 v10, 29, v13
	v_and_b32_e32 v9, 7, v9
; %bb.1590:                             ;   in Loop: Header=BB297_803 Depth=1
	s_or_b32 exec_lo, exec_lo, s18
	v_lshlrev_b32_e32 v0, 8, v0
	v_lshl_add_u32 v10, v10, 10, 0x2000
	v_lshlrev_b32_e32 v9, 23, v9
	v_and_or_b32 v0, 0x8000, v0, v10
	v_lshl_or_b32 v9, v0, 16, v9
.LBB297_1591:                           ;   in Loop: Header=BB297_803 Depth=1
	s_or_b32 exec_lo, exec_lo, s15
.LBB297_1592:                           ;   in Loop: Header=BB297_803 Depth=1
	s_or_b32 exec_lo, exec_lo, s13
.LBB297_1593:                           ;   in Loop: Header=BB297_803 Depth=1
	s_or_b32 exec_lo, exec_lo, s12
	v_or_b32_e32 v0, v112, v113
	s_waitcnt vmcnt(0) lgkmcnt(0)
	v_fma_mixlo_f16 v10, v101, v112, 0 op_sel:[0,1,0] op_sel_hi:[0,1,0]
	v_or_b32_e32 v13, v102, v103
	v_fma_mixlo_f16 v103, v101, v102, 0 op_sel:[0,1,0] op_sel_hi:[0,1,0]
	v_or_b32_e32 v112, v115, v114
	v_fma_mixlo_f16 v0, v101, v0, 0 op_sel_hi:[0,1,0]
	v_or_b32_e32 v33, v9, v33
	v_lshlrev_b32_e32 v102, 16, v10
	v_lshlrev_b32_e32 v114, 16, v103
	v_fma_mixlo_f16 v10, v101, v13, 0 op_sel_hi:[0,1,0]
	v_and_b32_e32 v103, 0xffff, v0
	v_fma_mixlo_f16 v0, v101, v115, 0 op_sel:[0,1,0] op_sel_hi:[0,1,0]
	v_fma_mixlo_f16 v13, v101, v112, 0 op_sel_hi:[0,1,0]
	v_fma_mixlo_f16 v9, v101, v9, 0 op_sel:[0,1,0] op_sel_hi:[0,1,0]
	v_fma_mixlo_f16 v33, v101, v33, 0 op_sel_hi:[0,1,0]
	v_and_b32_e32 v116, 0xffff, v10
	v_lshlrev_b32_e32 v112, 16, v0
	v_and_b32_e32 v115, 0xffff, v13
	v_lshlrev_b32_e32 v101, 16, v9
	v_and_b32_e32 v113, 0xffff, v33
	v_or_b32_e32 v0, v102, v103
	v_or_b32_e32 v33, v114, v116
	;; [unrolled: 1-line block ×4, first 2 shown]
	s_and_saveexec_b32 s4, vcc_lo
	s_cbranch_execz .LBB297_802
; %bb.1594:                             ;   in Loop: Header=BB297_803 Depth=1
	v_cmp_lt_i32_e32 vcc_lo, v48, v35
	v_cndmask_b32_e32 v0, 0, v116, vcc_lo
	v_cmp_lt_i32_e32 vcc_lo, v71, v35
	v_cndmask_b32_e32 v9, 0, v114, vcc_lo
	v_cmp_lt_i32_e32 vcc_lo, v70, v35
	v_or_b32_e32 v33, v0, v9
	v_cndmask_b32_e32 v10, 0, v103, vcc_lo
	v_cmp_lt_i32_e32 vcc_lo, v68, v35
	v_cndmask_b32_e32 v13, 0, v102, vcc_lo
	v_cmp_lt_i32_e32 vcc_lo, v65, v35
	v_or_b32_e32 v0, v10, v13
	;; [unrolled: 5-line block ×3, first 2 shown]
	v_cndmask_b32_e32 v52, 0, v113, vcc_lo
	v_cmp_lt_i32_e32 vcc_lo, v14, v35
	v_cndmask_b32_e32 v65, 0, v101, vcc_lo
	v_or_b32_e32 v9, v52, v65
	s_branch .LBB297_802
.LBB297_1595:
	s_or_b32 exec_lo, exec_lo, s11
	v_mov_b32_e32 v0, s16
	v_mov_b32_e32 v1, s17
	;; [unrolled: 1-line block ×4, first 2 shown]
.LBB297_1596:
	s_or_b32 exec_lo, exec_lo, s7
	s_waitcnt lgkmcnt(0)
	s_waitcnt_vscnt null, 0x0
	s_barrier
	buffer_gl0_inv
	buffer_load_dword v6, off, s[0:3], s32 offset:216 ; 4-byte Folded Reload
	v_lshlrev_b64 v[0:1], 2, v[0:1]
	s_getpc_b64 s[8:9]
	s_add_u32 s8, s8, llvm.amdgcn.dynlds.offset.table@rel32@lo+4
	s_addc_u32 s9, s9, llvm.amdgcn.dynlds.offset.table@rel32@hi+12
	ds_bpermute_b32 v2, v18, v50
	ds_bpermute_b32 v3, v18, v31
	;; [unrolled: 1-line block ×4, first 2 shown]
	v_add_co_u32 v0, vcc_lo, s8, v0
	v_add_co_ci_u32_e64 v1, null, s9, v1, vcc_lo
	ds_bpermute_b32 v13, v18, v28
	ds_bpermute_b32 v16, v18, v25
	;; [unrolled: 1-line block ×3, first 2 shown]
	global_load_dword v12, v[0:1], off
	ds_bpermute_b32 v0, v18, v49
	ds_bpermute_b32 v1, v18, v51
	;; [unrolled: 1-line block ×5, first 2 shown]
	v_lshrrev_b32_e32 v14, 1, v37
	s_mov_b32 s4, exec_lo
	s_waitcnt lgkmcnt(11)
	v_add_f32_e32 v9, v50, v2
	s_waitcnt lgkmcnt(10)
	v_add_f32_e32 v8, v31, v3
	;; [unrolled: 2-line block ×10, first 2 shown]
	s_waitcnt vmcnt(1)
	v_mul_u32_u24_e32 v15, 0x300, v6
	buffer_load_dword v6, off, s[0:3], s32 offset:204 ; 4-byte Folded Reload
	s_waitcnt vmcnt(0)
	v_and_b32_e32 v26, 0x3c1, v6
	v_add_f32_e32 v6, v29, v5
	v_add_f32_e32 v5, v28, v13
	v_lshl_add_u32 v13, v14, 2, v12
	v_cmpx_eq_u32_e32 64, v26
	s_cbranch_execz .LBB297_1598
; %bb.1597:
	v_add_nc_u32_e32 v16, v13, v15
	v_add_nc_u32_e32 v17, 0xfffffa00, v16
	;; [unrolled: 1-line block ×8, first 2 shown]
	ds_write_b32 v17, v11
	ds_write_b32 v18, v10
	;; [unrolled: 1-line block ×7, first 2 shown]
	v_add_nc_u32_e32 v17, 0xfffffbc0, v16
	v_add_nc_u32_e32 v18, 0xfffffc00, v16
	;; [unrolled: 1-line block ×5, first 2 shown]
	ds_write_b32 v17, v4
	ds_write_b32 v18, v3
	;; [unrolled: 1-line block ×5, first 2 shown]
.LBB297_1598:
	s_or_b32 exec_lo, exec_lo, s4
	v_lshlrev_b32_e32 v14, 2, v14
	buffer_load_dword v16, off, s[0:3], s32 offset:220 ; 4-byte Folded Reload
	s_mov_b32 s7, exec_lo
	v_add3_u32 v12, v12, v15, v14
	buffer_load_dword v14, off, s[0:3], s32 offset:204 ; 4-byte Folded Reload
	s_waitcnt vmcnt(0) lgkmcnt(0)
	s_barrier
	buffer_gl0_inv
	v_cmp_eq_u32_e32 vcc_lo, 0, v16
	v_cmpx_gt_u32_e32 64, v14
	s_cbranch_execz .LBB297_1613
; %bb.1599:
	s_and_saveexec_b32 s4, vcc_lo
	s_cbranch_execnz .LBB297_1633
; %bb.1600:
	s_or_b32 exec_lo, exec_lo, s4
	s_and_saveexec_b32 s4, vcc_lo
	s_cbranch_execnz .LBB297_1634
.LBB297_1601:
	s_or_b32 exec_lo, exec_lo, s4
	s_and_saveexec_b32 s4, vcc_lo
	s_cbranch_execnz .LBB297_1635
.LBB297_1602:
	s_or_b32 exec_lo, exec_lo, s4
	s_and_saveexec_b32 s4, vcc_lo
	s_cbranch_execnz .LBB297_1636
.LBB297_1603:
	s_or_b32 exec_lo, exec_lo, s4
	s_and_saveexec_b32 s4, vcc_lo
	s_cbranch_execnz .LBB297_1637
.LBB297_1604:
	s_or_b32 exec_lo, exec_lo, s4
	s_and_saveexec_b32 s4, vcc_lo
	s_cbranch_execnz .LBB297_1638
.LBB297_1605:
	s_or_b32 exec_lo, exec_lo, s4
	s_and_saveexec_b32 s4, vcc_lo
	s_cbranch_execnz .LBB297_1639
.LBB297_1606:
	s_or_b32 exec_lo, exec_lo, s4
	s_and_saveexec_b32 s4, vcc_lo
	s_cbranch_execnz .LBB297_1640
.LBB297_1607:
	s_or_b32 exec_lo, exec_lo, s4
	s_and_saveexec_b32 s4, vcc_lo
	s_cbranch_execnz .LBB297_1641
.LBB297_1608:
	s_or_b32 exec_lo, exec_lo, s4
	s_and_saveexec_b32 s4, vcc_lo
	s_cbranch_execnz .LBB297_1642
.LBB297_1609:
	s_or_b32 exec_lo, exec_lo, s4
	s_and_saveexec_b32 s4, vcc_lo
	s_cbranch_execnz .LBB297_1643
.LBB297_1610:
	s_or_b32 exec_lo, exec_lo, s4
	s_and_saveexec_b32 s4, vcc_lo
	s_cbranch_execz .LBB297_1612
.LBB297_1611:
	ds_read_b32 v14, v12 offset:704
	s_waitcnt lgkmcnt(0)
	v_add_f32_e32 v0, v14, v0
.LBB297_1612:
	s_or_b32 exec_lo, exec_lo, s4
.LBB297_1613:
	s_or_b32 exec_lo, exec_lo, s7
	buffer_load_dword v14, off, s[0:3], s32 offset:204 ; 4-byte Folded Reload
	s_mov_b32 s7, exec_lo
	s_waitcnt vmcnt(0)
	s_barrier
	buffer_gl0_inv
	v_and_b32_e32 v14, 0x3e1, v14
	v_cmpx_eq_u32_e32 32, v14
	s_cbranch_execz .LBB297_1615
; %bb.1614:
	ds_write2_b32 v13, v11, v10 offset1:16
	ds_write2_b32 v13, v9, v8 offset0:32 offset1:48
	ds_write2_b32 v13, v7, v6 offset0:64 offset1:80
	;; [unrolled: 1-line block ×5, first 2 shown]
.LBB297_1615:
	s_or_b32 exec_lo, exec_lo, s7
	buffer_load_dword v13, off, s[0:3], s32 offset:204 ; 4-byte Folded Reload
	s_mov_b32 s7, exec_lo
	s_waitcnt vmcnt(0) lgkmcnt(0)
	s_barrier
	buffer_gl0_inv
	v_cmpx_gt_u32_e32 32, v13
	s_cbranch_execz .LBB297_1630
; %bb.1616:
	s_and_saveexec_b32 s4, vcc_lo
	s_cbranch_execnz .LBB297_1644
; %bb.1617:
	s_or_b32 exec_lo, exec_lo, s4
	s_and_saveexec_b32 s4, vcc_lo
	s_cbranch_execnz .LBB297_1645
.LBB297_1618:
	s_or_b32 exec_lo, exec_lo, s4
	s_and_saveexec_b32 s4, vcc_lo
	s_cbranch_execnz .LBB297_1646
.LBB297_1619:
	s_or_b32 exec_lo, exec_lo, s4
	s_and_saveexec_b32 s4, vcc_lo
	s_cbranch_execnz .LBB297_1647
.LBB297_1620:
	s_or_b32 exec_lo, exec_lo, s4
	s_and_saveexec_b32 s4, vcc_lo
	s_cbranch_execnz .LBB297_1648
.LBB297_1621:
	s_or_b32 exec_lo, exec_lo, s4
	s_and_saveexec_b32 s4, vcc_lo
	s_cbranch_execnz .LBB297_1649
.LBB297_1622:
	s_or_b32 exec_lo, exec_lo, s4
	s_and_saveexec_b32 s4, vcc_lo
	s_cbranch_execnz .LBB297_1650
.LBB297_1623:
	s_or_b32 exec_lo, exec_lo, s4
	s_and_saveexec_b32 s4, vcc_lo
	s_cbranch_execnz .LBB297_1651
.LBB297_1624:
	s_or_b32 exec_lo, exec_lo, s4
	s_and_saveexec_b32 s4, vcc_lo
	s_cbranch_execnz .LBB297_1652
.LBB297_1625:
	s_or_b32 exec_lo, exec_lo, s4
	s_and_saveexec_b32 s4, vcc_lo
	s_cbranch_execnz .LBB297_1653
.LBB297_1626:
	s_or_b32 exec_lo, exec_lo, s4
	s_and_saveexec_b32 s4, vcc_lo
	s_cbranch_execnz .LBB297_1654
.LBB297_1627:
	s_or_b32 exec_lo, exec_lo, s4
	s_and_saveexec_b32 s4, vcc_lo
	s_cbranch_execz .LBB297_1629
.LBB297_1628:
	ds_read_b32 v12, v12 offset:704
	s_waitcnt lgkmcnt(0)
	v_add_f32_e32 v0, v12, v0
.LBB297_1629:
	s_or_b32 exec_lo, exec_lo, s4
.LBB297_1630:
	s_or_b32 exec_lo, exec_lo, s7
	v_cmp_eq_u32_e32 vcc_lo, 0, v14
	s_barrier
	buffer_gl0_inv
	s_and_b32 exec_lo, exec_lo, vcc_lo
	s_cbranch_execz .LBB297_1632
; %bb.1631:
	buffer_load_dword v14, off, s[0:3], s32 offset:224 ; 4-byte Folded Reload
	s_mulk_i32 s6, 0xc0
	s_mul_i32 s4, s10, s5
	s_ashr_i32 s7, s6, 31
	s_ashr_i32 s5, s4, 31
	s_lshl_b64 s[6:7], s[6:7], 1
	s_lshl_b64 s[4:5], s[4:5], 1
	v_add_co_u32 v12, vcc_lo, v33, s6
	v_add_co_ci_u32_e64 v13, null, s7, v32, vcc_lo
	s_mul_i32 s6, s14, 0xc0
	v_add_co_u32 v12, vcc_lo, v12, s4
	s_ashr_i32 s7, s6, 31
	v_add_co_ci_u32_e64 v13, null, s5, v13, vcc_lo
	s_lshl_b64 s[4:5], s[6:7], 1
	;;#ASMSTART
	v_cvt_f16_f32 v11, v11;

	;;#ASMEND
	v_add_co_u32 v12, vcc_lo, v12, s4
	v_add_co_ci_u32_e64 v13, null, s5, v13, vcc_lo
	s_waitcnt vmcnt(0)
	v_lshlrev_b32_e32 v14, 1, v14
	v_add_co_u32 v12, vcc_lo, v12, v14
	v_add_co_ci_u32_e64 v13, null, 0, v13, vcc_lo
	flat_store_short v[12:13], v11
	;;#ASMSTART
	v_cvt_f16_f32 v10, v10;

	;;#ASMEND
	flat_store_short v[12:13], v10 offset:32
	;;#ASMSTART
	v_cvt_f16_f32 v9, v9;

	;;#ASMEND
	flat_store_short v[12:13], v9 offset:64
	;; [unrolled: 5-line block ×11, first 2 shown]
.LBB297_1632:
	s_or_b32 exec_lo, exec_lo, s19
	s_clause 0x2f
	buffer_load_dword v127, off, s[0:3], s32
	buffer_load_dword v126, off, s[0:3], s32 offset:4
	buffer_load_dword v125, off, s[0:3], s32 offset:8
	;; [unrolled: 1-line block ×47, first 2 shown]
	s_waitcnt vmcnt(0) lgkmcnt(0)
	s_setpc_b64 s[30:31]
.LBB297_1633:
	ds_read_b32 v14, v12
	s_waitcnt lgkmcnt(0)
	v_add_f32_e32 v11, v14, v11
	s_or_b32 exec_lo, exec_lo, s4
	s_and_saveexec_b32 s4, vcc_lo
	s_cbranch_execz .LBB297_1601
.LBB297_1634:
	ds_read_b32 v14, v12 offset:64
	s_waitcnt lgkmcnt(0)
	v_add_f32_e32 v10, v14, v10
	s_or_b32 exec_lo, exec_lo, s4
	s_and_saveexec_b32 s4, vcc_lo
	s_cbranch_execz .LBB297_1602
.LBB297_1635:
	ds_read_b32 v14, v12 offset:128
	s_waitcnt lgkmcnt(0)
	v_add_f32_e32 v9, v14, v9
	s_or_b32 exec_lo, exec_lo, s4
	s_and_saveexec_b32 s4, vcc_lo
	s_cbranch_execz .LBB297_1603
.LBB297_1636:
	ds_read_b32 v14, v12 offset:192
	s_waitcnt lgkmcnt(0)
	v_add_f32_e32 v8, v14, v8
	s_or_b32 exec_lo, exec_lo, s4
	s_and_saveexec_b32 s4, vcc_lo
	s_cbranch_execz .LBB297_1604
.LBB297_1637:
	ds_read_b32 v14, v12 offset:256
	s_waitcnt lgkmcnt(0)
	v_add_f32_e32 v7, v14, v7
	s_or_b32 exec_lo, exec_lo, s4
	s_and_saveexec_b32 s4, vcc_lo
	s_cbranch_execz .LBB297_1605
.LBB297_1638:
	ds_read_b32 v14, v12 offset:320
	s_waitcnt lgkmcnt(0)
	v_add_f32_e32 v6, v14, v6
	s_or_b32 exec_lo, exec_lo, s4
	s_and_saveexec_b32 s4, vcc_lo
	s_cbranch_execz .LBB297_1606
.LBB297_1639:
	ds_read_b32 v14, v12 offset:384
	s_waitcnt lgkmcnt(0)
	v_add_f32_e32 v5, v14, v5
	s_or_b32 exec_lo, exec_lo, s4
	s_and_saveexec_b32 s4, vcc_lo
	s_cbranch_execz .LBB297_1607
.LBB297_1640:
	ds_read_b32 v14, v12 offset:448
	s_waitcnt lgkmcnt(0)
	v_add_f32_e32 v4, v14, v4
	s_or_b32 exec_lo, exec_lo, s4
	s_and_saveexec_b32 s4, vcc_lo
	s_cbranch_execz .LBB297_1608
.LBB297_1641:
	ds_read_b32 v14, v12 offset:512
	s_waitcnt lgkmcnt(0)
	v_add_f32_e32 v3, v14, v3
	s_or_b32 exec_lo, exec_lo, s4
	s_and_saveexec_b32 s4, vcc_lo
	s_cbranch_execz .LBB297_1609
.LBB297_1642:
	ds_read_b32 v14, v12 offset:576
	s_waitcnt lgkmcnt(0)
	v_add_f32_e32 v2, v14, v2
	s_or_b32 exec_lo, exec_lo, s4
	s_and_saveexec_b32 s4, vcc_lo
	s_cbranch_execz .LBB297_1610
.LBB297_1643:
	ds_read_b32 v14, v12 offset:640
	s_waitcnt lgkmcnt(0)
	v_add_f32_e32 v1, v14, v1
	s_or_b32 exec_lo, exec_lo, s4
	s_and_saveexec_b32 s4, vcc_lo
	s_cbranch_execnz .LBB297_1611
	s_branch .LBB297_1612
.LBB297_1644:
	ds_read_b32 v13, v12
	s_waitcnt lgkmcnt(0)
	v_add_f32_e32 v11, v13, v11
	s_or_b32 exec_lo, exec_lo, s4
	s_and_saveexec_b32 s4, vcc_lo
	s_cbranch_execz .LBB297_1618
.LBB297_1645:
	ds_read_b32 v13, v12 offset:64
	s_waitcnt lgkmcnt(0)
	v_add_f32_e32 v10, v13, v10
	s_or_b32 exec_lo, exec_lo, s4
	s_and_saveexec_b32 s4, vcc_lo
	s_cbranch_execz .LBB297_1619
.LBB297_1646:
	ds_read_b32 v13, v12 offset:128
	s_waitcnt lgkmcnt(0)
	v_add_f32_e32 v9, v13, v9
	s_or_b32 exec_lo, exec_lo, s4
	s_and_saveexec_b32 s4, vcc_lo
	s_cbranch_execz .LBB297_1620
.LBB297_1647:
	ds_read_b32 v13, v12 offset:192
	s_waitcnt lgkmcnt(0)
	v_add_f32_e32 v8, v13, v8
	s_or_b32 exec_lo, exec_lo, s4
	s_and_saveexec_b32 s4, vcc_lo
	s_cbranch_execz .LBB297_1621
.LBB297_1648:
	ds_read_b32 v13, v12 offset:256
	s_waitcnt lgkmcnt(0)
	v_add_f32_e32 v7, v13, v7
	s_or_b32 exec_lo, exec_lo, s4
	s_and_saveexec_b32 s4, vcc_lo
	s_cbranch_execz .LBB297_1622
.LBB297_1649:
	ds_read_b32 v13, v12 offset:320
	s_waitcnt lgkmcnt(0)
	v_add_f32_e32 v6, v13, v6
	s_or_b32 exec_lo, exec_lo, s4
	s_and_saveexec_b32 s4, vcc_lo
	s_cbranch_execz .LBB297_1623
.LBB297_1650:
	ds_read_b32 v13, v12 offset:384
	s_waitcnt lgkmcnt(0)
	v_add_f32_e32 v5, v13, v5
	s_or_b32 exec_lo, exec_lo, s4
	s_and_saveexec_b32 s4, vcc_lo
	s_cbranch_execz .LBB297_1624
.LBB297_1651:
	ds_read_b32 v13, v12 offset:448
	s_waitcnt lgkmcnt(0)
	v_add_f32_e32 v4, v13, v4
	s_or_b32 exec_lo, exec_lo, s4
	s_and_saveexec_b32 s4, vcc_lo
	s_cbranch_execz .LBB297_1625
.LBB297_1652:
	ds_read_b32 v13, v12 offset:512
	s_waitcnt lgkmcnt(0)
	v_add_f32_e32 v3, v13, v3
	s_or_b32 exec_lo, exec_lo, s4
	s_and_saveexec_b32 s4, vcc_lo
	s_cbranch_execz .LBB297_1626
.LBB297_1653:
	ds_read_b32 v13, v12 offset:576
	s_waitcnt lgkmcnt(0)
	v_add_f32_e32 v2, v13, v2
	s_or_b32 exec_lo, exec_lo, s4
	s_and_saveexec_b32 s4, vcc_lo
	s_cbranch_execz .LBB297_1627
.LBB297_1654:
	ds_read_b32 v13, v12 offset:640
	s_waitcnt lgkmcnt(0)
	v_add_f32_e32 v1, v13, v1
	s_or_b32 exec_lo, exec_lo, s4
	s_and_saveexec_b32 s4, vcc_lo
	s_cbranch_execnz .LBB297_1628
	s_branch .LBB297_1629
.Lfunc_end297:
	.size	_ZN4vllm22paged_attention_kernelIthLi192ELi16ELi128ELNS_18Fp8KVCacheDataTypeE1ELb0ELi512EEEvPfS2_PT_PKS3_PKT0_S9_ifPKiSB_iPKfiiiSD_SD_iiiii, .Lfunc_end297-_ZN4vllm22paged_attention_kernelIthLi192ELi16ELi128ELNS_18Fp8KVCacheDataTypeE1ELb0ELi512EEEvPfS2_PT_PKS3_PKT0_S9_ifPKiSB_iPKfiiiSD_SD_iiiii
                                        ; -- End function
	.set .L_ZN4vllm22paged_attention_kernelIthLi192ELi16ELi128ELNS_18Fp8KVCacheDataTypeE1ELb0ELi512EEEvPfS2_PT_PKS3_PKT0_S9_ifPKiSB_iPKfiiiSD_SD_iiiii.num_vgpr, 128
	.set .L_ZN4vllm22paged_attention_kernelIthLi192ELi16ELi128ELNS_18Fp8KVCacheDataTypeE1ELb0ELi512EEEvPfS2_PT_PKS3_PKT0_S9_ifPKiSB_iPKfiiiSD_SD_iiiii.num_agpr, 0
	.set .L_ZN4vllm22paged_attention_kernelIthLi192ELi16ELi128ELNS_18Fp8KVCacheDataTypeE1ELb0ELi512EEEvPfS2_PT_PKS3_PKT0_S9_ifPKiSB_iPKfiiiSD_SD_iiiii.numbered_sgpr, 33
	.set .L_ZN4vllm22paged_attention_kernelIthLi192ELi16ELi128ELNS_18Fp8KVCacheDataTypeE1ELb0ELi512EEEvPfS2_PT_PKS3_PKT0_S9_ifPKiSB_iPKfiiiSD_SD_iiiii.num_named_barrier, 0
	.set .L_ZN4vllm22paged_attention_kernelIthLi192ELi16ELi128ELNS_18Fp8KVCacheDataTypeE1ELb0ELi512EEEvPfS2_PT_PKS3_PKT0_S9_ifPKiSB_iPKfiiiSD_SD_iiiii.private_seg_size, 296
	.set .L_ZN4vllm22paged_attention_kernelIthLi192ELi16ELi128ELNS_18Fp8KVCacheDataTypeE1ELb0ELi512EEEvPfS2_PT_PKS3_PKT0_S9_ifPKiSB_iPKfiiiSD_SD_iiiii.uses_vcc, 1
	.set .L_ZN4vllm22paged_attention_kernelIthLi192ELi16ELi128ELNS_18Fp8KVCacheDataTypeE1ELb0ELi512EEEvPfS2_PT_PKS3_PKT0_S9_ifPKiSB_iPKfiiiSD_SD_iiiii.uses_flat_scratch, 0
	.set .L_ZN4vllm22paged_attention_kernelIthLi192ELi16ELi128ELNS_18Fp8KVCacheDataTypeE1ELb0ELi512EEEvPfS2_PT_PKS3_PKT0_S9_ifPKiSB_iPKfiiiSD_SD_iiiii.has_dyn_sized_stack, 0
	.set .L_ZN4vllm22paged_attention_kernelIthLi192ELi16ELi128ELNS_18Fp8KVCacheDataTypeE1ELb0ELi512EEEvPfS2_PT_PKS3_PKT0_S9_ifPKiSB_iPKfiiiSD_SD_iiiii.has_recursion, 0
	.set .L_ZN4vllm22paged_attention_kernelIthLi192ELi16ELi128ELNS_18Fp8KVCacheDataTypeE1ELb0ELi512EEEvPfS2_PT_PKS3_PKT0_S9_ifPKiSB_iPKfiiiSD_SD_iiiii.has_indirect_call, 0
	.section	.AMDGPU.csdata,"",@progbits
; Function info:
; codeLenInByte = 55008
; TotalNumSgprs: 35
; NumVgprs: 128
; ScratchSize: 296
; MemoryBound: 0
	.section	.text._ZN4vllm25paged_attention_v2_kernelIthLi192ELi16ELi128ELNS_18Fp8KVCacheDataTypeE1ELb0ELi512EEEvPfS2_PT_PKS3_PKT0_S9_ifPKiSB_iPKfiiiSD_SD_iiiii,"axG",@progbits,_ZN4vllm25paged_attention_v2_kernelIthLi192ELi16ELi128ELNS_18Fp8KVCacheDataTypeE1ELb0ELi512EEEvPfS2_PT_PKS3_PKT0_S9_ifPKiSB_iPKfiiiSD_SD_iiiii,comdat
	.protected	_ZN4vllm25paged_attention_v2_kernelIthLi192ELi16ELi128ELNS_18Fp8KVCacheDataTypeE1ELb0ELi512EEEvPfS2_PT_PKS3_PKT0_S9_ifPKiSB_iPKfiiiSD_SD_iiiii ; -- Begin function _ZN4vllm25paged_attention_v2_kernelIthLi192ELi16ELi128ELNS_18Fp8KVCacheDataTypeE1ELb0ELi512EEEvPfS2_PT_PKS3_PKT0_S9_ifPKiSB_iPKfiiiSD_SD_iiiii
	.globl	_ZN4vllm25paged_attention_v2_kernelIthLi192ELi16ELi128ELNS_18Fp8KVCacheDataTypeE1ELb0ELi512EEEvPfS2_PT_PKS3_PKT0_S9_ifPKiSB_iPKfiiiSD_SD_iiiii
	.p2align	8
	.type	_ZN4vllm25paged_attention_v2_kernelIthLi192ELi16ELi128ELNS_18Fp8KVCacheDataTypeE1ELb0ELi512EEEvPfS2_PT_PKS3_PKT0_S9_ifPKiSB_iPKfiiiSD_SD_iiiii,@function
_ZN4vllm25paged_attention_v2_kernelIthLi192ELi16ELi128ELNS_18Fp8KVCacheDataTypeE1ELb0ELi512EEEvPfS2_PT_PKS3_PKT0_S9_ifPKiSB_iPKfiiiSD_SD_iiiii: ; @_ZN4vllm25paged_attention_v2_kernelIthLi192ELi16ELi128ELNS_18Fp8KVCacheDataTypeE1ELb0ELi512EEEvPfS2_PT_PKS3_PKT0_S9_ifPKiSB_iPKfiiiSD_SD_iiiii
; %bb.0:
	s_clause 0x5
	s_load_dwordx8 s[24:31], s[4:5], 0x0
	s_load_dwordx8 s[16:23], s[4:5], 0x20
	s_load_dwordx2 s[10:11], s[4:5], 0x40
	s_load_dwordx2 s[34:35], s[4:5], 0x50
	s_load_dword s13, s[4:5], 0x48
	s_load_dwordx8 s[36:43], s[4:5], 0x58
	s_add_u32 s0, s0, s9
	s_addc_u32 s1, s1, 0
	v_mov_b32_e32 v31, v0
	s_mov_b32 s14, s8
	s_add_u32 s8, s4, 0x90
	s_addc_u32 s9, s5, 0
	s_getpc_b64 s[4:5]
	s_add_u32 s4, s4, _ZN4vllm22paged_attention_kernelIthLi192ELi16ELi128ELNS_18Fp8KVCacheDataTypeE1ELb0ELi512EEEvPfS2_PT_PKS3_PKT0_S9_ifPKiSB_iPKfiiiSD_SD_iiiii@rel32@lo+4
	s_addc_u32 s5, s5, _ZN4vllm22paged_attention_kernelIthLi192ELi16ELi128ELNS_18Fp8KVCacheDataTypeE1ELb0ELi512EEEvPfS2_PT_PKS3_PKT0_S9_ifPKiSB_iPKfiiiSD_SD_iiiii@rel32@hi+12
	s_mov_b32 s12, s6
	s_mov_b32 s15, 40
	;; [unrolled: 1-line block ×3, first 2 shown]
	s_waitcnt lgkmcnt(0)
	v_mov_b32_e32 v0, s24
	v_mov_b32_e32 v1, s25
	;; [unrolled: 1-line block ×28, first 2 shown]
	s_mov_b32 s13, s7
	s_swappc_b64 s[30:31], s[4:5]
	s_endpgm
	.section	.rodata,"a",@progbits
	.p2align	6, 0x0
	.amdhsa_kernel _ZN4vllm25paged_attention_v2_kernelIthLi192ELi16ELi128ELNS_18Fp8KVCacheDataTypeE1ELb0ELi512EEEvPfS2_PT_PKS3_PKT0_S9_ifPKiSB_iPKfiiiSD_SD_iiiii
		.amdhsa_group_segment_fixed_size 416
		.amdhsa_private_segment_fixed_size 296
		.amdhsa_kernarg_size 400
		.amdhsa_user_sgpr_count 6
		.amdhsa_user_sgpr_private_segment_buffer 1
		.amdhsa_user_sgpr_dispatch_ptr 0
		.amdhsa_user_sgpr_queue_ptr 0
		.amdhsa_user_sgpr_kernarg_segment_ptr 1
		.amdhsa_user_sgpr_dispatch_id 0
		.amdhsa_user_sgpr_flat_scratch_init 0
		.amdhsa_user_sgpr_private_segment_size 0
		.amdhsa_wavefront_size32 1
		.amdhsa_uses_dynamic_stack 0
		.amdhsa_system_sgpr_private_segment_wavefront_offset 1
		.amdhsa_system_sgpr_workgroup_id_x 1
		.amdhsa_system_sgpr_workgroup_id_y 1
		.amdhsa_system_sgpr_workgroup_id_z 1
		.amdhsa_system_sgpr_workgroup_info 0
		.amdhsa_system_vgpr_workitem_id 0
		.amdhsa_next_free_vgpr 128
		.amdhsa_next_free_sgpr 44
		.amdhsa_reserve_vcc 1
		.amdhsa_reserve_flat_scratch 0
		.amdhsa_float_round_mode_32 0
		.amdhsa_float_round_mode_16_64 0
		.amdhsa_float_denorm_mode_32 3
		.amdhsa_float_denorm_mode_16_64 3
		.amdhsa_dx10_clamp 1
		.amdhsa_ieee_mode 1
		.amdhsa_fp16_overflow 0
		.amdhsa_workgroup_processor_mode 1
		.amdhsa_memory_ordered 1
		.amdhsa_forward_progress 1
		.amdhsa_shared_vgpr_count 0
		.amdhsa_exception_fp_ieee_invalid_op 0
		.amdhsa_exception_fp_denorm_src 0
		.amdhsa_exception_fp_ieee_div_zero 0
		.amdhsa_exception_fp_ieee_overflow 0
		.amdhsa_exception_fp_ieee_underflow 0
		.amdhsa_exception_fp_ieee_inexact 0
		.amdhsa_exception_int_div_zero 0
	.end_amdhsa_kernel
	.section	.text._ZN4vllm25paged_attention_v2_kernelIthLi192ELi16ELi128ELNS_18Fp8KVCacheDataTypeE1ELb0ELi512EEEvPfS2_PT_PKS3_PKT0_S9_ifPKiSB_iPKfiiiSD_SD_iiiii,"axG",@progbits,_ZN4vllm25paged_attention_v2_kernelIthLi192ELi16ELi128ELNS_18Fp8KVCacheDataTypeE1ELb0ELi512EEEvPfS2_PT_PKS3_PKT0_S9_ifPKiSB_iPKfiiiSD_SD_iiiii,comdat
.Lfunc_end298:
	.size	_ZN4vllm25paged_attention_v2_kernelIthLi192ELi16ELi128ELNS_18Fp8KVCacheDataTypeE1ELb0ELi512EEEvPfS2_PT_PKS3_PKT0_S9_ifPKiSB_iPKfiiiSD_SD_iiiii, .Lfunc_end298-_ZN4vllm25paged_attention_v2_kernelIthLi192ELi16ELi128ELNS_18Fp8KVCacheDataTypeE1ELb0ELi512EEEvPfS2_PT_PKS3_PKT0_S9_ifPKiSB_iPKfiiiSD_SD_iiiii
                                        ; -- End function
	.set _ZN4vllm25paged_attention_v2_kernelIthLi192ELi16ELi128ELNS_18Fp8KVCacheDataTypeE1ELb0ELi512EEEvPfS2_PT_PKS3_PKT0_S9_ifPKiSB_iPKfiiiSD_SD_iiiii.num_vgpr, max(32, .L_ZN4vllm22paged_attention_kernelIthLi192ELi16ELi128ELNS_18Fp8KVCacheDataTypeE1ELb0ELi512EEEvPfS2_PT_PKS3_PKT0_S9_ifPKiSB_iPKfiiiSD_SD_iiiii.num_vgpr)
	.set _ZN4vllm25paged_attention_v2_kernelIthLi192ELi16ELi128ELNS_18Fp8KVCacheDataTypeE1ELb0ELi512EEEvPfS2_PT_PKS3_PKT0_S9_ifPKiSB_iPKfiiiSD_SD_iiiii.num_agpr, max(0, .L_ZN4vllm22paged_attention_kernelIthLi192ELi16ELi128ELNS_18Fp8KVCacheDataTypeE1ELb0ELi512EEEvPfS2_PT_PKS3_PKT0_S9_ifPKiSB_iPKfiiiSD_SD_iiiii.num_agpr)
	.set _ZN4vllm25paged_attention_v2_kernelIthLi192ELi16ELi128ELNS_18Fp8KVCacheDataTypeE1ELb0ELi512EEEvPfS2_PT_PKS3_PKT0_S9_ifPKiSB_iPKfiiiSD_SD_iiiii.numbered_sgpr, max(44, .L_ZN4vllm22paged_attention_kernelIthLi192ELi16ELi128ELNS_18Fp8KVCacheDataTypeE1ELb0ELi512EEEvPfS2_PT_PKS3_PKT0_S9_ifPKiSB_iPKfiiiSD_SD_iiiii.numbered_sgpr)
	.set _ZN4vllm25paged_attention_v2_kernelIthLi192ELi16ELi128ELNS_18Fp8KVCacheDataTypeE1ELb0ELi512EEEvPfS2_PT_PKS3_PKT0_S9_ifPKiSB_iPKfiiiSD_SD_iiiii.num_named_barrier, max(0, .L_ZN4vllm22paged_attention_kernelIthLi192ELi16ELi128ELNS_18Fp8KVCacheDataTypeE1ELb0ELi512EEEvPfS2_PT_PKS3_PKT0_S9_ifPKiSB_iPKfiiiSD_SD_iiiii.num_named_barrier)
	.set _ZN4vllm25paged_attention_v2_kernelIthLi192ELi16ELi128ELNS_18Fp8KVCacheDataTypeE1ELb0ELi512EEEvPfS2_PT_PKS3_PKT0_S9_ifPKiSB_iPKfiiiSD_SD_iiiii.private_seg_size, 0+max(.L_ZN4vllm22paged_attention_kernelIthLi192ELi16ELi128ELNS_18Fp8KVCacheDataTypeE1ELb0ELi512EEEvPfS2_PT_PKS3_PKT0_S9_ifPKiSB_iPKfiiiSD_SD_iiiii.private_seg_size)
	.set _ZN4vllm25paged_attention_v2_kernelIthLi192ELi16ELi128ELNS_18Fp8KVCacheDataTypeE1ELb0ELi512EEEvPfS2_PT_PKS3_PKT0_S9_ifPKiSB_iPKfiiiSD_SD_iiiii.uses_vcc, or(1, .L_ZN4vllm22paged_attention_kernelIthLi192ELi16ELi128ELNS_18Fp8KVCacheDataTypeE1ELb0ELi512EEEvPfS2_PT_PKS3_PKT0_S9_ifPKiSB_iPKfiiiSD_SD_iiiii.uses_vcc)
	.set _ZN4vllm25paged_attention_v2_kernelIthLi192ELi16ELi128ELNS_18Fp8KVCacheDataTypeE1ELb0ELi512EEEvPfS2_PT_PKS3_PKT0_S9_ifPKiSB_iPKfiiiSD_SD_iiiii.uses_flat_scratch, or(0, .L_ZN4vllm22paged_attention_kernelIthLi192ELi16ELi128ELNS_18Fp8KVCacheDataTypeE1ELb0ELi512EEEvPfS2_PT_PKS3_PKT0_S9_ifPKiSB_iPKfiiiSD_SD_iiiii.uses_flat_scratch)
	.set _ZN4vllm25paged_attention_v2_kernelIthLi192ELi16ELi128ELNS_18Fp8KVCacheDataTypeE1ELb0ELi512EEEvPfS2_PT_PKS3_PKT0_S9_ifPKiSB_iPKfiiiSD_SD_iiiii.has_dyn_sized_stack, or(0, .L_ZN4vllm22paged_attention_kernelIthLi192ELi16ELi128ELNS_18Fp8KVCacheDataTypeE1ELb0ELi512EEEvPfS2_PT_PKS3_PKT0_S9_ifPKiSB_iPKfiiiSD_SD_iiiii.has_dyn_sized_stack)
	.set _ZN4vllm25paged_attention_v2_kernelIthLi192ELi16ELi128ELNS_18Fp8KVCacheDataTypeE1ELb0ELi512EEEvPfS2_PT_PKS3_PKT0_S9_ifPKiSB_iPKfiiiSD_SD_iiiii.has_recursion, or(0, .L_ZN4vllm22paged_attention_kernelIthLi192ELi16ELi128ELNS_18Fp8KVCacheDataTypeE1ELb0ELi512EEEvPfS2_PT_PKS3_PKT0_S9_ifPKiSB_iPKfiiiSD_SD_iiiii.has_recursion)
	.set _ZN4vllm25paged_attention_v2_kernelIthLi192ELi16ELi128ELNS_18Fp8KVCacheDataTypeE1ELb0ELi512EEEvPfS2_PT_PKS3_PKT0_S9_ifPKiSB_iPKfiiiSD_SD_iiiii.has_indirect_call, or(0, .L_ZN4vllm22paged_attention_kernelIthLi192ELi16ELi128ELNS_18Fp8KVCacheDataTypeE1ELb0ELi512EEEvPfS2_PT_PKS3_PKT0_S9_ifPKiSB_iPKfiiiSD_SD_iiiii.has_indirect_call)
	.section	.AMDGPU.csdata,"",@progbits
; Kernel info:
; codeLenInByte = 240
; TotalNumSgprs: 46
; NumVgprs: 128
; ScratchSize: 296
; MemoryBound: 0
; FloatMode: 240
; IeeeMode: 1
; LDSByteSize: 416 bytes/workgroup (compile time only)
; SGPRBlocks: 0
; VGPRBlocks: 15
; NumSGPRsForWavesPerEU: 46
; NumVGPRsForWavesPerEU: 128
; Occupancy: 8
; WaveLimiterHint : 1
; COMPUTE_PGM_RSRC2:SCRATCH_EN: 1
; COMPUTE_PGM_RSRC2:USER_SGPR: 6
; COMPUTE_PGM_RSRC2:TRAP_HANDLER: 0
; COMPUTE_PGM_RSRC2:TGID_X_EN: 1
; COMPUTE_PGM_RSRC2:TGID_Y_EN: 1
; COMPUTE_PGM_RSRC2:TGID_Z_EN: 1
; COMPUTE_PGM_RSRC2:TIDIG_COMP_CNT: 0
	.text
	.p2align	2                               ; -- Begin function _ZN4vllm22paged_attention_kernelIthLi256ELi16ELi128ELNS_18Fp8KVCacheDataTypeE1ELb0ELi512EEEvPfS2_PT_PKS3_PKT0_S9_ifPKiSB_iPKfiiiSD_SD_iiiii
	.type	_ZN4vllm22paged_attention_kernelIthLi256ELi16ELi128ELNS_18Fp8KVCacheDataTypeE1ELb0ELi512EEEvPfS2_PT_PKS3_PKT0_S9_ifPKiSB_iPKfiiiSD_SD_iiiii,@function
_ZN4vllm22paged_attention_kernelIthLi256ELi16ELi128ELNS_18Fp8KVCacheDataTypeE1ELb0ELi512EEEvPfS2_PT_PKS3_PKT0_S9_ifPKiSB_iPKfiiiSD_SD_iiiii: ; @_ZN4vllm22paged_attention_kernelIthLi256ELi16ELi128ELNS_18Fp8KVCacheDataTypeE1ELb0ELi512EEEvPfS2_PT_PKS3_PKT0_S9_ifPKiSB_iPKfiiiSD_SD_iiiii
; %bb.0:
	s_waitcnt vmcnt(0) expcnt(0) lgkmcnt(0)
	buffer_store_dword v40, off, s[0:3], s32 offset:188 ; 4-byte Folded Spill
	buffer_store_dword v41, off, s[0:3], s32 offset:184 ; 4-byte Folded Spill
	;; [unrolled: 1-line block ×47, first 2 shown]
	buffer_store_dword v127, off, s[0:3], s32 ; 4-byte Folded Spill
	s_mov_b32 s18, s13
	s_ashr_i32 s19, s13, 31
	buffer_store_dword v24, off, s[0:3], s32 offset:336 ; 4-byte Folded Spill
	buffer_store_dword v25, off, s[0:3], s32 offset:340 ; 4-byte Folded Spill
	s_lshl_b64 s[4:5], s[18:19], 2
	v_mov_b32_e32 v24, v0
	v_add_co_u32 v0, vcc_lo, v16, s4
	v_mov_b32_e32 v61, v22
	v_mov_b32_e32 v22, v1
	v_add_co_ci_u32_e64 v1, null, s5, v17, vcc_lo
	v_mov_b32_e32 v56, v5
	v_mov_b32_e32 v57, v4
	v_mov_b32_e32 v25, v3
	flat_load_dword v35, v[0:1]
	v_mov_b32_e32 v28, v2
	s_lshl_b32 s22, s14, 9
	s_mov_b32 s19, exec_lo
	buffer_store_dword v13, off, s[0:3], s32 offset:364 ; 4-byte Folded Spill
	s_waitcnt vmcnt(0) lgkmcnt(0)
	v_cmpx_lt_i32_e64 s22, v35
	s_cbranch_execz .LBB299_2160
; %bb.1:
	v_sub_nc_u32_e32 v0, 0, v12
	s_clause 0x1
	s_load_dword s4, s[8:9], 0x10
	s_load_dword s5, s[8:9], 0x0
	s_mov_b32 s16, s15
	v_max_i32_e32 v0, v12, v0
	v_cvt_f32_u32_e32 v1, v0
	v_sub_nc_u32_e32 v2, 0, v0
	v_rcp_iflag_f32_e32 v1, v1
	s_waitcnt lgkmcnt(0)
	s_lshr_b32 s4, s4, 16
	s_cmp_lg_u32 s4, 0
	s_cselect_b32 s4, -1, 0
	v_mul_f32_e32 v1, 0x4f7ffffe, v1
	s_cmp_lg_u32 s4, 0
	s_addc_u32 s15, s5, 0
	s_abs_i32 s5, s12
	v_cvt_u32_f32_e32 v1, v1
	s_abs_i32 s4, s15
	v_mul_lo_u32 v2, v2, v1
	v_mul_hi_u32 v2, v1, v2
	v_add_nc_u32_e32 v1, v1, v2
	v_mul_hi_u32 v1, s4, v1
	v_mul_lo_u32 v2, v1, v0
	v_add_nc_u32_e32 v3, 1, v1
	v_sub_nc_u32_e32 v2, s4, v2
	s_mov_b32 s4, exec_lo
	v_sub_nc_u32_e32 v4, v2, v0
	v_cmp_ge_u32_e32 vcc_lo, v2, v0
	v_cndmask_b32_e32 v1, v1, v3, vcc_lo
	v_cndmask_b32_e32 v2, v2, v4, vcc_lo
	v_xor_b32_e32 v3, s15, v12
	v_add_nc_u32_e32 v4, 1, v1
	v_cmp_ge_u32_e32 vcc_lo, v2, v0
	v_ashrrev_i32_e32 v3, 31, v3
	v_cndmask_b32_e32 v0, v1, v4, vcc_lo
	v_xor_b32_e32 v0, v0, v3
	v_sub_nc_u32_e32 v1, v0, v3
	v_sub_nc_u32_e32 v0, 0, v1
	v_max_i32_e32 v0, v1, v0
	v_cvt_f32_u32_e32 v2, v0
	v_sub_nc_u32_e32 v3, 0, v0
	v_rcp_iflag_f32_e32 v2, v2
	v_mul_f32_e32 v2, 0x4f7ffffe, v2
	v_cvt_u32_f32_e32 v2, v2
	v_mul_lo_u32 v3, v3, v2
	v_mul_hi_u32 v3, v2, v3
	v_add_nc_u32_e32 v2, v2, v3
	v_mad_u64_u32 v[16:17], null, s5, v2, 0
	v_mov_b32_e32 v2, 0
	buffer_store_dword v2, off, s[0:3], s32 offset:368 ; 4-byte Folded Spill
	v_cmpx_ne_u64_e32 0, v[19:20]
	s_cbranch_execz .LBB299_3
; %bb.2:
	s_ashr_i32 s13, s12, 31
	s_lshl_b64 s[6:7], s[12:13], 2
	v_add_co_u32 v2, vcc_lo, v19, s6
	v_add_co_ci_u32_e64 v3, null, s7, v20, vcc_lo
	flat_load_dword v2, v[2:3]
	s_waitcnt vmcnt(0) lgkmcnt(0)
	buffer_store_dword v2, off, s[0:3], s32 offset:368 ; 4-byte Folded Spill
.LBB299_3:
	s_or_b32 exec_lo, exec_lo, s4
	v_and_b32_e32 v59, 0x3ff, v31
	v_ashrrev_i32_e32 v1, 31, v1
	v_bfe_u32 v58, v31, 1, 9
	v_and_b32_e32 v60, 1, v31
	s_ashr_i32 s6, s12, 31
	v_cmp_gt_u32_e64 s4, 64, v59
	v_lshlrev_b32_e32 v33, 3, v59
	s_lshl_b32 s10, s12, 8
	s_and_saveexec_b32 s7, s4
	s_cbranch_execz .LBB299_5
; %bb.4:
	v_mul_lo_u32 v2, v21, s18
	s_ashr_i32 s11, s10, 31
	v_lshlrev_b32_e32 v4, 3, v58
	s_lshl_b64 s[20:21], s[10:11], 1
	v_lshl_add_u32 v4, v60, 8, v4
	v_ashrrev_i32_e32 v3, 31, v2
	v_lshlrev_b64 v[2:3], 1, v[2:3]
	v_add_co_u32 v2, vcc_lo, v6, v2
	v_add_co_ci_u32_e64 v3, null, v7, v3, vcc_lo
	v_add_co_u32 v2, vcc_lo, v2, s20
	v_add_co_ci_u32_e64 v3, null, s21, v3, vcc_lo
	;; [unrolled: 2-line block ×3, first 2 shown]
	flat_load_dwordx2 v[2:3], v[2:3]
	s_waitcnt vmcnt(0) lgkmcnt(0)
	ds_write_b64 v4, v[2:3]
.LBB299_5:
	s_or_b32 exec_lo, exec_lo, s7
	v_mul_lo_u32 v2, v17, v0
	v_add_nc_u32_e32 v3, 15, v35
	v_add_nc_u32_e32 v5, 1, v17
	v_lshrrev_b32_e32 v62, 5, v59
	v_xor_b32_e32 v1, s6, v1
	s_lshl_b32 s11, s14, 5
	v_ashrrev_i32_e32 v4, 31, v3
	v_mul_lo_u32 v16, v18, s18
	v_sub_nc_u32_e32 v2, s5, v2
	s_add_i32 s5, s11, 32
	v_or_b32_e32 v63, s11, v62
	v_lshrrev_b32_e32 v4, 28, v4
                                        ; implicit-def: $vgpr19
                                        ; implicit-def: $vgpr12
	v_sub_nc_u32_e32 v6, v2, v0
	v_cmp_ge_u32_e32 vcc_lo, v2, v0
	v_add_nc_u32_e32 v3, v3, v4
	v_cndmask_b32_e32 v5, v17, v5, vcc_lo
	v_cndmask_b32_e32 v2, v2, v6, vcc_lo
	v_ashrrev_i32_e32 v34, 4, v3
	v_ashrrev_i32_e32 v17, 31, v16
	v_add_nc_u32_e32 v4, 1, v5
	v_cmp_ge_u32_e32 vcc_lo, v2, v0
	v_min_i32_e32 v72, s5, v34
	v_cndmask_b32_e32 v0, v5, v4, vcc_lo
	v_cmp_ge_i32_e64 s5, v63, v72
	v_xor_b32_e32 v0, v0, v1
	v_sub_nc_u32_e32 v0, v0, v1
	v_mbcnt_lo_u32_b32 v1, -1, 0
	buffer_store_dword v1, off, s[0:3], s32 offset:332 ; 4-byte Folded Spill
	s_waitcnt lgkmcnt(0)
	s_waitcnt_vscnt null, 0x0
	s_barrier
	buffer_gl0_inv
	s_and_saveexec_b32 s6, s5
	s_xor_b32 s6, exec_lo, s6
	s_cbranch_execz .LBB299_7
; %bb.6:
	v_mbcnt_lo_u32_b32 v1, -1, 0
	v_mov_b32_e32 v19, 0
	v_mov_b32_e32 v12, 32
                                        ; implicit-def: $vgpr8
                                        ; implicit-def: $vgpr9
	buffer_store_dword v1, off, s[0:3], s32 offset:332 ; 4-byte Folded Spill
                                        ; implicit-def: $vgpr1
                                        ; kill: killed $vgpr1
                                        ; implicit-def: $vgpr1
                                        ; kill: killed $vgpr1
                                        ; implicit-def: $vgpr1
	buffer_store_dword v1, off, s[0:3], s32 offset:336 ; 4-byte Folded Spill
	buffer_store_dword v2, off, s[0:3], s32 offset:340 ; 4-byte Folded Spill
.LBB299_7:
	s_or_saveexec_b32 s13, s6
	s_clause 0x1
	s_load_dword s23, s[8:9], 0x14
	s_load_dword s9, s[8:9], 0x8
	v_mul_lo_u32 v23, v0, v23
	v_lshlrev_b64 v[16:17], 2, v[16:17]
	v_mov_b32_e32 v2, 0xff7fffff
	v_ashrrev_i32_e32 v64, 31, v63
	v_ashrrev_i32_e32 v36, 31, v23
	s_xor_b32 exec_lo, exec_lo, s13
	s_cbranch_execz .LBB299_1037
; %bb.8:
	v_bfe_u32 v2, v59, 1, 4
	v_add_co_u32 v1, vcc_lo, v8, v23
	v_add_co_ci_u32_e64 v3, null, v9, v36, vcc_lo
	v_lshlrev_b32_e32 v0, 4, v2
	buffer_store_dword v34, off, s[0:3], s32 offset:440 ; 4-byte Folded Spill
	buffer_store_dword v33, off, s[0:3], s32 offset:436 ; 4-byte Folded Spill
	buffer_store_dword v28, off, s[0:3], s32 offset:432 ; 4-byte Folded Spill
	buffer_store_dword v25, off, s[0:3], s32 offset:428 ; 4-byte Folded Spill
	buffer_store_dword v24, off, s[0:3], s32 offset:424 ; 4-byte Folded Spill
	buffer_store_dword v22, off, s[0:3], s32 offset:420 ; 4-byte Folded Spill
	buffer_store_dword v10, off, s[0:3], s32 offset:416 ; 4-byte Folded Spill
	buffer_store_dword v11, off, s[0:3], s32 offset:412 ; 4-byte Folded Spill
	buffer_store_dword v72, off, s[0:3], s32 offset:348 ; 4-byte Folded Spill
	buffer_store_dword v61, off, s[0:3], s32 offset:344 ; 4-byte Folded Spill
	buffer_store_dword v58, off, s[0:3], s32 offset:380 ; 4-byte Folded Spill
	buffer_store_dword v57, off, s[0:3], s32 offset:376 ; 4-byte Folded Spill
	buffer_store_dword v56, off, s[0:3], s32 offset:372 ; 4-byte Folded Spill
	buffer_store_dword v59, off, s[0:3], s32 offset:384 ; 4-byte Folded Spill
	buffer_store_dword v23, off, s[0:3], s32 offset:452 ; 4-byte Folded Spill
	buffer_store_dword v36, off, s[0:3], s32 offset:456 ; 4-byte Folded Spill
	v_lshlrev_b32_e32 v4, 2, v2
	v_add_co_u32 v0, vcc_lo, v1, v0
	v_add_co_ci_u32_e64 v1, null, 0, v3, vcc_lo
	v_lshlrev_b32_e32 v3, 2, v60
	s_ashr_i32 s17, s16, 31
	v_mov_b32_e32 v19, 0
	buffer_store_dword v0, off, s[0:3], s32 offset:356 ; 4-byte Folded Spill
	buffer_store_dword v1, off, s[0:3], s32 offset:360 ; 4-byte Folded Spill
	buffer_load_dword v0, off, s[0:3], s32 offset:368 ; 4-byte Folded Reload
	buffer_store_dword v3, off, s[0:3], s32 offset:192 ; 4-byte Folded Spill
	v_or_b32_e32 v3, 8, v3
	buffer_store_dword v60, off, s[0:3], s32 offset:388 ; 4-byte Folded Spill
	v_lshlrev_b32_e32 v54, 8, v60
	s_lshl_b64 s[20:21], s[16:17], 2
	v_mov_b32_e32 v66, 0x80
	buffer_store_dword v3, off, s[0:3], s32 offset:196 ; 4-byte Folded Spill
	v_lshlrev_b32_e32 v3, 4, v62
	s_getpc_b64 s[24:25]
	s_add_u32 s24, s24, llvm.amdgcn.dynlds.offset.table@rel32@lo+4
	s_addc_u32 s25, s25, llvm.amdgcn.dynlds.offset.table@rel32@hi+12
	s_add_u32 s20, s24, s20
	s_mov_b32 s17, 0
	s_addc_u32 s21, s25, s21
	v_cmp_eq_u32_e32 vcc_lo, 0, v60
	s_waitcnt vmcnt(0)
	v_cmp_neq_f32_e64 s6, 0, v0
	v_lshlrev_b64 v[0:1], 2, v[63:64]
	v_add_co_u32 v0, s7, v16, v0
	buffer_store_dword v16, off, s[0:3], s32 offset:444 ; 4-byte Folded Spill
	buffer_store_dword v17, off, s[0:3], s32 offset:448 ; 4-byte Folded Spill
	buffer_store_dword v14, off, s[0:3], s32 offset:408 ; 4-byte Folded Spill
	buffer_store_dword v15, off, s[0:3], s32 offset:404 ; 4-byte Folded Spill
	v_add_co_ci_u32_e64 v1, null, v17, v1, s7
	v_add_co_u32 v105, s7, v14, v0
	v_add3_u32 v0, s22, v3, v2
	buffer_store_dword v0, off, s[0:3], s32 offset:256 ; 4-byte Folded Spill
	buffer_store_dword v62, off, s[0:3], s32 offset:392 ; 4-byte Folded Spill
	v_lshl_or_b32 v0, v62, 6, v4
	v_add_co_ci_u32_e64 v106, null, v15, v1, s7
	buffer_store_dword v0, off, s[0:3], s32 offset:260 ; 4-byte Folded Spill
	v_mov_b32_e32 v0, 0xff7fffff
	buffer_store_dword v0, off, s[0:3], s32 offset:352 ; 4-byte Folded Spill
	buffer_store_dword v63, off, s[0:3], s32 offset:396 ; 4-byte Folded Spill
	;; [unrolled: 1-line block ×3, first 2 shown]
	v_mov_b32_e32 v5, v63
	s_branch .LBB299_10
.LBB299_9:                              ;   in Loop: Header=BB299_10 Depth=1
	s_or_b32 exec_lo, exec_lo, s8
	buffer_load_dword v0, off, s[0:3], s32 offset:348 ; 4-byte Folded Reload
	s_waitcnt vmcnt(1)
	v_add_nc_u32_e32 v5, 4, v5
	v_add_co_u32 v105, s8, v105, 16
	v_add_co_ci_u32_e64 v106, null, 0, v106, s8
	s_waitcnt vmcnt(0)
	v_cmp_ge_i32_e64 s7, v5, v0
	buffer_load_dword v0, off, s[0:3], s32 offset:256 ; 4-byte Folded Reload
	s_or_b32 s17, s7, s17
	s_waitcnt vmcnt(0)
	v_add_nc_u32_e32 v0, 64, v0
	buffer_store_dword v0, off, s[0:3], s32 offset:256 ; 4-byte Folded Spill
	buffer_load_dword v0, off, s[0:3], s32 offset:260 ; 4-byte Folded Reload
	s_waitcnt vmcnt(0)
	v_add_nc_u32_e32 v0, 0x100, v0
	buffer_store_dword v0, off, s[0:3], s32 offset:260 ; 4-byte Folded Spill
	s_andn2_b32 exec_lo, exec_lo, s17
	s_cbranch_execz .LBB299_1036
.LBB299_10:                             ; =>This Inner Loop Header: Depth=1
	buffer_store_dword v5, off, s[0:3], s32 offset:264 ; 4-byte Folded Spill
	flat_load_dword v0, v[105:106]
	s_waitcnt lgkmcnt(0)
	s_clause 0x2
	buffer_load_dword v1, off, s[0:3], s32 offset:344
	buffer_load_dword v2, off, s[0:3], s32 offset:356
	;; [unrolled: 1-line block ×3, first 2 shown]
	v_mov_b32_e32 v123, 0
	s_waitcnt vmcnt(0) lgkmcnt(0)
	v_mad_i64_i32 v[28:29], null, v0, v1, v[2:3]
	buffer_load_dword v0, off, s[0:3], s32 offset:192 ; 4-byte Folded Reload
	s_waitcnt vmcnt(0)
	v_add_co_u32 v30, s7, v28, v0
	v_add_co_ci_u32_e64 v31, null, 0, v29, s7
	flat_load_dword v12, v[30:31]
	s_clause 0x1
	buffer_load_dword v0, off, s[0:3], s32 offset:336
	buffer_load_dword v1, off, s[0:3], s32 offset:340
	s_waitcnt vmcnt(2) lgkmcnt(0)
	v_cmp_ne_u16_sdwa s7, v12, v19 src0_sel:BYTE_0 src1_sel:DWORD
	s_waitcnt vmcnt(0)
	flat_load_dword v71, v[0:1]
	s_and_saveexec_b32 s8, s7
	s_cbranch_execz .LBB299_18
; %bb.11:                               ;   in Loop: Header=BB299_10 Depth=1
	v_cmp_ne_u16_sdwa s7, v12, v66 src0_sel:BYTE_0 src1_sel:DWORD
	v_mov_b32_e32 v123, 0x8000
	s_and_saveexec_b32 s24, s7
	s_cbranch_execz .LBB299_17
; %bb.12:                               ;   in Loop: Header=BB299_10 Depth=1
	v_and_b32_e32 v2, 0x7f, v12
	v_mov_b32_e32 v123, 0x7c01
	s_mov_b32 s25, exec_lo
	v_cmpx_ne_u32_e32 0x7f, v2
	s_cbranch_execz .LBB299_16
; %bb.13:                               ;   in Loop: Header=BB299_10 Depth=1
	v_and_b32_e32 v0, 7, v12
	v_lshrrev_b32_e32 v1, 3, v2
	s_mov_b32 s26, exec_lo
	v_cmpx_gt_u32_e32 8, v2
; %bb.14:                               ;   in Loop: Header=BB299_10 Depth=1
	v_ffbh_u32_e32 v0, v0
	v_min_u32_e32 v2, 32, v0
	v_subrev_nc_u32_e32 v0, 28, v2
	v_lshlrev_b64 v[0:1], v0, v[12:13]
	v_sub_nc_u32_e32 v1, 29, v2
	v_and_b32_e32 v0, 7, v0
; %bb.15:                               ;   in Loop: Header=BB299_10 Depth=1
	s_or_b32 exec_lo, exec_lo, s26
	v_lshlrev_b32_e32 v2, 8, v12
	v_lshl_add_u32 v1, v1, 10, 0x2000
	v_lshlrev_b32_e32 v0, 7, v0
	v_and_b32_e32 v2, 0x8000, v2
	v_and_b32_e32 v1, 0xfc00, v1
	v_or3_b32 v123, v2, v1, v0
.LBB299_16:                             ;   in Loop: Header=BB299_10 Depth=1
	s_or_b32 exec_lo, exec_lo, s25
.LBB299_17:                             ;   in Loop: Header=BB299_10 Depth=1
	s_or_b32 exec_lo, exec_lo, s24
.LBB299_18:                             ;   in Loop: Header=BB299_10 Depth=1
	s_or_b32 exec_lo, exec_lo, s8
	v_lshrrev_b16 v18, 8, v12
	v_mov_b32_e32 v126, 0
	s_mov_b32 s8, exec_lo
	v_cmpx_ne_u16_e32 0, v18
	s_cbranch_execz .LBB299_26
; %bb.19:                               ;   in Loop: Header=BB299_10 Depth=1
	v_bfrev_b32_e32 v126, 1
	s_mov_b32 s24, exec_lo
	v_cmpx_ne_u16_e32 0x80, v18
	s_cbranch_execz .LBB299_25
; %bb.20:                               ;   in Loop: Header=BB299_10 Depth=1
	v_mov_b32_e32 v0, 0x7f
	v_mov_b32_e32 v126, 0x7c010000
	s_mov_b32 s25, exec_lo
	v_and_b32_sdwa v2, v18, v0 dst_sel:DWORD dst_unused:UNUSED_PAD src0_sel:WORD_0 src1_sel:DWORD
	v_cmpx_ne_u32_e32 0x7f, v2
	s_cbranch_execz .LBB299_24
; %bb.21:                               ;   in Loop: Header=BB299_10 Depth=1
	v_mov_b32_e32 v0, 7
	v_lshrrev_b32_e32 v1, 3, v2
	s_mov_b32 s26, exec_lo
	v_and_b32_sdwa v0, v18, v0 dst_sel:DWORD dst_unused:UNUSED_PAD src0_sel:WORD_0 src1_sel:DWORD
	v_cmpx_gt_u32_e32 8, v2
; %bb.22:                               ;   in Loop: Header=BB299_10 Depth=1
	v_ffbh_u32_e32 v0, v0
	v_min_u32_e32 v2, 32, v0
	v_subrev_nc_u32_e32 v0, 28, v2
	v_lshlrev_b64 v[0:1], v0, v[18:19]
	v_sub_nc_u32_e32 v1, 29, v2
	v_and_b32_e32 v0, 7, v0
; %bb.23:                               ;   in Loop: Header=BB299_10 Depth=1
	s_or_b32 exec_lo, exec_lo, s26
	v_mov_b32_e32 v2, 8
	v_lshl_add_u32 v1, v1, 10, 0x2000
	v_lshlrev_b32_e32 v0, 23, v0
	v_lshlrev_b32_sdwa v2, v2, v18 dst_sel:DWORD dst_unused:UNUSED_PAD src0_sel:DWORD src1_sel:WORD_0
	v_and_or_b32 v1, 0x8000, v2, v1
	v_lshl_or_b32 v126, v1, 16, v0
.LBB299_24:                             ;   in Loop: Header=BB299_10 Depth=1
	s_or_b32 exec_lo, exec_lo, s25
.LBB299_25:                             ;   in Loop: Header=BB299_10 Depth=1
	s_or_b32 exec_lo, exec_lo, s24
.LBB299_26:                             ;   in Loop: Header=BB299_10 Depth=1
	s_or_b32 exec_lo, exec_lo, s8
	v_lshrrev_b32_e32 v18, 16, v12
	v_mov_b32_e32 v0, 0
	v_cmp_ne_u16_sdwa s7, v18, v19 src0_sel:BYTE_0 src1_sel:DWORD
	buffer_store_dword v0, off, s[0:3], s32 offset:200 ; 4-byte Folded Spill
	v_mov_b32_e32 v0, 0
	buffer_store_dword v0, off, s[0:3], s32 offset:204 ; 4-byte Folded Spill
	s_and_saveexec_b32 s8, s7
	s_cbranch_execz .LBB299_34
; %bb.27:                               ;   in Loop: Header=BB299_10 Depth=1
	v_cmp_ne_u16_sdwa s7, v18, v66 src0_sel:BYTE_0 src1_sel:DWORD
	v_mov_b32_e32 v0, 0x8000
	buffer_store_dword v0, off, s[0:3], s32 offset:204 ; 4-byte Folded Spill
	s_and_saveexec_b32 s24, s7
	s_cbranch_execz .LBB299_33
; %bb.28:                               ;   in Loop: Header=BB299_10 Depth=1
	v_bfe_u32 v2, v12, 16, 7
	v_mov_b32_e32 v0, 0x7c01
	s_mov_b32 s25, exec_lo
	buffer_store_dword v0, off, s[0:3], s32 offset:204 ; 4-byte Folded Spill
	v_cmpx_ne_u32_e32 0x7f, v2
	s_cbranch_execz .LBB299_32
; %bb.29:                               ;   in Loop: Header=BB299_10 Depth=1
	v_and_b32_e32 v0, 7, v18
	v_lshrrev_b32_e32 v1, 3, v2
	s_mov_b32 s26, exec_lo
	v_cmpx_gt_u32_e32 8, v2
; %bb.30:                               ;   in Loop: Header=BB299_10 Depth=1
	v_ffbh_u32_e32 v0, v0
	v_min_u32_e32 v2, 32, v0
	v_subrev_nc_u32_e32 v0, 28, v2
	v_lshlrev_b64 v[0:1], v0, v[18:19]
	v_sub_nc_u32_e32 v1, 29, v2
	v_and_b32_e32 v0, 7, v0
; %bb.31:                               ;   in Loop: Header=BB299_10 Depth=1
	s_or_b32 exec_lo, exec_lo, s26
	v_lshlrev_b32_e32 v2, 8, v18
	v_lshl_add_u32 v1, v1, 10, 0x2000
	v_lshlrev_b32_e32 v0, 7, v0
	v_and_b32_e32 v2, 0x8000, v2
	v_and_b32_e32 v1, 0xfc00, v1
	v_or3_b32 v0, v2, v1, v0
	buffer_store_dword v0, off, s[0:3], s32 offset:204 ; 4-byte Folded Spill
.LBB299_32:                             ;   in Loop: Header=BB299_10 Depth=1
	s_or_b32 exec_lo, exec_lo, s25
.LBB299_33:                             ;   in Loop: Header=BB299_10 Depth=1
	s_or_b32 exec_lo, exec_lo, s24
.LBB299_34:                             ;   in Loop: Header=BB299_10 Depth=1
	s_or_b32 exec_lo, exec_lo, s8
	s_mov_b32 s8, exec_lo
	v_cmpx_lt_u32_e32 0xffffff, v12
	s_cbranch_execz .LBB299_42
; %bb.35:                               ;   in Loop: Header=BB299_10 Depth=1
	v_lshrrev_b32_e32 v18, 24, v12
	v_bfrev_b32_e32 v0, 1
	s_mov_b32 s24, exec_lo
	buffer_store_dword v0, off, s[0:3], s32 offset:200 ; 4-byte Folded Spill
	v_cmpx_ne_u32_e32 0x80, v18
	s_cbranch_execz .LBB299_41
; %bb.36:                               ;   in Loop: Header=BB299_10 Depth=1
	v_and_b32_e32 v2, 0x7f, v18
	v_mov_b32_e32 v0, 0x7c010000
	s_mov_b32 s25, exec_lo
	buffer_store_dword v0, off, s[0:3], s32 offset:200 ; 4-byte Folded Spill
	v_cmpx_ne_u32_e32 0x7f, v2
	s_cbranch_execz .LBB299_40
; %bb.37:                               ;   in Loop: Header=BB299_10 Depth=1
	v_and_b32_e32 v0, 7, v18
	v_lshrrev_b32_e32 v1, 3, v2
	s_mov_b32 s26, exec_lo
	v_cmpx_gt_u32_e32 8, v2
; %bb.38:                               ;   in Loop: Header=BB299_10 Depth=1
	v_ffbh_u32_e32 v0, v0
	v_min_u32_e32 v2, 32, v0
	v_subrev_nc_u32_e32 v0, 28, v2
	v_lshlrev_b64 v[0:1], v0, v[18:19]
	v_sub_nc_u32_e32 v1, 29, v2
	v_and_b32_e32 v0, 7, v0
; %bb.39:                               ;   in Loop: Header=BB299_10 Depth=1
	s_or_b32 exec_lo, exec_lo, s26
	v_lshlrev_b32_e32 v2, 8, v18
	v_lshl_add_u32 v1, v1, 10, 0x2000
	v_lshlrev_b32_e32 v0, 23, v0
	v_and_or_b32 v1, 0x8000, v2, v1
	v_lshl_or_b32 v0, v1, 16, v0
	buffer_store_dword v0, off, s[0:3], s32 offset:200 ; 4-byte Folded Spill
.LBB299_40:                             ;   in Loop: Header=BB299_10 Depth=1
	s_or_b32 exec_lo, exec_lo, s25
.LBB299_41:                             ;   in Loop: Header=BB299_10 Depth=1
	s_or_b32 exec_lo, exec_lo, s24
.LBB299_42:                             ;   in Loop: Header=BB299_10 Depth=1
	s_or_b32 exec_lo, exec_lo, s8
	flat_load_dword v12, v[30:31] offset:8
	v_mov_b32_e32 v65, 0
	v_mov_b32_e32 v0, 0
	buffer_store_dword v0, off, s[0:3], s32 offset:208 ; 4-byte Folded Spill
	s_waitcnt vmcnt(0) lgkmcnt(0)
	v_cmp_ne_u16_sdwa s7, v12, v19 src0_sel:BYTE_0 src1_sel:DWORD
	s_and_saveexec_b32 s8, s7
	s_cbranch_execz .LBB299_50
; %bb.43:                               ;   in Loop: Header=BB299_10 Depth=1
	v_cmp_ne_u16_sdwa s7, v12, v66 src0_sel:BYTE_0 src1_sel:DWORD
	v_mov_b32_e32 v0, 0x8000
	buffer_store_dword v0, off, s[0:3], s32 offset:208 ; 4-byte Folded Spill
	s_and_saveexec_b32 s24, s7
	s_cbranch_execz .LBB299_49
; %bb.44:                               ;   in Loop: Header=BB299_10 Depth=1
	v_and_b32_e32 v2, 0x7f, v12
	v_mov_b32_e32 v0, 0x7c01
	s_mov_b32 s25, exec_lo
	buffer_store_dword v0, off, s[0:3], s32 offset:208 ; 4-byte Folded Spill
	v_cmpx_ne_u32_e32 0x7f, v2
	s_cbranch_execz .LBB299_48
; %bb.45:                               ;   in Loop: Header=BB299_10 Depth=1
	v_and_b32_e32 v0, 7, v12
	v_lshrrev_b32_e32 v1, 3, v2
	s_mov_b32 s26, exec_lo
	v_cmpx_gt_u32_e32 8, v2
; %bb.46:                               ;   in Loop: Header=BB299_10 Depth=1
	v_ffbh_u32_e32 v0, v0
	v_min_u32_e32 v2, 32, v0
	v_subrev_nc_u32_e32 v0, 28, v2
	v_lshlrev_b64 v[0:1], v0, v[12:13]
	v_sub_nc_u32_e32 v1, 29, v2
	v_and_b32_e32 v0, 7, v0
; %bb.47:                               ;   in Loop: Header=BB299_10 Depth=1
	s_or_b32 exec_lo, exec_lo, s26
	v_lshlrev_b32_e32 v2, 8, v12
	v_lshl_add_u32 v1, v1, 10, 0x2000
	v_lshlrev_b32_e32 v0, 7, v0
	v_and_b32_e32 v2, 0x8000, v2
	v_and_b32_e32 v1, 0xfc00, v1
	v_or3_b32 v0, v2, v1, v0
	buffer_store_dword v0, off, s[0:3], s32 offset:208 ; 4-byte Folded Spill
.LBB299_48:                             ;   in Loop: Header=BB299_10 Depth=1
	s_or_b32 exec_lo, exec_lo, s25
.LBB299_49:                             ;   in Loop: Header=BB299_10 Depth=1
	s_or_b32 exec_lo, exec_lo, s24
.LBB299_50:                             ;   in Loop: Header=BB299_10 Depth=1
	s_or_b32 exec_lo, exec_lo, s8
	v_lshrrev_b16 v18, 8, v12
	s_mov_b32 s8, exec_lo
	v_cmpx_ne_u16_e32 0, v18
	s_cbranch_execz .LBB299_58
; %bb.51:                               ;   in Loop: Header=BB299_10 Depth=1
	v_bfrev_b32_e32 v65, 1
	s_mov_b32 s24, exec_lo
	v_cmpx_ne_u16_e32 0x80, v18
	s_cbranch_execz .LBB299_57
; %bb.52:                               ;   in Loop: Header=BB299_10 Depth=1
	v_mov_b32_e32 v0, 0x7f
	v_mov_b32_e32 v65, 0x7c010000
	s_mov_b32 s25, exec_lo
	v_and_b32_sdwa v2, v18, v0 dst_sel:DWORD dst_unused:UNUSED_PAD src0_sel:WORD_0 src1_sel:DWORD
	v_cmpx_ne_u32_e32 0x7f, v2
	s_cbranch_execz .LBB299_56
; %bb.53:                               ;   in Loop: Header=BB299_10 Depth=1
	v_mov_b32_e32 v0, 7
	v_lshrrev_b32_e32 v1, 3, v2
	s_mov_b32 s26, exec_lo
	v_and_b32_sdwa v0, v18, v0 dst_sel:DWORD dst_unused:UNUSED_PAD src0_sel:WORD_0 src1_sel:DWORD
	v_cmpx_gt_u32_e32 8, v2
; %bb.54:                               ;   in Loop: Header=BB299_10 Depth=1
	v_ffbh_u32_e32 v0, v0
	v_min_u32_e32 v2, 32, v0
	v_subrev_nc_u32_e32 v0, 28, v2
	v_lshlrev_b64 v[0:1], v0, v[18:19]
	v_sub_nc_u32_e32 v1, 29, v2
	v_and_b32_e32 v0, 7, v0
; %bb.55:                               ;   in Loop: Header=BB299_10 Depth=1
	s_or_b32 exec_lo, exec_lo, s26
	v_mov_b32_e32 v2, 8
	v_lshl_add_u32 v1, v1, 10, 0x2000
	v_lshlrev_b32_e32 v0, 23, v0
	v_lshlrev_b32_sdwa v2, v2, v18 dst_sel:DWORD dst_unused:UNUSED_PAD src0_sel:DWORD src1_sel:WORD_0
	v_and_or_b32 v1, 0x8000, v2, v1
	v_lshl_or_b32 v65, v1, 16, v0
.LBB299_56:                             ;   in Loop: Header=BB299_10 Depth=1
	s_or_b32 exec_lo, exec_lo, s25
.LBB299_57:                             ;   in Loop: Header=BB299_10 Depth=1
	s_or_b32 exec_lo, exec_lo, s24
.LBB299_58:                             ;   in Loop: Header=BB299_10 Depth=1
	s_or_b32 exec_lo, exec_lo, s8
	v_lshrrev_b32_e32 v18, 16, v12
	v_mov_b32_e32 v127, 0
	v_mov_b32_e32 v0, 0
	v_cmp_ne_u16_sdwa s7, v18, v19 src0_sel:BYTE_0 src1_sel:DWORD
	buffer_store_dword v0, off, s[0:3], s32 offset:212 ; 4-byte Folded Spill
	s_and_saveexec_b32 s8, s7
	s_cbranch_execz .LBB299_66
; %bb.59:                               ;   in Loop: Header=BB299_10 Depth=1
	v_cmp_ne_u16_sdwa s7, v18, v66 src0_sel:BYTE_0 src1_sel:DWORD
	v_mov_b32_e32 v0, 0x8000
	buffer_store_dword v0, off, s[0:3], s32 offset:212 ; 4-byte Folded Spill
	s_and_saveexec_b32 s24, s7
	s_cbranch_execz .LBB299_65
; %bb.60:                               ;   in Loop: Header=BB299_10 Depth=1
	v_bfe_u32 v2, v12, 16, 7
	v_mov_b32_e32 v0, 0x7c01
	s_mov_b32 s25, exec_lo
	buffer_store_dword v0, off, s[0:3], s32 offset:212 ; 4-byte Folded Spill
	v_cmpx_ne_u32_e32 0x7f, v2
	s_cbranch_execz .LBB299_64
; %bb.61:                               ;   in Loop: Header=BB299_10 Depth=1
	v_and_b32_e32 v0, 7, v18
	v_lshrrev_b32_e32 v1, 3, v2
	s_mov_b32 s26, exec_lo
	v_cmpx_gt_u32_e32 8, v2
; %bb.62:                               ;   in Loop: Header=BB299_10 Depth=1
	v_ffbh_u32_e32 v0, v0
	v_min_u32_e32 v2, 32, v0
	v_subrev_nc_u32_e32 v0, 28, v2
	v_lshlrev_b64 v[0:1], v0, v[18:19]
	v_sub_nc_u32_e32 v1, 29, v2
	v_and_b32_e32 v0, 7, v0
; %bb.63:                               ;   in Loop: Header=BB299_10 Depth=1
	s_or_b32 exec_lo, exec_lo, s26
	v_lshlrev_b32_e32 v2, 8, v18
	v_lshl_add_u32 v1, v1, 10, 0x2000
	v_lshlrev_b32_e32 v0, 7, v0
	v_and_b32_e32 v2, 0x8000, v2
	v_and_b32_e32 v1, 0xfc00, v1
	v_or3_b32 v0, v2, v1, v0
	buffer_store_dword v0, off, s[0:3], s32 offset:212 ; 4-byte Folded Spill
.LBB299_64:                             ;   in Loop: Header=BB299_10 Depth=1
	s_or_b32 exec_lo, exec_lo, s25
.LBB299_65:                             ;   in Loop: Header=BB299_10 Depth=1
	s_or_b32 exec_lo, exec_lo, s24
.LBB299_66:                             ;   in Loop: Header=BB299_10 Depth=1
	s_or_b32 exec_lo, exec_lo, s8
	s_mov_b32 s8, exec_lo
	v_cmpx_lt_u32_e32 0xffffff, v12
	s_cbranch_execz .LBB299_74
; %bb.67:                               ;   in Loop: Header=BB299_10 Depth=1
	v_lshrrev_b32_e32 v18, 24, v12
	v_bfrev_b32_e32 v127, 1
	s_mov_b32 s24, exec_lo
	v_cmpx_ne_u32_e32 0x80, v18
	s_cbranch_execz .LBB299_73
; %bb.68:                               ;   in Loop: Header=BB299_10 Depth=1
	v_and_b32_e32 v2, 0x7f, v18
	v_mov_b32_e32 v127, 0x7c010000
	s_mov_b32 s25, exec_lo
	v_cmpx_ne_u32_e32 0x7f, v2
	s_cbranch_execz .LBB299_72
; %bb.69:                               ;   in Loop: Header=BB299_10 Depth=1
	v_and_b32_e32 v0, 7, v18
	v_lshrrev_b32_e32 v1, 3, v2
	s_mov_b32 s26, exec_lo
	v_cmpx_gt_u32_e32 8, v2
; %bb.70:                               ;   in Loop: Header=BB299_10 Depth=1
	v_ffbh_u32_e32 v0, v0
	v_min_u32_e32 v2, 32, v0
	v_subrev_nc_u32_e32 v0, 28, v2
	v_lshlrev_b64 v[0:1], v0, v[18:19]
	v_sub_nc_u32_e32 v1, 29, v2
	v_and_b32_e32 v0, 7, v0
; %bb.71:                               ;   in Loop: Header=BB299_10 Depth=1
	s_or_b32 exec_lo, exec_lo, s26
	v_lshlrev_b32_e32 v2, 8, v18
	v_lshl_add_u32 v1, v1, 10, 0x2000
	v_lshlrev_b32_e32 v0, 23, v0
	v_and_or_b32 v1, 0x8000, v2, v1
	v_lshl_or_b32 v127, v1, 16, v0
.LBB299_72:                             ;   in Loop: Header=BB299_10 Depth=1
	s_or_b32 exec_lo, exec_lo, s25
.LBB299_73:                             ;   in Loop: Header=BB299_10 Depth=1
	s_or_b32 exec_lo, exec_lo, s24
.LBB299_74:                             ;   in Loop: Header=BB299_10 Depth=1
	s_or_b32 exec_lo, exec_lo, s8
	flat_load_dword v12, v[30:31] offset:256
	v_mov_b32_e32 v96, 0
	v_mov_b32_e32 v0, 0
	buffer_store_dword v0, off, s[0:3], s32 offset:216 ; 4-byte Folded Spill
	s_waitcnt vmcnt(0) lgkmcnt(0)
	v_cmp_ne_u16_sdwa s7, v12, v19 src0_sel:BYTE_0 src1_sel:DWORD
	s_and_saveexec_b32 s8, s7
	s_cbranch_execz .LBB299_82
; %bb.75:                               ;   in Loop: Header=BB299_10 Depth=1
	v_cmp_ne_u16_sdwa s7, v12, v66 src0_sel:BYTE_0 src1_sel:DWORD
	v_mov_b32_e32 v0, 0x8000
	buffer_store_dword v0, off, s[0:3], s32 offset:216 ; 4-byte Folded Spill
	s_and_saveexec_b32 s24, s7
	s_cbranch_execz .LBB299_81
; %bb.76:                               ;   in Loop: Header=BB299_10 Depth=1
	v_and_b32_e32 v2, 0x7f, v12
	v_mov_b32_e32 v0, 0x7c01
	s_mov_b32 s25, exec_lo
	buffer_store_dword v0, off, s[0:3], s32 offset:216 ; 4-byte Folded Spill
	v_cmpx_ne_u32_e32 0x7f, v2
	s_cbranch_execz .LBB299_80
; %bb.77:                               ;   in Loop: Header=BB299_10 Depth=1
	v_and_b32_e32 v0, 7, v12
	v_lshrrev_b32_e32 v1, 3, v2
	s_mov_b32 s26, exec_lo
	v_cmpx_gt_u32_e32 8, v2
; %bb.78:                               ;   in Loop: Header=BB299_10 Depth=1
	v_ffbh_u32_e32 v0, v0
	v_min_u32_e32 v2, 32, v0
	v_subrev_nc_u32_e32 v0, 28, v2
	v_lshlrev_b64 v[0:1], v0, v[12:13]
	v_sub_nc_u32_e32 v1, 29, v2
	v_and_b32_e32 v0, 7, v0
; %bb.79:                               ;   in Loop: Header=BB299_10 Depth=1
	s_or_b32 exec_lo, exec_lo, s26
	v_lshlrev_b32_e32 v2, 8, v12
	v_lshl_add_u32 v1, v1, 10, 0x2000
	v_lshlrev_b32_e32 v0, 7, v0
	v_and_b32_e32 v2, 0x8000, v2
	v_and_b32_e32 v1, 0xfc00, v1
	v_or3_b32 v0, v2, v1, v0
	buffer_store_dword v0, off, s[0:3], s32 offset:216 ; 4-byte Folded Spill
.LBB299_80:                             ;   in Loop: Header=BB299_10 Depth=1
	s_or_b32 exec_lo, exec_lo, s25
.LBB299_81:                             ;   in Loop: Header=BB299_10 Depth=1
	s_or_b32 exec_lo, exec_lo, s24
.LBB299_82:                             ;   in Loop: Header=BB299_10 Depth=1
	s_or_b32 exec_lo, exec_lo, s8
	v_lshrrev_b16 v18, 8, v12
	s_mov_b32 s8, exec_lo
	v_cmpx_ne_u16_e32 0, v18
	s_cbranch_execz .LBB299_90
; %bb.83:                               ;   in Loop: Header=BB299_10 Depth=1
	v_bfrev_b32_e32 v96, 1
	s_mov_b32 s24, exec_lo
	v_cmpx_ne_u16_e32 0x80, v18
	s_cbranch_execz .LBB299_89
; %bb.84:                               ;   in Loop: Header=BB299_10 Depth=1
	v_mov_b32_e32 v0, 0x7f
	v_mov_b32_e32 v96, 0x7c010000
	s_mov_b32 s25, exec_lo
	v_and_b32_sdwa v2, v18, v0 dst_sel:DWORD dst_unused:UNUSED_PAD src0_sel:WORD_0 src1_sel:DWORD
	v_cmpx_ne_u32_e32 0x7f, v2
	s_cbranch_execz .LBB299_88
; %bb.85:                               ;   in Loop: Header=BB299_10 Depth=1
	v_mov_b32_e32 v0, 7
	v_lshrrev_b32_e32 v1, 3, v2
	s_mov_b32 s26, exec_lo
	v_and_b32_sdwa v0, v18, v0 dst_sel:DWORD dst_unused:UNUSED_PAD src0_sel:WORD_0 src1_sel:DWORD
	v_cmpx_gt_u32_e32 8, v2
; %bb.86:                               ;   in Loop: Header=BB299_10 Depth=1
	v_ffbh_u32_e32 v0, v0
	v_min_u32_e32 v2, 32, v0
	v_subrev_nc_u32_e32 v0, 28, v2
	v_lshlrev_b64 v[0:1], v0, v[18:19]
	v_sub_nc_u32_e32 v1, 29, v2
	v_and_b32_e32 v0, 7, v0
; %bb.87:                               ;   in Loop: Header=BB299_10 Depth=1
	s_or_b32 exec_lo, exec_lo, s26
	v_mov_b32_e32 v2, 8
	v_lshl_add_u32 v1, v1, 10, 0x2000
	v_lshlrev_b32_e32 v0, 23, v0
	v_lshlrev_b32_sdwa v2, v2, v18 dst_sel:DWORD dst_unused:UNUSED_PAD src0_sel:DWORD src1_sel:WORD_0
	v_and_or_b32 v1, 0x8000, v2, v1
	v_lshl_or_b32 v96, v1, 16, v0
.LBB299_88:                             ;   in Loop: Header=BB299_10 Depth=1
	s_or_b32 exec_lo, exec_lo, s25
.LBB299_89:                             ;   in Loop: Header=BB299_10 Depth=1
	s_or_b32 exec_lo, exec_lo, s24
.LBB299_90:                             ;   in Loop: Header=BB299_10 Depth=1
	s_or_b32 exec_lo, exec_lo, s8
	v_lshrrev_b32_e32 v18, 16, v12
	v_mov_b32_e32 v98, 0
	v_mov_b32_e32 v0, 0
	v_cmp_ne_u16_sdwa s7, v18, v19 src0_sel:BYTE_0 src1_sel:DWORD
	buffer_store_dword v0, off, s[0:3], s32 offset:220 ; 4-byte Folded Spill
	s_and_saveexec_b32 s8, s7
	s_cbranch_execz .LBB299_98
; %bb.91:                               ;   in Loop: Header=BB299_10 Depth=1
	v_cmp_ne_u16_sdwa s7, v18, v66 src0_sel:BYTE_0 src1_sel:DWORD
	v_mov_b32_e32 v0, 0x8000
	buffer_store_dword v0, off, s[0:3], s32 offset:220 ; 4-byte Folded Spill
	s_and_saveexec_b32 s24, s7
	s_cbranch_execz .LBB299_97
; %bb.92:                               ;   in Loop: Header=BB299_10 Depth=1
	v_bfe_u32 v2, v12, 16, 7
	v_mov_b32_e32 v0, 0x7c01
	s_mov_b32 s25, exec_lo
	buffer_store_dword v0, off, s[0:3], s32 offset:220 ; 4-byte Folded Spill
	v_cmpx_ne_u32_e32 0x7f, v2
	s_cbranch_execz .LBB299_96
; %bb.93:                               ;   in Loop: Header=BB299_10 Depth=1
	v_and_b32_e32 v0, 7, v18
	v_lshrrev_b32_e32 v1, 3, v2
	s_mov_b32 s26, exec_lo
	v_cmpx_gt_u32_e32 8, v2
; %bb.94:                               ;   in Loop: Header=BB299_10 Depth=1
	v_ffbh_u32_e32 v0, v0
	v_min_u32_e32 v2, 32, v0
	v_subrev_nc_u32_e32 v0, 28, v2
	v_lshlrev_b64 v[0:1], v0, v[18:19]
	v_sub_nc_u32_e32 v1, 29, v2
	v_and_b32_e32 v0, 7, v0
; %bb.95:                               ;   in Loop: Header=BB299_10 Depth=1
	s_or_b32 exec_lo, exec_lo, s26
	v_lshlrev_b32_e32 v2, 8, v18
	v_lshl_add_u32 v1, v1, 10, 0x2000
	v_lshlrev_b32_e32 v0, 7, v0
	v_and_b32_e32 v2, 0x8000, v2
	v_and_b32_e32 v1, 0xfc00, v1
	v_or3_b32 v0, v2, v1, v0
	buffer_store_dword v0, off, s[0:3], s32 offset:220 ; 4-byte Folded Spill
.LBB299_96:                             ;   in Loop: Header=BB299_10 Depth=1
	s_or_b32 exec_lo, exec_lo, s25
.LBB299_97:                             ;   in Loop: Header=BB299_10 Depth=1
	s_or_b32 exec_lo, exec_lo, s24
.LBB299_98:                             ;   in Loop: Header=BB299_10 Depth=1
	s_or_b32 exec_lo, exec_lo, s8
	s_mov_b32 s8, exec_lo
	v_cmpx_lt_u32_e32 0xffffff, v12
	s_cbranch_execz .LBB299_106
; %bb.99:                               ;   in Loop: Header=BB299_10 Depth=1
	v_lshrrev_b32_e32 v18, 24, v12
	v_bfrev_b32_e32 v98, 1
	s_mov_b32 s24, exec_lo
	v_cmpx_ne_u32_e32 0x80, v18
	s_cbranch_execz .LBB299_105
; %bb.100:                              ;   in Loop: Header=BB299_10 Depth=1
	v_and_b32_e32 v2, 0x7f, v18
	v_mov_b32_e32 v98, 0x7c010000
	s_mov_b32 s25, exec_lo
	v_cmpx_ne_u32_e32 0x7f, v2
	s_cbranch_execz .LBB299_104
; %bb.101:                              ;   in Loop: Header=BB299_10 Depth=1
	v_and_b32_e32 v0, 7, v18
	v_lshrrev_b32_e32 v1, 3, v2
	s_mov_b32 s26, exec_lo
	v_cmpx_gt_u32_e32 8, v2
; %bb.102:                              ;   in Loop: Header=BB299_10 Depth=1
	v_ffbh_u32_e32 v0, v0
	v_min_u32_e32 v2, 32, v0
	v_subrev_nc_u32_e32 v0, 28, v2
	v_lshlrev_b64 v[0:1], v0, v[18:19]
	v_sub_nc_u32_e32 v1, 29, v2
	v_and_b32_e32 v0, 7, v0
; %bb.103:                              ;   in Loop: Header=BB299_10 Depth=1
	s_or_b32 exec_lo, exec_lo, s26
	v_lshlrev_b32_e32 v2, 8, v18
	v_lshl_add_u32 v1, v1, 10, 0x2000
	v_lshlrev_b32_e32 v0, 23, v0
	v_and_or_b32 v1, 0x8000, v2, v1
	v_lshl_or_b32 v98, v1, 16, v0
.LBB299_104:                            ;   in Loop: Header=BB299_10 Depth=1
	s_or_b32 exec_lo, exec_lo, s25
.LBB299_105:                            ;   in Loop: Header=BB299_10 Depth=1
	s_or_b32 exec_lo, exec_lo, s24
.LBB299_106:                            ;   in Loop: Header=BB299_10 Depth=1
	s_or_b32 exec_lo, exec_lo, s8
	flat_load_dword v12, v[30:31] offset:264
	v_mov_b32_e32 v100, 0
	v_mov_b32_e32 v0, 0
	buffer_store_dword v0, off, s[0:3], s32 offset:224 ; 4-byte Folded Spill
	s_waitcnt vmcnt(0) lgkmcnt(0)
	v_cmp_ne_u16_sdwa s7, v12, v19 src0_sel:BYTE_0 src1_sel:DWORD
	s_and_saveexec_b32 s8, s7
	s_cbranch_execz .LBB299_114
; %bb.107:                              ;   in Loop: Header=BB299_10 Depth=1
	v_cmp_ne_u16_sdwa s7, v12, v66 src0_sel:BYTE_0 src1_sel:DWORD
	v_mov_b32_e32 v0, 0x8000
	buffer_store_dword v0, off, s[0:3], s32 offset:224 ; 4-byte Folded Spill
	s_and_saveexec_b32 s24, s7
	s_cbranch_execz .LBB299_113
; %bb.108:                              ;   in Loop: Header=BB299_10 Depth=1
	v_and_b32_e32 v2, 0x7f, v12
	v_mov_b32_e32 v0, 0x7c01
	s_mov_b32 s25, exec_lo
	buffer_store_dword v0, off, s[0:3], s32 offset:224 ; 4-byte Folded Spill
	v_cmpx_ne_u32_e32 0x7f, v2
	s_cbranch_execz .LBB299_112
; %bb.109:                              ;   in Loop: Header=BB299_10 Depth=1
	v_and_b32_e32 v0, 7, v12
	v_lshrrev_b32_e32 v1, 3, v2
	s_mov_b32 s26, exec_lo
	v_cmpx_gt_u32_e32 8, v2
; %bb.110:                              ;   in Loop: Header=BB299_10 Depth=1
	v_ffbh_u32_e32 v0, v0
	v_min_u32_e32 v2, 32, v0
	v_subrev_nc_u32_e32 v0, 28, v2
	v_lshlrev_b64 v[0:1], v0, v[12:13]
	v_sub_nc_u32_e32 v1, 29, v2
	v_and_b32_e32 v0, 7, v0
; %bb.111:                              ;   in Loop: Header=BB299_10 Depth=1
	s_or_b32 exec_lo, exec_lo, s26
	v_lshlrev_b32_e32 v2, 8, v12
	v_lshl_add_u32 v1, v1, 10, 0x2000
	v_lshlrev_b32_e32 v0, 7, v0
	v_and_b32_e32 v2, 0x8000, v2
	v_and_b32_e32 v1, 0xfc00, v1
	v_or3_b32 v0, v2, v1, v0
	buffer_store_dword v0, off, s[0:3], s32 offset:224 ; 4-byte Folded Spill
.LBB299_112:                            ;   in Loop: Header=BB299_10 Depth=1
	s_or_b32 exec_lo, exec_lo, s25
.LBB299_113:                            ;   in Loop: Header=BB299_10 Depth=1
	s_or_b32 exec_lo, exec_lo, s24
.LBB299_114:                            ;   in Loop: Header=BB299_10 Depth=1
	s_or_b32 exec_lo, exec_lo, s8
	v_lshrrev_b16 v18, 8, v12
	s_mov_b32 s8, exec_lo
	v_cmpx_ne_u16_e32 0, v18
	s_cbranch_execz .LBB299_122
; %bb.115:                              ;   in Loop: Header=BB299_10 Depth=1
	v_bfrev_b32_e32 v100, 1
	s_mov_b32 s24, exec_lo
	v_cmpx_ne_u16_e32 0x80, v18
	s_cbranch_execz .LBB299_121
; %bb.116:                              ;   in Loop: Header=BB299_10 Depth=1
	v_mov_b32_e32 v0, 0x7f
	v_mov_b32_e32 v100, 0x7c010000
	s_mov_b32 s25, exec_lo
	v_and_b32_sdwa v2, v18, v0 dst_sel:DWORD dst_unused:UNUSED_PAD src0_sel:WORD_0 src1_sel:DWORD
	v_cmpx_ne_u32_e32 0x7f, v2
	s_cbranch_execz .LBB299_120
; %bb.117:                              ;   in Loop: Header=BB299_10 Depth=1
	v_mov_b32_e32 v0, 7
	v_lshrrev_b32_e32 v1, 3, v2
	s_mov_b32 s26, exec_lo
	v_and_b32_sdwa v0, v18, v0 dst_sel:DWORD dst_unused:UNUSED_PAD src0_sel:WORD_0 src1_sel:DWORD
	v_cmpx_gt_u32_e32 8, v2
; %bb.118:                              ;   in Loop: Header=BB299_10 Depth=1
	v_ffbh_u32_e32 v0, v0
	v_min_u32_e32 v2, 32, v0
	v_subrev_nc_u32_e32 v0, 28, v2
	v_lshlrev_b64 v[0:1], v0, v[18:19]
	v_sub_nc_u32_e32 v1, 29, v2
	v_and_b32_e32 v0, 7, v0
; %bb.119:                              ;   in Loop: Header=BB299_10 Depth=1
	s_or_b32 exec_lo, exec_lo, s26
	v_mov_b32_e32 v2, 8
	v_lshl_add_u32 v1, v1, 10, 0x2000
	v_lshlrev_b32_e32 v0, 23, v0
	v_lshlrev_b32_sdwa v2, v2, v18 dst_sel:DWORD dst_unused:UNUSED_PAD src0_sel:DWORD src1_sel:WORD_0
	v_and_or_b32 v1, 0x8000, v2, v1
	v_lshl_or_b32 v100, v1, 16, v0
.LBB299_120:                            ;   in Loop: Header=BB299_10 Depth=1
	s_or_b32 exec_lo, exec_lo, s25
.LBB299_121:                            ;   in Loop: Header=BB299_10 Depth=1
	s_or_b32 exec_lo, exec_lo, s24
.LBB299_122:                            ;   in Loop: Header=BB299_10 Depth=1
	s_or_b32 exec_lo, exec_lo, s8
	v_lshrrev_b32_e32 v18, 16, v12
	v_mov_b32_e32 v102, 0
	v_mov_b32_e32 v0, 0
	v_cmp_ne_u16_sdwa s7, v18, v19 src0_sel:BYTE_0 src1_sel:DWORD
	buffer_store_dword v0, off, s[0:3], s32 offset:228 ; 4-byte Folded Spill
	s_and_saveexec_b32 s8, s7
	s_cbranch_execz .LBB299_130
; %bb.123:                              ;   in Loop: Header=BB299_10 Depth=1
	v_cmp_ne_u16_sdwa s7, v18, v66 src0_sel:BYTE_0 src1_sel:DWORD
	v_mov_b32_e32 v0, 0x8000
	buffer_store_dword v0, off, s[0:3], s32 offset:228 ; 4-byte Folded Spill
	s_and_saveexec_b32 s24, s7
	s_cbranch_execz .LBB299_129
; %bb.124:                              ;   in Loop: Header=BB299_10 Depth=1
	v_bfe_u32 v2, v12, 16, 7
	v_mov_b32_e32 v0, 0x7c01
	s_mov_b32 s25, exec_lo
	buffer_store_dword v0, off, s[0:3], s32 offset:228 ; 4-byte Folded Spill
	v_cmpx_ne_u32_e32 0x7f, v2
	s_cbranch_execz .LBB299_128
; %bb.125:                              ;   in Loop: Header=BB299_10 Depth=1
	v_and_b32_e32 v0, 7, v18
	v_lshrrev_b32_e32 v1, 3, v2
	s_mov_b32 s26, exec_lo
	v_cmpx_gt_u32_e32 8, v2
; %bb.126:                              ;   in Loop: Header=BB299_10 Depth=1
	v_ffbh_u32_e32 v0, v0
	v_min_u32_e32 v2, 32, v0
	v_subrev_nc_u32_e32 v0, 28, v2
	v_lshlrev_b64 v[0:1], v0, v[18:19]
	v_sub_nc_u32_e32 v1, 29, v2
	v_and_b32_e32 v0, 7, v0
; %bb.127:                              ;   in Loop: Header=BB299_10 Depth=1
	s_or_b32 exec_lo, exec_lo, s26
	v_lshlrev_b32_e32 v2, 8, v18
	v_lshl_add_u32 v1, v1, 10, 0x2000
	v_lshlrev_b32_e32 v0, 7, v0
	v_and_b32_e32 v2, 0x8000, v2
	v_and_b32_e32 v1, 0xfc00, v1
	v_or3_b32 v0, v2, v1, v0
	buffer_store_dword v0, off, s[0:3], s32 offset:228 ; 4-byte Folded Spill
.LBB299_128:                            ;   in Loop: Header=BB299_10 Depth=1
	s_or_b32 exec_lo, exec_lo, s25
.LBB299_129:                            ;   in Loop: Header=BB299_10 Depth=1
	s_or_b32 exec_lo, exec_lo, s24
.LBB299_130:                            ;   in Loop: Header=BB299_10 Depth=1
	s_or_b32 exec_lo, exec_lo, s8
	s_mov_b32 s8, exec_lo
	v_cmpx_lt_u32_e32 0xffffff, v12
	s_cbranch_execz .LBB299_138
; %bb.131:                              ;   in Loop: Header=BB299_10 Depth=1
	v_lshrrev_b32_e32 v18, 24, v12
	v_bfrev_b32_e32 v102, 1
	s_mov_b32 s24, exec_lo
	v_cmpx_ne_u32_e32 0x80, v18
	s_cbranch_execz .LBB299_137
; %bb.132:                              ;   in Loop: Header=BB299_10 Depth=1
	v_and_b32_e32 v2, 0x7f, v18
	v_mov_b32_e32 v102, 0x7c010000
	s_mov_b32 s25, exec_lo
	v_cmpx_ne_u32_e32 0x7f, v2
	s_cbranch_execz .LBB299_136
; %bb.133:                              ;   in Loop: Header=BB299_10 Depth=1
	v_and_b32_e32 v0, 7, v18
	v_lshrrev_b32_e32 v1, 3, v2
	s_mov_b32 s26, exec_lo
	v_cmpx_gt_u32_e32 8, v2
; %bb.134:                              ;   in Loop: Header=BB299_10 Depth=1
	v_ffbh_u32_e32 v0, v0
	v_min_u32_e32 v2, 32, v0
	v_subrev_nc_u32_e32 v0, 28, v2
	v_lshlrev_b64 v[0:1], v0, v[18:19]
	v_sub_nc_u32_e32 v1, 29, v2
	v_and_b32_e32 v0, 7, v0
; %bb.135:                              ;   in Loop: Header=BB299_10 Depth=1
	s_or_b32 exec_lo, exec_lo, s26
	v_lshlrev_b32_e32 v2, 8, v18
	v_lshl_add_u32 v1, v1, 10, 0x2000
	v_lshlrev_b32_e32 v0, 23, v0
	v_and_or_b32 v1, 0x8000, v2, v1
	v_lshl_or_b32 v102, v1, 16, v0
.LBB299_136:                            ;   in Loop: Header=BB299_10 Depth=1
	s_or_b32 exec_lo, exec_lo, s25
.LBB299_137:                            ;   in Loop: Header=BB299_10 Depth=1
	s_or_b32 exec_lo, exec_lo, s24
.LBB299_138:                            ;   in Loop: Header=BB299_10 Depth=1
	s_or_b32 exec_lo, exec_lo, s8
	flat_load_dword v12, v[30:31] offset:512
	v_mov_b32_e32 v112, 0
	v_mov_b32_e32 v0, 0
	buffer_store_dword v0, off, s[0:3], s32 offset:232 ; 4-byte Folded Spill
	s_waitcnt vmcnt(0) lgkmcnt(0)
	v_cmp_ne_u16_sdwa s7, v12, v19 src0_sel:BYTE_0 src1_sel:DWORD
	s_and_saveexec_b32 s8, s7
	s_cbranch_execz .LBB299_146
; %bb.139:                              ;   in Loop: Header=BB299_10 Depth=1
	v_cmp_ne_u16_sdwa s7, v12, v66 src0_sel:BYTE_0 src1_sel:DWORD
	v_mov_b32_e32 v0, 0x8000
	buffer_store_dword v0, off, s[0:3], s32 offset:232 ; 4-byte Folded Spill
	s_and_saveexec_b32 s24, s7
	s_cbranch_execz .LBB299_145
; %bb.140:                              ;   in Loop: Header=BB299_10 Depth=1
	v_and_b32_e32 v2, 0x7f, v12
	v_mov_b32_e32 v0, 0x7c01
	s_mov_b32 s25, exec_lo
	buffer_store_dword v0, off, s[0:3], s32 offset:232 ; 4-byte Folded Spill
	v_cmpx_ne_u32_e32 0x7f, v2
	s_cbranch_execz .LBB299_144
; %bb.141:                              ;   in Loop: Header=BB299_10 Depth=1
	v_and_b32_e32 v0, 7, v12
	v_lshrrev_b32_e32 v1, 3, v2
	s_mov_b32 s26, exec_lo
	v_cmpx_gt_u32_e32 8, v2
; %bb.142:                              ;   in Loop: Header=BB299_10 Depth=1
	v_ffbh_u32_e32 v0, v0
	v_min_u32_e32 v2, 32, v0
	v_subrev_nc_u32_e32 v0, 28, v2
	v_lshlrev_b64 v[0:1], v0, v[12:13]
	v_sub_nc_u32_e32 v1, 29, v2
	v_and_b32_e32 v0, 7, v0
; %bb.143:                              ;   in Loop: Header=BB299_10 Depth=1
	s_or_b32 exec_lo, exec_lo, s26
	v_lshlrev_b32_e32 v2, 8, v12
	v_lshl_add_u32 v1, v1, 10, 0x2000
	v_lshlrev_b32_e32 v0, 7, v0
	v_and_b32_e32 v2, 0x8000, v2
	v_and_b32_e32 v1, 0xfc00, v1
	v_or3_b32 v0, v2, v1, v0
	buffer_store_dword v0, off, s[0:3], s32 offset:232 ; 4-byte Folded Spill
.LBB299_144:                            ;   in Loop: Header=BB299_10 Depth=1
	s_or_b32 exec_lo, exec_lo, s25
.LBB299_145:                            ;   in Loop: Header=BB299_10 Depth=1
	s_or_b32 exec_lo, exec_lo, s24
.LBB299_146:                            ;   in Loop: Header=BB299_10 Depth=1
	s_or_b32 exec_lo, exec_lo, s8
	v_lshrrev_b16 v18, 8, v12
	s_mov_b32 s8, exec_lo
	v_cmpx_ne_u16_e32 0, v18
	s_cbranch_execz .LBB299_154
; %bb.147:                              ;   in Loop: Header=BB299_10 Depth=1
	v_bfrev_b32_e32 v112, 1
	s_mov_b32 s24, exec_lo
	v_cmpx_ne_u16_e32 0x80, v18
	s_cbranch_execz .LBB299_153
; %bb.148:                              ;   in Loop: Header=BB299_10 Depth=1
	v_mov_b32_e32 v0, 0x7f
	v_mov_b32_e32 v112, 0x7c010000
	s_mov_b32 s25, exec_lo
	v_and_b32_sdwa v2, v18, v0 dst_sel:DWORD dst_unused:UNUSED_PAD src0_sel:WORD_0 src1_sel:DWORD
	v_cmpx_ne_u32_e32 0x7f, v2
	s_cbranch_execz .LBB299_152
; %bb.149:                              ;   in Loop: Header=BB299_10 Depth=1
	v_mov_b32_e32 v0, 7
	v_lshrrev_b32_e32 v1, 3, v2
	s_mov_b32 s26, exec_lo
	v_and_b32_sdwa v0, v18, v0 dst_sel:DWORD dst_unused:UNUSED_PAD src0_sel:WORD_0 src1_sel:DWORD
	v_cmpx_gt_u32_e32 8, v2
; %bb.150:                              ;   in Loop: Header=BB299_10 Depth=1
	v_ffbh_u32_e32 v0, v0
	v_min_u32_e32 v2, 32, v0
	v_subrev_nc_u32_e32 v0, 28, v2
	v_lshlrev_b64 v[0:1], v0, v[18:19]
	v_sub_nc_u32_e32 v1, 29, v2
	v_and_b32_e32 v0, 7, v0
; %bb.151:                              ;   in Loop: Header=BB299_10 Depth=1
	s_or_b32 exec_lo, exec_lo, s26
	v_mov_b32_e32 v2, 8
	v_lshl_add_u32 v1, v1, 10, 0x2000
	v_lshlrev_b32_e32 v0, 23, v0
	v_lshlrev_b32_sdwa v2, v2, v18 dst_sel:DWORD dst_unused:UNUSED_PAD src0_sel:DWORD src1_sel:WORD_0
	v_and_or_b32 v1, 0x8000, v2, v1
	v_lshl_or_b32 v112, v1, 16, v0
.LBB299_152:                            ;   in Loop: Header=BB299_10 Depth=1
	s_or_b32 exec_lo, exec_lo, s25
.LBB299_153:                            ;   in Loop: Header=BB299_10 Depth=1
	s_or_b32 exec_lo, exec_lo, s24
.LBB299_154:                            ;   in Loop: Header=BB299_10 Depth=1
	s_or_b32 exec_lo, exec_lo, s8
	v_lshrrev_b32_e32 v18, 16, v12
	v_mov_b32_e32 v114, 0
	v_mov_b32_e32 v0, 0
	v_cmp_ne_u16_sdwa s7, v18, v19 src0_sel:BYTE_0 src1_sel:DWORD
	buffer_store_dword v0, off, s[0:3], s32 offset:236 ; 4-byte Folded Spill
	s_and_saveexec_b32 s8, s7
	s_cbranch_execz .LBB299_162
; %bb.155:                              ;   in Loop: Header=BB299_10 Depth=1
	v_cmp_ne_u16_sdwa s7, v18, v66 src0_sel:BYTE_0 src1_sel:DWORD
	v_mov_b32_e32 v0, 0x8000
	buffer_store_dword v0, off, s[0:3], s32 offset:236 ; 4-byte Folded Spill
	s_and_saveexec_b32 s24, s7
	s_cbranch_execz .LBB299_161
; %bb.156:                              ;   in Loop: Header=BB299_10 Depth=1
	v_bfe_u32 v2, v12, 16, 7
	v_mov_b32_e32 v0, 0x7c01
	s_mov_b32 s25, exec_lo
	buffer_store_dword v0, off, s[0:3], s32 offset:236 ; 4-byte Folded Spill
	v_cmpx_ne_u32_e32 0x7f, v2
	s_cbranch_execz .LBB299_160
; %bb.157:                              ;   in Loop: Header=BB299_10 Depth=1
	v_and_b32_e32 v0, 7, v18
	v_lshrrev_b32_e32 v1, 3, v2
	s_mov_b32 s26, exec_lo
	v_cmpx_gt_u32_e32 8, v2
; %bb.158:                              ;   in Loop: Header=BB299_10 Depth=1
	v_ffbh_u32_e32 v0, v0
	v_min_u32_e32 v2, 32, v0
	v_subrev_nc_u32_e32 v0, 28, v2
	v_lshlrev_b64 v[0:1], v0, v[18:19]
	v_sub_nc_u32_e32 v1, 29, v2
	v_and_b32_e32 v0, 7, v0
; %bb.159:                              ;   in Loop: Header=BB299_10 Depth=1
	s_or_b32 exec_lo, exec_lo, s26
	v_lshlrev_b32_e32 v2, 8, v18
	v_lshl_add_u32 v1, v1, 10, 0x2000
	v_lshlrev_b32_e32 v0, 7, v0
	v_and_b32_e32 v2, 0x8000, v2
	v_and_b32_e32 v1, 0xfc00, v1
	v_or3_b32 v0, v2, v1, v0
	buffer_store_dword v0, off, s[0:3], s32 offset:236 ; 4-byte Folded Spill
.LBB299_160:                            ;   in Loop: Header=BB299_10 Depth=1
	s_or_b32 exec_lo, exec_lo, s25
.LBB299_161:                            ;   in Loop: Header=BB299_10 Depth=1
	s_or_b32 exec_lo, exec_lo, s24
.LBB299_162:                            ;   in Loop: Header=BB299_10 Depth=1
	s_or_b32 exec_lo, exec_lo, s8
	s_mov_b32 s8, exec_lo
	v_cmpx_lt_u32_e32 0xffffff, v12
	s_cbranch_execz .LBB299_170
; %bb.163:                              ;   in Loop: Header=BB299_10 Depth=1
	v_lshrrev_b32_e32 v18, 24, v12
	v_bfrev_b32_e32 v114, 1
	s_mov_b32 s24, exec_lo
	v_cmpx_ne_u32_e32 0x80, v18
	s_cbranch_execz .LBB299_169
; %bb.164:                              ;   in Loop: Header=BB299_10 Depth=1
	v_and_b32_e32 v2, 0x7f, v18
	v_mov_b32_e32 v114, 0x7c010000
	s_mov_b32 s25, exec_lo
	v_cmpx_ne_u32_e32 0x7f, v2
	s_cbranch_execz .LBB299_168
; %bb.165:                              ;   in Loop: Header=BB299_10 Depth=1
	v_and_b32_e32 v0, 7, v18
	v_lshrrev_b32_e32 v1, 3, v2
	s_mov_b32 s26, exec_lo
	v_cmpx_gt_u32_e32 8, v2
; %bb.166:                              ;   in Loop: Header=BB299_10 Depth=1
	v_ffbh_u32_e32 v0, v0
	v_min_u32_e32 v2, 32, v0
	v_subrev_nc_u32_e32 v0, 28, v2
	v_lshlrev_b64 v[0:1], v0, v[18:19]
	v_sub_nc_u32_e32 v1, 29, v2
	v_and_b32_e32 v0, 7, v0
; %bb.167:                              ;   in Loop: Header=BB299_10 Depth=1
	s_or_b32 exec_lo, exec_lo, s26
	v_lshlrev_b32_e32 v2, 8, v18
	v_lshl_add_u32 v1, v1, 10, 0x2000
	v_lshlrev_b32_e32 v0, 23, v0
	v_and_or_b32 v1, 0x8000, v2, v1
	v_lshl_or_b32 v114, v1, 16, v0
.LBB299_168:                            ;   in Loop: Header=BB299_10 Depth=1
	s_or_b32 exec_lo, exec_lo, s25
.LBB299_169:                            ;   in Loop: Header=BB299_10 Depth=1
	s_or_b32 exec_lo, exec_lo, s24
.LBB299_170:                            ;   in Loop: Header=BB299_10 Depth=1
	s_or_b32 exec_lo, exec_lo, s8
	flat_load_dword v12, v[30:31] offset:520
	v_mov_b32_e32 v116, 0
	v_mov_b32_e32 v0, 0
	buffer_store_dword v0, off, s[0:3], s32 offset:240 ; 4-byte Folded Spill
	s_waitcnt vmcnt(0) lgkmcnt(0)
	v_cmp_ne_u16_sdwa s7, v12, v19 src0_sel:BYTE_0 src1_sel:DWORD
	s_and_saveexec_b32 s8, s7
	s_cbranch_execz .LBB299_178
; %bb.171:                              ;   in Loop: Header=BB299_10 Depth=1
	v_cmp_ne_u16_sdwa s7, v12, v66 src0_sel:BYTE_0 src1_sel:DWORD
	v_mov_b32_e32 v0, 0x8000
	buffer_store_dword v0, off, s[0:3], s32 offset:240 ; 4-byte Folded Spill
	s_and_saveexec_b32 s24, s7
	s_cbranch_execz .LBB299_177
; %bb.172:                              ;   in Loop: Header=BB299_10 Depth=1
	v_and_b32_e32 v2, 0x7f, v12
	v_mov_b32_e32 v0, 0x7c01
	s_mov_b32 s25, exec_lo
	buffer_store_dword v0, off, s[0:3], s32 offset:240 ; 4-byte Folded Spill
	v_cmpx_ne_u32_e32 0x7f, v2
	s_cbranch_execz .LBB299_176
; %bb.173:                              ;   in Loop: Header=BB299_10 Depth=1
	v_and_b32_e32 v0, 7, v12
	v_lshrrev_b32_e32 v1, 3, v2
	s_mov_b32 s26, exec_lo
	v_cmpx_gt_u32_e32 8, v2
; %bb.174:                              ;   in Loop: Header=BB299_10 Depth=1
	v_ffbh_u32_e32 v0, v0
	v_min_u32_e32 v2, 32, v0
	v_subrev_nc_u32_e32 v0, 28, v2
	v_lshlrev_b64 v[0:1], v0, v[12:13]
	v_sub_nc_u32_e32 v1, 29, v2
	v_and_b32_e32 v0, 7, v0
; %bb.175:                              ;   in Loop: Header=BB299_10 Depth=1
	s_or_b32 exec_lo, exec_lo, s26
	v_lshlrev_b32_e32 v2, 8, v12
	v_lshl_add_u32 v1, v1, 10, 0x2000
	v_lshlrev_b32_e32 v0, 7, v0
	v_and_b32_e32 v2, 0x8000, v2
	v_and_b32_e32 v1, 0xfc00, v1
	v_or3_b32 v0, v2, v1, v0
	buffer_store_dword v0, off, s[0:3], s32 offset:240 ; 4-byte Folded Spill
.LBB299_176:                            ;   in Loop: Header=BB299_10 Depth=1
	s_or_b32 exec_lo, exec_lo, s25
.LBB299_177:                            ;   in Loop: Header=BB299_10 Depth=1
	s_or_b32 exec_lo, exec_lo, s24
.LBB299_178:                            ;   in Loop: Header=BB299_10 Depth=1
	s_or_b32 exec_lo, exec_lo, s8
	v_lshrrev_b16 v18, 8, v12
	s_mov_b32 s8, exec_lo
	v_cmpx_ne_u16_e32 0, v18
	s_cbranch_execz .LBB299_186
; %bb.179:                              ;   in Loop: Header=BB299_10 Depth=1
	v_bfrev_b32_e32 v116, 1
	s_mov_b32 s24, exec_lo
	v_cmpx_ne_u16_e32 0x80, v18
	s_cbranch_execz .LBB299_185
; %bb.180:                              ;   in Loop: Header=BB299_10 Depth=1
	v_mov_b32_e32 v0, 0x7f
	v_mov_b32_e32 v116, 0x7c010000
	s_mov_b32 s25, exec_lo
	v_and_b32_sdwa v2, v18, v0 dst_sel:DWORD dst_unused:UNUSED_PAD src0_sel:WORD_0 src1_sel:DWORD
	v_cmpx_ne_u32_e32 0x7f, v2
	s_cbranch_execz .LBB299_184
; %bb.181:                              ;   in Loop: Header=BB299_10 Depth=1
	v_mov_b32_e32 v0, 7
	v_lshrrev_b32_e32 v1, 3, v2
	s_mov_b32 s26, exec_lo
	v_and_b32_sdwa v0, v18, v0 dst_sel:DWORD dst_unused:UNUSED_PAD src0_sel:WORD_0 src1_sel:DWORD
	v_cmpx_gt_u32_e32 8, v2
; %bb.182:                              ;   in Loop: Header=BB299_10 Depth=1
	v_ffbh_u32_e32 v0, v0
	v_min_u32_e32 v2, 32, v0
	v_subrev_nc_u32_e32 v0, 28, v2
	v_lshlrev_b64 v[0:1], v0, v[18:19]
	v_sub_nc_u32_e32 v1, 29, v2
	v_and_b32_e32 v0, 7, v0
; %bb.183:                              ;   in Loop: Header=BB299_10 Depth=1
	s_or_b32 exec_lo, exec_lo, s26
	v_mov_b32_e32 v2, 8
	v_lshl_add_u32 v1, v1, 10, 0x2000
	v_lshlrev_b32_e32 v0, 23, v0
	v_lshlrev_b32_sdwa v2, v2, v18 dst_sel:DWORD dst_unused:UNUSED_PAD src0_sel:DWORD src1_sel:WORD_0
	v_and_or_b32 v1, 0x8000, v2, v1
	v_lshl_or_b32 v116, v1, 16, v0
.LBB299_184:                            ;   in Loop: Header=BB299_10 Depth=1
	s_or_b32 exec_lo, exec_lo, s25
.LBB299_185:                            ;   in Loop: Header=BB299_10 Depth=1
	s_or_b32 exec_lo, exec_lo, s24
.LBB299_186:                            ;   in Loop: Header=BB299_10 Depth=1
	s_or_b32 exec_lo, exec_lo, s8
	v_lshrrev_b32_e32 v18, 16, v12
	v_mov_b32_e32 v118, 0
	v_mov_b32_e32 v0, 0
	v_cmp_ne_u16_sdwa s7, v18, v19 src0_sel:BYTE_0 src1_sel:DWORD
	buffer_store_dword v0, off, s[0:3], s32 offset:244 ; 4-byte Folded Spill
	s_and_saveexec_b32 s8, s7
	s_cbranch_execz .LBB299_194
; %bb.187:                              ;   in Loop: Header=BB299_10 Depth=1
	v_cmp_ne_u16_sdwa s7, v18, v66 src0_sel:BYTE_0 src1_sel:DWORD
	v_mov_b32_e32 v0, 0x8000
	buffer_store_dword v0, off, s[0:3], s32 offset:244 ; 4-byte Folded Spill
	s_and_saveexec_b32 s24, s7
	s_cbranch_execz .LBB299_193
; %bb.188:                              ;   in Loop: Header=BB299_10 Depth=1
	v_bfe_u32 v2, v12, 16, 7
	v_mov_b32_e32 v0, 0x7c01
	s_mov_b32 s25, exec_lo
	buffer_store_dword v0, off, s[0:3], s32 offset:244 ; 4-byte Folded Spill
	v_cmpx_ne_u32_e32 0x7f, v2
	s_cbranch_execz .LBB299_192
; %bb.189:                              ;   in Loop: Header=BB299_10 Depth=1
	v_and_b32_e32 v0, 7, v18
	v_lshrrev_b32_e32 v1, 3, v2
	s_mov_b32 s26, exec_lo
	v_cmpx_gt_u32_e32 8, v2
; %bb.190:                              ;   in Loop: Header=BB299_10 Depth=1
	v_ffbh_u32_e32 v0, v0
	v_min_u32_e32 v2, 32, v0
	v_subrev_nc_u32_e32 v0, 28, v2
	v_lshlrev_b64 v[0:1], v0, v[18:19]
	v_sub_nc_u32_e32 v1, 29, v2
	v_and_b32_e32 v0, 7, v0
; %bb.191:                              ;   in Loop: Header=BB299_10 Depth=1
	s_or_b32 exec_lo, exec_lo, s26
	v_lshlrev_b32_e32 v2, 8, v18
	v_lshl_add_u32 v1, v1, 10, 0x2000
	v_lshlrev_b32_e32 v0, 7, v0
	v_and_b32_e32 v2, 0x8000, v2
	v_and_b32_e32 v1, 0xfc00, v1
	v_or3_b32 v0, v2, v1, v0
	buffer_store_dword v0, off, s[0:3], s32 offset:244 ; 4-byte Folded Spill
.LBB299_192:                            ;   in Loop: Header=BB299_10 Depth=1
	s_or_b32 exec_lo, exec_lo, s25
.LBB299_193:                            ;   in Loop: Header=BB299_10 Depth=1
	s_or_b32 exec_lo, exec_lo, s24
.LBB299_194:                            ;   in Loop: Header=BB299_10 Depth=1
	s_or_b32 exec_lo, exec_lo, s8
	s_mov_b32 s8, exec_lo
	v_cmpx_lt_u32_e32 0xffffff, v12
	s_cbranch_execz .LBB299_202
; %bb.195:                              ;   in Loop: Header=BB299_10 Depth=1
	v_lshrrev_b32_e32 v18, 24, v12
	v_bfrev_b32_e32 v118, 1
	s_mov_b32 s24, exec_lo
	v_cmpx_ne_u32_e32 0x80, v18
	s_cbranch_execz .LBB299_201
; %bb.196:                              ;   in Loop: Header=BB299_10 Depth=1
	v_and_b32_e32 v2, 0x7f, v18
	v_mov_b32_e32 v118, 0x7c010000
	s_mov_b32 s25, exec_lo
	v_cmpx_ne_u32_e32 0x7f, v2
	s_cbranch_execz .LBB299_200
; %bb.197:                              ;   in Loop: Header=BB299_10 Depth=1
	v_and_b32_e32 v0, 7, v18
	v_lshrrev_b32_e32 v1, 3, v2
	s_mov_b32 s26, exec_lo
	v_cmpx_gt_u32_e32 8, v2
; %bb.198:                              ;   in Loop: Header=BB299_10 Depth=1
	v_ffbh_u32_e32 v0, v0
	v_min_u32_e32 v2, 32, v0
	v_subrev_nc_u32_e32 v0, 28, v2
	v_lshlrev_b64 v[0:1], v0, v[18:19]
	v_sub_nc_u32_e32 v1, 29, v2
	v_and_b32_e32 v0, 7, v0
; %bb.199:                              ;   in Loop: Header=BB299_10 Depth=1
	s_or_b32 exec_lo, exec_lo, s26
	v_lshlrev_b32_e32 v2, 8, v18
	v_lshl_add_u32 v1, v1, 10, 0x2000
	v_lshlrev_b32_e32 v0, 23, v0
	v_and_or_b32 v1, 0x8000, v2, v1
	v_lshl_or_b32 v118, v1, 16, v0
.LBB299_200:                            ;   in Loop: Header=BB299_10 Depth=1
	s_or_b32 exec_lo, exec_lo, s25
.LBB299_201:                            ;   in Loop: Header=BB299_10 Depth=1
	s_or_b32 exec_lo, exec_lo, s24
.LBB299_202:                            ;   in Loop: Header=BB299_10 Depth=1
	s_or_b32 exec_lo, exec_lo, s8
	flat_load_dword v12, v[30:31] offset:768
	v_mov_b32_e32 v40, 0
	v_mov_b32_e32 v0, 0
	buffer_store_dword v0, off, s[0:3], s32 offset:248 ; 4-byte Folded Spill
	s_waitcnt vmcnt(0) lgkmcnt(0)
	v_cmp_ne_u16_sdwa s7, v12, v19 src0_sel:BYTE_0 src1_sel:DWORD
	s_and_saveexec_b32 s8, s7
	s_cbranch_execz .LBB299_210
; %bb.203:                              ;   in Loop: Header=BB299_10 Depth=1
	v_cmp_ne_u16_sdwa s7, v12, v66 src0_sel:BYTE_0 src1_sel:DWORD
	v_mov_b32_e32 v0, 0x8000
	buffer_store_dword v0, off, s[0:3], s32 offset:248 ; 4-byte Folded Spill
	s_and_saveexec_b32 s24, s7
	s_cbranch_execz .LBB299_209
; %bb.204:                              ;   in Loop: Header=BB299_10 Depth=1
	v_and_b32_e32 v2, 0x7f, v12
	v_mov_b32_e32 v0, 0x7c01
	s_mov_b32 s25, exec_lo
	buffer_store_dword v0, off, s[0:3], s32 offset:248 ; 4-byte Folded Spill
	v_cmpx_ne_u32_e32 0x7f, v2
	s_cbranch_execz .LBB299_208
; %bb.205:                              ;   in Loop: Header=BB299_10 Depth=1
	v_and_b32_e32 v0, 7, v12
	v_lshrrev_b32_e32 v1, 3, v2
	s_mov_b32 s26, exec_lo
	v_cmpx_gt_u32_e32 8, v2
; %bb.206:                              ;   in Loop: Header=BB299_10 Depth=1
	v_ffbh_u32_e32 v0, v0
	v_min_u32_e32 v2, 32, v0
	v_subrev_nc_u32_e32 v0, 28, v2
	v_lshlrev_b64 v[0:1], v0, v[12:13]
	v_sub_nc_u32_e32 v1, 29, v2
	v_and_b32_e32 v0, 7, v0
; %bb.207:                              ;   in Loop: Header=BB299_10 Depth=1
	s_or_b32 exec_lo, exec_lo, s26
	v_lshlrev_b32_e32 v2, 8, v12
	v_lshl_add_u32 v1, v1, 10, 0x2000
	v_lshlrev_b32_e32 v0, 7, v0
	v_and_b32_e32 v2, 0x8000, v2
	v_and_b32_e32 v1, 0xfc00, v1
	v_or3_b32 v0, v2, v1, v0
	buffer_store_dword v0, off, s[0:3], s32 offset:248 ; 4-byte Folded Spill
.LBB299_208:                            ;   in Loop: Header=BB299_10 Depth=1
	s_or_b32 exec_lo, exec_lo, s25
.LBB299_209:                            ;   in Loop: Header=BB299_10 Depth=1
	s_or_b32 exec_lo, exec_lo, s24
.LBB299_210:                            ;   in Loop: Header=BB299_10 Depth=1
	s_or_b32 exec_lo, exec_lo, s8
	v_lshrrev_b16 v18, 8, v12
	s_mov_b32 s8, exec_lo
	v_cmpx_ne_u16_e32 0, v18
	s_cbranch_execz .LBB299_218
; %bb.211:                              ;   in Loop: Header=BB299_10 Depth=1
	v_bfrev_b32_e32 v40, 1
	s_mov_b32 s24, exec_lo
	v_cmpx_ne_u16_e32 0x80, v18
	s_cbranch_execz .LBB299_217
; %bb.212:                              ;   in Loop: Header=BB299_10 Depth=1
	v_mov_b32_e32 v0, 0x7f
	v_mov_b32_e32 v40, 0x7c010000
	s_mov_b32 s25, exec_lo
	v_and_b32_sdwa v2, v18, v0 dst_sel:DWORD dst_unused:UNUSED_PAD src0_sel:WORD_0 src1_sel:DWORD
	v_cmpx_ne_u32_e32 0x7f, v2
	s_cbranch_execz .LBB299_216
; %bb.213:                              ;   in Loop: Header=BB299_10 Depth=1
	v_mov_b32_e32 v0, 7
	v_lshrrev_b32_e32 v1, 3, v2
	s_mov_b32 s26, exec_lo
	v_and_b32_sdwa v0, v18, v0 dst_sel:DWORD dst_unused:UNUSED_PAD src0_sel:WORD_0 src1_sel:DWORD
	v_cmpx_gt_u32_e32 8, v2
; %bb.214:                              ;   in Loop: Header=BB299_10 Depth=1
	v_ffbh_u32_e32 v0, v0
	v_min_u32_e32 v2, 32, v0
	v_subrev_nc_u32_e32 v0, 28, v2
	v_lshlrev_b64 v[0:1], v0, v[18:19]
	v_sub_nc_u32_e32 v1, 29, v2
	v_and_b32_e32 v0, 7, v0
; %bb.215:                              ;   in Loop: Header=BB299_10 Depth=1
	s_or_b32 exec_lo, exec_lo, s26
	v_mov_b32_e32 v2, 8
	v_lshl_add_u32 v1, v1, 10, 0x2000
	v_lshlrev_b32_e32 v0, 23, v0
	v_lshlrev_b32_sdwa v2, v2, v18 dst_sel:DWORD dst_unused:UNUSED_PAD src0_sel:DWORD src1_sel:WORD_0
	v_and_or_b32 v1, 0x8000, v2, v1
	v_lshl_or_b32 v40, v1, 16, v0
.LBB299_216:                            ;   in Loop: Header=BB299_10 Depth=1
	s_or_b32 exec_lo, exec_lo, s25
.LBB299_217:                            ;   in Loop: Header=BB299_10 Depth=1
	s_or_b32 exec_lo, exec_lo, s24
.LBB299_218:                            ;   in Loop: Header=BB299_10 Depth=1
	s_or_b32 exec_lo, exec_lo, s8
	v_lshrrev_b32_e32 v18, 16, v12
	v_mov_b32_e32 v42, 0
	v_mov_b32_e32 v0, 0
	v_cmp_ne_u16_sdwa s7, v18, v19 src0_sel:BYTE_0 src1_sel:DWORD
	buffer_store_dword v0, off, s[0:3], s32 offset:252 ; 4-byte Folded Spill
	s_and_saveexec_b32 s8, s7
	s_cbranch_execz .LBB299_226
; %bb.219:                              ;   in Loop: Header=BB299_10 Depth=1
	v_cmp_ne_u16_sdwa s7, v18, v66 src0_sel:BYTE_0 src1_sel:DWORD
	v_mov_b32_e32 v0, 0x8000
	buffer_store_dword v0, off, s[0:3], s32 offset:252 ; 4-byte Folded Spill
	s_and_saveexec_b32 s24, s7
	s_cbranch_execz .LBB299_225
; %bb.220:                              ;   in Loop: Header=BB299_10 Depth=1
	v_bfe_u32 v2, v12, 16, 7
	v_mov_b32_e32 v0, 0x7c01
	s_mov_b32 s25, exec_lo
	buffer_store_dword v0, off, s[0:3], s32 offset:252 ; 4-byte Folded Spill
	v_cmpx_ne_u32_e32 0x7f, v2
	s_cbranch_execz .LBB299_224
; %bb.221:                              ;   in Loop: Header=BB299_10 Depth=1
	v_and_b32_e32 v0, 7, v18
	v_lshrrev_b32_e32 v1, 3, v2
	s_mov_b32 s26, exec_lo
	v_cmpx_gt_u32_e32 8, v2
; %bb.222:                              ;   in Loop: Header=BB299_10 Depth=1
	v_ffbh_u32_e32 v0, v0
	v_min_u32_e32 v2, 32, v0
	v_subrev_nc_u32_e32 v0, 28, v2
	v_lshlrev_b64 v[0:1], v0, v[18:19]
	v_sub_nc_u32_e32 v1, 29, v2
	v_and_b32_e32 v0, 7, v0
; %bb.223:                              ;   in Loop: Header=BB299_10 Depth=1
	s_or_b32 exec_lo, exec_lo, s26
	v_lshlrev_b32_e32 v2, 8, v18
	v_lshl_add_u32 v1, v1, 10, 0x2000
	v_lshlrev_b32_e32 v0, 7, v0
	v_and_b32_e32 v2, 0x8000, v2
	v_and_b32_e32 v1, 0xfc00, v1
	v_or3_b32 v0, v2, v1, v0
	buffer_store_dword v0, off, s[0:3], s32 offset:252 ; 4-byte Folded Spill
.LBB299_224:                            ;   in Loop: Header=BB299_10 Depth=1
	s_or_b32 exec_lo, exec_lo, s25
.LBB299_225:                            ;   in Loop: Header=BB299_10 Depth=1
	s_or_b32 exec_lo, exec_lo, s24
.LBB299_226:                            ;   in Loop: Header=BB299_10 Depth=1
	s_or_b32 exec_lo, exec_lo, s8
	s_mov_b32 s8, exec_lo
	v_cmpx_lt_u32_e32 0xffffff, v12
	s_cbranch_execz .LBB299_234
; %bb.227:                              ;   in Loop: Header=BB299_10 Depth=1
	v_lshrrev_b32_e32 v18, 24, v12
	v_bfrev_b32_e32 v42, 1
	s_mov_b32 s24, exec_lo
	v_cmpx_ne_u32_e32 0x80, v18
	s_cbranch_execz .LBB299_233
; %bb.228:                              ;   in Loop: Header=BB299_10 Depth=1
	v_and_b32_e32 v2, 0x7f, v18
	v_mov_b32_e32 v42, 0x7c010000
	s_mov_b32 s25, exec_lo
	v_cmpx_ne_u32_e32 0x7f, v2
	s_cbranch_execz .LBB299_232
; %bb.229:                              ;   in Loop: Header=BB299_10 Depth=1
	v_and_b32_e32 v0, 7, v18
	v_lshrrev_b32_e32 v1, 3, v2
	s_mov_b32 s26, exec_lo
	v_cmpx_gt_u32_e32 8, v2
; %bb.230:                              ;   in Loop: Header=BB299_10 Depth=1
	v_ffbh_u32_e32 v0, v0
	v_min_u32_e32 v2, 32, v0
	v_subrev_nc_u32_e32 v0, 28, v2
	v_lshlrev_b64 v[0:1], v0, v[18:19]
	v_sub_nc_u32_e32 v1, 29, v2
	v_and_b32_e32 v0, 7, v0
; %bb.231:                              ;   in Loop: Header=BB299_10 Depth=1
	s_or_b32 exec_lo, exec_lo, s26
	v_lshlrev_b32_e32 v2, 8, v18
	v_lshl_add_u32 v1, v1, 10, 0x2000
	v_lshlrev_b32_e32 v0, 23, v0
	v_and_or_b32 v1, 0x8000, v2, v1
	v_lshl_or_b32 v42, v1, 16, v0
.LBB299_232:                            ;   in Loop: Header=BB299_10 Depth=1
	s_or_b32 exec_lo, exec_lo, s25
.LBB299_233:                            ;   in Loop: Header=BB299_10 Depth=1
	s_or_b32 exec_lo, exec_lo, s24
.LBB299_234:                            ;   in Loop: Header=BB299_10 Depth=1
	s_or_b32 exec_lo, exec_lo, s8
	flat_load_dword v12, v[30:31] offset:776
	v_mov_b32_e32 v44, 0
	v_mov_b32_e32 v45, 0
	s_waitcnt vmcnt(0) lgkmcnt(0)
	v_cmp_ne_u16_sdwa s7, v12, v19 src0_sel:BYTE_0 src1_sel:DWORD
	s_and_saveexec_b32 s8, s7
	s_cbranch_execz .LBB299_242
; %bb.235:                              ;   in Loop: Header=BB299_10 Depth=1
	v_cmp_ne_u16_sdwa s7, v12, v66 src0_sel:BYTE_0 src1_sel:DWORD
	v_mov_b32_e32 v45, 0x8000
	s_and_saveexec_b32 s24, s7
	s_cbranch_execz .LBB299_241
; %bb.236:                              ;   in Loop: Header=BB299_10 Depth=1
	v_and_b32_e32 v2, 0x7f, v12
	v_mov_b32_e32 v45, 0x7c01
	s_mov_b32 s25, exec_lo
	v_cmpx_ne_u32_e32 0x7f, v2
	s_cbranch_execz .LBB299_240
; %bb.237:                              ;   in Loop: Header=BB299_10 Depth=1
	v_and_b32_e32 v0, 7, v12
	v_lshrrev_b32_e32 v1, 3, v2
	s_mov_b32 s26, exec_lo
	v_cmpx_gt_u32_e32 8, v2
; %bb.238:                              ;   in Loop: Header=BB299_10 Depth=1
	v_ffbh_u32_e32 v0, v0
	v_min_u32_e32 v2, 32, v0
	v_subrev_nc_u32_e32 v0, 28, v2
	v_lshlrev_b64 v[0:1], v0, v[12:13]
	v_sub_nc_u32_e32 v1, 29, v2
	v_and_b32_e32 v0, 7, v0
; %bb.239:                              ;   in Loop: Header=BB299_10 Depth=1
	s_or_b32 exec_lo, exec_lo, s26
	v_lshlrev_b32_e32 v2, 8, v12
	v_lshl_add_u32 v1, v1, 10, 0x2000
	v_lshlrev_b32_e32 v0, 7, v0
	v_and_b32_e32 v2, 0x8000, v2
	v_and_b32_e32 v1, 0xfc00, v1
	v_or3_b32 v45, v2, v1, v0
.LBB299_240:                            ;   in Loop: Header=BB299_10 Depth=1
	s_or_b32 exec_lo, exec_lo, s25
.LBB299_241:                            ;   in Loop: Header=BB299_10 Depth=1
	s_or_b32 exec_lo, exec_lo, s24
.LBB299_242:                            ;   in Loop: Header=BB299_10 Depth=1
	s_or_b32 exec_lo, exec_lo, s8
	v_lshrrev_b16 v18, 8, v12
	s_mov_b32 s8, exec_lo
	v_cmpx_ne_u16_e32 0, v18
	s_cbranch_execz .LBB299_250
; %bb.243:                              ;   in Loop: Header=BB299_10 Depth=1
	v_bfrev_b32_e32 v44, 1
	s_mov_b32 s24, exec_lo
	v_cmpx_ne_u16_e32 0x80, v18
	s_cbranch_execz .LBB299_249
; %bb.244:                              ;   in Loop: Header=BB299_10 Depth=1
	v_mov_b32_e32 v0, 0x7f
	v_mov_b32_e32 v44, 0x7c010000
	s_mov_b32 s25, exec_lo
	v_and_b32_sdwa v2, v18, v0 dst_sel:DWORD dst_unused:UNUSED_PAD src0_sel:WORD_0 src1_sel:DWORD
	v_cmpx_ne_u32_e32 0x7f, v2
	s_cbranch_execz .LBB299_248
; %bb.245:                              ;   in Loop: Header=BB299_10 Depth=1
	v_mov_b32_e32 v0, 7
	v_lshrrev_b32_e32 v1, 3, v2
	s_mov_b32 s26, exec_lo
	v_and_b32_sdwa v0, v18, v0 dst_sel:DWORD dst_unused:UNUSED_PAD src0_sel:WORD_0 src1_sel:DWORD
	v_cmpx_gt_u32_e32 8, v2
; %bb.246:                              ;   in Loop: Header=BB299_10 Depth=1
	v_ffbh_u32_e32 v0, v0
	v_min_u32_e32 v2, 32, v0
	v_subrev_nc_u32_e32 v0, 28, v2
	v_lshlrev_b64 v[0:1], v0, v[18:19]
	v_sub_nc_u32_e32 v1, 29, v2
	v_and_b32_e32 v0, 7, v0
; %bb.247:                              ;   in Loop: Header=BB299_10 Depth=1
	s_or_b32 exec_lo, exec_lo, s26
	v_mov_b32_e32 v2, 8
	v_lshl_add_u32 v1, v1, 10, 0x2000
	v_lshlrev_b32_e32 v0, 23, v0
	v_lshlrev_b32_sdwa v2, v2, v18 dst_sel:DWORD dst_unused:UNUSED_PAD src0_sel:DWORD src1_sel:WORD_0
	v_and_or_b32 v1, 0x8000, v2, v1
	v_lshl_or_b32 v44, v1, 16, v0
.LBB299_248:                            ;   in Loop: Header=BB299_10 Depth=1
	s_or_b32 exec_lo, exec_lo, s25
.LBB299_249:                            ;   in Loop: Header=BB299_10 Depth=1
	s_or_b32 exec_lo, exec_lo, s24
.LBB299_250:                            ;   in Loop: Header=BB299_10 Depth=1
	s_or_b32 exec_lo, exec_lo, s8
	v_lshrrev_b32_e32 v18, 16, v12
	v_mov_b32_e32 v46, 0
	v_mov_b32_e32 v47, 0
	v_cmp_ne_u16_sdwa s7, v18, v19 src0_sel:BYTE_0 src1_sel:DWORD
	s_and_saveexec_b32 s8, s7
	s_cbranch_execz .LBB299_258
; %bb.251:                              ;   in Loop: Header=BB299_10 Depth=1
	v_cmp_ne_u16_sdwa s7, v18, v66 src0_sel:BYTE_0 src1_sel:DWORD
	v_mov_b32_e32 v47, 0x8000
	s_and_saveexec_b32 s24, s7
	s_cbranch_execz .LBB299_257
; %bb.252:                              ;   in Loop: Header=BB299_10 Depth=1
	v_bfe_u32 v2, v12, 16, 7
	v_mov_b32_e32 v47, 0x7c01
	s_mov_b32 s25, exec_lo
	v_cmpx_ne_u32_e32 0x7f, v2
	s_cbranch_execz .LBB299_256
; %bb.253:                              ;   in Loop: Header=BB299_10 Depth=1
	v_and_b32_e32 v0, 7, v18
	v_lshrrev_b32_e32 v1, 3, v2
	s_mov_b32 s26, exec_lo
	v_cmpx_gt_u32_e32 8, v2
; %bb.254:                              ;   in Loop: Header=BB299_10 Depth=1
	v_ffbh_u32_e32 v0, v0
	v_min_u32_e32 v2, 32, v0
	v_subrev_nc_u32_e32 v0, 28, v2
	v_lshlrev_b64 v[0:1], v0, v[18:19]
	v_sub_nc_u32_e32 v1, 29, v2
	v_and_b32_e32 v0, 7, v0
; %bb.255:                              ;   in Loop: Header=BB299_10 Depth=1
	s_or_b32 exec_lo, exec_lo, s26
	v_lshlrev_b32_e32 v2, 8, v18
	v_lshl_add_u32 v1, v1, 10, 0x2000
	v_lshlrev_b32_e32 v0, 7, v0
	v_and_b32_e32 v2, 0x8000, v2
	v_and_b32_e32 v1, 0xfc00, v1
	v_or3_b32 v47, v2, v1, v0
.LBB299_256:                            ;   in Loop: Header=BB299_10 Depth=1
	s_or_b32 exec_lo, exec_lo, s25
.LBB299_257:                            ;   in Loop: Header=BB299_10 Depth=1
	s_or_b32 exec_lo, exec_lo, s24
.LBB299_258:                            ;   in Loop: Header=BB299_10 Depth=1
	s_or_b32 exec_lo, exec_lo, s8
	s_mov_b32 s8, exec_lo
	v_cmpx_lt_u32_e32 0xffffff, v12
	s_cbranch_execz .LBB299_266
; %bb.259:                              ;   in Loop: Header=BB299_10 Depth=1
	v_lshrrev_b32_e32 v18, 24, v12
	v_bfrev_b32_e32 v46, 1
	s_mov_b32 s24, exec_lo
	v_cmpx_ne_u32_e32 0x80, v18
	s_cbranch_execz .LBB299_265
; %bb.260:                              ;   in Loop: Header=BB299_10 Depth=1
	v_and_b32_e32 v2, 0x7f, v18
	v_mov_b32_e32 v46, 0x7c010000
	s_mov_b32 s25, exec_lo
	v_cmpx_ne_u32_e32 0x7f, v2
	s_cbranch_execz .LBB299_264
; %bb.261:                              ;   in Loop: Header=BB299_10 Depth=1
	v_and_b32_e32 v0, 7, v18
	v_lshrrev_b32_e32 v1, 3, v2
	s_mov_b32 s26, exec_lo
	v_cmpx_gt_u32_e32 8, v2
; %bb.262:                              ;   in Loop: Header=BB299_10 Depth=1
	v_ffbh_u32_e32 v0, v0
	v_min_u32_e32 v2, 32, v0
	v_subrev_nc_u32_e32 v0, 28, v2
	v_lshlrev_b64 v[0:1], v0, v[18:19]
	v_sub_nc_u32_e32 v1, 29, v2
	v_and_b32_e32 v0, 7, v0
; %bb.263:                              ;   in Loop: Header=BB299_10 Depth=1
	s_or_b32 exec_lo, exec_lo, s26
	v_lshlrev_b32_e32 v2, 8, v18
	v_lshl_add_u32 v1, v1, 10, 0x2000
	v_lshlrev_b32_e32 v0, 23, v0
	v_and_or_b32 v1, 0x8000, v2, v1
	v_lshl_or_b32 v46, v1, 16, v0
.LBB299_264:                            ;   in Loop: Header=BB299_10 Depth=1
	s_or_b32 exec_lo, exec_lo, s25
.LBB299_265:                            ;   in Loop: Header=BB299_10 Depth=1
	s_or_b32 exec_lo, exec_lo, s24
.LBB299_266:                            ;   in Loop: Header=BB299_10 Depth=1
	s_or_b32 exec_lo, exec_lo, s8
	flat_load_dword v12, v[30:31] offset:1024
	v_mov_b32_e32 v56, 0
	v_mov_b32_e32 v57, 0
	s_waitcnt vmcnt(0) lgkmcnt(0)
	v_cmp_ne_u16_sdwa s7, v12, v19 src0_sel:BYTE_0 src1_sel:DWORD
	s_and_saveexec_b32 s8, s7
	s_cbranch_execz .LBB299_274
; %bb.267:                              ;   in Loop: Header=BB299_10 Depth=1
	v_cmp_ne_u16_sdwa s7, v12, v66 src0_sel:BYTE_0 src1_sel:DWORD
	v_mov_b32_e32 v57, 0x8000
	s_and_saveexec_b32 s24, s7
	s_cbranch_execz .LBB299_273
; %bb.268:                              ;   in Loop: Header=BB299_10 Depth=1
	v_and_b32_e32 v2, 0x7f, v12
	v_mov_b32_e32 v57, 0x7c01
	s_mov_b32 s25, exec_lo
	v_cmpx_ne_u32_e32 0x7f, v2
	s_cbranch_execz .LBB299_272
; %bb.269:                              ;   in Loop: Header=BB299_10 Depth=1
	v_and_b32_e32 v0, 7, v12
	v_lshrrev_b32_e32 v1, 3, v2
	s_mov_b32 s26, exec_lo
	v_cmpx_gt_u32_e32 8, v2
; %bb.270:                              ;   in Loop: Header=BB299_10 Depth=1
	v_ffbh_u32_e32 v0, v0
	v_min_u32_e32 v2, 32, v0
	v_subrev_nc_u32_e32 v0, 28, v2
	v_lshlrev_b64 v[0:1], v0, v[12:13]
	v_sub_nc_u32_e32 v1, 29, v2
	v_and_b32_e32 v0, 7, v0
; %bb.271:                              ;   in Loop: Header=BB299_10 Depth=1
	s_or_b32 exec_lo, exec_lo, s26
	v_lshlrev_b32_e32 v2, 8, v12
	v_lshl_add_u32 v1, v1, 10, 0x2000
	v_lshlrev_b32_e32 v0, 7, v0
	v_and_b32_e32 v2, 0x8000, v2
	v_and_b32_e32 v1, 0xfc00, v1
	v_or3_b32 v57, v2, v1, v0
.LBB299_272:                            ;   in Loop: Header=BB299_10 Depth=1
	s_or_b32 exec_lo, exec_lo, s25
.LBB299_273:                            ;   in Loop: Header=BB299_10 Depth=1
	s_or_b32 exec_lo, exec_lo, s24
.LBB299_274:                            ;   in Loop: Header=BB299_10 Depth=1
	s_or_b32 exec_lo, exec_lo, s8
	v_lshrrev_b16 v18, 8, v12
	s_mov_b32 s8, exec_lo
	v_cmpx_ne_u16_e32 0, v18
	s_cbranch_execz .LBB299_282
; %bb.275:                              ;   in Loop: Header=BB299_10 Depth=1
	v_bfrev_b32_e32 v56, 1
	s_mov_b32 s24, exec_lo
	v_cmpx_ne_u16_e32 0x80, v18
	s_cbranch_execz .LBB299_281
; %bb.276:                              ;   in Loop: Header=BB299_10 Depth=1
	v_mov_b32_e32 v0, 0x7f
	v_mov_b32_e32 v56, 0x7c010000
	s_mov_b32 s25, exec_lo
	v_and_b32_sdwa v2, v18, v0 dst_sel:DWORD dst_unused:UNUSED_PAD src0_sel:WORD_0 src1_sel:DWORD
	v_cmpx_ne_u32_e32 0x7f, v2
	s_cbranch_execz .LBB299_280
; %bb.277:                              ;   in Loop: Header=BB299_10 Depth=1
	v_mov_b32_e32 v0, 7
	v_lshrrev_b32_e32 v1, 3, v2
	s_mov_b32 s26, exec_lo
	v_and_b32_sdwa v0, v18, v0 dst_sel:DWORD dst_unused:UNUSED_PAD src0_sel:WORD_0 src1_sel:DWORD
	v_cmpx_gt_u32_e32 8, v2
; %bb.278:                              ;   in Loop: Header=BB299_10 Depth=1
	v_ffbh_u32_e32 v0, v0
	v_min_u32_e32 v2, 32, v0
	v_subrev_nc_u32_e32 v0, 28, v2
	v_lshlrev_b64 v[0:1], v0, v[18:19]
	v_sub_nc_u32_e32 v1, 29, v2
	v_and_b32_e32 v0, 7, v0
; %bb.279:                              ;   in Loop: Header=BB299_10 Depth=1
	s_or_b32 exec_lo, exec_lo, s26
	v_mov_b32_e32 v2, 8
	v_lshl_add_u32 v1, v1, 10, 0x2000
	v_lshlrev_b32_e32 v0, 23, v0
	v_lshlrev_b32_sdwa v2, v2, v18 dst_sel:DWORD dst_unused:UNUSED_PAD src0_sel:DWORD src1_sel:WORD_0
	v_and_or_b32 v1, 0x8000, v2, v1
	v_lshl_or_b32 v56, v1, 16, v0
.LBB299_280:                            ;   in Loop: Header=BB299_10 Depth=1
	s_or_b32 exec_lo, exec_lo, s25
.LBB299_281:                            ;   in Loop: Header=BB299_10 Depth=1
	s_or_b32 exec_lo, exec_lo, s24
.LBB299_282:                            ;   in Loop: Header=BB299_10 Depth=1
	s_or_b32 exec_lo, exec_lo, s8
	v_lshrrev_b32_e32 v18, 16, v12
	v_mov_b32_e32 v58, 0
	v_mov_b32_e32 v59, 0
	v_cmp_ne_u16_sdwa s7, v18, v19 src0_sel:BYTE_0 src1_sel:DWORD
	s_and_saveexec_b32 s8, s7
	s_cbranch_execz .LBB299_290
; %bb.283:                              ;   in Loop: Header=BB299_10 Depth=1
	v_cmp_ne_u16_sdwa s7, v18, v66 src0_sel:BYTE_0 src1_sel:DWORD
	v_mov_b32_e32 v59, 0x8000
	s_and_saveexec_b32 s24, s7
	s_cbranch_execz .LBB299_289
; %bb.284:                              ;   in Loop: Header=BB299_10 Depth=1
	v_bfe_u32 v2, v12, 16, 7
	v_mov_b32_e32 v59, 0x7c01
	s_mov_b32 s25, exec_lo
	v_cmpx_ne_u32_e32 0x7f, v2
	s_cbranch_execz .LBB299_288
; %bb.285:                              ;   in Loop: Header=BB299_10 Depth=1
	v_and_b32_e32 v0, 7, v18
	v_lshrrev_b32_e32 v1, 3, v2
	s_mov_b32 s26, exec_lo
	v_cmpx_gt_u32_e32 8, v2
; %bb.286:                              ;   in Loop: Header=BB299_10 Depth=1
	v_ffbh_u32_e32 v0, v0
	v_min_u32_e32 v2, 32, v0
	v_subrev_nc_u32_e32 v0, 28, v2
	v_lshlrev_b64 v[0:1], v0, v[18:19]
	v_sub_nc_u32_e32 v1, 29, v2
	v_and_b32_e32 v0, 7, v0
; %bb.287:                              ;   in Loop: Header=BB299_10 Depth=1
	s_or_b32 exec_lo, exec_lo, s26
	v_lshlrev_b32_e32 v2, 8, v18
	v_lshl_add_u32 v1, v1, 10, 0x2000
	v_lshlrev_b32_e32 v0, 7, v0
	v_and_b32_e32 v2, 0x8000, v2
	v_and_b32_e32 v1, 0xfc00, v1
	v_or3_b32 v59, v2, v1, v0
.LBB299_288:                            ;   in Loop: Header=BB299_10 Depth=1
	s_or_b32 exec_lo, exec_lo, s25
.LBB299_289:                            ;   in Loop: Header=BB299_10 Depth=1
	s_or_b32 exec_lo, exec_lo, s24
.LBB299_290:                            ;   in Loop: Header=BB299_10 Depth=1
	s_or_b32 exec_lo, exec_lo, s8
	s_mov_b32 s8, exec_lo
	v_cmpx_lt_u32_e32 0xffffff, v12
	s_cbranch_execz .LBB299_298
; %bb.291:                              ;   in Loop: Header=BB299_10 Depth=1
	v_lshrrev_b32_e32 v18, 24, v12
	v_bfrev_b32_e32 v58, 1
	s_mov_b32 s24, exec_lo
	v_cmpx_ne_u32_e32 0x80, v18
	s_cbranch_execz .LBB299_297
; %bb.292:                              ;   in Loop: Header=BB299_10 Depth=1
	v_and_b32_e32 v2, 0x7f, v18
	v_mov_b32_e32 v58, 0x7c010000
	s_mov_b32 s25, exec_lo
	v_cmpx_ne_u32_e32 0x7f, v2
	s_cbranch_execz .LBB299_296
; %bb.293:                              ;   in Loop: Header=BB299_10 Depth=1
	v_and_b32_e32 v0, 7, v18
	v_lshrrev_b32_e32 v1, 3, v2
	s_mov_b32 s26, exec_lo
	v_cmpx_gt_u32_e32 8, v2
; %bb.294:                              ;   in Loop: Header=BB299_10 Depth=1
	v_ffbh_u32_e32 v0, v0
	v_min_u32_e32 v2, 32, v0
	v_subrev_nc_u32_e32 v0, 28, v2
	v_lshlrev_b64 v[0:1], v0, v[18:19]
	v_sub_nc_u32_e32 v1, 29, v2
	v_and_b32_e32 v0, 7, v0
; %bb.295:                              ;   in Loop: Header=BB299_10 Depth=1
	s_or_b32 exec_lo, exec_lo, s26
	v_lshlrev_b32_e32 v2, 8, v18
	v_lshl_add_u32 v1, v1, 10, 0x2000
	v_lshlrev_b32_e32 v0, 23, v0
	v_and_or_b32 v1, 0x8000, v2, v1
	v_lshl_or_b32 v58, v1, 16, v0
.LBB299_296:                            ;   in Loop: Header=BB299_10 Depth=1
	s_or_b32 exec_lo, exec_lo, s25
.LBB299_297:                            ;   in Loop: Header=BB299_10 Depth=1
	s_or_b32 exec_lo, exec_lo, s24
.LBB299_298:                            ;   in Loop: Header=BB299_10 Depth=1
	s_or_b32 exec_lo, exec_lo, s8
	flat_load_dword v12, v[30:31] offset:1032
	v_mov_b32_e32 v60, 0
	v_mov_b32_e32 v61, 0
	s_waitcnt vmcnt(0) lgkmcnt(0)
	v_cmp_ne_u16_sdwa s7, v12, v19 src0_sel:BYTE_0 src1_sel:DWORD
	s_and_saveexec_b32 s8, s7
	s_cbranch_execz .LBB299_306
; %bb.299:                              ;   in Loop: Header=BB299_10 Depth=1
	v_cmp_ne_u16_sdwa s7, v12, v66 src0_sel:BYTE_0 src1_sel:DWORD
	v_mov_b32_e32 v61, 0x8000
	s_and_saveexec_b32 s24, s7
	s_cbranch_execz .LBB299_305
; %bb.300:                              ;   in Loop: Header=BB299_10 Depth=1
	v_and_b32_e32 v2, 0x7f, v12
	v_mov_b32_e32 v61, 0x7c01
	s_mov_b32 s25, exec_lo
	v_cmpx_ne_u32_e32 0x7f, v2
	s_cbranch_execz .LBB299_304
; %bb.301:                              ;   in Loop: Header=BB299_10 Depth=1
	v_and_b32_e32 v0, 7, v12
	v_lshrrev_b32_e32 v1, 3, v2
	s_mov_b32 s26, exec_lo
	v_cmpx_gt_u32_e32 8, v2
; %bb.302:                              ;   in Loop: Header=BB299_10 Depth=1
	v_ffbh_u32_e32 v0, v0
	v_min_u32_e32 v2, 32, v0
	v_subrev_nc_u32_e32 v0, 28, v2
	v_lshlrev_b64 v[0:1], v0, v[12:13]
	v_sub_nc_u32_e32 v1, 29, v2
	v_and_b32_e32 v0, 7, v0
; %bb.303:                              ;   in Loop: Header=BB299_10 Depth=1
	s_or_b32 exec_lo, exec_lo, s26
	v_lshlrev_b32_e32 v2, 8, v12
	v_lshl_add_u32 v1, v1, 10, 0x2000
	v_lshlrev_b32_e32 v0, 7, v0
	v_and_b32_e32 v2, 0x8000, v2
	v_and_b32_e32 v1, 0xfc00, v1
	v_or3_b32 v61, v2, v1, v0
.LBB299_304:                            ;   in Loop: Header=BB299_10 Depth=1
	s_or_b32 exec_lo, exec_lo, s25
.LBB299_305:                            ;   in Loop: Header=BB299_10 Depth=1
	s_or_b32 exec_lo, exec_lo, s24
.LBB299_306:                            ;   in Loop: Header=BB299_10 Depth=1
	s_or_b32 exec_lo, exec_lo, s8
	v_lshrrev_b16 v18, 8, v12
	s_mov_b32 s8, exec_lo
	v_cmpx_ne_u16_e32 0, v18
	s_cbranch_execz .LBB299_314
; %bb.307:                              ;   in Loop: Header=BB299_10 Depth=1
	v_bfrev_b32_e32 v60, 1
	s_mov_b32 s24, exec_lo
	v_cmpx_ne_u16_e32 0x80, v18
	s_cbranch_execz .LBB299_313
; %bb.308:                              ;   in Loop: Header=BB299_10 Depth=1
	v_mov_b32_e32 v0, 0x7f
	v_mov_b32_e32 v60, 0x7c010000
	s_mov_b32 s25, exec_lo
	v_and_b32_sdwa v2, v18, v0 dst_sel:DWORD dst_unused:UNUSED_PAD src0_sel:WORD_0 src1_sel:DWORD
	v_cmpx_ne_u32_e32 0x7f, v2
	s_cbranch_execz .LBB299_312
; %bb.309:                              ;   in Loop: Header=BB299_10 Depth=1
	v_mov_b32_e32 v0, 7
	v_lshrrev_b32_e32 v1, 3, v2
	s_mov_b32 s26, exec_lo
	v_and_b32_sdwa v0, v18, v0 dst_sel:DWORD dst_unused:UNUSED_PAD src0_sel:WORD_0 src1_sel:DWORD
	v_cmpx_gt_u32_e32 8, v2
; %bb.310:                              ;   in Loop: Header=BB299_10 Depth=1
	v_ffbh_u32_e32 v0, v0
	v_min_u32_e32 v2, 32, v0
	v_subrev_nc_u32_e32 v0, 28, v2
	v_lshlrev_b64 v[0:1], v0, v[18:19]
	v_sub_nc_u32_e32 v1, 29, v2
	v_and_b32_e32 v0, 7, v0
; %bb.311:                              ;   in Loop: Header=BB299_10 Depth=1
	s_or_b32 exec_lo, exec_lo, s26
	v_mov_b32_e32 v2, 8
	v_lshl_add_u32 v1, v1, 10, 0x2000
	v_lshlrev_b32_e32 v0, 23, v0
	v_lshlrev_b32_sdwa v2, v2, v18 dst_sel:DWORD dst_unused:UNUSED_PAD src0_sel:DWORD src1_sel:WORD_0
	v_and_or_b32 v1, 0x8000, v2, v1
	v_lshl_or_b32 v60, v1, 16, v0
.LBB299_312:                            ;   in Loop: Header=BB299_10 Depth=1
	s_or_b32 exec_lo, exec_lo, s25
.LBB299_313:                            ;   in Loop: Header=BB299_10 Depth=1
	s_or_b32 exec_lo, exec_lo, s24
.LBB299_314:                            ;   in Loop: Header=BB299_10 Depth=1
	s_or_b32 exec_lo, exec_lo, s8
	v_lshrrev_b32_e32 v18, 16, v12
	v_mov_b32_e32 v62, 0
	v_mov_b32_e32 v63, 0
	v_cmp_ne_u16_sdwa s7, v18, v19 src0_sel:BYTE_0 src1_sel:DWORD
	s_and_saveexec_b32 s8, s7
	s_cbranch_execz .LBB299_322
; %bb.315:                              ;   in Loop: Header=BB299_10 Depth=1
	v_cmp_ne_u16_sdwa s7, v18, v66 src0_sel:BYTE_0 src1_sel:DWORD
	v_mov_b32_e32 v63, 0x8000
	s_and_saveexec_b32 s24, s7
	s_cbranch_execz .LBB299_321
; %bb.316:                              ;   in Loop: Header=BB299_10 Depth=1
	v_bfe_u32 v2, v12, 16, 7
	v_mov_b32_e32 v63, 0x7c01
	s_mov_b32 s25, exec_lo
	v_cmpx_ne_u32_e32 0x7f, v2
	s_cbranch_execz .LBB299_320
; %bb.317:                              ;   in Loop: Header=BB299_10 Depth=1
	v_and_b32_e32 v0, 7, v18
	v_lshrrev_b32_e32 v1, 3, v2
	s_mov_b32 s26, exec_lo
	v_cmpx_gt_u32_e32 8, v2
; %bb.318:                              ;   in Loop: Header=BB299_10 Depth=1
	v_ffbh_u32_e32 v0, v0
	v_min_u32_e32 v2, 32, v0
	v_subrev_nc_u32_e32 v0, 28, v2
	v_lshlrev_b64 v[0:1], v0, v[18:19]
	v_sub_nc_u32_e32 v1, 29, v2
	v_and_b32_e32 v0, 7, v0
; %bb.319:                              ;   in Loop: Header=BB299_10 Depth=1
	s_or_b32 exec_lo, exec_lo, s26
	v_lshlrev_b32_e32 v2, 8, v18
	v_lshl_add_u32 v1, v1, 10, 0x2000
	v_lshlrev_b32_e32 v0, 7, v0
	v_and_b32_e32 v2, 0x8000, v2
	v_and_b32_e32 v1, 0xfc00, v1
	v_or3_b32 v63, v2, v1, v0
.LBB299_320:                            ;   in Loop: Header=BB299_10 Depth=1
	s_or_b32 exec_lo, exec_lo, s25
.LBB299_321:                            ;   in Loop: Header=BB299_10 Depth=1
	s_or_b32 exec_lo, exec_lo, s24
.LBB299_322:                            ;   in Loop: Header=BB299_10 Depth=1
	s_or_b32 exec_lo, exec_lo, s8
	s_mov_b32 s8, exec_lo
	v_cmpx_lt_u32_e32 0xffffff, v12
	s_cbranch_execz .LBB299_330
; %bb.323:                              ;   in Loop: Header=BB299_10 Depth=1
	v_lshrrev_b32_e32 v18, 24, v12
	v_bfrev_b32_e32 v62, 1
	s_mov_b32 s24, exec_lo
	v_cmpx_ne_u32_e32 0x80, v18
	s_cbranch_execz .LBB299_329
; %bb.324:                              ;   in Loop: Header=BB299_10 Depth=1
	v_and_b32_e32 v2, 0x7f, v18
	v_mov_b32_e32 v62, 0x7c010000
	s_mov_b32 s25, exec_lo
	v_cmpx_ne_u32_e32 0x7f, v2
	s_cbranch_execz .LBB299_328
; %bb.325:                              ;   in Loop: Header=BB299_10 Depth=1
	v_and_b32_e32 v0, 7, v18
	v_lshrrev_b32_e32 v1, 3, v2
	s_mov_b32 s26, exec_lo
	v_cmpx_gt_u32_e32 8, v2
; %bb.326:                              ;   in Loop: Header=BB299_10 Depth=1
	v_ffbh_u32_e32 v0, v0
	v_min_u32_e32 v2, 32, v0
	v_subrev_nc_u32_e32 v0, 28, v2
	v_lshlrev_b64 v[0:1], v0, v[18:19]
	v_sub_nc_u32_e32 v1, 29, v2
	v_and_b32_e32 v0, 7, v0
; %bb.327:                              ;   in Loop: Header=BB299_10 Depth=1
	s_or_b32 exec_lo, exec_lo, s26
	v_lshlrev_b32_e32 v2, 8, v18
	v_lshl_add_u32 v1, v1, 10, 0x2000
	v_lshlrev_b32_e32 v0, 23, v0
	v_and_or_b32 v1, 0x8000, v2, v1
	v_lshl_or_b32 v62, v1, 16, v0
.LBB299_328:                            ;   in Loop: Header=BB299_10 Depth=1
	s_or_b32 exec_lo, exec_lo, s25
.LBB299_329:                            ;   in Loop: Header=BB299_10 Depth=1
	s_or_b32 exec_lo, exec_lo, s24
.LBB299_330:                            ;   in Loop: Header=BB299_10 Depth=1
	s_or_b32 exec_lo, exec_lo, s8
	flat_load_dword v12, v[30:31] offset:1280
	v_mov_b32_e32 v72, 0
	v_mov_b32_e32 v73, 0
	s_waitcnt vmcnt(0) lgkmcnt(0)
	v_cmp_ne_u16_sdwa s7, v12, v19 src0_sel:BYTE_0 src1_sel:DWORD
	s_and_saveexec_b32 s8, s7
	s_cbranch_execz .LBB299_338
; %bb.331:                              ;   in Loop: Header=BB299_10 Depth=1
	v_cmp_ne_u16_sdwa s7, v12, v66 src0_sel:BYTE_0 src1_sel:DWORD
	v_mov_b32_e32 v73, 0x8000
	s_and_saveexec_b32 s24, s7
	s_cbranch_execz .LBB299_337
; %bb.332:                              ;   in Loop: Header=BB299_10 Depth=1
	v_and_b32_e32 v2, 0x7f, v12
	v_mov_b32_e32 v73, 0x7c01
	s_mov_b32 s25, exec_lo
	v_cmpx_ne_u32_e32 0x7f, v2
	s_cbranch_execz .LBB299_336
; %bb.333:                              ;   in Loop: Header=BB299_10 Depth=1
	v_and_b32_e32 v0, 7, v12
	v_lshrrev_b32_e32 v1, 3, v2
	s_mov_b32 s26, exec_lo
	v_cmpx_gt_u32_e32 8, v2
; %bb.334:                              ;   in Loop: Header=BB299_10 Depth=1
	v_ffbh_u32_e32 v0, v0
	v_min_u32_e32 v2, 32, v0
	v_subrev_nc_u32_e32 v0, 28, v2
	v_lshlrev_b64 v[0:1], v0, v[12:13]
	v_sub_nc_u32_e32 v1, 29, v2
	v_and_b32_e32 v0, 7, v0
; %bb.335:                              ;   in Loop: Header=BB299_10 Depth=1
	s_or_b32 exec_lo, exec_lo, s26
	v_lshlrev_b32_e32 v2, 8, v12
	v_lshl_add_u32 v1, v1, 10, 0x2000
	v_lshlrev_b32_e32 v0, 7, v0
	v_and_b32_e32 v2, 0x8000, v2
	v_and_b32_e32 v1, 0xfc00, v1
	v_or3_b32 v73, v2, v1, v0
.LBB299_336:                            ;   in Loop: Header=BB299_10 Depth=1
	s_or_b32 exec_lo, exec_lo, s25
.LBB299_337:                            ;   in Loop: Header=BB299_10 Depth=1
	s_or_b32 exec_lo, exec_lo, s24
.LBB299_338:                            ;   in Loop: Header=BB299_10 Depth=1
	s_or_b32 exec_lo, exec_lo, s8
	v_lshrrev_b16 v18, 8, v12
	s_mov_b32 s8, exec_lo
	v_cmpx_ne_u16_e32 0, v18
	s_cbranch_execz .LBB299_346
; %bb.339:                              ;   in Loop: Header=BB299_10 Depth=1
	v_bfrev_b32_e32 v72, 1
	s_mov_b32 s24, exec_lo
	v_cmpx_ne_u16_e32 0x80, v18
	s_cbranch_execz .LBB299_345
; %bb.340:                              ;   in Loop: Header=BB299_10 Depth=1
	v_mov_b32_e32 v0, 0x7f
	v_mov_b32_e32 v72, 0x7c010000
	s_mov_b32 s25, exec_lo
	v_and_b32_sdwa v2, v18, v0 dst_sel:DWORD dst_unused:UNUSED_PAD src0_sel:WORD_0 src1_sel:DWORD
	v_cmpx_ne_u32_e32 0x7f, v2
	s_cbranch_execz .LBB299_344
; %bb.341:                              ;   in Loop: Header=BB299_10 Depth=1
	v_mov_b32_e32 v0, 7
	v_lshrrev_b32_e32 v1, 3, v2
	s_mov_b32 s26, exec_lo
	v_and_b32_sdwa v0, v18, v0 dst_sel:DWORD dst_unused:UNUSED_PAD src0_sel:WORD_0 src1_sel:DWORD
	v_cmpx_gt_u32_e32 8, v2
; %bb.342:                              ;   in Loop: Header=BB299_10 Depth=1
	v_ffbh_u32_e32 v0, v0
	v_min_u32_e32 v2, 32, v0
	v_subrev_nc_u32_e32 v0, 28, v2
	v_lshlrev_b64 v[0:1], v0, v[18:19]
	v_sub_nc_u32_e32 v1, 29, v2
	v_and_b32_e32 v0, 7, v0
; %bb.343:                              ;   in Loop: Header=BB299_10 Depth=1
	s_or_b32 exec_lo, exec_lo, s26
	v_mov_b32_e32 v2, 8
	v_lshl_add_u32 v1, v1, 10, 0x2000
	v_lshlrev_b32_e32 v0, 23, v0
	v_lshlrev_b32_sdwa v2, v2, v18 dst_sel:DWORD dst_unused:UNUSED_PAD src0_sel:DWORD src1_sel:WORD_0
	v_and_or_b32 v1, 0x8000, v2, v1
	v_lshl_or_b32 v72, v1, 16, v0
.LBB299_344:                            ;   in Loop: Header=BB299_10 Depth=1
	s_or_b32 exec_lo, exec_lo, s25
.LBB299_345:                            ;   in Loop: Header=BB299_10 Depth=1
	s_or_b32 exec_lo, exec_lo, s24
.LBB299_346:                            ;   in Loop: Header=BB299_10 Depth=1
	s_or_b32 exec_lo, exec_lo, s8
	v_lshrrev_b32_e32 v18, 16, v12
	v_mov_b32_e32 v74, 0
	v_mov_b32_e32 v75, 0
	v_cmp_ne_u16_sdwa s7, v18, v19 src0_sel:BYTE_0 src1_sel:DWORD
	s_and_saveexec_b32 s8, s7
	s_cbranch_execz .LBB299_354
; %bb.347:                              ;   in Loop: Header=BB299_10 Depth=1
	v_cmp_ne_u16_sdwa s7, v18, v66 src0_sel:BYTE_0 src1_sel:DWORD
	v_mov_b32_e32 v75, 0x8000
	s_and_saveexec_b32 s24, s7
	s_cbranch_execz .LBB299_353
; %bb.348:                              ;   in Loop: Header=BB299_10 Depth=1
	v_bfe_u32 v2, v12, 16, 7
	v_mov_b32_e32 v75, 0x7c01
	s_mov_b32 s25, exec_lo
	v_cmpx_ne_u32_e32 0x7f, v2
	s_cbranch_execz .LBB299_352
; %bb.349:                              ;   in Loop: Header=BB299_10 Depth=1
	v_and_b32_e32 v0, 7, v18
	v_lshrrev_b32_e32 v1, 3, v2
	s_mov_b32 s26, exec_lo
	v_cmpx_gt_u32_e32 8, v2
; %bb.350:                              ;   in Loop: Header=BB299_10 Depth=1
	v_ffbh_u32_e32 v0, v0
	v_min_u32_e32 v2, 32, v0
	v_subrev_nc_u32_e32 v0, 28, v2
	v_lshlrev_b64 v[0:1], v0, v[18:19]
	v_sub_nc_u32_e32 v1, 29, v2
	v_and_b32_e32 v0, 7, v0
; %bb.351:                              ;   in Loop: Header=BB299_10 Depth=1
	s_or_b32 exec_lo, exec_lo, s26
	v_lshlrev_b32_e32 v2, 8, v18
	v_lshl_add_u32 v1, v1, 10, 0x2000
	v_lshlrev_b32_e32 v0, 7, v0
	v_and_b32_e32 v2, 0x8000, v2
	v_and_b32_e32 v1, 0xfc00, v1
	v_or3_b32 v75, v2, v1, v0
.LBB299_352:                            ;   in Loop: Header=BB299_10 Depth=1
	s_or_b32 exec_lo, exec_lo, s25
.LBB299_353:                            ;   in Loop: Header=BB299_10 Depth=1
	s_or_b32 exec_lo, exec_lo, s24
.LBB299_354:                            ;   in Loop: Header=BB299_10 Depth=1
	s_or_b32 exec_lo, exec_lo, s8
	s_mov_b32 s8, exec_lo
	v_cmpx_lt_u32_e32 0xffffff, v12
	s_cbranch_execz .LBB299_362
; %bb.355:                              ;   in Loop: Header=BB299_10 Depth=1
	v_lshrrev_b32_e32 v18, 24, v12
	v_bfrev_b32_e32 v74, 1
	s_mov_b32 s24, exec_lo
	v_cmpx_ne_u32_e32 0x80, v18
	s_cbranch_execz .LBB299_361
; %bb.356:                              ;   in Loop: Header=BB299_10 Depth=1
	v_and_b32_e32 v2, 0x7f, v18
	v_mov_b32_e32 v74, 0x7c010000
	s_mov_b32 s25, exec_lo
	v_cmpx_ne_u32_e32 0x7f, v2
	s_cbranch_execz .LBB299_360
; %bb.357:                              ;   in Loop: Header=BB299_10 Depth=1
	v_and_b32_e32 v0, 7, v18
	v_lshrrev_b32_e32 v1, 3, v2
	s_mov_b32 s26, exec_lo
	v_cmpx_gt_u32_e32 8, v2
; %bb.358:                              ;   in Loop: Header=BB299_10 Depth=1
	v_ffbh_u32_e32 v0, v0
	v_min_u32_e32 v2, 32, v0
	v_subrev_nc_u32_e32 v0, 28, v2
	v_lshlrev_b64 v[0:1], v0, v[18:19]
	v_sub_nc_u32_e32 v1, 29, v2
	v_and_b32_e32 v0, 7, v0
; %bb.359:                              ;   in Loop: Header=BB299_10 Depth=1
	s_or_b32 exec_lo, exec_lo, s26
	v_lshlrev_b32_e32 v2, 8, v18
	v_lshl_add_u32 v1, v1, 10, 0x2000
	v_lshlrev_b32_e32 v0, 23, v0
	v_and_or_b32 v1, 0x8000, v2, v1
	v_lshl_or_b32 v74, v1, 16, v0
.LBB299_360:                            ;   in Loop: Header=BB299_10 Depth=1
	s_or_b32 exec_lo, exec_lo, s25
.LBB299_361:                            ;   in Loop: Header=BB299_10 Depth=1
	s_or_b32 exec_lo, exec_lo, s24
.LBB299_362:                            ;   in Loop: Header=BB299_10 Depth=1
	s_or_b32 exec_lo, exec_lo, s8
	flat_load_dword v12, v[30:31] offset:1288
	v_mov_b32_e32 v76, 0
	v_mov_b32_e32 v77, 0
	s_waitcnt vmcnt(0) lgkmcnt(0)
	v_cmp_ne_u16_sdwa s7, v12, v19 src0_sel:BYTE_0 src1_sel:DWORD
	s_and_saveexec_b32 s8, s7
	s_cbranch_execz .LBB299_370
; %bb.363:                              ;   in Loop: Header=BB299_10 Depth=1
	v_cmp_ne_u16_sdwa s7, v12, v66 src0_sel:BYTE_0 src1_sel:DWORD
	v_mov_b32_e32 v77, 0x8000
	s_and_saveexec_b32 s24, s7
	s_cbranch_execz .LBB299_369
; %bb.364:                              ;   in Loop: Header=BB299_10 Depth=1
	v_and_b32_e32 v2, 0x7f, v12
	v_mov_b32_e32 v77, 0x7c01
	s_mov_b32 s25, exec_lo
	v_cmpx_ne_u32_e32 0x7f, v2
	s_cbranch_execz .LBB299_368
; %bb.365:                              ;   in Loop: Header=BB299_10 Depth=1
	v_and_b32_e32 v0, 7, v12
	v_lshrrev_b32_e32 v1, 3, v2
	s_mov_b32 s26, exec_lo
	v_cmpx_gt_u32_e32 8, v2
; %bb.366:                              ;   in Loop: Header=BB299_10 Depth=1
	v_ffbh_u32_e32 v0, v0
	v_min_u32_e32 v2, 32, v0
	v_subrev_nc_u32_e32 v0, 28, v2
	v_lshlrev_b64 v[0:1], v0, v[12:13]
	v_sub_nc_u32_e32 v1, 29, v2
	v_and_b32_e32 v0, 7, v0
; %bb.367:                              ;   in Loop: Header=BB299_10 Depth=1
	s_or_b32 exec_lo, exec_lo, s26
	v_lshlrev_b32_e32 v2, 8, v12
	v_lshl_add_u32 v1, v1, 10, 0x2000
	v_lshlrev_b32_e32 v0, 7, v0
	v_and_b32_e32 v2, 0x8000, v2
	v_and_b32_e32 v1, 0xfc00, v1
	v_or3_b32 v77, v2, v1, v0
.LBB299_368:                            ;   in Loop: Header=BB299_10 Depth=1
	s_or_b32 exec_lo, exec_lo, s25
.LBB299_369:                            ;   in Loop: Header=BB299_10 Depth=1
	s_or_b32 exec_lo, exec_lo, s24
.LBB299_370:                            ;   in Loop: Header=BB299_10 Depth=1
	s_or_b32 exec_lo, exec_lo, s8
	v_lshrrev_b16 v18, 8, v12
	s_mov_b32 s8, exec_lo
	v_cmpx_ne_u16_e32 0, v18
	s_cbranch_execz .LBB299_378
; %bb.371:                              ;   in Loop: Header=BB299_10 Depth=1
	v_bfrev_b32_e32 v76, 1
	s_mov_b32 s24, exec_lo
	v_cmpx_ne_u16_e32 0x80, v18
	s_cbranch_execz .LBB299_377
; %bb.372:                              ;   in Loop: Header=BB299_10 Depth=1
	v_mov_b32_e32 v0, 0x7f
	v_mov_b32_e32 v76, 0x7c010000
	s_mov_b32 s25, exec_lo
	v_and_b32_sdwa v2, v18, v0 dst_sel:DWORD dst_unused:UNUSED_PAD src0_sel:WORD_0 src1_sel:DWORD
	v_cmpx_ne_u32_e32 0x7f, v2
	s_cbranch_execz .LBB299_376
; %bb.373:                              ;   in Loop: Header=BB299_10 Depth=1
	v_mov_b32_e32 v0, 7
	v_lshrrev_b32_e32 v1, 3, v2
	s_mov_b32 s26, exec_lo
	v_and_b32_sdwa v0, v18, v0 dst_sel:DWORD dst_unused:UNUSED_PAD src0_sel:WORD_0 src1_sel:DWORD
	v_cmpx_gt_u32_e32 8, v2
; %bb.374:                              ;   in Loop: Header=BB299_10 Depth=1
	v_ffbh_u32_e32 v0, v0
	v_min_u32_e32 v2, 32, v0
	v_subrev_nc_u32_e32 v0, 28, v2
	v_lshlrev_b64 v[0:1], v0, v[18:19]
	v_sub_nc_u32_e32 v1, 29, v2
	v_and_b32_e32 v0, 7, v0
; %bb.375:                              ;   in Loop: Header=BB299_10 Depth=1
	s_or_b32 exec_lo, exec_lo, s26
	v_mov_b32_e32 v2, 8
	v_lshl_add_u32 v1, v1, 10, 0x2000
	v_lshlrev_b32_e32 v0, 23, v0
	v_lshlrev_b32_sdwa v2, v2, v18 dst_sel:DWORD dst_unused:UNUSED_PAD src0_sel:DWORD src1_sel:WORD_0
	v_and_or_b32 v1, 0x8000, v2, v1
	v_lshl_or_b32 v76, v1, 16, v0
.LBB299_376:                            ;   in Loop: Header=BB299_10 Depth=1
	s_or_b32 exec_lo, exec_lo, s25
.LBB299_377:                            ;   in Loop: Header=BB299_10 Depth=1
	s_or_b32 exec_lo, exec_lo, s24
.LBB299_378:                            ;   in Loop: Header=BB299_10 Depth=1
	s_or_b32 exec_lo, exec_lo, s8
	v_lshrrev_b32_e32 v18, 16, v12
	v_mov_b32_e32 v78, 0
	v_mov_b32_e32 v79, 0
	v_cmp_ne_u16_sdwa s7, v18, v19 src0_sel:BYTE_0 src1_sel:DWORD
	s_and_saveexec_b32 s8, s7
	s_cbranch_execz .LBB299_386
; %bb.379:                              ;   in Loop: Header=BB299_10 Depth=1
	v_cmp_ne_u16_sdwa s7, v18, v66 src0_sel:BYTE_0 src1_sel:DWORD
	v_mov_b32_e32 v79, 0x8000
	s_and_saveexec_b32 s24, s7
	s_cbranch_execz .LBB299_385
; %bb.380:                              ;   in Loop: Header=BB299_10 Depth=1
	v_bfe_u32 v2, v12, 16, 7
	v_mov_b32_e32 v79, 0x7c01
	s_mov_b32 s25, exec_lo
	v_cmpx_ne_u32_e32 0x7f, v2
	s_cbranch_execz .LBB299_384
; %bb.381:                              ;   in Loop: Header=BB299_10 Depth=1
	v_and_b32_e32 v0, 7, v18
	v_lshrrev_b32_e32 v1, 3, v2
	s_mov_b32 s26, exec_lo
	v_cmpx_gt_u32_e32 8, v2
; %bb.382:                              ;   in Loop: Header=BB299_10 Depth=1
	v_ffbh_u32_e32 v0, v0
	v_min_u32_e32 v2, 32, v0
	v_subrev_nc_u32_e32 v0, 28, v2
	v_lshlrev_b64 v[0:1], v0, v[18:19]
	v_sub_nc_u32_e32 v1, 29, v2
	v_and_b32_e32 v0, 7, v0
; %bb.383:                              ;   in Loop: Header=BB299_10 Depth=1
	s_or_b32 exec_lo, exec_lo, s26
	v_lshlrev_b32_e32 v2, 8, v18
	v_lshl_add_u32 v1, v1, 10, 0x2000
	v_lshlrev_b32_e32 v0, 7, v0
	v_and_b32_e32 v2, 0x8000, v2
	v_and_b32_e32 v1, 0xfc00, v1
	v_or3_b32 v79, v2, v1, v0
.LBB299_384:                            ;   in Loop: Header=BB299_10 Depth=1
	s_or_b32 exec_lo, exec_lo, s25
.LBB299_385:                            ;   in Loop: Header=BB299_10 Depth=1
	s_or_b32 exec_lo, exec_lo, s24
.LBB299_386:                            ;   in Loop: Header=BB299_10 Depth=1
	s_or_b32 exec_lo, exec_lo, s8
	s_mov_b32 s8, exec_lo
	v_cmpx_lt_u32_e32 0xffffff, v12
	s_cbranch_execz .LBB299_394
; %bb.387:                              ;   in Loop: Header=BB299_10 Depth=1
	v_lshrrev_b32_e32 v18, 24, v12
	v_bfrev_b32_e32 v78, 1
	s_mov_b32 s24, exec_lo
	v_cmpx_ne_u32_e32 0x80, v18
	s_cbranch_execz .LBB299_393
; %bb.388:                              ;   in Loop: Header=BB299_10 Depth=1
	v_and_b32_e32 v2, 0x7f, v18
	v_mov_b32_e32 v78, 0x7c010000
	s_mov_b32 s25, exec_lo
	v_cmpx_ne_u32_e32 0x7f, v2
	s_cbranch_execz .LBB299_392
; %bb.389:                              ;   in Loop: Header=BB299_10 Depth=1
	v_and_b32_e32 v0, 7, v18
	v_lshrrev_b32_e32 v1, 3, v2
	s_mov_b32 s26, exec_lo
	v_cmpx_gt_u32_e32 8, v2
; %bb.390:                              ;   in Loop: Header=BB299_10 Depth=1
	v_ffbh_u32_e32 v0, v0
	v_min_u32_e32 v2, 32, v0
	v_subrev_nc_u32_e32 v0, 28, v2
	v_lshlrev_b64 v[0:1], v0, v[18:19]
	v_sub_nc_u32_e32 v1, 29, v2
	v_and_b32_e32 v0, 7, v0
; %bb.391:                              ;   in Loop: Header=BB299_10 Depth=1
	s_or_b32 exec_lo, exec_lo, s26
	v_lshlrev_b32_e32 v2, 8, v18
	v_lshl_add_u32 v1, v1, 10, 0x2000
	v_lshlrev_b32_e32 v0, 23, v0
	v_and_or_b32 v1, 0x8000, v2, v1
	v_lshl_or_b32 v78, v1, 16, v0
.LBB299_392:                            ;   in Loop: Header=BB299_10 Depth=1
	s_or_b32 exec_lo, exec_lo, s25
.LBB299_393:                            ;   in Loop: Header=BB299_10 Depth=1
	s_or_b32 exec_lo, exec_lo, s24
.LBB299_394:                            ;   in Loop: Header=BB299_10 Depth=1
	s_or_b32 exec_lo, exec_lo, s8
	flat_load_dword v12, v[30:31] offset:1536
	v_mov_b32_e32 v88, 0
	v_mov_b32_e32 v89, 0
	s_waitcnt vmcnt(0) lgkmcnt(0)
	v_cmp_ne_u16_sdwa s7, v12, v19 src0_sel:BYTE_0 src1_sel:DWORD
	s_and_saveexec_b32 s8, s7
	s_cbranch_execz .LBB299_402
; %bb.395:                              ;   in Loop: Header=BB299_10 Depth=1
	v_cmp_ne_u16_sdwa s7, v12, v66 src0_sel:BYTE_0 src1_sel:DWORD
	v_mov_b32_e32 v89, 0x8000
	s_and_saveexec_b32 s24, s7
	s_cbranch_execz .LBB299_401
; %bb.396:                              ;   in Loop: Header=BB299_10 Depth=1
	v_and_b32_e32 v2, 0x7f, v12
	v_mov_b32_e32 v89, 0x7c01
	s_mov_b32 s25, exec_lo
	v_cmpx_ne_u32_e32 0x7f, v2
	s_cbranch_execz .LBB299_400
; %bb.397:                              ;   in Loop: Header=BB299_10 Depth=1
	v_and_b32_e32 v0, 7, v12
	v_lshrrev_b32_e32 v1, 3, v2
	s_mov_b32 s26, exec_lo
	v_cmpx_gt_u32_e32 8, v2
; %bb.398:                              ;   in Loop: Header=BB299_10 Depth=1
	v_ffbh_u32_e32 v0, v0
	v_min_u32_e32 v2, 32, v0
	v_subrev_nc_u32_e32 v0, 28, v2
	v_lshlrev_b64 v[0:1], v0, v[12:13]
	v_sub_nc_u32_e32 v1, 29, v2
	v_and_b32_e32 v0, 7, v0
; %bb.399:                              ;   in Loop: Header=BB299_10 Depth=1
	s_or_b32 exec_lo, exec_lo, s26
	v_lshlrev_b32_e32 v2, 8, v12
	v_lshl_add_u32 v1, v1, 10, 0x2000
	v_lshlrev_b32_e32 v0, 7, v0
	v_and_b32_e32 v2, 0x8000, v2
	v_and_b32_e32 v1, 0xfc00, v1
	v_or3_b32 v89, v2, v1, v0
.LBB299_400:                            ;   in Loop: Header=BB299_10 Depth=1
	s_or_b32 exec_lo, exec_lo, s25
.LBB299_401:                            ;   in Loop: Header=BB299_10 Depth=1
	s_or_b32 exec_lo, exec_lo, s24
.LBB299_402:                            ;   in Loop: Header=BB299_10 Depth=1
	s_or_b32 exec_lo, exec_lo, s8
	v_lshrrev_b16 v18, 8, v12
	s_mov_b32 s8, exec_lo
	v_cmpx_ne_u16_e32 0, v18
	s_cbranch_execz .LBB299_410
; %bb.403:                              ;   in Loop: Header=BB299_10 Depth=1
	v_bfrev_b32_e32 v88, 1
	s_mov_b32 s24, exec_lo
	v_cmpx_ne_u16_e32 0x80, v18
	s_cbranch_execz .LBB299_409
; %bb.404:                              ;   in Loop: Header=BB299_10 Depth=1
	v_mov_b32_e32 v0, 0x7f
	v_mov_b32_e32 v88, 0x7c010000
	s_mov_b32 s25, exec_lo
	v_and_b32_sdwa v2, v18, v0 dst_sel:DWORD dst_unused:UNUSED_PAD src0_sel:WORD_0 src1_sel:DWORD
	v_cmpx_ne_u32_e32 0x7f, v2
	s_cbranch_execz .LBB299_408
; %bb.405:                              ;   in Loop: Header=BB299_10 Depth=1
	v_mov_b32_e32 v0, 7
	v_lshrrev_b32_e32 v1, 3, v2
	s_mov_b32 s26, exec_lo
	v_and_b32_sdwa v0, v18, v0 dst_sel:DWORD dst_unused:UNUSED_PAD src0_sel:WORD_0 src1_sel:DWORD
	v_cmpx_gt_u32_e32 8, v2
; %bb.406:                              ;   in Loop: Header=BB299_10 Depth=1
	v_ffbh_u32_e32 v0, v0
	v_min_u32_e32 v2, 32, v0
	v_subrev_nc_u32_e32 v0, 28, v2
	v_lshlrev_b64 v[0:1], v0, v[18:19]
	v_sub_nc_u32_e32 v1, 29, v2
	v_and_b32_e32 v0, 7, v0
; %bb.407:                              ;   in Loop: Header=BB299_10 Depth=1
	s_or_b32 exec_lo, exec_lo, s26
	v_mov_b32_e32 v2, 8
	v_lshl_add_u32 v1, v1, 10, 0x2000
	v_lshlrev_b32_e32 v0, 23, v0
	v_lshlrev_b32_sdwa v2, v2, v18 dst_sel:DWORD dst_unused:UNUSED_PAD src0_sel:DWORD src1_sel:WORD_0
	v_and_or_b32 v1, 0x8000, v2, v1
	v_lshl_or_b32 v88, v1, 16, v0
.LBB299_408:                            ;   in Loop: Header=BB299_10 Depth=1
	s_or_b32 exec_lo, exec_lo, s25
.LBB299_409:                            ;   in Loop: Header=BB299_10 Depth=1
	s_or_b32 exec_lo, exec_lo, s24
.LBB299_410:                            ;   in Loop: Header=BB299_10 Depth=1
	s_or_b32 exec_lo, exec_lo, s8
	v_lshrrev_b32_e32 v18, 16, v12
	v_mov_b32_e32 v90, 0
	v_mov_b32_e32 v91, 0
	v_cmp_ne_u16_sdwa s7, v18, v19 src0_sel:BYTE_0 src1_sel:DWORD
	s_and_saveexec_b32 s8, s7
	s_cbranch_execz .LBB299_418
; %bb.411:                              ;   in Loop: Header=BB299_10 Depth=1
	v_cmp_ne_u16_sdwa s7, v18, v66 src0_sel:BYTE_0 src1_sel:DWORD
	v_mov_b32_e32 v91, 0x8000
	s_and_saveexec_b32 s24, s7
	s_cbranch_execz .LBB299_417
; %bb.412:                              ;   in Loop: Header=BB299_10 Depth=1
	v_bfe_u32 v2, v12, 16, 7
	v_mov_b32_e32 v91, 0x7c01
	s_mov_b32 s25, exec_lo
	v_cmpx_ne_u32_e32 0x7f, v2
	s_cbranch_execz .LBB299_416
; %bb.413:                              ;   in Loop: Header=BB299_10 Depth=1
	v_and_b32_e32 v0, 7, v18
	v_lshrrev_b32_e32 v1, 3, v2
	s_mov_b32 s26, exec_lo
	v_cmpx_gt_u32_e32 8, v2
; %bb.414:                              ;   in Loop: Header=BB299_10 Depth=1
	v_ffbh_u32_e32 v0, v0
	v_min_u32_e32 v2, 32, v0
	v_subrev_nc_u32_e32 v0, 28, v2
	v_lshlrev_b64 v[0:1], v0, v[18:19]
	v_sub_nc_u32_e32 v1, 29, v2
	v_and_b32_e32 v0, 7, v0
; %bb.415:                              ;   in Loop: Header=BB299_10 Depth=1
	s_or_b32 exec_lo, exec_lo, s26
	v_lshlrev_b32_e32 v2, 8, v18
	v_lshl_add_u32 v1, v1, 10, 0x2000
	v_lshlrev_b32_e32 v0, 7, v0
	v_and_b32_e32 v2, 0x8000, v2
	v_and_b32_e32 v1, 0xfc00, v1
	v_or3_b32 v91, v2, v1, v0
.LBB299_416:                            ;   in Loop: Header=BB299_10 Depth=1
	s_or_b32 exec_lo, exec_lo, s25
.LBB299_417:                            ;   in Loop: Header=BB299_10 Depth=1
	s_or_b32 exec_lo, exec_lo, s24
.LBB299_418:                            ;   in Loop: Header=BB299_10 Depth=1
	s_or_b32 exec_lo, exec_lo, s8
	s_mov_b32 s8, exec_lo
	v_cmpx_lt_u32_e32 0xffffff, v12
	s_cbranch_execz .LBB299_426
; %bb.419:                              ;   in Loop: Header=BB299_10 Depth=1
	v_lshrrev_b32_e32 v18, 24, v12
	v_bfrev_b32_e32 v90, 1
	s_mov_b32 s24, exec_lo
	v_cmpx_ne_u32_e32 0x80, v18
	s_cbranch_execz .LBB299_425
; %bb.420:                              ;   in Loop: Header=BB299_10 Depth=1
	v_and_b32_e32 v2, 0x7f, v18
	v_mov_b32_e32 v90, 0x7c010000
	s_mov_b32 s25, exec_lo
	v_cmpx_ne_u32_e32 0x7f, v2
	s_cbranch_execz .LBB299_424
; %bb.421:                              ;   in Loop: Header=BB299_10 Depth=1
	v_and_b32_e32 v0, 7, v18
	v_lshrrev_b32_e32 v1, 3, v2
	s_mov_b32 s26, exec_lo
	v_cmpx_gt_u32_e32 8, v2
; %bb.422:                              ;   in Loop: Header=BB299_10 Depth=1
	v_ffbh_u32_e32 v0, v0
	v_min_u32_e32 v2, 32, v0
	v_subrev_nc_u32_e32 v0, 28, v2
	v_lshlrev_b64 v[0:1], v0, v[18:19]
	v_sub_nc_u32_e32 v1, 29, v2
	v_and_b32_e32 v0, 7, v0
; %bb.423:                              ;   in Loop: Header=BB299_10 Depth=1
	s_or_b32 exec_lo, exec_lo, s26
	v_lshlrev_b32_e32 v2, 8, v18
	v_lshl_add_u32 v1, v1, 10, 0x2000
	v_lshlrev_b32_e32 v0, 23, v0
	v_and_or_b32 v1, 0x8000, v2, v1
	v_lshl_or_b32 v90, v1, 16, v0
.LBB299_424:                            ;   in Loop: Header=BB299_10 Depth=1
	s_or_b32 exec_lo, exec_lo, s25
.LBB299_425:                            ;   in Loop: Header=BB299_10 Depth=1
	s_or_b32 exec_lo, exec_lo, s24
.LBB299_426:                            ;   in Loop: Header=BB299_10 Depth=1
	s_or_b32 exec_lo, exec_lo, s8
	flat_load_dword v12, v[30:31] offset:1544
	v_mov_b32_e32 v20, 0
	v_mov_b32_e32 v21, 0
	s_waitcnt vmcnt(0) lgkmcnt(0)
	v_cmp_ne_u16_sdwa s7, v12, v19 src0_sel:BYTE_0 src1_sel:DWORD
	s_and_saveexec_b32 s8, s7
	s_cbranch_execz .LBB299_434
; %bb.427:                              ;   in Loop: Header=BB299_10 Depth=1
	v_cmp_ne_u16_sdwa s7, v12, v66 src0_sel:BYTE_0 src1_sel:DWORD
	v_mov_b32_e32 v21, 0x8000
	s_and_saveexec_b32 s24, s7
	s_cbranch_execz .LBB299_433
; %bb.428:                              ;   in Loop: Header=BB299_10 Depth=1
	v_and_b32_e32 v2, 0x7f, v12
	v_mov_b32_e32 v21, 0x7c01
	s_mov_b32 s25, exec_lo
	v_cmpx_ne_u32_e32 0x7f, v2
	s_cbranch_execz .LBB299_432
; %bb.429:                              ;   in Loop: Header=BB299_10 Depth=1
	v_and_b32_e32 v0, 7, v12
	v_lshrrev_b32_e32 v1, 3, v2
	s_mov_b32 s26, exec_lo
	v_cmpx_gt_u32_e32 8, v2
; %bb.430:                              ;   in Loop: Header=BB299_10 Depth=1
	v_ffbh_u32_e32 v0, v0
	v_min_u32_e32 v2, 32, v0
	v_subrev_nc_u32_e32 v0, 28, v2
	v_lshlrev_b64 v[0:1], v0, v[12:13]
	v_sub_nc_u32_e32 v1, 29, v2
	v_and_b32_e32 v0, 7, v0
; %bb.431:                              ;   in Loop: Header=BB299_10 Depth=1
	s_or_b32 exec_lo, exec_lo, s26
	v_lshlrev_b32_e32 v2, 8, v12
	v_lshl_add_u32 v1, v1, 10, 0x2000
	v_lshlrev_b32_e32 v0, 7, v0
	v_and_b32_e32 v2, 0x8000, v2
	v_and_b32_e32 v1, 0xfc00, v1
	v_or3_b32 v21, v2, v1, v0
.LBB299_432:                            ;   in Loop: Header=BB299_10 Depth=1
	s_or_b32 exec_lo, exec_lo, s25
.LBB299_433:                            ;   in Loop: Header=BB299_10 Depth=1
	s_or_b32 exec_lo, exec_lo, s24
.LBB299_434:                            ;   in Loop: Header=BB299_10 Depth=1
	s_or_b32 exec_lo, exec_lo, s8
	v_lshrrev_b16 v18, 8, v12
	s_mov_b32 s8, exec_lo
	v_cmpx_ne_u16_e32 0, v18
	s_cbranch_execz .LBB299_442
; %bb.435:                              ;   in Loop: Header=BB299_10 Depth=1
	v_bfrev_b32_e32 v20, 1
	s_mov_b32 s24, exec_lo
	v_cmpx_ne_u16_e32 0x80, v18
	s_cbranch_execz .LBB299_441
; %bb.436:                              ;   in Loop: Header=BB299_10 Depth=1
	v_mov_b32_e32 v0, 0x7f
	v_mov_b32_e32 v20, 0x7c010000
	s_mov_b32 s25, exec_lo
	v_and_b32_sdwa v2, v18, v0 dst_sel:DWORD dst_unused:UNUSED_PAD src0_sel:WORD_0 src1_sel:DWORD
	v_cmpx_ne_u32_e32 0x7f, v2
	s_cbranch_execz .LBB299_440
; %bb.437:                              ;   in Loop: Header=BB299_10 Depth=1
	v_mov_b32_e32 v0, 7
	v_lshrrev_b32_e32 v1, 3, v2
	s_mov_b32 s26, exec_lo
	v_and_b32_sdwa v0, v18, v0 dst_sel:DWORD dst_unused:UNUSED_PAD src0_sel:WORD_0 src1_sel:DWORD
	v_cmpx_gt_u32_e32 8, v2
; %bb.438:                              ;   in Loop: Header=BB299_10 Depth=1
	v_ffbh_u32_e32 v0, v0
	v_min_u32_e32 v2, 32, v0
	v_subrev_nc_u32_e32 v0, 28, v2
	v_lshlrev_b64 v[0:1], v0, v[18:19]
	v_sub_nc_u32_e32 v1, 29, v2
	v_and_b32_e32 v0, 7, v0
; %bb.439:                              ;   in Loop: Header=BB299_10 Depth=1
	s_or_b32 exec_lo, exec_lo, s26
	v_mov_b32_e32 v2, 8
	v_lshl_add_u32 v1, v1, 10, 0x2000
	v_lshlrev_b32_e32 v0, 23, v0
	v_lshlrev_b32_sdwa v2, v2, v18 dst_sel:DWORD dst_unused:UNUSED_PAD src0_sel:DWORD src1_sel:WORD_0
	v_and_or_b32 v1, 0x8000, v2, v1
	v_lshl_or_b32 v20, v1, 16, v0
.LBB299_440:                            ;   in Loop: Header=BB299_10 Depth=1
	s_or_b32 exec_lo, exec_lo, s25
.LBB299_441:                            ;   in Loop: Header=BB299_10 Depth=1
	s_or_b32 exec_lo, exec_lo, s24
.LBB299_442:                            ;   in Loop: Header=BB299_10 Depth=1
	s_or_b32 exec_lo, exec_lo, s8
	v_lshrrev_b32_e32 v18, 16, v12
	v_mov_b32_e32 v94, 0
	v_mov_b32_e32 v95, 0
	v_cmp_ne_u16_sdwa s7, v18, v19 src0_sel:BYTE_0 src1_sel:DWORD
	s_and_saveexec_b32 s8, s7
	s_cbranch_execz .LBB299_450
; %bb.443:                              ;   in Loop: Header=BB299_10 Depth=1
	v_cmp_ne_u16_sdwa s7, v18, v66 src0_sel:BYTE_0 src1_sel:DWORD
	v_mov_b32_e32 v95, 0x8000
	s_and_saveexec_b32 s24, s7
	s_cbranch_execz .LBB299_449
; %bb.444:                              ;   in Loop: Header=BB299_10 Depth=1
	v_bfe_u32 v2, v12, 16, 7
	v_mov_b32_e32 v95, 0x7c01
	s_mov_b32 s25, exec_lo
	v_cmpx_ne_u32_e32 0x7f, v2
	s_cbranch_execz .LBB299_448
; %bb.445:                              ;   in Loop: Header=BB299_10 Depth=1
	v_and_b32_e32 v0, 7, v18
	v_lshrrev_b32_e32 v1, 3, v2
	s_mov_b32 s26, exec_lo
	v_cmpx_gt_u32_e32 8, v2
; %bb.446:                              ;   in Loop: Header=BB299_10 Depth=1
	v_ffbh_u32_e32 v0, v0
	v_min_u32_e32 v2, 32, v0
	v_subrev_nc_u32_e32 v0, 28, v2
	v_lshlrev_b64 v[0:1], v0, v[18:19]
	v_sub_nc_u32_e32 v1, 29, v2
	v_and_b32_e32 v0, 7, v0
; %bb.447:                              ;   in Loop: Header=BB299_10 Depth=1
	s_or_b32 exec_lo, exec_lo, s26
	v_lshlrev_b32_e32 v2, 8, v18
	v_lshl_add_u32 v1, v1, 10, 0x2000
	v_lshlrev_b32_e32 v0, 7, v0
	v_and_b32_e32 v2, 0x8000, v2
	v_and_b32_e32 v1, 0xfc00, v1
	v_or3_b32 v95, v2, v1, v0
.LBB299_448:                            ;   in Loop: Header=BB299_10 Depth=1
	s_or_b32 exec_lo, exec_lo, s25
.LBB299_449:                            ;   in Loop: Header=BB299_10 Depth=1
	s_or_b32 exec_lo, exec_lo, s24
.LBB299_450:                            ;   in Loop: Header=BB299_10 Depth=1
	s_or_b32 exec_lo, exec_lo, s8
	s_mov_b32 s8, exec_lo
	v_cmpx_lt_u32_e32 0xffffff, v12
	s_cbranch_execz .LBB299_458
; %bb.451:                              ;   in Loop: Header=BB299_10 Depth=1
	v_lshrrev_b32_e32 v18, 24, v12
	v_bfrev_b32_e32 v94, 1
	s_mov_b32 s24, exec_lo
	v_cmpx_ne_u32_e32 0x80, v18
	s_cbranch_execz .LBB299_457
; %bb.452:                              ;   in Loop: Header=BB299_10 Depth=1
	v_and_b32_e32 v2, 0x7f, v18
	v_mov_b32_e32 v94, 0x7c010000
	s_mov_b32 s25, exec_lo
	v_cmpx_ne_u32_e32 0x7f, v2
	s_cbranch_execz .LBB299_456
; %bb.453:                              ;   in Loop: Header=BB299_10 Depth=1
	v_and_b32_e32 v0, 7, v18
	v_lshrrev_b32_e32 v1, 3, v2
	s_mov_b32 s26, exec_lo
	v_cmpx_gt_u32_e32 8, v2
; %bb.454:                              ;   in Loop: Header=BB299_10 Depth=1
	v_ffbh_u32_e32 v0, v0
	v_min_u32_e32 v2, 32, v0
	v_subrev_nc_u32_e32 v0, 28, v2
	v_lshlrev_b64 v[0:1], v0, v[18:19]
	v_sub_nc_u32_e32 v1, 29, v2
	v_and_b32_e32 v0, 7, v0
; %bb.455:                              ;   in Loop: Header=BB299_10 Depth=1
	s_or_b32 exec_lo, exec_lo, s26
	v_lshlrev_b32_e32 v2, 8, v18
	v_lshl_add_u32 v1, v1, 10, 0x2000
	v_lshlrev_b32_e32 v0, 23, v0
	v_and_or_b32 v1, 0x8000, v2, v1
	v_lshl_or_b32 v94, v1, 16, v0
.LBB299_456:                            ;   in Loop: Header=BB299_10 Depth=1
	s_or_b32 exec_lo, exec_lo, s25
.LBB299_457:                            ;   in Loop: Header=BB299_10 Depth=1
	s_or_b32 exec_lo, exec_lo, s24
.LBB299_458:                            ;   in Loop: Header=BB299_10 Depth=1
	s_or_b32 exec_lo, exec_lo, s8
	flat_load_dword v12, v[30:31] offset:1792
	v_mov_b32_e32 v92, 0
	v_mov_b32_e32 v93, 0
	s_waitcnt vmcnt(0) lgkmcnt(0)
	v_cmp_ne_u16_sdwa s7, v12, v19 src0_sel:BYTE_0 src1_sel:DWORD
	s_and_saveexec_b32 s8, s7
	s_cbranch_execz .LBB299_466
; %bb.459:                              ;   in Loop: Header=BB299_10 Depth=1
	v_cmp_ne_u16_sdwa s7, v12, v66 src0_sel:BYTE_0 src1_sel:DWORD
	v_mov_b32_e32 v93, 0x8000
	s_and_saveexec_b32 s24, s7
	s_cbranch_execz .LBB299_465
; %bb.460:                              ;   in Loop: Header=BB299_10 Depth=1
	v_and_b32_e32 v2, 0x7f, v12
	v_mov_b32_e32 v93, 0x7c01
	s_mov_b32 s25, exec_lo
	v_cmpx_ne_u32_e32 0x7f, v2
	s_cbranch_execz .LBB299_464
; %bb.461:                              ;   in Loop: Header=BB299_10 Depth=1
	v_and_b32_e32 v0, 7, v12
	v_lshrrev_b32_e32 v1, 3, v2
	s_mov_b32 s26, exec_lo
	v_cmpx_gt_u32_e32 8, v2
; %bb.462:                              ;   in Loop: Header=BB299_10 Depth=1
	v_ffbh_u32_e32 v0, v0
	v_min_u32_e32 v2, 32, v0
	v_subrev_nc_u32_e32 v0, 28, v2
	v_lshlrev_b64 v[0:1], v0, v[12:13]
	v_sub_nc_u32_e32 v1, 29, v2
	v_and_b32_e32 v0, 7, v0
; %bb.463:                              ;   in Loop: Header=BB299_10 Depth=1
	s_or_b32 exec_lo, exec_lo, s26
	v_lshlrev_b32_e32 v2, 8, v12
	v_lshl_add_u32 v1, v1, 10, 0x2000
	v_lshlrev_b32_e32 v0, 7, v0
	v_and_b32_e32 v2, 0x8000, v2
	v_and_b32_e32 v1, 0xfc00, v1
	v_or3_b32 v93, v2, v1, v0
.LBB299_464:                            ;   in Loop: Header=BB299_10 Depth=1
	s_or_b32 exec_lo, exec_lo, s25
.LBB299_465:                            ;   in Loop: Header=BB299_10 Depth=1
	s_or_b32 exec_lo, exec_lo, s24
.LBB299_466:                            ;   in Loop: Header=BB299_10 Depth=1
	s_or_b32 exec_lo, exec_lo, s8
	v_lshrrev_b16 v18, 8, v12
	s_mov_b32 s8, exec_lo
	v_cmpx_ne_u16_e32 0, v18
	s_cbranch_execz .LBB299_474
; %bb.467:                              ;   in Loop: Header=BB299_10 Depth=1
	v_bfrev_b32_e32 v92, 1
	s_mov_b32 s24, exec_lo
	v_cmpx_ne_u16_e32 0x80, v18
	s_cbranch_execz .LBB299_473
; %bb.468:                              ;   in Loop: Header=BB299_10 Depth=1
	v_mov_b32_e32 v0, 0x7f
	v_mov_b32_e32 v92, 0x7c010000
	s_mov_b32 s25, exec_lo
	v_and_b32_sdwa v2, v18, v0 dst_sel:DWORD dst_unused:UNUSED_PAD src0_sel:WORD_0 src1_sel:DWORD
	v_cmpx_ne_u32_e32 0x7f, v2
	s_cbranch_execz .LBB299_472
; %bb.469:                              ;   in Loop: Header=BB299_10 Depth=1
	v_mov_b32_e32 v0, 7
	v_lshrrev_b32_e32 v1, 3, v2
	s_mov_b32 s26, exec_lo
	v_and_b32_sdwa v0, v18, v0 dst_sel:DWORD dst_unused:UNUSED_PAD src0_sel:WORD_0 src1_sel:DWORD
	v_cmpx_gt_u32_e32 8, v2
; %bb.470:                              ;   in Loop: Header=BB299_10 Depth=1
	v_ffbh_u32_e32 v0, v0
	v_min_u32_e32 v2, 32, v0
	v_subrev_nc_u32_e32 v0, 28, v2
	v_lshlrev_b64 v[0:1], v0, v[18:19]
	v_sub_nc_u32_e32 v1, 29, v2
	v_and_b32_e32 v0, 7, v0
; %bb.471:                              ;   in Loop: Header=BB299_10 Depth=1
	s_or_b32 exec_lo, exec_lo, s26
	v_mov_b32_e32 v2, 8
	v_lshl_add_u32 v1, v1, 10, 0x2000
	v_lshlrev_b32_e32 v0, 23, v0
	v_lshlrev_b32_sdwa v2, v2, v18 dst_sel:DWORD dst_unused:UNUSED_PAD src0_sel:DWORD src1_sel:WORD_0
	v_and_or_b32 v1, 0x8000, v2, v1
	v_lshl_or_b32 v92, v1, 16, v0
.LBB299_472:                            ;   in Loop: Header=BB299_10 Depth=1
	s_or_b32 exec_lo, exec_lo, s25
.LBB299_473:                            ;   in Loop: Header=BB299_10 Depth=1
	s_or_b32 exec_lo, exec_lo, s24
.LBB299_474:                            ;   in Loop: Header=BB299_10 Depth=1
	s_or_b32 exec_lo, exec_lo, s8
	v_lshrrev_b32_e32 v18, 16, v12
	v_mov_b32_e32 v104, 0
	v_mov_b32_e32 v107, 0
	v_cmp_ne_u16_sdwa s7, v18, v19 src0_sel:BYTE_0 src1_sel:DWORD
	s_and_saveexec_b32 s8, s7
	s_cbranch_execz .LBB299_482
; %bb.475:                              ;   in Loop: Header=BB299_10 Depth=1
	v_cmp_ne_u16_sdwa s7, v18, v66 src0_sel:BYTE_0 src1_sel:DWORD
	v_mov_b32_e32 v107, 0x8000
	s_and_saveexec_b32 s24, s7
	s_cbranch_execz .LBB299_481
; %bb.476:                              ;   in Loop: Header=BB299_10 Depth=1
	v_bfe_u32 v2, v12, 16, 7
	v_mov_b32_e32 v107, 0x7c01
	s_mov_b32 s25, exec_lo
	v_cmpx_ne_u32_e32 0x7f, v2
	s_cbranch_execz .LBB299_480
; %bb.477:                              ;   in Loop: Header=BB299_10 Depth=1
	v_and_b32_e32 v0, 7, v18
	v_lshrrev_b32_e32 v1, 3, v2
	s_mov_b32 s26, exec_lo
	v_cmpx_gt_u32_e32 8, v2
; %bb.478:                              ;   in Loop: Header=BB299_10 Depth=1
	v_ffbh_u32_e32 v0, v0
	v_min_u32_e32 v2, 32, v0
	v_subrev_nc_u32_e32 v0, 28, v2
	v_lshlrev_b64 v[0:1], v0, v[18:19]
	v_sub_nc_u32_e32 v1, 29, v2
	v_and_b32_e32 v0, 7, v0
; %bb.479:                              ;   in Loop: Header=BB299_10 Depth=1
	s_or_b32 exec_lo, exec_lo, s26
	v_lshlrev_b32_e32 v2, 8, v18
	v_lshl_add_u32 v1, v1, 10, 0x2000
	v_lshlrev_b32_e32 v0, 7, v0
	v_and_b32_e32 v2, 0x8000, v2
	v_and_b32_e32 v1, 0xfc00, v1
	v_or3_b32 v107, v2, v1, v0
.LBB299_480:                            ;   in Loop: Header=BB299_10 Depth=1
	s_or_b32 exec_lo, exec_lo, s25
.LBB299_481:                            ;   in Loop: Header=BB299_10 Depth=1
	s_or_b32 exec_lo, exec_lo, s24
.LBB299_482:                            ;   in Loop: Header=BB299_10 Depth=1
	s_or_b32 exec_lo, exec_lo, s8
	s_mov_b32 s8, exec_lo
	v_cmpx_lt_u32_e32 0xffffff, v12
	s_cbranch_execz .LBB299_490
; %bb.483:                              ;   in Loop: Header=BB299_10 Depth=1
	v_lshrrev_b32_e32 v18, 24, v12
	v_bfrev_b32_e32 v104, 1
	s_mov_b32 s24, exec_lo
	v_cmpx_ne_u32_e32 0x80, v18
	s_cbranch_execz .LBB299_489
; %bb.484:                              ;   in Loop: Header=BB299_10 Depth=1
	v_and_b32_e32 v2, 0x7f, v18
	v_mov_b32_e32 v104, 0x7c010000
	s_mov_b32 s25, exec_lo
	v_cmpx_ne_u32_e32 0x7f, v2
	s_cbranch_execz .LBB299_488
; %bb.485:                              ;   in Loop: Header=BB299_10 Depth=1
	v_and_b32_e32 v0, 7, v18
	v_lshrrev_b32_e32 v1, 3, v2
	s_mov_b32 s26, exec_lo
	v_cmpx_gt_u32_e32 8, v2
; %bb.486:                              ;   in Loop: Header=BB299_10 Depth=1
	v_ffbh_u32_e32 v0, v0
	v_min_u32_e32 v2, 32, v0
	v_subrev_nc_u32_e32 v0, 28, v2
	v_lshlrev_b64 v[0:1], v0, v[18:19]
	v_sub_nc_u32_e32 v1, 29, v2
	v_and_b32_e32 v0, 7, v0
; %bb.487:                              ;   in Loop: Header=BB299_10 Depth=1
	s_or_b32 exec_lo, exec_lo, s26
	v_lshlrev_b32_e32 v2, 8, v18
	v_lshl_add_u32 v1, v1, 10, 0x2000
	v_lshlrev_b32_e32 v0, 23, v0
	v_and_or_b32 v1, 0x8000, v2, v1
	v_lshl_or_b32 v104, v1, 16, v0
.LBB299_488:                            ;   in Loop: Header=BB299_10 Depth=1
	s_or_b32 exec_lo, exec_lo, s25
.LBB299_489:                            ;   in Loop: Header=BB299_10 Depth=1
	s_or_b32 exec_lo, exec_lo, s24
.LBB299_490:                            ;   in Loop: Header=BB299_10 Depth=1
	s_or_b32 exec_lo, exec_lo, s8
	flat_load_dword v12, v[30:31] offset:1800
	v_mov_b32_e32 v31, 0
	v_mov_b32_e32 v120, 0
	s_waitcnt vmcnt(0) lgkmcnt(0)
	v_cmp_ne_u16_sdwa s7, v12, v19 src0_sel:BYTE_0 src1_sel:DWORD
	s_and_saveexec_b32 s8, s7
	s_cbranch_execz .LBB299_498
; %bb.491:                              ;   in Loop: Header=BB299_10 Depth=1
	v_cmp_ne_u16_sdwa s7, v12, v66 src0_sel:BYTE_0 src1_sel:DWORD
	v_mov_b32_e32 v120, 0x8000
	s_and_saveexec_b32 s24, s7
	s_cbranch_execz .LBB299_497
; %bb.492:                              ;   in Loop: Header=BB299_10 Depth=1
	v_and_b32_e32 v2, 0x7f, v12
	v_mov_b32_e32 v120, 0x7c01
	s_mov_b32 s25, exec_lo
	v_cmpx_ne_u32_e32 0x7f, v2
	s_cbranch_execz .LBB299_496
; %bb.493:                              ;   in Loop: Header=BB299_10 Depth=1
	v_and_b32_e32 v0, 7, v12
	v_lshrrev_b32_e32 v1, 3, v2
	s_mov_b32 s26, exec_lo
	v_cmpx_gt_u32_e32 8, v2
; %bb.494:                              ;   in Loop: Header=BB299_10 Depth=1
	v_ffbh_u32_e32 v0, v0
	v_min_u32_e32 v2, 32, v0
	v_subrev_nc_u32_e32 v0, 28, v2
	v_lshlrev_b64 v[0:1], v0, v[12:13]
	v_sub_nc_u32_e32 v1, 29, v2
	v_and_b32_e32 v0, 7, v0
; %bb.495:                              ;   in Loop: Header=BB299_10 Depth=1
	s_or_b32 exec_lo, exec_lo, s26
	v_lshlrev_b32_e32 v2, 8, v12
	v_lshl_add_u32 v1, v1, 10, 0x2000
	v_lshlrev_b32_e32 v0, 7, v0
	v_and_b32_e32 v2, 0x8000, v2
	v_and_b32_e32 v1, 0xfc00, v1
	v_or3_b32 v120, v2, v1, v0
.LBB299_496:                            ;   in Loop: Header=BB299_10 Depth=1
	s_or_b32 exec_lo, exec_lo, s25
.LBB299_497:                            ;   in Loop: Header=BB299_10 Depth=1
	s_or_b32 exec_lo, exec_lo, s24
.LBB299_498:                            ;   in Loop: Header=BB299_10 Depth=1
	s_or_b32 exec_lo, exec_lo, s8
	v_lshrrev_b16 v18, 8, v12
	s_mov_b32 s8, exec_lo
	v_cmpx_ne_u16_e32 0, v18
	s_cbranch_execz .LBB299_506
; %bb.499:                              ;   in Loop: Header=BB299_10 Depth=1
	v_bfrev_b32_e32 v31, 1
	s_mov_b32 s24, exec_lo
	v_cmpx_ne_u16_e32 0x80, v18
	s_cbranch_execz .LBB299_505
; %bb.500:                              ;   in Loop: Header=BB299_10 Depth=1
	v_mov_b32_e32 v0, 0x7f
	v_mov_b32_e32 v31, 0x7c010000
	s_mov_b32 s25, exec_lo
	v_and_b32_sdwa v2, v18, v0 dst_sel:DWORD dst_unused:UNUSED_PAD src0_sel:WORD_0 src1_sel:DWORD
	v_cmpx_ne_u32_e32 0x7f, v2
	s_cbranch_execz .LBB299_504
; %bb.501:                              ;   in Loop: Header=BB299_10 Depth=1
	v_mov_b32_e32 v0, 7
	v_lshrrev_b32_e32 v1, 3, v2
	s_mov_b32 s26, exec_lo
	v_and_b32_sdwa v0, v18, v0 dst_sel:DWORD dst_unused:UNUSED_PAD src0_sel:WORD_0 src1_sel:DWORD
	v_cmpx_gt_u32_e32 8, v2
; %bb.502:                              ;   in Loop: Header=BB299_10 Depth=1
	v_ffbh_u32_e32 v0, v0
	v_min_u32_e32 v2, 32, v0
	v_subrev_nc_u32_e32 v0, 28, v2
	v_lshlrev_b64 v[0:1], v0, v[18:19]
	v_sub_nc_u32_e32 v1, 29, v2
	v_and_b32_e32 v0, 7, v0
; %bb.503:                              ;   in Loop: Header=BB299_10 Depth=1
	s_or_b32 exec_lo, exec_lo, s26
	v_mov_b32_e32 v2, 8
	v_lshl_add_u32 v1, v1, 10, 0x2000
	v_lshlrev_b32_e32 v0, 23, v0
	v_lshlrev_b32_sdwa v2, v2, v18 dst_sel:DWORD dst_unused:UNUSED_PAD src0_sel:DWORD src1_sel:WORD_0
	v_and_or_b32 v1, 0x8000, v2, v1
	v_lshl_or_b32 v31, v1, 16, v0
.LBB299_504:                            ;   in Loop: Header=BB299_10 Depth=1
	s_or_b32 exec_lo, exec_lo, s25
.LBB299_505:                            ;   in Loop: Header=BB299_10 Depth=1
	s_or_b32 exec_lo, exec_lo, s24
.LBB299_506:                            ;   in Loop: Header=BB299_10 Depth=1
	s_or_b32 exec_lo, exec_lo, s8
	v_lshrrev_b32_e32 v18, 16, v12
	v_mov_b32_e32 v124, 0
	v_mov_b32_e32 v125, 0
	v_cmp_ne_u16_sdwa s7, v18, v19 src0_sel:BYTE_0 src1_sel:DWORD
	s_and_saveexec_b32 s8, s7
	s_cbranch_execz .LBB299_514
; %bb.507:                              ;   in Loop: Header=BB299_10 Depth=1
	v_cmp_ne_u16_sdwa s7, v18, v66 src0_sel:BYTE_0 src1_sel:DWORD
	v_mov_b32_e32 v125, 0x8000
	s_and_saveexec_b32 s24, s7
	s_cbranch_execz .LBB299_513
; %bb.508:                              ;   in Loop: Header=BB299_10 Depth=1
	v_bfe_u32 v2, v12, 16, 7
	v_mov_b32_e32 v125, 0x7c01
	s_mov_b32 s25, exec_lo
	v_cmpx_ne_u32_e32 0x7f, v2
	s_cbranch_execz .LBB299_512
; %bb.509:                              ;   in Loop: Header=BB299_10 Depth=1
	v_and_b32_e32 v0, 7, v18
	v_lshrrev_b32_e32 v1, 3, v2
	s_mov_b32 s26, exec_lo
	v_cmpx_gt_u32_e32 8, v2
; %bb.510:                              ;   in Loop: Header=BB299_10 Depth=1
	v_ffbh_u32_e32 v0, v0
	v_min_u32_e32 v2, 32, v0
	v_subrev_nc_u32_e32 v0, 28, v2
	v_lshlrev_b64 v[0:1], v0, v[18:19]
	v_sub_nc_u32_e32 v1, 29, v2
	v_and_b32_e32 v0, 7, v0
; %bb.511:                              ;   in Loop: Header=BB299_10 Depth=1
	s_or_b32 exec_lo, exec_lo, s26
	v_lshlrev_b32_e32 v2, 8, v18
	v_lshl_add_u32 v1, v1, 10, 0x2000
	v_lshlrev_b32_e32 v0, 7, v0
	v_and_b32_e32 v2, 0x8000, v2
	v_and_b32_e32 v1, 0xfc00, v1
	v_or3_b32 v125, v2, v1, v0
.LBB299_512:                            ;   in Loop: Header=BB299_10 Depth=1
	s_or_b32 exec_lo, exec_lo, s25
.LBB299_513:                            ;   in Loop: Header=BB299_10 Depth=1
	s_or_b32 exec_lo, exec_lo, s24
.LBB299_514:                            ;   in Loop: Header=BB299_10 Depth=1
	s_or_b32 exec_lo, exec_lo, s8
	s_mov_b32 s8, exec_lo
	v_cmpx_lt_u32_e32 0xffffff, v12
	s_cbranch_execz .LBB299_522
; %bb.515:                              ;   in Loop: Header=BB299_10 Depth=1
	v_lshrrev_b32_e32 v18, 24, v12
	v_bfrev_b32_e32 v124, 1
	s_mov_b32 s24, exec_lo
	v_cmpx_ne_u32_e32 0x80, v18
	s_cbranch_execz .LBB299_521
; %bb.516:                              ;   in Loop: Header=BB299_10 Depth=1
	v_and_b32_e32 v2, 0x7f, v18
	v_mov_b32_e32 v124, 0x7c010000
	s_mov_b32 s25, exec_lo
	v_cmpx_ne_u32_e32 0x7f, v2
	s_cbranch_execz .LBB299_520
; %bb.517:                              ;   in Loop: Header=BB299_10 Depth=1
	v_and_b32_e32 v0, 7, v18
	v_lshrrev_b32_e32 v1, 3, v2
	s_mov_b32 s26, exec_lo
	v_cmpx_gt_u32_e32 8, v2
; %bb.518:                              ;   in Loop: Header=BB299_10 Depth=1
	v_ffbh_u32_e32 v0, v0
	v_min_u32_e32 v2, 32, v0
	v_subrev_nc_u32_e32 v0, 28, v2
	v_lshlrev_b64 v[0:1], v0, v[18:19]
	v_sub_nc_u32_e32 v1, 29, v2
	v_and_b32_e32 v0, 7, v0
; %bb.519:                              ;   in Loop: Header=BB299_10 Depth=1
	s_or_b32 exec_lo, exec_lo, s26
	v_lshlrev_b32_e32 v2, 8, v18
	v_lshl_add_u32 v1, v1, 10, 0x2000
	v_lshlrev_b32_e32 v0, 23, v0
	v_and_or_b32 v1, 0x8000, v2, v1
	v_lshl_or_b32 v124, v1, 16, v0
.LBB299_520:                            ;   in Loop: Header=BB299_10 Depth=1
	s_or_b32 exec_lo, exec_lo, s25
.LBB299_521:                            ;   in Loop: Header=BB299_10 Depth=1
	s_or_b32 exec_lo, exec_lo, s24
.LBB299_522:                            ;   in Loop: Header=BB299_10 Depth=1
	s_or_b32 exec_lo, exec_lo, s8
	buffer_load_dword v2, off, s[0:3], s32 offset:192 ; 4-byte Folded Reload
	v_add_co_u32 v0, s7, 0x800, v28
	v_add_co_ci_u32_e64 v1, null, 0, v29, s7
	v_mov_b32_e32 v5, 0
	v_mov_b32_e32 v4, 0
	s_waitcnt vmcnt(0)
	v_add_co_u32 v2, s7, v0, v2
	v_add_co_ci_u32_e64 v3, null, 0, v1, s7
	flat_load_dword v12, v[2:3]
	s_waitcnt vmcnt(0) lgkmcnt(0)
	v_cmp_ne_u16_sdwa s7, v12, v19 src0_sel:BYTE_0 src1_sel:DWORD
	s_and_saveexec_b32 s8, s7
	s_cbranch_execz .LBB299_530
; %bb.523:                              ;   in Loop: Header=BB299_10 Depth=1
	v_cmp_ne_u16_sdwa s7, v12, v66 src0_sel:BYTE_0 src1_sel:DWORD
	v_mov_b32_e32 v4, 0x8000
	s_and_saveexec_b32 s24, s7
	s_cbranch_execz .LBB299_529
; %bb.524:                              ;   in Loop: Header=BB299_10 Depth=1
	v_and_b32_e32 v6, 0x7f, v12
	v_mov_b32_e32 v4, 0x7c01
	s_mov_b32 s25, exec_lo
	v_cmpx_ne_u32_e32 0x7f, v6
	s_cbranch_execz .LBB299_528
; %bb.525:                              ;   in Loop: Header=BB299_10 Depth=1
	v_and_b32_e32 v2, 7, v12
	v_lshrrev_b32_e32 v3, 3, v6
	s_mov_b32 s26, exec_lo
	v_cmpx_gt_u32_e32 8, v6
; %bb.526:                              ;   in Loop: Header=BB299_10 Depth=1
	v_ffbh_u32_e32 v2, v2
	v_min_u32_e32 v4, 32, v2
	v_subrev_nc_u32_e32 v2, 28, v4
	v_lshlrev_b64 v[2:3], v2, v[12:13]
	v_sub_nc_u32_e32 v3, 29, v4
	v_and_b32_e32 v2, 7, v2
; %bb.527:                              ;   in Loop: Header=BB299_10 Depth=1
	s_or_b32 exec_lo, exec_lo, s26
	v_lshlrev_b32_e32 v4, 8, v12
	v_lshl_add_u32 v3, v3, 10, 0x2000
	v_lshlrev_b32_e32 v2, 7, v2
	v_and_b32_e32 v4, 0x8000, v4
	v_and_b32_e32 v3, 0xfc00, v3
	v_or3_b32 v4, v4, v3, v2
.LBB299_528:                            ;   in Loop: Header=BB299_10 Depth=1
	s_or_b32 exec_lo, exec_lo, s25
.LBB299_529:                            ;   in Loop: Header=BB299_10 Depth=1
	s_or_b32 exec_lo, exec_lo, s24
.LBB299_530:                            ;   in Loop: Header=BB299_10 Depth=1
	s_or_b32 exec_lo, exec_lo, s8
	v_lshrrev_b16 v18, 8, v12
	s_mov_b32 s8, exec_lo
	v_cmpx_ne_u16_e32 0, v18
	s_cbranch_execz .LBB299_538
; %bb.531:                              ;   in Loop: Header=BB299_10 Depth=1
	v_bfrev_b32_e32 v5, 1
	s_mov_b32 s24, exec_lo
	v_cmpx_ne_u16_e32 0x80, v18
	s_cbranch_execz .LBB299_537
; %bb.532:                              ;   in Loop: Header=BB299_10 Depth=1
	v_mov_b32_e32 v2, 0x7f
	v_mov_b32_e32 v5, 0x7c010000
	s_mov_b32 s25, exec_lo
	v_and_b32_sdwa v6, v18, v2 dst_sel:DWORD dst_unused:UNUSED_PAD src0_sel:WORD_0 src1_sel:DWORD
	v_cmpx_ne_u32_e32 0x7f, v6
	s_cbranch_execz .LBB299_536
; %bb.533:                              ;   in Loop: Header=BB299_10 Depth=1
	v_mov_b32_e32 v2, 7
	v_lshrrev_b32_e32 v3, 3, v6
	s_mov_b32 s26, exec_lo
	v_and_b32_sdwa v2, v18, v2 dst_sel:DWORD dst_unused:UNUSED_PAD src0_sel:WORD_0 src1_sel:DWORD
	v_cmpx_gt_u32_e32 8, v6
; %bb.534:                              ;   in Loop: Header=BB299_10 Depth=1
	v_ffbh_u32_e32 v2, v2
	v_min_u32_e32 v5, 32, v2
	v_subrev_nc_u32_e32 v2, 28, v5
	v_lshlrev_b64 v[2:3], v2, v[18:19]
	v_sub_nc_u32_e32 v3, 29, v5
	v_and_b32_e32 v2, 7, v2
; %bb.535:                              ;   in Loop: Header=BB299_10 Depth=1
	s_or_b32 exec_lo, exec_lo, s26
	v_mov_b32_e32 v5, 8
	v_lshl_add_u32 v3, v3, 10, 0x2000
	v_lshlrev_b32_e32 v2, 23, v2
	v_lshlrev_b32_sdwa v5, v5, v18 dst_sel:DWORD dst_unused:UNUSED_PAD src0_sel:DWORD src1_sel:WORD_0
	v_and_or_b32 v3, 0x8000, v5, v3
	v_lshl_or_b32 v5, v3, 16, v2
.LBB299_536:                            ;   in Loop: Header=BB299_10 Depth=1
	s_or_b32 exec_lo, exec_lo, s25
.LBB299_537:                            ;   in Loop: Header=BB299_10 Depth=1
	s_or_b32 exec_lo, exec_lo, s24
.LBB299_538:                            ;   in Loop: Header=BB299_10 Depth=1
	s_or_b32 exec_lo, exec_lo, s8
	v_lshrrev_b32_e32 v18, 16, v12
	v_mov_b32_e32 v39, 0
	v_mov_b32_e32 v10, 0
	v_cmp_ne_u16_sdwa s7, v18, v19 src0_sel:BYTE_0 src1_sel:DWORD
	s_and_saveexec_b32 s8, s7
	s_cbranch_execz .LBB299_546
; %bb.539:                              ;   in Loop: Header=BB299_10 Depth=1
	v_cmp_ne_u16_sdwa s7, v18, v66 src0_sel:BYTE_0 src1_sel:DWORD
	v_mov_b32_e32 v10, 0x8000
	s_and_saveexec_b32 s24, s7
	s_cbranch_execz .LBB299_545
; %bb.540:                              ;   in Loop: Header=BB299_10 Depth=1
	v_bfe_u32 v6, v12, 16, 7
	v_mov_b32_e32 v10, 0x7c01
	s_mov_b32 s25, exec_lo
	v_cmpx_ne_u32_e32 0x7f, v6
	s_cbranch_execz .LBB299_544
; %bb.541:                              ;   in Loop: Header=BB299_10 Depth=1
	v_and_b32_e32 v2, 7, v18
	v_lshrrev_b32_e32 v3, 3, v6
	s_mov_b32 s26, exec_lo
	v_cmpx_gt_u32_e32 8, v6
; %bb.542:                              ;   in Loop: Header=BB299_10 Depth=1
	v_ffbh_u32_e32 v2, v2
	v_min_u32_e32 v6, 32, v2
	v_subrev_nc_u32_e32 v2, 28, v6
	v_lshlrev_b64 v[2:3], v2, v[18:19]
	v_sub_nc_u32_e32 v3, 29, v6
	v_and_b32_e32 v2, 7, v2
; %bb.543:                              ;   in Loop: Header=BB299_10 Depth=1
	s_or_b32 exec_lo, exec_lo, s26
	v_lshlrev_b32_e32 v6, 8, v18
	v_lshl_add_u32 v3, v3, 10, 0x2000
	v_lshlrev_b32_e32 v2, 7, v2
	v_and_b32_e32 v6, 0x8000, v6
	v_and_b32_e32 v3, 0xfc00, v3
	v_or3_b32 v10, v6, v3, v2
.LBB299_544:                            ;   in Loop: Header=BB299_10 Depth=1
	s_or_b32 exec_lo, exec_lo, s25
.LBB299_545:                            ;   in Loop: Header=BB299_10 Depth=1
	s_or_b32 exec_lo, exec_lo, s24
.LBB299_546:                            ;   in Loop: Header=BB299_10 Depth=1
	s_or_b32 exec_lo, exec_lo, s8
	s_mov_b32 s8, exec_lo
	v_cmpx_lt_u32_e32 0xffffff, v12
	s_cbranch_execz .LBB299_554
; %bb.547:                              ;   in Loop: Header=BB299_10 Depth=1
	v_lshrrev_b32_e32 v18, 24, v12
	v_bfrev_b32_e32 v39, 1
	s_mov_b32 s24, exec_lo
	v_cmpx_ne_u32_e32 0x80, v18
	s_cbranch_execz .LBB299_553
; %bb.548:                              ;   in Loop: Header=BB299_10 Depth=1
	v_and_b32_e32 v6, 0x7f, v18
	v_mov_b32_e32 v39, 0x7c010000
	s_mov_b32 s25, exec_lo
	v_cmpx_ne_u32_e32 0x7f, v6
	s_cbranch_execz .LBB299_552
; %bb.549:                              ;   in Loop: Header=BB299_10 Depth=1
	v_and_b32_e32 v2, 7, v18
	v_lshrrev_b32_e32 v3, 3, v6
	s_mov_b32 s26, exec_lo
	v_cmpx_gt_u32_e32 8, v6
; %bb.550:                              ;   in Loop: Header=BB299_10 Depth=1
	v_ffbh_u32_e32 v2, v2
	v_min_u32_e32 v6, 32, v2
	v_subrev_nc_u32_e32 v2, 28, v6
	v_lshlrev_b64 v[2:3], v2, v[18:19]
	v_sub_nc_u32_e32 v3, 29, v6
	v_and_b32_e32 v2, 7, v2
; %bb.551:                              ;   in Loop: Header=BB299_10 Depth=1
	s_or_b32 exec_lo, exec_lo, s26
	v_lshlrev_b32_e32 v6, 8, v18
	v_lshl_add_u32 v3, v3, 10, 0x2000
	v_lshlrev_b32_e32 v2, 23, v2
	v_and_or_b32 v3, 0x8000, v6, v3
	v_lshl_or_b32 v39, v3, 16, v2
.LBB299_552:                            ;   in Loop: Header=BB299_10 Depth=1
	s_or_b32 exec_lo, exec_lo, s25
.LBB299_553:                            ;   in Loop: Header=BB299_10 Depth=1
	s_or_b32 exec_lo, exec_lo, s24
.LBB299_554:                            ;   in Loop: Header=BB299_10 Depth=1
	s_or_b32 exec_lo, exec_lo, s8
	buffer_load_dword v2, off, s[0:3], s32 offset:196 ; 4-byte Folded Reload
	v_mov_b32_e32 v23, 0
	v_mov_b32_e32 v3, 0
	s_waitcnt vmcnt(0)
	v_add_co_u32 v0, s7, v0, v2
	v_add_co_ci_u32_e64 v1, null, 0, v1, s7
	flat_load_dword v12, v[0:1]
	s_waitcnt vmcnt(0) lgkmcnt(0)
	v_cmp_ne_u16_sdwa s7, v12, v19 src0_sel:BYTE_0 src1_sel:DWORD
	s_and_saveexec_b32 s8, s7
	s_cbranch_execz .LBB299_562
; %bb.555:                              ;   in Loop: Header=BB299_10 Depth=1
	v_cmp_ne_u16_sdwa s7, v12, v66 src0_sel:BYTE_0 src1_sel:DWORD
	v_mov_b32_e32 v3, 0x8000
	s_and_saveexec_b32 s24, s7
	s_cbranch_execz .LBB299_561
; %bb.556:                              ;   in Loop: Header=BB299_10 Depth=1
	v_and_b32_e32 v2, 0x7f, v12
	v_mov_b32_e32 v3, 0x7c01
	s_mov_b32 s25, exec_lo
	v_cmpx_ne_u32_e32 0x7f, v2
	s_cbranch_execz .LBB299_560
; %bb.557:                              ;   in Loop: Header=BB299_10 Depth=1
	v_and_b32_e32 v0, 7, v12
	v_lshrrev_b32_e32 v1, 3, v2
	s_mov_b32 s26, exec_lo
	v_cmpx_gt_u32_e32 8, v2
; %bb.558:                              ;   in Loop: Header=BB299_10 Depth=1
	v_ffbh_u32_e32 v0, v0
	v_min_u32_e32 v2, 32, v0
	v_subrev_nc_u32_e32 v0, 28, v2
	v_lshlrev_b64 v[0:1], v0, v[12:13]
	v_sub_nc_u32_e32 v1, 29, v2
	v_and_b32_e32 v0, 7, v0
; %bb.559:                              ;   in Loop: Header=BB299_10 Depth=1
	s_or_b32 exec_lo, exec_lo, s26
	v_lshlrev_b32_e32 v2, 8, v12
	v_lshl_add_u32 v1, v1, 10, 0x2000
	v_lshlrev_b32_e32 v0, 7, v0
	v_and_b32_e32 v2, 0x8000, v2
	v_and_b32_e32 v1, 0xfc00, v1
	v_or3_b32 v3, v2, v1, v0
.LBB299_560:                            ;   in Loop: Header=BB299_10 Depth=1
	s_or_b32 exec_lo, exec_lo, s25
.LBB299_561:                            ;   in Loop: Header=BB299_10 Depth=1
	s_or_b32 exec_lo, exec_lo, s24
.LBB299_562:                            ;   in Loop: Header=BB299_10 Depth=1
	s_or_b32 exec_lo, exec_lo, s8
	v_lshrrev_b16 v18, 8, v12
	s_mov_b32 s8, exec_lo
	v_cmpx_ne_u16_e32 0, v18
	s_cbranch_execz .LBB299_570
; %bb.563:                              ;   in Loop: Header=BB299_10 Depth=1
	v_bfrev_b32_e32 v23, 1
	s_mov_b32 s24, exec_lo
	v_cmpx_ne_u16_e32 0x80, v18
	s_cbranch_execz .LBB299_569
; %bb.564:                              ;   in Loop: Header=BB299_10 Depth=1
	v_mov_b32_e32 v0, 0x7f
	v_mov_b32_e32 v23, 0x7c010000
	s_mov_b32 s25, exec_lo
	v_and_b32_sdwa v2, v18, v0 dst_sel:DWORD dst_unused:UNUSED_PAD src0_sel:WORD_0 src1_sel:DWORD
	v_cmpx_ne_u32_e32 0x7f, v2
	s_cbranch_execz .LBB299_568
; %bb.565:                              ;   in Loop: Header=BB299_10 Depth=1
	v_mov_b32_e32 v0, 7
	v_lshrrev_b32_e32 v1, 3, v2
	s_mov_b32 s26, exec_lo
	v_and_b32_sdwa v0, v18, v0 dst_sel:DWORD dst_unused:UNUSED_PAD src0_sel:WORD_0 src1_sel:DWORD
	v_cmpx_gt_u32_e32 8, v2
; %bb.566:                              ;   in Loop: Header=BB299_10 Depth=1
	v_ffbh_u32_e32 v0, v0
	v_min_u32_e32 v2, 32, v0
	v_subrev_nc_u32_e32 v0, 28, v2
	v_lshlrev_b64 v[0:1], v0, v[18:19]
	v_sub_nc_u32_e32 v1, 29, v2
	v_and_b32_e32 v0, 7, v0
; %bb.567:                              ;   in Loop: Header=BB299_10 Depth=1
	s_or_b32 exec_lo, exec_lo, s26
	v_mov_b32_e32 v2, 8
	v_lshl_add_u32 v1, v1, 10, 0x2000
	v_lshlrev_b32_e32 v0, 23, v0
	v_lshlrev_b32_sdwa v2, v2, v18 dst_sel:DWORD dst_unused:UNUSED_PAD src0_sel:DWORD src1_sel:WORD_0
	v_and_or_b32 v1, 0x8000, v2, v1
	v_lshl_or_b32 v23, v1, 16, v0
.LBB299_568:                            ;   in Loop: Header=BB299_10 Depth=1
	s_or_b32 exec_lo, exec_lo, s25
.LBB299_569:                            ;   in Loop: Header=BB299_10 Depth=1
	s_or_b32 exec_lo, exec_lo, s24
.LBB299_570:                            ;   in Loop: Header=BB299_10 Depth=1
	s_or_b32 exec_lo, exec_lo, s8
	v_lshrrev_b32_e32 v18, 16, v12
	v_mov_b32_e32 v1, 0
	v_mov_b32_e32 v33, 0
	v_cmp_ne_u16_sdwa s7, v18, v19 src0_sel:BYTE_0 src1_sel:DWORD
	s_and_saveexec_b32 s8, s7
	s_cbranch_execz .LBB299_578
; %bb.571:                              ;   in Loop: Header=BB299_10 Depth=1
	v_cmp_ne_u16_sdwa s7, v18, v66 src0_sel:BYTE_0 src1_sel:DWORD
	v_mov_b32_e32 v33, 0x8000
	s_and_saveexec_b32 s24, s7
	s_cbranch_execz .LBB299_577
; %bb.572:                              ;   in Loop: Header=BB299_10 Depth=1
	v_bfe_u32 v6, v12, 16, 7
	v_mov_b32_e32 v33, 0x7c01
	s_mov_b32 s25, exec_lo
	v_cmpx_ne_u32_e32 0x7f, v6
	s_cbranch_execz .LBB299_576
; %bb.573:                              ;   in Loop: Header=BB299_10 Depth=1
	v_and_b32_e32 v0, 7, v18
	v_lshrrev_b32_e32 v2, 3, v6
	s_mov_b32 s26, exec_lo
	v_cmpx_gt_u32_e32 8, v6
; %bb.574:                              ;   in Loop: Header=BB299_10 Depth=1
	v_ffbh_u32_e32 v0, v0
	v_min_u32_e32 v0, 32, v0
	v_subrev_nc_u32_e32 v2, 28, v0
	v_lshlrev_b64 v[6:7], v2, v[18:19]
	v_sub_nc_u32_e32 v2, 29, v0
	v_and_b32_e32 v0, 7, v6
; %bb.575:                              ;   in Loop: Header=BB299_10 Depth=1
	s_or_b32 exec_lo, exec_lo, s26
	v_lshlrev_b32_e32 v6, 8, v18
	v_lshl_add_u32 v2, v2, 10, 0x2000
	v_lshlrev_b32_e32 v0, 7, v0
	v_and_b32_e32 v6, 0x8000, v6
	v_and_b32_e32 v2, 0xfc00, v2
	v_or3_b32 v33, v6, v2, v0
.LBB299_576:                            ;   in Loop: Header=BB299_10 Depth=1
	s_or_b32 exec_lo, exec_lo, s25
.LBB299_577:                            ;   in Loop: Header=BB299_10 Depth=1
	s_or_b32 exec_lo, exec_lo, s24
.LBB299_578:                            ;   in Loop: Header=BB299_10 Depth=1
	s_or_b32 exec_lo, exec_lo, s8
	s_mov_b32 s8, exec_lo
	v_cmpx_lt_u32_e32 0xffffff, v12
	s_cbranch_execz .LBB299_586
; %bb.579:                              ;   in Loop: Header=BB299_10 Depth=1
	v_lshrrev_b32_e32 v18, 24, v12
	v_bfrev_b32_e32 v1, 1
	s_mov_b32 s24, exec_lo
	v_cmpx_ne_u32_e32 0x80, v18
	s_cbranch_execz .LBB299_585
; %bb.580:                              ;   in Loop: Header=BB299_10 Depth=1
	v_and_b32_e32 v2, 0x7f, v18
	v_mov_b32_e32 v1, 0x7c010000
	s_mov_b32 s25, exec_lo
	v_cmpx_ne_u32_e32 0x7f, v2
	s_cbranch_execz .LBB299_584
; %bb.581:                              ;   in Loop: Header=BB299_10 Depth=1
	v_and_b32_e32 v0, 7, v18
	v_lshrrev_b32_e32 v1, 3, v2
	s_mov_b32 s26, exec_lo
	v_cmpx_gt_u32_e32 8, v2
; %bb.582:                              ;   in Loop: Header=BB299_10 Depth=1
	v_ffbh_u32_e32 v0, v0
	v_min_u32_e32 v2, 32, v0
	v_subrev_nc_u32_e32 v0, 28, v2
	v_lshlrev_b64 v[0:1], v0, v[18:19]
	v_sub_nc_u32_e32 v1, 29, v2
	v_and_b32_e32 v0, 7, v0
; %bb.583:                              ;   in Loop: Header=BB299_10 Depth=1
	s_or_b32 exec_lo, exec_lo, s26
	v_lshlrev_b32_e32 v2, 8, v18
	v_lshl_add_u32 v1, v1, 10, 0x2000
	v_lshlrev_b32_e32 v0, 23, v0
	v_and_or_b32 v1, 0x8000, v2, v1
	v_lshl_or_b32 v1, v1, 16, v0
.LBB299_584:                            ;   in Loop: Header=BB299_10 Depth=1
	s_or_b32 exec_lo, exec_lo, s25
.LBB299_585:                            ;   in Loop: Header=BB299_10 Depth=1
	s_or_b32 exec_lo, exec_lo, s24
.LBB299_586:                            ;   in Loop: Header=BB299_10 Depth=1
	s_or_b32 exec_lo, exec_lo, s8
	buffer_load_dword v6, off, s[0:3], s32 offset:192 ; 4-byte Folded Reload
	v_add_co_u32 v0, s7, 0x900, v28
	v_add_co_ci_u32_e64 v2, null, 0, v29, s7
	v_mov_b32_e32 v22, 0
	v_mov_b32_e32 v52, 0
	s_waitcnt vmcnt(0)
	v_add_co_u32 v6, s7, v0, v6
	v_add_co_ci_u32_e64 v7, null, 0, v2, s7
	flat_load_dword v12, v[6:7]
	s_waitcnt vmcnt(0) lgkmcnt(0)
	v_cmp_ne_u16_sdwa s7, v12, v19 src0_sel:BYTE_0 src1_sel:DWORD
	s_and_saveexec_b32 s8, s7
	s_cbranch_execz .LBB299_594
; %bb.587:                              ;   in Loop: Header=BB299_10 Depth=1
	v_cmp_ne_u16_sdwa s7, v12, v66 src0_sel:BYTE_0 src1_sel:DWORD
	v_mov_b32_e32 v52, 0x8000
	s_and_saveexec_b32 s24, s7
	s_cbranch_execz .LBB299_593
; %bb.588:                              ;   in Loop: Header=BB299_10 Depth=1
	v_and_b32_e32 v8, 0x7f, v12
	v_mov_b32_e32 v52, 0x7c01
	s_mov_b32 s25, exec_lo
	v_cmpx_ne_u32_e32 0x7f, v8
	s_cbranch_execz .LBB299_592
; %bb.589:                              ;   in Loop: Header=BB299_10 Depth=1
	v_and_b32_e32 v6, 7, v12
	v_lshrrev_b32_e32 v7, 3, v8
	s_mov_b32 s26, exec_lo
	v_cmpx_gt_u32_e32 8, v8
; %bb.590:                              ;   in Loop: Header=BB299_10 Depth=1
	v_ffbh_u32_e32 v6, v6
	v_min_u32_e32 v8, 32, v6
	v_subrev_nc_u32_e32 v6, 28, v8
	v_lshlrev_b64 v[6:7], v6, v[12:13]
	v_sub_nc_u32_e32 v7, 29, v8
	v_and_b32_e32 v6, 7, v6
; %bb.591:                              ;   in Loop: Header=BB299_10 Depth=1
	s_or_b32 exec_lo, exec_lo, s26
	v_lshlrev_b32_e32 v8, 8, v12
	v_lshl_add_u32 v7, v7, 10, 0x2000
	v_lshlrev_b32_e32 v6, 7, v6
	v_and_b32_e32 v8, 0x8000, v8
	v_and_b32_e32 v7, 0xfc00, v7
	v_or3_b32 v52, v8, v7, v6
.LBB299_592:                            ;   in Loop: Header=BB299_10 Depth=1
	s_or_b32 exec_lo, exec_lo, s25
.LBB299_593:                            ;   in Loop: Header=BB299_10 Depth=1
	s_or_b32 exec_lo, exec_lo, s24
.LBB299_594:                            ;   in Loop: Header=BB299_10 Depth=1
	s_or_b32 exec_lo, exec_lo, s8
	v_lshrrev_b16 v18, 8, v12
	s_mov_b32 s8, exec_lo
	v_cmpx_ne_u16_e32 0, v18
	s_cbranch_execz .LBB299_602
; %bb.595:                              ;   in Loop: Header=BB299_10 Depth=1
	v_bfrev_b32_e32 v22, 1
	s_mov_b32 s24, exec_lo
	v_cmpx_ne_u16_e32 0x80, v18
	s_cbranch_execz .LBB299_601
; %bb.596:                              ;   in Loop: Header=BB299_10 Depth=1
	v_mov_b32_e32 v6, 0x7f
	v_mov_b32_e32 v22, 0x7c010000
	s_mov_b32 s25, exec_lo
	v_and_b32_sdwa v8, v18, v6 dst_sel:DWORD dst_unused:UNUSED_PAD src0_sel:WORD_0 src1_sel:DWORD
	v_cmpx_ne_u32_e32 0x7f, v8
	s_cbranch_execz .LBB299_600
; %bb.597:                              ;   in Loop: Header=BB299_10 Depth=1
	v_mov_b32_e32 v6, 7
	v_lshrrev_b32_e32 v7, 3, v8
	s_mov_b32 s26, exec_lo
	v_and_b32_sdwa v6, v18, v6 dst_sel:DWORD dst_unused:UNUSED_PAD src0_sel:WORD_0 src1_sel:DWORD
	v_cmpx_gt_u32_e32 8, v8
; %bb.598:                              ;   in Loop: Header=BB299_10 Depth=1
	v_ffbh_u32_e32 v6, v6
	v_min_u32_e32 v8, 32, v6
	v_subrev_nc_u32_e32 v6, 28, v8
	v_lshlrev_b64 v[6:7], v6, v[18:19]
	v_sub_nc_u32_e32 v7, 29, v8
	v_and_b32_e32 v6, 7, v6
; %bb.599:                              ;   in Loop: Header=BB299_10 Depth=1
	s_or_b32 exec_lo, exec_lo, s26
	v_mov_b32_e32 v8, 8
	v_lshl_add_u32 v7, v7, 10, 0x2000
	v_lshlrev_b32_e32 v6, 23, v6
	v_lshlrev_b32_sdwa v8, v8, v18 dst_sel:DWORD dst_unused:UNUSED_PAD src0_sel:DWORD src1_sel:WORD_0
	v_and_or_b32 v7, 0x8000, v8, v7
	v_lshl_or_b32 v22, v7, 16, v6
.LBB299_600:                            ;   in Loop: Header=BB299_10 Depth=1
	s_or_b32 exec_lo, exec_lo, s25
.LBB299_601:                            ;   in Loop: Header=BB299_10 Depth=1
	s_or_b32 exec_lo, exec_lo, s24
.LBB299_602:                            ;   in Loop: Header=BB299_10 Depth=1
	s_or_b32 exec_lo, exec_lo, s8
	v_lshrrev_b32_e32 v18, 16, v12
	v_mov_b32_e32 v49, 0
	v_mov_b32_e32 v55, 0
	v_cmp_ne_u16_sdwa s7, v18, v19 src0_sel:BYTE_0 src1_sel:DWORD
	s_and_saveexec_b32 s8, s7
	s_cbranch_execz .LBB299_610
; %bb.603:                              ;   in Loop: Header=BB299_10 Depth=1
	v_cmp_ne_u16_sdwa s7, v18, v66 src0_sel:BYTE_0 src1_sel:DWORD
	v_mov_b32_e32 v55, 0x8000
	s_and_saveexec_b32 s24, s7
	s_cbranch_execz .LBB299_609
; %bb.604:                              ;   in Loop: Header=BB299_10 Depth=1
	v_bfe_u32 v8, v12, 16, 7
	v_mov_b32_e32 v55, 0x7c01
	s_mov_b32 s25, exec_lo
	v_cmpx_ne_u32_e32 0x7f, v8
	s_cbranch_execz .LBB299_608
; %bb.605:                              ;   in Loop: Header=BB299_10 Depth=1
	v_and_b32_e32 v6, 7, v18
	v_lshrrev_b32_e32 v7, 3, v8
	s_mov_b32 s26, exec_lo
	v_cmpx_gt_u32_e32 8, v8
; %bb.606:                              ;   in Loop: Header=BB299_10 Depth=1
	v_ffbh_u32_e32 v6, v6
	v_min_u32_e32 v8, 32, v6
	v_subrev_nc_u32_e32 v6, 28, v8
	v_lshlrev_b64 v[6:7], v6, v[18:19]
	v_sub_nc_u32_e32 v7, 29, v8
	v_and_b32_e32 v6, 7, v6
; %bb.607:                              ;   in Loop: Header=BB299_10 Depth=1
	s_or_b32 exec_lo, exec_lo, s26
	v_lshlrev_b32_e32 v8, 8, v18
	v_lshl_add_u32 v7, v7, 10, 0x2000
	v_lshlrev_b32_e32 v6, 7, v6
	v_and_b32_e32 v8, 0x8000, v8
	v_and_b32_e32 v7, 0xfc00, v7
	v_or3_b32 v55, v8, v7, v6
.LBB299_608:                            ;   in Loop: Header=BB299_10 Depth=1
	s_or_b32 exec_lo, exec_lo, s25
.LBB299_609:                            ;   in Loop: Header=BB299_10 Depth=1
	s_or_b32 exec_lo, exec_lo, s24
.LBB299_610:                            ;   in Loop: Header=BB299_10 Depth=1
	s_or_b32 exec_lo, exec_lo, s8
	s_mov_b32 s8, exec_lo
	v_cmpx_lt_u32_e32 0xffffff, v12
	s_cbranch_execz .LBB299_618
; %bb.611:                              ;   in Loop: Header=BB299_10 Depth=1
	v_lshrrev_b32_e32 v18, 24, v12
	v_bfrev_b32_e32 v49, 1
	s_mov_b32 s24, exec_lo
	v_cmpx_ne_u32_e32 0x80, v18
	s_cbranch_execz .LBB299_617
; %bb.612:                              ;   in Loop: Header=BB299_10 Depth=1
	v_and_b32_e32 v8, 0x7f, v18
	v_mov_b32_e32 v49, 0x7c010000
	s_mov_b32 s25, exec_lo
	v_cmpx_ne_u32_e32 0x7f, v8
	s_cbranch_execz .LBB299_616
; %bb.613:                              ;   in Loop: Header=BB299_10 Depth=1
	v_and_b32_e32 v6, 7, v18
	v_lshrrev_b32_e32 v7, 3, v8
	s_mov_b32 s26, exec_lo
	v_cmpx_gt_u32_e32 8, v8
; %bb.614:                              ;   in Loop: Header=BB299_10 Depth=1
	v_ffbh_u32_e32 v6, v6
	v_min_u32_e32 v8, 32, v6
	v_subrev_nc_u32_e32 v6, 28, v8
	v_lshlrev_b64 v[6:7], v6, v[18:19]
	v_sub_nc_u32_e32 v7, 29, v8
	v_and_b32_e32 v6, 7, v6
; %bb.615:                              ;   in Loop: Header=BB299_10 Depth=1
	s_or_b32 exec_lo, exec_lo, s26
	v_lshlrev_b32_e32 v8, 8, v18
	v_lshl_add_u32 v7, v7, 10, 0x2000
	v_lshlrev_b32_e32 v6, 23, v6
	v_and_or_b32 v7, 0x8000, v8, v7
	v_lshl_or_b32 v49, v7, 16, v6
.LBB299_616:                            ;   in Loop: Header=BB299_10 Depth=1
	s_or_b32 exec_lo, exec_lo, s25
.LBB299_617:                            ;   in Loop: Header=BB299_10 Depth=1
	s_or_b32 exec_lo, exec_lo, s24
.LBB299_618:                            ;   in Loop: Header=BB299_10 Depth=1
	s_or_b32 exec_lo, exec_lo, s8
	buffer_load_dword v6, off, s[0:3], s32 offset:196 ; 4-byte Folded Reload
	v_mov_b32_e32 v80, 0
	s_waitcnt vmcnt(0)
	v_add_co_u32 v6, s7, v0, v6
	v_add_co_ci_u32_e64 v7, null, 0, v2, s7
	flat_load_dword v12, v[6:7]
	v_mov_b32_e32 v6, 0
	s_waitcnt vmcnt(0) lgkmcnt(0)
	v_cmp_ne_u16_sdwa s7, v12, v19 src0_sel:BYTE_0 src1_sel:DWORD
	s_and_saveexec_b32 s8, s7
	s_cbranch_execz .LBB299_626
; %bb.619:                              ;   in Loop: Header=BB299_10 Depth=1
	v_cmp_ne_u16_sdwa s7, v12, v66 src0_sel:BYTE_0 src1_sel:DWORD
	v_mov_b32_e32 v6, 0x8000
	s_and_saveexec_b32 s24, s7
	s_cbranch_execz .LBB299_625
; %bb.620:                              ;   in Loop: Header=BB299_10 Depth=1
	v_and_b32_e32 v7, 0x7f, v12
	v_mov_b32_e32 v6, 0x7c01
	s_mov_b32 s25, exec_lo
	v_cmpx_ne_u32_e32 0x7f, v7
	s_cbranch_execz .LBB299_624
; %bb.621:                              ;   in Loop: Header=BB299_10 Depth=1
	v_and_b32_e32 v0, 7, v12
	v_lshrrev_b32_e32 v2, 3, v7
	s_mov_b32 s26, exec_lo
	v_cmpx_gt_u32_e32 8, v7
; %bb.622:                              ;   in Loop: Header=BB299_10 Depth=1
	v_ffbh_u32_e32 v0, v0
	v_min_u32_e32 v0, 32, v0
	v_subrev_nc_u32_e32 v2, 28, v0
	v_lshlrev_b64 v[6:7], v2, v[12:13]
	v_sub_nc_u32_e32 v2, 29, v0
	v_and_b32_e32 v0, 7, v6
; %bb.623:                              ;   in Loop: Header=BB299_10 Depth=1
	s_or_b32 exec_lo, exec_lo, s26
	v_lshlrev_b32_e32 v6, 8, v12
	v_lshl_add_u32 v2, v2, 10, 0x2000
	v_lshlrev_b32_e32 v0, 7, v0
	v_and_b32_e32 v6, 0x8000, v6
	v_and_b32_e32 v2, 0xfc00, v2
	v_or3_b32 v6, v6, v2, v0
.LBB299_624:                            ;   in Loop: Header=BB299_10 Depth=1
	s_or_b32 exec_lo, exec_lo, s25
.LBB299_625:                            ;   in Loop: Header=BB299_10 Depth=1
	s_or_b32 exec_lo, exec_lo, s24
.LBB299_626:                            ;   in Loop: Header=BB299_10 Depth=1
	s_or_b32 exec_lo, exec_lo, s8
	v_lshrrev_b16 v18, 8, v12
	s_mov_b32 s8, exec_lo
	v_cmpx_ne_u16_e32 0, v18
	s_cbranch_execz .LBB299_634
; %bb.627:                              ;   in Loop: Header=BB299_10 Depth=1
	v_bfrev_b32_e32 v80, 1
	s_mov_b32 s24, exec_lo
	v_cmpx_ne_u16_e32 0x80, v18
	s_cbranch_execz .LBB299_633
; %bb.628:                              ;   in Loop: Header=BB299_10 Depth=1
	v_mov_b32_e32 v0, 0x7f
	v_mov_b32_e32 v80, 0x7c010000
	s_mov_b32 s25, exec_lo
	v_and_b32_sdwa v7, v18, v0 dst_sel:DWORD dst_unused:UNUSED_PAD src0_sel:WORD_0 src1_sel:DWORD
	v_cmpx_ne_u32_e32 0x7f, v7
	s_cbranch_execz .LBB299_632
; %bb.629:                              ;   in Loop: Header=BB299_10 Depth=1
	v_mov_b32_e32 v0, 7
	v_lshrrev_b32_e32 v2, 3, v7
	s_mov_b32 s26, exec_lo
	v_and_b32_sdwa v0, v18, v0 dst_sel:DWORD dst_unused:UNUSED_PAD src0_sel:WORD_0 src1_sel:DWORD
	v_cmpx_gt_u32_e32 8, v7
; %bb.630:                              ;   in Loop: Header=BB299_10 Depth=1
	v_ffbh_u32_e32 v0, v0
	v_min_u32_e32 v0, 32, v0
	v_subrev_nc_u32_e32 v2, 28, v0
	v_lshlrev_b64 v[7:8], v2, v[18:19]
	v_sub_nc_u32_e32 v2, 29, v0
	v_and_b32_e32 v0, 7, v7
; %bb.631:                              ;   in Loop: Header=BB299_10 Depth=1
	s_or_b32 exec_lo, exec_lo, s26
	v_mov_b32_e32 v7, 8
	v_lshl_add_u32 v2, v2, 10, 0x2000
	v_lshlrev_b32_e32 v0, 23, v0
	v_lshlrev_b32_sdwa v7, v7, v18 dst_sel:DWORD dst_unused:UNUSED_PAD src0_sel:DWORD src1_sel:WORD_0
	v_and_or_b32 v2, 0x8000, v7, v2
	v_lshl_or_b32 v80, v2, 16, v0
.LBB299_632:                            ;   in Loop: Header=BB299_10 Depth=1
	s_or_b32 exec_lo, exec_lo, s25
.LBB299_633:                            ;   in Loop: Header=BB299_10 Depth=1
	s_or_b32 exec_lo, exec_lo, s24
.LBB299_634:                            ;   in Loop: Header=BB299_10 Depth=1
	s_or_b32 exec_lo, exec_lo, s8
	v_lshrrev_b32_e32 v18, 16, v12
	v_mov_b32_e32 v101, 0
	v_mov_b32_e32 v103, 0
	v_cmp_ne_u16_sdwa s7, v18, v19 src0_sel:BYTE_0 src1_sel:DWORD
	s_and_saveexec_b32 s8, s7
	s_cbranch_execz .LBB299_642
; %bb.635:                              ;   in Loop: Header=BB299_10 Depth=1
	v_cmp_ne_u16_sdwa s7, v18, v66 src0_sel:BYTE_0 src1_sel:DWORD
	v_mov_b32_e32 v103, 0x8000
	s_and_saveexec_b32 s24, s7
	s_cbranch_execz .LBB299_641
; %bb.636:                              ;   in Loop: Header=BB299_10 Depth=1
	v_bfe_u32 v7, v12, 16, 7
	v_mov_b32_e32 v103, 0x7c01
	s_mov_b32 s25, exec_lo
	v_cmpx_ne_u32_e32 0x7f, v7
	s_cbranch_execz .LBB299_640
; %bb.637:                              ;   in Loop: Header=BB299_10 Depth=1
	v_and_b32_e32 v0, 7, v18
	v_lshrrev_b32_e32 v2, 3, v7
	s_mov_b32 s26, exec_lo
	v_cmpx_gt_u32_e32 8, v7
; %bb.638:                              ;   in Loop: Header=BB299_10 Depth=1
	v_ffbh_u32_e32 v0, v0
	v_min_u32_e32 v0, 32, v0
	v_subrev_nc_u32_e32 v2, 28, v0
	v_lshlrev_b64 v[7:8], v2, v[18:19]
	v_sub_nc_u32_e32 v2, 29, v0
	v_and_b32_e32 v0, 7, v7
; %bb.639:                              ;   in Loop: Header=BB299_10 Depth=1
	s_or_b32 exec_lo, exec_lo, s26
	v_lshlrev_b32_e32 v7, 8, v18
	v_lshl_add_u32 v2, v2, 10, 0x2000
	v_lshlrev_b32_e32 v0, 7, v0
	v_and_b32_e32 v7, 0x8000, v7
	v_and_b32_e32 v2, 0xfc00, v2
	v_or3_b32 v103, v7, v2, v0
.LBB299_640:                            ;   in Loop: Header=BB299_10 Depth=1
	s_or_b32 exec_lo, exec_lo, s25
.LBB299_641:                            ;   in Loop: Header=BB299_10 Depth=1
	s_or_b32 exec_lo, exec_lo, s24
.LBB299_642:                            ;   in Loop: Header=BB299_10 Depth=1
	s_or_b32 exec_lo, exec_lo, s8
	s_mov_b32 s8, exec_lo
	v_cmpx_lt_u32_e32 0xffffff, v12
	s_cbranch_execz .LBB299_650
; %bb.643:                              ;   in Loop: Header=BB299_10 Depth=1
	v_lshrrev_b32_e32 v18, 24, v12
	v_bfrev_b32_e32 v101, 1
	s_mov_b32 s24, exec_lo
	v_cmpx_ne_u32_e32 0x80, v18
	s_cbranch_execz .LBB299_649
; %bb.644:                              ;   in Loop: Header=BB299_10 Depth=1
	v_and_b32_e32 v7, 0x7f, v18
	v_mov_b32_e32 v101, 0x7c010000
	s_mov_b32 s25, exec_lo
	v_cmpx_ne_u32_e32 0x7f, v7
	s_cbranch_execz .LBB299_648
; %bb.645:                              ;   in Loop: Header=BB299_10 Depth=1
	v_and_b32_e32 v0, 7, v18
	v_lshrrev_b32_e32 v2, 3, v7
	s_mov_b32 s26, exec_lo
	v_cmpx_gt_u32_e32 8, v7
; %bb.646:                              ;   in Loop: Header=BB299_10 Depth=1
	v_ffbh_u32_e32 v0, v0
	v_min_u32_e32 v0, 32, v0
	v_subrev_nc_u32_e32 v2, 28, v0
	v_lshlrev_b64 v[7:8], v2, v[18:19]
	v_sub_nc_u32_e32 v2, 29, v0
	v_and_b32_e32 v0, 7, v7
; %bb.647:                              ;   in Loop: Header=BB299_10 Depth=1
	s_or_b32 exec_lo, exec_lo, s26
	v_lshlrev_b32_e32 v7, 8, v18
	v_lshl_add_u32 v2, v2, 10, 0x2000
	v_lshlrev_b32_e32 v0, 23, v0
	v_and_or_b32 v2, 0x8000, v7, v2
	v_lshl_or_b32 v101, v2, 16, v0
.LBB299_648:                            ;   in Loop: Header=BB299_10 Depth=1
	s_or_b32 exec_lo, exec_lo, s25
.LBB299_649:                            ;   in Loop: Header=BB299_10 Depth=1
	s_or_b32 exec_lo, exec_lo, s24
.LBB299_650:                            ;   in Loop: Header=BB299_10 Depth=1
	s_or_b32 exec_lo, exec_lo, s8
	buffer_load_dword v7, off, s[0:3], s32 offset:192 ; 4-byte Folded Reload
	v_add_co_u32 v0, s7, 0xa00, v28
	v_add_co_ci_u32_e64 v2, null, 0, v29, s7
	v_mov_b32_e32 v97, 0
	v_mov_b32_e32 v99, 0
	s_waitcnt vmcnt(0)
	v_add_co_u32 v7, s7, v0, v7
	v_add_co_ci_u32_e64 v8, null, 0, v2, s7
	flat_load_dword v12, v[7:8]
	s_waitcnt vmcnt(0) lgkmcnt(0)
	v_cmp_ne_u16_sdwa s7, v12, v19 src0_sel:BYTE_0 src1_sel:DWORD
	s_and_saveexec_b32 s8, s7
	s_cbranch_execz .LBB299_658
; %bb.651:                              ;   in Loop: Header=BB299_10 Depth=1
	v_cmp_ne_u16_sdwa s7, v12, v66 src0_sel:BYTE_0 src1_sel:DWORD
	v_mov_b32_e32 v99, 0x8000
	s_and_saveexec_b32 s24, s7
	s_cbranch_execz .LBB299_657
; %bb.652:                              ;   in Loop: Header=BB299_10 Depth=1
	v_and_b32_e32 v9, 0x7f, v12
	v_mov_b32_e32 v99, 0x7c01
	s_mov_b32 s25, exec_lo
	v_cmpx_ne_u32_e32 0x7f, v9
	s_cbranch_execz .LBB299_656
; %bb.653:                              ;   in Loop: Header=BB299_10 Depth=1
	v_and_b32_e32 v7, 7, v12
	v_lshrrev_b32_e32 v8, 3, v9
	s_mov_b32 s26, exec_lo
	v_cmpx_gt_u32_e32 8, v9
; %bb.654:                              ;   in Loop: Header=BB299_10 Depth=1
	v_ffbh_u32_e32 v7, v7
	v_min_u32_e32 v9, 32, v7
	v_subrev_nc_u32_e32 v7, 28, v9
	v_lshlrev_b64 v[7:8], v7, v[12:13]
	v_sub_nc_u32_e32 v8, 29, v9
	v_and_b32_e32 v7, 7, v7
; %bb.655:                              ;   in Loop: Header=BB299_10 Depth=1
	s_or_b32 exec_lo, exec_lo, s26
	v_lshlrev_b32_e32 v9, 8, v12
	v_lshl_add_u32 v8, v8, 10, 0x2000
	v_lshlrev_b32_e32 v7, 7, v7
	v_and_b32_e32 v9, 0x8000, v9
	v_and_b32_e32 v8, 0xfc00, v8
	v_or3_b32 v99, v9, v8, v7
.LBB299_656:                            ;   in Loop: Header=BB299_10 Depth=1
	s_or_b32 exec_lo, exec_lo, s25
.LBB299_657:                            ;   in Loop: Header=BB299_10 Depth=1
	s_or_b32 exec_lo, exec_lo, s24
.LBB299_658:                            ;   in Loop: Header=BB299_10 Depth=1
	s_or_b32 exec_lo, exec_lo, s8
	v_lshrrev_b16 v18, 8, v12
	s_mov_b32 s8, exec_lo
	v_cmpx_ne_u16_e32 0, v18
	s_cbranch_execz .LBB299_666
; %bb.659:                              ;   in Loop: Header=BB299_10 Depth=1
	v_bfrev_b32_e32 v97, 1
	s_mov_b32 s24, exec_lo
	v_cmpx_ne_u16_e32 0x80, v18
	s_cbranch_execz .LBB299_665
; %bb.660:                              ;   in Loop: Header=BB299_10 Depth=1
	v_mov_b32_e32 v7, 0x7f
	v_mov_b32_e32 v97, 0x7c010000
	s_mov_b32 s25, exec_lo
	v_and_b32_sdwa v9, v18, v7 dst_sel:DWORD dst_unused:UNUSED_PAD src0_sel:WORD_0 src1_sel:DWORD
	v_cmpx_ne_u32_e32 0x7f, v9
	s_cbranch_execz .LBB299_664
; %bb.661:                              ;   in Loop: Header=BB299_10 Depth=1
	v_mov_b32_e32 v7, 7
	v_lshrrev_b32_e32 v8, 3, v9
	s_mov_b32 s26, exec_lo
	v_and_b32_sdwa v7, v18, v7 dst_sel:DWORD dst_unused:UNUSED_PAD src0_sel:WORD_0 src1_sel:DWORD
	v_cmpx_gt_u32_e32 8, v9
; %bb.662:                              ;   in Loop: Header=BB299_10 Depth=1
	v_ffbh_u32_e32 v7, v7
	v_min_u32_e32 v9, 32, v7
	v_subrev_nc_u32_e32 v7, 28, v9
	v_lshlrev_b64 v[7:8], v7, v[18:19]
	v_sub_nc_u32_e32 v8, 29, v9
	v_and_b32_e32 v7, 7, v7
; %bb.663:                              ;   in Loop: Header=BB299_10 Depth=1
	s_or_b32 exec_lo, exec_lo, s26
	v_mov_b32_e32 v9, 8
	v_lshl_add_u32 v8, v8, 10, 0x2000
	v_lshlrev_b32_e32 v7, 23, v7
	v_lshlrev_b32_sdwa v9, v9, v18 dst_sel:DWORD dst_unused:UNUSED_PAD src0_sel:DWORD src1_sel:WORD_0
	v_and_or_b32 v8, 0x8000, v9, v8
	v_lshl_or_b32 v97, v8, 16, v7
.LBB299_664:                            ;   in Loop: Header=BB299_10 Depth=1
	s_or_b32 exec_lo, exec_lo, s25
.LBB299_665:                            ;   in Loop: Header=BB299_10 Depth=1
	s_or_b32 exec_lo, exec_lo, s24
.LBB299_666:                            ;   in Loop: Header=BB299_10 Depth=1
	s_or_b32 exec_lo, exec_lo, s8
	v_lshrrev_b32_e32 v18, 16, v12
	v_mov_b32_e32 v117, 0
	v_mov_b32_e32 v119, 0
	v_cmp_ne_u16_sdwa s7, v18, v19 src0_sel:BYTE_0 src1_sel:DWORD
	s_and_saveexec_b32 s8, s7
	s_cbranch_execz .LBB299_674
; %bb.667:                              ;   in Loop: Header=BB299_10 Depth=1
	v_cmp_ne_u16_sdwa s7, v18, v66 src0_sel:BYTE_0 src1_sel:DWORD
	v_mov_b32_e32 v119, 0x8000
	s_and_saveexec_b32 s24, s7
	s_cbranch_execz .LBB299_673
; %bb.668:                              ;   in Loop: Header=BB299_10 Depth=1
	v_bfe_u32 v9, v12, 16, 7
	v_mov_b32_e32 v119, 0x7c01
	s_mov_b32 s25, exec_lo
	v_cmpx_ne_u32_e32 0x7f, v9
	s_cbranch_execz .LBB299_672
; %bb.669:                              ;   in Loop: Header=BB299_10 Depth=1
	v_and_b32_e32 v7, 7, v18
	v_lshrrev_b32_e32 v8, 3, v9
	s_mov_b32 s26, exec_lo
	v_cmpx_gt_u32_e32 8, v9
; %bb.670:                              ;   in Loop: Header=BB299_10 Depth=1
	v_ffbh_u32_e32 v7, v7
	v_min_u32_e32 v9, 32, v7
	v_subrev_nc_u32_e32 v7, 28, v9
	v_lshlrev_b64 v[7:8], v7, v[18:19]
	v_sub_nc_u32_e32 v8, 29, v9
	v_and_b32_e32 v7, 7, v7
; %bb.671:                              ;   in Loop: Header=BB299_10 Depth=1
	s_or_b32 exec_lo, exec_lo, s26
	v_lshlrev_b32_e32 v9, 8, v18
	v_lshl_add_u32 v8, v8, 10, 0x2000
	v_lshlrev_b32_e32 v7, 7, v7
	v_and_b32_e32 v9, 0x8000, v9
	v_and_b32_e32 v8, 0xfc00, v8
	v_or3_b32 v119, v9, v8, v7
.LBB299_672:                            ;   in Loop: Header=BB299_10 Depth=1
	s_or_b32 exec_lo, exec_lo, s25
.LBB299_673:                            ;   in Loop: Header=BB299_10 Depth=1
	s_or_b32 exec_lo, exec_lo, s24
.LBB299_674:                            ;   in Loop: Header=BB299_10 Depth=1
	s_or_b32 exec_lo, exec_lo, s8
	s_mov_b32 s8, exec_lo
	v_cmpx_lt_u32_e32 0xffffff, v12
	s_cbranch_execz .LBB299_682
; %bb.675:                              ;   in Loop: Header=BB299_10 Depth=1
	v_lshrrev_b32_e32 v18, 24, v12
	v_bfrev_b32_e32 v117, 1
	s_mov_b32 s24, exec_lo
	v_cmpx_ne_u32_e32 0x80, v18
	s_cbranch_execz .LBB299_681
; %bb.676:                              ;   in Loop: Header=BB299_10 Depth=1
	v_and_b32_e32 v9, 0x7f, v18
	v_mov_b32_e32 v117, 0x7c010000
	s_mov_b32 s25, exec_lo
	v_cmpx_ne_u32_e32 0x7f, v9
	s_cbranch_execz .LBB299_680
; %bb.677:                              ;   in Loop: Header=BB299_10 Depth=1
	v_and_b32_e32 v7, 7, v18
	v_lshrrev_b32_e32 v8, 3, v9
	s_mov_b32 s26, exec_lo
	v_cmpx_gt_u32_e32 8, v9
; %bb.678:                              ;   in Loop: Header=BB299_10 Depth=1
	v_ffbh_u32_e32 v7, v7
	v_min_u32_e32 v9, 32, v7
	v_subrev_nc_u32_e32 v7, 28, v9
	v_lshlrev_b64 v[7:8], v7, v[18:19]
	v_sub_nc_u32_e32 v8, 29, v9
	v_and_b32_e32 v7, 7, v7
; %bb.679:                              ;   in Loop: Header=BB299_10 Depth=1
	s_or_b32 exec_lo, exec_lo, s26
	v_lshlrev_b32_e32 v9, 8, v18
	v_lshl_add_u32 v8, v8, 10, 0x2000
	v_lshlrev_b32_e32 v7, 23, v7
	v_and_or_b32 v8, 0x8000, v9, v8
	v_lshl_or_b32 v117, v8, 16, v7
.LBB299_680:                            ;   in Loop: Header=BB299_10 Depth=1
	s_or_b32 exec_lo, exec_lo, s25
.LBB299_681:                            ;   in Loop: Header=BB299_10 Depth=1
	s_or_b32 exec_lo, exec_lo, s24
.LBB299_682:                            ;   in Loop: Header=BB299_10 Depth=1
	s_or_b32 exec_lo, exec_lo, s8
	buffer_load_dword v7, off, s[0:3], s32 offset:196 ; 4-byte Folded Reload
	v_mov_b32_e32 v83, 0
	s_waitcnt vmcnt(0)
	v_add_co_u32 v7, s7, v0, v7
	v_add_co_ci_u32_e64 v8, null, 0, v2, s7
	flat_load_dword v12, v[7:8]
	v_mov_b32_e32 v7, 0
	s_waitcnt vmcnt(0) lgkmcnt(0)
	v_cmp_ne_u16_sdwa s7, v12, v19 src0_sel:BYTE_0 src1_sel:DWORD
	s_and_saveexec_b32 s8, s7
	s_cbranch_execz .LBB299_690
; %bb.683:                              ;   in Loop: Header=BB299_10 Depth=1
	v_cmp_ne_u16_sdwa s7, v12, v66 src0_sel:BYTE_0 src1_sel:DWORD
	v_mov_b32_e32 v83, 0x8000
	s_and_saveexec_b32 s24, s7
	s_cbranch_execz .LBB299_689
; %bb.684:                              ;   in Loop: Header=BB299_10 Depth=1
	v_and_b32_e32 v8, 0x7f, v12
	v_mov_b32_e32 v83, 0x7c01
	s_mov_b32 s25, exec_lo
	v_cmpx_ne_u32_e32 0x7f, v8
	s_cbranch_execz .LBB299_688
; %bb.685:                              ;   in Loop: Header=BB299_10 Depth=1
	v_and_b32_e32 v0, 7, v12
	v_lshrrev_b32_e32 v2, 3, v8
	s_mov_b32 s26, exec_lo
	v_cmpx_gt_u32_e32 8, v8
; %bb.686:                              ;   in Loop: Header=BB299_10 Depth=1
	v_ffbh_u32_e32 v0, v0
	v_min_u32_e32 v0, 32, v0
	v_subrev_nc_u32_e32 v2, 28, v0
	v_lshlrev_b64 v[8:9], v2, v[12:13]
	v_sub_nc_u32_e32 v2, 29, v0
	v_and_b32_e32 v0, 7, v8
; %bb.687:                              ;   in Loop: Header=BB299_10 Depth=1
	s_or_b32 exec_lo, exec_lo, s26
	v_lshlrev_b32_e32 v8, 8, v12
	v_lshl_add_u32 v2, v2, 10, 0x2000
	v_lshlrev_b32_e32 v0, 7, v0
	v_and_b32_e32 v8, 0x8000, v8
	v_and_b32_e32 v2, 0xfc00, v2
	v_or3_b32 v83, v8, v2, v0
.LBB299_688:                            ;   in Loop: Header=BB299_10 Depth=1
	s_or_b32 exec_lo, exec_lo, s25
.LBB299_689:                            ;   in Loop: Header=BB299_10 Depth=1
	s_or_b32 exec_lo, exec_lo, s24
.LBB299_690:                            ;   in Loop: Header=BB299_10 Depth=1
	s_or_b32 exec_lo, exec_lo, s8
	v_lshrrev_b16 v18, 8, v12
	s_mov_b32 s8, exec_lo
	v_cmpx_ne_u16_e32 0, v18
	s_cbranch_execz .LBB299_698
; %bb.691:                              ;   in Loop: Header=BB299_10 Depth=1
	v_bfrev_b32_e32 v7, 1
	s_mov_b32 s24, exec_lo
	v_cmpx_ne_u16_e32 0x80, v18
	s_cbranch_execz .LBB299_697
; %bb.692:                              ;   in Loop: Header=BB299_10 Depth=1
	v_mov_b32_e32 v0, 0x7f
	v_mov_b32_e32 v7, 0x7c010000
	s_mov_b32 s25, exec_lo
	v_and_b32_sdwa v8, v18, v0 dst_sel:DWORD dst_unused:UNUSED_PAD src0_sel:WORD_0 src1_sel:DWORD
	v_cmpx_ne_u32_e32 0x7f, v8
	s_cbranch_execz .LBB299_696
; %bb.693:                              ;   in Loop: Header=BB299_10 Depth=1
	v_mov_b32_e32 v0, 7
	v_lshrrev_b32_e32 v2, 3, v8
	s_mov_b32 s26, exec_lo
	v_and_b32_sdwa v0, v18, v0 dst_sel:DWORD dst_unused:UNUSED_PAD src0_sel:WORD_0 src1_sel:DWORD
	v_cmpx_gt_u32_e32 8, v8
; %bb.694:                              ;   in Loop: Header=BB299_10 Depth=1
	v_ffbh_u32_e32 v0, v0
	v_min_u32_e32 v0, 32, v0
	v_subrev_nc_u32_e32 v2, 28, v0
	v_lshlrev_b64 v[7:8], v2, v[18:19]
	v_sub_nc_u32_e32 v2, 29, v0
	v_and_b32_e32 v0, 7, v7
; %bb.695:                              ;   in Loop: Header=BB299_10 Depth=1
	s_or_b32 exec_lo, exec_lo, s26
	v_mov_b32_e32 v7, 8
	v_lshl_add_u32 v2, v2, 10, 0x2000
	v_lshlrev_b32_e32 v0, 23, v0
	v_lshlrev_b32_sdwa v7, v7, v18 dst_sel:DWORD dst_unused:UNUSED_PAD src0_sel:DWORD src1_sel:WORD_0
	v_and_or_b32 v2, 0x8000, v7, v2
	v_lshl_or_b32 v7, v2, 16, v0
.LBB299_696:                            ;   in Loop: Header=BB299_10 Depth=1
	s_or_b32 exec_lo, exec_lo, s25
.LBB299_697:                            ;   in Loop: Header=BB299_10 Depth=1
	s_or_b32 exec_lo, exec_lo, s24
.LBB299_698:                            ;   in Loop: Header=BB299_10 Depth=1
	s_or_b32 exec_lo, exec_lo, s8
	v_lshrrev_b32_e32 v18, 16, v12
	v_mov_b32_e32 v113, 0
	v_mov_b32_e32 v85, 0
	v_cmp_ne_u16_sdwa s7, v18, v19 src0_sel:BYTE_0 src1_sel:DWORD
	s_and_saveexec_b32 s8, s7
	s_cbranch_execz .LBB299_706
; %bb.699:                              ;   in Loop: Header=BB299_10 Depth=1
	v_cmp_ne_u16_sdwa s7, v18, v66 src0_sel:BYTE_0 src1_sel:DWORD
	v_mov_b32_e32 v85, 0x8000
	s_and_saveexec_b32 s24, s7
	s_cbranch_execz .LBB299_705
; %bb.700:                              ;   in Loop: Header=BB299_10 Depth=1
	v_bfe_u32 v8, v12, 16, 7
	v_mov_b32_e32 v85, 0x7c01
	s_mov_b32 s25, exec_lo
	v_cmpx_ne_u32_e32 0x7f, v8
	s_cbranch_execz .LBB299_704
; %bb.701:                              ;   in Loop: Header=BB299_10 Depth=1
	v_and_b32_e32 v0, 7, v18
	v_lshrrev_b32_e32 v2, 3, v8
	s_mov_b32 s26, exec_lo
	v_cmpx_gt_u32_e32 8, v8
; %bb.702:                              ;   in Loop: Header=BB299_10 Depth=1
	v_ffbh_u32_e32 v0, v0
	v_min_u32_e32 v0, 32, v0
	v_subrev_nc_u32_e32 v2, 28, v0
	v_lshlrev_b64 v[8:9], v2, v[18:19]
	v_sub_nc_u32_e32 v2, 29, v0
	v_and_b32_e32 v0, 7, v8
; %bb.703:                              ;   in Loop: Header=BB299_10 Depth=1
	s_or_b32 exec_lo, exec_lo, s26
	v_lshlrev_b32_e32 v8, 8, v18
	v_lshl_add_u32 v2, v2, 10, 0x2000
	v_lshlrev_b32_e32 v0, 7, v0
	v_and_b32_e32 v8, 0x8000, v8
	v_and_b32_e32 v2, 0xfc00, v2
	v_or3_b32 v85, v8, v2, v0
.LBB299_704:                            ;   in Loop: Header=BB299_10 Depth=1
	s_or_b32 exec_lo, exec_lo, s25
.LBB299_705:                            ;   in Loop: Header=BB299_10 Depth=1
	s_or_b32 exec_lo, exec_lo, s24
.LBB299_706:                            ;   in Loop: Header=BB299_10 Depth=1
	s_or_b32 exec_lo, exec_lo, s8
	s_mov_b32 s8, exec_lo
	v_cmpx_lt_u32_e32 0xffffff, v12
	s_cbranch_execz .LBB299_714
; %bb.707:                              ;   in Loop: Header=BB299_10 Depth=1
	v_lshrrev_b32_e32 v18, 24, v12
	v_bfrev_b32_e32 v113, 1
	s_mov_b32 s24, exec_lo
	v_cmpx_ne_u32_e32 0x80, v18
	s_cbranch_execz .LBB299_713
; %bb.708:                              ;   in Loop: Header=BB299_10 Depth=1
	v_and_b32_e32 v8, 0x7f, v18
	v_mov_b32_e32 v113, 0x7c010000
	s_mov_b32 s25, exec_lo
	v_cmpx_ne_u32_e32 0x7f, v8
	s_cbranch_execz .LBB299_712
; %bb.709:                              ;   in Loop: Header=BB299_10 Depth=1
	v_and_b32_e32 v0, 7, v18
	v_lshrrev_b32_e32 v2, 3, v8
	s_mov_b32 s26, exec_lo
	v_cmpx_gt_u32_e32 8, v8
; %bb.710:                              ;   in Loop: Header=BB299_10 Depth=1
	v_ffbh_u32_e32 v0, v0
	v_min_u32_e32 v0, 32, v0
	v_subrev_nc_u32_e32 v2, 28, v0
	v_lshlrev_b64 v[8:9], v2, v[18:19]
	v_sub_nc_u32_e32 v2, 29, v0
	v_and_b32_e32 v0, 7, v8
; %bb.711:                              ;   in Loop: Header=BB299_10 Depth=1
	s_or_b32 exec_lo, exec_lo, s26
	v_lshlrev_b32_e32 v8, 8, v18
	v_lshl_add_u32 v2, v2, 10, 0x2000
	v_lshlrev_b32_e32 v0, 23, v0
	v_and_or_b32 v2, 0x8000, v8, v2
	v_lshl_or_b32 v113, v2, 16, v0
.LBB299_712:                            ;   in Loop: Header=BB299_10 Depth=1
	s_or_b32 exec_lo, exec_lo, s25
.LBB299_713:                            ;   in Loop: Header=BB299_10 Depth=1
	s_or_b32 exec_lo, exec_lo, s24
.LBB299_714:                            ;   in Loop: Header=BB299_10 Depth=1
	s_or_b32 exec_lo, exec_lo, s8
	buffer_load_dword v8, off, s[0:3], s32 offset:192 ; 4-byte Folded Reload
	v_add_co_u32 v0, s7, 0xb00, v28
	v_add_co_ci_u32_e64 v2, null, 0, v29, s7
	v_mov_b32_e32 v53, 0
	v_mov_b32_e32 v67, 0
	s_waitcnt vmcnt(0)
	v_add_co_u32 v8, s7, v0, v8
	v_add_co_ci_u32_e64 v9, null, 0, v2, s7
	flat_load_dword v12, v[8:9]
	s_waitcnt vmcnt(0) lgkmcnt(0)
	v_cmp_ne_u16_sdwa s7, v12, v19 src0_sel:BYTE_0 src1_sel:DWORD
	s_and_saveexec_b32 s8, s7
	s_cbranch_execz .LBB299_722
; %bb.715:                              ;   in Loop: Header=BB299_10 Depth=1
	v_cmp_ne_u16_sdwa s7, v12, v66 src0_sel:BYTE_0 src1_sel:DWORD
	v_mov_b32_e32 v67, 0x8000
	s_and_saveexec_b32 s24, s7
	s_cbranch_execz .LBB299_721
; %bb.716:                              ;   in Loop: Header=BB299_10 Depth=1
	v_and_b32_e32 v11, 0x7f, v12
	v_mov_b32_e32 v67, 0x7c01
	s_mov_b32 s25, exec_lo
	v_cmpx_ne_u32_e32 0x7f, v11
	s_cbranch_execz .LBB299_720
; %bb.717:                              ;   in Loop: Header=BB299_10 Depth=1
	v_and_b32_e32 v8, 7, v12
	v_lshrrev_b32_e32 v9, 3, v11
	s_mov_b32 s26, exec_lo
	v_cmpx_gt_u32_e32 8, v11
; %bb.718:                              ;   in Loop: Header=BB299_10 Depth=1
	v_ffbh_u32_e32 v8, v8
	v_min_u32_e32 v11, 32, v8
	v_subrev_nc_u32_e32 v8, 28, v11
	v_lshlrev_b64 v[8:9], v8, v[12:13]
	v_sub_nc_u32_e32 v9, 29, v11
	v_and_b32_e32 v8, 7, v8
; %bb.719:                              ;   in Loop: Header=BB299_10 Depth=1
	s_or_b32 exec_lo, exec_lo, s26
	v_lshlrev_b32_e32 v11, 8, v12
	v_lshl_add_u32 v9, v9, 10, 0x2000
	v_lshlrev_b32_e32 v8, 7, v8
	v_and_b32_e32 v11, 0x8000, v11
	v_and_b32_e32 v9, 0xfc00, v9
	v_or3_b32 v67, v11, v9, v8
.LBB299_720:                            ;   in Loop: Header=BB299_10 Depth=1
	s_or_b32 exec_lo, exec_lo, s25
.LBB299_721:                            ;   in Loop: Header=BB299_10 Depth=1
	s_or_b32 exec_lo, exec_lo, s24
.LBB299_722:                            ;   in Loop: Header=BB299_10 Depth=1
	s_or_b32 exec_lo, exec_lo, s8
	v_lshrrev_b16 v18, 8, v12
	s_mov_b32 s8, exec_lo
	v_cmpx_ne_u16_e32 0, v18
	s_cbranch_execz .LBB299_730
; %bb.723:                              ;   in Loop: Header=BB299_10 Depth=1
	v_bfrev_b32_e32 v53, 1
	s_mov_b32 s24, exec_lo
	v_cmpx_ne_u16_e32 0x80, v18
	s_cbranch_execz .LBB299_729
; %bb.724:                              ;   in Loop: Header=BB299_10 Depth=1
	v_mov_b32_e32 v8, 0x7f
	v_mov_b32_e32 v53, 0x7c010000
	s_mov_b32 s25, exec_lo
	v_and_b32_sdwa v11, v18, v8 dst_sel:DWORD dst_unused:UNUSED_PAD src0_sel:WORD_0 src1_sel:DWORD
	v_cmpx_ne_u32_e32 0x7f, v11
	s_cbranch_execz .LBB299_728
; %bb.725:                              ;   in Loop: Header=BB299_10 Depth=1
	v_mov_b32_e32 v8, 7
	v_lshrrev_b32_e32 v9, 3, v11
	s_mov_b32 s26, exec_lo
	v_and_b32_sdwa v8, v18, v8 dst_sel:DWORD dst_unused:UNUSED_PAD src0_sel:WORD_0 src1_sel:DWORD
	v_cmpx_gt_u32_e32 8, v11
; %bb.726:                              ;   in Loop: Header=BB299_10 Depth=1
	v_ffbh_u32_e32 v8, v8
	v_min_u32_e32 v11, 32, v8
	v_subrev_nc_u32_e32 v8, 28, v11
	v_lshlrev_b64 v[8:9], v8, v[18:19]
	v_sub_nc_u32_e32 v9, 29, v11
	v_and_b32_e32 v8, 7, v8
; %bb.727:                              ;   in Loop: Header=BB299_10 Depth=1
	s_or_b32 exec_lo, exec_lo, s26
	v_mov_b32_e32 v11, 8
	v_lshl_add_u32 v9, v9, 10, 0x2000
	v_lshlrev_b32_e32 v8, 23, v8
	v_lshlrev_b32_sdwa v11, v11, v18 dst_sel:DWORD dst_unused:UNUSED_PAD src0_sel:DWORD src1_sel:WORD_0
	v_and_or_b32 v9, 0x8000, v11, v9
	v_lshl_or_b32 v53, v9, 16, v8
.LBB299_728:                            ;   in Loop: Header=BB299_10 Depth=1
	s_or_b32 exec_lo, exec_lo, s25
.LBB299_729:                            ;   in Loop: Header=BB299_10 Depth=1
	s_or_b32 exec_lo, exec_lo, s24
.LBB299_730:                            ;   in Loop: Header=BB299_10 Depth=1
	s_or_b32 exec_lo, exec_lo, s8
	v_lshrrev_b32_e32 v18, 16, v12
	v_mov_b32_e32 v68, 0
	v_mov_b32_e32 v69, 0
	v_cmp_ne_u16_sdwa s7, v18, v19 src0_sel:BYTE_0 src1_sel:DWORD
	s_and_saveexec_b32 s8, s7
	s_cbranch_execz .LBB299_738
; %bb.731:                              ;   in Loop: Header=BB299_10 Depth=1
	v_cmp_ne_u16_sdwa s7, v18, v66 src0_sel:BYTE_0 src1_sel:DWORD
	v_mov_b32_e32 v69, 0x8000
	s_and_saveexec_b32 s24, s7
	s_cbranch_execz .LBB299_737
; %bb.732:                              ;   in Loop: Header=BB299_10 Depth=1
	v_bfe_u32 v11, v12, 16, 7
	v_mov_b32_e32 v69, 0x7c01
	s_mov_b32 s25, exec_lo
	v_cmpx_ne_u32_e32 0x7f, v11
	s_cbranch_execz .LBB299_736
; %bb.733:                              ;   in Loop: Header=BB299_10 Depth=1
	v_and_b32_e32 v8, 7, v18
	v_lshrrev_b32_e32 v9, 3, v11
	s_mov_b32 s26, exec_lo
	v_cmpx_gt_u32_e32 8, v11
; %bb.734:                              ;   in Loop: Header=BB299_10 Depth=1
	v_ffbh_u32_e32 v8, v8
	v_min_u32_e32 v11, 32, v8
	v_subrev_nc_u32_e32 v8, 28, v11
	v_lshlrev_b64 v[8:9], v8, v[18:19]
	v_sub_nc_u32_e32 v9, 29, v11
	v_and_b32_e32 v8, 7, v8
; %bb.735:                              ;   in Loop: Header=BB299_10 Depth=1
	s_or_b32 exec_lo, exec_lo, s26
	v_lshlrev_b32_e32 v11, 8, v18
	v_lshl_add_u32 v9, v9, 10, 0x2000
	v_lshlrev_b32_e32 v8, 7, v8
	v_and_b32_e32 v11, 0x8000, v11
	v_and_b32_e32 v9, 0xfc00, v9
	v_or3_b32 v69, v11, v9, v8
.LBB299_736:                            ;   in Loop: Header=BB299_10 Depth=1
	s_or_b32 exec_lo, exec_lo, s25
.LBB299_737:                            ;   in Loop: Header=BB299_10 Depth=1
	s_or_b32 exec_lo, exec_lo, s24
.LBB299_738:                            ;   in Loop: Header=BB299_10 Depth=1
	s_or_b32 exec_lo, exec_lo, s8
	s_mov_b32 s8, exec_lo
	v_cmpx_lt_u32_e32 0xffffff, v12
	s_cbranch_execz .LBB299_746
; %bb.739:                              ;   in Loop: Header=BB299_10 Depth=1
	v_lshrrev_b32_e32 v18, 24, v12
	v_bfrev_b32_e32 v68, 1
	s_mov_b32 s24, exec_lo
	v_cmpx_ne_u32_e32 0x80, v18
	s_cbranch_execz .LBB299_745
; %bb.740:                              ;   in Loop: Header=BB299_10 Depth=1
	v_and_b32_e32 v11, 0x7f, v18
	v_mov_b32_e32 v68, 0x7c010000
	s_mov_b32 s25, exec_lo
	v_cmpx_ne_u32_e32 0x7f, v11
	s_cbranch_execz .LBB299_744
; %bb.741:                              ;   in Loop: Header=BB299_10 Depth=1
	v_and_b32_e32 v8, 7, v18
	v_lshrrev_b32_e32 v9, 3, v11
	s_mov_b32 s26, exec_lo
	v_cmpx_gt_u32_e32 8, v11
; %bb.742:                              ;   in Loop: Header=BB299_10 Depth=1
	v_ffbh_u32_e32 v8, v8
	v_min_u32_e32 v11, 32, v8
	v_subrev_nc_u32_e32 v8, 28, v11
	v_lshlrev_b64 v[8:9], v8, v[18:19]
	v_sub_nc_u32_e32 v9, 29, v11
	v_and_b32_e32 v8, 7, v8
; %bb.743:                              ;   in Loop: Header=BB299_10 Depth=1
	s_or_b32 exec_lo, exec_lo, s26
	v_lshlrev_b32_e32 v11, 8, v18
	v_lshl_add_u32 v9, v9, 10, 0x2000
	v_lshlrev_b32_e32 v8, 23, v8
	v_and_or_b32 v9, 0x8000, v11, v9
	v_lshl_or_b32 v68, v9, 16, v8
.LBB299_744:                            ;   in Loop: Header=BB299_10 Depth=1
	s_or_b32 exec_lo, exec_lo, s25
.LBB299_745:                            ;   in Loop: Header=BB299_10 Depth=1
	s_or_b32 exec_lo, exec_lo, s24
.LBB299_746:                            ;   in Loop: Header=BB299_10 Depth=1
	s_or_b32 exec_lo, exec_lo, s8
	buffer_load_dword v8, off, s[0:3], s32 offset:196 ; 4-byte Folded Reload
	v_mov_b32_e32 v13, 0
	v_mov_b32_e32 v24, 0
	s_waitcnt vmcnt(0)
	v_add_co_u32 v8, s7, v0, v8
	v_add_co_ci_u32_e64 v9, null, 0, v2, s7
	flat_load_dword v12, v[8:9]
	s_waitcnt vmcnt(0) lgkmcnt(0)
	v_cmp_ne_u16_sdwa s7, v12, v19 src0_sel:BYTE_0 src1_sel:DWORD
	s_and_saveexec_b32 s8, s7
	s_cbranch_execz .LBB299_754
; %bb.747:                              ;   in Loop: Header=BB299_10 Depth=1
	v_cmp_ne_u16_sdwa s7, v12, v66 src0_sel:BYTE_0 src1_sel:DWORD
	v_mov_b32_e32 v24, 0x8000
	s_and_saveexec_b32 s24, s7
	s_cbranch_execz .LBB299_753
; %bb.748:                              ;   in Loop: Header=BB299_10 Depth=1
	v_and_b32_e32 v8, 0x7f, v12
	v_mov_b32_e32 v24, 0x7c01
	s_mov_b32 s25, exec_lo
	v_cmpx_ne_u32_e32 0x7f, v8
	s_cbranch_execz .LBB299_752
; %bb.749:                              ;   in Loop: Header=BB299_10 Depth=1
	v_and_b32_e32 v0, 7, v12
	v_lshrrev_b32_e32 v2, 3, v8
	s_mov_b32 s26, exec_lo
	v_cmpx_gt_u32_e32 8, v8
; %bb.750:                              ;   in Loop: Header=BB299_10 Depth=1
	v_ffbh_u32_e32 v0, v0
	v_min_u32_e32 v0, 32, v0
	v_subrev_nc_u32_e32 v2, 28, v0
	v_lshlrev_b64 v[8:9], v2, v[12:13]
	v_sub_nc_u32_e32 v2, 29, v0
	v_and_b32_e32 v0, 7, v8
; %bb.751:                              ;   in Loop: Header=BB299_10 Depth=1
	s_or_b32 exec_lo, exec_lo, s26
	v_lshlrev_b32_e32 v8, 8, v12
	v_lshl_add_u32 v2, v2, 10, 0x2000
	v_lshlrev_b32_e32 v0, 7, v0
	v_and_b32_e32 v8, 0x8000, v8
	v_and_b32_e32 v2, 0xfc00, v2
	v_or3_b32 v24, v8, v2, v0
.LBB299_752:                            ;   in Loop: Header=BB299_10 Depth=1
	s_or_b32 exec_lo, exec_lo, s25
.LBB299_753:                            ;   in Loop: Header=BB299_10 Depth=1
	s_or_b32 exec_lo, exec_lo, s24
.LBB299_754:                            ;   in Loop: Header=BB299_10 Depth=1
	s_or_b32 exec_lo, exec_lo, s8
	v_lshrrev_b16 v18, 8, v12
	s_mov_b32 s8, exec_lo
	v_cmpx_ne_u16_e32 0, v18
	s_cbranch_execz .LBB299_762
; %bb.755:                              ;   in Loop: Header=BB299_10 Depth=1
	v_bfrev_b32_e32 v13, 1
	s_mov_b32 s24, exec_lo
	v_cmpx_ne_u16_e32 0x80, v18
	s_cbranch_execz .LBB299_761
; %bb.756:                              ;   in Loop: Header=BB299_10 Depth=1
	v_mov_b32_e32 v0, 0x7f
	v_mov_b32_e32 v13, 0x7c010000
	s_mov_b32 s25, exec_lo
	v_and_b32_sdwa v8, v18, v0 dst_sel:DWORD dst_unused:UNUSED_PAD src0_sel:WORD_0 src1_sel:DWORD
	v_cmpx_ne_u32_e32 0x7f, v8
	s_cbranch_execz .LBB299_760
; %bb.757:                              ;   in Loop: Header=BB299_10 Depth=1
	v_mov_b32_e32 v0, 7
	v_lshrrev_b32_e32 v2, 3, v8
	s_mov_b32 s26, exec_lo
	v_and_b32_sdwa v0, v18, v0 dst_sel:DWORD dst_unused:UNUSED_PAD src0_sel:WORD_0 src1_sel:DWORD
	v_cmpx_gt_u32_e32 8, v8
; %bb.758:                              ;   in Loop: Header=BB299_10 Depth=1
	v_ffbh_u32_e32 v0, v0
	v_min_u32_e32 v0, 32, v0
	v_subrev_nc_u32_e32 v2, 28, v0
	v_lshlrev_b64 v[8:9], v2, v[18:19]
	v_sub_nc_u32_e32 v2, 29, v0
	v_and_b32_e32 v0, 7, v8
; %bb.759:                              ;   in Loop: Header=BB299_10 Depth=1
	s_or_b32 exec_lo, exec_lo, s26
	v_mov_b32_e32 v8, 8
	v_lshl_add_u32 v2, v2, 10, 0x2000
	v_lshlrev_b32_e32 v0, 23, v0
	v_lshlrev_b32_sdwa v8, v8, v18 dst_sel:DWORD dst_unused:UNUSED_PAD src0_sel:DWORD src1_sel:WORD_0
	v_and_or_b32 v2, 0x8000, v8, v2
	v_lshl_or_b32 v13, v2, 16, v0
.LBB299_760:                            ;   in Loop: Header=BB299_10 Depth=1
	s_or_b32 exec_lo, exec_lo, s25
.LBB299_761:                            ;   in Loop: Header=BB299_10 Depth=1
	s_or_b32 exec_lo, exec_lo, s24
.LBB299_762:                            ;   in Loop: Header=BB299_10 Depth=1
	s_or_b32 exec_lo, exec_lo, s8
	v_lshrrev_b32_e32 v18, 16, v12
	v_mov_b32_e32 v37, 0
	v_mov_b32_e32 v87, 0
	v_cmp_ne_u16_sdwa s7, v18, v19 src0_sel:BYTE_0 src1_sel:DWORD
	s_and_saveexec_b32 s8, s7
	s_cbranch_execz .LBB299_770
; %bb.763:                              ;   in Loop: Header=BB299_10 Depth=1
	v_cmp_ne_u16_sdwa s7, v18, v66 src0_sel:BYTE_0 src1_sel:DWORD
	v_mov_b32_e32 v87, 0x8000
	s_and_saveexec_b32 s24, s7
	s_cbranch_execz .LBB299_769
; %bb.764:                              ;   in Loop: Header=BB299_10 Depth=1
	v_bfe_u32 v8, v12, 16, 7
	v_mov_b32_e32 v87, 0x7c01
	s_mov_b32 s25, exec_lo
	v_cmpx_ne_u32_e32 0x7f, v8
	s_cbranch_execz .LBB299_768
; %bb.765:                              ;   in Loop: Header=BB299_10 Depth=1
	v_and_b32_e32 v0, 7, v18
	v_lshrrev_b32_e32 v2, 3, v8
	s_mov_b32 s26, exec_lo
	v_cmpx_gt_u32_e32 8, v8
; %bb.766:                              ;   in Loop: Header=BB299_10 Depth=1
	v_ffbh_u32_e32 v0, v0
	v_min_u32_e32 v0, 32, v0
	v_subrev_nc_u32_e32 v2, 28, v0
	v_lshlrev_b64 v[8:9], v2, v[18:19]
	v_sub_nc_u32_e32 v2, 29, v0
	v_and_b32_e32 v0, 7, v8
; %bb.767:                              ;   in Loop: Header=BB299_10 Depth=1
	s_or_b32 exec_lo, exec_lo, s26
	v_lshlrev_b32_e32 v8, 8, v18
	v_lshl_add_u32 v2, v2, 10, 0x2000
	v_lshlrev_b32_e32 v0, 7, v0
	v_and_b32_e32 v8, 0x8000, v8
	v_and_b32_e32 v2, 0xfc00, v2
	v_or3_b32 v87, v8, v2, v0
.LBB299_768:                            ;   in Loop: Header=BB299_10 Depth=1
	s_or_b32 exec_lo, exec_lo, s25
.LBB299_769:                            ;   in Loop: Header=BB299_10 Depth=1
	s_or_b32 exec_lo, exec_lo, s24
.LBB299_770:                            ;   in Loop: Header=BB299_10 Depth=1
	s_or_b32 exec_lo, exec_lo, s8
	s_mov_b32 s8, exec_lo
	v_cmpx_lt_u32_e32 0xffffff, v12
	s_cbranch_execz .LBB299_778
; %bb.771:                              ;   in Loop: Header=BB299_10 Depth=1
	v_lshrrev_b32_e32 v18, 24, v12
	v_bfrev_b32_e32 v37, 1
	s_mov_b32 s24, exec_lo
	v_cmpx_ne_u32_e32 0x80, v18
	s_cbranch_execz .LBB299_777
; %bb.772:                              ;   in Loop: Header=BB299_10 Depth=1
	v_and_b32_e32 v8, 0x7f, v18
	v_mov_b32_e32 v37, 0x7c010000
	s_mov_b32 s25, exec_lo
	v_cmpx_ne_u32_e32 0x7f, v8
	s_cbranch_execz .LBB299_776
; %bb.773:                              ;   in Loop: Header=BB299_10 Depth=1
	v_and_b32_e32 v0, 7, v18
	v_lshrrev_b32_e32 v2, 3, v8
	s_mov_b32 s26, exec_lo
	v_cmpx_gt_u32_e32 8, v8
; %bb.774:                              ;   in Loop: Header=BB299_10 Depth=1
	v_ffbh_u32_e32 v0, v0
	v_min_u32_e32 v0, 32, v0
	v_subrev_nc_u32_e32 v2, 28, v0
	v_lshlrev_b64 v[8:9], v2, v[18:19]
	v_sub_nc_u32_e32 v2, 29, v0
	v_and_b32_e32 v0, 7, v8
; %bb.775:                              ;   in Loop: Header=BB299_10 Depth=1
	s_or_b32 exec_lo, exec_lo, s26
	v_lshlrev_b32_e32 v8, 8, v18
	v_lshl_add_u32 v2, v2, 10, 0x2000
	v_lshlrev_b32_e32 v0, 23, v0
	v_and_or_b32 v2, 0x8000, v8, v2
	v_lshl_or_b32 v37, v2, 16, v0
.LBB299_776:                            ;   in Loop: Header=BB299_10 Depth=1
	s_or_b32 exec_lo, exec_lo, s25
.LBB299_777:                            ;   in Loop: Header=BB299_10 Depth=1
	s_or_b32 exec_lo, exec_lo, s24
.LBB299_778:                            ;   in Loop: Header=BB299_10 Depth=1
	s_or_b32 exec_lo, exec_lo, s8
	buffer_load_dword v0, off, s[0:3], s32 offset:192 ; 4-byte Folded Reload
	v_add_co_u32 v2, s7, 0xc00, v28
	v_add_co_ci_u32_e64 v9, null, 0, v29, s7
	v_mov_b32_e32 v8, 0
	s_waitcnt vmcnt(0)
	v_add_co_u32 v11, s7, v2, v0
	v_add_co_ci_u32_e64 v12, null, 0, v9, s7
	v_mov_b32_e32 v0, 0
	flat_load_dword v12, v[11:12]
	s_waitcnt vmcnt(0) lgkmcnt(0)
	v_cmp_ne_u16_sdwa s7, v12, v19 src0_sel:BYTE_0 src1_sel:DWORD
	s_and_saveexec_b32 s8, s7
	s_cbranch_execz .LBB299_786
; %bb.779:                              ;   in Loop: Header=BB299_10 Depth=1
	v_cmp_ne_u16_sdwa s7, v12, v66 src0_sel:BYTE_0 src1_sel:DWORD
	v_mov_b32_e32 v8, 0x8000
	s_and_saveexec_b32 s24, s7
	s_cbranch_execz .LBB299_785
; %bb.780:                              ;   in Loop: Header=BB299_10 Depth=1
	v_and_b32_e32 v14, 0x7f, v12
	v_mov_b32_e32 v8, 0x7c01
	s_mov_b32 s25, exec_lo
	v_cmpx_ne_u32_e32 0x7f, v14
	s_cbranch_execz .LBB299_784
; %bb.781:                              ;   in Loop: Header=BB299_10 Depth=1
	v_and_b32_e32 v8, 7, v12
	v_lshrrev_b32_e32 v11, 3, v14
	s_mov_b32 s26, exec_lo
	v_cmpx_gt_u32_e32 8, v14
; %bb.782:                              ;   in Loop: Header=BB299_10 Depth=1
	v_ffbh_u32_e32 v8, v8
	v_min_u32_e32 v8, 32, v8
	v_subrev_nc_u32_e32 v11, 28, v8
	v_lshlrev_b64 v[14:15], v11, v[12:13]
	v_sub_nc_u32_e32 v11, 29, v8
	v_and_b32_e32 v8, 7, v14
; %bb.783:                              ;   in Loop: Header=BB299_10 Depth=1
	s_or_b32 exec_lo, exec_lo, s26
	v_lshlrev_b32_e32 v14, 8, v12
	v_lshl_add_u32 v11, v11, 10, 0x2000
	v_lshlrev_b32_e32 v8, 7, v8
	v_and_b32_e32 v14, 0x8000, v14
	v_and_b32_e32 v11, 0xfc00, v11
	v_or3_b32 v8, v14, v11, v8
.LBB299_784:                            ;   in Loop: Header=BB299_10 Depth=1
	s_or_b32 exec_lo, exec_lo, s25
.LBB299_785:                            ;   in Loop: Header=BB299_10 Depth=1
	s_or_b32 exec_lo, exec_lo, s24
.LBB299_786:                            ;   in Loop: Header=BB299_10 Depth=1
	s_or_b32 exec_lo, exec_lo, s8
	v_lshrrev_b16 v18, 8, v12
	s_mov_b32 s8, exec_lo
	v_cmpx_ne_u16_e32 0, v18
	s_cbranch_execz .LBB299_794
; %bb.787:                              ;   in Loop: Header=BB299_10 Depth=1
	v_bfrev_b32_e32 v0, 1
	s_mov_b32 s24, exec_lo
	v_cmpx_ne_u16_e32 0x80, v18
	s_cbranch_execz .LBB299_793
; %bb.788:                              ;   in Loop: Header=BB299_10 Depth=1
	v_mov_b32_e32 v0, 0x7f
	s_mov_b32 s25, exec_lo
	v_and_b32_sdwa v14, v18, v0 dst_sel:DWORD dst_unused:UNUSED_PAD src0_sel:WORD_0 src1_sel:DWORD
	v_mov_b32_e32 v0, 0x7c010000
	v_cmpx_ne_u32_e32 0x7f, v14
	s_cbranch_execz .LBB299_792
; %bb.789:                              ;   in Loop: Header=BB299_10 Depth=1
	v_mov_b32_e32 v0, 7
	v_lshrrev_b32_e32 v11, 3, v14
	s_mov_b32 s26, exec_lo
	v_and_b32_sdwa v0, v18, v0 dst_sel:DWORD dst_unused:UNUSED_PAD src0_sel:WORD_0 src1_sel:DWORD
	v_cmpx_gt_u32_e32 8, v14
; %bb.790:                              ;   in Loop: Header=BB299_10 Depth=1
	v_ffbh_u32_e32 v0, v0
	v_min_u32_e32 v0, 32, v0
	v_subrev_nc_u32_e32 v11, 28, v0
	v_lshlrev_b64 v[14:15], v11, v[18:19]
	v_sub_nc_u32_e32 v11, 29, v0
	v_and_b32_e32 v0, 7, v14
; %bb.791:                              ;   in Loop: Header=BB299_10 Depth=1
	s_or_b32 exec_lo, exec_lo, s26
	v_mov_b32_e32 v14, 8
	v_lshl_add_u32 v11, v11, 10, 0x2000
	v_lshlrev_b32_e32 v0, 23, v0
	v_lshlrev_b32_sdwa v14, v14, v18 dst_sel:DWORD dst_unused:UNUSED_PAD src0_sel:DWORD src1_sel:WORD_0
	v_and_or_b32 v11, 0x8000, v14, v11
	v_lshl_or_b32 v0, v11, 16, v0
.LBB299_792:                            ;   in Loop: Header=BB299_10 Depth=1
	s_or_b32 exec_lo, exec_lo, s25
.LBB299_793:                            ;   in Loop: Header=BB299_10 Depth=1
	s_or_b32 exec_lo, exec_lo, s24
.LBB299_794:                            ;   in Loop: Header=BB299_10 Depth=1
	s_or_b32 exec_lo, exec_lo, s8
	v_lshrrev_b32_e32 v18, 16, v12
	v_mov_b32_e32 v25, 0
	v_mov_b32_e32 v50, 0
	v_cmp_ne_u16_sdwa s7, v18, v19 src0_sel:BYTE_0 src1_sel:DWORD
	s_and_saveexec_b32 s8, s7
	s_cbranch_execz .LBB299_802
; %bb.795:                              ;   in Loop: Header=BB299_10 Depth=1
	v_cmp_ne_u16_sdwa s7, v18, v66 src0_sel:BYTE_0 src1_sel:DWORD
	v_mov_b32_e32 v50, 0x8000
	s_and_saveexec_b32 s24, s7
	s_cbranch_execz .LBB299_801
; %bb.796:                              ;   in Loop: Header=BB299_10 Depth=1
	v_bfe_u32 v15, v12, 16, 7
	v_mov_b32_e32 v50, 0x7c01
	s_mov_b32 s25, exec_lo
	v_cmpx_ne_u32_e32 0x7f, v15
	s_cbranch_execz .LBB299_800
; %bb.797:                              ;   in Loop: Header=BB299_10 Depth=1
	v_and_b32_e32 v11, 7, v18
	v_lshrrev_b32_e32 v14, 3, v15
	s_mov_b32 s26, exec_lo
	v_cmpx_gt_u32_e32 8, v15
; %bb.798:                              ;   in Loop: Header=BB299_10 Depth=1
	v_ffbh_u32_e32 v11, v11
	v_min_u32_e32 v11, 32, v11
	v_subrev_nc_u32_e32 v14, 28, v11
	v_lshlrev_b64 v[15:16], v14, v[18:19]
	v_sub_nc_u32_e32 v14, 29, v11
	v_and_b32_e32 v11, 7, v15
; %bb.799:                              ;   in Loop: Header=BB299_10 Depth=1
	s_or_b32 exec_lo, exec_lo, s26
	v_lshlrev_b32_e32 v15, 8, v18
	v_lshl_add_u32 v14, v14, 10, 0x2000
	v_lshlrev_b32_e32 v11, 7, v11
	v_and_b32_e32 v15, 0x8000, v15
	v_and_b32_e32 v14, 0xfc00, v14
	v_or3_b32 v50, v15, v14, v11
.LBB299_800:                            ;   in Loop: Header=BB299_10 Depth=1
	s_or_b32 exec_lo, exec_lo, s25
.LBB299_801:                            ;   in Loop: Header=BB299_10 Depth=1
	s_or_b32 exec_lo, exec_lo, s24
.LBB299_802:                            ;   in Loop: Header=BB299_10 Depth=1
	s_or_b32 exec_lo, exec_lo, s8
	s_mov_b32 s8, exec_lo
	v_cmpx_lt_u32_e32 0xffffff, v12
	s_cbranch_execz .LBB299_810
; %bb.803:                              ;   in Loop: Header=BB299_10 Depth=1
	v_lshrrev_b32_e32 v18, 24, v12
	v_bfrev_b32_e32 v25, 1
	s_mov_b32 s24, exec_lo
	v_cmpx_ne_u32_e32 0x80, v18
	s_cbranch_execz .LBB299_809
; %bb.804:                              ;   in Loop: Header=BB299_10 Depth=1
	v_and_b32_e32 v14, 0x7f, v18
	v_mov_b32_e32 v25, 0x7c010000
	s_mov_b32 s25, exec_lo
	v_cmpx_ne_u32_e32 0x7f, v14
	s_cbranch_execz .LBB299_808
; %bb.805:                              ;   in Loop: Header=BB299_10 Depth=1
	v_and_b32_e32 v11, 7, v18
	v_lshrrev_b32_e32 v12, 3, v14
	s_mov_b32 s26, exec_lo
	v_cmpx_gt_u32_e32 8, v14
; %bb.806:                              ;   in Loop: Header=BB299_10 Depth=1
	v_ffbh_u32_e32 v11, v11
	v_min_u32_e32 v14, 32, v11
	v_subrev_nc_u32_e32 v11, 28, v14
	v_lshlrev_b64 v[11:12], v11, v[18:19]
	v_sub_nc_u32_e32 v12, 29, v14
	v_and_b32_e32 v11, 7, v11
; %bb.807:                              ;   in Loop: Header=BB299_10 Depth=1
	s_or_b32 exec_lo, exec_lo, s26
	v_lshlrev_b32_e32 v14, 8, v18
	v_lshl_add_u32 v12, v12, 10, 0x2000
	v_lshlrev_b32_e32 v11, 23, v11
	v_and_or_b32 v12, 0x8000, v14, v12
	v_lshl_or_b32 v25, v12, 16, v11
.LBB299_808:                            ;   in Loop: Header=BB299_10 Depth=1
	s_or_b32 exec_lo, exec_lo, s25
.LBB299_809:                            ;   in Loop: Header=BB299_10 Depth=1
	s_or_b32 exec_lo, exec_lo, s24
.LBB299_810:                            ;   in Loop: Header=BB299_10 Depth=1
	s_or_b32 exec_lo, exec_lo, s8
	buffer_load_dword v11, off, s[0:3], s32 offset:196 ; 4-byte Folded Reload
	s_waitcnt vmcnt(0)
	v_add_co_u32 v11, s7, v2, v11
	v_add_co_ci_u32_e64 v12, null, 0, v9, s7
	v_mov_b32_e32 v2, 0
	v_mov_b32_e32 v9, 0
	flat_load_dword v12, v[11:12]
	s_waitcnt vmcnt(0) lgkmcnt(0)
	v_cmp_ne_u16_sdwa s7, v12, v19 src0_sel:BYTE_0 src1_sel:DWORD
	s_and_saveexec_b32 s8, s7
	s_cbranch_execz .LBB299_818
; %bb.811:                              ;   in Loop: Header=BB299_10 Depth=1
	v_cmp_ne_u16_sdwa s7, v12, v66 src0_sel:BYTE_0 src1_sel:DWORD
	v_mov_b32_e32 v9, 0x8000
	s_and_saveexec_b32 s24, s7
	s_cbranch_execz .LBB299_817
; %bb.812:                              ;   in Loop: Header=BB299_10 Depth=1
	v_and_b32_e32 v14, 0x7f, v12
	v_mov_b32_e32 v9, 0x7c01
	s_mov_b32 s25, exec_lo
	v_cmpx_ne_u32_e32 0x7f, v14
	s_cbranch_execz .LBB299_816
; %bb.813:                              ;   in Loop: Header=BB299_10 Depth=1
	v_and_b32_e32 v9, 7, v12
	v_lshrrev_b32_e32 v11, 3, v14
	s_mov_b32 s26, exec_lo
	v_cmpx_gt_u32_e32 8, v14
; %bb.814:                              ;   in Loop: Header=BB299_10 Depth=1
	v_ffbh_u32_e32 v9, v9
	v_min_u32_e32 v9, 32, v9
	v_subrev_nc_u32_e32 v11, 28, v9
	v_lshlrev_b64 v[14:15], v11, v[12:13]
	v_sub_nc_u32_e32 v11, 29, v9
	v_and_b32_e32 v9, 7, v14
; %bb.815:                              ;   in Loop: Header=BB299_10 Depth=1
	s_or_b32 exec_lo, exec_lo, s26
	v_lshlrev_b32_e32 v14, 8, v12
	v_lshl_add_u32 v11, v11, 10, 0x2000
	v_lshlrev_b32_e32 v9, 7, v9
	v_and_b32_e32 v14, 0x8000, v14
	v_and_b32_e32 v11, 0xfc00, v11
	v_or3_b32 v9, v14, v11, v9
.LBB299_816:                            ;   in Loop: Header=BB299_10 Depth=1
	s_or_b32 exec_lo, exec_lo, s25
.LBB299_817:                            ;   in Loop: Header=BB299_10 Depth=1
	s_or_b32 exec_lo, exec_lo, s24
.LBB299_818:                            ;   in Loop: Header=BB299_10 Depth=1
	s_or_b32 exec_lo, exec_lo, s8
	v_lshrrev_b16 v18, 8, v12
	s_mov_b32 s8, exec_lo
	v_cmpx_ne_u16_e32 0, v18
	s_cbranch_execz .LBB299_826
; %bb.819:                              ;   in Loop: Header=BB299_10 Depth=1
	v_bfrev_b32_e32 v2, 1
	s_mov_b32 s24, exec_lo
	v_cmpx_ne_u16_e32 0x80, v18
	s_cbranch_execz .LBB299_825
; %bb.820:                              ;   in Loop: Header=BB299_10 Depth=1
	v_mov_b32_e32 v2, 0x7f
	s_mov_b32 s25, exec_lo
	v_and_b32_sdwa v14, v18, v2 dst_sel:DWORD dst_unused:UNUSED_PAD src0_sel:WORD_0 src1_sel:DWORD
	v_mov_b32_e32 v2, 0x7c010000
	v_cmpx_ne_u32_e32 0x7f, v14
	s_cbranch_execz .LBB299_824
; %bb.821:                              ;   in Loop: Header=BB299_10 Depth=1
	v_mov_b32_e32 v2, 7
	v_lshrrev_b32_e32 v11, 3, v14
	s_mov_b32 s26, exec_lo
	v_and_b32_sdwa v2, v18, v2 dst_sel:DWORD dst_unused:UNUSED_PAD src0_sel:WORD_0 src1_sel:DWORD
	v_cmpx_gt_u32_e32 8, v14
; %bb.822:                              ;   in Loop: Header=BB299_10 Depth=1
	v_ffbh_u32_e32 v2, v2
	v_min_u32_e32 v2, 32, v2
	v_subrev_nc_u32_e32 v11, 28, v2
	v_lshlrev_b64 v[14:15], v11, v[18:19]
	v_sub_nc_u32_e32 v11, 29, v2
	v_and_b32_e32 v2, 7, v14
; %bb.823:                              ;   in Loop: Header=BB299_10 Depth=1
	s_or_b32 exec_lo, exec_lo, s26
	v_mov_b32_e32 v14, 8
	v_lshl_add_u32 v11, v11, 10, 0x2000
	v_lshlrev_b32_e32 v2, 23, v2
	v_lshlrev_b32_sdwa v14, v14, v18 dst_sel:DWORD dst_unused:UNUSED_PAD src0_sel:DWORD src1_sel:WORD_0
	v_and_or_b32 v11, 0x8000, v14, v11
	v_lshl_or_b32 v2, v11, 16, v2
.LBB299_824:                            ;   in Loop: Header=BB299_10 Depth=1
	s_or_b32 exec_lo, exec_lo, s25
.LBB299_825:                            ;   in Loop: Header=BB299_10 Depth=1
	s_or_b32 exec_lo, exec_lo, s24
.LBB299_826:                            ;   in Loop: Header=BB299_10 Depth=1
	s_or_b32 exec_lo, exec_lo, s8
	v_lshrrev_b32_e32 v18, 16, v12
	v_mov_b32_e32 v14, 0
	v_mov_b32_e32 v15, 0
	v_cmp_ne_u16_sdwa s7, v18, v19 src0_sel:BYTE_0 src1_sel:DWORD
	s_and_saveexec_b32 s8, s7
	s_cbranch_execz .LBB299_834
; %bb.827:                              ;   in Loop: Header=BB299_10 Depth=1
	v_cmp_ne_u16_sdwa s7, v18, v66 src0_sel:BYTE_0 src1_sel:DWORD
	v_mov_b32_e32 v15, 0x8000
	s_and_saveexec_b32 s24, s7
	s_cbranch_execz .LBB299_833
; %bb.828:                              ;   in Loop: Header=BB299_10 Depth=1
	v_bfe_u32 v16, v12, 16, 7
	v_mov_b32_e32 v15, 0x7c01
	s_mov_b32 s25, exec_lo
	v_cmpx_ne_u32_e32 0x7f, v16
	s_cbranch_execz .LBB299_832
; %bb.829:                              ;   in Loop: Header=BB299_10 Depth=1
	v_and_b32_e32 v11, 7, v18
	v_lshrrev_b32_e32 v15, 3, v16
	s_mov_b32 s26, exec_lo
	v_cmpx_gt_u32_e32 8, v16
; %bb.830:                              ;   in Loop: Header=BB299_10 Depth=1
	v_ffbh_u32_e32 v11, v11
	v_min_u32_e32 v11, 32, v11
	v_subrev_nc_u32_e32 v15, 28, v11
	v_lshlrev_b64 v[16:17], v15, v[18:19]
	v_sub_nc_u32_e32 v15, 29, v11
	v_and_b32_e32 v11, 7, v16
; %bb.831:                              ;   in Loop: Header=BB299_10 Depth=1
	s_or_b32 exec_lo, exec_lo, s26
	v_lshlrev_b32_e32 v16, 8, v18
	v_lshl_add_u32 v15, v15, 10, 0x2000
	v_lshlrev_b32_e32 v11, 7, v11
	v_and_b32_e32 v16, 0x8000, v16
	v_and_b32_e32 v15, 0xfc00, v15
	v_or3_b32 v15, v16, v15, v11
.LBB299_832:                            ;   in Loop: Header=BB299_10 Depth=1
	s_or_b32 exec_lo, exec_lo, s25
.LBB299_833:                            ;   in Loop: Header=BB299_10 Depth=1
	s_or_b32 exec_lo, exec_lo, s24
.LBB299_834:                            ;   in Loop: Header=BB299_10 Depth=1
	s_or_b32 exec_lo, exec_lo, s8
	s_mov_b32 s8, exec_lo
	v_cmpx_lt_u32_e32 0xffffff, v12
	s_cbranch_execz .LBB299_842
; %bb.835:                              ;   in Loop: Header=BB299_10 Depth=1
	v_lshrrev_b32_e32 v18, 24, v12
	v_bfrev_b32_e32 v14, 1
	s_mov_b32 s24, exec_lo
	v_cmpx_ne_u32_e32 0x80, v18
	s_cbranch_execz .LBB299_841
; %bb.836:                              ;   in Loop: Header=BB299_10 Depth=1
	v_and_b32_e32 v16, 0x7f, v18
	v_mov_b32_e32 v14, 0x7c010000
	s_mov_b32 s25, exec_lo
	v_cmpx_ne_u32_e32 0x7f, v16
	s_cbranch_execz .LBB299_840
; %bb.837:                              ;   in Loop: Header=BB299_10 Depth=1
	v_and_b32_e32 v11, 7, v18
	v_lshrrev_b32_e32 v12, 3, v16
	s_mov_b32 s26, exec_lo
	v_cmpx_gt_u32_e32 8, v16
; %bb.838:                              ;   in Loop: Header=BB299_10 Depth=1
	v_ffbh_u32_e32 v11, v11
	v_min_u32_e32 v14, 32, v11
	v_subrev_nc_u32_e32 v11, 28, v14
	v_lshlrev_b64 v[11:12], v11, v[18:19]
	v_sub_nc_u32_e32 v12, 29, v14
	v_and_b32_e32 v11, 7, v11
; %bb.839:                              ;   in Loop: Header=BB299_10 Depth=1
	s_or_b32 exec_lo, exec_lo, s26
	v_lshlrev_b32_e32 v14, 8, v18
	v_lshl_add_u32 v12, v12, 10, 0x2000
	v_lshlrev_b32_e32 v11, 23, v11
	v_and_or_b32 v12, 0x8000, v14, v12
	v_lshl_or_b32 v14, v12, 16, v11
.LBB299_840:                            ;   in Loop: Header=BB299_10 Depth=1
	s_or_b32 exec_lo, exec_lo, s25
.LBB299_841:                            ;   in Loop: Header=BB299_10 Depth=1
	s_or_b32 exec_lo, exec_lo, s24
.LBB299_842:                            ;   in Loop: Header=BB299_10 Depth=1
	s_or_b32 exec_lo, exec_lo, s8
	buffer_load_dword v11, off, s[0:3], s32 offset:192 ; 4-byte Folded Reload
	v_add_co_u32 v17, s7, 0xd00, v28
	v_add_co_ci_u32_e64 v30, null, 0, v29, s7
	v_mov_b32_e32 v16, 0
	s_waitcnt vmcnt(0)
	v_add_co_u32 v11, s7, v17, v11
	v_add_co_ci_u32_e64 v12, null, 0, v30, s7
	flat_load_dword v12, v[11:12]
	v_mov_b32_e32 v11, 0
	s_waitcnt vmcnt(0) lgkmcnt(0)
	v_cmp_ne_u16_sdwa s7, v12, v19 src0_sel:BYTE_0 src1_sel:DWORD
	s_and_saveexec_b32 s8, s7
	s_cbranch_execz .LBB299_850
; %bb.843:                              ;   in Loop: Header=BB299_10 Depth=1
	v_cmp_ne_u16_sdwa s7, v12, v66 src0_sel:BYTE_0 src1_sel:DWORD
	v_mov_b32_e32 v16, 0x8000
	s_and_saveexec_b32 s24, s7
	s_cbranch_execz .LBB299_849
; %bb.844:                              ;   in Loop: Header=BB299_10 Depth=1
	v_and_b32_e32 v32, 0x7f, v12
	v_mov_b32_e32 v16, 0x7c01
	s_mov_b32 s25, exec_lo
	v_cmpx_ne_u32_e32 0x7f, v32
	s_cbranch_execz .LBB299_848
; %bb.845:                              ;   in Loop: Header=BB299_10 Depth=1
	v_and_b32_e32 v16, 7, v12
	v_lshrrev_b32_e32 v18, 3, v32
	s_mov_b32 s26, exec_lo
	v_cmpx_gt_u32_e32 8, v32
; %bb.846:                              ;   in Loop: Header=BB299_10 Depth=1
	v_ffbh_u32_e32 v16, v16
	v_min_u32_e32 v16, 32, v16
	v_subrev_nc_u32_e32 v18, 28, v16
	v_lshlrev_b64 v[81:82], v18, v[12:13]
	v_sub_nc_u32_e32 v18, 29, v16
	v_and_b32_e32 v16, 7, v81
; %bb.847:                              ;   in Loop: Header=BB299_10 Depth=1
	s_or_b32 exec_lo, exec_lo, s26
	v_lshlrev_b32_e32 v32, 8, v12
	v_lshl_add_u32 v18, v18, 10, 0x2000
	v_lshlrev_b32_e32 v16, 7, v16
	v_and_b32_e32 v32, 0x8000, v32
	v_and_b32_e32 v18, 0xfc00, v18
	v_or3_b32 v16, v32, v18, v16
.LBB299_848:                            ;   in Loop: Header=BB299_10 Depth=1
	s_or_b32 exec_lo, exec_lo, s25
.LBB299_849:                            ;   in Loop: Header=BB299_10 Depth=1
	s_or_b32 exec_lo, exec_lo, s24
.LBB299_850:                            ;   in Loop: Header=BB299_10 Depth=1
	s_or_b32 exec_lo, exec_lo, s8
	v_lshrrev_b16 v18, 8, v12
	s_mov_b32 s8, exec_lo
	v_cmpx_ne_u16_e32 0, v18
	s_cbranch_execz .LBB299_858
; %bb.851:                              ;   in Loop: Header=BB299_10 Depth=1
	v_bfrev_b32_e32 v11, 1
	s_mov_b32 s24, exec_lo
	v_cmpx_ne_u16_e32 0x80, v18
	s_cbranch_execz .LBB299_857
; %bb.852:                              ;   in Loop: Header=BB299_10 Depth=1
	v_mov_b32_e32 v11, 0x7f
	s_mov_b32 s25, exec_lo
	v_and_b32_sdwa v34, v18, v11 dst_sel:DWORD dst_unused:UNUSED_PAD src0_sel:WORD_0 src1_sel:DWORD
	v_mov_b32_e32 v11, 0x7c010000
	v_cmpx_ne_u32_e32 0x7f, v34
	s_cbranch_execz .LBB299_856
; %bb.853:                              ;   in Loop: Header=BB299_10 Depth=1
	v_mov_b32_e32 v11, 7
	v_lshrrev_b32_e32 v32, 3, v34
	s_mov_b32 s26, exec_lo
	v_and_b32_sdwa v11, v18, v11 dst_sel:DWORD dst_unused:UNUSED_PAD src0_sel:WORD_0 src1_sel:DWORD
	v_cmpx_gt_u32_e32 8, v34
; %bb.854:                              ;   in Loop: Header=BB299_10 Depth=1
	v_ffbh_u32_e32 v11, v11
	v_min_u32_e32 v11, 32, v11
	v_subrev_nc_u32_e32 v32, 28, v11
	v_lshlrev_b64 v[81:82], v32, v[18:19]
	v_sub_nc_u32_e32 v32, 29, v11
	v_and_b32_e32 v11, 7, v81
; %bb.855:                              ;   in Loop: Header=BB299_10 Depth=1
	s_or_b32 exec_lo, exec_lo, s26
	v_mov_b32_e32 v34, 8
	v_lshl_add_u32 v32, v32, 10, 0x2000
	v_lshlrev_b32_e32 v11, 23, v11
	v_lshlrev_b32_sdwa v18, v34, v18 dst_sel:DWORD dst_unused:UNUSED_PAD src0_sel:DWORD src1_sel:WORD_0
	v_and_or_b32 v18, 0x8000, v18, v32
	v_lshl_or_b32 v11, v18, 16, v11
.LBB299_856:                            ;   in Loop: Header=BB299_10 Depth=1
	s_or_b32 exec_lo, exec_lo, s25
.LBB299_857:                            ;   in Loop: Header=BB299_10 Depth=1
	s_or_b32 exec_lo, exec_lo, s24
.LBB299_858:                            ;   in Loop: Header=BB299_10 Depth=1
	s_or_b32 exec_lo, exec_lo, s8
	v_lshrrev_b32_e32 v18, 16, v12
	v_mov_b32_e32 v38, 0
	v_mov_b32_e32 v51, 0
	v_cmp_ne_u16_sdwa s7, v18, v19 src0_sel:BYTE_0 src1_sel:DWORD
	s_and_saveexec_b32 s8, s7
	s_cbranch_execz .LBB299_866
; %bb.859:                              ;   in Loop: Header=BB299_10 Depth=1
	v_cmp_ne_u16_sdwa s7, v18, v66 src0_sel:BYTE_0 src1_sel:DWORD
	v_mov_b32_e32 v51, 0x8000
	s_and_saveexec_b32 s24, s7
	s_cbranch_execz .LBB299_865
; %bb.860:                              ;   in Loop: Header=BB299_10 Depth=1
	v_bfe_u32 v36, v12, 16, 7
	v_mov_b32_e32 v51, 0x7c01
	s_mov_b32 s25, exec_lo
	v_cmpx_ne_u32_e32 0x7f, v36
	s_cbranch_execz .LBB299_864
; %bb.861:                              ;   in Loop: Header=BB299_10 Depth=1
	v_and_b32_e32 v32, 7, v18
	v_lshrrev_b32_e32 v34, 3, v36
	s_mov_b32 s26, exec_lo
	v_cmpx_gt_u32_e32 8, v36
; %bb.862:                              ;   in Loop: Header=BB299_10 Depth=1
	v_ffbh_u32_e32 v32, v32
	v_min_u32_e32 v32, 32, v32
	v_subrev_nc_u32_e32 v34, 28, v32
	v_lshlrev_b64 v[81:82], v34, v[18:19]
	v_sub_nc_u32_e32 v34, 29, v32
	v_and_b32_e32 v32, 7, v81
; %bb.863:                              ;   in Loop: Header=BB299_10 Depth=1
	s_or_b32 exec_lo, exec_lo, s26
	v_lshlrev_b32_e32 v18, 8, v18
	v_lshl_add_u32 v34, v34, 10, 0x2000
	v_lshlrev_b32_e32 v32, 7, v32
	v_and_b32_e32 v18, 0x8000, v18
	v_and_b32_e32 v34, 0xfc00, v34
	v_or3_b32 v51, v18, v34, v32
.LBB299_864:                            ;   in Loop: Header=BB299_10 Depth=1
	s_or_b32 exec_lo, exec_lo, s25
.LBB299_865:                            ;   in Loop: Header=BB299_10 Depth=1
	s_or_b32 exec_lo, exec_lo, s24
.LBB299_866:                            ;   in Loop: Header=BB299_10 Depth=1
	s_or_b32 exec_lo, exec_lo, s8
	s_mov_b32 s8, exec_lo
	v_cmpx_lt_u32_e32 0xffffff, v12
	s_cbranch_execz .LBB299_874
; %bb.867:                              ;   in Loop: Header=BB299_10 Depth=1
	v_lshrrev_b32_e32 v18, 24, v12
	v_bfrev_b32_e32 v38, 1
	s_mov_b32 s24, exec_lo
	v_cmpx_ne_u32_e32 0x80, v18
	s_cbranch_execz .LBB299_873
; %bb.868:                              ;   in Loop: Header=BB299_10 Depth=1
	v_and_b32_e32 v34, 0x7f, v18
	v_mov_b32_e32 v38, 0x7c010000
	s_mov_b32 s25, exec_lo
	v_cmpx_ne_u32_e32 0x7f, v34
	s_cbranch_execz .LBB299_872
; %bb.869:                              ;   in Loop: Header=BB299_10 Depth=1
	v_and_b32_e32 v12, 7, v18
	v_lshrrev_b32_e32 v32, 3, v34
	s_mov_b32 s26, exec_lo
	v_cmpx_gt_u32_e32 8, v34
; %bb.870:                              ;   in Loop: Header=BB299_10 Depth=1
	v_ffbh_u32_e32 v12, v12
	v_min_u32_e32 v12, 32, v12
	v_subrev_nc_u32_e32 v32, 28, v12
	v_lshlrev_b64 v[81:82], v32, v[18:19]
	v_sub_nc_u32_e32 v32, 29, v12
	v_and_b32_e32 v12, 7, v81
; %bb.871:                              ;   in Loop: Header=BB299_10 Depth=1
	s_or_b32 exec_lo, exec_lo, s26
	v_lshlrev_b32_e32 v18, 8, v18
	v_lshl_add_u32 v32, v32, 10, 0x2000
	v_lshlrev_b32_e32 v12, 23, v12
	v_and_or_b32 v18, 0x8000, v18, v32
	v_lshl_or_b32 v38, v18, 16, v12
.LBB299_872:                            ;   in Loop: Header=BB299_10 Depth=1
	s_or_b32 exec_lo, exec_lo, s25
.LBB299_873:                            ;   in Loop: Header=BB299_10 Depth=1
	s_or_b32 exec_lo, exec_lo, s24
.LBB299_874:                            ;   in Loop: Header=BB299_10 Depth=1
	s_or_b32 exec_lo, exec_lo, s8
	buffer_load_dword v12, off, s[0:3], s32 offset:196 ; 4-byte Folded Reload
	v_mov_b32_e32 v32, 0
	s_waitcnt vmcnt(0)
	v_add_co_u32 v17, s7, v17, v12
	v_add_co_ci_u32_e64 v18, null, 0, v30, s7
	flat_load_dword v12, v[17:18]
	v_mov_b32_e32 v17, 0
	s_waitcnt vmcnt(0) lgkmcnt(0)
	v_cmp_ne_u16_sdwa s7, v12, v19 src0_sel:BYTE_0 src1_sel:DWORD
	s_and_saveexec_b32 s8, s7
	s_cbranch_execz .LBB299_882
; %bb.875:                              ;   in Loop: Header=BB299_10 Depth=1
	v_cmp_ne_u16_sdwa s7, v12, v66 src0_sel:BYTE_0 src1_sel:DWORD
	v_mov_b32_e32 v32, 0x8000
	s_and_saveexec_b32 s24, s7
	s_cbranch_execz .LBB299_881
; %bb.876:                              ;   in Loop: Header=BB299_10 Depth=1
	v_and_b32_e32 v34, 0x7f, v12
	v_mov_b32_e32 v32, 0x7c01
	s_mov_b32 s25, exec_lo
	v_cmpx_ne_u32_e32 0x7f, v34
	s_cbranch_execz .LBB299_880
; %bb.877:                              ;   in Loop: Header=BB299_10 Depth=1
	v_and_b32_e32 v18, 7, v12
	v_lshrrev_b32_e32 v30, 3, v34
	s_mov_b32 s26, exec_lo
	v_cmpx_gt_u32_e32 8, v34
; %bb.878:                              ;   in Loop: Header=BB299_10 Depth=1
	v_ffbh_u32_e32 v18, v18
	v_min_u32_e32 v18, 32, v18
	v_subrev_nc_u32_e32 v30, 28, v18
	v_lshlrev_b64 v[81:82], v30, v[12:13]
	v_sub_nc_u32_e32 v30, 29, v18
	v_and_b32_e32 v18, 7, v81
; %bb.879:                              ;   in Loop: Header=BB299_10 Depth=1
	s_or_b32 exec_lo, exec_lo, s26
	v_lshlrev_b32_e32 v32, 8, v12
	v_lshl_add_u32 v30, v30, 10, 0x2000
	v_lshlrev_b32_e32 v18, 7, v18
	v_and_b32_e32 v32, 0x8000, v32
	v_and_b32_e32 v30, 0xfc00, v30
	v_or3_b32 v32, v32, v30, v18
.LBB299_880:                            ;   in Loop: Header=BB299_10 Depth=1
	s_or_b32 exec_lo, exec_lo, s25
.LBB299_881:                            ;   in Loop: Header=BB299_10 Depth=1
	s_or_b32 exec_lo, exec_lo, s24
.LBB299_882:                            ;   in Loop: Header=BB299_10 Depth=1
	s_or_b32 exec_lo, exec_lo, s8
	v_lshrrev_b16 v18, 8, v12
	s_mov_b32 s8, exec_lo
	v_cmpx_ne_u16_e32 0, v18
	s_cbranch_execz .LBB299_890
; %bb.883:                              ;   in Loop: Header=BB299_10 Depth=1
	v_bfrev_b32_e32 v17, 1
	s_mov_b32 s24, exec_lo
	v_cmpx_ne_u16_e32 0x80, v18
	s_cbranch_execz .LBB299_889
; %bb.884:                              ;   in Loop: Header=BB299_10 Depth=1
	v_mov_b32_e32 v17, 0x7f
	s_mov_b32 s25, exec_lo
	v_and_b32_sdwa v34, v18, v17 dst_sel:DWORD dst_unused:UNUSED_PAD src0_sel:WORD_0 src1_sel:DWORD
	v_mov_b32_e32 v17, 0x7c010000
	v_cmpx_ne_u32_e32 0x7f, v34
	s_cbranch_execz .LBB299_888
; %bb.885:                              ;   in Loop: Header=BB299_10 Depth=1
	v_mov_b32_e32 v17, 7
	v_lshrrev_b32_e32 v30, 3, v34
	s_mov_b32 s26, exec_lo
	v_and_b32_sdwa v17, v18, v17 dst_sel:DWORD dst_unused:UNUSED_PAD src0_sel:WORD_0 src1_sel:DWORD
	v_cmpx_gt_u32_e32 8, v34
; %bb.886:                              ;   in Loop: Header=BB299_10 Depth=1
	v_ffbh_u32_e32 v17, v17
	v_min_u32_e32 v17, 32, v17
	v_subrev_nc_u32_e32 v30, 28, v17
	v_lshlrev_b64 v[81:82], v30, v[18:19]
	v_sub_nc_u32_e32 v30, 29, v17
	v_and_b32_e32 v17, 7, v81
; %bb.887:                              ;   in Loop: Header=BB299_10 Depth=1
	s_or_b32 exec_lo, exec_lo, s26
	v_mov_b32_e32 v34, 8
	v_lshl_add_u32 v30, v30, 10, 0x2000
	v_lshlrev_b32_e32 v17, 23, v17
	v_lshlrev_b32_sdwa v18, v34, v18 dst_sel:DWORD dst_unused:UNUSED_PAD src0_sel:DWORD src1_sel:WORD_0
	v_and_or_b32 v18, 0x8000, v18, v30
	v_lshl_or_b32 v17, v18, 16, v17
.LBB299_888:                            ;   in Loop: Header=BB299_10 Depth=1
	s_or_b32 exec_lo, exec_lo, s25
.LBB299_889:                            ;   in Loop: Header=BB299_10 Depth=1
	s_or_b32 exec_lo, exec_lo, s24
.LBB299_890:                            ;   in Loop: Header=BB299_10 Depth=1
	s_or_b32 exec_lo, exec_lo, s8
	v_lshrrev_b32_e32 v18, 16, v12
	v_mov_b32_e32 v81, 0
	v_mov_b32_e32 v36, 0
	v_cmp_ne_u16_sdwa s7, v18, v19 src0_sel:BYTE_0 src1_sel:DWORD
	s_and_saveexec_b32 s8, s7
	s_cbranch_execz .LBB299_898
; %bb.891:                              ;   in Loop: Header=BB299_10 Depth=1
	v_cmp_ne_u16_sdwa s7, v18, v66 src0_sel:BYTE_0 src1_sel:DWORD
	v_mov_b32_e32 v36, 0x8000
	s_and_saveexec_b32 s24, s7
	s_cbranch_execz .LBB299_897
; %bb.892:                              ;   in Loop: Header=BB299_10 Depth=1
	v_bfe_u32 v48, v12, 16, 7
	v_mov_b32_e32 v36, 0x7c01
	s_mov_b32 s25, exec_lo
	v_cmpx_ne_u32_e32 0x7f, v48
	s_cbranch_execz .LBB299_896
; %bb.893:                              ;   in Loop: Header=BB299_10 Depth=1
	v_and_b32_e32 v30, 7, v18
	v_lshrrev_b32_e32 v34, 3, v48
	s_mov_b32 s26, exec_lo
	v_cmpx_gt_u32_e32 8, v48
; %bb.894:                              ;   in Loop: Header=BB299_10 Depth=1
	v_ffbh_u32_e32 v30, v30
	v_min_u32_e32 v30, 32, v30
	v_subrev_nc_u32_e32 v34, 28, v30
	v_lshlrev_b64 v[108:109], v34, v[18:19]
	v_sub_nc_u32_e32 v34, 29, v30
	v_and_b32_e32 v30, 7, v108
; %bb.895:                              ;   in Loop: Header=BB299_10 Depth=1
	s_or_b32 exec_lo, exec_lo, s26
	v_lshlrev_b32_e32 v18, 8, v18
	v_lshl_add_u32 v34, v34, 10, 0x2000
	v_lshlrev_b32_e32 v30, 7, v30
	v_and_b32_e32 v18, 0x8000, v18
	v_and_b32_e32 v34, 0xfc00, v34
	v_or3_b32 v36, v18, v34, v30
.LBB299_896:                            ;   in Loop: Header=BB299_10 Depth=1
	s_or_b32 exec_lo, exec_lo, s25
.LBB299_897:                            ;   in Loop: Header=BB299_10 Depth=1
	s_or_b32 exec_lo, exec_lo, s24
.LBB299_898:                            ;   in Loop: Header=BB299_10 Depth=1
	s_or_b32 exec_lo, exec_lo, s8
	s_mov_b32 s8, exec_lo
	v_cmpx_lt_u32_e32 0xffffff, v12
	s_cbranch_execz .LBB299_906
; %bb.899:                              ;   in Loop: Header=BB299_10 Depth=1
	v_lshrrev_b32_e32 v18, 24, v12
	v_bfrev_b32_e32 v81, 1
	s_mov_b32 s24, exec_lo
	v_cmpx_ne_u32_e32 0x80, v18
	s_cbranch_execz .LBB299_905
; %bb.900:                              ;   in Loop: Header=BB299_10 Depth=1
	v_and_b32_e32 v34, 0x7f, v18
	v_mov_b32_e32 v81, 0x7c010000
	s_mov_b32 s25, exec_lo
	v_cmpx_ne_u32_e32 0x7f, v34
	s_cbranch_execz .LBB299_904
; %bb.901:                              ;   in Loop: Header=BB299_10 Depth=1
	v_and_b32_e32 v12, 7, v18
	v_lshrrev_b32_e32 v30, 3, v34
	s_mov_b32 s26, exec_lo
	v_cmpx_gt_u32_e32 8, v34
; %bb.902:                              ;   in Loop: Header=BB299_10 Depth=1
	v_ffbh_u32_e32 v12, v12
	v_min_u32_e32 v12, 32, v12
	v_subrev_nc_u32_e32 v30, 28, v12
	v_lshlrev_b64 v[81:82], v30, v[18:19]
	v_sub_nc_u32_e32 v30, 29, v12
	v_and_b32_e32 v12, 7, v81
; %bb.903:                              ;   in Loop: Header=BB299_10 Depth=1
	s_or_b32 exec_lo, exec_lo, s26
	v_lshlrev_b32_e32 v18, 8, v18
	v_lshl_add_u32 v30, v30, 10, 0x2000
	v_lshlrev_b32_e32 v12, 23, v12
	v_and_or_b32 v18, 0x8000, v18, v30
	v_lshl_or_b32 v81, v18, 16, v12
.LBB299_904:                            ;   in Loop: Header=BB299_10 Depth=1
	s_or_b32 exec_lo, exec_lo, s25
.LBB299_905:                            ;   in Loop: Header=BB299_10 Depth=1
	s_or_b32 exec_lo, exec_lo, s24
.LBB299_906:                            ;   in Loop: Header=BB299_10 Depth=1
	s_or_b32 exec_lo, exec_lo, s8
	buffer_load_dword v12, off, s[0:3], s32 offset:192 ; 4-byte Folded Reload
	v_add_co_u32 v82, s7, 0xe00, v28
	v_add_co_ci_u32_e64 v84, null, 0, v29, s7
	v_mov_b32_e32 v34, 0
	v_mov_b32_e32 v48, 0
	s_waitcnt vmcnt(0)
	v_add_co_u32 v108, s7, v82, v12
	v_add_co_ci_u32_e64 v109, null, 0, v84, s7
	flat_load_dword v12, v[108:109]
	s_waitcnt vmcnt(0) lgkmcnt(0)
	v_cmp_ne_u16_sdwa s7, v12, v19 src0_sel:BYTE_0 src1_sel:DWORD
	s_and_saveexec_b32 s8, s7
	s_cbranch_execz .LBB299_914
; %bb.907:                              ;   in Loop: Header=BB299_10 Depth=1
	v_cmp_ne_u16_sdwa s7, v12, v66 src0_sel:BYTE_0 src1_sel:DWORD
	v_mov_b32_e32 v48, 0x8000
	s_and_saveexec_b32 s24, s7
	s_cbranch_execz .LBB299_913
; %bb.908:                              ;   in Loop: Header=BB299_10 Depth=1
	v_and_b32_e32 v64, 0x7f, v12
	v_mov_b32_e32 v48, 0x7c01
	s_mov_b32 s25, exec_lo
	v_cmpx_ne_u32_e32 0x7f, v64
	s_cbranch_execz .LBB299_912
; %bb.909:                              ;   in Loop: Header=BB299_10 Depth=1
	v_and_b32_e32 v18, 7, v12
	v_lshrrev_b32_e32 v30, 3, v64
	s_mov_b32 s26, exec_lo
	v_cmpx_gt_u32_e32 8, v64
; %bb.910:                              ;   in Loop: Header=BB299_10 Depth=1
	v_ffbh_u32_e32 v18, v18
	v_min_u32_e32 v18, 32, v18
	v_subrev_nc_u32_e32 v30, 28, v18
	v_lshlrev_b64 v[108:109], v30, v[12:13]
	v_sub_nc_u32_e32 v30, 29, v18
	v_and_b32_e32 v18, 7, v108
; %bb.911:                              ;   in Loop: Header=BB299_10 Depth=1
	s_or_b32 exec_lo, exec_lo, s26
	v_lshlrev_b32_e32 v48, 8, v12
	v_lshl_add_u32 v30, v30, 10, 0x2000
	v_lshlrev_b32_e32 v18, 7, v18
	v_and_b32_e32 v48, 0x8000, v48
	v_and_b32_e32 v30, 0xfc00, v30
	v_or3_b32 v48, v48, v30, v18
.LBB299_912:                            ;   in Loop: Header=BB299_10 Depth=1
	s_or_b32 exec_lo, exec_lo, s25
.LBB299_913:                            ;   in Loop: Header=BB299_10 Depth=1
	s_or_b32 exec_lo, exec_lo, s24
.LBB299_914:                            ;   in Loop: Header=BB299_10 Depth=1
	s_or_b32 exec_lo, exec_lo, s8
	v_lshrrev_b16 v18, 8, v12
	s_mov_b32 s8, exec_lo
	v_cmpx_ne_u16_e32 0, v18
	s_cbranch_execz .LBB299_922
; %bb.915:                              ;   in Loop: Header=BB299_10 Depth=1
	v_bfrev_b32_e32 v34, 1
	s_mov_b32 s24, exec_lo
	v_cmpx_ne_u16_e32 0x80, v18
	s_cbranch_execz .LBB299_921
; %bb.916:                              ;   in Loop: Header=BB299_10 Depth=1
	v_mov_b32_e32 v30, 0x7f
	v_mov_b32_e32 v34, 0x7c010000
	s_mov_b32 s25, exec_lo
	v_and_b32_sdwa v64, v18, v30 dst_sel:DWORD dst_unused:UNUSED_PAD src0_sel:WORD_0 src1_sel:DWORD
	v_cmpx_ne_u32_e32 0x7f, v64
	s_cbranch_execz .LBB299_920
; %bb.917:                              ;   in Loop: Header=BB299_10 Depth=1
	v_mov_b32_e32 v30, 7
	v_lshrrev_b32_e32 v34, 3, v64
	s_mov_b32 s26, exec_lo
	v_and_b32_sdwa v30, v18, v30 dst_sel:DWORD dst_unused:UNUSED_PAD src0_sel:WORD_0 src1_sel:DWORD
	v_cmpx_gt_u32_e32 8, v64
; %bb.918:                              ;   in Loop: Header=BB299_10 Depth=1
	v_ffbh_u32_e32 v30, v30
	v_min_u32_e32 v30, 32, v30
	v_subrev_nc_u32_e32 v34, 28, v30
	v_lshlrev_b64 v[108:109], v34, v[18:19]
	v_sub_nc_u32_e32 v34, 29, v30
	v_and_b32_e32 v30, 7, v108
; %bb.919:                              ;   in Loop: Header=BB299_10 Depth=1
	s_or_b32 exec_lo, exec_lo, s26
	v_mov_b32_e32 v64, 8
	v_lshl_add_u32 v34, v34, 10, 0x2000
	v_lshlrev_b32_e32 v30, 23, v30
	v_lshlrev_b32_sdwa v18, v64, v18 dst_sel:DWORD dst_unused:UNUSED_PAD src0_sel:DWORD src1_sel:WORD_0
	v_and_or_b32 v18, 0x8000, v18, v34
	v_lshl_or_b32 v34, v18, 16, v30
.LBB299_920:                            ;   in Loop: Header=BB299_10 Depth=1
	s_or_b32 exec_lo, exec_lo, s25
.LBB299_921:                            ;   in Loop: Header=BB299_10 Depth=1
	s_or_b32 exec_lo, exec_lo, s24
.LBB299_922:                            ;   in Loop: Header=BB299_10 Depth=1
	s_or_b32 exec_lo, exec_lo, s8
	v_lshrrev_b32_e32 v18, 16, v12
	v_mov_b32_e32 v115, 0
	v_mov_b32_e32 v30, 0
	v_cmp_ne_u16_sdwa s7, v18, v19 src0_sel:BYTE_0 src1_sel:DWORD
	s_and_saveexec_b32 s8, s7
	s_cbranch_execz .LBB299_930
; %bb.923:                              ;   in Loop: Header=BB299_10 Depth=1
	v_cmp_ne_u16_sdwa s7, v18, v66 src0_sel:BYTE_0 src1_sel:DWORD
	v_mov_b32_e32 v30, 0x8000
	s_and_saveexec_b32 s24, s7
	s_cbranch_execz .LBB299_929
; %bb.924:                              ;   in Loop: Header=BB299_10 Depth=1
	v_bfe_u32 v70, v12, 16, 7
	v_mov_b32_e32 v30, 0x7c01
	s_mov_b32 s25, exec_lo
	v_cmpx_ne_u32_e32 0x7f, v70
	s_cbranch_execz .LBB299_928
; %bb.925:                              ;   in Loop: Header=BB299_10 Depth=1
	v_and_b32_e32 v30, 7, v18
	v_lshrrev_b32_e32 v64, 3, v70
	s_mov_b32 s26, exec_lo
	v_cmpx_gt_u32_e32 8, v70
; %bb.926:                              ;   in Loop: Header=BB299_10 Depth=1
	v_ffbh_u32_e32 v30, v30
	v_min_u32_e32 v30, 32, v30
	v_subrev_nc_u32_e32 v64, 28, v30
	v_lshlrev_b64 v[108:109], v64, v[18:19]
	v_sub_nc_u32_e32 v64, 29, v30
	v_and_b32_e32 v30, 7, v108
; %bb.927:                              ;   in Loop: Header=BB299_10 Depth=1
	s_or_b32 exec_lo, exec_lo, s26
	v_lshlrev_b32_e32 v18, 8, v18
	v_lshl_add_u32 v64, v64, 10, 0x2000
	v_lshlrev_b32_e32 v30, 7, v30
	v_and_b32_e32 v18, 0x8000, v18
	v_and_b32_e32 v64, 0xfc00, v64
	v_or3_b32 v30, v18, v64, v30
.LBB299_928:                            ;   in Loop: Header=BB299_10 Depth=1
	s_or_b32 exec_lo, exec_lo, s25
.LBB299_929:                            ;   in Loop: Header=BB299_10 Depth=1
	s_or_b32 exec_lo, exec_lo, s24
.LBB299_930:                            ;   in Loop: Header=BB299_10 Depth=1
	s_or_b32 exec_lo, exec_lo, s8
	s_mov_b32 s8, exec_lo
	v_cmpx_lt_u32_e32 0xffffff, v12
	s_cbranch_execz .LBB299_938
; %bb.931:                              ;   in Loop: Header=BB299_10 Depth=1
	v_lshrrev_b32_e32 v18, 24, v12
	v_bfrev_b32_e32 v115, 1
	s_mov_b32 s24, exec_lo
	v_cmpx_ne_u32_e32 0x80, v18
	s_cbranch_execz .LBB299_937
; %bb.932:                              ;   in Loop: Header=BB299_10 Depth=1
	v_and_b32_e32 v70, 0x7f, v18
	v_mov_b32_e32 v115, 0x7c010000
	s_mov_b32 s25, exec_lo
	v_cmpx_ne_u32_e32 0x7f, v70
	s_cbranch_execz .LBB299_936
; %bb.933:                              ;   in Loop: Header=BB299_10 Depth=1
	v_and_b32_e32 v12, 7, v18
	v_lshrrev_b32_e32 v64, 3, v70
	s_mov_b32 s26, exec_lo
	v_cmpx_gt_u32_e32 8, v70
; %bb.934:                              ;   in Loop: Header=BB299_10 Depth=1
	v_ffbh_u32_e32 v12, v12
	v_min_u32_e32 v12, 32, v12
	v_subrev_nc_u32_e32 v64, 28, v12
	v_lshlrev_b64 v[108:109], v64, v[18:19]
	v_sub_nc_u32_e32 v64, 29, v12
	v_and_b32_e32 v12, 7, v108
; %bb.935:                              ;   in Loop: Header=BB299_10 Depth=1
	s_or_b32 exec_lo, exec_lo, s26
	v_lshlrev_b32_e32 v18, 8, v18
	v_lshl_add_u32 v64, v64, 10, 0x2000
	v_lshlrev_b32_e32 v12, 23, v12
	v_and_or_b32 v18, 0x8000, v18, v64
	v_lshl_or_b32 v115, v18, 16, v12
.LBB299_936:                            ;   in Loop: Header=BB299_10 Depth=1
	s_or_b32 exec_lo, exec_lo, s25
.LBB299_937:                            ;   in Loop: Header=BB299_10 Depth=1
	s_or_b32 exec_lo, exec_lo, s24
.LBB299_938:                            ;   in Loop: Header=BB299_10 Depth=1
	s_or_b32 exec_lo, exec_lo, s8
	buffer_load_dword v12, off, s[0:3], s32 offset:196 ; 4-byte Folded Reload
	v_mov_b32_e32 v41, 0
	v_mov_b32_e32 v43, 0
	s_waitcnt vmcnt(0)
	v_add_co_u32 v108, s7, v82, v12
	v_add_co_ci_u32_e64 v109, null, 0, v84, s7
	flat_load_dword v12, v[108:109]
	s_waitcnt vmcnt(0) lgkmcnt(0)
	v_cmp_ne_u16_sdwa s7, v12, v19 src0_sel:BYTE_0 src1_sel:DWORD
	s_and_saveexec_b32 s8, s7
	s_cbranch_execz .LBB299_946
; %bb.939:                              ;   in Loop: Header=BB299_10 Depth=1
	v_cmp_ne_u16_sdwa s7, v12, v66 src0_sel:BYTE_0 src1_sel:DWORD
	v_mov_b32_e32 v43, 0x8000
	s_and_saveexec_b32 s24, s7
	s_cbranch_execz .LBB299_945
; %bb.940:                              ;   in Loop: Header=BB299_10 Depth=1
	v_and_b32_e32 v70, 0x7f, v12
	v_mov_b32_e32 v43, 0x7c01
	s_mov_b32 s25, exec_lo
	v_cmpx_ne_u32_e32 0x7f, v70
	s_cbranch_execz .LBB299_944
; %bb.941:                              ;   in Loop: Header=BB299_10 Depth=1
	v_and_b32_e32 v18, 7, v12
	v_lshrrev_b32_e32 v64, 3, v70
	s_mov_b32 s26, exec_lo
	v_cmpx_gt_u32_e32 8, v70
; %bb.942:                              ;   in Loop: Header=BB299_10 Depth=1
	v_ffbh_u32_e32 v18, v18
	v_min_u32_e32 v18, 32, v18
	v_subrev_nc_u32_e32 v64, 28, v18
	v_lshlrev_b64 v[108:109], v64, v[12:13]
	v_sub_nc_u32_e32 v64, 29, v18
	v_and_b32_e32 v18, 7, v108
; %bb.943:                              ;   in Loop: Header=BB299_10 Depth=1
	s_or_b32 exec_lo, exec_lo, s26
	v_lshlrev_b32_e32 v70, 8, v12
	v_lshl_add_u32 v64, v64, 10, 0x2000
	v_lshlrev_b32_e32 v18, 7, v18
	v_and_b32_e32 v70, 0x8000, v70
	v_and_b32_e32 v64, 0xfc00, v64
	v_or3_b32 v43, v70, v64, v18
.LBB299_944:                            ;   in Loop: Header=BB299_10 Depth=1
	s_or_b32 exec_lo, exec_lo, s25
.LBB299_945:                            ;   in Loop: Header=BB299_10 Depth=1
	s_or_b32 exec_lo, exec_lo, s24
.LBB299_946:                            ;   in Loop: Header=BB299_10 Depth=1
	s_or_b32 exec_lo, exec_lo, s8
	v_lshrrev_b16 v18, 8, v12
	s_mov_b32 s8, exec_lo
	v_cmpx_ne_u16_e32 0, v18
	s_cbranch_execz .LBB299_954
; %bb.947:                              ;   in Loop: Header=BB299_10 Depth=1
	v_bfrev_b32_e32 v41, 1
	s_mov_b32 s24, exec_lo
	v_cmpx_ne_u16_e32 0x80, v18
	s_cbranch_execz .LBB299_953
; %bb.948:                              ;   in Loop: Header=BB299_10 Depth=1
	v_mov_b32_e32 v64, 0x7f
	v_mov_b32_e32 v41, 0x7c010000
	s_mov_b32 s25, exec_lo
	v_and_b32_sdwa v82, v18, v64 dst_sel:DWORD dst_unused:UNUSED_PAD src0_sel:WORD_0 src1_sel:DWORD
	v_cmpx_ne_u32_e32 0x7f, v82
	s_cbranch_execz .LBB299_952
; %bb.949:                              ;   in Loop: Header=BB299_10 Depth=1
	v_mov_b32_e32 v64, 7
	v_lshrrev_b32_e32 v70, 3, v82
	s_mov_b32 s26, exec_lo
	v_and_b32_sdwa v64, v18, v64 dst_sel:DWORD dst_unused:UNUSED_PAD src0_sel:WORD_0 src1_sel:DWORD
	v_cmpx_gt_u32_e32 8, v82
; %bb.950:                              ;   in Loop: Header=BB299_10 Depth=1
	v_ffbh_u32_e32 v64, v64
	v_min_u32_e32 v64, 32, v64
	v_subrev_nc_u32_e32 v70, 28, v64
	v_lshlrev_b64 v[108:109], v70, v[18:19]
	v_sub_nc_u32_e32 v70, 29, v64
	v_and_b32_e32 v64, 7, v108
; %bb.951:                              ;   in Loop: Header=BB299_10 Depth=1
	s_or_b32 exec_lo, exec_lo, s26
	v_mov_b32_e32 v82, 8
	v_lshl_add_u32 v70, v70, 10, 0x2000
	v_lshlrev_b32_e32 v64, 23, v64
	v_lshlrev_b32_sdwa v18, v82, v18 dst_sel:DWORD dst_unused:UNUSED_PAD src0_sel:DWORD src1_sel:WORD_0
	v_and_or_b32 v18, 0x8000, v18, v70
	v_lshl_or_b32 v41, v18, 16, v64
.LBB299_952:                            ;   in Loop: Header=BB299_10 Depth=1
	s_or_b32 exec_lo, exec_lo, s25
.LBB299_953:                            ;   in Loop: Header=BB299_10 Depth=1
	s_or_b32 exec_lo, exec_lo, s24
.LBB299_954:                            ;   in Loop: Header=BB299_10 Depth=1
	s_or_b32 exec_lo, exec_lo, s8
	v_lshrrev_b32_e32 v18, 16, v12
	v_mov_b32_e32 v82, 0
	v_mov_b32_e32 v108, 0
	v_cmp_ne_u16_sdwa s7, v18, v19 src0_sel:BYTE_0 src1_sel:DWORD
	s_and_saveexec_b32 s8, s7
	s_cbranch_execz .LBB299_962
; %bb.955:                              ;   in Loop: Header=BB299_10 Depth=1
	v_cmp_ne_u16_sdwa s7, v18, v66 src0_sel:BYTE_0 src1_sel:DWORD
	v_mov_b32_e32 v108, 0x8000
	s_and_saveexec_b32 s24, s7
	s_cbranch_execz .LBB299_961
; %bb.956:                              ;   in Loop: Header=BB299_10 Depth=1
	v_bfe_u32 v84, v12, 16, 7
	v_mov_b32_e32 v108, 0x7c01
	s_mov_b32 s25, exec_lo
	v_cmpx_ne_u32_e32 0x7f, v84
	s_cbranch_execz .LBB299_960
; %bb.957:                              ;   in Loop: Header=BB299_10 Depth=1
	v_and_b32_e32 v64, 7, v18
	v_lshrrev_b32_e32 v70, 3, v84
	s_mov_b32 s26, exec_lo
	v_cmpx_gt_u32_e32 8, v84
; %bb.958:                              ;   in Loop: Header=BB299_10 Depth=1
	v_ffbh_u32_e32 v64, v64
	v_min_u32_e32 v64, 32, v64
	v_subrev_nc_u32_e32 v70, 28, v64
	v_lshlrev_b64 v[108:109], v70, v[18:19]
	v_sub_nc_u32_e32 v70, 29, v64
	v_and_b32_e32 v64, 7, v108
; %bb.959:                              ;   in Loop: Header=BB299_10 Depth=1
	s_or_b32 exec_lo, exec_lo, s26
	v_lshlrev_b32_e32 v18, 8, v18
	v_lshl_add_u32 v70, v70, 10, 0x2000
	v_lshlrev_b32_e32 v64, 7, v64
	v_and_b32_e32 v18, 0x8000, v18
	v_and_b32_e32 v70, 0xfc00, v70
	v_or3_b32 v108, v18, v70, v64
.LBB299_960:                            ;   in Loop: Header=BB299_10 Depth=1
	s_or_b32 exec_lo, exec_lo, s25
.LBB299_961:                            ;   in Loop: Header=BB299_10 Depth=1
	s_or_b32 exec_lo, exec_lo, s24
.LBB299_962:                            ;   in Loop: Header=BB299_10 Depth=1
	s_or_b32 exec_lo, exec_lo, s8
	s_mov_b32 s8, exec_lo
	v_cmpx_lt_u32_e32 0xffffff, v12
	s_cbranch_execz .LBB299_970
; %bb.963:                              ;   in Loop: Header=BB299_10 Depth=1
	v_lshrrev_b32_e32 v18, 24, v12
	v_bfrev_b32_e32 v82, 1
	s_mov_b32 s24, exec_lo
	v_cmpx_ne_u32_e32 0x80, v18
	s_cbranch_execz .LBB299_969
; %bb.964:                              ;   in Loop: Header=BB299_10 Depth=1
	v_and_b32_e32 v70, 0x7f, v18
	v_mov_b32_e32 v82, 0x7c010000
	s_mov_b32 s25, exec_lo
	v_cmpx_ne_u32_e32 0x7f, v70
	s_cbranch_execz .LBB299_968
; %bb.965:                              ;   in Loop: Header=BB299_10 Depth=1
	v_and_b32_e32 v12, 7, v18
	v_lshrrev_b32_e32 v64, 3, v70
	s_mov_b32 s26, exec_lo
	v_cmpx_gt_u32_e32 8, v70
; %bb.966:                              ;   in Loop: Header=BB299_10 Depth=1
	v_ffbh_u32_e32 v12, v12
	v_min_u32_e32 v12, 32, v12
	v_subrev_nc_u32_e32 v64, 28, v12
	v_lshlrev_b64 v[109:110], v64, v[18:19]
	v_sub_nc_u32_e32 v64, 29, v12
	v_and_b32_e32 v12, 7, v109
; %bb.967:                              ;   in Loop: Header=BB299_10 Depth=1
	s_or_b32 exec_lo, exec_lo, s26
	v_lshlrev_b32_e32 v18, 8, v18
	v_lshl_add_u32 v64, v64, 10, 0x2000
	v_lshlrev_b32_e32 v12, 23, v12
	v_and_or_b32 v18, 0x8000, v18, v64
	v_lshl_or_b32 v82, v18, 16, v12
.LBB299_968:                            ;   in Loop: Header=BB299_10 Depth=1
	s_or_b32 exec_lo, exec_lo, s25
.LBB299_969:                            ;   in Loop: Header=BB299_10 Depth=1
	s_or_b32 exec_lo, exec_lo, s24
.LBB299_970:                            ;   in Loop: Header=BB299_10 Depth=1
	s_or_b32 exec_lo, exec_lo, s8
	buffer_load_dword v12, off, s[0:3], s32 offset:192 ; 4-byte Folded Reload
	v_add_co_u32 v84, s7, 0xf00, v28
	v_add_co_ci_u32_e64 v86, null, 0, v29, s7
	s_waitcnt vmcnt(0)
	v_add_co_u32 v28, s7, v84, v12
	v_add_co_ci_u32_e64 v29, null, 0, v86, s7
	flat_load_dword v12, v[28:29]
	v_mov_b32_e32 v28, 0
	v_mov_b32_e32 v29, 0
	s_waitcnt vmcnt(0) lgkmcnt(0)
	v_cmp_ne_u16_sdwa s7, v12, v19 src0_sel:BYTE_0 src1_sel:DWORD
	s_and_saveexec_b32 s8, s7
	s_cbranch_execz .LBB299_978
; %bb.971:                              ;   in Loop: Header=BB299_10 Depth=1
	v_cmp_ne_u16_sdwa s7, v12, v66 src0_sel:BYTE_0 src1_sel:DWORD
	v_mov_b32_e32 v29, 0x8000
	s_and_saveexec_b32 s24, s7
	s_cbranch_execz .LBB299_977
; %bb.972:                              ;   in Loop: Header=BB299_10 Depth=1
	v_and_b32_e32 v64, 0x7f, v12
	v_mov_b32_e32 v29, 0x7c01
	s_mov_b32 s25, exec_lo
	v_cmpx_ne_u32_e32 0x7f, v64
	s_cbranch_execz .LBB299_976
; %bb.973:                              ;   in Loop: Header=BB299_10 Depth=1
	v_and_b32_e32 v18, 7, v12
	v_lshrrev_b32_e32 v29, 3, v64
	s_mov_b32 s26, exec_lo
	v_cmpx_gt_u32_e32 8, v64
; %bb.974:                              ;   in Loop: Header=BB299_10 Depth=1
	v_ffbh_u32_e32 v18, v18
	v_min_u32_e32 v18, 32, v18
	v_subrev_nc_u32_e32 v29, 28, v18
	v_lshlrev_b64 v[109:110], v29, v[12:13]
	v_sub_nc_u32_e32 v29, 29, v18
	v_and_b32_e32 v18, 7, v109
; %bb.975:                              ;   in Loop: Header=BB299_10 Depth=1
	s_or_b32 exec_lo, exec_lo, s26
	v_lshlrev_b32_e32 v64, 8, v12
	v_lshl_add_u32 v29, v29, 10, 0x2000
	v_lshlrev_b32_e32 v18, 7, v18
	v_and_b32_e32 v64, 0x8000, v64
	v_and_b32_e32 v29, 0xfc00, v29
	v_or3_b32 v29, v64, v29, v18
.LBB299_976:                            ;   in Loop: Header=BB299_10 Depth=1
	s_or_b32 exec_lo, exec_lo, s25
.LBB299_977:                            ;   in Loop: Header=BB299_10 Depth=1
	s_or_b32 exec_lo, exec_lo, s24
.LBB299_978:                            ;   in Loop: Header=BB299_10 Depth=1
	s_or_b32 exec_lo, exec_lo, s8
	v_lshrrev_b16 v18, 8, v12
	s_mov_b32 s8, exec_lo
	v_cmpx_ne_u16_e32 0, v18
	s_cbranch_execz .LBB299_986
; %bb.979:                              ;   in Loop: Header=BB299_10 Depth=1
	v_bfrev_b32_e32 v28, 1
	s_mov_b32 s24, exec_lo
	v_cmpx_ne_u16_e32 0x80, v18
	s_cbranch_execz .LBB299_985
; %bb.980:                              ;   in Loop: Header=BB299_10 Depth=1
	v_mov_b32_e32 v28, 0x7f
	s_mov_b32 s25, exec_lo
	v_and_b32_sdwa v70, v18, v28 dst_sel:DWORD dst_unused:UNUSED_PAD src0_sel:WORD_0 src1_sel:DWORD
	v_mov_b32_e32 v28, 0x7c010000
	v_cmpx_ne_u32_e32 0x7f, v70
	s_cbranch_execz .LBB299_984
; %bb.981:                              ;   in Loop: Header=BB299_10 Depth=1
	v_mov_b32_e32 v28, 7
	v_lshrrev_b32_e32 v64, 3, v70
	s_mov_b32 s26, exec_lo
	v_and_b32_sdwa v28, v18, v28 dst_sel:DWORD dst_unused:UNUSED_PAD src0_sel:WORD_0 src1_sel:DWORD
	v_cmpx_gt_u32_e32 8, v70
; %bb.982:                              ;   in Loop: Header=BB299_10 Depth=1
	v_ffbh_u32_e32 v28, v28
	v_min_u32_e32 v28, 32, v28
	v_subrev_nc_u32_e32 v64, 28, v28
	v_lshlrev_b64 v[109:110], v64, v[18:19]
	v_sub_nc_u32_e32 v64, 29, v28
	v_and_b32_e32 v28, 7, v109
; %bb.983:                              ;   in Loop: Header=BB299_10 Depth=1
	s_or_b32 exec_lo, exec_lo, s26
	v_mov_b32_e32 v70, 8
	v_lshl_add_u32 v64, v64, 10, 0x2000
	v_lshlrev_b32_e32 v28, 23, v28
	v_lshlrev_b32_sdwa v18, v70, v18 dst_sel:DWORD dst_unused:UNUSED_PAD src0_sel:DWORD src1_sel:WORD_0
	v_and_or_b32 v18, 0x8000, v18, v64
	v_lshl_or_b32 v28, v18, 16, v28
.LBB299_984:                            ;   in Loop: Header=BB299_10 Depth=1
	s_or_b32 exec_lo, exec_lo, s25
.LBB299_985:                            ;   in Loop: Header=BB299_10 Depth=1
	s_or_b32 exec_lo, exec_lo, s24
.LBB299_986:                            ;   in Loop: Header=BB299_10 Depth=1
	s_or_b32 exec_lo, exec_lo, s8
	v_lshrrev_b32_e32 v18, 16, v12
	v_mov_b32_e32 v109, 0
	v_mov_b32_e32 v110, 0
	v_cmp_ne_u16_sdwa s7, v18, v19 src0_sel:BYTE_0 src1_sel:DWORD
	s_and_saveexec_b32 s8, s7
	s_cbranch_execz .LBB299_994
; %bb.987:                              ;   in Loop: Header=BB299_10 Depth=1
	v_cmp_ne_u16_sdwa s7, v18, v66 src0_sel:BYTE_0 src1_sel:DWORD
	v_mov_b32_e32 v110, 0x8000
	s_and_saveexec_b32 s24, s7
	s_cbranch_execz .LBB299_993
; %bb.988:                              ;   in Loop: Header=BB299_10 Depth=1
	v_bfe_u32 v111, v12, 16, 7
	v_mov_b32_e32 v110, 0x7c01
	s_mov_b32 s25, exec_lo
	v_cmpx_ne_u32_e32 0x7f, v111
	s_cbranch_execz .LBB299_992
; %bb.989:                              ;   in Loop: Header=BB299_10 Depth=1
	v_and_b32_e32 v64, 7, v18
	v_lshrrev_b32_e32 v70, 3, v111
	s_mov_b32 s26, exec_lo
	v_cmpx_gt_u32_e32 8, v111
; %bb.990:                              ;   in Loop: Header=BB299_10 Depth=1
	v_ffbh_u32_e32 v64, v64
	v_min_u32_e32 v64, 32, v64
	v_subrev_nc_u32_e32 v70, 28, v64
	v_lshlrev_b64 v[110:111], v70, v[18:19]
	v_sub_nc_u32_e32 v70, 29, v64
	v_and_b32_e32 v64, 7, v110
; %bb.991:                              ;   in Loop: Header=BB299_10 Depth=1
	s_or_b32 exec_lo, exec_lo, s26
	v_lshlrev_b32_e32 v18, 8, v18
	v_lshl_add_u32 v70, v70, 10, 0x2000
	v_lshlrev_b32_e32 v64, 7, v64
	v_and_b32_e32 v18, 0x8000, v18
	v_and_b32_e32 v70, 0xfc00, v70
	v_or3_b32 v110, v18, v70, v64
.LBB299_992:                            ;   in Loop: Header=BB299_10 Depth=1
	s_or_b32 exec_lo, exec_lo, s25
.LBB299_993:                            ;   in Loop: Header=BB299_10 Depth=1
	s_or_b32 exec_lo, exec_lo, s24
.LBB299_994:                            ;   in Loop: Header=BB299_10 Depth=1
	s_or_b32 exec_lo, exec_lo, s8
	s_mov_b32 s8, exec_lo
	v_cmpx_lt_u32_e32 0xffffff, v12
	s_cbranch_execz .LBB299_1002
; %bb.995:                              ;   in Loop: Header=BB299_10 Depth=1
	v_lshrrev_b32_e32 v18, 24, v12
	v_bfrev_b32_e32 v109, 1
	s_mov_b32 s24, exec_lo
	v_cmpx_ne_u32_e32 0x80, v18
	s_cbranch_execz .LBB299_1001
; %bb.996:                              ;   in Loop: Header=BB299_10 Depth=1
	v_and_b32_e32 v70, 0x7f, v18
	v_mov_b32_e32 v109, 0x7c010000
	s_mov_b32 s25, exec_lo
	v_cmpx_ne_u32_e32 0x7f, v70
	s_cbranch_execz .LBB299_1000
; %bb.997:                              ;   in Loop: Header=BB299_10 Depth=1
	v_and_b32_e32 v12, 7, v18
	v_lshrrev_b32_e32 v64, 3, v70
	s_mov_b32 s26, exec_lo
	v_cmpx_gt_u32_e32 8, v70
; %bb.998:                              ;   in Loop: Header=BB299_10 Depth=1
	v_ffbh_u32_e32 v12, v12
	v_min_u32_e32 v12, 32, v12
	v_subrev_nc_u32_e32 v64, 28, v12
	v_lshlrev_b64 v[121:122], v64, v[18:19]
	v_sub_nc_u32_e32 v64, 29, v12
	v_and_b32_e32 v12, 7, v121
; %bb.999:                              ;   in Loop: Header=BB299_10 Depth=1
	s_or_b32 exec_lo, exec_lo, s26
	v_lshlrev_b32_e32 v18, 8, v18
	v_lshl_add_u32 v64, v64, 10, 0x2000
	v_lshlrev_b32_e32 v12, 23, v12
	v_and_or_b32 v18, 0x8000, v18, v64
	v_lshl_or_b32 v109, v18, 16, v12
.LBB299_1000:                           ;   in Loop: Header=BB299_10 Depth=1
	s_or_b32 exec_lo, exec_lo, s25
.LBB299_1001:                           ;   in Loop: Header=BB299_10 Depth=1
	s_or_b32 exec_lo, exec_lo, s24
.LBB299_1002:                           ;   in Loop: Header=BB299_10 Depth=1
	s_or_b32 exec_lo, exec_lo, s8
	buffer_load_dword v12, off, s[0:3], s32 offset:196 ; 4-byte Folded Reload
	s_waitcnt vmcnt(0)
	v_add_co_u32 v121, s7, v84, v12
	v_add_co_ci_u32_e64 v122, null, 0, v86, s7
	v_mov_b32_e32 v86, 0
	v_mov_b32_e32 v84, 0
	flat_load_dword v12, v[121:122]
	s_waitcnt vmcnt(0) lgkmcnt(0)
	v_cmp_ne_u16_sdwa s7, v12, v19 src0_sel:BYTE_0 src1_sel:DWORD
	s_and_saveexec_b32 s8, s7
	s_cbranch_execz .LBB299_1010
; %bb.1003:                             ;   in Loop: Header=BB299_10 Depth=1
	v_cmp_ne_u16_sdwa s7, v12, v66 src0_sel:BYTE_0 src1_sel:DWORD
	v_mov_b32_e32 v84, 0x8000
	s_and_saveexec_b32 s24, s7
	s_cbranch_execz .LBB299_1009
; %bb.1004:                             ;   in Loop: Header=BB299_10 Depth=1
	v_and_b32_e32 v70, 0x7f, v12
	v_mov_b32_e32 v84, 0x7c01
	s_mov_b32 s25, exec_lo
	v_cmpx_ne_u32_e32 0x7f, v70
	s_cbranch_execz .LBB299_1008
; %bb.1005:                             ;   in Loop: Header=BB299_10 Depth=1
	v_and_b32_e32 v18, 7, v12
	v_lshrrev_b32_e32 v64, 3, v70
	s_mov_b32 s26, exec_lo
	v_cmpx_gt_u32_e32 8, v70
; %bb.1006:                             ;   in Loop: Header=BB299_10 Depth=1
	v_ffbh_u32_e32 v18, v18
	v_min_u32_e32 v18, 32, v18
	v_subrev_nc_u32_e32 v64, 28, v18
	v_lshlrev_b64 v[121:122], v64, v[12:13]
	v_sub_nc_u32_e32 v64, 29, v18
	v_and_b32_e32 v18, 7, v121
; %bb.1007:                             ;   in Loop: Header=BB299_10 Depth=1
	s_or_b32 exec_lo, exec_lo, s26
	v_lshlrev_b32_e32 v70, 8, v12
	v_lshl_add_u32 v64, v64, 10, 0x2000
	v_lshlrev_b32_e32 v18, 7, v18
	v_and_b32_e32 v70, 0x8000, v70
	v_and_b32_e32 v64, 0xfc00, v64
	v_or3_b32 v84, v70, v64, v18
.LBB299_1008:                           ;   in Loop: Header=BB299_10 Depth=1
	s_or_b32 exec_lo, exec_lo, s25
.LBB299_1009:                           ;   in Loop: Header=BB299_10 Depth=1
	s_or_b32 exec_lo, exec_lo, s24
.LBB299_1010:                           ;   in Loop: Header=BB299_10 Depth=1
	s_or_b32 exec_lo, exec_lo, s8
	v_lshrrev_b16 v18, 8, v12
	s_mov_b32 s8, exec_lo
	v_cmpx_ne_u16_e32 0, v18
	s_cbranch_execz .LBB299_1018
; %bb.1011:                             ;   in Loop: Header=BB299_10 Depth=1
	v_bfrev_b32_e32 v86, 1
	s_mov_b32 s24, exec_lo
	v_cmpx_ne_u16_e32 0x80, v18
	s_cbranch_execz .LBB299_1017
; %bb.1012:                             ;   in Loop: Header=BB299_10 Depth=1
	v_mov_b32_e32 v64, 0x7f
	v_mov_b32_e32 v86, 0x7c010000
	s_mov_b32 s25, exec_lo
	v_and_b32_sdwa v111, v18, v64 dst_sel:DWORD dst_unused:UNUSED_PAD src0_sel:WORD_0 src1_sel:DWORD
	v_cmpx_ne_u32_e32 0x7f, v111
	s_cbranch_execz .LBB299_1016
; %bb.1013:                             ;   in Loop: Header=BB299_10 Depth=1
	v_mov_b32_e32 v64, 7
	v_lshrrev_b32_e32 v70, 3, v111
	s_mov_b32 s26, exec_lo
	v_and_b32_sdwa v64, v18, v64 dst_sel:DWORD dst_unused:UNUSED_PAD src0_sel:WORD_0 src1_sel:DWORD
	v_cmpx_gt_u32_e32 8, v111
; %bb.1014:                             ;   in Loop: Header=BB299_10 Depth=1
	v_ffbh_u32_e32 v64, v64
	v_min_u32_e32 v64, 32, v64
	v_subrev_nc_u32_e32 v70, 28, v64
	v_lshlrev_b64 v[121:122], v70, v[18:19]
	v_sub_nc_u32_e32 v70, 29, v64
	v_and_b32_e32 v64, 7, v121
; %bb.1015:                             ;   in Loop: Header=BB299_10 Depth=1
	s_or_b32 exec_lo, exec_lo, s26
	v_mov_b32_e32 v86, 8
	v_lshl_add_u32 v70, v70, 10, 0x2000
	v_lshlrev_b32_e32 v64, 23, v64
	v_lshlrev_b32_sdwa v18, v86, v18 dst_sel:DWORD dst_unused:UNUSED_PAD src0_sel:DWORD src1_sel:WORD_0
	v_and_or_b32 v18, 0x8000, v18, v70
	v_lshl_or_b32 v86, v18, 16, v64
.LBB299_1016:                           ;   in Loop: Header=BB299_10 Depth=1
	s_or_b32 exec_lo, exec_lo, s25
.LBB299_1017:                           ;   in Loop: Header=BB299_10 Depth=1
	s_or_b32 exec_lo, exec_lo, s24
.LBB299_1018:                           ;   in Loop: Header=BB299_10 Depth=1
	s_or_b32 exec_lo, exec_lo, s8
	v_lshrrev_b32_e32 v18, 16, v12
	v_mov_b32_e32 v64, 0
	v_mov_b32_e32 v70, 0
	v_cmp_ne_u16_sdwa s7, v18, v19 src0_sel:BYTE_0 src1_sel:DWORD
	s_and_saveexec_b32 s8, s7
	s_cbranch_execz .LBB299_1026
; %bb.1019:                             ;   in Loop: Header=BB299_10 Depth=1
	v_cmp_ne_u16_sdwa s7, v18, v66 src0_sel:BYTE_0 src1_sel:DWORD
	v_mov_b32_e32 v70, 0x8000
	s_and_saveexec_b32 s24, s7
	s_cbranch_execz .LBB299_1025
; %bb.1020:                             ;   in Loop: Header=BB299_10 Depth=1
	v_bfe_u32 v121, v12, 16, 7
	v_mov_b32_e32 v70, 0x7c01
	s_mov_b32 s25, exec_lo
	v_cmpx_ne_u32_e32 0x7f, v121
	s_cbranch_execz .LBB299_1024
; %bb.1021:                             ;   in Loop: Header=BB299_10 Depth=1
	v_and_b32_e32 v70, 7, v18
	v_lshrrev_b32_e32 v111, 3, v121
	s_mov_b32 s26, exec_lo
	v_cmpx_gt_u32_e32 8, v121
; %bb.1022:                             ;   in Loop: Header=BB299_10 Depth=1
	v_ffbh_u32_e32 v70, v70
	v_min_u32_e32 v70, 32, v70
	v_subrev_nc_u32_e32 v111, 28, v70
	v_lshlrev_b64 v[121:122], v111, v[18:19]
	v_sub_nc_u32_e32 v111, 29, v70
	v_and_b32_e32 v70, 7, v121
; %bb.1023:                             ;   in Loop: Header=BB299_10 Depth=1
	s_or_b32 exec_lo, exec_lo, s26
	v_lshlrev_b32_e32 v18, 8, v18
	v_lshl_add_u32 v111, v111, 10, 0x2000
	v_lshlrev_b32_e32 v70, 7, v70
	v_and_b32_e32 v18, 0x8000, v18
	v_and_b32_e32 v111, 0xfc00, v111
	v_or3_b32 v70, v18, v111, v70
.LBB299_1024:                           ;   in Loop: Header=BB299_10 Depth=1
	s_or_b32 exec_lo, exec_lo, s25
.LBB299_1025:                           ;   in Loop: Header=BB299_10 Depth=1
	s_or_b32 exec_lo, exec_lo, s24
.LBB299_1026:                           ;   in Loop: Header=BB299_10 Depth=1
	s_or_b32 exec_lo, exec_lo, s8
	s_mov_b32 s8, exec_lo
	v_cmpx_lt_u32_e32 0xffffff, v12
	s_cbranch_execz .LBB299_1034
; %bb.1027:                             ;   in Loop: Header=BB299_10 Depth=1
	v_lshrrev_b32_e32 v18, 24, v12
	v_bfrev_b32_e32 v64, 1
	s_mov_b32 s24, exec_lo
	v_cmpx_ne_u32_e32 0x80, v18
	s_cbranch_execz .LBB299_1033
; %bb.1028:                             ;   in Loop: Header=BB299_10 Depth=1
	v_and_b32_e32 v111, 0x7f, v18
	v_mov_b32_e32 v64, 0x7c010000
	s_mov_b32 s25, exec_lo
	v_cmpx_ne_u32_e32 0x7f, v111
	s_cbranch_execz .LBB299_1032
; %bb.1029:                             ;   in Loop: Header=BB299_10 Depth=1
	v_and_b32_e32 v12, 7, v18
	v_lshrrev_b32_e32 v64, 3, v111
	s_mov_b32 s26, exec_lo
	v_cmpx_gt_u32_e32 8, v111
; %bb.1030:                             ;   in Loop: Header=BB299_10 Depth=1
	v_ffbh_u32_e32 v12, v12
	v_min_u32_e32 v12, 32, v12
	v_subrev_nc_u32_e32 v64, 28, v12
	v_lshlrev_b64 v[121:122], v64, v[18:19]
	v_sub_nc_u32_e32 v64, 29, v12
	v_and_b32_e32 v12, 7, v121
; %bb.1031:                             ;   in Loop: Header=BB299_10 Depth=1
	s_or_b32 exec_lo, exec_lo, s26
	v_lshlrev_b32_e32 v18, 8, v18
	v_lshl_add_u32 v64, v64, 10, 0x2000
	v_lshlrev_b32_e32 v12, 23, v12
	v_and_or_b32 v18, 0x8000, v18, v64
	v_lshl_or_b32 v64, v18, 16, v12
.LBB299_1032:                           ;   in Loop: Header=BB299_10 Depth=1
	s_or_b32 exec_lo, exec_lo, s25
.LBB299_1033:                           ;   in Loop: Header=BB299_10 Depth=1
	s_or_b32 exec_lo, exec_lo, s24
.LBB299_1034:                           ;   in Loop: Header=BB299_10 Depth=1
	s_or_b32 exec_lo, exec_lo, s8
	v_or_b32_e32 v12, v28, v29
	v_or_b32_e32 v9, v2, v9
	v_fma_mixlo_f16 v18, v71, v28, 0 op_sel:[0,1,0] op_sel_hi:[0,1,0]
	v_or_b32_e32 v6, v80, v6
	v_or_b32_e32 v3, v23, v3
	v_fma_mixlo_f16 v12, v71, v12, 0 op_sel_hi:[0,1,0]
	v_fma_mixlo_f16 v28, v71, v25, 0 op_sel:[0,1,0] op_sel_hi:[0,1,0]
	buffer_store_dword v18, off, s[0:3], s32 offset:276 ; 4-byte Folded Spill
	v_fma_mixlo_f16 v18, v71, v41, 0 op_sel:[0,1,0] op_sel_hi:[0,1,0]
	v_fma_mixlo_f16 v121, v71, v100, 0 op_sel:[0,1,0] op_sel_hi:[0,1,0]
	buffer_store_dword v12, off, s[0:3], s32 offset:280 ; 4-byte Folded Spill
	v_or_b32_e32 v12, v109, v110
	v_fma_mixlo_f16 v110, v71, v112, 0 op_sel:[0,1,0] op_sel_hi:[0,1,0]
	buffer_store_dword v18, off, s[0:3], s32 offset:292 ; 4-byte Folded Spill
	v_fma_mixlo_f16 v18, v71, v34, 0 op_sel:[0,1,0] op_sel_hi:[0,1,0]
	v_fma_mixlo_f16 v29, v71, v2, 0 op_sel:[0,1,0] op_sel_hi:[0,1,0]
	v_fma_mixlo_f16 v12, v71, v12, 0 op_sel_hi:[0,1,0]
	v_or_b32_e32 v84, v86, v84
	v_or_b32_e32 v70, v64, v70
	buffer_store_dword v18, off, s[0:3], s32 offset:308 ; 4-byte Folded Spill
	v_fma_mixlo_f16 v18, v71, v5, 0 op_sel:[0,1,0] op_sel_hi:[0,1,0]
	buffer_store_dword v12, off, s[0:3], s32 offset:272 ; 4-byte Folded Spill
	v_fma_mixlo_f16 v12, v71, v109, 0 op_sel:[0,1,0] op_sel_hi:[0,1,0]
	v_fma_mixlo_f16 v64, v71, v64, 0 op_sel:[0,1,0] op_sel_hi:[0,1,0]
	buffer_store_dword v12, off, s[0:3], s32 offset:268 ; 4-byte Folded Spill
	v_or_b32_e32 v12, v41, v43
	v_fma_mixlo_f16 v12, v71, v12, 0 op_sel_hi:[0,1,0]
	buffer_store_dword v12, off, s[0:3], s32 offset:296 ; 4-byte Folded Spill
	v_or_b32_e32 v12, v82, v108
	v_fma_mixlo_f16 v108, v71, v116, 0 op_sel:[0,1,0] op_sel_hi:[0,1,0]
	v_fma_mixlo_f16 v12, v71, v12, 0 op_sel_hi:[0,1,0]
	buffer_store_dword v12, off, s[0:3], s32 offset:288 ; 4-byte Folded Spill
	v_fma_mixlo_f16 v12, v71, v82, 0 op_sel:[0,1,0] op_sel_hi:[0,1,0]
	v_or_b32_e32 v82, v126, v123
	v_fma_mixlo_f16 v123, v71, v70, 0 op_sel_hi:[0,1,0]
	buffer_store_dword v12, off, s[0:3], s32 offset:284 ; 4-byte Folded Spill
	v_or_b32_e32 v12, v34, v48
	v_fma_mixlo_f16 v82, v71, v82, 0 op_sel_hi:[0,1,0]
	v_fma_mixlo_f16 v12, v71, v12, 0 op_sel_hi:[0,1,0]
	buffer_store_dword v12, off, s[0:3], s32 offset:312 ; 4-byte Folded Spill
	v_or_b32_e32 v12, v115, v30
	v_fma_mixlo_f16 v12, v71, v12, 0 op_sel_hi:[0,1,0]
	buffer_store_dword v12, off, s[0:3], s32 offset:304 ; 4-byte Folded Spill
	v_fma_mixlo_f16 v12, v71, v115, 0 op_sel:[0,1,0] op_sel_hi:[0,1,0]
	buffer_store_dword v12, off, s[0:3], s32 offset:300 ; 4-byte Folded Spill
	v_or_b32_e32 v12, v17, v32
	v_fma_mixlo_f16 v17, v71, v17, 0 op_sel:[0,1,0] op_sel_hi:[0,1,0]
	v_fma_mixlo_f16 v32, v71, v14, 0 op_sel:[0,1,0] op_sel_hi:[0,1,0]
	v_fma_mixlo_f16 v12, v71, v12, 0 op_sel_hi:[0,1,0]
	buffer_store_dword v17, off, s[0:3], s32 offset:324 ; 4-byte Folded Spill
	v_fma_mixlo_f16 v17, v71, v0, 0 op_sel:[0,1,0] op_sel_hi:[0,1,0]
	buffer_store_dword v12, off, s[0:3], s32 offset:328 ; 4-byte Folded Spill
	v_or_b32_e32 v12, v81, v36
	v_fma_mixlo_f16 v36, v71, v11, 0 op_sel:[0,1,0] op_sel_hi:[0,1,0]
	v_fma_mixlo_f16 v12, v71, v12, 0 op_sel_hi:[0,1,0]
	buffer_store_dword v12, off, s[0:3], s32 offset:320 ; 4-byte Folded Spill
	v_fma_mixlo_f16 v12, v71, v81, 0 op_sel:[0,1,0] op_sel_hi:[0,1,0]
	buffer_store_dword v12, off, s[0:3], s32 offset:316 ; 4-byte Folded Spill
	v_or_b32_e32 v12, v11, v16
	v_or_b32_e32 v11, v38, v51
	v_fma_mixlo_f16 v51, v71, v9, 0 op_sel_hi:[0,1,0]
	v_or_b32_e32 v9, v14, v15
	v_fma_mixlo_f16 v14, v71, v7, 0 op_sel:[0,1,0] op_sel_hi:[0,1,0]
	v_fma_mixlo_f16 v34, v71, v12, 0 op_sel_hi:[0,1,0]
	v_or_b32_e32 v12, v13, v24
	v_fma_mixlo_f16 v48, v71, v11, 0 op_sel_hi:[0,1,0]
	v_fma_mixlo_f16 v30, v71, v9, 0 op_sel_hi:[0,1,0]
	v_or_b32_e32 v9, v0, v8
	v_or_b32_e32 v0, v25, v50
	v_fma_mixlo_f16 v24, v71, v12, 0 op_sel_hi:[0,1,0]
	v_or_b32_e32 v12, v37, v87
	v_fma_mixlo_f16 v25, v71, v13, 0 op_sel:[0,1,0] op_sel_hi:[0,1,0]
	v_fma_mixlo_f16 v13, v71, v101, 0 op_sel:[0,1,0] op_sel_hi:[0,1,0]
	v_fma_mixlo_f16 v50, v71, v0, 0 op_sel_hi:[0,1,0]
	buffer_load_dword v0, off, s[0:3], s32 offset:248 ; 4-byte Folded Reload
	v_fma_mixlo_f16 v15, v71, v12, 0 op_sel_hi:[0,1,0]
	v_or_b32_e32 v12, v53, v67
	v_fma_mixlo_f16 v67, v71, v53, 0 op_sel:[0,1,0] op_sel_hi:[0,1,0]
	v_fma_mixlo_f16 v11, v71, v39, 0 op_sel:[0,1,0] op_sel_hi:[0,1,0]
	v_fma_mixlo_f16 v16, v71, v9, 0 op_sel_hi:[0,1,0]
	v_fma_mixlo_f16 v38, v71, v38, 0 op_sel:[0,1,0] op_sel_hi:[0,1,0]
	v_fma_mixlo_f16 v53, v71, v12, 0 op_sel_hi:[0,1,0]
	v_or_b32_e32 v12, v68, v69
	v_fma_mixlo_f16 v37, v71, v37, 0 op_sel:[0,1,0] op_sel_hi:[0,1,0]
	v_fma_mixlo_f16 v68, v71, v68, 0 op_sel:[0,1,0] op_sel_hi:[0,1,0]
	;; [unrolled: 1-line block ×3, first 2 shown]
	v_fma_mixlo_f16 v69, v71, v12, 0 op_sel_hi:[0,1,0]
	v_or_b32_e32 v12, v7, v83
	v_fma_mixlo_f16 v83, v71, v113, 0 op_sel:[0,1,0] op_sel_hi:[0,1,0]
	v_fma_mixlo_f16 v7, v71, v96, 0 op_sel:[0,1,0] op_sel_hi:[0,1,0]
	v_fma_mixlo_f16 v87, v71, v12, 0 op_sel_hi:[0,1,0]
	v_or_b32_e32 v12, v113, v85
	v_fma_mixlo_f16 v113, v71, v97, 0 op_sel:[0,1,0] op_sel_hi:[0,1,0]
	v_fma_mixlo_f16 v85, v71, v12, 0 op_sel_hi:[0,1,0]
	v_or_b32_e32 v12, v97, v99
	v_fma_mixlo_f16 v97, v71, v117, 0 op_sel:[0,1,0] op_sel_hi:[0,1,0]
	v_fma_mixlo_f16 v115, v71, v12, 0 op_sel_hi:[0,1,0]
	v_or_b32_e32 v12, v117, v119
	v_fma_mixlo_f16 v119, v71, v6, 0 op_sel_hi:[0,1,0]
	v_or_b32_e32 v6, v101, v103
	v_fma_mixlo_f16 v101, v71, v22, 0 op_sel:[0,1,0] op_sel_hi:[0,1,0]
	v_fma_mixlo_f16 v117, v71, v80, 0 op_sel:[0,1,0] op_sel_hi:[0,1,0]
	v_fma_mixlo_f16 v99, v71, v12, 0 op_sel_hi:[0,1,0]
	v_or_b32_e32 v12, v22, v52
	v_fma_mixlo_f16 v22, v71, v49, 0 op_sel:[0,1,0] op_sel_hi:[0,1,0]
	v_fma_mixlo_f16 v103, v71, v6, 0 op_sel_hi:[0,1,0]
	v_fma_mixlo_f16 v41, v71, v12, 0 op_sel_hi:[0,1,0]
	v_or_b32_e32 v12, v49, v55
	v_fma_mixlo_f16 v49, v71, v23, 0 op_sel:[0,1,0] op_sel_hi:[0,1,0]
	v_fma_mixlo_f16 v55, v71, v3, 0 op_sel_hi:[0,1,0]
	v_or_b32_e32 v3, v1, v33
	v_fma_mixlo_f16 v23, v71, v1, 0 op_sel:[0,1,0] op_sel_hi:[0,1,0]
	v_or_b32_e32 v1, v5, v4
	v_fma_mixlo_f16 v52, v71, v12, 0 op_sel_hi:[0,1,0]
	v_fma_mixlo_f16 v33, v71, v3, 0 op_sel_hi:[0,1,0]
	v_fma_mixlo_f16 v3, v71, v65, 0 op_sel:[0,1,0] op_sel_hi:[0,1,0]
	v_fma_mixlo_f16 v43, v71, v1, 0 op_sel_hi:[0,1,0]
	v_or_b32_e32 v1, v39, v10
	v_fma_mixlo_f16 v39, v71, v31, 0 op_sel:[0,1,0] op_sel_hi:[0,1,0]
	v_and_b32_e32 v3, 0xffff, v3
	v_fma_mixlo_f16 v12, v71, v1, 0 op_sel_hi:[0,1,0]
	v_or_b32_e32 v1, v31, v120
	v_fma_mixlo_f16 v120, v71, v124, 0 op_sel:[0,1,0] op_sel_hi:[0,1,0]
	v_fma_mixlo_f16 v31, v71, v1, 0 op_sel_hi:[0,1,0]
	v_or_b32_e32 v1, v124, v125
	v_fma_mixlo_f16 v124, v71, v92, 0 op_sel:[0,1,0] op_sel_hi:[0,1,0]
	;; [unrolled: 3-line block ×3, first 2 shown]
	v_fma_mixlo_f16 v80, v71, v1, 0 op_sel_hi:[0,1,0]
	v_or_b32_e32 v1, v104, v107
	v_fma_mixlo_f16 v10, v71, v1, 0 op_sel_hi:[0,1,0]
	v_or_b32_e32 v1, v20, v21
	v_fma_mixlo_f16 v21, v71, v94, 0 op_sel:[0,1,0] op_sel_hi:[0,1,0]
	v_fma_mixlo_f16 v107, v71, v1, 0 op_sel_hi:[0,1,0]
	v_or_b32_e32 v1, v94, v95
	v_fma_mixlo_f16 v94, v71, v88, 0 op_sel:[0,1,0] op_sel_hi:[0,1,0]
	;; [unrolled: 3-line block ×14, first 2 shown]
	v_fma_mixlo_f16 v45, v71, v1, 0 op_sel_hi:[0,1,0]
	s_waitcnt vmcnt(0)
	v_or_b32_e32 v1, v40, v0
	buffer_load_dword v0, off, s[0:3], s32 offset:252 ; 4-byte Folded Reload
	v_fma_mixlo_f16 v40, v71, v42, 0 op_sel:[0,1,0] op_sel_hi:[0,1,0]
	v_fma_mixlo_f16 v81, v71, v1, 0 op_sel_hi:[0,1,0]
	s_waitcnt vmcnt(0)
	v_or_b32_e32 v1, v42, v0
	buffer_load_dword v0, off, s[0:3], s32 offset:240 ; 4-byte Folded Reload
	v_fma_mixlo_f16 v46, v71, v1, 0 op_sel_hi:[0,1,0]
	s_waitcnt vmcnt(0)
	v_or_b32_e32 v1, v116, v0
	buffer_load_dword v0, off, s[0:3], s32 offset:244 ; 4-byte Folded Reload
	v_fma_mixlo_f16 v116, v71, v118, 0 op_sel:[0,1,0] op_sel_hi:[0,1,0]
	v_fma_mixlo_f16 v109, v71, v1, 0 op_sel_hi:[0,1,0]
	s_waitcnt vmcnt(0)
	v_or_b32_e32 v1, v118, v0
	buffer_load_dword v0, off, s[0:3], s32 offset:232 ; 4-byte Folded Reload
	v_fma_mixlo_f16 v42, v71, v1, 0 op_sel_hi:[0,1,0]
	s_waitcnt vmcnt(0)
	v_or_b32_e32 v1, v112, v0
	buffer_load_dword v0, off, s[0:3], s32 offset:236 ; 4-byte Folded Reload
	v_fma_mixlo_f16 v112, v71, v114, 0 op_sel:[0,1,0] op_sel_hi:[0,1,0]
	v_fma_mixlo_f16 v111, v71, v1, 0 op_sel_hi:[0,1,0]
	s_waitcnt vmcnt(0)
	v_or_b32_e32 v1, v114, v0
	buffer_load_dword v0, off, s[0:3], s32 offset:224 ; 4-byte Folded Reload
	v_fma_mixlo_f16 v118, v71, v1, 0 op_sel_hi:[0,1,0]
	s_waitcnt vmcnt(0)
	v_or_b32_e32 v1, v100, v0
	buffer_load_dword v0, off, s[0:3], s32 offset:228 ; 4-byte Folded Reload
	v_fma_mixlo_f16 v100, v71, v102, 0 op_sel:[0,1,0] op_sel_hi:[0,1,0]
	v_fma_mixlo_f16 v122, v71, v1, 0 op_sel_hi:[0,1,0]
	s_waitcnt vmcnt(0)
	v_or_b32_e32 v1, v102, v0
	buffer_load_dword v0, off, s[0:3], s32 offset:216 ; 4-byte Folded Reload
	v_fma_mixlo_f16 v114, v71, v1, 0 op_sel_hi:[0,1,0]
	s_waitcnt vmcnt(0)
	v_or_b32_e32 v1, v96, v0
	buffer_load_dword v0, off, s[0:3], s32 offset:220 ; 4-byte Folded Reload
	v_fma_mixlo_f16 v96, v71, v98, 0 op_sel:[0,1,0] op_sel_hi:[0,1,0]
	v_fma_mixlo_f16 v104, v71, v1, 0 op_sel_hi:[0,1,0]
	s_waitcnt vmcnt(0)
	v_or_b32_e32 v1, v98, v0
	buffer_load_dword v0, off, s[0:3], s32 offset:208 ; 4-byte Folded Reload
	v_fma_mixlo_f16 v102, v71, v1, 0 op_sel_hi:[0,1,0]
	s_waitcnt vmcnt(0)
	v_or_b32_e32 v1, v65, v0
	buffer_load_dword v0, off, s[0:3], s32 offset:212 ; 4-byte Folded Reload
	v_fma_mixlo_f16 v65, v71, v126, 0 op_sel:[0,1,0] op_sel_hi:[0,1,0]
	v_fma_mixlo_f16 v126, v71, v86, 0 op_sel:[0,1,0] op_sel_hi:[0,1,0]
	v_fma_mixlo_f16 v86, v71, v84, 0 op_sel_hi:[0,1,0]
	v_fma_mixlo_f16 v4, v71, v1, 0 op_sel_hi:[0,1,0]
	v_and_b32_e32 v4, 0xffff, v4
	s_waitcnt vmcnt(0)
	v_or_b32_e32 v1, v127, v0
	s_clause 0x1
	buffer_load_dword v0, off, s[0:3], s32 offset:200
	buffer_load_dword v2, off, s[0:3], s32 offset:204
	v_fma_mixlo_f16 v5, v71, v1, 0 op_sel_hi:[0,1,0]
	v_fma_mixlo_f16 v1, v71, v127, 0 op_sel:[0,1,0] op_sel_hi:[0,1,0]
	v_and_b32_e32 v5, 0xffff, v5
	v_and_b32_e32 v1, 0xffff, v1
	s_waitcnt vmcnt(0)
	v_or_b32_e32 v98, v0, v2
	v_fma_mixlo_f16 v127, v71, v98, 0 op_sel_hi:[0,1,0]
	v_fma_mixlo_f16 v98, v71, v0, 0 op_sel:[0,1,0] op_sel_hi:[0,1,0]
	ds_read_b64 v[70:71], v54
	v_and_b32_e32 v20, 0xffff, v127
	s_waitcnt lgkmcnt(0)
	v_and_b32_e32 v2, 0xffff, v70
	v_lshrrev_b32_e32 v0, 16, v70
	;;#ASMSTART
	v_cvt_f32_f16 v84, v2;
	;;#ASMEND
	v_and_b32_e32 v2, 0xffff, v82
	;;#ASMSTART
	v_cvt_f32_f16 v0, v0;
	;;#ASMEND
	;;#ASMSTART
	v_cvt_f32_f16 v82, v2;
	;;#ASMEND
	v_and_b32_e32 v2, 0xffff, v65
	;;#ASMSTART
	v_cvt_f32_f16 v65, v2;
	;;#ASMEND
	v_lshrrev_b32_e32 v6, 16, v71
	v_and_b32_e32 v2, 0xffff, v71
	;;#ASMSTART
	v_cvt_f32_f16 v2, v2;
	;;#ASMEND
	;;#ASMSTART
	v_cvt_f32_f16 v6, v6;
	;;#ASMEND
	;; [unrolled: 3-line block ×3, first 2 shown]
	v_and_b32_e32 v20, 0xffff, v98
	;;#ASMSTART
	v_cvt_f32_f16 v98, v20;
	;;#ASMEND
	ds_read_b64 v[70:71], v54 offset:8
	s_waitcnt lgkmcnt(0)
	v_lshrrev_b32_e32 v20, 16, v70
	v_and_b32_e32 v70, 0xffff, v70
	;;#ASMSTART
	v_cvt_f32_f16 v70, v70;
	;;#ASMEND
	;;#ASMSTART
	v_cvt_f32_f16 v20, v20;
	;;#ASMEND
	;; [unrolled: 3-line block ×4, first 2 shown]
	v_mul_f32_e32 v3, v70, v4
	v_mul_f32_e32 v4, v20, v92
	v_lshrrev_b32_e32 v20, 16, v71
	v_fmac_f32_e32 v3, v84, v82
	v_fmac_f32_e32 v4, v0, v65
	v_and_b32_e32 v0, 0xffff, v71
	;;#ASMSTART
	v_cvt_f32_f16 v0, v0;
	;;#ASMEND
	;;#ASMSTART
	v_cvt_f32_f16 v20, v20;
	;;#ASMEND
	;; [unrolled: 3-line block ×4, first 2 shown]
	ds_read_b64 v[70:71], v54 offset:16
	v_mul_f32_e32 v1, v0, v5
	v_mul_f32_e32 v5, v20, v65
	v_and_b32_e32 v20, 0xffff, v7
	v_and_b32_e32 v7, 0xffff, v21
	v_fmac_f32_e32 v1, v2, v127
	v_fmac_f32_e32 v5, v6, v98
	v_and_b32_e32 v6, 0xffff, v104
	s_waitcnt lgkmcnt(0)
	v_lshrrev_b32_e32 v2, 16, v70
	v_and_b32_e32 v0, 0xffff, v70
	;;#ASMSTART
	v_cvt_f32_f16 v0, v0;
	;;#ASMEND
	;;#ASMSTART
	v_cvt_f32_f16 v2, v2;
	;;#ASMEND
	;;#ASMSTART
	v_cvt_f32_f16 v6, v6;
	;;#ASMEND
	;;#ASMSTART
	v_cvt_f32_f16 v20, v20;
	;;#ASMEND
	v_fmac_f32_e32 v3, v0, v6
	v_fmac_f32_e32 v4, v2, v20
	v_lshrrev_b32_e32 v2, 16, v71
	v_and_b32_e32 v0, 0xffff, v71
	v_and_b32_e32 v6, 0xffff, v102
	v_and_b32_e32 v20, 0xffff, v96
	;;#ASMSTART
	v_cvt_f32_f16 v0, v0;
	;;#ASMEND
	;;#ASMSTART
	v_cvt_f32_f16 v2, v2;
	;;#ASMEND
	;;#ASMSTART
	v_cvt_f32_f16 v6, v6;
	;;#ASMEND
	;;#ASMSTART
	v_cvt_f32_f16 v20, v20;
	;;#ASMEND
	ds_read_b64 v[70:71], v54 offset:24
	v_fmac_f32_e32 v1, v0, v6
	v_fmac_f32_e32 v5, v2, v20
	v_and_b32_e32 v6, 0xffff, v122
	v_and_b32_e32 v20, 0xffff, v121
	s_waitcnt lgkmcnt(0)
	v_lshrrev_b32_e32 v2, 16, v70
	v_and_b32_e32 v0, 0xffff, v70
	;;#ASMSTART
	v_cvt_f32_f16 v0, v0;
	;;#ASMEND
	;;#ASMSTART
	v_cvt_f32_f16 v2, v2;
	;;#ASMEND
	;;#ASMSTART
	v_cvt_f32_f16 v6, v6;
	;;#ASMEND
	;;#ASMSTART
	v_cvt_f32_f16 v20, v20;
	;;#ASMEND
	v_fmac_f32_e32 v3, v0, v6
	v_fmac_f32_e32 v4, v2, v20
	v_lshrrev_b32_e32 v2, 16, v71
	v_and_b32_e32 v0, 0xffff, v71
	v_and_b32_e32 v6, 0xffff, v114
	v_and_b32_e32 v20, 0xffff, v100
	;;#ASMSTART
	v_cvt_f32_f16 v0, v0;
	;;#ASMEND
	;;#ASMSTART
	v_cvt_f32_f16 v2, v2;
	;;#ASMEND
	;;#ASMSTART
	v_cvt_f32_f16 v6, v6;
	;;#ASMEND
	;;#ASMSTART
	v_cvt_f32_f16 v20, v20;
	;;#ASMEND
	ds_read_b64 v[70:71], v54 offset:32
	v_fmac_f32_e32 v1, v0, v6
	v_fmac_f32_e32 v5, v2, v20
	v_and_b32_e32 v6, 0xffff, v111
	;; [unrolled: 38-line block ×11, first 2 shown]
	v_and_b32_e32 v20, 0xffff, v8
	v_and_b32_e32 v8, 0xffff, v67
	s_waitcnt lgkmcnt(0)
	v_lshrrev_b32_e32 v2, 16, v70
	v_and_b32_e32 v0, 0xffff, v70
	;;#ASMSTART
	v_cvt_f32_f16 v0, v0;
	;;#ASMEND
	;;#ASMSTART
	v_cvt_f32_f16 v2, v2;
	;;#ASMEND
	;; [unrolled: 3-line block ×4, first 2 shown]
	v_fmac_f32_e32 v3, v0, v6
	v_fmac_f32_e32 v4, v2, v20
	v_lshrrev_b32_e32 v2, 16, v71
	v_and_b32_e32 v0, 0xffff, v71
	v_and_b32_e32 v6, 0xffff, v9
	;;#ASMSTART
	v_cvt_f32_f16 v0, v0;
	;;#ASMEND
	;;#ASMSTART
	v_cvt_f32_f16 v2, v2;
	;;#ASMEND
	;;#ASMSTART
	v_cvt_f32_f16 v6, v6;
	;;#ASMEND
	;;#ASMSTART
	v_cvt_f32_f16 v7, v7;
	;;#ASMEND
	ds_read_b64 v[70:71], v54 offset:112
	v_fmac_f32_e32 v1, v0, v6
	v_fmac_f32_e32 v5, v2, v7
	v_and_b32_e32 v6, 0xffff, v80
	v_and_b32_e32 v7, 0xffff, v124
	s_waitcnt lgkmcnt(0)
	v_lshrrev_b32_e32 v2, 16, v70
	v_and_b32_e32 v0, 0xffff, v70
	;;#ASMSTART
	v_cvt_f32_f16 v0, v0;
	;;#ASMEND
	;;#ASMSTART
	v_cvt_f32_f16 v2, v2;
	;;#ASMEND
	;;#ASMSTART
	v_cvt_f32_f16 v6, v6;
	;;#ASMEND
	;;#ASMSTART
	v_cvt_f32_f16 v7, v7;
	;;#ASMEND
	v_fmac_f32_e32 v3, v0, v6
	v_fmac_f32_e32 v4, v2, v7
	v_lshrrev_b32_e32 v2, 16, v71
	v_and_b32_e32 v0, 0xffff, v71
	v_and_b32_e32 v6, 0xffff, v10
	v_and_b32_e32 v7, 0xffff, v93
	;;#ASMSTART
	v_cvt_f32_f16 v0, v0;
	;;#ASMEND
	;;#ASMSTART
	v_cvt_f32_f16 v2, v2;
	;;#ASMEND
	;;#ASMSTART
	v_cvt_f32_f16 v6, v6;
	;;#ASMEND
	;;#ASMSTART
	v_cvt_f32_f16 v7, v7;
	;;#ASMEND
	ds_read_b64 v[70:71], v54 offset:120
	v_fmac_f32_e32 v1, v0, v6
	v_fmac_f32_e32 v5, v2, v7
	v_and_b32_e32 v6, 0xffff, v31
	v_and_b32_e32 v7, 0xffff, v39
	s_waitcnt lgkmcnt(0)
	v_lshrrev_b32_e32 v2, 16, v70
	v_and_b32_e32 v0, 0xffff, v70
	;;#ASMSTART
	v_cvt_f32_f16 v0, v0;
	;;#ASMEND
	;;#ASMSTART
	v_cvt_f32_f16 v2, v2;
	;;#ASMEND
	;;#ASMSTART
	v_cvt_f32_f16 v6, v6;
	;;#ASMEND
	;;#ASMSTART
	v_cvt_f32_f16 v7, v7;
	;;#ASMEND
	v_fmac_f32_e32 v3, v0, v6
	v_fmac_f32_e32 v4, v2, v7
	v_lshrrev_b32_e32 v2, 16, v71
	v_and_b32_e32 v0, 0xffff, v71
	;; [unrolled: 38-line block ×8, first 2 shown]
	v_and_b32_e32 v6, 0xffff, v85
	v_and_b32_e32 v7, 0xffff, v83
	;;#ASMSTART
	v_cvt_f32_f16 v0, v0;
	;;#ASMEND
	;;#ASMSTART
	v_cvt_f32_f16 v2, v2;
	;;#ASMEND
	;;#ASMSTART
	v_cvt_f32_f16 v6, v6;
	;;#ASMEND
	;;#ASMSTART
	v_cvt_f32_f16 v7, v7;
	;;#ASMEND
	v_fmac_f32_e32 v1, v0, v6
	v_fmac_f32_e32 v5, v2, v7
	ds_read_b64 v[6:7], v54 offset:176
	s_waitcnt lgkmcnt(0)
	v_lshrrev_b32_e32 v2, 16, v6
	v_and_b32_e32 v0, 0xffff, v6
	v_and_b32_e32 v6, 0xffff, v53
	;;#ASMSTART
	v_cvt_f32_f16 v0, v0;
	;;#ASMEND
	;;#ASMSTART
	v_cvt_f32_f16 v2, v2;
	;;#ASMEND
	;;#ASMSTART
	v_cvt_f32_f16 v6, v6;
	;;#ASMEND
	;;#ASMSTART
	v_cvt_f32_f16 v8, v8;
	;;#ASMEND
	v_fmac_f32_e32 v3, v0, v6
	v_fmac_f32_e32 v4, v2, v8
	v_lshrrev_b32_e32 v2, 16, v7
	v_and_b32_e32 v0, 0xffff, v7
	v_and_b32_e32 v6, 0xffff, v69
	v_and_b32_e32 v7, 0xffff, v68
	;;#ASMSTART
	v_cvt_f32_f16 v0, v0;
	;;#ASMEND
	;;#ASMSTART
	v_cvt_f32_f16 v2, v2;
	;;#ASMEND
	;;#ASMSTART
	v_cvt_f32_f16 v6, v6;
	;;#ASMEND
	;;#ASMSTART
	v_cvt_f32_f16 v7, v7;
	;;#ASMEND
	v_fmac_f32_e32 v1, v0, v6
	v_fmac_f32_e32 v5, v2, v7
	ds_read_b64 v[6:7], v54 offset:184
	v_and_b32_e32 v8, 0xffff, v25
	s_waitcnt lgkmcnt(0)
	v_lshrrev_b32_e32 v2, 16, v6
	v_and_b32_e32 v0, 0xffff, v6
	v_and_b32_e32 v6, 0xffff, v24
	;;#ASMSTART
	v_cvt_f32_f16 v0, v0;
	;;#ASMEND
	;;#ASMSTART
	v_cvt_f32_f16 v2, v2;
	;;#ASMEND
	;;#ASMSTART
	v_cvt_f32_f16 v6, v6;
	;;#ASMEND
	;;#ASMSTART
	v_cvt_f32_f16 v8, v8;
	;;#ASMEND
	v_fmac_f32_e32 v3, v0, v6
	v_fmac_f32_e32 v4, v2, v8
	v_lshrrev_b32_e32 v2, 16, v7
	v_and_b32_e32 v0, 0xffff, v7
	v_and_b32_e32 v6, 0xffff, v15
	v_and_b32_e32 v7, 0xffff, v37
	;;#ASMSTART
	v_cvt_f32_f16 v0, v0;
	;;#ASMEND
	;;#ASMSTART
	v_cvt_f32_f16 v2, v2;
	;;#ASMEND
	;;#ASMSTART
	v_cvt_f32_f16 v6, v6;
	;;#ASMEND
	;;#ASMSTART
	v_cvt_f32_f16 v7, v7;
	;;#ASMEND
	v_fmac_f32_e32 v1, v0, v6
	v_fmac_f32_e32 v5, v2, v7
	ds_read_b64 v[6:7], v54 offset:192
	v_and_b32_e32 v8, 0xffff, v17
	;; [unrolled: 38-line block ×4, first 2 shown]
	s_waitcnt lgkmcnt(0)
	v_lshrrev_b32_e32 v2, 16, v6
	v_and_b32_e32 v0, 0xffff, v6
	v_and_b32_e32 v6, 0xffff, v34
	;;#ASMSTART
	v_cvt_f32_f16 v0, v0;
	;;#ASMEND
	;;#ASMSTART
	v_cvt_f32_f16 v2, v2;
	;;#ASMEND
	;; [unrolled: 3-line block ×4, first 2 shown]
	v_fmac_f32_e32 v3, v0, v6
	v_fmac_f32_e32 v4, v2, v8
	v_lshrrev_b32_e32 v2, 16, v7
	v_and_b32_e32 v0, 0xffff, v7
	v_and_b32_e32 v6, 0xffff, v48
	;; [unrolled: 1-line block ×3, first 2 shown]
	;;#ASMSTART
	v_cvt_f32_f16 v0, v0;
	;;#ASMEND
	;;#ASMSTART
	v_cvt_f32_f16 v2, v2;
	;;#ASMEND
	;; [unrolled: 3-line block ×4, first 2 shown]
	v_fmac_f32_e32 v1, v0, v6
	v_fmac_f32_e32 v5, v2, v7
	ds_read_b64 v[6:7], v54 offset:216
	s_waitcnt lgkmcnt(0)
	v_lshrrev_b32_e32 v2, 16, v6
	v_and_b32_e32 v0, 0xffff, v6
	;;#ASMSTART
	v_cvt_f32_f16 v0, v0;
	;;#ASMEND
	;;#ASMSTART
	v_cvt_f32_f16 v2, v2;
	;;#ASMEND
	buffer_load_dword v6, off, s[0:3], s32 offset:328 ; 4-byte Folded Reload
	s_waitcnt vmcnt(0)
	v_and_b32_e32 v6, 0xffff, v6
	;;#ASMSTART
	v_cvt_f32_f16 v6, v6;
	;;#ASMEND
	buffer_load_dword v8, off, s[0:3], s32 offset:324 ; 4-byte Folded Reload
	v_fmac_f32_e32 v3, v0, v6
	v_and_b32_e32 v0, 0xffff, v7
	s_waitcnt vmcnt(0)
	v_and_b32_e32 v8, 0xffff, v8
	;;#ASMSTART
	v_cvt_f32_f16 v8, v8;
	;;#ASMEND
	v_fmac_f32_e32 v4, v2, v8
	v_lshrrev_b32_e32 v2, 16, v7
	;;#ASMSTART
	v_cvt_f32_f16 v0, v0;
	;;#ASMEND
	;;#ASMSTART
	v_cvt_f32_f16 v2, v2;
	;;#ASMEND
	buffer_load_dword v6, off, s[0:3], s32 offset:320 ; 4-byte Folded Reload
	s_waitcnt vmcnt(0)
	v_and_b32_e32 v6, 0xffff, v6
	;;#ASMSTART
	v_cvt_f32_f16 v6, v6;
	;;#ASMEND
	buffer_load_dword v7, off, s[0:3], s32 offset:316 ; 4-byte Folded Reload
	v_fmac_f32_e32 v1, v0, v6
	s_waitcnt vmcnt(0)
	v_and_b32_e32 v7, 0xffff, v7
	;;#ASMSTART
	v_cvt_f32_f16 v7, v7;
	;;#ASMEND
	v_fmac_f32_e32 v5, v2, v7
	ds_read_b64 v[6:7], v54 offset:224
	s_waitcnt lgkmcnt(0)
	v_lshrrev_b32_e32 v2, 16, v6
	v_and_b32_e32 v0, 0xffff, v6
	;;#ASMSTART
	v_cvt_f32_f16 v0, v0;
	;;#ASMEND
	;;#ASMSTART
	v_cvt_f32_f16 v2, v2;
	;;#ASMEND
	buffer_load_dword v6, off, s[0:3], s32 offset:312 ; 4-byte Folded Reload
	s_waitcnt vmcnt(0)
	v_and_b32_e32 v6, 0xffff, v6
	;;#ASMSTART
	v_cvt_f32_f16 v6, v6;
	;;#ASMEND
	buffer_load_dword v8, off, s[0:3], s32 offset:308 ; 4-byte Folded Reload
	v_fmac_f32_e32 v3, v0, v6
	v_and_b32_e32 v0, 0xffff, v7
	s_waitcnt vmcnt(0)
	v_and_b32_e32 v8, 0xffff, v8
	;;#ASMSTART
	v_cvt_f32_f16 v8, v8;
	;;#ASMEND
	v_fmac_f32_e32 v4, v2, v8
	v_lshrrev_b32_e32 v2, 16, v7
	;;#ASMSTART
	v_cvt_f32_f16 v0, v0;
	;;#ASMEND
	;;#ASMSTART
	v_cvt_f32_f16 v2, v2;
	;;#ASMEND
	buffer_load_dword v6, off, s[0:3], s32 offset:304 ; 4-byte Folded Reload
	s_waitcnt vmcnt(0)
	v_and_b32_e32 v6, 0xffff, v6
	;;#ASMSTART
	v_cvt_f32_f16 v6, v6;
	;;#ASMEND
	buffer_load_dword v7, off, s[0:3], s32 offset:300 ; 4-byte Folded Reload
	v_fmac_f32_e32 v1, v0, v6
	s_waitcnt vmcnt(0)
	v_and_b32_e32 v7, 0xffff, v7
	;;#ASMSTART
	v_cvt_f32_f16 v7, v7;
	;;#ASMEND
	;; [unrolled: 46-line block ×3, first 2 shown]
	v_fmac_f32_e32 v5, v2, v7
	ds_read_b64 v[6:7], v54 offset:240
	s_waitcnt lgkmcnt(0)
	v_lshrrev_b32_e32 v2, 16, v6
	v_and_b32_e32 v0, 0xffff, v6
	;;#ASMSTART
	v_cvt_f32_f16 v0, v0;
	;;#ASMEND
	;;#ASMSTART
	v_cvt_f32_f16 v2, v2;
	;;#ASMEND
	buffer_load_dword v6, off, s[0:3], s32 offset:280 ; 4-byte Folded Reload
	s_waitcnt vmcnt(0)
	v_and_b32_e32 v6, 0xffff, v6
	;;#ASMSTART
	v_cvt_f32_f16 v6, v6;
	;;#ASMEND
	buffer_load_dword v8, off, s[0:3], s32 offset:276 ; 4-byte Folded Reload
	v_fmac_f32_e32 v3, v0, v6
	v_and_b32_e32 v0, 0xffff, v7
	s_waitcnt vmcnt(0)
	v_and_b32_e32 v8, 0xffff, v8
	;;#ASMSTART
	v_cvt_f32_f16 v8, v8;
	;;#ASMEND
	v_fmac_f32_e32 v4, v2, v8
	v_lshrrev_b32_e32 v2, 16, v7
	;;#ASMSTART
	v_cvt_f32_f16 v0, v0;
	;;#ASMEND
	;;#ASMSTART
	v_cvt_f32_f16 v2, v2;
	;;#ASMEND
	buffer_load_dword v6, off, s[0:3], s32 offset:272 ; 4-byte Folded Reload
	v_and_b32_e32 v8, 0xffff, v126
	s_waitcnt vmcnt(0)
	v_and_b32_e32 v6, 0xffff, v6
	;;#ASMSTART
	v_cvt_f32_f16 v6, v6;
	;;#ASMEND
	buffer_load_dword v7, off, s[0:3], s32 offset:268 ; 4-byte Folded Reload
	v_fmac_f32_e32 v1, v0, v6
	s_waitcnt vmcnt(0)
	v_and_b32_e32 v7, 0xffff, v7
	;;#ASMSTART
	v_cvt_f32_f16 v7, v7;
	;;#ASMEND
	v_fmac_f32_e32 v5, v2, v7
	ds_read_b64 v[6:7], v54 offset:248
	s_waitcnt lgkmcnt(0)
	v_lshrrev_b32_e32 v2, 16, v6
	v_and_b32_e32 v0, 0xffff, v6
	;;#ASMSTART
	v_cvt_f32_f16 v0, v0;
	;;#ASMEND
	;;#ASMSTART
	v_cvt_f32_f16 v2, v2;
	;;#ASMEND
	v_and_b32_e32 v6, 0xffff, v86
	;;#ASMSTART
	v_cvt_f32_f16 v6, v6;
	;;#ASMEND
	;;#ASMSTART
	v_cvt_f32_f16 v8, v8;
	;;#ASMEND
	v_fmac_f32_e32 v3, v0, v6
	v_fmac_f32_e32 v4, v2, v8
	v_lshrrev_b32_e32 v2, 16, v7
	v_and_b32_e32 v0, 0xffff, v7
	;;#ASMSTART
	v_cvt_f32_f16 v0, v0;
	;;#ASMEND
	;;#ASMSTART
	v_cvt_f32_f16 v2, v2;
	;;#ASMEND
	v_and_b32_e32 v6, 0xffff, v123
	v_and_b32_e32 v7, 0xffff, v64
	;;#ASMSTART
	v_cvt_f32_f16 v6, v6;
	;;#ASMEND
	;;#ASMSTART
	v_cvt_f32_f16 v7, v7;
	;;#ASMEND
	v_fmac_f32_e32 v5, v2, v7
	buffer_load_dword v2, off, s[0:3], s32 offset:332 ; 4-byte Folded Reload
	v_fmac_f32_e32 v1, v0, v6
	v_add_f32_e32 v0, v3, v4
	v_add_f32_e32 v0, v0, v1
	;; [unrolled: 1-line block ×3, first 2 shown]
	s_waitcnt vmcnt(0)
	v_xor_b32_e32 v1, 1, v2
	v_cmp_gt_i32_e64 s7, 32, v1
	v_cndmask_b32_e64 v1, v2, v1, s7
	v_lshlrev_b32_e32 v1, 2, v1
	ds_bpermute_b32 v1, v1, v0
	s_mov_b32 s8, exec_lo
	buffer_load_dword v5, off, s[0:3], s32 offset:264 ; 4-byte Folded Reload
	s_and_b32 s7, s8, vcc_lo
	s_mov_b32 exec_lo, s7
	s_cbranch_execz .LBB299_9
; %bb.1035:                             ;   in Loop: Header=BB299_10 Depth=1
	s_clause 0x1
	buffer_load_dword v4, off, s[0:3], s32 offset:256
	buffer_load_dword v3, off, s[0:3], s32 offset:368
	v_sub_nc_u32_e32 v2, 1, v35
	s_waitcnt lgkmcnt(0)
	v_add_f32_e32 v0, v0, v1
	s_load_dword s24, s[20:21], 0x0
	s_waitcnt vmcnt(1)
	v_add_nc_u32_e32 v2, v2, v4
	v_cmp_lt_i32_e64 s7, v4, v35
	v_cvt_f32_i32_e32 v2, v2
	s_waitcnt vmcnt(0)
	v_mul_f32_e32 v2, v3, v2
	buffer_load_dword v3, off, s[0:3], s32 offset:352 ; 4-byte Folded Reload
	v_cndmask_b32_e64 v1, 0, v2, s6
	buffer_load_dword v2, off, s[0:3], s32 offset:364 ; 4-byte Folded Reload
	s_waitcnt vmcnt(0)
	v_fmac_f32_e32 v1, v2, v0
	buffer_load_dword v2, off, s[0:3], s32 offset:260 ; 4-byte Folded Reload
	v_max_f32_e32 v0, v3, v3
	v_max_f32_e32 v0, v0, v1
	v_cndmask_b32_e64 v1, 0, v1, s7
	v_cndmask_b32_e64 v3, v3, v0, s7
	buffer_store_dword v3, off, s[0:3], s32 offset:352 ; 4-byte Folded Spill
	s_waitcnt vmcnt(0) lgkmcnt(0)
	v_add_nc_u32_e32 v2, s24, v2
	ds_write_b32 v2, v1
	s_branch .LBB299_9
.LBB299_1036:
	s_or_b32 exec_lo, exec_lo, s17
	s_clause 0x18
	buffer_load_dword v56, off, s[0:3], s32 offset:372
	buffer_load_dword v57, off, s[0:3], s32 offset:376
	;; [unrolled: 1-line block ×25, first 2 shown]
	v_mov_b32_e32 v12, 32
.LBB299_1037:
	s_or_b32 exec_lo, exec_lo, s13
	buffer_load_dword v6, off, s[0:3], s32 offset:332 ; 4-byte Folded Reload
	s_waitcnt vmcnt(22)
	v_and_b32_e32 v32, 31, v59
	s_waitcnt lgkmcnt(0)
	s_lshr_b32 s13, s23, 16
	s_waitcnt vmcnt(0)
	v_xor_b32_e32 v0, 16, v6
	v_xor_b32_e32 v1, 8, v6
	v_cmp_lt_i32_e32 vcc_lo, v0, v12
	v_cndmask_b32_e32 v0, v6, v0, vcc_lo
	v_cmp_lt_i32_e32 vcc_lo, v1, v12
	v_lshlrev_b32_e32 v3, 2, v0
	v_cndmask_b32_e32 v1, v6, v1, vcc_lo
	ds_bpermute_b32 v0, v3, v2
	v_max_f32_e32 v2, v2, v2
	v_lshlrev_b32_e32 v4, 2, v1
	s_waitcnt lgkmcnt(0)
	v_max_f32_e32 v0, v0, v0
	v_max_f32_e32 v0, v2, v0
	v_xor_b32_e32 v2, 4, v6
	ds_bpermute_b32 v1, v4, v0
	v_cmp_lt_i32_e32 vcc_lo, v2, v12
	v_cndmask_b32_e32 v2, v6, v2, vcc_lo
	v_lshlrev_b32_e32 v5, 2, v2
	v_xor_b32_e32 v2, 2, v6
	v_cmp_lt_i32_e32 vcc_lo, v2, v12
	s_waitcnt lgkmcnt(0)
	v_max_f32_e32 v1, v1, v1
	v_cndmask_b32_e32 v2, v6, v2, vcc_lo
	v_cmp_eq_u32_e32 vcc_lo, 0, v32
	v_lshlrev_b32_e32 v6, 2, v62
	v_max_f32_e32 v0, v0, v1
	v_lshlrev_b32_e32 v2, 2, v2
	ds_bpermute_b32 v1, v5, v0
	s_waitcnt lgkmcnt(0)
	v_max_f32_e32 v1, v1, v1
	v_max_f32_e32 v0, v0, v1
	ds_bpermute_b32 v1, v2, v0
	s_and_saveexec_b32 s6, vcc_lo
	s_cbranch_execz .LBB299_1039
; %bb.1038:
	s_waitcnt lgkmcnt(0)
	v_max_f32_e32 v1, v1, v1
	v_max_f32_e32 v0, v0, v0
	;; [unrolled: 1-line block ×3, first 2 shown]
	ds_write_b32 v6, v0 offset:512
.LBB299_1039:
	s_or_b32 exec_lo, exec_lo, s6
	v_cmp_gt_u32_e64 s6, 4, v32
	v_mov_b32_e32 v0, 0xff7fffff
	v_lshlrev_b32_e32 v7, 2, v32
	s_waitcnt lgkmcnt(0)
	s_waitcnt_vscnt null, 0x0
	s_barrier
	buffer_gl0_inv
	s_and_saveexec_b32 s7, s6
; %bb.1040:
	ds_read_b32 v0, v7 offset:512
; %bb.1041:
	s_or_b32 exec_lo, exec_lo, s7
	buffer_load_dword v9, off, s[0:3], s32 offset:332 ; 4-byte Folded Reload
	s_waitcnt lgkmcnt(0)
	ds_bpermute_b32 v1, v2, v0
	v_max_f32_e32 v0, v0, v0
	s_waitcnt lgkmcnt(0)
	v_max_f32_e32 v1, v1, v1
	v_max_f32_e32 v0, v0, v1
	s_waitcnt vmcnt(0)
	v_xor_b32_e32 v8, 1, v9
	v_cmp_lt_i32_e64 s7, v8, v12
	v_cndmask_b32_e64 v8, v9, v8, s7
	v_lshlrev_b32_e32 v18, 2, v8
	v_subrev_nc_u32_e32 v8, s11, v72
	ds_bpermute_b32 v1, v18, v0
	v_lshl_add_u32 v8, v8, 4, s22
	s_waitcnt lgkmcnt(0)
	v_max_f32_e32 v1, v1, v1
	v_max_f32_e32 v0, v0, v1
	v_lshlrev_b32_e32 v1, 2, v19
	ds_bpermute_b32 v0, v1, v0
	v_min_i32_e32 v1, v8, v35
	v_mov_b32_e32 v8, 0
	v_subrev_nc_u32_e32 v1, s22, v1
	v_cmp_lt_i32_e64 s7, v59, v1
	s_and_saveexec_b32 s11, s7
	s_cbranch_execz .LBB299_1045
; %bb.1042:
	s_getpc_b64 s[20:21]
	s_add_u32 s20, s20, llvm.amdgcn.dynlds.offset.table@rel32@lo+4
	s_addc_u32 s21, s21, llvm.amdgcn.dynlds.offset.table@rel32@hi+12
	s_ashr_i32 s17, s16, 31
	v_mov_b32_e32 v8, 0
	s_lshl_b64 s[24:25], s[16:17], 2
	v_mov_b32_e32 v13, v59
	s_add_u32 s20, s20, s24
	s_addc_u32 s21, s21, s25
	s_mov_b32 s17, 0
	s_load_dword s8, s[20:21], 0x0
	s_waitcnt lgkmcnt(0)
	v_lshl_add_u32 v9, v59, 2, s8
	.p2align	6
.LBB299_1043:                           ; =>This Inner Loop Header: Depth=1
	ds_read_b32 v12, v9
	v_add_nc_u32_e32 v13, 0x80, v13
	v_cmp_ge_i32_e64 s8, v13, v1
	s_or_b32 s17, s8, s17
	s_waitcnt lgkmcnt(0)
	v_sub_f32_e32 v12, v12, v0
	v_mul_f32_e32 v12, 0x3fb8aa3b, v12
	v_exp_f32_e32 v12, v12
	ds_write_b32 v9, v12
	v_add_f32_e32 v8, v8, v12
	v_add_nc_u32_e32 v9, 0x200, v9
	s_andn2_b32 exec_lo, exec_lo, s17
	s_cbranch_execnz .LBB299_1043
; %bb.1044:
	s_or_b32 exec_lo, exec_lo, s17
.LBB299_1045:
	s_or_b32 exec_lo, exec_lo, s11
	ds_bpermute_b32 v3, v3, v8
	s_waitcnt lgkmcnt(0)
	v_add_f32_e32 v3, v8, v3
	ds_bpermute_b32 v4, v4, v3
	s_waitcnt lgkmcnt(0)
	v_add_f32_e32 v3, v3, v4
	ds_bpermute_b32 v4, v5, v3
	s_waitcnt lgkmcnt(0)
	v_add_f32_e32 v3, v3, v4
	ds_bpermute_b32 v4, v2, v3
	s_waitcnt lgkmcnt(0)
	v_add_f32_e32 v3, v3, v4
	ds_bpermute_b32 v4, v18, v3
	s_waitcnt lgkmcnt(0)
	v_add_f32_e32 v3, v3, v4
	s_and_saveexec_b32 s8, vcc_lo
; %bb.1046:
	ds_write_b32 v6, v3 offset:528
; %bb.1047:
	s_or_b32 exec_lo, exec_lo, s8
	s_waitcnt lgkmcnt(0)
	s_barrier
	buffer_gl0_inv
	s_and_saveexec_b32 s8, s6
; %bb.1048:
	ds_read_b32 v3, v7 offset:528
; %bb.1049:
	s_or_b32 exec_lo, exec_lo, s8
	buffer_load_dword v4, off, s[0:3], s32 offset:332 ; 4-byte Folded Reload
	s_waitcnt lgkmcnt(0)
	ds_bpermute_b32 v2, v2, v3
	s_waitcnt lgkmcnt(0)
	v_add_f32_e32 v2, v3, v2
	ds_bpermute_b32 v3, v18, v2
	s_waitcnt lgkmcnt(0)
	v_add_f32_e32 v2, v2, v3
	s_waitcnt vmcnt(0)
	v_lshlrev_b32_e32 v4, 2, v4
	v_and_b32_e32 v3, 0xffffff80, v4
	ds_bpermute_b32 v2, v3, v2
	s_and_saveexec_b32 s6, s7
	s_cbranch_execz .LBB299_1052
; %bb.1050:
	s_waitcnt lgkmcnt(0)
	v_add_f32_e32 v4, 0x358637bd, v2
	s_getpc_b64 s[20:21]
	s_add_u32 s20, s20, llvm.amdgcn.dynlds.offset.table@rel32@lo+4
	s_addc_u32 s21, s21, llvm.amdgcn.dynlds.offset.table@rel32@hi+12
	s_ashr_i32 s17, s16, 31
	s_lshl_b64 s[24:25], s[16:17], 2
	v_div_scale_f32 v3, null, v4, v4, 1.0
	v_div_scale_f32 v7, vcc_lo, 1.0, v4, 1.0
	s_add_u32 s20, s20, s24
	v_rcp_f32_e32 v5, v3
	s_addc_u32 s21, s21, s25
	s_load_dword s7, s[20:21], 0x0
	v_fma_f32 v6, -v3, v5, 1.0
	v_fmac_f32_e32 v5, v6, v5
	v_mul_f32_e32 v6, v7, v5
	v_fma_f32 v8, -v3, v6, v7
	v_fmac_f32_e32 v6, v8, v5
	v_fma_f32 v3, -v3, v6, v7
	v_div_fmas_f32 v5, v3, v5, v6
	s_waitcnt lgkmcnt(0)
	v_lshl_add_u32 v3, v59, 2, s7
	s_mov_b32 s7, 0
	v_div_fixup_f32 v4, v5, v4, 1.0
	v_mov_b32_e32 v5, v59
.LBB299_1051:                           ; =>This Inner Loop Header: Depth=1
	ds_read_b32 v6, v3
	v_add_nc_u32_e32 v5, 0x80, v5
	v_cmp_ge_i32_e32 vcc_lo, v5, v1
	s_or_b32 s7, vcc_lo, s7
	s_waitcnt lgkmcnt(0)
	v_mul_f32_e32 v6, v4, v6
	ds_write_b32 v3, v6
	v_add_nc_u32_e32 v3, 0x200, v3
	s_andn2_b32 exec_lo, exec_lo, s7
	s_cbranch_execnz .LBB299_1051
.LBB299_1052:
	s_or_b32 exec_lo, exec_lo, s6
	s_and_b32 s6, 0xffff, s13
	s_mov_b32 s8, exec_lo
	s_cmp_lg_u32 s6, 0
	s_waitcnt lgkmcnt(0)
	s_cselect_b32 s6, -1, 0
	s_barrier
	s_cmp_lg_u32 s6, 0
	buffer_gl0_inv
	s_addc_u32 s11, s9, 0
	s_mul_i32 s6, s11, s18
	s_mul_i32 s6, s6, s15
	v_cmpx_eq_u32_e32 0, v59
	s_cbranch_execz .LBB299_1054
; %bb.1053:
	s_ashr_i32 s7, s6, 31
	s_mul_i32 s12, s11, s12
	s_lshl_b64 s[20:21], s[6:7], 2
	s_ashr_i32 s13, s12, 31
	v_add_co_u32 v1, vcc_lo, v28, s20
	v_add_co_ci_u32_e64 v3, null, s21, v25, vcc_lo
	s_lshl_b64 s[12:13], s[12:13], 2
	s_ashr_i32 s15, s14, 31
	v_add_co_u32 v1, vcc_lo, v1, s12
	v_add_co_ci_u32_e64 v4, null, s13, v3, vcc_lo
	v_add_co_u32 v3, vcc_lo, v24, s20
	v_add_co_ci_u32_e64 v5, null, s21, v22, vcc_lo
	s_lshl_b64 s[20:21], s[14:15], 2
	v_add_co_u32 v6, vcc_lo, v3, s12
	v_add_co_ci_u32_e64 v7, null, s13, v5, vcc_lo
	v_add_co_u32 v3, vcc_lo, v1, s20
	v_add_co_ci_u32_e64 v4, null, s21, v4, vcc_lo
	;; [unrolled: 2-line block ×3, first 2 shown]
	flat_store_dword v[3:4], v0
	flat_store_dword v[5:6], v2
.LBB299_1054:
	s_or_b32 exec_lo, exec_lo, s8
	s_and_saveexec_b32 s7, s5
	s_xor_b32 s5, exec_lo, s7
; %bb.1055:
	s_ashr_i32 s17, s16, 31
                                        ; implicit-def: $vgpr35
                                        ; implicit-def: $vgpr34
                                        ; implicit-def: $vgpr72
                                        ; implicit-def: $vgpr63
                                        ; implicit-def: $vgpr10
                                        ; implicit-def: $vgpr11
                                        ; implicit-def: $vgpr14
                                        ; implicit-def: $vgpr15
                                        ; implicit-def: $vgpr61
                                        ; implicit-def: $vgpr26_vgpr27
                                        ; implicit-def: $vgpr23
                                        ; implicit-def: $vgpr36
                                        ; implicit-def: $vgpr16_vgpr17
                                        ; implicit-def: $vgpr33
; %bb.1056:
	s_or_saveexec_b32 s7, s5
	v_mov_b32_e32 v0, s16
	v_mov_b32_e32 v53, 0
	;; [unrolled: 1-line block ×18, first 2 shown]
	s_xor_b32 exec_lo, exec_lo, s7
	s_cbranch_execz .LBB299_2116
; %bb.1057:
	s_getpc_b64 s[8:9]
	s_add_u32 s8, s8, llvm.amdgcn.dynlds.offset.table@rel32@lo+4
	s_addc_u32 s9, s9, llvm.amdgcn.dynlds.offset.table@rel32@hi+12
	s_ashr_i32 s17, s16, 31
	v_add_co_u32 v2, vcc_lo, v10, v23
	s_lshl_b64 s[12:13], s[16:17], 2
	v_and_b32_e32 v6, 0xf8, v33
	s_add_u32 s8, s8, s12
	s_addc_u32 s9, s9, s13
	v_and_b32_e32 v7, 1, v59
	s_load_dword s5, s[8:9], 0x0
	v_lshlrev_b64 v[4:5], 2, v[63:64]
	v_add_co_ci_u32_e64 v3, null, v11, v36, vcc_lo
	v_add_co_u32 v2, vcc_lo, v2, v6
	v_lshlrev_b32_e32 v6, 5, v7
	v_add_co_ci_u32_e64 v3, null, 0, v3, vcc_lo
	v_add_co_u32 v4, vcc_lo, v16, v4
	v_and_b32_e32 v0, 8, v33
	v_add_co_ci_u32_e64 v5, null, v17, v5, vcc_lo
	v_lshl_add_u32 v9, v62, 4, s22
	v_lshl_or_b32 v6, v62, 6, v6
	v_add_co_u32 v7, vcc_lo, v14, v4
	v_add_nc_u32_e32 v23, -1, v34
	v_mov_b32_e32 v1, 0
	v_add_co_ci_u32_e64 v8, null, v15, v5, vcc_lo
	v_add3_u32 v14, v9, v0, 7
	s_waitcnt lgkmcnt(0)
	v_add_nc_u32_e32 v15, s5, v6
	v_mov_b32_e32 v16, 0x80
	v_mov_b32_e32 v17, 0x7f
	;; [unrolled: 1-line block ×20, first 2 shown]
	s_mov_b32 s8, -1
	s_mov_b32 s9, 0xffffff
	s_mov_b32 s12, 0
	s_branch .LBB299_1059
.LBB299_1058:                           ;   in Loop: Header=BB299_1059 Depth=1
	s_or_b32 exec_lo, exec_lo, s5
	v_add_f32_e32 v4, v4, v5
	v_add_f32_e32 v6, v6, v33
	;; [unrolled: 1-line block ×12, first 2 shown]
	;;#ASMSTART
	v_pk_mul_f16 v4, v68, v117;

	;;#ASMEND
	;;#ASMSTART
	v_pk_mul_f16 v0, v66, v0;

	;;#ASMEND
	v_add_f32_e32 v49, v49, v5
	v_add_f32_e32 v50, v50, v6
	;;#ASMSTART
	v_pk_mul_f16 v5, v65, v10;

	;;#ASMEND
	;;#ASMSTART
	v_pk_mul_f16 v6, v64, v9;

	;;#ASMEND
	;;#ASMSTART
	v_pk_add_f16 v0, v4, v0;

	;;#ASMEND
	;;#ASMSTART
	v_pk_add_f16 v0, v0, v5;
	;; [unrolled: 4-line block ×3, first 2 shown]

	;;#ASMEND
	v_and_b32_e32 v6, 0xffff, v0
	v_add_nc_u32_e32 v63, 4, v63
	v_lshrrev_b32_e32 v9, 16, v0
	;;#ASMSTART
	v_cvt_f32_f16 v6, v6;
	;;#ASMEND
	v_add_f32_e32 v37, v37, v114
	v_add_f32_e32 v34, v34, v36
	;; [unrolled: 1-line block ×9, first 2 shown]
	;;#ASMSTART
	v_cvt_f32_f16 v9, v9;
	;;#ASMEND
	v_add_f32_e32 v6, v6, v9
	v_cmp_ge_i32_e32 vcc_lo, v63, v72
	v_add_co_u32 v7, s5, v7, 16
	v_add_f32_e32 v24, v24, v37
	v_add_f32_e32 v25, v25, v34
	;; [unrolled: 1-line block ×8, first 2 shown]
	v_add_co_ci_u32_e64 v8, null, 0, v8, s5
	v_add_nc_u32_e32 v14, 64, v14
	v_add_nc_u32_e32 v15, 0x100, v15
	s_or_b32 s12, vcc_lo, s12
	s_andn2_b32 exec_lo, exec_lo, s12
	s_cbranch_execz .LBB299_2115
.LBB299_1059:                           ; =>This Inner Loop Header: Depth=1
	flat_load_dword v0, v[7:8]
	ds_read2_b64 v[10:13], v15 offset1:1
	ds_read2_b64 v[64:67], v15 offset0:2 offset1:3
	s_waitcnt lgkmcnt(1)
	;;#ASMSTART
	v_cvt_f16_f32 v4, v10;

	;;#ASMEND
	;;#ASMSTART
	v_cvt_f16_f32 v5, v11;

	;;#ASMEND
	;; [unrolled: 4-line block ×4, first 2 shown]
	s_waitcnt lgkmcnt(0)
	;;#ASMSTART
	v_cvt_f16_f32 v34, v64;

	;;#ASMEND
	;;#ASMSTART
	v_cvt_f16_f32 v13, v65;

	;;#ASMEND
	;; [unrolled: 4-line block ×4, first 2 shown]
	v_mov_b32_e32 v64, 0
	s_waitcnt vmcnt(0)
	v_mad_i64_i32 v[9:10], null, v0, v61, v[2:3]
	flat_load_dwordx2 v[11:12], v[9:10]
	flat_load_dword v37, v[26:27]
	s_waitcnt vmcnt(1) lgkmcnt(1)
	v_cmp_ne_u16_sdwa s13, v11, v1 src0_sel:BYTE_0 src1_sel:DWORD
	s_and_saveexec_b32 s5, s13
	s_cbranch_execz .LBB299_1067
; %bb.1060:                             ;   in Loop: Header=BB299_1059 Depth=1
	v_cmp_ne_u16_sdwa s15, v11, v16 src0_sel:BYTE_0 src1_sel:DWORD
	v_mov_b32_e32 v64, 0x8000
	s_and_saveexec_b32 s13, s15
	s_cbranch_execz .LBB299_1066
; %bb.1061:                             ;   in Loop: Header=BB299_1059 Depth=1
	v_and_b32_e32 v65, 0x7f, v11
	v_mov_b32_e32 v64, 0x7c01
	s_mov_b32 s15, exec_lo
	v_cmpx_ne_u32_e32 0x7f, v65
	s_cbranch_execz .LBB299_1065
; %bb.1062:                             ;   in Loop: Header=BB299_1059 Depth=1
	v_and_b32_e32 v0, 7, v11
	v_lshrrev_b32_e32 v48, 3, v65
	s_mov_b32 s18, exec_lo
	v_cmpx_gt_u32_e32 8, v65
; %bb.1063:                             ;   in Loop: Header=BB299_1059 Depth=1
	v_ffbh_u32_e32 v0, v0
	v_min_u32_e32 v0, 32, v0
	v_subrev_nc_u32_e32 v48, 28, v0
	v_lshlrev_b64 v[64:65], v48, v[11:12]
	v_sub_nc_u32_e32 v48, 29, v0
	v_and_b32_e32 v0, 7, v64
; %bb.1064:                             ;   in Loop: Header=BB299_1059 Depth=1
	s_or_b32 exec_lo, exec_lo, s18
	v_lshlrev_b32_e32 v64, 8, v11
	v_lshl_add_u32 v48, v48, 10, 0x2000
	v_lshlrev_b32_e32 v0, 7, v0
	v_and_b32_e32 v64, 0x8000, v64
	v_and_b32_e32 v48, 0xfc00, v48
	v_or3_b32 v64, v64, v48, v0
.LBB299_1065:                           ;   in Loop: Header=BB299_1059 Depth=1
	s_or_b32 exec_lo, exec_lo, s15
.LBB299_1066:                           ;   in Loop: Header=BB299_1059 Depth=1
	s_or_b32 exec_lo, exec_lo, s13
.LBB299_1067:                           ;   in Loop: Header=BB299_1059 Depth=1
	s_or_b32 exec_lo, exec_lo, s5
	v_lshrrev_b16 v0, 8, v11
	v_mov_b32_e32 v48, 0
	v_mov_b32_e32 v65, 0
	s_mov_b32 s5, exec_lo
	v_cmpx_ne_u16_e32 0, v0
	s_cbranch_execz .LBB299_1075
; %bb.1068:                             ;   in Loop: Header=BB299_1059 Depth=1
	v_bfrev_b32_e32 v65, 1
	s_mov_b32 s13, exec_lo
	v_cmpx_ne_u16_e32 0x80, v0
	s_cbranch_execz .LBB299_1074
; %bb.1069:                             ;   in Loop: Header=BB299_1059 Depth=1
	v_and_b32_sdwa v67, v0, v17 dst_sel:DWORD dst_unused:UNUSED_PAD src0_sel:WORD_0 src1_sel:DWORD
	v_mov_b32_e32 v65, 0x7c010000
	s_mov_b32 s15, exec_lo
	v_cmpx_ne_u32_e32 0x7f, v67
	s_cbranch_execz .LBB299_1073
; %bb.1070:                             ;   in Loop: Header=BB299_1059 Depth=1
	v_and_b32_sdwa v65, v0, v38 dst_sel:DWORD dst_unused:UNUSED_PAD src0_sel:WORD_0 src1_sel:DWORD
	v_lshrrev_b32_e32 v66, 3, v67
	s_mov_b32 s18, exec_lo
	v_cmpx_gt_u32_e32 8, v67
; %bb.1071:                             ;   in Loop: Header=BB299_1059 Depth=1
	v_ffbh_u32_e32 v65, v65
	v_min_u32_e32 v67, 32, v65
	v_subrev_nc_u32_e32 v65, 28, v67
	v_lshlrev_b64 v[65:66], v65, v[0:1]
	v_sub_nc_u32_e32 v66, 29, v67
	v_and_b32_e32 v65, 7, v65
; %bb.1072:                             ;   in Loop: Header=BB299_1059 Depth=1
	s_or_b32 exec_lo, exec_lo, s18
	v_lshlrev_b32_sdwa v0, v39, v0 dst_sel:DWORD dst_unused:UNUSED_PAD src0_sel:DWORD src1_sel:WORD_0
	v_lshl_add_u32 v66, v66, 10, 0x2000
	v_lshlrev_b32_e32 v65, 23, v65
	v_and_or_b32 v0, 0x8000, v0, v66
	v_lshl_or_b32 v65, v0, 16, v65
.LBB299_1073:                           ;   in Loop: Header=BB299_1059 Depth=1
	s_or_b32 exec_lo, exec_lo, s15
.LBB299_1074:                           ;   in Loop: Header=BB299_1059 Depth=1
	s_or_b32 exec_lo, exec_lo, s13
.LBB299_1075:                           ;   in Loop: Header=BB299_1059 Depth=1
	s_or_b32 exec_lo, exec_lo, s5
	v_lshrrev_b32_e32 v0, 16, v11
	v_cmp_ne_u16_sdwa s13, v0, v1 src0_sel:BYTE_0 src1_sel:DWORD
	s_and_saveexec_b32 s5, s13
	s_cbranch_execz .LBB299_1083
; %bb.1076:                             ;   in Loop: Header=BB299_1059 Depth=1
	v_cmp_ne_u16_sdwa s15, v0, v16 src0_sel:BYTE_0 src1_sel:DWORD
	v_mov_b32_e32 v48, 0x8000
	s_and_saveexec_b32 s13, s15
	s_cbranch_execz .LBB299_1082
; %bb.1077:                             ;   in Loop: Header=BB299_1059 Depth=1
	v_bfe_u32 v67, v11, 16, 7
	v_mov_b32_e32 v48, 0x7c01
	s_mov_b32 s15, exec_lo
	v_cmpx_ne_u32_e32 0x7f, v67
	s_cbranch_execz .LBB299_1081
; %bb.1078:                             ;   in Loop: Header=BB299_1059 Depth=1
	v_and_b32_e32 v48, 7, v0
	v_lshrrev_b32_e32 v66, 3, v67
	s_mov_b32 s18, exec_lo
	v_cmpx_gt_u32_e32 8, v67
; %bb.1079:                             ;   in Loop: Header=BB299_1059 Depth=1
	v_ffbh_u32_e32 v48, v48
	v_min_u32_e32 v48, 32, v48
	v_subrev_nc_u32_e32 v66, 28, v48
	v_lshlrev_b64 v[67:68], v66, v[0:1]
	v_sub_nc_u32_e32 v66, 29, v48
	v_and_b32_e32 v48, 7, v67
; %bb.1080:                             ;   in Loop: Header=BB299_1059 Depth=1
	s_or_b32 exec_lo, exec_lo, s18
	v_lshlrev_b32_e32 v0, 8, v0
	v_lshl_add_u32 v66, v66, 10, 0x2000
	v_lshlrev_b32_e32 v48, 7, v48
	v_and_b32_e32 v0, 0x8000, v0
	v_and_b32_e32 v66, 0xfc00, v66
	v_or3_b32 v48, v0, v66, v48
.LBB299_1081:                           ;   in Loop: Header=BB299_1059 Depth=1
	s_or_b32 exec_lo, exec_lo, s15
.LBB299_1082:                           ;   in Loop: Header=BB299_1059 Depth=1
	s_or_b32 exec_lo, exec_lo, s13
.LBB299_1083:                           ;   in Loop: Header=BB299_1059 Depth=1
	s_or_b32 exec_lo, exec_lo, s5
	v_mov_b32_e32 v66, 0
	v_mov_b32_e32 v67, 0
	s_mov_b32 s5, exec_lo
	v_cmpx_lt_u32_e32 0xffffff, v11
	s_cbranch_execz .LBB299_1091
; %bb.1084:                             ;   in Loop: Header=BB299_1059 Depth=1
	v_lshrrev_b32_e32 v0, 24, v11
	v_bfrev_b32_e32 v67, 1
	s_mov_b32 s13, exec_lo
	v_cmpx_ne_u32_e32 0x80, v0
	s_cbranch_execz .LBB299_1090
; %bb.1085:                             ;   in Loop: Header=BB299_1059 Depth=1
	v_and_b32_e32 v69, 0x7f, v0
	v_mov_b32_e32 v67, 0x7c010000
	s_mov_b32 s15, exec_lo
	v_cmpx_ne_u32_e32 0x7f, v69
	s_cbranch_execz .LBB299_1089
; %bb.1086:                             ;   in Loop: Header=BB299_1059 Depth=1
	v_and_b32_e32 v67, 7, v0
	v_lshrrev_b32_e32 v68, 3, v69
	s_mov_b32 s18, exec_lo
	v_cmpx_gt_u32_e32 8, v69
; %bb.1087:                             ;   in Loop: Header=BB299_1059 Depth=1
	v_ffbh_u32_e32 v67, v67
	v_min_u32_e32 v69, 32, v67
	v_subrev_nc_u32_e32 v67, 28, v69
	v_lshlrev_b64 v[67:68], v67, v[0:1]
	v_sub_nc_u32_e32 v68, 29, v69
	v_and_b32_e32 v67, 7, v67
; %bb.1088:                             ;   in Loop: Header=BB299_1059 Depth=1
	s_or_b32 exec_lo, exec_lo, s18
	v_lshlrev_b32_e32 v0, 8, v0
	v_lshl_add_u32 v68, v68, 10, 0x2000
	v_lshlrev_b32_e32 v67, 23, v67
	v_and_or_b32 v0, 0x8000, v0, v68
	v_lshl_or_b32 v67, v0, 16, v67
.LBB299_1089:                           ;   in Loop: Header=BB299_1059 Depth=1
	s_or_b32 exec_lo, exec_lo, s15
.LBB299_1090:                           ;   in Loop: Header=BB299_1059 Depth=1
	s_or_b32 exec_lo, exec_lo, s13
.LBB299_1091:                           ;   in Loop: Header=BB299_1059 Depth=1
	s_or_b32 exec_lo, exec_lo, s5
	v_mov_b32_e32 v0, v12
	v_cmp_ne_u16_sdwa s13, v12, v1 src0_sel:BYTE_0 src1_sel:DWORD
	s_and_saveexec_b32 s5, s13
	s_cbranch_execz .LBB299_1099
; %bb.1092:                             ;   in Loop: Header=BB299_1059 Depth=1
	v_cmp_ne_u16_sdwa s15, v12, v16 src0_sel:BYTE_0 src1_sel:DWORD
	v_mov_b32_e32 v66, 0x8000
	s_and_saveexec_b32 s13, s15
	s_cbranch_execz .LBB299_1098
; %bb.1093:                             ;   in Loop: Header=BB299_1059 Depth=1
	v_and_b32_e32 v69, 0x7f, v12
	v_mov_b32_e32 v66, 0x7c01
	s_mov_b32 s15, exec_lo
	v_cmpx_ne_u32_e32 0x7f, v69
	s_cbranch_execz .LBB299_1097
; %bb.1094:                             ;   in Loop: Header=BB299_1059 Depth=1
	v_and_b32_e32 v66, 7, v12
	v_lshrrev_b32_e32 v68, 3, v69
	s_mov_b32 s18, exec_lo
	v_cmpx_gt_u32_e32 8, v69
; %bb.1095:                             ;   in Loop: Header=BB299_1059 Depth=1
	v_ffbh_u32_e32 v66, v66
	v_min_u32_e32 v66, 32, v66
	v_subrev_nc_u32_e32 v68, 28, v66
	v_lshlrev_b64 v[69:70], v68, v[0:1]
	v_sub_nc_u32_e32 v68, 29, v66
	v_and_b32_e32 v66, 7, v69
; %bb.1096:                             ;   in Loop: Header=BB299_1059 Depth=1
	s_or_b32 exec_lo, exec_lo, s18
	v_lshlrev_b32_e32 v69, 8, v12
	v_lshl_add_u32 v68, v68, 10, 0x2000
	v_lshlrev_b32_e32 v66, 7, v66
	v_and_b32_e32 v69, 0x8000, v69
	v_and_b32_e32 v68, 0xfc00, v68
	v_or3_b32 v66, v69, v68, v66
.LBB299_1097:                           ;   in Loop: Header=BB299_1059 Depth=1
	s_or_b32 exec_lo, exec_lo, s15
.LBB299_1098:                           ;   in Loop: Header=BB299_1059 Depth=1
	s_or_b32 exec_lo, exec_lo, s13
.LBB299_1099:                           ;   in Loop: Header=BB299_1059 Depth=1
	s_or_b32 exec_lo, exec_lo, s5
	v_lshrrev_b16 v0, 8, v0
	v_mov_b32_e32 v69, 0
	v_mov_b32_e32 v68, 0
	s_mov_b32 s5, exec_lo
	v_cmpx_ne_u16_e32 0, v0
	s_cbranch_execz .LBB299_1107
; %bb.1100:                             ;   in Loop: Header=BB299_1059 Depth=1
	v_bfrev_b32_e32 v68, 1
	s_mov_b32 s13, exec_lo
	v_cmpx_ne_u16_e32 0x80, v0
	s_cbranch_execz .LBB299_1106
; %bb.1101:                             ;   in Loop: Header=BB299_1059 Depth=1
	v_and_b32_sdwa v71, v0, v17 dst_sel:DWORD dst_unused:UNUSED_PAD src0_sel:WORD_0 src1_sel:DWORD
	v_mov_b32_e32 v68, 0x7c010000
	s_mov_b32 s15, exec_lo
	v_cmpx_ne_u32_e32 0x7f, v71
	s_cbranch_execz .LBB299_1105
; %bb.1102:                             ;   in Loop: Header=BB299_1059 Depth=1
	v_and_b32_sdwa v68, v0, v38 dst_sel:DWORD dst_unused:UNUSED_PAD src0_sel:WORD_0 src1_sel:DWORD
	v_lshrrev_b32_e32 v70, 3, v71
	s_mov_b32 s18, exec_lo
	v_cmpx_gt_u32_e32 8, v71
; %bb.1103:                             ;   in Loop: Header=BB299_1059 Depth=1
	v_ffbh_u32_e32 v68, v68
	v_min_u32_e32 v68, 32, v68
	v_subrev_nc_u32_e32 v70, 28, v68
	v_lshlrev_b64 v[80:81], v70, v[0:1]
	v_sub_nc_u32_e32 v70, 29, v68
	v_and_b32_e32 v68, 7, v80
; %bb.1104:                             ;   in Loop: Header=BB299_1059 Depth=1
	s_or_b32 exec_lo, exec_lo, s18
	v_lshlrev_b32_sdwa v0, v39, v0 dst_sel:DWORD dst_unused:UNUSED_PAD src0_sel:DWORD src1_sel:WORD_0
	v_lshl_add_u32 v70, v70, 10, 0x2000
	v_lshlrev_b32_e32 v68, 23, v68
	v_and_or_b32 v0, 0x8000, v0, v70
	v_lshl_or_b32 v68, v0, 16, v68
.LBB299_1105:                           ;   in Loop: Header=BB299_1059 Depth=1
	s_or_b32 exec_lo, exec_lo, s15
.LBB299_1106:                           ;   in Loop: Header=BB299_1059 Depth=1
	s_or_b32 exec_lo, exec_lo, s13
.LBB299_1107:                           ;   in Loop: Header=BB299_1059 Depth=1
	s_or_b32 exec_lo, exec_lo, s5
	v_lshrrev_b32_e32 v0, 16, v12
	v_cmp_ne_u16_sdwa s13, v0, v1 src0_sel:BYTE_0 src1_sel:DWORD
	s_and_saveexec_b32 s5, s13
	s_cbranch_execz .LBB299_1115
; %bb.1108:                             ;   in Loop: Header=BB299_1059 Depth=1
	v_cmp_ne_u16_sdwa s15, v0, v16 src0_sel:BYTE_0 src1_sel:DWORD
	v_mov_b32_e32 v69, 0x8000
	s_and_saveexec_b32 s13, s15
	s_cbranch_execz .LBB299_1114
; %bb.1109:                             ;   in Loop: Header=BB299_1059 Depth=1
	v_bfe_u32 v71, v12, 16, 7
	v_mov_b32_e32 v69, 0x7c01
	s_mov_b32 s15, exec_lo
	v_cmpx_ne_u32_e32 0x7f, v71
	s_cbranch_execz .LBB299_1113
; %bb.1110:                             ;   in Loop: Header=BB299_1059 Depth=1
	v_and_b32_e32 v69, 7, v0
	v_lshrrev_b32_e32 v70, 3, v71
	s_mov_b32 s18, exec_lo
	v_cmpx_gt_u32_e32 8, v71
; %bb.1111:                             ;   in Loop: Header=BB299_1059 Depth=1
	v_ffbh_u32_e32 v69, v69
	v_min_u32_e32 v71, 32, v69
	v_subrev_nc_u32_e32 v69, 28, v71
	v_lshlrev_b64 v[69:70], v69, v[0:1]
	v_sub_nc_u32_e32 v70, 29, v71
	v_and_b32_e32 v69, 7, v69
; %bb.1112:                             ;   in Loop: Header=BB299_1059 Depth=1
	s_or_b32 exec_lo, exec_lo, s18
	v_lshlrev_b32_e32 v0, 8, v0
	v_lshl_add_u32 v70, v70, 10, 0x2000
	v_lshlrev_b32_e32 v69, 7, v69
	v_and_b32_e32 v0, 0x8000, v0
	v_and_b32_e32 v70, 0xfc00, v70
	v_or3_b32 v69, v0, v70, v69
.LBB299_1113:                           ;   in Loop: Header=BB299_1059 Depth=1
	s_or_b32 exec_lo, exec_lo, s15
.LBB299_1114:                           ;   in Loop: Header=BB299_1059 Depth=1
	s_or_b32 exec_lo, exec_lo, s13
.LBB299_1115:                           ;   in Loop: Header=BB299_1059 Depth=1
	s_or_b32 exec_lo, exec_lo, s5
	v_cmp_lt_u64_e32 vcc_lo, s[8:9], v[11:12]
	v_mov_b32_e32 v11, 0
	s_and_saveexec_b32 s5, vcc_lo
	s_cbranch_execz .LBB299_1123
; %bb.1116:                             ;   in Loop: Header=BB299_1059 Depth=1
	v_lshrrev_b32_e32 v0, 24, v12
	v_bfrev_b32_e32 v11, 1
	s_mov_b32 s13, exec_lo
	v_cmpx_ne_u32_e32 0x80, v0
	s_cbranch_execz .LBB299_1122
; %bb.1117:                             ;   in Loop: Header=BB299_1059 Depth=1
	v_and_b32_e32 v70, 0x7f, v0
	v_mov_b32_e32 v11, 0x7c010000
	s_mov_b32 s15, exec_lo
	v_cmpx_ne_u32_e32 0x7f, v70
	s_cbranch_execz .LBB299_1121
; %bb.1118:                             ;   in Loop: Header=BB299_1059 Depth=1
	v_and_b32_e32 v11, 7, v0
	v_lshrrev_b32_e32 v12, 3, v70
	s_mov_b32 s18, exec_lo
	v_cmpx_gt_u32_e32 8, v70
; %bb.1119:                             ;   in Loop: Header=BB299_1059 Depth=1
	v_ffbh_u32_e32 v11, v11
	v_min_u32_e32 v70, 32, v11
	v_subrev_nc_u32_e32 v11, 28, v70
	v_lshlrev_b64 v[11:12], v11, v[0:1]
	v_sub_nc_u32_e32 v12, 29, v70
	v_and_b32_e32 v11, 7, v11
; %bb.1120:                             ;   in Loop: Header=BB299_1059 Depth=1
	s_or_b32 exec_lo, exec_lo, s18
	v_lshlrev_b32_e32 v0, 8, v0
	v_lshl_add_u32 v12, v12, 10, 0x2000
	v_lshlrev_b32_e32 v11, 23, v11
	v_and_or_b32 v0, 0x8000, v0, v12
	v_lshl_or_b32 v11, v0, 16, v11
.LBB299_1121:                           ;   in Loop: Header=BB299_1059 Depth=1
	s_or_b32 exec_lo, exec_lo, s15
.LBB299_1122:                           ;   in Loop: Header=BB299_1059 Depth=1
	s_or_b32 exec_lo, exec_lo, s13
.LBB299_1123:                           ;   in Loop: Header=BB299_1059 Depth=1
	s_or_b32 exec_lo, exec_lo, s5
	v_or_b32_e32 v0, v67, v48
	s_waitcnt vmcnt(0) lgkmcnt(0)
	v_fma_mixlo_f16 v12, v37, v67, 0 op_sel:[0,1,0] op_sel_hi:[0,1,0]
	v_or_b32_e32 v64, v65, v64
	v_fma_mixlo_f16 v65, v37, v65, 0 op_sel:[0,1,0] op_sel_hi:[0,1,0]
	v_or_b32_e32 v66, v68, v66
	v_fma_mixlo_f16 v0, v37, v0, 0 op_sel_hi:[0,1,0]
	v_or_b32_e32 v67, v11, v69
	v_fma_mixlo_f16 v11, v37, v11, 0 op_sel:[0,1,0] op_sel_hi:[0,1,0]
	v_lshlrev_b32_e32 v69, 16, v65
	v_lshlrev_b32_e32 v12, 16, v12
	v_and_b32_e32 v65, 0xffff, v0
	v_fma_mixlo_f16 v0, v37, v64, 0 op_sel_hi:[0,1,0]
	v_fma_mixlo_f16 v64, v37, v68, 0 op_sel:[0,1,0] op_sel_hi:[0,1,0]
	v_fma_mixlo_f16 v68, v37, v66, 0 op_sel_hi:[0,1,0]
	v_fma_mixlo_f16 v37, v37, v67, 0 op_sel_hi:[0,1,0]
	v_add_nc_u32_e32 v48, -7, v14
	v_and_b32_e32 v85, 0xffff, v0
	v_lshlrev_b32_e32 v66, 16, v64
	v_and_b32_e32 v84, 0xffff, v68
	v_lshlrev_b32_e32 v64, 16, v11
	v_and_b32_e32 v68, 0xffff, v37
	v_cmp_eq_u32_e32 vcc_lo, v23, v63
	v_or_b32_e32 v0, v12, v65
	v_or_b32_e32 v11, v69, v85
	;; [unrolled: 1-line block ×4, first 2 shown]
	v_add_nc_u32_e32 v83, -6, v14
	v_add_nc_u32_e32 v82, -5, v14
	;; [unrolled: 1-line block ×6, first 2 shown]
	s_and_saveexec_b32 s13, vcc_lo
	s_cbranch_execz .LBB299_1125
; %bb.1124:                             ;   in Loop: Header=BB299_1059 Depth=1
	v_cmp_lt_i32_e64 s5, v48, v35
	v_cndmask_b32_e64 v0, 0, v85, s5
	v_cmp_lt_i32_e64 s5, v83, v35
	v_cndmask_b32_e64 v11, 0, v69, s5
	v_cmp_lt_i32_e64 s5, v82, v35
	v_or_b32_e32 v11, v0, v11
	v_cndmask_b32_e64 v37, 0, v65, s5
	v_cmp_lt_i32_e64 s5, v81, v35
	v_cndmask_b32_e64 v12, 0, v12, s5
	v_cmp_lt_i32_e64 s5, v80, v35
	v_or_b32_e32 v0, v37, v12
	;; [unrolled: 5-line block ×3, first 2 shown]
	v_cndmask_b32_e64 v67, 0, v68, s5
	v_cmp_lt_i32_e64 s5, v14, v35
	v_cndmask_b32_e64 v64, 0, v64, s5
	v_or_b32_e32 v67, v67, v64
.LBB299_1125:                           ;   in Loop: Header=BB299_1059 Depth=1
	s_or_b32 exec_lo, exec_lo, s13
	v_and_b32_e32 v4, 0xffff, v4
	v_and_b32_e32 v12, 0xffff, v33
	v_and_b32_e32 v33, 0xffff, v34
	v_and_b32_e32 v34, 0xffff, v36
	v_lshl_or_b32 v68, v5, 16, v4
	v_lshl_or_b32 v66, v6, 16, v12
	;;#ASMSTART
	v_pk_mul_f16 v4, v68, v11;

	;;#ASMEND
	;;#ASMSTART
	v_pk_mul_f16 v0, v66, v0;

	;;#ASMEND
	v_lshl_or_b32 v65, v13, 16, v33
	v_lshl_or_b32 v64, v22, 16, v34
	;;#ASMSTART
	v_pk_mul_f16 v5, v65, v37;

	;;#ASMEND
	;;#ASMSTART
	v_pk_mul_f16 v6, v64, v67;

	;;#ASMEND
	;;#ASMSTART
	v_pk_add_f16 v0, v4, v0;

	;;#ASMEND
	;;#ASMSTART
	v_pk_add_f16 v0, v0, v5;
	;; [unrolled: 4-line block ×3, first 2 shown]

	;;#ASMEND
	v_and_b32_e32 v4, 0xffff, v0
	v_lshrrev_b32_e32 v0, 16, v0
	;;#ASMSTART
	v_cvt_f32_f16 v67, v4;
	;;#ASMEND
	;;#ASMSTART
	v_cvt_f32_f16 v69, v0;
	;;#ASMEND
	flat_load_dwordx2 v[11:12], v[9:10] offset:256
	flat_load_dword v4, v[26:27]
	v_mov_b32_e32 v5, 0
	v_mov_b32_e32 v6, 0
	s_waitcnt vmcnt(1) lgkmcnt(1)
	v_cmp_ne_u16_sdwa s5, v11, v1 src0_sel:BYTE_0 src1_sel:DWORD
	s_and_saveexec_b32 s13, s5
	s_cbranch_execz .LBB299_1133
; %bb.1126:                             ;   in Loop: Header=BB299_1059 Depth=1
	v_cmp_ne_u16_sdwa s5, v11, v16 src0_sel:BYTE_0 src1_sel:DWORD
	v_mov_b32_e32 v6, 0x8000
	s_and_saveexec_b32 s15, s5
	s_cbranch_execz .LBB299_1132
; %bb.1127:                             ;   in Loop: Header=BB299_1059 Depth=1
	v_and_b32_e32 v13, 0x7f, v11
	v_mov_b32_e32 v6, 0x7c01
	s_mov_b32 s18, exec_lo
	v_cmpx_ne_u32_e32 0x7f, v13
	s_cbranch_execz .LBB299_1131
; %bb.1128:                             ;   in Loop: Header=BB299_1059 Depth=1
	v_and_b32_e32 v0, 7, v11
	v_lshrrev_b32_e32 v6, 3, v13
	s_mov_b32 s20, exec_lo
	v_cmpx_gt_u32_e32 8, v13
; %bb.1129:                             ;   in Loop: Header=BB299_1059 Depth=1
	v_ffbh_u32_e32 v0, v0
	v_min_u32_e32 v0, 32, v0
	v_subrev_nc_u32_e32 v6, 28, v0
	v_lshlrev_b64 v[33:34], v6, v[11:12]
	v_sub_nc_u32_e32 v6, 29, v0
	v_and_b32_e32 v0, 7, v33
; %bb.1130:                             ;   in Loop: Header=BB299_1059 Depth=1
	s_or_b32 exec_lo, exec_lo, s20
	v_lshlrev_b32_e32 v13, 8, v11
	v_lshl_add_u32 v6, v6, 10, 0x2000
	v_lshlrev_b32_e32 v0, 7, v0
	v_and_b32_e32 v13, 0x8000, v13
	v_and_b32_e32 v6, 0xfc00, v6
	v_or3_b32 v6, v13, v6, v0
.LBB299_1131:                           ;   in Loop: Header=BB299_1059 Depth=1
	s_or_b32 exec_lo, exec_lo, s18
.LBB299_1132:                           ;   in Loop: Header=BB299_1059 Depth=1
	s_or_b32 exec_lo, exec_lo, s15
.LBB299_1133:                           ;   in Loop: Header=BB299_1059 Depth=1
	s_or_b32 exec_lo, exec_lo, s13
	v_lshrrev_b16 v0, 8, v11
	s_mov_b32 s13, exec_lo
	v_cmpx_ne_u16_e32 0, v0
	s_cbranch_execz .LBB299_1141
; %bb.1134:                             ;   in Loop: Header=BB299_1059 Depth=1
	v_bfrev_b32_e32 v5, 1
	s_mov_b32 s15, exec_lo
	v_cmpx_ne_u16_e32 0x80, v0
	s_cbranch_execz .LBB299_1140
; %bb.1135:                             ;   in Loop: Header=BB299_1059 Depth=1
	v_and_b32_sdwa v22, v0, v17 dst_sel:DWORD dst_unused:UNUSED_PAD src0_sel:WORD_0 src1_sel:DWORD
	v_mov_b32_e32 v5, 0x7c010000
	s_mov_b32 s18, exec_lo
	v_cmpx_ne_u32_e32 0x7f, v22
	s_cbranch_execz .LBB299_1139
; %bb.1136:                             ;   in Loop: Header=BB299_1059 Depth=1
	v_and_b32_sdwa v5, v0, v38 dst_sel:DWORD dst_unused:UNUSED_PAD src0_sel:WORD_0 src1_sel:DWORD
	v_lshrrev_b32_e32 v13, 3, v22
	s_mov_b32 s20, exec_lo
	v_cmpx_gt_u32_e32 8, v22
; %bb.1137:                             ;   in Loop: Header=BB299_1059 Depth=1
	v_ffbh_u32_e32 v5, v5
	v_min_u32_e32 v5, 32, v5
	v_subrev_nc_u32_e32 v13, 28, v5
	v_lshlrev_b64 v[33:34], v13, v[0:1]
	v_sub_nc_u32_e32 v13, 29, v5
	v_and_b32_e32 v5, 7, v33
; %bb.1138:                             ;   in Loop: Header=BB299_1059 Depth=1
	s_or_b32 exec_lo, exec_lo, s20
	v_lshlrev_b32_sdwa v0, v39, v0 dst_sel:DWORD dst_unused:UNUSED_PAD src0_sel:DWORD src1_sel:WORD_0
	v_lshl_add_u32 v13, v13, 10, 0x2000
	v_lshlrev_b32_e32 v5, 23, v5
	v_and_or_b32 v0, 0x8000, v0, v13
	v_lshl_or_b32 v5, v0, 16, v5
.LBB299_1139:                           ;   in Loop: Header=BB299_1059 Depth=1
	s_or_b32 exec_lo, exec_lo, s18
.LBB299_1140:                           ;   in Loop: Header=BB299_1059 Depth=1
	s_or_b32 exec_lo, exec_lo, s15
.LBB299_1141:                           ;   in Loop: Header=BB299_1059 Depth=1
	s_or_b32 exec_lo, exec_lo, s13
	v_lshrrev_b32_e32 v0, 16, v11
	v_mov_b32_e32 v13, 0
	v_mov_b32_e32 v22, 0
	v_cmp_ne_u16_sdwa s5, v0, v1 src0_sel:BYTE_0 src1_sel:DWORD
	s_and_saveexec_b32 s13, s5
	s_cbranch_execz .LBB299_1149
; %bb.1142:                             ;   in Loop: Header=BB299_1059 Depth=1
	v_cmp_ne_u16_sdwa s5, v0, v16 src0_sel:BYTE_0 src1_sel:DWORD
	v_mov_b32_e32 v22, 0x8000
	s_and_saveexec_b32 s15, s5
	s_cbranch_execz .LBB299_1148
; %bb.1143:                             ;   in Loop: Header=BB299_1059 Depth=1
	v_bfe_u32 v34, v11, 16, 7
	v_mov_b32_e32 v22, 0x7c01
	s_mov_b32 s18, exec_lo
	v_cmpx_ne_u32_e32 0x7f, v34
	s_cbranch_execz .LBB299_1147
; %bb.1144:                             ;   in Loop: Header=BB299_1059 Depth=1
	v_and_b32_e32 v22, 7, v0
	v_lshrrev_b32_e32 v33, 3, v34
	s_mov_b32 s20, exec_lo
	v_cmpx_gt_u32_e32 8, v34
; %bb.1145:                             ;   in Loop: Header=BB299_1059 Depth=1
	v_ffbh_u32_e32 v22, v22
	v_min_u32_e32 v22, 32, v22
	v_subrev_nc_u32_e32 v33, 28, v22
	v_lshlrev_b64 v[36:37], v33, v[0:1]
	v_sub_nc_u32_e32 v33, 29, v22
	v_and_b32_e32 v22, 7, v36
; %bb.1146:                             ;   in Loop: Header=BB299_1059 Depth=1
	s_or_b32 exec_lo, exec_lo, s20
	v_lshlrev_b32_e32 v0, 8, v0
	v_lshl_add_u32 v33, v33, 10, 0x2000
	v_lshlrev_b32_e32 v22, 7, v22
	v_and_b32_e32 v0, 0x8000, v0
	v_and_b32_e32 v33, 0xfc00, v33
	v_or3_b32 v22, v0, v33, v22
.LBB299_1147:                           ;   in Loop: Header=BB299_1059 Depth=1
	s_or_b32 exec_lo, exec_lo, s18
.LBB299_1148:                           ;   in Loop: Header=BB299_1059 Depth=1
	s_or_b32 exec_lo, exec_lo, s15
.LBB299_1149:                           ;   in Loop: Header=BB299_1059 Depth=1
	s_or_b32 exec_lo, exec_lo, s13
	s_mov_b32 s13, exec_lo
	v_cmpx_lt_u32_e32 0xffffff, v11
	s_cbranch_execz .LBB299_1157
; %bb.1150:                             ;   in Loop: Header=BB299_1059 Depth=1
	v_lshrrev_b32_e32 v0, 24, v11
	v_bfrev_b32_e32 v13, 1
	s_mov_b32 s15, exec_lo
	v_cmpx_ne_u32_e32 0x80, v0
	s_cbranch_execz .LBB299_1156
; %bb.1151:                             ;   in Loop: Header=BB299_1059 Depth=1
	v_and_b32_e32 v34, 0x7f, v0
	v_mov_b32_e32 v13, 0x7c010000
	s_mov_b32 s18, exec_lo
	v_cmpx_ne_u32_e32 0x7f, v34
	s_cbranch_execz .LBB299_1155
; %bb.1152:                             ;   in Loop: Header=BB299_1059 Depth=1
	v_and_b32_e32 v13, 7, v0
	v_lshrrev_b32_e32 v33, 3, v34
	s_mov_b32 s20, exec_lo
	v_cmpx_gt_u32_e32 8, v34
; %bb.1153:                             ;   in Loop: Header=BB299_1059 Depth=1
	v_ffbh_u32_e32 v13, v13
	v_min_u32_e32 v13, 32, v13
	v_subrev_nc_u32_e32 v33, 28, v13
	v_lshlrev_b64 v[36:37], v33, v[0:1]
	v_sub_nc_u32_e32 v33, 29, v13
	v_and_b32_e32 v13, 7, v36
; %bb.1154:                             ;   in Loop: Header=BB299_1059 Depth=1
	s_or_b32 exec_lo, exec_lo, s20
	v_lshlrev_b32_e32 v0, 8, v0
	v_lshl_add_u32 v33, v33, 10, 0x2000
	v_lshlrev_b32_e32 v13, 23, v13
	v_and_or_b32 v0, 0x8000, v0, v33
	v_lshl_or_b32 v13, v0, 16, v13
.LBB299_1155:                           ;   in Loop: Header=BB299_1059 Depth=1
	s_or_b32 exec_lo, exec_lo, s18
.LBB299_1156:                           ;   in Loop: Header=BB299_1059 Depth=1
	s_or_b32 exec_lo, exec_lo, s15
.LBB299_1157:                           ;   in Loop: Header=BB299_1059 Depth=1
	s_or_b32 exec_lo, exec_lo, s13
	v_mov_b32_e32 v0, v12
	v_cmp_ne_u16_sdwa s5, v12, v1 src0_sel:BYTE_0 src1_sel:DWORD
	v_mov_b32_e32 v33, 0
	v_mov_b32_e32 v34, 0
	s_and_saveexec_b32 s13, s5
	s_cbranch_execz .LBB299_1165
; %bb.1158:                             ;   in Loop: Header=BB299_1059 Depth=1
	v_cmp_ne_u16_sdwa s5, v12, v16 src0_sel:BYTE_0 src1_sel:DWORD
	v_mov_b32_e32 v34, 0x8000
	s_and_saveexec_b32 s15, s5
	s_cbranch_execz .LBB299_1164
; %bb.1159:                             ;   in Loop: Header=BB299_1059 Depth=1
	v_and_b32_e32 v37, 0x7f, v12
	v_mov_b32_e32 v34, 0x7c01
	s_mov_b32 s18, exec_lo
	v_cmpx_ne_u32_e32 0x7f, v37
	s_cbranch_execz .LBB299_1163
; %bb.1160:                             ;   in Loop: Header=BB299_1059 Depth=1
	v_and_b32_e32 v34, 7, v12
	v_lshrrev_b32_e32 v36, 3, v37
	s_mov_b32 s20, exec_lo
	v_cmpx_gt_u32_e32 8, v37
; %bb.1161:                             ;   in Loop: Header=BB299_1059 Depth=1
	v_ffbh_u32_e32 v34, v34
	v_min_u32_e32 v34, 32, v34
	v_subrev_nc_u32_e32 v36, 28, v34
	v_lshlrev_b64 v[84:85], v36, v[0:1]
	v_sub_nc_u32_e32 v36, 29, v34
	v_and_b32_e32 v34, 7, v84
; %bb.1162:                             ;   in Loop: Header=BB299_1059 Depth=1
	s_or_b32 exec_lo, exec_lo, s20
	v_lshlrev_b32_e32 v37, 8, v12
	v_lshl_add_u32 v36, v36, 10, 0x2000
	v_lshlrev_b32_e32 v34, 7, v34
	v_and_b32_e32 v37, 0x8000, v37
	v_and_b32_e32 v36, 0xfc00, v36
	v_or3_b32 v34, v37, v36, v34
.LBB299_1163:                           ;   in Loop: Header=BB299_1059 Depth=1
	s_or_b32 exec_lo, exec_lo, s18
.LBB299_1164:                           ;   in Loop: Header=BB299_1059 Depth=1
	s_or_b32 exec_lo, exec_lo, s15
.LBB299_1165:                           ;   in Loop: Header=BB299_1059 Depth=1
	s_or_b32 exec_lo, exec_lo, s13
	v_lshrrev_b16 v0, 8, v0
	v_mov_b32_e32 v36, 0
	s_mov_b32 s13, exec_lo
	v_cmpx_ne_u16_e32 0, v0
	s_cbranch_execz .LBB299_1173
; %bb.1166:                             ;   in Loop: Header=BB299_1059 Depth=1
	v_bfrev_b32_e32 v36, 1
	s_mov_b32 s15, exec_lo
	v_cmpx_ne_u16_e32 0x80, v0
	s_cbranch_execz .LBB299_1172
; %bb.1167:                             ;   in Loop: Header=BB299_1059 Depth=1
	v_and_b32_sdwa v84, v0, v17 dst_sel:DWORD dst_unused:UNUSED_PAD src0_sel:WORD_0 src1_sel:DWORD
	v_mov_b32_e32 v36, 0x7c010000
	s_mov_b32 s18, exec_lo
	v_cmpx_ne_u32_e32 0x7f, v84
	s_cbranch_execz .LBB299_1171
; %bb.1168:                             ;   in Loop: Header=BB299_1059 Depth=1
	v_and_b32_sdwa v36, v0, v38 dst_sel:DWORD dst_unused:UNUSED_PAD src0_sel:WORD_0 src1_sel:DWORD
	v_lshrrev_b32_e32 v37, 3, v84
	s_mov_b32 s20, exec_lo
	v_cmpx_gt_u32_e32 8, v84
; %bb.1169:                             ;   in Loop: Header=BB299_1059 Depth=1
	v_ffbh_u32_e32 v36, v36
	v_min_u32_e32 v84, 32, v36
	v_subrev_nc_u32_e32 v36, 28, v84
	v_lshlrev_b64 v[36:37], v36, v[0:1]
	v_sub_nc_u32_e32 v37, 29, v84
	v_and_b32_e32 v36, 7, v36
; %bb.1170:                             ;   in Loop: Header=BB299_1059 Depth=1
	s_or_b32 exec_lo, exec_lo, s20
	v_lshlrev_b32_sdwa v0, v39, v0 dst_sel:DWORD dst_unused:UNUSED_PAD src0_sel:DWORD src1_sel:WORD_0
	v_lshl_add_u32 v37, v37, 10, 0x2000
	v_lshlrev_b32_e32 v36, 23, v36
	v_and_or_b32 v0, 0x8000, v0, v37
	v_lshl_or_b32 v36, v0, 16, v36
.LBB299_1171:                           ;   in Loop: Header=BB299_1059 Depth=1
	s_or_b32 exec_lo, exec_lo, s18
.LBB299_1172:                           ;   in Loop: Header=BB299_1059 Depth=1
	s_or_b32 exec_lo, exec_lo, s15
.LBB299_1173:                           ;   in Loop: Header=BB299_1059 Depth=1
	s_or_b32 exec_lo, exec_lo, s13
	v_lshrrev_b32_e32 v0, 16, v12
	v_cmp_ne_u16_sdwa s5, v0, v1 src0_sel:BYTE_0 src1_sel:DWORD
	s_and_saveexec_b32 s13, s5
	s_cbranch_execz .LBB299_1181
; %bb.1174:                             ;   in Loop: Header=BB299_1059 Depth=1
	v_cmp_ne_u16_sdwa s5, v0, v16 src0_sel:BYTE_0 src1_sel:DWORD
	v_mov_b32_e32 v33, 0x8000
	s_and_saveexec_b32 s15, s5
	s_cbranch_execz .LBB299_1180
; %bb.1175:                             ;   in Loop: Header=BB299_1059 Depth=1
	v_bfe_u32 v84, v12, 16, 7
	v_mov_b32_e32 v33, 0x7c01
	s_mov_b32 s18, exec_lo
	v_cmpx_ne_u32_e32 0x7f, v84
	s_cbranch_execz .LBB299_1179
; %bb.1176:                             ;   in Loop: Header=BB299_1059 Depth=1
	v_and_b32_e32 v33, 7, v0
	v_lshrrev_b32_e32 v37, 3, v84
	s_mov_b32 s20, exec_lo
	v_cmpx_gt_u32_e32 8, v84
; %bb.1177:                             ;   in Loop: Header=BB299_1059 Depth=1
	v_ffbh_u32_e32 v33, v33
	v_min_u32_e32 v33, 32, v33
	v_subrev_nc_u32_e32 v37, 28, v33
	v_lshlrev_b64 v[84:85], v37, v[0:1]
	v_sub_nc_u32_e32 v37, 29, v33
	v_and_b32_e32 v33, 7, v84
; %bb.1178:                             ;   in Loop: Header=BB299_1059 Depth=1
	s_or_b32 exec_lo, exec_lo, s20
	v_lshlrev_b32_e32 v0, 8, v0
	v_lshl_add_u32 v37, v37, 10, 0x2000
	v_lshlrev_b32_e32 v33, 7, v33
	v_and_b32_e32 v0, 0x8000, v0
	v_and_b32_e32 v37, 0xfc00, v37
	v_or3_b32 v33, v0, v37, v33
.LBB299_1179:                           ;   in Loop: Header=BB299_1059 Depth=1
	s_or_b32 exec_lo, exec_lo, s18
.LBB299_1180:                           ;   in Loop: Header=BB299_1059 Depth=1
	s_or_b32 exec_lo, exec_lo, s15
.LBB299_1181:                           ;   in Loop: Header=BB299_1059 Depth=1
	s_or_b32 exec_lo, exec_lo, s13
	v_cmp_lt_u64_e64 s5, s[8:9], v[11:12]
	v_mov_b32_e32 v11, 0
	s_and_saveexec_b32 s13, s5
	s_cbranch_execz .LBB299_1189
; %bb.1182:                             ;   in Loop: Header=BB299_1059 Depth=1
	v_lshrrev_b32_e32 v0, 24, v12
	v_bfrev_b32_e32 v11, 1
	s_mov_b32 s15, exec_lo
	v_cmpx_ne_u32_e32 0x80, v0
	s_cbranch_execz .LBB299_1188
; %bb.1183:                             ;   in Loop: Header=BB299_1059 Depth=1
	v_and_b32_e32 v37, 0x7f, v0
	v_mov_b32_e32 v11, 0x7c010000
	s_mov_b32 s18, exec_lo
	v_cmpx_ne_u32_e32 0x7f, v37
	s_cbranch_execz .LBB299_1187
; %bb.1184:                             ;   in Loop: Header=BB299_1059 Depth=1
	v_and_b32_e32 v11, 7, v0
	v_lshrrev_b32_e32 v12, 3, v37
	s_mov_b32 s20, exec_lo
	v_cmpx_gt_u32_e32 8, v37
; %bb.1185:                             ;   in Loop: Header=BB299_1059 Depth=1
	v_ffbh_u32_e32 v11, v11
	v_min_u32_e32 v37, 32, v11
	v_subrev_nc_u32_e32 v11, 28, v37
	v_lshlrev_b64 v[11:12], v11, v[0:1]
	v_sub_nc_u32_e32 v12, 29, v37
	v_and_b32_e32 v11, 7, v11
; %bb.1186:                             ;   in Loop: Header=BB299_1059 Depth=1
	s_or_b32 exec_lo, exec_lo, s20
	v_lshlrev_b32_e32 v0, 8, v0
	v_lshl_add_u32 v12, v12, 10, 0x2000
	v_lshlrev_b32_e32 v11, 23, v11
	v_and_or_b32 v0, 0x8000, v0, v12
	v_lshl_or_b32 v11, v0, 16, v11
.LBB299_1187:                           ;   in Loop: Header=BB299_1059 Depth=1
	s_or_b32 exec_lo, exec_lo, s18
.LBB299_1188:                           ;   in Loop: Header=BB299_1059 Depth=1
	s_or_b32 exec_lo, exec_lo, s15
.LBB299_1189:                           ;   in Loop: Header=BB299_1059 Depth=1
	s_or_b32 exec_lo, exec_lo, s13
	v_or_b32_e32 v0, v13, v22
	s_waitcnt vmcnt(0) lgkmcnt(0)
	v_fma_mixlo_f16 v12, v4, v13, 0 op_sel:[0,1,0] op_sel_hi:[0,1,0]
	v_or_b32_e32 v6, v5, v6
	v_fma_mixlo_f16 v5, v4, v5, 0 op_sel:[0,1,0] op_sel_hi:[0,1,0]
	v_or_b32_e32 v13, v36, v34
	v_fma_mixlo_f16 v22, v4, v0, 0 op_sel_hi:[0,1,0]
	v_or_b32_e32 v33, v11, v33
	v_lshlrev_b32_e32 v0, 16, v12
	v_lshlrev_b32_e32 v12, 16, v5
	v_fma_mixlo_f16 v6, v4, v6, 0 op_sel_hi:[0,1,0]
	v_and_b32_e32 v5, 0xffff, v22
	v_fma_mixlo_f16 v22, v4, v36, 0 op_sel:[0,1,0] op_sel_hi:[0,1,0]
	v_fma_mixlo_f16 v13, v4, v13, 0 op_sel_hi:[0,1,0]
	v_fma_mixlo_f16 v11, v4, v11, 0 op_sel:[0,1,0] op_sel_hi:[0,1,0]
	v_fma_mixlo_f16 v33, v4, v33, 0 op_sel_hi:[0,1,0]
	v_and_b32_e32 v37, 0xffff, v6
	v_lshlrev_b32_e32 v6, 16, v22
	v_and_b32_e32 v22, 0xffff, v13
	v_lshlrev_b32_e32 v4, 16, v11
	v_and_b32_e32 v11, 0xffff, v33
	v_or_b32_e32 v13, v0, v5
	v_or_b32_e32 v36, v12, v37
	;; [unrolled: 1-line block ×4, first 2 shown]
	s_and_saveexec_b32 s13, vcc_lo
	s_cbranch_execz .LBB299_1191
; %bb.1190:                             ;   in Loop: Header=BB299_1059 Depth=1
	v_cmp_lt_i32_e64 s5, v48, v35
	v_cndmask_b32_e64 v13, 0, v37, s5
	v_cmp_lt_i32_e64 s5, v83, v35
	v_cndmask_b32_e64 v12, 0, v12, s5
	v_cmp_lt_i32_e64 s5, v82, v35
	v_or_b32_e32 v36, v13, v12
	v_cndmask_b32_e64 v5, 0, v5, s5
	v_cmp_lt_i32_e64 s5, v81, v35
	v_cndmask_b32_e64 v0, 0, v0, s5
	v_cmp_lt_i32_e64 s5, v80, v35
	v_or_b32_e32 v13, v5, v0
	;; [unrolled: 5-line block ×3, first 2 shown]
	v_cndmask_b32_e64 v11, 0, v11, s5
	v_cmp_lt_i32_e64 s5, v14, v35
	v_cndmask_b32_e64 v4, 0, v4, s5
	v_or_b32_e32 v33, v11, v4
.LBB299_1191:                           ;   in Loop: Header=BB299_1059 Depth=1
	s_or_b32 exec_lo, exec_lo, s13
	;;#ASMSTART
	v_pk_mul_f16 v0, v68, v36;

	;;#ASMEND
	;;#ASMSTART
	v_pk_mul_f16 v4, v66, v13;

	;;#ASMEND
	;;#ASMSTART
	v_pk_mul_f16 v5, v65, v34;

	;;#ASMEND
	;;#ASMSTART
	v_pk_mul_f16 v6, v64, v33;

	;;#ASMEND
	;;#ASMSTART
	v_pk_add_f16 v0, v0, v4;

	;;#ASMEND
	;;#ASMSTART
	v_pk_add_f16 v0, v0, v5;

	;;#ASMEND
	;; [unrolled: 4-line block ×3, first 2 shown]
	v_and_b32_e32 v4, 0xffff, v0
	v_lshrrev_b32_e32 v0, 16, v0
	;;#ASMSTART
	v_cvt_f32_f16 v84, v4;
	;;#ASMEND
	;;#ASMSTART
	v_cvt_f32_f16 v85, v0;
	;;#ASMEND
	flat_load_dwordx2 v[11:12], v[9:10] offset:512
	flat_load_dword v4, v[26:27]
	v_mov_b32_e32 v5, 0
	v_mov_b32_e32 v6, 0
	s_waitcnt vmcnt(1) lgkmcnt(1)
	v_cmp_ne_u16_sdwa s5, v11, v1 src0_sel:BYTE_0 src1_sel:DWORD
	s_and_saveexec_b32 s13, s5
	s_cbranch_execz .LBB299_1199
; %bb.1192:                             ;   in Loop: Header=BB299_1059 Depth=1
	v_cmp_ne_u16_sdwa s5, v11, v16 src0_sel:BYTE_0 src1_sel:DWORD
	v_mov_b32_e32 v6, 0x8000
	s_and_saveexec_b32 s15, s5
	s_cbranch_execz .LBB299_1198
; %bb.1193:                             ;   in Loop: Header=BB299_1059 Depth=1
	v_and_b32_e32 v13, 0x7f, v11
	v_mov_b32_e32 v6, 0x7c01
	s_mov_b32 s18, exec_lo
	v_cmpx_ne_u32_e32 0x7f, v13
	s_cbranch_execz .LBB299_1197
; %bb.1194:                             ;   in Loop: Header=BB299_1059 Depth=1
	v_and_b32_e32 v0, 7, v11
	v_lshrrev_b32_e32 v6, 3, v13
	s_mov_b32 s20, exec_lo
	v_cmpx_gt_u32_e32 8, v13
; %bb.1195:                             ;   in Loop: Header=BB299_1059 Depth=1
	v_ffbh_u32_e32 v0, v0
	v_min_u32_e32 v0, 32, v0
	v_subrev_nc_u32_e32 v6, 28, v0
	v_lshlrev_b64 v[33:34], v6, v[11:12]
	v_sub_nc_u32_e32 v6, 29, v0
	v_and_b32_e32 v0, 7, v33
; %bb.1196:                             ;   in Loop: Header=BB299_1059 Depth=1
	s_or_b32 exec_lo, exec_lo, s20
	v_lshlrev_b32_e32 v13, 8, v11
	v_lshl_add_u32 v6, v6, 10, 0x2000
	v_lshlrev_b32_e32 v0, 7, v0
	v_and_b32_e32 v13, 0x8000, v13
	v_and_b32_e32 v6, 0xfc00, v6
	v_or3_b32 v6, v13, v6, v0
.LBB299_1197:                           ;   in Loop: Header=BB299_1059 Depth=1
	s_or_b32 exec_lo, exec_lo, s18
.LBB299_1198:                           ;   in Loop: Header=BB299_1059 Depth=1
	s_or_b32 exec_lo, exec_lo, s15
.LBB299_1199:                           ;   in Loop: Header=BB299_1059 Depth=1
	s_or_b32 exec_lo, exec_lo, s13
	v_lshrrev_b16 v0, 8, v11
	s_mov_b32 s13, exec_lo
	v_cmpx_ne_u16_e32 0, v0
	s_cbranch_execz .LBB299_1207
; %bb.1200:                             ;   in Loop: Header=BB299_1059 Depth=1
	v_bfrev_b32_e32 v5, 1
	s_mov_b32 s15, exec_lo
	v_cmpx_ne_u16_e32 0x80, v0
	s_cbranch_execz .LBB299_1206
; %bb.1201:                             ;   in Loop: Header=BB299_1059 Depth=1
	v_and_b32_sdwa v22, v0, v17 dst_sel:DWORD dst_unused:UNUSED_PAD src0_sel:WORD_0 src1_sel:DWORD
	v_mov_b32_e32 v5, 0x7c010000
	s_mov_b32 s18, exec_lo
	v_cmpx_ne_u32_e32 0x7f, v22
	s_cbranch_execz .LBB299_1205
; %bb.1202:                             ;   in Loop: Header=BB299_1059 Depth=1
	v_and_b32_sdwa v5, v0, v38 dst_sel:DWORD dst_unused:UNUSED_PAD src0_sel:WORD_0 src1_sel:DWORD
	v_lshrrev_b32_e32 v13, 3, v22
	s_mov_b32 s20, exec_lo
	v_cmpx_gt_u32_e32 8, v22
; %bb.1203:                             ;   in Loop: Header=BB299_1059 Depth=1
	v_ffbh_u32_e32 v5, v5
	v_min_u32_e32 v5, 32, v5
	v_subrev_nc_u32_e32 v13, 28, v5
	v_lshlrev_b64 v[33:34], v13, v[0:1]
	v_sub_nc_u32_e32 v13, 29, v5
	v_and_b32_e32 v5, 7, v33
; %bb.1204:                             ;   in Loop: Header=BB299_1059 Depth=1
	s_or_b32 exec_lo, exec_lo, s20
	v_lshlrev_b32_sdwa v0, v39, v0 dst_sel:DWORD dst_unused:UNUSED_PAD src0_sel:DWORD src1_sel:WORD_0
	v_lshl_add_u32 v13, v13, 10, 0x2000
	v_lshlrev_b32_e32 v5, 23, v5
	v_and_or_b32 v0, 0x8000, v0, v13
	v_lshl_or_b32 v5, v0, 16, v5
.LBB299_1205:                           ;   in Loop: Header=BB299_1059 Depth=1
	s_or_b32 exec_lo, exec_lo, s18
.LBB299_1206:                           ;   in Loop: Header=BB299_1059 Depth=1
	s_or_b32 exec_lo, exec_lo, s15
.LBB299_1207:                           ;   in Loop: Header=BB299_1059 Depth=1
	s_or_b32 exec_lo, exec_lo, s13
	v_lshrrev_b32_e32 v0, 16, v11
	v_mov_b32_e32 v13, 0
	v_mov_b32_e32 v22, 0
	v_cmp_ne_u16_sdwa s5, v0, v1 src0_sel:BYTE_0 src1_sel:DWORD
	s_and_saveexec_b32 s13, s5
	s_cbranch_execz .LBB299_1215
; %bb.1208:                             ;   in Loop: Header=BB299_1059 Depth=1
	v_cmp_ne_u16_sdwa s5, v0, v16 src0_sel:BYTE_0 src1_sel:DWORD
	v_mov_b32_e32 v22, 0x8000
	s_and_saveexec_b32 s15, s5
	s_cbranch_execz .LBB299_1214
; %bb.1209:                             ;   in Loop: Header=BB299_1059 Depth=1
	v_bfe_u32 v34, v11, 16, 7
	v_mov_b32_e32 v22, 0x7c01
	s_mov_b32 s18, exec_lo
	v_cmpx_ne_u32_e32 0x7f, v34
	s_cbranch_execz .LBB299_1213
; %bb.1210:                             ;   in Loop: Header=BB299_1059 Depth=1
	v_and_b32_e32 v22, 7, v0
	v_lshrrev_b32_e32 v33, 3, v34
	s_mov_b32 s20, exec_lo
	v_cmpx_gt_u32_e32 8, v34
; %bb.1211:                             ;   in Loop: Header=BB299_1059 Depth=1
	v_ffbh_u32_e32 v22, v22
	v_min_u32_e32 v22, 32, v22
	v_subrev_nc_u32_e32 v33, 28, v22
	v_lshlrev_b64 v[36:37], v33, v[0:1]
	v_sub_nc_u32_e32 v33, 29, v22
	v_and_b32_e32 v22, 7, v36
; %bb.1212:                             ;   in Loop: Header=BB299_1059 Depth=1
	s_or_b32 exec_lo, exec_lo, s20
	v_lshlrev_b32_e32 v0, 8, v0
	v_lshl_add_u32 v33, v33, 10, 0x2000
	v_lshlrev_b32_e32 v22, 7, v22
	v_and_b32_e32 v0, 0x8000, v0
	v_and_b32_e32 v33, 0xfc00, v33
	v_or3_b32 v22, v0, v33, v22
.LBB299_1213:                           ;   in Loop: Header=BB299_1059 Depth=1
	s_or_b32 exec_lo, exec_lo, s18
.LBB299_1214:                           ;   in Loop: Header=BB299_1059 Depth=1
	s_or_b32 exec_lo, exec_lo, s15
.LBB299_1215:                           ;   in Loop: Header=BB299_1059 Depth=1
	s_or_b32 exec_lo, exec_lo, s13
	s_mov_b32 s13, exec_lo
	v_cmpx_lt_u32_e32 0xffffff, v11
	s_cbranch_execz .LBB299_1223
; %bb.1216:                             ;   in Loop: Header=BB299_1059 Depth=1
	v_lshrrev_b32_e32 v0, 24, v11
	v_bfrev_b32_e32 v13, 1
	s_mov_b32 s15, exec_lo
	v_cmpx_ne_u32_e32 0x80, v0
	s_cbranch_execz .LBB299_1222
; %bb.1217:                             ;   in Loop: Header=BB299_1059 Depth=1
	v_and_b32_e32 v34, 0x7f, v0
	v_mov_b32_e32 v13, 0x7c010000
	s_mov_b32 s18, exec_lo
	v_cmpx_ne_u32_e32 0x7f, v34
	s_cbranch_execz .LBB299_1221
; %bb.1218:                             ;   in Loop: Header=BB299_1059 Depth=1
	v_and_b32_e32 v13, 7, v0
	v_lshrrev_b32_e32 v33, 3, v34
	s_mov_b32 s20, exec_lo
	v_cmpx_gt_u32_e32 8, v34
; %bb.1219:                             ;   in Loop: Header=BB299_1059 Depth=1
	v_ffbh_u32_e32 v13, v13
	v_min_u32_e32 v13, 32, v13
	v_subrev_nc_u32_e32 v33, 28, v13
	v_lshlrev_b64 v[36:37], v33, v[0:1]
	v_sub_nc_u32_e32 v33, 29, v13
	v_and_b32_e32 v13, 7, v36
; %bb.1220:                             ;   in Loop: Header=BB299_1059 Depth=1
	s_or_b32 exec_lo, exec_lo, s20
	v_lshlrev_b32_e32 v0, 8, v0
	v_lshl_add_u32 v33, v33, 10, 0x2000
	v_lshlrev_b32_e32 v13, 23, v13
	v_and_or_b32 v0, 0x8000, v0, v33
	v_lshl_or_b32 v13, v0, 16, v13
.LBB299_1221:                           ;   in Loop: Header=BB299_1059 Depth=1
	s_or_b32 exec_lo, exec_lo, s18
.LBB299_1222:                           ;   in Loop: Header=BB299_1059 Depth=1
	s_or_b32 exec_lo, exec_lo, s15
.LBB299_1223:                           ;   in Loop: Header=BB299_1059 Depth=1
	s_or_b32 exec_lo, exec_lo, s13
	v_mov_b32_e32 v0, v12
	v_cmp_ne_u16_sdwa s5, v12, v1 src0_sel:BYTE_0 src1_sel:DWORD
	v_mov_b32_e32 v33, 0
	v_mov_b32_e32 v34, 0
	s_and_saveexec_b32 s13, s5
	s_cbranch_execz .LBB299_1231
; %bb.1224:                             ;   in Loop: Header=BB299_1059 Depth=1
	v_cmp_ne_u16_sdwa s5, v12, v16 src0_sel:BYTE_0 src1_sel:DWORD
	v_mov_b32_e32 v34, 0x8000
	s_and_saveexec_b32 s15, s5
	s_cbranch_execz .LBB299_1230
; %bb.1225:                             ;   in Loop: Header=BB299_1059 Depth=1
	v_and_b32_e32 v37, 0x7f, v12
	v_mov_b32_e32 v34, 0x7c01
	s_mov_b32 s18, exec_lo
	v_cmpx_ne_u32_e32 0x7f, v37
	s_cbranch_execz .LBB299_1229
; %bb.1226:                             ;   in Loop: Header=BB299_1059 Depth=1
	v_and_b32_e32 v34, 7, v12
	v_lshrrev_b32_e32 v36, 3, v37
	s_mov_b32 s20, exec_lo
	v_cmpx_gt_u32_e32 8, v37
; %bb.1227:                             ;   in Loop: Header=BB299_1059 Depth=1
	v_ffbh_u32_e32 v34, v34
	v_min_u32_e32 v34, 32, v34
	v_subrev_nc_u32_e32 v36, 28, v34
	v_lshlrev_b64 v[86:87], v36, v[0:1]
	v_sub_nc_u32_e32 v36, 29, v34
	v_and_b32_e32 v34, 7, v86
; %bb.1228:                             ;   in Loop: Header=BB299_1059 Depth=1
	s_or_b32 exec_lo, exec_lo, s20
	v_lshlrev_b32_e32 v37, 8, v12
	v_lshl_add_u32 v36, v36, 10, 0x2000
	v_lshlrev_b32_e32 v34, 7, v34
	v_and_b32_e32 v37, 0x8000, v37
	v_and_b32_e32 v36, 0xfc00, v36
	v_or3_b32 v34, v37, v36, v34
.LBB299_1229:                           ;   in Loop: Header=BB299_1059 Depth=1
	s_or_b32 exec_lo, exec_lo, s18
.LBB299_1230:                           ;   in Loop: Header=BB299_1059 Depth=1
	s_or_b32 exec_lo, exec_lo, s15
.LBB299_1231:                           ;   in Loop: Header=BB299_1059 Depth=1
	s_or_b32 exec_lo, exec_lo, s13
	v_lshrrev_b16 v0, 8, v0
	v_mov_b32_e32 v36, 0
	s_mov_b32 s13, exec_lo
	v_cmpx_ne_u16_e32 0, v0
	s_cbranch_execz .LBB299_1239
; %bb.1232:                             ;   in Loop: Header=BB299_1059 Depth=1
	v_bfrev_b32_e32 v36, 1
	s_mov_b32 s15, exec_lo
	v_cmpx_ne_u16_e32 0x80, v0
	s_cbranch_execz .LBB299_1238
; %bb.1233:                             ;   in Loop: Header=BB299_1059 Depth=1
	v_and_b32_sdwa v86, v0, v17 dst_sel:DWORD dst_unused:UNUSED_PAD src0_sel:WORD_0 src1_sel:DWORD
	v_mov_b32_e32 v36, 0x7c010000
	s_mov_b32 s18, exec_lo
	v_cmpx_ne_u32_e32 0x7f, v86
	s_cbranch_execz .LBB299_1237
; %bb.1234:                             ;   in Loop: Header=BB299_1059 Depth=1
	v_and_b32_sdwa v36, v0, v38 dst_sel:DWORD dst_unused:UNUSED_PAD src0_sel:WORD_0 src1_sel:DWORD
	v_lshrrev_b32_e32 v37, 3, v86
	s_mov_b32 s20, exec_lo
	v_cmpx_gt_u32_e32 8, v86
; %bb.1235:                             ;   in Loop: Header=BB299_1059 Depth=1
	v_ffbh_u32_e32 v36, v36
	v_min_u32_e32 v86, 32, v36
	v_subrev_nc_u32_e32 v36, 28, v86
	v_lshlrev_b64 v[36:37], v36, v[0:1]
	v_sub_nc_u32_e32 v37, 29, v86
	v_and_b32_e32 v36, 7, v36
; %bb.1236:                             ;   in Loop: Header=BB299_1059 Depth=1
	s_or_b32 exec_lo, exec_lo, s20
	v_lshlrev_b32_sdwa v0, v39, v0 dst_sel:DWORD dst_unused:UNUSED_PAD src0_sel:DWORD src1_sel:WORD_0
	v_lshl_add_u32 v37, v37, 10, 0x2000
	v_lshlrev_b32_e32 v36, 23, v36
	v_and_or_b32 v0, 0x8000, v0, v37
	v_lshl_or_b32 v36, v0, 16, v36
.LBB299_1237:                           ;   in Loop: Header=BB299_1059 Depth=1
	s_or_b32 exec_lo, exec_lo, s18
.LBB299_1238:                           ;   in Loop: Header=BB299_1059 Depth=1
	s_or_b32 exec_lo, exec_lo, s15
.LBB299_1239:                           ;   in Loop: Header=BB299_1059 Depth=1
	s_or_b32 exec_lo, exec_lo, s13
	v_lshrrev_b32_e32 v0, 16, v12
	v_cmp_ne_u16_sdwa s5, v0, v1 src0_sel:BYTE_0 src1_sel:DWORD
	s_and_saveexec_b32 s13, s5
	s_cbranch_execz .LBB299_1247
; %bb.1240:                             ;   in Loop: Header=BB299_1059 Depth=1
	v_cmp_ne_u16_sdwa s5, v0, v16 src0_sel:BYTE_0 src1_sel:DWORD
	v_mov_b32_e32 v33, 0x8000
	s_and_saveexec_b32 s15, s5
	s_cbranch_execz .LBB299_1246
; %bb.1241:                             ;   in Loop: Header=BB299_1059 Depth=1
	v_bfe_u32 v86, v12, 16, 7
	v_mov_b32_e32 v33, 0x7c01
	s_mov_b32 s18, exec_lo
	v_cmpx_ne_u32_e32 0x7f, v86
	s_cbranch_execz .LBB299_1245
; %bb.1242:                             ;   in Loop: Header=BB299_1059 Depth=1
	v_and_b32_e32 v33, 7, v0
	v_lshrrev_b32_e32 v37, 3, v86
	s_mov_b32 s20, exec_lo
	v_cmpx_gt_u32_e32 8, v86
; %bb.1243:                             ;   in Loop: Header=BB299_1059 Depth=1
	v_ffbh_u32_e32 v33, v33
	v_min_u32_e32 v33, 32, v33
	v_subrev_nc_u32_e32 v37, 28, v33
	v_lshlrev_b64 v[86:87], v37, v[0:1]
	v_sub_nc_u32_e32 v37, 29, v33
	v_and_b32_e32 v33, 7, v86
; %bb.1244:                             ;   in Loop: Header=BB299_1059 Depth=1
	s_or_b32 exec_lo, exec_lo, s20
	v_lshlrev_b32_e32 v0, 8, v0
	v_lshl_add_u32 v37, v37, 10, 0x2000
	v_lshlrev_b32_e32 v33, 7, v33
	v_and_b32_e32 v0, 0x8000, v0
	v_and_b32_e32 v37, 0xfc00, v37
	v_or3_b32 v33, v0, v37, v33
.LBB299_1245:                           ;   in Loop: Header=BB299_1059 Depth=1
	s_or_b32 exec_lo, exec_lo, s18
.LBB299_1246:                           ;   in Loop: Header=BB299_1059 Depth=1
	s_or_b32 exec_lo, exec_lo, s15
.LBB299_1247:                           ;   in Loop: Header=BB299_1059 Depth=1
	s_or_b32 exec_lo, exec_lo, s13
	v_cmp_lt_u64_e64 s5, s[8:9], v[11:12]
	v_mov_b32_e32 v11, 0
	s_and_saveexec_b32 s13, s5
	s_cbranch_execz .LBB299_1255
; %bb.1248:                             ;   in Loop: Header=BB299_1059 Depth=1
	v_lshrrev_b32_e32 v0, 24, v12
	v_bfrev_b32_e32 v11, 1
	s_mov_b32 s15, exec_lo
	v_cmpx_ne_u32_e32 0x80, v0
	s_cbranch_execz .LBB299_1254
; %bb.1249:                             ;   in Loop: Header=BB299_1059 Depth=1
	v_and_b32_e32 v37, 0x7f, v0
	v_mov_b32_e32 v11, 0x7c010000
	s_mov_b32 s18, exec_lo
	v_cmpx_ne_u32_e32 0x7f, v37
	s_cbranch_execz .LBB299_1253
; %bb.1250:                             ;   in Loop: Header=BB299_1059 Depth=1
	v_and_b32_e32 v11, 7, v0
	v_lshrrev_b32_e32 v12, 3, v37
	s_mov_b32 s20, exec_lo
	v_cmpx_gt_u32_e32 8, v37
; %bb.1251:                             ;   in Loop: Header=BB299_1059 Depth=1
	v_ffbh_u32_e32 v11, v11
	v_min_u32_e32 v37, 32, v11
	v_subrev_nc_u32_e32 v11, 28, v37
	v_lshlrev_b64 v[11:12], v11, v[0:1]
	v_sub_nc_u32_e32 v12, 29, v37
	v_and_b32_e32 v11, 7, v11
; %bb.1252:                             ;   in Loop: Header=BB299_1059 Depth=1
	s_or_b32 exec_lo, exec_lo, s20
	v_lshlrev_b32_e32 v0, 8, v0
	v_lshl_add_u32 v12, v12, 10, 0x2000
	v_lshlrev_b32_e32 v11, 23, v11
	v_and_or_b32 v0, 0x8000, v0, v12
	v_lshl_or_b32 v11, v0, 16, v11
.LBB299_1253:                           ;   in Loop: Header=BB299_1059 Depth=1
	s_or_b32 exec_lo, exec_lo, s18
.LBB299_1254:                           ;   in Loop: Header=BB299_1059 Depth=1
	s_or_b32 exec_lo, exec_lo, s15
.LBB299_1255:                           ;   in Loop: Header=BB299_1059 Depth=1
	s_or_b32 exec_lo, exec_lo, s13
	v_or_b32_e32 v0, v13, v22
	s_waitcnt vmcnt(0) lgkmcnt(0)
	v_fma_mixlo_f16 v12, v4, v13, 0 op_sel:[0,1,0] op_sel_hi:[0,1,0]
	v_or_b32_e32 v6, v5, v6
	v_fma_mixlo_f16 v5, v4, v5, 0 op_sel:[0,1,0] op_sel_hi:[0,1,0]
	v_or_b32_e32 v13, v36, v34
	v_fma_mixlo_f16 v22, v4, v0, 0 op_sel_hi:[0,1,0]
	v_or_b32_e32 v33, v11, v33
	v_lshlrev_b32_e32 v0, 16, v12
	v_lshlrev_b32_e32 v12, 16, v5
	v_fma_mixlo_f16 v6, v4, v6, 0 op_sel_hi:[0,1,0]
	v_and_b32_e32 v5, 0xffff, v22
	v_fma_mixlo_f16 v22, v4, v36, 0 op_sel:[0,1,0] op_sel_hi:[0,1,0]
	v_fma_mixlo_f16 v13, v4, v13, 0 op_sel_hi:[0,1,0]
	v_fma_mixlo_f16 v11, v4, v11, 0 op_sel:[0,1,0] op_sel_hi:[0,1,0]
	v_fma_mixlo_f16 v33, v4, v33, 0 op_sel_hi:[0,1,0]
	v_and_b32_e32 v37, 0xffff, v6
	v_lshlrev_b32_e32 v6, 16, v22
	v_and_b32_e32 v22, 0xffff, v13
	v_lshlrev_b32_e32 v4, 16, v11
	v_and_b32_e32 v11, 0xffff, v33
	v_or_b32_e32 v13, v0, v5
	v_or_b32_e32 v36, v12, v37
	;; [unrolled: 1-line block ×4, first 2 shown]
	s_and_saveexec_b32 s13, vcc_lo
	s_cbranch_execz .LBB299_1257
; %bb.1256:                             ;   in Loop: Header=BB299_1059 Depth=1
	v_cmp_lt_i32_e64 s5, v48, v35
	v_cndmask_b32_e64 v13, 0, v37, s5
	v_cmp_lt_i32_e64 s5, v83, v35
	v_cndmask_b32_e64 v12, 0, v12, s5
	v_cmp_lt_i32_e64 s5, v82, v35
	v_or_b32_e32 v36, v13, v12
	v_cndmask_b32_e64 v5, 0, v5, s5
	v_cmp_lt_i32_e64 s5, v81, v35
	v_cndmask_b32_e64 v0, 0, v0, s5
	v_cmp_lt_i32_e64 s5, v80, v35
	v_or_b32_e32 v13, v5, v0
	;; [unrolled: 5-line block ×3, first 2 shown]
	v_cndmask_b32_e64 v11, 0, v11, s5
	v_cmp_lt_i32_e64 s5, v14, v35
	v_cndmask_b32_e64 v4, 0, v4, s5
	v_or_b32_e32 v33, v11, v4
.LBB299_1257:                           ;   in Loop: Header=BB299_1059 Depth=1
	s_or_b32 exec_lo, exec_lo, s13
	;;#ASMSTART
	v_pk_mul_f16 v0, v68, v36;

	;;#ASMEND
	;;#ASMSTART
	v_pk_mul_f16 v4, v66, v13;

	;;#ASMEND
	;; [unrolled: 4-line block ×4, first 2 shown]
	;;#ASMSTART
	v_pk_add_f16 v0, v0, v4;

	;;#ASMEND
	;;#ASMSTART
	v_pk_add_f16 v0, v0, v5;

	;;#ASMEND
	;; [unrolled: 4-line block ×3, first 2 shown]
	v_and_b32_e32 v4, 0xffff, v0
	v_lshrrev_b32_e32 v0, 16, v0
	;;#ASMSTART
	v_cvt_f32_f16 v86, v4;
	;;#ASMEND
	;;#ASMSTART
	v_cvt_f32_f16 v87, v0;
	;;#ASMEND
	flat_load_dwordx2 v[11:12], v[9:10] offset:768
	flat_load_dword v4, v[26:27]
	v_mov_b32_e32 v5, 0
	v_mov_b32_e32 v6, 0
	s_waitcnt vmcnt(1) lgkmcnt(1)
	v_cmp_ne_u16_sdwa s5, v11, v1 src0_sel:BYTE_0 src1_sel:DWORD
	s_and_saveexec_b32 s13, s5
	s_cbranch_execz .LBB299_1265
; %bb.1258:                             ;   in Loop: Header=BB299_1059 Depth=1
	v_cmp_ne_u16_sdwa s5, v11, v16 src0_sel:BYTE_0 src1_sel:DWORD
	v_mov_b32_e32 v6, 0x8000
	s_and_saveexec_b32 s15, s5
	s_cbranch_execz .LBB299_1264
; %bb.1259:                             ;   in Loop: Header=BB299_1059 Depth=1
	v_and_b32_e32 v13, 0x7f, v11
	v_mov_b32_e32 v6, 0x7c01
	s_mov_b32 s18, exec_lo
	v_cmpx_ne_u32_e32 0x7f, v13
	s_cbranch_execz .LBB299_1263
; %bb.1260:                             ;   in Loop: Header=BB299_1059 Depth=1
	v_and_b32_e32 v0, 7, v11
	v_lshrrev_b32_e32 v6, 3, v13
	s_mov_b32 s20, exec_lo
	v_cmpx_gt_u32_e32 8, v13
; %bb.1261:                             ;   in Loop: Header=BB299_1059 Depth=1
	v_ffbh_u32_e32 v0, v0
	v_min_u32_e32 v0, 32, v0
	v_subrev_nc_u32_e32 v6, 28, v0
	v_lshlrev_b64 v[33:34], v6, v[11:12]
	v_sub_nc_u32_e32 v6, 29, v0
	v_and_b32_e32 v0, 7, v33
; %bb.1262:                             ;   in Loop: Header=BB299_1059 Depth=1
	s_or_b32 exec_lo, exec_lo, s20
	v_lshlrev_b32_e32 v13, 8, v11
	v_lshl_add_u32 v6, v6, 10, 0x2000
	v_lshlrev_b32_e32 v0, 7, v0
	v_and_b32_e32 v13, 0x8000, v13
	v_and_b32_e32 v6, 0xfc00, v6
	v_or3_b32 v6, v13, v6, v0
.LBB299_1263:                           ;   in Loop: Header=BB299_1059 Depth=1
	s_or_b32 exec_lo, exec_lo, s18
.LBB299_1264:                           ;   in Loop: Header=BB299_1059 Depth=1
	s_or_b32 exec_lo, exec_lo, s15
.LBB299_1265:                           ;   in Loop: Header=BB299_1059 Depth=1
	s_or_b32 exec_lo, exec_lo, s13
	v_lshrrev_b16 v0, 8, v11
	s_mov_b32 s13, exec_lo
	v_cmpx_ne_u16_e32 0, v0
	s_cbranch_execz .LBB299_1273
; %bb.1266:                             ;   in Loop: Header=BB299_1059 Depth=1
	v_bfrev_b32_e32 v5, 1
	s_mov_b32 s15, exec_lo
	v_cmpx_ne_u16_e32 0x80, v0
	s_cbranch_execz .LBB299_1272
; %bb.1267:                             ;   in Loop: Header=BB299_1059 Depth=1
	v_and_b32_sdwa v22, v0, v17 dst_sel:DWORD dst_unused:UNUSED_PAD src0_sel:WORD_0 src1_sel:DWORD
	v_mov_b32_e32 v5, 0x7c010000
	s_mov_b32 s18, exec_lo
	v_cmpx_ne_u32_e32 0x7f, v22
	s_cbranch_execz .LBB299_1271
; %bb.1268:                             ;   in Loop: Header=BB299_1059 Depth=1
	v_and_b32_sdwa v5, v0, v38 dst_sel:DWORD dst_unused:UNUSED_PAD src0_sel:WORD_0 src1_sel:DWORD
	v_lshrrev_b32_e32 v13, 3, v22
	s_mov_b32 s20, exec_lo
	v_cmpx_gt_u32_e32 8, v22
; %bb.1269:                             ;   in Loop: Header=BB299_1059 Depth=1
	v_ffbh_u32_e32 v5, v5
	v_min_u32_e32 v5, 32, v5
	v_subrev_nc_u32_e32 v13, 28, v5
	v_lshlrev_b64 v[33:34], v13, v[0:1]
	v_sub_nc_u32_e32 v13, 29, v5
	v_and_b32_e32 v5, 7, v33
; %bb.1270:                             ;   in Loop: Header=BB299_1059 Depth=1
	s_or_b32 exec_lo, exec_lo, s20
	v_lshlrev_b32_sdwa v0, v39, v0 dst_sel:DWORD dst_unused:UNUSED_PAD src0_sel:DWORD src1_sel:WORD_0
	v_lshl_add_u32 v13, v13, 10, 0x2000
	v_lshlrev_b32_e32 v5, 23, v5
	v_and_or_b32 v0, 0x8000, v0, v13
	v_lshl_or_b32 v5, v0, 16, v5
.LBB299_1271:                           ;   in Loop: Header=BB299_1059 Depth=1
	s_or_b32 exec_lo, exec_lo, s18
.LBB299_1272:                           ;   in Loop: Header=BB299_1059 Depth=1
	s_or_b32 exec_lo, exec_lo, s15
.LBB299_1273:                           ;   in Loop: Header=BB299_1059 Depth=1
	s_or_b32 exec_lo, exec_lo, s13
	v_lshrrev_b32_e32 v0, 16, v11
	v_mov_b32_e32 v13, 0
	v_mov_b32_e32 v22, 0
	v_cmp_ne_u16_sdwa s5, v0, v1 src0_sel:BYTE_0 src1_sel:DWORD
	s_and_saveexec_b32 s13, s5
	s_cbranch_execz .LBB299_1281
; %bb.1274:                             ;   in Loop: Header=BB299_1059 Depth=1
	v_cmp_ne_u16_sdwa s5, v0, v16 src0_sel:BYTE_0 src1_sel:DWORD
	v_mov_b32_e32 v22, 0x8000
	s_and_saveexec_b32 s15, s5
	s_cbranch_execz .LBB299_1280
; %bb.1275:                             ;   in Loop: Header=BB299_1059 Depth=1
	v_bfe_u32 v34, v11, 16, 7
	v_mov_b32_e32 v22, 0x7c01
	s_mov_b32 s18, exec_lo
	v_cmpx_ne_u32_e32 0x7f, v34
	s_cbranch_execz .LBB299_1279
; %bb.1276:                             ;   in Loop: Header=BB299_1059 Depth=1
	v_and_b32_e32 v22, 7, v0
	v_lshrrev_b32_e32 v33, 3, v34
	s_mov_b32 s20, exec_lo
	v_cmpx_gt_u32_e32 8, v34
; %bb.1277:                             ;   in Loop: Header=BB299_1059 Depth=1
	v_ffbh_u32_e32 v22, v22
	v_min_u32_e32 v22, 32, v22
	v_subrev_nc_u32_e32 v33, 28, v22
	v_lshlrev_b64 v[36:37], v33, v[0:1]
	v_sub_nc_u32_e32 v33, 29, v22
	v_and_b32_e32 v22, 7, v36
; %bb.1278:                             ;   in Loop: Header=BB299_1059 Depth=1
	s_or_b32 exec_lo, exec_lo, s20
	v_lshlrev_b32_e32 v0, 8, v0
	v_lshl_add_u32 v33, v33, 10, 0x2000
	v_lshlrev_b32_e32 v22, 7, v22
	v_and_b32_e32 v0, 0x8000, v0
	v_and_b32_e32 v33, 0xfc00, v33
	v_or3_b32 v22, v0, v33, v22
.LBB299_1279:                           ;   in Loop: Header=BB299_1059 Depth=1
	s_or_b32 exec_lo, exec_lo, s18
.LBB299_1280:                           ;   in Loop: Header=BB299_1059 Depth=1
	s_or_b32 exec_lo, exec_lo, s15
.LBB299_1281:                           ;   in Loop: Header=BB299_1059 Depth=1
	s_or_b32 exec_lo, exec_lo, s13
	s_mov_b32 s13, exec_lo
	v_cmpx_lt_u32_e32 0xffffff, v11
	s_cbranch_execz .LBB299_1289
; %bb.1282:                             ;   in Loop: Header=BB299_1059 Depth=1
	v_lshrrev_b32_e32 v0, 24, v11
	v_bfrev_b32_e32 v13, 1
	s_mov_b32 s15, exec_lo
	v_cmpx_ne_u32_e32 0x80, v0
	s_cbranch_execz .LBB299_1288
; %bb.1283:                             ;   in Loop: Header=BB299_1059 Depth=1
	v_and_b32_e32 v34, 0x7f, v0
	v_mov_b32_e32 v13, 0x7c010000
	s_mov_b32 s18, exec_lo
	v_cmpx_ne_u32_e32 0x7f, v34
	s_cbranch_execz .LBB299_1287
; %bb.1284:                             ;   in Loop: Header=BB299_1059 Depth=1
	v_and_b32_e32 v13, 7, v0
	v_lshrrev_b32_e32 v33, 3, v34
	s_mov_b32 s20, exec_lo
	v_cmpx_gt_u32_e32 8, v34
; %bb.1285:                             ;   in Loop: Header=BB299_1059 Depth=1
	v_ffbh_u32_e32 v13, v13
	v_min_u32_e32 v13, 32, v13
	v_subrev_nc_u32_e32 v33, 28, v13
	v_lshlrev_b64 v[36:37], v33, v[0:1]
	v_sub_nc_u32_e32 v33, 29, v13
	v_and_b32_e32 v13, 7, v36
; %bb.1286:                             ;   in Loop: Header=BB299_1059 Depth=1
	s_or_b32 exec_lo, exec_lo, s20
	v_lshlrev_b32_e32 v0, 8, v0
	v_lshl_add_u32 v33, v33, 10, 0x2000
	v_lshlrev_b32_e32 v13, 23, v13
	v_and_or_b32 v0, 0x8000, v0, v33
	v_lshl_or_b32 v13, v0, 16, v13
.LBB299_1287:                           ;   in Loop: Header=BB299_1059 Depth=1
	s_or_b32 exec_lo, exec_lo, s18
.LBB299_1288:                           ;   in Loop: Header=BB299_1059 Depth=1
	s_or_b32 exec_lo, exec_lo, s15
.LBB299_1289:                           ;   in Loop: Header=BB299_1059 Depth=1
	s_or_b32 exec_lo, exec_lo, s13
	v_mov_b32_e32 v0, v12
	v_cmp_ne_u16_sdwa s5, v12, v1 src0_sel:BYTE_0 src1_sel:DWORD
	v_mov_b32_e32 v33, 0
	v_mov_b32_e32 v34, 0
	s_and_saveexec_b32 s13, s5
	s_cbranch_execz .LBB299_1297
; %bb.1290:                             ;   in Loop: Header=BB299_1059 Depth=1
	v_cmp_ne_u16_sdwa s5, v12, v16 src0_sel:BYTE_0 src1_sel:DWORD
	v_mov_b32_e32 v34, 0x8000
	s_and_saveexec_b32 s15, s5
	s_cbranch_execz .LBB299_1296
; %bb.1291:                             ;   in Loop: Header=BB299_1059 Depth=1
	v_and_b32_e32 v37, 0x7f, v12
	v_mov_b32_e32 v34, 0x7c01
	s_mov_b32 s18, exec_lo
	v_cmpx_ne_u32_e32 0x7f, v37
	s_cbranch_execz .LBB299_1295
; %bb.1292:                             ;   in Loop: Header=BB299_1059 Depth=1
	v_and_b32_e32 v34, 7, v12
	v_lshrrev_b32_e32 v36, 3, v37
	s_mov_b32 s20, exec_lo
	v_cmpx_gt_u32_e32 8, v37
; %bb.1293:                             ;   in Loop: Header=BB299_1059 Depth=1
	v_ffbh_u32_e32 v34, v34
	v_min_u32_e32 v34, 32, v34
	v_subrev_nc_u32_e32 v36, 28, v34
	v_lshlrev_b64 v[96:97], v36, v[0:1]
	v_sub_nc_u32_e32 v36, 29, v34
	v_and_b32_e32 v34, 7, v96
; %bb.1294:                             ;   in Loop: Header=BB299_1059 Depth=1
	s_or_b32 exec_lo, exec_lo, s20
	v_lshlrev_b32_e32 v37, 8, v12
	v_lshl_add_u32 v36, v36, 10, 0x2000
	v_lshlrev_b32_e32 v34, 7, v34
	v_and_b32_e32 v37, 0x8000, v37
	v_and_b32_e32 v36, 0xfc00, v36
	v_or3_b32 v34, v37, v36, v34
.LBB299_1295:                           ;   in Loop: Header=BB299_1059 Depth=1
	s_or_b32 exec_lo, exec_lo, s18
.LBB299_1296:                           ;   in Loop: Header=BB299_1059 Depth=1
	s_or_b32 exec_lo, exec_lo, s15
.LBB299_1297:                           ;   in Loop: Header=BB299_1059 Depth=1
	s_or_b32 exec_lo, exec_lo, s13
	v_lshrrev_b16 v0, 8, v0
	v_mov_b32_e32 v36, 0
	s_mov_b32 s13, exec_lo
	v_cmpx_ne_u16_e32 0, v0
	s_cbranch_execz .LBB299_1305
; %bb.1298:                             ;   in Loop: Header=BB299_1059 Depth=1
	v_bfrev_b32_e32 v36, 1
	s_mov_b32 s15, exec_lo
	v_cmpx_ne_u16_e32 0x80, v0
	s_cbranch_execz .LBB299_1304
; %bb.1299:                             ;   in Loop: Header=BB299_1059 Depth=1
	v_and_b32_sdwa v96, v0, v17 dst_sel:DWORD dst_unused:UNUSED_PAD src0_sel:WORD_0 src1_sel:DWORD
	v_mov_b32_e32 v36, 0x7c010000
	s_mov_b32 s18, exec_lo
	v_cmpx_ne_u32_e32 0x7f, v96
	s_cbranch_execz .LBB299_1303
; %bb.1300:                             ;   in Loop: Header=BB299_1059 Depth=1
	v_and_b32_sdwa v36, v0, v38 dst_sel:DWORD dst_unused:UNUSED_PAD src0_sel:WORD_0 src1_sel:DWORD
	v_lshrrev_b32_e32 v37, 3, v96
	s_mov_b32 s20, exec_lo
	v_cmpx_gt_u32_e32 8, v96
; %bb.1301:                             ;   in Loop: Header=BB299_1059 Depth=1
	v_ffbh_u32_e32 v36, v36
	v_min_u32_e32 v96, 32, v36
	v_subrev_nc_u32_e32 v36, 28, v96
	v_lshlrev_b64 v[36:37], v36, v[0:1]
	v_sub_nc_u32_e32 v37, 29, v96
	v_and_b32_e32 v36, 7, v36
; %bb.1302:                             ;   in Loop: Header=BB299_1059 Depth=1
	s_or_b32 exec_lo, exec_lo, s20
	v_lshlrev_b32_sdwa v0, v39, v0 dst_sel:DWORD dst_unused:UNUSED_PAD src0_sel:DWORD src1_sel:WORD_0
	v_lshl_add_u32 v37, v37, 10, 0x2000
	v_lshlrev_b32_e32 v36, 23, v36
	v_and_or_b32 v0, 0x8000, v0, v37
	v_lshl_or_b32 v36, v0, 16, v36
.LBB299_1303:                           ;   in Loop: Header=BB299_1059 Depth=1
	s_or_b32 exec_lo, exec_lo, s18
.LBB299_1304:                           ;   in Loop: Header=BB299_1059 Depth=1
	s_or_b32 exec_lo, exec_lo, s15
.LBB299_1305:                           ;   in Loop: Header=BB299_1059 Depth=1
	s_or_b32 exec_lo, exec_lo, s13
	v_lshrrev_b32_e32 v0, 16, v12
	v_cmp_ne_u16_sdwa s5, v0, v1 src0_sel:BYTE_0 src1_sel:DWORD
	s_and_saveexec_b32 s13, s5
	s_cbranch_execz .LBB299_1313
; %bb.1306:                             ;   in Loop: Header=BB299_1059 Depth=1
	v_cmp_ne_u16_sdwa s5, v0, v16 src0_sel:BYTE_0 src1_sel:DWORD
	v_mov_b32_e32 v33, 0x8000
	s_and_saveexec_b32 s15, s5
	s_cbranch_execz .LBB299_1312
; %bb.1307:                             ;   in Loop: Header=BB299_1059 Depth=1
	v_bfe_u32 v96, v12, 16, 7
	v_mov_b32_e32 v33, 0x7c01
	s_mov_b32 s18, exec_lo
	v_cmpx_ne_u32_e32 0x7f, v96
	s_cbranch_execz .LBB299_1311
; %bb.1308:                             ;   in Loop: Header=BB299_1059 Depth=1
	v_and_b32_e32 v33, 7, v0
	v_lshrrev_b32_e32 v37, 3, v96
	s_mov_b32 s20, exec_lo
	v_cmpx_gt_u32_e32 8, v96
; %bb.1309:                             ;   in Loop: Header=BB299_1059 Depth=1
	v_ffbh_u32_e32 v33, v33
	v_min_u32_e32 v33, 32, v33
	v_subrev_nc_u32_e32 v37, 28, v33
	v_lshlrev_b64 v[96:97], v37, v[0:1]
	v_sub_nc_u32_e32 v37, 29, v33
	v_and_b32_e32 v33, 7, v96
; %bb.1310:                             ;   in Loop: Header=BB299_1059 Depth=1
	s_or_b32 exec_lo, exec_lo, s20
	v_lshlrev_b32_e32 v0, 8, v0
	v_lshl_add_u32 v37, v37, 10, 0x2000
	v_lshlrev_b32_e32 v33, 7, v33
	v_and_b32_e32 v0, 0x8000, v0
	v_and_b32_e32 v37, 0xfc00, v37
	v_or3_b32 v33, v0, v37, v33
.LBB299_1311:                           ;   in Loop: Header=BB299_1059 Depth=1
	s_or_b32 exec_lo, exec_lo, s18
.LBB299_1312:                           ;   in Loop: Header=BB299_1059 Depth=1
	s_or_b32 exec_lo, exec_lo, s15
.LBB299_1313:                           ;   in Loop: Header=BB299_1059 Depth=1
	s_or_b32 exec_lo, exec_lo, s13
	v_cmp_lt_u64_e64 s5, s[8:9], v[11:12]
	v_mov_b32_e32 v11, 0
	s_and_saveexec_b32 s13, s5
	s_cbranch_execz .LBB299_1321
; %bb.1314:                             ;   in Loop: Header=BB299_1059 Depth=1
	v_lshrrev_b32_e32 v0, 24, v12
	v_bfrev_b32_e32 v11, 1
	s_mov_b32 s15, exec_lo
	v_cmpx_ne_u32_e32 0x80, v0
	s_cbranch_execz .LBB299_1320
; %bb.1315:                             ;   in Loop: Header=BB299_1059 Depth=1
	v_and_b32_e32 v37, 0x7f, v0
	v_mov_b32_e32 v11, 0x7c010000
	s_mov_b32 s18, exec_lo
	v_cmpx_ne_u32_e32 0x7f, v37
	s_cbranch_execz .LBB299_1319
; %bb.1316:                             ;   in Loop: Header=BB299_1059 Depth=1
	v_and_b32_e32 v11, 7, v0
	v_lshrrev_b32_e32 v12, 3, v37
	s_mov_b32 s20, exec_lo
	v_cmpx_gt_u32_e32 8, v37
; %bb.1317:                             ;   in Loop: Header=BB299_1059 Depth=1
	v_ffbh_u32_e32 v11, v11
	v_min_u32_e32 v37, 32, v11
	v_subrev_nc_u32_e32 v11, 28, v37
	v_lshlrev_b64 v[11:12], v11, v[0:1]
	v_sub_nc_u32_e32 v12, 29, v37
	v_and_b32_e32 v11, 7, v11
; %bb.1318:                             ;   in Loop: Header=BB299_1059 Depth=1
	s_or_b32 exec_lo, exec_lo, s20
	v_lshlrev_b32_e32 v0, 8, v0
	v_lshl_add_u32 v12, v12, 10, 0x2000
	v_lshlrev_b32_e32 v11, 23, v11
	v_and_or_b32 v0, 0x8000, v0, v12
	v_lshl_or_b32 v11, v0, 16, v11
.LBB299_1319:                           ;   in Loop: Header=BB299_1059 Depth=1
	s_or_b32 exec_lo, exec_lo, s18
.LBB299_1320:                           ;   in Loop: Header=BB299_1059 Depth=1
	s_or_b32 exec_lo, exec_lo, s15
.LBB299_1321:                           ;   in Loop: Header=BB299_1059 Depth=1
	s_or_b32 exec_lo, exec_lo, s13
	v_or_b32_e32 v0, v13, v22
	s_waitcnt vmcnt(0) lgkmcnt(0)
	v_fma_mixlo_f16 v12, v4, v13, 0 op_sel:[0,1,0] op_sel_hi:[0,1,0]
	v_or_b32_e32 v6, v5, v6
	v_fma_mixlo_f16 v5, v4, v5, 0 op_sel:[0,1,0] op_sel_hi:[0,1,0]
	v_or_b32_e32 v13, v36, v34
	v_fma_mixlo_f16 v22, v4, v0, 0 op_sel_hi:[0,1,0]
	v_or_b32_e32 v33, v11, v33
	v_lshlrev_b32_e32 v0, 16, v12
	v_lshlrev_b32_e32 v12, 16, v5
	v_fma_mixlo_f16 v6, v4, v6, 0 op_sel_hi:[0,1,0]
	v_and_b32_e32 v5, 0xffff, v22
	v_fma_mixlo_f16 v22, v4, v36, 0 op_sel:[0,1,0] op_sel_hi:[0,1,0]
	v_fma_mixlo_f16 v13, v4, v13, 0 op_sel_hi:[0,1,0]
	v_fma_mixlo_f16 v11, v4, v11, 0 op_sel:[0,1,0] op_sel_hi:[0,1,0]
	v_fma_mixlo_f16 v33, v4, v33, 0 op_sel_hi:[0,1,0]
	v_and_b32_e32 v37, 0xffff, v6
	v_lshlrev_b32_e32 v6, 16, v22
	v_and_b32_e32 v22, 0xffff, v13
	v_lshlrev_b32_e32 v4, 16, v11
	v_and_b32_e32 v11, 0xffff, v33
	v_or_b32_e32 v13, v0, v5
	v_or_b32_e32 v36, v12, v37
	;; [unrolled: 1-line block ×4, first 2 shown]
	s_and_saveexec_b32 s13, vcc_lo
	s_cbranch_execz .LBB299_1323
; %bb.1322:                             ;   in Loop: Header=BB299_1059 Depth=1
	v_cmp_lt_i32_e64 s5, v48, v35
	v_cndmask_b32_e64 v13, 0, v37, s5
	v_cmp_lt_i32_e64 s5, v83, v35
	v_cndmask_b32_e64 v12, 0, v12, s5
	v_cmp_lt_i32_e64 s5, v82, v35
	v_or_b32_e32 v36, v13, v12
	v_cndmask_b32_e64 v5, 0, v5, s5
	v_cmp_lt_i32_e64 s5, v81, v35
	v_cndmask_b32_e64 v0, 0, v0, s5
	v_cmp_lt_i32_e64 s5, v80, v35
	v_or_b32_e32 v13, v5, v0
	;; [unrolled: 5-line block ×3, first 2 shown]
	v_cndmask_b32_e64 v11, 0, v11, s5
	v_cmp_lt_i32_e64 s5, v14, v35
	v_cndmask_b32_e64 v4, 0, v4, s5
	v_or_b32_e32 v33, v11, v4
.LBB299_1323:                           ;   in Loop: Header=BB299_1059 Depth=1
	s_or_b32 exec_lo, exec_lo, s13
	;;#ASMSTART
	v_pk_mul_f16 v0, v68, v36;

	;;#ASMEND
	;;#ASMSTART
	v_pk_mul_f16 v4, v66, v13;

	;;#ASMEND
	;; [unrolled: 4-line block ×4, first 2 shown]
	;;#ASMSTART
	v_pk_add_f16 v0, v0, v4;

	;;#ASMEND
	;;#ASMSTART
	v_pk_add_f16 v0, v0, v5;

	;;#ASMEND
	;; [unrolled: 4-line block ×3, first 2 shown]
	v_and_b32_e32 v4, 0xffff, v0
	v_lshrrev_b32_e32 v0, 16, v0
	;;#ASMSTART
	v_cvt_f32_f16 v96, v4;
	;;#ASMEND
	;;#ASMSTART
	v_cvt_f32_f16 v97, v0;
	;;#ASMEND
	flat_load_dwordx2 v[11:12], v[9:10] offset:1024
	flat_load_dword v4, v[26:27]
	v_mov_b32_e32 v5, 0
	v_mov_b32_e32 v6, 0
	s_waitcnt vmcnt(1) lgkmcnt(1)
	v_cmp_ne_u16_sdwa s5, v11, v1 src0_sel:BYTE_0 src1_sel:DWORD
	s_and_saveexec_b32 s13, s5
	s_cbranch_execz .LBB299_1331
; %bb.1324:                             ;   in Loop: Header=BB299_1059 Depth=1
	v_cmp_ne_u16_sdwa s5, v11, v16 src0_sel:BYTE_0 src1_sel:DWORD
	v_mov_b32_e32 v6, 0x8000
	s_and_saveexec_b32 s15, s5
	s_cbranch_execz .LBB299_1330
; %bb.1325:                             ;   in Loop: Header=BB299_1059 Depth=1
	v_and_b32_e32 v13, 0x7f, v11
	v_mov_b32_e32 v6, 0x7c01
	s_mov_b32 s18, exec_lo
	v_cmpx_ne_u32_e32 0x7f, v13
	s_cbranch_execz .LBB299_1329
; %bb.1326:                             ;   in Loop: Header=BB299_1059 Depth=1
	v_and_b32_e32 v0, 7, v11
	v_lshrrev_b32_e32 v6, 3, v13
	s_mov_b32 s20, exec_lo
	v_cmpx_gt_u32_e32 8, v13
; %bb.1327:                             ;   in Loop: Header=BB299_1059 Depth=1
	v_ffbh_u32_e32 v0, v0
	v_min_u32_e32 v0, 32, v0
	v_subrev_nc_u32_e32 v6, 28, v0
	v_lshlrev_b64 v[33:34], v6, v[11:12]
	v_sub_nc_u32_e32 v6, 29, v0
	v_and_b32_e32 v0, 7, v33
; %bb.1328:                             ;   in Loop: Header=BB299_1059 Depth=1
	s_or_b32 exec_lo, exec_lo, s20
	v_lshlrev_b32_e32 v13, 8, v11
	v_lshl_add_u32 v6, v6, 10, 0x2000
	v_lshlrev_b32_e32 v0, 7, v0
	v_and_b32_e32 v13, 0x8000, v13
	v_and_b32_e32 v6, 0xfc00, v6
	v_or3_b32 v6, v13, v6, v0
.LBB299_1329:                           ;   in Loop: Header=BB299_1059 Depth=1
	s_or_b32 exec_lo, exec_lo, s18
.LBB299_1330:                           ;   in Loop: Header=BB299_1059 Depth=1
	s_or_b32 exec_lo, exec_lo, s15
.LBB299_1331:                           ;   in Loop: Header=BB299_1059 Depth=1
	s_or_b32 exec_lo, exec_lo, s13
	v_lshrrev_b16 v0, 8, v11
	s_mov_b32 s13, exec_lo
	v_cmpx_ne_u16_e32 0, v0
	s_cbranch_execz .LBB299_1339
; %bb.1332:                             ;   in Loop: Header=BB299_1059 Depth=1
	v_bfrev_b32_e32 v5, 1
	s_mov_b32 s15, exec_lo
	v_cmpx_ne_u16_e32 0x80, v0
	s_cbranch_execz .LBB299_1338
; %bb.1333:                             ;   in Loop: Header=BB299_1059 Depth=1
	v_and_b32_sdwa v22, v0, v17 dst_sel:DWORD dst_unused:UNUSED_PAD src0_sel:WORD_0 src1_sel:DWORD
	v_mov_b32_e32 v5, 0x7c010000
	s_mov_b32 s18, exec_lo
	v_cmpx_ne_u32_e32 0x7f, v22
	s_cbranch_execz .LBB299_1337
; %bb.1334:                             ;   in Loop: Header=BB299_1059 Depth=1
	v_and_b32_sdwa v5, v0, v38 dst_sel:DWORD dst_unused:UNUSED_PAD src0_sel:WORD_0 src1_sel:DWORD
	v_lshrrev_b32_e32 v13, 3, v22
	s_mov_b32 s20, exec_lo
	v_cmpx_gt_u32_e32 8, v22
; %bb.1335:                             ;   in Loop: Header=BB299_1059 Depth=1
	v_ffbh_u32_e32 v5, v5
	v_min_u32_e32 v5, 32, v5
	v_subrev_nc_u32_e32 v13, 28, v5
	v_lshlrev_b64 v[33:34], v13, v[0:1]
	v_sub_nc_u32_e32 v13, 29, v5
	v_and_b32_e32 v5, 7, v33
; %bb.1336:                             ;   in Loop: Header=BB299_1059 Depth=1
	s_or_b32 exec_lo, exec_lo, s20
	v_lshlrev_b32_sdwa v0, v39, v0 dst_sel:DWORD dst_unused:UNUSED_PAD src0_sel:DWORD src1_sel:WORD_0
	v_lshl_add_u32 v13, v13, 10, 0x2000
	v_lshlrev_b32_e32 v5, 23, v5
	v_and_or_b32 v0, 0x8000, v0, v13
	v_lshl_or_b32 v5, v0, 16, v5
.LBB299_1337:                           ;   in Loop: Header=BB299_1059 Depth=1
	s_or_b32 exec_lo, exec_lo, s18
.LBB299_1338:                           ;   in Loop: Header=BB299_1059 Depth=1
	s_or_b32 exec_lo, exec_lo, s15
.LBB299_1339:                           ;   in Loop: Header=BB299_1059 Depth=1
	s_or_b32 exec_lo, exec_lo, s13
	v_lshrrev_b32_e32 v0, 16, v11
	v_mov_b32_e32 v13, 0
	v_mov_b32_e32 v22, 0
	v_cmp_ne_u16_sdwa s5, v0, v1 src0_sel:BYTE_0 src1_sel:DWORD
	s_and_saveexec_b32 s13, s5
	s_cbranch_execz .LBB299_1347
; %bb.1340:                             ;   in Loop: Header=BB299_1059 Depth=1
	v_cmp_ne_u16_sdwa s5, v0, v16 src0_sel:BYTE_0 src1_sel:DWORD
	v_mov_b32_e32 v22, 0x8000
	s_and_saveexec_b32 s15, s5
	s_cbranch_execz .LBB299_1346
; %bb.1341:                             ;   in Loop: Header=BB299_1059 Depth=1
	v_bfe_u32 v34, v11, 16, 7
	v_mov_b32_e32 v22, 0x7c01
	s_mov_b32 s18, exec_lo
	v_cmpx_ne_u32_e32 0x7f, v34
	s_cbranch_execz .LBB299_1345
; %bb.1342:                             ;   in Loop: Header=BB299_1059 Depth=1
	v_and_b32_e32 v22, 7, v0
	v_lshrrev_b32_e32 v33, 3, v34
	s_mov_b32 s20, exec_lo
	v_cmpx_gt_u32_e32 8, v34
; %bb.1343:                             ;   in Loop: Header=BB299_1059 Depth=1
	v_ffbh_u32_e32 v22, v22
	v_min_u32_e32 v22, 32, v22
	v_subrev_nc_u32_e32 v33, 28, v22
	v_lshlrev_b64 v[36:37], v33, v[0:1]
	v_sub_nc_u32_e32 v33, 29, v22
	v_and_b32_e32 v22, 7, v36
; %bb.1344:                             ;   in Loop: Header=BB299_1059 Depth=1
	s_or_b32 exec_lo, exec_lo, s20
	v_lshlrev_b32_e32 v0, 8, v0
	v_lshl_add_u32 v33, v33, 10, 0x2000
	v_lshlrev_b32_e32 v22, 7, v22
	v_and_b32_e32 v0, 0x8000, v0
	v_and_b32_e32 v33, 0xfc00, v33
	v_or3_b32 v22, v0, v33, v22
.LBB299_1345:                           ;   in Loop: Header=BB299_1059 Depth=1
	s_or_b32 exec_lo, exec_lo, s18
.LBB299_1346:                           ;   in Loop: Header=BB299_1059 Depth=1
	s_or_b32 exec_lo, exec_lo, s15
.LBB299_1347:                           ;   in Loop: Header=BB299_1059 Depth=1
	s_or_b32 exec_lo, exec_lo, s13
	s_mov_b32 s13, exec_lo
	v_cmpx_lt_u32_e32 0xffffff, v11
	s_cbranch_execz .LBB299_1355
; %bb.1348:                             ;   in Loop: Header=BB299_1059 Depth=1
	v_lshrrev_b32_e32 v0, 24, v11
	v_bfrev_b32_e32 v13, 1
	s_mov_b32 s15, exec_lo
	v_cmpx_ne_u32_e32 0x80, v0
	s_cbranch_execz .LBB299_1354
; %bb.1349:                             ;   in Loop: Header=BB299_1059 Depth=1
	v_and_b32_e32 v34, 0x7f, v0
	v_mov_b32_e32 v13, 0x7c010000
	s_mov_b32 s18, exec_lo
	v_cmpx_ne_u32_e32 0x7f, v34
	s_cbranch_execz .LBB299_1353
; %bb.1350:                             ;   in Loop: Header=BB299_1059 Depth=1
	v_and_b32_e32 v13, 7, v0
	v_lshrrev_b32_e32 v33, 3, v34
	s_mov_b32 s20, exec_lo
	v_cmpx_gt_u32_e32 8, v34
; %bb.1351:                             ;   in Loop: Header=BB299_1059 Depth=1
	v_ffbh_u32_e32 v13, v13
	v_min_u32_e32 v13, 32, v13
	v_subrev_nc_u32_e32 v33, 28, v13
	v_lshlrev_b64 v[36:37], v33, v[0:1]
	v_sub_nc_u32_e32 v33, 29, v13
	v_and_b32_e32 v13, 7, v36
; %bb.1352:                             ;   in Loop: Header=BB299_1059 Depth=1
	s_or_b32 exec_lo, exec_lo, s20
	v_lshlrev_b32_e32 v0, 8, v0
	v_lshl_add_u32 v33, v33, 10, 0x2000
	v_lshlrev_b32_e32 v13, 23, v13
	v_and_or_b32 v0, 0x8000, v0, v33
	v_lshl_or_b32 v13, v0, 16, v13
.LBB299_1353:                           ;   in Loop: Header=BB299_1059 Depth=1
	s_or_b32 exec_lo, exec_lo, s18
.LBB299_1354:                           ;   in Loop: Header=BB299_1059 Depth=1
	s_or_b32 exec_lo, exec_lo, s15
.LBB299_1355:                           ;   in Loop: Header=BB299_1059 Depth=1
	s_or_b32 exec_lo, exec_lo, s13
	v_mov_b32_e32 v0, v12
	v_cmp_ne_u16_sdwa s5, v12, v1 src0_sel:BYTE_0 src1_sel:DWORD
	v_mov_b32_e32 v33, 0
	v_mov_b32_e32 v34, 0
	s_and_saveexec_b32 s13, s5
	s_cbranch_execz .LBB299_1363
; %bb.1356:                             ;   in Loop: Header=BB299_1059 Depth=1
	v_cmp_ne_u16_sdwa s5, v12, v16 src0_sel:BYTE_0 src1_sel:DWORD
	v_mov_b32_e32 v34, 0x8000
	s_and_saveexec_b32 s15, s5
	s_cbranch_execz .LBB299_1362
; %bb.1357:                             ;   in Loop: Header=BB299_1059 Depth=1
	v_and_b32_e32 v37, 0x7f, v12
	v_mov_b32_e32 v34, 0x7c01
	s_mov_b32 s18, exec_lo
	v_cmpx_ne_u32_e32 0x7f, v37
	s_cbranch_execz .LBB299_1361
; %bb.1358:                             ;   in Loop: Header=BB299_1059 Depth=1
	v_and_b32_e32 v34, 7, v12
	v_lshrrev_b32_e32 v36, 3, v37
	s_mov_b32 s20, exec_lo
	v_cmpx_gt_u32_e32 8, v37
; %bb.1359:                             ;   in Loop: Header=BB299_1059 Depth=1
	v_ffbh_u32_e32 v34, v34
	v_min_u32_e32 v34, 32, v34
	v_subrev_nc_u32_e32 v36, 28, v34
	v_lshlrev_b64 v[98:99], v36, v[0:1]
	v_sub_nc_u32_e32 v36, 29, v34
	v_and_b32_e32 v34, 7, v98
; %bb.1360:                             ;   in Loop: Header=BB299_1059 Depth=1
	s_or_b32 exec_lo, exec_lo, s20
	v_lshlrev_b32_e32 v37, 8, v12
	v_lshl_add_u32 v36, v36, 10, 0x2000
	v_lshlrev_b32_e32 v34, 7, v34
	v_and_b32_e32 v37, 0x8000, v37
	v_and_b32_e32 v36, 0xfc00, v36
	v_or3_b32 v34, v37, v36, v34
.LBB299_1361:                           ;   in Loop: Header=BB299_1059 Depth=1
	s_or_b32 exec_lo, exec_lo, s18
.LBB299_1362:                           ;   in Loop: Header=BB299_1059 Depth=1
	s_or_b32 exec_lo, exec_lo, s15
.LBB299_1363:                           ;   in Loop: Header=BB299_1059 Depth=1
	s_or_b32 exec_lo, exec_lo, s13
	v_lshrrev_b16 v0, 8, v0
	v_mov_b32_e32 v36, 0
	s_mov_b32 s13, exec_lo
	v_cmpx_ne_u16_e32 0, v0
	s_cbranch_execz .LBB299_1371
; %bb.1364:                             ;   in Loop: Header=BB299_1059 Depth=1
	v_bfrev_b32_e32 v36, 1
	s_mov_b32 s15, exec_lo
	v_cmpx_ne_u16_e32 0x80, v0
	s_cbranch_execz .LBB299_1370
; %bb.1365:                             ;   in Loop: Header=BB299_1059 Depth=1
	v_and_b32_sdwa v98, v0, v17 dst_sel:DWORD dst_unused:UNUSED_PAD src0_sel:WORD_0 src1_sel:DWORD
	v_mov_b32_e32 v36, 0x7c010000
	s_mov_b32 s18, exec_lo
	v_cmpx_ne_u32_e32 0x7f, v98
	s_cbranch_execz .LBB299_1369
; %bb.1366:                             ;   in Loop: Header=BB299_1059 Depth=1
	v_and_b32_sdwa v36, v0, v38 dst_sel:DWORD dst_unused:UNUSED_PAD src0_sel:WORD_0 src1_sel:DWORD
	v_lshrrev_b32_e32 v37, 3, v98
	s_mov_b32 s20, exec_lo
	v_cmpx_gt_u32_e32 8, v98
; %bb.1367:                             ;   in Loop: Header=BB299_1059 Depth=1
	v_ffbh_u32_e32 v36, v36
	v_min_u32_e32 v98, 32, v36
	v_subrev_nc_u32_e32 v36, 28, v98
	v_lshlrev_b64 v[36:37], v36, v[0:1]
	v_sub_nc_u32_e32 v37, 29, v98
	v_and_b32_e32 v36, 7, v36
; %bb.1368:                             ;   in Loop: Header=BB299_1059 Depth=1
	s_or_b32 exec_lo, exec_lo, s20
	v_lshlrev_b32_sdwa v0, v39, v0 dst_sel:DWORD dst_unused:UNUSED_PAD src0_sel:DWORD src1_sel:WORD_0
	v_lshl_add_u32 v37, v37, 10, 0x2000
	v_lshlrev_b32_e32 v36, 23, v36
	v_and_or_b32 v0, 0x8000, v0, v37
	v_lshl_or_b32 v36, v0, 16, v36
.LBB299_1369:                           ;   in Loop: Header=BB299_1059 Depth=1
	s_or_b32 exec_lo, exec_lo, s18
.LBB299_1370:                           ;   in Loop: Header=BB299_1059 Depth=1
	s_or_b32 exec_lo, exec_lo, s15
.LBB299_1371:                           ;   in Loop: Header=BB299_1059 Depth=1
	s_or_b32 exec_lo, exec_lo, s13
	v_lshrrev_b32_e32 v0, 16, v12
	v_cmp_ne_u16_sdwa s5, v0, v1 src0_sel:BYTE_0 src1_sel:DWORD
	s_and_saveexec_b32 s13, s5
	s_cbranch_execz .LBB299_1379
; %bb.1372:                             ;   in Loop: Header=BB299_1059 Depth=1
	v_cmp_ne_u16_sdwa s5, v0, v16 src0_sel:BYTE_0 src1_sel:DWORD
	v_mov_b32_e32 v33, 0x8000
	s_and_saveexec_b32 s15, s5
	s_cbranch_execz .LBB299_1378
; %bb.1373:                             ;   in Loop: Header=BB299_1059 Depth=1
	v_bfe_u32 v98, v12, 16, 7
	v_mov_b32_e32 v33, 0x7c01
	s_mov_b32 s18, exec_lo
	v_cmpx_ne_u32_e32 0x7f, v98
	s_cbranch_execz .LBB299_1377
; %bb.1374:                             ;   in Loop: Header=BB299_1059 Depth=1
	v_and_b32_e32 v33, 7, v0
	v_lshrrev_b32_e32 v37, 3, v98
	s_mov_b32 s20, exec_lo
	v_cmpx_gt_u32_e32 8, v98
; %bb.1375:                             ;   in Loop: Header=BB299_1059 Depth=1
	v_ffbh_u32_e32 v33, v33
	v_min_u32_e32 v33, 32, v33
	v_subrev_nc_u32_e32 v37, 28, v33
	v_lshlrev_b64 v[98:99], v37, v[0:1]
	v_sub_nc_u32_e32 v37, 29, v33
	v_and_b32_e32 v33, 7, v98
; %bb.1376:                             ;   in Loop: Header=BB299_1059 Depth=1
	s_or_b32 exec_lo, exec_lo, s20
	v_lshlrev_b32_e32 v0, 8, v0
	v_lshl_add_u32 v37, v37, 10, 0x2000
	v_lshlrev_b32_e32 v33, 7, v33
	v_and_b32_e32 v0, 0x8000, v0
	v_and_b32_e32 v37, 0xfc00, v37
	v_or3_b32 v33, v0, v37, v33
.LBB299_1377:                           ;   in Loop: Header=BB299_1059 Depth=1
	s_or_b32 exec_lo, exec_lo, s18
.LBB299_1378:                           ;   in Loop: Header=BB299_1059 Depth=1
	s_or_b32 exec_lo, exec_lo, s15
.LBB299_1379:                           ;   in Loop: Header=BB299_1059 Depth=1
	s_or_b32 exec_lo, exec_lo, s13
	v_cmp_lt_u64_e64 s5, s[8:9], v[11:12]
	v_mov_b32_e32 v11, 0
	s_and_saveexec_b32 s13, s5
	s_cbranch_execz .LBB299_1387
; %bb.1380:                             ;   in Loop: Header=BB299_1059 Depth=1
	v_lshrrev_b32_e32 v0, 24, v12
	v_bfrev_b32_e32 v11, 1
	s_mov_b32 s15, exec_lo
	v_cmpx_ne_u32_e32 0x80, v0
	s_cbranch_execz .LBB299_1386
; %bb.1381:                             ;   in Loop: Header=BB299_1059 Depth=1
	v_and_b32_e32 v37, 0x7f, v0
	v_mov_b32_e32 v11, 0x7c010000
	s_mov_b32 s18, exec_lo
	v_cmpx_ne_u32_e32 0x7f, v37
	s_cbranch_execz .LBB299_1385
; %bb.1382:                             ;   in Loop: Header=BB299_1059 Depth=1
	v_and_b32_e32 v11, 7, v0
	v_lshrrev_b32_e32 v12, 3, v37
	s_mov_b32 s20, exec_lo
	v_cmpx_gt_u32_e32 8, v37
; %bb.1383:                             ;   in Loop: Header=BB299_1059 Depth=1
	v_ffbh_u32_e32 v11, v11
	v_min_u32_e32 v37, 32, v11
	v_subrev_nc_u32_e32 v11, 28, v37
	v_lshlrev_b64 v[11:12], v11, v[0:1]
	v_sub_nc_u32_e32 v12, 29, v37
	v_and_b32_e32 v11, 7, v11
; %bb.1384:                             ;   in Loop: Header=BB299_1059 Depth=1
	s_or_b32 exec_lo, exec_lo, s20
	v_lshlrev_b32_e32 v0, 8, v0
	v_lshl_add_u32 v12, v12, 10, 0x2000
	v_lshlrev_b32_e32 v11, 23, v11
	v_and_or_b32 v0, 0x8000, v0, v12
	v_lshl_or_b32 v11, v0, 16, v11
.LBB299_1385:                           ;   in Loop: Header=BB299_1059 Depth=1
	s_or_b32 exec_lo, exec_lo, s18
.LBB299_1386:                           ;   in Loop: Header=BB299_1059 Depth=1
	s_or_b32 exec_lo, exec_lo, s15
.LBB299_1387:                           ;   in Loop: Header=BB299_1059 Depth=1
	s_or_b32 exec_lo, exec_lo, s13
	v_or_b32_e32 v0, v13, v22
	s_waitcnt vmcnt(0) lgkmcnt(0)
	v_fma_mixlo_f16 v12, v4, v13, 0 op_sel:[0,1,0] op_sel_hi:[0,1,0]
	v_or_b32_e32 v6, v5, v6
	v_fma_mixlo_f16 v5, v4, v5, 0 op_sel:[0,1,0] op_sel_hi:[0,1,0]
	v_or_b32_e32 v13, v36, v34
	v_fma_mixlo_f16 v22, v4, v0, 0 op_sel_hi:[0,1,0]
	v_or_b32_e32 v33, v11, v33
	v_lshlrev_b32_e32 v0, 16, v12
	v_lshlrev_b32_e32 v12, 16, v5
	v_fma_mixlo_f16 v6, v4, v6, 0 op_sel_hi:[0,1,0]
	v_and_b32_e32 v5, 0xffff, v22
	v_fma_mixlo_f16 v22, v4, v36, 0 op_sel:[0,1,0] op_sel_hi:[0,1,0]
	v_fma_mixlo_f16 v13, v4, v13, 0 op_sel_hi:[0,1,0]
	v_fma_mixlo_f16 v11, v4, v11, 0 op_sel:[0,1,0] op_sel_hi:[0,1,0]
	v_fma_mixlo_f16 v33, v4, v33, 0 op_sel_hi:[0,1,0]
	v_and_b32_e32 v37, 0xffff, v6
	v_lshlrev_b32_e32 v6, 16, v22
	v_and_b32_e32 v22, 0xffff, v13
	v_lshlrev_b32_e32 v4, 16, v11
	v_and_b32_e32 v11, 0xffff, v33
	v_or_b32_e32 v13, v0, v5
	v_or_b32_e32 v36, v12, v37
	;; [unrolled: 1-line block ×4, first 2 shown]
	s_and_saveexec_b32 s13, vcc_lo
	s_cbranch_execz .LBB299_1389
; %bb.1388:                             ;   in Loop: Header=BB299_1059 Depth=1
	v_cmp_lt_i32_e64 s5, v48, v35
	v_cndmask_b32_e64 v13, 0, v37, s5
	v_cmp_lt_i32_e64 s5, v83, v35
	v_cndmask_b32_e64 v12, 0, v12, s5
	v_cmp_lt_i32_e64 s5, v82, v35
	v_or_b32_e32 v36, v13, v12
	v_cndmask_b32_e64 v5, 0, v5, s5
	v_cmp_lt_i32_e64 s5, v81, v35
	v_cndmask_b32_e64 v0, 0, v0, s5
	v_cmp_lt_i32_e64 s5, v80, v35
	v_or_b32_e32 v13, v5, v0
	;; [unrolled: 5-line block ×3, first 2 shown]
	v_cndmask_b32_e64 v11, 0, v11, s5
	v_cmp_lt_i32_e64 s5, v14, v35
	v_cndmask_b32_e64 v4, 0, v4, s5
	v_or_b32_e32 v33, v11, v4
.LBB299_1389:                           ;   in Loop: Header=BB299_1059 Depth=1
	s_or_b32 exec_lo, exec_lo, s13
	;;#ASMSTART
	v_pk_mul_f16 v0, v68, v36;

	;;#ASMEND
	;;#ASMSTART
	v_pk_mul_f16 v4, v66, v13;

	;;#ASMEND
	;; [unrolled: 4-line block ×4, first 2 shown]
	;;#ASMSTART
	v_pk_add_f16 v0, v0, v4;

	;;#ASMEND
	;;#ASMSTART
	v_pk_add_f16 v0, v0, v5;

	;;#ASMEND
	;;#ASMSTART
	v_pk_add_f16 v0, v0, v6;

	;;#ASMEND
	v_and_b32_e32 v4, 0xffff, v0
	v_lshrrev_b32_e32 v0, 16, v0
	;;#ASMSTART
	v_cvt_f32_f16 v98, v4;
	;;#ASMEND
	;;#ASMSTART
	v_cvt_f32_f16 v99, v0;
	;;#ASMEND
	flat_load_dwordx2 v[11:12], v[9:10] offset:1280
	flat_load_dword v4, v[26:27]
	v_mov_b32_e32 v5, 0
	v_mov_b32_e32 v6, 0
	s_waitcnt vmcnt(1) lgkmcnt(1)
	v_cmp_ne_u16_sdwa s5, v11, v1 src0_sel:BYTE_0 src1_sel:DWORD
	s_and_saveexec_b32 s13, s5
	s_cbranch_execz .LBB299_1397
; %bb.1390:                             ;   in Loop: Header=BB299_1059 Depth=1
	v_cmp_ne_u16_sdwa s5, v11, v16 src0_sel:BYTE_0 src1_sel:DWORD
	v_mov_b32_e32 v6, 0x8000
	s_and_saveexec_b32 s15, s5
	s_cbranch_execz .LBB299_1396
; %bb.1391:                             ;   in Loop: Header=BB299_1059 Depth=1
	v_and_b32_e32 v13, 0x7f, v11
	v_mov_b32_e32 v6, 0x7c01
	s_mov_b32 s18, exec_lo
	v_cmpx_ne_u32_e32 0x7f, v13
	s_cbranch_execz .LBB299_1395
; %bb.1392:                             ;   in Loop: Header=BB299_1059 Depth=1
	v_and_b32_e32 v0, 7, v11
	v_lshrrev_b32_e32 v6, 3, v13
	s_mov_b32 s20, exec_lo
	v_cmpx_gt_u32_e32 8, v13
; %bb.1393:                             ;   in Loop: Header=BB299_1059 Depth=1
	v_ffbh_u32_e32 v0, v0
	v_min_u32_e32 v0, 32, v0
	v_subrev_nc_u32_e32 v6, 28, v0
	v_lshlrev_b64 v[33:34], v6, v[11:12]
	v_sub_nc_u32_e32 v6, 29, v0
	v_and_b32_e32 v0, 7, v33
; %bb.1394:                             ;   in Loop: Header=BB299_1059 Depth=1
	s_or_b32 exec_lo, exec_lo, s20
	v_lshlrev_b32_e32 v13, 8, v11
	v_lshl_add_u32 v6, v6, 10, 0x2000
	v_lshlrev_b32_e32 v0, 7, v0
	v_and_b32_e32 v13, 0x8000, v13
	v_and_b32_e32 v6, 0xfc00, v6
	v_or3_b32 v6, v13, v6, v0
.LBB299_1395:                           ;   in Loop: Header=BB299_1059 Depth=1
	s_or_b32 exec_lo, exec_lo, s18
.LBB299_1396:                           ;   in Loop: Header=BB299_1059 Depth=1
	s_or_b32 exec_lo, exec_lo, s15
.LBB299_1397:                           ;   in Loop: Header=BB299_1059 Depth=1
	s_or_b32 exec_lo, exec_lo, s13
	v_lshrrev_b16 v0, 8, v11
	s_mov_b32 s13, exec_lo
	v_cmpx_ne_u16_e32 0, v0
	s_cbranch_execz .LBB299_1405
; %bb.1398:                             ;   in Loop: Header=BB299_1059 Depth=1
	v_bfrev_b32_e32 v5, 1
	s_mov_b32 s15, exec_lo
	v_cmpx_ne_u16_e32 0x80, v0
	s_cbranch_execz .LBB299_1404
; %bb.1399:                             ;   in Loop: Header=BB299_1059 Depth=1
	v_and_b32_sdwa v22, v0, v17 dst_sel:DWORD dst_unused:UNUSED_PAD src0_sel:WORD_0 src1_sel:DWORD
	v_mov_b32_e32 v5, 0x7c010000
	s_mov_b32 s18, exec_lo
	v_cmpx_ne_u32_e32 0x7f, v22
	s_cbranch_execz .LBB299_1403
; %bb.1400:                             ;   in Loop: Header=BB299_1059 Depth=1
	v_and_b32_sdwa v5, v0, v38 dst_sel:DWORD dst_unused:UNUSED_PAD src0_sel:WORD_0 src1_sel:DWORD
	v_lshrrev_b32_e32 v13, 3, v22
	s_mov_b32 s20, exec_lo
	v_cmpx_gt_u32_e32 8, v22
; %bb.1401:                             ;   in Loop: Header=BB299_1059 Depth=1
	v_ffbh_u32_e32 v5, v5
	v_min_u32_e32 v5, 32, v5
	v_subrev_nc_u32_e32 v13, 28, v5
	v_lshlrev_b64 v[33:34], v13, v[0:1]
	v_sub_nc_u32_e32 v13, 29, v5
	v_and_b32_e32 v5, 7, v33
; %bb.1402:                             ;   in Loop: Header=BB299_1059 Depth=1
	s_or_b32 exec_lo, exec_lo, s20
	v_lshlrev_b32_sdwa v0, v39, v0 dst_sel:DWORD dst_unused:UNUSED_PAD src0_sel:DWORD src1_sel:WORD_0
	v_lshl_add_u32 v13, v13, 10, 0x2000
	v_lshlrev_b32_e32 v5, 23, v5
	v_and_or_b32 v0, 0x8000, v0, v13
	v_lshl_or_b32 v5, v0, 16, v5
.LBB299_1403:                           ;   in Loop: Header=BB299_1059 Depth=1
	s_or_b32 exec_lo, exec_lo, s18
.LBB299_1404:                           ;   in Loop: Header=BB299_1059 Depth=1
	s_or_b32 exec_lo, exec_lo, s15
.LBB299_1405:                           ;   in Loop: Header=BB299_1059 Depth=1
	s_or_b32 exec_lo, exec_lo, s13
	v_lshrrev_b32_e32 v0, 16, v11
	v_mov_b32_e32 v13, 0
	v_mov_b32_e32 v22, 0
	v_cmp_ne_u16_sdwa s5, v0, v1 src0_sel:BYTE_0 src1_sel:DWORD
	s_and_saveexec_b32 s13, s5
	s_cbranch_execz .LBB299_1413
; %bb.1406:                             ;   in Loop: Header=BB299_1059 Depth=1
	v_cmp_ne_u16_sdwa s5, v0, v16 src0_sel:BYTE_0 src1_sel:DWORD
	v_mov_b32_e32 v22, 0x8000
	s_and_saveexec_b32 s15, s5
	s_cbranch_execz .LBB299_1412
; %bb.1407:                             ;   in Loop: Header=BB299_1059 Depth=1
	v_bfe_u32 v34, v11, 16, 7
	v_mov_b32_e32 v22, 0x7c01
	s_mov_b32 s18, exec_lo
	v_cmpx_ne_u32_e32 0x7f, v34
	s_cbranch_execz .LBB299_1411
; %bb.1408:                             ;   in Loop: Header=BB299_1059 Depth=1
	v_and_b32_e32 v22, 7, v0
	v_lshrrev_b32_e32 v33, 3, v34
	s_mov_b32 s20, exec_lo
	v_cmpx_gt_u32_e32 8, v34
; %bb.1409:                             ;   in Loop: Header=BB299_1059 Depth=1
	v_ffbh_u32_e32 v22, v22
	v_min_u32_e32 v22, 32, v22
	v_subrev_nc_u32_e32 v33, 28, v22
	v_lshlrev_b64 v[36:37], v33, v[0:1]
	v_sub_nc_u32_e32 v33, 29, v22
	v_and_b32_e32 v22, 7, v36
; %bb.1410:                             ;   in Loop: Header=BB299_1059 Depth=1
	s_or_b32 exec_lo, exec_lo, s20
	v_lshlrev_b32_e32 v0, 8, v0
	v_lshl_add_u32 v33, v33, 10, 0x2000
	v_lshlrev_b32_e32 v22, 7, v22
	v_and_b32_e32 v0, 0x8000, v0
	v_and_b32_e32 v33, 0xfc00, v33
	v_or3_b32 v22, v0, v33, v22
.LBB299_1411:                           ;   in Loop: Header=BB299_1059 Depth=1
	s_or_b32 exec_lo, exec_lo, s18
.LBB299_1412:                           ;   in Loop: Header=BB299_1059 Depth=1
	s_or_b32 exec_lo, exec_lo, s15
.LBB299_1413:                           ;   in Loop: Header=BB299_1059 Depth=1
	s_or_b32 exec_lo, exec_lo, s13
	s_mov_b32 s13, exec_lo
	v_cmpx_lt_u32_e32 0xffffff, v11
	s_cbranch_execz .LBB299_1421
; %bb.1414:                             ;   in Loop: Header=BB299_1059 Depth=1
	v_lshrrev_b32_e32 v0, 24, v11
	v_bfrev_b32_e32 v13, 1
	s_mov_b32 s15, exec_lo
	v_cmpx_ne_u32_e32 0x80, v0
	s_cbranch_execz .LBB299_1420
; %bb.1415:                             ;   in Loop: Header=BB299_1059 Depth=1
	v_and_b32_e32 v34, 0x7f, v0
	v_mov_b32_e32 v13, 0x7c010000
	s_mov_b32 s18, exec_lo
	v_cmpx_ne_u32_e32 0x7f, v34
	s_cbranch_execz .LBB299_1419
; %bb.1416:                             ;   in Loop: Header=BB299_1059 Depth=1
	v_and_b32_e32 v13, 7, v0
	v_lshrrev_b32_e32 v33, 3, v34
	s_mov_b32 s20, exec_lo
	v_cmpx_gt_u32_e32 8, v34
; %bb.1417:                             ;   in Loop: Header=BB299_1059 Depth=1
	v_ffbh_u32_e32 v13, v13
	v_min_u32_e32 v13, 32, v13
	v_subrev_nc_u32_e32 v33, 28, v13
	v_lshlrev_b64 v[36:37], v33, v[0:1]
	v_sub_nc_u32_e32 v33, 29, v13
	v_and_b32_e32 v13, 7, v36
; %bb.1418:                             ;   in Loop: Header=BB299_1059 Depth=1
	s_or_b32 exec_lo, exec_lo, s20
	v_lshlrev_b32_e32 v0, 8, v0
	v_lshl_add_u32 v33, v33, 10, 0x2000
	v_lshlrev_b32_e32 v13, 23, v13
	v_and_or_b32 v0, 0x8000, v0, v33
	v_lshl_or_b32 v13, v0, 16, v13
.LBB299_1419:                           ;   in Loop: Header=BB299_1059 Depth=1
	s_or_b32 exec_lo, exec_lo, s18
.LBB299_1420:                           ;   in Loop: Header=BB299_1059 Depth=1
	s_or_b32 exec_lo, exec_lo, s15
.LBB299_1421:                           ;   in Loop: Header=BB299_1059 Depth=1
	s_or_b32 exec_lo, exec_lo, s13
	v_mov_b32_e32 v0, v12
	v_cmp_ne_u16_sdwa s5, v12, v1 src0_sel:BYTE_0 src1_sel:DWORD
	v_mov_b32_e32 v33, 0
	v_mov_b32_e32 v34, 0
	s_and_saveexec_b32 s13, s5
	s_cbranch_execz .LBB299_1429
; %bb.1422:                             ;   in Loop: Header=BB299_1059 Depth=1
	v_cmp_ne_u16_sdwa s5, v12, v16 src0_sel:BYTE_0 src1_sel:DWORD
	v_mov_b32_e32 v34, 0x8000
	s_and_saveexec_b32 s15, s5
	s_cbranch_execz .LBB299_1428
; %bb.1423:                             ;   in Loop: Header=BB299_1059 Depth=1
	v_and_b32_e32 v37, 0x7f, v12
	v_mov_b32_e32 v34, 0x7c01
	s_mov_b32 s18, exec_lo
	v_cmpx_ne_u32_e32 0x7f, v37
	s_cbranch_execz .LBB299_1427
; %bb.1424:                             ;   in Loop: Header=BB299_1059 Depth=1
	v_and_b32_e32 v34, 7, v12
	v_lshrrev_b32_e32 v36, 3, v37
	s_mov_b32 s20, exec_lo
	v_cmpx_gt_u32_e32 8, v37
; %bb.1425:                             ;   in Loop: Header=BB299_1059 Depth=1
	v_ffbh_u32_e32 v34, v34
	v_min_u32_e32 v34, 32, v34
	v_subrev_nc_u32_e32 v36, 28, v34
	v_lshlrev_b64 v[100:101], v36, v[0:1]
	v_sub_nc_u32_e32 v36, 29, v34
	v_and_b32_e32 v34, 7, v100
; %bb.1426:                             ;   in Loop: Header=BB299_1059 Depth=1
	s_or_b32 exec_lo, exec_lo, s20
	v_lshlrev_b32_e32 v37, 8, v12
	v_lshl_add_u32 v36, v36, 10, 0x2000
	v_lshlrev_b32_e32 v34, 7, v34
	v_and_b32_e32 v37, 0x8000, v37
	v_and_b32_e32 v36, 0xfc00, v36
	v_or3_b32 v34, v37, v36, v34
.LBB299_1427:                           ;   in Loop: Header=BB299_1059 Depth=1
	s_or_b32 exec_lo, exec_lo, s18
.LBB299_1428:                           ;   in Loop: Header=BB299_1059 Depth=1
	s_or_b32 exec_lo, exec_lo, s15
.LBB299_1429:                           ;   in Loop: Header=BB299_1059 Depth=1
	s_or_b32 exec_lo, exec_lo, s13
	v_lshrrev_b16 v0, 8, v0
	v_mov_b32_e32 v36, 0
	s_mov_b32 s13, exec_lo
	v_cmpx_ne_u16_e32 0, v0
	s_cbranch_execz .LBB299_1437
; %bb.1430:                             ;   in Loop: Header=BB299_1059 Depth=1
	v_bfrev_b32_e32 v36, 1
	s_mov_b32 s15, exec_lo
	v_cmpx_ne_u16_e32 0x80, v0
	s_cbranch_execz .LBB299_1436
; %bb.1431:                             ;   in Loop: Header=BB299_1059 Depth=1
	v_and_b32_sdwa v100, v0, v17 dst_sel:DWORD dst_unused:UNUSED_PAD src0_sel:WORD_0 src1_sel:DWORD
	v_mov_b32_e32 v36, 0x7c010000
	s_mov_b32 s18, exec_lo
	v_cmpx_ne_u32_e32 0x7f, v100
	s_cbranch_execz .LBB299_1435
; %bb.1432:                             ;   in Loop: Header=BB299_1059 Depth=1
	v_and_b32_sdwa v36, v0, v38 dst_sel:DWORD dst_unused:UNUSED_PAD src0_sel:WORD_0 src1_sel:DWORD
	v_lshrrev_b32_e32 v37, 3, v100
	s_mov_b32 s20, exec_lo
	v_cmpx_gt_u32_e32 8, v100
; %bb.1433:                             ;   in Loop: Header=BB299_1059 Depth=1
	v_ffbh_u32_e32 v36, v36
	v_min_u32_e32 v100, 32, v36
	v_subrev_nc_u32_e32 v36, 28, v100
	v_lshlrev_b64 v[36:37], v36, v[0:1]
	v_sub_nc_u32_e32 v37, 29, v100
	v_and_b32_e32 v36, 7, v36
; %bb.1434:                             ;   in Loop: Header=BB299_1059 Depth=1
	s_or_b32 exec_lo, exec_lo, s20
	v_lshlrev_b32_sdwa v0, v39, v0 dst_sel:DWORD dst_unused:UNUSED_PAD src0_sel:DWORD src1_sel:WORD_0
	v_lshl_add_u32 v37, v37, 10, 0x2000
	v_lshlrev_b32_e32 v36, 23, v36
	v_and_or_b32 v0, 0x8000, v0, v37
	v_lshl_or_b32 v36, v0, 16, v36
.LBB299_1435:                           ;   in Loop: Header=BB299_1059 Depth=1
	s_or_b32 exec_lo, exec_lo, s18
.LBB299_1436:                           ;   in Loop: Header=BB299_1059 Depth=1
	s_or_b32 exec_lo, exec_lo, s15
.LBB299_1437:                           ;   in Loop: Header=BB299_1059 Depth=1
	s_or_b32 exec_lo, exec_lo, s13
	v_lshrrev_b32_e32 v0, 16, v12
	v_cmp_ne_u16_sdwa s5, v0, v1 src0_sel:BYTE_0 src1_sel:DWORD
	s_and_saveexec_b32 s13, s5
	s_cbranch_execz .LBB299_1445
; %bb.1438:                             ;   in Loop: Header=BB299_1059 Depth=1
	v_cmp_ne_u16_sdwa s5, v0, v16 src0_sel:BYTE_0 src1_sel:DWORD
	v_mov_b32_e32 v33, 0x8000
	s_and_saveexec_b32 s15, s5
	s_cbranch_execz .LBB299_1444
; %bb.1439:                             ;   in Loop: Header=BB299_1059 Depth=1
	v_bfe_u32 v100, v12, 16, 7
	v_mov_b32_e32 v33, 0x7c01
	s_mov_b32 s18, exec_lo
	v_cmpx_ne_u32_e32 0x7f, v100
	s_cbranch_execz .LBB299_1443
; %bb.1440:                             ;   in Loop: Header=BB299_1059 Depth=1
	v_and_b32_e32 v33, 7, v0
	v_lshrrev_b32_e32 v37, 3, v100
	s_mov_b32 s20, exec_lo
	v_cmpx_gt_u32_e32 8, v100
; %bb.1441:                             ;   in Loop: Header=BB299_1059 Depth=1
	v_ffbh_u32_e32 v33, v33
	v_min_u32_e32 v33, 32, v33
	v_subrev_nc_u32_e32 v37, 28, v33
	v_lshlrev_b64 v[100:101], v37, v[0:1]
	v_sub_nc_u32_e32 v37, 29, v33
	v_and_b32_e32 v33, 7, v100
; %bb.1442:                             ;   in Loop: Header=BB299_1059 Depth=1
	s_or_b32 exec_lo, exec_lo, s20
	v_lshlrev_b32_e32 v0, 8, v0
	v_lshl_add_u32 v37, v37, 10, 0x2000
	v_lshlrev_b32_e32 v33, 7, v33
	v_and_b32_e32 v0, 0x8000, v0
	v_and_b32_e32 v37, 0xfc00, v37
	v_or3_b32 v33, v0, v37, v33
.LBB299_1443:                           ;   in Loop: Header=BB299_1059 Depth=1
	s_or_b32 exec_lo, exec_lo, s18
.LBB299_1444:                           ;   in Loop: Header=BB299_1059 Depth=1
	s_or_b32 exec_lo, exec_lo, s15
.LBB299_1445:                           ;   in Loop: Header=BB299_1059 Depth=1
	s_or_b32 exec_lo, exec_lo, s13
	v_cmp_lt_u64_e64 s5, s[8:9], v[11:12]
	v_mov_b32_e32 v11, 0
	s_and_saveexec_b32 s13, s5
	s_cbranch_execz .LBB299_1453
; %bb.1446:                             ;   in Loop: Header=BB299_1059 Depth=1
	v_lshrrev_b32_e32 v0, 24, v12
	v_bfrev_b32_e32 v11, 1
	s_mov_b32 s15, exec_lo
	v_cmpx_ne_u32_e32 0x80, v0
	s_cbranch_execz .LBB299_1452
; %bb.1447:                             ;   in Loop: Header=BB299_1059 Depth=1
	v_and_b32_e32 v37, 0x7f, v0
	v_mov_b32_e32 v11, 0x7c010000
	s_mov_b32 s18, exec_lo
	v_cmpx_ne_u32_e32 0x7f, v37
	s_cbranch_execz .LBB299_1451
; %bb.1448:                             ;   in Loop: Header=BB299_1059 Depth=1
	v_and_b32_e32 v11, 7, v0
	v_lshrrev_b32_e32 v12, 3, v37
	s_mov_b32 s20, exec_lo
	v_cmpx_gt_u32_e32 8, v37
; %bb.1449:                             ;   in Loop: Header=BB299_1059 Depth=1
	v_ffbh_u32_e32 v11, v11
	v_min_u32_e32 v37, 32, v11
	v_subrev_nc_u32_e32 v11, 28, v37
	v_lshlrev_b64 v[11:12], v11, v[0:1]
	v_sub_nc_u32_e32 v12, 29, v37
	v_and_b32_e32 v11, 7, v11
; %bb.1450:                             ;   in Loop: Header=BB299_1059 Depth=1
	s_or_b32 exec_lo, exec_lo, s20
	v_lshlrev_b32_e32 v0, 8, v0
	v_lshl_add_u32 v12, v12, 10, 0x2000
	v_lshlrev_b32_e32 v11, 23, v11
	v_and_or_b32 v0, 0x8000, v0, v12
	v_lshl_or_b32 v11, v0, 16, v11
.LBB299_1451:                           ;   in Loop: Header=BB299_1059 Depth=1
	s_or_b32 exec_lo, exec_lo, s18
.LBB299_1452:                           ;   in Loop: Header=BB299_1059 Depth=1
	s_or_b32 exec_lo, exec_lo, s15
.LBB299_1453:                           ;   in Loop: Header=BB299_1059 Depth=1
	s_or_b32 exec_lo, exec_lo, s13
	v_or_b32_e32 v0, v13, v22
	s_waitcnt vmcnt(0) lgkmcnt(0)
	v_fma_mixlo_f16 v12, v4, v13, 0 op_sel:[0,1,0] op_sel_hi:[0,1,0]
	v_or_b32_e32 v6, v5, v6
	v_fma_mixlo_f16 v5, v4, v5, 0 op_sel:[0,1,0] op_sel_hi:[0,1,0]
	v_or_b32_e32 v13, v36, v34
	v_fma_mixlo_f16 v22, v4, v0, 0 op_sel_hi:[0,1,0]
	v_or_b32_e32 v33, v11, v33
	v_lshlrev_b32_e32 v0, 16, v12
	v_lshlrev_b32_e32 v12, 16, v5
	v_fma_mixlo_f16 v6, v4, v6, 0 op_sel_hi:[0,1,0]
	v_and_b32_e32 v5, 0xffff, v22
	v_fma_mixlo_f16 v22, v4, v36, 0 op_sel:[0,1,0] op_sel_hi:[0,1,0]
	v_fma_mixlo_f16 v13, v4, v13, 0 op_sel_hi:[0,1,0]
	v_fma_mixlo_f16 v11, v4, v11, 0 op_sel:[0,1,0] op_sel_hi:[0,1,0]
	v_fma_mixlo_f16 v33, v4, v33, 0 op_sel_hi:[0,1,0]
	v_and_b32_e32 v37, 0xffff, v6
	v_lshlrev_b32_e32 v6, 16, v22
	v_and_b32_e32 v22, 0xffff, v13
	v_lshlrev_b32_e32 v4, 16, v11
	v_and_b32_e32 v11, 0xffff, v33
	v_or_b32_e32 v13, v0, v5
	v_or_b32_e32 v36, v12, v37
	;; [unrolled: 1-line block ×4, first 2 shown]
	s_and_saveexec_b32 s13, vcc_lo
	s_cbranch_execz .LBB299_1455
; %bb.1454:                             ;   in Loop: Header=BB299_1059 Depth=1
	v_cmp_lt_i32_e64 s5, v48, v35
	v_cndmask_b32_e64 v13, 0, v37, s5
	v_cmp_lt_i32_e64 s5, v83, v35
	v_cndmask_b32_e64 v12, 0, v12, s5
	v_cmp_lt_i32_e64 s5, v82, v35
	v_or_b32_e32 v36, v13, v12
	v_cndmask_b32_e64 v5, 0, v5, s5
	v_cmp_lt_i32_e64 s5, v81, v35
	v_cndmask_b32_e64 v0, 0, v0, s5
	v_cmp_lt_i32_e64 s5, v80, v35
	v_or_b32_e32 v13, v5, v0
	;; [unrolled: 5-line block ×3, first 2 shown]
	v_cndmask_b32_e64 v11, 0, v11, s5
	v_cmp_lt_i32_e64 s5, v14, v35
	v_cndmask_b32_e64 v4, 0, v4, s5
	v_or_b32_e32 v33, v11, v4
.LBB299_1455:                           ;   in Loop: Header=BB299_1059 Depth=1
	s_or_b32 exec_lo, exec_lo, s13
	;;#ASMSTART
	v_pk_mul_f16 v0, v68, v36;

	;;#ASMEND
	;;#ASMSTART
	v_pk_mul_f16 v4, v66, v13;

	;;#ASMEND
	;; [unrolled: 4-line block ×4, first 2 shown]
	;;#ASMSTART
	v_pk_add_f16 v0, v0, v4;

	;;#ASMEND
	;;#ASMSTART
	v_pk_add_f16 v0, v0, v5;

	;;#ASMEND
	;; [unrolled: 4-line block ×3, first 2 shown]
	v_and_b32_e32 v4, 0xffff, v0
	v_lshrrev_b32_e32 v0, 16, v0
	;;#ASMSTART
	v_cvt_f32_f16 v100, v4;
	;;#ASMEND
	;;#ASMSTART
	v_cvt_f32_f16 v101, v0;
	;;#ASMEND
	flat_load_dwordx2 v[11:12], v[9:10] offset:1536
	flat_load_dword v4, v[26:27]
	v_mov_b32_e32 v5, 0
	v_mov_b32_e32 v6, 0
	s_waitcnt vmcnt(1) lgkmcnt(1)
	v_cmp_ne_u16_sdwa s5, v11, v1 src0_sel:BYTE_0 src1_sel:DWORD
	s_and_saveexec_b32 s13, s5
	s_cbranch_execz .LBB299_1463
; %bb.1456:                             ;   in Loop: Header=BB299_1059 Depth=1
	v_cmp_ne_u16_sdwa s5, v11, v16 src0_sel:BYTE_0 src1_sel:DWORD
	v_mov_b32_e32 v6, 0x8000
	s_and_saveexec_b32 s15, s5
	s_cbranch_execz .LBB299_1462
; %bb.1457:                             ;   in Loop: Header=BB299_1059 Depth=1
	v_and_b32_e32 v13, 0x7f, v11
	v_mov_b32_e32 v6, 0x7c01
	s_mov_b32 s18, exec_lo
	v_cmpx_ne_u32_e32 0x7f, v13
	s_cbranch_execz .LBB299_1461
; %bb.1458:                             ;   in Loop: Header=BB299_1059 Depth=1
	v_and_b32_e32 v0, 7, v11
	v_lshrrev_b32_e32 v6, 3, v13
	s_mov_b32 s20, exec_lo
	v_cmpx_gt_u32_e32 8, v13
; %bb.1459:                             ;   in Loop: Header=BB299_1059 Depth=1
	v_ffbh_u32_e32 v0, v0
	v_min_u32_e32 v0, 32, v0
	v_subrev_nc_u32_e32 v6, 28, v0
	v_lshlrev_b64 v[33:34], v6, v[11:12]
	v_sub_nc_u32_e32 v6, 29, v0
	v_and_b32_e32 v0, 7, v33
; %bb.1460:                             ;   in Loop: Header=BB299_1059 Depth=1
	s_or_b32 exec_lo, exec_lo, s20
	v_lshlrev_b32_e32 v13, 8, v11
	v_lshl_add_u32 v6, v6, 10, 0x2000
	v_lshlrev_b32_e32 v0, 7, v0
	v_and_b32_e32 v13, 0x8000, v13
	v_and_b32_e32 v6, 0xfc00, v6
	v_or3_b32 v6, v13, v6, v0
.LBB299_1461:                           ;   in Loop: Header=BB299_1059 Depth=1
	s_or_b32 exec_lo, exec_lo, s18
.LBB299_1462:                           ;   in Loop: Header=BB299_1059 Depth=1
	s_or_b32 exec_lo, exec_lo, s15
.LBB299_1463:                           ;   in Loop: Header=BB299_1059 Depth=1
	s_or_b32 exec_lo, exec_lo, s13
	v_lshrrev_b16 v0, 8, v11
	s_mov_b32 s13, exec_lo
	v_cmpx_ne_u16_e32 0, v0
	s_cbranch_execz .LBB299_1471
; %bb.1464:                             ;   in Loop: Header=BB299_1059 Depth=1
	v_bfrev_b32_e32 v5, 1
	s_mov_b32 s15, exec_lo
	v_cmpx_ne_u16_e32 0x80, v0
	s_cbranch_execz .LBB299_1470
; %bb.1465:                             ;   in Loop: Header=BB299_1059 Depth=1
	v_and_b32_sdwa v22, v0, v17 dst_sel:DWORD dst_unused:UNUSED_PAD src0_sel:WORD_0 src1_sel:DWORD
	v_mov_b32_e32 v5, 0x7c010000
	s_mov_b32 s18, exec_lo
	v_cmpx_ne_u32_e32 0x7f, v22
	s_cbranch_execz .LBB299_1469
; %bb.1466:                             ;   in Loop: Header=BB299_1059 Depth=1
	v_and_b32_sdwa v5, v0, v38 dst_sel:DWORD dst_unused:UNUSED_PAD src0_sel:WORD_0 src1_sel:DWORD
	v_lshrrev_b32_e32 v13, 3, v22
	s_mov_b32 s20, exec_lo
	v_cmpx_gt_u32_e32 8, v22
; %bb.1467:                             ;   in Loop: Header=BB299_1059 Depth=1
	v_ffbh_u32_e32 v5, v5
	v_min_u32_e32 v5, 32, v5
	v_subrev_nc_u32_e32 v13, 28, v5
	v_lshlrev_b64 v[33:34], v13, v[0:1]
	v_sub_nc_u32_e32 v13, 29, v5
	v_and_b32_e32 v5, 7, v33
; %bb.1468:                             ;   in Loop: Header=BB299_1059 Depth=1
	s_or_b32 exec_lo, exec_lo, s20
	v_lshlrev_b32_sdwa v0, v39, v0 dst_sel:DWORD dst_unused:UNUSED_PAD src0_sel:DWORD src1_sel:WORD_0
	v_lshl_add_u32 v13, v13, 10, 0x2000
	v_lshlrev_b32_e32 v5, 23, v5
	v_and_or_b32 v0, 0x8000, v0, v13
	v_lshl_or_b32 v5, v0, 16, v5
.LBB299_1469:                           ;   in Loop: Header=BB299_1059 Depth=1
	s_or_b32 exec_lo, exec_lo, s18
.LBB299_1470:                           ;   in Loop: Header=BB299_1059 Depth=1
	s_or_b32 exec_lo, exec_lo, s15
.LBB299_1471:                           ;   in Loop: Header=BB299_1059 Depth=1
	s_or_b32 exec_lo, exec_lo, s13
	v_lshrrev_b32_e32 v0, 16, v11
	v_mov_b32_e32 v13, 0
	v_mov_b32_e32 v22, 0
	v_cmp_ne_u16_sdwa s5, v0, v1 src0_sel:BYTE_0 src1_sel:DWORD
	s_and_saveexec_b32 s13, s5
	s_cbranch_execz .LBB299_1479
; %bb.1472:                             ;   in Loop: Header=BB299_1059 Depth=1
	v_cmp_ne_u16_sdwa s5, v0, v16 src0_sel:BYTE_0 src1_sel:DWORD
	v_mov_b32_e32 v22, 0x8000
	s_and_saveexec_b32 s15, s5
	s_cbranch_execz .LBB299_1478
; %bb.1473:                             ;   in Loop: Header=BB299_1059 Depth=1
	v_bfe_u32 v34, v11, 16, 7
	v_mov_b32_e32 v22, 0x7c01
	s_mov_b32 s18, exec_lo
	v_cmpx_ne_u32_e32 0x7f, v34
	s_cbranch_execz .LBB299_1477
; %bb.1474:                             ;   in Loop: Header=BB299_1059 Depth=1
	v_and_b32_e32 v22, 7, v0
	v_lshrrev_b32_e32 v33, 3, v34
	s_mov_b32 s20, exec_lo
	v_cmpx_gt_u32_e32 8, v34
; %bb.1475:                             ;   in Loop: Header=BB299_1059 Depth=1
	v_ffbh_u32_e32 v22, v22
	v_min_u32_e32 v22, 32, v22
	v_subrev_nc_u32_e32 v33, 28, v22
	v_lshlrev_b64 v[36:37], v33, v[0:1]
	v_sub_nc_u32_e32 v33, 29, v22
	v_and_b32_e32 v22, 7, v36
; %bb.1476:                             ;   in Loop: Header=BB299_1059 Depth=1
	s_or_b32 exec_lo, exec_lo, s20
	v_lshlrev_b32_e32 v0, 8, v0
	v_lshl_add_u32 v33, v33, 10, 0x2000
	v_lshlrev_b32_e32 v22, 7, v22
	v_and_b32_e32 v0, 0x8000, v0
	v_and_b32_e32 v33, 0xfc00, v33
	v_or3_b32 v22, v0, v33, v22
.LBB299_1477:                           ;   in Loop: Header=BB299_1059 Depth=1
	s_or_b32 exec_lo, exec_lo, s18
.LBB299_1478:                           ;   in Loop: Header=BB299_1059 Depth=1
	s_or_b32 exec_lo, exec_lo, s15
.LBB299_1479:                           ;   in Loop: Header=BB299_1059 Depth=1
	s_or_b32 exec_lo, exec_lo, s13
	s_mov_b32 s13, exec_lo
	v_cmpx_lt_u32_e32 0xffffff, v11
	s_cbranch_execz .LBB299_1487
; %bb.1480:                             ;   in Loop: Header=BB299_1059 Depth=1
	v_lshrrev_b32_e32 v0, 24, v11
	v_bfrev_b32_e32 v13, 1
	s_mov_b32 s15, exec_lo
	v_cmpx_ne_u32_e32 0x80, v0
	s_cbranch_execz .LBB299_1486
; %bb.1481:                             ;   in Loop: Header=BB299_1059 Depth=1
	v_and_b32_e32 v34, 0x7f, v0
	v_mov_b32_e32 v13, 0x7c010000
	s_mov_b32 s18, exec_lo
	v_cmpx_ne_u32_e32 0x7f, v34
	s_cbranch_execz .LBB299_1485
; %bb.1482:                             ;   in Loop: Header=BB299_1059 Depth=1
	v_and_b32_e32 v13, 7, v0
	v_lshrrev_b32_e32 v33, 3, v34
	s_mov_b32 s20, exec_lo
	v_cmpx_gt_u32_e32 8, v34
; %bb.1483:                             ;   in Loop: Header=BB299_1059 Depth=1
	v_ffbh_u32_e32 v13, v13
	v_min_u32_e32 v13, 32, v13
	v_subrev_nc_u32_e32 v33, 28, v13
	v_lshlrev_b64 v[36:37], v33, v[0:1]
	v_sub_nc_u32_e32 v33, 29, v13
	v_and_b32_e32 v13, 7, v36
; %bb.1484:                             ;   in Loop: Header=BB299_1059 Depth=1
	s_or_b32 exec_lo, exec_lo, s20
	v_lshlrev_b32_e32 v0, 8, v0
	v_lshl_add_u32 v33, v33, 10, 0x2000
	v_lshlrev_b32_e32 v13, 23, v13
	v_and_or_b32 v0, 0x8000, v0, v33
	v_lshl_or_b32 v13, v0, 16, v13
.LBB299_1485:                           ;   in Loop: Header=BB299_1059 Depth=1
	s_or_b32 exec_lo, exec_lo, s18
.LBB299_1486:                           ;   in Loop: Header=BB299_1059 Depth=1
	s_or_b32 exec_lo, exec_lo, s15
.LBB299_1487:                           ;   in Loop: Header=BB299_1059 Depth=1
	s_or_b32 exec_lo, exec_lo, s13
	v_mov_b32_e32 v0, v12
	v_cmp_ne_u16_sdwa s5, v12, v1 src0_sel:BYTE_0 src1_sel:DWORD
	v_mov_b32_e32 v33, 0
	v_mov_b32_e32 v34, 0
	s_and_saveexec_b32 s13, s5
	s_cbranch_execz .LBB299_1495
; %bb.1488:                             ;   in Loop: Header=BB299_1059 Depth=1
	v_cmp_ne_u16_sdwa s5, v12, v16 src0_sel:BYTE_0 src1_sel:DWORD
	v_mov_b32_e32 v34, 0x8000
	s_and_saveexec_b32 s15, s5
	s_cbranch_execz .LBB299_1494
; %bb.1489:                             ;   in Loop: Header=BB299_1059 Depth=1
	v_and_b32_e32 v37, 0x7f, v12
	v_mov_b32_e32 v34, 0x7c01
	s_mov_b32 s18, exec_lo
	v_cmpx_ne_u32_e32 0x7f, v37
	s_cbranch_execz .LBB299_1493
; %bb.1490:                             ;   in Loop: Header=BB299_1059 Depth=1
	v_and_b32_e32 v34, 7, v12
	v_lshrrev_b32_e32 v36, 3, v37
	s_mov_b32 s20, exec_lo
	v_cmpx_gt_u32_e32 8, v37
; %bb.1491:                             ;   in Loop: Header=BB299_1059 Depth=1
	v_ffbh_u32_e32 v34, v34
	v_min_u32_e32 v34, 32, v34
	v_subrev_nc_u32_e32 v36, 28, v34
	v_lshlrev_b64 v[102:103], v36, v[0:1]
	v_sub_nc_u32_e32 v36, 29, v34
	v_and_b32_e32 v34, 7, v102
; %bb.1492:                             ;   in Loop: Header=BB299_1059 Depth=1
	s_or_b32 exec_lo, exec_lo, s20
	v_lshlrev_b32_e32 v37, 8, v12
	v_lshl_add_u32 v36, v36, 10, 0x2000
	v_lshlrev_b32_e32 v34, 7, v34
	v_and_b32_e32 v37, 0x8000, v37
	v_and_b32_e32 v36, 0xfc00, v36
	v_or3_b32 v34, v37, v36, v34
.LBB299_1493:                           ;   in Loop: Header=BB299_1059 Depth=1
	s_or_b32 exec_lo, exec_lo, s18
.LBB299_1494:                           ;   in Loop: Header=BB299_1059 Depth=1
	s_or_b32 exec_lo, exec_lo, s15
.LBB299_1495:                           ;   in Loop: Header=BB299_1059 Depth=1
	s_or_b32 exec_lo, exec_lo, s13
	v_lshrrev_b16 v0, 8, v0
	v_mov_b32_e32 v36, 0
	s_mov_b32 s13, exec_lo
	v_cmpx_ne_u16_e32 0, v0
	s_cbranch_execz .LBB299_1503
; %bb.1496:                             ;   in Loop: Header=BB299_1059 Depth=1
	v_bfrev_b32_e32 v36, 1
	s_mov_b32 s15, exec_lo
	v_cmpx_ne_u16_e32 0x80, v0
	s_cbranch_execz .LBB299_1502
; %bb.1497:                             ;   in Loop: Header=BB299_1059 Depth=1
	v_and_b32_sdwa v102, v0, v17 dst_sel:DWORD dst_unused:UNUSED_PAD src0_sel:WORD_0 src1_sel:DWORD
	v_mov_b32_e32 v36, 0x7c010000
	s_mov_b32 s18, exec_lo
	v_cmpx_ne_u32_e32 0x7f, v102
	s_cbranch_execz .LBB299_1501
; %bb.1498:                             ;   in Loop: Header=BB299_1059 Depth=1
	v_and_b32_sdwa v36, v0, v38 dst_sel:DWORD dst_unused:UNUSED_PAD src0_sel:WORD_0 src1_sel:DWORD
	v_lshrrev_b32_e32 v37, 3, v102
	s_mov_b32 s20, exec_lo
	v_cmpx_gt_u32_e32 8, v102
; %bb.1499:                             ;   in Loop: Header=BB299_1059 Depth=1
	v_ffbh_u32_e32 v36, v36
	v_min_u32_e32 v102, 32, v36
	v_subrev_nc_u32_e32 v36, 28, v102
	v_lshlrev_b64 v[36:37], v36, v[0:1]
	v_sub_nc_u32_e32 v37, 29, v102
	v_and_b32_e32 v36, 7, v36
; %bb.1500:                             ;   in Loop: Header=BB299_1059 Depth=1
	s_or_b32 exec_lo, exec_lo, s20
	v_lshlrev_b32_sdwa v0, v39, v0 dst_sel:DWORD dst_unused:UNUSED_PAD src0_sel:DWORD src1_sel:WORD_0
	v_lshl_add_u32 v37, v37, 10, 0x2000
	v_lshlrev_b32_e32 v36, 23, v36
	v_and_or_b32 v0, 0x8000, v0, v37
	v_lshl_or_b32 v36, v0, 16, v36
.LBB299_1501:                           ;   in Loop: Header=BB299_1059 Depth=1
	s_or_b32 exec_lo, exec_lo, s18
.LBB299_1502:                           ;   in Loop: Header=BB299_1059 Depth=1
	s_or_b32 exec_lo, exec_lo, s15
.LBB299_1503:                           ;   in Loop: Header=BB299_1059 Depth=1
	s_or_b32 exec_lo, exec_lo, s13
	v_lshrrev_b32_e32 v0, 16, v12
	v_cmp_ne_u16_sdwa s5, v0, v1 src0_sel:BYTE_0 src1_sel:DWORD
	s_and_saveexec_b32 s13, s5
	s_cbranch_execz .LBB299_1511
; %bb.1504:                             ;   in Loop: Header=BB299_1059 Depth=1
	v_cmp_ne_u16_sdwa s5, v0, v16 src0_sel:BYTE_0 src1_sel:DWORD
	v_mov_b32_e32 v33, 0x8000
	s_and_saveexec_b32 s15, s5
	s_cbranch_execz .LBB299_1510
; %bb.1505:                             ;   in Loop: Header=BB299_1059 Depth=1
	v_bfe_u32 v102, v12, 16, 7
	v_mov_b32_e32 v33, 0x7c01
	s_mov_b32 s18, exec_lo
	v_cmpx_ne_u32_e32 0x7f, v102
	s_cbranch_execz .LBB299_1509
; %bb.1506:                             ;   in Loop: Header=BB299_1059 Depth=1
	v_and_b32_e32 v33, 7, v0
	v_lshrrev_b32_e32 v37, 3, v102
	s_mov_b32 s20, exec_lo
	v_cmpx_gt_u32_e32 8, v102
; %bb.1507:                             ;   in Loop: Header=BB299_1059 Depth=1
	v_ffbh_u32_e32 v33, v33
	v_min_u32_e32 v33, 32, v33
	v_subrev_nc_u32_e32 v37, 28, v33
	v_lshlrev_b64 v[102:103], v37, v[0:1]
	v_sub_nc_u32_e32 v37, 29, v33
	v_and_b32_e32 v33, 7, v102
; %bb.1508:                             ;   in Loop: Header=BB299_1059 Depth=1
	s_or_b32 exec_lo, exec_lo, s20
	v_lshlrev_b32_e32 v0, 8, v0
	v_lshl_add_u32 v37, v37, 10, 0x2000
	v_lshlrev_b32_e32 v33, 7, v33
	v_and_b32_e32 v0, 0x8000, v0
	v_and_b32_e32 v37, 0xfc00, v37
	v_or3_b32 v33, v0, v37, v33
.LBB299_1509:                           ;   in Loop: Header=BB299_1059 Depth=1
	s_or_b32 exec_lo, exec_lo, s18
.LBB299_1510:                           ;   in Loop: Header=BB299_1059 Depth=1
	s_or_b32 exec_lo, exec_lo, s15
.LBB299_1511:                           ;   in Loop: Header=BB299_1059 Depth=1
	s_or_b32 exec_lo, exec_lo, s13
	v_cmp_lt_u64_e64 s5, s[8:9], v[11:12]
	v_mov_b32_e32 v11, 0
	s_and_saveexec_b32 s13, s5
	s_cbranch_execz .LBB299_1519
; %bb.1512:                             ;   in Loop: Header=BB299_1059 Depth=1
	v_lshrrev_b32_e32 v0, 24, v12
	v_bfrev_b32_e32 v11, 1
	s_mov_b32 s15, exec_lo
	v_cmpx_ne_u32_e32 0x80, v0
	s_cbranch_execz .LBB299_1518
; %bb.1513:                             ;   in Loop: Header=BB299_1059 Depth=1
	v_and_b32_e32 v37, 0x7f, v0
	v_mov_b32_e32 v11, 0x7c010000
	s_mov_b32 s18, exec_lo
	v_cmpx_ne_u32_e32 0x7f, v37
	s_cbranch_execz .LBB299_1517
; %bb.1514:                             ;   in Loop: Header=BB299_1059 Depth=1
	v_and_b32_e32 v11, 7, v0
	v_lshrrev_b32_e32 v12, 3, v37
	s_mov_b32 s20, exec_lo
	v_cmpx_gt_u32_e32 8, v37
; %bb.1515:                             ;   in Loop: Header=BB299_1059 Depth=1
	v_ffbh_u32_e32 v11, v11
	v_min_u32_e32 v37, 32, v11
	v_subrev_nc_u32_e32 v11, 28, v37
	v_lshlrev_b64 v[11:12], v11, v[0:1]
	v_sub_nc_u32_e32 v12, 29, v37
	v_and_b32_e32 v11, 7, v11
; %bb.1516:                             ;   in Loop: Header=BB299_1059 Depth=1
	s_or_b32 exec_lo, exec_lo, s20
	v_lshlrev_b32_e32 v0, 8, v0
	v_lshl_add_u32 v12, v12, 10, 0x2000
	v_lshlrev_b32_e32 v11, 23, v11
	v_and_or_b32 v0, 0x8000, v0, v12
	v_lshl_or_b32 v11, v0, 16, v11
.LBB299_1517:                           ;   in Loop: Header=BB299_1059 Depth=1
	s_or_b32 exec_lo, exec_lo, s18
.LBB299_1518:                           ;   in Loop: Header=BB299_1059 Depth=1
	s_or_b32 exec_lo, exec_lo, s15
.LBB299_1519:                           ;   in Loop: Header=BB299_1059 Depth=1
	s_or_b32 exec_lo, exec_lo, s13
	v_or_b32_e32 v0, v13, v22
	s_waitcnt vmcnt(0) lgkmcnt(0)
	v_fma_mixlo_f16 v12, v4, v13, 0 op_sel:[0,1,0] op_sel_hi:[0,1,0]
	v_or_b32_e32 v6, v5, v6
	v_fma_mixlo_f16 v5, v4, v5, 0 op_sel:[0,1,0] op_sel_hi:[0,1,0]
	v_or_b32_e32 v13, v36, v34
	v_fma_mixlo_f16 v22, v4, v0, 0 op_sel_hi:[0,1,0]
	v_or_b32_e32 v33, v11, v33
	v_lshlrev_b32_e32 v0, 16, v12
	v_lshlrev_b32_e32 v12, 16, v5
	v_fma_mixlo_f16 v6, v4, v6, 0 op_sel_hi:[0,1,0]
	v_and_b32_e32 v5, 0xffff, v22
	v_fma_mixlo_f16 v22, v4, v36, 0 op_sel:[0,1,0] op_sel_hi:[0,1,0]
	v_fma_mixlo_f16 v13, v4, v13, 0 op_sel_hi:[0,1,0]
	v_fma_mixlo_f16 v11, v4, v11, 0 op_sel:[0,1,0] op_sel_hi:[0,1,0]
	v_fma_mixlo_f16 v33, v4, v33, 0 op_sel_hi:[0,1,0]
	v_and_b32_e32 v37, 0xffff, v6
	v_lshlrev_b32_e32 v6, 16, v22
	v_and_b32_e32 v22, 0xffff, v13
	v_lshlrev_b32_e32 v4, 16, v11
	v_and_b32_e32 v11, 0xffff, v33
	v_or_b32_e32 v13, v0, v5
	v_or_b32_e32 v36, v12, v37
	;; [unrolled: 1-line block ×4, first 2 shown]
	s_and_saveexec_b32 s13, vcc_lo
	s_cbranch_execz .LBB299_1521
; %bb.1520:                             ;   in Loop: Header=BB299_1059 Depth=1
	v_cmp_lt_i32_e64 s5, v48, v35
	v_cndmask_b32_e64 v13, 0, v37, s5
	v_cmp_lt_i32_e64 s5, v83, v35
	v_cndmask_b32_e64 v12, 0, v12, s5
	v_cmp_lt_i32_e64 s5, v82, v35
	v_or_b32_e32 v36, v13, v12
	v_cndmask_b32_e64 v5, 0, v5, s5
	v_cmp_lt_i32_e64 s5, v81, v35
	v_cndmask_b32_e64 v0, 0, v0, s5
	v_cmp_lt_i32_e64 s5, v80, v35
	v_or_b32_e32 v13, v5, v0
	;; [unrolled: 5-line block ×3, first 2 shown]
	v_cndmask_b32_e64 v11, 0, v11, s5
	v_cmp_lt_i32_e64 s5, v14, v35
	v_cndmask_b32_e64 v4, 0, v4, s5
	v_or_b32_e32 v33, v11, v4
.LBB299_1521:                           ;   in Loop: Header=BB299_1059 Depth=1
	s_or_b32 exec_lo, exec_lo, s13
	;;#ASMSTART
	v_pk_mul_f16 v0, v68, v36;

	;;#ASMEND
	;;#ASMSTART
	v_pk_mul_f16 v4, v66, v13;

	;;#ASMEND
	;; [unrolled: 4-line block ×4, first 2 shown]
	;;#ASMSTART
	v_pk_add_f16 v0, v0, v4;

	;;#ASMEND
	;;#ASMSTART
	v_pk_add_f16 v0, v0, v5;

	;;#ASMEND
	;; [unrolled: 4-line block ×3, first 2 shown]
	v_and_b32_e32 v4, 0xffff, v0
	v_lshrrev_b32_e32 v0, 16, v0
	;;#ASMSTART
	v_cvt_f32_f16 v102, v4;
	;;#ASMEND
	;;#ASMSTART
	v_cvt_f32_f16 v103, v0;
	;;#ASMEND
	flat_load_dwordx2 v[11:12], v[9:10] offset:1792
	flat_load_dword v4, v[26:27]
	v_mov_b32_e32 v5, 0
	v_mov_b32_e32 v6, 0
	s_waitcnt vmcnt(1) lgkmcnt(1)
	v_cmp_ne_u16_sdwa s5, v11, v1 src0_sel:BYTE_0 src1_sel:DWORD
	s_and_saveexec_b32 s13, s5
	s_cbranch_execz .LBB299_1529
; %bb.1522:                             ;   in Loop: Header=BB299_1059 Depth=1
	v_cmp_ne_u16_sdwa s5, v11, v16 src0_sel:BYTE_0 src1_sel:DWORD
	v_mov_b32_e32 v6, 0x8000
	s_and_saveexec_b32 s15, s5
	s_cbranch_execz .LBB299_1528
; %bb.1523:                             ;   in Loop: Header=BB299_1059 Depth=1
	v_and_b32_e32 v13, 0x7f, v11
	v_mov_b32_e32 v6, 0x7c01
	s_mov_b32 s18, exec_lo
	v_cmpx_ne_u32_e32 0x7f, v13
	s_cbranch_execz .LBB299_1527
; %bb.1524:                             ;   in Loop: Header=BB299_1059 Depth=1
	v_and_b32_e32 v0, 7, v11
	v_lshrrev_b32_e32 v6, 3, v13
	s_mov_b32 s20, exec_lo
	v_cmpx_gt_u32_e32 8, v13
; %bb.1525:                             ;   in Loop: Header=BB299_1059 Depth=1
	v_ffbh_u32_e32 v0, v0
	v_min_u32_e32 v0, 32, v0
	v_subrev_nc_u32_e32 v6, 28, v0
	v_lshlrev_b64 v[33:34], v6, v[11:12]
	v_sub_nc_u32_e32 v6, 29, v0
	v_and_b32_e32 v0, 7, v33
; %bb.1526:                             ;   in Loop: Header=BB299_1059 Depth=1
	s_or_b32 exec_lo, exec_lo, s20
	v_lshlrev_b32_e32 v13, 8, v11
	v_lshl_add_u32 v6, v6, 10, 0x2000
	v_lshlrev_b32_e32 v0, 7, v0
	v_and_b32_e32 v13, 0x8000, v13
	v_and_b32_e32 v6, 0xfc00, v6
	v_or3_b32 v6, v13, v6, v0
.LBB299_1527:                           ;   in Loop: Header=BB299_1059 Depth=1
	s_or_b32 exec_lo, exec_lo, s18
.LBB299_1528:                           ;   in Loop: Header=BB299_1059 Depth=1
	s_or_b32 exec_lo, exec_lo, s15
.LBB299_1529:                           ;   in Loop: Header=BB299_1059 Depth=1
	s_or_b32 exec_lo, exec_lo, s13
	v_lshrrev_b16 v0, 8, v11
	s_mov_b32 s13, exec_lo
	v_cmpx_ne_u16_e32 0, v0
	s_cbranch_execz .LBB299_1537
; %bb.1530:                             ;   in Loop: Header=BB299_1059 Depth=1
	v_bfrev_b32_e32 v5, 1
	s_mov_b32 s15, exec_lo
	v_cmpx_ne_u16_e32 0x80, v0
	s_cbranch_execz .LBB299_1536
; %bb.1531:                             ;   in Loop: Header=BB299_1059 Depth=1
	v_and_b32_sdwa v22, v0, v17 dst_sel:DWORD dst_unused:UNUSED_PAD src0_sel:WORD_0 src1_sel:DWORD
	v_mov_b32_e32 v5, 0x7c010000
	s_mov_b32 s18, exec_lo
	v_cmpx_ne_u32_e32 0x7f, v22
	s_cbranch_execz .LBB299_1535
; %bb.1532:                             ;   in Loop: Header=BB299_1059 Depth=1
	v_and_b32_sdwa v5, v0, v38 dst_sel:DWORD dst_unused:UNUSED_PAD src0_sel:WORD_0 src1_sel:DWORD
	v_lshrrev_b32_e32 v13, 3, v22
	s_mov_b32 s20, exec_lo
	v_cmpx_gt_u32_e32 8, v22
; %bb.1533:                             ;   in Loop: Header=BB299_1059 Depth=1
	v_ffbh_u32_e32 v5, v5
	v_min_u32_e32 v5, 32, v5
	v_subrev_nc_u32_e32 v13, 28, v5
	v_lshlrev_b64 v[33:34], v13, v[0:1]
	v_sub_nc_u32_e32 v13, 29, v5
	v_and_b32_e32 v5, 7, v33
; %bb.1534:                             ;   in Loop: Header=BB299_1059 Depth=1
	s_or_b32 exec_lo, exec_lo, s20
	v_lshlrev_b32_sdwa v0, v39, v0 dst_sel:DWORD dst_unused:UNUSED_PAD src0_sel:DWORD src1_sel:WORD_0
	v_lshl_add_u32 v13, v13, 10, 0x2000
	v_lshlrev_b32_e32 v5, 23, v5
	v_and_or_b32 v0, 0x8000, v0, v13
	v_lshl_or_b32 v5, v0, 16, v5
.LBB299_1535:                           ;   in Loop: Header=BB299_1059 Depth=1
	s_or_b32 exec_lo, exec_lo, s18
.LBB299_1536:                           ;   in Loop: Header=BB299_1059 Depth=1
	s_or_b32 exec_lo, exec_lo, s15
.LBB299_1537:                           ;   in Loop: Header=BB299_1059 Depth=1
	s_or_b32 exec_lo, exec_lo, s13
	v_lshrrev_b32_e32 v0, 16, v11
	v_mov_b32_e32 v13, 0
	v_mov_b32_e32 v22, 0
	v_cmp_ne_u16_sdwa s5, v0, v1 src0_sel:BYTE_0 src1_sel:DWORD
	s_and_saveexec_b32 s13, s5
	s_cbranch_execz .LBB299_1545
; %bb.1538:                             ;   in Loop: Header=BB299_1059 Depth=1
	v_cmp_ne_u16_sdwa s5, v0, v16 src0_sel:BYTE_0 src1_sel:DWORD
	v_mov_b32_e32 v22, 0x8000
	s_and_saveexec_b32 s15, s5
	s_cbranch_execz .LBB299_1544
; %bb.1539:                             ;   in Loop: Header=BB299_1059 Depth=1
	v_bfe_u32 v34, v11, 16, 7
	v_mov_b32_e32 v22, 0x7c01
	s_mov_b32 s18, exec_lo
	v_cmpx_ne_u32_e32 0x7f, v34
	s_cbranch_execz .LBB299_1543
; %bb.1540:                             ;   in Loop: Header=BB299_1059 Depth=1
	v_and_b32_e32 v22, 7, v0
	v_lshrrev_b32_e32 v33, 3, v34
	s_mov_b32 s20, exec_lo
	v_cmpx_gt_u32_e32 8, v34
; %bb.1541:                             ;   in Loop: Header=BB299_1059 Depth=1
	v_ffbh_u32_e32 v22, v22
	v_min_u32_e32 v22, 32, v22
	v_subrev_nc_u32_e32 v33, 28, v22
	v_lshlrev_b64 v[36:37], v33, v[0:1]
	v_sub_nc_u32_e32 v33, 29, v22
	v_and_b32_e32 v22, 7, v36
; %bb.1542:                             ;   in Loop: Header=BB299_1059 Depth=1
	s_or_b32 exec_lo, exec_lo, s20
	v_lshlrev_b32_e32 v0, 8, v0
	v_lshl_add_u32 v33, v33, 10, 0x2000
	v_lshlrev_b32_e32 v22, 7, v22
	v_and_b32_e32 v0, 0x8000, v0
	v_and_b32_e32 v33, 0xfc00, v33
	v_or3_b32 v22, v0, v33, v22
.LBB299_1543:                           ;   in Loop: Header=BB299_1059 Depth=1
	s_or_b32 exec_lo, exec_lo, s18
.LBB299_1544:                           ;   in Loop: Header=BB299_1059 Depth=1
	s_or_b32 exec_lo, exec_lo, s15
.LBB299_1545:                           ;   in Loop: Header=BB299_1059 Depth=1
	s_or_b32 exec_lo, exec_lo, s13
	s_mov_b32 s13, exec_lo
	v_cmpx_lt_u32_e32 0xffffff, v11
	s_cbranch_execz .LBB299_1553
; %bb.1546:                             ;   in Loop: Header=BB299_1059 Depth=1
	v_lshrrev_b32_e32 v0, 24, v11
	v_bfrev_b32_e32 v13, 1
	s_mov_b32 s15, exec_lo
	v_cmpx_ne_u32_e32 0x80, v0
	s_cbranch_execz .LBB299_1552
; %bb.1547:                             ;   in Loop: Header=BB299_1059 Depth=1
	v_and_b32_e32 v34, 0x7f, v0
	v_mov_b32_e32 v13, 0x7c010000
	s_mov_b32 s18, exec_lo
	v_cmpx_ne_u32_e32 0x7f, v34
	s_cbranch_execz .LBB299_1551
; %bb.1548:                             ;   in Loop: Header=BB299_1059 Depth=1
	v_and_b32_e32 v13, 7, v0
	v_lshrrev_b32_e32 v33, 3, v34
	s_mov_b32 s20, exec_lo
	v_cmpx_gt_u32_e32 8, v34
; %bb.1549:                             ;   in Loop: Header=BB299_1059 Depth=1
	v_ffbh_u32_e32 v13, v13
	v_min_u32_e32 v13, 32, v13
	v_subrev_nc_u32_e32 v33, 28, v13
	v_lshlrev_b64 v[36:37], v33, v[0:1]
	v_sub_nc_u32_e32 v33, 29, v13
	v_and_b32_e32 v13, 7, v36
; %bb.1550:                             ;   in Loop: Header=BB299_1059 Depth=1
	s_or_b32 exec_lo, exec_lo, s20
	v_lshlrev_b32_e32 v0, 8, v0
	v_lshl_add_u32 v33, v33, 10, 0x2000
	v_lshlrev_b32_e32 v13, 23, v13
	v_and_or_b32 v0, 0x8000, v0, v33
	v_lshl_or_b32 v13, v0, 16, v13
.LBB299_1551:                           ;   in Loop: Header=BB299_1059 Depth=1
	s_or_b32 exec_lo, exec_lo, s18
.LBB299_1552:                           ;   in Loop: Header=BB299_1059 Depth=1
	s_or_b32 exec_lo, exec_lo, s15
.LBB299_1553:                           ;   in Loop: Header=BB299_1059 Depth=1
	s_or_b32 exec_lo, exec_lo, s13
	v_mov_b32_e32 v0, v12
	v_cmp_ne_u16_sdwa s5, v12, v1 src0_sel:BYTE_0 src1_sel:DWORD
	v_mov_b32_e32 v33, 0
	v_mov_b32_e32 v34, 0
	s_and_saveexec_b32 s13, s5
	s_cbranch_execz .LBB299_1561
; %bb.1554:                             ;   in Loop: Header=BB299_1059 Depth=1
	v_cmp_ne_u16_sdwa s5, v12, v16 src0_sel:BYTE_0 src1_sel:DWORD
	v_mov_b32_e32 v34, 0x8000
	s_and_saveexec_b32 s15, s5
	s_cbranch_execz .LBB299_1560
; %bb.1555:                             ;   in Loop: Header=BB299_1059 Depth=1
	v_and_b32_e32 v37, 0x7f, v12
	v_mov_b32_e32 v34, 0x7c01
	s_mov_b32 s18, exec_lo
	v_cmpx_ne_u32_e32 0x7f, v37
	s_cbranch_execz .LBB299_1559
; %bb.1556:                             ;   in Loop: Header=BB299_1059 Depth=1
	v_and_b32_e32 v34, 7, v12
	v_lshrrev_b32_e32 v36, 3, v37
	s_mov_b32 s20, exec_lo
	v_cmpx_gt_u32_e32 8, v37
; %bb.1557:                             ;   in Loop: Header=BB299_1059 Depth=1
	v_ffbh_u32_e32 v34, v34
	v_min_u32_e32 v34, 32, v34
	v_subrev_nc_u32_e32 v36, 28, v34
	v_lshlrev_b64 v[112:113], v36, v[0:1]
	v_sub_nc_u32_e32 v36, 29, v34
	v_and_b32_e32 v34, 7, v112
; %bb.1558:                             ;   in Loop: Header=BB299_1059 Depth=1
	s_or_b32 exec_lo, exec_lo, s20
	v_lshlrev_b32_e32 v37, 8, v12
	v_lshl_add_u32 v36, v36, 10, 0x2000
	v_lshlrev_b32_e32 v34, 7, v34
	v_and_b32_e32 v37, 0x8000, v37
	v_and_b32_e32 v36, 0xfc00, v36
	v_or3_b32 v34, v37, v36, v34
.LBB299_1559:                           ;   in Loop: Header=BB299_1059 Depth=1
	s_or_b32 exec_lo, exec_lo, s18
.LBB299_1560:                           ;   in Loop: Header=BB299_1059 Depth=1
	s_or_b32 exec_lo, exec_lo, s15
.LBB299_1561:                           ;   in Loop: Header=BB299_1059 Depth=1
	s_or_b32 exec_lo, exec_lo, s13
	v_lshrrev_b16 v0, 8, v0
	v_mov_b32_e32 v36, 0
	s_mov_b32 s13, exec_lo
	v_cmpx_ne_u16_e32 0, v0
	s_cbranch_execz .LBB299_1569
; %bb.1562:                             ;   in Loop: Header=BB299_1059 Depth=1
	v_bfrev_b32_e32 v36, 1
	s_mov_b32 s15, exec_lo
	v_cmpx_ne_u16_e32 0x80, v0
	s_cbranch_execz .LBB299_1568
; %bb.1563:                             ;   in Loop: Header=BB299_1059 Depth=1
	v_and_b32_sdwa v112, v0, v17 dst_sel:DWORD dst_unused:UNUSED_PAD src0_sel:WORD_0 src1_sel:DWORD
	v_mov_b32_e32 v36, 0x7c010000
	s_mov_b32 s18, exec_lo
	v_cmpx_ne_u32_e32 0x7f, v112
	s_cbranch_execz .LBB299_1567
; %bb.1564:                             ;   in Loop: Header=BB299_1059 Depth=1
	v_and_b32_sdwa v36, v0, v38 dst_sel:DWORD dst_unused:UNUSED_PAD src0_sel:WORD_0 src1_sel:DWORD
	v_lshrrev_b32_e32 v37, 3, v112
	s_mov_b32 s20, exec_lo
	v_cmpx_gt_u32_e32 8, v112
; %bb.1565:                             ;   in Loop: Header=BB299_1059 Depth=1
	v_ffbh_u32_e32 v36, v36
	v_min_u32_e32 v112, 32, v36
	v_subrev_nc_u32_e32 v36, 28, v112
	v_lshlrev_b64 v[36:37], v36, v[0:1]
	v_sub_nc_u32_e32 v37, 29, v112
	v_and_b32_e32 v36, 7, v36
; %bb.1566:                             ;   in Loop: Header=BB299_1059 Depth=1
	s_or_b32 exec_lo, exec_lo, s20
	v_lshlrev_b32_sdwa v0, v39, v0 dst_sel:DWORD dst_unused:UNUSED_PAD src0_sel:DWORD src1_sel:WORD_0
	v_lshl_add_u32 v37, v37, 10, 0x2000
	v_lshlrev_b32_e32 v36, 23, v36
	v_and_or_b32 v0, 0x8000, v0, v37
	v_lshl_or_b32 v36, v0, 16, v36
.LBB299_1567:                           ;   in Loop: Header=BB299_1059 Depth=1
	s_or_b32 exec_lo, exec_lo, s18
.LBB299_1568:                           ;   in Loop: Header=BB299_1059 Depth=1
	s_or_b32 exec_lo, exec_lo, s15
.LBB299_1569:                           ;   in Loop: Header=BB299_1059 Depth=1
	s_or_b32 exec_lo, exec_lo, s13
	v_lshrrev_b32_e32 v0, 16, v12
	v_cmp_ne_u16_sdwa s5, v0, v1 src0_sel:BYTE_0 src1_sel:DWORD
	s_and_saveexec_b32 s13, s5
	s_cbranch_execz .LBB299_1577
; %bb.1570:                             ;   in Loop: Header=BB299_1059 Depth=1
	v_cmp_ne_u16_sdwa s5, v0, v16 src0_sel:BYTE_0 src1_sel:DWORD
	v_mov_b32_e32 v33, 0x8000
	s_and_saveexec_b32 s15, s5
	s_cbranch_execz .LBB299_1576
; %bb.1571:                             ;   in Loop: Header=BB299_1059 Depth=1
	v_bfe_u32 v112, v12, 16, 7
	v_mov_b32_e32 v33, 0x7c01
	s_mov_b32 s18, exec_lo
	v_cmpx_ne_u32_e32 0x7f, v112
	s_cbranch_execz .LBB299_1575
; %bb.1572:                             ;   in Loop: Header=BB299_1059 Depth=1
	v_and_b32_e32 v33, 7, v0
	v_lshrrev_b32_e32 v37, 3, v112
	s_mov_b32 s20, exec_lo
	v_cmpx_gt_u32_e32 8, v112
; %bb.1573:                             ;   in Loop: Header=BB299_1059 Depth=1
	v_ffbh_u32_e32 v33, v33
	v_min_u32_e32 v33, 32, v33
	v_subrev_nc_u32_e32 v37, 28, v33
	v_lshlrev_b64 v[112:113], v37, v[0:1]
	v_sub_nc_u32_e32 v37, 29, v33
	v_and_b32_e32 v33, 7, v112
; %bb.1574:                             ;   in Loop: Header=BB299_1059 Depth=1
	s_or_b32 exec_lo, exec_lo, s20
	v_lshlrev_b32_e32 v0, 8, v0
	v_lshl_add_u32 v37, v37, 10, 0x2000
	v_lshlrev_b32_e32 v33, 7, v33
	v_and_b32_e32 v0, 0x8000, v0
	v_and_b32_e32 v37, 0xfc00, v37
	v_or3_b32 v33, v0, v37, v33
.LBB299_1575:                           ;   in Loop: Header=BB299_1059 Depth=1
	s_or_b32 exec_lo, exec_lo, s18
.LBB299_1576:                           ;   in Loop: Header=BB299_1059 Depth=1
	s_or_b32 exec_lo, exec_lo, s15
.LBB299_1577:                           ;   in Loop: Header=BB299_1059 Depth=1
	s_or_b32 exec_lo, exec_lo, s13
	v_cmp_lt_u64_e64 s5, s[8:9], v[11:12]
	v_mov_b32_e32 v11, 0
	s_and_saveexec_b32 s13, s5
	s_cbranch_execz .LBB299_1585
; %bb.1578:                             ;   in Loop: Header=BB299_1059 Depth=1
	v_lshrrev_b32_e32 v0, 24, v12
	v_bfrev_b32_e32 v11, 1
	s_mov_b32 s15, exec_lo
	v_cmpx_ne_u32_e32 0x80, v0
	s_cbranch_execz .LBB299_1584
; %bb.1579:                             ;   in Loop: Header=BB299_1059 Depth=1
	v_and_b32_e32 v37, 0x7f, v0
	v_mov_b32_e32 v11, 0x7c010000
	s_mov_b32 s18, exec_lo
	v_cmpx_ne_u32_e32 0x7f, v37
	s_cbranch_execz .LBB299_1583
; %bb.1580:                             ;   in Loop: Header=BB299_1059 Depth=1
	v_and_b32_e32 v11, 7, v0
	v_lshrrev_b32_e32 v12, 3, v37
	s_mov_b32 s20, exec_lo
	v_cmpx_gt_u32_e32 8, v37
; %bb.1581:                             ;   in Loop: Header=BB299_1059 Depth=1
	v_ffbh_u32_e32 v11, v11
	v_min_u32_e32 v37, 32, v11
	v_subrev_nc_u32_e32 v11, 28, v37
	v_lshlrev_b64 v[11:12], v11, v[0:1]
	v_sub_nc_u32_e32 v12, 29, v37
	v_and_b32_e32 v11, 7, v11
; %bb.1582:                             ;   in Loop: Header=BB299_1059 Depth=1
	s_or_b32 exec_lo, exec_lo, s20
	v_lshlrev_b32_e32 v0, 8, v0
	v_lshl_add_u32 v12, v12, 10, 0x2000
	v_lshlrev_b32_e32 v11, 23, v11
	v_and_or_b32 v0, 0x8000, v0, v12
	v_lshl_or_b32 v11, v0, 16, v11
.LBB299_1583:                           ;   in Loop: Header=BB299_1059 Depth=1
	s_or_b32 exec_lo, exec_lo, s18
.LBB299_1584:                           ;   in Loop: Header=BB299_1059 Depth=1
	s_or_b32 exec_lo, exec_lo, s15
.LBB299_1585:                           ;   in Loop: Header=BB299_1059 Depth=1
	s_or_b32 exec_lo, exec_lo, s13
	v_or_b32_e32 v0, v13, v22
	s_waitcnt vmcnt(0) lgkmcnt(0)
	v_fma_mixlo_f16 v12, v4, v13, 0 op_sel:[0,1,0] op_sel_hi:[0,1,0]
	v_or_b32_e32 v6, v5, v6
	v_fma_mixlo_f16 v5, v4, v5, 0 op_sel:[0,1,0] op_sel_hi:[0,1,0]
	v_or_b32_e32 v13, v36, v34
	v_fma_mixlo_f16 v22, v4, v0, 0 op_sel_hi:[0,1,0]
	v_or_b32_e32 v33, v11, v33
	v_lshlrev_b32_e32 v0, 16, v12
	v_lshlrev_b32_e32 v12, 16, v5
	v_fma_mixlo_f16 v6, v4, v6, 0 op_sel_hi:[0,1,0]
	v_and_b32_e32 v5, 0xffff, v22
	v_fma_mixlo_f16 v22, v4, v36, 0 op_sel:[0,1,0] op_sel_hi:[0,1,0]
	v_fma_mixlo_f16 v13, v4, v13, 0 op_sel_hi:[0,1,0]
	v_fma_mixlo_f16 v11, v4, v11, 0 op_sel:[0,1,0] op_sel_hi:[0,1,0]
	v_fma_mixlo_f16 v33, v4, v33, 0 op_sel_hi:[0,1,0]
	v_and_b32_e32 v37, 0xffff, v6
	v_lshlrev_b32_e32 v6, 16, v22
	v_and_b32_e32 v22, 0xffff, v13
	v_lshlrev_b32_e32 v4, 16, v11
	v_and_b32_e32 v11, 0xffff, v33
	v_or_b32_e32 v13, v0, v5
	v_or_b32_e32 v36, v12, v37
	;; [unrolled: 1-line block ×4, first 2 shown]
	s_and_saveexec_b32 s13, vcc_lo
	s_cbranch_execz .LBB299_1587
; %bb.1586:                             ;   in Loop: Header=BB299_1059 Depth=1
	v_cmp_lt_i32_e64 s5, v48, v35
	v_cndmask_b32_e64 v13, 0, v37, s5
	v_cmp_lt_i32_e64 s5, v83, v35
	v_cndmask_b32_e64 v12, 0, v12, s5
	v_cmp_lt_i32_e64 s5, v82, v35
	v_or_b32_e32 v36, v13, v12
	v_cndmask_b32_e64 v5, 0, v5, s5
	v_cmp_lt_i32_e64 s5, v81, v35
	v_cndmask_b32_e64 v0, 0, v0, s5
	v_cmp_lt_i32_e64 s5, v80, v35
	v_or_b32_e32 v13, v5, v0
	;; [unrolled: 5-line block ×3, first 2 shown]
	v_cndmask_b32_e64 v11, 0, v11, s5
	v_cmp_lt_i32_e64 s5, v14, v35
	v_cndmask_b32_e64 v4, 0, v4, s5
	v_or_b32_e32 v33, v11, v4
.LBB299_1587:                           ;   in Loop: Header=BB299_1059 Depth=1
	s_or_b32 exec_lo, exec_lo, s13
	v_add_co_u32 v9, s5, 0x800, v9
	v_add_co_ci_u32_e64 v10, null, 0, v10, s5
	;;#ASMSTART
	v_pk_mul_f16 v0, v68, v36;

	;;#ASMEND
	;;#ASMSTART
	v_pk_mul_f16 v4, v66, v13;

	;;#ASMEND
	;; [unrolled: 4-line block ×4, first 2 shown]
	;;#ASMSTART
	v_pk_add_f16 v0, v0, v4;

	;;#ASMEND
	;;#ASMSTART
	v_pk_add_f16 v0, v0, v5;

	;;#ASMEND
	;; [unrolled: 4-line block ×3, first 2 shown]
	v_lshrrev_b32_e32 v4, 16, v0
	v_and_b32_e32 v0, 0xffff, v0
	;;#ASMSTART
	v_cvt_f32_f16 v112, v0;
	;;#ASMEND
	;;#ASMSTART
	v_cvt_f32_f16 v113, v4;
	;;#ASMEND
	flat_load_dwordx2 v[11:12], v[9:10]
	flat_load_dword v4, v[26:27]
	v_mov_b32_e32 v5, 0
	v_mov_b32_e32 v6, 0
	s_waitcnt vmcnt(1) lgkmcnt(1)
	v_cmp_ne_u16_sdwa s5, v11, v1 src0_sel:BYTE_0 src1_sel:DWORD
	s_and_saveexec_b32 s13, s5
	s_cbranch_execz .LBB299_1595
; %bb.1588:                             ;   in Loop: Header=BB299_1059 Depth=1
	v_cmp_ne_u16_sdwa s5, v11, v16 src0_sel:BYTE_0 src1_sel:DWORD
	v_mov_b32_e32 v6, 0x8000
	s_and_saveexec_b32 s15, s5
	s_cbranch_execz .LBB299_1594
; %bb.1589:                             ;   in Loop: Header=BB299_1059 Depth=1
	v_and_b32_e32 v13, 0x7f, v11
	v_mov_b32_e32 v6, 0x7c01
	s_mov_b32 s18, exec_lo
	v_cmpx_ne_u32_e32 0x7f, v13
	s_cbranch_execz .LBB299_1593
; %bb.1590:                             ;   in Loop: Header=BB299_1059 Depth=1
	v_and_b32_e32 v0, 7, v11
	v_lshrrev_b32_e32 v6, 3, v13
	s_mov_b32 s20, exec_lo
	v_cmpx_gt_u32_e32 8, v13
; %bb.1591:                             ;   in Loop: Header=BB299_1059 Depth=1
	v_ffbh_u32_e32 v0, v0
	v_min_u32_e32 v0, 32, v0
	v_subrev_nc_u32_e32 v6, 28, v0
	v_lshlrev_b64 v[33:34], v6, v[11:12]
	v_sub_nc_u32_e32 v6, 29, v0
	v_and_b32_e32 v0, 7, v33
; %bb.1592:                             ;   in Loop: Header=BB299_1059 Depth=1
	s_or_b32 exec_lo, exec_lo, s20
	v_lshlrev_b32_e32 v13, 8, v11
	v_lshl_add_u32 v6, v6, 10, 0x2000
	v_lshlrev_b32_e32 v0, 7, v0
	v_and_b32_e32 v13, 0x8000, v13
	v_and_b32_e32 v6, 0xfc00, v6
	v_or3_b32 v6, v13, v6, v0
.LBB299_1593:                           ;   in Loop: Header=BB299_1059 Depth=1
	s_or_b32 exec_lo, exec_lo, s18
.LBB299_1594:                           ;   in Loop: Header=BB299_1059 Depth=1
	s_or_b32 exec_lo, exec_lo, s15
.LBB299_1595:                           ;   in Loop: Header=BB299_1059 Depth=1
	s_or_b32 exec_lo, exec_lo, s13
	v_lshrrev_b16 v0, 8, v11
	s_mov_b32 s13, exec_lo
	v_cmpx_ne_u16_e32 0, v0
	s_cbranch_execz .LBB299_1603
; %bb.1596:                             ;   in Loop: Header=BB299_1059 Depth=1
	v_bfrev_b32_e32 v5, 1
	s_mov_b32 s15, exec_lo
	v_cmpx_ne_u16_e32 0x80, v0
	s_cbranch_execz .LBB299_1602
; %bb.1597:                             ;   in Loop: Header=BB299_1059 Depth=1
	v_and_b32_sdwa v22, v0, v17 dst_sel:DWORD dst_unused:UNUSED_PAD src0_sel:WORD_0 src1_sel:DWORD
	v_mov_b32_e32 v5, 0x7c010000
	s_mov_b32 s18, exec_lo
	v_cmpx_ne_u32_e32 0x7f, v22
	s_cbranch_execz .LBB299_1601
; %bb.1598:                             ;   in Loop: Header=BB299_1059 Depth=1
	v_and_b32_sdwa v5, v0, v38 dst_sel:DWORD dst_unused:UNUSED_PAD src0_sel:WORD_0 src1_sel:DWORD
	v_lshrrev_b32_e32 v13, 3, v22
	s_mov_b32 s20, exec_lo
	v_cmpx_gt_u32_e32 8, v22
; %bb.1599:                             ;   in Loop: Header=BB299_1059 Depth=1
	v_ffbh_u32_e32 v5, v5
	v_min_u32_e32 v5, 32, v5
	v_subrev_nc_u32_e32 v13, 28, v5
	v_lshlrev_b64 v[33:34], v13, v[0:1]
	v_sub_nc_u32_e32 v13, 29, v5
	v_and_b32_e32 v5, 7, v33
; %bb.1600:                             ;   in Loop: Header=BB299_1059 Depth=1
	s_or_b32 exec_lo, exec_lo, s20
	v_lshlrev_b32_sdwa v0, v39, v0 dst_sel:DWORD dst_unused:UNUSED_PAD src0_sel:DWORD src1_sel:WORD_0
	v_lshl_add_u32 v13, v13, 10, 0x2000
	v_lshlrev_b32_e32 v5, 23, v5
	v_and_or_b32 v0, 0x8000, v0, v13
	v_lshl_or_b32 v5, v0, 16, v5
.LBB299_1601:                           ;   in Loop: Header=BB299_1059 Depth=1
	s_or_b32 exec_lo, exec_lo, s18
.LBB299_1602:                           ;   in Loop: Header=BB299_1059 Depth=1
	s_or_b32 exec_lo, exec_lo, s15
.LBB299_1603:                           ;   in Loop: Header=BB299_1059 Depth=1
	s_or_b32 exec_lo, exec_lo, s13
	v_lshrrev_b32_e32 v0, 16, v11
	v_mov_b32_e32 v13, 0
	v_mov_b32_e32 v22, 0
	v_cmp_ne_u16_sdwa s5, v0, v1 src0_sel:BYTE_0 src1_sel:DWORD
	s_and_saveexec_b32 s13, s5
	s_cbranch_execz .LBB299_1611
; %bb.1604:                             ;   in Loop: Header=BB299_1059 Depth=1
	v_cmp_ne_u16_sdwa s5, v0, v16 src0_sel:BYTE_0 src1_sel:DWORD
	v_mov_b32_e32 v22, 0x8000
	s_and_saveexec_b32 s15, s5
	s_cbranch_execz .LBB299_1610
; %bb.1605:                             ;   in Loop: Header=BB299_1059 Depth=1
	v_bfe_u32 v34, v11, 16, 7
	v_mov_b32_e32 v22, 0x7c01
	s_mov_b32 s18, exec_lo
	v_cmpx_ne_u32_e32 0x7f, v34
	s_cbranch_execz .LBB299_1609
; %bb.1606:                             ;   in Loop: Header=BB299_1059 Depth=1
	v_and_b32_e32 v22, 7, v0
	v_lshrrev_b32_e32 v33, 3, v34
	s_mov_b32 s20, exec_lo
	v_cmpx_gt_u32_e32 8, v34
; %bb.1607:                             ;   in Loop: Header=BB299_1059 Depth=1
	v_ffbh_u32_e32 v22, v22
	v_min_u32_e32 v22, 32, v22
	v_subrev_nc_u32_e32 v33, 28, v22
	v_lshlrev_b64 v[36:37], v33, v[0:1]
	v_sub_nc_u32_e32 v33, 29, v22
	v_and_b32_e32 v22, 7, v36
; %bb.1608:                             ;   in Loop: Header=BB299_1059 Depth=1
	s_or_b32 exec_lo, exec_lo, s20
	v_lshlrev_b32_e32 v0, 8, v0
	v_lshl_add_u32 v33, v33, 10, 0x2000
	v_lshlrev_b32_e32 v22, 7, v22
	v_and_b32_e32 v0, 0x8000, v0
	v_and_b32_e32 v33, 0xfc00, v33
	v_or3_b32 v22, v0, v33, v22
.LBB299_1609:                           ;   in Loop: Header=BB299_1059 Depth=1
	s_or_b32 exec_lo, exec_lo, s18
.LBB299_1610:                           ;   in Loop: Header=BB299_1059 Depth=1
	s_or_b32 exec_lo, exec_lo, s15
.LBB299_1611:                           ;   in Loop: Header=BB299_1059 Depth=1
	s_or_b32 exec_lo, exec_lo, s13
	s_mov_b32 s13, exec_lo
	v_cmpx_lt_u32_e32 0xffffff, v11
	s_cbranch_execz .LBB299_1619
; %bb.1612:                             ;   in Loop: Header=BB299_1059 Depth=1
	v_lshrrev_b32_e32 v0, 24, v11
	v_bfrev_b32_e32 v13, 1
	s_mov_b32 s15, exec_lo
	v_cmpx_ne_u32_e32 0x80, v0
	s_cbranch_execz .LBB299_1618
; %bb.1613:                             ;   in Loop: Header=BB299_1059 Depth=1
	v_and_b32_e32 v34, 0x7f, v0
	v_mov_b32_e32 v13, 0x7c010000
	s_mov_b32 s18, exec_lo
	v_cmpx_ne_u32_e32 0x7f, v34
	s_cbranch_execz .LBB299_1617
; %bb.1614:                             ;   in Loop: Header=BB299_1059 Depth=1
	v_and_b32_e32 v13, 7, v0
	v_lshrrev_b32_e32 v33, 3, v34
	s_mov_b32 s20, exec_lo
	v_cmpx_gt_u32_e32 8, v34
; %bb.1615:                             ;   in Loop: Header=BB299_1059 Depth=1
	v_ffbh_u32_e32 v13, v13
	v_min_u32_e32 v13, 32, v13
	v_subrev_nc_u32_e32 v33, 28, v13
	v_lshlrev_b64 v[36:37], v33, v[0:1]
	v_sub_nc_u32_e32 v33, 29, v13
	v_and_b32_e32 v13, 7, v36
; %bb.1616:                             ;   in Loop: Header=BB299_1059 Depth=1
	s_or_b32 exec_lo, exec_lo, s20
	v_lshlrev_b32_e32 v0, 8, v0
	v_lshl_add_u32 v33, v33, 10, 0x2000
	v_lshlrev_b32_e32 v13, 23, v13
	v_and_or_b32 v0, 0x8000, v0, v33
	v_lshl_or_b32 v13, v0, 16, v13
.LBB299_1617:                           ;   in Loop: Header=BB299_1059 Depth=1
	s_or_b32 exec_lo, exec_lo, s18
.LBB299_1618:                           ;   in Loop: Header=BB299_1059 Depth=1
	s_or_b32 exec_lo, exec_lo, s15
.LBB299_1619:                           ;   in Loop: Header=BB299_1059 Depth=1
	s_or_b32 exec_lo, exec_lo, s13
	v_mov_b32_e32 v0, v12
	v_cmp_ne_u16_sdwa s5, v12, v1 src0_sel:BYTE_0 src1_sel:DWORD
	v_mov_b32_e32 v33, 0
	v_mov_b32_e32 v34, 0
	s_and_saveexec_b32 s13, s5
	s_cbranch_execz .LBB299_1627
; %bb.1620:                             ;   in Loop: Header=BB299_1059 Depth=1
	v_cmp_ne_u16_sdwa s5, v12, v16 src0_sel:BYTE_0 src1_sel:DWORD
	v_mov_b32_e32 v34, 0x8000
	s_and_saveexec_b32 s15, s5
	s_cbranch_execz .LBB299_1626
; %bb.1621:                             ;   in Loop: Header=BB299_1059 Depth=1
	v_and_b32_e32 v37, 0x7f, v12
	v_mov_b32_e32 v34, 0x7c01
	s_mov_b32 s18, exec_lo
	v_cmpx_ne_u32_e32 0x7f, v37
	s_cbranch_execz .LBB299_1625
; %bb.1622:                             ;   in Loop: Header=BB299_1059 Depth=1
	v_and_b32_e32 v34, 7, v12
	v_lshrrev_b32_e32 v36, 3, v37
	s_mov_b32 s20, exec_lo
	v_cmpx_gt_u32_e32 8, v37
; %bb.1623:                             ;   in Loop: Header=BB299_1059 Depth=1
	v_ffbh_u32_e32 v34, v34
	v_min_u32_e32 v34, 32, v34
	v_subrev_nc_u32_e32 v36, 28, v34
	v_lshlrev_b64 v[114:115], v36, v[0:1]
	v_sub_nc_u32_e32 v36, 29, v34
	v_and_b32_e32 v34, 7, v114
; %bb.1624:                             ;   in Loop: Header=BB299_1059 Depth=1
	s_or_b32 exec_lo, exec_lo, s20
	v_lshlrev_b32_e32 v37, 8, v12
	v_lshl_add_u32 v36, v36, 10, 0x2000
	v_lshlrev_b32_e32 v34, 7, v34
	v_and_b32_e32 v37, 0x8000, v37
	v_and_b32_e32 v36, 0xfc00, v36
	v_or3_b32 v34, v37, v36, v34
.LBB299_1625:                           ;   in Loop: Header=BB299_1059 Depth=1
	s_or_b32 exec_lo, exec_lo, s18
.LBB299_1626:                           ;   in Loop: Header=BB299_1059 Depth=1
	s_or_b32 exec_lo, exec_lo, s15
.LBB299_1627:                           ;   in Loop: Header=BB299_1059 Depth=1
	s_or_b32 exec_lo, exec_lo, s13
	v_lshrrev_b16 v0, 8, v0
	v_mov_b32_e32 v36, 0
	s_mov_b32 s13, exec_lo
	v_cmpx_ne_u16_e32 0, v0
	s_cbranch_execz .LBB299_1635
; %bb.1628:                             ;   in Loop: Header=BB299_1059 Depth=1
	v_bfrev_b32_e32 v36, 1
	s_mov_b32 s15, exec_lo
	v_cmpx_ne_u16_e32 0x80, v0
	s_cbranch_execz .LBB299_1634
; %bb.1629:                             ;   in Loop: Header=BB299_1059 Depth=1
	v_and_b32_sdwa v114, v0, v17 dst_sel:DWORD dst_unused:UNUSED_PAD src0_sel:WORD_0 src1_sel:DWORD
	v_mov_b32_e32 v36, 0x7c010000
	s_mov_b32 s18, exec_lo
	v_cmpx_ne_u32_e32 0x7f, v114
	s_cbranch_execz .LBB299_1633
; %bb.1630:                             ;   in Loop: Header=BB299_1059 Depth=1
	v_and_b32_sdwa v36, v0, v38 dst_sel:DWORD dst_unused:UNUSED_PAD src0_sel:WORD_0 src1_sel:DWORD
	v_lshrrev_b32_e32 v37, 3, v114
	s_mov_b32 s20, exec_lo
	v_cmpx_gt_u32_e32 8, v114
; %bb.1631:                             ;   in Loop: Header=BB299_1059 Depth=1
	v_ffbh_u32_e32 v36, v36
	v_min_u32_e32 v114, 32, v36
	v_subrev_nc_u32_e32 v36, 28, v114
	v_lshlrev_b64 v[36:37], v36, v[0:1]
	v_sub_nc_u32_e32 v37, 29, v114
	v_and_b32_e32 v36, 7, v36
; %bb.1632:                             ;   in Loop: Header=BB299_1059 Depth=1
	s_or_b32 exec_lo, exec_lo, s20
	v_lshlrev_b32_sdwa v0, v39, v0 dst_sel:DWORD dst_unused:UNUSED_PAD src0_sel:DWORD src1_sel:WORD_0
	v_lshl_add_u32 v37, v37, 10, 0x2000
	v_lshlrev_b32_e32 v36, 23, v36
	v_and_or_b32 v0, 0x8000, v0, v37
	v_lshl_or_b32 v36, v0, 16, v36
.LBB299_1633:                           ;   in Loop: Header=BB299_1059 Depth=1
	s_or_b32 exec_lo, exec_lo, s18
.LBB299_1634:                           ;   in Loop: Header=BB299_1059 Depth=1
	s_or_b32 exec_lo, exec_lo, s15
.LBB299_1635:                           ;   in Loop: Header=BB299_1059 Depth=1
	s_or_b32 exec_lo, exec_lo, s13
	v_lshrrev_b32_e32 v0, 16, v12
	v_cmp_ne_u16_sdwa s5, v0, v1 src0_sel:BYTE_0 src1_sel:DWORD
	s_and_saveexec_b32 s13, s5
	s_cbranch_execz .LBB299_1643
; %bb.1636:                             ;   in Loop: Header=BB299_1059 Depth=1
	v_cmp_ne_u16_sdwa s5, v0, v16 src0_sel:BYTE_0 src1_sel:DWORD
	v_mov_b32_e32 v33, 0x8000
	s_and_saveexec_b32 s15, s5
	s_cbranch_execz .LBB299_1642
; %bb.1637:                             ;   in Loop: Header=BB299_1059 Depth=1
	v_bfe_u32 v114, v12, 16, 7
	v_mov_b32_e32 v33, 0x7c01
	s_mov_b32 s18, exec_lo
	v_cmpx_ne_u32_e32 0x7f, v114
	s_cbranch_execz .LBB299_1641
; %bb.1638:                             ;   in Loop: Header=BB299_1059 Depth=1
	v_and_b32_e32 v33, 7, v0
	v_lshrrev_b32_e32 v37, 3, v114
	s_mov_b32 s20, exec_lo
	v_cmpx_gt_u32_e32 8, v114
; %bb.1639:                             ;   in Loop: Header=BB299_1059 Depth=1
	v_ffbh_u32_e32 v33, v33
	v_min_u32_e32 v33, 32, v33
	v_subrev_nc_u32_e32 v37, 28, v33
	v_lshlrev_b64 v[114:115], v37, v[0:1]
	v_sub_nc_u32_e32 v37, 29, v33
	v_and_b32_e32 v33, 7, v114
; %bb.1640:                             ;   in Loop: Header=BB299_1059 Depth=1
	s_or_b32 exec_lo, exec_lo, s20
	v_lshlrev_b32_e32 v0, 8, v0
	v_lshl_add_u32 v37, v37, 10, 0x2000
	v_lshlrev_b32_e32 v33, 7, v33
	v_and_b32_e32 v0, 0x8000, v0
	v_and_b32_e32 v37, 0xfc00, v37
	v_or3_b32 v33, v0, v37, v33
.LBB299_1641:                           ;   in Loop: Header=BB299_1059 Depth=1
	s_or_b32 exec_lo, exec_lo, s18
.LBB299_1642:                           ;   in Loop: Header=BB299_1059 Depth=1
	s_or_b32 exec_lo, exec_lo, s15
.LBB299_1643:                           ;   in Loop: Header=BB299_1059 Depth=1
	s_or_b32 exec_lo, exec_lo, s13
	v_cmp_lt_u64_e64 s5, s[8:9], v[11:12]
	v_mov_b32_e32 v11, 0
	s_and_saveexec_b32 s13, s5
	s_cbranch_execz .LBB299_1651
; %bb.1644:                             ;   in Loop: Header=BB299_1059 Depth=1
	v_lshrrev_b32_e32 v0, 24, v12
	v_bfrev_b32_e32 v11, 1
	s_mov_b32 s15, exec_lo
	v_cmpx_ne_u32_e32 0x80, v0
	s_cbranch_execz .LBB299_1650
; %bb.1645:                             ;   in Loop: Header=BB299_1059 Depth=1
	v_and_b32_e32 v37, 0x7f, v0
	v_mov_b32_e32 v11, 0x7c010000
	s_mov_b32 s18, exec_lo
	v_cmpx_ne_u32_e32 0x7f, v37
	s_cbranch_execz .LBB299_1649
; %bb.1646:                             ;   in Loop: Header=BB299_1059 Depth=1
	v_and_b32_e32 v11, 7, v0
	v_lshrrev_b32_e32 v12, 3, v37
	s_mov_b32 s20, exec_lo
	v_cmpx_gt_u32_e32 8, v37
; %bb.1647:                             ;   in Loop: Header=BB299_1059 Depth=1
	v_ffbh_u32_e32 v11, v11
	v_min_u32_e32 v37, 32, v11
	v_subrev_nc_u32_e32 v11, 28, v37
	v_lshlrev_b64 v[11:12], v11, v[0:1]
	v_sub_nc_u32_e32 v12, 29, v37
	v_and_b32_e32 v11, 7, v11
; %bb.1648:                             ;   in Loop: Header=BB299_1059 Depth=1
	s_or_b32 exec_lo, exec_lo, s20
	v_lshlrev_b32_e32 v0, 8, v0
	v_lshl_add_u32 v12, v12, 10, 0x2000
	v_lshlrev_b32_e32 v11, 23, v11
	v_and_or_b32 v0, 0x8000, v0, v12
	v_lshl_or_b32 v11, v0, 16, v11
.LBB299_1649:                           ;   in Loop: Header=BB299_1059 Depth=1
	s_or_b32 exec_lo, exec_lo, s18
.LBB299_1650:                           ;   in Loop: Header=BB299_1059 Depth=1
	s_or_b32 exec_lo, exec_lo, s15
.LBB299_1651:                           ;   in Loop: Header=BB299_1059 Depth=1
	s_or_b32 exec_lo, exec_lo, s13
	v_or_b32_e32 v0, v13, v22
	s_waitcnt vmcnt(0) lgkmcnt(0)
	v_fma_mixlo_f16 v12, v4, v13, 0 op_sel:[0,1,0] op_sel_hi:[0,1,0]
	v_or_b32_e32 v6, v5, v6
	v_fma_mixlo_f16 v5, v4, v5, 0 op_sel:[0,1,0] op_sel_hi:[0,1,0]
	v_or_b32_e32 v13, v36, v34
	v_fma_mixlo_f16 v22, v4, v0, 0 op_sel_hi:[0,1,0]
	v_or_b32_e32 v33, v11, v33
	v_lshlrev_b32_e32 v0, 16, v12
	v_lshlrev_b32_e32 v12, 16, v5
	v_fma_mixlo_f16 v6, v4, v6, 0 op_sel_hi:[0,1,0]
	v_and_b32_e32 v5, 0xffff, v22
	v_fma_mixlo_f16 v22, v4, v36, 0 op_sel:[0,1,0] op_sel_hi:[0,1,0]
	v_fma_mixlo_f16 v13, v4, v13, 0 op_sel_hi:[0,1,0]
	v_fma_mixlo_f16 v11, v4, v11, 0 op_sel:[0,1,0] op_sel_hi:[0,1,0]
	v_fma_mixlo_f16 v33, v4, v33, 0 op_sel_hi:[0,1,0]
	v_and_b32_e32 v37, 0xffff, v6
	v_lshlrev_b32_e32 v6, 16, v22
	v_and_b32_e32 v22, 0xffff, v13
	v_lshlrev_b32_e32 v4, 16, v11
	v_and_b32_e32 v11, 0xffff, v33
	v_or_b32_e32 v13, v0, v5
	v_or_b32_e32 v36, v12, v37
	;; [unrolled: 1-line block ×4, first 2 shown]
	s_and_saveexec_b32 s13, vcc_lo
	s_cbranch_execz .LBB299_1653
; %bb.1652:                             ;   in Loop: Header=BB299_1059 Depth=1
	v_cmp_lt_i32_e64 s5, v48, v35
	v_cndmask_b32_e64 v13, 0, v37, s5
	v_cmp_lt_i32_e64 s5, v83, v35
	v_cndmask_b32_e64 v12, 0, v12, s5
	v_cmp_lt_i32_e64 s5, v82, v35
	v_or_b32_e32 v36, v13, v12
	v_cndmask_b32_e64 v5, 0, v5, s5
	v_cmp_lt_i32_e64 s5, v81, v35
	v_cndmask_b32_e64 v0, 0, v0, s5
	v_cmp_lt_i32_e64 s5, v80, v35
	v_or_b32_e32 v13, v5, v0
	;; [unrolled: 5-line block ×3, first 2 shown]
	v_cndmask_b32_e64 v11, 0, v11, s5
	v_cmp_lt_i32_e64 s5, v14, v35
	v_cndmask_b32_e64 v4, 0, v4, s5
	v_or_b32_e32 v33, v11, v4
.LBB299_1653:                           ;   in Loop: Header=BB299_1059 Depth=1
	s_or_b32 exec_lo, exec_lo, s13
	;;#ASMSTART
	v_pk_mul_f16 v0, v68, v36;

	;;#ASMEND
	;;#ASMSTART
	v_pk_mul_f16 v4, v66, v13;

	;;#ASMEND
	;; [unrolled: 4-line block ×4, first 2 shown]
	;;#ASMSTART
	v_pk_add_f16 v0, v0, v4;

	;;#ASMEND
	;;#ASMSTART
	v_pk_add_f16 v0, v0, v5;

	;;#ASMEND
	;; [unrolled: 4-line block ×3, first 2 shown]
	v_and_b32_e32 v4, 0xffff, v0
	v_lshrrev_b32_e32 v0, 16, v0
	;;#ASMSTART
	v_cvt_f32_f16 v4, v4;
	;;#ASMEND
	;;#ASMSTART
	v_cvt_f32_f16 v5, v0;
	;;#ASMEND
	flat_load_dwordx2 v[11:12], v[9:10] offset:256
	flat_load_dword v6, v[26:27]
	v_mov_b32_e32 v13, 0
	v_mov_b32_e32 v22, 0
	s_waitcnt vmcnt(1) lgkmcnt(1)
	v_cmp_ne_u16_sdwa s5, v11, v1 src0_sel:BYTE_0 src1_sel:DWORD
	s_and_saveexec_b32 s13, s5
	s_cbranch_execz .LBB299_1661
; %bb.1654:                             ;   in Loop: Header=BB299_1059 Depth=1
	v_cmp_ne_u16_sdwa s5, v11, v16 src0_sel:BYTE_0 src1_sel:DWORD
	v_mov_b32_e32 v22, 0x8000
	s_and_saveexec_b32 s15, s5
	s_cbranch_execz .LBB299_1660
; %bb.1655:                             ;   in Loop: Header=BB299_1059 Depth=1
	v_and_b32_e32 v33, 0x7f, v11
	v_mov_b32_e32 v22, 0x7c01
	s_mov_b32 s18, exec_lo
	v_cmpx_ne_u32_e32 0x7f, v33
	s_cbranch_execz .LBB299_1659
; %bb.1656:                             ;   in Loop: Header=BB299_1059 Depth=1
	v_and_b32_e32 v0, 7, v11
	v_lshrrev_b32_e32 v22, 3, v33
	s_mov_b32 s20, exec_lo
	v_cmpx_gt_u32_e32 8, v33
; %bb.1657:                             ;   in Loop: Header=BB299_1059 Depth=1
	v_ffbh_u32_e32 v0, v0
	v_min_u32_e32 v0, 32, v0
	v_subrev_nc_u32_e32 v22, 28, v0
	v_lshlrev_b64 v[33:34], v22, v[11:12]
	v_sub_nc_u32_e32 v22, 29, v0
	v_and_b32_e32 v0, 7, v33
; %bb.1658:                             ;   in Loop: Header=BB299_1059 Depth=1
	s_or_b32 exec_lo, exec_lo, s20
	v_lshlrev_b32_e32 v33, 8, v11
	v_lshl_add_u32 v22, v22, 10, 0x2000
	v_lshlrev_b32_e32 v0, 7, v0
	v_and_b32_e32 v33, 0x8000, v33
	v_and_b32_e32 v22, 0xfc00, v22
	v_or3_b32 v22, v33, v22, v0
.LBB299_1659:                           ;   in Loop: Header=BB299_1059 Depth=1
	s_or_b32 exec_lo, exec_lo, s18
.LBB299_1660:                           ;   in Loop: Header=BB299_1059 Depth=1
	s_or_b32 exec_lo, exec_lo, s15
.LBB299_1661:                           ;   in Loop: Header=BB299_1059 Depth=1
	s_or_b32 exec_lo, exec_lo, s13
	v_lshrrev_b16 v0, 8, v11
	s_mov_b32 s13, exec_lo
	v_cmpx_ne_u16_e32 0, v0
	s_cbranch_execz .LBB299_1669
; %bb.1662:                             ;   in Loop: Header=BB299_1059 Depth=1
	v_bfrev_b32_e32 v13, 1
	s_mov_b32 s15, exec_lo
	v_cmpx_ne_u16_e32 0x80, v0
	s_cbranch_execz .LBB299_1668
; %bb.1663:                             ;   in Loop: Header=BB299_1059 Depth=1
	v_and_b32_sdwa v34, v0, v17 dst_sel:DWORD dst_unused:UNUSED_PAD src0_sel:WORD_0 src1_sel:DWORD
	v_mov_b32_e32 v13, 0x7c010000
	s_mov_b32 s18, exec_lo
	v_cmpx_ne_u32_e32 0x7f, v34
	s_cbranch_execz .LBB299_1667
; %bb.1664:                             ;   in Loop: Header=BB299_1059 Depth=1
	v_and_b32_sdwa v13, v0, v38 dst_sel:DWORD dst_unused:UNUSED_PAD src0_sel:WORD_0 src1_sel:DWORD
	v_lshrrev_b32_e32 v33, 3, v34
	s_mov_b32 s20, exec_lo
	v_cmpx_gt_u32_e32 8, v34
; %bb.1665:                             ;   in Loop: Header=BB299_1059 Depth=1
	v_ffbh_u32_e32 v13, v13
	v_min_u32_e32 v13, 32, v13
	v_subrev_nc_u32_e32 v33, 28, v13
	v_lshlrev_b64 v[36:37], v33, v[0:1]
	v_sub_nc_u32_e32 v33, 29, v13
	v_and_b32_e32 v13, 7, v36
; %bb.1666:                             ;   in Loop: Header=BB299_1059 Depth=1
	s_or_b32 exec_lo, exec_lo, s20
	v_lshlrev_b32_sdwa v0, v39, v0 dst_sel:DWORD dst_unused:UNUSED_PAD src0_sel:DWORD src1_sel:WORD_0
	v_lshl_add_u32 v33, v33, 10, 0x2000
	v_lshlrev_b32_e32 v13, 23, v13
	v_and_or_b32 v0, 0x8000, v0, v33
	v_lshl_or_b32 v13, v0, 16, v13
.LBB299_1667:                           ;   in Loop: Header=BB299_1059 Depth=1
	s_or_b32 exec_lo, exec_lo, s18
.LBB299_1668:                           ;   in Loop: Header=BB299_1059 Depth=1
	s_or_b32 exec_lo, exec_lo, s15
.LBB299_1669:                           ;   in Loop: Header=BB299_1059 Depth=1
	s_or_b32 exec_lo, exec_lo, s13
	v_lshrrev_b32_e32 v0, 16, v11
	v_mov_b32_e32 v33, 0
	v_mov_b32_e32 v34, 0
	v_cmp_ne_u16_sdwa s5, v0, v1 src0_sel:BYTE_0 src1_sel:DWORD
	s_and_saveexec_b32 s13, s5
	s_cbranch_execz .LBB299_1677
; %bb.1670:                             ;   in Loop: Header=BB299_1059 Depth=1
	v_cmp_ne_u16_sdwa s5, v0, v16 src0_sel:BYTE_0 src1_sel:DWORD
	v_mov_b32_e32 v34, 0x8000
	s_and_saveexec_b32 s15, s5
	s_cbranch_execz .LBB299_1676
; %bb.1671:                             ;   in Loop: Header=BB299_1059 Depth=1
	v_bfe_u32 v37, v11, 16, 7
	v_mov_b32_e32 v34, 0x7c01
	s_mov_b32 s18, exec_lo
	v_cmpx_ne_u32_e32 0x7f, v37
	s_cbranch_execz .LBB299_1675
; %bb.1672:                             ;   in Loop: Header=BB299_1059 Depth=1
	v_and_b32_e32 v34, 7, v0
	v_lshrrev_b32_e32 v36, 3, v37
	s_mov_b32 s20, exec_lo
	v_cmpx_gt_u32_e32 8, v37
; %bb.1673:                             ;   in Loop: Header=BB299_1059 Depth=1
	v_ffbh_u32_e32 v34, v34
	v_min_u32_e32 v34, 32, v34
	v_subrev_nc_u32_e32 v36, 28, v34
	v_lshlrev_b64 v[114:115], v36, v[0:1]
	v_sub_nc_u32_e32 v36, 29, v34
	v_and_b32_e32 v34, 7, v114
; %bb.1674:                             ;   in Loop: Header=BB299_1059 Depth=1
	s_or_b32 exec_lo, exec_lo, s20
	v_lshlrev_b32_e32 v0, 8, v0
	v_lshl_add_u32 v36, v36, 10, 0x2000
	v_lshlrev_b32_e32 v34, 7, v34
	v_and_b32_e32 v0, 0x8000, v0
	v_and_b32_e32 v36, 0xfc00, v36
	v_or3_b32 v34, v0, v36, v34
.LBB299_1675:                           ;   in Loop: Header=BB299_1059 Depth=1
	s_or_b32 exec_lo, exec_lo, s18
.LBB299_1676:                           ;   in Loop: Header=BB299_1059 Depth=1
	s_or_b32 exec_lo, exec_lo, s15
.LBB299_1677:                           ;   in Loop: Header=BB299_1059 Depth=1
	s_or_b32 exec_lo, exec_lo, s13
	s_mov_b32 s13, exec_lo
	v_cmpx_lt_u32_e32 0xffffff, v11
	s_cbranch_execz .LBB299_1685
; %bb.1678:                             ;   in Loop: Header=BB299_1059 Depth=1
	v_lshrrev_b32_e32 v0, 24, v11
	v_bfrev_b32_e32 v33, 1
	s_mov_b32 s15, exec_lo
	v_cmpx_ne_u32_e32 0x80, v0
	s_cbranch_execz .LBB299_1684
; %bb.1679:                             ;   in Loop: Header=BB299_1059 Depth=1
	v_and_b32_e32 v37, 0x7f, v0
	v_mov_b32_e32 v33, 0x7c010000
	s_mov_b32 s18, exec_lo
	v_cmpx_ne_u32_e32 0x7f, v37
	s_cbranch_execz .LBB299_1683
; %bb.1680:                             ;   in Loop: Header=BB299_1059 Depth=1
	v_and_b32_e32 v33, 7, v0
	v_lshrrev_b32_e32 v36, 3, v37
	s_mov_b32 s20, exec_lo
	v_cmpx_gt_u32_e32 8, v37
; %bb.1681:                             ;   in Loop: Header=BB299_1059 Depth=1
	v_ffbh_u32_e32 v33, v33
	v_min_u32_e32 v33, 32, v33
	v_subrev_nc_u32_e32 v36, 28, v33
	v_lshlrev_b64 v[114:115], v36, v[0:1]
	v_sub_nc_u32_e32 v36, 29, v33
	v_and_b32_e32 v33, 7, v114
; %bb.1682:                             ;   in Loop: Header=BB299_1059 Depth=1
	s_or_b32 exec_lo, exec_lo, s20
	v_lshlrev_b32_e32 v0, 8, v0
	v_lshl_add_u32 v36, v36, 10, 0x2000
	v_lshlrev_b32_e32 v33, 23, v33
	v_and_or_b32 v0, 0x8000, v0, v36
	v_lshl_or_b32 v33, v0, 16, v33
.LBB299_1683:                           ;   in Loop: Header=BB299_1059 Depth=1
	s_or_b32 exec_lo, exec_lo, s18
.LBB299_1684:                           ;   in Loop: Header=BB299_1059 Depth=1
	s_or_b32 exec_lo, exec_lo, s15
.LBB299_1685:                           ;   in Loop: Header=BB299_1059 Depth=1
	s_or_b32 exec_lo, exec_lo, s13
	v_mov_b32_e32 v0, v12
	v_cmp_ne_u16_sdwa s5, v12, v1 src0_sel:BYTE_0 src1_sel:DWORD
	v_mov_b32_e32 v36, 0
	v_mov_b32_e32 v37, 0
	s_and_saveexec_b32 s13, s5
	s_cbranch_execz .LBB299_1693
; %bb.1686:                             ;   in Loop: Header=BB299_1059 Depth=1
	v_cmp_ne_u16_sdwa s5, v12, v16 src0_sel:BYTE_0 src1_sel:DWORD
	v_mov_b32_e32 v37, 0x8000
	s_and_saveexec_b32 s15, s5
	s_cbranch_execz .LBB299_1692
; %bb.1687:                             ;   in Loop: Header=BB299_1059 Depth=1
	v_and_b32_e32 v115, 0x7f, v12
	v_mov_b32_e32 v37, 0x7c01
	s_mov_b32 s18, exec_lo
	v_cmpx_ne_u32_e32 0x7f, v115
	s_cbranch_execz .LBB299_1691
; %bb.1688:                             ;   in Loop: Header=BB299_1059 Depth=1
	v_and_b32_e32 v37, 7, v12
	v_lshrrev_b32_e32 v114, 3, v115
	s_mov_b32 s20, exec_lo
	v_cmpx_gt_u32_e32 8, v115
; %bb.1689:                             ;   in Loop: Header=BB299_1059 Depth=1
	v_ffbh_u32_e32 v37, v37
	v_min_u32_e32 v37, 32, v37
	v_subrev_nc_u32_e32 v114, 28, v37
	v_lshlrev_b64 v[115:116], v114, v[0:1]
	v_sub_nc_u32_e32 v114, 29, v37
	v_and_b32_e32 v37, 7, v115
; %bb.1690:                             ;   in Loop: Header=BB299_1059 Depth=1
	s_or_b32 exec_lo, exec_lo, s20
	v_lshlrev_b32_e32 v115, 8, v12
	v_lshl_add_u32 v114, v114, 10, 0x2000
	v_lshlrev_b32_e32 v37, 7, v37
	v_and_b32_e32 v115, 0x8000, v115
	v_and_b32_e32 v114, 0xfc00, v114
	v_or3_b32 v37, v115, v114, v37
.LBB299_1691:                           ;   in Loop: Header=BB299_1059 Depth=1
	s_or_b32 exec_lo, exec_lo, s18
.LBB299_1692:                           ;   in Loop: Header=BB299_1059 Depth=1
	s_or_b32 exec_lo, exec_lo, s15
.LBB299_1693:                           ;   in Loop: Header=BB299_1059 Depth=1
	s_or_b32 exec_lo, exec_lo, s13
	v_lshrrev_b16 v0, 8, v0
	v_mov_b32_e32 v114, 0
	s_mov_b32 s13, exec_lo
	v_cmpx_ne_u16_e32 0, v0
	s_cbranch_execz .LBB299_1701
; %bb.1694:                             ;   in Loop: Header=BB299_1059 Depth=1
	v_bfrev_b32_e32 v114, 1
	s_mov_b32 s15, exec_lo
	v_cmpx_ne_u16_e32 0x80, v0
	s_cbranch_execz .LBB299_1700
; %bb.1695:                             ;   in Loop: Header=BB299_1059 Depth=1
	v_and_b32_sdwa v116, v0, v17 dst_sel:DWORD dst_unused:UNUSED_PAD src0_sel:WORD_0 src1_sel:DWORD
	v_mov_b32_e32 v114, 0x7c010000
	s_mov_b32 s18, exec_lo
	v_cmpx_ne_u32_e32 0x7f, v116
	s_cbranch_execz .LBB299_1699
; %bb.1696:                             ;   in Loop: Header=BB299_1059 Depth=1
	v_and_b32_sdwa v114, v0, v38 dst_sel:DWORD dst_unused:UNUSED_PAD src0_sel:WORD_0 src1_sel:DWORD
	v_lshrrev_b32_e32 v115, 3, v116
	s_mov_b32 s20, exec_lo
	v_cmpx_gt_u32_e32 8, v116
; %bb.1697:                             ;   in Loop: Header=BB299_1059 Depth=1
	v_ffbh_u32_e32 v114, v114
	v_min_u32_e32 v116, 32, v114
	v_subrev_nc_u32_e32 v114, 28, v116
	v_lshlrev_b64 v[114:115], v114, v[0:1]
	v_sub_nc_u32_e32 v115, 29, v116
	v_and_b32_e32 v114, 7, v114
; %bb.1698:                             ;   in Loop: Header=BB299_1059 Depth=1
	s_or_b32 exec_lo, exec_lo, s20
	v_lshlrev_b32_sdwa v0, v39, v0 dst_sel:DWORD dst_unused:UNUSED_PAD src0_sel:DWORD src1_sel:WORD_0
	v_lshl_add_u32 v115, v115, 10, 0x2000
	v_lshlrev_b32_e32 v114, 23, v114
	v_and_or_b32 v0, 0x8000, v0, v115
	v_lshl_or_b32 v114, v0, 16, v114
.LBB299_1699:                           ;   in Loop: Header=BB299_1059 Depth=1
	s_or_b32 exec_lo, exec_lo, s18
.LBB299_1700:                           ;   in Loop: Header=BB299_1059 Depth=1
	s_or_b32 exec_lo, exec_lo, s15
.LBB299_1701:                           ;   in Loop: Header=BB299_1059 Depth=1
	s_or_b32 exec_lo, exec_lo, s13
	v_lshrrev_b32_e32 v0, 16, v12
	v_cmp_ne_u16_sdwa s5, v0, v1 src0_sel:BYTE_0 src1_sel:DWORD
	s_and_saveexec_b32 s13, s5
	s_cbranch_execz .LBB299_1709
; %bb.1702:                             ;   in Loop: Header=BB299_1059 Depth=1
	v_cmp_ne_u16_sdwa s5, v0, v16 src0_sel:BYTE_0 src1_sel:DWORD
	v_mov_b32_e32 v36, 0x8000
	s_and_saveexec_b32 s15, s5
	s_cbranch_execz .LBB299_1708
; %bb.1703:                             ;   in Loop: Header=BB299_1059 Depth=1
	v_bfe_u32 v116, v12, 16, 7
	v_mov_b32_e32 v36, 0x7c01
	s_mov_b32 s18, exec_lo
	v_cmpx_ne_u32_e32 0x7f, v116
	s_cbranch_execz .LBB299_1707
; %bb.1704:                             ;   in Loop: Header=BB299_1059 Depth=1
	v_and_b32_e32 v36, 7, v0
	v_lshrrev_b32_e32 v115, 3, v116
	s_mov_b32 s20, exec_lo
	v_cmpx_gt_u32_e32 8, v116
; %bb.1705:                             ;   in Loop: Header=BB299_1059 Depth=1
	v_ffbh_u32_e32 v36, v36
	v_min_u32_e32 v36, 32, v36
	v_subrev_nc_u32_e32 v115, 28, v36
	v_lshlrev_b64 v[116:117], v115, v[0:1]
	v_sub_nc_u32_e32 v115, 29, v36
	v_and_b32_e32 v36, 7, v116
; %bb.1706:                             ;   in Loop: Header=BB299_1059 Depth=1
	s_or_b32 exec_lo, exec_lo, s20
	v_lshlrev_b32_e32 v0, 8, v0
	v_lshl_add_u32 v115, v115, 10, 0x2000
	v_lshlrev_b32_e32 v36, 7, v36
	v_and_b32_e32 v0, 0x8000, v0
	v_and_b32_e32 v115, 0xfc00, v115
	v_or3_b32 v36, v0, v115, v36
.LBB299_1707:                           ;   in Loop: Header=BB299_1059 Depth=1
	s_or_b32 exec_lo, exec_lo, s18
.LBB299_1708:                           ;   in Loop: Header=BB299_1059 Depth=1
	s_or_b32 exec_lo, exec_lo, s15
.LBB299_1709:                           ;   in Loop: Header=BB299_1059 Depth=1
	s_or_b32 exec_lo, exec_lo, s13
	v_cmp_lt_u64_e64 s5, s[8:9], v[11:12]
	v_mov_b32_e32 v11, 0
	s_and_saveexec_b32 s13, s5
	s_cbranch_execz .LBB299_1717
; %bb.1710:                             ;   in Loop: Header=BB299_1059 Depth=1
	v_lshrrev_b32_e32 v0, 24, v12
	v_bfrev_b32_e32 v11, 1
	s_mov_b32 s15, exec_lo
	v_cmpx_ne_u32_e32 0x80, v0
	s_cbranch_execz .LBB299_1716
; %bb.1711:                             ;   in Loop: Header=BB299_1059 Depth=1
	v_and_b32_e32 v115, 0x7f, v0
	v_mov_b32_e32 v11, 0x7c010000
	s_mov_b32 s18, exec_lo
	v_cmpx_ne_u32_e32 0x7f, v115
	s_cbranch_execz .LBB299_1715
; %bb.1712:                             ;   in Loop: Header=BB299_1059 Depth=1
	v_and_b32_e32 v11, 7, v0
	v_lshrrev_b32_e32 v12, 3, v115
	s_mov_b32 s20, exec_lo
	v_cmpx_gt_u32_e32 8, v115
; %bb.1713:                             ;   in Loop: Header=BB299_1059 Depth=1
	v_ffbh_u32_e32 v11, v11
	v_min_u32_e32 v115, 32, v11
	v_subrev_nc_u32_e32 v11, 28, v115
	v_lshlrev_b64 v[11:12], v11, v[0:1]
	v_sub_nc_u32_e32 v12, 29, v115
	v_and_b32_e32 v11, 7, v11
; %bb.1714:                             ;   in Loop: Header=BB299_1059 Depth=1
	s_or_b32 exec_lo, exec_lo, s20
	v_lshlrev_b32_e32 v0, 8, v0
	v_lshl_add_u32 v12, v12, 10, 0x2000
	v_lshlrev_b32_e32 v11, 23, v11
	v_and_or_b32 v0, 0x8000, v0, v12
	v_lshl_or_b32 v11, v0, 16, v11
.LBB299_1715:                           ;   in Loop: Header=BB299_1059 Depth=1
	s_or_b32 exec_lo, exec_lo, s18
.LBB299_1716:                           ;   in Loop: Header=BB299_1059 Depth=1
	s_or_b32 exec_lo, exec_lo, s15
.LBB299_1717:                           ;   in Loop: Header=BB299_1059 Depth=1
	s_or_b32 exec_lo, exec_lo, s13
	v_or_b32_e32 v0, v33, v34
	s_waitcnt vmcnt(0) lgkmcnt(0)
	v_fma_mixlo_f16 v12, v6, v33, 0 op_sel:[0,1,0] op_sel_hi:[0,1,0]
	v_or_b32_e32 v33, v13, v22
	v_fma_mixlo_f16 v13, v6, v13, 0 op_sel:[0,1,0] op_sel_hi:[0,1,0]
	v_or_b32_e32 v34, v114, v37
	v_fma_mixlo_f16 v37, v6, v0, 0 op_sel_hi:[0,1,0]
	v_or_b32_e32 v36, v11, v36
	v_lshlrev_b32_e32 v0, 16, v12
	v_lshlrev_b32_e32 v22, 16, v13
	v_fma_mixlo_f16 v13, v6, v33, 0 op_sel_hi:[0,1,0]
	v_and_b32_e32 v12, 0xffff, v37
	v_fma_mixlo_f16 v33, v6, v114, 0 op_sel:[0,1,0] op_sel_hi:[0,1,0]
	v_fma_mixlo_f16 v34, v6, v34, 0 op_sel_hi:[0,1,0]
	v_fma_mixlo_f16 v37, v6, v11, 0 op_sel:[0,1,0] op_sel_hi:[0,1,0]
	v_fma_mixlo_f16 v36, v6, v36, 0 op_sel_hi:[0,1,0]
	v_and_b32_e32 v115, 0xffff, v13
	v_lshlrev_b32_e32 v11, 16, v33
	v_and_b32_e32 v34, 0xffff, v34
	v_lshlrev_b32_e32 v6, 16, v37
	v_and_b32_e32 v13, 0xffff, v36
	v_or_b32_e32 v33, v0, v12
	v_or_b32_e32 v114, v22, v115
	;; [unrolled: 1-line block ×4, first 2 shown]
	s_and_saveexec_b32 s13, vcc_lo
	s_cbranch_execz .LBB299_1719
; %bb.1718:                             ;   in Loop: Header=BB299_1059 Depth=1
	v_cmp_lt_i32_e64 s5, v48, v35
	v_cndmask_b32_e64 v33, 0, v115, s5
	v_cmp_lt_i32_e64 s5, v83, v35
	v_cndmask_b32_e64 v22, 0, v22, s5
	v_cmp_lt_i32_e64 s5, v82, v35
	v_or_b32_e32 v114, v33, v22
	v_cndmask_b32_e64 v12, 0, v12, s5
	v_cmp_lt_i32_e64 s5, v81, v35
	v_cndmask_b32_e64 v0, 0, v0, s5
	v_cmp_lt_i32_e64 s5, v80, v35
	v_or_b32_e32 v33, v12, v0
	;; [unrolled: 5-line block ×3, first 2 shown]
	v_cndmask_b32_e64 v13, 0, v13, s5
	v_cmp_lt_i32_e64 s5, v14, v35
	v_cndmask_b32_e64 v6, 0, v6, s5
	v_or_b32_e32 v36, v13, v6
.LBB299_1719:                           ;   in Loop: Header=BB299_1059 Depth=1
	s_or_b32 exec_lo, exec_lo, s13
	;;#ASMSTART
	v_pk_mul_f16 v0, v68, v114;

	;;#ASMEND
	;;#ASMSTART
	v_pk_mul_f16 v6, v66, v33;

	;;#ASMEND
	;; [unrolled: 4-line block ×4, first 2 shown]
	;;#ASMSTART
	v_pk_add_f16 v0, v0, v6;

	;;#ASMEND
	;;#ASMSTART
	v_pk_add_f16 v0, v0, v11;

	;;#ASMEND
	;; [unrolled: 4-line block ×3, first 2 shown]
	v_and_b32_e32 v6, 0xffff, v0
	v_lshrrev_b32_e32 v0, 16, v0
	;;#ASMSTART
	v_cvt_f32_f16 v13, v6;
	;;#ASMEND
	;;#ASMSTART
	v_cvt_f32_f16 v22, v0;
	;;#ASMEND
	flat_load_dwordx2 v[11:12], v[9:10] offset:512
	flat_load_dword v6, v[26:27]
	v_mov_b32_e32 v33, 0
	v_mov_b32_e32 v34, 0
	s_waitcnt vmcnt(1) lgkmcnt(1)
	v_cmp_ne_u16_sdwa s5, v11, v1 src0_sel:BYTE_0 src1_sel:DWORD
	s_and_saveexec_b32 s13, s5
	s_cbranch_execz .LBB299_1727
; %bb.1720:                             ;   in Loop: Header=BB299_1059 Depth=1
	v_cmp_ne_u16_sdwa s5, v11, v16 src0_sel:BYTE_0 src1_sel:DWORD
	v_mov_b32_e32 v34, 0x8000
	s_and_saveexec_b32 s15, s5
	s_cbranch_execz .LBB299_1726
; %bb.1721:                             ;   in Loop: Header=BB299_1059 Depth=1
	v_and_b32_e32 v36, 0x7f, v11
	v_mov_b32_e32 v34, 0x7c01
	s_mov_b32 s18, exec_lo
	v_cmpx_ne_u32_e32 0x7f, v36
	s_cbranch_execz .LBB299_1725
; %bb.1722:                             ;   in Loop: Header=BB299_1059 Depth=1
	v_and_b32_e32 v0, 7, v11
	v_lshrrev_b32_e32 v34, 3, v36
	s_mov_b32 s20, exec_lo
	v_cmpx_gt_u32_e32 8, v36
; %bb.1723:                             ;   in Loop: Header=BB299_1059 Depth=1
	v_ffbh_u32_e32 v0, v0
	v_min_u32_e32 v0, 32, v0
	v_subrev_nc_u32_e32 v34, 28, v0
	v_lshlrev_b64 v[36:37], v34, v[11:12]
	v_sub_nc_u32_e32 v34, 29, v0
	v_and_b32_e32 v0, 7, v36
; %bb.1724:                             ;   in Loop: Header=BB299_1059 Depth=1
	s_or_b32 exec_lo, exec_lo, s20
	v_lshlrev_b32_e32 v36, 8, v11
	v_lshl_add_u32 v34, v34, 10, 0x2000
	v_lshlrev_b32_e32 v0, 7, v0
	v_and_b32_e32 v36, 0x8000, v36
	v_and_b32_e32 v34, 0xfc00, v34
	v_or3_b32 v34, v36, v34, v0
.LBB299_1725:                           ;   in Loop: Header=BB299_1059 Depth=1
	s_or_b32 exec_lo, exec_lo, s18
.LBB299_1726:                           ;   in Loop: Header=BB299_1059 Depth=1
	s_or_b32 exec_lo, exec_lo, s15
.LBB299_1727:                           ;   in Loop: Header=BB299_1059 Depth=1
	s_or_b32 exec_lo, exec_lo, s13
	v_lshrrev_b16 v0, 8, v11
	s_mov_b32 s13, exec_lo
	v_cmpx_ne_u16_e32 0, v0
	s_cbranch_execz .LBB299_1735
; %bb.1728:                             ;   in Loop: Header=BB299_1059 Depth=1
	v_bfrev_b32_e32 v33, 1
	s_mov_b32 s15, exec_lo
	v_cmpx_ne_u16_e32 0x80, v0
	s_cbranch_execz .LBB299_1734
; %bb.1729:                             ;   in Loop: Header=BB299_1059 Depth=1
	v_and_b32_sdwa v37, v0, v17 dst_sel:DWORD dst_unused:UNUSED_PAD src0_sel:WORD_0 src1_sel:DWORD
	v_mov_b32_e32 v33, 0x7c010000
	s_mov_b32 s18, exec_lo
	v_cmpx_ne_u32_e32 0x7f, v37
	s_cbranch_execz .LBB299_1733
; %bb.1730:                             ;   in Loop: Header=BB299_1059 Depth=1
	v_and_b32_sdwa v33, v0, v38 dst_sel:DWORD dst_unused:UNUSED_PAD src0_sel:WORD_0 src1_sel:DWORD
	v_lshrrev_b32_e32 v36, 3, v37
	s_mov_b32 s20, exec_lo
	v_cmpx_gt_u32_e32 8, v37
; %bb.1731:                             ;   in Loop: Header=BB299_1059 Depth=1
	v_ffbh_u32_e32 v33, v33
	v_min_u32_e32 v33, 32, v33
	v_subrev_nc_u32_e32 v36, 28, v33
	v_lshlrev_b64 v[114:115], v36, v[0:1]
	v_sub_nc_u32_e32 v36, 29, v33
	v_and_b32_e32 v33, 7, v114
; %bb.1732:                             ;   in Loop: Header=BB299_1059 Depth=1
	s_or_b32 exec_lo, exec_lo, s20
	v_lshlrev_b32_sdwa v0, v39, v0 dst_sel:DWORD dst_unused:UNUSED_PAD src0_sel:DWORD src1_sel:WORD_0
	v_lshl_add_u32 v36, v36, 10, 0x2000
	v_lshlrev_b32_e32 v33, 23, v33
	v_and_or_b32 v0, 0x8000, v0, v36
	v_lshl_or_b32 v33, v0, 16, v33
.LBB299_1733:                           ;   in Loop: Header=BB299_1059 Depth=1
	s_or_b32 exec_lo, exec_lo, s18
.LBB299_1734:                           ;   in Loop: Header=BB299_1059 Depth=1
	s_or_b32 exec_lo, exec_lo, s15
.LBB299_1735:                           ;   in Loop: Header=BB299_1059 Depth=1
	s_or_b32 exec_lo, exec_lo, s13
	v_lshrrev_b32_e32 v0, 16, v11
	v_mov_b32_e32 v36, 0
	v_mov_b32_e32 v37, 0
	v_cmp_ne_u16_sdwa s5, v0, v1 src0_sel:BYTE_0 src1_sel:DWORD
	s_and_saveexec_b32 s13, s5
	s_cbranch_execz .LBB299_1743
; %bb.1736:                             ;   in Loop: Header=BB299_1059 Depth=1
	v_cmp_ne_u16_sdwa s5, v0, v16 src0_sel:BYTE_0 src1_sel:DWORD
	v_mov_b32_e32 v37, 0x8000
	s_and_saveexec_b32 s15, s5
	s_cbranch_execz .LBB299_1742
; %bb.1737:                             ;   in Loop: Header=BB299_1059 Depth=1
	v_bfe_u32 v115, v11, 16, 7
	v_mov_b32_e32 v37, 0x7c01
	s_mov_b32 s18, exec_lo
	v_cmpx_ne_u32_e32 0x7f, v115
	s_cbranch_execz .LBB299_1741
; %bb.1738:                             ;   in Loop: Header=BB299_1059 Depth=1
	v_and_b32_e32 v37, 7, v0
	v_lshrrev_b32_e32 v114, 3, v115
	s_mov_b32 s20, exec_lo
	v_cmpx_gt_u32_e32 8, v115
; %bb.1739:                             ;   in Loop: Header=BB299_1059 Depth=1
	v_ffbh_u32_e32 v37, v37
	v_min_u32_e32 v37, 32, v37
	v_subrev_nc_u32_e32 v114, 28, v37
	v_lshlrev_b64 v[115:116], v114, v[0:1]
	v_sub_nc_u32_e32 v114, 29, v37
	v_and_b32_e32 v37, 7, v115
; %bb.1740:                             ;   in Loop: Header=BB299_1059 Depth=1
	s_or_b32 exec_lo, exec_lo, s20
	v_lshlrev_b32_e32 v0, 8, v0
	v_lshl_add_u32 v114, v114, 10, 0x2000
	v_lshlrev_b32_e32 v37, 7, v37
	v_and_b32_e32 v0, 0x8000, v0
	v_and_b32_e32 v114, 0xfc00, v114
	v_or3_b32 v37, v0, v114, v37
.LBB299_1741:                           ;   in Loop: Header=BB299_1059 Depth=1
	s_or_b32 exec_lo, exec_lo, s18
.LBB299_1742:                           ;   in Loop: Header=BB299_1059 Depth=1
	s_or_b32 exec_lo, exec_lo, s15
.LBB299_1743:                           ;   in Loop: Header=BB299_1059 Depth=1
	s_or_b32 exec_lo, exec_lo, s13
	s_mov_b32 s13, exec_lo
	v_cmpx_lt_u32_e32 0xffffff, v11
	s_cbranch_execz .LBB299_1751
; %bb.1744:                             ;   in Loop: Header=BB299_1059 Depth=1
	v_lshrrev_b32_e32 v0, 24, v11
	v_bfrev_b32_e32 v36, 1
	s_mov_b32 s15, exec_lo
	v_cmpx_ne_u32_e32 0x80, v0
	s_cbranch_execz .LBB299_1750
; %bb.1745:                             ;   in Loop: Header=BB299_1059 Depth=1
	v_and_b32_e32 v115, 0x7f, v0
	v_mov_b32_e32 v36, 0x7c010000
	s_mov_b32 s18, exec_lo
	v_cmpx_ne_u32_e32 0x7f, v115
	s_cbranch_execz .LBB299_1749
; %bb.1746:                             ;   in Loop: Header=BB299_1059 Depth=1
	v_and_b32_e32 v36, 7, v0
	v_lshrrev_b32_e32 v114, 3, v115
	s_mov_b32 s20, exec_lo
	v_cmpx_gt_u32_e32 8, v115
; %bb.1747:                             ;   in Loop: Header=BB299_1059 Depth=1
	v_ffbh_u32_e32 v36, v36
	v_min_u32_e32 v36, 32, v36
	v_subrev_nc_u32_e32 v114, 28, v36
	v_lshlrev_b64 v[115:116], v114, v[0:1]
	v_sub_nc_u32_e32 v114, 29, v36
	v_and_b32_e32 v36, 7, v115
; %bb.1748:                             ;   in Loop: Header=BB299_1059 Depth=1
	s_or_b32 exec_lo, exec_lo, s20
	v_lshlrev_b32_e32 v0, 8, v0
	v_lshl_add_u32 v114, v114, 10, 0x2000
	v_lshlrev_b32_e32 v36, 23, v36
	v_and_or_b32 v0, 0x8000, v0, v114
	v_lshl_or_b32 v36, v0, 16, v36
.LBB299_1749:                           ;   in Loop: Header=BB299_1059 Depth=1
	s_or_b32 exec_lo, exec_lo, s18
.LBB299_1750:                           ;   in Loop: Header=BB299_1059 Depth=1
	s_or_b32 exec_lo, exec_lo, s15
.LBB299_1751:                           ;   in Loop: Header=BB299_1059 Depth=1
	s_or_b32 exec_lo, exec_lo, s13
	v_mov_b32_e32 v0, v12
	v_cmp_ne_u16_sdwa s5, v12, v1 src0_sel:BYTE_0 src1_sel:DWORD
	v_mov_b32_e32 v114, 0
	v_mov_b32_e32 v115, 0
	s_and_saveexec_b32 s13, s5
	s_cbranch_execz .LBB299_1759
; %bb.1752:                             ;   in Loop: Header=BB299_1059 Depth=1
	v_cmp_ne_u16_sdwa s5, v12, v16 src0_sel:BYTE_0 src1_sel:DWORD
	v_mov_b32_e32 v115, 0x8000
	s_and_saveexec_b32 s15, s5
	s_cbranch_execz .LBB299_1758
; %bb.1753:                             ;   in Loop: Header=BB299_1059 Depth=1
	v_and_b32_e32 v117, 0x7f, v12
	v_mov_b32_e32 v115, 0x7c01
	s_mov_b32 s18, exec_lo
	v_cmpx_ne_u32_e32 0x7f, v117
	s_cbranch_execz .LBB299_1757
; %bb.1754:                             ;   in Loop: Header=BB299_1059 Depth=1
	v_and_b32_e32 v115, 7, v12
	v_lshrrev_b32_e32 v116, 3, v117
	s_mov_b32 s20, exec_lo
	v_cmpx_gt_u32_e32 8, v117
; %bb.1755:                             ;   in Loop: Header=BB299_1059 Depth=1
	v_ffbh_u32_e32 v115, v115
	v_min_u32_e32 v117, 32, v115
	v_subrev_nc_u32_e32 v115, 28, v117
	v_lshlrev_b64 v[115:116], v115, v[0:1]
	v_sub_nc_u32_e32 v116, 29, v117
	v_and_b32_e32 v115, 7, v115
; %bb.1756:                             ;   in Loop: Header=BB299_1059 Depth=1
	s_or_b32 exec_lo, exec_lo, s20
	v_lshlrev_b32_e32 v117, 8, v12
	v_lshl_add_u32 v116, v116, 10, 0x2000
	v_lshlrev_b32_e32 v115, 7, v115
	v_and_b32_e32 v117, 0x8000, v117
	v_and_b32_e32 v116, 0xfc00, v116
	v_or3_b32 v115, v117, v116, v115
.LBB299_1757:                           ;   in Loop: Header=BB299_1059 Depth=1
	s_or_b32 exec_lo, exec_lo, s18
.LBB299_1758:                           ;   in Loop: Header=BB299_1059 Depth=1
	s_or_b32 exec_lo, exec_lo, s15
.LBB299_1759:                           ;   in Loop: Header=BB299_1059 Depth=1
	s_or_b32 exec_lo, exec_lo, s13
	v_lshrrev_b16 v0, 8, v0
	v_mov_b32_e32 v116, 0
	s_mov_b32 s13, exec_lo
	v_cmpx_ne_u16_e32 0, v0
	s_cbranch_execz .LBB299_1767
; %bb.1760:                             ;   in Loop: Header=BB299_1059 Depth=1
	v_bfrev_b32_e32 v116, 1
	s_mov_b32 s15, exec_lo
	v_cmpx_ne_u16_e32 0x80, v0
	s_cbranch_execz .LBB299_1766
; %bb.1761:                             ;   in Loop: Header=BB299_1059 Depth=1
	v_and_b32_sdwa v118, v0, v17 dst_sel:DWORD dst_unused:UNUSED_PAD src0_sel:WORD_0 src1_sel:DWORD
	v_mov_b32_e32 v116, 0x7c010000
	s_mov_b32 s18, exec_lo
	v_cmpx_ne_u32_e32 0x7f, v118
	s_cbranch_execz .LBB299_1765
; %bb.1762:                             ;   in Loop: Header=BB299_1059 Depth=1
	v_and_b32_sdwa v116, v0, v38 dst_sel:DWORD dst_unused:UNUSED_PAD src0_sel:WORD_0 src1_sel:DWORD
	v_lshrrev_b32_e32 v117, 3, v118
	s_mov_b32 s20, exec_lo
	v_cmpx_gt_u32_e32 8, v118
; %bb.1763:                             ;   in Loop: Header=BB299_1059 Depth=1
	v_ffbh_u32_e32 v116, v116
	v_min_u32_e32 v118, 32, v116
	v_subrev_nc_u32_e32 v116, 28, v118
	v_lshlrev_b64 v[116:117], v116, v[0:1]
	v_sub_nc_u32_e32 v117, 29, v118
	v_and_b32_e32 v116, 7, v116
; %bb.1764:                             ;   in Loop: Header=BB299_1059 Depth=1
	s_or_b32 exec_lo, exec_lo, s20
	v_lshlrev_b32_sdwa v0, v39, v0 dst_sel:DWORD dst_unused:UNUSED_PAD src0_sel:DWORD src1_sel:WORD_0
	v_lshl_add_u32 v117, v117, 10, 0x2000
	v_lshlrev_b32_e32 v116, 23, v116
	v_and_or_b32 v0, 0x8000, v0, v117
	v_lshl_or_b32 v116, v0, 16, v116
.LBB299_1765:                           ;   in Loop: Header=BB299_1059 Depth=1
	s_or_b32 exec_lo, exec_lo, s18
.LBB299_1766:                           ;   in Loop: Header=BB299_1059 Depth=1
	s_or_b32 exec_lo, exec_lo, s15
.LBB299_1767:                           ;   in Loop: Header=BB299_1059 Depth=1
	s_or_b32 exec_lo, exec_lo, s13
	v_lshrrev_b32_e32 v0, 16, v12
	v_cmp_ne_u16_sdwa s5, v0, v1 src0_sel:BYTE_0 src1_sel:DWORD
	s_and_saveexec_b32 s13, s5
	s_cbranch_execz .LBB299_1775
; %bb.1768:                             ;   in Loop: Header=BB299_1059 Depth=1
	v_cmp_ne_u16_sdwa s5, v0, v16 src0_sel:BYTE_0 src1_sel:DWORD
	v_mov_b32_e32 v114, 0x8000
	s_and_saveexec_b32 s15, s5
	s_cbranch_execz .LBB299_1774
; %bb.1769:                             ;   in Loop: Header=BB299_1059 Depth=1
	v_bfe_u32 v118, v12, 16, 7
	v_mov_b32_e32 v114, 0x7c01
	s_mov_b32 s18, exec_lo
	v_cmpx_ne_u32_e32 0x7f, v118
	s_cbranch_execz .LBB299_1773
; %bb.1770:                             ;   in Loop: Header=BB299_1059 Depth=1
	v_and_b32_e32 v114, 7, v0
	v_lshrrev_b32_e32 v117, 3, v118
	s_mov_b32 s20, exec_lo
	v_cmpx_gt_u32_e32 8, v118
; %bb.1771:                             ;   in Loop: Header=BB299_1059 Depth=1
	v_ffbh_u32_e32 v114, v114
	v_min_u32_e32 v114, 32, v114
	v_subrev_nc_u32_e32 v117, 28, v114
	v_lshlrev_b64 v[118:119], v117, v[0:1]
	v_sub_nc_u32_e32 v117, 29, v114
	v_and_b32_e32 v114, 7, v118
; %bb.1772:                             ;   in Loop: Header=BB299_1059 Depth=1
	s_or_b32 exec_lo, exec_lo, s20
	v_lshlrev_b32_e32 v0, 8, v0
	v_lshl_add_u32 v117, v117, 10, 0x2000
	v_lshlrev_b32_e32 v114, 7, v114
	v_and_b32_e32 v0, 0x8000, v0
	v_and_b32_e32 v117, 0xfc00, v117
	v_or3_b32 v114, v0, v117, v114
.LBB299_1773:                           ;   in Loop: Header=BB299_1059 Depth=1
	s_or_b32 exec_lo, exec_lo, s18
.LBB299_1774:                           ;   in Loop: Header=BB299_1059 Depth=1
	s_or_b32 exec_lo, exec_lo, s15
.LBB299_1775:                           ;   in Loop: Header=BB299_1059 Depth=1
	s_or_b32 exec_lo, exec_lo, s13
	v_cmp_lt_u64_e64 s5, s[8:9], v[11:12]
	v_mov_b32_e32 v11, 0
	s_and_saveexec_b32 s13, s5
	s_cbranch_execz .LBB299_1783
; %bb.1776:                             ;   in Loop: Header=BB299_1059 Depth=1
	v_lshrrev_b32_e32 v0, 24, v12
	v_bfrev_b32_e32 v11, 1
	s_mov_b32 s15, exec_lo
	v_cmpx_ne_u32_e32 0x80, v0
	s_cbranch_execz .LBB299_1782
; %bb.1777:                             ;   in Loop: Header=BB299_1059 Depth=1
	v_and_b32_e32 v117, 0x7f, v0
	v_mov_b32_e32 v11, 0x7c010000
	s_mov_b32 s18, exec_lo
	v_cmpx_ne_u32_e32 0x7f, v117
	s_cbranch_execz .LBB299_1781
; %bb.1778:                             ;   in Loop: Header=BB299_1059 Depth=1
	v_and_b32_e32 v11, 7, v0
	v_lshrrev_b32_e32 v12, 3, v117
	s_mov_b32 s20, exec_lo
	v_cmpx_gt_u32_e32 8, v117
; %bb.1779:                             ;   in Loop: Header=BB299_1059 Depth=1
	v_ffbh_u32_e32 v11, v11
	v_min_u32_e32 v117, 32, v11
	v_subrev_nc_u32_e32 v11, 28, v117
	v_lshlrev_b64 v[11:12], v11, v[0:1]
	v_sub_nc_u32_e32 v12, 29, v117
	v_and_b32_e32 v11, 7, v11
; %bb.1780:                             ;   in Loop: Header=BB299_1059 Depth=1
	s_or_b32 exec_lo, exec_lo, s20
	v_lshlrev_b32_e32 v0, 8, v0
	v_lshl_add_u32 v12, v12, 10, 0x2000
	v_lshlrev_b32_e32 v11, 23, v11
	v_and_or_b32 v0, 0x8000, v0, v12
	v_lshl_or_b32 v11, v0, 16, v11
.LBB299_1781:                           ;   in Loop: Header=BB299_1059 Depth=1
	s_or_b32 exec_lo, exec_lo, s18
.LBB299_1782:                           ;   in Loop: Header=BB299_1059 Depth=1
	s_or_b32 exec_lo, exec_lo, s15
.LBB299_1783:                           ;   in Loop: Header=BB299_1059 Depth=1
	s_or_b32 exec_lo, exec_lo, s13
	v_or_b32_e32 v0, v36, v37
	s_waitcnt vmcnt(0) lgkmcnt(0)
	v_fma_mixlo_f16 v12, v6, v36, 0 op_sel:[0,1,0] op_sel_hi:[0,1,0]
	v_or_b32_e32 v36, v33, v34
	v_fma_mixlo_f16 v33, v6, v33, 0 op_sel:[0,1,0] op_sel_hi:[0,1,0]
	v_or_b32_e32 v37, v116, v115
	v_fma_mixlo_f16 v115, v6, v0, 0 op_sel_hi:[0,1,0]
	v_or_b32_e32 v114, v11, v114
	v_lshlrev_b32_e32 v0, 16, v12
	v_lshlrev_b32_e32 v34, 16, v33
	v_fma_mixlo_f16 v33, v6, v36, 0 op_sel_hi:[0,1,0]
	v_and_b32_e32 v12, 0xffff, v115
	v_fma_mixlo_f16 v36, v6, v116, 0 op_sel:[0,1,0] op_sel_hi:[0,1,0]
	v_fma_mixlo_f16 v37, v6, v37, 0 op_sel_hi:[0,1,0]
	v_fma_mixlo_f16 v115, v6, v11, 0 op_sel:[0,1,0] op_sel_hi:[0,1,0]
	v_fma_mixlo_f16 v114, v6, v114, 0 op_sel_hi:[0,1,0]
	v_and_b32_e32 v117, 0xffff, v33
	v_lshlrev_b32_e32 v11, 16, v36
	v_and_b32_e32 v37, 0xffff, v37
	v_lshlrev_b32_e32 v6, 16, v115
	v_and_b32_e32 v33, 0xffff, v114
	v_or_b32_e32 v36, v0, v12
	v_or_b32_e32 v116, v34, v117
	;; [unrolled: 1-line block ×4, first 2 shown]
	s_and_saveexec_b32 s13, vcc_lo
	s_cbranch_execz .LBB299_1785
; %bb.1784:                             ;   in Loop: Header=BB299_1059 Depth=1
	v_cmp_lt_i32_e64 s5, v48, v35
	v_cndmask_b32_e64 v36, 0, v117, s5
	v_cmp_lt_i32_e64 s5, v83, v35
	v_cndmask_b32_e64 v34, 0, v34, s5
	v_cmp_lt_i32_e64 s5, v82, v35
	v_or_b32_e32 v116, v36, v34
	v_cndmask_b32_e64 v12, 0, v12, s5
	v_cmp_lt_i32_e64 s5, v81, v35
	v_cndmask_b32_e64 v0, 0, v0, s5
	v_cmp_lt_i32_e64 s5, v80, v35
	v_or_b32_e32 v36, v12, v0
	;; [unrolled: 5-line block ×3, first 2 shown]
	v_cndmask_b32_e64 v33, 0, v33, s5
	v_cmp_lt_i32_e64 s5, v14, v35
	v_cndmask_b32_e64 v6, 0, v6, s5
	v_or_b32_e32 v114, v33, v6
.LBB299_1785:                           ;   in Loop: Header=BB299_1059 Depth=1
	s_or_b32 exec_lo, exec_lo, s13
	;;#ASMSTART
	v_pk_mul_f16 v0, v68, v116;

	;;#ASMEND
	;;#ASMSTART
	v_pk_mul_f16 v6, v66, v36;

	;;#ASMEND
	;;#ASMSTART
	v_pk_mul_f16 v11, v65, v115;

	;;#ASMEND
	;;#ASMSTART
	v_pk_mul_f16 v12, v64, v114;

	;;#ASMEND
	;;#ASMSTART
	v_pk_add_f16 v0, v0, v6;

	;;#ASMEND
	;;#ASMSTART
	v_pk_add_f16 v0, v0, v11;

	;;#ASMEND
	;; [unrolled: 4-line block ×3, first 2 shown]
	v_and_b32_e32 v6, 0xffff, v0
	v_lshrrev_b32_e32 v0, 16, v0
	;;#ASMSTART
	v_cvt_f32_f16 v6, v6;
	;;#ASMEND
	;;#ASMSTART
	v_cvt_f32_f16 v33, v0;
	;;#ASMEND
	flat_load_dwordx2 v[11:12], v[9:10] offset:768
	flat_load_dword v34, v[26:27]
	v_mov_b32_e32 v36, 0
	v_mov_b32_e32 v37, 0
	s_waitcnt vmcnt(1) lgkmcnt(1)
	v_cmp_ne_u16_sdwa s5, v11, v1 src0_sel:BYTE_0 src1_sel:DWORD
	s_and_saveexec_b32 s13, s5
	s_cbranch_execz .LBB299_1793
; %bb.1786:                             ;   in Loop: Header=BB299_1059 Depth=1
	v_cmp_ne_u16_sdwa s5, v11, v16 src0_sel:BYTE_0 src1_sel:DWORD
	v_mov_b32_e32 v37, 0x8000
	s_and_saveexec_b32 s15, s5
	s_cbranch_execz .LBB299_1792
; %bb.1787:                             ;   in Loop: Header=BB299_1059 Depth=1
	v_and_b32_e32 v114, 0x7f, v11
	v_mov_b32_e32 v37, 0x7c01
	s_mov_b32 s18, exec_lo
	v_cmpx_ne_u32_e32 0x7f, v114
	s_cbranch_execz .LBB299_1791
; %bb.1788:                             ;   in Loop: Header=BB299_1059 Depth=1
	v_and_b32_e32 v0, 7, v11
	v_lshrrev_b32_e32 v37, 3, v114
	s_mov_b32 s20, exec_lo
	v_cmpx_gt_u32_e32 8, v114
; %bb.1789:                             ;   in Loop: Header=BB299_1059 Depth=1
	v_ffbh_u32_e32 v0, v0
	v_min_u32_e32 v0, 32, v0
	v_subrev_nc_u32_e32 v37, 28, v0
	v_lshlrev_b64 v[114:115], v37, v[11:12]
	v_sub_nc_u32_e32 v37, 29, v0
	v_and_b32_e32 v0, 7, v114
; %bb.1790:                             ;   in Loop: Header=BB299_1059 Depth=1
	s_or_b32 exec_lo, exec_lo, s20
	v_lshlrev_b32_e32 v114, 8, v11
	v_lshl_add_u32 v37, v37, 10, 0x2000
	v_lshlrev_b32_e32 v0, 7, v0
	v_and_b32_e32 v114, 0x8000, v114
	v_and_b32_e32 v37, 0xfc00, v37
	v_or3_b32 v37, v114, v37, v0
.LBB299_1791:                           ;   in Loop: Header=BB299_1059 Depth=1
	s_or_b32 exec_lo, exec_lo, s18
.LBB299_1792:                           ;   in Loop: Header=BB299_1059 Depth=1
	s_or_b32 exec_lo, exec_lo, s15
.LBB299_1793:                           ;   in Loop: Header=BB299_1059 Depth=1
	s_or_b32 exec_lo, exec_lo, s13
	v_lshrrev_b16 v0, 8, v11
	s_mov_b32 s13, exec_lo
	v_cmpx_ne_u16_e32 0, v0
	s_cbranch_execz .LBB299_1801
; %bb.1794:                             ;   in Loop: Header=BB299_1059 Depth=1
	v_bfrev_b32_e32 v36, 1
	s_mov_b32 s15, exec_lo
	v_cmpx_ne_u16_e32 0x80, v0
	s_cbranch_execz .LBB299_1800
; %bb.1795:                             ;   in Loop: Header=BB299_1059 Depth=1
	v_and_b32_sdwa v115, v0, v17 dst_sel:DWORD dst_unused:UNUSED_PAD src0_sel:WORD_0 src1_sel:DWORD
	v_mov_b32_e32 v36, 0x7c010000
	s_mov_b32 s18, exec_lo
	v_cmpx_ne_u32_e32 0x7f, v115
	s_cbranch_execz .LBB299_1799
; %bb.1796:                             ;   in Loop: Header=BB299_1059 Depth=1
	v_and_b32_sdwa v36, v0, v38 dst_sel:DWORD dst_unused:UNUSED_PAD src0_sel:WORD_0 src1_sel:DWORD
	v_lshrrev_b32_e32 v114, 3, v115
	s_mov_b32 s20, exec_lo
	v_cmpx_gt_u32_e32 8, v115
; %bb.1797:                             ;   in Loop: Header=BB299_1059 Depth=1
	v_ffbh_u32_e32 v36, v36
	v_min_u32_e32 v36, 32, v36
	v_subrev_nc_u32_e32 v114, 28, v36
	v_lshlrev_b64 v[115:116], v114, v[0:1]
	v_sub_nc_u32_e32 v114, 29, v36
	v_and_b32_e32 v36, 7, v115
; %bb.1798:                             ;   in Loop: Header=BB299_1059 Depth=1
	s_or_b32 exec_lo, exec_lo, s20
	v_lshlrev_b32_sdwa v0, v39, v0 dst_sel:DWORD dst_unused:UNUSED_PAD src0_sel:DWORD src1_sel:WORD_0
	v_lshl_add_u32 v114, v114, 10, 0x2000
	v_lshlrev_b32_e32 v36, 23, v36
	v_and_or_b32 v0, 0x8000, v0, v114
	v_lshl_or_b32 v36, v0, 16, v36
.LBB299_1799:                           ;   in Loop: Header=BB299_1059 Depth=1
	s_or_b32 exec_lo, exec_lo, s18
.LBB299_1800:                           ;   in Loop: Header=BB299_1059 Depth=1
	s_or_b32 exec_lo, exec_lo, s15
.LBB299_1801:                           ;   in Loop: Header=BB299_1059 Depth=1
	s_or_b32 exec_lo, exec_lo, s13
	v_lshrrev_b32_e32 v0, 16, v11
	v_mov_b32_e32 v114, 0
	v_mov_b32_e32 v115, 0
	v_cmp_ne_u16_sdwa s5, v0, v1 src0_sel:BYTE_0 src1_sel:DWORD
	s_and_saveexec_b32 s13, s5
	s_cbranch_execz .LBB299_1809
; %bb.1802:                             ;   in Loop: Header=BB299_1059 Depth=1
	v_cmp_ne_u16_sdwa s5, v0, v16 src0_sel:BYTE_0 src1_sel:DWORD
	v_mov_b32_e32 v115, 0x8000
	s_and_saveexec_b32 s15, s5
	s_cbranch_execz .LBB299_1808
; %bb.1803:                             ;   in Loop: Header=BB299_1059 Depth=1
	v_bfe_u32 v117, v11, 16, 7
	v_mov_b32_e32 v115, 0x7c01
	s_mov_b32 s18, exec_lo
	v_cmpx_ne_u32_e32 0x7f, v117
	s_cbranch_execz .LBB299_1807
; %bb.1804:                             ;   in Loop: Header=BB299_1059 Depth=1
	v_and_b32_e32 v115, 7, v0
	v_lshrrev_b32_e32 v116, 3, v117
	s_mov_b32 s20, exec_lo
	v_cmpx_gt_u32_e32 8, v117
; %bb.1805:                             ;   in Loop: Header=BB299_1059 Depth=1
	v_ffbh_u32_e32 v115, v115
	v_min_u32_e32 v117, 32, v115
	v_subrev_nc_u32_e32 v115, 28, v117
	v_lshlrev_b64 v[115:116], v115, v[0:1]
	v_sub_nc_u32_e32 v116, 29, v117
	v_and_b32_e32 v115, 7, v115
; %bb.1806:                             ;   in Loop: Header=BB299_1059 Depth=1
	s_or_b32 exec_lo, exec_lo, s20
	v_lshlrev_b32_e32 v0, 8, v0
	v_lshl_add_u32 v116, v116, 10, 0x2000
	v_lshlrev_b32_e32 v115, 7, v115
	v_and_b32_e32 v0, 0x8000, v0
	v_and_b32_e32 v116, 0xfc00, v116
	v_or3_b32 v115, v0, v116, v115
.LBB299_1807:                           ;   in Loop: Header=BB299_1059 Depth=1
	s_or_b32 exec_lo, exec_lo, s18
.LBB299_1808:                           ;   in Loop: Header=BB299_1059 Depth=1
	s_or_b32 exec_lo, exec_lo, s15
.LBB299_1809:                           ;   in Loop: Header=BB299_1059 Depth=1
	s_or_b32 exec_lo, exec_lo, s13
	s_mov_b32 s13, exec_lo
	v_cmpx_lt_u32_e32 0xffffff, v11
	s_cbranch_execz .LBB299_1817
; %bb.1810:                             ;   in Loop: Header=BB299_1059 Depth=1
	v_lshrrev_b32_e32 v0, 24, v11
	v_bfrev_b32_e32 v114, 1
	s_mov_b32 s15, exec_lo
	v_cmpx_ne_u32_e32 0x80, v0
	s_cbranch_execz .LBB299_1816
; %bb.1811:                             ;   in Loop: Header=BB299_1059 Depth=1
	v_and_b32_e32 v117, 0x7f, v0
	v_mov_b32_e32 v114, 0x7c010000
	s_mov_b32 s18, exec_lo
	v_cmpx_ne_u32_e32 0x7f, v117
	s_cbranch_execz .LBB299_1815
; %bb.1812:                             ;   in Loop: Header=BB299_1059 Depth=1
	v_and_b32_e32 v114, 7, v0
	v_lshrrev_b32_e32 v116, 3, v117
	s_mov_b32 s20, exec_lo
	v_cmpx_gt_u32_e32 8, v117
; %bb.1813:                             ;   in Loop: Header=BB299_1059 Depth=1
	v_ffbh_u32_e32 v114, v114
	v_min_u32_e32 v114, 32, v114
	v_subrev_nc_u32_e32 v116, 28, v114
	v_lshlrev_b64 v[117:118], v116, v[0:1]
	v_sub_nc_u32_e32 v116, 29, v114
	v_and_b32_e32 v114, 7, v117
; %bb.1814:                             ;   in Loop: Header=BB299_1059 Depth=1
	s_or_b32 exec_lo, exec_lo, s20
	v_lshlrev_b32_e32 v0, 8, v0
	v_lshl_add_u32 v116, v116, 10, 0x2000
	v_lshlrev_b32_e32 v114, 23, v114
	v_and_or_b32 v0, 0x8000, v0, v116
	v_lshl_or_b32 v114, v0, 16, v114
.LBB299_1815:                           ;   in Loop: Header=BB299_1059 Depth=1
	s_or_b32 exec_lo, exec_lo, s18
.LBB299_1816:                           ;   in Loop: Header=BB299_1059 Depth=1
	s_or_b32 exec_lo, exec_lo, s15
.LBB299_1817:                           ;   in Loop: Header=BB299_1059 Depth=1
	s_or_b32 exec_lo, exec_lo, s13
	v_mov_b32_e32 v0, v12
	v_cmp_ne_u16_sdwa s5, v12, v1 src0_sel:BYTE_0 src1_sel:DWORD
	v_mov_b32_e32 v116, 0
	v_mov_b32_e32 v117, 0
	s_and_saveexec_b32 s13, s5
	s_cbranch_execz .LBB299_1825
; %bb.1818:                             ;   in Loop: Header=BB299_1059 Depth=1
	v_cmp_ne_u16_sdwa s5, v12, v16 src0_sel:BYTE_0 src1_sel:DWORD
	v_mov_b32_e32 v117, 0x8000
	s_and_saveexec_b32 s15, s5
	s_cbranch_execz .LBB299_1824
; %bb.1819:                             ;   in Loop: Header=BB299_1059 Depth=1
	v_and_b32_e32 v119, 0x7f, v12
	v_mov_b32_e32 v117, 0x7c01
	s_mov_b32 s18, exec_lo
	v_cmpx_ne_u32_e32 0x7f, v119
	s_cbranch_execz .LBB299_1823
; %bb.1820:                             ;   in Loop: Header=BB299_1059 Depth=1
	v_and_b32_e32 v117, 7, v12
	v_lshrrev_b32_e32 v118, 3, v119
	s_mov_b32 s20, exec_lo
	v_cmpx_gt_u32_e32 8, v119
; %bb.1821:                             ;   in Loop: Header=BB299_1059 Depth=1
	v_ffbh_u32_e32 v117, v117
	v_min_u32_e32 v119, 32, v117
	v_subrev_nc_u32_e32 v117, 28, v119
	v_lshlrev_b64 v[117:118], v117, v[0:1]
	v_sub_nc_u32_e32 v118, 29, v119
	v_and_b32_e32 v117, 7, v117
; %bb.1822:                             ;   in Loop: Header=BB299_1059 Depth=1
	s_or_b32 exec_lo, exec_lo, s20
	v_lshlrev_b32_e32 v119, 8, v12
	v_lshl_add_u32 v118, v118, 10, 0x2000
	v_lshlrev_b32_e32 v117, 7, v117
	v_and_b32_e32 v119, 0x8000, v119
	v_and_b32_e32 v118, 0xfc00, v118
	v_or3_b32 v117, v119, v118, v117
.LBB299_1823:                           ;   in Loop: Header=BB299_1059 Depth=1
	s_or_b32 exec_lo, exec_lo, s18
.LBB299_1824:                           ;   in Loop: Header=BB299_1059 Depth=1
	s_or_b32 exec_lo, exec_lo, s15
.LBB299_1825:                           ;   in Loop: Header=BB299_1059 Depth=1
	s_or_b32 exec_lo, exec_lo, s13
	v_lshrrev_b16 v0, 8, v0
	v_mov_b32_e32 v118, 0
	s_mov_b32 s13, exec_lo
	v_cmpx_ne_u16_e32 0, v0
	s_cbranch_execz .LBB299_1833
; %bb.1826:                             ;   in Loop: Header=BB299_1059 Depth=1
	v_bfrev_b32_e32 v118, 1
	s_mov_b32 s15, exec_lo
	v_cmpx_ne_u16_e32 0x80, v0
	s_cbranch_execz .LBB299_1832
; %bb.1827:                             ;   in Loop: Header=BB299_1059 Depth=1
	v_and_b32_sdwa v40, v0, v17 dst_sel:DWORD dst_unused:UNUSED_PAD src0_sel:WORD_0 src1_sel:DWORD
	v_mov_b32_e32 v118, 0x7c010000
	s_mov_b32 s18, exec_lo
	v_cmpx_ne_u32_e32 0x7f, v40
	s_cbranch_execz .LBB299_1831
; %bb.1828:                             ;   in Loop: Header=BB299_1059 Depth=1
	v_and_b32_sdwa v118, v0, v38 dst_sel:DWORD dst_unused:UNUSED_PAD src0_sel:WORD_0 src1_sel:DWORD
	v_lshrrev_b32_e32 v119, 3, v40
	s_mov_b32 s20, exec_lo
	v_cmpx_gt_u32_e32 8, v40
; %bb.1829:                             ;   in Loop: Header=BB299_1059 Depth=1
	v_ffbh_u32_e32 v118, v118
	v_min_u32_e32 v40, 32, v118
	v_subrev_nc_u32_e32 v118, 28, v40
	v_lshlrev_b64 v[118:119], v118, v[0:1]
	v_sub_nc_u32_e32 v119, 29, v40
	v_and_b32_e32 v118, 7, v118
; %bb.1830:                             ;   in Loop: Header=BB299_1059 Depth=1
	s_or_b32 exec_lo, exec_lo, s20
	v_lshlrev_b32_sdwa v0, v39, v0 dst_sel:DWORD dst_unused:UNUSED_PAD src0_sel:DWORD src1_sel:WORD_0
	v_lshl_add_u32 v119, v119, 10, 0x2000
	v_lshlrev_b32_e32 v118, 23, v118
	v_and_or_b32 v0, 0x8000, v0, v119
	v_lshl_or_b32 v118, v0, 16, v118
.LBB299_1831:                           ;   in Loop: Header=BB299_1059 Depth=1
	s_or_b32 exec_lo, exec_lo, s18
.LBB299_1832:                           ;   in Loop: Header=BB299_1059 Depth=1
	s_or_b32 exec_lo, exec_lo, s15
.LBB299_1833:                           ;   in Loop: Header=BB299_1059 Depth=1
	s_or_b32 exec_lo, exec_lo, s13
	v_lshrrev_b32_e32 v0, 16, v12
	v_cmp_ne_u16_sdwa s5, v0, v1 src0_sel:BYTE_0 src1_sel:DWORD
	s_and_saveexec_b32 s13, s5
	s_cbranch_execz .LBB299_1841
; %bb.1834:                             ;   in Loop: Header=BB299_1059 Depth=1
	v_cmp_ne_u16_sdwa s5, v0, v16 src0_sel:BYTE_0 src1_sel:DWORD
	v_mov_b32_e32 v116, 0x8000
	s_and_saveexec_b32 s15, s5
	s_cbranch_execz .LBB299_1840
; %bb.1835:                             ;   in Loop: Header=BB299_1059 Depth=1
	v_bfe_u32 v40, v12, 16, 7
	v_mov_b32_e32 v116, 0x7c01
	s_mov_b32 s18, exec_lo
	v_cmpx_ne_u32_e32 0x7f, v40
	s_cbranch_execz .LBB299_1839
; %bb.1836:                             ;   in Loop: Header=BB299_1059 Depth=1
	v_and_b32_e32 v116, 7, v0
	v_lshrrev_b32_e32 v119, 3, v40
	s_mov_b32 s20, exec_lo
	v_cmpx_gt_u32_e32 8, v40
; %bb.1837:                             ;   in Loop: Header=BB299_1059 Depth=1
	v_ffbh_u32_e32 v116, v116
	v_min_u32_e32 v116, 32, v116
	v_subrev_nc_u32_e32 v119, 28, v116
	v_lshlrev_b64 v[40:41], v119, v[0:1]
	v_sub_nc_u32_e32 v119, 29, v116
	v_and_b32_e32 v116, 7, v40
; %bb.1838:                             ;   in Loop: Header=BB299_1059 Depth=1
	s_or_b32 exec_lo, exec_lo, s20
	v_lshlrev_b32_e32 v0, 8, v0
	v_lshl_add_u32 v119, v119, 10, 0x2000
	v_lshlrev_b32_e32 v116, 7, v116
	v_and_b32_e32 v0, 0x8000, v0
	v_and_b32_e32 v119, 0xfc00, v119
	v_or3_b32 v116, v0, v119, v116
.LBB299_1839:                           ;   in Loop: Header=BB299_1059 Depth=1
	s_or_b32 exec_lo, exec_lo, s18
.LBB299_1840:                           ;   in Loop: Header=BB299_1059 Depth=1
	s_or_b32 exec_lo, exec_lo, s15
.LBB299_1841:                           ;   in Loop: Header=BB299_1059 Depth=1
	s_or_b32 exec_lo, exec_lo, s13
	v_cmp_lt_u64_e64 s5, s[8:9], v[11:12]
	v_mov_b32_e32 v11, 0
	s_and_saveexec_b32 s13, s5
	s_cbranch_execz .LBB299_1849
; %bb.1842:                             ;   in Loop: Header=BB299_1059 Depth=1
	v_lshrrev_b32_e32 v0, 24, v12
	v_bfrev_b32_e32 v11, 1
	s_mov_b32 s15, exec_lo
	v_cmpx_ne_u32_e32 0x80, v0
	s_cbranch_execz .LBB299_1848
; %bb.1843:                             ;   in Loop: Header=BB299_1059 Depth=1
	v_and_b32_e32 v119, 0x7f, v0
	v_mov_b32_e32 v11, 0x7c010000
	s_mov_b32 s18, exec_lo
	v_cmpx_ne_u32_e32 0x7f, v119
	s_cbranch_execz .LBB299_1847
; %bb.1844:                             ;   in Loop: Header=BB299_1059 Depth=1
	v_and_b32_e32 v11, 7, v0
	v_lshrrev_b32_e32 v12, 3, v119
	s_mov_b32 s20, exec_lo
	v_cmpx_gt_u32_e32 8, v119
; %bb.1845:                             ;   in Loop: Header=BB299_1059 Depth=1
	v_ffbh_u32_e32 v11, v11
	v_min_u32_e32 v119, 32, v11
	v_subrev_nc_u32_e32 v11, 28, v119
	v_lshlrev_b64 v[11:12], v11, v[0:1]
	v_sub_nc_u32_e32 v12, 29, v119
	v_and_b32_e32 v11, 7, v11
; %bb.1846:                             ;   in Loop: Header=BB299_1059 Depth=1
	s_or_b32 exec_lo, exec_lo, s20
	v_lshlrev_b32_e32 v0, 8, v0
	v_lshl_add_u32 v12, v12, 10, 0x2000
	v_lshlrev_b32_e32 v11, 23, v11
	v_and_or_b32 v0, 0x8000, v0, v12
	v_lshl_or_b32 v11, v0, 16, v11
.LBB299_1847:                           ;   in Loop: Header=BB299_1059 Depth=1
	s_or_b32 exec_lo, exec_lo, s18
.LBB299_1848:                           ;   in Loop: Header=BB299_1059 Depth=1
	s_or_b32 exec_lo, exec_lo, s15
.LBB299_1849:                           ;   in Loop: Header=BB299_1059 Depth=1
	s_or_b32 exec_lo, exec_lo, s13
	v_or_b32_e32 v0, v114, v115
	s_waitcnt vmcnt(0) lgkmcnt(0)
	v_fma_mixlo_f16 v12, v34, v114, 0 op_sel:[0,1,0] op_sel_hi:[0,1,0]
	v_or_b32_e32 v114, v36, v37
	v_fma_mixlo_f16 v36, v34, v36, 0 op_sel:[0,1,0] op_sel_hi:[0,1,0]
	v_or_b32_e32 v115, v118, v117
	v_or_b32_e32 v116, v11, v116
	v_fma_mixlo_f16 v117, v34, v0, 0 op_sel_hi:[0,1,0]
	v_fma_mixlo_f16 v11, v34, v11, 0 op_sel:[0,1,0] op_sel_hi:[0,1,0]
	v_lshlrev_b32_e32 v37, 16, v36
	v_fma_mixlo_f16 v36, v34, v114, 0 op_sel_hi:[0,1,0]
	v_fma_mixlo_f16 v114, v34, v118, 0 op_sel:[0,1,0] op_sel_hi:[0,1,0]
	v_fma_mixlo_f16 v115, v34, v115, 0 op_sel_hi:[0,1,0]
	v_fma_mixlo_f16 v116, v34, v116, 0 op_sel_hi:[0,1,0]
	v_lshlrev_b32_e32 v0, 16, v12
	v_and_b32_e32 v12, 0xffff, v117
	v_and_b32_e32 v119, 0xffff, v36
	v_lshlrev_b32_e32 v34, 16, v114
	v_and_b32_e32 v115, 0xffff, v115
	v_lshlrev_b32_e32 v11, 16, v11
	v_and_b32_e32 v36, 0xffff, v116
	v_or_b32_e32 v114, v0, v12
	v_or_b32_e32 v118, v37, v119
	;; [unrolled: 1-line block ×4, first 2 shown]
	s_and_saveexec_b32 s13, vcc_lo
	s_cbranch_execz .LBB299_1851
; %bb.1850:                             ;   in Loop: Header=BB299_1059 Depth=1
	v_cmp_lt_i32_e64 s5, v48, v35
	v_cndmask_b32_e64 v114, 0, v119, s5
	v_cmp_lt_i32_e64 s5, v83, v35
	v_cndmask_b32_e64 v37, 0, v37, s5
	v_cmp_lt_i32_e64 s5, v82, v35
	v_or_b32_e32 v118, v114, v37
	v_cndmask_b32_e64 v12, 0, v12, s5
	v_cmp_lt_i32_e64 s5, v81, v35
	v_cndmask_b32_e64 v0, 0, v0, s5
	v_cmp_lt_i32_e64 s5, v80, v35
	v_or_b32_e32 v114, v12, v0
	;; [unrolled: 5-line block ×3, first 2 shown]
	v_cndmask_b32_e64 v36, 0, v36, s5
	v_cmp_lt_i32_e64 s5, v14, v35
	v_cndmask_b32_e64 v11, 0, v11, s5
	v_or_b32_e32 v116, v36, v11
.LBB299_1851:                           ;   in Loop: Header=BB299_1059 Depth=1
	s_or_b32 exec_lo, exec_lo, s13
	;;#ASMSTART
	v_pk_mul_f16 v0, v68, v118;

	;;#ASMEND
	;;#ASMSTART
	v_pk_mul_f16 v11, v66, v114;

	;;#ASMEND
	;; [unrolled: 4-line block ×4, first 2 shown]
	;;#ASMSTART
	v_pk_add_f16 v0, v0, v11;

	;;#ASMEND
	;;#ASMSTART
	v_pk_add_f16 v0, v0, v12;

	;;#ASMEND
	;; [unrolled: 4-line block ×3, first 2 shown]
	v_and_b32_e32 v11, 0xffff, v0
	v_lshrrev_b32_e32 v0, 16, v0
	;;#ASMSTART
	v_cvt_f32_f16 v34, v11;
	;;#ASMEND
	;;#ASMSTART
	v_cvt_f32_f16 v36, v0;
	;;#ASMEND
	flat_load_dwordx2 v[11:12], v[9:10] offset:1024
	flat_load_dword v37, v[26:27]
	v_mov_b32_e32 v114, 0
	v_mov_b32_e32 v115, 0
	s_waitcnt vmcnt(1) lgkmcnt(1)
	v_cmp_ne_u16_sdwa s5, v11, v1 src0_sel:BYTE_0 src1_sel:DWORD
	s_and_saveexec_b32 s13, s5
	s_cbranch_execz .LBB299_1859
; %bb.1852:                             ;   in Loop: Header=BB299_1059 Depth=1
	v_cmp_ne_u16_sdwa s5, v11, v16 src0_sel:BYTE_0 src1_sel:DWORD
	v_mov_b32_e32 v115, 0x8000
	s_and_saveexec_b32 s15, s5
	s_cbranch_execz .LBB299_1858
; %bb.1853:                             ;   in Loop: Header=BB299_1059 Depth=1
	v_and_b32_e32 v116, 0x7f, v11
	v_mov_b32_e32 v115, 0x7c01
	s_mov_b32 s18, exec_lo
	v_cmpx_ne_u32_e32 0x7f, v116
	s_cbranch_execz .LBB299_1857
; %bb.1854:                             ;   in Loop: Header=BB299_1059 Depth=1
	v_and_b32_e32 v0, 7, v11
	v_lshrrev_b32_e32 v115, 3, v116
	s_mov_b32 s20, exec_lo
	v_cmpx_gt_u32_e32 8, v116
; %bb.1855:                             ;   in Loop: Header=BB299_1059 Depth=1
	v_ffbh_u32_e32 v0, v0
	v_min_u32_e32 v0, 32, v0
	v_subrev_nc_u32_e32 v115, 28, v0
	v_lshlrev_b64 v[116:117], v115, v[11:12]
	v_sub_nc_u32_e32 v115, 29, v0
	v_and_b32_e32 v0, 7, v116
; %bb.1856:                             ;   in Loop: Header=BB299_1059 Depth=1
	s_or_b32 exec_lo, exec_lo, s20
	v_lshlrev_b32_e32 v116, 8, v11
	v_lshl_add_u32 v115, v115, 10, 0x2000
	v_lshlrev_b32_e32 v0, 7, v0
	v_and_b32_e32 v116, 0x8000, v116
	v_and_b32_e32 v115, 0xfc00, v115
	v_or3_b32 v115, v116, v115, v0
.LBB299_1857:                           ;   in Loop: Header=BB299_1059 Depth=1
	s_or_b32 exec_lo, exec_lo, s18
.LBB299_1858:                           ;   in Loop: Header=BB299_1059 Depth=1
	s_or_b32 exec_lo, exec_lo, s15
.LBB299_1859:                           ;   in Loop: Header=BB299_1059 Depth=1
	s_or_b32 exec_lo, exec_lo, s13
	v_lshrrev_b16 v0, 8, v11
	s_mov_b32 s13, exec_lo
	v_cmpx_ne_u16_e32 0, v0
	s_cbranch_execz .LBB299_1867
; %bb.1860:                             ;   in Loop: Header=BB299_1059 Depth=1
	v_bfrev_b32_e32 v114, 1
	s_mov_b32 s15, exec_lo
	v_cmpx_ne_u16_e32 0x80, v0
	s_cbranch_execz .LBB299_1866
; %bb.1861:                             ;   in Loop: Header=BB299_1059 Depth=1
	v_and_b32_sdwa v117, v0, v17 dst_sel:DWORD dst_unused:UNUSED_PAD src0_sel:WORD_0 src1_sel:DWORD
	v_mov_b32_e32 v114, 0x7c010000
	s_mov_b32 s18, exec_lo
	v_cmpx_ne_u32_e32 0x7f, v117
	s_cbranch_execz .LBB299_1865
; %bb.1862:                             ;   in Loop: Header=BB299_1059 Depth=1
	v_and_b32_sdwa v114, v0, v38 dst_sel:DWORD dst_unused:UNUSED_PAD src0_sel:WORD_0 src1_sel:DWORD
	v_lshrrev_b32_e32 v116, 3, v117
	s_mov_b32 s20, exec_lo
	v_cmpx_gt_u32_e32 8, v117
; %bb.1863:                             ;   in Loop: Header=BB299_1059 Depth=1
	v_ffbh_u32_e32 v114, v114
	v_min_u32_e32 v114, 32, v114
	v_subrev_nc_u32_e32 v116, 28, v114
	v_lshlrev_b64 v[117:118], v116, v[0:1]
	v_sub_nc_u32_e32 v116, 29, v114
	v_and_b32_e32 v114, 7, v117
; %bb.1864:                             ;   in Loop: Header=BB299_1059 Depth=1
	s_or_b32 exec_lo, exec_lo, s20
	v_lshlrev_b32_sdwa v0, v39, v0 dst_sel:DWORD dst_unused:UNUSED_PAD src0_sel:DWORD src1_sel:WORD_0
	v_lshl_add_u32 v116, v116, 10, 0x2000
	v_lshlrev_b32_e32 v114, 23, v114
	v_and_or_b32 v0, 0x8000, v0, v116
	v_lshl_or_b32 v114, v0, 16, v114
.LBB299_1865:                           ;   in Loop: Header=BB299_1059 Depth=1
	s_or_b32 exec_lo, exec_lo, s18
.LBB299_1866:                           ;   in Loop: Header=BB299_1059 Depth=1
	s_or_b32 exec_lo, exec_lo, s15
.LBB299_1867:                           ;   in Loop: Header=BB299_1059 Depth=1
	s_or_b32 exec_lo, exec_lo, s13
	v_lshrrev_b32_e32 v0, 16, v11
	v_mov_b32_e32 v116, 0
	v_mov_b32_e32 v117, 0
	v_cmp_ne_u16_sdwa s5, v0, v1 src0_sel:BYTE_0 src1_sel:DWORD
	s_and_saveexec_b32 s13, s5
	s_cbranch_execz .LBB299_1875
; %bb.1868:                             ;   in Loop: Header=BB299_1059 Depth=1
	v_cmp_ne_u16_sdwa s5, v0, v16 src0_sel:BYTE_0 src1_sel:DWORD
	v_mov_b32_e32 v117, 0x8000
	s_and_saveexec_b32 s15, s5
	s_cbranch_execz .LBB299_1874
; %bb.1869:                             ;   in Loop: Header=BB299_1059 Depth=1
	v_bfe_u32 v119, v11, 16, 7
	v_mov_b32_e32 v117, 0x7c01
	s_mov_b32 s18, exec_lo
	v_cmpx_ne_u32_e32 0x7f, v119
	s_cbranch_execz .LBB299_1873
; %bb.1870:                             ;   in Loop: Header=BB299_1059 Depth=1
	v_and_b32_e32 v117, 7, v0
	v_lshrrev_b32_e32 v118, 3, v119
	s_mov_b32 s20, exec_lo
	v_cmpx_gt_u32_e32 8, v119
; %bb.1871:                             ;   in Loop: Header=BB299_1059 Depth=1
	v_ffbh_u32_e32 v117, v117
	v_min_u32_e32 v119, 32, v117
	v_subrev_nc_u32_e32 v117, 28, v119
	v_lshlrev_b64 v[117:118], v117, v[0:1]
	v_sub_nc_u32_e32 v118, 29, v119
	v_and_b32_e32 v117, 7, v117
; %bb.1872:                             ;   in Loop: Header=BB299_1059 Depth=1
	s_or_b32 exec_lo, exec_lo, s20
	v_lshlrev_b32_e32 v0, 8, v0
	v_lshl_add_u32 v118, v118, 10, 0x2000
	v_lshlrev_b32_e32 v117, 7, v117
	v_and_b32_e32 v0, 0x8000, v0
	v_and_b32_e32 v118, 0xfc00, v118
	v_or3_b32 v117, v0, v118, v117
.LBB299_1873:                           ;   in Loop: Header=BB299_1059 Depth=1
	s_or_b32 exec_lo, exec_lo, s18
.LBB299_1874:                           ;   in Loop: Header=BB299_1059 Depth=1
	s_or_b32 exec_lo, exec_lo, s15
.LBB299_1875:                           ;   in Loop: Header=BB299_1059 Depth=1
	s_or_b32 exec_lo, exec_lo, s13
	s_mov_b32 s13, exec_lo
	v_cmpx_lt_u32_e32 0xffffff, v11
	s_cbranch_execz .LBB299_1883
; %bb.1876:                             ;   in Loop: Header=BB299_1059 Depth=1
	v_lshrrev_b32_e32 v0, 24, v11
	v_bfrev_b32_e32 v116, 1
	s_mov_b32 s15, exec_lo
	v_cmpx_ne_u32_e32 0x80, v0
	s_cbranch_execz .LBB299_1882
; %bb.1877:                             ;   in Loop: Header=BB299_1059 Depth=1
	v_and_b32_e32 v119, 0x7f, v0
	v_mov_b32_e32 v116, 0x7c010000
	s_mov_b32 s18, exec_lo
	v_cmpx_ne_u32_e32 0x7f, v119
	s_cbranch_execz .LBB299_1881
; %bb.1878:                             ;   in Loop: Header=BB299_1059 Depth=1
	v_and_b32_e32 v116, 7, v0
	v_lshrrev_b32_e32 v118, 3, v119
	s_mov_b32 s20, exec_lo
	v_cmpx_gt_u32_e32 8, v119
; %bb.1879:                             ;   in Loop: Header=BB299_1059 Depth=1
	v_ffbh_u32_e32 v116, v116
	v_min_u32_e32 v116, 32, v116
	v_subrev_nc_u32_e32 v118, 28, v116
	v_lshlrev_b64 v[40:41], v118, v[0:1]
	v_sub_nc_u32_e32 v118, 29, v116
	v_and_b32_e32 v116, 7, v40
; %bb.1880:                             ;   in Loop: Header=BB299_1059 Depth=1
	s_or_b32 exec_lo, exec_lo, s20
	v_lshlrev_b32_e32 v0, 8, v0
	v_lshl_add_u32 v118, v118, 10, 0x2000
	v_lshlrev_b32_e32 v116, 23, v116
	v_and_or_b32 v0, 0x8000, v0, v118
	v_lshl_or_b32 v116, v0, 16, v116
.LBB299_1881:                           ;   in Loop: Header=BB299_1059 Depth=1
	s_or_b32 exec_lo, exec_lo, s18
.LBB299_1882:                           ;   in Loop: Header=BB299_1059 Depth=1
	s_or_b32 exec_lo, exec_lo, s15
.LBB299_1883:                           ;   in Loop: Header=BB299_1059 Depth=1
	s_or_b32 exec_lo, exec_lo, s13
	v_mov_b32_e32 v0, v12
	v_cmp_ne_u16_sdwa s5, v12, v1 src0_sel:BYTE_0 src1_sel:DWORD
	v_mov_b32_e32 v118, 0
	v_mov_b32_e32 v119, 0
	s_and_saveexec_b32 s13, s5
	s_cbranch_execz .LBB299_1891
; %bb.1884:                             ;   in Loop: Header=BB299_1059 Depth=1
	v_cmp_ne_u16_sdwa s5, v12, v16 src0_sel:BYTE_0 src1_sel:DWORD
	v_mov_b32_e32 v119, 0x8000
	s_and_saveexec_b32 s15, s5
	s_cbranch_execz .LBB299_1890
; %bb.1885:                             ;   in Loop: Header=BB299_1059 Depth=1
	v_and_b32_e32 v41, 0x7f, v12
	v_mov_b32_e32 v119, 0x7c01
	s_mov_b32 s18, exec_lo
	v_cmpx_ne_u32_e32 0x7f, v41
	s_cbranch_execz .LBB299_1889
; %bb.1886:                             ;   in Loop: Header=BB299_1059 Depth=1
	v_and_b32_e32 v119, 7, v12
	v_lshrrev_b32_e32 v40, 3, v41
	s_mov_b32 s20, exec_lo
	v_cmpx_gt_u32_e32 8, v41
; %bb.1887:                             ;   in Loop: Header=BB299_1059 Depth=1
	v_ffbh_u32_e32 v119, v119
	v_min_u32_e32 v119, 32, v119
	v_subrev_nc_u32_e32 v40, 28, v119
	v_lshlrev_b64 v[41:42], v40, v[0:1]
	v_sub_nc_u32_e32 v40, 29, v119
	v_and_b32_e32 v119, 7, v41
; %bb.1888:                             ;   in Loop: Header=BB299_1059 Depth=1
	s_or_b32 exec_lo, exec_lo, s20
	v_lshlrev_b32_e32 v41, 8, v12
	v_lshl_add_u32 v40, v40, 10, 0x2000
	v_lshlrev_b32_e32 v119, 7, v119
	v_and_b32_e32 v41, 0x8000, v41
	v_and_b32_e32 v40, 0xfc00, v40
	v_or3_b32 v119, v41, v40, v119
.LBB299_1889:                           ;   in Loop: Header=BB299_1059 Depth=1
	s_or_b32 exec_lo, exec_lo, s18
.LBB299_1890:                           ;   in Loop: Header=BB299_1059 Depth=1
	s_or_b32 exec_lo, exec_lo, s15
.LBB299_1891:                           ;   in Loop: Header=BB299_1059 Depth=1
	s_or_b32 exec_lo, exec_lo, s13
	v_lshrrev_b16 v0, 8, v0
	v_mov_b32_e32 v40, 0
	s_mov_b32 s13, exec_lo
	v_cmpx_ne_u16_e32 0, v0
	s_cbranch_execz .LBB299_1899
; %bb.1892:                             ;   in Loop: Header=BB299_1059 Depth=1
	v_bfrev_b32_e32 v40, 1
	s_mov_b32 s15, exec_lo
	v_cmpx_ne_u16_e32 0x80, v0
	s_cbranch_execz .LBB299_1898
; %bb.1893:                             ;   in Loop: Header=BB299_1059 Depth=1
	v_and_b32_sdwa v42, v0, v17 dst_sel:DWORD dst_unused:UNUSED_PAD src0_sel:WORD_0 src1_sel:DWORD
	v_mov_b32_e32 v40, 0x7c010000
	s_mov_b32 s18, exec_lo
	v_cmpx_ne_u32_e32 0x7f, v42
	s_cbranch_execz .LBB299_1897
; %bb.1894:                             ;   in Loop: Header=BB299_1059 Depth=1
	v_and_b32_sdwa v40, v0, v38 dst_sel:DWORD dst_unused:UNUSED_PAD src0_sel:WORD_0 src1_sel:DWORD
	v_lshrrev_b32_e32 v41, 3, v42
	s_mov_b32 s20, exec_lo
	v_cmpx_gt_u32_e32 8, v42
; %bb.1895:                             ;   in Loop: Header=BB299_1059 Depth=1
	v_ffbh_u32_e32 v40, v40
	v_min_u32_e32 v42, 32, v40
	v_subrev_nc_u32_e32 v40, 28, v42
	v_lshlrev_b64 v[40:41], v40, v[0:1]
	v_sub_nc_u32_e32 v41, 29, v42
	v_and_b32_e32 v40, 7, v40
; %bb.1896:                             ;   in Loop: Header=BB299_1059 Depth=1
	s_or_b32 exec_lo, exec_lo, s20
	v_lshlrev_b32_sdwa v0, v39, v0 dst_sel:DWORD dst_unused:UNUSED_PAD src0_sel:DWORD src1_sel:WORD_0
	v_lshl_add_u32 v41, v41, 10, 0x2000
	v_lshlrev_b32_e32 v40, 23, v40
	v_and_or_b32 v0, 0x8000, v0, v41
	v_lshl_or_b32 v40, v0, 16, v40
.LBB299_1897:                           ;   in Loop: Header=BB299_1059 Depth=1
	s_or_b32 exec_lo, exec_lo, s18
.LBB299_1898:                           ;   in Loop: Header=BB299_1059 Depth=1
	s_or_b32 exec_lo, exec_lo, s15
.LBB299_1899:                           ;   in Loop: Header=BB299_1059 Depth=1
	s_or_b32 exec_lo, exec_lo, s13
	v_lshrrev_b32_e32 v0, 16, v12
	v_cmp_ne_u16_sdwa s5, v0, v1 src0_sel:BYTE_0 src1_sel:DWORD
	s_and_saveexec_b32 s13, s5
	s_cbranch_execz .LBB299_1907
; %bb.1900:                             ;   in Loop: Header=BB299_1059 Depth=1
	v_cmp_ne_u16_sdwa s5, v0, v16 src0_sel:BYTE_0 src1_sel:DWORD
	v_mov_b32_e32 v118, 0x8000
	s_and_saveexec_b32 s15, s5
	s_cbranch_execz .LBB299_1906
; %bb.1901:                             ;   in Loop: Header=BB299_1059 Depth=1
	v_bfe_u32 v42, v12, 16, 7
	v_mov_b32_e32 v118, 0x7c01
	s_mov_b32 s18, exec_lo
	v_cmpx_ne_u32_e32 0x7f, v42
	s_cbranch_execz .LBB299_1905
; %bb.1902:                             ;   in Loop: Header=BB299_1059 Depth=1
	v_and_b32_e32 v118, 7, v0
	v_lshrrev_b32_e32 v41, 3, v42
	s_mov_b32 s20, exec_lo
	v_cmpx_gt_u32_e32 8, v42
; %bb.1903:                             ;   in Loop: Header=BB299_1059 Depth=1
	v_ffbh_u32_e32 v118, v118
	v_min_u32_e32 v118, 32, v118
	v_subrev_nc_u32_e32 v41, 28, v118
	v_lshlrev_b64 v[42:43], v41, v[0:1]
	v_sub_nc_u32_e32 v41, 29, v118
	v_and_b32_e32 v118, 7, v42
; %bb.1904:                             ;   in Loop: Header=BB299_1059 Depth=1
	s_or_b32 exec_lo, exec_lo, s20
	v_lshlrev_b32_e32 v0, 8, v0
	v_lshl_add_u32 v41, v41, 10, 0x2000
	v_lshlrev_b32_e32 v118, 7, v118
	v_and_b32_e32 v0, 0x8000, v0
	v_and_b32_e32 v41, 0xfc00, v41
	v_or3_b32 v118, v0, v41, v118
.LBB299_1905:                           ;   in Loop: Header=BB299_1059 Depth=1
	s_or_b32 exec_lo, exec_lo, s18
.LBB299_1906:                           ;   in Loop: Header=BB299_1059 Depth=1
	s_or_b32 exec_lo, exec_lo, s15
.LBB299_1907:                           ;   in Loop: Header=BB299_1059 Depth=1
	s_or_b32 exec_lo, exec_lo, s13
	v_cmp_lt_u64_e64 s5, s[8:9], v[11:12]
	v_mov_b32_e32 v11, 0
	s_and_saveexec_b32 s13, s5
	s_cbranch_execz .LBB299_1915
; %bb.1908:                             ;   in Loop: Header=BB299_1059 Depth=1
	v_lshrrev_b32_e32 v0, 24, v12
	v_bfrev_b32_e32 v11, 1
	s_mov_b32 s15, exec_lo
	v_cmpx_ne_u32_e32 0x80, v0
	s_cbranch_execz .LBB299_1914
; %bb.1909:                             ;   in Loop: Header=BB299_1059 Depth=1
	v_and_b32_e32 v41, 0x7f, v0
	v_mov_b32_e32 v11, 0x7c010000
	s_mov_b32 s18, exec_lo
	v_cmpx_ne_u32_e32 0x7f, v41
	s_cbranch_execz .LBB299_1913
; %bb.1910:                             ;   in Loop: Header=BB299_1059 Depth=1
	v_and_b32_e32 v11, 7, v0
	v_lshrrev_b32_e32 v12, 3, v41
	s_mov_b32 s20, exec_lo
	v_cmpx_gt_u32_e32 8, v41
; %bb.1911:                             ;   in Loop: Header=BB299_1059 Depth=1
	v_ffbh_u32_e32 v11, v11
	v_min_u32_e32 v41, 32, v11
	v_subrev_nc_u32_e32 v11, 28, v41
	v_lshlrev_b64 v[11:12], v11, v[0:1]
	v_sub_nc_u32_e32 v12, 29, v41
	v_and_b32_e32 v11, 7, v11
; %bb.1912:                             ;   in Loop: Header=BB299_1059 Depth=1
	s_or_b32 exec_lo, exec_lo, s20
	v_lshlrev_b32_e32 v0, 8, v0
	v_lshl_add_u32 v12, v12, 10, 0x2000
	v_lshlrev_b32_e32 v11, 23, v11
	v_and_or_b32 v0, 0x8000, v0, v12
	v_lshl_or_b32 v11, v0, 16, v11
.LBB299_1913:                           ;   in Loop: Header=BB299_1059 Depth=1
	s_or_b32 exec_lo, exec_lo, s18
.LBB299_1914:                           ;   in Loop: Header=BB299_1059 Depth=1
	s_or_b32 exec_lo, exec_lo, s15
.LBB299_1915:                           ;   in Loop: Header=BB299_1059 Depth=1
	s_or_b32 exec_lo, exec_lo, s13
	v_or_b32_e32 v0, v116, v117
	s_waitcnt vmcnt(0) lgkmcnt(0)
	v_fma_mixlo_f16 v12, v37, v116, 0 op_sel:[0,1,0] op_sel_hi:[0,1,0]
	v_or_b32_e32 v116, v114, v115
	v_fma_mixlo_f16 v114, v37, v114, 0 op_sel:[0,1,0] op_sel_hi:[0,1,0]
	v_or_b32_e32 v117, v40, v119
	v_or_b32_e32 v118, v11, v118
	v_fma_mixlo_f16 v119, v37, v0, 0 op_sel_hi:[0,1,0]
	v_fma_mixlo_f16 v11, v37, v11, 0 op_sel:[0,1,0] op_sel_hi:[0,1,0]
	v_lshlrev_b32_e32 v115, 16, v114
	v_fma_mixlo_f16 v114, v37, v116, 0 op_sel_hi:[0,1,0]
	v_fma_mixlo_f16 v116, v37, v40, 0 op_sel:[0,1,0] op_sel_hi:[0,1,0]
	v_fma_mixlo_f16 v117, v37, v117, 0 op_sel_hi:[0,1,0]
	v_fma_mixlo_f16 v118, v37, v118, 0 op_sel_hi:[0,1,0]
	v_lshlrev_b32_e32 v0, 16, v12
	v_and_b32_e32 v12, 0xffff, v119
	v_and_b32_e32 v41, 0xffff, v114
	v_lshlrev_b32_e32 v37, 16, v116
	v_and_b32_e32 v117, 0xffff, v117
	v_lshlrev_b32_e32 v11, 16, v11
	v_and_b32_e32 v114, 0xffff, v118
	v_or_b32_e32 v116, v0, v12
	v_or_b32_e32 v40, v115, v41
	;; [unrolled: 1-line block ×4, first 2 shown]
	s_and_saveexec_b32 s13, vcc_lo
	s_cbranch_execz .LBB299_1917
; %bb.1916:                             ;   in Loop: Header=BB299_1059 Depth=1
	v_cmp_lt_i32_e64 s5, v48, v35
	v_cndmask_b32_e64 v116, 0, v41, s5
	v_cmp_lt_i32_e64 s5, v83, v35
	v_cndmask_b32_e64 v115, 0, v115, s5
	v_cmp_lt_i32_e64 s5, v82, v35
	v_or_b32_e32 v40, v116, v115
	v_cndmask_b32_e64 v12, 0, v12, s5
	v_cmp_lt_i32_e64 s5, v81, v35
	v_cndmask_b32_e64 v0, 0, v0, s5
	v_cmp_lt_i32_e64 s5, v80, v35
	v_or_b32_e32 v116, v12, v0
	;; [unrolled: 5-line block ×3, first 2 shown]
	v_cndmask_b32_e64 v114, 0, v114, s5
	v_cmp_lt_i32_e64 s5, v14, v35
	v_cndmask_b32_e64 v11, 0, v11, s5
	v_or_b32_e32 v118, v114, v11
.LBB299_1917:                           ;   in Loop: Header=BB299_1059 Depth=1
	s_or_b32 exec_lo, exec_lo, s13
	;;#ASMSTART
	v_pk_mul_f16 v0, v68, v40;

	;;#ASMEND
	;;#ASMSTART
	v_pk_mul_f16 v11, v66, v116;

	;;#ASMEND
	;; [unrolled: 4-line block ×4, first 2 shown]
	;;#ASMSTART
	v_pk_add_f16 v0, v0, v11;

	;;#ASMEND
	;;#ASMSTART
	v_pk_add_f16 v0, v0, v12;

	;;#ASMEND
	;; [unrolled: 4-line block ×3, first 2 shown]
	v_and_b32_e32 v11, 0xffff, v0
	v_lshrrev_b32_e32 v0, 16, v0
	;;#ASMSTART
	v_cvt_f32_f16 v37, v11;
	;;#ASMEND
	;;#ASMSTART
	v_cvt_f32_f16 v114, v0;
	;;#ASMEND
	flat_load_dwordx2 v[11:12], v[9:10] offset:1280
	flat_load_dword v115, v[26:27]
	v_mov_b32_e32 v116, 0
	v_mov_b32_e32 v117, 0
	s_waitcnt vmcnt(1) lgkmcnt(1)
	v_cmp_ne_u16_sdwa s5, v11, v1 src0_sel:BYTE_0 src1_sel:DWORD
	s_and_saveexec_b32 s13, s5
	s_cbranch_execz .LBB299_1925
; %bb.1918:                             ;   in Loop: Header=BB299_1059 Depth=1
	v_cmp_ne_u16_sdwa s5, v11, v16 src0_sel:BYTE_0 src1_sel:DWORD
	v_mov_b32_e32 v117, 0x8000
	s_and_saveexec_b32 s15, s5
	s_cbranch_execz .LBB299_1924
; %bb.1919:                             ;   in Loop: Header=BB299_1059 Depth=1
	v_and_b32_e32 v118, 0x7f, v11
	v_mov_b32_e32 v117, 0x7c01
	s_mov_b32 s18, exec_lo
	v_cmpx_ne_u32_e32 0x7f, v118
	s_cbranch_execz .LBB299_1923
; %bb.1920:                             ;   in Loop: Header=BB299_1059 Depth=1
	v_and_b32_e32 v0, 7, v11
	v_lshrrev_b32_e32 v117, 3, v118
	s_mov_b32 s20, exec_lo
	v_cmpx_gt_u32_e32 8, v118
; %bb.1921:                             ;   in Loop: Header=BB299_1059 Depth=1
	v_ffbh_u32_e32 v0, v0
	v_min_u32_e32 v0, 32, v0
	v_subrev_nc_u32_e32 v117, 28, v0
	v_lshlrev_b64 v[118:119], v117, v[11:12]
	v_sub_nc_u32_e32 v117, 29, v0
	v_and_b32_e32 v0, 7, v118
; %bb.1922:                             ;   in Loop: Header=BB299_1059 Depth=1
	s_or_b32 exec_lo, exec_lo, s20
	v_lshlrev_b32_e32 v118, 8, v11
	v_lshl_add_u32 v117, v117, 10, 0x2000
	v_lshlrev_b32_e32 v0, 7, v0
	v_and_b32_e32 v118, 0x8000, v118
	v_and_b32_e32 v117, 0xfc00, v117
	v_or3_b32 v117, v118, v117, v0
.LBB299_1923:                           ;   in Loop: Header=BB299_1059 Depth=1
	s_or_b32 exec_lo, exec_lo, s18
.LBB299_1924:                           ;   in Loop: Header=BB299_1059 Depth=1
	s_or_b32 exec_lo, exec_lo, s15
.LBB299_1925:                           ;   in Loop: Header=BB299_1059 Depth=1
	s_or_b32 exec_lo, exec_lo, s13
	v_lshrrev_b16 v0, 8, v11
	s_mov_b32 s13, exec_lo
	v_cmpx_ne_u16_e32 0, v0
	s_cbranch_execz .LBB299_1933
; %bb.1926:                             ;   in Loop: Header=BB299_1059 Depth=1
	v_bfrev_b32_e32 v116, 1
	s_mov_b32 s15, exec_lo
	v_cmpx_ne_u16_e32 0x80, v0
	s_cbranch_execz .LBB299_1932
; %bb.1927:                             ;   in Loop: Header=BB299_1059 Depth=1
	v_and_b32_sdwa v119, v0, v17 dst_sel:DWORD dst_unused:UNUSED_PAD src0_sel:WORD_0 src1_sel:DWORD
	v_mov_b32_e32 v116, 0x7c010000
	s_mov_b32 s18, exec_lo
	v_cmpx_ne_u32_e32 0x7f, v119
	s_cbranch_execz .LBB299_1931
; %bb.1928:                             ;   in Loop: Header=BB299_1059 Depth=1
	v_and_b32_sdwa v116, v0, v38 dst_sel:DWORD dst_unused:UNUSED_PAD src0_sel:WORD_0 src1_sel:DWORD
	v_lshrrev_b32_e32 v118, 3, v119
	s_mov_b32 s20, exec_lo
	v_cmpx_gt_u32_e32 8, v119
; %bb.1929:                             ;   in Loop: Header=BB299_1059 Depth=1
	v_ffbh_u32_e32 v116, v116
	v_min_u32_e32 v116, 32, v116
	v_subrev_nc_u32_e32 v118, 28, v116
	v_lshlrev_b64 v[40:41], v118, v[0:1]
	v_sub_nc_u32_e32 v118, 29, v116
	v_and_b32_e32 v116, 7, v40
; %bb.1930:                             ;   in Loop: Header=BB299_1059 Depth=1
	s_or_b32 exec_lo, exec_lo, s20
	v_lshlrev_b32_sdwa v0, v39, v0 dst_sel:DWORD dst_unused:UNUSED_PAD src0_sel:DWORD src1_sel:WORD_0
	v_lshl_add_u32 v118, v118, 10, 0x2000
	v_lshlrev_b32_e32 v116, 23, v116
	v_and_or_b32 v0, 0x8000, v0, v118
	v_lshl_or_b32 v116, v0, 16, v116
.LBB299_1931:                           ;   in Loop: Header=BB299_1059 Depth=1
	s_or_b32 exec_lo, exec_lo, s18
.LBB299_1932:                           ;   in Loop: Header=BB299_1059 Depth=1
	s_or_b32 exec_lo, exec_lo, s15
.LBB299_1933:                           ;   in Loop: Header=BB299_1059 Depth=1
	s_or_b32 exec_lo, exec_lo, s13
	v_lshrrev_b32_e32 v0, 16, v11
	v_mov_b32_e32 v118, 0
	v_mov_b32_e32 v119, 0
	v_cmp_ne_u16_sdwa s5, v0, v1 src0_sel:BYTE_0 src1_sel:DWORD
	s_and_saveexec_b32 s13, s5
	s_cbranch_execz .LBB299_1941
; %bb.1934:                             ;   in Loop: Header=BB299_1059 Depth=1
	v_cmp_ne_u16_sdwa s5, v0, v16 src0_sel:BYTE_0 src1_sel:DWORD
	v_mov_b32_e32 v119, 0x8000
	s_and_saveexec_b32 s15, s5
	s_cbranch_execz .LBB299_1940
; %bb.1935:                             ;   in Loop: Header=BB299_1059 Depth=1
	v_bfe_u32 v41, v11, 16, 7
	v_mov_b32_e32 v119, 0x7c01
	s_mov_b32 s18, exec_lo
	v_cmpx_ne_u32_e32 0x7f, v41
	s_cbranch_execz .LBB299_1939
; %bb.1936:                             ;   in Loop: Header=BB299_1059 Depth=1
	v_and_b32_e32 v119, 7, v0
	v_lshrrev_b32_e32 v40, 3, v41
	s_mov_b32 s20, exec_lo
	v_cmpx_gt_u32_e32 8, v41
; %bb.1937:                             ;   in Loop: Header=BB299_1059 Depth=1
	v_ffbh_u32_e32 v119, v119
	v_min_u32_e32 v119, 32, v119
	v_subrev_nc_u32_e32 v40, 28, v119
	v_lshlrev_b64 v[41:42], v40, v[0:1]
	v_sub_nc_u32_e32 v40, 29, v119
	v_and_b32_e32 v119, 7, v41
; %bb.1938:                             ;   in Loop: Header=BB299_1059 Depth=1
	s_or_b32 exec_lo, exec_lo, s20
	v_lshlrev_b32_e32 v0, 8, v0
	v_lshl_add_u32 v40, v40, 10, 0x2000
	v_lshlrev_b32_e32 v119, 7, v119
	v_and_b32_e32 v0, 0x8000, v0
	v_and_b32_e32 v40, 0xfc00, v40
	v_or3_b32 v119, v0, v40, v119
.LBB299_1939:                           ;   in Loop: Header=BB299_1059 Depth=1
	s_or_b32 exec_lo, exec_lo, s18
.LBB299_1940:                           ;   in Loop: Header=BB299_1059 Depth=1
	s_or_b32 exec_lo, exec_lo, s15
.LBB299_1941:                           ;   in Loop: Header=BB299_1059 Depth=1
	s_or_b32 exec_lo, exec_lo, s13
	s_mov_b32 s13, exec_lo
	v_cmpx_lt_u32_e32 0xffffff, v11
	s_cbranch_execz .LBB299_1949
; %bb.1942:                             ;   in Loop: Header=BB299_1059 Depth=1
	v_lshrrev_b32_e32 v0, 24, v11
	v_bfrev_b32_e32 v118, 1
	s_mov_b32 s15, exec_lo
	v_cmpx_ne_u32_e32 0x80, v0
	s_cbranch_execz .LBB299_1948
; %bb.1943:                             ;   in Loop: Header=BB299_1059 Depth=1
	v_and_b32_e32 v41, 0x7f, v0
	v_mov_b32_e32 v118, 0x7c010000
	s_mov_b32 s18, exec_lo
	v_cmpx_ne_u32_e32 0x7f, v41
	s_cbranch_execz .LBB299_1947
; %bb.1944:                             ;   in Loop: Header=BB299_1059 Depth=1
	v_and_b32_e32 v118, 7, v0
	v_lshrrev_b32_e32 v40, 3, v41
	s_mov_b32 s20, exec_lo
	v_cmpx_gt_u32_e32 8, v41
; %bb.1945:                             ;   in Loop: Header=BB299_1059 Depth=1
	v_ffbh_u32_e32 v118, v118
	v_min_u32_e32 v118, 32, v118
	v_subrev_nc_u32_e32 v40, 28, v118
	v_lshlrev_b64 v[41:42], v40, v[0:1]
	v_sub_nc_u32_e32 v40, 29, v118
	v_and_b32_e32 v118, 7, v41
; %bb.1946:                             ;   in Loop: Header=BB299_1059 Depth=1
	s_or_b32 exec_lo, exec_lo, s20
	v_lshlrev_b32_e32 v0, 8, v0
	v_lshl_add_u32 v40, v40, 10, 0x2000
	v_lshlrev_b32_e32 v118, 23, v118
	v_and_or_b32 v0, 0x8000, v0, v40
	v_lshl_or_b32 v118, v0, 16, v118
.LBB299_1947:                           ;   in Loop: Header=BB299_1059 Depth=1
	s_or_b32 exec_lo, exec_lo, s18
.LBB299_1948:                           ;   in Loop: Header=BB299_1059 Depth=1
	s_or_b32 exec_lo, exec_lo, s15
.LBB299_1949:                           ;   in Loop: Header=BB299_1059 Depth=1
	s_or_b32 exec_lo, exec_lo, s13
	v_mov_b32_e32 v0, v12
	v_cmp_ne_u16_sdwa s5, v12, v1 src0_sel:BYTE_0 src1_sel:DWORD
	v_mov_b32_e32 v40, 0
	v_mov_b32_e32 v41, 0
	s_and_saveexec_b32 s13, s5
	s_cbranch_execz .LBB299_1957
; %bb.1950:                             ;   in Loop: Header=BB299_1059 Depth=1
	v_cmp_ne_u16_sdwa s5, v12, v16 src0_sel:BYTE_0 src1_sel:DWORD
	v_mov_b32_e32 v41, 0x8000
	s_and_saveexec_b32 s15, s5
	s_cbranch_execz .LBB299_1956
; %bb.1951:                             ;   in Loop: Header=BB299_1059 Depth=1
	v_and_b32_e32 v43, 0x7f, v12
	v_mov_b32_e32 v41, 0x7c01
	s_mov_b32 s18, exec_lo
	v_cmpx_ne_u32_e32 0x7f, v43
	s_cbranch_execz .LBB299_1955
; %bb.1952:                             ;   in Loop: Header=BB299_1059 Depth=1
	v_and_b32_e32 v41, 7, v12
	v_lshrrev_b32_e32 v42, 3, v43
	s_mov_b32 s20, exec_lo
	v_cmpx_gt_u32_e32 8, v43
; %bb.1953:                             ;   in Loop: Header=BB299_1059 Depth=1
	v_ffbh_u32_e32 v41, v41
	v_min_u32_e32 v43, 32, v41
	v_subrev_nc_u32_e32 v41, 28, v43
	v_lshlrev_b64 v[41:42], v41, v[0:1]
	v_sub_nc_u32_e32 v42, 29, v43
	v_and_b32_e32 v41, 7, v41
; %bb.1954:                             ;   in Loop: Header=BB299_1059 Depth=1
	s_or_b32 exec_lo, exec_lo, s20
	v_lshlrev_b32_e32 v43, 8, v12
	v_lshl_add_u32 v42, v42, 10, 0x2000
	v_lshlrev_b32_e32 v41, 7, v41
	v_and_b32_e32 v43, 0x8000, v43
	v_and_b32_e32 v42, 0xfc00, v42
	v_or3_b32 v41, v43, v42, v41
.LBB299_1955:                           ;   in Loop: Header=BB299_1059 Depth=1
	s_or_b32 exec_lo, exec_lo, s18
.LBB299_1956:                           ;   in Loop: Header=BB299_1059 Depth=1
	s_or_b32 exec_lo, exec_lo, s15
.LBB299_1957:                           ;   in Loop: Header=BB299_1059 Depth=1
	s_or_b32 exec_lo, exec_lo, s13
	v_lshrrev_b16 v0, 8, v0
	v_mov_b32_e32 v42, 0
	s_mov_b32 s13, exec_lo
	v_cmpx_ne_u16_e32 0, v0
	s_cbranch_execz .LBB299_1965
; %bb.1958:                             ;   in Loop: Header=BB299_1059 Depth=1
	v_bfrev_b32_e32 v42, 1
	s_mov_b32 s15, exec_lo
	v_cmpx_ne_u16_e32 0x80, v0
	s_cbranch_execz .LBB299_1964
; %bb.1959:                             ;   in Loop: Header=BB299_1059 Depth=1
	v_and_b32_sdwa v44, v0, v17 dst_sel:DWORD dst_unused:UNUSED_PAD src0_sel:WORD_0 src1_sel:DWORD
	v_mov_b32_e32 v42, 0x7c010000
	s_mov_b32 s18, exec_lo
	v_cmpx_ne_u32_e32 0x7f, v44
	s_cbranch_execz .LBB299_1963
; %bb.1960:                             ;   in Loop: Header=BB299_1059 Depth=1
	v_and_b32_sdwa v42, v0, v38 dst_sel:DWORD dst_unused:UNUSED_PAD src0_sel:WORD_0 src1_sel:DWORD
	v_lshrrev_b32_e32 v43, 3, v44
	s_mov_b32 s20, exec_lo
	v_cmpx_gt_u32_e32 8, v44
; %bb.1961:                             ;   in Loop: Header=BB299_1059 Depth=1
	v_ffbh_u32_e32 v42, v42
	v_min_u32_e32 v44, 32, v42
	v_subrev_nc_u32_e32 v42, 28, v44
	v_lshlrev_b64 v[42:43], v42, v[0:1]
	v_sub_nc_u32_e32 v43, 29, v44
	v_and_b32_e32 v42, 7, v42
; %bb.1962:                             ;   in Loop: Header=BB299_1059 Depth=1
	s_or_b32 exec_lo, exec_lo, s20
	v_lshlrev_b32_sdwa v0, v39, v0 dst_sel:DWORD dst_unused:UNUSED_PAD src0_sel:DWORD src1_sel:WORD_0
	v_lshl_add_u32 v43, v43, 10, 0x2000
	v_lshlrev_b32_e32 v42, 23, v42
	v_and_or_b32 v0, 0x8000, v0, v43
	v_lshl_or_b32 v42, v0, 16, v42
.LBB299_1963:                           ;   in Loop: Header=BB299_1059 Depth=1
	s_or_b32 exec_lo, exec_lo, s18
.LBB299_1964:                           ;   in Loop: Header=BB299_1059 Depth=1
	s_or_b32 exec_lo, exec_lo, s15
.LBB299_1965:                           ;   in Loop: Header=BB299_1059 Depth=1
	s_or_b32 exec_lo, exec_lo, s13
	v_lshrrev_b32_e32 v0, 16, v12
	v_cmp_ne_u16_sdwa s5, v0, v1 src0_sel:BYTE_0 src1_sel:DWORD
	s_and_saveexec_b32 s13, s5
	s_cbranch_execz .LBB299_1973
; %bb.1966:                             ;   in Loop: Header=BB299_1059 Depth=1
	v_cmp_ne_u16_sdwa s5, v0, v16 src0_sel:BYTE_0 src1_sel:DWORD
	v_mov_b32_e32 v40, 0x8000
	s_and_saveexec_b32 s15, s5
	s_cbranch_execz .LBB299_1972
; %bb.1967:                             ;   in Loop: Header=BB299_1059 Depth=1
	v_bfe_u32 v44, v12, 16, 7
	v_mov_b32_e32 v40, 0x7c01
	s_mov_b32 s18, exec_lo
	v_cmpx_ne_u32_e32 0x7f, v44
	s_cbranch_execz .LBB299_1971
; %bb.1968:                             ;   in Loop: Header=BB299_1059 Depth=1
	v_and_b32_e32 v40, 7, v0
	v_lshrrev_b32_e32 v43, 3, v44
	s_mov_b32 s20, exec_lo
	v_cmpx_gt_u32_e32 8, v44
; %bb.1969:                             ;   in Loop: Header=BB299_1059 Depth=1
	v_ffbh_u32_e32 v40, v40
	v_min_u32_e32 v40, 32, v40
	v_subrev_nc_u32_e32 v43, 28, v40
	v_lshlrev_b64 v[44:45], v43, v[0:1]
	v_sub_nc_u32_e32 v43, 29, v40
	v_and_b32_e32 v40, 7, v44
; %bb.1970:                             ;   in Loop: Header=BB299_1059 Depth=1
	s_or_b32 exec_lo, exec_lo, s20
	v_lshlrev_b32_e32 v0, 8, v0
	v_lshl_add_u32 v43, v43, 10, 0x2000
	v_lshlrev_b32_e32 v40, 7, v40
	v_and_b32_e32 v0, 0x8000, v0
	v_and_b32_e32 v43, 0xfc00, v43
	v_or3_b32 v40, v0, v43, v40
.LBB299_1971:                           ;   in Loop: Header=BB299_1059 Depth=1
	s_or_b32 exec_lo, exec_lo, s18
.LBB299_1972:                           ;   in Loop: Header=BB299_1059 Depth=1
	s_or_b32 exec_lo, exec_lo, s15
.LBB299_1973:                           ;   in Loop: Header=BB299_1059 Depth=1
	s_or_b32 exec_lo, exec_lo, s13
	v_cmp_lt_u64_e64 s5, s[8:9], v[11:12]
	v_mov_b32_e32 v11, 0
	s_and_saveexec_b32 s13, s5
	s_cbranch_execz .LBB299_1981
; %bb.1974:                             ;   in Loop: Header=BB299_1059 Depth=1
	v_lshrrev_b32_e32 v0, 24, v12
	v_bfrev_b32_e32 v11, 1
	s_mov_b32 s15, exec_lo
	v_cmpx_ne_u32_e32 0x80, v0
	s_cbranch_execz .LBB299_1980
; %bb.1975:                             ;   in Loop: Header=BB299_1059 Depth=1
	v_and_b32_e32 v43, 0x7f, v0
	v_mov_b32_e32 v11, 0x7c010000
	s_mov_b32 s18, exec_lo
	v_cmpx_ne_u32_e32 0x7f, v43
	s_cbranch_execz .LBB299_1979
; %bb.1976:                             ;   in Loop: Header=BB299_1059 Depth=1
	v_and_b32_e32 v11, 7, v0
	v_lshrrev_b32_e32 v12, 3, v43
	s_mov_b32 s20, exec_lo
	v_cmpx_gt_u32_e32 8, v43
; %bb.1977:                             ;   in Loop: Header=BB299_1059 Depth=1
	v_ffbh_u32_e32 v11, v11
	v_min_u32_e32 v43, 32, v11
	v_subrev_nc_u32_e32 v11, 28, v43
	v_lshlrev_b64 v[11:12], v11, v[0:1]
	v_sub_nc_u32_e32 v12, 29, v43
	v_and_b32_e32 v11, 7, v11
; %bb.1978:                             ;   in Loop: Header=BB299_1059 Depth=1
	s_or_b32 exec_lo, exec_lo, s20
	v_lshlrev_b32_e32 v0, 8, v0
	v_lshl_add_u32 v12, v12, 10, 0x2000
	v_lshlrev_b32_e32 v11, 23, v11
	v_and_or_b32 v0, 0x8000, v0, v12
	v_lshl_or_b32 v11, v0, 16, v11
.LBB299_1979:                           ;   in Loop: Header=BB299_1059 Depth=1
	s_or_b32 exec_lo, exec_lo, s18
.LBB299_1980:                           ;   in Loop: Header=BB299_1059 Depth=1
	s_or_b32 exec_lo, exec_lo, s15
.LBB299_1981:                           ;   in Loop: Header=BB299_1059 Depth=1
	s_or_b32 exec_lo, exec_lo, s13
	v_or_b32_e32 v0, v118, v119
	s_waitcnt vmcnt(0) lgkmcnt(0)
	v_fma_mixlo_f16 v12, v115, v118, 0 op_sel:[0,1,0] op_sel_hi:[0,1,0]
	v_or_b32_e32 v118, v116, v117
	v_fma_mixlo_f16 v116, v115, v116, 0 op_sel:[0,1,0] op_sel_hi:[0,1,0]
	v_or_b32_e32 v119, v42, v41
	v_or_b32_e32 v40, v11, v40
	v_fma_mixlo_f16 v41, v115, v0, 0 op_sel_hi:[0,1,0]
	v_fma_mixlo_f16 v11, v115, v11, 0 op_sel:[0,1,0] op_sel_hi:[0,1,0]
	v_lshlrev_b32_e32 v117, 16, v116
	v_fma_mixlo_f16 v116, v115, v118, 0 op_sel_hi:[0,1,0]
	v_fma_mixlo_f16 v118, v115, v42, 0 op_sel:[0,1,0] op_sel_hi:[0,1,0]
	v_fma_mixlo_f16 v119, v115, v119, 0 op_sel_hi:[0,1,0]
	v_fma_mixlo_f16 v40, v115, v40, 0 op_sel_hi:[0,1,0]
	v_lshlrev_b32_e32 v0, 16, v12
	v_and_b32_e32 v12, 0xffff, v41
	v_and_b32_e32 v43, 0xffff, v116
	v_lshlrev_b32_e32 v115, 16, v118
	v_and_b32_e32 v119, 0xffff, v119
	v_lshlrev_b32_e32 v11, 16, v11
	v_and_b32_e32 v116, 0xffff, v40
	v_or_b32_e32 v118, v0, v12
	v_or_b32_e32 v42, v117, v43
	;; [unrolled: 1-line block ×4, first 2 shown]
	s_and_saveexec_b32 s13, vcc_lo
	s_cbranch_execz .LBB299_1983
; %bb.1982:                             ;   in Loop: Header=BB299_1059 Depth=1
	v_cmp_lt_i32_e64 s5, v48, v35
	v_cndmask_b32_e64 v118, 0, v43, s5
	v_cmp_lt_i32_e64 s5, v83, v35
	v_cndmask_b32_e64 v117, 0, v117, s5
	v_cmp_lt_i32_e64 s5, v82, v35
	v_or_b32_e32 v42, v118, v117
	v_cndmask_b32_e64 v12, 0, v12, s5
	v_cmp_lt_i32_e64 s5, v81, v35
	v_cndmask_b32_e64 v0, 0, v0, s5
	v_cmp_lt_i32_e64 s5, v80, v35
	v_or_b32_e32 v118, v12, v0
	;; [unrolled: 5-line block ×3, first 2 shown]
	v_cndmask_b32_e64 v116, 0, v116, s5
	v_cmp_lt_i32_e64 s5, v14, v35
	v_cndmask_b32_e64 v11, 0, v11, s5
	v_or_b32_e32 v40, v116, v11
.LBB299_1983:                           ;   in Loop: Header=BB299_1059 Depth=1
	s_or_b32 exec_lo, exec_lo, s13
	;;#ASMSTART
	v_pk_mul_f16 v0, v68, v42;

	;;#ASMEND
	;;#ASMSTART
	v_pk_mul_f16 v11, v66, v118;

	;;#ASMEND
	;; [unrolled: 4-line block ×4, first 2 shown]
	;;#ASMSTART
	v_pk_add_f16 v0, v0, v11;

	;;#ASMEND
	;;#ASMSTART
	v_pk_add_f16 v0, v0, v12;

	;;#ASMEND
	;;#ASMSTART
	v_pk_add_f16 v0, v0, v115;

	;;#ASMEND
	v_and_b32_e32 v11, 0xffff, v0
	v_lshrrev_b32_e32 v0, 16, v0
	;;#ASMSTART
	v_cvt_f32_f16 v115, v11;
	;;#ASMEND
	;;#ASMSTART
	v_cvt_f32_f16 v116, v0;
	;;#ASMEND
	flat_load_dwordx2 v[11:12], v[9:10] offset:1536
	flat_load_dword v117, v[26:27]
	v_mov_b32_e32 v118, 0
	v_mov_b32_e32 v119, 0
	s_waitcnt vmcnt(1) lgkmcnt(1)
	v_cmp_ne_u16_sdwa s5, v11, v1 src0_sel:BYTE_0 src1_sel:DWORD
	s_and_saveexec_b32 s13, s5
	s_cbranch_execz .LBB299_1991
; %bb.1984:                             ;   in Loop: Header=BB299_1059 Depth=1
	v_cmp_ne_u16_sdwa s5, v11, v16 src0_sel:BYTE_0 src1_sel:DWORD
	v_mov_b32_e32 v119, 0x8000
	s_and_saveexec_b32 s15, s5
	s_cbranch_execz .LBB299_1990
; %bb.1985:                             ;   in Loop: Header=BB299_1059 Depth=1
	v_and_b32_e32 v40, 0x7f, v11
	v_mov_b32_e32 v119, 0x7c01
	s_mov_b32 s18, exec_lo
	v_cmpx_ne_u32_e32 0x7f, v40
	s_cbranch_execz .LBB299_1989
; %bb.1986:                             ;   in Loop: Header=BB299_1059 Depth=1
	v_and_b32_e32 v0, 7, v11
	v_lshrrev_b32_e32 v119, 3, v40
	s_mov_b32 s20, exec_lo
	v_cmpx_gt_u32_e32 8, v40
; %bb.1987:                             ;   in Loop: Header=BB299_1059 Depth=1
	v_ffbh_u32_e32 v0, v0
	v_min_u32_e32 v0, 32, v0
	v_subrev_nc_u32_e32 v119, 28, v0
	v_lshlrev_b64 v[40:41], v119, v[11:12]
	v_sub_nc_u32_e32 v119, 29, v0
	v_and_b32_e32 v0, 7, v40
; %bb.1988:                             ;   in Loop: Header=BB299_1059 Depth=1
	s_or_b32 exec_lo, exec_lo, s20
	v_lshlrev_b32_e32 v40, 8, v11
	v_lshl_add_u32 v119, v119, 10, 0x2000
	v_lshlrev_b32_e32 v0, 7, v0
	v_and_b32_e32 v40, 0x8000, v40
	v_and_b32_e32 v119, 0xfc00, v119
	v_or3_b32 v119, v40, v119, v0
.LBB299_1989:                           ;   in Loop: Header=BB299_1059 Depth=1
	s_or_b32 exec_lo, exec_lo, s18
.LBB299_1990:                           ;   in Loop: Header=BB299_1059 Depth=1
	s_or_b32 exec_lo, exec_lo, s15
.LBB299_1991:                           ;   in Loop: Header=BB299_1059 Depth=1
	s_or_b32 exec_lo, exec_lo, s13
	v_lshrrev_b16 v0, 8, v11
	s_mov_b32 s13, exec_lo
	v_cmpx_ne_u16_e32 0, v0
	s_cbranch_execz .LBB299_1999
; %bb.1992:                             ;   in Loop: Header=BB299_1059 Depth=1
	v_bfrev_b32_e32 v118, 1
	s_mov_b32 s15, exec_lo
	v_cmpx_ne_u16_e32 0x80, v0
	s_cbranch_execz .LBB299_1998
; %bb.1993:                             ;   in Loop: Header=BB299_1059 Depth=1
	v_and_b32_sdwa v41, v0, v17 dst_sel:DWORD dst_unused:UNUSED_PAD src0_sel:WORD_0 src1_sel:DWORD
	v_mov_b32_e32 v118, 0x7c010000
	s_mov_b32 s18, exec_lo
	v_cmpx_ne_u32_e32 0x7f, v41
	s_cbranch_execz .LBB299_1997
; %bb.1994:                             ;   in Loop: Header=BB299_1059 Depth=1
	v_and_b32_sdwa v118, v0, v38 dst_sel:DWORD dst_unused:UNUSED_PAD src0_sel:WORD_0 src1_sel:DWORD
	v_lshrrev_b32_e32 v40, 3, v41
	s_mov_b32 s20, exec_lo
	v_cmpx_gt_u32_e32 8, v41
; %bb.1995:                             ;   in Loop: Header=BB299_1059 Depth=1
	v_ffbh_u32_e32 v118, v118
	v_min_u32_e32 v118, 32, v118
	v_subrev_nc_u32_e32 v40, 28, v118
	v_lshlrev_b64 v[41:42], v40, v[0:1]
	v_sub_nc_u32_e32 v40, 29, v118
	v_and_b32_e32 v118, 7, v41
; %bb.1996:                             ;   in Loop: Header=BB299_1059 Depth=1
	s_or_b32 exec_lo, exec_lo, s20
	v_lshlrev_b32_sdwa v0, v39, v0 dst_sel:DWORD dst_unused:UNUSED_PAD src0_sel:DWORD src1_sel:WORD_0
	v_lshl_add_u32 v40, v40, 10, 0x2000
	v_lshlrev_b32_e32 v118, 23, v118
	v_and_or_b32 v0, 0x8000, v0, v40
	v_lshl_or_b32 v118, v0, 16, v118
.LBB299_1997:                           ;   in Loop: Header=BB299_1059 Depth=1
	s_or_b32 exec_lo, exec_lo, s18
.LBB299_1998:                           ;   in Loop: Header=BB299_1059 Depth=1
	s_or_b32 exec_lo, exec_lo, s15
.LBB299_1999:                           ;   in Loop: Header=BB299_1059 Depth=1
	s_or_b32 exec_lo, exec_lo, s13
	v_lshrrev_b32_e32 v0, 16, v11
	v_mov_b32_e32 v40, 0
	v_mov_b32_e32 v41, 0
	v_cmp_ne_u16_sdwa s5, v0, v1 src0_sel:BYTE_0 src1_sel:DWORD
	s_and_saveexec_b32 s13, s5
	s_cbranch_execz .LBB299_2007
; %bb.2000:                             ;   in Loop: Header=BB299_1059 Depth=1
	v_cmp_ne_u16_sdwa s5, v0, v16 src0_sel:BYTE_0 src1_sel:DWORD
	v_mov_b32_e32 v41, 0x8000
	s_and_saveexec_b32 s15, s5
	s_cbranch_execz .LBB299_2006
; %bb.2001:                             ;   in Loop: Header=BB299_1059 Depth=1
	v_bfe_u32 v43, v11, 16, 7
	v_mov_b32_e32 v41, 0x7c01
	s_mov_b32 s18, exec_lo
	v_cmpx_ne_u32_e32 0x7f, v43
	s_cbranch_execz .LBB299_2005
; %bb.2002:                             ;   in Loop: Header=BB299_1059 Depth=1
	v_and_b32_e32 v41, 7, v0
	v_lshrrev_b32_e32 v42, 3, v43
	s_mov_b32 s20, exec_lo
	v_cmpx_gt_u32_e32 8, v43
; %bb.2003:                             ;   in Loop: Header=BB299_1059 Depth=1
	v_ffbh_u32_e32 v41, v41
	v_min_u32_e32 v43, 32, v41
	v_subrev_nc_u32_e32 v41, 28, v43
	v_lshlrev_b64 v[41:42], v41, v[0:1]
	v_sub_nc_u32_e32 v42, 29, v43
	v_and_b32_e32 v41, 7, v41
; %bb.2004:                             ;   in Loop: Header=BB299_1059 Depth=1
	s_or_b32 exec_lo, exec_lo, s20
	v_lshlrev_b32_e32 v0, 8, v0
	v_lshl_add_u32 v42, v42, 10, 0x2000
	v_lshlrev_b32_e32 v41, 7, v41
	v_and_b32_e32 v0, 0x8000, v0
	v_and_b32_e32 v42, 0xfc00, v42
	v_or3_b32 v41, v0, v42, v41
.LBB299_2005:                           ;   in Loop: Header=BB299_1059 Depth=1
	s_or_b32 exec_lo, exec_lo, s18
.LBB299_2006:                           ;   in Loop: Header=BB299_1059 Depth=1
	s_or_b32 exec_lo, exec_lo, s15
.LBB299_2007:                           ;   in Loop: Header=BB299_1059 Depth=1
	s_or_b32 exec_lo, exec_lo, s13
	s_mov_b32 s13, exec_lo
	v_cmpx_lt_u32_e32 0xffffff, v11
	s_cbranch_execz .LBB299_2015
; %bb.2008:                             ;   in Loop: Header=BB299_1059 Depth=1
	v_lshrrev_b32_e32 v0, 24, v11
	v_bfrev_b32_e32 v40, 1
	s_mov_b32 s15, exec_lo
	v_cmpx_ne_u32_e32 0x80, v0
	s_cbranch_execz .LBB299_2014
; %bb.2009:                             ;   in Loop: Header=BB299_1059 Depth=1
	v_and_b32_e32 v43, 0x7f, v0
	v_mov_b32_e32 v40, 0x7c010000
	s_mov_b32 s18, exec_lo
	v_cmpx_ne_u32_e32 0x7f, v43
	s_cbranch_execz .LBB299_2013
; %bb.2010:                             ;   in Loop: Header=BB299_1059 Depth=1
	v_and_b32_e32 v40, 7, v0
	v_lshrrev_b32_e32 v42, 3, v43
	s_mov_b32 s20, exec_lo
	v_cmpx_gt_u32_e32 8, v43
; %bb.2011:                             ;   in Loop: Header=BB299_1059 Depth=1
	v_ffbh_u32_e32 v40, v40
	v_min_u32_e32 v40, 32, v40
	v_subrev_nc_u32_e32 v42, 28, v40
	v_lshlrev_b64 v[43:44], v42, v[0:1]
	v_sub_nc_u32_e32 v42, 29, v40
	v_and_b32_e32 v40, 7, v43
; %bb.2012:                             ;   in Loop: Header=BB299_1059 Depth=1
	s_or_b32 exec_lo, exec_lo, s20
	v_lshlrev_b32_e32 v0, 8, v0
	v_lshl_add_u32 v42, v42, 10, 0x2000
	v_lshlrev_b32_e32 v40, 23, v40
	v_and_or_b32 v0, 0x8000, v0, v42
	v_lshl_or_b32 v40, v0, 16, v40
.LBB299_2013:                           ;   in Loop: Header=BB299_1059 Depth=1
	s_or_b32 exec_lo, exec_lo, s18
.LBB299_2014:                           ;   in Loop: Header=BB299_1059 Depth=1
	s_or_b32 exec_lo, exec_lo, s15
.LBB299_2015:                           ;   in Loop: Header=BB299_1059 Depth=1
	s_or_b32 exec_lo, exec_lo, s13
	v_mov_b32_e32 v0, v12
	v_cmp_ne_u16_sdwa s5, v12, v1 src0_sel:BYTE_0 src1_sel:DWORD
	v_mov_b32_e32 v42, 0
	v_mov_b32_e32 v43, 0
	s_and_saveexec_b32 s13, s5
	s_cbranch_execz .LBB299_2023
; %bb.2016:                             ;   in Loop: Header=BB299_1059 Depth=1
	v_cmp_ne_u16_sdwa s5, v12, v16 src0_sel:BYTE_0 src1_sel:DWORD
	v_mov_b32_e32 v43, 0x8000
	s_and_saveexec_b32 s15, s5
	s_cbranch_execz .LBB299_2022
; %bb.2017:                             ;   in Loop: Header=BB299_1059 Depth=1
	v_and_b32_e32 v45, 0x7f, v12
	v_mov_b32_e32 v43, 0x7c01
	s_mov_b32 s18, exec_lo
	v_cmpx_ne_u32_e32 0x7f, v45
	s_cbranch_execz .LBB299_2021
; %bb.2018:                             ;   in Loop: Header=BB299_1059 Depth=1
	v_and_b32_e32 v43, 7, v12
	v_lshrrev_b32_e32 v44, 3, v45
	s_mov_b32 s20, exec_lo
	v_cmpx_gt_u32_e32 8, v45
; %bb.2019:                             ;   in Loop: Header=BB299_1059 Depth=1
	v_ffbh_u32_e32 v43, v43
	v_min_u32_e32 v45, 32, v43
	v_subrev_nc_u32_e32 v43, 28, v45
	v_lshlrev_b64 v[43:44], v43, v[0:1]
	v_sub_nc_u32_e32 v44, 29, v45
	v_and_b32_e32 v43, 7, v43
; %bb.2020:                             ;   in Loop: Header=BB299_1059 Depth=1
	s_or_b32 exec_lo, exec_lo, s20
	v_lshlrev_b32_e32 v45, 8, v12
	v_lshl_add_u32 v44, v44, 10, 0x2000
	v_lshlrev_b32_e32 v43, 7, v43
	v_and_b32_e32 v45, 0x8000, v45
	v_and_b32_e32 v44, 0xfc00, v44
	v_or3_b32 v43, v45, v44, v43
.LBB299_2021:                           ;   in Loop: Header=BB299_1059 Depth=1
	s_or_b32 exec_lo, exec_lo, s18
.LBB299_2022:                           ;   in Loop: Header=BB299_1059 Depth=1
	s_or_b32 exec_lo, exec_lo, s15
.LBB299_2023:                           ;   in Loop: Header=BB299_1059 Depth=1
	s_or_b32 exec_lo, exec_lo, s13
	v_lshrrev_b16 v0, 8, v0
	v_mov_b32_e32 v44, 0
	s_mov_b32 s13, exec_lo
	v_cmpx_ne_u16_e32 0, v0
	s_cbranch_execz .LBB299_2031
; %bb.2024:                             ;   in Loop: Header=BB299_1059 Depth=1
	v_bfrev_b32_e32 v44, 1
	s_mov_b32 s15, exec_lo
	v_cmpx_ne_u16_e32 0x80, v0
	s_cbranch_execz .LBB299_2030
; %bb.2025:                             ;   in Loop: Header=BB299_1059 Depth=1
	v_and_b32_sdwa v46, v0, v17 dst_sel:DWORD dst_unused:UNUSED_PAD src0_sel:WORD_0 src1_sel:DWORD
	v_mov_b32_e32 v44, 0x7c010000
	s_mov_b32 s18, exec_lo
	v_cmpx_ne_u32_e32 0x7f, v46
	s_cbranch_execz .LBB299_2029
; %bb.2026:                             ;   in Loop: Header=BB299_1059 Depth=1
	v_and_b32_sdwa v44, v0, v38 dst_sel:DWORD dst_unused:UNUSED_PAD src0_sel:WORD_0 src1_sel:DWORD
	v_lshrrev_b32_e32 v45, 3, v46
	s_mov_b32 s20, exec_lo
	v_cmpx_gt_u32_e32 8, v46
; %bb.2027:                             ;   in Loop: Header=BB299_1059 Depth=1
	v_ffbh_u32_e32 v44, v44
	v_min_u32_e32 v46, 32, v44
	v_subrev_nc_u32_e32 v44, 28, v46
	v_lshlrev_b64 v[44:45], v44, v[0:1]
	v_sub_nc_u32_e32 v45, 29, v46
	v_and_b32_e32 v44, 7, v44
; %bb.2028:                             ;   in Loop: Header=BB299_1059 Depth=1
	s_or_b32 exec_lo, exec_lo, s20
	v_lshlrev_b32_sdwa v0, v39, v0 dst_sel:DWORD dst_unused:UNUSED_PAD src0_sel:DWORD src1_sel:WORD_0
	v_lshl_add_u32 v45, v45, 10, 0x2000
	v_lshlrev_b32_e32 v44, 23, v44
	v_and_or_b32 v0, 0x8000, v0, v45
	v_lshl_or_b32 v44, v0, 16, v44
.LBB299_2029:                           ;   in Loop: Header=BB299_1059 Depth=1
	s_or_b32 exec_lo, exec_lo, s18
.LBB299_2030:                           ;   in Loop: Header=BB299_1059 Depth=1
	s_or_b32 exec_lo, exec_lo, s15
.LBB299_2031:                           ;   in Loop: Header=BB299_1059 Depth=1
	s_or_b32 exec_lo, exec_lo, s13
	v_lshrrev_b32_e32 v0, 16, v12
	v_cmp_ne_u16_sdwa s5, v0, v1 src0_sel:BYTE_0 src1_sel:DWORD
	s_and_saveexec_b32 s13, s5
	s_cbranch_execz .LBB299_2039
; %bb.2032:                             ;   in Loop: Header=BB299_1059 Depth=1
	v_cmp_ne_u16_sdwa s5, v0, v16 src0_sel:BYTE_0 src1_sel:DWORD
	v_mov_b32_e32 v42, 0x8000
	s_and_saveexec_b32 s15, s5
	s_cbranch_execz .LBB299_2038
; %bb.2033:                             ;   in Loop: Header=BB299_1059 Depth=1
	v_bfe_u32 v46, v12, 16, 7
	v_mov_b32_e32 v42, 0x7c01
	s_mov_b32 s18, exec_lo
	v_cmpx_ne_u32_e32 0x7f, v46
	s_cbranch_execz .LBB299_2037
; %bb.2034:                             ;   in Loop: Header=BB299_1059 Depth=1
	v_and_b32_e32 v42, 7, v0
	v_lshrrev_b32_e32 v45, 3, v46
	s_mov_b32 s20, exec_lo
	v_cmpx_gt_u32_e32 8, v46
; %bb.2035:                             ;   in Loop: Header=BB299_1059 Depth=1
	v_ffbh_u32_e32 v42, v42
	v_min_u32_e32 v42, 32, v42
	v_subrev_nc_u32_e32 v45, 28, v42
	v_lshlrev_b64 v[46:47], v45, v[0:1]
	v_sub_nc_u32_e32 v45, 29, v42
	v_and_b32_e32 v42, 7, v46
; %bb.2036:                             ;   in Loop: Header=BB299_1059 Depth=1
	s_or_b32 exec_lo, exec_lo, s20
	v_lshlrev_b32_e32 v0, 8, v0
	v_lshl_add_u32 v45, v45, 10, 0x2000
	v_lshlrev_b32_e32 v42, 7, v42
	v_and_b32_e32 v0, 0x8000, v0
	v_and_b32_e32 v45, 0xfc00, v45
	v_or3_b32 v42, v0, v45, v42
.LBB299_2037:                           ;   in Loop: Header=BB299_1059 Depth=1
	s_or_b32 exec_lo, exec_lo, s18
.LBB299_2038:                           ;   in Loop: Header=BB299_1059 Depth=1
	s_or_b32 exec_lo, exec_lo, s15
.LBB299_2039:                           ;   in Loop: Header=BB299_1059 Depth=1
	s_or_b32 exec_lo, exec_lo, s13
	v_cmp_lt_u64_e64 s5, s[8:9], v[11:12]
	v_mov_b32_e32 v11, 0
	s_and_saveexec_b32 s13, s5
	s_cbranch_execz .LBB299_2047
; %bb.2040:                             ;   in Loop: Header=BB299_1059 Depth=1
	v_lshrrev_b32_e32 v0, 24, v12
	v_bfrev_b32_e32 v11, 1
	s_mov_b32 s15, exec_lo
	v_cmpx_ne_u32_e32 0x80, v0
	s_cbranch_execz .LBB299_2046
; %bb.2041:                             ;   in Loop: Header=BB299_1059 Depth=1
	v_and_b32_e32 v45, 0x7f, v0
	v_mov_b32_e32 v11, 0x7c010000
	s_mov_b32 s18, exec_lo
	v_cmpx_ne_u32_e32 0x7f, v45
	s_cbranch_execz .LBB299_2045
; %bb.2042:                             ;   in Loop: Header=BB299_1059 Depth=1
	v_and_b32_e32 v11, 7, v0
	v_lshrrev_b32_e32 v12, 3, v45
	s_mov_b32 s20, exec_lo
	v_cmpx_gt_u32_e32 8, v45
; %bb.2043:                             ;   in Loop: Header=BB299_1059 Depth=1
	v_ffbh_u32_e32 v11, v11
	v_min_u32_e32 v45, 32, v11
	v_subrev_nc_u32_e32 v11, 28, v45
	v_lshlrev_b64 v[11:12], v11, v[0:1]
	v_sub_nc_u32_e32 v12, 29, v45
	v_and_b32_e32 v11, 7, v11
; %bb.2044:                             ;   in Loop: Header=BB299_1059 Depth=1
	s_or_b32 exec_lo, exec_lo, s20
	v_lshlrev_b32_e32 v0, 8, v0
	v_lshl_add_u32 v12, v12, 10, 0x2000
	v_lshlrev_b32_e32 v11, 23, v11
	v_and_or_b32 v0, 0x8000, v0, v12
	v_lshl_or_b32 v11, v0, 16, v11
.LBB299_2045:                           ;   in Loop: Header=BB299_1059 Depth=1
	s_or_b32 exec_lo, exec_lo, s18
.LBB299_2046:                           ;   in Loop: Header=BB299_1059 Depth=1
	s_or_b32 exec_lo, exec_lo, s15
.LBB299_2047:                           ;   in Loop: Header=BB299_1059 Depth=1
	s_or_b32 exec_lo, exec_lo, s13
	v_or_b32_e32 v0, v40, v41
	s_waitcnt vmcnt(0) lgkmcnt(0)
	v_fma_mixlo_f16 v12, v117, v40, 0 op_sel:[0,1,0] op_sel_hi:[0,1,0]
	v_or_b32_e32 v40, v118, v119
	v_fma_mixlo_f16 v118, v117, v118, 0 op_sel:[0,1,0] op_sel_hi:[0,1,0]
	v_or_b32_e32 v41, v44, v43
	v_or_b32_e32 v42, v11, v42
	v_fma_mixlo_f16 v43, v117, v0, 0 op_sel_hi:[0,1,0]
	v_fma_mixlo_f16 v11, v117, v11, 0 op_sel:[0,1,0] op_sel_hi:[0,1,0]
	v_lshlrev_b32_e32 v119, 16, v118
	v_fma_mixlo_f16 v118, v117, v40, 0 op_sel_hi:[0,1,0]
	v_fma_mixlo_f16 v40, v117, v44, 0 op_sel:[0,1,0] op_sel_hi:[0,1,0]
	v_fma_mixlo_f16 v41, v117, v41, 0 op_sel_hi:[0,1,0]
	v_fma_mixlo_f16 v42, v117, v42, 0 op_sel_hi:[0,1,0]
	v_lshlrev_b32_e32 v0, 16, v12
	v_and_b32_e32 v12, 0xffff, v43
	v_and_b32_e32 v45, 0xffff, v118
	v_lshlrev_b32_e32 v117, 16, v40
	v_and_b32_e32 v41, 0xffff, v41
	v_lshlrev_b32_e32 v11, 16, v11
	v_and_b32_e32 v118, 0xffff, v42
	v_or_b32_e32 v40, v0, v12
	v_or_b32_e32 v44, v119, v45
	;; [unrolled: 1-line block ×4, first 2 shown]
	s_and_saveexec_b32 s13, vcc_lo
	s_cbranch_execz .LBB299_2049
; %bb.2048:                             ;   in Loop: Header=BB299_1059 Depth=1
	v_cmp_lt_i32_e64 s5, v48, v35
	v_cndmask_b32_e64 v40, 0, v45, s5
	v_cmp_lt_i32_e64 s5, v83, v35
	v_cndmask_b32_e64 v119, 0, v119, s5
	v_cmp_lt_i32_e64 s5, v82, v35
	v_or_b32_e32 v44, v40, v119
	v_cndmask_b32_e64 v12, 0, v12, s5
	v_cmp_lt_i32_e64 s5, v81, v35
	v_cndmask_b32_e64 v0, 0, v0, s5
	v_cmp_lt_i32_e64 s5, v80, v35
	v_or_b32_e32 v40, v12, v0
	;; [unrolled: 5-line block ×3, first 2 shown]
	v_cndmask_b32_e64 v118, 0, v118, s5
	v_cmp_lt_i32_e64 s5, v14, v35
	v_cndmask_b32_e64 v11, 0, v11, s5
	v_or_b32_e32 v42, v118, v11
.LBB299_2049:                           ;   in Loop: Header=BB299_1059 Depth=1
	s_or_b32 exec_lo, exec_lo, s13
	;;#ASMSTART
	v_pk_mul_f16 v0, v68, v44;

	;;#ASMEND
	;;#ASMSTART
	v_pk_mul_f16 v11, v66, v40;

	;;#ASMEND
	;; [unrolled: 4-line block ×4, first 2 shown]
	;;#ASMSTART
	v_pk_add_f16 v0, v0, v11;

	;;#ASMEND
	;;#ASMSTART
	v_pk_add_f16 v0, v0, v12;

	;;#ASMEND
	;; [unrolled: 4-line block ×3, first 2 shown]
	v_and_b32_e32 v11, 0xffff, v0
	v_lshrrev_b32_e32 v0, 16, v0
	;;#ASMSTART
	v_cvt_f32_f16 v11, v11;
	;;#ASMEND
	;;#ASMSTART
	v_cvt_f32_f16 v12, v0;
	;;#ASMEND
	flat_load_dwordx2 v[9:10], v[9:10] offset:1792
	flat_load_dword v117, v[26:27]
	v_mov_b32_e32 v118, 0
	v_mov_b32_e32 v119, 0
	s_waitcnt vmcnt(1) lgkmcnt(1)
	v_cmp_ne_u16_sdwa s5, v9, v1 src0_sel:BYTE_0 src1_sel:DWORD
	s_and_saveexec_b32 s13, s5
	s_cbranch_execz .LBB299_2057
; %bb.2050:                             ;   in Loop: Header=BB299_1059 Depth=1
	v_cmp_ne_u16_sdwa s5, v9, v16 src0_sel:BYTE_0 src1_sel:DWORD
	v_mov_b32_e32 v119, 0x8000
	s_and_saveexec_b32 s15, s5
	s_cbranch_execz .LBB299_2056
; %bb.2051:                             ;   in Loop: Header=BB299_1059 Depth=1
	v_and_b32_e32 v40, 0x7f, v9
	v_mov_b32_e32 v119, 0x7c01
	s_mov_b32 s18, exec_lo
	v_cmpx_ne_u32_e32 0x7f, v40
	s_cbranch_execz .LBB299_2055
; %bb.2052:                             ;   in Loop: Header=BB299_1059 Depth=1
	v_and_b32_e32 v0, 7, v9
	v_lshrrev_b32_e32 v119, 3, v40
	s_mov_b32 s20, exec_lo
	v_cmpx_gt_u32_e32 8, v40
; %bb.2053:                             ;   in Loop: Header=BB299_1059 Depth=1
	v_ffbh_u32_e32 v0, v0
	v_min_u32_e32 v0, 32, v0
	v_subrev_nc_u32_e32 v119, 28, v0
	v_lshlrev_b64 v[40:41], v119, v[9:10]
	v_sub_nc_u32_e32 v119, 29, v0
	v_and_b32_e32 v0, 7, v40
; %bb.2054:                             ;   in Loop: Header=BB299_1059 Depth=1
	s_or_b32 exec_lo, exec_lo, s20
	v_lshlrev_b32_e32 v40, 8, v9
	v_lshl_add_u32 v119, v119, 10, 0x2000
	v_lshlrev_b32_e32 v0, 7, v0
	v_and_b32_e32 v40, 0x8000, v40
	v_and_b32_e32 v119, 0xfc00, v119
	v_or3_b32 v119, v40, v119, v0
.LBB299_2055:                           ;   in Loop: Header=BB299_1059 Depth=1
	s_or_b32 exec_lo, exec_lo, s18
.LBB299_2056:                           ;   in Loop: Header=BB299_1059 Depth=1
	s_or_b32 exec_lo, exec_lo, s15
.LBB299_2057:                           ;   in Loop: Header=BB299_1059 Depth=1
	s_or_b32 exec_lo, exec_lo, s13
	v_lshrrev_b16 v0, 8, v9
	s_mov_b32 s13, exec_lo
	v_cmpx_ne_u16_e32 0, v0
	s_cbranch_execz .LBB299_2065
; %bb.2058:                             ;   in Loop: Header=BB299_1059 Depth=1
	v_bfrev_b32_e32 v118, 1
	s_mov_b32 s15, exec_lo
	v_cmpx_ne_u16_e32 0x80, v0
	s_cbranch_execz .LBB299_2064
; %bb.2059:                             ;   in Loop: Header=BB299_1059 Depth=1
	v_and_b32_sdwa v41, v0, v17 dst_sel:DWORD dst_unused:UNUSED_PAD src0_sel:WORD_0 src1_sel:DWORD
	v_mov_b32_e32 v118, 0x7c010000
	s_mov_b32 s18, exec_lo
	v_cmpx_ne_u32_e32 0x7f, v41
	s_cbranch_execz .LBB299_2063
; %bb.2060:                             ;   in Loop: Header=BB299_1059 Depth=1
	v_and_b32_sdwa v118, v0, v38 dst_sel:DWORD dst_unused:UNUSED_PAD src0_sel:WORD_0 src1_sel:DWORD
	v_lshrrev_b32_e32 v40, 3, v41
	s_mov_b32 s20, exec_lo
	v_cmpx_gt_u32_e32 8, v41
; %bb.2061:                             ;   in Loop: Header=BB299_1059 Depth=1
	v_ffbh_u32_e32 v118, v118
	v_min_u32_e32 v118, 32, v118
	v_subrev_nc_u32_e32 v40, 28, v118
	v_lshlrev_b64 v[41:42], v40, v[0:1]
	v_sub_nc_u32_e32 v40, 29, v118
	v_and_b32_e32 v118, 7, v41
; %bb.2062:                             ;   in Loop: Header=BB299_1059 Depth=1
	s_or_b32 exec_lo, exec_lo, s20
	v_lshlrev_b32_sdwa v0, v39, v0 dst_sel:DWORD dst_unused:UNUSED_PAD src0_sel:DWORD src1_sel:WORD_0
	v_lshl_add_u32 v40, v40, 10, 0x2000
	v_lshlrev_b32_e32 v118, 23, v118
	v_and_or_b32 v0, 0x8000, v0, v40
	v_lshl_or_b32 v118, v0, 16, v118
.LBB299_2063:                           ;   in Loop: Header=BB299_1059 Depth=1
	s_or_b32 exec_lo, exec_lo, s18
.LBB299_2064:                           ;   in Loop: Header=BB299_1059 Depth=1
	s_or_b32 exec_lo, exec_lo, s15
.LBB299_2065:                           ;   in Loop: Header=BB299_1059 Depth=1
	s_or_b32 exec_lo, exec_lo, s13
	v_lshrrev_b32_e32 v0, 16, v9
	v_mov_b32_e32 v40, 0
	v_mov_b32_e32 v41, 0
	v_cmp_ne_u16_sdwa s5, v0, v1 src0_sel:BYTE_0 src1_sel:DWORD
	s_and_saveexec_b32 s13, s5
	s_cbranch_execz .LBB299_2073
; %bb.2066:                             ;   in Loop: Header=BB299_1059 Depth=1
	v_cmp_ne_u16_sdwa s5, v0, v16 src0_sel:BYTE_0 src1_sel:DWORD
	v_mov_b32_e32 v41, 0x8000
	s_and_saveexec_b32 s15, s5
	s_cbranch_execz .LBB299_2072
; %bb.2067:                             ;   in Loop: Header=BB299_1059 Depth=1
	v_bfe_u32 v43, v9, 16, 7
	v_mov_b32_e32 v41, 0x7c01
	s_mov_b32 s18, exec_lo
	v_cmpx_ne_u32_e32 0x7f, v43
	s_cbranch_execz .LBB299_2071
; %bb.2068:                             ;   in Loop: Header=BB299_1059 Depth=1
	v_and_b32_e32 v41, 7, v0
	v_lshrrev_b32_e32 v42, 3, v43
	s_mov_b32 s20, exec_lo
	v_cmpx_gt_u32_e32 8, v43
; %bb.2069:                             ;   in Loop: Header=BB299_1059 Depth=1
	v_ffbh_u32_e32 v41, v41
	v_min_u32_e32 v43, 32, v41
	v_subrev_nc_u32_e32 v41, 28, v43
	v_lshlrev_b64 v[41:42], v41, v[0:1]
	v_sub_nc_u32_e32 v42, 29, v43
	v_and_b32_e32 v41, 7, v41
; %bb.2070:                             ;   in Loop: Header=BB299_1059 Depth=1
	s_or_b32 exec_lo, exec_lo, s20
	v_lshlrev_b32_e32 v0, 8, v0
	v_lshl_add_u32 v42, v42, 10, 0x2000
	v_lshlrev_b32_e32 v41, 7, v41
	v_and_b32_e32 v0, 0x8000, v0
	v_and_b32_e32 v42, 0xfc00, v42
	v_or3_b32 v41, v0, v42, v41
.LBB299_2071:                           ;   in Loop: Header=BB299_1059 Depth=1
	s_or_b32 exec_lo, exec_lo, s18
.LBB299_2072:                           ;   in Loop: Header=BB299_1059 Depth=1
	s_or_b32 exec_lo, exec_lo, s15
.LBB299_2073:                           ;   in Loop: Header=BB299_1059 Depth=1
	s_or_b32 exec_lo, exec_lo, s13
	s_mov_b32 s13, exec_lo
	v_cmpx_lt_u32_e32 0xffffff, v9
	s_cbranch_execz .LBB299_2081
; %bb.2074:                             ;   in Loop: Header=BB299_1059 Depth=1
	v_lshrrev_b32_e32 v0, 24, v9
	v_bfrev_b32_e32 v40, 1
	s_mov_b32 s15, exec_lo
	v_cmpx_ne_u32_e32 0x80, v0
	s_cbranch_execz .LBB299_2080
; %bb.2075:                             ;   in Loop: Header=BB299_1059 Depth=1
	v_and_b32_e32 v43, 0x7f, v0
	v_mov_b32_e32 v40, 0x7c010000
	s_mov_b32 s18, exec_lo
	v_cmpx_ne_u32_e32 0x7f, v43
	s_cbranch_execz .LBB299_2079
; %bb.2076:                             ;   in Loop: Header=BB299_1059 Depth=1
	v_and_b32_e32 v40, 7, v0
	v_lshrrev_b32_e32 v42, 3, v43
	s_mov_b32 s20, exec_lo
	v_cmpx_gt_u32_e32 8, v43
; %bb.2077:                             ;   in Loop: Header=BB299_1059 Depth=1
	v_ffbh_u32_e32 v40, v40
	v_min_u32_e32 v40, 32, v40
	v_subrev_nc_u32_e32 v42, 28, v40
	v_lshlrev_b64 v[43:44], v42, v[0:1]
	v_sub_nc_u32_e32 v42, 29, v40
	v_and_b32_e32 v40, 7, v43
; %bb.2078:                             ;   in Loop: Header=BB299_1059 Depth=1
	s_or_b32 exec_lo, exec_lo, s20
	v_lshlrev_b32_e32 v0, 8, v0
	v_lshl_add_u32 v42, v42, 10, 0x2000
	v_lshlrev_b32_e32 v40, 23, v40
	v_and_or_b32 v0, 0x8000, v0, v42
	v_lshl_or_b32 v40, v0, 16, v40
.LBB299_2079:                           ;   in Loop: Header=BB299_1059 Depth=1
	s_or_b32 exec_lo, exec_lo, s18
.LBB299_2080:                           ;   in Loop: Header=BB299_1059 Depth=1
	s_or_b32 exec_lo, exec_lo, s15
.LBB299_2081:                           ;   in Loop: Header=BB299_1059 Depth=1
	s_or_b32 exec_lo, exec_lo, s13
	v_mov_b32_e32 v0, v10
	v_cmp_ne_u16_sdwa s5, v10, v1 src0_sel:BYTE_0 src1_sel:DWORD
	v_mov_b32_e32 v42, 0
	v_mov_b32_e32 v43, 0
	s_and_saveexec_b32 s13, s5
	s_cbranch_execz .LBB299_2089
; %bb.2082:                             ;   in Loop: Header=BB299_1059 Depth=1
	v_cmp_ne_u16_sdwa s5, v10, v16 src0_sel:BYTE_0 src1_sel:DWORD
	v_mov_b32_e32 v43, 0x8000
	s_and_saveexec_b32 s15, s5
	s_cbranch_execz .LBB299_2088
; %bb.2083:                             ;   in Loop: Header=BB299_1059 Depth=1
	v_and_b32_e32 v45, 0x7f, v10
	v_mov_b32_e32 v43, 0x7c01
	s_mov_b32 s18, exec_lo
	v_cmpx_ne_u32_e32 0x7f, v45
	s_cbranch_execz .LBB299_2087
; %bb.2084:                             ;   in Loop: Header=BB299_1059 Depth=1
	v_and_b32_e32 v43, 7, v10
	v_lshrrev_b32_e32 v44, 3, v45
	s_mov_b32 s20, exec_lo
	v_cmpx_gt_u32_e32 8, v45
; %bb.2085:                             ;   in Loop: Header=BB299_1059 Depth=1
	v_ffbh_u32_e32 v43, v43
	v_min_u32_e32 v45, 32, v43
	v_subrev_nc_u32_e32 v43, 28, v45
	v_lshlrev_b64 v[43:44], v43, v[0:1]
	v_sub_nc_u32_e32 v44, 29, v45
	v_and_b32_e32 v43, 7, v43
; %bb.2086:                             ;   in Loop: Header=BB299_1059 Depth=1
	s_or_b32 exec_lo, exec_lo, s20
	v_lshlrev_b32_e32 v45, 8, v10
	v_lshl_add_u32 v44, v44, 10, 0x2000
	v_lshlrev_b32_e32 v43, 7, v43
	v_and_b32_e32 v45, 0x8000, v45
	v_and_b32_e32 v44, 0xfc00, v44
	v_or3_b32 v43, v45, v44, v43
.LBB299_2087:                           ;   in Loop: Header=BB299_1059 Depth=1
	s_or_b32 exec_lo, exec_lo, s18
.LBB299_2088:                           ;   in Loop: Header=BB299_1059 Depth=1
	s_or_b32 exec_lo, exec_lo, s15
.LBB299_2089:                           ;   in Loop: Header=BB299_1059 Depth=1
	s_or_b32 exec_lo, exec_lo, s13
	v_lshrrev_b16 v0, 8, v0
	v_mov_b32_e32 v44, 0
	s_mov_b32 s13, exec_lo
	v_cmpx_ne_u16_e32 0, v0
	s_cbranch_execz .LBB299_2097
; %bb.2090:                             ;   in Loop: Header=BB299_1059 Depth=1
	v_bfrev_b32_e32 v44, 1
	s_mov_b32 s15, exec_lo
	v_cmpx_ne_u16_e32 0x80, v0
	s_cbranch_execz .LBB299_2096
; %bb.2091:                             ;   in Loop: Header=BB299_1059 Depth=1
	v_and_b32_sdwa v46, v0, v17 dst_sel:DWORD dst_unused:UNUSED_PAD src0_sel:WORD_0 src1_sel:DWORD
	v_mov_b32_e32 v44, 0x7c010000
	s_mov_b32 s18, exec_lo
	v_cmpx_ne_u32_e32 0x7f, v46
	s_cbranch_execz .LBB299_2095
; %bb.2092:                             ;   in Loop: Header=BB299_1059 Depth=1
	v_and_b32_sdwa v44, v0, v38 dst_sel:DWORD dst_unused:UNUSED_PAD src0_sel:WORD_0 src1_sel:DWORD
	v_lshrrev_b32_e32 v45, 3, v46
	s_mov_b32 s20, exec_lo
	v_cmpx_gt_u32_e32 8, v46
; %bb.2093:                             ;   in Loop: Header=BB299_1059 Depth=1
	v_ffbh_u32_e32 v44, v44
	v_min_u32_e32 v46, 32, v44
	v_subrev_nc_u32_e32 v44, 28, v46
	v_lshlrev_b64 v[44:45], v44, v[0:1]
	v_sub_nc_u32_e32 v45, 29, v46
	v_and_b32_e32 v44, 7, v44
; %bb.2094:                             ;   in Loop: Header=BB299_1059 Depth=1
	s_or_b32 exec_lo, exec_lo, s20
	v_lshlrev_b32_sdwa v0, v39, v0 dst_sel:DWORD dst_unused:UNUSED_PAD src0_sel:DWORD src1_sel:WORD_0
	v_lshl_add_u32 v45, v45, 10, 0x2000
	v_lshlrev_b32_e32 v44, 23, v44
	v_and_or_b32 v0, 0x8000, v0, v45
	v_lshl_or_b32 v44, v0, 16, v44
.LBB299_2095:                           ;   in Loop: Header=BB299_1059 Depth=1
	s_or_b32 exec_lo, exec_lo, s18
.LBB299_2096:                           ;   in Loop: Header=BB299_1059 Depth=1
	s_or_b32 exec_lo, exec_lo, s15
.LBB299_2097:                           ;   in Loop: Header=BB299_1059 Depth=1
	s_or_b32 exec_lo, exec_lo, s13
	v_lshrrev_b32_e32 v0, 16, v10
	v_cmp_ne_u16_sdwa s5, v0, v1 src0_sel:BYTE_0 src1_sel:DWORD
	s_and_saveexec_b32 s13, s5
	s_cbranch_execz .LBB299_2105
; %bb.2098:                             ;   in Loop: Header=BB299_1059 Depth=1
	v_cmp_ne_u16_sdwa s5, v0, v16 src0_sel:BYTE_0 src1_sel:DWORD
	v_mov_b32_e32 v42, 0x8000
	s_and_saveexec_b32 s15, s5
	s_cbranch_execz .LBB299_2104
; %bb.2099:                             ;   in Loop: Header=BB299_1059 Depth=1
	v_bfe_u32 v46, v10, 16, 7
	v_mov_b32_e32 v42, 0x7c01
	s_mov_b32 s18, exec_lo
	v_cmpx_ne_u32_e32 0x7f, v46
	s_cbranch_execz .LBB299_2103
; %bb.2100:                             ;   in Loop: Header=BB299_1059 Depth=1
	v_and_b32_e32 v42, 7, v0
	v_lshrrev_b32_e32 v45, 3, v46
	s_mov_b32 s20, exec_lo
	v_cmpx_gt_u32_e32 8, v46
; %bb.2101:                             ;   in Loop: Header=BB299_1059 Depth=1
	v_ffbh_u32_e32 v42, v42
	v_min_u32_e32 v42, 32, v42
	v_subrev_nc_u32_e32 v45, 28, v42
	v_lshlrev_b64 v[46:47], v45, v[0:1]
	v_sub_nc_u32_e32 v45, 29, v42
	v_and_b32_e32 v42, 7, v46
; %bb.2102:                             ;   in Loop: Header=BB299_1059 Depth=1
	s_or_b32 exec_lo, exec_lo, s20
	v_lshlrev_b32_e32 v0, 8, v0
	v_lshl_add_u32 v45, v45, 10, 0x2000
	v_lshlrev_b32_e32 v42, 7, v42
	v_and_b32_e32 v0, 0x8000, v0
	v_and_b32_e32 v45, 0xfc00, v45
	v_or3_b32 v42, v0, v45, v42
.LBB299_2103:                           ;   in Loop: Header=BB299_1059 Depth=1
	s_or_b32 exec_lo, exec_lo, s18
.LBB299_2104:                           ;   in Loop: Header=BB299_1059 Depth=1
	s_or_b32 exec_lo, exec_lo, s15
.LBB299_2105:                           ;   in Loop: Header=BB299_1059 Depth=1
	s_or_b32 exec_lo, exec_lo, s13
	v_cmp_lt_u64_e64 s5, s[8:9], v[9:10]
	v_mov_b32_e32 v9, 0
	s_and_saveexec_b32 s13, s5
	s_cbranch_execz .LBB299_2113
; %bb.2106:                             ;   in Loop: Header=BB299_1059 Depth=1
	v_lshrrev_b32_e32 v0, 24, v10
	v_bfrev_b32_e32 v9, 1
	s_mov_b32 s15, exec_lo
	v_cmpx_ne_u32_e32 0x80, v0
	s_cbranch_execz .LBB299_2112
; %bb.2107:                             ;   in Loop: Header=BB299_1059 Depth=1
	v_and_b32_e32 v45, 0x7f, v0
	v_mov_b32_e32 v9, 0x7c010000
	s_mov_b32 s18, exec_lo
	v_cmpx_ne_u32_e32 0x7f, v45
	s_cbranch_execz .LBB299_2111
; %bb.2108:                             ;   in Loop: Header=BB299_1059 Depth=1
	v_and_b32_e32 v9, 7, v0
	v_lshrrev_b32_e32 v10, 3, v45
	s_mov_b32 s20, exec_lo
	v_cmpx_gt_u32_e32 8, v45
; %bb.2109:                             ;   in Loop: Header=BB299_1059 Depth=1
	v_ffbh_u32_e32 v9, v9
	v_min_u32_e32 v45, 32, v9
	v_subrev_nc_u32_e32 v9, 28, v45
	v_lshlrev_b64 v[9:10], v9, v[0:1]
	v_sub_nc_u32_e32 v10, 29, v45
	v_and_b32_e32 v9, 7, v9
; %bb.2110:                             ;   in Loop: Header=BB299_1059 Depth=1
	s_or_b32 exec_lo, exec_lo, s20
	v_lshlrev_b32_e32 v0, 8, v0
	v_lshl_add_u32 v10, v10, 10, 0x2000
	v_lshlrev_b32_e32 v9, 23, v9
	v_and_or_b32 v0, 0x8000, v0, v10
	v_lshl_or_b32 v9, v0, 16, v9
.LBB299_2111:                           ;   in Loop: Header=BB299_1059 Depth=1
	s_or_b32 exec_lo, exec_lo, s18
.LBB299_2112:                           ;   in Loop: Header=BB299_1059 Depth=1
	s_or_b32 exec_lo, exec_lo, s15
.LBB299_2113:                           ;   in Loop: Header=BB299_1059 Depth=1
	s_or_b32 exec_lo, exec_lo, s13
	v_or_b32_e32 v0, v40, v41
	s_waitcnt vmcnt(0) lgkmcnt(0)
	v_fma_mixlo_f16 v10, v117, v40, 0 op_sel:[0,1,0] op_sel_hi:[0,1,0]
	v_or_b32_e32 v119, v118, v119
	v_fma_mixlo_f16 v40, v117, v118, 0 op_sel:[0,1,0] op_sel_hi:[0,1,0]
	v_or_b32_e32 v41, v44, v43
	v_fma_mixlo_f16 v0, v117, v0, 0 op_sel_hi:[0,1,0]
	v_or_b32_e32 v42, v9, v42
	v_lshlrev_b32_e32 v118, 16, v10
	v_lshlrev_b32_e32 v43, 16, v40
	v_fma_mixlo_f16 v10, v117, v119, 0 op_sel_hi:[0,1,0]
	v_and_b32_e32 v40, 0xffff, v0
	v_fma_mixlo_f16 v0, v117, v44, 0 op_sel:[0,1,0] op_sel_hi:[0,1,0]
	v_fma_mixlo_f16 v119, v117, v41, 0 op_sel_hi:[0,1,0]
	v_fma_mixlo_f16 v9, v117, v9, 0 op_sel:[0,1,0] op_sel_hi:[0,1,0]
	v_fma_mixlo_f16 v117, v117, v42, 0 op_sel_hi:[0,1,0]
	v_and_b32_e32 v45, 0xffff, v10
	v_lshlrev_b32_e32 v41, 16, v0
	v_and_b32_e32 v44, 0xffff, v119
	v_lshlrev_b32_e32 v119, 16, v9
	v_and_b32_e32 v42, 0xffff, v117
	v_or_b32_e32 v0, v118, v40
	v_or_b32_e32 v117, v43, v45
	;; [unrolled: 1-line block ×4, first 2 shown]
	s_and_saveexec_b32 s5, vcc_lo
	s_cbranch_execz .LBB299_1058
; %bb.2114:                             ;   in Loop: Header=BB299_1059 Depth=1
	v_cmp_lt_i32_e32 vcc_lo, v48, v35
	v_cndmask_b32_e32 v0, 0, v45, vcc_lo
	v_cmp_lt_i32_e32 vcc_lo, v83, v35
	v_cndmask_b32_e32 v9, 0, v43, vcc_lo
	v_cmp_lt_i32_e32 vcc_lo, v82, v35
	v_or_b32_e32 v117, v0, v9
	v_cndmask_b32_e32 v10, 0, v40, vcc_lo
	v_cmp_lt_i32_e32 vcc_lo, v81, v35
	v_cndmask_b32_e32 v48, 0, v118, vcc_lo
	v_cmp_lt_i32_e32 vcc_lo, v80, v35
	v_or_b32_e32 v0, v10, v48
	;; [unrolled: 5-line block ×3, first 2 shown]
	v_cndmask_b32_e32 v70, 0, v42, vcc_lo
	v_cmp_lt_i32_e32 vcc_lo, v14, v35
	v_cndmask_b32_e32 v81, 0, v119, vcc_lo
	v_or_b32_e32 v9, v70, v81
	s_branch .LBB299_1058
.LBB299_2115:
	s_or_b32 exec_lo, exec_lo, s12
	v_mov_b32_e32 v0, s16
	v_mov_b32_e32 v1, s17
.LBB299_2116:
	s_or_b32 exec_lo, exec_lo, s7
	v_lshlrev_b64 v[0:1], 2, v[0:1]
	s_getpc_b64 s[8:9]
	s_add_u32 s8, s8, llvm.amdgcn.dynlds.offset.table@rel32@lo+4
	s_addc_u32 s9, s9, llvm.amdgcn.dynlds.offset.table@rel32@hi+12
	s_waitcnt lgkmcnt(0)
	s_waitcnt_vscnt null, 0x0
	s_barrier
	buffer_gl0_inv
	ds_bpermute_b32 v2, v18, v54
	v_add_co_u32 v0, vcc_lo, s8, v0
	v_add_co_ci_u32_e64 v1, null, s9, v1, vcc_lo
	ds_bpermute_b32 v3, v18, v52
	ds_bpermute_b32 v4, v18, v51
	;; [unrolled: 1-line block ×3, first 2 shown]
	global_load_dword v16, v[0:1], off
	ds_bpermute_b32 v0, v18, v53
	ds_bpermute_b32 v1, v18, v55
	;; [unrolled: 1-line block ×12, first 2 shown]
	v_lshrrev_b32_e32 v18, 1, v32
	v_lshlrev_b32_e32 v22, 10, v62
	v_and_b32_e32 v32, 0x3c1, v59
	s_waitcnt lgkmcnt(15)
	v_add_f32_e32 v13, v54, v2
	s_waitcnt lgkmcnt(14)
	v_add_f32_e32 v12, v52, v3
	;; [unrolled: 2-line block ×4, first 2 shown]
	s_mov_b32 s5, exec_lo
	s_waitcnt lgkmcnt(11)
	v_add_f32_e32 v15, v53, v0
	s_waitcnt lgkmcnt(10)
	v_add_f32_e32 v14, v55, v1
	;; [unrolled: 2-line block ×12, first 2 shown]
	s_waitcnt vmcnt(0)
	v_lshl_add_u32 v17, v18, 2, v16
	v_cmpx_eq_u32_e32 64, v32
	s_cbranch_execz .LBB299_2118
; %bb.2117:
	v_add_nc_u32_e32 v19, v17, v22
	v_add_nc_u32_e32 v20, 0xfffff800, v19
	v_add_nc_u32_e32 v21, 0xfffff840, v19
	v_add_nc_u32_e32 v23, 0xfffff880, v19
	v_add_nc_u32_e32 v24, 0xfffff8c0, v19
	v_add_nc_u32_e32 v25, 0xfffff900, v19
	v_add_nc_u32_e32 v26, 0xfffff940, v19
	ds_write_b32 v20, v15
	ds_write_b32 v21, v14
	ds_write_b32 v23, v13
	ds_write_b32 v24, v12
	ds_write_b32 v25, v11
	ds_write_b32 v26, v10
	v_add_nc_u32_e32 v20, 0xfffff980, v19
	v_add_nc_u32_e32 v21, 0xfffff9c0, v19
	;; [unrolled: 1-line block ×5, first 2 shown]
	ds_write_b32 v20, v9
	ds_write_b32 v21, v8
	;; [unrolled: 1-line block ×5, first 2 shown]
	v_add_nc_u32_e32 v20, 0xfffffac0, v19
	v_add_nc_u32_e32 v21, 0xfffffb00, v19
	;; [unrolled: 1-line block ×5, first 2 shown]
	ds_write_b32 v20, v4
	ds_write_b32 v21, v3
	;; [unrolled: 1-line block ×5, first 2 shown]
.LBB299_2118:
	s_or_b32 exec_lo, exec_lo, s5
	v_lshlrev_b32_e32 v18, 2, v18
	v_cmp_eq_u32_e32 vcc_lo, 0, v60
	s_waitcnt lgkmcnt(0)
	s_barrier
	buffer_gl0_inv
	v_add3_u32 v16, v16, v22, v18
	s_and_saveexec_b32 s5, s4
	s_cbranch_execz .LBB299_2137
; %bb.2119:
	s_and_saveexec_b32 s4, vcc_lo
	s_cbranch_execnz .LBB299_2161
; %bb.2120:
	s_or_b32 exec_lo, exec_lo, s4
	s_and_saveexec_b32 s4, vcc_lo
	s_cbranch_execnz .LBB299_2162
.LBB299_2121:
	s_or_b32 exec_lo, exec_lo, s4
	s_and_saveexec_b32 s4, vcc_lo
	s_cbranch_execnz .LBB299_2163
.LBB299_2122:
	s_or_b32 exec_lo, exec_lo, s4
	s_and_saveexec_b32 s4, vcc_lo
	s_cbranch_execnz .LBB299_2164
.LBB299_2123:
	s_or_b32 exec_lo, exec_lo, s4
	s_and_saveexec_b32 s4, vcc_lo
	s_cbranch_execnz .LBB299_2165
.LBB299_2124:
	s_or_b32 exec_lo, exec_lo, s4
	s_and_saveexec_b32 s4, vcc_lo
	s_cbranch_execnz .LBB299_2166
.LBB299_2125:
	s_or_b32 exec_lo, exec_lo, s4
	s_and_saveexec_b32 s4, vcc_lo
	s_cbranch_execnz .LBB299_2167
.LBB299_2126:
	s_or_b32 exec_lo, exec_lo, s4
	s_and_saveexec_b32 s4, vcc_lo
	s_cbranch_execnz .LBB299_2168
.LBB299_2127:
	s_or_b32 exec_lo, exec_lo, s4
	s_and_saveexec_b32 s4, vcc_lo
	s_cbranch_execnz .LBB299_2169
.LBB299_2128:
	s_or_b32 exec_lo, exec_lo, s4
	s_and_saveexec_b32 s4, vcc_lo
	s_cbranch_execnz .LBB299_2170
.LBB299_2129:
	s_or_b32 exec_lo, exec_lo, s4
	s_and_saveexec_b32 s4, vcc_lo
	s_cbranch_execnz .LBB299_2171
.LBB299_2130:
	s_or_b32 exec_lo, exec_lo, s4
	s_and_saveexec_b32 s4, vcc_lo
	s_cbranch_execnz .LBB299_2172
.LBB299_2131:
	s_or_b32 exec_lo, exec_lo, s4
	s_and_saveexec_b32 s4, vcc_lo
	s_cbranch_execnz .LBB299_2173
.LBB299_2132:
	s_or_b32 exec_lo, exec_lo, s4
	s_and_saveexec_b32 s4, vcc_lo
	s_cbranch_execnz .LBB299_2174
.LBB299_2133:
	s_or_b32 exec_lo, exec_lo, s4
	s_and_saveexec_b32 s4, vcc_lo
	s_cbranch_execnz .LBB299_2175
.LBB299_2134:
	s_or_b32 exec_lo, exec_lo, s4
	s_and_saveexec_b32 s4, vcc_lo
	s_cbranch_execz .LBB299_2136
.LBB299_2135:
	ds_read_b32 v18, v16 offset:960
	s_waitcnt lgkmcnt(0)
	v_add_f32_e32 v0, v18, v0
.LBB299_2136:
	s_or_b32 exec_lo, exec_lo, s4
.LBB299_2137:
	s_or_b32 exec_lo, exec_lo, s5
	v_and_b32_e32 v18, 0x3e1, v59
	s_mov_b32 s5, exec_lo
	s_barrier
	buffer_gl0_inv
	v_cmpx_eq_u32_e32 32, v18
	s_cbranch_execz .LBB299_2139
; %bb.2138:
	ds_write2_b32 v17, v15, v14 offset1:16
	ds_write2_b32 v17, v13, v12 offset0:32 offset1:48
	ds_write2_b32 v17, v11, v10 offset0:64 offset1:80
	;; [unrolled: 1-line block ×7, first 2 shown]
.LBB299_2139:
	s_or_b32 exec_lo, exec_lo, s5
	s_mov_b32 s5, exec_lo
	s_waitcnt lgkmcnt(0)
	s_barrier
	buffer_gl0_inv
	v_cmpx_gt_u32_e32 32, v59
	s_cbranch_execz .LBB299_2158
; %bb.2140:
	s_and_saveexec_b32 s4, vcc_lo
	s_cbranch_execnz .LBB299_2176
; %bb.2141:
	s_or_b32 exec_lo, exec_lo, s4
	s_and_saveexec_b32 s4, vcc_lo
	s_cbranch_execnz .LBB299_2177
.LBB299_2142:
	s_or_b32 exec_lo, exec_lo, s4
	s_and_saveexec_b32 s4, vcc_lo
	s_cbranch_execnz .LBB299_2178
.LBB299_2143:
	s_or_b32 exec_lo, exec_lo, s4
	s_and_saveexec_b32 s4, vcc_lo
	s_cbranch_execnz .LBB299_2179
.LBB299_2144:
	s_or_b32 exec_lo, exec_lo, s4
	s_and_saveexec_b32 s4, vcc_lo
	s_cbranch_execnz .LBB299_2180
.LBB299_2145:
	s_or_b32 exec_lo, exec_lo, s4
	s_and_saveexec_b32 s4, vcc_lo
	s_cbranch_execnz .LBB299_2181
.LBB299_2146:
	s_or_b32 exec_lo, exec_lo, s4
	s_and_saveexec_b32 s4, vcc_lo
	s_cbranch_execnz .LBB299_2182
.LBB299_2147:
	s_or_b32 exec_lo, exec_lo, s4
	s_and_saveexec_b32 s4, vcc_lo
	s_cbranch_execnz .LBB299_2183
.LBB299_2148:
	s_or_b32 exec_lo, exec_lo, s4
	s_and_saveexec_b32 s4, vcc_lo
	s_cbranch_execnz .LBB299_2184
.LBB299_2149:
	s_or_b32 exec_lo, exec_lo, s4
	s_and_saveexec_b32 s4, vcc_lo
	s_cbranch_execnz .LBB299_2185
.LBB299_2150:
	s_or_b32 exec_lo, exec_lo, s4
	s_and_saveexec_b32 s4, vcc_lo
	s_cbranch_execnz .LBB299_2186
.LBB299_2151:
	s_or_b32 exec_lo, exec_lo, s4
	s_and_saveexec_b32 s4, vcc_lo
	s_cbranch_execnz .LBB299_2187
.LBB299_2152:
	s_or_b32 exec_lo, exec_lo, s4
	s_and_saveexec_b32 s4, vcc_lo
	s_cbranch_execnz .LBB299_2188
.LBB299_2153:
	s_or_b32 exec_lo, exec_lo, s4
	s_and_saveexec_b32 s4, vcc_lo
	s_cbranch_execnz .LBB299_2189
.LBB299_2154:
	s_or_b32 exec_lo, exec_lo, s4
	s_and_saveexec_b32 s4, vcc_lo
	s_cbranch_execnz .LBB299_2190
.LBB299_2155:
	s_or_b32 exec_lo, exec_lo, s4
	s_and_saveexec_b32 s4, vcc_lo
	s_cbranch_execz .LBB299_2157
.LBB299_2156:
	ds_read_b32 v16, v16 offset:960
	s_waitcnt lgkmcnt(0)
	v_add_f32_e32 v0, v16, v0
.LBB299_2157:
	s_or_b32 exec_lo, exec_lo, s4
.LBB299_2158:
	s_or_b32 exec_lo, exec_lo, s5
	v_cmp_eq_u32_e32 vcc_lo, 0, v18
	s_barrier
	buffer_gl0_inv
	s_and_b32 exec_lo, exec_lo, vcc_lo
	s_cbranch_execz .LBB299_2160
; %bb.2159:
	s_lshl_b32 s4, s6, 8
	s_mul_i32 s6, s10, s11
	s_ashr_i32 s5, s4, 31
	s_ashr_i32 s7, s6, 31
	s_lshl_b64 s[4:5], s[4:5], 1
	s_lshl_b64 s[6:7], s[6:7], 1
	v_add_co_u32 v16, vcc_lo, v57, s4
	v_add_co_ci_u32_e64 v17, null, s5, v56, vcc_lo
	s_lshl_b32 s4, s14, 8
	v_add_co_u32 v16, vcc_lo, v16, s6
	s_ashr_i32 s5, s4, 31
	v_add_co_ci_u32_e64 v17, null, s7, v17, vcc_lo
	s_lshl_b64 s[4:5], s[4:5], 1
	v_lshlrev_b32_e32 v18, 1, v58
	v_add_co_u32 v16, vcc_lo, v16, s4
	v_add_co_ci_u32_e64 v17, null, s5, v17, vcc_lo
	;;#ASMSTART
	v_cvt_f16_f32 v15, v15;

	;;#ASMEND
	v_add_co_u32 v16, vcc_lo, v16, v18
	v_add_co_ci_u32_e64 v17, null, 0, v17, vcc_lo
	flat_store_short v[16:17], v15
	;;#ASMSTART
	v_cvt_f16_f32 v14, v14;

	;;#ASMEND
	flat_store_short v[16:17], v14 offset:32
	;;#ASMSTART
	v_cvt_f16_f32 v13, v13;

	;;#ASMEND
	flat_store_short v[16:17], v13 offset:64
	;; [unrolled: 5-line block ×15, first 2 shown]
.LBB299_2160:
	s_or_b32 exec_lo, exec_lo, s19
	s_clause 0x2f
	buffer_load_dword v127, off, s[0:3], s32
	buffer_load_dword v126, off, s[0:3], s32 offset:4
	buffer_load_dword v125, off, s[0:3], s32 offset:8
	;; [unrolled: 1-line block ×47, first 2 shown]
	s_waitcnt vmcnt(0) lgkmcnt(0)
	s_setpc_b64 s[30:31]
.LBB299_2161:
	ds_read_b32 v18, v16
	s_waitcnt lgkmcnt(0)
	v_add_f32_e32 v15, v18, v15
	s_or_b32 exec_lo, exec_lo, s4
	s_and_saveexec_b32 s4, vcc_lo
	s_cbranch_execz .LBB299_2121
.LBB299_2162:
	ds_read_b32 v18, v16 offset:64
	s_waitcnt lgkmcnt(0)
	v_add_f32_e32 v14, v18, v14
	s_or_b32 exec_lo, exec_lo, s4
	s_and_saveexec_b32 s4, vcc_lo
	s_cbranch_execz .LBB299_2122
.LBB299_2163:
	ds_read_b32 v18, v16 offset:128
	s_waitcnt lgkmcnt(0)
	v_add_f32_e32 v13, v18, v13
	s_or_b32 exec_lo, exec_lo, s4
	s_and_saveexec_b32 s4, vcc_lo
	s_cbranch_execz .LBB299_2123
.LBB299_2164:
	ds_read_b32 v18, v16 offset:192
	s_waitcnt lgkmcnt(0)
	v_add_f32_e32 v12, v18, v12
	s_or_b32 exec_lo, exec_lo, s4
	s_and_saveexec_b32 s4, vcc_lo
	s_cbranch_execz .LBB299_2124
.LBB299_2165:
	ds_read_b32 v18, v16 offset:256
	s_waitcnt lgkmcnt(0)
	v_add_f32_e32 v11, v18, v11
	s_or_b32 exec_lo, exec_lo, s4
	s_and_saveexec_b32 s4, vcc_lo
	s_cbranch_execz .LBB299_2125
.LBB299_2166:
	ds_read_b32 v18, v16 offset:320
	s_waitcnt lgkmcnt(0)
	v_add_f32_e32 v10, v18, v10
	s_or_b32 exec_lo, exec_lo, s4
	s_and_saveexec_b32 s4, vcc_lo
	s_cbranch_execz .LBB299_2126
.LBB299_2167:
	ds_read_b32 v18, v16 offset:384
	s_waitcnt lgkmcnt(0)
	v_add_f32_e32 v9, v18, v9
	s_or_b32 exec_lo, exec_lo, s4
	s_and_saveexec_b32 s4, vcc_lo
	s_cbranch_execz .LBB299_2127
.LBB299_2168:
	ds_read_b32 v18, v16 offset:448
	s_waitcnt lgkmcnt(0)
	v_add_f32_e32 v8, v18, v8
	s_or_b32 exec_lo, exec_lo, s4
	s_and_saveexec_b32 s4, vcc_lo
	s_cbranch_execz .LBB299_2128
.LBB299_2169:
	ds_read_b32 v18, v16 offset:512
	s_waitcnt lgkmcnt(0)
	v_add_f32_e32 v7, v18, v7
	s_or_b32 exec_lo, exec_lo, s4
	s_and_saveexec_b32 s4, vcc_lo
	s_cbranch_execz .LBB299_2129
.LBB299_2170:
	ds_read_b32 v18, v16 offset:576
	s_waitcnt lgkmcnt(0)
	v_add_f32_e32 v6, v18, v6
	s_or_b32 exec_lo, exec_lo, s4
	s_and_saveexec_b32 s4, vcc_lo
	s_cbranch_execz .LBB299_2130
.LBB299_2171:
	ds_read_b32 v18, v16 offset:640
	s_waitcnt lgkmcnt(0)
	v_add_f32_e32 v5, v18, v5
	s_or_b32 exec_lo, exec_lo, s4
	s_and_saveexec_b32 s4, vcc_lo
	s_cbranch_execz .LBB299_2131
.LBB299_2172:
	ds_read_b32 v18, v16 offset:704
	s_waitcnt lgkmcnt(0)
	v_add_f32_e32 v4, v18, v4
	s_or_b32 exec_lo, exec_lo, s4
	s_and_saveexec_b32 s4, vcc_lo
	s_cbranch_execz .LBB299_2132
.LBB299_2173:
	ds_read_b32 v18, v16 offset:768
	s_waitcnt lgkmcnt(0)
	v_add_f32_e32 v3, v18, v3
	s_or_b32 exec_lo, exec_lo, s4
	s_and_saveexec_b32 s4, vcc_lo
	s_cbranch_execz .LBB299_2133
.LBB299_2174:
	ds_read_b32 v18, v16 offset:832
	s_waitcnt lgkmcnt(0)
	v_add_f32_e32 v2, v18, v2
	s_or_b32 exec_lo, exec_lo, s4
	s_and_saveexec_b32 s4, vcc_lo
	s_cbranch_execz .LBB299_2134
.LBB299_2175:
	ds_read_b32 v18, v16 offset:896
	s_waitcnt lgkmcnt(0)
	v_add_f32_e32 v1, v18, v1
	s_or_b32 exec_lo, exec_lo, s4
	s_and_saveexec_b32 s4, vcc_lo
	s_cbranch_execnz .LBB299_2135
	s_branch .LBB299_2136
.LBB299_2176:
	ds_read_b32 v17, v16
	s_waitcnt lgkmcnt(0)
	v_add_f32_e32 v15, v17, v15
	s_or_b32 exec_lo, exec_lo, s4
	s_and_saveexec_b32 s4, vcc_lo
	s_cbranch_execz .LBB299_2142
.LBB299_2177:
	ds_read_b32 v17, v16 offset:64
	s_waitcnt lgkmcnt(0)
	v_add_f32_e32 v14, v17, v14
	s_or_b32 exec_lo, exec_lo, s4
	s_and_saveexec_b32 s4, vcc_lo
	s_cbranch_execz .LBB299_2143
.LBB299_2178:
	ds_read_b32 v17, v16 offset:128
	s_waitcnt lgkmcnt(0)
	v_add_f32_e32 v13, v17, v13
	s_or_b32 exec_lo, exec_lo, s4
	s_and_saveexec_b32 s4, vcc_lo
	s_cbranch_execz .LBB299_2144
.LBB299_2179:
	ds_read_b32 v17, v16 offset:192
	s_waitcnt lgkmcnt(0)
	v_add_f32_e32 v12, v17, v12
	s_or_b32 exec_lo, exec_lo, s4
	s_and_saveexec_b32 s4, vcc_lo
	s_cbranch_execz .LBB299_2145
.LBB299_2180:
	ds_read_b32 v17, v16 offset:256
	s_waitcnt lgkmcnt(0)
	v_add_f32_e32 v11, v17, v11
	s_or_b32 exec_lo, exec_lo, s4
	s_and_saveexec_b32 s4, vcc_lo
	s_cbranch_execz .LBB299_2146
.LBB299_2181:
	ds_read_b32 v17, v16 offset:320
	s_waitcnt lgkmcnt(0)
	v_add_f32_e32 v10, v17, v10
	s_or_b32 exec_lo, exec_lo, s4
	s_and_saveexec_b32 s4, vcc_lo
	s_cbranch_execz .LBB299_2147
.LBB299_2182:
	ds_read_b32 v17, v16 offset:384
	s_waitcnt lgkmcnt(0)
	v_add_f32_e32 v9, v17, v9
	s_or_b32 exec_lo, exec_lo, s4
	s_and_saveexec_b32 s4, vcc_lo
	s_cbranch_execz .LBB299_2148
.LBB299_2183:
	ds_read_b32 v17, v16 offset:448
	s_waitcnt lgkmcnt(0)
	v_add_f32_e32 v8, v17, v8
	s_or_b32 exec_lo, exec_lo, s4
	s_and_saveexec_b32 s4, vcc_lo
	s_cbranch_execz .LBB299_2149
.LBB299_2184:
	ds_read_b32 v17, v16 offset:512
	s_waitcnt lgkmcnt(0)
	v_add_f32_e32 v7, v17, v7
	s_or_b32 exec_lo, exec_lo, s4
	s_and_saveexec_b32 s4, vcc_lo
	s_cbranch_execz .LBB299_2150
.LBB299_2185:
	ds_read_b32 v17, v16 offset:576
	s_waitcnt lgkmcnt(0)
	v_add_f32_e32 v6, v17, v6
	s_or_b32 exec_lo, exec_lo, s4
	s_and_saveexec_b32 s4, vcc_lo
	s_cbranch_execz .LBB299_2151
.LBB299_2186:
	ds_read_b32 v17, v16 offset:640
	s_waitcnt lgkmcnt(0)
	v_add_f32_e32 v5, v17, v5
	s_or_b32 exec_lo, exec_lo, s4
	s_and_saveexec_b32 s4, vcc_lo
	s_cbranch_execz .LBB299_2152
.LBB299_2187:
	ds_read_b32 v17, v16 offset:704
	s_waitcnt lgkmcnt(0)
	v_add_f32_e32 v4, v17, v4
	s_or_b32 exec_lo, exec_lo, s4
	s_and_saveexec_b32 s4, vcc_lo
	s_cbranch_execz .LBB299_2153
.LBB299_2188:
	ds_read_b32 v17, v16 offset:768
	s_waitcnt lgkmcnt(0)
	v_add_f32_e32 v3, v17, v3
	s_or_b32 exec_lo, exec_lo, s4
	s_and_saveexec_b32 s4, vcc_lo
	s_cbranch_execz .LBB299_2154
.LBB299_2189:
	ds_read_b32 v17, v16 offset:832
	s_waitcnt lgkmcnt(0)
	v_add_f32_e32 v2, v17, v2
	s_or_b32 exec_lo, exec_lo, s4
	s_and_saveexec_b32 s4, vcc_lo
	s_cbranch_execz .LBB299_2155
.LBB299_2190:
	ds_read_b32 v17, v16 offset:896
	s_waitcnt lgkmcnt(0)
	v_add_f32_e32 v1, v17, v1
	s_or_b32 exec_lo, exec_lo, s4
	s_and_saveexec_b32 s4, vcc_lo
	s_cbranch_execnz .LBB299_2156
	s_branch .LBB299_2157
.Lfunc_end299:
	.size	_ZN4vllm22paged_attention_kernelIthLi256ELi16ELi128ELNS_18Fp8KVCacheDataTypeE1ELb0ELi512EEEvPfS2_PT_PKS3_PKT0_S9_ifPKiSB_iPKfiiiSD_SD_iiiii, .Lfunc_end299-_ZN4vllm22paged_attention_kernelIthLi256ELi16ELi128ELNS_18Fp8KVCacheDataTypeE1ELb0ELi512EEEvPfS2_PT_PKS3_PKT0_S9_ifPKiSB_iPKfiiiSD_SD_iiiii
                                        ; -- End function
	.set .L_ZN4vllm22paged_attention_kernelIthLi256ELi16ELi128ELNS_18Fp8KVCacheDataTypeE1ELb0ELi512EEEvPfS2_PT_PKS3_PKT0_S9_ifPKiSB_iPKfiiiSD_SD_iiiii.num_vgpr, 128
	.set .L_ZN4vllm22paged_attention_kernelIthLi256ELi16ELi128ELNS_18Fp8KVCacheDataTypeE1ELb0ELi512EEEvPfS2_PT_PKS3_PKT0_S9_ifPKiSB_iPKfiiiSD_SD_iiiii.num_agpr, 0
	.set .L_ZN4vllm22paged_attention_kernelIthLi256ELi16ELi128ELNS_18Fp8KVCacheDataTypeE1ELb0ELi512EEEvPfS2_PT_PKS3_PKT0_S9_ifPKiSB_iPKfiiiSD_SD_iiiii.numbered_sgpr, 33
	.set .L_ZN4vllm22paged_attention_kernelIthLi256ELi16ELi128ELNS_18Fp8KVCacheDataTypeE1ELb0ELi512EEEvPfS2_PT_PKS3_PKT0_S9_ifPKiSB_iPKfiiiSD_SD_iiiii.num_named_barrier, 0
	.set .L_ZN4vllm22paged_attention_kernelIthLi256ELi16ELi128ELNS_18Fp8KVCacheDataTypeE1ELb0ELi512EEEvPfS2_PT_PKS3_PKT0_S9_ifPKiSB_iPKfiiiSD_SD_iiiii.private_seg_size, 464
	.set .L_ZN4vllm22paged_attention_kernelIthLi256ELi16ELi128ELNS_18Fp8KVCacheDataTypeE1ELb0ELi512EEEvPfS2_PT_PKS3_PKT0_S9_ifPKiSB_iPKfiiiSD_SD_iiiii.uses_vcc, 1
	.set .L_ZN4vllm22paged_attention_kernelIthLi256ELi16ELi128ELNS_18Fp8KVCacheDataTypeE1ELb0ELi512EEEvPfS2_PT_PKS3_PKT0_S9_ifPKiSB_iPKfiiiSD_SD_iiiii.uses_flat_scratch, 0
	.set .L_ZN4vllm22paged_attention_kernelIthLi256ELi16ELi128ELNS_18Fp8KVCacheDataTypeE1ELb0ELi512EEEvPfS2_PT_PKS3_PKT0_S9_ifPKiSB_iPKfiiiSD_SD_iiiii.has_dyn_sized_stack, 0
	.set .L_ZN4vllm22paged_attention_kernelIthLi256ELi16ELi128ELNS_18Fp8KVCacheDataTypeE1ELb0ELi512EEEvPfS2_PT_PKS3_PKT0_S9_ifPKiSB_iPKfiiiSD_SD_iiiii.has_recursion, 0
	.set .L_ZN4vllm22paged_attention_kernelIthLi256ELi16ELi128ELNS_18Fp8KVCacheDataTypeE1ELb0ELi512EEEvPfS2_PT_PKS3_PKT0_S9_ifPKiSB_iPKfiiiSD_SD_iiiii.has_indirect_call, 0
	.section	.AMDGPU.csdata,"",@progbits
; Function info:
; codeLenInByte = 73632
; TotalNumSgprs: 35
; NumVgprs: 128
; ScratchSize: 464
; MemoryBound: 0
	.section	.text._ZN4vllm25paged_attention_v2_kernelIthLi256ELi16ELi128ELNS_18Fp8KVCacheDataTypeE1ELb0ELi512EEEvPfS2_PT_PKS3_PKT0_S9_ifPKiSB_iPKfiiiSD_SD_iiiii,"axG",@progbits,_ZN4vllm25paged_attention_v2_kernelIthLi256ELi16ELi128ELNS_18Fp8KVCacheDataTypeE1ELb0ELi512EEEvPfS2_PT_PKS3_PKT0_S9_ifPKiSB_iPKfiiiSD_SD_iiiii,comdat
	.protected	_ZN4vllm25paged_attention_v2_kernelIthLi256ELi16ELi128ELNS_18Fp8KVCacheDataTypeE1ELb0ELi512EEEvPfS2_PT_PKS3_PKT0_S9_ifPKiSB_iPKfiiiSD_SD_iiiii ; -- Begin function _ZN4vllm25paged_attention_v2_kernelIthLi256ELi16ELi128ELNS_18Fp8KVCacheDataTypeE1ELb0ELi512EEEvPfS2_PT_PKS3_PKT0_S9_ifPKiSB_iPKfiiiSD_SD_iiiii
	.globl	_ZN4vllm25paged_attention_v2_kernelIthLi256ELi16ELi128ELNS_18Fp8KVCacheDataTypeE1ELb0ELi512EEEvPfS2_PT_PKS3_PKT0_S9_ifPKiSB_iPKfiiiSD_SD_iiiii
	.p2align	8
	.type	_ZN4vllm25paged_attention_v2_kernelIthLi256ELi16ELi128ELNS_18Fp8KVCacheDataTypeE1ELb0ELi512EEEvPfS2_PT_PKS3_PKT0_S9_ifPKiSB_iPKfiiiSD_SD_iiiii,@function
_ZN4vllm25paged_attention_v2_kernelIthLi256ELi16ELi128ELNS_18Fp8KVCacheDataTypeE1ELb0ELi512EEEvPfS2_PT_PKS3_PKT0_S9_ifPKiSB_iPKfiiiSD_SD_iiiii: ; @_ZN4vllm25paged_attention_v2_kernelIthLi256ELi16ELi128ELNS_18Fp8KVCacheDataTypeE1ELb0ELi512EEEvPfS2_PT_PKS3_PKT0_S9_ifPKiSB_iPKfiiiSD_SD_iiiii
; %bb.0:
	s_clause 0x5
	s_load_dwordx8 s[24:31], s[4:5], 0x0
	s_load_dwordx8 s[16:23], s[4:5], 0x20
	s_load_dwordx2 s[10:11], s[4:5], 0x40
	s_load_dwordx2 s[34:35], s[4:5], 0x50
	s_load_dword s13, s[4:5], 0x48
	s_load_dwordx8 s[36:43], s[4:5], 0x58
	s_add_u32 s0, s0, s9
	s_addc_u32 s1, s1, 0
	v_mov_b32_e32 v31, v0
	s_mov_b32 s14, s8
	s_add_u32 s8, s4, 0x90
	s_addc_u32 s9, s5, 0
	s_getpc_b64 s[4:5]
	s_add_u32 s4, s4, _ZN4vllm22paged_attention_kernelIthLi256ELi16ELi128ELNS_18Fp8KVCacheDataTypeE1ELb0ELi512EEEvPfS2_PT_PKS3_PKT0_S9_ifPKiSB_iPKfiiiSD_SD_iiiii@rel32@lo+4
	s_addc_u32 s5, s5, _ZN4vllm22paged_attention_kernelIthLi256ELi16ELi128ELNS_18Fp8KVCacheDataTypeE1ELb0ELi512EEEvPfS2_PT_PKS3_PKT0_S9_ifPKiSB_iPKfiiiSD_SD_iiiii@rel32@hi+12
	s_mov_b32 s12, s6
	s_mov_b32 s15, 44
	;; [unrolled: 1-line block ×3, first 2 shown]
	s_waitcnt lgkmcnt(0)
	v_mov_b32_e32 v0, s24
	v_mov_b32_e32 v1, s25
	;; [unrolled: 1-line block ×28, first 2 shown]
	s_mov_b32 s13, s7
	s_swappc_b64 s[30:31], s[4:5]
	s_endpgm
	.section	.rodata,"a",@progbits
	.p2align	6, 0x0
	.amdhsa_kernel _ZN4vllm25paged_attention_v2_kernelIthLi256ELi16ELi128ELNS_18Fp8KVCacheDataTypeE1ELb0ELi512EEEvPfS2_PT_PKS3_PKT0_S9_ifPKiSB_iPKfiiiSD_SD_iiiii
		.amdhsa_group_segment_fixed_size 544
		.amdhsa_private_segment_fixed_size 464
		.amdhsa_kernarg_size 400
		.amdhsa_user_sgpr_count 6
		.amdhsa_user_sgpr_private_segment_buffer 1
		.amdhsa_user_sgpr_dispatch_ptr 0
		.amdhsa_user_sgpr_queue_ptr 0
		.amdhsa_user_sgpr_kernarg_segment_ptr 1
		.amdhsa_user_sgpr_dispatch_id 0
		.amdhsa_user_sgpr_flat_scratch_init 0
		.amdhsa_user_sgpr_private_segment_size 0
		.amdhsa_wavefront_size32 1
		.amdhsa_uses_dynamic_stack 0
		.amdhsa_system_sgpr_private_segment_wavefront_offset 1
		.amdhsa_system_sgpr_workgroup_id_x 1
		.amdhsa_system_sgpr_workgroup_id_y 1
		.amdhsa_system_sgpr_workgroup_id_z 1
		.amdhsa_system_sgpr_workgroup_info 0
		.amdhsa_system_vgpr_workitem_id 0
		.amdhsa_next_free_vgpr 128
		.amdhsa_next_free_sgpr 44
		.amdhsa_reserve_vcc 1
		.amdhsa_reserve_flat_scratch 0
		.amdhsa_float_round_mode_32 0
		.amdhsa_float_round_mode_16_64 0
		.amdhsa_float_denorm_mode_32 3
		.amdhsa_float_denorm_mode_16_64 3
		.amdhsa_dx10_clamp 1
		.amdhsa_ieee_mode 1
		.amdhsa_fp16_overflow 0
		.amdhsa_workgroup_processor_mode 1
		.amdhsa_memory_ordered 1
		.amdhsa_forward_progress 1
		.amdhsa_shared_vgpr_count 0
		.amdhsa_exception_fp_ieee_invalid_op 0
		.amdhsa_exception_fp_denorm_src 0
		.amdhsa_exception_fp_ieee_div_zero 0
		.amdhsa_exception_fp_ieee_overflow 0
		.amdhsa_exception_fp_ieee_underflow 0
		.amdhsa_exception_fp_ieee_inexact 0
		.amdhsa_exception_int_div_zero 0
	.end_amdhsa_kernel
	.section	.text._ZN4vllm25paged_attention_v2_kernelIthLi256ELi16ELi128ELNS_18Fp8KVCacheDataTypeE1ELb0ELi512EEEvPfS2_PT_PKS3_PKT0_S9_ifPKiSB_iPKfiiiSD_SD_iiiii,"axG",@progbits,_ZN4vllm25paged_attention_v2_kernelIthLi256ELi16ELi128ELNS_18Fp8KVCacheDataTypeE1ELb0ELi512EEEvPfS2_PT_PKS3_PKT0_S9_ifPKiSB_iPKfiiiSD_SD_iiiii,comdat
.Lfunc_end300:
	.size	_ZN4vllm25paged_attention_v2_kernelIthLi256ELi16ELi128ELNS_18Fp8KVCacheDataTypeE1ELb0ELi512EEEvPfS2_PT_PKS3_PKT0_S9_ifPKiSB_iPKfiiiSD_SD_iiiii, .Lfunc_end300-_ZN4vllm25paged_attention_v2_kernelIthLi256ELi16ELi128ELNS_18Fp8KVCacheDataTypeE1ELb0ELi512EEEvPfS2_PT_PKS3_PKT0_S9_ifPKiSB_iPKfiiiSD_SD_iiiii
                                        ; -- End function
	.set _ZN4vllm25paged_attention_v2_kernelIthLi256ELi16ELi128ELNS_18Fp8KVCacheDataTypeE1ELb0ELi512EEEvPfS2_PT_PKS3_PKT0_S9_ifPKiSB_iPKfiiiSD_SD_iiiii.num_vgpr, max(32, .L_ZN4vllm22paged_attention_kernelIthLi256ELi16ELi128ELNS_18Fp8KVCacheDataTypeE1ELb0ELi512EEEvPfS2_PT_PKS3_PKT0_S9_ifPKiSB_iPKfiiiSD_SD_iiiii.num_vgpr)
	.set _ZN4vllm25paged_attention_v2_kernelIthLi256ELi16ELi128ELNS_18Fp8KVCacheDataTypeE1ELb0ELi512EEEvPfS2_PT_PKS3_PKT0_S9_ifPKiSB_iPKfiiiSD_SD_iiiii.num_agpr, max(0, .L_ZN4vllm22paged_attention_kernelIthLi256ELi16ELi128ELNS_18Fp8KVCacheDataTypeE1ELb0ELi512EEEvPfS2_PT_PKS3_PKT0_S9_ifPKiSB_iPKfiiiSD_SD_iiiii.num_agpr)
	.set _ZN4vllm25paged_attention_v2_kernelIthLi256ELi16ELi128ELNS_18Fp8KVCacheDataTypeE1ELb0ELi512EEEvPfS2_PT_PKS3_PKT0_S9_ifPKiSB_iPKfiiiSD_SD_iiiii.numbered_sgpr, max(44, .L_ZN4vllm22paged_attention_kernelIthLi256ELi16ELi128ELNS_18Fp8KVCacheDataTypeE1ELb0ELi512EEEvPfS2_PT_PKS3_PKT0_S9_ifPKiSB_iPKfiiiSD_SD_iiiii.numbered_sgpr)
	.set _ZN4vllm25paged_attention_v2_kernelIthLi256ELi16ELi128ELNS_18Fp8KVCacheDataTypeE1ELb0ELi512EEEvPfS2_PT_PKS3_PKT0_S9_ifPKiSB_iPKfiiiSD_SD_iiiii.num_named_barrier, max(0, .L_ZN4vllm22paged_attention_kernelIthLi256ELi16ELi128ELNS_18Fp8KVCacheDataTypeE1ELb0ELi512EEEvPfS2_PT_PKS3_PKT0_S9_ifPKiSB_iPKfiiiSD_SD_iiiii.num_named_barrier)
	.set _ZN4vllm25paged_attention_v2_kernelIthLi256ELi16ELi128ELNS_18Fp8KVCacheDataTypeE1ELb0ELi512EEEvPfS2_PT_PKS3_PKT0_S9_ifPKiSB_iPKfiiiSD_SD_iiiii.private_seg_size, 0+max(.L_ZN4vllm22paged_attention_kernelIthLi256ELi16ELi128ELNS_18Fp8KVCacheDataTypeE1ELb0ELi512EEEvPfS2_PT_PKS3_PKT0_S9_ifPKiSB_iPKfiiiSD_SD_iiiii.private_seg_size)
	.set _ZN4vllm25paged_attention_v2_kernelIthLi256ELi16ELi128ELNS_18Fp8KVCacheDataTypeE1ELb0ELi512EEEvPfS2_PT_PKS3_PKT0_S9_ifPKiSB_iPKfiiiSD_SD_iiiii.uses_vcc, or(1, .L_ZN4vllm22paged_attention_kernelIthLi256ELi16ELi128ELNS_18Fp8KVCacheDataTypeE1ELb0ELi512EEEvPfS2_PT_PKS3_PKT0_S9_ifPKiSB_iPKfiiiSD_SD_iiiii.uses_vcc)
	.set _ZN4vllm25paged_attention_v2_kernelIthLi256ELi16ELi128ELNS_18Fp8KVCacheDataTypeE1ELb0ELi512EEEvPfS2_PT_PKS3_PKT0_S9_ifPKiSB_iPKfiiiSD_SD_iiiii.uses_flat_scratch, or(0, .L_ZN4vllm22paged_attention_kernelIthLi256ELi16ELi128ELNS_18Fp8KVCacheDataTypeE1ELb0ELi512EEEvPfS2_PT_PKS3_PKT0_S9_ifPKiSB_iPKfiiiSD_SD_iiiii.uses_flat_scratch)
	.set _ZN4vllm25paged_attention_v2_kernelIthLi256ELi16ELi128ELNS_18Fp8KVCacheDataTypeE1ELb0ELi512EEEvPfS2_PT_PKS3_PKT0_S9_ifPKiSB_iPKfiiiSD_SD_iiiii.has_dyn_sized_stack, or(0, .L_ZN4vllm22paged_attention_kernelIthLi256ELi16ELi128ELNS_18Fp8KVCacheDataTypeE1ELb0ELi512EEEvPfS2_PT_PKS3_PKT0_S9_ifPKiSB_iPKfiiiSD_SD_iiiii.has_dyn_sized_stack)
	.set _ZN4vllm25paged_attention_v2_kernelIthLi256ELi16ELi128ELNS_18Fp8KVCacheDataTypeE1ELb0ELi512EEEvPfS2_PT_PKS3_PKT0_S9_ifPKiSB_iPKfiiiSD_SD_iiiii.has_recursion, or(0, .L_ZN4vllm22paged_attention_kernelIthLi256ELi16ELi128ELNS_18Fp8KVCacheDataTypeE1ELb0ELi512EEEvPfS2_PT_PKS3_PKT0_S9_ifPKiSB_iPKfiiiSD_SD_iiiii.has_recursion)
	.set _ZN4vllm25paged_attention_v2_kernelIthLi256ELi16ELi128ELNS_18Fp8KVCacheDataTypeE1ELb0ELi512EEEvPfS2_PT_PKS3_PKT0_S9_ifPKiSB_iPKfiiiSD_SD_iiiii.has_indirect_call, or(0, .L_ZN4vllm22paged_attention_kernelIthLi256ELi16ELi128ELNS_18Fp8KVCacheDataTypeE1ELb0ELi512EEEvPfS2_PT_PKS3_PKT0_S9_ifPKiSB_iPKfiiiSD_SD_iiiii.has_indirect_call)
	.section	.AMDGPU.csdata,"",@progbits
; Kernel info:
; codeLenInByte = 240
; TotalNumSgprs: 46
; NumVgprs: 128
; ScratchSize: 464
; MemoryBound: 0
; FloatMode: 240
; IeeeMode: 1
; LDSByteSize: 544 bytes/workgroup (compile time only)
; SGPRBlocks: 0
; VGPRBlocks: 15
; NumSGPRsForWavesPerEU: 46
; NumVGPRsForWavesPerEU: 128
; Occupancy: 8
; WaveLimiterHint : 1
; COMPUTE_PGM_RSRC2:SCRATCH_EN: 1
; COMPUTE_PGM_RSRC2:USER_SGPR: 6
; COMPUTE_PGM_RSRC2:TRAP_HANDLER: 0
; COMPUTE_PGM_RSRC2:TGID_X_EN: 1
; COMPUTE_PGM_RSRC2:TGID_Y_EN: 1
; COMPUTE_PGM_RSRC2:TGID_Z_EN: 1
; COMPUTE_PGM_RSRC2:TIDIG_COMP_CNT: 0
	.section	.text._ZN4vllm25paged_attention_v2_kernelIthLi32ELi32ELi128ELNS_18Fp8KVCacheDataTypeE1ELb1ELi512EEEvPfS2_PT_PKS3_PKT0_S9_ifPKiSB_iPKfiiiSD_SD_iiiii,"axG",@progbits,_ZN4vllm25paged_attention_v2_kernelIthLi32ELi32ELi128ELNS_18Fp8KVCacheDataTypeE1ELb1ELi512EEEvPfS2_PT_PKS3_PKT0_S9_ifPKiSB_iPKfiiiSD_SD_iiiii,comdat
	.protected	_ZN4vllm25paged_attention_v2_kernelIthLi32ELi32ELi128ELNS_18Fp8KVCacheDataTypeE1ELb1ELi512EEEvPfS2_PT_PKS3_PKT0_S9_ifPKiSB_iPKfiiiSD_SD_iiiii ; -- Begin function _ZN4vllm25paged_attention_v2_kernelIthLi32ELi32ELi128ELNS_18Fp8KVCacheDataTypeE1ELb1ELi512EEEvPfS2_PT_PKS3_PKT0_S9_ifPKiSB_iPKfiiiSD_SD_iiiii
	.globl	_ZN4vllm25paged_attention_v2_kernelIthLi32ELi32ELi128ELNS_18Fp8KVCacheDataTypeE1ELb1ELi512EEEvPfS2_PT_PKS3_PKT0_S9_ifPKiSB_iPKfiiiSD_SD_iiiii
	.p2align	8
	.type	_ZN4vllm25paged_attention_v2_kernelIthLi32ELi32ELi128ELNS_18Fp8KVCacheDataTypeE1ELb1ELi512EEEvPfS2_PT_PKS3_PKT0_S9_ifPKiSB_iPKfiiiSD_SD_iiiii,@function
_ZN4vllm25paged_attention_v2_kernelIthLi32ELi32ELi128ELNS_18Fp8KVCacheDataTypeE1ELb1ELi512EEEvPfS2_PT_PKS3_PKT0_S9_ifPKiSB_iPKfiiiSD_SD_iiiii: ; @_ZN4vllm25paged_attention_v2_kernelIthLi32ELi32ELi128ELNS_18Fp8KVCacheDataTypeE1ELb1ELi512EEEvPfS2_PT_PKS3_PKT0_S9_ifPKiSB_iPKfiiiSD_SD_iiiii
; %bb.0:
	s_load_dwordx2 s[0:1], s[4:5], 0x40
	s_mov_b32 s30, s7
	s_ashr_i32 s31, s7, 31
	s_lshl_b64 s[2:3], s[30:31], 2
	s_waitcnt lgkmcnt(0)
	s_add_u32 s0, s0, s2
	s_addc_u32 s1, s1, s3
	s_lshl_b32 s40, s8, 9
	s_load_dword s31, s[0:1], 0x0
	s_waitcnt lgkmcnt(0)
	s_cmp_ge_i32 s40, s31
	s_cbranch_scc1 .LBB301_580
; %bb.1:
	s_clause 0x1
	s_load_dword s9, s[4:5], 0x90
	s_load_dwordx2 s[2:3], s[4:5], 0x30
	s_mov_b32 s42, 0
	s_waitcnt lgkmcnt(0)
	s_abs_i32 s10, s9
	s_abs_i32 s0, s2
	v_cvt_f32_u32_e32 v1, s0
	s_sub_i32 s7, 0, s0
	v_rcp_iflag_f32_e32 v1, v1
	v_mul_f32_e32 v1, 0x4f7ffffe, v1
	v_cvt_u32_f32_e32 v1, v1
	v_readfirstlane_b32 s1, v1
	s_mul_i32 s7, s7, s1
	s_mul_hi_u32 s7, s1, s7
	s_add_i32 s1, s1, s7
	s_xor_b32 s7, s9, s2
	s_mul_hi_u32 s1, s10, s1
	s_ashr_i32 s7, s7, 31
	s_mul_i32 s11, s1, s0
	s_sub_i32 s10, s10, s11
	s_add_i32 s11, s1, 1
	s_sub_i32 s12, s10, s0
	s_cmp_ge_u32 s10, s0
	s_cselect_b32 s1, s11, s1
	s_cselect_b32 s10, s12, s10
	s_add_i32 s11, s1, 1
	s_cmp_ge_u32 s10, s0
	s_cselect_b32 s0, s11, s1
	s_abs_i32 s13, s6
	s_xor_b32 s0, s0, s7
	s_sub_i32 s10, s0, s7
	s_load_dwordx2 s[0:1], s[4:5], 0x50
	s_abs_i32 s12, s10
	v_cvt_f32_u32_e32 v1, s12
	s_sub_i32 s11, 0, s12
	v_rcp_iflag_f32_e32 v1, v1
	v_mul_f32_e32 v1, 0x4f7ffffe, v1
	v_cvt_u32_f32_e32 v1, v1
	v_readfirstlane_b32 s7, v1
	s_mul_i32 s11, s11, s7
	s_mul_hi_u32 s11, s7, s11
	s_add_i32 s7, s7, s11
	s_waitcnt lgkmcnt(0)
	s_cmp_eq_u64 s[0:1], 0
	s_mul_hi_u32 s14, s13, s7
	s_cbranch_scc1 .LBB301_3
; %bb.2:
	s_ashr_i32 s7, s6, 31
	s_lshl_b64 s[16:17], s[6:7], 2
	s_add_u32 s0, s0, s16
	s_addc_u32 s1, s1, s17
	s_load_dword s42, s[0:1], 0x0
.LBB301_3:
	s_load_dwordx4 s[16:19], s[4:5], 0x58
	s_ashr_i32 s0, s6, 31
	s_ashr_i32 s1, s10, 31
	s_lshl_b32 s10, s6, 5
	s_mov_b32 s7, exec_lo
	v_cmpx_gt_u32_e32 4, v0
	s_cbranch_execz .LBB301_5
; %bb.4:
	s_load_dwordx2 s[20:21], s[4:5], 0x18
	s_waitcnt lgkmcnt(0)
	s_mul_i32 s22, s16, s30
	v_lshlrev_b32_e32 v5, 4, v0
	s_ashr_i32 s23, s22, 31
	s_lshl_b64 s[22:23], s[22:23], 1
	s_add_u32 s15, s20, s22
	s_addc_u32 s16, s21, s23
	s_ashr_i32 s11, s10, 31
	s_lshl_b64 s[20:21], s[10:11], 1
	s_add_u32 s20, s15, s20
	s_addc_u32 s21, s16, s21
	global_load_dwordx4 v[1:4], v5, s[20:21]
	s_waitcnt vmcnt(0)
	ds_write_b128 v5, v[1:4]
.LBB301_5:
	s_or_b32 exec_lo, exec_lo, s7
	s_load_dwordx4 s[20:23], s[4:5], 0x78
	s_mul_i32 s7, s14, s12
	s_xor_b32 s0, s0, s1
	s_sub_i32 s1, s13, s7
	s_add_i32 s7, s14, 1
	s_sub_i32 s11, s1, s12
	s_cmp_ge_u32 s1, s12
	s_mov_b32 s13, -1
	s_cselect_b32 s7, s7, s14
	s_cselect_b32 s1, s11, s1
	s_add_i32 s11, s7, 1
	s_cmp_ge_u32 s1, s12
                                        ; implicit-def: $sgpr19
	s_cselect_b32 s1, s11, s7
	s_load_dword s7, s[4:5], 0x88
	s_xor_b32 s1, s1, s0
	s_add_i32 s12, s31, -1
	s_sub_i32 s1, s1, s0
	s_abs_i32 s33, s12
	s_waitcnt lgkmcnt(0)
	s_abs_i32 s11, s23
	s_barrier
	v_cvt_f32_u32_e32 v1, s11
	s_sub_i32 s0, 0, s11
	buffer_gl0_inv
	v_rcp_iflag_f32_e32 v1, v1
	v_mul_f32_e32 v1, 0x4f7ffffe, v1
	v_cvt_u32_f32_e32 v1, v1
	v_readfirstlane_b32 s16, v1
	s_mul_i32 s0, s0, s16
	s_mul_hi_u32 s0, s16, s0
	s_add_i32 s16, s16, s0
	s_cmp_lt_i32 s7, 0
	s_mul_hi_u32 s0, s33, s16
	s_cbranch_scc0 .LBB301_7
; %bb.6:
	s_mul_i32 s2, s20, s2
	s_mov_b32 s13, 0
	s_add_i32 s2, s1, s2
	s_mul_i32 s2, s2, s7
	s_sub_i32 s19, 1, s2
.LBB301_7:
	s_load_dwordx2 s[34:35], s[4:5], 0x38
	s_ashr_i32 s2, s12, 31
	s_andn2_b32 vcc_lo, exec_lo, s13
	s_ashr_i32 s23, s23, 31
	s_cbranch_vccnz .LBB301_9
; %bb.8:
	s_mul_i32 s12, s9, s20
	s_add_i32 s12, s12, s6
	s_mul_i32 s7, s12, s7
	s_add_i32 s19, s7, 1
.LBB301_9:
	s_clause 0x5
	s_load_dword s20, s[4:5], 0x48
	s_load_dwordx2 s[38:39], s[4:5], 0x28
	s_load_dwordx4 s[24:27], s[4:5], 0x0
	s_load_dwordx2 s[28:29], s[4:5], 0x10
	s_load_dword s7, s[4:5], 0x98
	s_load_dwordx4 s[12:15], s[4:5], 0x68
	s_mul_i32 s36, s0, s11
	s_xor_b32 s2, s2, s23
	s_sub_i32 s33, s33, s36
	s_add_i32 s41, s0, 1
	v_lshrrev_b32_e32 v13, 5, v0
	v_and_b32_e32 v14, 31, v0
	v_mov_b32_e32 v17, 0xff7fffff
	s_mul_i32 s18, s1, s18
	v_lshl_add_u32 v15, v13, 5, s40
	v_lshlrev_b32_e32 v16, 2, v14
	s_waitcnt lgkmcnt(0)
	s_mul_i32 s36, s20, s30
	s_sub_i32 s20, s33, s11
	s_ashr_i32 s37, s36, 31
	s_cmp_ge_u32 s33, s11
	s_cselect_b32 s0, s41, s0
	s_cselect_b32 s20, s20, s33
	s_add_i32 s33, s0, 1
	s_cmp_ge_u32 s20, s11
	s_cselect_b32 s0, s33, s0
	s_add_i32 s20, s31, 31
	s_lshl_b32 s43, s8, 4
	s_ashr_i32 s33, s20, 31
	v_add_nc_u32_e32 v1, s43, v13
	s_lshr_b32 s33, s33, 27
	s_add_i32 s41, s43, 16
	s_add_i32 s20, s20, s33
	s_xor_b32 s44, s0, s2
	s_ashr_i32 s33, s20, 5
	v_ashrrev_i32_e32 v2, 31, v1
	s_min_i32 s20, s41, s33
	s_sub_i32 s41, s44, s2
	v_cmp_gt_i32_e64 s0, s20, v1
	s_and_saveexec_b32 s44, s0
	s_cbranch_execz .LBB301_273
; %bb.10:
	s_load_dwordx2 s[4:5], s[4:5], 0x20
	s_sub_i32 s45, s41, s21
	s_ashr_i32 s1, s18, 31
	v_lshl_or_b32 v9, v13, 7, v16
	v_lshlrev_b32_e32 v5, 4, v14
	v_subrev_nc_u32_e32 v6, s31, v14
	v_lshlrev_b64 v[7:8], 2, v[1:2]
	v_mov_b32_e32 v4, 0
	v_add_nc_u32_e32 v25, 0x60, v9
	v_cmp_neq_f32_e64 vcc_lo, s42, 0
	v_add_nc_u32_e32 v24, 1, v6
	v_lshl_add_u32 v18, v13, 5, s40
	v_mov_b32_e32 v19, 0xff7fffff
	v_mov_b32_e32 v20, 0x80
	;; [unrolled: 1-line block ×7, first 2 shown]
	s_mov_b32 s47, s17
	s_waitcnt lgkmcnt(0)
	s_add_u32 s2, s4, s18
	s_addc_u32 s1, s5, s1
	s_abs_i32 s46, s22
	v_add_co_u32 v5, s2, s2, v5
	v_cvt_f32_u32_e32 v3, s46
	s_sub_i32 s4, 0, s46
	v_add_co_ci_u32_e64 v6, null, s1, 0, s2
	s_mov_b32 s48, 0
	v_rcp_iflag_f32_e32 v3, v3
	v_mul_f32_e32 v3, 0x4f7ffffe, v3
	v_cvt_u32_f32_e32 v3, v3
	v_mul_lo_u32 v10, s4, v3
	s_lshl_b64 s[4:5], s[36:37], 2
	s_add_u32 s1, s34, s4
	s_addc_u32 s2, s35, s5
	v_add_co_u32 v7, s1, s1, v7
	v_add_co_ci_u32_e64 v8, null, s2, v8, s1
	v_mul_hi_u32 v9, v3, v10
	s_mov_b32 s4, -1
	s_mov_b32 s5, 0xffffff
	v_add_nc_u32_e32 v26, v3, v9
	s_branch .LBB301_16
.LBB301_11:                             ;   in Loop: Header=BB301_16 Depth=1
	s_or_b32 exec_lo, exec_lo, s52
	v_lshlrev_b32_e32 v3, 8, v3
	v_lshl_add_u32 v10, v10, 10, 0x2000
	v_lshlrev_b32_e32 v9, 23, v9
	v_and_or_b32 v3, 0x8000, v3, v10
	v_lshl_or_b32 v9, v3, 16, v9
.LBB301_12:                             ;   in Loop: Header=BB301_16 Depth=1
	s_or_b32 exec_lo, exec_lo, s51
.LBB301_13:                             ;   in Loop: Header=BB301_16 Depth=1
	s_or_b32 exec_lo, exec_lo, s50
.LBB301_14:                             ;   in Loop: Header=BB301_16 Depth=1
	s_or_b32 exec_lo, exec_lo, s49
	ds_read_b128 v[61:64], v4
	v_or_b32_e32 v30, v29, v30
	v_or_b32_e32 v3, v31, v32
	v_fma_mixlo_f16 v10, v28, v31, 0 op_sel:[0,1,0] op_sel_hi:[0,1,0]
	v_or_b32_e32 v31, v35, v34
	v_or_b32_e32 v33, v37, v33
	v_fma_mixlo_f16 v29, v28, v29, 0 op_sel:[0,1,0] op_sel_hi:[0,1,0]
	v_fma_mixlo_f16 v30, v28, v30, 0 op_sel_hi:[0,1,0]
	v_fma_mixlo_f16 v3, v28, v3, 0 op_sel_hi:[0,1,0]
	;; [unrolled: 1-line block ×3, first 2 shown]
	v_fma_mixlo_f16 v32, v28, v35, 0 op_sel:[0,1,0] op_sel_hi:[0,1,0]
	v_fma_mixlo_f16 v34, v28, v37, 0 op_sel:[0,1,0] op_sel_hi:[0,1,0]
	v_fma_mixlo_f16 v33, v28, v33, 0 op_sel_hi:[0,1,0]
	v_and_b32_e32 v29, 0xffff, v29
	v_and_b32_e32 v30, 0xffff, v30
	;; [unrolled: 1-line block ×5, first 2 shown]
	v_or_b32_e32 v45, v46, v45
	v_or_b32_e32 v36, v38, v36
	s_waitcnt lgkmcnt(0)
	v_and_b32_e32 v35, 0xffff, v61
	v_lshrrev_b32_e32 v37, 16, v61
	v_lshrrev_b32_e32 v3, 16, v62
	v_and_b32_e32 v62, 0xffff, v62
	;;#ASMSTART
	v_cvt_f32_f16 v58, v35;
	;;#ASMEND
	;;#ASMSTART
	v_cvt_f32_f16 v59, v37;
	;;#ASMEND
	;; [unrolled: 3-line block ×4, first 2 shown]
	v_and_b32_e32 v29, 0xffff, v63
	v_lshrrev_b32_e32 v30, 16, v63
	v_and_b32_e32 v35, 0xffff, v31
	;;#ASMSTART
	v_cvt_f32_f16 v62, v62;
	;;#ASMEND
	;;#ASMSTART
	v_cvt_f32_f16 v3, v3;
	;;#ASMEND
	;; [unrolled: 3-line block ×7, first 2 shown]
	v_and_b32_e32 v35, 0xffff, v64
	v_lshrrev_b32_e32 v37, 16, v64
	v_and_b32_e32 v63, 0xffff, v33
	v_and_b32_e32 v64, 0xffff, v34
	;;#ASMSTART
	v_cvt_f32_f16 v32, v32;
	;;#ASMEND
	;;#ASMSTART
	v_cvt_f32_f16 v33, v35;
	;;#ASMEND
	;; [unrolled: 3-line block ×5, first 2 shown]
	ds_read_b128 v[63:66], v4 offset:16
	v_or_b32_e32 v39, v41, v39
	v_fma_mixlo_f16 v68, v28, v45, 0 op_sel_hi:[0,1,0]
	v_fma_mixlo_f16 v45, v28, v41, 0 op_sel:[0,1,0] op_sel_hi:[0,1,0]
	v_or_b32_e32 v40, v42, v40
	v_or_b32_e32 v41, v44, v43
	v_fma_mixlo_f16 v38, v28, v38, 0 op_sel:[0,1,0] op_sel_hi:[0,1,0]
	v_fma_mixlo_f16 v36, v28, v36, 0 op_sel_hi:[0,1,0]
	v_fma_mixlo_f16 v39, v28, v39, 0 op_sel_hi:[0,1,0]
	v_fma_mixlo_f16 v42, v28, v42, 0 op_sel:[0,1,0] op_sel_hi:[0,1,0]
	v_fma_mixlo_f16 v40, v28, v40, 0 op_sel_hi:[0,1,0]
	v_fma_mixlo_f16 v43, v28, v41, 0 op_sel_hi:[0,1,0]
	v_fma_mixlo_f16 v44, v28, v44, 0 op_sel:[0,1,0] op_sel_hi:[0,1,0]
	v_and_b32_e32 v36, 0xffff, v36
	v_and_b32_e32 v38, 0xffff, v38
	v_and_b32_e32 v40, 0xffff, v40
	v_or_b32_e32 v47, v50, v47
	v_or_b32_e32 v49, v48, v49
	;; [unrolled: 1-line block ×3, first 2 shown]
	v_fma_mixlo_f16 v46, v28, v46, 0 op_sel:[0,1,0] op_sel_hi:[0,1,0]
	s_waitcnt lgkmcnt(0)
	v_and_b32_e32 v69, 0xffff, v63
	v_lshrrev_b32_e32 v41, 16, v63
	;;#ASMSTART
	v_cvt_f32_f16 v63, v69;
	;;#ASMEND
	v_and_b32_e32 v70, 0xffff, v64
	v_lshrrev_b32_e32 v71, 16, v64
	;;#ASMSTART
	v_cvt_f32_f16 v64, v41;
	;;#ASMEND
	;;#ASMSTART
	v_cvt_f32_f16 v36, v36;
	;;#ASMEND
	;; [unrolled: 3-line block ×3, first 2 shown]
	v_and_b32_e32 v38, 0xffff, v39
	;;#ASMSTART
	v_cvt_f32_f16 v70, v70;
	;;#ASMEND
	;;#ASMSTART
	v_cvt_f32_f16 v41, v71;
	;;#ASMEND
	v_and_b32_e32 v39, 0xffff, v45
	v_and_b32_e32 v45, 0xffff, v65
	v_lshrrev_b32_e32 v73, 16, v65
	;;#ASMSTART
	v_cvt_f32_f16 v65, v38;
	;;#ASMEND
	v_and_b32_e32 v38, 0xffff, v42
	v_and_b32_e32 v42, 0xffff, v43
	v_and_b32_e32 v43, 0xffff, v44
	;;#ASMSTART
	v_cvt_f32_f16 v71, v39;
	;;#ASMEND
	;;#ASMSTART
	v_cvt_f32_f16 v72, v45;
	;;#ASMEND
	;; [unrolled: 3-line block ×4, first 2 shown]
	v_and_b32_e32 v39, 0xffff, v66
	v_lshrrev_b32_e32 v40, 16, v66
	;;#ASMSTART
	v_cvt_f32_f16 v66, v38;
	;;#ASMEND
	;;#ASMSTART
	v_cvt_f32_f16 v75, v39;
	;;#ASMEND
	;; [unrolled: 3-line block ×5, first 2 shown]
	ds_read_b128 v[42:45], v4 offset:32
	v_or_b32_e32 v39, v55, v53
	v_or_b32_e32 v40, v57, v54
	v_mul_f32_e32 v38, v63, v36
	v_or_b32_e32 v11, v12, v11
	v_fma_mixlo_f16 v50, v28, v50, 0 op_sel:[0,1,0] op_sel_hi:[0,1,0]
	v_fma_mixlo_f16 v54, v28, v39, 0 op_sel_hi:[0,1,0]
	v_fma_mixlo_f16 v39, v28, v40, 0 op_sel_hi:[0,1,0]
	v_mul_f32_e32 v40, v64, v69
	v_fma_mixlo_f16 v47, v28, v47, 0 op_sel_hi:[0,1,0]
	v_fma_mixlo_f16 v48, v28, v48, 0 op_sel:[0,1,0] op_sel_hi:[0,1,0]
	v_fma_mixlo_f16 v49, v28, v49, 0 op_sel_hi:[0,1,0]
	v_fma_mixlo_f16 v52, v28, v52, 0 op_sel_hi:[0,1,0]
	v_fma_mixlo_f16 v51, v28, v51, 0 op_sel:[0,1,0] op_sel_hi:[0,1,0]
	v_fma_mixlo_f16 v53, v28, v55, 0 op_sel:[0,1,0] op_sel_hi:[0,1,0]
	;; [unrolled: 1-line block ×3, first 2 shown]
	v_mul_f32_e32 v12, v70, v65
	v_fma_mixlo_f16 v63, v28, v11, 0 op_sel_hi:[0,1,0]
	v_fma_mixlo_f16 v11, v28, v57, 0 op_sel:[0,1,0] op_sel_hi:[0,1,0]
	v_fmac_f32_e32 v38, v58, v60
	s_waitcnt lgkmcnt(0)
	v_and_b32_e32 v57, 0xffff, v42
	v_fmac_f32_e32 v40, v59, v61
	v_lshrrev_b32_e32 v42, 16, v42
	v_and_b32_e32 v58, 0xffff, v68
	v_and_b32_e32 v59, 0xffff, v46
	;; [unrolled: 1-line block ×3, first 2 shown]
	v_lshrrev_b32_e32 v43, 16, v43
	;;#ASMSTART
	v_cvt_f32_f16 v57, v57;
	;;#ASMEND
	;;#ASMSTART
	v_cvt_f32_f16 v46, v42;
	;;#ASMEND
	;; [unrolled: 3-line block ×6, first 2 shown]
	v_and_b32_e32 v42, 0xffff, v47
	v_and_b32_e32 v43, 0xffff, v50
	;; [unrolled: 1-line block ×3, first 2 shown]
	v_lshrrev_b32_e32 v44, 16, v44
	v_fmac_f32_e32 v12, v62, v67
	v_and_b32_e32 v64, 0xffff, v49
	;;#ASMSTART
	v_cvt_f32_f16 v47, v42;
	;;#ASMEND
	;;#ASMSTART
	v_cvt_f32_f16 v49, v43;
	;;#ASMEND
	;; [unrolled: 3-line block ×4, first 2 shown]
	v_and_b32_e32 v42, 0xffff, v48
	v_and_b32_e32 v43, 0xffff, v45
	v_lshrrev_b32_e32 v44, 16, v45
	v_and_b32_e32 v45, 0xffff, v52
	v_and_b32_e32 v67, 0xffff, v51
	;;#ASMSTART
	v_cvt_f32_f16 v64, v64;
	;;#ASMEND
	;;#ASMSTART
	v_cvt_f32_f16 v48, v42;
	;;#ASMEND
	;;#ASMSTART
	v_cvt_f32_f16 v51, v43;
	;;#ASMEND
	;;#ASMSTART
	v_cvt_f32_f16 v52, v44;
	;;#ASMEND
	;;#ASMSTART
	v_cvt_f32_f16 v65, v45;
	;;#ASMEND
	;;#ASMSTART
	v_cvt_f32_f16 v67, v67;
	;;#ASMEND
	ds_read_b128 v[42:45], v4 offset:48
	v_or_b32_e32 v56, v9, v56
	v_fma_mixlo_f16 v9, v28, v9, 0 op_sel:[0,1,0] op_sel_hi:[0,1,0]
	v_mul_f32_e32 v66, v73, v66
	v_fmac_f32_e32 v38, v57, v58
	v_fmac_f32_e32 v40, v46, v59
	v_fma_mixlo_f16 v56, v28, v56, 0 op_sel_hi:[0,1,0]
	v_mul_f32_e32 v28, v41, v71
	v_mul_f32_e32 v41, v72, v74
	v_fmac_f32_e32 v66, v29, v32
	v_and_b32_e32 v29, 0xffff, v63
	v_fmac_f32_e32 v12, v60, v47
	v_fmac_f32_e32 v28, v3, v31
	;; [unrolled: 1-line block ×3, first 2 shown]
	v_and_b32_e32 v30, 0xffff, v55
	v_and_b32_e32 v31, 0xffff, v54
	v_mul_f32_e32 v68, v75, v77
	v_fmac_f32_e32 v28, v61, v49
	v_fmac_f32_e32 v41, v50, v64
	v_and_b32_e32 v32, 0xffff, v53
	s_waitcnt lgkmcnt(0)
	v_and_b32_e32 v3, 0xffff, v42
	v_lshrrev_b32_e32 v10, 16, v42
	;;#ASMSTART
	v_cvt_f32_f16 v3, v3;
	;;#ASMEND
	;;#ASMSTART
	v_cvt_f32_f16 v10, v10;
	;;#ASMEND
	;; [unrolled: 3-line block ×4, first 2 shown]
	v_fmac_f32_e32 v38, v3, v29
	v_fmac_f32_e32 v40, v10, v30
	v_and_b32_e32 v3, 0xffff, v43
	v_lshrrev_b32_e32 v29, 16, v43
	;;#ASMSTART
	v_cvt_f32_f16 v3, v3;
	;;#ASMEND
	;;#ASMSTART
	v_cvt_f32_f16 v10, v29;
	;;#ASMEND
	;; [unrolled: 3-line block ×3, first 2 shown]
	v_fmac_f32_e32 v12, v3, v29
	v_add_f32_e32 v3, v38, v40
	;;#ASMSTART
	v_cvt_f32_f16 v30, v32;
	;;#ASMEND
	v_fmac_f32_e32 v28, v10, v30
	v_and_b32_e32 v10, 0xffff, v44
	v_mul_f32_e32 v69, v76, v78
	v_add_f32_e32 v3, v3, v12
	v_fmac_f32_e32 v68, v33, v35
	v_fmac_f32_e32 v66, v62, v48
	v_lshrrev_b32_e32 v29, 16, v44
	v_and_b32_e32 v30, 0xffff, v39
	v_and_b32_e32 v31, 0xffff, v11
	;;#ASMSTART
	v_cvt_f32_f16 v10, v10;
	;;#ASMEND
	;;#ASMSTART
	v_cvt_f32_f16 v11, v29;
	;;#ASMEND
	;; [unrolled: 3-line block ×3, first 2 shown]
	v_fmac_f32_e32 v41, v10, v12
	v_add_f32_e32 v3, v28, v3
	v_add_nc_u32_e32 v36, v24, v18
	v_fmac_f32_e32 v69, v34, v37
	v_fmac_f32_e32 v68, v51, v65
	;;#ASMSTART
	v_cvt_f32_f16 v29, v31;
	;;#ASMEND
	v_fmac_f32_e32 v66, v11, v29
	v_add_f32_e32 v3, v3, v41
	v_and_b32_e32 v10, 0xffff, v45
	v_lshrrev_b32_e32 v12, 16, v45
	v_cvt_f32_i32_e32 v36, v36
	v_fmac_f32_e32 v69, v52, v67
	v_and_b32_e32 v28, 0xffff, v56
	;;#ASMSTART
	v_cvt_f32_f16 v10, v10;
	;;#ASMEND
	;;#ASMSTART
	v_cvt_f32_f16 v11, v12;
	;;#ASMEND
	;; [unrolled: 3-line block ×3, first 2 shown]
	v_fmac_f32_e32 v68, v10, v12
	v_add_f32_e32 v3, v66, v3
	v_and_b32_e32 v28, 0xffff, v9
	v_mul_f32_e32 v9, s42, v36
	;;#ASMSTART
	v_cvt_f32_f16 v10, v28;
	;;#ASMEND
	v_fmac_f32_e32 v69, v11, v10
	v_add_f32_e32 v3, v3, v68
	v_add_nc_u32_e32 v10, v14, v18
	v_cndmask_b32_e32 v9, 0, v9, vcc_lo
	v_add_f32_e32 v3, v69, v3
	v_cmp_gt_i32_e64 s1, s31, v10
	v_fmac_f32_e32 v9, s3, v3
	v_max_f32_e32 v3, v17, v17
	v_max_f32_e32 v3, v3, v9
	v_cndmask_b32_e64 v9, 0, v9, s1
	v_cndmask_b32_e64 v17, v17, v3, s1
	ds_write_b32 v25, v9
.LBB301_15:                             ;   in Loop: Header=BB301_16 Depth=1
	s_or_b32 exec_lo, exec_lo, s2
	v_add_nc_u32_e32 v27, 4, v27
	v_add_co_u32 v7, s2, v7, 16
	v_add_co_ci_u32_e64 v8, null, 0, v8, s2
	v_cmp_le_i32_e64 s1, s20, v27
	v_add_nc_u32_e32 v18, 0x80, v18
	v_add_nc_u32_e32 v25, 0x200, v25
	s_or_b32 s48, s1, s48
	s_andn2_b32 exec_lo, exec_lo, s48
	s_cbranch_execz .LBB301_272
.LBB301_16:                             ; =>This Inner Loop Header: Depth=1
	v_sub_nc_u32_e32 v3, 0, v18
	v_max_i32_e32 v3, v18, v3
	v_mul_hi_u32 v9, v3, s16
	v_mul_lo_u32 v10, v9, s11
	v_sub_nc_u32_e32 v3, v3, v10
	v_add_nc_u32_e32 v10, 1, v9
	v_subrev_nc_u32_e32 v11, s11, v3
	v_cmp_le_u32_e64 s1, s11, v3
	v_cndmask_b32_e64 v9, v9, v10, s1
	v_cndmask_b32_e64 v3, v3, v11, s1
	v_ashrrev_i32_e32 v10, 31, v18
	v_add_nc_u32_e32 v11, 1, v9
	v_cmp_le_u32_e64 s1, s11, v3
	v_xor_b32_e32 v10, s23, v10
	v_cndmask_b32_e64 v3, v9, v11, s1
	v_xor_b32_e32 v3, v3, v10
	v_sub_nc_u32_e32 v3, v3, v10
	v_add_nc_u32_e32 v9, s19, v3
	v_cmp_ge_i32_e64 s2, s45, v3
	v_sub_nc_u32_e32 v10, 0, v9
	v_max_i32_e32 v10, v9, v10
	v_ashrrev_i32_e32 v9, 31, v9
	v_mul_hi_u32 v11, v10, v26
	v_mul_lo_u32 v11, v11, s46
	v_sub_nc_u32_e32 v10, v10, v11
	v_subrev_nc_u32_e32 v11, s46, v10
	v_cmp_le_u32_e64 s1, s46, v10
	v_cndmask_b32_e64 v10, v10, v11, s1
	v_subrev_nc_u32_e32 v11, s46, v10
	v_cmp_le_u32_e64 s1, s46, v10
	v_cndmask_b32_e64 v10, v10, v11, s1
	v_xor_b32_e32 v10, v10, v9
	v_sub_nc_u32_e32 v9, v10, v9
	v_cmp_ne_u32_e64 s1, 0, v9
	s_and_b32 s1, s1, s2
	s_and_saveexec_b32 s2, s1
	s_xor_b32 s1, exec_lo, s2
; %bb.17:                               ;   in Loop: Header=BB301_16 Depth=1
	ds_write_b32 v25, v19
; %bb.18:                               ;   in Loop: Header=BB301_16 Depth=1
	s_andn2_saveexec_b32 s2, s1
	s_cbranch_execz .LBB301_15
; %bb.19:                               ;   in Loop: Header=BB301_16 Depth=1
	global_load_dword v3, v[7:8], off
	v_mov_b32_e32 v29, 0
	v_mov_b32_e32 v30, 0
	global_load_dword v28, v29, s[12:13]
	s_waitcnt vmcnt(1)
	v_mad_i64_i32 v[9:10], null, v3, s47, v[5:6]
	global_load_dwordx2 v[11:12], v[9:10], off
	s_waitcnt vmcnt(0)
	v_cmp_ne_u16_sdwa s1, v11, v4 src0_sel:BYTE_0 src1_sel:DWORD
	s_and_saveexec_b32 s49, s1
	s_cbranch_execz .LBB301_27
; %bb.20:                               ;   in Loop: Header=BB301_16 Depth=1
	v_cmp_ne_u16_sdwa s1, v11, v20 src0_sel:BYTE_0 src1_sel:DWORD
	v_mov_b32_e32 v30, 0x8000
	s_and_saveexec_b32 s50, s1
	s_cbranch_execz .LBB301_26
; %bb.21:                               ;   in Loop: Header=BB301_16 Depth=1
	v_and_b32_e32 v31, 0x7f, v11
	v_mov_b32_e32 v30, 0x7c01
	s_mov_b32 s51, exec_lo
	v_cmpx_ne_u32_e32 0x7f, v31
	s_cbranch_execz .LBB301_25
; %bb.22:                               ;   in Loop: Header=BB301_16 Depth=1
	v_and_b32_e32 v3, 7, v11
	v_lshrrev_b32_e32 v30, 3, v31
	s_mov_b32 s52, exec_lo
	v_cmpx_gt_u32_e32 8, v31
; %bb.23:                               ;   in Loop: Header=BB301_16 Depth=1
	v_ffbh_u32_e32 v3, v3
	v_min_u32_e32 v3, 32, v3
	v_subrev_nc_u32_e32 v30, 28, v3
	v_lshlrev_b64 v[31:32], v30, v[11:12]
	v_sub_nc_u32_e32 v30, 29, v3
	v_and_b32_e32 v3, 7, v31
; %bb.24:                               ;   in Loop: Header=BB301_16 Depth=1
	s_or_b32 exec_lo, exec_lo, s52
	v_lshlrev_b32_e32 v31, 8, v11
	v_lshl_add_u32 v30, v30, 10, 0x2000
	v_lshlrev_b32_e32 v3, 7, v3
	v_and_b32_e32 v31, 0x8000, v31
	v_and_b32_e32 v30, 0xfc00, v30
	v_or3_b32 v30, v31, v30, v3
.LBB301_25:                             ;   in Loop: Header=BB301_16 Depth=1
	s_or_b32 exec_lo, exec_lo, s51
.LBB301_26:                             ;   in Loop: Header=BB301_16 Depth=1
	s_or_b32 exec_lo, exec_lo, s50
.LBB301_27:                             ;   in Loop: Header=BB301_16 Depth=1
	s_or_b32 exec_lo, exec_lo, s49
	v_lshrrev_b16 v3, 8, v11
	s_mov_b32 s49, exec_lo
	v_cmpx_ne_u16_e32 0, v3
	s_cbranch_execz .LBB301_35
; %bb.28:                               ;   in Loop: Header=BB301_16 Depth=1
	v_bfrev_b32_e32 v29, 1
	s_mov_b32 s50, exec_lo
	v_cmpx_ne_u16_e32 0x80, v3
	s_cbranch_execz .LBB301_34
; %bb.29:                               ;   in Loop: Header=BB301_16 Depth=1
	v_and_b32_sdwa v32, v3, v21 dst_sel:DWORD dst_unused:UNUSED_PAD src0_sel:WORD_0 src1_sel:DWORD
	v_mov_b32_e32 v29, 0x7c010000
	s_mov_b32 s51, exec_lo
	v_cmpx_ne_u32_e32 0x7f, v32
	s_cbranch_execz .LBB301_33
; %bb.30:                               ;   in Loop: Header=BB301_16 Depth=1
	v_and_b32_sdwa v29, v3, v22 dst_sel:DWORD dst_unused:UNUSED_PAD src0_sel:WORD_0 src1_sel:DWORD
	v_lshrrev_b32_e32 v31, 3, v32
	s_mov_b32 s52, exec_lo
	v_cmpx_gt_u32_e32 8, v32
; %bb.31:                               ;   in Loop: Header=BB301_16 Depth=1
	v_ffbh_u32_e32 v29, v29
	v_min_u32_e32 v29, 32, v29
	v_subrev_nc_u32_e32 v31, 28, v29
	v_lshlrev_b64 v[32:33], v31, v[3:4]
	v_sub_nc_u32_e32 v31, 29, v29
	v_and_b32_e32 v29, 7, v32
; %bb.32:                               ;   in Loop: Header=BB301_16 Depth=1
	s_or_b32 exec_lo, exec_lo, s52
	v_lshlrev_b32_sdwa v3, v23, v3 dst_sel:DWORD dst_unused:UNUSED_PAD src0_sel:DWORD src1_sel:WORD_0
	v_lshl_add_u32 v31, v31, 10, 0x2000
	v_lshlrev_b32_e32 v29, 23, v29
	v_and_or_b32 v3, 0x8000, v3, v31
	v_lshl_or_b32 v29, v3, 16, v29
.LBB301_33:                             ;   in Loop: Header=BB301_16 Depth=1
	s_or_b32 exec_lo, exec_lo, s51
.LBB301_34:                             ;   in Loop: Header=BB301_16 Depth=1
	s_or_b32 exec_lo, exec_lo, s50
.LBB301_35:                             ;   in Loop: Header=BB301_16 Depth=1
	s_or_b32 exec_lo, exec_lo, s49
	v_lshrrev_b32_e32 v3, 16, v11
	v_mov_b32_e32 v31, 0
	v_mov_b32_e32 v32, 0
	v_cmp_ne_u16_sdwa s1, v3, v4 src0_sel:BYTE_0 src1_sel:DWORD
	s_and_saveexec_b32 s49, s1
	s_cbranch_execz .LBB301_43
; %bb.36:                               ;   in Loop: Header=BB301_16 Depth=1
	v_cmp_ne_u16_sdwa s1, v3, v20 src0_sel:BYTE_0 src1_sel:DWORD
	v_mov_b32_e32 v32, 0x8000
	s_and_saveexec_b32 s50, s1
	s_cbranch_execz .LBB301_42
; %bb.37:                               ;   in Loop: Header=BB301_16 Depth=1
	v_bfe_u32 v34, v11, 16, 7
	v_mov_b32_e32 v32, 0x7c01
	s_mov_b32 s51, exec_lo
	v_cmpx_ne_u32_e32 0x7f, v34
	s_cbranch_execz .LBB301_41
; %bb.38:                               ;   in Loop: Header=BB301_16 Depth=1
	v_and_b32_e32 v32, 7, v3
	v_lshrrev_b32_e32 v33, 3, v34
	s_mov_b32 s52, exec_lo
	v_cmpx_gt_u32_e32 8, v34
; %bb.39:                               ;   in Loop: Header=BB301_16 Depth=1
	v_ffbh_u32_e32 v32, v32
	v_min_u32_e32 v34, 32, v32
	v_subrev_nc_u32_e32 v32, 28, v34
	v_lshlrev_b64 v[32:33], v32, v[3:4]
	v_sub_nc_u32_e32 v33, 29, v34
	v_and_b32_e32 v32, 7, v32
; %bb.40:                               ;   in Loop: Header=BB301_16 Depth=1
	s_or_b32 exec_lo, exec_lo, s52
	v_lshlrev_b32_e32 v3, 8, v3
	v_lshl_add_u32 v33, v33, 10, 0x2000
	v_lshlrev_b32_e32 v32, 7, v32
	v_and_b32_e32 v3, 0x8000, v3
	v_and_b32_e32 v33, 0xfc00, v33
	v_or3_b32 v32, v3, v33, v32
.LBB301_41:                             ;   in Loop: Header=BB301_16 Depth=1
	s_or_b32 exec_lo, exec_lo, s51
.LBB301_42:                             ;   in Loop: Header=BB301_16 Depth=1
	s_or_b32 exec_lo, exec_lo, s50
.LBB301_43:                             ;   in Loop: Header=BB301_16 Depth=1
	s_or_b32 exec_lo, exec_lo, s49
	s_mov_b32 s49, exec_lo
	v_cmpx_lt_u32_e32 0xffffff, v11
	s_cbranch_execz .LBB301_51
; %bb.44:                               ;   in Loop: Header=BB301_16 Depth=1
	v_lshrrev_b32_e32 v3, 24, v11
	v_bfrev_b32_e32 v31, 1
	s_mov_b32 s50, exec_lo
	v_cmpx_ne_u32_e32 0x80, v3
	s_cbranch_execz .LBB301_50
; %bb.45:                               ;   in Loop: Header=BB301_16 Depth=1
	v_and_b32_e32 v34, 0x7f, v3
	v_mov_b32_e32 v31, 0x7c010000
	s_mov_b32 s51, exec_lo
	v_cmpx_ne_u32_e32 0x7f, v34
	s_cbranch_execz .LBB301_49
; %bb.46:                               ;   in Loop: Header=BB301_16 Depth=1
	v_and_b32_e32 v31, 7, v3
	v_lshrrev_b32_e32 v33, 3, v34
	s_mov_b32 s52, exec_lo
	v_cmpx_gt_u32_e32 8, v34
; %bb.47:                               ;   in Loop: Header=BB301_16 Depth=1
	v_ffbh_u32_e32 v31, v31
	v_min_u32_e32 v31, 32, v31
	v_subrev_nc_u32_e32 v33, 28, v31
	v_lshlrev_b64 v[34:35], v33, v[3:4]
	v_sub_nc_u32_e32 v33, 29, v31
	v_and_b32_e32 v31, 7, v34
; %bb.48:                               ;   in Loop: Header=BB301_16 Depth=1
	s_or_b32 exec_lo, exec_lo, s52
	v_lshlrev_b32_e32 v3, 8, v3
	v_lshl_add_u32 v33, v33, 10, 0x2000
	v_lshlrev_b32_e32 v31, 23, v31
	v_and_or_b32 v3, 0x8000, v3, v33
	v_lshl_or_b32 v31, v3, 16, v31
.LBB301_49:                             ;   in Loop: Header=BB301_16 Depth=1
	s_or_b32 exec_lo, exec_lo, s51
.LBB301_50:                             ;   in Loop: Header=BB301_16 Depth=1
	s_or_b32 exec_lo, exec_lo, s50
.LBB301_51:                             ;   in Loop: Header=BB301_16 Depth=1
	s_or_b32 exec_lo, exec_lo, s49
	v_mov_b32_e32 v3, v12
	v_cmp_ne_u16_sdwa s1, v12, v4 src0_sel:BYTE_0 src1_sel:DWORD
	v_mov_b32_e32 v33, 0
	v_mov_b32_e32 v34, 0
	s_and_saveexec_b32 s49, s1
	s_cbranch_execz .LBB301_59
; %bb.52:                               ;   in Loop: Header=BB301_16 Depth=1
	v_cmp_ne_u16_sdwa s1, v12, v20 src0_sel:BYTE_0 src1_sel:DWORD
	v_mov_b32_e32 v34, 0x8000
	s_and_saveexec_b32 s50, s1
	s_cbranch_execz .LBB301_58
; %bb.53:                               ;   in Loop: Header=BB301_16 Depth=1
	v_and_b32_e32 v36, 0x7f, v12
	v_mov_b32_e32 v34, 0x7c01
	s_mov_b32 s51, exec_lo
	v_cmpx_ne_u32_e32 0x7f, v36
	s_cbranch_execz .LBB301_57
; %bb.54:                               ;   in Loop: Header=BB301_16 Depth=1
	v_and_b32_e32 v34, 7, v12
	v_lshrrev_b32_e32 v35, 3, v36
	s_mov_b32 s52, exec_lo
	v_cmpx_gt_u32_e32 8, v36
; %bb.55:                               ;   in Loop: Header=BB301_16 Depth=1
	v_ffbh_u32_e32 v34, v34
	v_min_u32_e32 v36, 32, v34
	v_subrev_nc_u32_e32 v34, 28, v36
	v_lshlrev_b64 v[34:35], v34, v[3:4]
	v_sub_nc_u32_e32 v35, 29, v36
	v_and_b32_e32 v34, 7, v34
; %bb.56:                               ;   in Loop: Header=BB301_16 Depth=1
	s_or_b32 exec_lo, exec_lo, s52
	v_lshlrev_b32_e32 v36, 8, v12
	v_lshl_add_u32 v35, v35, 10, 0x2000
	v_lshlrev_b32_e32 v34, 7, v34
	v_and_b32_e32 v36, 0x8000, v36
	v_and_b32_e32 v35, 0xfc00, v35
	v_or3_b32 v34, v36, v35, v34
.LBB301_57:                             ;   in Loop: Header=BB301_16 Depth=1
	s_or_b32 exec_lo, exec_lo, s51
.LBB301_58:                             ;   in Loop: Header=BB301_16 Depth=1
	s_or_b32 exec_lo, exec_lo, s50
.LBB301_59:                             ;   in Loop: Header=BB301_16 Depth=1
	s_or_b32 exec_lo, exec_lo, s49
	v_lshrrev_b16 v3, 8, v3
	v_mov_b32_e32 v35, 0
	s_mov_b32 s49, exec_lo
	v_cmpx_ne_u16_e32 0, v3
	s_cbranch_execz .LBB301_67
; %bb.60:                               ;   in Loop: Header=BB301_16 Depth=1
	v_bfrev_b32_e32 v35, 1
	s_mov_b32 s50, exec_lo
	v_cmpx_ne_u16_e32 0x80, v3
	s_cbranch_execz .LBB301_66
; %bb.61:                               ;   in Loop: Header=BB301_16 Depth=1
	v_and_b32_sdwa v37, v3, v21 dst_sel:DWORD dst_unused:UNUSED_PAD src0_sel:WORD_0 src1_sel:DWORD
	v_mov_b32_e32 v35, 0x7c010000
	s_mov_b32 s51, exec_lo
	v_cmpx_ne_u32_e32 0x7f, v37
	s_cbranch_execz .LBB301_65
; %bb.62:                               ;   in Loop: Header=BB301_16 Depth=1
	v_and_b32_sdwa v35, v3, v22 dst_sel:DWORD dst_unused:UNUSED_PAD src0_sel:WORD_0 src1_sel:DWORD
	v_lshrrev_b32_e32 v36, 3, v37
	s_mov_b32 s52, exec_lo
	v_cmpx_gt_u32_e32 8, v37
; %bb.63:                               ;   in Loop: Header=BB301_16 Depth=1
	v_ffbh_u32_e32 v35, v35
	v_min_u32_e32 v37, 32, v35
	v_subrev_nc_u32_e32 v35, 28, v37
	v_lshlrev_b64 v[35:36], v35, v[3:4]
	v_sub_nc_u32_e32 v36, 29, v37
	v_and_b32_e32 v35, 7, v35
; %bb.64:                               ;   in Loop: Header=BB301_16 Depth=1
	s_or_b32 exec_lo, exec_lo, s52
	v_lshlrev_b32_sdwa v3, v23, v3 dst_sel:DWORD dst_unused:UNUSED_PAD src0_sel:DWORD src1_sel:WORD_0
	v_lshl_add_u32 v36, v36, 10, 0x2000
	v_lshlrev_b32_e32 v35, 23, v35
	v_and_or_b32 v3, 0x8000, v3, v36
	v_lshl_or_b32 v35, v3, 16, v35
.LBB301_65:                             ;   in Loop: Header=BB301_16 Depth=1
	s_or_b32 exec_lo, exec_lo, s51
.LBB301_66:                             ;   in Loop: Header=BB301_16 Depth=1
	s_or_b32 exec_lo, exec_lo, s50
.LBB301_67:                             ;   in Loop: Header=BB301_16 Depth=1
	s_or_b32 exec_lo, exec_lo, s49
	v_lshrrev_b32_e32 v3, 16, v12
	v_cmp_ne_u16_sdwa s1, v3, v4 src0_sel:BYTE_0 src1_sel:DWORD
	s_and_saveexec_b32 s49, s1
	s_cbranch_execz .LBB301_75
; %bb.68:                               ;   in Loop: Header=BB301_16 Depth=1
	v_cmp_ne_u16_sdwa s1, v3, v20 src0_sel:BYTE_0 src1_sel:DWORD
	v_mov_b32_e32 v33, 0x8000
	s_and_saveexec_b32 s50, s1
	s_cbranch_execz .LBB301_74
; %bb.69:                               ;   in Loop: Header=BB301_16 Depth=1
	v_bfe_u32 v37, v12, 16, 7
	v_mov_b32_e32 v33, 0x7c01
	s_mov_b32 s51, exec_lo
	v_cmpx_ne_u32_e32 0x7f, v37
	s_cbranch_execz .LBB301_73
; %bb.70:                               ;   in Loop: Header=BB301_16 Depth=1
	v_and_b32_e32 v33, 7, v3
	v_lshrrev_b32_e32 v36, 3, v37
	s_mov_b32 s52, exec_lo
	v_cmpx_gt_u32_e32 8, v37
; %bb.71:                               ;   in Loop: Header=BB301_16 Depth=1
	v_ffbh_u32_e32 v33, v33
	v_min_u32_e32 v33, 32, v33
	v_subrev_nc_u32_e32 v36, 28, v33
	v_lshlrev_b64 v[37:38], v36, v[3:4]
	v_sub_nc_u32_e32 v36, 29, v33
	v_and_b32_e32 v33, 7, v37
; %bb.72:                               ;   in Loop: Header=BB301_16 Depth=1
	s_or_b32 exec_lo, exec_lo, s52
	v_lshlrev_b32_e32 v3, 8, v3
	v_lshl_add_u32 v36, v36, 10, 0x2000
	v_lshlrev_b32_e32 v33, 7, v33
	v_and_b32_e32 v3, 0x8000, v3
	v_and_b32_e32 v36, 0xfc00, v36
	v_or3_b32 v33, v3, v36, v33
.LBB301_73:                             ;   in Loop: Header=BB301_16 Depth=1
	s_or_b32 exec_lo, exec_lo, s51
.LBB301_74:                             ;   in Loop: Header=BB301_16 Depth=1
	s_or_b32 exec_lo, exec_lo, s50
.LBB301_75:                             ;   in Loop: Header=BB301_16 Depth=1
	s_or_b32 exec_lo, exec_lo, s49
	v_mov_b32_e32 v36, 0
	v_mov_b32_e32 v37, 0
	s_mov_b32 s49, exec_lo
	v_cmpx_lt_u64_e64 s[4:5], v[11:12]
	s_cbranch_execz .LBB301_83
; %bb.76:                               ;   in Loop: Header=BB301_16 Depth=1
	v_lshrrev_b32_e32 v3, 24, v12
	v_bfrev_b32_e32 v37, 1
	s_mov_b32 s50, exec_lo
	v_cmpx_ne_u32_e32 0x80, v3
	s_cbranch_execz .LBB301_82
; %bb.77:                               ;   in Loop: Header=BB301_16 Depth=1
	v_and_b32_e32 v38, 0x7f, v3
	v_mov_b32_e32 v37, 0x7c010000
	s_mov_b32 s51, exec_lo
	v_cmpx_ne_u32_e32 0x7f, v38
	s_cbranch_execz .LBB301_81
; %bb.78:                               ;   in Loop: Header=BB301_16 Depth=1
	v_and_b32_e32 v11, 7, v3
	v_lshrrev_b32_e32 v12, 3, v38
	s_mov_b32 s52, exec_lo
	v_cmpx_gt_u32_e32 8, v38
; %bb.79:                               ;   in Loop: Header=BB301_16 Depth=1
	v_ffbh_u32_e32 v11, v11
	v_min_u32_e32 v37, 32, v11
	v_subrev_nc_u32_e32 v11, 28, v37
	v_lshlrev_b64 v[11:12], v11, v[3:4]
	v_sub_nc_u32_e32 v12, 29, v37
	v_and_b32_e32 v11, 7, v11
; %bb.80:                               ;   in Loop: Header=BB301_16 Depth=1
	s_or_b32 exec_lo, exec_lo, s52
	v_lshlrev_b32_e32 v3, 8, v3
	v_lshl_add_u32 v12, v12, 10, 0x2000
	v_lshlrev_b32_e32 v11, 23, v11
	v_and_or_b32 v3, 0x8000, v3, v12
	v_lshl_or_b32 v37, v3, 16, v11
.LBB301_81:                             ;   in Loop: Header=BB301_16 Depth=1
	s_or_b32 exec_lo, exec_lo, s51
.LBB301_82:                             ;   in Loop: Header=BB301_16 Depth=1
	s_or_b32 exec_lo, exec_lo, s50
.LBB301_83:                             ;   in Loop: Header=BB301_16 Depth=1
	s_or_b32 exec_lo, exec_lo, s49
	global_load_dwordx2 v[11:12], v[9:10], off offset:8
	s_waitcnt vmcnt(0)
	v_cmp_ne_u16_sdwa s1, v11, v4 src0_sel:BYTE_0 src1_sel:DWORD
	s_and_saveexec_b32 s49, s1
	s_cbranch_execz .LBB301_91
; %bb.84:                               ;   in Loop: Header=BB301_16 Depth=1
	v_cmp_ne_u16_sdwa s1, v11, v20 src0_sel:BYTE_0 src1_sel:DWORD
	v_mov_b32_e32 v36, 0x8000
	s_and_saveexec_b32 s50, s1
	s_cbranch_execz .LBB301_90
; %bb.85:                               ;   in Loop: Header=BB301_16 Depth=1
	v_and_b32_e32 v38, 0x7f, v11
	v_mov_b32_e32 v36, 0x7c01
	s_mov_b32 s51, exec_lo
	v_cmpx_ne_u32_e32 0x7f, v38
	s_cbranch_execz .LBB301_89
; %bb.86:                               ;   in Loop: Header=BB301_16 Depth=1
	v_and_b32_e32 v3, 7, v11
	v_lshrrev_b32_e32 v36, 3, v38
	s_mov_b32 s52, exec_lo
	v_cmpx_gt_u32_e32 8, v38
; %bb.87:                               ;   in Loop: Header=BB301_16 Depth=1
	v_ffbh_u32_e32 v3, v3
	v_min_u32_e32 v3, 32, v3
	v_subrev_nc_u32_e32 v36, 28, v3
	v_lshlrev_b64 v[38:39], v36, v[11:12]
	v_sub_nc_u32_e32 v36, 29, v3
	v_and_b32_e32 v3, 7, v38
; %bb.88:                               ;   in Loop: Header=BB301_16 Depth=1
	s_or_b32 exec_lo, exec_lo, s52
	v_lshlrev_b32_e32 v38, 8, v11
	v_lshl_add_u32 v36, v36, 10, 0x2000
	v_lshlrev_b32_e32 v3, 7, v3
	v_and_b32_e32 v38, 0x8000, v38
	v_and_b32_e32 v36, 0xfc00, v36
	v_or3_b32 v36, v38, v36, v3
.LBB301_89:                             ;   in Loop: Header=BB301_16 Depth=1
	s_or_b32 exec_lo, exec_lo, s51
.LBB301_90:                             ;   in Loop: Header=BB301_16 Depth=1
	s_or_b32 exec_lo, exec_lo, s50
.LBB301_91:                             ;   in Loop: Header=BB301_16 Depth=1
	s_or_b32 exec_lo, exec_lo, s49
	v_lshrrev_b16 v3, 8, v11
	v_mov_b32_e32 v39, 0
	v_mov_b32_e32 v38, 0
	s_mov_b32 s49, exec_lo
	v_cmpx_ne_u16_e32 0, v3
	s_cbranch_execz .LBB301_99
; %bb.92:                               ;   in Loop: Header=BB301_16 Depth=1
	v_bfrev_b32_e32 v38, 1
	s_mov_b32 s50, exec_lo
	v_cmpx_ne_u16_e32 0x80, v3
	s_cbranch_execz .LBB301_98
; %bb.93:                               ;   in Loop: Header=BB301_16 Depth=1
	v_and_b32_sdwa v41, v3, v21 dst_sel:DWORD dst_unused:UNUSED_PAD src0_sel:WORD_0 src1_sel:DWORD
	v_mov_b32_e32 v38, 0x7c010000
	s_mov_b32 s51, exec_lo
	v_cmpx_ne_u32_e32 0x7f, v41
	s_cbranch_execz .LBB301_97
; %bb.94:                               ;   in Loop: Header=BB301_16 Depth=1
	v_and_b32_sdwa v38, v3, v22 dst_sel:DWORD dst_unused:UNUSED_PAD src0_sel:WORD_0 src1_sel:DWORD
	v_lshrrev_b32_e32 v40, 3, v41
	s_mov_b32 s52, exec_lo
	v_cmpx_gt_u32_e32 8, v41
; %bb.95:                               ;   in Loop: Header=BB301_16 Depth=1
	v_ffbh_u32_e32 v38, v38
	v_min_u32_e32 v38, 32, v38
	v_subrev_nc_u32_e32 v40, 28, v38
	v_lshlrev_b64 v[41:42], v40, v[3:4]
	v_sub_nc_u32_e32 v40, 29, v38
	v_and_b32_e32 v38, 7, v41
; %bb.96:                               ;   in Loop: Header=BB301_16 Depth=1
	s_or_b32 exec_lo, exec_lo, s52
	v_lshlrev_b32_sdwa v3, v23, v3 dst_sel:DWORD dst_unused:UNUSED_PAD src0_sel:DWORD src1_sel:WORD_0
	v_lshl_add_u32 v40, v40, 10, 0x2000
	v_lshlrev_b32_e32 v38, 23, v38
	v_and_or_b32 v3, 0x8000, v3, v40
	v_lshl_or_b32 v38, v3, 16, v38
.LBB301_97:                             ;   in Loop: Header=BB301_16 Depth=1
	s_or_b32 exec_lo, exec_lo, s51
.LBB301_98:                             ;   in Loop: Header=BB301_16 Depth=1
	s_or_b32 exec_lo, exec_lo, s50
.LBB301_99:                             ;   in Loop: Header=BB301_16 Depth=1
	s_or_b32 exec_lo, exec_lo, s49
	v_lshrrev_b32_e32 v3, 16, v11
	v_cmp_ne_u16_sdwa s1, v3, v4 src0_sel:BYTE_0 src1_sel:DWORD
	s_and_saveexec_b32 s49, s1
	s_cbranch_execz .LBB301_107
; %bb.100:                              ;   in Loop: Header=BB301_16 Depth=1
	v_cmp_ne_u16_sdwa s1, v3, v20 src0_sel:BYTE_0 src1_sel:DWORD
	v_mov_b32_e32 v39, 0x8000
	s_and_saveexec_b32 s50, s1
	s_cbranch_execz .LBB301_106
; %bb.101:                              ;   in Loop: Header=BB301_16 Depth=1
	v_bfe_u32 v41, v11, 16, 7
	v_mov_b32_e32 v39, 0x7c01
	s_mov_b32 s51, exec_lo
	v_cmpx_ne_u32_e32 0x7f, v41
	s_cbranch_execz .LBB301_105
; %bb.102:                              ;   in Loop: Header=BB301_16 Depth=1
	v_and_b32_e32 v39, 7, v3
	v_lshrrev_b32_e32 v40, 3, v41
	s_mov_b32 s52, exec_lo
	v_cmpx_gt_u32_e32 8, v41
; %bb.103:                              ;   in Loop: Header=BB301_16 Depth=1
	v_ffbh_u32_e32 v39, v39
	v_min_u32_e32 v41, 32, v39
	v_subrev_nc_u32_e32 v39, 28, v41
	v_lshlrev_b64 v[39:40], v39, v[3:4]
	v_sub_nc_u32_e32 v40, 29, v41
	v_and_b32_e32 v39, 7, v39
; %bb.104:                              ;   in Loop: Header=BB301_16 Depth=1
	s_or_b32 exec_lo, exec_lo, s52
	v_lshlrev_b32_e32 v3, 8, v3
	v_lshl_add_u32 v40, v40, 10, 0x2000
	v_lshlrev_b32_e32 v39, 7, v39
	v_and_b32_e32 v3, 0x8000, v3
	v_and_b32_e32 v40, 0xfc00, v40
	v_or3_b32 v39, v3, v40, v39
.LBB301_105:                            ;   in Loop: Header=BB301_16 Depth=1
	s_or_b32 exec_lo, exec_lo, s51
.LBB301_106:                            ;   in Loop: Header=BB301_16 Depth=1
	s_or_b32 exec_lo, exec_lo, s50
.LBB301_107:                            ;   in Loop: Header=BB301_16 Depth=1
	s_or_b32 exec_lo, exec_lo, s49
	v_mov_b32_e32 v40, 0
	v_mov_b32_e32 v41, 0
	s_mov_b32 s49, exec_lo
	v_cmpx_lt_u32_e32 0xffffff, v11
	s_cbranch_execz .LBB301_115
; %bb.108:                              ;   in Loop: Header=BB301_16 Depth=1
	v_lshrrev_b32_e32 v3, 24, v11
	v_bfrev_b32_e32 v41, 1
	s_mov_b32 s50, exec_lo
	v_cmpx_ne_u32_e32 0x80, v3
	s_cbranch_execz .LBB301_114
; %bb.109:                              ;   in Loop: Header=BB301_16 Depth=1
	v_and_b32_e32 v43, 0x7f, v3
	v_mov_b32_e32 v41, 0x7c010000
	s_mov_b32 s51, exec_lo
	v_cmpx_ne_u32_e32 0x7f, v43
	s_cbranch_execz .LBB301_113
; %bb.110:                              ;   in Loop: Header=BB301_16 Depth=1
	v_and_b32_e32 v41, 7, v3
	v_lshrrev_b32_e32 v42, 3, v43
	s_mov_b32 s52, exec_lo
	v_cmpx_gt_u32_e32 8, v43
; %bb.111:                              ;   in Loop: Header=BB301_16 Depth=1
	v_ffbh_u32_e32 v41, v41
	v_min_u32_e32 v43, 32, v41
	v_subrev_nc_u32_e32 v41, 28, v43
	v_lshlrev_b64 v[41:42], v41, v[3:4]
	v_sub_nc_u32_e32 v42, 29, v43
	v_and_b32_e32 v41, 7, v41
; %bb.112:                              ;   in Loop: Header=BB301_16 Depth=1
	s_or_b32 exec_lo, exec_lo, s52
	v_lshlrev_b32_e32 v3, 8, v3
	v_lshl_add_u32 v42, v42, 10, 0x2000
	v_lshlrev_b32_e32 v41, 23, v41
	v_and_or_b32 v3, 0x8000, v3, v42
	v_lshl_or_b32 v41, v3, 16, v41
.LBB301_113:                            ;   in Loop: Header=BB301_16 Depth=1
	s_or_b32 exec_lo, exec_lo, s51
.LBB301_114:                            ;   in Loop: Header=BB301_16 Depth=1
	s_or_b32 exec_lo, exec_lo, s50
.LBB301_115:                            ;   in Loop: Header=BB301_16 Depth=1
	s_or_b32 exec_lo, exec_lo, s49
	v_mov_b32_e32 v3, v12
	v_cmp_ne_u16_sdwa s1, v12, v4 src0_sel:BYTE_0 src1_sel:DWORD
	s_and_saveexec_b32 s49, s1
	s_cbranch_execz .LBB301_123
; %bb.116:                              ;   in Loop: Header=BB301_16 Depth=1
	v_cmp_ne_u16_sdwa s1, v12, v20 src0_sel:BYTE_0 src1_sel:DWORD
	v_mov_b32_e32 v40, 0x8000
	s_and_saveexec_b32 s50, s1
	s_cbranch_execz .LBB301_122
; %bb.117:                              ;   in Loop: Header=BB301_16 Depth=1
	v_and_b32_e32 v43, 0x7f, v12
	v_mov_b32_e32 v40, 0x7c01
	s_mov_b32 s51, exec_lo
	v_cmpx_ne_u32_e32 0x7f, v43
	s_cbranch_execz .LBB301_121
; %bb.118:                              ;   in Loop: Header=BB301_16 Depth=1
	v_and_b32_e32 v40, 7, v12
	v_lshrrev_b32_e32 v42, 3, v43
	s_mov_b32 s52, exec_lo
	v_cmpx_gt_u32_e32 8, v43
; %bb.119:                              ;   in Loop: Header=BB301_16 Depth=1
	v_ffbh_u32_e32 v40, v40
	v_min_u32_e32 v40, 32, v40
	v_subrev_nc_u32_e32 v42, 28, v40
	v_lshlrev_b64 v[43:44], v42, v[3:4]
	v_sub_nc_u32_e32 v42, 29, v40
	v_and_b32_e32 v40, 7, v43
; %bb.120:                              ;   in Loop: Header=BB301_16 Depth=1
	s_or_b32 exec_lo, exec_lo, s52
	v_lshlrev_b32_e32 v43, 8, v12
	v_lshl_add_u32 v42, v42, 10, 0x2000
	v_lshlrev_b32_e32 v40, 7, v40
	v_and_b32_e32 v43, 0x8000, v43
	v_and_b32_e32 v42, 0xfc00, v42
	v_or3_b32 v40, v43, v42, v40
.LBB301_121:                            ;   in Loop: Header=BB301_16 Depth=1
	s_or_b32 exec_lo, exec_lo, s51
.LBB301_122:                            ;   in Loop: Header=BB301_16 Depth=1
	s_or_b32 exec_lo, exec_lo, s50
.LBB301_123:                            ;   in Loop: Header=BB301_16 Depth=1
	s_or_b32 exec_lo, exec_lo, s49
	v_lshrrev_b16 v3, 8, v3
	v_mov_b32_e32 v43, 0
	v_mov_b32_e32 v42, 0
	s_mov_b32 s49, exec_lo
	v_cmpx_ne_u16_e32 0, v3
	s_cbranch_execz .LBB301_131
; %bb.124:                              ;   in Loop: Header=BB301_16 Depth=1
	v_bfrev_b32_e32 v42, 1
	s_mov_b32 s50, exec_lo
	v_cmpx_ne_u16_e32 0x80, v3
	s_cbranch_execz .LBB301_130
; %bb.125:                              ;   in Loop: Header=BB301_16 Depth=1
	v_and_b32_sdwa v45, v3, v21 dst_sel:DWORD dst_unused:UNUSED_PAD src0_sel:WORD_0 src1_sel:DWORD
	v_mov_b32_e32 v42, 0x7c010000
	s_mov_b32 s51, exec_lo
	v_cmpx_ne_u32_e32 0x7f, v45
	s_cbranch_execz .LBB301_129
; %bb.126:                              ;   in Loop: Header=BB301_16 Depth=1
	v_and_b32_sdwa v42, v3, v22 dst_sel:DWORD dst_unused:UNUSED_PAD src0_sel:WORD_0 src1_sel:DWORD
	v_lshrrev_b32_e32 v44, 3, v45
	s_mov_b32 s52, exec_lo
	v_cmpx_gt_u32_e32 8, v45
; %bb.127:                              ;   in Loop: Header=BB301_16 Depth=1
	v_ffbh_u32_e32 v42, v42
	v_min_u32_e32 v42, 32, v42
	v_subrev_nc_u32_e32 v44, 28, v42
	v_lshlrev_b64 v[45:46], v44, v[3:4]
	v_sub_nc_u32_e32 v44, 29, v42
	v_and_b32_e32 v42, 7, v45
; %bb.128:                              ;   in Loop: Header=BB301_16 Depth=1
	s_or_b32 exec_lo, exec_lo, s52
	v_lshlrev_b32_sdwa v3, v23, v3 dst_sel:DWORD dst_unused:UNUSED_PAD src0_sel:DWORD src1_sel:WORD_0
	v_lshl_add_u32 v44, v44, 10, 0x2000
	v_lshlrev_b32_e32 v42, 23, v42
	v_and_or_b32 v3, 0x8000, v3, v44
	v_lshl_or_b32 v42, v3, 16, v42
.LBB301_129:                            ;   in Loop: Header=BB301_16 Depth=1
	s_or_b32 exec_lo, exec_lo, s51
.LBB301_130:                            ;   in Loop: Header=BB301_16 Depth=1
	s_or_b32 exec_lo, exec_lo, s50
.LBB301_131:                            ;   in Loop: Header=BB301_16 Depth=1
	s_or_b32 exec_lo, exec_lo, s49
	v_lshrrev_b32_e32 v3, 16, v12
	v_cmp_ne_u16_sdwa s1, v3, v4 src0_sel:BYTE_0 src1_sel:DWORD
	s_and_saveexec_b32 s49, s1
	s_cbranch_execz .LBB301_139
; %bb.132:                              ;   in Loop: Header=BB301_16 Depth=1
	v_cmp_ne_u16_sdwa s1, v3, v20 src0_sel:BYTE_0 src1_sel:DWORD
	v_mov_b32_e32 v43, 0x8000
	s_and_saveexec_b32 s50, s1
	s_cbranch_execz .LBB301_138
; %bb.133:                              ;   in Loop: Header=BB301_16 Depth=1
	v_bfe_u32 v45, v12, 16, 7
	v_mov_b32_e32 v43, 0x7c01
	s_mov_b32 s51, exec_lo
	v_cmpx_ne_u32_e32 0x7f, v45
	s_cbranch_execz .LBB301_137
; %bb.134:                              ;   in Loop: Header=BB301_16 Depth=1
	v_and_b32_e32 v43, 7, v3
	v_lshrrev_b32_e32 v44, 3, v45
	s_mov_b32 s52, exec_lo
	v_cmpx_gt_u32_e32 8, v45
; %bb.135:                              ;   in Loop: Header=BB301_16 Depth=1
	v_ffbh_u32_e32 v43, v43
	v_min_u32_e32 v45, 32, v43
	v_subrev_nc_u32_e32 v43, 28, v45
	v_lshlrev_b64 v[43:44], v43, v[3:4]
	v_sub_nc_u32_e32 v44, 29, v45
	v_and_b32_e32 v43, 7, v43
; %bb.136:                              ;   in Loop: Header=BB301_16 Depth=1
	s_or_b32 exec_lo, exec_lo, s52
	v_lshlrev_b32_e32 v3, 8, v3
	v_lshl_add_u32 v44, v44, 10, 0x2000
	v_lshlrev_b32_e32 v43, 7, v43
	v_and_b32_e32 v3, 0x8000, v3
	v_and_b32_e32 v44, 0xfc00, v44
	v_or3_b32 v43, v3, v44, v43
.LBB301_137:                            ;   in Loop: Header=BB301_16 Depth=1
	s_or_b32 exec_lo, exec_lo, s51
.LBB301_138:                            ;   in Loop: Header=BB301_16 Depth=1
	s_or_b32 exec_lo, exec_lo, s50
.LBB301_139:                            ;   in Loop: Header=BB301_16 Depth=1
	s_or_b32 exec_lo, exec_lo, s49
	v_mov_b32_e32 v45, 0
	v_mov_b32_e32 v44, 0
	s_mov_b32 s49, exec_lo
	v_cmpx_lt_u64_e64 s[4:5], v[11:12]
	s_cbranch_execz .LBB301_147
; %bb.140:                              ;   in Loop: Header=BB301_16 Depth=1
	v_lshrrev_b32_e32 v3, 24, v12
	v_bfrev_b32_e32 v44, 1
	s_mov_b32 s50, exec_lo
	v_cmpx_ne_u32_e32 0x80, v3
	s_cbranch_execz .LBB301_146
; %bb.141:                              ;   in Loop: Header=BB301_16 Depth=1
	v_and_b32_e32 v46, 0x7f, v3
	v_mov_b32_e32 v44, 0x7c010000
	s_mov_b32 s51, exec_lo
	v_cmpx_ne_u32_e32 0x7f, v46
	s_cbranch_execz .LBB301_145
; %bb.142:                              ;   in Loop: Header=BB301_16 Depth=1
	v_and_b32_e32 v11, 7, v3
	v_lshrrev_b32_e32 v12, 3, v46
	s_mov_b32 s52, exec_lo
	v_cmpx_gt_u32_e32 8, v46
; %bb.143:                              ;   in Loop: Header=BB301_16 Depth=1
	v_ffbh_u32_e32 v11, v11
	v_min_u32_e32 v44, 32, v11
	v_subrev_nc_u32_e32 v11, 28, v44
	v_lshlrev_b64 v[11:12], v11, v[3:4]
	v_sub_nc_u32_e32 v12, 29, v44
	v_and_b32_e32 v11, 7, v11
; %bb.144:                              ;   in Loop: Header=BB301_16 Depth=1
	s_or_b32 exec_lo, exec_lo, s52
	v_lshlrev_b32_e32 v3, 8, v3
	v_lshl_add_u32 v12, v12, 10, 0x2000
	v_lshlrev_b32_e32 v11, 23, v11
	v_and_or_b32 v3, 0x8000, v3, v12
	v_lshl_or_b32 v44, v3, 16, v11
.LBB301_145:                            ;   in Loop: Header=BB301_16 Depth=1
	s_or_b32 exec_lo, exec_lo, s51
.LBB301_146:                            ;   in Loop: Header=BB301_16 Depth=1
	s_or_b32 exec_lo, exec_lo, s50
.LBB301_147:                            ;   in Loop: Header=BB301_16 Depth=1
	s_or_b32 exec_lo, exec_lo, s49
	global_load_dwordx2 v[11:12], v[9:10], off offset:512
	s_waitcnt vmcnt(0)
	v_cmp_ne_u16_sdwa s1, v11, v4 src0_sel:BYTE_0 src1_sel:DWORD
	s_and_saveexec_b32 s49, s1
	s_cbranch_execz .LBB301_155
; %bb.148:                              ;   in Loop: Header=BB301_16 Depth=1
	v_cmp_ne_u16_sdwa s1, v11, v20 src0_sel:BYTE_0 src1_sel:DWORD
	v_mov_b32_e32 v45, 0x8000
	s_and_saveexec_b32 s50, s1
	s_cbranch_execz .LBB301_154
; %bb.149:                              ;   in Loop: Header=BB301_16 Depth=1
	v_and_b32_e32 v46, 0x7f, v11
	v_mov_b32_e32 v45, 0x7c01
	s_mov_b32 s51, exec_lo
	v_cmpx_ne_u32_e32 0x7f, v46
	s_cbranch_execz .LBB301_153
; %bb.150:                              ;   in Loop: Header=BB301_16 Depth=1
	v_and_b32_e32 v3, 7, v11
	v_lshrrev_b32_e32 v45, 3, v46
	s_mov_b32 s52, exec_lo
	v_cmpx_gt_u32_e32 8, v46
; %bb.151:                              ;   in Loop: Header=BB301_16 Depth=1
	v_ffbh_u32_e32 v3, v3
	v_min_u32_e32 v3, 32, v3
	v_subrev_nc_u32_e32 v45, 28, v3
	v_lshlrev_b64 v[46:47], v45, v[11:12]
	v_sub_nc_u32_e32 v45, 29, v3
	v_and_b32_e32 v3, 7, v46
; %bb.152:                              ;   in Loop: Header=BB301_16 Depth=1
	s_or_b32 exec_lo, exec_lo, s52
	v_lshlrev_b32_e32 v46, 8, v11
	v_lshl_add_u32 v45, v45, 10, 0x2000
	v_lshlrev_b32_e32 v3, 7, v3
	v_and_b32_e32 v46, 0x8000, v46
	v_and_b32_e32 v45, 0xfc00, v45
	v_or3_b32 v45, v46, v45, v3
.LBB301_153:                            ;   in Loop: Header=BB301_16 Depth=1
	s_or_b32 exec_lo, exec_lo, s51
.LBB301_154:                            ;   in Loop: Header=BB301_16 Depth=1
	s_or_b32 exec_lo, exec_lo, s50
.LBB301_155:                            ;   in Loop: Header=BB301_16 Depth=1
	s_or_b32 exec_lo, exec_lo, s49
	v_lshrrev_b16 v3, 8, v11
	v_mov_b32_e32 v47, 0
	v_mov_b32_e32 v46, 0
	s_mov_b32 s49, exec_lo
	v_cmpx_ne_u16_e32 0, v3
	s_cbranch_execz .LBB301_163
; %bb.156:                              ;   in Loop: Header=BB301_16 Depth=1
	v_bfrev_b32_e32 v46, 1
	s_mov_b32 s50, exec_lo
	v_cmpx_ne_u16_e32 0x80, v3
	s_cbranch_execz .LBB301_162
; %bb.157:                              ;   in Loop: Header=BB301_16 Depth=1
	v_and_b32_sdwa v49, v3, v21 dst_sel:DWORD dst_unused:UNUSED_PAD src0_sel:WORD_0 src1_sel:DWORD
	v_mov_b32_e32 v46, 0x7c010000
	s_mov_b32 s51, exec_lo
	v_cmpx_ne_u32_e32 0x7f, v49
	s_cbranch_execz .LBB301_161
; %bb.158:                              ;   in Loop: Header=BB301_16 Depth=1
	v_and_b32_sdwa v46, v3, v22 dst_sel:DWORD dst_unused:UNUSED_PAD src0_sel:WORD_0 src1_sel:DWORD
	v_lshrrev_b32_e32 v48, 3, v49
	s_mov_b32 s52, exec_lo
	v_cmpx_gt_u32_e32 8, v49
; %bb.159:                              ;   in Loop: Header=BB301_16 Depth=1
	v_ffbh_u32_e32 v46, v46
	v_min_u32_e32 v46, 32, v46
	v_subrev_nc_u32_e32 v48, 28, v46
	v_lshlrev_b64 v[49:50], v48, v[3:4]
	v_sub_nc_u32_e32 v48, 29, v46
	v_and_b32_e32 v46, 7, v49
; %bb.160:                              ;   in Loop: Header=BB301_16 Depth=1
	s_or_b32 exec_lo, exec_lo, s52
	v_lshlrev_b32_sdwa v3, v23, v3 dst_sel:DWORD dst_unused:UNUSED_PAD src0_sel:DWORD src1_sel:WORD_0
	v_lshl_add_u32 v48, v48, 10, 0x2000
	v_lshlrev_b32_e32 v46, 23, v46
	v_and_or_b32 v3, 0x8000, v3, v48
	v_lshl_or_b32 v46, v3, 16, v46
.LBB301_161:                            ;   in Loop: Header=BB301_16 Depth=1
	s_or_b32 exec_lo, exec_lo, s51
.LBB301_162:                            ;   in Loop: Header=BB301_16 Depth=1
	s_or_b32 exec_lo, exec_lo, s50
.LBB301_163:                            ;   in Loop: Header=BB301_16 Depth=1
	s_or_b32 exec_lo, exec_lo, s49
	v_lshrrev_b32_e32 v3, 16, v11
	v_cmp_ne_u16_sdwa s1, v3, v4 src0_sel:BYTE_0 src1_sel:DWORD
	s_and_saveexec_b32 s49, s1
	s_cbranch_execz .LBB301_171
; %bb.164:                              ;   in Loop: Header=BB301_16 Depth=1
	v_cmp_ne_u16_sdwa s1, v3, v20 src0_sel:BYTE_0 src1_sel:DWORD
	v_mov_b32_e32 v47, 0x8000
	s_and_saveexec_b32 s50, s1
	s_cbranch_execz .LBB301_170
; %bb.165:                              ;   in Loop: Header=BB301_16 Depth=1
	v_bfe_u32 v49, v11, 16, 7
	v_mov_b32_e32 v47, 0x7c01
	s_mov_b32 s51, exec_lo
	v_cmpx_ne_u32_e32 0x7f, v49
	s_cbranch_execz .LBB301_169
; %bb.166:                              ;   in Loop: Header=BB301_16 Depth=1
	v_and_b32_e32 v47, 7, v3
	v_lshrrev_b32_e32 v48, 3, v49
	s_mov_b32 s52, exec_lo
	v_cmpx_gt_u32_e32 8, v49
; %bb.167:                              ;   in Loop: Header=BB301_16 Depth=1
	v_ffbh_u32_e32 v47, v47
	v_min_u32_e32 v49, 32, v47
	v_subrev_nc_u32_e32 v47, 28, v49
	v_lshlrev_b64 v[47:48], v47, v[3:4]
	v_sub_nc_u32_e32 v48, 29, v49
	v_and_b32_e32 v47, 7, v47
; %bb.168:                              ;   in Loop: Header=BB301_16 Depth=1
	s_or_b32 exec_lo, exec_lo, s52
	v_lshlrev_b32_e32 v3, 8, v3
	v_lshl_add_u32 v48, v48, 10, 0x2000
	v_lshlrev_b32_e32 v47, 7, v47
	v_and_b32_e32 v3, 0x8000, v3
	v_and_b32_e32 v48, 0xfc00, v48
	v_or3_b32 v47, v3, v48, v47
.LBB301_169:                            ;   in Loop: Header=BB301_16 Depth=1
	s_or_b32 exec_lo, exec_lo, s51
.LBB301_170:                            ;   in Loop: Header=BB301_16 Depth=1
	s_or_b32 exec_lo, exec_lo, s50
.LBB301_171:                            ;   in Loop: Header=BB301_16 Depth=1
	s_or_b32 exec_lo, exec_lo, s49
	v_mov_b32_e32 v49, 0
	v_mov_b32_e32 v50, 0
	s_mov_b32 s49, exec_lo
	v_cmpx_lt_u32_e32 0xffffff, v11
	s_cbranch_execz .LBB301_179
; %bb.172:                              ;   in Loop: Header=BB301_16 Depth=1
	v_lshrrev_b32_e32 v3, 24, v11
	v_bfrev_b32_e32 v50, 1
	s_mov_b32 s50, exec_lo
	v_cmpx_ne_u32_e32 0x80, v3
	s_cbranch_execz .LBB301_178
; %bb.173:                              ;   in Loop: Header=BB301_16 Depth=1
	v_and_b32_e32 v51, 0x7f, v3
	v_mov_b32_e32 v50, 0x7c010000
	s_mov_b32 s51, exec_lo
	v_cmpx_ne_u32_e32 0x7f, v51
	s_cbranch_execz .LBB301_177
; %bb.174:                              ;   in Loop: Header=BB301_16 Depth=1
	v_and_b32_e32 v48, 7, v3
	v_lshrrev_b32_e32 v50, 3, v51
	s_mov_b32 s52, exec_lo
	v_cmpx_gt_u32_e32 8, v51
; %bb.175:                              ;   in Loop: Header=BB301_16 Depth=1
	v_ffbh_u32_e32 v48, v48
	v_min_u32_e32 v48, 32, v48
	v_subrev_nc_u32_e32 v50, 28, v48
	v_lshlrev_b64 v[51:52], v50, v[3:4]
	v_sub_nc_u32_e32 v50, 29, v48
	v_and_b32_e32 v48, 7, v51
; %bb.176:                              ;   in Loop: Header=BB301_16 Depth=1
	s_or_b32 exec_lo, exec_lo, s52
	v_lshlrev_b32_e32 v3, 8, v3
	v_lshl_add_u32 v50, v50, 10, 0x2000
	v_lshlrev_b32_e32 v48, 23, v48
	v_and_or_b32 v3, 0x8000, v3, v50
	v_lshl_or_b32 v50, v3, 16, v48
.LBB301_177:                            ;   in Loop: Header=BB301_16 Depth=1
	s_or_b32 exec_lo, exec_lo, s51
.LBB301_178:                            ;   in Loop: Header=BB301_16 Depth=1
	s_or_b32 exec_lo, exec_lo, s50
.LBB301_179:                            ;   in Loop: Header=BB301_16 Depth=1
	s_or_b32 exec_lo, exec_lo, s49
	v_mov_b32_e32 v3, v12
	v_cmp_ne_u16_sdwa s1, v12, v4 src0_sel:BYTE_0 src1_sel:DWORD
	s_and_saveexec_b32 s49, s1
	s_cbranch_execz .LBB301_187
; %bb.180:                              ;   in Loop: Header=BB301_16 Depth=1
	v_cmp_ne_u16_sdwa s1, v12, v20 src0_sel:BYTE_0 src1_sel:DWORD
	v_mov_b32_e32 v49, 0x8000
	s_and_saveexec_b32 s50, s1
	s_cbranch_execz .LBB301_186
; %bb.181:                              ;   in Loop: Header=BB301_16 Depth=1
	v_and_b32_e32 v51, 0x7f, v12
	v_mov_b32_e32 v49, 0x7c01
	s_mov_b32 s51, exec_lo
	v_cmpx_ne_u32_e32 0x7f, v51
	s_cbranch_execz .LBB301_185
; %bb.182:                              ;   in Loop: Header=BB301_16 Depth=1
	v_and_b32_e32 v48, 7, v12
	v_lshrrev_b32_e32 v49, 3, v51
	s_mov_b32 s52, exec_lo
	v_cmpx_gt_u32_e32 8, v51
; %bb.183:                              ;   in Loop: Header=BB301_16 Depth=1
	v_ffbh_u32_e32 v48, v48
	v_min_u32_e32 v51, 32, v48
	v_subrev_nc_u32_e32 v48, 28, v51
	v_lshlrev_b64 v[48:49], v48, v[3:4]
	v_sub_nc_u32_e32 v49, 29, v51
	v_and_b32_e32 v48, 7, v48
; %bb.184:                              ;   in Loop: Header=BB301_16 Depth=1
	s_or_b32 exec_lo, exec_lo, s52
	v_lshlrev_b32_e32 v51, 8, v12
	v_lshl_add_u32 v49, v49, 10, 0x2000
	v_lshlrev_b32_e32 v48, 7, v48
	v_and_b32_e32 v51, 0x8000, v51
	v_and_b32_e32 v49, 0xfc00, v49
	v_or3_b32 v49, v51, v49, v48
.LBB301_185:                            ;   in Loop: Header=BB301_16 Depth=1
	s_or_b32 exec_lo, exec_lo, s51
.LBB301_186:                            ;   in Loop: Header=BB301_16 Depth=1
	s_or_b32 exec_lo, exec_lo, s50
.LBB301_187:                            ;   in Loop: Header=BB301_16 Depth=1
	s_or_b32 exec_lo, exec_lo, s49
	v_lshrrev_b16 v3, 8, v3
	v_mov_b32_e32 v52, 0
	v_mov_b32_e32 v48, 0
	s_mov_b32 s49, exec_lo
	v_cmpx_ne_u16_e32 0, v3
	s_cbranch_execz .LBB301_195
; %bb.188:                              ;   in Loop: Header=BB301_16 Depth=1
	v_bfrev_b32_e32 v48, 1
	s_mov_b32 s50, exec_lo
	v_cmpx_ne_u16_e32 0x80, v3
	s_cbranch_execz .LBB301_194
; %bb.189:                              ;   in Loop: Header=BB301_16 Depth=1
	v_and_b32_sdwa v53, v3, v21 dst_sel:DWORD dst_unused:UNUSED_PAD src0_sel:WORD_0 src1_sel:DWORD
	v_mov_b32_e32 v48, 0x7c010000
	s_mov_b32 s51, exec_lo
	v_cmpx_ne_u32_e32 0x7f, v53
	s_cbranch_execz .LBB301_193
; %bb.190:                              ;   in Loop: Header=BB301_16 Depth=1
	v_and_b32_sdwa v48, v3, v22 dst_sel:DWORD dst_unused:UNUSED_PAD src0_sel:WORD_0 src1_sel:DWORD
	v_lshrrev_b32_e32 v51, 3, v53
	s_mov_b32 s52, exec_lo
	v_cmpx_gt_u32_e32 8, v53
; %bb.191:                              ;   in Loop: Header=BB301_16 Depth=1
	v_ffbh_u32_e32 v48, v48
	v_min_u32_e32 v48, 32, v48
	v_subrev_nc_u32_e32 v51, 28, v48
	v_lshlrev_b64 v[53:54], v51, v[3:4]
	v_sub_nc_u32_e32 v51, 29, v48
	v_and_b32_e32 v48, 7, v53
; %bb.192:                              ;   in Loop: Header=BB301_16 Depth=1
	s_or_b32 exec_lo, exec_lo, s52
	v_lshlrev_b32_sdwa v3, v23, v3 dst_sel:DWORD dst_unused:UNUSED_PAD src0_sel:DWORD src1_sel:WORD_0
	v_lshl_add_u32 v51, v51, 10, 0x2000
	v_lshlrev_b32_e32 v48, 23, v48
	v_and_or_b32 v3, 0x8000, v3, v51
	v_lshl_or_b32 v48, v3, 16, v48
.LBB301_193:                            ;   in Loop: Header=BB301_16 Depth=1
	s_or_b32 exec_lo, exec_lo, s51
.LBB301_194:                            ;   in Loop: Header=BB301_16 Depth=1
	s_or_b32 exec_lo, exec_lo, s50
.LBB301_195:                            ;   in Loop: Header=BB301_16 Depth=1
	s_or_b32 exec_lo, exec_lo, s49
	v_lshrrev_b32_e32 v3, 16, v12
	v_cmp_ne_u16_sdwa s1, v3, v4 src0_sel:BYTE_0 src1_sel:DWORD
	s_and_saveexec_b32 s49, s1
	s_cbranch_execz .LBB301_203
; %bb.196:                              ;   in Loop: Header=BB301_16 Depth=1
	v_cmp_ne_u16_sdwa s1, v3, v20 src0_sel:BYTE_0 src1_sel:DWORD
	v_mov_b32_e32 v52, 0x8000
	s_and_saveexec_b32 s50, s1
	s_cbranch_execz .LBB301_202
; %bb.197:                              ;   in Loop: Header=BB301_16 Depth=1
	v_bfe_u32 v53, v12, 16, 7
	v_mov_b32_e32 v52, 0x7c01
	s_mov_b32 s51, exec_lo
	v_cmpx_ne_u32_e32 0x7f, v53
	s_cbranch_execz .LBB301_201
; %bb.198:                              ;   in Loop: Header=BB301_16 Depth=1
	v_and_b32_e32 v51, 7, v3
	v_lshrrev_b32_e32 v52, 3, v53
	s_mov_b32 s52, exec_lo
	v_cmpx_gt_u32_e32 8, v53
; %bb.199:                              ;   in Loop: Header=BB301_16 Depth=1
	v_ffbh_u32_e32 v51, v51
	v_min_u32_e32 v53, 32, v51
	v_subrev_nc_u32_e32 v51, 28, v53
	v_lshlrev_b64 v[51:52], v51, v[3:4]
	v_sub_nc_u32_e32 v52, 29, v53
	v_and_b32_e32 v51, 7, v51
; %bb.200:                              ;   in Loop: Header=BB301_16 Depth=1
	s_or_b32 exec_lo, exec_lo, s52
	v_lshlrev_b32_e32 v3, 8, v3
	v_lshl_add_u32 v52, v52, 10, 0x2000
	v_lshlrev_b32_e32 v51, 7, v51
	v_and_b32_e32 v3, 0x8000, v3
	v_and_b32_e32 v52, 0xfc00, v52
	v_or3_b32 v52, v3, v52, v51
.LBB301_201:                            ;   in Loop: Header=BB301_16 Depth=1
	s_or_b32 exec_lo, exec_lo, s51
.LBB301_202:                            ;   in Loop: Header=BB301_16 Depth=1
	s_or_b32 exec_lo, exec_lo, s50
.LBB301_203:                            ;   in Loop: Header=BB301_16 Depth=1
	s_or_b32 exec_lo, exec_lo, s49
	v_cmp_lt_u64_e64 s1, s[4:5], v[11:12]
	v_mov_b32_e32 v11, 0
	v_mov_b32_e32 v51, 0
	s_and_saveexec_b32 s49, s1
	s_cbranch_execz .LBB301_211
; %bb.204:                              ;   in Loop: Header=BB301_16 Depth=1
	v_lshrrev_b32_e32 v3, 24, v12
	v_bfrev_b32_e32 v51, 1
	s_mov_b32 s50, exec_lo
	v_cmpx_ne_u32_e32 0x80, v3
	s_cbranch_execz .LBB301_210
; %bb.205:                              ;   in Loop: Header=BB301_16 Depth=1
	v_and_b32_e32 v53, 0x7f, v3
	v_mov_b32_e32 v51, 0x7c010000
	s_mov_b32 s51, exec_lo
	v_cmpx_ne_u32_e32 0x7f, v53
	s_cbranch_execz .LBB301_209
; %bb.206:                              ;   in Loop: Header=BB301_16 Depth=1
	v_and_b32_e32 v12, 7, v3
	v_lshrrev_b32_e32 v51, 3, v53
	s_mov_b32 s52, exec_lo
	v_cmpx_gt_u32_e32 8, v53
; %bb.207:                              ;   in Loop: Header=BB301_16 Depth=1
	v_ffbh_u32_e32 v12, v12
	v_min_u32_e32 v12, 32, v12
	v_subrev_nc_u32_e32 v51, 28, v12
	v_lshlrev_b64 v[53:54], v51, v[3:4]
	v_sub_nc_u32_e32 v51, 29, v12
	v_and_b32_e32 v12, 7, v53
; %bb.208:                              ;   in Loop: Header=BB301_16 Depth=1
	s_or_b32 exec_lo, exec_lo, s52
	v_lshlrev_b32_e32 v3, 8, v3
	v_lshl_add_u32 v51, v51, 10, 0x2000
	v_lshlrev_b32_e32 v12, 23, v12
	v_and_or_b32 v3, 0x8000, v3, v51
	v_lshl_or_b32 v51, v3, 16, v12
.LBB301_209:                            ;   in Loop: Header=BB301_16 Depth=1
	s_or_b32 exec_lo, exec_lo, s51
.LBB301_210:                            ;   in Loop: Header=BB301_16 Depth=1
	s_or_b32 exec_lo, exec_lo, s50
.LBB301_211:                            ;   in Loop: Header=BB301_16 Depth=1
	s_or_b32 exec_lo, exec_lo, s49
	global_load_dwordx2 v[9:10], v[9:10], off offset:520
	s_waitcnt vmcnt(0)
	v_cmp_ne_u16_sdwa s1, v9, v4 src0_sel:BYTE_0 src1_sel:DWORD
	s_and_saveexec_b32 s49, s1
	s_cbranch_execz .LBB301_219
; %bb.212:                              ;   in Loop: Header=BB301_16 Depth=1
	v_cmp_ne_u16_sdwa s1, v9, v20 src0_sel:BYTE_0 src1_sel:DWORD
	v_mov_b32_e32 v11, 0x8000
	s_and_saveexec_b32 s50, s1
	s_cbranch_execz .LBB301_218
; %bb.213:                              ;   in Loop: Header=BB301_16 Depth=1
	v_and_b32_e32 v12, 0x7f, v9
	v_mov_b32_e32 v11, 0x7c01
	s_mov_b32 s51, exec_lo
	v_cmpx_ne_u32_e32 0x7f, v12
	s_cbranch_execz .LBB301_217
; %bb.214:                              ;   in Loop: Header=BB301_16 Depth=1
	v_and_b32_e32 v3, 7, v9
	v_lshrrev_b32_e32 v11, 3, v12
	s_mov_b32 s52, exec_lo
	v_cmpx_gt_u32_e32 8, v12
; %bb.215:                              ;   in Loop: Header=BB301_16 Depth=1
	v_ffbh_u32_e32 v3, v3
	v_min_u32_e32 v3, 32, v3
	v_subrev_nc_u32_e32 v11, 28, v3
	v_lshlrev_b64 v[53:54], v11, v[9:10]
	v_sub_nc_u32_e32 v11, 29, v3
	v_and_b32_e32 v3, 7, v53
; %bb.216:                              ;   in Loop: Header=BB301_16 Depth=1
	s_or_b32 exec_lo, exec_lo, s52
	v_lshlrev_b32_e32 v12, 8, v9
	v_lshl_add_u32 v11, v11, 10, 0x2000
	v_lshlrev_b32_e32 v3, 7, v3
	v_and_b32_e32 v12, 0x8000, v12
	v_and_b32_e32 v11, 0xfc00, v11
	v_or3_b32 v11, v12, v11, v3
.LBB301_217:                            ;   in Loop: Header=BB301_16 Depth=1
	s_or_b32 exec_lo, exec_lo, s51
.LBB301_218:                            ;   in Loop: Header=BB301_16 Depth=1
	s_or_b32 exec_lo, exec_lo, s50
.LBB301_219:                            ;   in Loop: Header=BB301_16 Depth=1
	s_or_b32 exec_lo, exec_lo, s49
	v_lshrrev_b16 v3, 8, v9
	v_mov_b32_e32 v53, 0
	v_mov_b32_e32 v12, 0
	s_mov_b32 s49, exec_lo
	v_cmpx_ne_u16_e32 0, v3
	s_cbranch_execz .LBB301_227
; %bb.220:                              ;   in Loop: Header=BB301_16 Depth=1
	v_bfrev_b32_e32 v12, 1
	s_mov_b32 s50, exec_lo
	v_cmpx_ne_u16_e32 0x80, v3
	s_cbranch_execz .LBB301_226
; %bb.221:                              ;   in Loop: Header=BB301_16 Depth=1
	v_and_b32_sdwa v55, v3, v21 dst_sel:DWORD dst_unused:UNUSED_PAD src0_sel:WORD_0 src1_sel:DWORD
	v_mov_b32_e32 v12, 0x7c010000
	s_mov_b32 s51, exec_lo
	v_cmpx_ne_u32_e32 0x7f, v55
	s_cbranch_execz .LBB301_225
; %bb.222:                              ;   in Loop: Header=BB301_16 Depth=1
	v_and_b32_sdwa v12, v3, v22 dst_sel:DWORD dst_unused:UNUSED_PAD src0_sel:WORD_0 src1_sel:DWORD
	v_lshrrev_b32_e32 v54, 3, v55
	s_mov_b32 s52, exec_lo
	v_cmpx_gt_u32_e32 8, v55
; %bb.223:                              ;   in Loop: Header=BB301_16 Depth=1
	v_ffbh_u32_e32 v12, v12
	v_min_u32_e32 v12, 32, v12
	v_subrev_nc_u32_e32 v54, 28, v12
	v_lshlrev_b64 v[55:56], v54, v[3:4]
	v_sub_nc_u32_e32 v54, 29, v12
	v_and_b32_e32 v12, 7, v55
; %bb.224:                              ;   in Loop: Header=BB301_16 Depth=1
	s_or_b32 exec_lo, exec_lo, s52
	v_lshlrev_b32_sdwa v3, v23, v3 dst_sel:DWORD dst_unused:UNUSED_PAD src0_sel:DWORD src1_sel:WORD_0
	v_lshl_add_u32 v54, v54, 10, 0x2000
	v_lshlrev_b32_e32 v12, 23, v12
	v_and_or_b32 v3, 0x8000, v3, v54
	v_lshl_or_b32 v12, v3, 16, v12
.LBB301_225:                            ;   in Loop: Header=BB301_16 Depth=1
	s_or_b32 exec_lo, exec_lo, s51
.LBB301_226:                            ;   in Loop: Header=BB301_16 Depth=1
	s_or_b32 exec_lo, exec_lo, s50
.LBB301_227:                            ;   in Loop: Header=BB301_16 Depth=1
	s_or_b32 exec_lo, exec_lo, s49
	v_lshrrev_b32_e32 v3, 16, v9
	v_cmp_ne_u16_sdwa s1, v3, v4 src0_sel:BYTE_0 src1_sel:DWORD
	s_and_saveexec_b32 s49, s1
	s_cbranch_execz .LBB301_235
; %bb.228:                              ;   in Loop: Header=BB301_16 Depth=1
	v_cmp_ne_u16_sdwa s1, v3, v20 src0_sel:BYTE_0 src1_sel:DWORD
	v_mov_b32_e32 v53, 0x8000
	s_and_saveexec_b32 s50, s1
	s_cbranch_execz .LBB301_234
; %bb.229:                              ;   in Loop: Header=BB301_16 Depth=1
	v_bfe_u32 v55, v9, 16, 7
	v_mov_b32_e32 v53, 0x7c01
	s_mov_b32 s51, exec_lo
	v_cmpx_ne_u32_e32 0x7f, v55
	s_cbranch_execz .LBB301_233
; %bb.230:                              ;   in Loop: Header=BB301_16 Depth=1
	v_and_b32_e32 v53, 7, v3
	v_lshrrev_b32_e32 v54, 3, v55
	s_mov_b32 s52, exec_lo
	v_cmpx_gt_u32_e32 8, v55
; %bb.231:                              ;   in Loop: Header=BB301_16 Depth=1
	v_ffbh_u32_e32 v53, v53
	v_min_u32_e32 v55, 32, v53
	v_subrev_nc_u32_e32 v53, 28, v55
	v_lshlrev_b64 v[53:54], v53, v[3:4]
	v_sub_nc_u32_e32 v54, 29, v55
	v_and_b32_e32 v53, 7, v53
; %bb.232:                              ;   in Loop: Header=BB301_16 Depth=1
	s_or_b32 exec_lo, exec_lo, s52
	v_lshlrev_b32_e32 v3, 8, v3
	v_lshl_add_u32 v54, v54, 10, 0x2000
	v_lshlrev_b32_e32 v53, 7, v53
	v_and_b32_e32 v3, 0x8000, v3
	v_and_b32_e32 v54, 0xfc00, v54
	v_or3_b32 v53, v3, v54, v53
.LBB301_233:                            ;   in Loop: Header=BB301_16 Depth=1
	s_or_b32 exec_lo, exec_lo, s51
.LBB301_234:                            ;   in Loop: Header=BB301_16 Depth=1
	s_or_b32 exec_lo, exec_lo, s50
.LBB301_235:                            ;   in Loop: Header=BB301_16 Depth=1
	s_or_b32 exec_lo, exec_lo, s49
	v_mov_b32_e32 v54, 0
	v_mov_b32_e32 v55, 0
	s_mov_b32 s49, exec_lo
	v_cmpx_lt_u32_e32 0xffffff, v9
	s_cbranch_execz .LBB301_243
; %bb.236:                              ;   in Loop: Header=BB301_16 Depth=1
	v_lshrrev_b32_e32 v3, 24, v9
	v_bfrev_b32_e32 v55, 1
	s_mov_b32 s50, exec_lo
	v_cmpx_ne_u32_e32 0x80, v3
	s_cbranch_execz .LBB301_242
; %bb.237:                              ;   in Loop: Header=BB301_16 Depth=1
	v_and_b32_e32 v57, 0x7f, v3
	v_mov_b32_e32 v55, 0x7c010000
	s_mov_b32 s51, exec_lo
	v_cmpx_ne_u32_e32 0x7f, v57
	s_cbranch_execz .LBB301_241
; %bb.238:                              ;   in Loop: Header=BB301_16 Depth=1
	v_and_b32_e32 v55, 7, v3
	v_lshrrev_b32_e32 v56, 3, v57
	s_mov_b32 s52, exec_lo
	v_cmpx_gt_u32_e32 8, v57
; %bb.239:                              ;   in Loop: Header=BB301_16 Depth=1
	v_ffbh_u32_e32 v55, v55
	v_min_u32_e32 v57, 32, v55
	v_subrev_nc_u32_e32 v55, 28, v57
	v_lshlrev_b64 v[55:56], v55, v[3:4]
	v_sub_nc_u32_e32 v56, 29, v57
	v_and_b32_e32 v55, 7, v55
; %bb.240:                              ;   in Loop: Header=BB301_16 Depth=1
	s_or_b32 exec_lo, exec_lo, s52
	v_lshlrev_b32_e32 v3, 8, v3
	v_lshl_add_u32 v56, v56, 10, 0x2000
	v_lshlrev_b32_e32 v55, 23, v55
	v_and_or_b32 v3, 0x8000, v3, v56
	v_lshl_or_b32 v55, v3, 16, v55
.LBB301_241:                            ;   in Loop: Header=BB301_16 Depth=1
	s_or_b32 exec_lo, exec_lo, s51
.LBB301_242:                            ;   in Loop: Header=BB301_16 Depth=1
	s_or_b32 exec_lo, exec_lo, s50
.LBB301_243:                            ;   in Loop: Header=BB301_16 Depth=1
	s_or_b32 exec_lo, exec_lo, s49
	v_mov_b32_e32 v3, v10
	v_cmp_ne_u16_sdwa s1, v10, v4 src0_sel:BYTE_0 src1_sel:DWORD
	s_and_saveexec_b32 s49, s1
	s_cbranch_execz .LBB301_251
; %bb.244:                              ;   in Loop: Header=BB301_16 Depth=1
	v_cmp_ne_u16_sdwa s1, v10, v20 src0_sel:BYTE_0 src1_sel:DWORD
	v_mov_b32_e32 v54, 0x8000
	s_and_saveexec_b32 s50, s1
	s_cbranch_execz .LBB301_250
; %bb.245:                              ;   in Loop: Header=BB301_16 Depth=1
	v_and_b32_e32 v57, 0x7f, v10
	v_mov_b32_e32 v54, 0x7c01
	s_mov_b32 s51, exec_lo
	v_cmpx_ne_u32_e32 0x7f, v57
	s_cbranch_execz .LBB301_249
; %bb.246:                              ;   in Loop: Header=BB301_16 Depth=1
	v_and_b32_e32 v54, 7, v10
	v_lshrrev_b32_e32 v56, 3, v57
	s_mov_b32 s52, exec_lo
	v_cmpx_gt_u32_e32 8, v57
; %bb.247:                              ;   in Loop: Header=BB301_16 Depth=1
	v_ffbh_u32_e32 v54, v54
	v_min_u32_e32 v54, 32, v54
	v_subrev_nc_u32_e32 v56, 28, v54
	v_lshlrev_b64 v[57:58], v56, v[3:4]
	v_sub_nc_u32_e32 v56, 29, v54
	v_and_b32_e32 v54, 7, v57
; %bb.248:                              ;   in Loop: Header=BB301_16 Depth=1
	s_or_b32 exec_lo, exec_lo, s52
	v_lshlrev_b32_e32 v57, 8, v10
	v_lshl_add_u32 v56, v56, 10, 0x2000
	v_lshlrev_b32_e32 v54, 7, v54
	v_and_b32_e32 v57, 0x8000, v57
	v_and_b32_e32 v56, 0xfc00, v56
	v_or3_b32 v54, v57, v56, v54
.LBB301_249:                            ;   in Loop: Header=BB301_16 Depth=1
	s_or_b32 exec_lo, exec_lo, s51
.LBB301_250:                            ;   in Loop: Header=BB301_16 Depth=1
	s_or_b32 exec_lo, exec_lo, s50
.LBB301_251:                            ;   in Loop: Header=BB301_16 Depth=1
	s_or_b32 exec_lo, exec_lo, s49
	v_lshrrev_b16 v3, 8, v3
	v_mov_b32_e32 v56, 0
	v_mov_b32_e32 v57, 0
	s_mov_b32 s49, exec_lo
	v_cmpx_ne_u16_e32 0, v3
	s_cbranch_execz .LBB301_259
; %bb.252:                              ;   in Loop: Header=BB301_16 Depth=1
	v_bfrev_b32_e32 v57, 1
	s_mov_b32 s50, exec_lo
	v_cmpx_ne_u16_e32 0x80, v3
	s_cbranch_execz .LBB301_258
; %bb.253:                              ;   in Loop: Header=BB301_16 Depth=1
	v_and_b32_sdwa v59, v3, v21 dst_sel:DWORD dst_unused:UNUSED_PAD src0_sel:WORD_0 src1_sel:DWORD
	v_mov_b32_e32 v57, 0x7c010000
	s_mov_b32 s51, exec_lo
	v_cmpx_ne_u32_e32 0x7f, v59
	s_cbranch_execz .LBB301_257
; %bb.254:                              ;   in Loop: Header=BB301_16 Depth=1
	v_and_b32_sdwa v57, v3, v22 dst_sel:DWORD dst_unused:UNUSED_PAD src0_sel:WORD_0 src1_sel:DWORD
	v_lshrrev_b32_e32 v58, 3, v59
	s_mov_b32 s52, exec_lo
	v_cmpx_gt_u32_e32 8, v59
; %bb.255:                              ;   in Loop: Header=BB301_16 Depth=1
	v_ffbh_u32_e32 v57, v57
	v_min_u32_e32 v59, 32, v57
	v_subrev_nc_u32_e32 v57, 28, v59
	v_lshlrev_b64 v[57:58], v57, v[3:4]
	v_sub_nc_u32_e32 v58, 29, v59
	v_and_b32_e32 v57, 7, v57
; %bb.256:                              ;   in Loop: Header=BB301_16 Depth=1
	s_or_b32 exec_lo, exec_lo, s52
	v_lshlrev_b32_sdwa v3, v23, v3 dst_sel:DWORD dst_unused:UNUSED_PAD src0_sel:DWORD src1_sel:WORD_0
	v_lshl_add_u32 v58, v58, 10, 0x2000
	v_lshlrev_b32_e32 v57, 23, v57
	v_and_or_b32 v3, 0x8000, v3, v58
	v_lshl_or_b32 v57, v3, 16, v57
.LBB301_257:                            ;   in Loop: Header=BB301_16 Depth=1
	s_or_b32 exec_lo, exec_lo, s51
.LBB301_258:                            ;   in Loop: Header=BB301_16 Depth=1
	s_or_b32 exec_lo, exec_lo, s50
.LBB301_259:                            ;   in Loop: Header=BB301_16 Depth=1
	s_or_b32 exec_lo, exec_lo, s49
	v_lshrrev_b32_e32 v3, 16, v10
	v_cmp_ne_u16_sdwa s1, v3, v4 src0_sel:BYTE_0 src1_sel:DWORD
	s_and_saveexec_b32 s49, s1
	s_cbranch_execz .LBB301_267
; %bb.260:                              ;   in Loop: Header=BB301_16 Depth=1
	v_cmp_ne_u16_sdwa s1, v3, v20 src0_sel:BYTE_0 src1_sel:DWORD
	v_mov_b32_e32 v56, 0x8000
	s_and_saveexec_b32 s50, s1
	s_cbranch_execz .LBB301_266
; %bb.261:                              ;   in Loop: Header=BB301_16 Depth=1
	v_bfe_u32 v59, v10, 16, 7
	v_mov_b32_e32 v56, 0x7c01
	s_mov_b32 s51, exec_lo
	v_cmpx_ne_u32_e32 0x7f, v59
	s_cbranch_execz .LBB301_265
; %bb.262:                              ;   in Loop: Header=BB301_16 Depth=1
	v_and_b32_e32 v56, 7, v3
	v_lshrrev_b32_e32 v58, 3, v59
	s_mov_b32 s52, exec_lo
	v_cmpx_gt_u32_e32 8, v59
; %bb.263:                              ;   in Loop: Header=BB301_16 Depth=1
	v_ffbh_u32_e32 v56, v56
	v_min_u32_e32 v56, 32, v56
	v_subrev_nc_u32_e32 v58, 28, v56
	v_lshlrev_b64 v[59:60], v58, v[3:4]
	v_sub_nc_u32_e32 v58, 29, v56
	v_and_b32_e32 v56, 7, v59
; %bb.264:                              ;   in Loop: Header=BB301_16 Depth=1
	s_or_b32 exec_lo, exec_lo, s52
	v_lshlrev_b32_e32 v3, 8, v3
	v_lshl_add_u32 v58, v58, 10, 0x2000
	v_lshlrev_b32_e32 v56, 7, v56
	v_and_b32_e32 v3, 0x8000, v3
	v_and_b32_e32 v58, 0xfc00, v58
	v_or3_b32 v56, v3, v58, v56
.LBB301_265:                            ;   in Loop: Header=BB301_16 Depth=1
	s_or_b32 exec_lo, exec_lo, s51
.LBB301_266:                            ;   in Loop: Header=BB301_16 Depth=1
	s_or_b32 exec_lo, exec_lo, s50
.LBB301_267:                            ;   in Loop: Header=BB301_16 Depth=1
	s_or_b32 exec_lo, exec_lo, s49
	v_cmp_lt_u64_e64 s1, s[4:5], v[9:10]
	v_mov_b32_e32 v9, 0
	s_and_saveexec_b32 s49, s1
	s_cbranch_execz .LBB301_14
; %bb.268:                              ;   in Loop: Header=BB301_16 Depth=1
	v_lshrrev_b32_e32 v3, 24, v10
	v_bfrev_b32_e32 v9, 1
	s_mov_b32 s50, exec_lo
	v_cmpx_ne_u32_e32 0x80, v3
	s_cbranch_execz .LBB301_13
; %bb.269:                              ;   in Loop: Header=BB301_16 Depth=1
	v_and_b32_e32 v58, 0x7f, v3
	v_mov_b32_e32 v9, 0x7c010000
	s_mov_b32 s51, exec_lo
	v_cmpx_ne_u32_e32 0x7f, v58
	s_cbranch_execz .LBB301_12
; %bb.270:                              ;   in Loop: Header=BB301_16 Depth=1
	v_and_b32_e32 v9, 7, v3
	v_lshrrev_b32_e32 v10, 3, v58
	s_mov_b32 s52, exec_lo
	v_cmpx_gt_u32_e32 8, v58
	s_cbranch_execz .LBB301_11
; %bb.271:                              ;   in Loop: Header=BB301_16 Depth=1
	v_ffbh_u32_e32 v9, v9
	v_min_u32_e32 v58, 32, v9
	v_subrev_nc_u32_e32 v9, 28, v58
	v_lshlrev_b64 v[9:10], v9, v[3:4]
	v_sub_nc_u32_e32 v10, 29, v58
	v_and_b32_e32 v9, 7, v9
	s_branch .LBB301_11
.LBB301_272:
	s_or_b32 exec_lo, exec_lo, s48
.LBB301_273:
	s_or_b32 exec_lo, exec_lo, s44
	v_mbcnt_lo_u32_b32 v3, -1, 0
	v_max_f32_e32 v7, v17, v17
	v_xor_b32_e32 v4, 16, v3
	v_xor_b32_e32 v6, 8, v3
	v_cmp_gt_i32_e32 vcc_lo, 32, v4
	v_cndmask_b32_e32 v4, v3, v4, vcc_lo
	v_cmp_gt_i32_e32 vcc_lo, 32, v6
	v_lshlrev_b32_e32 v4, 2, v4
	v_cndmask_b32_e32 v6, v3, v6, vcc_lo
	ds_bpermute_b32 v5, v4, v17
	s_waitcnt lgkmcnt(0)
	v_max_f32_e32 v8, v5, v5
	v_lshlrev_b32_e32 v5, 2, v6
	v_max_f32_e32 v6, v7, v8
	v_xor_b32_e32 v8, 4, v3
	ds_bpermute_b32 v7, v5, v6
	v_cmp_gt_i32_e32 vcc_lo, 32, v8
	v_cndmask_b32_e32 v8, v3, v8, vcc_lo
	s_waitcnt lgkmcnt(0)
	v_max_f32_e32 v9, v7, v7
	v_lshlrev_b32_e32 v7, 2, v8
	v_max_f32_e32 v6, v6, v9
	v_xor_b32_e32 v9, 2, v3
	ds_bpermute_b32 v8, v7, v6
	v_cmp_gt_i32_e32 vcc_lo, 32, v9
	v_cndmask_b32_e32 v9, v3, v9, vcc_lo
	v_lshlrev_b32_e32 v12, 2, v9
	v_xor_b32_e32 v9, 1, v3
	v_cmp_gt_i32_e32 vcc_lo, 32, v9
	s_waitcnt lgkmcnt(0)
	v_max_f32_e32 v8, v8, v8
	v_cndmask_b32_e32 v9, v3, v9, vcc_lo
	v_cmp_eq_u32_e32 vcc_lo, 0, v14
	v_max_f32_e32 v6, v6, v8
	v_lshlrev_b32_e32 v17, 2, v9
	ds_bpermute_b32 v8, v12, v6
	s_waitcnt lgkmcnt(0)
	v_max_f32_e32 v8, v8, v8
	v_max_f32_e32 v3, v6, v8
	v_lshlrev_b32_e32 v8, 2, v13
	ds_bpermute_b32 v6, v17, v3
	s_and_saveexec_b32 s1, vcc_lo
	s_cbranch_execz .LBB301_275
; %bb.274:
	s_waitcnt lgkmcnt(0)
	v_max_f32_e32 v6, v6, v6
	v_max_f32_e32 v3, v3, v3
	;; [unrolled: 1-line block ×3, first 2 shown]
	ds_write_b32 v8, v3 offset:64
.LBB301_275:
	s_or_b32 exec_lo, exec_lo, s1
	v_cmp_gt_u32_e64 s1, 4, v14
	v_mov_b32_e32 v3, 0xff7fffff
	s_waitcnt lgkmcnt(0)
	s_barrier
	buffer_gl0_inv
	s_and_saveexec_b32 s2, s1
; %bb.276:
	ds_read_b32 v3, v16 offset:64
; %bb.277:
	s_or_b32 exec_lo, exec_lo, s2
	s_waitcnt lgkmcnt(0)
	ds_bpermute_b32 v6, v12, v3
	v_max_f32_e32 v3, v3, v3
	v_mov_b32_e32 v9, 0
	s_sub_i32 s2, s20, s43
	s_lshl_b32 s2, s2, 5
	s_add_i32 s2, s2, s40
	s_min_i32 s2, s2, s31
	s_sub_i32 s4, s2, s40
	v_cmp_gt_i32_e64 s2, s4, v0
	s_waitcnt lgkmcnt(0)
	v_max_f32_e32 v6, v6, v6
	v_max_f32_e32 v3, v3, v6
	ds_bpermute_b32 v6, v17, v3
	s_waitcnt lgkmcnt(0)
	v_max_f32_e32 v6, v6, v6
	v_max_f32_e32 v3, v3, v6
	v_lshl_add_u32 v6, v0, 2, 0x60
	ds_bpermute_b32 v3, v9, v3
	s_and_saveexec_b32 s5, s2
	s_cbranch_execz .LBB301_281
; %bb.278:
	v_lshl_add_u32 v10, v0, 2, 0x60
	v_mov_b32_e32 v9, 0
	v_mov_b32_e32 v11, v0
	s_mov_b32 s12, 0
	.p2align	6
.LBB301_279:                            ; =>This Inner Loop Header: Depth=1
	ds_read_b32 v18, v10
	v_add_nc_u32_e32 v11, 0x80, v11
	v_cmp_le_i32_e64 s3, s4, v11
	s_or_b32 s12, s3, s12
	s_waitcnt lgkmcnt(0)
	v_sub_f32_e32 v18, v18, v3
	v_mul_f32_e32 v18, 0x3fb8aa3b, v18
	v_exp_f32_e32 v18, v18
	ds_write_b32 v10, v18
	v_add_f32_e32 v9, v9, v18
	v_add_nc_u32_e32 v10, 0x200, v10
	s_andn2_b32 exec_lo, exec_lo, s12
	s_cbranch_execnz .LBB301_279
; %bb.280:
	s_or_b32 exec_lo, exec_lo, s12
.LBB301_281:
	s_or_b32 exec_lo, exec_lo, s5
	ds_bpermute_b32 v4, v4, v9
	s_waitcnt lgkmcnt(0)
	v_add_f32_e32 v4, v9, v4
	ds_bpermute_b32 v5, v5, v4
	s_waitcnt lgkmcnt(0)
	v_add_f32_e32 v4, v4, v5
	;; [unrolled: 3-line block ×5, first 2 shown]
	s_and_saveexec_b32 s3, vcc_lo
; %bb.282:
	ds_write_b32 v8, v4 offset:80
; %bb.283:
	s_or_b32 exec_lo, exec_lo, s3
	s_waitcnt lgkmcnt(0)
	s_barrier
	buffer_gl0_inv
	s_and_saveexec_b32 s3, s1
; %bb.284:
	ds_read_b32 v4, v16 offset:80
; %bb.285:
	s_or_b32 exec_lo, exec_lo, s3
	s_waitcnt lgkmcnt(0)
	ds_bpermute_b32 v5, v12, v4
	s_waitcnt lgkmcnt(0)
	v_add_f32_e32 v4, v4, v5
	ds_bpermute_b32 v5, v17, v4
	s_waitcnt lgkmcnt(0)
	v_add_f32_e32 v4, v4, v5
	v_mov_b32_e32 v5, 0
	ds_bpermute_b32 v4, v5, v4
	s_and_saveexec_b32 s1, s2
	s_cbranch_execz .LBB301_288
; %bb.286:
	s_waitcnt lgkmcnt(0)
	v_add_f32_e32 v5, 0x358637bd, v4
	s_mov_b32 s2, 0
	v_div_scale_f32 v7, null, v5, v5, 1.0
	v_div_scale_f32 v10, vcc_lo, 1.0, v5, 1.0
	v_rcp_f32_e32 v8, v7
	v_fma_f32 v9, -v7, v8, 1.0
	v_fmac_f32_e32 v8, v9, v8
	v_mul_f32_e32 v9, v10, v8
	v_fma_f32 v11, -v7, v9, v10
	v_fmac_f32_e32 v9, v11, v8
	v_fma_f32 v7, -v7, v9, v10
	v_div_fmas_f32 v7, v7, v8, v9
	v_div_fixup_f32 v5, v7, v5, 1.0
	v_mov_b32_e32 v7, v0
.LBB301_287:                            ; =>This Inner Loop Header: Depth=1
	ds_read_b32 v8, v6
	v_add_nc_u32_e32 v7, 0x80, v7
	v_cmp_le_i32_e32 vcc_lo, s4, v7
	s_or_b32 s2, vcc_lo, s2
	s_waitcnt lgkmcnt(0)
	v_mul_f32_e32 v8, v5, v8
	ds_write_b32 v6, v8
	v_add_nc_u32_e32 v6, 0x200, v6
	s_andn2_b32 exec_lo, exec_lo, s2
	s_cbranch_execnz .LBB301_287
.LBB301_288:
	s_or_b32 exec_lo, exec_lo, s1
	s_mul_i32 s1, s7, s30
	s_waitcnt lgkmcnt(0)
	s_mul_i32 s2, s1, s9
	s_mov_b32 s1, exec_lo
	s_barrier
	buffer_gl0_inv
	v_cmpx_eq_u32_e32 0, v0
	s_cbranch_execz .LBB301_290
; %bb.289:
	s_ashr_i32 s3, s2, 31
	s_mul_i32 s12, s7, s6
	s_lshl_b64 s[4:5], s[2:3], 2
	v_mov_b32_e32 v5, 0
	s_add_u32 s3, s26, s4
	s_addc_u32 s6, s27, s5
	s_ashr_i32 s13, s12, 31
	s_lshl_b64 s[12:13], s[12:13], 2
	s_add_u32 s3, s3, s12
	s_addc_u32 s6, s6, s13
	s_ashr_i32 s9, s8, 31
	s_lshl_b64 s[26:27], s[8:9], 2
	s_add_u32 s42, s3, s26
	s_addc_u32 s43, s6, s27
	s_add_u32 s3, s24, s4
	s_addc_u32 s4, s25, s5
	;; [unrolled: 2-line block ×4, first 2 shown]
	global_store_dword v5, v3, s[42:43]
	global_store_dword v5, v4, s[4:5]
.LBB301_290:
	s_or_b32 exec_lo, exec_lo, s1
	v_mov_b32_e32 v21, 0
	v_and_b32_e32 v16, 3, v0
	v_mov_b32_e32 v20, 0
	v_mov_b32_e32 v19, 0
	v_mov_b32_e32 v18, 0
	s_and_saveexec_b32 s1, s0
	s_cbranch_execz .LBB301_560
; %bb.291:
	s_sub_i32 s3, s41, s21
	s_ashr_i32 s0, s18, 31
	s_add_u32 s12, s38, s18
	s_addc_u32 s0, s39, s0
	s_abs_i32 s6, s22
	v_lshlrev_b32_e32 v7, 3, v0
	v_cvt_f32_u32_e32 v3, s6
	s_sub_i32 s4, 0, s6
	v_lshlrev_b64 v[4:5], 2, v[1:2]
	v_lshlrev_b32_e32 v2, 5, v16
	v_and_b32_e32 v26, 24, v7
	v_rcp_iflag_f32_e32 v6, v3
	v_and_b32_e32 v7, 0xf8, v7
	s_add_i32 s33, s33, -1
	v_lshl_or_b32 v2, v13, 7, v2
	v_mov_b32_e32 v3, 0
	v_mov_b32_e32 v22, 0x80
	;; [unrolled: 1-line block ×6, first 2 shown]
	v_mul_f32_e32 v6, 0x4f7ffffe, v6
	v_mov_b32_e32 v19, 0
	v_mov_b32_e32 v20, 0
	v_add_nc_u32_e32 v27, 0x60, v2
	v_mov_b32_e32 v21, 0
	v_cvt_u32_f32_e32 v8, v6
	s_mov_b32 s9, s17
	v_mul_lo_u32 v6, s4, v8
	s_lshl_b64 s[4:5], s[36:37], 2
	s_add_u32 s4, s34, s4
	s_addc_u32 s5, s35, s5
	v_add_co_u32 v4, vcc_lo, s4, v4
	v_add_co_ci_u32_e64 v5, null, s5, v5, vcc_lo
	v_mul_hi_u32 v9, v8, v6
	v_add_co_u32 v6, s4, s12, v7
	v_add_co_ci_u32_e64 v7, null, s0, 0, s4
	s_mov_b32 s4, -1
	s_mov_b32 s5, 0xffffff
	s_mov_b32 s12, 0
	v_add_nc_u32_e32 v28, v8, v9
	s_branch .LBB301_294
.LBB301_292:                            ;   in Loop: Header=BB301_294 Depth=1
	s_or_b32 exec_lo, exec_lo, s0
	;;#ASMSTART
	v_pk_mul_f16 v29, v42, v47;

	;;#ASMEND
	;;#ASMSTART
	v_pk_mul_f16 v9, v41, v9;

	;;#ASMEND
	;; [unrolled: 4-line block ×4, first 2 shown]
	;;#ASMSTART
	v_pk_add_f16 v9, v29, v9;

	;;#ASMEND
	;;#ASMSTART
	v_pk_add_f16 v8, v9, v8;

	;;#ASMEND
	;; [unrolled: 4-line block ×3, first 2 shown]
	v_and_b32_e32 v29, 0xffff, v2
	v_lshrrev_b32_e32 v30, 16, v2
	v_add_f32_e32 v2, v10, v11
	;;#ASMSTART
	v_cvt_f32_f16 v10, v29;
	;;#ASMEND
	v_add_f32_e32 v8, v43, v44
	v_add_f32_e32 v9, v37, v38
	;;#ASMSTART
	v_cvt_f32_f16 v11, v30;
	;;#ASMEND
	v_add_f32_e32 v10, v10, v11
	v_add_f32_e32 v19, v19, v2
	v_add_f32_e32 v20, v20, v8
	v_add_f32_e32 v21, v21, v9
	v_add_f32_e32 v18, v18, v10
.LBB301_293:                            ;   in Loop: Header=BB301_294 Depth=1
	s_or_b32 exec_lo, exec_lo, s13
	v_add_nc_u32_e32 v1, 4, v1
	v_add_co_u32 v4, s0, v4, 16
	v_add_co_ci_u32_e64 v5, null, 0, v5, s0
	v_cmp_le_i32_e32 vcc_lo, s20, v1
	v_add_nc_u32_e32 v15, 0x80, v15
	v_add_nc_u32_e32 v27, 0x200, v27
	s_or_b32 s12, vcc_lo, s12
	s_andn2_b32 exec_lo, exec_lo, s12
	s_cbranch_execz .LBB301_559
.LBB301_294:                            ; =>This Inner Loop Header: Depth=1
	v_sub_nc_u32_e32 v2, 0, v15
	v_max_i32_e32 v2, v15, v2
	v_mul_hi_u32 v8, v2, s16
	v_mul_lo_u32 v9, v8, s11
	v_sub_nc_u32_e32 v2, v2, v9
	v_add_nc_u32_e32 v9, 1, v8
	v_subrev_nc_u32_e32 v10, s11, v2
	v_cmp_le_u32_e32 vcc_lo, s11, v2
	v_cndmask_b32_e32 v8, v8, v9, vcc_lo
	v_cndmask_b32_e32 v2, v2, v10, vcc_lo
	v_ashrrev_i32_e32 v9, 31, v15
	v_add_nc_u32_e32 v10, 1, v8
	v_cmp_le_u32_e32 vcc_lo, s11, v2
	v_xor_b32_e32 v9, s23, v9
	v_cndmask_b32_e32 v2, v8, v10, vcc_lo
	v_xor_b32_e32 v2, v2, v9
	v_sub_nc_u32_e32 v2, v2, v9
	v_add_nc_u32_e32 v8, s19, v2
	v_cmp_lt_i32_e64 s0, s3, v2
	v_sub_nc_u32_e32 v9, 0, v8
	v_max_i32_e32 v9, v8, v9
	v_ashrrev_i32_e32 v8, 31, v8
	v_mul_hi_u32 v10, v9, v28
	v_mul_lo_u32 v10, v10, s6
	v_sub_nc_u32_e32 v9, v9, v10
	v_subrev_nc_u32_e32 v10, s6, v9
	v_cmp_le_u32_e32 vcc_lo, s6, v9
	v_cndmask_b32_e32 v9, v9, v10, vcc_lo
	v_subrev_nc_u32_e32 v10, s6, v9
	v_cmp_le_u32_e32 vcc_lo, s6, v9
	v_cndmask_b32_e32 v9, v9, v10, vcc_lo
	v_xor_b32_e32 v9, v9, v8
	v_sub_nc_u32_e32 v8, v9, v8
	v_cmp_eq_u32_e32 vcc_lo, 0, v8
	s_or_b32 s0, vcc_lo, s0
	s_and_saveexec_b32 s13, s0
	s_cbranch_execz .LBB301_293
; %bb.295:                              ;   in Loop: Header=BB301_294 Depth=1
	global_load_dword v2, v[4:5], off
	ds_read2_b64 v[29:32], v27 offset1:1
	ds_read2_b64 v[33:36], v27 offset0:2 offset1:3
	s_waitcnt lgkmcnt(1)
	;;#ASMSTART
	v_cvt_f16_f32 v37, v29;

	;;#ASMEND
	;;#ASMSTART
	v_cvt_f16_f32 v38, v30;

	;;#ASMEND
	;; [unrolled: 4-line block ×4, first 2 shown]
	s_waitcnt lgkmcnt(0)
	;;#ASMSTART
	v_cvt_f16_f32 v42, v33;

	;;#ASMEND
	;;#ASMSTART
	v_cvt_f16_f32 v40, v34;

	;;#ASMEND
	;; [unrolled: 4-line block ×4, first 2 shown]
	v_mov_b32_e32 v31, 0
	v_mov_b32_e32 v32, 0
	global_load_dword v30, v31, s[14:15]
	s_waitcnt vmcnt(1)
	v_mad_i64_i32 v[8:9], null, v2, s9, v[6:7]
	global_load_dwordx2 v[10:11], v[8:9], off
	s_waitcnt vmcnt(0)
	v_cmp_ne_u16_sdwa s17, v10, v3 src0_sel:BYTE_0 src1_sel:DWORD
	s_and_saveexec_b32 s0, s17
	s_cbranch_execz .LBB301_303
; %bb.296:                              ;   in Loop: Header=BB301_294 Depth=1
	v_cmp_ne_u16_sdwa s18, v10, v22 src0_sel:BYTE_0 src1_sel:DWORD
	v_mov_b32_e32 v32, 0x8000
	s_and_saveexec_b32 s17, s18
	s_cbranch_execz .LBB301_302
; %bb.297:                              ;   in Loop: Header=BB301_294 Depth=1
	v_and_b32_e32 v33, 0x7f, v10
	v_mov_b32_e32 v32, 0x7c01
	s_mov_b32 s18, exec_lo
	v_cmpx_ne_u32_e32 0x7f, v33
	s_cbranch_execz .LBB301_301
; %bb.298:                              ;   in Loop: Header=BB301_294 Depth=1
	v_and_b32_e32 v2, 7, v10
	v_lshrrev_b32_e32 v29, 3, v33
	s_mov_b32 s21, exec_lo
	v_cmpx_gt_u32_e32 8, v33
; %bb.299:                              ;   in Loop: Header=BB301_294 Depth=1
	v_ffbh_u32_e32 v2, v2
	v_min_u32_e32 v2, 32, v2
	v_subrev_nc_u32_e32 v29, 28, v2
	v_lshlrev_b64 v[32:33], v29, v[10:11]
	v_sub_nc_u32_e32 v29, 29, v2
	v_and_b32_e32 v2, 7, v32
; %bb.300:                              ;   in Loop: Header=BB301_294 Depth=1
	s_or_b32 exec_lo, exec_lo, s21
	v_lshlrev_b32_e32 v32, 8, v10
	v_lshl_add_u32 v29, v29, 10, 0x2000
	v_lshlrev_b32_e32 v2, 7, v2
	v_and_b32_e32 v32, 0x8000, v32
	v_and_b32_e32 v29, 0xfc00, v29
	v_or3_b32 v32, v32, v29, v2
.LBB301_301:                            ;   in Loop: Header=BB301_294 Depth=1
	s_or_b32 exec_lo, exec_lo, s18
.LBB301_302:                            ;   in Loop: Header=BB301_294 Depth=1
	s_or_b32 exec_lo, exec_lo, s17
.LBB301_303:                            ;   in Loop: Header=BB301_294 Depth=1
	s_or_b32 exec_lo, exec_lo, s0
	v_lshrrev_b16 v2, 8, v10
	s_mov_b32 s0, exec_lo
	v_cmpx_ne_u16_e32 0, v2
	s_cbranch_execz .LBB301_311
; %bb.304:                              ;   in Loop: Header=BB301_294 Depth=1
	v_bfrev_b32_e32 v31, 1
	s_mov_b32 s17, exec_lo
	v_cmpx_ne_u16_e32 0x80, v2
	s_cbranch_execz .LBB301_310
; %bb.305:                              ;   in Loop: Header=BB301_294 Depth=1
	v_and_b32_sdwa v33, v2, v23 dst_sel:DWORD dst_unused:UNUSED_PAD src0_sel:WORD_0 src1_sel:DWORD
	v_mov_b32_e32 v31, 0x7c010000
	s_mov_b32 s18, exec_lo
	v_cmpx_ne_u32_e32 0x7f, v33
	s_cbranch_execz .LBB301_309
; %bb.306:                              ;   in Loop: Header=BB301_294 Depth=1
	v_and_b32_sdwa v29, v2, v24 dst_sel:DWORD dst_unused:UNUSED_PAD src0_sel:WORD_0 src1_sel:DWORD
	v_lshrrev_b32_e32 v31, 3, v33
	s_mov_b32 s21, exec_lo
	v_cmpx_gt_u32_e32 8, v33
; %bb.307:                              ;   in Loop: Header=BB301_294 Depth=1
	v_ffbh_u32_e32 v29, v29
	v_min_u32_e32 v29, 32, v29
	v_subrev_nc_u32_e32 v31, 28, v29
	v_lshlrev_b64 v[33:34], v31, v[2:3]
	v_sub_nc_u32_e32 v31, 29, v29
	v_and_b32_e32 v29, 7, v33
; %bb.308:                              ;   in Loop: Header=BB301_294 Depth=1
	s_or_b32 exec_lo, exec_lo, s21
	v_lshlrev_b32_sdwa v2, v25, v2 dst_sel:DWORD dst_unused:UNUSED_PAD src0_sel:DWORD src1_sel:WORD_0
	v_lshl_add_u32 v31, v31, 10, 0x2000
	v_lshlrev_b32_e32 v29, 23, v29
	v_and_or_b32 v2, 0x8000, v2, v31
	v_lshl_or_b32 v31, v2, 16, v29
.LBB301_309:                            ;   in Loop: Header=BB301_294 Depth=1
	s_or_b32 exec_lo, exec_lo, s18
.LBB301_310:                            ;   in Loop: Header=BB301_294 Depth=1
	s_or_b32 exec_lo, exec_lo, s17
.LBB301_311:                            ;   in Loop: Header=BB301_294 Depth=1
	s_or_b32 exec_lo, exec_lo, s0
	v_lshrrev_b32_e32 v2, 16, v10
	v_mov_b32_e32 v33, 0
	v_mov_b32_e32 v29, 0
	v_cmp_ne_u16_sdwa s17, v2, v3 src0_sel:BYTE_0 src1_sel:DWORD
	s_and_saveexec_b32 s0, s17
	s_cbranch_execz .LBB301_319
; %bb.312:                              ;   in Loop: Header=BB301_294 Depth=1
	v_cmp_ne_u16_sdwa s18, v2, v22 src0_sel:BYTE_0 src1_sel:DWORD
	v_mov_b32_e32 v29, 0x8000
	s_and_saveexec_b32 s17, s18
	s_cbranch_execz .LBB301_318
; %bb.313:                              ;   in Loop: Header=BB301_294 Depth=1
	v_bfe_u32 v35, v10, 16, 7
	v_mov_b32_e32 v29, 0x7c01
	s_mov_b32 s18, exec_lo
	v_cmpx_ne_u32_e32 0x7f, v35
	s_cbranch_execz .LBB301_317
; %bb.314:                              ;   in Loop: Header=BB301_294 Depth=1
	v_and_b32_e32 v29, 7, v2
	v_lshrrev_b32_e32 v34, 3, v35
	s_mov_b32 s21, exec_lo
	v_cmpx_gt_u32_e32 8, v35
; %bb.315:                              ;   in Loop: Header=BB301_294 Depth=1
	v_ffbh_u32_e32 v29, v29
	v_min_u32_e32 v29, 32, v29
	v_subrev_nc_u32_e32 v34, 28, v29
	v_lshlrev_b64 v[35:36], v34, v[2:3]
	v_sub_nc_u32_e32 v34, 29, v29
	v_and_b32_e32 v29, 7, v35
; %bb.316:                              ;   in Loop: Header=BB301_294 Depth=1
	s_or_b32 exec_lo, exec_lo, s21
	v_lshlrev_b32_e32 v2, 8, v2
	v_lshl_add_u32 v34, v34, 10, 0x2000
	v_lshlrev_b32_e32 v29, 7, v29
	v_and_b32_e32 v2, 0x8000, v2
	v_and_b32_e32 v34, 0xfc00, v34
	v_or3_b32 v29, v2, v34, v29
.LBB301_317:                            ;   in Loop: Header=BB301_294 Depth=1
	s_or_b32 exec_lo, exec_lo, s18
.LBB301_318:                            ;   in Loop: Header=BB301_294 Depth=1
	s_or_b32 exec_lo, exec_lo, s17
.LBB301_319:                            ;   in Loop: Header=BB301_294 Depth=1
	s_or_b32 exec_lo, exec_lo, s0
	s_mov_b32 s0, exec_lo
	v_cmpx_lt_u32_e32 0xffffff, v10
	s_cbranch_execz .LBB301_327
; %bb.320:                              ;   in Loop: Header=BB301_294 Depth=1
	v_lshrrev_b32_e32 v2, 24, v10
	v_bfrev_b32_e32 v33, 1
	s_mov_b32 s17, exec_lo
	v_cmpx_ne_u32_e32 0x80, v2
	s_cbranch_execz .LBB301_326
; %bb.321:                              ;   in Loop: Header=BB301_294 Depth=1
	v_and_b32_e32 v35, 0x7f, v2
	v_mov_b32_e32 v33, 0x7c010000
	s_mov_b32 s18, exec_lo
	v_cmpx_ne_u32_e32 0x7f, v35
	s_cbranch_execz .LBB301_325
; %bb.322:                              ;   in Loop: Header=BB301_294 Depth=1
	v_and_b32_e32 v33, 7, v2
	v_lshrrev_b32_e32 v34, 3, v35
	s_mov_b32 s21, exec_lo
	v_cmpx_gt_u32_e32 8, v35
; %bb.323:                              ;   in Loop: Header=BB301_294 Depth=1
	v_ffbh_u32_e32 v33, v33
	v_min_u32_e32 v35, 32, v33
	v_subrev_nc_u32_e32 v33, 28, v35
	v_lshlrev_b64 v[33:34], v33, v[2:3]
	v_sub_nc_u32_e32 v34, 29, v35
	v_and_b32_e32 v33, 7, v33
; %bb.324:                              ;   in Loop: Header=BB301_294 Depth=1
	s_or_b32 exec_lo, exec_lo, s21
	v_lshlrev_b32_e32 v2, 8, v2
	v_lshl_add_u32 v34, v34, 10, 0x2000
	v_lshlrev_b32_e32 v33, 23, v33
	v_and_or_b32 v2, 0x8000, v2, v34
	v_lshl_or_b32 v33, v2, 16, v33
.LBB301_325:                            ;   in Loop: Header=BB301_294 Depth=1
	s_or_b32 exec_lo, exec_lo, s18
.LBB301_326:                            ;   in Loop: Header=BB301_294 Depth=1
	s_or_b32 exec_lo, exec_lo, s17
.LBB301_327:                            ;   in Loop: Header=BB301_294 Depth=1
	s_or_b32 exec_lo, exec_lo, s0
	v_mov_b32_e32 v2, v11
	v_cmp_ne_u16_sdwa s17, v11, v3 src0_sel:BYTE_0 src1_sel:DWORD
	v_mov_b32_e32 v34, 0
	v_mov_b32_e32 v35, 0
	s_and_saveexec_b32 s0, s17
	s_cbranch_execz .LBB301_335
; %bb.328:                              ;   in Loop: Header=BB301_294 Depth=1
	v_cmp_ne_u16_sdwa s18, v11, v22 src0_sel:BYTE_0 src1_sel:DWORD
	v_mov_b32_e32 v35, 0x8000
	s_and_saveexec_b32 s17, s18
	s_cbranch_execz .LBB301_334
; %bb.329:                              ;   in Loop: Header=BB301_294 Depth=1
	v_and_b32_e32 v45, 0x7f, v11
	v_mov_b32_e32 v35, 0x7c01
	s_mov_b32 s18, exec_lo
	v_cmpx_ne_u32_e32 0x7f, v45
	s_cbranch_execz .LBB301_333
; %bb.330:                              ;   in Loop: Header=BB301_294 Depth=1
	v_and_b32_e32 v35, 7, v11
	v_lshrrev_b32_e32 v36, 3, v45
	s_mov_b32 s21, exec_lo
	v_cmpx_gt_u32_e32 8, v45
; %bb.331:                              ;   in Loop: Header=BB301_294 Depth=1
	v_ffbh_u32_e32 v35, v35
	v_min_u32_e32 v45, 32, v35
	v_subrev_nc_u32_e32 v35, 28, v45
	v_lshlrev_b64 v[35:36], v35, v[2:3]
	v_sub_nc_u32_e32 v36, 29, v45
	v_and_b32_e32 v35, 7, v35
; %bb.332:                              ;   in Loop: Header=BB301_294 Depth=1
	s_or_b32 exec_lo, exec_lo, s21
	v_lshlrev_b32_e32 v45, 8, v11
	v_lshl_add_u32 v36, v36, 10, 0x2000
	v_lshlrev_b32_e32 v35, 7, v35
	v_and_b32_e32 v45, 0x8000, v45
	v_and_b32_e32 v36, 0xfc00, v36
	v_or3_b32 v35, v45, v36, v35
.LBB301_333:                            ;   in Loop: Header=BB301_294 Depth=1
	s_or_b32 exec_lo, exec_lo, s18
.LBB301_334:                            ;   in Loop: Header=BB301_294 Depth=1
	s_or_b32 exec_lo, exec_lo, s17
.LBB301_335:                            ;   in Loop: Header=BB301_294 Depth=1
	s_or_b32 exec_lo, exec_lo, s0
	v_lshrrev_b16 v2, 8, v2
	v_mov_b32_e32 v36, 0
	s_mov_b32 s0, exec_lo
	v_cmpx_ne_u16_e32 0, v2
	s_cbranch_execz .LBB301_343
; %bb.336:                              ;   in Loop: Header=BB301_294 Depth=1
	v_bfrev_b32_e32 v36, 1
	s_mov_b32 s17, exec_lo
	v_cmpx_ne_u16_e32 0x80, v2
	s_cbranch_execz .LBB301_342
; %bb.337:                              ;   in Loop: Header=BB301_294 Depth=1
	v_and_b32_sdwa v46, v2, v23 dst_sel:DWORD dst_unused:UNUSED_PAD src0_sel:WORD_0 src1_sel:DWORD
	v_mov_b32_e32 v36, 0x7c010000
	s_mov_b32 s18, exec_lo
	v_cmpx_ne_u32_e32 0x7f, v46
	s_cbranch_execz .LBB301_341
; %bb.338:                              ;   in Loop: Header=BB301_294 Depth=1
	v_and_b32_sdwa v36, v2, v24 dst_sel:DWORD dst_unused:UNUSED_PAD src0_sel:WORD_0 src1_sel:DWORD
	v_lshrrev_b32_e32 v45, 3, v46
	s_mov_b32 s21, exec_lo
	v_cmpx_gt_u32_e32 8, v46
; %bb.339:                              ;   in Loop: Header=BB301_294 Depth=1
	v_ffbh_u32_e32 v36, v36
	v_min_u32_e32 v36, 32, v36
	v_subrev_nc_u32_e32 v45, 28, v36
	v_lshlrev_b64 v[46:47], v45, v[2:3]
	v_sub_nc_u32_e32 v45, 29, v36
	v_and_b32_e32 v36, 7, v46
; %bb.340:                              ;   in Loop: Header=BB301_294 Depth=1
	s_or_b32 exec_lo, exec_lo, s21
	v_lshlrev_b32_sdwa v2, v25, v2 dst_sel:DWORD dst_unused:UNUSED_PAD src0_sel:DWORD src1_sel:WORD_0
	v_lshl_add_u32 v45, v45, 10, 0x2000
	v_lshlrev_b32_e32 v36, 23, v36
	v_and_or_b32 v2, 0x8000, v2, v45
	v_lshl_or_b32 v36, v2, 16, v36
.LBB301_341:                            ;   in Loop: Header=BB301_294 Depth=1
	s_or_b32 exec_lo, exec_lo, s18
.LBB301_342:                            ;   in Loop: Header=BB301_294 Depth=1
	s_or_b32 exec_lo, exec_lo, s17
.LBB301_343:                            ;   in Loop: Header=BB301_294 Depth=1
	s_or_b32 exec_lo, exec_lo, s0
	v_lshrrev_b32_e32 v2, 16, v11
	v_cmp_ne_u16_sdwa s17, v2, v3 src0_sel:BYTE_0 src1_sel:DWORD
	s_and_saveexec_b32 s0, s17
	s_cbranch_execz .LBB301_351
; %bb.344:                              ;   in Loop: Header=BB301_294 Depth=1
	v_cmp_ne_u16_sdwa s18, v2, v22 src0_sel:BYTE_0 src1_sel:DWORD
	v_mov_b32_e32 v34, 0x8000
	s_and_saveexec_b32 s17, s18
	s_cbranch_execz .LBB301_350
; %bb.345:                              ;   in Loop: Header=BB301_294 Depth=1
	v_bfe_u32 v46, v11, 16, 7
	v_mov_b32_e32 v34, 0x7c01
	s_mov_b32 s18, exec_lo
	v_cmpx_ne_u32_e32 0x7f, v46
	s_cbranch_execz .LBB301_349
; %bb.346:                              ;   in Loop: Header=BB301_294 Depth=1
	v_and_b32_e32 v34, 7, v2
	v_lshrrev_b32_e32 v45, 3, v46
	s_mov_b32 s21, exec_lo
	v_cmpx_gt_u32_e32 8, v46
; %bb.347:                              ;   in Loop: Header=BB301_294 Depth=1
	v_ffbh_u32_e32 v34, v34
	v_min_u32_e32 v34, 32, v34
	v_subrev_nc_u32_e32 v45, 28, v34
	v_lshlrev_b64 v[46:47], v45, v[2:3]
	v_sub_nc_u32_e32 v45, 29, v34
	v_and_b32_e32 v34, 7, v46
; %bb.348:                              ;   in Loop: Header=BB301_294 Depth=1
	s_or_b32 exec_lo, exec_lo, s21
	v_lshlrev_b32_e32 v2, 8, v2
	v_lshl_add_u32 v45, v45, 10, 0x2000
	v_lshlrev_b32_e32 v34, 7, v34
	v_and_b32_e32 v2, 0x8000, v2
	v_and_b32_e32 v45, 0xfc00, v45
	v_or3_b32 v34, v2, v45, v34
.LBB301_349:                            ;   in Loop: Header=BB301_294 Depth=1
	s_or_b32 exec_lo, exec_lo, s18
.LBB301_350:                            ;   in Loop: Header=BB301_294 Depth=1
	s_or_b32 exec_lo, exec_lo, s17
.LBB301_351:                            ;   in Loop: Header=BB301_294 Depth=1
	s_or_b32 exec_lo, exec_lo, s0
	v_cmp_lt_u64_e32 vcc_lo, s[4:5], v[10:11]
	v_mov_b32_e32 v10, 0
	s_and_saveexec_b32 s0, vcc_lo
	s_cbranch_execz .LBB301_359
; %bb.352:                              ;   in Loop: Header=BB301_294 Depth=1
	v_lshrrev_b32_e32 v2, 24, v11
	v_bfrev_b32_e32 v10, 1
	s_mov_b32 s17, exec_lo
	v_cmpx_ne_u32_e32 0x80, v2
	s_cbranch_execz .LBB301_358
; %bb.353:                              ;   in Loop: Header=BB301_294 Depth=1
	v_and_b32_e32 v45, 0x7f, v2
	v_mov_b32_e32 v10, 0x7c010000
	s_mov_b32 s18, exec_lo
	v_cmpx_ne_u32_e32 0x7f, v45
	s_cbranch_execz .LBB301_357
; %bb.354:                              ;   in Loop: Header=BB301_294 Depth=1
	v_and_b32_e32 v10, 7, v2
	v_lshrrev_b32_e32 v11, 3, v45
	s_mov_b32 s21, exec_lo
	v_cmpx_gt_u32_e32 8, v45
; %bb.355:                              ;   in Loop: Header=BB301_294 Depth=1
	v_ffbh_u32_e32 v10, v10
	v_min_u32_e32 v45, 32, v10
	v_subrev_nc_u32_e32 v10, 28, v45
	v_lshlrev_b64 v[10:11], v10, v[2:3]
	v_sub_nc_u32_e32 v11, 29, v45
	v_and_b32_e32 v10, 7, v10
; %bb.356:                              ;   in Loop: Header=BB301_294 Depth=1
	s_or_b32 exec_lo, exec_lo, s21
	v_lshlrev_b32_e32 v2, 8, v2
	v_lshl_add_u32 v11, v11, 10, 0x2000
	v_lshlrev_b32_e32 v10, 23, v10
	v_and_or_b32 v2, 0x8000, v2, v11
	v_lshl_or_b32 v10, v2, 16, v10
.LBB301_357:                            ;   in Loop: Header=BB301_294 Depth=1
	s_or_b32 exec_lo, exec_lo, s18
.LBB301_358:                            ;   in Loop: Header=BB301_294 Depth=1
	s_or_b32 exec_lo, exec_lo, s17
.LBB301_359:                            ;   in Loop: Header=BB301_294 Depth=1
	s_or_b32 exec_lo, exec_lo, s0
	v_or_b32_e32 v2, v33, v29
	v_fma_mixlo_f16 v11, v30, v33, 0 op_sel:[0,1,0] op_sel_hi:[0,1,0]
	v_or_b32_e32 v32, v31, v32
	v_fma_mixlo_f16 v31, v30, v31, 0 op_sel:[0,1,0] op_sel_hi:[0,1,0]
	v_or_b32_e32 v33, v36, v35
	v_fma_mixlo_f16 v2, v30, v2, 0 op_sel_hi:[0,1,0]
	v_or_b32_e32 v34, v10, v34
	v_fma_mixlo_f16 v10, v30, v10, 0 op_sel:[0,1,0] op_sel_hi:[0,1,0]
	v_lshlrev_b32_e32 v51, 16, v31
	v_fma_mixlo_f16 v31, v30, v36, 0 op_sel:[0,1,0] op_sel_hi:[0,1,0]
	v_and_b32_e32 v48, 0xffff, v2
	v_fma_mixlo_f16 v2, v30, v32, 0 op_sel_hi:[0,1,0]
	v_fma_mixlo_f16 v32, v30, v33, 0 op_sel_hi:[0,1,0]
	;; [unrolled: 1-line block ×3, first 2 shown]
	v_add_nc_u32_e32 v29, v26, v15
	v_lshlrev_b32_e32 v11, 16, v11
	v_and_b32_e32 v53, 0xffff, v2
	v_lshlrev_b32_e32 v49, 16, v31
	v_and_b32_e32 v52, 0xffff, v32
	;; [unrolled: 2-line block ×3, first 2 shown]
	v_cmp_eq_u32_e32 vcc_lo, s33, v1
	v_or_b32_e32 v2, v11, v48
	v_or_b32_e32 v10, v51, v53
	;; [unrolled: 1-line block ×4, first 2 shown]
	v_add_nc_u32_e32 v36, 1, v29
	v_add_nc_u32_e32 v35, 2, v29
	;; [unrolled: 1-line block ×7, first 2 shown]
	s_and_saveexec_b32 s17, vcc_lo
	s_cbranch_execz .LBB301_361
; %bb.360:                              ;   in Loop: Header=BB301_294 Depth=1
	v_cmp_gt_i32_e64 s0, s31, v29
	v_cndmask_b32_e64 v2, 0, v53, s0
	v_cmp_gt_i32_e64 s0, s31, v36
	v_cndmask_b32_e64 v10, 0, v51, s0
	v_cmp_gt_i32_e64 s0, s31, v35
	v_or_b32_e32 v10, v10, v2
	v_cndmask_b32_e64 v45, 0, v48, s0
	v_cmp_gt_i32_e64 s0, s31, v34
	v_cndmask_b32_e64 v11, 0, v11, s0
	v_cmp_gt_i32_e64 s0, s31, v33
	v_or_b32_e32 v2, v11, v45
	;; [unrolled: 5-line block ×3, first 2 shown]
	v_cndmask_b32_e64 v49, 0, v50, s0
	v_cmp_gt_i32_e64 s0, s31, v30
	v_cndmask_b32_e64 v46, 0, v46, s0
	v_or_b32_e32 v47, v46, v49
.LBB301_361:                            ;   in Loop: Header=BB301_294 Depth=1
	s_or_b32 exec_lo, exec_lo, s17
	v_and_b32_e32 v11, 0xffff, v37
	v_and_b32_e32 v37, 0xffff, v41
	;; [unrolled: 1-line block ×4, first 2 shown]
	v_lshl_or_b32 v42, v38, 16, v11
	v_lshl_or_b32 v41, v39, 16, v37
	;;#ASMSTART
	v_pk_mul_f16 v10, v42, v10;

	;;#ASMEND
	;;#ASMSTART
	v_pk_mul_f16 v2, v41, v2;

	;;#ASMEND
	v_lshl_or_b32 v40, v40, 16, v46
	v_lshl_or_b32 v39, v43, 16, v44
	;;#ASMSTART
	v_pk_mul_f16 v11, v40, v45;

	;;#ASMEND
	;;#ASMSTART
	v_pk_mul_f16 v37, v39, v47;

	;;#ASMEND
	;;#ASMSTART
	v_pk_add_f16 v2, v10, v2;

	;;#ASMEND
	;;#ASMSTART
	v_pk_add_f16 v2, v2, v11;
	;; [unrolled: 4-line block ×3, first 2 shown]

	;;#ASMEND
	v_and_b32_e32 v10, 0xffff, v2
	v_lshrrev_b32_e32 v2, 16, v2
	;;#ASMSTART
	v_cvt_f32_f16 v37, v10;
	;;#ASMEND
	;;#ASMSTART
	v_cvt_f32_f16 v38, v2;
	;;#ASMEND
	global_load_dwordx2 v[10:11], v[8:9], off offset:256
	v_mov_b32_e32 v44, 0
	v_mov_b32_e32 v45, 0
	global_load_dword v43, v44, s[14:15]
	s_waitcnt vmcnt(1)
	v_cmp_ne_u16_sdwa s0, v10, v3 src0_sel:BYTE_0 src1_sel:DWORD
	s_and_saveexec_b32 s17, s0
	s_cbranch_execz .LBB301_369
; %bb.362:                              ;   in Loop: Header=BB301_294 Depth=1
	v_cmp_ne_u16_sdwa s0, v10, v22 src0_sel:BYTE_0 src1_sel:DWORD
	v_mov_b32_e32 v45, 0x8000
	s_and_saveexec_b32 s18, s0
	s_cbranch_execz .LBB301_368
; %bb.363:                              ;   in Loop: Header=BB301_294 Depth=1
	v_and_b32_e32 v46, 0x7f, v10
	v_mov_b32_e32 v45, 0x7c01
	s_mov_b32 s21, exec_lo
	v_cmpx_ne_u32_e32 0x7f, v46
	s_cbranch_execz .LBB301_367
; %bb.364:                              ;   in Loop: Header=BB301_294 Depth=1
	v_and_b32_e32 v2, 7, v10
	v_lshrrev_b32_e32 v45, 3, v46
	s_mov_b32 s22, exec_lo
	v_cmpx_gt_u32_e32 8, v46
; %bb.365:                              ;   in Loop: Header=BB301_294 Depth=1
	v_ffbh_u32_e32 v2, v2
	v_min_u32_e32 v2, 32, v2
	v_subrev_nc_u32_e32 v45, 28, v2
	v_lshlrev_b64 v[46:47], v45, v[10:11]
	v_sub_nc_u32_e32 v45, 29, v2
	v_and_b32_e32 v2, 7, v46
; %bb.366:                              ;   in Loop: Header=BB301_294 Depth=1
	s_or_b32 exec_lo, exec_lo, s22
	v_lshlrev_b32_e32 v46, 8, v10
	v_lshl_add_u32 v45, v45, 10, 0x2000
	v_lshlrev_b32_e32 v2, 7, v2
	v_and_b32_e32 v46, 0x8000, v46
	v_and_b32_e32 v45, 0xfc00, v45
	v_or3_b32 v45, v46, v45, v2
.LBB301_367:                            ;   in Loop: Header=BB301_294 Depth=1
	s_or_b32 exec_lo, exec_lo, s21
.LBB301_368:                            ;   in Loop: Header=BB301_294 Depth=1
	s_or_b32 exec_lo, exec_lo, s18
.LBB301_369:                            ;   in Loop: Header=BB301_294 Depth=1
	s_or_b32 exec_lo, exec_lo, s17
	v_lshrrev_b16 v2, 8, v10
	s_mov_b32 s17, exec_lo
	v_cmpx_ne_u16_e32 0, v2
	s_cbranch_execz .LBB301_377
; %bb.370:                              ;   in Loop: Header=BB301_294 Depth=1
	v_bfrev_b32_e32 v44, 1
	s_mov_b32 s18, exec_lo
	v_cmpx_ne_u16_e32 0x80, v2
	s_cbranch_execz .LBB301_376
; %bb.371:                              ;   in Loop: Header=BB301_294 Depth=1
	v_and_b32_sdwa v47, v2, v23 dst_sel:DWORD dst_unused:UNUSED_PAD src0_sel:WORD_0 src1_sel:DWORD
	v_mov_b32_e32 v44, 0x7c010000
	s_mov_b32 s21, exec_lo
	v_cmpx_ne_u32_e32 0x7f, v47
	s_cbranch_execz .LBB301_375
; %bb.372:                              ;   in Loop: Header=BB301_294 Depth=1
	v_and_b32_sdwa v44, v2, v24 dst_sel:DWORD dst_unused:UNUSED_PAD src0_sel:WORD_0 src1_sel:DWORD
	v_lshrrev_b32_e32 v46, 3, v47
	s_mov_b32 s22, exec_lo
	v_cmpx_gt_u32_e32 8, v47
; %bb.373:                              ;   in Loop: Header=BB301_294 Depth=1
	v_ffbh_u32_e32 v44, v44
	v_min_u32_e32 v44, 32, v44
	v_subrev_nc_u32_e32 v46, 28, v44
	v_lshlrev_b64 v[47:48], v46, v[2:3]
	v_sub_nc_u32_e32 v46, 29, v44
	v_and_b32_e32 v44, 7, v47
; %bb.374:                              ;   in Loop: Header=BB301_294 Depth=1
	s_or_b32 exec_lo, exec_lo, s22
	v_lshlrev_b32_sdwa v2, v25, v2 dst_sel:DWORD dst_unused:UNUSED_PAD src0_sel:DWORD src1_sel:WORD_0
	v_lshl_add_u32 v46, v46, 10, 0x2000
	v_lshlrev_b32_e32 v44, 23, v44
	v_and_or_b32 v2, 0x8000, v2, v46
	v_lshl_or_b32 v44, v2, 16, v44
.LBB301_375:                            ;   in Loop: Header=BB301_294 Depth=1
	s_or_b32 exec_lo, exec_lo, s21
.LBB301_376:                            ;   in Loop: Header=BB301_294 Depth=1
	s_or_b32 exec_lo, exec_lo, s18
.LBB301_377:                            ;   in Loop: Header=BB301_294 Depth=1
	s_or_b32 exec_lo, exec_lo, s17
	v_lshrrev_b32_e32 v2, 16, v10
	v_mov_b32_e32 v46, 0
	v_mov_b32_e32 v47, 0
	v_cmp_ne_u16_sdwa s0, v2, v3 src0_sel:BYTE_0 src1_sel:DWORD
	s_and_saveexec_b32 s17, s0
	s_cbranch_execz .LBB301_385
; %bb.378:                              ;   in Loop: Header=BB301_294 Depth=1
	v_cmp_ne_u16_sdwa s0, v2, v22 src0_sel:BYTE_0 src1_sel:DWORD
	v_mov_b32_e32 v47, 0x8000
	s_and_saveexec_b32 s18, s0
	s_cbranch_execz .LBB301_384
; %bb.379:                              ;   in Loop: Header=BB301_294 Depth=1
	v_bfe_u32 v49, v10, 16, 7
	v_mov_b32_e32 v47, 0x7c01
	s_mov_b32 s21, exec_lo
	v_cmpx_ne_u32_e32 0x7f, v49
	s_cbranch_execz .LBB301_383
; %bb.380:                              ;   in Loop: Header=BB301_294 Depth=1
	v_and_b32_e32 v47, 7, v2
	v_lshrrev_b32_e32 v48, 3, v49
	s_mov_b32 s22, exec_lo
	v_cmpx_gt_u32_e32 8, v49
; %bb.381:                              ;   in Loop: Header=BB301_294 Depth=1
	v_ffbh_u32_e32 v47, v47
	v_min_u32_e32 v49, 32, v47
	v_subrev_nc_u32_e32 v47, 28, v49
	v_lshlrev_b64 v[47:48], v47, v[2:3]
	v_sub_nc_u32_e32 v48, 29, v49
	v_and_b32_e32 v47, 7, v47
; %bb.382:                              ;   in Loop: Header=BB301_294 Depth=1
	s_or_b32 exec_lo, exec_lo, s22
	v_lshlrev_b32_e32 v2, 8, v2
	v_lshl_add_u32 v48, v48, 10, 0x2000
	v_lshlrev_b32_e32 v47, 7, v47
	v_and_b32_e32 v2, 0x8000, v2
	v_and_b32_e32 v48, 0xfc00, v48
	v_or3_b32 v47, v2, v48, v47
.LBB301_383:                            ;   in Loop: Header=BB301_294 Depth=1
	s_or_b32 exec_lo, exec_lo, s21
.LBB301_384:                            ;   in Loop: Header=BB301_294 Depth=1
	s_or_b32 exec_lo, exec_lo, s18
.LBB301_385:                            ;   in Loop: Header=BB301_294 Depth=1
	s_or_b32 exec_lo, exec_lo, s17
	s_mov_b32 s17, exec_lo
	v_cmpx_lt_u32_e32 0xffffff, v10
	s_cbranch_execz .LBB301_393
; %bb.386:                              ;   in Loop: Header=BB301_294 Depth=1
	v_lshrrev_b32_e32 v2, 24, v10
	v_bfrev_b32_e32 v46, 1
	s_mov_b32 s18, exec_lo
	v_cmpx_ne_u32_e32 0x80, v2
	s_cbranch_execz .LBB301_392
; %bb.387:                              ;   in Loop: Header=BB301_294 Depth=1
	v_and_b32_e32 v49, 0x7f, v2
	v_mov_b32_e32 v46, 0x7c010000
	s_mov_b32 s21, exec_lo
	v_cmpx_ne_u32_e32 0x7f, v49
	s_cbranch_execz .LBB301_391
; %bb.388:                              ;   in Loop: Header=BB301_294 Depth=1
	v_and_b32_e32 v46, 7, v2
	v_lshrrev_b32_e32 v48, 3, v49
	s_mov_b32 s22, exec_lo
	v_cmpx_gt_u32_e32 8, v49
; %bb.389:                              ;   in Loop: Header=BB301_294 Depth=1
	v_ffbh_u32_e32 v46, v46
	v_min_u32_e32 v46, 32, v46
	v_subrev_nc_u32_e32 v48, 28, v46
	v_lshlrev_b64 v[49:50], v48, v[2:3]
	v_sub_nc_u32_e32 v48, 29, v46
	v_and_b32_e32 v46, 7, v49
; %bb.390:                              ;   in Loop: Header=BB301_294 Depth=1
	s_or_b32 exec_lo, exec_lo, s22
	v_lshlrev_b32_e32 v2, 8, v2
	v_lshl_add_u32 v48, v48, 10, 0x2000
	v_lshlrev_b32_e32 v46, 23, v46
	v_and_or_b32 v2, 0x8000, v2, v48
	v_lshl_or_b32 v46, v2, 16, v46
.LBB301_391:                            ;   in Loop: Header=BB301_294 Depth=1
	s_or_b32 exec_lo, exec_lo, s21
.LBB301_392:                            ;   in Loop: Header=BB301_294 Depth=1
	s_or_b32 exec_lo, exec_lo, s18
.LBB301_393:                            ;   in Loop: Header=BB301_294 Depth=1
	s_or_b32 exec_lo, exec_lo, s17
	v_mov_b32_e32 v2, v11
	v_cmp_ne_u16_sdwa s0, v11, v3 src0_sel:BYTE_0 src1_sel:DWORD
	v_mov_b32_e32 v48, 0
	v_mov_b32_e32 v49, 0
	s_and_saveexec_b32 s17, s0
	s_cbranch_execz .LBB301_401
; %bb.394:                              ;   in Loop: Header=BB301_294 Depth=1
	v_cmp_ne_u16_sdwa s0, v11, v22 src0_sel:BYTE_0 src1_sel:DWORD
	v_mov_b32_e32 v49, 0x8000
	s_and_saveexec_b32 s18, s0
	s_cbranch_execz .LBB301_400
; %bb.395:                              ;   in Loop: Header=BB301_294 Depth=1
	v_and_b32_e32 v51, 0x7f, v11
	v_mov_b32_e32 v49, 0x7c01
	s_mov_b32 s21, exec_lo
	v_cmpx_ne_u32_e32 0x7f, v51
	s_cbranch_execz .LBB301_399
; %bb.396:                              ;   in Loop: Header=BB301_294 Depth=1
	v_and_b32_e32 v49, 7, v11
	v_lshrrev_b32_e32 v50, 3, v51
	s_mov_b32 s22, exec_lo
	v_cmpx_gt_u32_e32 8, v51
; %bb.397:                              ;   in Loop: Header=BB301_294 Depth=1
	v_ffbh_u32_e32 v49, v49
	v_min_u32_e32 v51, 32, v49
	v_subrev_nc_u32_e32 v49, 28, v51
	v_lshlrev_b64 v[49:50], v49, v[2:3]
	v_sub_nc_u32_e32 v50, 29, v51
	v_and_b32_e32 v49, 7, v49
; %bb.398:                              ;   in Loop: Header=BB301_294 Depth=1
	s_or_b32 exec_lo, exec_lo, s22
	v_lshlrev_b32_e32 v51, 8, v11
	v_lshl_add_u32 v50, v50, 10, 0x2000
	v_lshlrev_b32_e32 v49, 7, v49
	v_and_b32_e32 v51, 0x8000, v51
	v_and_b32_e32 v50, 0xfc00, v50
	v_or3_b32 v49, v51, v50, v49
.LBB301_399:                            ;   in Loop: Header=BB301_294 Depth=1
	s_or_b32 exec_lo, exec_lo, s21
.LBB301_400:                            ;   in Loop: Header=BB301_294 Depth=1
	s_or_b32 exec_lo, exec_lo, s18
.LBB301_401:                            ;   in Loop: Header=BB301_294 Depth=1
	s_or_b32 exec_lo, exec_lo, s17
	v_lshrrev_b16 v2, 8, v2
	v_mov_b32_e32 v50, 0
	s_mov_b32 s17, exec_lo
	v_cmpx_ne_u16_e32 0, v2
	s_cbranch_execz .LBB301_409
; %bb.402:                              ;   in Loop: Header=BB301_294 Depth=1
	v_bfrev_b32_e32 v50, 1
	s_mov_b32 s18, exec_lo
	v_cmpx_ne_u16_e32 0x80, v2
	s_cbranch_execz .LBB301_408
; %bb.403:                              ;   in Loop: Header=BB301_294 Depth=1
	v_and_b32_sdwa v52, v2, v23 dst_sel:DWORD dst_unused:UNUSED_PAD src0_sel:WORD_0 src1_sel:DWORD
	v_mov_b32_e32 v50, 0x7c010000
	s_mov_b32 s21, exec_lo
	v_cmpx_ne_u32_e32 0x7f, v52
	s_cbranch_execz .LBB301_407
; %bb.404:                              ;   in Loop: Header=BB301_294 Depth=1
	v_and_b32_sdwa v50, v2, v24 dst_sel:DWORD dst_unused:UNUSED_PAD src0_sel:WORD_0 src1_sel:DWORD
	v_lshrrev_b32_e32 v51, 3, v52
	s_mov_b32 s22, exec_lo
	v_cmpx_gt_u32_e32 8, v52
; %bb.405:                              ;   in Loop: Header=BB301_294 Depth=1
	v_ffbh_u32_e32 v50, v50
	v_min_u32_e32 v52, 32, v50
	v_subrev_nc_u32_e32 v50, 28, v52
	v_lshlrev_b64 v[50:51], v50, v[2:3]
	v_sub_nc_u32_e32 v51, 29, v52
	v_and_b32_e32 v50, 7, v50
; %bb.406:                              ;   in Loop: Header=BB301_294 Depth=1
	s_or_b32 exec_lo, exec_lo, s22
	v_lshlrev_b32_sdwa v2, v25, v2 dst_sel:DWORD dst_unused:UNUSED_PAD src0_sel:DWORD src1_sel:WORD_0
	v_lshl_add_u32 v51, v51, 10, 0x2000
	v_lshlrev_b32_e32 v50, 23, v50
	v_and_or_b32 v2, 0x8000, v2, v51
	v_lshl_or_b32 v50, v2, 16, v50
.LBB301_407:                            ;   in Loop: Header=BB301_294 Depth=1
	s_or_b32 exec_lo, exec_lo, s21
.LBB301_408:                            ;   in Loop: Header=BB301_294 Depth=1
	s_or_b32 exec_lo, exec_lo, s18
.LBB301_409:                            ;   in Loop: Header=BB301_294 Depth=1
	s_or_b32 exec_lo, exec_lo, s17
	v_lshrrev_b32_e32 v2, 16, v11
	v_cmp_ne_u16_sdwa s0, v2, v3 src0_sel:BYTE_0 src1_sel:DWORD
	s_and_saveexec_b32 s17, s0
	s_cbranch_execz .LBB301_417
; %bb.410:                              ;   in Loop: Header=BB301_294 Depth=1
	v_cmp_ne_u16_sdwa s0, v2, v22 src0_sel:BYTE_0 src1_sel:DWORD
	v_mov_b32_e32 v48, 0x8000
	s_and_saveexec_b32 s18, s0
	s_cbranch_execz .LBB301_416
; %bb.411:                              ;   in Loop: Header=BB301_294 Depth=1
	v_bfe_u32 v52, v11, 16, 7
	v_mov_b32_e32 v48, 0x7c01
	s_mov_b32 s21, exec_lo
	v_cmpx_ne_u32_e32 0x7f, v52
	s_cbranch_execz .LBB301_415
; %bb.412:                              ;   in Loop: Header=BB301_294 Depth=1
	v_and_b32_e32 v48, 7, v2
	v_lshrrev_b32_e32 v51, 3, v52
	s_mov_b32 s22, exec_lo
	v_cmpx_gt_u32_e32 8, v52
; %bb.413:                              ;   in Loop: Header=BB301_294 Depth=1
	v_ffbh_u32_e32 v48, v48
	v_min_u32_e32 v48, 32, v48
	v_subrev_nc_u32_e32 v51, 28, v48
	v_lshlrev_b64 v[52:53], v51, v[2:3]
	v_sub_nc_u32_e32 v51, 29, v48
	v_and_b32_e32 v48, 7, v52
; %bb.414:                              ;   in Loop: Header=BB301_294 Depth=1
	s_or_b32 exec_lo, exec_lo, s22
	v_lshlrev_b32_e32 v2, 8, v2
	v_lshl_add_u32 v51, v51, 10, 0x2000
	v_lshlrev_b32_e32 v48, 7, v48
	v_and_b32_e32 v2, 0x8000, v2
	v_and_b32_e32 v51, 0xfc00, v51
	v_or3_b32 v48, v2, v51, v48
.LBB301_415:                            ;   in Loop: Header=BB301_294 Depth=1
	s_or_b32 exec_lo, exec_lo, s21
.LBB301_416:                            ;   in Loop: Header=BB301_294 Depth=1
	s_or_b32 exec_lo, exec_lo, s18
.LBB301_417:                            ;   in Loop: Header=BB301_294 Depth=1
	s_or_b32 exec_lo, exec_lo, s17
	v_cmp_lt_u64_e64 s0, s[4:5], v[10:11]
	v_mov_b32_e32 v10, 0
	s_and_saveexec_b32 s17, s0
	s_cbranch_execz .LBB301_425
; %bb.418:                              ;   in Loop: Header=BB301_294 Depth=1
	v_lshrrev_b32_e32 v2, 24, v11
	v_bfrev_b32_e32 v10, 1
	s_mov_b32 s18, exec_lo
	v_cmpx_ne_u32_e32 0x80, v2
	s_cbranch_execz .LBB301_424
; %bb.419:                              ;   in Loop: Header=BB301_294 Depth=1
	v_and_b32_e32 v51, 0x7f, v2
	v_mov_b32_e32 v10, 0x7c010000
	s_mov_b32 s21, exec_lo
	v_cmpx_ne_u32_e32 0x7f, v51
	s_cbranch_execz .LBB301_423
; %bb.420:                              ;   in Loop: Header=BB301_294 Depth=1
	v_and_b32_e32 v10, 7, v2
	v_lshrrev_b32_e32 v11, 3, v51
	s_mov_b32 s22, exec_lo
	v_cmpx_gt_u32_e32 8, v51
; %bb.421:                              ;   in Loop: Header=BB301_294 Depth=1
	v_ffbh_u32_e32 v10, v10
	v_min_u32_e32 v51, 32, v10
	v_subrev_nc_u32_e32 v10, 28, v51
	v_lshlrev_b64 v[10:11], v10, v[2:3]
	v_sub_nc_u32_e32 v11, 29, v51
	v_and_b32_e32 v10, 7, v10
; %bb.422:                              ;   in Loop: Header=BB301_294 Depth=1
	s_or_b32 exec_lo, exec_lo, s22
	v_lshlrev_b32_e32 v2, 8, v2
	v_lshl_add_u32 v11, v11, 10, 0x2000
	v_lshlrev_b32_e32 v10, 23, v10
	v_and_or_b32 v2, 0x8000, v2, v11
	v_lshl_or_b32 v10, v2, 16, v10
.LBB301_423:                            ;   in Loop: Header=BB301_294 Depth=1
	s_or_b32 exec_lo, exec_lo, s21
.LBB301_424:                            ;   in Loop: Header=BB301_294 Depth=1
	s_or_b32 exec_lo, exec_lo, s18
.LBB301_425:                            ;   in Loop: Header=BB301_294 Depth=1
	s_or_b32 exec_lo, exec_lo, s17
	v_or_b32_e32 v2, v46, v47
	s_waitcnt vmcnt(0)
	v_fma_mixlo_f16 v11, v43, v46, 0 op_sel:[0,1,0] op_sel_hi:[0,1,0]
	v_or_b32_e32 v46, v44, v45
	v_fma_mixlo_f16 v44, v43, v44, 0 op_sel:[0,1,0] op_sel_hi:[0,1,0]
	v_or_b32_e32 v47, v50, v49
	v_or_b32_e32 v48, v10, v48
	v_fma_mixlo_f16 v49, v43, v2, 0 op_sel_hi:[0,1,0]
	v_fma_mixlo_f16 v10, v43, v10, 0 op_sel:[0,1,0] op_sel_hi:[0,1,0]
	v_lshlrev_b32_e32 v45, 16, v44
	v_fma_mixlo_f16 v44, v43, v46, 0 op_sel_hi:[0,1,0]
	v_fma_mixlo_f16 v46, v43, v50, 0 op_sel:[0,1,0] op_sel_hi:[0,1,0]
	v_fma_mixlo_f16 v47, v43, v47, 0 op_sel_hi:[0,1,0]
	v_fma_mixlo_f16 v48, v43, v48, 0 op_sel_hi:[0,1,0]
	v_lshlrev_b32_e32 v2, 16, v11
	v_and_b32_e32 v11, 0xffff, v49
	v_and_b32_e32 v51, 0xffff, v44
	v_lshlrev_b32_e32 v43, 16, v46
	v_and_b32_e32 v47, 0xffff, v47
	v_lshlrev_b32_e32 v10, 16, v10
	v_and_b32_e32 v44, 0xffff, v48
	v_or_b32_e32 v46, v2, v11
	v_or_b32_e32 v50, v45, v51
	;; [unrolled: 1-line block ×4, first 2 shown]
	s_and_saveexec_b32 s17, vcc_lo
	s_cbranch_execz .LBB301_427
; %bb.426:                              ;   in Loop: Header=BB301_294 Depth=1
	v_cmp_gt_i32_e64 s0, s31, v29
	v_cndmask_b32_e64 v46, 0, v51, s0
	v_cmp_gt_i32_e64 s0, s31, v36
	v_cndmask_b32_e64 v45, 0, v45, s0
	v_cmp_gt_i32_e64 s0, s31, v35
	v_or_b32_e32 v50, v45, v46
	v_cndmask_b32_e64 v11, 0, v11, s0
	v_cmp_gt_i32_e64 s0, s31, v34
	v_cndmask_b32_e64 v2, 0, v2, s0
	v_cmp_gt_i32_e64 s0, s31, v33
	v_or_b32_e32 v46, v2, v11
	;; [unrolled: 5-line block ×3, first 2 shown]
	v_cndmask_b32_e64 v44, 0, v44, s0
	v_cmp_gt_i32_e64 s0, s31, v30
	v_cndmask_b32_e64 v10, 0, v10, s0
	v_or_b32_e32 v48, v10, v44
.LBB301_427:                            ;   in Loop: Header=BB301_294 Depth=1
	s_or_b32 exec_lo, exec_lo, s17
	;;#ASMSTART
	v_pk_mul_f16 v2, v42, v50;

	;;#ASMEND
	;;#ASMSTART
	v_pk_mul_f16 v10, v41, v46;

	;;#ASMEND
	;; [unrolled: 4-line block ×4, first 2 shown]
	;;#ASMSTART
	v_pk_add_f16 v2, v2, v10;

	;;#ASMEND
	;;#ASMSTART
	v_pk_add_f16 v2, v2, v11;

	;;#ASMEND
	;; [unrolled: 4-line block ×3, first 2 shown]
	v_and_b32_e32 v10, 0xffff, v2
	v_lshrrev_b32_e32 v2, 16, v2
	;;#ASMSTART
	v_cvt_f32_f16 v43, v10;
	;;#ASMEND
	;;#ASMSTART
	v_cvt_f32_f16 v44, v2;
	;;#ASMEND
	global_load_dwordx2 v[10:11], v[8:9], off offset:512
	v_mov_b32_e32 v46, 0
	v_mov_b32_e32 v47, 0
	global_load_dword v45, v46, s[14:15]
	s_waitcnt vmcnt(1)
	v_cmp_ne_u16_sdwa s0, v10, v3 src0_sel:BYTE_0 src1_sel:DWORD
	s_and_saveexec_b32 s17, s0
	s_cbranch_execz .LBB301_435
; %bb.428:                              ;   in Loop: Header=BB301_294 Depth=1
	v_cmp_ne_u16_sdwa s0, v10, v22 src0_sel:BYTE_0 src1_sel:DWORD
	v_mov_b32_e32 v47, 0x8000
	s_and_saveexec_b32 s18, s0
	s_cbranch_execz .LBB301_434
; %bb.429:                              ;   in Loop: Header=BB301_294 Depth=1
	v_and_b32_e32 v48, 0x7f, v10
	v_mov_b32_e32 v47, 0x7c01
	s_mov_b32 s21, exec_lo
	v_cmpx_ne_u32_e32 0x7f, v48
	s_cbranch_execz .LBB301_433
; %bb.430:                              ;   in Loop: Header=BB301_294 Depth=1
	v_and_b32_e32 v2, 7, v10
	v_lshrrev_b32_e32 v47, 3, v48
	s_mov_b32 s22, exec_lo
	v_cmpx_gt_u32_e32 8, v48
; %bb.431:                              ;   in Loop: Header=BB301_294 Depth=1
	v_ffbh_u32_e32 v2, v2
	v_min_u32_e32 v2, 32, v2
	v_subrev_nc_u32_e32 v47, 28, v2
	v_lshlrev_b64 v[48:49], v47, v[10:11]
	v_sub_nc_u32_e32 v47, 29, v2
	v_and_b32_e32 v2, 7, v48
; %bb.432:                              ;   in Loop: Header=BB301_294 Depth=1
	s_or_b32 exec_lo, exec_lo, s22
	v_lshlrev_b32_e32 v48, 8, v10
	v_lshl_add_u32 v47, v47, 10, 0x2000
	v_lshlrev_b32_e32 v2, 7, v2
	v_and_b32_e32 v48, 0x8000, v48
	v_and_b32_e32 v47, 0xfc00, v47
	v_or3_b32 v47, v48, v47, v2
.LBB301_433:                            ;   in Loop: Header=BB301_294 Depth=1
	s_or_b32 exec_lo, exec_lo, s21
.LBB301_434:                            ;   in Loop: Header=BB301_294 Depth=1
	s_or_b32 exec_lo, exec_lo, s18
.LBB301_435:                            ;   in Loop: Header=BB301_294 Depth=1
	s_or_b32 exec_lo, exec_lo, s17
	v_lshrrev_b16 v2, 8, v10
	s_mov_b32 s17, exec_lo
	v_cmpx_ne_u16_e32 0, v2
	s_cbranch_execz .LBB301_443
; %bb.436:                              ;   in Loop: Header=BB301_294 Depth=1
	v_bfrev_b32_e32 v46, 1
	s_mov_b32 s18, exec_lo
	v_cmpx_ne_u16_e32 0x80, v2
	s_cbranch_execz .LBB301_442
; %bb.437:                              ;   in Loop: Header=BB301_294 Depth=1
	v_and_b32_sdwa v49, v2, v23 dst_sel:DWORD dst_unused:UNUSED_PAD src0_sel:WORD_0 src1_sel:DWORD
	v_mov_b32_e32 v46, 0x7c010000
	s_mov_b32 s21, exec_lo
	v_cmpx_ne_u32_e32 0x7f, v49
	s_cbranch_execz .LBB301_441
; %bb.438:                              ;   in Loop: Header=BB301_294 Depth=1
	v_and_b32_sdwa v46, v2, v24 dst_sel:DWORD dst_unused:UNUSED_PAD src0_sel:WORD_0 src1_sel:DWORD
	v_lshrrev_b32_e32 v48, 3, v49
	s_mov_b32 s22, exec_lo
	v_cmpx_gt_u32_e32 8, v49
; %bb.439:                              ;   in Loop: Header=BB301_294 Depth=1
	v_ffbh_u32_e32 v46, v46
	v_min_u32_e32 v46, 32, v46
	v_subrev_nc_u32_e32 v48, 28, v46
	v_lshlrev_b64 v[49:50], v48, v[2:3]
	v_sub_nc_u32_e32 v48, 29, v46
	v_and_b32_e32 v46, 7, v49
; %bb.440:                              ;   in Loop: Header=BB301_294 Depth=1
	s_or_b32 exec_lo, exec_lo, s22
	v_lshlrev_b32_sdwa v2, v25, v2 dst_sel:DWORD dst_unused:UNUSED_PAD src0_sel:DWORD src1_sel:WORD_0
	v_lshl_add_u32 v48, v48, 10, 0x2000
	v_lshlrev_b32_e32 v46, 23, v46
	v_and_or_b32 v2, 0x8000, v2, v48
	v_lshl_or_b32 v46, v2, 16, v46
.LBB301_441:                            ;   in Loop: Header=BB301_294 Depth=1
	s_or_b32 exec_lo, exec_lo, s21
.LBB301_442:                            ;   in Loop: Header=BB301_294 Depth=1
	s_or_b32 exec_lo, exec_lo, s18
.LBB301_443:                            ;   in Loop: Header=BB301_294 Depth=1
	s_or_b32 exec_lo, exec_lo, s17
	v_lshrrev_b32_e32 v2, 16, v10
	v_mov_b32_e32 v48, 0
	v_mov_b32_e32 v49, 0
	v_cmp_ne_u16_sdwa s0, v2, v3 src0_sel:BYTE_0 src1_sel:DWORD
	s_and_saveexec_b32 s17, s0
	s_cbranch_execz .LBB301_451
; %bb.444:                              ;   in Loop: Header=BB301_294 Depth=1
	v_cmp_ne_u16_sdwa s0, v2, v22 src0_sel:BYTE_0 src1_sel:DWORD
	v_mov_b32_e32 v49, 0x8000
	s_and_saveexec_b32 s18, s0
	s_cbranch_execz .LBB301_450
; %bb.445:                              ;   in Loop: Header=BB301_294 Depth=1
	v_bfe_u32 v51, v10, 16, 7
	v_mov_b32_e32 v49, 0x7c01
	s_mov_b32 s21, exec_lo
	v_cmpx_ne_u32_e32 0x7f, v51
	s_cbranch_execz .LBB301_449
; %bb.446:                              ;   in Loop: Header=BB301_294 Depth=1
	v_and_b32_e32 v49, 7, v2
	v_lshrrev_b32_e32 v50, 3, v51
	s_mov_b32 s22, exec_lo
	v_cmpx_gt_u32_e32 8, v51
; %bb.447:                              ;   in Loop: Header=BB301_294 Depth=1
	v_ffbh_u32_e32 v49, v49
	v_min_u32_e32 v51, 32, v49
	v_subrev_nc_u32_e32 v49, 28, v51
	v_lshlrev_b64 v[49:50], v49, v[2:3]
	v_sub_nc_u32_e32 v50, 29, v51
	v_and_b32_e32 v49, 7, v49
; %bb.448:                              ;   in Loop: Header=BB301_294 Depth=1
	s_or_b32 exec_lo, exec_lo, s22
	v_lshlrev_b32_e32 v2, 8, v2
	v_lshl_add_u32 v50, v50, 10, 0x2000
	v_lshlrev_b32_e32 v49, 7, v49
	v_and_b32_e32 v2, 0x8000, v2
	v_and_b32_e32 v50, 0xfc00, v50
	v_or3_b32 v49, v2, v50, v49
.LBB301_449:                            ;   in Loop: Header=BB301_294 Depth=1
	s_or_b32 exec_lo, exec_lo, s21
.LBB301_450:                            ;   in Loop: Header=BB301_294 Depth=1
	s_or_b32 exec_lo, exec_lo, s18
.LBB301_451:                            ;   in Loop: Header=BB301_294 Depth=1
	s_or_b32 exec_lo, exec_lo, s17
	s_mov_b32 s17, exec_lo
	v_cmpx_lt_u32_e32 0xffffff, v10
	s_cbranch_execz .LBB301_459
; %bb.452:                              ;   in Loop: Header=BB301_294 Depth=1
	v_lshrrev_b32_e32 v2, 24, v10
	v_bfrev_b32_e32 v48, 1
	s_mov_b32 s18, exec_lo
	v_cmpx_ne_u32_e32 0x80, v2
	s_cbranch_execz .LBB301_458
; %bb.453:                              ;   in Loop: Header=BB301_294 Depth=1
	v_and_b32_e32 v51, 0x7f, v2
	v_mov_b32_e32 v48, 0x7c010000
	s_mov_b32 s21, exec_lo
	v_cmpx_ne_u32_e32 0x7f, v51
	s_cbranch_execz .LBB301_457
; %bb.454:                              ;   in Loop: Header=BB301_294 Depth=1
	v_and_b32_e32 v48, 7, v2
	v_lshrrev_b32_e32 v50, 3, v51
	s_mov_b32 s22, exec_lo
	v_cmpx_gt_u32_e32 8, v51
; %bb.455:                              ;   in Loop: Header=BB301_294 Depth=1
	v_ffbh_u32_e32 v48, v48
	v_min_u32_e32 v48, 32, v48
	v_subrev_nc_u32_e32 v50, 28, v48
	v_lshlrev_b64 v[51:52], v50, v[2:3]
	v_sub_nc_u32_e32 v50, 29, v48
	v_and_b32_e32 v48, 7, v51
; %bb.456:                              ;   in Loop: Header=BB301_294 Depth=1
	s_or_b32 exec_lo, exec_lo, s22
	v_lshlrev_b32_e32 v2, 8, v2
	v_lshl_add_u32 v50, v50, 10, 0x2000
	v_lshlrev_b32_e32 v48, 23, v48
	v_and_or_b32 v2, 0x8000, v2, v50
	v_lshl_or_b32 v48, v2, 16, v48
.LBB301_457:                            ;   in Loop: Header=BB301_294 Depth=1
	s_or_b32 exec_lo, exec_lo, s21
.LBB301_458:                            ;   in Loop: Header=BB301_294 Depth=1
	s_or_b32 exec_lo, exec_lo, s18
.LBB301_459:                            ;   in Loop: Header=BB301_294 Depth=1
	s_or_b32 exec_lo, exec_lo, s17
	v_mov_b32_e32 v2, v11
	v_cmp_ne_u16_sdwa s0, v11, v3 src0_sel:BYTE_0 src1_sel:DWORD
	v_mov_b32_e32 v50, 0
	v_mov_b32_e32 v51, 0
	s_and_saveexec_b32 s17, s0
	s_cbranch_execz .LBB301_467
; %bb.460:                              ;   in Loop: Header=BB301_294 Depth=1
	v_cmp_ne_u16_sdwa s0, v11, v22 src0_sel:BYTE_0 src1_sel:DWORD
	v_mov_b32_e32 v51, 0x8000
	s_and_saveexec_b32 s18, s0
	s_cbranch_execz .LBB301_466
; %bb.461:                              ;   in Loop: Header=BB301_294 Depth=1
	v_and_b32_e32 v53, 0x7f, v11
	v_mov_b32_e32 v51, 0x7c01
	s_mov_b32 s21, exec_lo
	v_cmpx_ne_u32_e32 0x7f, v53
	s_cbranch_execz .LBB301_465
; %bb.462:                              ;   in Loop: Header=BB301_294 Depth=1
	v_and_b32_e32 v51, 7, v11
	v_lshrrev_b32_e32 v52, 3, v53
	s_mov_b32 s22, exec_lo
	v_cmpx_gt_u32_e32 8, v53
; %bb.463:                              ;   in Loop: Header=BB301_294 Depth=1
	v_ffbh_u32_e32 v51, v51
	v_min_u32_e32 v53, 32, v51
	v_subrev_nc_u32_e32 v51, 28, v53
	v_lshlrev_b64 v[51:52], v51, v[2:3]
	v_sub_nc_u32_e32 v52, 29, v53
	v_and_b32_e32 v51, 7, v51
; %bb.464:                              ;   in Loop: Header=BB301_294 Depth=1
	s_or_b32 exec_lo, exec_lo, s22
	v_lshlrev_b32_e32 v53, 8, v11
	v_lshl_add_u32 v52, v52, 10, 0x2000
	v_lshlrev_b32_e32 v51, 7, v51
	v_and_b32_e32 v53, 0x8000, v53
	v_and_b32_e32 v52, 0xfc00, v52
	v_or3_b32 v51, v53, v52, v51
.LBB301_465:                            ;   in Loop: Header=BB301_294 Depth=1
	s_or_b32 exec_lo, exec_lo, s21
.LBB301_466:                            ;   in Loop: Header=BB301_294 Depth=1
	s_or_b32 exec_lo, exec_lo, s18
.LBB301_467:                            ;   in Loop: Header=BB301_294 Depth=1
	s_or_b32 exec_lo, exec_lo, s17
	v_lshrrev_b16 v2, 8, v2
	v_mov_b32_e32 v52, 0
	s_mov_b32 s17, exec_lo
	v_cmpx_ne_u16_e32 0, v2
	s_cbranch_execz .LBB301_475
; %bb.468:                              ;   in Loop: Header=BB301_294 Depth=1
	v_bfrev_b32_e32 v52, 1
	s_mov_b32 s18, exec_lo
	v_cmpx_ne_u16_e32 0x80, v2
	s_cbranch_execz .LBB301_474
; %bb.469:                              ;   in Loop: Header=BB301_294 Depth=1
	v_and_b32_sdwa v54, v2, v23 dst_sel:DWORD dst_unused:UNUSED_PAD src0_sel:WORD_0 src1_sel:DWORD
	v_mov_b32_e32 v52, 0x7c010000
	s_mov_b32 s21, exec_lo
	v_cmpx_ne_u32_e32 0x7f, v54
	s_cbranch_execz .LBB301_473
; %bb.470:                              ;   in Loop: Header=BB301_294 Depth=1
	v_and_b32_sdwa v52, v2, v24 dst_sel:DWORD dst_unused:UNUSED_PAD src0_sel:WORD_0 src1_sel:DWORD
	v_lshrrev_b32_e32 v53, 3, v54
	s_mov_b32 s22, exec_lo
	v_cmpx_gt_u32_e32 8, v54
; %bb.471:                              ;   in Loop: Header=BB301_294 Depth=1
	v_ffbh_u32_e32 v52, v52
	v_min_u32_e32 v54, 32, v52
	v_subrev_nc_u32_e32 v52, 28, v54
	v_lshlrev_b64 v[52:53], v52, v[2:3]
	v_sub_nc_u32_e32 v53, 29, v54
	v_and_b32_e32 v52, 7, v52
; %bb.472:                              ;   in Loop: Header=BB301_294 Depth=1
	s_or_b32 exec_lo, exec_lo, s22
	v_lshlrev_b32_sdwa v2, v25, v2 dst_sel:DWORD dst_unused:UNUSED_PAD src0_sel:DWORD src1_sel:WORD_0
	v_lshl_add_u32 v53, v53, 10, 0x2000
	v_lshlrev_b32_e32 v52, 23, v52
	v_and_or_b32 v2, 0x8000, v2, v53
	v_lshl_or_b32 v52, v2, 16, v52
.LBB301_473:                            ;   in Loop: Header=BB301_294 Depth=1
	s_or_b32 exec_lo, exec_lo, s21
.LBB301_474:                            ;   in Loop: Header=BB301_294 Depth=1
	s_or_b32 exec_lo, exec_lo, s18
.LBB301_475:                            ;   in Loop: Header=BB301_294 Depth=1
	s_or_b32 exec_lo, exec_lo, s17
	v_lshrrev_b32_e32 v2, 16, v11
	v_cmp_ne_u16_sdwa s0, v2, v3 src0_sel:BYTE_0 src1_sel:DWORD
	s_and_saveexec_b32 s17, s0
	s_cbranch_execz .LBB301_483
; %bb.476:                              ;   in Loop: Header=BB301_294 Depth=1
	v_cmp_ne_u16_sdwa s0, v2, v22 src0_sel:BYTE_0 src1_sel:DWORD
	v_mov_b32_e32 v50, 0x8000
	s_and_saveexec_b32 s18, s0
	s_cbranch_execz .LBB301_482
; %bb.477:                              ;   in Loop: Header=BB301_294 Depth=1
	v_bfe_u32 v54, v11, 16, 7
	v_mov_b32_e32 v50, 0x7c01
	s_mov_b32 s21, exec_lo
	v_cmpx_ne_u32_e32 0x7f, v54
	s_cbranch_execz .LBB301_481
; %bb.478:                              ;   in Loop: Header=BB301_294 Depth=1
	v_and_b32_e32 v50, 7, v2
	v_lshrrev_b32_e32 v53, 3, v54
	s_mov_b32 s22, exec_lo
	v_cmpx_gt_u32_e32 8, v54
; %bb.479:                              ;   in Loop: Header=BB301_294 Depth=1
	v_ffbh_u32_e32 v50, v50
	v_min_u32_e32 v50, 32, v50
	v_subrev_nc_u32_e32 v53, 28, v50
	v_lshlrev_b64 v[54:55], v53, v[2:3]
	v_sub_nc_u32_e32 v53, 29, v50
	v_and_b32_e32 v50, 7, v54
; %bb.480:                              ;   in Loop: Header=BB301_294 Depth=1
	s_or_b32 exec_lo, exec_lo, s22
	v_lshlrev_b32_e32 v2, 8, v2
	v_lshl_add_u32 v53, v53, 10, 0x2000
	v_lshlrev_b32_e32 v50, 7, v50
	v_and_b32_e32 v2, 0x8000, v2
	v_and_b32_e32 v53, 0xfc00, v53
	v_or3_b32 v50, v2, v53, v50
.LBB301_481:                            ;   in Loop: Header=BB301_294 Depth=1
	s_or_b32 exec_lo, exec_lo, s21
.LBB301_482:                            ;   in Loop: Header=BB301_294 Depth=1
	s_or_b32 exec_lo, exec_lo, s18
.LBB301_483:                            ;   in Loop: Header=BB301_294 Depth=1
	s_or_b32 exec_lo, exec_lo, s17
	v_cmp_lt_u64_e64 s0, s[4:5], v[10:11]
	v_mov_b32_e32 v10, 0
	s_and_saveexec_b32 s17, s0
	s_cbranch_execz .LBB301_491
; %bb.484:                              ;   in Loop: Header=BB301_294 Depth=1
	v_lshrrev_b32_e32 v2, 24, v11
	v_bfrev_b32_e32 v10, 1
	s_mov_b32 s18, exec_lo
	v_cmpx_ne_u32_e32 0x80, v2
	s_cbranch_execz .LBB301_490
; %bb.485:                              ;   in Loop: Header=BB301_294 Depth=1
	v_and_b32_e32 v53, 0x7f, v2
	v_mov_b32_e32 v10, 0x7c010000
	s_mov_b32 s21, exec_lo
	v_cmpx_ne_u32_e32 0x7f, v53
	s_cbranch_execz .LBB301_489
; %bb.486:                              ;   in Loop: Header=BB301_294 Depth=1
	v_and_b32_e32 v10, 7, v2
	v_lshrrev_b32_e32 v11, 3, v53
	s_mov_b32 s22, exec_lo
	v_cmpx_gt_u32_e32 8, v53
; %bb.487:                              ;   in Loop: Header=BB301_294 Depth=1
	v_ffbh_u32_e32 v10, v10
	v_min_u32_e32 v53, 32, v10
	v_subrev_nc_u32_e32 v10, 28, v53
	v_lshlrev_b64 v[10:11], v10, v[2:3]
	v_sub_nc_u32_e32 v11, 29, v53
	v_and_b32_e32 v10, 7, v10
; %bb.488:                              ;   in Loop: Header=BB301_294 Depth=1
	s_or_b32 exec_lo, exec_lo, s22
	v_lshlrev_b32_e32 v2, 8, v2
	v_lshl_add_u32 v11, v11, 10, 0x2000
	v_lshlrev_b32_e32 v10, 23, v10
	v_and_or_b32 v2, 0x8000, v2, v11
	v_lshl_or_b32 v10, v2, 16, v10
.LBB301_489:                            ;   in Loop: Header=BB301_294 Depth=1
	s_or_b32 exec_lo, exec_lo, s21
.LBB301_490:                            ;   in Loop: Header=BB301_294 Depth=1
	s_or_b32 exec_lo, exec_lo, s18
.LBB301_491:                            ;   in Loop: Header=BB301_294 Depth=1
	s_or_b32 exec_lo, exec_lo, s17
	v_or_b32_e32 v2, v48, v49
	s_waitcnt vmcnt(0)
	v_fma_mixlo_f16 v11, v45, v48, 0 op_sel:[0,1,0] op_sel_hi:[0,1,0]
	v_or_b32_e32 v48, v46, v47
	v_fma_mixlo_f16 v46, v45, v46, 0 op_sel:[0,1,0] op_sel_hi:[0,1,0]
	v_or_b32_e32 v49, v52, v51
	v_or_b32_e32 v50, v10, v50
	v_fma_mixlo_f16 v51, v45, v2, 0 op_sel_hi:[0,1,0]
	v_fma_mixlo_f16 v10, v45, v10, 0 op_sel:[0,1,0] op_sel_hi:[0,1,0]
	v_lshlrev_b32_e32 v47, 16, v46
	v_fma_mixlo_f16 v46, v45, v48, 0 op_sel_hi:[0,1,0]
	v_fma_mixlo_f16 v48, v45, v52, 0 op_sel:[0,1,0] op_sel_hi:[0,1,0]
	v_fma_mixlo_f16 v49, v45, v49, 0 op_sel_hi:[0,1,0]
	v_fma_mixlo_f16 v50, v45, v50, 0 op_sel_hi:[0,1,0]
	v_lshlrev_b32_e32 v2, 16, v11
	v_and_b32_e32 v11, 0xffff, v51
	v_and_b32_e32 v53, 0xffff, v46
	v_lshlrev_b32_e32 v45, 16, v48
	v_and_b32_e32 v49, 0xffff, v49
	v_lshlrev_b32_e32 v10, 16, v10
	v_and_b32_e32 v46, 0xffff, v50
	v_or_b32_e32 v48, v2, v11
	v_or_b32_e32 v52, v47, v53
	;; [unrolled: 1-line block ×4, first 2 shown]
	s_and_saveexec_b32 s17, vcc_lo
	s_cbranch_execz .LBB301_493
; %bb.492:                              ;   in Loop: Header=BB301_294 Depth=1
	v_cmp_gt_i32_e64 s0, s31, v29
	v_cndmask_b32_e64 v48, 0, v53, s0
	v_cmp_gt_i32_e64 s0, s31, v36
	v_cndmask_b32_e64 v47, 0, v47, s0
	v_cmp_gt_i32_e64 s0, s31, v35
	v_or_b32_e32 v52, v47, v48
	v_cndmask_b32_e64 v11, 0, v11, s0
	v_cmp_gt_i32_e64 s0, s31, v34
	v_cndmask_b32_e64 v2, 0, v2, s0
	v_cmp_gt_i32_e64 s0, s31, v33
	v_or_b32_e32 v48, v2, v11
	;; [unrolled: 5-line block ×3, first 2 shown]
	v_cndmask_b32_e64 v46, 0, v46, s0
	v_cmp_gt_i32_e64 s0, s31, v30
	v_cndmask_b32_e64 v10, 0, v10, s0
	v_or_b32_e32 v50, v10, v46
.LBB301_493:                            ;   in Loop: Header=BB301_294 Depth=1
	s_or_b32 exec_lo, exec_lo, s17
	;;#ASMSTART
	v_pk_mul_f16 v2, v42, v52;

	;;#ASMEND
	;;#ASMSTART
	v_pk_mul_f16 v10, v41, v48;

	;;#ASMEND
	;; [unrolled: 4-line block ×4, first 2 shown]
	;;#ASMSTART
	v_pk_add_f16 v2, v2, v10;

	;;#ASMEND
	;;#ASMSTART
	v_pk_add_f16 v2, v2, v11;

	;;#ASMEND
	;; [unrolled: 4-line block ×3, first 2 shown]
	v_and_b32_e32 v10, 0xffff, v2
	v_lshrrev_b32_e32 v2, 16, v2
	;;#ASMSTART
	v_cvt_f32_f16 v10, v10;
	;;#ASMEND
	;;#ASMSTART
	v_cvt_f32_f16 v11, v2;
	;;#ASMEND
	global_load_dwordx2 v[8:9], v[8:9], off offset:768
	v_mov_b32_e32 v46, 0
	v_mov_b32_e32 v47, 0
	global_load_dword v45, v46, s[14:15]
	s_waitcnt vmcnt(1)
	v_cmp_ne_u16_sdwa s0, v8, v3 src0_sel:BYTE_0 src1_sel:DWORD
	s_and_saveexec_b32 s17, s0
	s_cbranch_execz .LBB301_501
; %bb.494:                              ;   in Loop: Header=BB301_294 Depth=1
	v_cmp_ne_u16_sdwa s0, v8, v22 src0_sel:BYTE_0 src1_sel:DWORD
	v_mov_b32_e32 v47, 0x8000
	s_and_saveexec_b32 s18, s0
	s_cbranch_execz .LBB301_500
; %bb.495:                              ;   in Loop: Header=BB301_294 Depth=1
	v_and_b32_e32 v48, 0x7f, v8
	v_mov_b32_e32 v47, 0x7c01
	s_mov_b32 s21, exec_lo
	v_cmpx_ne_u32_e32 0x7f, v48
	s_cbranch_execz .LBB301_499
; %bb.496:                              ;   in Loop: Header=BB301_294 Depth=1
	v_and_b32_e32 v2, 7, v8
	v_lshrrev_b32_e32 v47, 3, v48
	s_mov_b32 s22, exec_lo
	v_cmpx_gt_u32_e32 8, v48
; %bb.497:                              ;   in Loop: Header=BB301_294 Depth=1
	v_ffbh_u32_e32 v2, v2
	v_min_u32_e32 v2, 32, v2
	v_subrev_nc_u32_e32 v47, 28, v2
	v_lshlrev_b64 v[48:49], v47, v[8:9]
	v_sub_nc_u32_e32 v47, 29, v2
	v_and_b32_e32 v2, 7, v48
; %bb.498:                              ;   in Loop: Header=BB301_294 Depth=1
	s_or_b32 exec_lo, exec_lo, s22
	v_lshlrev_b32_e32 v48, 8, v8
	v_lshl_add_u32 v47, v47, 10, 0x2000
	v_lshlrev_b32_e32 v2, 7, v2
	v_and_b32_e32 v48, 0x8000, v48
	v_and_b32_e32 v47, 0xfc00, v47
	v_or3_b32 v47, v48, v47, v2
.LBB301_499:                            ;   in Loop: Header=BB301_294 Depth=1
	s_or_b32 exec_lo, exec_lo, s21
.LBB301_500:                            ;   in Loop: Header=BB301_294 Depth=1
	s_or_b32 exec_lo, exec_lo, s18
.LBB301_501:                            ;   in Loop: Header=BB301_294 Depth=1
	s_or_b32 exec_lo, exec_lo, s17
	v_lshrrev_b16 v2, 8, v8
	s_mov_b32 s17, exec_lo
	v_cmpx_ne_u16_e32 0, v2
	s_cbranch_execz .LBB301_509
; %bb.502:                              ;   in Loop: Header=BB301_294 Depth=1
	v_bfrev_b32_e32 v46, 1
	s_mov_b32 s18, exec_lo
	v_cmpx_ne_u16_e32 0x80, v2
	s_cbranch_execz .LBB301_508
; %bb.503:                              ;   in Loop: Header=BB301_294 Depth=1
	v_and_b32_sdwa v49, v2, v23 dst_sel:DWORD dst_unused:UNUSED_PAD src0_sel:WORD_0 src1_sel:DWORD
	v_mov_b32_e32 v46, 0x7c010000
	s_mov_b32 s21, exec_lo
	v_cmpx_ne_u32_e32 0x7f, v49
	s_cbranch_execz .LBB301_507
; %bb.504:                              ;   in Loop: Header=BB301_294 Depth=1
	v_and_b32_sdwa v46, v2, v24 dst_sel:DWORD dst_unused:UNUSED_PAD src0_sel:WORD_0 src1_sel:DWORD
	v_lshrrev_b32_e32 v48, 3, v49
	s_mov_b32 s22, exec_lo
	v_cmpx_gt_u32_e32 8, v49
; %bb.505:                              ;   in Loop: Header=BB301_294 Depth=1
	v_ffbh_u32_e32 v46, v46
	v_min_u32_e32 v46, 32, v46
	v_subrev_nc_u32_e32 v48, 28, v46
	v_lshlrev_b64 v[49:50], v48, v[2:3]
	v_sub_nc_u32_e32 v48, 29, v46
	v_and_b32_e32 v46, 7, v49
; %bb.506:                              ;   in Loop: Header=BB301_294 Depth=1
	s_or_b32 exec_lo, exec_lo, s22
	v_lshlrev_b32_sdwa v2, v25, v2 dst_sel:DWORD dst_unused:UNUSED_PAD src0_sel:DWORD src1_sel:WORD_0
	v_lshl_add_u32 v48, v48, 10, 0x2000
	v_lshlrev_b32_e32 v46, 23, v46
	v_and_or_b32 v2, 0x8000, v2, v48
	v_lshl_or_b32 v46, v2, 16, v46
.LBB301_507:                            ;   in Loop: Header=BB301_294 Depth=1
	s_or_b32 exec_lo, exec_lo, s21
.LBB301_508:                            ;   in Loop: Header=BB301_294 Depth=1
	s_or_b32 exec_lo, exec_lo, s18
.LBB301_509:                            ;   in Loop: Header=BB301_294 Depth=1
	s_or_b32 exec_lo, exec_lo, s17
	v_lshrrev_b32_e32 v2, 16, v8
	v_mov_b32_e32 v48, 0
	v_mov_b32_e32 v49, 0
	v_cmp_ne_u16_sdwa s0, v2, v3 src0_sel:BYTE_0 src1_sel:DWORD
	s_and_saveexec_b32 s17, s0
	s_cbranch_execz .LBB301_517
; %bb.510:                              ;   in Loop: Header=BB301_294 Depth=1
	v_cmp_ne_u16_sdwa s0, v2, v22 src0_sel:BYTE_0 src1_sel:DWORD
	v_mov_b32_e32 v49, 0x8000
	s_and_saveexec_b32 s18, s0
	s_cbranch_execz .LBB301_516
; %bb.511:                              ;   in Loop: Header=BB301_294 Depth=1
	v_bfe_u32 v51, v8, 16, 7
	v_mov_b32_e32 v49, 0x7c01
	s_mov_b32 s21, exec_lo
	v_cmpx_ne_u32_e32 0x7f, v51
	s_cbranch_execz .LBB301_515
; %bb.512:                              ;   in Loop: Header=BB301_294 Depth=1
	v_and_b32_e32 v49, 7, v2
	v_lshrrev_b32_e32 v50, 3, v51
	s_mov_b32 s22, exec_lo
	v_cmpx_gt_u32_e32 8, v51
; %bb.513:                              ;   in Loop: Header=BB301_294 Depth=1
	v_ffbh_u32_e32 v49, v49
	v_min_u32_e32 v51, 32, v49
	v_subrev_nc_u32_e32 v49, 28, v51
	v_lshlrev_b64 v[49:50], v49, v[2:3]
	v_sub_nc_u32_e32 v50, 29, v51
	v_and_b32_e32 v49, 7, v49
; %bb.514:                              ;   in Loop: Header=BB301_294 Depth=1
	s_or_b32 exec_lo, exec_lo, s22
	v_lshlrev_b32_e32 v2, 8, v2
	v_lshl_add_u32 v50, v50, 10, 0x2000
	v_lshlrev_b32_e32 v49, 7, v49
	v_and_b32_e32 v2, 0x8000, v2
	v_and_b32_e32 v50, 0xfc00, v50
	v_or3_b32 v49, v2, v50, v49
.LBB301_515:                            ;   in Loop: Header=BB301_294 Depth=1
	s_or_b32 exec_lo, exec_lo, s21
.LBB301_516:                            ;   in Loop: Header=BB301_294 Depth=1
	s_or_b32 exec_lo, exec_lo, s18
.LBB301_517:                            ;   in Loop: Header=BB301_294 Depth=1
	s_or_b32 exec_lo, exec_lo, s17
	s_mov_b32 s17, exec_lo
	v_cmpx_lt_u32_e32 0xffffff, v8
	s_cbranch_execz .LBB301_525
; %bb.518:                              ;   in Loop: Header=BB301_294 Depth=1
	v_lshrrev_b32_e32 v2, 24, v8
	v_bfrev_b32_e32 v48, 1
	s_mov_b32 s18, exec_lo
	v_cmpx_ne_u32_e32 0x80, v2
	s_cbranch_execz .LBB301_524
; %bb.519:                              ;   in Loop: Header=BB301_294 Depth=1
	v_and_b32_e32 v51, 0x7f, v2
	v_mov_b32_e32 v48, 0x7c010000
	s_mov_b32 s21, exec_lo
	v_cmpx_ne_u32_e32 0x7f, v51
	s_cbranch_execz .LBB301_523
; %bb.520:                              ;   in Loop: Header=BB301_294 Depth=1
	v_and_b32_e32 v48, 7, v2
	v_lshrrev_b32_e32 v50, 3, v51
	s_mov_b32 s22, exec_lo
	v_cmpx_gt_u32_e32 8, v51
; %bb.521:                              ;   in Loop: Header=BB301_294 Depth=1
	v_ffbh_u32_e32 v48, v48
	v_min_u32_e32 v48, 32, v48
	v_subrev_nc_u32_e32 v50, 28, v48
	v_lshlrev_b64 v[51:52], v50, v[2:3]
	v_sub_nc_u32_e32 v50, 29, v48
	v_and_b32_e32 v48, 7, v51
; %bb.522:                              ;   in Loop: Header=BB301_294 Depth=1
	s_or_b32 exec_lo, exec_lo, s22
	v_lshlrev_b32_e32 v2, 8, v2
	v_lshl_add_u32 v50, v50, 10, 0x2000
	v_lshlrev_b32_e32 v48, 23, v48
	v_and_or_b32 v2, 0x8000, v2, v50
	v_lshl_or_b32 v48, v2, 16, v48
.LBB301_523:                            ;   in Loop: Header=BB301_294 Depth=1
	s_or_b32 exec_lo, exec_lo, s21
.LBB301_524:                            ;   in Loop: Header=BB301_294 Depth=1
	s_or_b32 exec_lo, exec_lo, s18
.LBB301_525:                            ;   in Loop: Header=BB301_294 Depth=1
	s_or_b32 exec_lo, exec_lo, s17
	v_mov_b32_e32 v2, v9
	v_cmp_ne_u16_sdwa s0, v9, v3 src0_sel:BYTE_0 src1_sel:DWORD
	v_mov_b32_e32 v50, 0
	v_mov_b32_e32 v51, 0
	s_and_saveexec_b32 s17, s0
	s_cbranch_execz .LBB301_533
; %bb.526:                              ;   in Loop: Header=BB301_294 Depth=1
	v_cmp_ne_u16_sdwa s0, v9, v22 src0_sel:BYTE_0 src1_sel:DWORD
	v_mov_b32_e32 v51, 0x8000
	s_and_saveexec_b32 s18, s0
	s_cbranch_execz .LBB301_532
; %bb.527:                              ;   in Loop: Header=BB301_294 Depth=1
	v_and_b32_e32 v53, 0x7f, v9
	v_mov_b32_e32 v51, 0x7c01
	s_mov_b32 s21, exec_lo
	v_cmpx_ne_u32_e32 0x7f, v53
	s_cbranch_execz .LBB301_531
; %bb.528:                              ;   in Loop: Header=BB301_294 Depth=1
	v_and_b32_e32 v51, 7, v9
	v_lshrrev_b32_e32 v52, 3, v53
	s_mov_b32 s22, exec_lo
	v_cmpx_gt_u32_e32 8, v53
; %bb.529:                              ;   in Loop: Header=BB301_294 Depth=1
	v_ffbh_u32_e32 v51, v51
	v_min_u32_e32 v53, 32, v51
	v_subrev_nc_u32_e32 v51, 28, v53
	v_lshlrev_b64 v[51:52], v51, v[2:3]
	v_sub_nc_u32_e32 v52, 29, v53
	v_and_b32_e32 v51, 7, v51
; %bb.530:                              ;   in Loop: Header=BB301_294 Depth=1
	s_or_b32 exec_lo, exec_lo, s22
	v_lshlrev_b32_e32 v53, 8, v9
	v_lshl_add_u32 v52, v52, 10, 0x2000
	v_lshlrev_b32_e32 v51, 7, v51
	v_and_b32_e32 v53, 0x8000, v53
	v_and_b32_e32 v52, 0xfc00, v52
	v_or3_b32 v51, v53, v52, v51
.LBB301_531:                            ;   in Loop: Header=BB301_294 Depth=1
	s_or_b32 exec_lo, exec_lo, s21
.LBB301_532:                            ;   in Loop: Header=BB301_294 Depth=1
	s_or_b32 exec_lo, exec_lo, s18
.LBB301_533:                            ;   in Loop: Header=BB301_294 Depth=1
	s_or_b32 exec_lo, exec_lo, s17
	v_lshrrev_b16 v2, 8, v2
	v_mov_b32_e32 v52, 0
	s_mov_b32 s17, exec_lo
	v_cmpx_ne_u16_e32 0, v2
	s_cbranch_execz .LBB301_541
; %bb.534:                              ;   in Loop: Header=BB301_294 Depth=1
	v_bfrev_b32_e32 v52, 1
	s_mov_b32 s18, exec_lo
	v_cmpx_ne_u16_e32 0x80, v2
	s_cbranch_execz .LBB301_540
; %bb.535:                              ;   in Loop: Header=BB301_294 Depth=1
	v_and_b32_sdwa v54, v2, v23 dst_sel:DWORD dst_unused:UNUSED_PAD src0_sel:WORD_0 src1_sel:DWORD
	v_mov_b32_e32 v52, 0x7c010000
	s_mov_b32 s21, exec_lo
	v_cmpx_ne_u32_e32 0x7f, v54
	s_cbranch_execz .LBB301_539
; %bb.536:                              ;   in Loop: Header=BB301_294 Depth=1
	v_and_b32_sdwa v52, v2, v24 dst_sel:DWORD dst_unused:UNUSED_PAD src0_sel:WORD_0 src1_sel:DWORD
	v_lshrrev_b32_e32 v53, 3, v54
	s_mov_b32 s22, exec_lo
	v_cmpx_gt_u32_e32 8, v54
; %bb.537:                              ;   in Loop: Header=BB301_294 Depth=1
	v_ffbh_u32_e32 v52, v52
	v_min_u32_e32 v54, 32, v52
	v_subrev_nc_u32_e32 v52, 28, v54
	v_lshlrev_b64 v[52:53], v52, v[2:3]
	v_sub_nc_u32_e32 v53, 29, v54
	v_and_b32_e32 v52, 7, v52
; %bb.538:                              ;   in Loop: Header=BB301_294 Depth=1
	s_or_b32 exec_lo, exec_lo, s22
	v_lshlrev_b32_sdwa v2, v25, v2 dst_sel:DWORD dst_unused:UNUSED_PAD src0_sel:DWORD src1_sel:WORD_0
	v_lshl_add_u32 v53, v53, 10, 0x2000
	v_lshlrev_b32_e32 v52, 23, v52
	v_and_or_b32 v2, 0x8000, v2, v53
	v_lshl_or_b32 v52, v2, 16, v52
.LBB301_539:                            ;   in Loop: Header=BB301_294 Depth=1
	s_or_b32 exec_lo, exec_lo, s21
.LBB301_540:                            ;   in Loop: Header=BB301_294 Depth=1
	s_or_b32 exec_lo, exec_lo, s18
.LBB301_541:                            ;   in Loop: Header=BB301_294 Depth=1
	s_or_b32 exec_lo, exec_lo, s17
	v_lshrrev_b32_e32 v2, 16, v9
	v_cmp_ne_u16_sdwa s0, v2, v3 src0_sel:BYTE_0 src1_sel:DWORD
	s_and_saveexec_b32 s17, s0
	s_cbranch_execz .LBB301_549
; %bb.542:                              ;   in Loop: Header=BB301_294 Depth=1
	v_cmp_ne_u16_sdwa s0, v2, v22 src0_sel:BYTE_0 src1_sel:DWORD
	v_mov_b32_e32 v50, 0x8000
	s_and_saveexec_b32 s18, s0
	s_cbranch_execz .LBB301_548
; %bb.543:                              ;   in Loop: Header=BB301_294 Depth=1
	v_bfe_u32 v54, v9, 16, 7
	v_mov_b32_e32 v50, 0x7c01
	s_mov_b32 s21, exec_lo
	v_cmpx_ne_u32_e32 0x7f, v54
	s_cbranch_execz .LBB301_547
; %bb.544:                              ;   in Loop: Header=BB301_294 Depth=1
	v_and_b32_e32 v50, 7, v2
	v_lshrrev_b32_e32 v53, 3, v54
	s_mov_b32 s22, exec_lo
	v_cmpx_gt_u32_e32 8, v54
; %bb.545:                              ;   in Loop: Header=BB301_294 Depth=1
	v_ffbh_u32_e32 v50, v50
	v_min_u32_e32 v50, 32, v50
	v_subrev_nc_u32_e32 v53, 28, v50
	v_lshlrev_b64 v[54:55], v53, v[2:3]
	v_sub_nc_u32_e32 v53, 29, v50
	v_and_b32_e32 v50, 7, v54
; %bb.546:                              ;   in Loop: Header=BB301_294 Depth=1
	s_or_b32 exec_lo, exec_lo, s22
	v_lshlrev_b32_e32 v2, 8, v2
	v_lshl_add_u32 v53, v53, 10, 0x2000
	v_lshlrev_b32_e32 v50, 7, v50
	v_and_b32_e32 v2, 0x8000, v2
	v_and_b32_e32 v53, 0xfc00, v53
	v_or3_b32 v50, v2, v53, v50
.LBB301_547:                            ;   in Loop: Header=BB301_294 Depth=1
	s_or_b32 exec_lo, exec_lo, s21
.LBB301_548:                            ;   in Loop: Header=BB301_294 Depth=1
	s_or_b32 exec_lo, exec_lo, s18
.LBB301_549:                            ;   in Loop: Header=BB301_294 Depth=1
	s_or_b32 exec_lo, exec_lo, s17
	v_cmp_lt_u64_e64 s0, s[4:5], v[8:9]
	v_mov_b32_e32 v8, 0
	s_and_saveexec_b32 s17, s0
	s_cbranch_execz .LBB301_557
; %bb.550:                              ;   in Loop: Header=BB301_294 Depth=1
	v_lshrrev_b32_e32 v2, 24, v9
	v_bfrev_b32_e32 v8, 1
	s_mov_b32 s18, exec_lo
	v_cmpx_ne_u32_e32 0x80, v2
	s_cbranch_execz .LBB301_556
; %bb.551:                              ;   in Loop: Header=BB301_294 Depth=1
	v_and_b32_e32 v53, 0x7f, v2
	v_mov_b32_e32 v8, 0x7c010000
	s_mov_b32 s21, exec_lo
	v_cmpx_ne_u32_e32 0x7f, v53
	s_cbranch_execz .LBB301_555
; %bb.552:                              ;   in Loop: Header=BB301_294 Depth=1
	v_and_b32_e32 v8, 7, v2
	v_lshrrev_b32_e32 v9, 3, v53
	s_mov_b32 s22, exec_lo
	v_cmpx_gt_u32_e32 8, v53
; %bb.553:                              ;   in Loop: Header=BB301_294 Depth=1
	v_ffbh_u32_e32 v8, v8
	v_min_u32_e32 v53, 32, v8
	v_subrev_nc_u32_e32 v8, 28, v53
	v_lshlrev_b64 v[8:9], v8, v[2:3]
	v_sub_nc_u32_e32 v9, 29, v53
	v_and_b32_e32 v8, 7, v8
; %bb.554:                              ;   in Loop: Header=BB301_294 Depth=1
	s_or_b32 exec_lo, exec_lo, s22
	v_lshlrev_b32_e32 v2, 8, v2
	v_lshl_add_u32 v9, v9, 10, 0x2000
	v_lshlrev_b32_e32 v8, 23, v8
	v_and_or_b32 v2, 0x8000, v2, v9
	v_lshl_or_b32 v8, v2, 16, v8
.LBB301_555:                            ;   in Loop: Header=BB301_294 Depth=1
	s_or_b32 exec_lo, exec_lo, s21
.LBB301_556:                            ;   in Loop: Header=BB301_294 Depth=1
	s_or_b32 exec_lo, exec_lo, s18
.LBB301_557:                            ;   in Loop: Header=BB301_294 Depth=1
	s_or_b32 exec_lo, exec_lo, s17
	v_or_b32_e32 v2, v48, v49
	s_waitcnt vmcnt(0)
	v_fma_mixlo_f16 v9, v45, v48, 0 op_sel:[0,1,0] op_sel_hi:[0,1,0]
	v_or_b32_e32 v47, v46, v47
	v_fma_mixlo_f16 v48, v45, v46, 0 op_sel:[0,1,0] op_sel_hi:[0,1,0]
	v_or_b32_e32 v49, v52, v51
	v_fma_mixlo_f16 v2, v45, v2, 0 op_sel_hi:[0,1,0]
	v_or_b32_e32 v50, v8, v50
	v_lshlrev_b32_e32 v46, 16, v9
	v_lshlrev_b32_e32 v51, 16, v48
	v_fma_mixlo_f16 v9, v45, v47, 0 op_sel_hi:[0,1,0]
	v_and_b32_e32 v48, 0xffff, v2
	v_fma_mixlo_f16 v2, v45, v52, 0 op_sel:[0,1,0] op_sel_hi:[0,1,0]
	v_fma_mixlo_f16 v47, v45, v49, 0 op_sel_hi:[0,1,0]
	v_fma_mixlo_f16 v8, v45, v8, 0 op_sel:[0,1,0] op_sel_hi:[0,1,0]
	v_fma_mixlo_f16 v50, v45, v50, 0 op_sel_hi:[0,1,0]
	v_and_b32_e32 v53, 0xffff, v9
	v_lshlrev_b32_e32 v49, 16, v2
	v_and_b32_e32 v52, 0xffff, v47
	v_lshlrev_b32_e32 v45, 16, v8
	v_and_b32_e32 v50, 0xffff, v50
	v_or_b32_e32 v9, v46, v48
	v_or_b32_e32 v47, v51, v53
	;; [unrolled: 1-line block ×4, first 2 shown]
	s_and_saveexec_b32 s0, vcc_lo
	s_cbranch_execz .LBB301_292
; %bb.558:                              ;   in Loop: Header=BB301_294 Depth=1
	v_cmp_gt_i32_e32 vcc_lo, s31, v29
	v_cndmask_b32_e32 v2, 0, v53, vcc_lo
	v_cmp_gt_i32_e32 vcc_lo, s31, v36
	v_cndmask_b32_e32 v8, 0, v51, vcc_lo
	v_cmp_gt_i32_e32 vcc_lo, s31, v35
	v_or_b32_e32 v47, v8, v2
	v_cndmask_b32_e32 v9, 0, v48, vcc_lo
	v_cmp_gt_i32_e32 vcc_lo, s31, v34
	v_cndmask_b32_e32 v29, 0, v46, vcc_lo
	v_cmp_gt_i32_e32 vcc_lo, s31, v33
	v_or_b32_e32 v9, v29, v9
	;; [unrolled: 5-line block ×3, first 2 shown]
	v_cndmask_b32_e32 v31, 0, v50, vcc_lo
	v_cmp_gt_i32_e32 vcc_lo, s31, v30
	v_cndmask_b32_e32 v30, 0, v45, vcc_lo
	v_or_b32_e32 v2, v30, v31
	s_branch .LBB301_292
.LBB301_559:
	s_or_b32 exec_lo, exec_lo, s12
.LBB301_560:
	s_or_b32 exec_lo, exec_lo, s1
	ds_bpermute_b32 v1, v12, v21
	ds_bpermute_b32 v2, v12, v20
	;; [unrolled: 1-line block ×4, first 2 shown]
	v_lshrrev_b32_e32 v5, 2, v14
	v_and_b32_e32 v12, 0x3c3, v0
	s_mov_b32 s0, exec_lo
	s_waitcnt lgkmcnt(0)
	s_waitcnt_vscnt null, 0x0
	s_barrier
	buffer_gl0_inv
	v_add_f32_e32 v1, v21, v1
	v_add_f32_e32 v2, v20, v2
	;; [unrolled: 1-line block ×4, first 2 shown]
	v_and_b32_e32 v4, 28, v14
	ds_bpermute_b32 v3, v17, v1
	ds_bpermute_b32 v9, v17, v2
	;; [unrolled: 1-line block ×4, first 2 shown]
	v_add_nc_u32_e32 v6, 0x60, v4
	s_waitcnt lgkmcnt(3)
	v_add_f32_e32 v4, v1, v3
	s_waitcnt lgkmcnt(2)
	v_add_f32_e32 v3, v2, v9
	;; [unrolled: 2-line block ×4, first 2 shown]
	v_cmpx_eq_u32_e32 64, v12
	s_cbranch_execz .LBB301_562
; %bb.561:
	v_lshl_add_u32 v7, v13, 7, v6
	v_add_nc_u32_e32 v8, 0xffffff00, v7
	v_add_nc_u32_e32 v9, 0xffffff20, v7
	;; [unrolled: 1-line block ×4, first 2 shown]
	ds_write_b32 v8, v4
	ds_write_b32 v9, v3
	ds_write_b32 v10, v2
	ds_write_b32 v7, v1
.LBB301_562:
	s_or_b32 exec_lo, exec_lo, s0
	v_and_b32_e32 v7, 0x3e0, v0
	v_lshlrev_b32_e32 v5, 2, v5
	s_mov_b32 s1, exec_lo
	v_cmp_eq_u32_e32 vcc_lo, 0, v16
	s_waitcnt lgkmcnt(0)
	v_lshlrev_b32_e32 v7, 2, v7
	s_barrier
	buffer_gl0_inv
	v_add3_u32 v5, 0x60, v7, v5
	v_cmpx_gt_u32_e32 64, v0
	s_cbranch_execz .LBB301_569
; %bb.563:
	s_and_saveexec_b32 s0, vcc_lo
	s_cbranch_execnz .LBB301_581
; %bb.564:
	s_or_b32 exec_lo, exec_lo, s0
	s_and_saveexec_b32 s0, vcc_lo
	s_cbranch_execnz .LBB301_582
.LBB301_565:
	s_or_b32 exec_lo, exec_lo, s0
	s_and_saveexec_b32 s0, vcc_lo
	s_cbranch_execnz .LBB301_583
.LBB301_566:
	s_or_b32 exec_lo, exec_lo, s0
	s_and_saveexec_b32 s0, vcc_lo
	s_cbranch_execz .LBB301_568
.LBB301_567:
	ds_read_b32 v7, v5 offset:96
	s_waitcnt lgkmcnt(0)
	v_add_f32_e32 v1, v1, v7
.LBB301_568:
	s_or_b32 exec_lo, exec_lo, s0
.LBB301_569:
	s_or_b32 exec_lo, exec_lo, s1
	v_and_b32_e32 v7, 0x3e3, v0
	s_mov_b32 s1, exec_lo
	s_barrier
	buffer_gl0_inv
	v_cmpx_eq_u32_e32 32, v7
	s_cbranch_execz .LBB301_571
; %bb.570:
	ds_write2_b32 v6, v4, v3 offset1:8
	ds_write2_b32 v6, v2, v1 offset0:16 offset1:24
.LBB301_571:
	s_or_b32 exec_lo, exec_lo, s1
	s_mov_b32 s1, exec_lo
	s_waitcnt lgkmcnt(0)
	s_barrier
	buffer_gl0_inv
	v_cmpx_gt_u32_e32 32, v0
	s_cbranch_execz .LBB301_578
; %bb.572:
	s_and_saveexec_b32 s0, vcc_lo
	s_cbranch_execnz .LBB301_584
; %bb.573:
	s_or_b32 exec_lo, exec_lo, s0
	s_and_saveexec_b32 s0, vcc_lo
	s_cbranch_execnz .LBB301_585
.LBB301_574:
	s_or_b32 exec_lo, exec_lo, s0
	s_and_saveexec_b32 s0, vcc_lo
	s_cbranch_execnz .LBB301_586
.LBB301_575:
	s_or_b32 exec_lo, exec_lo, s0
	s_and_saveexec_b32 s0, vcc_lo
	s_cbranch_execz .LBB301_577
.LBB301_576:
	ds_read_b32 v5, v5 offset:96
	s_waitcnt lgkmcnt(0)
	v_add_f32_e32 v1, v1, v5
.LBB301_577:
	s_or_b32 exec_lo, exec_lo, s0
.LBB301_578:
	s_or_b32 exec_lo, exec_lo, s1
	s_barrier
	buffer_gl0_inv
	s_mov_b32 s0, exec_lo
	v_cmpx_eq_u32_e32 0, v7
	s_cbranch_execz .LBB301_580
; %bb.579:
	s_lshl_b32 s0, s2, 5
	s_mul_i32 s2, s7, s10
	s_ashr_i32 s1, s0, 31
	v_lshrrev_b32_e32 v0, 1, v0
	s_lshl_b64 s[0:1], s[0:1], 1
	;;#ASMSTART
	v_cvt_f16_f32 v4, v4;

	;;#ASMEND
	s_add_u32 s4, s28, s0
	s_addc_u32 s5, s29, s1
	s_ashr_i32 s3, s2, 31
	s_lshl_b64 s[0:1], s[2:3], 1
	s_add_u32 s2, s4, s0
	s_addc_u32 s3, s5, s1
	s_lshl_b32 s0, s8, 5
	s_ashr_i32 s1, s0, 31
	s_lshl_b64 s[0:1], s[0:1], 1
	s_add_u32 s0, s2, s0
	s_addc_u32 s1, s3, s1
	global_store_short v0, v4, s[0:1]
	;;#ASMSTART
	v_cvt_f16_f32 v3, v3;

	;;#ASMEND
	global_store_short v0, v3, s[0:1] offset:16
	;;#ASMSTART
	v_cvt_f16_f32 v2, v2;

	;;#ASMEND
	global_store_short v0, v2, s[0:1] offset:32
	;; [unrolled: 5-line block ×3, first 2 shown]
.LBB301_580:
	s_endpgm
.LBB301_581:
	ds_read_b32 v7, v5
	s_waitcnt lgkmcnt(0)
	v_add_f32_e32 v4, v4, v7
	s_or_b32 exec_lo, exec_lo, s0
	s_and_saveexec_b32 s0, vcc_lo
	s_cbranch_execz .LBB301_565
.LBB301_582:
	ds_read_b32 v7, v5 offset:32
	s_waitcnt lgkmcnt(0)
	v_add_f32_e32 v3, v3, v7
	s_or_b32 exec_lo, exec_lo, s0
	s_and_saveexec_b32 s0, vcc_lo
	s_cbranch_execz .LBB301_566
.LBB301_583:
	ds_read_b32 v7, v5 offset:64
	s_waitcnt lgkmcnt(0)
	v_add_f32_e32 v2, v2, v7
	s_or_b32 exec_lo, exec_lo, s0
	s_and_saveexec_b32 s0, vcc_lo
	s_cbranch_execnz .LBB301_567
	s_branch .LBB301_568
.LBB301_584:
	ds_read_b32 v6, v5
	s_waitcnt lgkmcnt(0)
	v_add_f32_e32 v4, v4, v6
	s_or_b32 exec_lo, exec_lo, s0
	s_and_saveexec_b32 s0, vcc_lo
	s_cbranch_execz .LBB301_574
.LBB301_585:
	ds_read_b32 v6, v5 offset:32
	s_waitcnt lgkmcnt(0)
	v_add_f32_e32 v3, v3, v6
	s_or_b32 exec_lo, exec_lo, s0
	s_and_saveexec_b32 s0, vcc_lo
	s_cbranch_execz .LBB301_575
.LBB301_586:
	ds_read_b32 v6, v5 offset:64
	s_waitcnt lgkmcnt(0)
	v_add_f32_e32 v2, v2, v6
	s_or_b32 exec_lo, exec_lo, s0
	s_and_saveexec_b32 s0, vcc_lo
	s_cbranch_execnz .LBB301_576
	s_branch .LBB301_577
	.section	.rodata,"a",@progbits
	.p2align	6, 0x0
	.amdhsa_kernel _ZN4vllm25paged_attention_v2_kernelIthLi32ELi32ELi128ELNS_18Fp8KVCacheDataTypeE1ELb1ELi512EEEvPfS2_PT_PKS3_PKT0_S9_ifPKiSB_iPKfiiiSD_SD_iiiii
		.amdhsa_group_segment_fixed_size 96
		.amdhsa_private_segment_fixed_size 0
		.amdhsa_kernarg_size 400
		.amdhsa_user_sgpr_count 6
		.amdhsa_user_sgpr_private_segment_buffer 1
		.amdhsa_user_sgpr_dispatch_ptr 0
		.amdhsa_user_sgpr_queue_ptr 0
		.amdhsa_user_sgpr_kernarg_segment_ptr 1
		.amdhsa_user_sgpr_dispatch_id 0
		.amdhsa_user_sgpr_flat_scratch_init 0
		.amdhsa_user_sgpr_private_segment_size 0
		.amdhsa_wavefront_size32 1
		.amdhsa_uses_dynamic_stack 0
		.amdhsa_system_sgpr_private_segment_wavefront_offset 0
		.amdhsa_system_sgpr_workgroup_id_x 1
		.amdhsa_system_sgpr_workgroup_id_y 1
		.amdhsa_system_sgpr_workgroup_id_z 1
		.amdhsa_system_sgpr_workgroup_info 0
		.amdhsa_system_vgpr_workitem_id 0
		.amdhsa_next_free_vgpr 79
		.amdhsa_next_free_sgpr 53
		.amdhsa_reserve_vcc 1
		.amdhsa_reserve_flat_scratch 0
		.amdhsa_float_round_mode_32 0
		.amdhsa_float_round_mode_16_64 0
		.amdhsa_float_denorm_mode_32 3
		.amdhsa_float_denorm_mode_16_64 3
		.amdhsa_dx10_clamp 1
		.amdhsa_ieee_mode 1
		.amdhsa_fp16_overflow 0
		.amdhsa_workgroup_processor_mode 1
		.amdhsa_memory_ordered 1
		.amdhsa_forward_progress 1
		.amdhsa_shared_vgpr_count 0
		.amdhsa_exception_fp_ieee_invalid_op 0
		.amdhsa_exception_fp_denorm_src 0
		.amdhsa_exception_fp_ieee_div_zero 0
		.amdhsa_exception_fp_ieee_overflow 0
		.amdhsa_exception_fp_ieee_underflow 0
		.amdhsa_exception_fp_ieee_inexact 0
		.amdhsa_exception_int_div_zero 0
	.end_amdhsa_kernel
	.section	.text._ZN4vllm25paged_attention_v2_kernelIthLi32ELi32ELi128ELNS_18Fp8KVCacheDataTypeE1ELb1ELi512EEEvPfS2_PT_PKS3_PKT0_S9_ifPKiSB_iPKfiiiSD_SD_iiiii,"axG",@progbits,_ZN4vllm25paged_attention_v2_kernelIthLi32ELi32ELi128ELNS_18Fp8KVCacheDataTypeE1ELb1ELi512EEEvPfS2_PT_PKS3_PKT0_S9_ifPKiSB_iPKfiiiSD_SD_iiiii,comdat
.Lfunc_end301:
	.size	_ZN4vllm25paged_attention_v2_kernelIthLi32ELi32ELi128ELNS_18Fp8KVCacheDataTypeE1ELb1ELi512EEEvPfS2_PT_PKS3_PKT0_S9_ifPKiSB_iPKfiiiSD_SD_iiiii, .Lfunc_end301-_ZN4vllm25paged_attention_v2_kernelIthLi32ELi32ELi128ELNS_18Fp8KVCacheDataTypeE1ELb1ELi512EEEvPfS2_PT_PKS3_PKT0_S9_ifPKiSB_iPKfiiiSD_SD_iiiii
                                        ; -- End function
	.set _ZN4vllm25paged_attention_v2_kernelIthLi32ELi32ELi128ELNS_18Fp8KVCacheDataTypeE1ELb1ELi512EEEvPfS2_PT_PKS3_PKT0_S9_ifPKiSB_iPKfiiiSD_SD_iiiii.num_vgpr, 79
	.set _ZN4vllm25paged_attention_v2_kernelIthLi32ELi32ELi128ELNS_18Fp8KVCacheDataTypeE1ELb1ELi512EEEvPfS2_PT_PKS3_PKT0_S9_ifPKiSB_iPKfiiiSD_SD_iiiii.num_agpr, 0
	.set _ZN4vllm25paged_attention_v2_kernelIthLi32ELi32ELi128ELNS_18Fp8KVCacheDataTypeE1ELb1ELi512EEEvPfS2_PT_PKS3_PKT0_S9_ifPKiSB_iPKfiiiSD_SD_iiiii.numbered_sgpr, 53
	.set _ZN4vllm25paged_attention_v2_kernelIthLi32ELi32ELi128ELNS_18Fp8KVCacheDataTypeE1ELb1ELi512EEEvPfS2_PT_PKS3_PKT0_S9_ifPKiSB_iPKfiiiSD_SD_iiiii.num_named_barrier, 0
	.set _ZN4vllm25paged_attention_v2_kernelIthLi32ELi32ELi128ELNS_18Fp8KVCacheDataTypeE1ELb1ELi512EEEvPfS2_PT_PKS3_PKT0_S9_ifPKiSB_iPKfiiiSD_SD_iiiii.private_seg_size, 0
	.set _ZN4vllm25paged_attention_v2_kernelIthLi32ELi32ELi128ELNS_18Fp8KVCacheDataTypeE1ELb1ELi512EEEvPfS2_PT_PKS3_PKT0_S9_ifPKiSB_iPKfiiiSD_SD_iiiii.uses_vcc, 1
	.set _ZN4vllm25paged_attention_v2_kernelIthLi32ELi32ELi128ELNS_18Fp8KVCacheDataTypeE1ELb1ELi512EEEvPfS2_PT_PKS3_PKT0_S9_ifPKiSB_iPKfiiiSD_SD_iiiii.uses_flat_scratch, 0
	.set _ZN4vllm25paged_attention_v2_kernelIthLi32ELi32ELi128ELNS_18Fp8KVCacheDataTypeE1ELb1ELi512EEEvPfS2_PT_PKS3_PKT0_S9_ifPKiSB_iPKfiiiSD_SD_iiiii.has_dyn_sized_stack, 0
	.set _ZN4vllm25paged_attention_v2_kernelIthLi32ELi32ELi128ELNS_18Fp8KVCacheDataTypeE1ELb1ELi512EEEvPfS2_PT_PKS3_PKT0_S9_ifPKiSB_iPKfiiiSD_SD_iiiii.has_recursion, 0
	.set _ZN4vllm25paged_attention_v2_kernelIthLi32ELi32ELi128ELNS_18Fp8KVCacheDataTypeE1ELb1ELi512EEEvPfS2_PT_PKS3_PKT0_S9_ifPKiSB_iPKfiiiSD_SD_iiiii.has_indirect_call, 0
	.section	.AMDGPU.csdata,"",@progbits
; Kernel info:
; codeLenInByte = 20064
; TotalNumSgprs: 55
; NumVgprs: 79
; ScratchSize: 0
; MemoryBound: 0
; FloatMode: 240
; IeeeMode: 1
; LDSByteSize: 96 bytes/workgroup (compile time only)
; SGPRBlocks: 0
; VGPRBlocks: 9
; NumSGPRsForWavesPerEU: 55
; NumVGPRsForWavesPerEU: 79
; Occupancy: 12
; WaveLimiterHint : 1
; COMPUTE_PGM_RSRC2:SCRATCH_EN: 0
; COMPUTE_PGM_RSRC2:USER_SGPR: 6
; COMPUTE_PGM_RSRC2:TRAP_HANDLER: 0
; COMPUTE_PGM_RSRC2:TGID_X_EN: 1
; COMPUTE_PGM_RSRC2:TGID_Y_EN: 1
; COMPUTE_PGM_RSRC2:TGID_Z_EN: 1
; COMPUTE_PGM_RSRC2:TIDIG_COMP_CNT: 0
	.section	.text._ZN4vllm25paged_attention_v2_kernelIthLi64ELi32ELi128ELNS_18Fp8KVCacheDataTypeE1ELb1ELi512EEEvPfS2_PT_PKS3_PKT0_S9_ifPKiSB_iPKfiiiSD_SD_iiiii,"axG",@progbits,_ZN4vllm25paged_attention_v2_kernelIthLi64ELi32ELi128ELNS_18Fp8KVCacheDataTypeE1ELb1ELi512EEEvPfS2_PT_PKS3_PKT0_S9_ifPKiSB_iPKfiiiSD_SD_iiiii,comdat
	.protected	_ZN4vllm25paged_attention_v2_kernelIthLi64ELi32ELi128ELNS_18Fp8KVCacheDataTypeE1ELb1ELi512EEEvPfS2_PT_PKS3_PKT0_S9_ifPKiSB_iPKfiiiSD_SD_iiiii ; -- Begin function _ZN4vllm25paged_attention_v2_kernelIthLi64ELi32ELi128ELNS_18Fp8KVCacheDataTypeE1ELb1ELi512EEEvPfS2_PT_PKS3_PKT0_S9_ifPKiSB_iPKfiiiSD_SD_iiiii
	.globl	_ZN4vllm25paged_attention_v2_kernelIthLi64ELi32ELi128ELNS_18Fp8KVCacheDataTypeE1ELb1ELi512EEEvPfS2_PT_PKS3_PKT0_S9_ifPKiSB_iPKfiiiSD_SD_iiiii
	.p2align	8
	.type	_ZN4vllm25paged_attention_v2_kernelIthLi64ELi32ELi128ELNS_18Fp8KVCacheDataTypeE1ELb1ELi512EEEvPfS2_PT_PKS3_PKT0_S9_ifPKiSB_iPKfiiiSD_SD_iiiii,@function
_ZN4vllm25paged_attention_v2_kernelIthLi64ELi32ELi128ELNS_18Fp8KVCacheDataTypeE1ELb1ELi512EEEvPfS2_PT_PKS3_PKT0_S9_ifPKiSB_iPKfiiiSD_SD_iiiii: ; @_ZN4vllm25paged_attention_v2_kernelIthLi64ELi32ELi128ELNS_18Fp8KVCacheDataTypeE1ELb1ELi512EEEvPfS2_PT_PKS3_PKT0_S9_ifPKiSB_iPKfiiiSD_SD_iiiii
; %bb.0:
	s_load_dwordx2 s[0:1], s[4:5], 0x40
	s_mov_b32 s30, s7
	s_ashr_i32 s31, s7, 31
	s_lshl_b64 s[2:3], s[30:31], 2
	s_waitcnt lgkmcnt(0)
	s_add_u32 s0, s0, s2
	s_addc_u32 s1, s1, s3
	s_lshl_b32 s40, s8, 9
	s_load_dword s31, s[0:1], 0x0
	s_waitcnt lgkmcnt(0)
	s_cmp_ge_i32 s40, s31
	s_cbranch_scc1 .LBB302_1108
; %bb.1:
	s_clause 0x1
	s_load_dword s9, s[4:5], 0x90
	s_load_dwordx2 s[2:3], s[4:5], 0x30
	s_mov_b32 s42, 0
	s_waitcnt lgkmcnt(0)
	s_abs_i32 s10, s9
	s_abs_i32 s0, s2
	v_cvt_f32_u32_e32 v1, s0
	s_sub_i32 s7, 0, s0
	v_rcp_iflag_f32_e32 v1, v1
	v_mul_f32_e32 v1, 0x4f7ffffe, v1
	v_cvt_u32_f32_e32 v1, v1
	v_readfirstlane_b32 s1, v1
	s_mul_i32 s7, s7, s1
	s_mul_hi_u32 s7, s1, s7
	s_add_i32 s1, s1, s7
	s_xor_b32 s7, s9, s2
	s_mul_hi_u32 s1, s10, s1
	s_ashr_i32 s7, s7, 31
	s_mul_i32 s11, s1, s0
	s_sub_i32 s10, s10, s11
	s_add_i32 s11, s1, 1
	s_sub_i32 s12, s10, s0
	s_cmp_ge_u32 s10, s0
	s_cselect_b32 s1, s11, s1
	s_cselect_b32 s10, s12, s10
	s_add_i32 s11, s1, 1
	s_cmp_ge_u32 s10, s0
	s_cselect_b32 s0, s11, s1
	s_abs_i32 s13, s6
	s_xor_b32 s0, s0, s7
	s_sub_i32 s10, s0, s7
	s_load_dwordx2 s[0:1], s[4:5], 0x50
	s_abs_i32 s12, s10
	v_cvt_f32_u32_e32 v1, s12
	s_sub_i32 s11, 0, s12
	v_rcp_iflag_f32_e32 v1, v1
	v_mul_f32_e32 v1, 0x4f7ffffe, v1
	v_cvt_u32_f32_e32 v1, v1
	v_readfirstlane_b32 s7, v1
	s_mul_i32 s11, s11, s7
	s_mul_hi_u32 s11, s7, s11
	s_add_i32 s7, s7, s11
	s_waitcnt lgkmcnt(0)
	s_cmp_eq_u64 s[0:1], 0
	s_mul_hi_u32 s14, s13, s7
	s_cbranch_scc1 .LBB302_3
; %bb.2:
	s_ashr_i32 s7, s6, 31
	s_lshl_b64 s[16:17], s[6:7], 2
	s_add_u32 s0, s0, s16
	s_addc_u32 s1, s1, s17
	s_load_dword s42, s[0:1], 0x0
.LBB302_3:
	s_load_dwordx4 s[16:19], s[4:5], 0x58
	s_ashr_i32 s0, s6, 31
	s_ashr_i32 s1, s10, 31
	s_lshl_b32 s10, s6, 6
	s_mov_b32 s7, exec_lo
	v_cmpx_gt_u32_e32 8, v0
	s_cbranch_execz .LBB302_5
; %bb.4:
	s_load_dwordx2 s[20:21], s[4:5], 0x18
	s_waitcnt lgkmcnt(0)
	s_mul_i32 s22, s16, s30
	v_lshlrev_b32_e32 v5, 4, v0
	s_ashr_i32 s23, s22, 31
	s_lshl_b64 s[22:23], s[22:23], 1
	s_add_u32 s15, s20, s22
	s_addc_u32 s16, s21, s23
	s_ashr_i32 s11, s10, 31
	s_lshl_b64 s[20:21], s[10:11], 1
	s_add_u32 s20, s15, s20
	s_addc_u32 s21, s16, s21
	global_load_dwordx4 v[1:4], v5, s[20:21]
	s_waitcnt vmcnt(0)
	ds_write_b128 v5, v[1:4]
.LBB302_5:
	s_or_b32 exec_lo, exec_lo, s7
	s_load_dwordx4 s[20:23], s[4:5], 0x78
	s_mul_i32 s7, s14, s12
	s_xor_b32 s0, s0, s1
	s_sub_i32 s1, s13, s7
	s_add_i32 s7, s14, 1
	s_sub_i32 s11, s1, s12
	s_cmp_ge_u32 s1, s12
	s_mov_b32 s13, -1
	s_cselect_b32 s7, s7, s14
	s_cselect_b32 s1, s11, s1
	s_add_i32 s11, s7, 1
	s_cmp_ge_u32 s1, s12
                                        ; implicit-def: $sgpr19
	s_cselect_b32 s1, s11, s7
	s_load_dword s7, s[4:5], 0x88
	s_xor_b32 s1, s1, s0
	s_add_i32 s12, s31, -1
	s_sub_i32 s1, s1, s0
	s_abs_i32 s33, s12
	s_waitcnt lgkmcnt(0)
	s_abs_i32 s11, s23
	s_barrier
	v_cvt_f32_u32_e32 v1, s11
	s_sub_i32 s0, 0, s11
	buffer_gl0_inv
	v_rcp_iflag_f32_e32 v1, v1
	v_mul_f32_e32 v1, 0x4f7ffffe, v1
	v_cvt_u32_f32_e32 v1, v1
	v_readfirstlane_b32 s16, v1
	s_mul_i32 s0, s0, s16
	s_mul_hi_u32 s0, s16, s0
	s_add_i32 s16, s16, s0
	s_cmp_lt_i32 s7, 0
	s_mul_hi_u32 s0, s33, s16
	s_cbranch_scc0 .LBB302_7
; %bb.6:
	s_mul_i32 s2, s20, s2
	s_mov_b32 s13, 0
	s_add_i32 s2, s1, s2
	s_mul_i32 s2, s2, s7
	s_sub_i32 s19, 1, s2
.LBB302_7:
	s_load_dwordx2 s[34:35], s[4:5], 0x38
	s_ashr_i32 s2, s12, 31
	s_andn2_b32 vcc_lo, exec_lo, s13
	s_ashr_i32 s23, s23, 31
	s_cbranch_vccnz .LBB302_9
; %bb.8:
	s_mul_i32 s12, s9, s20
	s_add_i32 s12, s12, s6
	s_mul_i32 s7, s12, s7
	s_add_i32 s19, s7, 1
.LBB302_9:
	s_clause 0x5
	s_load_dword s20, s[4:5], 0x48
	s_load_dwordx2 s[38:39], s[4:5], 0x28
	s_load_dwordx4 s[24:27], s[4:5], 0x0
	s_load_dwordx2 s[28:29], s[4:5], 0x10
	s_load_dword s7, s[4:5], 0x98
	s_load_dwordx4 s[12:15], s[4:5], 0x68
	s_mul_i32 s36, s0, s11
	s_xor_b32 s2, s2, s23
	s_sub_i32 s33, s33, s36
	s_add_i32 s41, s0, 1
	v_lshrrev_b32_e32 v13, 5, v0
	v_and_b32_e32 v14, 31, v0
	v_mov_b32_e32 v17, 0xff7fffff
	s_mul_i32 s18, s1, s18
	v_lshl_add_u32 v15, v13, 5, s40
	v_lshlrev_b32_e32 v16, 2, v14
	s_waitcnt lgkmcnt(0)
	s_mul_i32 s36, s20, s30
	s_sub_i32 s20, s33, s11
	s_ashr_i32 s37, s36, 31
	s_cmp_ge_u32 s33, s11
	s_cselect_b32 s0, s41, s0
	s_cselect_b32 s20, s20, s33
	s_add_i32 s33, s0, 1
	s_cmp_ge_u32 s20, s11
	s_cselect_b32 s0, s33, s0
	s_add_i32 s20, s31, 31
	s_lshl_b32 s43, s8, 4
	s_ashr_i32 s33, s20, 31
	v_add_nc_u32_e32 v1, s43, v13
	s_lshr_b32 s33, s33, 27
	s_add_i32 s41, s43, 16
	s_add_i32 s20, s20, s33
	s_xor_b32 s44, s0, s2
	s_ashr_i32 s33, s20, 5
	v_ashrrev_i32_e32 v2, 31, v1
	s_min_i32 s20, s41, s33
	s_sub_i32 s41, s44, s2
	v_cmp_gt_i32_e64 s0, s20, v1
	s_and_saveexec_b32 s44, s0
	s_cbranch_execz .LBB302_529
; %bb.10:
	s_load_dwordx2 s[4:5], s[4:5], 0x20
	s_sub_i32 s45, s41, s21
	s_ashr_i32 s1, s18, 31
	v_lshl_or_b32 v9, v13, 7, v16
	v_lshlrev_b32_e32 v5, 4, v14
	v_subrev_nc_u32_e32 v6, s31, v14
	v_lshlrev_b64 v[7:8], 2, v[1:2]
	v_mov_b32_e32 v4, 0
	v_add_nc_u32_e32 v25, 0xa0, v9
	v_cmp_neq_f32_e64 vcc_lo, s42, 0
	v_add_nc_u32_e32 v24, 1, v6
	v_lshl_add_u32 v18, v13, 5, s40
	v_mov_b32_e32 v19, 0xff7fffff
	v_mov_b32_e32 v20, 0x80
	;; [unrolled: 1-line block ×7, first 2 shown]
	s_mov_b32 s47, s17
	s_waitcnt lgkmcnt(0)
	s_add_u32 s2, s4, s18
	s_addc_u32 s1, s5, s1
	s_abs_i32 s46, s22
	v_add_co_u32 v5, s2, s2, v5
	v_cvt_f32_u32_e32 v3, s46
	s_sub_i32 s4, 0, s46
	v_add_co_ci_u32_e64 v6, null, s1, 0, s2
	s_mov_b32 s48, 0
	v_rcp_iflag_f32_e32 v3, v3
	v_mul_f32_e32 v3, 0x4f7ffffe, v3
	v_cvt_u32_f32_e32 v3, v3
	v_mul_lo_u32 v10, s4, v3
	s_lshl_b64 s[4:5], s[36:37], 2
	s_add_u32 s1, s34, s4
	s_addc_u32 s2, s35, s5
	v_add_co_u32 v7, s1, s1, v7
	v_add_co_ci_u32_e64 v8, null, s2, v8, s1
	v_mul_hi_u32 v9, v3, v10
	s_mov_b32 s4, -1
	s_mov_b32 s5, 0xffffff
	v_add_nc_u32_e32 v26, v3, v9
	s_branch .LBB302_16
.LBB302_11:                             ;   in Loop: Header=BB302_16 Depth=1
	s_or_b32 exec_lo, exec_lo, s52
	v_lshlrev_b32_e32 v3, 8, v3
	v_lshl_add_u32 v10, v10, 10, 0x2000
	v_lshlrev_b32_e32 v9, 23, v9
	v_and_or_b32 v3, 0x8000, v3, v10
	v_lshl_or_b32 v89, v3, 16, v9
.LBB302_12:                             ;   in Loop: Header=BB302_16 Depth=1
	s_or_b32 exec_lo, exec_lo, s51
.LBB302_13:                             ;   in Loop: Header=BB302_16 Depth=1
	s_or_b32 exec_lo, exec_lo, s50
.LBB302_14:                             ;   in Loop: Header=BB302_16 Depth=1
	s_or_b32 exec_lo, exec_lo, s49
	ds_read_b128 v[91:94], v4
	v_or_b32_e32 v10, v29, v30
	v_or_b32_e32 v3, v31, v32
	;; [unrolled: 1-line block ×3, first 2 shown]
	v_fma_mixlo_f16 v9, v28, v31, 0 op_sel:[0,1,0] op_sel_hi:[0,1,0]
	v_or_b32_e32 v31, v37, v33
	v_fma_mixlo_f16 v29, v28, v29, 0 op_sel:[0,1,0] op_sel_hi:[0,1,0]
	v_fma_mixlo_f16 v10, v28, v10, 0 op_sel_hi:[0,1,0]
	v_fma_mixlo_f16 v3, v28, v3, 0 op_sel_hi:[0,1,0]
	v_fma_mixlo_f16 v34, v28, v30, 0 op_sel_hi:[0,1,0]
	v_fma_mixlo_f16 v95, v28, v35, 0 op_sel:[0,1,0] op_sel_hi:[0,1,0]
	v_fma_mixlo_f16 v37, v28, v37, 0 op_sel:[0,1,0] op_sel_hi:[0,1,0]
	v_fma_mixlo_f16 v96, v28, v31, 0 op_sel_hi:[0,1,0]
	v_and_b32_e32 v29, 0xffff, v29
	v_and_b32_e32 v10, 0xffff, v10
	;; [unrolled: 1-line block ×5, first 2 shown]
	v_or_b32_e32 v36, v38, v36
	v_fma_mixlo_f16 v38, v28, v38, 0 op_sel:[0,1,0] op_sel_hi:[0,1,0]
	s_waitcnt lgkmcnt(0)
	v_and_b32_e32 v30, 0xffff, v91
	v_lshrrev_b32_e32 v31, 16, v91
	v_lshrrev_b32_e32 v33, 16, v92
	v_and_b32_e32 v32, 0xffff, v92
	;;#ASMSTART
	v_cvt_f32_f16 v101, v30;
	;;#ASMEND
	;;#ASMSTART
	v_cvt_f32_f16 v30, v31;
	;;#ASMEND
	;; [unrolled: 3-line block ×4, first 2 shown]
	v_and_b32_e32 v10, 0xffff, v93
	v_lshrrev_b32_e32 v29, 16, v93
	v_and_b32_e32 v93, 0xffff, v34
	;;#ASMSTART
	v_cvt_f32_f16 v32, v32;
	;;#ASMEND
	;;#ASMSTART
	v_cvt_f32_f16 v33, v33;
	;;#ASMEND
	;; [unrolled: 3-line block ×7, first 2 shown]
	v_and_b32_e32 v3, 0xffff, v95
	v_and_b32_e32 v9, 0xffff, v94
	v_lshrrev_b32_e32 v10, 16, v94
	v_and_b32_e32 v29, 0xffff, v96
	;;#ASMSTART
	v_cvt_f32_f16 v94, v3;
	;;#ASMEND
	;;#ASMSTART
	v_cvt_f32_f16 v95, v9;
	;;#ASMEND
	;; [unrolled: 3-line block ×5, first 2 shown]
	ds_read_b128 v[103:106], v4 offset:16
	v_or_b32_e32 v9, v41, v39
	v_or_b32_e32 v39, v43, v40
	v_or_b32_e32 v40, v47, v44
	v_or_b32_e32 v3, v90, v87
	v_fma_mixlo_f16 v36, v28, v36, 0 op_sel_hi:[0,1,0]
	v_fma_mixlo_f16 v37, v28, v41, 0 op_sel:[0,1,0] op_sel_hi:[0,1,0]
	v_fma_mixlo_f16 v9, v28, v9, 0 op_sel_hi:[0,1,0]
	v_fma_mixlo_f16 v39, v28, v39, 0 op_sel_hi:[0,1,0]
	v_fma_mixlo_f16 v41, v28, v43, 0 op_sel:[0,1,0] op_sel_hi:[0,1,0]
	v_fma_mixlo_f16 v40, v28, v40, 0 op_sel_hi:[0,1,0]
	v_fma_mixlo_f16 v43, v28, v47, 0 op_sel:[0,1,0] op_sel_hi:[0,1,0]
	v_fma_mixlo_f16 v10, v28, v90, 0 op_sel:[0,1,0] op_sel_hi:[0,1,0]
	v_fma_mixlo_f16 v29, v28, v3, 0 op_sel_hi:[0,1,0]
	v_or_b32_e32 v3, v79, v83
	v_and_b32_e32 v36, 0xffff, v36
	v_and_b32_e32 v83, 0xffff, v38
	;; [unrolled: 1-line block ×5, first 2 shown]
	s_waitcnt lgkmcnt(0)
	v_and_b32_e32 v44, 0xffff, v103
	v_lshrrev_b32_e32 v47, 16, v103
	v_and_b32_e32 v87, 0xffff, v104
	v_lshrrev_b32_e32 v90, 16, v104
	;;#ASMSTART
	v_cvt_f32_f16 v44, v44;
	;;#ASMEND
	;;#ASMSTART
	v_cvt_f32_f16 v38, v47;
	;;#ASMEND
	;; [unrolled: 3-line block ×6, first 2 shown]
	v_and_b32_e32 v36, 0xffff, v37
	v_and_b32_e32 v37, 0xffff, v105
	v_lshrrev_b32_e32 v90, 16, v105
	;;#ASMSTART
	v_cvt_f32_f16 v39, v9;
	;;#ASMEND
	;;#ASMSTART
	v_cvt_f32_f16 v113, v36;
	;;#ASMEND
	;; [unrolled: 3-line block ×5, first 2 shown]
	v_and_b32_e32 v9, 0xffff, v41
	v_and_b32_e32 v36, 0xffff, v106
	v_lshrrev_b32_e32 v37, 16, v106
	v_and_b32_e32 v41, 0xffff, v43
	;;#ASMSTART
	v_cvt_f32_f16 v103, v9;
	;;#ASMEND
	;;#ASMSTART
	v_cvt_f32_f16 v104, v36;
	;;#ASMEND
	;; [unrolled: 3-line block ×5, first 2 shown]
	ds_read_b128 v[108:111], v4 offset:32
	v_or_b32_e32 v9, v45, v42
	v_fma_mixlo_f16 v37, v28, v3, 0 op_sel_hi:[0,1,0]
	v_or_b32_e32 v3, v49, v46
	v_fma_mixlo_f16 v43, v28, v45, 0 op_sel:[0,1,0] op_sel_hi:[0,1,0]
	v_or_b32_e32 v45, v51, v48
	v_or_b32_e32 v48, v55, v52
	v_fma_mixlo_f16 v46, v28, v9, 0 op_sel_hi:[0,1,0]
	v_mul_f32_e32 v9, v38, v83
	v_fma_mixlo_f16 v41, v28, v49, 0 op_sel:[0,1,0] op_sel_hi:[0,1,0]
	v_fma_mixlo_f16 v42, v28, v3, 0 op_sel_hi:[0,1,0]
	v_mul_f32_e32 v3, v44, v47
	v_fma_mixlo_f16 v44, v28, v45, 0 op_sel_hi:[0,1,0]
	v_fma_mixlo_f16 v45, v28, v55, 0 op_sel:[0,1,0] op_sel_hi:[0,1,0]
	v_fma_mixlo_f16 v114, v28, v51, 0 op_sel:[0,1,0] op_sel_hi:[0,1,0]
	v_fma_mixlo_f16 v38, v28, v48, 0 op_sel_hi:[0,1,0]
	v_fma_mixlo_f16 v36, v28, v79, 0 op_sel:[0,1,0] op_sel_hi:[0,1,0]
	v_fmac_f32_e32 v9, v30, v31
	v_mul_f32_e32 v31, v87, v39
	v_and_b32_e32 v46, 0xffff, v46
	s_waitcnt lgkmcnt(0)
	v_and_b32_e32 v47, 0xffff, v108
	v_lshrrev_b32_e32 v39, 16, v108
	;;#ASMSTART
	v_cvt_f32_f16 v79, v47;
	;;#ASMEND
	v_and_b32_e32 v43, 0xffff, v43
	v_and_b32_e32 v47, 0xffff, v109
	v_lshrrev_b32_e32 v48, 16, v109
	;;#ASMSTART
	v_cvt_f32_f16 v49, v39;
	;;#ASMEND
	;;#ASMSTART
	v_cvt_f32_f16 v87, v46;
	;;#ASMEND
	;; [unrolled: 3-line block ×5, first 2 shown]
	v_and_b32_e32 v39, 0xffff, v42
	v_and_b32_e32 v41, 0xffff, v41
	;; [unrolled: 1-line block ×3, first 2 shown]
	v_lshrrev_b32_e32 v43, 16, v110
	v_and_b32_e32 v44, 0xffff, v44
	v_and_b32_e32 v46, 0xffff, v111
	v_lshrrev_b32_e32 v47, 16, v111
	v_and_b32_e32 v48, 0xffff, v45
	v_or_b32_e32 v40, v82, v84
	;;#ASMSTART
	v_cvt_f32_f16 v83, v39;
	;;#ASMEND
	;;#ASMSTART
	v_cvt_f32_f16 v84, v41;
	;;#ASMEND
	;; [unrolled: 3-line block ×5, first 2 shown]
	v_and_b32_e32 v39, 0xffff, v114
	v_and_b32_e32 v38, 0xffff, v38
	;;#ASMSTART
	v_cvt_f32_f16 v44, v39;
	;;#ASMEND
	;;#ASMSTART
	v_cvt_f32_f16 v45, v46;
	;;#ASMEND
	;; [unrolled: 3-line block ×5, first 2 shown]
	ds_read_b128 v[108:111], v4 offset:48
	v_or_b32_e32 v88, v78, v88
	v_or_b32_e32 v50, v53, v50
	;; [unrolled: 1-line block ×4, first 2 shown]
	v_fma_mixlo_f16 v53, v28, v53, 0 op_sel:[0,1,0] op_sel_hi:[0,1,0]
	v_fma_mixlo_f16 v38, v28, v88, 0 op_sel_hi:[0,1,0]
	v_fma_mixlo_f16 v88, v28, v57, 0 op_sel:[0,1,0] op_sel_hi:[0,1,0]
	v_or_b32_e32 v57, v63, v60
	v_fma_mixlo_f16 v50, v28, v50, 0 op_sel_hi:[0,1,0]
	v_fmac_f32_e32 v3, v101, v102
	v_mul_f32_e32 v30, v112, v113
	v_fma_mixlo_f16 v54, v28, v54, 0 op_sel_hi:[0,1,0]
	v_fma_mixlo_f16 v101, v28, v56, 0 op_sel_hi:[0,1,0]
	v_fma_mixlo_f16 v112, v28, v63, 0 op_sel:[0,1,0] op_sel_hi:[0,1,0]
	v_fma_mixlo_f16 v59, v28, v59, 0 op_sel:[0,1,0] op_sel_hi:[0,1,0]
	v_fma_mixlo_f16 v102, v28, v57, 0 op_sel_hi:[0,1,0]
	v_and_b32_e32 v50, 0xffff, v50
	v_and_b32_e32 v53, 0xffff, v53
	v_fma_mixlo_f16 v39, v28, v82, 0 op_sel:[0,1,0] op_sel_hi:[0,1,0]
	s_waitcnt lgkmcnt(0)
	v_and_b32_e32 v56, 0xffff, v108
	v_lshrrev_b32_e32 v57, 16, v108
	v_or_b32_e32 v114, v74, v76
	v_fmac_f32_e32 v31, v32, v34
	v_mul_f32_e32 v32, v99, v100
	v_mul_f32_e32 v34, v104, v106
	;;#ASMSTART
	v_cvt_f32_f16 v56, v56;
	;;#ASMEND
	v_and_b32_e32 v76, 0xffff, v109
	v_lshrrev_b32_e32 v82, 16, v109
	;;#ASMSTART
	v_cvt_f32_f16 v57, v57;
	;;#ASMEND
	;;#ASMSTART
	v_cvt_f32_f16 v60, v50;
	;;#ASMEND
	;; [unrolled: 3-line block ×3, first 2 shown]
	v_and_b32_e32 v50, 0xffff, v54
	v_and_b32_e32 v53, 0xffff, v88
	;; [unrolled: 1-line block ×3, first 2 shown]
	v_lshrrev_b32_e32 v100, 16, v110
	v_and_b32_e32 v101, 0xffff, v101
	v_and_b32_e32 v106, 0xffff, v112
	v_fmac_f32_e32 v30, v33, v35
	v_mul_f32_e32 v35, v90, v103
	v_mul_f32_e32 v33, v105, v107
	;;#ASMSTART
	v_cvt_f32_f16 v76, v76;
	;;#ASMEND
	;;#ASMSTART
	v_cvt_f32_f16 v82, v82;
	;;#ASMEND
	;; [unrolled: 3-line block ×7, first 2 shown]
	v_and_b32_e32 v50, 0xffff, v59
	v_and_b32_e32 v53, 0xffff, v111
	v_lshrrev_b32_e32 v54, 16, v111
	v_and_b32_e32 v59, 0xffff, v102
	;;#ASMSTART
	v_cvt_f32_f16 v102, v50;
	;;#ASMEND
	;;#ASMSTART
	v_cvt_f32_f16 v103, v53;
	;;#ASMEND
	;; [unrolled: 3-line block ×5, first 2 shown]
	ds_read_b128 v[110:113], v4 offset:64
	v_or_b32_e32 v58, v61, v58
	v_or_b32_e32 v54, v65, v62
	;; [unrolled: 1-line block ×3, first 2 shown]
	v_fma_mixlo_f16 v59, v28, v65, 0 op_sel:[0,1,0] op_sel_hi:[0,1,0]
	v_or_b32_e32 v65, v68, v67
	v_fma_mixlo_f16 v61, v28, v61, 0 op_sel:[0,1,0] op_sel_hi:[0,1,0]
	v_fma_mixlo_f16 v58, v28, v58, 0 op_sel_hi:[0,1,0]
	v_fma_mixlo_f16 v54, v28, v54, 0 op_sel_hi:[0,1,0]
	;; [unrolled: 1-line block ×3, first 2 shown]
	v_fma_mixlo_f16 v67, v28, v68, 0 op_sel:[0,1,0] op_sel_hi:[0,1,0]
	v_fma_mixlo_f16 v66, v28, v66, 0 op_sel:[0,1,0] op_sel_hi:[0,1,0]
	v_fma_mixlo_f16 v65, v28, v65, 0 op_sel_hi:[0,1,0]
	v_and_b32_e32 v58, 0xffff, v58
	v_and_b32_e32 v61, 0xffff, v61
	v_fma_mixlo_f16 v50, v28, v78, 0 op_sel:[0,1,0] op_sel_hi:[0,1,0]
	v_fma_mixlo_f16 v107, v28, v74, 0 op_sel:[0,1,0] op_sel_hi:[0,1,0]
	v_or_b32_e32 v53, v70, v69
	v_fma_mixlo_f16 v109, v28, v70, 0 op_sel:[0,1,0] op_sel_hi:[0,1,0]
	v_or_b32_e32 v62, v71, v73
	s_waitcnt lgkmcnt(0)
	v_and_b32_e32 v68, 0xffff, v110
	v_fmac_f32_e32 v34, v95, v97
	v_fmac_f32_e32 v33, v96, v98
	v_lshrrev_b32_e32 v69, 16, v110
	;;#ASMSTART
	v_cvt_f32_f16 v95, v68;
	;;#ASMEND
	v_and_b32_e32 v68, 0xffff, v111
	v_lshrrev_b32_e32 v70, 16, v111
	;;#ASMSTART
	v_cvt_f32_f16 v74, v69;
	;;#ASMEND
	;;#ASMSTART
	v_cvt_f32_f16 v96, v58;
	;;#ASMEND
	;; [unrolled: 3-line block ×3, first 2 shown]
	v_and_b32_e32 v54, 0xffff, v54
	v_and_b32_e32 v58, 0xffff, v59
	;; [unrolled: 1-line block ×3, first 2 shown]
	v_lshrrev_b32_e32 v61, 16, v112
	v_and_b32_e32 v64, 0xffff, v64
	v_and_b32_e32 v73, 0xffff, v67
	v_fmac_f32_e32 v32, v92, v93
	v_fmac_f32_e32 v35, v91, v94
	;;#ASMSTART
	v_cvt_f32_f16 v91, v68;
	;;#ASMEND
	;;#ASMSTART
	v_cvt_f32_f16 v92, v70;
	;;#ASMEND
	;; [unrolled: 3-line block ×7, first 2 shown]
	v_and_b32_e32 v54, 0xffff, v66
	v_and_b32_e32 v64, 0xffff, v113
	v_lshrrev_b32_e32 v66, 16, v113
	v_and_b32_e32 v65, 0xffff, v65
	;;#ASMSTART
	v_cvt_f32_f16 v67, v54;
	;;#ASMEND
	;;#ASMSTART
	v_cvt_f32_f16 v68, v64;
	;;#ASMEND
	;; [unrolled: 3-line block ×5, first 2 shown]
	ds_read_b128 v[110:113], v4 offset:80
	v_or_b32_e32 v54, v75, v72
	v_fma_mixlo_f16 v108, v28, v114, 0 op_sel_hi:[0,1,0]
	v_fma_mixlo_f16 v72, v28, v53, 0 op_sel_hi:[0,1,0]
	v_fma_mixlo_f16 v97, v28, v71, 0 op_sel:[0,1,0] op_sel_hi:[0,1,0]
	v_or_b32_e32 v53, v81, v77
	v_fma_mixlo_f16 v114, v28, v54, 0 op_sel_hi:[0,1,0]
	v_or_b32_e32 v11, v12, v11
	v_or_b32_e32 v54, v85, v80
	;; [unrolled: 1-line block ×3, first 2 shown]
	v_fma_mixlo_f16 v98, v28, v62, 0 op_sel_hi:[0,1,0]
	v_fma_mixlo_f16 v115, v28, v75, 0 op_sel:[0,1,0] op_sel_hi:[0,1,0]
	v_fma_mixlo_f16 v40, v28, v40, 0 op_sel_hi:[0,1,0]
	v_fma_mixlo_f16 v62, v28, v81, 0 op_sel:[0,1,0] op_sel_hi:[0,1,0]
	;; [unrolled: 2-line block ×4, first 2 shown]
	v_fma_mixlo_f16 v54, v28, v54, 0 op_sel_hi:[0,1,0]
	v_fma_mixlo_f16 v12, v28, v71, 0 op_sel_hi:[0,1,0]
	v_fma_mixlo_f16 v11, v28, v89, 0 op_sel:[0,1,0] op_sel_hi:[0,1,0]
	s_waitcnt lgkmcnt(0)
	v_and_b32_e32 v28, 0xffff, v110
	v_fmac_f32_e32 v9, v49, v51
	v_lshrrev_b32_e32 v51, 16, v110
	;;#ASMSTART
	v_cvt_f32_f16 v49, v28;
	;;#ASMEND
	v_and_b32_e32 v28, 0xffff, v72
	v_fmac_f32_e32 v3, v79, v87
	v_fmac_f32_e32 v31, v52, v83
	;; [unrolled: 1-line block ×3, first 2 shown]
	v_and_b32_e32 v55, 0xffff, v109
	v_and_b32_e32 v71, 0xffff, v111
	v_lshrrev_b32_e32 v72, 16, v111
	;;#ASMSTART
	v_cvt_f32_f16 v51, v51;
	;;#ASMEND
	;;#ASMSTART
	v_cvt_f32_f16 v52, v28;
	;;#ASMEND
	v_and_b32_e32 v28, 0xffff, v108
	v_and_b32_e32 v77, 0xffff, v107
	v_and_b32_e32 v79, 0xffff, v112
	v_lshrrev_b32_e32 v80, 16, v112
	v_and_b32_e32 v81, 0xffff, v98
	v_and_b32_e32 v84, 0xffff, v113
	v_lshrrev_b32_e32 v85, 16, v113
	v_and_b32_e32 v86, 0xffff, v114
	v_and_b32_e32 v87, 0xffff, v115
	;;#ASMSTART
	v_cvt_f32_f16 v55, v55;
	;;#ASMEND
	;;#ASMSTART
	v_cvt_f32_f16 v71, v71;
	;;#ASMEND
	;; [unrolled: 3-line block ×8, first 2 shown]
	v_and_b32_e32 v28, 0xffff, v97
	;;#ASMSTART
	v_cvt_f32_f16 v83, v28;
	;;#ASMEND
	;;#ASMSTART
	v_cvt_f32_f16 v84, v84;
	;;#ASMEND
	;;#ASMSTART
	v_cvt_f32_f16 v85, v85;
	;;#ASMEND
	;;#ASMSTART
	v_cvt_f32_f16 v86, v86;
	;;#ASMEND
	;;#ASMSTART
	v_cvt_f32_f16 v87, v87;
	;;#ASMEND
	ds_read_b128 v[107:110], v4 offset:96
	v_fmac_f32_e32 v32, v41, v43
	v_fmac_f32_e32 v35, v42, v44
	v_and_b32_e32 v37, 0xffff, v37
	v_and_b32_e32 v36, 0xffff, v36
	v_fmac_f32_e32 v34, v45, v47
	v_fmac_f32_e32 v33, v46, v48
	v_and_b32_e32 v29, 0xffff, v29
	v_fmac_f32_e32 v9, v57, v63
	v_and_b32_e32 v48, 0xffff, v40
	v_and_b32_e32 v38, 0xffff, v38
	v_and_b32_e32 v63, 0xffff, v50
	v_fmac_f32_e32 v3, v56, v60
	v_fmac_f32_e32 v31, v76, v88
	;; [unrolled: 1-line block ×8, first 2 shown]
	s_waitcnt lgkmcnt(0)
	v_and_b32_e32 v41, 0xffff, v107
	v_lshrrev_b32_e32 v42, 16, v107
	;;#ASMSTART
	v_cvt_f32_f16 v41, v41;
	;;#ASMEND
	v_and_b32_e32 v45, 0xffff, v108
	v_lshrrev_b32_e32 v46, 16, v108
	;;#ASMSTART
	v_cvt_f32_f16 v42, v42;
	;;#ASMEND
	;;#ASMSTART
	v_cvt_f32_f16 v43, v37;
	;;#ASMEND
	;; [unrolled: 3-line block ×3, first 2 shown]
	v_and_b32_e32 v36, 0xffff, v10
	v_and_b32_e32 v37, 0xffff, v109
	;;#ASMSTART
	v_cvt_f32_f16 v45, v45;
	;;#ASMEND
	;;#ASMSTART
	v_cvt_f32_f16 v46, v46;
	;;#ASMEND
	v_lshrrev_b32_e32 v47, 16, v109
	;;#ASMSTART
	v_cvt_f32_f16 v10, v29;
	;;#ASMEND
	;;#ASMSTART
	v_cvt_f32_f16 v29, v36;
	;;#ASMEND
	;;#ASMSTART
	v_cvt_f32_f16 v40, v37;
	;;#ASMEND
	v_and_b32_e32 v36, 0xffff, v39
	v_and_b32_e32 v37, 0xffff, v110
	v_lshrrev_b32_e32 v39, 16, v110
	;;#ASMSTART
	v_cvt_f32_f16 v47, v47;
	;;#ASMEND
	;;#ASMSTART
	v_cvt_f32_f16 v48, v48;
	;;#ASMEND
	;;#ASMSTART
	v_cvt_f32_f16 v50, v36;
	;;#ASMEND
	;;#ASMSTART
	v_cvt_f32_f16 v56, v37;
	;;#ASMEND
	;;#ASMSTART
	v_cvt_f32_f16 v57, v39;
	;;#ASMEND
	;;#ASMSTART
	v_cvt_f32_f16 v60, v38;
	;;#ASMEND
	;;#ASMSTART
	v_cvt_f32_f16 v63, v63;
	;;#ASMEND
	ds_read_b128 v[36:39], v4 offset:112
	v_fmac_f32_e32 v32, v58, v61
	v_fmac_f32_e32 v3, v49, v52
	;; [unrolled: 1-line block ×11, first 2 shown]
	v_and_b32_e32 v40, 0xffff, v65
	v_fmac_f32_e32 v35, v100, v102
	v_fmac_f32_e32 v34, v103, v105
	v_fmac_f32_e32 v33, v104, v106
	v_and_b32_e32 v41, 0xffff, v62
	v_add_nc_u32_e32 v28, v24, v18
	v_fmac_f32_e32 v35, v59, v67
	v_fmac_f32_e32 v34, v68, v70
	s_waitcnt lgkmcnt(0)
	v_and_b32_e32 v10, 0xffff, v36
	v_lshrrev_b32_e32 v29, 16, v36
	v_and_b32_e32 v36, 0xffff, v66
	;;#ASMSTART
	v_cvt_f32_f16 v10, v10;
	;;#ASMEND
	;;#ASMSTART
	v_cvt_f32_f16 v29, v29;
	;;#ASMEND
	;; [unrolled: 3-line block ×4, first 2 shown]
	v_fmac_f32_e32 v3, v10, v36
	v_fmac_f32_e32 v9, v29, v40
	v_and_b32_e32 v10, 0xffff, v37
	v_lshrrev_b32_e32 v36, 16, v37
	v_and_b32_e32 v37, 0xffff, v64
	;;#ASMSTART
	v_cvt_f32_f16 v10, v10;
	;;#ASMEND
	;;#ASMSTART
	v_cvt_f32_f16 v29, v36;
	;;#ASMEND
	;; [unrolled: 3-line block ×3, first 2 shown]
	v_fmac_f32_e32 v31, v10, v36
	v_add_f32_e32 v3, v3, v9
	v_fmac_f32_e32 v35, v80, v83
	;;#ASMSTART
	v_cvt_f32_f16 v37, v41;
	;;#ASMEND
	v_fmac_f32_e32 v30, v29, v37
	v_and_b32_e32 v10, 0xffff, v38
	v_add_f32_e32 v3, v3, v31
	v_lshrrev_b32_e32 v29, 16, v38
	v_fmac_f32_e32 v33, v69, v73
	v_fmac_f32_e32 v34, v84, v86
	;; [unrolled: 1-line block ×3, first 2 shown]
	v_and_b32_e32 v36, 0xffff, v54
	;;#ASMSTART
	v_cvt_f32_f16 v9, v10;
	;;#ASMEND
	;;#ASMSTART
	v_cvt_f32_f16 v10, v29;
	;;#ASMEND
	;;#ASMSTART
	v_cvt_f32_f16 v29, v36;
	;;#ASMEND
	v_fmac_f32_e32 v32, v9, v29
	v_add_f32_e32 v3, v30, v3
	v_fmac_f32_e32 v33, v85, v87
	v_fmac_f32_e32 v34, v56, v60
	v_and_b32_e32 v37, 0xffff, v53
	;;#ASMSTART
	v_cvt_f32_f16 v31, v37;
	;;#ASMEND
	v_fmac_f32_e32 v35, v10, v31
	v_add_f32_e32 v3, v3, v32
	v_and_b32_e32 v9, 0xffff, v39
	v_and_b32_e32 v12, 0xffff, v12
	v_cvt_f32_i32_e32 v28, v28
	v_fmac_f32_e32 v33, v57, v63
	v_lshrrev_b32_e32 v29, 16, v39
	;;#ASMSTART
	v_cvt_f32_f16 v9, v9;
	;;#ASMEND
	;;#ASMSTART
	v_cvt_f32_f16 v10, v29;
	;;#ASMEND
	;;#ASMSTART
	v_cvt_f32_f16 v12, v12;
	;;#ASMEND
	v_fmac_f32_e32 v34, v9, v12
	v_add_f32_e32 v3, v35, v3
	v_and_b32_e32 v11, 0xffff, v11
	v_mul_f32_e32 v9, s42, v28
	;;#ASMSTART
	v_cvt_f32_f16 v11, v11;
	;;#ASMEND
	v_fmac_f32_e32 v33, v10, v11
	v_add_f32_e32 v3, v3, v34
	v_add_nc_u32_e32 v10, v14, v18
	v_cndmask_b32_e32 v9, 0, v9, vcc_lo
	v_add_f32_e32 v3, v33, v3
	v_cmp_gt_i32_e64 s1, s31, v10
	v_fmac_f32_e32 v9, s3, v3
	v_max_f32_e32 v3, v17, v17
	v_max_f32_e32 v3, v3, v9
	v_cndmask_b32_e64 v9, 0, v9, s1
	v_cndmask_b32_e64 v17, v17, v3, s1
	ds_write_b32 v25, v9
.LBB302_15:                             ;   in Loop: Header=BB302_16 Depth=1
	s_or_b32 exec_lo, exec_lo, s2
	v_add_nc_u32_e32 v27, 4, v27
	v_add_co_u32 v7, s2, v7, 16
	v_add_co_ci_u32_e64 v8, null, 0, v8, s2
	v_cmp_le_i32_e64 s1, s20, v27
	v_add_nc_u32_e32 v18, 0x80, v18
	v_add_nc_u32_e32 v25, 0x200, v25
	s_or_b32 s48, s1, s48
	s_andn2_b32 exec_lo, exec_lo, s48
	s_cbranch_execz .LBB302_528
.LBB302_16:                             ; =>This Inner Loop Header: Depth=1
	v_sub_nc_u32_e32 v3, 0, v18
	v_max_i32_e32 v3, v18, v3
	v_mul_hi_u32 v9, v3, s16
	v_mul_lo_u32 v10, v9, s11
	v_sub_nc_u32_e32 v3, v3, v10
	v_add_nc_u32_e32 v10, 1, v9
	v_subrev_nc_u32_e32 v11, s11, v3
	v_cmp_le_u32_e64 s1, s11, v3
	v_cndmask_b32_e64 v9, v9, v10, s1
	v_cndmask_b32_e64 v3, v3, v11, s1
	v_ashrrev_i32_e32 v10, 31, v18
	v_add_nc_u32_e32 v11, 1, v9
	v_cmp_le_u32_e64 s1, s11, v3
	v_xor_b32_e32 v10, s23, v10
	v_cndmask_b32_e64 v3, v9, v11, s1
	v_xor_b32_e32 v3, v3, v10
	v_sub_nc_u32_e32 v3, v3, v10
	v_add_nc_u32_e32 v9, s19, v3
	v_cmp_ge_i32_e64 s2, s45, v3
	v_sub_nc_u32_e32 v10, 0, v9
	v_max_i32_e32 v10, v9, v10
	v_ashrrev_i32_e32 v9, 31, v9
	v_mul_hi_u32 v11, v10, v26
	v_mul_lo_u32 v11, v11, s46
	v_sub_nc_u32_e32 v10, v10, v11
	v_subrev_nc_u32_e32 v11, s46, v10
	v_cmp_le_u32_e64 s1, s46, v10
	v_cndmask_b32_e64 v10, v10, v11, s1
	v_subrev_nc_u32_e32 v11, s46, v10
	v_cmp_le_u32_e64 s1, s46, v10
	v_cndmask_b32_e64 v10, v10, v11, s1
	v_xor_b32_e32 v10, v10, v9
	v_sub_nc_u32_e32 v9, v10, v9
	v_cmp_ne_u32_e64 s1, 0, v9
	s_and_b32 s1, s1, s2
	s_and_saveexec_b32 s2, s1
	s_xor_b32 s1, exec_lo, s2
; %bb.17:                               ;   in Loop: Header=BB302_16 Depth=1
	ds_write_b32 v25, v19
; %bb.18:                               ;   in Loop: Header=BB302_16 Depth=1
	s_andn2_saveexec_b32 s2, s1
	s_cbranch_execz .LBB302_15
; %bb.19:                               ;   in Loop: Header=BB302_16 Depth=1
	global_load_dword v3, v[7:8], off
	v_mov_b32_e32 v29, 0
	v_mov_b32_e32 v30, 0
	global_load_dword v28, v29, s[12:13]
	s_waitcnt vmcnt(1)
	v_mad_i64_i32 v[9:10], null, v3, s47, v[5:6]
	global_load_dwordx2 v[11:12], v[9:10], off
	s_waitcnt vmcnt(0)
	v_cmp_ne_u16_sdwa s1, v11, v4 src0_sel:BYTE_0 src1_sel:DWORD
	s_and_saveexec_b32 s49, s1
	s_cbranch_execz .LBB302_27
; %bb.20:                               ;   in Loop: Header=BB302_16 Depth=1
	v_cmp_ne_u16_sdwa s1, v11, v20 src0_sel:BYTE_0 src1_sel:DWORD
	v_mov_b32_e32 v30, 0x8000
	s_and_saveexec_b32 s50, s1
	s_cbranch_execz .LBB302_26
; %bb.21:                               ;   in Loop: Header=BB302_16 Depth=1
	v_and_b32_e32 v31, 0x7f, v11
	v_mov_b32_e32 v30, 0x7c01
	s_mov_b32 s51, exec_lo
	v_cmpx_ne_u32_e32 0x7f, v31
	s_cbranch_execz .LBB302_25
; %bb.22:                               ;   in Loop: Header=BB302_16 Depth=1
	v_and_b32_e32 v3, 7, v11
	v_lshrrev_b32_e32 v30, 3, v31
	s_mov_b32 s52, exec_lo
	v_cmpx_gt_u32_e32 8, v31
; %bb.23:                               ;   in Loop: Header=BB302_16 Depth=1
	v_ffbh_u32_e32 v3, v3
	v_min_u32_e32 v3, 32, v3
	v_subrev_nc_u32_e32 v30, 28, v3
	v_lshlrev_b64 v[31:32], v30, v[11:12]
	v_sub_nc_u32_e32 v30, 29, v3
	v_and_b32_e32 v3, 7, v31
; %bb.24:                               ;   in Loop: Header=BB302_16 Depth=1
	s_or_b32 exec_lo, exec_lo, s52
	v_lshlrev_b32_e32 v31, 8, v11
	v_lshl_add_u32 v30, v30, 10, 0x2000
	v_lshlrev_b32_e32 v3, 7, v3
	v_and_b32_e32 v31, 0x8000, v31
	v_and_b32_e32 v30, 0xfc00, v30
	v_or3_b32 v30, v31, v30, v3
.LBB302_25:                             ;   in Loop: Header=BB302_16 Depth=1
	s_or_b32 exec_lo, exec_lo, s51
.LBB302_26:                             ;   in Loop: Header=BB302_16 Depth=1
	s_or_b32 exec_lo, exec_lo, s50
.LBB302_27:                             ;   in Loop: Header=BB302_16 Depth=1
	s_or_b32 exec_lo, exec_lo, s49
	v_lshrrev_b16 v3, 8, v11
	s_mov_b32 s49, exec_lo
	v_cmpx_ne_u16_e32 0, v3
	s_cbranch_execz .LBB302_35
; %bb.28:                               ;   in Loop: Header=BB302_16 Depth=1
	v_bfrev_b32_e32 v29, 1
	s_mov_b32 s50, exec_lo
	v_cmpx_ne_u16_e32 0x80, v3
	s_cbranch_execz .LBB302_34
; %bb.29:                               ;   in Loop: Header=BB302_16 Depth=1
	v_and_b32_sdwa v32, v3, v21 dst_sel:DWORD dst_unused:UNUSED_PAD src0_sel:WORD_0 src1_sel:DWORD
	v_mov_b32_e32 v29, 0x7c010000
	s_mov_b32 s51, exec_lo
	v_cmpx_ne_u32_e32 0x7f, v32
	s_cbranch_execz .LBB302_33
; %bb.30:                               ;   in Loop: Header=BB302_16 Depth=1
	v_and_b32_sdwa v29, v3, v22 dst_sel:DWORD dst_unused:UNUSED_PAD src0_sel:WORD_0 src1_sel:DWORD
	v_lshrrev_b32_e32 v31, 3, v32
	s_mov_b32 s52, exec_lo
	v_cmpx_gt_u32_e32 8, v32
; %bb.31:                               ;   in Loop: Header=BB302_16 Depth=1
	v_ffbh_u32_e32 v29, v29
	v_min_u32_e32 v29, 32, v29
	v_subrev_nc_u32_e32 v31, 28, v29
	v_lshlrev_b64 v[32:33], v31, v[3:4]
	v_sub_nc_u32_e32 v31, 29, v29
	v_and_b32_e32 v29, 7, v32
; %bb.32:                               ;   in Loop: Header=BB302_16 Depth=1
	s_or_b32 exec_lo, exec_lo, s52
	v_lshlrev_b32_sdwa v3, v23, v3 dst_sel:DWORD dst_unused:UNUSED_PAD src0_sel:DWORD src1_sel:WORD_0
	v_lshl_add_u32 v31, v31, 10, 0x2000
	v_lshlrev_b32_e32 v29, 23, v29
	v_and_or_b32 v3, 0x8000, v3, v31
	v_lshl_or_b32 v29, v3, 16, v29
.LBB302_33:                             ;   in Loop: Header=BB302_16 Depth=1
	s_or_b32 exec_lo, exec_lo, s51
.LBB302_34:                             ;   in Loop: Header=BB302_16 Depth=1
	s_or_b32 exec_lo, exec_lo, s50
.LBB302_35:                             ;   in Loop: Header=BB302_16 Depth=1
	s_or_b32 exec_lo, exec_lo, s49
	v_lshrrev_b32_e32 v3, 16, v11
	v_mov_b32_e32 v31, 0
	v_mov_b32_e32 v32, 0
	v_cmp_ne_u16_sdwa s1, v3, v4 src0_sel:BYTE_0 src1_sel:DWORD
	s_and_saveexec_b32 s49, s1
	s_cbranch_execz .LBB302_43
; %bb.36:                               ;   in Loop: Header=BB302_16 Depth=1
	v_cmp_ne_u16_sdwa s1, v3, v20 src0_sel:BYTE_0 src1_sel:DWORD
	v_mov_b32_e32 v32, 0x8000
	s_and_saveexec_b32 s50, s1
	s_cbranch_execz .LBB302_42
; %bb.37:                               ;   in Loop: Header=BB302_16 Depth=1
	v_bfe_u32 v34, v11, 16, 7
	v_mov_b32_e32 v32, 0x7c01
	s_mov_b32 s51, exec_lo
	v_cmpx_ne_u32_e32 0x7f, v34
	s_cbranch_execz .LBB302_41
; %bb.38:                               ;   in Loop: Header=BB302_16 Depth=1
	v_and_b32_e32 v32, 7, v3
	v_lshrrev_b32_e32 v33, 3, v34
	s_mov_b32 s52, exec_lo
	v_cmpx_gt_u32_e32 8, v34
; %bb.39:                               ;   in Loop: Header=BB302_16 Depth=1
	v_ffbh_u32_e32 v32, v32
	v_min_u32_e32 v34, 32, v32
	v_subrev_nc_u32_e32 v32, 28, v34
	v_lshlrev_b64 v[32:33], v32, v[3:4]
	v_sub_nc_u32_e32 v33, 29, v34
	v_and_b32_e32 v32, 7, v32
; %bb.40:                               ;   in Loop: Header=BB302_16 Depth=1
	s_or_b32 exec_lo, exec_lo, s52
	v_lshlrev_b32_e32 v3, 8, v3
	v_lshl_add_u32 v33, v33, 10, 0x2000
	v_lshlrev_b32_e32 v32, 7, v32
	v_and_b32_e32 v3, 0x8000, v3
	v_and_b32_e32 v33, 0xfc00, v33
	v_or3_b32 v32, v3, v33, v32
.LBB302_41:                             ;   in Loop: Header=BB302_16 Depth=1
	s_or_b32 exec_lo, exec_lo, s51
.LBB302_42:                             ;   in Loop: Header=BB302_16 Depth=1
	s_or_b32 exec_lo, exec_lo, s50
.LBB302_43:                             ;   in Loop: Header=BB302_16 Depth=1
	s_or_b32 exec_lo, exec_lo, s49
	s_mov_b32 s49, exec_lo
	v_cmpx_lt_u32_e32 0xffffff, v11
	s_cbranch_execz .LBB302_51
; %bb.44:                               ;   in Loop: Header=BB302_16 Depth=1
	v_lshrrev_b32_e32 v3, 24, v11
	v_bfrev_b32_e32 v31, 1
	s_mov_b32 s50, exec_lo
	v_cmpx_ne_u32_e32 0x80, v3
	s_cbranch_execz .LBB302_50
; %bb.45:                               ;   in Loop: Header=BB302_16 Depth=1
	v_and_b32_e32 v34, 0x7f, v3
	v_mov_b32_e32 v31, 0x7c010000
	s_mov_b32 s51, exec_lo
	v_cmpx_ne_u32_e32 0x7f, v34
	s_cbranch_execz .LBB302_49
; %bb.46:                               ;   in Loop: Header=BB302_16 Depth=1
	v_and_b32_e32 v31, 7, v3
	v_lshrrev_b32_e32 v33, 3, v34
	s_mov_b32 s52, exec_lo
	v_cmpx_gt_u32_e32 8, v34
; %bb.47:                               ;   in Loop: Header=BB302_16 Depth=1
	v_ffbh_u32_e32 v31, v31
	v_min_u32_e32 v31, 32, v31
	v_subrev_nc_u32_e32 v33, 28, v31
	v_lshlrev_b64 v[34:35], v33, v[3:4]
	v_sub_nc_u32_e32 v33, 29, v31
	v_and_b32_e32 v31, 7, v34
; %bb.48:                               ;   in Loop: Header=BB302_16 Depth=1
	s_or_b32 exec_lo, exec_lo, s52
	v_lshlrev_b32_e32 v3, 8, v3
	v_lshl_add_u32 v33, v33, 10, 0x2000
	v_lshlrev_b32_e32 v31, 23, v31
	v_and_or_b32 v3, 0x8000, v3, v33
	v_lshl_or_b32 v31, v3, 16, v31
.LBB302_49:                             ;   in Loop: Header=BB302_16 Depth=1
	s_or_b32 exec_lo, exec_lo, s51
.LBB302_50:                             ;   in Loop: Header=BB302_16 Depth=1
	s_or_b32 exec_lo, exec_lo, s50
.LBB302_51:                             ;   in Loop: Header=BB302_16 Depth=1
	s_or_b32 exec_lo, exec_lo, s49
	v_mov_b32_e32 v3, v12
	v_cmp_ne_u16_sdwa s1, v12, v4 src0_sel:BYTE_0 src1_sel:DWORD
	v_mov_b32_e32 v33, 0
	v_mov_b32_e32 v34, 0
	s_and_saveexec_b32 s49, s1
	s_cbranch_execz .LBB302_59
; %bb.52:                               ;   in Loop: Header=BB302_16 Depth=1
	v_cmp_ne_u16_sdwa s1, v12, v20 src0_sel:BYTE_0 src1_sel:DWORD
	v_mov_b32_e32 v34, 0x8000
	s_and_saveexec_b32 s50, s1
	s_cbranch_execz .LBB302_58
; %bb.53:                               ;   in Loop: Header=BB302_16 Depth=1
	v_and_b32_e32 v36, 0x7f, v12
	v_mov_b32_e32 v34, 0x7c01
	s_mov_b32 s51, exec_lo
	v_cmpx_ne_u32_e32 0x7f, v36
	s_cbranch_execz .LBB302_57
; %bb.54:                               ;   in Loop: Header=BB302_16 Depth=1
	v_and_b32_e32 v34, 7, v12
	v_lshrrev_b32_e32 v35, 3, v36
	s_mov_b32 s52, exec_lo
	v_cmpx_gt_u32_e32 8, v36
; %bb.55:                               ;   in Loop: Header=BB302_16 Depth=1
	v_ffbh_u32_e32 v34, v34
	v_min_u32_e32 v36, 32, v34
	v_subrev_nc_u32_e32 v34, 28, v36
	v_lshlrev_b64 v[34:35], v34, v[3:4]
	v_sub_nc_u32_e32 v35, 29, v36
	v_and_b32_e32 v34, 7, v34
; %bb.56:                               ;   in Loop: Header=BB302_16 Depth=1
	s_or_b32 exec_lo, exec_lo, s52
	v_lshlrev_b32_e32 v36, 8, v12
	v_lshl_add_u32 v35, v35, 10, 0x2000
	v_lshlrev_b32_e32 v34, 7, v34
	v_and_b32_e32 v36, 0x8000, v36
	v_and_b32_e32 v35, 0xfc00, v35
	v_or3_b32 v34, v36, v35, v34
.LBB302_57:                             ;   in Loop: Header=BB302_16 Depth=1
	s_or_b32 exec_lo, exec_lo, s51
.LBB302_58:                             ;   in Loop: Header=BB302_16 Depth=1
	s_or_b32 exec_lo, exec_lo, s50
.LBB302_59:                             ;   in Loop: Header=BB302_16 Depth=1
	s_or_b32 exec_lo, exec_lo, s49
	v_lshrrev_b16 v3, 8, v3
	v_mov_b32_e32 v35, 0
	s_mov_b32 s49, exec_lo
	v_cmpx_ne_u16_e32 0, v3
	s_cbranch_execz .LBB302_67
; %bb.60:                               ;   in Loop: Header=BB302_16 Depth=1
	v_bfrev_b32_e32 v35, 1
	s_mov_b32 s50, exec_lo
	v_cmpx_ne_u16_e32 0x80, v3
	s_cbranch_execz .LBB302_66
; %bb.61:                               ;   in Loop: Header=BB302_16 Depth=1
	v_and_b32_sdwa v37, v3, v21 dst_sel:DWORD dst_unused:UNUSED_PAD src0_sel:WORD_0 src1_sel:DWORD
	v_mov_b32_e32 v35, 0x7c010000
	s_mov_b32 s51, exec_lo
	v_cmpx_ne_u32_e32 0x7f, v37
	s_cbranch_execz .LBB302_65
; %bb.62:                               ;   in Loop: Header=BB302_16 Depth=1
	v_and_b32_sdwa v35, v3, v22 dst_sel:DWORD dst_unused:UNUSED_PAD src0_sel:WORD_0 src1_sel:DWORD
	v_lshrrev_b32_e32 v36, 3, v37
	s_mov_b32 s52, exec_lo
	v_cmpx_gt_u32_e32 8, v37
; %bb.63:                               ;   in Loop: Header=BB302_16 Depth=1
	v_ffbh_u32_e32 v35, v35
	v_min_u32_e32 v37, 32, v35
	v_subrev_nc_u32_e32 v35, 28, v37
	v_lshlrev_b64 v[35:36], v35, v[3:4]
	v_sub_nc_u32_e32 v36, 29, v37
	v_and_b32_e32 v35, 7, v35
; %bb.64:                               ;   in Loop: Header=BB302_16 Depth=1
	s_or_b32 exec_lo, exec_lo, s52
	v_lshlrev_b32_sdwa v3, v23, v3 dst_sel:DWORD dst_unused:UNUSED_PAD src0_sel:DWORD src1_sel:WORD_0
	v_lshl_add_u32 v36, v36, 10, 0x2000
	v_lshlrev_b32_e32 v35, 23, v35
	v_and_or_b32 v3, 0x8000, v3, v36
	v_lshl_or_b32 v35, v3, 16, v35
.LBB302_65:                             ;   in Loop: Header=BB302_16 Depth=1
	s_or_b32 exec_lo, exec_lo, s51
.LBB302_66:                             ;   in Loop: Header=BB302_16 Depth=1
	s_or_b32 exec_lo, exec_lo, s50
.LBB302_67:                             ;   in Loop: Header=BB302_16 Depth=1
	s_or_b32 exec_lo, exec_lo, s49
	v_lshrrev_b32_e32 v3, 16, v12
	v_cmp_ne_u16_sdwa s1, v3, v4 src0_sel:BYTE_0 src1_sel:DWORD
	s_and_saveexec_b32 s49, s1
	s_cbranch_execz .LBB302_75
; %bb.68:                               ;   in Loop: Header=BB302_16 Depth=1
	v_cmp_ne_u16_sdwa s1, v3, v20 src0_sel:BYTE_0 src1_sel:DWORD
	v_mov_b32_e32 v33, 0x8000
	s_and_saveexec_b32 s50, s1
	s_cbranch_execz .LBB302_74
; %bb.69:                               ;   in Loop: Header=BB302_16 Depth=1
	v_bfe_u32 v37, v12, 16, 7
	v_mov_b32_e32 v33, 0x7c01
	s_mov_b32 s51, exec_lo
	v_cmpx_ne_u32_e32 0x7f, v37
	s_cbranch_execz .LBB302_73
; %bb.70:                               ;   in Loop: Header=BB302_16 Depth=1
	v_and_b32_e32 v33, 7, v3
	v_lshrrev_b32_e32 v36, 3, v37
	s_mov_b32 s52, exec_lo
	v_cmpx_gt_u32_e32 8, v37
; %bb.71:                               ;   in Loop: Header=BB302_16 Depth=1
	v_ffbh_u32_e32 v33, v33
	v_min_u32_e32 v33, 32, v33
	v_subrev_nc_u32_e32 v36, 28, v33
	v_lshlrev_b64 v[37:38], v36, v[3:4]
	v_sub_nc_u32_e32 v36, 29, v33
	v_and_b32_e32 v33, 7, v37
; %bb.72:                               ;   in Loop: Header=BB302_16 Depth=1
	s_or_b32 exec_lo, exec_lo, s52
	v_lshlrev_b32_e32 v3, 8, v3
	v_lshl_add_u32 v36, v36, 10, 0x2000
	v_lshlrev_b32_e32 v33, 7, v33
	v_and_b32_e32 v3, 0x8000, v3
	v_and_b32_e32 v36, 0xfc00, v36
	v_or3_b32 v33, v3, v36, v33
.LBB302_73:                             ;   in Loop: Header=BB302_16 Depth=1
	s_or_b32 exec_lo, exec_lo, s51
.LBB302_74:                             ;   in Loop: Header=BB302_16 Depth=1
	s_or_b32 exec_lo, exec_lo, s50
.LBB302_75:                             ;   in Loop: Header=BB302_16 Depth=1
	s_or_b32 exec_lo, exec_lo, s49
	v_mov_b32_e32 v36, 0
	v_mov_b32_e32 v37, 0
	s_mov_b32 s49, exec_lo
	v_cmpx_lt_u64_e64 s[4:5], v[11:12]
	s_cbranch_execz .LBB302_83
; %bb.76:                               ;   in Loop: Header=BB302_16 Depth=1
	v_lshrrev_b32_e32 v3, 24, v12
	v_bfrev_b32_e32 v37, 1
	s_mov_b32 s50, exec_lo
	v_cmpx_ne_u32_e32 0x80, v3
	s_cbranch_execz .LBB302_82
; %bb.77:                               ;   in Loop: Header=BB302_16 Depth=1
	v_and_b32_e32 v38, 0x7f, v3
	v_mov_b32_e32 v37, 0x7c010000
	s_mov_b32 s51, exec_lo
	v_cmpx_ne_u32_e32 0x7f, v38
	s_cbranch_execz .LBB302_81
; %bb.78:                               ;   in Loop: Header=BB302_16 Depth=1
	v_and_b32_e32 v11, 7, v3
	v_lshrrev_b32_e32 v12, 3, v38
	s_mov_b32 s52, exec_lo
	v_cmpx_gt_u32_e32 8, v38
; %bb.79:                               ;   in Loop: Header=BB302_16 Depth=1
	v_ffbh_u32_e32 v11, v11
	v_min_u32_e32 v37, 32, v11
	v_subrev_nc_u32_e32 v11, 28, v37
	v_lshlrev_b64 v[11:12], v11, v[3:4]
	v_sub_nc_u32_e32 v12, 29, v37
	v_and_b32_e32 v11, 7, v11
; %bb.80:                               ;   in Loop: Header=BB302_16 Depth=1
	s_or_b32 exec_lo, exec_lo, s52
	v_lshlrev_b32_e32 v3, 8, v3
	v_lshl_add_u32 v12, v12, 10, 0x2000
	v_lshlrev_b32_e32 v11, 23, v11
	v_and_or_b32 v3, 0x8000, v3, v12
	v_lshl_or_b32 v37, v3, 16, v11
.LBB302_81:                             ;   in Loop: Header=BB302_16 Depth=1
	s_or_b32 exec_lo, exec_lo, s51
.LBB302_82:                             ;   in Loop: Header=BB302_16 Depth=1
	s_or_b32 exec_lo, exec_lo, s50
.LBB302_83:                             ;   in Loop: Header=BB302_16 Depth=1
	s_or_b32 exec_lo, exec_lo, s49
	global_load_dwordx2 v[11:12], v[9:10], off offset:8
	s_waitcnt vmcnt(0)
	v_cmp_ne_u16_sdwa s1, v11, v4 src0_sel:BYTE_0 src1_sel:DWORD
	s_and_saveexec_b32 s49, s1
	s_cbranch_execz .LBB302_91
; %bb.84:                               ;   in Loop: Header=BB302_16 Depth=1
	v_cmp_ne_u16_sdwa s1, v11, v20 src0_sel:BYTE_0 src1_sel:DWORD
	v_mov_b32_e32 v36, 0x8000
	s_and_saveexec_b32 s50, s1
	s_cbranch_execz .LBB302_90
; %bb.85:                               ;   in Loop: Header=BB302_16 Depth=1
	v_and_b32_e32 v38, 0x7f, v11
	v_mov_b32_e32 v36, 0x7c01
	s_mov_b32 s51, exec_lo
	v_cmpx_ne_u32_e32 0x7f, v38
	s_cbranch_execz .LBB302_89
; %bb.86:                               ;   in Loop: Header=BB302_16 Depth=1
	v_and_b32_e32 v3, 7, v11
	v_lshrrev_b32_e32 v36, 3, v38
	s_mov_b32 s52, exec_lo
	v_cmpx_gt_u32_e32 8, v38
; %bb.87:                               ;   in Loop: Header=BB302_16 Depth=1
	v_ffbh_u32_e32 v3, v3
	v_min_u32_e32 v3, 32, v3
	v_subrev_nc_u32_e32 v36, 28, v3
	v_lshlrev_b64 v[38:39], v36, v[11:12]
	v_sub_nc_u32_e32 v36, 29, v3
	v_and_b32_e32 v3, 7, v38
; %bb.88:                               ;   in Loop: Header=BB302_16 Depth=1
	s_or_b32 exec_lo, exec_lo, s52
	v_lshlrev_b32_e32 v38, 8, v11
	v_lshl_add_u32 v36, v36, 10, 0x2000
	v_lshlrev_b32_e32 v3, 7, v3
	v_and_b32_e32 v38, 0x8000, v38
	v_and_b32_e32 v36, 0xfc00, v36
	v_or3_b32 v36, v38, v36, v3
.LBB302_89:                             ;   in Loop: Header=BB302_16 Depth=1
	s_or_b32 exec_lo, exec_lo, s51
.LBB302_90:                             ;   in Loop: Header=BB302_16 Depth=1
	s_or_b32 exec_lo, exec_lo, s50
.LBB302_91:                             ;   in Loop: Header=BB302_16 Depth=1
	s_or_b32 exec_lo, exec_lo, s49
	v_lshrrev_b16 v3, 8, v11
	v_mov_b32_e32 v39, 0
	v_mov_b32_e32 v38, 0
	s_mov_b32 s49, exec_lo
	v_cmpx_ne_u16_e32 0, v3
	s_cbranch_execz .LBB302_99
; %bb.92:                               ;   in Loop: Header=BB302_16 Depth=1
	v_bfrev_b32_e32 v38, 1
	s_mov_b32 s50, exec_lo
	v_cmpx_ne_u16_e32 0x80, v3
	s_cbranch_execz .LBB302_98
; %bb.93:                               ;   in Loop: Header=BB302_16 Depth=1
	v_and_b32_sdwa v41, v3, v21 dst_sel:DWORD dst_unused:UNUSED_PAD src0_sel:WORD_0 src1_sel:DWORD
	v_mov_b32_e32 v38, 0x7c010000
	s_mov_b32 s51, exec_lo
	v_cmpx_ne_u32_e32 0x7f, v41
	s_cbranch_execz .LBB302_97
; %bb.94:                               ;   in Loop: Header=BB302_16 Depth=1
	v_and_b32_sdwa v38, v3, v22 dst_sel:DWORD dst_unused:UNUSED_PAD src0_sel:WORD_0 src1_sel:DWORD
	v_lshrrev_b32_e32 v40, 3, v41
	s_mov_b32 s52, exec_lo
	v_cmpx_gt_u32_e32 8, v41
; %bb.95:                               ;   in Loop: Header=BB302_16 Depth=1
	v_ffbh_u32_e32 v38, v38
	v_min_u32_e32 v38, 32, v38
	v_subrev_nc_u32_e32 v40, 28, v38
	v_lshlrev_b64 v[41:42], v40, v[3:4]
	v_sub_nc_u32_e32 v40, 29, v38
	v_and_b32_e32 v38, 7, v41
; %bb.96:                               ;   in Loop: Header=BB302_16 Depth=1
	s_or_b32 exec_lo, exec_lo, s52
	v_lshlrev_b32_sdwa v3, v23, v3 dst_sel:DWORD dst_unused:UNUSED_PAD src0_sel:DWORD src1_sel:WORD_0
	v_lshl_add_u32 v40, v40, 10, 0x2000
	v_lshlrev_b32_e32 v38, 23, v38
	v_and_or_b32 v3, 0x8000, v3, v40
	v_lshl_or_b32 v38, v3, 16, v38
.LBB302_97:                             ;   in Loop: Header=BB302_16 Depth=1
	s_or_b32 exec_lo, exec_lo, s51
.LBB302_98:                             ;   in Loop: Header=BB302_16 Depth=1
	s_or_b32 exec_lo, exec_lo, s50
.LBB302_99:                             ;   in Loop: Header=BB302_16 Depth=1
	s_or_b32 exec_lo, exec_lo, s49
	v_lshrrev_b32_e32 v3, 16, v11
	v_cmp_ne_u16_sdwa s1, v3, v4 src0_sel:BYTE_0 src1_sel:DWORD
	s_and_saveexec_b32 s49, s1
	s_cbranch_execz .LBB302_107
; %bb.100:                              ;   in Loop: Header=BB302_16 Depth=1
	v_cmp_ne_u16_sdwa s1, v3, v20 src0_sel:BYTE_0 src1_sel:DWORD
	v_mov_b32_e32 v39, 0x8000
	s_and_saveexec_b32 s50, s1
	s_cbranch_execz .LBB302_106
; %bb.101:                              ;   in Loop: Header=BB302_16 Depth=1
	v_bfe_u32 v41, v11, 16, 7
	v_mov_b32_e32 v39, 0x7c01
	s_mov_b32 s51, exec_lo
	v_cmpx_ne_u32_e32 0x7f, v41
	s_cbranch_execz .LBB302_105
; %bb.102:                              ;   in Loop: Header=BB302_16 Depth=1
	v_and_b32_e32 v39, 7, v3
	v_lshrrev_b32_e32 v40, 3, v41
	s_mov_b32 s52, exec_lo
	v_cmpx_gt_u32_e32 8, v41
; %bb.103:                              ;   in Loop: Header=BB302_16 Depth=1
	v_ffbh_u32_e32 v39, v39
	v_min_u32_e32 v41, 32, v39
	v_subrev_nc_u32_e32 v39, 28, v41
	v_lshlrev_b64 v[39:40], v39, v[3:4]
	v_sub_nc_u32_e32 v40, 29, v41
	v_and_b32_e32 v39, 7, v39
; %bb.104:                              ;   in Loop: Header=BB302_16 Depth=1
	s_or_b32 exec_lo, exec_lo, s52
	v_lshlrev_b32_e32 v3, 8, v3
	v_lshl_add_u32 v40, v40, 10, 0x2000
	v_lshlrev_b32_e32 v39, 7, v39
	v_and_b32_e32 v3, 0x8000, v3
	v_and_b32_e32 v40, 0xfc00, v40
	v_or3_b32 v39, v3, v40, v39
.LBB302_105:                            ;   in Loop: Header=BB302_16 Depth=1
	s_or_b32 exec_lo, exec_lo, s51
.LBB302_106:                            ;   in Loop: Header=BB302_16 Depth=1
	s_or_b32 exec_lo, exec_lo, s50
.LBB302_107:                            ;   in Loop: Header=BB302_16 Depth=1
	s_or_b32 exec_lo, exec_lo, s49
	v_mov_b32_e32 v40, 0
	v_mov_b32_e32 v41, 0
	s_mov_b32 s49, exec_lo
	v_cmpx_lt_u32_e32 0xffffff, v11
	s_cbranch_execz .LBB302_115
; %bb.108:                              ;   in Loop: Header=BB302_16 Depth=1
	v_lshrrev_b32_e32 v3, 24, v11
	v_bfrev_b32_e32 v41, 1
	s_mov_b32 s50, exec_lo
	v_cmpx_ne_u32_e32 0x80, v3
	s_cbranch_execz .LBB302_114
; %bb.109:                              ;   in Loop: Header=BB302_16 Depth=1
	v_and_b32_e32 v43, 0x7f, v3
	v_mov_b32_e32 v41, 0x7c010000
	s_mov_b32 s51, exec_lo
	v_cmpx_ne_u32_e32 0x7f, v43
	s_cbranch_execz .LBB302_113
; %bb.110:                              ;   in Loop: Header=BB302_16 Depth=1
	v_and_b32_e32 v41, 7, v3
	v_lshrrev_b32_e32 v42, 3, v43
	s_mov_b32 s52, exec_lo
	v_cmpx_gt_u32_e32 8, v43
; %bb.111:                              ;   in Loop: Header=BB302_16 Depth=1
	v_ffbh_u32_e32 v41, v41
	v_min_u32_e32 v43, 32, v41
	v_subrev_nc_u32_e32 v41, 28, v43
	v_lshlrev_b64 v[41:42], v41, v[3:4]
	v_sub_nc_u32_e32 v42, 29, v43
	v_and_b32_e32 v41, 7, v41
; %bb.112:                              ;   in Loop: Header=BB302_16 Depth=1
	s_or_b32 exec_lo, exec_lo, s52
	v_lshlrev_b32_e32 v3, 8, v3
	v_lshl_add_u32 v42, v42, 10, 0x2000
	v_lshlrev_b32_e32 v41, 23, v41
	v_and_or_b32 v3, 0x8000, v3, v42
	v_lshl_or_b32 v41, v3, 16, v41
.LBB302_113:                            ;   in Loop: Header=BB302_16 Depth=1
	s_or_b32 exec_lo, exec_lo, s51
.LBB302_114:                            ;   in Loop: Header=BB302_16 Depth=1
	s_or_b32 exec_lo, exec_lo, s50
.LBB302_115:                            ;   in Loop: Header=BB302_16 Depth=1
	s_or_b32 exec_lo, exec_lo, s49
	v_mov_b32_e32 v3, v12
	v_cmp_ne_u16_sdwa s1, v12, v4 src0_sel:BYTE_0 src1_sel:DWORD
	s_and_saveexec_b32 s49, s1
	s_cbranch_execz .LBB302_123
; %bb.116:                              ;   in Loop: Header=BB302_16 Depth=1
	v_cmp_ne_u16_sdwa s1, v12, v20 src0_sel:BYTE_0 src1_sel:DWORD
	v_mov_b32_e32 v40, 0x8000
	s_and_saveexec_b32 s50, s1
	s_cbranch_execz .LBB302_122
; %bb.117:                              ;   in Loop: Header=BB302_16 Depth=1
	v_and_b32_e32 v43, 0x7f, v12
	v_mov_b32_e32 v40, 0x7c01
	s_mov_b32 s51, exec_lo
	v_cmpx_ne_u32_e32 0x7f, v43
	s_cbranch_execz .LBB302_121
; %bb.118:                              ;   in Loop: Header=BB302_16 Depth=1
	v_and_b32_e32 v40, 7, v12
	v_lshrrev_b32_e32 v42, 3, v43
	s_mov_b32 s52, exec_lo
	v_cmpx_gt_u32_e32 8, v43
; %bb.119:                              ;   in Loop: Header=BB302_16 Depth=1
	v_ffbh_u32_e32 v40, v40
	v_min_u32_e32 v40, 32, v40
	v_subrev_nc_u32_e32 v42, 28, v40
	v_lshlrev_b64 v[43:44], v42, v[3:4]
	v_sub_nc_u32_e32 v42, 29, v40
	v_and_b32_e32 v40, 7, v43
; %bb.120:                              ;   in Loop: Header=BB302_16 Depth=1
	s_or_b32 exec_lo, exec_lo, s52
	v_lshlrev_b32_e32 v43, 8, v12
	v_lshl_add_u32 v42, v42, 10, 0x2000
	v_lshlrev_b32_e32 v40, 7, v40
	v_and_b32_e32 v43, 0x8000, v43
	v_and_b32_e32 v42, 0xfc00, v42
	v_or3_b32 v40, v43, v42, v40
.LBB302_121:                            ;   in Loop: Header=BB302_16 Depth=1
	s_or_b32 exec_lo, exec_lo, s51
.LBB302_122:                            ;   in Loop: Header=BB302_16 Depth=1
	s_or_b32 exec_lo, exec_lo, s50
.LBB302_123:                            ;   in Loop: Header=BB302_16 Depth=1
	s_or_b32 exec_lo, exec_lo, s49
	v_lshrrev_b16 v3, 8, v3
	v_mov_b32_e32 v44, 0
	v_mov_b32_e32 v43, 0
	s_mov_b32 s49, exec_lo
	v_cmpx_ne_u16_e32 0, v3
	s_cbranch_execz .LBB302_131
; %bb.124:                              ;   in Loop: Header=BB302_16 Depth=1
	v_bfrev_b32_e32 v43, 1
	s_mov_b32 s50, exec_lo
	v_cmpx_ne_u16_e32 0x80, v3
	s_cbranch_execz .LBB302_130
; %bb.125:                              ;   in Loop: Header=BB302_16 Depth=1
	v_and_b32_sdwa v45, v3, v21 dst_sel:DWORD dst_unused:UNUSED_PAD src0_sel:WORD_0 src1_sel:DWORD
	v_mov_b32_e32 v43, 0x7c010000
	s_mov_b32 s51, exec_lo
	v_cmpx_ne_u32_e32 0x7f, v45
	s_cbranch_execz .LBB302_129
; %bb.126:                              ;   in Loop: Header=BB302_16 Depth=1
	v_and_b32_sdwa v42, v3, v22 dst_sel:DWORD dst_unused:UNUSED_PAD src0_sel:WORD_0 src1_sel:DWORD
	v_lshrrev_b32_e32 v43, 3, v45
	s_mov_b32 s52, exec_lo
	v_cmpx_gt_u32_e32 8, v45
; %bb.127:                              ;   in Loop: Header=BB302_16 Depth=1
	v_ffbh_u32_e32 v42, v42
	v_min_u32_e32 v45, 32, v42
	v_subrev_nc_u32_e32 v42, 28, v45
	v_lshlrev_b64 v[42:43], v42, v[3:4]
	v_sub_nc_u32_e32 v43, 29, v45
	v_and_b32_e32 v42, 7, v42
; %bb.128:                              ;   in Loop: Header=BB302_16 Depth=1
	s_or_b32 exec_lo, exec_lo, s52
	v_lshlrev_b32_sdwa v3, v23, v3 dst_sel:DWORD dst_unused:UNUSED_PAD src0_sel:DWORD src1_sel:WORD_0
	v_lshl_add_u32 v43, v43, 10, 0x2000
	v_lshlrev_b32_e32 v42, 23, v42
	v_and_or_b32 v3, 0x8000, v3, v43
	v_lshl_or_b32 v43, v3, 16, v42
.LBB302_129:                            ;   in Loop: Header=BB302_16 Depth=1
	s_or_b32 exec_lo, exec_lo, s51
.LBB302_130:                            ;   in Loop: Header=BB302_16 Depth=1
	s_or_b32 exec_lo, exec_lo, s50
.LBB302_131:                            ;   in Loop: Header=BB302_16 Depth=1
	s_or_b32 exec_lo, exec_lo, s49
	v_lshrrev_b32_e32 v3, 16, v12
	v_cmp_ne_u16_sdwa s1, v3, v4 src0_sel:BYTE_0 src1_sel:DWORD
	s_and_saveexec_b32 s49, s1
	s_cbranch_execz .LBB302_139
; %bb.132:                              ;   in Loop: Header=BB302_16 Depth=1
	v_cmp_ne_u16_sdwa s1, v3, v20 src0_sel:BYTE_0 src1_sel:DWORD
	v_mov_b32_e32 v44, 0x8000
	s_and_saveexec_b32 s50, s1
	s_cbranch_execz .LBB302_138
; %bb.133:                              ;   in Loop: Header=BB302_16 Depth=1
	v_bfe_u32 v45, v12, 16, 7
	v_mov_b32_e32 v44, 0x7c01
	s_mov_b32 s51, exec_lo
	v_cmpx_ne_u32_e32 0x7f, v45
	s_cbranch_execz .LBB302_137
; %bb.134:                              ;   in Loop: Header=BB302_16 Depth=1
	v_and_b32_e32 v42, 7, v3
	v_lshrrev_b32_e32 v44, 3, v45
	s_mov_b32 s52, exec_lo
	v_cmpx_gt_u32_e32 8, v45
; %bb.135:                              ;   in Loop: Header=BB302_16 Depth=1
	v_ffbh_u32_e32 v42, v42
	v_min_u32_e32 v42, 32, v42
	v_subrev_nc_u32_e32 v44, 28, v42
	v_lshlrev_b64 v[45:46], v44, v[3:4]
	v_sub_nc_u32_e32 v44, 29, v42
	v_and_b32_e32 v42, 7, v45
; %bb.136:                              ;   in Loop: Header=BB302_16 Depth=1
	s_or_b32 exec_lo, exec_lo, s52
	v_lshlrev_b32_e32 v3, 8, v3
	v_lshl_add_u32 v44, v44, 10, 0x2000
	v_lshlrev_b32_e32 v42, 7, v42
	v_and_b32_e32 v3, 0x8000, v3
	v_and_b32_e32 v44, 0xfc00, v44
	v_or3_b32 v44, v3, v44, v42
.LBB302_137:                            ;   in Loop: Header=BB302_16 Depth=1
	s_or_b32 exec_lo, exec_lo, s51
.LBB302_138:                            ;   in Loop: Header=BB302_16 Depth=1
	s_or_b32 exec_lo, exec_lo, s50
.LBB302_139:                            ;   in Loop: Header=BB302_16 Depth=1
	s_or_b32 exec_lo, exec_lo, s49
	v_mov_b32_e32 v42, 0
	v_mov_b32_e32 v47, 0
	s_mov_b32 s49, exec_lo
	v_cmpx_lt_u64_e64 s[4:5], v[11:12]
	s_cbranch_execz .LBB302_147
; %bb.140:                              ;   in Loop: Header=BB302_16 Depth=1
	v_lshrrev_b32_e32 v3, 24, v12
	v_bfrev_b32_e32 v47, 1
	s_mov_b32 s50, exec_lo
	v_cmpx_ne_u32_e32 0x80, v3
	s_cbranch_execz .LBB302_146
; %bb.141:                              ;   in Loop: Header=BB302_16 Depth=1
	v_and_b32_e32 v45, 0x7f, v3
	v_mov_b32_e32 v47, 0x7c010000
	s_mov_b32 s51, exec_lo
	v_cmpx_ne_u32_e32 0x7f, v45
	s_cbranch_execz .LBB302_145
; %bb.142:                              ;   in Loop: Header=BB302_16 Depth=1
	v_and_b32_e32 v11, 7, v3
	v_lshrrev_b32_e32 v12, 3, v45
	s_mov_b32 s52, exec_lo
	v_cmpx_gt_u32_e32 8, v45
; %bb.143:                              ;   in Loop: Header=BB302_16 Depth=1
	v_ffbh_u32_e32 v11, v11
	v_min_u32_e32 v45, 32, v11
	v_subrev_nc_u32_e32 v11, 28, v45
	v_lshlrev_b64 v[11:12], v11, v[3:4]
	v_sub_nc_u32_e32 v12, 29, v45
	v_and_b32_e32 v11, 7, v11
; %bb.144:                              ;   in Loop: Header=BB302_16 Depth=1
	s_or_b32 exec_lo, exec_lo, s52
	v_lshlrev_b32_e32 v3, 8, v3
	v_lshl_add_u32 v12, v12, 10, 0x2000
	v_lshlrev_b32_e32 v11, 23, v11
	v_and_or_b32 v3, 0x8000, v3, v12
	v_lshl_or_b32 v47, v3, 16, v11
.LBB302_145:                            ;   in Loop: Header=BB302_16 Depth=1
	s_or_b32 exec_lo, exec_lo, s51
.LBB302_146:                            ;   in Loop: Header=BB302_16 Depth=1
	s_or_b32 exec_lo, exec_lo, s50
.LBB302_147:                            ;   in Loop: Header=BB302_16 Depth=1
	s_or_b32 exec_lo, exec_lo, s49
	global_load_dwordx2 v[11:12], v[9:10], off offset:512
	s_waitcnt vmcnt(0)
	v_cmp_ne_u16_sdwa s1, v11, v4 src0_sel:BYTE_0 src1_sel:DWORD
	s_and_saveexec_b32 s49, s1
	s_cbranch_execz .LBB302_155
; %bb.148:                              ;   in Loop: Header=BB302_16 Depth=1
	v_cmp_ne_u16_sdwa s1, v11, v20 src0_sel:BYTE_0 src1_sel:DWORD
	v_mov_b32_e32 v42, 0x8000
	s_and_saveexec_b32 s50, s1
	s_cbranch_execz .LBB302_154
; %bb.149:                              ;   in Loop: Header=BB302_16 Depth=1
	v_and_b32_e32 v45, 0x7f, v11
	v_mov_b32_e32 v42, 0x7c01
	s_mov_b32 s51, exec_lo
	v_cmpx_ne_u32_e32 0x7f, v45
	s_cbranch_execz .LBB302_153
; %bb.150:                              ;   in Loop: Header=BB302_16 Depth=1
	v_and_b32_e32 v3, 7, v11
	v_lshrrev_b32_e32 v42, 3, v45
	s_mov_b32 s52, exec_lo
	v_cmpx_gt_u32_e32 8, v45
; %bb.151:                              ;   in Loop: Header=BB302_16 Depth=1
	v_ffbh_u32_e32 v3, v3
	v_min_u32_e32 v3, 32, v3
	v_subrev_nc_u32_e32 v42, 28, v3
	v_lshlrev_b64 v[45:46], v42, v[11:12]
	v_sub_nc_u32_e32 v42, 29, v3
	v_and_b32_e32 v3, 7, v45
; %bb.152:                              ;   in Loop: Header=BB302_16 Depth=1
	s_or_b32 exec_lo, exec_lo, s52
	v_lshlrev_b32_e32 v45, 8, v11
	v_lshl_add_u32 v42, v42, 10, 0x2000
	v_lshlrev_b32_e32 v3, 7, v3
	v_and_b32_e32 v45, 0x8000, v45
	v_and_b32_e32 v42, 0xfc00, v42
	v_or3_b32 v42, v45, v42, v3
.LBB302_153:                            ;   in Loop: Header=BB302_16 Depth=1
	s_or_b32 exec_lo, exec_lo, s51
.LBB302_154:                            ;   in Loop: Header=BB302_16 Depth=1
	s_or_b32 exec_lo, exec_lo, s50
.LBB302_155:                            ;   in Loop: Header=BB302_16 Depth=1
	s_or_b32 exec_lo, exec_lo, s49
	v_lshrrev_b16 v3, 8, v11
	v_mov_b32_e32 v46, 0
	v_mov_b32_e32 v45, 0
	s_mov_b32 s49, exec_lo
	v_cmpx_ne_u16_e32 0, v3
	s_cbranch_execz .LBB302_163
; %bb.156:                              ;   in Loop: Header=BB302_16 Depth=1
	v_bfrev_b32_e32 v45, 1
	s_mov_b32 s50, exec_lo
	v_cmpx_ne_u16_e32 0x80, v3
	s_cbranch_execz .LBB302_162
; %bb.157:                              ;   in Loop: Header=BB302_16 Depth=1
	v_and_b32_sdwa v49, v3, v21 dst_sel:DWORD dst_unused:UNUSED_PAD src0_sel:WORD_0 src1_sel:DWORD
	v_mov_b32_e32 v45, 0x7c010000
	s_mov_b32 s51, exec_lo
	v_cmpx_ne_u32_e32 0x7f, v49
	s_cbranch_execz .LBB302_161
; %bb.158:                              ;   in Loop: Header=BB302_16 Depth=1
	v_and_b32_sdwa v45, v3, v22 dst_sel:DWORD dst_unused:UNUSED_PAD src0_sel:WORD_0 src1_sel:DWORD
	v_lshrrev_b32_e32 v48, 3, v49
	s_mov_b32 s52, exec_lo
	v_cmpx_gt_u32_e32 8, v49
; %bb.159:                              ;   in Loop: Header=BB302_16 Depth=1
	v_ffbh_u32_e32 v45, v45
	v_min_u32_e32 v45, 32, v45
	v_subrev_nc_u32_e32 v48, 28, v45
	v_lshlrev_b64 v[49:50], v48, v[3:4]
	v_sub_nc_u32_e32 v48, 29, v45
	v_and_b32_e32 v45, 7, v49
; %bb.160:                              ;   in Loop: Header=BB302_16 Depth=1
	s_or_b32 exec_lo, exec_lo, s52
	v_lshlrev_b32_sdwa v3, v23, v3 dst_sel:DWORD dst_unused:UNUSED_PAD src0_sel:DWORD src1_sel:WORD_0
	v_lshl_add_u32 v48, v48, 10, 0x2000
	v_lshlrev_b32_e32 v45, 23, v45
	v_and_or_b32 v3, 0x8000, v3, v48
	v_lshl_or_b32 v45, v3, 16, v45
.LBB302_161:                            ;   in Loop: Header=BB302_16 Depth=1
	s_or_b32 exec_lo, exec_lo, s51
.LBB302_162:                            ;   in Loop: Header=BB302_16 Depth=1
	s_or_b32 exec_lo, exec_lo, s50
.LBB302_163:                            ;   in Loop: Header=BB302_16 Depth=1
	s_or_b32 exec_lo, exec_lo, s49
	v_lshrrev_b32_e32 v3, 16, v11
	v_cmp_ne_u16_sdwa s1, v3, v4 src0_sel:BYTE_0 src1_sel:DWORD
	s_and_saveexec_b32 s49, s1
	s_cbranch_execz .LBB302_171
; %bb.164:                              ;   in Loop: Header=BB302_16 Depth=1
	v_cmp_ne_u16_sdwa s1, v3, v20 src0_sel:BYTE_0 src1_sel:DWORD
	v_mov_b32_e32 v46, 0x8000
	s_and_saveexec_b32 s50, s1
	s_cbranch_execz .LBB302_170
; %bb.165:                              ;   in Loop: Header=BB302_16 Depth=1
	v_bfe_u32 v49, v11, 16, 7
	v_mov_b32_e32 v46, 0x7c01
	s_mov_b32 s51, exec_lo
	v_cmpx_ne_u32_e32 0x7f, v49
	s_cbranch_execz .LBB302_169
; %bb.166:                              ;   in Loop: Header=BB302_16 Depth=1
	v_and_b32_e32 v46, 7, v3
	v_lshrrev_b32_e32 v48, 3, v49
	s_mov_b32 s52, exec_lo
	v_cmpx_gt_u32_e32 8, v49
; %bb.167:                              ;   in Loop: Header=BB302_16 Depth=1
	v_ffbh_u32_e32 v46, v46
	v_min_u32_e32 v46, 32, v46
	v_subrev_nc_u32_e32 v48, 28, v46
	v_lshlrev_b64 v[49:50], v48, v[3:4]
	v_sub_nc_u32_e32 v48, 29, v46
	v_and_b32_e32 v46, 7, v49
; %bb.168:                              ;   in Loop: Header=BB302_16 Depth=1
	s_or_b32 exec_lo, exec_lo, s52
	v_lshlrev_b32_e32 v3, 8, v3
	v_lshl_add_u32 v48, v48, 10, 0x2000
	v_lshlrev_b32_e32 v46, 7, v46
	v_and_b32_e32 v3, 0x8000, v3
	v_and_b32_e32 v48, 0xfc00, v48
	v_or3_b32 v46, v3, v48, v46
.LBB302_169:                            ;   in Loop: Header=BB302_16 Depth=1
	s_or_b32 exec_lo, exec_lo, s51
.LBB302_170:                            ;   in Loop: Header=BB302_16 Depth=1
	s_or_b32 exec_lo, exec_lo, s50
.LBB302_171:                            ;   in Loop: Header=BB302_16 Depth=1
	s_or_b32 exec_lo, exec_lo, s49
	v_mov_b32_e32 v48, 0
	v_mov_b32_e32 v49, 0
	s_mov_b32 s49, exec_lo
	v_cmpx_lt_u32_e32 0xffffff, v11
	s_cbranch_execz .LBB302_179
; %bb.172:                              ;   in Loop: Header=BB302_16 Depth=1
	v_lshrrev_b32_e32 v3, 24, v11
	v_bfrev_b32_e32 v49, 1
	s_mov_b32 s50, exec_lo
	v_cmpx_ne_u32_e32 0x80, v3
	s_cbranch_execz .LBB302_178
; %bb.173:                              ;   in Loop: Header=BB302_16 Depth=1
	v_and_b32_e32 v51, 0x7f, v3
	v_mov_b32_e32 v49, 0x7c010000
	s_mov_b32 s51, exec_lo
	v_cmpx_ne_u32_e32 0x7f, v51
	s_cbranch_execz .LBB302_177
; %bb.174:                              ;   in Loop: Header=BB302_16 Depth=1
	v_and_b32_e32 v49, 7, v3
	v_lshrrev_b32_e32 v50, 3, v51
	s_mov_b32 s52, exec_lo
	v_cmpx_gt_u32_e32 8, v51
; %bb.175:                              ;   in Loop: Header=BB302_16 Depth=1
	v_ffbh_u32_e32 v49, v49
	v_min_u32_e32 v51, 32, v49
	v_subrev_nc_u32_e32 v49, 28, v51
	v_lshlrev_b64 v[49:50], v49, v[3:4]
	v_sub_nc_u32_e32 v50, 29, v51
	v_and_b32_e32 v49, 7, v49
; %bb.176:                              ;   in Loop: Header=BB302_16 Depth=1
	s_or_b32 exec_lo, exec_lo, s52
	v_lshlrev_b32_e32 v3, 8, v3
	v_lshl_add_u32 v50, v50, 10, 0x2000
	v_lshlrev_b32_e32 v49, 23, v49
	v_and_or_b32 v3, 0x8000, v3, v50
	v_lshl_or_b32 v49, v3, 16, v49
.LBB302_177:                            ;   in Loop: Header=BB302_16 Depth=1
	s_or_b32 exec_lo, exec_lo, s51
.LBB302_178:                            ;   in Loop: Header=BB302_16 Depth=1
	s_or_b32 exec_lo, exec_lo, s50
.LBB302_179:                            ;   in Loop: Header=BB302_16 Depth=1
	s_or_b32 exec_lo, exec_lo, s49
	v_mov_b32_e32 v3, v12
	v_cmp_ne_u16_sdwa s1, v12, v4 src0_sel:BYTE_0 src1_sel:DWORD
	s_and_saveexec_b32 s49, s1
	s_cbranch_execz .LBB302_187
; %bb.180:                              ;   in Loop: Header=BB302_16 Depth=1
	v_cmp_ne_u16_sdwa s1, v12, v20 src0_sel:BYTE_0 src1_sel:DWORD
	v_mov_b32_e32 v48, 0x8000
	s_and_saveexec_b32 s50, s1
	s_cbranch_execz .LBB302_186
; %bb.181:                              ;   in Loop: Header=BB302_16 Depth=1
	v_and_b32_e32 v51, 0x7f, v12
	v_mov_b32_e32 v48, 0x7c01
	s_mov_b32 s51, exec_lo
	v_cmpx_ne_u32_e32 0x7f, v51
	s_cbranch_execz .LBB302_185
; %bb.182:                              ;   in Loop: Header=BB302_16 Depth=1
	v_and_b32_e32 v48, 7, v12
	v_lshrrev_b32_e32 v50, 3, v51
	s_mov_b32 s52, exec_lo
	v_cmpx_gt_u32_e32 8, v51
; %bb.183:                              ;   in Loop: Header=BB302_16 Depth=1
	v_ffbh_u32_e32 v48, v48
	v_min_u32_e32 v48, 32, v48
	v_subrev_nc_u32_e32 v50, 28, v48
	v_lshlrev_b64 v[51:52], v50, v[3:4]
	v_sub_nc_u32_e32 v50, 29, v48
	v_and_b32_e32 v48, 7, v51
; %bb.184:                              ;   in Loop: Header=BB302_16 Depth=1
	s_or_b32 exec_lo, exec_lo, s52
	v_lshlrev_b32_e32 v51, 8, v12
	v_lshl_add_u32 v50, v50, 10, 0x2000
	v_lshlrev_b32_e32 v48, 7, v48
	v_and_b32_e32 v51, 0x8000, v51
	v_and_b32_e32 v50, 0xfc00, v50
	v_or3_b32 v48, v51, v50, v48
.LBB302_185:                            ;   in Loop: Header=BB302_16 Depth=1
	s_or_b32 exec_lo, exec_lo, s51
.LBB302_186:                            ;   in Loop: Header=BB302_16 Depth=1
	s_or_b32 exec_lo, exec_lo, s50
.LBB302_187:                            ;   in Loop: Header=BB302_16 Depth=1
	s_or_b32 exec_lo, exec_lo, s49
	v_lshrrev_b16 v3, 8, v3
	v_mov_b32_e32 v52, 0
	v_mov_b32_e32 v51, 0
	s_mov_b32 s49, exec_lo
	v_cmpx_ne_u16_e32 0, v3
	s_cbranch_execz .LBB302_195
; %bb.188:                              ;   in Loop: Header=BB302_16 Depth=1
	v_bfrev_b32_e32 v51, 1
	s_mov_b32 s50, exec_lo
	v_cmpx_ne_u16_e32 0x80, v3
	s_cbranch_execz .LBB302_194
; %bb.189:                              ;   in Loop: Header=BB302_16 Depth=1
	v_and_b32_sdwa v53, v3, v21 dst_sel:DWORD dst_unused:UNUSED_PAD src0_sel:WORD_0 src1_sel:DWORD
	v_mov_b32_e32 v51, 0x7c010000
	s_mov_b32 s51, exec_lo
	v_cmpx_ne_u32_e32 0x7f, v53
	s_cbranch_execz .LBB302_193
; %bb.190:                              ;   in Loop: Header=BB302_16 Depth=1
	v_and_b32_sdwa v50, v3, v22 dst_sel:DWORD dst_unused:UNUSED_PAD src0_sel:WORD_0 src1_sel:DWORD
	v_lshrrev_b32_e32 v51, 3, v53
	s_mov_b32 s52, exec_lo
	v_cmpx_gt_u32_e32 8, v53
; %bb.191:                              ;   in Loop: Header=BB302_16 Depth=1
	v_ffbh_u32_e32 v50, v50
	v_min_u32_e32 v53, 32, v50
	v_subrev_nc_u32_e32 v50, 28, v53
	v_lshlrev_b64 v[50:51], v50, v[3:4]
	v_sub_nc_u32_e32 v51, 29, v53
	v_and_b32_e32 v50, 7, v50
; %bb.192:                              ;   in Loop: Header=BB302_16 Depth=1
	s_or_b32 exec_lo, exec_lo, s52
	v_lshlrev_b32_sdwa v3, v23, v3 dst_sel:DWORD dst_unused:UNUSED_PAD src0_sel:DWORD src1_sel:WORD_0
	v_lshl_add_u32 v51, v51, 10, 0x2000
	v_lshlrev_b32_e32 v50, 23, v50
	v_and_or_b32 v3, 0x8000, v3, v51
	v_lshl_or_b32 v51, v3, 16, v50
.LBB302_193:                            ;   in Loop: Header=BB302_16 Depth=1
	s_or_b32 exec_lo, exec_lo, s51
.LBB302_194:                            ;   in Loop: Header=BB302_16 Depth=1
	s_or_b32 exec_lo, exec_lo, s50
.LBB302_195:                            ;   in Loop: Header=BB302_16 Depth=1
	s_or_b32 exec_lo, exec_lo, s49
	v_lshrrev_b32_e32 v3, 16, v12
	v_cmp_ne_u16_sdwa s1, v3, v4 src0_sel:BYTE_0 src1_sel:DWORD
	s_and_saveexec_b32 s49, s1
	s_cbranch_execz .LBB302_203
; %bb.196:                              ;   in Loop: Header=BB302_16 Depth=1
	v_cmp_ne_u16_sdwa s1, v3, v20 src0_sel:BYTE_0 src1_sel:DWORD
	v_mov_b32_e32 v52, 0x8000
	s_and_saveexec_b32 s50, s1
	s_cbranch_execz .LBB302_202
; %bb.197:                              ;   in Loop: Header=BB302_16 Depth=1
	v_bfe_u32 v53, v12, 16, 7
	v_mov_b32_e32 v52, 0x7c01
	s_mov_b32 s51, exec_lo
	v_cmpx_ne_u32_e32 0x7f, v53
	s_cbranch_execz .LBB302_201
; %bb.198:                              ;   in Loop: Header=BB302_16 Depth=1
	v_and_b32_e32 v50, 7, v3
	v_lshrrev_b32_e32 v52, 3, v53
	s_mov_b32 s52, exec_lo
	v_cmpx_gt_u32_e32 8, v53
; %bb.199:                              ;   in Loop: Header=BB302_16 Depth=1
	v_ffbh_u32_e32 v50, v50
	v_min_u32_e32 v50, 32, v50
	v_subrev_nc_u32_e32 v52, 28, v50
	v_lshlrev_b64 v[53:54], v52, v[3:4]
	v_sub_nc_u32_e32 v52, 29, v50
	v_and_b32_e32 v50, 7, v53
; %bb.200:                              ;   in Loop: Header=BB302_16 Depth=1
	s_or_b32 exec_lo, exec_lo, s52
	v_lshlrev_b32_e32 v3, 8, v3
	v_lshl_add_u32 v52, v52, 10, 0x2000
	v_lshlrev_b32_e32 v50, 7, v50
	v_and_b32_e32 v3, 0x8000, v3
	v_and_b32_e32 v52, 0xfc00, v52
	v_or3_b32 v52, v3, v52, v50
.LBB302_201:                            ;   in Loop: Header=BB302_16 Depth=1
	s_or_b32 exec_lo, exec_lo, s51
.LBB302_202:                            ;   in Loop: Header=BB302_16 Depth=1
	s_or_b32 exec_lo, exec_lo, s50
.LBB302_203:                            ;   in Loop: Header=BB302_16 Depth=1
	s_or_b32 exec_lo, exec_lo, s49
	v_mov_b32_e32 v50, 0
	v_mov_b32_e32 v55, 0
	s_mov_b32 s49, exec_lo
	v_cmpx_lt_u64_e64 s[4:5], v[11:12]
	s_cbranch_execz .LBB302_211
; %bb.204:                              ;   in Loop: Header=BB302_16 Depth=1
	v_lshrrev_b32_e32 v3, 24, v12
	v_bfrev_b32_e32 v55, 1
	s_mov_b32 s50, exec_lo
	v_cmpx_ne_u32_e32 0x80, v3
	s_cbranch_execz .LBB302_210
; %bb.205:                              ;   in Loop: Header=BB302_16 Depth=1
	v_and_b32_e32 v53, 0x7f, v3
	v_mov_b32_e32 v55, 0x7c010000
	s_mov_b32 s51, exec_lo
	v_cmpx_ne_u32_e32 0x7f, v53
	s_cbranch_execz .LBB302_209
; %bb.206:                              ;   in Loop: Header=BB302_16 Depth=1
	v_and_b32_e32 v11, 7, v3
	v_lshrrev_b32_e32 v12, 3, v53
	s_mov_b32 s52, exec_lo
	v_cmpx_gt_u32_e32 8, v53
; %bb.207:                              ;   in Loop: Header=BB302_16 Depth=1
	v_ffbh_u32_e32 v11, v11
	v_min_u32_e32 v53, 32, v11
	v_subrev_nc_u32_e32 v11, 28, v53
	v_lshlrev_b64 v[11:12], v11, v[3:4]
	v_sub_nc_u32_e32 v12, 29, v53
	v_and_b32_e32 v11, 7, v11
; %bb.208:                              ;   in Loop: Header=BB302_16 Depth=1
	s_or_b32 exec_lo, exec_lo, s52
	v_lshlrev_b32_e32 v3, 8, v3
	v_lshl_add_u32 v12, v12, 10, 0x2000
	v_lshlrev_b32_e32 v11, 23, v11
	v_and_or_b32 v3, 0x8000, v3, v12
	v_lshl_or_b32 v55, v3, 16, v11
.LBB302_209:                            ;   in Loop: Header=BB302_16 Depth=1
	s_or_b32 exec_lo, exec_lo, s51
.LBB302_210:                            ;   in Loop: Header=BB302_16 Depth=1
	s_or_b32 exec_lo, exec_lo, s50
.LBB302_211:                            ;   in Loop: Header=BB302_16 Depth=1
	s_or_b32 exec_lo, exec_lo, s49
	global_load_dwordx2 v[11:12], v[9:10], off offset:520
	s_waitcnt vmcnt(0)
	v_cmp_ne_u16_sdwa s1, v11, v4 src0_sel:BYTE_0 src1_sel:DWORD
	s_and_saveexec_b32 s49, s1
	s_cbranch_execz .LBB302_219
; %bb.212:                              ;   in Loop: Header=BB302_16 Depth=1
	v_cmp_ne_u16_sdwa s1, v11, v20 src0_sel:BYTE_0 src1_sel:DWORD
	v_mov_b32_e32 v50, 0x8000
	s_and_saveexec_b32 s50, s1
	s_cbranch_execz .LBB302_218
; %bb.213:                              ;   in Loop: Header=BB302_16 Depth=1
	v_and_b32_e32 v53, 0x7f, v11
	v_mov_b32_e32 v50, 0x7c01
	s_mov_b32 s51, exec_lo
	v_cmpx_ne_u32_e32 0x7f, v53
	s_cbranch_execz .LBB302_217
; %bb.214:                              ;   in Loop: Header=BB302_16 Depth=1
	v_and_b32_e32 v3, 7, v11
	v_lshrrev_b32_e32 v50, 3, v53
	s_mov_b32 s52, exec_lo
	v_cmpx_gt_u32_e32 8, v53
; %bb.215:                              ;   in Loop: Header=BB302_16 Depth=1
	v_ffbh_u32_e32 v3, v3
	v_min_u32_e32 v3, 32, v3
	v_subrev_nc_u32_e32 v50, 28, v3
	v_lshlrev_b64 v[53:54], v50, v[11:12]
	v_sub_nc_u32_e32 v50, 29, v3
	v_and_b32_e32 v3, 7, v53
; %bb.216:                              ;   in Loop: Header=BB302_16 Depth=1
	s_or_b32 exec_lo, exec_lo, s52
	v_lshlrev_b32_e32 v53, 8, v11
	v_lshl_add_u32 v50, v50, 10, 0x2000
	v_lshlrev_b32_e32 v3, 7, v3
	v_and_b32_e32 v53, 0x8000, v53
	v_and_b32_e32 v50, 0xfc00, v50
	v_or3_b32 v50, v53, v50, v3
.LBB302_217:                            ;   in Loop: Header=BB302_16 Depth=1
	s_or_b32 exec_lo, exec_lo, s51
.LBB302_218:                            ;   in Loop: Header=BB302_16 Depth=1
	s_or_b32 exec_lo, exec_lo, s50
.LBB302_219:                            ;   in Loop: Header=BB302_16 Depth=1
	s_or_b32 exec_lo, exec_lo, s49
	v_lshrrev_b16 v3, 8, v11
	v_mov_b32_e32 v54, 0
	v_mov_b32_e32 v53, 0
	s_mov_b32 s49, exec_lo
	v_cmpx_ne_u16_e32 0, v3
	s_cbranch_execz .LBB302_227
; %bb.220:                              ;   in Loop: Header=BB302_16 Depth=1
	v_bfrev_b32_e32 v53, 1
	s_mov_b32 s50, exec_lo
	v_cmpx_ne_u16_e32 0x80, v3
	s_cbranch_execz .LBB302_226
; %bb.221:                              ;   in Loop: Header=BB302_16 Depth=1
	v_and_b32_sdwa v57, v3, v21 dst_sel:DWORD dst_unused:UNUSED_PAD src0_sel:WORD_0 src1_sel:DWORD
	v_mov_b32_e32 v53, 0x7c010000
	s_mov_b32 s51, exec_lo
	v_cmpx_ne_u32_e32 0x7f, v57
	s_cbranch_execz .LBB302_225
; %bb.222:                              ;   in Loop: Header=BB302_16 Depth=1
	v_and_b32_sdwa v53, v3, v22 dst_sel:DWORD dst_unused:UNUSED_PAD src0_sel:WORD_0 src1_sel:DWORD
	v_lshrrev_b32_e32 v56, 3, v57
	s_mov_b32 s52, exec_lo
	v_cmpx_gt_u32_e32 8, v57
; %bb.223:                              ;   in Loop: Header=BB302_16 Depth=1
	v_ffbh_u32_e32 v53, v53
	v_min_u32_e32 v53, 32, v53
	v_subrev_nc_u32_e32 v56, 28, v53
	v_lshlrev_b64 v[57:58], v56, v[3:4]
	v_sub_nc_u32_e32 v56, 29, v53
	v_and_b32_e32 v53, 7, v57
; %bb.224:                              ;   in Loop: Header=BB302_16 Depth=1
	s_or_b32 exec_lo, exec_lo, s52
	v_lshlrev_b32_sdwa v3, v23, v3 dst_sel:DWORD dst_unused:UNUSED_PAD src0_sel:DWORD src1_sel:WORD_0
	v_lshl_add_u32 v56, v56, 10, 0x2000
	v_lshlrev_b32_e32 v53, 23, v53
	v_and_or_b32 v3, 0x8000, v3, v56
	v_lshl_or_b32 v53, v3, 16, v53
.LBB302_225:                            ;   in Loop: Header=BB302_16 Depth=1
	s_or_b32 exec_lo, exec_lo, s51
.LBB302_226:                            ;   in Loop: Header=BB302_16 Depth=1
	s_or_b32 exec_lo, exec_lo, s50
.LBB302_227:                            ;   in Loop: Header=BB302_16 Depth=1
	s_or_b32 exec_lo, exec_lo, s49
	v_lshrrev_b32_e32 v3, 16, v11
	v_cmp_ne_u16_sdwa s1, v3, v4 src0_sel:BYTE_0 src1_sel:DWORD
	s_and_saveexec_b32 s49, s1
	s_cbranch_execz .LBB302_235
; %bb.228:                              ;   in Loop: Header=BB302_16 Depth=1
	v_cmp_ne_u16_sdwa s1, v3, v20 src0_sel:BYTE_0 src1_sel:DWORD
	v_mov_b32_e32 v54, 0x8000
	s_and_saveexec_b32 s50, s1
	s_cbranch_execz .LBB302_234
; %bb.229:                              ;   in Loop: Header=BB302_16 Depth=1
	v_bfe_u32 v57, v11, 16, 7
	v_mov_b32_e32 v54, 0x7c01
	s_mov_b32 s51, exec_lo
	v_cmpx_ne_u32_e32 0x7f, v57
	s_cbranch_execz .LBB302_233
; %bb.230:                              ;   in Loop: Header=BB302_16 Depth=1
	v_and_b32_e32 v54, 7, v3
	v_lshrrev_b32_e32 v56, 3, v57
	s_mov_b32 s52, exec_lo
	v_cmpx_gt_u32_e32 8, v57
; %bb.231:                              ;   in Loop: Header=BB302_16 Depth=1
	v_ffbh_u32_e32 v54, v54
	v_min_u32_e32 v54, 32, v54
	v_subrev_nc_u32_e32 v56, 28, v54
	v_lshlrev_b64 v[57:58], v56, v[3:4]
	v_sub_nc_u32_e32 v56, 29, v54
	v_and_b32_e32 v54, 7, v57
; %bb.232:                              ;   in Loop: Header=BB302_16 Depth=1
	s_or_b32 exec_lo, exec_lo, s52
	v_lshlrev_b32_e32 v3, 8, v3
	v_lshl_add_u32 v56, v56, 10, 0x2000
	v_lshlrev_b32_e32 v54, 7, v54
	v_and_b32_e32 v3, 0x8000, v3
	v_and_b32_e32 v56, 0xfc00, v56
	v_or3_b32 v54, v3, v56, v54
.LBB302_233:                            ;   in Loop: Header=BB302_16 Depth=1
	s_or_b32 exec_lo, exec_lo, s51
.LBB302_234:                            ;   in Loop: Header=BB302_16 Depth=1
	s_or_b32 exec_lo, exec_lo, s50
.LBB302_235:                            ;   in Loop: Header=BB302_16 Depth=1
	s_or_b32 exec_lo, exec_lo, s49
	v_mov_b32_e32 v56, 0
	v_mov_b32_e32 v57, 0
	s_mov_b32 s49, exec_lo
	v_cmpx_lt_u32_e32 0xffffff, v11
	s_cbranch_execz .LBB302_243
; %bb.236:                              ;   in Loop: Header=BB302_16 Depth=1
	v_lshrrev_b32_e32 v3, 24, v11
	v_bfrev_b32_e32 v57, 1
	s_mov_b32 s50, exec_lo
	v_cmpx_ne_u32_e32 0x80, v3
	s_cbranch_execz .LBB302_242
; %bb.237:                              ;   in Loop: Header=BB302_16 Depth=1
	v_and_b32_e32 v59, 0x7f, v3
	v_mov_b32_e32 v57, 0x7c010000
	s_mov_b32 s51, exec_lo
	v_cmpx_ne_u32_e32 0x7f, v59
	s_cbranch_execz .LBB302_241
; %bb.238:                              ;   in Loop: Header=BB302_16 Depth=1
	v_and_b32_e32 v57, 7, v3
	v_lshrrev_b32_e32 v58, 3, v59
	s_mov_b32 s52, exec_lo
	v_cmpx_gt_u32_e32 8, v59
; %bb.239:                              ;   in Loop: Header=BB302_16 Depth=1
	v_ffbh_u32_e32 v57, v57
	v_min_u32_e32 v59, 32, v57
	v_subrev_nc_u32_e32 v57, 28, v59
	v_lshlrev_b64 v[57:58], v57, v[3:4]
	v_sub_nc_u32_e32 v58, 29, v59
	v_and_b32_e32 v57, 7, v57
; %bb.240:                              ;   in Loop: Header=BB302_16 Depth=1
	s_or_b32 exec_lo, exec_lo, s52
	v_lshlrev_b32_e32 v3, 8, v3
	v_lshl_add_u32 v58, v58, 10, 0x2000
	v_lshlrev_b32_e32 v57, 23, v57
	v_and_or_b32 v3, 0x8000, v3, v58
	v_lshl_or_b32 v57, v3, 16, v57
.LBB302_241:                            ;   in Loop: Header=BB302_16 Depth=1
	s_or_b32 exec_lo, exec_lo, s51
.LBB302_242:                            ;   in Loop: Header=BB302_16 Depth=1
	s_or_b32 exec_lo, exec_lo, s50
.LBB302_243:                            ;   in Loop: Header=BB302_16 Depth=1
	s_or_b32 exec_lo, exec_lo, s49
	v_mov_b32_e32 v3, v12
	v_cmp_ne_u16_sdwa s1, v12, v4 src0_sel:BYTE_0 src1_sel:DWORD
	s_and_saveexec_b32 s49, s1
	s_cbranch_execz .LBB302_251
; %bb.244:                              ;   in Loop: Header=BB302_16 Depth=1
	v_cmp_ne_u16_sdwa s1, v12, v20 src0_sel:BYTE_0 src1_sel:DWORD
	v_mov_b32_e32 v56, 0x8000
	s_and_saveexec_b32 s50, s1
	s_cbranch_execz .LBB302_250
; %bb.245:                              ;   in Loop: Header=BB302_16 Depth=1
	v_and_b32_e32 v59, 0x7f, v12
	v_mov_b32_e32 v56, 0x7c01
	s_mov_b32 s51, exec_lo
	v_cmpx_ne_u32_e32 0x7f, v59
	s_cbranch_execz .LBB302_249
; %bb.246:                              ;   in Loop: Header=BB302_16 Depth=1
	v_and_b32_e32 v56, 7, v12
	v_lshrrev_b32_e32 v58, 3, v59
	s_mov_b32 s52, exec_lo
	v_cmpx_gt_u32_e32 8, v59
; %bb.247:                              ;   in Loop: Header=BB302_16 Depth=1
	v_ffbh_u32_e32 v56, v56
	v_min_u32_e32 v56, 32, v56
	v_subrev_nc_u32_e32 v58, 28, v56
	v_lshlrev_b64 v[59:60], v58, v[3:4]
	v_sub_nc_u32_e32 v58, 29, v56
	v_and_b32_e32 v56, 7, v59
; %bb.248:                              ;   in Loop: Header=BB302_16 Depth=1
	s_or_b32 exec_lo, exec_lo, s52
	v_lshlrev_b32_e32 v59, 8, v12
	v_lshl_add_u32 v58, v58, 10, 0x2000
	v_lshlrev_b32_e32 v56, 7, v56
	v_and_b32_e32 v59, 0x8000, v59
	v_and_b32_e32 v58, 0xfc00, v58
	v_or3_b32 v56, v59, v58, v56
.LBB302_249:                            ;   in Loop: Header=BB302_16 Depth=1
	s_or_b32 exec_lo, exec_lo, s51
.LBB302_250:                            ;   in Loop: Header=BB302_16 Depth=1
	s_or_b32 exec_lo, exec_lo, s50
.LBB302_251:                            ;   in Loop: Header=BB302_16 Depth=1
	s_or_b32 exec_lo, exec_lo, s49
	v_lshrrev_b16 v3, 8, v3
	v_mov_b32_e32 v60, 0
	v_mov_b32_e32 v59, 0
	s_mov_b32 s49, exec_lo
	v_cmpx_ne_u16_e32 0, v3
	s_cbranch_execz .LBB302_259
; %bb.252:                              ;   in Loop: Header=BB302_16 Depth=1
	v_bfrev_b32_e32 v59, 1
	s_mov_b32 s50, exec_lo
	v_cmpx_ne_u16_e32 0x80, v3
	s_cbranch_execz .LBB302_258
; %bb.253:                              ;   in Loop: Header=BB302_16 Depth=1
	v_and_b32_sdwa v61, v3, v21 dst_sel:DWORD dst_unused:UNUSED_PAD src0_sel:WORD_0 src1_sel:DWORD
	v_mov_b32_e32 v59, 0x7c010000
	s_mov_b32 s51, exec_lo
	v_cmpx_ne_u32_e32 0x7f, v61
	s_cbranch_execz .LBB302_257
; %bb.254:                              ;   in Loop: Header=BB302_16 Depth=1
	v_and_b32_sdwa v58, v3, v22 dst_sel:DWORD dst_unused:UNUSED_PAD src0_sel:WORD_0 src1_sel:DWORD
	v_lshrrev_b32_e32 v59, 3, v61
	s_mov_b32 s52, exec_lo
	v_cmpx_gt_u32_e32 8, v61
; %bb.255:                              ;   in Loop: Header=BB302_16 Depth=1
	v_ffbh_u32_e32 v58, v58
	v_min_u32_e32 v61, 32, v58
	v_subrev_nc_u32_e32 v58, 28, v61
	v_lshlrev_b64 v[58:59], v58, v[3:4]
	v_sub_nc_u32_e32 v59, 29, v61
	v_and_b32_e32 v58, 7, v58
; %bb.256:                              ;   in Loop: Header=BB302_16 Depth=1
	s_or_b32 exec_lo, exec_lo, s52
	v_lshlrev_b32_sdwa v3, v23, v3 dst_sel:DWORD dst_unused:UNUSED_PAD src0_sel:DWORD src1_sel:WORD_0
	v_lshl_add_u32 v59, v59, 10, 0x2000
	v_lshlrev_b32_e32 v58, 23, v58
	v_and_or_b32 v3, 0x8000, v3, v59
	v_lshl_or_b32 v59, v3, 16, v58
.LBB302_257:                            ;   in Loop: Header=BB302_16 Depth=1
	s_or_b32 exec_lo, exec_lo, s51
.LBB302_258:                            ;   in Loop: Header=BB302_16 Depth=1
	s_or_b32 exec_lo, exec_lo, s50
.LBB302_259:                            ;   in Loop: Header=BB302_16 Depth=1
	s_or_b32 exec_lo, exec_lo, s49
	v_lshrrev_b32_e32 v3, 16, v12
	v_cmp_ne_u16_sdwa s1, v3, v4 src0_sel:BYTE_0 src1_sel:DWORD
	s_and_saveexec_b32 s49, s1
	s_cbranch_execz .LBB302_267
; %bb.260:                              ;   in Loop: Header=BB302_16 Depth=1
	v_cmp_ne_u16_sdwa s1, v3, v20 src0_sel:BYTE_0 src1_sel:DWORD
	v_mov_b32_e32 v60, 0x8000
	s_and_saveexec_b32 s50, s1
	s_cbranch_execz .LBB302_266
; %bb.261:                              ;   in Loop: Header=BB302_16 Depth=1
	v_bfe_u32 v61, v12, 16, 7
	v_mov_b32_e32 v60, 0x7c01
	s_mov_b32 s51, exec_lo
	v_cmpx_ne_u32_e32 0x7f, v61
	s_cbranch_execz .LBB302_265
; %bb.262:                              ;   in Loop: Header=BB302_16 Depth=1
	v_and_b32_e32 v58, 7, v3
	v_lshrrev_b32_e32 v60, 3, v61
	s_mov_b32 s52, exec_lo
	v_cmpx_gt_u32_e32 8, v61
; %bb.263:                              ;   in Loop: Header=BB302_16 Depth=1
	v_ffbh_u32_e32 v58, v58
	v_min_u32_e32 v58, 32, v58
	v_subrev_nc_u32_e32 v60, 28, v58
	v_lshlrev_b64 v[61:62], v60, v[3:4]
	v_sub_nc_u32_e32 v60, 29, v58
	v_and_b32_e32 v58, 7, v61
; %bb.264:                              ;   in Loop: Header=BB302_16 Depth=1
	s_or_b32 exec_lo, exec_lo, s52
	v_lshlrev_b32_e32 v3, 8, v3
	v_lshl_add_u32 v60, v60, 10, 0x2000
	v_lshlrev_b32_e32 v58, 7, v58
	v_and_b32_e32 v3, 0x8000, v3
	v_and_b32_e32 v60, 0xfc00, v60
	v_or3_b32 v60, v3, v60, v58
.LBB302_265:                            ;   in Loop: Header=BB302_16 Depth=1
	s_or_b32 exec_lo, exec_lo, s51
.LBB302_266:                            ;   in Loop: Header=BB302_16 Depth=1
	s_or_b32 exec_lo, exec_lo, s50
.LBB302_267:                            ;   in Loop: Header=BB302_16 Depth=1
	s_or_b32 exec_lo, exec_lo, s49
	v_mov_b32_e32 v58, 0
	v_mov_b32_e32 v63, 0
	s_mov_b32 s49, exec_lo
	v_cmpx_lt_u64_e64 s[4:5], v[11:12]
	s_cbranch_execz .LBB302_275
; %bb.268:                              ;   in Loop: Header=BB302_16 Depth=1
	v_lshrrev_b32_e32 v3, 24, v12
	v_bfrev_b32_e32 v63, 1
	s_mov_b32 s50, exec_lo
	v_cmpx_ne_u32_e32 0x80, v3
	s_cbranch_execz .LBB302_274
; %bb.269:                              ;   in Loop: Header=BB302_16 Depth=1
	v_and_b32_e32 v61, 0x7f, v3
	v_mov_b32_e32 v63, 0x7c010000
	s_mov_b32 s51, exec_lo
	v_cmpx_ne_u32_e32 0x7f, v61
	s_cbranch_execz .LBB302_273
; %bb.270:                              ;   in Loop: Header=BB302_16 Depth=1
	v_and_b32_e32 v11, 7, v3
	v_lshrrev_b32_e32 v12, 3, v61
	s_mov_b32 s52, exec_lo
	v_cmpx_gt_u32_e32 8, v61
; %bb.271:                              ;   in Loop: Header=BB302_16 Depth=1
	v_ffbh_u32_e32 v11, v11
	v_min_u32_e32 v61, 32, v11
	v_subrev_nc_u32_e32 v11, 28, v61
	v_lshlrev_b64 v[11:12], v11, v[3:4]
	v_sub_nc_u32_e32 v12, 29, v61
	v_and_b32_e32 v11, 7, v11
; %bb.272:                              ;   in Loop: Header=BB302_16 Depth=1
	s_or_b32 exec_lo, exec_lo, s52
	v_lshlrev_b32_e32 v3, 8, v3
	v_lshl_add_u32 v12, v12, 10, 0x2000
	v_lshlrev_b32_e32 v11, 23, v11
	v_and_or_b32 v3, 0x8000, v3, v12
	v_lshl_or_b32 v63, v3, 16, v11
.LBB302_273:                            ;   in Loop: Header=BB302_16 Depth=1
	s_or_b32 exec_lo, exec_lo, s51
.LBB302_274:                            ;   in Loop: Header=BB302_16 Depth=1
	s_or_b32 exec_lo, exec_lo, s50
.LBB302_275:                            ;   in Loop: Header=BB302_16 Depth=1
	s_or_b32 exec_lo, exec_lo, s49
	global_load_dwordx2 v[11:12], v[9:10], off offset:1024
	s_waitcnt vmcnt(0)
	v_cmp_ne_u16_sdwa s1, v11, v4 src0_sel:BYTE_0 src1_sel:DWORD
	s_and_saveexec_b32 s49, s1
	s_cbranch_execz .LBB302_283
; %bb.276:                              ;   in Loop: Header=BB302_16 Depth=1
	v_cmp_ne_u16_sdwa s1, v11, v20 src0_sel:BYTE_0 src1_sel:DWORD
	v_mov_b32_e32 v58, 0x8000
	s_and_saveexec_b32 s50, s1
	s_cbranch_execz .LBB302_282
; %bb.277:                              ;   in Loop: Header=BB302_16 Depth=1
	v_and_b32_e32 v61, 0x7f, v11
	v_mov_b32_e32 v58, 0x7c01
	s_mov_b32 s51, exec_lo
	v_cmpx_ne_u32_e32 0x7f, v61
	s_cbranch_execz .LBB302_281
; %bb.278:                              ;   in Loop: Header=BB302_16 Depth=1
	v_and_b32_e32 v3, 7, v11
	v_lshrrev_b32_e32 v58, 3, v61
	s_mov_b32 s52, exec_lo
	v_cmpx_gt_u32_e32 8, v61
; %bb.279:                              ;   in Loop: Header=BB302_16 Depth=1
	v_ffbh_u32_e32 v3, v3
	v_min_u32_e32 v3, 32, v3
	v_subrev_nc_u32_e32 v58, 28, v3
	v_lshlrev_b64 v[61:62], v58, v[11:12]
	v_sub_nc_u32_e32 v58, 29, v3
	v_and_b32_e32 v3, 7, v61
; %bb.280:                              ;   in Loop: Header=BB302_16 Depth=1
	s_or_b32 exec_lo, exec_lo, s52
	v_lshlrev_b32_e32 v61, 8, v11
	v_lshl_add_u32 v58, v58, 10, 0x2000
	v_lshlrev_b32_e32 v3, 7, v3
	v_and_b32_e32 v61, 0x8000, v61
	v_and_b32_e32 v58, 0xfc00, v58
	v_or3_b32 v58, v61, v58, v3
.LBB302_281:                            ;   in Loop: Header=BB302_16 Depth=1
	s_or_b32 exec_lo, exec_lo, s51
.LBB302_282:                            ;   in Loop: Header=BB302_16 Depth=1
	s_or_b32 exec_lo, exec_lo, s50
.LBB302_283:                            ;   in Loop: Header=BB302_16 Depth=1
	s_or_b32 exec_lo, exec_lo, s49
	v_lshrrev_b16 v3, 8, v11
	v_mov_b32_e32 v62, 0
	v_mov_b32_e32 v61, 0
	s_mov_b32 s49, exec_lo
	v_cmpx_ne_u16_e32 0, v3
	s_cbranch_execz .LBB302_291
; %bb.284:                              ;   in Loop: Header=BB302_16 Depth=1
	v_bfrev_b32_e32 v61, 1
	s_mov_b32 s50, exec_lo
	v_cmpx_ne_u16_e32 0x80, v3
	s_cbranch_execz .LBB302_290
; %bb.285:                              ;   in Loop: Header=BB302_16 Depth=1
	v_and_b32_sdwa v65, v3, v21 dst_sel:DWORD dst_unused:UNUSED_PAD src0_sel:WORD_0 src1_sel:DWORD
	v_mov_b32_e32 v61, 0x7c010000
	s_mov_b32 s51, exec_lo
	v_cmpx_ne_u32_e32 0x7f, v65
	s_cbranch_execz .LBB302_289
; %bb.286:                              ;   in Loop: Header=BB302_16 Depth=1
	v_and_b32_sdwa v61, v3, v22 dst_sel:DWORD dst_unused:UNUSED_PAD src0_sel:WORD_0 src1_sel:DWORD
	v_lshrrev_b32_e32 v64, 3, v65
	s_mov_b32 s52, exec_lo
	v_cmpx_gt_u32_e32 8, v65
; %bb.287:                              ;   in Loop: Header=BB302_16 Depth=1
	v_ffbh_u32_e32 v61, v61
	v_min_u32_e32 v61, 32, v61
	v_subrev_nc_u32_e32 v64, 28, v61
	v_lshlrev_b64 v[65:66], v64, v[3:4]
	v_sub_nc_u32_e32 v64, 29, v61
	v_and_b32_e32 v61, 7, v65
; %bb.288:                              ;   in Loop: Header=BB302_16 Depth=1
	s_or_b32 exec_lo, exec_lo, s52
	v_lshlrev_b32_sdwa v3, v23, v3 dst_sel:DWORD dst_unused:UNUSED_PAD src0_sel:DWORD src1_sel:WORD_0
	v_lshl_add_u32 v64, v64, 10, 0x2000
	v_lshlrev_b32_e32 v61, 23, v61
	v_and_or_b32 v3, 0x8000, v3, v64
	v_lshl_or_b32 v61, v3, 16, v61
.LBB302_289:                            ;   in Loop: Header=BB302_16 Depth=1
	s_or_b32 exec_lo, exec_lo, s51
.LBB302_290:                            ;   in Loop: Header=BB302_16 Depth=1
	s_or_b32 exec_lo, exec_lo, s50
.LBB302_291:                            ;   in Loop: Header=BB302_16 Depth=1
	s_or_b32 exec_lo, exec_lo, s49
	v_lshrrev_b32_e32 v3, 16, v11
	v_cmp_ne_u16_sdwa s1, v3, v4 src0_sel:BYTE_0 src1_sel:DWORD
	s_and_saveexec_b32 s49, s1
	s_cbranch_execz .LBB302_299
; %bb.292:                              ;   in Loop: Header=BB302_16 Depth=1
	v_cmp_ne_u16_sdwa s1, v3, v20 src0_sel:BYTE_0 src1_sel:DWORD
	v_mov_b32_e32 v62, 0x8000
	s_and_saveexec_b32 s50, s1
	s_cbranch_execz .LBB302_298
; %bb.293:                              ;   in Loop: Header=BB302_16 Depth=1
	v_bfe_u32 v65, v11, 16, 7
	v_mov_b32_e32 v62, 0x7c01
	s_mov_b32 s51, exec_lo
	v_cmpx_ne_u32_e32 0x7f, v65
	s_cbranch_execz .LBB302_297
; %bb.294:                              ;   in Loop: Header=BB302_16 Depth=1
	v_and_b32_e32 v62, 7, v3
	v_lshrrev_b32_e32 v64, 3, v65
	s_mov_b32 s52, exec_lo
	v_cmpx_gt_u32_e32 8, v65
; %bb.295:                              ;   in Loop: Header=BB302_16 Depth=1
	v_ffbh_u32_e32 v62, v62
	v_min_u32_e32 v62, 32, v62
	v_subrev_nc_u32_e32 v64, 28, v62
	v_lshlrev_b64 v[65:66], v64, v[3:4]
	v_sub_nc_u32_e32 v64, 29, v62
	v_and_b32_e32 v62, 7, v65
; %bb.296:                              ;   in Loop: Header=BB302_16 Depth=1
	s_or_b32 exec_lo, exec_lo, s52
	v_lshlrev_b32_e32 v3, 8, v3
	v_lshl_add_u32 v64, v64, 10, 0x2000
	v_lshlrev_b32_e32 v62, 7, v62
	v_and_b32_e32 v3, 0x8000, v3
	v_and_b32_e32 v64, 0xfc00, v64
	v_or3_b32 v62, v3, v64, v62
.LBB302_297:                            ;   in Loop: Header=BB302_16 Depth=1
	s_or_b32 exec_lo, exec_lo, s51
.LBB302_298:                            ;   in Loop: Header=BB302_16 Depth=1
	s_or_b32 exec_lo, exec_lo, s50
.LBB302_299:                            ;   in Loop: Header=BB302_16 Depth=1
	s_or_b32 exec_lo, exec_lo, s49
	v_mov_b32_e32 v64, 0
	v_mov_b32_e32 v65, 0
	s_mov_b32 s49, exec_lo
	v_cmpx_lt_u32_e32 0xffffff, v11
	s_cbranch_execz .LBB302_307
; %bb.300:                              ;   in Loop: Header=BB302_16 Depth=1
	v_lshrrev_b32_e32 v3, 24, v11
	v_bfrev_b32_e32 v65, 1
	s_mov_b32 s50, exec_lo
	v_cmpx_ne_u32_e32 0x80, v3
	s_cbranch_execz .LBB302_306
; %bb.301:                              ;   in Loop: Header=BB302_16 Depth=1
	v_and_b32_e32 v67, 0x7f, v3
	v_mov_b32_e32 v65, 0x7c010000
	s_mov_b32 s51, exec_lo
	v_cmpx_ne_u32_e32 0x7f, v67
	s_cbranch_execz .LBB302_305
; %bb.302:                              ;   in Loop: Header=BB302_16 Depth=1
	v_and_b32_e32 v65, 7, v3
	v_lshrrev_b32_e32 v66, 3, v67
	s_mov_b32 s52, exec_lo
	v_cmpx_gt_u32_e32 8, v67
; %bb.303:                              ;   in Loop: Header=BB302_16 Depth=1
	v_ffbh_u32_e32 v65, v65
	v_min_u32_e32 v67, 32, v65
	v_subrev_nc_u32_e32 v65, 28, v67
	v_lshlrev_b64 v[65:66], v65, v[3:4]
	v_sub_nc_u32_e32 v66, 29, v67
	v_and_b32_e32 v65, 7, v65
; %bb.304:                              ;   in Loop: Header=BB302_16 Depth=1
	s_or_b32 exec_lo, exec_lo, s52
	v_lshlrev_b32_e32 v3, 8, v3
	v_lshl_add_u32 v66, v66, 10, 0x2000
	v_lshlrev_b32_e32 v65, 23, v65
	v_and_or_b32 v3, 0x8000, v3, v66
	v_lshl_or_b32 v65, v3, 16, v65
.LBB302_305:                            ;   in Loop: Header=BB302_16 Depth=1
	s_or_b32 exec_lo, exec_lo, s51
.LBB302_306:                            ;   in Loop: Header=BB302_16 Depth=1
	s_or_b32 exec_lo, exec_lo, s50
.LBB302_307:                            ;   in Loop: Header=BB302_16 Depth=1
	s_or_b32 exec_lo, exec_lo, s49
	v_mov_b32_e32 v3, v12
	v_cmp_ne_u16_sdwa s1, v12, v4 src0_sel:BYTE_0 src1_sel:DWORD
	s_and_saveexec_b32 s49, s1
	s_cbranch_execz .LBB302_315
; %bb.308:                              ;   in Loop: Header=BB302_16 Depth=1
	v_cmp_ne_u16_sdwa s1, v12, v20 src0_sel:BYTE_0 src1_sel:DWORD
	v_mov_b32_e32 v64, 0x8000
	s_and_saveexec_b32 s50, s1
	s_cbranch_execz .LBB302_314
; %bb.309:                              ;   in Loop: Header=BB302_16 Depth=1
	v_and_b32_e32 v67, 0x7f, v12
	v_mov_b32_e32 v64, 0x7c01
	s_mov_b32 s51, exec_lo
	v_cmpx_ne_u32_e32 0x7f, v67
	s_cbranch_execz .LBB302_313
; %bb.310:                              ;   in Loop: Header=BB302_16 Depth=1
	v_and_b32_e32 v64, 7, v12
	v_lshrrev_b32_e32 v66, 3, v67
	s_mov_b32 s52, exec_lo
	v_cmpx_gt_u32_e32 8, v67
; %bb.311:                              ;   in Loop: Header=BB302_16 Depth=1
	v_ffbh_u32_e32 v64, v64
	v_min_u32_e32 v64, 32, v64
	v_subrev_nc_u32_e32 v66, 28, v64
	v_lshlrev_b64 v[67:68], v66, v[3:4]
	v_sub_nc_u32_e32 v66, 29, v64
	v_and_b32_e32 v64, 7, v67
; %bb.312:                              ;   in Loop: Header=BB302_16 Depth=1
	s_or_b32 exec_lo, exec_lo, s52
	v_lshlrev_b32_e32 v67, 8, v12
	v_lshl_add_u32 v66, v66, 10, 0x2000
	v_lshlrev_b32_e32 v64, 7, v64
	v_and_b32_e32 v67, 0x8000, v67
	v_and_b32_e32 v66, 0xfc00, v66
	v_or3_b32 v64, v67, v66, v64
.LBB302_313:                            ;   in Loop: Header=BB302_16 Depth=1
	s_or_b32 exec_lo, exec_lo, s51
.LBB302_314:                            ;   in Loop: Header=BB302_16 Depth=1
	s_or_b32 exec_lo, exec_lo, s50
.LBB302_315:                            ;   in Loop: Header=BB302_16 Depth=1
	s_or_b32 exec_lo, exec_lo, s49
	v_lshrrev_b16 v3, 8, v3
	v_mov_b32_e32 v67, 0
	v_mov_b32_e32 v66, 0
	s_mov_b32 s49, exec_lo
	v_cmpx_ne_u16_e32 0, v3
	s_cbranch_execz .LBB302_323
; %bb.316:                              ;   in Loop: Header=BB302_16 Depth=1
	v_bfrev_b32_e32 v66, 1
	s_mov_b32 s50, exec_lo
	v_cmpx_ne_u16_e32 0x80, v3
	s_cbranch_execz .LBB302_322
; %bb.317:                              ;   in Loop: Header=BB302_16 Depth=1
	v_and_b32_sdwa v69, v3, v21 dst_sel:DWORD dst_unused:UNUSED_PAD src0_sel:WORD_0 src1_sel:DWORD
	v_mov_b32_e32 v66, 0x7c010000
	s_mov_b32 s51, exec_lo
	v_cmpx_ne_u32_e32 0x7f, v69
	s_cbranch_execz .LBB302_321
; %bb.318:                              ;   in Loop: Header=BB302_16 Depth=1
	v_and_b32_sdwa v66, v3, v22 dst_sel:DWORD dst_unused:UNUSED_PAD src0_sel:WORD_0 src1_sel:DWORD
	v_lshrrev_b32_e32 v68, 3, v69
	s_mov_b32 s52, exec_lo
	v_cmpx_gt_u32_e32 8, v69
; %bb.319:                              ;   in Loop: Header=BB302_16 Depth=1
	v_ffbh_u32_e32 v66, v66
	v_min_u32_e32 v66, 32, v66
	v_subrev_nc_u32_e32 v68, 28, v66
	v_lshlrev_b64 v[69:70], v68, v[3:4]
	v_sub_nc_u32_e32 v68, 29, v66
	v_and_b32_e32 v66, 7, v69
; %bb.320:                              ;   in Loop: Header=BB302_16 Depth=1
	s_or_b32 exec_lo, exec_lo, s52
	v_lshlrev_b32_sdwa v3, v23, v3 dst_sel:DWORD dst_unused:UNUSED_PAD src0_sel:DWORD src1_sel:WORD_0
	v_lshl_add_u32 v68, v68, 10, 0x2000
	v_lshlrev_b32_e32 v66, 23, v66
	v_and_or_b32 v3, 0x8000, v3, v68
	v_lshl_or_b32 v66, v3, 16, v66
.LBB302_321:                            ;   in Loop: Header=BB302_16 Depth=1
	s_or_b32 exec_lo, exec_lo, s51
.LBB302_322:                            ;   in Loop: Header=BB302_16 Depth=1
	s_or_b32 exec_lo, exec_lo, s50
.LBB302_323:                            ;   in Loop: Header=BB302_16 Depth=1
	s_or_b32 exec_lo, exec_lo, s49
	v_lshrrev_b32_e32 v3, 16, v12
	v_cmp_ne_u16_sdwa s1, v3, v4 src0_sel:BYTE_0 src1_sel:DWORD
	s_and_saveexec_b32 s49, s1
	s_cbranch_execz .LBB302_331
; %bb.324:                              ;   in Loop: Header=BB302_16 Depth=1
	v_cmp_ne_u16_sdwa s1, v3, v20 src0_sel:BYTE_0 src1_sel:DWORD
	v_mov_b32_e32 v67, 0x8000
	s_and_saveexec_b32 s50, s1
	s_cbranch_execz .LBB302_330
; %bb.325:                              ;   in Loop: Header=BB302_16 Depth=1
	v_bfe_u32 v69, v12, 16, 7
	v_mov_b32_e32 v67, 0x7c01
	s_mov_b32 s51, exec_lo
	v_cmpx_ne_u32_e32 0x7f, v69
	s_cbranch_execz .LBB302_329
; %bb.326:                              ;   in Loop: Header=BB302_16 Depth=1
	v_and_b32_e32 v67, 7, v3
	v_lshrrev_b32_e32 v68, 3, v69
	s_mov_b32 s52, exec_lo
	v_cmpx_gt_u32_e32 8, v69
; %bb.327:                              ;   in Loop: Header=BB302_16 Depth=1
	v_ffbh_u32_e32 v67, v67
	v_min_u32_e32 v69, 32, v67
	v_subrev_nc_u32_e32 v67, 28, v69
	v_lshlrev_b64 v[67:68], v67, v[3:4]
	v_sub_nc_u32_e32 v68, 29, v69
	v_and_b32_e32 v67, 7, v67
; %bb.328:                              ;   in Loop: Header=BB302_16 Depth=1
	s_or_b32 exec_lo, exec_lo, s52
	v_lshlrev_b32_e32 v3, 8, v3
	v_lshl_add_u32 v68, v68, 10, 0x2000
	v_lshlrev_b32_e32 v67, 7, v67
	v_and_b32_e32 v3, 0x8000, v3
	v_and_b32_e32 v68, 0xfc00, v68
	v_or3_b32 v67, v3, v68, v67
.LBB302_329:                            ;   in Loop: Header=BB302_16 Depth=1
	s_or_b32 exec_lo, exec_lo, s51
.LBB302_330:                            ;   in Loop: Header=BB302_16 Depth=1
	s_or_b32 exec_lo, exec_lo, s50
.LBB302_331:                            ;   in Loop: Header=BB302_16 Depth=1
	s_or_b32 exec_lo, exec_lo, s49
	v_mov_b32_e32 v69, 0
	v_mov_b32_e32 v68, 0
	s_mov_b32 s49, exec_lo
	v_cmpx_lt_u64_e64 s[4:5], v[11:12]
	s_cbranch_execz .LBB302_339
; %bb.332:                              ;   in Loop: Header=BB302_16 Depth=1
	v_lshrrev_b32_e32 v3, 24, v12
	v_bfrev_b32_e32 v68, 1
	s_mov_b32 s50, exec_lo
	v_cmpx_ne_u32_e32 0x80, v3
	s_cbranch_execz .LBB302_338
; %bb.333:                              ;   in Loop: Header=BB302_16 Depth=1
	v_and_b32_e32 v70, 0x7f, v3
	v_mov_b32_e32 v68, 0x7c010000
	s_mov_b32 s51, exec_lo
	v_cmpx_ne_u32_e32 0x7f, v70
	s_cbranch_execz .LBB302_337
; %bb.334:                              ;   in Loop: Header=BB302_16 Depth=1
	v_and_b32_e32 v11, 7, v3
	v_lshrrev_b32_e32 v12, 3, v70
	s_mov_b32 s52, exec_lo
	v_cmpx_gt_u32_e32 8, v70
; %bb.335:                              ;   in Loop: Header=BB302_16 Depth=1
	v_ffbh_u32_e32 v11, v11
	v_min_u32_e32 v68, 32, v11
	v_subrev_nc_u32_e32 v11, 28, v68
	v_lshlrev_b64 v[11:12], v11, v[3:4]
	v_sub_nc_u32_e32 v12, 29, v68
	v_and_b32_e32 v11, 7, v11
; %bb.336:                              ;   in Loop: Header=BB302_16 Depth=1
	s_or_b32 exec_lo, exec_lo, s52
	v_lshlrev_b32_e32 v3, 8, v3
	v_lshl_add_u32 v12, v12, 10, 0x2000
	v_lshlrev_b32_e32 v11, 23, v11
	v_and_or_b32 v3, 0x8000, v3, v12
	v_lshl_or_b32 v68, v3, 16, v11
.LBB302_337:                            ;   in Loop: Header=BB302_16 Depth=1
	s_or_b32 exec_lo, exec_lo, s51
.LBB302_338:                            ;   in Loop: Header=BB302_16 Depth=1
	s_or_b32 exec_lo, exec_lo, s50
.LBB302_339:                            ;   in Loop: Header=BB302_16 Depth=1
	s_or_b32 exec_lo, exec_lo, s49
	global_load_dwordx2 v[11:12], v[9:10], off offset:1032
	s_waitcnt vmcnt(0)
	v_cmp_ne_u16_sdwa s1, v11, v4 src0_sel:BYTE_0 src1_sel:DWORD
	s_and_saveexec_b32 s49, s1
	s_cbranch_execz .LBB302_347
; %bb.340:                              ;   in Loop: Header=BB302_16 Depth=1
	v_cmp_ne_u16_sdwa s1, v11, v20 src0_sel:BYTE_0 src1_sel:DWORD
	v_mov_b32_e32 v69, 0x8000
	s_and_saveexec_b32 s50, s1
	s_cbranch_execz .LBB302_346
; %bb.341:                              ;   in Loop: Header=BB302_16 Depth=1
	v_and_b32_e32 v70, 0x7f, v11
	v_mov_b32_e32 v69, 0x7c01
	s_mov_b32 s51, exec_lo
	v_cmpx_ne_u32_e32 0x7f, v70
	s_cbranch_execz .LBB302_345
; %bb.342:                              ;   in Loop: Header=BB302_16 Depth=1
	v_and_b32_e32 v3, 7, v11
	v_lshrrev_b32_e32 v69, 3, v70
	s_mov_b32 s52, exec_lo
	v_cmpx_gt_u32_e32 8, v70
; %bb.343:                              ;   in Loop: Header=BB302_16 Depth=1
	v_ffbh_u32_e32 v3, v3
	v_min_u32_e32 v3, 32, v3
	v_subrev_nc_u32_e32 v69, 28, v3
	v_lshlrev_b64 v[70:71], v69, v[11:12]
	v_sub_nc_u32_e32 v69, 29, v3
	v_and_b32_e32 v3, 7, v70
; %bb.344:                              ;   in Loop: Header=BB302_16 Depth=1
	s_or_b32 exec_lo, exec_lo, s52
	v_lshlrev_b32_e32 v70, 8, v11
	v_lshl_add_u32 v69, v69, 10, 0x2000
	v_lshlrev_b32_e32 v3, 7, v3
	v_and_b32_e32 v70, 0x8000, v70
	v_and_b32_e32 v69, 0xfc00, v69
	v_or3_b32 v69, v70, v69, v3
.LBB302_345:                            ;   in Loop: Header=BB302_16 Depth=1
	s_or_b32 exec_lo, exec_lo, s51
.LBB302_346:                            ;   in Loop: Header=BB302_16 Depth=1
	s_or_b32 exec_lo, exec_lo, s50
.LBB302_347:                            ;   in Loop: Header=BB302_16 Depth=1
	s_or_b32 exec_lo, exec_lo, s49
	v_lshrrev_b16 v3, 8, v11
	v_mov_b32_e32 v76, 0
	v_mov_b32_e32 v70, 0
	s_mov_b32 s49, exec_lo
	v_cmpx_ne_u16_e32 0, v3
	s_cbranch_execz .LBB302_355
; %bb.348:                              ;   in Loop: Header=BB302_16 Depth=1
	v_bfrev_b32_e32 v70, 1
	s_mov_b32 s50, exec_lo
	v_cmpx_ne_u16_e32 0x80, v3
	s_cbranch_execz .LBB302_354
; %bb.349:                              ;   in Loop: Header=BB302_16 Depth=1
	v_and_b32_sdwa v72, v3, v21 dst_sel:DWORD dst_unused:UNUSED_PAD src0_sel:WORD_0 src1_sel:DWORD
	v_mov_b32_e32 v70, 0x7c010000
	s_mov_b32 s51, exec_lo
	v_cmpx_ne_u32_e32 0x7f, v72
	s_cbranch_execz .LBB302_353
; %bb.350:                              ;   in Loop: Header=BB302_16 Depth=1
	v_and_b32_sdwa v70, v3, v22 dst_sel:DWORD dst_unused:UNUSED_PAD src0_sel:WORD_0 src1_sel:DWORD
	v_lshrrev_b32_e32 v71, 3, v72
	s_mov_b32 s52, exec_lo
	v_cmpx_gt_u32_e32 8, v72
; %bb.351:                              ;   in Loop: Header=BB302_16 Depth=1
	v_ffbh_u32_e32 v70, v70
	v_min_u32_e32 v72, 32, v70
	v_subrev_nc_u32_e32 v70, 28, v72
	v_lshlrev_b64 v[70:71], v70, v[3:4]
	v_sub_nc_u32_e32 v71, 29, v72
	v_and_b32_e32 v70, 7, v70
; %bb.352:                              ;   in Loop: Header=BB302_16 Depth=1
	s_or_b32 exec_lo, exec_lo, s52
	v_lshlrev_b32_sdwa v3, v23, v3 dst_sel:DWORD dst_unused:UNUSED_PAD src0_sel:DWORD src1_sel:WORD_0
	v_lshl_add_u32 v71, v71, 10, 0x2000
	v_lshlrev_b32_e32 v70, 23, v70
	v_and_or_b32 v3, 0x8000, v3, v71
	v_lshl_or_b32 v70, v3, 16, v70
.LBB302_353:                            ;   in Loop: Header=BB302_16 Depth=1
	s_or_b32 exec_lo, exec_lo, s51
.LBB302_354:                            ;   in Loop: Header=BB302_16 Depth=1
	s_or_b32 exec_lo, exec_lo, s50
.LBB302_355:                            ;   in Loop: Header=BB302_16 Depth=1
	s_or_b32 exec_lo, exec_lo, s49
	v_lshrrev_b32_e32 v3, 16, v11
	v_cmp_ne_u16_sdwa s1, v3, v4 src0_sel:BYTE_0 src1_sel:DWORD
	s_and_saveexec_b32 s49, s1
	s_cbranch_execz .LBB302_363
; %bb.356:                              ;   in Loop: Header=BB302_16 Depth=1
	v_cmp_ne_u16_sdwa s1, v3, v20 src0_sel:BYTE_0 src1_sel:DWORD
	v_mov_b32_e32 v76, 0x8000
	s_and_saveexec_b32 s50, s1
	s_cbranch_execz .LBB302_362
; %bb.357:                              ;   in Loop: Header=BB302_16 Depth=1
	v_bfe_u32 v73, v11, 16, 7
	v_mov_b32_e32 v76, 0x7c01
	s_mov_b32 s51, exec_lo
	v_cmpx_ne_u32_e32 0x7f, v73
	s_cbranch_execz .LBB302_361
; %bb.358:                              ;   in Loop: Header=BB302_16 Depth=1
	v_and_b32_e32 v71, 7, v3
	v_lshrrev_b32_e32 v72, 3, v73
	s_mov_b32 s52, exec_lo
	v_cmpx_gt_u32_e32 8, v73
; %bb.359:                              ;   in Loop: Header=BB302_16 Depth=1
	v_ffbh_u32_e32 v71, v71
	v_min_u32_e32 v73, 32, v71
	v_subrev_nc_u32_e32 v71, 28, v73
	v_lshlrev_b64 v[71:72], v71, v[3:4]
	v_sub_nc_u32_e32 v72, 29, v73
	v_and_b32_e32 v71, 7, v71
; %bb.360:                              ;   in Loop: Header=BB302_16 Depth=1
	s_or_b32 exec_lo, exec_lo, s52
	v_lshlrev_b32_e32 v3, 8, v3
	v_lshl_add_u32 v72, v72, 10, 0x2000
	v_lshlrev_b32_e32 v71, 7, v71
	v_and_b32_e32 v3, 0x8000, v3
	v_and_b32_e32 v72, 0xfc00, v72
	v_or3_b32 v76, v3, v72, v71
.LBB302_361:                            ;   in Loop: Header=BB302_16 Depth=1
	s_or_b32 exec_lo, exec_lo, s51
.LBB302_362:                            ;   in Loop: Header=BB302_16 Depth=1
	s_or_b32 exec_lo, exec_lo, s50
.LBB302_363:                            ;   in Loop: Header=BB302_16 Depth=1
	s_or_b32 exec_lo, exec_lo, s49
	v_mov_b32_e32 v73, 0
	v_mov_b32_e32 v74, 0
	s_mov_b32 s49, exec_lo
	v_cmpx_lt_u32_e32 0xffffff, v11
	s_cbranch_execz .LBB302_371
; %bb.364:                              ;   in Loop: Header=BB302_16 Depth=1
	v_lshrrev_b32_e32 v3, 24, v11
	v_bfrev_b32_e32 v74, 1
	s_mov_b32 s50, exec_lo
	v_cmpx_ne_u32_e32 0x80, v3
	s_cbranch_execz .LBB302_370
; %bb.365:                              ;   in Loop: Header=BB302_16 Depth=1
	v_and_b32_e32 v75, 0x7f, v3
	v_mov_b32_e32 v74, 0x7c010000
	s_mov_b32 s51, exec_lo
	v_cmpx_ne_u32_e32 0x7f, v75
	s_cbranch_execz .LBB302_369
; %bb.366:                              ;   in Loop: Header=BB302_16 Depth=1
	v_and_b32_e32 v71, 7, v3
	v_lshrrev_b32_e32 v72, 3, v75
	s_mov_b32 s52, exec_lo
	v_cmpx_gt_u32_e32 8, v75
; %bb.367:                              ;   in Loop: Header=BB302_16 Depth=1
	v_ffbh_u32_e32 v71, v71
	v_min_u32_e32 v74, 32, v71
	v_subrev_nc_u32_e32 v71, 28, v74
	v_lshlrev_b64 v[71:72], v71, v[3:4]
	v_sub_nc_u32_e32 v72, 29, v74
	v_and_b32_e32 v71, 7, v71
; %bb.368:                              ;   in Loop: Header=BB302_16 Depth=1
	s_or_b32 exec_lo, exec_lo, s52
	v_lshlrev_b32_e32 v3, 8, v3
	v_lshl_add_u32 v72, v72, 10, 0x2000
	v_lshlrev_b32_e32 v71, 23, v71
	v_and_or_b32 v3, 0x8000, v3, v72
	v_lshl_or_b32 v74, v3, 16, v71
.LBB302_369:                            ;   in Loop: Header=BB302_16 Depth=1
	s_or_b32 exec_lo, exec_lo, s51
.LBB302_370:                            ;   in Loop: Header=BB302_16 Depth=1
	s_or_b32 exec_lo, exec_lo, s50
.LBB302_371:                            ;   in Loop: Header=BB302_16 Depth=1
	s_or_b32 exec_lo, exec_lo, s49
	v_mov_b32_e32 v3, v12
	v_cmp_ne_u16_sdwa s1, v12, v4 src0_sel:BYTE_0 src1_sel:DWORD
	s_and_saveexec_b32 s49, s1
	s_cbranch_execz .LBB302_379
; %bb.372:                              ;   in Loop: Header=BB302_16 Depth=1
	v_cmp_ne_u16_sdwa s1, v12, v20 src0_sel:BYTE_0 src1_sel:DWORD
	v_mov_b32_e32 v73, 0x8000
	s_and_saveexec_b32 s50, s1
	s_cbranch_execz .LBB302_378
; %bb.373:                              ;   in Loop: Header=BB302_16 Depth=1
	v_and_b32_e32 v75, 0x7f, v12
	v_mov_b32_e32 v73, 0x7c01
	s_mov_b32 s51, exec_lo
	v_cmpx_ne_u32_e32 0x7f, v75
	s_cbranch_execz .LBB302_377
; %bb.374:                              ;   in Loop: Header=BB302_16 Depth=1
	v_and_b32_e32 v71, 7, v12
	v_lshrrev_b32_e32 v72, 3, v75
	s_mov_b32 s52, exec_lo
	v_cmpx_gt_u32_e32 8, v75
; %bb.375:                              ;   in Loop: Header=BB302_16 Depth=1
	v_ffbh_u32_e32 v71, v71
	v_min_u32_e32 v73, 32, v71
	v_subrev_nc_u32_e32 v71, 28, v73
	v_lshlrev_b64 v[71:72], v71, v[3:4]
	v_sub_nc_u32_e32 v72, 29, v73
	v_and_b32_e32 v71, 7, v71
; %bb.376:                              ;   in Loop: Header=BB302_16 Depth=1
	s_or_b32 exec_lo, exec_lo, s52
	v_lshlrev_b32_e32 v73, 8, v12
	v_lshl_add_u32 v72, v72, 10, 0x2000
	v_lshlrev_b32_e32 v71, 7, v71
	v_and_b32_e32 v73, 0x8000, v73
	v_and_b32_e32 v72, 0xfc00, v72
	v_or3_b32 v73, v73, v72, v71
.LBB302_377:                            ;   in Loop: Header=BB302_16 Depth=1
	s_or_b32 exec_lo, exec_lo, s51
.LBB302_378:                            ;   in Loop: Header=BB302_16 Depth=1
	s_or_b32 exec_lo, exec_lo, s50
.LBB302_379:                            ;   in Loop: Header=BB302_16 Depth=1
	s_or_b32 exec_lo, exec_lo, s49
	v_lshrrev_b16 v3, 8, v3
	v_mov_b32_e32 v72, 0
	v_mov_b32_e32 v71, 0
	s_mov_b32 s49, exec_lo
	v_cmpx_ne_u16_e32 0, v3
	s_cbranch_execz .LBB302_387
; %bb.380:                              ;   in Loop: Header=BB302_16 Depth=1
	v_bfrev_b32_e32 v71, 1
	s_mov_b32 s50, exec_lo
	v_cmpx_ne_u16_e32 0x80, v3
	s_cbranch_execz .LBB302_386
; %bb.381:                              ;   in Loop: Header=BB302_16 Depth=1
	v_and_b32_sdwa v77, v3, v21 dst_sel:DWORD dst_unused:UNUSED_PAD src0_sel:WORD_0 src1_sel:DWORD
	v_mov_b32_e32 v71, 0x7c010000
	s_mov_b32 s51, exec_lo
	v_cmpx_ne_u32_e32 0x7f, v77
	s_cbranch_execz .LBB302_385
; %bb.382:                              ;   in Loop: Header=BB302_16 Depth=1
	v_and_b32_sdwa v71, v3, v22 dst_sel:DWORD dst_unused:UNUSED_PAD src0_sel:WORD_0 src1_sel:DWORD
	v_lshrrev_b32_e32 v75, 3, v77
	s_mov_b32 s52, exec_lo
	v_cmpx_gt_u32_e32 8, v77
; %bb.383:                              ;   in Loop: Header=BB302_16 Depth=1
	v_ffbh_u32_e32 v71, v71
	v_min_u32_e32 v71, 32, v71
	v_subrev_nc_u32_e32 v75, 28, v71
	v_lshlrev_b64 v[77:78], v75, v[3:4]
	v_sub_nc_u32_e32 v75, 29, v71
	v_and_b32_e32 v71, 7, v77
; %bb.384:                              ;   in Loop: Header=BB302_16 Depth=1
	s_or_b32 exec_lo, exec_lo, s52
	v_lshlrev_b32_sdwa v3, v23, v3 dst_sel:DWORD dst_unused:UNUSED_PAD src0_sel:DWORD src1_sel:WORD_0
	v_lshl_add_u32 v75, v75, 10, 0x2000
	v_lshlrev_b32_e32 v71, 23, v71
	v_and_or_b32 v3, 0x8000, v3, v75
	v_lshl_or_b32 v71, v3, 16, v71
.LBB302_385:                            ;   in Loop: Header=BB302_16 Depth=1
	s_or_b32 exec_lo, exec_lo, s51
.LBB302_386:                            ;   in Loop: Header=BB302_16 Depth=1
	s_or_b32 exec_lo, exec_lo, s50
.LBB302_387:                            ;   in Loop: Header=BB302_16 Depth=1
	s_or_b32 exec_lo, exec_lo, s49
	v_lshrrev_b32_e32 v3, 16, v12
	v_cmp_ne_u16_sdwa s1, v3, v4 src0_sel:BYTE_0 src1_sel:DWORD
	s_and_saveexec_b32 s49, s1
	s_cbranch_execz .LBB302_395
; %bb.388:                              ;   in Loop: Header=BB302_16 Depth=1
	v_cmp_ne_u16_sdwa s1, v3, v20 src0_sel:BYTE_0 src1_sel:DWORD
	v_mov_b32_e32 v72, 0x8000
	s_and_saveexec_b32 s50, s1
	s_cbranch_execz .LBB302_394
; %bb.389:                              ;   in Loop: Header=BB302_16 Depth=1
	v_bfe_u32 v77, v12, 16, 7
	v_mov_b32_e32 v72, 0x7c01
	s_mov_b32 s51, exec_lo
	v_cmpx_ne_u32_e32 0x7f, v77
	s_cbranch_execz .LBB302_393
; %bb.390:                              ;   in Loop: Header=BB302_16 Depth=1
	v_and_b32_e32 v72, 7, v3
	v_lshrrev_b32_e32 v75, 3, v77
	s_mov_b32 s52, exec_lo
	v_cmpx_gt_u32_e32 8, v77
; %bb.391:                              ;   in Loop: Header=BB302_16 Depth=1
	v_ffbh_u32_e32 v72, v72
	v_min_u32_e32 v72, 32, v72
	v_subrev_nc_u32_e32 v75, 28, v72
	v_lshlrev_b64 v[77:78], v75, v[3:4]
	v_sub_nc_u32_e32 v75, 29, v72
	v_and_b32_e32 v72, 7, v77
; %bb.392:                              ;   in Loop: Header=BB302_16 Depth=1
	s_or_b32 exec_lo, exec_lo, s52
	v_lshlrev_b32_e32 v3, 8, v3
	v_lshl_add_u32 v75, v75, 10, 0x2000
	v_lshlrev_b32_e32 v72, 7, v72
	v_and_b32_e32 v3, 0x8000, v3
	v_and_b32_e32 v75, 0xfc00, v75
	v_or3_b32 v72, v3, v75, v72
.LBB302_393:                            ;   in Loop: Header=BB302_16 Depth=1
	s_or_b32 exec_lo, exec_lo, s51
.LBB302_394:                            ;   in Loop: Header=BB302_16 Depth=1
	s_or_b32 exec_lo, exec_lo, s50
.LBB302_395:                            ;   in Loop: Header=BB302_16 Depth=1
	s_or_b32 exec_lo, exec_lo, s49
	v_mov_b32_e32 v83, 0
	v_mov_b32_e32 v75, 0
	s_mov_b32 s49, exec_lo
	v_cmpx_lt_u64_e64 s[4:5], v[11:12]
	s_cbranch_execz .LBB302_403
; %bb.396:                              ;   in Loop: Header=BB302_16 Depth=1
	v_lshrrev_b32_e32 v3, 24, v12
	v_bfrev_b32_e32 v75, 1
	s_mov_b32 s50, exec_lo
	v_cmpx_ne_u32_e32 0x80, v3
	s_cbranch_execz .LBB302_402
; %bb.397:                              ;   in Loop: Header=BB302_16 Depth=1
	v_and_b32_e32 v77, 0x7f, v3
	v_mov_b32_e32 v75, 0x7c010000
	s_mov_b32 s51, exec_lo
	v_cmpx_ne_u32_e32 0x7f, v77
	s_cbranch_execz .LBB302_401
; %bb.398:                              ;   in Loop: Header=BB302_16 Depth=1
	v_and_b32_e32 v11, 7, v3
	v_lshrrev_b32_e32 v12, 3, v77
	s_mov_b32 s52, exec_lo
	v_cmpx_gt_u32_e32 8, v77
; %bb.399:                              ;   in Loop: Header=BB302_16 Depth=1
	v_ffbh_u32_e32 v11, v11
	v_min_u32_e32 v75, 32, v11
	v_subrev_nc_u32_e32 v11, 28, v75
	v_lshlrev_b64 v[11:12], v11, v[3:4]
	v_sub_nc_u32_e32 v12, 29, v75
	v_and_b32_e32 v11, 7, v11
; %bb.400:                              ;   in Loop: Header=BB302_16 Depth=1
	s_or_b32 exec_lo, exec_lo, s52
	v_lshlrev_b32_e32 v3, 8, v3
	v_lshl_add_u32 v12, v12, 10, 0x2000
	v_lshlrev_b32_e32 v11, 23, v11
	v_and_or_b32 v3, 0x8000, v3, v12
	v_lshl_or_b32 v75, v3, 16, v11
.LBB302_401:                            ;   in Loop: Header=BB302_16 Depth=1
	s_or_b32 exec_lo, exec_lo, s51
.LBB302_402:                            ;   in Loop: Header=BB302_16 Depth=1
	s_or_b32 exec_lo, exec_lo, s50
.LBB302_403:                            ;   in Loop: Header=BB302_16 Depth=1
	s_or_b32 exec_lo, exec_lo, s49
	global_load_dwordx2 v[11:12], v[9:10], off offset:1536
	s_waitcnt vmcnt(0)
	v_cmp_ne_u16_sdwa s1, v11, v4 src0_sel:BYTE_0 src1_sel:DWORD
	s_and_saveexec_b32 s49, s1
	s_cbranch_execz .LBB302_411
; %bb.404:                              ;   in Loop: Header=BB302_16 Depth=1
	v_cmp_ne_u16_sdwa s1, v11, v20 src0_sel:BYTE_0 src1_sel:DWORD
	v_mov_b32_e32 v83, 0x8000
	s_and_saveexec_b32 s50, s1
	s_cbranch_execz .LBB302_410
; %bb.405:                              ;   in Loop: Header=BB302_16 Depth=1
	v_and_b32_e32 v78, 0x7f, v11
	v_mov_b32_e32 v83, 0x7c01
	s_mov_b32 s51, exec_lo
	v_cmpx_ne_u32_e32 0x7f, v78
	s_cbranch_execz .LBB302_409
; %bb.406:                              ;   in Loop: Header=BB302_16 Depth=1
	v_and_b32_e32 v3, 7, v11
	v_lshrrev_b32_e32 v77, 3, v78
	s_mov_b32 s52, exec_lo
	v_cmpx_gt_u32_e32 8, v78
; %bb.407:                              ;   in Loop: Header=BB302_16 Depth=1
	v_ffbh_u32_e32 v3, v3
	v_min_u32_e32 v3, 32, v3
	v_subrev_nc_u32_e32 v77, 28, v3
	v_lshlrev_b64 v[78:79], v77, v[11:12]
	v_sub_nc_u32_e32 v77, 29, v3
	v_and_b32_e32 v3, 7, v78
; %bb.408:                              ;   in Loop: Header=BB302_16 Depth=1
	s_or_b32 exec_lo, exec_lo, s52
	v_lshlrev_b32_e32 v78, 8, v11
	v_lshl_add_u32 v77, v77, 10, 0x2000
	v_lshlrev_b32_e32 v3, 7, v3
	v_and_b32_e32 v78, 0x8000, v78
	v_and_b32_e32 v77, 0xfc00, v77
	v_or3_b32 v83, v78, v77, v3
.LBB302_409:                            ;   in Loop: Header=BB302_16 Depth=1
	s_or_b32 exec_lo, exec_lo, s51
.LBB302_410:                            ;   in Loop: Header=BB302_16 Depth=1
	s_or_b32 exec_lo, exec_lo, s50
.LBB302_411:                            ;   in Loop: Header=BB302_16 Depth=1
	s_or_b32 exec_lo, exec_lo, s49
	v_lshrrev_b16 v3, 8, v11
	v_mov_b32_e32 v87, 0
	v_mov_b32_e32 v79, 0
	s_mov_b32 s49, exec_lo
	v_cmpx_ne_u16_e32 0, v3
	s_cbranch_execz .LBB302_419
; %bb.412:                              ;   in Loop: Header=BB302_16 Depth=1
	v_bfrev_b32_e32 v79, 1
	s_mov_b32 s50, exec_lo
	v_cmpx_ne_u16_e32 0x80, v3
	s_cbranch_execz .LBB302_418
; %bb.413:                              ;   in Loop: Header=BB302_16 Depth=1
	v_and_b32_sdwa v80, v3, v21 dst_sel:DWORD dst_unused:UNUSED_PAD src0_sel:WORD_0 src1_sel:DWORD
	v_mov_b32_e32 v79, 0x7c010000
	s_mov_b32 s51, exec_lo
	v_cmpx_ne_u32_e32 0x7f, v80
	s_cbranch_execz .LBB302_417
; %bb.414:                              ;   in Loop: Header=BB302_16 Depth=1
	v_and_b32_sdwa v77, v3, v22 dst_sel:DWORD dst_unused:UNUSED_PAD src0_sel:WORD_0 src1_sel:DWORD
	v_lshrrev_b32_e32 v78, 3, v80
	s_mov_b32 s52, exec_lo
	v_cmpx_gt_u32_e32 8, v80
; %bb.415:                              ;   in Loop: Header=BB302_16 Depth=1
	v_ffbh_u32_e32 v77, v77
	v_min_u32_e32 v79, 32, v77
	v_subrev_nc_u32_e32 v77, 28, v79
	v_lshlrev_b64 v[77:78], v77, v[3:4]
	v_sub_nc_u32_e32 v78, 29, v79
	v_and_b32_e32 v77, 7, v77
; %bb.416:                              ;   in Loop: Header=BB302_16 Depth=1
	s_or_b32 exec_lo, exec_lo, s52
	v_lshlrev_b32_sdwa v3, v23, v3 dst_sel:DWORD dst_unused:UNUSED_PAD src0_sel:DWORD src1_sel:WORD_0
	v_lshl_add_u32 v78, v78, 10, 0x2000
	v_lshlrev_b32_e32 v77, 23, v77
	v_and_or_b32 v3, 0x8000, v3, v78
	v_lshl_or_b32 v79, v3, 16, v77
.LBB302_417:                            ;   in Loop: Header=BB302_16 Depth=1
	s_or_b32 exec_lo, exec_lo, s51
.LBB302_418:                            ;   in Loop: Header=BB302_16 Depth=1
	s_or_b32 exec_lo, exec_lo, s50
.LBB302_419:                            ;   in Loop: Header=BB302_16 Depth=1
	s_or_b32 exec_lo, exec_lo, s49
	v_lshrrev_b32_e32 v3, 16, v11
	v_cmp_ne_u16_sdwa s1, v3, v4 src0_sel:BYTE_0 src1_sel:DWORD
	s_and_saveexec_b32 s49, s1
	s_cbranch_execz .LBB302_427
; %bb.420:                              ;   in Loop: Header=BB302_16 Depth=1
	v_cmp_ne_u16_sdwa s1, v3, v20 src0_sel:BYTE_0 src1_sel:DWORD
	v_mov_b32_e32 v87, 0x8000
	s_and_saveexec_b32 s50, s1
	s_cbranch_execz .LBB302_426
; %bb.421:                              ;   in Loop: Header=BB302_16 Depth=1
	v_bfe_u32 v80, v11, 16, 7
	v_mov_b32_e32 v87, 0x7c01
	s_mov_b32 s51, exec_lo
	v_cmpx_ne_u32_e32 0x7f, v80
	s_cbranch_execz .LBB302_425
; %bb.422:                              ;   in Loop: Header=BB302_16 Depth=1
	v_and_b32_e32 v77, 7, v3
	v_lshrrev_b32_e32 v78, 3, v80
	s_mov_b32 s52, exec_lo
	v_cmpx_gt_u32_e32 8, v80
; %bb.423:                              ;   in Loop: Header=BB302_16 Depth=1
	v_ffbh_u32_e32 v77, v77
	v_min_u32_e32 v80, 32, v77
	v_subrev_nc_u32_e32 v77, 28, v80
	v_lshlrev_b64 v[77:78], v77, v[3:4]
	v_sub_nc_u32_e32 v78, 29, v80
	v_and_b32_e32 v77, 7, v77
; %bb.424:                              ;   in Loop: Header=BB302_16 Depth=1
	s_or_b32 exec_lo, exec_lo, s52
	v_lshlrev_b32_e32 v3, 8, v3
	v_lshl_add_u32 v78, v78, 10, 0x2000
	v_lshlrev_b32_e32 v77, 7, v77
	v_and_b32_e32 v3, 0x8000, v3
	v_and_b32_e32 v78, 0xfc00, v78
	v_or3_b32 v87, v3, v78, v77
.LBB302_425:                            ;   in Loop: Header=BB302_16 Depth=1
	s_or_b32 exec_lo, exec_lo, s51
.LBB302_426:                            ;   in Loop: Header=BB302_16 Depth=1
	s_or_b32 exec_lo, exec_lo, s50
.LBB302_427:                            ;   in Loop: Header=BB302_16 Depth=1
	s_or_b32 exec_lo, exec_lo, s49
	v_mov_b32_e32 v84, 0
	v_mov_b32_e32 v90, 0
	s_mov_b32 s49, exec_lo
	v_cmpx_lt_u32_e32 0xffffff, v11
	s_cbranch_execz .LBB302_435
; %bb.428:                              ;   in Loop: Header=BB302_16 Depth=1
	v_lshrrev_b32_e32 v3, 24, v11
	v_bfrev_b32_e32 v90, 1
	s_mov_b32 s50, exec_lo
	v_cmpx_ne_u32_e32 0x80, v3
	s_cbranch_execz .LBB302_434
; %bb.429:                              ;   in Loop: Header=BB302_16 Depth=1
	v_and_b32_e32 v80, 0x7f, v3
	v_mov_b32_e32 v90, 0x7c010000
	s_mov_b32 s51, exec_lo
	v_cmpx_ne_u32_e32 0x7f, v80
	s_cbranch_execz .LBB302_433
; %bb.430:                              ;   in Loop: Header=BB302_16 Depth=1
	v_and_b32_e32 v77, 7, v3
	v_lshrrev_b32_e32 v78, 3, v80
	s_mov_b32 s52, exec_lo
	v_cmpx_gt_u32_e32 8, v80
; %bb.431:                              ;   in Loop: Header=BB302_16 Depth=1
	v_ffbh_u32_e32 v77, v77
	v_min_u32_e32 v80, 32, v77
	v_subrev_nc_u32_e32 v77, 28, v80
	v_lshlrev_b64 v[77:78], v77, v[3:4]
	v_sub_nc_u32_e32 v78, 29, v80
	v_and_b32_e32 v77, 7, v77
; %bb.432:                              ;   in Loop: Header=BB302_16 Depth=1
	s_or_b32 exec_lo, exec_lo, s52
	v_lshlrev_b32_e32 v3, 8, v3
	v_lshl_add_u32 v78, v78, 10, 0x2000
	v_lshlrev_b32_e32 v77, 23, v77
	v_and_or_b32 v3, 0x8000, v3, v78
	v_lshl_or_b32 v90, v3, 16, v77
.LBB302_433:                            ;   in Loop: Header=BB302_16 Depth=1
	s_or_b32 exec_lo, exec_lo, s51
.LBB302_434:                            ;   in Loop: Header=BB302_16 Depth=1
	s_or_b32 exec_lo, exec_lo, s50
.LBB302_435:                            ;   in Loop: Header=BB302_16 Depth=1
	s_or_b32 exec_lo, exec_lo, s49
	v_mov_b32_e32 v3, v12
	v_cmp_ne_u16_sdwa s1, v12, v4 src0_sel:BYTE_0 src1_sel:DWORD
	s_and_saveexec_b32 s49, s1
	s_cbranch_execz .LBB302_443
; %bb.436:                              ;   in Loop: Header=BB302_16 Depth=1
	v_cmp_ne_u16_sdwa s1, v12, v20 src0_sel:BYTE_0 src1_sel:DWORD
	v_mov_b32_e32 v84, 0x8000
	s_and_saveexec_b32 s50, s1
	s_cbranch_execz .LBB302_442
; %bb.437:                              ;   in Loop: Header=BB302_16 Depth=1
	v_and_b32_e32 v80, 0x7f, v12
	v_mov_b32_e32 v84, 0x7c01
	s_mov_b32 s51, exec_lo
	v_cmpx_ne_u32_e32 0x7f, v80
	s_cbranch_execz .LBB302_441
; %bb.438:                              ;   in Loop: Header=BB302_16 Depth=1
	v_and_b32_e32 v77, 7, v12
	v_lshrrev_b32_e32 v78, 3, v80
	s_mov_b32 s52, exec_lo
	v_cmpx_gt_u32_e32 8, v80
; %bb.439:                              ;   in Loop: Header=BB302_16 Depth=1
	v_ffbh_u32_e32 v77, v77
	v_min_u32_e32 v80, 32, v77
	v_subrev_nc_u32_e32 v77, 28, v80
	v_lshlrev_b64 v[77:78], v77, v[3:4]
	v_sub_nc_u32_e32 v78, 29, v80
	v_and_b32_e32 v77, 7, v77
; %bb.440:                              ;   in Loop: Header=BB302_16 Depth=1
	s_or_b32 exec_lo, exec_lo, s52
	v_lshlrev_b32_e32 v80, 8, v12
	v_lshl_add_u32 v78, v78, 10, 0x2000
	v_lshlrev_b32_e32 v77, 7, v77
	v_and_b32_e32 v80, 0x8000, v80
	v_and_b32_e32 v78, 0xfc00, v78
	v_or3_b32 v84, v80, v78, v77
.LBB302_441:                            ;   in Loop: Header=BB302_16 Depth=1
	s_or_b32 exec_lo, exec_lo, s51
.LBB302_442:                            ;   in Loop: Header=BB302_16 Depth=1
	s_or_b32 exec_lo, exec_lo, s50
.LBB302_443:                            ;   in Loop: Header=BB302_16 Depth=1
	s_or_b32 exec_lo, exec_lo, s49
	v_lshrrev_b16 v3, 8, v3
	v_mov_b32_e32 v88, 0
	v_mov_b32_e32 v82, 0
	s_mov_b32 s49, exec_lo
	v_cmpx_ne_u16_e32 0, v3
	s_cbranch_execz .LBB302_451
; %bb.444:                              ;   in Loop: Header=BB302_16 Depth=1
	v_bfrev_b32_e32 v82, 1
	s_mov_b32 s50, exec_lo
	v_cmpx_ne_u16_e32 0x80, v3
	s_cbranch_execz .LBB302_450
; %bb.445:                              ;   in Loop: Header=BB302_16 Depth=1
	v_and_b32_sdwa v80, v3, v21 dst_sel:DWORD dst_unused:UNUSED_PAD src0_sel:WORD_0 src1_sel:DWORD
	v_mov_b32_e32 v82, 0x7c010000
	s_mov_b32 s51, exec_lo
	v_cmpx_ne_u32_e32 0x7f, v80
	s_cbranch_execz .LBB302_449
; %bb.446:                              ;   in Loop: Header=BB302_16 Depth=1
	v_and_b32_sdwa v77, v3, v22 dst_sel:DWORD dst_unused:UNUSED_PAD src0_sel:WORD_0 src1_sel:DWORD
	v_lshrrev_b32_e32 v78, 3, v80
	s_mov_b32 s52, exec_lo
	v_cmpx_gt_u32_e32 8, v80
; %bb.447:                              ;   in Loop: Header=BB302_16 Depth=1
	v_ffbh_u32_e32 v77, v77
	v_min_u32_e32 v80, 32, v77
	v_subrev_nc_u32_e32 v77, 28, v80
	v_lshlrev_b64 v[77:78], v77, v[3:4]
	v_sub_nc_u32_e32 v78, 29, v80
	v_and_b32_e32 v77, 7, v77
; %bb.448:                              ;   in Loop: Header=BB302_16 Depth=1
	s_or_b32 exec_lo, exec_lo, s52
	v_lshlrev_b32_sdwa v3, v23, v3 dst_sel:DWORD dst_unused:UNUSED_PAD src0_sel:DWORD src1_sel:WORD_0
	v_lshl_add_u32 v78, v78, 10, 0x2000
	v_lshlrev_b32_e32 v77, 23, v77
	v_and_or_b32 v3, 0x8000, v3, v78
	v_lshl_or_b32 v82, v3, 16, v77
.LBB302_449:                            ;   in Loop: Header=BB302_16 Depth=1
	s_or_b32 exec_lo, exec_lo, s51
.LBB302_450:                            ;   in Loop: Header=BB302_16 Depth=1
	s_or_b32 exec_lo, exec_lo, s50
.LBB302_451:                            ;   in Loop: Header=BB302_16 Depth=1
	s_or_b32 exec_lo, exec_lo, s49
	v_lshrrev_b32_e32 v3, 16, v12
	v_cmp_ne_u16_sdwa s1, v3, v4 src0_sel:BYTE_0 src1_sel:DWORD
	s_and_saveexec_b32 s49, s1
	s_cbranch_execz .LBB302_459
; %bb.452:                              ;   in Loop: Header=BB302_16 Depth=1
	v_cmp_ne_u16_sdwa s1, v3, v20 src0_sel:BYTE_0 src1_sel:DWORD
	v_mov_b32_e32 v88, 0x8000
	s_and_saveexec_b32 s50, s1
	s_cbranch_execz .LBB302_458
; %bb.453:                              ;   in Loop: Header=BB302_16 Depth=1
	v_bfe_u32 v80, v12, 16, 7
	v_mov_b32_e32 v88, 0x7c01
	s_mov_b32 s51, exec_lo
	v_cmpx_ne_u32_e32 0x7f, v80
	s_cbranch_execz .LBB302_457
; %bb.454:                              ;   in Loop: Header=BB302_16 Depth=1
	v_and_b32_e32 v77, 7, v3
	v_lshrrev_b32_e32 v78, 3, v80
	s_mov_b32 s52, exec_lo
	v_cmpx_gt_u32_e32 8, v80
; %bb.455:                              ;   in Loop: Header=BB302_16 Depth=1
	v_ffbh_u32_e32 v77, v77
	v_min_u32_e32 v80, 32, v77
	v_subrev_nc_u32_e32 v77, 28, v80
	v_lshlrev_b64 v[77:78], v77, v[3:4]
	v_sub_nc_u32_e32 v78, 29, v80
	v_and_b32_e32 v77, 7, v77
; %bb.456:                              ;   in Loop: Header=BB302_16 Depth=1
	s_or_b32 exec_lo, exec_lo, s52
	v_lshlrev_b32_e32 v3, 8, v3
	v_lshl_add_u32 v78, v78, 10, 0x2000
	v_lshlrev_b32_e32 v77, 7, v77
	v_and_b32_e32 v3, 0x8000, v3
	v_and_b32_e32 v78, 0xfc00, v78
	v_or3_b32 v88, v3, v78, v77
.LBB302_457:                            ;   in Loop: Header=BB302_16 Depth=1
	s_or_b32 exec_lo, exec_lo, s51
.LBB302_458:                            ;   in Loop: Header=BB302_16 Depth=1
	s_or_b32 exec_lo, exec_lo, s50
.LBB302_459:                            ;   in Loop: Header=BB302_16 Depth=1
	s_or_b32 exec_lo, exec_lo, s49
	v_cmp_lt_u64_e64 s1, s[4:5], v[11:12]
	v_mov_b32_e32 v11, 0
	v_mov_b32_e32 v78, 0
	s_and_saveexec_b32 s49, s1
	s_cbranch_execz .LBB302_467
; %bb.460:                              ;   in Loop: Header=BB302_16 Depth=1
	v_lshrrev_b32_e32 v3, 24, v12
	v_bfrev_b32_e32 v78, 1
	s_mov_b32 s50, exec_lo
	v_cmpx_ne_u32_e32 0x80, v3
	s_cbranch_execz .LBB302_466
; %bb.461:                              ;   in Loop: Header=BB302_16 Depth=1
	v_and_b32_e32 v80, 0x7f, v3
	v_mov_b32_e32 v78, 0x7c010000
	s_mov_b32 s51, exec_lo
	v_cmpx_ne_u32_e32 0x7f, v80
	s_cbranch_execz .LBB302_465
; %bb.462:                              ;   in Loop: Header=BB302_16 Depth=1
	v_and_b32_e32 v12, 7, v3
	v_lshrrev_b32_e32 v77, 3, v80
	s_mov_b32 s52, exec_lo
	v_cmpx_gt_u32_e32 8, v80
; %bb.463:                              ;   in Loop: Header=BB302_16 Depth=1
	v_ffbh_u32_e32 v12, v12
	v_min_u32_e32 v12, 32, v12
	v_subrev_nc_u32_e32 v77, 28, v12
	v_lshlrev_b64 v[80:81], v77, v[3:4]
	v_sub_nc_u32_e32 v77, 29, v12
	v_and_b32_e32 v12, 7, v80
; %bb.464:                              ;   in Loop: Header=BB302_16 Depth=1
	s_or_b32 exec_lo, exec_lo, s52
	v_lshlrev_b32_e32 v3, 8, v3
	v_lshl_add_u32 v77, v77, 10, 0x2000
	v_lshlrev_b32_e32 v12, 23, v12
	v_and_or_b32 v3, 0x8000, v3, v77
	v_lshl_or_b32 v78, v3, 16, v12
.LBB302_465:                            ;   in Loop: Header=BB302_16 Depth=1
	s_or_b32 exec_lo, exec_lo, s51
.LBB302_466:                            ;   in Loop: Header=BB302_16 Depth=1
	s_or_b32 exec_lo, exec_lo, s50
.LBB302_467:                            ;   in Loop: Header=BB302_16 Depth=1
	s_or_b32 exec_lo, exec_lo, s49
	global_load_dwordx2 v[9:10], v[9:10], off offset:1544
	s_waitcnt vmcnt(0)
	v_cmp_ne_u16_sdwa s1, v9, v4 src0_sel:BYTE_0 src1_sel:DWORD
	s_and_saveexec_b32 s49, s1
	s_cbranch_execz .LBB302_475
; %bb.468:                              ;   in Loop: Header=BB302_16 Depth=1
	v_cmp_ne_u16_sdwa s1, v9, v20 src0_sel:BYTE_0 src1_sel:DWORD
	v_mov_b32_e32 v11, 0x8000
	s_and_saveexec_b32 s50, s1
	s_cbranch_execz .LBB302_474
; %bb.469:                              ;   in Loop: Header=BB302_16 Depth=1
	v_and_b32_e32 v12, 0x7f, v9
	v_mov_b32_e32 v11, 0x7c01
	s_mov_b32 s51, exec_lo
	v_cmpx_ne_u32_e32 0x7f, v12
	s_cbranch_execz .LBB302_473
; %bb.470:                              ;   in Loop: Header=BB302_16 Depth=1
	v_and_b32_e32 v3, 7, v9
	v_lshrrev_b32_e32 v11, 3, v12
	s_mov_b32 s52, exec_lo
	v_cmpx_gt_u32_e32 8, v12
; %bb.471:                              ;   in Loop: Header=BB302_16 Depth=1
	v_ffbh_u32_e32 v3, v3
	v_min_u32_e32 v3, 32, v3
	v_subrev_nc_u32_e32 v11, 28, v3
	v_lshlrev_b64 v[80:81], v11, v[9:10]
	v_sub_nc_u32_e32 v11, 29, v3
	v_and_b32_e32 v3, 7, v80
; %bb.472:                              ;   in Loop: Header=BB302_16 Depth=1
	s_or_b32 exec_lo, exec_lo, s52
	v_lshlrev_b32_e32 v12, 8, v9
	v_lshl_add_u32 v11, v11, 10, 0x2000
	v_lshlrev_b32_e32 v3, 7, v3
	v_and_b32_e32 v12, 0x8000, v12
	v_and_b32_e32 v11, 0xfc00, v11
	v_or3_b32 v11, v12, v11, v3
.LBB302_473:                            ;   in Loop: Header=BB302_16 Depth=1
	s_or_b32 exec_lo, exec_lo, s51
.LBB302_474:                            ;   in Loop: Header=BB302_16 Depth=1
	s_or_b32 exec_lo, exec_lo, s50
.LBB302_475:                            ;   in Loop: Header=BB302_16 Depth=1
	s_or_b32 exec_lo, exec_lo, s49
	v_lshrrev_b16 v3, 8, v9
	v_mov_b32_e32 v77, 0
	v_mov_b32_e32 v12, 0
	s_mov_b32 s49, exec_lo
	v_cmpx_ne_u16_e32 0, v3
	s_cbranch_execz .LBB302_483
; %bb.476:                              ;   in Loop: Header=BB302_16 Depth=1
	v_bfrev_b32_e32 v12, 1
	s_mov_b32 s50, exec_lo
	v_cmpx_ne_u16_e32 0x80, v3
	s_cbranch_execz .LBB302_482
; %bb.477:                              ;   in Loop: Header=BB302_16 Depth=1
	v_and_b32_sdwa v81, v3, v21 dst_sel:DWORD dst_unused:UNUSED_PAD src0_sel:WORD_0 src1_sel:DWORD
	v_mov_b32_e32 v12, 0x7c010000
	s_mov_b32 s51, exec_lo
	v_cmpx_ne_u32_e32 0x7f, v81
	s_cbranch_execz .LBB302_481
; %bb.478:                              ;   in Loop: Header=BB302_16 Depth=1
	v_and_b32_sdwa v12, v3, v22 dst_sel:DWORD dst_unused:UNUSED_PAD src0_sel:WORD_0 src1_sel:DWORD
	v_lshrrev_b32_e32 v80, 3, v81
	s_mov_b32 s52, exec_lo
	v_cmpx_gt_u32_e32 8, v81
; %bb.479:                              ;   in Loop: Header=BB302_16 Depth=1
	v_ffbh_u32_e32 v12, v12
	v_min_u32_e32 v12, 32, v12
	v_subrev_nc_u32_e32 v80, 28, v12
	v_lshlrev_b64 v[85:86], v80, v[3:4]
	v_sub_nc_u32_e32 v80, 29, v12
	v_and_b32_e32 v12, 7, v85
; %bb.480:                              ;   in Loop: Header=BB302_16 Depth=1
	s_or_b32 exec_lo, exec_lo, s52
	v_lshlrev_b32_sdwa v3, v23, v3 dst_sel:DWORD dst_unused:UNUSED_PAD src0_sel:DWORD src1_sel:WORD_0
	v_lshl_add_u32 v80, v80, 10, 0x2000
	v_lshlrev_b32_e32 v12, 23, v12
	v_and_or_b32 v3, 0x8000, v3, v80
	v_lshl_or_b32 v12, v3, 16, v12
.LBB302_481:                            ;   in Loop: Header=BB302_16 Depth=1
	s_or_b32 exec_lo, exec_lo, s51
.LBB302_482:                            ;   in Loop: Header=BB302_16 Depth=1
	s_or_b32 exec_lo, exec_lo, s50
.LBB302_483:                            ;   in Loop: Header=BB302_16 Depth=1
	s_or_b32 exec_lo, exec_lo, s49
	v_lshrrev_b32_e32 v3, 16, v9
	v_cmp_ne_u16_sdwa s1, v3, v4 src0_sel:BYTE_0 src1_sel:DWORD
	s_and_saveexec_b32 s49, s1
	s_cbranch_execz .LBB302_491
; %bb.484:                              ;   in Loop: Header=BB302_16 Depth=1
	v_cmp_ne_u16_sdwa s1, v3, v20 src0_sel:BYTE_0 src1_sel:DWORD
	v_mov_b32_e32 v77, 0x8000
	s_and_saveexec_b32 s50, s1
	s_cbranch_execz .LBB302_490
; %bb.485:                              ;   in Loop: Header=BB302_16 Depth=1
	v_bfe_u32 v81, v9, 16, 7
	v_mov_b32_e32 v77, 0x7c01
	s_mov_b32 s51, exec_lo
	v_cmpx_ne_u32_e32 0x7f, v81
	s_cbranch_execz .LBB302_489
; %bb.486:                              ;   in Loop: Header=BB302_16 Depth=1
	v_and_b32_e32 v77, 7, v3
	v_lshrrev_b32_e32 v80, 3, v81
	s_mov_b32 s52, exec_lo
	v_cmpx_gt_u32_e32 8, v81
; %bb.487:                              ;   in Loop: Header=BB302_16 Depth=1
	v_ffbh_u32_e32 v77, v77
	v_min_u32_e32 v77, 32, v77
	v_subrev_nc_u32_e32 v80, 28, v77
	v_lshlrev_b64 v[85:86], v80, v[3:4]
	v_sub_nc_u32_e32 v80, 29, v77
	v_and_b32_e32 v77, 7, v85
; %bb.488:                              ;   in Loop: Header=BB302_16 Depth=1
	s_or_b32 exec_lo, exec_lo, s52
	v_lshlrev_b32_e32 v3, 8, v3
	v_lshl_add_u32 v80, v80, 10, 0x2000
	v_lshlrev_b32_e32 v77, 7, v77
	v_and_b32_e32 v3, 0x8000, v3
	v_and_b32_e32 v80, 0xfc00, v80
	v_or3_b32 v77, v3, v80, v77
.LBB302_489:                            ;   in Loop: Header=BB302_16 Depth=1
	s_or_b32 exec_lo, exec_lo, s51
.LBB302_490:                            ;   in Loop: Header=BB302_16 Depth=1
	s_or_b32 exec_lo, exec_lo, s50
.LBB302_491:                            ;   in Loop: Header=BB302_16 Depth=1
	s_or_b32 exec_lo, exec_lo, s49
	v_mov_b32_e32 v80, 0
	v_mov_b32_e32 v81, 0
	s_mov_b32 s49, exec_lo
	v_cmpx_lt_u32_e32 0xffffff, v9
	s_cbranch_execz .LBB302_499
; %bb.492:                              ;   in Loop: Header=BB302_16 Depth=1
	v_lshrrev_b32_e32 v3, 24, v9
	v_bfrev_b32_e32 v81, 1
	s_mov_b32 s50, exec_lo
	v_cmpx_ne_u32_e32 0x80, v3
	s_cbranch_execz .LBB302_498
; %bb.493:                              ;   in Loop: Header=BB302_16 Depth=1
	v_and_b32_e32 v86, 0x7f, v3
	v_mov_b32_e32 v81, 0x7c010000
	s_mov_b32 s51, exec_lo
	v_cmpx_ne_u32_e32 0x7f, v86
	s_cbranch_execz .LBB302_497
; %bb.494:                              ;   in Loop: Header=BB302_16 Depth=1
	v_and_b32_e32 v81, 7, v3
	v_lshrrev_b32_e32 v85, 3, v86
	s_mov_b32 s52, exec_lo
	v_cmpx_gt_u32_e32 8, v86
; %bb.495:                              ;   in Loop: Header=BB302_16 Depth=1
	v_ffbh_u32_e32 v81, v81
	v_min_u32_e32 v81, 32, v81
	v_subrev_nc_u32_e32 v85, 28, v81
	v_lshlrev_b64 v[91:92], v85, v[3:4]
	v_sub_nc_u32_e32 v85, 29, v81
	v_and_b32_e32 v81, 7, v91
; %bb.496:                              ;   in Loop: Header=BB302_16 Depth=1
	s_or_b32 exec_lo, exec_lo, s52
	v_lshlrev_b32_e32 v3, 8, v3
	v_lshl_add_u32 v85, v85, 10, 0x2000
	v_lshlrev_b32_e32 v81, 23, v81
	v_and_or_b32 v3, 0x8000, v3, v85
	v_lshl_or_b32 v81, v3, 16, v81
.LBB302_497:                            ;   in Loop: Header=BB302_16 Depth=1
	s_or_b32 exec_lo, exec_lo, s51
.LBB302_498:                            ;   in Loop: Header=BB302_16 Depth=1
	s_or_b32 exec_lo, exec_lo, s50
.LBB302_499:                            ;   in Loop: Header=BB302_16 Depth=1
	s_or_b32 exec_lo, exec_lo, s49
	v_mov_b32_e32 v3, v10
	v_cmp_ne_u16_sdwa s1, v10, v4 src0_sel:BYTE_0 src1_sel:DWORD
	s_and_saveexec_b32 s49, s1
	s_cbranch_execz .LBB302_507
; %bb.500:                              ;   in Loop: Header=BB302_16 Depth=1
	v_cmp_ne_u16_sdwa s1, v10, v20 src0_sel:BYTE_0 src1_sel:DWORD
	v_mov_b32_e32 v80, 0x8000
	s_and_saveexec_b32 s50, s1
	s_cbranch_execz .LBB302_506
; %bb.501:                              ;   in Loop: Header=BB302_16 Depth=1
	v_and_b32_e32 v86, 0x7f, v10
	v_mov_b32_e32 v80, 0x7c01
	s_mov_b32 s51, exec_lo
	v_cmpx_ne_u32_e32 0x7f, v86
	s_cbranch_execz .LBB302_505
; %bb.502:                              ;   in Loop: Header=BB302_16 Depth=1
	v_and_b32_e32 v80, 7, v10
	v_lshrrev_b32_e32 v85, 3, v86
	s_mov_b32 s52, exec_lo
	v_cmpx_gt_u32_e32 8, v86
; %bb.503:                              ;   in Loop: Header=BB302_16 Depth=1
	v_ffbh_u32_e32 v80, v80
	v_min_u32_e32 v80, 32, v80
	v_subrev_nc_u32_e32 v85, 28, v80
	v_lshlrev_b64 v[91:92], v85, v[3:4]
	v_sub_nc_u32_e32 v85, 29, v80
	v_and_b32_e32 v80, 7, v91
; %bb.504:                              ;   in Loop: Header=BB302_16 Depth=1
	s_or_b32 exec_lo, exec_lo, s52
	v_lshlrev_b32_e32 v86, 8, v10
	v_lshl_add_u32 v85, v85, 10, 0x2000
	v_lshlrev_b32_e32 v80, 7, v80
	v_and_b32_e32 v86, 0x8000, v86
	v_and_b32_e32 v85, 0xfc00, v85
	v_or3_b32 v80, v86, v85, v80
.LBB302_505:                            ;   in Loop: Header=BB302_16 Depth=1
	s_or_b32 exec_lo, exec_lo, s51
.LBB302_506:                            ;   in Loop: Header=BB302_16 Depth=1
	s_or_b32 exec_lo, exec_lo, s50
.LBB302_507:                            ;   in Loop: Header=BB302_16 Depth=1
	s_or_b32 exec_lo, exec_lo, s49
	v_lshrrev_b16 v3, 8, v3
	v_mov_b32_e32 v86, 0
	v_mov_b32_e32 v85, 0
	s_mov_b32 s49, exec_lo
	v_cmpx_ne_u16_e32 0, v3
	s_cbranch_execz .LBB302_515
; %bb.508:                              ;   in Loop: Header=BB302_16 Depth=1
	v_bfrev_b32_e32 v85, 1
	s_mov_b32 s50, exec_lo
	v_cmpx_ne_u16_e32 0x80, v3
	s_cbranch_execz .LBB302_514
; %bb.509:                              ;   in Loop: Header=BB302_16 Depth=1
	v_and_b32_sdwa v91, v3, v21 dst_sel:DWORD dst_unused:UNUSED_PAD src0_sel:WORD_0 src1_sel:DWORD
	v_mov_b32_e32 v85, 0x7c010000
	s_mov_b32 s51, exec_lo
	v_cmpx_ne_u32_e32 0x7f, v91
	s_cbranch_execz .LBB302_513
; %bb.510:                              ;   in Loop: Header=BB302_16 Depth=1
	v_and_b32_sdwa v85, v3, v22 dst_sel:DWORD dst_unused:UNUSED_PAD src0_sel:WORD_0 src1_sel:DWORD
	v_lshrrev_b32_e32 v89, 3, v91
	s_mov_b32 s52, exec_lo
	v_cmpx_gt_u32_e32 8, v91
; %bb.511:                              ;   in Loop: Header=BB302_16 Depth=1
	v_ffbh_u32_e32 v85, v85
	v_min_u32_e32 v85, 32, v85
	v_subrev_nc_u32_e32 v89, 28, v85
	v_lshlrev_b64 v[91:92], v89, v[3:4]
	v_sub_nc_u32_e32 v89, 29, v85
	v_and_b32_e32 v85, 7, v91
; %bb.512:                              ;   in Loop: Header=BB302_16 Depth=1
	s_or_b32 exec_lo, exec_lo, s52
	v_lshlrev_b32_sdwa v3, v23, v3 dst_sel:DWORD dst_unused:UNUSED_PAD src0_sel:DWORD src1_sel:WORD_0
	v_lshl_add_u32 v89, v89, 10, 0x2000
	v_lshlrev_b32_e32 v85, 23, v85
	v_and_or_b32 v3, 0x8000, v3, v89
	v_lshl_or_b32 v85, v3, 16, v85
.LBB302_513:                            ;   in Loop: Header=BB302_16 Depth=1
	s_or_b32 exec_lo, exec_lo, s51
.LBB302_514:                            ;   in Loop: Header=BB302_16 Depth=1
	s_or_b32 exec_lo, exec_lo, s50
.LBB302_515:                            ;   in Loop: Header=BB302_16 Depth=1
	s_or_b32 exec_lo, exec_lo, s49
	v_lshrrev_b32_e32 v3, 16, v10
	v_cmp_ne_u16_sdwa s1, v3, v4 src0_sel:BYTE_0 src1_sel:DWORD
	s_and_saveexec_b32 s49, s1
	s_cbranch_execz .LBB302_523
; %bb.516:                              ;   in Loop: Header=BB302_16 Depth=1
	v_cmp_ne_u16_sdwa s1, v3, v20 src0_sel:BYTE_0 src1_sel:DWORD
	v_mov_b32_e32 v86, 0x8000
	s_and_saveexec_b32 s50, s1
	s_cbranch_execz .LBB302_522
; %bb.517:                              ;   in Loop: Header=BB302_16 Depth=1
	v_bfe_u32 v91, v10, 16, 7
	v_mov_b32_e32 v86, 0x7c01
	s_mov_b32 s51, exec_lo
	v_cmpx_ne_u32_e32 0x7f, v91
	s_cbranch_execz .LBB302_521
; %bb.518:                              ;   in Loop: Header=BB302_16 Depth=1
	v_and_b32_e32 v86, 7, v3
	v_lshrrev_b32_e32 v89, 3, v91
	s_mov_b32 s52, exec_lo
	v_cmpx_gt_u32_e32 8, v91
; %bb.519:                              ;   in Loop: Header=BB302_16 Depth=1
	v_ffbh_u32_e32 v86, v86
	v_min_u32_e32 v86, 32, v86
	v_subrev_nc_u32_e32 v89, 28, v86
	v_lshlrev_b64 v[91:92], v89, v[3:4]
	v_sub_nc_u32_e32 v89, 29, v86
	v_and_b32_e32 v86, 7, v91
; %bb.520:                              ;   in Loop: Header=BB302_16 Depth=1
	s_or_b32 exec_lo, exec_lo, s52
	v_lshlrev_b32_e32 v3, 8, v3
	v_lshl_add_u32 v89, v89, 10, 0x2000
	v_lshlrev_b32_e32 v86, 7, v86
	v_and_b32_e32 v3, 0x8000, v3
	v_and_b32_e32 v89, 0xfc00, v89
	v_or3_b32 v86, v3, v89, v86
.LBB302_521:                            ;   in Loop: Header=BB302_16 Depth=1
	s_or_b32 exec_lo, exec_lo, s51
.LBB302_522:                            ;   in Loop: Header=BB302_16 Depth=1
	s_or_b32 exec_lo, exec_lo, s50
.LBB302_523:                            ;   in Loop: Header=BB302_16 Depth=1
	s_or_b32 exec_lo, exec_lo, s49
	v_mov_b32_e32 v89, 0
	s_mov_b32 s49, exec_lo
	v_cmpx_lt_u64_e64 s[4:5], v[9:10]
	s_cbranch_execz .LBB302_14
; %bb.524:                              ;   in Loop: Header=BB302_16 Depth=1
	v_lshrrev_b32_e32 v3, 24, v10
	v_bfrev_b32_e32 v89, 1
	s_mov_b32 s50, exec_lo
	v_cmpx_ne_u32_e32 0x80, v3
	s_cbranch_execz .LBB302_13
; %bb.525:                              ;   in Loop: Header=BB302_16 Depth=1
	v_and_b32_e32 v91, 0x7f, v3
	v_mov_b32_e32 v89, 0x7c010000
	s_mov_b32 s51, exec_lo
	v_cmpx_ne_u32_e32 0x7f, v91
	s_cbranch_execz .LBB302_12
; %bb.526:                              ;   in Loop: Header=BB302_16 Depth=1
	v_and_b32_e32 v9, 7, v3
	v_lshrrev_b32_e32 v10, 3, v91
	s_mov_b32 s52, exec_lo
	v_cmpx_gt_u32_e32 8, v91
	s_cbranch_execz .LBB302_11
; %bb.527:                              ;   in Loop: Header=BB302_16 Depth=1
	v_ffbh_u32_e32 v9, v9
	v_min_u32_e32 v89, 32, v9
	v_subrev_nc_u32_e32 v9, 28, v89
	v_lshlrev_b64 v[9:10], v9, v[3:4]
	v_sub_nc_u32_e32 v10, 29, v89
	v_and_b32_e32 v9, 7, v9
	s_branch .LBB302_11
.LBB302_528:
	s_or_b32 exec_lo, exec_lo, s48
.LBB302_529:
	s_or_b32 exec_lo, exec_lo, s44
	v_mbcnt_lo_u32_b32 v3, -1, 0
	v_max_f32_e32 v7, v17, v17
	v_xor_b32_e32 v4, 16, v3
	v_xor_b32_e32 v6, 8, v3
	v_cmp_gt_i32_e32 vcc_lo, 32, v4
	v_cndmask_b32_e32 v4, v3, v4, vcc_lo
	v_cmp_gt_i32_e32 vcc_lo, 32, v6
	v_lshlrev_b32_e32 v4, 2, v4
	v_cndmask_b32_e32 v6, v3, v6, vcc_lo
	ds_bpermute_b32 v5, v4, v17
	s_waitcnt lgkmcnt(0)
	v_max_f32_e32 v8, v5, v5
	v_lshlrev_b32_e32 v5, 2, v6
	v_max_f32_e32 v6, v7, v8
	v_xor_b32_e32 v8, 4, v3
	ds_bpermute_b32 v7, v5, v6
	v_cmp_gt_i32_e32 vcc_lo, 32, v8
	v_cndmask_b32_e32 v8, v3, v8, vcc_lo
	s_waitcnt lgkmcnt(0)
	v_max_f32_e32 v9, v7, v7
	v_lshlrev_b32_e32 v7, 2, v8
	v_max_f32_e32 v6, v6, v9
	v_xor_b32_e32 v9, 2, v3
	ds_bpermute_b32 v8, v7, v6
	v_cmp_gt_i32_e32 vcc_lo, 32, v9
	v_cndmask_b32_e32 v9, v3, v9, vcc_lo
	v_lshlrev_b32_e32 v17, 2, v9
	v_xor_b32_e32 v9, 1, v3
	v_cmp_gt_i32_e32 vcc_lo, 32, v9
	s_waitcnt lgkmcnt(0)
	v_max_f32_e32 v8, v8, v8
	v_cndmask_b32_e32 v9, v3, v9, vcc_lo
	v_cmp_eq_u32_e32 vcc_lo, 0, v14
	v_max_f32_e32 v6, v6, v8
	v_lshlrev_b32_e32 v12, 2, v9
	ds_bpermute_b32 v8, v17, v6
	s_waitcnt lgkmcnt(0)
	v_max_f32_e32 v8, v8, v8
	v_max_f32_e32 v3, v6, v8
	v_lshlrev_b32_e32 v8, 2, v13
	ds_bpermute_b32 v6, v12, v3
	s_and_saveexec_b32 s1, vcc_lo
	s_cbranch_execz .LBB302_531
; %bb.530:
	s_waitcnt lgkmcnt(0)
	v_max_f32_e32 v6, v6, v6
	v_max_f32_e32 v3, v3, v3
	;; [unrolled: 1-line block ×3, first 2 shown]
	ds_write_b32 v8, v3 offset:128
.LBB302_531:
	s_or_b32 exec_lo, exec_lo, s1
	v_cmp_gt_u32_e64 s1, 4, v14
	v_mov_b32_e32 v3, 0xff7fffff
	s_waitcnt lgkmcnt(0)
	s_barrier
	buffer_gl0_inv
	s_and_saveexec_b32 s2, s1
; %bb.532:
	ds_read_b32 v3, v16 offset:128
; %bb.533:
	s_or_b32 exec_lo, exec_lo, s2
	s_waitcnt lgkmcnt(0)
	ds_bpermute_b32 v6, v17, v3
	v_max_f32_e32 v3, v3, v3
	v_mov_b32_e32 v9, 0
	s_sub_i32 s2, s20, s43
	s_lshl_b32 s2, s2, 5
	s_add_i32 s2, s2, s40
	s_min_i32 s2, s2, s31
	s_sub_i32 s4, s2, s40
	v_cmp_gt_i32_e64 s2, s4, v0
	s_waitcnt lgkmcnt(0)
	v_max_f32_e32 v6, v6, v6
	v_max_f32_e32 v3, v3, v6
	ds_bpermute_b32 v6, v12, v3
	s_waitcnt lgkmcnt(0)
	v_max_f32_e32 v6, v6, v6
	v_max_f32_e32 v3, v3, v6
	v_lshl_add_u32 v6, v0, 2, 0xa0
	ds_bpermute_b32 v3, v9, v3
	s_and_saveexec_b32 s5, s2
	s_cbranch_execz .LBB302_537
; %bb.534:
	v_lshl_add_u32 v10, v0, 2, 0xa0
	v_mov_b32_e32 v9, 0
	v_mov_b32_e32 v11, v0
	s_mov_b32 s12, 0
	.p2align	6
.LBB302_535:                            ; =>This Inner Loop Header: Depth=1
	ds_read_b32 v18, v10
	v_add_nc_u32_e32 v11, 0x80, v11
	v_cmp_le_i32_e64 s3, s4, v11
	s_or_b32 s12, s3, s12
	s_waitcnt lgkmcnt(0)
	v_sub_f32_e32 v18, v18, v3
	v_mul_f32_e32 v18, 0x3fb8aa3b, v18
	v_exp_f32_e32 v18, v18
	ds_write_b32 v10, v18
	v_add_f32_e32 v9, v9, v18
	v_add_nc_u32_e32 v10, 0x200, v10
	s_andn2_b32 exec_lo, exec_lo, s12
	s_cbranch_execnz .LBB302_535
; %bb.536:
	s_or_b32 exec_lo, exec_lo, s12
.LBB302_537:
	s_or_b32 exec_lo, exec_lo, s5
	ds_bpermute_b32 v4, v4, v9
	s_waitcnt lgkmcnt(0)
	v_add_f32_e32 v4, v9, v4
	ds_bpermute_b32 v5, v5, v4
	s_waitcnt lgkmcnt(0)
	v_add_f32_e32 v4, v4, v5
	;; [unrolled: 3-line block ×5, first 2 shown]
	s_and_saveexec_b32 s3, vcc_lo
; %bb.538:
	ds_write_b32 v8, v4 offset:144
; %bb.539:
	s_or_b32 exec_lo, exec_lo, s3
	s_waitcnt lgkmcnt(0)
	s_barrier
	buffer_gl0_inv
	s_and_saveexec_b32 s3, s1
; %bb.540:
	ds_read_b32 v4, v16 offset:144
; %bb.541:
	s_or_b32 exec_lo, exec_lo, s3
	s_waitcnt lgkmcnt(0)
	ds_bpermute_b32 v5, v17, v4
	s_waitcnt lgkmcnt(0)
	v_add_f32_e32 v4, v4, v5
	ds_bpermute_b32 v5, v12, v4
	s_waitcnt lgkmcnt(0)
	v_add_f32_e32 v4, v4, v5
	v_mov_b32_e32 v5, 0
	ds_bpermute_b32 v4, v5, v4
	s_and_saveexec_b32 s1, s2
	s_cbranch_execz .LBB302_544
; %bb.542:
	s_waitcnt lgkmcnt(0)
	v_add_f32_e32 v5, 0x358637bd, v4
	s_mov_b32 s2, 0
	v_div_scale_f32 v7, null, v5, v5, 1.0
	v_div_scale_f32 v10, vcc_lo, 1.0, v5, 1.0
	v_rcp_f32_e32 v8, v7
	v_fma_f32 v9, -v7, v8, 1.0
	v_fmac_f32_e32 v8, v9, v8
	v_mul_f32_e32 v9, v10, v8
	v_fma_f32 v11, -v7, v9, v10
	v_fmac_f32_e32 v9, v11, v8
	v_fma_f32 v7, -v7, v9, v10
	v_div_fmas_f32 v7, v7, v8, v9
	v_div_fixup_f32 v5, v7, v5, 1.0
	v_mov_b32_e32 v7, v0
.LBB302_543:                            ; =>This Inner Loop Header: Depth=1
	ds_read_b32 v8, v6
	v_add_nc_u32_e32 v7, 0x80, v7
	v_cmp_le_i32_e32 vcc_lo, s4, v7
	s_or_b32 s2, vcc_lo, s2
	s_waitcnt lgkmcnt(0)
	v_mul_f32_e32 v8, v5, v8
	ds_write_b32 v6, v8
	v_add_nc_u32_e32 v6, 0x200, v6
	s_andn2_b32 exec_lo, exec_lo, s2
	s_cbranch_execnz .LBB302_543
.LBB302_544:
	s_or_b32 exec_lo, exec_lo, s1
	s_mul_i32 s1, s7, s30
	s_waitcnt lgkmcnt(0)
	s_mul_i32 s2, s1, s9
	s_mov_b32 s1, exec_lo
	s_barrier
	buffer_gl0_inv
	v_cmpx_eq_u32_e32 0, v0
	s_cbranch_execz .LBB302_546
; %bb.545:
	s_ashr_i32 s3, s2, 31
	s_mul_i32 s12, s7, s6
	s_lshl_b64 s[4:5], s[2:3], 2
	v_mov_b32_e32 v5, 0
	s_add_u32 s3, s26, s4
	s_addc_u32 s6, s27, s5
	s_ashr_i32 s13, s12, 31
	s_lshl_b64 s[12:13], s[12:13], 2
	s_add_u32 s3, s3, s12
	s_addc_u32 s6, s6, s13
	s_ashr_i32 s9, s8, 31
	s_lshl_b64 s[26:27], s[8:9], 2
	s_add_u32 s42, s3, s26
	s_addc_u32 s43, s6, s27
	s_add_u32 s3, s24, s4
	s_addc_u32 s4, s25, s5
	;; [unrolled: 2-line block ×4, first 2 shown]
	global_store_dword v5, v3, s[42:43]
	global_store_dword v5, v4, s[4:5]
.LBB302_546:
	s_or_b32 exec_lo, exec_lo, s1
	v_mov_b32_e32 v25, 0
	v_and_b32_e32 v16, 3, v0
	v_mov_b32_e32 v24, 0
	v_mov_b32_e32 v23, 0
	;; [unrolled: 1-line block ×7, first 2 shown]
	s_and_saveexec_b32 s1, s0
	s_cbranch_execz .LBB302_1080
; %bb.547:
	s_sub_i32 s3, s41, s21
	s_ashr_i32 s0, s18, 31
	s_add_u32 s12, s38, s18
	s_addc_u32 s0, s39, s0
	s_abs_i32 s6, s22
	v_lshlrev_b32_e32 v7, 3, v0
	v_cvt_f32_u32_e32 v3, s6
	s_sub_i32 s4, 0, s6
	v_lshlrev_b64 v[4:5], 2, v[1:2]
	v_lshlrev_b32_e32 v2, 5, v16
	v_and_b32_e32 v30, 24, v7
	v_rcp_iflag_f32_e32 v6, v3
	v_and_b32_e32 v7, 0xf8, v7
	s_add_i32 s33, s33, -1
	v_lshl_or_b32 v2, v13, 7, v2
	v_mov_b32_e32 v3, 0
	v_mov_b32_e32 v26, 0x80
	v_mov_b32_e32 v27, 0x7f
	v_mov_b32_e32 v28, 7
	v_mov_b32_e32 v29, 8
	v_mov_b32_e32 v18, 0
	v_mul_f32_e32 v6, 0x4f7ffffe, v6
	v_mov_b32_e32 v19, 0
	v_mov_b32_e32 v20, 0
	;; [unrolled: 1-line block ×4, first 2 shown]
	v_cvt_u32_f32_e32 v8, v6
	v_mov_b32_e32 v23, 0
	v_mov_b32_e32 v24, 0
	v_add_nc_u32_e32 v31, 0xa0, v2
	v_mov_b32_e32 v25, 0
	v_mul_lo_u32 v6, s4, v8
	s_lshl_b64 s[4:5], s[36:37], 2
	s_mov_b32 s9, s17
	s_add_u32 s4, s34, s4
	s_addc_u32 s5, s35, s5
	v_add_co_u32 v4, vcc_lo, s4, v4
	v_add_co_ci_u32_e64 v5, null, s5, v5, vcc_lo
	v_mul_hi_u32 v9, v8, v6
	v_add_co_u32 v6, s4, s12, v7
	v_add_co_ci_u32_e64 v7, null, s0, 0, s4
	s_mov_b32 s4, -1
	s_mov_b32 s5, 0xffffff
	s_mov_b32 s12, 0
	v_add_nc_u32_e32 v32, v8, v9
	s_branch .LBB302_550
.LBB302_548:                            ;   in Loop: Header=BB302_550 Depth=1
	s_or_b32 exec_lo, exec_lo, s0
	v_add_f32_e32 v10, v10, v11
	v_add_f32_e32 v11, v55, v56
	;; [unrolled: 1-line block ×5, first 2 shown]
	;;#ASMSTART
	v_pk_mul_f16 v11, v46, v57;

	;;#ASMEND
	;;#ASMSTART
	v_pk_mul_f16 v9, v45, v9;

	;;#ASMEND
	;; [unrolled: 4-line block ×4, first 2 shown]
	;;#ASMSTART
	v_pk_add_f16 v9, v11, v9;

	;;#ASMEND
	;;#ASMSTART
	v_pk_add_f16 v8, v9, v8;

	;;#ASMEND
	;; [unrolled: 4-line block ×3, first 2 shown]
	v_and_b32_e32 v11, 0xffff, v2
	v_add_f32_e32 v21, v21, v33
	v_lshrrev_b32_e32 v33, 16, v2
	;;#ASMSTART
	v_cvt_f32_f16 v11, v11;
	;;#ASMEND
	v_add_f32_e32 v10, v51, v52
	v_add_f32_e32 v2, v49, v50
	;; [unrolled: 1-line block ×4, first 2 shown]
	;;#ASMSTART
	v_cvt_f32_f16 v33, v33;
	;;#ASMEND
	v_add_f32_e32 v11, v11, v33
	v_add_f32_e32 v22, v22, v10
	;; [unrolled: 1-line block ×6, first 2 shown]
.LBB302_549:                            ;   in Loop: Header=BB302_550 Depth=1
	s_or_b32 exec_lo, exec_lo, s13
	v_add_nc_u32_e32 v1, 4, v1
	v_add_co_u32 v4, s0, v4, 16
	v_add_co_ci_u32_e64 v5, null, 0, v5, s0
	v_cmp_le_i32_e32 vcc_lo, s20, v1
	v_add_nc_u32_e32 v15, 0x80, v15
	v_add_nc_u32_e32 v31, 0x200, v31
	s_or_b32 s12, vcc_lo, s12
	s_andn2_b32 exec_lo, exec_lo, s12
	s_cbranch_execz .LBB302_1079
.LBB302_550:                            ; =>This Inner Loop Header: Depth=1
	v_sub_nc_u32_e32 v2, 0, v15
	v_max_i32_e32 v2, v15, v2
	v_mul_hi_u32 v8, v2, s16
	v_mul_lo_u32 v9, v8, s11
	v_sub_nc_u32_e32 v2, v2, v9
	v_add_nc_u32_e32 v9, 1, v8
	v_subrev_nc_u32_e32 v10, s11, v2
	v_cmp_le_u32_e32 vcc_lo, s11, v2
	v_cndmask_b32_e32 v8, v8, v9, vcc_lo
	v_cndmask_b32_e32 v2, v2, v10, vcc_lo
	v_ashrrev_i32_e32 v9, 31, v15
	v_add_nc_u32_e32 v10, 1, v8
	v_cmp_le_u32_e32 vcc_lo, s11, v2
	v_xor_b32_e32 v9, s23, v9
	v_cndmask_b32_e32 v2, v8, v10, vcc_lo
	v_xor_b32_e32 v2, v2, v9
	v_sub_nc_u32_e32 v2, v2, v9
	v_add_nc_u32_e32 v8, s19, v2
	v_cmp_lt_i32_e64 s0, s3, v2
	v_sub_nc_u32_e32 v9, 0, v8
	v_max_i32_e32 v9, v8, v9
	v_ashrrev_i32_e32 v8, 31, v8
	v_mul_hi_u32 v10, v9, v32
	v_mul_lo_u32 v10, v10, s6
	v_sub_nc_u32_e32 v9, v9, v10
	v_subrev_nc_u32_e32 v10, s6, v9
	v_cmp_le_u32_e32 vcc_lo, s6, v9
	v_cndmask_b32_e32 v9, v9, v10, vcc_lo
	v_subrev_nc_u32_e32 v10, s6, v9
	v_cmp_le_u32_e32 vcc_lo, s6, v9
	v_cndmask_b32_e32 v9, v9, v10, vcc_lo
	v_xor_b32_e32 v9, v9, v8
	v_sub_nc_u32_e32 v8, v9, v8
	v_cmp_eq_u32_e32 vcc_lo, 0, v8
	s_or_b32 s0, vcc_lo, s0
	s_and_saveexec_b32 s13, s0
	s_cbranch_execz .LBB302_549
; %bb.551:                              ;   in Loop: Header=BB302_550 Depth=1
	global_load_dword v2, v[4:5], off
	ds_read2_b64 v[33:36], v31 offset1:1
	ds_read2_b64 v[46:49], v31 offset0:2 offset1:3
	s_waitcnt lgkmcnt(1)
	;;#ASMSTART
	v_cvt_f16_f32 v40, v33;

	;;#ASMEND
	;;#ASMSTART
	v_cvt_f16_f32 v42, v34;

	;;#ASMEND
	;;#ASMSTART
	v_cvt_f16_f32 v45, v35;

	;;#ASMEND
	;;#ASMSTART
	v_cvt_f16_f32 v43, v36;

	;;#ASMEND
	s_waitcnt lgkmcnt(0)
	;;#ASMSTART
	v_cvt_f16_f32 v46, v46;

	;;#ASMEND
	;;#ASMSTART
	v_cvt_f16_f32 v44, v47;

	;;#ASMEND
	;; [unrolled: 4-line block ×4, first 2 shown]
	v_mov_b32_e32 v35, 0
	v_mov_b32_e32 v36, 0
	global_load_dword v34, v35, s[14:15]
	s_waitcnt vmcnt(1)
	v_mad_i64_i32 v[8:9], null, v2, s9, v[6:7]
	global_load_dwordx2 v[10:11], v[8:9], off
	s_waitcnt vmcnt(0)
	v_cmp_ne_u16_sdwa s17, v10, v3 src0_sel:BYTE_0 src1_sel:DWORD
	s_and_saveexec_b32 s0, s17
	s_cbranch_execz .LBB302_559
; %bb.552:                              ;   in Loop: Header=BB302_550 Depth=1
	v_cmp_ne_u16_sdwa s18, v10, v26 src0_sel:BYTE_0 src1_sel:DWORD
	v_mov_b32_e32 v36, 0x8000
	s_and_saveexec_b32 s17, s18
	s_cbranch_execz .LBB302_558
; %bb.553:                              ;   in Loop: Header=BB302_550 Depth=1
	v_and_b32_e32 v37, 0x7f, v10
	v_mov_b32_e32 v36, 0x7c01
	s_mov_b32 s18, exec_lo
	v_cmpx_ne_u32_e32 0x7f, v37
	s_cbranch_execz .LBB302_557
; %bb.554:                              ;   in Loop: Header=BB302_550 Depth=1
	v_and_b32_e32 v2, 7, v10
	v_lshrrev_b32_e32 v33, 3, v37
	s_mov_b32 s21, exec_lo
	v_cmpx_gt_u32_e32 8, v37
; %bb.555:                              ;   in Loop: Header=BB302_550 Depth=1
	v_ffbh_u32_e32 v2, v2
	v_min_u32_e32 v2, 32, v2
	v_subrev_nc_u32_e32 v33, 28, v2
	v_lshlrev_b64 v[36:37], v33, v[10:11]
	v_sub_nc_u32_e32 v33, 29, v2
	v_and_b32_e32 v2, 7, v36
; %bb.556:                              ;   in Loop: Header=BB302_550 Depth=1
	s_or_b32 exec_lo, exec_lo, s21
	v_lshlrev_b32_e32 v36, 8, v10
	v_lshl_add_u32 v33, v33, 10, 0x2000
	v_lshlrev_b32_e32 v2, 7, v2
	v_and_b32_e32 v36, 0x8000, v36
	v_and_b32_e32 v33, 0xfc00, v33
	v_or3_b32 v36, v36, v33, v2
.LBB302_557:                            ;   in Loop: Header=BB302_550 Depth=1
	s_or_b32 exec_lo, exec_lo, s18
.LBB302_558:                            ;   in Loop: Header=BB302_550 Depth=1
	s_or_b32 exec_lo, exec_lo, s17
.LBB302_559:                            ;   in Loop: Header=BB302_550 Depth=1
	s_or_b32 exec_lo, exec_lo, s0
	v_lshrrev_b16 v2, 8, v10
	s_mov_b32 s0, exec_lo
	v_cmpx_ne_u16_e32 0, v2
	s_cbranch_execz .LBB302_567
; %bb.560:                              ;   in Loop: Header=BB302_550 Depth=1
	v_bfrev_b32_e32 v35, 1
	s_mov_b32 s17, exec_lo
	v_cmpx_ne_u16_e32 0x80, v2
	s_cbranch_execz .LBB302_566
; %bb.561:                              ;   in Loop: Header=BB302_550 Depth=1
	v_and_b32_sdwa v37, v2, v27 dst_sel:DWORD dst_unused:UNUSED_PAD src0_sel:WORD_0 src1_sel:DWORD
	v_mov_b32_e32 v35, 0x7c010000
	s_mov_b32 s18, exec_lo
	v_cmpx_ne_u32_e32 0x7f, v37
	s_cbranch_execz .LBB302_565
; %bb.562:                              ;   in Loop: Header=BB302_550 Depth=1
	v_and_b32_sdwa v33, v2, v28 dst_sel:DWORD dst_unused:UNUSED_PAD src0_sel:WORD_0 src1_sel:DWORD
	v_lshrrev_b32_e32 v35, 3, v37
	s_mov_b32 s21, exec_lo
	v_cmpx_gt_u32_e32 8, v37
; %bb.563:                              ;   in Loop: Header=BB302_550 Depth=1
	v_ffbh_u32_e32 v33, v33
	v_min_u32_e32 v33, 32, v33
	v_subrev_nc_u32_e32 v35, 28, v33
	v_lshlrev_b64 v[37:38], v35, v[2:3]
	v_sub_nc_u32_e32 v35, 29, v33
	v_and_b32_e32 v33, 7, v37
; %bb.564:                              ;   in Loop: Header=BB302_550 Depth=1
	s_or_b32 exec_lo, exec_lo, s21
	v_lshlrev_b32_sdwa v2, v29, v2 dst_sel:DWORD dst_unused:UNUSED_PAD src0_sel:DWORD src1_sel:WORD_0
	v_lshl_add_u32 v35, v35, 10, 0x2000
	v_lshlrev_b32_e32 v33, 23, v33
	v_and_or_b32 v2, 0x8000, v2, v35
	v_lshl_or_b32 v35, v2, 16, v33
.LBB302_565:                            ;   in Loop: Header=BB302_550 Depth=1
	s_or_b32 exec_lo, exec_lo, s18
.LBB302_566:                            ;   in Loop: Header=BB302_550 Depth=1
	s_or_b32 exec_lo, exec_lo, s17
.LBB302_567:                            ;   in Loop: Header=BB302_550 Depth=1
	s_or_b32 exec_lo, exec_lo, s0
	v_lshrrev_b32_e32 v2, 16, v10
	v_mov_b32_e32 v37, 0
	v_mov_b32_e32 v33, 0
	v_cmp_ne_u16_sdwa s17, v2, v3 src0_sel:BYTE_0 src1_sel:DWORD
	s_and_saveexec_b32 s0, s17
	s_cbranch_execz .LBB302_575
; %bb.568:                              ;   in Loop: Header=BB302_550 Depth=1
	v_cmp_ne_u16_sdwa s18, v2, v26 src0_sel:BYTE_0 src1_sel:DWORD
	v_mov_b32_e32 v33, 0x8000
	s_and_saveexec_b32 s17, s18
	s_cbranch_execz .LBB302_574
; %bb.569:                              ;   in Loop: Header=BB302_550 Depth=1
	v_bfe_u32 v39, v10, 16, 7
	v_mov_b32_e32 v33, 0x7c01
	s_mov_b32 s18, exec_lo
	v_cmpx_ne_u32_e32 0x7f, v39
	s_cbranch_execz .LBB302_573
; %bb.570:                              ;   in Loop: Header=BB302_550 Depth=1
	v_and_b32_e32 v33, 7, v2
	v_lshrrev_b32_e32 v38, 3, v39
	s_mov_b32 s21, exec_lo
	v_cmpx_gt_u32_e32 8, v39
; %bb.571:                              ;   in Loop: Header=BB302_550 Depth=1
	v_ffbh_u32_e32 v33, v33
	v_min_u32_e32 v33, 32, v33
	v_subrev_nc_u32_e32 v38, 28, v33
	v_lshlrev_b64 v[49:50], v38, v[2:3]
	v_sub_nc_u32_e32 v38, 29, v33
	v_and_b32_e32 v33, 7, v49
; %bb.572:                              ;   in Loop: Header=BB302_550 Depth=1
	s_or_b32 exec_lo, exec_lo, s21
	v_lshlrev_b32_e32 v2, 8, v2
	v_lshl_add_u32 v38, v38, 10, 0x2000
	v_lshlrev_b32_e32 v33, 7, v33
	v_and_b32_e32 v2, 0x8000, v2
	v_and_b32_e32 v38, 0xfc00, v38
	v_or3_b32 v33, v2, v38, v33
.LBB302_573:                            ;   in Loop: Header=BB302_550 Depth=1
	s_or_b32 exec_lo, exec_lo, s18
.LBB302_574:                            ;   in Loop: Header=BB302_550 Depth=1
	s_or_b32 exec_lo, exec_lo, s17
.LBB302_575:                            ;   in Loop: Header=BB302_550 Depth=1
	s_or_b32 exec_lo, exec_lo, s0
	s_mov_b32 s0, exec_lo
	v_cmpx_lt_u32_e32 0xffffff, v10
	s_cbranch_execz .LBB302_583
; %bb.576:                              ;   in Loop: Header=BB302_550 Depth=1
	v_lshrrev_b32_e32 v2, 24, v10
	v_bfrev_b32_e32 v37, 1
	s_mov_b32 s17, exec_lo
	v_cmpx_ne_u32_e32 0x80, v2
	s_cbranch_execz .LBB302_582
; %bb.577:                              ;   in Loop: Header=BB302_550 Depth=1
	v_and_b32_e32 v39, 0x7f, v2
	v_mov_b32_e32 v37, 0x7c010000
	s_mov_b32 s18, exec_lo
	v_cmpx_ne_u32_e32 0x7f, v39
	s_cbranch_execz .LBB302_581
; %bb.578:                              ;   in Loop: Header=BB302_550 Depth=1
	v_and_b32_e32 v37, 7, v2
	v_lshrrev_b32_e32 v38, 3, v39
	s_mov_b32 s21, exec_lo
	v_cmpx_gt_u32_e32 8, v39
; %bb.579:                              ;   in Loop: Header=BB302_550 Depth=1
	v_ffbh_u32_e32 v37, v37
	v_min_u32_e32 v39, 32, v37
	v_subrev_nc_u32_e32 v37, 28, v39
	v_lshlrev_b64 v[37:38], v37, v[2:3]
	v_sub_nc_u32_e32 v38, 29, v39
	v_and_b32_e32 v37, 7, v37
; %bb.580:                              ;   in Loop: Header=BB302_550 Depth=1
	s_or_b32 exec_lo, exec_lo, s21
	v_lshlrev_b32_e32 v2, 8, v2
	v_lshl_add_u32 v38, v38, 10, 0x2000
	v_lshlrev_b32_e32 v37, 23, v37
	v_and_or_b32 v2, 0x8000, v2, v38
	v_lshl_or_b32 v37, v2, 16, v37
.LBB302_581:                            ;   in Loop: Header=BB302_550 Depth=1
	s_or_b32 exec_lo, exec_lo, s18
.LBB302_582:                            ;   in Loop: Header=BB302_550 Depth=1
	s_or_b32 exec_lo, exec_lo, s17
.LBB302_583:                            ;   in Loop: Header=BB302_550 Depth=1
	s_or_b32 exec_lo, exec_lo, s0
	v_mov_b32_e32 v2, v11
	v_cmp_ne_u16_sdwa s17, v11, v3 src0_sel:BYTE_0 src1_sel:DWORD
	v_mov_b32_e32 v38, 0
	v_mov_b32_e32 v39, 0
	s_and_saveexec_b32 s0, s17
	s_cbranch_execz .LBB302_591
; %bb.584:                              ;   in Loop: Header=BB302_550 Depth=1
	v_cmp_ne_u16_sdwa s18, v11, v26 src0_sel:BYTE_0 src1_sel:DWORD
	v_mov_b32_e32 v39, 0x8000
	s_and_saveexec_b32 s17, s18
	s_cbranch_execz .LBB302_590
; %bb.585:                              ;   in Loop: Header=BB302_550 Depth=1
	v_and_b32_e32 v49, 0x7f, v11
	v_mov_b32_e32 v39, 0x7c01
	s_mov_b32 s18, exec_lo
	v_cmpx_ne_u32_e32 0x7f, v49
	s_cbranch_execz .LBB302_589
; %bb.586:                              ;   in Loop: Header=BB302_550 Depth=1
	v_and_b32_e32 v39, 7, v11
	v_lshrrev_b32_e32 v41, 3, v49
	s_mov_b32 s21, exec_lo
	v_cmpx_gt_u32_e32 8, v49
; %bb.587:                              ;   in Loop: Header=BB302_550 Depth=1
	v_ffbh_u32_e32 v39, v39
	v_min_u32_e32 v39, 32, v39
	v_subrev_nc_u32_e32 v41, 28, v39
	v_lshlrev_b64 v[49:50], v41, v[2:3]
	v_sub_nc_u32_e32 v41, 29, v39
	v_and_b32_e32 v39, 7, v49
; %bb.588:                              ;   in Loop: Header=BB302_550 Depth=1
	s_or_b32 exec_lo, exec_lo, s21
	v_lshlrev_b32_e32 v49, 8, v11
	v_lshl_add_u32 v41, v41, 10, 0x2000
	v_lshlrev_b32_e32 v39, 7, v39
	v_and_b32_e32 v49, 0x8000, v49
	v_and_b32_e32 v41, 0xfc00, v41
	v_or3_b32 v39, v49, v41, v39
.LBB302_589:                            ;   in Loop: Header=BB302_550 Depth=1
	s_or_b32 exec_lo, exec_lo, s18
.LBB302_590:                            ;   in Loop: Header=BB302_550 Depth=1
	s_or_b32 exec_lo, exec_lo, s17
.LBB302_591:                            ;   in Loop: Header=BB302_550 Depth=1
	s_or_b32 exec_lo, exec_lo, s0
	v_lshrrev_b16 v2, 8, v2
	v_mov_b32_e32 v41, 0
	s_mov_b32 s0, exec_lo
	v_cmpx_ne_u16_e32 0, v2
	s_cbranch_execz .LBB302_599
; %bb.592:                              ;   in Loop: Header=BB302_550 Depth=1
	v_bfrev_b32_e32 v41, 1
	s_mov_b32 s17, exec_lo
	v_cmpx_ne_u16_e32 0x80, v2
	s_cbranch_execz .LBB302_598
; %bb.593:                              ;   in Loop: Header=BB302_550 Depth=1
	v_and_b32_sdwa v50, v2, v27 dst_sel:DWORD dst_unused:UNUSED_PAD src0_sel:WORD_0 src1_sel:DWORD
	v_mov_b32_e32 v41, 0x7c010000
	s_mov_b32 s18, exec_lo
	v_cmpx_ne_u32_e32 0x7f, v50
	s_cbranch_execz .LBB302_597
; %bb.594:                              ;   in Loop: Header=BB302_550 Depth=1
	v_and_b32_sdwa v41, v2, v28 dst_sel:DWORD dst_unused:UNUSED_PAD src0_sel:WORD_0 src1_sel:DWORD
	v_lshrrev_b32_e32 v49, 3, v50
	s_mov_b32 s21, exec_lo
	v_cmpx_gt_u32_e32 8, v50
; %bb.595:                              ;   in Loop: Header=BB302_550 Depth=1
	v_ffbh_u32_e32 v41, v41
	v_min_u32_e32 v41, 32, v41
	v_subrev_nc_u32_e32 v49, 28, v41
	v_lshlrev_b64 v[50:51], v49, v[2:3]
	v_sub_nc_u32_e32 v49, 29, v41
	v_and_b32_e32 v41, 7, v50
; %bb.596:                              ;   in Loop: Header=BB302_550 Depth=1
	s_or_b32 exec_lo, exec_lo, s21
	v_lshlrev_b32_sdwa v2, v29, v2 dst_sel:DWORD dst_unused:UNUSED_PAD src0_sel:DWORD src1_sel:WORD_0
	v_lshl_add_u32 v49, v49, 10, 0x2000
	v_lshlrev_b32_e32 v41, 23, v41
	v_and_or_b32 v2, 0x8000, v2, v49
	v_lshl_or_b32 v41, v2, 16, v41
.LBB302_597:                            ;   in Loop: Header=BB302_550 Depth=1
	s_or_b32 exec_lo, exec_lo, s18
.LBB302_598:                            ;   in Loop: Header=BB302_550 Depth=1
	s_or_b32 exec_lo, exec_lo, s17
.LBB302_599:                            ;   in Loop: Header=BB302_550 Depth=1
	s_or_b32 exec_lo, exec_lo, s0
	v_lshrrev_b32_e32 v2, 16, v11
	v_cmp_ne_u16_sdwa s17, v2, v3 src0_sel:BYTE_0 src1_sel:DWORD
	s_and_saveexec_b32 s0, s17
	s_cbranch_execz .LBB302_607
; %bb.600:                              ;   in Loop: Header=BB302_550 Depth=1
	v_cmp_ne_u16_sdwa s18, v2, v26 src0_sel:BYTE_0 src1_sel:DWORD
	v_mov_b32_e32 v38, 0x8000
	s_and_saveexec_b32 s17, s18
	s_cbranch_execz .LBB302_606
; %bb.601:                              ;   in Loop: Header=BB302_550 Depth=1
	v_bfe_u32 v50, v11, 16, 7
	v_mov_b32_e32 v38, 0x7c01
	s_mov_b32 s18, exec_lo
	v_cmpx_ne_u32_e32 0x7f, v50
	s_cbranch_execz .LBB302_605
; %bb.602:                              ;   in Loop: Header=BB302_550 Depth=1
	v_and_b32_e32 v38, 7, v2
	v_lshrrev_b32_e32 v49, 3, v50
	s_mov_b32 s21, exec_lo
	v_cmpx_gt_u32_e32 8, v50
; %bb.603:                              ;   in Loop: Header=BB302_550 Depth=1
	v_ffbh_u32_e32 v38, v38
	v_min_u32_e32 v38, 32, v38
	v_subrev_nc_u32_e32 v49, 28, v38
	v_lshlrev_b64 v[50:51], v49, v[2:3]
	v_sub_nc_u32_e32 v49, 29, v38
	v_and_b32_e32 v38, 7, v50
; %bb.604:                              ;   in Loop: Header=BB302_550 Depth=1
	s_or_b32 exec_lo, exec_lo, s21
	v_lshlrev_b32_e32 v2, 8, v2
	v_lshl_add_u32 v49, v49, 10, 0x2000
	v_lshlrev_b32_e32 v38, 7, v38
	v_and_b32_e32 v2, 0x8000, v2
	v_and_b32_e32 v49, 0xfc00, v49
	v_or3_b32 v38, v2, v49, v38
.LBB302_605:                            ;   in Loop: Header=BB302_550 Depth=1
	s_or_b32 exec_lo, exec_lo, s18
.LBB302_606:                            ;   in Loop: Header=BB302_550 Depth=1
	s_or_b32 exec_lo, exec_lo, s17
.LBB302_607:                            ;   in Loop: Header=BB302_550 Depth=1
	s_or_b32 exec_lo, exec_lo, s0
	v_cmp_lt_u64_e32 vcc_lo, s[4:5], v[10:11]
	v_mov_b32_e32 v10, 0
	s_and_saveexec_b32 s0, vcc_lo
	s_cbranch_execz .LBB302_615
; %bb.608:                              ;   in Loop: Header=BB302_550 Depth=1
	v_lshrrev_b32_e32 v2, 24, v11
	v_bfrev_b32_e32 v10, 1
	s_mov_b32 s17, exec_lo
	v_cmpx_ne_u32_e32 0x80, v2
	s_cbranch_execz .LBB302_614
; %bb.609:                              ;   in Loop: Header=BB302_550 Depth=1
	v_and_b32_e32 v49, 0x7f, v2
	v_mov_b32_e32 v10, 0x7c010000
	s_mov_b32 s18, exec_lo
	v_cmpx_ne_u32_e32 0x7f, v49
	s_cbranch_execz .LBB302_613
; %bb.610:                              ;   in Loop: Header=BB302_550 Depth=1
	v_and_b32_e32 v10, 7, v2
	v_lshrrev_b32_e32 v11, 3, v49
	s_mov_b32 s21, exec_lo
	v_cmpx_gt_u32_e32 8, v49
; %bb.611:                              ;   in Loop: Header=BB302_550 Depth=1
	v_ffbh_u32_e32 v10, v10
	v_min_u32_e32 v49, 32, v10
	v_subrev_nc_u32_e32 v10, 28, v49
	v_lshlrev_b64 v[10:11], v10, v[2:3]
	v_sub_nc_u32_e32 v11, 29, v49
	v_and_b32_e32 v10, 7, v10
; %bb.612:                              ;   in Loop: Header=BB302_550 Depth=1
	s_or_b32 exec_lo, exec_lo, s21
	v_lshlrev_b32_e32 v2, 8, v2
	v_lshl_add_u32 v11, v11, 10, 0x2000
	v_lshlrev_b32_e32 v10, 23, v10
	v_and_or_b32 v2, 0x8000, v2, v11
	v_lshl_or_b32 v10, v2, 16, v10
.LBB302_613:                            ;   in Loop: Header=BB302_550 Depth=1
	s_or_b32 exec_lo, exec_lo, s18
.LBB302_614:                            ;   in Loop: Header=BB302_550 Depth=1
	s_or_b32 exec_lo, exec_lo, s17
.LBB302_615:                            ;   in Loop: Header=BB302_550 Depth=1
	s_or_b32 exec_lo, exec_lo, s0
	v_or_b32_e32 v2, v37, v33
	v_fma_mixlo_f16 v11, v34, v37, 0 op_sel:[0,1,0] op_sel_hi:[0,1,0]
	v_or_b32_e32 v36, v35, v36
	v_fma_mixlo_f16 v35, v34, v35, 0 op_sel:[0,1,0] op_sel_hi:[0,1,0]
	v_or_b32_e32 v37, v41, v39
	v_fma_mixlo_f16 v2, v34, v2, 0 op_sel_hi:[0,1,0]
	v_or_b32_e32 v38, v10, v38
	v_fma_mixlo_f16 v10, v34, v10, 0 op_sel:[0,1,0] op_sel_hi:[0,1,0]
	v_lshlrev_b32_e32 v55, 16, v35
	v_fma_mixlo_f16 v35, v34, v41, 0 op_sel:[0,1,0] op_sel_hi:[0,1,0]
	v_and_b32_e32 v52, 0xffff, v2
	v_fma_mixlo_f16 v2, v34, v36, 0 op_sel_hi:[0,1,0]
	v_fma_mixlo_f16 v36, v34, v37, 0 op_sel_hi:[0,1,0]
	;; [unrolled: 1-line block ×3, first 2 shown]
	v_add_nc_u32_e32 v33, v30, v15
	v_lshlrev_b32_e32 v11, 16, v11
	v_and_b32_e32 v57, 0xffff, v2
	v_lshlrev_b32_e32 v53, 16, v35
	v_and_b32_e32 v56, 0xffff, v36
	;; [unrolled: 2-line block ×3, first 2 shown]
	v_cmp_eq_u32_e32 vcc_lo, s33, v1
	v_or_b32_e32 v2, v11, v52
	v_or_b32_e32 v10, v55, v57
	;; [unrolled: 1-line block ×4, first 2 shown]
	v_add_nc_u32_e32 v41, 1, v33
	v_add_nc_u32_e32 v39, 2, v33
	;; [unrolled: 1-line block ×7, first 2 shown]
	s_and_saveexec_b32 s17, vcc_lo
	s_cbranch_execz .LBB302_617
; %bb.616:                              ;   in Loop: Header=BB302_550 Depth=1
	v_cmp_gt_i32_e64 s0, s31, v33
	v_cndmask_b32_e64 v2, 0, v57, s0
	v_cmp_gt_i32_e64 s0, s31, v41
	v_cndmask_b32_e64 v10, 0, v55, s0
	v_cmp_gt_i32_e64 s0, s31, v39
	v_or_b32_e32 v10, v10, v2
	v_cndmask_b32_e64 v49, 0, v52, s0
	v_cmp_gt_i32_e64 s0, s31, v38
	v_cndmask_b32_e64 v11, 0, v11, s0
	v_cmp_gt_i32_e64 s0, s31, v37
	v_or_b32_e32 v2, v11, v49
	;; [unrolled: 5-line block ×3, first 2 shown]
	v_cndmask_b32_e64 v53, 0, v54, s0
	v_cmp_gt_i32_e64 s0, s31, v34
	v_cndmask_b32_e64 v50, 0, v50, s0
	v_or_b32_e32 v51, v50, v53
.LBB302_617:                            ;   in Loop: Header=BB302_550 Depth=1
	s_or_b32 exec_lo, exec_lo, s17
	v_and_b32_e32 v11, 0xffff, v40
	v_and_b32_e32 v40, 0xffff, v45
	;; [unrolled: 1-line block ×4, first 2 shown]
	v_lshl_or_b32 v46, v42, 16, v11
	v_lshl_or_b32 v45, v43, 16, v40
	;;#ASMSTART
	v_pk_mul_f16 v10, v46, v10;

	;;#ASMEND
	;;#ASMSTART
	v_pk_mul_f16 v2, v45, v2;

	;;#ASMEND
	v_lshl_or_b32 v44, v44, 16, v50
	v_lshl_or_b32 v43, v47, 16, v48
	;;#ASMSTART
	v_pk_mul_f16 v11, v44, v49;

	;;#ASMEND
	;;#ASMSTART
	v_pk_mul_f16 v40, v43, v51;

	;;#ASMEND
	;;#ASMSTART
	v_pk_add_f16 v2, v10, v2;

	;;#ASMEND
	;;#ASMSTART
	v_pk_add_f16 v2, v2, v11;
	;; [unrolled: 4-line block ×3, first 2 shown]

	;;#ASMEND
	v_and_b32_e32 v10, 0xffff, v2
	v_lshrrev_b32_e32 v2, 16, v2
	;;#ASMSTART
	v_cvt_f32_f16 v40, v10;
	;;#ASMEND
	;;#ASMSTART
	v_cvt_f32_f16 v42, v2;
	;;#ASMEND
	global_load_dwordx2 v[10:11], v[8:9], off offset:256
	v_mov_b32_e32 v48, 0
	v_mov_b32_e32 v49, 0
	global_load_dword v47, v48, s[14:15]
	s_waitcnt vmcnt(1)
	v_cmp_ne_u16_sdwa s0, v10, v3 src0_sel:BYTE_0 src1_sel:DWORD
	s_and_saveexec_b32 s17, s0
	s_cbranch_execz .LBB302_625
; %bb.618:                              ;   in Loop: Header=BB302_550 Depth=1
	v_cmp_ne_u16_sdwa s0, v10, v26 src0_sel:BYTE_0 src1_sel:DWORD
	v_mov_b32_e32 v49, 0x8000
	s_and_saveexec_b32 s18, s0
	s_cbranch_execz .LBB302_624
; %bb.619:                              ;   in Loop: Header=BB302_550 Depth=1
	v_and_b32_e32 v50, 0x7f, v10
	v_mov_b32_e32 v49, 0x7c01
	s_mov_b32 s21, exec_lo
	v_cmpx_ne_u32_e32 0x7f, v50
	s_cbranch_execz .LBB302_623
; %bb.620:                              ;   in Loop: Header=BB302_550 Depth=1
	v_and_b32_e32 v2, 7, v10
	v_lshrrev_b32_e32 v49, 3, v50
	s_mov_b32 s22, exec_lo
	v_cmpx_gt_u32_e32 8, v50
; %bb.621:                              ;   in Loop: Header=BB302_550 Depth=1
	v_ffbh_u32_e32 v2, v2
	v_min_u32_e32 v2, 32, v2
	v_subrev_nc_u32_e32 v49, 28, v2
	v_lshlrev_b64 v[50:51], v49, v[10:11]
	v_sub_nc_u32_e32 v49, 29, v2
	v_and_b32_e32 v2, 7, v50
; %bb.622:                              ;   in Loop: Header=BB302_550 Depth=1
	s_or_b32 exec_lo, exec_lo, s22
	v_lshlrev_b32_e32 v50, 8, v10
	v_lshl_add_u32 v49, v49, 10, 0x2000
	v_lshlrev_b32_e32 v2, 7, v2
	v_and_b32_e32 v50, 0x8000, v50
	v_and_b32_e32 v49, 0xfc00, v49
	v_or3_b32 v49, v50, v49, v2
.LBB302_623:                            ;   in Loop: Header=BB302_550 Depth=1
	s_or_b32 exec_lo, exec_lo, s21
.LBB302_624:                            ;   in Loop: Header=BB302_550 Depth=1
	s_or_b32 exec_lo, exec_lo, s18
.LBB302_625:                            ;   in Loop: Header=BB302_550 Depth=1
	s_or_b32 exec_lo, exec_lo, s17
	v_lshrrev_b16 v2, 8, v10
	s_mov_b32 s17, exec_lo
	v_cmpx_ne_u16_e32 0, v2
	s_cbranch_execz .LBB302_633
; %bb.626:                              ;   in Loop: Header=BB302_550 Depth=1
	v_bfrev_b32_e32 v48, 1
	s_mov_b32 s18, exec_lo
	v_cmpx_ne_u16_e32 0x80, v2
	s_cbranch_execz .LBB302_632
; %bb.627:                              ;   in Loop: Header=BB302_550 Depth=1
	v_and_b32_sdwa v51, v2, v27 dst_sel:DWORD dst_unused:UNUSED_PAD src0_sel:WORD_0 src1_sel:DWORD
	v_mov_b32_e32 v48, 0x7c010000
	s_mov_b32 s21, exec_lo
	v_cmpx_ne_u32_e32 0x7f, v51
	s_cbranch_execz .LBB302_631
; %bb.628:                              ;   in Loop: Header=BB302_550 Depth=1
	v_and_b32_sdwa v48, v2, v28 dst_sel:DWORD dst_unused:UNUSED_PAD src0_sel:WORD_0 src1_sel:DWORD
	v_lshrrev_b32_e32 v50, 3, v51
	s_mov_b32 s22, exec_lo
	v_cmpx_gt_u32_e32 8, v51
; %bb.629:                              ;   in Loop: Header=BB302_550 Depth=1
	v_ffbh_u32_e32 v48, v48
	v_min_u32_e32 v48, 32, v48
	v_subrev_nc_u32_e32 v50, 28, v48
	v_lshlrev_b64 v[51:52], v50, v[2:3]
	v_sub_nc_u32_e32 v50, 29, v48
	v_and_b32_e32 v48, 7, v51
; %bb.630:                              ;   in Loop: Header=BB302_550 Depth=1
	s_or_b32 exec_lo, exec_lo, s22
	v_lshlrev_b32_sdwa v2, v29, v2 dst_sel:DWORD dst_unused:UNUSED_PAD src0_sel:DWORD src1_sel:WORD_0
	v_lshl_add_u32 v50, v50, 10, 0x2000
	v_lshlrev_b32_e32 v48, 23, v48
	v_and_or_b32 v2, 0x8000, v2, v50
	v_lshl_or_b32 v48, v2, 16, v48
.LBB302_631:                            ;   in Loop: Header=BB302_550 Depth=1
	s_or_b32 exec_lo, exec_lo, s21
.LBB302_632:                            ;   in Loop: Header=BB302_550 Depth=1
	s_or_b32 exec_lo, exec_lo, s18
.LBB302_633:                            ;   in Loop: Header=BB302_550 Depth=1
	s_or_b32 exec_lo, exec_lo, s17
	v_lshrrev_b32_e32 v2, 16, v10
	v_mov_b32_e32 v50, 0
	v_mov_b32_e32 v51, 0
	v_cmp_ne_u16_sdwa s0, v2, v3 src0_sel:BYTE_0 src1_sel:DWORD
	s_and_saveexec_b32 s17, s0
	s_cbranch_execz .LBB302_641
; %bb.634:                              ;   in Loop: Header=BB302_550 Depth=1
	v_cmp_ne_u16_sdwa s0, v2, v26 src0_sel:BYTE_0 src1_sel:DWORD
	v_mov_b32_e32 v51, 0x8000
	s_and_saveexec_b32 s18, s0
	s_cbranch_execz .LBB302_640
; %bb.635:                              ;   in Loop: Header=BB302_550 Depth=1
	v_bfe_u32 v53, v10, 16, 7
	v_mov_b32_e32 v51, 0x7c01
	s_mov_b32 s21, exec_lo
	v_cmpx_ne_u32_e32 0x7f, v53
	s_cbranch_execz .LBB302_639
; %bb.636:                              ;   in Loop: Header=BB302_550 Depth=1
	v_and_b32_e32 v51, 7, v2
	v_lshrrev_b32_e32 v52, 3, v53
	s_mov_b32 s22, exec_lo
	v_cmpx_gt_u32_e32 8, v53
; %bb.637:                              ;   in Loop: Header=BB302_550 Depth=1
	v_ffbh_u32_e32 v51, v51
	v_min_u32_e32 v53, 32, v51
	v_subrev_nc_u32_e32 v51, 28, v53
	v_lshlrev_b64 v[51:52], v51, v[2:3]
	v_sub_nc_u32_e32 v52, 29, v53
	v_and_b32_e32 v51, 7, v51
; %bb.638:                              ;   in Loop: Header=BB302_550 Depth=1
	s_or_b32 exec_lo, exec_lo, s22
	v_lshlrev_b32_e32 v2, 8, v2
	v_lshl_add_u32 v52, v52, 10, 0x2000
	v_lshlrev_b32_e32 v51, 7, v51
	v_and_b32_e32 v2, 0x8000, v2
	v_and_b32_e32 v52, 0xfc00, v52
	v_or3_b32 v51, v2, v52, v51
.LBB302_639:                            ;   in Loop: Header=BB302_550 Depth=1
	s_or_b32 exec_lo, exec_lo, s21
.LBB302_640:                            ;   in Loop: Header=BB302_550 Depth=1
	s_or_b32 exec_lo, exec_lo, s18
.LBB302_641:                            ;   in Loop: Header=BB302_550 Depth=1
	s_or_b32 exec_lo, exec_lo, s17
	s_mov_b32 s17, exec_lo
	v_cmpx_lt_u32_e32 0xffffff, v10
	s_cbranch_execz .LBB302_649
; %bb.642:                              ;   in Loop: Header=BB302_550 Depth=1
	v_lshrrev_b32_e32 v2, 24, v10
	v_bfrev_b32_e32 v50, 1
	s_mov_b32 s18, exec_lo
	v_cmpx_ne_u32_e32 0x80, v2
	s_cbranch_execz .LBB302_648
; %bb.643:                              ;   in Loop: Header=BB302_550 Depth=1
	v_and_b32_e32 v53, 0x7f, v2
	v_mov_b32_e32 v50, 0x7c010000
	s_mov_b32 s21, exec_lo
	v_cmpx_ne_u32_e32 0x7f, v53
	s_cbranch_execz .LBB302_647
; %bb.644:                              ;   in Loop: Header=BB302_550 Depth=1
	v_and_b32_e32 v50, 7, v2
	v_lshrrev_b32_e32 v52, 3, v53
	s_mov_b32 s22, exec_lo
	v_cmpx_gt_u32_e32 8, v53
; %bb.645:                              ;   in Loop: Header=BB302_550 Depth=1
	v_ffbh_u32_e32 v50, v50
	v_min_u32_e32 v50, 32, v50
	v_subrev_nc_u32_e32 v52, 28, v50
	v_lshlrev_b64 v[53:54], v52, v[2:3]
	v_sub_nc_u32_e32 v52, 29, v50
	v_and_b32_e32 v50, 7, v53
; %bb.646:                              ;   in Loop: Header=BB302_550 Depth=1
	s_or_b32 exec_lo, exec_lo, s22
	v_lshlrev_b32_e32 v2, 8, v2
	v_lshl_add_u32 v52, v52, 10, 0x2000
	v_lshlrev_b32_e32 v50, 23, v50
	v_and_or_b32 v2, 0x8000, v2, v52
	v_lshl_or_b32 v50, v2, 16, v50
.LBB302_647:                            ;   in Loop: Header=BB302_550 Depth=1
	s_or_b32 exec_lo, exec_lo, s21
.LBB302_648:                            ;   in Loop: Header=BB302_550 Depth=1
	s_or_b32 exec_lo, exec_lo, s18
.LBB302_649:                            ;   in Loop: Header=BB302_550 Depth=1
	s_or_b32 exec_lo, exec_lo, s17
	v_mov_b32_e32 v2, v11
	v_cmp_ne_u16_sdwa s0, v11, v3 src0_sel:BYTE_0 src1_sel:DWORD
	v_mov_b32_e32 v52, 0
	v_mov_b32_e32 v53, 0
	s_and_saveexec_b32 s17, s0
	s_cbranch_execz .LBB302_657
; %bb.650:                              ;   in Loop: Header=BB302_550 Depth=1
	v_cmp_ne_u16_sdwa s0, v11, v26 src0_sel:BYTE_0 src1_sel:DWORD
	v_mov_b32_e32 v53, 0x8000
	s_and_saveexec_b32 s18, s0
	s_cbranch_execz .LBB302_656
; %bb.651:                              ;   in Loop: Header=BB302_550 Depth=1
	v_and_b32_e32 v55, 0x7f, v11
	v_mov_b32_e32 v53, 0x7c01
	s_mov_b32 s21, exec_lo
	v_cmpx_ne_u32_e32 0x7f, v55
	s_cbranch_execz .LBB302_655
; %bb.652:                              ;   in Loop: Header=BB302_550 Depth=1
	v_and_b32_e32 v53, 7, v11
	v_lshrrev_b32_e32 v54, 3, v55
	s_mov_b32 s22, exec_lo
	v_cmpx_gt_u32_e32 8, v55
; %bb.653:                              ;   in Loop: Header=BB302_550 Depth=1
	v_ffbh_u32_e32 v53, v53
	v_min_u32_e32 v55, 32, v53
	v_subrev_nc_u32_e32 v53, 28, v55
	v_lshlrev_b64 v[53:54], v53, v[2:3]
	v_sub_nc_u32_e32 v54, 29, v55
	v_and_b32_e32 v53, 7, v53
; %bb.654:                              ;   in Loop: Header=BB302_550 Depth=1
	s_or_b32 exec_lo, exec_lo, s22
	v_lshlrev_b32_e32 v55, 8, v11
	v_lshl_add_u32 v54, v54, 10, 0x2000
	v_lshlrev_b32_e32 v53, 7, v53
	v_and_b32_e32 v55, 0x8000, v55
	v_and_b32_e32 v54, 0xfc00, v54
	v_or3_b32 v53, v55, v54, v53
.LBB302_655:                            ;   in Loop: Header=BB302_550 Depth=1
	s_or_b32 exec_lo, exec_lo, s21
.LBB302_656:                            ;   in Loop: Header=BB302_550 Depth=1
	s_or_b32 exec_lo, exec_lo, s18
.LBB302_657:                            ;   in Loop: Header=BB302_550 Depth=1
	s_or_b32 exec_lo, exec_lo, s17
	v_lshrrev_b16 v2, 8, v2
	v_mov_b32_e32 v54, 0
	s_mov_b32 s17, exec_lo
	v_cmpx_ne_u16_e32 0, v2
	s_cbranch_execz .LBB302_665
; %bb.658:                              ;   in Loop: Header=BB302_550 Depth=1
	v_bfrev_b32_e32 v54, 1
	s_mov_b32 s18, exec_lo
	v_cmpx_ne_u16_e32 0x80, v2
	s_cbranch_execz .LBB302_664
; %bb.659:                              ;   in Loop: Header=BB302_550 Depth=1
	v_and_b32_sdwa v56, v2, v27 dst_sel:DWORD dst_unused:UNUSED_PAD src0_sel:WORD_0 src1_sel:DWORD
	v_mov_b32_e32 v54, 0x7c010000
	s_mov_b32 s21, exec_lo
	v_cmpx_ne_u32_e32 0x7f, v56
	s_cbranch_execz .LBB302_663
; %bb.660:                              ;   in Loop: Header=BB302_550 Depth=1
	v_and_b32_sdwa v54, v2, v28 dst_sel:DWORD dst_unused:UNUSED_PAD src0_sel:WORD_0 src1_sel:DWORD
	v_lshrrev_b32_e32 v55, 3, v56
	s_mov_b32 s22, exec_lo
	v_cmpx_gt_u32_e32 8, v56
; %bb.661:                              ;   in Loop: Header=BB302_550 Depth=1
	v_ffbh_u32_e32 v54, v54
	v_min_u32_e32 v56, 32, v54
	v_subrev_nc_u32_e32 v54, 28, v56
	v_lshlrev_b64 v[54:55], v54, v[2:3]
	v_sub_nc_u32_e32 v55, 29, v56
	v_and_b32_e32 v54, 7, v54
; %bb.662:                              ;   in Loop: Header=BB302_550 Depth=1
	s_or_b32 exec_lo, exec_lo, s22
	v_lshlrev_b32_sdwa v2, v29, v2 dst_sel:DWORD dst_unused:UNUSED_PAD src0_sel:DWORD src1_sel:WORD_0
	v_lshl_add_u32 v55, v55, 10, 0x2000
	v_lshlrev_b32_e32 v54, 23, v54
	v_and_or_b32 v2, 0x8000, v2, v55
	v_lshl_or_b32 v54, v2, 16, v54
.LBB302_663:                            ;   in Loop: Header=BB302_550 Depth=1
	s_or_b32 exec_lo, exec_lo, s21
.LBB302_664:                            ;   in Loop: Header=BB302_550 Depth=1
	s_or_b32 exec_lo, exec_lo, s18
.LBB302_665:                            ;   in Loop: Header=BB302_550 Depth=1
	s_or_b32 exec_lo, exec_lo, s17
	v_lshrrev_b32_e32 v2, 16, v11
	v_cmp_ne_u16_sdwa s0, v2, v3 src0_sel:BYTE_0 src1_sel:DWORD
	s_and_saveexec_b32 s17, s0
	s_cbranch_execz .LBB302_673
; %bb.666:                              ;   in Loop: Header=BB302_550 Depth=1
	v_cmp_ne_u16_sdwa s0, v2, v26 src0_sel:BYTE_0 src1_sel:DWORD
	v_mov_b32_e32 v52, 0x8000
	s_and_saveexec_b32 s18, s0
	s_cbranch_execz .LBB302_672
; %bb.667:                              ;   in Loop: Header=BB302_550 Depth=1
	v_bfe_u32 v56, v11, 16, 7
	v_mov_b32_e32 v52, 0x7c01
	s_mov_b32 s21, exec_lo
	v_cmpx_ne_u32_e32 0x7f, v56
	s_cbranch_execz .LBB302_671
; %bb.668:                              ;   in Loop: Header=BB302_550 Depth=1
	v_and_b32_e32 v52, 7, v2
	v_lshrrev_b32_e32 v55, 3, v56
	s_mov_b32 s22, exec_lo
	v_cmpx_gt_u32_e32 8, v56
; %bb.669:                              ;   in Loop: Header=BB302_550 Depth=1
	v_ffbh_u32_e32 v52, v52
	v_min_u32_e32 v52, 32, v52
	v_subrev_nc_u32_e32 v55, 28, v52
	v_lshlrev_b64 v[56:57], v55, v[2:3]
	v_sub_nc_u32_e32 v55, 29, v52
	v_and_b32_e32 v52, 7, v56
; %bb.670:                              ;   in Loop: Header=BB302_550 Depth=1
	s_or_b32 exec_lo, exec_lo, s22
	v_lshlrev_b32_e32 v2, 8, v2
	v_lshl_add_u32 v55, v55, 10, 0x2000
	v_lshlrev_b32_e32 v52, 7, v52
	v_and_b32_e32 v2, 0x8000, v2
	v_and_b32_e32 v55, 0xfc00, v55
	v_or3_b32 v52, v2, v55, v52
.LBB302_671:                            ;   in Loop: Header=BB302_550 Depth=1
	s_or_b32 exec_lo, exec_lo, s21
.LBB302_672:                            ;   in Loop: Header=BB302_550 Depth=1
	s_or_b32 exec_lo, exec_lo, s18
.LBB302_673:                            ;   in Loop: Header=BB302_550 Depth=1
	s_or_b32 exec_lo, exec_lo, s17
	v_cmp_lt_u64_e64 s0, s[4:5], v[10:11]
	v_mov_b32_e32 v10, 0
	s_and_saveexec_b32 s17, s0
	s_cbranch_execz .LBB302_681
; %bb.674:                              ;   in Loop: Header=BB302_550 Depth=1
	v_lshrrev_b32_e32 v2, 24, v11
	v_bfrev_b32_e32 v10, 1
	s_mov_b32 s18, exec_lo
	v_cmpx_ne_u32_e32 0x80, v2
	s_cbranch_execz .LBB302_680
; %bb.675:                              ;   in Loop: Header=BB302_550 Depth=1
	v_and_b32_e32 v55, 0x7f, v2
	v_mov_b32_e32 v10, 0x7c010000
	s_mov_b32 s21, exec_lo
	v_cmpx_ne_u32_e32 0x7f, v55
	s_cbranch_execz .LBB302_679
; %bb.676:                              ;   in Loop: Header=BB302_550 Depth=1
	v_and_b32_e32 v10, 7, v2
	v_lshrrev_b32_e32 v11, 3, v55
	s_mov_b32 s22, exec_lo
	v_cmpx_gt_u32_e32 8, v55
; %bb.677:                              ;   in Loop: Header=BB302_550 Depth=1
	v_ffbh_u32_e32 v10, v10
	v_min_u32_e32 v55, 32, v10
	v_subrev_nc_u32_e32 v10, 28, v55
	v_lshlrev_b64 v[10:11], v10, v[2:3]
	v_sub_nc_u32_e32 v11, 29, v55
	v_and_b32_e32 v10, 7, v10
; %bb.678:                              ;   in Loop: Header=BB302_550 Depth=1
	s_or_b32 exec_lo, exec_lo, s22
	v_lshlrev_b32_e32 v2, 8, v2
	v_lshl_add_u32 v11, v11, 10, 0x2000
	v_lshlrev_b32_e32 v10, 23, v10
	v_and_or_b32 v2, 0x8000, v2, v11
	v_lshl_or_b32 v10, v2, 16, v10
.LBB302_679:                            ;   in Loop: Header=BB302_550 Depth=1
	s_or_b32 exec_lo, exec_lo, s21
.LBB302_680:                            ;   in Loop: Header=BB302_550 Depth=1
	s_or_b32 exec_lo, exec_lo, s18
.LBB302_681:                            ;   in Loop: Header=BB302_550 Depth=1
	s_or_b32 exec_lo, exec_lo, s17
	v_or_b32_e32 v2, v50, v51
	s_waitcnt vmcnt(0)
	v_fma_mixlo_f16 v11, v47, v50, 0 op_sel:[0,1,0] op_sel_hi:[0,1,0]
	v_or_b32_e32 v50, v48, v49
	v_fma_mixlo_f16 v48, v47, v48, 0 op_sel:[0,1,0] op_sel_hi:[0,1,0]
	v_or_b32_e32 v51, v54, v53
	v_or_b32_e32 v52, v10, v52
	v_fma_mixlo_f16 v53, v47, v2, 0 op_sel_hi:[0,1,0]
	v_fma_mixlo_f16 v10, v47, v10, 0 op_sel:[0,1,0] op_sel_hi:[0,1,0]
	v_lshlrev_b32_e32 v49, 16, v48
	v_fma_mixlo_f16 v48, v47, v50, 0 op_sel_hi:[0,1,0]
	v_fma_mixlo_f16 v50, v47, v54, 0 op_sel:[0,1,0] op_sel_hi:[0,1,0]
	v_fma_mixlo_f16 v51, v47, v51, 0 op_sel_hi:[0,1,0]
	v_fma_mixlo_f16 v52, v47, v52, 0 op_sel_hi:[0,1,0]
	v_lshlrev_b32_e32 v2, 16, v11
	v_and_b32_e32 v11, 0xffff, v53
	v_and_b32_e32 v55, 0xffff, v48
	v_lshlrev_b32_e32 v47, 16, v50
	v_and_b32_e32 v51, 0xffff, v51
	v_lshlrev_b32_e32 v10, 16, v10
	v_and_b32_e32 v48, 0xffff, v52
	v_or_b32_e32 v50, v2, v11
	v_or_b32_e32 v54, v49, v55
	;; [unrolled: 1-line block ×4, first 2 shown]
	s_and_saveexec_b32 s17, vcc_lo
	s_cbranch_execz .LBB302_683
; %bb.682:                              ;   in Loop: Header=BB302_550 Depth=1
	v_cmp_gt_i32_e64 s0, s31, v33
	v_cndmask_b32_e64 v50, 0, v55, s0
	v_cmp_gt_i32_e64 s0, s31, v41
	v_cndmask_b32_e64 v49, 0, v49, s0
	v_cmp_gt_i32_e64 s0, s31, v39
	v_or_b32_e32 v54, v49, v50
	v_cndmask_b32_e64 v11, 0, v11, s0
	v_cmp_gt_i32_e64 s0, s31, v38
	v_cndmask_b32_e64 v2, 0, v2, s0
	v_cmp_gt_i32_e64 s0, s31, v37
	v_or_b32_e32 v50, v2, v11
	;; [unrolled: 5-line block ×3, first 2 shown]
	v_cndmask_b32_e64 v48, 0, v48, s0
	v_cmp_gt_i32_e64 s0, s31, v34
	v_cndmask_b32_e64 v10, 0, v10, s0
	v_or_b32_e32 v52, v10, v48
.LBB302_683:                            ;   in Loop: Header=BB302_550 Depth=1
	s_or_b32 exec_lo, exec_lo, s17
	;;#ASMSTART
	v_pk_mul_f16 v2, v46, v54;

	;;#ASMEND
	;;#ASMSTART
	v_pk_mul_f16 v10, v45, v50;

	;;#ASMEND
	;; [unrolled: 4-line block ×4, first 2 shown]
	;;#ASMSTART
	v_pk_add_f16 v2, v2, v10;

	;;#ASMEND
	;;#ASMSTART
	v_pk_add_f16 v2, v2, v11;

	;;#ASMEND
	;;#ASMSTART
	v_pk_add_f16 v2, v2, v47;

	;;#ASMEND
	v_and_b32_e32 v10, 0xffff, v2
	v_lshrrev_b32_e32 v2, 16, v2
	;;#ASMSTART
	v_cvt_f32_f16 v47, v10;
	;;#ASMEND
	;;#ASMSTART
	v_cvt_f32_f16 v48, v2;
	;;#ASMEND
	global_load_dwordx2 v[10:11], v[8:9], off offset:512
	v_mov_b32_e32 v50, 0
	v_mov_b32_e32 v51, 0
	global_load_dword v49, v50, s[14:15]
	s_waitcnt vmcnt(1)
	v_cmp_ne_u16_sdwa s0, v10, v3 src0_sel:BYTE_0 src1_sel:DWORD
	s_and_saveexec_b32 s17, s0
	s_cbranch_execz .LBB302_691
; %bb.684:                              ;   in Loop: Header=BB302_550 Depth=1
	v_cmp_ne_u16_sdwa s0, v10, v26 src0_sel:BYTE_0 src1_sel:DWORD
	v_mov_b32_e32 v51, 0x8000
	s_and_saveexec_b32 s18, s0
	s_cbranch_execz .LBB302_690
; %bb.685:                              ;   in Loop: Header=BB302_550 Depth=1
	v_and_b32_e32 v52, 0x7f, v10
	v_mov_b32_e32 v51, 0x7c01
	s_mov_b32 s21, exec_lo
	v_cmpx_ne_u32_e32 0x7f, v52
	s_cbranch_execz .LBB302_689
; %bb.686:                              ;   in Loop: Header=BB302_550 Depth=1
	v_and_b32_e32 v2, 7, v10
	v_lshrrev_b32_e32 v51, 3, v52
	s_mov_b32 s22, exec_lo
	v_cmpx_gt_u32_e32 8, v52
; %bb.687:                              ;   in Loop: Header=BB302_550 Depth=1
	v_ffbh_u32_e32 v2, v2
	v_min_u32_e32 v2, 32, v2
	v_subrev_nc_u32_e32 v51, 28, v2
	v_lshlrev_b64 v[52:53], v51, v[10:11]
	v_sub_nc_u32_e32 v51, 29, v2
	v_and_b32_e32 v2, 7, v52
; %bb.688:                              ;   in Loop: Header=BB302_550 Depth=1
	s_or_b32 exec_lo, exec_lo, s22
	v_lshlrev_b32_e32 v52, 8, v10
	v_lshl_add_u32 v51, v51, 10, 0x2000
	v_lshlrev_b32_e32 v2, 7, v2
	v_and_b32_e32 v52, 0x8000, v52
	v_and_b32_e32 v51, 0xfc00, v51
	v_or3_b32 v51, v52, v51, v2
.LBB302_689:                            ;   in Loop: Header=BB302_550 Depth=1
	s_or_b32 exec_lo, exec_lo, s21
.LBB302_690:                            ;   in Loop: Header=BB302_550 Depth=1
	s_or_b32 exec_lo, exec_lo, s18
.LBB302_691:                            ;   in Loop: Header=BB302_550 Depth=1
	s_or_b32 exec_lo, exec_lo, s17
	v_lshrrev_b16 v2, 8, v10
	s_mov_b32 s17, exec_lo
	v_cmpx_ne_u16_e32 0, v2
	s_cbranch_execz .LBB302_699
; %bb.692:                              ;   in Loop: Header=BB302_550 Depth=1
	v_bfrev_b32_e32 v50, 1
	s_mov_b32 s18, exec_lo
	v_cmpx_ne_u16_e32 0x80, v2
	s_cbranch_execz .LBB302_698
; %bb.693:                              ;   in Loop: Header=BB302_550 Depth=1
	v_and_b32_sdwa v53, v2, v27 dst_sel:DWORD dst_unused:UNUSED_PAD src0_sel:WORD_0 src1_sel:DWORD
	v_mov_b32_e32 v50, 0x7c010000
	s_mov_b32 s21, exec_lo
	v_cmpx_ne_u32_e32 0x7f, v53
	s_cbranch_execz .LBB302_697
; %bb.694:                              ;   in Loop: Header=BB302_550 Depth=1
	v_and_b32_sdwa v50, v2, v28 dst_sel:DWORD dst_unused:UNUSED_PAD src0_sel:WORD_0 src1_sel:DWORD
	v_lshrrev_b32_e32 v52, 3, v53
	s_mov_b32 s22, exec_lo
	v_cmpx_gt_u32_e32 8, v53
; %bb.695:                              ;   in Loop: Header=BB302_550 Depth=1
	v_ffbh_u32_e32 v50, v50
	v_min_u32_e32 v50, 32, v50
	v_subrev_nc_u32_e32 v52, 28, v50
	v_lshlrev_b64 v[53:54], v52, v[2:3]
	v_sub_nc_u32_e32 v52, 29, v50
	v_and_b32_e32 v50, 7, v53
; %bb.696:                              ;   in Loop: Header=BB302_550 Depth=1
	s_or_b32 exec_lo, exec_lo, s22
	v_lshlrev_b32_sdwa v2, v29, v2 dst_sel:DWORD dst_unused:UNUSED_PAD src0_sel:DWORD src1_sel:WORD_0
	v_lshl_add_u32 v52, v52, 10, 0x2000
	v_lshlrev_b32_e32 v50, 23, v50
	v_and_or_b32 v2, 0x8000, v2, v52
	v_lshl_or_b32 v50, v2, 16, v50
.LBB302_697:                            ;   in Loop: Header=BB302_550 Depth=1
	s_or_b32 exec_lo, exec_lo, s21
.LBB302_698:                            ;   in Loop: Header=BB302_550 Depth=1
	s_or_b32 exec_lo, exec_lo, s18
.LBB302_699:                            ;   in Loop: Header=BB302_550 Depth=1
	s_or_b32 exec_lo, exec_lo, s17
	v_lshrrev_b32_e32 v2, 16, v10
	v_mov_b32_e32 v52, 0
	v_mov_b32_e32 v53, 0
	v_cmp_ne_u16_sdwa s0, v2, v3 src0_sel:BYTE_0 src1_sel:DWORD
	s_and_saveexec_b32 s17, s0
	s_cbranch_execz .LBB302_707
; %bb.700:                              ;   in Loop: Header=BB302_550 Depth=1
	v_cmp_ne_u16_sdwa s0, v2, v26 src0_sel:BYTE_0 src1_sel:DWORD
	v_mov_b32_e32 v53, 0x8000
	s_and_saveexec_b32 s18, s0
	s_cbranch_execz .LBB302_706
; %bb.701:                              ;   in Loop: Header=BB302_550 Depth=1
	v_bfe_u32 v55, v10, 16, 7
	v_mov_b32_e32 v53, 0x7c01
	s_mov_b32 s21, exec_lo
	v_cmpx_ne_u32_e32 0x7f, v55
	s_cbranch_execz .LBB302_705
; %bb.702:                              ;   in Loop: Header=BB302_550 Depth=1
	v_and_b32_e32 v53, 7, v2
	v_lshrrev_b32_e32 v54, 3, v55
	s_mov_b32 s22, exec_lo
	v_cmpx_gt_u32_e32 8, v55
; %bb.703:                              ;   in Loop: Header=BB302_550 Depth=1
	v_ffbh_u32_e32 v53, v53
	v_min_u32_e32 v55, 32, v53
	v_subrev_nc_u32_e32 v53, 28, v55
	v_lshlrev_b64 v[53:54], v53, v[2:3]
	v_sub_nc_u32_e32 v54, 29, v55
	v_and_b32_e32 v53, 7, v53
; %bb.704:                              ;   in Loop: Header=BB302_550 Depth=1
	s_or_b32 exec_lo, exec_lo, s22
	v_lshlrev_b32_e32 v2, 8, v2
	v_lshl_add_u32 v54, v54, 10, 0x2000
	v_lshlrev_b32_e32 v53, 7, v53
	v_and_b32_e32 v2, 0x8000, v2
	v_and_b32_e32 v54, 0xfc00, v54
	v_or3_b32 v53, v2, v54, v53
.LBB302_705:                            ;   in Loop: Header=BB302_550 Depth=1
	s_or_b32 exec_lo, exec_lo, s21
.LBB302_706:                            ;   in Loop: Header=BB302_550 Depth=1
	s_or_b32 exec_lo, exec_lo, s18
.LBB302_707:                            ;   in Loop: Header=BB302_550 Depth=1
	s_or_b32 exec_lo, exec_lo, s17
	s_mov_b32 s17, exec_lo
	v_cmpx_lt_u32_e32 0xffffff, v10
	s_cbranch_execz .LBB302_715
; %bb.708:                              ;   in Loop: Header=BB302_550 Depth=1
	v_lshrrev_b32_e32 v2, 24, v10
	v_bfrev_b32_e32 v52, 1
	s_mov_b32 s18, exec_lo
	v_cmpx_ne_u32_e32 0x80, v2
	s_cbranch_execz .LBB302_714
; %bb.709:                              ;   in Loop: Header=BB302_550 Depth=1
	v_and_b32_e32 v55, 0x7f, v2
	v_mov_b32_e32 v52, 0x7c010000
	s_mov_b32 s21, exec_lo
	v_cmpx_ne_u32_e32 0x7f, v55
	s_cbranch_execz .LBB302_713
; %bb.710:                              ;   in Loop: Header=BB302_550 Depth=1
	v_and_b32_e32 v52, 7, v2
	v_lshrrev_b32_e32 v54, 3, v55
	s_mov_b32 s22, exec_lo
	v_cmpx_gt_u32_e32 8, v55
; %bb.711:                              ;   in Loop: Header=BB302_550 Depth=1
	v_ffbh_u32_e32 v52, v52
	v_min_u32_e32 v52, 32, v52
	v_subrev_nc_u32_e32 v54, 28, v52
	v_lshlrev_b64 v[55:56], v54, v[2:3]
	v_sub_nc_u32_e32 v54, 29, v52
	v_and_b32_e32 v52, 7, v55
; %bb.712:                              ;   in Loop: Header=BB302_550 Depth=1
	s_or_b32 exec_lo, exec_lo, s22
	v_lshlrev_b32_e32 v2, 8, v2
	v_lshl_add_u32 v54, v54, 10, 0x2000
	v_lshlrev_b32_e32 v52, 23, v52
	v_and_or_b32 v2, 0x8000, v2, v54
	v_lshl_or_b32 v52, v2, 16, v52
.LBB302_713:                            ;   in Loop: Header=BB302_550 Depth=1
	s_or_b32 exec_lo, exec_lo, s21
.LBB302_714:                            ;   in Loop: Header=BB302_550 Depth=1
	s_or_b32 exec_lo, exec_lo, s18
.LBB302_715:                            ;   in Loop: Header=BB302_550 Depth=1
	s_or_b32 exec_lo, exec_lo, s17
	v_mov_b32_e32 v2, v11
	v_cmp_ne_u16_sdwa s0, v11, v3 src0_sel:BYTE_0 src1_sel:DWORD
	v_mov_b32_e32 v54, 0
	v_mov_b32_e32 v55, 0
	s_and_saveexec_b32 s17, s0
	s_cbranch_execz .LBB302_723
; %bb.716:                              ;   in Loop: Header=BB302_550 Depth=1
	v_cmp_ne_u16_sdwa s0, v11, v26 src0_sel:BYTE_0 src1_sel:DWORD
	v_mov_b32_e32 v55, 0x8000
	s_and_saveexec_b32 s18, s0
	s_cbranch_execz .LBB302_722
; %bb.717:                              ;   in Loop: Header=BB302_550 Depth=1
	v_and_b32_e32 v57, 0x7f, v11
	v_mov_b32_e32 v55, 0x7c01
	s_mov_b32 s21, exec_lo
	v_cmpx_ne_u32_e32 0x7f, v57
	s_cbranch_execz .LBB302_721
; %bb.718:                              ;   in Loop: Header=BB302_550 Depth=1
	v_and_b32_e32 v55, 7, v11
	v_lshrrev_b32_e32 v56, 3, v57
	s_mov_b32 s22, exec_lo
	v_cmpx_gt_u32_e32 8, v57
; %bb.719:                              ;   in Loop: Header=BB302_550 Depth=1
	v_ffbh_u32_e32 v55, v55
	v_min_u32_e32 v57, 32, v55
	v_subrev_nc_u32_e32 v55, 28, v57
	v_lshlrev_b64 v[55:56], v55, v[2:3]
	v_sub_nc_u32_e32 v56, 29, v57
	v_and_b32_e32 v55, 7, v55
; %bb.720:                              ;   in Loop: Header=BB302_550 Depth=1
	s_or_b32 exec_lo, exec_lo, s22
	v_lshlrev_b32_e32 v57, 8, v11
	v_lshl_add_u32 v56, v56, 10, 0x2000
	v_lshlrev_b32_e32 v55, 7, v55
	v_and_b32_e32 v57, 0x8000, v57
	v_and_b32_e32 v56, 0xfc00, v56
	v_or3_b32 v55, v57, v56, v55
.LBB302_721:                            ;   in Loop: Header=BB302_550 Depth=1
	s_or_b32 exec_lo, exec_lo, s21
.LBB302_722:                            ;   in Loop: Header=BB302_550 Depth=1
	s_or_b32 exec_lo, exec_lo, s18
.LBB302_723:                            ;   in Loop: Header=BB302_550 Depth=1
	s_or_b32 exec_lo, exec_lo, s17
	v_lshrrev_b16 v2, 8, v2
	v_mov_b32_e32 v56, 0
	s_mov_b32 s17, exec_lo
	v_cmpx_ne_u16_e32 0, v2
	s_cbranch_execz .LBB302_731
; %bb.724:                              ;   in Loop: Header=BB302_550 Depth=1
	v_bfrev_b32_e32 v56, 1
	s_mov_b32 s18, exec_lo
	v_cmpx_ne_u16_e32 0x80, v2
	s_cbranch_execz .LBB302_730
; %bb.725:                              ;   in Loop: Header=BB302_550 Depth=1
	v_and_b32_sdwa v58, v2, v27 dst_sel:DWORD dst_unused:UNUSED_PAD src0_sel:WORD_0 src1_sel:DWORD
	v_mov_b32_e32 v56, 0x7c010000
	s_mov_b32 s21, exec_lo
	v_cmpx_ne_u32_e32 0x7f, v58
	s_cbranch_execz .LBB302_729
; %bb.726:                              ;   in Loop: Header=BB302_550 Depth=1
	v_and_b32_sdwa v56, v2, v28 dst_sel:DWORD dst_unused:UNUSED_PAD src0_sel:WORD_0 src1_sel:DWORD
	v_lshrrev_b32_e32 v57, 3, v58
	s_mov_b32 s22, exec_lo
	v_cmpx_gt_u32_e32 8, v58
; %bb.727:                              ;   in Loop: Header=BB302_550 Depth=1
	v_ffbh_u32_e32 v56, v56
	v_min_u32_e32 v58, 32, v56
	v_subrev_nc_u32_e32 v56, 28, v58
	v_lshlrev_b64 v[56:57], v56, v[2:3]
	v_sub_nc_u32_e32 v57, 29, v58
	v_and_b32_e32 v56, 7, v56
; %bb.728:                              ;   in Loop: Header=BB302_550 Depth=1
	s_or_b32 exec_lo, exec_lo, s22
	v_lshlrev_b32_sdwa v2, v29, v2 dst_sel:DWORD dst_unused:UNUSED_PAD src0_sel:DWORD src1_sel:WORD_0
	v_lshl_add_u32 v57, v57, 10, 0x2000
	v_lshlrev_b32_e32 v56, 23, v56
	v_and_or_b32 v2, 0x8000, v2, v57
	v_lshl_or_b32 v56, v2, 16, v56
.LBB302_729:                            ;   in Loop: Header=BB302_550 Depth=1
	s_or_b32 exec_lo, exec_lo, s21
.LBB302_730:                            ;   in Loop: Header=BB302_550 Depth=1
	s_or_b32 exec_lo, exec_lo, s18
.LBB302_731:                            ;   in Loop: Header=BB302_550 Depth=1
	s_or_b32 exec_lo, exec_lo, s17
	v_lshrrev_b32_e32 v2, 16, v11
	v_cmp_ne_u16_sdwa s0, v2, v3 src0_sel:BYTE_0 src1_sel:DWORD
	s_and_saveexec_b32 s17, s0
	s_cbranch_execz .LBB302_739
; %bb.732:                              ;   in Loop: Header=BB302_550 Depth=1
	v_cmp_ne_u16_sdwa s0, v2, v26 src0_sel:BYTE_0 src1_sel:DWORD
	v_mov_b32_e32 v54, 0x8000
	s_and_saveexec_b32 s18, s0
	s_cbranch_execz .LBB302_738
; %bb.733:                              ;   in Loop: Header=BB302_550 Depth=1
	v_bfe_u32 v58, v11, 16, 7
	v_mov_b32_e32 v54, 0x7c01
	s_mov_b32 s21, exec_lo
	v_cmpx_ne_u32_e32 0x7f, v58
	s_cbranch_execz .LBB302_737
; %bb.734:                              ;   in Loop: Header=BB302_550 Depth=1
	v_and_b32_e32 v54, 7, v2
	v_lshrrev_b32_e32 v57, 3, v58
	s_mov_b32 s22, exec_lo
	v_cmpx_gt_u32_e32 8, v58
; %bb.735:                              ;   in Loop: Header=BB302_550 Depth=1
	v_ffbh_u32_e32 v54, v54
	v_min_u32_e32 v54, 32, v54
	v_subrev_nc_u32_e32 v57, 28, v54
	v_lshlrev_b64 v[58:59], v57, v[2:3]
	v_sub_nc_u32_e32 v57, 29, v54
	v_and_b32_e32 v54, 7, v58
; %bb.736:                              ;   in Loop: Header=BB302_550 Depth=1
	s_or_b32 exec_lo, exec_lo, s22
	v_lshlrev_b32_e32 v2, 8, v2
	v_lshl_add_u32 v57, v57, 10, 0x2000
	v_lshlrev_b32_e32 v54, 7, v54
	v_and_b32_e32 v2, 0x8000, v2
	v_and_b32_e32 v57, 0xfc00, v57
	v_or3_b32 v54, v2, v57, v54
.LBB302_737:                            ;   in Loop: Header=BB302_550 Depth=1
	s_or_b32 exec_lo, exec_lo, s21
.LBB302_738:                            ;   in Loop: Header=BB302_550 Depth=1
	s_or_b32 exec_lo, exec_lo, s18
.LBB302_739:                            ;   in Loop: Header=BB302_550 Depth=1
	s_or_b32 exec_lo, exec_lo, s17
	v_cmp_lt_u64_e64 s0, s[4:5], v[10:11]
	v_mov_b32_e32 v10, 0
	s_and_saveexec_b32 s17, s0
	s_cbranch_execz .LBB302_747
; %bb.740:                              ;   in Loop: Header=BB302_550 Depth=1
	v_lshrrev_b32_e32 v2, 24, v11
	v_bfrev_b32_e32 v10, 1
	s_mov_b32 s18, exec_lo
	v_cmpx_ne_u32_e32 0x80, v2
	s_cbranch_execz .LBB302_746
; %bb.741:                              ;   in Loop: Header=BB302_550 Depth=1
	v_and_b32_e32 v57, 0x7f, v2
	v_mov_b32_e32 v10, 0x7c010000
	s_mov_b32 s21, exec_lo
	v_cmpx_ne_u32_e32 0x7f, v57
	s_cbranch_execz .LBB302_745
; %bb.742:                              ;   in Loop: Header=BB302_550 Depth=1
	v_and_b32_e32 v10, 7, v2
	v_lshrrev_b32_e32 v11, 3, v57
	s_mov_b32 s22, exec_lo
	v_cmpx_gt_u32_e32 8, v57
; %bb.743:                              ;   in Loop: Header=BB302_550 Depth=1
	v_ffbh_u32_e32 v10, v10
	v_min_u32_e32 v57, 32, v10
	v_subrev_nc_u32_e32 v10, 28, v57
	v_lshlrev_b64 v[10:11], v10, v[2:3]
	v_sub_nc_u32_e32 v11, 29, v57
	v_and_b32_e32 v10, 7, v10
; %bb.744:                              ;   in Loop: Header=BB302_550 Depth=1
	s_or_b32 exec_lo, exec_lo, s22
	v_lshlrev_b32_e32 v2, 8, v2
	v_lshl_add_u32 v11, v11, 10, 0x2000
	v_lshlrev_b32_e32 v10, 23, v10
	v_and_or_b32 v2, 0x8000, v2, v11
	v_lshl_or_b32 v10, v2, 16, v10
.LBB302_745:                            ;   in Loop: Header=BB302_550 Depth=1
	s_or_b32 exec_lo, exec_lo, s21
.LBB302_746:                            ;   in Loop: Header=BB302_550 Depth=1
	s_or_b32 exec_lo, exec_lo, s18
.LBB302_747:                            ;   in Loop: Header=BB302_550 Depth=1
	s_or_b32 exec_lo, exec_lo, s17
	v_or_b32_e32 v2, v52, v53
	s_waitcnt vmcnt(0)
	v_fma_mixlo_f16 v11, v49, v52, 0 op_sel:[0,1,0] op_sel_hi:[0,1,0]
	v_or_b32_e32 v52, v50, v51
	v_fma_mixlo_f16 v50, v49, v50, 0 op_sel:[0,1,0] op_sel_hi:[0,1,0]
	v_or_b32_e32 v53, v56, v55
	v_or_b32_e32 v54, v10, v54
	v_fma_mixlo_f16 v55, v49, v2, 0 op_sel_hi:[0,1,0]
	v_fma_mixlo_f16 v10, v49, v10, 0 op_sel:[0,1,0] op_sel_hi:[0,1,0]
	v_lshlrev_b32_e32 v51, 16, v50
	v_fma_mixlo_f16 v50, v49, v52, 0 op_sel_hi:[0,1,0]
	v_fma_mixlo_f16 v52, v49, v56, 0 op_sel:[0,1,0] op_sel_hi:[0,1,0]
	v_fma_mixlo_f16 v53, v49, v53, 0 op_sel_hi:[0,1,0]
	v_fma_mixlo_f16 v54, v49, v54, 0 op_sel_hi:[0,1,0]
	v_lshlrev_b32_e32 v2, 16, v11
	v_and_b32_e32 v11, 0xffff, v55
	v_and_b32_e32 v57, 0xffff, v50
	v_lshlrev_b32_e32 v49, 16, v52
	v_and_b32_e32 v53, 0xffff, v53
	v_lshlrev_b32_e32 v10, 16, v10
	v_and_b32_e32 v50, 0xffff, v54
	v_or_b32_e32 v52, v2, v11
	v_or_b32_e32 v56, v51, v57
	;; [unrolled: 1-line block ×4, first 2 shown]
	s_and_saveexec_b32 s17, vcc_lo
	s_cbranch_execz .LBB302_749
; %bb.748:                              ;   in Loop: Header=BB302_550 Depth=1
	v_cmp_gt_i32_e64 s0, s31, v33
	v_cndmask_b32_e64 v52, 0, v57, s0
	v_cmp_gt_i32_e64 s0, s31, v41
	v_cndmask_b32_e64 v51, 0, v51, s0
	v_cmp_gt_i32_e64 s0, s31, v39
	v_or_b32_e32 v56, v51, v52
	v_cndmask_b32_e64 v11, 0, v11, s0
	v_cmp_gt_i32_e64 s0, s31, v38
	v_cndmask_b32_e64 v2, 0, v2, s0
	v_cmp_gt_i32_e64 s0, s31, v37
	v_or_b32_e32 v52, v2, v11
	;; [unrolled: 5-line block ×3, first 2 shown]
	v_cndmask_b32_e64 v50, 0, v50, s0
	v_cmp_gt_i32_e64 s0, s31, v34
	v_cndmask_b32_e64 v10, 0, v10, s0
	v_or_b32_e32 v54, v10, v50
.LBB302_749:                            ;   in Loop: Header=BB302_550 Depth=1
	s_or_b32 exec_lo, exec_lo, s17
	;;#ASMSTART
	v_pk_mul_f16 v2, v46, v56;

	;;#ASMEND
	;;#ASMSTART
	v_pk_mul_f16 v10, v45, v52;

	;;#ASMEND
	;; [unrolled: 4-line block ×4, first 2 shown]
	;;#ASMSTART
	v_pk_add_f16 v2, v2, v10;

	;;#ASMEND
	;;#ASMSTART
	v_pk_add_f16 v2, v2, v11;

	;;#ASMEND
	;; [unrolled: 4-line block ×3, first 2 shown]
	v_and_b32_e32 v10, 0xffff, v2
	v_lshrrev_b32_e32 v2, 16, v2
	;;#ASMSTART
	v_cvt_f32_f16 v49, v10;
	;;#ASMEND
	;;#ASMSTART
	v_cvt_f32_f16 v50, v2;
	;;#ASMEND
	global_load_dwordx2 v[10:11], v[8:9], off offset:768
	v_mov_b32_e32 v52, 0
	v_mov_b32_e32 v53, 0
	global_load_dword v51, v52, s[14:15]
	s_waitcnt vmcnt(1)
	v_cmp_ne_u16_sdwa s0, v10, v3 src0_sel:BYTE_0 src1_sel:DWORD
	s_and_saveexec_b32 s17, s0
	s_cbranch_execz .LBB302_757
; %bb.750:                              ;   in Loop: Header=BB302_550 Depth=1
	v_cmp_ne_u16_sdwa s0, v10, v26 src0_sel:BYTE_0 src1_sel:DWORD
	v_mov_b32_e32 v53, 0x8000
	s_and_saveexec_b32 s18, s0
	s_cbranch_execz .LBB302_756
; %bb.751:                              ;   in Loop: Header=BB302_550 Depth=1
	v_and_b32_e32 v54, 0x7f, v10
	v_mov_b32_e32 v53, 0x7c01
	s_mov_b32 s21, exec_lo
	v_cmpx_ne_u32_e32 0x7f, v54
	s_cbranch_execz .LBB302_755
; %bb.752:                              ;   in Loop: Header=BB302_550 Depth=1
	v_and_b32_e32 v2, 7, v10
	v_lshrrev_b32_e32 v53, 3, v54
	s_mov_b32 s22, exec_lo
	v_cmpx_gt_u32_e32 8, v54
; %bb.753:                              ;   in Loop: Header=BB302_550 Depth=1
	v_ffbh_u32_e32 v2, v2
	v_min_u32_e32 v2, 32, v2
	v_subrev_nc_u32_e32 v53, 28, v2
	v_lshlrev_b64 v[54:55], v53, v[10:11]
	v_sub_nc_u32_e32 v53, 29, v2
	v_and_b32_e32 v2, 7, v54
; %bb.754:                              ;   in Loop: Header=BB302_550 Depth=1
	s_or_b32 exec_lo, exec_lo, s22
	v_lshlrev_b32_e32 v54, 8, v10
	v_lshl_add_u32 v53, v53, 10, 0x2000
	v_lshlrev_b32_e32 v2, 7, v2
	v_and_b32_e32 v54, 0x8000, v54
	v_and_b32_e32 v53, 0xfc00, v53
	v_or3_b32 v53, v54, v53, v2
.LBB302_755:                            ;   in Loop: Header=BB302_550 Depth=1
	s_or_b32 exec_lo, exec_lo, s21
.LBB302_756:                            ;   in Loop: Header=BB302_550 Depth=1
	s_or_b32 exec_lo, exec_lo, s18
.LBB302_757:                            ;   in Loop: Header=BB302_550 Depth=1
	s_or_b32 exec_lo, exec_lo, s17
	v_lshrrev_b16 v2, 8, v10
	s_mov_b32 s17, exec_lo
	v_cmpx_ne_u16_e32 0, v2
	s_cbranch_execz .LBB302_765
; %bb.758:                              ;   in Loop: Header=BB302_550 Depth=1
	v_bfrev_b32_e32 v52, 1
	s_mov_b32 s18, exec_lo
	v_cmpx_ne_u16_e32 0x80, v2
	s_cbranch_execz .LBB302_764
; %bb.759:                              ;   in Loop: Header=BB302_550 Depth=1
	v_and_b32_sdwa v55, v2, v27 dst_sel:DWORD dst_unused:UNUSED_PAD src0_sel:WORD_0 src1_sel:DWORD
	v_mov_b32_e32 v52, 0x7c010000
	s_mov_b32 s21, exec_lo
	v_cmpx_ne_u32_e32 0x7f, v55
	s_cbranch_execz .LBB302_763
; %bb.760:                              ;   in Loop: Header=BB302_550 Depth=1
	v_and_b32_sdwa v52, v2, v28 dst_sel:DWORD dst_unused:UNUSED_PAD src0_sel:WORD_0 src1_sel:DWORD
	v_lshrrev_b32_e32 v54, 3, v55
	s_mov_b32 s22, exec_lo
	v_cmpx_gt_u32_e32 8, v55
; %bb.761:                              ;   in Loop: Header=BB302_550 Depth=1
	v_ffbh_u32_e32 v52, v52
	v_min_u32_e32 v52, 32, v52
	v_subrev_nc_u32_e32 v54, 28, v52
	v_lshlrev_b64 v[55:56], v54, v[2:3]
	v_sub_nc_u32_e32 v54, 29, v52
	v_and_b32_e32 v52, 7, v55
; %bb.762:                              ;   in Loop: Header=BB302_550 Depth=1
	s_or_b32 exec_lo, exec_lo, s22
	v_lshlrev_b32_sdwa v2, v29, v2 dst_sel:DWORD dst_unused:UNUSED_PAD src0_sel:DWORD src1_sel:WORD_0
	v_lshl_add_u32 v54, v54, 10, 0x2000
	v_lshlrev_b32_e32 v52, 23, v52
	v_and_or_b32 v2, 0x8000, v2, v54
	v_lshl_or_b32 v52, v2, 16, v52
.LBB302_763:                            ;   in Loop: Header=BB302_550 Depth=1
	s_or_b32 exec_lo, exec_lo, s21
.LBB302_764:                            ;   in Loop: Header=BB302_550 Depth=1
	s_or_b32 exec_lo, exec_lo, s18
.LBB302_765:                            ;   in Loop: Header=BB302_550 Depth=1
	s_or_b32 exec_lo, exec_lo, s17
	v_lshrrev_b32_e32 v2, 16, v10
	v_mov_b32_e32 v54, 0
	v_mov_b32_e32 v55, 0
	v_cmp_ne_u16_sdwa s0, v2, v3 src0_sel:BYTE_0 src1_sel:DWORD
	s_and_saveexec_b32 s17, s0
	s_cbranch_execz .LBB302_773
; %bb.766:                              ;   in Loop: Header=BB302_550 Depth=1
	v_cmp_ne_u16_sdwa s0, v2, v26 src0_sel:BYTE_0 src1_sel:DWORD
	v_mov_b32_e32 v55, 0x8000
	s_and_saveexec_b32 s18, s0
	s_cbranch_execz .LBB302_772
; %bb.767:                              ;   in Loop: Header=BB302_550 Depth=1
	v_bfe_u32 v57, v10, 16, 7
	v_mov_b32_e32 v55, 0x7c01
	s_mov_b32 s21, exec_lo
	v_cmpx_ne_u32_e32 0x7f, v57
	s_cbranch_execz .LBB302_771
; %bb.768:                              ;   in Loop: Header=BB302_550 Depth=1
	v_and_b32_e32 v55, 7, v2
	v_lshrrev_b32_e32 v56, 3, v57
	s_mov_b32 s22, exec_lo
	v_cmpx_gt_u32_e32 8, v57
; %bb.769:                              ;   in Loop: Header=BB302_550 Depth=1
	v_ffbh_u32_e32 v55, v55
	v_min_u32_e32 v57, 32, v55
	v_subrev_nc_u32_e32 v55, 28, v57
	v_lshlrev_b64 v[55:56], v55, v[2:3]
	v_sub_nc_u32_e32 v56, 29, v57
	v_and_b32_e32 v55, 7, v55
; %bb.770:                              ;   in Loop: Header=BB302_550 Depth=1
	s_or_b32 exec_lo, exec_lo, s22
	v_lshlrev_b32_e32 v2, 8, v2
	v_lshl_add_u32 v56, v56, 10, 0x2000
	v_lshlrev_b32_e32 v55, 7, v55
	v_and_b32_e32 v2, 0x8000, v2
	v_and_b32_e32 v56, 0xfc00, v56
	v_or3_b32 v55, v2, v56, v55
.LBB302_771:                            ;   in Loop: Header=BB302_550 Depth=1
	s_or_b32 exec_lo, exec_lo, s21
.LBB302_772:                            ;   in Loop: Header=BB302_550 Depth=1
	s_or_b32 exec_lo, exec_lo, s18
.LBB302_773:                            ;   in Loop: Header=BB302_550 Depth=1
	s_or_b32 exec_lo, exec_lo, s17
	s_mov_b32 s17, exec_lo
	v_cmpx_lt_u32_e32 0xffffff, v10
	s_cbranch_execz .LBB302_781
; %bb.774:                              ;   in Loop: Header=BB302_550 Depth=1
	v_lshrrev_b32_e32 v2, 24, v10
	v_bfrev_b32_e32 v54, 1
	s_mov_b32 s18, exec_lo
	v_cmpx_ne_u32_e32 0x80, v2
	s_cbranch_execz .LBB302_780
; %bb.775:                              ;   in Loop: Header=BB302_550 Depth=1
	v_and_b32_e32 v57, 0x7f, v2
	v_mov_b32_e32 v54, 0x7c010000
	s_mov_b32 s21, exec_lo
	v_cmpx_ne_u32_e32 0x7f, v57
	s_cbranch_execz .LBB302_779
; %bb.776:                              ;   in Loop: Header=BB302_550 Depth=1
	v_and_b32_e32 v54, 7, v2
	v_lshrrev_b32_e32 v56, 3, v57
	s_mov_b32 s22, exec_lo
	v_cmpx_gt_u32_e32 8, v57
; %bb.777:                              ;   in Loop: Header=BB302_550 Depth=1
	v_ffbh_u32_e32 v54, v54
	v_min_u32_e32 v54, 32, v54
	v_subrev_nc_u32_e32 v56, 28, v54
	v_lshlrev_b64 v[57:58], v56, v[2:3]
	v_sub_nc_u32_e32 v56, 29, v54
	v_and_b32_e32 v54, 7, v57
; %bb.778:                              ;   in Loop: Header=BB302_550 Depth=1
	s_or_b32 exec_lo, exec_lo, s22
	v_lshlrev_b32_e32 v2, 8, v2
	v_lshl_add_u32 v56, v56, 10, 0x2000
	v_lshlrev_b32_e32 v54, 23, v54
	v_and_or_b32 v2, 0x8000, v2, v56
	v_lshl_or_b32 v54, v2, 16, v54
.LBB302_779:                            ;   in Loop: Header=BB302_550 Depth=1
	s_or_b32 exec_lo, exec_lo, s21
.LBB302_780:                            ;   in Loop: Header=BB302_550 Depth=1
	s_or_b32 exec_lo, exec_lo, s18
.LBB302_781:                            ;   in Loop: Header=BB302_550 Depth=1
	s_or_b32 exec_lo, exec_lo, s17
	v_mov_b32_e32 v2, v11
	v_cmp_ne_u16_sdwa s0, v11, v3 src0_sel:BYTE_0 src1_sel:DWORD
	v_mov_b32_e32 v56, 0
	v_mov_b32_e32 v57, 0
	s_and_saveexec_b32 s17, s0
	s_cbranch_execz .LBB302_789
; %bb.782:                              ;   in Loop: Header=BB302_550 Depth=1
	v_cmp_ne_u16_sdwa s0, v11, v26 src0_sel:BYTE_0 src1_sel:DWORD
	v_mov_b32_e32 v57, 0x8000
	s_and_saveexec_b32 s18, s0
	s_cbranch_execz .LBB302_788
; %bb.783:                              ;   in Loop: Header=BB302_550 Depth=1
	v_and_b32_e32 v59, 0x7f, v11
	v_mov_b32_e32 v57, 0x7c01
	s_mov_b32 s21, exec_lo
	v_cmpx_ne_u32_e32 0x7f, v59
	s_cbranch_execz .LBB302_787
; %bb.784:                              ;   in Loop: Header=BB302_550 Depth=1
	v_and_b32_e32 v57, 7, v11
	v_lshrrev_b32_e32 v58, 3, v59
	s_mov_b32 s22, exec_lo
	v_cmpx_gt_u32_e32 8, v59
; %bb.785:                              ;   in Loop: Header=BB302_550 Depth=1
	v_ffbh_u32_e32 v57, v57
	v_min_u32_e32 v59, 32, v57
	v_subrev_nc_u32_e32 v57, 28, v59
	v_lshlrev_b64 v[57:58], v57, v[2:3]
	v_sub_nc_u32_e32 v58, 29, v59
	v_and_b32_e32 v57, 7, v57
; %bb.786:                              ;   in Loop: Header=BB302_550 Depth=1
	s_or_b32 exec_lo, exec_lo, s22
	v_lshlrev_b32_e32 v59, 8, v11
	v_lshl_add_u32 v58, v58, 10, 0x2000
	v_lshlrev_b32_e32 v57, 7, v57
	v_and_b32_e32 v59, 0x8000, v59
	v_and_b32_e32 v58, 0xfc00, v58
	v_or3_b32 v57, v59, v58, v57
.LBB302_787:                            ;   in Loop: Header=BB302_550 Depth=1
	s_or_b32 exec_lo, exec_lo, s21
.LBB302_788:                            ;   in Loop: Header=BB302_550 Depth=1
	s_or_b32 exec_lo, exec_lo, s18
.LBB302_789:                            ;   in Loop: Header=BB302_550 Depth=1
	s_or_b32 exec_lo, exec_lo, s17
	v_lshrrev_b16 v2, 8, v2
	v_mov_b32_e32 v58, 0
	s_mov_b32 s17, exec_lo
	v_cmpx_ne_u16_e32 0, v2
	s_cbranch_execz .LBB302_797
; %bb.790:                              ;   in Loop: Header=BB302_550 Depth=1
	v_bfrev_b32_e32 v58, 1
	s_mov_b32 s18, exec_lo
	v_cmpx_ne_u16_e32 0x80, v2
	s_cbranch_execz .LBB302_796
; %bb.791:                              ;   in Loop: Header=BB302_550 Depth=1
	v_and_b32_sdwa v60, v2, v27 dst_sel:DWORD dst_unused:UNUSED_PAD src0_sel:WORD_0 src1_sel:DWORD
	v_mov_b32_e32 v58, 0x7c010000
	s_mov_b32 s21, exec_lo
	v_cmpx_ne_u32_e32 0x7f, v60
	s_cbranch_execz .LBB302_795
; %bb.792:                              ;   in Loop: Header=BB302_550 Depth=1
	v_and_b32_sdwa v58, v2, v28 dst_sel:DWORD dst_unused:UNUSED_PAD src0_sel:WORD_0 src1_sel:DWORD
	v_lshrrev_b32_e32 v59, 3, v60
	s_mov_b32 s22, exec_lo
	v_cmpx_gt_u32_e32 8, v60
; %bb.793:                              ;   in Loop: Header=BB302_550 Depth=1
	v_ffbh_u32_e32 v58, v58
	v_min_u32_e32 v60, 32, v58
	v_subrev_nc_u32_e32 v58, 28, v60
	v_lshlrev_b64 v[58:59], v58, v[2:3]
	v_sub_nc_u32_e32 v59, 29, v60
	v_and_b32_e32 v58, 7, v58
; %bb.794:                              ;   in Loop: Header=BB302_550 Depth=1
	s_or_b32 exec_lo, exec_lo, s22
	v_lshlrev_b32_sdwa v2, v29, v2 dst_sel:DWORD dst_unused:UNUSED_PAD src0_sel:DWORD src1_sel:WORD_0
	v_lshl_add_u32 v59, v59, 10, 0x2000
	v_lshlrev_b32_e32 v58, 23, v58
	v_and_or_b32 v2, 0x8000, v2, v59
	v_lshl_or_b32 v58, v2, 16, v58
.LBB302_795:                            ;   in Loop: Header=BB302_550 Depth=1
	s_or_b32 exec_lo, exec_lo, s21
.LBB302_796:                            ;   in Loop: Header=BB302_550 Depth=1
	s_or_b32 exec_lo, exec_lo, s18
.LBB302_797:                            ;   in Loop: Header=BB302_550 Depth=1
	s_or_b32 exec_lo, exec_lo, s17
	v_lshrrev_b32_e32 v2, 16, v11
	v_cmp_ne_u16_sdwa s0, v2, v3 src0_sel:BYTE_0 src1_sel:DWORD
	s_and_saveexec_b32 s17, s0
	s_cbranch_execz .LBB302_805
; %bb.798:                              ;   in Loop: Header=BB302_550 Depth=1
	v_cmp_ne_u16_sdwa s0, v2, v26 src0_sel:BYTE_0 src1_sel:DWORD
	v_mov_b32_e32 v56, 0x8000
	s_and_saveexec_b32 s18, s0
	s_cbranch_execz .LBB302_804
; %bb.799:                              ;   in Loop: Header=BB302_550 Depth=1
	v_bfe_u32 v60, v11, 16, 7
	v_mov_b32_e32 v56, 0x7c01
	s_mov_b32 s21, exec_lo
	v_cmpx_ne_u32_e32 0x7f, v60
	s_cbranch_execz .LBB302_803
; %bb.800:                              ;   in Loop: Header=BB302_550 Depth=1
	v_and_b32_e32 v56, 7, v2
	v_lshrrev_b32_e32 v59, 3, v60
	s_mov_b32 s22, exec_lo
	v_cmpx_gt_u32_e32 8, v60
; %bb.801:                              ;   in Loop: Header=BB302_550 Depth=1
	v_ffbh_u32_e32 v56, v56
	v_min_u32_e32 v56, 32, v56
	v_subrev_nc_u32_e32 v59, 28, v56
	v_lshlrev_b64 v[60:61], v59, v[2:3]
	v_sub_nc_u32_e32 v59, 29, v56
	v_and_b32_e32 v56, 7, v60
; %bb.802:                              ;   in Loop: Header=BB302_550 Depth=1
	s_or_b32 exec_lo, exec_lo, s22
	v_lshlrev_b32_e32 v2, 8, v2
	v_lshl_add_u32 v59, v59, 10, 0x2000
	v_lshlrev_b32_e32 v56, 7, v56
	v_and_b32_e32 v2, 0x8000, v2
	v_and_b32_e32 v59, 0xfc00, v59
	v_or3_b32 v56, v2, v59, v56
.LBB302_803:                            ;   in Loop: Header=BB302_550 Depth=1
	s_or_b32 exec_lo, exec_lo, s21
.LBB302_804:                            ;   in Loop: Header=BB302_550 Depth=1
	s_or_b32 exec_lo, exec_lo, s18
.LBB302_805:                            ;   in Loop: Header=BB302_550 Depth=1
	s_or_b32 exec_lo, exec_lo, s17
	v_cmp_lt_u64_e64 s0, s[4:5], v[10:11]
	v_mov_b32_e32 v10, 0
	s_and_saveexec_b32 s17, s0
	s_cbranch_execz .LBB302_813
; %bb.806:                              ;   in Loop: Header=BB302_550 Depth=1
	v_lshrrev_b32_e32 v2, 24, v11
	v_bfrev_b32_e32 v10, 1
	s_mov_b32 s18, exec_lo
	v_cmpx_ne_u32_e32 0x80, v2
	s_cbranch_execz .LBB302_812
; %bb.807:                              ;   in Loop: Header=BB302_550 Depth=1
	v_and_b32_e32 v59, 0x7f, v2
	v_mov_b32_e32 v10, 0x7c010000
	s_mov_b32 s21, exec_lo
	v_cmpx_ne_u32_e32 0x7f, v59
	s_cbranch_execz .LBB302_811
; %bb.808:                              ;   in Loop: Header=BB302_550 Depth=1
	v_and_b32_e32 v10, 7, v2
	v_lshrrev_b32_e32 v11, 3, v59
	s_mov_b32 s22, exec_lo
	v_cmpx_gt_u32_e32 8, v59
; %bb.809:                              ;   in Loop: Header=BB302_550 Depth=1
	v_ffbh_u32_e32 v10, v10
	v_min_u32_e32 v59, 32, v10
	v_subrev_nc_u32_e32 v10, 28, v59
	v_lshlrev_b64 v[10:11], v10, v[2:3]
	v_sub_nc_u32_e32 v11, 29, v59
	v_and_b32_e32 v10, 7, v10
; %bb.810:                              ;   in Loop: Header=BB302_550 Depth=1
	s_or_b32 exec_lo, exec_lo, s22
	v_lshlrev_b32_e32 v2, 8, v2
	v_lshl_add_u32 v11, v11, 10, 0x2000
	v_lshlrev_b32_e32 v10, 23, v10
	v_and_or_b32 v2, 0x8000, v2, v11
	v_lshl_or_b32 v10, v2, 16, v10
.LBB302_811:                            ;   in Loop: Header=BB302_550 Depth=1
	s_or_b32 exec_lo, exec_lo, s21
.LBB302_812:                            ;   in Loop: Header=BB302_550 Depth=1
	s_or_b32 exec_lo, exec_lo, s18
.LBB302_813:                            ;   in Loop: Header=BB302_550 Depth=1
	s_or_b32 exec_lo, exec_lo, s17
	v_or_b32_e32 v2, v54, v55
	s_waitcnt vmcnt(0)
	v_fma_mixlo_f16 v11, v51, v54, 0 op_sel:[0,1,0] op_sel_hi:[0,1,0]
	v_or_b32_e32 v54, v52, v53
	v_fma_mixlo_f16 v52, v51, v52, 0 op_sel:[0,1,0] op_sel_hi:[0,1,0]
	v_or_b32_e32 v55, v58, v57
	v_or_b32_e32 v56, v10, v56
	v_fma_mixlo_f16 v57, v51, v2, 0 op_sel_hi:[0,1,0]
	v_fma_mixlo_f16 v10, v51, v10, 0 op_sel:[0,1,0] op_sel_hi:[0,1,0]
	v_lshlrev_b32_e32 v53, 16, v52
	v_fma_mixlo_f16 v52, v51, v54, 0 op_sel_hi:[0,1,0]
	v_fma_mixlo_f16 v54, v51, v58, 0 op_sel:[0,1,0] op_sel_hi:[0,1,0]
	v_fma_mixlo_f16 v55, v51, v55, 0 op_sel_hi:[0,1,0]
	v_fma_mixlo_f16 v56, v51, v56, 0 op_sel_hi:[0,1,0]
	v_lshlrev_b32_e32 v2, 16, v11
	v_and_b32_e32 v11, 0xffff, v57
	v_and_b32_e32 v59, 0xffff, v52
	v_lshlrev_b32_e32 v51, 16, v54
	v_and_b32_e32 v55, 0xffff, v55
	v_lshlrev_b32_e32 v10, 16, v10
	v_and_b32_e32 v52, 0xffff, v56
	v_or_b32_e32 v54, v2, v11
	v_or_b32_e32 v58, v53, v59
	;; [unrolled: 1-line block ×4, first 2 shown]
	s_and_saveexec_b32 s17, vcc_lo
	s_cbranch_execz .LBB302_815
; %bb.814:                              ;   in Loop: Header=BB302_550 Depth=1
	v_cmp_gt_i32_e64 s0, s31, v33
	v_cndmask_b32_e64 v54, 0, v59, s0
	v_cmp_gt_i32_e64 s0, s31, v41
	v_cndmask_b32_e64 v53, 0, v53, s0
	v_cmp_gt_i32_e64 s0, s31, v39
	v_or_b32_e32 v58, v53, v54
	v_cndmask_b32_e64 v11, 0, v11, s0
	v_cmp_gt_i32_e64 s0, s31, v38
	v_cndmask_b32_e64 v2, 0, v2, s0
	v_cmp_gt_i32_e64 s0, s31, v37
	v_or_b32_e32 v54, v2, v11
	;; [unrolled: 5-line block ×3, first 2 shown]
	v_cndmask_b32_e64 v52, 0, v52, s0
	v_cmp_gt_i32_e64 s0, s31, v34
	v_cndmask_b32_e64 v10, 0, v10, s0
	v_or_b32_e32 v56, v10, v52
.LBB302_815:                            ;   in Loop: Header=BB302_550 Depth=1
	s_or_b32 exec_lo, exec_lo, s17
	;;#ASMSTART
	v_pk_mul_f16 v2, v46, v58;

	;;#ASMEND
	;;#ASMSTART
	v_pk_mul_f16 v10, v45, v54;

	;;#ASMEND
	;; [unrolled: 4-line block ×4, first 2 shown]
	;;#ASMSTART
	v_pk_add_f16 v2, v2, v10;

	;;#ASMEND
	;;#ASMSTART
	v_pk_add_f16 v2, v2, v11;

	;;#ASMEND
	;;#ASMSTART
	v_pk_add_f16 v2, v2, v51;

	;;#ASMEND
	v_and_b32_e32 v10, 0xffff, v2
	v_lshrrev_b32_e32 v2, 16, v2
	;;#ASMSTART
	v_cvt_f32_f16 v51, v10;
	;;#ASMEND
	;;#ASMSTART
	v_cvt_f32_f16 v52, v2;
	;;#ASMEND
	global_load_dwordx2 v[10:11], v[8:9], off offset:1024
	v_mov_b32_e32 v54, 0
	v_mov_b32_e32 v55, 0
	global_load_dword v53, v54, s[14:15]
	s_waitcnt vmcnt(1)
	v_cmp_ne_u16_sdwa s0, v10, v3 src0_sel:BYTE_0 src1_sel:DWORD
	s_and_saveexec_b32 s17, s0
	s_cbranch_execz .LBB302_823
; %bb.816:                              ;   in Loop: Header=BB302_550 Depth=1
	v_cmp_ne_u16_sdwa s0, v10, v26 src0_sel:BYTE_0 src1_sel:DWORD
	v_mov_b32_e32 v55, 0x8000
	s_and_saveexec_b32 s18, s0
	s_cbranch_execz .LBB302_822
; %bb.817:                              ;   in Loop: Header=BB302_550 Depth=1
	v_and_b32_e32 v56, 0x7f, v10
	v_mov_b32_e32 v55, 0x7c01
	s_mov_b32 s21, exec_lo
	v_cmpx_ne_u32_e32 0x7f, v56
	s_cbranch_execz .LBB302_821
; %bb.818:                              ;   in Loop: Header=BB302_550 Depth=1
	v_and_b32_e32 v2, 7, v10
	v_lshrrev_b32_e32 v55, 3, v56
	s_mov_b32 s22, exec_lo
	v_cmpx_gt_u32_e32 8, v56
; %bb.819:                              ;   in Loop: Header=BB302_550 Depth=1
	v_ffbh_u32_e32 v2, v2
	v_min_u32_e32 v2, 32, v2
	v_subrev_nc_u32_e32 v55, 28, v2
	v_lshlrev_b64 v[56:57], v55, v[10:11]
	v_sub_nc_u32_e32 v55, 29, v2
	v_and_b32_e32 v2, 7, v56
; %bb.820:                              ;   in Loop: Header=BB302_550 Depth=1
	s_or_b32 exec_lo, exec_lo, s22
	v_lshlrev_b32_e32 v56, 8, v10
	v_lshl_add_u32 v55, v55, 10, 0x2000
	v_lshlrev_b32_e32 v2, 7, v2
	v_and_b32_e32 v56, 0x8000, v56
	v_and_b32_e32 v55, 0xfc00, v55
	v_or3_b32 v55, v56, v55, v2
.LBB302_821:                            ;   in Loop: Header=BB302_550 Depth=1
	s_or_b32 exec_lo, exec_lo, s21
.LBB302_822:                            ;   in Loop: Header=BB302_550 Depth=1
	s_or_b32 exec_lo, exec_lo, s18
.LBB302_823:                            ;   in Loop: Header=BB302_550 Depth=1
	s_or_b32 exec_lo, exec_lo, s17
	v_lshrrev_b16 v2, 8, v10
	s_mov_b32 s17, exec_lo
	v_cmpx_ne_u16_e32 0, v2
	s_cbranch_execz .LBB302_831
; %bb.824:                              ;   in Loop: Header=BB302_550 Depth=1
	v_bfrev_b32_e32 v54, 1
	s_mov_b32 s18, exec_lo
	v_cmpx_ne_u16_e32 0x80, v2
	s_cbranch_execz .LBB302_830
; %bb.825:                              ;   in Loop: Header=BB302_550 Depth=1
	v_and_b32_sdwa v57, v2, v27 dst_sel:DWORD dst_unused:UNUSED_PAD src0_sel:WORD_0 src1_sel:DWORD
	v_mov_b32_e32 v54, 0x7c010000
	s_mov_b32 s21, exec_lo
	v_cmpx_ne_u32_e32 0x7f, v57
	s_cbranch_execz .LBB302_829
; %bb.826:                              ;   in Loop: Header=BB302_550 Depth=1
	v_and_b32_sdwa v54, v2, v28 dst_sel:DWORD dst_unused:UNUSED_PAD src0_sel:WORD_0 src1_sel:DWORD
	v_lshrrev_b32_e32 v56, 3, v57
	s_mov_b32 s22, exec_lo
	v_cmpx_gt_u32_e32 8, v57
; %bb.827:                              ;   in Loop: Header=BB302_550 Depth=1
	v_ffbh_u32_e32 v54, v54
	v_min_u32_e32 v54, 32, v54
	v_subrev_nc_u32_e32 v56, 28, v54
	v_lshlrev_b64 v[57:58], v56, v[2:3]
	v_sub_nc_u32_e32 v56, 29, v54
	v_and_b32_e32 v54, 7, v57
; %bb.828:                              ;   in Loop: Header=BB302_550 Depth=1
	s_or_b32 exec_lo, exec_lo, s22
	v_lshlrev_b32_sdwa v2, v29, v2 dst_sel:DWORD dst_unused:UNUSED_PAD src0_sel:DWORD src1_sel:WORD_0
	v_lshl_add_u32 v56, v56, 10, 0x2000
	v_lshlrev_b32_e32 v54, 23, v54
	v_and_or_b32 v2, 0x8000, v2, v56
	v_lshl_or_b32 v54, v2, 16, v54
.LBB302_829:                            ;   in Loop: Header=BB302_550 Depth=1
	s_or_b32 exec_lo, exec_lo, s21
.LBB302_830:                            ;   in Loop: Header=BB302_550 Depth=1
	s_or_b32 exec_lo, exec_lo, s18
.LBB302_831:                            ;   in Loop: Header=BB302_550 Depth=1
	s_or_b32 exec_lo, exec_lo, s17
	v_lshrrev_b32_e32 v2, 16, v10
	v_mov_b32_e32 v56, 0
	v_mov_b32_e32 v57, 0
	v_cmp_ne_u16_sdwa s0, v2, v3 src0_sel:BYTE_0 src1_sel:DWORD
	s_and_saveexec_b32 s17, s0
	s_cbranch_execz .LBB302_839
; %bb.832:                              ;   in Loop: Header=BB302_550 Depth=1
	v_cmp_ne_u16_sdwa s0, v2, v26 src0_sel:BYTE_0 src1_sel:DWORD
	v_mov_b32_e32 v57, 0x8000
	s_and_saveexec_b32 s18, s0
	s_cbranch_execz .LBB302_838
; %bb.833:                              ;   in Loop: Header=BB302_550 Depth=1
	v_bfe_u32 v59, v10, 16, 7
	v_mov_b32_e32 v57, 0x7c01
	s_mov_b32 s21, exec_lo
	v_cmpx_ne_u32_e32 0x7f, v59
	s_cbranch_execz .LBB302_837
; %bb.834:                              ;   in Loop: Header=BB302_550 Depth=1
	v_and_b32_e32 v57, 7, v2
	v_lshrrev_b32_e32 v58, 3, v59
	s_mov_b32 s22, exec_lo
	v_cmpx_gt_u32_e32 8, v59
; %bb.835:                              ;   in Loop: Header=BB302_550 Depth=1
	v_ffbh_u32_e32 v57, v57
	v_min_u32_e32 v59, 32, v57
	v_subrev_nc_u32_e32 v57, 28, v59
	v_lshlrev_b64 v[57:58], v57, v[2:3]
	v_sub_nc_u32_e32 v58, 29, v59
	v_and_b32_e32 v57, 7, v57
; %bb.836:                              ;   in Loop: Header=BB302_550 Depth=1
	s_or_b32 exec_lo, exec_lo, s22
	v_lshlrev_b32_e32 v2, 8, v2
	v_lshl_add_u32 v58, v58, 10, 0x2000
	v_lshlrev_b32_e32 v57, 7, v57
	v_and_b32_e32 v2, 0x8000, v2
	v_and_b32_e32 v58, 0xfc00, v58
	v_or3_b32 v57, v2, v58, v57
.LBB302_837:                            ;   in Loop: Header=BB302_550 Depth=1
	s_or_b32 exec_lo, exec_lo, s21
.LBB302_838:                            ;   in Loop: Header=BB302_550 Depth=1
	s_or_b32 exec_lo, exec_lo, s18
.LBB302_839:                            ;   in Loop: Header=BB302_550 Depth=1
	s_or_b32 exec_lo, exec_lo, s17
	s_mov_b32 s17, exec_lo
	v_cmpx_lt_u32_e32 0xffffff, v10
	s_cbranch_execz .LBB302_847
; %bb.840:                              ;   in Loop: Header=BB302_550 Depth=1
	v_lshrrev_b32_e32 v2, 24, v10
	v_bfrev_b32_e32 v56, 1
	s_mov_b32 s18, exec_lo
	v_cmpx_ne_u32_e32 0x80, v2
	s_cbranch_execz .LBB302_846
; %bb.841:                              ;   in Loop: Header=BB302_550 Depth=1
	v_and_b32_e32 v59, 0x7f, v2
	v_mov_b32_e32 v56, 0x7c010000
	s_mov_b32 s21, exec_lo
	v_cmpx_ne_u32_e32 0x7f, v59
	s_cbranch_execz .LBB302_845
; %bb.842:                              ;   in Loop: Header=BB302_550 Depth=1
	v_and_b32_e32 v56, 7, v2
	v_lshrrev_b32_e32 v58, 3, v59
	s_mov_b32 s22, exec_lo
	v_cmpx_gt_u32_e32 8, v59
; %bb.843:                              ;   in Loop: Header=BB302_550 Depth=1
	v_ffbh_u32_e32 v56, v56
	v_min_u32_e32 v56, 32, v56
	v_subrev_nc_u32_e32 v58, 28, v56
	v_lshlrev_b64 v[59:60], v58, v[2:3]
	v_sub_nc_u32_e32 v58, 29, v56
	v_and_b32_e32 v56, 7, v59
; %bb.844:                              ;   in Loop: Header=BB302_550 Depth=1
	s_or_b32 exec_lo, exec_lo, s22
	v_lshlrev_b32_e32 v2, 8, v2
	v_lshl_add_u32 v58, v58, 10, 0x2000
	v_lshlrev_b32_e32 v56, 23, v56
	v_and_or_b32 v2, 0x8000, v2, v58
	v_lshl_or_b32 v56, v2, 16, v56
.LBB302_845:                            ;   in Loop: Header=BB302_550 Depth=1
	s_or_b32 exec_lo, exec_lo, s21
.LBB302_846:                            ;   in Loop: Header=BB302_550 Depth=1
	s_or_b32 exec_lo, exec_lo, s18
.LBB302_847:                            ;   in Loop: Header=BB302_550 Depth=1
	s_or_b32 exec_lo, exec_lo, s17
	v_mov_b32_e32 v2, v11
	v_cmp_ne_u16_sdwa s0, v11, v3 src0_sel:BYTE_0 src1_sel:DWORD
	v_mov_b32_e32 v58, 0
	v_mov_b32_e32 v59, 0
	s_and_saveexec_b32 s17, s0
	s_cbranch_execz .LBB302_855
; %bb.848:                              ;   in Loop: Header=BB302_550 Depth=1
	v_cmp_ne_u16_sdwa s0, v11, v26 src0_sel:BYTE_0 src1_sel:DWORD
	v_mov_b32_e32 v59, 0x8000
	s_and_saveexec_b32 s18, s0
	s_cbranch_execz .LBB302_854
; %bb.849:                              ;   in Loop: Header=BB302_550 Depth=1
	v_and_b32_e32 v61, 0x7f, v11
	v_mov_b32_e32 v59, 0x7c01
	s_mov_b32 s21, exec_lo
	v_cmpx_ne_u32_e32 0x7f, v61
	s_cbranch_execz .LBB302_853
; %bb.850:                              ;   in Loop: Header=BB302_550 Depth=1
	v_and_b32_e32 v59, 7, v11
	v_lshrrev_b32_e32 v60, 3, v61
	s_mov_b32 s22, exec_lo
	v_cmpx_gt_u32_e32 8, v61
; %bb.851:                              ;   in Loop: Header=BB302_550 Depth=1
	v_ffbh_u32_e32 v59, v59
	v_min_u32_e32 v61, 32, v59
	v_subrev_nc_u32_e32 v59, 28, v61
	v_lshlrev_b64 v[59:60], v59, v[2:3]
	v_sub_nc_u32_e32 v60, 29, v61
	v_and_b32_e32 v59, 7, v59
; %bb.852:                              ;   in Loop: Header=BB302_550 Depth=1
	s_or_b32 exec_lo, exec_lo, s22
	v_lshlrev_b32_e32 v61, 8, v11
	v_lshl_add_u32 v60, v60, 10, 0x2000
	v_lshlrev_b32_e32 v59, 7, v59
	v_and_b32_e32 v61, 0x8000, v61
	v_and_b32_e32 v60, 0xfc00, v60
	v_or3_b32 v59, v61, v60, v59
.LBB302_853:                            ;   in Loop: Header=BB302_550 Depth=1
	s_or_b32 exec_lo, exec_lo, s21
.LBB302_854:                            ;   in Loop: Header=BB302_550 Depth=1
	s_or_b32 exec_lo, exec_lo, s18
.LBB302_855:                            ;   in Loop: Header=BB302_550 Depth=1
	s_or_b32 exec_lo, exec_lo, s17
	v_lshrrev_b16 v2, 8, v2
	v_mov_b32_e32 v60, 0
	s_mov_b32 s17, exec_lo
	v_cmpx_ne_u16_e32 0, v2
	s_cbranch_execz .LBB302_863
; %bb.856:                              ;   in Loop: Header=BB302_550 Depth=1
	v_bfrev_b32_e32 v60, 1
	s_mov_b32 s18, exec_lo
	v_cmpx_ne_u16_e32 0x80, v2
	s_cbranch_execz .LBB302_862
; %bb.857:                              ;   in Loop: Header=BB302_550 Depth=1
	v_and_b32_sdwa v62, v2, v27 dst_sel:DWORD dst_unused:UNUSED_PAD src0_sel:WORD_0 src1_sel:DWORD
	v_mov_b32_e32 v60, 0x7c010000
	s_mov_b32 s21, exec_lo
	v_cmpx_ne_u32_e32 0x7f, v62
	s_cbranch_execz .LBB302_861
; %bb.858:                              ;   in Loop: Header=BB302_550 Depth=1
	v_and_b32_sdwa v60, v2, v28 dst_sel:DWORD dst_unused:UNUSED_PAD src0_sel:WORD_0 src1_sel:DWORD
	v_lshrrev_b32_e32 v61, 3, v62
	s_mov_b32 s22, exec_lo
	v_cmpx_gt_u32_e32 8, v62
; %bb.859:                              ;   in Loop: Header=BB302_550 Depth=1
	v_ffbh_u32_e32 v60, v60
	v_min_u32_e32 v62, 32, v60
	v_subrev_nc_u32_e32 v60, 28, v62
	v_lshlrev_b64 v[60:61], v60, v[2:3]
	v_sub_nc_u32_e32 v61, 29, v62
	v_and_b32_e32 v60, 7, v60
; %bb.860:                              ;   in Loop: Header=BB302_550 Depth=1
	s_or_b32 exec_lo, exec_lo, s22
	v_lshlrev_b32_sdwa v2, v29, v2 dst_sel:DWORD dst_unused:UNUSED_PAD src0_sel:DWORD src1_sel:WORD_0
	v_lshl_add_u32 v61, v61, 10, 0x2000
	v_lshlrev_b32_e32 v60, 23, v60
	v_and_or_b32 v2, 0x8000, v2, v61
	v_lshl_or_b32 v60, v2, 16, v60
.LBB302_861:                            ;   in Loop: Header=BB302_550 Depth=1
	s_or_b32 exec_lo, exec_lo, s21
.LBB302_862:                            ;   in Loop: Header=BB302_550 Depth=1
	s_or_b32 exec_lo, exec_lo, s18
.LBB302_863:                            ;   in Loop: Header=BB302_550 Depth=1
	s_or_b32 exec_lo, exec_lo, s17
	v_lshrrev_b32_e32 v2, 16, v11
	v_cmp_ne_u16_sdwa s0, v2, v3 src0_sel:BYTE_0 src1_sel:DWORD
	s_and_saveexec_b32 s17, s0
	s_cbranch_execz .LBB302_871
; %bb.864:                              ;   in Loop: Header=BB302_550 Depth=1
	v_cmp_ne_u16_sdwa s0, v2, v26 src0_sel:BYTE_0 src1_sel:DWORD
	v_mov_b32_e32 v58, 0x8000
	s_and_saveexec_b32 s18, s0
	s_cbranch_execz .LBB302_870
; %bb.865:                              ;   in Loop: Header=BB302_550 Depth=1
	v_bfe_u32 v62, v11, 16, 7
	v_mov_b32_e32 v58, 0x7c01
	s_mov_b32 s21, exec_lo
	v_cmpx_ne_u32_e32 0x7f, v62
	s_cbranch_execz .LBB302_869
; %bb.866:                              ;   in Loop: Header=BB302_550 Depth=1
	v_and_b32_e32 v58, 7, v2
	v_lshrrev_b32_e32 v61, 3, v62
	s_mov_b32 s22, exec_lo
	v_cmpx_gt_u32_e32 8, v62
; %bb.867:                              ;   in Loop: Header=BB302_550 Depth=1
	v_ffbh_u32_e32 v58, v58
	v_min_u32_e32 v58, 32, v58
	v_subrev_nc_u32_e32 v61, 28, v58
	v_lshlrev_b64 v[62:63], v61, v[2:3]
	v_sub_nc_u32_e32 v61, 29, v58
	v_and_b32_e32 v58, 7, v62
; %bb.868:                              ;   in Loop: Header=BB302_550 Depth=1
	s_or_b32 exec_lo, exec_lo, s22
	v_lshlrev_b32_e32 v2, 8, v2
	v_lshl_add_u32 v61, v61, 10, 0x2000
	v_lshlrev_b32_e32 v58, 7, v58
	v_and_b32_e32 v2, 0x8000, v2
	v_and_b32_e32 v61, 0xfc00, v61
	v_or3_b32 v58, v2, v61, v58
.LBB302_869:                            ;   in Loop: Header=BB302_550 Depth=1
	s_or_b32 exec_lo, exec_lo, s21
.LBB302_870:                            ;   in Loop: Header=BB302_550 Depth=1
	s_or_b32 exec_lo, exec_lo, s18
.LBB302_871:                            ;   in Loop: Header=BB302_550 Depth=1
	s_or_b32 exec_lo, exec_lo, s17
	v_cmp_lt_u64_e64 s0, s[4:5], v[10:11]
	v_mov_b32_e32 v10, 0
	s_and_saveexec_b32 s17, s0
	s_cbranch_execz .LBB302_879
; %bb.872:                              ;   in Loop: Header=BB302_550 Depth=1
	v_lshrrev_b32_e32 v2, 24, v11
	v_bfrev_b32_e32 v10, 1
	s_mov_b32 s18, exec_lo
	v_cmpx_ne_u32_e32 0x80, v2
	s_cbranch_execz .LBB302_878
; %bb.873:                              ;   in Loop: Header=BB302_550 Depth=1
	v_and_b32_e32 v61, 0x7f, v2
	v_mov_b32_e32 v10, 0x7c010000
	s_mov_b32 s21, exec_lo
	v_cmpx_ne_u32_e32 0x7f, v61
	s_cbranch_execz .LBB302_877
; %bb.874:                              ;   in Loop: Header=BB302_550 Depth=1
	v_and_b32_e32 v10, 7, v2
	v_lshrrev_b32_e32 v11, 3, v61
	s_mov_b32 s22, exec_lo
	v_cmpx_gt_u32_e32 8, v61
; %bb.875:                              ;   in Loop: Header=BB302_550 Depth=1
	v_ffbh_u32_e32 v10, v10
	v_min_u32_e32 v61, 32, v10
	v_subrev_nc_u32_e32 v10, 28, v61
	v_lshlrev_b64 v[10:11], v10, v[2:3]
	v_sub_nc_u32_e32 v11, 29, v61
	v_and_b32_e32 v10, 7, v10
; %bb.876:                              ;   in Loop: Header=BB302_550 Depth=1
	s_or_b32 exec_lo, exec_lo, s22
	v_lshlrev_b32_e32 v2, 8, v2
	v_lshl_add_u32 v11, v11, 10, 0x2000
	v_lshlrev_b32_e32 v10, 23, v10
	v_and_or_b32 v2, 0x8000, v2, v11
	v_lshl_or_b32 v10, v2, 16, v10
.LBB302_877:                            ;   in Loop: Header=BB302_550 Depth=1
	s_or_b32 exec_lo, exec_lo, s21
.LBB302_878:                            ;   in Loop: Header=BB302_550 Depth=1
	s_or_b32 exec_lo, exec_lo, s18
.LBB302_879:                            ;   in Loop: Header=BB302_550 Depth=1
	s_or_b32 exec_lo, exec_lo, s17
	v_or_b32_e32 v2, v56, v57
	s_waitcnt vmcnt(0)
	v_fma_mixlo_f16 v11, v53, v56, 0 op_sel:[0,1,0] op_sel_hi:[0,1,0]
	v_or_b32_e32 v56, v54, v55
	v_fma_mixlo_f16 v54, v53, v54, 0 op_sel:[0,1,0] op_sel_hi:[0,1,0]
	v_or_b32_e32 v57, v60, v59
	v_or_b32_e32 v58, v10, v58
	v_fma_mixlo_f16 v59, v53, v2, 0 op_sel_hi:[0,1,0]
	v_fma_mixlo_f16 v10, v53, v10, 0 op_sel:[0,1,0] op_sel_hi:[0,1,0]
	v_lshlrev_b32_e32 v55, 16, v54
	v_fma_mixlo_f16 v54, v53, v56, 0 op_sel_hi:[0,1,0]
	v_fma_mixlo_f16 v56, v53, v60, 0 op_sel:[0,1,0] op_sel_hi:[0,1,0]
	v_fma_mixlo_f16 v57, v53, v57, 0 op_sel_hi:[0,1,0]
	v_fma_mixlo_f16 v58, v53, v58, 0 op_sel_hi:[0,1,0]
	v_lshlrev_b32_e32 v2, 16, v11
	v_and_b32_e32 v11, 0xffff, v59
	v_and_b32_e32 v61, 0xffff, v54
	v_lshlrev_b32_e32 v53, 16, v56
	v_and_b32_e32 v57, 0xffff, v57
	v_lshlrev_b32_e32 v10, 16, v10
	v_and_b32_e32 v54, 0xffff, v58
	v_or_b32_e32 v56, v2, v11
	v_or_b32_e32 v60, v55, v61
	;; [unrolled: 1-line block ×4, first 2 shown]
	s_and_saveexec_b32 s17, vcc_lo
	s_cbranch_execz .LBB302_881
; %bb.880:                              ;   in Loop: Header=BB302_550 Depth=1
	v_cmp_gt_i32_e64 s0, s31, v33
	v_cndmask_b32_e64 v56, 0, v61, s0
	v_cmp_gt_i32_e64 s0, s31, v41
	v_cndmask_b32_e64 v55, 0, v55, s0
	v_cmp_gt_i32_e64 s0, s31, v39
	v_or_b32_e32 v60, v55, v56
	v_cndmask_b32_e64 v11, 0, v11, s0
	v_cmp_gt_i32_e64 s0, s31, v38
	v_cndmask_b32_e64 v2, 0, v2, s0
	v_cmp_gt_i32_e64 s0, s31, v37
	v_or_b32_e32 v56, v2, v11
	;; [unrolled: 5-line block ×3, first 2 shown]
	v_cndmask_b32_e64 v54, 0, v54, s0
	v_cmp_gt_i32_e64 s0, s31, v34
	v_cndmask_b32_e64 v10, 0, v10, s0
	v_or_b32_e32 v58, v10, v54
.LBB302_881:                            ;   in Loop: Header=BB302_550 Depth=1
	s_or_b32 exec_lo, exec_lo, s17
	;;#ASMSTART
	v_pk_mul_f16 v2, v46, v60;

	;;#ASMEND
	;;#ASMSTART
	v_pk_mul_f16 v10, v45, v56;

	;;#ASMEND
	;; [unrolled: 4-line block ×4, first 2 shown]
	;;#ASMSTART
	v_pk_add_f16 v2, v2, v10;

	;;#ASMEND
	;;#ASMSTART
	v_pk_add_f16 v2, v2, v11;

	;;#ASMEND
	;; [unrolled: 4-line block ×3, first 2 shown]
	v_and_b32_e32 v10, 0xffff, v2
	v_lshrrev_b32_e32 v2, 16, v2
	;;#ASMSTART
	v_cvt_f32_f16 v53, v10;
	;;#ASMEND
	;;#ASMSTART
	v_cvt_f32_f16 v54, v2;
	;;#ASMEND
	global_load_dwordx2 v[10:11], v[8:9], off offset:1280
	v_mov_b32_e32 v56, 0
	v_mov_b32_e32 v57, 0
	global_load_dword v55, v56, s[14:15]
	s_waitcnt vmcnt(1)
	v_cmp_ne_u16_sdwa s0, v10, v3 src0_sel:BYTE_0 src1_sel:DWORD
	s_and_saveexec_b32 s17, s0
	s_cbranch_execz .LBB302_889
; %bb.882:                              ;   in Loop: Header=BB302_550 Depth=1
	v_cmp_ne_u16_sdwa s0, v10, v26 src0_sel:BYTE_0 src1_sel:DWORD
	v_mov_b32_e32 v57, 0x8000
	s_and_saveexec_b32 s18, s0
	s_cbranch_execz .LBB302_888
; %bb.883:                              ;   in Loop: Header=BB302_550 Depth=1
	v_and_b32_e32 v58, 0x7f, v10
	v_mov_b32_e32 v57, 0x7c01
	s_mov_b32 s21, exec_lo
	v_cmpx_ne_u32_e32 0x7f, v58
	s_cbranch_execz .LBB302_887
; %bb.884:                              ;   in Loop: Header=BB302_550 Depth=1
	v_and_b32_e32 v2, 7, v10
	v_lshrrev_b32_e32 v57, 3, v58
	s_mov_b32 s22, exec_lo
	v_cmpx_gt_u32_e32 8, v58
; %bb.885:                              ;   in Loop: Header=BB302_550 Depth=1
	v_ffbh_u32_e32 v2, v2
	v_min_u32_e32 v2, 32, v2
	v_subrev_nc_u32_e32 v57, 28, v2
	v_lshlrev_b64 v[58:59], v57, v[10:11]
	v_sub_nc_u32_e32 v57, 29, v2
	v_and_b32_e32 v2, 7, v58
; %bb.886:                              ;   in Loop: Header=BB302_550 Depth=1
	s_or_b32 exec_lo, exec_lo, s22
	v_lshlrev_b32_e32 v58, 8, v10
	v_lshl_add_u32 v57, v57, 10, 0x2000
	v_lshlrev_b32_e32 v2, 7, v2
	v_and_b32_e32 v58, 0x8000, v58
	v_and_b32_e32 v57, 0xfc00, v57
	v_or3_b32 v57, v58, v57, v2
.LBB302_887:                            ;   in Loop: Header=BB302_550 Depth=1
	s_or_b32 exec_lo, exec_lo, s21
.LBB302_888:                            ;   in Loop: Header=BB302_550 Depth=1
	s_or_b32 exec_lo, exec_lo, s18
.LBB302_889:                            ;   in Loop: Header=BB302_550 Depth=1
	s_or_b32 exec_lo, exec_lo, s17
	v_lshrrev_b16 v2, 8, v10
	s_mov_b32 s17, exec_lo
	v_cmpx_ne_u16_e32 0, v2
	s_cbranch_execz .LBB302_897
; %bb.890:                              ;   in Loop: Header=BB302_550 Depth=1
	v_bfrev_b32_e32 v56, 1
	s_mov_b32 s18, exec_lo
	v_cmpx_ne_u16_e32 0x80, v2
	s_cbranch_execz .LBB302_896
; %bb.891:                              ;   in Loop: Header=BB302_550 Depth=1
	v_and_b32_sdwa v59, v2, v27 dst_sel:DWORD dst_unused:UNUSED_PAD src0_sel:WORD_0 src1_sel:DWORD
	v_mov_b32_e32 v56, 0x7c010000
	s_mov_b32 s21, exec_lo
	v_cmpx_ne_u32_e32 0x7f, v59
	s_cbranch_execz .LBB302_895
; %bb.892:                              ;   in Loop: Header=BB302_550 Depth=1
	v_and_b32_sdwa v56, v2, v28 dst_sel:DWORD dst_unused:UNUSED_PAD src0_sel:WORD_0 src1_sel:DWORD
	v_lshrrev_b32_e32 v58, 3, v59
	s_mov_b32 s22, exec_lo
	v_cmpx_gt_u32_e32 8, v59
; %bb.893:                              ;   in Loop: Header=BB302_550 Depth=1
	v_ffbh_u32_e32 v56, v56
	v_min_u32_e32 v56, 32, v56
	v_subrev_nc_u32_e32 v58, 28, v56
	v_lshlrev_b64 v[59:60], v58, v[2:3]
	v_sub_nc_u32_e32 v58, 29, v56
	v_and_b32_e32 v56, 7, v59
; %bb.894:                              ;   in Loop: Header=BB302_550 Depth=1
	s_or_b32 exec_lo, exec_lo, s22
	v_lshlrev_b32_sdwa v2, v29, v2 dst_sel:DWORD dst_unused:UNUSED_PAD src0_sel:DWORD src1_sel:WORD_0
	v_lshl_add_u32 v58, v58, 10, 0x2000
	v_lshlrev_b32_e32 v56, 23, v56
	v_and_or_b32 v2, 0x8000, v2, v58
	v_lshl_or_b32 v56, v2, 16, v56
.LBB302_895:                            ;   in Loop: Header=BB302_550 Depth=1
	s_or_b32 exec_lo, exec_lo, s21
.LBB302_896:                            ;   in Loop: Header=BB302_550 Depth=1
	s_or_b32 exec_lo, exec_lo, s18
.LBB302_897:                            ;   in Loop: Header=BB302_550 Depth=1
	s_or_b32 exec_lo, exec_lo, s17
	v_lshrrev_b32_e32 v2, 16, v10
	v_mov_b32_e32 v58, 0
	v_mov_b32_e32 v59, 0
	v_cmp_ne_u16_sdwa s0, v2, v3 src0_sel:BYTE_0 src1_sel:DWORD
	s_and_saveexec_b32 s17, s0
	s_cbranch_execz .LBB302_905
; %bb.898:                              ;   in Loop: Header=BB302_550 Depth=1
	v_cmp_ne_u16_sdwa s0, v2, v26 src0_sel:BYTE_0 src1_sel:DWORD
	v_mov_b32_e32 v59, 0x8000
	s_and_saveexec_b32 s18, s0
	s_cbranch_execz .LBB302_904
; %bb.899:                              ;   in Loop: Header=BB302_550 Depth=1
	v_bfe_u32 v61, v10, 16, 7
	v_mov_b32_e32 v59, 0x7c01
	s_mov_b32 s21, exec_lo
	v_cmpx_ne_u32_e32 0x7f, v61
	s_cbranch_execz .LBB302_903
; %bb.900:                              ;   in Loop: Header=BB302_550 Depth=1
	v_and_b32_e32 v59, 7, v2
	v_lshrrev_b32_e32 v60, 3, v61
	s_mov_b32 s22, exec_lo
	v_cmpx_gt_u32_e32 8, v61
; %bb.901:                              ;   in Loop: Header=BB302_550 Depth=1
	v_ffbh_u32_e32 v59, v59
	v_min_u32_e32 v61, 32, v59
	v_subrev_nc_u32_e32 v59, 28, v61
	v_lshlrev_b64 v[59:60], v59, v[2:3]
	v_sub_nc_u32_e32 v60, 29, v61
	v_and_b32_e32 v59, 7, v59
; %bb.902:                              ;   in Loop: Header=BB302_550 Depth=1
	s_or_b32 exec_lo, exec_lo, s22
	v_lshlrev_b32_e32 v2, 8, v2
	v_lshl_add_u32 v60, v60, 10, 0x2000
	v_lshlrev_b32_e32 v59, 7, v59
	v_and_b32_e32 v2, 0x8000, v2
	v_and_b32_e32 v60, 0xfc00, v60
	v_or3_b32 v59, v2, v60, v59
.LBB302_903:                            ;   in Loop: Header=BB302_550 Depth=1
	s_or_b32 exec_lo, exec_lo, s21
.LBB302_904:                            ;   in Loop: Header=BB302_550 Depth=1
	s_or_b32 exec_lo, exec_lo, s18
.LBB302_905:                            ;   in Loop: Header=BB302_550 Depth=1
	s_or_b32 exec_lo, exec_lo, s17
	s_mov_b32 s17, exec_lo
	v_cmpx_lt_u32_e32 0xffffff, v10
	s_cbranch_execz .LBB302_913
; %bb.906:                              ;   in Loop: Header=BB302_550 Depth=1
	v_lshrrev_b32_e32 v2, 24, v10
	v_bfrev_b32_e32 v58, 1
	s_mov_b32 s18, exec_lo
	v_cmpx_ne_u32_e32 0x80, v2
	s_cbranch_execz .LBB302_912
; %bb.907:                              ;   in Loop: Header=BB302_550 Depth=1
	v_and_b32_e32 v61, 0x7f, v2
	v_mov_b32_e32 v58, 0x7c010000
	s_mov_b32 s21, exec_lo
	v_cmpx_ne_u32_e32 0x7f, v61
	s_cbranch_execz .LBB302_911
; %bb.908:                              ;   in Loop: Header=BB302_550 Depth=1
	v_and_b32_e32 v58, 7, v2
	v_lshrrev_b32_e32 v60, 3, v61
	s_mov_b32 s22, exec_lo
	v_cmpx_gt_u32_e32 8, v61
; %bb.909:                              ;   in Loop: Header=BB302_550 Depth=1
	v_ffbh_u32_e32 v58, v58
	v_min_u32_e32 v58, 32, v58
	v_subrev_nc_u32_e32 v60, 28, v58
	v_lshlrev_b64 v[61:62], v60, v[2:3]
	v_sub_nc_u32_e32 v60, 29, v58
	v_and_b32_e32 v58, 7, v61
; %bb.910:                              ;   in Loop: Header=BB302_550 Depth=1
	s_or_b32 exec_lo, exec_lo, s22
	v_lshlrev_b32_e32 v2, 8, v2
	v_lshl_add_u32 v60, v60, 10, 0x2000
	v_lshlrev_b32_e32 v58, 23, v58
	v_and_or_b32 v2, 0x8000, v2, v60
	v_lshl_or_b32 v58, v2, 16, v58
.LBB302_911:                            ;   in Loop: Header=BB302_550 Depth=1
	s_or_b32 exec_lo, exec_lo, s21
.LBB302_912:                            ;   in Loop: Header=BB302_550 Depth=1
	s_or_b32 exec_lo, exec_lo, s18
.LBB302_913:                            ;   in Loop: Header=BB302_550 Depth=1
	s_or_b32 exec_lo, exec_lo, s17
	v_mov_b32_e32 v2, v11
	v_cmp_ne_u16_sdwa s0, v11, v3 src0_sel:BYTE_0 src1_sel:DWORD
	v_mov_b32_e32 v60, 0
	v_mov_b32_e32 v61, 0
	s_and_saveexec_b32 s17, s0
	s_cbranch_execz .LBB302_921
; %bb.914:                              ;   in Loop: Header=BB302_550 Depth=1
	v_cmp_ne_u16_sdwa s0, v11, v26 src0_sel:BYTE_0 src1_sel:DWORD
	v_mov_b32_e32 v61, 0x8000
	s_and_saveexec_b32 s18, s0
	s_cbranch_execz .LBB302_920
; %bb.915:                              ;   in Loop: Header=BB302_550 Depth=1
	v_and_b32_e32 v63, 0x7f, v11
	v_mov_b32_e32 v61, 0x7c01
	s_mov_b32 s21, exec_lo
	v_cmpx_ne_u32_e32 0x7f, v63
	s_cbranch_execz .LBB302_919
; %bb.916:                              ;   in Loop: Header=BB302_550 Depth=1
	v_and_b32_e32 v61, 7, v11
	v_lshrrev_b32_e32 v62, 3, v63
	s_mov_b32 s22, exec_lo
	v_cmpx_gt_u32_e32 8, v63
; %bb.917:                              ;   in Loop: Header=BB302_550 Depth=1
	v_ffbh_u32_e32 v61, v61
	v_min_u32_e32 v63, 32, v61
	v_subrev_nc_u32_e32 v61, 28, v63
	v_lshlrev_b64 v[61:62], v61, v[2:3]
	v_sub_nc_u32_e32 v62, 29, v63
	v_and_b32_e32 v61, 7, v61
; %bb.918:                              ;   in Loop: Header=BB302_550 Depth=1
	s_or_b32 exec_lo, exec_lo, s22
	v_lshlrev_b32_e32 v63, 8, v11
	v_lshl_add_u32 v62, v62, 10, 0x2000
	v_lshlrev_b32_e32 v61, 7, v61
	v_and_b32_e32 v63, 0x8000, v63
	v_and_b32_e32 v62, 0xfc00, v62
	v_or3_b32 v61, v63, v62, v61
.LBB302_919:                            ;   in Loop: Header=BB302_550 Depth=1
	s_or_b32 exec_lo, exec_lo, s21
.LBB302_920:                            ;   in Loop: Header=BB302_550 Depth=1
	s_or_b32 exec_lo, exec_lo, s18
.LBB302_921:                            ;   in Loop: Header=BB302_550 Depth=1
	s_or_b32 exec_lo, exec_lo, s17
	v_lshrrev_b16 v2, 8, v2
	v_mov_b32_e32 v62, 0
	s_mov_b32 s17, exec_lo
	v_cmpx_ne_u16_e32 0, v2
	s_cbranch_execz .LBB302_929
; %bb.922:                              ;   in Loop: Header=BB302_550 Depth=1
	v_bfrev_b32_e32 v62, 1
	s_mov_b32 s18, exec_lo
	v_cmpx_ne_u16_e32 0x80, v2
	s_cbranch_execz .LBB302_928
; %bb.923:                              ;   in Loop: Header=BB302_550 Depth=1
	v_and_b32_sdwa v64, v2, v27 dst_sel:DWORD dst_unused:UNUSED_PAD src0_sel:WORD_0 src1_sel:DWORD
	v_mov_b32_e32 v62, 0x7c010000
	s_mov_b32 s21, exec_lo
	v_cmpx_ne_u32_e32 0x7f, v64
	s_cbranch_execz .LBB302_927
; %bb.924:                              ;   in Loop: Header=BB302_550 Depth=1
	v_and_b32_sdwa v62, v2, v28 dst_sel:DWORD dst_unused:UNUSED_PAD src0_sel:WORD_0 src1_sel:DWORD
	v_lshrrev_b32_e32 v63, 3, v64
	s_mov_b32 s22, exec_lo
	v_cmpx_gt_u32_e32 8, v64
; %bb.925:                              ;   in Loop: Header=BB302_550 Depth=1
	v_ffbh_u32_e32 v62, v62
	v_min_u32_e32 v64, 32, v62
	v_subrev_nc_u32_e32 v62, 28, v64
	v_lshlrev_b64 v[62:63], v62, v[2:3]
	v_sub_nc_u32_e32 v63, 29, v64
	v_and_b32_e32 v62, 7, v62
; %bb.926:                              ;   in Loop: Header=BB302_550 Depth=1
	s_or_b32 exec_lo, exec_lo, s22
	v_lshlrev_b32_sdwa v2, v29, v2 dst_sel:DWORD dst_unused:UNUSED_PAD src0_sel:DWORD src1_sel:WORD_0
	v_lshl_add_u32 v63, v63, 10, 0x2000
	v_lshlrev_b32_e32 v62, 23, v62
	v_and_or_b32 v2, 0x8000, v2, v63
	v_lshl_or_b32 v62, v2, 16, v62
.LBB302_927:                            ;   in Loop: Header=BB302_550 Depth=1
	s_or_b32 exec_lo, exec_lo, s21
.LBB302_928:                            ;   in Loop: Header=BB302_550 Depth=1
	s_or_b32 exec_lo, exec_lo, s18
.LBB302_929:                            ;   in Loop: Header=BB302_550 Depth=1
	s_or_b32 exec_lo, exec_lo, s17
	v_lshrrev_b32_e32 v2, 16, v11
	v_cmp_ne_u16_sdwa s0, v2, v3 src0_sel:BYTE_0 src1_sel:DWORD
	s_and_saveexec_b32 s17, s0
	s_cbranch_execz .LBB302_937
; %bb.930:                              ;   in Loop: Header=BB302_550 Depth=1
	v_cmp_ne_u16_sdwa s0, v2, v26 src0_sel:BYTE_0 src1_sel:DWORD
	v_mov_b32_e32 v60, 0x8000
	s_and_saveexec_b32 s18, s0
	s_cbranch_execz .LBB302_936
; %bb.931:                              ;   in Loop: Header=BB302_550 Depth=1
	v_bfe_u32 v64, v11, 16, 7
	v_mov_b32_e32 v60, 0x7c01
	s_mov_b32 s21, exec_lo
	v_cmpx_ne_u32_e32 0x7f, v64
	s_cbranch_execz .LBB302_935
; %bb.932:                              ;   in Loop: Header=BB302_550 Depth=1
	v_and_b32_e32 v60, 7, v2
	v_lshrrev_b32_e32 v63, 3, v64
	s_mov_b32 s22, exec_lo
	v_cmpx_gt_u32_e32 8, v64
; %bb.933:                              ;   in Loop: Header=BB302_550 Depth=1
	v_ffbh_u32_e32 v60, v60
	v_min_u32_e32 v60, 32, v60
	v_subrev_nc_u32_e32 v63, 28, v60
	v_lshlrev_b64 v[64:65], v63, v[2:3]
	v_sub_nc_u32_e32 v63, 29, v60
	v_and_b32_e32 v60, 7, v64
; %bb.934:                              ;   in Loop: Header=BB302_550 Depth=1
	s_or_b32 exec_lo, exec_lo, s22
	v_lshlrev_b32_e32 v2, 8, v2
	v_lshl_add_u32 v63, v63, 10, 0x2000
	v_lshlrev_b32_e32 v60, 7, v60
	v_and_b32_e32 v2, 0x8000, v2
	v_and_b32_e32 v63, 0xfc00, v63
	v_or3_b32 v60, v2, v63, v60
.LBB302_935:                            ;   in Loop: Header=BB302_550 Depth=1
	s_or_b32 exec_lo, exec_lo, s21
.LBB302_936:                            ;   in Loop: Header=BB302_550 Depth=1
	s_or_b32 exec_lo, exec_lo, s18
.LBB302_937:                            ;   in Loop: Header=BB302_550 Depth=1
	s_or_b32 exec_lo, exec_lo, s17
	v_cmp_lt_u64_e64 s0, s[4:5], v[10:11]
	v_mov_b32_e32 v10, 0
	s_and_saveexec_b32 s17, s0
	s_cbranch_execz .LBB302_945
; %bb.938:                              ;   in Loop: Header=BB302_550 Depth=1
	v_lshrrev_b32_e32 v2, 24, v11
	v_bfrev_b32_e32 v10, 1
	s_mov_b32 s18, exec_lo
	v_cmpx_ne_u32_e32 0x80, v2
	s_cbranch_execz .LBB302_944
; %bb.939:                              ;   in Loop: Header=BB302_550 Depth=1
	v_and_b32_e32 v63, 0x7f, v2
	v_mov_b32_e32 v10, 0x7c010000
	s_mov_b32 s21, exec_lo
	v_cmpx_ne_u32_e32 0x7f, v63
	s_cbranch_execz .LBB302_943
; %bb.940:                              ;   in Loop: Header=BB302_550 Depth=1
	v_and_b32_e32 v10, 7, v2
	v_lshrrev_b32_e32 v11, 3, v63
	s_mov_b32 s22, exec_lo
	v_cmpx_gt_u32_e32 8, v63
; %bb.941:                              ;   in Loop: Header=BB302_550 Depth=1
	v_ffbh_u32_e32 v10, v10
	v_min_u32_e32 v63, 32, v10
	v_subrev_nc_u32_e32 v10, 28, v63
	v_lshlrev_b64 v[10:11], v10, v[2:3]
	v_sub_nc_u32_e32 v11, 29, v63
	v_and_b32_e32 v10, 7, v10
; %bb.942:                              ;   in Loop: Header=BB302_550 Depth=1
	s_or_b32 exec_lo, exec_lo, s22
	v_lshlrev_b32_e32 v2, 8, v2
	v_lshl_add_u32 v11, v11, 10, 0x2000
	v_lshlrev_b32_e32 v10, 23, v10
	v_and_or_b32 v2, 0x8000, v2, v11
	v_lshl_or_b32 v10, v2, 16, v10
.LBB302_943:                            ;   in Loop: Header=BB302_550 Depth=1
	s_or_b32 exec_lo, exec_lo, s21
.LBB302_944:                            ;   in Loop: Header=BB302_550 Depth=1
	s_or_b32 exec_lo, exec_lo, s18
.LBB302_945:                            ;   in Loop: Header=BB302_550 Depth=1
	s_or_b32 exec_lo, exec_lo, s17
	v_or_b32_e32 v2, v58, v59
	s_waitcnt vmcnt(0)
	v_fma_mixlo_f16 v11, v55, v58, 0 op_sel:[0,1,0] op_sel_hi:[0,1,0]
	v_or_b32_e32 v58, v56, v57
	v_fma_mixlo_f16 v56, v55, v56, 0 op_sel:[0,1,0] op_sel_hi:[0,1,0]
	v_or_b32_e32 v59, v62, v61
	v_or_b32_e32 v60, v10, v60
	v_fma_mixlo_f16 v61, v55, v2, 0 op_sel_hi:[0,1,0]
	v_fma_mixlo_f16 v10, v55, v10, 0 op_sel:[0,1,0] op_sel_hi:[0,1,0]
	v_lshlrev_b32_e32 v57, 16, v56
	v_fma_mixlo_f16 v56, v55, v58, 0 op_sel_hi:[0,1,0]
	v_fma_mixlo_f16 v58, v55, v62, 0 op_sel:[0,1,0] op_sel_hi:[0,1,0]
	v_fma_mixlo_f16 v59, v55, v59, 0 op_sel_hi:[0,1,0]
	v_fma_mixlo_f16 v60, v55, v60, 0 op_sel_hi:[0,1,0]
	v_lshlrev_b32_e32 v2, 16, v11
	v_and_b32_e32 v11, 0xffff, v61
	v_and_b32_e32 v63, 0xffff, v56
	v_lshlrev_b32_e32 v55, 16, v58
	v_and_b32_e32 v59, 0xffff, v59
	v_lshlrev_b32_e32 v10, 16, v10
	v_and_b32_e32 v56, 0xffff, v60
	v_or_b32_e32 v58, v2, v11
	v_or_b32_e32 v62, v57, v63
	;; [unrolled: 1-line block ×4, first 2 shown]
	s_and_saveexec_b32 s17, vcc_lo
	s_cbranch_execz .LBB302_947
; %bb.946:                              ;   in Loop: Header=BB302_550 Depth=1
	v_cmp_gt_i32_e64 s0, s31, v33
	v_cndmask_b32_e64 v58, 0, v63, s0
	v_cmp_gt_i32_e64 s0, s31, v41
	v_cndmask_b32_e64 v57, 0, v57, s0
	v_cmp_gt_i32_e64 s0, s31, v39
	v_or_b32_e32 v62, v57, v58
	v_cndmask_b32_e64 v11, 0, v11, s0
	v_cmp_gt_i32_e64 s0, s31, v38
	v_cndmask_b32_e64 v2, 0, v2, s0
	v_cmp_gt_i32_e64 s0, s31, v37
	v_or_b32_e32 v58, v2, v11
	;; [unrolled: 5-line block ×3, first 2 shown]
	v_cndmask_b32_e64 v56, 0, v56, s0
	v_cmp_gt_i32_e64 s0, s31, v34
	v_cndmask_b32_e64 v10, 0, v10, s0
	v_or_b32_e32 v60, v10, v56
.LBB302_947:                            ;   in Loop: Header=BB302_550 Depth=1
	s_or_b32 exec_lo, exec_lo, s17
	;;#ASMSTART
	v_pk_mul_f16 v2, v46, v62;

	;;#ASMEND
	;;#ASMSTART
	v_pk_mul_f16 v10, v45, v58;

	;;#ASMEND
	;; [unrolled: 4-line block ×4, first 2 shown]
	;;#ASMSTART
	v_pk_add_f16 v2, v2, v10;

	;;#ASMEND
	;;#ASMSTART
	v_pk_add_f16 v2, v2, v11;

	;;#ASMEND
	;;#ASMSTART
	v_pk_add_f16 v2, v2, v55;

	;;#ASMEND
	v_and_b32_e32 v10, 0xffff, v2
	v_lshrrev_b32_e32 v2, 16, v2
	;;#ASMSTART
	v_cvt_f32_f16 v55, v10;
	;;#ASMEND
	;;#ASMSTART
	v_cvt_f32_f16 v56, v2;
	;;#ASMEND
	global_load_dwordx2 v[10:11], v[8:9], off offset:1536
	v_mov_b32_e32 v58, 0
	v_mov_b32_e32 v59, 0
	global_load_dword v57, v58, s[14:15]
	s_waitcnt vmcnt(1)
	v_cmp_ne_u16_sdwa s0, v10, v3 src0_sel:BYTE_0 src1_sel:DWORD
	s_and_saveexec_b32 s17, s0
	s_cbranch_execz .LBB302_955
; %bb.948:                              ;   in Loop: Header=BB302_550 Depth=1
	v_cmp_ne_u16_sdwa s0, v10, v26 src0_sel:BYTE_0 src1_sel:DWORD
	v_mov_b32_e32 v59, 0x8000
	s_and_saveexec_b32 s18, s0
	s_cbranch_execz .LBB302_954
; %bb.949:                              ;   in Loop: Header=BB302_550 Depth=1
	v_and_b32_e32 v60, 0x7f, v10
	v_mov_b32_e32 v59, 0x7c01
	s_mov_b32 s21, exec_lo
	v_cmpx_ne_u32_e32 0x7f, v60
	s_cbranch_execz .LBB302_953
; %bb.950:                              ;   in Loop: Header=BB302_550 Depth=1
	v_and_b32_e32 v2, 7, v10
	v_lshrrev_b32_e32 v59, 3, v60
	s_mov_b32 s22, exec_lo
	v_cmpx_gt_u32_e32 8, v60
; %bb.951:                              ;   in Loop: Header=BB302_550 Depth=1
	v_ffbh_u32_e32 v2, v2
	v_min_u32_e32 v2, 32, v2
	v_subrev_nc_u32_e32 v59, 28, v2
	v_lshlrev_b64 v[60:61], v59, v[10:11]
	v_sub_nc_u32_e32 v59, 29, v2
	v_and_b32_e32 v2, 7, v60
; %bb.952:                              ;   in Loop: Header=BB302_550 Depth=1
	s_or_b32 exec_lo, exec_lo, s22
	v_lshlrev_b32_e32 v60, 8, v10
	v_lshl_add_u32 v59, v59, 10, 0x2000
	v_lshlrev_b32_e32 v2, 7, v2
	v_and_b32_e32 v60, 0x8000, v60
	v_and_b32_e32 v59, 0xfc00, v59
	v_or3_b32 v59, v60, v59, v2
.LBB302_953:                            ;   in Loop: Header=BB302_550 Depth=1
	s_or_b32 exec_lo, exec_lo, s21
.LBB302_954:                            ;   in Loop: Header=BB302_550 Depth=1
	s_or_b32 exec_lo, exec_lo, s18
.LBB302_955:                            ;   in Loop: Header=BB302_550 Depth=1
	s_or_b32 exec_lo, exec_lo, s17
	v_lshrrev_b16 v2, 8, v10
	s_mov_b32 s17, exec_lo
	v_cmpx_ne_u16_e32 0, v2
	s_cbranch_execz .LBB302_963
; %bb.956:                              ;   in Loop: Header=BB302_550 Depth=1
	v_bfrev_b32_e32 v58, 1
	s_mov_b32 s18, exec_lo
	v_cmpx_ne_u16_e32 0x80, v2
	s_cbranch_execz .LBB302_962
; %bb.957:                              ;   in Loop: Header=BB302_550 Depth=1
	v_and_b32_sdwa v61, v2, v27 dst_sel:DWORD dst_unused:UNUSED_PAD src0_sel:WORD_0 src1_sel:DWORD
	v_mov_b32_e32 v58, 0x7c010000
	s_mov_b32 s21, exec_lo
	v_cmpx_ne_u32_e32 0x7f, v61
	s_cbranch_execz .LBB302_961
; %bb.958:                              ;   in Loop: Header=BB302_550 Depth=1
	v_and_b32_sdwa v58, v2, v28 dst_sel:DWORD dst_unused:UNUSED_PAD src0_sel:WORD_0 src1_sel:DWORD
	v_lshrrev_b32_e32 v60, 3, v61
	s_mov_b32 s22, exec_lo
	v_cmpx_gt_u32_e32 8, v61
; %bb.959:                              ;   in Loop: Header=BB302_550 Depth=1
	v_ffbh_u32_e32 v58, v58
	v_min_u32_e32 v58, 32, v58
	v_subrev_nc_u32_e32 v60, 28, v58
	v_lshlrev_b64 v[61:62], v60, v[2:3]
	v_sub_nc_u32_e32 v60, 29, v58
	v_and_b32_e32 v58, 7, v61
; %bb.960:                              ;   in Loop: Header=BB302_550 Depth=1
	s_or_b32 exec_lo, exec_lo, s22
	v_lshlrev_b32_sdwa v2, v29, v2 dst_sel:DWORD dst_unused:UNUSED_PAD src0_sel:DWORD src1_sel:WORD_0
	v_lshl_add_u32 v60, v60, 10, 0x2000
	v_lshlrev_b32_e32 v58, 23, v58
	v_and_or_b32 v2, 0x8000, v2, v60
	v_lshl_or_b32 v58, v2, 16, v58
.LBB302_961:                            ;   in Loop: Header=BB302_550 Depth=1
	s_or_b32 exec_lo, exec_lo, s21
.LBB302_962:                            ;   in Loop: Header=BB302_550 Depth=1
	s_or_b32 exec_lo, exec_lo, s18
.LBB302_963:                            ;   in Loop: Header=BB302_550 Depth=1
	s_or_b32 exec_lo, exec_lo, s17
	v_lshrrev_b32_e32 v2, 16, v10
	v_mov_b32_e32 v60, 0
	v_mov_b32_e32 v61, 0
	v_cmp_ne_u16_sdwa s0, v2, v3 src0_sel:BYTE_0 src1_sel:DWORD
	s_and_saveexec_b32 s17, s0
	s_cbranch_execz .LBB302_971
; %bb.964:                              ;   in Loop: Header=BB302_550 Depth=1
	v_cmp_ne_u16_sdwa s0, v2, v26 src0_sel:BYTE_0 src1_sel:DWORD
	v_mov_b32_e32 v61, 0x8000
	s_and_saveexec_b32 s18, s0
	s_cbranch_execz .LBB302_970
; %bb.965:                              ;   in Loop: Header=BB302_550 Depth=1
	v_bfe_u32 v63, v10, 16, 7
	v_mov_b32_e32 v61, 0x7c01
	s_mov_b32 s21, exec_lo
	v_cmpx_ne_u32_e32 0x7f, v63
	s_cbranch_execz .LBB302_969
; %bb.966:                              ;   in Loop: Header=BB302_550 Depth=1
	v_and_b32_e32 v61, 7, v2
	v_lshrrev_b32_e32 v62, 3, v63
	s_mov_b32 s22, exec_lo
	v_cmpx_gt_u32_e32 8, v63
; %bb.967:                              ;   in Loop: Header=BB302_550 Depth=1
	v_ffbh_u32_e32 v61, v61
	v_min_u32_e32 v63, 32, v61
	v_subrev_nc_u32_e32 v61, 28, v63
	v_lshlrev_b64 v[61:62], v61, v[2:3]
	v_sub_nc_u32_e32 v62, 29, v63
	v_and_b32_e32 v61, 7, v61
; %bb.968:                              ;   in Loop: Header=BB302_550 Depth=1
	s_or_b32 exec_lo, exec_lo, s22
	v_lshlrev_b32_e32 v2, 8, v2
	v_lshl_add_u32 v62, v62, 10, 0x2000
	v_lshlrev_b32_e32 v61, 7, v61
	v_and_b32_e32 v2, 0x8000, v2
	v_and_b32_e32 v62, 0xfc00, v62
	v_or3_b32 v61, v2, v62, v61
.LBB302_969:                            ;   in Loop: Header=BB302_550 Depth=1
	s_or_b32 exec_lo, exec_lo, s21
.LBB302_970:                            ;   in Loop: Header=BB302_550 Depth=1
	s_or_b32 exec_lo, exec_lo, s18
.LBB302_971:                            ;   in Loop: Header=BB302_550 Depth=1
	s_or_b32 exec_lo, exec_lo, s17
	s_mov_b32 s17, exec_lo
	v_cmpx_lt_u32_e32 0xffffff, v10
	s_cbranch_execz .LBB302_979
; %bb.972:                              ;   in Loop: Header=BB302_550 Depth=1
	v_lshrrev_b32_e32 v2, 24, v10
	v_bfrev_b32_e32 v60, 1
	s_mov_b32 s18, exec_lo
	v_cmpx_ne_u32_e32 0x80, v2
	s_cbranch_execz .LBB302_978
; %bb.973:                              ;   in Loop: Header=BB302_550 Depth=1
	v_and_b32_e32 v63, 0x7f, v2
	v_mov_b32_e32 v60, 0x7c010000
	s_mov_b32 s21, exec_lo
	v_cmpx_ne_u32_e32 0x7f, v63
	s_cbranch_execz .LBB302_977
; %bb.974:                              ;   in Loop: Header=BB302_550 Depth=1
	v_and_b32_e32 v60, 7, v2
	v_lshrrev_b32_e32 v62, 3, v63
	s_mov_b32 s22, exec_lo
	v_cmpx_gt_u32_e32 8, v63
; %bb.975:                              ;   in Loop: Header=BB302_550 Depth=1
	v_ffbh_u32_e32 v60, v60
	v_min_u32_e32 v60, 32, v60
	v_subrev_nc_u32_e32 v62, 28, v60
	v_lshlrev_b64 v[63:64], v62, v[2:3]
	v_sub_nc_u32_e32 v62, 29, v60
	v_and_b32_e32 v60, 7, v63
; %bb.976:                              ;   in Loop: Header=BB302_550 Depth=1
	s_or_b32 exec_lo, exec_lo, s22
	v_lshlrev_b32_e32 v2, 8, v2
	v_lshl_add_u32 v62, v62, 10, 0x2000
	v_lshlrev_b32_e32 v60, 23, v60
	v_and_or_b32 v2, 0x8000, v2, v62
	v_lshl_or_b32 v60, v2, 16, v60
.LBB302_977:                            ;   in Loop: Header=BB302_550 Depth=1
	s_or_b32 exec_lo, exec_lo, s21
.LBB302_978:                            ;   in Loop: Header=BB302_550 Depth=1
	s_or_b32 exec_lo, exec_lo, s18
.LBB302_979:                            ;   in Loop: Header=BB302_550 Depth=1
	s_or_b32 exec_lo, exec_lo, s17
	v_mov_b32_e32 v2, v11
	v_cmp_ne_u16_sdwa s0, v11, v3 src0_sel:BYTE_0 src1_sel:DWORD
	v_mov_b32_e32 v62, 0
	v_mov_b32_e32 v63, 0
	s_and_saveexec_b32 s17, s0
	s_cbranch_execz .LBB302_987
; %bb.980:                              ;   in Loop: Header=BB302_550 Depth=1
	v_cmp_ne_u16_sdwa s0, v11, v26 src0_sel:BYTE_0 src1_sel:DWORD
	v_mov_b32_e32 v63, 0x8000
	s_and_saveexec_b32 s18, s0
	s_cbranch_execz .LBB302_986
; %bb.981:                              ;   in Loop: Header=BB302_550 Depth=1
	v_and_b32_e32 v65, 0x7f, v11
	v_mov_b32_e32 v63, 0x7c01
	s_mov_b32 s21, exec_lo
	v_cmpx_ne_u32_e32 0x7f, v65
	s_cbranch_execz .LBB302_985
; %bb.982:                              ;   in Loop: Header=BB302_550 Depth=1
	v_and_b32_e32 v63, 7, v11
	v_lshrrev_b32_e32 v64, 3, v65
	s_mov_b32 s22, exec_lo
	v_cmpx_gt_u32_e32 8, v65
; %bb.983:                              ;   in Loop: Header=BB302_550 Depth=1
	v_ffbh_u32_e32 v63, v63
	v_min_u32_e32 v65, 32, v63
	v_subrev_nc_u32_e32 v63, 28, v65
	v_lshlrev_b64 v[63:64], v63, v[2:3]
	v_sub_nc_u32_e32 v64, 29, v65
	v_and_b32_e32 v63, 7, v63
; %bb.984:                              ;   in Loop: Header=BB302_550 Depth=1
	s_or_b32 exec_lo, exec_lo, s22
	v_lshlrev_b32_e32 v65, 8, v11
	v_lshl_add_u32 v64, v64, 10, 0x2000
	v_lshlrev_b32_e32 v63, 7, v63
	v_and_b32_e32 v65, 0x8000, v65
	v_and_b32_e32 v64, 0xfc00, v64
	v_or3_b32 v63, v65, v64, v63
.LBB302_985:                            ;   in Loop: Header=BB302_550 Depth=1
	s_or_b32 exec_lo, exec_lo, s21
.LBB302_986:                            ;   in Loop: Header=BB302_550 Depth=1
	s_or_b32 exec_lo, exec_lo, s18
.LBB302_987:                            ;   in Loop: Header=BB302_550 Depth=1
	s_or_b32 exec_lo, exec_lo, s17
	v_lshrrev_b16 v2, 8, v2
	v_mov_b32_e32 v64, 0
	s_mov_b32 s17, exec_lo
	v_cmpx_ne_u16_e32 0, v2
	s_cbranch_execz .LBB302_995
; %bb.988:                              ;   in Loop: Header=BB302_550 Depth=1
	v_bfrev_b32_e32 v64, 1
	s_mov_b32 s18, exec_lo
	v_cmpx_ne_u16_e32 0x80, v2
	s_cbranch_execz .LBB302_994
; %bb.989:                              ;   in Loop: Header=BB302_550 Depth=1
	v_and_b32_sdwa v66, v2, v27 dst_sel:DWORD dst_unused:UNUSED_PAD src0_sel:WORD_0 src1_sel:DWORD
	v_mov_b32_e32 v64, 0x7c010000
	s_mov_b32 s21, exec_lo
	v_cmpx_ne_u32_e32 0x7f, v66
	s_cbranch_execz .LBB302_993
; %bb.990:                              ;   in Loop: Header=BB302_550 Depth=1
	v_and_b32_sdwa v64, v2, v28 dst_sel:DWORD dst_unused:UNUSED_PAD src0_sel:WORD_0 src1_sel:DWORD
	v_lshrrev_b32_e32 v65, 3, v66
	s_mov_b32 s22, exec_lo
	v_cmpx_gt_u32_e32 8, v66
; %bb.991:                              ;   in Loop: Header=BB302_550 Depth=1
	v_ffbh_u32_e32 v64, v64
	v_min_u32_e32 v66, 32, v64
	v_subrev_nc_u32_e32 v64, 28, v66
	v_lshlrev_b64 v[64:65], v64, v[2:3]
	v_sub_nc_u32_e32 v65, 29, v66
	v_and_b32_e32 v64, 7, v64
; %bb.992:                              ;   in Loop: Header=BB302_550 Depth=1
	s_or_b32 exec_lo, exec_lo, s22
	v_lshlrev_b32_sdwa v2, v29, v2 dst_sel:DWORD dst_unused:UNUSED_PAD src0_sel:DWORD src1_sel:WORD_0
	v_lshl_add_u32 v65, v65, 10, 0x2000
	v_lshlrev_b32_e32 v64, 23, v64
	v_and_or_b32 v2, 0x8000, v2, v65
	v_lshl_or_b32 v64, v2, 16, v64
.LBB302_993:                            ;   in Loop: Header=BB302_550 Depth=1
	s_or_b32 exec_lo, exec_lo, s21
.LBB302_994:                            ;   in Loop: Header=BB302_550 Depth=1
	s_or_b32 exec_lo, exec_lo, s18
.LBB302_995:                            ;   in Loop: Header=BB302_550 Depth=1
	s_or_b32 exec_lo, exec_lo, s17
	v_lshrrev_b32_e32 v2, 16, v11
	v_cmp_ne_u16_sdwa s0, v2, v3 src0_sel:BYTE_0 src1_sel:DWORD
	s_and_saveexec_b32 s17, s0
	s_cbranch_execz .LBB302_1003
; %bb.996:                              ;   in Loop: Header=BB302_550 Depth=1
	v_cmp_ne_u16_sdwa s0, v2, v26 src0_sel:BYTE_0 src1_sel:DWORD
	v_mov_b32_e32 v62, 0x8000
	s_and_saveexec_b32 s18, s0
	s_cbranch_execz .LBB302_1002
; %bb.997:                              ;   in Loop: Header=BB302_550 Depth=1
	v_bfe_u32 v66, v11, 16, 7
	v_mov_b32_e32 v62, 0x7c01
	s_mov_b32 s21, exec_lo
	v_cmpx_ne_u32_e32 0x7f, v66
	s_cbranch_execz .LBB302_1001
; %bb.998:                              ;   in Loop: Header=BB302_550 Depth=1
	v_and_b32_e32 v62, 7, v2
	v_lshrrev_b32_e32 v65, 3, v66
	s_mov_b32 s22, exec_lo
	v_cmpx_gt_u32_e32 8, v66
; %bb.999:                              ;   in Loop: Header=BB302_550 Depth=1
	v_ffbh_u32_e32 v62, v62
	v_min_u32_e32 v62, 32, v62
	v_subrev_nc_u32_e32 v65, 28, v62
	v_lshlrev_b64 v[66:67], v65, v[2:3]
	v_sub_nc_u32_e32 v65, 29, v62
	v_and_b32_e32 v62, 7, v66
; %bb.1000:                             ;   in Loop: Header=BB302_550 Depth=1
	s_or_b32 exec_lo, exec_lo, s22
	v_lshlrev_b32_e32 v2, 8, v2
	v_lshl_add_u32 v65, v65, 10, 0x2000
	v_lshlrev_b32_e32 v62, 7, v62
	v_and_b32_e32 v2, 0x8000, v2
	v_and_b32_e32 v65, 0xfc00, v65
	v_or3_b32 v62, v2, v65, v62
.LBB302_1001:                           ;   in Loop: Header=BB302_550 Depth=1
	s_or_b32 exec_lo, exec_lo, s21
.LBB302_1002:                           ;   in Loop: Header=BB302_550 Depth=1
	s_or_b32 exec_lo, exec_lo, s18
.LBB302_1003:                           ;   in Loop: Header=BB302_550 Depth=1
	s_or_b32 exec_lo, exec_lo, s17
	v_cmp_lt_u64_e64 s0, s[4:5], v[10:11]
	v_mov_b32_e32 v10, 0
	s_and_saveexec_b32 s17, s0
	s_cbranch_execz .LBB302_1011
; %bb.1004:                             ;   in Loop: Header=BB302_550 Depth=1
	v_lshrrev_b32_e32 v2, 24, v11
	v_bfrev_b32_e32 v10, 1
	s_mov_b32 s18, exec_lo
	v_cmpx_ne_u32_e32 0x80, v2
	s_cbranch_execz .LBB302_1010
; %bb.1005:                             ;   in Loop: Header=BB302_550 Depth=1
	v_and_b32_e32 v65, 0x7f, v2
	v_mov_b32_e32 v10, 0x7c010000
	s_mov_b32 s21, exec_lo
	v_cmpx_ne_u32_e32 0x7f, v65
	s_cbranch_execz .LBB302_1009
; %bb.1006:                             ;   in Loop: Header=BB302_550 Depth=1
	v_and_b32_e32 v10, 7, v2
	v_lshrrev_b32_e32 v11, 3, v65
	s_mov_b32 s22, exec_lo
	v_cmpx_gt_u32_e32 8, v65
; %bb.1007:                             ;   in Loop: Header=BB302_550 Depth=1
	v_ffbh_u32_e32 v10, v10
	v_min_u32_e32 v65, 32, v10
	v_subrev_nc_u32_e32 v10, 28, v65
	v_lshlrev_b64 v[10:11], v10, v[2:3]
	v_sub_nc_u32_e32 v11, 29, v65
	v_and_b32_e32 v10, 7, v10
; %bb.1008:                             ;   in Loop: Header=BB302_550 Depth=1
	s_or_b32 exec_lo, exec_lo, s22
	v_lshlrev_b32_e32 v2, 8, v2
	v_lshl_add_u32 v11, v11, 10, 0x2000
	v_lshlrev_b32_e32 v10, 23, v10
	v_and_or_b32 v2, 0x8000, v2, v11
	v_lshl_or_b32 v10, v2, 16, v10
.LBB302_1009:                           ;   in Loop: Header=BB302_550 Depth=1
	s_or_b32 exec_lo, exec_lo, s21
.LBB302_1010:                           ;   in Loop: Header=BB302_550 Depth=1
	s_or_b32 exec_lo, exec_lo, s18
.LBB302_1011:                           ;   in Loop: Header=BB302_550 Depth=1
	s_or_b32 exec_lo, exec_lo, s17
	v_or_b32_e32 v2, v60, v61
	s_waitcnt vmcnt(0)
	v_fma_mixlo_f16 v11, v57, v60, 0 op_sel:[0,1,0] op_sel_hi:[0,1,0]
	v_or_b32_e32 v60, v58, v59
	v_fma_mixlo_f16 v58, v57, v58, 0 op_sel:[0,1,0] op_sel_hi:[0,1,0]
	v_or_b32_e32 v61, v64, v63
	v_or_b32_e32 v62, v10, v62
	v_fma_mixlo_f16 v63, v57, v2, 0 op_sel_hi:[0,1,0]
	v_fma_mixlo_f16 v10, v57, v10, 0 op_sel:[0,1,0] op_sel_hi:[0,1,0]
	v_lshlrev_b32_e32 v59, 16, v58
	v_fma_mixlo_f16 v58, v57, v60, 0 op_sel_hi:[0,1,0]
	v_fma_mixlo_f16 v60, v57, v64, 0 op_sel:[0,1,0] op_sel_hi:[0,1,0]
	v_fma_mixlo_f16 v61, v57, v61, 0 op_sel_hi:[0,1,0]
	v_fma_mixlo_f16 v62, v57, v62, 0 op_sel_hi:[0,1,0]
	v_lshlrev_b32_e32 v2, 16, v11
	v_and_b32_e32 v11, 0xffff, v63
	v_and_b32_e32 v65, 0xffff, v58
	v_lshlrev_b32_e32 v57, 16, v60
	v_and_b32_e32 v61, 0xffff, v61
	v_lshlrev_b32_e32 v10, 16, v10
	v_and_b32_e32 v58, 0xffff, v62
	v_or_b32_e32 v60, v2, v11
	v_or_b32_e32 v64, v59, v65
	v_or_b32_e32 v63, v57, v61
	v_or_b32_e32 v62, v10, v58
	s_and_saveexec_b32 s17, vcc_lo
	s_cbranch_execz .LBB302_1013
; %bb.1012:                             ;   in Loop: Header=BB302_550 Depth=1
	v_cmp_gt_i32_e64 s0, s31, v33
	v_cndmask_b32_e64 v60, 0, v65, s0
	v_cmp_gt_i32_e64 s0, s31, v41
	v_cndmask_b32_e64 v59, 0, v59, s0
	v_cmp_gt_i32_e64 s0, s31, v39
	v_or_b32_e32 v64, v59, v60
	v_cndmask_b32_e64 v11, 0, v11, s0
	v_cmp_gt_i32_e64 s0, s31, v38
	v_cndmask_b32_e64 v2, 0, v2, s0
	v_cmp_gt_i32_e64 s0, s31, v37
	v_or_b32_e32 v60, v2, v11
	;; [unrolled: 5-line block ×3, first 2 shown]
	v_cndmask_b32_e64 v58, 0, v58, s0
	v_cmp_gt_i32_e64 s0, s31, v34
	v_cndmask_b32_e64 v10, 0, v10, s0
	v_or_b32_e32 v62, v10, v58
.LBB302_1013:                           ;   in Loop: Header=BB302_550 Depth=1
	s_or_b32 exec_lo, exec_lo, s17
	;;#ASMSTART
	v_pk_mul_f16 v2, v46, v64;

	;;#ASMEND
	;;#ASMSTART
	v_pk_mul_f16 v10, v45, v60;

	;;#ASMEND
	;; [unrolled: 4-line block ×4, first 2 shown]
	;;#ASMSTART
	v_pk_add_f16 v2, v2, v10;

	;;#ASMEND
	;;#ASMSTART
	v_pk_add_f16 v2, v2, v11;

	;;#ASMEND
	;; [unrolled: 4-line block ×3, first 2 shown]
	v_and_b32_e32 v10, 0xffff, v2
	v_lshrrev_b32_e32 v2, 16, v2
	;;#ASMSTART
	v_cvt_f32_f16 v10, v10;
	;;#ASMEND
	;;#ASMSTART
	v_cvt_f32_f16 v11, v2;
	;;#ASMEND
	global_load_dwordx2 v[8:9], v[8:9], off offset:1792
	v_mov_b32_e32 v58, 0
	v_mov_b32_e32 v59, 0
	global_load_dword v57, v58, s[14:15]
	s_waitcnt vmcnt(1)
	v_cmp_ne_u16_sdwa s0, v8, v3 src0_sel:BYTE_0 src1_sel:DWORD
	s_and_saveexec_b32 s17, s0
	s_cbranch_execz .LBB302_1021
; %bb.1014:                             ;   in Loop: Header=BB302_550 Depth=1
	v_cmp_ne_u16_sdwa s0, v8, v26 src0_sel:BYTE_0 src1_sel:DWORD
	v_mov_b32_e32 v59, 0x8000
	s_and_saveexec_b32 s18, s0
	s_cbranch_execz .LBB302_1020
; %bb.1015:                             ;   in Loop: Header=BB302_550 Depth=1
	v_and_b32_e32 v60, 0x7f, v8
	v_mov_b32_e32 v59, 0x7c01
	s_mov_b32 s21, exec_lo
	v_cmpx_ne_u32_e32 0x7f, v60
	s_cbranch_execz .LBB302_1019
; %bb.1016:                             ;   in Loop: Header=BB302_550 Depth=1
	v_and_b32_e32 v2, 7, v8
	v_lshrrev_b32_e32 v59, 3, v60
	s_mov_b32 s22, exec_lo
	v_cmpx_gt_u32_e32 8, v60
; %bb.1017:                             ;   in Loop: Header=BB302_550 Depth=1
	v_ffbh_u32_e32 v2, v2
	v_min_u32_e32 v2, 32, v2
	v_subrev_nc_u32_e32 v59, 28, v2
	v_lshlrev_b64 v[60:61], v59, v[8:9]
	v_sub_nc_u32_e32 v59, 29, v2
	v_and_b32_e32 v2, 7, v60
; %bb.1018:                             ;   in Loop: Header=BB302_550 Depth=1
	s_or_b32 exec_lo, exec_lo, s22
	v_lshlrev_b32_e32 v60, 8, v8
	v_lshl_add_u32 v59, v59, 10, 0x2000
	v_lshlrev_b32_e32 v2, 7, v2
	v_and_b32_e32 v60, 0x8000, v60
	v_and_b32_e32 v59, 0xfc00, v59
	v_or3_b32 v59, v60, v59, v2
.LBB302_1019:                           ;   in Loop: Header=BB302_550 Depth=1
	s_or_b32 exec_lo, exec_lo, s21
.LBB302_1020:                           ;   in Loop: Header=BB302_550 Depth=1
	s_or_b32 exec_lo, exec_lo, s18
.LBB302_1021:                           ;   in Loop: Header=BB302_550 Depth=1
	s_or_b32 exec_lo, exec_lo, s17
	v_lshrrev_b16 v2, 8, v8
	s_mov_b32 s17, exec_lo
	v_cmpx_ne_u16_e32 0, v2
	s_cbranch_execz .LBB302_1029
; %bb.1022:                             ;   in Loop: Header=BB302_550 Depth=1
	v_bfrev_b32_e32 v58, 1
	s_mov_b32 s18, exec_lo
	v_cmpx_ne_u16_e32 0x80, v2
	s_cbranch_execz .LBB302_1028
; %bb.1023:                             ;   in Loop: Header=BB302_550 Depth=1
	v_and_b32_sdwa v61, v2, v27 dst_sel:DWORD dst_unused:UNUSED_PAD src0_sel:WORD_0 src1_sel:DWORD
	v_mov_b32_e32 v58, 0x7c010000
	s_mov_b32 s21, exec_lo
	v_cmpx_ne_u32_e32 0x7f, v61
	s_cbranch_execz .LBB302_1027
; %bb.1024:                             ;   in Loop: Header=BB302_550 Depth=1
	v_and_b32_sdwa v58, v2, v28 dst_sel:DWORD dst_unused:UNUSED_PAD src0_sel:WORD_0 src1_sel:DWORD
	v_lshrrev_b32_e32 v60, 3, v61
	s_mov_b32 s22, exec_lo
	v_cmpx_gt_u32_e32 8, v61
; %bb.1025:                             ;   in Loop: Header=BB302_550 Depth=1
	v_ffbh_u32_e32 v58, v58
	v_min_u32_e32 v58, 32, v58
	v_subrev_nc_u32_e32 v60, 28, v58
	v_lshlrev_b64 v[61:62], v60, v[2:3]
	v_sub_nc_u32_e32 v60, 29, v58
	v_and_b32_e32 v58, 7, v61
; %bb.1026:                             ;   in Loop: Header=BB302_550 Depth=1
	s_or_b32 exec_lo, exec_lo, s22
	v_lshlrev_b32_sdwa v2, v29, v2 dst_sel:DWORD dst_unused:UNUSED_PAD src0_sel:DWORD src1_sel:WORD_0
	v_lshl_add_u32 v60, v60, 10, 0x2000
	v_lshlrev_b32_e32 v58, 23, v58
	v_and_or_b32 v2, 0x8000, v2, v60
	v_lshl_or_b32 v58, v2, 16, v58
.LBB302_1027:                           ;   in Loop: Header=BB302_550 Depth=1
	s_or_b32 exec_lo, exec_lo, s21
.LBB302_1028:                           ;   in Loop: Header=BB302_550 Depth=1
	s_or_b32 exec_lo, exec_lo, s18
.LBB302_1029:                           ;   in Loop: Header=BB302_550 Depth=1
	s_or_b32 exec_lo, exec_lo, s17
	v_lshrrev_b32_e32 v2, 16, v8
	v_mov_b32_e32 v60, 0
	v_mov_b32_e32 v61, 0
	v_cmp_ne_u16_sdwa s0, v2, v3 src0_sel:BYTE_0 src1_sel:DWORD
	s_and_saveexec_b32 s17, s0
	s_cbranch_execz .LBB302_1037
; %bb.1030:                             ;   in Loop: Header=BB302_550 Depth=1
	v_cmp_ne_u16_sdwa s0, v2, v26 src0_sel:BYTE_0 src1_sel:DWORD
	v_mov_b32_e32 v61, 0x8000
	s_and_saveexec_b32 s18, s0
	s_cbranch_execz .LBB302_1036
; %bb.1031:                             ;   in Loop: Header=BB302_550 Depth=1
	v_bfe_u32 v63, v8, 16, 7
	v_mov_b32_e32 v61, 0x7c01
	s_mov_b32 s21, exec_lo
	v_cmpx_ne_u32_e32 0x7f, v63
	s_cbranch_execz .LBB302_1035
; %bb.1032:                             ;   in Loop: Header=BB302_550 Depth=1
	v_and_b32_e32 v61, 7, v2
	v_lshrrev_b32_e32 v62, 3, v63
	s_mov_b32 s22, exec_lo
	v_cmpx_gt_u32_e32 8, v63
; %bb.1033:                             ;   in Loop: Header=BB302_550 Depth=1
	v_ffbh_u32_e32 v61, v61
	v_min_u32_e32 v63, 32, v61
	v_subrev_nc_u32_e32 v61, 28, v63
	v_lshlrev_b64 v[61:62], v61, v[2:3]
	v_sub_nc_u32_e32 v62, 29, v63
	v_and_b32_e32 v61, 7, v61
; %bb.1034:                             ;   in Loop: Header=BB302_550 Depth=1
	s_or_b32 exec_lo, exec_lo, s22
	v_lshlrev_b32_e32 v2, 8, v2
	v_lshl_add_u32 v62, v62, 10, 0x2000
	v_lshlrev_b32_e32 v61, 7, v61
	v_and_b32_e32 v2, 0x8000, v2
	v_and_b32_e32 v62, 0xfc00, v62
	v_or3_b32 v61, v2, v62, v61
.LBB302_1035:                           ;   in Loop: Header=BB302_550 Depth=1
	s_or_b32 exec_lo, exec_lo, s21
.LBB302_1036:                           ;   in Loop: Header=BB302_550 Depth=1
	s_or_b32 exec_lo, exec_lo, s18
.LBB302_1037:                           ;   in Loop: Header=BB302_550 Depth=1
	s_or_b32 exec_lo, exec_lo, s17
	s_mov_b32 s17, exec_lo
	v_cmpx_lt_u32_e32 0xffffff, v8
	s_cbranch_execz .LBB302_1045
; %bb.1038:                             ;   in Loop: Header=BB302_550 Depth=1
	v_lshrrev_b32_e32 v2, 24, v8
	v_bfrev_b32_e32 v60, 1
	s_mov_b32 s18, exec_lo
	v_cmpx_ne_u32_e32 0x80, v2
	s_cbranch_execz .LBB302_1044
; %bb.1039:                             ;   in Loop: Header=BB302_550 Depth=1
	v_and_b32_e32 v63, 0x7f, v2
	v_mov_b32_e32 v60, 0x7c010000
	s_mov_b32 s21, exec_lo
	v_cmpx_ne_u32_e32 0x7f, v63
	s_cbranch_execz .LBB302_1043
; %bb.1040:                             ;   in Loop: Header=BB302_550 Depth=1
	v_and_b32_e32 v60, 7, v2
	v_lshrrev_b32_e32 v62, 3, v63
	s_mov_b32 s22, exec_lo
	v_cmpx_gt_u32_e32 8, v63
; %bb.1041:                             ;   in Loop: Header=BB302_550 Depth=1
	v_ffbh_u32_e32 v60, v60
	v_min_u32_e32 v60, 32, v60
	v_subrev_nc_u32_e32 v62, 28, v60
	v_lshlrev_b64 v[63:64], v62, v[2:3]
	v_sub_nc_u32_e32 v62, 29, v60
	v_and_b32_e32 v60, 7, v63
; %bb.1042:                             ;   in Loop: Header=BB302_550 Depth=1
	s_or_b32 exec_lo, exec_lo, s22
	v_lshlrev_b32_e32 v2, 8, v2
	v_lshl_add_u32 v62, v62, 10, 0x2000
	v_lshlrev_b32_e32 v60, 23, v60
	v_and_or_b32 v2, 0x8000, v2, v62
	v_lshl_or_b32 v60, v2, 16, v60
.LBB302_1043:                           ;   in Loop: Header=BB302_550 Depth=1
	s_or_b32 exec_lo, exec_lo, s21
.LBB302_1044:                           ;   in Loop: Header=BB302_550 Depth=1
	s_or_b32 exec_lo, exec_lo, s18
.LBB302_1045:                           ;   in Loop: Header=BB302_550 Depth=1
	s_or_b32 exec_lo, exec_lo, s17
	v_mov_b32_e32 v2, v9
	v_cmp_ne_u16_sdwa s0, v9, v3 src0_sel:BYTE_0 src1_sel:DWORD
	v_mov_b32_e32 v62, 0
	v_mov_b32_e32 v63, 0
	s_and_saveexec_b32 s17, s0
	s_cbranch_execz .LBB302_1053
; %bb.1046:                             ;   in Loop: Header=BB302_550 Depth=1
	v_cmp_ne_u16_sdwa s0, v9, v26 src0_sel:BYTE_0 src1_sel:DWORD
	v_mov_b32_e32 v63, 0x8000
	s_and_saveexec_b32 s18, s0
	s_cbranch_execz .LBB302_1052
; %bb.1047:                             ;   in Loop: Header=BB302_550 Depth=1
	v_and_b32_e32 v65, 0x7f, v9
	v_mov_b32_e32 v63, 0x7c01
	s_mov_b32 s21, exec_lo
	v_cmpx_ne_u32_e32 0x7f, v65
	s_cbranch_execz .LBB302_1051
; %bb.1048:                             ;   in Loop: Header=BB302_550 Depth=1
	v_and_b32_e32 v63, 7, v9
	v_lshrrev_b32_e32 v64, 3, v65
	s_mov_b32 s22, exec_lo
	v_cmpx_gt_u32_e32 8, v65
; %bb.1049:                             ;   in Loop: Header=BB302_550 Depth=1
	v_ffbh_u32_e32 v63, v63
	v_min_u32_e32 v65, 32, v63
	v_subrev_nc_u32_e32 v63, 28, v65
	v_lshlrev_b64 v[63:64], v63, v[2:3]
	v_sub_nc_u32_e32 v64, 29, v65
	v_and_b32_e32 v63, 7, v63
; %bb.1050:                             ;   in Loop: Header=BB302_550 Depth=1
	s_or_b32 exec_lo, exec_lo, s22
	v_lshlrev_b32_e32 v65, 8, v9
	v_lshl_add_u32 v64, v64, 10, 0x2000
	v_lshlrev_b32_e32 v63, 7, v63
	v_and_b32_e32 v65, 0x8000, v65
	v_and_b32_e32 v64, 0xfc00, v64
	v_or3_b32 v63, v65, v64, v63
.LBB302_1051:                           ;   in Loop: Header=BB302_550 Depth=1
	s_or_b32 exec_lo, exec_lo, s21
.LBB302_1052:                           ;   in Loop: Header=BB302_550 Depth=1
	s_or_b32 exec_lo, exec_lo, s18
.LBB302_1053:                           ;   in Loop: Header=BB302_550 Depth=1
	s_or_b32 exec_lo, exec_lo, s17
	v_lshrrev_b16 v2, 8, v2
	v_mov_b32_e32 v64, 0
	s_mov_b32 s17, exec_lo
	v_cmpx_ne_u16_e32 0, v2
	s_cbranch_execz .LBB302_1061
; %bb.1054:                             ;   in Loop: Header=BB302_550 Depth=1
	v_bfrev_b32_e32 v64, 1
	s_mov_b32 s18, exec_lo
	v_cmpx_ne_u16_e32 0x80, v2
	s_cbranch_execz .LBB302_1060
; %bb.1055:                             ;   in Loop: Header=BB302_550 Depth=1
	v_and_b32_sdwa v66, v2, v27 dst_sel:DWORD dst_unused:UNUSED_PAD src0_sel:WORD_0 src1_sel:DWORD
	v_mov_b32_e32 v64, 0x7c010000
	s_mov_b32 s21, exec_lo
	v_cmpx_ne_u32_e32 0x7f, v66
	s_cbranch_execz .LBB302_1059
; %bb.1056:                             ;   in Loop: Header=BB302_550 Depth=1
	v_and_b32_sdwa v64, v2, v28 dst_sel:DWORD dst_unused:UNUSED_PAD src0_sel:WORD_0 src1_sel:DWORD
	v_lshrrev_b32_e32 v65, 3, v66
	s_mov_b32 s22, exec_lo
	v_cmpx_gt_u32_e32 8, v66
; %bb.1057:                             ;   in Loop: Header=BB302_550 Depth=1
	v_ffbh_u32_e32 v64, v64
	v_min_u32_e32 v66, 32, v64
	v_subrev_nc_u32_e32 v64, 28, v66
	v_lshlrev_b64 v[64:65], v64, v[2:3]
	v_sub_nc_u32_e32 v65, 29, v66
	v_and_b32_e32 v64, 7, v64
; %bb.1058:                             ;   in Loop: Header=BB302_550 Depth=1
	s_or_b32 exec_lo, exec_lo, s22
	v_lshlrev_b32_sdwa v2, v29, v2 dst_sel:DWORD dst_unused:UNUSED_PAD src0_sel:DWORD src1_sel:WORD_0
	v_lshl_add_u32 v65, v65, 10, 0x2000
	v_lshlrev_b32_e32 v64, 23, v64
	v_and_or_b32 v2, 0x8000, v2, v65
	v_lshl_or_b32 v64, v2, 16, v64
.LBB302_1059:                           ;   in Loop: Header=BB302_550 Depth=1
	s_or_b32 exec_lo, exec_lo, s21
.LBB302_1060:                           ;   in Loop: Header=BB302_550 Depth=1
	s_or_b32 exec_lo, exec_lo, s18
.LBB302_1061:                           ;   in Loop: Header=BB302_550 Depth=1
	s_or_b32 exec_lo, exec_lo, s17
	v_lshrrev_b32_e32 v2, 16, v9
	v_cmp_ne_u16_sdwa s0, v2, v3 src0_sel:BYTE_0 src1_sel:DWORD
	s_and_saveexec_b32 s17, s0
	s_cbranch_execz .LBB302_1069
; %bb.1062:                             ;   in Loop: Header=BB302_550 Depth=1
	v_cmp_ne_u16_sdwa s0, v2, v26 src0_sel:BYTE_0 src1_sel:DWORD
	v_mov_b32_e32 v62, 0x8000
	s_and_saveexec_b32 s18, s0
	s_cbranch_execz .LBB302_1068
; %bb.1063:                             ;   in Loop: Header=BB302_550 Depth=1
	v_bfe_u32 v66, v9, 16, 7
	v_mov_b32_e32 v62, 0x7c01
	s_mov_b32 s21, exec_lo
	v_cmpx_ne_u32_e32 0x7f, v66
	s_cbranch_execz .LBB302_1067
; %bb.1064:                             ;   in Loop: Header=BB302_550 Depth=1
	v_and_b32_e32 v62, 7, v2
	v_lshrrev_b32_e32 v65, 3, v66
	s_mov_b32 s22, exec_lo
	v_cmpx_gt_u32_e32 8, v66
; %bb.1065:                             ;   in Loop: Header=BB302_550 Depth=1
	v_ffbh_u32_e32 v62, v62
	v_min_u32_e32 v62, 32, v62
	v_subrev_nc_u32_e32 v65, 28, v62
	v_lshlrev_b64 v[66:67], v65, v[2:3]
	v_sub_nc_u32_e32 v65, 29, v62
	v_and_b32_e32 v62, 7, v66
; %bb.1066:                             ;   in Loop: Header=BB302_550 Depth=1
	s_or_b32 exec_lo, exec_lo, s22
	v_lshlrev_b32_e32 v2, 8, v2
	v_lshl_add_u32 v65, v65, 10, 0x2000
	v_lshlrev_b32_e32 v62, 7, v62
	v_and_b32_e32 v2, 0x8000, v2
	v_and_b32_e32 v65, 0xfc00, v65
	v_or3_b32 v62, v2, v65, v62
.LBB302_1067:                           ;   in Loop: Header=BB302_550 Depth=1
	s_or_b32 exec_lo, exec_lo, s21
.LBB302_1068:                           ;   in Loop: Header=BB302_550 Depth=1
	s_or_b32 exec_lo, exec_lo, s18
.LBB302_1069:                           ;   in Loop: Header=BB302_550 Depth=1
	s_or_b32 exec_lo, exec_lo, s17
	v_cmp_lt_u64_e64 s0, s[4:5], v[8:9]
	v_mov_b32_e32 v8, 0
	s_and_saveexec_b32 s17, s0
	s_cbranch_execz .LBB302_1077
; %bb.1070:                             ;   in Loop: Header=BB302_550 Depth=1
	v_lshrrev_b32_e32 v2, 24, v9
	v_bfrev_b32_e32 v8, 1
	s_mov_b32 s18, exec_lo
	v_cmpx_ne_u32_e32 0x80, v2
	s_cbranch_execz .LBB302_1076
; %bb.1071:                             ;   in Loop: Header=BB302_550 Depth=1
	v_and_b32_e32 v65, 0x7f, v2
	v_mov_b32_e32 v8, 0x7c010000
	s_mov_b32 s21, exec_lo
	v_cmpx_ne_u32_e32 0x7f, v65
	s_cbranch_execz .LBB302_1075
; %bb.1072:                             ;   in Loop: Header=BB302_550 Depth=1
	v_and_b32_e32 v8, 7, v2
	v_lshrrev_b32_e32 v9, 3, v65
	s_mov_b32 s22, exec_lo
	v_cmpx_gt_u32_e32 8, v65
; %bb.1073:                             ;   in Loop: Header=BB302_550 Depth=1
	v_ffbh_u32_e32 v8, v8
	v_min_u32_e32 v65, 32, v8
	v_subrev_nc_u32_e32 v8, 28, v65
	v_lshlrev_b64 v[8:9], v8, v[2:3]
	v_sub_nc_u32_e32 v9, 29, v65
	v_and_b32_e32 v8, 7, v8
; %bb.1074:                             ;   in Loop: Header=BB302_550 Depth=1
	s_or_b32 exec_lo, exec_lo, s22
	v_lshlrev_b32_e32 v2, 8, v2
	v_lshl_add_u32 v9, v9, 10, 0x2000
	v_lshlrev_b32_e32 v8, 23, v8
	v_and_or_b32 v2, 0x8000, v2, v9
	v_lshl_or_b32 v8, v2, 16, v8
.LBB302_1075:                           ;   in Loop: Header=BB302_550 Depth=1
	s_or_b32 exec_lo, exec_lo, s21
.LBB302_1076:                           ;   in Loop: Header=BB302_550 Depth=1
	s_or_b32 exec_lo, exec_lo, s18
.LBB302_1077:                           ;   in Loop: Header=BB302_550 Depth=1
	s_or_b32 exec_lo, exec_lo, s17
	v_or_b32_e32 v2, v60, v61
	s_waitcnt vmcnt(0)
	v_fma_mixlo_f16 v9, v57, v60, 0 op_sel:[0,1,0] op_sel_hi:[0,1,0]
	v_or_b32_e32 v59, v58, v59
	v_fma_mixlo_f16 v60, v57, v58, 0 op_sel:[0,1,0] op_sel_hi:[0,1,0]
	v_or_b32_e32 v61, v64, v63
	v_fma_mixlo_f16 v2, v57, v2, 0 op_sel_hi:[0,1,0]
	v_or_b32_e32 v62, v8, v62
	v_lshlrev_b32_e32 v58, 16, v9
	v_lshlrev_b32_e32 v63, 16, v60
	v_fma_mixlo_f16 v9, v57, v59, 0 op_sel_hi:[0,1,0]
	v_and_b32_e32 v60, 0xffff, v2
	v_fma_mixlo_f16 v2, v57, v64, 0 op_sel:[0,1,0] op_sel_hi:[0,1,0]
	v_fma_mixlo_f16 v59, v57, v61, 0 op_sel_hi:[0,1,0]
	v_fma_mixlo_f16 v8, v57, v8, 0 op_sel:[0,1,0] op_sel_hi:[0,1,0]
	v_fma_mixlo_f16 v57, v57, v62, 0 op_sel_hi:[0,1,0]
	v_and_b32_e32 v65, 0xffff, v9
	v_lshlrev_b32_e32 v61, 16, v2
	v_and_b32_e32 v64, 0xffff, v59
	v_lshlrev_b32_e32 v59, 16, v8
	v_and_b32_e32 v62, 0xffff, v57
	v_or_b32_e32 v9, v58, v60
	v_or_b32_e32 v57, v63, v65
	;; [unrolled: 1-line block ×4, first 2 shown]
	s_and_saveexec_b32 s0, vcc_lo
	s_cbranch_execz .LBB302_548
; %bb.1078:                             ;   in Loop: Header=BB302_550 Depth=1
	v_cmp_gt_i32_e32 vcc_lo, s31, v33
	v_cndmask_b32_e32 v2, 0, v65, vcc_lo
	v_cmp_gt_i32_e32 vcc_lo, s31, v41
	v_cndmask_b32_e32 v8, 0, v63, vcc_lo
	v_cmp_gt_i32_e32 vcc_lo, s31, v39
	v_or_b32_e32 v57, v8, v2
	v_cndmask_b32_e32 v9, 0, v60, vcc_lo
	v_cmp_gt_i32_e32 vcc_lo, s31, v38
	v_cndmask_b32_e32 v33, 0, v58, vcc_lo
	v_cmp_gt_i32_e32 vcc_lo, s31, v37
	v_or_b32_e32 v9, v33, v9
	;; [unrolled: 5-line block ×3, first 2 shown]
	v_cndmask_b32_e32 v35, 0, v62, vcc_lo
	v_cmp_gt_i32_e32 vcc_lo, s31, v34
	v_cndmask_b32_e32 v34, 0, v59, vcc_lo
	v_or_b32_e32 v2, v34, v35
	s_branch .LBB302_548
.LBB302_1079:
	s_or_b32 exec_lo, exec_lo, s12
.LBB302_1080:
	s_or_b32 exec_lo, exec_lo, s1
	ds_bpermute_b32 v1, v17, v25
	ds_bpermute_b32 v2, v17, v24
	;; [unrolled: 1-line block ×8, first 2 shown]
	v_lshrrev_b32_e32 v9, 2, v14
	v_lshlrev_b32_e32 v11, 8, v13
	v_and_b32_e32 v13, 0x3c3, v0
	s_mov_b32 s0, exec_lo
	s_waitcnt lgkmcnt(0)
	s_waitcnt_vscnt null, 0x0
	s_barrier
	buffer_gl0_inv
	v_add_f32_e32 v1, v25, v1
	v_add_f32_e32 v2, v24, v2
	;; [unrolled: 1-line block ×8, first 2 shown]
	ds_bpermute_b32 v5, v12, v1
	ds_bpermute_b32 v6, v12, v2
	;; [unrolled: 1-line block ×8, first 2 shown]
	v_and_b32_e32 v7, 28, v14
	v_add_nc_u32_e32 v10, 0xa0, v7
	s_waitcnt lgkmcnt(7)
	v_add_f32_e32 v8, v1, v5
	s_waitcnt lgkmcnt(6)
	v_add_f32_e32 v7, v2, v6
	;; [unrolled: 2-line block ×8, first 2 shown]
	v_cmpx_eq_u32_e32 64, v13
	s_cbranch_execz .LBB302_1082
; %bb.1081:
	v_add_nc_u32_e32 v12, v10, v11
	v_add_nc_u32_e32 v13, 0xfffffe00, v12
	;; [unrolled: 1-line block ×9, first 2 shown]
	ds_write_b32 v13, v8
	ds_write_b32 v14, v7
	;; [unrolled: 1-line block ×8, first 2 shown]
.LBB302_1082:
	s_or_b32 exec_lo, exec_lo, s0
	v_lshlrev_b32_e32 v9, 2, v9
	s_mov_b32 s1, exec_lo
	v_cmp_eq_u32_e32 vcc_lo, 0, v16
	s_waitcnt lgkmcnt(0)
	s_barrier
	v_add3_u32 v9, 0xa0, v11, v9
	buffer_gl0_inv
	v_cmpx_gt_u32_e32 64, v0
	s_cbranch_execz .LBB302_1093
; %bb.1083:
	s_and_saveexec_b32 s0, vcc_lo
	s_cbranch_execnz .LBB302_1109
; %bb.1084:
	s_or_b32 exec_lo, exec_lo, s0
	s_and_saveexec_b32 s0, vcc_lo
	s_cbranch_execnz .LBB302_1110
.LBB302_1085:
	s_or_b32 exec_lo, exec_lo, s0
	s_and_saveexec_b32 s0, vcc_lo
	s_cbranch_execnz .LBB302_1111
.LBB302_1086:
	s_or_b32 exec_lo, exec_lo, s0
	s_and_saveexec_b32 s0, vcc_lo
	s_cbranch_execnz .LBB302_1112
.LBB302_1087:
	s_or_b32 exec_lo, exec_lo, s0
	s_and_saveexec_b32 s0, vcc_lo
	s_cbranch_execnz .LBB302_1113
.LBB302_1088:
	s_or_b32 exec_lo, exec_lo, s0
	s_and_saveexec_b32 s0, vcc_lo
	s_cbranch_execnz .LBB302_1114
.LBB302_1089:
	s_or_b32 exec_lo, exec_lo, s0
	s_and_saveexec_b32 s0, vcc_lo
	s_cbranch_execnz .LBB302_1115
.LBB302_1090:
	s_or_b32 exec_lo, exec_lo, s0
	s_and_saveexec_b32 s0, vcc_lo
	s_cbranch_execz .LBB302_1092
.LBB302_1091:
	ds_read_b32 v11, v9 offset:224
	s_waitcnt lgkmcnt(0)
	v_add_f32_e32 v1, v1, v11
.LBB302_1092:
	s_or_b32 exec_lo, exec_lo, s0
.LBB302_1093:
	s_or_b32 exec_lo, exec_lo, s1
	v_and_b32_e32 v11, 0x3e3, v0
	s_mov_b32 s1, exec_lo
	s_barrier
	buffer_gl0_inv
	v_cmpx_eq_u32_e32 32, v11
	s_cbranch_execz .LBB302_1095
; %bb.1094:
	ds_write2_b32 v10, v8, v7 offset1:8
	ds_write2_b32 v10, v6, v5 offset0:16 offset1:24
	ds_write2_b32 v10, v4, v3 offset0:32 offset1:40
	;; [unrolled: 1-line block ×3, first 2 shown]
.LBB302_1095:
	s_or_b32 exec_lo, exec_lo, s1
	s_mov_b32 s1, exec_lo
	s_waitcnt lgkmcnt(0)
	s_barrier
	buffer_gl0_inv
	v_cmpx_gt_u32_e32 32, v0
	s_cbranch_execz .LBB302_1106
; %bb.1096:
	s_and_saveexec_b32 s0, vcc_lo
	s_cbranch_execnz .LBB302_1116
; %bb.1097:
	s_or_b32 exec_lo, exec_lo, s0
	s_and_saveexec_b32 s0, vcc_lo
	s_cbranch_execnz .LBB302_1117
.LBB302_1098:
	s_or_b32 exec_lo, exec_lo, s0
	s_and_saveexec_b32 s0, vcc_lo
	s_cbranch_execnz .LBB302_1118
.LBB302_1099:
	s_or_b32 exec_lo, exec_lo, s0
	s_and_saveexec_b32 s0, vcc_lo
	s_cbranch_execnz .LBB302_1119
.LBB302_1100:
	s_or_b32 exec_lo, exec_lo, s0
	s_and_saveexec_b32 s0, vcc_lo
	s_cbranch_execnz .LBB302_1120
.LBB302_1101:
	s_or_b32 exec_lo, exec_lo, s0
	s_and_saveexec_b32 s0, vcc_lo
	s_cbranch_execnz .LBB302_1121
.LBB302_1102:
	s_or_b32 exec_lo, exec_lo, s0
	s_and_saveexec_b32 s0, vcc_lo
	s_cbranch_execnz .LBB302_1122
.LBB302_1103:
	s_or_b32 exec_lo, exec_lo, s0
	s_and_saveexec_b32 s0, vcc_lo
	s_cbranch_execz .LBB302_1105
.LBB302_1104:
	ds_read_b32 v9, v9 offset:224
	s_waitcnt lgkmcnt(0)
	v_add_f32_e32 v1, v1, v9
.LBB302_1105:
	s_or_b32 exec_lo, exec_lo, s0
.LBB302_1106:
	s_or_b32 exec_lo, exec_lo, s1
	s_barrier
	buffer_gl0_inv
	s_mov_b32 s0, exec_lo
	v_cmpx_eq_u32_e32 0, v11
	s_cbranch_execz .LBB302_1108
; %bb.1107:
	s_lshl_b32 s0, s2, 6
	s_mul_i32 s2, s7, s10
	s_ashr_i32 s1, s0, 31
	v_lshrrev_b32_e32 v0, 1, v0
	s_lshl_b64 s[0:1], s[0:1], 1
	;;#ASMSTART
	v_cvt_f16_f32 v8, v8;

	;;#ASMEND
	s_add_u32 s4, s28, s0
	s_addc_u32 s5, s29, s1
	s_ashr_i32 s3, s2, 31
	s_lshl_b64 s[0:1], s[2:3], 1
	s_add_u32 s2, s4, s0
	s_addc_u32 s3, s5, s1
	s_lshl_b32 s0, s8, 6
	s_ashr_i32 s1, s0, 31
	s_lshl_b64 s[0:1], s[0:1], 1
	s_add_u32 s0, s2, s0
	s_addc_u32 s1, s3, s1
	global_store_short v0, v8, s[0:1]
	;;#ASMSTART
	v_cvt_f16_f32 v7, v7;

	;;#ASMEND
	global_store_short v0, v7, s[0:1] offset:16
	;;#ASMSTART
	v_cvt_f16_f32 v6, v6;

	;;#ASMEND
	global_store_short v0, v6, s[0:1] offset:32
	;; [unrolled: 5-line block ×7, first 2 shown]
.LBB302_1108:
	s_endpgm
.LBB302_1109:
	ds_read_b32 v11, v9
	s_waitcnt lgkmcnt(0)
	v_add_f32_e32 v8, v8, v11
	s_or_b32 exec_lo, exec_lo, s0
	s_and_saveexec_b32 s0, vcc_lo
	s_cbranch_execz .LBB302_1085
.LBB302_1110:
	ds_read_b32 v11, v9 offset:32
	s_waitcnt lgkmcnt(0)
	v_add_f32_e32 v7, v7, v11
	s_or_b32 exec_lo, exec_lo, s0
	s_and_saveexec_b32 s0, vcc_lo
	s_cbranch_execz .LBB302_1086
.LBB302_1111:
	ds_read_b32 v11, v9 offset:64
	s_waitcnt lgkmcnt(0)
	v_add_f32_e32 v6, v6, v11
	s_or_b32 exec_lo, exec_lo, s0
	s_and_saveexec_b32 s0, vcc_lo
	s_cbranch_execz .LBB302_1087
.LBB302_1112:
	ds_read_b32 v11, v9 offset:96
	s_waitcnt lgkmcnt(0)
	v_add_f32_e32 v5, v5, v11
	s_or_b32 exec_lo, exec_lo, s0
	s_and_saveexec_b32 s0, vcc_lo
	s_cbranch_execz .LBB302_1088
.LBB302_1113:
	ds_read_b32 v11, v9 offset:128
	s_waitcnt lgkmcnt(0)
	v_add_f32_e32 v4, v4, v11
	s_or_b32 exec_lo, exec_lo, s0
	s_and_saveexec_b32 s0, vcc_lo
	s_cbranch_execz .LBB302_1089
.LBB302_1114:
	ds_read_b32 v11, v9 offset:160
	s_waitcnt lgkmcnt(0)
	v_add_f32_e32 v3, v3, v11
	s_or_b32 exec_lo, exec_lo, s0
	s_and_saveexec_b32 s0, vcc_lo
	s_cbranch_execz .LBB302_1090
.LBB302_1115:
	ds_read_b32 v11, v9 offset:192
	s_waitcnt lgkmcnt(0)
	v_add_f32_e32 v2, v2, v11
	s_or_b32 exec_lo, exec_lo, s0
	s_and_saveexec_b32 s0, vcc_lo
	s_cbranch_execnz .LBB302_1091
	s_branch .LBB302_1092
.LBB302_1116:
	ds_read_b32 v10, v9
	s_waitcnt lgkmcnt(0)
	v_add_f32_e32 v8, v8, v10
	s_or_b32 exec_lo, exec_lo, s0
	s_and_saveexec_b32 s0, vcc_lo
	s_cbranch_execz .LBB302_1098
.LBB302_1117:
	ds_read_b32 v10, v9 offset:32
	s_waitcnt lgkmcnt(0)
	v_add_f32_e32 v7, v7, v10
	s_or_b32 exec_lo, exec_lo, s0
	s_and_saveexec_b32 s0, vcc_lo
	s_cbranch_execz .LBB302_1099
.LBB302_1118:
	ds_read_b32 v10, v9 offset:64
	s_waitcnt lgkmcnt(0)
	v_add_f32_e32 v6, v6, v10
	s_or_b32 exec_lo, exec_lo, s0
	s_and_saveexec_b32 s0, vcc_lo
	s_cbranch_execz .LBB302_1100
.LBB302_1119:
	ds_read_b32 v10, v9 offset:96
	s_waitcnt lgkmcnt(0)
	v_add_f32_e32 v5, v5, v10
	s_or_b32 exec_lo, exec_lo, s0
	s_and_saveexec_b32 s0, vcc_lo
	s_cbranch_execz .LBB302_1101
.LBB302_1120:
	ds_read_b32 v10, v9 offset:128
	s_waitcnt lgkmcnt(0)
	v_add_f32_e32 v4, v4, v10
	s_or_b32 exec_lo, exec_lo, s0
	s_and_saveexec_b32 s0, vcc_lo
	s_cbranch_execz .LBB302_1102
.LBB302_1121:
	ds_read_b32 v10, v9 offset:160
	s_waitcnt lgkmcnt(0)
	v_add_f32_e32 v3, v3, v10
	s_or_b32 exec_lo, exec_lo, s0
	s_and_saveexec_b32 s0, vcc_lo
	s_cbranch_execz .LBB302_1103
.LBB302_1122:
	ds_read_b32 v10, v9 offset:192
	s_waitcnt lgkmcnt(0)
	v_add_f32_e32 v2, v2, v10
	s_or_b32 exec_lo, exec_lo, s0
	s_and_saveexec_b32 s0, vcc_lo
	s_cbranch_execnz .LBB302_1104
	s_branch .LBB302_1105
	.section	.rodata,"a",@progbits
	.p2align	6, 0x0
	.amdhsa_kernel _ZN4vllm25paged_attention_v2_kernelIthLi64ELi32ELi128ELNS_18Fp8KVCacheDataTypeE1ELb1ELi512EEEvPfS2_PT_PKS3_PKT0_S9_ifPKiSB_iPKfiiiSD_SD_iiiii
		.amdhsa_group_segment_fixed_size 160
		.amdhsa_private_segment_fixed_size 0
		.amdhsa_kernarg_size 400
		.amdhsa_user_sgpr_count 6
		.amdhsa_user_sgpr_private_segment_buffer 1
		.amdhsa_user_sgpr_dispatch_ptr 0
		.amdhsa_user_sgpr_queue_ptr 0
		.amdhsa_user_sgpr_kernarg_segment_ptr 1
		.amdhsa_user_sgpr_dispatch_id 0
		.amdhsa_user_sgpr_flat_scratch_init 0
		.amdhsa_user_sgpr_private_segment_size 0
		.amdhsa_wavefront_size32 1
		.amdhsa_uses_dynamic_stack 0
		.amdhsa_system_sgpr_private_segment_wavefront_offset 0
		.amdhsa_system_sgpr_workgroup_id_x 1
		.amdhsa_system_sgpr_workgroup_id_y 1
		.amdhsa_system_sgpr_workgroup_id_z 1
		.amdhsa_system_sgpr_workgroup_info 0
		.amdhsa_system_vgpr_workitem_id 0
		.amdhsa_next_free_vgpr 116
		.amdhsa_next_free_sgpr 53
		.amdhsa_reserve_vcc 1
		.amdhsa_reserve_flat_scratch 0
		.amdhsa_float_round_mode_32 0
		.amdhsa_float_round_mode_16_64 0
		.amdhsa_float_denorm_mode_32 3
		.amdhsa_float_denorm_mode_16_64 3
		.amdhsa_dx10_clamp 1
		.amdhsa_ieee_mode 1
		.amdhsa_fp16_overflow 0
		.amdhsa_workgroup_processor_mode 1
		.amdhsa_memory_ordered 1
		.amdhsa_forward_progress 1
		.amdhsa_shared_vgpr_count 0
		.amdhsa_exception_fp_ieee_invalid_op 0
		.amdhsa_exception_fp_denorm_src 0
		.amdhsa_exception_fp_ieee_div_zero 0
		.amdhsa_exception_fp_ieee_overflow 0
		.amdhsa_exception_fp_ieee_underflow 0
		.amdhsa_exception_fp_ieee_inexact 0
		.amdhsa_exception_int_div_zero 0
	.end_amdhsa_kernel
	.section	.text._ZN4vllm25paged_attention_v2_kernelIthLi64ELi32ELi128ELNS_18Fp8KVCacheDataTypeE1ELb1ELi512EEEvPfS2_PT_PKS3_PKT0_S9_ifPKiSB_iPKfiiiSD_SD_iiiii,"axG",@progbits,_ZN4vllm25paged_attention_v2_kernelIthLi64ELi32ELi128ELNS_18Fp8KVCacheDataTypeE1ELb1ELi512EEEvPfS2_PT_PKS3_PKT0_S9_ifPKiSB_iPKfiiiSD_SD_iiiii,comdat
.Lfunc_end302:
	.size	_ZN4vllm25paged_attention_v2_kernelIthLi64ELi32ELi128ELNS_18Fp8KVCacheDataTypeE1ELb1ELi512EEEvPfS2_PT_PKS3_PKT0_S9_ifPKiSB_iPKfiiiSD_SD_iiiii, .Lfunc_end302-_ZN4vllm25paged_attention_v2_kernelIthLi64ELi32ELi128ELNS_18Fp8KVCacheDataTypeE1ELb1ELi512EEEvPfS2_PT_PKS3_PKT0_S9_ifPKiSB_iPKfiiiSD_SD_iiiii
                                        ; -- End function
	.set _ZN4vllm25paged_attention_v2_kernelIthLi64ELi32ELi128ELNS_18Fp8KVCacheDataTypeE1ELb1ELi512EEEvPfS2_PT_PKS3_PKT0_S9_ifPKiSB_iPKfiiiSD_SD_iiiii.num_vgpr, 116
	.set _ZN4vllm25paged_attention_v2_kernelIthLi64ELi32ELi128ELNS_18Fp8KVCacheDataTypeE1ELb1ELi512EEEvPfS2_PT_PKS3_PKT0_S9_ifPKiSB_iPKfiiiSD_SD_iiiii.num_agpr, 0
	.set _ZN4vllm25paged_attention_v2_kernelIthLi64ELi32ELi128ELNS_18Fp8KVCacheDataTypeE1ELb1ELi512EEEvPfS2_PT_PKS3_PKT0_S9_ifPKiSB_iPKfiiiSD_SD_iiiii.numbered_sgpr, 53
	.set _ZN4vllm25paged_attention_v2_kernelIthLi64ELi32ELi128ELNS_18Fp8KVCacheDataTypeE1ELb1ELi512EEEvPfS2_PT_PKS3_PKT0_S9_ifPKiSB_iPKfiiiSD_SD_iiiii.num_named_barrier, 0
	.set _ZN4vllm25paged_attention_v2_kernelIthLi64ELi32ELi128ELNS_18Fp8KVCacheDataTypeE1ELb1ELi512EEEvPfS2_PT_PKS3_PKT0_S9_ifPKiSB_iPKfiiiSD_SD_iiiii.private_seg_size, 0
	.set _ZN4vllm25paged_attention_v2_kernelIthLi64ELi32ELi128ELNS_18Fp8KVCacheDataTypeE1ELb1ELi512EEEvPfS2_PT_PKS3_PKT0_S9_ifPKiSB_iPKfiiiSD_SD_iiiii.uses_vcc, 1
	.set _ZN4vllm25paged_attention_v2_kernelIthLi64ELi32ELi128ELNS_18Fp8KVCacheDataTypeE1ELb1ELi512EEEvPfS2_PT_PKS3_PKT0_S9_ifPKiSB_iPKfiiiSD_SD_iiiii.uses_flat_scratch, 0
	.set _ZN4vllm25paged_attention_v2_kernelIthLi64ELi32ELi128ELNS_18Fp8KVCacheDataTypeE1ELb1ELi512EEEvPfS2_PT_PKS3_PKT0_S9_ifPKiSB_iPKfiiiSD_SD_iiiii.has_dyn_sized_stack, 0
	.set _ZN4vllm25paged_attention_v2_kernelIthLi64ELi32ELi128ELNS_18Fp8KVCacheDataTypeE1ELb1ELi512EEEvPfS2_PT_PKS3_PKT0_S9_ifPKiSB_iPKfiiiSD_SD_iiiii.has_recursion, 0
	.set _ZN4vllm25paged_attention_v2_kernelIthLi64ELi32ELi128ELNS_18Fp8KVCacheDataTypeE1ELb1ELi512EEEvPfS2_PT_PKS3_PKT0_S9_ifPKiSB_iPKfiiiSD_SD_iiiii.has_indirect_call, 0
	.section	.AMDGPU.csdata,"",@progbits
; Kernel info:
; codeLenInByte = 36676
; TotalNumSgprs: 55
; NumVgprs: 116
; ScratchSize: 0
; MemoryBound: 0
; FloatMode: 240
; IeeeMode: 1
; LDSByteSize: 160 bytes/workgroup (compile time only)
; SGPRBlocks: 0
; VGPRBlocks: 14
; NumSGPRsForWavesPerEU: 55
; NumVGPRsForWavesPerEU: 116
; Occupancy: 8
; WaveLimiterHint : 1
; COMPUTE_PGM_RSRC2:SCRATCH_EN: 0
; COMPUTE_PGM_RSRC2:USER_SGPR: 6
; COMPUTE_PGM_RSRC2:TRAP_HANDLER: 0
; COMPUTE_PGM_RSRC2:TGID_X_EN: 1
; COMPUTE_PGM_RSRC2:TGID_Y_EN: 1
; COMPUTE_PGM_RSRC2:TGID_Z_EN: 1
; COMPUTE_PGM_RSRC2:TIDIG_COMP_CNT: 0
	.section	.text._ZN4vllm25paged_attention_v2_kernelIthLi80ELi32ELi128ELNS_18Fp8KVCacheDataTypeE1ELb1ELi512EEEvPfS2_PT_PKS3_PKT0_S9_ifPKiSB_iPKfiiiSD_SD_iiiii,"axG",@progbits,_ZN4vllm25paged_attention_v2_kernelIthLi80ELi32ELi128ELNS_18Fp8KVCacheDataTypeE1ELb1ELi512EEEvPfS2_PT_PKS3_PKT0_S9_ifPKiSB_iPKfiiiSD_SD_iiiii,comdat
	.protected	_ZN4vllm25paged_attention_v2_kernelIthLi80ELi32ELi128ELNS_18Fp8KVCacheDataTypeE1ELb1ELi512EEEvPfS2_PT_PKS3_PKT0_S9_ifPKiSB_iPKfiiiSD_SD_iiiii ; -- Begin function _ZN4vllm25paged_attention_v2_kernelIthLi80ELi32ELi128ELNS_18Fp8KVCacheDataTypeE1ELb1ELi512EEEvPfS2_PT_PKS3_PKT0_S9_ifPKiSB_iPKfiiiSD_SD_iiiii
	.globl	_ZN4vllm25paged_attention_v2_kernelIthLi80ELi32ELi128ELNS_18Fp8KVCacheDataTypeE1ELb1ELi512EEEvPfS2_PT_PKS3_PKT0_S9_ifPKiSB_iPKfiiiSD_SD_iiiii
	.p2align	8
	.type	_ZN4vllm25paged_attention_v2_kernelIthLi80ELi32ELi128ELNS_18Fp8KVCacheDataTypeE1ELb1ELi512EEEvPfS2_PT_PKS3_PKT0_S9_ifPKiSB_iPKfiiiSD_SD_iiiii,@function
_ZN4vllm25paged_attention_v2_kernelIthLi80ELi32ELi128ELNS_18Fp8KVCacheDataTypeE1ELb1ELi512EEEvPfS2_PT_PKS3_PKT0_S9_ifPKiSB_iPKfiiiSD_SD_iiiii: ; @_ZN4vllm25paged_attention_v2_kernelIthLi80ELi32ELi128ELNS_18Fp8KVCacheDataTypeE1ELb1ELi512EEEvPfS2_PT_PKS3_PKT0_S9_ifPKiSB_iPKfiiiSD_SD_iiiii
; %bb.0:
	s_mov_b64 s[58:59], s[2:3]
	s_mov_b64 s[56:57], s[0:1]
	s_load_dwordx2 s[0:1], s[4:5], 0x40
	s_add_u32 s56, s56, s9
	s_addc_u32 s57, s57, 0
	s_mov_b32 s30, s7
	s_ashr_i32 s31, s7, 31
	s_lshl_b64 s[2:3], s[30:31], 2
	s_waitcnt lgkmcnt(0)
	s_add_u32 s0, s0, s2
	s_addc_u32 s1, s1, s3
	s_lshl_b32 s40, s8, 9
	s_load_dword s31, s[0:1], 0x0
	s_waitcnt lgkmcnt(0)
	s_cmp_ge_i32 s40, s31
	s_cbranch_scc1 .LBB303_1372
; %bb.1:
	s_clause 0x1
	s_load_dword s9, s[4:5], 0x90
	s_load_dwordx2 s[2:3], s[4:5], 0x30
	v_mov_b32_e32 v13, v0
	s_mov_b32 s42, 0
	s_waitcnt lgkmcnt(0)
	s_abs_i32 s10, s9
	s_abs_i32 s0, s2
	v_cvt_f32_u32_e32 v0, s0
	s_sub_i32 s7, 0, s0
	v_rcp_iflag_f32_e32 v0, v0
	v_mul_f32_e32 v0, 0x4f7ffffe, v0
	v_cvt_u32_f32_e32 v0, v0
	v_readfirstlane_b32 s1, v0
	s_mul_i32 s7, s7, s1
	s_mul_hi_u32 s7, s1, s7
	s_add_i32 s1, s1, s7
	s_xor_b32 s7, s9, s2
	s_mul_hi_u32 s1, s10, s1
	s_ashr_i32 s7, s7, 31
	s_mul_i32 s11, s1, s0
	s_sub_i32 s10, s10, s11
	s_add_i32 s11, s1, 1
	s_sub_i32 s12, s10, s0
	s_cmp_ge_u32 s10, s0
	s_cselect_b32 s1, s11, s1
	s_cselect_b32 s10, s12, s10
	s_add_i32 s11, s1, 1
	s_cmp_ge_u32 s10, s0
	s_cselect_b32 s0, s11, s1
	s_abs_i32 s13, s6
	s_xor_b32 s0, s0, s7
	s_sub_i32 s10, s0, s7
	s_load_dwordx2 s[0:1], s[4:5], 0x50
	s_abs_i32 s12, s10
	v_cvt_f32_u32_e32 v0, s12
	s_sub_i32 s11, 0, s12
	v_rcp_iflag_f32_e32 v0, v0
	v_mul_f32_e32 v0, 0x4f7ffffe, v0
	v_cvt_u32_f32_e32 v0, v0
	v_readfirstlane_b32 s7, v0
	s_mul_i32 s11, s11, s7
	s_mul_hi_u32 s11, s7, s11
	s_add_i32 s7, s7, s11
	s_waitcnt lgkmcnt(0)
	s_cmp_eq_u64 s[0:1], 0
	s_mul_hi_u32 s14, s13, s7
	s_cbranch_scc1 .LBB303_3
; %bb.2:
	s_ashr_i32 s7, s6, 31
	s_lshl_b64 s[16:17], s[6:7], 2
	s_add_u32 s0, s0, s16
	s_addc_u32 s1, s1, s17
	s_load_dword s42, s[0:1], 0x0
.LBB303_3:
	s_load_dwordx4 s[16:19], s[4:5], 0x58
	s_ashr_i32 s0, s6, 31
	s_ashr_i32 s1, s10, 31
	s_mul_i32 s10, s6, 0x50
	s_mov_b32 s7, exec_lo
	v_cmpx_gt_u32_e32 10, v13
	s_cbranch_execz .LBB303_5
; %bb.4:
	s_load_dwordx2 s[20:21], s[4:5], 0x18
	s_waitcnt lgkmcnt(0)
	s_mul_i32 s22, s16, s30
	v_lshlrev_b32_e32 v0, 4, v13
	s_ashr_i32 s23, s22, 31
	s_lshl_b64 s[22:23], s[22:23], 1
	s_add_u32 s15, s20, s22
	s_addc_u32 s16, s21, s23
	s_ashr_i32 s11, s10, 31
	s_lshl_b64 s[20:21], s[10:11], 1
	s_add_u32 s20, s15, s20
	s_addc_u32 s21, s16, s21
	global_load_dwordx4 v[1:4], v0, s[20:21]
	s_waitcnt vmcnt(0)
	ds_write_b128 v0, v[1:4]
.LBB303_5:
	s_or_b32 exec_lo, exec_lo, s7
	s_load_dwordx4 s[20:23], s[4:5], 0x78
	s_mul_i32 s7, s14, s12
	s_xor_b32 s0, s0, s1
	s_sub_i32 s1, s13, s7
	s_add_i32 s7, s14, 1
	s_sub_i32 s11, s1, s12
	s_cmp_ge_u32 s1, s12
	s_mov_b32 s13, -1
	s_cselect_b32 s7, s7, s14
	s_cselect_b32 s1, s11, s1
	s_add_i32 s11, s7, 1
	s_cmp_ge_u32 s1, s12
                                        ; implicit-def: $sgpr19
	s_cselect_b32 s1, s11, s7
	s_load_dword s7, s[4:5], 0x88
	s_xor_b32 s1, s1, s0
	s_add_i32 s12, s31, -1
	s_sub_i32 s1, s1, s0
	s_abs_i32 s33, s12
	s_waitcnt lgkmcnt(0)
	s_abs_i32 s11, s23
	s_barrier
	v_cvt_f32_u32_e32 v0, s11
	s_sub_i32 s0, 0, s11
	buffer_gl0_inv
	v_rcp_iflag_f32_e32 v0, v0
	v_mul_f32_e32 v0, 0x4f7ffffe, v0
	v_cvt_u32_f32_e32 v0, v0
	v_readfirstlane_b32 s16, v0
	s_mul_i32 s0, s0, s16
	s_mul_hi_u32 s0, s16, s0
	s_add_i32 s16, s16, s0
	s_cmp_lt_i32 s7, 0
	s_mul_hi_u32 s0, s33, s16
	s_cbranch_scc0 .LBB303_7
; %bb.6:
	s_mul_i32 s2, s20, s2
	s_mov_b32 s13, 0
	s_add_i32 s2, s1, s2
	s_mul_i32 s2, s2, s7
	s_sub_i32 s19, 1, s2
.LBB303_7:
	s_load_dwordx2 s[34:35], s[4:5], 0x38
	s_ashr_i32 s2, s12, 31
	s_andn2_b32 vcc_lo, exec_lo, s13
	s_ashr_i32 s23, s23, 31
	s_cbranch_vccnz .LBB303_9
; %bb.8:
	s_mul_i32 s12, s9, s20
	s_add_i32 s12, s12, s6
	s_mul_i32 s7, s12, s7
	s_add_i32 s19, s7, 1
.LBB303_9:
	s_clause 0x5
	s_load_dword s20, s[4:5], 0x48
	s_load_dwordx2 s[38:39], s[4:5], 0x28
	s_load_dwordx4 s[24:27], s[4:5], 0x0
	s_load_dwordx2 s[28:29], s[4:5], 0x10
	s_load_dword s7, s[4:5], 0x98
	s_load_dwordx4 s[12:15], s[4:5], 0x68
	s_mul_i32 s36, s0, s11
	s_xor_b32 s2, s2, s23
	s_sub_i32 s33, s33, s36
	s_add_i32 s41, s0, 1
	v_lshrrev_b32_e32 v0, 5, v13
	v_and_b32_e32 v3, 31, v13
	v_mov_b32_e32 v17, 0xff7fffff
	s_mul_i32 s18, s1, s18
	v_lshl_add_u32 v15, v0, 5, s40
	v_lshlrev_b32_e32 v14, 2, v3
	buffer_store_dword v0, off, s[56:59], 0 offset:16 ; 4-byte Folded Spill
	buffer_store_dword v3, off, s[56:59], 0 ; 4-byte Folded Spill
	s_waitcnt lgkmcnt(0)
	s_mul_i32 s36, s20, s30
	s_sub_i32 s20, s33, s11
	s_ashr_i32 s37, s36, 31
	s_cmp_ge_u32 s33, s11
	s_cselect_b32 s0, s41, s0
	s_cselect_b32 s20, s20, s33
	s_add_i32 s33, s0, 1
	s_cmp_ge_u32 s20, s11
	s_cselect_b32 s0, s33, s0
	s_add_i32 s20, s31, 31
	s_lshl_b32 s43, s8, 4
	s_ashr_i32 s33, s20, 31
	v_add_nc_u32_e32 v1, s43, v0
	s_lshr_b32 s33, s33, 27
	s_add_i32 s41, s43, 16
	s_add_i32 s20, s20, s33
	s_xor_b32 s44, s0, s2
	s_ashr_i32 s33, s20, 5
	v_ashrrev_i32_e32 v2, 31, v1
	s_min_i32 s20, s41, s33
	s_sub_i32 s41, s44, s2
	v_cmp_gt_i32_e64 s0, s20, v1
	s_and_saveexec_b32 s44, s0
	s_cbranch_execz .LBB303_657
; %bb.10:
	s_clause 0x1
	buffer_load_dword v5, off, s[56:59], 0
	buffer_load_dword v6, off, s[56:59], 0 offset:16
	s_load_dwordx2 s[4:5], s[4:5], 0x20
	s_sub_i32 s45, s41, s21
	s_ashr_i32 s1, s18, 31
	v_lshlrev_b64 v[7:8], 2, v[1:2]
	buffer_store_dword v13, off, s[56:59], 0 offset:20 ; 4-byte Folded Spill
	v_mov_b32_e32 v4, 0
	v_cmp_neq_f32_e64 vcc_lo, s42, 0
	buffer_store_dword v14, off, s[56:59], 0 offset:24 ; 4-byte Folded Spill
	v_mov_b32_e32 v20, 0x80
	v_mov_b32_e32 v13, 0x7f
	;; [unrolled: 1-line block ×5, first 2 shown]
	s_mov_b32 s47, s17
	s_mov_b32 s48, 0
	s_waitcnt lgkmcnt(0)
	s_add_u32 s2, s4, s18
	s_addc_u32 s1, s5, s1
	s_abs_i32 s46, s22
	v_cvt_f32_u32_e32 v0, s46
	s_sub_i32 s4, 0, s46
	v_rcp_iflag_f32_e32 v0, v0
	v_mul_f32_e32 v0, 0x4f7ffffe, v0
	v_cvt_u32_f32_e32 v9, v0
	v_mul_lo_u32 v10, s4, v9
	s_lshl_b64 s[4:5], s[36:37], 2
	v_mul_hi_u32 v10, v9, v10
	v_add_nc_u32_e32 v26, v9, v10
	s_waitcnt vmcnt(1)
	v_lshlrev_b32_e32 v3, 4, v5
	v_subrev_nc_u32_e32 v5, s31, v5
	s_waitcnt vmcnt(0)
	v_lshl_add_u32 v18, v6, 5, s40
	v_lshl_or_b32 v6, v6, 7, v14
	v_mov_b32_e32 v14, 7
	v_add_nc_u32_e32 v0, 1, v5
	v_add_co_u32 v5, s2, s2, v3
	v_add_nc_u32_e32 v25, 0xc0, v6
	v_add_co_ci_u32_e64 v6, null, s1, 0, s2
	s_add_u32 s1, s34, s4
	s_addc_u32 s2, s35, s5
	v_add_co_u32 v7, s1, s1, v7
	v_add_co_ci_u32_e64 v8, null, s2, v8, s1
	s_mov_b32 s4, -1
	s_mov_b32 s5, 0xffffff
	buffer_store_dword v0, off, s[56:59], 0 offset:4 ; 4-byte Folded Spill
	buffer_store_dword v5, off, s[56:59], 0 offset:8 ; 4-byte Folded Spill
	;; [unrolled: 1-line block ×3, first 2 shown]
	s_branch .LBB303_16
.LBB303_11:                             ;   in Loop: Header=BB303_16 Depth=1
	s_or_b32 exec_lo, exec_lo, s52
	v_lshlrev_b32_e32 v3, 8, v3
	v_lshl_add_u32 v10, v10, 10, 0x2000
	v_lshlrev_b32_e32 v9, 23, v9
	v_and_or_b32 v3, 0x8000, v3, v10
	v_lshl_or_b32 v101, v3, 16, v9
.LBB303_12:                             ;   in Loop: Header=BB303_16 Depth=1
	s_or_b32 exec_lo, exec_lo, s51
.LBB303_13:                             ;   in Loop: Header=BB303_16 Depth=1
	s_or_b32 exec_lo, exec_lo, s50
.LBB303_14:                             ;   in Loop: Header=BB303_16 Depth=1
	s_or_b32 exec_lo, exec_lo, s49
	ds_read_b128 v[107:110], v4
	v_or_b32_e32 v10, v29, v30
	v_or_b32_e32 v3, v31, v32
	;; [unrolled: 1-line block ×4, first 2 shown]
	v_fma_mixlo_f16 v16, v28, v29, 0 op_sel:[0,1,0] op_sel_hi:[0,1,0]
	v_fma_mixlo_f16 v10, v28, v10, 0 op_sel_hi:[0,1,0]
	v_fma_mixlo_f16 v9, v28, v31, 0 op_sel:[0,1,0] op_sel_hi:[0,1,0]
	v_fma_mixlo_f16 v3, v28, v3, 0 op_sel_hi:[0,1,0]
	v_fma_mixlo_f16 v21, v28, v21, 0 op_sel_hi:[0,1,0]
	v_fma_mixlo_f16 v22, v28, v35, 0 op_sel:[0,1,0] op_sel_hi:[0,1,0]
	v_fma_mixlo_f16 v24, v28, v37, 0 op_sel:[0,1,0] op_sel_hi:[0,1,0]
	v_fma_mixlo_f16 v23, v28, v23, 0 op_sel_hi:[0,1,0]
	v_and_b32_e32 v0, 0xffff, v16
	v_and_b32_e32 v5, 0xffff, v10
	;; [unrolled: 1-line block ×3, first 2 shown]
	v_fma_mixlo_f16 v35, v28, v47, 0 op_sel:[0,1,0] op_sel_hi:[0,1,0]
	v_fma_mixlo_f16 v33, v28, v43, 0 op_sel:[0,1,0] op_sel_hi:[0,1,0]
	v_or_b32_e32 v48, v51, v48
	v_or_b32_e32 v52, v55, v52
	s_waitcnt lgkmcnt(0)
	v_and_b32_e32 v6, 0xffff, v107
	v_lshrrev_b32_e32 v10, 16, v107
	v_lshrrev_b32_e32 v16, 16, v108
	v_and_b32_e32 v30, 0xffff, v108
	;;#ASMSTART
	v_cvt_f32_f16 v37, v6;
	;;#ASMEND
	;;#ASMSTART
	v_cvt_f32_f16 v10, v10;
	;;#ASMEND
	;; [unrolled: 3-line block ×4, first 2 shown]
	v_and_b32_e32 v0, 0xffff, v9
	v_and_b32_e32 v5, 0xffff, v109
	v_lshrrev_b32_e32 v6, 16, v109
	v_and_b32_e32 v9, 0xffff, v21
	;;#ASMSTART
	v_cvt_f32_f16 v30, v30;
	;;#ASMEND
	;;#ASMSTART
	v_cvt_f32_f16 v31, v16;
	;;#ASMEND
	;; [unrolled: 3-line block ×7, first 2 shown]
	v_and_b32_e32 v0, 0xffff, v22
	v_and_b32_e32 v3, 0xffff, v110
	v_lshrrev_b32_e32 v5, 16, v110
	v_and_b32_e32 v6, 0xffff, v23
	v_and_b32_e32 v9, 0xffff, v24
	;;#ASMSTART
	v_cvt_f32_f16 v115, v0;
	;;#ASMEND
	;;#ASMSTART
	v_cvt_f32_f16 v116, v3;
	;;#ASMEND
	;;#ASMSTART
	v_cvt_f32_f16 v117, v5;
	;;#ASMEND
	;;#ASMSTART
	v_cvt_f32_f16 v118, v6;
	;;#ASMEND
	;;#ASMSTART
	v_cvt_f32_f16 v119, v9;
	;;#ASMEND
	ds_read_b128 v[109:112], v4 offset:16
	v_or_b32_e32 v21, v38, v36
	v_or_b32_e32 v3, v41, v39
	;; [unrolled: 1-line block ×4, first 2 shown]
	v_fma_mixlo_f16 v16, v28, v41, 0 op_sel:[0,1,0] op_sel_hi:[0,1,0]
	v_fma_mixlo_f16 v21, v28, v21, 0 op_sel_hi:[0,1,0]
	v_fma_mixlo_f16 v3, v28, v3, 0 op_sel_hi:[0,1,0]
	v_fma_mixlo_f16 v22, v28, v38, 0 op_sel:[0,1,0] op_sel_hi:[0,1,0]
	v_fma_mixlo_f16 v23, v28, v23, 0 op_sel_hi:[0,1,0]
	v_fma_mixlo_f16 v24, v28, v24, 0 op_sel_hi:[0,1,0]
	v_or_b32_e32 v9, v105, v106
	v_fma_mixlo_f16 v51, v28, v51, 0 op_sel:[0,1,0] op_sel_hi:[0,1,0]
	v_and_b32_e32 v6, 0xffff, v22
	v_or_b32_e32 v66, v69, v66
	v_fma_mixlo_f16 v66, v28, v66, 0 op_sel_hi:[0,1,0]
	s_waitcnt lgkmcnt(0)
	v_and_b32_e32 v0, 0xffff, v109
	;;#ASMSTART
	v_cvt_f32_f16 v36, v0;
	;;#ASMEND
	v_and_b32_e32 v0, 0xffff, v21
	v_lshrrev_b32_e32 v5, 16, v109
	v_and_b32_e32 v38, 0xffff, v110
	v_lshrrev_b32_e32 v39, 16, v110
	;;#ASMSTART
	v_cvt_f32_f16 v21, v5;
	;;#ASMEND
	;;#ASMSTART
	v_cvt_f32_f16 v22, v0;
	;;#ASMEND
	v_and_b32_e32 v0, 0xffff, v3
	v_and_b32_e32 v3, 0xffff, v16
	;; [unrolled: 1-line block ×3, first 2 shown]
	;;#ASMSTART
	v_cvt_f32_f16 v106, v6;
	;;#ASMEND
	;;#ASMSTART
	v_cvt_f32_f16 v120, v38;
	;;#ASMEND
	;; [unrolled: 3-line block ×3, first 2 shown]
	v_and_b32_e32 v5, 0xffff, v111
	v_lshrrev_b32_e32 v6, 16, v111
	;;#ASMSTART
	v_cvt_f32_f16 v23, v0;
	;;#ASMEND
	;;#ASMSTART
	v_cvt_f32_f16 v122, v3;
	;;#ASMEND
	;; [unrolled: 3-line block ×5, first 2 shown]
	v_and_b32_e32 v16, 0xffff, v35
	v_and_b32_e32 v0, 0xffff, v33
	v_and_b32_e32 v3, 0xffff, v112
	v_lshrrev_b32_e32 v5, 16, v112
	v_and_b32_e32 v6, 0xffff, v24
	;;#ASMSTART
	v_cvt_f32_f16 v41, v0;
	;;#ASMEND
	;;#ASMSTART
	v_cvt_f32_f16 v43, v3;
	;;#ASMEND
	;; [unrolled: 3-line block ×5, first 2 shown]
	ds_read_b128 v[109:112], v4 offset:32
	v_or_b32_e32 v3, v49, v46
	v_fma_mixlo_f16 v35, v28, v9, 0 op_sel_hi:[0,1,0]
	v_or_b32_e32 v9, v45, v42
	v_fma_mixlo_f16 v24, v28, v49, 0 op_sel:[0,1,0] op_sel_hi:[0,1,0]
	v_fma_mixlo_f16 v45, v28, v45, 0 op_sel:[0,1,0] op_sel_hi:[0,1,0]
	v_fma_mixlo_f16 v42, v28, v3, 0 op_sel_hi:[0,1,0]
	v_mul_f32_e32 v3, v36, v22
	v_fma_mixlo_f16 v49, v28, v9, 0 op_sel_hi:[0,1,0]
	v_fma_mixlo_f16 v22, v28, v48, 0 op_sel_hi:[0,1,0]
	v_mul_f32_e32 v9, v21, v106
	v_fma_mixlo_f16 v21, v28, v52, 0 op_sel_hi:[0,1,0]
	v_fma_mixlo_f16 v36, v28, v55, 0 op_sel:[0,1,0] op_sel_hi:[0,1,0]
	v_and_b32_e32 v6, 0xffff, v45
	v_and_b32_e32 v22, 0xffff, v22
	v_fmac_f32_e32 v9, v10, v29
	v_mul_f32_e32 v29, v120, v23
	v_fma_mixlo_f16 v33, v28, v105, 0 op_sel:[0,1,0] op_sel_hi:[0,1,0]
	v_fmac_f32_e32 v3, v37, v108
	v_mul_f32_e32 v10, v121, v122
	s_waitcnt lgkmcnt(0)
	v_and_b32_e32 v0, 0xffff, v109
	v_lshrrev_b32_e32 v5, 16, v109
	;;#ASMSTART
	v_cvt_f32_f16 v124, v0;
	;;#ASMEND
	v_and_b32_e32 v0, 0xffff, v49
	v_and_b32_e32 v23, 0xffff, v110
	v_lshrrev_b32_e32 v37, 16, v110
	;;#ASMSTART
	v_cvt_f32_f16 v120, v5;
	;;#ASMEND
	;;#ASMSTART
	v_cvt_f32_f16 v127, v0;
	;;#ASMEND
	;; [unrolled: 3-line block ×5, first 2 shown]
	v_and_b32_e32 v0, 0xffff, v42
	v_and_b32_e32 v5, 0xffff, v24
	;; [unrolled: 1-line block ×3, first 2 shown]
	v_lshrrev_b32_e32 v23, 16, v111
	;;#ASMSTART
	v_cvt_f32_f16 v125, v0;
	;;#ASMEND
	;;#ASMSTART
	v_cvt_f32_f16 v126, v5;
	;;#ASMEND
	;; [unrolled: 3-line block ×5, first 2 shown]
	v_and_b32_e32 v21, 0xffff, v21
	v_and_b32_e32 v22, 0xffff, v36
	;; [unrolled: 1-line block ×4, first 2 shown]
	v_lshrrev_b32_e32 v6, 16, v112
	;;#ASMSTART
	v_cvt_f32_f16 v108, v0;
	;;#ASMEND
	;;#ASMSTART
	v_cvt_f32_f16 v109, v5;
	;;#ASMEND
	;; [unrolled: 3-line block ×5, first 2 shown]
	ds_read_b128 v[21:24], v4 offset:48
	v_or_b32_e32 v49, v53, v50
	v_or_b32_e32 v42, v57, v54
	;; [unrolled: 1-line block ×4, first 2 shown]
	v_fma_mixlo_f16 v52, v28, v53, 0 op_sel:[0,1,0] op_sel_hi:[0,1,0]
	v_fma_mixlo_f16 v49, v28, v49, 0 op_sel_hi:[0,1,0]
	v_or_b32_e32 v46, v97, v100
	v_fma_mixlo_f16 v45, v28, v57, 0 op_sel:[0,1,0] op_sel_hi:[0,1,0]
	v_fma_mixlo_f16 v42, v28, v42, 0 op_sel_hi:[0,1,0]
	v_fma_mixlo_f16 v50, v28, v50, 0 op_sel_hi:[0,1,0]
	;; [unrolled: 1-line block ×3, first 2 shown]
	v_or_b32_e32 v48, v103, v104
	v_fma_mixlo_f16 v104, v28, v59, 0 op_sel:[0,1,0] op_sel_hi:[0,1,0]
	v_fma_mixlo_f16 v0, v28, v63, 0 op_sel:[0,1,0] op_sel_hi:[0,1,0]
	v_fmac_f32_e32 v10, v31, v34
	v_mul_f32_e32 v31, v44, v16
	v_and_b32_e32 v16, 0xffff, v52
	v_fma_mixlo_f16 v36, v28, v97, 0 op_sel:[0,1,0] op_sel_hi:[0,1,0]
	v_fma_mixlo_f16 v37, v28, v46, 0 op_sel_hi:[0,1,0]
	s_waitcnt lgkmcnt(0)
	v_and_b32_e32 v5, 0xffff, v21
	v_lshrrev_b32_e32 v6, 16, v21
	v_and_b32_e32 v21, 0xffff, v22
	;;#ASMSTART
	v_cvt_f32_f16 v53, v5;
	;;#ASMEND
	v_and_b32_e32 v5, 0xffff, v49
	v_lshrrev_b32_e32 v22, 16, v22
	;;#ASMSTART
	v_cvt_f32_f16 v54, v6;
	;;#ASMEND
	;;#ASMSTART
	v_cvt_f32_f16 v56, v5;
	;;#ASMEND
	;; [unrolled: 3-line block ×4, first 2 shown]
	v_lshrrev_b32_e32 v21, 16, v23
	v_or_b32_e32 v46, v99, v102
	v_fmac_f32_e32 v29, v30, v32
	v_mul_f32_e32 v32, v43, v47
	;;#ASMSTART
	v_cvt_f32_f16 v47, v22;
	;;#ASMEND
	v_and_b32_e32 v5, 0xffff, v42
	v_and_b32_e32 v6, 0xffff, v45
	;; [unrolled: 1-line block ×4, first 2 shown]
	;;#ASMSTART
	v_cvt_f32_f16 v102, v5;
	;;#ASMEND
	;;#ASMSTART
	v_cvt_f32_f16 v60, v6;
	;;#ASMEND
	;; [unrolled: 3-line block ×4, first 2 shown]
	v_and_b32_e32 v21, 0xffff, v51
	;;#ASMSTART
	v_cvt_f32_f16 v100, v22;
	;;#ASMEND
	v_and_b32_e32 v5, 0xffff, v104
	v_and_b32_e32 v6, 0xffff, v24
	v_lshrrev_b32_e32 v16, 16, v24
	v_and_b32_e32 v0, 0xffff, v0
	;;#ASMSTART
	v_cvt_f32_f16 v104, v5;
	;;#ASMEND
	;;#ASMSTART
	v_cvt_f32_f16 v42, v6;
	;;#ASMEND
	;; [unrolled: 3-line block ×5, first 2 shown]
	ds_read_b128 v[21:24], v4 offset:64
	v_mul_f32_e32 v34, v38, v41
	v_fma_mixlo_f16 v41, v28, v46, 0 op_sel_hi:[0,1,0]
	v_or_b32_e32 v46, v61, v58
	v_fma_mixlo_f16 v38, v28, v48, 0 op_sel_hi:[0,1,0]
	v_or_b32_e32 v48, v67, v64
	v_or_b32_e32 v0, v65, v62
	;; [unrolled: 1-line block ×3, first 2 shown]
	v_fma_mixlo_f16 v50, v28, v61, 0 op_sel:[0,1,0] op_sel_hi:[0,1,0]
	v_fma_mixlo_f16 v51, v28, v46, 0 op_sel_hi:[0,1,0]
	v_fma_mixlo_f16 v58, v28, v48, 0 op_sel_hi:[0,1,0]
	v_fma_mixlo_f16 v6, v28, v65, 0 op_sel:[0,1,0] op_sel_hi:[0,1,0]
	v_fma_mixlo_f16 v0, v28, v0, 0 op_sel_hi:[0,1,0]
	v_fma_mixlo_f16 v68, v28, v49, 0 op_sel_hi:[0,1,0]
	v_fma_mixlo_f16 v71, v28, v71, 0 op_sel:[0,1,0] op_sel_hi:[0,1,0]
	v_fma_mixlo_f16 v67, v28, v67, 0 op_sel:[0,1,0] op_sel_hi:[0,1,0]
	v_and_b32_e32 v49, 0xffff, v51
	v_and_b32_e32 v50, 0xffff, v50
	;; [unrolled: 1-line block ×4, first 2 shown]
	s_waitcnt lgkmcnt(0)
	v_and_b32_e32 v46, 0xffff, v21
	v_lshrrev_b32_e32 v21, 16, v21
	v_and_b32_e32 v51, 0xffff, v22
	v_lshrrev_b32_e32 v22, 16, v22
	;;#ASMSTART
	v_cvt_f32_f16 v46, v46;
	;;#ASMEND
	;;#ASMSTART
	v_cvt_f32_f16 v48, v21;
	;;#ASMEND
	;; [unrolled: 3-line block ×6, first 2 shown]
	v_and_b32_e32 v21, 0xffff, v23
	v_lshrrev_b32_e32 v22, 16, v23
	v_and_b32_e32 v23, 0xffff, v58
	;;#ASMSTART
	v_cvt_f32_f16 v58, v0;
	;;#ASMEND
	;;#ASMSTART
	v_cvt_f32_f16 v61, v6;
	;;#ASMEND
	;; [unrolled: 3-line block ×5, first 2 shown]
	v_lshrrev_b32_e32 v21, 16, v24
	v_and_b32_e32 v22, 0xffff, v68
	v_and_b32_e32 v23, 0xffff, v71
	v_or_b32_e32 v16, v89, v91
	v_or_b32_e32 v5, v85, v87
	v_and_b32_e32 v0, 0xffff, v67
	v_and_b32_e32 v6, 0xffff, v24
	;;#ASMSTART
	v_cvt_f32_f16 v67, v0;
	;;#ASMEND
	;;#ASMSTART
	v_cvt_f32_f16 v68, v6;
	;;#ASMEND
	;; [unrolled: 3-line block ×5, first 2 shown]
	ds_read_b128 v[21:24], v4 offset:80
	v_or_b32_e32 v0, v73, v70
	v_or_b32_e32 v70, v75, v72
	v_mul_f32_e32 v30, v39, v40
	v_or_b32_e32 v72, v79, v76
	v_fma_mixlo_f16 v39, v28, v103, 0 op_sel:[0,1,0] op_sel_hi:[0,1,0]
	v_fma_mixlo_f16 v103, v28, v16, 0 op_sel_hi:[0,1,0]
	v_fma_mixlo_f16 v16, v28, v73, 0 op_sel:[0,1,0] op_sel_hi:[0,1,0]
	v_fma_mixlo_f16 v73, v28, v69, 0 op_sel:[0,1,0] op_sel_hi:[0,1,0]
	v_fmac_f32_e32 v31, v117, v119
	v_fma_mixlo_f16 v117, v28, v85, 0 op_sel:[0,1,0] op_sel_hi:[0,1,0]
	v_fma_mixlo_f16 v85, v28, v70, 0 op_sel_hi:[0,1,0]
	v_fmac_f32_e32 v30, v113, v114
	v_fma_mixlo_f16 v0, v28, v0, 0 op_sel_hi:[0,1,0]
	v_fma_mixlo_f16 v113, v28, v72, 0 op_sel_hi:[0,1,0]
	v_fma_mixlo_f16 v114, v28, v79, 0 op_sel:[0,1,0] op_sel_hi:[0,1,0]
	v_fmac_f32_e32 v34, v107, v115
	v_fma_mixlo_f16 v107, v28, v75, 0 op_sel:[0,1,0] op_sel_hi:[0,1,0]
	v_and_b32_e32 v73, 0xffff, v73
	v_and_b32_e32 v66, 0xffff, v66
	s_waitcnt lgkmcnt(0)
	v_and_b32_e32 v69, 0xffff, v21
	v_lshrrev_b32_e32 v21, 16, v21
	v_and_b32_e32 v75, 0xffff, v22
	v_lshrrev_b32_e32 v22, 16, v22
	;;#ASMSTART
	v_cvt_f32_f16 v69, v69;
	;;#ASMEND
	;;#ASMSTART
	v_cvt_f32_f16 v70, v21;
	;;#ASMEND
	;; [unrolled: 3-line block ×6, first 2 shown]
	v_and_b32_e32 v21, 0xffff, v23
	v_lshrrev_b32_e32 v22, 16, v23
	v_and_b32_e32 v23, 0xffff, v85
	v_fma_mixlo_f16 v40, v28, v99, 0 op_sel:[0,1,0] op_sel_hi:[0,1,0]
	v_fmac_f32_e32 v32, v116, v118
	v_fma_mixlo_f16 v99, v28, v89, 0 op_sel:[0,1,0] op_sel_hi:[0,1,0]
	v_fma_mixlo_f16 v118, v28, v5, 0 op_sel_hi:[0,1,0]
	v_or_b32_e32 v5, v86, v88
	v_or_b32_e32 v6, v90, v92
	v_and_b32_e32 v0, 0xffff, v0
	v_and_b32_e32 v16, 0xffff, v16
	;;#ASMSTART
	v_cvt_f32_f16 v79, v0;
	;;#ASMEND
	;;#ASMSTART
	v_cvt_f32_f16 v85, v16;
	;;#ASMEND
	;; [unrolled: 3-line block ×5, first 2 shown]
	v_lshrrev_b32_e32 v21, 16, v24
	v_and_b32_e32 v22, 0xffff, v113
	v_and_b32_e32 v23, 0xffff, v114
	;; [unrolled: 1-line block ×4, first 2 shown]
	;;#ASMSTART
	v_cvt_f32_f16 v107, v0;
	;;#ASMEND
	;;#ASMSTART
	v_cvt_f32_f16 v113, v16;
	;;#ASMEND
	;; [unrolled: 3-line block ×5, first 2 shown]
	ds_read_b128 v[21:24], v4 offset:96
	v_or_b32_e32 v0, v81, v78
	v_fma_mixlo_f16 v119, v28, v6, 0 op_sel_hi:[0,1,0]
	v_or_b32_e32 v6, v77, v74
	v_or_b32_e32 v16, v82, v80
	v_fma_mixlo_f16 v74, v28, v77, 0 op_sel:[0,1,0] op_sel_hi:[0,1,0]
	v_fma_mixlo_f16 v0, v28, v0, 0 op_sel_hi:[0,1,0]
	v_fma_mixlo_f16 v77, v28, v82, 0 op_sel:[0,1,0] op_sel_hi:[0,1,0]
	v_fma_mixlo_f16 v6, v28, v6, 0 op_sel_hi:[0,1,0]
	v_fmac_f32_e32 v3, v124, v127
	v_fma_mixlo_f16 v124, v28, v5, 0 op_sel_hi:[0,1,0]
	v_fma_mixlo_f16 v5, v28, v81, 0 op_sel:[0,1,0] op_sel_hi:[0,1,0]
	v_or_b32_e32 v66, v84, v83
	v_fma_mixlo_f16 v16, v28, v16, 0 op_sel_hi:[0,1,0]
	v_and_b32_e32 v0, 0xffff, v0
	v_fmac_f32_e32 v9, v120, v121
	v_fmac_f32_e32 v34, v55, v108
	;; [unrolled: 1-line block ×4, first 2 shown]
	v_and_b32_e32 v6, 0xffff, v6
	s_waitcnt lgkmcnt(0)
	v_and_b32_e32 v78, 0xffff, v21
	v_lshrrev_b32_e32 v21, 16, v21
	;;#ASMSTART
	v_cvt_f32_f16 v112, v78;
	;;#ASMEND
	v_and_b32_e32 v55, 0xffff, v74
	v_and_b32_e32 v74, 0xffff, v22
	v_lshrrev_b32_e32 v22, 16, v22
	;;#ASMSTART
	v_cvt_f32_f16 v108, v21;
	;;#ASMEND
	;;#ASMSTART
	v_cvt_f32_f16 v120, v6;
	;;#ASMEND
	;;#ASMSTART
	v_cvt_f32_f16 v109, v55;
	;;#ASMEND
	;;#ASMSTART
	v_cvt_f32_f16 v110, v74;
	;;#ASMEND
	;;#ASMSTART
	v_cvt_f32_f16 v111, v22;
	;;#ASMEND
	;;#ASMSTART
	v_cvt_f32_f16 v121, v0;
	;;#ASMEND
	v_and_b32_e32 v0, 0xffff, v77
	v_fmac_f32_e32 v29, v122, v125
	v_fmac_f32_e32 v10, v123, v126
	v_fma_mixlo_f16 v123, v28, v86, 0 op_sel:[0,1,0] op_sel_hi:[0,1,0]
	v_fma_mixlo_f16 v86, v28, v90, 0 op_sel:[0,1,0] op_sel_hi:[0,1,0]
	v_fma_mixlo_f16 v82, v28, v66, 0 op_sel_hi:[0,1,0]
	v_fma_mixlo_f16 v83, v28, v84, 0 op_sel:[0,1,0] op_sel_hi:[0,1,0]
	v_or_b32_e32 v84, v98, v94
	v_and_b32_e32 v5, 0xffff, v5
	v_and_b32_e32 v6, 0xffff, v23
	v_lshrrev_b32_e32 v21, 16, v23
	v_and_b32_e32 v16, 0xffff, v16
	;;#ASMSTART
	v_cvt_f32_f16 v122, v5;
	;;#ASMEND
	;;#ASMSTART
	v_cvt_f32_f16 v78, v6;
	;;#ASMEND
	;; [unrolled: 3-line block ×5, first 2 shown]
	v_or_b32_e32 v0, v12, v11
	v_fma_mixlo_f16 v66, v28, v98, 0 op_sel:[0,1,0] op_sel_hi:[0,1,0]
	v_fmac_f32_e32 v30, v105, v106
	v_and_b32_e32 v5, 0xffff, v24
	v_lshrrev_b32_e32 v6, 16, v24
	v_and_b32_e32 v16, 0xffff, v82
	v_and_b32_e32 v21, 0xffff, v83
	;;#ASMSTART
	v_cvt_f32_f16 v94, v5;
	;;#ASMEND
	;;#ASMSTART
	v_cvt_f32_f16 v98, v6;
	;;#ASMEND
	;; [unrolled: 3-line block ×4, first 2 shown]
	v_fma_mixlo_f16 v82, v28, v84, 0 op_sel_hi:[0,1,0]
	v_fma_mixlo_f16 v84, v28, v0, 0 op_sel_hi:[0,1,0]
	buffer_load_dword v0, off, s[56:59], 0 offset:4 ; 4-byte Folded Reload
	ds_read_b128 v[21:24], v4 offset:112
	v_or_b32_e32 v5, v95, v93
	v_or_b32_e32 v6, v101, v96
	v_fma_mixlo_f16 v83, v28, v12, 0 op_sel:[0,1,0] op_sel_hi:[0,1,0]
	v_fma_mixlo_f16 v74, v28, v95, 0 op_sel:[0,1,0] op_sel_hi:[0,1,0]
	;; [unrolled: 1-line block ×3, first 2 shown]
	v_fma_mixlo_f16 v77, v28, v5, 0 op_sel_hi:[0,1,0]
	v_fma_mixlo_f16 v55, v28, v6, 0 op_sel_hi:[0,1,0]
	v_fmac_f32_e32 v3, v53, v56
	v_fmac_f32_e32 v9, v54, v57
	;; [unrolled: 1-line block ×3, first 2 shown]
	v_and_b32_e32 v6, 0xffff, v117
	v_fmac_f32_e32 v29, v59, v102
	v_fmac_f32_e32 v30, v63, v100
	;; [unrolled: 1-line block ×7, first 2 shown]
	v_and_b32_e32 v45, 0xffff, v41
	s_waitcnt lgkmcnt(0)
	v_lshrrev_b32_e32 v5, 16, v21
	v_and_b32_e32 v16, 0xffff, v22
	v_and_b32_e32 v48, 0xffff, v39
	v_fmac_f32_e32 v29, v51, v58
	v_fmac_f32_e32 v3, v69, v72
	;; [unrolled: 1-line block ×22, first 2 shown]
	s_waitcnt vmcnt(0)
	v_add_nc_u32_e32 v0, v0, v18
	v_cvt_f32_i32_e32 v11, v0
	v_and_b32_e32 v0, 0xffff, v21
	;;#ASMSTART
	v_cvt_f32_f16 v28, v0;
	;;#ASMEND
	v_and_b32_e32 v0, 0xffff, v118
	v_lshrrev_b32_e32 v21, 16, v22
	;;#ASMSTART
	v_cvt_f32_f16 v47, v5;
	;;#ASMEND
	;;#ASMSTART
	v_cvt_f32_f16 v53, v0;
	;;#ASMEND
	;; [unrolled: 3-line block ×5, first 2 shown]
	v_and_b32_e32 v0, 0xffff, v103
	v_and_b32_e32 v21, 0xffff, v124
	;; [unrolled: 1-line block ×4, first 2 shown]
	v_lshrrev_b32_e32 v16, 16, v23
	;;#ASMSTART
	v_cvt_f32_f16 v59, v0;
	;;#ASMEND
	;;#ASMSTART
	v_cvt_f32_f16 v60, v5;
	;;#ASMEND
	;; [unrolled: 3-line block ×5, first 2 shown]
	v_and_b32_e32 v0, 0xffff, v123
	v_and_b32_e32 v21, 0xffff, v119
	;; [unrolled: 1-line block ×4, first 2 shown]
	v_lshrrev_b32_e32 v6, 16, v24
	;;#ASMSTART
	v_cvt_f32_f16 v0, v0;
	;;#ASMEND
	;;#ASMSTART
	v_cvt_f32_f16 v16, v5;
	;;#ASMEND
	;; [unrolled: 3-line block ×5, first 2 shown]
	ds_read_b128 v[21:24], v4 offset:128
	v_fmac_f32_e32 v3, v28, v53
	v_fmac_f32_e32 v9, v47, v54
	;; [unrolled: 1-line block ×5, first 2 shown]
	v_and_b32_e32 v16, 0xffff, v83
	v_fmac_f32_e32 v10, v57, v60
	v_fmac_f32_e32 v30, v63, v95
	;; [unrolled: 1-line block ×3, first 2 shown]
	s_waitcnt lgkmcnt(0)
	v_and_b32_e32 v5, 0xffff, v21
	v_lshrrev_b32_e32 v6, 16, v21
	v_and_b32_e32 v21, 0xffff, v37
	v_and_b32_e32 v37, 0xffff, v36
	;; [unrolled: 1-line block ×3, first 2 shown]
	v_lshrrev_b32_e32 v22, 16, v22
	;;#ASMSTART
	v_cvt_f32_f16 v5, v5;
	;;#ASMEND
	;;#ASMSTART
	v_cvt_f32_f16 v6, v6;
	;;#ASMEND
	;; [unrolled: 3-line block ×6, first 2 shown]
	v_and_b32_e32 v21, 0xffff, v35
	v_and_b32_e32 v22, 0xffff, v33
	;; [unrolled: 1-line block ×3, first 2 shown]
	v_lshrrev_b32_e32 v23, 16, v23
	;;#ASMSTART
	v_cvt_f32_f16 v33, v21;
	;;#ASMEND
	;;#ASMSTART
	v_cvt_f32_f16 v35, v22;
	;;#ASMEND
	;; [unrolled: 3-line block ×4, first 2 shown]
	v_and_b32_e32 v21, 0xffff, v40
	v_and_b32_e32 v22, 0xffff, v24
	v_lshrrev_b32_e32 v23, 16, v24
	v_and_b32_e32 v24, 0xffff, v38
	;;#ASMSTART
	v_cvt_f32_f16 v45, v45;
	;;#ASMEND
	;;#ASMSTART
	v_cvt_f32_f16 v38, v21;
	;;#ASMEND
	;; [unrolled: 3-line block ×6, first 2 shown]
	ds_read_b128 v[21:24], v4 offset:144
	v_fmac_f32_e32 v3, v5, v36
	v_fmac_f32_e32 v9, v6, v37
	v_and_b32_e32 v6, 0xffff, v84
	v_fmac_f32_e32 v29, v42, v33
	v_fmac_f32_e32 v10, v43, v35
	;; [unrolled: 1-line block ×6, first 2 shown]
	s_waitcnt lgkmcnt(0)
	v_and_b32_e32 v0, 0xffff, v21
	v_lshrrev_b32_e32 v5, 16, v21
	;;#ASMSTART
	v_cvt_f32_f16 v0, v0;
	;;#ASMEND
	;;#ASMSTART
	v_cvt_f32_f16 v5, v5;
	;;#ASMEND
	;; [unrolled: 3-line block ×4, first 2 shown]
	v_fmac_f32_e32 v3, v0, v6
	v_fmac_f32_e32 v9, v5, v16
	v_and_b32_e32 v0, 0xffff, v22
	v_lshrrev_b32_e32 v6, 16, v22
	;;#ASMSTART
	v_cvt_f32_f16 v0, v0;
	;;#ASMEND
	v_and_b32_e32 v21, 0xffff, v82
	;;#ASMSTART
	v_cvt_f32_f16 v5, v6;
	;;#ASMEND
	;;#ASMSTART
	v_cvt_f32_f16 v6, v21;
	;;#ASMEND
	v_fmac_f32_e32 v29, v0, v6
	v_add_f32_e32 v0, v3, v9
	v_and_b32_e32 v22, 0xffff, v66
	;;#ASMSTART
	v_cvt_f32_f16 v16, v22;
	;;#ASMEND
	v_fmac_f32_e32 v10, v5, v16
	v_and_b32_e32 v5, 0xffff, v23
	v_add_f32_e32 v0, v0, v29
	v_lshrrev_b32_e32 v6, 16, v23
	v_and_b32_e32 v9, 0xffff, v77
	;;#ASMSTART
	v_cvt_f32_f16 v3, v5;
	;;#ASMEND
	;;#ASMSTART
	v_cvt_f32_f16 v5, v6;
	;;#ASMEND
	;; [unrolled: 3-line block ×3, first 2 shown]
	v_fmac_f32_e32 v30, v3, v6
	v_and_b32_e32 v3, 0xffff, v24
	v_lshrrev_b32_e32 v6, 16, v24
	v_and_b32_e32 v16, 0xffff, v74
	;;#ASMSTART
	v_cvt_f32_f16 v9, v16;
	;;#ASMEND
	v_add_f32_e32 v0, v10, v0
	v_and_b32_e32 v10, 0xffff, v55
	v_fmac_f32_e32 v34, v5, v9
	;;#ASMSTART
	v_cvt_f32_f16 v3, v3;
	;;#ASMEND
	;;#ASMSTART
	v_cvt_f32_f16 v5, v6;
	;;#ASMEND
	;; [unrolled: 3-line block ×3, first 2 shown]
	v_and_b32_e32 v9, 0xffff, v12
	v_fmac_f32_e32 v32, v3, v6
	;;#ASMSTART
	v_cvt_f32_f16 v6, v9;
	;;#ASMEND
	v_fmac_f32_e32 v31, v5, v6
	buffer_load_dword v5, off, s[56:59], 0  ; 4-byte Folded Reload
	v_add_f32_e32 v0, v0, v30
	v_mul_f32_e32 v3, s42, v11
	v_add_f32_e32 v0, v34, v0
	v_cndmask_b32_e32 v3, 0, v3, vcc_lo
	v_add_f32_e32 v0, v0, v32
	v_add_f32_e32 v0, v31, v0
	v_fmac_f32_e32 v3, s3, v0
	v_max_f32_e32 v0, v17, v17
	v_max_f32_e32 v0, v0, v3
	s_waitcnt vmcnt(0)
	v_add_nc_u32_e32 v5, v5, v18
	v_cmp_gt_i32_e64 s1, s31, v5
	v_cndmask_b32_e64 v3, 0, v3, s1
	v_cndmask_b32_e64 v17, v17, v0, s1
	ds_write_b32 v25, v3
.LBB303_15:                             ;   in Loop: Header=BB303_16 Depth=1
	s_or_b32 exec_lo, exec_lo, s2
	v_add_nc_u32_e32 v27, 4, v27
	v_add_co_u32 v7, s2, v7, 16
	v_add_co_ci_u32_e64 v8, null, 0, v8, s2
	v_cmp_le_i32_e64 s1, s20, v27
	v_add_nc_u32_e32 v18, 0x80, v18
	v_add_nc_u32_e32 v25, 0x200, v25
	s_or_b32 s48, s1, s48
	s_andn2_b32 exec_lo, exec_lo, s48
	s_cbranch_execz .LBB303_656
.LBB303_16:                             ; =>This Inner Loop Header: Depth=1
	v_sub_nc_u32_e32 v3, 0, v18
	v_max_i32_e32 v3, v18, v3
	v_mul_hi_u32 v9, v3, s16
	v_mul_lo_u32 v10, v9, s11
	v_sub_nc_u32_e32 v3, v3, v10
	v_add_nc_u32_e32 v10, 1, v9
	v_subrev_nc_u32_e32 v11, s11, v3
	v_cmp_le_u32_e64 s1, s11, v3
	v_cndmask_b32_e64 v9, v9, v10, s1
	v_cndmask_b32_e64 v3, v3, v11, s1
	v_ashrrev_i32_e32 v10, 31, v18
	v_add_nc_u32_e32 v11, 1, v9
	v_cmp_le_u32_e64 s1, s11, v3
	v_xor_b32_e32 v10, s23, v10
	v_cndmask_b32_e64 v3, v9, v11, s1
	v_xor_b32_e32 v3, v3, v10
	v_sub_nc_u32_e32 v3, v3, v10
	v_add_nc_u32_e32 v9, s19, v3
	v_cmp_ge_i32_e64 s2, s45, v3
	v_sub_nc_u32_e32 v10, 0, v9
	v_max_i32_e32 v10, v9, v10
	v_ashrrev_i32_e32 v9, 31, v9
	v_mul_hi_u32 v11, v10, v26
	v_mul_lo_u32 v11, v11, s46
	v_sub_nc_u32_e32 v10, v10, v11
	v_subrev_nc_u32_e32 v11, s46, v10
	v_cmp_le_u32_e64 s1, s46, v10
	v_cndmask_b32_e64 v10, v10, v11, s1
	v_subrev_nc_u32_e32 v11, s46, v10
	v_cmp_le_u32_e64 s1, s46, v10
	v_cndmask_b32_e64 v10, v10, v11, s1
	v_xor_b32_e32 v10, v10, v9
	v_sub_nc_u32_e32 v9, v10, v9
	v_cmp_ne_u32_e64 s1, 0, v9
	s_and_b32 s1, s1, s2
	s_and_saveexec_b32 s2, s1
	s_xor_b32 s1, exec_lo, s2
; %bb.17:                               ;   in Loop: Header=BB303_16 Depth=1
	v_mov_b32_e32 v0, 0xff7fffff
	ds_write_b32 v25, v0
; %bb.18:                               ;   in Loop: Header=BB303_16 Depth=1
	s_andn2_saveexec_b32 s2, s1
	s_cbranch_execz .LBB303_15
; %bb.19:                               ;   in Loop: Header=BB303_16 Depth=1
	global_load_dword v3, v[7:8], off
	s_clause 0x1
	buffer_load_dword v5, off, s[56:59], 0 offset:8
	buffer_load_dword v6, off, s[56:59], 0 offset:12
	v_mov_b32_e32 v29, 0
	v_mov_b32_e32 v30, 0
	global_load_dword v28, v29, s[12:13]
	s_waitcnt vmcnt(1)
	v_mad_i64_i32 v[9:10], null, v3, s47, v[5:6]
	global_load_dwordx2 v[11:12], v[9:10], off
	s_waitcnt vmcnt(0)
	v_cmp_ne_u16_sdwa s1, v11, v4 src0_sel:BYTE_0 src1_sel:DWORD
	s_and_saveexec_b32 s49, s1
	s_cbranch_execz .LBB303_27
; %bb.20:                               ;   in Loop: Header=BB303_16 Depth=1
	v_cmp_ne_u16_sdwa s1, v11, v20 src0_sel:BYTE_0 src1_sel:DWORD
	v_mov_b32_e32 v30, 0x8000
	s_and_saveexec_b32 s50, s1
	s_cbranch_execz .LBB303_26
; %bb.21:                               ;   in Loop: Header=BB303_16 Depth=1
	v_and_b32_e32 v31, 0x7f, v11
	v_mov_b32_e32 v30, 0x7c01
	s_mov_b32 s51, exec_lo
	v_cmpx_ne_u32_e32 0x7f, v31
	s_cbranch_execz .LBB303_25
; %bb.22:                               ;   in Loop: Header=BB303_16 Depth=1
	v_and_b32_e32 v3, 7, v11
	v_lshrrev_b32_e32 v16, 3, v31
	s_mov_b32 s52, exec_lo
	v_cmpx_gt_u32_e32 8, v31
; %bb.23:                               ;   in Loop: Header=BB303_16 Depth=1
	v_ffbh_u32_e32 v3, v3
	v_min_u32_e32 v3, 32, v3
	v_subrev_nc_u32_e32 v16, 28, v3
	v_lshlrev_b64 v[21:22], v16, v[11:12]
	v_sub_nc_u32_e32 v16, 29, v3
	v_and_b32_e32 v3, 7, v21
; %bb.24:                               ;   in Loop: Header=BB303_16 Depth=1
	s_or_b32 exec_lo, exec_lo, s52
	v_lshlrev_b32_e32 v21, 8, v11
	v_lshl_add_u32 v16, v16, 10, 0x2000
	v_lshlrev_b32_e32 v3, 7, v3
	v_and_b32_e32 v21, 0x8000, v21
	v_and_b32_e32 v16, 0xfc00, v16
	v_or3_b32 v30, v21, v16, v3
.LBB303_25:                             ;   in Loop: Header=BB303_16 Depth=1
	s_or_b32 exec_lo, exec_lo, s51
.LBB303_26:                             ;   in Loop: Header=BB303_16 Depth=1
	s_or_b32 exec_lo, exec_lo, s50
.LBB303_27:                             ;   in Loop: Header=BB303_16 Depth=1
	s_or_b32 exec_lo, exec_lo, s49
	v_lshrrev_b16 v3, 8, v11
	s_mov_b32 s49, exec_lo
	v_cmpx_ne_u16_e32 0, v3
	s_cbranch_execz .LBB303_35
; %bb.28:                               ;   in Loop: Header=BB303_16 Depth=1
	v_bfrev_b32_e32 v29, 1
	s_mov_b32 s50, exec_lo
	v_cmpx_ne_u16_e32 0x80, v3
	s_cbranch_execz .LBB303_34
; %bb.29:                               ;   in Loop: Header=BB303_16 Depth=1
	v_and_b32_sdwa v31, v3, v13 dst_sel:DWORD dst_unused:UNUSED_PAD src0_sel:WORD_0 src1_sel:DWORD
	v_mov_b32_e32 v29, 0x7c010000
	s_mov_b32 s51, exec_lo
	v_cmpx_ne_u32_e32 0x7f, v31
	s_cbranch_execz .LBB303_33
; %bb.30:                               ;   in Loop: Header=BB303_16 Depth=1
	v_and_b32_sdwa v16, v3, v14 dst_sel:DWORD dst_unused:UNUSED_PAD src0_sel:WORD_0 src1_sel:DWORD
	v_lshrrev_b32_e32 v29, 3, v31
	s_mov_b32 s52, exec_lo
	v_cmpx_gt_u32_e32 8, v31
; %bb.31:                               ;   in Loop: Header=BB303_16 Depth=1
	v_ffbh_u32_e32 v16, v16
	v_min_u32_e32 v16, 32, v16
	v_subrev_nc_u32_e32 v21, 28, v16
	v_sub_nc_u32_e32 v29, 29, v16
	v_lshlrev_b64 v[21:22], v21, v[3:4]
	v_and_b32_e32 v16, 7, v21
; %bb.32:                               ;   in Loop: Header=BB303_16 Depth=1
	s_or_b32 exec_lo, exec_lo, s52
	v_lshlrev_b32_sdwa v3, v19, v3 dst_sel:DWORD dst_unused:UNUSED_PAD src0_sel:DWORD src1_sel:WORD_0
	v_lshl_add_u32 v21, v29, 10, 0x2000
	v_lshlrev_b32_e32 v16, 23, v16
	v_and_or_b32 v3, 0x8000, v3, v21
	v_lshl_or_b32 v29, v3, 16, v16
.LBB303_33:                             ;   in Loop: Header=BB303_16 Depth=1
	s_or_b32 exec_lo, exec_lo, s51
.LBB303_34:                             ;   in Loop: Header=BB303_16 Depth=1
	s_or_b32 exec_lo, exec_lo, s50
.LBB303_35:                             ;   in Loop: Header=BB303_16 Depth=1
	s_or_b32 exec_lo, exec_lo, s49
	v_lshrrev_b32_e32 v3, 16, v11
	v_mov_b32_e32 v31, 0
	v_mov_b32_e32 v32, 0
	v_cmp_ne_u16_sdwa s1, v3, v4 src0_sel:BYTE_0 src1_sel:DWORD
	s_and_saveexec_b32 s49, s1
	s_cbranch_execz .LBB303_43
; %bb.36:                               ;   in Loop: Header=BB303_16 Depth=1
	v_cmp_ne_u16_sdwa s1, v3, v20 src0_sel:BYTE_0 src1_sel:DWORD
	v_mov_b32_e32 v32, 0x8000
	s_and_saveexec_b32 s50, s1
	s_cbranch_execz .LBB303_42
; %bb.37:                               ;   in Loop: Header=BB303_16 Depth=1
	v_bfe_u32 v33, v11, 16, 7
	v_mov_b32_e32 v32, 0x7c01
	s_mov_b32 s51, exec_lo
	v_cmpx_ne_u32_e32 0x7f, v33
	s_cbranch_execz .LBB303_41
; %bb.38:                               ;   in Loop: Header=BB303_16 Depth=1
	v_and_b32_e32 v16, 7, v3
	v_lshrrev_b32_e32 v32, 3, v33
	s_mov_b32 s52, exec_lo
	v_cmpx_gt_u32_e32 8, v33
; %bb.39:                               ;   in Loop: Header=BB303_16 Depth=1
	v_ffbh_u32_e32 v16, v16
	v_min_u32_e32 v16, 32, v16
	v_subrev_nc_u32_e32 v21, 28, v16
	v_sub_nc_u32_e32 v32, 29, v16
	v_lshlrev_b64 v[21:22], v21, v[3:4]
	v_and_b32_e32 v16, 7, v21
; %bb.40:                               ;   in Loop: Header=BB303_16 Depth=1
	s_or_b32 exec_lo, exec_lo, s52
	v_lshlrev_b32_e32 v3, 8, v3
	v_lshl_add_u32 v21, v32, 10, 0x2000
	v_lshlrev_b32_e32 v16, 7, v16
	v_and_b32_e32 v3, 0x8000, v3
	v_and_b32_e32 v21, 0xfc00, v21
	v_or3_b32 v32, v3, v21, v16
.LBB303_41:                             ;   in Loop: Header=BB303_16 Depth=1
	s_or_b32 exec_lo, exec_lo, s51
.LBB303_42:                             ;   in Loop: Header=BB303_16 Depth=1
	s_or_b32 exec_lo, exec_lo, s50
.LBB303_43:                             ;   in Loop: Header=BB303_16 Depth=1
	s_or_b32 exec_lo, exec_lo, s49
	s_mov_b32 s49, exec_lo
	v_cmpx_lt_u32_e32 0xffffff, v11
	s_cbranch_execz .LBB303_51
; %bb.44:                               ;   in Loop: Header=BB303_16 Depth=1
	v_lshrrev_b32_e32 v3, 24, v11
	v_bfrev_b32_e32 v31, 1
	s_mov_b32 s50, exec_lo
	v_cmpx_ne_u32_e32 0x80, v3
	s_cbranch_execz .LBB303_50
; %bb.45:                               ;   in Loop: Header=BB303_16 Depth=1
	v_and_b32_e32 v33, 0x7f, v3
	v_mov_b32_e32 v31, 0x7c010000
	s_mov_b32 s51, exec_lo
	v_cmpx_ne_u32_e32 0x7f, v33
	s_cbranch_execz .LBB303_49
; %bb.46:                               ;   in Loop: Header=BB303_16 Depth=1
	v_and_b32_e32 v16, 7, v3
	v_lshrrev_b32_e32 v31, 3, v33
	s_mov_b32 s52, exec_lo
	v_cmpx_gt_u32_e32 8, v33
; %bb.47:                               ;   in Loop: Header=BB303_16 Depth=1
	v_ffbh_u32_e32 v16, v16
	v_min_u32_e32 v16, 32, v16
	v_subrev_nc_u32_e32 v21, 28, v16
	v_sub_nc_u32_e32 v31, 29, v16
	v_lshlrev_b64 v[21:22], v21, v[3:4]
	v_and_b32_e32 v16, 7, v21
; %bb.48:                               ;   in Loop: Header=BB303_16 Depth=1
	s_or_b32 exec_lo, exec_lo, s52
	v_lshlrev_b32_e32 v3, 8, v3
	v_lshl_add_u32 v21, v31, 10, 0x2000
	v_lshlrev_b32_e32 v16, 23, v16
	v_and_or_b32 v3, 0x8000, v3, v21
	v_lshl_or_b32 v31, v3, 16, v16
.LBB303_49:                             ;   in Loop: Header=BB303_16 Depth=1
	s_or_b32 exec_lo, exec_lo, s51
.LBB303_50:                             ;   in Loop: Header=BB303_16 Depth=1
	s_or_b32 exec_lo, exec_lo, s50
.LBB303_51:                             ;   in Loop: Header=BB303_16 Depth=1
	s_or_b32 exec_lo, exec_lo, s49
	v_mov_b32_e32 v3, v12
	v_cmp_ne_u16_sdwa s1, v12, v4 src0_sel:BYTE_0 src1_sel:DWORD
	v_mov_b32_e32 v33, 0
	v_mov_b32_e32 v34, 0
	s_and_saveexec_b32 s49, s1
	s_cbranch_execz .LBB303_59
; %bb.52:                               ;   in Loop: Header=BB303_16 Depth=1
	v_cmp_ne_u16_sdwa s1, v12, v20 src0_sel:BYTE_0 src1_sel:DWORD
	v_mov_b32_e32 v34, 0x8000
	s_and_saveexec_b32 s50, s1
	s_cbranch_execz .LBB303_58
; %bb.53:                               ;   in Loop: Header=BB303_16 Depth=1
	v_and_b32_e32 v35, 0x7f, v12
	v_mov_b32_e32 v34, 0x7c01
	s_mov_b32 s51, exec_lo
	v_cmpx_ne_u32_e32 0x7f, v35
	s_cbranch_execz .LBB303_57
; %bb.54:                               ;   in Loop: Header=BB303_16 Depth=1
	v_and_b32_e32 v16, 7, v12
	v_lshrrev_b32_e32 v34, 3, v35
	s_mov_b32 s52, exec_lo
	v_cmpx_gt_u32_e32 8, v35
; %bb.55:                               ;   in Loop: Header=BB303_16 Depth=1
	v_ffbh_u32_e32 v16, v16
	v_min_u32_e32 v16, 32, v16
	v_subrev_nc_u32_e32 v21, 28, v16
	v_sub_nc_u32_e32 v34, 29, v16
	v_lshlrev_b64 v[21:22], v21, v[3:4]
	v_and_b32_e32 v16, 7, v21
; %bb.56:                               ;   in Loop: Header=BB303_16 Depth=1
	s_or_b32 exec_lo, exec_lo, s52
	v_lshlrev_b32_e32 v21, 8, v12
	v_lshl_add_u32 v22, v34, 10, 0x2000
	v_lshlrev_b32_e32 v16, 7, v16
	v_and_b32_e32 v21, 0x8000, v21
	v_and_b32_e32 v22, 0xfc00, v22
	v_or3_b32 v34, v21, v22, v16
.LBB303_57:                             ;   in Loop: Header=BB303_16 Depth=1
	s_or_b32 exec_lo, exec_lo, s51
.LBB303_58:                             ;   in Loop: Header=BB303_16 Depth=1
	s_or_b32 exec_lo, exec_lo, s50
.LBB303_59:                             ;   in Loop: Header=BB303_16 Depth=1
	s_or_b32 exec_lo, exec_lo, s49
	v_lshrrev_b16 v3, 8, v3
	v_mov_b32_e32 v35, 0
	s_mov_b32 s49, exec_lo
	v_cmpx_ne_u16_e32 0, v3
	s_cbranch_execz .LBB303_67
; %bb.60:                               ;   in Loop: Header=BB303_16 Depth=1
	v_bfrev_b32_e32 v35, 1
	s_mov_b32 s50, exec_lo
	v_cmpx_ne_u16_e32 0x80, v3
	s_cbranch_execz .LBB303_66
; %bb.61:                               ;   in Loop: Header=BB303_16 Depth=1
	v_and_b32_sdwa v36, v3, v13 dst_sel:DWORD dst_unused:UNUSED_PAD src0_sel:WORD_0 src1_sel:DWORD
	v_mov_b32_e32 v35, 0x7c010000
	s_mov_b32 s51, exec_lo
	v_cmpx_ne_u32_e32 0x7f, v36
	s_cbranch_execz .LBB303_65
; %bb.62:                               ;   in Loop: Header=BB303_16 Depth=1
	v_and_b32_sdwa v16, v3, v14 dst_sel:DWORD dst_unused:UNUSED_PAD src0_sel:WORD_0 src1_sel:DWORD
	v_lshrrev_b32_e32 v35, 3, v36
	s_mov_b32 s52, exec_lo
	v_cmpx_gt_u32_e32 8, v36
; %bb.63:                               ;   in Loop: Header=BB303_16 Depth=1
	v_ffbh_u32_e32 v16, v16
	v_min_u32_e32 v16, 32, v16
	v_subrev_nc_u32_e32 v21, 28, v16
	v_sub_nc_u32_e32 v35, 29, v16
	v_lshlrev_b64 v[21:22], v21, v[3:4]
	v_and_b32_e32 v16, 7, v21
; %bb.64:                               ;   in Loop: Header=BB303_16 Depth=1
	s_or_b32 exec_lo, exec_lo, s52
	v_lshlrev_b32_sdwa v3, v19, v3 dst_sel:DWORD dst_unused:UNUSED_PAD src0_sel:DWORD src1_sel:WORD_0
	v_lshl_add_u32 v21, v35, 10, 0x2000
	v_lshlrev_b32_e32 v16, 23, v16
	v_and_or_b32 v3, 0x8000, v3, v21
	v_lshl_or_b32 v35, v3, 16, v16
.LBB303_65:                             ;   in Loop: Header=BB303_16 Depth=1
	s_or_b32 exec_lo, exec_lo, s51
.LBB303_66:                             ;   in Loop: Header=BB303_16 Depth=1
	s_or_b32 exec_lo, exec_lo, s50
.LBB303_67:                             ;   in Loop: Header=BB303_16 Depth=1
	s_or_b32 exec_lo, exec_lo, s49
	v_lshrrev_b32_e32 v3, 16, v12
	v_cmp_ne_u16_sdwa s1, v3, v4 src0_sel:BYTE_0 src1_sel:DWORD
	s_and_saveexec_b32 s49, s1
	s_cbranch_execz .LBB303_75
; %bb.68:                               ;   in Loop: Header=BB303_16 Depth=1
	v_cmp_ne_u16_sdwa s1, v3, v20 src0_sel:BYTE_0 src1_sel:DWORD
	v_mov_b32_e32 v33, 0x8000
	s_and_saveexec_b32 s50, s1
	s_cbranch_execz .LBB303_74
; %bb.69:                               ;   in Loop: Header=BB303_16 Depth=1
	v_bfe_u32 v36, v12, 16, 7
	v_mov_b32_e32 v33, 0x7c01
	s_mov_b32 s51, exec_lo
	v_cmpx_ne_u32_e32 0x7f, v36
	s_cbranch_execz .LBB303_73
; %bb.70:                               ;   in Loop: Header=BB303_16 Depth=1
	v_and_b32_e32 v16, 7, v3
	v_lshrrev_b32_e32 v33, 3, v36
	s_mov_b32 s52, exec_lo
	v_cmpx_gt_u32_e32 8, v36
; %bb.71:                               ;   in Loop: Header=BB303_16 Depth=1
	v_ffbh_u32_e32 v16, v16
	v_min_u32_e32 v16, 32, v16
	v_subrev_nc_u32_e32 v21, 28, v16
	v_sub_nc_u32_e32 v33, 29, v16
	v_lshlrev_b64 v[21:22], v21, v[3:4]
	v_and_b32_e32 v16, 7, v21
; %bb.72:                               ;   in Loop: Header=BB303_16 Depth=1
	s_or_b32 exec_lo, exec_lo, s52
	v_lshlrev_b32_e32 v3, 8, v3
	v_lshl_add_u32 v21, v33, 10, 0x2000
	v_lshlrev_b32_e32 v16, 7, v16
	v_and_b32_e32 v3, 0x8000, v3
	v_and_b32_e32 v21, 0xfc00, v21
	v_or3_b32 v33, v3, v21, v16
.LBB303_73:                             ;   in Loop: Header=BB303_16 Depth=1
	s_or_b32 exec_lo, exec_lo, s51
.LBB303_74:                             ;   in Loop: Header=BB303_16 Depth=1
	s_or_b32 exec_lo, exec_lo, s50
.LBB303_75:                             ;   in Loop: Header=BB303_16 Depth=1
	s_or_b32 exec_lo, exec_lo, s49
	v_mov_b32_e32 v36, 0
	v_mov_b32_e32 v37, 0
	s_mov_b32 s49, exec_lo
	v_cmpx_lt_u64_e64 s[4:5], v[11:12]
	s_cbranch_execz .LBB303_83
; %bb.76:                               ;   in Loop: Header=BB303_16 Depth=1
	v_lshrrev_b32_e32 v3, 24, v12
	v_bfrev_b32_e32 v37, 1
	s_mov_b32 s50, exec_lo
	v_cmpx_ne_u32_e32 0x80, v3
	s_cbranch_execz .LBB303_82
; %bb.77:                               ;   in Loop: Header=BB303_16 Depth=1
	v_and_b32_e32 v16, 0x7f, v3
	v_mov_b32_e32 v37, 0x7c010000
	s_mov_b32 s51, exec_lo
	v_cmpx_ne_u32_e32 0x7f, v16
	s_cbranch_execz .LBB303_81
; %bb.78:                               ;   in Loop: Header=BB303_16 Depth=1
	v_and_b32_e32 v11, 7, v3
	v_lshrrev_b32_e32 v12, 3, v16
	s_mov_b32 s52, exec_lo
	v_cmpx_gt_u32_e32 8, v16
; %bb.79:                               ;   in Loop: Header=BB303_16 Depth=1
	v_ffbh_u32_e32 v11, v11
	v_min_u32_e32 v16, 32, v11
	v_subrev_nc_u32_e32 v11, 28, v16
	v_lshlrev_b64 v[11:12], v11, v[3:4]
	v_sub_nc_u32_e32 v12, 29, v16
	v_and_b32_e32 v11, 7, v11
; %bb.80:                               ;   in Loop: Header=BB303_16 Depth=1
	s_or_b32 exec_lo, exec_lo, s52
	v_lshlrev_b32_e32 v3, 8, v3
	v_lshl_add_u32 v12, v12, 10, 0x2000
	v_lshlrev_b32_e32 v11, 23, v11
	v_and_or_b32 v3, 0x8000, v3, v12
	v_lshl_or_b32 v37, v3, 16, v11
.LBB303_81:                             ;   in Loop: Header=BB303_16 Depth=1
	s_or_b32 exec_lo, exec_lo, s51
.LBB303_82:                             ;   in Loop: Header=BB303_16 Depth=1
	s_or_b32 exec_lo, exec_lo, s50
.LBB303_83:                             ;   in Loop: Header=BB303_16 Depth=1
	s_or_b32 exec_lo, exec_lo, s49
	global_load_dwordx2 v[11:12], v[9:10], off offset:8
	s_waitcnt vmcnt(0)
	v_cmp_ne_u16_sdwa s1, v11, v4 src0_sel:BYTE_0 src1_sel:DWORD
	s_and_saveexec_b32 s49, s1
	s_cbranch_execz .LBB303_91
; %bb.84:                               ;   in Loop: Header=BB303_16 Depth=1
	v_cmp_ne_u16_sdwa s1, v11, v20 src0_sel:BYTE_0 src1_sel:DWORD
	v_mov_b32_e32 v36, 0x8000
	s_and_saveexec_b32 s50, s1
	s_cbranch_execz .LBB303_90
; %bb.85:                               ;   in Loop: Header=BB303_16 Depth=1
	v_and_b32_e32 v38, 0x7f, v11
	v_mov_b32_e32 v36, 0x7c01
	s_mov_b32 s51, exec_lo
	v_cmpx_ne_u32_e32 0x7f, v38
	s_cbranch_execz .LBB303_89
; %bb.86:                               ;   in Loop: Header=BB303_16 Depth=1
	v_and_b32_e32 v3, 7, v11
	v_lshrrev_b32_e32 v16, 3, v38
	s_mov_b32 s52, exec_lo
	v_cmpx_gt_u32_e32 8, v38
; %bb.87:                               ;   in Loop: Header=BB303_16 Depth=1
	v_ffbh_u32_e32 v3, v3
	v_min_u32_e32 v3, 32, v3
	v_subrev_nc_u32_e32 v16, 28, v3
	v_lshlrev_b64 v[21:22], v16, v[11:12]
	v_sub_nc_u32_e32 v16, 29, v3
	v_and_b32_e32 v3, 7, v21
; %bb.88:                               ;   in Loop: Header=BB303_16 Depth=1
	s_or_b32 exec_lo, exec_lo, s52
	v_lshlrev_b32_e32 v21, 8, v11
	v_lshl_add_u32 v16, v16, 10, 0x2000
	v_lshlrev_b32_e32 v3, 7, v3
	v_and_b32_e32 v21, 0x8000, v21
	v_and_b32_e32 v16, 0xfc00, v16
	v_or3_b32 v36, v21, v16, v3
.LBB303_89:                             ;   in Loop: Header=BB303_16 Depth=1
	s_or_b32 exec_lo, exec_lo, s51
.LBB303_90:                             ;   in Loop: Header=BB303_16 Depth=1
	s_or_b32 exec_lo, exec_lo, s50
.LBB303_91:                             ;   in Loop: Header=BB303_16 Depth=1
	s_or_b32 exec_lo, exec_lo, s49
	v_lshrrev_b16 v3, 8, v11
	v_mov_b32_e32 v39, 0
	v_mov_b32_e32 v38, 0
	s_mov_b32 s49, exec_lo
	v_cmpx_ne_u16_e32 0, v3
	s_cbranch_execz .LBB303_99
; %bb.92:                               ;   in Loop: Header=BB303_16 Depth=1
	v_bfrev_b32_e32 v38, 1
	s_mov_b32 s50, exec_lo
	v_cmpx_ne_u16_e32 0x80, v3
	s_cbranch_execz .LBB303_98
; %bb.93:                               ;   in Loop: Header=BB303_16 Depth=1
	v_and_b32_sdwa v40, v3, v13 dst_sel:DWORD dst_unused:UNUSED_PAD src0_sel:WORD_0 src1_sel:DWORD
	v_mov_b32_e32 v38, 0x7c010000
	s_mov_b32 s51, exec_lo
	v_cmpx_ne_u32_e32 0x7f, v40
	s_cbranch_execz .LBB303_97
; %bb.94:                               ;   in Loop: Header=BB303_16 Depth=1
	v_and_b32_sdwa v16, v3, v14 dst_sel:DWORD dst_unused:UNUSED_PAD src0_sel:WORD_0 src1_sel:DWORD
	v_lshrrev_b32_e32 v38, 3, v40
	s_mov_b32 s52, exec_lo
	v_cmpx_gt_u32_e32 8, v40
; %bb.95:                               ;   in Loop: Header=BB303_16 Depth=1
	v_ffbh_u32_e32 v16, v16
	v_min_u32_e32 v16, 32, v16
	v_subrev_nc_u32_e32 v21, 28, v16
	v_sub_nc_u32_e32 v38, 29, v16
	v_lshlrev_b64 v[21:22], v21, v[3:4]
	v_and_b32_e32 v16, 7, v21
; %bb.96:                               ;   in Loop: Header=BB303_16 Depth=1
	s_or_b32 exec_lo, exec_lo, s52
	v_lshlrev_b32_sdwa v3, v19, v3 dst_sel:DWORD dst_unused:UNUSED_PAD src0_sel:DWORD src1_sel:WORD_0
	v_lshl_add_u32 v21, v38, 10, 0x2000
	v_lshlrev_b32_e32 v16, 23, v16
	v_and_or_b32 v3, 0x8000, v3, v21
	v_lshl_or_b32 v38, v3, 16, v16
.LBB303_97:                             ;   in Loop: Header=BB303_16 Depth=1
	s_or_b32 exec_lo, exec_lo, s51
.LBB303_98:                             ;   in Loop: Header=BB303_16 Depth=1
	s_or_b32 exec_lo, exec_lo, s50
.LBB303_99:                             ;   in Loop: Header=BB303_16 Depth=1
	s_or_b32 exec_lo, exec_lo, s49
	v_lshrrev_b32_e32 v3, 16, v11
	v_cmp_ne_u16_sdwa s1, v3, v4 src0_sel:BYTE_0 src1_sel:DWORD
	s_and_saveexec_b32 s49, s1
	s_cbranch_execz .LBB303_107
; %bb.100:                              ;   in Loop: Header=BB303_16 Depth=1
	v_cmp_ne_u16_sdwa s1, v3, v20 src0_sel:BYTE_0 src1_sel:DWORD
	v_mov_b32_e32 v39, 0x8000
	s_and_saveexec_b32 s50, s1
	s_cbranch_execz .LBB303_106
; %bb.101:                              ;   in Loop: Header=BB303_16 Depth=1
	v_bfe_u32 v40, v11, 16, 7
	v_mov_b32_e32 v39, 0x7c01
	s_mov_b32 s51, exec_lo
	v_cmpx_ne_u32_e32 0x7f, v40
	s_cbranch_execz .LBB303_105
; %bb.102:                              ;   in Loop: Header=BB303_16 Depth=1
	v_and_b32_e32 v16, 7, v3
	v_lshrrev_b32_e32 v39, 3, v40
	s_mov_b32 s52, exec_lo
	v_cmpx_gt_u32_e32 8, v40
; %bb.103:                              ;   in Loop: Header=BB303_16 Depth=1
	v_ffbh_u32_e32 v16, v16
	v_min_u32_e32 v16, 32, v16
	v_subrev_nc_u32_e32 v21, 28, v16
	v_sub_nc_u32_e32 v39, 29, v16
	v_lshlrev_b64 v[21:22], v21, v[3:4]
	v_and_b32_e32 v16, 7, v21
; %bb.104:                              ;   in Loop: Header=BB303_16 Depth=1
	s_or_b32 exec_lo, exec_lo, s52
	v_lshlrev_b32_e32 v3, 8, v3
	v_lshl_add_u32 v21, v39, 10, 0x2000
	v_lshlrev_b32_e32 v16, 7, v16
	v_and_b32_e32 v3, 0x8000, v3
	v_and_b32_e32 v21, 0xfc00, v21
	v_or3_b32 v39, v3, v21, v16
.LBB303_105:                            ;   in Loop: Header=BB303_16 Depth=1
	s_or_b32 exec_lo, exec_lo, s51
.LBB303_106:                            ;   in Loop: Header=BB303_16 Depth=1
	s_or_b32 exec_lo, exec_lo, s50
.LBB303_107:                            ;   in Loop: Header=BB303_16 Depth=1
	s_or_b32 exec_lo, exec_lo, s49
	v_mov_b32_e32 v40, 0
	v_mov_b32_e32 v41, 0
	s_mov_b32 s49, exec_lo
	v_cmpx_lt_u32_e32 0xffffff, v11
	s_cbranch_execz .LBB303_115
; %bb.108:                              ;   in Loop: Header=BB303_16 Depth=1
	v_lshrrev_b32_e32 v3, 24, v11
	v_bfrev_b32_e32 v41, 1
	s_mov_b32 s50, exec_lo
	v_cmpx_ne_u32_e32 0x80, v3
	s_cbranch_execz .LBB303_114
; %bb.109:                              ;   in Loop: Header=BB303_16 Depth=1
	v_and_b32_e32 v42, 0x7f, v3
	v_mov_b32_e32 v41, 0x7c010000
	s_mov_b32 s51, exec_lo
	v_cmpx_ne_u32_e32 0x7f, v42
	s_cbranch_execz .LBB303_113
; %bb.110:                              ;   in Loop: Header=BB303_16 Depth=1
	v_and_b32_e32 v16, 7, v3
	v_lshrrev_b32_e32 v41, 3, v42
	s_mov_b32 s52, exec_lo
	v_cmpx_gt_u32_e32 8, v42
; %bb.111:                              ;   in Loop: Header=BB303_16 Depth=1
	v_ffbh_u32_e32 v16, v16
	v_min_u32_e32 v16, 32, v16
	v_subrev_nc_u32_e32 v21, 28, v16
	v_sub_nc_u32_e32 v41, 29, v16
	v_lshlrev_b64 v[21:22], v21, v[3:4]
	v_and_b32_e32 v16, 7, v21
; %bb.112:                              ;   in Loop: Header=BB303_16 Depth=1
	s_or_b32 exec_lo, exec_lo, s52
	v_lshlrev_b32_e32 v3, 8, v3
	v_lshl_add_u32 v21, v41, 10, 0x2000
	v_lshlrev_b32_e32 v16, 23, v16
	v_and_or_b32 v3, 0x8000, v3, v21
	v_lshl_or_b32 v41, v3, 16, v16
.LBB303_113:                            ;   in Loop: Header=BB303_16 Depth=1
	s_or_b32 exec_lo, exec_lo, s51
.LBB303_114:                            ;   in Loop: Header=BB303_16 Depth=1
	s_or_b32 exec_lo, exec_lo, s50
.LBB303_115:                            ;   in Loop: Header=BB303_16 Depth=1
	s_or_b32 exec_lo, exec_lo, s49
	v_mov_b32_e32 v3, v12
	v_cmp_ne_u16_sdwa s1, v12, v4 src0_sel:BYTE_0 src1_sel:DWORD
	s_and_saveexec_b32 s49, s1
	s_cbranch_execz .LBB303_123
; %bb.116:                              ;   in Loop: Header=BB303_16 Depth=1
	v_cmp_ne_u16_sdwa s1, v12, v20 src0_sel:BYTE_0 src1_sel:DWORD
	v_mov_b32_e32 v40, 0x8000
	s_and_saveexec_b32 s50, s1
	s_cbranch_execz .LBB303_122
; %bb.117:                              ;   in Loop: Header=BB303_16 Depth=1
	v_and_b32_e32 v42, 0x7f, v12
	v_mov_b32_e32 v40, 0x7c01
	s_mov_b32 s51, exec_lo
	v_cmpx_ne_u32_e32 0x7f, v42
	s_cbranch_execz .LBB303_121
; %bb.118:                              ;   in Loop: Header=BB303_16 Depth=1
	v_and_b32_e32 v16, 7, v12
	v_lshrrev_b32_e32 v40, 3, v42
	s_mov_b32 s52, exec_lo
	v_cmpx_gt_u32_e32 8, v42
; %bb.119:                              ;   in Loop: Header=BB303_16 Depth=1
	v_ffbh_u32_e32 v16, v16
	v_min_u32_e32 v16, 32, v16
	v_subrev_nc_u32_e32 v21, 28, v16
	v_sub_nc_u32_e32 v40, 29, v16
	v_lshlrev_b64 v[21:22], v21, v[3:4]
	v_and_b32_e32 v16, 7, v21
; %bb.120:                              ;   in Loop: Header=BB303_16 Depth=1
	s_or_b32 exec_lo, exec_lo, s52
	v_lshlrev_b32_e32 v21, 8, v12
	v_lshl_add_u32 v22, v40, 10, 0x2000
	v_lshlrev_b32_e32 v16, 7, v16
	v_and_b32_e32 v21, 0x8000, v21
	v_and_b32_e32 v22, 0xfc00, v22
	v_or3_b32 v40, v21, v22, v16
.LBB303_121:                            ;   in Loop: Header=BB303_16 Depth=1
	s_or_b32 exec_lo, exec_lo, s51
.LBB303_122:                            ;   in Loop: Header=BB303_16 Depth=1
	s_or_b32 exec_lo, exec_lo, s50
.LBB303_123:                            ;   in Loop: Header=BB303_16 Depth=1
	s_or_b32 exec_lo, exec_lo, s49
	v_lshrrev_b16 v3, 8, v3
	v_mov_b32_e32 v44, 0
	v_mov_b32_e32 v43, 0
	s_mov_b32 s49, exec_lo
	v_cmpx_ne_u16_e32 0, v3
	s_cbranch_execz .LBB303_131
; %bb.124:                              ;   in Loop: Header=BB303_16 Depth=1
	v_bfrev_b32_e32 v43, 1
	s_mov_b32 s50, exec_lo
	v_cmpx_ne_u16_e32 0x80, v3
	s_cbranch_execz .LBB303_130
; %bb.125:                              ;   in Loop: Header=BB303_16 Depth=1
	v_and_b32_sdwa v45, v3, v13 dst_sel:DWORD dst_unused:UNUSED_PAD src0_sel:WORD_0 src1_sel:DWORD
	v_mov_b32_e32 v43, 0x7c010000
	s_mov_b32 s51, exec_lo
	v_cmpx_ne_u32_e32 0x7f, v45
	s_cbranch_execz .LBB303_129
; %bb.126:                              ;   in Loop: Header=BB303_16 Depth=1
	v_and_b32_sdwa v16, v3, v14 dst_sel:DWORD dst_unused:UNUSED_PAD src0_sel:WORD_0 src1_sel:DWORD
	v_lshrrev_b32_e32 v42, 3, v45
	s_mov_b32 s52, exec_lo
	v_cmpx_gt_u32_e32 8, v45
; %bb.127:                              ;   in Loop: Header=BB303_16 Depth=1
	v_ffbh_u32_e32 v16, v16
	v_min_u32_e32 v16, 32, v16
	v_subrev_nc_u32_e32 v21, 28, v16
	v_sub_nc_u32_e32 v42, 29, v16
	v_lshlrev_b64 v[21:22], v21, v[3:4]
	v_and_b32_e32 v16, 7, v21
; %bb.128:                              ;   in Loop: Header=BB303_16 Depth=1
	s_or_b32 exec_lo, exec_lo, s52
	v_lshlrev_b32_sdwa v3, v19, v3 dst_sel:DWORD dst_unused:UNUSED_PAD src0_sel:DWORD src1_sel:WORD_0
	v_lshl_add_u32 v21, v42, 10, 0x2000
	v_lshlrev_b32_e32 v16, 23, v16
	v_and_or_b32 v3, 0x8000, v3, v21
	v_lshl_or_b32 v43, v3, 16, v16
.LBB303_129:                            ;   in Loop: Header=BB303_16 Depth=1
	s_or_b32 exec_lo, exec_lo, s51
.LBB303_130:                            ;   in Loop: Header=BB303_16 Depth=1
	s_or_b32 exec_lo, exec_lo, s50
.LBB303_131:                            ;   in Loop: Header=BB303_16 Depth=1
	s_or_b32 exec_lo, exec_lo, s49
	v_lshrrev_b32_e32 v3, 16, v12
	v_cmp_ne_u16_sdwa s1, v3, v4 src0_sel:BYTE_0 src1_sel:DWORD
	s_and_saveexec_b32 s49, s1
	s_cbranch_execz .LBB303_139
; %bb.132:                              ;   in Loop: Header=BB303_16 Depth=1
	v_cmp_ne_u16_sdwa s1, v3, v20 src0_sel:BYTE_0 src1_sel:DWORD
	v_mov_b32_e32 v44, 0x8000
	s_and_saveexec_b32 s50, s1
	s_cbranch_execz .LBB303_138
; %bb.133:                              ;   in Loop: Header=BB303_16 Depth=1
	v_bfe_u32 v45, v12, 16, 7
	v_mov_b32_e32 v44, 0x7c01
	s_mov_b32 s51, exec_lo
	v_cmpx_ne_u32_e32 0x7f, v45
	s_cbranch_execz .LBB303_137
; %bb.134:                              ;   in Loop: Header=BB303_16 Depth=1
	v_and_b32_e32 v16, 7, v3
	v_lshrrev_b32_e32 v42, 3, v45
	s_mov_b32 s52, exec_lo
	v_cmpx_gt_u32_e32 8, v45
; %bb.135:                              ;   in Loop: Header=BB303_16 Depth=1
	v_ffbh_u32_e32 v16, v16
	v_min_u32_e32 v16, 32, v16
	v_subrev_nc_u32_e32 v21, 28, v16
	v_sub_nc_u32_e32 v42, 29, v16
	v_lshlrev_b64 v[21:22], v21, v[3:4]
	v_and_b32_e32 v16, 7, v21
; %bb.136:                              ;   in Loop: Header=BB303_16 Depth=1
	s_or_b32 exec_lo, exec_lo, s52
	v_lshlrev_b32_e32 v3, 8, v3
	v_lshl_add_u32 v21, v42, 10, 0x2000
	v_lshlrev_b32_e32 v16, 7, v16
	v_and_b32_e32 v3, 0x8000, v3
	v_and_b32_e32 v21, 0xfc00, v21
	v_or3_b32 v44, v3, v21, v16
.LBB303_137:                            ;   in Loop: Header=BB303_16 Depth=1
	s_or_b32 exec_lo, exec_lo, s51
.LBB303_138:                            ;   in Loop: Header=BB303_16 Depth=1
	s_or_b32 exec_lo, exec_lo, s50
.LBB303_139:                            ;   in Loop: Header=BB303_16 Depth=1
	s_or_b32 exec_lo, exec_lo, s49
	v_mov_b32_e32 v42, 0
	v_mov_b32_e32 v47, 0
	s_mov_b32 s49, exec_lo
	v_cmpx_lt_u64_e64 s[4:5], v[11:12]
	s_cbranch_execz .LBB303_147
; %bb.140:                              ;   in Loop: Header=BB303_16 Depth=1
	v_lshrrev_b32_e32 v3, 24, v12
	v_bfrev_b32_e32 v47, 1
	s_mov_b32 s50, exec_lo
	v_cmpx_ne_u32_e32 0x80, v3
	s_cbranch_execz .LBB303_146
; %bb.141:                              ;   in Loop: Header=BB303_16 Depth=1
	v_and_b32_e32 v16, 0x7f, v3
	v_mov_b32_e32 v47, 0x7c010000
	s_mov_b32 s51, exec_lo
	v_cmpx_ne_u32_e32 0x7f, v16
	s_cbranch_execz .LBB303_145
; %bb.142:                              ;   in Loop: Header=BB303_16 Depth=1
	v_and_b32_e32 v11, 7, v3
	v_lshrrev_b32_e32 v12, 3, v16
	s_mov_b32 s52, exec_lo
	v_cmpx_gt_u32_e32 8, v16
; %bb.143:                              ;   in Loop: Header=BB303_16 Depth=1
	v_ffbh_u32_e32 v11, v11
	v_min_u32_e32 v16, 32, v11
	v_subrev_nc_u32_e32 v11, 28, v16
	v_lshlrev_b64 v[11:12], v11, v[3:4]
	v_sub_nc_u32_e32 v12, 29, v16
	v_and_b32_e32 v11, 7, v11
; %bb.144:                              ;   in Loop: Header=BB303_16 Depth=1
	s_or_b32 exec_lo, exec_lo, s52
	v_lshlrev_b32_e32 v3, 8, v3
	v_lshl_add_u32 v12, v12, 10, 0x2000
	v_lshlrev_b32_e32 v11, 23, v11
	v_and_or_b32 v3, 0x8000, v3, v12
	v_lshl_or_b32 v47, v3, 16, v11
.LBB303_145:                            ;   in Loop: Header=BB303_16 Depth=1
	s_or_b32 exec_lo, exec_lo, s51
.LBB303_146:                            ;   in Loop: Header=BB303_16 Depth=1
	s_or_b32 exec_lo, exec_lo, s50
.LBB303_147:                            ;   in Loop: Header=BB303_16 Depth=1
	s_or_b32 exec_lo, exec_lo, s49
	global_load_dwordx2 v[11:12], v[9:10], off offset:512
	s_waitcnt vmcnt(0)
	v_cmp_ne_u16_sdwa s1, v11, v4 src0_sel:BYTE_0 src1_sel:DWORD
	s_and_saveexec_b32 s49, s1
	s_cbranch_execz .LBB303_155
; %bb.148:                              ;   in Loop: Header=BB303_16 Depth=1
	v_cmp_ne_u16_sdwa s1, v11, v20 src0_sel:BYTE_0 src1_sel:DWORD
	v_mov_b32_e32 v42, 0x8000
	s_and_saveexec_b32 s50, s1
	s_cbranch_execz .LBB303_154
; %bb.149:                              ;   in Loop: Header=BB303_16 Depth=1
	v_and_b32_e32 v45, 0x7f, v11
	v_mov_b32_e32 v42, 0x7c01
	s_mov_b32 s51, exec_lo
	v_cmpx_ne_u32_e32 0x7f, v45
	s_cbranch_execz .LBB303_153
; %bb.150:                              ;   in Loop: Header=BB303_16 Depth=1
	v_and_b32_e32 v3, 7, v11
	v_lshrrev_b32_e32 v16, 3, v45
	s_mov_b32 s52, exec_lo
	v_cmpx_gt_u32_e32 8, v45
; %bb.151:                              ;   in Loop: Header=BB303_16 Depth=1
	v_ffbh_u32_e32 v3, v3
	v_min_u32_e32 v3, 32, v3
	v_subrev_nc_u32_e32 v16, 28, v3
	v_lshlrev_b64 v[21:22], v16, v[11:12]
	v_sub_nc_u32_e32 v16, 29, v3
	v_and_b32_e32 v3, 7, v21
; %bb.152:                              ;   in Loop: Header=BB303_16 Depth=1
	s_or_b32 exec_lo, exec_lo, s52
	v_lshlrev_b32_e32 v21, 8, v11
	v_lshl_add_u32 v16, v16, 10, 0x2000
	v_lshlrev_b32_e32 v3, 7, v3
	v_and_b32_e32 v21, 0x8000, v21
	v_and_b32_e32 v16, 0xfc00, v16
	v_or3_b32 v42, v21, v16, v3
.LBB303_153:                            ;   in Loop: Header=BB303_16 Depth=1
	s_or_b32 exec_lo, exec_lo, s51
.LBB303_154:                            ;   in Loop: Header=BB303_16 Depth=1
	s_or_b32 exec_lo, exec_lo, s50
.LBB303_155:                            ;   in Loop: Header=BB303_16 Depth=1
	s_or_b32 exec_lo, exec_lo, s49
	v_lshrrev_b16 v3, 8, v11
	v_mov_b32_e32 v46, 0
	v_mov_b32_e32 v45, 0
	s_mov_b32 s49, exec_lo
	v_cmpx_ne_u16_e32 0, v3
	s_cbranch_execz .LBB303_163
; %bb.156:                              ;   in Loop: Header=BB303_16 Depth=1
	v_bfrev_b32_e32 v45, 1
	s_mov_b32 s50, exec_lo
	v_cmpx_ne_u16_e32 0x80, v3
	s_cbranch_execz .LBB303_162
; %bb.157:                              ;   in Loop: Header=BB303_16 Depth=1
	v_and_b32_sdwa v48, v3, v13 dst_sel:DWORD dst_unused:UNUSED_PAD src0_sel:WORD_0 src1_sel:DWORD
	v_mov_b32_e32 v45, 0x7c010000
	s_mov_b32 s51, exec_lo
	v_cmpx_ne_u32_e32 0x7f, v48
	s_cbranch_execz .LBB303_161
; %bb.158:                              ;   in Loop: Header=BB303_16 Depth=1
	v_and_b32_sdwa v16, v3, v14 dst_sel:DWORD dst_unused:UNUSED_PAD src0_sel:WORD_0 src1_sel:DWORD
	v_lshrrev_b32_e32 v45, 3, v48
	s_mov_b32 s52, exec_lo
	v_cmpx_gt_u32_e32 8, v48
; %bb.159:                              ;   in Loop: Header=BB303_16 Depth=1
	v_ffbh_u32_e32 v16, v16
	v_min_u32_e32 v16, 32, v16
	v_subrev_nc_u32_e32 v21, 28, v16
	v_sub_nc_u32_e32 v45, 29, v16
	v_lshlrev_b64 v[21:22], v21, v[3:4]
	v_and_b32_e32 v16, 7, v21
; %bb.160:                              ;   in Loop: Header=BB303_16 Depth=1
	s_or_b32 exec_lo, exec_lo, s52
	v_lshlrev_b32_sdwa v3, v19, v3 dst_sel:DWORD dst_unused:UNUSED_PAD src0_sel:DWORD src1_sel:WORD_0
	v_lshl_add_u32 v21, v45, 10, 0x2000
	v_lshlrev_b32_e32 v16, 23, v16
	v_and_or_b32 v3, 0x8000, v3, v21
	v_lshl_or_b32 v45, v3, 16, v16
.LBB303_161:                            ;   in Loop: Header=BB303_16 Depth=1
	s_or_b32 exec_lo, exec_lo, s51
.LBB303_162:                            ;   in Loop: Header=BB303_16 Depth=1
	s_or_b32 exec_lo, exec_lo, s50
.LBB303_163:                            ;   in Loop: Header=BB303_16 Depth=1
	s_or_b32 exec_lo, exec_lo, s49
	v_lshrrev_b32_e32 v3, 16, v11
	v_cmp_ne_u16_sdwa s1, v3, v4 src0_sel:BYTE_0 src1_sel:DWORD
	s_and_saveexec_b32 s49, s1
	s_cbranch_execz .LBB303_171
; %bb.164:                              ;   in Loop: Header=BB303_16 Depth=1
	v_cmp_ne_u16_sdwa s1, v3, v20 src0_sel:BYTE_0 src1_sel:DWORD
	v_mov_b32_e32 v46, 0x8000
	s_and_saveexec_b32 s50, s1
	s_cbranch_execz .LBB303_170
; %bb.165:                              ;   in Loop: Header=BB303_16 Depth=1
	v_bfe_u32 v48, v11, 16, 7
	v_mov_b32_e32 v46, 0x7c01
	s_mov_b32 s51, exec_lo
	v_cmpx_ne_u32_e32 0x7f, v48
	s_cbranch_execz .LBB303_169
; %bb.166:                              ;   in Loop: Header=BB303_16 Depth=1
	v_and_b32_e32 v16, 7, v3
	v_lshrrev_b32_e32 v46, 3, v48
	s_mov_b32 s52, exec_lo
	v_cmpx_gt_u32_e32 8, v48
; %bb.167:                              ;   in Loop: Header=BB303_16 Depth=1
	v_ffbh_u32_e32 v16, v16
	v_min_u32_e32 v16, 32, v16
	v_subrev_nc_u32_e32 v21, 28, v16
	v_sub_nc_u32_e32 v46, 29, v16
	v_lshlrev_b64 v[21:22], v21, v[3:4]
	v_and_b32_e32 v16, 7, v21
; %bb.168:                              ;   in Loop: Header=BB303_16 Depth=1
	s_or_b32 exec_lo, exec_lo, s52
	v_lshlrev_b32_e32 v3, 8, v3
	v_lshl_add_u32 v21, v46, 10, 0x2000
	v_lshlrev_b32_e32 v16, 7, v16
	v_and_b32_e32 v3, 0x8000, v3
	v_and_b32_e32 v21, 0xfc00, v21
	v_or3_b32 v46, v3, v21, v16
.LBB303_169:                            ;   in Loop: Header=BB303_16 Depth=1
	s_or_b32 exec_lo, exec_lo, s51
.LBB303_170:                            ;   in Loop: Header=BB303_16 Depth=1
	s_or_b32 exec_lo, exec_lo, s50
.LBB303_171:                            ;   in Loop: Header=BB303_16 Depth=1
	s_or_b32 exec_lo, exec_lo, s49
	v_mov_b32_e32 v48, 0
	v_mov_b32_e32 v49, 0
	s_mov_b32 s49, exec_lo
	v_cmpx_lt_u32_e32 0xffffff, v11
	s_cbranch_execz .LBB303_179
; %bb.172:                              ;   in Loop: Header=BB303_16 Depth=1
	v_lshrrev_b32_e32 v3, 24, v11
	v_bfrev_b32_e32 v49, 1
	s_mov_b32 s50, exec_lo
	v_cmpx_ne_u32_e32 0x80, v3
	s_cbranch_execz .LBB303_178
; %bb.173:                              ;   in Loop: Header=BB303_16 Depth=1
	v_and_b32_e32 v50, 0x7f, v3
	v_mov_b32_e32 v49, 0x7c010000
	s_mov_b32 s51, exec_lo
	v_cmpx_ne_u32_e32 0x7f, v50
	s_cbranch_execz .LBB303_177
; %bb.174:                              ;   in Loop: Header=BB303_16 Depth=1
	v_and_b32_e32 v16, 7, v3
	v_lshrrev_b32_e32 v49, 3, v50
	s_mov_b32 s52, exec_lo
	v_cmpx_gt_u32_e32 8, v50
; %bb.175:                              ;   in Loop: Header=BB303_16 Depth=1
	v_ffbh_u32_e32 v16, v16
	v_min_u32_e32 v16, 32, v16
	v_subrev_nc_u32_e32 v21, 28, v16
	v_sub_nc_u32_e32 v49, 29, v16
	v_lshlrev_b64 v[21:22], v21, v[3:4]
	v_and_b32_e32 v16, 7, v21
; %bb.176:                              ;   in Loop: Header=BB303_16 Depth=1
	s_or_b32 exec_lo, exec_lo, s52
	v_lshlrev_b32_e32 v3, 8, v3
	v_lshl_add_u32 v21, v49, 10, 0x2000
	v_lshlrev_b32_e32 v16, 23, v16
	v_and_or_b32 v3, 0x8000, v3, v21
	v_lshl_or_b32 v49, v3, 16, v16
.LBB303_177:                            ;   in Loop: Header=BB303_16 Depth=1
	s_or_b32 exec_lo, exec_lo, s51
.LBB303_178:                            ;   in Loop: Header=BB303_16 Depth=1
	s_or_b32 exec_lo, exec_lo, s50
.LBB303_179:                            ;   in Loop: Header=BB303_16 Depth=1
	s_or_b32 exec_lo, exec_lo, s49
	v_mov_b32_e32 v3, v12
	v_cmp_ne_u16_sdwa s1, v12, v4 src0_sel:BYTE_0 src1_sel:DWORD
	s_and_saveexec_b32 s49, s1
	s_cbranch_execz .LBB303_187
; %bb.180:                              ;   in Loop: Header=BB303_16 Depth=1
	v_cmp_ne_u16_sdwa s1, v12, v20 src0_sel:BYTE_0 src1_sel:DWORD
	v_mov_b32_e32 v48, 0x8000
	s_and_saveexec_b32 s50, s1
	s_cbranch_execz .LBB303_186
; %bb.181:                              ;   in Loop: Header=BB303_16 Depth=1
	v_and_b32_e32 v50, 0x7f, v12
	v_mov_b32_e32 v48, 0x7c01
	s_mov_b32 s51, exec_lo
	v_cmpx_ne_u32_e32 0x7f, v50
	s_cbranch_execz .LBB303_185
; %bb.182:                              ;   in Loop: Header=BB303_16 Depth=1
	v_and_b32_e32 v16, 7, v12
	v_lshrrev_b32_e32 v48, 3, v50
	s_mov_b32 s52, exec_lo
	v_cmpx_gt_u32_e32 8, v50
; %bb.183:                              ;   in Loop: Header=BB303_16 Depth=1
	v_ffbh_u32_e32 v16, v16
	v_min_u32_e32 v16, 32, v16
	v_subrev_nc_u32_e32 v21, 28, v16
	v_sub_nc_u32_e32 v48, 29, v16
	v_lshlrev_b64 v[21:22], v21, v[3:4]
	v_and_b32_e32 v16, 7, v21
; %bb.184:                              ;   in Loop: Header=BB303_16 Depth=1
	s_or_b32 exec_lo, exec_lo, s52
	v_lshlrev_b32_e32 v21, 8, v12
	v_lshl_add_u32 v22, v48, 10, 0x2000
	v_lshlrev_b32_e32 v16, 7, v16
	v_and_b32_e32 v21, 0x8000, v21
	v_and_b32_e32 v22, 0xfc00, v22
	v_or3_b32 v48, v21, v22, v16
.LBB303_185:                            ;   in Loop: Header=BB303_16 Depth=1
	s_or_b32 exec_lo, exec_lo, s51
.LBB303_186:                            ;   in Loop: Header=BB303_16 Depth=1
	s_or_b32 exec_lo, exec_lo, s50
.LBB303_187:                            ;   in Loop: Header=BB303_16 Depth=1
	s_or_b32 exec_lo, exec_lo, s49
	v_lshrrev_b16 v3, 8, v3
	v_mov_b32_e32 v52, 0
	v_mov_b32_e32 v51, 0
	s_mov_b32 s49, exec_lo
	v_cmpx_ne_u16_e32 0, v3
	s_cbranch_execz .LBB303_195
; %bb.188:                              ;   in Loop: Header=BB303_16 Depth=1
	v_bfrev_b32_e32 v51, 1
	s_mov_b32 s50, exec_lo
	v_cmpx_ne_u16_e32 0x80, v3
	s_cbranch_execz .LBB303_194
; %bb.189:                              ;   in Loop: Header=BB303_16 Depth=1
	v_and_b32_sdwa v53, v3, v13 dst_sel:DWORD dst_unused:UNUSED_PAD src0_sel:WORD_0 src1_sel:DWORD
	v_mov_b32_e32 v51, 0x7c010000
	s_mov_b32 s51, exec_lo
	v_cmpx_ne_u32_e32 0x7f, v53
	s_cbranch_execz .LBB303_193
; %bb.190:                              ;   in Loop: Header=BB303_16 Depth=1
	v_and_b32_sdwa v16, v3, v14 dst_sel:DWORD dst_unused:UNUSED_PAD src0_sel:WORD_0 src1_sel:DWORD
	v_lshrrev_b32_e32 v50, 3, v53
	s_mov_b32 s52, exec_lo
	v_cmpx_gt_u32_e32 8, v53
; %bb.191:                              ;   in Loop: Header=BB303_16 Depth=1
	v_ffbh_u32_e32 v16, v16
	v_min_u32_e32 v16, 32, v16
	v_subrev_nc_u32_e32 v21, 28, v16
	v_sub_nc_u32_e32 v50, 29, v16
	v_lshlrev_b64 v[21:22], v21, v[3:4]
	v_and_b32_e32 v16, 7, v21
; %bb.192:                              ;   in Loop: Header=BB303_16 Depth=1
	s_or_b32 exec_lo, exec_lo, s52
	v_lshlrev_b32_sdwa v3, v19, v3 dst_sel:DWORD dst_unused:UNUSED_PAD src0_sel:DWORD src1_sel:WORD_0
	v_lshl_add_u32 v21, v50, 10, 0x2000
	v_lshlrev_b32_e32 v16, 23, v16
	v_and_or_b32 v3, 0x8000, v3, v21
	v_lshl_or_b32 v51, v3, 16, v16
.LBB303_193:                            ;   in Loop: Header=BB303_16 Depth=1
	s_or_b32 exec_lo, exec_lo, s51
.LBB303_194:                            ;   in Loop: Header=BB303_16 Depth=1
	s_or_b32 exec_lo, exec_lo, s50
.LBB303_195:                            ;   in Loop: Header=BB303_16 Depth=1
	s_or_b32 exec_lo, exec_lo, s49
	v_lshrrev_b32_e32 v3, 16, v12
	v_cmp_ne_u16_sdwa s1, v3, v4 src0_sel:BYTE_0 src1_sel:DWORD
	s_and_saveexec_b32 s49, s1
	s_cbranch_execz .LBB303_203
; %bb.196:                              ;   in Loop: Header=BB303_16 Depth=1
	v_cmp_ne_u16_sdwa s1, v3, v20 src0_sel:BYTE_0 src1_sel:DWORD
	v_mov_b32_e32 v52, 0x8000
	s_and_saveexec_b32 s50, s1
	s_cbranch_execz .LBB303_202
; %bb.197:                              ;   in Loop: Header=BB303_16 Depth=1
	v_bfe_u32 v53, v12, 16, 7
	v_mov_b32_e32 v52, 0x7c01
	s_mov_b32 s51, exec_lo
	v_cmpx_ne_u32_e32 0x7f, v53
	s_cbranch_execz .LBB303_201
; %bb.198:                              ;   in Loop: Header=BB303_16 Depth=1
	v_and_b32_e32 v16, 7, v3
	v_lshrrev_b32_e32 v50, 3, v53
	s_mov_b32 s52, exec_lo
	v_cmpx_gt_u32_e32 8, v53
; %bb.199:                              ;   in Loop: Header=BB303_16 Depth=1
	v_ffbh_u32_e32 v16, v16
	v_min_u32_e32 v16, 32, v16
	v_subrev_nc_u32_e32 v21, 28, v16
	v_sub_nc_u32_e32 v50, 29, v16
	v_lshlrev_b64 v[21:22], v21, v[3:4]
	v_and_b32_e32 v16, 7, v21
; %bb.200:                              ;   in Loop: Header=BB303_16 Depth=1
	s_or_b32 exec_lo, exec_lo, s52
	v_lshlrev_b32_e32 v3, 8, v3
	v_lshl_add_u32 v21, v50, 10, 0x2000
	v_lshlrev_b32_e32 v16, 7, v16
	v_and_b32_e32 v3, 0x8000, v3
	v_and_b32_e32 v21, 0xfc00, v21
	v_or3_b32 v52, v3, v21, v16
.LBB303_201:                            ;   in Loop: Header=BB303_16 Depth=1
	s_or_b32 exec_lo, exec_lo, s51
.LBB303_202:                            ;   in Loop: Header=BB303_16 Depth=1
	s_or_b32 exec_lo, exec_lo, s50
.LBB303_203:                            ;   in Loop: Header=BB303_16 Depth=1
	s_or_b32 exec_lo, exec_lo, s49
	v_mov_b32_e32 v50, 0
	v_mov_b32_e32 v55, 0
	s_mov_b32 s49, exec_lo
	v_cmpx_lt_u64_e64 s[4:5], v[11:12]
	s_cbranch_execz .LBB303_211
; %bb.204:                              ;   in Loop: Header=BB303_16 Depth=1
	v_lshrrev_b32_e32 v3, 24, v12
	v_bfrev_b32_e32 v55, 1
	s_mov_b32 s50, exec_lo
	v_cmpx_ne_u32_e32 0x80, v3
	s_cbranch_execz .LBB303_210
; %bb.205:                              ;   in Loop: Header=BB303_16 Depth=1
	v_and_b32_e32 v16, 0x7f, v3
	v_mov_b32_e32 v55, 0x7c010000
	s_mov_b32 s51, exec_lo
	v_cmpx_ne_u32_e32 0x7f, v16
	s_cbranch_execz .LBB303_209
; %bb.206:                              ;   in Loop: Header=BB303_16 Depth=1
	v_and_b32_e32 v11, 7, v3
	v_lshrrev_b32_e32 v12, 3, v16
	s_mov_b32 s52, exec_lo
	v_cmpx_gt_u32_e32 8, v16
; %bb.207:                              ;   in Loop: Header=BB303_16 Depth=1
	v_ffbh_u32_e32 v11, v11
	v_min_u32_e32 v16, 32, v11
	v_subrev_nc_u32_e32 v11, 28, v16
	v_lshlrev_b64 v[11:12], v11, v[3:4]
	v_sub_nc_u32_e32 v12, 29, v16
	v_and_b32_e32 v11, 7, v11
; %bb.208:                              ;   in Loop: Header=BB303_16 Depth=1
	s_or_b32 exec_lo, exec_lo, s52
	v_lshlrev_b32_e32 v3, 8, v3
	v_lshl_add_u32 v12, v12, 10, 0x2000
	v_lshlrev_b32_e32 v11, 23, v11
	v_and_or_b32 v3, 0x8000, v3, v12
	v_lshl_or_b32 v55, v3, 16, v11
.LBB303_209:                            ;   in Loop: Header=BB303_16 Depth=1
	s_or_b32 exec_lo, exec_lo, s51
.LBB303_210:                            ;   in Loop: Header=BB303_16 Depth=1
	s_or_b32 exec_lo, exec_lo, s50
.LBB303_211:                            ;   in Loop: Header=BB303_16 Depth=1
	s_or_b32 exec_lo, exec_lo, s49
	global_load_dwordx2 v[11:12], v[9:10], off offset:520
	s_waitcnt vmcnt(0)
	v_cmp_ne_u16_sdwa s1, v11, v4 src0_sel:BYTE_0 src1_sel:DWORD
	s_and_saveexec_b32 s49, s1
	s_cbranch_execz .LBB303_219
; %bb.212:                              ;   in Loop: Header=BB303_16 Depth=1
	v_cmp_ne_u16_sdwa s1, v11, v20 src0_sel:BYTE_0 src1_sel:DWORD
	v_mov_b32_e32 v50, 0x8000
	s_and_saveexec_b32 s50, s1
	s_cbranch_execz .LBB303_218
; %bb.213:                              ;   in Loop: Header=BB303_16 Depth=1
	v_and_b32_e32 v53, 0x7f, v11
	v_mov_b32_e32 v50, 0x7c01
	s_mov_b32 s51, exec_lo
	v_cmpx_ne_u32_e32 0x7f, v53
	s_cbranch_execz .LBB303_217
; %bb.214:                              ;   in Loop: Header=BB303_16 Depth=1
	v_and_b32_e32 v3, 7, v11
	v_lshrrev_b32_e32 v16, 3, v53
	s_mov_b32 s52, exec_lo
	v_cmpx_gt_u32_e32 8, v53
; %bb.215:                              ;   in Loop: Header=BB303_16 Depth=1
	v_ffbh_u32_e32 v3, v3
	v_min_u32_e32 v3, 32, v3
	v_subrev_nc_u32_e32 v16, 28, v3
	v_lshlrev_b64 v[21:22], v16, v[11:12]
	v_sub_nc_u32_e32 v16, 29, v3
	v_and_b32_e32 v3, 7, v21
; %bb.216:                              ;   in Loop: Header=BB303_16 Depth=1
	s_or_b32 exec_lo, exec_lo, s52
	v_lshlrev_b32_e32 v21, 8, v11
	v_lshl_add_u32 v16, v16, 10, 0x2000
	v_lshlrev_b32_e32 v3, 7, v3
	v_and_b32_e32 v21, 0x8000, v21
	v_and_b32_e32 v16, 0xfc00, v16
	v_or3_b32 v50, v21, v16, v3
.LBB303_217:                            ;   in Loop: Header=BB303_16 Depth=1
	s_or_b32 exec_lo, exec_lo, s51
.LBB303_218:                            ;   in Loop: Header=BB303_16 Depth=1
	s_or_b32 exec_lo, exec_lo, s50
.LBB303_219:                            ;   in Loop: Header=BB303_16 Depth=1
	s_or_b32 exec_lo, exec_lo, s49
	v_lshrrev_b16 v3, 8, v11
	v_mov_b32_e32 v54, 0
	v_mov_b32_e32 v53, 0
	s_mov_b32 s49, exec_lo
	v_cmpx_ne_u16_e32 0, v3
	s_cbranch_execz .LBB303_227
; %bb.220:                              ;   in Loop: Header=BB303_16 Depth=1
	v_bfrev_b32_e32 v53, 1
	s_mov_b32 s50, exec_lo
	v_cmpx_ne_u16_e32 0x80, v3
	s_cbranch_execz .LBB303_226
; %bb.221:                              ;   in Loop: Header=BB303_16 Depth=1
	v_and_b32_sdwa v56, v3, v13 dst_sel:DWORD dst_unused:UNUSED_PAD src0_sel:WORD_0 src1_sel:DWORD
	v_mov_b32_e32 v53, 0x7c010000
	s_mov_b32 s51, exec_lo
	v_cmpx_ne_u32_e32 0x7f, v56
	s_cbranch_execz .LBB303_225
; %bb.222:                              ;   in Loop: Header=BB303_16 Depth=1
	v_and_b32_sdwa v16, v3, v14 dst_sel:DWORD dst_unused:UNUSED_PAD src0_sel:WORD_0 src1_sel:DWORD
	v_lshrrev_b32_e32 v53, 3, v56
	s_mov_b32 s52, exec_lo
	v_cmpx_gt_u32_e32 8, v56
; %bb.223:                              ;   in Loop: Header=BB303_16 Depth=1
	v_ffbh_u32_e32 v16, v16
	v_min_u32_e32 v16, 32, v16
	v_subrev_nc_u32_e32 v21, 28, v16
	v_sub_nc_u32_e32 v53, 29, v16
	v_lshlrev_b64 v[21:22], v21, v[3:4]
	v_and_b32_e32 v16, 7, v21
; %bb.224:                              ;   in Loop: Header=BB303_16 Depth=1
	s_or_b32 exec_lo, exec_lo, s52
	v_lshlrev_b32_sdwa v3, v19, v3 dst_sel:DWORD dst_unused:UNUSED_PAD src0_sel:DWORD src1_sel:WORD_0
	v_lshl_add_u32 v21, v53, 10, 0x2000
	v_lshlrev_b32_e32 v16, 23, v16
	v_and_or_b32 v3, 0x8000, v3, v21
	v_lshl_or_b32 v53, v3, 16, v16
.LBB303_225:                            ;   in Loop: Header=BB303_16 Depth=1
	s_or_b32 exec_lo, exec_lo, s51
.LBB303_226:                            ;   in Loop: Header=BB303_16 Depth=1
	s_or_b32 exec_lo, exec_lo, s50
.LBB303_227:                            ;   in Loop: Header=BB303_16 Depth=1
	s_or_b32 exec_lo, exec_lo, s49
	v_lshrrev_b32_e32 v3, 16, v11
	v_cmp_ne_u16_sdwa s1, v3, v4 src0_sel:BYTE_0 src1_sel:DWORD
	s_and_saveexec_b32 s49, s1
	s_cbranch_execz .LBB303_235
; %bb.228:                              ;   in Loop: Header=BB303_16 Depth=1
	v_cmp_ne_u16_sdwa s1, v3, v20 src0_sel:BYTE_0 src1_sel:DWORD
	v_mov_b32_e32 v54, 0x8000
	s_and_saveexec_b32 s50, s1
	s_cbranch_execz .LBB303_234
; %bb.229:                              ;   in Loop: Header=BB303_16 Depth=1
	v_bfe_u32 v56, v11, 16, 7
	v_mov_b32_e32 v54, 0x7c01
	s_mov_b32 s51, exec_lo
	v_cmpx_ne_u32_e32 0x7f, v56
	s_cbranch_execz .LBB303_233
; %bb.230:                              ;   in Loop: Header=BB303_16 Depth=1
	v_and_b32_e32 v16, 7, v3
	v_lshrrev_b32_e32 v54, 3, v56
	s_mov_b32 s52, exec_lo
	v_cmpx_gt_u32_e32 8, v56
; %bb.231:                              ;   in Loop: Header=BB303_16 Depth=1
	v_ffbh_u32_e32 v16, v16
	v_min_u32_e32 v16, 32, v16
	v_subrev_nc_u32_e32 v21, 28, v16
	v_sub_nc_u32_e32 v54, 29, v16
	v_lshlrev_b64 v[21:22], v21, v[3:4]
	v_and_b32_e32 v16, 7, v21
; %bb.232:                              ;   in Loop: Header=BB303_16 Depth=1
	s_or_b32 exec_lo, exec_lo, s52
	v_lshlrev_b32_e32 v3, 8, v3
	v_lshl_add_u32 v21, v54, 10, 0x2000
	v_lshlrev_b32_e32 v16, 7, v16
	v_and_b32_e32 v3, 0x8000, v3
	v_and_b32_e32 v21, 0xfc00, v21
	v_or3_b32 v54, v3, v21, v16
.LBB303_233:                            ;   in Loop: Header=BB303_16 Depth=1
	s_or_b32 exec_lo, exec_lo, s51
.LBB303_234:                            ;   in Loop: Header=BB303_16 Depth=1
	s_or_b32 exec_lo, exec_lo, s50
.LBB303_235:                            ;   in Loop: Header=BB303_16 Depth=1
	s_or_b32 exec_lo, exec_lo, s49
	v_mov_b32_e32 v56, 0
	v_mov_b32_e32 v57, 0
	s_mov_b32 s49, exec_lo
	v_cmpx_lt_u32_e32 0xffffff, v11
	s_cbranch_execz .LBB303_243
; %bb.236:                              ;   in Loop: Header=BB303_16 Depth=1
	v_lshrrev_b32_e32 v3, 24, v11
	v_bfrev_b32_e32 v57, 1
	s_mov_b32 s50, exec_lo
	v_cmpx_ne_u32_e32 0x80, v3
	s_cbranch_execz .LBB303_242
; %bb.237:                              ;   in Loop: Header=BB303_16 Depth=1
	v_and_b32_e32 v58, 0x7f, v3
	v_mov_b32_e32 v57, 0x7c010000
	s_mov_b32 s51, exec_lo
	v_cmpx_ne_u32_e32 0x7f, v58
	s_cbranch_execz .LBB303_241
; %bb.238:                              ;   in Loop: Header=BB303_16 Depth=1
	v_and_b32_e32 v16, 7, v3
	v_lshrrev_b32_e32 v57, 3, v58
	s_mov_b32 s52, exec_lo
	v_cmpx_gt_u32_e32 8, v58
; %bb.239:                              ;   in Loop: Header=BB303_16 Depth=1
	v_ffbh_u32_e32 v16, v16
	v_min_u32_e32 v16, 32, v16
	v_subrev_nc_u32_e32 v21, 28, v16
	v_sub_nc_u32_e32 v57, 29, v16
	v_lshlrev_b64 v[21:22], v21, v[3:4]
	v_and_b32_e32 v16, 7, v21
; %bb.240:                              ;   in Loop: Header=BB303_16 Depth=1
	s_or_b32 exec_lo, exec_lo, s52
	v_lshlrev_b32_e32 v3, 8, v3
	v_lshl_add_u32 v21, v57, 10, 0x2000
	v_lshlrev_b32_e32 v16, 23, v16
	v_and_or_b32 v3, 0x8000, v3, v21
	v_lshl_or_b32 v57, v3, 16, v16
.LBB303_241:                            ;   in Loop: Header=BB303_16 Depth=1
	s_or_b32 exec_lo, exec_lo, s51
.LBB303_242:                            ;   in Loop: Header=BB303_16 Depth=1
	s_or_b32 exec_lo, exec_lo, s50
.LBB303_243:                            ;   in Loop: Header=BB303_16 Depth=1
	s_or_b32 exec_lo, exec_lo, s49
	v_mov_b32_e32 v3, v12
	v_cmp_ne_u16_sdwa s1, v12, v4 src0_sel:BYTE_0 src1_sel:DWORD
	s_and_saveexec_b32 s49, s1
	s_cbranch_execz .LBB303_251
; %bb.244:                              ;   in Loop: Header=BB303_16 Depth=1
	v_cmp_ne_u16_sdwa s1, v12, v20 src0_sel:BYTE_0 src1_sel:DWORD
	v_mov_b32_e32 v56, 0x8000
	s_and_saveexec_b32 s50, s1
	s_cbranch_execz .LBB303_250
; %bb.245:                              ;   in Loop: Header=BB303_16 Depth=1
	v_and_b32_e32 v58, 0x7f, v12
	v_mov_b32_e32 v56, 0x7c01
	s_mov_b32 s51, exec_lo
	v_cmpx_ne_u32_e32 0x7f, v58
	s_cbranch_execz .LBB303_249
; %bb.246:                              ;   in Loop: Header=BB303_16 Depth=1
	v_and_b32_e32 v16, 7, v12
	v_lshrrev_b32_e32 v56, 3, v58
	s_mov_b32 s52, exec_lo
	v_cmpx_gt_u32_e32 8, v58
; %bb.247:                              ;   in Loop: Header=BB303_16 Depth=1
	v_ffbh_u32_e32 v16, v16
	v_min_u32_e32 v16, 32, v16
	v_subrev_nc_u32_e32 v21, 28, v16
	v_sub_nc_u32_e32 v56, 29, v16
	v_lshlrev_b64 v[21:22], v21, v[3:4]
	v_and_b32_e32 v16, 7, v21
; %bb.248:                              ;   in Loop: Header=BB303_16 Depth=1
	s_or_b32 exec_lo, exec_lo, s52
	v_lshlrev_b32_e32 v21, 8, v12
	v_lshl_add_u32 v22, v56, 10, 0x2000
	v_lshlrev_b32_e32 v16, 7, v16
	v_and_b32_e32 v21, 0x8000, v21
	v_and_b32_e32 v22, 0xfc00, v22
	v_or3_b32 v56, v21, v22, v16
.LBB303_249:                            ;   in Loop: Header=BB303_16 Depth=1
	s_or_b32 exec_lo, exec_lo, s51
.LBB303_250:                            ;   in Loop: Header=BB303_16 Depth=1
	s_or_b32 exec_lo, exec_lo, s50
.LBB303_251:                            ;   in Loop: Header=BB303_16 Depth=1
	s_or_b32 exec_lo, exec_lo, s49
	v_lshrrev_b16 v3, 8, v3
	v_mov_b32_e32 v60, 0
	v_mov_b32_e32 v59, 0
	s_mov_b32 s49, exec_lo
	v_cmpx_ne_u16_e32 0, v3
	s_cbranch_execz .LBB303_259
; %bb.252:                              ;   in Loop: Header=BB303_16 Depth=1
	v_bfrev_b32_e32 v59, 1
	s_mov_b32 s50, exec_lo
	v_cmpx_ne_u16_e32 0x80, v3
	s_cbranch_execz .LBB303_258
; %bb.253:                              ;   in Loop: Header=BB303_16 Depth=1
	v_and_b32_sdwa v61, v3, v13 dst_sel:DWORD dst_unused:UNUSED_PAD src0_sel:WORD_0 src1_sel:DWORD
	v_mov_b32_e32 v59, 0x7c010000
	s_mov_b32 s51, exec_lo
	v_cmpx_ne_u32_e32 0x7f, v61
	s_cbranch_execz .LBB303_257
; %bb.254:                              ;   in Loop: Header=BB303_16 Depth=1
	v_and_b32_sdwa v16, v3, v14 dst_sel:DWORD dst_unused:UNUSED_PAD src0_sel:WORD_0 src1_sel:DWORD
	v_lshrrev_b32_e32 v58, 3, v61
	s_mov_b32 s52, exec_lo
	v_cmpx_gt_u32_e32 8, v61
; %bb.255:                              ;   in Loop: Header=BB303_16 Depth=1
	v_ffbh_u32_e32 v16, v16
	v_min_u32_e32 v16, 32, v16
	v_subrev_nc_u32_e32 v21, 28, v16
	v_sub_nc_u32_e32 v58, 29, v16
	v_lshlrev_b64 v[21:22], v21, v[3:4]
	v_and_b32_e32 v16, 7, v21
; %bb.256:                              ;   in Loop: Header=BB303_16 Depth=1
	s_or_b32 exec_lo, exec_lo, s52
	v_lshlrev_b32_sdwa v3, v19, v3 dst_sel:DWORD dst_unused:UNUSED_PAD src0_sel:DWORD src1_sel:WORD_0
	v_lshl_add_u32 v21, v58, 10, 0x2000
	v_lshlrev_b32_e32 v16, 23, v16
	v_and_or_b32 v3, 0x8000, v3, v21
	v_lshl_or_b32 v59, v3, 16, v16
.LBB303_257:                            ;   in Loop: Header=BB303_16 Depth=1
	s_or_b32 exec_lo, exec_lo, s51
.LBB303_258:                            ;   in Loop: Header=BB303_16 Depth=1
	s_or_b32 exec_lo, exec_lo, s50
.LBB303_259:                            ;   in Loop: Header=BB303_16 Depth=1
	s_or_b32 exec_lo, exec_lo, s49
	v_lshrrev_b32_e32 v3, 16, v12
	v_cmp_ne_u16_sdwa s1, v3, v4 src0_sel:BYTE_0 src1_sel:DWORD
	s_and_saveexec_b32 s49, s1
	s_cbranch_execz .LBB303_267
; %bb.260:                              ;   in Loop: Header=BB303_16 Depth=1
	v_cmp_ne_u16_sdwa s1, v3, v20 src0_sel:BYTE_0 src1_sel:DWORD
	v_mov_b32_e32 v60, 0x8000
	s_and_saveexec_b32 s50, s1
	s_cbranch_execz .LBB303_266
; %bb.261:                              ;   in Loop: Header=BB303_16 Depth=1
	v_bfe_u32 v61, v12, 16, 7
	v_mov_b32_e32 v60, 0x7c01
	s_mov_b32 s51, exec_lo
	v_cmpx_ne_u32_e32 0x7f, v61
	s_cbranch_execz .LBB303_265
; %bb.262:                              ;   in Loop: Header=BB303_16 Depth=1
	v_and_b32_e32 v16, 7, v3
	v_lshrrev_b32_e32 v58, 3, v61
	s_mov_b32 s52, exec_lo
	v_cmpx_gt_u32_e32 8, v61
; %bb.263:                              ;   in Loop: Header=BB303_16 Depth=1
	v_ffbh_u32_e32 v16, v16
	v_min_u32_e32 v16, 32, v16
	v_subrev_nc_u32_e32 v21, 28, v16
	v_sub_nc_u32_e32 v58, 29, v16
	v_lshlrev_b64 v[21:22], v21, v[3:4]
	v_and_b32_e32 v16, 7, v21
; %bb.264:                              ;   in Loop: Header=BB303_16 Depth=1
	s_or_b32 exec_lo, exec_lo, s52
	v_lshlrev_b32_e32 v3, 8, v3
	v_lshl_add_u32 v21, v58, 10, 0x2000
	v_lshlrev_b32_e32 v16, 7, v16
	v_and_b32_e32 v3, 0x8000, v3
	v_and_b32_e32 v21, 0xfc00, v21
	v_or3_b32 v60, v3, v21, v16
.LBB303_265:                            ;   in Loop: Header=BB303_16 Depth=1
	s_or_b32 exec_lo, exec_lo, s51
.LBB303_266:                            ;   in Loop: Header=BB303_16 Depth=1
	s_or_b32 exec_lo, exec_lo, s50
.LBB303_267:                            ;   in Loop: Header=BB303_16 Depth=1
	s_or_b32 exec_lo, exec_lo, s49
	v_mov_b32_e32 v58, 0
	v_mov_b32_e32 v63, 0
	s_mov_b32 s49, exec_lo
	v_cmpx_lt_u64_e64 s[4:5], v[11:12]
	s_cbranch_execz .LBB303_275
; %bb.268:                              ;   in Loop: Header=BB303_16 Depth=1
	v_lshrrev_b32_e32 v3, 24, v12
	v_bfrev_b32_e32 v63, 1
	s_mov_b32 s50, exec_lo
	v_cmpx_ne_u32_e32 0x80, v3
	s_cbranch_execz .LBB303_274
; %bb.269:                              ;   in Loop: Header=BB303_16 Depth=1
	v_and_b32_e32 v16, 0x7f, v3
	v_mov_b32_e32 v63, 0x7c010000
	s_mov_b32 s51, exec_lo
	v_cmpx_ne_u32_e32 0x7f, v16
	s_cbranch_execz .LBB303_273
; %bb.270:                              ;   in Loop: Header=BB303_16 Depth=1
	v_and_b32_e32 v11, 7, v3
	v_lshrrev_b32_e32 v12, 3, v16
	s_mov_b32 s52, exec_lo
	v_cmpx_gt_u32_e32 8, v16
; %bb.271:                              ;   in Loop: Header=BB303_16 Depth=1
	v_ffbh_u32_e32 v11, v11
	v_min_u32_e32 v16, 32, v11
	v_subrev_nc_u32_e32 v11, 28, v16
	v_lshlrev_b64 v[11:12], v11, v[3:4]
	v_sub_nc_u32_e32 v12, 29, v16
	v_and_b32_e32 v11, 7, v11
; %bb.272:                              ;   in Loop: Header=BB303_16 Depth=1
	s_or_b32 exec_lo, exec_lo, s52
	v_lshlrev_b32_e32 v3, 8, v3
	v_lshl_add_u32 v12, v12, 10, 0x2000
	v_lshlrev_b32_e32 v11, 23, v11
	v_and_or_b32 v3, 0x8000, v3, v12
	v_lshl_or_b32 v63, v3, 16, v11
.LBB303_273:                            ;   in Loop: Header=BB303_16 Depth=1
	s_or_b32 exec_lo, exec_lo, s51
.LBB303_274:                            ;   in Loop: Header=BB303_16 Depth=1
	s_or_b32 exec_lo, exec_lo, s50
.LBB303_275:                            ;   in Loop: Header=BB303_16 Depth=1
	s_or_b32 exec_lo, exec_lo, s49
	global_load_dwordx2 v[11:12], v[9:10], off offset:1024
	s_waitcnt vmcnt(0)
	v_cmp_ne_u16_sdwa s1, v11, v4 src0_sel:BYTE_0 src1_sel:DWORD
	s_and_saveexec_b32 s49, s1
	s_cbranch_execz .LBB303_283
; %bb.276:                              ;   in Loop: Header=BB303_16 Depth=1
	v_cmp_ne_u16_sdwa s1, v11, v20 src0_sel:BYTE_0 src1_sel:DWORD
	v_mov_b32_e32 v58, 0x8000
	s_and_saveexec_b32 s50, s1
	s_cbranch_execz .LBB303_282
; %bb.277:                              ;   in Loop: Header=BB303_16 Depth=1
	v_and_b32_e32 v61, 0x7f, v11
	v_mov_b32_e32 v58, 0x7c01
	s_mov_b32 s51, exec_lo
	v_cmpx_ne_u32_e32 0x7f, v61
	s_cbranch_execz .LBB303_281
; %bb.278:                              ;   in Loop: Header=BB303_16 Depth=1
	v_and_b32_e32 v3, 7, v11
	v_lshrrev_b32_e32 v16, 3, v61
	s_mov_b32 s52, exec_lo
	v_cmpx_gt_u32_e32 8, v61
; %bb.279:                              ;   in Loop: Header=BB303_16 Depth=1
	v_ffbh_u32_e32 v3, v3
	v_min_u32_e32 v3, 32, v3
	v_subrev_nc_u32_e32 v16, 28, v3
	v_lshlrev_b64 v[21:22], v16, v[11:12]
	v_sub_nc_u32_e32 v16, 29, v3
	v_and_b32_e32 v3, 7, v21
; %bb.280:                              ;   in Loop: Header=BB303_16 Depth=1
	s_or_b32 exec_lo, exec_lo, s52
	v_lshlrev_b32_e32 v21, 8, v11
	v_lshl_add_u32 v16, v16, 10, 0x2000
	v_lshlrev_b32_e32 v3, 7, v3
	v_and_b32_e32 v21, 0x8000, v21
	v_and_b32_e32 v16, 0xfc00, v16
	v_or3_b32 v58, v21, v16, v3
.LBB303_281:                            ;   in Loop: Header=BB303_16 Depth=1
	s_or_b32 exec_lo, exec_lo, s51
.LBB303_282:                            ;   in Loop: Header=BB303_16 Depth=1
	s_or_b32 exec_lo, exec_lo, s50
.LBB303_283:                            ;   in Loop: Header=BB303_16 Depth=1
	s_or_b32 exec_lo, exec_lo, s49
	v_lshrrev_b16 v3, 8, v11
	v_mov_b32_e32 v62, 0
	v_mov_b32_e32 v61, 0
	s_mov_b32 s49, exec_lo
	v_cmpx_ne_u16_e32 0, v3
	s_cbranch_execz .LBB303_291
; %bb.284:                              ;   in Loop: Header=BB303_16 Depth=1
	v_bfrev_b32_e32 v61, 1
	s_mov_b32 s50, exec_lo
	v_cmpx_ne_u16_e32 0x80, v3
	s_cbranch_execz .LBB303_290
; %bb.285:                              ;   in Loop: Header=BB303_16 Depth=1
	v_and_b32_sdwa v64, v3, v13 dst_sel:DWORD dst_unused:UNUSED_PAD src0_sel:WORD_0 src1_sel:DWORD
	v_mov_b32_e32 v61, 0x7c010000
	s_mov_b32 s51, exec_lo
	v_cmpx_ne_u32_e32 0x7f, v64
	s_cbranch_execz .LBB303_289
; %bb.286:                              ;   in Loop: Header=BB303_16 Depth=1
	v_and_b32_sdwa v16, v3, v14 dst_sel:DWORD dst_unused:UNUSED_PAD src0_sel:WORD_0 src1_sel:DWORD
	v_lshrrev_b32_e32 v61, 3, v64
	s_mov_b32 s52, exec_lo
	v_cmpx_gt_u32_e32 8, v64
; %bb.287:                              ;   in Loop: Header=BB303_16 Depth=1
	v_ffbh_u32_e32 v16, v16
	v_min_u32_e32 v16, 32, v16
	v_subrev_nc_u32_e32 v21, 28, v16
	v_sub_nc_u32_e32 v61, 29, v16
	v_lshlrev_b64 v[21:22], v21, v[3:4]
	v_and_b32_e32 v16, 7, v21
; %bb.288:                              ;   in Loop: Header=BB303_16 Depth=1
	s_or_b32 exec_lo, exec_lo, s52
	v_lshlrev_b32_sdwa v3, v19, v3 dst_sel:DWORD dst_unused:UNUSED_PAD src0_sel:DWORD src1_sel:WORD_0
	v_lshl_add_u32 v21, v61, 10, 0x2000
	v_lshlrev_b32_e32 v16, 23, v16
	v_and_or_b32 v3, 0x8000, v3, v21
	v_lshl_or_b32 v61, v3, 16, v16
.LBB303_289:                            ;   in Loop: Header=BB303_16 Depth=1
	s_or_b32 exec_lo, exec_lo, s51
.LBB303_290:                            ;   in Loop: Header=BB303_16 Depth=1
	s_or_b32 exec_lo, exec_lo, s50
.LBB303_291:                            ;   in Loop: Header=BB303_16 Depth=1
	s_or_b32 exec_lo, exec_lo, s49
	v_lshrrev_b32_e32 v3, 16, v11
	v_cmp_ne_u16_sdwa s1, v3, v4 src0_sel:BYTE_0 src1_sel:DWORD
	s_and_saveexec_b32 s49, s1
	s_cbranch_execz .LBB303_299
; %bb.292:                              ;   in Loop: Header=BB303_16 Depth=1
	v_cmp_ne_u16_sdwa s1, v3, v20 src0_sel:BYTE_0 src1_sel:DWORD
	v_mov_b32_e32 v62, 0x8000
	s_and_saveexec_b32 s50, s1
	s_cbranch_execz .LBB303_298
; %bb.293:                              ;   in Loop: Header=BB303_16 Depth=1
	v_bfe_u32 v64, v11, 16, 7
	v_mov_b32_e32 v62, 0x7c01
	s_mov_b32 s51, exec_lo
	v_cmpx_ne_u32_e32 0x7f, v64
	s_cbranch_execz .LBB303_297
; %bb.294:                              ;   in Loop: Header=BB303_16 Depth=1
	v_and_b32_e32 v16, 7, v3
	v_lshrrev_b32_e32 v62, 3, v64
	s_mov_b32 s52, exec_lo
	v_cmpx_gt_u32_e32 8, v64
; %bb.295:                              ;   in Loop: Header=BB303_16 Depth=1
	v_ffbh_u32_e32 v16, v16
	v_min_u32_e32 v16, 32, v16
	v_subrev_nc_u32_e32 v21, 28, v16
	v_sub_nc_u32_e32 v62, 29, v16
	v_lshlrev_b64 v[21:22], v21, v[3:4]
	v_and_b32_e32 v16, 7, v21
; %bb.296:                              ;   in Loop: Header=BB303_16 Depth=1
	s_or_b32 exec_lo, exec_lo, s52
	v_lshlrev_b32_e32 v3, 8, v3
	v_lshl_add_u32 v21, v62, 10, 0x2000
	v_lshlrev_b32_e32 v16, 7, v16
	v_and_b32_e32 v3, 0x8000, v3
	v_and_b32_e32 v21, 0xfc00, v21
	v_or3_b32 v62, v3, v21, v16
.LBB303_297:                            ;   in Loop: Header=BB303_16 Depth=1
	s_or_b32 exec_lo, exec_lo, s51
.LBB303_298:                            ;   in Loop: Header=BB303_16 Depth=1
	s_or_b32 exec_lo, exec_lo, s50
.LBB303_299:                            ;   in Loop: Header=BB303_16 Depth=1
	s_or_b32 exec_lo, exec_lo, s49
	v_mov_b32_e32 v64, 0
	v_mov_b32_e32 v65, 0
	s_mov_b32 s49, exec_lo
	v_cmpx_lt_u32_e32 0xffffff, v11
	s_cbranch_execz .LBB303_307
; %bb.300:                              ;   in Loop: Header=BB303_16 Depth=1
	v_lshrrev_b32_e32 v3, 24, v11
	v_bfrev_b32_e32 v65, 1
	s_mov_b32 s50, exec_lo
	v_cmpx_ne_u32_e32 0x80, v3
	s_cbranch_execz .LBB303_306
; %bb.301:                              ;   in Loop: Header=BB303_16 Depth=1
	v_and_b32_e32 v66, 0x7f, v3
	v_mov_b32_e32 v65, 0x7c010000
	s_mov_b32 s51, exec_lo
	v_cmpx_ne_u32_e32 0x7f, v66
	s_cbranch_execz .LBB303_305
; %bb.302:                              ;   in Loop: Header=BB303_16 Depth=1
	v_and_b32_e32 v16, 7, v3
	v_lshrrev_b32_e32 v65, 3, v66
	s_mov_b32 s52, exec_lo
	v_cmpx_gt_u32_e32 8, v66
; %bb.303:                              ;   in Loop: Header=BB303_16 Depth=1
	v_ffbh_u32_e32 v16, v16
	v_min_u32_e32 v16, 32, v16
	v_subrev_nc_u32_e32 v21, 28, v16
	v_sub_nc_u32_e32 v65, 29, v16
	v_lshlrev_b64 v[21:22], v21, v[3:4]
	v_and_b32_e32 v16, 7, v21
; %bb.304:                              ;   in Loop: Header=BB303_16 Depth=1
	s_or_b32 exec_lo, exec_lo, s52
	v_lshlrev_b32_e32 v3, 8, v3
	v_lshl_add_u32 v21, v65, 10, 0x2000
	v_lshlrev_b32_e32 v16, 23, v16
	v_and_or_b32 v3, 0x8000, v3, v21
	v_lshl_or_b32 v65, v3, 16, v16
.LBB303_305:                            ;   in Loop: Header=BB303_16 Depth=1
	s_or_b32 exec_lo, exec_lo, s51
.LBB303_306:                            ;   in Loop: Header=BB303_16 Depth=1
	s_or_b32 exec_lo, exec_lo, s50
.LBB303_307:                            ;   in Loop: Header=BB303_16 Depth=1
	s_or_b32 exec_lo, exec_lo, s49
	v_mov_b32_e32 v3, v12
	v_cmp_ne_u16_sdwa s1, v12, v4 src0_sel:BYTE_0 src1_sel:DWORD
	s_and_saveexec_b32 s49, s1
	s_cbranch_execz .LBB303_315
; %bb.308:                              ;   in Loop: Header=BB303_16 Depth=1
	v_cmp_ne_u16_sdwa s1, v12, v20 src0_sel:BYTE_0 src1_sel:DWORD
	v_mov_b32_e32 v64, 0x8000
	s_and_saveexec_b32 s50, s1
	s_cbranch_execz .LBB303_314
; %bb.309:                              ;   in Loop: Header=BB303_16 Depth=1
	v_and_b32_e32 v66, 0x7f, v12
	v_mov_b32_e32 v64, 0x7c01
	s_mov_b32 s51, exec_lo
	v_cmpx_ne_u32_e32 0x7f, v66
	s_cbranch_execz .LBB303_313
; %bb.310:                              ;   in Loop: Header=BB303_16 Depth=1
	v_and_b32_e32 v16, 7, v12
	v_lshrrev_b32_e32 v64, 3, v66
	s_mov_b32 s52, exec_lo
	v_cmpx_gt_u32_e32 8, v66
; %bb.311:                              ;   in Loop: Header=BB303_16 Depth=1
	v_ffbh_u32_e32 v16, v16
	v_min_u32_e32 v16, 32, v16
	v_subrev_nc_u32_e32 v21, 28, v16
	v_sub_nc_u32_e32 v64, 29, v16
	v_lshlrev_b64 v[21:22], v21, v[3:4]
	v_and_b32_e32 v16, 7, v21
; %bb.312:                              ;   in Loop: Header=BB303_16 Depth=1
	s_or_b32 exec_lo, exec_lo, s52
	v_lshlrev_b32_e32 v21, 8, v12
	v_lshl_add_u32 v22, v64, 10, 0x2000
	v_lshlrev_b32_e32 v16, 7, v16
	v_and_b32_e32 v21, 0x8000, v21
	v_and_b32_e32 v22, 0xfc00, v22
	v_or3_b32 v64, v21, v22, v16
.LBB303_313:                            ;   in Loop: Header=BB303_16 Depth=1
	s_or_b32 exec_lo, exec_lo, s51
.LBB303_314:                            ;   in Loop: Header=BB303_16 Depth=1
	s_or_b32 exec_lo, exec_lo, s50
.LBB303_315:                            ;   in Loop: Header=BB303_16 Depth=1
	s_or_b32 exec_lo, exec_lo, s49
	v_lshrrev_b16 v3, 8, v3
	v_mov_b32_e32 v68, 0
	v_mov_b32_e32 v67, 0
	s_mov_b32 s49, exec_lo
	v_cmpx_ne_u16_e32 0, v3
	s_cbranch_execz .LBB303_323
; %bb.316:                              ;   in Loop: Header=BB303_16 Depth=1
	v_bfrev_b32_e32 v67, 1
	s_mov_b32 s50, exec_lo
	v_cmpx_ne_u16_e32 0x80, v3
	s_cbranch_execz .LBB303_322
; %bb.317:                              ;   in Loop: Header=BB303_16 Depth=1
	v_and_b32_sdwa v69, v3, v13 dst_sel:DWORD dst_unused:UNUSED_PAD src0_sel:WORD_0 src1_sel:DWORD
	v_mov_b32_e32 v67, 0x7c010000
	s_mov_b32 s51, exec_lo
	v_cmpx_ne_u32_e32 0x7f, v69
	s_cbranch_execz .LBB303_321
; %bb.318:                              ;   in Loop: Header=BB303_16 Depth=1
	v_and_b32_sdwa v16, v3, v14 dst_sel:DWORD dst_unused:UNUSED_PAD src0_sel:WORD_0 src1_sel:DWORD
	v_lshrrev_b32_e32 v66, 3, v69
	s_mov_b32 s52, exec_lo
	v_cmpx_gt_u32_e32 8, v69
; %bb.319:                              ;   in Loop: Header=BB303_16 Depth=1
	v_ffbh_u32_e32 v16, v16
	v_min_u32_e32 v16, 32, v16
	v_subrev_nc_u32_e32 v21, 28, v16
	v_sub_nc_u32_e32 v66, 29, v16
	v_lshlrev_b64 v[21:22], v21, v[3:4]
	v_and_b32_e32 v16, 7, v21
; %bb.320:                              ;   in Loop: Header=BB303_16 Depth=1
	s_or_b32 exec_lo, exec_lo, s52
	v_lshlrev_b32_sdwa v3, v19, v3 dst_sel:DWORD dst_unused:UNUSED_PAD src0_sel:DWORD src1_sel:WORD_0
	v_lshl_add_u32 v21, v66, 10, 0x2000
	v_lshlrev_b32_e32 v16, 23, v16
	v_and_or_b32 v3, 0x8000, v3, v21
	v_lshl_or_b32 v67, v3, 16, v16
.LBB303_321:                            ;   in Loop: Header=BB303_16 Depth=1
	s_or_b32 exec_lo, exec_lo, s51
.LBB303_322:                            ;   in Loop: Header=BB303_16 Depth=1
	s_or_b32 exec_lo, exec_lo, s50
.LBB303_323:                            ;   in Loop: Header=BB303_16 Depth=1
	s_or_b32 exec_lo, exec_lo, s49
	v_lshrrev_b32_e32 v3, 16, v12
	v_cmp_ne_u16_sdwa s1, v3, v4 src0_sel:BYTE_0 src1_sel:DWORD
	s_and_saveexec_b32 s49, s1
	s_cbranch_execz .LBB303_331
; %bb.324:                              ;   in Loop: Header=BB303_16 Depth=1
	v_cmp_ne_u16_sdwa s1, v3, v20 src0_sel:BYTE_0 src1_sel:DWORD
	v_mov_b32_e32 v68, 0x8000
	s_and_saveexec_b32 s50, s1
	s_cbranch_execz .LBB303_330
; %bb.325:                              ;   in Loop: Header=BB303_16 Depth=1
	v_bfe_u32 v69, v12, 16, 7
	v_mov_b32_e32 v68, 0x7c01
	s_mov_b32 s51, exec_lo
	v_cmpx_ne_u32_e32 0x7f, v69
	s_cbranch_execz .LBB303_329
; %bb.326:                              ;   in Loop: Header=BB303_16 Depth=1
	v_and_b32_e32 v16, 7, v3
	v_lshrrev_b32_e32 v66, 3, v69
	s_mov_b32 s52, exec_lo
	v_cmpx_gt_u32_e32 8, v69
; %bb.327:                              ;   in Loop: Header=BB303_16 Depth=1
	v_ffbh_u32_e32 v16, v16
	v_min_u32_e32 v16, 32, v16
	v_subrev_nc_u32_e32 v21, 28, v16
	v_sub_nc_u32_e32 v66, 29, v16
	v_lshlrev_b64 v[21:22], v21, v[3:4]
	v_and_b32_e32 v16, 7, v21
; %bb.328:                              ;   in Loop: Header=BB303_16 Depth=1
	s_or_b32 exec_lo, exec_lo, s52
	v_lshlrev_b32_e32 v3, 8, v3
	v_lshl_add_u32 v21, v66, 10, 0x2000
	v_lshlrev_b32_e32 v16, 7, v16
	v_and_b32_e32 v3, 0x8000, v3
	v_and_b32_e32 v21, 0xfc00, v21
	v_or3_b32 v68, v3, v21, v16
.LBB303_329:                            ;   in Loop: Header=BB303_16 Depth=1
	s_or_b32 exec_lo, exec_lo, s51
.LBB303_330:                            ;   in Loop: Header=BB303_16 Depth=1
	s_or_b32 exec_lo, exec_lo, s50
.LBB303_331:                            ;   in Loop: Header=BB303_16 Depth=1
	s_or_b32 exec_lo, exec_lo, s49
	v_mov_b32_e32 v66, 0
	v_mov_b32_e32 v71, 0
	s_mov_b32 s49, exec_lo
	v_cmpx_lt_u64_e64 s[4:5], v[11:12]
	s_cbranch_execz .LBB303_339
; %bb.332:                              ;   in Loop: Header=BB303_16 Depth=1
	v_lshrrev_b32_e32 v3, 24, v12
	v_bfrev_b32_e32 v71, 1
	s_mov_b32 s50, exec_lo
	v_cmpx_ne_u32_e32 0x80, v3
	s_cbranch_execz .LBB303_338
; %bb.333:                              ;   in Loop: Header=BB303_16 Depth=1
	v_and_b32_e32 v16, 0x7f, v3
	v_mov_b32_e32 v71, 0x7c010000
	s_mov_b32 s51, exec_lo
	v_cmpx_ne_u32_e32 0x7f, v16
	s_cbranch_execz .LBB303_337
; %bb.334:                              ;   in Loop: Header=BB303_16 Depth=1
	v_and_b32_e32 v11, 7, v3
	v_lshrrev_b32_e32 v12, 3, v16
	s_mov_b32 s52, exec_lo
	v_cmpx_gt_u32_e32 8, v16
; %bb.335:                              ;   in Loop: Header=BB303_16 Depth=1
	v_ffbh_u32_e32 v11, v11
	v_min_u32_e32 v16, 32, v11
	v_subrev_nc_u32_e32 v11, 28, v16
	v_lshlrev_b64 v[11:12], v11, v[3:4]
	v_sub_nc_u32_e32 v12, 29, v16
	v_and_b32_e32 v11, 7, v11
; %bb.336:                              ;   in Loop: Header=BB303_16 Depth=1
	s_or_b32 exec_lo, exec_lo, s52
	v_lshlrev_b32_e32 v3, 8, v3
	v_lshl_add_u32 v12, v12, 10, 0x2000
	v_lshlrev_b32_e32 v11, 23, v11
	v_and_or_b32 v3, 0x8000, v3, v12
	v_lshl_or_b32 v71, v3, 16, v11
.LBB303_337:                            ;   in Loop: Header=BB303_16 Depth=1
	s_or_b32 exec_lo, exec_lo, s51
.LBB303_338:                            ;   in Loop: Header=BB303_16 Depth=1
	s_or_b32 exec_lo, exec_lo, s50
.LBB303_339:                            ;   in Loop: Header=BB303_16 Depth=1
	s_or_b32 exec_lo, exec_lo, s49
	global_load_dwordx2 v[11:12], v[9:10], off offset:1032
	s_waitcnt vmcnt(0)
	v_cmp_ne_u16_sdwa s1, v11, v4 src0_sel:BYTE_0 src1_sel:DWORD
	s_and_saveexec_b32 s49, s1
	s_cbranch_execz .LBB303_347
; %bb.340:                              ;   in Loop: Header=BB303_16 Depth=1
	v_cmp_ne_u16_sdwa s1, v11, v20 src0_sel:BYTE_0 src1_sel:DWORD
	v_mov_b32_e32 v66, 0x8000
	s_and_saveexec_b32 s50, s1
	s_cbranch_execz .LBB303_346
; %bb.341:                              ;   in Loop: Header=BB303_16 Depth=1
	v_and_b32_e32 v69, 0x7f, v11
	v_mov_b32_e32 v66, 0x7c01
	s_mov_b32 s51, exec_lo
	v_cmpx_ne_u32_e32 0x7f, v69
	s_cbranch_execz .LBB303_345
; %bb.342:                              ;   in Loop: Header=BB303_16 Depth=1
	v_and_b32_e32 v3, 7, v11
	v_lshrrev_b32_e32 v16, 3, v69
	s_mov_b32 s52, exec_lo
	v_cmpx_gt_u32_e32 8, v69
; %bb.343:                              ;   in Loop: Header=BB303_16 Depth=1
	v_ffbh_u32_e32 v3, v3
	v_min_u32_e32 v3, 32, v3
	v_subrev_nc_u32_e32 v16, 28, v3
	v_lshlrev_b64 v[21:22], v16, v[11:12]
	v_sub_nc_u32_e32 v16, 29, v3
	v_and_b32_e32 v3, 7, v21
; %bb.344:                              ;   in Loop: Header=BB303_16 Depth=1
	s_or_b32 exec_lo, exec_lo, s52
	v_lshlrev_b32_e32 v21, 8, v11
	v_lshl_add_u32 v16, v16, 10, 0x2000
	v_lshlrev_b32_e32 v3, 7, v3
	v_and_b32_e32 v21, 0x8000, v21
	v_and_b32_e32 v16, 0xfc00, v16
	v_or3_b32 v66, v21, v16, v3
.LBB303_345:                            ;   in Loop: Header=BB303_16 Depth=1
	s_or_b32 exec_lo, exec_lo, s51
.LBB303_346:                            ;   in Loop: Header=BB303_16 Depth=1
	s_or_b32 exec_lo, exec_lo, s50
.LBB303_347:                            ;   in Loop: Header=BB303_16 Depth=1
	s_or_b32 exec_lo, exec_lo, s49
	v_lshrrev_b16 v3, 8, v11
	v_mov_b32_e32 v70, 0
	v_mov_b32_e32 v69, 0
	s_mov_b32 s49, exec_lo
	v_cmpx_ne_u16_e32 0, v3
	s_cbranch_execz .LBB303_355
; %bb.348:                              ;   in Loop: Header=BB303_16 Depth=1
	v_bfrev_b32_e32 v69, 1
	s_mov_b32 s50, exec_lo
	v_cmpx_ne_u16_e32 0x80, v3
	s_cbranch_execz .LBB303_354
; %bb.349:                              ;   in Loop: Header=BB303_16 Depth=1
	v_and_b32_sdwa v72, v3, v13 dst_sel:DWORD dst_unused:UNUSED_PAD src0_sel:WORD_0 src1_sel:DWORD
	v_mov_b32_e32 v69, 0x7c010000
	s_mov_b32 s51, exec_lo
	v_cmpx_ne_u32_e32 0x7f, v72
	s_cbranch_execz .LBB303_353
; %bb.350:                              ;   in Loop: Header=BB303_16 Depth=1
	v_and_b32_sdwa v16, v3, v14 dst_sel:DWORD dst_unused:UNUSED_PAD src0_sel:WORD_0 src1_sel:DWORD
	v_lshrrev_b32_e32 v69, 3, v72
	s_mov_b32 s52, exec_lo
	v_cmpx_gt_u32_e32 8, v72
; %bb.351:                              ;   in Loop: Header=BB303_16 Depth=1
	v_ffbh_u32_e32 v16, v16
	v_min_u32_e32 v16, 32, v16
	v_subrev_nc_u32_e32 v21, 28, v16
	v_sub_nc_u32_e32 v69, 29, v16
	v_lshlrev_b64 v[21:22], v21, v[3:4]
	v_and_b32_e32 v16, 7, v21
; %bb.352:                              ;   in Loop: Header=BB303_16 Depth=1
	s_or_b32 exec_lo, exec_lo, s52
	v_lshlrev_b32_sdwa v3, v19, v3 dst_sel:DWORD dst_unused:UNUSED_PAD src0_sel:DWORD src1_sel:WORD_0
	v_lshl_add_u32 v21, v69, 10, 0x2000
	v_lshlrev_b32_e32 v16, 23, v16
	v_and_or_b32 v3, 0x8000, v3, v21
	v_lshl_or_b32 v69, v3, 16, v16
.LBB303_353:                            ;   in Loop: Header=BB303_16 Depth=1
	s_or_b32 exec_lo, exec_lo, s51
.LBB303_354:                            ;   in Loop: Header=BB303_16 Depth=1
	s_or_b32 exec_lo, exec_lo, s50
.LBB303_355:                            ;   in Loop: Header=BB303_16 Depth=1
	s_or_b32 exec_lo, exec_lo, s49
	v_lshrrev_b32_e32 v3, 16, v11
	v_cmp_ne_u16_sdwa s1, v3, v4 src0_sel:BYTE_0 src1_sel:DWORD
	s_and_saveexec_b32 s49, s1
	s_cbranch_execz .LBB303_363
; %bb.356:                              ;   in Loop: Header=BB303_16 Depth=1
	v_cmp_ne_u16_sdwa s1, v3, v20 src0_sel:BYTE_0 src1_sel:DWORD
	v_mov_b32_e32 v70, 0x8000
	s_and_saveexec_b32 s50, s1
	s_cbranch_execz .LBB303_362
; %bb.357:                              ;   in Loop: Header=BB303_16 Depth=1
	v_bfe_u32 v72, v11, 16, 7
	v_mov_b32_e32 v70, 0x7c01
	s_mov_b32 s51, exec_lo
	v_cmpx_ne_u32_e32 0x7f, v72
	s_cbranch_execz .LBB303_361
; %bb.358:                              ;   in Loop: Header=BB303_16 Depth=1
	v_and_b32_e32 v16, 7, v3
	v_lshrrev_b32_e32 v70, 3, v72
	s_mov_b32 s52, exec_lo
	v_cmpx_gt_u32_e32 8, v72
; %bb.359:                              ;   in Loop: Header=BB303_16 Depth=1
	v_ffbh_u32_e32 v16, v16
	v_min_u32_e32 v16, 32, v16
	v_subrev_nc_u32_e32 v21, 28, v16
	v_sub_nc_u32_e32 v70, 29, v16
	v_lshlrev_b64 v[21:22], v21, v[3:4]
	v_and_b32_e32 v16, 7, v21
; %bb.360:                              ;   in Loop: Header=BB303_16 Depth=1
	s_or_b32 exec_lo, exec_lo, s52
	v_lshlrev_b32_e32 v3, 8, v3
	v_lshl_add_u32 v21, v70, 10, 0x2000
	v_lshlrev_b32_e32 v16, 7, v16
	v_and_b32_e32 v3, 0x8000, v3
	v_and_b32_e32 v21, 0xfc00, v21
	v_or3_b32 v70, v3, v21, v16
.LBB303_361:                            ;   in Loop: Header=BB303_16 Depth=1
	s_or_b32 exec_lo, exec_lo, s51
.LBB303_362:                            ;   in Loop: Header=BB303_16 Depth=1
	s_or_b32 exec_lo, exec_lo, s50
.LBB303_363:                            ;   in Loop: Header=BB303_16 Depth=1
	s_or_b32 exec_lo, exec_lo, s49
	v_mov_b32_e32 v72, 0
	v_mov_b32_e32 v73, 0
	s_mov_b32 s49, exec_lo
	v_cmpx_lt_u32_e32 0xffffff, v11
	s_cbranch_execz .LBB303_371
; %bb.364:                              ;   in Loop: Header=BB303_16 Depth=1
	v_lshrrev_b32_e32 v3, 24, v11
	v_bfrev_b32_e32 v73, 1
	s_mov_b32 s50, exec_lo
	v_cmpx_ne_u32_e32 0x80, v3
	s_cbranch_execz .LBB303_370
; %bb.365:                              ;   in Loop: Header=BB303_16 Depth=1
	v_and_b32_e32 v74, 0x7f, v3
	v_mov_b32_e32 v73, 0x7c010000
	s_mov_b32 s51, exec_lo
	v_cmpx_ne_u32_e32 0x7f, v74
	s_cbranch_execz .LBB303_369
; %bb.366:                              ;   in Loop: Header=BB303_16 Depth=1
	v_and_b32_e32 v16, 7, v3
	v_lshrrev_b32_e32 v73, 3, v74
	s_mov_b32 s52, exec_lo
	v_cmpx_gt_u32_e32 8, v74
; %bb.367:                              ;   in Loop: Header=BB303_16 Depth=1
	v_ffbh_u32_e32 v16, v16
	v_min_u32_e32 v16, 32, v16
	v_subrev_nc_u32_e32 v21, 28, v16
	v_sub_nc_u32_e32 v73, 29, v16
	v_lshlrev_b64 v[21:22], v21, v[3:4]
	v_and_b32_e32 v16, 7, v21
; %bb.368:                              ;   in Loop: Header=BB303_16 Depth=1
	s_or_b32 exec_lo, exec_lo, s52
	v_lshlrev_b32_e32 v3, 8, v3
	v_lshl_add_u32 v21, v73, 10, 0x2000
	v_lshlrev_b32_e32 v16, 23, v16
	v_and_or_b32 v3, 0x8000, v3, v21
	v_lshl_or_b32 v73, v3, 16, v16
.LBB303_369:                            ;   in Loop: Header=BB303_16 Depth=1
	s_or_b32 exec_lo, exec_lo, s51
.LBB303_370:                            ;   in Loop: Header=BB303_16 Depth=1
	s_or_b32 exec_lo, exec_lo, s50
.LBB303_371:                            ;   in Loop: Header=BB303_16 Depth=1
	s_or_b32 exec_lo, exec_lo, s49
	v_mov_b32_e32 v3, v12
	v_cmp_ne_u16_sdwa s1, v12, v4 src0_sel:BYTE_0 src1_sel:DWORD
	s_and_saveexec_b32 s49, s1
	s_cbranch_execz .LBB303_379
; %bb.372:                              ;   in Loop: Header=BB303_16 Depth=1
	v_cmp_ne_u16_sdwa s1, v12, v20 src0_sel:BYTE_0 src1_sel:DWORD
	v_mov_b32_e32 v72, 0x8000
	s_and_saveexec_b32 s50, s1
	s_cbranch_execz .LBB303_378
; %bb.373:                              ;   in Loop: Header=BB303_16 Depth=1
	v_and_b32_e32 v74, 0x7f, v12
	v_mov_b32_e32 v72, 0x7c01
	s_mov_b32 s51, exec_lo
	v_cmpx_ne_u32_e32 0x7f, v74
	s_cbranch_execz .LBB303_377
; %bb.374:                              ;   in Loop: Header=BB303_16 Depth=1
	v_and_b32_e32 v16, 7, v12
	v_lshrrev_b32_e32 v72, 3, v74
	s_mov_b32 s52, exec_lo
	v_cmpx_gt_u32_e32 8, v74
; %bb.375:                              ;   in Loop: Header=BB303_16 Depth=1
	v_ffbh_u32_e32 v16, v16
	v_min_u32_e32 v16, 32, v16
	v_subrev_nc_u32_e32 v21, 28, v16
	v_sub_nc_u32_e32 v72, 29, v16
	v_lshlrev_b64 v[21:22], v21, v[3:4]
	v_and_b32_e32 v16, 7, v21
; %bb.376:                              ;   in Loop: Header=BB303_16 Depth=1
	s_or_b32 exec_lo, exec_lo, s52
	v_lshlrev_b32_e32 v21, 8, v12
	v_lshl_add_u32 v22, v72, 10, 0x2000
	v_lshlrev_b32_e32 v16, 7, v16
	v_and_b32_e32 v21, 0x8000, v21
	v_and_b32_e32 v22, 0xfc00, v22
	v_or3_b32 v72, v21, v22, v16
.LBB303_377:                            ;   in Loop: Header=BB303_16 Depth=1
	s_or_b32 exec_lo, exec_lo, s51
.LBB303_378:                            ;   in Loop: Header=BB303_16 Depth=1
	s_or_b32 exec_lo, exec_lo, s50
.LBB303_379:                            ;   in Loop: Header=BB303_16 Depth=1
	s_or_b32 exec_lo, exec_lo, s49
	v_lshrrev_b16 v3, 8, v3
	v_mov_b32_e32 v76, 0
	v_mov_b32_e32 v75, 0
	s_mov_b32 s49, exec_lo
	v_cmpx_ne_u16_e32 0, v3
	s_cbranch_execz .LBB303_387
; %bb.380:                              ;   in Loop: Header=BB303_16 Depth=1
	v_bfrev_b32_e32 v75, 1
	s_mov_b32 s50, exec_lo
	v_cmpx_ne_u16_e32 0x80, v3
	s_cbranch_execz .LBB303_386
; %bb.381:                              ;   in Loop: Header=BB303_16 Depth=1
	v_and_b32_sdwa v77, v3, v13 dst_sel:DWORD dst_unused:UNUSED_PAD src0_sel:WORD_0 src1_sel:DWORD
	v_mov_b32_e32 v75, 0x7c010000
	s_mov_b32 s51, exec_lo
	v_cmpx_ne_u32_e32 0x7f, v77
	s_cbranch_execz .LBB303_385
; %bb.382:                              ;   in Loop: Header=BB303_16 Depth=1
	v_and_b32_sdwa v16, v3, v14 dst_sel:DWORD dst_unused:UNUSED_PAD src0_sel:WORD_0 src1_sel:DWORD
	v_lshrrev_b32_e32 v74, 3, v77
	s_mov_b32 s52, exec_lo
	v_cmpx_gt_u32_e32 8, v77
; %bb.383:                              ;   in Loop: Header=BB303_16 Depth=1
	v_ffbh_u32_e32 v16, v16
	v_min_u32_e32 v16, 32, v16
	v_subrev_nc_u32_e32 v21, 28, v16
	v_sub_nc_u32_e32 v74, 29, v16
	v_lshlrev_b64 v[21:22], v21, v[3:4]
	v_and_b32_e32 v16, 7, v21
; %bb.384:                              ;   in Loop: Header=BB303_16 Depth=1
	s_or_b32 exec_lo, exec_lo, s52
	v_lshlrev_b32_sdwa v3, v19, v3 dst_sel:DWORD dst_unused:UNUSED_PAD src0_sel:DWORD src1_sel:WORD_0
	v_lshl_add_u32 v21, v74, 10, 0x2000
	v_lshlrev_b32_e32 v16, 23, v16
	v_and_or_b32 v3, 0x8000, v3, v21
	v_lshl_or_b32 v75, v3, 16, v16
.LBB303_385:                            ;   in Loop: Header=BB303_16 Depth=1
	s_or_b32 exec_lo, exec_lo, s51
.LBB303_386:                            ;   in Loop: Header=BB303_16 Depth=1
	s_or_b32 exec_lo, exec_lo, s50
.LBB303_387:                            ;   in Loop: Header=BB303_16 Depth=1
	s_or_b32 exec_lo, exec_lo, s49
	v_lshrrev_b32_e32 v3, 16, v12
	v_cmp_ne_u16_sdwa s1, v3, v4 src0_sel:BYTE_0 src1_sel:DWORD
	s_and_saveexec_b32 s49, s1
	s_cbranch_execz .LBB303_395
; %bb.388:                              ;   in Loop: Header=BB303_16 Depth=1
	v_cmp_ne_u16_sdwa s1, v3, v20 src0_sel:BYTE_0 src1_sel:DWORD
	v_mov_b32_e32 v76, 0x8000
	s_and_saveexec_b32 s50, s1
	s_cbranch_execz .LBB303_394
; %bb.389:                              ;   in Loop: Header=BB303_16 Depth=1
	v_bfe_u32 v77, v12, 16, 7
	v_mov_b32_e32 v76, 0x7c01
	s_mov_b32 s51, exec_lo
	v_cmpx_ne_u32_e32 0x7f, v77
	s_cbranch_execz .LBB303_393
; %bb.390:                              ;   in Loop: Header=BB303_16 Depth=1
	v_and_b32_e32 v16, 7, v3
	v_lshrrev_b32_e32 v74, 3, v77
	s_mov_b32 s52, exec_lo
	v_cmpx_gt_u32_e32 8, v77
; %bb.391:                              ;   in Loop: Header=BB303_16 Depth=1
	v_ffbh_u32_e32 v16, v16
	v_min_u32_e32 v16, 32, v16
	v_subrev_nc_u32_e32 v21, 28, v16
	v_sub_nc_u32_e32 v74, 29, v16
	v_lshlrev_b64 v[21:22], v21, v[3:4]
	v_and_b32_e32 v16, 7, v21
; %bb.392:                              ;   in Loop: Header=BB303_16 Depth=1
	s_or_b32 exec_lo, exec_lo, s52
	v_lshlrev_b32_e32 v3, 8, v3
	v_lshl_add_u32 v21, v74, 10, 0x2000
	v_lshlrev_b32_e32 v16, 7, v16
	v_and_b32_e32 v3, 0x8000, v3
	v_and_b32_e32 v21, 0xfc00, v21
	v_or3_b32 v76, v3, v21, v16
.LBB303_393:                            ;   in Loop: Header=BB303_16 Depth=1
	s_or_b32 exec_lo, exec_lo, s51
.LBB303_394:                            ;   in Loop: Header=BB303_16 Depth=1
	s_or_b32 exec_lo, exec_lo, s50
.LBB303_395:                            ;   in Loop: Header=BB303_16 Depth=1
	s_or_b32 exec_lo, exec_lo, s49
	v_mov_b32_e32 v74, 0
	v_mov_b32_e32 v79, 0
	s_mov_b32 s49, exec_lo
	v_cmpx_lt_u64_e64 s[4:5], v[11:12]
	s_cbranch_execz .LBB303_403
; %bb.396:                              ;   in Loop: Header=BB303_16 Depth=1
	v_lshrrev_b32_e32 v3, 24, v12
	v_bfrev_b32_e32 v79, 1
	s_mov_b32 s50, exec_lo
	v_cmpx_ne_u32_e32 0x80, v3
	s_cbranch_execz .LBB303_402
; %bb.397:                              ;   in Loop: Header=BB303_16 Depth=1
	v_and_b32_e32 v16, 0x7f, v3
	v_mov_b32_e32 v79, 0x7c010000
	s_mov_b32 s51, exec_lo
	v_cmpx_ne_u32_e32 0x7f, v16
	s_cbranch_execz .LBB303_401
; %bb.398:                              ;   in Loop: Header=BB303_16 Depth=1
	v_and_b32_e32 v11, 7, v3
	v_lshrrev_b32_e32 v12, 3, v16
	s_mov_b32 s52, exec_lo
	v_cmpx_gt_u32_e32 8, v16
; %bb.399:                              ;   in Loop: Header=BB303_16 Depth=1
	v_ffbh_u32_e32 v11, v11
	v_min_u32_e32 v16, 32, v11
	v_subrev_nc_u32_e32 v11, 28, v16
	v_lshlrev_b64 v[11:12], v11, v[3:4]
	v_sub_nc_u32_e32 v12, 29, v16
	v_and_b32_e32 v11, 7, v11
; %bb.400:                              ;   in Loop: Header=BB303_16 Depth=1
	s_or_b32 exec_lo, exec_lo, s52
	v_lshlrev_b32_e32 v3, 8, v3
	v_lshl_add_u32 v12, v12, 10, 0x2000
	v_lshlrev_b32_e32 v11, 23, v11
	v_and_or_b32 v3, 0x8000, v3, v12
	v_lshl_or_b32 v79, v3, 16, v11
.LBB303_401:                            ;   in Loop: Header=BB303_16 Depth=1
	s_or_b32 exec_lo, exec_lo, s51
.LBB303_402:                            ;   in Loop: Header=BB303_16 Depth=1
	s_or_b32 exec_lo, exec_lo, s50
.LBB303_403:                            ;   in Loop: Header=BB303_16 Depth=1
	s_or_b32 exec_lo, exec_lo, s49
	global_load_dwordx2 v[11:12], v[9:10], off offset:1536
	s_waitcnt vmcnt(0)
	v_cmp_ne_u16_sdwa s1, v11, v4 src0_sel:BYTE_0 src1_sel:DWORD
	s_and_saveexec_b32 s49, s1
	s_cbranch_execz .LBB303_411
; %bb.404:                              ;   in Loop: Header=BB303_16 Depth=1
	v_cmp_ne_u16_sdwa s1, v11, v20 src0_sel:BYTE_0 src1_sel:DWORD
	v_mov_b32_e32 v74, 0x8000
	s_and_saveexec_b32 s50, s1
	s_cbranch_execz .LBB303_410
; %bb.405:                              ;   in Loop: Header=BB303_16 Depth=1
	v_and_b32_e32 v77, 0x7f, v11
	v_mov_b32_e32 v74, 0x7c01
	s_mov_b32 s51, exec_lo
	v_cmpx_ne_u32_e32 0x7f, v77
	s_cbranch_execz .LBB303_409
; %bb.406:                              ;   in Loop: Header=BB303_16 Depth=1
	v_and_b32_e32 v3, 7, v11
	v_lshrrev_b32_e32 v16, 3, v77
	s_mov_b32 s52, exec_lo
	v_cmpx_gt_u32_e32 8, v77
; %bb.407:                              ;   in Loop: Header=BB303_16 Depth=1
	v_ffbh_u32_e32 v3, v3
	v_min_u32_e32 v3, 32, v3
	v_subrev_nc_u32_e32 v16, 28, v3
	v_lshlrev_b64 v[21:22], v16, v[11:12]
	v_sub_nc_u32_e32 v16, 29, v3
	v_and_b32_e32 v3, 7, v21
; %bb.408:                              ;   in Loop: Header=BB303_16 Depth=1
	s_or_b32 exec_lo, exec_lo, s52
	v_lshlrev_b32_e32 v21, 8, v11
	v_lshl_add_u32 v16, v16, 10, 0x2000
	v_lshlrev_b32_e32 v3, 7, v3
	v_and_b32_e32 v21, 0x8000, v21
	v_and_b32_e32 v16, 0xfc00, v16
	v_or3_b32 v74, v21, v16, v3
.LBB303_409:                            ;   in Loop: Header=BB303_16 Depth=1
	s_or_b32 exec_lo, exec_lo, s51
.LBB303_410:                            ;   in Loop: Header=BB303_16 Depth=1
	s_or_b32 exec_lo, exec_lo, s50
.LBB303_411:                            ;   in Loop: Header=BB303_16 Depth=1
	s_or_b32 exec_lo, exec_lo, s49
	v_lshrrev_b16 v3, 8, v11
	v_mov_b32_e32 v78, 0
	v_mov_b32_e32 v77, 0
	s_mov_b32 s49, exec_lo
	v_cmpx_ne_u16_e32 0, v3
	s_cbranch_execz .LBB303_419
; %bb.412:                              ;   in Loop: Header=BB303_16 Depth=1
	v_bfrev_b32_e32 v77, 1
	s_mov_b32 s50, exec_lo
	v_cmpx_ne_u16_e32 0x80, v3
	s_cbranch_execz .LBB303_418
; %bb.413:                              ;   in Loop: Header=BB303_16 Depth=1
	v_and_b32_sdwa v80, v3, v13 dst_sel:DWORD dst_unused:UNUSED_PAD src0_sel:WORD_0 src1_sel:DWORD
	v_mov_b32_e32 v77, 0x7c010000
	s_mov_b32 s51, exec_lo
	v_cmpx_ne_u32_e32 0x7f, v80
	s_cbranch_execz .LBB303_417
; %bb.414:                              ;   in Loop: Header=BB303_16 Depth=1
	v_and_b32_sdwa v16, v3, v14 dst_sel:DWORD dst_unused:UNUSED_PAD src0_sel:WORD_0 src1_sel:DWORD
	v_lshrrev_b32_e32 v77, 3, v80
	s_mov_b32 s52, exec_lo
	v_cmpx_gt_u32_e32 8, v80
; %bb.415:                              ;   in Loop: Header=BB303_16 Depth=1
	v_ffbh_u32_e32 v16, v16
	v_min_u32_e32 v16, 32, v16
	v_subrev_nc_u32_e32 v21, 28, v16
	v_sub_nc_u32_e32 v77, 29, v16
	v_lshlrev_b64 v[21:22], v21, v[3:4]
	v_and_b32_e32 v16, 7, v21
; %bb.416:                              ;   in Loop: Header=BB303_16 Depth=1
	s_or_b32 exec_lo, exec_lo, s52
	v_lshlrev_b32_sdwa v3, v19, v3 dst_sel:DWORD dst_unused:UNUSED_PAD src0_sel:DWORD src1_sel:WORD_0
	v_lshl_add_u32 v21, v77, 10, 0x2000
	v_lshlrev_b32_e32 v16, 23, v16
	v_and_or_b32 v3, 0x8000, v3, v21
	v_lshl_or_b32 v77, v3, 16, v16
.LBB303_417:                            ;   in Loop: Header=BB303_16 Depth=1
	s_or_b32 exec_lo, exec_lo, s51
.LBB303_418:                            ;   in Loop: Header=BB303_16 Depth=1
	s_or_b32 exec_lo, exec_lo, s50
.LBB303_419:                            ;   in Loop: Header=BB303_16 Depth=1
	s_or_b32 exec_lo, exec_lo, s49
	v_lshrrev_b32_e32 v3, 16, v11
	v_cmp_ne_u16_sdwa s1, v3, v4 src0_sel:BYTE_0 src1_sel:DWORD
	s_and_saveexec_b32 s49, s1
	s_cbranch_execz .LBB303_427
; %bb.420:                              ;   in Loop: Header=BB303_16 Depth=1
	v_cmp_ne_u16_sdwa s1, v3, v20 src0_sel:BYTE_0 src1_sel:DWORD
	v_mov_b32_e32 v78, 0x8000
	s_and_saveexec_b32 s50, s1
	s_cbranch_execz .LBB303_426
; %bb.421:                              ;   in Loop: Header=BB303_16 Depth=1
	v_bfe_u32 v80, v11, 16, 7
	v_mov_b32_e32 v78, 0x7c01
	s_mov_b32 s51, exec_lo
	v_cmpx_ne_u32_e32 0x7f, v80
	s_cbranch_execz .LBB303_425
; %bb.422:                              ;   in Loop: Header=BB303_16 Depth=1
	v_and_b32_e32 v16, 7, v3
	v_lshrrev_b32_e32 v78, 3, v80
	s_mov_b32 s52, exec_lo
	v_cmpx_gt_u32_e32 8, v80
; %bb.423:                              ;   in Loop: Header=BB303_16 Depth=1
	v_ffbh_u32_e32 v16, v16
	v_min_u32_e32 v16, 32, v16
	v_subrev_nc_u32_e32 v21, 28, v16
	v_sub_nc_u32_e32 v78, 29, v16
	v_lshlrev_b64 v[21:22], v21, v[3:4]
	v_and_b32_e32 v16, 7, v21
; %bb.424:                              ;   in Loop: Header=BB303_16 Depth=1
	s_or_b32 exec_lo, exec_lo, s52
	v_lshlrev_b32_e32 v3, 8, v3
	v_lshl_add_u32 v21, v78, 10, 0x2000
	v_lshlrev_b32_e32 v16, 7, v16
	v_and_b32_e32 v3, 0x8000, v3
	v_and_b32_e32 v21, 0xfc00, v21
	v_or3_b32 v78, v3, v21, v16
.LBB303_425:                            ;   in Loop: Header=BB303_16 Depth=1
	s_or_b32 exec_lo, exec_lo, s51
.LBB303_426:                            ;   in Loop: Header=BB303_16 Depth=1
	s_or_b32 exec_lo, exec_lo, s50
.LBB303_427:                            ;   in Loop: Header=BB303_16 Depth=1
	s_or_b32 exec_lo, exec_lo, s49
	v_mov_b32_e32 v80, 0
	v_mov_b32_e32 v81, 0
	s_mov_b32 s49, exec_lo
	v_cmpx_lt_u32_e32 0xffffff, v11
	s_cbranch_execz .LBB303_435
; %bb.428:                              ;   in Loop: Header=BB303_16 Depth=1
	v_lshrrev_b32_e32 v3, 24, v11
	v_bfrev_b32_e32 v81, 1
	s_mov_b32 s50, exec_lo
	v_cmpx_ne_u32_e32 0x80, v3
	s_cbranch_execz .LBB303_434
; %bb.429:                              ;   in Loop: Header=BB303_16 Depth=1
	v_and_b32_e32 v82, 0x7f, v3
	v_mov_b32_e32 v81, 0x7c010000
	s_mov_b32 s51, exec_lo
	v_cmpx_ne_u32_e32 0x7f, v82
	s_cbranch_execz .LBB303_433
; %bb.430:                              ;   in Loop: Header=BB303_16 Depth=1
	v_and_b32_e32 v16, 7, v3
	v_lshrrev_b32_e32 v81, 3, v82
	s_mov_b32 s52, exec_lo
	v_cmpx_gt_u32_e32 8, v82
; %bb.431:                              ;   in Loop: Header=BB303_16 Depth=1
	v_ffbh_u32_e32 v16, v16
	v_min_u32_e32 v16, 32, v16
	v_subrev_nc_u32_e32 v21, 28, v16
	v_sub_nc_u32_e32 v81, 29, v16
	v_lshlrev_b64 v[21:22], v21, v[3:4]
	v_and_b32_e32 v16, 7, v21
; %bb.432:                              ;   in Loop: Header=BB303_16 Depth=1
	s_or_b32 exec_lo, exec_lo, s52
	v_lshlrev_b32_e32 v3, 8, v3
	v_lshl_add_u32 v21, v81, 10, 0x2000
	v_lshlrev_b32_e32 v16, 23, v16
	v_and_or_b32 v3, 0x8000, v3, v21
	v_lshl_or_b32 v81, v3, 16, v16
.LBB303_433:                            ;   in Loop: Header=BB303_16 Depth=1
	s_or_b32 exec_lo, exec_lo, s51
.LBB303_434:                            ;   in Loop: Header=BB303_16 Depth=1
	s_or_b32 exec_lo, exec_lo, s50
.LBB303_435:                            ;   in Loop: Header=BB303_16 Depth=1
	s_or_b32 exec_lo, exec_lo, s49
	v_mov_b32_e32 v3, v12
	v_cmp_ne_u16_sdwa s1, v12, v4 src0_sel:BYTE_0 src1_sel:DWORD
	s_and_saveexec_b32 s49, s1
	s_cbranch_execz .LBB303_443
; %bb.436:                              ;   in Loop: Header=BB303_16 Depth=1
	v_cmp_ne_u16_sdwa s1, v12, v20 src0_sel:BYTE_0 src1_sel:DWORD
	v_mov_b32_e32 v80, 0x8000
	s_and_saveexec_b32 s50, s1
	s_cbranch_execz .LBB303_442
; %bb.437:                              ;   in Loop: Header=BB303_16 Depth=1
	v_and_b32_e32 v82, 0x7f, v12
	v_mov_b32_e32 v80, 0x7c01
	s_mov_b32 s51, exec_lo
	v_cmpx_ne_u32_e32 0x7f, v82
	s_cbranch_execz .LBB303_441
; %bb.438:                              ;   in Loop: Header=BB303_16 Depth=1
	v_and_b32_e32 v16, 7, v12
	v_lshrrev_b32_e32 v80, 3, v82
	s_mov_b32 s52, exec_lo
	v_cmpx_gt_u32_e32 8, v82
; %bb.439:                              ;   in Loop: Header=BB303_16 Depth=1
	v_ffbh_u32_e32 v16, v16
	v_min_u32_e32 v16, 32, v16
	v_subrev_nc_u32_e32 v21, 28, v16
	v_sub_nc_u32_e32 v80, 29, v16
	v_lshlrev_b64 v[21:22], v21, v[3:4]
	v_and_b32_e32 v16, 7, v21
; %bb.440:                              ;   in Loop: Header=BB303_16 Depth=1
	s_or_b32 exec_lo, exec_lo, s52
	v_lshlrev_b32_e32 v21, 8, v12
	v_lshl_add_u32 v22, v80, 10, 0x2000
	v_lshlrev_b32_e32 v16, 7, v16
	v_and_b32_e32 v21, 0x8000, v21
	v_and_b32_e32 v22, 0xfc00, v22
	v_or3_b32 v80, v21, v22, v16
.LBB303_441:                            ;   in Loop: Header=BB303_16 Depth=1
	s_or_b32 exec_lo, exec_lo, s51
.LBB303_442:                            ;   in Loop: Header=BB303_16 Depth=1
	s_or_b32 exec_lo, exec_lo, s50
.LBB303_443:                            ;   in Loop: Header=BB303_16 Depth=1
	s_or_b32 exec_lo, exec_lo, s49
	v_lshrrev_b16 v3, 8, v3
	v_mov_b32_e32 v83, 0
	v_mov_b32_e32 v82, 0
	s_mov_b32 s49, exec_lo
	v_cmpx_ne_u16_e32 0, v3
	s_cbranch_execz .LBB303_451
; %bb.444:                              ;   in Loop: Header=BB303_16 Depth=1
	v_bfrev_b32_e32 v82, 1
	s_mov_b32 s50, exec_lo
	v_cmpx_ne_u16_e32 0x80, v3
	s_cbranch_execz .LBB303_450
; %bb.445:                              ;   in Loop: Header=BB303_16 Depth=1
	v_and_b32_sdwa v84, v3, v13 dst_sel:DWORD dst_unused:UNUSED_PAD src0_sel:WORD_0 src1_sel:DWORD
	v_mov_b32_e32 v82, 0x7c010000
	s_mov_b32 s51, exec_lo
	v_cmpx_ne_u32_e32 0x7f, v84
	s_cbranch_execz .LBB303_449
; %bb.446:                              ;   in Loop: Header=BB303_16 Depth=1
	v_and_b32_sdwa v16, v3, v14 dst_sel:DWORD dst_unused:UNUSED_PAD src0_sel:WORD_0 src1_sel:DWORD
	v_lshrrev_b32_e32 v82, 3, v84
	s_mov_b32 s52, exec_lo
	v_cmpx_gt_u32_e32 8, v84
; %bb.447:                              ;   in Loop: Header=BB303_16 Depth=1
	v_ffbh_u32_e32 v16, v16
	v_min_u32_e32 v16, 32, v16
	v_subrev_nc_u32_e32 v21, 28, v16
	v_sub_nc_u32_e32 v82, 29, v16
	v_lshlrev_b64 v[21:22], v21, v[3:4]
	v_and_b32_e32 v16, 7, v21
; %bb.448:                              ;   in Loop: Header=BB303_16 Depth=1
	s_or_b32 exec_lo, exec_lo, s52
	v_lshlrev_b32_sdwa v3, v19, v3 dst_sel:DWORD dst_unused:UNUSED_PAD src0_sel:DWORD src1_sel:WORD_0
	v_lshl_add_u32 v21, v82, 10, 0x2000
	v_lshlrev_b32_e32 v16, 23, v16
	v_and_or_b32 v3, 0x8000, v3, v21
	v_lshl_or_b32 v82, v3, 16, v16
.LBB303_449:                            ;   in Loop: Header=BB303_16 Depth=1
	s_or_b32 exec_lo, exec_lo, s51
.LBB303_450:                            ;   in Loop: Header=BB303_16 Depth=1
	s_or_b32 exec_lo, exec_lo, s50
.LBB303_451:                            ;   in Loop: Header=BB303_16 Depth=1
	s_or_b32 exec_lo, exec_lo, s49
	v_lshrrev_b32_e32 v3, 16, v12
	v_cmp_ne_u16_sdwa s1, v3, v4 src0_sel:BYTE_0 src1_sel:DWORD
	s_and_saveexec_b32 s49, s1
	s_cbranch_execz .LBB303_459
; %bb.452:                              ;   in Loop: Header=BB303_16 Depth=1
	v_cmp_ne_u16_sdwa s1, v3, v20 src0_sel:BYTE_0 src1_sel:DWORD
	v_mov_b32_e32 v83, 0x8000
	s_and_saveexec_b32 s50, s1
	s_cbranch_execz .LBB303_458
; %bb.453:                              ;   in Loop: Header=BB303_16 Depth=1
	v_bfe_u32 v84, v12, 16, 7
	v_mov_b32_e32 v83, 0x7c01
	s_mov_b32 s51, exec_lo
	v_cmpx_ne_u32_e32 0x7f, v84
	s_cbranch_execz .LBB303_457
; %bb.454:                              ;   in Loop: Header=BB303_16 Depth=1
	v_and_b32_e32 v16, 7, v3
	v_lshrrev_b32_e32 v83, 3, v84
	s_mov_b32 s52, exec_lo
	v_cmpx_gt_u32_e32 8, v84
; %bb.455:                              ;   in Loop: Header=BB303_16 Depth=1
	v_ffbh_u32_e32 v16, v16
	v_min_u32_e32 v16, 32, v16
	v_subrev_nc_u32_e32 v21, 28, v16
	v_sub_nc_u32_e32 v83, 29, v16
	v_lshlrev_b64 v[21:22], v21, v[3:4]
	v_and_b32_e32 v16, 7, v21
; %bb.456:                              ;   in Loop: Header=BB303_16 Depth=1
	s_or_b32 exec_lo, exec_lo, s52
	v_lshlrev_b32_e32 v3, 8, v3
	v_lshl_add_u32 v21, v83, 10, 0x2000
	v_lshlrev_b32_e32 v16, 7, v16
	v_and_b32_e32 v3, 0x8000, v3
	v_and_b32_e32 v21, 0xfc00, v21
	v_or3_b32 v83, v3, v21, v16
.LBB303_457:                            ;   in Loop: Header=BB303_16 Depth=1
	s_or_b32 exec_lo, exec_lo, s51
.LBB303_458:                            ;   in Loop: Header=BB303_16 Depth=1
	s_or_b32 exec_lo, exec_lo, s50
.LBB303_459:                            ;   in Loop: Header=BB303_16 Depth=1
	s_or_b32 exec_lo, exec_lo, s49
	v_mov_b32_e32 v87, 0
	v_mov_b32_e32 v84, 0
	s_mov_b32 s49, exec_lo
	v_cmpx_lt_u64_e64 s[4:5], v[11:12]
	s_cbranch_execz .LBB303_467
; %bb.460:                              ;   in Loop: Header=BB303_16 Depth=1
	v_lshrrev_b32_e32 v3, 24, v12
	v_bfrev_b32_e32 v84, 1
	s_mov_b32 s50, exec_lo
	v_cmpx_ne_u32_e32 0x80, v3
	s_cbranch_execz .LBB303_466
; %bb.461:                              ;   in Loop: Header=BB303_16 Depth=1
	v_and_b32_e32 v16, 0x7f, v3
	v_mov_b32_e32 v84, 0x7c010000
	s_mov_b32 s51, exec_lo
	v_cmpx_ne_u32_e32 0x7f, v16
	s_cbranch_execz .LBB303_465
; %bb.462:                              ;   in Loop: Header=BB303_16 Depth=1
	v_and_b32_e32 v11, 7, v3
	v_lshrrev_b32_e32 v12, 3, v16
	s_mov_b32 s52, exec_lo
	v_cmpx_gt_u32_e32 8, v16
; %bb.463:                              ;   in Loop: Header=BB303_16 Depth=1
	v_ffbh_u32_e32 v11, v11
	v_min_u32_e32 v16, 32, v11
	v_subrev_nc_u32_e32 v11, 28, v16
	v_lshlrev_b64 v[11:12], v11, v[3:4]
	v_sub_nc_u32_e32 v12, 29, v16
	v_and_b32_e32 v11, 7, v11
; %bb.464:                              ;   in Loop: Header=BB303_16 Depth=1
	s_or_b32 exec_lo, exec_lo, s52
	v_lshlrev_b32_e32 v3, 8, v3
	v_lshl_add_u32 v12, v12, 10, 0x2000
	v_lshlrev_b32_e32 v11, 23, v11
	v_and_or_b32 v3, 0x8000, v3, v12
	v_lshl_or_b32 v84, v3, 16, v11
.LBB303_465:                            ;   in Loop: Header=BB303_16 Depth=1
	s_or_b32 exec_lo, exec_lo, s51
.LBB303_466:                            ;   in Loop: Header=BB303_16 Depth=1
	s_or_b32 exec_lo, exec_lo, s50
.LBB303_467:                            ;   in Loop: Header=BB303_16 Depth=1
	s_or_b32 exec_lo, exec_lo, s49
	global_load_dwordx2 v[11:12], v[9:10], off offset:1544
	s_waitcnt vmcnt(0)
	v_cmp_ne_u16_sdwa s1, v11, v4 src0_sel:BYTE_0 src1_sel:DWORD
	s_and_saveexec_b32 s49, s1
	s_cbranch_execz .LBB303_475
; %bb.468:                              ;   in Loop: Header=BB303_16 Depth=1
	v_cmp_ne_u16_sdwa s1, v11, v20 src0_sel:BYTE_0 src1_sel:DWORD
	v_mov_b32_e32 v87, 0x8000
	s_and_saveexec_b32 s50, s1
	s_cbranch_execz .LBB303_474
; %bb.469:                              ;   in Loop: Header=BB303_16 Depth=1
	v_and_b32_e32 v85, 0x7f, v11
	v_mov_b32_e32 v87, 0x7c01
	s_mov_b32 s51, exec_lo
	v_cmpx_ne_u32_e32 0x7f, v85
	s_cbranch_execz .LBB303_473
; %bb.470:                              ;   in Loop: Header=BB303_16 Depth=1
	v_and_b32_e32 v3, 7, v11
	v_lshrrev_b32_e32 v16, 3, v85
	s_mov_b32 s52, exec_lo
	v_cmpx_gt_u32_e32 8, v85
; %bb.471:                              ;   in Loop: Header=BB303_16 Depth=1
	v_ffbh_u32_e32 v3, v3
	v_min_u32_e32 v3, 32, v3
	v_subrev_nc_u32_e32 v16, 28, v3
	v_lshlrev_b64 v[21:22], v16, v[11:12]
	v_sub_nc_u32_e32 v16, 29, v3
	v_and_b32_e32 v3, 7, v21
; %bb.472:                              ;   in Loop: Header=BB303_16 Depth=1
	s_or_b32 exec_lo, exec_lo, s52
	v_lshlrev_b32_e32 v21, 8, v11
	v_lshl_add_u32 v16, v16, 10, 0x2000
	v_lshlrev_b32_e32 v3, 7, v3
	v_and_b32_e32 v21, 0x8000, v21
	v_and_b32_e32 v16, 0xfc00, v16
	v_or3_b32 v87, v21, v16, v3
.LBB303_473:                            ;   in Loop: Header=BB303_16 Depth=1
	s_or_b32 exec_lo, exec_lo, s51
.LBB303_474:                            ;   in Loop: Header=BB303_16 Depth=1
	s_or_b32 exec_lo, exec_lo, s50
.LBB303_475:                            ;   in Loop: Header=BB303_16 Depth=1
	s_or_b32 exec_lo, exec_lo, s49
	v_lshrrev_b16 v3, 8, v11
	v_mov_b32_e32 v91, 0
	v_mov_b32_e32 v85, 0
	s_mov_b32 s49, exec_lo
	v_cmpx_ne_u16_e32 0, v3
	s_cbranch_execz .LBB303_483
; %bb.476:                              ;   in Loop: Header=BB303_16 Depth=1
	v_bfrev_b32_e32 v85, 1
	s_mov_b32 s50, exec_lo
	v_cmpx_ne_u16_e32 0x80, v3
	s_cbranch_execz .LBB303_482
; %bb.477:                              ;   in Loop: Header=BB303_16 Depth=1
	v_and_b32_sdwa v86, v3, v13 dst_sel:DWORD dst_unused:UNUSED_PAD src0_sel:WORD_0 src1_sel:DWORD
	v_mov_b32_e32 v85, 0x7c010000
	s_mov_b32 s51, exec_lo
	v_cmpx_ne_u32_e32 0x7f, v86
	s_cbranch_execz .LBB303_481
; %bb.478:                              ;   in Loop: Header=BB303_16 Depth=1
	v_and_b32_sdwa v16, v3, v14 dst_sel:DWORD dst_unused:UNUSED_PAD src0_sel:WORD_0 src1_sel:DWORD
	v_lshrrev_b32_e32 v85, 3, v86
	s_mov_b32 s52, exec_lo
	v_cmpx_gt_u32_e32 8, v86
; %bb.479:                              ;   in Loop: Header=BB303_16 Depth=1
	v_ffbh_u32_e32 v16, v16
	v_min_u32_e32 v16, 32, v16
	v_subrev_nc_u32_e32 v21, 28, v16
	v_sub_nc_u32_e32 v85, 29, v16
	v_lshlrev_b64 v[21:22], v21, v[3:4]
	v_and_b32_e32 v16, 7, v21
; %bb.480:                              ;   in Loop: Header=BB303_16 Depth=1
	s_or_b32 exec_lo, exec_lo, s52
	v_lshlrev_b32_sdwa v3, v19, v3 dst_sel:DWORD dst_unused:UNUSED_PAD src0_sel:DWORD src1_sel:WORD_0
	v_lshl_add_u32 v21, v85, 10, 0x2000
	v_lshlrev_b32_e32 v16, 23, v16
	v_and_or_b32 v3, 0x8000, v3, v21
	v_lshl_or_b32 v85, v3, 16, v16
.LBB303_481:                            ;   in Loop: Header=BB303_16 Depth=1
	s_or_b32 exec_lo, exec_lo, s51
.LBB303_482:                            ;   in Loop: Header=BB303_16 Depth=1
	s_or_b32 exec_lo, exec_lo, s50
.LBB303_483:                            ;   in Loop: Header=BB303_16 Depth=1
	s_or_b32 exec_lo, exec_lo, s49
	v_lshrrev_b32_e32 v3, 16, v11
	v_cmp_ne_u16_sdwa s1, v3, v4 src0_sel:BYTE_0 src1_sel:DWORD
	s_and_saveexec_b32 s49, s1
	s_cbranch_execz .LBB303_491
; %bb.484:                              ;   in Loop: Header=BB303_16 Depth=1
	v_cmp_ne_u16_sdwa s1, v3, v20 src0_sel:BYTE_0 src1_sel:DWORD
	v_mov_b32_e32 v91, 0x8000
	s_and_saveexec_b32 s50, s1
	s_cbranch_execz .LBB303_490
; %bb.485:                              ;   in Loop: Header=BB303_16 Depth=1
	v_bfe_u32 v88, v11, 16, 7
	v_mov_b32_e32 v91, 0x7c01
	s_mov_b32 s51, exec_lo
	v_cmpx_ne_u32_e32 0x7f, v88
	s_cbranch_execz .LBB303_489
; %bb.486:                              ;   in Loop: Header=BB303_16 Depth=1
	v_and_b32_e32 v16, 7, v3
	v_lshrrev_b32_e32 v86, 3, v88
	s_mov_b32 s52, exec_lo
	v_cmpx_gt_u32_e32 8, v88
; %bb.487:                              ;   in Loop: Header=BB303_16 Depth=1
	v_ffbh_u32_e32 v16, v16
	v_min_u32_e32 v16, 32, v16
	v_subrev_nc_u32_e32 v21, 28, v16
	v_sub_nc_u32_e32 v86, 29, v16
	v_lshlrev_b64 v[21:22], v21, v[3:4]
	v_and_b32_e32 v16, 7, v21
; %bb.488:                              ;   in Loop: Header=BB303_16 Depth=1
	s_or_b32 exec_lo, exec_lo, s52
	v_lshlrev_b32_e32 v3, 8, v3
	v_lshl_add_u32 v21, v86, 10, 0x2000
	v_lshlrev_b32_e32 v16, 7, v16
	v_and_b32_e32 v3, 0x8000, v3
	v_and_b32_e32 v21, 0xfc00, v21
	v_or3_b32 v91, v3, v21, v16
.LBB303_489:                            ;   in Loop: Header=BB303_16 Depth=1
	s_or_b32 exec_lo, exec_lo, s51
.LBB303_490:                            ;   in Loop: Header=BB303_16 Depth=1
	s_or_b32 exec_lo, exec_lo, s50
.LBB303_491:                            ;   in Loop: Header=BB303_16 Depth=1
	s_or_b32 exec_lo, exec_lo, s49
	v_mov_b32_e32 v88, 0
	v_mov_b32_e32 v89, 0
	s_mov_b32 s49, exec_lo
	v_cmpx_lt_u32_e32 0xffffff, v11
	s_cbranch_execz .LBB303_499
; %bb.492:                              ;   in Loop: Header=BB303_16 Depth=1
	v_lshrrev_b32_e32 v3, 24, v11
	v_bfrev_b32_e32 v89, 1
	s_mov_b32 s50, exec_lo
	v_cmpx_ne_u32_e32 0x80, v3
	s_cbranch_execz .LBB303_498
; %bb.493:                              ;   in Loop: Header=BB303_16 Depth=1
	v_and_b32_e32 v90, 0x7f, v3
	v_mov_b32_e32 v89, 0x7c010000
	s_mov_b32 s51, exec_lo
	v_cmpx_ne_u32_e32 0x7f, v90
	s_cbranch_execz .LBB303_497
; %bb.494:                              ;   in Loop: Header=BB303_16 Depth=1
	v_and_b32_e32 v16, 7, v3
	v_lshrrev_b32_e32 v86, 3, v90
	s_mov_b32 s52, exec_lo
	v_cmpx_gt_u32_e32 8, v90
; %bb.495:                              ;   in Loop: Header=BB303_16 Depth=1
	v_ffbh_u32_e32 v16, v16
	v_min_u32_e32 v16, 32, v16
	v_subrev_nc_u32_e32 v21, 28, v16
	v_sub_nc_u32_e32 v86, 29, v16
	v_lshlrev_b64 v[21:22], v21, v[3:4]
	v_and_b32_e32 v16, 7, v21
; %bb.496:                              ;   in Loop: Header=BB303_16 Depth=1
	s_or_b32 exec_lo, exec_lo, s52
	v_lshlrev_b32_e32 v3, 8, v3
	v_lshl_add_u32 v21, v86, 10, 0x2000
	v_lshlrev_b32_e32 v16, 23, v16
	v_and_or_b32 v3, 0x8000, v3, v21
	v_lshl_or_b32 v89, v3, 16, v16
.LBB303_497:                            ;   in Loop: Header=BB303_16 Depth=1
	s_or_b32 exec_lo, exec_lo, s51
.LBB303_498:                            ;   in Loop: Header=BB303_16 Depth=1
	s_or_b32 exec_lo, exec_lo, s50
.LBB303_499:                            ;   in Loop: Header=BB303_16 Depth=1
	s_or_b32 exec_lo, exec_lo, s49
	v_mov_b32_e32 v3, v12
	v_cmp_ne_u16_sdwa s1, v12, v4 src0_sel:BYTE_0 src1_sel:DWORD
	s_and_saveexec_b32 s49, s1
	s_cbranch_execz .LBB303_507
; %bb.500:                              ;   in Loop: Header=BB303_16 Depth=1
	v_cmp_ne_u16_sdwa s1, v12, v20 src0_sel:BYTE_0 src1_sel:DWORD
	v_mov_b32_e32 v88, 0x8000
	s_and_saveexec_b32 s50, s1
	s_cbranch_execz .LBB303_506
; %bb.501:                              ;   in Loop: Header=BB303_16 Depth=1
	v_and_b32_e32 v90, 0x7f, v12
	v_mov_b32_e32 v88, 0x7c01
	s_mov_b32 s51, exec_lo
	v_cmpx_ne_u32_e32 0x7f, v90
	s_cbranch_execz .LBB303_505
; %bb.502:                              ;   in Loop: Header=BB303_16 Depth=1
	v_and_b32_e32 v16, 7, v12
	v_lshrrev_b32_e32 v86, 3, v90
	s_mov_b32 s52, exec_lo
	v_cmpx_gt_u32_e32 8, v90
; %bb.503:                              ;   in Loop: Header=BB303_16 Depth=1
	v_ffbh_u32_e32 v16, v16
	v_min_u32_e32 v16, 32, v16
	v_subrev_nc_u32_e32 v21, 28, v16
	v_sub_nc_u32_e32 v86, 29, v16
	v_lshlrev_b64 v[21:22], v21, v[3:4]
	v_and_b32_e32 v16, 7, v21
; %bb.504:                              ;   in Loop: Header=BB303_16 Depth=1
	s_or_b32 exec_lo, exec_lo, s52
	v_lshlrev_b32_e32 v21, 8, v12
	v_lshl_add_u32 v22, v86, 10, 0x2000
	v_lshlrev_b32_e32 v16, 7, v16
	v_and_b32_e32 v21, 0x8000, v21
	v_and_b32_e32 v22, 0xfc00, v22
	v_or3_b32 v88, v21, v22, v16
.LBB303_505:                            ;   in Loop: Header=BB303_16 Depth=1
	s_or_b32 exec_lo, exec_lo, s51
.LBB303_506:                            ;   in Loop: Header=BB303_16 Depth=1
	s_or_b32 exec_lo, exec_lo, s50
.LBB303_507:                            ;   in Loop: Header=BB303_16 Depth=1
	s_or_b32 exec_lo, exec_lo, s49
	v_lshrrev_b16 v3, 8, v3
	v_mov_b32_e32 v92, 0
	v_mov_b32_e32 v86, 0
	s_mov_b32 s49, exec_lo
	v_cmpx_ne_u16_e32 0, v3
	s_cbranch_execz .LBB303_515
; %bb.508:                              ;   in Loop: Header=BB303_16 Depth=1
	v_bfrev_b32_e32 v86, 1
	s_mov_b32 s50, exec_lo
	v_cmpx_ne_u16_e32 0x80, v3
	s_cbranch_execz .LBB303_514
; %bb.509:                              ;   in Loop: Header=BB303_16 Depth=1
	v_and_b32_sdwa v90, v3, v13 dst_sel:DWORD dst_unused:UNUSED_PAD src0_sel:WORD_0 src1_sel:DWORD
	v_mov_b32_e32 v86, 0x7c010000
	s_mov_b32 s51, exec_lo
	v_cmpx_ne_u32_e32 0x7f, v90
	s_cbranch_execz .LBB303_513
; %bb.510:                              ;   in Loop: Header=BB303_16 Depth=1
	v_and_b32_sdwa v16, v3, v14 dst_sel:DWORD dst_unused:UNUSED_PAD src0_sel:WORD_0 src1_sel:DWORD
	v_lshrrev_b32_e32 v86, 3, v90
	s_mov_b32 s52, exec_lo
	v_cmpx_gt_u32_e32 8, v90
; %bb.511:                              ;   in Loop: Header=BB303_16 Depth=1
	v_ffbh_u32_e32 v16, v16
	v_min_u32_e32 v16, 32, v16
	v_subrev_nc_u32_e32 v21, 28, v16
	v_sub_nc_u32_e32 v86, 29, v16
	v_lshlrev_b64 v[21:22], v21, v[3:4]
	v_and_b32_e32 v16, 7, v21
; %bb.512:                              ;   in Loop: Header=BB303_16 Depth=1
	s_or_b32 exec_lo, exec_lo, s52
	v_lshlrev_b32_sdwa v3, v19, v3 dst_sel:DWORD dst_unused:UNUSED_PAD src0_sel:DWORD src1_sel:WORD_0
	v_lshl_add_u32 v21, v86, 10, 0x2000
	v_lshlrev_b32_e32 v16, 23, v16
	v_and_or_b32 v3, 0x8000, v3, v21
	v_lshl_or_b32 v86, v3, 16, v16
.LBB303_513:                            ;   in Loop: Header=BB303_16 Depth=1
	s_or_b32 exec_lo, exec_lo, s51
.LBB303_514:                            ;   in Loop: Header=BB303_16 Depth=1
	s_or_b32 exec_lo, exec_lo, s50
.LBB303_515:                            ;   in Loop: Header=BB303_16 Depth=1
	s_or_b32 exec_lo, exec_lo, s49
	v_lshrrev_b32_e32 v3, 16, v12
	v_cmp_ne_u16_sdwa s1, v3, v4 src0_sel:BYTE_0 src1_sel:DWORD
	s_and_saveexec_b32 s49, s1
	s_cbranch_execz .LBB303_523
; %bb.516:                              ;   in Loop: Header=BB303_16 Depth=1
	v_cmp_ne_u16_sdwa s1, v3, v20 src0_sel:BYTE_0 src1_sel:DWORD
	v_mov_b32_e32 v92, 0x8000
	s_and_saveexec_b32 s50, s1
	s_cbranch_execz .LBB303_522
; %bb.517:                              ;   in Loop: Header=BB303_16 Depth=1
	v_bfe_u32 v93, v12, 16, 7
	v_mov_b32_e32 v92, 0x7c01
	s_mov_b32 s51, exec_lo
	v_cmpx_ne_u32_e32 0x7f, v93
	s_cbranch_execz .LBB303_521
; %bb.518:                              ;   in Loop: Header=BB303_16 Depth=1
	v_and_b32_e32 v16, 7, v3
	v_lshrrev_b32_e32 v90, 3, v93
	s_mov_b32 s52, exec_lo
	v_cmpx_gt_u32_e32 8, v93
; %bb.519:                              ;   in Loop: Header=BB303_16 Depth=1
	v_ffbh_u32_e32 v16, v16
	v_min_u32_e32 v16, 32, v16
	v_subrev_nc_u32_e32 v21, 28, v16
	v_sub_nc_u32_e32 v90, 29, v16
	v_lshlrev_b64 v[21:22], v21, v[3:4]
	v_and_b32_e32 v16, 7, v21
; %bb.520:                              ;   in Loop: Header=BB303_16 Depth=1
	s_or_b32 exec_lo, exec_lo, s52
	v_lshlrev_b32_e32 v3, 8, v3
	v_lshl_add_u32 v21, v90, 10, 0x2000
	v_lshlrev_b32_e32 v16, 7, v16
	v_and_b32_e32 v3, 0x8000, v3
	v_and_b32_e32 v21, 0xfc00, v21
	v_or3_b32 v92, v3, v21, v16
.LBB303_521:                            ;   in Loop: Header=BB303_16 Depth=1
	s_or_b32 exec_lo, exec_lo, s51
.LBB303_522:                            ;   in Loop: Header=BB303_16 Depth=1
	s_or_b32 exec_lo, exec_lo, s50
.LBB303_523:                            ;   in Loop: Header=BB303_16 Depth=1
	s_or_b32 exec_lo, exec_lo, s49
	v_mov_b32_e32 v100, 0
	v_mov_b32_e32 v90, 0
	s_mov_b32 s49, exec_lo
	v_cmpx_lt_u64_e64 s[4:5], v[11:12]
	s_cbranch_execz .LBB303_531
; %bb.524:                              ;   in Loop: Header=BB303_16 Depth=1
	v_lshrrev_b32_e32 v3, 24, v12
	v_bfrev_b32_e32 v90, 1
	s_mov_b32 s50, exec_lo
	v_cmpx_ne_u32_e32 0x80, v3
	s_cbranch_execz .LBB303_530
; %bb.525:                              ;   in Loop: Header=BB303_16 Depth=1
	v_and_b32_e32 v16, 0x7f, v3
	v_mov_b32_e32 v90, 0x7c010000
	s_mov_b32 s51, exec_lo
	v_cmpx_ne_u32_e32 0x7f, v16
	s_cbranch_execz .LBB303_529
; %bb.526:                              ;   in Loop: Header=BB303_16 Depth=1
	v_and_b32_e32 v11, 7, v3
	v_lshrrev_b32_e32 v12, 3, v16
	s_mov_b32 s52, exec_lo
	v_cmpx_gt_u32_e32 8, v16
; %bb.527:                              ;   in Loop: Header=BB303_16 Depth=1
	v_ffbh_u32_e32 v11, v11
	v_min_u32_e32 v16, 32, v11
	v_subrev_nc_u32_e32 v11, 28, v16
	v_lshlrev_b64 v[11:12], v11, v[3:4]
	v_sub_nc_u32_e32 v12, 29, v16
	v_and_b32_e32 v11, 7, v11
; %bb.528:                              ;   in Loop: Header=BB303_16 Depth=1
	s_or_b32 exec_lo, exec_lo, s52
	v_lshlrev_b32_e32 v3, 8, v3
	v_lshl_add_u32 v12, v12, 10, 0x2000
	v_lshlrev_b32_e32 v11, 23, v11
	v_and_or_b32 v3, 0x8000, v3, v12
	v_lshl_or_b32 v90, v3, 16, v11
.LBB303_529:                            ;   in Loop: Header=BB303_16 Depth=1
	s_or_b32 exec_lo, exec_lo, s51
.LBB303_530:                            ;   in Loop: Header=BB303_16 Depth=1
	s_or_b32 exec_lo, exec_lo, s50
.LBB303_531:                            ;   in Loop: Header=BB303_16 Depth=1
	s_or_b32 exec_lo, exec_lo, s49
	v_add_co_u32 v9, s1, 0x800, v9
	v_add_co_ci_u32_e64 v10, null, 0, v10, s1
	global_load_dwordx2 v[11:12], v[9:10], off
	s_waitcnt vmcnt(0)
	v_cmp_ne_u16_sdwa s1, v11, v4 src0_sel:BYTE_0 src1_sel:DWORD
	s_and_saveexec_b32 s49, s1
	s_cbranch_execz .LBB303_539
; %bb.532:                              ;   in Loop: Header=BB303_16 Depth=1
	v_cmp_ne_u16_sdwa s1, v11, v20 src0_sel:BYTE_0 src1_sel:DWORD
	v_mov_b32_e32 v100, 0x8000
	s_and_saveexec_b32 s50, s1
	s_cbranch_execz .LBB303_538
; %bb.533:                              ;   in Loop: Header=BB303_16 Depth=1
	v_and_b32_e32 v93, 0x7f, v11
	v_mov_b32_e32 v100, 0x7c01
	s_mov_b32 s51, exec_lo
	v_cmpx_ne_u32_e32 0x7f, v93
	s_cbranch_execz .LBB303_537
; %bb.534:                              ;   in Loop: Header=BB303_16 Depth=1
	v_and_b32_e32 v3, 7, v11
	v_lshrrev_b32_e32 v16, 3, v93
	s_mov_b32 s52, exec_lo
	v_cmpx_gt_u32_e32 8, v93
; %bb.535:                              ;   in Loop: Header=BB303_16 Depth=1
	v_ffbh_u32_e32 v3, v3
	v_min_u32_e32 v3, 32, v3
	v_subrev_nc_u32_e32 v16, 28, v3
	v_lshlrev_b64 v[21:22], v16, v[11:12]
	v_sub_nc_u32_e32 v16, 29, v3
	v_and_b32_e32 v3, 7, v21
; %bb.536:                              ;   in Loop: Header=BB303_16 Depth=1
	s_or_b32 exec_lo, exec_lo, s52
	v_lshlrev_b32_e32 v21, 8, v11
	v_lshl_add_u32 v16, v16, 10, 0x2000
	v_lshlrev_b32_e32 v3, 7, v3
	v_and_b32_e32 v21, 0x8000, v21
	v_and_b32_e32 v16, 0xfc00, v16
	v_or3_b32 v100, v21, v16, v3
.LBB303_537:                            ;   in Loop: Header=BB303_16 Depth=1
	s_or_b32 exec_lo, exec_lo, s51
.LBB303_538:                            ;   in Loop: Header=BB303_16 Depth=1
	s_or_b32 exec_lo, exec_lo, s50
.LBB303_539:                            ;   in Loop: Header=BB303_16 Depth=1
	s_or_b32 exec_lo, exec_lo, s49
	v_lshrrev_b16 v3, 8, v11
	v_mov_b32_e32 v106, 0
	v_mov_b32_e32 v97, 0
	s_mov_b32 s49, exec_lo
	v_cmpx_ne_u16_e32 0, v3
	s_cbranch_execz .LBB303_547
; %bb.540:                              ;   in Loop: Header=BB303_16 Depth=1
	v_bfrev_b32_e32 v97, 1
	s_mov_b32 s50, exec_lo
	v_cmpx_ne_u16_e32 0x80, v3
	s_cbranch_execz .LBB303_546
; %bb.541:                              ;   in Loop: Header=BB303_16 Depth=1
	v_and_b32_sdwa v94, v3, v13 dst_sel:DWORD dst_unused:UNUSED_PAD src0_sel:WORD_0 src1_sel:DWORD
	v_mov_b32_e32 v97, 0x7c010000
	s_mov_b32 s51, exec_lo
	v_cmpx_ne_u32_e32 0x7f, v94
	s_cbranch_execz .LBB303_545
; %bb.542:                              ;   in Loop: Header=BB303_16 Depth=1
	v_and_b32_sdwa v16, v3, v14 dst_sel:DWORD dst_unused:UNUSED_PAD src0_sel:WORD_0 src1_sel:DWORD
	v_lshrrev_b32_e32 v93, 3, v94
	s_mov_b32 s52, exec_lo
	v_cmpx_gt_u32_e32 8, v94
; %bb.543:                              ;   in Loop: Header=BB303_16 Depth=1
	v_ffbh_u32_e32 v16, v16
	v_min_u32_e32 v16, 32, v16
	v_subrev_nc_u32_e32 v21, 28, v16
	v_sub_nc_u32_e32 v93, 29, v16
	v_lshlrev_b64 v[21:22], v21, v[3:4]
	v_and_b32_e32 v16, 7, v21
; %bb.544:                              ;   in Loop: Header=BB303_16 Depth=1
	s_or_b32 exec_lo, exec_lo, s52
	v_lshlrev_b32_sdwa v3, v19, v3 dst_sel:DWORD dst_unused:UNUSED_PAD src0_sel:DWORD src1_sel:WORD_0
	v_lshl_add_u32 v21, v93, 10, 0x2000
	v_lshlrev_b32_e32 v16, 23, v16
	v_and_or_b32 v3, 0x8000, v3, v21
	v_lshl_or_b32 v97, v3, 16, v16
.LBB303_545:                            ;   in Loop: Header=BB303_16 Depth=1
	s_or_b32 exec_lo, exec_lo, s51
.LBB303_546:                            ;   in Loop: Header=BB303_16 Depth=1
	s_or_b32 exec_lo, exec_lo, s50
.LBB303_547:                            ;   in Loop: Header=BB303_16 Depth=1
	s_or_b32 exec_lo, exec_lo, s49
	v_lshrrev_b32_e32 v3, 16, v11
	v_cmp_ne_u16_sdwa s1, v3, v4 src0_sel:BYTE_0 src1_sel:DWORD
	s_and_saveexec_b32 s49, s1
	s_cbranch_execz .LBB303_555
; %bb.548:                              ;   in Loop: Header=BB303_16 Depth=1
	v_cmp_ne_u16_sdwa s1, v3, v20 src0_sel:BYTE_0 src1_sel:DWORD
	v_mov_b32_e32 v106, 0x8000
	s_and_saveexec_b32 s50, s1
	s_cbranch_execz .LBB303_554
; %bb.549:                              ;   in Loop: Header=BB303_16 Depth=1
	v_bfe_u32 v94, v11, 16, 7
	v_mov_b32_e32 v106, 0x7c01
	s_mov_b32 s51, exec_lo
	v_cmpx_ne_u32_e32 0x7f, v94
	s_cbranch_execz .LBB303_553
; %bb.550:                              ;   in Loop: Header=BB303_16 Depth=1
	v_and_b32_e32 v16, 7, v3
	v_lshrrev_b32_e32 v93, 3, v94
	s_mov_b32 s52, exec_lo
	v_cmpx_gt_u32_e32 8, v94
; %bb.551:                              ;   in Loop: Header=BB303_16 Depth=1
	v_ffbh_u32_e32 v16, v16
	v_min_u32_e32 v16, 32, v16
	v_subrev_nc_u32_e32 v21, 28, v16
	v_sub_nc_u32_e32 v93, 29, v16
	v_lshlrev_b64 v[21:22], v21, v[3:4]
	v_and_b32_e32 v16, 7, v21
; %bb.552:                              ;   in Loop: Header=BB303_16 Depth=1
	s_or_b32 exec_lo, exec_lo, s52
	v_lshlrev_b32_e32 v3, 8, v3
	v_lshl_add_u32 v21, v93, 10, 0x2000
	v_lshlrev_b32_e32 v16, 7, v16
	v_and_b32_e32 v3, 0x8000, v3
	v_and_b32_e32 v21, 0xfc00, v21
	v_or3_b32 v106, v3, v21, v16
.LBB303_553:                            ;   in Loop: Header=BB303_16 Depth=1
	s_or_b32 exec_lo, exec_lo, s51
.LBB303_554:                            ;   in Loop: Header=BB303_16 Depth=1
	s_or_b32 exec_lo, exec_lo, s50
.LBB303_555:                            ;   in Loop: Header=BB303_16 Depth=1
	s_or_b32 exec_lo, exec_lo, s49
	v_mov_b32_e32 v102, 0
	v_mov_b32_e32 v105, 0
	s_mov_b32 s49, exec_lo
	v_cmpx_lt_u32_e32 0xffffff, v11
	s_cbranch_execz .LBB303_563
; %bb.556:                              ;   in Loop: Header=BB303_16 Depth=1
	v_lshrrev_b32_e32 v3, 24, v11
	v_bfrev_b32_e32 v105, 1
	s_mov_b32 s50, exec_lo
	v_cmpx_ne_u32_e32 0x80, v3
	s_cbranch_execz .LBB303_562
; %bb.557:                              ;   in Loop: Header=BB303_16 Depth=1
	v_and_b32_e32 v94, 0x7f, v3
	v_mov_b32_e32 v105, 0x7c010000
	s_mov_b32 s51, exec_lo
	v_cmpx_ne_u32_e32 0x7f, v94
	s_cbranch_execz .LBB303_561
; %bb.558:                              ;   in Loop: Header=BB303_16 Depth=1
	v_and_b32_e32 v16, 7, v3
	v_lshrrev_b32_e32 v93, 3, v94
	s_mov_b32 s52, exec_lo
	v_cmpx_gt_u32_e32 8, v94
; %bb.559:                              ;   in Loop: Header=BB303_16 Depth=1
	v_ffbh_u32_e32 v16, v16
	v_min_u32_e32 v16, 32, v16
	v_subrev_nc_u32_e32 v21, 28, v16
	v_sub_nc_u32_e32 v93, 29, v16
	v_lshlrev_b64 v[21:22], v21, v[3:4]
	v_and_b32_e32 v16, 7, v21
; %bb.560:                              ;   in Loop: Header=BB303_16 Depth=1
	s_or_b32 exec_lo, exec_lo, s52
	v_lshlrev_b32_e32 v3, 8, v3
	v_lshl_add_u32 v21, v93, 10, 0x2000
	v_lshlrev_b32_e32 v16, 23, v16
	v_and_or_b32 v3, 0x8000, v3, v21
	v_lshl_or_b32 v105, v3, 16, v16
.LBB303_561:                            ;   in Loop: Header=BB303_16 Depth=1
	s_or_b32 exec_lo, exec_lo, s51
.LBB303_562:                            ;   in Loop: Header=BB303_16 Depth=1
	s_or_b32 exec_lo, exec_lo, s50
.LBB303_563:                            ;   in Loop: Header=BB303_16 Depth=1
	s_or_b32 exec_lo, exec_lo, s49
	v_mov_b32_e32 v3, v12
	v_cmp_ne_u16_sdwa s1, v12, v4 src0_sel:BYTE_0 src1_sel:DWORD
	s_and_saveexec_b32 s49, s1
	s_cbranch_execz .LBB303_571
; %bb.564:                              ;   in Loop: Header=BB303_16 Depth=1
	v_cmp_ne_u16_sdwa s1, v12, v20 src0_sel:BYTE_0 src1_sel:DWORD
	v_mov_b32_e32 v102, 0x8000
	s_and_saveexec_b32 s50, s1
	s_cbranch_execz .LBB303_570
; %bb.565:                              ;   in Loop: Header=BB303_16 Depth=1
	v_and_b32_e32 v94, 0x7f, v12
	v_mov_b32_e32 v102, 0x7c01
	s_mov_b32 s51, exec_lo
	v_cmpx_ne_u32_e32 0x7f, v94
	s_cbranch_execz .LBB303_569
; %bb.566:                              ;   in Loop: Header=BB303_16 Depth=1
	v_and_b32_e32 v16, 7, v12
	v_lshrrev_b32_e32 v93, 3, v94
	s_mov_b32 s52, exec_lo
	v_cmpx_gt_u32_e32 8, v94
; %bb.567:                              ;   in Loop: Header=BB303_16 Depth=1
	v_ffbh_u32_e32 v16, v16
	v_min_u32_e32 v16, 32, v16
	v_subrev_nc_u32_e32 v21, 28, v16
	v_sub_nc_u32_e32 v93, 29, v16
	v_lshlrev_b64 v[21:22], v21, v[3:4]
	v_and_b32_e32 v16, 7, v21
; %bb.568:                              ;   in Loop: Header=BB303_16 Depth=1
	s_or_b32 exec_lo, exec_lo, s52
	v_lshlrev_b32_e32 v21, 8, v12
	v_lshl_add_u32 v22, v93, 10, 0x2000
	v_lshlrev_b32_e32 v16, 7, v16
	v_and_b32_e32 v21, 0x8000, v21
	v_and_b32_e32 v22, 0xfc00, v22
	v_or3_b32 v102, v21, v22, v16
.LBB303_569:                            ;   in Loop: Header=BB303_16 Depth=1
	s_or_b32 exec_lo, exec_lo, s51
.LBB303_570:                            ;   in Loop: Header=BB303_16 Depth=1
	s_or_b32 exec_lo, exec_lo, s50
.LBB303_571:                            ;   in Loop: Header=BB303_16 Depth=1
	s_or_b32 exec_lo, exec_lo, s49
	v_lshrrev_b16 v3, 8, v3
	v_mov_b32_e32 v104, 0
	v_mov_b32_e32 v99, 0
	s_mov_b32 s49, exec_lo
	v_cmpx_ne_u16_e32 0, v3
	s_cbranch_execz .LBB303_579
; %bb.572:                              ;   in Loop: Header=BB303_16 Depth=1
	v_bfrev_b32_e32 v99, 1
	s_mov_b32 s50, exec_lo
	v_cmpx_ne_u16_e32 0x80, v3
	s_cbranch_execz .LBB303_578
; %bb.573:                              ;   in Loop: Header=BB303_16 Depth=1
	v_and_b32_sdwa v94, v3, v13 dst_sel:DWORD dst_unused:UNUSED_PAD src0_sel:WORD_0 src1_sel:DWORD
	v_mov_b32_e32 v99, 0x7c010000
	s_mov_b32 s51, exec_lo
	v_cmpx_ne_u32_e32 0x7f, v94
	s_cbranch_execz .LBB303_577
; %bb.574:                              ;   in Loop: Header=BB303_16 Depth=1
	v_and_b32_sdwa v16, v3, v14 dst_sel:DWORD dst_unused:UNUSED_PAD src0_sel:WORD_0 src1_sel:DWORD
	v_lshrrev_b32_e32 v93, 3, v94
	s_mov_b32 s52, exec_lo
	v_cmpx_gt_u32_e32 8, v94
; %bb.575:                              ;   in Loop: Header=BB303_16 Depth=1
	v_ffbh_u32_e32 v16, v16
	v_min_u32_e32 v16, 32, v16
	v_subrev_nc_u32_e32 v21, 28, v16
	v_sub_nc_u32_e32 v93, 29, v16
	v_lshlrev_b64 v[21:22], v21, v[3:4]
	v_and_b32_e32 v16, 7, v21
; %bb.576:                              ;   in Loop: Header=BB303_16 Depth=1
	s_or_b32 exec_lo, exec_lo, s52
	v_lshlrev_b32_sdwa v3, v19, v3 dst_sel:DWORD dst_unused:UNUSED_PAD src0_sel:DWORD src1_sel:WORD_0
	v_lshl_add_u32 v21, v93, 10, 0x2000
	v_lshlrev_b32_e32 v16, 23, v16
	v_and_or_b32 v3, 0x8000, v3, v21
	v_lshl_or_b32 v99, v3, 16, v16
.LBB303_577:                            ;   in Loop: Header=BB303_16 Depth=1
	s_or_b32 exec_lo, exec_lo, s51
.LBB303_578:                            ;   in Loop: Header=BB303_16 Depth=1
	s_or_b32 exec_lo, exec_lo, s50
.LBB303_579:                            ;   in Loop: Header=BB303_16 Depth=1
	s_or_b32 exec_lo, exec_lo, s49
	v_lshrrev_b32_e32 v3, 16, v12
	v_cmp_ne_u16_sdwa s1, v3, v4 src0_sel:BYTE_0 src1_sel:DWORD
	s_and_saveexec_b32 s49, s1
	s_cbranch_execz .LBB303_587
; %bb.580:                              ;   in Loop: Header=BB303_16 Depth=1
	v_cmp_ne_u16_sdwa s1, v3, v20 src0_sel:BYTE_0 src1_sel:DWORD
	v_mov_b32_e32 v104, 0x8000
	s_and_saveexec_b32 s50, s1
	s_cbranch_execz .LBB303_586
; %bb.581:                              ;   in Loop: Header=BB303_16 Depth=1
	v_bfe_u32 v94, v12, 16, 7
	v_mov_b32_e32 v104, 0x7c01
	s_mov_b32 s51, exec_lo
	v_cmpx_ne_u32_e32 0x7f, v94
	s_cbranch_execz .LBB303_585
; %bb.582:                              ;   in Loop: Header=BB303_16 Depth=1
	v_and_b32_e32 v16, 7, v3
	v_lshrrev_b32_e32 v93, 3, v94
	s_mov_b32 s52, exec_lo
	v_cmpx_gt_u32_e32 8, v94
; %bb.583:                              ;   in Loop: Header=BB303_16 Depth=1
	v_ffbh_u32_e32 v16, v16
	v_min_u32_e32 v16, 32, v16
	v_subrev_nc_u32_e32 v21, 28, v16
	v_sub_nc_u32_e32 v93, 29, v16
	v_lshlrev_b64 v[21:22], v21, v[3:4]
	v_and_b32_e32 v16, 7, v21
; %bb.584:                              ;   in Loop: Header=BB303_16 Depth=1
	s_or_b32 exec_lo, exec_lo, s52
	v_lshlrev_b32_e32 v3, 8, v3
	v_lshl_add_u32 v21, v93, 10, 0x2000
	v_lshlrev_b32_e32 v16, 7, v16
	v_and_b32_e32 v3, 0x8000, v3
	v_and_b32_e32 v21, 0xfc00, v21
	v_or3_b32 v104, v3, v21, v16
.LBB303_585:                            ;   in Loop: Header=BB303_16 Depth=1
	s_or_b32 exec_lo, exec_lo, s51
.LBB303_586:                            ;   in Loop: Header=BB303_16 Depth=1
	s_or_b32 exec_lo, exec_lo, s50
.LBB303_587:                            ;   in Loop: Header=BB303_16 Depth=1
	s_or_b32 exec_lo, exec_lo, s49
	v_cmp_lt_u64_e64 s1, s[4:5], v[11:12]
	v_mov_b32_e32 v11, 0
	v_mov_b32_e32 v103, 0
	s_and_saveexec_b32 s49, s1
	s_cbranch_execz .LBB303_595
; %bb.588:                              ;   in Loop: Header=BB303_16 Depth=1
	v_lshrrev_b32_e32 v3, 24, v12
	v_bfrev_b32_e32 v103, 1
	s_mov_b32 s50, exec_lo
	v_cmpx_ne_u32_e32 0x80, v3
	s_cbranch_execz .LBB303_594
; %bb.589:                              ;   in Loop: Header=BB303_16 Depth=1
	v_and_b32_e32 v93, 0x7f, v3
	v_mov_b32_e32 v103, 0x7c010000
	s_mov_b32 s51, exec_lo
	v_cmpx_ne_u32_e32 0x7f, v93
	s_cbranch_execz .LBB303_593
; %bb.590:                              ;   in Loop: Header=BB303_16 Depth=1
	v_and_b32_e32 v12, 7, v3
	v_lshrrev_b32_e32 v16, 3, v93
	s_mov_b32 s52, exec_lo
	v_cmpx_gt_u32_e32 8, v93
; %bb.591:                              ;   in Loop: Header=BB303_16 Depth=1
	v_ffbh_u32_e32 v12, v12
	v_min_u32_e32 v12, 32, v12
	v_subrev_nc_u32_e32 v16, 28, v12
	v_lshlrev_b64 v[21:22], v16, v[3:4]
	v_sub_nc_u32_e32 v16, 29, v12
	v_and_b32_e32 v12, 7, v21
; %bb.592:                              ;   in Loop: Header=BB303_16 Depth=1
	s_or_b32 exec_lo, exec_lo, s52
	v_lshlrev_b32_e32 v3, 8, v3
	v_lshl_add_u32 v16, v16, 10, 0x2000
	v_lshlrev_b32_e32 v12, 23, v12
	v_and_or_b32 v3, 0x8000, v3, v16
	v_lshl_or_b32 v103, v3, 16, v12
.LBB303_593:                            ;   in Loop: Header=BB303_16 Depth=1
	s_or_b32 exec_lo, exec_lo, s51
.LBB303_594:                            ;   in Loop: Header=BB303_16 Depth=1
	s_or_b32 exec_lo, exec_lo, s50
.LBB303_595:                            ;   in Loop: Header=BB303_16 Depth=1
	s_or_b32 exec_lo, exec_lo, s49
	global_load_dwordx2 v[9:10], v[9:10], off offset:8
	s_waitcnt vmcnt(0)
	v_cmp_ne_u16_sdwa s1, v9, v4 src0_sel:BYTE_0 src1_sel:DWORD
	s_and_saveexec_b32 s49, s1
	s_cbranch_execz .LBB303_603
; %bb.596:                              ;   in Loop: Header=BB303_16 Depth=1
	v_cmp_ne_u16_sdwa s1, v9, v20 src0_sel:BYTE_0 src1_sel:DWORD
	v_mov_b32_e32 v11, 0x8000
	s_and_saveexec_b32 s50, s1
	s_cbranch_execz .LBB303_602
; %bb.597:                              ;   in Loop: Header=BB303_16 Depth=1
	v_and_b32_e32 v12, 0x7f, v9
	v_mov_b32_e32 v11, 0x7c01
	s_mov_b32 s51, exec_lo
	v_cmpx_ne_u32_e32 0x7f, v12
	s_cbranch_execz .LBB303_601
; %bb.598:                              ;   in Loop: Header=BB303_16 Depth=1
	v_and_b32_e32 v3, 7, v9
	v_lshrrev_b32_e32 v11, 3, v12
	s_mov_b32 s52, exec_lo
	v_cmpx_gt_u32_e32 8, v12
; %bb.599:                              ;   in Loop: Header=BB303_16 Depth=1
	v_ffbh_u32_e32 v3, v3
	v_min_u32_e32 v3, 32, v3
	v_subrev_nc_u32_e32 v11, 28, v3
	v_lshlrev_b64 v[21:22], v11, v[9:10]
	v_sub_nc_u32_e32 v11, 29, v3
	v_and_b32_e32 v3, 7, v21
; %bb.600:                              ;   in Loop: Header=BB303_16 Depth=1
	s_or_b32 exec_lo, exec_lo, s52
	v_lshlrev_b32_e32 v12, 8, v9
	v_lshl_add_u32 v11, v11, 10, 0x2000
	v_lshlrev_b32_e32 v3, 7, v3
	v_and_b32_e32 v12, 0x8000, v12
	v_and_b32_e32 v11, 0xfc00, v11
	v_or3_b32 v11, v12, v11, v3
.LBB303_601:                            ;   in Loop: Header=BB303_16 Depth=1
	s_or_b32 exec_lo, exec_lo, s51
.LBB303_602:                            ;   in Loop: Header=BB303_16 Depth=1
	s_or_b32 exec_lo, exec_lo, s50
.LBB303_603:                            ;   in Loop: Header=BB303_16 Depth=1
	s_or_b32 exec_lo, exec_lo, s49
	v_lshrrev_b16 v3, 8, v9
	v_mov_b32_e32 v94, 0
	v_mov_b32_e32 v12, 0
	s_mov_b32 s49, exec_lo
	v_cmpx_ne_u16_e32 0, v3
	s_cbranch_execz .LBB303_611
; %bb.604:                              ;   in Loop: Header=BB303_16 Depth=1
	v_bfrev_b32_e32 v12, 1
	s_mov_b32 s50, exec_lo
	v_cmpx_ne_u16_e32 0x80, v3
	s_cbranch_execz .LBB303_610
; %bb.605:                              ;   in Loop: Header=BB303_16 Depth=1
	v_and_b32_sdwa v93, v3, v13 dst_sel:DWORD dst_unused:UNUSED_PAD src0_sel:WORD_0 src1_sel:DWORD
	v_mov_b32_e32 v12, 0x7c010000
	s_mov_b32 s51, exec_lo
	v_cmpx_ne_u32_e32 0x7f, v93
	s_cbranch_execz .LBB303_609
; %bb.606:                              ;   in Loop: Header=BB303_16 Depth=1
	v_and_b32_sdwa v12, v3, v14 dst_sel:DWORD dst_unused:UNUSED_PAD src0_sel:WORD_0 src1_sel:DWORD
	v_lshrrev_b32_e32 v16, 3, v93
	s_mov_b32 s52, exec_lo
	v_cmpx_gt_u32_e32 8, v93
; %bb.607:                              ;   in Loop: Header=BB303_16 Depth=1
	v_ffbh_u32_e32 v12, v12
	v_min_u32_e32 v12, 32, v12
	v_subrev_nc_u32_e32 v16, 28, v12
	v_lshlrev_b64 v[21:22], v16, v[3:4]
	v_sub_nc_u32_e32 v16, 29, v12
	v_and_b32_e32 v12, 7, v21
; %bb.608:                              ;   in Loop: Header=BB303_16 Depth=1
	s_or_b32 exec_lo, exec_lo, s52
	v_lshlrev_b32_sdwa v3, v19, v3 dst_sel:DWORD dst_unused:UNUSED_PAD src0_sel:DWORD src1_sel:WORD_0
	v_lshl_add_u32 v16, v16, 10, 0x2000
	v_lshlrev_b32_e32 v12, 23, v12
	v_and_or_b32 v3, 0x8000, v3, v16
	v_lshl_or_b32 v12, v3, 16, v12
.LBB303_609:                            ;   in Loop: Header=BB303_16 Depth=1
	s_or_b32 exec_lo, exec_lo, s51
.LBB303_610:                            ;   in Loop: Header=BB303_16 Depth=1
	s_or_b32 exec_lo, exec_lo, s50
.LBB303_611:                            ;   in Loop: Header=BB303_16 Depth=1
	s_or_b32 exec_lo, exec_lo, s49
	v_lshrrev_b32_e32 v3, 16, v9
	v_cmp_ne_u16_sdwa s1, v3, v4 src0_sel:BYTE_0 src1_sel:DWORD
	s_and_saveexec_b32 s49, s1
	s_cbranch_execz .LBB303_619
; %bb.612:                              ;   in Loop: Header=BB303_16 Depth=1
	v_cmp_ne_u16_sdwa s1, v3, v20 src0_sel:BYTE_0 src1_sel:DWORD
	v_mov_b32_e32 v94, 0x8000
	s_and_saveexec_b32 s50, s1
	s_cbranch_execz .LBB303_618
; %bb.613:                              ;   in Loop: Header=BB303_16 Depth=1
	v_bfe_u32 v95, v9, 16, 7
	v_mov_b32_e32 v94, 0x7c01
	s_mov_b32 s51, exec_lo
	v_cmpx_ne_u32_e32 0x7f, v95
	s_cbranch_execz .LBB303_617
; %bb.614:                              ;   in Loop: Header=BB303_16 Depth=1
	v_and_b32_e32 v16, 7, v3
	v_lshrrev_b32_e32 v93, 3, v95
	s_mov_b32 s52, exec_lo
	v_cmpx_gt_u32_e32 8, v95
; %bb.615:                              ;   in Loop: Header=BB303_16 Depth=1
	v_ffbh_u32_e32 v16, v16
	v_min_u32_e32 v16, 32, v16
	v_subrev_nc_u32_e32 v21, 28, v16
	v_sub_nc_u32_e32 v93, 29, v16
	v_lshlrev_b64 v[21:22], v21, v[3:4]
	v_and_b32_e32 v16, 7, v21
; %bb.616:                              ;   in Loop: Header=BB303_16 Depth=1
	s_or_b32 exec_lo, exec_lo, s52
	v_lshlrev_b32_e32 v3, 8, v3
	v_lshl_add_u32 v21, v93, 10, 0x2000
	v_lshlrev_b32_e32 v16, 7, v16
	v_and_b32_e32 v3, 0x8000, v3
	v_and_b32_e32 v21, 0xfc00, v21
	v_or3_b32 v94, v3, v21, v16
.LBB303_617:                            ;   in Loop: Header=BB303_16 Depth=1
	s_or_b32 exec_lo, exec_lo, s51
.LBB303_618:                            ;   in Loop: Header=BB303_16 Depth=1
	s_or_b32 exec_lo, exec_lo, s50
.LBB303_619:                            ;   in Loop: Header=BB303_16 Depth=1
	s_or_b32 exec_lo, exec_lo, s49
	v_mov_b32_e32 v93, 0
	v_mov_b32_e32 v98, 0
	s_mov_b32 s49, exec_lo
	v_cmpx_lt_u32_e32 0xffffff, v9
	s_cbranch_execz .LBB303_627
; %bb.620:                              ;   in Loop: Header=BB303_16 Depth=1
	v_lshrrev_b32_e32 v3, 24, v9
	v_bfrev_b32_e32 v98, 1
	s_mov_b32 s50, exec_lo
	v_cmpx_ne_u32_e32 0x80, v3
	s_cbranch_execz .LBB303_626
; %bb.621:                              ;   in Loop: Header=BB303_16 Depth=1
	v_and_b32_e32 v96, 0x7f, v3
	v_mov_b32_e32 v98, 0x7c010000
	s_mov_b32 s51, exec_lo
	v_cmpx_ne_u32_e32 0x7f, v96
	s_cbranch_execz .LBB303_625
; %bb.622:                              ;   in Loop: Header=BB303_16 Depth=1
	v_and_b32_e32 v16, 7, v3
	v_lshrrev_b32_e32 v95, 3, v96
	s_mov_b32 s52, exec_lo
	v_cmpx_gt_u32_e32 8, v96
; %bb.623:                              ;   in Loop: Header=BB303_16 Depth=1
	v_ffbh_u32_e32 v16, v16
	v_min_u32_e32 v16, 32, v16
	v_subrev_nc_u32_e32 v21, 28, v16
	v_sub_nc_u32_e32 v95, 29, v16
	v_lshlrev_b64 v[21:22], v21, v[3:4]
	v_and_b32_e32 v16, 7, v21
; %bb.624:                              ;   in Loop: Header=BB303_16 Depth=1
	s_or_b32 exec_lo, exec_lo, s52
	v_lshlrev_b32_e32 v3, 8, v3
	v_lshl_add_u32 v21, v95, 10, 0x2000
	v_lshlrev_b32_e32 v16, 23, v16
	v_and_or_b32 v3, 0x8000, v3, v21
	v_lshl_or_b32 v98, v3, 16, v16
.LBB303_625:                            ;   in Loop: Header=BB303_16 Depth=1
	s_or_b32 exec_lo, exec_lo, s51
.LBB303_626:                            ;   in Loop: Header=BB303_16 Depth=1
	s_or_b32 exec_lo, exec_lo, s50
.LBB303_627:                            ;   in Loop: Header=BB303_16 Depth=1
	s_or_b32 exec_lo, exec_lo, s49
	v_mov_b32_e32 v3, v10
	v_cmp_ne_u16_sdwa s1, v10, v4 src0_sel:BYTE_0 src1_sel:DWORD
	s_and_saveexec_b32 s49, s1
	s_cbranch_execz .LBB303_635
; %bb.628:                              ;   in Loop: Header=BB303_16 Depth=1
	v_cmp_ne_u16_sdwa s1, v10, v20 src0_sel:BYTE_0 src1_sel:DWORD
	v_mov_b32_e32 v93, 0x8000
	s_and_saveexec_b32 s50, s1
	s_cbranch_execz .LBB303_634
; %bb.629:                              ;   in Loop: Header=BB303_16 Depth=1
	v_and_b32_e32 v95, 0x7f, v10
	v_mov_b32_e32 v93, 0x7c01
	s_mov_b32 s51, exec_lo
	v_cmpx_ne_u32_e32 0x7f, v95
	s_cbranch_execz .LBB303_633
; %bb.630:                              ;   in Loop: Header=BB303_16 Depth=1
	v_and_b32_e32 v16, 7, v10
	v_lshrrev_b32_e32 v93, 3, v95
	s_mov_b32 s52, exec_lo
	v_cmpx_gt_u32_e32 8, v95
; %bb.631:                              ;   in Loop: Header=BB303_16 Depth=1
	v_ffbh_u32_e32 v16, v16
	v_min_u32_e32 v16, 32, v16
	v_subrev_nc_u32_e32 v21, 28, v16
	v_sub_nc_u32_e32 v93, 29, v16
	v_lshlrev_b64 v[21:22], v21, v[3:4]
	v_and_b32_e32 v16, 7, v21
; %bb.632:                              ;   in Loop: Header=BB303_16 Depth=1
	s_or_b32 exec_lo, exec_lo, s52
	v_lshlrev_b32_e32 v21, 8, v10
	v_lshl_add_u32 v22, v93, 10, 0x2000
	v_lshlrev_b32_e32 v16, 7, v16
	v_and_b32_e32 v21, 0x8000, v21
	v_and_b32_e32 v22, 0xfc00, v22
	v_or3_b32 v93, v21, v22, v16
.LBB303_633:                            ;   in Loop: Header=BB303_16 Depth=1
	s_or_b32 exec_lo, exec_lo, s51
.LBB303_634:                            ;   in Loop: Header=BB303_16 Depth=1
	s_or_b32 exec_lo, exec_lo, s50
.LBB303_635:                            ;   in Loop: Header=BB303_16 Depth=1
	s_or_b32 exec_lo, exec_lo, s49
	v_lshrrev_b16 v3, 8, v3
	v_mov_b32_e32 v96, 0
	v_mov_b32_e32 v95, 0
	s_mov_b32 s49, exec_lo
	v_cmpx_ne_u16_e32 0, v3
	s_cbranch_execz .LBB303_643
; %bb.636:                              ;   in Loop: Header=BB303_16 Depth=1
	v_bfrev_b32_e32 v95, 1
	s_mov_b32 s50, exec_lo
	v_cmpx_ne_u16_e32 0x80, v3
	s_cbranch_execz .LBB303_642
; %bb.637:                              ;   in Loop: Header=BB303_16 Depth=1
	v_and_b32_sdwa v101, v3, v13 dst_sel:DWORD dst_unused:UNUSED_PAD src0_sel:WORD_0 src1_sel:DWORD
	v_mov_b32_e32 v95, 0x7c010000
	s_mov_b32 s51, exec_lo
	v_cmpx_ne_u32_e32 0x7f, v101
	s_cbranch_execz .LBB303_641
; %bb.638:                              ;   in Loop: Header=BB303_16 Depth=1
	v_and_b32_sdwa v16, v3, v14 dst_sel:DWORD dst_unused:UNUSED_PAD src0_sel:WORD_0 src1_sel:DWORD
	v_lshrrev_b32_e32 v95, 3, v101
	s_mov_b32 s52, exec_lo
	v_cmpx_gt_u32_e32 8, v101
; %bb.639:                              ;   in Loop: Header=BB303_16 Depth=1
	v_ffbh_u32_e32 v16, v16
	v_min_u32_e32 v16, 32, v16
	v_subrev_nc_u32_e32 v21, 28, v16
	v_sub_nc_u32_e32 v95, 29, v16
	v_lshlrev_b64 v[21:22], v21, v[3:4]
	v_and_b32_e32 v16, 7, v21
; %bb.640:                              ;   in Loop: Header=BB303_16 Depth=1
	s_or_b32 exec_lo, exec_lo, s52
	v_lshlrev_b32_sdwa v3, v19, v3 dst_sel:DWORD dst_unused:UNUSED_PAD src0_sel:DWORD src1_sel:WORD_0
	v_lshl_add_u32 v21, v95, 10, 0x2000
	v_lshlrev_b32_e32 v16, 23, v16
	v_and_or_b32 v3, 0x8000, v3, v21
	v_lshl_or_b32 v95, v3, 16, v16
.LBB303_641:                            ;   in Loop: Header=BB303_16 Depth=1
	s_or_b32 exec_lo, exec_lo, s51
.LBB303_642:                            ;   in Loop: Header=BB303_16 Depth=1
	s_or_b32 exec_lo, exec_lo, s50
.LBB303_643:                            ;   in Loop: Header=BB303_16 Depth=1
	s_or_b32 exec_lo, exec_lo, s49
	v_lshrrev_b32_e32 v3, 16, v10
	v_cmp_ne_u16_sdwa s1, v3, v4 src0_sel:BYTE_0 src1_sel:DWORD
	s_and_saveexec_b32 s49, s1
	s_cbranch_execz .LBB303_651
; %bb.644:                              ;   in Loop: Header=BB303_16 Depth=1
	v_cmp_ne_u16_sdwa s1, v3, v20 src0_sel:BYTE_0 src1_sel:DWORD
	v_mov_b32_e32 v96, 0x8000
	s_and_saveexec_b32 s50, s1
	s_cbranch_execz .LBB303_650
; %bb.645:                              ;   in Loop: Header=BB303_16 Depth=1
	v_bfe_u32 v101, v10, 16, 7
	v_mov_b32_e32 v96, 0x7c01
	s_mov_b32 s51, exec_lo
	v_cmpx_ne_u32_e32 0x7f, v101
	s_cbranch_execz .LBB303_649
; %bb.646:                              ;   in Loop: Header=BB303_16 Depth=1
	v_and_b32_e32 v16, 7, v3
	v_lshrrev_b32_e32 v96, 3, v101
	s_mov_b32 s52, exec_lo
	v_cmpx_gt_u32_e32 8, v101
; %bb.647:                              ;   in Loop: Header=BB303_16 Depth=1
	v_ffbh_u32_e32 v16, v16
	v_min_u32_e32 v16, 32, v16
	v_subrev_nc_u32_e32 v21, 28, v16
	v_sub_nc_u32_e32 v96, 29, v16
	v_lshlrev_b64 v[21:22], v21, v[3:4]
	v_and_b32_e32 v16, 7, v21
; %bb.648:                              ;   in Loop: Header=BB303_16 Depth=1
	s_or_b32 exec_lo, exec_lo, s52
	v_lshlrev_b32_e32 v3, 8, v3
	v_lshl_add_u32 v21, v96, 10, 0x2000
	v_lshlrev_b32_e32 v16, 7, v16
	v_and_b32_e32 v3, 0x8000, v3
	v_and_b32_e32 v21, 0xfc00, v21
	v_or3_b32 v96, v3, v21, v16
.LBB303_649:                            ;   in Loop: Header=BB303_16 Depth=1
	s_or_b32 exec_lo, exec_lo, s51
.LBB303_650:                            ;   in Loop: Header=BB303_16 Depth=1
	s_or_b32 exec_lo, exec_lo, s50
.LBB303_651:                            ;   in Loop: Header=BB303_16 Depth=1
	s_or_b32 exec_lo, exec_lo, s49
	v_mov_b32_e32 v101, 0
	s_mov_b32 s49, exec_lo
	v_cmpx_lt_u64_e64 s[4:5], v[9:10]
	s_cbranch_execz .LBB303_14
; %bb.652:                              ;   in Loop: Header=BB303_16 Depth=1
	v_lshrrev_b32_e32 v3, 24, v10
	v_bfrev_b32_e32 v101, 1
	s_mov_b32 s50, exec_lo
	v_cmpx_ne_u32_e32 0x80, v3
	s_cbranch_execz .LBB303_13
; %bb.653:                              ;   in Loop: Header=BB303_16 Depth=1
	v_and_b32_e32 v16, 0x7f, v3
	v_mov_b32_e32 v101, 0x7c010000
	s_mov_b32 s51, exec_lo
	v_cmpx_ne_u32_e32 0x7f, v16
	s_cbranch_execz .LBB303_12
; %bb.654:                              ;   in Loop: Header=BB303_16 Depth=1
	v_and_b32_e32 v9, 7, v3
	v_lshrrev_b32_e32 v10, 3, v16
	s_mov_b32 s52, exec_lo
	v_cmpx_gt_u32_e32 8, v16
	s_cbranch_execz .LBB303_11
; %bb.655:                              ;   in Loop: Header=BB303_16 Depth=1
	v_ffbh_u32_e32 v9, v9
	v_min_u32_e32 v16, 32, v9
	v_subrev_nc_u32_e32 v9, 28, v16
	v_lshlrev_b64 v[9:10], v9, v[3:4]
	v_sub_nc_u32_e32 v10, 29, v16
	v_and_b32_e32 v9, 7, v9
	s_branch .LBB303_11
.LBB303_656:
	s_or_b32 exec_lo, exec_lo, s48
	s_clause 0x1
	buffer_load_dword v13, off, s[56:59], 0 offset:20
	buffer_load_dword v14, off, s[56:59], 0 offset:24
.LBB303_657:
	s_or_b32 exec_lo, exec_lo, s44
	v_mbcnt_lo_u32_b32 v0, -1, 0
	v_max_f32_e32 v6, v17, v17
	v_xor_b32_e32 v3, 16, v0
	v_xor_b32_e32 v5, 8, v0
	v_xor_b32_e32 v7, 4, v0
	v_xor_b32_e32 v8, 2, v0
	v_cmp_gt_i32_e32 vcc_lo, 32, v3
	v_cndmask_b32_e32 v3, v0, v3, vcc_lo
	v_cmp_gt_i32_e32 vcc_lo, 32, v5
	v_lshlrev_b32_e32 v4, 2, v3
	v_cndmask_b32_e32 v5, v0, v5, vcc_lo
	v_cmp_gt_i32_e32 vcc_lo, 32, v7
	ds_bpermute_b32 v3, v4, v17
	v_lshlrev_b32_e32 v5, 2, v5
	v_cndmask_b32_e32 v7, v0, v7, vcc_lo
	v_cmp_gt_i32_e32 vcc_lo, 32, v8
	v_lshlrev_b32_e32 v7, 2, v7
	v_cndmask_b32_e32 v8, v0, v8, vcc_lo
	v_lshlrev_b32_e32 v17, 2, v8
	v_xor_b32_e32 v8, 1, v0
	v_cmp_gt_i32_e32 vcc_lo, 32, v8
	s_waitcnt lgkmcnt(0)
	v_max_f32_e32 v3, v3, v3
	v_cndmask_b32_e32 v0, v0, v8, vcc_lo
	v_max_f32_e32 v3, v6, v3
	v_lshlrev_b32_e32 v12, 2, v0
	buffer_load_dword v0, off, s[56:59], 0  ; 4-byte Folded Reload
	ds_bpermute_b32 v6, v5, v3
	s_waitcnt lgkmcnt(0)
	v_max_f32_e32 v6, v6, v6
	v_max_f32_e32 v3, v3, v6
	ds_bpermute_b32 v6, v7, v3
	s_waitcnt lgkmcnt(0)
	v_max_f32_e32 v6, v6, v6
	v_max_f32_e32 v3, v3, v6
	;; [unrolled: 4-line block ×3, first 2 shown]
	ds_bpermute_b32 v6, v12, v3
	s_waitcnt vmcnt(0)
	v_cmp_eq_u32_e32 vcc_lo, 0, v0
	buffer_load_dword v0, off, s[56:59], 0 offset:16 ; 4-byte Folded Reload
	s_waitcnt vmcnt(0)
	v_lshlrev_b32_e32 v8, 2, v0
	s_and_saveexec_b32 s1, vcc_lo
	s_cbranch_execz .LBB303_659
; %bb.658:
	s_waitcnt lgkmcnt(0)
	v_max_f32_e32 v0, v6, v6
	v_max_f32_e32 v3, v3, v3
	;; [unrolled: 1-line block ×3, first 2 shown]
	ds_write_b32 v8, v0 offset:160
.LBB303_659:
	s_or_b32 exec_lo, exec_lo, s1
	buffer_load_dword v0, off, s[56:59], 0  ; 4-byte Folded Reload
	v_mov_b32_e32 v3, 0xff7fffff
	s_waitcnt vmcnt(0) lgkmcnt(0)
	s_waitcnt_vscnt null, 0x0
	s_barrier
	buffer_gl0_inv
	v_cmp_gt_u32_e64 s1, 4, v0
	s_and_saveexec_b32 s2, s1
; %bb.660:
	ds_read_b32 v3, v14 offset:160
; %bb.661:
	s_or_b32 exec_lo, exec_lo, s2
	s_waitcnt lgkmcnt(0)
	ds_bpermute_b32 v0, v17, v3
	v_max_f32_e32 v3, v3, v3
	v_mov_b32_e32 v9, 0
	s_sub_i32 s2, s20, s43
	v_lshl_add_u32 v6, v13, 2, 0xc0
	s_lshl_b32 s2, s2, 5
	s_add_i32 s2, s2, s40
	s_min_i32 s2, s2, s31
	s_sub_i32 s4, s2, s40
	v_cmp_gt_i32_e64 s2, s4, v13
	s_waitcnt lgkmcnt(0)
	v_max_f32_e32 v0, v0, v0
	v_max_f32_e32 v0, v3, v0
	ds_bpermute_b32 v3, v12, v0
	s_waitcnt lgkmcnt(0)
	v_max_f32_e32 v3, v3, v3
	v_max_f32_e32 v0, v0, v3
	ds_bpermute_b32 v3, v9, v0
	s_and_saveexec_b32 s5, s2
	s_cbranch_execz .LBB303_665
; %bb.662:
	v_lshl_add_u32 v10, v13, 2, 0xc0
	v_mov_b32_e32 v9, 0
	v_mov_b32_e32 v11, v13
	s_mov_b32 s12, 0
	.p2align	6
.LBB303_663:                            ; =>This Inner Loop Header: Depth=1
	ds_read_b32 v0, v10
	v_add_nc_u32_e32 v11, 0x80, v11
	v_cmp_le_i32_e64 s3, s4, v11
	s_or_b32 s12, s3, s12
	s_waitcnt lgkmcnt(0)
	v_sub_f32_e32 v0, v0, v3
	v_mul_f32_e32 v0, 0x3fb8aa3b, v0
	v_exp_f32_e32 v0, v0
	ds_write_b32 v10, v0
	v_add_f32_e32 v9, v9, v0
	v_add_nc_u32_e32 v10, 0x200, v10
	s_andn2_b32 exec_lo, exec_lo, s12
	s_cbranch_execnz .LBB303_663
; %bb.664:
	s_or_b32 exec_lo, exec_lo, s12
.LBB303_665:
	s_or_b32 exec_lo, exec_lo, s5
	ds_bpermute_b32 v0, v4, v9
	s_waitcnt lgkmcnt(0)
	v_add_f32_e32 v0, v9, v0
	ds_bpermute_b32 v4, v5, v0
	s_waitcnt lgkmcnt(0)
	v_add_f32_e32 v0, v0, v4
	ds_bpermute_b32 v4, v7, v0
	s_waitcnt lgkmcnt(0)
	v_add_f32_e32 v0, v0, v4
	ds_bpermute_b32 v4, v17, v0
	s_waitcnt lgkmcnt(0)
	v_add_f32_e32 v0, v0, v4
	ds_bpermute_b32 v4, v12, v0
	s_waitcnt lgkmcnt(0)
	v_add_f32_e32 v4, v0, v4
	s_and_saveexec_b32 s3, vcc_lo
; %bb.666:
	ds_write_b32 v8, v4 offset:176
; %bb.667:
	s_or_b32 exec_lo, exec_lo, s3
	s_waitcnt lgkmcnt(0)
	s_barrier
	buffer_gl0_inv
	s_and_saveexec_b32 s3, s1
; %bb.668:
	ds_read_b32 v4, v14 offset:176
; %bb.669:
	s_or_b32 exec_lo, exec_lo, s3
	s_waitcnt lgkmcnt(0)
	ds_bpermute_b32 v0, v17, v4
	s_waitcnt lgkmcnt(0)
	v_add_f32_e32 v0, v4, v0
	ds_bpermute_b32 v4, v12, v0
	s_waitcnt lgkmcnt(0)
	v_add_f32_e32 v0, v0, v4
	v_mov_b32_e32 v4, 0
	ds_bpermute_b32 v4, v4, v0
	s_and_saveexec_b32 s1, s2
	s_cbranch_execz .LBB303_672
; %bb.670:
	s_waitcnt lgkmcnt(0)
	v_add_f32_e32 v0, 0x358637bd, v4
	s_mov_b32 s2, 0
	v_div_scale_f32 v5, null, v0, v0, 1.0
	v_div_scale_f32 v9, vcc_lo, 1.0, v0, 1.0
	v_rcp_f32_e32 v7, v5
	v_fma_f32 v8, -v5, v7, 1.0
	v_fmac_f32_e32 v7, v8, v7
	v_mul_f32_e32 v8, v9, v7
	v_fma_f32 v10, -v5, v8, v9
	v_fmac_f32_e32 v8, v10, v7
	v_fma_f32 v5, -v5, v8, v9
	v_div_fmas_f32 v5, v5, v7, v8
	v_mov_b32_e32 v7, v13
	v_div_fixup_f32 v5, v5, v0, 1.0
.LBB303_671:                            ; =>This Inner Loop Header: Depth=1
	ds_read_b32 v0, v6
	v_add_nc_u32_e32 v7, 0x80, v7
	v_cmp_le_i32_e32 vcc_lo, s4, v7
	s_or_b32 s2, vcc_lo, s2
	s_waitcnt lgkmcnt(0)
	v_mul_f32_e32 v0, v5, v0
	ds_write_b32 v6, v0
	v_add_nc_u32_e32 v6, 0x200, v6
	s_andn2_b32 exec_lo, exec_lo, s2
	s_cbranch_execnz .LBB303_671
.LBB303_672:
	s_or_b32 exec_lo, exec_lo, s1
	s_mul_i32 s1, s7, s30
	s_waitcnt lgkmcnt(0)
	s_mul_i32 s2, s1, s9
	s_mov_b32 s1, exec_lo
	s_barrier
	buffer_gl0_inv
	v_cmpx_eq_u32_e32 0, v13
	s_cbranch_execz .LBB303_674
; %bb.673:
	s_ashr_i32 s3, s2, 31
	s_mul_i32 s12, s7, s6
	s_lshl_b64 s[4:5], s[2:3], 2
	v_mov_b32_e32 v0, 0
	s_add_u32 s3, s26, s4
	s_addc_u32 s6, s27, s5
	s_ashr_i32 s13, s12, 31
	s_lshl_b64 s[12:13], s[12:13], 2
	s_add_u32 s3, s3, s12
	s_addc_u32 s6, s6, s13
	s_ashr_i32 s9, s8, 31
	s_lshl_b64 s[26:27], s[8:9], 2
	s_add_u32 s42, s3, s26
	s_addc_u32 s43, s6, s27
	s_add_u32 s3, s24, s4
	s_addc_u32 s4, s25, s5
	;; [unrolled: 2-line block ×4, first 2 shown]
	global_store_dword v0, v3, s[42:43]
	global_store_dword v0, v4, s[4:5]
.LBB303_674:
	s_or_b32 exec_lo, exec_lo, s1
	v_mov_b32_e32 v26, 0
	v_mov_b32_e32 v73, v13
	v_and_b32_e32 v16, 3, v13
	v_mov_b32_e32 v27, 0
	v_mov_b32_e32 v25, 0
	;; [unrolled: 1-line block ×9, first 2 shown]
	s_and_saveexec_b32 s1, s0
	s_cbranch_execz .LBB303_1340
; %bb.675:
	buffer_load_dword v8, off, s[56:59], 0 offset:16 ; 4-byte Folded Reload
	s_sub_i32 s3, s41, s21
	s_ashr_i32 s0, s18, 31
	s_add_u32 s12, s38, s18
	s_addc_u32 s0, s39, s0
	s_abs_i32 s6, s22
	v_lshlrev_b64 v[4:5], 2, v[1:2]
	v_cvt_f32_u32_e32 v0, s6
	s_sub_i32 s4, 0, s6
	v_lshlrev_b32_e32 v2, 5, v16
	v_lshlrev_b32_e32 v6, 3, v73
	s_add_i32 s33, s33, -1
	v_rcp_iflag_f32_e32 v0, v0
	v_mov_b32_e32 v3, 0
	v_mov_b32_e32 v28, 0x80
	v_and_b32_e32 v32, 24, v6
	v_and_b32_e32 v6, 0xf8, v6
	v_mov_b32_e32 v29, 0x7f
	v_mov_b32_e32 v30, 7
	;; [unrolled: 1-line block ×5, first 2 shown]
	v_mul_f32_e32 v0, 0x4f7ffffe, v0
	v_mov_b32_e32 v20, 0
	v_mov_b32_e32 v21, 0
	;; [unrolled: 1-line block ×4, first 2 shown]
	v_cvt_u32_f32_e32 v0, v0
	v_mov_b32_e32 v24, 0
	v_mov_b32_e32 v25, 0
	;; [unrolled: 1-line block ×4, first 2 shown]
	v_mul_lo_u32 v7, s4, v0
	s_lshl_b64 s[4:5], s[36:37], 2
	s_mov_b32 s9, s17
	s_add_u32 s4, s34, s4
	s_addc_u32 s5, s35, s5
	v_add_co_u32 v4, vcc_lo, s4, v4
	v_add_co_u32 v6, s4, s12, v6
	v_add_co_ci_u32_e64 v5, null, s5, v5, vcc_lo
	s_mov_b32 s12, 0
	s_waitcnt vmcnt(0)
	v_lshl_or_b32 v2, v8, 7, v2
	v_mul_hi_u32 v8, v0, v7
	v_add_co_ci_u32_e64 v7, null, s0, 0, s4
	s_mov_b32 s4, -1
	v_add_nc_u32_e32 v33, 0xc0, v2
	s_mov_b32 s5, 0xffffff
	v_add_nc_u32_e32 v34, v0, v8
	s_branch .LBB303_678
.LBB303_676:                            ;   in Loop: Header=BB303_678 Depth=1
	s_or_b32 exec_lo, exec_lo, s0
	v_add_f32_e32 v0, v10, v11
	v_add_f32_e32 v10, v61, v62
	;; [unrolled: 1-line block ×7, first 2 shown]
	;;#ASMSTART
	v_pk_mul_f16 v10, v48, v63;

	;;#ASMEND
	;;#ASMSTART
	v_pk_mul_f16 v9, v46, v9;

	;;#ASMEND
	;; [unrolled: 4-line block ×4, first 2 shown]
	;;#ASMSTART
	v_pk_add_f16 v9, v10, v9;

	;;#ASMEND
	;;#ASMSTART
	v_pk_add_f16 v8, v9, v8;

	;;#ASMEND
	;; [unrolled: 4-line block ×3, first 2 shown]
	v_and_b32_e32 v10, 0xffff, v2
	v_add_f32_e32 v21, v21, v11
	v_lshrrev_b32_e32 v11, 16, v2
	;;#ASMSTART
	v_cvt_f32_f16 v10, v10;
	;;#ASMEND
	v_add_f32_e32 v0, v53, v54
	v_add_f32_e32 v2, v51, v52
	;; [unrolled: 1-line block ×4, first 2 shown]
	;;#ASMSTART
	v_cvt_f32_f16 v11, v11;
	;;#ASMEND
	v_add_f32_e32 v10, v10, v11
	v_add_f32_e32 v22, v22, v13
	;; [unrolled: 1-line block ×8, first 2 shown]
.LBB303_677:                            ;   in Loop: Header=BB303_678 Depth=1
	s_or_b32 exec_lo, exec_lo, s13
	v_add_nc_u32_e32 v1, 4, v1
	v_add_co_u32 v4, s0, v4, 16
	v_add_co_ci_u32_e64 v5, null, 0, v5, s0
	v_cmp_le_i32_e32 vcc_lo, s20, v1
	v_add_nc_u32_e32 v15, 0x80, v15
	v_add_nc_u32_e32 v33, 0x200, v33
	s_or_b32 s12, vcc_lo, s12
	s_andn2_b32 exec_lo, exec_lo, s12
	s_cbranch_execz .LBB303_1339
.LBB303_678:                            ; =>This Inner Loop Header: Depth=1
	v_sub_nc_u32_e32 v0, 0, v15
	v_max_i32_e32 v0, v15, v0
	v_mul_hi_u32 v2, v0, s16
	v_mul_lo_u32 v8, v2, s11
	v_sub_nc_u32_e32 v0, v0, v8
	v_add_nc_u32_e32 v8, 1, v2
	v_subrev_nc_u32_e32 v9, s11, v0
	v_cmp_le_u32_e32 vcc_lo, s11, v0
	v_cndmask_b32_e32 v2, v2, v8, vcc_lo
	v_cndmask_b32_e32 v0, v0, v9, vcc_lo
	v_ashrrev_i32_e32 v8, 31, v15
	v_add_nc_u32_e32 v9, 1, v2
	v_cmp_le_u32_e32 vcc_lo, s11, v0
	v_xor_b32_e32 v8, s23, v8
	v_cndmask_b32_e32 v0, v2, v9, vcc_lo
	v_xor_b32_e32 v0, v0, v8
	v_sub_nc_u32_e32 v0, v0, v8
	v_add_nc_u32_e32 v2, s19, v0
	v_cmp_lt_i32_e64 s0, s3, v0
	v_sub_nc_u32_e32 v8, 0, v2
	v_max_i32_e32 v8, v2, v8
	v_ashrrev_i32_e32 v2, 31, v2
	v_mul_hi_u32 v9, v8, v34
	v_mul_lo_u32 v9, v9, s6
	v_sub_nc_u32_e32 v8, v8, v9
	v_subrev_nc_u32_e32 v9, s6, v8
	v_cmp_le_u32_e32 vcc_lo, s6, v8
	v_cndmask_b32_e32 v8, v8, v9, vcc_lo
	v_subrev_nc_u32_e32 v9, s6, v8
	v_cmp_le_u32_e32 vcc_lo, s6, v8
	v_cndmask_b32_e32 v8, v8, v9, vcc_lo
	v_xor_b32_e32 v8, v8, v2
	v_sub_nc_u32_e32 v2, v8, v2
	v_cmp_eq_u32_e32 vcc_lo, 0, v2
	s_or_b32 s0, vcc_lo, s0
	s_and_saveexec_b32 s13, s0
	s_cbranch_execz .LBB303_677
; %bb.679:                              ;   in Loop: Header=BB303_678 Depth=1
	global_load_dword v0, v[4:5], off
	ds_read2_b64 v[39:42], v33 offset1:1
	ds_read2_b64 v[48:51], v33 offset0:2 offset1:3
	v_mov_b32_e32 v37, 0
	s_waitcnt lgkmcnt(1)
	;;#ASMSTART
	v_cvt_f16_f32 v38, v39;

	;;#ASMEND
	;;#ASMSTART
	v_cvt_f16_f32 v40, v40;

	;;#ASMEND
	;; [unrolled: 4-line block ×4, first 2 shown]
	s_waitcnt lgkmcnt(0)
	;;#ASMSTART
	v_cvt_f16_f32 v48, v48;

	;;#ASMEND
	;;#ASMSTART
	v_cvt_f16_f32 v44, v49;

	;;#ASMEND
	;; [unrolled: 4-line block ×4, first 2 shown]
	global_load_dword v36, v37, s[14:15]
	v_mov_b32_e32 v39, 0
	s_waitcnt vmcnt(1)
	v_mad_i64_i32 v[8:9], null, v0, s9, v[6:7]
	global_load_dwordx2 v[10:11], v[8:9], off
	s_waitcnt vmcnt(0)
	v_cmp_ne_u16_sdwa s17, v10, v3 src0_sel:BYTE_0 src1_sel:DWORD
	s_and_saveexec_b32 s0, s17
	s_cbranch_execz .LBB303_687
; %bb.680:                              ;   in Loop: Header=BB303_678 Depth=1
	v_cmp_ne_u16_sdwa s18, v10, v28 src0_sel:BYTE_0 src1_sel:DWORD
	v_mov_b32_e32 v39, 0x8000
	s_and_saveexec_b32 s17, s18
	s_cbranch_execz .LBB303_686
; %bb.681:                              ;   in Loop: Header=BB303_678 Depth=1
	v_and_b32_e32 v41, 0x7f, v10
	v_mov_b32_e32 v39, 0x7c01
	s_mov_b32 s18, exec_lo
	v_cmpx_ne_u32_e32 0x7f, v41
	s_cbranch_execz .LBB303_685
; %bb.682:                              ;   in Loop: Header=BB303_678 Depth=1
	v_and_b32_e32 v2, 7, v10
	v_lshrrev_b32_e32 v35, 3, v41
	s_mov_b32 s21, exec_lo
	v_cmpx_gt_u32_e32 8, v41
; %bb.683:                              ;   in Loop: Header=BB303_678 Depth=1
	v_ffbh_u32_e32 v0, v2
	v_min_u32_e32 v0, 32, v0
	v_subrev_nc_u32_e32 v2, 28, v0
	v_sub_nc_u32_e32 v35, 29, v0
	v_lshlrev_b64 v[13:14], v2, v[10:11]
	v_and_b32_e32 v2, 7, v13
; %bb.684:                              ;   in Loop: Header=BB303_678 Depth=1
	s_or_b32 exec_lo, exec_lo, s21
	v_lshlrev_b32_e32 v0, 8, v10
	v_lshl_add_u32 v13, v35, 10, 0x2000
	v_lshlrev_b32_e32 v2, 7, v2
	v_and_b32_e32 v0, 0x8000, v0
	v_and_b32_e32 v13, 0xfc00, v13
	v_or3_b32 v39, v0, v13, v2
.LBB303_685:                            ;   in Loop: Header=BB303_678 Depth=1
	s_or_b32 exec_lo, exec_lo, s18
.LBB303_686:                            ;   in Loop: Header=BB303_678 Depth=1
	s_or_b32 exec_lo, exec_lo, s17
.LBB303_687:                            ;   in Loop: Header=BB303_678 Depth=1
	s_or_b32 exec_lo, exec_lo, s0
	v_lshrrev_b16 v2, 8, v10
	s_mov_b32 s0, exec_lo
	v_cmpx_ne_u16_e32 0, v2
	s_cbranch_execz .LBB303_695
; %bb.688:                              ;   in Loop: Header=BB303_678 Depth=1
	v_bfrev_b32_e32 v37, 1
	s_mov_b32 s17, exec_lo
	v_cmpx_ne_u16_e32 0x80, v2
	s_cbranch_execz .LBB303_694
; %bb.689:                              ;   in Loop: Header=BB303_678 Depth=1
	v_and_b32_sdwa v41, v2, v29 dst_sel:DWORD dst_unused:UNUSED_PAD src0_sel:WORD_0 src1_sel:DWORD
	v_mov_b32_e32 v37, 0x7c010000
	s_mov_b32 s18, exec_lo
	v_cmpx_ne_u32_e32 0x7f, v41
	s_cbranch_execz .LBB303_693
; %bb.690:                              ;   in Loop: Header=BB303_678 Depth=1
	v_and_b32_sdwa v35, v2, v30 dst_sel:DWORD dst_unused:UNUSED_PAD src0_sel:WORD_0 src1_sel:DWORD
	v_lshrrev_b32_e32 v37, 3, v41
	s_mov_b32 s21, exec_lo
	v_cmpx_gt_u32_e32 8, v41
; %bb.691:                              ;   in Loop: Header=BB303_678 Depth=1
	v_ffbh_u32_e32 v0, v35
	v_min_u32_e32 v0, 32, v0
	v_subrev_nc_u32_e32 v13, 28, v0
	v_sub_nc_u32_e32 v37, 29, v0
	v_lshlrev_b64 v[13:14], v13, v[2:3]
	v_and_b32_e32 v35, 7, v13
; %bb.692:                              ;   in Loop: Header=BB303_678 Depth=1
	s_or_b32 exec_lo, exec_lo, s21
	v_lshlrev_b32_sdwa v0, v31, v2 dst_sel:DWORD dst_unused:UNUSED_PAD src0_sel:DWORD src1_sel:WORD_0
	v_lshl_add_u32 v2, v37, 10, 0x2000
	v_and_or_b32 v0, 0x8000, v0, v2
	v_lshlrev_b32_e32 v2, 23, v35
	v_lshl_or_b32 v37, v0, 16, v2
.LBB303_693:                            ;   in Loop: Header=BB303_678 Depth=1
	s_or_b32 exec_lo, exec_lo, s18
.LBB303_694:                            ;   in Loop: Header=BB303_678 Depth=1
	s_or_b32 exec_lo, exec_lo, s17
.LBB303_695:                            ;   in Loop: Header=BB303_678 Depth=1
	s_or_b32 exec_lo, exec_lo, s0
	v_lshrrev_b32_e32 v2, 16, v10
	v_mov_b32_e32 v41, 0
	v_mov_b32_e32 v35, 0
	v_cmp_ne_u16_sdwa s17, v2, v3 src0_sel:BYTE_0 src1_sel:DWORD
	s_and_saveexec_b32 s0, s17
	s_cbranch_execz .LBB303_703
; %bb.696:                              ;   in Loop: Header=BB303_678 Depth=1
	v_cmp_ne_u16_sdwa s18, v2, v28 src0_sel:BYTE_0 src1_sel:DWORD
	v_mov_b32_e32 v35, 0x8000
	s_and_saveexec_b32 s17, s18
	s_cbranch_execz .LBB303_702
; %bb.697:                              ;   in Loop: Header=BB303_678 Depth=1
	v_bfe_u32 v45, v10, 16, 7
	v_mov_b32_e32 v35, 0x7c01
	s_mov_b32 s18, exec_lo
	v_cmpx_ne_u32_e32 0x7f, v45
	s_cbranch_execz .LBB303_701
; %bb.698:                              ;   in Loop: Header=BB303_678 Depth=1
	v_and_b32_e32 v35, 7, v2
	v_lshrrev_b32_e32 v43, 3, v45
	s_mov_b32 s21, exec_lo
	v_cmpx_gt_u32_e32 8, v45
; %bb.699:                              ;   in Loop: Header=BB303_678 Depth=1
	v_ffbh_u32_e32 v0, v35
	v_min_u32_e32 v0, 32, v0
	v_subrev_nc_u32_e32 v13, 28, v0
	v_sub_nc_u32_e32 v43, 29, v0
	v_lshlrev_b64 v[13:14], v13, v[2:3]
	v_and_b32_e32 v35, 7, v13
; %bb.700:                              ;   in Loop: Header=BB303_678 Depth=1
	s_or_b32 exec_lo, exec_lo, s21
	v_lshlrev_b32_e32 v0, 8, v2
	v_lshl_add_u32 v2, v43, 10, 0x2000
	v_lshlrev_b32_e32 v13, 7, v35
	v_and_b32_e32 v0, 0x8000, v0
	v_and_b32_e32 v2, 0xfc00, v2
	v_or3_b32 v35, v0, v2, v13
.LBB303_701:                            ;   in Loop: Header=BB303_678 Depth=1
	s_or_b32 exec_lo, exec_lo, s18
.LBB303_702:                            ;   in Loop: Header=BB303_678 Depth=1
	s_or_b32 exec_lo, exec_lo, s17
.LBB303_703:                            ;   in Loop: Header=BB303_678 Depth=1
	s_or_b32 exec_lo, exec_lo, s0
	s_mov_b32 s0, exec_lo
	v_cmpx_lt_u32_e32 0xffffff, v10
	s_cbranch_execz .LBB303_711
; %bb.704:                              ;   in Loop: Header=BB303_678 Depth=1
	v_lshrrev_b32_e32 v2, 24, v10
	v_bfrev_b32_e32 v41, 1
	s_mov_b32 s17, exec_lo
	v_cmpx_ne_u32_e32 0x80, v2
	s_cbranch_execz .LBB303_710
; %bb.705:                              ;   in Loop: Header=BB303_678 Depth=1
	v_and_b32_e32 v45, 0x7f, v2
	v_mov_b32_e32 v41, 0x7c010000
	s_mov_b32 s18, exec_lo
	v_cmpx_ne_u32_e32 0x7f, v45
	s_cbranch_execz .LBB303_709
; %bb.706:                              ;   in Loop: Header=BB303_678 Depth=1
	v_and_b32_e32 v41, 7, v2
	v_lshrrev_b32_e32 v43, 3, v45
	s_mov_b32 s21, exec_lo
	v_cmpx_gt_u32_e32 8, v45
; %bb.707:                              ;   in Loop: Header=BB303_678 Depth=1
	v_ffbh_u32_e32 v0, v41
	v_min_u32_e32 v0, 32, v0
	v_subrev_nc_u32_e32 v13, 28, v0
	v_sub_nc_u32_e32 v43, 29, v0
	v_lshlrev_b64 v[13:14], v13, v[2:3]
	v_and_b32_e32 v41, 7, v13
; %bb.708:                              ;   in Loop: Header=BB303_678 Depth=1
	s_or_b32 exec_lo, exec_lo, s21
	v_lshlrev_b32_e32 v0, 8, v2
	v_lshl_add_u32 v2, v43, 10, 0x2000
	v_and_or_b32 v0, 0x8000, v0, v2
	v_lshlrev_b32_e32 v2, 23, v41
	v_lshl_or_b32 v41, v0, 16, v2
.LBB303_709:                            ;   in Loop: Header=BB303_678 Depth=1
	s_or_b32 exec_lo, exec_lo, s18
.LBB303_710:                            ;   in Loop: Header=BB303_678 Depth=1
	s_or_b32 exec_lo, exec_lo, s17
.LBB303_711:                            ;   in Loop: Header=BB303_678 Depth=1
	s_or_b32 exec_lo, exec_lo, s0
	v_mov_b32_e32 v2, v11
	v_cmp_ne_u16_sdwa s17, v11, v3 src0_sel:BYTE_0 src1_sel:DWORD
	v_mov_b32_e32 v43, 0
	v_mov_b32_e32 v45, 0
	s_and_saveexec_b32 s0, s17
	s_cbranch_execz .LBB303_719
; %bb.712:                              ;   in Loop: Header=BB303_678 Depth=1
	v_cmp_ne_u16_sdwa s18, v11, v28 src0_sel:BYTE_0 src1_sel:DWORD
	v_mov_b32_e32 v45, 0x8000
	s_and_saveexec_b32 s17, s18
	s_cbranch_execz .LBB303_718
; %bb.713:                              ;   in Loop: Header=BB303_678 Depth=1
	v_and_b32_e32 v51, 0x7f, v11
	v_mov_b32_e32 v45, 0x7c01
	s_mov_b32 s18, exec_lo
	v_cmpx_ne_u32_e32 0x7f, v51
	s_cbranch_execz .LBB303_717
; %bb.714:                              ;   in Loop: Header=BB303_678 Depth=1
	v_and_b32_e32 v45, 7, v11
	v_lshrrev_b32_e32 v47, 3, v51
	s_mov_b32 s21, exec_lo
	v_cmpx_gt_u32_e32 8, v51
; %bb.715:                              ;   in Loop: Header=BB303_678 Depth=1
	v_ffbh_u32_e32 v0, v45
	v_min_u32_e32 v0, 32, v0
	v_subrev_nc_u32_e32 v13, 28, v0
	v_sub_nc_u32_e32 v47, 29, v0
	v_lshlrev_b64 v[13:14], v13, v[2:3]
	v_and_b32_e32 v45, 7, v13
; %bb.716:                              ;   in Loop: Header=BB303_678 Depth=1
	s_or_b32 exec_lo, exec_lo, s21
	v_lshlrev_b32_e32 v0, 8, v11
	v_lshl_add_u32 v13, v47, 10, 0x2000
	v_lshlrev_b32_e32 v14, 7, v45
	v_and_b32_e32 v0, 0x8000, v0
	v_and_b32_e32 v13, 0xfc00, v13
	v_or3_b32 v45, v0, v13, v14
.LBB303_717:                            ;   in Loop: Header=BB303_678 Depth=1
	s_or_b32 exec_lo, exec_lo, s18
.LBB303_718:                            ;   in Loop: Header=BB303_678 Depth=1
	s_or_b32 exec_lo, exec_lo, s17
.LBB303_719:                            ;   in Loop: Header=BB303_678 Depth=1
	s_or_b32 exec_lo, exec_lo, s0
	v_lshrrev_b16 v2, 8, v2
	v_mov_b32_e32 v47, 0
	s_mov_b32 s0, exec_lo
	v_cmpx_ne_u16_e32 0, v2
	s_cbranch_execz .LBB303_727
; %bb.720:                              ;   in Loop: Header=BB303_678 Depth=1
	v_bfrev_b32_e32 v47, 1
	s_mov_b32 s17, exec_lo
	v_cmpx_ne_u16_e32 0x80, v2
	s_cbranch_execz .LBB303_726
; %bb.721:                              ;   in Loop: Header=BB303_678 Depth=1
	v_and_b32_sdwa v52, v2, v29 dst_sel:DWORD dst_unused:UNUSED_PAD src0_sel:WORD_0 src1_sel:DWORD
	v_mov_b32_e32 v47, 0x7c010000
	s_mov_b32 s18, exec_lo
	v_cmpx_ne_u32_e32 0x7f, v52
	s_cbranch_execz .LBB303_725
; %bb.722:                              ;   in Loop: Header=BB303_678 Depth=1
	v_and_b32_sdwa v47, v2, v30 dst_sel:DWORD dst_unused:UNUSED_PAD src0_sel:WORD_0 src1_sel:DWORD
	v_lshrrev_b32_e32 v51, 3, v52
	s_mov_b32 s21, exec_lo
	v_cmpx_gt_u32_e32 8, v52
; %bb.723:                              ;   in Loop: Header=BB303_678 Depth=1
	v_ffbh_u32_e32 v0, v47
	v_min_u32_e32 v0, 32, v0
	v_subrev_nc_u32_e32 v13, 28, v0
	v_sub_nc_u32_e32 v51, 29, v0
	v_lshlrev_b64 v[13:14], v13, v[2:3]
	v_and_b32_e32 v47, 7, v13
; %bb.724:                              ;   in Loop: Header=BB303_678 Depth=1
	s_or_b32 exec_lo, exec_lo, s21
	v_lshlrev_b32_sdwa v0, v31, v2 dst_sel:DWORD dst_unused:UNUSED_PAD src0_sel:DWORD src1_sel:WORD_0
	v_lshl_add_u32 v2, v51, 10, 0x2000
	v_and_or_b32 v0, 0x8000, v0, v2
	v_lshlrev_b32_e32 v2, 23, v47
	v_lshl_or_b32 v47, v0, 16, v2
.LBB303_725:                            ;   in Loop: Header=BB303_678 Depth=1
	s_or_b32 exec_lo, exec_lo, s18
.LBB303_726:                            ;   in Loop: Header=BB303_678 Depth=1
	s_or_b32 exec_lo, exec_lo, s17
.LBB303_727:                            ;   in Loop: Header=BB303_678 Depth=1
	s_or_b32 exec_lo, exec_lo, s0
	v_lshrrev_b32_e32 v2, 16, v11
	v_cmp_ne_u16_sdwa s17, v2, v3 src0_sel:BYTE_0 src1_sel:DWORD
	s_and_saveexec_b32 s0, s17
	s_cbranch_execz .LBB303_735
; %bb.728:                              ;   in Loop: Header=BB303_678 Depth=1
	v_cmp_ne_u16_sdwa s18, v2, v28 src0_sel:BYTE_0 src1_sel:DWORD
	v_mov_b32_e32 v43, 0x8000
	s_and_saveexec_b32 s17, s18
	s_cbranch_execz .LBB303_734
; %bb.729:                              ;   in Loop: Header=BB303_678 Depth=1
	v_bfe_u32 v52, v11, 16, 7
	v_mov_b32_e32 v43, 0x7c01
	s_mov_b32 s18, exec_lo
	v_cmpx_ne_u32_e32 0x7f, v52
	s_cbranch_execz .LBB303_733
; %bb.730:                              ;   in Loop: Header=BB303_678 Depth=1
	v_and_b32_e32 v43, 7, v2
	v_lshrrev_b32_e32 v51, 3, v52
	s_mov_b32 s21, exec_lo
	v_cmpx_gt_u32_e32 8, v52
; %bb.731:                              ;   in Loop: Header=BB303_678 Depth=1
	v_ffbh_u32_e32 v0, v43
	v_min_u32_e32 v0, 32, v0
	v_subrev_nc_u32_e32 v13, 28, v0
	v_sub_nc_u32_e32 v51, 29, v0
	v_lshlrev_b64 v[13:14], v13, v[2:3]
	v_and_b32_e32 v43, 7, v13
; %bb.732:                              ;   in Loop: Header=BB303_678 Depth=1
	s_or_b32 exec_lo, exec_lo, s21
	v_lshlrev_b32_e32 v0, 8, v2
	v_lshl_add_u32 v2, v51, 10, 0x2000
	v_lshlrev_b32_e32 v13, 7, v43
	v_and_b32_e32 v0, 0x8000, v0
	v_and_b32_e32 v2, 0xfc00, v2
	v_or3_b32 v43, v0, v2, v13
.LBB303_733:                            ;   in Loop: Header=BB303_678 Depth=1
	s_or_b32 exec_lo, exec_lo, s18
.LBB303_734:                            ;   in Loop: Header=BB303_678 Depth=1
	s_or_b32 exec_lo, exec_lo, s17
.LBB303_735:                            ;   in Loop: Header=BB303_678 Depth=1
	s_or_b32 exec_lo, exec_lo, s0
	v_cmp_lt_u64_e32 vcc_lo, s[4:5], v[10:11]
	v_mov_b32_e32 v10, 0
	s_and_saveexec_b32 s0, vcc_lo
	s_cbranch_execz .LBB303_743
; %bb.736:                              ;   in Loop: Header=BB303_678 Depth=1
	v_lshrrev_b32_e32 v2, 24, v11
	v_bfrev_b32_e32 v10, 1
	s_mov_b32 s17, exec_lo
	v_cmpx_ne_u32_e32 0x80, v2
	s_cbranch_execz .LBB303_742
; %bb.737:                              ;   in Loop: Header=BB303_678 Depth=1
	v_and_b32_e32 v51, 0x7f, v2
	v_mov_b32_e32 v10, 0x7c010000
	s_mov_b32 s18, exec_lo
	v_cmpx_ne_u32_e32 0x7f, v51
	s_cbranch_execz .LBB303_741
; %bb.738:                              ;   in Loop: Header=BB303_678 Depth=1
	v_and_b32_e32 v10, 7, v2
	v_lshrrev_b32_e32 v11, 3, v51
	s_mov_b32 s21, exec_lo
	v_cmpx_gt_u32_e32 8, v51
; %bb.739:                              ;   in Loop: Header=BB303_678 Depth=1
	v_ffbh_u32_e32 v0, v10
	v_min_u32_e32 v0, 32, v0
	v_subrev_nc_u32_e32 v10, 28, v0
	v_lshlrev_b64 v[10:11], v10, v[2:3]
	v_sub_nc_u32_e32 v11, 29, v0
	v_and_b32_e32 v10, 7, v10
; %bb.740:                              ;   in Loop: Header=BB303_678 Depth=1
	s_or_b32 exec_lo, exec_lo, s21
	v_lshlrev_b32_e32 v0, 8, v2
	v_lshl_add_u32 v2, v11, 10, 0x2000
	v_and_or_b32 v0, 0x8000, v0, v2
	v_lshlrev_b32_e32 v2, 23, v10
	v_lshl_or_b32 v10, v0, 16, v2
.LBB303_741:                            ;   in Loop: Header=BB303_678 Depth=1
	s_or_b32 exec_lo, exec_lo, s18
.LBB303_742:                            ;   in Loop: Header=BB303_678 Depth=1
	s_or_b32 exec_lo, exec_lo, s17
.LBB303_743:                            ;   in Loop: Header=BB303_678 Depth=1
	s_or_b32 exec_lo, exec_lo, s0
	v_or_b32_e32 v0, v41, v35
	v_fma_mixlo_f16 v2, v36, v41, 0 op_sel:[0,1,0] op_sel_hi:[0,1,0]
	v_or_b32_e32 v13, v37, v39
	v_fma_mixlo_f16 v14, v36, v37, 0 op_sel:[0,1,0] op_sel_hi:[0,1,0]
	v_or_b32_e32 v37, v47, v45
	v_fma_mixlo_f16 v0, v36, v0, 0 op_sel_hi:[0,1,0]
	v_or_b32_e32 v39, v10, v43
	v_lshlrev_b32_e32 v11, 16, v2
	v_lshlrev_b32_e32 v57, 16, v14
	v_fma_mixlo_f16 v2, v36, v47, 0 op_sel:[0,1,0] op_sel_hi:[0,1,0]
	v_and_b32_e32 v54, 0xffff, v0
	v_fma_mixlo_f16 v0, v36, v13, 0 op_sel_hi:[0,1,0]
	v_fma_mixlo_f16 v13, v36, v37, 0 op_sel_hi:[0,1,0]
	v_fma_mixlo_f16 v10, v36, v10, 0 op_sel:[0,1,0] op_sel_hi:[0,1,0]
	v_fma_mixlo_f16 v14, v36, v39, 0 op_sel_hi:[0,1,0]
	v_add_nc_u32_e32 v35, v32, v15
	v_and_b32_e32 v59, 0xffff, v0
	v_lshlrev_b32_e32 v55, 16, v2
	v_and_b32_e32 v58, 0xffff, v13
	v_lshlrev_b32_e32 v52, 16, v10
	v_and_b32_e32 v56, 0xffff, v14
	v_cmp_eq_u32_e32 vcc_lo, s33, v1
	v_or_b32_e32 v2, v11, v54
	v_or_b32_e32 v10, v57, v59
	;; [unrolled: 1-line block ×4, first 2 shown]
	v_add_nc_u32_e32 v47, 1, v35
	v_add_nc_u32_e32 v45, 2, v35
	;; [unrolled: 1-line block ×7, first 2 shown]
	s_and_saveexec_b32 s17, vcc_lo
	s_cbranch_execz .LBB303_745
; %bb.744:                              ;   in Loop: Header=BB303_678 Depth=1
	v_cmp_gt_i32_e64 s0, s31, v35
	v_cndmask_b32_e64 v0, 0, v59, s0
	v_cmp_gt_i32_e64 s0, s31, v47
	v_cndmask_b32_e64 v2, 0, v57, s0
	v_cmp_gt_i32_e64 s0, s31, v45
	v_or_b32_e32 v10, v2, v0
	v_cndmask_b32_e64 v13, 0, v54, s0
	v_cmp_gt_i32_e64 s0, s31, v43
	v_cndmask_b32_e64 v11, 0, v11, s0
	v_cmp_gt_i32_e64 s0, s31, v41
	v_or_b32_e32 v2, v11, v13
	;; [unrolled: 5-line block ×3, first 2 shown]
	v_cndmask_b32_e64 v53, 0, v56, s0
	v_cmp_gt_i32_e64 s0, s31, v36
	v_cndmask_b32_e64 v52, 0, v52, s0
	v_or_b32_e32 v53, v52, v53
.LBB303_745:                            ;   in Loop: Header=BB303_678 Depth=1
	s_or_b32 exec_lo, exec_lo, s17
	v_and_b32_e32 v0, 0xffff, v38
	v_and_b32_e32 v11, 0xffff, v46
	;; [unrolled: 1-line block ×4, first 2 shown]
	v_mov_b32_e32 v50, 0
	v_lshl_or_b32 v48, v40, 16, v0
	;;#ASMSTART
	v_pk_mul_f16 v0, v48, v10;

	;;#ASMEND
	v_lshl_or_b32 v46, v42, 16, v11
	v_lshl_or_b32 v44, v44, 16, v13
	v_lshl_or_b32 v42, v49, 16, v14
	;;#ASMSTART
	v_pk_mul_f16 v2, v46, v2;

	;;#ASMEND
	;;#ASMSTART
	v_pk_mul_f16 v10, v44, v51;

	;;#ASMEND
	;; [unrolled: 4-line block ×3, first 2 shown]
	;;#ASMSTART
	v_pk_add_f16 v0, v0, v2;

	;;#ASMEND
	;;#ASMSTART
	v_pk_add_f16 v0, v0, v10;

	;;#ASMEND
	;; [unrolled: 4-line block ×3, first 2 shown]
	v_and_b32_e32 v2, 0xffff, v0
	v_lshrrev_b32_e32 v0, 16, v0
	;;#ASMSTART
	v_cvt_f32_f16 v38, v2;
	;;#ASMEND
	;;#ASMSTART
	v_cvt_f32_f16 v40, v0;
	;;#ASMEND
	global_load_dwordx2 v[10:11], v[8:9], off offset:256
	global_load_dword v49, v50, s[14:15]
	v_mov_b32_e32 v51, 0
	s_waitcnt vmcnt(1)
	v_cmp_ne_u16_sdwa s0, v10, v3 src0_sel:BYTE_0 src1_sel:DWORD
	s_and_saveexec_b32 s17, s0
	s_cbranch_execz .LBB303_753
; %bb.746:                              ;   in Loop: Header=BB303_678 Depth=1
	v_cmp_ne_u16_sdwa s0, v10, v28 src0_sel:BYTE_0 src1_sel:DWORD
	v_mov_b32_e32 v51, 0x8000
	s_and_saveexec_b32 s18, s0
	s_cbranch_execz .LBB303_752
; %bb.747:                              ;   in Loop: Header=BB303_678 Depth=1
	v_and_b32_e32 v52, 0x7f, v10
	v_mov_b32_e32 v51, 0x7c01
	s_mov_b32 s21, exec_lo
	v_cmpx_ne_u32_e32 0x7f, v52
	s_cbranch_execz .LBB303_751
; %bb.748:                              ;   in Loop: Header=BB303_678 Depth=1
	v_and_b32_e32 v2, 7, v10
	v_lshrrev_b32_e32 v51, 3, v52
	s_mov_b32 s22, exec_lo
	v_cmpx_gt_u32_e32 8, v52
; %bb.749:                              ;   in Loop: Header=BB303_678 Depth=1
	v_ffbh_u32_e32 v0, v2
	v_min_u32_e32 v0, 32, v0
	v_subrev_nc_u32_e32 v2, 28, v0
	v_sub_nc_u32_e32 v51, 29, v0
	v_lshlrev_b64 v[13:14], v2, v[10:11]
	v_and_b32_e32 v2, 7, v13
; %bb.750:                              ;   in Loop: Header=BB303_678 Depth=1
	s_or_b32 exec_lo, exec_lo, s22
	v_lshlrev_b32_e32 v0, 8, v10
	v_lshl_add_u32 v13, v51, 10, 0x2000
	v_lshlrev_b32_e32 v2, 7, v2
	v_and_b32_e32 v0, 0x8000, v0
	v_and_b32_e32 v13, 0xfc00, v13
	v_or3_b32 v51, v0, v13, v2
.LBB303_751:                            ;   in Loop: Header=BB303_678 Depth=1
	s_or_b32 exec_lo, exec_lo, s21
.LBB303_752:                            ;   in Loop: Header=BB303_678 Depth=1
	s_or_b32 exec_lo, exec_lo, s18
.LBB303_753:                            ;   in Loop: Header=BB303_678 Depth=1
	s_or_b32 exec_lo, exec_lo, s17
	v_lshrrev_b16 v2, 8, v10
	s_mov_b32 s17, exec_lo
	v_cmpx_ne_u16_e32 0, v2
	s_cbranch_execz .LBB303_761
; %bb.754:                              ;   in Loop: Header=BB303_678 Depth=1
	v_bfrev_b32_e32 v50, 1
	s_mov_b32 s18, exec_lo
	v_cmpx_ne_u16_e32 0x80, v2
	s_cbranch_execz .LBB303_760
; %bb.755:                              ;   in Loop: Header=BB303_678 Depth=1
	v_and_b32_sdwa v53, v2, v29 dst_sel:DWORD dst_unused:UNUSED_PAD src0_sel:WORD_0 src1_sel:DWORD
	v_mov_b32_e32 v50, 0x7c010000
	s_mov_b32 s21, exec_lo
	v_cmpx_ne_u32_e32 0x7f, v53
	s_cbranch_execz .LBB303_759
; %bb.756:                              ;   in Loop: Header=BB303_678 Depth=1
	v_and_b32_sdwa v50, v2, v30 dst_sel:DWORD dst_unused:UNUSED_PAD src0_sel:WORD_0 src1_sel:DWORD
	v_lshrrev_b32_e32 v52, 3, v53
	s_mov_b32 s22, exec_lo
	v_cmpx_gt_u32_e32 8, v53
; %bb.757:                              ;   in Loop: Header=BB303_678 Depth=1
	v_ffbh_u32_e32 v0, v50
	v_min_u32_e32 v0, 32, v0
	v_subrev_nc_u32_e32 v13, 28, v0
	v_sub_nc_u32_e32 v52, 29, v0
	v_lshlrev_b64 v[13:14], v13, v[2:3]
	v_and_b32_e32 v50, 7, v13
; %bb.758:                              ;   in Loop: Header=BB303_678 Depth=1
	s_or_b32 exec_lo, exec_lo, s22
	v_lshlrev_b32_sdwa v0, v31, v2 dst_sel:DWORD dst_unused:UNUSED_PAD src0_sel:DWORD src1_sel:WORD_0
	v_lshl_add_u32 v2, v52, 10, 0x2000
	v_and_or_b32 v0, 0x8000, v0, v2
	v_lshlrev_b32_e32 v2, 23, v50
	v_lshl_or_b32 v50, v0, 16, v2
.LBB303_759:                            ;   in Loop: Header=BB303_678 Depth=1
	s_or_b32 exec_lo, exec_lo, s21
.LBB303_760:                            ;   in Loop: Header=BB303_678 Depth=1
	s_or_b32 exec_lo, exec_lo, s18
.LBB303_761:                            ;   in Loop: Header=BB303_678 Depth=1
	s_or_b32 exec_lo, exec_lo, s17
	v_lshrrev_b32_e32 v2, 16, v10
	v_mov_b32_e32 v52, 0
	v_mov_b32_e32 v53, 0
	v_cmp_ne_u16_sdwa s0, v2, v3 src0_sel:BYTE_0 src1_sel:DWORD
	s_and_saveexec_b32 s17, s0
	s_cbranch_execz .LBB303_769
; %bb.762:                              ;   in Loop: Header=BB303_678 Depth=1
	v_cmp_ne_u16_sdwa s0, v2, v28 src0_sel:BYTE_0 src1_sel:DWORD
	v_mov_b32_e32 v53, 0x8000
	s_and_saveexec_b32 s18, s0
	s_cbranch_execz .LBB303_768
; %bb.763:                              ;   in Loop: Header=BB303_678 Depth=1
	v_bfe_u32 v55, v10, 16, 7
	v_mov_b32_e32 v53, 0x7c01
	s_mov_b32 s21, exec_lo
	v_cmpx_ne_u32_e32 0x7f, v55
	s_cbranch_execz .LBB303_767
; %bb.764:                              ;   in Loop: Header=BB303_678 Depth=1
	v_and_b32_e32 v53, 7, v2
	v_lshrrev_b32_e32 v54, 3, v55
	s_mov_b32 s22, exec_lo
	v_cmpx_gt_u32_e32 8, v55
; %bb.765:                              ;   in Loop: Header=BB303_678 Depth=1
	v_ffbh_u32_e32 v0, v53
	v_min_u32_e32 v0, 32, v0
	v_subrev_nc_u32_e32 v13, 28, v0
	v_sub_nc_u32_e32 v54, 29, v0
	v_lshlrev_b64 v[13:14], v13, v[2:3]
	v_and_b32_e32 v53, 7, v13
; %bb.766:                              ;   in Loop: Header=BB303_678 Depth=1
	s_or_b32 exec_lo, exec_lo, s22
	v_lshlrev_b32_e32 v0, 8, v2
	v_lshl_add_u32 v2, v54, 10, 0x2000
	v_lshlrev_b32_e32 v13, 7, v53
	v_and_b32_e32 v0, 0x8000, v0
	v_and_b32_e32 v2, 0xfc00, v2
	v_or3_b32 v53, v0, v2, v13
.LBB303_767:                            ;   in Loop: Header=BB303_678 Depth=1
	s_or_b32 exec_lo, exec_lo, s21
.LBB303_768:                            ;   in Loop: Header=BB303_678 Depth=1
	s_or_b32 exec_lo, exec_lo, s18
.LBB303_769:                            ;   in Loop: Header=BB303_678 Depth=1
	s_or_b32 exec_lo, exec_lo, s17
	s_mov_b32 s17, exec_lo
	v_cmpx_lt_u32_e32 0xffffff, v10
	s_cbranch_execz .LBB303_777
; %bb.770:                              ;   in Loop: Header=BB303_678 Depth=1
	v_lshrrev_b32_e32 v2, 24, v10
	v_bfrev_b32_e32 v52, 1
	s_mov_b32 s18, exec_lo
	v_cmpx_ne_u32_e32 0x80, v2
	s_cbranch_execz .LBB303_776
; %bb.771:                              ;   in Loop: Header=BB303_678 Depth=1
	v_and_b32_e32 v55, 0x7f, v2
	v_mov_b32_e32 v52, 0x7c010000
	s_mov_b32 s21, exec_lo
	v_cmpx_ne_u32_e32 0x7f, v55
	s_cbranch_execz .LBB303_775
; %bb.772:                              ;   in Loop: Header=BB303_678 Depth=1
	v_and_b32_e32 v52, 7, v2
	v_lshrrev_b32_e32 v54, 3, v55
	s_mov_b32 s22, exec_lo
	v_cmpx_gt_u32_e32 8, v55
; %bb.773:                              ;   in Loop: Header=BB303_678 Depth=1
	v_ffbh_u32_e32 v0, v52
	v_min_u32_e32 v0, 32, v0
	v_subrev_nc_u32_e32 v13, 28, v0
	v_sub_nc_u32_e32 v54, 29, v0
	v_lshlrev_b64 v[13:14], v13, v[2:3]
	v_and_b32_e32 v52, 7, v13
; %bb.774:                              ;   in Loop: Header=BB303_678 Depth=1
	s_or_b32 exec_lo, exec_lo, s22
	v_lshlrev_b32_e32 v0, 8, v2
	v_lshl_add_u32 v2, v54, 10, 0x2000
	v_and_or_b32 v0, 0x8000, v0, v2
	v_lshlrev_b32_e32 v2, 23, v52
	v_lshl_or_b32 v52, v0, 16, v2
.LBB303_775:                            ;   in Loop: Header=BB303_678 Depth=1
	s_or_b32 exec_lo, exec_lo, s21
.LBB303_776:                            ;   in Loop: Header=BB303_678 Depth=1
	s_or_b32 exec_lo, exec_lo, s18
.LBB303_777:                            ;   in Loop: Header=BB303_678 Depth=1
	s_or_b32 exec_lo, exec_lo, s17
	v_mov_b32_e32 v2, v11
	v_cmp_ne_u16_sdwa s0, v11, v3 src0_sel:BYTE_0 src1_sel:DWORD
	v_mov_b32_e32 v54, 0
	v_mov_b32_e32 v55, 0
	s_and_saveexec_b32 s17, s0
	s_cbranch_execz .LBB303_785
; %bb.778:                              ;   in Loop: Header=BB303_678 Depth=1
	v_cmp_ne_u16_sdwa s0, v11, v28 src0_sel:BYTE_0 src1_sel:DWORD
	v_mov_b32_e32 v55, 0x8000
	s_and_saveexec_b32 s18, s0
	s_cbranch_execz .LBB303_784
; %bb.779:                              ;   in Loop: Header=BB303_678 Depth=1
	v_and_b32_e32 v57, 0x7f, v11
	v_mov_b32_e32 v55, 0x7c01
	s_mov_b32 s21, exec_lo
	v_cmpx_ne_u32_e32 0x7f, v57
	s_cbranch_execz .LBB303_783
; %bb.780:                              ;   in Loop: Header=BB303_678 Depth=1
	v_and_b32_e32 v55, 7, v11
	v_lshrrev_b32_e32 v56, 3, v57
	s_mov_b32 s22, exec_lo
	v_cmpx_gt_u32_e32 8, v57
; %bb.781:                              ;   in Loop: Header=BB303_678 Depth=1
	v_ffbh_u32_e32 v0, v55
	v_min_u32_e32 v0, 32, v0
	v_subrev_nc_u32_e32 v13, 28, v0
	v_sub_nc_u32_e32 v56, 29, v0
	v_lshlrev_b64 v[13:14], v13, v[2:3]
	v_and_b32_e32 v55, 7, v13
; %bb.782:                              ;   in Loop: Header=BB303_678 Depth=1
	s_or_b32 exec_lo, exec_lo, s22
	v_lshlrev_b32_e32 v0, 8, v11
	v_lshl_add_u32 v13, v56, 10, 0x2000
	v_lshlrev_b32_e32 v14, 7, v55
	v_and_b32_e32 v0, 0x8000, v0
	v_and_b32_e32 v13, 0xfc00, v13
	v_or3_b32 v55, v0, v13, v14
.LBB303_783:                            ;   in Loop: Header=BB303_678 Depth=1
	s_or_b32 exec_lo, exec_lo, s21
.LBB303_784:                            ;   in Loop: Header=BB303_678 Depth=1
	s_or_b32 exec_lo, exec_lo, s18
.LBB303_785:                            ;   in Loop: Header=BB303_678 Depth=1
	s_or_b32 exec_lo, exec_lo, s17
	v_lshrrev_b16 v2, 8, v2
	v_mov_b32_e32 v56, 0
	s_mov_b32 s17, exec_lo
	v_cmpx_ne_u16_e32 0, v2
	s_cbranch_execz .LBB303_793
; %bb.786:                              ;   in Loop: Header=BB303_678 Depth=1
	v_bfrev_b32_e32 v56, 1
	s_mov_b32 s18, exec_lo
	v_cmpx_ne_u16_e32 0x80, v2
	s_cbranch_execz .LBB303_792
; %bb.787:                              ;   in Loop: Header=BB303_678 Depth=1
	v_and_b32_sdwa v58, v2, v29 dst_sel:DWORD dst_unused:UNUSED_PAD src0_sel:WORD_0 src1_sel:DWORD
	v_mov_b32_e32 v56, 0x7c010000
	s_mov_b32 s21, exec_lo
	v_cmpx_ne_u32_e32 0x7f, v58
	s_cbranch_execz .LBB303_791
; %bb.788:                              ;   in Loop: Header=BB303_678 Depth=1
	v_and_b32_sdwa v56, v2, v30 dst_sel:DWORD dst_unused:UNUSED_PAD src0_sel:WORD_0 src1_sel:DWORD
	v_lshrrev_b32_e32 v57, 3, v58
	s_mov_b32 s22, exec_lo
	v_cmpx_gt_u32_e32 8, v58
; %bb.789:                              ;   in Loop: Header=BB303_678 Depth=1
	v_ffbh_u32_e32 v0, v56
	v_min_u32_e32 v0, 32, v0
	v_subrev_nc_u32_e32 v13, 28, v0
	v_sub_nc_u32_e32 v57, 29, v0
	v_lshlrev_b64 v[13:14], v13, v[2:3]
	v_and_b32_e32 v56, 7, v13
; %bb.790:                              ;   in Loop: Header=BB303_678 Depth=1
	s_or_b32 exec_lo, exec_lo, s22
	v_lshlrev_b32_sdwa v0, v31, v2 dst_sel:DWORD dst_unused:UNUSED_PAD src0_sel:DWORD src1_sel:WORD_0
	v_lshl_add_u32 v2, v57, 10, 0x2000
	v_and_or_b32 v0, 0x8000, v0, v2
	v_lshlrev_b32_e32 v2, 23, v56
	v_lshl_or_b32 v56, v0, 16, v2
.LBB303_791:                            ;   in Loop: Header=BB303_678 Depth=1
	s_or_b32 exec_lo, exec_lo, s21
.LBB303_792:                            ;   in Loop: Header=BB303_678 Depth=1
	s_or_b32 exec_lo, exec_lo, s18
.LBB303_793:                            ;   in Loop: Header=BB303_678 Depth=1
	s_or_b32 exec_lo, exec_lo, s17
	v_lshrrev_b32_e32 v2, 16, v11
	v_cmp_ne_u16_sdwa s0, v2, v3 src0_sel:BYTE_0 src1_sel:DWORD
	s_and_saveexec_b32 s17, s0
	s_cbranch_execz .LBB303_801
; %bb.794:                              ;   in Loop: Header=BB303_678 Depth=1
	v_cmp_ne_u16_sdwa s0, v2, v28 src0_sel:BYTE_0 src1_sel:DWORD
	v_mov_b32_e32 v54, 0x8000
	s_and_saveexec_b32 s18, s0
	s_cbranch_execz .LBB303_800
; %bb.795:                              ;   in Loop: Header=BB303_678 Depth=1
	v_bfe_u32 v58, v11, 16, 7
	v_mov_b32_e32 v54, 0x7c01
	s_mov_b32 s21, exec_lo
	v_cmpx_ne_u32_e32 0x7f, v58
	s_cbranch_execz .LBB303_799
; %bb.796:                              ;   in Loop: Header=BB303_678 Depth=1
	v_and_b32_e32 v54, 7, v2
	v_lshrrev_b32_e32 v57, 3, v58
	s_mov_b32 s22, exec_lo
	v_cmpx_gt_u32_e32 8, v58
; %bb.797:                              ;   in Loop: Header=BB303_678 Depth=1
	v_ffbh_u32_e32 v0, v54
	v_min_u32_e32 v0, 32, v0
	v_subrev_nc_u32_e32 v13, 28, v0
	v_sub_nc_u32_e32 v57, 29, v0
	v_lshlrev_b64 v[13:14], v13, v[2:3]
	v_and_b32_e32 v54, 7, v13
; %bb.798:                              ;   in Loop: Header=BB303_678 Depth=1
	s_or_b32 exec_lo, exec_lo, s22
	v_lshlrev_b32_e32 v0, 8, v2
	v_lshl_add_u32 v2, v57, 10, 0x2000
	v_lshlrev_b32_e32 v13, 7, v54
	v_and_b32_e32 v0, 0x8000, v0
	v_and_b32_e32 v2, 0xfc00, v2
	v_or3_b32 v54, v0, v2, v13
.LBB303_799:                            ;   in Loop: Header=BB303_678 Depth=1
	s_or_b32 exec_lo, exec_lo, s21
.LBB303_800:                            ;   in Loop: Header=BB303_678 Depth=1
	s_or_b32 exec_lo, exec_lo, s18
.LBB303_801:                            ;   in Loop: Header=BB303_678 Depth=1
	s_or_b32 exec_lo, exec_lo, s17
	v_cmp_lt_u64_e64 s0, s[4:5], v[10:11]
	v_mov_b32_e32 v10, 0
	s_and_saveexec_b32 s17, s0
	s_cbranch_execz .LBB303_809
; %bb.802:                              ;   in Loop: Header=BB303_678 Depth=1
	v_lshrrev_b32_e32 v2, 24, v11
	v_bfrev_b32_e32 v10, 1
	s_mov_b32 s18, exec_lo
	v_cmpx_ne_u32_e32 0x80, v2
	s_cbranch_execz .LBB303_808
; %bb.803:                              ;   in Loop: Header=BB303_678 Depth=1
	v_and_b32_e32 v57, 0x7f, v2
	v_mov_b32_e32 v10, 0x7c010000
	s_mov_b32 s21, exec_lo
	v_cmpx_ne_u32_e32 0x7f, v57
	s_cbranch_execz .LBB303_807
; %bb.804:                              ;   in Loop: Header=BB303_678 Depth=1
	v_and_b32_e32 v10, 7, v2
	v_lshrrev_b32_e32 v11, 3, v57
	s_mov_b32 s22, exec_lo
	v_cmpx_gt_u32_e32 8, v57
; %bb.805:                              ;   in Loop: Header=BB303_678 Depth=1
	v_ffbh_u32_e32 v0, v10
	v_min_u32_e32 v0, 32, v0
	v_subrev_nc_u32_e32 v10, 28, v0
	v_lshlrev_b64 v[10:11], v10, v[2:3]
	v_sub_nc_u32_e32 v11, 29, v0
	v_and_b32_e32 v10, 7, v10
; %bb.806:                              ;   in Loop: Header=BB303_678 Depth=1
	s_or_b32 exec_lo, exec_lo, s22
	v_lshlrev_b32_e32 v0, 8, v2
	v_lshl_add_u32 v2, v11, 10, 0x2000
	v_and_or_b32 v0, 0x8000, v0, v2
	v_lshlrev_b32_e32 v2, 23, v10
	v_lshl_or_b32 v10, v0, 16, v2
.LBB303_807:                            ;   in Loop: Header=BB303_678 Depth=1
	s_or_b32 exec_lo, exec_lo, s21
.LBB303_808:                            ;   in Loop: Header=BB303_678 Depth=1
	s_or_b32 exec_lo, exec_lo, s18
.LBB303_809:                            ;   in Loop: Header=BB303_678 Depth=1
	s_or_b32 exec_lo, exec_lo, s17
	v_or_b32_e32 v0, v52, v53
	v_or_b32_e32 v11, v50, v51
	s_waitcnt vmcnt(0)
	v_fma_mixlo_f16 v13, v49, v50, 0 op_sel:[0,1,0] op_sel_hi:[0,1,0]
	v_or_b32_e32 v14, v56, v55
	v_or_b32_e32 v50, v10, v54
	v_fma_mixlo_f16 v0, v49, v0, 0 op_sel_hi:[0,1,0]
	v_fma_mixlo_f16 v2, v49, v52, 0 op_sel:[0,1,0] op_sel_hi:[0,1,0]
	v_lshlrev_b32_e32 v51, 16, v13
	v_fma_mixlo_f16 v13, v49, v11, 0 op_sel_hi:[0,1,0]
	v_fma_mixlo_f16 v14, v49, v14, 0 op_sel_hi:[0,1,0]
	v_and_b32_e32 v11, 0xffff, v0
	v_fma_mixlo_f16 v0, v49, v56, 0 op_sel:[0,1,0] op_sel_hi:[0,1,0]
	v_fma_mixlo_f16 v10, v49, v10, 0 op_sel:[0,1,0] op_sel_hi:[0,1,0]
	v_fma_mixlo_f16 v50, v49, v50, 0 op_sel_hi:[0,1,0]
	v_lshlrev_b32_e32 v2, 16, v2
	v_and_b32_e32 v57, 0xffff, v13
	v_lshlrev_b32_e32 v49, 16, v0
	v_and_b32_e32 v53, 0xffff, v14
	;; [unrolled: 2-line block ×3, first 2 shown]
	v_or_b32_e32 v52, v2, v11
	v_or_b32_e32 v56, v51, v57
	;; [unrolled: 1-line block ×4, first 2 shown]
	s_and_saveexec_b32 s17, vcc_lo
	s_cbranch_execz .LBB303_811
; %bb.810:                              ;   in Loop: Header=BB303_678 Depth=1
	v_cmp_gt_i32_e64 s0, s31, v35
	v_cndmask_b32_e64 v0, 0, v57, s0
	v_cmp_gt_i32_e64 s0, s31, v47
	v_cndmask_b32_e64 v13, 0, v51, s0
	v_cmp_gt_i32_e64 s0, s31, v45
	v_or_b32_e32 v56, v13, v0
	v_cndmask_b32_e64 v11, 0, v11, s0
	v_cmp_gt_i32_e64 s0, s31, v43
	v_cndmask_b32_e64 v2, 0, v2, s0
	v_cmp_gt_i32_e64 s0, s31, v41
	v_or_b32_e32 v52, v2, v11
	;; [unrolled: 5-line block ×3, first 2 shown]
	v_cndmask_b32_e64 v50, 0, v50, s0
	v_cmp_gt_i32_e64 s0, s31, v36
	v_cndmask_b32_e64 v10, 0, v10, s0
	v_or_b32_e32 v54, v10, v50
.LBB303_811:                            ;   in Loop: Header=BB303_678 Depth=1
	s_or_b32 exec_lo, exec_lo, s17
	;;#ASMSTART
	v_pk_mul_f16 v0, v48, v56;

	;;#ASMEND
	;;#ASMSTART
	v_pk_mul_f16 v2, v46, v52;

	;;#ASMEND
	;;#ASMSTART
	v_pk_mul_f16 v10, v44, v55;

	;;#ASMEND
	;;#ASMSTART
	v_pk_mul_f16 v11, v42, v54;

	;;#ASMEND
	;;#ASMSTART
	v_pk_add_f16 v0, v0, v2;

	;;#ASMEND
	;;#ASMSTART
	v_pk_add_f16 v0, v0, v10;

	;;#ASMEND
	;; [unrolled: 4-line block ×3, first 2 shown]
	v_and_b32_e32 v2, 0xffff, v0
	v_lshrrev_b32_e32 v0, 16, v0
	;;#ASMSTART
	v_cvt_f32_f16 v49, v2;
	;;#ASMEND
	;;#ASMSTART
	v_cvt_f32_f16 v50, v0;
	;;#ASMEND
	global_load_dwordx2 v[10:11], v[8:9], off offset:512
	v_mov_b32_e32 v52, 0
	v_mov_b32_e32 v53, 0
	global_load_dword v51, v52, s[14:15]
	s_waitcnt vmcnt(1)
	v_cmp_ne_u16_sdwa s0, v10, v3 src0_sel:BYTE_0 src1_sel:DWORD
	s_and_saveexec_b32 s17, s0
	s_cbranch_execz .LBB303_819
; %bb.812:                              ;   in Loop: Header=BB303_678 Depth=1
	v_cmp_ne_u16_sdwa s0, v10, v28 src0_sel:BYTE_0 src1_sel:DWORD
	v_mov_b32_e32 v53, 0x8000
	s_and_saveexec_b32 s18, s0
	s_cbranch_execz .LBB303_818
; %bb.813:                              ;   in Loop: Header=BB303_678 Depth=1
	v_and_b32_e32 v54, 0x7f, v10
	v_mov_b32_e32 v53, 0x7c01
	s_mov_b32 s21, exec_lo
	v_cmpx_ne_u32_e32 0x7f, v54
	s_cbranch_execz .LBB303_817
; %bb.814:                              ;   in Loop: Header=BB303_678 Depth=1
	v_and_b32_e32 v2, 7, v10
	v_lshrrev_b32_e32 v53, 3, v54
	s_mov_b32 s22, exec_lo
	v_cmpx_gt_u32_e32 8, v54
; %bb.815:                              ;   in Loop: Header=BB303_678 Depth=1
	v_ffbh_u32_e32 v0, v2
	v_min_u32_e32 v0, 32, v0
	v_subrev_nc_u32_e32 v2, 28, v0
	v_sub_nc_u32_e32 v53, 29, v0
	v_lshlrev_b64 v[13:14], v2, v[10:11]
	v_and_b32_e32 v2, 7, v13
; %bb.816:                              ;   in Loop: Header=BB303_678 Depth=1
	s_or_b32 exec_lo, exec_lo, s22
	v_lshlrev_b32_e32 v0, 8, v10
	v_lshl_add_u32 v13, v53, 10, 0x2000
	v_lshlrev_b32_e32 v2, 7, v2
	v_and_b32_e32 v0, 0x8000, v0
	v_and_b32_e32 v13, 0xfc00, v13
	v_or3_b32 v53, v0, v13, v2
.LBB303_817:                            ;   in Loop: Header=BB303_678 Depth=1
	s_or_b32 exec_lo, exec_lo, s21
.LBB303_818:                            ;   in Loop: Header=BB303_678 Depth=1
	s_or_b32 exec_lo, exec_lo, s18
.LBB303_819:                            ;   in Loop: Header=BB303_678 Depth=1
	s_or_b32 exec_lo, exec_lo, s17
	v_lshrrev_b16 v2, 8, v10
	s_mov_b32 s17, exec_lo
	v_cmpx_ne_u16_e32 0, v2
	s_cbranch_execz .LBB303_827
; %bb.820:                              ;   in Loop: Header=BB303_678 Depth=1
	v_bfrev_b32_e32 v52, 1
	s_mov_b32 s18, exec_lo
	v_cmpx_ne_u16_e32 0x80, v2
	s_cbranch_execz .LBB303_826
; %bb.821:                              ;   in Loop: Header=BB303_678 Depth=1
	v_and_b32_sdwa v55, v2, v29 dst_sel:DWORD dst_unused:UNUSED_PAD src0_sel:WORD_0 src1_sel:DWORD
	v_mov_b32_e32 v52, 0x7c010000
	s_mov_b32 s21, exec_lo
	v_cmpx_ne_u32_e32 0x7f, v55
	s_cbranch_execz .LBB303_825
; %bb.822:                              ;   in Loop: Header=BB303_678 Depth=1
	v_and_b32_sdwa v52, v2, v30 dst_sel:DWORD dst_unused:UNUSED_PAD src0_sel:WORD_0 src1_sel:DWORD
	v_lshrrev_b32_e32 v54, 3, v55
	s_mov_b32 s22, exec_lo
	v_cmpx_gt_u32_e32 8, v55
; %bb.823:                              ;   in Loop: Header=BB303_678 Depth=1
	v_ffbh_u32_e32 v0, v52
	v_min_u32_e32 v0, 32, v0
	v_subrev_nc_u32_e32 v13, 28, v0
	v_sub_nc_u32_e32 v54, 29, v0
	v_lshlrev_b64 v[13:14], v13, v[2:3]
	v_and_b32_e32 v52, 7, v13
; %bb.824:                              ;   in Loop: Header=BB303_678 Depth=1
	s_or_b32 exec_lo, exec_lo, s22
	v_lshlrev_b32_sdwa v0, v31, v2 dst_sel:DWORD dst_unused:UNUSED_PAD src0_sel:DWORD src1_sel:WORD_0
	v_lshl_add_u32 v2, v54, 10, 0x2000
	v_and_or_b32 v0, 0x8000, v0, v2
	v_lshlrev_b32_e32 v2, 23, v52
	v_lshl_or_b32 v52, v0, 16, v2
.LBB303_825:                            ;   in Loop: Header=BB303_678 Depth=1
	s_or_b32 exec_lo, exec_lo, s21
.LBB303_826:                            ;   in Loop: Header=BB303_678 Depth=1
	s_or_b32 exec_lo, exec_lo, s18
.LBB303_827:                            ;   in Loop: Header=BB303_678 Depth=1
	s_or_b32 exec_lo, exec_lo, s17
	v_lshrrev_b32_e32 v2, 16, v10
	v_mov_b32_e32 v54, 0
	v_mov_b32_e32 v55, 0
	v_cmp_ne_u16_sdwa s0, v2, v3 src0_sel:BYTE_0 src1_sel:DWORD
	s_and_saveexec_b32 s17, s0
	s_cbranch_execz .LBB303_835
; %bb.828:                              ;   in Loop: Header=BB303_678 Depth=1
	v_cmp_ne_u16_sdwa s0, v2, v28 src0_sel:BYTE_0 src1_sel:DWORD
	v_mov_b32_e32 v55, 0x8000
	s_and_saveexec_b32 s18, s0
	s_cbranch_execz .LBB303_834
; %bb.829:                              ;   in Loop: Header=BB303_678 Depth=1
	v_bfe_u32 v57, v10, 16, 7
	v_mov_b32_e32 v55, 0x7c01
	s_mov_b32 s21, exec_lo
	v_cmpx_ne_u32_e32 0x7f, v57
	s_cbranch_execz .LBB303_833
; %bb.830:                              ;   in Loop: Header=BB303_678 Depth=1
	v_and_b32_e32 v55, 7, v2
	v_lshrrev_b32_e32 v56, 3, v57
	s_mov_b32 s22, exec_lo
	v_cmpx_gt_u32_e32 8, v57
; %bb.831:                              ;   in Loop: Header=BB303_678 Depth=1
	v_ffbh_u32_e32 v0, v55
	v_min_u32_e32 v0, 32, v0
	v_subrev_nc_u32_e32 v13, 28, v0
	v_sub_nc_u32_e32 v56, 29, v0
	v_lshlrev_b64 v[13:14], v13, v[2:3]
	v_and_b32_e32 v55, 7, v13
; %bb.832:                              ;   in Loop: Header=BB303_678 Depth=1
	s_or_b32 exec_lo, exec_lo, s22
	v_lshlrev_b32_e32 v0, 8, v2
	v_lshl_add_u32 v2, v56, 10, 0x2000
	v_lshlrev_b32_e32 v13, 7, v55
	v_and_b32_e32 v0, 0x8000, v0
	v_and_b32_e32 v2, 0xfc00, v2
	v_or3_b32 v55, v0, v2, v13
.LBB303_833:                            ;   in Loop: Header=BB303_678 Depth=1
	s_or_b32 exec_lo, exec_lo, s21
.LBB303_834:                            ;   in Loop: Header=BB303_678 Depth=1
	s_or_b32 exec_lo, exec_lo, s18
.LBB303_835:                            ;   in Loop: Header=BB303_678 Depth=1
	s_or_b32 exec_lo, exec_lo, s17
	s_mov_b32 s17, exec_lo
	v_cmpx_lt_u32_e32 0xffffff, v10
	s_cbranch_execz .LBB303_843
; %bb.836:                              ;   in Loop: Header=BB303_678 Depth=1
	v_lshrrev_b32_e32 v2, 24, v10
	v_bfrev_b32_e32 v54, 1
	s_mov_b32 s18, exec_lo
	v_cmpx_ne_u32_e32 0x80, v2
	s_cbranch_execz .LBB303_842
; %bb.837:                              ;   in Loop: Header=BB303_678 Depth=1
	v_and_b32_e32 v57, 0x7f, v2
	v_mov_b32_e32 v54, 0x7c010000
	s_mov_b32 s21, exec_lo
	v_cmpx_ne_u32_e32 0x7f, v57
	s_cbranch_execz .LBB303_841
; %bb.838:                              ;   in Loop: Header=BB303_678 Depth=1
	v_and_b32_e32 v54, 7, v2
	v_lshrrev_b32_e32 v56, 3, v57
	s_mov_b32 s22, exec_lo
	v_cmpx_gt_u32_e32 8, v57
; %bb.839:                              ;   in Loop: Header=BB303_678 Depth=1
	v_ffbh_u32_e32 v0, v54
	v_min_u32_e32 v0, 32, v0
	v_subrev_nc_u32_e32 v13, 28, v0
	v_sub_nc_u32_e32 v56, 29, v0
	v_lshlrev_b64 v[13:14], v13, v[2:3]
	v_and_b32_e32 v54, 7, v13
; %bb.840:                              ;   in Loop: Header=BB303_678 Depth=1
	s_or_b32 exec_lo, exec_lo, s22
	v_lshlrev_b32_e32 v0, 8, v2
	v_lshl_add_u32 v2, v56, 10, 0x2000
	v_and_or_b32 v0, 0x8000, v0, v2
	v_lshlrev_b32_e32 v2, 23, v54
	v_lshl_or_b32 v54, v0, 16, v2
.LBB303_841:                            ;   in Loop: Header=BB303_678 Depth=1
	s_or_b32 exec_lo, exec_lo, s21
.LBB303_842:                            ;   in Loop: Header=BB303_678 Depth=1
	s_or_b32 exec_lo, exec_lo, s18
.LBB303_843:                            ;   in Loop: Header=BB303_678 Depth=1
	s_or_b32 exec_lo, exec_lo, s17
	v_mov_b32_e32 v2, v11
	v_cmp_ne_u16_sdwa s0, v11, v3 src0_sel:BYTE_0 src1_sel:DWORD
	v_mov_b32_e32 v56, 0
	v_mov_b32_e32 v57, 0
	s_and_saveexec_b32 s17, s0
	s_cbranch_execz .LBB303_851
; %bb.844:                              ;   in Loop: Header=BB303_678 Depth=1
	v_cmp_ne_u16_sdwa s0, v11, v28 src0_sel:BYTE_0 src1_sel:DWORD
	v_mov_b32_e32 v57, 0x8000
	s_and_saveexec_b32 s18, s0
	s_cbranch_execz .LBB303_850
; %bb.845:                              ;   in Loop: Header=BB303_678 Depth=1
	v_and_b32_e32 v59, 0x7f, v11
	v_mov_b32_e32 v57, 0x7c01
	s_mov_b32 s21, exec_lo
	v_cmpx_ne_u32_e32 0x7f, v59
	s_cbranch_execz .LBB303_849
; %bb.846:                              ;   in Loop: Header=BB303_678 Depth=1
	v_and_b32_e32 v57, 7, v11
	v_lshrrev_b32_e32 v58, 3, v59
	s_mov_b32 s22, exec_lo
	v_cmpx_gt_u32_e32 8, v59
; %bb.847:                              ;   in Loop: Header=BB303_678 Depth=1
	v_ffbh_u32_e32 v0, v57
	v_min_u32_e32 v0, 32, v0
	v_subrev_nc_u32_e32 v13, 28, v0
	v_sub_nc_u32_e32 v58, 29, v0
	v_lshlrev_b64 v[13:14], v13, v[2:3]
	v_and_b32_e32 v57, 7, v13
; %bb.848:                              ;   in Loop: Header=BB303_678 Depth=1
	s_or_b32 exec_lo, exec_lo, s22
	v_lshlrev_b32_e32 v0, 8, v11
	v_lshl_add_u32 v13, v58, 10, 0x2000
	v_lshlrev_b32_e32 v14, 7, v57
	v_and_b32_e32 v0, 0x8000, v0
	v_and_b32_e32 v13, 0xfc00, v13
	v_or3_b32 v57, v0, v13, v14
.LBB303_849:                            ;   in Loop: Header=BB303_678 Depth=1
	s_or_b32 exec_lo, exec_lo, s21
.LBB303_850:                            ;   in Loop: Header=BB303_678 Depth=1
	s_or_b32 exec_lo, exec_lo, s18
.LBB303_851:                            ;   in Loop: Header=BB303_678 Depth=1
	s_or_b32 exec_lo, exec_lo, s17
	v_lshrrev_b16 v2, 8, v2
	v_mov_b32_e32 v58, 0
	s_mov_b32 s17, exec_lo
	v_cmpx_ne_u16_e32 0, v2
	s_cbranch_execz .LBB303_859
; %bb.852:                              ;   in Loop: Header=BB303_678 Depth=1
	v_bfrev_b32_e32 v58, 1
	s_mov_b32 s18, exec_lo
	v_cmpx_ne_u16_e32 0x80, v2
	s_cbranch_execz .LBB303_858
; %bb.853:                              ;   in Loop: Header=BB303_678 Depth=1
	v_and_b32_sdwa v60, v2, v29 dst_sel:DWORD dst_unused:UNUSED_PAD src0_sel:WORD_0 src1_sel:DWORD
	v_mov_b32_e32 v58, 0x7c010000
	s_mov_b32 s21, exec_lo
	v_cmpx_ne_u32_e32 0x7f, v60
	s_cbranch_execz .LBB303_857
; %bb.854:                              ;   in Loop: Header=BB303_678 Depth=1
	v_and_b32_sdwa v58, v2, v30 dst_sel:DWORD dst_unused:UNUSED_PAD src0_sel:WORD_0 src1_sel:DWORD
	v_lshrrev_b32_e32 v59, 3, v60
	s_mov_b32 s22, exec_lo
	v_cmpx_gt_u32_e32 8, v60
; %bb.855:                              ;   in Loop: Header=BB303_678 Depth=1
	v_ffbh_u32_e32 v0, v58
	v_min_u32_e32 v0, 32, v0
	v_subrev_nc_u32_e32 v13, 28, v0
	v_sub_nc_u32_e32 v59, 29, v0
	v_lshlrev_b64 v[13:14], v13, v[2:3]
	v_and_b32_e32 v58, 7, v13
; %bb.856:                              ;   in Loop: Header=BB303_678 Depth=1
	s_or_b32 exec_lo, exec_lo, s22
	v_lshlrev_b32_sdwa v0, v31, v2 dst_sel:DWORD dst_unused:UNUSED_PAD src0_sel:DWORD src1_sel:WORD_0
	v_lshl_add_u32 v2, v59, 10, 0x2000
	v_and_or_b32 v0, 0x8000, v0, v2
	v_lshlrev_b32_e32 v2, 23, v58
	v_lshl_or_b32 v58, v0, 16, v2
.LBB303_857:                            ;   in Loop: Header=BB303_678 Depth=1
	s_or_b32 exec_lo, exec_lo, s21
.LBB303_858:                            ;   in Loop: Header=BB303_678 Depth=1
	s_or_b32 exec_lo, exec_lo, s18
.LBB303_859:                            ;   in Loop: Header=BB303_678 Depth=1
	s_or_b32 exec_lo, exec_lo, s17
	v_lshrrev_b32_e32 v2, 16, v11
	v_cmp_ne_u16_sdwa s0, v2, v3 src0_sel:BYTE_0 src1_sel:DWORD
	s_and_saveexec_b32 s17, s0
	s_cbranch_execz .LBB303_867
; %bb.860:                              ;   in Loop: Header=BB303_678 Depth=1
	v_cmp_ne_u16_sdwa s0, v2, v28 src0_sel:BYTE_0 src1_sel:DWORD
	v_mov_b32_e32 v56, 0x8000
	s_and_saveexec_b32 s18, s0
	s_cbranch_execz .LBB303_866
; %bb.861:                              ;   in Loop: Header=BB303_678 Depth=1
	v_bfe_u32 v60, v11, 16, 7
	v_mov_b32_e32 v56, 0x7c01
	s_mov_b32 s21, exec_lo
	v_cmpx_ne_u32_e32 0x7f, v60
	s_cbranch_execz .LBB303_865
; %bb.862:                              ;   in Loop: Header=BB303_678 Depth=1
	v_and_b32_e32 v56, 7, v2
	v_lshrrev_b32_e32 v59, 3, v60
	s_mov_b32 s22, exec_lo
	v_cmpx_gt_u32_e32 8, v60
; %bb.863:                              ;   in Loop: Header=BB303_678 Depth=1
	v_ffbh_u32_e32 v0, v56
	v_min_u32_e32 v0, 32, v0
	v_subrev_nc_u32_e32 v13, 28, v0
	v_sub_nc_u32_e32 v59, 29, v0
	v_lshlrev_b64 v[13:14], v13, v[2:3]
	v_and_b32_e32 v56, 7, v13
; %bb.864:                              ;   in Loop: Header=BB303_678 Depth=1
	s_or_b32 exec_lo, exec_lo, s22
	v_lshlrev_b32_e32 v0, 8, v2
	v_lshl_add_u32 v2, v59, 10, 0x2000
	v_lshlrev_b32_e32 v13, 7, v56
	v_and_b32_e32 v0, 0x8000, v0
	v_and_b32_e32 v2, 0xfc00, v2
	v_or3_b32 v56, v0, v2, v13
.LBB303_865:                            ;   in Loop: Header=BB303_678 Depth=1
	s_or_b32 exec_lo, exec_lo, s21
.LBB303_866:                            ;   in Loop: Header=BB303_678 Depth=1
	s_or_b32 exec_lo, exec_lo, s18
.LBB303_867:                            ;   in Loop: Header=BB303_678 Depth=1
	s_or_b32 exec_lo, exec_lo, s17
	v_cmp_lt_u64_e64 s0, s[4:5], v[10:11]
	v_mov_b32_e32 v10, 0
	s_and_saveexec_b32 s17, s0
	s_cbranch_execz .LBB303_875
; %bb.868:                              ;   in Loop: Header=BB303_678 Depth=1
	v_lshrrev_b32_e32 v2, 24, v11
	v_bfrev_b32_e32 v10, 1
	s_mov_b32 s18, exec_lo
	v_cmpx_ne_u32_e32 0x80, v2
	s_cbranch_execz .LBB303_874
; %bb.869:                              ;   in Loop: Header=BB303_678 Depth=1
	v_and_b32_e32 v59, 0x7f, v2
	v_mov_b32_e32 v10, 0x7c010000
	s_mov_b32 s21, exec_lo
	v_cmpx_ne_u32_e32 0x7f, v59
	s_cbranch_execz .LBB303_873
; %bb.870:                              ;   in Loop: Header=BB303_678 Depth=1
	v_and_b32_e32 v10, 7, v2
	v_lshrrev_b32_e32 v11, 3, v59
	s_mov_b32 s22, exec_lo
	v_cmpx_gt_u32_e32 8, v59
; %bb.871:                              ;   in Loop: Header=BB303_678 Depth=1
	v_ffbh_u32_e32 v0, v10
	v_min_u32_e32 v0, 32, v0
	v_subrev_nc_u32_e32 v10, 28, v0
	v_lshlrev_b64 v[10:11], v10, v[2:3]
	v_sub_nc_u32_e32 v11, 29, v0
	v_and_b32_e32 v10, 7, v10
; %bb.872:                              ;   in Loop: Header=BB303_678 Depth=1
	s_or_b32 exec_lo, exec_lo, s22
	v_lshlrev_b32_e32 v0, 8, v2
	v_lshl_add_u32 v2, v11, 10, 0x2000
	v_and_or_b32 v0, 0x8000, v0, v2
	v_lshlrev_b32_e32 v2, 23, v10
	v_lshl_or_b32 v10, v0, 16, v2
.LBB303_873:                            ;   in Loop: Header=BB303_678 Depth=1
	s_or_b32 exec_lo, exec_lo, s21
.LBB303_874:                            ;   in Loop: Header=BB303_678 Depth=1
	s_or_b32 exec_lo, exec_lo, s18
.LBB303_875:                            ;   in Loop: Header=BB303_678 Depth=1
	s_or_b32 exec_lo, exec_lo, s17
	v_or_b32_e32 v0, v54, v55
	v_or_b32_e32 v11, v52, v53
	s_waitcnt vmcnt(0)
	v_fma_mixlo_f16 v13, v51, v52, 0 op_sel:[0,1,0] op_sel_hi:[0,1,0]
	v_or_b32_e32 v14, v58, v57
	v_or_b32_e32 v52, v10, v56
	v_fma_mixlo_f16 v0, v51, v0, 0 op_sel_hi:[0,1,0]
	v_fma_mixlo_f16 v2, v51, v54, 0 op_sel:[0,1,0] op_sel_hi:[0,1,0]
	v_lshlrev_b32_e32 v53, 16, v13
	v_fma_mixlo_f16 v13, v51, v11, 0 op_sel_hi:[0,1,0]
	v_fma_mixlo_f16 v14, v51, v14, 0 op_sel_hi:[0,1,0]
	v_and_b32_e32 v11, 0xffff, v0
	v_fma_mixlo_f16 v0, v51, v58, 0 op_sel:[0,1,0] op_sel_hi:[0,1,0]
	v_fma_mixlo_f16 v10, v51, v10, 0 op_sel:[0,1,0] op_sel_hi:[0,1,0]
	v_fma_mixlo_f16 v52, v51, v52, 0 op_sel_hi:[0,1,0]
	v_lshlrev_b32_e32 v2, 16, v2
	v_and_b32_e32 v59, 0xffff, v13
	v_lshlrev_b32_e32 v51, 16, v0
	v_and_b32_e32 v55, 0xffff, v14
	;; [unrolled: 2-line block ×3, first 2 shown]
	v_or_b32_e32 v54, v2, v11
	v_or_b32_e32 v58, v53, v59
	;; [unrolled: 1-line block ×4, first 2 shown]
	s_and_saveexec_b32 s17, vcc_lo
	s_cbranch_execz .LBB303_877
; %bb.876:                              ;   in Loop: Header=BB303_678 Depth=1
	v_cmp_gt_i32_e64 s0, s31, v35
	v_cndmask_b32_e64 v0, 0, v59, s0
	v_cmp_gt_i32_e64 s0, s31, v47
	v_cndmask_b32_e64 v13, 0, v53, s0
	v_cmp_gt_i32_e64 s0, s31, v45
	v_or_b32_e32 v58, v13, v0
	v_cndmask_b32_e64 v11, 0, v11, s0
	v_cmp_gt_i32_e64 s0, s31, v43
	v_cndmask_b32_e64 v2, 0, v2, s0
	v_cmp_gt_i32_e64 s0, s31, v41
	v_or_b32_e32 v54, v2, v11
	;; [unrolled: 5-line block ×3, first 2 shown]
	v_cndmask_b32_e64 v52, 0, v52, s0
	v_cmp_gt_i32_e64 s0, s31, v36
	v_cndmask_b32_e64 v10, 0, v10, s0
	v_or_b32_e32 v56, v10, v52
.LBB303_877:                            ;   in Loop: Header=BB303_678 Depth=1
	s_or_b32 exec_lo, exec_lo, s17
	;;#ASMSTART
	v_pk_mul_f16 v0, v48, v58;

	;;#ASMEND
	;;#ASMSTART
	v_pk_mul_f16 v2, v46, v54;

	;;#ASMEND
	;;#ASMSTART
	v_pk_mul_f16 v10, v44, v57;

	;;#ASMEND
	;;#ASMSTART
	v_pk_mul_f16 v11, v42, v56;

	;;#ASMEND
	;;#ASMSTART
	v_pk_add_f16 v0, v0, v2;

	;;#ASMEND
	;;#ASMSTART
	v_pk_add_f16 v0, v0, v10;

	;;#ASMEND
	;; [unrolled: 4-line block ×3, first 2 shown]
	v_and_b32_e32 v2, 0xffff, v0
	v_lshrrev_b32_e32 v0, 16, v0
	;;#ASMSTART
	v_cvt_f32_f16 v51, v2;
	;;#ASMEND
	;;#ASMSTART
	v_cvt_f32_f16 v52, v0;
	;;#ASMEND
	global_load_dwordx2 v[10:11], v[8:9], off offset:768
	v_mov_b32_e32 v54, 0
	v_mov_b32_e32 v55, 0
	global_load_dword v53, v54, s[14:15]
	s_waitcnt vmcnt(1)
	v_cmp_ne_u16_sdwa s0, v10, v3 src0_sel:BYTE_0 src1_sel:DWORD
	s_and_saveexec_b32 s17, s0
	s_cbranch_execz .LBB303_885
; %bb.878:                              ;   in Loop: Header=BB303_678 Depth=1
	v_cmp_ne_u16_sdwa s0, v10, v28 src0_sel:BYTE_0 src1_sel:DWORD
	v_mov_b32_e32 v55, 0x8000
	s_and_saveexec_b32 s18, s0
	s_cbranch_execz .LBB303_884
; %bb.879:                              ;   in Loop: Header=BB303_678 Depth=1
	v_and_b32_e32 v56, 0x7f, v10
	v_mov_b32_e32 v55, 0x7c01
	s_mov_b32 s21, exec_lo
	v_cmpx_ne_u32_e32 0x7f, v56
	s_cbranch_execz .LBB303_883
; %bb.880:                              ;   in Loop: Header=BB303_678 Depth=1
	v_and_b32_e32 v2, 7, v10
	v_lshrrev_b32_e32 v55, 3, v56
	s_mov_b32 s22, exec_lo
	v_cmpx_gt_u32_e32 8, v56
; %bb.881:                              ;   in Loop: Header=BB303_678 Depth=1
	v_ffbh_u32_e32 v0, v2
	v_min_u32_e32 v0, 32, v0
	v_subrev_nc_u32_e32 v2, 28, v0
	v_sub_nc_u32_e32 v55, 29, v0
	v_lshlrev_b64 v[13:14], v2, v[10:11]
	v_and_b32_e32 v2, 7, v13
; %bb.882:                              ;   in Loop: Header=BB303_678 Depth=1
	s_or_b32 exec_lo, exec_lo, s22
	v_lshlrev_b32_e32 v0, 8, v10
	v_lshl_add_u32 v13, v55, 10, 0x2000
	v_lshlrev_b32_e32 v2, 7, v2
	v_and_b32_e32 v0, 0x8000, v0
	v_and_b32_e32 v13, 0xfc00, v13
	v_or3_b32 v55, v0, v13, v2
.LBB303_883:                            ;   in Loop: Header=BB303_678 Depth=1
	s_or_b32 exec_lo, exec_lo, s21
.LBB303_884:                            ;   in Loop: Header=BB303_678 Depth=1
	s_or_b32 exec_lo, exec_lo, s18
.LBB303_885:                            ;   in Loop: Header=BB303_678 Depth=1
	s_or_b32 exec_lo, exec_lo, s17
	v_lshrrev_b16 v2, 8, v10
	s_mov_b32 s17, exec_lo
	v_cmpx_ne_u16_e32 0, v2
	s_cbranch_execz .LBB303_893
; %bb.886:                              ;   in Loop: Header=BB303_678 Depth=1
	v_bfrev_b32_e32 v54, 1
	s_mov_b32 s18, exec_lo
	v_cmpx_ne_u16_e32 0x80, v2
	s_cbranch_execz .LBB303_892
; %bb.887:                              ;   in Loop: Header=BB303_678 Depth=1
	v_and_b32_sdwa v57, v2, v29 dst_sel:DWORD dst_unused:UNUSED_PAD src0_sel:WORD_0 src1_sel:DWORD
	v_mov_b32_e32 v54, 0x7c010000
	s_mov_b32 s21, exec_lo
	v_cmpx_ne_u32_e32 0x7f, v57
	s_cbranch_execz .LBB303_891
; %bb.888:                              ;   in Loop: Header=BB303_678 Depth=1
	v_and_b32_sdwa v54, v2, v30 dst_sel:DWORD dst_unused:UNUSED_PAD src0_sel:WORD_0 src1_sel:DWORD
	v_lshrrev_b32_e32 v56, 3, v57
	s_mov_b32 s22, exec_lo
	v_cmpx_gt_u32_e32 8, v57
; %bb.889:                              ;   in Loop: Header=BB303_678 Depth=1
	v_ffbh_u32_e32 v0, v54
	v_min_u32_e32 v0, 32, v0
	v_subrev_nc_u32_e32 v13, 28, v0
	v_sub_nc_u32_e32 v56, 29, v0
	v_lshlrev_b64 v[13:14], v13, v[2:3]
	v_and_b32_e32 v54, 7, v13
; %bb.890:                              ;   in Loop: Header=BB303_678 Depth=1
	s_or_b32 exec_lo, exec_lo, s22
	v_lshlrev_b32_sdwa v0, v31, v2 dst_sel:DWORD dst_unused:UNUSED_PAD src0_sel:DWORD src1_sel:WORD_0
	v_lshl_add_u32 v2, v56, 10, 0x2000
	v_and_or_b32 v0, 0x8000, v0, v2
	v_lshlrev_b32_e32 v2, 23, v54
	v_lshl_or_b32 v54, v0, 16, v2
.LBB303_891:                            ;   in Loop: Header=BB303_678 Depth=1
	s_or_b32 exec_lo, exec_lo, s21
.LBB303_892:                            ;   in Loop: Header=BB303_678 Depth=1
	s_or_b32 exec_lo, exec_lo, s18
.LBB303_893:                            ;   in Loop: Header=BB303_678 Depth=1
	s_or_b32 exec_lo, exec_lo, s17
	v_lshrrev_b32_e32 v2, 16, v10
	v_mov_b32_e32 v56, 0
	v_mov_b32_e32 v57, 0
	v_cmp_ne_u16_sdwa s0, v2, v3 src0_sel:BYTE_0 src1_sel:DWORD
	s_and_saveexec_b32 s17, s0
	s_cbranch_execz .LBB303_901
; %bb.894:                              ;   in Loop: Header=BB303_678 Depth=1
	v_cmp_ne_u16_sdwa s0, v2, v28 src0_sel:BYTE_0 src1_sel:DWORD
	v_mov_b32_e32 v57, 0x8000
	s_and_saveexec_b32 s18, s0
	s_cbranch_execz .LBB303_900
; %bb.895:                              ;   in Loop: Header=BB303_678 Depth=1
	v_bfe_u32 v59, v10, 16, 7
	v_mov_b32_e32 v57, 0x7c01
	s_mov_b32 s21, exec_lo
	v_cmpx_ne_u32_e32 0x7f, v59
	s_cbranch_execz .LBB303_899
; %bb.896:                              ;   in Loop: Header=BB303_678 Depth=1
	v_and_b32_e32 v57, 7, v2
	v_lshrrev_b32_e32 v58, 3, v59
	s_mov_b32 s22, exec_lo
	v_cmpx_gt_u32_e32 8, v59
; %bb.897:                              ;   in Loop: Header=BB303_678 Depth=1
	v_ffbh_u32_e32 v0, v57
	v_min_u32_e32 v0, 32, v0
	v_subrev_nc_u32_e32 v13, 28, v0
	v_sub_nc_u32_e32 v58, 29, v0
	v_lshlrev_b64 v[13:14], v13, v[2:3]
	v_and_b32_e32 v57, 7, v13
; %bb.898:                              ;   in Loop: Header=BB303_678 Depth=1
	s_or_b32 exec_lo, exec_lo, s22
	v_lshlrev_b32_e32 v0, 8, v2
	v_lshl_add_u32 v2, v58, 10, 0x2000
	v_lshlrev_b32_e32 v13, 7, v57
	v_and_b32_e32 v0, 0x8000, v0
	v_and_b32_e32 v2, 0xfc00, v2
	v_or3_b32 v57, v0, v2, v13
.LBB303_899:                            ;   in Loop: Header=BB303_678 Depth=1
	s_or_b32 exec_lo, exec_lo, s21
.LBB303_900:                            ;   in Loop: Header=BB303_678 Depth=1
	s_or_b32 exec_lo, exec_lo, s18
.LBB303_901:                            ;   in Loop: Header=BB303_678 Depth=1
	s_or_b32 exec_lo, exec_lo, s17
	s_mov_b32 s17, exec_lo
	v_cmpx_lt_u32_e32 0xffffff, v10
	s_cbranch_execz .LBB303_909
; %bb.902:                              ;   in Loop: Header=BB303_678 Depth=1
	v_lshrrev_b32_e32 v2, 24, v10
	v_bfrev_b32_e32 v56, 1
	s_mov_b32 s18, exec_lo
	v_cmpx_ne_u32_e32 0x80, v2
	s_cbranch_execz .LBB303_908
; %bb.903:                              ;   in Loop: Header=BB303_678 Depth=1
	v_and_b32_e32 v59, 0x7f, v2
	v_mov_b32_e32 v56, 0x7c010000
	s_mov_b32 s21, exec_lo
	v_cmpx_ne_u32_e32 0x7f, v59
	s_cbranch_execz .LBB303_907
; %bb.904:                              ;   in Loop: Header=BB303_678 Depth=1
	v_and_b32_e32 v56, 7, v2
	v_lshrrev_b32_e32 v58, 3, v59
	s_mov_b32 s22, exec_lo
	v_cmpx_gt_u32_e32 8, v59
; %bb.905:                              ;   in Loop: Header=BB303_678 Depth=1
	v_ffbh_u32_e32 v0, v56
	v_min_u32_e32 v0, 32, v0
	v_subrev_nc_u32_e32 v13, 28, v0
	v_sub_nc_u32_e32 v58, 29, v0
	v_lshlrev_b64 v[13:14], v13, v[2:3]
	v_and_b32_e32 v56, 7, v13
; %bb.906:                              ;   in Loop: Header=BB303_678 Depth=1
	s_or_b32 exec_lo, exec_lo, s22
	v_lshlrev_b32_e32 v0, 8, v2
	v_lshl_add_u32 v2, v58, 10, 0x2000
	v_and_or_b32 v0, 0x8000, v0, v2
	v_lshlrev_b32_e32 v2, 23, v56
	v_lshl_or_b32 v56, v0, 16, v2
.LBB303_907:                            ;   in Loop: Header=BB303_678 Depth=1
	s_or_b32 exec_lo, exec_lo, s21
.LBB303_908:                            ;   in Loop: Header=BB303_678 Depth=1
	s_or_b32 exec_lo, exec_lo, s18
.LBB303_909:                            ;   in Loop: Header=BB303_678 Depth=1
	s_or_b32 exec_lo, exec_lo, s17
	v_mov_b32_e32 v2, v11
	v_cmp_ne_u16_sdwa s0, v11, v3 src0_sel:BYTE_0 src1_sel:DWORD
	v_mov_b32_e32 v58, 0
	v_mov_b32_e32 v59, 0
	s_and_saveexec_b32 s17, s0
	s_cbranch_execz .LBB303_917
; %bb.910:                              ;   in Loop: Header=BB303_678 Depth=1
	v_cmp_ne_u16_sdwa s0, v11, v28 src0_sel:BYTE_0 src1_sel:DWORD
	v_mov_b32_e32 v59, 0x8000
	s_and_saveexec_b32 s18, s0
	s_cbranch_execz .LBB303_916
; %bb.911:                              ;   in Loop: Header=BB303_678 Depth=1
	v_and_b32_e32 v61, 0x7f, v11
	v_mov_b32_e32 v59, 0x7c01
	s_mov_b32 s21, exec_lo
	v_cmpx_ne_u32_e32 0x7f, v61
	s_cbranch_execz .LBB303_915
; %bb.912:                              ;   in Loop: Header=BB303_678 Depth=1
	v_and_b32_e32 v59, 7, v11
	v_lshrrev_b32_e32 v60, 3, v61
	s_mov_b32 s22, exec_lo
	v_cmpx_gt_u32_e32 8, v61
; %bb.913:                              ;   in Loop: Header=BB303_678 Depth=1
	v_ffbh_u32_e32 v0, v59
	v_min_u32_e32 v0, 32, v0
	v_subrev_nc_u32_e32 v13, 28, v0
	v_sub_nc_u32_e32 v60, 29, v0
	v_lshlrev_b64 v[13:14], v13, v[2:3]
	v_and_b32_e32 v59, 7, v13
; %bb.914:                              ;   in Loop: Header=BB303_678 Depth=1
	s_or_b32 exec_lo, exec_lo, s22
	v_lshlrev_b32_e32 v0, 8, v11
	v_lshl_add_u32 v13, v60, 10, 0x2000
	v_lshlrev_b32_e32 v14, 7, v59
	v_and_b32_e32 v0, 0x8000, v0
	v_and_b32_e32 v13, 0xfc00, v13
	v_or3_b32 v59, v0, v13, v14
.LBB303_915:                            ;   in Loop: Header=BB303_678 Depth=1
	s_or_b32 exec_lo, exec_lo, s21
.LBB303_916:                            ;   in Loop: Header=BB303_678 Depth=1
	s_or_b32 exec_lo, exec_lo, s18
.LBB303_917:                            ;   in Loop: Header=BB303_678 Depth=1
	s_or_b32 exec_lo, exec_lo, s17
	v_lshrrev_b16 v2, 8, v2
	v_mov_b32_e32 v60, 0
	s_mov_b32 s17, exec_lo
	v_cmpx_ne_u16_e32 0, v2
	s_cbranch_execz .LBB303_925
; %bb.918:                              ;   in Loop: Header=BB303_678 Depth=1
	v_bfrev_b32_e32 v60, 1
	s_mov_b32 s18, exec_lo
	v_cmpx_ne_u16_e32 0x80, v2
	s_cbranch_execz .LBB303_924
; %bb.919:                              ;   in Loop: Header=BB303_678 Depth=1
	v_and_b32_sdwa v62, v2, v29 dst_sel:DWORD dst_unused:UNUSED_PAD src0_sel:WORD_0 src1_sel:DWORD
	v_mov_b32_e32 v60, 0x7c010000
	s_mov_b32 s21, exec_lo
	v_cmpx_ne_u32_e32 0x7f, v62
	s_cbranch_execz .LBB303_923
; %bb.920:                              ;   in Loop: Header=BB303_678 Depth=1
	v_and_b32_sdwa v60, v2, v30 dst_sel:DWORD dst_unused:UNUSED_PAD src0_sel:WORD_0 src1_sel:DWORD
	v_lshrrev_b32_e32 v61, 3, v62
	s_mov_b32 s22, exec_lo
	v_cmpx_gt_u32_e32 8, v62
; %bb.921:                              ;   in Loop: Header=BB303_678 Depth=1
	v_ffbh_u32_e32 v0, v60
	v_min_u32_e32 v0, 32, v0
	v_subrev_nc_u32_e32 v13, 28, v0
	v_sub_nc_u32_e32 v61, 29, v0
	v_lshlrev_b64 v[13:14], v13, v[2:3]
	v_and_b32_e32 v60, 7, v13
; %bb.922:                              ;   in Loop: Header=BB303_678 Depth=1
	s_or_b32 exec_lo, exec_lo, s22
	v_lshlrev_b32_sdwa v0, v31, v2 dst_sel:DWORD dst_unused:UNUSED_PAD src0_sel:DWORD src1_sel:WORD_0
	v_lshl_add_u32 v2, v61, 10, 0x2000
	v_and_or_b32 v0, 0x8000, v0, v2
	v_lshlrev_b32_e32 v2, 23, v60
	v_lshl_or_b32 v60, v0, 16, v2
.LBB303_923:                            ;   in Loop: Header=BB303_678 Depth=1
	s_or_b32 exec_lo, exec_lo, s21
.LBB303_924:                            ;   in Loop: Header=BB303_678 Depth=1
	s_or_b32 exec_lo, exec_lo, s18
.LBB303_925:                            ;   in Loop: Header=BB303_678 Depth=1
	s_or_b32 exec_lo, exec_lo, s17
	v_lshrrev_b32_e32 v2, 16, v11
	v_cmp_ne_u16_sdwa s0, v2, v3 src0_sel:BYTE_0 src1_sel:DWORD
	s_and_saveexec_b32 s17, s0
	s_cbranch_execz .LBB303_933
; %bb.926:                              ;   in Loop: Header=BB303_678 Depth=1
	v_cmp_ne_u16_sdwa s0, v2, v28 src0_sel:BYTE_0 src1_sel:DWORD
	v_mov_b32_e32 v58, 0x8000
	s_and_saveexec_b32 s18, s0
	s_cbranch_execz .LBB303_932
; %bb.927:                              ;   in Loop: Header=BB303_678 Depth=1
	v_bfe_u32 v62, v11, 16, 7
	v_mov_b32_e32 v58, 0x7c01
	s_mov_b32 s21, exec_lo
	v_cmpx_ne_u32_e32 0x7f, v62
	s_cbranch_execz .LBB303_931
; %bb.928:                              ;   in Loop: Header=BB303_678 Depth=1
	v_and_b32_e32 v58, 7, v2
	v_lshrrev_b32_e32 v61, 3, v62
	s_mov_b32 s22, exec_lo
	v_cmpx_gt_u32_e32 8, v62
; %bb.929:                              ;   in Loop: Header=BB303_678 Depth=1
	v_ffbh_u32_e32 v0, v58
	v_min_u32_e32 v0, 32, v0
	v_subrev_nc_u32_e32 v13, 28, v0
	v_sub_nc_u32_e32 v61, 29, v0
	v_lshlrev_b64 v[13:14], v13, v[2:3]
	v_and_b32_e32 v58, 7, v13
; %bb.930:                              ;   in Loop: Header=BB303_678 Depth=1
	s_or_b32 exec_lo, exec_lo, s22
	v_lshlrev_b32_e32 v0, 8, v2
	v_lshl_add_u32 v2, v61, 10, 0x2000
	v_lshlrev_b32_e32 v13, 7, v58
	v_and_b32_e32 v0, 0x8000, v0
	v_and_b32_e32 v2, 0xfc00, v2
	v_or3_b32 v58, v0, v2, v13
.LBB303_931:                            ;   in Loop: Header=BB303_678 Depth=1
	s_or_b32 exec_lo, exec_lo, s21
.LBB303_932:                            ;   in Loop: Header=BB303_678 Depth=1
	s_or_b32 exec_lo, exec_lo, s18
.LBB303_933:                            ;   in Loop: Header=BB303_678 Depth=1
	s_or_b32 exec_lo, exec_lo, s17
	v_cmp_lt_u64_e64 s0, s[4:5], v[10:11]
	v_mov_b32_e32 v10, 0
	s_and_saveexec_b32 s17, s0
	s_cbranch_execz .LBB303_941
; %bb.934:                              ;   in Loop: Header=BB303_678 Depth=1
	v_lshrrev_b32_e32 v2, 24, v11
	v_bfrev_b32_e32 v10, 1
	s_mov_b32 s18, exec_lo
	v_cmpx_ne_u32_e32 0x80, v2
	s_cbranch_execz .LBB303_940
; %bb.935:                              ;   in Loop: Header=BB303_678 Depth=1
	v_and_b32_e32 v61, 0x7f, v2
	v_mov_b32_e32 v10, 0x7c010000
	s_mov_b32 s21, exec_lo
	v_cmpx_ne_u32_e32 0x7f, v61
	s_cbranch_execz .LBB303_939
; %bb.936:                              ;   in Loop: Header=BB303_678 Depth=1
	v_and_b32_e32 v10, 7, v2
	v_lshrrev_b32_e32 v11, 3, v61
	s_mov_b32 s22, exec_lo
	v_cmpx_gt_u32_e32 8, v61
; %bb.937:                              ;   in Loop: Header=BB303_678 Depth=1
	v_ffbh_u32_e32 v0, v10
	v_min_u32_e32 v0, 32, v0
	v_subrev_nc_u32_e32 v10, 28, v0
	v_lshlrev_b64 v[10:11], v10, v[2:3]
	v_sub_nc_u32_e32 v11, 29, v0
	v_and_b32_e32 v10, 7, v10
; %bb.938:                              ;   in Loop: Header=BB303_678 Depth=1
	s_or_b32 exec_lo, exec_lo, s22
	v_lshlrev_b32_e32 v0, 8, v2
	v_lshl_add_u32 v2, v11, 10, 0x2000
	v_and_or_b32 v0, 0x8000, v0, v2
	v_lshlrev_b32_e32 v2, 23, v10
	v_lshl_or_b32 v10, v0, 16, v2
.LBB303_939:                            ;   in Loop: Header=BB303_678 Depth=1
	s_or_b32 exec_lo, exec_lo, s21
.LBB303_940:                            ;   in Loop: Header=BB303_678 Depth=1
	s_or_b32 exec_lo, exec_lo, s18
.LBB303_941:                            ;   in Loop: Header=BB303_678 Depth=1
	s_or_b32 exec_lo, exec_lo, s17
	v_or_b32_e32 v0, v56, v57
	v_or_b32_e32 v11, v54, v55
	s_waitcnt vmcnt(0)
	v_fma_mixlo_f16 v13, v53, v54, 0 op_sel:[0,1,0] op_sel_hi:[0,1,0]
	v_or_b32_e32 v14, v60, v59
	v_or_b32_e32 v54, v10, v58
	v_fma_mixlo_f16 v0, v53, v0, 0 op_sel_hi:[0,1,0]
	v_fma_mixlo_f16 v2, v53, v56, 0 op_sel:[0,1,0] op_sel_hi:[0,1,0]
	v_lshlrev_b32_e32 v55, 16, v13
	v_fma_mixlo_f16 v13, v53, v11, 0 op_sel_hi:[0,1,0]
	v_fma_mixlo_f16 v14, v53, v14, 0 op_sel_hi:[0,1,0]
	v_and_b32_e32 v11, 0xffff, v0
	v_fma_mixlo_f16 v0, v53, v60, 0 op_sel:[0,1,0] op_sel_hi:[0,1,0]
	v_fma_mixlo_f16 v10, v53, v10, 0 op_sel:[0,1,0] op_sel_hi:[0,1,0]
	v_fma_mixlo_f16 v54, v53, v54, 0 op_sel_hi:[0,1,0]
	v_lshlrev_b32_e32 v2, 16, v2
	v_and_b32_e32 v61, 0xffff, v13
	v_lshlrev_b32_e32 v53, 16, v0
	v_and_b32_e32 v57, 0xffff, v14
	;; [unrolled: 2-line block ×3, first 2 shown]
	v_or_b32_e32 v56, v2, v11
	v_or_b32_e32 v60, v55, v61
	;; [unrolled: 1-line block ×4, first 2 shown]
	s_and_saveexec_b32 s17, vcc_lo
	s_cbranch_execz .LBB303_943
; %bb.942:                              ;   in Loop: Header=BB303_678 Depth=1
	v_cmp_gt_i32_e64 s0, s31, v35
	v_cndmask_b32_e64 v0, 0, v61, s0
	v_cmp_gt_i32_e64 s0, s31, v47
	v_cndmask_b32_e64 v13, 0, v55, s0
	v_cmp_gt_i32_e64 s0, s31, v45
	v_or_b32_e32 v60, v13, v0
	v_cndmask_b32_e64 v11, 0, v11, s0
	v_cmp_gt_i32_e64 s0, s31, v43
	v_cndmask_b32_e64 v2, 0, v2, s0
	v_cmp_gt_i32_e64 s0, s31, v41
	v_or_b32_e32 v56, v2, v11
	;; [unrolled: 5-line block ×3, first 2 shown]
	v_cndmask_b32_e64 v54, 0, v54, s0
	v_cmp_gt_i32_e64 s0, s31, v36
	v_cndmask_b32_e64 v10, 0, v10, s0
	v_or_b32_e32 v58, v10, v54
.LBB303_943:                            ;   in Loop: Header=BB303_678 Depth=1
	s_or_b32 exec_lo, exec_lo, s17
	;;#ASMSTART
	v_pk_mul_f16 v0, v48, v60;

	;;#ASMEND
	;;#ASMSTART
	v_pk_mul_f16 v2, v46, v56;

	;;#ASMEND
	;; [unrolled: 4-line block ×4, first 2 shown]
	;;#ASMSTART
	v_pk_add_f16 v0, v0, v2;

	;;#ASMEND
	;;#ASMSTART
	v_pk_add_f16 v0, v0, v10;

	;;#ASMEND
	;; [unrolled: 4-line block ×3, first 2 shown]
	v_and_b32_e32 v2, 0xffff, v0
	v_lshrrev_b32_e32 v0, 16, v0
	;;#ASMSTART
	v_cvt_f32_f16 v53, v2;
	;;#ASMEND
	;;#ASMSTART
	v_cvt_f32_f16 v54, v0;
	;;#ASMEND
	global_load_dwordx2 v[10:11], v[8:9], off offset:1024
	v_mov_b32_e32 v56, 0
	v_mov_b32_e32 v57, 0
	global_load_dword v55, v56, s[14:15]
	s_waitcnt vmcnt(1)
	v_cmp_ne_u16_sdwa s0, v10, v3 src0_sel:BYTE_0 src1_sel:DWORD
	s_and_saveexec_b32 s17, s0
	s_cbranch_execz .LBB303_951
; %bb.944:                              ;   in Loop: Header=BB303_678 Depth=1
	v_cmp_ne_u16_sdwa s0, v10, v28 src0_sel:BYTE_0 src1_sel:DWORD
	v_mov_b32_e32 v57, 0x8000
	s_and_saveexec_b32 s18, s0
	s_cbranch_execz .LBB303_950
; %bb.945:                              ;   in Loop: Header=BB303_678 Depth=1
	v_and_b32_e32 v58, 0x7f, v10
	v_mov_b32_e32 v57, 0x7c01
	s_mov_b32 s21, exec_lo
	v_cmpx_ne_u32_e32 0x7f, v58
	s_cbranch_execz .LBB303_949
; %bb.946:                              ;   in Loop: Header=BB303_678 Depth=1
	v_and_b32_e32 v2, 7, v10
	v_lshrrev_b32_e32 v57, 3, v58
	s_mov_b32 s22, exec_lo
	v_cmpx_gt_u32_e32 8, v58
; %bb.947:                              ;   in Loop: Header=BB303_678 Depth=1
	v_ffbh_u32_e32 v0, v2
	v_min_u32_e32 v0, 32, v0
	v_subrev_nc_u32_e32 v2, 28, v0
	v_sub_nc_u32_e32 v57, 29, v0
	v_lshlrev_b64 v[13:14], v2, v[10:11]
	v_and_b32_e32 v2, 7, v13
; %bb.948:                              ;   in Loop: Header=BB303_678 Depth=1
	s_or_b32 exec_lo, exec_lo, s22
	v_lshlrev_b32_e32 v0, 8, v10
	v_lshl_add_u32 v13, v57, 10, 0x2000
	v_lshlrev_b32_e32 v2, 7, v2
	v_and_b32_e32 v0, 0x8000, v0
	v_and_b32_e32 v13, 0xfc00, v13
	v_or3_b32 v57, v0, v13, v2
.LBB303_949:                            ;   in Loop: Header=BB303_678 Depth=1
	s_or_b32 exec_lo, exec_lo, s21
.LBB303_950:                            ;   in Loop: Header=BB303_678 Depth=1
	s_or_b32 exec_lo, exec_lo, s18
.LBB303_951:                            ;   in Loop: Header=BB303_678 Depth=1
	s_or_b32 exec_lo, exec_lo, s17
	v_lshrrev_b16 v2, 8, v10
	s_mov_b32 s17, exec_lo
	v_cmpx_ne_u16_e32 0, v2
	s_cbranch_execz .LBB303_959
; %bb.952:                              ;   in Loop: Header=BB303_678 Depth=1
	v_bfrev_b32_e32 v56, 1
	s_mov_b32 s18, exec_lo
	v_cmpx_ne_u16_e32 0x80, v2
	s_cbranch_execz .LBB303_958
; %bb.953:                              ;   in Loop: Header=BB303_678 Depth=1
	v_and_b32_sdwa v59, v2, v29 dst_sel:DWORD dst_unused:UNUSED_PAD src0_sel:WORD_0 src1_sel:DWORD
	v_mov_b32_e32 v56, 0x7c010000
	s_mov_b32 s21, exec_lo
	v_cmpx_ne_u32_e32 0x7f, v59
	s_cbranch_execz .LBB303_957
; %bb.954:                              ;   in Loop: Header=BB303_678 Depth=1
	v_and_b32_sdwa v56, v2, v30 dst_sel:DWORD dst_unused:UNUSED_PAD src0_sel:WORD_0 src1_sel:DWORD
	v_lshrrev_b32_e32 v58, 3, v59
	s_mov_b32 s22, exec_lo
	v_cmpx_gt_u32_e32 8, v59
; %bb.955:                              ;   in Loop: Header=BB303_678 Depth=1
	v_ffbh_u32_e32 v0, v56
	v_min_u32_e32 v0, 32, v0
	v_subrev_nc_u32_e32 v13, 28, v0
	v_sub_nc_u32_e32 v58, 29, v0
	v_lshlrev_b64 v[13:14], v13, v[2:3]
	v_and_b32_e32 v56, 7, v13
; %bb.956:                              ;   in Loop: Header=BB303_678 Depth=1
	s_or_b32 exec_lo, exec_lo, s22
	v_lshlrev_b32_sdwa v0, v31, v2 dst_sel:DWORD dst_unused:UNUSED_PAD src0_sel:DWORD src1_sel:WORD_0
	v_lshl_add_u32 v2, v58, 10, 0x2000
	v_and_or_b32 v0, 0x8000, v0, v2
	v_lshlrev_b32_e32 v2, 23, v56
	v_lshl_or_b32 v56, v0, 16, v2
.LBB303_957:                            ;   in Loop: Header=BB303_678 Depth=1
	s_or_b32 exec_lo, exec_lo, s21
.LBB303_958:                            ;   in Loop: Header=BB303_678 Depth=1
	s_or_b32 exec_lo, exec_lo, s18
.LBB303_959:                            ;   in Loop: Header=BB303_678 Depth=1
	s_or_b32 exec_lo, exec_lo, s17
	v_lshrrev_b32_e32 v2, 16, v10
	v_mov_b32_e32 v58, 0
	v_mov_b32_e32 v59, 0
	v_cmp_ne_u16_sdwa s0, v2, v3 src0_sel:BYTE_0 src1_sel:DWORD
	s_and_saveexec_b32 s17, s0
	s_cbranch_execz .LBB303_967
; %bb.960:                              ;   in Loop: Header=BB303_678 Depth=1
	v_cmp_ne_u16_sdwa s0, v2, v28 src0_sel:BYTE_0 src1_sel:DWORD
	v_mov_b32_e32 v59, 0x8000
	s_and_saveexec_b32 s18, s0
	s_cbranch_execz .LBB303_966
; %bb.961:                              ;   in Loop: Header=BB303_678 Depth=1
	v_bfe_u32 v61, v10, 16, 7
	v_mov_b32_e32 v59, 0x7c01
	s_mov_b32 s21, exec_lo
	v_cmpx_ne_u32_e32 0x7f, v61
	s_cbranch_execz .LBB303_965
; %bb.962:                              ;   in Loop: Header=BB303_678 Depth=1
	v_and_b32_e32 v59, 7, v2
	v_lshrrev_b32_e32 v60, 3, v61
	s_mov_b32 s22, exec_lo
	v_cmpx_gt_u32_e32 8, v61
; %bb.963:                              ;   in Loop: Header=BB303_678 Depth=1
	v_ffbh_u32_e32 v0, v59
	v_min_u32_e32 v0, 32, v0
	v_subrev_nc_u32_e32 v13, 28, v0
	v_sub_nc_u32_e32 v60, 29, v0
	v_lshlrev_b64 v[13:14], v13, v[2:3]
	v_and_b32_e32 v59, 7, v13
; %bb.964:                              ;   in Loop: Header=BB303_678 Depth=1
	s_or_b32 exec_lo, exec_lo, s22
	v_lshlrev_b32_e32 v0, 8, v2
	v_lshl_add_u32 v2, v60, 10, 0x2000
	v_lshlrev_b32_e32 v13, 7, v59
	v_and_b32_e32 v0, 0x8000, v0
	v_and_b32_e32 v2, 0xfc00, v2
	v_or3_b32 v59, v0, v2, v13
.LBB303_965:                            ;   in Loop: Header=BB303_678 Depth=1
	s_or_b32 exec_lo, exec_lo, s21
.LBB303_966:                            ;   in Loop: Header=BB303_678 Depth=1
	s_or_b32 exec_lo, exec_lo, s18
.LBB303_967:                            ;   in Loop: Header=BB303_678 Depth=1
	s_or_b32 exec_lo, exec_lo, s17
	s_mov_b32 s17, exec_lo
	v_cmpx_lt_u32_e32 0xffffff, v10
	s_cbranch_execz .LBB303_975
; %bb.968:                              ;   in Loop: Header=BB303_678 Depth=1
	v_lshrrev_b32_e32 v2, 24, v10
	v_bfrev_b32_e32 v58, 1
	s_mov_b32 s18, exec_lo
	v_cmpx_ne_u32_e32 0x80, v2
	s_cbranch_execz .LBB303_974
; %bb.969:                              ;   in Loop: Header=BB303_678 Depth=1
	v_and_b32_e32 v61, 0x7f, v2
	v_mov_b32_e32 v58, 0x7c010000
	s_mov_b32 s21, exec_lo
	v_cmpx_ne_u32_e32 0x7f, v61
	s_cbranch_execz .LBB303_973
; %bb.970:                              ;   in Loop: Header=BB303_678 Depth=1
	v_and_b32_e32 v58, 7, v2
	v_lshrrev_b32_e32 v60, 3, v61
	s_mov_b32 s22, exec_lo
	v_cmpx_gt_u32_e32 8, v61
; %bb.971:                              ;   in Loop: Header=BB303_678 Depth=1
	v_ffbh_u32_e32 v0, v58
	v_min_u32_e32 v0, 32, v0
	v_subrev_nc_u32_e32 v13, 28, v0
	v_sub_nc_u32_e32 v60, 29, v0
	v_lshlrev_b64 v[13:14], v13, v[2:3]
	v_and_b32_e32 v58, 7, v13
; %bb.972:                              ;   in Loop: Header=BB303_678 Depth=1
	s_or_b32 exec_lo, exec_lo, s22
	v_lshlrev_b32_e32 v0, 8, v2
	v_lshl_add_u32 v2, v60, 10, 0x2000
	v_and_or_b32 v0, 0x8000, v0, v2
	v_lshlrev_b32_e32 v2, 23, v58
	v_lshl_or_b32 v58, v0, 16, v2
.LBB303_973:                            ;   in Loop: Header=BB303_678 Depth=1
	s_or_b32 exec_lo, exec_lo, s21
.LBB303_974:                            ;   in Loop: Header=BB303_678 Depth=1
	s_or_b32 exec_lo, exec_lo, s18
.LBB303_975:                            ;   in Loop: Header=BB303_678 Depth=1
	s_or_b32 exec_lo, exec_lo, s17
	v_mov_b32_e32 v2, v11
	v_cmp_ne_u16_sdwa s0, v11, v3 src0_sel:BYTE_0 src1_sel:DWORD
	v_mov_b32_e32 v60, 0
	v_mov_b32_e32 v61, 0
	s_and_saveexec_b32 s17, s0
	s_cbranch_execz .LBB303_983
; %bb.976:                              ;   in Loop: Header=BB303_678 Depth=1
	v_cmp_ne_u16_sdwa s0, v11, v28 src0_sel:BYTE_0 src1_sel:DWORD
	v_mov_b32_e32 v61, 0x8000
	s_and_saveexec_b32 s18, s0
	s_cbranch_execz .LBB303_982
; %bb.977:                              ;   in Loop: Header=BB303_678 Depth=1
	v_and_b32_e32 v63, 0x7f, v11
	v_mov_b32_e32 v61, 0x7c01
	s_mov_b32 s21, exec_lo
	v_cmpx_ne_u32_e32 0x7f, v63
	s_cbranch_execz .LBB303_981
; %bb.978:                              ;   in Loop: Header=BB303_678 Depth=1
	v_and_b32_e32 v61, 7, v11
	v_lshrrev_b32_e32 v62, 3, v63
	s_mov_b32 s22, exec_lo
	v_cmpx_gt_u32_e32 8, v63
; %bb.979:                              ;   in Loop: Header=BB303_678 Depth=1
	v_ffbh_u32_e32 v0, v61
	v_min_u32_e32 v0, 32, v0
	v_subrev_nc_u32_e32 v13, 28, v0
	v_sub_nc_u32_e32 v62, 29, v0
	v_lshlrev_b64 v[13:14], v13, v[2:3]
	v_and_b32_e32 v61, 7, v13
; %bb.980:                              ;   in Loop: Header=BB303_678 Depth=1
	s_or_b32 exec_lo, exec_lo, s22
	v_lshlrev_b32_e32 v0, 8, v11
	v_lshl_add_u32 v13, v62, 10, 0x2000
	v_lshlrev_b32_e32 v14, 7, v61
	v_and_b32_e32 v0, 0x8000, v0
	v_and_b32_e32 v13, 0xfc00, v13
	v_or3_b32 v61, v0, v13, v14
.LBB303_981:                            ;   in Loop: Header=BB303_678 Depth=1
	s_or_b32 exec_lo, exec_lo, s21
.LBB303_982:                            ;   in Loop: Header=BB303_678 Depth=1
	s_or_b32 exec_lo, exec_lo, s18
.LBB303_983:                            ;   in Loop: Header=BB303_678 Depth=1
	s_or_b32 exec_lo, exec_lo, s17
	v_lshrrev_b16 v2, 8, v2
	v_mov_b32_e32 v62, 0
	s_mov_b32 s17, exec_lo
	v_cmpx_ne_u16_e32 0, v2
	s_cbranch_execz .LBB303_991
; %bb.984:                              ;   in Loop: Header=BB303_678 Depth=1
	v_bfrev_b32_e32 v62, 1
	s_mov_b32 s18, exec_lo
	v_cmpx_ne_u16_e32 0x80, v2
	s_cbranch_execz .LBB303_990
; %bb.985:                              ;   in Loop: Header=BB303_678 Depth=1
	v_and_b32_sdwa v64, v2, v29 dst_sel:DWORD dst_unused:UNUSED_PAD src0_sel:WORD_0 src1_sel:DWORD
	v_mov_b32_e32 v62, 0x7c010000
	s_mov_b32 s21, exec_lo
	v_cmpx_ne_u32_e32 0x7f, v64
	s_cbranch_execz .LBB303_989
; %bb.986:                              ;   in Loop: Header=BB303_678 Depth=1
	v_and_b32_sdwa v62, v2, v30 dst_sel:DWORD dst_unused:UNUSED_PAD src0_sel:WORD_0 src1_sel:DWORD
	v_lshrrev_b32_e32 v63, 3, v64
	s_mov_b32 s22, exec_lo
	v_cmpx_gt_u32_e32 8, v64
; %bb.987:                              ;   in Loop: Header=BB303_678 Depth=1
	v_ffbh_u32_e32 v0, v62
	v_min_u32_e32 v0, 32, v0
	v_subrev_nc_u32_e32 v13, 28, v0
	v_sub_nc_u32_e32 v63, 29, v0
	v_lshlrev_b64 v[13:14], v13, v[2:3]
	v_and_b32_e32 v62, 7, v13
; %bb.988:                              ;   in Loop: Header=BB303_678 Depth=1
	s_or_b32 exec_lo, exec_lo, s22
	v_lshlrev_b32_sdwa v0, v31, v2 dst_sel:DWORD dst_unused:UNUSED_PAD src0_sel:DWORD src1_sel:WORD_0
	v_lshl_add_u32 v2, v63, 10, 0x2000
	v_and_or_b32 v0, 0x8000, v0, v2
	v_lshlrev_b32_e32 v2, 23, v62
	v_lshl_or_b32 v62, v0, 16, v2
.LBB303_989:                            ;   in Loop: Header=BB303_678 Depth=1
	s_or_b32 exec_lo, exec_lo, s21
.LBB303_990:                            ;   in Loop: Header=BB303_678 Depth=1
	s_or_b32 exec_lo, exec_lo, s18
.LBB303_991:                            ;   in Loop: Header=BB303_678 Depth=1
	s_or_b32 exec_lo, exec_lo, s17
	v_lshrrev_b32_e32 v2, 16, v11
	v_cmp_ne_u16_sdwa s0, v2, v3 src0_sel:BYTE_0 src1_sel:DWORD
	s_and_saveexec_b32 s17, s0
	s_cbranch_execz .LBB303_999
; %bb.992:                              ;   in Loop: Header=BB303_678 Depth=1
	v_cmp_ne_u16_sdwa s0, v2, v28 src0_sel:BYTE_0 src1_sel:DWORD
	v_mov_b32_e32 v60, 0x8000
	s_and_saveexec_b32 s18, s0
	s_cbranch_execz .LBB303_998
; %bb.993:                              ;   in Loop: Header=BB303_678 Depth=1
	v_bfe_u32 v64, v11, 16, 7
	v_mov_b32_e32 v60, 0x7c01
	s_mov_b32 s21, exec_lo
	v_cmpx_ne_u32_e32 0x7f, v64
	s_cbranch_execz .LBB303_997
; %bb.994:                              ;   in Loop: Header=BB303_678 Depth=1
	v_and_b32_e32 v60, 7, v2
	v_lshrrev_b32_e32 v63, 3, v64
	s_mov_b32 s22, exec_lo
	v_cmpx_gt_u32_e32 8, v64
; %bb.995:                              ;   in Loop: Header=BB303_678 Depth=1
	v_ffbh_u32_e32 v0, v60
	v_min_u32_e32 v0, 32, v0
	v_subrev_nc_u32_e32 v13, 28, v0
	v_sub_nc_u32_e32 v63, 29, v0
	v_lshlrev_b64 v[13:14], v13, v[2:3]
	v_and_b32_e32 v60, 7, v13
; %bb.996:                              ;   in Loop: Header=BB303_678 Depth=1
	s_or_b32 exec_lo, exec_lo, s22
	v_lshlrev_b32_e32 v0, 8, v2
	v_lshl_add_u32 v2, v63, 10, 0x2000
	v_lshlrev_b32_e32 v13, 7, v60
	v_and_b32_e32 v0, 0x8000, v0
	v_and_b32_e32 v2, 0xfc00, v2
	v_or3_b32 v60, v0, v2, v13
.LBB303_997:                            ;   in Loop: Header=BB303_678 Depth=1
	s_or_b32 exec_lo, exec_lo, s21
.LBB303_998:                            ;   in Loop: Header=BB303_678 Depth=1
	s_or_b32 exec_lo, exec_lo, s18
.LBB303_999:                            ;   in Loop: Header=BB303_678 Depth=1
	s_or_b32 exec_lo, exec_lo, s17
	v_cmp_lt_u64_e64 s0, s[4:5], v[10:11]
	v_mov_b32_e32 v10, 0
	s_and_saveexec_b32 s17, s0
	s_cbranch_execz .LBB303_1007
; %bb.1000:                             ;   in Loop: Header=BB303_678 Depth=1
	v_lshrrev_b32_e32 v2, 24, v11
	v_bfrev_b32_e32 v10, 1
	s_mov_b32 s18, exec_lo
	v_cmpx_ne_u32_e32 0x80, v2
	s_cbranch_execz .LBB303_1006
; %bb.1001:                             ;   in Loop: Header=BB303_678 Depth=1
	v_and_b32_e32 v63, 0x7f, v2
	v_mov_b32_e32 v10, 0x7c010000
	s_mov_b32 s21, exec_lo
	v_cmpx_ne_u32_e32 0x7f, v63
	s_cbranch_execz .LBB303_1005
; %bb.1002:                             ;   in Loop: Header=BB303_678 Depth=1
	v_and_b32_e32 v10, 7, v2
	v_lshrrev_b32_e32 v11, 3, v63
	s_mov_b32 s22, exec_lo
	v_cmpx_gt_u32_e32 8, v63
; %bb.1003:                             ;   in Loop: Header=BB303_678 Depth=1
	v_ffbh_u32_e32 v0, v10
	v_min_u32_e32 v0, 32, v0
	v_subrev_nc_u32_e32 v10, 28, v0
	v_lshlrev_b64 v[10:11], v10, v[2:3]
	v_sub_nc_u32_e32 v11, 29, v0
	v_and_b32_e32 v10, 7, v10
; %bb.1004:                             ;   in Loop: Header=BB303_678 Depth=1
	s_or_b32 exec_lo, exec_lo, s22
	v_lshlrev_b32_e32 v0, 8, v2
	v_lshl_add_u32 v2, v11, 10, 0x2000
	v_and_or_b32 v0, 0x8000, v0, v2
	v_lshlrev_b32_e32 v2, 23, v10
	v_lshl_or_b32 v10, v0, 16, v2
.LBB303_1005:                           ;   in Loop: Header=BB303_678 Depth=1
	s_or_b32 exec_lo, exec_lo, s21
.LBB303_1006:                           ;   in Loop: Header=BB303_678 Depth=1
	s_or_b32 exec_lo, exec_lo, s18
.LBB303_1007:                           ;   in Loop: Header=BB303_678 Depth=1
	s_or_b32 exec_lo, exec_lo, s17
	v_or_b32_e32 v0, v58, v59
	v_or_b32_e32 v11, v56, v57
	s_waitcnt vmcnt(0)
	v_fma_mixlo_f16 v13, v55, v56, 0 op_sel:[0,1,0] op_sel_hi:[0,1,0]
	v_or_b32_e32 v14, v62, v61
	v_or_b32_e32 v56, v10, v60
	v_fma_mixlo_f16 v0, v55, v0, 0 op_sel_hi:[0,1,0]
	v_fma_mixlo_f16 v2, v55, v58, 0 op_sel:[0,1,0] op_sel_hi:[0,1,0]
	v_lshlrev_b32_e32 v57, 16, v13
	v_fma_mixlo_f16 v13, v55, v11, 0 op_sel_hi:[0,1,0]
	v_fma_mixlo_f16 v14, v55, v14, 0 op_sel_hi:[0,1,0]
	v_and_b32_e32 v11, 0xffff, v0
	v_fma_mixlo_f16 v0, v55, v62, 0 op_sel:[0,1,0] op_sel_hi:[0,1,0]
	v_fma_mixlo_f16 v10, v55, v10, 0 op_sel:[0,1,0] op_sel_hi:[0,1,0]
	v_fma_mixlo_f16 v56, v55, v56, 0 op_sel_hi:[0,1,0]
	v_lshlrev_b32_e32 v2, 16, v2
	v_and_b32_e32 v63, 0xffff, v13
	v_lshlrev_b32_e32 v55, 16, v0
	v_and_b32_e32 v59, 0xffff, v14
	;; [unrolled: 2-line block ×3, first 2 shown]
	v_or_b32_e32 v58, v2, v11
	v_or_b32_e32 v62, v57, v63
	;; [unrolled: 1-line block ×4, first 2 shown]
	s_and_saveexec_b32 s17, vcc_lo
	s_cbranch_execz .LBB303_1009
; %bb.1008:                             ;   in Loop: Header=BB303_678 Depth=1
	v_cmp_gt_i32_e64 s0, s31, v35
	v_cndmask_b32_e64 v0, 0, v63, s0
	v_cmp_gt_i32_e64 s0, s31, v47
	v_cndmask_b32_e64 v13, 0, v57, s0
	v_cmp_gt_i32_e64 s0, s31, v45
	v_or_b32_e32 v62, v13, v0
	v_cndmask_b32_e64 v11, 0, v11, s0
	v_cmp_gt_i32_e64 s0, s31, v43
	v_cndmask_b32_e64 v2, 0, v2, s0
	v_cmp_gt_i32_e64 s0, s31, v41
	v_or_b32_e32 v58, v2, v11
	;; [unrolled: 5-line block ×3, first 2 shown]
	v_cndmask_b32_e64 v56, 0, v56, s0
	v_cmp_gt_i32_e64 s0, s31, v36
	v_cndmask_b32_e64 v10, 0, v10, s0
	v_or_b32_e32 v60, v10, v56
.LBB303_1009:                           ;   in Loop: Header=BB303_678 Depth=1
	s_or_b32 exec_lo, exec_lo, s17
	;;#ASMSTART
	v_pk_mul_f16 v0, v48, v62;

	;;#ASMEND
	;;#ASMSTART
	v_pk_mul_f16 v2, v46, v58;

	;;#ASMEND
	;; [unrolled: 4-line block ×4, first 2 shown]
	;;#ASMSTART
	v_pk_add_f16 v0, v0, v2;

	;;#ASMEND
	;;#ASMSTART
	v_pk_add_f16 v0, v0, v10;

	;;#ASMEND
	;; [unrolled: 4-line block ×3, first 2 shown]
	v_and_b32_e32 v2, 0xffff, v0
	v_lshrrev_b32_e32 v0, 16, v0
	;;#ASMSTART
	v_cvt_f32_f16 v55, v2;
	;;#ASMEND
	;;#ASMSTART
	v_cvt_f32_f16 v56, v0;
	;;#ASMEND
	global_load_dwordx2 v[10:11], v[8:9], off offset:1280
	v_mov_b32_e32 v58, 0
	v_mov_b32_e32 v59, 0
	global_load_dword v57, v58, s[14:15]
	s_waitcnt vmcnt(1)
	v_cmp_ne_u16_sdwa s0, v10, v3 src0_sel:BYTE_0 src1_sel:DWORD
	s_and_saveexec_b32 s17, s0
	s_cbranch_execz .LBB303_1017
; %bb.1010:                             ;   in Loop: Header=BB303_678 Depth=1
	v_cmp_ne_u16_sdwa s0, v10, v28 src0_sel:BYTE_0 src1_sel:DWORD
	v_mov_b32_e32 v59, 0x8000
	s_and_saveexec_b32 s18, s0
	s_cbranch_execz .LBB303_1016
; %bb.1011:                             ;   in Loop: Header=BB303_678 Depth=1
	v_and_b32_e32 v60, 0x7f, v10
	v_mov_b32_e32 v59, 0x7c01
	s_mov_b32 s21, exec_lo
	v_cmpx_ne_u32_e32 0x7f, v60
	s_cbranch_execz .LBB303_1015
; %bb.1012:                             ;   in Loop: Header=BB303_678 Depth=1
	v_and_b32_e32 v2, 7, v10
	v_lshrrev_b32_e32 v59, 3, v60
	s_mov_b32 s22, exec_lo
	v_cmpx_gt_u32_e32 8, v60
; %bb.1013:                             ;   in Loop: Header=BB303_678 Depth=1
	v_ffbh_u32_e32 v0, v2
	v_min_u32_e32 v0, 32, v0
	v_subrev_nc_u32_e32 v2, 28, v0
	v_sub_nc_u32_e32 v59, 29, v0
	v_lshlrev_b64 v[13:14], v2, v[10:11]
	v_and_b32_e32 v2, 7, v13
; %bb.1014:                             ;   in Loop: Header=BB303_678 Depth=1
	s_or_b32 exec_lo, exec_lo, s22
	v_lshlrev_b32_e32 v0, 8, v10
	v_lshl_add_u32 v13, v59, 10, 0x2000
	v_lshlrev_b32_e32 v2, 7, v2
	v_and_b32_e32 v0, 0x8000, v0
	v_and_b32_e32 v13, 0xfc00, v13
	v_or3_b32 v59, v0, v13, v2
.LBB303_1015:                           ;   in Loop: Header=BB303_678 Depth=1
	s_or_b32 exec_lo, exec_lo, s21
.LBB303_1016:                           ;   in Loop: Header=BB303_678 Depth=1
	s_or_b32 exec_lo, exec_lo, s18
.LBB303_1017:                           ;   in Loop: Header=BB303_678 Depth=1
	s_or_b32 exec_lo, exec_lo, s17
	v_lshrrev_b16 v2, 8, v10
	s_mov_b32 s17, exec_lo
	v_cmpx_ne_u16_e32 0, v2
	s_cbranch_execz .LBB303_1025
; %bb.1018:                             ;   in Loop: Header=BB303_678 Depth=1
	v_bfrev_b32_e32 v58, 1
	s_mov_b32 s18, exec_lo
	v_cmpx_ne_u16_e32 0x80, v2
	s_cbranch_execz .LBB303_1024
; %bb.1019:                             ;   in Loop: Header=BB303_678 Depth=1
	v_and_b32_sdwa v61, v2, v29 dst_sel:DWORD dst_unused:UNUSED_PAD src0_sel:WORD_0 src1_sel:DWORD
	v_mov_b32_e32 v58, 0x7c010000
	s_mov_b32 s21, exec_lo
	v_cmpx_ne_u32_e32 0x7f, v61
	s_cbranch_execz .LBB303_1023
; %bb.1020:                             ;   in Loop: Header=BB303_678 Depth=1
	v_and_b32_sdwa v58, v2, v30 dst_sel:DWORD dst_unused:UNUSED_PAD src0_sel:WORD_0 src1_sel:DWORD
	v_lshrrev_b32_e32 v60, 3, v61
	s_mov_b32 s22, exec_lo
	v_cmpx_gt_u32_e32 8, v61
; %bb.1021:                             ;   in Loop: Header=BB303_678 Depth=1
	v_ffbh_u32_e32 v0, v58
	v_min_u32_e32 v0, 32, v0
	v_subrev_nc_u32_e32 v13, 28, v0
	v_sub_nc_u32_e32 v60, 29, v0
	v_lshlrev_b64 v[13:14], v13, v[2:3]
	v_and_b32_e32 v58, 7, v13
; %bb.1022:                             ;   in Loop: Header=BB303_678 Depth=1
	s_or_b32 exec_lo, exec_lo, s22
	v_lshlrev_b32_sdwa v0, v31, v2 dst_sel:DWORD dst_unused:UNUSED_PAD src0_sel:DWORD src1_sel:WORD_0
	v_lshl_add_u32 v2, v60, 10, 0x2000
	v_and_or_b32 v0, 0x8000, v0, v2
	v_lshlrev_b32_e32 v2, 23, v58
	v_lshl_or_b32 v58, v0, 16, v2
.LBB303_1023:                           ;   in Loop: Header=BB303_678 Depth=1
	s_or_b32 exec_lo, exec_lo, s21
.LBB303_1024:                           ;   in Loop: Header=BB303_678 Depth=1
	s_or_b32 exec_lo, exec_lo, s18
.LBB303_1025:                           ;   in Loop: Header=BB303_678 Depth=1
	s_or_b32 exec_lo, exec_lo, s17
	v_lshrrev_b32_e32 v2, 16, v10
	v_mov_b32_e32 v60, 0
	v_mov_b32_e32 v61, 0
	v_cmp_ne_u16_sdwa s0, v2, v3 src0_sel:BYTE_0 src1_sel:DWORD
	s_and_saveexec_b32 s17, s0
	s_cbranch_execz .LBB303_1033
; %bb.1026:                             ;   in Loop: Header=BB303_678 Depth=1
	v_cmp_ne_u16_sdwa s0, v2, v28 src0_sel:BYTE_0 src1_sel:DWORD
	v_mov_b32_e32 v61, 0x8000
	s_and_saveexec_b32 s18, s0
	s_cbranch_execz .LBB303_1032
; %bb.1027:                             ;   in Loop: Header=BB303_678 Depth=1
	v_bfe_u32 v63, v10, 16, 7
	v_mov_b32_e32 v61, 0x7c01
	s_mov_b32 s21, exec_lo
	v_cmpx_ne_u32_e32 0x7f, v63
	s_cbranch_execz .LBB303_1031
; %bb.1028:                             ;   in Loop: Header=BB303_678 Depth=1
	v_and_b32_e32 v61, 7, v2
	v_lshrrev_b32_e32 v62, 3, v63
	s_mov_b32 s22, exec_lo
	v_cmpx_gt_u32_e32 8, v63
; %bb.1029:                             ;   in Loop: Header=BB303_678 Depth=1
	v_ffbh_u32_e32 v0, v61
	v_min_u32_e32 v0, 32, v0
	v_subrev_nc_u32_e32 v13, 28, v0
	v_sub_nc_u32_e32 v62, 29, v0
	v_lshlrev_b64 v[13:14], v13, v[2:3]
	v_and_b32_e32 v61, 7, v13
; %bb.1030:                             ;   in Loop: Header=BB303_678 Depth=1
	s_or_b32 exec_lo, exec_lo, s22
	v_lshlrev_b32_e32 v0, 8, v2
	v_lshl_add_u32 v2, v62, 10, 0x2000
	v_lshlrev_b32_e32 v13, 7, v61
	v_and_b32_e32 v0, 0x8000, v0
	v_and_b32_e32 v2, 0xfc00, v2
	v_or3_b32 v61, v0, v2, v13
.LBB303_1031:                           ;   in Loop: Header=BB303_678 Depth=1
	s_or_b32 exec_lo, exec_lo, s21
.LBB303_1032:                           ;   in Loop: Header=BB303_678 Depth=1
	s_or_b32 exec_lo, exec_lo, s18
.LBB303_1033:                           ;   in Loop: Header=BB303_678 Depth=1
	s_or_b32 exec_lo, exec_lo, s17
	s_mov_b32 s17, exec_lo
	v_cmpx_lt_u32_e32 0xffffff, v10
	s_cbranch_execz .LBB303_1041
; %bb.1034:                             ;   in Loop: Header=BB303_678 Depth=1
	v_lshrrev_b32_e32 v2, 24, v10
	v_bfrev_b32_e32 v60, 1
	s_mov_b32 s18, exec_lo
	v_cmpx_ne_u32_e32 0x80, v2
	s_cbranch_execz .LBB303_1040
; %bb.1035:                             ;   in Loop: Header=BB303_678 Depth=1
	v_and_b32_e32 v63, 0x7f, v2
	v_mov_b32_e32 v60, 0x7c010000
	s_mov_b32 s21, exec_lo
	v_cmpx_ne_u32_e32 0x7f, v63
	s_cbranch_execz .LBB303_1039
; %bb.1036:                             ;   in Loop: Header=BB303_678 Depth=1
	v_and_b32_e32 v60, 7, v2
	v_lshrrev_b32_e32 v62, 3, v63
	s_mov_b32 s22, exec_lo
	v_cmpx_gt_u32_e32 8, v63
; %bb.1037:                             ;   in Loop: Header=BB303_678 Depth=1
	v_ffbh_u32_e32 v0, v60
	v_min_u32_e32 v0, 32, v0
	v_subrev_nc_u32_e32 v13, 28, v0
	v_sub_nc_u32_e32 v62, 29, v0
	v_lshlrev_b64 v[13:14], v13, v[2:3]
	v_and_b32_e32 v60, 7, v13
; %bb.1038:                             ;   in Loop: Header=BB303_678 Depth=1
	s_or_b32 exec_lo, exec_lo, s22
	v_lshlrev_b32_e32 v0, 8, v2
	v_lshl_add_u32 v2, v62, 10, 0x2000
	v_and_or_b32 v0, 0x8000, v0, v2
	v_lshlrev_b32_e32 v2, 23, v60
	v_lshl_or_b32 v60, v0, 16, v2
.LBB303_1039:                           ;   in Loop: Header=BB303_678 Depth=1
	s_or_b32 exec_lo, exec_lo, s21
.LBB303_1040:                           ;   in Loop: Header=BB303_678 Depth=1
	s_or_b32 exec_lo, exec_lo, s18
.LBB303_1041:                           ;   in Loop: Header=BB303_678 Depth=1
	s_or_b32 exec_lo, exec_lo, s17
	v_mov_b32_e32 v2, v11
	v_cmp_ne_u16_sdwa s0, v11, v3 src0_sel:BYTE_0 src1_sel:DWORD
	v_mov_b32_e32 v62, 0
	v_mov_b32_e32 v63, 0
	s_and_saveexec_b32 s17, s0
	s_cbranch_execz .LBB303_1049
; %bb.1042:                             ;   in Loop: Header=BB303_678 Depth=1
	v_cmp_ne_u16_sdwa s0, v11, v28 src0_sel:BYTE_0 src1_sel:DWORD
	v_mov_b32_e32 v63, 0x8000
	s_and_saveexec_b32 s18, s0
	s_cbranch_execz .LBB303_1048
; %bb.1043:                             ;   in Loop: Header=BB303_678 Depth=1
	v_and_b32_e32 v65, 0x7f, v11
	v_mov_b32_e32 v63, 0x7c01
	s_mov_b32 s21, exec_lo
	v_cmpx_ne_u32_e32 0x7f, v65
	s_cbranch_execz .LBB303_1047
; %bb.1044:                             ;   in Loop: Header=BB303_678 Depth=1
	v_and_b32_e32 v63, 7, v11
	v_lshrrev_b32_e32 v64, 3, v65
	s_mov_b32 s22, exec_lo
	v_cmpx_gt_u32_e32 8, v65
; %bb.1045:                             ;   in Loop: Header=BB303_678 Depth=1
	v_ffbh_u32_e32 v0, v63
	v_min_u32_e32 v0, 32, v0
	v_subrev_nc_u32_e32 v13, 28, v0
	v_sub_nc_u32_e32 v64, 29, v0
	v_lshlrev_b64 v[13:14], v13, v[2:3]
	v_and_b32_e32 v63, 7, v13
; %bb.1046:                             ;   in Loop: Header=BB303_678 Depth=1
	s_or_b32 exec_lo, exec_lo, s22
	v_lshlrev_b32_e32 v0, 8, v11
	v_lshl_add_u32 v13, v64, 10, 0x2000
	v_lshlrev_b32_e32 v14, 7, v63
	v_and_b32_e32 v0, 0x8000, v0
	v_and_b32_e32 v13, 0xfc00, v13
	v_or3_b32 v63, v0, v13, v14
.LBB303_1047:                           ;   in Loop: Header=BB303_678 Depth=1
	s_or_b32 exec_lo, exec_lo, s21
.LBB303_1048:                           ;   in Loop: Header=BB303_678 Depth=1
	s_or_b32 exec_lo, exec_lo, s18
.LBB303_1049:                           ;   in Loop: Header=BB303_678 Depth=1
	s_or_b32 exec_lo, exec_lo, s17
	v_lshrrev_b16 v2, 8, v2
	v_mov_b32_e32 v64, 0
	s_mov_b32 s17, exec_lo
	v_cmpx_ne_u16_e32 0, v2
	s_cbranch_execz .LBB303_1057
; %bb.1050:                             ;   in Loop: Header=BB303_678 Depth=1
	v_bfrev_b32_e32 v64, 1
	s_mov_b32 s18, exec_lo
	v_cmpx_ne_u16_e32 0x80, v2
	s_cbranch_execz .LBB303_1056
; %bb.1051:                             ;   in Loop: Header=BB303_678 Depth=1
	v_and_b32_sdwa v66, v2, v29 dst_sel:DWORD dst_unused:UNUSED_PAD src0_sel:WORD_0 src1_sel:DWORD
	v_mov_b32_e32 v64, 0x7c010000
	s_mov_b32 s21, exec_lo
	v_cmpx_ne_u32_e32 0x7f, v66
	s_cbranch_execz .LBB303_1055
; %bb.1052:                             ;   in Loop: Header=BB303_678 Depth=1
	v_and_b32_sdwa v64, v2, v30 dst_sel:DWORD dst_unused:UNUSED_PAD src0_sel:WORD_0 src1_sel:DWORD
	v_lshrrev_b32_e32 v65, 3, v66
	s_mov_b32 s22, exec_lo
	v_cmpx_gt_u32_e32 8, v66
; %bb.1053:                             ;   in Loop: Header=BB303_678 Depth=1
	v_ffbh_u32_e32 v0, v64
	v_min_u32_e32 v0, 32, v0
	v_subrev_nc_u32_e32 v13, 28, v0
	v_sub_nc_u32_e32 v65, 29, v0
	v_lshlrev_b64 v[13:14], v13, v[2:3]
	v_and_b32_e32 v64, 7, v13
; %bb.1054:                             ;   in Loop: Header=BB303_678 Depth=1
	s_or_b32 exec_lo, exec_lo, s22
	v_lshlrev_b32_sdwa v0, v31, v2 dst_sel:DWORD dst_unused:UNUSED_PAD src0_sel:DWORD src1_sel:WORD_0
	v_lshl_add_u32 v2, v65, 10, 0x2000
	v_and_or_b32 v0, 0x8000, v0, v2
	v_lshlrev_b32_e32 v2, 23, v64
	v_lshl_or_b32 v64, v0, 16, v2
.LBB303_1055:                           ;   in Loop: Header=BB303_678 Depth=1
	s_or_b32 exec_lo, exec_lo, s21
.LBB303_1056:                           ;   in Loop: Header=BB303_678 Depth=1
	s_or_b32 exec_lo, exec_lo, s18
.LBB303_1057:                           ;   in Loop: Header=BB303_678 Depth=1
	s_or_b32 exec_lo, exec_lo, s17
	v_lshrrev_b32_e32 v2, 16, v11
	v_cmp_ne_u16_sdwa s0, v2, v3 src0_sel:BYTE_0 src1_sel:DWORD
	s_and_saveexec_b32 s17, s0
	s_cbranch_execz .LBB303_1065
; %bb.1058:                             ;   in Loop: Header=BB303_678 Depth=1
	v_cmp_ne_u16_sdwa s0, v2, v28 src0_sel:BYTE_0 src1_sel:DWORD
	v_mov_b32_e32 v62, 0x8000
	s_and_saveexec_b32 s18, s0
	s_cbranch_execz .LBB303_1064
; %bb.1059:                             ;   in Loop: Header=BB303_678 Depth=1
	v_bfe_u32 v66, v11, 16, 7
	v_mov_b32_e32 v62, 0x7c01
	s_mov_b32 s21, exec_lo
	v_cmpx_ne_u32_e32 0x7f, v66
	s_cbranch_execz .LBB303_1063
; %bb.1060:                             ;   in Loop: Header=BB303_678 Depth=1
	v_and_b32_e32 v62, 7, v2
	v_lshrrev_b32_e32 v65, 3, v66
	s_mov_b32 s22, exec_lo
	v_cmpx_gt_u32_e32 8, v66
; %bb.1061:                             ;   in Loop: Header=BB303_678 Depth=1
	v_ffbh_u32_e32 v0, v62
	v_min_u32_e32 v0, 32, v0
	v_subrev_nc_u32_e32 v13, 28, v0
	v_sub_nc_u32_e32 v65, 29, v0
	v_lshlrev_b64 v[13:14], v13, v[2:3]
	v_and_b32_e32 v62, 7, v13
; %bb.1062:                             ;   in Loop: Header=BB303_678 Depth=1
	s_or_b32 exec_lo, exec_lo, s22
	v_lshlrev_b32_e32 v0, 8, v2
	v_lshl_add_u32 v2, v65, 10, 0x2000
	v_lshlrev_b32_e32 v13, 7, v62
	v_and_b32_e32 v0, 0x8000, v0
	v_and_b32_e32 v2, 0xfc00, v2
	v_or3_b32 v62, v0, v2, v13
.LBB303_1063:                           ;   in Loop: Header=BB303_678 Depth=1
	s_or_b32 exec_lo, exec_lo, s21
.LBB303_1064:                           ;   in Loop: Header=BB303_678 Depth=1
	s_or_b32 exec_lo, exec_lo, s18
.LBB303_1065:                           ;   in Loop: Header=BB303_678 Depth=1
	s_or_b32 exec_lo, exec_lo, s17
	v_cmp_lt_u64_e64 s0, s[4:5], v[10:11]
	v_mov_b32_e32 v10, 0
	s_and_saveexec_b32 s17, s0
	s_cbranch_execz .LBB303_1073
; %bb.1066:                             ;   in Loop: Header=BB303_678 Depth=1
	v_lshrrev_b32_e32 v2, 24, v11
	v_bfrev_b32_e32 v10, 1
	s_mov_b32 s18, exec_lo
	v_cmpx_ne_u32_e32 0x80, v2
	s_cbranch_execz .LBB303_1072
; %bb.1067:                             ;   in Loop: Header=BB303_678 Depth=1
	v_and_b32_e32 v65, 0x7f, v2
	v_mov_b32_e32 v10, 0x7c010000
	s_mov_b32 s21, exec_lo
	v_cmpx_ne_u32_e32 0x7f, v65
	s_cbranch_execz .LBB303_1071
; %bb.1068:                             ;   in Loop: Header=BB303_678 Depth=1
	v_and_b32_e32 v10, 7, v2
	v_lshrrev_b32_e32 v11, 3, v65
	s_mov_b32 s22, exec_lo
	v_cmpx_gt_u32_e32 8, v65
; %bb.1069:                             ;   in Loop: Header=BB303_678 Depth=1
	v_ffbh_u32_e32 v0, v10
	v_min_u32_e32 v0, 32, v0
	v_subrev_nc_u32_e32 v10, 28, v0
	v_lshlrev_b64 v[10:11], v10, v[2:3]
	v_sub_nc_u32_e32 v11, 29, v0
	v_and_b32_e32 v10, 7, v10
; %bb.1070:                             ;   in Loop: Header=BB303_678 Depth=1
	s_or_b32 exec_lo, exec_lo, s22
	v_lshlrev_b32_e32 v0, 8, v2
	v_lshl_add_u32 v2, v11, 10, 0x2000
	v_and_or_b32 v0, 0x8000, v0, v2
	v_lshlrev_b32_e32 v2, 23, v10
	v_lshl_or_b32 v10, v0, 16, v2
.LBB303_1071:                           ;   in Loop: Header=BB303_678 Depth=1
	s_or_b32 exec_lo, exec_lo, s21
.LBB303_1072:                           ;   in Loop: Header=BB303_678 Depth=1
	s_or_b32 exec_lo, exec_lo, s18
.LBB303_1073:                           ;   in Loop: Header=BB303_678 Depth=1
	s_or_b32 exec_lo, exec_lo, s17
	v_or_b32_e32 v0, v60, v61
	v_or_b32_e32 v11, v58, v59
	s_waitcnt vmcnt(0)
	v_fma_mixlo_f16 v13, v57, v58, 0 op_sel:[0,1,0] op_sel_hi:[0,1,0]
	v_or_b32_e32 v14, v64, v63
	v_or_b32_e32 v58, v10, v62
	v_fma_mixlo_f16 v0, v57, v0, 0 op_sel_hi:[0,1,0]
	v_fma_mixlo_f16 v2, v57, v60, 0 op_sel:[0,1,0] op_sel_hi:[0,1,0]
	v_lshlrev_b32_e32 v59, 16, v13
	v_fma_mixlo_f16 v13, v57, v11, 0 op_sel_hi:[0,1,0]
	v_fma_mixlo_f16 v14, v57, v14, 0 op_sel_hi:[0,1,0]
	v_and_b32_e32 v11, 0xffff, v0
	v_fma_mixlo_f16 v0, v57, v64, 0 op_sel:[0,1,0] op_sel_hi:[0,1,0]
	v_fma_mixlo_f16 v10, v57, v10, 0 op_sel:[0,1,0] op_sel_hi:[0,1,0]
	v_fma_mixlo_f16 v58, v57, v58, 0 op_sel_hi:[0,1,0]
	v_lshlrev_b32_e32 v2, 16, v2
	v_and_b32_e32 v65, 0xffff, v13
	v_lshlrev_b32_e32 v57, 16, v0
	v_and_b32_e32 v61, 0xffff, v14
	v_lshlrev_b32_e32 v10, 16, v10
	v_and_b32_e32 v58, 0xffff, v58
	v_or_b32_e32 v60, v2, v11
	v_or_b32_e32 v64, v59, v65
	;; [unrolled: 1-line block ×4, first 2 shown]
	s_and_saveexec_b32 s17, vcc_lo
	s_cbranch_execz .LBB303_1075
; %bb.1074:                             ;   in Loop: Header=BB303_678 Depth=1
	v_cmp_gt_i32_e64 s0, s31, v35
	v_cndmask_b32_e64 v0, 0, v65, s0
	v_cmp_gt_i32_e64 s0, s31, v47
	v_cndmask_b32_e64 v13, 0, v59, s0
	v_cmp_gt_i32_e64 s0, s31, v45
	v_or_b32_e32 v64, v13, v0
	v_cndmask_b32_e64 v11, 0, v11, s0
	v_cmp_gt_i32_e64 s0, s31, v43
	v_cndmask_b32_e64 v2, 0, v2, s0
	v_cmp_gt_i32_e64 s0, s31, v41
	v_or_b32_e32 v60, v2, v11
	;; [unrolled: 5-line block ×3, first 2 shown]
	v_cndmask_b32_e64 v58, 0, v58, s0
	v_cmp_gt_i32_e64 s0, s31, v36
	v_cndmask_b32_e64 v10, 0, v10, s0
	v_or_b32_e32 v62, v10, v58
.LBB303_1075:                           ;   in Loop: Header=BB303_678 Depth=1
	s_or_b32 exec_lo, exec_lo, s17
	;;#ASMSTART
	v_pk_mul_f16 v0, v48, v64;

	;;#ASMEND
	;;#ASMSTART
	v_pk_mul_f16 v2, v46, v60;

	;;#ASMEND
	;; [unrolled: 4-line block ×4, first 2 shown]
	;;#ASMSTART
	v_pk_add_f16 v0, v0, v2;

	;;#ASMEND
	;;#ASMSTART
	v_pk_add_f16 v0, v0, v10;

	;;#ASMEND
	;; [unrolled: 4-line block ×3, first 2 shown]
	v_and_b32_e32 v2, 0xffff, v0
	v_lshrrev_b32_e32 v0, 16, v0
	;;#ASMSTART
	v_cvt_f32_f16 v57, v2;
	;;#ASMEND
	;;#ASMSTART
	v_cvt_f32_f16 v58, v0;
	;;#ASMEND
	global_load_dwordx2 v[10:11], v[8:9], off offset:1536
	v_mov_b32_e32 v60, 0
	v_mov_b32_e32 v61, 0
	global_load_dword v59, v60, s[14:15]
	s_waitcnt vmcnt(1)
	v_cmp_ne_u16_sdwa s0, v10, v3 src0_sel:BYTE_0 src1_sel:DWORD
	s_and_saveexec_b32 s17, s0
	s_cbranch_execz .LBB303_1083
; %bb.1076:                             ;   in Loop: Header=BB303_678 Depth=1
	v_cmp_ne_u16_sdwa s0, v10, v28 src0_sel:BYTE_0 src1_sel:DWORD
	v_mov_b32_e32 v61, 0x8000
	s_and_saveexec_b32 s18, s0
	s_cbranch_execz .LBB303_1082
; %bb.1077:                             ;   in Loop: Header=BB303_678 Depth=1
	v_and_b32_e32 v62, 0x7f, v10
	v_mov_b32_e32 v61, 0x7c01
	s_mov_b32 s21, exec_lo
	v_cmpx_ne_u32_e32 0x7f, v62
	s_cbranch_execz .LBB303_1081
; %bb.1078:                             ;   in Loop: Header=BB303_678 Depth=1
	v_and_b32_e32 v2, 7, v10
	v_lshrrev_b32_e32 v61, 3, v62
	s_mov_b32 s22, exec_lo
	v_cmpx_gt_u32_e32 8, v62
; %bb.1079:                             ;   in Loop: Header=BB303_678 Depth=1
	v_ffbh_u32_e32 v0, v2
	v_min_u32_e32 v0, 32, v0
	v_subrev_nc_u32_e32 v2, 28, v0
	v_sub_nc_u32_e32 v61, 29, v0
	v_lshlrev_b64 v[13:14], v2, v[10:11]
	v_and_b32_e32 v2, 7, v13
; %bb.1080:                             ;   in Loop: Header=BB303_678 Depth=1
	s_or_b32 exec_lo, exec_lo, s22
	v_lshlrev_b32_e32 v0, 8, v10
	v_lshl_add_u32 v13, v61, 10, 0x2000
	v_lshlrev_b32_e32 v2, 7, v2
	v_and_b32_e32 v0, 0x8000, v0
	v_and_b32_e32 v13, 0xfc00, v13
	v_or3_b32 v61, v0, v13, v2
.LBB303_1081:                           ;   in Loop: Header=BB303_678 Depth=1
	s_or_b32 exec_lo, exec_lo, s21
.LBB303_1082:                           ;   in Loop: Header=BB303_678 Depth=1
	s_or_b32 exec_lo, exec_lo, s18
.LBB303_1083:                           ;   in Loop: Header=BB303_678 Depth=1
	s_or_b32 exec_lo, exec_lo, s17
	v_lshrrev_b16 v2, 8, v10
	s_mov_b32 s17, exec_lo
	v_cmpx_ne_u16_e32 0, v2
	s_cbranch_execz .LBB303_1091
; %bb.1084:                             ;   in Loop: Header=BB303_678 Depth=1
	v_bfrev_b32_e32 v60, 1
	s_mov_b32 s18, exec_lo
	v_cmpx_ne_u16_e32 0x80, v2
	s_cbranch_execz .LBB303_1090
; %bb.1085:                             ;   in Loop: Header=BB303_678 Depth=1
	v_and_b32_sdwa v63, v2, v29 dst_sel:DWORD dst_unused:UNUSED_PAD src0_sel:WORD_0 src1_sel:DWORD
	v_mov_b32_e32 v60, 0x7c010000
	s_mov_b32 s21, exec_lo
	v_cmpx_ne_u32_e32 0x7f, v63
	s_cbranch_execz .LBB303_1089
; %bb.1086:                             ;   in Loop: Header=BB303_678 Depth=1
	v_and_b32_sdwa v60, v2, v30 dst_sel:DWORD dst_unused:UNUSED_PAD src0_sel:WORD_0 src1_sel:DWORD
	v_lshrrev_b32_e32 v62, 3, v63
	s_mov_b32 s22, exec_lo
	v_cmpx_gt_u32_e32 8, v63
; %bb.1087:                             ;   in Loop: Header=BB303_678 Depth=1
	v_ffbh_u32_e32 v0, v60
	v_min_u32_e32 v0, 32, v0
	v_subrev_nc_u32_e32 v13, 28, v0
	v_sub_nc_u32_e32 v62, 29, v0
	v_lshlrev_b64 v[13:14], v13, v[2:3]
	v_and_b32_e32 v60, 7, v13
; %bb.1088:                             ;   in Loop: Header=BB303_678 Depth=1
	s_or_b32 exec_lo, exec_lo, s22
	v_lshlrev_b32_sdwa v0, v31, v2 dst_sel:DWORD dst_unused:UNUSED_PAD src0_sel:DWORD src1_sel:WORD_0
	v_lshl_add_u32 v2, v62, 10, 0x2000
	v_and_or_b32 v0, 0x8000, v0, v2
	v_lshlrev_b32_e32 v2, 23, v60
	v_lshl_or_b32 v60, v0, 16, v2
.LBB303_1089:                           ;   in Loop: Header=BB303_678 Depth=1
	s_or_b32 exec_lo, exec_lo, s21
.LBB303_1090:                           ;   in Loop: Header=BB303_678 Depth=1
	s_or_b32 exec_lo, exec_lo, s18
.LBB303_1091:                           ;   in Loop: Header=BB303_678 Depth=1
	s_or_b32 exec_lo, exec_lo, s17
	v_lshrrev_b32_e32 v2, 16, v10
	v_mov_b32_e32 v62, 0
	v_mov_b32_e32 v63, 0
	v_cmp_ne_u16_sdwa s0, v2, v3 src0_sel:BYTE_0 src1_sel:DWORD
	s_and_saveexec_b32 s17, s0
	s_cbranch_execz .LBB303_1099
; %bb.1092:                             ;   in Loop: Header=BB303_678 Depth=1
	v_cmp_ne_u16_sdwa s0, v2, v28 src0_sel:BYTE_0 src1_sel:DWORD
	v_mov_b32_e32 v63, 0x8000
	s_and_saveexec_b32 s18, s0
	s_cbranch_execz .LBB303_1098
; %bb.1093:                             ;   in Loop: Header=BB303_678 Depth=1
	v_bfe_u32 v65, v10, 16, 7
	v_mov_b32_e32 v63, 0x7c01
	s_mov_b32 s21, exec_lo
	v_cmpx_ne_u32_e32 0x7f, v65
	s_cbranch_execz .LBB303_1097
; %bb.1094:                             ;   in Loop: Header=BB303_678 Depth=1
	v_and_b32_e32 v63, 7, v2
	v_lshrrev_b32_e32 v64, 3, v65
	s_mov_b32 s22, exec_lo
	v_cmpx_gt_u32_e32 8, v65
; %bb.1095:                             ;   in Loop: Header=BB303_678 Depth=1
	v_ffbh_u32_e32 v0, v63
	v_min_u32_e32 v0, 32, v0
	v_subrev_nc_u32_e32 v13, 28, v0
	v_sub_nc_u32_e32 v64, 29, v0
	v_lshlrev_b64 v[13:14], v13, v[2:3]
	v_and_b32_e32 v63, 7, v13
; %bb.1096:                             ;   in Loop: Header=BB303_678 Depth=1
	s_or_b32 exec_lo, exec_lo, s22
	v_lshlrev_b32_e32 v0, 8, v2
	v_lshl_add_u32 v2, v64, 10, 0x2000
	v_lshlrev_b32_e32 v13, 7, v63
	v_and_b32_e32 v0, 0x8000, v0
	v_and_b32_e32 v2, 0xfc00, v2
	v_or3_b32 v63, v0, v2, v13
.LBB303_1097:                           ;   in Loop: Header=BB303_678 Depth=1
	s_or_b32 exec_lo, exec_lo, s21
.LBB303_1098:                           ;   in Loop: Header=BB303_678 Depth=1
	s_or_b32 exec_lo, exec_lo, s18
.LBB303_1099:                           ;   in Loop: Header=BB303_678 Depth=1
	s_or_b32 exec_lo, exec_lo, s17
	s_mov_b32 s17, exec_lo
	v_cmpx_lt_u32_e32 0xffffff, v10
	s_cbranch_execz .LBB303_1107
; %bb.1100:                             ;   in Loop: Header=BB303_678 Depth=1
	v_lshrrev_b32_e32 v2, 24, v10
	v_bfrev_b32_e32 v62, 1
	s_mov_b32 s18, exec_lo
	v_cmpx_ne_u32_e32 0x80, v2
	s_cbranch_execz .LBB303_1106
; %bb.1101:                             ;   in Loop: Header=BB303_678 Depth=1
	v_and_b32_e32 v65, 0x7f, v2
	v_mov_b32_e32 v62, 0x7c010000
	s_mov_b32 s21, exec_lo
	v_cmpx_ne_u32_e32 0x7f, v65
	s_cbranch_execz .LBB303_1105
; %bb.1102:                             ;   in Loop: Header=BB303_678 Depth=1
	v_and_b32_e32 v62, 7, v2
	v_lshrrev_b32_e32 v64, 3, v65
	s_mov_b32 s22, exec_lo
	v_cmpx_gt_u32_e32 8, v65
; %bb.1103:                             ;   in Loop: Header=BB303_678 Depth=1
	v_ffbh_u32_e32 v0, v62
	v_min_u32_e32 v0, 32, v0
	v_subrev_nc_u32_e32 v13, 28, v0
	v_sub_nc_u32_e32 v64, 29, v0
	v_lshlrev_b64 v[13:14], v13, v[2:3]
	v_and_b32_e32 v62, 7, v13
; %bb.1104:                             ;   in Loop: Header=BB303_678 Depth=1
	s_or_b32 exec_lo, exec_lo, s22
	v_lshlrev_b32_e32 v0, 8, v2
	v_lshl_add_u32 v2, v64, 10, 0x2000
	v_and_or_b32 v0, 0x8000, v0, v2
	v_lshlrev_b32_e32 v2, 23, v62
	v_lshl_or_b32 v62, v0, 16, v2
.LBB303_1105:                           ;   in Loop: Header=BB303_678 Depth=1
	s_or_b32 exec_lo, exec_lo, s21
.LBB303_1106:                           ;   in Loop: Header=BB303_678 Depth=1
	s_or_b32 exec_lo, exec_lo, s18
.LBB303_1107:                           ;   in Loop: Header=BB303_678 Depth=1
	s_or_b32 exec_lo, exec_lo, s17
	v_mov_b32_e32 v2, v11
	v_cmp_ne_u16_sdwa s0, v11, v3 src0_sel:BYTE_0 src1_sel:DWORD
	v_mov_b32_e32 v64, 0
	v_mov_b32_e32 v65, 0
	s_and_saveexec_b32 s17, s0
	s_cbranch_execz .LBB303_1115
; %bb.1108:                             ;   in Loop: Header=BB303_678 Depth=1
	v_cmp_ne_u16_sdwa s0, v11, v28 src0_sel:BYTE_0 src1_sel:DWORD
	v_mov_b32_e32 v65, 0x8000
	s_and_saveexec_b32 s18, s0
	s_cbranch_execz .LBB303_1114
; %bb.1109:                             ;   in Loop: Header=BB303_678 Depth=1
	v_and_b32_e32 v67, 0x7f, v11
	v_mov_b32_e32 v65, 0x7c01
	s_mov_b32 s21, exec_lo
	v_cmpx_ne_u32_e32 0x7f, v67
	s_cbranch_execz .LBB303_1113
; %bb.1110:                             ;   in Loop: Header=BB303_678 Depth=1
	v_and_b32_e32 v65, 7, v11
	v_lshrrev_b32_e32 v66, 3, v67
	s_mov_b32 s22, exec_lo
	v_cmpx_gt_u32_e32 8, v67
; %bb.1111:                             ;   in Loop: Header=BB303_678 Depth=1
	v_ffbh_u32_e32 v0, v65
	v_min_u32_e32 v0, 32, v0
	v_subrev_nc_u32_e32 v13, 28, v0
	v_sub_nc_u32_e32 v66, 29, v0
	v_lshlrev_b64 v[13:14], v13, v[2:3]
	v_and_b32_e32 v65, 7, v13
; %bb.1112:                             ;   in Loop: Header=BB303_678 Depth=1
	s_or_b32 exec_lo, exec_lo, s22
	v_lshlrev_b32_e32 v0, 8, v11
	v_lshl_add_u32 v13, v66, 10, 0x2000
	v_lshlrev_b32_e32 v14, 7, v65
	v_and_b32_e32 v0, 0x8000, v0
	v_and_b32_e32 v13, 0xfc00, v13
	v_or3_b32 v65, v0, v13, v14
.LBB303_1113:                           ;   in Loop: Header=BB303_678 Depth=1
	s_or_b32 exec_lo, exec_lo, s21
.LBB303_1114:                           ;   in Loop: Header=BB303_678 Depth=1
	s_or_b32 exec_lo, exec_lo, s18
.LBB303_1115:                           ;   in Loop: Header=BB303_678 Depth=1
	s_or_b32 exec_lo, exec_lo, s17
	v_lshrrev_b16 v2, 8, v2
	v_mov_b32_e32 v66, 0
	s_mov_b32 s17, exec_lo
	v_cmpx_ne_u16_e32 0, v2
	s_cbranch_execz .LBB303_1123
; %bb.1116:                             ;   in Loop: Header=BB303_678 Depth=1
	v_bfrev_b32_e32 v66, 1
	s_mov_b32 s18, exec_lo
	v_cmpx_ne_u16_e32 0x80, v2
	s_cbranch_execz .LBB303_1122
; %bb.1117:                             ;   in Loop: Header=BB303_678 Depth=1
	v_and_b32_sdwa v68, v2, v29 dst_sel:DWORD dst_unused:UNUSED_PAD src0_sel:WORD_0 src1_sel:DWORD
	v_mov_b32_e32 v66, 0x7c010000
	s_mov_b32 s21, exec_lo
	v_cmpx_ne_u32_e32 0x7f, v68
	s_cbranch_execz .LBB303_1121
; %bb.1118:                             ;   in Loop: Header=BB303_678 Depth=1
	v_and_b32_sdwa v66, v2, v30 dst_sel:DWORD dst_unused:UNUSED_PAD src0_sel:WORD_0 src1_sel:DWORD
	v_lshrrev_b32_e32 v67, 3, v68
	s_mov_b32 s22, exec_lo
	v_cmpx_gt_u32_e32 8, v68
; %bb.1119:                             ;   in Loop: Header=BB303_678 Depth=1
	v_ffbh_u32_e32 v0, v66
	v_min_u32_e32 v0, 32, v0
	v_subrev_nc_u32_e32 v13, 28, v0
	v_sub_nc_u32_e32 v67, 29, v0
	v_lshlrev_b64 v[13:14], v13, v[2:3]
	v_and_b32_e32 v66, 7, v13
; %bb.1120:                             ;   in Loop: Header=BB303_678 Depth=1
	s_or_b32 exec_lo, exec_lo, s22
	v_lshlrev_b32_sdwa v0, v31, v2 dst_sel:DWORD dst_unused:UNUSED_PAD src0_sel:DWORD src1_sel:WORD_0
	v_lshl_add_u32 v2, v67, 10, 0x2000
	v_and_or_b32 v0, 0x8000, v0, v2
	v_lshlrev_b32_e32 v2, 23, v66
	v_lshl_or_b32 v66, v0, 16, v2
.LBB303_1121:                           ;   in Loop: Header=BB303_678 Depth=1
	s_or_b32 exec_lo, exec_lo, s21
.LBB303_1122:                           ;   in Loop: Header=BB303_678 Depth=1
	s_or_b32 exec_lo, exec_lo, s18
.LBB303_1123:                           ;   in Loop: Header=BB303_678 Depth=1
	s_or_b32 exec_lo, exec_lo, s17
	v_lshrrev_b32_e32 v2, 16, v11
	v_cmp_ne_u16_sdwa s0, v2, v3 src0_sel:BYTE_0 src1_sel:DWORD
	s_and_saveexec_b32 s17, s0
	s_cbranch_execz .LBB303_1131
; %bb.1124:                             ;   in Loop: Header=BB303_678 Depth=1
	v_cmp_ne_u16_sdwa s0, v2, v28 src0_sel:BYTE_0 src1_sel:DWORD
	v_mov_b32_e32 v64, 0x8000
	s_and_saveexec_b32 s18, s0
	s_cbranch_execz .LBB303_1130
; %bb.1125:                             ;   in Loop: Header=BB303_678 Depth=1
	v_bfe_u32 v68, v11, 16, 7
	v_mov_b32_e32 v64, 0x7c01
	s_mov_b32 s21, exec_lo
	v_cmpx_ne_u32_e32 0x7f, v68
	s_cbranch_execz .LBB303_1129
; %bb.1126:                             ;   in Loop: Header=BB303_678 Depth=1
	v_and_b32_e32 v64, 7, v2
	v_lshrrev_b32_e32 v67, 3, v68
	s_mov_b32 s22, exec_lo
	v_cmpx_gt_u32_e32 8, v68
; %bb.1127:                             ;   in Loop: Header=BB303_678 Depth=1
	v_ffbh_u32_e32 v0, v64
	v_min_u32_e32 v0, 32, v0
	v_subrev_nc_u32_e32 v13, 28, v0
	v_sub_nc_u32_e32 v67, 29, v0
	v_lshlrev_b64 v[13:14], v13, v[2:3]
	v_and_b32_e32 v64, 7, v13
; %bb.1128:                             ;   in Loop: Header=BB303_678 Depth=1
	s_or_b32 exec_lo, exec_lo, s22
	v_lshlrev_b32_e32 v0, 8, v2
	v_lshl_add_u32 v2, v67, 10, 0x2000
	v_lshlrev_b32_e32 v13, 7, v64
	v_and_b32_e32 v0, 0x8000, v0
	v_and_b32_e32 v2, 0xfc00, v2
	v_or3_b32 v64, v0, v2, v13
.LBB303_1129:                           ;   in Loop: Header=BB303_678 Depth=1
	s_or_b32 exec_lo, exec_lo, s21
.LBB303_1130:                           ;   in Loop: Header=BB303_678 Depth=1
	s_or_b32 exec_lo, exec_lo, s18
.LBB303_1131:                           ;   in Loop: Header=BB303_678 Depth=1
	s_or_b32 exec_lo, exec_lo, s17
	v_cmp_lt_u64_e64 s0, s[4:5], v[10:11]
	v_mov_b32_e32 v10, 0
	s_and_saveexec_b32 s17, s0
	s_cbranch_execz .LBB303_1139
; %bb.1132:                             ;   in Loop: Header=BB303_678 Depth=1
	v_lshrrev_b32_e32 v2, 24, v11
	v_bfrev_b32_e32 v10, 1
	s_mov_b32 s18, exec_lo
	v_cmpx_ne_u32_e32 0x80, v2
	s_cbranch_execz .LBB303_1138
; %bb.1133:                             ;   in Loop: Header=BB303_678 Depth=1
	v_and_b32_e32 v67, 0x7f, v2
	v_mov_b32_e32 v10, 0x7c010000
	s_mov_b32 s21, exec_lo
	v_cmpx_ne_u32_e32 0x7f, v67
	s_cbranch_execz .LBB303_1137
; %bb.1134:                             ;   in Loop: Header=BB303_678 Depth=1
	v_and_b32_e32 v10, 7, v2
	v_lshrrev_b32_e32 v11, 3, v67
	s_mov_b32 s22, exec_lo
	v_cmpx_gt_u32_e32 8, v67
; %bb.1135:                             ;   in Loop: Header=BB303_678 Depth=1
	v_ffbh_u32_e32 v0, v10
	v_min_u32_e32 v0, 32, v0
	v_subrev_nc_u32_e32 v10, 28, v0
	v_lshlrev_b64 v[10:11], v10, v[2:3]
	v_sub_nc_u32_e32 v11, 29, v0
	v_and_b32_e32 v10, 7, v10
; %bb.1136:                             ;   in Loop: Header=BB303_678 Depth=1
	s_or_b32 exec_lo, exec_lo, s22
	v_lshlrev_b32_e32 v0, 8, v2
	v_lshl_add_u32 v2, v11, 10, 0x2000
	v_and_or_b32 v0, 0x8000, v0, v2
	v_lshlrev_b32_e32 v2, 23, v10
	v_lshl_or_b32 v10, v0, 16, v2
.LBB303_1137:                           ;   in Loop: Header=BB303_678 Depth=1
	s_or_b32 exec_lo, exec_lo, s21
.LBB303_1138:                           ;   in Loop: Header=BB303_678 Depth=1
	s_or_b32 exec_lo, exec_lo, s18
.LBB303_1139:                           ;   in Loop: Header=BB303_678 Depth=1
	s_or_b32 exec_lo, exec_lo, s17
	v_or_b32_e32 v0, v62, v63
	v_or_b32_e32 v11, v60, v61
	s_waitcnt vmcnt(0)
	v_fma_mixlo_f16 v13, v59, v60, 0 op_sel:[0,1,0] op_sel_hi:[0,1,0]
	v_or_b32_e32 v14, v66, v65
	v_or_b32_e32 v60, v10, v64
	v_fma_mixlo_f16 v0, v59, v0, 0 op_sel_hi:[0,1,0]
	v_fma_mixlo_f16 v2, v59, v62, 0 op_sel:[0,1,0] op_sel_hi:[0,1,0]
	v_lshlrev_b32_e32 v61, 16, v13
	v_fma_mixlo_f16 v13, v59, v11, 0 op_sel_hi:[0,1,0]
	v_fma_mixlo_f16 v14, v59, v14, 0 op_sel_hi:[0,1,0]
	v_and_b32_e32 v11, 0xffff, v0
	v_fma_mixlo_f16 v0, v59, v66, 0 op_sel:[0,1,0] op_sel_hi:[0,1,0]
	v_fma_mixlo_f16 v10, v59, v10, 0 op_sel:[0,1,0] op_sel_hi:[0,1,0]
	v_fma_mixlo_f16 v60, v59, v60, 0 op_sel_hi:[0,1,0]
	v_lshlrev_b32_e32 v2, 16, v2
	v_and_b32_e32 v67, 0xffff, v13
	v_lshlrev_b32_e32 v59, 16, v0
	v_and_b32_e32 v63, 0xffff, v14
	;; [unrolled: 2-line block ×3, first 2 shown]
	v_or_b32_e32 v62, v2, v11
	v_or_b32_e32 v66, v61, v67
	;; [unrolled: 1-line block ×4, first 2 shown]
	s_and_saveexec_b32 s17, vcc_lo
	s_cbranch_execz .LBB303_1141
; %bb.1140:                             ;   in Loop: Header=BB303_678 Depth=1
	v_cmp_gt_i32_e64 s0, s31, v35
	v_cndmask_b32_e64 v0, 0, v67, s0
	v_cmp_gt_i32_e64 s0, s31, v47
	v_cndmask_b32_e64 v13, 0, v61, s0
	v_cmp_gt_i32_e64 s0, s31, v45
	v_or_b32_e32 v66, v13, v0
	v_cndmask_b32_e64 v11, 0, v11, s0
	v_cmp_gt_i32_e64 s0, s31, v43
	v_cndmask_b32_e64 v2, 0, v2, s0
	v_cmp_gt_i32_e64 s0, s31, v41
	v_or_b32_e32 v62, v2, v11
	v_cndmask_b32_e64 v14, 0, v63, s0
	v_cmp_gt_i32_e64 s0, s31, v39
	v_cndmask_b32_e64 v59, 0, v59, s0
	v_cmp_gt_i32_e64 s0, s31, v37
	v_or_b32_e32 v65, v59, v14
	v_cndmask_b32_e64 v60, 0, v60, s0
	v_cmp_gt_i32_e64 s0, s31, v36
	v_cndmask_b32_e64 v10, 0, v10, s0
	v_or_b32_e32 v64, v10, v60
.LBB303_1141:                           ;   in Loop: Header=BB303_678 Depth=1
	s_or_b32 exec_lo, exec_lo, s17
	;;#ASMSTART
	v_pk_mul_f16 v0, v48, v66;

	;;#ASMEND
	;;#ASMSTART
	v_pk_mul_f16 v2, v46, v62;

	;;#ASMEND
	;; [unrolled: 4-line block ×4, first 2 shown]
	;;#ASMSTART
	v_pk_add_f16 v0, v0, v2;

	;;#ASMEND
	;;#ASMSTART
	v_pk_add_f16 v0, v0, v10;

	;;#ASMEND
	;;#ASMSTART
	v_pk_add_f16 v0, v0, v11;

	;;#ASMEND
	v_and_b32_e32 v2, 0xffff, v0
	v_lshrrev_b32_e32 v0, 16, v0
	;;#ASMSTART
	v_cvt_f32_f16 v59, v2;
	;;#ASMEND
	;;#ASMSTART
	v_cvt_f32_f16 v60, v0;
	;;#ASMEND
	global_load_dwordx2 v[10:11], v[8:9], off offset:1792
	v_mov_b32_e32 v62, 0
	v_mov_b32_e32 v63, 0
	global_load_dword v61, v62, s[14:15]
	s_waitcnt vmcnt(1)
	v_cmp_ne_u16_sdwa s0, v10, v3 src0_sel:BYTE_0 src1_sel:DWORD
	s_and_saveexec_b32 s17, s0
	s_cbranch_execz .LBB303_1149
; %bb.1142:                             ;   in Loop: Header=BB303_678 Depth=1
	v_cmp_ne_u16_sdwa s0, v10, v28 src0_sel:BYTE_0 src1_sel:DWORD
	v_mov_b32_e32 v63, 0x8000
	s_and_saveexec_b32 s18, s0
	s_cbranch_execz .LBB303_1148
; %bb.1143:                             ;   in Loop: Header=BB303_678 Depth=1
	v_and_b32_e32 v64, 0x7f, v10
	v_mov_b32_e32 v63, 0x7c01
	s_mov_b32 s21, exec_lo
	v_cmpx_ne_u32_e32 0x7f, v64
	s_cbranch_execz .LBB303_1147
; %bb.1144:                             ;   in Loop: Header=BB303_678 Depth=1
	v_and_b32_e32 v2, 7, v10
	v_lshrrev_b32_e32 v63, 3, v64
	s_mov_b32 s22, exec_lo
	v_cmpx_gt_u32_e32 8, v64
; %bb.1145:                             ;   in Loop: Header=BB303_678 Depth=1
	v_ffbh_u32_e32 v0, v2
	v_min_u32_e32 v0, 32, v0
	v_subrev_nc_u32_e32 v2, 28, v0
	v_sub_nc_u32_e32 v63, 29, v0
	v_lshlrev_b64 v[13:14], v2, v[10:11]
	v_and_b32_e32 v2, 7, v13
; %bb.1146:                             ;   in Loop: Header=BB303_678 Depth=1
	s_or_b32 exec_lo, exec_lo, s22
	v_lshlrev_b32_e32 v0, 8, v10
	v_lshl_add_u32 v13, v63, 10, 0x2000
	v_lshlrev_b32_e32 v2, 7, v2
	v_and_b32_e32 v0, 0x8000, v0
	v_and_b32_e32 v13, 0xfc00, v13
	v_or3_b32 v63, v0, v13, v2
.LBB303_1147:                           ;   in Loop: Header=BB303_678 Depth=1
	s_or_b32 exec_lo, exec_lo, s21
.LBB303_1148:                           ;   in Loop: Header=BB303_678 Depth=1
	s_or_b32 exec_lo, exec_lo, s18
.LBB303_1149:                           ;   in Loop: Header=BB303_678 Depth=1
	s_or_b32 exec_lo, exec_lo, s17
	v_lshrrev_b16 v2, 8, v10
	s_mov_b32 s17, exec_lo
	v_cmpx_ne_u16_e32 0, v2
	s_cbranch_execz .LBB303_1157
; %bb.1150:                             ;   in Loop: Header=BB303_678 Depth=1
	v_bfrev_b32_e32 v62, 1
	s_mov_b32 s18, exec_lo
	v_cmpx_ne_u16_e32 0x80, v2
	s_cbranch_execz .LBB303_1156
; %bb.1151:                             ;   in Loop: Header=BB303_678 Depth=1
	v_and_b32_sdwa v65, v2, v29 dst_sel:DWORD dst_unused:UNUSED_PAD src0_sel:WORD_0 src1_sel:DWORD
	v_mov_b32_e32 v62, 0x7c010000
	s_mov_b32 s21, exec_lo
	v_cmpx_ne_u32_e32 0x7f, v65
	s_cbranch_execz .LBB303_1155
; %bb.1152:                             ;   in Loop: Header=BB303_678 Depth=1
	v_and_b32_sdwa v62, v2, v30 dst_sel:DWORD dst_unused:UNUSED_PAD src0_sel:WORD_0 src1_sel:DWORD
	v_lshrrev_b32_e32 v64, 3, v65
	s_mov_b32 s22, exec_lo
	v_cmpx_gt_u32_e32 8, v65
; %bb.1153:                             ;   in Loop: Header=BB303_678 Depth=1
	v_ffbh_u32_e32 v0, v62
	v_min_u32_e32 v0, 32, v0
	v_subrev_nc_u32_e32 v13, 28, v0
	v_sub_nc_u32_e32 v64, 29, v0
	v_lshlrev_b64 v[13:14], v13, v[2:3]
	v_and_b32_e32 v62, 7, v13
; %bb.1154:                             ;   in Loop: Header=BB303_678 Depth=1
	s_or_b32 exec_lo, exec_lo, s22
	v_lshlrev_b32_sdwa v0, v31, v2 dst_sel:DWORD dst_unused:UNUSED_PAD src0_sel:DWORD src1_sel:WORD_0
	v_lshl_add_u32 v2, v64, 10, 0x2000
	v_and_or_b32 v0, 0x8000, v0, v2
	v_lshlrev_b32_e32 v2, 23, v62
	v_lshl_or_b32 v62, v0, 16, v2
.LBB303_1155:                           ;   in Loop: Header=BB303_678 Depth=1
	s_or_b32 exec_lo, exec_lo, s21
.LBB303_1156:                           ;   in Loop: Header=BB303_678 Depth=1
	s_or_b32 exec_lo, exec_lo, s18
.LBB303_1157:                           ;   in Loop: Header=BB303_678 Depth=1
	s_or_b32 exec_lo, exec_lo, s17
	v_lshrrev_b32_e32 v2, 16, v10
	v_mov_b32_e32 v64, 0
	v_mov_b32_e32 v65, 0
	v_cmp_ne_u16_sdwa s0, v2, v3 src0_sel:BYTE_0 src1_sel:DWORD
	s_and_saveexec_b32 s17, s0
	s_cbranch_execz .LBB303_1165
; %bb.1158:                             ;   in Loop: Header=BB303_678 Depth=1
	v_cmp_ne_u16_sdwa s0, v2, v28 src0_sel:BYTE_0 src1_sel:DWORD
	v_mov_b32_e32 v65, 0x8000
	s_and_saveexec_b32 s18, s0
	s_cbranch_execz .LBB303_1164
; %bb.1159:                             ;   in Loop: Header=BB303_678 Depth=1
	v_bfe_u32 v67, v10, 16, 7
	v_mov_b32_e32 v65, 0x7c01
	s_mov_b32 s21, exec_lo
	v_cmpx_ne_u32_e32 0x7f, v67
	s_cbranch_execz .LBB303_1163
; %bb.1160:                             ;   in Loop: Header=BB303_678 Depth=1
	v_and_b32_e32 v65, 7, v2
	v_lshrrev_b32_e32 v66, 3, v67
	s_mov_b32 s22, exec_lo
	v_cmpx_gt_u32_e32 8, v67
; %bb.1161:                             ;   in Loop: Header=BB303_678 Depth=1
	v_ffbh_u32_e32 v0, v65
	v_min_u32_e32 v0, 32, v0
	v_subrev_nc_u32_e32 v13, 28, v0
	v_sub_nc_u32_e32 v66, 29, v0
	v_lshlrev_b64 v[13:14], v13, v[2:3]
	v_and_b32_e32 v65, 7, v13
; %bb.1162:                             ;   in Loop: Header=BB303_678 Depth=1
	s_or_b32 exec_lo, exec_lo, s22
	v_lshlrev_b32_e32 v0, 8, v2
	v_lshl_add_u32 v2, v66, 10, 0x2000
	v_lshlrev_b32_e32 v13, 7, v65
	v_and_b32_e32 v0, 0x8000, v0
	v_and_b32_e32 v2, 0xfc00, v2
	v_or3_b32 v65, v0, v2, v13
.LBB303_1163:                           ;   in Loop: Header=BB303_678 Depth=1
	s_or_b32 exec_lo, exec_lo, s21
.LBB303_1164:                           ;   in Loop: Header=BB303_678 Depth=1
	s_or_b32 exec_lo, exec_lo, s18
.LBB303_1165:                           ;   in Loop: Header=BB303_678 Depth=1
	s_or_b32 exec_lo, exec_lo, s17
	s_mov_b32 s17, exec_lo
	v_cmpx_lt_u32_e32 0xffffff, v10
	s_cbranch_execz .LBB303_1173
; %bb.1166:                             ;   in Loop: Header=BB303_678 Depth=1
	v_lshrrev_b32_e32 v2, 24, v10
	v_bfrev_b32_e32 v64, 1
	s_mov_b32 s18, exec_lo
	v_cmpx_ne_u32_e32 0x80, v2
	s_cbranch_execz .LBB303_1172
; %bb.1167:                             ;   in Loop: Header=BB303_678 Depth=1
	v_and_b32_e32 v67, 0x7f, v2
	v_mov_b32_e32 v64, 0x7c010000
	s_mov_b32 s21, exec_lo
	v_cmpx_ne_u32_e32 0x7f, v67
	s_cbranch_execz .LBB303_1171
; %bb.1168:                             ;   in Loop: Header=BB303_678 Depth=1
	v_and_b32_e32 v64, 7, v2
	v_lshrrev_b32_e32 v66, 3, v67
	s_mov_b32 s22, exec_lo
	v_cmpx_gt_u32_e32 8, v67
; %bb.1169:                             ;   in Loop: Header=BB303_678 Depth=1
	v_ffbh_u32_e32 v0, v64
	v_min_u32_e32 v0, 32, v0
	v_subrev_nc_u32_e32 v13, 28, v0
	v_sub_nc_u32_e32 v66, 29, v0
	v_lshlrev_b64 v[13:14], v13, v[2:3]
	v_and_b32_e32 v64, 7, v13
; %bb.1170:                             ;   in Loop: Header=BB303_678 Depth=1
	s_or_b32 exec_lo, exec_lo, s22
	v_lshlrev_b32_e32 v0, 8, v2
	v_lshl_add_u32 v2, v66, 10, 0x2000
	v_and_or_b32 v0, 0x8000, v0, v2
	v_lshlrev_b32_e32 v2, 23, v64
	v_lshl_or_b32 v64, v0, 16, v2
.LBB303_1171:                           ;   in Loop: Header=BB303_678 Depth=1
	s_or_b32 exec_lo, exec_lo, s21
.LBB303_1172:                           ;   in Loop: Header=BB303_678 Depth=1
	s_or_b32 exec_lo, exec_lo, s18
.LBB303_1173:                           ;   in Loop: Header=BB303_678 Depth=1
	s_or_b32 exec_lo, exec_lo, s17
	v_mov_b32_e32 v2, v11
	v_cmp_ne_u16_sdwa s0, v11, v3 src0_sel:BYTE_0 src1_sel:DWORD
	v_mov_b32_e32 v66, 0
	v_mov_b32_e32 v67, 0
	s_and_saveexec_b32 s17, s0
	s_cbranch_execz .LBB303_1181
; %bb.1174:                             ;   in Loop: Header=BB303_678 Depth=1
	v_cmp_ne_u16_sdwa s0, v11, v28 src0_sel:BYTE_0 src1_sel:DWORD
	v_mov_b32_e32 v67, 0x8000
	s_and_saveexec_b32 s18, s0
	s_cbranch_execz .LBB303_1180
; %bb.1175:                             ;   in Loop: Header=BB303_678 Depth=1
	v_and_b32_e32 v69, 0x7f, v11
	v_mov_b32_e32 v67, 0x7c01
	s_mov_b32 s21, exec_lo
	v_cmpx_ne_u32_e32 0x7f, v69
	s_cbranch_execz .LBB303_1179
; %bb.1176:                             ;   in Loop: Header=BB303_678 Depth=1
	v_and_b32_e32 v67, 7, v11
	v_lshrrev_b32_e32 v68, 3, v69
	s_mov_b32 s22, exec_lo
	v_cmpx_gt_u32_e32 8, v69
; %bb.1177:                             ;   in Loop: Header=BB303_678 Depth=1
	v_ffbh_u32_e32 v0, v67
	v_min_u32_e32 v0, 32, v0
	v_subrev_nc_u32_e32 v13, 28, v0
	v_sub_nc_u32_e32 v68, 29, v0
	v_lshlrev_b64 v[13:14], v13, v[2:3]
	v_and_b32_e32 v67, 7, v13
; %bb.1178:                             ;   in Loop: Header=BB303_678 Depth=1
	s_or_b32 exec_lo, exec_lo, s22
	v_lshlrev_b32_e32 v0, 8, v11
	v_lshl_add_u32 v13, v68, 10, 0x2000
	v_lshlrev_b32_e32 v14, 7, v67
	v_and_b32_e32 v0, 0x8000, v0
	v_and_b32_e32 v13, 0xfc00, v13
	v_or3_b32 v67, v0, v13, v14
.LBB303_1179:                           ;   in Loop: Header=BB303_678 Depth=1
	s_or_b32 exec_lo, exec_lo, s21
.LBB303_1180:                           ;   in Loop: Header=BB303_678 Depth=1
	s_or_b32 exec_lo, exec_lo, s18
.LBB303_1181:                           ;   in Loop: Header=BB303_678 Depth=1
	s_or_b32 exec_lo, exec_lo, s17
	v_lshrrev_b16 v2, 8, v2
	v_mov_b32_e32 v68, 0
	s_mov_b32 s17, exec_lo
	v_cmpx_ne_u16_e32 0, v2
	s_cbranch_execz .LBB303_1189
; %bb.1182:                             ;   in Loop: Header=BB303_678 Depth=1
	v_bfrev_b32_e32 v68, 1
	s_mov_b32 s18, exec_lo
	v_cmpx_ne_u16_e32 0x80, v2
	s_cbranch_execz .LBB303_1188
; %bb.1183:                             ;   in Loop: Header=BB303_678 Depth=1
	v_and_b32_sdwa v70, v2, v29 dst_sel:DWORD dst_unused:UNUSED_PAD src0_sel:WORD_0 src1_sel:DWORD
	v_mov_b32_e32 v68, 0x7c010000
	s_mov_b32 s21, exec_lo
	v_cmpx_ne_u32_e32 0x7f, v70
	s_cbranch_execz .LBB303_1187
; %bb.1184:                             ;   in Loop: Header=BB303_678 Depth=1
	v_and_b32_sdwa v68, v2, v30 dst_sel:DWORD dst_unused:UNUSED_PAD src0_sel:WORD_0 src1_sel:DWORD
	v_lshrrev_b32_e32 v69, 3, v70
	s_mov_b32 s22, exec_lo
	v_cmpx_gt_u32_e32 8, v70
; %bb.1185:                             ;   in Loop: Header=BB303_678 Depth=1
	v_ffbh_u32_e32 v0, v68
	v_min_u32_e32 v0, 32, v0
	v_subrev_nc_u32_e32 v13, 28, v0
	v_sub_nc_u32_e32 v69, 29, v0
	v_lshlrev_b64 v[13:14], v13, v[2:3]
	v_and_b32_e32 v68, 7, v13
; %bb.1186:                             ;   in Loop: Header=BB303_678 Depth=1
	s_or_b32 exec_lo, exec_lo, s22
	v_lshlrev_b32_sdwa v0, v31, v2 dst_sel:DWORD dst_unused:UNUSED_PAD src0_sel:DWORD src1_sel:WORD_0
	v_lshl_add_u32 v2, v69, 10, 0x2000
	v_and_or_b32 v0, 0x8000, v0, v2
	v_lshlrev_b32_e32 v2, 23, v68
	v_lshl_or_b32 v68, v0, 16, v2
.LBB303_1187:                           ;   in Loop: Header=BB303_678 Depth=1
	s_or_b32 exec_lo, exec_lo, s21
.LBB303_1188:                           ;   in Loop: Header=BB303_678 Depth=1
	s_or_b32 exec_lo, exec_lo, s18
.LBB303_1189:                           ;   in Loop: Header=BB303_678 Depth=1
	s_or_b32 exec_lo, exec_lo, s17
	v_lshrrev_b32_e32 v2, 16, v11
	v_cmp_ne_u16_sdwa s0, v2, v3 src0_sel:BYTE_0 src1_sel:DWORD
	s_and_saveexec_b32 s17, s0
	s_cbranch_execz .LBB303_1197
; %bb.1190:                             ;   in Loop: Header=BB303_678 Depth=1
	v_cmp_ne_u16_sdwa s0, v2, v28 src0_sel:BYTE_0 src1_sel:DWORD
	v_mov_b32_e32 v66, 0x8000
	s_and_saveexec_b32 s18, s0
	s_cbranch_execz .LBB303_1196
; %bb.1191:                             ;   in Loop: Header=BB303_678 Depth=1
	v_bfe_u32 v70, v11, 16, 7
	v_mov_b32_e32 v66, 0x7c01
	s_mov_b32 s21, exec_lo
	v_cmpx_ne_u32_e32 0x7f, v70
	s_cbranch_execz .LBB303_1195
; %bb.1192:                             ;   in Loop: Header=BB303_678 Depth=1
	v_and_b32_e32 v66, 7, v2
	v_lshrrev_b32_e32 v69, 3, v70
	s_mov_b32 s22, exec_lo
	v_cmpx_gt_u32_e32 8, v70
; %bb.1193:                             ;   in Loop: Header=BB303_678 Depth=1
	v_ffbh_u32_e32 v0, v66
	v_min_u32_e32 v0, 32, v0
	v_subrev_nc_u32_e32 v13, 28, v0
	v_sub_nc_u32_e32 v69, 29, v0
	v_lshlrev_b64 v[13:14], v13, v[2:3]
	v_and_b32_e32 v66, 7, v13
; %bb.1194:                             ;   in Loop: Header=BB303_678 Depth=1
	s_or_b32 exec_lo, exec_lo, s22
	v_lshlrev_b32_e32 v0, 8, v2
	v_lshl_add_u32 v2, v69, 10, 0x2000
	v_lshlrev_b32_e32 v13, 7, v66
	v_and_b32_e32 v0, 0x8000, v0
	v_and_b32_e32 v2, 0xfc00, v2
	v_or3_b32 v66, v0, v2, v13
.LBB303_1195:                           ;   in Loop: Header=BB303_678 Depth=1
	s_or_b32 exec_lo, exec_lo, s21
.LBB303_1196:                           ;   in Loop: Header=BB303_678 Depth=1
	s_or_b32 exec_lo, exec_lo, s18
.LBB303_1197:                           ;   in Loop: Header=BB303_678 Depth=1
	s_or_b32 exec_lo, exec_lo, s17
	v_cmp_lt_u64_e64 s0, s[4:5], v[10:11]
	v_mov_b32_e32 v10, 0
	s_and_saveexec_b32 s17, s0
	s_cbranch_execz .LBB303_1205
; %bb.1198:                             ;   in Loop: Header=BB303_678 Depth=1
	v_lshrrev_b32_e32 v2, 24, v11
	v_bfrev_b32_e32 v10, 1
	s_mov_b32 s18, exec_lo
	v_cmpx_ne_u32_e32 0x80, v2
	s_cbranch_execz .LBB303_1204
; %bb.1199:                             ;   in Loop: Header=BB303_678 Depth=1
	v_and_b32_e32 v69, 0x7f, v2
	v_mov_b32_e32 v10, 0x7c010000
	s_mov_b32 s21, exec_lo
	v_cmpx_ne_u32_e32 0x7f, v69
	s_cbranch_execz .LBB303_1203
; %bb.1200:                             ;   in Loop: Header=BB303_678 Depth=1
	v_and_b32_e32 v10, 7, v2
	v_lshrrev_b32_e32 v11, 3, v69
	s_mov_b32 s22, exec_lo
	v_cmpx_gt_u32_e32 8, v69
; %bb.1201:                             ;   in Loop: Header=BB303_678 Depth=1
	v_ffbh_u32_e32 v0, v10
	v_min_u32_e32 v0, 32, v0
	v_subrev_nc_u32_e32 v10, 28, v0
	v_lshlrev_b64 v[10:11], v10, v[2:3]
	v_sub_nc_u32_e32 v11, 29, v0
	v_and_b32_e32 v10, 7, v10
; %bb.1202:                             ;   in Loop: Header=BB303_678 Depth=1
	s_or_b32 exec_lo, exec_lo, s22
	v_lshlrev_b32_e32 v0, 8, v2
	v_lshl_add_u32 v2, v11, 10, 0x2000
	v_and_or_b32 v0, 0x8000, v0, v2
	v_lshlrev_b32_e32 v2, 23, v10
	v_lshl_or_b32 v10, v0, 16, v2
.LBB303_1203:                           ;   in Loop: Header=BB303_678 Depth=1
	s_or_b32 exec_lo, exec_lo, s21
.LBB303_1204:                           ;   in Loop: Header=BB303_678 Depth=1
	s_or_b32 exec_lo, exec_lo, s18
.LBB303_1205:                           ;   in Loop: Header=BB303_678 Depth=1
	s_or_b32 exec_lo, exec_lo, s17
	v_or_b32_e32 v0, v64, v65
	v_or_b32_e32 v11, v62, v63
	s_waitcnt vmcnt(0)
	v_fma_mixlo_f16 v13, v61, v62, 0 op_sel:[0,1,0] op_sel_hi:[0,1,0]
	v_or_b32_e32 v14, v68, v67
	v_or_b32_e32 v62, v10, v66
	v_fma_mixlo_f16 v0, v61, v0, 0 op_sel_hi:[0,1,0]
	v_fma_mixlo_f16 v2, v61, v64, 0 op_sel:[0,1,0] op_sel_hi:[0,1,0]
	v_lshlrev_b32_e32 v63, 16, v13
	v_fma_mixlo_f16 v13, v61, v11, 0 op_sel_hi:[0,1,0]
	v_fma_mixlo_f16 v14, v61, v14, 0 op_sel_hi:[0,1,0]
	v_and_b32_e32 v11, 0xffff, v0
	v_fma_mixlo_f16 v0, v61, v68, 0 op_sel:[0,1,0] op_sel_hi:[0,1,0]
	v_fma_mixlo_f16 v10, v61, v10, 0 op_sel:[0,1,0] op_sel_hi:[0,1,0]
	v_fma_mixlo_f16 v62, v61, v62, 0 op_sel_hi:[0,1,0]
	v_lshlrev_b32_e32 v2, 16, v2
	v_and_b32_e32 v69, 0xffff, v13
	v_lshlrev_b32_e32 v61, 16, v0
	v_and_b32_e32 v65, 0xffff, v14
	;; [unrolled: 2-line block ×3, first 2 shown]
	v_or_b32_e32 v64, v2, v11
	v_or_b32_e32 v68, v63, v69
	;; [unrolled: 1-line block ×4, first 2 shown]
	s_and_saveexec_b32 s17, vcc_lo
	s_cbranch_execz .LBB303_1207
; %bb.1206:                             ;   in Loop: Header=BB303_678 Depth=1
	v_cmp_gt_i32_e64 s0, s31, v35
	v_cndmask_b32_e64 v0, 0, v69, s0
	v_cmp_gt_i32_e64 s0, s31, v47
	v_cndmask_b32_e64 v13, 0, v63, s0
	v_cmp_gt_i32_e64 s0, s31, v45
	v_or_b32_e32 v68, v13, v0
	v_cndmask_b32_e64 v11, 0, v11, s0
	v_cmp_gt_i32_e64 s0, s31, v43
	v_cndmask_b32_e64 v2, 0, v2, s0
	v_cmp_gt_i32_e64 s0, s31, v41
	v_or_b32_e32 v64, v2, v11
	;; [unrolled: 5-line block ×3, first 2 shown]
	v_cndmask_b32_e64 v62, 0, v62, s0
	v_cmp_gt_i32_e64 s0, s31, v36
	v_cndmask_b32_e64 v10, 0, v10, s0
	v_or_b32_e32 v66, v10, v62
.LBB303_1207:                           ;   in Loop: Header=BB303_678 Depth=1
	s_or_b32 exec_lo, exec_lo, s17
	v_add_co_u32 v8, s0, 0x800, v8
	v_add_co_ci_u32_e64 v9, null, 0, v9, s0
	;;#ASMSTART
	v_pk_mul_f16 v0, v48, v68;

	;;#ASMEND
	;;#ASMSTART
	v_pk_mul_f16 v2, v46, v64;

	;;#ASMEND
	;; [unrolled: 4-line block ×4, first 2 shown]
	;;#ASMSTART
	v_pk_add_f16 v0, v0, v2;

	;;#ASMEND
	;;#ASMSTART
	v_pk_add_f16 v0, v0, v10;

	;;#ASMEND
	;; [unrolled: 4-line block ×3, first 2 shown]
	v_lshrrev_b32_e32 v2, 16, v0
	v_and_b32_e32 v0, 0xffff, v0
	;;#ASMSTART
	v_cvt_f32_f16 v61, v0;
	;;#ASMEND
	;;#ASMSTART
	v_cvt_f32_f16 v62, v2;
	;;#ASMEND
	global_load_dwordx2 v[10:11], v[8:9], off
	v_mov_b32_e32 v64, 0
	v_mov_b32_e32 v65, 0
	global_load_dword v63, v64, s[14:15]
	s_waitcnt vmcnt(1)
	v_cmp_ne_u16_sdwa s0, v10, v3 src0_sel:BYTE_0 src1_sel:DWORD
	s_and_saveexec_b32 s17, s0
	s_cbranch_execz .LBB303_1215
; %bb.1208:                             ;   in Loop: Header=BB303_678 Depth=1
	v_cmp_ne_u16_sdwa s0, v10, v28 src0_sel:BYTE_0 src1_sel:DWORD
	v_mov_b32_e32 v65, 0x8000
	s_and_saveexec_b32 s18, s0
	s_cbranch_execz .LBB303_1214
; %bb.1209:                             ;   in Loop: Header=BB303_678 Depth=1
	v_and_b32_e32 v66, 0x7f, v10
	v_mov_b32_e32 v65, 0x7c01
	s_mov_b32 s21, exec_lo
	v_cmpx_ne_u32_e32 0x7f, v66
	s_cbranch_execz .LBB303_1213
; %bb.1210:                             ;   in Loop: Header=BB303_678 Depth=1
	v_and_b32_e32 v2, 7, v10
	v_lshrrev_b32_e32 v65, 3, v66
	s_mov_b32 s22, exec_lo
	v_cmpx_gt_u32_e32 8, v66
; %bb.1211:                             ;   in Loop: Header=BB303_678 Depth=1
	v_ffbh_u32_e32 v0, v2
	v_min_u32_e32 v0, 32, v0
	v_subrev_nc_u32_e32 v2, 28, v0
	v_sub_nc_u32_e32 v65, 29, v0
	v_lshlrev_b64 v[13:14], v2, v[10:11]
	v_and_b32_e32 v2, 7, v13
; %bb.1212:                             ;   in Loop: Header=BB303_678 Depth=1
	s_or_b32 exec_lo, exec_lo, s22
	v_lshlrev_b32_e32 v0, 8, v10
	v_lshl_add_u32 v13, v65, 10, 0x2000
	v_lshlrev_b32_e32 v2, 7, v2
	v_and_b32_e32 v0, 0x8000, v0
	v_and_b32_e32 v13, 0xfc00, v13
	v_or3_b32 v65, v0, v13, v2
.LBB303_1213:                           ;   in Loop: Header=BB303_678 Depth=1
	s_or_b32 exec_lo, exec_lo, s21
.LBB303_1214:                           ;   in Loop: Header=BB303_678 Depth=1
	s_or_b32 exec_lo, exec_lo, s18
.LBB303_1215:                           ;   in Loop: Header=BB303_678 Depth=1
	s_or_b32 exec_lo, exec_lo, s17
	v_lshrrev_b16 v2, 8, v10
	s_mov_b32 s17, exec_lo
	v_cmpx_ne_u16_e32 0, v2
	s_cbranch_execz .LBB303_1223
; %bb.1216:                             ;   in Loop: Header=BB303_678 Depth=1
	v_bfrev_b32_e32 v64, 1
	s_mov_b32 s18, exec_lo
	v_cmpx_ne_u16_e32 0x80, v2
	s_cbranch_execz .LBB303_1222
; %bb.1217:                             ;   in Loop: Header=BB303_678 Depth=1
	v_and_b32_sdwa v67, v2, v29 dst_sel:DWORD dst_unused:UNUSED_PAD src0_sel:WORD_0 src1_sel:DWORD
	v_mov_b32_e32 v64, 0x7c010000
	s_mov_b32 s21, exec_lo
	v_cmpx_ne_u32_e32 0x7f, v67
	s_cbranch_execz .LBB303_1221
; %bb.1218:                             ;   in Loop: Header=BB303_678 Depth=1
	v_and_b32_sdwa v64, v2, v30 dst_sel:DWORD dst_unused:UNUSED_PAD src0_sel:WORD_0 src1_sel:DWORD
	v_lshrrev_b32_e32 v66, 3, v67
	s_mov_b32 s22, exec_lo
	v_cmpx_gt_u32_e32 8, v67
; %bb.1219:                             ;   in Loop: Header=BB303_678 Depth=1
	v_ffbh_u32_e32 v0, v64
	v_min_u32_e32 v0, 32, v0
	v_subrev_nc_u32_e32 v13, 28, v0
	v_sub_nc_u32_e32 v66, 29, v0
	v_lshlrev_b64 v[13:14], v13, v[2:3]
	v_and_b32_e32 v64, 7, v13
; %bb.1220:                             ;   in Loop: Header=BB303_678 Depth=1
	s_or_b32 exec_lo, exec_lo, s22
	v_lshlrev_b32_sdwa v0, v31, v2 dst_sel:DWORD dst_unused:UNUSED_PAD src0_sel:DWORD src1_sel:WORD_0
	v_lshl_add_u32 v2, v66, 10, 0x2000
	v_and_or_b32 v0, 0x8000, v0, v2
	v_lshlrev_b32_e32 v2, 23, v64
	v_lshl_or_b32 v64, v0, 16, v2
.LBB303_1221:                           ;   in Loop: Header=BB303_678 Depth=1
	s_or_b32 exec_lo, exec_lo, s21
.LBB303_1222:                           ;   in Loop: Header=BB303_678 Depth=1
	s_or_b32 exec_lo, exec_lo, s18
.LBB303_1223:                           ;   in Loop: Header=BB303_678 Depth=1
	s_or_b32 exec_lo, exec_lo, s17
	v_lshrrev_b32_e32 v2, 16, v10
	v_mov_b32_e32 v66, 0
	v_mov_b32_e32 v67, 0
	v_cmp_ne_u16_sdwa s0, v2, v3 src0_sel:BYTE_0 src1_sel:DWORD
	s_and_saveexec_b32 s17, s0
	s_cbranch_execz .LBB303_1231
; %bb.1224:                             ;   in Loop: Header=BB303_678 Depth=1
	v_cmp_ne_u16_sdwa s0, v2, v28 src0_sel:BYTE_0 src1_sel:DWORD
	v_mov_b32_e32 v67, 0x8000
	s_and_saveexec_b32 s18, s0
	s_cbranch_execz .LBB303_1230
; %bb.1225:                             ;   in Loop: Header=BB303_678 Depth=1
	v_bfe_u32 v69, v10, 16, 7
	v_mov_b32_e32 v67, 0x7c01
	s_mov_b32 s21, exec_lo
	v_cmpx_ne_u32_e32 0x7f, v69
	s_cbranch_execz .LBB303_1229
; %bb.1226:                             ;   in Loop: Header=BB303_678 Depth=1
	v_and_b32_e32 v67, 7, v2
	v_lshrrev_b32_e32 v68, 3, v69
	s_mov_b32 s22, exec_lo
	v_cmpx_gt_u32_e32 8, v69
; %bb.1227:                             ;   in Loop: Header=BB303_678 Depth=1
	v_ffbh_u32_e32 v0, v67
	v_min_u32_e32 v0, 32, v0
	v_subrev_nc_u32_e32 v13, 28, v0
	v_sub_nc_u32_e32 v68, 29, v0
	v_lshlrev_b64 v[13:14], v13, v[2:3]
	v_and_b32_e32 v67, 7, v13
; %bb.1228:                             ;   in Loop: Header=BB303_678 Depth=1
	s_or_b32 exec_lo, exec_lo, s22
	v_lshlrev_b32_e32 v0, 8, v2
	v_lshl_add_u32 v2, v68, 10, 0x2000
	v_lshlrev_b32_e32 v13, 7, v67
	v_and_b32_e32 v0, 0x8000, v0
	v_and_b32_e32 v2, 0xfc00, v2
	v_or3_b32 v67, v0, v2, v13
.LBB303_1229:                           ;   in Loop: Header=BB303_678 Depth=1
	s_or_b32 exec_lo, exec_lo, s21
.LBB303_1230:                           ;   in Loop: Header=BB303_678 Depth=1
	s_or_b32 exec_lo, exec_lo, s18
.LBB303_1231:                           ;   in Loop: Header=BB303_678 Depth=1
	s_or_b32 exec_lo, exec_lo, s17
	s_mov_b32 s17, exec_lo
	v_cmpx_lt_u32_e32 0xffffff, v10
	s_cbranch_execz .LBB303_1239
; %bb.1232:                             ;   in Loop: Header=BB303_678 Depth=1
	v_lshrrev_b32_e32 v2, 24, v10
	v_bfrev_b32_e32 v66, 1
	s_mov_b32 s18, exec_lo
	v_cmpx_ne_u32_e32 0x80, v2
	s_cbranch_execz .LBB303_1238
; %bb.1233:                             ;   in Loop: Header=BB303_678 Depth=1
	v_and_b32_e32 v69, 0x7f, v2
	v_mov_b32_e32 v66, 0x7c010000
	s_mov_b32 s21, exec_lo
	v_cmpx_ne_u32_e32 0x7f, v69
	s_cbranch_execz .LBB303_1237
; %bb.1234:                             ;   in Loop: Header=BB303_678 Depth=1
	v_and_b32_e32 v66, 7, v2
	v_lshrrev_b32_e32 v68, 3, v69
	s_mov_b32 s22, exec_lo
	v_cmpx_gt_u32_e32 8, v69
; %bb.1235:                             ;   in Loop: Header=BB303_678 Depth=1
	v_ffbh_u32_e32 v0, v66
	v_min_u32_e32 v0, 32, v0
	v_subrev_nc_u32_e32 v13, 28, v0
	v_sub_nc_u32_e32 v68, 29, v0
	v_lshlrev_b64 v[13:14], v13, v[2:3]
	v_and_b32_e32 v66, 7, v13
; %bb.1236:                             ;   in Loop: Header=BB303_678 Depth=1
	s_or_b32 exec_lo, exec_lo, s22
	v_lshlrev_b32_e32 v0, 8, v2
	v_lshl_add_u32 v2, v68, 10, 0x2000
	v_and_or_b32 v0, 0x8000, v0, v2
	v_lshlrev_b32_e32 v2, 23, v66
	v_lshl_or_b32 v66, v0, 16, v2
.LBB303_1237:                           ;   in Loop: Header=BB303_678 Depth=1
	s_or_b32 exec_lo, exec_lo, s21
.LBB303_1238:                           ;   in Loop: Header=BB303_678 Depth=1
	s_or_b32 exec_lo, exec_lo, s18
.LBB303_1239:                           ;   in Loop: Header=BB303_678 Depth=1
	s_or_b32 exec_lo, exec_lo, s17
	v_mov_b32_e32 v2, v11
	v_cmp_ne_u16_sdwa s0, v11, v3 src0_sel:BYTE_0 src1_sel:DWORD
	v_mov_b32_e32 v68, 0
	v_mov_b32_e32 v69, 0
	s_and_saveexec_b32 s17, s0
	s_cbranch_execz .LBB303_1247
; %bb.1240:                             ;   in Loop: Header=BB303_678 Depth=1
	v_cmp_ne_u16_sdwa s0, v11, v28 src0_sel:BYTE_0 src1_sel:DWORD
	v_mov_b32_e32 v69, 0x8000
	s_and_saveexec_b32 s18, s0
	s_cbranch_execz .LBB303_1246
; %bb.1241:                             ;   in Loop: Header=BB303_678 Depth=1
	v_and_b32_e32 v71, 0x7f, v11
	v_mov_b32_e32 v69, 0x7c01
	s_mov_b32 s21, exec_lo
	v_cmpx_ne_u32_e32 0x7f, v71
	s_cbranch_execz .LBB303_1245
; %bb.1242:                             ;   in Loop: Header=BB303_678 Depth=1
	v_and_b32_e32 v69, 7, v11
	v_lshrrev_b32_e32 v70, 3, v71
	s_mov_b32 s22, exec_lo
	v_cmpx_gt_u32_e32 8, v71
; %bb.1243:                             ;   in Loop: Header=BB303_678 Depth=1
	v_ffbh_u32_e32 v0, v69
	v_min_u32_e32 v0, 32, v0
	v_subrev_nc_u32_e32 v13, 28, v0
	v_sub_nc_u32_e32 v70, 29, v0
	v_lshlrev_b64 v[13:14], v13, v[2:3]
	v_and_b32_e32 v69, 7, v13
; %bb.1244:                             ;   in Loop: Header=BB303_678 Depth=1
	s_or_b32 exec_lo, exec_lo, s22
	v_lshlrev_b32_e32 v0, 8, v11
	v_lshl_add_u32 v13, v70, 10, 0x2000
	v_lshlrev_b32_e32 v14, 7, v69
	v_and_b32_e32 v0, 0x8000, v0
	v_and_b32_e32 v13, 0xfc00, v13
	v_or3_b32 v69, v0, v13, v14
.LBB303_1245:                           ;   in Loop: Header=BB303_678 Depth=1
	s_or_b32 exec_lo, exec_lo, s21
.LBB303_1246:                           ;   in Loop: Header=BB303_678 Depth=1
	s_or_b32 exec_lo, exec_lo, s18
.LBB303_1247:                           ;   in Loop: Header=BB303_678 Depth=1
	s_or_b32 exec_lo, exec_lo, s17
	v_lshrrev_b16 v2, 8, v2
	v_mov_b32_e32 v70, 0
	s_mov_b32 s17, exec_lo
	v_cmpx_ne_u16_e32 0, v2
	s_cbranch_execz .LBB303_1255
; %bb.1248:                             ;   in Loop: Header=BB303_678 Depth=1
	v_bfrev_b32_e32 v70, 1
	s_mov_b32 s18, exec_lo
	v_cmpx_ne_u16_e32 0x80, v2
	s_cbranch_execz .LBB303_1254
; %bb.1249:                             ;   in Loop: Header=BB303_678 Depth=1
	v_and_b32_sdwa v72, v2, v29 dst_sel:DWORD dst_unused:UNUSED_PAD src0_sel:WORD_0 src1_sel:DWORD
	v_mov_b32_e32 v70, 0x7c010000
	s_mov_b32 s21, exec_lo
	v_cmpx_ne_u32_e32 0x7f, v72
	s_cbranch_execz .LBB303_1253
; %bb.1250:                             ;   in Loop: Header=BB303_678 Depth=1
	v_and_b32_sdwa v70, v2, v30 dst_sel:DWORD dst_unused:UNUSED_PAD src0_sel:WORD_0 src1_sel:DWORD
	v_lshrrev_b32_e32 v71, 3, v72
	s_mov_b32 s22, exec_lo
	v_cmpx_gt_u32_e32 8, v72
; %bb.1251:                             ;   in Loop: Header=BB303_678 Depth=1
	v_ffbh_u32_e32 v0, v70
	v_min_u32_e32 v0, 32, v0
	v_subrev_nc_u32_e32 v13, 28, v0
	v_sub_nc_u32_e32 v71, 29, v0
	v_lshlrev_b64 v[13:14], v13, v[2:3]
	v_and_b32_e32 v70, 7, v13
; %bb.1252:                             ;   in Loop: Header=BB303_678 Depth=1
	s_or_b32 exec_lo, exec_lo, s22
	v_lshlrev_b32_sdwa v0, v31, v2 dst_sel:DWORD dst_unused:UNUSED_PAD src0_sel:DWORD src1_sel:WORD_0
	v_lshl_add_u32 v2, v71, 10, 0x2000
	v_and_or_b32 v0, 0x8000, v0, v2
	v_lshlrev_b32_e32 v2, 23, v70
	v_lshl_or_b32 v70, v0, 16, v2
.LBB303_1253:                           ;   in Loop: Header=BB303_678 Depth=1
	s_or_b32 exec_lo, exec_lo, s21
.LBB303_1254:                           ;   in Loop: Header=BB303_678 Depth=1
	s_or_b32 exec_lo, exec_lo, s18
.LBB303_1255:                           ;   in Loop: Header=BB303_678 Depth=1
	s_or_b32 exec_lo, exec_lo, s17
	v_lshrrev_b32_e32 v2, 16, v11
	v_cmp_ne_u16_sdwa s0, v2, v3 src0_sel:BYTE_0 src1_sel:DWORD
	s_and_saveexec_b32 s17, s0
	s_cbranch_execz .LBB303_1263
; %bb.1256:                             ;   in Loop: Header=BB303_678 Depth=1
	v_cmp_ne_u16_sdwa s0, v2, v28 src0_sel:BYTE_0 src1_sel:DWORD
	v_mov_b32_e32 v68, 0x8000
	s_and_saveexec_b32 s18, s0
	s_cbranch_execz .LBB303_1262
; %bb.1257:                             ;   in Loop: Header=BB303_678 Depth=1
	v_bfe_u32 v72, v11, 16, 7
	v_mov_b32_e32 v68, 0x7c01
	s_mov_b32 s21, exec_lo
	v_cmpx_ne_u32_e32 0x7f, v72
	s_cbranch_execz .LBB303_1261
; %bb.1258:                             ;   in Loop: Header=BB303_678 Depth=1
	v_and_b32_e32 v68, 7, v2
	v_lshrrev_b32_e32 v71, 3, v72
	s_mov_b32 s22, exec_lo
	v_cmpx_gt_u32_e32 8, v72
; %bb.1259:                             ;   in Loop: Header=BB303_678 Depth=1
	v_ffbh_u32_e32 v0, v68
	v_min_u32_e32 v0, 32, v0
	v_subrev_nc_u32_e32 v13, 28, v0
	v_sub_nc_u32_e32 v71, 29, v0
	v_lshlrev_b64 v[13:14], v13, v[2:3]
	v_and_b32_e32 v68, 7, v13
; %bb.1260:                             ;   in Loop: Header=BB303_678 Depth=1
	s_or_b32 exec_lo, exec_lo, s22
	v_lshlrev_b32_e32 v0, 8, v2
	v_lshl_add_u32 v2, v71, 10, 0x2000
	v_lshlrev_b32_e32 v13, 7, v68
	v_and_b32_e32 v0, 0x8000, v0
	v_and_b32_e32 v2, 0xfc00, v2
	v_or3_b32 v68, v0, v2, v13
.LBB303_1261:                           ;   in Loop: Header=BB303_678 Depth=1
	s_or_b32 exec_lo, exec_lo, s21
.LBB303_1262:                           ;   in Loop: Header=BB303_678 Depth=1
	s_or_b32 exec_lo, exec_lo, s18
.LBB303_1263:                           ;   in Loop: Header=BB303_678 Depth=1
	s_or_b32 exec_lo, exec_lo, s17
	v_cmp_lt_u64_e64 s0, s[4:5], v[10:11]
	v_mov_b32_e32 v10, 0
	s_and_saveexec_b32 s17, s0
	s_cbranch_execz .LBB303_1271
; %bb.1264:                             ;   in Loop: Header=BB303_678 Depth=1
	v_lshrrev_b32_e32 v2, 24, v11
	v_bfrev_b32_e32 v10, 1
	s_mov_b32 s18, exec_lo
	v_cmpx_ne_u32_e32 0x80, v2
	s_cbranch_execz .LBB303_1270
; %bb.1265:                             ;   in Loop: Header=BB303_678 Depth=1
	v_and_b32_e32 v71, 0x7f, v2
	v_mov_b32_e32 v10, 0x7c010000
	s_mov_b32 s21, exec_lo
	v_cmpx_ne_u32_e32 0x7f, v71
	s_cbranch_execz .LBB303_1269
; %bb.1266:                             ;   in Loop: Header=BB303_678 Depth=1
	v_and_b32_e32 v10, 7, v2
	v_lshrrev_b32_e32 v11, 3, v71
	s_mov_b32 s22, exec_lo
	v_cmpx_gt_u32_e32 8, v71
; %bb.1267:                             ;   in Loop: Header=BB303_678 Depth=1
	v_ffbh_u32_e32 v0, v10
	v_min_u32_e32 v0, 32, v0
	v_subrev_nc_u32_e32 v10, 28, v0
	v_lshlrev_b64 v[10:11], v10, v[2:3]
	v_sub_nc_u32_e32 v11, 29, v0
	v_and_b32_e32 v10, 7, v10
; %bb.1268:                             ;   in Loop: Header=BB303_678 Depth=1
	s_or_b32 exec_lo, exec_lo, s22
	v_lshlrev_b32_e32 v0, 8, v2
	v_lshl_add_u32 v2, v11, 10, 0x2000
	v_and_or_b32 v0, 0x8000, v0, v2
	v_lshlrev_b32_e32 v2, 23, v10
	v_lshl_or_b32 v10, v0, 16, v2
.LBB303_1269:                           ;   in Loop: Header=BB303_678 Depth=1
	s_or_b32 exec_lo, exec_lo, s21
.LBB303_1270:                           ;   in Loop: Header=BB303_678 Depth=1
	s_or_b32 exec_lo, exec_lo, s18
.LBB303_1271:                           ;   in Loop: Header=BB303_678 Depth=1
	s_or_b32 exec_lo, exec_lo, s17
	v_or_b32_e32 v0, v66, v67
	v_or_b32_e32 v11, v64, v65
	s_waitcnt vmcnt(0)
	v_fma_mixlo_f16 v13, v63, v64, 0 op_sel:[0,1,0] op_sel_hi:[0,1,0]
	v_or_b32_e32 v14, v70, v69
	v_or_b32_e32 v64, v10, v68
	v_fma_mixlo_f16 v0, v63, v0, 0 op_sel_hi:[0,1,0]
	v_fma_mixlo_f16 v2, v63, v66, 0 op_sel:[0,1,0] op_sel_hi:[0,1,0]
	v_lshlrev_b32_e32 v65, 16, v13
	v_fma_mixlo_f16 v13, v63, v11, 0 op_sel_hi:[0,1,0]
	v_fma_mixlo_f16 v14, v63, v14, 0 op_sel_hi:[0,1,0]
	v_and_b32_e32 v11, 0xffff, v0
	v_fma_mixlo_f16 v0, v63, v70, 0 op_sel:[0,1,0] op_sel_hi:[0,1,0]
	v_fma_mixlo_f16 v10, v63, v10, 0 op_sel:[0,1,0] op_sel_hi:[0,1,0]
	v_fma_mixlo_f16 v64, v63, v64, 0 op_sel_hi:[0,1,0]
	v_lshlrev_b32_e32 v2, 16, v2
	v_and_b32_e32 v71, 0xffff, v13
	v_lshlrev_b32_e32 v63, 16, v0
	v_and_b32_e32 v67, 0xffff, v14
	;; [unrolled: 2-line block ×3, first 2 shown]
	v_or_b32_e32 v66, v2, v11
	v_or_b32_e32 v70, v65, v71
	;; [unrolled: 1-line block ×4, first 2 shown]
	s_and_saveexec_b32 s17, vcc_lo
	s_cbranch_execz .LBB303_1273
; %bb.1272:                             ;   in Loop: Header=BB303_678 Depth=1
	v_cmp_gt_i32_e64 s0, s31, v35
	v_cndmask_b32_e64 v0, 0, v71, s0
	v_cmp_gt_i32_e64 s0, s31, v47
	v_cndmask_b32_e64 v13, 0, v65, s0
	v_cmp_gt_i32_e64 s0, s31, v45
	v_or_b32_e32 v70, v13, v0
	v_cndmask_b32_e64 v11, 0, v11, s0
	v_cmp_gt_i32_e64 s0, s31, v43
	v_cndmask_b32_e64 v2, 0, v2, s0
	v_cmp_gt_i32_e64 s0, s31, v41
	v_or_b32_e32 v66, v2, v11
	;; [unrolled: 5-line block ×3, first 2 shown]
	v_cndmask_b32_e64 v64, 0, v64, s0
	v_cmp_gt_i32_e64 s0, s31, v36
	v_cndmask_b32_e64 v10, 0, v10, s0
	v_or_b32_e32 v68, v10, v64
.LBB303_1273:                           ;   in Loop: Header=BB303_678 Depth=1
	s_or_b32 exec_lo, exec_lo, s17
	;;#ASMSTART
	v_pk_mul_f16 v0, v48, v70;

	;;#ASMEND
	;;#ASMSTART
	v_pk_mul_f16 v2, v46, v66;

	;;#ASMEND
	;; [unrolled: 4-line block ×4, first 2 shown]
	;;#ASMSTART
	v_pk_add_f16 v0, v0, v2;

	;;#ASMEND
	;;#ASMSTART
	v_pk_add_f16 v0, v0, v10;

	;;#ASMEND
	;;#ASMSTART
	v_pk_add_f16 v0, v0, v11;

	;;#ASMEND
	v_and_b32_e32 v2, 0xffff, v0
	v_lshrrev_b32_e32 v0, 16, v0
	;;#ASMSTART
	v_cvt_f32_f16 v10, v2;
	;;#ASMEND
	;;#ASMSTART
	v_cvt_f32_f16 v11, v0;
	;;#ASMEND
	global_load_dwordx2 v[8:9], v[8:9], off offset:256
	v_mov_b32_e32 v64, 0
	v_mov_b32_e32 v65, 0
	global_load_dword v63, v64, s[14:15]
	s_waitcnt vmcnt(1)
	v_cmp_ne_u16_sdwa s0, v8, v3 src0_sel:BYTE_0 src1_sel:DWORD
	s_and_saveexec_b32 s17, s0
	s_cbranch_execz .LBB303_1281
; %bb.1274:                             ;   in Loop: Header=BB303_678 Depth=1
	v_cmp_ne_u16_sdwa s0, v8, v28 src0_sel:BYTE_0 src1_sel:DWORD
	v_mov_b32_e32 v65, 0x8000
	s_and_saveexec_b32 s18, s0
	s_cbranch_execz .LBB303_1280
; %bb.1275:                             ;   in Loop: Header=BB303_678 Depth=1
	v_and_b32_e32 v66, 0x7f, v8
	v_mov_b32_e32 v65, 0x7c01
	s_mov_b32 s21, exec_lo
	v_cmpx_ne_u32_e32 0x7f, v66
	s_cbranch_execz .LBB303_1279
; %bb.1276:                             ;   in Loop: Header=BB303_678 Depth=1
	v_and_b32_e32 v2, 7, v8
	v_lshrrev_b32_e32 v65, 3, v66
	s_mov_b32 s22, exec_lo
	v_cmpx_gt_u32_e32 8, v66
; %bb.1277:                             ;   in Loop: Header=BB303_678 Depth=1
	v_ffbh_u32_e32 v0, v2
	v_min_u32_e32 v0, 32, v0
	v_subrev_nc_u32_e32 v2, 28, v0
	v_sub_nc_u32_e32 v65, 29, v0
	v_lshlrev_b64 v[13:14], v2, v[8:9]
	v_and_b32_e32 v2, 7, v13
; %bb.1278:                             ;   in Loop: Header=BB303_678 Depth=1
	s_or_b32 exec_lo, exec_lo, s22
	v_lshlrev_b32_e32 v0, 8, v8
	v_lshl_add_u32 v13, v65, 10, 0x2000
	v_lshlrev_b32_e32 v2, 7, v2
	v_and_b32_e32 v0, 0x8000, v0
	v_and_b32_e32 v13, 0xfc00, v13
	v_or3_b32 v65, v0, v13, v2
.LBB303_1279:                           ;   in Loop: Header=BB303_678 Depth=1
	s_or_b32 exec_lo, exec_lo, s21
.LBB303_1280:                           ;   in Loop: Header=BB303_678 Depth=1
	s_or_b32 exec_lo, exec_lo, s18
.LBB303_1281:                           ;   in Loop: Header=BB303_678 Depth=1
	s_or_b32 exec_lo, exec_lo, s17
	v_lshrrev_b16 v2, 8, v8
	s_mov_b32 s17, exec_lo
	v_cmpx_ne_u16_e32 0, v2
	s_cbranch_execz .LBB303_1289
; %bb.1282:                             ;   in Loop: Header=BB303_678 Depth=1
	v_bfrev_b32_e32 v64, 1
	s_mov_b32 s18, exec_lo
	v_cmpx_ne_u16_e32 0x80, v2
	s_cbranch_execz .LBB303_1288
; %bb.1283:                             ;   in Loop: Header=BB303_678 Depth=1
	v_and_b32_sdwa v67, v2, v29 dst_sel:DWORD dst_unused:UNUSED_PAD src0_sel:WORD_0 src1_sel:DWORD
	v_mov_b32_e32 v64, 0x7c010000
	s_mov_b32 s21, exec_lo
	v_cmpx_ne_u32_e32 0x7f, v67
	s_cbranch_execz .LBB303_1287
; %bb.1284:                             ;   in Loop: Header=BB303_678 Depth=1
	v_and_b32_sdwa v64, v2, v30 dst_sel:DWORD dst_unused:UNUSED_PAD src0_sel:WORD_0 src1_sel:DWORD
	v_lshrrev_b32_e32 v66, 3, v67
	s_mov_b32 s22, exec_lo
	v_cmpx_gt_u32_e32 8, v67
; %bb.1285:                             ;   in Loop: Header=BB303_678 Depth=1
	v_ffbh_u32_e32 v0, v64
	v_min_u32_e32 v0, 32, v0
	v_subrev_nc_u32_e32 v13, 28, v0
	v_sub_nc_u32_e32 v66, 29, v0
	v_lshlrev_b64 v[13:14], v13, v[2:3]
	v_and_b32_e32 v64, 7, v13
; %bb.1286:                             ;   in Loop: Header=BB303_678 Depth=1
	s_or_b32 exec_lo, exec_lo, s22
	v_lshlrev_b32_sdwa v0, v31, v2 dst_sel:DWORD dst_unused:UNUSED_PAD src0_sel:DWORD src1_sel:WORD_0
	v_lshl_add_u32 v2, v66, 10, 0x2000
	v_and_or_b32 v0, 0x8000, v0, v2
	v_lshlrev_b32_e32 v2, 23, v64
	v_lshl_or_b32 v64, v0, 16, v2
.LBB303_1287:                           ;   in Loop: Header=BB303_678 Depth=1
	s_or_b32 exec_lo, exec_lo, s21
.LBB303_1288:                           ;   in Loop: Header=BB303_678 Depth=1
	s_or_b32 exec_lo, exec_lo, s18
.LBB303_1289:                           ;   in Loop: Header=BB303_678 Depth=1
	s_or_b32 exec_lo, exec_lo, s17
	v_lshrrev_b32_e32 v2, 16, v8
	v_mov_b32_e32 v66, 0
	v_mov_b32_e32 v67, 0
	v_cmp_ne_u16_sdwa s0, v2, v3 src0_sel:BYTE_0 src1_sel:DWORD
	s_and_saveexec_b32 s17, s0
	s_cbranch_execz .LBB303_1297
; %bb.1290:                             ;   in Loop: Header=BB303_678 Depth=1
	v_cmp_ne_u16_sdwa s0, v2, v28 src0_sel:BYTE_0 src1_sel:DWORD
	v_mov_b32_e32 v67, 0x8000
	s_and_saveexec_b32 s18, s0
	s_cbranch_execz .LBB303_1296
; %bb.1291:                             ;   in Loop: Header=BB303_678 Depth=1
	v_bfe_u32 v69, v8, 16, 7
	v_mov_b32_e32 v67, 0x7c01
	s_mov_b32 s21, exec_lo
	v_cmpx_ne_u32_e32 0x7f, v69
	s_cbranch_execz .LBB303_1295
; %bb.1292:                             ;   in Loop: Header=BB303_678 Depth=1
	v_and_b32_e32 v67, 7, v2
	v_lshrrev_b32_e32 v68, 3, v69
	s_mov_b32 s22, exec_lo
	v_cmpx_gt_u32_e32 8, v69
; %bb.1293:                             ;   in Loop: Header=BB303_678 Depth=1
	v_ffbh_u32_e32 v0, v67
	v_min_u32_e32 v0, 32, v0
	v_subrev_nc_u32_e32 v13, 28, v0
	v_sub_nc_u32_e32 v68, 29, v0
	v_lshlrev_b64 v[13:14], v13, v[2:3]
	v_and_b32_e32 v67, 7, v13
; %bb.1294:                             ;   in Loop: Header=BB303_678 Depth=1
	s_or_b32 exec_lo, exec_lo, s22
	v_lshlrev_b32_e32 v0, 8, v2
	v_lshl_add_u32 v2, v68, 10, 0x2000
	v_lshlrev_b32_e32 v13, 7, v67
	v_and_b32_e32 v0, 0x8000, v0
	v_and_b32_e32 v2, 0xfc00, v2
	v_or3_b32 v67, v0, v2, v13
.LBB303_1295:                           ;   in Loop: Header=BB303_678 Depth=1
	s_or_b32 exec_lo, exec_lo, s21
.LBB303_1296:                           ;   in Loop: Header=BB303_678 Depth=1
	s_or_b32 exec_lo, exec_lo, s18
.LBB303_1297:                           ;   in Loop: Header=BB303_678 Depth=1
	s_or_b32 exec_lo, exec_lo, s17
	s_mov_b32 s17, exec_lo
	v_cmpx_lt_u32_e32 0xffffff, v8
	s_cbranch_execz .LBB303_1305
; %bb.1298:                             ;   in Loop: Header=BB303_678 Depth=1
	v_lshrrev_b32_e32 v2, 24, v8
	v_bfrev_b32_e32 v66, 1
	s_mov_b32 s18, exec_lo
	v_cmpx_ne_u32_e32 0x80, v2
	s_cbranch_execz .LBB303_1304
; %bb.1299:                             ;   in Loop: Header=BB303_678 Depth=1
	v_and_b32_e32 v69, 0x7f, v2
	v_mov_b32_e32 v66, 0x7c010000
	s_mov_b32 s21, exec_lo
	v_cmpx_ne_u32_e32 0x7f, v69
	s_cbranch_execz .LBB303_1303
; %bb.1300:                             ;   in Loop: Header=BB303_678 Depth=1
	v_and_b32_e32 v66, 7, v2
	v_lshrrev_b32_e32 v68, 3, v69
	s_mov_b32 s22, exec_lo
	v_cmpx_gt_u32_e32 8, v69
; %bb.1301:                             ;   in Loop: Header=BB303_678 Depth=1
	v_ffbh_u32_e32 v0, v66
	v_min_u32_e32 v0, 32, v0
	v_subrev_nc_u32_e32 v13, 28, v0
	v_sub_nc_u32_e32 v68, 29, v0
	v_lshlrev_b64 v[13:14], v13, v[2:3]
	v_and_b32_e32 v66, 7, v13
; %bb.1302:                             ;   in Loop: Header=BB303_678 Depth=1
	s_or_b32 exec_lo, exec_lo, s22
	v_lshlrev_b32_e32 v0, 8, v2
	v_lshl_add_u32 v2, v68, 10, 0x2000
	v_and_or_b32 v0, 0x8000, v0, v2
	v_lshlrev_b32_e32 v2, 23, v66
	v_lshl_or_b32 v66, v0, 16, v2
.LBB303_1303:                           ;   in Loop: Header=BB303_678 Depth=1
	s_or_b32 exec_lo, exec_lo, s21
.LBB303_1304:                           ;   in Loop: Header=BB303_678 Depth=1
	s_or_b32 exec_lo, exec_lo, s18
.LBB303_1305:                           ;   in Loop: Header=BB303_678 Depth=1
	s_or_b32 exec_lo, exec_lo, s17
	v_mov_b32_e32 v2, v9
	v_cmp_ne_u16_sdwa s0, v9, v3 src0_sel:BYTE_0 src1_sel:DWORD
	v_mov_b32_e32 v68, 0
	v_mov_b32_e32 v69, 0
	s_and_saveexec_b32 s17, s0
	s_cbranch_execz .LBB303_1313
; %bb.1306:                             ;   in Loop: Header=BB303_678 Depth=1
	v_cmp_ne_u16_sdwa s0, v9, v28 src0_sel:BYTE_0 src1_sel:DWORD
	v_mov_b32_e32 v69, 0x8000
	s_and_saveexec_b32 s18, s0
	s_cbranch_execz .LBB303_1312
; %bb.1307:                             ;   in Loop: Header=BB303_678 Depth=1
	v_and_b32_e32 v71, 0x7f, v9
	v_mov_b32_e32 v69, 0x7c01
	s_mov_b32 s21, exec_lo
	v_cmpx_ne_u32_e32 0x7f, v71
	s_cbranch_execz .LBB303_1311
; %bb.1308:                             ;   in Loop: Header=BB303_678 Depth=1
	v_and_b32_e32 v69, 7, v9
	v_lshrrev_b32_e32 v70, 3, v71
	s_mov_b32 s22, exec_lo
	v_cmpx_gt_u32_e32 8, v71
; %bb.1309:                             ;   in Loop: Header=BB303_678 Depth=1
	v_ffbh_u32_e32 v0, v69
	v_min_u32_e32 v0, 32, v0
	v_subrev_nc_u32_e32 v13, 28, v0
	v_sub_nc_u32_e32 v70, 29, v0
	v_lshlrev_b64 v[13:14], v13, v[2:3]
	v_and_b32_e32 v69, 7, v13
; %bb.1310:                             ;   in Loop: Header=BB303_678 Depth=1
	s_or_b32 exec_lo, exec_lo, s22
	v_lshlrev_b32_e32 v0, 8, v9
	v_lshl_add_u32 v13, v70, 10, 0x2000
	v_lshlrev_b32_e32 v14, 7, v69
	v_and_b32_e32 v0, 0x8000, v0
	v_and_b32_e32 v13, 0xfc00, v13
	v_or3_b32 v69, v0, v13, v14
.LBB303_1311:                           ;   in Loop: Header=BB303_678 Depth=1
	s_or_b32 exec_lo, exec_lo, s21
.LBB303_1312:                           ;   in Loop: Header=BB303_678 Depth=1
	s_or_b32 exec_lo, exec_lo, s18
.LBB303_1313:                           ;   in Loop: Header=BB303_678 Depth=1
	s_or_b32 exec_lo, exec_lo, s17
	v_lshrrev_b16 v2, 8, v2
	v_mov_b32_e32 v70, 0
	s_mov_b32 s17, exec_lo
	v_cmpx_ne_u16_e32 0, v2
	s_cbranch_execz .LBB303_1321
; %bb.1314:                             ;   in Loop: Header=BB303_678 Depth=1
	v_bfrev_b32_e32 v70, 1
	s_mov_b32 s18, exec_lo
	v_cmpx_ne_u16_e32 0x80, v2
	s_cbranch_execz .LBB303_1320
; %bb.1315:                             ;   in Loop: Header=BB303_678 Depth=1
	v_and_b32_sdwa v72, v2, v29 dst_sel:DWORD dst_unused:UNUSED_PAD src0_sel:WORD_0 src1_sel:DWORD
	v_mov_b32_e32 v70, 0x7c010000
	s_mov_b32 s21, exec_lo
	v_cmpx_ne_u32_e32 0x7f, v72
	s_cbranch_execz .LBB303_1319
; %bb.1316:                             ;   in Loop: Header=BB303_678 Depth=1
	v_and_b32_sdwa v70, v2, v30 dst_sel:DWORD dst_unused:UNUSED_PAD src0_sel:WORD_0 src1_sel:DWORD
	v_lshrrev_b32_e32 v71, 3, v72
	s_mov_b32 s22, exec_lo
	v_cmpx_gt_u32_e32 8, v72
; %bb.1317:                             ;   in Loop: Header=BB303_678 Depth=1
	v_ffbh_u32_e32 v0, v70
	v_min_u32_e32 v0, 32, v0
	v_subrev_nc_u32_e32 v13, 28, v0
	v_sub_nc_u32_e32 v71, 29, v0
	v_lshlrev_b64 v[13:14], v13, v[2:3]
	v_and_b32_e32 v70, 7, v13
; %bb.1318:                             ;   in Loop: Header=BB303_678 Depth=1
	s_or_b32 exec_lo, exec_lo, s22
	v_lshlrev_b32_sdwa v0, v31, v2 dst_sel:DWORD dst_unused:UNUSED_PAD src0_sel:DWORD src1_sel:WORD_0
	v_lshl_add_u32 v2, v71, 10, 0x2000
	v_and_or_b32 v0, 0x8000, v0, v2
	v_lshlrev_b32_e32 v2, 23, v70
	v_lshl_or_b32 v70, v0, 16, v2
.LBB303_1319:                           ;   in Loop: Header=BB303_678 Depth=1
	s_or_b32 exec_lo, exec_lo, s21
.LBB303_1320:                           ;   in Loop: Header=BB303_678 Depth=1
	s_or_b32 exec_lo, exec_lo, s18
.LBB303_1321:                           ;   in Loop: Header=BB303_678 Depth=1
	s_or_b32 exec_lo, exec_lo, s17
	v_lshrrev_b32_e32 v2, 16, v9
	v_cmp_ne_u16_sdwa s0, v2, v3 src0_sel:BYTE_0 src1_sel:DWORD
	s_and_saveexec_b32 s17, s0
	s_cbranch_execz .LBB303_1329
; %bb.1322:                             ;   in Loop: Header=BB303_678 Depth=1
	v_cmp_ne_u16_sdwa s0, v2, v28 src0_sel:BYTE_0 src1_sel:DWORD
	v_mov_b32_e32 v68, 0x8000
	s_and_saveexec_b32 s18, s0
	s_cbranch_execz .LBB303_1328
; %bb.1323:                             ;   in Loop: Header=BB303_678 Depth=1
	v_bfe_u32 v72, v9, 16, 7
	v_mov_b32_e32 v68, 0x7c01
	s_mov_b32 s21, exec_lo
	v_cmpx_ne_u32_e32 0x7f, v72
	s_cbranch_execz .LBB303_1327
; %bb.1324:                             ;   in Loop: Header=BB303_678 Depth=1
	v_and_b32_e32 v68, 7, v2
	v_lshrrev_b32_e32 v71, 3, v72
	s_mov_b32 s22, exec_lo
	v_cmpx_gt_u32_e32 8, v72
; %bb.1325:                             ;   in Loop: Header=BB303_678 Depth=1
	v_ffbh_u32_e32 v0, v68
	v_min_u32_e32 v0, 32, v0
	v_subrev_nc_u32_e32 v13, 28, v0
	v_sub_nc_u32_e32 v71, 29, v0
	v_lshlrev_b64 v[13:14], v13, v[2:3]
	v_and_b32_e32 v68, 7, v13
; %bb.1326:                             ;   in Loop: Header=BB303_678 Depth=1
	s_or_b32 exec_lo, exec_lo, s22
	v_lshlrev_b32_e32 v0, 8, v2
	v_lshl_add_u32 v2, v71, 10, 0x2000
	v_lshlrev_b32_e32 v13, 7, v68
	v_and_b32_e32 v0, 0x8000, v0
	v_and_b32_e32 v2, 0xfc00, v2
	v_or3_b32 v68, v0, v2, v13
.LBB303_1327:                           ;   in Loop: Header=BB303_678 Depth=1
	s_or_b32 exec_lo, exec_lo, s21
.LBB303_1328:                           ;   in Loop: Header=BB303_678 Depth=1
	s_or_b32 exec_lo, exec_lo, s18
.LBB303_1329:                           ;   in Loop: Header=BB303_678 Depth=1
	s_or_b32 exec_lo, exec_lo, s17
	v_cmp_lt_u64_e64 s0, s[4:5], v[8:9]
	v_mov_b32_e32 v8, 0
	s_and_saveexec_b32 s17, s0
	s_cbranch_execz .LBB303_1337
; %bb.1330:                             ;   in Loop: Header=BB303_678 Depth=1
	v_lshrrev_b32_e32 v2, 24, v9
	v_bfrev_b32_e32 v8, 1
	s_mov_b32 s18, exec_lo
	v_cmpx_ne_u32_e32 0x80, v2
	s_cbranch_execz .LBB303_1336
; %bb.1331:                             ;   in Loop: Header=BB303_678 Depth=1
	v_and_b32_e32 v71, 0x7f, v2
	v_mov_b32_e32 v8, 0x7c010000
	s_mov_b32 s21, exec_lo
	v_cmpx_ne_u32_e32 0x7f, v71
	s_cbranch_execz .LBB303_1335
; %bb.1332:                             ;   in Loop: Header=BB303_678 Depth=1
	v_and_b32_e32 v8, 7, v2
	v_lshrrev_b32_e32 v9, 3, v71
	s_mov_b32 s22, exec_lo
	v_cmpx_gt_u32_e32 8, v71
; %bb.1333:                             ;   in Loop: Header=BB303_678 Depth=1
	v_ffbh_u32_e32 v0, v8
	v_min_u32_e32 v0, 32, v0
	v_subrev_nc_u32_e32 v8, 28, v0
	v_lshlrev_b64 v[8:9], v8, v[2:3]
	v_sub_nc_u32_e32 v9, 29, v0
	v_and_b32_e32 v8, 7, v8
; %bb.1334:                             ;   in Loop: Header=BB303_678 Depth=1
	s_or_b32 exec_lo, exec_lo, s22
	v_lshlrev_b32_e32 v0, 8, v2
	v_lshl_add_u32 v2, v9, 10, 0x2000
	v_and_or_b32 v0, 0x8000, v0, v2
	v_lshlrev_b32_e32 v2, 23, v8
	v_lshl_or_b32 v8, v0, 16, v2
.LBB303_1335:                           ;   in Loop: Header=BB303_678 Depth=1
	s_or_b32 exec_lo, exec_lo, s21
.LBB303_1336:                           ;   in Loop: Header=BB303_678 Depth=1
	s_or_b32 exec_lo, exec_lo, s18
.LBB303_1337:                           ;   in Loop: Header=BB303_678 Depth=1
	s_or_b32 exec_lo, exec_lo, s17
	v_or_b32_e32 v0, v66, v67
	s_waitcnt vmcnt(0)
	v_fma_mixlo_f16 v2, v63, v66, 0 op_sel:[0,1,0] op_sel_hi:[0,1,0]
	v_or_b32_e32 v9, v64, v65
	v_fma_mixlo_f16 v13, v63, v64, 0 op_sel:[0,1,0] op_sel_hi:[0,1,0]
	v_or_b32_e32 v14, v70, v69
	v_fma_mixlo_f16 v0, v63, v0, 0 op_sel_hi:[0,1,0]
	v_or_b32_e32 v65, v8, v68
	v_lshlrev_b32_e32 v64, 16, v2
	v_lshlrev_b32_e32 v69, 16, v13
	v_fma_mixlo_f16 v2, v63, v9, 0 op_sel_hi:[0,1,0]
	v_and_b32_e32 v66, 0xffff, v0
	v_fma_mixlo_f16 v0, v63, v70, 0 op_sel:[0,1,0] op_sel_hi:[0,1,0]
	v_fma_mixlo_f16 v9, v63, v14, 0 op_sel_hi:[0,1,0]
	v_fma_mixlo_f16 v8, v63, v8, 0 op_sel:[0,1,0] op_sel_hi:[0,1,0]
	v_fma_mixlo_f16 v13, v63, v65, 0 op_sel_hi:[0,1,0]
	v_and_b32_e32 v71, 0xffff, v2
	v_lshlrev_b32_e32 v67, 16, v0
	v_and_b32_e32 v70, 0xffff, v9
	v_lshlrev_b32_e32 v65, 16, v8
	v_and_b32_e32 v68, 0xffff, v13
	v_or_b32_e32 v9, v64, v66
	v_or_b32_e32 v63, v69, v71
	;; [unrolled: 1-line block ×4, first 2 shown]
	s_and_saveexec_b32 s0, vcc_lo
	s_cbranch_execz .LBB303_676
; %bb.1338:                             ;   in Loop: Header=BB303_678 Depth=1
	v_cmp_gt_i32_e32 vcc_lo, s31, v35
	v_cndmask_b32_e32 v0, 0, v71, vcc_lo
	v_cmp_gt_i32_e32 vcc_lo, s31, v47
	v_cndmask_b32_e32 v2, 0, v69, vcc_lo
	v_cmp_gt_i32_e32 vcc_lo, s31, v45
	v_or_b32_e32 v63, v2, v0
	v_cndmask_b32_e32 v8, 0, v66, vcc_lo
	v_cmp_gt_i32_e32 vcc_lo, s31, v43
	v_cndmask_b32_e32 v9, 0, v64, vcc_lo
	v_cmp_gt_i32_e32 vcc_lo, s31, v41
	v_or_b32_e32 v9, v9, v8
	;; [unrolled: 5-line block ×3, first 2 shown]
	v_cndmask_b32_e32 v35, 0, v68, vcc_lo
	v_cmp_gt_i32_e32 vcc_lo, s31, v36
	v_cndmask_b32_e32 v36, 0, v65, vcc_lo
	v_or_b32_e32 v2, v36, v35
	s_branch .LBB303_676
.LBB303_1339:
	s_or_b32 exec_lo, exec_lo, s12
.LBB303_1340:
	s_or_b32 exec_lo, exec_lo, s1
	buffer_load_dword v10, off, s[56:59], 0 ; 4-byte Folded Reload
	ds_bpermute_b32 v9, v17, v18
	ds_bpermute_b32 v0, v17, v26
	;; [unrolled: 1-line block ×10, first 2 shown]
	s_mov_b32 s0, exec_lo
	s_waitcnt lgkmcnt(9)
	v_add_f32_e32 v18, v18, v9
	s_waitcnt lgkmcnt(8)
	v_add_f32_e32 v0, v26, v0
	;; [unrolled: 2-line block ×10, first 2 shown]
	ds_bpermute_b32 v6, v12, v0
	ds_bpermute_b32 v7, v12, v1
	;; [unrolled: 1-line block ×10, first 2 shown]
	v_and_b32_e32 v26, 0x3c3, v73
	s_waitcnt lgkmcnt(7)
	v_add_f32_e32 v8, v2, v8
	s_waitcnt lgkmcnt(4)
	v_add_f32_e32 v5, v5, v21
	;; [unrolled: 2-line block ×3, first 2 shown]
	s_waitcnt vmcnt(0)
	v_and_b32_e32 v9, 28, v10
	v_lshrrev_b32_e32 v11, 2, v10
	buffer_load_dword v10, off, s[56:59], 0 offset:16 ; 4-byte Folded Reload
	s_waitcnt vmcnt(0) lgkmcnt(0)
	s_waitcnt_vscnt null, 0x0
	s_barrier
	v_add_nc_u32_e32 v12, 0xc0, v9
	v_add_f32_e32 v9, v1, v7
	v_add_f32_e32 v7, v3, v19
	;; [unrolled: 1-line block ×4, first 2 shown]
	buffer_gl0_inv
	v_mul_u32_u24_e32 v13, 0x140, v10
	v_add_f32_e32 v10, v0, v6
	v_add_f32_e32 v6, v4, v20
	;; [unrolled: 1-line block ×3, first 2 shown]
	v_cmpx_eq_u32_e32 64, v26
	s_cbranch_execz .LBB303_1342
; %bb.1341:
	v_add_nc_u32_e32 v0, v12, v13
	v_add_nc_u32_e32 v14, 0xfffffd80, v0
	;; [unrolled: 1-line block ×6, first 2 shown]
	ds_write_b32 v14, v10
	ds_write_b32 v15, v9
	;; [unrolled: 1-line block ×5, first 2 shown]
	v_add_nc_u32_e32 v14, 0xfffffe20, v0
	v_add_nc_u32_e32 v15, 0xfffffe40, v0
	;; [unrolled: 1-line block ×5, first 2 shown]
	ds_write_b32 v14, v5
	ds_write_b32 v15, v4
	ds_write_b32 v17, v3
	ds_write_b32 v18, v2
	ds_write_b32 v0, v1
.LBB303_1342:
	s_or_b32 exec_lo, exec_lo, s0
	v_lshlrev_b32_e32 v0, 2, v11
	s_mov_b32 s1, exec_lo
	v_cmp_eq_u32_e32 vcc_lo, 0, v16
	s_waitcnt lgkmcnt(0)
	s_barrier
	v_add3_u32 v11, 0xc0, v13, v0
	buffer_gl0_inv
	v_cmpx_gt_u32_e32 64, v73
	s_cbranch_execz .LBB303_1355
; %bb.1343:
	s_and_saveexec_b32 s0, vcc_lo
	s_cbranch_execnz .LBB303_1373
; %bb.1344:
	s_or_b32 exec_lo, exec_lo, s0
	s_and_saveexec_b32 s0, vcc_lo
	s_cbranch_execnz .LBB303_1374
.LBB303_1345:
	s_or_b32 exec_lo, exec_lo, s0
	s_and_saveexec_b32 s0, vcc_lo
	s_cbranch_execnz .LBB303_1375
.LBB303_1346:
	s_or_b32 exec_lo, exec_lo, s0
	s_and_saveexec_b32 s0, vcc_lo
	s_cbranch_execnz .LBB303_1376
.LBB303_1347:
	s_or_b32 exec_lo, exec_lo, s0
	s_and_saveexec_b32 s0, vcc_lo
	s_cbranch_execnz .LBB303_1377
.LBB303_1348:
	s_or_b32 exec_lo, exec_lo, s0
	s_and_saveexec_b32 s0, vcc_lo
	s_cbranch_execnz .LBB303_1378
.LBB303_1349:
	s_or_b32 exec_lo, exec_lo, s0
	s_and_saveexec_b32 s0, vcc_lo
	s_cbranch_execnz .LBB303_1379
.LBB303_1350:
	s_or_b32 exec_lo, exec_lo, s0
	s_and_saveexec_b32 s0, vcc_lo
	s_cbranch_execnz .LBB303_1380
.LBB303_1351:
	s_or_b32 exec_lo, exec_lo, s0
	s_and_saveexec_b32 s0, vcc_lo
	s_cbranch_execnz .LBB303_1381
.LBB303_1352:
	s_or_b32 exec_lo, exec_lo, s0
	s_and_saveexec_b32 s0, vcc_lo
	s_cbranch_execz .LBB303_1354
.LBB303_1353:
	ds_read_b32 v0, v11 offset:288
	s_waitcnt lgkmcnt(0)
	v_add_f32_e32 v1, v1, v0
.LBB303_1354:
	s_or_b32 exec_lo, exec_lo, s0
.LBB303_1355:
	s_or_b32 exec_lo, exec_lo, s1
	v_and_b32_e32 v13, 0x3e3, v73
	s_mov_b32 s1, exec_lo
	s_barrier
	buffer_gl0_inv
	v_cmpx_eq_u32_e32 32, v13
	s_cbranch_execz .LBB303_1357
; %bb.1356:
	ds_write2_b32 v12, v10, v9 offset1:8
	ds_write2_b32 v12, v8, v7 offset0:16 offset1:24
	ds_write2_b32 v12, v6, v5 offset0:32 offset1:40
	;; [unrolled: 1-line block ×4, first 2 shown]
.LBB303_1357:
	s_or_b32 exec_lo, exec_lo, s1
	s_mov_b32 s1, exec_lo
	s_waitcnt lgkmcnt(0)
	s_barrier
	buffer_gl0_inv
	v_cmpx_gt_u32_e32 32, v73
	s_cbranch_execz .LBB303_1370
; %bb.1358:
	s_and_saveexec_b32 s0, vcc_lo
	s_cbranch_execnz .LBB303_1382
; %bb.1359:
	s_or_b32 exec_lo, exec_lo, s0
	s_and_saveexec_b32 s0, vcc_lo
	s_cbranch_execnz .LBB303_1383
.LBB303_1360:
	s_or_b32 exec_lo, exec_lo, s0
	s_and_saveexec_b32 s0, vcc_lo
	s_cbranch_execnz .LBB303_1384
.LBB303_1361:
	s_or_b32 exec_lo, exec_lo, s0
	s_and_saveexec_b32 s0, vcc_lo
	s_cbranch_execnz .LBB303_1385
.LBB303_1362:
	s_or_b32 exec_lo, exec_lo, s0
	s_and_saveexec_b32 s0, vcc_lo
	s_cbranch_execnz .LBB303_1386
.LBB303_1363:
	s_or_b32 exec_lo, exec_lo, s0
	s_and_saveexec_b32 s0, vcc_lo
	s_cbranch_execnz .LBB303_1387
.LBB303_1364:
	s_or_b32 exec_lo, exec_lo, s0
	s_and_saveexec_b32 s0, vcc_lo
	s_cbranch_execnz .LBB303_1388
.LBB303_1365:
	s_or_b32 exec_lo, exec_lo, s0
	s_and_saveexec_b32 s0, vcc_lo
	s_cbranch_execnz .LBB303_1389
.LBB303_1366:
	s_or_b32 exec_lo, exec_lo, s0
	s_and_saveexec_b32 s0, vcc_lo
	s_cbranch_execnz .LBB303_1390
.LBB303_1367:
	s_or_b32 exec_lo, exec_lo, s0
	s_and_saveexec_b32 s0, vcc_lo
	s_cbranch_execz .LBB303_1369
.LBB303_1368:
	ds_read_b32 v0, v11 offset:288
	s_waitcnt lgkmcnt(0)
	v_add_f32_e32 v1, v1, v0
.LBB303_1369:
	s_or_b32 exec_lo, exec_lo, s0
.LBB303_1370:
	s_or_b32 exec_lo, exec_lo, s1
	s_barrier
	buffer_gl0_inv
	s_mov_b32 s0, exec_lo
	v_cmpx_eq_u32_e32 0, v13
	s_cbranch_execz .LBB303_1372
; %bb.1371:
	s_mul_i32 s0, s2, 0x50
	s_mul_i32 s2, s7, s10
	s_ashr_i32 s1, s0, 31
	v_lshrrev_b32_e32 v0, 1, v73
	s_lshl_b64 s[0:1], s[0:1], 1
	;;#ASMSTART
	v_cvt_f16_f32 v10, v10;

	;;#ASMEND
	s_add_u32 s4, s28, s0
	s_addc_u32 s5, s29, s1
	s_ashr_i32 s3, s2, 31
	s_lshl_b64 s[0:1], s[2:3], 1
	s_mul_i32 s2, s8, 0x50
	s_add_u32 s4, s4, s0
	s_addc_u32 s5, s5, s1
	s_ashr_i32 s3, s2, 31
	s_lshl_b64 s[0:1], s[2:3], 1
	s_add_u32 s0, s4, s0
	s_addc_u32 s1, s5, s1
	global_store_short v0, v10, s[0:1]
	;;#ASMSTART
	v_cvt_f16_f32 v9, v9;

	;;#ASMEND
	global_store_short v0, v9, s[0:1] offset:16
	;;#ASMSTART
	v_cvt_f16_f32 v8, v8;

	;;#ASMEND
	global_store_short v0, v8, s[0:1] offset:32
	;; [unrolled: 5-line block ×9, first 2 shown]
.LBB303_1372:
	s_endpgm
.LBB303_1373:
	ds_read_b32 v0, v11
	s_waitcnt lgkmcnt(0)
	v_add_f32_e32 v10, v10, v0
	s_or_b32 exec_lo, exec_lo, s0
	s_and_saveexec_b32 s0, vcc_lo
	s_cbranch_execz .LBB303_1345
.LBB303_1374:
	ds_read_b32 v0, v11 offset:32
	s_waitcnt lgkmcnt(0)
	v_add_f32_e32 v9, v9, v0
	s_or_b32 exec_lo, exec_lo, s0
	s_and_saveexec_b32 s0, vcc_lo
	s_cbranch_execz .LBB303_1346
.LBB303_1375:
	ds_read_b32 v0, v11 offset:64
	s_waitcnt lgkmcnt(0)
	v_add_f32_e32 v8, v8, v0
	s_or_b32 exec_lo, exec_lo, s0
	s_and_saveexec_b32 s0, vcc_lo
	s_cbranch_execz .LBB303_1347
.LBB303_1376:
	ds_read_b32 v0, v11 offset:96
	s_waitcnt lgkmcnt(0)
	v_add_f32_e32 v7, v7, v0
	s_or_b32 exec_lo, exec_lo, s0
	s_and_saveexec_b32 s0, vcc_lo
	s_cbranch_execz .LBB303_1348
.LBB303_1377:
	ds_read_b32 v0, v11 offset:128
	s_waitcnt lgkmcnt(0)
	v_add_f32_e32 v6, v6, v0
	s_or_b32 exec_lo, exec_lo, s0
	s_and_saveexec_b32 s0, vcc_lo
	s_cbranch_execz .LBB303_1349
.LBB303_1378:
	ds_read_b32 v0, v11 offset:160
	s_waitcnt lgkmcnt(0)
	v_add_f32_e32 v5, v5, v0
	s_or_b32 exec_lo, exec_lo, s0
	s_and_saveexec_b32 s0, vcc_lo
	s_cbranch_execz .LBB303_1350
.LBB303_1379:
	ds_read_b32 v0, v11 offset:192
	s_waitcnt lgkmcnt(0)
	v_add_f32_e32 v4, v4, v0
	s_or_b32 exec_lo, exec_lo, s0
	s_and_saveexec_b32 s0, vcc_lo
	s_cbranch_execz .LBB303_1351
.LBB303_1380:
	ds_read_b32 v0, v11 offset:224
	s_waitcnt lgkmcnt(0)
	v_add_f32_e32 v3, v3, v0
	s_or_b32 exec_lo, exec_lo, s0
	s_and_saveexec_b32 s0, vcc_lo
	s_cbranch_execz .LBB303_1352
.LBB303_1381:
	ds_read_b32 v0, v11 offset:256
	s_waitcnt lgkmcnt(0)
	v_add_f32_e32 v2, v2, v0
	s_or_b32 exec_lo, exec_lo, s0
	s_and_saveexec_b32 s0, vcc_lo
	s_cbranch_execnz .LBB303_1353
	s_branch .LBB303_1354
.LBB303_1382:
	ds_read_b32 v0, v11
	s_waitcnt lgkmcnt(0)
	v_add_f32_e32 v10, v10, v0
	s_or_b32 exec_lo, exec_lo, s0
	s_and_saveexec_b32 s0, vcc_lo
	s_cbranch_execz .LBB303_1360
.LBB303_1383:
	ds_read_b32 v0, v11 offset:32
	s_waitcnt lgkmcnt(0)
	v_add_f32_e32 v9, v9, v0
	s_or_b32 exec_lo, exec_lo, s0
	s_and_saveexec_b32 s0, vcc_lo
	s_cbranch_execz .LBB303_1361
.LBB303_1384:
	ds_read_b32 v0, v11 offset:64
	s_waitcnt lgkmcnt(0)
	v_add_f32_e32 v8, v8, v0
	s_or_b32 exec_lo, exec_lo, s0
	s_and_saveexec_b32 s0, vcc_lo
	s_cbranch_execz .LBB303_1362
.LBB303_1385:
	ds_read_b32 v0, v11 offset:96
	s_waitcnt lgkmcnt(0)
	v_add_f32_e32 v7, v7, v0
	s_or_b32 exec_lo, exec_lo, s0
	s_and_saveexec_b32 s0, vcc_lo
	s_cbranch_execz .LBB303_1363
.LBB303_1386:
	ds_read_b32 v0, v11 offset:128
	s_waitcnt lgkmcnt(0)
	v_add_f32_e32 v6, v6, v0
	s_or_b32 exec_lo, exec_lo, s0
	s_and_saveexec_b32 s0, vcc_lo
	s_cbranch_execz .LBB303_1364
.LBB303_1387:
	ds_read_b32 v0, v11 offset:160
	s_waitcnt lgkmcnt(0)
	v_add_f32_e32 v5, v5, v0
	s_or_b32 exec_lo, exec_lo, s0
	s_and_saveexec_b32 s0, vcc_lo
	s_cbranch_execz .LBB303_1365
.LBB303_1388:
	ds_read_b32 v0, v11 offset:192
	s_waitcnt lgkmcnt(0)
	v_add_f32_e32 v4, v4, v0
	s_or_b32 exec_lo, exec_lo, s0
	s_and_saveexec_b32 s0, vcc_lo
	s_cbranch_execz .LBB303_1366
.LBB303_1389:
	ds_read_b32 v0, v11 offset:224
	s_waitcnt lgkmcnt(0)
	v_add_f32_e32 v3, v3, v0
	s_or_b32 exec_lo, exec_lo, s0
	s_and_saveexec_b32 s0, vcc_lo
	s_cbranch_execz .LBB303_1367
.LBB303_1390:
	ds_read_b32 v0, v11 offset:256
	s_waitcnt lgkmcnt(0)
	v_add_f32_e32 v2, v2, v0
	s_or_b32 exec_lo, exec_lo, s0
	s_and_saveexec_b32 s0, vcc_lo
	s_cbranch_execnz .LBB303_1368
	s_branch .LBB303_1369
	.section	.rodata,"a",@progbits
	.p2align	6, 0x0
	.amdhsa_kernel _ZN4vllm25paged_attention_v2_kernelIthLi80ELi32ELi128ELNS_18Fp8KVCacheDataTypeE1ELb1ELi512EEEvPfS2_PT_PKS3_PKT0_S9_ifPKiSB_iPKfiiiSD_SD_iiiii
		.amdhsa_group_segment_fixed_size 192
		.amdhsa_private_segment_fixed_size 32
		.amdhsa_kernarg_size 400
		.amdhsa_user_sgpr_count 6
		.amdhsa_user_sgpr_private_segment_buffer 1
		.amdhsa_user_sgpr_dispatch_ptr 0
		.amdhsa_user_sgpr_queue_ptr 0
		.amdhsa_user_sgpr_kernarg_segment_ptr 1
		.amdhsa_user_sgpr_dispatch_id 0
		.amdhsa_user_sgpr_flat_scratch_init 0
		.amdhsa_user_sgpr_private_segment_size 0
		.amdhsa_wavefront_size32 1
		.amdhsa_uses_dynamic_stack 0
		.amdhsa_system_sgpr_private_segment_wavefront_offset 1
		.amdhsa_system_sgpr_workgroup_id_x 1
		.amdhsa_system_sgpr_workgroup_id_y 1
		.amdhsa_system_sgpr_workgroup_id_z 1
		.amdhsa_system_sgpr_workgroup_info 0
		.amdhsa_system_vgpr_workitem_id 0
		.amdhsa_next_free_vgpr 128
		.amdhsa_next_free_sgpr 60
		.amdhsa_reserve_vcc 1
		.amdhsa_reserve_flat_scratch 0
		.amdhsa_float_round_mode_32 0
		.amdhsa_float_round_mode_16_64 0
		.amdhsa_float_denorm_mode_32 3
		.amdhsa_float_denorm_mode_16_64 3
		.amdhsa_dx10_clamp 1
		.amdhsa_ieee_mode 1
		.amdhsa_fp16_overflow 0
		.amdhsa_workgroup_processor_mode 1
		.amdhsa_memory_ordered 1
		.amdhsa_forward_progress 1
		.amdhsa_shared_vgpr_count 0
		.amdhsa_exception_fp_ieee_invalid_op 0
		.amdhsa_exception_fp_denorm_src 0
		.amdhsa_exception_fp_ieee_div_zero 0
		.amdhsa_exception_fp_ieee_overflow 0
		.amdhsa_exception_fp_ieee_underflow 0
		.amdhsa_exception_fp_ieee_inexact 0
		.amdhsa_exception_int_div_zero 0
	.end_amdhsa_kernel
	.section	.text._ZN4vllm25paged_attention_v2_kernelIthLi80ELi32ELi128ELNS_18Fp8KVCacheDataTypeE1ELb1ELi512EEEvPfS2_PT_PKS3_PKT0_S9_ifPKiSB_iPKfiiiSD_SD_iiiii,"axG",@progbits,_ZN4vllm25paged_attention_v2_kernelIthLi80ELi32ELi128ELNS_18Fp8KVCacheDataTypeE1ELb1ELi512EEEvPfS2_PT_PKS3_PKT0_S9_ifPKiSB_iPKfiiiSD_SD_iiiii,comdat
.Lfunc_end303:
	.size	_ZN4vllm25paged_attention_v2_kernelIthLi80ELi32ELi128ELNS_18Fp8KVCacheDataTypeE1ELb1ELi512EEEvPfS2_PT_PKS3_PKT0_S9_ifPKiSB_iPKfiiiSD_SD_iiiii, .Lfunc_end303-_ZN4vllm25paged_attention_v2_kernelIthLi80ELi32ELi128ELNS_18Fp8KVCacheDataTypeE1ELb1ELi512EEEvPfS2_PT_PKS3_PKT0_S9_ifPKiSB_iPKfiiiSD_SD_iiiii
                                        ; -- End function
	.set _ZN4vllm25paged_attention_v2_kernelIthLi80ELi32ELi128ELNS_18Fp8KVCacheDataTypeE1ELb1ELi512EEEvPfS2_PT_PKS3_PKT0_S9_ifPKiSB_iPKfiiiSD_SD_iiiii.num_vgpr, 128
	.set _ZN4vllm25paged_attention_v2_kernelIthLi80ELi32ELi128ELNS_18Fp8KVCacheDataTypeE1ELb1ELi512EEEvPfS2_PT_PKS3_PKT0_S9_ifPKiSB_iPKfiiiSD_SD_iiiii.num_agpr, 0
	.set _ZN4vllm25paged_attention_v2_kernelIthLi80ELi32ELi128ELNS_18Fp8KVCacheDataTypeE1ELb1ELi512EEEvPfS2_PT_PKS3_PKT0_S9_ifPKiSB_iPKfiiiSD_SD_iiiii.numbered_sgpr, 60
	.set _ZN4vllm25paged_attention_v2_kernelIthLi80ELi32ELi128ELNS_18Fp8KVCacheDataTypeE1ELb1ELi512EEEvPfS2_PT_PKS3_PKT0_S9_ifPKiSB_iPKfiiiSD_SD_iiiii.num_named_barrier, 0
	.set _ZN4vllm25paged_attention_v2_kernelIthLi80ELi32ELi128ELNS_18Fp8KVCacheDataTypeE1ELb1ELi512EEEvPfS2_PT_PKS3_PKT0_S9_ifPKiSB_iPKfiiiSD_SD_iiiii.private_seg_size, 32
	.set _ZN4vllm25paged_attention_v2_kernelIthLi80ELi32ELi128ELNS_18Fp8KVCacheDataTypeE1ELb1ELi512EEEvPfS2_PT_PKS3_PKT0_S9_ifPKiSB_iPKfiiiSD_SD_iiiii.uses_vcc, 1
	.set _ZN4vllm25paged_attention_v2_kernelIthLi80ELi32ELi128ELNS_18Fp8KVCacheDataTypeE1ELb1ELi512EEEvPfS2_PT_PKS3_PKT0_S9_ifPKiSB_iPKfiiiSD_SD_iiiii.uses_flat_scratch, 0
	.set _ZN4vllm25paged_attention_v2_kernelIthLi80ELi32ELi128ELNS_18Fp8KVCacheDataTypeE1ELb1ELi512EEEvPfS2_PT_PKS3_PKT0_S9_ifPKiSB_iPKfiiiSD_SD_iiiii.has_dyn_sized_stack, 0
	.set _ZN4vllm25paged_attention_v2_kernelIthLi80ELi32ELi128ELNS_18Fp8KVCacheDataTypeE1ELb1ELi512EEEvPfS2_PT_PKS3_PKT0_S9_ifPKiSB_iPKfiiiSD_SD_iiiii.has_recursion, 0
	.set _ZN4vllm25paged_attention_v2_kernelIthLi80ELi32ELi128ELNS_18Fp8KVCacheDataTypeE1ELb1ELi512EEEvPfS2_PT_PKS3_PKT0_S9_ifPKiSB_iPKfiiiSD_SD_iiiii.has_indirect_call, 0
	.section	.AMDGPU.csdata,"",@progbits
; Kernel info:
; codeLenInByte = 45324
; TotalNumSgprs: 62
; NumVgprs: 128
; ScratchSize: 32
; MemoryBound: 0
; FloatMode: 240
; IeeeMode: 1
; LDSByteSize: 192 bytes/workgroup (compile time only)
; SGPRBlocks: 0
; VGPRBlocks: 15
; NumSGPRsForWavesPerEU: 62
; NumVGPRsForWavesPerEU: 128
; Occupancy: 8
; WaveLimiterHint : 1
; COMPUTE_PGM_RSRC2:SCRATCH_EN: 1
; COMPUTE_PGM_RSRC2:USER_SGPR: 6
; COMPUTE_PGM_RSRC2:TRAP_HANDLER: 0
; COMPUTE_PGM_RSRC2:TGID_X_EN: 1
; COMPUTE_PGM_RSRC2:TGID_Y_EN: 1
; COMPUTE_PGM_RSRC2:TGID_Z_EN: 1
; COMPUTE_PGM_RSRC2:TIDIG_COMP_CNT: 0
	.text
	.p2align	2                               ; -- Begin function _ZN4vllm22paged_attention_kernelIthLi96ELi32ELi128ELNS_18Fp8KVCacheDataTypeE1ELb1ELi512EEEvPfS2_PT_PKS3_PKT0_S9_ifPKiSB_iPKfiiiSD_SD_iiiii
	.type	_ZN4vllm22paged_attention_kernelIthLi96ELi32ELi128ELNS_18Fp8KVCacheDataTypeE1ELb1ELi512EEEvPfS2_PT_PKS3_PKT0_S9_ifPKiSB_iPKfiiiSD_SD_iiiii,@function
_ZN4vllm22paged_attention_kernelIthLi96ELi32ELi128ELNS_18Fp8KVCacheDataTypeE1ELb1ELi512EEEvPfS2_PT_PKS3_PKT0_S9_ifPKiSB_iPKfiiiSD_SD_iiiii: ; @_ZN4vllm22paged_attention_kernelIthLi96ELi32ELi128ELNS_18Fp8KVCacheDataTypeE1ELb1ELi512EEEvPfS2_PT_PKS3_PKT0_S9_ifPKiSB_iPKfiiiSD_SD_iiiii
; %bb.0:
	s_waitcnt vmcnt(0) expcnt(0) lgkmcnt(0)
	buffer_store_dword v40, off, s[0:3], s32 offset:196 ; 4-byte Folded Spill
	buffer_store_dword v41, off, s[0:3], s32 offset:192 ; 4-byte Folded Spill
	;; [unrolled: 1-line block ×48, first 2 shown]
	s_mov_b32 s18, s13
	s_ashr_i32 s19, s13, 31
	buffer_store_dword v24, off, s[0:3], s32 offset:240 ; 4-byte Folded Spill
	buffer_store_dword v25, off, s[0:3], s32 offset:244 ; 4-byte Folded Spill
	;; [unrolled: 1-line block ×4, first 2 shown]
	s_lshl_b64 s[4:5], s[18:19], 2
	v_mov_b32_e32 v24, v0
	v_add_co_u32 v0, vcc_lo, v16, s4
	v_mov_b32_e32 v22, v1
	v_add_co_ci_u32_e64 v1, null, s5, v17, vcc_lo
	v_mov_b32_e32 v44, v5
	v_mov_b32_e32 v35, v4
	v_mov_b32_e32 v25, v3
	flat_load_dword v36, v[0:1]
	s_clause 0x1
	buffer_load_dword v0, off, s[0:3], s32 offset:4
	buffer_load_dword v1, off, s[0:3], s32
	v_mov_b32_e32 v32, v2
	s_lshl_b32 s7, s14, 9
	s_mov_b32 s19, exec_lo
	s_waitcnt vmcnt(2) lgkmcnt(0)
	v_cmpx_lt_i32_e64 s7, v36
	s_cbranch_execz .LBB304_1636
; %bb.1:
	v_sub_nc_u32_e32 v2, 0, v12
	s_clause 0x1
	s_load_dword s4, s[8:9], 0x10
	s_load_dword s5, s[8:9], 0x0
	s_mov_b32 s16, s15
	v_max_i32_e32 v2, v12, v2
	v_cvt_f32_u32_e32 v3, v2
	v_sub_nc_u32_e32 v4, 0, v2
	v_rcp_iflag_f32_e32 v3, v3
	s_waitcnt lgkmcnt(0)
	s_lshr_b32 s4, s4, 16
	s_cmp_lg_u32 s4, 0
	s_cselect_b32 s4, -1, 0
	v_mul_f32_e32 v3, 0x4f7ffffe, v3
	s_cmp_lg_u32 s4, 0
	s_addc_u32 s15, s5, 0
	s_mov_b32 s5, exec_lo
	v_cvt_u32_f32_e32 v3, v3
	s_abs_i32 s4, s15
	v_mul_lo_u32 v4, v4, v3
	v_mul_hi_u32 v4, v3, v4
	v_add_nc_u32_e32 v3, v3, v4
	v_mul_hi_u32 v3, s4, v3
	v_mul_lo_u32 v4, v3, v2
	v_add_nc_u32_e32 v5, 1, v3
	v_sub_nc_u32_e32 v4, s4, v4
	s_abs_i32 s4, s12
	v_sub_nc_u32_e32 v13, v4, v2
	v_cmp_ge_u32_e32 vcc_lo, v4, v2
	v_cndmask_b32_e32 v3, v3, v5, vcc_lo
	v_cndmask_b32_e32 v4, v4, v13, vcc_lo
	v_xor_b32_e32 v5, s15, v12
	v_add_nc_u32_e32 v13, 1, v3
	v_cmp_ge_u32_e32 vcc_lo, v4, v2
	v_ashrrev_i32_e32 v5, 31, v5
	v_cndmask_b32_e32 v2, v3, v13, vcc_lo
	v_xor_b32_e32 v2, v2, v5
	v_sub_nc_u32_e32 v3, v2, v5
	v_sub_nc_u32_e32 v2, 0, v3
	v_max_i32_e32 v2, v3, v2
	v_cvt_f32_u32_e32 v4, v2
	v_sub_nc_u32_e32 v5, 0, v2
	v_rcp_iflag_f32_e32 v4, v4
	v_mul_f32_e32 v4, 0x4f7ffffe, v4
	v_cvt_u32_f32_e32 v4, v4
	v_mul_lo_u32 v5, v5, v4
	v_mul_hi_u32 v5, v4, v5
	v_add_nc_u32_e32 v4, v4, v5
	v_mad_u64_u32 v[16:17], null, s4, v4, 0
	v_mov_b32_e32 v4, 0
	buffer_store_dword v4, off, s[0:3], s32 offset:252 ; 4-byte Folded Spill
	v_cmpx_ne_u64_e32 0, v[19:20]
	s_cbranch_execz .LBB304_3
; %bb.2:
	s_ashr_i32 s13, s12, 31
	s_lshl_b64 s[10:11], s[12:13], 2
	v_add_co_u32 v4, vcc_lo, v19, s10
	v_add_co_ci_u32_e64 v5, null, s11, v20, vcc_lo
	flat_load_dword v4, v[4:5]
	s_waitcnt vmcnt(0) lgkmcnt(0)
	buffer_store_dword v4, off, s[0:3], s32 offset:252 ; 4-byte Folded Spill
.LBB304_3:
	s_or_b32 exec_lo, exec_lo, s5
	v_and_b32_e32 v37, 0x3ff, v31
	v_ashrrev_i32_e32 v3, 31, v3
	s_ashr_i32 s5, s12, 31
	s_mul_i32 s10, s12, 0x60
	s_mov_b32 s6, exec_lo
	v_cmpx_gt_u32_e32 12, v37
	s_cbranch_execz .LBB304_5
; %bb.4:
	v_mul_lo_u32 v4, v21, s18
	s_ashr_i32 s11, s10, 31
	v_lshlrev_b32_e32 v13, 4, v37
	s_lshl_b64 s[20:21], s[10:11], 1
	v_ashrrev_i32_e32 v5, 31, v4
	v_lshlrev_b64 v[4:5], 1, v[4:5]
	v_add_co_u32 v4, vcc_lo, v6, v4
	v_add_co_ci_u32_e64 v5, null, v7, v5, vcc_lo
	v_add_co_u32 v4, vcc_lo, v4, s20
	v_add_co_ci_u32_e64 v5, null, s21, v5, vcc_lo
	;; [unrolled: 2-line block ×3, first 2 shown]
	flat_load_dwordx4 v[4:7], v[4:5]
	s_waitcnt vmcnt(0) lgkmcnt(0)
	ds_write_b128 v13, v[4:7]
.LBB304_5:
	s_or_b32 exec_lo, exec_lo, s6
	s_waitcnt vmcnt(0)
	v_sub_nc_u32_e32 v4, 0, v1
	v_mul_lo_u32 v5, v17, v2
	v_add_nc_u32_e32 v7, 1, v17
	v_xor_b32_e32 v3, s5, v3
	v_max_i32_e32 v39, v1, v4
	v_sub_nc_u32_e32 v5, s4, v5
	v_cvt_f32_u32_e32 v4, v39
	s_mov_b32 s4, exec_lo
	v_sub_nc_u32_e32 v16, v5, v2
	v_rcp_iflag_f32_e32 v4, v4
	v_cmp_ge_u32_e32 vcc_lo, v5, v2
	v_cndmask_b32_e32 v7, v17, v7, vcc_lo
	v_cndmask_b32_e32 v5, v5, v16, vcc_lo
	v_mul_f32_e32 v4, 0x4f7ffffe, v4
	v_add_nc_u32_e32 v17, 1, v7
	v_cmp_ge_u32_e32 vcc_lo, v5, v2
	v_cvt_u32_f32_e32 v6, v4
	v_sub_nc_u32_e32 v4, 0, v39
	v_cndmask_b32_e32 v5, v7, v17, vcc_lo
	v_mul_lo_u32 v13, v4, v6
	v_add_nc_u32_e32 v4, -1, v36
	v_xor_b32_e32 v5, v5, v3
	v_mul_hi_u32 v16, v6, v13
	v_sub_nc_u32_e32 v13, 0, v4
	v_max_i32_e32 v2, v4, v13
	v_add_nc_u32_e32 v6, v6, v16
	v_mad_u64_u32 v[16:17], null, v2, v6, 0
	v_sub_nc_u32_e32 v16, v5, v3
                                        ; implicit-def: $vgpr3
	buffer_store_dword v6, off, s[0:3], s32 offset:216 ; 4-byte Folded Spill
	s_waitcnt lgkmcnt(0)
	s_waitcnt_vscnt null, 0x0
	s_barrier
	buffer_gl0_inv
	buffer_store_dword v3, off, s[0:3], s32 offset:200 ; 4-byte Folded Spill
	buffer_store_dword v4, off, s[0:3], s32 offset:204 ; 4-byte Folded Spill
	v_cmpx_gt_i32_e32 0, v0
	s_xor_b32 s4, exec_lo, s4
	s_cbranch_execz .LBB304_7
; %bb.6:
	v_mad_u64_u32 v[5:6], null, v28, v12, v[16:17]
                                        ; implicit-def: $vgpr28
	v_mul_lo_u32 v0, v5, v0
	v_sub_nc_u32_e32 v0, 1, v0
	buffer_store_dword v0, off, s[0:3], s32 offset:200 ; 4-byte Folded Spill
	buffer_store_dword v1, off, s[0:3], s32 offset:204 ; 4-byte Folded Spill
                                        ; implicit-def: $vgpr0
.LBB304_7:
	s_or_saveexec_b32 s4, s4
	v_ashrrev_i32_e32 v3, 31, v4
	v_ashrrev_i32_e32 v1, 31, v1
	buffer_store_dword v1, off, s[0:3], s32 offset:208 ; 4-byte Folded Spill
	s_xor_b32 exec_lo, exec_lo, s4
	s_cbranch_execz .LBB304_9
; %bb.8:
	v_mad_u64_u32 v[4:5], null, s15, v28, s[12:13]
	v_mad_u64_u32 v[0:1], null, v4, v0, 1
	buffer_store_dword v0, off, s[0:3], s32 offset:200 ; 4-byte Folded Spill
	buffer_store_dword v1, off, s[0:3], s32 offset:204 ; 4-byte Folded Spill
.LBB304_9:
	s_or_b32 exec_lo, exec_lo, s4
	s_clause 0x1
	s_load_dword s22, s[8:9], 0x14
	s_load_dword s11, s[8:9], 0x8
	buffer_load_dword v5, off, s[0:3], s32 offset:208 ; 4-byte Folded Reload
	v_mul_lo_u32 v0, v17, v39
	v_add_nc_u32_e32 v1, 31, v36
	v_add_nc_u32_e32 v4, 1, v17
	v_lshrrev_b32_e32 v47, 5, v37
	s_lshl_b32 s13, s14, 4
	v_mul_lo_u32 v12, v16, v23
	s_add_i32 s4, s13, 16
	v_and_b32_e32 v7, 31, v37
	v_sub_nc_u32_e32 v2, v2, v0
	v_mul_lo_u32 v0, v18, s18
	v_add_nc_u32_e32 v16, s13, v47
	v_mov_b32_e32 v13, 0xff7fffff
	v_sub_nc_u32_e32 v48, 0, v30
	v_sub_nc_u32_e32 v6, v2, v39
	v_cmp_ge_u32_e32 vcc_lo, v2, v39
	v_lshl_add_u32 v23, v47, 5, s7
	v_ashrrev_i32_e32 v49, 31, v12
	v_lshlrev_b32_e32 v21, 2, v7
	v_cndmask_b32_e32 v4, v17, v4, vcc_lo
	v_cndmask_b32_e32 v2, v2, v6, vcc_lo
	v_ashrrev_i32_e32 v17, 31, v16
	v_add_nc_u32_e32 v6, 1, v4
	v_cmp_ge_u32_e32 vcc_lo, v2, v39
	v_cndmask_b32_e32 v2, v4, v6, vcc_lo
	s_waitcnt vmcnt(0)
	v_xor_b32_e32 v3, v3, v5
	v_ashrrev_i32_e32 v5, 31, v1
	v_xor_b32_e32 v2, v2, v3
	v_lshrrev_b32_e32 v5, 27, v5
	v_sub_nc_u32_e32 v2, v2, v3
	v_add_nc_u32_e32 v1, v1, v5
	v_ashrrev_i32_e32 v38, 5, v1
	v_ashrrev_i32_e32 v1, 31, v0
	v_min_i32_e32 v4, s4, v38
	v_lshlrev_b64 v[18:19], 2, v[0:1]
	v_sub_nc_u32_e32 v0, v2, v29
	v_cmp_lt_i32_e64 s4, v16, v4
	buffer_store_dword v4, off, s[0:3], s32 offset:212 ; 4-byte Folded Spill
	buffer_store_dword v0, off, s[0:3], s32 offset:220 ; 4-byte Folded Spill
	;; [unrolled: 1-line block ×3, first 2 shown]
	s_and_saveexec_b32 s23, s4
	s_cbranch_execz .LBB304_785
; %bb.10:
	v_max_i32_e32 v66, v30, v48
	buffer_store_dword v38, off, s[0:3], s32 offset:332 ; 4-byte Folded Spill
	buffer_store_dword v32, off, s[0:3], s32 offset:316 ; 4-byte Folded Spill
	;; [unrolled: 1-line block ×12, first 2 shown]
	buffer_load_dword v6, off, s[0:3], s32 offset:236 ; 4-byte Folded Reload
	v_add_co_u32 v3, vcc_lo, v8, v12
	v_cvt_f32_u32_e32 v0, v66
	v_add_co_ci_u32_e64 v4, null, v9, v49, vcc_lo
	s_ashr_i32 s17, s16, 31
	s_getpc_b64 s[8:9]
	s_add_u32 s8, s8, llvm.amdgcn.dynlds.offset.table@rel32@lo+4
	s_addc_u32 s9, s9, llvm.amdgcn.dynlds.offset.table@rel32@hi+12
	v_rcp_iflag_f32_e32 v2, v0
	buffer_load_dword v0, off, s[0:3], s32 offset:252 ; 4-byte Folded Reload
	s_lshl_b64 s[20:21], s[16:17], 2
	buffer_store_dword v12, off, s[0:3], s32 offset:328 ; 4-byte Folded Spill
	s_add_u32 s8, s8, s20
	s_addc_u32 s9, s9, s21
	buffer_store_dword v49, off, s[0:3], s32 offset:340 ; 4-byte Folded Spill
	buffer_store_dword v47, off, s[0:3], s32 offset:280 ; 4-byte Folded Spill
	;; [unrolled: 1-line block ×3, first 2 shown]
	s_load_dword s17, s[8:9], 0x0
	v_sub_nc_u32_e32 v7, 0, v66
	v_mul_f32_e32 v2, 0x4f7ffffe, v2
	v_mov_b32_e32 v8, 0
	v_lshl_add_u32 v9, v47, 5, s7
	v_lshl_or_b32 v67, v47, 7, v21
	v_mov_b32_e32 v68, 0x80
	v_cvt_u32_f32_e32 v2, v2
	v_mov_b32_e32 v13, 0xff7fffff
	v_mov_b32_e32 v82, v16
	s_mov_b32 s20, -1
	s_mov_b32 s24, 0
	v_mul_lo_u32 v7, v7, v2
	s_mov_b32 s21, 0xffffff
	s_waitcnt vmcnt(1)
	v_lshlrev_b32_e32 v5, 4, v6
	v_sub_nc_u32_e32 v6, v6, v36
	v_add_co_u32 v3, s5, v3, v5
	v_add_co_ci_u32_e64 v4, null, 0, v4, s5
	s_waitcnt vmcnt(0)
	v_cmp_neq_f32_e32 vcc_lo, 0, v0
	v_lshlrev_b64 v[0:1], 2, v[16:17]
	buffer_store_dword v3, off, s[0:3], s32 offset:256 ; 4-byte Folded Spill
	buffer_store_dword v4, off, s[0:3], s32 offset:260 ; 4-byte Folded Spill
	v_mul_hi_u32 v3, v2, v7
	v_add_nc_u32_e32 v4, 1, v6
	v_add_co_u32 v0, s5, v18, v0
	buffer_store_dword v18, off, s[0:3], s32 offset:320 ; 4-byte Folded Spill
	buffer_store_dword v19, off, s[0:3], s32 offset:324 ; 4-byte Folded Spill
	;; [unrolled: 1-line block ×5, first 2 shown]
	v_add_co_ci_u32_e64 v1, null, v19, v1, s5
	v_add_co_u32 v28, s5, v14, v0
	v_add_nc_u32_e32 v0, v2, v3
	v_add_co_ci_u32_e64 v29, null, v15, v1, s5
	buffer_store_dword v0, off, s[0:3], s32 offset:228 ; 4-byte Folded Spill
	s_branch .LBB304_16
.LBB304_11:                             ;   in Loop: Header=BB304_16 Depth=1
	s_or_b32 exec_lo, exec_lo, s28
	v_lshlrev_b32_e32 v7, 8, v7
	v_lshl_add_u32 v24, v24, 10, 0x2000
	v_lshlrev_b32_e32 v6, 23, v6
	v_and_or_b32 v7, 0x8000, v7, v24
	v_lshl_or_b32 v6, v7, 16, v6
.LBB304_12:                             ;   in Loop: Header=BB304_16 Depth=1
	s_or_b32 exec_lo, exec_lo, s27
.LBB304_13:                             ;   in Loop: Header=BB304_16 Depth=1
	s_or_b32 exec_lo, exec_lo, s26
.LBB304_14:                             ;   in Loop: Header=BB304_16 Depth=1
	s_or_b32 exec_lo, exec_lo, s25
	v_or_b32_e32 v7, v91, v89
	v_fma_mixlo_f16 v95, v83, v78, 0 op_sel:[0,1,0] op_sel_hi:[0,1,0]
	v_or_b32_e32 v0, v4, v0
	v_fma_mixlo_f16 v123, v83, v54, 0 op_sel:[0,1,0] op_sel_hi:[0,1,0]
	v_or_b32_e32 v5, v10, v5
	v_fma_mixlo_f16 v92, v83, v7, 0 op_sel_hi:[0,1,0]
	v_or_b32_e32 v7, v78, v77
	v_fma_mixlo_f16 v77, v83, v121, 0 op_sel:[0,1,0] op_sel_hi:[0,1,0]
	v_fma_mixlo_f16 v49, v83, v0, 0 op_sel_hi:[0,1,0]
	v_or_b32_e32 v0, v35, v20
	v_fma_mixlo_f16 v50, v83, v80, 0 op_sel:[0,1,0] op_sel_hi:[0,1,0]
	;; [unrolled: 3-line block ×3, first 2 shown]
	v_fma_mixlo_f16 v120, v83, v106, 0 op_sel:[0,1,0] op_sel_hi:[0,1,0]
	v_fma_mixlo_f16 v65, v83, v18, 0 op_sel:[0,1,0] op_sel_hi:[0,1,0]
	;; [unrolled: 1-line block ×3, first 2 shown]
	v_fma_mixlo_f16 v90, v83, v7, 0 op_sel_hi:[0,1,0]
	v_or_b32_e32 v7, v121, v110
	s_load_dword s25, s[8:9], 0x0
	v_fma_mixlo_f16 v91, v83, v91, 0 op_sel:[0,1,0] op_sel_hi:[0,1,0]
	v_fma_mixlo_f16 v78, v83, v7, 0 op_sel_hi:[0,1,0]
	v_or_b32_e32 v7, v106, v55
	v_fma_mixlo_f16 v121, v83, v7, 0 op_sel_hi:[0,1,0]
	v_or_b32_e32 v7, v54, v52
	v_fma_mixlo_f16 v54, v83, v10, 0 op_sel:[0,1,0] op_sel_hi:[0,1,0]
	v_fma_mixlo_f16 v10, v83, v4, 0 op_sel:[0,1,0] op_sel_hi:[0,1,0]
	v_fma_mixlo_f16 v4, v83, v0, 0 op_sel_hi:[0,1,0]
	v_or_b32_e32 v0, v38, v21
	v_fma_mixlo_f16 v124, v83, v7, 0 op_sel_hi:[0,1,0]
	v_or_b32_e32 v7, v109, v105
	v_fma_mixlo_f16 v105, v83, v126, 0 op_sel:[0,1,0] op_sel_hi:[0,1,0]
	v_fma_mixlo_f16 v52, v83, v5, 0 op_sel_hi:[0,1,0]
	v_fma_mixlo_f16 v5, v83, v35, 0 op_sel:[0,1,0] op_sel_hi:[0,1,0]
	v_fma_mixlo_f16 v21, v83, v79, 0 op_sel:[0,1,0] op_sel_hi:[0,1,0]
	v_fma_mixlo_f16 v110, v83, v7, 0 op_sel_hi:[0,1,0]
	v_or_b32_e32 v7, v126, v125
	v_fma_mixlo_f16 v126, v83, v0, 0 op_sel_hi:[0,1,0]
	v_or_b32_e32 v0, v15, v12
	v_fma_mixlo_f16 v125, v83, v38, 0 op_sel:[0,1,0] op_sel_hi:[0,1,0]
	v_fma_mixlo_f16 v38, v83, v3, 0 op_sel:[0,1,0] op_sel_hi:[0,1,0]
	v_fma_mixlo_f16 v106, v83, v7, 0 op_sel_hi:[0,1,0]
	v_fma_mixlo_f16 v109, v83, v109, 0 op_sel:[0,1,0] op_sel_hi:[0,1,0]
	v_fma_mixlo_f16 v12, v83, v0, 0 op_sel_hi:[0,1,0]
	v_or_b32_e32 v0, v3, v2
	v_fma_mixlo_f16 v15, v83, v15, 0 op_sel:[0,1,0] op_sel_hi:[0,1,0]
	v_and_b32_e32 v21, 0xffff, v21
	v_and_b32_e32 v10, 0xffff, v10
	s_waitcnt lgkmcnt(0)
	v_add_nc_u32_e32 v31, s25, v67
	v_fma_mixlo_f16 v35, v83, v0, 0 op_sel_hi:[0,1,0]
	v_or_b32_e32 v0, v19, v14
	v_fma_mixlo_f16 v19, v83, v19, 0 op_sel:[0,1,0] op_sel_hi:[0,1,0]
	buffer_load_dword v2, off, s[0:3], s32 offset:252 ; 4-byte Folded Reload
	v_fma_mixlo_f16 v14, v83, v0, 0 op_sel_hi:[0,1,0]
	v_or_b32_e32 v0, v80, v30
	v_fma_mixlo_f16 v80, v83, v37, 0 op_sel:[0,1,0] op_sel_hi:[0,1,0]
	v_fma_mixlo_f16 v69, v83, v0, 0 op_sel_hi:[0,1,0]
	v_or_b32_e32 v0, v37, v53
	v_fma_mixlo_f16 v53, v83, v115, 0 op_sel:[0,1,0] op_sel_hi:[0,1,0]
	v_fma_mixlo_f16 v37, v83, v1, 0 op_sel:[0,1,0] op_sel_hi:[0,1,0]
	v_fma_mixlo_f16 v30, v83, v0, 0 op_sel_hi:[0,1,0]
	v_or_b32_e32 v0, v127, v122
	v_fma_mixlo_f16 v122, v83, v127, 0 op_sel:[0,1,0] op_sel_hi:[0,1,0]
	v_fma_mixlo_f16 v127, v83, v0, 0 op_sel_hi:[0,1,0]
	v_or_b32_e32 v0, v1, v64
	buffer_load_dword v1, off, s[0:3], s32 offset:264 ; 4-byte Folded Reload
	v_fma_mixlo_f16 v64, v83, v0, 0 op_sel_hi:[0,1,0]
	v_or_b32_e32 v0, v18, v11
	v_fma_mixlo_f16 v18, v83, v111, 0 op_sel:[0,1,0] op_sel_hi:[0,1,0]
	v_fma_mixlo_f16 v11, v83, v0, 0 op_sel_hi:[0,1,0]
	v_or_b32_e32 v0, v94, v88
	v_fma_mixlo_f16 v94, v83, v94, 0 op_sel:[0,1,0] op_sel_hi:[0,1,0]
	;; [unrolled: 3-line block ×3, first 2 shown]
	v_fma_mixlo_f16 v55, v83, v0, 0 op_sel_hi:[0,1,0]
	v_or_b32_e32 v0, v108, v93
	v_fma_mixlo_f16 v88, v83, v0, 0 op_sel_hi:[0,1,0]
	v_or_b32_e32 v0, v111, v107
	v_fma_mixlo_f16 v107, v83, v61, 0 op_sel:[0,1,0] op_sel_hi:[0,1,0]
	v_fma_mixlo_f16 v111, v83, v84, 0 op_sel:[0,1,0] op_sel_hi:[0,1,0]
	v_fma_mixlo_f16 v76, v83, v0, 0 op_sel_hi:[0,1,0]
	v_or_b32_e32 v0, v72, v62
	v_fma_mixlo_f16 v62, v83, v74, 0 op_sel:[0,1,0] op_sel_hi:[0,1,0]
	v_fma_mixlo_f16 v72, v83, v72, 0 op_sel:[0,1,0] op_sel_hi:[0,1,0]
	v_fma_mixlo_f16 v93, v83, v0, 0 op_sel_hi:[0,1,0]
	v_or_b32_e32 v0, v61, v60
	v_fma_mixlo_f16 v60, v83, v75, 0 op_sel:[0,1,0] op_sel_hi:[0,1,0]
	v_fma_mixlo_f16 v108, v83, v0, 0 op_sel_hi:[0,1,0]
	v_or_b32_e32 v0, v74, v63
	v_fma_mixlo_f16 v74, v83, v45, 0 op_sel:[0,1,0] op_sel_hi:[0,1,0]
	v_fma_mixlo_f16 v63, v83, v0, 0 op_sel_hi:[0,1,0]
	v_or_b32_e32 v0, v75, v73
	v_fma_mixlo_f16 v61, v83, v0, 0 op_sel_hi:[0,1,0]
	v_or_b32_e32 v0, v56, v46
	v_fma_mixlo_f16 v46, v83, v58, 0 op_sel:[0,1,0] op_sel_hi:[0,1,0]
	v_fma_mixlo_f16 v56, v83, v56, 0 op_sel:[0,1,0] op_sel_hi:[0,1,0]
	v_fma_mixlo_f16 v73, v83, v0, 0 op_sel_hi:[0,1,0]
	v_or_b32_e32 v0, v45, v44
	v_fma_mixlo_f16 v44, v83, v59, 0 op_sel:[0,1,0] op_sel_hi:[0,1,0]
	v_fma_mixlo_f16 v75, v83, v0, 0 op_sel_hi:[0,1,0]
	v_or_b32_e32 v0, v58, v47
	v_fma_mixlo_f16 v58, v83, v117, 0 op_sel:[0,1,0] op_sel_hi:[0,1,0]
	v_fma_mixlo_f16 v47, v83, v0, 0 op_sel_hi:[0,1,0]
	v_or_b32_e32 v0, v59, v57
	;; [unrolled: 12-line block ×3, first 2 shown]
	v_fma_mixlo_f16 v117, v83, v0, 0 op_sel_hi:[0,1,0]
	v_or_b32_e32 v0, v112, v102
	v_fma_mixlo_f16 v112, v83, v112, 0 op_sel:[0,1,0] op_sel_hi:[0,1,0]
	v_fma_mixlo_f16 v41, v83, v0, 0 op_sel_hi:[0,1,0]
	v_or_b32_e32 v0, v101, v100
	v_fma_mixlo_f16 v100, v83, v114, 0 op_sel:[0,1,0] op_sel_hi:[0,1,0]
	;; [unrolled: 3-line block ×3, first 2 shown]
	v_fma_mixlo_f16 v114, v83, v86, 0 op_sel:[0,1,0] op_sel_hi:[0,1,0]
	v_fma_mixlo_f16 v101, v83, v0, 0 op_sel_hi:[0,1,0]
	v_or_b32_e32 v0, v115, v113
	v_fma_mixlo_f16 v102, v83, v0, 0 op_sel_hi:[0,1,0]
	v_or_b32_e32 v0, v86, v87
	v_fma_mixlo_f16 v87, v83, v34, 0 op_sel:[0,1,0] op_sel_hi:[0,1,0]
	v_fma_mixlo_f16 v115, v83, v0, 0 op_sel_hi:[0,1,0]
	v_or_b32_e32 v0, v84, v85
	v_fma_mixlo_f16 v85, v83, v71, 0 op_sel:[0,1,0] op_sel_hi:[0,1,0]
	;; [unrolled: 3-line block ×3, first 2 shown]
	v_fma_mixlo_f16 v113, v83, v0, 0 op_sel_hi:[0,1,0]
	v_or_b32_e32 v0, v99, v96
	v_fma_mixlo_f16 v98, v83, v0, 0 op_sel_hi:[0,1,0]
	buffer_load_dword v0, off, s[0:3], s32 offset:236 ; 4-byte Folded Reload
	s_waitcnt vmcnt(1)
	v_add_nc_u32_e32 v1, v1, v9
	v_cvt_f32_i32_e32 v1, v1
	v_mul_f32_e32 v1, v2, v1
	v_cndmask_b32_e32 v7, 0, v1, vcc_lo
	v_or_b32_e32 v1, v71, v13
	v_fma_mixlo_f16 v86, v83, v1, 0 op_sel_hi:[0,1,0]
	v_or_b32_e32 v1, v34, v33
	v_fma_mixlo_f16 v34, v83, v25, 0 op_sel:[0,1,0] op_sel_hi:[0,1,0]
	v_fma_mixlo_f16 v96, v83, v1, 0 op_sel_hi:[0,1,0]
	v_or_b32_e32 v1, v25, v22
	v_fma_mixlo_f16 v84, v83, v1, 0 op_sel_hi:[0,1,0]
	v_or_b32_e32 v1, v6, v81
	v_fma_mixlo_f16 v33, v83, v1, 0 op_sel_hi:[0,1,0]
	s_waitcnt vmcnt(0)
	v_add_nc_u32_e32 v0, v0, v9
	v_cmp_lt_i32_e64 s5, v0, v36
	ds_read_b128 v[0:3], v8
	s_waitcnt lgkmcnt(0)
	v_lshrrev_b32_e32 v13, 16, v0
	v_and_b32_e32 v0, 0xffff, v0
	;;#ASMSTART
	v_cvt_f32_f16 v6, v0;
	;;#ASMEND
	v_and_b32_e32 v0, 0xffff, v70
	;;#ASMSTART
	v_cvt_f32_f16 v99, v13;
	;;#ASMEND
	;;#ASMSTART
	v_cvt_f32_f16 v51, v0;
	;;#ASMEND
	v_and_b32_e32 v0, 0xffff, v111
	;;#ASMSTART
	v_cvt_f32_f16 v48, v0;
	;;#ASMEND
	v_lshrrev_b32_e32 v0, 16, v1
	v_and_b32_e32 v1, 0xffff, v1
	;;#ASMSTART
	v_cvt_f32_f16 v24, v1;
	;;#ASMEND
	;;#ASMSTART
	v_cvt_f32_f16 v111, v0;
	;;#ASMEND
	v_and_b32_e32 v0, 0xffff, v115
	;;#ASMSTART
	v_cvt_f32_f16 v115, v0;
	;;#ASMEND
	v_and_b32_e32 v0, 0xffff, v114
	;;#ASMSTART
	v_cvt_f32_f16 v114, v0;
	;;#ASMEND
	v_lshrrev_b32_e32 v0, 16, v2
	v_and_b32_e32 v1, 0xffff, v2
	;;#ASMSTART
	v_cvt_f32_f16 v81, v1;
	;;#ASMEND
	;;#ASMSTART
	v_cvt_f32_f16 v71, v0;
	;;#ASMEND
	v_and_b32_e32 v0, 0xffff, v113
	;; [unrolled: 16-line block ×3, first 2 shown]
	;;#ASMSTART
	v_cvt_f32_f16 v70, v0;
	;;#ASMEND
	v_and_b32_e32 v0, 0xffff, v97
	;;#ASMSTART
	v_cvt_f32_f16 v25, v0;
	;;#ASMEND
	ds_read_b128 v[0:3], v8 offset:16
	v_and_b32_e32 v98, 0xffff, v42
	s_waitcnt lgkmcnt(0)
	v_lshrrev_b32_e32 v83, 16, v0
	v_and_b32_e32 v0, 0xffff, v0
	;;#ASMSTART
	v_cvt_f32_f16 v0, v0;
	;;#ASMEND
	;;#ASMSTART
	v_cvt_f32_f16 v97, v83;
	;;#ASMEND
	v_and_b32_e32 v83, 0xffff, v43
	;;#ASMSTART
	v_cvt_f32_f16 v83, v83;
	;;#ASMEND
	v_mul_f32_e32 v83, v0, v83
	;;#ASMSTART
	v_cvt_f32_f16 v98, v98;
	;;#ASMEND
	v_mul_f32_e32 v97, v97, v98
	v_and_b32_e32 v0, 0xffff, v1
	;;#ASMSTART
	v_cvt_f32_f16 v0, v0;
	;;#ASMEND
	v_fmac_f32_e32 v83, v6, v51
	v_lshrrev_b32_e32 v6, 16, v1
	v_fmac_f32_e32 v97, v99, v48
	;;#ASMSTART
	v_cvt_f32_f16 v1, v6;
	;;#ASMEND
	v_and_b32_e32 v6, 0xffff, v41
	v_and_b32_e32 v48, 0xffff, v112
	;;#ASMSTART
	v_cvt_f32_f16 v6, v6;
	;;#ASMEND
	;;#ASMSTART
	v_cvt_f32_f16 v48, v48;
	;;#ASMEND
	v_mul_f32_e32 v99, v0, v6
	v_mul_f32_e32 v98, v1, v48
	v_lshrrev_b32_e32 v1, 16, v2
	v_and_b32_e32 v0, 0xffff, v2
	v_and_b32_e32 v2, 0xffff, v101
	;;#ASMSTART
	v_cvt_f32_f16 v0, v0;
	;;#ASMEND
	;;#ASMSTART
	v_cvt_f32_f16 v1, v1;
	;;#ASMEND
	;; [unrolled: 3-line block ×3, first 2 shown]
	v_and_b32_e32 v6, 0xffff, v100
	;;#ASMSTART
	v_cvt_f32_f16 v6, v6;
	;;#ASMEND
	v_mul_f32_e32 v101, v0, v2
	v_mul_f32_e32 v100, v1, v6
	v_lshrrev_b32_e32 v1, 16, v3
	v_and_b32_e32 v0, 0xffff, v3
	v_and_b32_e32 v2, 0xffff, v102
	;; [unrolled: 1-line block ×3, first 2 shown]
	;;#ASMSTART
	v_cvt_f32_f16 v0, v0;
	;;#ASMEND
	;;#ASMSTART
	v_cvt_f32_f16 v1, v1;
	;;#ASMEND
	;; [unrolled: 3-line block ×4, first 2 shown]
	v_mul_f32_e32 v102, v0, v2
	v_mul_f32_e32 v53, v1, v3
	ds_read_b128 v[0:3], v8 offset:32
	v_fmac_f32_e32 v99, v24, v115
	v_fmac_f32_e32 v98, v111, v114
	;; [unrolled: 1-line block ×6, first 2 shown]
	v_and_b32_e32 v13, 0xffff, v59
	v_and_b32_e32 v22, 0xffff, v58
	s_waitcnt lgkmcnt(0)
	v_lshrrev_b32_e32 v6, 16, v0
	v_and_b32_e32 v0, 0xffff, v0
	;;#ASMSTART
	v_cvt_f32_f16 v0, v0;
	;;#ASMEND
	;;#ASMSTART
	v_cvt_f32_f16 v6, v6;
	;;#ASMEND
	;; [unrolled: 3-line block ×4, first 2 shown]
	v_fmac_f32_e32 v83, v0, v13
	v_fmac_f32_e32 v97, v6, v22
	v_lshrrev_b32_e32 v6, 16, v1
	v_and_b32_e32 v0, 0xffff, v1
	;;#ASMSTART
	v_cvt_f32_f16 v0, v0;
	;;#ASMEND
	;;#ASMSTART
	v_cvt_f32_f16 v1, v6;
	;;#ASMEND
	v_and_b32_e32 v6, 0xffff, v57
	v_and_b32_e32 v13, 0xffff, v40
	;;#ASMSTART
	v_cvt_f32_f16 v6, v6;
	;;#ASMEND
	;;#ASMSTART
	v_cvt_f32_f16 v13, v13;
	;;#ASMEND
	v_fmac_f32_e32 v99, v0, v6
	v_fmac_f32_e32 v98, v1, v13
	v_lshrrev_b32_e32 v1, 16, v2
	v_and_b32_e32 v0, 0xffff, v2
	v_and_b32_e32 v2, 0xffff, v119
	;;#ASMSTART
	v_cvt_f32_f16 v0, v0;
	;;#ASMEND
	;;#ASMSTART
	v_cvt_f32_f16 v1, v1;
	;;#ASMEND
	;; [unrolled: 3-line block ×3, first 2 shown]
	v_and_b32_e32 v6, 0xffff, v118
	;;#ASMSTART
	v_cvt_f32_f16 v6, v6;
	;;#ASMEND
	v_fmac_f32_e32 v101, v0, v2
	v_fmac_f32_e32 v100, v1, v6
	v_lshrrev_b32_e32 v1, 16, v3
	v_and_b32_e32 v0, 0xffff, v3
	v_and_b32_e32 v2, 0xffff, v117
	;; [unrolled: 1-line block ×3, first 2 shown]
	;;#ASMSTART
	v_cvt_f32_f16 v0, v0;
	;;#ASMEND
	;;#ASMSTART
	v_cvt_f32_f16 v1, v1;
	;;#ASMEND
	;; [unrolled: 3-line block ×4, first 2 shown]
	v_fmac_f32_e32 v102, v0, v2
	v_fmac_f32_e32 v53, v1, v3
	ds_read_b128 v[0:3], v8 offset:48
	v_and_b32_e32 v13, 0xffff, v75
	v_and_b32_e32 v22, 0xffff, v74
	s_waitcnt lgkmcnt(0)
	v_lshrrev_b32_e32 v6, 16, v0
	v_and_b32_e32 v0, 0xffff, v0
	;;#ASMSTART
	v_cvt_f32_f16 v0, v0;
	;;#ASMEND
	;;#ASMSTART
	v_cvt_f32_f16 v6, v6;
	;;#ASMEND
	;; [unrolled: 3-line block ×4, first 2 shown]
	v_fmac_f32_e32 v83, v0, v13
	v_fmac_f32_e32 v97, v6, v22
	v_lshrrev_b32_e32 v6, 16, v1
	v_and_b32_e32 v0, 0xffff, v1
	;;#ASMSTART
	v_cvt_f32_f16 v0, v0;
	;;#ASMEND
	;;#ASMSTART
	v_cvt_f32_f16 v1, v6;
	;;#ASMEND
	v_and_b32_e32 v6, 0xffff, v73
	v_and_b32_e32 v13, 0xffff, v56
	;;#ASMSTART
	v_cvt_f32_f16 v6, v6;
	;;#ASMEND
	;;#ASMSTART
	v_cvt_f32_f16 v13, v13;
	;;#ASMEND
	v_fmac_f32_e32 v99, v0, v6
	v_fmac_f32_e32 v98, v1, v13
	v_lshrrev_b32_e32 v1, 16, v2
	v_and_b32_e32 v0, 0xffff, v2
	v_and_b32_e32 v2, 0xffff, v47
	;;#ASMSTART
	v_cvt_f32_f16 v0, v0;
	;;#ASMEND
	;;#ASMSTART
	v_cvt_f32_f16 v1, v1;
	;;#ASMEND
	;; [unrolled: 3-line block ×3, first 2 shown]
	v_and_b32_e32 v6, 0xffff, v46
	;;#ASMSTART
	v_cvt_f32_f16 v6, v6;
	;;#ASMEND
	v_fmac_f32_e32 v101, v0, v2
	v_fmac_f32_e32 v100, v1, v6
	v_lshrrev_b32_e32 v1, 16, v3
	v_and_b32_e32 v0, 0xffff, v3
	v_and_b32_e32 v2, 0xffff, v45
	;; [unrolled: 1-line block ×3, first 2 shown]
	;;#ASMSTART
	v_cvt_f32_f16 v0, v0;
	;;#ASMEND
	;;#ASMSTART
	v_cvt_f32_f16 v1, v1;
	;;#ASMEND
	;; [unrolled: 3-line block ×4, first 2 shown]
	v_fmac_f32_e32 v102, v0, v2
	v_fmac_f32_e32 v53, v1, v3
	ds_read_b128 v[0:3], v8 offset:64
	v_and_b32_e32 v13, 0xffff, v108
	v_and_b32_e32 v22, 0xffff, v107
	s_waitcnt lgkmcnt(0)
	v_lshrrev_b32_e32 v6, 16, v0
	v_and_b32_e32 v0, 0xffff, v0
	;;#ASMSTART
	v_cvt_f32_f16 v0, v0;
	;;#ASMEND
	;;#ASMSTART
	v_cvt_f32_f16 v6, v6;
	;;#ASMEND
	;; [unrolled: 3-line block ×4, first 2 shown]
	v_fmac_f32_e32 v83, v0, v13
	v_fmac_f32_e32 v97, v6, v22
	v_lshrrev_b32_e32 v6, 16, v1
	v_and_b32_e32 v0, 0xffff, v1
	;;#ASMSTART
	v_cvt_f32_f16 v0, v0;
	;;#ASMEND
	;;#ASMSTART
	v_cvt_f32_f16 v1, v6;
	;;#ASMEND
	v_and_b32_e32 v6, 0xffff, v93
	v_and_b32_e32 v13, 0xffff, v72
	;;#ASMSTART
	v_cvt_f32_f16 v6, v6;
	;;#ASMEND
	;;#ASMSTART
	v_cvt_f32_f16 v13, v13;
	;;#ASMEND
	v_fmac_f32_e32 v99, v0, v6
	v_fmac_f32_e32 v98, v1, v13
	v_lshrrev_b32_e32 v1, 16, v2
	v_and_b32_e32 v0, 0xffff, v2
	v_and_b32_e32 v2, 0xffff, v63
	;;#ASMSTART
	v_cvt_f32_f16 v0, v0;
	;;#ASMEND
	;;#ASMSTART
	v_cvt_f32_f16 v1, v1;
	;;#ASMEND
	;; [unrolled: 3-line block ×3, first 2 shown]
	v_and_b32_e32 v6, 0xffff, v62
	;;#ASMSTART
	v_cvt_f32_f16 v6, v6;
	;;#ASMEND
	v_fmac_f32_e32 v101, v0, v2
	v_fmac_f32_e32 v100, v1, v6
	v_lshrrev_b32_e32 v1, 16, v3
	v_and_b32_e32 v0, 0xffff, v3
	v_and_b32_e32 v2, 0xffff, v61
	;; [unrolled: 1-line block ×3, first 2 shown]
	;;#ASMSTART
	v_cvt_f32_f16 v0, v0;
	;;#ASMEND
	;;#ASMSTART
	v_cvt_f32_f16 v1, v1;
	;;#ASMEND
	;; [unrolled: 3-line block ×4, first 2 shown]
	v_fmac_f32_e32 v102, v0, v2
	v_fmac_f32_e32 v53, v1, v3
	ds_read_b128 v[0:3], v8 offset:80
	v_and_b32_e32 v13, 0xffff, v55
	s_waitcnt lgkmcnt(0)
	v_lshrrev_b32_e32 v6, 16, v0
	v_and_b32_e32 v0, 0xffff, v0
	;;#ASMSTART
	v_cvt_f32_f16 v0, v0;
	;;#ASMEND
	;;#ASMSTART
	v_cvt_f32_f16 v6, v6;
	;;#ASMEND
	;; [unrolled: 3-line block ×4, first 2 shown]
	v_fmac_f32_e32 v83, v0, v13
	v_fmac_f32_e32 v97, v6, v21
	v_lshrrev_b32_e32 v6, 16, v1
	v_and_b32_e32 v0, 0xffff, v1
	;;#ASMSTART
	v_cvt_f32_f16 v0, v0;
	;;#ASMEND
	;;#ASMSTART
	v_cvt_f32_f16 v1, v6;
	;;#ASMEND
	v_and_b32_e32 v6, 0xffff, v20
	v_and_b32_e32 v13, 0xffff, v94
	;;#ASMSTART
	v_cvt_f32_f16 v6, v6;
	;;#ASMEND
	;;#ASMSTART
	v_cvt_f32_f16 v13, v13;
	;;#ASMEND
	v_fmac_f32_e32 v99, v0, v6
	v_fmac_f32_e32 v98, v1, v13
	v_lshrrev_b32_e32 v1, 16, v2
	v_and_b32_e32 v0, 0xffff, v2
	v_and_b32_e32 v2, 0xffff, v88
	;;#ASMSTART
	v_cvt_f32_f16 v0, v0;
	;;#ASMEND
	;;#ASMSTART
	v_cvt_f32_f16 v1, v1;
	;;#ASMEND
	;; [unrolled: 3-line block ×3, first 2 shown]
	v_and_b32_e32 v6, 0xffff, v79
	;;#ASMSTART
	v_cvt_f32_f16 v6, v6;
	;;#ASMEND
	v_fmac_f32_e32 v101, v0, v2
	v_fmac_f32_e32 v100, v1, v6
	v_lshrrev_b32_e32 v1, 16, v3
	v_and_b32_e32 v0, 0xffff, v3
	v_and_b32_e32 v2, 0xffff, v76
	;; [unrolled: 1-line block ×3, first 2 shown]
	;;#ASMSTART
	v_cvt_f32_f16 v0, v0;
	;;#ASMEND
	;;#ASMSTART
	v_cvt_f32_f16 v1, v1;
	;;#ASMEND
	;; [unrolled: 3-line block ×4, first 2 shown]
	v_fmac_f32_e32 v102, v0, v2
	v_fmac_f32_e32 v53, v1, v3
	ds_read_b128 v[0:3], v8 offset:96
	v_and_b32_e32 v13, 0xffff, v127
	v_and_b32_e32 v18, 0xffff, v122
	s_waitcnt lgkmcnt(0)
	v_lshrrev_b32_e32 v6, 16, v0
	v_and_b32_e32 v0, 0xffff, v0
	;;#ASMSTART
	v_cvt_f32_f16 v0, v0;
	;;#ASMEND
	;;#ASMSTART
	v_cvt_f32_f16 v6, v6;
	;;#ASMEND
	;; [unrolled: 3-line block ×4, first 2 shown]
	v_fmac_f32_e32 v83, v0, v13
	v_fmac_f32_e32 v97, v6, v18
	v_lshrrev_b32_e32 v6, 16, v1
	v_and_b32_e32 v0, 0xffff, v1
	;;#ASMSTART
	v_cvt_f32_f16 v0, v0;
	;;#ASMEND
	;;#ASMSTART
	v_cvt_f32_f16 v1, v6;
	;;#ASMEND
	v_and_b32_e32 v6, 0xffff, v30
	v_and_b32_e32 v13, 0xffff, v80
	;;#ASMSTART
	v_cvt_f32_f16 v6, v6;
	;;#ASMEND
	;;#ASMSTART
	v_cvt_f32_f16 v13, v13;
	;;#ASMEND
	v_fmac_f32_e32 v99, v0, v6
	v_fmac_f32_e32 v98, v1, v13
	v_lshrrev_b32_e32 v1, 16, v2
	v_and_b32_e32 v0, 0xffff, v2
	v_and_b32_e32 v2, 0xffff, v64
	;;#ASMSTART
	v_cvt_f32_f16 v0, v0;
	;;#ASMEND
	;;#ASMSTART
	v_cvt_f32_f16 v1, v1;
	;;#ASMEND
	;; [unrolled: 3-line block ×3, first 2 shown]
	v_and_b32_e32 v6, 0xffff, v37
	;;#ASMSTART
	v_cvt_f32_f16 v6, v6;
	;;#ASMEND
	v_fmac_f32_e32 v101, v0, v2
	v_fmac_f32_e32 v100, v1, v6
	v_lshrrev_b32_e32 v1, 16, v3
	v_and_b32_e32 v0, 0xffff, v3
	v_and_b32_e32 v2, 0xffff, v11
	;; [unrolled: 1-line block ×3, first 2 shown]
	;;#ASMSTART
	v_cvt_f32_f16 v0, v0;
	;;#ASMEND
	;;#ASMSTART
	v_cvt_f32_f16 v1, v1;
	;;#ASMEND
	;; [unrolled: 3-line block ×4, first 2 shown]
	v_fmac_f32_e32 v102, v0, v2
	v_fmac_f32_e32 v53, v1, v3
	ds_read_b128 v[0:3], v8 offset:112
	v_and_b32_e32 v11, 0xffff, v35
	v_and_b32_e32 v13, 0xffff, v38
	s_waitcnt lgkmcnt(0)
	v_lshrrev_b32_e32 v6, 16, v0
	v_and_b32_e32 v0, 0xffff, v0
	;;#ASMSTART
	v_cvt_f32_f16 v0, v0;
	;;#ASMEND
	;;#ASMSTART
	v_cvt_f32_f16 v6, v6;
	;;#ASMEND
	;; [unrolled: 3-line block ×4, first 2 shown]
	v_fmac_f32_e32 v83, v0, v11
	v_fmac_f32_e32 v97, v6, v13
	v_lshrrev_b32_e32 v6, 16, v1
	v_and_b32_e32 v0, 0xffff, v1
	;;#ASMSTART
	v_cvt_f32_f16 v0, v0;
	;;#ASMEND
	;;#ASMSTART
	v_cvt_f32_f16 v1, v6;
	;;#ASMEND
	v_and_b32_e32 v6, 0xffff, v12
	v_and_b32_e32 v11, 0xffff, v15
	;;#ASMSTART
	v_cvt_f32_f16 v6, v6;
	;;#ASMEND
	;;#ASMSTART
	v_cvt_f32_f16 v11, v11;
	;;#ASMEND
	v_fmac_f32_e32 v99, v0, v6
	v_fmac_f32_e32 v98, v1, v11
	v_lshrrev_b32_e32 v1, 16, v2
	v_and_b32_e32 v0, 0xffff, v2
	v_and_b32_e32 v2, 0xffff, v14
	;;#ASMSTART
	v_cvt_f32_f16 v0, v0;
	;;#ASMEND
	;;#ASMSTART
	v_cvt_f32_f16 v1, v1;
	;;#ASMEND
	;; [unrolled: 3-line block ×3, first 2 shown]
	v_and_b32_e32 v6, 0xffff, v19
	;;#ASMSTART
	v_cvt_f32_f16 v6, v6;
	;;#ASMEND
	v_fmac_f32_e32 v101, v0, v2
	v_fmac_f32_e32 v100, v1, v6
	v_lshrrev_b32_e32 v1, 16, v3
	v_and_b32_e32 v0, 0xffff, v3
	v_and_b32_e32 v2, 0xffff, v69
	;; [unrolled: 1-line block ×3, first 2 shown]
	;;#ASMSTART
	v_cvt_f32_f16 v0, v0;
	;;#ASMEND
	;;#ASMSTART
	v_cvt_f32_f16 v1, v1;
	;;#ASMEND
	;; [unrolled: 3-line block ×4, first 2 shown]
	v_fmac_f32_e32 v102, v0, v2
	v_fmac_f32_e32 v53, v1, v3
	ds_read_b128 v[0:3], v8 offset:128
	v_and_b32_e32 v11, 0xffff, v49
	s_waitcnt lgkmcnt(0)
	v_lshrrev_b32_e32 v6, 16, v0
	v_and_b32_e32 v0, 0xffff, v0
	;;#ASMSTART
	v_cvt_f32_f16 v0, v0;
	;;#ASMEND
	;;#ASMSTART
	v_cvt_f32_f16 v6, v6;
	;;#ASMEND
	;; [unrolled: 3-line block ×4, first 2 shown]
	v_fmac_f32_e32 v83, v0, v11
	v_fmac_f32_e32 v97, v6, v10
	v_lshrrev_b32_e32 v6, 16, v1
	v_and_b32_e32 v0, 0xffff, v1
	;;#ASMSTART
	v_cvt_f32_f16 v0, v0;
	;;#ASMEND
	;;#ASMSTART
	v_cvt_f32_f16 v1, v6;
	;;#ASMEND
	v_and_b32_e32 v6, 0xffff, v52
	v_and_b32_e32 v10, 0xffff, v54
	;;#ASMSTART
	v_cvt_f32_f16 v6, v6;
	;;#ASMEND
	;;#ASMSTART
	v_cvt_f32_f16 v10, v10;
	;;#ASMEND
	v_fmac_f32_e32 v99, v0, v6
	v_fmac_f32_e32 v98, v1, v10
	v_lshrrev_b32_e32 v1, 16, v2
	v_and_b32_e32 v0, 0xffff, v2
	v_and_b32_e32 v2, 0xffff, v4
	;;#ASMSTART
	v_cvt_f32_f16 v0, v0;
	;;#ASMEND
	;;#ASMSTART
	v_cvt_f32_f16 v1, v1;
	;;#ASMEND
	;; [unrolled: 3-line block ×3, first 2 shown]
	v_and_b32_e32 v4, 0xffff, v5
	;;#ASMSTART
	v_cvt_f32_f16 v4, v4;
	;;#ASMEND
	v_fmac_f32_e32 v101, v0, v2
	v_fmac_f32_e32 v100, v1, v4
	v_lshrrev_b32_e32 v1, 16, v3
	v_and_b32_e32 v0, 0xffff, v3
	v_and_b32_e32 v2, 0xffff, v126
	;; [unrolled: 1-line block ×3, first 2 shown]
	;;#ASMSTART
	v_cvt_f32_f16 v0, v0;
	;;#ASMEND
	;;#ASMSTART
	v_cvt_f32_f16 v1, v1;
	;;#ASMEND
	;; [unrolled: 3-line block ×4, first 2 shown]
	v_fmac_f32_e32 v102, v0, v2
	v_fmac_f32_e32 v53, v1, v3
	ds_read_b128 v[0:3], v8 offset:144
	v_and_b32_e32 v5, 0xffff, v124
	v_and_b32_e32 v6, 0xffff, v123
	s_waitcnt lgkmcnt(0)
	v_lshrrev_b32_e32 v4, 16, v0
	v_and_b32_e32 v0, 0xffff, v0
	;;#ASMSTART
	v_cvt_f32_f16 v0, v0;
	;;#ASMEND
	;;#ASMSTART
	v_cvt_f32_f16 v4, v4;
	;;#ASMEND
	;; [unrolled: 3-line block ×4, first 2 shown]
	v_fmac_f32_e32 v83, v0, v5
	v_fmac_f32_e32 v97, v4, v6
	v_lshrrev_b32_e32 v4, 16, v1
	v_and_b32_e32 v0, 0xffff, v1
	;;#ASMSTART
	v_cvt_f32_f16 v0, v0;
	;;#ASMEND
	;;#ASMSTART
	v_cvt_f32_f16 v1, v4;
	;;#ASMEND
	v_and_b32_e32 v4, 0xffff, v121
	v_and_b32_e32 v5, 0xffff, v120
	;;#ASMSTART
	v_cvt_f32_f16 v4, v4;
	;;#ASMEND
	;;#ASMSTART
	v_cvt_f32_f16 v5, v5;
	;;#ASMEND
	v_fmac_f32_e32 v99, v0, v4
	v_fmac_f32_e32 v98, v1, v5
	v_lshrrev_b32_e32 v1, 16, v2
	v_and_b32_e32 v0, 0xffff, v2
	v_and_b32_e32 v2, 0xffff, v110
	;;#ASMSTART
	v_cvt_f32_f16 v0, v0;
	;;#ASMEND
	;;#ASMSTART
	v_cvt_f32_f16 v1, v1;
	;;#ASMEND
	;; [unrolled: 3-line block ×3, first 2 shown]
	v_and_b32_e32 v4, 0xffff, v109
	;;#ASMSTART
	v_cvt_f32_f16 v4, v4;
	;;#ASMEND
	v_fmac_f32_e32 v101, v0, v2
	v_fmac_f32_e32 v100, v1, v4
	v_lshrrev_b32_e32 v1, 16, v3
	v_and_b32_e32 v0, 0xffff, v3
	v_and_b32_e32 v2, 0xffff, v106
	;; [unrolled: 1-line block ×3, first 2 shown]
	;;#ASMSTART
	v_cvt_f32_f16 v0, v0;
	;;#ASMEND
	;;#ASMSTART
	v_cvt_f32_f16 v1, v1;
	;;#ASMEND
	;; [unrolled: 3-line block ×4, first 2 shown]
	v_fmac_f32_e32 v102, v0, v2
	v_fmac_f32_e32 v53, v1, v3
	ds_read_b128 v[0:3], v8 offset:160
	v_and_b32_e32 v5, 0xffff, v104
	v_and_b32_e32 v6, 0xffff, v95
	s_waitcnt lgkmcnt(0)
	v_lshrrev_b32_e32 v4, 16, v0
	v_and_b32_e32 v0, 0xffff, v0
	;;#ASMSTART
	v_cvt_f32_f16 v0, v0;
	;;#ASMEND
	;;#ASMSTART
	v_cvt_f32_f16 v4, v4;
	;;#ASMEND
	;;#ASMSTART
	v_cvt_f32_f16 v5, v5;
	;;#ASMEND
	;;#ASMSTART
	v_cvt_f32_f16 v6, v6;
	;;#ASMEND
	v_fmac_f32_e32 v83, v0, v5
	v_fmac_f32_e32 v97, v4, v6
	v_lshrrev_b32_e32 v4, 16, v1
	v_and_b32_e32 v0, 0xffff, v1
	;;#ASMSTART
	v_cvt_f32_f16 v0, v0;
	;;#ASMEND
	;;#ASMSTART
	v_cvt_f32_f16 v1, v4;
	;;#ASMEND
	v_and_b32_e32 v4, 0xffff, v92
	v_and_b32_e32 v5, 0xffff, v91
	;;#ASMSTART
	v_cvt_f32_f16 v4, v4;
	;;#ASMEND
	;;#ASMSTART
	v_cvt_f32_f16 v5, v5;
	;;#ASMEND
	v_fmac_f32_e32 v99, v0, v4
	v_fmac_f32_e32 v98, v1, v5
	v_lshrrev_b32_e32 v1, 16, v2
	v_and_b32_e32 v0, 0xffff, v2
	v_and_b32_e32 v2, 0xffff, v90
	;;#ASMSTART
	v_cvt_f32_f16 v0, v0;
	;;#ASMEND
	;;#ASMSTART
	v_cvt_f32_f16 v1, v1;
	;;#ASMEND
	;;#ASMSTART
	v_cvt_f32_f16 v2, v2;
	;;#ASMEND
	v_and_b32_e32 v4, 0xffff, v89
	;;#ASMSTART
	v_cvt_f32_f16 v4, v4;
	;;#ASMEND
	v_fmac_f32_e32 v101, v0, v2
	v_fmac_f32_e32 v100, v1, v4
	v_lshrrev_b32_e32 v1, 16, v3
	v_and_b32_e32 v0, 0xffff, v3
	v_and_b32_e32 v2, 0xffff, v78
	;; [unrolled: 1-line block ×3, first 2 shown]
	;;#ASMSTART
	v_cvt_f32_f16 v0, v0;
	;;#ASMEND
	;;#ASMSTART
	v_cvt_f32_f16 v1, v1;
	;;#ASMEND
	;; [unrolled: 3-line block ×4, first 2 shown]
	v_fmac_f32_e32 v102, v0, v2
	v_fmac_f32_e32 v53, v1, v3
	ds_read_b128 v[0:3], v8 offset:176
	v_and_b32_e32 v5, 0xffff, v96
	v_and_b32_e32 v6, 0xffff, v87
	s_waitcnt lgkmcnt(0)
	v_lshrrev_b32_e32 v4, 16, v0
	v_and_b32_e32 v0, 0xffff, v0
	;;#ASMSTART
	v_cvt_f32_f16 v0, v0;
	;;#ASMEND
	;;#ASMSTART
	v_cvt_f32_f16 v4, v4;
	;;#ASMEND
	;; [unrolled: 3-line block ×4, first 2 shown]
	v_fmac_f32_e32 v83, v0, v5
	v_fmac_f32_e32 v97, v4, v6
	v_lshrrev_b32_e32 v4, 16, v1
	v_and_b32_e32 v0, 0xffff, v1
	;;#ASMSTART
	v_cvt_f32_f16 v0, v0;
	;;#ASMEND
	;;#ASMSTART
	v_cvt_f32_f16 v1, v4;
	;;#ASMEND
	v_and_b32_e32 v4, 0xffff, v86
	v_and_b32_e32 v5, 0xffff, v85
	;;#ASMSTART
	v_cvt_f32_f16 v4, v4;
	;;#ASMEND
	;;#ASMSTART
	v_cvt_f32_f16 v5, v5;
	;;#ASMEND
	v_fmac_f32_e32 v99, v0, v4
	v_fmac_f32_e32 v98, v1, v5
	v_lshrrev_b32_e32 v1, 16, v2
	v_and_b32_e32 v0, 0xffff, v2
	;;#ASMSTART
	v_cvt_f32_f16 v0, v0;
	;;#ASMEND
	;;#ASMSTART
	v_cvt_f32_f16 v1, v1;
	;;#ASMEND
	v_and_b32_e32 v2, 0xffff, v84
	v_and_b32_e32 v4, 0xffff, v34
	;;#ASMSTART
	v_cvt_f32_f16 v2, v2;
	;;#ASMEND
	;;#ASMSTART
	v_cvt_f32_f16 v4, v4;
	;;#ASMEND
	;; [unrolled: 18-line block ×3, first 2 shown]
	v_fmac_f32_e32 v53, v1, v3
	s_clause 0x1
	buffer_load_dword v1, off, s[0:3], s32 offset:248
	buffer_load_dword v13, off, s[0:3], s32 offset:232
	v_fmac_f32_e32 v102, v0, v2
	v_add_f32_e32 v0, v83, v97
	v_add_f32_e32 v0, v0, v99
	;; [unrolled: 1-line block ×7, first 2 shown]
	s_waitcnt vmcnt(1)
	v_fmac_f32_e32 v7, v1, v0
	v_cndmask_b32_e64 v0, 0, v7, s5
	ds_write_b32 v31, v0
	s_waitcnt vmcnt(0)
	v_max_f32_e32 v0, v13, v13
	v_max_f32_e32 v0, v0, v7
	v_cndmask_b32_e64 v13, v13, v0, s5
.LBB304_15:                             ;   in Loop: Header=BB304_16 Depth=1
	s_or_b32 exec_lo, exec_lo, s6
	buffer_load_dword v0, off, s[0:3], s32 offset:212 ; 4-byte Folded Reload
	v_add_nc_u32_e32 v82, 4, v82
	v_add_co_u32 v28, s6, v28, 16
	v_add_co_ci_u32_e64 v29, null, 0, v29, s6
	v_add_nc_u32_e32 v9, 0x80, v9
	v_add_nc_u32_e32 v67, 0x200, v67
	s_waitcnt vmcnt(0)
	v_cmp_ge_i32_e64 s5, v82, v0
	s_or_b32 s24, s5, s24
	s_andn2_b32 exec_lo, exec_lo, s24
	s_cbranch_execz .LBB304_784
.LBB304_16:                             ; =>This Inner Loop Header: Depth=1
	s_clause 0x1
	buffer_load_dword v1, off, s[0:3], s32 offset:216
	buffer_load_dword v4, off, s[0:3], s32 offset:208
	v_sub_nc_u32_e32 v0, 0, v9
	v_max_i32_e32 v0, v9, v0
	s_waitcnt vmcnt(1)
	v_mul_hi_u32 v1, v0, v1
	v_mul_lo_u32 v2, v1, v39
	v_sub_nc_u32_e32 v0, v0, v2
	v_add_nc_u32_e32 v2, 1, v1
	v_sub_nc_u32_e32 v3, v0, v39
	v_cmp_ge_u32_e64 s5, v0, v39
	v_cndmask_b32_e64 v1, v1, v2, s5
	v_cndmask_b32_e64 v0, v0, v3, s5
	v_ashrrev_i32_e32 v2, 31, v9
	v_add_nc_u32_e32 v3, 1, v1
	v_cmp_ge_u32_e64 s5, v0, v39
	s_waitcnt vmcnt(0)
	v_xor_b32_e32 v2, v2, v4
	v_cndmask_b32_e64 v0, v1, v3, s5
	v_xor_b32_e32 v0, v0, v2
	v_sub_nc_u32_e32 v0, v0, v2
	s_clause 0x2
	buffer_load_dword v1, off, s[0:3], s32 offset:200
	buffer_load_dword v2, off, s[0:3], s32 offset:204
	;; [unrolled: 1-line block ×3, first 2 shown]
	s_waitcnt vmcnt(2)
	v_add_nc_u32_e32 v1, v0, v1
	s_waitcnt vmcnt(1)
	v_sub_nc_u32_e32 v2, 0, v1
	v_max_i32_e32 v2, v1, v2
	v_ashrrev_i32_e32 v1, 31, v1
	s_waitcnt vmcnt(0)
	v_mul_hi_u32 v3, v2, v3
	v_mul_lo_u32 v3, v3, v66
	v_sub_nc_u32_e32 v2, v2, v3
	v_sub_nc_u32_e32 v3, v2, v66
	v_cmp_ge_u32_e64 s5, v2, v66
	v_cndmask_b32_e64 v2, v2, v3, s5
	v_sub_nc_u32_e32 v3, v2, v66
	v_cmp_ge_u32_e64 s5, v2, v66
	v_cndmask_b32_e64 v2, v2, v3, s5
	v_xor_b32_e32 v2, v2, v1
	v_sub_nc_u32_e32 v1, v2, v1
	v_cmp_ne_u32_e64 s5, 0, v1
	buffer_load_dword v1, off, s[0:3], s32 offset:220 ; 4-byte Folded Reload
	s_waitcnt vmcnt(0)
	v_cmp_le_i32_e64 s6, v0, v1
	s_and_b32 s5, s5, s6
	s_and_saveexec_b32 s6, s5
	s_xor_b32 s5, exec_lo, s6
	s_cbranch_execz .LBB304_18
; %bb.17:                               ;   in Loop: Header=BB304_16 Depth=1
	s_waitcnt lgkmcnt(0)
	v_add_nc_u32_e32 v0, s17, v67
	v_mov_b32_e32 v1, 0xff7fffff
	ds_write_b32 v0, v1
.LBB304_18:                             ;   in Loop: Header=BB304_16 Depth=1
	s_andn2_saveexec_b32 s6, s5
	s_cbranch_execz .LBB304_15
; %bb.19:                               ;   in Loop: Header=BB304_16 Depth=1
	buffer_store_dword v13, off, s[0:3], s32 offset:232 ; 4-byte Folded Spill
	flat_load_dword v0, v[28:29]
	s_clause 0x2
	buffer_load_dword v1, off, s[0:3], s32 offset:224
	buffer_load_dword v2, off, s[0:3], s32 offset:256
	;; [unrolled: 1-line block ×3, first 2 shown]
	v_mov_b32_e32 v84, 0
	v_mov_b32_e32 v85, 0
	s_waitcnt vmcnt(0) lgkmcnt(0)
	v_mad_i64_i32 v[31:32], null, v0, v1, v[2:3]
	flat_load_dwordx2 v[33:34], v[31:32]
	s_clause 0x1
	buffer_load_dword v0, off, s[0:3], s32 offset:240
	buffer_load_dword v1, off, s[0:3], s32 offset:244
	s_waitcnt vmcnt(2) lgkmcnt(0)
	v_cmp_ne_u16_sdwa s5, v33, v8 src0_sel:BYTE_0 src1_sel:DWORD
	s_waitcnt vmcnt(0)
	flat_load_dword v83, v[0:1]
	s_and_saveexec_b32 s25, s5
	s_cbranch_execz .LBB304_27
; %bb.20:                               ;   in Loop: Header=BB304_16 Depth=1
	v_cmp_ne_u16_sdwa s5, v33, v68 src0_sel:BYTE_0 src1_sel:DWORD
	v_mov_b32_e32 v85, 0x8000
	s_and_saveexec_b32 s26, s5
	s_cbranch_execz .LBB304_26
; %bb.21:                               ;   in Loop: Header=BB304_16 Depth=1
	v_and_b32_e32 v2, 0x7f, v33
	v_mov_b32_e32 v85, 0x7c01
	s_mov_b32 s27, exec_lo
	v_cmpx_ne_u32_e32 0x7f, v2
	s_cbranch_execz .LBB304_25
; %bb.22:                               ;   in Loop: Header=BB304_16 Depth=1
	v_and_b32_e32 v0, 7, v33
	v_lshrrev_b32_e32 v1, 3, v2
	s_mov_b32 s28, exec_lo
	v_cmpx_gt_u32_e32 8, v2
; %bb.23:                               ;   in Loop: Header=BB304_16 Depth=1
	v_ffbh_u32_e32 v0, v0
	v_min_u32_e32 v2, 32, v0
	v_subrev_nc_u32_e32 v0, 28, v2
	v_lshlrev_b64 v[0:1], v0, v[33:34]
	v_sub_nc_u32_e32 v1, 29, v2
	v_and_b32_e32 v0, 7, v0
; %bb.24:                               ;   in Loop: Header=BB304_16 Depth=1
	s_or_b32 exec_lo, exec_lo, s28
	v_lshlrev_b32_e32 v2, 8, v33
	v_lshl_add_u32 v1, v1, 10, 0x2000
	v_lshlrev_b32_e32 v0, 7, v0
	v_and_b32_e32 v2, 0x8000, v2
	v_and_b32_e32 v1, 0xfc00, v1
	v_or3_b32 v85, v2, v1, v0
.LBB304_25:                             ;   in Loop: Header=BB304_16 Depth=1
	s_or_b32 exec_lo, exec_lo, s27
.LBB304_26:                             ;   in Loop: Header=BB304_16 Depth=1
	s_or_b32 exec_lo, exec_lo, s26
.LBB304_27:                             ;   in Loop: Header=BB304_16 Depth=1
	s_or_b32 exec_lo, exec_lo, s25
	v_lshrrev_b16 v7, 8, v33
	s_mov_b32 s25, exec_lo
	v_cmpx_ne_u16_e32 0, v7
	s_cbranch_execz .LBB304_35
; %bb.28:                               ;   in Loop: Header=BB304_16 Depth=1
	v_bfrev_b32_e32 v84, 1
	s_mov_b32 s26, exec_lo
	v_cmpx_ne_u16_e32 0x80, v7
	s_cbranch_execz .LBB304_34
; %bb.29:                               ;   in Loop: Header=BB304_16 Depth=1
	v_mov_b32_e32 v0, 0x7f
	v_mov_b32_e32 v84, 0x7c010000
	s_mov_b32 s27, exec_lo
	v_and_b32_sdwa v2, v7, v0 dst_sel:DWORD dst_unused:UNUSED_PAD src0_sel:WORD_0 src1_sel:DWORD
	v_cmpx_ne_u32_e32 0x7f, v2
	s_cbranch_execz .LBB304_33
; %bb.30:                               ;   in Loop: Header=BB304_16 Depth=1
	v_mov_b32_e32 v0, 7
	v_lshrrev_b32_e32 v1, 3, v2
	s_mov_b32 s28, exec_lo
	v_and_b32_sdwa v0, v7, v0 dst_sel:DWORD dst_unused:UNUSED_PAD src0_sel:WORD_0 src1_sel:DWORD
	v_cmpx_gt_u32_e32 8, v2
; %bb.31:                               ;   in Loop: Header=BB304_16 Depth=1
	v_ffbh_u32_e32 v0, v0
	v_min_u32_e32 v2, 32, v0
	v_subrev_nc_u32_e32 v0, 28, v2
	v_lshlrev_b64 v[0:1], v0, v[7:8]
	v_sub_nc_u32_e32 v1, 29, v2
	v_and_b32_e32 v0, 7, v0
; %bb.32:                               ;   in Loop: Header=BB304_16 Depth=1
	s_or_b32 exec_lo, exec_lo, s28
	v_mov_b32_e32 v2, 8
	v_lshl_add_u32 v1, v1, 10, 0x2000
	v_lshlrev_b32_e32 v0, 23, v0
	v_lshlrev_b32_sdwa v2, v2, v7 dst_sel:DWORD dst_unused:UNUSED_PAD src0_sel:DWORD src1_sel:WORD_0
	v_and_or_b32 v1, 0x8000, v2, v1
	v_lshl_or_b32 v84, v1, 16, v0
.LBB304_33:                             ;   in Loop: Header=BB304_16 Depth=1
	s_or_b32 exec_lo, exec_lo, s27
.LBB304_34:                             ;   in Loop: Header=BB304_16 Depth=1
	s_or_b32 exec_lo, exec_lo, s26
.LBB304_35:                             ;   in Loop: Header=BB304_16 Depth=1
	s_or_b32 exec_lo, exec_lo, s25
	v_lshrrev_b32_e32 v7, 16, v33
	v_mov_b32_e32 v86, 0
	v_mov_b32_e32 v87, 0
	v_cmp_ne_u16_sdwa s5, v7, v8 src0_sel:BYTE_0 src1_sel:DWORD
	s_and_saveexec_b32 s25, s5
	s_cbranch_execz .LBB304_43
; %bb.36:                               ;   in Loop: Header=BB304_16 Depth=1
	v_cmp_ne_u16_sdwa s5, v7, v68 src0_sel:BYTE_0 src1_sel:DWORD
	v_mov_b32_e32 v87, 0x8000
	s_and_saveexec_b32 s26, s5
	s_cbranch_execz .LBB304_42
; %bb.37:                               ;   in Loop: Header=BB304_16 Depth=1
	v_bfe_u32 v2, v33, 16, 7
	v_mov_b32_e32 v87, 0x7c01
	s_mov_b32 s27, exec_lo
	v_cmpx_ne_u32_e32 0x7f, v2
	s_cbranch_execz .LBB304_41
; %bb.38:                               ;   in Loop: Header=BB304_16 Depth=1
	v_and_b32_e32 v0, 7, v7
	v_lshrrev_b32_e32 v1, 3, v2
	s_mov_b32 s28, exec_lo
	v_cmpx_gt_u32_e32 8, v2
; %bb.39:                               ;   in Loop: Header=BB304_16 Depth=1
	v_ffbh_u32_e32 v0, v0
	v_min_u32_e32 v2, 32, v0
	v_subrev_nc_u32_e32 v0, 28, v2
	v_lshlrev_b64 v[0:1], v0, v[7:8]
	v_sub_nc_u32_e32 v1, 29, v2
	v_and_b32_e32 v0, 7, v0
; %bb.40:                               ;   in Loop: Header=BB304_16 Depth=1
	s_or_b32 exec_lo, exec_lo, s28
	v_lshlrev_b32_e32 v2, 8, v7
	v_lshl_add_u32 v1, v1, 10, 0x2000
	v_lshlrev_b32_e32 v0, 7, v0
	v_and_b32_e32 v2, 0x8000, v2
	v_and_b32_e32 v1, 0xfc00, v1
	v_or3_b32 v87, v2, v1, v0
.LBB304_41:                             ;   in Loop: Header=BB304_16 Depth=1
	s_or_b32 exec_lo, exec_lo, s27
.LBB304_42:                             ;   in Loop: Header=BB304_16 Depth=1
	s_or_b32 exec_lo, exec_lo, s26
.LBB304_43:                             ;   in Loop: Header=BB304_16 Depth=1
	s_or_b32 exec_lo, exec_lo, s25
	s_mov_b32 s25, exec_lo
	v_cmpx_lt_u32_e32 0xffffff, v33
	s_cbranch_execz .LBB304_51
; %bb.44:                               ;   in Loop: Header=BB304_16 Depth=1
	v_lshrrev_b32_e32 v7, 24, v33
	v_bfrev_b32_e32 v86, 1
	s_mov_b32 s26, exec_lo
	v_cmpx_ne_u32_e32 0x80, v7
	s_cbranch_execz .LBB304_50
; %bb.45:                               ;   in Loop: Header=BB304_16 Depth=1
	v_and_b32_e32 v2, 0x7f, v7
	v_mov_b32_e32 v86, 0x7c010000
	s_mov_b32 s27, exec_lo
	v_cmpx_ne_u32_e32 0x7f, v2
	s_cbranch_execz .LBB304_49
; %bb.46:                               ;   in Loop: Header=BB304_16 Depth=1
	v_and_b32_e32 v0, 7, v7
	v_lshrrev_b32_e32 v1, 3, v2
	s_mov_b32 s28, exec_lo
	v_cmpx_gt_u32_e32 8, v2
; %bb.47:                               ;   in Loop: Header=BB304_16 Depth=1
	v_ffbh_u32_e32 v0, v0
	v_min_u32_e32 v2, 32, v0
	v_subrev_nc_u32_e32 v0, 28, v2
	v_lshlrev_b64 v[0:1], v0, v[7:8]
	v_sub_nc_u32_e32 v1, 29, v2
	v_and_b32_e32 v0, 7, v0
; %bb.48:                               ;   in Loop: Header=BB304_16 Depth=1
	s_or_b32 exec_lo, exec_lo, s28
	v_lshlrev_b32_e32 v2, 8, v7
	v_lshl_add_u32 v1, v1, 10, 0x2000
	v_lshlrev_b32_e32 v0, 23, v0
	v_and_or_b32 v1, 0x8000, v2, v1
	v_lshl_or_b32 v86, v1, 16, v0
.LBB304_49:                             ;   in Loop: Header=BB304_16 Depth=1
	s_or_b32 exec_lo, exec_lo, s27
.LBB304_50:                             ;   in Loop: Header=BB304_16 Depth=1
	s_or_b32 exec_lo, exec_lo, s26
.LBB304_51:                             ;   in Loop: Header=BB304_16 Depth=1
	s_or_b32 exec_lo, exec_lo, s25
	v_mov_b32_e32 v7, v34
	v_cmp_ne_u16_sdwa s5, v34, v8 src0_sel:BYTE_0 src1_sel:DWORD
	v_mov_b32_e32 v96, 0
	v_mov_b32_e32 v97, 0
	s_and_saveexec_b32 s25, s5
	s_cbranch_execz .LBB304_59
; %bb.52:                               ;   in Loop: Header=BB304_16 Depth=1
	v_cmp_ne_u16_sdwa s5, v34, v68 src0_sel:BYTE_0 src1_sel:DWORD
	v_mov_b32_e32 v97, 0x8000
	s_and_saveexec_b32 s26, s5
	s_cbranch_execz .LBB304_58
; %bb.53:                               ;   in Loop: Header=BB304_16 Depth=1
	v_and_b32_e32 v2, 0x7f, v34
	v_mov_b32_e32 v97, 0x7c01
	s_mov_b32 s27, exec_lo
	v_cmpx_ne_u32_e32 0x7f, v2
	s_cbranch_execz .LBB304_57
; %bb.54:                               ;   in Loop: Header=BB304_16 Depth=1
	v_and_b32_e32 v0, 7, v34
	v_lshrrev_b32_e32 v1, 3, v2
	s_mov_b32 s28, exec_lo
	v_cmpx_gt_u32_e32 8, v2
; %bb.55:                               ;   in Loop: Header=BB304_16 Depth=1
	v_ffbh_u32_e32 v0, v0
	v_min_u32_e32 v2, 32, v0
	v_subrev_nc_u32_e32 v0, 28, v2
	v_lshlrev_b64 v[0:1], v0, v[7:8]
	v_sub_nc_u32_e32 v1, 29, v2
	v_and_b32_e32 v0, 7, v0
; %bb.56:                               ;   in Loop: Header=BB304_16 Depth=1
	s_or_b32 exec_lo, exec_lo, s28
	v_lshlrev_b32_e32 v2, 8, v34
	v_lshl_add_u32 v1, v1, 10, 0x2000
	v_lshlrev_b32_e32 v0, 7, v0
	v_and_b32_e32 v2, 0x8000, v2
	v_and_b32_e32 v1, 0xfc00, v1
	v_or3_b32 v97, v2, v1, v0
.LBB304_57:                             ;   in Loop: Header=BB304_16 Depth=1
	s_or_b32 exec_lo, exec_lo, s27
.LBB304_58:                             ;   in Loop: Header=BB304_16 Depth=1
	s_or_b32 exec_lo, exec_lo, s26
.LBB304_59:                             ;   in Loop: Header=BB304_16 Depth=1
	s_or_b32 exec_lo, exec_lo, s25
	v_lshrrev_b16 v7, 8, v7
	v_mov_b32_e32 v98, 0
	s_mov_b32 s25, exec_lo
	v_cmpx_ne_u16_e32 0, v7
	s_cbranch_execz .LBB304_67
; %bb.60:                               ;   in Loop: Header=BB304_16 Depth=1
	v_bfrev_b32_e32 v98, 1
	s_mov_b32 s26, exec_lo
	v_cmpx_ne_u16_e32 0x80, v7
	s_cbranch_execz .LBB304_66
; %bb.61:                               ;   in Loop: Header=BB304_16 Depth=1
	v_mov_b32_e32 v0, 0x7f
	v_mov_b32_e32 v98, 0x7c010000
	s_mov_b32 s27, exec_lo
	v_and_b32_sdwa v2, v7, v0 dst_sel:DWORD dst_unused:UNUSED_PAD src0_sel:WORD_0 src1_sel:DWORD
	v_cmpx_ne_u32_e32 0x7f, v2
	s_cbranch_execz .LBB304_65
; %bb.62:                               ;   in Loop: Header=BB304_16 Depth=1
	v_mov_b32_e32 v0, 7
	v_lshrrev_b32_e32 v1, 3, v2
	s_mov_b32 s28, exec_lo
	v_and_b32_sdwa v0, v7, v0 dst_sel:DWORD dst_unused:UNUSED_PAD src0_sel:WORD_0 src1_sel:DWORD
	v_cmpx_gt_u32_e32 8, v2
; %bb.63:                               ;   in Loop: Header=BB304_16 Depth=1
	v_ffbh_u32_e32 v0, v0
	v_min_u32_e32 v2, 32, v0
	v_subrev_nc_u32_e32 v0, 28, v2
	v_lshlrev_b64 v[0:1], v0, v[7:8]
	v_sub_nc_u32_e32 v1, 29, v2
	v_and_b32_e32 v0, 7, v0
; %bb.64:                               ;   in Loop: Header=BB304_16 Depth=1
	s_or_b32 exec_lo, exec_lo, s28
	v_mov_b32_e32 v2, 8
	v_lshl_add_u32 v1, v1, 10, 0x2000
	v_lshlrev_b32_e32 v0, 23, v0
	v_lshlrev_b32_sdwa v2, v2, v7 dst_sel:DWORD dst_unused:UNUSED_PAD src0_sel:DWORD src1_sel:WORD_0
	v_and_or_b32 v1, 0x8000, v2, v1
	v_lshl_or_b32 v98, v1, 16, v0
.LBB304_65:                             ;   in Loop: Header=BB304_16 Depth=1
	s_or_b32 exec_lo, exec_lo, s27
.LBB304_66:                             ;   in Loop: Header=BB304_16 Depth=1
	s_or_b32 exec_lo, exec_lo, s26
.LBB304_67:                             ;   in Loop: Header=BB304_16 Depth=1
	s_or_b32 exec_lo, exec_lo, s25
	v_lshrrev_b32_e32 v7, 16, v34
	v_cmp_ne_u16_sdwa s5, v7, v8 src0_sel:BYTE_0 src1_sel:DWORD
	s_and_saveexec_b32 s25, s5
	s_cbranch_execz .LBB304_75
; %bb.68:                               ;   in Loop: Header=BB304_16 Depth=1
	v_cmp_ne_u16_sdwa s5, v7, v68 src0_sel:BYTE_0 src1_sel:DWORD
	v_mov_b32_e32 v96, 0x8000
	s_and_saveexec_b32 s26, s5
	s_cbranch_execz .LBB304_74
; %bb.69:                               ;   in Loop: Header=BB304_16 Depth=1
	v_bfe_u32 v2, v34, 16, 7
	v_mov_b32_e32 v96, 0x7c01
	s_mov_b32 s27, exec_lo
	v_cmpx_ne_u32_e32 0x7f, v2
	s_cbranch_execz .LBB304_73
; %bb.70:                               ;   in Loop: Header=BB304_16 Depth=1
	v_and_b32_e32 v0, 7, v7
	v_lshrrev_b32_e32 v1, 3, v2
	s_mov_b32 s28, exec_lo
	v_cmpx_gt_u32_e32 8, v2
; %bb.71:                               ;   in Loop: Header=BB304_16 Depth=1
	v_ffbh_u32_e32 v0, v0
	v_min_u32_e32 v2, 32, v0
	v_subrev_nc_u32_e32 v0, 28, v2
	v_lshlrev_b64 v[0:1], v0, v[7:8]
	v_sub_nc_u32_e32 v1, 29, v2
	v_and_b32_e32 v0, 7, v0
; %bb.72:                               ;   in Loop: Header=BB304_16 Depth=1
	s_or_b32 exec_lo, exec_lo, s28
	v_lshlrev_b32_e32 v2, 8, v7
	v_lshl_add_u32 v1, v1, 10, 0x2000
	v_lshlrev_b32_e32 v0, 7, v0
	v_and_b32_e32 v2, 0x8000, v2
	v_and_b32_e32 v1, 0xfc00, v1
	v_or3_b32 v96, v2, v1, v0
.LBB304_73:                             ;   in Loop: Header=BB304_16 Depth=1
	s_or_b32 exec_lo, exec_lo, s27
.LBB304_74:                             ;   in Loop: Header=BB304_16 Depth=1
	s_or_b32 exec_lo, exec_lo, s26
.LBB304_75:                             ;   in Loop: Header=BB304_16 Depth=1
	s_or_b32 exec_lo, exec_lo, s25
	v_mov_b32_e32 v100, 0
	v_mov_b32_e32 v99, 0
	s_mov_b32 s25, exec_lo
	v_cmpx_lt_u64_e64 s[20:21], v[33:34]
	s_cbranch_execz .LBB304_83
; %bb.76:                               ;   in Loop: Header=BB304_16 Depth=1
	v_lshrrev_b32_e32 v7, 24, v34
	v_bfrev_b32_e32 v99, 1
	s_mov_b32 s26, exec_lo
	v_cmpx_ne_u32_e32 0x80, v7
	s_cbranch_execz .LBB304_82
; %bb.77:                               ;   in Loop: Header=BB304_16 Depth=1
	v_and_b32_e32 v2, 0x7f, v7
	v_mov_b32_e32 v99, 0x7c010000
	s_mov_b32 s27, exec_lo
	v_cmpx_ne_u32_e32 0x7f, v2
	s_cbranch_execz .LBB304_81
; %bb.78:                               ;   in Loop: Header=BB304_16 Depth=1
	v_and_b32_e32 v0, 7, v7
	v_lshrrev_b32_e32 v1, 3, v2
	s_mov_b32 s28, exec_lo
	v_cmpx_gt_u32_e32 8, v2
; %bb.79:                               ;   in Loop: Header=BB304_16 Depth=1
	v_ffbh_u32_e32 v0, v0
	v_min_u32_e32 v2, 32, v0
	v_subrev_nc_u32_e32 v0, 28, v2
	v_lshlrev_b64 v[0:1], v0, v[7:8]
	v_sub_nc_u32_e32 v1, 29, v2
	v_and_b32_e32 v0, 7, v0
; %bb.80:                               ;   in Loop: Header=BB304_16 Depth=1
	s_or_b32 exec_lo, exec_lo, s28
	v_lshlrev_b32_e32 v2, 8, v7
	v_lshl_add_u32 v1, v1, 10, 0x2000
	v_lshlrev_b32_e32 v0, 23, v0
	v_and_or_b32 v1, 0x8000, v2, v1
	v_lshl_or_b32 v99, v1, 16, v0
.LBB304_81:                             ;   in Loop: Header=BB304_16 Depth=1
	s_or_b32 exec_lo, exec_lo, s27
.LBB304_82:                             ;   in Loop: Header=BB304_16 Depth=1
	s_or_b32 exec_lo, exec_lo, s26
.LBB304_83:                             ;   in Loop: Header=BB304_16 Depth=1
	s_or_b32 exec_lo, exec_lo, s25
	flat_load_dwordx2 v[33:34], v[31:32] offset:8
	s_waitcnt vmcnt(0) lgkmcnt(0)
	v_cmp_ne_u16_sdwa s5, v33, v8 src0_sel:BYTE_0 src1_sel:DWORD
	s_and_saveexec_b32 s25, s5
	s_cbranch_execz .LBB304_91
; %bb.84:                               ;   in Loop: Header=BB304_16 Depth=1
	v_cmp_ne_u16_sdwa s5, v33, v68 src0_sel:BYTE_0 src1_sel:DWORD
	v_mov_b32_e32 v100, 0x8000
	s_and_saveexec_b32 s26, s5
	s_cbranch_execz .LBB304_90
; %bb.85:                               ;   in Loop: Header=BB304_16 Depth=1
	v_and_b32_e32 v2, 0x7f, v33
	v_mov_b32_e32 v100, 0x7c01
	s_mov_b32 s27, exec_lo
	v_cmpx_ne_u32_e32 0x7f, v2
	s_cbranch_execz .LBB304_89
; %bb.86:                               ;   in Loop: Header=BB304_16 Depth=1
	v_and_b32_e32 v0, 7, v33
	v_lshrrev_b32_e32 v1, 3, v2
	s_mov_b32 s28, exec_lo
	v_cmpx_gt_u32_e32 8, v2
; %bb.87:                               ;   in Loop: Header=BB304_16 Depth=1
	v_ffbh_u32_e32 v0, v0
	v_min_u32_e32 v2, 32, v0
	v_subrev_nc_u32_e32 v0, 28, v2
	v_lshlrev_b64 v[0:1], v0, v[33:34]
	v_sub_nc_u32_e32 v1, 29, v2
	v_and_b32_e32 v0, 7, v0
; %bb.88:                               ;   in Loop: Header=BB304_16 Depth=1
	s_or_b32 exec_lo, exec_lo, s28
	v_lshlrev_b32_e32 v2, 8, v33
	v_lshl_add_u32 v1, v1, 10, 0x2000
	v_lshlrev_b32_e32 v0, 7, v0
	v_and_b32_e32 v2, 0x8000, v2
	v_and_b32_e32 v1, 0xfc00, v1
	v_or3_b32 v100, v2, v1, v0
.LBB304_89:                             ;   in Loop: Header=BB304_16 Depth=1
	s_or_b32 exec_lo, exec_lo, s27
.LBB304_90:                             ;   in Loop: Header=BB304_16 Depth=1
	s_or_b32 exec_lo, exec_lo, s26
.LBB304_91:                             ;   in Loop: Header=BB304_16 Depth=1
	s_or_b32 exec_lo, exec_lo, s25
	v_lshrrev_b16 v7, 8, v33
	v_mov_b32_e32 v102, 0
	v_mov_b32_e32 v101, 0
	s_mov_b32 s25, exec_lo
	v_cmpx_ne_u16_e32 0, v7
	s_cbranch_execz .LBB304_99
; %bb.92:                               ;   in Loop: Header=BB304_16 Depth=1
	v_bfrev_b32_e32 v101, 1
	s_mov_b32 s26, exec_lo
	v_cmpx_ne_u16_e32 0x80, v7
	s_cbranch_execz .LBB304_98
; %bb.93:                               ;   in Loop: Header=BB304_16 Depth=1
	v_mov_b32_e32 v0, 0x7f
	v_mov_b32_e32 v101, 0x7c010000
	s_mov_b32 s27, exec_lo
	v_and_b32_sdwa v2, v7, v0 dst_sel:DWORD dst_unused:UNUSED_PAD src0_sel:WORD_0 src1_sel:DWORD
	v_cmpx_ne_u32_e32 0x7f, v2
	s_cbranch_execz .LBB304_97
; %bb.94:                               ;   in Loop: Header=BB304_16 Depth=1
	v_mov_b32_e32 v0, 7
	v_lshrrev_b32_e32 v1, 3, v2
	s_mov_b32 s28, exec_lo
	v_and_b32_sdwa v0, v7, v0 dst_sel:DWORD dst_unused:UNUSED_PAD src0_sel:WORD_0 src1_sel:DWORD
	v_cmpx_gt_u32_e32 8, v2
; %bb.95:                               ;   in Loop: Header=BB304_16 Depth=1
	v_ffbh_u32_e32 v0, v0
	v_min_u32_e32 v2, 32, v0
	v_subrev_nc_u32_e32 v0, 28, v2
	v_lshlrev_b64 v[0:1], v0, v[7:8]
	v_sub_nc_u32_e32 v1, 29, v2
	v_and_b32_e32 v0, 7, v0
; %bb.96:                               ;   in Loop: Header=BB304_16 Depth=1
	s_or_b32 exec_lo, exec_lo, s28
	v_mov_b32_e32 v2, 8
	v_lshl_add_u32 v1, v1, 10, 0x2000
	v_lshlrev_b32_e32 v0, 23, v0
	v_lshlrev_b32_sdwa v2, v2, v7 dst_sel:DWORD dst_unused:UNUSED_PAD src0_sel:DWORD src1_sel:WORD_0
	v_and_or_b32 v1, 0x8000, v2, v1
	v_lshl_or_b32 v101, v1, 16, v0
.LBB304_97:                             ;   in Loop: Header=BB304_16 Depth=1
	s_or_b32 exec_lo, exec_lo, s27
.LBB304_98:                             ;   in Loop: Header=BB304_16 Depth=1
	s_or_b32 exec_lo, exec_lo, s26
.LBB304_99:                             ;   in Loop: Header=BB304_16 Depth=1
	s_or_b32 exec_lo, exec_lo, s25
	v_lshrrev_b32_e32 v7, 16, v33
	v_cmp_ne_u16_sdwa s5, v7, v8 src0_sel:BYTE_0 src1_sel:DWORD
	s_and_saveexec_b32 s25, s5
	s_cbranch_execz .LBB304_107
; %bb.100:                              ;   in Loop: Header=BB304_16 Depth=1
	v_cmp_ne_u16_sdwa s5, v7, v68 src0_sel:BYTE_0 src1_sel:DWORD
	v_mov_b32_e32 v102, 0x8000
	s_and_saveexec_b32 s26, s5
	s_cbranch_execz .LBB304_106
; %bb.101:                              ;   in Loop: Header=BB304_16 Depth=1
	v_bfe_u32 v2, v33, 16, 7
	v_mov_b32_e32 v102, 0x7c01
	s_mov_b32 s27, exec_lo
	v_cmpx_ne_u32_e32 0x7f, v2
	s_cbranch_execz .LBB304_105
; %bb.102:                              ;   in Loop: Header=BB304_16 Depth=1
	v_and_b32_e32 v0, 7, v7
	v_lshrrev_b32_e32 v1, 3, v2
	s_mov_b32 s28, exec_lo
	v_cmpx_gt_u32_e32 8, v2
; %bb.103:                              ;   in Loop: Header=BB304_16 Depth=1
	v_ffbh_u32_e32 v0, v0
	v_min_u32_e32 v2, 32, v0
	v_subrev_nc_u32_e32 v0, 28, v2
	v_lshlrev_b64 v[0:1], v0, v[7:8]
	v_sub_nc_u32_e32 v1, 29, v2
	v_and_b32_e32 v0, 7, v0
; %bb.104:                              ;   in Loop: Header=BB304_16 Depth=1
	s_or_b32 exec_lo, exec_lo, s28
	v_lshlrev_b32_e32 v2, 8, v7
	v_lshl_add_u32 v1, v1, 10, 0x2000
	v_lshlrev_b32_e32 v0, 7, v0
	v_and_b32_e32 v2, 0x8000, v2
	v_and_b32_e32 v1, 0xfc00, v1
	v_or3_b32 v102, v2, v1, v0
.LBB304_105:                            ;   in Loop: Header=BB304_16 Depth=1
	s_or_b32 exec_lo, exec_lo, s27
.LBB304_106:                            ;   in Loop: Header=BB304_16 Depth=1
	s_or_b32 exec_lo, exec_lo, s26
.LBB304_107:                            ;   in Loop: Header=BB304_16 Depth=1
	s_or_b32 exec_lo, exec_lo, s25
	v_mov_b32_e32 v103, 0
	v_mov_b32_e32 v112, 0
	s_mov_b32 s25, exec_lo
	v_cmpx_lt_u32_e32 0xffffff, v33
	s_cbranch_execz .LBB304_115
; %bb.108:                              ;   in Loop: Header=BB304_16 Depth=1
	v_lshrrev_b32_e32 v7, 24, v33
	v_bfrev_b32_e32 v112, 1
	s_mov_b32 s26, exec_lo
	v_cmpx_ne_u32_e32 0x80, v7
	s_cbranch_execz .LBB304_114
; %bb.109:                              ;   in Loop: Header=BB304_16 Depth=1
	v_and_b32_e32 v2, 0x7f, v7
	v_mov_b32_e32 v112, 0x7c010000
	s_mov_b32 s27, exec_lo
	v_cmpx_ne_u32_e32 0x7f, v2
	s_cbranch_execz .LBB304_113
; %bb.110:                              ;   in Loop: Header=BB304_16 Depth=1
	v_and_b32_e32 v0, 7, v7
	v_lshrrev_b32_e32 v1, 3, v2
	s_mov_b32 s28, exec_lo
	v_cmpx_gt_u32_e32 8, v2
; %bb.111:                              ;   in Loop: Header=BB304_16 Depth=1
	v_ffbh_u32_e32 v0, v0
	v_min_u32_e32 v2, 32, v0
	v_subrev_nc_u32_e32 v0, 28, v2
	v_lshlrev_b64 v[0:1], v0, v[7:8]
	v_sub_nc_u32_e32 v1, 29, v2
	v_and_b32_e32 v0, 7, v0
; %bb.112:                              ;   in Loop: Header=BB304_16 Depth=1
	s_or_b32 exec_lo, exec_lo, s28
	v_lshlrev_b32_e32 v2, 8, v7
	v_lshl_add_u32 v1, v1, 10, 0x2000
	v_lshlrev_b32_e32 v0, 23, v0
	v_and_or_b32 v1, 0x8000, v2, v1
	v_lshl_or_b32 v112, v1, 16, v0
.LBB304_113:                            ;   in Loop: Header=BB304_16 Depth=1
	s_or_b32 exec_lo, exec_lo, s27
.LBB304_114:                            ;   in Loop: Header=BB304_16 Depth=1
	s_or_b32 exec_lo, exec_lo, s26
.LBB304_115:                            ;   in Loop: Header=BB304_16 Depth=1
	s_or_b32 exec_lo, exec_lo, s25
	v_mov_b32_e32 v7, v34
	v_cmp_ne_u16_sdwa s5, v34, v8 src0_sel:BYTE_0 src1_sel:DWORD
	s_and_saveexec_b32 s25, s5
	s_cbranch_execz .LBB304_123
; %bb.116:                              ;   in Loop: Header=BB304_16 Depth=1
	v_cmp_ne_u16_sdwa s5, v34, v68 src0_sel:BYTE_0 src1_sel:DWORD
	v_mov_b32_e32 v103, 0x8000
	s_and_saveexec_b32 s26, s5
	s_cbranch_execz .LBB304_122
; %bb.117:                              ;   in Loop: Header=BB304_16 Depth=1
	v_and_b32_e32 v2, 0x7f, v34
	v_mov_b32_e32 v103, 0x7c01
	s_mov_b32 s27, exec_lo
	v_cmpx_ne_u32_e32 0x7f, v2
	s_cbranch_execz .LBB304_121
; %bb.118:                              ;   in Loop: Header=BB304_16 Depth=1
	v_and_b32_e32 v0, 7, v34
	v_lshrrev_b32_e32 v1, 3, v2
	s_mov_b32 s28, exec_lo
	v_cmpx_gt_u32_e32 8, v2
; %bb.119:                              ;   in Loop: Header=BB304_16 Depth=1
	v_ffbh_u32_e32 v0, v0
	v_min_u32_e32 v2, 32, v0
	v_subrev_nc_u32_e32 v0, 28, v2
	v_lshlrev_b64 v[0:1], v0, v[7:8]
	v_sub_nc_u32_e32 v1, 29, v2
	v_and_b32_e32 v0, 7, v0
; %bb.120:                              ;   in Loop: Header=BB304_16 Depth=1
	s_or_b32 exec_lo, exec_lo, s28
	v_lshlrev_b32_e32 v2, 8, v34
	v_lshl_add_u32 v1, v1, 10, 0x2000
	v_lshlrev_b32_e32 v0, 7, v0
	v_and_b32_e32 v2, 0x8000, v2
	v_and_b32_e32 v1, 0xfc00, v1
	v_or3_b32 v103, v2, v1, v0
.LBB304_121:                            ;   in Loop: Header=BB304_16 Depth=1
	s_or_b32 exec_lo, exec_lo, s27
.LBB304_122:                            ;   in Loop: Header=BB304_16 Depth=1
	s_or_b32 exec_lo, exec_lo, s26
.LBB304_123:                            ;   in Loop: Header=BB304_16 Depth=1
	s_or_b32 exec_lo, exec_lo, s25
	v_lshrrev_b16 v7, 8, v7
	v_mov_b32_e32 v113, 0
	v_mov_b32_e32 v114, 0
	s_mov_b32 s25, exec_lo
	v_cmpx_ne_u16_e32 0, v7
	s_cbranch_execz .LBB304_131
; %bb.124:                              ;   in Loop: Header=BB304_16 Depth=1
	v_bfrev_b32_e32 v114, 1
	s_mov_b32 s26, exec_lo
	v_cmpx_ne_u16_e32 0x80, v7
	s_cbranch_execz .LBB304_130
; %bb.125:                              ;   in Loop: Header=BB304_16 Depth=1
	v_mov_b32_e32 v0, 0x7f
	v_mov_b32_e32 v114, 0x7c010000
	s_mov_b32 s27, exec_lo
	v_and_b32_sdwa v2, v7, v0 dst_sel:DWORD dst_unused:UNUSED_PAD src0_sel:WORD_0 src1_sel:DWORD
	v_cmpx_ne_u32_e32 0x7f, v2
	s_cbranch_execz .LBB304_129
; %bb.126:                              ;   in Loop: Header=BB304_16 Depth=1
	v_mov_b32_e32 v0, 7
	v_lshrrev_b32_e32 v1, 3, v2
	s_mov_b32 s28, exec_lo
	v_and_b32_sdwa v0, v7, v0 dst_sel:DWORD dst_unused:UNUSED_PAD src0_sel:WORD_0 src1_sel:DWORD
	v_cmpx_gt_u32_e32 8, v2
; %bb.127:                              ;   in Loop: Header=BB304_16 Depth=1
	v_ffbh_u32_e32 v0, v0
	v_min_u32_e32 v2, 32, v0
	v_subrev_nc_u32_e32 v0, 28, v2
	v_lshlrev_b64 v[0:1], v0, v[7:8]
	v_sub_nc_u32_e32 v1, 29, v2
	v_and_b32_e32 v0, 7, v0
; %bb.128:                              ;   in Loop: Header=BB304_16 Depth=1
	s_or_b32 exec_lo, exec_lo, s28
	v_mov_b32_e32 v2, 8
	v_lshl_add_u32 v1, v1, 10, 0x2000
	v_lshlrev_b32_e32 v0, 23, v0
	v_lshlrev_b32_sdwa v2, v2, v7 dst_sel:DWORD dst_unused:UNUSED_PAD src0_sel:DWORD src1_sel:WORD_0
	v_and_or_b32 v1, 0x8000, v2, v1
	v_lshl_or_b32 v114, v1, 16, v0
.LBB304_129:                            ;   in Loop: Header=BB304_16 Depth=1
	s_or_b32 exec_lo, exec_lo, s27
.LBB304_130:                            ;   in Loop: Header=BB304_16 Depth=1
	s_or_b32 exec_lo, exec_lo, s26
.LBB304_131:                            ;   in Loop: Header=BB304_16 Depth=1
	s_or_b32 exec_lo, exec_lo, s25
	v_lshrrev_b32_e32 v7, 16, v34
	v_cmp_ne_u16_sdwa s5, v7, v8 src0_sel:BYTE_0 src1_sel:DWORD
	s_and_saveexec_b32 s25, s5
	s_cbranch_execz .LBB304_139
; %bb.132:                              ;   in Loop: Header=BB304_16 Depth=1
	v_cmp_ne_u16_sdwa s5, v7, v68 src0_sel:BYTE_0 src1_sel:DWORD
	v_mov_b32_e32 v113, 0x8000
	s_and_saveexec_b32 s26, s5
	s_cbranch_execz .LBB304_138
; %bb.133:                              ;   in Loop: Header=BB304_16 Depth=1
	v_bfe_u32 v2, v34, 16, 7
	v_mov_b32_e32 v113, 0x7c01
	s_mov_b32 s27, exec_lo
	v_cmpx_ne_u32_e32 0x7f, v2
	s_cbranch_execz .LBB304_137
; %bb.134:                              ;   in Loop: Header=BB304_16 Depth=1
	v_and_b32_e32 v0, 7, v7
	v_lshrrev_b32_e32 v1, 3, v2
	s_mov_b32 s28, exec_lo
	v_cmpx_gt_u32_e32 8, v2
; %bb.135:                              ;   in Loop: Header=BB304_16 Depth=1
	v_ffbh_u32_e32 v0, v0
	v_min_u32_e32 v2, 32, v0
	v_subrev_nc_u32_e32 v0, 28, v2
	v_lshlrev_b64 v[0:1], v0, v[7:8]
	v_sub_nc_u32_e32 v1, 29, v2
	v_and_b32_e32 v0, 7, v0
; %bb.136:                              ;   in Loop: Header=BB304_16 Depth=1
	s_or_b32 exec_lo, exec_lo, s28
	v_lshlrev_b32_e32 v2, 8, v7
	v_lshl_add_u32 v1, v1, 10, 0x2000
	v_lshlrev_b32_e32 v0, 7, v0
	v_and_b32_e32 v2, 0x8000, v2
	v_and_b32_e32 v1, 0xfc00, v1
	v_or3_b32 v113, v2, v1, v0
.LBB304_137:                            ;   in Loop: Header=BB304_16 Depth=1
	s_or_b32 exec_lo, exec_lo, s27
.LBB304_138:                            ;   in Loop: Header=BB304_16 Depth=1
	s_or_b32 exec_lo, exec_lo, s26
.LBB304_139:                            ;   in Loop: Header=BB304_16 Depth=1
	s_or_b32 exec_lo, exec_lo, s25
	v_mov_b32_e32 v116, 0
	v_mov_b32_e32 v115, 0
	s_mov_b32 s25, exec_lo
	v_cmpx_lt_u64_e64 s[20:21], v[33:34]
	s_cbranch_execz .LBB304_147
; %bb.140:                              ;   in Loop: Header=BB304_16 Depth=1
	v_lshrrev_b32_e32 v7, 24, v34
	v_bfrev_b32_e32 v115, 1
	s_mov_b32 s26, exec_lo
	v_cmpx_ne_u32_e32 0x80, v7
	s_cbranch_execz .LBB304_146
; %bb.141:                              ;   in Loop: Header=BB304_16 Depth=1
	v_and_b32_e32 v2, 0x7f, v7
	v_mov_b32_e32 v115, 0x7c010000
	s_mov_b32 s27, exec_lo
	v_cmpx_ne_u32_e32 0x7f, v2
	s_cbranch_execz .LBB304_145
; %bb.142:                              ;   in Loop: Header=BB304_16 Depth=1
	v_and_b32_e32 v0, 7, v7
	v_lshrrev_b32_e32 v1, 3, v2
	s_mov_b32 s28, exec_lo
	v_cmpx_gt_u32_e32 8, v2
; %bb.143:                              ;   in Loop: Header=BB304_16 Depth=1
	v_ffbh_u32_e32 v0, v0
	v_min_u32_e32 v2, 32, v0
	v_subrev_nc_u32_e32 v0, 28, v2
	v_lshlrev_b64 v[0:1], v0, v[7:8]
	v_sub_nc_u32_e32 v1, 29, v2
	v_and_b32_e32 v0, 7, v0
; %bb.144:                              ;   in Loop: Header=BB304_16 Depth=1
	s_or_b32 exec_lo, exec_lo, s28
	v_lshlrev_b32_e32 v2, 8, v7
	v_lshl_add_u32 v1, v1, 10, 0x2000
	v_lshlrev_b32_e32 v0, 23, v0
	v_and_or_b32 v1, 0x8000, v2, v1
	v_lshl_or_b32 v115, v1, 16, v0
.LBB304_145:                            ;   in Loop: Header=BB304_16 Depth=1
	s_or_b32 exec_lo, exec_lo, s27
.LBB304_146:                            ;   in Loop: Header=BB304_16 Depth=1
	s_or_b32 exec_lo, exec_lo, s26
.LBB304_147:                            ;   in Loop: Header=BB304_16 Depth=1
	s_or_b32 exec_lo, exec_lo, s25
	flat_load_dwordx2 v[33:34], v[31:32] offset:512
	s_waitcnt vmcnt(0) lgkmcnt(0)
	v_cmp_ne_u16_sdwa s5, v33, v8 src0_sel:BYTE_0 src1_sel:DWORD
	s_and_saveexec_b32 s25, s5
	s_cbranch_execz .LBB304_155
; %bb.148:                              ;   in Loop: Header=BB304_16 Depth=1
	v_cmp_ne_u16_sdwa s5, v33, v68 src0_sel:BYTE_0 src1_sel:DWORD
	v_mov_b32_e32 v116, 0x8000
	s_and_saveexec_b32 s26, s5
	s_cbranch_execz .LBB304_154
; %bb.149:                              ;   in Loop: Header=BB304_16 Depth=1
	v_and_b32_e32 v2, 0x7f, v33
	v_mov_b32_e32 v116, 0x7c01
	s_mov_b32 s27, exec_lo
	v_cmpx_ne_u32_e32 0x7f, v2
	s_cbranch_execz .LBB304_153
; %bb.150:                              ;   in Loop: Header=BB304_16 Depth=1
	v_and_b32_e32 v0, 7, v33
	v_lshrrev_b32_e32 v1, 3, v2
	s_mov_b32 s28, exec_lo
	v_cmpx_gt_u32_e32 8, v2
; %bb.151:                              ;   in Loop: Header=BB304_16 Depth=1
	v_ffbh_u32_e32 v0, v0
	v_min_u32_e32 v2, 32, v0
	v_subrev_nc_u32_e32 v0, 28, v2
	v_lshlrev_b64 v[0:1], v0, v[33:34]
	v_sub_nc_u32_e32 v1, 29, v2
	v_and_b32_e32 v0, 7, v0
; %bb.152:                              ;   in Loop: Header=BB304_16 Depth=1
	s_or_b32 exec_lo, exec_lo, s28
	v_lshlrev_b32_e32 v2, 8, v33
	v_lshl_add_u32 v1, v1, 10, 0x2000
	v_lshlrev_b32_e32 v0, 7, v0
	v_and_b32_e32 v2, 0x8000, v2
	v_and_b32_e32 v1, 0xfc00, v1
	v_or3_b32 v116, v2, v1, v0
.LBB304_153:                            ;   in Loop: Header=BB304_16 Depth=1
	s_or_b32 exec_lo, exec_lo, s27
.LBB304_154:                            ;   in Loop: Header=BB304_16 Depth=1
	s_or_b32 exec_lo, exec_lo, s26
.LBB304_155:                            ;   in Loop: Header=BB304_16 Depth=1
	s_or_b32 exec_lo, exec_lo, s25
	v_lshrrev_b16 v7, 8, v33
	v_mov_b32_e32 v118, 0
	v_mov_b32_e32 v117, 0
	s_mov_b32 s25, exec_lo
	v_cmpx_ne_u16_e32 0, v7
	s_cbranch_execz .LBB304_163
; %bb.156:                              ;   in Loop: Header=BB304_16 Depth=1
	v_bfrev_b32_e32 v117, 1
	s_mov_b32 s26, exec_lo
	v_cmpx_ne_u16_e32 0x80, v7
	s_cbranch_execz .LBB304_162
; %bb.157:                              ;   in Loop: Header=BB304_16 Depth=1
	v_mov_b32_e32 v0, 0x7f
	v_mov_b32_e32 v117, 0x7c010000
	s_mov_b32 s27, exec_lo
	v_and_b32_sdwa v2, v7, v0 dst_sel:DWORD dst_unused:UNUSED_PAD src0_sel:WORD_0 src1_sel:DWORD
	v_cmpx_ne_u32_e32 0x7f, v2
	s_cbranch_execz .LBB304_161
; %bb.158:                              ;   in Loop: Header=BB304_16 Depth=1
	v_mov_b32_e32 v0, 7
	v_lshrrev_b32_e32 v1, 3, v2
	s_mov_b32 s28, exec_lo
	v_and_b32_sdwa v0, v7, v0 dst_sel:DWORD dst_unused:UNUSED_PAD src0_sel:WORD_0 src1_sel:DWORD
	v_cmpx_gt_u32_e32 8, v2
; %bb.159:                              ;   in Loop: Header=BB304_16 Depth=1
	v_ffbh_u32_e32 v0, v0
	v_min_u32_e32 v2, 32, v0
	v_subrev_nc_u32_e32 v0, 28, v2
	v_lshlrev_b64 v[0:1], v0, v[7:8]
	v_sub_nc_u32_e32 v1, 29, v2
	v_and_b32_e32 v0, 7, v0
; %bb.160:                              ;   in Loop: Header=BB304_16 Depth=1
	s_or_b32 exec_lo, exec_lo, s28
	v_mov_b32_e32 v2, 8
	v_lshl_add_u32 v1, v1, 10, 0x2000
	v_lshlrev_b32_e32 v0, 23, v0
	v_lshlrev_b32_sdwa v2, v2, v7 dst_sel:DWORD dst_unused:UNUSED_PAD src0_sel:DWORD src1_sel:WORD_0
	v_and_or_b32 v1, 0x8000, v2, v1
	v_lshl_or_b32 v117, v1, 16, v0
.LBB304_161:                            ;   in Loop: Header=BB304_16 Depth=1
	s_or_b32 exec_lo, exec_lo, s27
.LBB304_162:                            ;   in Loop: Header=BB304_16 Depth=1
	s_or_b32 exec_lo, exec_lo, s26
.LBB304_163:                            ;   in Loop: Header=BB304_16 Depth=1
	s_or_b32 exec_lo, exec_lo, s25
	v_lshrrev_b32_e32 v7, 16, v33
	v_cmp_ne_u16_sdwa s5, v7, v8 src0_sel:BYTE_0 src1_sel:DWORD
	s_and_saveexec_b32 s25, s5
	s_cbranch_execz .LBB304_171
; %bb.164:                              ;   in Loop: Header=BB304_16 Depth=1
	v_cmp_ne_u16_sdwa s5, v7, v68 src0_sel:BYTE_0 src1_sel:DWORD
	v_mov_b32_e32 v118, 0x8000
	s_and_saveexec_b32 s26, s5
	s_cbranch_execz .LBB304_170
; %bb.165:                              ;   in Loop: Header=BB304_16 Depth=1
	v_bfe_u32 v2, v33, 16, 7
	v_mov_b32_e32 v118, 0x7c01
	s_mov_b32 s27, exec_lo
	v_cmpx_ne_u32_e32 0x7f, v2
	s_cbranch_execz .LBB304_169
; %bb.166:                              ;   in Loop: Header=BB304_16 Depth=1
	v_and_b32_e32 v0, 7, v7
	v_lshrrev_b32_e32 v1, 3, v2
	s_mov_b32 s28, exec_lo
	v_cmpx_gt_u32_e32 8, v2
; %bb.167:                              ;   in Loop: Header=BB304_16 Depth=1
	v_ffbh_u32_e32 v0, v0
	v_min_u32_e32 v2, 32, v0
	v_subrev_nc_u32_e32 v0, 28, v2
	v_lshlrev_b64 v[0:1], v0, v[7:8]
	v_sub_nc_u32_e32 v1, 29, v2
	v_and_b32_e32 v0, 7, v0
; %bb.168:                              ;   in Loop: Header=BB304_16 Depth=1
	s_or_b32 exec_lo, exec_lo, s28
	v_lshlrev_b32_e32 v2, 8, v7
	v_lshl_add_u32 v1, v1, 10, 0x2000
	v_lshlrev_b32_e32 v0, 7, v0
	v_and_b32_e32 v2, 0x8000, v2
	v_and_b32_e32 v1, 0xfc00, v1
	v_or3_b32 v118, v2, v1, v0
.LBB304_169:                            ;   in Loop: Header=BB304_16 Depth=1
	s_or_b32 exec_lo, exec_lo, s27
.LBB304_170:                            ;   in Loop: Header=BB304_16 Depth=1
	s_or_b32 exec_lo, exec_lo, s26
.LBB304_171:                            ;   in Loop: Header=BB304_16 Depth=1
	s_or_b32 exec_lo, exec_lo, s25
	v_mov_b32_e32 v119, 0
	v_mov_b32_e32 v40, 0
	s_mov_b32 s25, exec_lo
	v_cmpx_lt_u32_e32 0xffffff, v33
	s_cbranch_execz .LBB304_179
; %bb.172:                              ;   in Loop: Header=BB304_16 Depth=1
	v_lshrrev_b32_e32 v7, 24, v33
	v_bfrev_b32_e32 v40, 1
	s_mov_b32 s26, exec_lo
	v_cmpx_ne_u32_e32 0x80, v7
	s_cbranch_execz .LBB304_178
; %bb.173:                              ;   in Loop: Header=BB304_16 Depth=1
	v_and_b32_e32 v2, 0x7f, v7
	v_mov_b32_e32 v40, 0x7c010000
	s_mov_b32 s27, exec_lo
	v_cmpx_ne_u32_e32 0x7f, v2
	s_cbranch_execz .LBB304_177
; %bb.174:                              ;   in Loop: Header=BB304_16 Depth=1
	v_and_b32_e32 v0, 7, v7
	v_lshrrev_b32_e32 v1, 3, v2
	s_mov_b32 s28, exec_lo
	v_cmpx_gt_u32_e32 8, v2
; %bb.175:                              ;   in Loop: Header=BB304_16 Depth=1
	v_ffbh_u32_e32 v0, v0
	v_min_u32_e32 v2, 32, v0
	v_subrev_nc_u32_e32 v0, 28, v2
	v_lshlrev_b64 v[0:1], v0, v[7:8]
	v_sub_nc_u32_e32 v1, 29, v2
	v_and_b32_e32 v0, 7, v0
; %bb.176:                              ;   in Loop: Header=BB304_16 Depth=1
	s_or_b32 exec_lo, exec_lo, s28
	v_lshlrev_b32_e32 v2, 8, v7
	v_lshl_add_u32 v1, v1, 10, 0x2000
	v_lshlrev_b32_e32 v0, 23, v0
	v_and_or_b32 v1, 0x8000, v2, v1
	v_lshl_or_b32 v40, v1, 16, v0
.LBB304_177:                            ;   in Loop: Header=BB304_16 Depth=1
	s_or_b32 exec_lo, exec_lo, s27
.LBB304_178:                            ;   in Loop: Header=BB304_16 Depth=1
	s_or_b32 exec_lo, exec_lo, s26
.LBB304_179:                            ;   in Loop: Header=BB304_16 Depth=1
	s_or_b32 exec_lo, exec_lo, s25
	v_mov_b32_e32 v7, v34
	v_cmp_ne_u16_sdwa s5, v34, v8 src0_sel:BYTE_0 src1_sel:DWORD
	s_and_saveexec_b32 s25, s5
	s_cbranch_execz .LBB304_187
; %bb.180:                              ;   in Loop: Header=BB304_16 Depth=1
	v_cmp_ne_u16_sdwa s5, v34, v68 src0_sel:BYTE_0 src1_sel:DWORD
	v_mov_b32_e32 v119, 0x8000
	s_and_saveexec_b32 s26, s5
	s_cbranch_execz .LBB304_186
; %bb.181:                              ;   in Loop: Header=BB304_16 Depth=1
	v_and_b32_e32 v2, 0x7f, v34
	v_mov_b32_e32 v119, 0x7c01
	s_mov_b32 s27, exec_lo
	v_cmpx_ne_u32_e32 0x7f, v2
	s_cbranch_execz .LBB304_185
; %bb.182:                              ;   in Loop: Header=BB304_16 Depth=1
	v_and_b32_e32 v0, 7, v34
	v_lshrrev_b32_e32 v1, 3, v2
	s_mov_b32 s28, exec_lo
	v_cmpx_gt_u32_e32 8, v2
; %bb.183:                              ;   in Loop: Header=BB304_16 Depth=1
	v_ffbh_u32_e32 v0, v0
	v_min_u32_e32 v2, 32, v0
	v_subrev_nc_u32_e32 v0, 28, v2
	v_lshlrev_b64 v[0:1], v0, v[7:8]
	v_sub_nc_u32_e32 v1, 29, v2
	v_and_b32_e32 v0, 7, v0
; %bb.184:                              ;   in Loop: Header=BB304_16 Depth=1
	s_or_b32 exec_lo, exec_lo, s28
	v_lshlrev_b32_e32 v2, 8, v34
	v_lshl_add_u32 v1, v1, 10, 0x2000
	v_lshlrev_b32_e32 v0, 7, v0
	v_and_b32_e32 v2, 0x8000, v2
	v_and_b32_e32 v1, 0xfc00, v1
	v_or3_b32 v119, v2, v1, v0
.LBB304_185:                            ;   in Loop: Header=BB304_16 Depth=1
	s_or_b32 exec_lo, exec_lo, s27
.LBB304_186:                            ;   in Loop: Header=BB304_16 Depth=1
	s_or_b32 exec_lo, exec_lo, s26
.LBB304_187:                            ;   in Loop: Header=BB304_16 Depth=1
	s_or_b32 exec_lo, exec_lo, s25
	v_lshrrev_b16 v7, 8, v7
	v_mov_b32_e32 v41, 0
	v_mov_b32_e32 v42, 0
	s_mov_b32 s25, exec_lo
	v_cmpx_ne_u16_e32 0, v7
	s_cbranch_execz .LBB304_195
; %bb.188:                              ;   in Loop: Header=BB304_16 Depth=1
	v_bfrev_b32_e32 v42, 1
	s_mov_b32 s26, exec_lo
	v_cmpx_ne_u16_e32 0x80, v7
	s_cbranch_execz .LBB304_194
; %bb.189:                              ;   in Loop: Header=BB304_16 Depth=1
	v_mov_b32_e32 v0, 0x7f
	v_mov_b32_e32 v42, 0x7c010000
	s_mov_b32 s27, exec_lo
	v_and_b32_sdwa v2, v7, v0 dst_sel:DWORD dst_unused:UNUSED_PAD src0_sel:WORD_0 src1_sel:DWORD
	v_cmpx_ne_u32_e32 0x7f, v2
	s_cbranch_execz .LBB304_193
; %bb.190:                              ;   in Loop: Header=BB304_16 Depth=1
	v_mov_b32_e32 v0, 7
	v_lshrrev_b32_e32 v1, 3, v2
	s_mov_b32 s28, exec_lo
	v_and_b32_sdwa v0, v7, v0 dst_sel:DWORD dst_unused:UNUSED_PAD src0_sel:WORD_0 src1_sel:DWORD
	v_cmpx_gt_u32_e32 8, v2
; %bb.191:                              ;   in Loop: Header=BB304_16 Depth=1
	v_ffbh_u32_e32 v0, v0
	v_min_u32_e32 v2, 32, v0
	v_subrev_nc_u32_e32 v0, 28, v2
	v_lshlrev_b64 v[0:1], v0, v[7:8]
	v_sub_nc_u32_e32 v1, 29, v2
	v_and_b32_e32 v0, 7, v0
; %bb.192:                              ;   in Loop: Header=BB304_16 Depth=1
	s_or_b32 exec_lo, exec_lo, s28
	v_mov_b32_e32 v2, 8
	v_lshl_add_u32 v1, v1, 10, 0x2000
	v_lshlrev_b32_e32 v0, 23, v0
	v_lshlrev_b32_sdwa v2, v2, v7 dst_sel:DWORD dst_unused:UNUSED_PAD src0_sel:DWORD src1_sel:WORD_0
	v_and_or_b32 v1, 0x8000, v2, v1
	v_lshl_or_b32 v42, v1, 16, v0
.LBB304_193:                            ;   in Loop: Header=BB304_16 Depth=1
	s_or_b32 exec_lo, exec_lo, s27
.LBB304_194:                            ;   in Loop: Header=BB304_16 Depth=1
	s_or_b32 exec_lo, exec_lo, s26
.LBB304_195:                            ;   in Loop: Header=BB304_16 Depth=1
	s_or_b32 exec_lo, exec_lo, s25
	v_lshrrev_b32_e32 v7, 16, v34
	v_cmp_ne_u16_sdwa s5, v7, v8 src0_sel:BYTE_0 src1_sel:DWORD
	s_and_saveexec_b32 s25, s5
	s_cbranch_execz .LBB304_203
; %bb.196:                              ;   in Loop: Header=BB304_16 Depth=1
	v_cmp_ne_u16_sdwa s5, v7, v68 src0_sel:BYTE_0 src1_sel:DWORD
	v_mov_b32_e32 v41, 0x8000
	s_and_saveexec_b32 s26, s5
	s_cbranch_execz .LBB304_202
; %bb.197:                              ;   in Loop: Header=BB304_16 Depth=1
	v_bfe_u32 v2, v34, 16, 7
	v_mov_b32_e32 v41, 0x7c01
	s_mov_b32 s27, exec_lo
	v_cmpx_ne_u32_e32 0x7f, v2
	s_cbranch_execz .LBB304_201
; %bb.198:                              ;   in Loop: Header=BB304_16 Depth=1
	v_and_b32_e32 v0, 7, v7
	v_lshrrev_b32_e32 v1, 3, v2
	s_mov_b32 s28, exec_lo
	v_cmpx_gt_u32_e32 8, v2
; %bb.199:                              ;   in Loop: Header=BB304_16 Depth=1
	v_ffbh_u32_e32 v0, v0
	v_min_u32_e32 v2, 32, v0
	v_subrev_nc_u32_e32 v0, 28, v2
	v_lshlrev_b64 v[0:1], v0, v[7:8]
	v_sub_nc_u32_e32 v1, 29, v2
	v_and_b32_e32 v0, 7, v0
; %bb.200:                              ;   in Loop: Header=BB304_16 Depth=1
	s_or_b32 exec_lo, exec_lo, s28
	v_lshlrev_b32_e32 v2, 8, v7
	v_lshl_add_u32 v1, v1, 10, 0x2000
	v_lshlrev_b32_e32 v0, 7, v0
	v_and_b32_e32 v2, 0x8000, v2
	v_and_b32_e32 v1, 0xfc00, v1
	v_or3_b32 v41, v2, v1, v0
.LBB304_201:                            ;   in Loop: Header=BB304_16 Depth=1
	s_or_b32 exec_lo, exec_lo, s27
.LBB304_202:                            ;   in Loop: Header=BB304_16 Depth=1
	s_or_b32 exec_lo, exec_lo, s26
.LBB304_203:                            ;   in Loop: Header=BB304_16 Depth=1
	s_or_b32 exec_lo, exec_lo, s25
	v_mov_b32_e32 v44, 0
	v_mov_b32_e32 v43, 0
	s_mov_b32 s25, exec_lo
	v_cmpx_lt_u64_e64 s[20:21], v[33:34]
	s_cbranch_execz .LBB304_211
; %bb.204:                              ;   in Loop: Header=BB304_16 Depth=1
	v_lshrrev_b32_e32 v7, 24, v34
	v_bfrev_b32_e32 v43, 1
	s_mov_b32 s26, exec_lo
	v_cmpx_ne_u32_e32 0x80, v7
	s_cbranch_execz .LBB304_210
; %bb.205:                              ;   in Loop: Header=BB304_16 Depth=1
	v_and_b32_e32 v2, 0x7f, v7
	v_mov_b32_e32 v43, 0x7c010000
	s_mov_b32 s27, exec_lo
	v_cmpx_ne_u32_e32 0x7f, v2
	s_cbranch_execz .LBB304_209
; %bb.206:                              ;   in Loop: Header=BB304_16 Depth=1
	v_and_b32_e32 v0, 7, v7
	v_lshrrev_b32_e32 v1, 3, v2
	s_mov_b32 s28, exec_lo
	v_cmpx_gt_u32_e32 8, v2
; %bb.207:                              ;   in Loop: Header=BB304_16 Depth=1
	v_ffbh_u32_e32 v0, v0
	v_min_u32_e32 v2, 32, v0
	v_subrev_nc_u32_e32 v0, 28, v2
	v_lshlrev_b64 v[0:1], v0, v[7:8]
	v_sub_nc_u32_e32 v1, 29, v2
	v_and_b32_e32 v0, 7, v0
; %bb.208:                              ;   in Loop: Header=BB304_16 Depth=1
	s_or_b32 exec_lo, exec_lo, s28
	v_lshlrev_b32_e32 v2, 8, v7
	v_lshl_add_u32 v1, v1, 10, 0x2000
	v_lshlrev_b32_e32 v0, 23, v0
	v_and_or_b32 v1, 0x8000, v2, v1
	v_lshl_or_b32 v43, v1, 16, v0
.LBB304_209:                            ;   in Loop: Header=BB304_16 Depth=1
	s_or_b32 exec_lo, exec_lo, s27
.LBB304_210:                            ;   in Loop: Header=BB304_16 Depth=1
	s_or_b32 exec_lo, exec_lo, s26
.LBB304_211:                            ;   in Loop: Header=BB304_16 Depth=1
	s_or_b32 exec_lo, exec_lo, s25
	flat_load_dwordx2 v[33:34], v[31:32] offset:520
	s_waitcnt vmcnt(0) lgkmcnt(0)
	v_cmp_ne_u16_sdwa s5, v33, v8 src0_sel:BYTE_0 src1_sel:DWORD
	s_and_saveexec_b32 s25, s5
	s_cbranch_execz .LBB304_219
; %bb.212:                              ;   in Loop: Header=BB304_16 Depth=1
	v_cmp_ne_u16_sdwa s5, v33, v68 src0_sel:BYTE_0 src1_sel:DWORD
	v_mov_b32_e32 v44, 0x8000
	s_and_saveexec_b32 s26, s5
	s_cbranch_execz .LBB304_218
; %bb.213:                              ;   in Loop: Header=BB304_16 Depth=1
	v_and_b32_e32 v2, 0x7f, v33
	v_mov_b32_e32 v44, 0x7c01
	s_mov_b32 s27, exec_lo
	v_cmpx_ne_u32_e32 0x7f, v2
	s_cbranch_execz .LBB304_217
; %bb.214:                              ;   in Loop: Header=BB304_16 Depth=1
	v_and_b32_e32 v0, 7, v33
	v_lshrrev_b32_e32 v1, 3, v2
	s_mov_b32 s28, exec_lo
	v_cmpx_gt_u32_e32 8, v2
; %bb.215:                              ;   in Loop: Header=BB304_16 Depth=1
	v_ffbh_u32_e32 v0, v0
	v_min_u32_e32 v2, 32, v0
	v_subrev_nc_u32_e32 v0, 28, v2
	v_lshlrev_b64 v[0:1], v0, v[33:34]
	v_sub_nc_u32_e32 v1, 29, v2
	v_and_b32_e32 v0, 7, v0
; %bb.216:                              ;   in Loop: Header=BB304_16 Depth=1
	s_or_b32 exec_lo, exec_lo, s28
	v_lshlrev_b32_e32 v2, 8, v33
	v_lshl_add_u32 v1, v1, 10, 0x2000
	v_lshlrev_b32_e32 v0, 7, v0
	v_and_b32_e32 v2, 0x8000, v2
	v_and_b32_e32 v1, 0xfc00, v1
	v_or3_b32 v44, v2, v1, v0
.LBB304_217:                            ;   in Loop: Header=BB304_16 Depth=1
	s_or_b32 exec_lo, exec_lo, s27
.LBB304_218:                            ;   in Loop: Header=BB304_16 Depth=1
	s_or_b32 exec_lo, exec_lo, s26
.LBB304_219:                            ;   in Loop: Header=BB304_16 Depth=1
	s_or_b32 exec_lo, exec_lo, s25
	v_lshrrev_b16 v7, 8, v33
	v_mov_b32_e32 v46, 0
	v_mov_b32_e32 v45, 0
	s_mov_b32 s25, exec_lo
	v_cmpx_ne_u16_e32 0, v7
	s_cbranch_execz .LBB304_227
; %bb.220:                              ;   in Loop: Header=BB304_16 Depth=1
	v_bfrev_b32_e32 v45, 1
	s_mov_b32 s26, exec_lo
	v_cmpx_ne_u16_e32 0x80, v7
	s_cbranch_execz .LBB304_226
; %bb.221:                              ;   in Loop: Header=BB304_16 Depth=1
	v_mov_b32_e32 v0, 0x7f
	v_mov_b32_e32 v45, 0x7c010000
	s_mov_b32 s27, exec_lo
	v_and_b32_sdwa v2, v7, v0 dst_sel:DWORD dst_unused:UNUSED_PAD src0_sel:WORD_0 src1_sel:DWORD
	v_cmpx_ne_u32_e32 0x7f, v2
	s_cbranch_execz .LBB304_225
; %bb.222:                              ;   in Loop: Header=BB304_16 Depth=1
	v_mov_b32_e32 v0, 7
	v_lshrrev_b32_e32 v1, 3, v2
	s_mov_b32 s28, exec_lo
	v_and_b32_sdwa v0, v7, v0 dst_sel:DWORD dst_unused:UNUSED_PAD src0_sel:WORD_0 src1_sel:DWORD
	v_cmpx_gt_u32_e32 8, v2
; %bb.223:                              ;   in Loop: Header=BB304_16 Depth=1
	v_ffbh_u32_e32 v0, v0
	v_min_u32_e32 v2, 32, v0
	v_subrev_nc_u32_e32 v0, 28, v2
	v_lshlrev_b64 v[0:1], v0, v[7:8]
	v_sub_nc_u32_e32 v1, 29, v2
	v_and_b32_e32 v0, 7, v0
; %bb.224:                              ;   in Loop: Header=BB304_16 Depth=1
	s_or_b32 exec_lo, exec_lo, s28
	v_mov_b32_e32 v2, 8
	v_lshl_add_u32 v1, v1, 10, 0x2000
	v_lshlrev_b32_e32 v0, 23, v0
	v_lshlrev_b32_sdwa v2, v2, v7 dst_sel:DWORD dst_unused:UNUSED_PAD src0_sel:DWORD src1_sel:WORD_0
	v_and_or_b32 v1, 0x8000, v2, v1
	v_lshl_or_b32 v45, v1, 16, v0
.LBB304_225:                            ;   in Loop: Header=BB304_16 Depth=1
	s_or_b32 exec_lo, exec_lo, s27
.LBB304_226:                            ;   in Loop: Header=BB304_16 Depth=1
	s_or_b32 exec_lo, exec_lo, s26
.LBB304_227:                            ;   in Loop: Header=BB304_16 Depth=1
	s_or_b32 exec_lo, exec_lo, s25
	v_lshrrev_b32_e32 v7, 16, v33
	v_cmp_ne_u16_sdwa s5, v7, v8 src0_sel:BYTE_0 src1_sel:DWORD
	s_and_saveexec_b32 s25, s5
	s_cbranch_execz .LBB304_235
; %bb.228:                              ;   in Loop: Header=BB304_16 Depth=1
	v_cmp_ne_u16_sdwa s5, v7, v68 src0_sel:BYTE_0 src1_sel:DWORD
	v_mov_b32_e32 v46, 0x8000
	s_and_saveexec_b32 s26, s5
	s_cbranch_execz .LBB304_234
; %bb.229:                              ;   in Loop: Header=BB304_16 Depth=1
	v_bfe_u32 v2, v33, 16, 7
	v_mov_b32_e32 v46, 0x7c01
	s_mov_b32 s27, exec_lo
	v_cmpx_ne_u32_e32 0x7f, v2
	s_cbranch_execz .LBB304_233
; %bb.230:                              ;   in Loop: Header=BB304_16 Depth=1
	v_and_b32_e32 v0, 7, v7
	v_lshrrev_b32_e32 v1, 3, v2
	s_mov_b32 s28, exec_lo
	v_cmpx_gt_u32_e32 8, v2
; %bb.231:                              ;   in Loop: Header=BB304_16 Depth=1
	v_ffbh_u32_e32 v0, v0
	v_min_u32_e32 v2, 32, v0
	v_subrev_nc_u32_e32 v0, 28, v2
	v_lshlrev_b64 v[0:1], v0, v[7:8]
	v_sub_nc_u32_e32 v1, 29, v2
	v_and_b32_e32 v0, 7, v0
; %bb.232:                              ;   in Loop: Header=BB304_16 Depth=1
	s_or_b32 exec_lo, exec_lo, s28
	v_lshlrev_b32_e32 v2, 8, v7
	v_lshl_add_u32 v1, v1, 10, 0x2000
	v_lshlrev_b32_e32 v0, 7, v0
	v_and_b32_e32 v2, 0x8000, v2
	v_and_b32_e32 v1, 0xfc00, v1
	v_or3_b32 v46, v2, v1, v0
.LBB304_233:                            ;   in Loop: Header=BB304_16 Depth=1
	s_or_b32 exec_lo, exec_lo, s27
.LBB304_234:                            ;   in Loop: Header=BB304_16 Depth=1
	s_or_b32 exec_lo, exec_lo, s26
.LBB304_235:                            ;   in Loop: Header=BB304_16 Depth=1
	s_or_b32 exec_lo, exec_lo, s25
	v_mov_b32_e32 v47, 0
	v_mov_b32_e32 v56, 0
	s_mov_b32 s25, exec_lo
	v_cmpx_lt_u32_e32 0xffffff, v33
	s_cbranch_execz .LBB304_243
; %bb.236:                              ;   in Loop: Header=BB304_16 Depth=1
	v_lshrrev_b32_e32 v7, 24, v33
	v_bfrev_b32_e32 v56, 1
	s_mov_b32 s26, exec_lo
	v_cmpx_ne_u32_e32 0x80, v7
	s_cbranch_execz .LBB304_242
; %bb.237:                              ;   in Loop: Header=BB304_16 Depth=1
	v_and_b32_e32 v2, 0x7f, v7
	v_mov_b32_e32 v56, 0x7c010000
	s_mov_b32 s27, exec_lo
	v_cmpx_ne_u32_e32 0x7f, v2
	s_cbranch_execz .LBB304_241
; %bb.238:                              ;   in Loop: Header=BB304_16 Depth=1
	v_and_b32_e32 v0, 7, v7
	v_lshrrev_b32_e32 v1, 3, v2
	s_mov_b32 s28, exec_lo
	v_cmpx_gt_u32_e32 8, v2
; %bb.239:                              ;   in Loop: Header=BB304_16 Depth=1
	v_ffbh_u32_e32 v0, v0
	v_min_u32_e32 v2, 32, v0
	v_subrev_nc_u32_e32 v0, 28, v2
	v_lshlrev_b64 v[0:1], v0, v[7:8]
	v_sub_nc_u32_e32 v1, 29, v2
	v_and_b32_e32 v0, 7, v0
; %bb.240:                              ;   in Loop: Header=BB304_16 Depth=1
	s_or_b32 exec_lo, exec_lo, s28
	v_lshlrev_b32_e32 v2, 8, v7
	v_lshl_add_u32 v1, v1, 10, 0x2000
	v_lshlrev_b32_e32 v0, 23, v0
	v_and_or_b32 v1, 0x8000, v2, v1
	v_lshl_or_b32 v56, v1, 16, v0
.LBB304_241:                            ;   in Loop: Header=BB304_16 Depth=1
	s_or_b32 exec_lo, exec_lo, s27
.LBB304_242:                            ;   in Loop: Header=BB304_16 Depth=1
	s_or_b32 exec_lo, exec_lo, s26
.LBB304_243:                            ;   in Loop: Header=BB304_16 Depth=1
	s_or_b32 exec_lo, exec_lo, s25
	v_mov_b32_e32 v7, v34
	v_cmp_ne_u16_sdwa s5, v34, v8 src0_sel:BYTE_0 src1_sel:DWORD
	s_and_saveexec_b32 s25, s5
	s_cbranch_execz .LBB304_251
; %bb.244:                              ;   in Loop: Header=BB304_16 Depth=1
	v_cmp_ne_u16_sdwa s5, v34, v68 src0_sel:BYTE_0 src1_sel:DWORD
	v_mov_b32_e32 v47, 0x8000
	s_and_saveexec_b32 s26, s5
	s_cbranch_execz .LBB304_250
; %bb.245:                              ;   in Loop: Header=BB304_16 Depth=1
	v_and_b32_e32 v2, 0x7f, v34
	v_mov_b32_e32 v47, 0x7c01
	s_mov_b32 s27, exec_lo
	v_cmpx_ne_u32_e32 0x7f, v2
	s_cbranch_execz .LBB304_249
; %bb.246:                              ;   in Loop: Header=BB304_16 Depth=1
	v_and_b32_e32 v0, 7, v34
	v_lshrrev_b32_e32 v1, 3, v2
	s_mov_b32 s28, exec_lo
	v_cmpx_gt_u32_e32 8, v2
; %bb.247:                              ;   in Loop: Header=BB304_16 Depth=1
	v_ffbh_u32_e32 v0, v0
	v_min_u32_e32 v2, 32, v0
	v_subrev_nc_u32_e32 v0, 28, v2
	v_lshlrev_b64 v[0:1], v0, v[7:8]
	v_sub_nc_u32_e32 v1, 29, v2
	v_and_b32_e32 v0, 7, v0
; %bb.248:                              ;   in Loop: Header=BB304_16 Depth=1
	s_or_b32 exec_lo, exec_lo, s28
	v_lshlrev_b32_e32 v2, 8, v34
	v_lshl_add_u32 v1, v1, 10, 0x2000
	v_lshlrev_b32_e32 v0, 7, v0
	v_and_b32_e32 v2, 0x8000, v2
	v_and_b32_e32 v1, 0xfc00, v1
	v_or3_b32 v47, v2, v1, v0
.LBB304_249:                            ;   in Loop: Header=BB304_16 Depth=1
	s_or_b32 exec_lo, exec_lo, s27
.LBB304_250:                            ;   in Loop: Header=BB304_16 Depth=1
	s_or_b32 exec_lo, exec_lo, s26
.LBB304_251:                            ;   in Loop: Header=BB304_16 Depth=1
	s_or_b32 exec_lo, exec_lo, s25
	v_lshrrev_b16 v7, 8, v7
	v_mov_b32_e32 v57, 0
	v_mov_b32_e32 v58, 0
	s_mov_b32 s25, exec_lo
	v_cmpx_ne_u16_e32 0, v7
	s_cbranch_execz .LBB304_259
; %bb.252:                              ;   in Loop: Header=BB304_16 Depth=1
	v_bfrev_b32_e32 v58, 1
	s_mov_b32 s26, exec_lo
	v_cmpx_ne_u16_e32 0x80, v7
	s_cbranch_execz .LBB304_258
; %bb.253:                              ;   in Loop: Header=BB304_16 Depth=1
	v_mov_b32_e32 v0, 0x7f
	v_mov_b32_e32 v58, 0x7c010000
	s_mov_b32 s27, exec_lo
	v_and_b32_sdwa v2, v7, v0 dst_sel:DWORD dst_unused:UNUSED_PAD src0_sel:WORD_0 src1_sel:DWORD
	v_cmpx_ne_u32_e32 0x7f, v2
	s_cbranch_execz .LBB304_257
; %bb.254:                              ;   in Loop: Header=BB304_16 Depth=1
	v_mov_b32_e32 v0, 7
	v_lshrrev_b32_e32 v1, 3, v2
	s_mov_b32 s28, exec_lo
	v_and_b32_sdwa v0, v7, v0 dst_sel:DWORD dst_unused:UNUSED_PAD src0_sel:WORD_0 src1_sel:DWORD
	v_cmpx_gt_u32_e32 8, v2
; %bb.255:                              ;   in Loop: Header=BB304_16 Depth=1
	v_ffbh_u32_e32 v0, v0
	v_min_u32_e32 v2, 32, v0
	v_subrev_nc_u32_e32 v0, 28, v2
	v_lshlrev_b64 v[0:1], v0, v[7:8]
	v_sub_nc_u32_e32 v1, 29, v2
	v_and_b32_e32 v0, 7, v0
; %bb.256:                              ;   in Loop: Header=BB304_16 Depth=1
	s_or_b32 exec_lo, exec_lo, s28
	v_mov_b32_e32 v2, 8
	v_lshl_add_u32 v1, v1, 10, 0x2000
	v_lshlrev_b32_e32 v0, 23, v0
	v_lshlrev_b32_sdwa v2, v2, v7 dst_sel:DWORD dst_unused:UNUSED_PAD src0_sel:DWORD src1_sel:WORD_0
	v_and_or_b32 v1, 0x8000, v2, v1
	v_lshl_or_b32 v58, v1, 16, v0
.LBB304_257:                            ;   in Loop: Header=BB304_16 Depth=1
	s_or_b32 exec_lo, exec_lo, s27
.LBB304_258:                            ;   in Loop: Header=BB304_16 Depth=1
	s_or_b32 exec_lo, exec_lo, s26
.LBB304_259:                            ;   in Loop: Header=BB304_16 Depth=1
	s_or_b32 exec_lo, exec_lo, s25
	v_lshrrev_b32_e32 v7, 16, v34
	v_cmp_ne_u16_sdwa s5, v7, v8 src0_sel:BYTE_0 src1_sel:DWORD
	s_and_saveexec_b32 s25, s5
	s_cbranch_execz .LBB304_267
; %bb.260:                              ;   in Loop: Header=BB304_16 Depth=1
	v_cmp_ne_u16_sdwa s5, v7, v68 src0_sel:BYTE_0 src1_sel:DWORD
	v_mov_b32_e32 v57, 0x8000
	s_and_saveexec_b32 s26, s5
	s_cbranch_execz .LBB304_266
; %bb.261:                              ;   in Loop: Header=BB304_16 Depth=1
	v_bfe_u32 v2, v34, 16, 7
	v_mov_b32_e32 v57, 0x7c01
	s_mov_b32 s27, exec_lo
	v_cmpx_ne_u32_e32 0x7f, v2
	s_cbranch_execz .LBB304_265
; %bb.262:                              ;   in Loop: Header=BB304_16 Depth=1
	v_and_b32_e32 v0, 7, v7
	v_lshrrev_b32_e32 v1, 3, v2
	s_mov_b32 s28, exec_lo
	v_cmpx_gt_u32_e32 8, v2
; %bb.263:                              ;   in Loop: Header=BB304_16 Depth=1
	v_ffbh_u32_e32 v0, v0
	v_min_u32_e32 v2, 32, v0
	v_subrev_nc_u32_e32 v0, 28, v2
	v_lshlrev_b64 v[0:1], v0, v[7:8]
	v_sub_nc_u32_e32 v1, 29, v2
	v_and_b32_e32 v0, 7, v0
; %bb.264:                              ;   in Loop: Header=BB304_16 Depth=1
	s_or_b32 exec_lo, exec_lo, s28
	v_lshlrev_b32_e32 v2, 8, v7
	v_lshl_add_u32 v1, v1, 10, 0x2000
	v_lshlrev_b32_e32 v0, 7, v0
	v_and_b32_e32 v2, 0x8000, v2
	v_and_b32_e32 v1, 0xfc00, v1
	v_or3_b32 v57, v2, v1, v0
.LBB304_265:                            ;   in Loop: Header=BB304_16 Depth=1
	s_or_b32 exec_lo, exec_lo, s27
.LBB304_266:                            ;   in Loop: Header=BB304_16 Depth=1
	s_or_b32 exec_lo, exec_lo, s26
.LBB304_267:                            ;   in Loop: Header=BB304_16 Depth=1
	s_or_b32 exec_lo, exec_lo, s25
	v_mov_b32_e32 v60, 0
	v_mov_b32_e32 v59, 0
	s_mov_b32 s25, exec_lo
	v_cmpx_lt_u64_e64 s[20:21], v[33:34]
	s_cbranch_execz .LBB304_275
; %bb.268:                              ;   in Loop: Header=BB304_16 Depth=1
	v_lshrrev_b32_e32 v7, 24, v34
	v_bfrev_b32_e32 v59, 1
	s_mov_b32 s26, exec_lo
	v_cmpx_ne_u32_e32 0x80, v7
	s_cbranch_execz .LBB304_274
; %bb.269:                              ;   in Loop: Header=BB304_16 Depth=1
	v_and_b32_e32 v2, 0x7f, v7
	v_mov_b32_e32 v59, 0x7c010000
	s_mov_b32 s27, exec_lo
	v_cmpx_ne_u32_e32 0x7f, v2
	s_cbranch_execz .LBB304_273
; %bb.270:                              ;   in Loop: Header=BB304_16 Depth=1
	v_and_b32_e32 v0, 7, v7
	v_lshrrev_b32_e32 v1, 3, v2
	s_mov_b32 s28, exec_lo
	v_cmpx_gt_u32_e32 8, v2
; %bb.271:                              ;   in Loop: Header=BB304_16 Depth=1
	v_ffbh_u32_e32 v0, v0
	v_min_u32_e32 v2, 32, v0
	v_subrev_nc_u32_e32 v0, 28, v2
	v_lshlrev_b64 v[0:1], v0, v[7:8]
	v_sub_nc_u32_e32 v1, 29, v2
	v_and_b32_e32 v0, 7, v0
; %bb.272:                              ;   in Loop: Header=BB304_16 Depth=1
	s_or_b32 exec_lo, exec_lo, s28
	v_lshlrev_b32_e32 v2, 8, v7
	v_lshl_add_u32 v1, v1, 10, 0x2000
	v_lshlrev_b32_e32 v0, 23, v0
	v_and_or_b32 v1, 0x8000, v2, v1
	v_lshl_or_b32 v59, v1, 16, v0
.LBB304_273:                            ;   in Loop: Header=BB304_16 Depth=1
	s_or_b32 exec_lo, exec_lo, s27
.LBB304_274:                            ;   in Loop: Header=BB304_16 Depth=1
	s_or_b32 exec_lo, exec_lo, s26
.LBB304_275:                            ;   in Loop: Header=BB304_16 Depth=1
	s_or_b32 exec_lo, exec_lo, s25
	flat_load_dwordx2 v[33:34], v[31:32] offset:1024
	s_waitcnt vmcnt(0) lgkmcnt(0)
	v_cmp_ne_u16_sdwa s5, v33, v8 src0_sel:BYTE_0 src1_sel:DWORD
	s_and_saveexec_b32 s25, s5
	s_cbranch_execz .LBB304_283
; %bb.276:                              ;   in Loop: Header=BB304_16 Depth=1
	v_cmp_ne_u16_sdwa s5, v33, v68 src0_sel:BYTE_0 src1_sel:DWORD
	v_mov_b32_e32 v60, 0x8000
	s_and_saveexec_b32 s26, s5
	s_cbranch_execz .LBB304_282
; %bb.277:                              ;   in Loop: Header=BB304_16 Depth=1
	v_and_b32_e32 v2, 0x7f, v33
	v_mov_b32_e32 v60, 0x7c01
	s_mov_b32 s27, exec_lo
	v_cmpx_ne_u32_e32 0x7f, v2
	s_cbranch_execz .LBB304_281
; %bb.278:                              ;   in Loop: Header=BB304_16 Depth=1
	v_and_b32_e32 v0, 7, v33
	v_lshrrev_b32_e32 v1, 3, v2
	s_mov_b32 s28, exec_lo
	v_cmpx_gt_u32_e32 8, v2
; %bb.279:                              ;   in Loop: Header=BB304_16 Depth=1
	v_ffbh_u32_e32 v0, v0
	v_min_u32_e32 v2, 32, v0
	v_subrev_nc_u32_e32 v0, 28, v2
	v_lshlrev_b64 v[0:1], v0, v[33:34]
	v_sub_nc_u32_e32 v1, 29, v2
	v_and_b32_e32 v0, 7, v0
; %bb.280:                              ;   in Loop: Header=BB304_16 Depth=1
	s_or_b32 exec_lo, exec_lo, s28
	v_lshlrev_b32_e32 v2, 8, v33
	v_lshl_add_u32 v1, v1, 10, 0x2000
	v_lshlrev_b32_e32 v0, 7, v0
	v_and_b32_e32 v2, 0x8000, v2
	v_and_b32_e32 v1, 0xfc00, v1
	v_or3_b32 v60, v2, v1, v0
.LBB304_281:                            ;   in Loop: Header=BB304_16 Depth=1
	s_or_b32 exec_lo, exec_lo, s27
.LBB304_282:                            ;   in Loop: Header=BB304_16 Depth=1
	s_or_b32 exec_lo, exec_lo, s26
.LBB304_283:                            ;   in Loop: Header=BB304_16 Depth=1
	s_or_b32 exec_lo, exec_lo, s25
	v_lshrrev_b16 v7, 8, v33
	v_mov_b32_e32 v62, 0
	v_mov_b32_e32 v61, 0
	s_mov_b32 s25, exec_lo
	v_cmpx_ne_u16_e32 0, v7
	s_cbranch_execz .LBB304_291
; %bb.284:                              ;   in Loop: Header=BB304_16 Depth=1
	v_bfrev_b32_e32 v61, 1
	s_mov_b32 s26, exec_lo
	v_cmpx_ne_u16_e32 0x80, v7
	s_cbranch_execz .LBB304_290
; %bb.285:                              ;   in Loop: Header=BB304_16 Depth=1
	v_mov_b32_e32 v0, 0x7f
	v_mov_b32_e32 v61, 0x7c010000
	s_mov_b32 s27, exec_lo
	v_and_b32_sdwa v2, v7, v0 dst_sel:DWORD dst_unused:UNUSED_PAD src0_sel:WORD_0 src1_sel:DWORD
	v_cmpx_ne_u32_e32 0x7f, v2
	s_cbranch_execz .LBB304_289
; %bb.286:                              ;   in Loop: Header=BB304_16 Depth=1
	v_mov_b32_e32 v0, 7
	v_lshrrev_b32_e32 v1, 3, v2
	s_mov_b32 s28, exec_lo
	v_and_b32_sdwa v0, v7, v0 dst_sel:DWORD dst_unused:UNUSED_PAD src0_sel:WORD_0 src1_sel:DWORD
	v_cmpx_gt_u32_e32 8, v2
; %bb.287:                              ;   in Loop: Header=BB304_16 Depth=1
	v_ffbh_u32_e32 v0, v0
	v_min_u32_e32 v2, 32, v0
	v_subrev_nc_u32_e32 v0, 28, v2
	v_lshlrev_b64 v[0:1], v0, v[7:8]
	v_sub_nc_u32_e32 v1, 29, v2
	v_and_b32_e32 v0, 7, v0
; %bb.288:                              ;   in Loop: Header=BB304_16 Depth=1
	s_or_b32 exec_lo, exec_lo, s28
	v_mov_b32_e32 v2, 8
	v_lshl_add_u32 v1, v1, 10, 0x2000
	v_lshlrev_b32_e32 v0, 23, v0
	v_lshlrev_b32_sdwa v2, v2, v7 dst_sel:DWORD dst_unused:UNUSED_PAD src0_sel:DWORD src1_sel:WORD_0
	v_and_or_b32 v1, 0x8000, v2, v1
	v_lshl_or_b32 v61, v1, 16, v0
.LBB304_289:                            ;   in Loop: Header=BB304_16 Depth=1
	s_or_b32 exec_lo, exec_lo, s27
.LBB304_290:                            ;   in Loop: Header=BB304_16 Depth=1
	s_or_b32 exec_lo, exec_lo, s26
.LBB304_291:                            ;   in Loop: Header=BB304_16 Depth=1
	s_or_b32 exec_lo, exec_lo, s25
	v_lshrrev_b32_e32 v7, 16, v33
	v_cmp_ne_u16_sdwa s5, v7, v8 src0_sel:BYTE_0 src1_sel:DWORD
	s_and_saveexec_b32 s25, s5
	s_cbranch_execz .LBB304_299
; %bb.292:                              ;   in Loop: Header=BB304_16 Depth=1
	v_cmp_ne_u16_sdwa s5, v7, v68 src0_sel:BYTE_0 src1_sel:DWORD
	v_mov_b32_e32 v62, 0x8000
	s_and_saveexec_b32 s26, s5
	s_cbranch_execz .LBB304_298
; %bb.293:                              ;   in Loop: Header=BB304_16 Depth=1
	v_bfe_u32 v2, v33, 16, 7
	v_mov_b32_e32 v62, 0x7c01
	s_mov_b32 s27, exec_lo
	v_cmpx_ne_u32_e32 0x7f, v2
	s_cbranch_execz .LBB304_297
; %bb.294:                              ;   in Loop: Header=BB304_16 Depth=1
	v_and_b32_e32 v0, 7, v7
	v_lshrrev_b32_e32 v1, 3, v2
	s_mov_b32 s28, exec_lo
	v_cmpx_gt_u32_e32 8, v2
; %bb.295:                              ;   in Loop: Header=BB304_16 Depth=1
	v_ffbh_u32_e32 v0, v0
	v_min_u32_e32 v2, 32, v0
	v_subrev_nc_u32_e32 v0, 28, v2
	v_lshlrev_b64 v[0:1], v0, v[7:8]
	v_sub_nc_u32_e32 v1, 29, v2
	v_and_b32_e32 v0, 7, v0
; %bb.296:                              ;   in Loop: Header=BB304_16 Depth=1
	s_or_b32 exec_lo, exec_lo, s28
	v_lshlrev_b32_e32 v2, 8, v7
	v_lshl_add_u32 v1, v1, 10, 0x2000
	v_lshlrev_b32_e32 v0, 7, v0
	v_and_b32_e32 v2, 0x8000, v2
	v_and_b32_e32 v1, 0xfc00, v1
	v_or3_b32 v62, v2, v1, v0
.LBB304_297:                            ;   in Loop: Header=BB304_16 Depth=1
	s_or_b32 exec_lo, exec_lo, s27
.LBB304_298:                            ;   in Loop: Header=BB304_16 Depth=1
	s_or_b32 exec_lo, exec_lo, s26
.LBB304_299:                            ;   in Loop: Header=BB304_16 Depth=1
	s_or_b32 exec_lo, exec_lo, s25
	v_mov_b32_e32 v63, 0
	v_mov_b32_e32 v72, 0
	s_mov_b32 s25, exec_lo
	v_cmpx_lt_u32_e32 0xffffff, v33
	s_cbranch_execz .LBB304_307
; %bb.300:                              ;   in Loop: Header=BB304_16 Depth=1
	v_lshrrev_b32_e32 v7, 24, v33
	v_bfrev_b32_e32 v72, 1
	s_mov_b32 s26, exec_lo
	v_cmpx_ne_u32_e32 0x80, v7
	s_cbranch_execz .LBB304_306
; %bb.301:                              ;   in Loop: Header=BB304_16 Depth=1
	v_and_b32_e32 v2, 0x7f, v7
	v_mov_b32_e32 v72, 0x7c010000
	s_mov_b32 s27, exec_lo
	v_cmpx_ne_u32_e32 0x7f, v2
	s_cbranch_execz .LBB304_305
; %bb.302:                              ;   in Loop: Header=BB304_16 Depth=1
	v_and_b32_e32 v0, 7, v7
	v_lshrrev_b32_e32 v1, 3, v2
	s_mov_b32 s28, exec_lo
	v_cmpx_gt_u32_e32 8, v2
; %bb.303:                              ;   in Loop: Header=BB304_16 Depth=1
	v_ffbh_u32_e32 v0, v0
	v_min_u32_e32 v2, 32, v0
	v_subrev_nc_u32_e32 v0, 28, v2
	v_lshlrev_b64 v[0:1], v0, v[7:8]
	v_sub_nc_u32_e32 v1, 29, v2
	v_and_b32_e32 v0, 7, v0
; %bb.304:                              ;   in Loop: Header=BB304_16 Depth=1
	s_or_b32 exec_lo, exec_lo, s28
	v_lshlrev_b32_e32 v2, 8, v7
	v_lshl_add_u32 v1, v1, 10, 0x2000
	v_lshlrev_b32_e32 v0, 23, v0
	v_and_or_b32 v1, 0x8000, v2, v1
	v_lshl_or_b32 v72, v1, 16, v0
.LBB304_305:                            ;   in Loop: Header=BB304_16 Depth=1
	s_or_b32 exec_lo, exec_lo, s27
.LBB304_306:                            ;   in Loop: Header=BB304_16 Depth=1
	s_or_b32 exec_lo, exec_lo, s26
.LBB304_307:                            ;   in Loop: Header=BB304_16 Depth=1
	s_or_b32 exec_lo, exec_lo, s25
	v_mov_b32_e32 v7, v34
	v_cmp_ne_u16_sdwa s5, v34, v8 src0_sel:BYTE_0 src1_sel:DWORD
	s_and_saveexec_b32 s25, s5
	s_cbranch_execz .LBB304_315
; %bb.308:                              ;   in Loop: Header=BB304_16 Depth=1
	v_cmp_ne_u16_sdwa s5, v34, v68 src0_sel:BYTE_0 src1_sel:DWORD
	v_mov_b32_e32 v63, 0x8000
	s_and_saveexec_b32 s26, s5
	s_cbranch_execz .LBB304_314
; %bb.309:                              ;   in Loop: Header=BB304_16 Depth=1
	v_and_b32_e32 v2, 0x7f, v34
	v_mov_b32_e32 v63, 0x7c01
	s_mov_b32 s27, exec_lo
	v_cmpx_ne_u32_e32 0x7f, v2
	s_cbranch_execz .LBB304_313
; %bb.310:                              ;   in Loop: Header=BB304_16 Depth=1
	v_and_b32_e32 v0, 7, v34
	v_lshrrev_b32_e32 v1, 3, v2
	s_mov_b32 s28, exec_lo
	v_cmpx_gt_u32_e32 8, v2
; %bb.311:                              ;   in Loop: Header=BB304_16 Depth=1
	v_ffbh_u32_e32 v0, v0
	v_min_u32_e32 v2, 32, v0
	v_subrev_nc_u32_e32 v0, 28, v2
	v_lshlrev_b64 v[0:1], v0, v[7:8]
	v_sub_nc_u32_e32 v1, 29, v2
	v_and_b32_e32 v0, 7, v0
; %bb.312:                              ;   in Loop: Header=BB304_16 Depth=1
	s_or_b32 exec_lo, exec_lo, s28
	v_lshlrev_b32_e32 v2, 8, v34
	v_lshl_add_u32 v1, v1, 10, 0x2000
	v_lshlrev_b32_e32 v0, 7, v0
	v_and_b32_e32 v2, 0x8000, v2
	v_and_b32_e32 v1, 0xfc00, v1
	v_or3_b32 v63, v2, v1, v0
.LBB304_313:                            ;   in Loop: Header=BB304_16 Depth=1
	s_or_b32 exec_lo, exec_lo, s27
.LBB304_314:                            ;   in Loop: Header=BB304_16 Depth=1
	s_or_b32 exec_lo, exec_lo, s26
.LBB304_315:                            ;   in Loop: Header=BB304_16 Depth=1
	s_or_b32 exec_lo, exec_lo, s25
	v_lshrrev_b16 v7, 8, v7
	v_mov_b32_e32 v73, 0
	v_mov_b32_e32 v74, 0
	s_mov_b32 s25, exec_lo
	v_cmpx_ne_u16_e32 0, v7
	s_cbranch_execz .LBB304_323
; %bb.316:                              ;   in Loop: Header=BB304_16 Depth=1
	v_bfrev_b32_e32 v74, 1
	s_mov_b32 s26, exec_lo
	v_cmpx_ne_u16_e32 0x80, v7
	s_cbranch_execz .LBB304_322
; %bb.317:                              ;   in Loop: Header=BB304_16 Depth=1
	v_mov_b32_e32 v0, 0x7f
	v_mov_b32_e32 v74, 0x7c010000
	s_mov_b32 s27, exec_lo
	v_and_b32_sdwa v2, v7, v0 dst_sel:DWORD dst_unused:UNUSED_PAD src0_sel:WORD_0 src1_sel:DWORD
	v_cmpx_ne_u32_e32 0x7f, v2
	s_cbranch_execz .LBB304_321
; %bb.318:                              ;   in Loop: Header=BB304_16 Depth=1
	v_mov_b32_e32 v0, 7
	v_lshrrev_b32_e32 v1, 3, v2
	s_mov_b32 s28, exec_lo
	v_and_b32_sdwa v0, v7, v0 dst_sel:DWORD dst_unused:UNUSED_PAD src0_sel:WORD_0 src1_sel:DWORD
	v_cmpx_gt_u32_e32 8, v2
; %bb.319:                              ;   in Loop: Header=BB304_16 Depth=1
	v_ffbh_u32_e32 v0, v0
	v_min_u32_e32 v2, 32, v0
	v_subrev_nc_u32_e32 v0, 28, v2
	v_lshlrev_b64 v[0:1], v0, v[7:8]
	v_sub_nc_u32_e32 v1, 29, v2
	v_and_b32_e32 v0, 7, v0
; %bb.320:                              ;   in Loop: Header=BB304_16 Depth=1
	s_or_b32 exec_lo, exec_lo, s28
	v_mov_b32_e32 v2, 8
	v_lshl_add_u32 v1, v1, 10, 0x2000
	v_lshlrev_b32_e32 v0, 23, v0
	v_lshlrev_b32_sdwa v2, v2, v7 dst_sel:DWORD dst_unused:UNUSED_PAD src0_sel:DWORD src1_sel:WORD_0
	v_and_or_b32 v1, 0x8000, v2, v1
	v_lshl_or_b32 v74, v1, 16, v0
.LBB304_321:                            ;   in Loop: Header=BB304_16 Depth=1
	s_or_b32 exec_lo, exec_lo, s27
.LBB304_322:                            ;   in Loop: Header=BB304_16 Depth=1
	s_or_b32 exec_lo, exec_lo, s26
.LBB304_323:                            ;   in Loop: Header=BB304_16 Depth=1
	s_or_b32 exec_lo, exec_lo, s25
	v_lshrrev_b32_e32 v7, 16, v34
	v_cmp_ne_u16_sdwa s5, v7, v8 src0_sel:BYTE_0 src1_sel:DWORD
	s_and_saveexec_b32 s25, s5
	s_cbranch_execz .LBB304_331
; %bb.324:                              ;   in Loop: Header=BB304_16 Depth=1
	v_cmp_ne_u16_sdwa s5, v7, v68 src0_sel:BYTE_0 src1_sel:DWORD
	v_mov_b32_e32 v73, 0x8000
	s_and_saveexec_b32 s26, s5
	s_cbranch_execz .LBB304_330
; %bb.325:                              ;   in Loop: Header=BB304_16 Depth=1
	v_bfe_u32 v2, v34, 16, 7
	v_mov_b32_e32 v73, 0x7c01
	s_mov_b32 s27, exec_lo
	v_cmpx_ne_u32_e32 0x7f, v2
	s_cbranch_execz .LBB304_329
; %bb.326:                              ;   in Loop: Header=BB304_16 Depth=1
	v_and_b32_e32 v0, 7, v7
	v_lshrrev_b32_e32 v1, 3, v2
	s_mov_b32 s28, exec_lo
	v_cmpx_gt_u32_e32 8, v2
; %bb.327:                              ;   in Loop: Header=BB304_16 Depth=1
	v_ffbh_u32_e32 v0, v0
	v_min_u32_e32 v2, 32, v0
	v_subrev_nc_u32_e32 v0, 28, v2
	v_lshlrev_b64 v[0:1], v0, v[7:8]
	v_sub_nc_u32_e32 v1, 29, v2
	v_and_b32_e32 v0, 7, v0
; %bb.328:                              ;   in Loop: Header=BB304_16 Depth=1
	s_or_b32 exec_lo, exec_lo, s28
	v_lshlrev_b32_e32 v2, 8, v7
	v_lshl_add_u32 v1, v1, 10, 0x2000
	v_lshlrev_b32_e32 v0, 7, v0
	v_and_b32_e32 v2, 0x8000, v2
	v_and_b32_e32 v1, 0xfc00, v1
	v_or3_b32 v73, v2, v1, v0
.LBB304_329:                            ;   in Loop: Header=BB304_16 Depth=1
	s_or_b32 exec_lo, exec_lo, s27
.LBB304_330:                            ;   in Loop: Header=BB304_16 Depth=1
	s_or_b32 exec_lo, exec_lo, s26
.LBB304_331:                            ;   in Loop: Header=BB304_16 Depth=1
	s_or_b32 exec_lo, exec_lo, s25
	v_mov_b32_e32 v76, 0
	v_mov_b32_e32 v75, 0
	s_mov_b32 s25, exec_lo
	v_cmpx_lt_u64_e64 s[20:21], v[33:34]
	s_cbranch_execz .LBB304_339
; %bb.332:                              ;   in Loop: Header=BB304_16 Depth=1
	v_lshrrev_b32_e32 v7, 24, v34
	v_bfrev_b32_e32 v75, 1
	s_mov_b32 s26, exec_lo
	v_cmpx_ne_u32_e32 0x80, v7
	s_cbranch_execz .LBB304_338
; %bb.333:                              ;   in Loop: Header=BB304_16 Depth=1
	v_and_b32_e32 v2, 0x7f, v7
	v_mov_b32_e32 v75, 0x7c010000
	s_mov_b32 s27, exec_lo
	v_cmpx_ne_u32_e32 0x7f, v2
	s_cbranch_execz .LBB304_337
; %bb.334:                              ;   in Loop: Header=BB304_16 Depth=1
	v_and_b32_e32 v0, 7, v7
	v_lshrrev_b32_e32 v1, 3, v2
	s_mov_b32 s28, exec_lo
	v_cmpx_gt_u32_e32 8, v2
; %bb.335:                              ;   in Loop: Header=BB304_16 Depth=1
	v_ffbh_u32_e32 v0, v0
	v_min_u32_e32 v2, 32, v0
	v_subrev_nc_u32_e32 v0, 28, v2
	v_lshlrev_b64 v[0:1], v0, v[7:8]
	v_sub_nc_u32_e32 v1, 29, v2
	v_and_b32_e32 v0, 7, v0
; %bb.336:                              ;   in Loop: Header=BB304_16 Depth=1
	s_or_b32 exec_lo, exec_lo, s28
	v_lshlrev_b32_e32 v2, 8, v7
	v_lshl_add_u32 v1, v1, 10, 0x2000
	v_lshlrev_b32_e32 v0, 23, v0
	v_and_or_b32 v1, 0x8000, v2, v1
	v_lshl_or_b32 v75, v1, 16, v0
.LBB304_337:                            ;   in Loop: Header=BB304_16 Depth=1
	s_or_b32 exec_lo, exec_lo, s27
.LBB304_338:                            ;   in Loop: Header=BB304_16 Depth=1
	s_or_b32 exec_lo, exec_lo, s26
.LBB304_339:                            ;   in Loop: Header=BB304_16 Depth=1
	s_or_b32 exec_lo, exec_lo, s25
	flat_load_dwordx2 v[33:34], v[31:32] offset:1032
	s_waitcnt vmcnt(0) lgkmcnt(0)
	v_cmp_ne_u16_sdwa s5, v33, v8 src0_sel:BYTE_0 src1_sel:DWORD
	s_and_saveexec_b32 s25, s5
	s_cbranch_execz .LBB304_347
; %bb.340:                              ;   in Loop: Header=BB304_16 Depth=1
	v_cmp_ne_u16_sdwa s5, v33, v68 src0_sel:BYTE_0 src1_sel:DWORD
	v_mov_b32_e32 v76, 0x8000
	s_and_saveexec_b32 s26, s5
	s_cbranch_execz .LBB304_346
; %bb.341:                              ;   in Loop: Header=BB304_16 Depth=1
	v_and_b32_e32 v2, 0x7f, v33
	v_mov_b32_e32 v76, 0x7c01
	s_mov_b32 s27, exec_lo
	v_cmpx_ne_u32_e32 0x7f, v2
	s_cbranch_execz .LBB304_345
; %bb.342:                              ;   in Loop: Header=BB304_16 Depth=1
	v_and_b32_e32 v0, 7, v33
	v_lshrrev_b32_e32 v1, 3, v2
	s_mov_b32 s28, exec_lo
	v_cmpx_gt_u32_e32 8, v2
; %bb.343:                              ;   in Loop: Header=BB304_16 Depth=1
	v_ffbh_u32_e32 v0, v0
	v_min_u32_e32 v2, 32, v0
	v_subrev_nc_u32_e32 v0, 28, v2
	v_lshlrev_b64 v[0:1], v0, v[33:34]
	v_sub_nc_u32_e32 v1, 29, v2
	v_and_b32_e32 v0, 7, v0
; %bb.344:                              ;   in Loop: Header=BB304_16 Depth=1
	s_or_b32 exec_lo, exec_lo, s28
	v_lshlrev_b32_e32 v2, 8, v33
	v_lshl_add_u32 v1, v1, 10, 0x2000
	v_lshlrev_b32_e32 v0, 7, v0
	v_and_b32_e32 v2, 0x8000, v2
	v_and_b32_e32 v1, 0xfc00, v1
	v_or3_b32 v76, v2, v1, v0
.LBB304_345:                            ;   in Loop: Header=BB304_16 Depth=1
	s_or_b32 exec_lo, exec_lo, s27
.LBB304_346:                            ;   in Loop: Header=BB304_16 Depth=1
	s_or_b32 exec_lo, exec_lo, s26
.LBB304_347:                            ;   in Loop: Header=BB304_16 Depth=1
	s_or_b32 exec_lo, exec_lo, s25
	v_lshrrev_b16 v7, 8, v33
	v_mov_b32_e32 v88, 0
	v_mov_b32_e32 v79, 0
	s_mov_b32 s25, exec_lo
	v_cmpx_ne_u16_e32 0, v7
	s_cbranch_execz .LBB304_355
; %bb.348:                              ;   in Loop: Header=BB304_16 Depth=1
	v_bfrev_b32_e32 v79, 1
	s_mov_b32 s26, exec_lo
	v_cmpx_ne_u16_e32 0x80, v7
	s_cbranch_execz .LBB304_354
; %bb.349:                              ;   in Loop: Header=BB304_16 Depth=1
	v_mov_b32_e32 v0, 0x7f
	v_mov_b32_e32 v79, 0x7c010000
	s_mov_b32 s27, exec_lo
	v_and_b32_sdwa v2, v7, v0 dst_sel:DWORD dst_unused:UNUSED_PAD src0_sel:WORD_0 src1_sel:DWORD
	v_cmpx_ne_u32_e32 0x7f, v2
	s_cbranch_execz .LBB304_353
; %bb.350:                              ;   in Loop: Header=BB304_16 Depth=1
	v_mov_b32_e32 v0, 7
	v_lshrrev_b32_e32 v1, 3, v2
	s_mov_b32 s28, exec_lo
	v_and_b32_sdwa v0, v7, v0 dst_sel:DWORD dst_unused:UNUSED_PAD src0_sel:WORD_0 src1_sel:DWORD
	v_cmpx_gt_u32_e32 8, v2
; %bb.351:                              ;   in Loop: Header=BB304_16 Depth=1
	v_ffbh_u32_e32 v0, v0
	v_min_u32_e32 v2, 32, v0
	v_subrev_nc_u32_e32 v0, 28, v2
	v_lshlrev_b64 v[0:1], v0, v[7:8]
	v_sub_nc_u32_e32 v1, 29, v2
	v_and_b32_e32 v0, 7, v0
; %bb.352:                              ;   in Loop: Header=BB304_16 Depth=1
	s_or_b32 exec_lo, exec_lo, s28
	v_mov_b32_e32 v2, 8
	v_lshl_add_u32 v1, v1, 10, 0x2000
	v_lshlrev_b32_e32 v0, 23, v0
	v_lshlrev_b32_sdwa v2, v2, v7 dst_sel:DWORD dst_unused:UNUSED_PAD src0_sel:DWORD src1_sel:WORD_0
	v_and_or_b32 v1, 0x8000, v2, v1
	v_lshl_or_b32 v79, v1, 16, v0
.LBB304_353:                            ;   in Loop: Header=BB304_16 Depth=1
	s_or_b32 exec_lo, exec_lo, s27
.LBB304_354:                            ;   in Loop: Header=BB304_16 Depth=1
	s_or_b32 exec_lo, exec_lo, s26
.LBB304_355:                            ;   in Loop: Header=BB304_16 Depth=1
	s_or_b32 exec_lo, exec_lo, s25
	v_lshrrev_b32_e32 v7, 16, v33
	v_cmp_ne_u16_sdwa s5, v7, v8 src0_sel:BYTE_0 src1_sel:DWORD
	s_and_saveexec_b32 s25, s5
	s_cbranch_execz .LBB304_363
; %bb.356:                              ;   in Loop: Header=BB304_16 Depth=1
	v_cmp_ne_u16_sdwa s5, v7, v68 src0_sel:BYTE_0 src1_sel:DWORD
	v_mov_b32_e32 v88, 0x8000
	s_and_saveexec_b32 s26, s5
	s_cbranch_execz .LBB304_362
; %bb.357:                              ;   in Loop: Header=BB304_16 Depth=1
	v_bfe_u32 v2, v33, 16, 7
	v_mov_b32_e32 v88, 0x7c01
	s_mov_b32 s27, exec_lo
	v_cmpx_ne_u32_e32 0x7f, v2
	s_cbranch_execz .LBB304_361
; %bb.358:                              ;   in Loop: Header=BB304_16 Depth=1
	v_and_b32_e32 v0, 7, v7
	v_lshrrev_b32_e32 v1, 3, v2
	s_mov_b32 s28, exec_lo
	v_cmpx_gt_u32_e32 8, v2
; %bb.359:                              ;   in Loop: Header=BB304_16 Depth=1
	v_ffbh_u32_e32 v0, v0
	v_min_u32_e32 v2, 32, v0
	v_subrev_nc_u32_e32 v0, 28, v2
	v_lshlrev_b64 v[0:1], v0, v[7:8]
	v_sub_nc_u32_e32 v1, 29, v2
	v_and_b32_e32 v0, 7, v0
; %bb.360:                              ;   in Loop: Header=BB304_16 Depth=1
	s_or_b32 exec_lo, exec_lo, s28
	v_lshlrev_b32_e32 v2, 8, v7
	v_lshl_add_u32 v1, v1, 10, 0x2000
	v_lshlrev_b32_e32 v0, 7, v0
	v_and_b32_e32 v2, 0x8000, v2
	v_and_b32_e32 v1, 0xfc00, v1
	v_or3_b32 v88, v2, v1, v0
.LBB304_361:                            ;   in Loop: Header=BB304_16 Depth=1
	s_or_b32 exec_lo, exec_lo, s27
.LBB304_362:                            ;   in Loop: Header=BB304_16 Depth=1
	s_or_b32 exec_lo, exec_lo, s26
.LBB304_363:                            ;   in Loop: Header=BB304_16 Depth=1
	s_or_b32 exec_lo, exec_lo, s25
	v_mov_b32_e32 v93, 0
	v_mov_b32_e32 v94, 0
	s_mov_b32 s25, exec_lo
	v_cmpx_lt_u32_e32 0xffffff, v33
	s_cbranch_execz .LBB304_371
; %bb.364:                              ;   in Loop: Header=BB304_16 Depth=1
	v_lshrrev_b32_e32 v7, 24, v33
	v_bfrev_b32_e32 v94, 1
	s_mov_b32 s26, exec_lo
	v_cmpx_ne_u32_e32 0x80, v7
	s_cbranch_execz .LBB304_370
; %bb.365:                              ;   in Loop: Header=BB304_16 Depth=1
	v_and_b32_e32 v2, 0x7f, v7
	v_mov_b32_e32 v94, 0x7c010000
	s_mov_b32 s27, exec_lo
	v_cmpx_ne_u32_e32 0x7f, v2
	s_cbranch_execz .LBB304_369
; %bb.366:                              ;   in Loop: Header=BB304_16 Depth=1
	v_and_b32_e32 v0, 7, v7
	v_lshrrev_b32_e32 v1, 3, v2
	s_mov_b32 s28, exec_lo
	v_cmpx_gt_u32_e32 8, v2
; %bb.367:                              ;   in Loop: Header=BB304_16 Depth=1
	v_ffbh_u32_e32 v0, v0
	v_min_u32_e32 v2, 32, v0
	v_subrev_nc_u32_e32 v0, 28, v2
	v_lshlrev_b64 v[0:1], v0, v[7:8]
	v_sub_nc_u32_e32 v1, 29, v2
	v_and_b32_e32 v0, 7, v0
; %bb.368:                              ;   in Loop: Header=BB304_16 Depth=1
	s_or_b32 exec_lo, exec_lo, s28
	v_lshlrev_b32_e32 v2, 8, v7
	v_lshl_add_u32 v1, v1, 10, 0x2000
	v_lshlrev_b32_e32 v0, 23, v0
	v_and_or_b32 v1, 0x8000, v2, v1
	v_lshl_or_b32 v94, v1, 16, v0
.LBB304_369:                            ;   in Loop: Header=BB304_16 Depth=1
	s_or_b32 exec_lo, exec_lo, s27
.LBB304_370:                            ;   in Loop: Header=BB304_16 Depth=1
	s_or_b32 exec_lo, exec_lo, s26
.LBB304_371:                            ;   in Loop: Header=BB304_16 Depth=1
	s_or_b32 exec_lo, exec_lo, s25
	v_mov_b32_e32 v7, v34
	v_cmp_ne_u16_sdwa s5, v34, v8 src0_sel:BYTE_0 src1_sel:DWORD
	s_and_saveexec_b32 s25, s5
	s_cbranch_execz .LBB304_379
; %bb.372:                              ;   in Loop: Header=BB304_16 Depth=1
	v_cmp_ne_u16_sdwa s5, v34, v68 src0_sel:BYTE_0 src1_sel:DWORD
	v_mov_b32_e32 v93, 0x8000
	s_and_saveexec_b32 s26, s5
	s_cbranch_execz .LBB304_378
; %bb.373:                              ;   in Loop: Header=BB304_16 Depth=1
	v_and_b32_e32 v2, 0x7f, v34
	v_mov_b32_e32 v93, 0x7c01
	s_mov_b32 s27, exec_lo
	v_cmpx_ne_u32_e32 0x7f, v2
	s_cbranch_execz .LBB304_377
; %bb.374:                              ;   in Loop: Header=BB304_16 Depth=1
	v_and_b32_e32 v0, 7, v34
	v_lshrrev_b32_e32 v1, 3, v2
	s_mov_b32 s28, exec_lo
	v_cmpx_gt_u32_e32 8, v2
; %bb.375:                              ;   in Loop: Header=BB304_16 Depth=1
	v_ffbh_u32_e32 v0, v0
	v_min_u32_e32 v2, 32, v0
	v_subrev_nc_u32_e32 v0, 28, v2
	v_lshlrev_b64 v[0:1], v0, v[7:8]
	v_sub_nc_u32_e32 v1, 29, v2
	v_and_b32_e32 v0, 7, v0
; %bb.376:                              ;   in Loop: Header=BB304_16 Depth=1
	s_or_b32 exec_lo, exec_lo, s28
	v_lshlrev_b32_e32 v2, 8, v34
	v_lshl_add_u32 v1, v1, 10, 0x2000
	v_lshlrev_b32_e32 v0, 7, v0
	v_and_b32_e32 v2, 0x8000, v2
	v_and_b32_e32 v1, 0xfc00, v1
	v_or3_b32 v93, v2, v1, v0
.LBB304_377:                            ;   in Loop: Header=BB304_16 Depth=1
	s_or_b32 exec_lo, exec_lo, s27
.LBB304_378:                            ;   in Loop: Header=BB304_16 Depth=1
	s_or_b32 exec_lo, exec_lo, s26
.LBB304_379:                            ;   in Loop: Header=BB304_16 Depth=1
	s_or_b32 exec_lo, exec_lo, s25
	v_lshrrev_b16 v7, 8, v7
	v_mov_b32_e32 v107, 0
	v_mov_b32_e32 v108, 0
	s_mov_b32 s25, exec_lo
	v_cmpx_ne_u16_e32 0, v7
	s_cbranch_execz .LBB304_387
; %bb.380:                              ;   in Loop: Header=BB304_16 Depth=1
	v_bfrev_b32_e32 v108, 1
	s_mov_b32 s26, exec_lo
	v_cmpx_ne_u16_e32 0x80, v7
	s_cbranch_execz .LBB304_386
; %bb.381:                              ;   in Loop: Header=BB304_16 Depth=1
	v_mov_b32_e32 v0, 0x7f
	v_mov_b32_e32 v108, 0x7c010000
	s_mov_b32 s27, exec_lo
	v_and_b32_sdwa v2, v7, v0 dst_sel:DWORD dst_unused:UNUSED_PAD src0_sel:WORD_0 src1_sel:DWORD
	v_cmpx_ne_u32_e32 0x7f, v2
	s_cbranch_execz .LBB304_385
; %bb.382:                              ;   in Loop: Header=BB304_16 Depth=1
	v_mov_b32_e32 v0, 7
	v_lshrrev_b32_e32 v1, 3, v2
	s_mov_b32 s28, exec_lo
	v_and_b32_sdwa v0, v7, v0 dst_sel:DWORD dst_unused:UNUSED_PAD src0_sel:WORD_0 src1_sel:DWORD
	v_cmpx_gt_u32_e32 8, v2
; %bb.383:                              ;   in Loop: Header=BB304_16 Depth=1
	v_ffbh_u32_e32 v0, v0
	v_min_u32_e32 v2, 32, v0
	v_subrev_nc_u32_e32 v0, 28, v2
	v_lshlrev_b64 v[0:1], v0, v[7:8]
	v_sub_nc_u32_e32 v1, 29, v2
	v_and_b32_e32 v0, 7, v0
; %bb.384:                              ;   in Loop: Header=BB304_16 Depth=1
	s_or_b32 exec_lo, exec_lo, s28
	v_mov_b32_e32 v2, 8
	v_lshl_add_u32 v1, v1, 10, 0x2000
	v_lshlrev_b32_e32 v0, 23, v0
	v_lshlrev_b32_sdwa v2, v2, v7 dst_sel:DWORD dst_unused:UNUSED_PAD src0_sel:DWORD src1_sel:WORD_0
	v_and_or_b32 v1, 0x8000, v2, v1
	v_lshl_or_b32 v108, v1, 16, v0
.LBB304_385:                            ;   in Loop: Header=BB304_16 Depth=1
	s_or_b32 exec_lo, exec_lo, s27
.LBB304_386:                            ;   in Loop: Header=BB304_16 Depth=1
	s_or_b32 exec_lo, exec_lo, s26
.LBB304_387:                            ;   in Loop: Header=BB304_16 Depth=1
	s_or_b32 exec_lo, exec_lo, s25
	v_lshrrev_b32_e32 v7, 16, v34
	v_cmp_ne_u16_sdwa s5, v7, v8 src0_sel:BYTE_0 src1_sel:DWORD
	s_and_saveexec_b32 s25, s5
	s_cbranch_execz .LBB304_395
; %bb.388:                              ;   in Loop: Header=BB304_16 Depth=1
	v_cmp_ne_u16_sdwa s5, v7, v68 src0_sel:BYTE_0 src1_sel:DWORD
	v_mov_b32_e32 v107, 0x8000
	s_and_saveexec_b32 s26, s5
	s_cbranch_execz .LBB304_394
; %bb.389:                              ;   in Loop: Header=BB304_16 Depth=1
	v_bfe_u32 v2, v34, 16, 7
	v_mov_b32_e32 v107, 0x7c01
	s_mov_b32 s27, exec_lo
	v_cmpx_ne_u32_e32 0x7f, v2
	s_cbranch_execz .LBB304_393
; %bb.390:                              ;   in Loop: Header=BB304_16 Depth=1
	v_and_b32_e32 v0, 7, v7
	v_lshrrev_b32_e32 v1, 3, v2
	s_mov_b32 s28, exec_lo
	v_cmpx_gt_u32_e32 8, v2
; %bb.391:                              ;   in Loop: Header=BB304_16 Depth=1
	v_ffbh_u32_e32 v0, v0
	v_min_u32_e32 v2, 32, v0
	v_subrev_nc_u32_e32 v0, 28, v2
	v_lshlrev_b64 v[0:1], v0, v[7:8]
	v_sub_nc_u32_e32 v1, 29, v2
	v_and_b32_e32 v0, 7, v0
; %bb.392:                              ;   in Loop: Header=BB304_16 Depth=1
	s_or_b32 exec_lo, exec_lo, s28
	v_lshlrev_b32_e32 v2, 8, v7
	v_lshl_add_u32 v1, v1, 10, 0x2000
	v_lshlrev_b32_e32 v0, 7, v0
	v_and_b32_e32 v2, 0x8000, v2
	v_and_b32_e32 v1, 0xfc00, v1
	v_or3_b32 v107, v2, v1, v0
.LBB304_393:                            ;   in Loop: Header=BB304_16 Depth=1
	s_or_b32 exec_lo, exec_lo, s27
.LBB304_394:                            ;   in Loop: Header=BB304_16 Depth=1
	s_or_b32 exec_lo, exec_lo, s26
.LBB304_395:                            ;   in Loop: Header=BB304_16 Depth=1
	s_or_b32 exec_lo, exec_lo, s25
	v_mov_b32_e32 v122, 0
	v_mov_b32_e32 v111, 0
	s_mov_b32 s25, exec_lo
	v_cmpx_lt_u64_e64 s[20:21], v[33:34]
	s_cbranch_execz .LBB304_403
; %bb.396:                              ;   in Loop: Header=BB304_16 Depth=1
	v_lshrrev_b32_e32 v7, 24, v34
	v_bfrev_b32_e32 v111, 1
	s_mov_b32 s26, exec_lo
	v_cmpx_ne_u32_e32 0x80, v7
	s_cbranch_execz .LBB304_402
; %bb.397:                              ;   in Loop: Header=BB304_16 Depth=1
	v_and_b32_e32 v2, 0x7f, v7
	v_mov_b32_e32 v111, 0x7c010000
	s_mov_b32 s27, exec_lo
	v_cmpx_ne_u32_e32 0x7f, v2
	s_cbranch_execz .LBB304_401
; %bb.398:                              ;   in Loop: Header=BB304_16 Depth=1
	v_and_b32_e32 v0, 7, v7
	v_lshrrev_b32_e32 v1, 3, v2
	s_mov_b32 s28, exec_lo
	v_cmpx_gt_u32_e32 8, v2
; %bb.399:                              ;   in Loop: Header=BB304_16 Depth=1
	v_ffbh_u32_e32 v0, v0
	v_min_u32_e32 v2, 32, v0
	v_subrev_nc_u32_e32 v0, 28, v2
	v_lshlrev_b64 v[0:1], v0, v[7:8]
	v_sub_nc_u32_e32 v1, 29, v2
	v_and_b32_e32 v0, 7, v0
; %bb.400:                              ;   in Loop: Header=BB304_16 Depth=1
	s_or_b32 exec_lo, exec_lo, s28
	v_lshlrev_b32_e32 v2, 8, v7
	v_lshl_add_u32 v1, v1, 10, 0x2000
	v_lshlrev_b32_e32 v0, 23, v0
	v_and_or_b32 v1, 0x8000, v2, v1
	v_lshl_or_b32 v111, v1, 16, v0
.LBB304_401:                            ;   in Loop: Header=BB304_16 Depth=1
	s_or_b32 exec_lo, exec_lo, s27
.LBB304_402:                            ;   in Loop: Header=BB304_16 Depth=1
	s_or_b32 exec_lo, exec_lo, s26
.LBB304_403:                            ;   in Loop: Header=BB304_16 Depth=1
	s_or_b32 exec_lo, exec_lo, s25
	flat_load_dwordx2 v[33:34], v[31:32] offset:1536
	s_waitcnt vmcnt(0) lgkmcnt(0)
	v_cmp_ne_u16_sdwa s5, v33, v8 src0_sel:BYTE_0 src1_sel:DWORD
	s_and_saveexec_b32 s25, s5
	s_cbranch_execz .LBB304_411
; %bb.404:                              ;   in Loop: Header=BB304_16 Depth=1
	v_cmp_ne_u16_sdwa s5, v33, v68 src0_sel:BYTE_0 src1_sel:DWORD
	v_mov_b32_e32 v122, 0x8000
	s_and_saveexec_b32 s26, s5
	s_cbranch_execz .LBB304_410
; %bb.405:                              ;   in Loop: Header=BB304_16 Depth=1
	v_and_b32_e32 v2, 0x7f, v33
	v_mov_b32_e32 v122, 0x7c01
	s_mov_b32 s27, exec_lo
	v_cmpx_ne_u32_e32 0x7f, v2
	s_cbranch_execz .LBB304_409
; %bb.406:                              ;   in Loop: Header=BB304_16 Depth=1
	v_and_b32_e32 v0, 7, v33
	v_lshrrev_b32_e32 v1, 3, v2
	s_mov_b32 s28, exec_lo
	v_cmpx_gt_u32_e32 8, v2
; %bb.407:                              ;   in Loop: Header=BB304_16 Depth=1
	v_ffbh_u32_e32 v0, v0
	v_min_u32_e32 v2, 32, v0
	v_subrev_nc_u32_e32 v0, 28, v2
	v_lshlrev_b64 v[0:1], v0, v[33:34]
	v_sub_nc_u32_e32 v1, 29, v2
	v_and_b32_e32 v0, 7, v0
; %bb.408:                              ;   in Loop: Header=BB304_16 Depth=1
	s_or_b32 exec_lo, exec_lo, s28
	v_lshlrev_b32_e32 v2, 8, v33
	v_lshl_add_u32 v1, v1, 10, 0x2000
	v_lshlrev_b32_e32 v0, 7, v0
	v_and_b32_e32 v2, 0x8000, v2
	v_and_b32_e32 v1, 0xfc00, v1
	v_or3_b32 v122, v2, v1, v0
.LBB304_409:                            ;   in Loop: Header=BB304_16 Depth=1
	s_or_b32 exec_lo, exec_lo, s27
.LBB304_410:                            ;   in Loop: Header=BB304_16 Depth=1
	s_or_b32 exec_lo, exec_lo, s26
.LBB304_411:                            ;   in Loop: Header=BB304_16 Depth=1
	s_or_b32 exec_lo, exec_lo, s25
	v_lshrrev_b16 v7, 8, v33
	v_mov_b32_e32 v53, 0
	v_mov_b32_e32 v127, 0
	s_mov_b32 s25, exec_lo
	v_cmpx_ne_u16_e32 0, v7
	s_cbranch_execz .LBB304_419
; %bb.412:                              ;   in Loop: Header=BB304_16 Depth=1
	v_bfrev_b32_e32 v127, 1
	s_mov_b32 s26, exec_lo
	v_cmpx_ne_u16_e32 0x80, v7
	s_cbranch_execz .LBB304_418
; %bb.413:                              ;   in Loop: Header=BB304_16 Depth=1
	v_mov_b32_e32 v0, 0x7f
	v_mov_b32_e32 v127, 0x7c010000
	s_mov_b32 s27, exec_lo
	v_and_b32_sdwa v2, v7, v0 dst_sel:DWORD dst_unused:UNUSED_PAD src0_sel:WORD_0 src1_sel:DWORD
	v_cmpx_ne_u32_e32 0x7f, v2
	s_cbranch_execz .LBB304_417
; %bb.414:                              ;   in Loop: Header=BB304_16 Depth=1
	v_mov_b32_e32 v0, 7
	v_lshrrev_b32_e32 v1, 3, v2
	s_mov_b32 s28, exec_lo
	v_and_b32_sdwa v0, v7, v0 dst_sel:DWORD dst_unused:UNUSED_PAD src0_sel:WORD_0 src1_sel:DWORD
	v_cmpx_gt_u32_e32 8, v2
; %bb.415:                              ;   in Loop: Header=BB304_16 Depth=1
	v_ffbh_u32_e32 v0, v0
	v_min_u32_e32 v2, 32, v0
	v_subrev_nc_u32_e32 v0, 28, v2
	v_lshlrev_b64 v[0:1], v0, v[7:8]
	v_sub_nc_u32_e32 v1, 29, v2
	v_and_b32_e32 v0, 7, v0
; %bb.416:                              ;   in Loop: Header=BB304_16 Depth=1
	s_or_b32 exec_lo, exec_lo, s28
	v_mov_b32_e32 v2, 8
	v_lshl_add_u32 v1, v1, 10, 0x2000
	v_lshlrev_b32_e32 v0, 23, v0
	v_lshlrev_b32_sdwa v2, v2, v7 dst_sel:DWORD dst_unused:UNUSED_PAD src0_sel:DWORD src1_sel:WORD_0
	v_and_or_b32 v1, 0x8000, v2, v1
	v_lshl_or_b32 v127, v1, 16, v0
.LBB304_417:                            ;   in Loop: Header=BB304_16 Depth=1
	s_or_b32 exec_lo, exec_lo, s27
.LBB304_418:                            ;   in Loop: Header=BB304_16 Depth=1
	s_or_b32 exec_lo, exec_lo, s26
.LBB304_419:                            ;   in Loop: Header=BB304_16 Depth=1
	s_or_b32 exec_lo, exec_lo, s25
	v_lshrrev_b32_e32 v7, 16, v33
	v_cmp_ne_u16_sdwa s5, v7, v8 src0_sel:BYTE_0 src1_sel:DWORD
	s_and_saveexec_b32 s25, s5
	s_cbranch_execz .LBB304_427
; %bb.420:                              ;   in Loop: Header=BB304_16 Depth=1
	v_cmp_ne_u16_sdwa s5, v7, v68 src0_sel:BYTE_0 src1_sel:DWORD
	v_mov_b32_e32 v53, 0x8000
	s_and_saveexec_b32 s26, s5
	s_cbranch_execz .LBB304_426
; %bb.421:                              ;   in Loop: Header=BB304_16 Depth=1
	v_bfe_u32 v2, v33, 16, 7
	v_mov_b32_e32 v53, 0x7c01
	s_mov_b32 s27, exec_lo
	v_cmpx_ne_u32_e32 0x7f, v2
	s_cbranch_execz .LBB304_425
; %bb.422:                              ;   in Loop: Header=BB304_16 Depth=1
	v_and_b32_e32 v0, 7, v7
	v_lshrrev_b32_e32 v1, 3, v2
	s_mov_b32 s28, exec_lo
	v_cmpx_gt_u32_e32 8, v2
; %bb.423:                              ;   in Loop: Header=BB304_16 Depth=1
	v_ffbh_u32_e32 v0, v0
	v_min_u32_e32 v2, 32, v0
	v_subrev_nc_u32_e32 v0, 28, v2
	v_lshlrev_b64 v[0:1], v0, v[7:8]
	v_sub_nc_u32_e32 v1, 29, v2
	v_and_b32_e32 v0, 7, v0
; %bb.424:                              ;   in Loop: Header=BB304_16 Depth=1
	s_or_b32 exec_lo, exec_lo, s28
	v_lshlrev_b32_e32 v2, 8, v7
	v_lshl_add_u32 v1, v1, 10, 0x2000
	v_lshlrev_b32_e32 v0, 7, v0
	v_and_b32_e32 v2, 0x8000, v2
	v_and_b32_e32 v1, 0xfc00, v1
	v_or3_b32 v53, v2, v1, v0
.LBB304_425:                            ;   in Loop: Header=BB304_16 Depth=1
	s_or_b32 exec_lo, exec_lo, s27
.LBB304_426:                            ;   in Loop: Header=BB304_16 Depth=1
	s_or_b32 exec_lo, exec_lo, s26
.LBB304_427:                            ;   in Loop: Header=BB304_16 Depth=1
	s_or_b32 exec_lo, exec_lo, s25
	v_mov_b32_e32 v64, 0
	v_mov_b32_e32 v37, 0
	s_mov_b32 s25, exec_lo
	v_cmpx_lt_u32_e32 0xffffff, v33
	s_cbranch_execz .LBB304_435
; %bb.428:                              ;   in Loop: Header=BB304_16 Depth=1
	v_lshrrev_b32_e32 v7, 24, v33
	v_bfrev_b32_e32 v37, 1
	s_mov_b32 s26, exec_lo
	v_cmpx_ne_u32_e32 0x80, v7
	s_cbranch_execz .LBB304_434
; %bb.429:                              ;   in Loop: Header=BB304_16 Depth=1
	v_and_b32_e32 v2, 0x7f, v7
	v_mov_b32_e32 v37, 0x7c010000
	s_mov_b32 s27, exec_lo
	v_cmpx_ne_u32_e32 0x7f, v2
	s_cbranch_execz .LBB304_433
; %bb.430:                              ;   in Loop: Header=BB304_16 Depth=1
	v_and_b32_e32 v0, 7, v7
	v_lshrrev_b32_e32 v1, 3, v2
	s_mov_b32 s28, exec_lo
	v_cmpx_gt_u32_e32 8, v2
; %bb.431:                              ;   in Loop: Header=BB304_16 Depth=1
	v_ffbh_u32_e32 v0, v0
	v_min_u32_e32 v2, 32, v0
	v_subrev_nc_u32_e32 v0, 28, v2
	v_lshlrev_b64 v[0:1], v0, v[7:8]
	v_sub_nc_u32_e32 v1, 29, v2
	v_and_b32_e32 v0, 7, v0
; %bb.432:                              ;   in Loop: Header=BB304_16 Depth=1
	s_or_b32 exec_lo, exec_lo, s28
	v_lshlrev_b32_e32 v2, 8, v7
	v_lshl_add_u32 v1, v1, 10, 0x2000
	v_lshlrev_b32_e32 v0, 23, v0
	v_and_or_b32 v1, 0x8000, v2, v1
	v_lshl_or_b32 v37, v1, 16, v0
.LBB304_433:                            ;   in Loop: Header=BB304_16 Depth=1
	s_or_b32 exec_lo, exec_lo, s27
.LBB304_434:                            ;   in Loop: Header=BB304_16 Depth=1
	s_or_b32 exec_lo, exec_lo, s26
.LBB304_435:                            ;   in Loop: Header=BB304_16 Depth=1
	s_or_b32 exec_lo, exec_lo, s25
	v_mov_b32_e32 v7, v34
	v_cmp_ne_u16_sdwa s5, v34, v8 src0_sel:BYTE_0 src1_sel:DWORD
	s_and_saveexec_b32 s25, s5
	s_cbranch_execz .LBB304_443
; %bb.436:                              ;   in Loop: Header=BB304_16 Depth=1
	v_cmp_ne_u16_sdwa s5, v34, v68 src0_sel:BYTE_0 src1_sel:DWORD
	v_mov_b32_e32 v64, 0x8000
	s_and_saveexec_b32 s26, s5
	s_cbranch_execz .LBB304_442
; %bb.437:                              ;   in Loop: Header=BB304_16 Depth=1
	v_and_b32_e32 v2, 0x7f, v34
	v_mov_b32_e32 v64, 0x7c01
	s_mov_b32 s27, exec_lo
	v_cmpx_ne_u32_e32 0x7f, v2
	s_cbranch_execz .LBB304_441
; %bb.438:                              ;   in Loop: Header=BB304_16 Depth=1
	v_and_b32_e32 v0, 7, v34
	v_lshrrev_b32_e32 v1, 3, v2
	s_mov_b32 s28, exec_lo
	v_cmpx_gt_u32_e32 8, v2
; %bb.439:                              ;   in Loop: Header=BB304_16 Depth=1
	v_ffbh_u32_e32 v0, v0
	v_min_u32_e32 v2, 32, v0
	v_subrev_nc_u32_e32 v0, 28, v2
	v_lshlrev_b64 v[0:1], v0, v[7:8]
	v_sub_nc_u32_e32 v1, 29, v2
	v_and_b32_e32 v0, 7, v0
; %bb.440:                              ;   in Loop: Header=BB304_16 Depth=1
	s_or_b32 exec_lo, exec_lo, s28
	v_lshlrev_b32_e32 v2, 8, v34
	v_lshl_add_u32 v1, v1, 10, 0x2000
	v_lshlrev_b32_e32 v0, 7, v0
	v_and_b32_e32 v2, 0x8000, v2
	v_and_b32_e32 v1, 0xfc00, v1
	v_or3_b32 v64, v2, v1, v0
.LBB304_441:                            ;   in Loop: Header=BB304_16 Depth=1
	s_or_b32 exec_lo, exec_lo, s27
.LBB304_442:                            ;   in Loop: Header=BB304_16 Depth=1
	s_or_b32 exec_lo, exec_lo, s26
.LBB304_443:                            ;   in Loop: Header=BB304_16 Depth=1
	s_or_b32 exec_lo, exec_lo, s25
	v_lshrrev_b16 v7, 8, v7
	v_mov_b32_e32 v11, 0
	v_mov_b32_e32 v1, 0
	s_mov_b32 s25, exec_lo
	v_cmpx_ne_u16_e32 0, v7
	s_cbranch_execz .LBB304_451
; %bb.444:                              ;   in Loop: Header=BB304_16 Depth=1
	v_bfrev_b32_e32 v1, 1
	s_mov_b32 s26, exec_lo
	v_cmpx_ne_u16_e32 0x80, v7
	s_cbranch_execz .LBB304_450
; %bb.445:                              ;   in Loop: Header=BB304_16 Depth=1
	v_mov_b32_e32 v0, 0x7f
	v_mov_b32_e32 v1, 0x7c010000
	s_mov_b32 s27, exec_lo
	v_and_b32_sdwa v2, v7, v0 dst_sel:DWORD dst_unused:UNUSED_PAD src0_sel:WORD_0 src1_sel:DWORD
	v_cmpx_ne_u32_e32 0x7f, v2
	s_cbranch_execz .LBB304_449
; %bb.446:                              ;   in Loop: Header=BB304_16 Depth=1
	v_mov_b32_e32 v0, 7
	v_lshrrev_b32_e32 v1, 3, v2
	s_mov_b32 s28, exec_lo
	v_and_b32_sdwa v0, v7, v0 dst_sel:DWORD dst_unused:UNUSED_PAD src0_sel:WORD_0 src1_sel:DWORD
	v_cmpx_gt_u32_e32 8, v2
; %bb.447:                              ;   in Loop: Header=BB304_16 Depth=1
	v_ffbh_u32_e32 v0, v0
	v_min_u32_e32 v2, 32, v0
	v_subrev_nc_u32_e32 v0, 28, v2
	v_lshlrev_b64 v[0:1], v0, v[7:8]
	v_sub_nc_u32_e32 v1, 29, v2
	v_and_b32_e32 v0, 7, v0
; %bb.448:                              ;   in Loop: Header=BB304_16 Depth=1
	s_or_b32 exec_lo, exec_lo, s28
	v_mov_b32_e32 v2, 8
	v_lshl_add_u32 v1, v1, 10, 0x2000
	v_lshlrev_b32_e32 v0, 23, v0
	v_lshlrev_b32_sdwa v2, v2, v7 dst_sel:DWORD dst_unused:UNUSED_PAD src0_sel:DWORD src1_sel:WORD_0
	v_and_or_b32 v1, 0x8000, v2, v1
	v_lshl_or_b32 v1, v1, 16, v0
.LBB304_449:                            ;   in Loop: Header=BB304_16 Depth=1
	s_or_b32 exec_lo, exec_lo, s27
.LBB304_450:                            ;   in Loop: Header=BB304_16 Depth=1
	s_or_b32 exec_lo, exec_lo, s26
.LBB304_451:                            ;   in Loop: Header=BB304_16 Depth=1
	s_or_b32 exec_lo, exec_lo, s25
	v_lshrrev_b32_e32 v7, 16, v34
	v_cmp_ne_u16_sdwa s5, v7, v8 src0_sel:BYTE_0 src1_sel:DWORD
	s_and_saveexec_b32 s25, s5
	s_cbranch_execz .LBB304_459
; %bb.452:                              ;   in Loop: Header=BB304_16 Depth=1
	v_cmp_ne_u16_sdwa s5, v7, v68 src0_sel:BYTE_0 src1_sel:DWORD
	v_mov_b32_e32 v11, 0x8000
	s_and_saveexec_b32 s26, s5
	s_cbranch_execz .LBB304_458
; %bb.453:                              ;   in Loop: Header=BB304_16 Depth=1
	v_bfe_u32 v3, v34, 16, 7
	v_mov_b32_e32 v11, 0x7c01
	s_mov_b32 s27, exec_lo
	v_cmpx_ne_u32_e32 0x7f, v3
	s_cbranch_execz .LBB304_457
; %bb.454:                              ;   in Loop: Header=BB304_16 Depth=1
	v_and_b32_e32 v0, 7, v7
	v_lshrrev_b32_e32 v2, 3, v3
	s_mov_b32 s28, exec_lo
	v_cmpx_gt_u32_e32 8, v3
; %bb.455:                              ;   in Loop: Header=BB304_16 Depth=1
	v_ffbh_u32_e32 v0, v0
	v_min_u32_e32 v0, 32, v0
	v_subrev_nc_u32_e32 v2, 28, v0
	v_lshlrev_b64 v[3:4], v2, v[7:8]
	v_sub_nc_u32_e32 v2, 29, v0
	v_and_b32_e32 v0, 7, v3
; %bb.456:                              ;   in Loop: Header=BB304_16 Depth=1
	s_or_b32 exec_lo, exec_lo, s28
	v_lshlrev_b32_e32 v3, 8, v7
	v_lshl_add_u32 v2, v2, 10, 0x2000
	v_lshlrev_b32_e32 v0, 7, v0
	v_and_b32_e32 v3, 0x8000, v3
	v_and_b32_e32 v2, 0xfc00, v2
	v_or3_b32 v11, v3, v2, v0
.LBB304_457:                            ;   in Loop: Header=BB304_16 Depth=1
	s_or_b32 exec_lo, exec_lo, s27
.LBB304_458:                            ;   in Loop: Header=BB304_16 Depth=1
	s_or_b32 exec_lo, exec_lo, s26
.LBB304_459:                            ;   in Loop: Header=BB304_16 Depth=1
	s_or_b32 exec_lo, exec_lo, s25
	v_mov_b32_e32 v2, 0
	v_mov_b32_e32 v18, 0
	s_mov_b32 s25, exec_lo
	v_cmpx_lt_u64_e64 s[20:21], v[33:34]
	s_cbranch_execz .LBB304_467
; %bb.460:                              ;   in Loop: Header=BB304_16 Depth=1
	v_lshrrev_b32_e32 v7, 24, v34
	v_bfrev_b32_e32 v18, 1
	s_mov_b32 s26, exec_lo
	v_cmpx_ne_u32_e32 0x80, v7
	s_cbranch_execz .LBB304_466
; %bb.461:                              ;   in Loop: Header=BB304_16 Depth=1
	v_and_b32_e32 v4, 0x7f, v7
	v_mov_b32_e32 v18, 0x7c010000
	s_mov_b32 s27, exec_lo
	v_cmpx_ne_u32_e32 0x7f, v4
	s_cbranch_execz .LBB304_465
; %bb.462:                              ;   in Loop: Header=BB304_16 Depth=1
	v_and_b32_e32 v0, 7, v7
	v_lshrrev_b32_e32 v3, 3, v4
	s_mov_b32 s28, exec_lo
	v_cmpx_gt_u32_e32 8, v4
; %bb.463:                              ;   in Loop: Header=BB304_16 Depth=1
	v_ffbh_u32_e32 v0, v0
	v_min_u32_e32 v0, 32, v0
	v_subrev_nc_u32_e32 v3, 28, v0
	v_lshlrev_b64 v[4:5], v3, v[7:8]
	v_sub_nc_u32_e32 v3, 29, v0
	v_and_b32_e32 v0, 7, v4
; %bb.464:                              ;   in Loop: Header=BB304_16 Depth=1
	s_or_b32 exec_lo, exec_lo, s28
	v_lshlrev_b32_e32 v4, 8, v7
	v_lshl_add_u32 v3, v3, 10, 0x2000
	v_lshlrev_b32_e32 v0, 23, v0
	v_and_or_b32 v3, 0x8000, v4, v3
	v_lshl_or_b32 v18, v3, 16, v0
.LBB304_465:                            ;   in Loop: Header=BB304_16 Depth=1
	s_or_b32 exec_lo, exec_lo, s27
.LBB304_466:                            ;   in Loop: Header=BB304_16 Depth=1
	s_or_b32 exec_lo, exec_lo, s26
.LBB304_467:                            ;   in Loop: Header=BB304_16 Depth=1
	s_or_b32 exec_lo, exec_lo, s25
	flat_load_dwordx2 v[33:34], v[31:32] offset:1544
	s_waitcnt vmcnt(0) lgkmcnt(0)
	v_cmp_ne_u16_sdwa s5, v33, v8 src0_sel:BYTE_0 src1_sel:DWORD
	s_and_saveexec_b32 s25, s5
	s_cbranch_execz .LBB304_475
; %bb.468:                              ;   in Loop: Header=BB304_16 Depth=1
	v_cmp_ne_u16_sdwa s5, v33, v68 src0_sel:BYTE_0 src1_sel:DWORD
	v_mov_b32_e32 v2, 0x8000
	s_and_saveexec_b32 s26, s5
	s_cbranch_execz .LBB304_474
; %bb.469:                              ;   in Loop: Header=BB304_16 Depth=1
	v_and_b32_e32 v3, 0x7f, v33
	v_mov_b32_e32 v2, 0x7c01
	s_mov_b32 s27, exec_lo
	v_cmpx_ne_u32_e32 0x7f, v3
	s_cbranch_execz .LBB304_473
; %bb.470:                              ;   in Loop: Header=BB304_16 Depth=1
	v_and_b32_e32 v0, 7, v33
	v_lshrrev_b32_e32 v2, 3, v3
	s_mov_b32 s28, exec_lo
	v_cmpx_gt_u32_e32 8, v3
; %bb.471:                              ;   in Loop: Header=BB304_16 Depth=1
	v_ffbh_u32_e32 v0, v0
	v_min_u32_e32 v0, 32, v0
	v_subrev_nc_u32_e32 v2, 28, v0
	v_lshlrev_b64 v[3:4], v2, v[33:34]
	v_sub_nc_u32_e32 v2, 29, v0
	v_and_b32_e32 v0, 7, v3
; %bb.472:                              ;   in Loop: Header=BB304_16 Depth=1
	s_or_b32 exec_lo, exec_lo, s28
	v_lshlrev_b32_e32 v3, 8, v33
	v_lshl_add_u32 v2, v2, 10, 0x2000
	v_lshlrev_b32_e32 v0, 7, v0
	v_and_b32_e32 v3, 0x8000, v3
	v_and_b32_e32 v2, 0xfc00, v2
	v_or3_b32 v2, v3, v2, v0
.LBB304_473:                            ;   in Loop: Header=BB304_16 Depth=1
	s_or_b32 exec_lo, exec_lo, s27
.LBB304_474:                            ;   in Loop: Header=BB304_16 Depth=1
	s_or_b32 exec_lo, exec_lo, s26
.LBB304_475:                            ;   in Loop: Header=BB304_16 Depth=1
	s_or_b32 exec_lo, exec_lo, s25
	v_lshrrev_b16 v7, 8, v33
	v_mov_b32_e32 v12, 0
	v_mov_b32_e32 v3, 0
	s_mov_b32 s25, exec_lo
	v_cmpx_ne_u16_e32 0, v7
	s_cbranch_execz .LBB304_483
; %bb.476:                              ;   in Loop: Header=BB304_16 Depth=1
	v_bfrev_b32_e32 v3, 1
	s_mov_b32 s26, exec_lo
	v_cmpx_ne_u16_e32 0x80, v7
	s_cbranch_execz .LBB304_482
; %bb.477:                              ;   in Loop: Header=BB304_16 Depth=1
	v_mov_b32_e32 v0, 0x7f
	v_mov_b32_e32 v3, 0x7c010000
	s_mov_b32 s27, exec_lo
	v_and_b32_sdwa v4, v7, v0 dst_sel:DWORD dst_unused:UNUSED_PAD src0_sel:WORD_0 src1_sel:DWORD
	v_cmpx_ne_u32_e32 0x7f, v4
	s_cbranch_execz .LBB304_481
; %bb.478:                              ;   in Loop: Header=BB304_16 Depth=1
	v_mov_b32_e32 v0, 7
	v_lshrrev_b32_e32 v3, 3, v4
	s_mov_b32 s28, exec_lo
	v_and_b32_sdwa v0, v7, v0 dst_sel:DWORD dst_unused:UNUSED_PAD src0_sel:WORD_0 src1_sel:DWORD
	v_cmpx_gt_u32_e32 8, v4
; %bb.479:                              ;   in Loop: Header=BB304_16 Depth=1
	v_ffbh_u32_e32 v0, v0
	v_min_u32_e32 v0, 32, v0
	v_subrev_nc_u32_e32 v3, 28, v0
	v_lshlrev_b64 v[4:5], v3, v[7:8]
	v_sub_nc_u32_e32 v3, 29, v0
	v_and_b32_e32 v0, 7, v4
; %bb.480:                              ;   in Loop: Header=BB304_16 Depth=1
	s_or_b32 exec_lo, exec_lo, s28
	v_mov_b32_e32 v4, 8
	v_lshl_add_u32 v3, v3, 10, 0x2000
	v_lshlrev_b32_e32 v0, 23, v0
	v_lshlrev_b32_sdwa v4, v4, v7 dst_sel:DWORD dst_unused:UNUSED_PAD src0_sel:DWORD src1_sel:WORD_0
	v_and_or_b32 v3, 0x8000, v4, v3
	v_lshl_or_b32 v3, v3, 16, v0
.LBB304_481:                            ;   in Loop: Header=BB304_16 Depth=1
	s_or_b32 exec_lo, exec_lo, s27
.LBB304_482:                            ;   in Loop: Header=BB304_16 Depth=1
	s_or_b32 exec_lo, exec_lo, s26
.LBB304_483:                            ;   in Loop: Header=BB304_16 Depth=1
	s_or_b32 exec_lo, exec_lo, s25
	v_lshrrev_b32_e32 v7, 16, v33
	v_cmp_ne_u16_sdwa s5, v7, v8 src0_sel:BYTE_0 src1_sel:DWORD
	s_and_saveexec_b32 s25, s5
	s_cbranch_execz .LBB304_491
; %bb.484:                              ;   in Loop: Header=BB304_16 Depth=1
	v_cmp_ne_u16_sdwa s5, v7, v68 src0_sel:BYTE_0 src1_sel:DWORD
	v_mov_b32_e32 v12, 0x8000
	s_and_saveexec_b32 s26, s5
	s_cbranch_execz .LBB304_490
; %bb.485:                              ;   in Loop: Header=BB304_16 Depth=1
	v_bfe_u32 v5, v33, 16, 7
	v_mov_b32_e32 v12, 0x7c01
	s_mov_b32 s27, exec_lo
	v_cmpx_ne_u32_e32 0x7f, v5
	s_cbranch_execz .LBB304_489
; %bb.486:                              ;   in Loop: Header=BB304_16 Depth=1
	v_and_b32_e32 v0, 7, v7
	v_lshrrev_b32_e32 v4, 3, v5
	s_mov_b32 s28, exec_lo
	v_cmpx_gt_u32_e32 8, v5
; %bb.487:                              ;   in Loop: Header=BB304_16 Depth=1
	v_ffbh_u32_e32 v0, v0
	v_min_u32_e32 v0, 32, v0
	v_subrev_nc_u32_e32 v4, 28, v0
	v_lshlrev_b64 v[5:6], v4, v[7:8]
	v_sub_nc_u32_e32 v4, 29, v0
	v_and_b32_e32 v0, 7, v5
; %bb.488:                              ;   in Loop: Header=BB304_16 Depth=1
	s_or_b32 exec_lo, exec_lo, s28
	v_lshlrev_b32_e32 v5, 8, v7
	v_lshl_add_u32 v4, v4, 10, 0x2000
	v_lshlrev_b32_e32 v0, 7, v0
	v_and_b32_e32 v5, 0x8000, v5
	v_and_b32_e32 v4, 0xfc00, v4
	v_or3_b32 v12, v5, v4, v0
.LBB304_489:                            ;   in Loop: Header=BB304_16 Depth=1
	s_or_b32 exec_lo, exec_lo, s27
.LBB304_490:                            ;   in Loop: Header=BB304_16 Depth=1
	s_or_b32 exec_lo, exec_lo, s26
.LBB304_491:                            ;   in Loop: Header=BB304_16 Depth=1
	s_or_b32 exec_lo, exec_lo, s25
	v_mov_b32_e32 v14, 0
	v_mov_b32_e32 v15, 0
	s_mov_b32 s25, exec_lo
	v_cmpx_lt_u32_e32 0xffffff, v33
	s_cbranch_execz .LBB304_499
; %bb.492:                              ;   in Loop: Header=BB304_16 Depth=1
	v_lshrrev_b32_e32 v7, 24, v33
	v_bfrev_b32_e32 v15, 1
	s_mov_b32 s26, exec_lo
	v_cmpx_ne_u32_e32 0x80, v7
	s_cbranch_execz .LBB304_498
; %bb.493:                              ;   in Loop: Header=BB304_16 Depth=1
	v_and_b32_e32 v5, 0x7f, v7
	v_mov_b32_e32 v15, 0x7c010000
	s_mov_b32 s27, exec_lo
	v_cmpx_ne_u32_e32 0x7f, v5
	s_cbranch_execz .LBB304_497
; %bb.494:                              ;   in Loop: Header=BB304_16 Depth=1
	v_and_b32_e32 v0, 7, v7
	v_lshrrev_b32_e32 v4, 3, v5
	s_mov_b32 s28, exec_lo
	v_cmpx_gt_u32_e32 8, v5
; %bb.495:                              ;   in Loop: Header=BB304_16 Depth=1
	v_ffbh_u32_e32 v0, v0
	v_min_u32_e32 v0, 32, v0
	v_subrev_nc_u32_e32 v4, 28, v0
	v_lshlrev_b64 v[5:6], v4, v[7:8]
	v_sub_nc_u32_e32 v4, 29, v0
	v_and_b32_e32 v0, 7, v5
; %bb.496:                              ;   in Loop: Header=BB304_16 Depth=1
	s_or_b32 exec_lo, exec_lo, s28
	v_lshlrev_b32_e32 v5, 8, v7
	v_lshl_add_u32 v4, v4, 10, 0x2000
	v_lshlrev_b32_e32 v0, 23, v0
	v_and_or_b32 v4, 0x8000, v5, v4
	v_lshl_or_b32 v15, v4, 16, v0
.LBB304_497:                            ;   in Loop: Header=BB304_16 Depth=1
	s_or_b32 exec_lo, exec_lo, s27
.LBB304_498:                            ;   in Loop: Header=BB304_16 Depth=1
	s_or_b32 exec_lo, exec_lo, s26
.LBB304_499:                            ;   in Loop: Header=BB304_16 Depth=1
	s_or_b32 exec_lo, exec_lo, s25
	v_mov_b32_e32 v7, v34
	v_cmp_ne_u16_sdwa s5, v34, v8 src0_sel:BYTE_0 src1_sel:DWORD
	s_and_saveexec_b32 s25, s5
	s_cbranch_execz .LBB304_507
; %bb.500:                              ;   in Loop: Header=BB304_16 Depth=1
	v_cmp_ne_u16_sdwa s5, v34, v68 src0_sel:BYTE_0 src1_sel:DWORD
	v_mov_b32_e32 v14, 0x8000
	s_and_saveexec_b32 s26, s5
	s_cbranch_execz .LBB304_506
; %bb.501:                              ;   in Loop: Header=BB304_16 Depth=1
	v_and_b32_e32 v5, 0x7f, v34
	v_mov_b32_e32 v14, 0x7c01
	s_mov_b32 s27, exec_lo
	v_cmpx_ne_u32_e32 0x7f, v5
	s_cbranch_execz .LBB304_505
; %bb.502:                              ;   in Loop: Header=BB304_16 Depth=1
	v_and_b32_e32 v0, 7, v34
	v_lshrrev_b32_e32 v4, 3, v5
	s_mov_b32 s28, exec_lo
	v_cmpx_gt_u32_e32 8, v5
; %bb.503:                              ;   in Loop: Header=BB304_16 Depth=1
	v_ffbh_u32_e32 v0, v0
	v_min_u32_e32 v0, 32, v0
	v_subrev_nc_u32_e32 v4, 28, v0
	v_lshlrev_b64 v[5:6], v4, v[7:8]
	v_sub_nc_u32_e32 v4, 29, v0
	v_and_b32_e32 v0, 7, v5
; %bb.504:                              ;   in Loop: Header=BB304_16 Depth=1
	s_or_b32 exec_lo, exec_lo, s28
	v_lshlrev_b32_e32 v5, 8, v34
	v_lshl_add_u32 v4, v4, 10, 0x2000
	v_lshlrev_b32_e32 v0, 7, v0
	v_and_b32_e32 v5, 0x8000, v5
	v_and_b32_e32 v4, 0xfc00, v4
	v_or3_b32 v14, v5, v4, v0
.LBB304_505:                            ;   in Loop: Header=BB304_16 Depth=1
	s_or_b32 exec_lo, exec_lo, s27
.LBB304_506:                            ;   in Loop: Header=BB304_16 Depth=1
	s_or_b32 exec_lo, exec_lo, s26
.LBB304_507:                            ;   in Loop: Header=BB304_16 Depth=1
	s_or_b32 exec_lo, exec_lo, s25
	v_lshrrev_b16 v7, 8, v7
	v_mov_b32_e32 v30, 0
	v_mov_b32_e32 v19, 0
	s_mov_b32 s25, exec_lo
	v_cmpx_ne_u16_e32 0, v7
	s_cbranch_execz .LBB304_515
; %bb.508:                              ;   in Loop: Header=BB304_16 Depth=1
	v_bfrev_b32_e32 v19, 1
	s_mov_b32 s26, exec_lo
	v_cmpx_ne_u16_e32 0x80, v7
	s_cbranch_execz .LBB304_514
; %bb.509:                              ;   in Loop: Header=BB304_16 Depth=1
	v_mov_b32_e32 v0, 0x7f
	v_mov_b32_e32 v19, 0x7c010000
	s_mov_b32 s27, exec_lo
	v_and_b32_sdwa v5, v7, v0 dst_sel:DWORD dst_unused:UNUSED_PAD src0_sel:WORD_0 src1_sel:DWORD
	v_cmpx_ne_u32_e32 0x7f, v5
	s_cbranch_execz .LBB304_513
; %bb.510:                              ;   in Loop: Header=BB304_16 Depth=1
	v_mov_b32_e32 v0, 7
	v_lshrrev_b32_e32 v4, 3, v5
	s_mov_b32 s28, exec_lo
	v_and_b32_sdwa v0, v7, v0 dst_sel:DWORD dst_unused:UNUSED_PAD src0_sel:WORD_0 src1_sel:DWORD
	v_cmpx_gt_u32_e32 8, v5
; %bb.511:                              ;   in Loop: Header=BB304_16 Depth=1
	v_ffbh_u32_e32 v0, v0
	v_min_u32_e32 v0, 32, v0
	v_subrev_nc_u32_e32 v4, 28, v0
	v_lshlrev_b64 v[5:6], v4, v[7:8]
	v_sub_nc_u32_e32 v4, 29, v0
	v_and_b32_e32 v0, 7, v5
; %bb.512:                              ;   in Loop: Header=BB304_16 Depth=1
	s_or_b32 exec_lo, exec_lo, s28
	v_mov_b32_e32 v5, 8
	v_lshl_add_u32 v4, v4, 10, 0x2000
	v_lshlrev_b32_e32 v0, 23, v0
	v_lshlrev_b32_sdwa v5, v5, v7 dst_sel:DWORD dst_unused:UNUSED_PAD src0_sel:DWORD src1_sel:WORD_0
	v_and_or_b32 v4, 0x8000, v5, v4
	v_lshl_or_b32 v19, v4, 16, v0
.LBB304_513:                            ;   in Loop: Header=BB304_16 Depth=1
	s_or_b32 exec_lo, exec_lo, s27
.LBB304_514:                            ;   in Loop: Header=BB304_16 Depth=1
	s_or_b32 exec_lo, exec_lo, s26
.LBB304_515:                            ;   in Loop: Header=BB304_16 Depth=1
	s_or_b32 exec_lo, exec_lo, s25
	v_lshrrev_b32_e32 v7, 16, v34
	v_cmp_ne_u16_sdwa s5, v7, v8 src0_sel:BYTE_0 src1_sel:DWORD
	s_and_saveexec_b32 s25, s5
	s_cbranch_execz .LBB304_523
; %bb.516:                              ;   in Loop: Header=BB304_16 Depth=1
	v_cmp_ne_u16_sdwa s5, v7, v68 src0_sel:BYTE_0 src1_sel:DWORD
	v_mov_b32_e32 v30, 0x8000
	s_and_saveexec_b32 s26, s5
	s_cbranch_execz .LBB304_522
; %bb.517:                              ;   in Loop: Header=BB304_16 Depth=1
	v_bfe_u32 v5, v34, 16, 7
	v_mov_b32_e32 v30, 0x7c01
	s_mov_b32 s27, exec_lo
	v_cmpx_ne_u32_e32 0x7f, v5
	s_cbranch_execz .LBB304_521
; %bb.518:                              ;   in Loop: Header=BB304_16 Depth=1
	v_and_b32_e32 v0, 7, v7
	v_lshrrev_b32_e32 v4, 3, v5
	s_mov_b32 s28, exec_lo
	v_cmpx_gt_u32_e32 8, v5
; %bb.519:                              ;   in Loop: Header=BB304_16 Depth=1
	v_ffbh_u32_e32 v0, v0
	v_min_u32_e32 v0, 32, v0
	v_subrev_nc_u32_e32 v4, 28, v0
	v_lshlrev_b64 v[5:6], v4, v[7:8]
	v_sub_nc_u32_e32 v4, 29, v0
	v_and_b32_e32 v0, 7, v5
; %bb.520:                              ;   in Loop: Header=BB304_16 Depth=1
	s_or_b32 exec_lo, exec_lo, s28
	v_lshlrev_b32_e32 v5, 8, v7
	v_lshl_add_u32 v4, v4, 10, 0x2000
	v_lshlrev_b32_e32 v0, 7, v0
	v_and_b32_e32 v5, 0x8000, v5
	v_and_b32_e32 v4, 0xfc00, v4
	v_or3_b32 v30, v5, v4, v0
.LBB304_521:                            ;   in Loop: Header=BB304_16 Depth=1
	s_or_b32 exec_lo, exec_lo, s27
.LBB304_522:                            ;   in Loop: Header=BB304_16 Depth=1
	s_or_b32 exec_lo, exec_lo, s26
.LBB304_523:                            ;   in Loop: Header=BB304_16 Depth=1
	s_or_b32 exec_lo, exec_lo, s25
	v_mov_b32_e32 v0, 0
	v_mov_b32_e32 v80, 0
	s_mov_b32 s25, exec_lo
	v_cmpx_lt_u64_e64 s[20:21], v[33:34]
	s_cbranch_execz .LBB304_531
; %bb.524:                              ;   in Loop: Header=BB304_16 Depth=1
	v_lshrrev_b32_e32 v7, 24, v34
	v_bfrev_b32_e32 v80, 1
	s_mov_b32 s26, exec_lo
	v_cmpx_ne_u32_e32 0x80, v7
	s_cbranch_execz .LBB304_530
; %bb.525:                              ;   in Loop: Header=BB304_16 Depth=1
	v_and_b32_e32 v6, 0x7f, v7
	v_mov_b32_e32 v80, 0x7c010000
	s_mov_b32 s27, exec_lo
	v_cmpx_ne_u32_e32 0x7f, v6
	s_cbranch_execz .LBB304_529
; %bb.526:                              ;   in Loop: Header=BB304_16 Depth=1
	v_and_b32_e32 v4, 7, v7
	v_lshrrev_b32_e32 v5, 3, v6
	s_mov_b32 s28, exec_lo
	v_cmpx_gt_u32_e32 8, v6
; %bb.527:                              ;   in Loop: Header=BB304_16 Depth=1
	v_ffbh_u32_e32 v4, v4
	v_min_u32_e32 v6, 32, v4
	v_subrev_nc_u32_e32 v4, 28, v6
	v_lshlrev_b64 v[4:5], v4, v[7:8]
	v_sub_nc_u32_e32 v5, 29, v6
	v_and_b32_e32 v4, 7, v4
; %bb.528:                              ;   in Loop: Header=BB304_16 Depth=1
	s_or_b32 exec_lo, exec_lo, s28
	v_lshlrev_b32_e32 v6, 8, v7
	v_lshl_add_u32 v5, v5, 10, 0x2000
	v_lshlrev_b32_e32 v4, 23, v4
	v_and_or_b32 v5, 0x8000, v6, v5
	v_lshl_or_b32 v80, v5, 16, v4
.LBB304_529:                            ;   in Loop: Header=BB304_16 Depth=1
	s_or_b32 exec_lo, exec_lo, s27
.LBB304_530:                            ;   in Loop: Header=BB304_16 Depth=1
	s_or_b32 exec_lo, exec_lo, s26
.LBB304_531:                            ;   in Loop: Header=BB304_16 Depth=1
	s_or_b32 exec_lo, exec_lo, s25
	v_add_co_u32 v31, s5, 0x800, v31
	v_add_co_ci_u32_e64 v32, null, 0, v32, s5
	flat_load_dwordx2 v[33:34], v[31:32]
	s_waitcnt vmcnt(0) lgkmcnt(0)
	v_cmp_ne_u16_sdwa s5, v33, v8 src0_sel:BYTE_0 src1_sel:DWORD
	s_and_saveexec_b32 s25, s5
	s_cbranch_execz .LBB304_539
; %bb.532:                              ;   in Loop: Header=BB304_16 Depth=1
	v_cmp_ne_u16_sdwa s5, v33, v68 src0_sel:BYTE_0 src1_sel:DWORD
	v_mov_b32_e32 v0, 0x8000
	s_and_saveexec_b32 s26, s5
	s_cbranch_execz .LBB304_538
; %bb.533:                              ;   in Loop: Header=BB304_16 Depth=1
	v_and_b32_e32 v5, 0x7f, v33
	v_mov_b32_e32 v0, 0x7c01
	s_mov_b32 s27, exec_lo
	v_cmpx_ne_u32_e32 0x7f, v5
	s_cbranch_execz .LBB304_537
; %bb.534:                              ;   in Loop: Header=BB304_16 Depth=1
	v_and_b32_e32 v0, 7, v33
	v_lshrrev_b32_e32 v4, 3, v5
	s_mov_b32 s28, exec_lo
	v_cmpx_gt_u32_e32 8, v5
; %bb.535:                              ;   in Loop: Header=BB304_16 Depth=1
	v_ffbh_u32_e32 v0, v0
	v_min_u32_e32 v0, 32, v0
	v_subrev_nc_u32_e32 v4, 28, v0
	v_lshlrev_b64 v[5:6], v4, v[33:34]
	v_sub_nc_u32_e32 v4, 29, v0
	v_and_b32_e32 v0, 7, v5
; %bb.536:                              ;   in Loop: Header=BB304_16 Depth=1
	s_or_b32 exec_lo, exec_lo, s28
	v_lshlrev_b32_e32 v5, 8, v33
	v_lshl_add_u32 v4, v4, 10, 0x2000
	v_lshlrev_b32_e32 v0, 7, v0
	v_and_b32_e32 v5, 0x8000, v5
	v_and_b32_e32 v4, 0xfc00, v4
	v_or3_b32 v0, v5, v4, v0
.LBB304_537:                            ;   in Loop: Header=BB304_16 Depth=1
	s_or_b32 exec_lo, exec_lo, s27
.LBB304_538:                            ;   in Loop: Header=BB304_16 Depth=1
	s_or_b32 exec_lo, exec_lo, s26
.LBB304_539:                            ;   in Loop: Header=BB304_16 Depth=1
	s_or_b32 exec_lo, exec_lo, s25
	v_lshrrev_b16 v7, 8, v33
	v_mov_b32_e32 v5, 0
	v_mov_b32_e32 v4, 0
	s_mov_b32 s25, exec_lo
	v_cmpx_ne_u16_e32 0, v7
	s_cbranch_execz .LBB304_547
; %bb.540:                              ;   in Loop: Header=BB304_16 Depth=1
	v_bfrev_b32_e32 v4, 1
	s_mov_b32 s26, exec_lo
	v_cmpx_ne_u16_e32 0x80, v7
	s_cbranch_execz .LBB304_546
; %bb.541:                              ;   in Loop: Header=BB304_16 Depth=1
	v_mov_b32_e32 v4, 0x7f
	s_mov_b32 s27, exec_lo
	v_and_b32_sdwa v10, v7, v4 dst_sel:DWORD dst_unused:UNUSED_PAD src0_sel:WORD_0 src1_sel:DWORD
	v_mov_b32_e32 v4, 0x7c010000
	v_cmpx_ne_u32_e32 0x7f, v10
	s_cbranch_execz .LBB304_545
; %bb.542:                              ;   in Loop: Header=BB304_16 Depth=1
	v_mov_b32_e32 v4, 7
	v_lshrrev_b32_e32 v6, 3, v10
	s_mov_b32 s28, exec_lo
	v_and_b32_sdwa v4, v7, v4 dst_sel:DWORD dst_unused:UNUSED_PAD src0_sel:WORD_0 src1_sel:DWORD
	v_cmpx_gt_u32_e32 8, v10
; %bb.543:                              ;   in Loop: Header=BB304_16 Depth=1
	v_ffbh_u32_e32 v4, v4
	v_min_u32_e32 v4, 32, v4
	v_subrev_nc_u32_e32 v6, 28, v4
	v_lshlrev_b64 v[20:21], v6, v[7:8]
	v_sub_nc_u32_e32 v6, 29, v4
	v_and_b32_e32 v4, 7, v20
; %bb.544:                              ;   in Loop: Header=BB304_16 Depth=1
	s_or_b32 exec_lo, exec_lo, s28
	v_mov_b32_e32 v10, 8
	v_lshl_add_u32 v6, v6, 10, 0x2000
	v_lshlrev_b32_e32 v4, 23, v4
	v_lshlrev_b32_sdwa v7, v10, v7 dst_sel:DWORD dst_unused:UNUSED_PAD src0_sel:DWORD src1_sel:WORD_0
	v_and_or_b32 v6, 0x8000, v7, v6
	v_lshl_or_b32 v4, v6, 16, v4
.LBB304_545:                            ;   in Loop: Header=BB304_16 Depth=1
	s_or_b32 exec_lo, exec_lo, s27
.LBB304_546:                            ;   in Loop: Header=BB304_16 Depth=1
	s_or_b32 exec_lo, exec_lo, s26
.LBB304_547:                            ;   in Loop: Header=BB304_16 Depth=1
	s_or_b32 exec_lo, exec_lo, s25
	v_lshrrev_b32_e32 v7, 16, v33
	v_cmp_ne_u16_sdwa s5, v7, v8 src0_sel:BYTE_0 src1_sel:DWORD
	s_and_saveexec_b32 s25, s5
	s_cbranch_execz .LBB304_555
; %bb.548:                              ;   in Loop: Header=BB304_16 Depth=1
	v_cmp_ne_u16_sdwa s5, v7, v68 src0_sel:BYTE_0 src1_sel:DWORD
	v_mov_b32_e32 v5, 0x8000
	s_and_saveexec_b32 s26, s5
	s_cbranch_execz .LBB304_554
; %bb.549:                              ;   in Loop: Header=BB304_16 Depth=1
	v_bfe_u32 v10, v33, 16, 7
	v_mov_b32_e32 v5, 0x7c01
	s_mov_b32 s27, exec_lo
	v_cmpx_ne_u32_e32 0x7f, v10
	s_cbranch_execz .LBB304_553
; %bb.550:                              ;   in Loop: Header=BB304_16 Depth=1
	v_and_b32_e32 v5, 7, v7
	v_lshrrev_b32_e32 v6, 3, v10
	s_mov_b32 s28, exec_lo
	v_cmpx_gt_u32_e32 8, v10
; %bb.551:                              ;   in Loop: Header=BB304_16 Depth=1
	v_ffbh_u32_e32 v5, v5
	v_min_u32_e32 v10, 32, v5
	v_subrev_nc_u32_e32 v5, 28, v10
	v_lshlrev_b64 v[5:6], v5, v[7:8]
	v_sub_nc_u32_e32 v6, 29, v10
	v_and_b32_e32 v5, 7, v5
; %bb.552:                              ;   in Loop: Header=BB304_16 Depth=1
	s_or_b32 exec_lo, exec_lo, s28
	v_lshlrev_b32_e32 v7, 8, v7
	v_lshl_add_u32 v6, v6, 10, 0x2000
	v_lshlrev_b32_e32 v5, 7, v5
	v_and_b32_e32 v7, 0x8000, v7
	v_and_b32_e32 v6, 0xfc00, v6
	v_or3_b32 v5, v7, v6, v5
.LBB304_553:                            ;   in Loop: Header=BB304_16 Depth=1
	s_or_b32 exec_lo, exec_lo, s27
.LBB304_554:                            ;   in Loop: Header=BB304_16 Depth=1
	s_or_b32 exec_lo, exec_lo, s26
.LBB304_555:                            ;   in Loop: Header=BB304_16 Depth=1
	s_or_b32 exec_lo, exec_lo, s25
	v_mov_b32_e32 v20, 0
	v_mov_b32_e32 v10, 0
	s_mov_b32 s25, exec_lo
	v_cmpx_lt_u32_e32 0xffffff, v33
	s_cbranch_execz .LBB304_563
; %bb.556:                              ;   in Loop: Header=BB304_16 Depth=1
	v_lshrrev_b32_e32 v7, 24, v33
	v_bfrev_b32_e32 v10, 1
	s_mov_b32 s26, exec_lo
	v_cmpx_ne_u32_e32 0x80, v7
	s_cbranch_execz .LBB304_562
; %bb.557:                              ;   in Loop: Header=BB304_16 Depth=1
	v_and_b32_e32 v13, 0x7f, v7
	v_mov_b32_e32 v10, 0x7c010000
	s_mov_b32 s27, exec_lo
	v_cmpx_ne_u32_e32 0x7f, v13
	s_cbranch_execz .LBB304_561
; %bb.558:                              ;   in Loop: Header=BB304_16 Depth=1
	v_and_b32_e32 v6, 7, v7
	v_lshrrev_b32_e32 v10, 3, v13
	s_mov_b32 s28, exec_lo
	v_cmpx_gt_u32_e32 8, v13
; %bb.559:                              ;   in Loop: Header=BB304_16 Depth=1
	v_ffbh_u32_e32 v6, v6
	v_min_u32_e32 v6, 32, v6
	v_subrev_nc_u32_e32 v10, 28, v6
	v_lshlrev_b64 v[21:22], v10, v[7:8]
	v_sub_nc_u32_e32 v10, 29, v6
	v_and_b32_e32 v6, 7, v21
; %bb.560:                              ;   in Loop: Header=BB304_16 Depth=1
	s_or_b32 exec_lo, exec_lo, s28
	v_lshlrev_b32_e32 v7, 8, v7
	v_lshl_add_u32 v10, v10, 10, 0x2000
	v_lshlrev_b32_e32 v6, 23, v6
	v_and_or_b32 v7, 0x8000, v7, v10
	v_lshl_or_b32 v10, v7, 16, v6
.LBB304_561:                            ;   in Loop: Header=BB304_16 Depth=1
	s_or_b32 exec_lo, exec_lo, s27
.LBB304_562:                            ;   in Loop: Header=BB304_16 Depth=1
	s_or_b32 exec_lo, exec_lo, s26
.LBB304_563:                            ;   in Loop: Header=BB304_16 Depth=1
	s_or_b32 exec_lo, exec_lo, s25
	v_mov_b32_e32 v7, v34
	v_cmp_ne_u16_sdwa s5, v34, v8 src0_sel:BYTE_0 src1_sel:DWORD
	s_and_saveexec_b32 s25, s5
	s_cbranch_execz .LBB304_571
; %bb.564:                              ;   in Loop: Header=BB304_16 Depth=1
	v_cmp_ne_u16_sdwa s5, v34, v68 src0_sel:BYTE_0 src1_sel:DWORD
	v_mov_b32_e32 v20, 0x8000
	s_and_saveexec_b32 s26, s5
	s_cbranch_execz .LBB304_570
; %bb.565:                              ;   in Loop: Header=BB304_16 Depth=1
	v_and_b32_e32 v21, 0x7f, v34
	v_mov_b32_e32 v20, 0x7c01
	s_mov_b32 s27, exec_lo
	v_cmpx_ne_u32_e32 0x7f, v21
	s_cbranch_execz .LBB304_569
; %bb.566:                              ;   in Loop: Header=BB304_16 Depth=1
	v_and_b32_e32 v6, 7, v34
	v_lshrrev_b32_e32 v13, 3, v21
	s_mov_b32 s28, exec_lo
	v_cmpx_gt_u32_e32 8, v21
; %bb.567:                              ;   in Loop: Header=BB304_16 Depth=1
	v_ffbh_u32_e32 v6, v6
	v_min_u32_e32 v6, 32, v6
	v_subrev_nc_u32_e32 v13, 28, v6
	v_lshlrev_b64 v[20:21], v13, v[7:8]
	v_sub_nc_u32_e32 v13, 29, v6
	v_and_b32_e32 v6, 7, v20
; %bb.568:                              ;   in Loop: Header=BB304_16 Depth=1
	s_or_b32 exec_lo, exec_lo, s28
	v_lshlrev_b32_e32 v20, 8, v34
	v_lshl_add_u32 v13, v13, 10, 0x2000
	v_lshlrev_b32_e32 v6, 7, v6
	v_and_b32_e32 v20, 0x8000, v20
	v_and_b32_e32 v13, 0xfc00, v13
	v_or3_b32 v20, v20, v13, v6
.LBB304_569:                            ;   in Loop: Header=BB304_16 Depth=1
	s_or_b32 exec_lo, exec_lo, s27
.LBB304_570:                            ;   in Loop: Header=BB304_16 Depth=1
	s_or_b32 exec_lo, exec_lo, s26
.LBB304_571:                            ;   in Loop: Header=BB304_16 Depth=1
	s_or_b32 exec_lo, exec_lo, s25
	v_lshrrev_b16 v7, 8, v7
	v_mov_b32_e32 v21, 0
	v_mov_b32_e32 v35, 0
	s_mov_b32 s25, exec_lo
	v_cmpx_ne_u16_e32 0, v7
	s_cbranch_execz .LBB304_579
; %bb.572:                              ;   in Loop: Header=BB304_16 Depth=1
	v_bfrev_b32_e32 v35, 1
	s_mov_b32 s26, exec_lo
	v_cmpx_ne_u16_e32 0x80, v7
	s_cbranch_execz .LBB304_578
; %bb.573:                              ;   in Loop: Header=BB304_16 Depth=1
	v_mov_b32_e32 v6, 0x7f
	v_mov_b32_e32 v35, 0x7c010000
	s_mov_b32 s27, exec_lo
	v_and_b32_sdwa v22, v7, v6 dst_sel:DWORD dst_unused:UNUSED_PAD src0_sel:WORD_0 src1_sel:DWORD
	v_cmpx_ne_u32_e32 0x7f, v22
	s_cbranch_execz .LBB304_577
; %bb.574:                              ;   in Loop: Header=BB304_16 Depth=1
	v_mov_b32_e32 v6, 7
	v_lshrrev_b32_e32 v13, 3, v22
	s_mov_b32 s28, exec_lo
	v_and_b32_sdwa v6, v7, v6 dst_sel:DWORD dst_unused:UNUSED_PAD src0_sel:WORD_0 src1_sel:DWORD
	v_cmpx_gt_u32_e32 8, v22
; %bb.575:                              ;   in Loop: Header=BB304_16 Depth=1
	v_ffbh_u32_e32 v6, v6
	v_min_u32_e32 v6, 32, v6
	v_subrev_nc_u32_e32 v13, 28, v6
	v_lshlrev_b64 v[24:25], v13, v[7:8]
	v_sub_nc_u32_e32 v13, 29, v6
	v_and_b32_e32 v6, 7, v24
; %bb.576:                              ;   in Loop: Header=BB304_16 Depth=1
	s_or_b32 exec_lo, exec_lo, s28
	v_mov_b32_e32 v22, 8
	v_lshl_add_u32 v13, v13, 10, 0x2000
	v_lshlrev_b32_e32 v6, 23, v6
	v_lshlrev_b32_sdwa v7, v22, v7 dst_sel:DWORD dst_unused:UNUSED_PAD src0_sel:DWORD src1_sel:WORD_0
	v_and_or_b32 v7, 0x8000, v7, v13
	v_lshl_or_b32 v35, v7, 16, v6
.LBB304_577:                            ;   in Loop: Header=BB304_16 Depth=1
	s_or_b32 exec_lo, exec_lo, s27
.LBB304_578:                            ;   in Loop: Header=BB304_16 Depth=1
	s_or_b32 exec_lo, exec_lo, s26
.LBB304_579:                            ;   in Loop: Header=BB304_16 Depth=1
	s_or_b32 exec_lo, exec_lo, s25
	v_lshrrev_b32_e32 v7, 16, v34
	v_cmp_ne_u16_sdwa s5, v7, v8 src0_sel:BYTE_0 src1_sel:DWORD
	s_and_saveexec_b32 s25, s5
	s_cbranch_execz .LBB304_587
; %bb.580:                              ;   in Loop: Header=BB304_16 Depth=1
	v_cmp_ne_u16_sdwa s5, v7, v68 src0_sel:BYTE_0 src1_sel:DWORD
	v_mov_b32_e32 v21, 0x8000
	s_and_saveexec_b32 s26, s5
	s_cbranch_execz .LBB304_586
; %bb.581:                              ;   in Loop: Header=BB304_16 Depth=1
	v_bfe_u32 v22, v34, 16, 7
	v_mov_b32_e32 v21, 0x7c01
	s_mov_b32 s27, exec_lo
	v_cmpx_ne_u32_e32 0x7f, v22
	s_cbranch_execz .LBB304_585
; %bb.582:                              ;   in Loop: Header=BB304_16 Depth=1
	v_and_b32_e32 v6, 7, v7
	v_lshrrev_b32_e32 v13, 3, v22
	s_mov_b32 s28, exec_lo
	v_cmpx_gt_u32_e32 8, v22
; %bb.583:                              ;   in Loop: Header=BB304_16 Depth=1
	v_ffbh_u32_e32 v6, v6
	v_min_u32_e32 v6, 32, v6
	v_subrev_nc_u32_e32 v13, 28, v6
	v_lshlrev_b64 v[21:22], v13, v[7:8]
	v_sub_nc_u32_e32 v13, 29, v6
	v_and_b32_e32 v6, 7, v21
; %bb.584:                              ;   in Loop: Header=BB304_16 Depth=1
	s_or_b32 exec_lo, exec_lo, s28
	v_lshlrev_b32_e32 v7, 8, v7
	v_lshl_add_u32 v13, v13, 10, 0x2000
	v_lshlrev_b32_e32 v6, 7, v6
	v_and_b32_e32 v7, 0x8000, v7
	v_and_b32_e32 v13, 0xfc00, v13
	v_or3_b32 v21, v7, v13, v6
.LBB304_585:                            ;   in Loop: Header=BB304_16 Depth=1
	s_or_b32 exec_lo, exec_lo, s27
.LBB304_586:                            ;   in Loop: Header=BB304_16 Depth=1
	s_or_b32 exec_lo, exec_lo, s26
.LBB304_587:                            ;   in Loop: Header=BB304_16 Depth=1
	s_or_b32 exec_lo, exec_lo, s25
	v_mov_b32_e32 v52, 0
	v_mov_b32_e32 v38, 0
	s_mov_b32 s25, exec_lo
	v_cmpx_lt_u64_e64 s[20:21], v[33:34]
	s_cbranch_execz .LBB304_595
; %bb.588:                              ;   in Loop: Header=BB304_16 Depth=1
	v_lshrrev_b32_e32 v7, 24, v34
	v_bfrev_b32_e32 v38, 1
	s_mov_b32 s26, exec_lo
	v_cmpx_ne_u32_e32 0x80, v7
	s_cbranch_execz .LBB304_594
; %bb.589:                              ;   in Loop: Header=BB304_16 Depth=1
	v_and_b32_e32 v22, 0x7f, v7
	v_mov_b32_e32 v38, 0x7c010000
	s_mov_b32 s27, exec_lo
	v_cmpx_ne_u32_e32 0x7f, v22
	s_cbranch_execz .LBB304_593
; %bb.590:                              ;   in Loop: Header=BB304_16 Depth=1
	v_and_b32_e32 v6, 7, v7
	v_lshrrev_b32_e32 v13, 3, v22
	s_mov_b32 s28, exec_lo
	v_cmpx_gt_u32_e32 8, v22
; %bb.591:                              ;   in Loop: Header=BB304_16 Depth=1
	v_ffbh_u32_e32 v6, v6
	v_min_u32_e32 v6, 32, v6
	v_subrev_nc_u32_e32 v13, 28, v6
	v_lshlrev_b64 v[24:25], v13, v[7:8]
	v_sub_nc_u32_e32 v13, 29, v6
	v_and_b32_e32 v6, 7, v24
; %bb.592:                              ;   in Loop: Header=BB304_16 Depth=1
	s_or_b32 exec_lo, exec_lo, s28
	v_lshlrev_b32_e32 v7, 8, v7
	v_lshl_add_u32 v13, v13, 10, 0x2000
	v_lshlrev_b32_e32 v6, 23, v6
	v_and_or_b32 v7, 0x8000, v7, v13
	v_lshl_or_b32 v38, v7, 16, v6
.LBB304_593:                            ;   in Loop: Header=BB304_16 Depth=1
	s_or_b32 exec_lo, exec_lo, s27
.LBB304_594:                            ;   in Loop: Header=BB304_16 Depth=1
	s_or_b32 exec_lo, exec_lo, s26
.LBB304_595:                            ;   in Loop: Header=BB304_16 Depth=1
	s_or_b32 exec_lo, exec_lo, s25
	flat_load_dwordx2 v[33:34], v[31:32] offset:8
	s_waitcnt vmcnt(0) lgkmcnt(0)
	v_cmp_ne_u16_sdwa s5, v33, v8 src0_sel:BYTE_0 src1_sel:DWORD
	s_and_saveexec_b32 s25, s5
	s_cbranch_execz .LBB304_603
; %bb.596:                              ;   in Loop: Header=BB304_16 Depth=1
	v_cmp_ne_u16_sdwa s5, v33, v68 src0_sel:BYTE_0 src1_sel:DWORD
	v_mov_b32_e32 v52, 0x8000
	s_and_saveexec_b32 s26, s5
	s_cbranch_execz .LBB304_602
; %bb.597:                              ;   in Loop: Header=BB304_16 Depth=1
	v_and_b32_e32 v13, 0x7f, v33
	v_mov_b32_e32 v52, 0x7c01
	s_mov_b32 s27, exec_lo
	v_cmpx_ne_u32_e32 0x7f, v13
	s_cbranch_execz .LBB304_601
; %bb.598:                              ;   in Loop: Header=BB304_16 Depth=1
	v_and_b32_e32 v6, 7, v33
	v_lshrrev_b32_e32 v7, 3, v13
	s_mov_b32 s28, exec_lo
	v_cmpx_gt_u32_e32 8, v13
; %bb.599:                              ;   in Loop: Header=BB304_16 Depth=1
	v_ffbh_u32_e32 v6, v6
	v_min_u32_e32 v13, 32, v6
	v_subrev_nc_u32_e32 v6, 28, v13
	v_lshlrev_b64 v[6:7], v6, v[33:34]
	v_sub_nc_u32_e32 v7, 29, v13
	v_and_b32_e32 v6, 7, v6
; %bb.600:                              ;   in Loop: Header=BB304_16 Depth=1
	s_or_b32 exec_lo, exec_lo, s28
	v_lshlrev_b32_e32 v13, 8, v33
	v_lshl_add_u32 v7, v7, 10, 0x2000
	v_lshlrev_b32_e32 v6, 7, v6
	v_and_b32_e32 v13, 0x8000, v13
	v_and_b32_e32 v7, 0xfc00, v7
	v_or3_b32 v52, v13, v7, v6
.LBB304_601:                            ;   in Loop: Header=BB304_16 Depth=1
	s_or_b32 exec_lo, exec_lo, s27
.LBB304_602:                            ;   in Loop: Header=BB304_16 Depth=1
	s_or_b32 exec_lo, exec_lo, s26
.LBB304_603:                            ;   in Loop: Header=BB304_16 Depth=1
	s_or_b32 exec_lo, exec_lo, s25
	v_lshrrev_b16 v7, 8, v33
	v_mov_b32_e32 v55, 0
	v_mov_b32_e32 v54, 0
	s_mov_b32 s25, exec_lo
	v_cmpx_ne_u16_e32 0, v7
	s_cbranch_execz .LBB304_611
; %bb.604:                              ;   in Loop: Header=BB304_16 Depth=1
	v_bfrev_b32_e32 v54, 1
	s_mov_b32 s26, exec_lo
	v_cmpx_ne_u16_e32 0x80, v7
	s_cbranch_execz .LBB304_610
; %bb.605:                              ;   in Loop: Header=BB304_16 Depth=1
	v_mov_b32_e32 v6, 0x7f
	v_mov_b32_e32 v54, 0x7c010000
	s_mov_b32 s27, exec_lo
	v_and_b32_sdwa v22, v7, v6 dst_sel:DWORD dst_unused:UNUSED_PAD src0_sel:WORD_0 src1_sel:DWORD
	v_cmpx_ne_u32_e32 0x7f, v22
	s_cbranch_execz .LBB304_609
; %bb.606:                              ;   in Loop: Header=BB304_16 Depth=1
	v_mov_b32_e32 v6, 7
	v_lshrrev_b32_e32 v13, 3, v22
	s_mov_b32 s28, exec_lo
	v_and_b32_sdwa v6, v7, v6 dst_sel:DWORD dst_unused:UNUSED_PAD src0_sel:WORD_0 src1_sel:DWORD
	v_cmpx_gt_u32_e32 8, v22
; %bb.607:                              ;   in Loop: Header=BB304_16 Depth=1
	v_ffbh_u32_e32 v6, v6
	v_min_u32_e32 v6, 32, v6
	v_subrev_nc_u32_e32 v13, 28, v6
	v_lshlrev_b64 v[24:25], v13, v[7:8]
	v_sub_nc_u32_e32 v13, 29, v6
	v_and_b32_e32 v6, 7, v24
; %bb.608:                              ;   in Loop: Header=BB304_16 Depth=1
	s_or_b32 exec_lo, exec_lo, s28
	v_mov_b32_e32 v22, 8
	v_lshl_add_u32 v13, v13, 10, 0x2000
	v_lshlrev_b32_e32 v6, 23, v6
	v_lshlrev_b32_sdwa v7, v22, v7 dst_sel:DWORD dst_unused:UNUSED_PAD src0_sel:DWORD src1_sel:WORD_0
	v_and_or_b32 v7, 0x8000, v7, v13
	v_lshl_or_b32 v54, v7, 16, v6
.LBB304_609:                            ;   in Loop: Header=BB304_16 Depth=1
	s_or_b32 exec_lo, exec_lo, s27
.LBB304_610:                            ;   in Loop: Header=BB304_16 Depth=1
	s_or_b32 exec_lo, exec_lo, s26
.LBB304_611:                            ;   in Loop: Header=BB304_16 Depth=1
	s_or_b32 exec_lo, exec_lo, s25
	v_lshrrev_b32_e32 v7, 16, v33
	v_cmp_ne_u16_sdwa s5, v7, v8 src0_sel:BYTE_0 src1_sel:DWORD
	s_and_saveexec_b32 s25, s5
	s_cbranch_execz .LBB304_619
; %bb.612:                              ;   in Loop: Header=BB304_16 Depth=1
	v_cmp_ne_u16_sdwa s5, v7, v68 src0_sel:BYTE_0 src1_sel:DWORD
	v_mov_b32_e32 v55, 0x8000
	s_and_saveexec_b32 s26, s5
	s_cbranch_execz .LBB304_618
; %bb.613:                              ;   in Loop: Header=BB304_16 Depth=1
	v_bfe_u32 v22, v33, 16, 7
	v_mov_b32_e32 v55, 0x7c01
	s_mov_b32 s27, exec_lo
	v_cmpx_ne_u32_e32 0x7f, v22
	s_cbranch_execz .LBB304_617
; %bb.614:                              ;   in Loop: Header=BB304_16 Depth=1
	v_and_b32_e32 v6, 7, v7
	v_lshrrev_b32_e32 v13, 3, v22
	s_mov_b32 s28, exec_lo
	v_cmpx_gt_u32_e32 8, v22
; %bb.615:                              ;   in Loop: Header=BB304_16 Depth=1
	v_ffbh_u32_e32 v6, v6
	v_min_u32_e32 v6, 32, v6
	v_subrev_nc_u32_e32 v13, 28, v6
	v_lshlrev_b64 v[24:25], v13, v[7:8]
	v_sub_nc_u32_e32 v13, 29, v6
	v_and_b32_e32 v6, 7, v24
; %bb.616:                              ;   in Loop: Header=BB304_16 Depth=1
	s_or_b32 exec_lo, exec_lo, s28
	v_lshlrev_b32_e32 v7, 8, v7
	v_lshl_add_u32 v13, v13, 10, 0x2000
	v_lshlrev_b32_e32 v6, 7, v6
	v_and_b32_e32 v7, 0x8000, v7
	v_and_b32_e32 v13, 0xfc00, v13
	v_or3_b32 v55, v7, v13, v6
.LBB304_617:                            ;   in Loop: Header=BB304_16 Depth=1
	s_or_b32 exec_lo, exec_lo, s27
.LBB304_618:                            ;   in Loop: Header=BB304_16 Depth=1
	s_or_b32 exec_lo, exec_lo, s26
.LBB304_619:                            ;   in Loop: Header=BB304_16 Depth=1
	s_or_b32 exec_lo, exec_lo, s25
	v_mov_b32_e32 v105, 0
	v_mov_b32_e32 v106, 0
	s_mov_b32 s25, exec_lo
	v_cmpx_lt_u32_e32 0xffffff, v33
	s_cbranch_execz .LBB304_627
; %bb.620:                              ;   in Loop: Header=BB304_16 Depth=1
	v_lshrrev_b32_e32 v7, 24, v33
	v_bfrev_b32_e32 v106, 1
	s_mov_b32 s26, exec_lo
	v_cmpx_ne_u32_e32 0x80, v7
	s_cbranch_execz .LBB304_626
; %bb.621:                              ;   in Loop: Header=BB304_16 Depth=1
	v_and_b32_e32 v22, 0x7f, v7
	v_mov_b32_e32 v106, 0x7c010000
	s_mov_b32 s27, exec_lo
	v_cmpx_ne_u32_e32 0x7f, v22
	s_cbranch_execz .LBB304_625
; %bb.622:                              ;   in Loop: Header=BB304_16 Depth=1
	v_and_b32_e32 v6, 7, v7
	v_lshrrev_b32_e32 v13, 3, v22
	s_mov_b32 s28, exec_lo
	v_cmpx_gt_u32_e32 8, v22
; %bb.623:                              ;   in Loop: Header=BB304_16 Depth=1
	v_ffbh_u32_e32 v6, v6
	v_min_u32_e32 v6, 32, v6
	v_subrev_nc_u32_e32 v13, 28, v6
	v_lshlrev_b64 v[24:25], v13, v[7:8]
	v_sub_nc_u32_e32 v13, 29, v6
	v_and_b32_e32 v6, 7, v24
; %bb.624:                              ;   in Loop: Header=BB304_16 Depth=1
	s_or_b32 exec_lo, exec_lo, s28
	v_lshlrev_b32_e32 v7, 8, v7
	v_lshl_add_u32 v13, v13, 10, 0x2000
	v_lshlrev_b32_e32 v6, 23, v6
	v_and_or_b32 v7, 0x8000, v7, v13
	v_lshl_or_b32 v106, v7, 16, v6
.LBB304_625:                            ;   in Loop: Header=BB304_16 Depth=1
	s_or_b32 exec_lo, exec_lo, s27
.LBB304_626:                            ;   in Loop: Header=BB304_16 Depth=1
	s_or_b32 exec_lo, exec_lo, s26
.LBB304_627:                            ;   in Loop: Header=BB304_16 Depth=1
	s_or_b32 exec_lo, exec_lo, s25
	v_mov_b32_e32 v7, v34
	v_cmp_ne_u16_sdwa s5, v34, v8 src0_sel:BYTE_0 src1_sel:DWORD
	s_and_saveexec_b32 s25, s5
	s_cbranch_execz .LBB304_635
; %bb.628:                              ;   in Loop: Header=BB304_16 Depth=1
	v_cmp_ne_u16_sdwa s5, v34, v68 src0_sel:BYTE_0 src1_sel:DWORD
	v_mov_b32_e32 v105, 0x8000
	s_and_saveexec_b32 s26, s5
	s_cbranch_execz .LBB304_634
; %bb.629:                              ;   in Loop: Header=BB304_16 Depth=1
	v_and_b32_e32 v22, 0x7f, v34
	v_mov_b32_e32 v105, 0x7c01
	s_mov_b32 s27, exec_lo
	v_cmpx_ne_u32_e32 0x7f, v22
	s_cbranch_execz .LBB304_633
; %bb.630:                              ;   in Loop: Header=BB304_16 Depth=1
	v_and_b32_e32 v6, 7, v34
	v_lshrrev_b32_e32 v13, 3, v22
	s_mov_b32 s28, exec_lo
	v_cmpx_gt_u32_e32 8, v22
; %bb.631:                              ;   in Loop: Header=BB304_16 Depth=1
	v_ffbh_u32_e32 v6, v6
	v_min_u32_e32 v6, 32, v6
	v_subrev_nc_u32_e32 v13, 28, v6
	v_lshlrev_b64 v[24:25], v13, v[7:8]
	v_sub_nc_u32_e32 v13, 29, v6
	v_and_b32_e32 v6, 7, v24
; %bb.632:                              ;   in Loop: Header=BB304_16 Depth=1
	s_or_b32 exec_lo, exec_lo, s28
	v_lshlrev_b32_e32 v22, 8, v34
	v_lshl_add_u32 v13, v13, 10, 0x2000
	v_lshlrev_b32_e32 v6, 7, v6
	v_and_b32_e32 v22, 0x8000, v22
	v_and_b32_e32 v13, 0xfc00, v13
	v_or3_b32 v105, v22, v13, v6
.LBB304_633:                            ;   in Loop: Header=BB304_16 Depth=1
	s_or_b32 exec_lo, exec_lo, s27
.LBB304_634:                            ;   in Loop: Header=BB304_16 Depth=1
	s_or_b32 exec_lo, exec_lo, s26
.LBB304_635:                            ;   in Loop: Header=BB304_16 Depth=1
	s_or_b32 exec_lo, exec_lo, s25
	v_lshrrev_b16 v7, 8, v7
	v_mov_b32_e32 v125, 0
	v_mov_b32_e32 v109, 0
	s_mov_b32 s25, exec_lo
	v_cmpx_ne_u16_e32 0, v7
	s_cbranch_execz .LBB304_643
; %bb.636:                              ;   in Loop: Header=BB304_16 Depth=1
	v_bfrev_b32_e32 v109, 1
	s_mov_b32 s26, exec_lo
	v_cmpx_ne_u16_e32 0x80, v7
	s_cbranch_execz .LBB304_642
; %bb.637:                              ;   in Loop: Header=BB304_16 Depth=1
	v_mov_b32_e32 v6, 0x7f
	v_mov_b32_e32 v109, 0x7c010000
	s_mov_b32 s27, exec_lo
	v_and_b32_sdwa v22, v7, v6 dst_sel:DWORD dst_unused:UNUSED_PAD src0_sel:WORD_0 src1_sel:DWORD
	v_cmpx_ne_u32_e32 0x7f, v22
	s_cbranch_execz .LBB304_641
; %bb.638:                              ;   in Loop: Header=BB304_16 Depth=1
	v_mov_b32_e32 v6, 7
	v_lshrrev_b32_e32 v13, 3, v22
	s_mov_b32 s28, exec_lo
	v_and_b32_sdwa v6, v7, v6 dst_sel:DWORD dst_unused:UNUSED_PAD src0_sel:WORD_0 src1_sel:DWORD
	v_cmpx_gt_u32_e32 8, v22
; %bb.639:                              ;   in Loop: Header=BB304_16 Depth=1
	v_ffbh_u32_e32 v6, v6
	v_min_u32_e32 v6, 32, v6
	v_subrev_nc_u32_e32 v13, 28, v6
	v_lshlrev_b64 v[24:25], v13, v[7:8]
	v_sub_nc_u32_e32 v13, 29, v6
	v_and_b32_e32 v6, 7, v24
; %bb.640:                              ;   in Loop: Header=BB304_16 Depth=1
	s_or_b32 exec_lo, exec_lo, s28
	v_mov_b32_e32 v22, 8
	v_lshl_add_u32 v13, v13, 10, 0x2000
	v_lshlrev_b32_e32 v6, 23, v6
	v_lshlrev_b32_sdwa v7, v22, v7 dst_sel:DWORD dst_unused:UNUSED_PAD src0_sel:DWORD src1_sel:WORD_0
	v_and_or_b32 v7, 0x8000, v7, v13
	v_lshl_or_b32 v109, v7, 16, v6
.LBB304_641:                            ;   in Loop: Header=BB304_16 Depth=1
	s_or_b32 exec_lo, exec_lo, s27
.LBB304_642:                            ;   in Loop: Header=BB304_16 Depth=1
	s_or_b32 exec_lo, exec_lo, s26
.LBB304_643:                            ;   in Loop: Header=BB304_16 Depth=1
	s_or_b32 exec_lo, exec_lo, s25
	v_lshrrev_b32_e32 v7, 16, v34
	v_cmp_ne_u16_sdwa s5, v7, v8 src0_sel:BYTE_0 src1_sel:DWORD
	s_and_saveexec_b32 s25, s5
	s_cbranch_execz .LBB304_651
; %bb.644:                              ;   in Loop: Header=BB304_16 Depth=1
	v_cmp_ne_u16_sdwa s5, v7, v68 src0_sel:BYTE_0 src1_sel:DWORD
	v_mov_b32_e32 v125, 0x8000
	s_and_saveexec_b32 s26, s5
	s_cbranch_execz .LBB304_650
; %bb.645:                              ;   in Loop: Header=BB304_16 Depth=1
	v_bfe_u32 v22, v34, 16, 7
	v_mov_b32_e32 v125, 0x7c01
	s_mov_b32 s27, exec_lo
	v_cmpx_ne_u32_e32 0x7f, v22
	s_cbranch_execz .LBB304_649
; %bb.646:                              ;   in Loop: Header=BB304_16 Depth=1
	v_and_b32_e32 v6, 7, v7
	v_lshrrev_b32_e32 v13, 3, v22
	s_mov_b32 s28, exec_lo
	v_cmpx_gt_u32_e32 8, v22
; %bb.647:                              ;   in Loop: Header=BB304_16 Depth=1
	v_ffbh_u32_e32 v6, v6
	v_min_u32_e32 v6, 32, v6
	v_subrev_nc_u32_e32 v13, 28, v6
	v_lshlrev_b64 v[24:25], v13, v[7:8]
	v_sub_nc_u32_e32 v13, 29, v6
	v_and_b32_e32 v6, 7, v24
; %bb.648:                              ;   in Loop: Header=BB304_16 Depth=1
	s_or_b32 exec_lo, exec_lo, s28
	v_lshlrev_b32_e32 v7, 8, v7
	v_lshl_add_u32 v13, v13, 10, 0x2000
	v_lshlrev_b32_e32 v6, 7, v6
	v_and_b32_e32 v7, 0x8000, v7
	v_and_b32_e32 v13, 0xfc00, v13
	v_or3_b32 v125, v7, v13, v6
.LBB304_649:                            ;   in Loop: Header=BB304_16 Depth=1
	s_or_b32 exec_lo, exec_lo, s27
.LBB304_650:                            ;   in Loop: Header=BB304_16 Depth=1
	s_or_b32 exec_lo, exec_lo, s26
.LBB304_651:                            ;   in Loop: Header=BB304_16 Depth=1
	s_or_b32 exec_lo, exec_lo, s25
	v_mov_b32_e32 v77, 0
	v_mov_b32_e32 v126, 0
	s_mov_b32 s25, exec_lo
	v_cmpx_lt_u64_e64 s[20:21], v[33:34]
	s_cbranch_execz .LBB304_659
; %bb.652:                              ;   in Loop: Header=BB304_16 Depth=1
	v_lshrrev_b32_e32 v7, 24, v34
	v_bfrev_b32_e32 v126, 1
	s_mov_b32 s26, exec_lo
	v_cmpx_ne_u32_e32 0x80, v7
	s_cbranch_execz .LBB304_658
; %bb.653:                              ;   in Loop: Header=BB304_16 Depth=1
	v_and_b32_e32 v22, 0x7f, v7
	v_mov_b32_e32 v126, 0x7c010000
	s_mov_b32 s27, exec_lo
	v_cmpx_ne_u32_e32 0x7f, v22
	s_cbranch_execz .LBB304_657
; %bb.654:                              ;   in Loop: Header=BB304_16 Depth=1
	v_and_b32_e32 v6, 7, v7
	v_lshrrev_b32_e32 v13, 3, v22
	s_mov_b32 s28, exec_lo
	v_cmpx_gt_u32_e32 8, v22
; %bb.655:                              ;   in Loop: Header=BB304_16 Depth=1
	v_ffbh_u32_e32 v6, v6
	v_min_u32_e32 v6, 32, v6
	v_subrev_nc_u32_e32 v13, 28, v6
	v_lshlrev_b64 v[24:25], v13, v[7:8]
	v_sub_nc_u32_e32 v13, 29, v6
	v_and_b32_e32 v6, 7, v24
; %bb.656:                              ;   in Loop: Header=BB304_16 Depth=1
	s_or_b32 exec_lo, exec_lo, s28
	v_lshlrev_b32_e32 v7, 8, v7
	v_lshl_add_u32 v13, v13, 10, 0x2000
	v_lshlrev_b32_e32 v6, 23, v6
	v_and_or_b32 v7, 0x8000, v7, v13
	v_lshl_or_b32 v126, v7, 16, v6
.LBB304_657:                            ;   in Loop: Header=BB304_16 Depth=1
	s_or_b32 exec_lo, exec_lo, s27
.LBB304_658:                            ;   in Loop: Header=BB304_16 Depth=1
	s_or_b32 exec_lo, exec_lo, s26
.LBB304_659:                            ;   in Loop: Header=BB304_16 Depth=1
	s_or_b32 exec_lo, exec_lo, s25
	flat_load_dwordx2 v[33:34], v[31:32] offset:512
	s_waitcnt vmcnt(0) lgkmcnt(0)
	v_cmp_ne_u16_sdwa s5, v33, v8 src0_sel:BYTE_0 src1_sel:DWORD
	s_and_saveexec_b32 s25, s5
	s_cbranch_execz .LBB304_667
; %bb.660:                              ;   in Loop: Header=BB304_16 Depth=1
	v_cmp_ne_u16_sdwa s5, v33, v68 src0_sel:BYTE_0 src1_sel:DWORD
	v_mov_b32_e32 v77, 0x8000
	s_and_saveexec_b32 s26, s5
	s_cbranch_execz .LBB304_666
; %bb.661:                              ;   in Loop: Header=BB304_16 Depth=1
	v_and_b32_e32 v13, 0x7f, v33
	v_mov_b32_e32 v77, 0x7c01
	s_mov_b32 s27, exec_lo
	v_cmpx_ne_u32_e32 0x7f, v13
	s_cbranch_execz .LBB304_665
; %bb.662:                              ;   in Loop: Header=BB304_16 Depth=1
	v_and_b32_e32 v6, 7, v33
	v_lshrrev_b32_e32 v7, 3, v13
	s_mov_b32 s28, exec_lo
	v_cmpx_gt_u32_e32 8, v13
; %bb.663:                              ;   in Loop: Header=BB304_16 Depth=1
	v_ffbh_u32_e32 v6, v6
	v_min_u32_e32 v13, 32, v6
	v_subrev_nc_u32_e32 v6, 28, v13
	v_lshlrev_b64 v[6:7], v6, v[33:34]
	v_sub_nc_u32_e32 v7, 29, v13
	v_and_b32_e32 v6, 7, v6
; %bb.664:                              ;   in Loop: Header=BB304_16 Depth=1
	s_or_b32 exec_lo, exec_lo, s28
	v_lshlrev_b32_e32 v13, 8, v33
	v_lshl_add_u32 v7, v7, 10, 0x2000
	v_lshlrev_b32_e32 v6, 7, v6
	v_and_b32_e32 v13, 0x8000, v13
	v_and_b32_e32 v7, 0xfc00, v7
	v_or3_b32 v77, v13, v7, v6
.LBB304_665:                            ;   in Loop: Header=BB304_16 Depth=1
	s_or_b32 exec_lo, exec_lo, s27
.LBB304_666:                            ;   in Loop: Header=BB304_16 Depth=1
	s_or_b32 exec_lo, exec_lo, s26
.LBB304_667:                            ;   in Loop: Header=BB304_16 Depth=1
	s_or_b32 exec_lo, exec_lo, s25
	v_lshrrev_b16 v7, 8, v33
	v_mov_b32_e32 v89, 0
	v_mov_b32_e32 v78, 0
	s_mov_b32 s25, exec_lo
	v_cmpx_ne_u16_e32 0, v7
	s_cbranch_execz .LBB304_675
; %bb.668:                              ;   in Loop: Header=BB304_16 Depth=1
	v_bfrev_b32_e32 v78, 1
	s_mov_b32 s26, exec_lo
	v_cmpx_ne_u16_e32 0x80, v7
	s_cbranch_execz .LBB304_674
; %bb.669:                              ;   in Loop: Header=BB304_16 Depth=1
	v_mov_b32_e32 v6, 0x7f
	v_mov_b32_e32 v78, 0x7c010000
	s_mov_b32 s27, exec_lo
	v_and_b32_sdwa v22, v7, v6 dst_sel:DWORD dst_unused:UNUSED_PAD src0_sel:WORD_0 src1_sel:DWORD
	v_cmpx_ne_u32_e32 0x7f, v22
	s_cbranch_execz .LBB304_673
; %bb.670:                              ;   in Loop: Header=BB304_16 Depth=1
	v_mov_b32_e32 v6, 7
	v_lshrrev_b32_e32 v13, 3, v22
	s_mov_b32 s28, exec_lo
	v_and_b32_sdwa v6, v7, v6 dst_sel:DWORD dst_unused:UNUSED_PAD src0_sel:WORD_0 src1_sel:DWORD
	v_cmpx_gt_u32_e32 8, v22
; %bb.671:                              ;   in Loop: Header=BB304_16 Depth=1
	v_ffbh_u32_e32 v6, v6
	v_min_u32_e32 v6, 32, v6
	v_subrev_nc_u32_e32 v13, 28, v6
	v_lshlrev_b64 v[24:25], v13, v[7:8]
	v_sub_nc_u32_e32 v13, 29, v6
	v_and_b32_e32 v6, 7, v24
; %bb.672:                              ;   in Loop: Header=BB304_16 Depth=1
	s_or_b32 exec_lo, exec_lo, s28
	v_mov_b32_e32 v22, 8
	v_lshl_add_u32 v13, v13, 10, 0x2000
	v_lshlrev_b32_e32 v6, 23, v6
	v_lshlrev_b32_sdwa v7, v22, v7 dst_sel:DWORD dst_unused:UNUSED_PAD src0_sel:DWORD src1_sel:WORD_0
	v_and_or_b32 v7, 0x8000, v7, v13
	v_lshl_or_b32 v78, v7, 16, v6
.LBB304_673:                            ;   in Loop: Header=BB304_16 Depth=1
	s_or_b32 exec_lo, exec_lo, s27
.LBB304_674:                            ;   in Loop: Header=BB304_16 Depth=1
	s_or_b32 exec_lo, exec_lo, s26
.LBB304_675:                            ;   in Loop: Header=BB304_16 Depth=1
	s_or_b32 exec_lo, exec_lo, s25
	v_lshrrev_b32_e32 v7, 16, v33
	v_cmp_ne_u16_sdwa s5, v7, v8 src0_sel:BYTE_0 src1_sel:DWORD
	s_and_saveexec_b32 s25, s5
	s_cbranch_execz .LBB304_683
; %bb.676:                              ;   in Loop: Header=BB304_16 Depth=1
	v_cmp_ne_u16_sdwa s5, v7, v68 src0_sel:BYTE_0 src1_sel:DWORD
	v_mov_b32_e32 v89, 0x8000
	s_and_saveexec_b32 s26, s5
	s_cbranch_execz .LBB304_682
; %bb.677:                              ;   in Loop: Header=BB304_16 Depth=1
	v_bfe_u32 v22, v33, 16, 7
	v_mov_b32_e32 v89, 0x7c01
	s_mov_b32 s27, exec_lo
	v_cmpx_ne_u32_e32 0x7f, v22
	s_cbranch_execz .LBB304_681
; %bb.678:                              ;   in Loop: Header=BB304_16 Depth=1
	v_and_b32_e32 v6, 7, v7
	v_lshrrev_b32_e32 v13, 3, v22
	s_mov_b32 s28, exec_lo
	v_cmpx_gt_u32_e32 8, v22
; %bb.679:                              ;   in Loop: Header=BB304_16 Depth=1
	v_ffbh_u32_e32 v6, v6
	v_min_u32_e32 v6, 32, v6
	v_subrev_nc_u32_e32 v13, 28, v6
	v_lshlrev_b64 v[24:25], v13, v[7:8]
	v_sub_nc_u32_e32 v13, 29, v6
	v_and_b32_e32 v6, 7, v24
; %bb.680:                              ;   in Loop: Header=BB304_16 Depth=1
	s_or_b32 exec_lo, exec_lo, s28
	v_lshlrev_b32_e32 v7, 8, v7
	v_lshl_add_u32 v13, v13, 10, 0x2000
	v_lshlrev_b32_e32 v6, 7, v6
	v_and_b32_e32 v7, 0x8000, v7
	v_and_b32_e32 v13, 0xfc00, v13
	v_or3_b32 v89, v7, v13, v6
.LBB304_681:                            ;   in Loop: Header=BB304_16 Depth=1
	s_or_b32 exec_lo, exec_lo, s27
.LBB304_682:                            ;   in Loop: Header=BB304_16 Depth=1
	s_or_b32 exec_lo, exec_lo, s26
.LBB304_683:                            ;   in Loop: Header=BB304_16 Depth=1
	s_or_b32 exec_lo, exec_lo, s25
	v_mov_b32_e32 v90, 0
	v_mov_b32_e32 v91, 0
	s_mov_b32 s25, exec_lo
	v_cmpx_lt_u32_e32 0xffffff, v33
	s_cbranch_execz .LBB304_691
; %bb.684:                              ;   in Loop: Header=BB304_16 Depth=1
	v_lshrrev_b32_e32 v7, 24, v33
	v_bfrev_b32_e32 v91, 1
	s_mov_b32 s26, exec_lo
	v_cmpx_ne_u32_e32 0x80, v7
	s_cbranch_execz .LBB304_690
; %bb.685:                              ;   in Loop: Header=BB304_16 Depth=1
	v_and_b32_e32 v22, 0x7f, v7
	v_mov_b32_e32 v91, 0x7c010000
	s_mov_b32 s27, exec_lo
	v_cmpx_ne_u32_e32 0x7f, v22
	s_cbranch_execz .LBB304_689
; %bb.686:                              ;   in Loop: Header=BB304_16 Depth=1
	v_and_b32_e32 v6, 7, v7
	v_lshrrev_b32_e32 v13, 3, v22
	s_mov_b32 s28, exec_lo
	v_cmpx_gt_u32_e32 8, v22
; %bb.687:                              ;   in Loop: Header=BB304_16 Depth=1
	v_ffbh_u32_e32 v6, v6
	v_min_u32_e32 v6, 32, v6
	v_subrev_nc_u32_e32 v13, 28, v6
	v_lshlrev_b64 v[24:25], v13, v[7:8]
	v_sub_nc_u32_e32 v13, 29, v6
	v_and_b32_e32 v6, 7, v24
; %bb.688:                              ;   in Loop: Header=BB304_16 Depth=1
	s_or_b32 exec_lo, exec_lo, s28
	v_lshlrev_b32_e32 v7, 8, v7
	v_lshl_add_u32 v13, v13, 10, 0x2000
	v_lshlrev_b32_e32 v6, 23, v6
	v_and_or_b32 v7, 0x8000, v7, v13
	v_lshl_or_b32 v91, v7, 16, v6
.LBB304_689:                            ;   in Loop: Header=BB304_16 Depth=1
	s_or_b32 exec_lo, exec_lo, s27
.LBB304_690:                            ;   in Loop: Header=BB304_16 Depth=1
	s_or_b32 exec_lo, exec_lo, s26
.LBB304_691:                            ;   in Loop: Header=BB304_16 Depth=1
	s_or_b32 exec_lo, exec_lo, s25
	v_mov_b32_e32 v7, v34
	v_cmp_ne_u16_sdwa s5, v34, v8 src0_sel:BYTE_0 src1_sel:DWORD
	s_and_saveexec_b32 s25, s5
	s_cbranch_execz .LBB304_699
; %bb.692:                              ;   in Loop: Header=BB304_16 Depth=1
	v_cmp_ne_u16_sdwa s5, v34, v68 src0_sel:BYTE_0 src1_sel:DWORD
	v_mov_b32_e32 v90, 0x8000
	s_and_saveexec_b32 s26, s5
	s_cbranch_execz .LBB304_698
; %bb.693:                              ;   in Loop: Header=BB304_16 Depth=1
	v_and_b32_e32 v22, 0x7f, v34
	v_mov_b32_e32 v90, 0x7c01
	s_mov_b32 s27, exec_lo
	v_cmpx_ne_u32_e32 0x7f, v22
	s_cbranch_execz .LBB304_697
; %bb.694:                              ;   in Loop: Header=BB304_16 Depth=1
	v_and_b32_e32 v6, 7, v34
	v_lshrrev_b32_e32 v13, 3, v22
	s_mov_b32 s28, exec_lo
	v_cmpx_gt_u32_e32 8, v22
; %bb.695:                              ;   in Loop: Header=BB304_16 Depth=1
	v_ffbh_u32_e32 v6, v6
	v_min_u32_e32 v6, 32, v6
	v_subrev_nc_u32_e32 v13, 28, v6
	v_lshlrev_b64 v[24:25], v13, v[7:8]
	v_sub_nc_u32_e32 v13, 29, v6
	v_and_b32_e32 v6, 7, v24
; %bb.696:                              ;   in Loop: Header=BB304_16 Depth=1
	s_or_b32 exec_lo, exec_lo, s28
	v_lshlrev_b32_e32 v22, 8, v34
	v_lshl_add_u32 v13, v13, 10, 0x2000
	v_lshlrev_b32_e32 v6, 7, v6
	v_and_b32_e32 v22, 0x8000, v22
	v_and_b32_e32 v13, 0xfc00, v13
	v_or3_b32 v90, v22, v13, v6
.LBB304_697:                            ;   in Loop: Header=BB304_16 Depth=1
	s_or_b32 exec_lo, exec_lo, s27
.LBB304_698:                            ;   in Loop: Header=BB304_16 Depth=1
	s_or_b32 exec_lo, exec_lo, s26
.LBB304_699:                            ;   in Loop: Header=BB304_16 Depth=1
	s_or_b32 exec_lo, exec_lo, s25
	v_lshrrev_b16 v7, 8, v7
	v_mov_b32_e32 v110, 0
	v_mov_b32_e32 v120, 0
	s_mov_b32 s25, exec_lo
	v_cmpx_ne_u16_e32 0, v7
	s_cbranch_execz .LBB304_707
; %bb.700:                              ;   in Loop: Header=BB304_16 Depth=1
	v_bfrev_b32_e32 v120, 1
	s_mov_b32 s26, exec_lo
	v_cmpx_ne_u16_e32 0x80, v7
	s_cbranch_execz .LBB304_706
; %bb.701:                              ;   in Loop: Header=BB304_16 Depth=1
	v_mov_b32_e32 v6, 0x7f
	v_mov_b32_e32 v120, 0x7c010000
	s_mov_b32 s27, exec_lo
	v_and_b32_sdwa v22, v7, v6 dst_sel:DWORD dst_unused:UNUSED_PAD src0_sel:WORD_0 src1_sel:DWORD
	v_cmpx_ne_u32_e32 0x7f, v22
	s_cbranch_execz .LBB304_705
; %bb.702:                              ;   in Loop: Header=BB304_16 Depth=1
	v_mov_b32_e32 v6, 7
	v_lshrrev_b32_e32 v13, 3, v22
	s_mov_b32 s28, exec_lo
	v_and_b32_sdwa v6, v7, v6 dst_sel:DWORD dst_unused:UNUSED_PAD src0_sel:WORD_0 src1_sel:DWORD
	v_cmpx_gt_u32_e32 8, v22
; %bb.703:                              ;   in Loop: Header=BB304_16 Depth=1
	v_ffbh_u32_e32 v6, v6
	v_min_u32_e32 v6, 32, v6
	v_subrev_nc_u32_e32 v13, 28, v6
	v_lshlrev_b64 v[24:25], v13, v[7:8]
	v_sub_nc_u32_e32 v13, 29, v6
	v_and_b32_e32 v6, 7, v24
; %bb.704:                              ;   in Loop: Header=BB304_16 Depth=1
	s_or_b32 exec_lo, exec_lo, s28
	v_mov_b32_e32 v22, 8
	v_lshl_add_u32 v13, v13, 10, 0x2000
	v_lshlrev_b32_e32 v6, 23, v6
	v_lshlrev_b32_sdwa v7, v22, v7 dst_sel:DWORD dst_unused:UNUSED_PAD src0_sel:DWORD src1_sel:WORD_0
	v_and_or_b32 v7, 0x8000, v7, v13
	v_lshl_or_b32 v120, v7, 16, v6
.LBB304_705:                            ;   in Loop: Header=BB304_16 Depth=1
	s_or_b32 exec_lo, exec_lo, s27
.LBB304_706:                            ;   in Loop: Header=BB304_16 Depth=1
	s_or_b32 exec_lo, exec_lo, s26
.LBB304_707:                            ;   in Loop: Header=BB304_16 Depth=1
	s_or_b32 exec_lo, exec_lo, s25
	v_lshrrev_b32_e32 v7, 16, v34
	v_cmp_ne_u16_sdwa s5, v7, v8 src0_sel:BYTE_0 src1_sel:DWORD
	s_and_saveexec_b32 s25, s5
	s_cbranch_execz .LBB304_715
; %bb.708:                              ;   in Loop: Header=BB304_16 Depth=1
	v_cmp_ne_u16_sdwa s5, v7, v68 src0_sel:BYTE_0 src1_sel:DWORD
	v_mov_b32_e32 v110, 0x8000
	s_and_saveexec_b32 s26, s5
	s_cbranch_execz .LBB304_714
; %bb.709:                              ;   in Loop: Header=BB304_16 Depth=1
	v_bfe_u32 v22, v34, 16, 7
	v_mov_b32_e32 v110, 0x7c01
	s_mov_b32 s27, exec_lo
	v_cmpx_ne_u32_e32 0x7f, v22
	s_cbranch_execz .LBB304_713
; %bb.710:                              ;   in Loop: Header=BB304_16 Depth=1
	v_and_b32_e32 v6, 7, v7
	v_lshrrev_b32_e32 v13, 3, v22
	s_mov_b32 s28, exec_lo
	v_cmpx_gt_u32_e32 8, v22
; %bb.711:                              ;   in Loop: Header=BB304_16 Depth=1
	v_ffbh_u32_e32 v6, v6
	v_min_u32_e32 v6, 32, v6
	v_subrev_nc_u32_e32 v13, 28, v6
	v_lshlrev_b64 v[24:25], v13, v[7:8]
	v_sub_nc_u32_e32 v13, 29, v6
	v_and_b32_e32 v6, 7, v24
; %bb.712:                              ;   in Loop: Header=BB304_16 Depth=1
	s_or_b32 exec_lo, exec_lo, s28
	v_lshlrev_b32_e32 v7, 8, v7
	v_lshl_add_u32 v13, v13, 10, 0x2000
	v_lshlrev_b32_e32 v6, 7, v6
	v_and_b32_e32 v7, 0x8000, v7
	v_and_b32_e32 v13, 0xfc00, v13
	v_or3_b32 v110, v7, v13, v6
.LBB304_713:                            ;   in Loop: Header=BB304_16 Depth=1
	s_or_b32 exec_lo, exec_lo, s27
.LBB304_714:                            ;   in Loop: Header=BB304_16 Depth=1
	s_or_b32 exec_lo, exec_lo, s26
.LBB304_715:                            ;   in Loop: Header=BB304_16 Depth=1
	s_or_b32 exec_lo, exec_lo, s25
	v_cmp_lt_u64_e64 s5, s[20:21], v[33:34]
	v_mov_b32_e32 v33, 0
	v_mov_b32_e32 v121, 0
	s_and_saveexec_b32 s25, s5
	s_cbranch_execz .LBB304_723
; %bb.716:                              ;   in Loop: Header=BB304_16 Depth=1
	v_lshrrev_b32_e32 v7, 24, v34
	v_bfrev_b32_e32 v121, 1
	s_mov_b32 s26, exec_lo
	v_cmpx_ne_u32_e32 0x80, v7
	s_cbranch_execz .LBB304_722
; %bb.717:                              ;   in Loop: Header=BB304_16 Depth=1
	v_and_b32_e32 v22, 0x7f, v7
	v_mov_b32_e32 v121, 0x7c010000
	s_mov_b32 s27, exec_lo
	v_cmpx_ne_u32_e32 0x7f, v22
	s_cbranch_execz .LBB304_721
; %bb.718:                              ;   in Loop: Header=BB304_16 Depth=1
	v_and_b32_e32 v6, 7, v7
	v_lshrrev_b32_e32 v13, 3, v22
	s_mov_b32 s28, exec_lo
	v_cmpx_gt_u32_e32 8, v22
; %bb.719:                              ;   in Loop: Header=BB304_16 Depth=1
	v_ffbh_u32_e32 v6, v6
	v_min_u32_e32 v6, 32, v6
	v_subrev_nc_u32_e32 v13, 28, v6
	v_lshlrev_b64 v[24:25], v13, v[7:8]
	v_sub_nc_u32_e32 v13, 29, v6
	v_and_b32_e32 v6, 7, v24
; %bb.720:                              ;   in Loop: Header=BB304_16 Depth=1
	s_or_b32 exec_lo, exec_lo, s28
	v_lshlrev_b32_e32 v7, 8, v7
	v_lshl_add_u32 v13, v13, 10, 0x2000
	v_lshlrev_b32_e32 v6, 23, v6
	v_and_or_b32 v7, 0x8000, v7, v13
	v_lshl_or_b32 v121, v7, 16, v6
.LBB304_721:                            ;   in Loop: Header=BB304_16 Depth=1
	s_or_b32 exec_lo, exec_lo, s27
.LBB304_722:                            ;   in Loop: Header=BB304_16 Depth=1
	s_or_b32 exec_lo, exec_lo, s26
.LBB304_723:                            ;   in Loop: Header=BB304_16 Depth=1
	s_or_b32 exec_lo, exec_lo, s25
	flat_load_dwordx2 v[31:32], v[31:32] offset:520
	s_waitcnt vmcnt(0) lgkmcnt(0)
	v_cmp_ne_u16_sdwa s5, v31, v8 src0_sel:BYTE_0 src1_sel:DWORD
	s_and_saveexec_b32 s25, s5
	s_cbranch_execz .LBB304_731
; %bb.724:                              ;   in Loop: Header=BB304_16 Depth=1
	v_cmp_ne_u16_sdwa s5, v31, v68 src0_sel:BYTE_0 src1_sel:DWORD
	v_mov_b32_e32 v33, 0x8000
	s_and_saveexec_b32 s26, s5
	s_cbranch_execz .LBB304_730
; %bb.725:                              ;   in Loop: Header=BB304_16 Depth=1
	v_and_b32_e32 v13, 0x7f, v31
	v_mov_b32_e32 v33, 0x7c01
	s_mov_b32 s27, exec_lo
	v_cmpx_ne_u32_e32 0x7f, v13
	s_cbranch_execz .LBB304_729
; %bb.726:                              ;   in Loop: Header=BB304_16 Depth=1
	v_and_b32_e32 v6, 7, v31
	v_lshrrev_b32_e32 v7, 3, v13
	s_mov_b32 s28, exec_lo
	v_cmpx_gt_u32_e32 8, v13
; %bb.727:                              ;   in Loop: Header=BB304_16 Depth=1
	v_ffbh_u32_e32 v6, v6
	v_min_u32_e32 v13, 32, v6
	v_subrev_nc_u32_e32 v6, 28, v13
	v_lshlrev_b64 v[6:7], v6, v[31:32]
	v_sub_nc_u32_e32 v7, 29, v13
	v_and_b32_e32 v6, 7, v6
; %bb.728:                              ;   in Loop: Header=BB304_16 Depth=1
	s_or_b32 exec_lo, exec_lo, s28
	v_lshlrev_b32_e32 v13, 8, v31
	v_lshl_add_u32 v7, v7, 10, 0x2000
	v_lshlrev_b32_e32 v6, 7, v6
	v_and_b32_e32 v13, 0x8000, v13
	v_and_b32_e32 v7, 0xfc00, v7
	v_or3_b32 v33, v13, v7, v6
.LBB304_729:                            ;   in Loop: Header=BB304_16 Depth=1
	s_or_b32 exec_lo, exec_lo, s27
.LBB304_730:                            ;   in Loop: Header=BB304_16 Depth=1
	s_or_b32 exec_lo, exec_lo, s26
.LBB304_731:                            ;   in Loop: Header=BB304_16 Depth=1
	s_or_b32 exec_lo, exec_lo, s25
	v_lshrrev_b16 v7, 8, v31
	v_mov_b32_e32 v13, 0
	v_mov_b32_e32 v34, 0
	s_mov_b32 s25, exec_lo
	v_cmpx_ne_u16_e32 0, v7
	s_cbranch_execz .LBB304_739
; %bb.732:                              ;   in Loop: Header=BB304_16 Depth=1
	v_bfrev_b32_e32 v34, 1
	s_mov_b32 s26, exec_lo
	v_cmpx_ne_u16_e32 0x80, v7
	s_cbranch_execz .LBB304_738
; %bb.733:                              ;   in Loop: Header=BB304_16 Depth=1
	v_mov_b32_e32 v6, 0x7f
	v_mov_b32_e32 v34, 0x7c010000
	s_mov_b32 s27, exec_lo
	v_and_b32_sdwa v24, v7, v6 dst_sel:DWORD dst_unused:UNUSED_PAD src0_sel:WORD_0 src1_sel:DWORD
	v_cmpx_ne_u32_e32 0x7f, v24
	s_cbranch_execz .LBB304_737
; %bb.734:                              ;   in Loop: Header=BB304_16 Depth=1
	v_mov_b32_e32 v6, 7
	v_lshrrev_b32_e32 v22, 3, v24
	s_mov_b32 s28, exec_lo
	v_and_b32_sdwa v6, v7, v6 dst_sel:DWORD dst_unused:UNUSED_PAD src0_sel:WORD_0 src1_sel:DWORD
	v_cmpx_gt_u32_e32 8, v24
; %bb.735:                              ;   in Loop: Header=BB304_16 Depth=1
	v_ffbh_u32_e32 v6, v6
	v_min_u32_e32 v6, 32, v6
	v_subrev_nc_u32_e32 v22, 28, v6
	v_lshlrev_b64 v[24:25], v22, v[7:8]
	v_sub_nc_u32_e32 v22, 29, v6
	v_and_b32_e32 v6, 7, v24
; %bb.736:                              ;   in Loop: Header=BB304_16 Depth=1
	s_or_b32 exec_lo, exec_lo, s28
	v_mov_b32_e32 v24, 8
	v_lshl_add_u32 v22, v22, 10, 0x2000
	v_lshlrev_b32_e32 v6, 23, v6
	v_lshlrev_b32_sdwa v7, v24, v7 dst_sel:DWORD dst_unused:UNUSED_PAD src0_sel:DWORD src1_sel:WORD_0
	v_and_or_b32 v7, 0x8000, v7, v22
	v_lshl_or_b32 v34, v7, 16, v6
.LBB304_737:                            ;   in Loop: Header=BB304_16 Depth=1
	s_or_b32 exec_lo, exec_lo, s27
.LBB304_738:                            ;   in Loop: Header=BB304_16 Depth=1
	s_or_b32 exec_lo, exec_lo, s26
.LBB304_739:                            ;   in Loop: Header=BB304_16 Depth=1
	s_or_b32 exec_lo, exec_lo, s25
	v_lshrrev_b32_e32 v7, 16, v31
	v_cmp_ne_u16_sdwa s5, v7, v8 src0_sel:BYTE_0 src1_sel:DWORD
	s_and_saveexec_b32 s25, s5
	s_cbranch_execz .LBB304_747
; %bb.740:                              ;   in Loop: Header=BB304_16 Depth=1
	v_cmp_ne_u16_sdwa s5, v7, v68 src0_sel:BYTE_0 src1_sel:DWORD
	v_mov_b32_e32 v13, 0x8000
	s_and_saveexec_b32 s26, s5
	s_cbranch_execz .LBB304_746
; %bb.741:                              ;   in Loop: Header=BB304_16 Depth=1
	v_bfe_u32 v22, v31, 16, 7
	v_mov_b32_e32 v13, 0x7c01
	s_mov_b32 s27, exec_lo
	v_cmpx_ne_u32_e32 0x7f, v22
	s_cbranch_execz .LBB304_745
; %bb.742:                              ;   in Loop: Header=BB304_16 Depth=1
	v_and_b32_e32 v6, 7, v7
	v_lshrrev_b32_e32 v13, 3, v22
	s_mov_b32 s28, exec_lo
	v_cmpx_gt_u32_e32 8, v22
; %bb.743:                              ;   in Loop: Header=BB304_16 Depth=1
	v_ffbh_u32_e32 v6, v6
	v_min_u32_e32 v6, 32, v6
	v_subrev_nc_u32_e32 v13, 28, v6
	v_lshlrev_b64 v[24:25], v13, v[7:8]
	v_sub_nc_u32_e32 v13, 29, v6
	v_and_b32_e32 v6, 7, v24
; %bb.744:                              ;   in Loop: Header=BB304_16 Depth=1
	s_or_b32 exec_lo, exec_lo, s28
	v_lshlrev_b32_e32 v7, 8, v7
	v_lshl_add_u32 v13, v13, 10, 0x2000
	v_lshlrev_b32_e32 v6, 7, v6
	v_and_b32_e32 v7, 0x8000, v7
	v_and_b32_e32 v13, 0xfc00, v13
	v_or3_b32 v13, v7, v13, v6
.LBB304_745:                            ;   in Loop: Header=BB304_16 Depth=1
	s_or_b32 exec_lo, exec_lo, s27
.LBB304_746:                            ;   in Loop: Header=BB304_16 Depth=1
	s_or_b32 exec_lo, exec_lo, s26
.LBB304_747:                            ;   in Loop: Header=BB304_16 Depth=1
	s_or_b32 exec_lo, exec_lo, s25
	v_mov_b32_e32 v22, 0
	v_mov_b32_e32 v71, 0
	s_mov_b32 s25, exec_lo
	v_cmpx_lt_u32_e32 0xffffff, v31
	s_cbranch_execz .LBB304_755
; %bb.748:                              ;   in Loop: Header=BB304_16 Depth=1
	v_lshrrev_b32_e32 v7, 24, v31
	v_bfrev_b32_e32 v71, 1
	s_mov_b32 s26, exec_lo
	v_cmpx_ne_u32_e32 0x80, v7
	s_cbranch_execz .LBB304_754
; %bb.749:                              ;   in Loop: Header=BB304_16 Depth=1
	v_and_b32_e32 v25, 0x7f, v7
	v_mov_b32_e32 v71, 0x7c010000
	s_mov_b32 s27, exec_lo
	v_cmpx_ne_u32_e32 0x7f, v25
	s_cbranch_execz .LBB304_753
; %bb.750:                              ;   in Loop: Header=BB304_16 Depth=1
	v_and_b32_e32 v6, 7, v7
	v_lshrrev_b32_e32 v24, 3, v25
	s_mov_b32 s28, exec_lo
	v_cmpx_gt_u32_e32 8, v25
; %bb.751:                              ;   in Loop: Header=BB304_16 Depth=1
	v_ffbh_u32_e32 v6, v6
	v_min_u32_e32 v6, 32, v6
	v_subrev_nc_u32_e32 v24, 28, v6
	v_lshlrev_b64 v[48:49], v24, v[7:8]
	v_sub_nc_u32_e32 v24, 29, v6
	v_and_b32_e32 v6, 7, v48
; %bb.752:                              ;   in Loop: Header=BB304_16 Depth=1
	s_or_b32 exec_lo, exec_lo, s28
	v_lshlrev_b32_e32 v7, 8, v7
	v_lshl_add_u32 v24, v24, 10, 0x2000
	v_lshlrev_b32_e32 v6, 23, v6
	v_and_or_b32 v7, 0x8000, v7, v24
	v_lshl_or_b32 v71, v7, 16, v6
.LBB304_753:                            ;   in Loop: Header=BB304_16 Depth=1
	s_or_b32 exec_lo, exec_lo, s27
.LBB304_754:                            ;   in Loop: Header=BB304_16 Depth=1
	s_or_b32 exec_lo, exec_lo, s26
.LBB304_755:                            ;   in Loop: Header=BB304_16 Depth=1
	s_or_b32 exec_lo, exec_lo, s25
	v_mov_b32_e32 v7, v32
	v_cmp_ne_u16_sdwa s5, v32, v8 src0_sel:BYTE_0 src1_sel:DWORD
	s_and_saveexec_b32 s25, s5
	s_cbranch_execz .LBB304_763
; %bb.756:                              ;   in Loop: Header=BB304_16 Depth=1
	v_cmp_ne_u16_sdwa s5, v32, v68 src0_sel:BYTE_0 src1_sel:DWORD
	v_mov_b32_e32 v22, 0x8000
	s_and_saveexec_b32 s26, s5
	s_cbranch_execz .LBB304_762
; %bb.757:                              ;   in Loop: Header=BB304_16 Depth=1
	v_and_b32_e32 v24, 0x7f, v32
	v_mov_b32_e32 v22, 0x7c01
	s_mov_b32 s27, exec_lo
	v_cmpx_ne_u32_e32 0x7f, v24
	s_cbranch_execz .LBB304_761
; %bb.758:                              ;   in Loop: Header=BB304_16 Depth=1
	v_and_b32_e32 v6, 7, v32
	v_lshrrev_b32_e32 v22, 3, v24
	s_mov_b32 s28, exec_lo
	v_cmpx_gt_u32_e32 8, v24
; %bb.759:                              ;   in Loop: Header=BB304_16 Depth=1
	v_ffbh_u32_e32 v6, v6
	v_min_u32_e32 v6, 32, v6
	v_subrev_nc_u32_e32 v22, 28, v6
	v_lshlrev_b64 v[24:25], v22, v[7:8]
	v_sub_nc_u32_e32 v22, 29, v6
	v_and_b32_e32 v6, 7, v24
; %bb.760:                              ;   in Loop: Header=BB304_16 Depth=1
	s_or_b32 exec_lo, exec_lo, s28
	v_lshlrev_b32_e32 v24, 8, v32
	v_lshl_add_u32 v22, v22, 10, 0x2000
	v_lshlrev_b32_e32 v6, 7, v6
	v_and_b32_e32 v24, 0x8000, v24
	v_and_b32_e32 v22, 0xfc00, v22
	v_or3_b32 v22, v24, v22, v6
.LBB304_761:                            ;   in Loop: Header=BB304_16 Depth=1
	s_or_b32 exec_lo, exec_lo, s27
.LBB304_762:                            ;   in Loop: Header=BB304_16 Depth=1
	s_or_b32 exec_lo, exec_lo, s26
.LBB304_763:                            ;   in Loop: Header=BB304_16 Depth=1
	s_or_b32 exec_lo, exec_lo, s25
	v_lshrrev_b16 v7, 8, v7
	v_mov_b32_e32 v81, 0
	v_mov_b32_e32 v25, 0
	s_mov_b32 s25, exec_lo
	v_cmpx_ne_u16_e32 0, v7
	s_cbranch_execz .LBB304_771
; %bb.764:                              ;   in Loop: Header=BB304_16 Depth=1
	v_bfrev_b32_e32 v25, 1
	s_mov_b32 s26, exec_lo
	v_cmpx_ne_u16_e32 0x80, v7
	s_cbranch_execz .LBB304_770
; %bb.765:                              ;   in Loop: Header=BB304_16 Depth=1
	v_mov_b32_e32 v6, 0x7f
	v_mov_b32_e32 v25, 0x7c010000
	s_mov_b32 s27, exec_lo
	v_and_b32_sdwa v48, v7, v6 dst_sel:DWORD dst_unused:UNUSED_PAD src0_sel:WORD_0 src1_sel:DWORD
	v_cmpx_ne_u32_e32 0x7f, v48
	s_cbranch_execz .LBB304_769
; %bb.766:                              ;   in Loop: Header=BB304_16 Depth=1
	v_mov_b32_e32 v6, 7
	v_lshrrev_b32_e32 v24, 3, v48
	s_mov_b32 s28, exec_lo
	v_and_b32_sdwa v6, v7, v6 dst_sel:DWORD dst_unused:UNUSED_PAD src0_sel:WORD_0 src1_sel:DWORD
	v_cmpx_gt_u32_e32 8, v48
; %bb.767:                              ;   in Loop: Header=BB304_16 Depth=1
	v_ffbh_u32_e32 v6, v6
	v_min_u32_e32 v6, 32, v6
	v_subrev_nc_u32_e32 v24, 28, v6
	v_lshlrev_b64 v[48:49], v24, v[7:8]
	v_sub_nc_u32_e32 v24, 29, v6
	v_and_b32_e32 v6, 7, v48
; %bb.768:                              ;   in Loop: Header=BB304_16 Depth=1
	s_or_b32 exec_lo, exec_lo, s28
	v_mov_b32_e32 v25, 8
	v_lshl_add_u32 v24, v24, 10, 0x2000
	v_lshlrev_b32_e32 v6, 23, v6
	v_lshlrev_b32_sdwa v7, v25, v7 dst_sel:DWORD dst_unused:UNUSED_PAD src0_sel:DWORD src1_sel:WORD_0
	v_and_or_b32 v7, 0x8000, v7, v24
	v_lshl_or_b32 v25, v7, 16, v6
.LBB304_769:                            ;   in Loop: Header=BB304_16 Depth=1
	s_or_b32 exec_lo, exec_lo, s27
.LBB304_770:                            ;   in Loop: Header=BB304_16 Depth=1
	s_or_b32 exec_lo, exec_lo, s26
.LBB304_771:                            ;   in Loop: Header=BB304_16 Depth=1
	s_or_b32 exec_lo, exec_lo, s25
	v_lshrrev_b32_e32 v7, 16, v32
	v_cmp_ne_u16_sdwa s5, v7, v8 src0_sel:BYTE_0 src1_sel:DWORD
	s_and_saveexec_b32 s25, s5
	s_cbranch_execz .LBB304_779
; %bb.772:                              ;   in Loop: Header=BB304_16 Depth=1
	v_cmp_ne_u16_sdwa s5, v7, v68 src0_sel:BYTE_0 src1_sel:DWORD
	v_mov_b32_e32 v81, 0x8000
	s_and_saveexec_b32 s26, s5
	s_cbranch_execz .LBB304_778
; %bb.773:                              ;   in Loop: Header=BB304_16 Depth=1
	v_bfe_u32 v48, v32, 16, 7
	v_mov_b32_e32 v81, 0x7c01
	s_mov_b32 s27, exec_lo
	v_cmpx_ne_u32_e32 0x7f, v48
	s_cbranch_execz .LBB304_777
; %bb.774:                              ;   in Loop: Header=BB304_16 Depth=1
	v_and_b32_e32 v6, 7, v7
	v_lshrrev_b32_e32 v24, 3, v48
	s_mov_b32 s28, exec_lo
	v_cmpx_gt_u32_e32 8, v48
; %bb.775:                              ;   in Loop: Header=BB304_16 Depth=1
	v_ffbh_u32_e32 v6, v6
	v_min_u32_e32 v6, 32, v6
	v_subrev_nc_u32_e32 v24, 28, v6
	v_lshlrev_b64 v[48:49], v24, v[7:8]
	v_sub_nc_u32_e32 v24, 29, v6
	v_and_b32_e32 v6, 7, v48
; %bb.776:                              ;   in Loop: Header=BB304_16 Depth=1
	s_or_b32 exec_lo, exec_lo, s28
	v_lshlrev_b32_e32 v7, 8, v7
	v_lshl_add_u32 v24, v24, 10, 0x2000
	v_lshlrev_b32_e32 v6, 7, v6
	v_and_b32_e32 v7, 0x8000, v7
	v_and_b32_e32 v24, 0xfc00, v24
	v_or3_b32 v81, v7, v24, v6
.LBB304_777:                            ;   in Loop: Header=BB304_16 Depth=1
	s_or_b32 exec_lo, exec_lo, s27
.LBB304_778:                            ;   in Loop: Header=BB304_16 Depth=1
	s_or_b32 exec_lo, exec_lo, s26
.LBB304_779:                            ;   in Loop: Header=BB304_16 Depth=1
	s_or_b32 exec_lo, exec_lo, s25
	v_mov_b32_e32 v6, 0
	s_mov_b32 s25, exec_lo
	v_cmpx_lt_u64_e64 s[20:21], v[31:32]
	s_cbranch_execz .LBB304_14
; %bb.780:                              ;   in Loop: Header=BB304_16 Depth=1
	v_lshrrev_b32_e32 v7, 24, v32
	v_bfrev_b32_e32 v6, 1
	s_mov_b32 s26, exec_lo
	v_cmpx_ne_u32_e32 0x80, v7
	s_cbranch_execz .LBB304_13
; %bb.781:                              ;   in Loop: Header=BB304_16 Depth=1
	v_and_b32_e32 v31, 0x7f, v7
	v_mov_b32_e32 v6, 0x7c010000
	s_mov_b32 s27, exec_lo
	v_cmpx_ne_u32_e32 0x7f, v31
	s_cbranch_execz .LBB304_12
; %bb.782:                              ;   in Loop: Header=BB304_16 Depth=1
	v_and_b32_e32 v6, 7, v7
	v_lshrrev_b32_e32 v24, 3, v31
	s_mov_b32 s28, exec_lo
	v_cmpx_gt_u32_e32 8, v31
	s_cbranch_execz .LBB304_11
; %bb.783:                              ;   in Loop: Header=BB304_16 Depth=1
	v_ffbh_u32_e32 v6, v6
	v_min_u32_e32 v6, 32, v6
	v_subrev_nc_u32_e32 v24, 28, v6
	v_lshlrev_b64 v[31:32], v24, v[7:8]
	v_sub_nc_u32_e32 v24, 29, v6
	v_and_b32_e32 v6, 7, v31
	s_branch .LBB304_11
.LBB304_784:
	s_or_b32 exec_lo, exec_lo, s24
	s_clause 0x13
	buffer_load_dword v44, off, s[0:3], s32 offset:268
	buffer_load_dword v35, off, s[0:3], s32 offset:272
	;; [unrolled: 1-line block ×20, first 2 shown]
.LBB304_785:
	s_or_b32 exec_lo, exec_lo, s23
	v_mbcnt_lo_u32_b32 v0, -1, 0
	v_max_f32_e32 v4, v13, v13
	s_waitcnt lgkmcnt(0)
	s_lshr_b32 s8, s22, 16
	v_xor_b32_e32 v1, 16, v0
	v_xor_b32_e32 v3, 8, v0
	;; [unrolled: 1-line block ×3, first 2 shown]
	v_cmp_gt_i32_e32 vcc_lo, 32, v1
	v_cndmask_b32_e32 v1, v0, v1, vcc_lo
	v_cmp_gt_i32_e32 vcc_lo, 32, v3
	v_lshlrev_b32_e32 v2, 2, v1
	v_cndmask_b32_e32 v3, v0, v3, vcc_lo
	v_cmp_gt_i32_e32 vcc_lo, 32, v5
	ds_bpermute_b32 v1, v2, v13
	v_lshlrev_b32_e32 v3, 2, v3
	v_cndmask_b32_e32 v5, v0, v5, vcc_lo
	s_waitcnt lgkmcnt(0)
	v_max_f32_e32 v1, v1, v1
	v_max_f32_e32 v1, v4, v1
	ds_bpermute_b32 v4, v3, v1
	s_waitcnt lgkmcnt(0)
	v_max_f32_e32 v6, v4, v4
	v_lshlrev_b32_e32 v4, 2, v5
	v_max_f32_e32 v1, v1, v6
	v_xor_b32_e32 v6, 2, v0
	ds_bpermute_b32 v5, v4, v1
	v_cmp_gt_i32_e32 vcc_lo, 32, v6
	v_cndmask_b32_e32 v6, v0, v6, vcc_lo
	v_lshlrev_b32_e32 v20, 2, v6
	v_xor_b32_e32 v6, 1, v0
	v_cmp_gt_i32_e32 vcc_lo, 32, v6
	s_waitcnt lgkmcnt(0)
	v_max_f32_e32 v5, v5, v5
	v_cndmask_b32_e32 v6, v0, v6, vcc_lo
	v_max_f32_e32 v1, v1, v5
	v_lshlrev_b32_e32 v13, 2, v6
	ds_bpermute_b32 v5, v20, v1
	s_waitcnt lgkmcnt(0)
	v_max_f32_e32 v5, v5, v5
	v_max_f32_e32 v0, v1, v5
	buffer_load_dword v5, off, s[0:3], s32 offset:236 ; 4-byte Folded Reload
	ds_bpermute_b32 v1, v13, v0
	s_waitcnt vmcnt(0)
	v_cmp_eq_u32_e32 vcc_lo, 0, v5
	v_lshlrev_b32_e32 v5, 2, v47
	s_and_saveexec_b32 s5, vcc_lo
	s_cbranch_execz .LBB304_787
; %bb.786:
	s_waitcnt lgkmcnt(0)
	v_max_f32_e32 v1, v1, v1
	v_max_f32_e32 v0, v0, v0
	;; [unrolled: 1-line block ×3, first 2 shown]
	ds_write_b32 v5, v0 offset:192
.LBB304_787:
	s_or_b32 exec_lo, exec_lo, s5
	buffer_load_dword v0, off, s[0:3], s32 offset:236 ; 4-byte Folded Reload
	s_waitcnt vmcnt(0) lgkmcnt(0)
	s_waitcnt_vscnt null, 0x0
	s_barrier
	buffer_gl0_inv
	v_cmp_gt_u32_e64 s5, 4, v0
	v_mov_b32_e32 v0, 0xff7fffff
	s_and_saveexec_b32 s6, s5
; %bb.788:
	ds_read_b32 v0, v21 offset:192
; %bb.789:
	s_or_b32 exec_lo, exec_lo, s6
	buffer_load_dword v6, off, s[0:3], s32 offset:212 ; 4-byte Folded Reload
	s_waitcnt lgkmcnt(0)
	ds_bpermute_b32 v1, v20, v0
	v_max_f32_e32 v0, v0, v0
	s_waitcnt lgkmcnt(0)
	v_max_f32_e32 v1, v1, v1
	v_max_f32_e32 v0, v0, v1
	ds_bpermute_b32 v1, v13, v0
	s_waitcnt lgkmcnt(0)
	v_max_f32_e32 v1, v1, v1
	v_max_f32_e32 v0, v0, v1
	s_waitcnt vmcnt(0)
	v_subrev_nc_u32_e32 v7, s13, v6
	v_mov_b32_e32 v6, 0
	v_lshl_add_u32 v1, v7, 5, s7
	ds_bpermute_b32 v0, v6, v0
	v_min_i32_e32 v1, v1, v36
	v_subrev_nc_u32_e32 v1, s7, v1
	v_cmp_lt_i32_e64 s6, v37, v1
	s_and_saveexec_b32 s9, s6
	s_cbranch_execz .LBB304_793
; %bb.790:
	s_getpc_b64 s[20:21]
	s_add_u32 s20, s20, llvm.amdgcn.dynlds.offset.table@rel32@lo+4
	s_addc_u32 s21, s21, llvm.amdgcn.dynlds.offset.table@rel32@hi+12
	s_ashr_i32 s17, s16, 31
	v_mov_b32_e32 v6, 0
	s_lshl_b64 s[22:23], s[16:17], 2
	v_mov_b32_e32 v8, v37
	s_add_u32 s20, s20, s22
	s_addc_u32 s21, s21, s23
	s_mov_b32 s13, 0
	s_load_dword s7, s[20:21], 0x0
	s_waitcnt lgkmcnt(0)
	v_lshl_add_u32 v7, v37, 2, s7
	.p2align	6
.LBB304_791:                            ; =>This Inner Loop Header: Depth=1
	ds_read_b32 v9, v7
	v_add_nc_u32_e32 v8, 0x80, v8
	v_cmp_ge_i32_e64 s7, v8, v1
	s_or_b32 s13, s7, s13
	s_waitcnt lgkmcnt(0)
	v_sub_f32_e32 v9, v9, v0
	v_mul_f32_e32 v9, 0x3fb8aa3b, v9
	v_exp_f32_e32 v9, v9
	ds_write_b32 v7, v9
	v_add_f32_e32 v6, v6, v9
	v_add_nc_u32_e32 v7, 0x200, v7
	s_andn2_b32 exec_lo, exec_lo, s13
	s_cbranch_execnz .LBB304_791
; %bb.792:
	s_or_b32 exec_lo, exec_lo, s13
.LBB304_793:
	s_or_b32 exec_lo, exec_lo, s9
	ds_bpermute_b32 v2, v2, v6
	s_waitcnt lgkmcnt(0)
	v_add_f32_e32 v2, v6, v2
	ds_bpermute_b32 v3, v3, v2
	s_waitcnt lgkmcnt(0)
	v_add_f32_e32 v2, v2, v3
	;; [unrolled: 3-line block ×5, first 2 shown]
	s_and_saveexec_b32 s7, vcc_lo
; %bb.794:
	ds_write_b32 v5, v2 offset:208
; %bb.795:
	s_or_b32 exec_lo, exec_lo, s7
	s_waitcnt lgkmcnt(0)
	s_barrier
	buffer_gl0_inv
	s_and_saveexec_b32 s7, s5
; %bb.796:
	ds_read_b32 v2, v21 offset:208
; %bb.797:
	s_or_b32 exec_lo, exec_lo, s7
	s_waitcnt lgkmcnt(0)
	ds_bpermute_b32 v3, v20, v2
	s_waitcnt lgkmcnt(0)
	v_add_f32_e32 v2, v2, v3
	ds_bpermute_b32 v3, v13, v2
	s_waitcnt lgkmcnt(0)
	v_add_f32_e32 v2, v2, v3
	v_mov_b32_e32 v3, 0
	ds_bpermute_b32 v2, v3, v2
	s_and_saveexec_b32 s5, s6
	s_cbranch_execz .LBB304_800
; %bb.798:
	s_waitcnt lgkmcnt(0)
	v_add_f32_e32 v4, 0x358637bd, v2
	s_getpc_b64 s[6:7]
	s_add_u32 s6, s6, llvm.amdgcn.dynlds.offset.table@rel32@lo+4
	s_addc_u32 s7, s7, llvm.amdgcn.dynlds.offset.table@rel32@hi+12
	s_ashr_i32 s17, s16, 31
	s_lshl_b64 s[20:21], s[16:17], 2
	v_div_scale_f32 v3, null, v4, v4, 1.0
	v_div_scale_f32 v7, vcc_lo, 1.0, v4, 1.0
	s_add_u32 s6, s6, s20
	v_rcp_f32_e32 v5, v3
	s_addc_u32 s7, s7, s21
	s_load_dword s6, s[6:7], 0x0
	v_fma_f32 v6, -v3, v5, 1.0
	v_fmac_f32_e32 v5, v6, v5
	v_mul_f32_e32 v6, v7, v5
	v_fma_f32 v8, -v3, v6, v7
	v_fmac_f32_e32 v6, v8, v5
	v_fma_f32 v3, -v3, v6, v7
	v_div_fmas_f32 v5, v3, v5, v6
	s_waitcnt lgkmcnt(0)
	v_lshl_add_u32 v3, v37, 2, s6
	s_mov_b32 s6, 0
	v_div_fixup_f32 v4, v5, v4, 1.0
	v_mov_b32_e32 v5, v37
.LBB304_799:                            ; =>This Inner Loop Header: Depth=1
	ds_read_b32 v6, v3
	v_add_nc_u32_e32 v5, 0x80, v5
	v_cmp_ge_i32_e32 vcc_lo, v5, v1
	s_or_b32 s6, vcc_lo, s6
	s_waitcnt lgkmcnt(0)
	v_mul_f32_e32 v6, v4, v6
	ds_write_b32 v3, v6
	v_add_nc_u32_e32 v3, 0x200, v3
	s_andn2_b32 exec_lo, exec_lo, s6
	s_cbranch_execnz .LBB304_799
.LBB304_800:
	s_or_b32 exec_lo, exec_lo, s5
	s_and_b32 s5, 0xffff, s8
	s_mov_b32 s8, exec_lo
	s_cmp_lg_u32 s5, 0
	s_waitcnt lgkmcnt(0)
	s_cselect_b32 s5, -1, 0
	s_barrier
	s_cmp_lg_u32 s5, 0
	buffer_gl0_inv
	s_addc_u32 s5, s11, 0
	s_mul_i32 s6, s5, s18
	s_mul_i32 s6, s6, s15
	v_cmpx_eq_u32_e32 0, v37
	s_cbranch_execz .LBB304_802
; %bb.801:
	s_ashr_i32 s7, s6, 31
	s_mul_i32 s12, s5, s12
	s_lshl_b64 s[20:21], s[6:7], 2
	s_ashr_i32 s13, s12, 31
	v_add_co_u32 v1, vcc_lo, v32, s20
	v_add_co_ci_u32_e64 v3, null, s21, v25, vcc_lo
	s_lshl_b64 s[12:13], s[12:13], 2
	s_ashr_i32 s15, s14, 31
	v_add_co_u32 v1, vcc_lo, v1, s12
	v_add_co_ci_u32_e64 v4, null, s13, v3, vcc_lo
	v_add_co_u32 v3, vcc_lo, v24, s20
	v_add_co_ci_u32_e64 v5, null, s21, v22, vcc_lo
	s_lshl_b64 s[20:21], s[14:15], 2
	v_add_co_u32 v6, vcc_lo, v3, s12
	v_add_co_ci_u32_e64 v7, null, s13, v5, vcc_lo
	v_add_co_u32 v3, vcc_lo, v1, s20
	v_add_co_ci_u32_e64 v4, null, s21, v4, vcc_lo
	;; [unrolled: 2-line block ×3, first 2 shown]
	flat_store_dword v[3:4], v0
	flat_store_dword v[5:6], v2
.LBB304_802:
	s_or_b32 exec_lo, exec_lo, s8
	s_ashr_i32 s17, s16, 31
	s_getpc_b64 s[8:9]
	s_add_u32 s8, s8, llvm.amdgcn.dynlds.offset.table@rel32@lo+4
	s_addc_u32 s9, s9, llvm.amdgcn.dynlds.offset.table@rel32@hi+12
	s_lshl_b64 s[12:13], s[16:17], 2
	v_mov_b32_e32 v65, 0
	v_and_b32_e32 v21, 3, v37
	v_mov_b32_e32 v66, 0
	v_mov_b32_e32 v64, 0
	;; [unrolled: 1-line block ×11, first 2 shown]
	s_add_u32 s8, s8, s12
	s_addc_u32 s9, s9, s13
	s_and_saveexec_b32 s7, s4
	s_cbranch_execz .LBB304_1600
; %bb.803:
	v_max_i32_e32 v30, v30, v48
	s_load_dword s4, s[8:9], 0x0
	v_lshlrev_b32_e32 v0, 3, v37
	v_lshlrev_b64 v[2:3], 2, v[16:17]
	v_lshlrev_b32_e32 v7, 5, v21
	v_cvt_f32_u32_e32 v1, v30
	v_sub_nc_u32_e32 v8, 0, v30
	v_mov_b32_e32 v9, v47
	v_add_co_u32 v4, vcc_lo, v10, v12
	v_rcp_iflag_f32_e32 v6, v1
	v_and_b32_e32 v68, 24, v0
	v_and_b32_e32 v0, 0xf8, v0
	v_add_co_ci_u32_e64 v5, null, v11, v49, vcc_lo
	v_lshl_or_b32 v9, v9, 7, v7
	v_add_co_u32 v7, vcc_lo, v18, v2
	v_add_co_ci_u32_e64 v10, null, v19, v3, vcc_lo
	v_mul_f32_e32 v6, 0x4f7ffffe, v6
	v_add_co_u32 v2, vcc_lo, v4, v0
	v_add_co_ci_u32_e64 v3, null, 0, v5, vcc_lo
	v_cvt_u32_f32_e32 v6, v6
	v_add_co_u32 v7, vcc_lo, v14, v7
	v_mov_b32_e32 v45, v35
	v_mov_b32_e32 v46, v37
	v_mul_lo_u32 v8, v8, v6
	v_add_nc_u32_e32 v52, -1, v38
	v_mov_b32_e32 v1, 0
	v_mov_b32_e32 v17, 0x80
	;; [unrolled: 1-line block ×6, first 2 shown]
	v_mul_hi_u32 v11, v6, v8
	v_mov_b32_e32 v25, 0
	v_mov_b32_e32 v28, 0
	;; [unrolled: 1-line block ×7, first 2 shown]
	v_add_co_ci_u32_e64 v8, null, v15, v10, vcc_lo
	s_waitcnt lgkmcnt(0)
	v_add_nc_u32_e32 v14, s4, v9
	v_add_nc_u32_e32 v15, v6, v11
	v_mov_b32_e32 v55, 0
	v_mov_b32_e32 v64, 0
	;; [unrolled: 1-line block ×4, first 2 shown]
	s_mov_b32 s12, -1
	s_mov_b32 s13, 0xffffff
	s_mov_b32 s11, 0
	s_branch .LBB304_806
.LBB304_804:                            ;   in Loop: Header=BB304_806 Depth=1
	s_or_b32 exec_lo, exec_lo, s4
	v_add_f32_e32 v4, v4, v5
	v_add_f32_e32 v5, v115, v116
	;; [unrolled: 1-line block ×7, first 2 shown]
	;;#ASMSTART
	v_pk_mul_f16 v5, v85, v10;

	;;#ASMEND
	;;#ASMSTART
	v_pk_mul_f16 v9, v82, v9;

	;;#ASMEND
	;; [unrolled: 4-line block ×4, first 2 shown]
	;;#ASMSTART
	v_pk_add_f16 v5, v5, v9;

	;;#ASMEND
	;;#ASMSTART
	v_pk_add_f16 v5, v5, v6;

	;;#ASMEND
	;; [unrolled: 4-line block ×3, first 2 shown]
	v_and_b32_e32 v9, 0xffff, v0
	v_lshrrev_b32_e32 v10, 16, v0
	;;#ASMSTART
	v_cvt_f32_f16 v9, v9;
	;;#ASMEND
	v_add_f32_e32 v25, v25, v11
	v_add_f32_e32 v28, v28, v12
	;; [unrolled: 1-line block ×8, first 2 shown]
	;;#ASMSTART
	v_cvt_f32_f16 v10, v10;
	;;#ASMEND
	v_add_f32_e32 v9, v9, v10
	v_add_f32_e32 v29, v29, v18
	v_add_f32_e32 v33, v33, v11
	v_add_f32_e32 v34, v34, v12
	v_add_f32_e32 v55, v55, v4
	v_add_f32_e32 v64, v64, v0
	v_add_f32_e32 v66, v66, v5
	v_add_f32_e32 v65, v65, v6
	v_add_f32_e32 v24, v24, v9
.LBB304_805:                            ;   in Loop: Header=BB304_806 Depth=1
	s_or_b32 exec_lo, exec_lo, s15
	buffer_load_dword v0, off, s[0:3], s32 offset:212 ; 4-byte Folded Reload
	v_add_nc_u32_e32 v16, 4, v16
	v_add_co_u32 v7, s4, v7, 16
	v_add_co_ci_u32_e64 v8, null, 0, v8, s4
	v_add_nc_u32_e32 v23, 0x80, v23
	v_add_nc_u32_e32 v14, 0x200, v14
	s_waitcnt vmcnt(0)
	v_cmp_ge_i32_e32 vcc_lo, v16, v0
	s_or_b32 s11, vcc_lo, s11
	s_andn2_b32 exec_lo, exec_lo, s11
	s_cbranch_execz .LBB304_1599
.LBB304_806:                            ; =>This Inner Loop Header: Depth=1
	s_clause 0x1
	buffer_load_dword v4, off, s[0:3], s32 offset:216
	buffer_load_dword v9, off, s[0:3], s32 offset:208
	v_sub_nc_u32_e32 v0, 0, v23
	v_max_i32_e32 v0, v23, v0
	s_waitcnt vmcnt(1)
	v_mul_hi_u32 v4, v0, v4
	v_mul_lo_u32 v5, v4, v39
	v_sub_nc_u32_e32 v0, v0, v5
	v_add_nc_u32_e32 v5, 1, v4
	v_sub_nc_u32_e32 v6, v0, v39
	v_cmp_ge_u32_e32 vcc_lo, v0, v39
	v_cndmask_b32_e32 v4, v4, v5, vcc_lo
	v_cndmask_b32_e32 v0, v0, v6, vcc_lo
	v_ashrrev_i32_e32 v5, 31, v23
	v_add_nc_u32_e32 v6, 1, v4
	v_cmp_ge_u32_e32 vcc_lo, v0, v39
	s_waitcnt vmcnt(0)
	v_xor_b32_e32 v5, v5, v9
	v_cndmask_b32_e32 v0, v4, v6, vcc_lo
	v_xor_b32_e32 v0, v0, v5
	v_sub_nc_u32_e32 v0, v0, v5
	s_clause 0x1
	buffer_load_dword v4, off, s[0:3], s32 offset:200
	buffer_load_dword v5, off, s[0:3], s32 offset:204
	s_waitcnt vmcnt(1)
	v_add_nc_u32_e32 v4, v0, v4
	s_waitcnt vmcnt(0)
	v_sub_nc_u32_e32 v5, 0, v4
	v_max_i32_e32 v5, v4, v5
	v_ashrrev_i32_e32 v4, 31, v4
	v_mul_hi_u32 v6, v5, v15
	v_mul_lo_u32 v6, v6, v30
	v_sub_nc_u32_e32 v5, v5, v6
	v_sub_nc_u32_e32 v6, v5, v30
	v_cmp_ge_u32_e32 vcc_lo, v5, v30
	v_cndmask_b32_e32 v5, v5, v6, vcc_lo
	v_sub_nc_u32_e32 v6, v5, v30
	v_cmp_ge_u32_e32 vcc_lo, v5, v30
	v_cndmask_b32_e32 v5, v5, v6, vcc_lo
	v_xor_b32_e32 v5, v5, v4
	v_sub_nc_u32_e32 v4, v5, v4
	v_cmp_eq_u32_e32 vcc_lo, 0, v4
	buffer_load_dword v4, off, s[0:3], s32 offset:220 ; 4-byte Folded Reload
	s_waitcnt vmcnt(0)
	v_cmp_gt_i32_e64 s4, v0, v4
	s_or_b32 s4, vcc_lo, s4
	s_and_saveexec_b32 s15, s4
	s_cbranch_execz .LBB304_805
; %bb.807:                              ;   in Loop: Header=BB304_806 Depth=1
	flat_load_dword v0, v[7:8]
	ds_read2_b64 v[48:51], v14 offset1:1
	ds_read2_b64 v[80:83], v14 offset0:2 offset1:3
	v_mov_b32_e32 v22, 0
	s_waitcnt lgkmcnt(1)
	;;#ASMSTART
	v_cvt_f16_f32 v4, v48;

	;;#ASMEND
	buffer_load_dword v5, off, s[0:3], s32 offset:224 ; 4-byte Folded Reload
	s_waitcnt vmcnt(0)
	v_mad_i64_i32 v[9:10], null, v0, v5, v[2:3]
	;;#ASMSTART
	v_cvt_f16_f32 v5, v49;

	;;#ASMEND
	;;#ASMSTART
	v_cvt_f16_f32 v38, v50;

	;;#ASMEND
	;; [unrolled: 4-line block ×3, first 2 shown]
	s_waitcnt lgkmcnt(0)
	;;#ASMSTART
	v_cvt_f16_f32 v69, v80;

	;;#ASMEND
	;;#ASMSTART
	v_cvt_f16_f32 v35, v81;

	;;#ASMEND
	;; [unrolled: 4-line block ×4, first 2 shown]
	flat_load_dwordx2 v[11:12], v[9:10]
	flat_load_dword v71, v[26:27]
	v_mov_b32_e32 v80, 0
	s_waitcnt vmcnt(1) lgkmcnt(1)
	v_cmp_ne_u16_sdwa s16, v11, v1 src0_sel:BYTE_0 src1_sel:DWORD
	s_and_saveexec_b32 s4, s16
	s_cbranch_execz .LBB304_815
; %bb.808:                              ;   in Loop: Header=BB304_806 Depth=1
	v_cmp_ne_u16_sdwa s17, v11, v17 src0_sel:BYTE_0 src1_sel:DWORD
	v_mov_b32_e32 v80, 0x8000
	s_and_saveexec_b32 s16, s17
	s_cbranch_execz .LBB304_814
; %bb.809:                              ;   in Loop: Header=BB304_806 Depth=1
	v_and_b32_e32 v18, 0x7f, v11
	v_mov_b32_e32 v80, 0x7c01
	s_mov_b32 s17, exec_lo
	v_cmpx_ne_u32_e32 0x7f, v18
	s_cbranch_execz .LBB304_813
; %bb.810:                              ;   in Loop: Header=BB304_806 Depth=1
	v_and_b32_e32 v0, 7, v11
	v_lshrrev_b32_e32 v6, 3, v18
	s_mov_b32 s18, exec_lo
	v_cmpx_gt_u32_e32 8, v18
; %bb.811:                              ;   in Loop: Header=BB304_806 Depth=1
	v_ffbh_u32_e32 v0, v0
	v_min_u32_e32 v0, 32, v0
	v_subrev_nc_u32_e32 v6, 28, v0
	v_lshlrev_b64 v[48:49], v6, v[11:12]
	v_sub_nc_u32_e32 v6, 29, v0
	v_and_b32_e32 v0, 7, v48
; %bb.812:                              ;   in Loop: Header=BB304_806 Depth=1
	s_or_b32 exec_lo, exec_lo, s18
	v_lshlrev_b32_e32 v18, 8, v11
	v_lshl_add_u32 v6, v6, 10, 0x2000
	v_lshlrev_b32_e32 v0, 7, v0
	v_and_b32_e32 v18, 0x8000, v18
	v_and_b32_e32 v6, 0xfc00, v6
	v_or3_b32 v80, v18, v6, v0
.LBB304_813:                            ;   in Loop: Header=BB304_806 Depth=1
	s_or_b32 exec_lo, exec_lo, s17
.LBB304_814:                            ;   in Loop: Header=BB304_806 Depth=1
	s_or_b32 exec_lo, exec_lo, s16
.LBB304_815:                            ;   in Loop: Header=BB304_806 Depth=1
	s_or_b32 exec_lo, exec_lo, s4
	v_lshrrev_b16 v0, 8, v11
	s_mov_b32 s4, exec_lo
	v_cmpx_ne_u16_e32 0, v0
	s_cbranch_execz .LBB304_823
; %bb.816:                              ;   in Loop: Header=BB304_806 Depth=1
	v_bfrev_b32_e32 v22, 1
	s_mov_b32 s16, exec_lo
	v_cmpx_ne_u16_e32 0x80, v0
	s_cbranch_execz .LBB304_822
; %bb.817:                              ;   in Loop: Header=BB304_806 Depth=1
	v_and_b32_sdwa v48, v0, v53 dst_sel:DWORD dst_unused:UNUSED_PAD src0_sel:WORD_0 src1_sel:DWORD
	v_mov_b32_e32 v22, 0x7c010000
	s_mov_b32 s17, exec_lo
	v_cmpx_ne_u32_e32 0x7f, v48
	s_cbranch_execz .LBB304_821
; %bb.818:                              ;   in Loop: Header=BB304_806 Depth=1
	v_and_b32_sdwa v6, v0, v54 dst_sel:DWORD dst_unused:UNUSED_PAD src0_sel:WORD_0 src1_sel:DWORD
	v_lshrrev_b32_e32 v18, 3, v48
	s_mov_b32 s18, exec_lo
	v_cmpx_gt_u32_e32 8, v48
; %bb.819:                              ;   in Loop: Header=BB304_806 Depth=1
	v_ffbh_u32_e32 v6, v6
	v_min_u32_e32 v6, 32, v6
	v_subrev_nc_u32_e32 v18, 28, v6
	v_lshlrev_b64 v[48:49], v18, v[0:1]
	v_sub_nc_u32_e32 v18, 29, v6
	v_and_b32_e32 v6, 7, v48
; %bb.820:                              ;   in Loop: Header=BB304_806 Depth=1
	s_or_b32 exec_lo, exec_lo, s18
	v_lshlrev_b32_sdwa v0, v67, v0 dst_sel:DWORD dst_unused:UNUSED_PAD src0_sel:DWORD src1_sel:WORD_0
	v_lshl_add_u32 v18, v18, 10, 0x2000
	v_lshlrev_b32_e32 v6, 23, v6
	v_and_or_b32 v0, 0x8000, v0, v18
	v_lshl_or_b32 v22, v0, 16, v6
.LBB304_821:                            ;   in Loop: Header=BB304_806 Depth=1
	s_or_b32 exec_lo, exec_lo, s17
.LBB304_822:                            ;   in Loop: Header=BB304_806 Depth=1
	s_or_b32 exec_lo, exec_lo, s16
.LBB304_823:                            ;   in Loop: Header=BB304_806 Depth=1
	s_or_b32 exec_lo, exec_lo, s4
	v_lshrrev_b32_e32 v0, 16, v11
	v_mov_b32_e32 v81, 0
	v_mov_b32_e32 v18, 0
	v_cmp_ne_u16_sdwa s16, v0, v1 src0_sel:BYTE_0 src1_sel:DWORD
	s_and_saveexec_b32 s4, s16
	s_cbranch_execz .LBB304_831
; %bb.824:                              ;   in Loop: Header=BB304_806 Depth=1
	v_cmp_ne_u16_sdwa s17, v0, v17 src0_sel:BYTE_0 src1_sel:DWORD
	v_mov_b32_e32 v18, 0x8000
	s_and_saveexec_b32 s16, s17
	s_cbranch_execz .LBB304_830
; %bb.825:                              ;   in Loop: Header=BB304_806 Depth=1
	v_bfe_u32 v48, v11, 16, 7
	v_mov_b32_e32 v18, 0x7c01
	s_mov_b32 s17, exec_lo
	v_cmpx_ne_u32_e32 0x7f, v48
	s_cbranch_execz .LBB304_829
; %bb.826:                              ;   in Loop: Header=BB304_806 Depth=1
	v_and_b32_e32 v6, 7, v0
	v_lshrrev_b32_e32 v18, 3, v48
	s_mov_b32 s18, exec_lo
	v_cmpx_gt_u32_e32 8, v48
; %bb.827:                              ;   in Loop: Header=BB304_806 Depth=1
	v_ffbh_u32_e32 v6, v6
	v_min_u32_e32 v6, 32, v6
	v_subrev_nc_u32_e32 v18, 28, v6
	v_lshlrev_b64 v[48:49], v18, v[0:1]
	v_sub_nc_u32_e32 v18, 29, v6
	v_and_b32_e32 v6, 7, v48
; %bb.828:                              ;   in Loop: Header=BB304_806 Depth=1
	s_or_b32 exec_lo, exec_lo, s18
	v_lshlrev_b32_e32 v0, 8, v0
	v_lshl_add_u32 v18, v18, 10, 0x2000
	v_lshlrev_b32_e32 v6, 7, v6
	v_and_b32_e32 v0, 0x8000, v0
	v_and_b32_e32 v18, 0xfc00, v18
	v_or3_b32 v18, v0, v18, v6
.LBB304_829:                            ;   in Loop: Header=BB304_806 Depth=1
	s_or_b32 exec_lo, exec_lo, s17
.LBB304_830:                            ;   in Loop: Header=BB304_806 Depth=1
	s_or_b32 exec_lo, exec_lo, s16
.LBB304_831:                            ;   in Loop: Header=BB304_806 Depth=1
	s_or_b32 exec_lo, exec_lo, s4
	s_mov_b32 s4, exec_lo
	v_cmpx_lt_u32_e32 0xffffff, v11
	s_cbranch_execz .LBB304_839
; %bb.832:                              ;   in Loop: Header=BB304_806 Depth=1
	v_lshrrev_b32_e32 v0, 24, v11
	v_bfrev_b32_e32 v81, 1
	s_mov_b32 s16, exec_lo
	v_cmpx_ne_u32_e32 0x80, v0
	s_cbranch_execz .LBB304_838
; %bb.833:                              ;   in Loop: Header=BB304_806 Depth=1
	v_and_b32_e32 v51, 0x7f, v0
	v_mov_b32_e32 v81, 0x7c010000
	s_mov_b32 s17, exec_lo
	v_cmpx_ne_u32_e32 0x7f, v51
	s_cbranch_execz .LBB304_837
; %bb.834:                              ;   in Loop: Header=BB304_806 Depth=1
	v_and_b32_e32 v6, 7, v0
	v_lshrrev_b32_e32 v48, 3, v51
	s_mov_b32 s18, exec_lo
	v_cmpx_gt_u32_e32 8, v51
; %bb.835:                              ;   in Loop: Header=BB304_806 Depth=1
	v_ffbh_u32_e32 v6, v6
	v_min_u32_e32 v6, 32, v6
	v_subrev_nc_u32_e32 v48, 28, v6
	v_lshlrev_b64 v[49:50], v48, v[0:1]
	v_sub_nc_u32_e32 v48, 29, v6
	v_and_b32_e32 v6, 7, v49
; %bb.836:                              ;   in Loop: Header=BB304_806 Depth=1
	s_or_b32 exec_lo, exec_lo, s18
	v_lshlrev_b32_e32 v0, 8, v0
	v_lshl_add_u32 v48, v48, 10, 0x2000
	v_lshlrev_b32_e32 v6, 23, v6
	v_and_or_b32 v0, 0x8000, v0, v48
	v_lshl_or_b32 v81, v0, 16, v6
.LBB304_837:                            ;   in Loop: Header=BB304_806 Depth=1
	s_or_b32 exec_lo, exec_lo, s17
.LBB304_838:                            ;   in Loop: Header=BB304_806 Depth=1
	s_or_b32 exec_lo, exec_lo, s16
.LBB304_839:                            ;   in Loop: Header=BB304_806 Depth=1
	s_or_b32 exec_lo, exec_lo, s4
	v_mov_b32_e32 v0, v12
	v_cmp_ne_u16_sdwa s16, v12, v1 src0_sel:BYTE_0 src1_sel:DWORD
	v_mov_b32_e32 v6, 0
	v_mov_b32_e32 v48, 0
	s_and_saveexec_b32 s4, s16
	s_cbranch_execz .LBB304_847
; %bb.840:                              ;   in Loop: Header=BB304_806 Depth=1
	v_cmp_ne_u16_sdwa s17, v12, v17 src0_sel:BYTE_0 src1_sel:DWORD
	v_mov_b32_e32 v48, 0x8000
	s_and_saveexec_b32 s16, s17
	s_cbranch_execz .LBB304_846
; %bb.841:                              ;   in Loop: Header=BB304_806 Depth=1
	v_and_b32_e32 v82, 0x7f, v12
	v_mov_b32_e32 v48, 0x7c01
	s_mov_b32 s17, exec_lo
	v_cmpx_ne_u32_e32 0x7f, v82
	s_cbranch_execz .LBB304_845
; %bb.842:                              ;   in Loop: Header=BB304_806 Depth=1
	v_and_b32_e32 v48, 7, v12
	v_lshrrev_b32_e32 v51, 3, v82
	s_mov_b32 s18, exec_lo
	v_cmpx_gt_u32_e32 8, v82
; %bb.843:                              ;   in Loop: Header=BB304_806 Depth=1
	v_ffbh_u32_e32 v48, v48
	v_min_u32_e32 v50, 32, v48
	v_subrev_nc_u32_e32 v48, 28, v50
	v_sub_nc_u32_e32 v51, 29, v50
	v_lshlrev_b64 v[48:49], v48, v[0:1]
	v_and_b32_e32 v48, 7, v48
; %bb.844:                              ;   in Loop: Header=BB304_806 Depth=1
	s_or_b32 exec_lo, exec_lo, s18
	v_lshlrev_b32_e32 v49, 8, v12
	v_lshl_add_u32 v50, v51, 10, 0x2000
	v_lshlrev_b32_e32 v48, 7, v48
	v_and_b32_e32 v49, 0x8000, v49
	v_and_b32_e32 v50, 0xfc00, v50
	v_or3_b32 v48, v49, v50, v48
.LBB304_845:                            ;   in Loop: Header=BB304_806 Depth=1
	s_or_b32 exec_lo, exec_lo, s17
.LBB304_846:                            ;   in Loop: Header=BB304_806 Depth=1
	s_or_b32 exec_lo, exec_lo, s16
.LBB304_847:                            ;   in Loop: Header=BB304_806 Depth=1
	s_or_b32 exec_lo, exec_lo, s4
	v_lshrrev_b16 v0, 8, v0
	v_mov_b32_e32 v51, 0
	s_mov_b32 s4, exec_lo
	v_cmpx_ne_u16_e32 0, v0
	s_cbranch_execz .LBB304_855
; %bb.848:                              ;   in Loop: Header=BB304_806 Depth=1
	v_bfrev_b32_e32 v51, 1
	s_mov_b32 s16, exec_lo
	v_cmpx_ne_u16_e32 0x80, v0
	s_cbranch_execz .LBB304_854
; %bb.849:                              ;   in Loop: Header=BB304_806 Depth=1
	v_and_b32_sdwa v83, v0, v53 dst_sel:DWORD dst_unused:UNUSED_PAD src0_sel:WORD_0 src1_sel:DWORD
	v_mov_b32_e32 v51, 0x7c010000
	s_mov_b32 s17, exec_lo
	v_cmpx_ne_u32_e32 0x7f, v83
	s_cbranch_execz .LBB304_853
; %bb.850:                              ;   in Loop: Header=BB304_806 Depth=1
	v_and_b32_sdwa v51, v0, v54 dst_sel:DWORD dst_unused:UNUSED_PAD src0_sel:WORD_0 src1_sel:DWORD
	v_lshrrev_b32_e32 v82, 3, v83
	s_mov_b32 s18, exec_lo
	v_cmpx_gt_u32_e32 8, v83
; %bb.851:                              ;   in Loop: Header=BB304_806 Depth=1
	v_ffbh_u32_e32 v49, v51
	v_min_u32_e32 v51, 32, v49
	v_subrev_nc_u32_e32 v49, 28, v51
	v_sub_nc_u32_e32 v82, 29, v51
	v_lshlrev_b64 v[49:50], v49, v[0:1]
	v_and_b32_e32 v51, 7, v49
; %bb.852:                              ;   in Loop: Header=BB304_806 Depth=1
	s_or_b32 exec_lo, exec_lo, s18
	v_lshlrev_b32_sdwa v0, v67, v0 dst_sel:DWORD dst_unused:UNUSED_PAD src0_sel:DWORD src1_sel:WORD_0
	v_lshl_add_u32 v49, v82, 10, 0x2000
	v_and_or_b32 v0, 0x8000, v0, v49
	v_lshlrev_b32_e32 v49, 23, v51
	v_lshl_or_b32 v51, v0, 16, v49
.LBB304_853:                            ;   in Loop: Header=BB304_806 Depth=1
	s_or_b32 exec_lo, exec_lo, s17
.LBB304_854:                            ;   in Loop: Header=BB304_806 Depth=1
	s_or_b32 exec_lo, exec_lo, s16
.LBB304_855:                            ;   in Loop: Header=BB304_806 Depth=1
	s_or_b32 exec_lo, exec_lo, s4
	v_lshrrev_b32_e32 v0, 16, v12
	v_cmp_ne_u16_sdwa s16, v0, v1 src0_sel:BYTE_0 src1_sel:DWORD
	s_and_saveexec_b32 s4, s16
	s_cbranch_execz .LBB304_863
; %bb.856:                              ;   in Loop: Header=BB304_806 Depth=1
	v_cmp_ne_u16_sdwa s17, v0, v17 src0_sel:BYTE_0 src1_sel:DWORD
	v_mov_b32_e32 v6, 0x8000
	s_and_saveexec_b32 s16, s17
	s_cbranch_execz .LBB304_862
; %bb.857:                              ;   in Loop: Header=BB304_806 Depth=1
	v_bfe_u32 v83, v12, 16, 7
	v_mov_b32_e32 v6, 0x7c01
	s_mov_b32 s17, exec_lo
	v_cmpx_ne_u32_e32 0x7f, v83
	s_cbranch_execz .LBB304_861
; %bb.858:                              ;   in Loop: Header=BB304_806 Depth=1
	v_and_b32_e32 v6, 7, v0
	v_lshrrev_b32_e32 v82, 3, v83
	s_mov_b32 s18, exec_lo
	v_cmpx_gt_u32_e32 8, v83
; %bb.859:                              ;   in Loop: Header=BB304_806 Depth=1
	v_ffbh_u32_e32 v6, v6
	v_min_u32_e32 v6, 32, v6
	v_subrev_nc_u32_e32 v49, 28, v6
	v_sub_nc_u32_e32 v82, 29, v6
	v_lshlrev_b64 v[49:50], v49, v[0:1]
	v_and_b32_e32 v6, 7, v49
; %bb.860:                              ;   in Loop: Header=BB304_806 Depth=1
	s_or_b32 exec_lo, exec_lo, s18
	v_lshlrev_b32_e32 v0, 8, v0
	v_lshl_add_u32 v49, v82, 10, 0x2000
	v_lshlrev_b32_e32 v6, 7, v6
	v_and_b32_e32 v0, 0x8000, v0
	v_and_b32_e32 v49, 0xfc00, v49
	v_or3_b32 v6, v0, v49, v6
.LBB304_861:                            ;   in Loop: Header=BB304_806 Depth=1
	s_or_b32 exec_lo, exec_lo, s17
.LBB304_862:                            ;   in Loop: Header=BB304_806 Depth=1
	s_or_b32 exec_lo, exec_lo, s16
.LBB304_863:                            ;   in Loop: Header=BB304_806 Depth=1
	s_or_b32 exec_lo, exec_lo, s4
	v_cmp_lt_u64_e32 vcc_lo, s[12:13], v[11:12]
	v_mov_b32_e32 v11, 0
	s_and_saveexec_b32 s4, vcc_lo
	s_cbranch_execz .LBB304_871
; %bb.864:                              ;   in Loop: Header=BB304_806 Depth=1
	v_lshrrev_b32_e32 v0, 24, v12
	v_bfrev_b32_e32 v11, 1
	s_mov_b32 s16, exec_lo
	v_cmpx_ne_u32_e32 0x80, v0
	s_cbranch_execz .LBB304_870
; %bb.865:                              ;   in Loop: Header=BB304_806 Depth=1
	v_and_b32_e32 v82, 0x7f, v0
	v_mov_b32_e32 v11, 0x7c010000
	s_mov_b32 s17, exec_lo
	v_cmpx_ne_u32_e32 0x7f, v82
	s_cbranch_execz .LBB304_869
; %bb.866:                              ;   in Loop: Header=BB304_806 Depth=1
	v_and_b32_e32 v11, 7, v0
	v_lshrrev_b32_e32 v12, 3, v82
	s_mov_b32 s18, exec_lo
	v_cmpx_gt_u32_e32 8, v82
; %bb.867:                              ;   in Loop: Header=BB304_806 Depth=1
	v_ffbh_u32_e32 v11, v11
	v_min_u32_e32 v49, 32, v11
	v_subrev_nc_u32_e32 v11, 28, v49
	v_lshlrev_b64 v[11:12], v11, v[0:1]
	v_sub_nc_u32_e32 v12, 29, v49
	v_and_b32_e32 v11, 7, v11
; %bb.868:                              ;   in Loop: Header=BB304_806 Depth=1
	s_or_b32 exec_lo, exec_lo, s18
	v_lshlrev_b32_e32 v0, 8, v0
	v_lshl_add_u32 v12, v12, 10, 0x2000
	v_lshlrev_b32_e32 v11, 23, v11
	v_and_or_b32 v0, 0x8000, v0, v12
	v_lshl_or_b32 v11, v0, 16, v11
.LBB304_869:                            ;   in Loop: Header=BB304_806 Depth=1
	s_or_b32 exec_lo, exec_lo, s17
.LBB304_870:                            ;   in Loop: Header=BB304_806 Depth=1
	s_or_b32 exec_lo, exec_lo, s16
.LBB304_871:                            ;   in Loop: Header=BB304_806 Depth=1
	s_or_b32 exec_lo, exec_lo, s4
	v_or_b32_e32 v0, v81, v18
	s_waitcnt vmcnt(0) lgkmcnt(0)
	v_fma_mixlo_f16 v12, v71, v81, 0 op_sel:[0,1,0] op_sel_hi:[0,1,0]
	v_or_b32_e32 v49, v22, v80
	v_fma_mixlo_f16 v22, v71, v22, 0 op_sel:[0,1,0] op_sel_hi:[0,1,0]
	v_or_b32_e32 v48, v51, v48
	v_fma_mixlo_f16 v0, v71, v0, 0 op_sel_hi:[0,1,0]
	v_or_b32_e32 v50, v11, v6
	v_lshlrev_b32_e32 v6, 16, v12
	v_lshlrev_b32_e32 v85, 16, v22
	v_fma_mixlo_f16 v12, v71, v51, 0 op_sel:[0,1,0] op_sel_hi:[0,1,0]
	v_and_b32_e32 v80, 0xffff, v0
	v_fma_mixlo_f16 v0, v71, v49, 0 op_sel_hi:[0,1,0]
	v_fma_mixlo_f16 v22, v71, v48, 0 op_sel_hi:[0,1,0]
	v_fma_mixlo_f16 v11, v71, v11, 0 op_sel:[0,1,0] op_sel_hi:[0,1,0]
	v_fma_mixlo_f16 v48, v71, v50, 0 op_sel_hi:[0,1,0]
	v_add_nc_u32_e32 v18, v68, v23
	v_and_b32_e32 v98, 0xffff, v0
	v_lshlrev_b32_e32 v51, 16, v12
	v_and_b32_e32 v97, 0xffff, v22
	v_lshlrev_b32_e32 v22, 16, v11
	v_and_b32_e32 v82, 0xffff, v48
	v_cmp_eq_u32_e32 vcc_lo, v52, v16
	v_or_b32_e32 v0, v6, v80
	v_or_b32_e32 v11, v85, v98
	;; [unrolled: 1-line block ×4, first 2 shown]
	v_add_nc_u32_e32 v96, 1, v18
	v_add_nc_u32_e32 v87, 2, v18
	;; [unrolled: 1-line block ×7, first 2 shown]
	s_and_saveexec_b32 s16, vcc_lo
	s_cbranch_execz .LBB304_873
; %bb.872:                              ;   in Loop: Header=BB304_806 Depth=1
	v_cmp_lt_i32_e64 s4, v18, v36
	v_cndmask_b32_e64 v0, 0, v98, s4
	v_cmp_lt_i32_e64 s4, v96, v36
	v_cndmask_b32_e64 v11, 0, v85, s4
	v_cmp_lt_i32_e64 s4, v87, v36
	v_or_b32_e32 v11, v0, v11
	v_cndmask_b32_e64 v12, 0, v80, s4
	v_cmp_lt_i32_e64 s4, v86, v36
	v_cndmask_b32_e64 v6, 0, v6, s4
	v_cmp_lt_i32_e64 s4, v84, v36
	v_or_b32_e32 v0, v12, v6
	;; [unrolled: 5-line block ×3, first 2 shown]
	v_cndmask_b32_e64 v50, 0, v82, s4
	v_cmp_lt_i32_e64 s4, v71, v36
	v_cndmask_b32_e64 v22, 0, v22, s4
	v_or_b32_e32 v48, v50, v22
.LBB304_873:                            ;   in Loop: Header=BB304_806 Depth=1
	s_or_b32 exec_lo, exec_lo, s16
	v_and_b32_e32 v4, 0xffff, v4
	v_and_b32_e32 v6, 0xffff, v38
	;; [unrolled: 1-line block ×4, first 2 shown]
	v_lshl_or_b32 v85, v5, 16, v4
	v_lshl_or_b32 v82, v19, 16, v6
	;;#ASMSTART
	v_pk_mul_f16 v4, v85, v11;

	;;#ASMEND
	;;#ASMSTART
	v_pk_mul_f16 v0, v82, v0;

	;;#ASMEND
	v_lshl_or_b32 v80, v35, 16, v22
	v_lshl_or_b32 v70, v37, 16, v38
	;;#ASMSTART
	v_pk_mul_f16 v5, v80, v12;

	;;#ASMEND
	;;#ASMSTART
	v_pk_mul_f16 v6, v70, v48;

	;;#ASMEND
	;;#ASMSTART
	v_pk_add_f16 v0, v4, v0;

	;;#ASMEND
	;;#ASMSTART
	v_pk_add_f16 v0, v0, v5;
	;; [unrolled: 4-line block ×3, first 2 shown]

	;;#ASMEND
	v_and_b32_e32 v4, 0xffff, v0
	v_lshrrev_b32_e32 v0, 16, v0
	;;#ASMSTART
	v_cvt_f32_f16 v19, v4;
	;;#ASMEND
	;;#ASMSTART
	v_cvt_f32_f16 v69, v0;
	;;#ASMEND
	flat_load_dwordx2 v[11:12], v[9:10] offset:256
	flat_load_dword v4, v[26:27]
	v_mov_b32_e32 v5, 0
	v_mov_b32_e32 v22, 0
	s_waitcnt vmcnt(1) lgkmcnt(1)
	v_cmp_ne_u16_sdwa s4, v11, v1 src0_sel:BYTE_0 src1_sel:DWORD
	s_and_saveexec_b32 s16, s4
	s_cbranch_execz .LBB304_881
; %bb.874:                              ;   in Loop: Header=BB304_806 Depth=1
	v_cmp_ne_u16_sdwa s4, v11, v17 src0_sel:BYTE_0 src1_sel:DWORD
	v_mov_b32_e32 v22, 0x8000
	s_and_saveexec_b32 s17, s4
	s_cbranch_execz .LBB304_880
; %bb.875:                              ;   in Loop: Header=BB304_806 Depth=1
	v_and_b32_e32 v35, 0x7f, v11
	v_mov_b32_e32 v22, 0x7c01
	s_mov_b32 s18, exec_lo
	v_cmpx_ne_u32_e32 0x7f, v35
	s_cbranch_execz .LBB304_879
; %bb.876:                              ;   in Loop: Header=BB304_806 Depth=1
	v_and_b32_e32 v0, 7, v11
	v_lshrrev_b32_e32 v6, 3, v35
	s_mov_b32 s20, exec_lo
	v_cmpx_gt_u32_e32 8, v35
; %bb.877:                              ;   in Loop: Header=BB304_806 Depth=1
	v_ffbh_u32_e32 v0, v0
	v_min_u32_e32 v0, 32, v0
	v_subrev_nc_u32_e32 v6, 28, v0
	v_lshlrev_b64 v[37:38], v6, v[11:12]
	v_sub_nc_u32_e32 v6, 29, v0
	v_and_b32_e32 v0, 7, v37
; %bb.878:                              ;   in Loop: Header=BB304_806 Depth=1
	s_or_b32 exec_lo, exec_lo, s20
	v_lshlrev_b32_e32 v22, 8, v11
	v_lshl_add_u32 v6, v6, 10, 0x2000
	v_lshlrev_b32_e32 v0, 7, v0
	v_and_b32_e32 v22, 0x8000, v22
	v_and_b32_e32 v6, 0xfc00, v6
	v_or3_b32 v22, v22, v6, v0
.LBB304_879:                            ;   in Loop: Header=BB304_806 Depth=1
	s_or_b32 exec_lo, exec_lo, s18
.LBB304_880:                            ;   in Loop: Header=BB304_806 Depth=1
	s_or_b32 exec_lo, exec_lo, s17
.LBB304_881:                            ;   in Loop: Header=BB304_806 Depth=1
	s_or_b32 exec_lo, exec_lo, s16
	v_lshrrev_b16 v0, 8, v11
	s_mov_b32 s16, exec_lo
	v_cmpx_ne_u16_e32 0, v0
	s_cbranch_execz .LBB304_889
; %bb.882:                              ;   in Loop: Header=BB304_806 Depth=1
	v_bfrev_b32_e32 v5, 1
	s_mov_b32 s17, exec_lo
	v_cmpx_ne_u16_e32 0x80, v0
	s_cbranch_execz .LBB304_888
; %bb.883:                              ;   in Loop: Header=BB304_806 Depth=1
	v_and_b32_sdwa v35, v0, v53 dst_sel:DWORD dst_unused:UNUSED_PAD src0_sel:WORD_0 src1_sel:DWORD
	v_mov_b32_e32 v5, 0x7c010000
	s_mov_b32 s18, exec_lo
	v_cmpx_ne_u32_e32 0x7f, v35
	s_cbranch_execz .LBB304_887
; %bb.884:                              ;   in Loop: Header=BB304_806 Depth=1
	v_and_b32_sdwa v5, v0, v54 dst_sel:DWORD dst_unused:UNUSED_PAD src0_sel:WORD_0 src1_sel:DWORD
	v_lshrrev_b32_e32 v6, 3, v35
	s_mov_b32 s20, exec_lo
	v_cmpx_gt_u32_e32 8, v35
; %bb.885:                              ;   in Loop: Header=BB304_806 Depth=1
	v_ffbh_u32_e32 v5, v5
	v_min_u32_e32 v35, 32, v5
	v_subrev_nc_u32_e32 v5, 28, v35
	v_lshlrev_b64 v[5:6], v5, v[0:1]
	v_sub_nc_u32_e32 v6, 29, v35
	v_and_b32_e32 v5, 7, v5
; %bb.886:                              ;   in Loop: Header=BB304_806 Depth=1
	s_or_b32 exec_lo, exec_lo, s20
	v_lshlrev_b32_sdwa v0, v67, v0 dst_sel:DWORD dst_unused:UNUSED_PAD src0_sel:DWORD src1_sel:WORD_0
	v_lshl_add_u32 v6, v6, 10, 0x2000
	v_lshlrev_b32_e32 v5, 23, v5
	v_and_or_b32 v0, 0x8000, v0, v6
	v_lshl_or_b32 v5, v0, 16, v5
.LBB304_887:                            ;   in Loop: Header=BB304_806 Depth=1
	s_or_b32 exec_lo, exec_lo, s18
.LBB304_888:                            ;   in Loop: Header=BB304_806 Depth=1
	s_or_b32 exec_lo, exec_lo, s17
.LBB304_889:                            ;   in Loop: Header=BB304_806 Depth=1
	s_or_b32 exec_lo, exec_lo, s16
	v_lshrrev_b32_e32 v0, 16, v11
	v_mov_b32_e32 v35, 0
	v_mov_b32_e32 v37, 0
	v_cmp_ne_u16_sdwa s4, v0, v1 src0_sel:BYTE_0 src1_sel:DWORD
	s_and_saveexec_b32 s16, s4
	s_cbranch_execz .LBB304_897
; %bb.890:                              ;   in Loop: Header=BB304_806 Depth=1
	v_cmp_ne_u16_sdwa s4, v0, v17 src0_sel:BYTE_0 src1_sel:DWORD
	v_mov_b32_e32 v37, 0x8000
	s_and_saveexec_b32 s17, s4
	s_cbranch_execz .LBB304_896
; %bb.891:                              ;   in Loop: Header=BB304_806 Depth=1
	v_bfe_u32 v38, v11, 16, 7
	v_mov_b32_e32 v37, 0x7c01
	s_mov_b32 s18, exec_lo
	v_cmpx_ne_u32_e32 0x7f, v38
	s_cbranch_execz .LBB304_895
; %bb.892:                              ;   in Loop: Header=BB304_806 Depth=1
	v_and_b32_e32 v6, 7, v0
	v_lshrrev_b32_e32 v37, 3, v38
	s_mov_b32 s20, exec_lo
	v_cmpx_gt_u32_e32 8, v38
; %bb.893:                              ;   in Loop: Header=BB304_806 Depth=1
	v_ffbh_u32_e32 v6, v6
	v_min_u32_e32 v6, 32, v6
	v_subrev_nc_u32_e32 v37, 28, v6
	v_lshlrev_b64 v[48:49], v37, v[0:1]
	v_sub_nc_u32_e32 v37, 29, v6
	v_and_b32_e32 v6, 7, v48
; %bb.894:                              ;   in Loop: Header=BB304_806 Depth=1
	s_or_b32 exec_lo, exec_lo, s20
	v_lshlrev_b32_e32 v0, 8, v0
	v_lshl_add_u32 v37, v37, 10, 0x2000
	v_lshlrev_b32_e32 v6, 7, v6
	v_and_b32_e32 v0, 0x8000, v0
	v_and_b32_e32 v37, 0xfc00, v37
	v_or3_b32 v37, v0, v37, v6
.LBB304_895:                            ;   in Loop: Header=BB304_806 Depth=1
	s_or_b32 exec_lo, exec_lo, s18
.LBB304_896:                            ;   in Loop: Header=BB304_806 Depth=1
	s_or_b32 exec_lo, exec_lo, s17
.LBB304_897:                            ;   in Loop: Header=BB304_806 Depth=1
	s_or_b32 exec_lo, exec_lo, s16
	s_mov_b32 s16, exec_lo
	v_cmpx_lt_u32_e32 0xffffff, v11
	s_cbranch_execz .LBB304_905
; %bb.898:                              ;   in Loop: Header=BB304_806 Depth=1
	v_lshrrev_b32_e32 v0, 24, v11
	v_bfrev_b32_e32 v35, 1
	s_mov_b32 s17, exec_lo
	v_cmpx_ne_u32_e32 0x80, v0
	s_cbranch_execz .LBB304_904
; %bb.899:                              ;   in Loop: Header=BB304_806 Depth=1
	v_and_b32_e32 v38, 0x7f, v0
	v_mov_b32_e32 v35, 0x7c010000
	s_mov_b32 s18, exec_lo
	v_cmpx_ne_u32_e32 0x7f, v38
	s_cbranch_execz .LBB304_903
; %bb.900:                              ;   in Loop: Header=BB304_806 Depth=1
	v_and_b32_e32 v6, 7, v0
	v_lshrrev_b32_e32 v35, 3, v38
	s_mov_b32 s20, exec_lo
	v_cmpx_gt_u32_e32 8, v38
; %bb.901:                              ;   in Loop: Header=BB304_806 Depth=1
	v_ffbh_u32_e32 v6, v6
	v_min_u32_e32 v6, 32, v6
	v_subrev_nc_u32_e32 v35, 28, v6
	v_lshlrev_b64 v[48:49], v35, v[0:1]
	v_sub_nc_u32_e32 v35, 29, v6
	v_and_b32_e32 v6, 7, v48
; %bb.902:                              ;   in Loop: Header=BB304_806 Depth=1
	s_or_b32 exec_lo, exec_lo, s20
	v_lshlrev_b32_e32 v0, 8, v0
	v_lshl_add_u32 v35, v35, 10, 0x2000
	v_lshlrev_b32_e32 v6, 23, v6
	v_and_or_b32 v0, 0x8000, v0, v35
	v_lshl_or_b32 v35, v0, 16, v6
.LBB304_903:                            ;   in Loop: Header=BB304_806 Depth=1
	s_or_b32 exec_lo, exec_lo, s18
.LBB304_904:                            ;   in Loop: Header=BB304_806 Depth=1
	s_or_b32 exec_lo, exec_lo, s17
.LBB304_905:                            ;   in Loop: Header=BB304_806 Depth=1
	s_or_b32 exec_lo, exec_lo, s16
	v_mov_b32_e32 v0, v12
	v_cmp_ne_u16_sdwa s4, v12, v1 src0_sel:BYTE_0 src1_sel:DWORD
	v_mov_b32_e32 v6, 0
	v_mov_b32_e32 v38, 0
	s_and_saveexec_b32 s16, s4
	s_cbranch_execz .LBB304_913
; %bb.906:                              ;   in Loop: Header=BB304_806 Depth=1
	v_cmp_ne_u16_sdwa s4, v12, v17 src0_sel:BYTE_0 src1_sel:DWORD
	v_mov_b32_e32 v38, 0x8000
	s_and_saveexec_b32 s17, s4
	s_cbranch_execz .LBB304_912
; %bb.907:                              ;   in Loop: Header=BB304_806 Depth=1
	v_and_b32_e32 v51, 0x7f, v12
	v_mov_b32_e32 v38, 0x7c01
	s_mov_b32 s18, exec_lo
	v_cmpx_ne_u32_e32 0x7f, v51
	s_cbranch_execz .LBB304_911
; %bb.908:                              ;   in Loop: Header=BB304_806 Depth=1
	v_and_b32_e32 v38, 7, v12
	v_lshrrev_b32_e32 v48, 3, v51
	s_mov_b32 s20, exec_lo
	v_cmpx_gt_u32_e32 8, v51
; %bb.909:                              ;   in Loop: Header=BB304_806 Depth=1
	v_ffbh_u32_e32 v38, v38
	v_min_u32_e32 v38, 32, v38
	v_subrev_nc_u32_e32 v48, 28, v38
	v_lshlrev_b64 v[49:50], v48, v[0:1]
	v_sub_nc_u32_e32 v48, 29, v38
	v_and_b32_e32 v38, 7, v49
; %bb.910:                              ;   in Loop: Header=BB304_806 Depth=1
	s_or_b32 exec_lo, exec_lo, s20
	v_lshlrev_b32_e32 v49, 8, v12
	v_lshl_add_u32 v48, v48, 10, 0x2000
	v_lshlrev_b32_e32 v38, 7, v38
	v_and_b32_e32 v49, 0x8000, v49
	v_and_b32_e32 v48, 0xfc00, v48
	v_or3_b32 v38, v49, v48, v38
.LBB304_911:                            ;   in Loop: Header=BB304_806 Depth=1
	s_or_b32 exec_lo, exec_lo, s18
.LBB304_912:                            ;   in Loop: Header=BB304_806 Depth=1
	s_or_b32 exec_lo, exec_lo, s17
.LBB304_913:                            ;   in Loop: Header=BB304_806 Depth=1
	s_or_b32 exec_lo, exec_lo, s16
	v_lshrrev_b16 v0, 8, v0
	v_mov_b32_e32 v48, 0
	s_mov_b32 s16, exec_lo
	v_cmpx_ne_u16_e32 0, v0
	s_cbranch_execz .LBB304_921
; %bb.914:                              ;   in Loop: Header=BB304_806 Depth=1
	v_bfrev_b32_e32 v48, 1
	s_mov_b32 s17, exec_lo
	v_cmpx_ne_u16_e32 0x80, v0
	s_cbranch_execz .LBB304_920
; %bb.915:                              ;   in Loop: Header=BB304_806 Depth=1
	v_and_b32_sdwa v97, v0, v53 dst_sel:DWORD dst_unused:UNUSED_PAD src0_sel:WORD_0 src1_sel:DWORD
	v_mov_b32_e32 v48, 0x7c010000
	s_mov_b32 s18, exec_lo
	v_cmpx_ne_u32_e32 0x7f, v97
	s_cbranch_execz .LBB304_919
; %bb.916:                              ;   in Loop: Header=BB304_806 Depth=1
	v_and_b32_sdwa v48, v0, v54 dst_sel:DWORD dst_unused:UNUSED_PAD src0_sel:WORD_0 src1_sel:DWORD
	v_lshrrev_b32_e32 v51, 3, v97
	s_mov_b32 s20, exec_lo
	v_cmpx_gt_u32_e32 8, v97
; %bb.917:                              ;   in Loop: Header=BB304_806 Depth=1
	v_ffbh_u32_e32 v48, v48
	v_min_u32_e32 v50, 32, v48
	v_subrev_nc_u32_e32 v48, 28, v50
	v_sub_nc_u32_e32 v51, 29, v50
	v_lshlrev_b64 v[48:49], v48, v[0:1]
	v_and_b32_e32 v48, 7, v48
; %bb.918:                              ;   in Loop: Header=BB304_806 Depth=1
	s_or_b32 exec_lo, exec_lo, s20
	v_lshlrev_b32_sdwa v0, v67, v0 dst_sel:DWORD dst_unused:UNUSED_PAD src0_sel:DWORD src1_sel:WORD_0
	v_lshl_add_u32 v49, v51, 10, 0x2000
	v_lshlrev_b32_e32 v48, 23, v48
	v_and_or_b32 v0, 0x8000, v0, v49
	v_lshl_or_b32 v48, v0, 16, v48
.LBB304_919:                            ;   in Loop: Header=BB304_806 Depth=1
	s_or_b32 exec_lo, exec_lo, s18
.LBB304_920:                            ;   in Loop: Header=BB304_806 Depth=1
	s_or_b32 exec_lo, exec_lo, s17
.LBB304_921:                            ;   in Loop: Header=BB304_806 Depth=1
	s_or_b32 exec_lo, exec_lo, s16
	v_lshrrev_b32_e32 v0, 16, v12
	v_cmp_ne_u16_sdwa s4, v0, v1 src0_sel:BYTE_0 src1_sel:DWORD
	s_and_saveexec_b32 s16, s4
	s_cbranch_execz .LBB304_929
; %bb.922:                              ;   in Loop: Header=BB304_806 Depth=1
	v_cmp_ne_u16_sdwa s4, v0, v17 src0_sel:BYTE_0 src1_sel:DWORD
	v_mov_b32_e32 v6, 0x8000
	s_and_saveexec_b32 s17, s4
	s_cbranch_execz .LBB304_928
; %bb.923:                              ;   in Loop: Header=BB304_806 Depth=1
	v_bfe_u32 v97, v12, 16, 7
	v_mov_b32_e32 v6, 0x7c01
	s_mov_b32 s18, exec_lo
	v_cmpx_ne_u32_e32 0x7f, v97
	s_cbranch_execz .LBB304_927
; %bb.924:                              ;   in Loop: Header=BB304_806 Depth=1
	v_and_b32_e32 v6, 7, v0
	v_lshrrev_b32_e32 v51, 3, v97
	s_mov_b32 s20, exec_lo
	v_cmpx_gt_u32_e32 8, v97
; %bb.925:                              ;   in Loop: Header=BB304_806 Depth=1
	v_ffbh_u32_e32 v6, v6
	v_min_u32_e32 v6, 32, v6
	v_subrev_nc_u32_e32 v49, 28, v6
	v_sub_nc_u32_e32 v51, 29, v6
	v_lshlrev_b64 v[49:50], v49, v[0:1]
	v_and_b32_e32 v6, 7, v49
; %bb.926:                              ;   in Loop: Header=BB304_806 Depth=1
	s_or_b32 exec_lo, exec_lo, s20
	v_lshlrev_b32_e32 v0, 8, v0
	v_lshl_add_u32 v49, v51, 10, 0x2000
	v_lshlrev_b32_e32 v6, 7, v6
	v_and_b32_e32 v0, 0x8000, v0
	v_and_b32_e32 v49, 0xfc00, v49
	v_or3_b32 v6, v0, v49, v6
.LBB304_927:                            ;   in Loop: Header=BB304_806 Depth=1
	s_or_b32 exec_lo, exec_lo, s18
.LBB304_928:                            ;   in Loop: Header=BB304_806 Depth=1
	s_or_b32 exec_lo, exec_lo, s17
.LBB304_929:                            ;   in Loop: Header=BB304_806 Depth=1
	s_or_b32 exec_lo, exec_lo, s16
	v_cmp_lt_u64_e64 s4, s[12:13], v[11:12]
	v_mov_b32_e32 v11, 0
	s_and_saveexec_b32 s16, s4
	s_cbranch_execz .LBB304_937
; %bb.930:                              ;   in Loop: Header=BB304_806 Depth=1
	v_lshrrev_b32_e32 v0, 24, v12
	v_bfrev_b32_e32 v11, 1
	s_mov_b32 s17, exec_lo
	v_cmpx_ne_u32_e32 0x80, v0
	s_cbranch_execz .LBB304_936
; %bb.931:                              ;   in Loop: Header=BB304_806 Depth=1
	v_and_b32_e32 v51, 0x7f, v0
	v_mov_b32_e32 v11, 0x7c010000
	s_mov_b32 s18, exec_lo
	v_cmpx_ne_u32_e32 0x7f, v51
	s_cbranch_execz .LBB304_935
; %bb.932:                              ;   in Loop: Header=BB304_806 Depth=1
	v_and_b32_e32 v11, 7, v0
	v_lshrrev_b32_e32 v12, 3, v51
	s_mov_b32 s20, exec_lo
	v_cmpx_gt_u32_e32 8, v51
; %bb.933:                              ;   in Loop: Header=BB304_806 Depth=1
	v_ffbh_u32_e32 v11, v11
	v_min_u32_e32 v49, 32, v11
	v_subrev_nc_u32_e32 v11, 28, v49
	v_lshlrev_b64 v[11:12], v11, v[0:1]
	v_sub_nc_u32_e32 v12, 29, v49
	v_and_b32_e32 v11, 7, v11
; %bb.934:                              ;   in Loop: Header=BB304_806 Depth=1
	s_or_b32 exec_lo, exec_lo, s20
	v_lshlrev_b32_e32 v0, 8, v0
	v_lshl_add_u32 v12, v12, 10, 0x2000
	v_lshlrev_b32_e32 v11, 23, v11
	v_and_or_b32 v0, 0x8000, v0, v12
	v_lshl_or_b32 v11, v0, 16, v11
.LBB304_935:                            ;   in Loop: Header=BB304_806 Depth=1
	s_or_b32 exec_lo, exec_lo, s18
.LBB304_936:                            ;   in Loop: Header=BB304_806 Depth=1
	s_or_b32 exec_lo, exec_lo, s17
.LBB304_937:                            ;   in Loop: Header=BB304_806 Depth=1
	s_or_b32 exec_lo, exec_lo, s16
	v_or_b32_e32 v0, v35, v37
	s_waitcnt vmcnt(0) lgkmcnt(0)
	v_fma_mixlo_f16 v12, v4, v35, 0 op_sel:[0,1,0] op_sel_hi:[0,1,0]
	v_or_b32_e32 v22, v5, v22
	v_fma_mixlo_f16 v5, v4, v5, 0 op_sel:[0,1,0] op_sel_hi:[0,1,0]
	v_or_b32_e32 v35, v48, v38
	v_fma_mixlo_f16 v37, v4, v0, 0 op_sel_hi:[0,1,0]
	v_or_b32_e32 v6, v11, v6
	v_lshlrev_b32_e32 v0, 16, v12
	v_lshlrev_b32_e32 v12, 16, v5
	v_fma_mixlo_f16 v22, v4, v22, 0 op_sel_hi:[0,1,0]
	v_and_b32_e32 v5, 0xffff, v37
	v_fma_mixlo_f16 v37, v4, v48, 0 op_sel:[0,1,0] op_sel_hi:[0,1,0]
	v_fma_mixlo_f16 v35, v4, v35, 0 op_sel_hi:[0,1,0]
	v_fma_mixlo_f16 v11, v4, v11, 0 op_sel:[0,1,0] op_sel_hi:[0,1,0]
	v_fma_mixlo_f16 v38, v4, v6, 0 op_sel_hi:[0,1,0]
	v_and_b32_e32 v51, 0xffff, v22
	v_lshlrev_b32_e32 v6, 16, v37
	v_and_b32_e32 v35, 0xffff, v35
	v_lshlrev_b32_e32 v4, 16, v11
	v_and_b32_e32 v11, 0xffff, v38
	v_or_b32_e32 v22, v0, v5
	v_or_b32_e32 v48, v12, v51
	;; [unrolled: 1-line block ×4, first 2 shown]
	s_and_saveexec_b32 s16, vcc_lo
	s_cbranch_execz .LBB304_939
; %bb.938:                              ;   in Loop: Header=BB304_806 Depth=1
	v_cmp_lt_i32_e64 s4, v18, v36
	v_cndmask_b32_e64 v22, 0, v51, s4
	v_cmp_lt_i32_e64 s4, v96, v36
	v_cndmask_b32_e64 v12, 0, v12, s4
	v_cmp_lt_i32_e64 s4, v87, v36
	v_or_b32_e32 v48, v22, v12
	v_cndmask_b32_e64 v5, 0, v5, s4
	v_cmp_lt_i32_e64 s4, v86, v36
	v_cndmask_b32_e64 v0, 0, v0, s4
	v_cmp_lt_i32_e64 s4, v84, v36
	v_or_b32_e32 v22, v5, v0
	;; [unrolled: 5-line block ×3, first 2 shown]
	v_cndmask_b32_e64 v11, 0, v11, s4
	v_cmp_lt_i32_e64 s4, v71, v36
	v_cndmask_b32_e64 v4, 0, v4, s4
	v_or_b32_e32 v37, v11, v4
.LBB304_939:                            ;   in Loop: Header=BB304_806 Depth=1
	s_or_b32 exec_lo, exec_lo, s16
	;;#ASMSTART
	v_pk_mul_f16 v0, v85, v48;

	;;#ASMEND
	;;#ASMSTART
	v_pk_mul_f16 v4, v82, v22;

	;;#ASMEND
	;;#ASMSTART
	v_pk_mul_f16 v5, v80, v38;

	;;#ASMEND
	;;#ASMSTART
	v_pk_mul_f16 v6, v70, v37;

	;;#ASMEND
	;;#ASMSTART
	v_pk_add_f16 v0, v0, v4;

	;;#ASMEND
	;;#ASMSTART
	v_pk_add_f16 v0, v0, v5;

	;;#ASMEND
	;; [unrolled: 4-line block ×3, first 2 shown]
	v_and_b32_e32 v4, 0xffff, v0
	v_lshrrev_b32_e32 v0, 16, v0
	;;#ASMSTART
	v_cvt_f32_f16 v97, v4;
	;;#ASMEND
	;;#ASMSTART
	v_cvt_f32_f16 v98, v0;
	;;#ASMEND
	flat_load_dwordx2 v[11:12], v[9:10] offset:512
	flat_load_dword v4, v[26:27]
	v_mov_b32_e32 v5, 0
	v_mov_b32_e32 v22, 0
	s_waitcnt vmcnt(1) lgkmcnt(1)
	v_cmp_ne_u16_sdwa s4, v11, v1 src0_sel:BYTE_0 src1_sel:DWORD
	s_and_saveexec_b32 s16, s4
	s_cbranch_execz .LBB304_947
; %bb.940:                              ;   in Loop: Header=BB304_806 Depth=1
	v_cmp_ne_u16_sdwa s4, v11, v17 src0_sel:BYTE_0 src1_sel:DWORD
	v_mov_b32_e32 v22, 0x8000
	s_and_saveexec_b32 s17, s4
	s_cbranch_execz .LBB304_946
; %bb.941:                              ;   in Loop: Header=BB304_806 Depth=1
	v_and_b32_e32 v35, 0x7f, v11
	v_mov_b32_e32 v22, 0x7c01
	s_mov_b32 s18, exec_lo
	v_cmpx_ne_u32_e32 0x7f, v35
	s_cbranch_execz .LBB304_945
; %bb.942:                              ;   in Loop: Header=BB304_806 Depth=1
	v_and_b32_e32 v0, 7, v11
	v_lshrrev_b32_e32 v6, 3, v35
	s_mov_b32 s20, exec_lo
	v_cmpx_gt_u32_e32 8, v35
; %bb.943:                              ;   in Loop: Header=BB304_806 Depth=1
	v_ffbh_u32_e32 v0, v0
	v_min_u32_e32 v0, 32, v0
	v_subrev_nc_u32_e32 v6, 28, v0
	v_lshlrev_b64 v[37:38], v6, v[11:12]
	v_sub_nc_u32_e32 v6, 29, v0
	v_and_b32_e32 v0, 7, v37
; %bb.944:                              ;   in Loop: Header=BB304_806 Depth=1
	s_or_b32 exec_lo, exec_lo, s20
	v_lshlrev_b32_e32 v22, 8, v11
	v_lshl_add_u32 v6, v6, 10, 0x2000
	v_lshlrev_b32_e32 v0, 7, v0
	v_and_b32_e32 v22, 0x8000, v22
	v_and_b32_e32 v6, 0xfc00, v6
	v_or3_b32 v22, v22, v6, v0
.LBB304_945:                            ;   in Loop: Header=BB304_806 Depth=1
	s_or_b32 exec_lo, exec_lo, s18
.LBB304_946:                            ;   in Loop: Header=BB304_806 Depth=1
	s_or_b32 exec_lo, exec_lo, s17
.LBB304_947:                            ;   in Loop: Header=BB304_806 Depth=1
	s_or_b32 exec_lo, exec_lo, s16
	v_lshrrev_b16 v0, 8, v11
	s_mov_b32 s16, exec_lo
	v_cmpx_ne_u16_e32 0, v0
	s_cbranch_execz .LBB304_955
; %bb.948:                              ;   in Loop: Header=BB304_806 Depth=1
	v_bfrev_b32_e32 v5, 1
	s_mov_b32 s17, exec_lo
	v_cmpx_ne_u16_e32 0x80, v0
	s_cbranch_execz .LBB304_954
; %bb.949:                              ;   in Loop: Header=BB304_806 Depth=1
	v_and_b32_sdwa v35, v0, v53 dst_sel:DWORD dst_unused:UNUSED_PAD src0_sel:WORD_0 src1_sel:DWORD
	v_mov_b32_e32 v5, 0x7c010000
	s_mov_b32 s18, exec_lo
	v_cmpx_ne_u32_e32 0x7f, v35
	s_cbranch_execz .LBB304_953
; %bb.950:                              ;   in Loop: Header=BB304_806 Depth=1
	v_and_b32_sdwa v5, v0, v54 dst_sel:DWORD dst_unused:UNUSED_PAD src0_sel:WORD_0 src1_sel:DWORD
	v_lshrrev_b32_e32 v6, 3, v35
	s_mov_b32 s20, exec_lo
	v_cmpx_gt_u32_e32 8, v35
; %bb.951:                              ;   in Loop: Header=BB304_806 Depth=1
	v_ffbh_u32_e32 v5, v5
	v_min_u32_e32 v35, 32, v5
	v_subrev_nc_u32_e32 v5, 28, v35
	v_lshlrev_b64 v[5:6], v5, v[0:1]
	v_sub_nc_u32_e32 v6, 29, v35
	v_and_b32_e32 v5, 7, v5
; %bb.952:                              ;   in Loop: Header=BB304_806 Depth=1
	s_or_b32 exec_lo, exec_lo, s20
	v_lshlrev_b32_sdwa v0, v67, v0 dst_sel:DWORD dst_unused:UNUSED_PAD src0_sel:DWORD src1_sel:WORD_0
	v_lshl_add_u32 v6, v6, 10, 0x2000
	v_lshlrev_b32_e32 v5, 23, v5
	v_and_or_b32 v0, 0x8000, v0, v6
	v_lshl_or_b32 v5, v0, 16, v5
.LBB304_953:                            ;   in Loop: Header=BB304_806 Depth=1
	s_or_b32 exec_lo, exec_lo, s18
.LBB304_954:                            ;   in Loop: Header=BB304_806 Depth=1
	s_or_b32 exec_lo, exec_lo, s17
.LBB304_955:                            ;   in Loop: Header=BB304_806 Depth=1
	s_or_b32 exec_lo, exec_lo, s16
	v_lshrrev_b32_e32 v0, 16, v11
	v_mov_b32_e32 v35, 0
	v_mov_b32_e32 v37, 0
	v_cmp_ne_u16_sdwa s4, v0, v1 src0_sel:BYTE_0 src1_sel:DWORD
	s_and_saveexec_b32 s16, s4
	s_cbranch_execz .LBB304_963
; %bb.956:                              ;   in Loop: Header=BB304_806 Depth=1
	v_cmp_ne_u16_sdwa s4, v0, v17 src0_sel:BYTE_0 src1_sel:DWORD
	v_mov_b32_e32 v37, 0x8000
	s_and_saveexec_b32 s17, s4
	s_cbranch_execz .LBB304_962
; %bb.957:                              ;   in Loop: Header=BB304_806 Depth=1
	v_bfe_u32 v38, v11, 16, 7
	v_mov_b32_e32 v37, 0x7c01
	s_mov_b32 s18, exec_lo
	v_cmpx_ne_u32_e32 0x7f, v38
	s_cbranch_execz .LBB304_961
; %bb.958:                              ;   in Loop: Header=BB304_806 Depth=1
	v_and_b32_e32 v6, 7, v0
	v_lshrrev_b32_e32 v37, 3, v38
	s_mov_b32 s20, exec_lo
	v_cmpx_gt_u32_e32 8, v38
; %bb.959:                              ;   in Loop: Header=BB304_806 Depth=1
	v_ffbh_u32_e32 v6, v6
	v_min_u32_e32 v6, 32, v6
	v_subrev_nc_u32_e32 v37, 28, v6
	v_lshlrev_b64 v[48:49], v37, v[0:1]
	v_sub_nc_u32_e32 v37, 29, v6
	v_and_b32_e32 v6, 7, v48
; %bb.960:                              ;   in Loop: Header=BB304_806 Depth=1
	s_or_b32 exec_lo, exec_lo, s20
	v_lshlrev_b32_e32 v0, 8, v0
	v_lshl_add_u32 v37, v37, 10, 0x2000
	v_lshlrev_b32_e32 v6, 7, v6
	v_and_b32_e32 v0, 0x8000, v0
	v_and_b32_e32 v37, 0xfc00, v37
	v_or3_b32 v37, v0, v37, v6
.LBB304_961:                            ;   in Loop: Header=BB304_806 Depth=1
	s_or_b32 exec_lo, exec_lo, s18
.LBB304_962:                            ;   in Loop: Header=BB304_806 Depth=1
	s_or_b32 exec_lo, exec_lo, s17
.LBB304_963:                            ;   in Loop: Header=BB304_806 Depth=1
	s_or_b32 exec_lo, exec_lo, s16
	s_mov_b32 s16, exec_lo
	v_cmpx_lt_u32_e32 0xffffff, v11
	s_cbranch_execz .LBB304_971
; %bb.964:                              ;   in Loop: Header=BB304_806 Depth=1
	v_lshrrev_b32_e32 v0, 24, v11
	v_bfrev_b32_e32 v35, 1
	s_mov_b32 s17, exec_lo
	v_cmpx_ne_u32_e32 0x80, v0
	s_cbranch_execz .LBB304_970
; %bb.965:                              ;   in Loop: Header=BB304_806 Depth=1
	v_and_b32_e32 v38, 0x7f, v0
	v_mov_b32_e32 v35, 0x7c010000
	s_mov_b32 s18, exec_lo
	v_cmpx_ne_u32_e32 0x7f, v38
	s_cbranch_execz .LBB304_969
; %bb.966:                              ;   in Loop: Header=BB304_806 Depth=1
	v_and_b32_e32 v6, 7, v0
	v_lshrrev_b32_e32 v35, 3, v38
	s_mov_b32 s20, exec_lo
	v_cmpx_gt_u32_e32 8, v38
; %bb.967:                              ;   in Loop: Header=BB304_806 Depth=1
	v_ffbh_u32_e32 v6, v6
	v_min_u32_e32 v6, 32, v6
	v_subrev_nc_u32_e32 v35, 28, v6
	v_lshlrev_b64 v[48:49], v35, v[0:1]
	v_sub_nc_u32_e32 v35, 29, v6
	v_and_b32_e32 v6, 7, v48
; %bb.968:                              ;   in Loop: Header=BB304_806 Depth=1
	s_or_b32 exec_lo, exec_lo, s20
	v_lshlrev_b32_e32 v0, 8, v0
	v_lshl_add_u32 v35, v35, 10, 0x2000
	v_lshlrev_b32_e32 v6, 23, v6
	v_and_or_b32 v0, 0x8000, v0, v35
	v_lshl_or_b32 v35, v0, 16, v6
.LBB304_969:                            ;   in Loop: Header=BB304_806 Depth=1
	s_or_b32 exec_lo, exec_lo, s18
.LBB304_970:                            ;   in Loop: Header=BB304_806 Depth=1
	s_or_b32 exec_lo, exec_lo, s17
.LBB304_971:                            ;   in Loop: Header=BB304_806 Depth=1
	s_or_b32 exec_lo, exec_lo, s16
	v_mov_b32_e32 v0, v12
	v_cmp_ne_u16_sdwa s4, v12, v1 src0_sel:BYTE_0 src1_sel:DWORD
	v_mov_b32_e32 v6, 0
	v_mov_b32_e32 v38, 0
	s_and_saveexec_b32 s16, s4
	s_cbranch_execz .LBB304_979
; %bb.972:                              ;   in Loop: Header=BB304_806 Depth=1
	v_cmp_ne_u16_sdwa s4, v12, v17 src0_sel:BYTE_0 src1_sel:DWORD
	v_mov_b32_e32 v38, 0x8000
	s_and_saveexec_b32 s17, s4
	s_cbranch_execz .LBB304_978
; %bb.973:                              ;   in Loop: Header=BB304_806 Depth=1
	v_and_b32_e32 v51, 0x7f, v12
	v_mov_b32_e32 v38, 0x7c01
	s_mov_b32 s18, exec_lo
	v_cmpx_ne_u32_e32 0x7f, v51
	s_cbranch_execz .LBB304_977
; %bb.974:                              ;   in Loop: Header=BB304_806 Depth=1
	v_and_b32_e32 v38, 7, v12
	v_lshrrev_b32_e32 v48, 3, v51
	s_mov_b32 s20, exec_lo
	v_cmpx_gt_u32_e32 8, v51
; %bb.975:                              ;   in Loop: Header=BB304_806 Depth=1
	v_ffbh_u32_e32 v38, v38
	v_min_u32_e32 v38, 32, v38
	v_subrev_nc_u32_e32 v48, 28, v38
	v_lshlrev_b64 v[49:50], v48, v[0:1]
	v_sub_nc_u32_e32 v48, 29, v38
	v_and_b32_e32 v38, 7, v49
; %bb.976:                              ;   in Loop: Header=BB304_806 Depth=1
	s_or_b32 exec_lo, exec_lo, s20
	v_lshlrev_b32_e32 v49, 8, v12
	v_lshl_add_u32 v48, v48, 10, 0x2000
	v_lshlrev_b32_e32 v38, 7, v38
	v_and_b32_e32 v49, 0x8000, v49
	v_and_b32_e32 v48, 0xfc00, v48
	v_or3_b32 v38, v49, v48, v38
.LBB304_977:                            ;   in Loop: Header=BB304_806 Depth=1
	s_or_b32 exec_lo, exec_lo, s18
.LBB304_978:                            ;   in Loop: Header=BB304_806 Depth=1
	s_or_b32 exec_lo, exec_lo, s17
.LBB304_979:                            ;   in Loop: Header=BB304_806 Depth=1
	s_or_b32 exec_lo, exec_lo, s16
	v_lshrrev_b16 v0, 8, v0
	v_mov_b32_e32 v48, 0
	s_mov_b32 s16, exec_lo
	v_cmpx_ne_u16_e32 0, v0
	s_cbranch_execz .LBB304_987
; %bb.980:                              ;   in Loop: Header=BB304_806 Depth=1
	v_bfrev_b32_e32 v48, 1
	s_mov_b32 s17, exec_lo
	v_cmpx_ne_u16_e32 0x80, v0
	s_cbranch_execz .LBB304_986
; %bb.981:                              ;   in Loop: Header=BB304_806 Depth=1
	v_and_b32_sdwa v99, v0, v53 dst_sel:DWORD dst_unused:UNUSED_PAD src0_sel:WORD_0 src1_sel:DWORD
	v_mov_b32_e32 v48, 0x7c010000
	s_mov_b32 s18, exec_lo
	v_cmpx_ne_u32_e32 0x7f, v99
	s_cbranch_execz .LBB304_985
; %bb.982:                              ;   in Loop: Header=BB304_806 Depth=1
	v_and_b32_sdwa v48, v0, v54 dst_sel:DWORD dst_unused:UNUSED_PAD src0_sel:WORD_0 src1_sel:DWORD
	v_lshrrev_b32_e32 v51, 3, v99
	s_mov_b32 s20, exec_lo
	v_cmpx_gt_u32_e32 8, v99
; %bb.983:                              ;   in Loop: Header=BB304_806 Depth=1
	v_ffbh_u32_e32 v48, v48
	v_min_u32_e32 v50, 32, v48
	v_subrev_nc_u32_e32 v48, 28, v50
	v_sub_nc_u32_e32 v51, 29, v50
	v_lshlrev_b64 v[48:49], v48, v[0:1]
	v_and_b32_e32 v48, 7, v48
; %bb.984:                              ;   in Loop: Header=BB304_806 Depth=1
	s_or_b32 exec_lo, exec_lo, s20
	v_lshlrev_b32_sdwa v0, v67, v0 dst_sel:DWORD dst_unused:UNUSED_PAD src0_sel:DWORD src1_sel:WORD_0
	v_lshl_add_u32 v49, v51, 10, 0x2000
	v_lshlrev_b32_e32 v48, 23, v48
	v_and_or_b32 v0, 0x8000, v0, v49
	v_lshl_or_b32 v48, v0, 16, v48
.LBB304_985:                            ;   in Loop: Header=BB304_806 Depth=1
	s_or_b32 exec_lo, exec_lo, s18
.LBB304_986:                            ;   in Loop: Header=BB304_806 Depth=1
	s_or_b32 exec_lo, exec_lo, s17
.LBB304_987:                            ;   in Loop: Header=BB304_806 Depth=1
	s_or_b32 exec_lo, exec_lo, s16
	v_lshrrev_b32_e32 v0, 16, v12
	v_cmp_ne_u16_sdwa s4, v0, v1 src0_sel:BYTE_0 src1_sel:DWORD
	s_and_saveexec_b32 s16, s4
	s_cbranch_execz .LBB304_995
; %bb.988:                              ;   in Loop: Header=BB304_806 Depth=1
	v_cmp_ne_u16_sdwa s4, v0, v17 src0_sel:BYTE_0 src1_sel:DWORD
	v_mov_b32_e32 v6, 0x8000
	s_and_saveexec_b32 s17, s4
	s_cbranch_execz .LBB304_994
; %bb.989:                              ;   in Loop: Header=BB304_806 Depth=1
	v_bfe_u32 v99, v12, 16, 7
	v_mov_b32_e32 v6, 0x7c01
	s_mov_b32 s18, exec_lo
	v_cmpx_ne_u32_e32 0x7f, v99
	s_cbranch_execz .LBB304_993
; %bb.990:                              ;   in Loop: Header=BB304_806 Depth=1
	v_and_b32_e32 v6, 7, v0
	v_lshrrev_b32_e32 v51, 3, v99
	s_mov_b32 s20, exec_lo
	v_cmpx_gt_u32_e32 8, v99
; %bb.991:                              ;   in Loop: Header=BB304_806 Depth=1
	v_ffbh_u32_e32 v6, v6
	v_min_u32_e32 v6, 32, v6
	v_subrev_nc_u32_e32 v49, 28, v6
	v_sub_nc_u32_e32 v51, 29, v6
	v_lshlrev_b64 v[49:50], v49, v[0:1]
	v_and_b32_e32 v6, 7, v49
; %bb.992:                              ;   in Loop: Header=BB304_806 Depth=1
	s_or_b32 exec_lo, exec_lo, s20
	v_lshlrev_b32_e32 v0, 8, v0
	v_lshl_add_u32 v49, v51, 10, 0x2000
	v_lshlrev_b32_e32 v6, 7, v6
	v_and_b32_e32 v0, 0x8000, v0
	v_and_b32_e32 v49, 0xfc00, v49
	v_or3_b32 v6, v0, v49, v6
.LBB304_993:                            ;   in Loop: Header=BB304_806 Depth=1
	s_or_b32 exec_lo, exec_lo, s18
.LBB304_994:                            ;   in Loop: Header=BB304_806 Depth=1
	s_or_b32 exec_lo, exec_lo, s17
.LBB304_995:                            ;   in Loop: Header=BB304_806 Depth=1
	s_or_b32 exec_lo, exec_lo, s16
	v_cmp_lt_u64_e64 s4, s[12:13], v[11:12]
	v_mov_b32_e32 v11, 0
	s_and_saveexec_b32 s16, s4
	s_cbranch_execz .LBB304_1003
; %bb.996:                              ;   in Loop: Header=BB304_806 Depth=1
	v_lshrrev_b32_e32 v0, 24, v12
	v_bfrev_b32_e32 v11, 1
	s_mov_b32 s17, exec_lo
	v_cmpx_ne_u32_e32 0x80, v0
	s_cbranch_execz .LBB304_1002
; %bb.997:                              ;   in Loop: Header=BB304_806 Depth=1
	v_and_b32_e32 v51, 0x7f, v0
	v_mov_b32_e32 v11, 0x7c010000
	s_mov_b32 s18, exec_lo
	v_cmpx_ne_u32_e32 0x7f, v51
	s_cbranch_execz .LBB304_1001
; %bb.998:                              ;   in Loop: Header=BB304_806 Depth=1
	v_and_b32_e32 v11, 7, v0
	v_lshrrev_b32_e32 v12, 3, v51
	s_mov_b32 s20, exec_lo
	v_cmpx_gt_u32_e32 8, v51
; %bb.999:                              ;   in Loop: Header=BB304_806 Depth=1
	v_ffbh_u32_e32 v11, v11
	v_min_u32_e32 v49, 32, v11
	v_subrev_nc_u32_e32 v11, 28, v49
	v_lshlrev_b64 v[11:12], v11, v[0:1]
	v_sub_nc_u32_e32 v12, 29, v49
	v_and_b32_e32 v11, 7, v11
; %bb.1000:                             ;   in Loop: Header=BB304_806 Depth=1
	s_or_b32 exec_lo, exec_lo, s20
	v_lshlrev_b32_e32 v0, 8, v0
	v_lshl_add_u32 v12, v12, 10, 0x2000
	v_lshlrev_b32_e32 v11, 23, v11
	v_and_or_b32 v0, 0x8000, v0, v12
	v_lshl_or_b32 v11, v0, 16, v11
.LBB304_1001:                           ;   in Loop: Header=BB304_806 Depth=1
	s_or_b32 exec_lo, exec_lo, s18
.LBB304_1002:                           ;   in Loop: Header=BB304_806 Depth=1
	s_or_b32 exec_lo, exec_lo, s17
.LBB304_1003:                           ;   in Loop: Header=BB304_806 Depth=1
	s_or_b32 exec_lo, exec_lo, s16
	v_or_b32_e32 v0, v35, v37
	s_waitcnt vmcnt(0) lgkmcnt(0)
	v_fma_mixlo_f16 v12, v4, v35, 0 op_sel:[0,1,0] op_sel_hi:[0,1,0]
	v_or_b32_e32 v22, v5, v22
	v_fma_mixlo_f16 v5, v4, v5, 0 op_sel:[0,1,0] op_sel_hi:[0,1,0]
	v_or_b32_e32 v35, v48, v38
	v_fma_mixlo_f16 v37, v4, v0, 0 op_sel_hi:[0,1,0]
	v_or_b32_e32 v6, v11, v6
	v_lshlrev_b32_e32 v0, 16, v12
	v_lshlrev_b32_e32 v12, 16, v5
	v_fma_mixlo_f16 v22, v4, v22, 0 op_sel_hi:[0,1,0]
	v_and_b32_e32 v5, 0xffff, v37
	v_fma_mixlo_f16 v37, v4, v48, 0 op_sel:[0,1,0] op_sel_hi:[0,1,0]
	v_fma_mixlo_f16 v35, v4, v35, 0 op_sel_hi:[0,1,0]
	v_fma_mixlo_f16 v11, v4, v11, 0 op_sel:[0,1,0] op_sel_hi:[0,1,0]
	v_fma_mixlo_f16 v38, v4, v6, 0 op_sel_hi:[0,1,0]
	v_and_b32_e32 v51, 0xffff, v22
	v_lshlrev_b32_e32 v6, 16, v37
	v_and_b32_e32 v35, 0xffff, v35
	v_lshlrev_b32_e32 v4, 16, v11
	v_and_b32_e32 v11, 0xffff, v38
	v_or_b32_e32 v22, v0, v5
	v_or_b32_e32 v48, v12, v51
	;; [unrolled: 1-line block ×4, first 2 shown]
	s_and_saveexec_b32 s16, vcc_lo
	s_cbranch_execz .LBB304_1005
; %bb.1004:                             ;   in Loop: Header=BB304_806 Depth=1
	v_cmp_lt_i32_e64 s4, v18, v36
	v_cndmask_b32_e64 v22, 0, v51, s4
	v_cmp_lt_i32_e64 s4, v96, v36
	v_cndmask_b32_e64 v12, 0, v12, s4
	v_cmp_lt_i32_e64 s4, v87, v36
	v_or_b32_e32 v48, v22, v12
	v_cndmask_b32_e64 v5, 0, v5, s4
	v_cmp_lt_i32_e64 s4, v86, v36
	v_cndmask_b32_e64 v0, 0, v0, s4
	v_cmp_lt_i32_e64 s4, v84, v36
	v_or_b32_e32 v22, v5, v0
	;; [unrolled: 5-line block ×3, first 2 shown]
	v_cndmask_b32_e64 v11, 0, v11, s4
	v_cmp_lt_i32_e64 s4, v71, v36
	v_cndmask_b32_e64 v4, 0, v4, s4
	v_or_b32_e32 v37, v11, v4
.LBB304_1005:                           ;   in Loop: Header=BB304_806 Depth=1
	s_or_b32 exec_lo, exec_lo, s16
	;;#ASMSTART
	v_pk_mul_f16 v0, v85, v48;

	;;#ASMEND
	;;#ASMSTART
	v_pk_mul_f16 v4, v82, v22;

	;;#ASMEND
	;; [unrolled: 4-line block ×4, first 2 shown]
	;;#ASMSTART
	v_pk_add_f16 v0, v0, v4;

	;;#ASMEND
	;;#ASMSTART
	v_pk_add_f16 v0, v0, v5;

	;;#ASMEND
	;; [unrolled: 4-line block ×3, first 2 shown]
	v_and_b32_e32 v4, 0xffff, v0
	v_lshrrev_b32_e32 v0, 16, v0
	;;#ASMSTART
	v_cvt_f32_f16 v99, v4;
	;;#ASMEND
	;;#ASMSTART
	v_cvt_f32_f16 v100, v0;
	;;#ASMEND
	flat_load_dwordx2 v[11:12], v[9:10] offset:768
	flat_load_dword v4, v[26:27]
	v_mov_b32_e32 v5, 0
	v_mov_b32_e32 v22, 0
	s_waitcnt vmcnt(1) lgkmcnt(1)
	v_cmp_ne_u16_sdwa s4, v11, v1 src0_sel:BYTE_0 src1_sel:DWORD
	s_and_saveexec_b32 s16, s4
	s_cbranch_execz .LBB304_1013
; %bb.1006:                             ;   in Loop: Header=BB304_806 Depth=1
	v_cmp_ne_u16_sdwa s4, v11, v17 src0_sel:BYTE_0 src1_sel:DWORD
	v_mov_b32_e32 v22, 0x8000
	s_and_saveexec_b32 s17, s4
	s_cbranch_execz .LBB304_1012
; %bb.1007:                             ;   in Loop: Header=BB304_806 Depth=1
	v_and_b32_e32 v35, 0x7f, v11
	v_mov_b32_e32 v22, 0x7c01
	s_mov_b32 s18, exec_lo
	v_cmpx_ne_u32_e32 0x7f, v35
	s_cbranch_execz .LBB304_1011
; %bb.1008:                             ;   in Loop: Header=BB304_806 Depth=1
	v_and_b32_e32 v0, 7, v11
	v_lshrrev_b32_e32 v6, 3, v35
	s_mov_b32 s20, exec_lo
	v_cmpx_gt_u32_e32 8, v35
; %bb.1009:                             ;   in Loop: Header=BB304_806 Depth=1
	v_ffbh_u32_e32 v0, v0
	v_min_u32_e32 v0, 32, v0
	v_subrev_nc_u32_e32 v6, 28, v0
	v_lshlrev_b64 v[37:38], v6, v[11:12]
	v_sub_nc_u32_e32 v6, 29, v0
	v_and_b32_e32 v0, 7, v37
; %bb.1010:                             ;   in Loop: Header=BB304_806 Depth=1
	s_or_b32 exec_lo, exec_lo, s20
	v_lshlrev_b32_e32 v22, 8, v11
	v_lshl_add_u32 v6, v6, 10, 0x2000
	v_lshlrev_b32_e32 v0, 7, v0
	v_and_b32_e32 v22, 0x8000, v22
	v_and_b32_e32 v6, 0xfc00, v6
	v_or3_b32 v22, v22, v6, v0
.LBB304_1011:                           ;   in Loop: Header=BB304_806 Depth=1
	s_or_b32 exec_lo, exec_lo, s18
.LBB304_1012:                           ;   in Loop: Header=BB304_806 Depth=1
	s_or_b32 exec_lo, exec_lo, s17
.LBB304_1013:                           ;   in Loop: Header=BB304_806 Depth=1
	s_or_b32 exec_lo, exec_lo, s16
	v_lshrrev_b16 v0, 8, v11
	s_mov_b32 s16, exec_lo
	v_cmpx_ne_u16_e32 0, v0
	s_cbranch_execz .LBB304_1021
; %bb.1014:                             ;   in Loop: Header=BB304_806 Depth=1
	v_bfrev_b32_e32 v5, 1
	s_mov_b32 s17, exec_lo
	v_cmpx_ne_u16_e32 0x80, v0
	s_cbranch_execz .LBB304_1020
; %bb.1015:                             ;   in Loop: Header=BB304_806 Depth=1
	v_and_b32_sdwa v35, v0, v53 dst_sel:DWORD dst_unused:UNUSED_PAD src0_sel:WORD_0 src1_sel:DWORD
	v_mov_b32_e32 v5, 0x7c010000
	s_mov_b32 s18, exec_lo
	v_cmpx_ne_u32_e32 0x7f, v35
	s_cbranch_execz .LBB304_1019
; %bb.1016:                             ;   in Loop: Header=BB304_806 Depth=1
	v_and_b32_sdwa v5, v0, v54 dst_sel:DWORD dst_unused:UNUSED_PAD src0_sel:WORD_0 src1_sel:DWORD
	v_lshrrev_b32_e32 v6, 3, v35
	s_mov_b32 s20, exec_lo
	v_cmpx_gt_u32_e32 8, v35
; %bb.1017:                             ;   in Loop: Header=BB304_806 Depth=1
	v_ffbh_u32_e32 v5, v5
	v_min_u32_e32 v35, 32, v5
	v_subrev_nc_u32_e32 v5, 28, v35
	v_lshlrev_b64 v[5:6], v5, v[0:1]
	v_sub_nc_u32_e32 v6, 29, v35
	v_and_b32_e32 v5, 7, v5
; %bb.1018:                             ;   in Loop: Header=BB304_806 Depth=1
	s_or_b32 exec_lo, exec_lo, s20
	v_lshlrev_b32_sdwa v0, v67, v0 dst_sel:DWORD dst_unused:UNUSED_PAD src0_sel:DWORD src1_sel:WORD_0
	v_lshl_add_u32 v6, v6, 10, 0x2000
	v_lshlrev_b32_e32 v5, 23, v5
	v_and_or_b32 v0, 0x8000, v0, v6
	v_lshl_or_b32 v5, v0, 16, v5
.LBB304_1019:                           ;   in Loop: Header=BB304_806 Depth=1
	s_or_b32 exec_lo, exec_lo, s18
.LBB304_1020:                           ;   in Loop: Header=BB304_806 Depth=1
	s_or_b32 exec_lo, exec_lo, s17
.LBB304_1021:                           ;   in Loop: Header=BB304_806 Depth=1
	s_or_b32 exec_lo, exec_lo, s16
	v_lshrrev_b32_e32 v0, 16, v11
	v_mov_b32_e32 v35, 0
	v_mov_b32_e32 v37, 0
	v_cmp_ne_u16_sdwa s4, v0, v1 src0_sel:BYTE_0 src1_sel:DWORD
	s_and_saveexec_b32 s16, s4
	s_cbranch_execz .LBB304_1029
; %bb.1022:                             ;   in Loop: Header=BB304_806 Depth=1
	v_cmp_ne_u16_sdwa s4, v0, v17 src0_sel:BYTE_0 src1_sel:DWORD
	v_mov_b32_e32 v37, 0x8000
	s_and_saveexec_b32 s17, s4
	s_cbranch_execz .LBB304_1028
; %bb.1023:                             ;   in Loop: Header=BB304_806 Depth=1
	v_bfe_u32 v38, v11, 16, 7
	v_mov_b32_e32 v37, 0x7c01
	s_mov_b32 s18, exec_lo
	v_cmpx_ne_u32_e32 0x7f, v38
	s_cbranch_execz .LBB304_1027
; %bb.1024:                             ;   in Loop: Header=BB304_806 Depth=1
	v_and_b32_e32 v6, 7, v0
	v_lshrrev_b32_e32 v37, 3, v38
	s_mov_b32 s20, exec_lo
	v_cmpx_gt_u32_e32 8, v38
; %bb.1025:                             ;   in Loop: Header=BB304_806 Depth=1
	v_ffbh_u32_e32 v6, v6
	v_min_u32_e32 v6, 32, v6
	v_subrev_nc_u32_e32 v37, 28, v6
	v_lshlrev_b64 v[48:49], v37, v[0:1]
	v_sub_nc_u32_e32 v37, 29, v6
	v_and_b32_e32 v6, 7, v48
; %bb.1026:                             ;   in Loop: Header=BB304_806 Depth=1
	s_or_b32 exec_lo, exec_lo, s20
	v_lshlrev_b32_e32 v0, 8, v0
	v_lshl_add_u32 v37, v37, 10, 0x2000
	v_lshlrev_b32_e32 v6, 7, v6
	v_and_b32_e32 v0, 0x8000, v0
	v_and_b32_e32 v37, 0xfc00, v37
	v_or3_b32 v37, v0, v37, v6
.LBB304_1027:                           ;   in Loop: Header=BB304_806 Depth=1
	s_or_b32 exec_lo, exec_lo, s18
.LBB304_1028:                           ;   in Loop: Header=BB304_806 Depth=1
	s_or_b32 exec_lo, exec_lo, s17
.LBB304_1029:                           ;   in Loop: Header=BB304_806 Depth=1
	s_or_b32 exec_lo, exec_lo, s16
	s_mov_b32 s16, exec_lo
	v_cmpx_lt_u32_e32 0xffffff, v11
	s_cbranch_execz .LBB304_1037
; %bb.1030:                             ;   in Loop: Header=BB304_806 Depth=1
	v_lshrrev_b32_e32 v0, 24, v11
	v_bfrev_b32_e32 v35, 1
	s_mov_b32 s17, exec_lo
	v_cmpx_ne_u32_e32 0x80, v0
	s_cbranch_execz .LBB304_1036
; %bb.1031:                             ;   in Loop: Header=BB304_806 Depth=1
	v_and_b32_e32 v38, 0x7f, v0
	v_mov_b32_e32 v35, 0x7c010000
	s_mov_b32 s18, exec_lo
	v_cmpx_ne_u32_e32 0x7f, v38
	s_cbranch_execz .LBB304_1035
; %bb.1032:                             ;   in Loop: Header=BB304_806 Depth=1
	v_and_b32_e32 v6, 7, v0
	v_lshrrev_b32_e32 v35, 3, v38
	s_mov_b32 s20, exec_lo
	v_cmpx_gt_u32_e32 8, v38
; %bb.1033:                             ;   in Loop: Header=BB304_806 Depth=1
	v_ffbh_u32_e32 v6, v6
	v_min_u32_e32 v6, 32, v6
	v_subrev_nc_u32_e32 v35, 28, v6
	v_lshlrev_b64 v[48:49], v35, v[0:1]
	v_sub_nc_u32_e32 v35, 29, v6
	v_and_b32_e32 v6, 7, v48
; %bb.1034:                             ;   in Loop: Header=BB304_806 Depth=1
	s_or_b32 exec_lo, exec_lo, s20
	v_lshlrev_b32_e32 v0, 8, v0
	v_lshl_add_u32 v35, v35, 10, 0x2000
	v_lshlrev_b32_e32 v6, 23, v6
	v_and_or_b32 v0, 0x8000, v0, v35
	v_lshl_or_b32 v35, v0, 16, v6
.LBB304_1035:                           ;   in Loop: Header=BB304_806 Depth=1
	s_or_b32 exec_lo, exec_lo, s18
.LBB304_1036:                           ;   in Loop: Header=BB304_806 Depth=1
	s_or_b32 exec_lo, exec_lo, s17
.LBB304_1037:                           ;   in Loop: Header=BB304_806 Depth=1
	s_or_b32 exec_lo, exec_lo, s16
	v_mov_b32_e32 v0, v12
	v_cmp_ne_u16_sdwa s4, v12, v1 src0_sel:BYTE_0 src1_sel:DWORD
	v_mov_b32_e32 v6, 0
	v_mov_b32_e32 v38, 0
	s_and_saveexec_b32 s16, s4
	s_cbranch_execz .LBB304_1045
; %bb.1038:                             ;   in Loop: Header=BB304_806 Depth=1
	v_cmp_ne_u16_sdwa s4, v12, v17 src0_sel:BYTE_0 src1_sel:DWORD
	v_mov_b32_e32 v38, 0x8000
	s_and_saveexec_b32 s17, s4
	s_cbranch_execz .LBB304_1044
; %bb.1039:                             ;   in Loop: Header=BB304_806 Depth=1
	v_and_b32_e32 v51, 0x7f, v12
	v_mov_b32_e32 v38, 0x7c01
	s_mov_b32 s18, exec_lo
	v_cmpx_ne_u32_e32 0x7f, v51
	s_cbranch_execz .LBB304_1043
; %bb.1040:                             ;   in Loop: Header=BB304_806 Depth=1
	v_and_b32_e32 v38, 7, v12
	v_lshrrev_b32_e32 v48, 3, v51
	s_mov_b32 s20, exec_lo
	v_cmpx_gt_u32_e32 8, v51
; %bb.1041:                             ;   in Loop: Header=BB304_806 Depth=1
	v_ffbh_u32_e32 v38, v38
	v_min_u32_e32 v38, 32, v38
	v_subrev_nc_u32_e32 v48, 28, v38
	v_lshlrev_b64 v[49:50], v48, v[0:1]
	v_sub_nc_u32_e32 v48, 29, v38
	v_and_b32_e32 v38, 7, v49
; %bb.1042:                             ;   in Loop: Header=BB304_806 Depth=1
	s_or_b32 exec_lo, exec_lo, s20
	v_lshlrev_b32_e32 v49, 8, v12
	v_lshl_add_u32 v48, v48, 10, 0x2000
	v_lshlrev_b32_e32 v38, 7, v38
	v_and_b32_e32 v49, 0x8000, v49
	v_and_b32_e32 v48, 0xfc00, v48
	v_or3_b32 v38, v49, v48, v38
.LBB304_1043:                           ;   in Loop: Header=BB304_806 Depth=1
	s_or_b32 exec_lo, exec_lo, s18
.LBB304_1044:                           ;   in Loop: Header=BB304_806 Depth=1
	s_or_b32 exec_lo, exec_lo, s17
.LBB304_1045:                           ;   in Loop: Header=BB304_806 Depth=1
	s_or_b32 exec_lo, exec_lo, s16
	v_lshrrev_b16 v0, 8, v0
	v_mov_b32_e32 v48, 0
	s_mov_b32 s16, exec_lo
	v_cmpx_ne_u16_e32 0, v0
	s_cbranch_execz .LBB304_1053
; %bb.1046:                             ;   in Loop: Header=BB304_806 Depth=1
	v_bfrev_b32_e32 v48, 1
	s_mov_b32 s17, exec_lo
	v_cmpx_ne_u16_e32 0x80, v0
	s_cbranch_execz .LBB304_1052
; %bb.1047:                             ;   in Loop: Header=BB304_806 Depth=1
	v_and_b32_sdwa v101, v0, v53 dst_sel:DWORD dst_unused:UNUSED_PAD src0_sel:WORD_0 src1_sel:DWORD
	v_mov_b32_e32 v48, 0x7c010000
	s_mov_b32 s18, exec_lo
	v_cmpx_ne_u32_e32 0x7f, v101
	s_cbranch_execz .LBB304_1051
; %bb.1048:                             ;   in Loop: Header=BB304_806 Depth=1
	v_and_b32_sdwa v48, v0, v54 dst_sel:DWORD dst_unused:UNUSED_PAD src0_sel:WORD_0 src1_sel:DWORD
	v_lshrrev_b32_e32 v51, 3, v101
	s_mov_b32 s20, exec_lo
	v_cmpx_gt_u32_e32 8, v101
; %bb.1049:                             ;   in Loop: Header=BB304_806 Depth=1
	v_ffbh_u32_e32 v48, v48
	v_min_u32_e32 v50, 32, v48
	v_subrev_nc_u32_e32 v48, 28, v50
	v_sub_nc_u32_e32 v51, 29, v50
	v_lshlrev_b64 v[48:49], v48, v[0:1]
	v_and_b32_e32 v48, 7, v48
; %bb.1050:                             ;   in Loop: Header=BB304_806 Depth=1
	s_or_b32 exec_lo, exec_lo, s20
	v_lshlrev_b32_sdwa v0, v67, v0 dst_sel:DWORD dst_unused:UNUSED_PAD src0_sel:DWORD src1_sel:WORD_0
	v_lshl_add_u32 v49, v51, 10, 0x2000
	v_lshlrev_b32_e32 v48, 23, v48
	v_and_or_b32 v0, 0x8000, v0, v49
	v_lshl_or_b32 v48, v0, 16, v48
.LBB304_1051:                           ;   in Loop: Header=BB304_806 Depth=1
	s_or_b32 exec_lo, exec_lo, s18
.LBB304_1052:                           ;   in Loop: Header=BB304_806 Depth=1
	s_or_b32 exec_lo, exec_lo, s17
.LBB304_1053:                           ;   in Loop: Header=BB304_806 Depth=1
	s_or_b32 exec_lo, exec_lo, s16
	v_lshrrev_b32_e32 v0, 16, v12
	v_cmp_ne_u16_sdwa s4, v0, v1 src0_sel:BYTE_0 src1_sel:DWORD
	s_and_saveexec_b32 s16, s4
	s_cbranch_execz .LBB304_1061
; %bb.1054:                             ;   in Loop: Header=BB304_806 Depth=1
	v_cmp_ne_u16_sdwa s4, v0, v17 src0_sel:BYTE_0 src1_sel:DWORD
	v_mov_b32_e32 v6, 0x8000
	s_and_saveexec_b32 s17, s4
	s_cbranch_execz .LBB304_1060
; %bb.1055:                             ;   in Loop: Header=BB304_806 Depth=1
	v_bfe_u32 v101, v12, 16, 7
	v_mov_b32_e32 v6, 0x7c01
	s_mov_b32 s18, exec_lo
	v_cmpx_ne_u32_e32 0x7f, v101
	s_cbranch_execz .LBB304_1059
; %bb.1056:                             ;   in Loop: Header=BB304_806 Depth=1
	v_and_b32_e32 v6, 7, v0
	v_lshrrev_b32_e32 v51, 3, v101
	s_mov_b32 s20, exec_lo
	v_cmpx_gt_u32_e32 8, v101
; %bb.1057:                             ;   in Loop: Header=BB304_806 Depth=1
	v_ffbh_u32_e32 v6, v6
	v_min_u32_e32 v6, 32, v6
	v_subrev_nc_u32_e32 v49, 28, v6
	v_sub_nc_u32_e32 v51, 29, v6
	v_lshlrev_b64 v[49:50], v49, v[0:1]
	v_and_b32_e32 v6, 7, v49
; %bb.1058:                             ;   in Loop: Header=BB304_806 Depth=1
	s_or_b32 exec_lo, exec_lo, s20
	v_lshlrev_b32_e32 v0, 8, v0
	v_lshl_add_u32 v49, v51, 10, 0x2000
	v_lshlrev_b32_e32 v6, 7, v6
	v_and_b32_e32 v0, 0x8000, v0
	v_and_b32_e32 v49, 0xfc00, v49
	v_or3_b32 v6, v0, v49, v6
.LBB304_1059:                           ;   in Loop: Header=BB304_806 Depth=1
	s_or_b32 exec_lo, exec_lo, s18
.LBB304_1060:                           ;   in Loop: Header=BB304_806 Depth=1
	s_or_b32 exec_lo, exec_lo, s17
.LBB304_1061:                           ;   in Loop: Header=BB304_806 Depth=1
	s_or_b32 exec_lo, exec_lo, s16
	v_cmp_lt_u64_e64 s4, s[12:13], v[11:12]
	v_mov_b32_e32 v11, 0
	s_and_saveexec_b32 s16, s4
	s_cbranch_execz .LBB304_1069
; %bb.1062:                             ;   in Loop: Header=BB304_806 Depth=1
	v_lshrrev_b32_e32 v0, 24, v12
	v_bfrev_b32_e32 v11, 1
	s_mov_b32 s17, exec_lo
	v_cmpx_ne_u32_e32 0x80, v0
	s_cbranch_execz .LBB304_1068
; %bb.1063:                             ;   in Loop: Header=BB304_806 Depth=1
	v_and_b32_e32 v51, 0x7f, v0
	v_mov_b32_e32 v11, 0x7c010000
	s_mov_b32 s18, exec_lo
	v_cmpx_ne_u32_e32 0x7f, v51
	s_cbranch_execz .LBB304_1067
; %bb.1064:                             ;   in Loop: Header=BB304_806 Depth=1
	v_and_b32_e32 v11, 7, v0
	v_lshrrev_b32_e32 v12, 3, v51
	s_mov_b32 s20, exec_lo
	v_cmpx_gt_u32_e32 8, v51
; %bb.1065:                             ;   in Loop: Header=BB304_806 Depth=1
	v_ffbh_u32_e32 v11, v11
	v_min_u32_e32 v49, 32, v11
	v_subrev_nc_u32_e32 v11, 28, v49
	v_lshlrev_b64 v[11:12], v11, v[0:1]
	v_sub_nc_u32_e32 v12, 29, v49
	v_and_b32_e32 v11, 7, v11
; %bb.1066:                             ;   in Loop: Header=BB304_806 Depth=1
	s_or_b32 exec_lo, exec_lo, s20
	v_lshlrev_b32_e32 v0, 8, v0
	v_lshl_add_u32 v12, v12, 10, 0x2000
	v_lshlrev_b32_e32 v11, 23, v11
	v_and_or_b32 v0, 0x8000, v0, v12
	v_lshl_or_b32 v11, v0, 16, v11
.LBB304_1067:                           ;   in Loop: Header=BB304_806 Depth=1
	s_or_b32 exec_lo, exec_lo, s18
.LBB304_1068:                           ;   in Loop: Header=BB304_806 Depth=1
	s_or_b32 exec_lo, exec_lo, s17
.LBB304_1069:                           ;   in Loop: Header=BB304_806 Depth=1
	s_or_b32 exec_lo, exec_lo, s16
	v_or_b32_e32 v0, v35, v37
	s_waitcnt vmcnt(0) lgkmcnt(0)
	v_fma_mixlo_f16 v12, v4, v35, 0 op_sel:[0,1,0] op_sel_hi:[0,1,0]
	v_or_b32_e32 v22, v5, v22
	v_fma_mixlo_f16 v5, v4, v5, 0 op_sel:[0,1,0] op_sel_hi:[0,1,0]
	v_or_b32_e32 v35, v48, v38
	v_fma_mixlo_f16 v37, v4, v0, 0 op_sel_hi:[0,1,0]
	v_or_b32_e32 v6, v11, v6
	v_lshlrev_b32_e32 v0, 16, v12
	v_lshlrev_b32_e32 v12, 16, v5
	v_fma_mixlo_f16 v22, v4, v22, 0 op_sel_hi:[0,1,0]
	v_and_b32_e32 v5, 0xffff, v37
	v_fma_mixlo_f16 v37, v4, v48, 0 op_sel:[0,1,0] op_sel_hi:[0,1,0]
	v_fma_mixlo_f16 v35, v4, v35, 0 op_sel_hi:[0,1,0]
	v_fma_mixlo_f16 v11, v4, v11, 0 op_sel:[0,1,0] op_sel_hi:[0,1,0]
	v_fma_mixlo_f16 v38, v4, v6, 0 op_sel_hi:[0,1,0]
	v_and_b32_e32 v51, 0xffff, v22
	v_lshlrev_b32_e32 v6, 16, v37
	v_and_b32_e32 v35, 0xffff, v35
	v_lshlrev_b32_e32 v4, 16, v11
	v_and_b32_e32 v11, 0xffff, v38
	v_or_b32_e32 v22, v0, v5
	v_or_b32_e32 v48, v12, v51
	;; [unrolled: 1-line block ×4, first 2 shown]
	s_and_saveexec_b32 s16, vcc_lo
	s_cbranch_execz .LBB304_1071
; %bb.1070:                             ;   in Loop: Header=BB304_806 Depth=1
	v_cmp_lt_i32_e64 s4, v18, v36
	v_cndmask_b32_e64 v22, 0, v51, s4
	v_cmp_lt_i32_e64 s4, v96, v36
	v_cndmask_b32_e64 v12, 0, v12, s4
	v_cmp_lt_i32_e64 s4, v87, v36
	v_or_b32_e32 v48, v22, v12
	v_cndmask_b32_e64 v5, 0, v5, s4
	v_cmp_lt_i32_e64 s4, v86, v36
	v_cndmask_b32_e64 v0, 0, v0, s4
	v_cmp_lt_i32_e64 s4, v84, v36
	v_or_b32_e32 v22, v5, v0
	;; [unrolled: 5-line block ×3, first 2 shown]
	v_cndmask_b32_e64 v11, 0, v11, s4
	v_cmp_lt_i32_e64 s4, v71, v36
	v_cndmask_b32_e64 v4, 0, v4, s4
	v_or_b32_e32 v37, v11, v4
.LBB304_1071:                           ;   in Loop: Header=BB304_806 Depth=1
	s_or_b32 exec_lo, exec_lo, s16
	;;#ASMSTART
	v_pk_mul_f16 v0, v85, v48;

	;;#ASMEND
	;;#ASMSTART
	v_pk_mul_f16 v4, v82, v22;

	;;#ASMEND
	;; [unrolled: 4-line block ×4, first 2 shown]
	;;#ASMSTART
	v_pk_add_f16 v0, v0, v4;

	;;#ASMEND
	;;#ASMSTART
	v_pk_add_f16 v0, v0, v5;

	;;#ASMEND
	;; [unrolled: 4-line block ×3, first 2 shown]
	v_and_b32_e32 v4, 0xffff, v0
	v_lshrrev_b32_e32 v0, 16, v0
	;;#ASMSTART
	v_cvt_f32_f16 v101, v4;
	;;#ASMEND
	;;#ASMSTART
	v_cvt_f32_f16 v102, v0;
	;;#ASMEND
	flat_load_dwordx2 v[11:12], v[9:10] offset:1024
	flat_load_dword v4, v[26:27]
	v_mov_b32_e32 v5, 0
	v_mov_b32_e32 v22, 0
	s_waitcnt vmcnt(1) lgkmcnt(1)
	v_cmp_ne_u16_sdwa s4, v11, v1 src0_sel:BYTE_0 src1_sel:DWORD
	s_and_saveexec_b32 s16, s4
	s_cbranch_execz .LBB304_1079
; %bb.1072:                             ;   in Loop: Header=BB304_806 Depth=1
	v_cmp_ne_u16_sdwa s4, v11, v17 src0_sel:BYTE_0 src1_sel:DWORD
	v_mov_b32_e32 v22, 0x8000
	s_and_saveexec_b32 s17, s4
	s_cbranch_execz .LBB304_1078
; %bb.1073:                             ;   in Loop: Header=BB304_806 Depth=1
	v_and_b32_e32 v35, 0x7f, v11
	v_mov_b32_e32 v22, 0x7c01
	s_mov_b32 s18, exec_lo
	v_cmpx_ne_u32_e32 0x7f, v35
	s_cbranch_execz .LBB304_1077
; %bb.1074:                             ;   in Loop: Header=BB304_806 Depth=1
	v_and_b32_e32 v0, 7, v11
	v_lshrrev_b32_e32 v6, 3, v35
	s_mov_b32 s20, exec_lo
	v_cmpx_gt_u32_e32 8, v35
; %bb.1075:                             ;   in Loop: Header=BB304_806 Depth=1
	v_ffbh_u32_e32 v0, v0
	v_min_u32_e32 v0, 32, v0
	v_subrev_nc_u32_e32 v6, 28, v0
	v_lshlrev_b64 v[37:38], v6, v[11:12]
	v_sub_nc_u32_e32 v6, 29, v0
	v_and_b32_e32 v0, 7, v37
; %bb.1076:                             ;   in Loop: Header=BB304_806 Depth=1
	s_or_b32 exec_lo, exec_lo, s20
	v_lshlrev_b32_e32 v22, 8, v11
	v_lshl_add_u32 v6, v6, 10, 0x2000
	v_lshlrev_b32_e32 v0, 7, v0
	v_and_b32_e32 v22, 0x8000, v22
	v_and_b32_e32 v6, 0xfc00, v6
	v_or3_b32 v22, v22, v6, v0
.LBB304_1077:                           ;   in Loop: Header=BB304_806 Depth=1
	s_or_b32 exec_lo, exec_lo, s18
.LBB304_1078:                           ;   in Loop: Header=BB304_806 Depth=1
	s_or_b32 exec_lo, exec_lo, s17
.LBB304_1079:                           ;   in Loop: Header=BB304_806 Depth=1
	s_or_b32 exec_lo, exec_lo, s16
	v_lshrrev_b16 v0, 8, v11
	s_mov_b32 s16, exec_lo
	v_cmpx_ne_u16_e32 0, v0
	s_cbranch_execz .LBB304_1087
; %bb.1080:                             ;   in Loop: Header=BB304_806 Depth=1
	v_bfrev_b32_e32 v5, 1
	s_mov_b32 s17, exec_lo
	v_cmpx_ne_u16_e32 0x80, v0
	s_cbranch_execz .LBB304_1086
; %bb.1081:                             ;   in Loop: Header=BB304_806 Depth=1
	v_and_b32_sdwa v35, v0, v53 dst_sel:DWORD dst_unused:UNUSED_PAD src0_sel:WORD_0 src1_sel:DWORD
	v_mov_b32_e32 v5, 0x7c010000
	s_mov_b32 s18, exec_lo
	v_cmpx_ne_u32_e32 0x7f, v35
	s_cbranch_execz .LBB304_1085
; %bb.1082:                             ;   in Loop: Header=BB304_806 Depth=1
	v_and_b32_sdwa v5, v0, v54 dst_sel:DWORD dst_unused:UNUSED_PAD src0_sel:WORD_0 src1_sel:DWORD
	v_lshrrev_b32_e32 v6, 3, v35
	s_mov_b32 s20, exec_lo
	v_cmpx_gt_u32_e32 8, v35
; %bb.1083:                             ;   in Loop: Header=BB304_806 Depth=1
	v_ffbh_u32_e32 v5, v5
	v_min_u32_e32 v35, 32, v5
	v_subrev_nc_u32_e32 v5, 28, v35
	v_lshlrev_b64 v[5:6], v5, v[0:1]
	v_sub_nc_u32_e32 v6, 29, v35
	v_and_b32_e32 v5, 7, v5
; %bb.1084:                             ;   in Loop: Header=BB304_806 Depth=1
	s_or_b32 exec_lo, exec_lo, s20
	v_lshlrev_b32_sdwa v0, v67, v0 dst_sel:DWORD dst_unused:UNUSED_PAD src0_sel:DWORD src1_sel:WORD_0
	v_lshl_add_u32 v6, v6, 10, 0x2000
	v_lshlrev_b32_e32 v5, 23, v5
	v_and_or_b32 v0, 0x8000, v0, v6
	v_lshl_or_b32 v5, v0, 16, v5
.LBB304_1085:                           ;   in Loop: Header=BB304_806 Depth=1
	s_or_b32 exec_lo, exec_lo, s18
.LBB304_1086:                           ;   in Loop: Header=BB304_806 Depth=1
	s_or_b32 exec_lo, exec_lo, s17
.LBB304_1087:                           ;   in Loop: Header=BB304_806 Depth=1
	s_or_b32 exec_lo, exec_lo, s16
	v_lshrrev_b32_e32 v0, 16, v11
	v_mov_b32_e32 v35, 0
	v_mov_b32_e32 v37, 0
	v_cmp_ne_u16_sdwa s4, v0, v1 src0_sel:BYTE_0 src1_sel:DWORD
	s_and_saveexec_b32 s16, s4
	s_cbranch_execz .LBB304_1095
; %bb.1088:                             ;   in Loop: Header=BB304_806 Depth=1
	v_cmp_ne_u16_sdwa s4, v0, v17 src0_sel:BYTE_0 src1_sel:DWORD
	v_mov_b32_e32 v37, 0x8000
	s_and_saveexec_b32 s17, s4
	s_cbranch_execz .LBB304_1094
; %bb.1089:                             ;   in Loop: Header=BB304_806 Depth=1
	v_bfe_u32 v38, v11, 16, 7
	v_mov_b32_e32 v37, 0x7c01
	s_mov_b32 s18, exec_lo
	v_cmpx_ne_u32_e32 0x7f, v38
	s_cbranch_execz .LBB304_1093
; %bb.1090:                             ;   in Loop: Header=BB304_806 Depth=1
	v_and_b32_e32 v6, 7, v0
	v_lshrrev_b32_e32 v37, 3, v38
	s_mov_b32 s20, exec_lo
	v_cmpx_gt_u32_e32 8, v38
; %bb.1091:                             ;   in Loop: Header=BB304_806 Depth=1
	v_ffbh_u32_e32 v6, v6
	v_min_u32_e32 v6, 32, v6
	v_subrev_nc_u32_e32 v37, 28, v6
	v_lshlrev_b64 v[48:49], v37, v[0:1]
	v_sub_nc_u32_e32 v37, 29, v6
	v_and_b32_e32 v6, 7, v48
; %bb.1092:                             ;   in Loop: Header=BB304_806 Depth=1
	s_or_b32 exec_lo, exec_lo, s20
	v_lshlrev_b32_e32 v0, 8, v0
	v_lshl_add_u32 v37, v37, 10, 0x2000
	v_lshlrev_b32_e32 v6, 7, v6
	v_and_b32_e32 v0, 0x8000, v0
	v_and_b32_e32 v37, 0xfc00, v37
	v_or3_b32 v37, v0, v37, v6
.LBB304_1093:                           ;   in Loop: Header=BB304_806 Depth=1
	s_or_b32 exec_lo, exec_lo, s18
.LBB304_1094:                           ;   in Loop: Header=BB304_806 Depth=1
	s_or_b32 exec_lo, exec_lo, s17
.LBB304_1095:                           ;   in Loop: Header=BB304_806 Depth=1
	s_or_b32 exec_lo, exec_lo, s16
	s_mov_b32 s16, exec_lo
	v_cmpx_lt_u32_e32 0xffffff, v11
	s_cbranch_execz .LBB304_1103
; %bb.1096:                             ;   in Loop: Header=BB304_806 Depth=1
	v_lshrrev_b32_e32 v0, 24, v11
	v_bfrev_b32_e32 v35, 1
	s_mov_b32 s17, exec_lo
	v_cmpx_ne_u32_e32 0x80, v0
	s_cbranch_execz .LBB304_1102
; %bb.1097:                             ;   in Loop: Header=BB304_806 Depth=1
	v_and_b32_e32 v38, 0x7f, v0
	v_mov_b32_e32 v35, 0x7c010000
	s_mov_b32 s18, exec_lo
	v_cmpx_ne_u32_e32 0x7f, v38
	s_cbranch_execz .LBB304_1101
; %bb.1098:                             ;   in Loop: Header=BB304_806 Depth=1
	v_and_b32_e32 v6, 7, v0
	v_lshrrev_b32_e32 v35, 3, v38
	s_mov_b32 s20, exec_lo
	v_cmpx_gt_u32_e32 8, v38
; %bb.1099:                             ;   in Loop: Header=BB304_806 Depth=1
	v_ffbh_u32_e32 v6, v6
	v_min_u32_e32 v6, 32, v6
	v_subrev_nc_u32_e32 v35, 28, v6
	v_lshlrev_b64 v[48:49], v35, v[0:1]
	v_sub_nc_u32_e32 v35, 29, v6
	v_and_b32_e32 v6, 7, v48
; %bb.1100:                             ;   in Loop: Header=BB304_806 Depth=1
	s_or_b32 exec_lo, exec_lo, s20
	v_lshlrev_b32_e32 v0, 8, v0
	v_lshl_add_u32 v35, v35, 10, 0x2000
	v_lshlrev_b32_e32 v6, 23, v6
	v_and_or_b32 v0, 0x8000, v0, v35
	v_lshl_or_b32 v35, v0, 16, v6
.LBB304_1101:                           ;   in Loop: Header=BB304_806 Depth=1
	s_or_b32 exec_lo, exec_lo, s18
.LBB304_1102:                           ;   in Loop: Header=BB304_806 Depth=1
	s_or_b32 exec_lo, exec_lo, s17
.LBB304_1103:                           ;   in Loop: Header=BB304_806 Depth=1
	s_or_b32 exec_lo, exec_lo, s16
	v_mov_b32_e32 v0, v12
	v_cmp_ne_u16_sdwa s4, v12, v1 src0_sel:BYTE_0 src1_sel:DWORD
	v_mov_b32_e32 v6, 0
	v_mov_b32_e32 v38, 0
	s_and_saveexec_b32 s16, s4
	s_cbranch_execz .LBB304_1111
; %bb.1104:                             ;   in Loop: Header=BB304_806 Depth=1
	v_cmp_ne_u16_sdwa s4, v12, v17 src0_sel:BYTE_0 src1_sel:DWORD
	v_mov_b32_e32 v38, 0x8000
	s_and_saveexec_b32 s17, s4
	s_cbranch_execz .LBB304_1110
; %bb.1105:                             ;   in Loop: Header=BB304_806 Depth=1
	v_and_b32_e32 v51, 0x7f, v12
	v_mov_b32_e32 v38, 0x7c01
	s_mov_b32 s18, exec_lo
	v_cmpx_ne_u32_e32 0x7f, v51
	s_cbranch_execz .LBB304_1109
; %bb.1106:                             ;   in Loop: Header=BB304_806 Depth=1
	v_and_b32_e32 v38, 7, v12
	v_lshrrev_b32_e32 v48, 3, v51
	s_mov_b32 s20, exec_lo
	v_cmpx_gt_u32_e32 8, v51
; %bb.1107:                             ;   in Loop: Header=BB304_806 Depth=1
	v_ffbh_u32_e32 v38, v38
	v_min_u32_e32 v38, 32, v38
	v_subrev_nc_u32_e32 v48, 28, v38
	v_lshlrev_b64 v[49:50], v48, v[0:1]
	v_sub_nc_u32_e32 v48, 29, v38
	v_and_b32_e32 v38, 7, v49
; %bb.1108:                             ;   in Loop: Header=BB304_806 Depth=1
	s_or_b32 exec_lo, exec_lo, s20
	v_lshlrev_b32_e32 v49, 8, v12
	v_lshl_add_u32 v48, v48, 10, 0x2000
	v_lshlrev_b32_e32 v38, 7, v38
	v_and_b32_e32 v49, 0x8000, v49
	v_and_b32_e32 v48, 0xfc00, v48
	v_or3_b32 v38, v49, v48, v38
.LBB304_1109:                           ;   in Loop: Header=BB304_806 Depth=1
	s_or_b32 exec_lo, exec_lo, s18
.LBB304_1110:                           ;   in Loop: Header=BB304_806 Depth=1
	s_or_b32 exec_lo, exec_lo, s17
.LBB304_1111:                           ;   in Loop: Header=BB304_806 Depth=1
	s_or_b32 exec_lo, exec_lo, s16
	v_lshrrev_b16 v0, 8, v0
	v_mov_b32_e32 v48, 0
	s_mov_b32 s16, exec_lo
	v_cmpx_ne_u16_e32 0, v0
	s_cbranch_execz .LBB304_1119
; %bb.1112:                             ;   in Loop: Header=BB304_806 Depth=1
	v_bfrev_b32_e32 v48, 1
	s_mov_b32 s17, exec_lo
	v_cmpx_ne_u16_e32 0x80, v0
	s_cbranch_execz .LBB304_1118
; %bb.1113:                             ;   in Loop: Header=BB304_806 Depth=1
	v_and_b32_sdwa v103, v0, v53 dst_sel:DWORD dst_unused:UNUSED_PAD src0_sel:WORD_0 src1_sel:DWORD
	v_mov_b32_e32 v48, 0x7c010000
	s_mov_b32 s18, exec_lo
	v_cmpx_ne_u32_e32 0x7f, v103
	s_cbranch_execz .LBB304_1117
; %bb.1114:                             ;   in Loop: Header=BB304_806 Depth=1
	v_and_b32_sdwa v48, v0, v54 dst_sel:DWORD dst_unused:UNUSED_PAD src0_sel:WORD_0 src1_sel:DWORD
	v_lshrrev_b32_e32 v51, 3, v103
	s_mov_b32 s20, exec_lo
	v_cmpx_gt_u32_e32 8, v103
; %bb.1115:                             ;   in Loop: Header=BB304_806 Depth=1
	v_ffbh_u32_e32 v48, v48
	v_min_u32_e32 v50, 32, v48
	v_subrev_nc_u32_e32 v48, 28, v50
	v_sub_nc_u32_e32 v51, 29, v50
	v_lshlrev_b64 v[48:49], v48, v[0:1]
	v_and_b32_e32 v48, 7, v48
; %bb.1116:                             ;   in Loop: Header=BB304_806 Depth=1
	s_or_b32 exec_lo, exec_lo, s20
	v_lshlrev_b32_sdwa v0, v67, v0 dst_sel:DWORD dst_unused:UNUSED_PAD src0_sel:DWORD src1_sel:WORD_0
	v_lshl_add_u32 v49, v51, 10, 0x2000
	v_lshlrev_b32_e32 v48, 23, v48
	v_and_or_b32 v0, 0x8000, v0, v49
	v_lshl_or_b32 v48, v0, 16, v48
.LBB304_1117:                           ;   in Loop: Header=BB304_806 Depth=1
	s_or_b32 exec_lo, exec_lo, s18
.LBB304_1118:                           ;   in Loop: Header=BB304_806 Depth=1
	s_or_b32 exec_lo, exec_lo, s17
.LBB304_1119:                           ;   in Loop: Header=BB304_806 Depth=1
	s_or_b32 exec_lo, exec_lo, s16
	v_lshrrev_b32_e32 v0, 16, v12
	v_cmp_ne_u16_sdwa s4, v0, v1 src0_sel:BYTE_0 src1_sel:DWORD
	s_and_saveexec_b32 s16, s4
	s_cbranch_execz .LBB304_1127
; %bb.1120:                             ;   in Loop: Header=BB304_806 Depth=1
	v_cmp_ne_u16_sdwa s4, v0, v17 src0_sel:BYTE_0 src1_sel:DWORD
	v_mov_b32_e32 v6, 0x8000
	s_and_saveexec_b32 s17, s4
	s_cbranch_execz .LBB304_1126
; %bb.1121:                             ;   in Loop: Header=BB304_806 Depth=1
	v_bfe_u32 v103, v12, 16, 7
	v_mov_b32_e32 v6, 0x7c01
	s_mov_b32 s18, exec_lo
	v_cmpx_ne_u32_e32 0x7f, v103
	s_cbranch_execz .LBB304_1125
; %bb.1122:                             ;   in Loop: Header=BB304_806 Depth=1
	v_and_b32_e32 v6, 7, v0
	v_lshrrev_b32_e32 v51, 3, v103
	s_mov_b32 s20, exec_lo
	v_cmpx_gt_u32_e32 8, v103
; %bb.1123:                             ;   in Loop: Header=BB304_806 Depth=1
	v_ffbh_u32_e32 v6, v6
	v_min_u32_e32 v6, 32, v6
	v_subrev_nc_u32_e32 v49, 28, v6
	v_sub_nc_u32_e32 v51, 29, v6
	v_lshlrev_b64 v[49:50], v49, v[0:1]
	v_and_b32_e32 v6, 7, v49
; %bb.1124:                             ;   in Loop: Header=BB304_806 Depth=1
	s_or_b32 exec_lo, exec_lo, s20
	v_lshlrev_b32_e32 v0, 8, v0
	v_lshl_add_u32 v49, v51, 10, 0x2000
	v_lshlrev_b32_e32 v6, 7, v6
	v_and_b32_e32 v0, 0x8000, v0
	v_and_b32_e32 v49, 0xfc00, v49
	v_or3_b32 v6, v0, v49, v6
.LBB304_1125:                           ;   in Loop: Header=BB304_806 Depth=1
	s_or_b32 exec_lo, exec_lo, s18
.LBB304_1126:                           ;   in Loop: Header=BB304_806 Depth=1
	s_or_b32 exec_lo, exec_lo, s17
.LBB304_1127:                           ;   in Loop: Header=BB304_806 Depth=1
	s_or_b32 exec_lo, exec_lo, s16
	v_cmp_lt_u64_e64 s4, s[12:13], v[11:12]
	v_mov_b32_e32 v11, 0
	s_and_saveexec_b32 s16, s4
	s_cbranch_execz .LBB304_1135
; %bb.1128:                             ;   in Loop: Header=BB304_806 Depth=1
	v_lshrrev_b32_e32 v0, 24, v12
	v_bfrev_b32_e32 v11, 1
	s_mov_b32 s17, exec_lo
	v_cmpx_ne_u32_e32 0x80, v0
	s_cbranch_execz .LBB304_1134
; %bb.1129:                             ;   in Loop: Header=BB304_806 Depth=1
	v_and_b32_e32 v51, 0x7f, v0
	v_mov_b32_e32 v11, 0x7c010000
	s_mov_b32 s18, exec_lo
	v_cmpx_ne_u32_e32 0x7f, v51
	s_cbranch_execz .LBB304_1133
; %bb.1130:                             ;   in Loop: Header=BB304_806 Depth=1
	v_and_b32_e32 v11, 7, v0
	v_lshrrev_b32_e32 v12, 3, v51
	s_mov_b32 s20, exec_lo
	v_cmpx_gt_u32_e32 8, v51
; %bb.1131:                             ;   in Loop: Header=BB304_806 Depth=1
	v_ffbh_u32_e32 v11, v11
	v_min_u32_e32 v49, 32, v11
	v_subrev_nc_u32_e32 v11, 28, v49
	v_lshlrev_b64 v[11:12], v11, v[0:1]
	v_sub_nc_u32_e32 v12, 29, v49
	v_and_b32_e32 v11, 7, v11
; %bb.1132:                             ;   in Loop: Header=BB304_806 Depth=1
	s_or_b32 exec_lo, exec_lo, s20
	v_lshlrev_b32_e32 v0, 8, v0
	v_lshl_add_u32 v12, v12, 10, 0x2000
	v_lshlrev_b32_e32 v11, 23, v11
	v_and_or_b32 v0, 0x8000, v0, v12
	v_lshl_or_b32 v11, v0, 16, v11
.LBB304_1133:                           ;   in Loop: Header=BB304_806 Depth=1
	s_or_b32 exec_lo, exec_lo, s18
.LBB304_1134:                           ;   in Loop: Header=BB304_806 Depth=1
	s_or_b32 exec_lo, exec_lo, s17
.LBB304_1135:                           ;   in Loop: Header=BB304_806 Depth=1
	s_or_b32 exec_lo, exec_lo, s16
	v_or_b32_e32 v0, v35, v37
	s_waitcnt vmcnt(0) lgkmcnt(0)
	v_fma_mixlo_f16 v12, v4, v35, 0 op_sel:[0,1,0] op_sel_hi:[0,1,0]
	v_or_b32_e32 v22, v5, v22
	v_fma_mixlo_f16 v5, v4, v5, 0 op_sel:[0,1,0] op_sel_hi:[0,1,0]
	v_or_b32_e32 v35, v48, v38
	v_fma_mixlo_f16 v37, v4, v0, 0 op_sel_hi:[0,1,0]
	v_or_b32_e32 v6, v11, v6
	v_lshlrev_b32_e32 v0, 16, v12
	v_lshlrev_b32_e32 v12, 16, v5
	v_fma_mixlo_f16 v22, v4, v22, 0 op_sel_hi:[0,1,0]
	v_and_b32_e32 v5, 0xffff, v37
	v_fma_mixlo_f16 v37, v4, v48, 0 op_sel:[0,1,0] op_sel_hi:[0,1,0]
	v_fma_mixlo_f16 v35, v4, v35, 0 op_sel_hi:[0,1,0]
	v_fma_mixlo_f16 v11, v4, v11, 0 op_sel:[0,1,0] op_sel_hi:[0,1,0]
	v_fma_mixlo_f16 v38, v4, v6, 0 op_sel_hi:[0,1,0]
	v_and_b32_e32 v51, 0xffff, v22
	v_lshlrev_b32_e32 v6, 16, v37
	v_and_b32_e32 v35, 0xffff, v35
	v_lshlrev_b32_e32 v4, 16, v11
	v_and_b32_e32 v11, 0xffff, v38
	v_or_b32_e32 v22, v0, v5
	v_or_b32_e32 v48, v12, v51
	;; [unrolled: 1-line block ×4, first 2 shown]
	s_and_saveexec_b32 s16, vcc_lo
	s_cbranch_execz .LBB304_1137
; %bb.1136:                             ;   in Loop: Header=BB304_806 Depth=1
	v_cmp_lt_i32_e64 s4, v18, v36
	v_cndmask_b32_e64 v22, 0, v51, s4
	v_cmp_lt_i32_e64 s4, v96, v36
	v_cndmask_b32_e64 v12, 0, v12, s4
	v_cmp_lt_i32_e64 s4, v87, v36
	v_or_b32_e32 v48, v22, v12
	v_cndmask_b32_e64 v5, 0, v5, s4
	v_cmp_lt_i32_e64 s4, v86, v36
	v_cndmask_b32_e64 v0, 0, v0, s4
	v_cmp_lt_i32_e64 s4, v84, v36
	v_or_b32_e32 v22, v5, v0
	v_cndmask_b32_e64 v35, 0, v35, s4
	v_cmp_lt_i32_e64 s4, v83, v36
	v_cndmask_b32_e64 v6, 0, v6, s4
	v_cmp_lt_i32_e64 s4, v81, v36
	v_or_b32_e32 v38, v35, v6
	v_cndmask_b32_e64 v11, 0, v11, s4
	v_cmp_lt_i32_e64 s4, v71, v36
	v_cndmask_b32_e64 v4, 0, v4, s4
	v_or_b32_e32 v37, v11, v4
.LBB304_1137:                           ;   in Loop: Header=BB304_806 Depth=1
	s_or_b32 exec_lo, exec_lo, s16
	;;#ASMSTART
	v_pk_mul_f16 v0, v85, v48;

	;;#ASMEND
	;;#ASMSTART
	v_pk_mul_f16 v4, v82, v22;

	;;#ASMEND
	;; [unrolled: 4-line block ×4, first 2 shown]
	;;#ASMSTART
	v_pk_add_f16 v0, v0, v4;

	;;#ASMEND
	;;#ASMSTART
	v_pk_add_f16 v0, v0, v5;

	;;#ASMEND
	;; [unrolled: 4-line block ×3, first 2 shown]
	v_and_b32_e32 v4, 0xffff, v0
	v_lshrrev_b32_e32 v0, 16, v0
	;;#ASMSTART
	v_cvt_f32_f16 v103, v4;
	;;#ASMEND
	;;#ASMSTART
	v_cvt_f32_f16 v112, v0;
	;;#ASMEND
	flat_load_dwordx2 v[11:12], v[9:10] offset:1280
	flat_load_dword v4, v[26:27]
	v_mov_b32_e32 v5, 0
	v_mov_b32_e32 v22, 0
	s_waitcnt vmcnt(1) lgkmcnt(1)
	v_cmp_ne_u16_sdwa s4, v11, v1 src0_sel:BYTE_0 src1_sel:DWORD
	s_and_saveexec_b32 s16, s4
	s_cbranch_execz .LBB304_1145
; %bb.1138:                             ;   in Loop: Header=BB304_806 Depth=1
	v_cmp_ne_u16_sdwa s4, v11, v17 src0_sel:BYTE_0 src1_sel:DWORD
	v_mov_b32_e32 v22, 0x8000
	s_and_saveexec_b32 s17, s4
	s_cbranch_execz .LBB304_1144
; %bb.1139:                             ;   in Loop: Header=BB304_806 Depth=1
	v_and_b32_e32 v35, 0x7f, v11
	v_mov_b32_e32 v22, 0x7c01
	s_mov_b32 s18, exec_lo
	v_cmpx_ne_u32_e32 0x7f, v35
	s_cbranch_execz .LBB304_1143
; %bb.1140:                             ;   in Loop: Header=BB304_806 Depth=1
	v_and_b32_e32 v0, 7, v11
	v_lshrrev_b32_e32 v6, 3, v35
	s_mov_b32 s20, exec_lo
	v_cmpx_gt_u32_e32 8, v35
; %bb.1141:                             ;   in Loop: Header=BB304_806 Depth=1
	v_ffbh_u32_e32 v0, v0
	v_min_u32_e32 v0, 32, v0
	v_subrev_nc_u32_e32 v6, 28, v0
	v_lshlrev_b64 v[37:38], v6, v[11:12]
	v_sub_nc_u32_e32 v6, 29, v0
	v_and_b32_e32 v0, 7, v37
; %bb.1142:                             ;   in Loop: Header=BB304_806 Depth=1
	s_or_b32 exec_lo, exec_lo, s20
	v_lshlrev_b32_e32 v22, 8, v11
	v_lshl_add_u32 v6, v6, 10, 0x2000
	v_lshlrev_b32_e32 v0, 7, v0
	v_and_b32_e32 v22, 0x8000, v22
	v_and_b32_e32 v6, 0xfc00, v6
	v_or3_b32 v22, v22, v6, v0
.LBB304_1143:                           ;   in Loop: Header=BB304_806 Depth=1
	s_or_b32 exec_lo, exec_lo, s18
.LBB304_1144:                           ;   in Loop: Header=BB304_806 Depth=1
	s_or_b32 exec_lo, exec_lo, s17
.LBB304_1145:                           ;   in Loop: Header=BB304_806 Depth=1
	s_or_b32 exec_lo, exec_lo, s16
	v_lshrrev_b16 v0, 8, v11
	s_mov_b32 s16, exec_lo
	v_cmpx_ne_u16_e32 0, v0
	s_cbranch_execz .LBB304_1153
; %bb.1146:                             ;   in Loop: Header=BB304_806 Depth=1
	v_bfrev_b32_e32 v5, 1
	s_mov_b32 s17, exec_lo
	v_cmpx_ne_u16_e32 0x80, v0
	s_cbranch_execz .LBB304_1152
; %bb.1147:                             ;   in Loop: Header=BB304_806 Depth=1
	v_and_b32_sdwa v35, v0, v53 dst_sel:DWORD dst_unused:UNUSED_PAD src0_sel:WORD_0 src1_sel:DWORD
	v_mov_b32_e32 v5, 0x7c010000
	s_mov_b32 s18, exec_lo
	v_cmpx_ne_u32_e32 0x7f, v35
	s_cbranch_execz .LBB304_1151
; %bb.1148:                             ;   in Loop: Header=BB304_806 Depth=1
	v_and_b32_sdwa v5, v0, v54 dst_sel:DWORD dst_unused:UNUSED_PAD src0_sel:WORD_0 src1_sel:DWORD
	v_lshrrev_b32_e32 v6, 3, v35
	s_mov_b32 s20, exec_lo
	v_cmpx_gt_u32_e32 8, v35
; %bb.1149:                             ;   in Loop: Header=BB304_806 Depth=1
	v_ffbh_u32_e32 v5, v5
	v_min_u32_e32 v35, 32, v5
	v_subrev_nc_u32_e32 v5, 28, v35
	v_lshlrev_b64 v[5:6], v5, v[0:1]
	v_sub_nc_u32_e32 v6, 29, v35
	v_and_b32_e32 v5, 7, v5
; %bb.1150:                             ;   in Loop: Header=BB304_806 Depth=1
	s_or_b32 exec_lo, exec_lo, s20
	v_lshlrev_b32_sdwa v0, v67, v0 dst_sel:DWORD dst_unused:UNUSED_PAD src0_sel:DWORD src1_sel:WORD_0
	v_lshl_add_u32 v6, v6, 10, 0x2000
	v_lshlrev_b32_e32 v5, 23, v5
	v_and_or_b32 v0, 0x8000, v0, v6
	v_lshl_or_b32 v5, v0, 16, v5
.LBB304_1151:                           ;   in Loop: Header=BB304_806 Depth=1
	s_or_b32 exec_lo, exec_lo, s18
.LBB304_1152:                           ;   in Loop: Header=BB304_806 Depth=1
	s_or_b32 exec_lo, exec_lo, s17
.LBB304_1153:                           ;   in Loop: Header=BB304_806 Depth=1
	s_or_b32 exec_lo, exec_lo, s16
	v_lshrrev_b32_e32 v0, 16, v11
	v_mov_b32_e32 v35, 0
	v_mov_b32_e32 v37, 0
	v_cmp_ne_u16_sdwa s4, v0, v1 src0_sel:BYTE_0 src1_sel:DWORD
	s_and_saveexec_b32 s16, s4
	s_cbranch_execz .LBB304_1161
; %bb.1154:                             ;   in Loop: Header=BB304_806 Depth=1
	v_cmp_ne_u16_sdwa s4, v0, v17 src0_sel:BYTE_0 src1_sel:DWORD
	v_mov_b32_e32 v37, 0x8000
	s_and_saveexec_b32 s17, s4
	s_cbranch_execz .LBB304_1160
; %bb.1155:                             ;   in Loop: Header=BB304_806 Depth=1
	v_bfe_u32 v38, v11, 16, 7
	v_mov_b32_e32 v37, 0x7c01
	s_mov_b32 s18, exec_lo
	v_cmpx_ne_u32_e32 0x7f, v38
	s_cbranch_execz .LBB304_1159
; %bb.1156:                             ;   in Loop: Header=BB304_806 Depth=1
	v_and_b32_e32 v6, 7, v0
	v_lshrrev_b32_e32 v37, 3, v38
	s_mov_b32 s20, exec_lo
	v_cmpx_gt_u32_e32 8, v38
; %bb.1157:                             ;   in Loop: Header=BB304_806 Depth=1
	v_ffbh_u32_e32 v6, v6
	v_min_u32_e32 v6, 32, v6
	v_subrev_nc_u32_e32 v37, 28, v6
	v_lshlrev_b64 v[48:49], v37, v[0:1]
	v_sub_nc_u32_e32 v37, 29, v6
	v_and_b32_e32 v6, 7, v48
; %bb.1158:                             ;   in Loop: Header=BB304_806 Depth=1
	s_or_b32 exec_lo, exec_lo, s20
	v_lshlrev_b32_e32 v0, 8, v0
	v_lshl_add_u32 v37, v37, 10, 0x2000
	v_lshlrev_b32_e32 v6, 7, v6
	v_and_b32_e32 v0, 0x8000, v0
	v_and_b32_e32 v37, 0xfc00, v37
	v_or3_b32 v37, v0, v37, v6
.LBB304_1159:                           ;   in Loop: Header=BB304_806 Depth=1
	s_or_b32 exec_lo, exec_lo, s18
.LBB304_1160:                           ;   in Loop: Header=BB304_806 Depth=1
	s_or_b32 exec_lo, exec_lo, s17
.LBB304_1161:                           ;   in Loop: Header=BB304_806 Depth=1
	s_or_b32 exec_lo, exec_lo, s16
	s_mov_b32 s16, exec_lo
	v_cmpx_lt_u32_e32 0xffffff, v11
	s_cbranch_execz .LBB304_1169
; %bb.1162:                             ;   in Loop: Header=BB304_806 Depth=1
	v_lshrrev_b32_e32 v0, 24, v11
	v_bfrev_b32_e32 v35, 1
	s_mov_b32 s17, exec_lo
	v_cmpx_ne_u32_e32 0x80, v0
	s_cbranch_execz .LBB304_1168
; %bb.1163:                             ;   in Loop: Header=BB304_806 Depth=1
	v_and_b32_e32 v38, 0x7f, v0
	v_mov_b32_e32 v35, 0x7c010000
	s_mov_b32 s18, exec_lo
	v_cmpx_ne_u32_e32 0x7f, v38
	s_cbranch_execz .LBB304_1167
; %bb.1164:                             ;   in Loop: Header=BB304_806 Depth=1
	v_and_b32_e32 v6, 7, v0
	v_lshrrev_b32_e32 v35, 3, v38
	s_mov_b32 s20, exec_lo
	v_cmpx_gt_u32_e32 8, v38
; %bb.1165:                             ;   in Loop: Header=BB304_806 Depth=1
	v_ffbh_u32_e32 v6, v6
	v_min_u32_e32 v6, 32, v6
	v_subrev_nc_u32_e32 v35, 28, v6
	v_lshlrev_b64 v[48:49], v35, v[0:1]
	v_sub_nc_u32_e32 v35, 29, v6
	v_and_b32_e32 v6, 7, v48
; %bb.1166:                             ;   in Loop: Header=BB304_806 Depth=1
	s_or_b32 exec_lo, exec_lo, s20
	v_lshlrev_b32_e32 v0, 8, v0
	v_lshl_add_u32 v35, v35, 10, 0x2000
	v_lshlrev_b32_e32 v6, 23, v6
	v_and_or_b32 v0, 0x8000, v0, v35
	v_lshl_or_b32 v35, v0, 16, v6
.LBB304_1167:                           ;   in Loop: Header=BB304_806 Depth=1
	s_or_b32 exec_lo, exec_lo, s18
.LBB304_1168:                           ;   in Loop: Header=BB304_806 Depth=1
	s_or_b32 exec_lo, exec_lo, s17
.LBB304_1169:                           ;   in Loop: Header=BB304_806 Depth=1
	s_or_b32 exec_lo, exec_lo, s16
	v_mov_b32_e32 v0, v12
	v_cmp_ne_u16_sdwa s4, v12, v1 src0_sel:BYTE_0 src1_sel:DWORD
	v_mov_b32_e32 v6, 0
	v_mov_b32_e32 v38, 0
	s_and_saveexec_b32 s16, s4
	s_cbranch_execz .LBB304_1177
; %bb.1170:                             ;   in Loop: Header=BB304_806 Depth=1
	v_cmp_ne_u16_sdwa s4, v12, v17 src0_sel:BYTE_0 src1_sel:DWORD
	v_mov_b32_e32 v38, 0x8000
	s_and_saveexec_b32 s17, s4
	s_cbranch_execz .LBB304_1176
; %bb.1171:                             ;   in Loop: Header=BB304_806 Depth=1
	v_and_b32_e32 v51, 0x7f, v12
	v_mov_b32_e32 v38, 0x7c01
	s_mov_b32 s18, exec_lo
	v_cmpx_ne_u32_e32 0x7f, v51
	s_cbranch_execz .LBB304_1175
; %bb.1172:                             ;   in Loop: Header=BB304_806 Depth=1
	v_and_b32_e32 v38, 7, v12
	v_lshrrev_b32_e32 v48, 3, v51
	s_mov_b32 s20, exec_lo
	v_cmpx_gt_u32_e32 8, v51
; %bb.1173:                             ;   in Loop: Header=BB304_806 Depth=1
	v_ffbh_u32_e32 v38, v38
	v_min_u32_e32 v38, 32, v38
	v_subrev_nc_u32_e32 v48, 28, v38
	v_lshlrev_b64 v[49:50], v48, v[0:1]
	v_sub_nc_u32_e32 v48, 29, v38
	v_and_b32_e32 v38, 7, v49
; %bb.1174:                             ;   in Loop: Header=BB304_806 Depth=1
	s_or_b32 exec_lo, exec_lo, s20
	v_lshlrev_b32_e32 v49, 8, v12
	v_lshl_add_u32 v48, v48, 10, 0x2000
	v_lshlrev_b32_e32 v38, 7, v38
	v_and_b32_e32 v49, 0x8000, v49
	v_and_b32_e32 v48, 0xfc00, v48
	v_or3_b32 v38, v49, v48, v38
.LBB304_1175:                           ;   in Loop: Header=BB304_806 Depth=1
	s_or_b32 exec_lo, exec_lo, s18
.LBB304_1176:                           ;   in Loop: Header=BB304_806 Depth=1
	s_or_b32 exec_lo, exec_lo, s17
.LBB304_1177:                           ;   in Loop: Header=BB304_806 Depth=1
	s_or_b32 exec_lo, exec_lo, s16
	v_lshrrev_b16 v0, 8, v0
	v_mov_b32_e32 v48, 0
	s_mov_b32 s16, exec_lo
	v_cmpx_ne_u16_e32 0, v0
	s_cbranch_execz .LBB304_1185
; %bb.1178:                             ;   in Loop: Header=BB304_806 Depth=1
	v_bfrev_b32_e32 v48, 1
	s_mov_b32 s17, exec_lo
	v_cmpx_ne_u16_e32 0x80, v0
	s_cbranch_execz .LBB304_1184
; %bb.1179:                             ;   in Loop: Header=BB304_806 Depth=1
	v_and_b32_sdwa v113, v0, v53 dst_sel:DWORD dst_unused:UNUSED_PAD src0_sel:WORD_0 src1_sel:DWORD
	v_mov_b32_e32 v48, 0x7c010000
	s_mov_b32 s18, exec_lo
	v_cmpx_ne_u32_e32 0x7f, v113
	s_cbranch_execz .LBB304_1183
; %bb.1180:                             ;   in Loop: Header=BB304_806 Depth=1
	v_and_b32_sdwa v48, v0, v54 dst_sel:DWORD dst_unused:UNUSED_PAD src0_sel:WORD_0 src1_sel:DWORD
	v_lshrrev_b32_e32 v51, 3, v113
	s_mov_b32 s20, exec_lo
	v_cmpx_gt_u32_e32 8, v113
; %bb.1181:                             ;   in Loop: Header=BB304_806 Depth=1
	v_ffbh_u32_e32 v48, v48
	v_min_u32_e32 v50, 32, v48
	v_subrev_nc_u32_e32 v48, 28, v50
	v_sub_nc_u32_e32 v51, 29, v50
	v_lshlrev_b64 v[48:49], v48, v[0:1]
	v_and_b32_e32 v48, 7, v48
; %bb.1182:                             ;   in Loop: Header=BB304_806 Depth=1
	s_or_b32 exec_lo, exec_lo, s20
	v_lshlrev_b32_sdwa v0, v67, v0 dst_sel:DWORD dst_unused:UNUSED_PAD src0_sel:DWORD src1_sel:WORD_0
	v_lshl_add_u32 v49, v51, 10, 0x2000
	v_lshlrev_b32_e32 v48, 23, v48
	v_and_or_b32 v0, 0x8000, v0, v49
	v_lshl_or_b32 v48, v0, 16, v48
.LBB304_1183:                           ;   in Loop: Header=BB304_806 Depth=1
	s_or_b32 exec_lo, exec_lo, s18
.LBB304_1184:                           ;   in Loop: Header=BB304_806 Depth=1
	s_or_b32 exec_lo, exec_lo, s17
.LBB304_1185:                           ;   in Loop: Header=BB304_806 Depth=1
	s_or_b32 exec_lo, exec_lo, s16
	v_lshrrev_b32_e32 v0, 16, v12
	v_cmp_ne_u16_sdwa s4, v0, v1 src0_sel:BYTE_0 src1_sel:DWORD
	s_and_saveexec_b32 s16, s4
	s_cbranch_execz .LBB304_1193
; %bb.1186:                             ;   in Loop: Header=BB304_806 Depth=1
	v_cmp_ne_u16_sdwa s4, v0, v17 src0_sel:BYTE_0 src1_sel:DWORD
	v_mov_b32_e32 v6, 0x8000
	s_and_saveexec_b32 s17, s4
	s_cbranch_execz .LBB304_1192
; %bb.1187:                             ;   in Loop: Header=BB304_806 Depth=1
	v_bfe_u32 v113, v12, 16, 7
	v_mov_b32_e32 v6, 0x7c01
	s_mov_b32 s18, exec_lo
	v_cmpx_ne_u32_e32 0x7f, v113
	s_cbranch_execz .LBB304_1191
; %bb.1188:                             ;   in Loop: Header=BB304_806 Depth=1
	v_and_b32_e32 v6, 7, v0
	v_lshrrev_b32_e32 v51, 3, v113
	s_mov_b32 s20, exec_lo
	v_cmpx_gt_u32_e32 8, v113
; %bb.1189:                             ;   in Loop: Header=BB304_806 Depth=1
	v_ffbh_u32_e32 v6, v6
	v_min_u32_e32 v6, 32, v6
	v_subrev_nc_u32_e32 v49, 28, v6
	v_sub_nc_u32_e32 v51, 29, v6
	v_lshlrev_b64 v[49:50], v49, v[0:1]
	v_and_b32_e32 v6, 7, v49
; %bb.1190:                             ;   in Loop: Header=BB304_806 Depth=1
	s_or_b32 exec_lo, exec_lo, s20
	v_lshlrev_b32_e32 v0, 8, v0
	v_lshl_add_u32 v49, v51, 10, 0x2000
	v_lshlrev_b32_e32 v6, 7, v6
	v_and_b32_e32 v0, 0x8000, v0
	v_and_b32_e32 v49, 0xfc00, v49
	v_or3_b32 v6, v0, v49, v6
.LBB304_1191:                           ;   in Loop: Header=BB304_806 Depth=1
	s_or_b32 exec_lo, exec_lo, s18
.LBB304_1192:                           ;   in Loop: Header=BB304_806 Depth=1
	s_or_b32 exec_lo, exec_lo, s17
.LBB304_1193:                           ;   in Loop: Header=BB304_806 Depth=1
	s_or_b32 exec_lo, exec_lo, s16
	v_cmp_lt_u64_e64 s4, s[12:13], v[11:12]
	v_mov_b32_e32 v11, 0
	s_and_saveexec_b32 s16, s4
	s_cbranch_execz .LBB304_1201
; %bb.1194:                             ;   in Loop: Header=BB304_806 Depth=1
	v_lshrrev_b32_e32 v0, 24, v12
	v_bfrev_b32_e32 v11, 1
	s_mov_b32 s17, exec_lo
	v_cmpx_ne_u32_e32 0x80, v0
	s_cbranch_execz .LBB304_1200
; %bb.1195:                             ;   in Loop: Header=BB304_806 Depth=1
	v_and_b32_e32 v51, 0x7f, v0
	v_mov_b32_e32 v11, 0x7c010000
	s_mov_b32 s18, exec_lo
	v_cmpx_ne_u32_e32 0x7f, v51
	s_cbranch_execz .LBB304_1199
; %bb.1196:                             ;   in Loop: Header=BB304_806 Depth=1
	v_and_b32_e32 v11, 7, v0
	v_lshrrev_b32_e32 v12, 3, v51
	s_mov_b32 s20, exec_lo
	v_cmpx_gt_u32_e32 8, v51
; %bb.1197:                             ;   in Loop: Header=BB304_806 Depth=1
	v_ffbh_u32_e32 v11, v11
	v_min_u32_e32 v49, 32, v11
	v_subrev_nc_u32_e32 v11, 28, v49
	v_lshlrev_b64 v[11:12], v11, v[0:1]
	v_sub_nc_u32_e32 v12, 29, v49
	v_and_b32_e32 v11, 7, v11
; %bb.1198:                             ;   in Loop: Header=BB304_806 Depth=1
	s_or_b32 exec_lo, exec_lo, s20
	v_lshlrev_b32_e32 v0, 8, v0
	v_lshl_add_u32 v12, v12, 10, 0x2000
	v_lshlrev_b32_e32 v11, 23, v11
	v_and_or_b32 v0, 0x8000, v0, v12
	v_lshl_or_b32 v11, v0, 16, v11
.LBB304_1199:                           ;   in Loop: Header=BB304_806 Depth=1
	s_or_b32 exec_lo, exec_lo, s18
.LBB304_1200:                           ;   in Loop: Header=BB304_806 Depth=1
	s_or_b32 exec_lo, exec_lo, s17
.LBB304_1201:                           ;   in Loop: Header=BB304_806 Depth=1
	s_or_b32 exec_lo, exec_lo, s16
	v_or_b32_e32 v0, v35, v37
	s_waitcnt vmcnt(0) lgkmcnt(0)
	v_fma_mixlo_f16 v12, v4, v35, 0 op_sel:[0,1,0] op_sel_hi:[0,1,0]
	v_or_b32_e32 v22, v5, v22
	v_fma_mixlo_f16 v5, v4, v5, 0 op_sel:[0,1,0] op_sel_hi:[0,1,0]
	v_or_b32_e32 v35, v48, v38
	v_fma_mixlo_f16 v37, v4, v0, 0 op_sel_hi:[0,1,0]
	v_or_b32_e32 v6, v11, v6
	v_lshlrev_b32_e32 v0, 16, v12
	v_lshlrev_b32_e32 v12, 16, v5
	v_fma_mixlo_f16 v22, v4, v22, 0 op_sel_hi:[0,1,0]
	v_and_b32_e32 v5, 0xffff, v37
	v_fma_mixlo_f16 v37, v4, v48, 0 op_sel:[0,1,0] op_sel_hi:[0,1,0]
	v_fma_mixlo_f16 v35, v4, v35, 0 op_sel_hi:[0,1,0]
	v_fma_mixlo_f16 v11, v4, v11, 0 op_sel:[0,1,0] op_sel_hi:[0,1,0]
	v_fma_mixlo_f16 v38, v4, v6, 0 op_sel_hi:[0,1,0]
	v_and_b32_e32 v51, 0xffff, v22
	v_lshlrev_b32_e32 v6, 16, v37
	v_and_b32_e32 v35, 0xffff, v35
	v_lshlrev_b32_e32 v4, 16, v11
	v_and_b32_e32 v11, 0xffff, v38
	v_or_b32_e32 v22, v0, v5
	v_or_b32_e32 v48, v12, v51
	v_or_b32_e32 v38, v6, v35
	v_or_b32_e32 v37, v4, v11
	s_and_saveexec_b32 s16, vcc_lo
	s_cbranch_execz .LBB304_1203
; %bb.1202:                             ;   in Loop: Header=BB304_806 Depth=1
	v_cmp_lt_i32_e64 s4, v18, v36
	v_cndmask_b32_e64 v22, 0, v51, s4
	v_cmp_lt_i32_e64 s4, v96, v36
	v_cndmask_b32_e64 v12, 0, v12, s4
	v_cmp_lt_i32_e64 s4, v87, v36
	v_or_b32_e32 v48, v22, v12
	v_cndmask_b32_e64 v5, 0, v5, s4
	v_cmp_lt_i32_e64 s4, v86, v36
	v_cndmask_b32_e64 v0, 0, v0, s4
	v_cmp_lt_i32_e64 s4, v84, v36
	v_or_b32_e32 v22, v5, v0
	;; [unrolled: 5-line block ×3, first 2 shown]
	v_cndmask_b32_e64 v11, 0, v11, s4
	v_cmp_lt_i32_e64 s4, v71, v36
	v_cndmask_b32_e64 v4, 0, v4, s4
	v_or_b32_e32 v37, v11, v4
.LBB304_1203:                           ;   in Loop: Header=BB304_806 Depth=1
	s_or_b32 exec_lo, exec_lo, s16
	;;#ASMSTART
	v_pk_mul_f16 v0, v85, v48;

	;;#ASMEND
	;;#ASMSTART
	v_pk_mul_f16 v4, v82, v22;

	;;#ASMEND
	;; [unrolled: 4-line block ×4, first 2 shown]
	;;#ASMSTART
	v_pk_add_f16 v0, v0, v4;

	;;#ASMEND
	;;#ASMSTART
	v_pk_add_f16 v0, v0, v5;

	;;#ASMEND
	;; [unrolled: 4-line block ×3, first 2 shown]
	v_and_b32_e32 v4, 0xffff, v0
	v_lshrrev_b32_e32 v0, 16, v0
	;;#ASMSTART
	v_cvt_f32_f16 v113, v4;
	;;#ASMEND
	;;#ASMSTART
	v_cvt_f32_f16 v114, v0;
	;;#ASMEND
	flat_load_dwordx2 v[11:12], v[9:10] offset:1536
	flat_load_dword v4, v[26:27]
	v_mov_b32_e32 v5, 0
	v_mov_b32_e32 v22, 0
	s_waitcnt vmcnt(1) lgkmcnt(1)
	v_cmp_ne_u16_sdwa s4, v11, v1 src0_sel:BYTE_0 src1_sel:DWORD
	s_and_saveexec_b32 s16, s4
	s_cbranch_execz .LBB304_1211
; %bb.1204:                             ;   in Loop: Header=BB304_806 Depth=1
	v_cmp_ne_u16_sdwa s4, v11, v17 src0_sel:BYTE_0 src1_sel:DWORD
	v_mov_b32_e32 v22, 0x8000
	s_and_saveexec_b32 s17, s4
	s_cbranch_execz .LBB304_1210
; %bb.1205:                             ;   in Loop: Header=BB304_806 Depth=1
	v_and_b32_e32 v35, 0x7f, v11
	v_mov_b32_e32 v22, 0x7c01
	s_mov_b32 s18, exec_lo
	v_cmpx_ne_u32_e32 0x7f, v35
	s_cbranch_execz .LBB304_1209
; %bb.1206:                             ;   in Loop: Header=BB304_806 Depth=1
	v_and_b32_e32 v0, 7, v11
	v_lshrrev_b32_e32 v6, 3, v35
	s_mov_b32 s20, exec_lo
	v_cmpx_gt_u32_e32 8, v35
; %bb.1207:                             ;   in Loop: Header=BB304_806 Depth=1
	v_ffbh_u32_e32 v0, v0
	v_min_u32_e32 v0, 32, v0
	v_subrev_nc_u32_e32 v6, 28, v0
	v_lshlrev_b64 v[37:38], v6, v[11:12]
	v_sub_nc_u32_e32 v6, 29, v0
	v_and_b32_e32 v0, 7, v37
; %bb.1208:                             ;   in Loop: Header=BB304_806 Depth=1
	s_or_b32 exec_lo, exec_lo, s20
	v_lshlrev_b32_e32 v22, 8, v11
	v_lshl_add_u32 v6, v6, 10, 0x2000
	v_lshlrev_b32_e32 v0, 7, v0
	v_and_b32_e32 v22, 0x8000, v22
	v_and_b32_e32 v6, 0xfc00, v6
	v_or3_b32 v22, v22, v6, v0
.LBB304_1209:                           ;   in Loop: Header=BB304_806 Depth=1
	s_or_b32 exec_lo, exec_lo, s18
.LBB304_1210:                           ;   in Loop: Header=BB304_806 Depth=1
	s_or_b32 exec_lo, exec_lo, s17
.LBB304_1211:                           ;   in Loop: Header=BB304_806 Depth=1
	s_or_b32 exec_lo, exec_lo, s16
	v_lshrrev_b16 v0, 8, v11
	s_mov_b32 s16, exec_lo
	v_cmpx_ne_u16_e32 0, v0
	s_cbranch_execz .LBB304_1219
; %bb.1212:                             ;   in Loop: Header=BB304_806 Depth=1
	v_bfrev_b32_e32 v5, 1
	s_mov_b32 s17, exec_lo
	v_cmpx_ne_u16_e32 0x80, v0
	s_cbranch_execz .LBB304_1218
; %bb.1213:                             ;   in Loop: Header=BB304_806 Depth=1
	v_and_b32_sdwa v35, v0, v53 dst_sel:DWORD dst_unused:UNUSED_PAD src0_sel:WORD_0 src1_sel:DWORD
	v_mov_b32_e32 v5, 0x7c010000
	s_mov_b32 s18, exec_lo
	v_cmpx_ne_u32_e32 0x7f, v35
	s_cbranch_execz .LBB304_1217
; %bb.1214:                             ;   in Loop: Header=BB304_806 Depth=1
	v_and_b32_sdwa v5, v0, v54 dst_sel:DWORD dst_unused:UNUSED_PAD src0_sel:WORD_0 src1_sel:DWORD
	v_lshrrev_b32_e32 v6, 3, v35
	s_mov_b32 s20, exec_lo
	v_cmpx_gt_u32_e32 8, v35
; %bb.1215:                             ;   in Loop: Header=BB304_806 Depth=1
	v_ffbh_u32_e32 v5, v5
	v_min_u32_e32 v35, 32, v5
	v_subrev_nc_u32_e32 v5, 28, v35
	v_lshlrev_b64 v[5:6], v5, v[0:1]
	v_sub_nc_u32_e32 v6, 29, v35
	v_and_b32_e32 v5, 7, v5
; %bb.1216:                             ;   in Loop: Header=BB304_806 Depth=1
	s_or_b32 exec_lo, exec_lo, s20
	v_lshlrev_b32_sdwa v0, v67, v0 dst_sel:DWORD dst_unused:UNUSED_PAD src0_sel:DWORD src1_sel:WORD_0
	v_lshl_add_u32 v6, v6, 10, 0x2000
	v_lshlrev_b32_e32 v5, 23, v5
	v_and_or_b32 v0, 0x8000, v0, v6
	v_lshl_or_b32 v5, v0, 16, v5
.LBB304_1217:                           ;   in Loop: Header=BB304_806 Depth=1
	s_or_b32 exec_lo, exec_lo, s18
.LBB304_1218:                           ;   in Loop: Header=BB304_806 Depth=1
	s_or_b32 exec_lo, exec_lo, s17
.LBB304_1219:                           ;   in Loop: Header=BB304_806 Depth=1
	s_or_b32 exec_lo, exec_lo, s16
	v_lshrrev_b32_e32 v0, 16, v11
	v_mov_b32_e32 v35, 0
	v_mov_b32_e32 v37, 0
	v_cmp_ne_u16_sdwa s4, v0, v1 src0_sel:BYTE_0 src1_sel:DWORD
	s_and_saveexec_b32 s16, s4
	s_cbranch_execz .LBB304_1227
; %bb.1220:                             ;   in Loop: Header=BB304_806 Depth=1
	v_cmp_ne_u16_sdwa s4, v0, v17 src0_sel:BYTE_0 src1_sel:DWORD
	v_mov_b32_e32 v37, 0x8000
	s_and_saveexec_b32 s17, s4
	s_cbranch_execz .LBB304_1226
; %bb.1221:                             ;   in Loop: Header=BB304_806 Depth=1
	v_bfe_u32 v38, v11, 16, 7
	v_mov_b32_e32 v37, 0x7c01
	s_mov_b32 s18, exec_lo
	v_cmpx_ne_u32_e32 0x7f, v38
	s_cbranch_execz .LBB304_1225
; %bb.1222:                             ;   in Loop: Header=BB304_806 Depth=1
	v_and_b32_e32 v6, 7, v0
	v_lshrrev_b32_e32 v37, 3, v38
	s_mov_b32 s20, exec_lo
	v_cmpx_gt_u32_e32 8, v38
; %bb.1223:                             ;   in Loop: Header=BB304_806 Depth=1
	v_ffbh_u32_e32 v6, v6
	v_min_u32_e32 v6, 32, v6
	v_subrev_nc_u32_e32 v37, 28, v6
	v_lshlrev_b64 v[48:49], v37, v[0:1]
	v_sub_nc_u32_e32 v37, 29, v6
	v_and_b32_e32 v6, 7, v48
; %bb.1224:                             ;   in Loop: Header=BB304_806 Depth=1
	s_or_b32 exec_lo, exec_lo, s20
	v_lshlrev_b32_e32 v0, 8, v0
	v_lshl_add_u32 v37, v37, 10, 0x2000
	v_lshlrev_b32_e32 v6, 7, v6
	v_and_b32_e32 v0, 0x8000, v0
	v_and_b32_e32 v37, 0xfc00, v37
	v_or3_b32 v37, v0, v37, v6
.LBB304_1225:                           ;   in Loop: Header=BB304_806 Depth=1
	s_or_b32 exec_lo, exec_lo, s18
.LBB304_1226:                           ;   in Loop: Header=BB304_806 Depth=1
	s_or_b32 exec_lo, exec_lo, s17
.LBB304_1227:                           ;   in Loop: Header=BB304_806 Depth=1
	s_or_b32 exec_lo, exec_lo, s16
	s_mov_b32 s16, exec_lo
	v_cmpx_lt_u32_e32 0xffffff, v11
	s_cbranch_execz .LBB304_1235
; %bb.1228:                             ;   in Loop: Header=BB304_806 Depth=1
	v_lshrrev_b32_e32 v0, 24, v11
	v_bfrev_b32_e32 v35, 1
	s_mov_b32 s17, exec_lo
	v_cmpx_ne_u32_e32 0x80, v0
	s_cbranch_execz .LBB304_1234
; %bb.1229:                             ;   in Loop: Header=BB304_806 Depth=1
	v_and_b32_e32 v38, 0x7f, v0
	v_mov_b32_e32 v35, 0x7c010000
	s_mov_b32 s18, exec_lo
	v_cmpx_ne_u32_e32 0x7f, v38
	s_cbranch_execz .LBB304_1233
; %bb.1230:                             ;   in Loop: Header=BB304_806 Depth=1
	v_and_b32_e32 v6, 7, v0
	v_lshrrev_b32_e32 v35, 3, v38
	s_mov_b32 s20, exec_lo
	v_cmpx_gt_u32_e32 8, v38
; %bb.1231:                             ;   in Loop: Header=BB304_806 Depth=1
	v_ffbh_u32_e32 v6, v6
	v_min_u32_e32 v6, 32, v6
	v_subrev_nc_u32_e32 v35, 28, v6
	v_lshlrev_b64 v[48:49], v35, v[0:1]
	v_sub_nc_u32_e32 v35, 29, v6
	v_and_b32_e32 v6, 7, v48
; %bb.1232:                             ;   in Loop: Header=BB304_806 Depth=1
	s_or_b32 exec_lo, exec_lo, s20
	v_lshlrev_b32_e32 v0, 8, v0
	v_lshl_add_u32 v35, v35, 10, 0x2000
	v_lshlrev_b32_e32 v6, 23, v6
	v_and_or_b32 v0, 0x8000, v0, v35
	v_lshl_or_b32 v35, v0, 16, v6
.LBB304_1233:                           ;   in Loop: Header=BB304_806 Depth=1
	s_or_b32 exec_lo, exec_lo, s18
.LBB304_1234:                           ;   in Loop: Header=BB304_806 Depth=1
	s_or_b32 exec_lo, exec_lo, s17
.LBB304_1235:                           ;   in Loop: Header=BB304_806 Depth=1
	s_or_b32 exec_lo, exec_lo, s16
	v_mov_b32_e32 v0, v12
	v_cmp_ne_u16_sdwa s4, v12, v1 src0_sel:BYTE_0 src1_sel:DWORD
	v_mov_b32_e32 v6, 0
	v_mov_b32_e32 v38, 0
	s_and_saveexec_b32 s16, s4
	s_cbranch_execz .LBB304_1243
; %bb.1236:                             ;   in Loop: Header=BB304_806 Depth=1
	v_cmp_ne_u16_sdwa s4, v12, v17 src0_sel:BYTE_0 src1_sel:DWORD
	v_mov_b32_e32 v38, 0x8000
	s_and_saveexec_b32 s17, s4
	s_cbranch_execz .LBB304_1242
; %bb.1237:                             ;   in Loop: Header=BB304_806 Depth=1
	v_and_b32_e32 v51, 0x7f, v12
	v_mov_b32_e32 v38, 0x7c01
	s_mov_b32 s18, exec_lo
	v_cmpx_ne_u32_e32 0x7f, v51
	s_cbranch_execz .LBB304_1241
; %bb.1238:                             ;   in Loop: Header=BB304_806 Depth=1
	v_and_b32_e32 v38, 7, v12
	v_lshrrev_b32_e32 v48, 3, v51
	s_mov_b32 s20, exec_lo
	v_cmpx_gt_u32_e32 8, v51
; %bb.1239:                             ;   in Loop: Header=BB304_806 Depth=1
	v_ffbh_u32_e32 v38, v38
	v_min_u32_e32 v38, 32, v38
	v_subrev_nc_u32_e32 v48, 28, v38
	v_lshlrev_b64 v[49:50], v48, v[0:1]
	v_sub_nc_u32_e32 v48, 29, v38
	v_and_b32_e32 v38, 7, v49
; %bb.1240:                             ;   in Loop: Header=BB304_806 Depth=1
	s_or_b32 exec_lo, exec_lo, s20
	v_lshlrev_b32_e32 v49, 8, v12
	v_lshl_add_u32 v48, v48, 10, 0x2000
	v_lshlrev_b32_e32 v38, 7, v38
	v_and_b32_e32 v49, 0x8000, v49
	v_and_b32_e32 v48, 0xfc00, v48
	v_or3_b32 v38, v49, v48, v38
.LBB304_1241:                           ;   in Loop: Header=BB304_806 Depth=1
	s_or_b32 exec_lo, exec_lo, s18
.LBB304_1242:                           ;   in Loop: Header=BB304_806 Depth=1
	s_or_b32 exec_lo, exec_lo, s17
.LBB304_1243:                           ;   in Loop: Header=BB304_806 Depth=1
	s_or_b32 exec_lo, exec_lo, s16
	v_lshrrev_b16 v0, 8, v0
	v_mov_b32_e32 v48, 0
	s_mov_b32 s16, exec_lo
	v_cmpx_ne_u16_e32 0, v0
	s_cbranch_execz .LBB304_1251
; %bb.1244:                             ;   in Loop: Header=BB304_806 Depth=1
	v_bfrev_b32_e32 v48, 1
	s_mov_b32 s17, exec_lo
	v_cmpx_ne_u16_e32 0x80, v0
	s_cbranch_execz .LBB304_1250
; %bb.1245:                             ;   in Loop: Header=BB304_806 Depth=1
	v_and_b32_sdwa v115, v0, v53 dst_sel:DWORD dst_unused:UNUSED_PAD src0_sel:WORD_0 src1_sel:DWORD
	v_mov_b32_e32 v48, 0x7c010000
	s_mov_b32 s18, exec_lo
	v_cmpx_ne_u32_e32 0x7f, v115
	s_cbranch_execz .LBB304_1249
; %bb.1246:                             ;   in Loop: Header=BB304_806 Depth=1
	v_and_b32_sdwa v48, v0, v54 dst_sel:DWORD dst_unused:UNUSED_PAD src0_sel:WORD_0 src1_sel:DWORD
	v_lshrrev_b32_e32 v51, 3, v115
	s_mov_b32 s20, exec_lo
	v_cmpx_gt_u32_e32 8, v115
; %bb.1247:                             ;   in Loop: Header=BB304_806 Depth=1
	v_ffbh_u32_e32 v48, v48
	v_min_u32_e32 v50, 32, v48
	v_subrev_nc_u32_e32 v48, 28, v50
	v_sub_nc_u32_e32 v51, 29, v50
	v_lshlrev_b64 v[48:49], v48, v[0:1]
	v_and_b32_e32 v48, 7, v48
; %bb.1248:                             ;   in Loop: Header=BB304_806 Depth=1
	s_or_b32 exec_lo, exec_lo, s20
	v_lshlrev_b32_sdwa v0, v67, v0 dst_sel:DWORD dst_unused:UNUSED_PAD src0_sel:DWORD src1_sel:WORD_0
	v_lshl_add_u32 v49, v51, 10, 0x2000
	v_lshlrev_b32_e32 v48, 23, v48
	v_and_or_b32 v0, 0x8000, v0, v49
	v_lshl_or_b32 v48, v0, 16, v48
.LBB304_1249:                           ;   in Loop: Header=BB304_806 Depth=1
	s_or_b32 exec_lo, exec_lo, s18
.LBB304_1250:                           ;   in Loop: Header=BB304_806 Depth=1
	s_or_b32 exec_lo, exec_lo, s17
.LBB304_1251:                           ;   in Loop: Header=BB304_806 Depth=1
	s_or_b32 exec_lo, exec_lo, s16
	v_lshrrev_b32_e32 v0, 16, v12
	v_cmp_ne_u16_sdwa s4, v0, v1 src0_sel:BYTE_0 src1_sel:DWORD
	s_and_saveexec_b32 s16, s4
	s_cbranch_execz .LBB304_1259
; %bb.1252:                             ;   in Loop: Header=BB304_806 Depth=1
	v_cmp_ne_u16_sdwa s4, v0, v17 src0_sel:BYTE_0 src1_sel:DWORD
	v_mov_b32_e32 v6, 0x8000
	s_and_saveexec_b32 s17, s4
	s_cbranch_execz .LBB304_1258
; %bb.1253:                             ;   in Loop: Header=BB304_806 Depth=1
	v_bfe_u32 v115, v12, 16, 7
	v_mov_b32_e32 v6, 0x7c01
	s_mov_b32 s18, exec_lo
	v_cmpx_ne_u32_e32 0x7f, v115
	s_cbranch_execz .LBB304_1257
; %bb.1254:                             ;   in Loop: Header=BB304_806 Depth=1
	v_and_b32_e32 v6, 7, v0
	v_lshrrev_b32_e32 v51, 3, v115
	s_mov_b32 s20, exec_lo
	v_cmpx_gt_u32_e32 8, v115
; %bb.1255:                             ;   in Loop: Header=BB304_806 Depth=1
	v_ffbh_u32_e32 v6, v6
	v_min_u32_e32 v6, 32, v6
	v_subrev_nc_u32_e32 v49, 28, v6
	v_sub_nc_u32_e32 v51, 29, v6
	v_lshlrev_b64 v[49:50], v49, v[0:1]
	v_and_b32_e32 v6, 7, v49
; %bb.1256:                             ;   in Loop: Header=BB304_806 Depth=1
	s_or_b32 exec_lo, exec_lo, s20
	v_lshlrev_b32_e32 v0, 8, v0
	v_lshl_add_u32 v49, v51, 10, 0x2000
	v_lshlrev_b32_e32 v6, 7, v6
	v_and_b32_e32 v0, 0x8000, v0
	v_and_b32_e32 v49, 0xfc00, v49
	v_or3_b32 v6, v0, v49, v6
.LBB304_1257:                           ;   in Loop: Header=BB304_806 Depth=1
	s_or_b32 exec_lo, exec_lo, s18
.LBB304_1258:                           ;   in Loop: Header=BB304_806 Depth=1
	s_or_b32 exec_lo, exec_lo, s17
.LBB304_1259:                           ;   in Loop: Header=BB304_806 Depth=1
	s_or_b32 exec_lo, exec_lo, s16
	v_cmp_lt_u64_e64 s4, s[12:13], v[11:12]
	v_mov_b32_e32 v11, 0
	s_and_saveexec_b32 s16, s4
	s_cbranch_execz .LBB304_1267
; %bb.1260:                             ;   in Loop: Header=BB304_806 Depth=1
	v_lshrrev_b32_e32 v0, 24, v12
	v_bfrev_b32_e32 v11, 1
	s_mov_b32 s17, exec_lo
	v_cmpx_ne_u32_e32 0x80, v0
	s_cbranch_execz .LBB304_1266
; %bb.1261:                             ;   in Loop: Header=BB304_806 Depth=1
	v_and_b32_e32 v51, 0x7f, v0
	v_mov_b32_e32 v11, 0x7c010000
	s_mov_b32 s18, exec_lo
	v_cmpx_ne_u32_e32 0x7f, v51
	s_cbranch_execz .LBB304_1265
; %bb.1262:                             ;   in Loop: Header=BB304_806 Depth=1
	v_and_b32_e32 v11, 7, v0
	v_lshrrev_b32_e32 v12, 3, v51
	s_mov_b32 s20, exec_lo
	v_cmpx_gt_u32_e32 8, v51
; %bb.1263:                             ;   in Loop: Header=BB304_806 Depth=1
	v_ffbh_u32_e32 v11, v11
	v_min_u32_e32 v49, 32, v11
	v_subrev_nc_u32_e32 v11, 28, v49
	v_lshlrev_b64 v[11:12], v11, v[0:1]
	v_sub_nc_u32_e32 v12, 29, v49
	v_and_b32_e32 v11, 7, v11
; %bb.1264:                             ;   in Loop: Header=BB304_806 Depth=1
	s_or_b32 exec_lo, exec_lo, s20
	v_lshlrev_b32_e32 v0, 8, v0
	v_lshl_add_u32 v12, v12, 10, 0x2000
	v_lshlrev_b32_e32 v11, 23, v11
	v_and_or_b32 v0, 0x8000, v0, v12
	v_lshl_or_b32 v11, v0, 16, v11
.LBB304_1265:                           ;   in Loop: Header=BB304_806 Depth=1
	s_or_b32 exec_lo, exec_lo, s18
.LBB304_1266:                           ;   in Loop: Header=BB304_806 Depth=1
	s_or_b32 exec_lo, exec_lo, s17
.LBB304_1267:                           ;   in Loop: Header=BB304_806 Depth=1
	s_or_b32 exec_lo, exec_lo, s16
	v_or_b32_e32 v0, v35, v37
	s_waitcnt vmcnt(0) lgkmcnt(0)
	v_fma_mixlo_f16 v12, v4, v35, 0 op_sel:[0,1,0] op_sel_hi:[0,1,0]
	v_or_b32_e32 v22, v5, v22
	v_fma_mixlo_f16 v5, v4, v5, 0 op_sel:[0,1,0] op_sel_hi:[0,1,0]
	v_or_b32_e32 v35, v48, v38
	v_fma_mixlo_f16 v37, v4, v0, 0 op_sel_hi:[0,1,0]
	v_or_b32_e32 v6, v11, v6
	v_lshlrev_b32_e32 v0, 16, v12
	v_lshlrev_b32_e32 v12, 16, v5
	v_fma_mixlo_f16 v22, v4, v22, 0 op_sel_hi:[0,1,0]
	v_and_b32_e32 v5, 0xffff, v37
	v_fma_mixlo_f16 v37, v4, v48, 0 op_sel:[0,1,0] op_sel_hi:[0,1,0]
	v_fma_mixlo_f16 v35, v4, v35, 0 op_sel_hi:[0,1,0]
	v_fma_mixlo_f16 v11, v4, v11, 0 op_sel:[0,1,0] op_sel_hi:[0,1,0]
	v_fma_mixlo_f16 v38, v4, v6, 0 op_sel_hi:[0,1,0]
	v_and_b32_e32 v51, 0xffff, v22
	v_lshlrev_b32_e32 v6, 16, v37
	v_and_b32_e32 v35, 0xffff, v35
	v_lshlrev_b32_e32 v4, 16, v11
	v_and_b32_e32 v11, 0xffff, v38
	v_or_b32_e32 v22, v0, v5
	v_or_b32_e32 v48, v12, v51
	;; [unrolled: 1-line block ×4, first 2 shown]
	s_and_saveexec_b32 s16, vcc_lo
	s_cbranch_execz .LBB304_1269
; %bb.1268:                             ;   in Loop: Header=BB304_806 Depth=1
	v_cmp_lt_i32_e64 s4, v18, v36
	v_cndmask_b32_e64 v22, 0, v51, s4
	v_cmp_lt_i32_e64 s4, v96, v36
	v_cndmask_b32_e64 v12, 0, v12, s4
	v_cmp_lt_i32_e64 s4, v87, v36
	v_or_b32_e32 v48, v22, v12
	v_cndmask_b32_e64 v5, 0, v5, s4
	v_cmp_lt_i32_e64 s4, v86, v36
	v_cndmask_b32_e64 v0, 0, v0, s4
	v_cmp_lt_i32_e64 s4, v84, v36
	v_or_b32_e32 v22, v5, v0
	;; [unrolled: 5-line block ×3, first 2 shown]
	v_cndmask_b32_e64 v11, 0, v11, s4
	v_cmp_lt_i32_e64 s4, v71, v36
	v_cndmask_b32_e64 v4, 0, v4, s4
	v_or_b32_e32 v37, v11, v4
.LBB304_1269:                           ;   in Loop: Header=BB304_806 Depth=1
	s_or_b32 exec_lo, exec_lo, s16
	;;#ASMSTART
	v_pk_mul_f16 v0, v85, v48;

	;;#ASMEND
	;;#ASMSTART
	v_pk_mul_f16 v4, v82, v22;

	;;#ASMEND
	;; [unrolled: 4-line block ×4, first 2 shown]
	;;#ASMSTART
	v_pk_add_f16 v0, v0, v4;

	;;#ASMEND
	;;#ASMSTART
	v_pk_add_f16 v0, v0, v5;

	;;#ASMEND
	;; [unrolled: 4-line block ×3, first 2 shown]
	v_and_b32_e32 v4, 0xffff, v0
	v_lshrrev_b32_e32 v0, 16, v0
	;;#ASMSTART
	v_cvt_f32_f16 v115, v4;
	;;#ASMEND
	;;#ASMSTART
	v_cvt_f32_f16 v116, v0;
	;;#ASMEND
	flat_load_dwordx2 v[11:12], v[9:10] offset:1792
	flat_load_dword v4, v[26:27]
	v_mov_b32_e32 v5, 0
	v_mov_b32_e32 v22, 0
	s_waitcnt vmcnt(1) lgkmcnt(1)
	v_cmp_ne_u16_sdwa s4, v11, v1 src0_sel:BYTE_0 src1_sel:DWORD
	s_and_saveexec_b32 s16, s4
	s_cbranch_execz .LBB304_1277
; %bb.1270:                             ;   in Loop: Header=BB304_806 Depth=1
	v_cmp_ne_u16_sdwa s4, v11, v17 src0_sel:BYTE_0 src1_sel:DWORD
	v_mov_b32_e32 v22, 0x8000
	s_and_saveexec_b32 s17, s4
	s_cbranch_execz .LBB304_1276
; %bb.1271:                             ;   in Loop: Header=BB304_806 Depth=1
	v_and_b32_e32 v35, 0x7f, v11
	v_mov_b32_e32 v22, 0x7c01
	s_mov_b32 s18, exec_lo
	v_cmpx_ne_u32_e32 0x7f, v35
	s_cbranch_execz .LBB304_1275
; %bb.1272:                             ;   in Loop: Header=BB304_806 Depth=1
	v_and_b32_e32 v0, 7, v11
	v_lshrrev_b32_e32 v6, 3, v35
	s_mov_b32 s20, exec_lo
	v_cmpx_gt_u32_e32 8, v35
; %bb.1273:                             ;   in Loop: Header=BB304_806 Depth=1
	v_ffbh_u32_e32 v0, v0
	v_min_u32_e32 v0, 32, v0
	v_subrev_nc_u32_e32 v6, 28, v0
	v_lshlrev_b64 v[37:38], v6, v[11:12]
	v_sub_nc_u32_e32 v6, 29, v0
	v_and_b32_e32 v0, 7, v37
; %bb.1274:                             ;   in Loop: Header=BB304_806 Depth=1
	s_or_b32 exec_lo, exec_lo, s20
	v_lshlrev_b32_e32 v22, 8, v11
	v_lshl_add_u32 v6, v6, 10, 0x2000
	v_lshlrev_b32_e32 v0, 7, v0
	v_and_b32_e32 v22, 0x8000, v22
	v_and_b32_e32 v6, 0xfc00, v6
	v_or3_b32 v22, v22, v6, v0
.LBB304_1275:                           ;   in Loop: Header=BB304_806 Depth=1
	s_or_b32 exec_lo, exec_lo, s18
.LBB304_1276:                           ;   in Loop: Header=BB304_806 Depth=1
	s_or_b32 exec_lo, exec_lo, s17
.LBB304_1277:                           ;   in Loop: Header=BB304_806 Depth=1
	s_or_b32 exec_lo, exec_lo, s16
	v_lshrrev_b16 v0, 8, v11
	s_mov_b32 s16, exec_lo
	v_cmpx_ne_u16_e32 0, v0
	s_cbranch_execz .LBB304_1285
; %bb.1278:                             ;   in Loop: Header=BB304_806 Depth=1
	v_bfrev_b32_e32 v5, 1
	s_mov_b32 s17, exec_lo
	v_cmpx_ne_u16_e32 0x80, v0
	s_cbranch_execz .LBB304_1284
; %bb.1279:                             ;   in Loop: Header=BB304_806 Depth=1
	v_and_b32_sdwa v35, v0, v53 dst_sel:DWORD dst_unused:UNUSED_PAD src0_sel:WORD_0 src1_sel:DWORD
	v_mov_b32_e32 v5, 0x7c010000
	s_mov_b32 s18, exec_lo
	v_cmpx_ne_u32_e32 0x7f, v35
	s_cbranch_execz .LBB304_1283
; %bb.1280:                             ;   in Loop: Header=BB304_806 Depth=1
	v_and_b32_sdwa v5, v0, v54 dst_sel:DWORD dst_unused:UNUSED_PAD src0_sel:WORD_0 src1_sel:DWORD
	v_lshrrev_b32_e32 v6, 3, v35
	s_mov_b32 s20, exec_lo
	v_cmpx_gt_u32_e32 8, v35
; %bb.1281:                             ;   in Loop: Header=BB304_806 Depth=1
	v_ffbh_u32_e32 v5, v5
	v_min_u32_e32 v35, 32, v5
	v_subrev_nc_u32_e32 v5, 28, v35
	v_lshlrev_b64 v[5:6], v5, v[0:1]
	v_sub_nc_u32_e32 v6, 29, v35
	v_and_b32_e32 v5, 7, v5
; %bb.1282:                             ;   in Loop: Header=BB304_806 Depth=1
	s_or_b32 exec_lo, exec_lo, s20
	v_lshlrev_b32_sdwa v0, v67, v0 dst_sel:DWORD dst_unused:UNUSED_PAD src0_sel:DWORD src1_sel:WORD_0
	v_lshl_add_u32 v6, v6, 10, 0x2000
	v_lshlrev_b32_e32 v5, 23, v5
	v_and_or_b32 v0, 0x8000, v0, v6
	v_lshl_or_b32 v5, v0, 16, v5
.LBB304_1283:                           ;   in Loop: Header=BB304_806 Depth=1
	s_or_b32 exec_lo, exec_lo, s18
.LBB304_1284:                           ;   in Loop: Header=BB304_806 Depth=1
	s_or_b32 exec_lo, exec_lo, s17
.LBB304_1285:                           ;   in Loop: Header=BB304_806 Depth=1
	s_or_b32 exec_lo, exec_lo, s16
	v_lshrrev_b32_e32 v0, 16, v11
	v_mov_b32_e32 v35, 0
	v_mov_b32_e32 v37, 0
	v_cmp_ne_u16_sdwa s4, v0, v1 src0_sel:BYTE_0 src1_sel:DWORD
	s_and_saveexec_b32 s16, s4
	s_cbranch_execz .LBB304_1293
; %bb.1286:                             ;   in Loop: Header=BB304_806 Depth=1
	v_cmp_ne_u16_sdwa s4, v0, v17 src0_sel:BYTE_0 src1_sel:DWORD
	v_mov_b32_e32 v37, 0x8000
	s_and_saveexec_b32 s17, s4
	s_cbranch_execz .LBB304_1292
; %bb.1287:                             ;   in Loop: Header=BB304_806 Depth=1
	v_bfe_u32 v38, v11, 16, 7
	v_mov_b32_e32 v37, 0x7c01
	s_mov_b32 s18, exec_lo
	v_cmpx_ne_u32_e32 0x7f, v38
	s_cbranch_execz .LBB304_1291
; %bb.1288:                             ;   in Loop: Header=BB304_806 Depth=1
	v_and_b32_e32 v6, 7, v0
	v_lshrrev_b32_e32 v37, 3, v38
	s_mov_b32 s20, exec_lo
	v_cmpx_gt_u32_e32 8, v38
; %bb.1289:                             ;   in Loop: Header=BB304_806 Depth=1
	v_ffbh_u32_e32 v6, v6
	v_min_u32_e32 v6, 32, v6
	v_subrev_nc_u32_e32 v37, 28, v6
	v_lshlrev_b64 v[48:49], v37, v[0:1]
	v_sub_nc_u32_e32 v37, 29, v6
	v_and_b32_e32 v6, 7, v48
; %bb.1290:                             ;   in Loop: Header=BB304_806 Depth=1
	s_or_b32 exec_lo, exec_lo, s20
	v_lshlrev_b32_e32 v0, 8, v0
	v_lshl_add_u32 v37, v37, 10, 0x2000
	v_lshlrev_b32_e32 v6, 7, v6
	v_and_b32_e32 v0, 0x8000, v0
	v_and_b32_e32 v37, 0xfc00, v37
	v_or3_b32 v37, v0, v37, v6
.LBB304_1291:                           ;   in Loop: Header=BB304_806 Depth=1
	s_or_b32 exec_lo, exec_lo, s18
.LBB304_1292:                           ;   in Loop: Header=BB304_806 Depth=1
	s_or_b32 exec_lo, exec_lo, s17
.LBB304_1293:                           ;   in Loop: Header=BB304_806 Depth=1
	s_or_b32 exec_lo, exec_lo, s16
	s_mov_b32 s16, exec_lo
	v_cmpx_lt_u32_e32 0xffffff, v11
	s_cbranch_execz .LBB304_1301
; %bb.1294:                             ;   in Loop: Header=BB304_806 Depth=1
	v_lshrrev_b32_e32 v0, 24, v11
	v_bfrev_b32_e32 v35, 1
	s_mov_b32 s17, exec_lo
	v_cmpx_ne_u32_e32 0x80, v0
	s_cbranch_execz .LBB304_1300
; %bb.1295:                             ;   in Loop: Header=BB304_806 Depth=1
	v_and_b32_e32 v38, 0x7f, v0
	v_mov_b32_e32 v35, 0x7c010000
	s_mov_b32 s18, exec_lo
	v_cmpx_ne_u32_e32 0x7f, v38
	s_cbranch_execz .LBB304_1299
; %bb.1296:                             ;   in Loop: Header=BB304_806 Depth=1
	v_and_b32_e32 v6, 7, v0
	v_lshrrev_b32_e32 v35, 3, v38
	s_mov_b32 s20, exec_lo
	v_cmpx_gt_u32_e32 8, v38
; %bb.1297:                             ;   in Loop: Header=BB304_806 Depth=1
	v_ffbh_u32_e32 v6, v6
	v_min_u32_e32 v6, 32, v6
	v_subrev_nc_u32_e32 v35, 28, v6
	v_lshlrev_b64 v[48:49], v35, v[0:1]
	v_sub_nc_u32_e32 v35, 29, v6
	v_and_b32_e32 v6, 7, v48
; %bb.1298:                             ;   in Loop: Header=BB304_806 Depth=1
	s_or_b32 exec_lo, exec_lo, s20
	v_lshlrev_b32_e32 v0, 8, v0
	v_lshl_add_u32 v35, v35, 10, 0x2000
	v_lshlrev_b32_e32 v6, 23, v6
	v_and_or_b32 v0, 0x8000, v0, v35
	v_lshl_or_b32 v35, v0, 16, v6
.LBB304_1299:                           ;   in Loop: Header=BB304_806 Depth=1
	s_or_b32 exec_lo, exec_lo, s18
.LBB304_1300:                           ;   in Loop: Header=BB304_806 Depth=1
	s_or_b32 exec_lo, exec_lo, s17
.LBB304_1301:                           ;   in Loop: Header=BB304_806 Depth=1
	s_or_b32 exec_lo, exec_lo, s16
	v_mov_b32_e32 v0, v12
	v_cmp_ne_u16_sdwa s4, v12, v1 src0_sel:BYTE_0 src1_sel:DWORD
	v_mov_b32_e32 v6, 0
	v_mov_b32_e32 v38, 0
	s_and_saveexec_b32 s16, s4
	s_cbranch_execz .LBB304_1309
; %bb.1302:                             ;   in Loop: Header=BB304_806 Depth=1
	v_cmp_ne_u16_sdwa s4, v12, v17 src0_sel:BYTE_0 src1_sel:DWORD
	v_mov_b32_e32 v38, 0x8000
	s_and_saveexec_b32 s17, s4
	s_cbranch_execz .LBB304_1308
; %bb.1303:                             ;   in Loop: Header=BB304_806 Depth=1
	v_and_b32_e32 v51, 0x7f, v12
	v_mov_b32_e32 v38, 0x7c01
	s_mov_b32 s18, exec_lo
	v_cmpx_ne_u32_e32 0x7f, v51
	s_cbranch_execz .LBB304_1307
; %bb.1304:                             ;   in Loop: Header=BB304_806 Depth=1
	v_and_b32_e32 v38, 7, v12
	v_lshrrev_b32_e32 v48, 3, v51
	s_mov_b32 s20, exec_lo
	v_cmpx_gt_u32_e32 8, v51
; %bb.1305:                             ;   in Loop: Header=BB304_806 Depth=1
	v_ffbh_u32_e32 v38, v38
	v_min_u32_e32 v38, 32, v38
	v_subrev_nc_u32_e32 v48, 28, v38
	v_lshlrev_b64 v[49:50], v48, v[0:1]
	v_sub_nc_u32_e32 v48, 29, v38
	v_and_b32_e32 v38, 7, v49
; %bb.1306:                             ;   in Loop: Header=BB304_806 Depth=1
	s_or_b32 exec_lo, exec_lo, s20
	v_lshlrev_b32_e32 v49, 8, v12
	v_lshl_add_u32 v48, v48, 10, 0x2000
	v_lshlrev_b32_e32 v38, 7, v38
	v_and_b32_e32 v49, 0x8000, v49
	v_and_b32_e32 v48, 0xfc00, v48
	v_or3_b32 v38, v49, v48, v38
.LBB304_1307:                           ;   in Loop: Header=BB304_806 Depth=1
	s_or_b32 exec_lo, exec_lo, s18
.LBB304_1308:                           ;   in Loop: Header=BB304_806 Depth=1
	s_or_b32 exec_lo, exec_lo, s17
.LBB304_1309:                           ;   in Loop: Header=BB304_806 Depth=1
	s_or_b32 exec_lo, exec_lo, s16
	v_lshrrev_b16 v0, 8, v0
	v_mov_b32_e32 v48, 0
	s_mov_b32 s16, exec_lo
	v_cmpx_ne_u16_e32 0, v0
	s_cbranch_execz .LBB304_1317
; %bb.1310:                             ;   in Loop: Header=BB304_806 Depth=1
	v_bfrev_b32_e32 v48, 1
	s_mov_b32 s17, exec_lo
	v_cmpx_ne_u16_e32 0x80, v0
	s_cbranch_execz .LBB304_1316
; %bb.1311:                             ;   in Loop: Header=BB304_806 Depth=1
	v_and_b32_sdwa v117, v0, v53 dst_sel:DWORD dst_unused:UNUSED_PAD src0_sel:WORD_0 src1_sel:DWORD
	v_mov_b32_e32 v48, 0x7c010000
	s_mov_b32 s18, exec_lo
	v_cmpx_ne_u32_e32 0x7f, v117
	s_cbranch_execz .LBB304_1315
; %bb.1312:                             ;   in Loop: Header=BB304_806 Depth=1
	v_and_b32_sdwa v48, v0, v54 dst_sel:DWORD dst_unused:UNUSED_PAD src0_sel:WORD_0 src1_sel:DWORD
	v_lshrrev_b32_e32 v51, 3, v117
	s_mov_b32 s20, exec_lo
	v_cmpx_gt_u32_e32 8, v117
; %bb.1313:                             ;   in Loop: Header=BB304_806 Depth=1
	v_ffbh_u32_e32 v48, v48
	v_min_u32_e32 v50, 32, v48
	v_subrev_nc_u32_e32 v48, 28, v50
	v_sub_nc_u32_e32 v51, 29, v50
	v_lshlrev_b64 v[48:49], v48, v[0:1]
	v_and_b32_e32 v48, 7, v48
; %bb.1314:                             ;   in Loop: Header=BB304_806 Depth=1
	s_or_b32 exec_lo, exec_lo, s20
	v_lshlrev_b32_sdwa v0, v67, v0 dst_sel:DWORD dst_unused:UNUSED_PAD src0_sel:DWORD src1_sel:WORD_0
	v_lshl_add_u32 v49, v51, 10, 0x2000
	v_lshlrev_b32_e32 v48, 23, v48
	v_and_or_b32 v0, 0x8000, v0, v49
	v_lshl_or_b32 v48, v0, 16, v48
.LBB304_1315:                           ;   in Loop: Header=BB304_806 Depth=1
	s_or_b32 exec_lo, exec_lo, s18
.LBB304_1316:                           ;   in Loop: Header=BB304_806 Depth=1
	s_or_b32 exec_lo, exec_lo, s17
.LBB304_1317:                           ;   in Loop: Header=BB304_806 Depth=1
	s_or_b32 exec_lo, exec_lo, s16
	v_lshrrev_b32_e32 v0, 16, v12
	v_cmp_ne_u16_sdwa s4, v0, v1 src0_sel:BYTE_0 src1_sel:DWORD
	s_and_saveexec_b32 s16, s4
	s_cbranch_execz .LBB304_1325
; %bb.1318:                             ;   in Loop: Header=BB304_806 Depth=1
	v_cmp_ne_u16_sdwa s4, v0, v17 src0_sel:BYTE_0 src1_sel:DWORD
	v_mov_b32_e32 v6, 0x8000
	s_and_saveexec_b32 s17, s4
	s_cbranch_execz .LBB304_1324
; %bb.1319:                             ;   in Loop: Header=BB304_806 Depth=1
	v_bfe_u32 v117, v12, 16, 7
	v_mov_b32_e32 v6, 0x7c01
	s_mov_b32 s18, exec_lo
	v_cmpx_ne_u32_e32 0x7f, v117
	s_cbranch_execz .LBB304_1323
; %bb.1320:                             ;   in Loop: Header=BB304_806 Depth=1
	v_and_b32_e32 v6, 7, v0
	v_lshrrev_b32_e32 v51, 3, v117
	s_mov_b32 s20, exec_lo
	v_cmpx_gt_u32_e32 8, v117
; %bb.1321:                             ;   in Loop: Header=BB304_806 Depth=1
	v_ffbh_u32_e32 v6, v6
	v_min_u32_e32 v6, 32, v6
	v_subrev_nc_u32_e32 v49, 28, v6
	v_sub_nc_u32_e32 v51, 29, v6
	v_lshlrev_b64 v[49:50], v49, v[0:1]
	v_and_b32_e32 v6, 7, v49
; %bb.1322:                             ;   in Loop: Header=BB304_806 Depth=1
	s_or_b32 exec_lo, exec_lo, s20
	v_lshlrev_b32_e32 v0, 8, v0
	v_lshl_add_u32 v49, v51, 10, 0x2000
	v_lshlrev_b32_e32 v6, 7, v6
	v_and_b32_e32 v0, 0x8000, v0
	v_and_b32_e32 v49, 0xfc00, v49
	v_or3_b32 v6, v0, v49, v6
.LBB304_1323:                           ;   in Loop: Header=BB304_806 Depth=1
	s_or_b32 exec_lo, exec_lo, s18
.LBB304_1324:                           ;   in Loop: Header=BB304_806 Depth=1
	s_or_b32 exec_lo, exec_lo, s17
.LBB304_1325:                           ;   in Loop: Header=BB304_806 Depth=1
	s_or_b32 exec_lo, exec_lo, s16
	v_cmp_lt_u64_e64 s4, s[12:13], v[11:12]
	v_mov_b32_e32 v11, 0
	s_and_saveexec_b32 s16, s4
	s_cbranch_execz .LBB304_1333
; %bb.1326:                             ;   in Loop: Header=BB304_806 Depth=1
	v_lshrrev_b32_e32 v0, 24, v12
	v_bfrev_b32_e32 v11, 1
	s_mov_b32 s17, exec_lo
	v_cmpx_ne_u32_e32 0x80, v0
	s_cbranch_execz .LBB304_1332
; %bb.1327:                             ;   in Loop: Header=BB304_806 Depth=1
	v_and_b32_e32 v51, 0x7f, v0
	v_mov_b32_e32 v11, 0x7c010000
	s_mov_b32 s18, exec_lo
	v_cmpx_ne_u32_e32 0x7f, v51
	s_cbranch_execz .LBB304_1331
; %bb.1328:                             ;   in Loop: Header=BB304_806 Depth=1
	v_and_b32_e32 v11, 7, v0
	v_lshrrev_b32_e32 v12, 3, v51
	s_mov_b32 s20, exec_lo
	v_cmpx_gt_u32_e32 8, v51
; %bb.1329:                             ;   in Loop: Header=BB304_806 Depth=1
	v_ffbh_u32_e32 v11, v11
	v_min_u32_e32 v49, 32, v11
	v_subrev_nc_u32_e32 v11, 28, v49
	v_lshlrev_b64 v[11:12], v11, v[0:1]
	v_sub_nc_u32_e32 v12, 29, v49
	v_and_b32_e32 v11, 7, v11
; %bb.1330:                             ;   in Loop: Header=BB304_806 Depth=1
	s_or_b32 exec_lo, exec_lo, s20
	v_lshlrev_b32_e32 v0, 8, v0
	v_lshl_add_u32 v12, v12, 10, 0x2000
	v_lshlrev_b32_e32 v11, 23, v11
	v_and_or_b32 v0, 0x8000, v0, v12
	v_lshl_or_b32 v11, v0, 16, v11
.LBB304_1331:                           ;   in Loop: Header=BB304_806 Depth=1
	s_or_b32 exec_lo, exec_lo, s18
.LBB304_1332:                           ;   in Loop: Header=BB304_806 Depth=1
	s_or_b32 exec_lo, exec_lo, s17
.LBB304_1333:                           ;   in Loop: Header=BB304_806 Depth=1
	s_or_b32 exec_lo, exec_lo, s16
	v_or_b32_e32 v0, v35, v37
	s_waitcnt vmcnt(0) lgkmcnt(0)
	v_fma_mixlo_f16 v12, v4, v35, 0 op_sel:[0,1,0] op_sel_hi:[0,1,0]
	v_or_b32_e32 v22, v5, v22
	v_fma_mixlo_f16 v5, v4, v5, 0 op_sel:[0,1,0] op_sel_hi:[0,1,0]
	v_or_b32_e32 v35, v48, v38
	v_fma_mixlo_f16 v37, v4, v0, 0 op_sel_hi:[0,1,0]
	v_or_b32_e32 v6, v11, v6
	v_lshlrev_b32_e32 v0, 16, v12
	v_lshlrev_b32_e32 v12, 16, v5
	v_fma_mixlo_f16 v22, v4, v22, 0 op_sel_hi:[0,1,0]
	v_and_b32_e32 v5, 0xffff, v37
	v_fma_mixlo_f16 v37, v4, v48, 0 op_sel:[0,1,0] op_sel_hi:[0,1,0]
	v_fma_mixlo_f16 v35, v4, v35, 0 op_sel_hi:[0,1,0]
	v_fma_mixlo_f16 v11, v4, v11, 0 op_sel:[0,1,0] op_sel_hi:[0,1,0]
	v_fma_mixlo_f16 v38, v4, v6, 0 op_sel_hi:[0,1,0]
	v_and_b32_e32 v51, 0xffff, v22
	v_lshlrev_b32_e32 v6, 16, v37
	v_and_b32_e32 v35, 0xffff, v35
	v_lshlrev_b32_e32 v4, 16, v11
	v_and_b32_e32 v11, 0xffff, v38
	v_or_b32_e32 v22, v0, v5
	v_or_b32_e32 v48, v12, v51
	;; [unrolled: 1-line block ×4, first 2 shown]
	s_and_saveexec_b32 s16, vcc_lo
	s_cbranch_execz .LBB304_1335
; %bb.1334:                             ;   in Loop: Header=BB304_806 Depth=1
	v_cmp_lt_i32_e64 s4, v18, v36
	v_cndmask_b32_e64 v22, 0, v51, s4
	v_cmp_lt_i32_e64 s4, v96, v36
	v_cndmask_b32_e64 v12, 0, v12, s4
	v_cmp_lt_i32_e64 s4, v87, v36
	v_or_b32_e32 v48, v22, v12
	v_cndmask_b32_e64 v5, 0, v5, s4
	v_cmp_lt_i32_e64 s4, v86, v36
	v_cndmask_b32_e64 v0, 0, v0, s4
	v_cmp_lt_i32_e64 s4, v84, v36
	v_or_b32_e32 v22, v5, v0
	;; [unrolled: 5-line block ×3, first 2 shown]
	v_cndmask_b32_e64 v11, 0, v11, s4
	v_cmp_lt_i32_e64 s4, v71, v36
	v_cndmask_b32_e64 v4, 0, v4, s4
	v_or_b32_e32 v37, v11, v4
.LBB304_1335:                           ;   in Loop: Header=BB304_806 Depth=1
	s_or_b32 exec_lo, exec_lo, s16
	v_add_co_u32 v9, s4, 0x800, v9
	v_add_co_ci_u32_e64 v10, null, 0, v10, s4
	;;#ASMSTART
	v_pk_mul_f16 v0, v85, v48;

	;;#ASMEND
	;;#ASMSTART
	v_pk_mul_f16 v4, v82, v22;

	;;#ASMEND
	;; [unrolled: 4-line block ×4, first 2 shown]
	;;#ASMSTART
	v_pk_add_f16 v0, v0, v4;

	;;#ASMEND
	;;#ASMSTART
	v_pk_add_f16 v0, v0, v5;

	;;#ASMEND
	;; [unrolled: 4-line block ×3, first 2 shown]
	v_lshrrev_b32_e32 v5, 16, v0
	v_and_b32_e32 v0, 0xffff, v0
	;;#ASMSTART
	v_cvt_f32_f16 v4, v0;
	;;#ASMEND
	;;#ASMSTART
	v_cvt_f32_f16 v5, v5;
	;;#ASMEND
	flat_load_dwordx2 v[11:12], v[9:10]
	flat_load_dword v35, v[26:27]
	v_mov_b32_e32 v22, 0
	v_mov_b32_e32 v37, 0
	s_waitcnt vmcnt(1) lgkmcnt(1)
	v_cmp_ne_u16_sdwa s4, v11, v1 src0_sel:BYTE_0 src1_sel:DWORD
	s_and_saveexec_b32 s16, s4
	s_cbranch_execz .LBB304_1343
; %bb.1336:                             ;   in Loop: Header=BB304_806 Depth=1
	v_cmp_ne_u16_sdwa s4, v11, v17 src0_sel:BYTE_0 src1_sel:DWORD
	v_mov_b32_e32 v37, 0x8000
	s_and_saveexec_b32 s17, s4
	s_cbranch_execz .LBB304_1342
; %bb.1337:                             ;   in Loop: Header=BB304_806 Depth=1
	v_and_b32_e32 v38, 0x7f, v11
	v_mov_b32_e32 v37, 0x7c01
	s_mov_b32 s18, exec_lo
	v_cmpx_ne_u32_e32 0x7f, v38
	s_cbranch_execz .LBB304_1341
; %bb.1338:                             ;   in Loop: Header=BB304_806 Depth=1
	v_and_b32_e32 v0, 7, v11
	v_lshrrev_b32_e32 v6, 3, v38
	s_mov_b32 s20, exec_lo
	v_cmpx_gt_u32_e32 8, v38
; %bb.1339:                             ;   in Loop: Header=BB304_806 Depth=1
	v_ffbh_u32_e32 v0, v0
	v_min_u32_e32 v0, 32, v0
	v_subrev_nc_u32_e32 v6, 28, v0
	v_lshlrev_b64 v[37:38], v6, v[11:12]
	v_sub_nc_u32_e32 v6, 29, v0
	v_and_b32_e32 v0, 7, v37
; %bb.1340:                             ;   in Loop: Header=BB304_806 Depth=1
	s_or_b32 exec_lo, exec_lo, s20
	v_lshlrev_b32_e32 v37, 8, v11
	v_lshl_add_u32 v6, v6, 10, 0x2000
	v_lshlrev_b32_e32 v0, 7, v0
	v_and_b32_e32 v37, 0x8000, v37
	v_and_b32_e32 v6, 0xfc00, v6
	v_or3_b32 v37, v37, v6, v0
.LBB304_1341:                           ;   in Loop: Header=BB304_806 Depth=1
	s_or_b32 exec_lo, exec_lo, s18
.LBB304_1342:                           ;   in Loop: Header=BB304_806 Depth=1
	s_or_b32 exec_lo, exec_lo, s17
.LBB304_1343:                           ;   in Loop: Header=BB304_806 Depth=1
	s_or_b32 exec_lo, exec_lo, s16
	v_lshrrev_b16 v0, 8, v11
	s_mov_b32 s16, exec_lo
	v_cmpx_ne_u16_e32 0, v0
	s_cbranch_execz .LBB304_1351
; %bb.1344:                             ;   in Loop: Header=BB304_806 Depth=1
	v_bfrev_b32_e32 v22, 1
	s_mov_b32 s17, exec_lo
	v_cmpx_ne_u16_e32 0x80, v0
	s_cbranch_execz .LBB304_1350
; %bb.1345:                             ;   in Loop: Header=BB304_806 Depth=1
	v_and_b32_sdwa v38, v0, v53 dst_sel:DWORD dst_unused:UNUSED_PAD src0_sel:WORD_0 src1_sel:DWORD
	v_mov_b32_e32 v22, 0x7c010000
	s_mov_b32 s18, exec_lo
	v_cmpx_ne_u32_e32 0x7f, v38
	s_cbranch_execz .LBB304_1349
; %bb.1346:                             ;   in Loop: Header=BB304_806 Depth=1
	v_and_b32_sdwa v6, v0, v54 dst_sel:DWORD dst_unused:UNUSED_PAD src0_sel:WORD_0 src1_sel:DWORD
	v_lshrrev_b32_e32 v22, 3, v38
	s_mov_b32 s20, exec_lo
	v_cmpx_gt_u32_e32 8, v38
; %bb.1347:                             ;   in Loop: Header=BB304_806 Depth=1
	v_ffbh_u32_e32 v6, v6
	v_min_u32_e32 v6, 32, v6
	v_subrev_nc_u32_e32 v22, 28, v6
	v_lshlrev_b64 v[48:49], v22, v[0:1]
	v_sub_nc_u32_e32 v22, 29, v6
	v_and_b32_e32 v6, 7, v48
; %bb.1348:                             ;   in Loop: Header=BB304_806 Depth=1
	s_or_b32 exec_lo, exec_lo, s20
	v_lshlrev_b32_sdwa v0, v67, v0 dst_sel:DWORD dst_unused:UNUSED_PAD src0_sel:DWORD src1_sel:WORD_0
	v_lshl_add_u32 v22, v22, 10, 0x2000
	v_lshlrev_b32_e32 v6, 23, v6
	v_and_or_b32 v0, 0x8000, v0, v22
	v_lshl_or_b32 v22, v0, 16, v6
.LBB304_1349:                           ;   in Loop: Header=BB304_806 Depth=1
	s_or_b32 exec_lo, exec_lo, s18
.LBB304_1350:                           ;   in Loop: Header=BB304_806 Depth=1
	s_or_b32 exec_lo, exec_lo, s17
.LBB304_1351:                           ;   in Loop: Header=BB304_806 Depth=1
	s_or_b32 exec_lo, exec_lo, s16
	v_lshrrev_b32_e32 v0, 16, v11
	v_mov_b32_e32 v38, 0
	v_mov_b32_e32 v117, 0
	v_cmp_ne_u16_sdwa s4, v0, v1 src0_sel:BYTE_0 src1_sel:DWORD
	s_and_saveexec_b32 s16, s4
	s_cbranch_execz .LBB304_1359
; %bb.1352:                             ;   in Loop: Header=BB304_806 Depth=1
	v_cmp_ne_u16_sdwa s4, v0, v17 src0_sel:BYTE_0 src1_sel:DWORD
	v_mov_b32_e32 v117, 0x8000
	s_and_saveexec_b32 s17, s4
	s_cbranch_execz .LBB304_1358
; %bb.1353:                             ;   in Loop: Header=BB304_806 Depth=1
	v_bfe_u32 v51, v11, 16, 7
	v_mov_b32_e32 v117, 0x7c01
	s_mov_b32 s18, exec_lo
	v_cmpx_ne_u32_e32 0x7f, v51
	s_cbranch_execz .LBB304_1357
; %bb.1354:                             ;   in Loop: Header=BB304_806 Depth=1
	v_and_b32_e32 v6, 7, v0
	v_lshrrev_b32_e32 v48, 3, v51
	s_mov_b32 s20, exec_lo
	v_cmpx_gt_u32_e32 8, v51
; %bb.1355:                             ;   in Loop: Header=BB304_806 Depth=1
	v_ffbh_u32_e32 v6, v6
	v_min_u32_e32 v6, 32, v6
	v_subrev_nc_u32_e32 v48, 28, v6
	v_lshlrev_b64 v[49:50], v48, v[0:1]
	v_sub_nc_u32_e32 v48, 29, v6
	v_and_b32_e32 v6, 7, v49
; %bb.1356:                             ;   in Loop: Header=BB304_806 Depth=1
	s_or_b32 exec_lo, exec_lo, s20
	v_lshlrev_b32_e32 v0, 8, v0
	v_lshl_add_u32 v48, v48, 10, 0x2000
	v_lshlrev_b32_e32 v6, 7, v6
	v_and_b32_e32 v0, 0x8000, v0
	v_and_b32_e32 v48, 0xfc00, v48
	v_or3_b32 v117, v0, v48, v6
.LBB304_1357:                           ;   in Loop: Header=BB304_806 Depth=1
	s_or_b32 exec_lo, exec_lo, s18
.LBB304_1358:                           ;   in Loop: Header=BB304_806 Depth=1
	s_or_b32 exec_lo, exec_lo, s17
.LBB304_1359:                           ;   in Loop: Header=BB304_806 Depth=1
	s_or_b32 exec_lo, exec_lo, s16
	s_mov_b32 s16, exec_lo
	v_cmpx_lt_u32_e32 0xffffff, v11
	s_cbranch_execz .LBB304_1367
; %bb.1360:                             ;   in Loop: Header=BB304_806 Depth=1
	v_lshrrev_b32_e32 v0, 24, v11
	v_bfrev_b32_e32 v38, 1
	s_mov_b32 s17, exec_lo
	v_cmpx_ne_u32_e32 0x80, v0
	s_cbranch_execz .LBB304_1366
; %bb.1361:                             ;   in Loop: Header=BB304_806 Depth=1
	v_and_b32_e32 v48, 0x7f, v0
	v_mov_b32_e32 v38, 0x7c010000
	s_mov_b32 s18, exec_lo
	v_cmpx_ne_u32_e32 0x7f, v48
	s_cbranch_execz .LBB304_1365
; %bb.1362:                             ;   in Loop: Header=BB304_806 Depth=1
	v_and_b32_e32 v6, 7, v0
	v_lshrrev_b32_e32 v38, 3, v48
	s_mov_b32 s20, exec_lo
	v_cmpx_gt_u32_e32 8, v48
; %bb.1363:                             ;   in Loop: Header=BB304_806 Depth=1
	v_ffbh_u32_e32 v6, v6
	v_min_u32_e32 v6, 32, v6
	v_subrev_nc_u32_e32 v38, 28, v6
	v_lshlrev_b64 v[48:49], v38, v[0:1]
	v_sub_nc_u32_e32 v38, 29, v6
	v_and_b32_e32 v6, 7, v48
; %bb.1364:                             ;   in Loop: Header=BB304_806 Depth=1
	s_or_b32 exec_lo, exec_lo, s20
	v_lshlrev_b32_e32 v0, 8, v0
	v_lshl_add_u32 v38, v38, 10, 0x2000
	v_lshlrev_b32_e32 v6, 23, v6
	v_and_or_b32 v0, 0x8000, v0, v38
	v_lshl_or_b32 v38, v0, 16, v6
.LBB304_1365:                           ;   in Loop: Header=BB304_806 Depth=1
	s_or_b32 exec_lo, exec_lo, s18
.LBB304_1366:                           ;   in Loop: Header=BB304_806 Depth=1
	s_or_b32 exec_lo, exec_lo, s17
.LBB304_1367:                           ;   in Loop: Header=BB304_806 Depth=1
	s_or_b32 exec_lo, exec_lo, s16
	v_mov_b32_e32 v0, v12
	v_cmp_ne_u16_sdwa s4, v12, v1 src0_sel:BYTE_0 src1_sel:DWORD
	v_mov_b32_e32 v6, 0
	v_mov_b32_e32 v48, 0
	s_and_saveexec_b32 s16, s4
	s_cbranch_execz .LBB304_1375
; %bb.1368:                             ;   in Loop: Header=BB304_806 Depth=1
	v_cmp_ne_u16_sdwa s4, v12, v17 src0_sel:BYTE_0 src1_sel:DWORD
	v_mov_b32_e32 v48, 0x8000
	s_and_saveexec_b32 s17, s4
	s_cbranch_execz .LBB304_1374
; %bb.1369:                             ;   in Loop: Header=BB304_806 Depth=1
	v_and_b32_e32 v118, 0x7f, v12
	v_mov_b32_e32 v48, 0x7c01
	s_mov_b32 s18, exec_lo
	v_cmpx_ne_u32_e32 0x7f, v118
	s_cbranch_execz .LBB304_1373
; %bb.1370:                             ;   in Loop: Header=BB304_806 Depth=1
	v_and_b32_e32 v48, 7, v12
	v_lshrrev_b32_e32 v51, 3, v118
	s_mov_b32 s20, exec_lo
	v_cmpx_gt_u32_e32 8, v118
; %bb.1371:                             ;   in Loop: Header=BB304_806 Depth=1
	v_ffbh_u32_e32 v48, v48
	v_min_u32_e32 v50, 32, v48
	v_subrev_nc_u32_e32 v48, 28, v50
	v_sub_nc_u32_e32 v51, 29, v50
	v_lshlrev_b64 v[48:49], v48, v[0:1]
	v_and_b32_e32 v48, 7, v48
; %bb.1372:                             ;   in Loop: Header=BB304_806 Depth=1
	s_or_b32 exec_lo, exec_lo, s20
	v_lshlrev_b32_e32 v49, 8, v12
	v_lshl_add_u32 v50, v51, 10, 0x2000
	v_lshlrev_b32_e32 v48, 7, v48
	v_and_b32_e32 v49, 0x8000, v49
	v_and_b32_e32 v50, 0xfc00, v50
	v_or3_b32 v48, v49, v50, v48
.LBB304_1373:                           ;   in Loop: Header=BB304_806 Depth=1
	s_or_b32 exec_lo, exec_lo, s18
.LBB304_1374:                           ;   in Loop: Header=BB304_806 Depth=1
	s_or_b32 exec_lo, exec_lo, s17
.LBB304_1375:                           ;   in Loop: Header=BB304_806 Depth=1
	s_or_b32 exec_lo, exec_lo, s16
	v_lshrrev_b16 v0, 8, v0
	v_mov_b32_e32 v51, 0
	s_mov_b32 s16, exec_lo
	v_cmpx_ne_u16_e32 0, v0
	s_cbranch_execz .LBB304_1383
; %bb.1376:                             ;   in Loop: Header=BB304_806 Depth=1
	v_bfrev_b32_e32 v51, 1
	s_mov_b32 s17, exec_lo
	v_cmpx_ne_u16_e32 0x80, v0
	s_cbranch_execz .LBB304_1382
; %bb.1377:                             ;   in Loop: Header=BB304_806 Depth=1
	v_and_b32_sdwa v119, v0, v53 dst_sel:DWORD dst_unused:UNUSED_PAD src0_sel:WORD_0 src1_sel:DWORD
	v_mov_b32_e32 v51, 0x7c010000
	s_mov_b32 s18, exec_lo
	v_cmpx_ne_u32_e32 0x7f, v119
	s_cbranch_execz .LBB304_1381
; %bb.1378:                             ;   in Loop: Header=BB304_806 Depth=1
	v_and_b32_sdwa v51, v0, v54 dst_sel:DWORD dst_unused:UNUSED_PAD src0_sel:WORD_0 src1_sel:DWORD
	v_lshrrev_b32_e32 v118, 3, v119
	s_mov_b32 s20, exec_lo
	v_cmpx_gt_u32_e32 8, v119
; %bb.1379:                             ;   in Loop: Header=BB304_806 Depth=1
	v_ffbh_u32_e32 v49, v51
	v_min_u32_e32 v51, 32, v49
	v_subrev_nc_u32_e32 v49, 28, v51
	v_sub_nc_u32_e32 v118, 29, v51
	v_lshlrev_b64 v[49:50], v49, v[0:1]
	v_and_b32_e32 v51, 7, v49
; %bb.1380:                             ;   in Loop: Header=BB304_806 Depth=1
	s_or_b32 exec_lo, exec_lo, s20
	v_lshlrev_b32_sdwa v0, v67, v0 dst_sel:DWORD dst_unused:UNUSED_PAD src0_sel:DWORD src1_sel:WORD_0
	v_lshl_add_u32 v49, v118, 10, 0x2000
	v_and_or_b32 v0, 0x8000, v0, v49
	v_lshlrev_b32_e32 v49, 23, v51
	v_lshl_or_b32 v51, v0, 16, v49
.LBB304_1381:                           ;   in Loop: Header=BB304_806 Depth=1
	s_or_b32 exec_lo, exec_lo, s18
.LBB304_1382:                           ;   in Loop: Header=BB304_806 Depth=1
	s_or_b32 exec_lo, exec_lo, s17
.LBB304_1383:                           ;   in Loop: Header=BB304_806 Depth=1
	s_or_b32 exec_lo, exec_lo, s16
	v_lshrrev_b32_e32 v0, 16, v12
	v_cmp_ne_u16_sdwa s4, v0, v1 src0_sel:BYTE_0 src1_sel:DWORD
	s_and_saveexec_b32 s16, s4
	s_cbranch_execz .LBB304_1391
; %bb.1384:                             ;   in Loop: Header=BB304_806 Depth=1
	v_cmp_ne_u16_sdwa s4, v0, v17 src0_sel:BYTE_0 src1_sel:DWORD
	v_mov_b32_e32 v6, 0x8000
	s_and_saveexec_b32 s17, s4
	s_cbranch_execz .LBB304_1390
; %bb.1385:                             ;   in Loop: Header=BB304_806 Depth=1
	v_bfe_u32 v119, v12, 16, 7
	v_mov_b32_e32 v6, 0x7c01
	s_mov_b32 s18, exec_lo
	v_cmpx_ne_u32_e32 0x7f, v119
	s_cbranch_execz .LBB304_1389
; %bb.1386:                             ;   in Loop: Header=BB304_806 Depth=1
	v_and_b32_e32 v6, 7, v0
	v_lshrrev_b32_e32 v118, 3, v119
	s_mov_b32 s20, exec_lo
	v_cmpx_gt_u32_e32 8, v119
; %bb.1387:                             ;   in Loop: Header=BB304_806 Depth=1
	v_ffbh_u32_e32 v6, v6
	v_min_u32_e32 v6, 32, v6
	v_subrev_nc_u32_e32 v49, 28, v6
	v_sub_nc_u32_e32 v118, 29, v6
	v_lshlrev_b64 v[49:50], v49, v[0:1]
	v_and_b32_e32 v6, 7, v49
; %bb.1388:                             ;   in Loop: Header=BB304_806 Depth=1
	s_or_b32 exec_lo, exec_lo, s20
	v_lshlrev_b32_e32 v0, 8, v0
	v_lshl_add_u32 v49, v118, 10, 0x2000
	v_lshlrev_b32_e32 v6, 7, v6
	v_and_b32_e32 v0, 0x8000, v0
	v_and_b32_e32 v49, 0xfc00, v49
	v_or3_b32 v6, v0, v49, v6
.LBB304_1389:                           ;   in Loop: Header=BB304_806 Depth=1
	s_or_b32 exec_lo, exec_lo, s18
.LBB304_1390:                           ;   in Loop: Header=BB304_806 Depth=1
	s_or_b32 exec_lo, exec_lo, s17
.LBB304_1391:                           ;   in Loop: Header=BB304_806 Depth=1
	s_or_b32 exec_lo, exec_lo, s16
	v_cmp_lt_u64_e64 s4, s[12:13], v[11:12]
	v_mov_b32_e32 v11, 0
	s_and_saveexec_b32 s16, s4
	s_cbranch_execz .LBB304_1399
; %bb.1392:                             ;   in Loop: Header=BB304_806 Depth=1
	v_lshrrev_b32_e32 v0, 24, v12
	v_bfrev_b32_e32 v11, 1
	s_mov_b32 s17, exec_lo
	v_cmpx_ne_u32_e32 0x80, v0
	s_cbranch_execz .LBB304_1398
; %bb.1393:                             ;   in Loop: Header=BB304_806 Depth=1
	v_and_b32_e32 v118, 0x7f, v0
	v_mov_b32_e32 v11, 0x7c010000
	s_mov_b32 s18, exec_lo
	v_cmpx_ne_u32_e32 0x7f, v118
	s_cbranch_execz .LBB304_1397
; %bb.1394:                             ;   in Loop: Header=BB304_806 Depth=1
	v_and_b32_e32 v11, 7, v0
	v_lshrrev_b32_e32 v12, 3, v118
	s_mov_b32 s20, exec_lo
	v_cmpx_gt_u32_e32 8, v118
; %bb.1395:                             ;   in Loop: Header=BB304_806 Depth=1
	v_ffbh_u32_e32 v11, v11
	v_min_u32_e32 v49, 32, v11
	v_subrev_nc_u32_e32 v11, 28, v49
	v_lshlrev_b64 v[11:12], v11, v[0:1]
	v_sub_nc_u32_e32 v12, 29, v49
	v_and_b32_e32 v11, 7, v11
; %bb.1396:                             ;   in Loop: Header=BB304_806 Depth=1
	s_or_b32 exec_lo, exec_lo, s20
	v_lshlrev_b32_e32 v0, 8, v0
	v_lshl_add_u32 v12, v12, 10, 0x2000
	v_lshlrev_b32_e32 v11, 23, v11
	v_and_or_b32 v0, 0x8000, v0, v12
	v_lshl_or_b32 v11, v0, 16, v11
.LBB304_1397:                           ;   in Loop: Header=BB304_806 Depth=1
	s_or_b32 exec_lo, exec_lo, s18
.LBB304_1398:                           ;   in Loop: Header=BB304_806 Depth=1
	s_or_b32 exec_lo, exec_lo, s17
.LBB304_1399:                           ;   in Loop: Header=BB304_806 Depth=1
	s_or_b32 exec_lo, exec_lo, s16
	v_or_b32_e32 v0, v38, v117
	s_waitcnt vmcnt(0) lgkmcnt(0)
	v_fma_mixlo_f16 v12, v35, v38, 0 op_sel:[0,1,0] op_sel_hi:[0,1,0]
	v_or_b32_e32 v38, v22, v37
	v_fma_mixlo_f16 v22, v35, v22, 0 op_sel:[0,1,0] op_sel_hi:[0,1,0]
	v_or_b32_e32 v48, v51, v48
	v_fma_mixlo_f16 v49, v35, v0, 0 op_sel_hi:[0,1,0]
	v_or_b32_e32 v6, v11, v6
	v_lshlrev_b32_e32 v0, 16, v12
	v_lshlrev_b32_e32 v37, 16, v22
	v_fma_mixlo_f16 v22, v35, v38, 0 op_sel_hi:[0,1,0]
	v_and_b32_e32 v12, 0xffff, v49
	v_fma_mixlo_f16 v38, v35, v51, 0 op_sel:[0,1,0] op_sel_hi:[0,1,0]
	v_fma_mixlo_f16 v48, v35, v48, 0 op_sel_hi:[0,1,0]
	v_fma_mixlo_f16 v49, v35, v11, 0 op_sel:[0,1,0] op_sel_hi:[0,1,0]
	v_fma_mixlo_f16 v35, v35, v6, 0 op_sel_hi:[0,1,0]
	v_and_b32_e32 v118, 0xffff, v22
	v_lshlrev_b32_e32 v11, 16, v38
	v_and_b32_e32 v38, 0xffff, v48
	v_lshlrev_b32_e32 v6, 16, v49
	v_and_b32_e32 v22, 0xffff, v35
	v_or_b32_e32 v35, v0, v12
	v_or_b32_e32 v117, v37, v118
	v_or_b32_e32 v51, v11, v38
	v_or_b32_e32 v48, v6, v22
	s_and_saveexec_b32 s16, vcc_lo
	s_cbranch_execz .LBB304_1401
; %bb.1400:                             ;   in Loop: Header=BB304_806 Depth=1
	v_cmp_lt_i32_e64 s4, v18, v36
	v_cndmask_b32_e64 v35, 0, v118, s4
	v_cmp_lt_i32_e64 s4, v96, v36
	v_cndmask_b32_e64 v37, 0, v37, s4
	v_cmp_lt_i32_e64 s4, v87, v36
	v_or_b32_e32 v117, v35, v37
	v_cndmask_b32_e64 v12, 0, v12, s4
	v_cmp_lt_i32_e64 s4, v86, v36
	v_cndmask_b32_e64 v0, 0, v0, s4
	v_cmp_lt_i32_e64 s4, v84, v36
	v_or_b32_e32 v35, v12, v0
	;; [unrolled: 5-line block ×3, first 2 shown]
	v_cndmask_b32_e64 v22, 0, v22, s4
	v_cmp_lt_i32_e64 s4, v71, v36
	v_cndmask_b32_e64 v6, 0, v6, s4
	v_or_b32_e32 v48, v22, v6
.LBB304_1401:                           ;   in Loop: Header=BB304_806 Depth=1
	s_or_b32 exec_lo, exec_lo, s16
	;;#ASMSTART
	v_pk_mul_f16 v0, v85, v117;

	;;#ASMEND
	;;#ASMSTART
	v_pk_mul_f16 v6, v82, v35;

	;;#ASMEND
	;; [unrolled: 4-line block ×4, first 2 shown]
	;;#ASMSTART
	v_pk_add_f16 v0, v0, v6;

	;;#ASMEND
	;;#ASMSTART
	v_pk_add_f16 v0, v0, v11;

	;;#ASMEND
	;; [unrolled: 4-line block ×3, first 2 shown]
	v_and_b32_e32 v6, 0xffff, v0
	v_lshrrev_b32_e32 v0, 16, v0
	;;#ASMSTART
	v_cvt_f32_f16 v35, v6;
	;;#ASMEND
	;;#ASMSTART
	v_cvt_f32_f16 v37, v0;
	;;#ASMEND
	flat_load_dwordx2 v[11:12], v[9:10] offset:256
	flat_load_dword v38, v[26:27]
	v_mov_b32_e32 v22, 0
	v_mov_b32_e32 v117, 0
	s_waitcnt vmcnt(1) lgkmcnt(1)
	v_cmp_ne_u16_sdwa s4, v11, v1 src0_sel:BYTE_0 src1_sel:DWORD
	s_and_saveexec_b32 s16, s4
	s_cbranch_execz .LBB304_1409
; %bb.1402:                             ;   in Loop: Header=BB304_806 Depth=1
	v_cmp_ne_u16_sdwa s4, v11, v17 src0_sel:BYTE_0 src1_sel:DWORD
	v_mov_b32_e32 v117, 0x8000
	s_and_saveexec_b32 s17, s4
	s_cbranch_execz .LBB304_1408
; %bb.1403:                             ;   in Loop: Header=BB304_806 Depth=1
	v_and_b32_e32 v48, 0x7f, v11
	v_mov_b32_e32 v117, 0x7c01
	s_mov_b32 s18, exec_lo
	v_cmpx_ne_u32_e32 0x7f, v48
	s_cbranch_execz .LBB304_1407
; %bb.1404:                             ;   in Loop: Header=BB304_806 Depth=1
	v_and_b32_e32 v0, 7, v11
	v_lshrrev_b32_e32 v6, 3, v48
	s_mov_b32 s20, exec_lo
	v_cmpx_gt_u32_e32 8, v48
; %bb.1405:                             ;   in Loop: Header=BB304_806 Depth=1
	v_ffbh_u32_e32 v0, v0
	v_min_u32_e32 v0, 32, v0
	v_subrev_nc_u32_e32 v6, 28, v0
	v_lshlrev_b64 v[48:49], v6, v[11:12]
	v_sub_nc_u32_e32 v6, 29, v0
	v_and_b32_e32 v0, 7, v48
; %bb.1406:                             ;   in Loop: Header=BB304_806 Depth=1
	s_or_b32 exec_lo, exec_lo, s20
	v_lshlrev_b32_e32 v48, 8, v11
	v_lshl_add_u32 v6, v6, 10, 0x2000
	v_lshlrev_b32_e32 v0, 7, v0
	v_and_b32_e32 v48, 0x8000, v48
	v_and_b32_e32 v6, 0xfc00, v6
	v_or3_b32 v117, v48, v6, v0
.LBB304_1407:                           ;   in Loop: Header=BB304_806 Depth=1
	s_or_b32 exec_lo, exec_lo, s18
.LBB304_1408:                           ;   in Loop: Header=BB304_806 Depth=1
	s_or_b32 exec_lo, exec_lo, s17
.LBB304_1409:                           ;   in Loop: Header=BB304_806 Depth=1
	s_or_b32 exec_lo, exec_lo, s16
	v_lshrrev_b16 v0, 8, v11
	s_mov_b32 s16, exec_lo
	v_cmpx_ne_u16_e32 0, v0
	s_cbranch_execz .LBB304_1417
; %bb.1410:                             ;   in Loop: Header=BB304_806 Depth=1
	v_bfrev_b32_e32 v22, 1
	s_mov_b32 s17, exec_lo
	v_cmpx_ne_u16_e32 0x80, v0
	s_cbranch_execz .LBB304_1416
; %bb.1411:                             ;   in Loop: Header=BB304_806 Depth=1
	v_and_b32_sdwa v48, v0, v53 dst_sel:DWORD dst_unused:UNUSED_PAD src0_sel:WORD_0 src1_sel:DWORD
	v_mov_b32_e32 v22, 0x7c010000
	s_mov_b32 s18, exec_lo
	v_cmpx_ne_u32_e32 0x7f, v48
	s_cbranch_execz .LBB304_1415
; %bb.1412:                             ;   in Loop: Header=BB304_806 Depth=1
	v_and_b32_sdwa v6, v0, v54 dst_sel:DWORD dst_unused:UNUSED_PAD src0_sel:WORD_0 src1_sel:DWORD
	v_lshrrev_b32_e32 v22, 3, v48
	s_mov_b32 s20, exec_lo
	v_cmpx_gt_u32_e32 8, v48
; %bb.1413:                             ;   in Loop: Header=BB304_806 Depth=1
	v_ffbh_u32_e32 v6, v6
	v_min_u32_e32 v6, 32, v6
	v_subrev_nc_u32_e32 v22, 28, v6
	v_lshlrev_b64 v[48:49], v22, v[0:1]
	v_sub_nc_u32_e32 v22, 29, v6
	v_and_b32_e32 v6, 7, v48
; %bb.1414:                             ;   in Loop: Header=BB304_806 Depth=1
	s_or_b32 exec_lo, exec_lo, s20
	v_lshlrev_b32_sdwa v0, v67, v0 dst_sel:DWORD dst_unused:UNUSED_PAD src0_sel:DWORD src1_sel:WORD_0
	v_lshl_add_u32 v22, v22, 10, 0x2000
	v_lshlrev_b32_e32 v6, 23, v6
	v_and_or_b32 v0, 0x8000, v0, v22
	v_lshl_or_b32 v22, v0, 16, v6
.LBB304_1415:                           ;   in Loop: Header=BB304_806 Depth=1
	s_or_b32 exec_lo, exec_lo, s18
.LBB304_1416:                           ;   in Loop: Header=BB304_806 Depth=1
	s_or_b32 exec_lo, exec_lo, s17
.LBB304_1417:                           ;   in Loop: Header=BB304_806 Depth=1
	s_or_b32 exec_lo, exec_lo, s16
	v_lshrrev_b32_e32 v0, 16, v11
	v_mov_b32_e32 v118, 0
	v_mov_b32_e32 v119, 0
	v_cmp_ne_u16_sdwa s4, v0, v1 src0_sel:BYTE_0 src1_sel:DWORD
	s_and_saveexec_b32 s16, s4
	s_cbranch_execz .LBB304_1425
; %bb.1418:                             ;   in Loop: Header=BB304_806 Depth=1
	v_cmp_ne_u16_sdwa s4, v0, v17 src0_sel:BYTE_0 src1_sel:DWORD
	v_mov_b32_e32 v119, 0x8000
	s_and_saveexec_b32 s17, s4
	s_cbranch_execz .LBB304_1424
; %bb.1419:                             ;   in Loop: Header=BB304_806 Depth=1
	v_bfe_u32 v51, v11, 16, 7
	v_mov_b32_e32 v119, 0x7c01
	s_mov_b32 s18, exec_lo
	v_cmpx_ne_u32_e32 0x7f, v51
	s_cbranch_execz .LBB304_1423
; %bb.1420:                             ;   in Loop: Header=BB304_806 Depth=1
	v_and_b32_e32 v6, 7, v0
	v_lshrrev_b32_e32 v48, 3, v51
	s_mov_b32 s20, exec_lo
	v_cmpx_gt_u32_e32 8, v51
; %bb.1421:                             ;   in Loop: Header=BB304_806 Depth=1
	v_ffbh_u32_e32 v6, v6
	v_min_u32_e32 v6, 32, v6
	v_subrev_nc_u32_e32 v48, 28, v6
	v_lshlrev_b64 v[49:50], v48, v[0:1]
	v_sub_nc_u32_e32 v48, 29, v6
	v_and_b32_e32 v6, 7, v49
; %bb.1422:                             ;   in Loop: Header=BB304_806 Depth=1
	s_or_b32 exec_lo, exec_lo, s20
	v_lshlrev_b32_e32 v0, 8, v0
	v_lshl_add_u32 v48, v48, 10, 0x2000
	v_lshlrev_b32_e32 v6, 7, v6
	v_and_b32_e32 v0, 0x8000, v0
	v_and_b32_e32 v48, 0xfc00, v48
	v_or3_b32 v119, v0, v48, v6
.LBB304_1423:                           ;   in Loop: Header=BB304_806 Depth=1
	s_or_b32 exec_lo, exec_lo, s18
.LBB304_1424:                           ;   in Loop: Header=BB304_806 Depth=1
	s_or_b32 exec_lo, exec_lo, s17
.LBB304_1425:                           ;   in Loop: Header=BB304_806 Depth=1
	s_or_b32 exec_lo, exec_lo, s16
	s_mov_b32 s16, exec_lo
	v_cmpx_lt_u32_e32 0xffffff, v11
	s_cbranch_execz .LBB304_1433
; %bb.1426:                             ;   in Loop: Header=BB304_806 Depth=1
	v_lshrrev_b32_e32 v0, 24, v11
	v_bfrev_b32_e32 v118, 1
	s_mov_b32 s17, exec_lo
	v_cmpx_ne_u32_e32 0x80, v0
	s_cbranch_execz .LBB304_1432
; %bb.1427:                             ;   in Loop: Header=BB304_806 Depth=1
	v_and_b32_e32 v51, 0x7f, v0
	v_mov_b32_e32 v118, 0x7c010000
	s_mov_b32 s18, exec_lo
	v_cmpx_ne_u32_e32 0x7f, v51
	s_cbranch_execz .LBB304_1431
; %bb.1428:                             ;   in Loop: Header=BB304_806 Depth=1
	v_and_b32_e32 v6, 7, v0
	v_lshrrev_b32_e32 v48, 3, v51
	s_mov_b32 s20, exec_lo
	v_cmpx_gt_u32_e32 8, v51
; %bb.1429:                             ;   in Loop: Header=BB304_806 Depth=1
	v_ffbh_u32_e32 v6, v6
	v_min_u32_e32 v6, 32, v6
	v_subrev_nc_u32_e32 v48, 28, v6
	v_lshlrev_b64 v[49:50], v48, v[0:1]
	v_sub_nc_u32_e32 v48, 29, v6
	v_and_b32_e32 v6, 7, v49
; %bb.1430:                             ;   in Loop: Header=BB304_806 Depth=1
	s_or_b32 exec_lo, exec_lo, s20
	v_lshlrev_b32_e32 v0, 8, v0
	v_lshl_add_u32 v48, v48, 10, 0x2000
	v_lshlrev_b32_e32 v6, 23, v6
	v_and_or_b32 v0, 0x8000, v0, v48
	v_lshl_or_b32 v118, v0, 16, v6
.LBB304_1431:                           ;   in Loop: Header=BB304_806 Depth=1
	s_or_b32 exec_lo, exec_lo, s18
.LBB304_1432:                           ;   in Loop: Header=BB304_806 Depth=1
	s_or_b32 exec_lo, exec_lo, s17
.LBB304_1433:                           ;   in Loop: Header=BB304_806 Depth=1
	s_or_b32 exec_lo, exec_lo, s16
	v_mov_b32_e32 v0, v12
	v_cmp_ne_u16_sdwa s4, v12, v1 src0_sel:BYTE_0 src1_sel:DWORD
	v_mov_b32_e32 v6, 0
	v_mov_b32_e32 v48, 0
	s_and_saveexec_b32 s16, s4
	s_cbranch_execz .LBB304_1441
; %bb.1434:                             ;   in Loop: Header=BB304_806 Depth=1
	v_cmp_ne_u16_sdwa s4, v12, v17 src0_sel:BYTE_0 src1_sel:DWORD
	v_mov_b32_e32 v48, 0x8000
	s_and_saveexec_b32 s17, s4
	s_cbranch_execz .LBB304_1440
; %bb.1435:                             ;   in Loop: Header=BB304_806 Depth=1
	v_and_b32_e32 v40, 0x7f, v12
	v_mov_b32_e32 v48, 0x7c01
	s_mov_b32 s18, exec_lo
	v_cmpx_ne_u32_e32 0x7f, v40
	s_cbranch_execz .LBB304_1439
; %bb.1436:                             ;   in Loop: Header=BB304_806 Depth=1
	v_and_b32_e32 v48, 7, v12
	v_lshrrev_b32_e32 v51, 3, v40
	s_mov_b32 s20, exec_lo
	v_cmpx_gt_u32_e32 8, v40
; %bb.1437:                             ;   in Loop: Header=BB304_806 Depth=1
	v_ffbh_u32_e32 v48, v48
	v_min_u32_e32 v50, 32, v48
	v_subrev_nc_u32_e32 v48, 28, v50
	v_sub_nc_u32_e32 v51, 29, v50
	v_lshlrev_b64 v[48:49], v48, v[0:1]
	v_and_b32_e32 v48, 7, v48
; %bb.1438:                             ;   in Loop: Header=BB304_806 Depth=1
	s_or_b32 exec_lo, exec_lo, s20
	v_lshlrev_b32_e32 v49, 8, v12
	v_lshl_add_u32 v50, v51, 10, 0x2000
	v_lshlrev_b32_e32 v48, 7, v48
	v_and_b32_e32 v49, 0x8000, v49
	v_and_b32_e32 v50, 0xfc00, v50
	v_or3_b32 v48, v49, v50, v48
.LBB304_1439:                           ;   in Loop: Header=BB304_806 Depth=1
	s_or_b32 exec_lo, exec_lo, s18
.LBB304_1440:                           ;   in Loop: Header=BB304_806 Depth=1
	s_or_b32 exec_lo, exec_lo, s17
.LBB304_1441:                           ;   in Loop: Header=BB304_806 Depth=1
	s_or_b32 exec_lo, exec_lo, s16
	v_lshrrev_b16 v0, 8, v0
	v_mov_b32_e32 v51, 0
	s_mov_b32 s16, exec_lo
	v_cmpx_ne_u16_e32 0, v0
	s_cbranch_execz .LBB304_1449
; %bb.1442:                             ;   in Loop: Header=BB304_806 Depth=1
	v_bfrev_b32_e32 v51, 1
	s_mov_b32 s17, exec_lo
	v_cmpx_ne_u16_e32 0x80, v0
	s_cbranch_execz .LBB304_1448
; %bb.1443:                             ;   in Loop: Header=BB304_806 Depth=1
	v_and_b32_sdwa v41, v0, v53 dst_sel:DWORD dst_unused:UNUSED_PAD src0_sel:WORD_0 src1_sel:DWORD
	v_mov_b32_e32 v51, 0x7c010000
	s_mov_b32 s18, exec_lo
	v_cmpx_ne_u32_e32 0x7f, v41
	s_cbranch_execz .LBB304_1447
; %bb.1444:                             ;   in Loop: Header=BB304_806 Depth=1
	v_and_b32_sdwa v51, v0, v54 dst_sel:DWORD dst_unused:UNUSED_PAD src0_sel:WORD_0 src1_sel:DWORD
	v_lshrrev_b32_e32 v40, 3, v41
	s_mov_b32 s20, exec_lo
	v_cmpx_gt_u32_e32 8, v41
; %bb.1445:                             ;   in Loop: Header=BB304_806 Depth=1
	v_ffbh_u32_e32 v49, v51
	v_min_u32_e32 v51, 32, v49
	v_subrev_nc_u32_e32 v49, 28, v51
	v_sub_nc_u32_e32 v40, 29, v51
	v_lshlrev_b64 v[49:50], v49, v[0:1]
	v_and_b32_e32 v51, 7, v49
; %bb.1446:                             ;   in Loop: Header=BB304_806 Depth=1
	s_or_b32 exec_lo, exec_lo, s20
	v_lshlrev_b32_sdwa v0, v67, v0 dst_sel:DWORD dst_unused:UNUSED_PAD src0_sel:DWORD src1_sel:WORD_0
	v_lshl_add_u32 v49, v40, 10, 0x2000
	v_and_or_b32 v0, 0x8000, v0, v49
	v_lshlrev_b32_e32 v49, 23, v51
	v_lshl_or_b32 v51, v0, 16, v49
.LBB304_1447:                           ;   in Loop: Header=BB304_806 Depth=1
	s_or_b32 exec_lo, exec_lo, s18
.LBB304_1448:                           ;   in Loop: Header=BB304_806 Depth=1
	s_or_b32 exec_lo, exec_lo, s17
.LBB304_1449:                           ;   in Loop: Header=BB304_806 Depth=1
	s_or_b32 exec_lo, exec_lo, s16
	v_lshrrev_b32_e32 v0, 16, v12
	v_cmp_ne_u16_sdwa s4, v0, v1 src0_sel:BYTE_0 src1_sel:DWORD
	s_and_saveexec_b32 s16, s4
	s_cbranch_execz .LBB304_1457
; %bb.1450:                             ;   in Loop: Header=BB304_806 Depth=1
	v_cmp_ne_u16_sdwa s4, v0, v17 src0_sel:BYTE_0 src1_sel:DWORD
	v_mov_b32_e32 v6, 0x8000
	s_and_saveexec_b32 s17, s4
	s_cbranch_execz .LBB304_1456
; %bb.1451:                             ;   in Loop: Header=BB304_806 Depth=1
	v_bfe_u32 v41, v12, 16, 7
	v_mov_b32_e32 v6, 0x7c01
	s_mov_b32 s18, exec_lo
	v_cmpx_ne_u32_e32 0x7f, v41
	s_cbranch_execz .LBB304_1455
; %bb.1452:                             ;   in Loop: Header=BB304_806 Depth=1
	v_and_b32_e32 v6, 7, v0
	v_lshrrev_b32_e32 v40, 3, v41
	s_mov_b32 s20, exec_lo
	v_cmpx_gt_u32_e32 8, v41
; %bb.1453:                             ;   in Loop: Header=BB304_806 Depth=1
	v_ffbh_u32_e32 v6, v6
	v_min_u32_e32 v6, 32, v6
	v_subrev_nc_u32_e32 v49, 28, v6
	v_sub_nc_u32_e32 v40, 29, v6
	v_lshlrev_b64 v[49:50], v49, v[0:1]
	v_and_b32_e32 v6, 7, v49
; %bb.1454:                             ;   in Loop: Header=BB304_806 Depth=1
	s_or_b32 exec_lo, exec_lo, s20
	v_lshlrev_b32_e32 v0, 8, v0
	v_lshl_add_u32 v49, v40, 10, 0x2000
	v_lshlrev_b32_e32 v6, 7, v6
	v_and_b32_e32 v0, 0x8000, v0
	v_and_b32_e32 v49, 0xfc00, v49
	v_or3_b32 v6, v0, v49, v6
.LBB304_1455:                           ;   in Loop: Header=BB304_806 Depth=1
	s_or_b32 exec_lo, exec_lo, s18
.LBB304_1456:                           ;   in Loop: Header=BB304_806 Depth=1
	s_or_b32 exec_lo, exec_lo, s17
.LBB304_1457:                           ;   in Loop: Header=BB304_806 Depth=1
	s_or_b32 exec_lo, exec_lo, s16
	v_cmp_lt_u64_e64 s4, s[12:13], v[11:12]
	v_mov_b32_e32 v11, 0
	s_and_saveexec_b32 s16, s4
	s_cbranch_execz .LBB304_1465
; %bb.1458:                             ;   in Loop: Header=BB304_806 Depth=1
	v_lshrrev_b32_e32 v0, 24, v12
	v_bfrev_b32_e32 v11, 1
	s_mov_b32 s17, exec_lo
	v_cmpx_ne_u32_e32 0x80, v0
	s_cbranch_execz .LBB304_1464
; %bb.1459:                             ;   in Loop: Header=BB304_806 Depth=1
	v_and_b32_e32 v40, 0x7f, v0
	v_mov_b32_e32 v11, 0x7c010000
	s_mov_b32 s18, exec_lo
	v_cmpx_ne_u32_e32 0x7f, v40
	s_cbranch_execz .LBB304_1463
; %bb.1460:                             ;   in Loop: Header=BB304_806 Depth=1
	v_and_b32_e32 v11, 7, v0
	v_lshrrev_b32_e32 v12, 3, v40
	s_mov_b32 s20, exec_lo
	v_cmpx_gt_u32_e32 8, v40
; %bb.1461:                             ;   in Loop: Header=BB304_806 Depth=1
	v_ffbh_u32_e32 v11, v11
	v_min_u32_e32 v49, 32, v11
	v_subrev_nc_u32_e32 v11, 28, v49
	v_lshlrev_b64 v[11:12], v11, v[0:1]
	v_sub_nc_u32_e32 v12, 29, v49
	v_and_b32_e32 v11, 7, v11
; %bb.1462:                             ;   in Loop: Header=BB304_806 Depth=1
	s_or_b32 exec_lo, exec_lo, s20
	v_lshlrev_b32_e32 v0, 8, v0
	v_lshl_add_u32 v12, v12, 10, 0x2000
	v_lshlrev_b32_e32 v11, 23, v11
	v_and_or_b32 v0, 0x8000, v0, v12
	v_lshl_or_b32 v11, v0, 16, v11
.LBB304_1463:                           ;   in Loop: Header=BB304_806 Depth=1
	s_or_b32 exec_lo, exec_lo, s18
.LBB304_1464:                           ;   in Loop: Header=BB304_806 Depth=1
	s_or_b32 exec_lo, exec_lo, s17
.LBB304_1465:                           ;   in Loop: Header=BB304_806 Depth=1
	s_or_b32 exec_lo, exec_lo, s16
	v_or_b32_e32 v0, v118, v119
	s_waitcnt vmcnt(0) lgkmcnt(0)
	v_fma_mixlo_f16 v12, v38, v118, 0 op_sel:[0,1,0] op_sel_hi:[0,1,0]
	v_or_b32_e32 v49, v22, v117
	v_fma_mixlo_f16 v22, v38, v22, 0 op_sel:[0,1,0] op_sel_hi:[0,1,0]
	v_or_b32_e32 v50, v51, v48
	v_fma_mixlo_f16 v117, v38, v0, 0 op_sel_hi:[0,1,0]
	v_or_b32_e32 v6, v11, v6
	v_lshlrev_b32_e32 v0, 16, v12
	v_lshlrev_b32_e32 v48, 16, v22
	v_fma_mixlo_f16 v22, v38, v49, 0 op_sel_hi:[0,1,0]
	v_and_b32_e32 v12, 0xffff, v117
	v_fma_mixlo_f16 v49, v38, v51, 0 op_sel:[0,1,0] op_sel_hi:[0,1,0]
	v_fma_mixlo_f16 v50, v38, v50, 0 op_sel_hi:[0,1,0]
	v_fma_mixlo_f16 v117, v38, v11, 0 op_sel:[0,1,0] op_sel_hi:[0,1,0]
	v_fma_mixlo_f16 v38, v38, v6, 0 op_sel_hi:[0,1,0]
	v_and_b32_e32 v40, 0xffff, v22
	v_lshlrev_b32_e32 v11, 16, v49
	v_and_b32_e32 v51, 0xffff, v50
	v_lshlrev_b32_e32 v6, 16, v117
	v_and_b32_e32 v22, 0xffff, v38
	v_or_b32_e32 v38, v0, v12
	v_or_b32_e32 v119, v48, v40
	;; [unrolled: 1-line block ×4, first 2 shown]
	s_and_saveexec_b32 s16, vcc_lo
	s_cbranch_execz .LBB304_1467
; %bb.1466:                             ;   in Loop: Header=BB304_806 Depth=1
	v_cmp_lt_i32_e64 s4, v18, v36
	v_cndmask_b32_e64 v38, 0, v40, s4
	v_cmp_lt_i32_e64 s4, v96, v36
	v_cndmask_b32_e64 v48, 0, v48, s4
	v_cmp_lt_i32_e64 s4, v87, v36
	v_or_b32_e32 v119, v38, v48
	v_cndmask_b32_e64 v12, 0, v12, s4
	v_cmp_lt_i32_e64 s4, v86, v36
	v_cndmask_b32_e64 v0, 0, v0, s4
	v_cmp_lt_i32_e64 s4, v84, v36
	v_or_b32_e32 v38, v12, v0
	;; [unrolled: 5-line block ×3, first 2 shown]
	v_cndmask_b32_e64 v22, 0, v22, s4
	v_cmp_lt_i32_e64 s4, v71, v36
	v_cndmask_b32_e64 v6, 0, v6, s4
	v_or_b32_e32 v117, v22, v6
.LBB304_1467:                           ;   in Loop: Header=BB304_806 Depth=1
	s_or_b32 exec_lo, exec_lo, s16
	;;#ASMSTART
	v_pk_mul_f16 v0, v85, v119;

	;;#ASMEND
	;;#ASMSTART
	v_pk_mul_f16 v6, v82, v38;

	;;#ASMEND
	;; [unrolled: 4-line block ×4, first 2 shown]
	;;#ASMSTART
	v_pk_add_f16 v0, v0, v6;

	;;#ASMEND
	;;#ASMSTART
	v_pk_add_f16 v0, v0, v11;

	;;#ASMEND
	;; [unrolled: 4-line block ×3, first 2 shown]
	v_and_b32_e32 v6, 0xffff, v0
	v_lshrrev_b32_e32 v0, 16, v0
	;;#ASMSTART
	v_cvt_f32_f16 v38, v6;
	;;#ASMEND
	;;#ASMSTART
	v_cvt_f32_f16 v117, v0;
	;;#ASMEND
	flat_load_dwordx2 v[11:12], v[9:10] offset:512
	flat_load_dword v118, v[26:27]
	v_mov_b32_e32 v22, 0
	v_mov_b32_e32 v119, 0
	s_waitcnt vmcnt(1) lgkmcnt(1)
	v_cmp_ne_u16_sdwa s4, v11, v1 src0_sel:BYTE_0 src1_sel:DWORD
	s_and_saveexec_b32 s16, s4
	s_cbranch_execz .LBB304_1475
; %bb.1468:                             ;   in Loop: Header=BB304_806 Depth=1
	v_cmp_ne_u16_sdwa s4, v11, v17 src0_sel:BYTE_0 src1_sel:DWORD
	v_mov_b32_e32 v119, 0x8000
	s_and_saveexec_b32 s17, s4
	s_cbranch_execz .LBB304_1474
; %bb.1469:                             ;   in Loop: Header=BB304_806 Depth=1
	v_and_b32_e32 v48, 0x7f, v11
	v_mov_b32_e32 v119, 0x7c01
	s_mov_b32 s18, exec_lo
	v_cmpx_ne_u32_e32 0x7f, v48
	s_cbranch_execz .LBB304_1473
; %bb.1470:                             ;   in Loop: Header=BB304_806 Depth=1
	v_and_b32_e32 v0, 7, v11
	v_lshrrev_b32_e32 v6, 3, v48
	s_mov_b32 s20, exec_lo
	v_cmpx_gt_u32_e32 8, v48
; %bb.1471:                             ;   in Loop: Header=BB304_806 Depth=1
	v_ffbh_u32_e32 v0, v0
	v_min_u32_e32 v0, 32, v0
	v_subrev_nc_u32_e32 v6, 28, v0
	v_lshlrev_b64 v[48:49], v6, v[11:12]
	v_sub_nc_u32_e32 v6, 29, v0
	v_and_b32_e32 v0, 7, v48
; %bb.1472:                             ;   in Loop: Header=BB304_806 Depth=1
	s_or_b32 exec_lo, exec_lo, s20
	v_lshlrev_b32_e32 v48, 8, v11
	v_lshl_add_u32 v6, v6, 10, 0x2000
	v_lshlrev_b32_e32 v0, 7, v0
	v_and_b32_e32 v48, 0x8000, v48
	v_and_b32_e32 v6, 0xfc00, v6
	v_or3_b32 v119, v48, v6, v0
.LBB304_1473:                           ;   in Loop: Header=BB304_806 Depth=1
	s_or_b32 exec_lo, exec_lo, s18
.LBB304_1474:                           ;   in Loop: Header=BB304_806 Depth=1
	s_or_b32 exec_lo, exec_lo, s17
.LBB304_1475:                           ;   in Loop: Header=BB304_806 Depth=1
	s_or_b32 exec_lo, exec_lo, s16
	v_lshrrev_b16 v0, 8, v11
	s_mov_b32 s16, exec_lo
	v_cmpx_ne_u16_e32 0, v0
	s_cbranch_execz .LBB304_1483
; %bb.1476:                             ;   in Loop: Header=BB304_806 Depth=1
	v_bfrev_b32_e32 v22, 1
	s_mov_b32 s17, exec_lo
	v_cmpx_ne_u16_e32 0x80, v0
	s_cbranch_execz .LBB304_1482
; %bb.1477:                             ;   in Loop: Header=BB304_806 Depth=1
	v_and_b32_sdwa v48, v0, v53 dst_sel:DWORD dst_unused:UNUSED_PAD src0_sel:WORD_0 src1_sel:DWORD
	v_mov_b32_e32 v22, 0x7c010000
	s_mov_b32 s18, exec_lo
	v_cmpx_ne_u32_e32 0x7f, v48
	s_cbranch_execz .LBB304_1481
; %bb.1478:                             ;   in Loop: Header=BB304_806 Depth=1
	v_and_b32_sdwa v6, v0, v54 dst_sel:DWORD dst_unused:UNUSED_PAD src0_sel:WORD_0 src1_sel:DWORD
	v_lshrrev_b32_e32 v22, 3, v48
	s_mov_b32 s20, exec_lo
	v_cmpx_gt_u32_e32 8, v48
; %bb.1479:                             ;   in Loop: Header=BB304_806 Depth=1
	v_ffbh_u32_e32 v6, v6
	v_min_u32_e32 v6, 32, v6
	v_subrev_nc_u32_e32 v22, 28, v6
	v_lshlrev_b64 v[48:49], v22, v[0:1]
	v_sub_nc_u32_e32 v22, 29, v6
	v_and_b32_e32 v6, 7, v48
; %bb.1480:                             ;   in Loop: Header=BB304_806 Depth=1
	s_or_b32 exec_lo, exec_lo, s20
	v_lshlrev_b32_sdwa v0, v67, v0 dst_sel:DWORD dst_unused:UNUSED_PAD src0_sel:DWORD src1_sel:WORD_0
	v_lshl_add_u32 v22, v22, 10, 0x2000
	v_lshlrev_b32_e32 v6, 23, v6
	v_and_or_b32 v0, 0x8000, v0, v22
	v_lshl_or_b32 v22, v0, 16, v6
.LBB304_1481:                           ;   in Loop: Header=BB304_806 Depth=1
	s_or_b32 exec_lo, exec_lo, s18
.LBB304_1482:                           ;   in Loop: Header=BB304_806 Depth=1
	s_or_b32 exec_lo, exec_lo, s17
.LBB304_1483:                           ;   in Loop: Header=BB304_806 Depth=1
	s_or_b32 exec_lo, exec_lo, s16
	v_lshrrev_b32_e32 v0, 16, v11
	v_mov_b32_e32 v40, 0
	v_mov_b32_e32 v41, 0
	v_cmp_ne_u16_sdwa s4, v0, v1 src0_sel:BYTE_0 src1_sel:DWORD
	s_and_saveexec_b32 s16, s4
	s_cbranch_execz .LBB304_1491
; %bb.1484:                             ;   in Loop: Header=BB304_806 Depth=1
	v_cmp_ne_u16_sdwa s4, v0, v17 src0_sel:BYTE_0 src1_sel:DWORD
	v_mov_b32_e32 v41, 0x8000
	s_and_saveexec_b32 s17, s4
	s_cbranch_execz .LBB304_1490
; %bb.1485:                             ;   in Loop: Header=BB304_806 Depth=1
	v_bfe_u32 v51, v11, 16, 7
	v_mov_b32_e32 v41, 0x7c01
	s_mov_b32 s18, exec_lo
	v_cmpx_ne_u32_e32 0x7f, v51
	s_cbranch_execz .LBB304_1489
; %bb.1486:                             ;   in Loop: Header=BB304_806 Depth=1
	v_and_b32_e32 v6, 7, v0
	v_lshrrev_b32_e32 v48, 3, v51
	s_mov_b32 s20, exec_lo
	v_cmpx_gt_u32_e32 8, v51
; %bb.1487:                             ;   in Loop: Header=BB304_806 Depth=1
	v_ffbh_u32_e32 v6, v6
	v_min_u32_e32 v6, 32, v6
	v_subrev_nc_u32_e32 v48, 28, v6
	v_lshlrev_b64 v[49:50], v48, v[0:1]
	v_sub_nc_u32_e32 v48, 29, v6
	v_and_b32_e32 v6, 7, v49
; %bb.1488:                             ;   in Loop: Header=BB304_806 Depth=1
	s_or_b32 exec_lo, exec_lo, s20
	v_lshlrev_b32_e32 v0, 8, v0
	v_lshl_add_u32 v48, v48, 10, 0x2000
	v_lshlrev_b32_e32 v6, 7, v6
	v_and_b32_e32 v0, 0x8000, v0
	v_and_b32_e32 v48, 0xfc00, v48
	v_or3_b32 v41, v0, v48, v6
.LBB304_1489:                           ;   in Loop: Header=BB304_806 Depth=1
	s_or_b32 exec_lo, exec_lo, s18
.LBB304_1490:                           ;   in Loop: Header=BB304_806 Depth=1
	s_or_b32 exec_lo, exec_lo, s17
.LBB304_1491:                           ;   in Loop: Header=BB304_806 Depth=1
	s_or_b32 exec_lo, exec_lo, s16
	s_mov_b32 s16, exec_lo
	v_cmpx_lt_u32_e32 0xffffff, v11
	s_cbranch_execz .LBB304_1499
; %bb.1492:                             ;   in Loop: Header=BB304_806 Depth=1
	v_lshrrev_b32_e32 v0, 24, v11
	v_bfrev_b32_e32 v40, 1
	s_mov_b32 s17, exec_lo
	v_cmpx_ne_u32_e32 0x80, v0
	s_cbranch_execz .LBB304_1498
; %bb.1493:                             ;   in Loop: Header=BB304_806 Depth=1
	v_and_b32_e32 v51, 0x7f, v0
	v_mov_b32_e32 v40, 0x7c010000
	s_mov_b32 s18, exec_lo
	v_cmpx_ne_u32_e32 0x7f, v51
	s_cbranch_execz .LBB304_1497
; %bb.1494:                             ;   in Loop: Header=BB304_806 Depth=1
	v_and_b32_e32 v6, 7, v0
	v_lshrrev_b32_e32 v48, 3, v51
	s_mov_b32 s20, exec_lo
	v_cmpx_gt_u32_e32 8, v51
; %bb.1495:                             ;   in Loop: Header=BB304_806 Depth=1
	v_ffbh_u32_e32 v6, v6
	v_min_u32_e32 v6, 32, v6
	v_subrev_nc_u32_e32 v48, 28, v6
	v_lshlrev_b64 v[49:50], v48, v[0:1]
	v_sub_nc_u32_e32 v48, 29, v6
	v_and_b32_e32 v6, 7, v49
; %bb.1496:                             ;   in Loop: Header=BB304_806 Depth=1
	s_or_b32 exec_lo, exec_lo, s20
	v_lshlrev_b32_e32 v0, 8, v0
	v_lshl_add_u32 v48, v48, 10, 0x2000
	v_lshlrev_b32_e32 v6, 23, v6
	v_and_or_b32 v0, 0x8000, v0, v48
	v_lshl_or_b32 v40, v0, 16, v6
.LBB304_1497:                           ;   in Loop: Header=BB304_806 Depth=1
	s_or_b32 exec_lo, exec_lo, s18
.LBB304_1498:                           ;   in Loop: Header=BB304_806 Depth=1
	s_or_b32 exec_lo, exec_lo, s17
.LBB304_1499:                           ;   in Loop: Header=BB304_806 Depth=1
	s_or_b32 exec_lo, exec_lo, s16
	v_mov_b32_e32 v0, v12
	v_cmp_ne_u16_sdwa s4, v12, v1 src0_sel:BYTE_0 src1_sel:DWORD
	v_mov_b32_e32 v6, 0
	v_mov_b32_e32 v48, 0
	s_and_saveexec_b32 s16, s4
	s_cbranch_execz .LBB304_1507
; %bb.1500:                             ;   in Loop: Header=BB304_806 Depth=1
	v_cmp_ne_u16_sdwa s4, v12, v17 src0_sel:BYTE_0 src1_sel:DWORD
	v_mov_b32_e32 v48, 0x8000
	s_and_saveexec_b32 s17, s4
	s_cbranch_execz .LBB304_1506
; %bb.1501:                             ;   in Loop: Header=BB304_806 Depth=1
	v_and_b32_e32 v42, 0x7f, v12
	v_mov_b32_e32 v48, 0x7c01
	s_mov_b32 s18, exec_lo
	v_cmpx_ne_u32_e32 0x7f, v42
	s_cbranch_execz .LBB304_1505
; %bb.1502:                             ;   in Loop: Header=BB304_806 Depth=1
	v_and_b32_e32 v48, 7, v12
	v_lshrrev_b32_e32 v51, 3, v42
	s_mov_b32 s20, exec_lo
	v_cmpx_gt_u32_e32 8, v42
; %bb.1503:                             ;   in Loop: Header=BB304_806 Depth=1
	v_ffbh_u32_e32 v48, v48
	v_min_u32_e32 v50, 32, v48
	v_subrev_nc_u32_e32 v48, 28, v50
	v_sub_nc_u32_e32 v51, 29, v50
	v_lshlrev_b64 v[48:49], v48, v[0:1]
	v_and_b32_e32 v48, 7, v48
; %bb.1504:                             ;   in Loop: Header=BB304_806 Depth=1
	s_or_b32 exec_lo, exec_lo, s20
	v_lshlrev_b32_e32 v49, 8, v12
	v_lshl_add_u32 v50, v51, 10, 0x2000
	v_lshlrev_b32_e32 v48, 7, v48
	v_and_b32_e32 v49, 0x8000, v49
	v_and_b32_e32 v50, 0xfc00, v50
	v_or3_b32 v48, v49, v50, v48
.LBB304_1505:                           ;   in Loop: Header=BB304_806 Depth=1
	s_or_b32 exec_lo, exec_lo, s18
.LBB304_1506:                           ;   in Loop: Header=BB304_806 Depth=1
	s_or_b32 exec_lo, exec_lo, s17
.LBB304_1507:                           ;   in Loop: Header=BB304_806 Depth=1
	s_or_b32 exec_lo, exec_lo, s16
	v_lshrrev_b16 v0, 8, v0
	v_mov_b32_e32 v51, 0
	s_mov_b32 s16, exec_lo
	v_cmpx_ne_u16_e32 0, v0
	s_cbranch_execz .LBB304_1515
; %bb.1508:                             ;   in Loop: Header=BB304_806 Depth=1
	v_bfrev_b32_e32 v51, 1
	s_mov_b32 s17, exec_lo
	v_cmpx_ne_u16_e32 0x80, v0
	s_cbranch_execz .LBB304_1514
; %bb.1509:                             ;   in Loop: Header=BB304_806 Depth=1
	v_and_b32_sdwa v43, v0, v53 dst_sel:DWORD dst_unused:UNUSED_PAD src0_sel:WORD_0 src1_sel:DWORD
	v_mov_b32_e32 v51, 0x7c010000
	s_mov_b32 s18, exec_lo
	v_cmpx_ne_u32_e32 0x7f, v43
	s_cbranch_execz .LBB304_1513
; %bb.1510:                             ;   in Loop: Header=BB304_806 Depth=1
	v_and_b32_sdwa v51, v0, v54 dst_sel:DWORD dst_unused:UNUSED_PAD src0_sel:WORD_0 src1_sel:DWORD
	v_lshrrev_b32_e32 v42, 3, v43
	s_mov_b32 s20, exec_lo
	v_cmpx_gt_u32_e32 8, v43
; %bb.1511:                             ;   in Loop: Header=BB304_806 Depth=1
	v_ffbh_u32_e32 v49, v51
	v_min_u32_e32 v51, 32, v49
	v_subrev_nc_u32_e32 v49, 28, v51
	v_sub_nc_u32_e32 v42, 29, v51
	v_lshlrev_b64 v[49:50], v49, v[0:1]
	v_and_b32_e32 v51, 7, v49
; %bb.1512:                             ;   in Loop: Header=BB304_806 Depth=1
	s_or_b32 exec_lo, exec_lo, s20
	v_lshlrev_b32_sdwa v0, v67, v0 dst_sel:DWORD dst_unused:UNUSED_PAD src0_sel:DWORD src1_sel:WORD_0
	v_lshl_add_u32 v49, v42, 10, 0x2000
	v_and_or_b32 v0, 0x8000, v0, v49
	v_lshlrev_b32_e32 v49, 23, v51
	v_lshl_or_b32 v51, v0, 16, v49
.LBB304_1513:                           ;   in Loop: Header=BB304_806 Depth=1
	s_or_b32 exec_lo, exec_lo, s18
.LBB304_1514:                           ;   in Loop: Header=BB304_806 Depth=1
	s_or_b32 exec_lo, exec_lo, s17
.LBB304_1515:                           ;   in Loop: Header=BB304_806 Depth=1
	s_or_b32 exec_lo, exec_lo, s16
	v_lshrrev_b32_e32 v0, 16, v12
	v_cmp_ne_u16_sdwa s4, v0, v1 src0_sel:BYTE_0 src1_sel:DWORD
	s_and_saveexec_b32 s16, s4
	s_cbranch_execz .LBB304_1523
; %bb.1516:                             ;   in Loop: Header=BB304_806 Depth=1
	v_cmp_ne_u16_sdwa s4, v0, v17 src0_sel:BYTE_0 src1_sel:DWORD
	v_mov_b32_e32 v6, 0x8000
	s_and_saveexec_b32 s17, s4
	s_cbranch_execz .LBB304_1522
; %bb.1517:                             ;   in Loop: Header=BB304_806 Depth=1
	v_bfe_u32 v43, v12, 16, 7
	v_mov_b32_e32 v6, 0x7c01
	s_mov_b32 s18, exec_lo
	v_cmpx_ne_u32_e32 0x7f, v43
	s_cbranch_execz .LBB304_1521
; %bb.1518:                             ;   in Loop: Header=BB304_806 Depth=1
	v_and_b32_e32 v6, 7, v0
	v_lshrrev_b32_e32 v42, 3, v43
	s_mov_b32 s20, exec_lo
	v_cmpx_gt_u32_e32 8, v43
; %bb.1519:                             ;   in Loop: Header=BB304_806 Depth=1
	v_ffbh_u32_e32 v6, v6
	v_min_u32_e32 v6, 32, v6
	v_subrev_nc_u32_e32 v49, 28, v6
	v_sub_nc_u32_e32 v42, 29, v6
	v_lshlrev_b64 v[49:50], v49, v[0:1]
	v_and_b32_e32 v6, 7, v49
; %bb.1520:                             ;   in Loop: Header=BB304_806 Depth=1
	s_or_b32 exec_lo, exec_lo, s20
	v_lshlrev_b32_e32 v0, 8, v0
	v_lshl_add_u32 v49, v42, 10, 0x2000
	v_lshlrev_b32_e32 v6, 7, v6
	v_and_b32_e32 v0, 0x8000, v0
	v_and_b32_e32 v49, 0xfc00, v49
	v_or3_b32 v6, v0, v49, v6
.LBB304_1521:                           ;   in Loop: Header=BB304_806 Depth=1
	s_or_b32 exec_lo, exec_lo, s18
.LBB304_1522:                           ;   in Loop: Header=BB304_806 Depth=1
	s_or_b32 exec_lo, exec_lo, s17
.LBB304_1523:                           ;   in Loop: Header=BB304_806 Depth=1
	s_or_b32 exec_lo, exec_lo, s16
	v_cmp_lt_u64_e64 s4, s[12:13], v[11:12]
	v_mov_b32_e32 v11, 0
	s_and_saveexec_b32 s16, s4
	s_cbranch_execz .LBB304_1531
; %bb.1524:                             ;   in Loop: Header=BB304_806 Depth=1
	v_lshrrev_b32_e32 v0, 24, v12
	v_bfrev_b32_e32 v11, 1
	s_mov_b32 s17, exec_lo
	v_cmpx_ne_u32_e32 0x80, v0
	s_cbranch_execz .LBB304_1530
; %bb.1525:                             ;   in Loop: Header=BB304_806 Depth=1
	v_and_b32_e32 v42, 0x7f, v0
	v_mov_b32_e32 v11, 0x7c010000
	s_mov_b32 s18, exec_lo
	v_cmpx_ne_u32_e32 0x7f, v42
	s_cbranch_execz .LBB304_1529
; %bb.1526:                             ;   in Loop: Header=BB304_806 Depth=1
	v_and_b32_e32 v11, 7, v0
	v_lshrrev_b32_e32 v12, 3, v42
	s_mov_b32 s20, exec_lo
	v_cmpx_gt_u32_e32 8, v42
; %bb.1527:                             ;   in Loop: Header=BB304_806 Depth=1
	v_ffbh_u32_e32 v11, v11
	v_min_u32_e32 v49, 32, v11
	v_subrev_nc_u32_e32 v11, 28, v49
	v_lshlrev_b64 v[11:12], v11, v[0:1]
	v_sub_nc_u32_e32 v12, 29, v49
	v_and_b32_e32 v11, 7, v11
; %bb.1528:                             ;   in Loop: Header=BB304_806 Depth=1
	s_or_b32 exec_lo, exec_lo, s20
	v_lshlrev_b32_e32 v0, 8, v0
	v_lshl_add_u32 v12, v12, 10, 0x2000
	v_lshlrev_b32_e32 v11, 23, v11
	v_and_or_b32 v0, 0x8000, v0, v12
	v_lshl_or_b32 v11, v0, 16, v11
.LBB304_1529:                           ;   in Loop: Header=BB304_806 Depth=1
	s_or_b32 exec_lo, exec_lo, s18
.LBB304_1530:                           ;   in Loop: Header=BB304_806 Depth=1
	s_or_b32 exec_lo, exec_lo, s17
.LBB304_1531:                           ;   in Loop: Header=BB304_806 Depth=1
	s_or_b32 exec_lo, exec_lo, s16
	v_or_b32_e32 v0, v40, v41
	s_waitcnt vmcnt(0) lgkmcnt(0)
	v_fma_mixlo_f16 v12, v118, v40, 0 op_sel:[0,1,0] op_sel_hi:[0,1,0]
	v_or_b32_e32 v49, v22, v119
	v_fma_mixlo_f16 v22, v118, v22, 0 op_sel:[0,1,0] op_sel_hi:[0,1,0]
	v_or_b32_e32 v50, v51, v48
	v_fma_mixlo_f16 v119, v118, v0, 0 op_sel_hi:[0,1,0]
	v_or_b32_e32 v6, v11, v6
	v_lshlrev_b32_e32 v0, 16, v12
	v_lshlrev_b32_e32 v48, 16, v22
	v_fma_mixlo_f16 v22, v118, v49, 0 op_sel_hi:[0,1,0]
	v_and_b32_e32 v12, 0xffff, v119
	v_fma_mixlo_f16 v49, v118, v51, 0 op_sel:[0,1,0] op_sel_hi:[0,1,0]
	v_fma_mixlo_f16 v50, v118, v50, 0 op_sel_hi:[0,1,0]
	v_fma_mixlo_f16 v51, v118, v11, 0 op_sel:[0,1,0] op_sel_hi:[0,1,0]
	v_fma_mixlo_f16 v119, v118, v6, 0 op_sel_hi:[0,1,0]
	v_and_b32_e32 v42, 0xffff, v22
	v_lshlrev_b32_e32 v11, 16, v49
	v_and_b32_e32 v118, 0xffff, v50
	v_lshlrev_b32_e32 v6, 16, v51
	v_and_b32_e32 v22, 0xffff, v119
	v_or_b32_e32 v51, v0, v12
	v_or_b32_e32 v41, v48, v42
	;; [unrolled: 1-line block ×4, first 2 shown]
	s_and_saveexec_b32 s16, vcc_lo
	s_cbranch_execz .LBB304_1533
; %bb.1532:                             ;   in Loop: Header=BB304_806 Depth=1
	v_cmp_lt_i32_e64 s4, v18, v36
	v_cndmask_b32_e64 v49, 0, v42, s4
	v_cmp_lt_i32_e64 s4, v96, v36
	v_cndmask_b32_e64 v48, 0, v48, s4
	v_cmp_lt_i32_e64 s4, v87, v36
	v_or_b32_e32 v41, v49, v48
	v_cndmask_b32_e64 v12, 0, v12, s4
	v_cmp_lt_i32_e64 s4, v86, v36
	v_cndmask_b32_e64 v0, 0, v0, s4
	v_cmp_lt_i32_e64 s4, v84, v36
	v_or_b32_e32 v51, v12, v0
	;; [unrolled: 5-line block ×3, first 2 shown]
	v_cndmask_b32_e64 v22, 0, v22, s4
	v_cmp_lt_i32_e64 s4, v71, v36
	v_cndmask_b32_e64 v6, 0, v6, s4
	v_or_b32_e32 v119, v22, v6
.LBB304_1533:                           ;   in Loop: Header=BB304_806 Depth=1
	s_or_b32 exec_lo, exec_lo, s16
	;;#ASMSTART
	v_pk_mul_f16 v0, v85, v41;

	;;#ASMEND
	;;#ASMSTART
	v_pk_mul_f16 v6, v82, v51;

	;;#ASMEND
	;; [unrolled: 4-line block ×4, first 2 shown]
	;;#ASMSTART
	v_pk_add_f16 v0, v0, v6;

	;;#ASMEND
	;;#ASMSTART
	v_pk_add_f16 v0, v0, v11;

	;;#ASMEND
	;; [unrolled: 4-line block ×3, first 2 shown]
	v_and_b32_e32 v6, 0xffff, v0
	v_lshrrev_b32_e32 v0, 16, v0
	;;#ASMSTART
	v_cvt_f32_f16 v11, v6;
	;;#ASMEND
	;;#ASMSTART
	v_cvt_f32_f16 v12, v0;
	;;#ASMEND
	flat_load_dwordx2 v[9:10], v[9:10] offset:768
	flat_load_dword v118, v[26:27]
	v_mov_b32_e32 v22, 0
	v_mov_b32_e32 v119, 0
	s_waitcnt vmcnt(1) lgkmcnt(1)
	v_cmp_ne_u16_sdwa s4, v9, v1 src0_sel:BYTE_0 src1_sel:DWORD
	s_and_saveexec_b32 s16, s4
	s_cbranch_execz .LBB304_1541
; %bb.1534:                             ;   in Loop: Header=BB304_806 Depth=1
	v_cmp_ne_u16_sdwa s4, v9, v17 src0_sel:BYTE_0 src1_sel:DWORD
	v_mov_b32_e32 v119, 0x8000
	s_and_saveexec_b32 s17, s4
	s_cbranch_execz .LBB304_1540
; %bb.1535:                             ;   in Loop: Header=BB304_806 Depth=1
	v_and_b32_e32 v48, 0x7f, v9
	v_mov_b32_e32 v119, 0x7c01
	s_mov_b32 s18, exec_lo
	v_cmpx_ne_u32_e32 0x7f, v48
	s_cbranch_execz .LBB304_1539
; %bb.1536:                             ;   in Loop: Header=BB304_806 Depth=1
	v_and_b32_e32 v0, 7, v9
	v_lshrrev_b32_e32 v6, 3, v48
	s_mov_b32 s20, exec_lo
	v_cmpx_gt_u32_e32 8, v48
; %bb.1537:                             ;   in Loop: Header=BB304_806 Depth=1
	v_ffbh_u32_e32 v0, v0
	v_min_u32_e32 v0, 32, v0
	v_subrev_nc_u32_e32 v6, 28, v0
	v_lshlrev_b64 v[48:49], v6, v[9:10]
	v_sub_nc_u32_e32 v6, 29, v0
	v_and_b32_e32 v0, 7, v48
; %bb.1538:                             ;   in Loop: Header=BB304_806 Depth=1
	s_or_b32 exec_lo, exec_lo, s20
	v_lshlrev_b32_e32 v48, 8, v9
	v_lshl_add_u32 v6, v6, 10, 0x2000
	v_lshlrev_b32_e32 v0, 7, v0
	v_and_b32_e32 v48, 0x8000, v48
	v_and_b32_e32 v6, 0xfc00, v6
	v_or3_b32 v119, v48, v6, v0
.LBB304_1539:                           ;   in Loop: Header=BB304_806 Depth=1
	s_or_b32 exec_lo, exec_lo, s18
.LBB304_1540:                           ;   in Loop: Header=BB304_806 Depth=1
	s_or_b32 exec_lo, exec_lo, s17
.LBB304_1541:                           ;   in Loop: Header=BB304_806 Depth=1
	s_or_b32 exec_lo, exec_lo, s16
	v_lshrrev_b16 v0, 8, v9
	s_mov_b32 s16, exec_lo
	v_cmpx_ne_u16_e32 0, v0
	s_cbranch_execz .LBB304_1549
; %bb.1542:                             ;   in Loop: Header=BB304_806 Depth=1
	v_bfrev_b32_e32 v22, 1
	s_mov_b32 s17, exec_lo
	v_cmpx_ne_u16_e32 0x80, v0
	s_cbranch_execz .LBB304_1548
; %bb.1543:                             ;   in Loop: Header=BB304_806 Depth=1
	v_and_b32_sdwa v48, v0, v53 dst_sel:DWORD dst_unused:UNUSED_PAD src0_sel:WORD_0 src1_sel:DWORD
	v_mov_b32_e32 v22, 0x7c010000
	s_mov_b32 s18, exec_lo
	v_cmpx_ne_u32_e32 0x7f, v48
	s_cbranch_execz .LBB304_1547
; %bb.1544:                             ;   in Loop: Header=BB304_806 Depth=1
	v_and_b32_sdwa v6, v0, v54 dst_sel:DWORD dst_unused:UNUSED_PAD src0_sel:WORD_0 src1_sel:DWORD
	v_lshrrev_b32_e32 v22, 3, v48
	s_mov_b32 s20, exec_lo
	v_cmpx_gt_u32_e32 8, v48
; %bb.1545:                             ;   in Loop: Header=BB304_806 Depth=1
	v_ffbh_u32_e32 v6, v6
	v_min_u32_e32 v6, 32, v6
	v_subrev_nc_u32_e32 v22, 28, v6
	v_lshlrev_b64 v[48:49], v22, v[0:1]
	v_sub_nc_u32_e32 v22, 29, v6
	v_and_b32_e32 v6, 7, v48
; %bb.1546:                             ;   in Loop: Header=BB304_806 Depth=1
	s_or_b32 exec_lo, exec_lo, s20
	v_lshlrev_b32_sdwa v0, v67, v0 dst_sel:DWORD dst_unused:UNUSED_PAD src0_sel:DWORD src1_sel:WORD_0
	v_lshl_add_u32 v22, v22, 10, 0x2000
	v_lshlrev_b32_e32 v6, 23, v6
	v_and_or_b32 v0, 0x8000, v0, v22
	v_lshl_or_b32 v22, v0, 16, v6
.LBB304_1547:                           ;   in Loop: Header=BB304_806 Depth=1
	s_or_b32 exec_lo, exec_lo, s18
.LBB304_1548:                           ;   in Loop: Header=BB304_806 Depth=1
	s_or_b32 exec_lo, exec_lo, s17
.LBB304_1549:                           ;   in Loop: Header=BB304_806 Depth=1
	s_or_b32 exec_lo, exec_lo, s16
	v_lshrrev_b32_e32 v0, 16, v9
	v_mov_b32_e32 v40, 0
	v_mov_b32_e32 v41, 0
	v_cmp_ne_u16_sdwa s4, v0, v1 src0_sel:BYTE_0 src1_sel:DWORD
	s_and_saveexec_b32 s16, s4
	s_cbranch_execz .LBB304_1557
; %bb.1550:                             ;   in Loop: Header=BB304_806 Depth=1
	v_cmp_ne_u16_sdwa s4, v0, v17 src0_sel:BYTE_0 src1_sel:DWORD
	v_mov_b32_e32 v41, 0x8000
	s_and_saveexec_b32 s17, s4
	s_cbranch_execz .LBB304_1556
; %bb.1551:                             ;   in Loop: Header=BB304_806 Depth=1
	v_bfe_u32 v51, v9, 16, 7
	v_mov_b32_e32 v41, 0x7c01
	s_mov_b32 s18, exec_lo
	v_cmpx_ne_u32_e32 0x7f, v51
	s_cbranch_execz .LBB304_1555
; %bb.1552:                             ;   in Loop: Header=BB304_806 Depth=1
	v_and_b32_e32 v6, 7, v0
	v_lshrrev_b32_e32 v48, 3, v51
	s_mov_b32 s20, exec_lo
	v_cmpx_gt_u32_e32 8, v51
; %bb.1553:                             ;   in Loop: Header=BB304_806 Depth=1
	v_ffbh_u32_e32 v6, v6
	v_min_u32_e32 v6, 32, v6
	v_subrev_nc_u32_e32 v48, 28, v6
	v_lshlrev_b64 v[49:50], v48, v[0:1]
	v_sub_nc_u32_e32 v48, 29, v6
	v_and_b32_e32 v6, 7, v49
; %bb.1554:                             ;   in Loop: Header=BB304_806 Depth=1
	s_or_b32 exec_lo, exec_lo, s20
	v_lshlrev_b32_e32 v0, 8, v0
	v_lshl_add_u32 v48, v48, 10, 0x2000
	v_lshlrev_b32_e32 v6, 7, v6
	v_and_b32_e32 v0, 0x8000, v0
	v_and_b32_e32 v48, 0xfc00, v48
	v_or3_b32 v41, v0, v48, v6
.LBB304_1555:                           ;   in Loop: Header=BB304_806 Depth=1
	s_or_b32 exec_lo, exec_lo, s18
.LBB304_1556:                           ;   in Loop: Header=BB304_806 Depth=1
	s_or_b32 exec_lo, exec_lo, s17
.LBB304_1557:                           ;   in Loop: Header=BB304_806 Depth=1
	s_or_b32 exec_lo, exec_lo, s16
	s_mov_b32 s16, exec_lo
	v_cmpx_lt_u32_e32 0xffffff, v9
	s_cbranch_execz .LBB304_1565
; %bb.1558:                             ;   in Loop: Header=BB304_806 Depth=1
	v_lshrrev_b32_e32 v0, 24, v9
	v_bfrev_b32_e32 v40, 1
	s_mov_b32 s17, exec_lo
	v_cmpx_ne_u32_e32 0x80, v0
	s_cbranch_execz .LBB304_1564
; %bb.1559:                             ;   in Loop: Header=BB304_806 Depth=1
	v_and_b32_e32 v51, 0x7f, v0
	v_mov_b32_e32 v40, 0x7c010000
	s_mov_b32 s18, exec_lo
	v_cmpx_ne_u32_e32 0x7f, v51
	s_cbranch_execz .LBB304_1563
; %bb.1560:                             ;   in Loop: Header=BB304_806 Depth=1
	v_and_b32_e32 v6, 7, v0
	v_lshrrev_b32_e32 v48, 3, v51
	s_mov_b32 s20, exec_lo
	v_cmpx_gt_u32_e32 8, v51
; %bb.1561:                             ;   in Loop: Header=BB304_806 Depth=1
	v_ffbh_u32_e32 v6, v6
	v_min_u32_e32 v6, 32, v6
	v_subrev_nc_u32_e32 v48, 28, v6
	v_lshlrev_b64 v[49:50], v48, v[0:1]
	v_sub_nc_u32_e32 v48, 29, v6
	v_and_b32_e32 v6, 7, v49
; %bb.1562:                             ;   in Loop: Header=BB304_806 Depth=1
	s_or_b32 exec_lo, exec_lo, s20
	v_lshlrev_b32_e32 v0, 8, v0
	v_lshl_add_u32 v48, v48, 10, 0x2000
	v_lshlrev_b32_e32 v6, 23, v6
	v_and_or_b32 v0, 0x8000, v0, v48
	v_lshl_or_b32 v40, v0, 16, v6
.LBB304_1563:                           ;   in Loop: Header=BB304_806 Depth=1
	s_or_b32 exec_lo, exec_lo, s18
.LBB304_1564:                           ;   in Loop: Header=BB304_806 Depth=1
	s_or_b32 exec_lo, exec_lo, s17
.LBB304_1565:                           ;   in Loop: Header=BB304_806 Depth=1
	s_or_b32 exec_lo, exec_lo, s16
	v_mov_b32_e32 v0, v10
	v_cmp_ne_u16_sdwa s4, v10, v1 src0_sel:BYTE_0 src1_sel:DWORD
	v_mov_b32_e32 v6, 0
	v_mov_b32_e32 v48, 0
	s_and_saveexec_b32 s16, s4
	s_cbranch_execz .LBB304_1573
; %bb.1566:                             ;   in Loop: Header=BB304_806 Depth=1
	v_cmp_ne_u16_sdwa s4, v10, v17 src0_sel:BYTE_0 src1_sel:DWORD
	v_mov_b32_e32 v48, 0x8000
	s_and_saveexec_b32 s17, s4
	s_cbranch_execz .LBB304_1572
; %bb.1567:                             ;   in Loop: Header=BB304_806 Depth=1
	v_and_b32_e32 v42, 0x7f, v10
	v_mov_b32_e32 v48, 0x7c01
	s_mov_b32 s18, exec_lo
	v_cmpx_ne_u32_e32 0x7f, v42
	s_cbranch_execz .LBB304_1571
; %bb.1568:                             ;   in Loop: Header=BB304_806 Depth=1
	v_and_b32_e32 v48, 7, v10
	v_lshrrev_b32_e32 v51, 3, v42
	s_mov_b32 s20, exec_lo
	v_cmpx_gt_u32_e32 8, v42
; %bb.1569:                             ;   in Loop: Header=BB304_806 Depth=1
	v_ffbh_u32_e32 v48, v48
	v_min_u32_e32 v50, 32, v48
	v_subrev_nc_u32_e32 v48, 28, v50
	v_sub_nc_u32_e32 v51, 29, v50
	v_lshlrev_b64 v[48:49], v48, v[0:1]
	v_and_b32_e32 v48, 7, v48
; %bb.1570:                             ;   in Loop: Header=BB304_806 Depth=1
	s_or_b32 exec_lo, exec_lo, s20
	v_lshlrev_b32_e32 v49, 8, v10
	v_lshl_add_u32 v50, v51, 10, 0x2000
	v_lshlrev_b32_e32 v48, 7, v48
	v_and_b32_e32 v49, 0x8000, v49
	v_and_b32_e32 v50, 0xfc00, v50
	v_or3_b32 v48, v49, v50, v48
.LBB304_1571:                           ;   in Loop: Header=BB304_806 Depth=1
	s_or_b32 exec_lo, exec_lo, s18
.LBB304_1572:                           ;   in Loop: Header=BB304_806 Depth=1
	s_or_b32 exec_lo, exec_lo, s17
.LBB304_1573:                           ;   in Loop: Header=BB304_806 Depth=1
	s_or_b32 exec_lo, exec_lo, s16
	v_lshrrev_b16 v0, 8, v0
	v_mov_b32_e32 v51, 0
	s_mov_b32 s16, exec_lo
	v_cmpx_ne_u16_e32 0, v0
	s_cbranch_execz .LBB304_1581
; %bb.1574:                             ;   in Loop: Header=BB304_806 Depth=1
	v_bfrev_b32_e32 v51, 1
	s_mov_b32 s17, exec_lo
	v_cmpx_ne_u16_e32 0x80, v0
	s_cbranch_execz .LBB304_1580
; %bb.1575:                             ;   in Loop: Header=BB304_806 Depth=1
	v_and_b32_sdwa v43, v0, v53 dst_sel:DWORD dst_unused:UNUSED_PAD src0_sel:WORD_0 src1_sel:DWORD
	v_mov_b32_e32 v51, 0x7c010000
	s_mov_b32 s18, exec_lo
	v_cmpx_ne_u32_e32 0x7f, v43
	s_cbranch_execz .LBB304_1579
; %bb.1576:                             ;   in Loop: Header=BB304_806 Depth=1
	v_and_b32_sdwa v51, v0, v54 dst_sel:DWORD dst_unused:UNUSED_PAD src0_sel:WORD_0 src1_sel:DWORD
	v_lshrrev_b32_e32 v42, 3, v43
	s_mov_b32 s20, exec_lo
	v_cmpx_gt_u32_e32 8, v43
; %bb.1577:                             ;   in Loop: Header=BB304_806 Depth=1
	v_ffbh_u32_e32 v49, v51
	v_min_u32_e32 v51, 32, v49
	v_subrev_nc_u32_e32 v49, 28, v51
	v_sub_nc_u32_e32 v42, 29, v51
	v_lshlrev_b64 v[49:50], v49, v[0:1]
	v_and_b32_e32 v51, 7, v49
; %bb.1578:                             ;   in Loop: Header=BB304_806 Depth=1
	s_or_b32 exec_lo, exec_lo, s20
	v_lshlrev_b32_sdwa v0, v67, v0 dst_sel:DWORD dst_unused:UNUSED_PAD src0_sel:DWORD src1_sel:WORD_0
	v_lshl_add_u32 v49, v42, 10, 0x2000
	v_and_or_b32 v0, 0x8000, v0, v49
	v_lshlrev_b32_e32 v49, 23, v51
	v_lshl_or_b32 v51, v0, 16, v49
.LBB304_1579:                           ;   in Loop: Header=BB304_806 Depth=1
	s_or_b32 exec_lo, exec_lo, s18
.LBB304_1580:                           ;   in Loop: Header=BB304_806 Depth=1
	s_or_b32 exec_lo, exec_lo, s17
.LBB304_1581:                           ;   in Loop: Header=BB304_806 Depth=1
	s_or_b32 exec_lo, exec_lo, s16
	v_lshrrev_b32_e32 v0, 16, v10
	v_cmp_ne_u16_sdwa s4, v0, v1 src0_sel:BYTE_0 src1_sel:DWORD
	s_and_saveexec_b32 s16, s4
	s_cbranch_execz .LBB304_1589
; %bb.1582:                             ;   in Loop: Header=BB304_806 Depth=1
	v_cmp_ne_u16_sdwa s4, v0, v17 src0_sel:BYTE_0 src1_sel:DWORD
	v_mov_b32_e32 v6, 0x8000
	s_and_saveexec_b32 s17, s4
	s_cbranch_execz .LBB304_1588
; %bb.1583:                             ;   in Loop: Header=BB304_806 Depth=1
	v_bfe_u32 v43, v10, 16, 7
	v_mov_b32_e32 v6, 0x7c01
	s_mov_b32 s18, exec_lo
	v_cmpx_ne_u32_e32 0x7f, v43
	s_cbranch_execz .LBB304_1587
; %bb.1584:                             ;   in Loop: Header=BB304_806 Depth=1
	v_and_b32_e32 v6, 7, v0
	v_lshrrev_b32_e32 v42, 3, v43
	s_mov_b32 s20, exec_lo
	v_cmpx_gt_u32_e32 8, v43
; %bb.1585:                             ;   in Loop: Header=BB304_806 Depth=1
	v_ffbh_u32_e32 v6, v6
	v_min_u32_e32 v6, 32, v6
	v_subrev_nc_u32_e32 v49, 28, v6
	v_sub_nc_u32_e32 v42, 29, v6
	v_lshlrev_b64 v[49:50], v49, v[0:1]
	v_and_b32_e32 v6, 7, v49
; %bb.1586:                             ;   in Loop: Header=BB304_806 Depth=1
	s_or_b32 exec_lo, exec_lo, s20
	v_lshlrev_b32_e32 v0, 8, v0
	v_lshl_add_u32 v49, v42, 10, 0x2000
	v_lshlrev_b32_e32 v6, 7, v6
	v_and_b32_e32 v0, 0x8000, v0
	v_and_b32_e32 v49, 0xfc00, v49
	v_or3_b32 v6, v0, v49, v6
.LBB304_1587:                           ;   in Loop: Header=BB304_806 Depth=1
	s_or_b32 exec_lo, exec_lo, s18
.LBB304_1588:                           ;   in Loop: Header=BB304_806 Depth=1
	s_or_b32 exec_lo, exec_lo, s17
.LBB304_1589:                           ;   in Loop: Header=BB304_806 Depth=1
	s_or_b32 exec_lo, exec_lo, s16
	v_cmp_lt_u64_e64 s4, s[12:13], v[9:10]
	v_mov_b32_e32 v9, 0
	s_and_saveexec_b32 s16, s4
	s_cbranch_execz .LBB304_1597
; %bb.1590:                             ;   in Loop: Header=BB304_806 Depth=1
	v_lshrrev_b32_e32 v0, 24, v10
	v_bfrev_b32_e32 v9, 1
	s_mov_b32 s17, exec_lo
	v_cmpx_ne_u32_e32 0x80, v0
	s_cbranch_execz .LBB304_1596
; %bb.1591:                             ;   in Loop: Header=BB304_806 Depth=1
	v_and_b32_e32 v42, 0x7f, v0
	v_mov_b32_e32 v9, 0x7c010000
	s_mov_b32 s18, exec_lo
	v_cmpx_ne_u32_e32 0x7f, v42
	s_cbranch_execz .LBB304_1595
; %bb.1592:                             ;   in Loop: Header=BB304_806 Depth=1
	v_and_b32_e32 v9, 7, v0
	v_lshrrev_b32_e32 v10, 3, v42
	s_mov_b32 s20, exec_lo
	v_cmpx_gt_u32_e32 8, v42
; %bb.1593:                             ;   in Loop: Header=BB304_806 Depth=1
	v_ffbh_u32_e32 v9, v9
	v_min_u32_e32 v49, 32, v9
	v_subrev_nc_u32_e32 v9, 28, v49
	v_lshlrev_b64 v[9:10], v9, v[0:1]
	v_sub_nc_u32_e32 v10, 29, v49
	v_and_b32_e32 v9, 7, v9
; %bb.1594:                             ;   in Loop: Header=BB304_806 Depth=1
	s_or_b32 exec_lo, exec_lo, s20
	v_lshlrev_b32_e32 v0, 8, v0
	v_lshl_add_u32 v10, v10, 10, 0x2000
	v_lshlrev_b32_e32 v9, 23, v9
	v_and_or_b32 v0, 0x8000, v0, v10
	v_lshl_or_b32 v9, v0, 16, v9
.LBB304_1595:                           ;   in Loop: Header=BB304_806 Depth=1
	s_or_b32 exec_lo, exec_lo, s18
.LBB304_1596:                           ;   in Loop: Header=BB304_806 Depth=1
	s_or_b32 exec_lo, exec_lo, s17
.LBB304_1597:                           ;   in Loop: Header=BB304_806 Depth=1
	s_or_b32 exec_lo, exec_lo, s16
	v_or_b32_e32 v0, v40, v41
	s_waitcnt vmcnt(0) lgkmcnt(0)
	v_fma_mixlo_f16 v10, v118, v40, 0 op_sel:[0,1,0] op_sel_hi:[0,1,0]
	v_or_b32_e32 v49, v22, v119
	v_or_b32_e32 v48, v51, v48
	;; [unrolled: 1-line block ×3, first 2 shown]
	v_fma_mixlo_f16 v0, v118, v0, 0 op_sel_hi:[0,1,0]
	v_fma_mixlo_f16 v50, v118, v22, 0 op_sel:[0,1,0] op_sel_hi:[0,1,0]
	v_lshlrev_b32_e32 v22, 16, v10
	v_fma_mixlo_f16 v10, v118, v49, 0 op_sel_hi:[0,1,0]
	v_fma_mixlo_f16 v48, v118, v48, 0 op_sel_hi:[0,1,0]
	v_and_b32_e32 v119, 0xffff, v0
	v_fma_mixlo_f16 v0, v118, v51, 0 op_sel:[0,1,0] op_sel_hi:[0,1,0]
	v_fma_mixlo_f16 v9, v118, v9, 0 op_sel:[0,1,0] op_sel_hi:[0,1,0]
	v_fma_mixlo_f16 v6, v118, v6, 0 op_sel_hi:[0,1,0]
	v_lshlrev_b32_e32 v40, 16, v50
	v_and_b32_e32 v42, 0xffff, v10
	v_lshlrev_b32_e32 v51, 16, v0
	v_and_b32_e32 v41, 0xffff, v48
	;; [unrolled: 2-line block ×3, first 2 shown]
	v_or_b32_e32 v9, v22, v119
	v_or_b32_e32 v10, v40, v42
	;; [unrolled: 1-line block ×4, first 2 shown]
	s_and_saveexec_b32 s4, vcc_lo
	s_cbranch_execz .LBB304_804
; %bb.1598:                             ;   in Loop: Header=BB304_806 Depth=1
	v_cmp_lt_i32_e32 vcc_lo, v18, v36
	v_cndmask_b32_e32 v0, 0, v42, vcc_lo
	v_cmp_lt_i32_e32 vcc_lo, v96, v36
	v_cndmask_b32_e32 v6, 0, v40, vcc_lo
	v_cmp_lt_i32_e32 vcc_lo, v87, v36
	v_or_b32_e32 v10, v0, v6
	v_cndmask_b32_e32 v9, 0, v119, vcc_lo
	v_cmp_lt_i32_e32 vcc_lo, v86, v36
	v_cndmask_b32_e32 v18, 0, v22, vcc_lo
	v_cmp_lt_i32_e32 vcc_lo, v84, v36
	v_or_b32_e32 v9, v9, v18
	;; [unrolled: 5-line block ×3, first 2 shown]
	v_cndmask_b32_e32 v50, 0, v118, vcc_lo
	v_cmp_lt_i32_e32 vcc_lo, v71, v36
	v_cndmask_b32_e32 v48, 0, v48, vcc_lo
	v_or_b32_e32 v0, v50, v48
	s_branch .LBB304_804
.LBB304_1599:
	s_or_b32 exec_lo, exec_lo, s11
	v_mov_b32_e32 v35, v45
	v_mov_b32_e32 v37, v46
.LBB304_1600:
	s_or_b32 exec_lo, exec_lo, s7
	ds_bpermute_b32 v0, v20, v65
	ds_bpermute_b32 v5, v20, v33
	ds_bpermute_b32 v6, v20, v32
	ds_bpermute_b32 v11, v20, v24
	s_waitcnt lgkmcnt(0)
	s_waitcnt_vscnt null, 0x0
	s_barrier
	buffer_gl0_inv
	ds_bpermute_b32 v1, v20, v66
	ds_bpermute_b32 v4, v20, v34
	;; [unrolled: 1-line block ×8, first 2 shown]
	s_load_dword s4, s[8:9], 0x0
	s_mov_b32 s7, exec_lo
	v_add_f32_e32 v0, v65, v0
	v_add_f32_e32 v5, v33, v5
	;; [unrolled: 1-line block ×4, first 2 shown]
	ds_bpermute_b32 v6, v13, v0
	ds_bpermute_b32 v22, v13, v5
	;; [unrolled: 1-line block ×3, first 2 shown]
	s_waitcnt lgkmcnt(0)
	v_add_f32_e32 v1, v66, v1
	v_add_f32_e32 v4, v34, v4
	;; [unrolled: 1-line block ×8, first 2 shown]
	ds_bpermute_b32 v7, v13, v1
	ds_bpermute_b32 v20, v13, v4
	;; [unrolled: 1-line block ×9, first 2 shown]
	v_add_f32_e32 v11, v0, v6
	v_add_f32_e32 v6, v5, v22
	;; [unrolled: 1-line block ×3, first 2 shown]
	buffer_load_dword v12, off, s[0:3], s32 offset:236 ; 4-byte Folded Reload
	s_waitcnt lgkmcnt(8)
	v_add_f32_e32 v10, v1, v7
	s_waitcnt lgkmcnt(7)
	v_add_f32_e32 v7, v4, v20
	;; [unrolled: 2-line block ×8, first 2 shown]
	v_and_b32_e32 v15, 0x3c3, v37
	s_waitcnt lgkmcnt(0)
	v_add_f32_e32 v2, v18, v13
	s_waitcnt vmcnt(0)
	v_and_b32_e32 v14, 28, v12
	v_lshrrev_b32_e32 v12, 2, v12
	v_add_nc_u32_e32 v13, s4, v14
	v_mul_u32_u24_e32 v14, 0x180, v47
	v_cmpx_eq_u32_e32 64, v15
	s_cbranch_execz .LBB304_1602
; %bb.1601:
	v_add_nc_u32_e32 v15, v13, v14
	v_add_nc_u32_e32 v16, 0xfffffd00, v15
	;; [unrolled: 1-line block ×8, first 2 shown]
	ds_write_b32 v16, v11
	ds_write_b32 v17, v10
	;; [unrolled: 1-line block ×7, first 2 shown]
	v_add_nc_u32_e32 v16, 0xfffffde0, v15
	v_add_nc_u32_e32 v17, 0xfffffe00, v15
	;; [unrolled: 1-line block ×5, first 2 shown]
	ds_write_b32 v16, v4
	ds_write_b32 v17, v3
	;; [unrolled: 1-line block ×5, first 2 shown]
.LBB304_1602:
	s_or_b32 exec_lo, exec_lo, s7
	v_lshlrev_b32_e32 v12, 2, v12
	s_mov_b32 s7, exec_lo
	v_cmp_eq_u32_e32 vcc_lo, 0, v21
	s_waitcnt lgkmcnt(0)
	s_barrier
	v_add3_u32 v12, s4, v14, v12
	buffer_gl0_inv
	v_cmpx_gt_u32_e32 64, v37
	s_cbranch_execz .LBB304_1617
; %bb.1603:
	s_and_saveexec_b32 s4, vcc_lo
	s_cbranch_execnz .LBB304_1637
; %bb.1604:
	s_or_b32 exec_lo, exec_lo, s4
	s_and_saveexec_b32 s4, vcc_lo
	s_cbranch_execnz .LBB304_1638
.LBB304_1605:
	s_or_b32 exec_lo, exec_lo, s4
	s_and_saveexec_b32 s4, vcc_lo
	s_cbranch_execnz .LBB304_1639
.LBB304_1606:
	s_or_b32 exec_lo, exec_lo, s4
	s_and_saveexec_b32 s4, vcc_lo
	s_cbranch_execnz .LBB304_1640
.LBB304_1607:
	s_or_b32 exec_lo, exec_lo, s4
	s_and_saveexec_b32 s4, vcc_lo
	s_cbranch_execnz .LBB304_1641
.LBB304_1608:
	s_or_b32 exec_lo, exec_lo, s4
	s_and_saveexec_b32 s4, vcc_lo
	s_cbranch_execnz .LBB304_1642
.LBB304_1609:
	s_or_b32 exec_lo, exec_lo, s4
	s_and_saveexec_b32 s4, vcc_lo
	s_cbranch_execnz .LBB304_1643
.LBB304_1610:
	s_or_b32 exec_lo, exec_lo, s4
	s_and_saveexec_b32 s4, vcc_lo
	s_cbranch_execnz .LBB304_1644
.LBB304_1611:
	s_or_b32 exec_lo, exec_lo, s4
	s_and_saveexec_b32 s4, vcc_lo
	s_cbranch_execnz .LBB304_1645
.LBB304_1612:
	s_or_b32 exec_lo, exec_lo, s4
	s_and_saveexec_b32 s4, vcc_lo
	s_cbranch_execnz .LBB304_1646
.LBB304_1613:
	s_or_b32 exec_lo, exec_lo, s4
	s_and_saveexec_b32 s4, vcc_lo
	s_cbranch_execnz .LBB304_1647
.LBB304_1614:
	s_or_b32 exec_lo, exec_lo, s4
	s_and_saveexec_b32 s4, vcc_lo
	s_cbranch_execz .LBB304_1616
.LBB304_1615:
	ds_read_b32 v14, v12 offset:352
	s_waitcnt lgkmcnt(0)
	v_add_f32_e32 v2, v14, v2
.LBB304_1616:
	s_or_b32 exec_lo, exec_lo, s4
.LBB304_1617:
	s_or_b32 exec_lo, exec_lo, s7
	v_and_b32_e32 v14, 0x3e3, v37
	s_mov_b32 s7, exec_lo
	s_barrier
	buffer_gl0_inv
	v_cmpx_eq_u32_e32 32, v14
	s_cbranch_execz .LBB304_1619
; %bb.1618:
	ds_write2_b32 v13, v11, v10 offset1:8
	ds_write2_b32 v13, v9, v8 offset0:16 offset1:24
	ds_write2_b32 v13, v7, v6 offset0:32 offset1:40
	;; [unrolled: 1-line block ×5, first 2 shown]
.LBB304_1619:
	s_or_b32 exec_lo, exec_lo, s7
	s_mov_b32 s7, exec_lo
	s_waitcnt lgkmcnt(0)
	s_barrier
	buffer_gl0_inv
	v_cmpx_gt_u32_e32 32, v37
	s_cbranch_execz .LBB304_1634
; %bb.1620:
	s_and_saveexec_b32 s4, vcc_lo
	s_cbranch_execnz .LBB304_1648
; %bb.1621:
	s_or_b32 exec_lo, exec_lo, s4
	s_and_saveexec_b32 s4, vcc_lo
	s_cbranch_execnz .LBB304_1649
.LBB304_1622:
	s_or_b32 exec_lo, exec_lo, s4
	s_and_saveexec_b32 s4, vcc_lo
	s_cbranch_execnz .LBB304_1650
.LBB304_1623:
	s_or_b32 exec_lo, exec_lo, s4
	s_and_saveexec_b32 s4, vcc_lo
	s_cbranch_execnz .LBB304_1651
.LBB304_1624:
	s_or_b32 exec_lo, exec_lo, s4
	s_and_saveexec_b32 s4, vcc_lo
	s_cbranch_execnz .LBB304_1652
.LBB304_1625:
	s_or_b32 exec_lo, exec_lo, s4
	s_and_saveexec_b32 s4, vcc_lo
	s_cbranch_execnz .LBB304_1653
.LBB304_1626:
	s_or_b32 exec_lo, exec_lo, s4
	s_and_saveexec_b32 s4, vcc_lo
	s_cbranch_execnz .LBB304_1654
.LBB304_1627:
	s_or_b32 exec_lo, exec_lo, s4
	s_and_saveexec_b32 s4, vcc_lo
	s_cbranch_execnz .LBB304_1655
.LBB304_1628:
	s_or_b32 exec_lo, exec_lo, s4
	s_and_saveexec_b32 s4, vcc_lo
	s_cbranch_execnz .LBB304_1656
.LBB304_1629:
	s_or_b32 exec_lo, exec_lo, s4
	s_and_saveexec_b32 s4, vcc_lo
	s_cbranch_execnz .LBB304_1657
.LBB304_1630:
	s_or_b32 exec_lo, exec_lo, s4
	s_and_saveexec_b32 s4, vcc_lo
	s_cbranch_execnz .LBB304_1658
.LBB304_1631:
	s_or_b32 exec_lo, exec_lo, s4
	s_and_saveexec_b32 s4, vcc_lo
	s_cbranch_execz .LBB304_1633
.LBB304_1632:
	ds_read_b32 v12, v12 offset:352
	s_waitcnt lgkmcnt(0)
	v_add_f32_e32 v2, v12, v2
.LBB304_1633:
	s_or_b32 exec_lo, exec_lo, s4
.LBB304_1634:
	s_or_b32 exec_lo, exec_lo, s7
	v_cmp_eq_u32_e32 vcc_lo, 0, v14
	s_barrier
	buffer_gl0_inv
	s_and_b32 exec_lo, exec_lo, vcc_lo
	s_cbranch_execz .LBB304_1636
; %bb.1635:
	s_mulk_i32 s6, 0x60
	s_mul_i32 s4, s10, s5
	s_ashr_i32 s7, s6, 31
	s_ashr_i32 s5, s4, 31
	s_lshl_b64 s[6:7], s[6:7], 1
	s_lshl_b64 s[4:5], s[4:5], 1
	v_add_co_u32 v12, vcc_lo, v35, s6
	v_add_co_ci_u32_e64 v13, null, s7, v44, vcc_lo
	s_mul_i32 s6, s14, 0x60
	v_add_co_u32 v12, vcc_lo, v12, s4
	s_ashr_i32 s7, s6, 31
	v_add_co_ci_u32_e64 v13, null, s5, v13, vcc_lo
	s_lshl_b64 s[4:5], s[6:7], 1
	v_lshrrev_b32_e32 v14, 1, v37
	v_add_co_u32 v12, vcc_lo, v12, s4
	v_add_co_ci_u32_e64 v13, null, s5, v13, vcc_lo
	;;#ASMSTART
	v_cvt_f16_f32 v11, v11;

	;;#ASMEND
	v_add_co_u32 v12, vcc_lo, v12, v14
	v_add_co_ci_u32_e64 v13, null, 0, v13, vcc_lo
	flat_store_short v[12:13], v11
	;;#ASMSTART
	v_cvt_f16_f32 v10, v10;

	;;#ASMEND
	flat_store_short v[12:13], v10 offset:16
	;;#ASMSTART
	v_cvt_f16_f32 v9, v9;

	;;#ASMEND
	flat_store_short v[12:13], v9 offset:32
	;; [unrolled: 5-line block ×11, first 2 shown]
.LBB304_1636:
	s_or_b32 exec_lo, exec_lo, s19
	s_clause 0x2f
	buffer_load_dword v127, off, s[0:3], s32 offset:8
	buffer_load_dword v126, off, s[0:3], s32 offset:12
	;; [unrolled: 1-line block ×48, first 2 shown]
	s_waitcnt vmcnt(0) lgkmcnt(0)
	s_setpc_b64 s[30:31]
.LBB304_1637:
	ds_read_b32 v14, v12
	s_waitcnt lgkmcnt(0)
	v_add_f32_e32 v11, v14, v11
	s_or_b32 exec_lo, exec_lo, s4
	s_and_saveexec_b32 s4, vcc_lo
	s_cbranch_execz .LBB304_1605
.LBB304_1638:
	ds_read_b32 v14, v12 offset:32
	s_waitcnt lgkmcnt(0)
	v_add_f32_e32 v10, v14, v10
	s_or_b32 exec_lo, exec_lo, s4
	s_and_saveexec_b32 s4, vcc_lo
	s_cbranch_execz .LBB304_1606
.LBB304_1639:
	ds_read_b32 v14, v12 offset:64
	s_waitcnt lgkmcnt(0)
	v_add_f32_e32 v9, v14, v9
	s_or_b32 exec_lo, exec_lo, s4
	s_and_saveexec_b32 s4, vcc_lo
	s_cbranch_execz .LBB304_1607
.LBB304_1640:
	ds_read_b32 v14, v12 offset:96
	s_waitcnt lgkmcnt(0)
	v_add_f32_e32 v8, v14, v8
	s_or_b32 exec_lo, exec_lo, s4
	s_and_saveexec_b32 s4, vcc_lo
	s_cbranch_execz .LBB304_1608
.LBB304_1641:
	ds_read_b32 v14, v12 offset:128
	s_waitcnt lgkmcnt(0)
	v_add_f32_e32 v7, v14, v7
	s_or_b32 exec_lo, exec_lo, s4
	s_and_saveexec_b32 s4, vcc_lo
	s_cbranch_execz .LBB304_1609
.LBB304_1642:
	ds_read_b32 v14, v12 offset:160
	s_waitcnt lgkmcnt(0)
	v_add_f32_e32 v6, v14, v6
	s_or_b32 exec_lo, exec_lo, s4
	s_and_saveexec_b32 s4, vcc_lo
	s_cbranch_execz .LBB304_1610
.LBB304_1643:
	ds_read_b32 v14, v12 offset:192
	s_waitcnt lgkmcnt(0)
	v_add_f32_e32 v5, v14, v5
	s_or_b32 exec_lo, exec_lo, s4
	s_and_saveexec_b32 s4, vcc_lo
	s_cbranch_execz .LBB304_1611
.LBB304_1644:
	ds_read_b32 v14, v12 offset:224
	s_waitcnt lgkmcnt(0)
	v_add_f32_e32 v4, v14, v4
	s_or_b32 exec_lo, exec_lo, s4
	s_and_saveexec_b32 s4, vcc_lo
	s_cbranch_execz .LBB304_1612
.LBB304_1645:
	ds_read_b32 v14, v12 offset:256
	s_waitcnt lgkmcnt(0)
	v_add_f32_e32 v3, v14, v3
	s_or_b32 exec_lo, exec_lo, s4
	s_and_saveexec_b32 s4, vcc_lo
	s_cbranch_execz .LBB304_1613
.LBB304_1646:
	ds_read_b32 v14, v12 offset:288
	s_waitcnt lgkmcnt(0)
	v_add_f32_e32 v1, v14, v1
	s_or_b32 exec_lo, exec_lo, s4
	s_and_saveexec_b32 s4, vcc_lo
	s_cbranch_execz .LBB304_1614
.LBB304_1647:
	ds_read_b32 v14, v12 offset:320
	s_waitcnt lgkmcnt(0)
	v_add_f32_e32 v0, v14, v0
	s_or_b32 exec_lo, exec_lo, s4
	s_and_saveexec_b32 s4, vcc_lo
	s_cbranch_execnz .LBB304_1615
	s_branch .LBB304_1616
.LBB304_1648:
	ds_read_b32 v13, v12
	s_waitcnt lgkmcnt(0)
	v_add_f32_e32 v11, v13, v11
	s_or_b32 exec_lo, exec_lo, s4
	s_and_saveexec_b32 s4, vcc_lo
	s_cbranch_execz .LBB304_1622
.LBB304_1649:
	ds_read_b32 v13, v12 offset:32
	s_waitcnt lgkmcnt(0)
	v_add_f32_e32 v10, v13, v10
	s_or_b32 exec_lo, exec_lo, s4
	s_and_saveexec_b32 s4, vcc_lo
	s_cbranch_execz .LBB304_1623
.LBB304_1650:
	ds_read_b32 v13, v12 offset:64
	s_waitcnt lgkmcnt(0)
	v_add_f32_e32 v9, v13, v9
	s_or_b32 exec_lo, exec_lo, s4
	s_and_saveexec_b32 s4, vcc_lo
	s_cbranch_execz .LBB304_1624
.LBB304_1651:
	ds_read_b32 v13, v12 offset:96
	s_waitcnt lgkmcnt(0)
	v_add_f32_e32 v8, v13, v8
	s_or_b32 exec_lo, exec_lo, s4
	s_and_saveexec_b32 s4, vcc_lo
	s_cbranch_execz .LBB304_1625
.LBB304_1652:
	ds_read_b32 v13, v12 offset:128
	s_waitcnt lgkmcnt(0)
	v_add_f32_e32 v7, v13, v7
	s_or_b32 exec_lo, exec_lo, s4
	s_and_saveexec_b32 s4, vcc_lo
	s_cbranch_execz .LBB304_1626
.LBB304_1653:
	ds_read_b32 v13, v12 offset:160
	s_waitcnt lgkmcnt(0)
	v_add_f32_e32 v6, v13, v6
	s_or_b32 exec_lo, exec_lo, s4
	s_and_saveexec_b32 s4, vcc_lo
	s_cbranch_execz .LBB304_1627
.LBB304_1654:
	ds_read_b32 v13, v12 offset:192
	s_waitcnt lgkmcnt(0)
	v_add_f32_e32 v5, v13, v5
	s_or_b32 exec_lo, exec_lo, s4
	s_and_saveexec_b32 s4, vcc_lo
	s_cbranch_execz .LBB304_1628
.LBB304_1655:
	ds_read_b32 v13, v12 offset:224
	s_waitcnt lgkmcnt(0)
	v_add_f32_e32 v4, v13, v4
	s_or_b32 exec_lo, exec_lo, s4
	s_and_saveexec_b32 s4, vcc_lo
	s_cbranch_execz .LBB304_1629
.LBB304_1656:
	ds_read_b32 v13, v12 offset:256
	s_waitcnt lgkmcnt(0)
	v_add_f32_e32 v3, v13, v3
	s_or_b32 exec_lo, exec_lo, s4
	s_and_saveexec_b32 s4, vcc_lo
	s_cbranch_execz .LBB304_1630
.LBB304_1657:
	ds_read_b32 v13, v12 offset:288
	s_waitcnt lgkmcnt(0)
	v_add_f32_e32 v1, v13, v1
	s_or_b32 exec_lo, exec_lo, s4
	s_and_saveexec_b32 s4, vcc_lo
	s_cbranch_execz .LBB304_1631
.LBB304_1658:
	ds_read_b32 v13, v12 offset:320
	s_waitcnt lgkmcnt(0)
	v_add_f32_e32 v0, v13, v0
	s_or_b32 exec_lo, exec_lo, s4
	s_and_saveexec_b32 s4, vcc_lo
	s_cbranch_execnz .LBB304_1632
	s_branch .LBB304_1633
.Lfunc_end304:
	.size	_ZN4vllm22paged_attention_kernelIthLi96ELi32ELi128ELNS_18Fp8KVCacheDataTypeE1ELb1ELi512EEEvPfS2_PT_PKS3_PKT0_S9_ifPKiSB_iPKfiiiSD_SD_iiiii, .Lfunc_end304-_ZN4vllm22paged_attention_kernelIthLi96ELi32ELi128ELNS_18Fp8KVCacheDataTypeE1ELb1ELi512EEEvPfS2_PT_PKS3_PKT0_S9_ifPKiSB_iPKfiiiSD_SD_iiiii
                                        ; -- End function
	.set .L_ZN4vllm22paged_attention_kernelIthLi96ELi32ELi128ELNS_18Fp8KVCacheDataTypeE1ELb1ELi512EEEvPfS2_PT_PKS3_PKT0_S9_ifPKiSB_iPKfiiiSD_SD_iiiii.num_vgpr, 128
	.set .L_ZN4vllm22paged_attention_kernelIthLi96ELi32ELi128ELNS_18Fp8KVCacheDataTypeE1ELb1ELi512EEEvPfS2_PT_PKS3_PKT0_S9_ifPKiSB_iPKfiiiSD_SD_iiiii.num_agpr, 0
	.set .L_ZN4vllm22paged_attention_kernelIthLi96ELi32ELi128ELNS_18Fp8KVCacheDataTypeE1ELb1ELi512EEEvPfS2_PT_PKS3_PKT0_S9_ifPKiSB_iPKfiiiSD_SD_iiiii.numbered_sgpr, 33
	.set .L_ZN4vllm22paged_attention_kernelIthLi96ELi32ELi128ELNS_18Fp8KVCacheDataTypeE1ELb1ELi512EEEvPfS2_PT_PKS3_PKT0_S9_ifPKiSB_iPKfiiiSD_SD_iiiii.num_named_barrier, 0
	.set .L_ZN4vllm22paged_attention_kernelIthLi96ELi32ELi128ELNS_18Fp8KVCacheDataTypeE1ELb1ELi512EEEvPfS2_PT_PKS3_PKT0_S9_ifPKiSB_iPKfiiiSD_SD_iiiii.private_seg_size, 352
	.set .L_ZN4vllm22paged_attention_kernelIthLi96ELi32ELi128ELNS_18Fp8KVCacheDataTypeE1ELb1ELi512EEEvPfS2_PT_PKS3_PKT0_S9_ifPKiSB_iPKfiiiSD_SD_iiiii.uses_vcc, 1
	.set .L_ZN4vllm22paged_attention_kernelIthLi96ELi32ELi128ELNS_18Fp8KVCacheDataTypeE1ELb1ELi512EEEvPfS2_PT_PKS3_PKT0_S9_ifPKiSB_iPKfiiiSD_SD_iiiii.uses_flat_scratch, 0
	.set .L_ZN4vllm22paged_attention_kernelIthLi96ELi32ELi128ELNS_18Fp8KVCacheDataTypeE1ELb1ELi512EEEvPfS2_PT_PKS3_PKT0_S9_ifPKiSB_iPKfiiiSD_SD_iiiii.has_dyn_sized_stack, 0
	.set .L_ZN4vllm22paged_attention_kernelIthLi96ELi32ELi128ELNS_18Fp8KVCacheDataTypeE1ELb1ELi512EEEvPfS2_PT_PKS3_PKT0_S9_ifPKiSB_iPKfiiiSD_SD_iiiii.has_recursion, 0
	.set .L_ZN4vllm22paged_attention_kernelIthLi96ELi32ELi128ELNS_18Fp8KVCacheDataTypeE1ELb1ELi512EEEvPfS2_PT_PKS3_PKT0_S9_ifPKiSB_iPKfiiiSD_SD_iiiii.has_indirect_call, 0
	.section	.AMDGPU.csdata,"",@progbits
; Function info:
; codeLenInByte = 55904
; TotalNumSgprs: 35
; NumVgprs: 128
; ScratchSize: 352
; MemoryBound: 0
	.section	.text._ZN4vllm25paged_attention_v2_kernelIthLi96ELi32ELi128ELNS_18Fp8KVCacheDataTypeE1ELb1ELi512EEEvPfS2_PT_PKS3_PKT0_S9_ifPKiSB_iPKfiiiSD_SD_iiiii,"axG",@progbits,_ZN4vllm25paged_attention_v2_kernelIthLi96ELi32ELi128ELNS_18Fp8KVCacheDataTypeE1ELb1ELi512EEEvPfS2_PT_PKS3_PKT0_S9_ifPKiSB_iPKfiiiSD_SD_iiiii,comdat
	.protected	_ZN4vllm25paged_attention_v2_kernelIthLi96ELi32ELi128ELNS_18Fp8KVCacheDataTypeE1ELb1ELi512EEEvPfS2_PT_PKS3_PKT0_S9_ifPKiSB_iPKfiiiSD_SD_iiiii ; -- Begin function _ZN4vllm25paged_attention_v2_kernelIthLi96ELi32ELi128ELNS_18Fp8KVCacheDataTypeE1ELb1ELi512EEEvPfS2_PT_PKS3_PKT0_S9_ifPKiSB_iPKfiiiSD_SD_iiiii
	.globl	_ZN4vllm25paged_attention_v2_kernelIthLi96ELi32ELi128ELNS_18Fp8KVCacheDataTypeE1ELb1ELi512EEEvPfS2_PT_PKS3_PKT0_S9_ifPKiSB_iPKfiiiSD_SD_iiiii
	.p2align	8
	.type	_ZN4vllm25paged_attention_v2_kernelIthLi96ELi32ELi128ELNS_18Fp8KVCacheDataTypeE1ELb1ELi512EEEvPfS2_PT_PKS3_PKT0_S9_ifPKiSB_iPKfiiiSD_SD_iiiii,@function
_ZN4vllm25paged_attention_v2_kernelIthLi96ELi32ELi128ELNS_18Fp8KVCacheDataTypeE1ELb1ELi512EEEvPfS2_PT_PKS3_PKT0_S9_ifPKiSB_iPKfiiiSD_SD_iiiii: ; @_ZN4vllm25paged_attention_v2_kernelIthLi96ELi32ELi128ELNS_18Fp8KVCacheDataTypeE1ELb1ELi512EEEvPfS2_PT_PKS3_PKT0_S9_ifPKiSB_iPKfiiiSD_SD_iiiii
; %bb.0:
	s_mov_b32 s14, s8
	s_clause 0x7
	s_load_dwordx4 s[36:39], s[4:5], 0x78
	s_load_dword s8, s[4:5], 0x88
	s_load_dwordx8 s[40:47], s[4:5], 0x0
	s_load_dwordx8 s[24:31], s[4:5], 0x20
	s_load_dwordx2 s[10:11], s[4:5], 0x40
	s_load_dwordx2 s[34:35], s[4:5], 0x50
	s_load_dword s13, s[4:5], 0x48
	s_load_dwordx8 s[16:23], s[4:5], 0x58
	s_add_u32 s0, s0, s9
	s_mov_b32 s32, 0
	s_addc_u32 s1, s1, 0
	v_mov_b32_e32 v31, v0
	s_mov_b32 s12, s6
	s_mov_b32 s15, 49
	s_waitcnt lgkmcnt(0)
	v_mov_b32_e32 v1, s39
	v_mov_b32_e32 v2, s8
	v_mov_b32_e32 v0, s40
	v_mov_b32_e32 v3, s43
	buffer_store_dword v1, off, s[0:3], s32
	buffer_store_dword v2, off, s[0:3], s32 offset:4
	v_mov_b32_e32 v1, s41
	v_mov_b32_e32 v2, s42
	;; [unrolled: 1-line block ×29, first 2 shown]
	s_add_u32 s8, s4, 0x90
	s_addc_u32 s9, s5, 0
	s_getpc_b64 s[4:5]
	s_add_u32 s4, s4, _ZN4vllm22paged_attention_kernelIthLi96ELi32ELi128ELNS_18Fp8KVCacheDataTypeE1ELb1ELi512EEEvPfS2_PT_PKS3_PKT0_S9_ifPKiSB_iPKfiiiSD_SD_iiiii@rel32@lo+4
	s_addc_u32 s5, s5, _ZN4vllm22paged_attention_kernelIthLi96ELi32ELi128ELNS_18Fp8KVCacheDataTypeE1ELb1ELi512EEEvPfS2_PT_PKS3_PKT0_S9_ifPKiSB_iPKfiiiSD_SD_iiiii@rel32@hi+12
	s_mov_b32 s13, s7
	s_swappc_b64 s[30:31], s[4:5]
	s_endpgm
	.section	.rodata,"a",@progbits
	.p2align	6, 0x0
	.amdhsa_kernel _ZN4vllm25paged_attention_v2_kernelIthLi96ELi32ELi128ELNS_18Fp8KVCacheDataTypeE1ELb1ELi512EEEvPfS2_PT_PKS3_PKT0_S9_ifPKiSB_iPKfiiiSD_SD_iiiii
		.amdhsa_group_segment_fixed_size 224
		.amdhsa_private_segment_fixed_size 352
		.amdhsa_kernarg_size 400
		.amdhsa_user_sgpr_count 6
		.amdhsa_user_sgpr_private_segment_buffer 1
		.amdhsa_user_sgpr_dispatch_ptr 0
		.amdhsa_user_sgpr_queue_ptr 0
		.amdhsa_user_sgpr_kernarg_segment_ptr 1
		.amdhsa_user_sgpr_dispatch_id 0
		.amdhsa_user_sgpr_flat_scratch_init 0
		.amdhsa_user_sgpr_private_segment_size 0
		.amdhsa_wavefront_size32 1
		.amdhsa_uses_dynamic_stack 0
		.amdhsa_system_sgpr_private_segment_wavefront_offset 1
		.amdhsa_system_sgpr_workgroup_id_x 1
		.amdhsa_system_sgpr_workgroup_id_y 1
		.amdhsa_system_sgpr_workgroup_id_z 1
		.amdhsa_system_sgpr_workgroup_info 0
		.amdhsa_system_vgpr_workitem_id 0
		.amdhsa_next_free_vgpr 128
		.amdhsa_next_free_sgpr 48
		.amdhsa_reserve_vcc 1
		.amdhsa_reserve_flat_scratch 0
		.amdhsa_float_round_mode_32 0
		.amdhsa_float_round_mode_16_64 0
		.amdhsa_float_denorm_mode_32 3
		.amdhsa_float_denorm_mode_16_64 3
		.amdhsa_dx10_clamp 1
		.amdhsa_ieee_mode 1
		.amdhsa_fp16_overflow 0
		.amdhsa_workgroup_processor_mode 1
		.amdhsa_memory_ordered 1
		.amdhsa_forward_progress 1
		.amdhsa_shared_vgpr_count 0
		.amdhsa_exception_fp_ieee_invalid_op 0
		.amdhsa_exception_fp_denorm_src 0
		.amdhsa_exception_fp_ieee_div_zero 0
		.amdhsa_exception_fp_ieee_overflow 0
		.amdhsa_exception_fp_ieee_underflow 0
		.amdhsa_exception_fp_ieee_inexact 0
		.amdhsa_exception_int_div_zero 0
	.end_amdhsa_kernel
	.section	.text._ZN4vllm25paged_attention_v2_kernelIthLi96ELi32ELi128ELNS_18Fp8KVCacheDataTypeE1ELb1ELi512EEEvPfS2_PT_PKS3_PKT0_S9_ifPKiSB_iPKfiiiSD_SD_iiiii,"axG",@progbits,_ZN4vllm25paged_attention_v2_kernelIthLi96ELi32ELi128ELNS_18Fp8KVCacheDataTypeE1ELb1ELi512EEEvPfS2_PT_PKS3_PKT0_S9_ifPKiSB_iPKfiiiSD_SD_iiiii,comdat
.Lfunc_end305:
	.size	_ZN4vllm25paged_attention_v2_kernelIthLi96ELi32ELi128ELNS_18Fp8KVCacheDataTypeE1ELb1ELi512EEEvPfS2_PT_PKS3_PKT0_S9_ifPKiSB_iPKfiiiSD_SD_iiiii, .Lfunc_end305-_ZN4vllm25paged_attention_v2_kernelIthLi96ELi32ELi128ELNS_18Fp8KVCacheDataTypeE1ELb1ELi512EEEvPfS2_PT_PKS3_PKT0_S9_ifPKiSB_iPKfiiiSD_SD_iiiii
                                        ; -- End function
	.set _ZN4vllm25paged_attention_v2_kernelIthLi96ELi32ELi128ELNS_18Fp8KVCacheDataTypeE1ELb1ELi512EEEvPfS2_PT_PKS3_PKT0_S9_ifPKiSB_iPKfiiiSD_SD_iiiii.num_vgpr, max(32, .L_ZN4vllm22paged_attention_kernelIthLi96ELi32ELi128ELNS_18Fp8KVCacheDataTypeE1ELb1ELi512EEEvPfS2_PT_PKS3_PKT0_S9_ifPKiSB_iPKfiiiSD_SD_iiiii.num_vgpr)
	.set _ZN4vllm25paged_attention_v2_kernelIthLi96ELi32ELi128ELNS_18Fp8KVCacheDataTypeE1ELb1ELi512EEEvPfS2_PT_PKS3_PKT0_S9_ifPKiSB_iPKfiiiSD_SD_iiiii.num_agpr, max(0, .L_ZN4vllm22paged_attention_kernelIthLi96ELi32ELi128ELNS_18Fp8KVCacheDataTypeE1ELb1ELi512EEEvPfS2_PT_PKS3_PKT0_S9_ifPKiSB_iPKfiiiSD_SD_iiiii.num_agpr)
	.set _ZN4vllm25paged_attention_v2_kernelIthLi96ELi32ELi128ELNS_18Fp8KVCacheDataTypeE1ELb1ELi512EEEvPfS2_PT_PKS3_PKT0_S9_ifPKiSB_iPKfiiiSD_SD_iiiii.numbered_sgpr, max(48, .L_ZN4vllm22paged_attention_kernelIthLi96ELi32ELi128ELNS_18Fp8KVCacheDataTypeE1ELb1ELi512EEEvPfS2_PT_PKS3_PKT0_S9_ifPKiSB_iPKfiiiSD_SD_iiiii.numbered_sgpr)
	.set _ZN4vllm25paged_attention_v2_kernelIthLi96ELi32ELi128ELNS_18Fp8KVCacheDataTypeE1ELb1ELi512EEEvPfS2_PT_PKS3_PKT0_S9_ifPKiSB_iPKfiiiSD_SD_iiiii.num_named_barrier, max(0, .L_ZN4vllm22paged_attention_kernelIthLi96ELi32ELi128ELNS_18Fp8KVCacheDataTypeE1ELb1ELi512EEEvPfS2_PT_PKS3_PKT0_S9_ifPKiSB_iPKfiiiSD_SD_iiiii.num_named_barrier)
	.set _ZN4vllm25paged_attention_v2_kernelIthLi96ELi32ELi128ELNS_18Fp8KVCacheDataTypeE1ELb1ELi512EEEvPfS2_PT_PKS3_PKT0_S9_ifPKiSB_iPKfiiiSD_SD_iiiii.private_seg_size, 0+max(.L_ZN4vllm22paged_attention_kernelIthLi96ELi32ELi128ELNS_18Fp8KVCacheDataTypeE1ELb1ELi512EEEvPfS2_PT_PKS3_PKT0_S9_ifPKiSB_iPKfiiiSD_SD_iiiii.private_seg_size)
	.set _ZN4vllm25paged_attention_v2_kernelIthLi96ELi32ELi128ELNS_18Fp8KVCacheDataTypeE1ELb1ELi512EEEvPfS2_PT_PKS3_PKT0_S9_ifPKiSB_iPKfiiiSD_SD_iiiii.uses_vcc, or(1, .L_ZN4vllm22paged_attention_kernelIthLi96ELi32ELi128ELNS_18Fp8KVCacheDataTypeE1ELb1ELi512EEEvPfS2_PT_PKS3_PKT0_S9_ifPKiSB_iPKfiiiSD_SD_iiiii.uses_vcc)
	.set _ZN4vllm25paged_attention_v2_kernelIthLi96ELi32ELi128ELNS_18Fp8KVCacheDataTypeE1ELb1ELi512EEEvPfS2_PT_PKS3_PKT0_S9_ifPKiSB_iPKfiiiSD_SD_iiiii.uses_flat_scratch, or(0, .L_ZN4vllm22paged_attention_kernelIthLi96ELi32ELi128ELNS_18Fp8KVCacheDataTypeE1ELb1ELi512EEEvPfS2_PT_PKS3_PKT0_S9_ifPKiSB_iPKfiiiSD_SD_iiiii.uses_flat_scratch)
	.set _ZN4vllm25paged_attention_v2_kernelIthLi96ELi32ELi128ELNS_18Fp8KVCacheDataTypeE1ELb1ELi512EEEvPfS2_PT_PKS3_PKT0_S9_ifPKiSB_iPKfiiiSD_SD_iiiii.has_dyn_sized_stack, or(0, .L_ZN4vllm22paged_attention_kernelIthLi96ELi32ELi128ELNS_18Fp8KVCacheDataTypeE1ELb1ELi512EEEvPfS2_PT_PKS3_PKT0_S9_ifPKiSB_iPKfiiiSD_SD_iiiii.has_dyn_sized_stack)
	.set _ZN4vllm25paged_attention_v2_kernelIthLi96ELi32ELi128ELNS_18Fp8KVCacheDataTypeE1ELb1ELi512EEEvPfS2_PT_PKS3_PKT0_S9_ifPKiSB_iPKfiiiSD_SD_iiiii.has_recursion, or(0, .L_ZN4vllm22paged_attention_kernelIthLi96ELi32ELi128ELNS_18Fp8KVCacheDataTypeE1ELb1ELi512EEEvPfS2_PT_PKS3_PKT0_S9_ifPKiSB_iPKfiiiSD_SD_iiiii.has_recursion)
	.set _ZN4vllm25paged_attention_v2_kernelIthLi96ELi32ELi128ELNS_18Fp8KVCacheDataTypeE1ELb1ELi512EEEvPfS2_PT_PKS3_PKT0_S9_ifPKiSB_iPKfiiiSD_SD_iiiii.has_indirect_call, or(0, .L_ZN4vllm22paged_attention_kernelIthLi96ELi32ELi128ELNS_18Fp8KVCacheDataTypeE1ELb1ELi512EEEvPfS2_PT_PKS3_PKT0_S9_ifPKiSB_iPKfiiiSD_SD_iiiii.has_indirect_call)
	.section	.AMDGPU.csdata,"",@progbits
; Kernel info:
; codeLenInByte = 292
; TotalNumSgprs: 50
; NumVgprs: 128
; ScratchSize: 352
; MemoryBound: 0
; FloatMode: 240
; IeeeMode: 1
; LDSByteSize: 224 bytes/workgroup (compile time only)
; SGPRBlocks: 0
; VGPRBlocks: 15
; NumSGPRsForWavesPerEU: 50
; NumVGPRsForWavesPerEU: 128
; Occupancy: 8
; WaveLimiterHint : 1
; COMPUTE_PGM_RSRC2:SCRATCH_EN: 1
; COMPUTE_PGM_RSRC2:USER_SGPR: 6
; COMPUTE_PGM_RSRC2:TRAP_HANDLER: 0
; COMPUTE_PGM_RSRC2:TGID_X_EN: 1
; COMPUTE_PGM_RSRC2:TGID_Y_EN: 1
; COMPUTE_PGM_RSRC2:TGID_Z_EN: 1
; COMPUTE_PGM_RSRC2:TIDIG_COMP_CNT: 0
	.text
	.p2align	2                               ; -- Begin function _ZN4vllm22paged_attention_kernelIthLi112ELi32ELi128ELNS_18Fp8KVCacheDataTypeE1ELb1ELi512EEEvPfS2_PT_PKS3_PKT0_S9_ifPKiSB_iPKfiiiSD_SD_iiiii
	.type	_ZN4vllm22paged_attention_kernelIthLi112ELi32ELi128ELNS_18Fp8KVCacheDataTypeE1ELb1ELi512EEEvPfS2_PT_PKS3_PKT0_S9_ifPKiSB_iPKfiiiSD_SD_iiiii,@function
_ZN4vllm22paged_attention_kernelIthLi112ELi32ELi128ELNS_18Fp8KVCacheDataTypeE1ELb1ELi512EEEvPfS2_PT_PKS3_PKT0_S9_ifPKiSB_iPKfiiiSD_SD_iiiii: ; @_ZN4vllm22paged_attention_kernelIthLi112ELi32ELi128ELNS_18Fp8KVCacheDataTypeE1ELb1ELi512EEEvPfS2_PT_PKS3_PKT0_S9_ifPKiSB_iPKfiiiSD_SD_iiiii
; %bb.0:
	s_waitcnt vmcnt(0) expcnt(0) lgkmcnt(0)
	buffer_store_dword v40, off, s[0:3], s32 offset:196 ; 4-byte Folded Spill
	buffer_store_dword v41, off, s[0:3], s32 offset:192 ; 4-byte Folded Spill
	;; [unrolled: 1-line block ×48, first 2 shown]
	s_mov_b32 s18, s13
	s_ashr_i32 s19, s13, 31
	buffer_store_dword v26, off, s[0:3], s32 offset:200 ; 4-byte Folded Spill
	buffer_store_dword v27, off, s[0:3], s32 offset:204 ; 4-byte Folded Spill
	;; [unrolled: 1-line block ×8, first 2 shown]
	s_lshl_b64 s[4:5], s[18:19], 2
	v_mov_b32_e32 v24, v0
	v_add_co_u32 v0, vcc_lo, v16, s4
	v_mov_b32_e32 v22, v1
	v_add_co_ci_u32_e64 v1, null, s5, v17, vcc_lo
	v_mov_b32_e32 v25, v3
	v_mov_b32_e32 v26, v2
	s_lshl_b32 s7, s14, 9
	flat_load_dword v36, v[0:1]
	s_clause 0x1
	buffer_load_dword v0, off, s[0:3], s32 offset:4
	buffer_load_dword v1, off, s[0:3], s32
	s_mov_b32 s19, exec_lo
	s_waitcnt vmcnt(2) lgkmcnt(0)
	v_cmpx_lt_i32_e64 s7, v36
	s_cbranch_execz .LBB306_1900
; %bb.1:
	v_sub_nc_u32_e32 v2, 0, v12
	s_clause 0x1
	s_load_dword s4, s[8:9], 0x10
	s_load_dword s5, s[8:9], 0x0
	s_mov_b32 s16, s15
	v_max_i32_e32 v2, v12, v2
	v_cvt_f32_u32_e32 v3, v2
	v_sub_nc_u32_e32 v4, 0, v2
	v_rcp_iflag_f32_e32 v3, v3
	s_waitcnt lgkmcnt(0)
	s_lshr_b32 s4, s4, 16
	s_cmp_lg_u32 s4, 0
	s_cselect_b32 s4, -1, 0
	v_mul_f32_e32 v3, 0x4f7ffffe, v3
	s_cmp_lg_u32 s4, 0
	s_addc_u32 s15, s5, 0
	s_mov_b32 s5, exec_lo
	v_cvt_u32_f32_e32 v3, v3
	s_abs_i32 s4, s15
	v_mul_lo_u32 v4, v4, v3
	v_mul_hi_u32 v4, v3, v4
	v_add_nc_u32_e32 v3, v3, v4
	v_mul_hi_u32 v3, s4, v3
	v_mul_lo_u32 v4, v3, v2
	v_add_nc_u32_e32 v5, 1, v3
	v_sub_nc_u32_e32 v4, s4, v4
	s_abs_i32 s4, s12
	v_sub_nc_u32_e32 v13, v4, v2
	v_cmp_ge_u32_e32 vcc_lo, v4, v2
	v_cndmask_b32_e32 v3, v3, v5, vcc_lo
	v_cndmask_b32_e32 v4, v4, v13, vcc_lo
	v_xor_b32_e32 v5, s15, v12
	v_add_nc_u32_e32 v13, 1, v3
	v_cmp_ge_u32_e32 vcc_lo, v4, v2
	v_ashrrev_i32_e32 v5, 31, v5
	v_cndmask_b32_e32 v2, v3, v13, vcc_lo
	v_xor_b32_e32 v2, v2, v5
	v_sub_nc_u32_e32 v3, v2, v5
	v_sub_nc_u32_e32 v2, 0, v3
	v_max_i32_e32 v2, v3, v2
	v_cvt_f32_u32_e32 v4, v2
	v_sub_nc_u32_e32 v5, 0, v2
	v_rcp_iflag_f32_e32 v4, v4
	v_mul_f32_e32 v4, 0x4f7ffffe, v4
	v_cvt_u32_f32_e32 v4, v4
	v_mul_lo_u32 v5, v5, v4
	v_mul_hi_u32 v5, v4, v5
	v_add_nc_u32_e32 v4, v4, v5
	v_mad_u64_u32 v[16:17], null, s4, v4, 0
	v_mov_b32_e32 v4, 0
	buffer_store_dword v4, off, s[0:3], s32 offset:312 ; 4-byte Folded Spill
	v_cmpx_ne_u64_e32 0, v[19:20]
	s_cbranch_execz .LBB306_3
; %bb.2:
	s_ashr_i32 s13, s12, 31
	s_lshl_b64 s[10:11], s[12:13], 2
	v_add_co_u32 v4, vcc_lo, v19, s10
	v_add_co_ci_u32_e64 v5, null, s11, v20, vcc_lo
	flat_load_dword v4, v[4:5]
	s_waitcnt vmcnt(0) lgkmcnt(0)
	buffer_store_dword v4, off, s[0:3], s32 offset:312 ; 4-byte Folded Spill
.LBB306_3:
	s_or_b32 exec_lo, exec_lo, s5
	v_and_b32_e32 v19, 0x3ff, v31
	v_ashrrev_i32_e32 v3, 31, v3
	s_ashr_i32 s5, s12, 31
	s_mul_i32 s10, s12, 0x70
	s_mov_b32 s6, exec_lo
	v_cmpx_gt_u32_e32 14, v19
	s_cbranch_execz .LBB306_5
; %bb.4:
	v_mul_lo_u32 v4, v21, s18
	s_ashr_i32 s11, s10, 31
	v_lshlrev_b32_e32 v13, 4, v19
	s_lshl_b64 s[20:21], s[10:11], 1
	v_ashrrev_i32_e32 v5, 31, v4
	v_lshlrev_b64 v[4:5], 1, v[4:5]
	v_add_co_u32 v4, vcc_lo, v6, v4
	v_add_co_ci_u32_e64 v5, null, v7, v5, vcc_lo
	v_add_co_u32 v4, vcc_lo, v4, s20
	v_add_co_ci_u32_e64 v5, null, s21, v5, vcc_lo
	;; [unrolled: 2-line block ×3, first 2 shown]
	flat_load_dwordx4 v[4:7], v[4:5]
	s_waitcnt vmcnt(0) lgkmcnt(0)
	ds_write_b128 v13, v[4:7]
.LBB306_5:
	s_or_b32 exec_lo, exec_lo, s6
	s_waitcnt vmcnt(0)
	v_sub_nc_u32_e32 v4, 0, v1
	v_mul_lo_u32 v5, v17, v2
	v_add_nc_u32_e32 v7, 1, v17
	v_xor_b32_e32 v3, s5, v3
	v_max_i32_e32 v108, v1, v4
	v_sub_nc_u32_e32 v5, s4, v5
	v_cvt_f32_u32_e32 v4, v108
	s_mov_b32 s4, exec_lo
	v_sub_nc_u32_e32 v16, v5, v2
	v_rcp_iflag_f32_e32 v4, v4
	v_cmp_ge_u32_e32 vcc_lo, v5, v2
	v_cndmask_b32_e32 v7, v17, v7, vcc_lo
	v_cndmask_b32_e32 v5, v5, v16, vcc_lo
	v_mul_f32_e32 v4, 0x4f7ffffe, v4
	v_add_nc_u32_e32 v17, 1, v7
	v_cmp_ge_u32_e32 vcc_lo, v5, v2
	v_cvt_u32_f32_e32 v6, v4
	v_sub_nc_u32_e32 v4, 0, v108
	v_cndmask_b32_e32 v5, v7, v17, vcc_lo
	v_mul_lo_u32 v13, v4, v6
	v_add_nc_u32_e32 v4, -1, v36
	v_xor_b32_e32 v5, v5, v3
	v_mul_hi_u32 v16, v6, v13
	v_sub_nc_u32_e32 v13, 0, v4
	v_max_i32_e32 v2, v4, v13
	v_add_nc_u32_e32 v6, v6, v16
	v_mad_u64_u32 v[16:17], null, v2, v6, 0
	v_sub_nc_u32_e32 v16, v5, v3
                                        ; implicit-def: $vgpr3
	buffer_store_dword v6, off, s[0:3], s32 offset:232 ; 4-byte Folded Spill
	s_waitcnt lgkmcnt(0)
	s_waitcnt_vscnt null, 0x0
	s_barrier
	buffer_gl0_inv
	buffer_store_dword v3, off, s[0:3], s32 offset:216 ; 4-byte Folded Spill
	buffer_store_dword v4, off, s[0:3], s32 offset:220 ; 4-byte Folded Spill
	v_cmpx_gt_i32_e32 0, v0
	s_xor_b32 s4, exec_lo, s4
	s_cbranch_execz .LBB306_7
; %bb.6:
	v_mad_u64_u32 v[5:6], null, v28, v12, v[16:17]
                                        ; implicit-def: $vgpr28
	v_mul_lo_u32 v0, v5, v0
	v_sub_nc_u32_e32 v0, 1, v0
	buffer_store_dword v0, off, s[0:3], s32 offset:216 ; 4-byte Folded Spill
	buffer_store_dword v1, off, s[0:3], s32 offset:220 ; 4-byte Folded Spill
                                        ; implicit-def: $vgpr0
.LBB306_7:
	s_or_saveexec_b32 s4, s4
	v_ashrrev_i32_e32 v3, 31, v4
	v_ashrrev_i32_e32 v1, 31, v1
	buffer_store_dword v1, off, s[0:3], s32 offset:224 ; 4-byte Folded Spill
	s_xor_b32 exec_lo, exec_lo, s4
	s_cbranch_execz .LBB306_9
; %bb.8:
	v_mad_u64_u32 v[4:5], null, s15, v28, s[12:13]
	v_mad_u64_u32 v[0:1], null, v4, v0, 1
	buffer_store_dword v0, off, s[0:3], s32 offset:216 ; 4-byte Folded Spill
	buffer_store_dword v1, off, s[0:3], s32 offset:220 ; 4-byte Folded Spill
.LBB306_9:
	s_or_b32 exec_lo, exec_lo, s4
	s_clause 0x1
	s_load_dword s22, s[8:9], 0x14
	s_load_dword s11, s[8:9], 0x8
	buffer_load_dword v5, off, s[0:3], s32 offset:224 ; 4-byte Folded Reload
	v_mul_lo_u32 v0, v17, v108
	v_add_nc_u32_e32 v1, 31, v36
	v_add_nc_u32_e32 v4, 1, v17
	v_lshrrev_b32_e32 v7, 5, v19
	s_lshl_b32 s13, s14, 4
	v_mul_lo_u32 v16, v16, v23
	s_add_i32 s4, s13, 16
	v_and_b32_e32 v12, 31, v19
	v_sub_nc_u32_e32 v2, v2, v0
	buffer_store_dword v7, off, s[0:3], s32 offset:328 ; 4-byte Folded Spill
	v_mul_lo_u32 v0, v18, s18
	v_mov_b32_e32 v13, 0xff7fffff
	v_sub_nc_u32_e32 v18, 0, v30
	v_sub_nc_u32_e32 v6, v2, v108
	v_cmp_ge_u32_e32 vcc_lo, v2, v108
	v_lshl_add_u32 v23, v7, 5, s7
	v_ashrrev_i32_e32 v27, 31, v16
	v_cndmask_b32_e32 v4, v17, v4, vcc_lo
	v_cndmask_b32_e32 v2, v2, v6, vcc_lo
	v_add_nc_u32_e32 v6, 1, v4
	v_cmp_ge_u32_e32 vcc_lo, v2, v108
	v_cndmask_b32_e32 v2, v4, v6, vcc_lo
	v_add_nc_u32_e32 v4, s13, v7
	s_waitcnt vmcnt(0)
	v_xor_b32_e32 v3, v3, v5
	v_ashrrev_i32_e32 v5, 31, v1
	v_xor_b32_e32 v2, v2, v3
	v_lshrrev_b32_e32 v5, 27, v5
	v_sub_nc_u32_e32 v2, v2, v3
	v_add_nc_u32_e32 v1, v1, v5
	v_ashrrev_i32_e32 v5, 31, v4
	v_ashrrev_i32_e32 v17, 5, v1
	;; [unrolled: 1-line block ×3, first 2 shown]
	v_min_i32_e32 v6, s4, v17
	buffer_store_dword v4, off, s[0:3], s32 offset:208 ; 4-byte Folded Spill
	buffer_store_dword v5, off, s[0:3], s32 offset:212 ; 4-byte Folded Spill
	;; [unrolled: 1-line block ×3, first 2 shown]
	v_lshlrev_b64 v[37:38], 2, v[0:1]
	v_sub_nc_u32_e32 v0, v2, v29
	buffer_store_dword v0, off, s[0:3], s32 offset:236 ; 4-byte Folded Spill
	buffer_store_dword v12, off, s[0:3], s32 offset:296 ; 4-byte Folded Spill
	v_lshlrev_b32_e32 v12, 2, v12
	v_cmp_lt_i32_e64 s4, v4, v6
	s_and_saveexec_b32 s23, s4
	s_cbranch_execz .LBB306_913
; %bb.10:
	v_max_i32_e32 v13, v30, v18
	buffer_store_dword v17, off, s[0:3], s32 offset:392 ; 4-byte Folded Spill
	buffer_store_dword v26, off, s[0:3], s32 offset:376 ; 4-byte Folded Spill
	;; [unrolled: 1-line block ×10, first 2 shown]
	buffer_load_dword v7, off, s[0:3], s32 offset:296 ; 4-byte Folded Reload
	buffer_store_dword v16, off, s[0:3], s32 offset:388 ; 4-byte Folded Spill
	buffer_store_dword v27, off, s[0:3], s32 offset:400 ; 4-byte Folded Spill
	v_cvt_f32_u32_e32 v0, v13
	v_add_co_u32 v3, vcc_lo, v8, v16
	v_add_co_ci_u32_e64 v4, null, v9, v27, vcc_lo
	v_rcp_iflag_f32_e32 v2, v0
	s_clause 0x3
	buffer_load_dword v0, off, s[0:3], s32 offset:312
	buffer_load_dword v10, off, s[0:3], s32 offset:208
	;; [unrolled: 1-line block ×4, first 2 shown]
	s_ashr_i32 s17, s16, 31
	s_getpc_b64 s[8:9]
	s_add_u32 s8, s8, llvm.amdgcn.dynlds.offset.table@rel32@lo+4
	s_addc_u32 s9, s9, llvm.amdgcn.dynlds.offset.table@rel32@hi+12
	s_lshl_b64 s[20:21], s[16:17], 2
	buffer_store_dword v12, off, s[0:3], s32 offset:404 ; 4-byte Folded Spill
	s_add_u32 s8, s8, s20
	s_addc_u32 s9, s9, s21
	buffer_store_dword v13, off, s[0:3], s32 offset:248 ; 4-byte Folded Spill
	s_load_dword s17, s[8:9], 0x0
	v_mul_f32_e32 v2, 0x4f7ffffe, v2
	v_mov_b32_e32 v8, 0
	v_mov_b32_e32 v68, 0x80
	s_mov_b32 s20, -1
	s_mov_b32 s24, 0
	v_cvt_u32_f32_e32 v2, v2
	s_mov_b32 s21, 0xffffff
	s_waitcnt vmcnt(4)
	v_lshlrev_b32_e32 v5, 4, v7
	v_add_co_u32 v3, s5, v3, v5
	v_add_co_ci_u32_e64 v4, null, 0, v4, s5
	s_waitcnt vmcnt(3)
	v_cmp_neq_f32_e32 vcc_lo, 0, v0
	s_waitcnt vmcnt(1)
	v_lshlrev_b64 v[0:1], 2, v[10:11]
	buffer_store_dword v3, off, s[0:3], s32 offset:316 ; 4-byte Folded Spill
	buffer_store_dword v4, off, s[0:3], s32 offset:320 ; 4-byte Folded Spill
	s_waitcnt vmcnt(0)
	v_lshl_add_u32 v9, v6, 5, s7
	v_lshl_or_b32 v67, v6, 7, v12
	v_sub_nc_u32_e32 v6, v7, v36
	v_add_co_u32 v0, s5, v37, v0
	buffer_store_dword v37, off, s[0:3], s32 offset:380 ; 4-byte Folded Spill
	buffer_store_dword v38, off, s[0:3], s32 offset:384 ; 4-byte Folded Spill
	v_sub_nc_u32_e32 v7, 0, v13
	v_mov_b32_e32 v13, 0xff7fffff
	v_add_nc_u32_e32 v4, 1, v6
	v_mov_b32_e32 v82, v10
	buffer_store_dword v4, off, s[0:3], s32 offset:324 ; 4-byte Folded Spill
	buffer_store_dword v14, off, s[0:3], s32 offset:348 ; 4-byte Folded Spill
	v_mul_lo_u32 v7, v7, v2
	buffer_store_dword v15, off, s[0:3], s32 offset:344 ; 4-byte Folded Spill
	v_mul_hi_u32 v3, v2, v7
	v_add_co_ci_u32_e64 v1, null, v38, v1, s5
	v_add_co_u32 v28, s5, v14, v0
	v_add_nc_u32_e32 v0, v2, v3
	v_add_co_ci_u32_e64 v29, null, v15, v1, s5
	buffer_store_dword v0, off, s[0:3], s32 offset:252 ; 4-byte Folded Spill
	s_branch .LBB306_16
.LBB306_11:                             ;   in Loop: Header=BB306_16 Depth=1
	s_or_b32 exec_lo, exec_lo, s28
	v_lshlrev_b32_e32 v7, 8, v7
	v_lshl_add_u32 v17, v17, 10, 0x2000
	v_lshlrev_b32_e32 v16, 23, v16
	v_and_or_b32 v7, 0x8000, v7, v17
	v_lshl_or_b32 v16, v7, 16, v16
.LBB306_12:                             ;   in Loop: Header=BB306_16 Depth=1
	s_or_b32 exec_lo, exec_lo, s27
.LBB306_13:                             ;   in Loop: Header=BB306_16 Depth=1
	s_or_b32 exec_lo, exec_lo, s26
.LBB306_14:                             ;   in Loop: Header=BB306_16 Depth=1
	s_or_b32 exec_lo, exec_lo, s25
	v_or_b32_e32 v7, v94, v90
	v_fma_mixlo_f16 v17, v83, v94, 0 op_sel:[0,1,0] op_sel_hi:[0,1,0]
	v_or_b32_e32 v0, v1, v0
	v_fma_mixlo_f16 v34, v83, v51, 0 op_sel:[0,1,0] op_sel_hi:[0,1,0]
	v_fma_mixlo_f16 v90, v83, v66, 0 op_sel:[0,1,0] op_sel_hi:[0,1,0]
	v_fma_mixlo_f16 v7, v83, v7, 0 op_sel_hi:[0,1,0]
	buffer_store_dword v17, off, s[0:3], s32 offset:284 ; 4-byte Folded Spill
	v_fma_mixlo_f16 v17, v83, v89, 0 op_sel:[0,1,0] op_sel_hi:[0,1,0]
	v_fma_mixlo_f16 v32, v83, v84, 0 op_sel:[0,1,0] op_sel_hi:[0,1,0]
	v_or_b32_e32 v2, v3, v2
	buffer_store_dword v7, off, s[0:3], s32 offset:288 ; 4-byte Folded Spill
	v_or_b32_e32 v7, v89, v113
	buffer_store_dword v17, off, s[0:3], s32 offset:292 ; 4-byte Folded Spill
	v_fma_mixlo_f16 v17, v83, v120, 0 op_sel:[0,1,0] op_sel_hi:[0,1,0]
	s_load_dword s25, s[8:9], 0x0
	v_fma_mixlo_f16 v3, v83, v3, 0 op_sel:[0,1,0] op_sel_hi:[0,1,0]
	v_fma_mixlo_f16 v94, v83, v7, 0 op_sel_hi:[0,1,0]
	v_or_b32_e32 v7, v120, v93
	buffer_store_dword v17, off, s[0:3], s32 offset:276 ; 4-byte Folded Spill
	v_fma_mixlo_f16 v17, v83, v19, 0 op_sel:[0,1,0] op_sel_hi:[0,1,0]
	v_fma_mixlo_f16 v2, v83, v2, 0 op_sel_hi:[0,1,0]
	v_and_b32_e32 v3, 0xffff, v3
	v_fma_mixlo_f16 v7, v83, v7, 0 op_sel_hi:[0,1,0]
	v_and_b32_e32 v2, 0xffff, v2
	buffer_store_dword v7, off, s[0:3], s32 offset:280 ; 4-byte Folded Spill
	v_or_b32_e32 v7, v121, v111
	v_fma_mixlo_f16 v111, v83, v103, 0 op_sel:[0,1,0] op_sel_hi:[0,1,0]
	v_fma_mixlo_f16 v7, v83, v7, 0 op_sel_hi:[0,1,0]
	buffer_store_dword v7, off, s[0:3], s32 offset:272 ; 4-byte Folded Spill
	v_fma_mixlo_f16 v7, v83, v121, 0 op_sel:[0,1,0] op_sel_hi:[0,1,0]
	v_fma_mixlo_f16 v121, v83, v102, 0 op_sel:[0,1,0] op_sel_hi:[0,1,0]
	buffer_store_dword v7, off, s[0:3], s32 offset:268 ; 4-byte Folded Spill
	v_or_b32_e32 v7, v66, v53
	v_fma_mixlo_f16 v89, v83, v7, 0 op_sel_hi:[0,1,0]
	v_or_b32_e32 v7, v19, v15
	v_fma_mixlo_f16 v15, v83, v0, 0 op_sel_hi:[0,1,0]
	v_or_b32_e32 v0, v25, v4
	v_fma_mixlo_f16 v19, v83, v1, 0 op_sel:[0,1,0] op_sel_hi:[0,1,0]
	v_fma_mixlo_f16 v4, v83, v25, 0 op_sel:[0,1,0] op_sel_hi:[0,1,0]
	v_fma_mixlo_f16 v53, v83, v7, 0 op_sel_hi:[0,1,0]
	v_or_b32_e32 v7, v102, v55
	v_fma_mixlo_f16 v1, v83, v0, 0 op_sel_hi:[0,1,0]
	v_or_b32_e32 v0, v51, v5
	;; [unrolled: 2-line block ×4, first 2 shown]
	v_fma_mixlo_f16 v21, v83, v22, 0 op_sel:[0,1,0] op_sel_hi:[0,1,0]
	v_fma_mixlo_f16 v22, v83, v20, 0 op_sel:[0,1,0] op_sel_hi:[0,1,0]
	v_fma_mixlo_f16 v103, v83, v77, 0 op_sel:[0,1,0] op_sel_hi:[0,1,0]
	v_fma_mixlo_f16 v120, v83, v7, 0 op_sel_hi:[0,1,0]
	v_fma_mixlo_f16 v55, v83, v0, 0 op_sel_hi:[0,1,0]
	v_or_b32_e32 v0, v20, v12
	v_fma_mixlo_f16 v12, v83, v49, 0 op_sel:[0,1,0] op_sel_hi:[0,1,0]
	v_or_b32_e32 v7, v98, v127
	v_fma_mixlo_f16 v100, v83, v11, 0 op_sel:[0,1,0] op_sel_hi:[0,1,0]
	v_and_b32_e32 v1, 0xffff, v1
	v_fma_mixlo_f16 v25, v83, v0, 0 op_sel_hi:[0,1,0]
	v_or_b32_e32 v0, v48, v30
	v_fma_mixlo_f16 v30, v83, v48, 0 op_sel:[0,1,0] op_sel_hi:[0,1,0]
	v_fma_mixlo_f16 v48, v83, v24, 0 op_sel:[0,1,0] op_sel_hi:[0,1,0]
	v_and_b32_e32 v12, 0xffff, v12
	v_fma_mixlo_f16 v20, v83, v0, 0 op_sel_hi:[0,1,0]
	v_or_b32_e32 v0, v49, v38
	v_fma_mixlo_f16 v38, v83, v0, 0 op_sel_hi:[0,1,0]
	v_or_b32_e32 v0, v6, v71
	v_fma_mixlo_f16 v71, v83, v65, 0 op_sel:[0,1,0] op_sel_hi:[0,1,0]
	v_fma_mixlo_f16 v6, v83, v6, 0 op_sel:[0,1,0] op_sel_hi:[0,1,0]
	v_fma_mixlo_f16 v51, v83, v0, 0 op_sel_hi:[0,1,0]
	v_or_b32_e32 v0, v24, v13
	v_fma_mixlo_f16 v13, v83, v69, 0 op_sel:[0,1,0] op_sel_hi:[0,1,0]
	v_and_b32_e32 v6, 0xffff, v6
	v_fma_mixlo_f16 v49, v83, v0, 0 op_sel_hi:[0,1,0]
	v_or_b32_e32 v0, v65, v81
	v_and_b32_e32 v13, 0xffff, v13
	v_fma_mixlo_f16 v81, v83, v0, 0 op_sel_hi:[0,1,0]
	v_or_b32_e32 v0, v69, v50
	v_fma_mixlo_f16 v69, v83, v14, 0 op_sel:[0,1,0] op_sel_hi:[0,1,0]
	v_fma_mixlo_f16 v50, v83, v80, 0 op_sel:[0,1,0] op_sel_hi:[0,1,0]
	v_fma_mixlo_f16 v24, v83, v0, 0 op_sel_hi:[0,1,0]
	v_or_b32_e32 v0, v14, v10
	v_fma_mixlo_f16 v14, v83, v70, 0 op_sel:[0,1,0] op_sel_hi:[0,1,0]
	v_fma_mixlo_f16 v10, v83, v115, 0 op_sel:[0,1,0] op_sel_hi:[0,1,0]
	v_fma_mixlo_f16 v66, v83, v0, 0 op_sel_hi:[0,1,0]
	v_or_b32_e32 v0, v11, v52
	v_fma_mixlo_f16 v52, v83, v112, 0 op_sel:[0,1,0] op_sel_hi:[0,1,0]
	v_and_b32_e32 v10, 0xffff, v10
	v_and_b32_e32 v14, 0xffff, v14
	v_fma_mixlo_f16 v102, v83, v0, 0 op_sel_hi:[0,1,0]
	v_or_b32_e32 v0, v80, v18
	v_fma_mixlo_f16 v80, v83, v37, 0 op_sel:[0,1,0] op_sel_hi:[0,1,0]
	v_and_b32_e32 v52, 0xffff, v52
	v_fma_mixlo_f16 v65, v83, v0, 0 op_sel_hi:[0,1,0]
	v_or_b32_e32 v0, v70, v35
	v_fma_mixlo_f16 v35, v83, v54, 0 op_sel:[0,1,0] op_sel_hi:[0,1,0]
	v_fma_mixlo_f16 v18, v83, v0, 0 op_sel_hi:[0,1,0]
	v_or_b32_e32 v0, v124, v110
	v_fma_mixlo_f16 v110, v83, v124, 0 op_sel:[0,1,0] op_sel_hi:[0,1,0]
	v_and_b32_e32 v18, 0xffff, v18
	v_fma_mixlo_f16 v124, v83, v0, 0 op_sel_hi:[0,1,0]
	v_or_b32_e32 v0, v109, v104
	v_fma_mixlo_f16 v109, v83, v109, 0 op_sel:[0,1,0] op_sel_hi:[0,1,0]
	v_fma_mixlo_f16 v31, v83, v0, 0 op_sel_hi:[0,1,0]
	v_or_b32_e32 v0, v37, v122
	v_fma_mixlo_f16 v37, v83, v101, 0 op_sel:[0,1,0] op_sel_hi:[0,1,0]
	v_fma_mixlo_f16 v104, v83, v0, 0 op_sel_hi:[0,1,0]
	v_or_b32_e32 v0, v54, v64
	v_and_b32_e32 v37, 0xffff, v37
	v_fma_mixlo_f16 v70, v83, v0, 0 op_sel_hi:[0,1,0]
	v_or_b32_e32 v0, v88, v78
	v_fma_mixlo_f16 v78, v83, v92, 0 op_sel:[0,1,0] op_sel_hi:[0,1,0]
	v_fma_mixlo_f16 v88, v83, v88, 0 op_sel:[0,1,0] op_sel_hi:[0,1,0]
	v_fma_mixlo_f16 v122, v83, v0, 0 op_sel_hi:[0,1,0]
	v_or_b32_e32 v0, v77, v76
	v_fma_mixlo_f16 v76, v83, v95, 0 op_sel:[0,1,0] op_sel_hi:[0,1,0]
	v_fma_mixlo_f16 v113, v83, v0, 0 op_sel_hi:[0,1,0]
	v_or_b32_e32 v0, v92, v79
	v_fma_mixlo_f16 v92, v83, v61, 0 op_sel:[0,1,0] op_sel_hi:[0,1,0]
	v_fma_mixlo_f16 v79, v83, v0, 0 op_sel_hi:[0,1,0]
	v_or_b32_e32 v0, v95, v91
	v_fma_mixlo_f16 v77, v83, v0, 0 op_sel_hi:[0,1,0]
	v_or_b32_e32 v0, v72, v62
	v_fma_mixlo_f16 v62, v83, v74, 0 op_sel:[0,1,0] op_sel_hi:[0,1,0]
	v_fma_mixlo_f16 v72, v83, v72, 0 op_sel:[0,1,0] op_sel_hi:[0,1,0]
	v_fma_mixlo_f16 v91, v83, v0, 0 op_sel_hi:[0,1,0]
	v_or_b32_e32 v0, v61, v60
	v_fma_mixlo_f16 v60, v83, v75, 0 op_sel:[0,1,0] op_sel_hi:[0,1,0]
	v_fma_mixlo_f16 v95, v83, v0, 0 op_sel_hi:[0,1,0]
	v_or_b32_e32 v0, v74, v63
	v_fma_mixlo_f16 v74, v83, v45, 0 op_sel:[0,1,0] op_sel_hi:[0,1,0]
	v_fma_mixlo_f16 v63, v83, v0, 0 op_sel_hi:[0,1,0]
	v_or_b32_e32 v0, v75, v73
	;; [unrolled: 12-line block ×4, first 2 shown]
	v_fma_mixlo_f16 v41, v83, v7, 0 op_sel_hi:[0,1,0]
	v_or_b32_e32 v7, v99, v126
	v_fma_mixlo_f16 v117, v83, v0, 0 op_sel_hi:[0,1,0]
	v_or_b32_e32 v0, v112, v123
	s_waitcnt lgkmcnt(0)
	v_add_nc_u32_e32 v123, s25, v67
	v_fma_mixlo_f16 v64, v83, v0, 0 op_sel_hi:[0,1,0]
	v_or_b32_e32 v0, v101, v27
	v_fma_mixlo_f16 v101, v83, v114, 0 op_sel:[0,1,0] op_sel_hi:[0,1,0]
	buffer_load_dword v27, off, s[0:3], s32 offset:312 ; 4-byte Folded Reload
	v_and_b32_e32 v64, 0xffff, v64
	v_fma_mixlo_f16 v54, v83, v0, 0 op_sel_hi:[0,1,0]
	buffer_load_dword v0, off, s[0:3], s32 offset:240 ; 4-byte Folded Reload
	s_waitcnt vmcnt(0)
	v_or_b32_e32 v0, v114, v0
	v_fma_mixlo_f16 v114, v83, v7, 0 op_sel_hi:[0,1,0]
	buffer_load_dword v7, off, s[0:3], s32 offset:296 ; 4-byte Folded Reload
	v_fma_mixlo_f16 v112, v83, v0, 0 op_sel_hi:[0,1,0]
	v_or_b32_e32 v0, v115, v97
	v_fma_mixlo_f16 v97, v83, v99, 0 op_sel:[0,1,0] op_sel_hi:[0,1,0]
	v_fma_mixlo_f16 v115, v83, v98, 0 op_sel:[0,1,0] op_sel_hi:[0,1,0]
	v_fma_mixlo_f16 v98, v83, v105, 0 op_sel:[0,1,0] op_sel_hi:[0,1,0]
	v_fma_mixlo_f16 v11, v83, v0, 0 op_sel_hi:[0,1,0]
	v_or_b32_e32 v0, v86, v125
	v_and_b32_e32 v11, 0xffff, v11
	v_fma_mixlo_f16 v43, v83, v0, 0 op_sel_hi:[0,1,0]
	v_or_b32_e32 v0, v84, v39
	v_or_b32_e32 v84, v16, v106
	v_fma_mixlo_f16 v39, v83, v107, 0 op_sel:[0,1,0] op_sel_hi:[0,1,0]
	v_fma_mixlo_f16 v16, v83, v16, 0 op_sel:[0,1,0] op_sel_hi:[0,1,0]
	v_fma_mixlo_f16 v0, v83, v0, 0 op_sel_hi:[0,1,0]
	buffer_store_dword v39, off, s[0:3], s32 offset:260 ; 4-byte Folded Spill
	buffer_store_dword v16, off, s[0:3], s32 offset:240 ; 4-byte Folded Spill
	v_and_b32_e32 v39, 0xffff, v114
	v_and_b32_e32 v0, 0xffff, v0
	s_waitcnt vmcnt(0)
	v_add_nc_u32_e32 v26, v7, v9
	buffer_load_dword v7, off, s[0:3], s32 offset:324 ; 4-byte Folded Reload
	v_cmp_lt_i32_e64 s5, v26, v36
	s_waitcnt vmcnt(0)
	v_add_nc_u32_e32 v7, v7, v9
	v_cvt_f32_i32_e32 v7, v7
	v_mul_f32_e32 v7, v27, v7
	v_or_b32_e32 v27, v105, v85
	v_cndmask_b32_e32 v7, 0, v7, vcc_lo
	v_fma_mixlo_f16 v27, v83, v27, 0 op_sel_hi:[0,1,0]
	buffer_store_dword v27, off, s[0:3], s32 offset:264 ; 4-byte Folded Spill
	v_or_b32_e32 v27, v87, v33
	v_fma_mixlo_f16 v33, v83, v87, 0 op_sel:[0,1,0] op_sel_hi:[0,1,0]
	v_fma_mixlo_f16 v99, v83, v27, 0 op_sel_hi:[0,1,0]
	v_or_b32_e32 v27, v107, v96
	v_fma_mixlo_f16 v96, v83, v84, 0 op_sel_hi:[0,1,0]
	ds_read_b128 v[84:87], v8
	v_fma_mixlo_f16 v27, v83, v27, 0 op_sel_hi:[0,1,0]
	s_waitcnt lgkmcnt(0)
	v_lshrrev_b32_e32 v16, 16, v84
	v_and_b32_e32 v26, 0xffff, v84
	;;#ASMSTART
	v_cvt_f32_f16 v126, v26;
	;;#ASMEND
	;;#ASMSTART
	v_cvt_f32_f16 v125, v16;
	;;#ASMEND
	;; [unrolled: 3-line block ×3, first 2 shown]
	v_and_b32_e32 v0, 0xffff, v32
	;;#ASMSTART
	v_cvt_f32_f16 v26, v0;
	;;#ASMEND
	v_lshrrev_b32_e32 v0, 16, v85
	v_and_b32_e32 v16, 0xffff, v85
	;;#ASMSTART
	v_cvt_f32_f16 v106, v16;
	;;#ASMEND
	;;#ASMSTART
	v_cvt_f32_f16 v105, v0;
	;;#ASMEND
	v_and_b32_e32 v0, 0xffff, v43
	;;#ASMSTART
	v_cvt_f32_f16 v107, v0;
	;;#ASMEND
	v_and_b32_e32 v0, 0xffff, v42
	;;#ASMSTART
	v_cvt_f32_f16 v16, v0;
	;;#ASMEND
	v_lshrrev_b32_e32 v0, 16, v86
	v_and_b32_e32 v32, 0xffff, v86
	;;#ASMSTART
	v_cvt_f32_f16 v83, v32;
	;;#ASMEND
	;;#ASMSTART
	v_cvt_f32_f16 v42, v0;
	;;#ASMEND
	v_and_b32_e32 v0, 0xffff, v41
	;;#ASMSTART
	v_cvt_f32_f16 v41, v0;
	;;#ASMEND
	v_and_b32_e32 v0, 0xffff, v115
	;;#ASMSTART
	v_cvt_f32_f16 v43, v0;
	;;#ASMEND
	v_lshrrev_b32_e32 v0, 16, v87
	v_and_b32_e32 v32, 0xffff, v87
	;;#ASMSTART
	v_cvt_f32_f16 v32, v32;
	;;#ASMEND
	;;#ASMSTART
	v_cvt_f32_f16 v0, v0;
	;;#ASMEND
	;;#ASMSTART
	v_cvt_f32_f16 v114, v39;
	;;#ASMEND
	v_and_b32_e32 v39, 0xffff, v97
	;;#ASMSTART
	v_cvt_f32_f16 v115, v39;
	;;#ASMEND
	ds_read_b128 v[84:87], v8 offset:16
	s_waitcnt lgkmcnt(0)
	v_lshrrev_b32_e32 v39, 16, v84
	v_and_b32_e32 v84, 0xffff, v84
	;;#ASMSTART
	v_cvt_f32_f16 v84, v84;
	;;#ASMEND
	;;#ASMSTART
	v_cvt_f32_f16 v97, v39;
	;;#ASMEND
	v_and_b32_e32 v39, 0xffff, v54
	;;#ASMSTART
	v_cvt_f32_f16 v54, v39;
	;;#ASMEND
	;;#ASMSTART
	v_cvt_f32_f16 v39, v37;
	;;#ASMEND
	v_mul_f32_e32 v37, v84, v54
	v_mul_f32_e32 v54, v97, v39
	v_lshrrev_b32_e32 v39, 16, v85
	v_and_b32_e32 v84, 0xffff, v101
	v_fmac_f32_e32 v37, v126, v127
	v_fmac_f32_e32 v54, v125, v26
	v_and_b32_e32 v26, 0xffff, v85
	;;#ASMSTART
	v_cvt_f32_f16 v26, v26;
	;;#ASMEND
	;;#ASMSTART
	v_cvt_f32_f16 v39, v39;
	;;#ASMEND
	;; [unrolled: 3-line block ×4, first 2 shown]
	v_mul_f32_e32 v52, v39, v52
	v_mul_f32_e32 v64, v26, v64
	v_lshrrev_b32_e32 v26, 16, v86
	v_and_b32_e32 v39, 0xffff, v112
	v_fmac_f32_e32 v52, v105, v16
	v_and_b32_e32 v16, 0xffff, v86
	;;#ASMSTART
	v_cvt_f32_f16 v16, v16;
	;;#ASMEND
	;;#ASMSTART
	v_cvt_f32_f16 v26, v26;
	;;#ASMEND
	;;#ASMSTART
	v_cvt_f32_f16 v39, v39;
	;;#ASMEND
	v_mul_f32_e32 v97, v16, v39
	;;#ASMSTART
	v_cvt_f32_f16 v84, v84;
	;;#ASMEND
	v_and_b32_e32 v16, 0xffff, v87
	;;#ASMSTART
	v_cvt_f32_f16 v16, v16;
	;;#ASMEND
	v_fmac_f32_e32 v64, v106, v107
	v_fmac_f32_e32 v97, v83, v41
	v_mul_f32_e32 v83, v26, v84
	v_lshrrev_b32_e32 v26, 16, v87
	;;#ASMSTART
	v_cvt_f32_f16 v26, v26;
	;;#ASMEND
	;;#ASMSTART
	v_cvt_f32_f16 v11, v11;
	;;#ASMEND
	;; [unrolled: 3-line block ×3, first 2 shown]
	ds_read_b128 v[84:87], v8 offset:32
	v_mul_f32_e32 v11, v16, v11
	v_mul_f32_e32 v10, v26, v10
	v_and_b32_e32 v26, 0xffff, v59
	v_fmac_f32_e32 v83, v42, v43
	v_fmac_f32_e32 v11, v32, v114
	;; [unrolled: 1-line block ×3, first 2 shown]
	v_and_b32_e32 v32, 0xffff, v58
	s_waitcnt lgkmcnt(0)
	v_lshrrev_b32_e32 v16, 16, v84
	v_and_b32_e32 v0, 0xffff, v84
	;;#ASMSTART
	v_cvt_f32_f16 v0, v0;
	;;#ASMEND
	;;#ASMSTART
	v_cvt_f32_f16 v16, v16;
	;;#ASMEND
	;;#ASMSTART
	v_cvt_f32_f16 v26, v26;
	;;#ASMEND
	;;#ASMSTART
	v_cvt_f32_f16 v32, v32;
	;;#ASMEND
	v_fmac_f32_e32 v37, v0, v26
	v_fmac_f32_e32 v54, v16, v32
	v_lshrrev_b32_e32 v16, 16, v85
	v_and_b32_e32 v0, 0xffff, v85
	v_and_b32_e32 v26, 0xffff, v57
	v_and_b32_e32 v32, 0xffff, v40
	;;#ASMSTART
	v_cvt_f32_f16 v0, v0;
	;;#ASMEND
	;;#ASMSTART
	v_cvt_f32_f16 v16, v16;
	;;#ASMEND
	;;#ASMSTART
	v_cvt_f32_f16 v26, v26;
	;;#ASMEND
	;;#ASMSTART
	v_cvt_f32_f16 v32, v32;
	;;#ASMEND
	v_fmac_f32_e32 v64, v0, v26
	v_fmac_f32_e32 v52, v16, v32
	v_lshrrev_b32_e32 v16, 16, v86
	v_and_b32_e32 v0, 0xffff, v86
	v_and_b32_e32 v26, 0xffff, v119
	;; [unrolled: 18-line block ×3, first 2 shown]
	v_and_b32_e32 v32, 0xffff, v116
	;;#ASMSTART
	v_cvt_f32_f16 v0, v0;
	;;#ASMEND
	;;#ASMSTART
	v_cvt_f32_f16 v16, v16;
	;;#ASMEND
	;;#ASMSTART
	v_cvt_f32_f16 v26, v26;
	;;#ASMEND
	;;#ASMSTART
	v_cvt_f32_f16 v32, v32;
	;;#ASMEND
	ds_read_b128 v[84:87], v8 offset:48
	v_fmac_f32_e32 v11, v0, v26
	v_fmac_f32_e32 v10, v16, v32
	v_and_b32_e32 v26, 0xffff, v75
	v_and_b32_e32 v32, 0xffff, v74
	s_waitcnt lgkmcnt(0)
	v_lshrrev_b32_e32 v16, 16, v84
	v_and_b32_e32 v0, 0xffff, v84
	;;#ASMSTART
	v_cvt_f32_f16 v0, v0;
	;;#ASMEND
	;;#ASMSTART
	v_cvt_f32_f16 v16, v16;
	;;#ASMEND
	;;#ASMSTART
	v_cvt_f32_f16 v26, v26;
	;;#ASMEND
	;;#ASMSTART
	v_cvt_f32_f16 v32, v32;
	;;#ASMEND
	v_fmac_f32_e32 v37, v0, v26
	v_fmac_f32_e32 v54, v16, v32
	v_lshrrev_b32_e32 v16, 16, v85
	v_and_b32_e32 v0, 0xffff, v85
	v_and_b32_e32 v26, 0xffff, v73
	v_and_b32_e32 v32, 0xffff, v56
	;;#ASMSTART
	v_cvt_f32_f16 v0, v0;
	;;#ASMEND
	;;#ASMSTART
	v_cvt_f32_f16 v16, v16;
	;;#ASMEND
	;;#ASMSTART
	v_cvt_f32_f16 v26, v26;
	;;#ASMEND
	;;#ASMSTART
	v_cvt_f32_f16 v32, v32;
	;;#ASMEND
	v_fmac_f32_e32 v64, v0, v26
	v_fmac_f32_e32 v52, v16, v32
	v_lshrrev_b32_e32 v16, 16, v86
	v_and_b32_e32 v0, 0xffff, v86
	v_and_b32_e32 v26, 0xffff, v47
	;; [unrolled: 18-line block ×3, first 2 shown]
	v_and_b32_e32 v32, 0xffff, v44
	;;#ASMSTART
	v_cvt_f32_f16 v0, v0;
	;;#ASMEND
	;;#ASMSTART
	v_cvt_f32_f16 v16, v16;
	;;#ASMEND
	;; [unrolled: 3-line block ×4, first 2 shown]
	ds_read_b128 v[84:87], v8 offset:64
	v_fmac_f32_e32 v11, v0, v26
	v_fmac_f32_e32 v10, v16, v32
	v_and_b32_e32 v26, 0xffff, v95
	v_and_b32_e32 v32, 0xffff, v92
	s_waitcnt lgkmcnt(0)
	v_lshrrev_b32_e32 v16, 16, v84
	v_and_b32_e32 v0, 0xffff, v84
	;;#ASMSTART
	v_cvt_f32_f16 v0, v0;
	;;#ASMEND
	;;#ASMSTART
	v_cvt_f32_f16 v16, v16;
	;;#ASMEND
	;;#ASMSTART
	v_cvt_f32_f16 v26, v26;
	;;#ASMEND
	;;#ASMSTART
	v_cvt_f32_f16 v32, v32;
	;;#ASMEND
	v_fmac_f32_e32 v37, v0, v26
	v_fmac_f32_e32 v54, v16, v32
	v_lshrrev_b32_e32 v16, 16, v85
	v_and_b32_e32 v0, 0xffff, v85
	v_and_b32_e32 v26, 0xffff, v91
	v_and_b32_e32 v32, 0xffff, v72
	;;#ASMSTART
	v_cvt_f32_f16 v0, v0;
	;;#ASMEND
	;;#ASMSTART
	v_cvt_f32_f16 v16, v16;
	;;#ASMEND
	;;#ASMSTART
	v_cvt_f32_f16 v26, v26;
	;;#ASMEND
	;;#ASMSTART
	v_cvt_f32_f16 v32, v32;
	;;#ASMEND
	v_fmac_f32_e32 v64, v0, v26
	v_fmac_f32_e32 v52, v16, v32
	v_lshrrev_b32_e32 v16, 16, v86
	v_and_b32_e32 v0, 0xffff, v86
	v_and_b32_e32 v26, 0xffff, v63
	;; [unrolled: 18-line block ×3, first 2 shown]
	v_and_b32_e32 v32, 0xffff, v60
	;;#ASMSTART
	v_cvt_f32_f16 v0, v0;
	;;#ASMEND
	;;#ASMSTART
	v_cvt_f32_f16 v16, v16;
	;;#ASMEND
	;; [unrolled: 3-line block ×4, first 2 shown]
	ds_read_b128 v[84:87], v8 offset:80
	v_fmac_f32_e32 v11, v0, v26
	v_fmac_f32_e32 v10, v16, v32
	v_and_b32_e32 v26, 0xffff, v113
	v_and_b32_e32 v32, 0xffff, v103
	s_waitcnt lgkmcnt(0)
	v_lshrrev_b32_e32 v16, 16, v84
	v_and_b32_e32 v0, 0xffff, v84
	;;#ASMSTART
	v_cvt_f32_f16 v0, v0;
	;;#ASMEND
	;;#ASMSTART
	v_cvt_f32_f16 v16, v16;
	;;#ASMEND
	;;#ASMSTART
	v_cvt_f32_f16 v26, v26;
	;;#ASMEND
	;;#ASMSTART
	v_cvt_f32_f16 v32, v32;
	;;#ASMEND
	v_fmac_f32_e32 v37, v0, v26
	v_fmac_f32_e32 v54, v16, v32
	v_lshrrev_b32_e32 v16, 16, v85
	v_and_b32_e32 v0, 0xffff, v85
	v_and_b32_e32 v26, 0xffff, v122
	v_and_b32_e32 v32, 0xffff, v88
	;;#ASMSTART
	v_cvt_f32_f16 v0, v0;
	;;#ASMEND
	;;#ASMSTART
	v_cvt_f32_f16 v16, v16;
	;;#ASMEND
	;;#ASMSTART
	v_cvt_f32_f16 v26, v26;
	;;#ASMEND
	;;#ASMSTART
	v_cvt_f32_f16 v32, v32;
	;;#ASMEND
	v_fmac_f32_e32 v64, v0, v26
	v_fmac_f32_e32 v52, v16, v32
	v_lshrrev_b32_e32 v16, 16, v86
	v_and_b32_e32 v0, 0xffff, v86
	v_and_b32_e32 v26, 0xffff, v79
	;; [unrolled: 18-line block ×3, first 2 shown]
	v_and_b32_e32 v32, 0xffff, v76
	;;#ASMSTART
	v_cvt_f32_f16 v0, v0;
	;;#ASMEND
	;;#ASMSTART
	v_cvt_f32_f16 v16, v16;
	;;#ASMEND
	;; [unrolled: 3-line block ×4, first 2 shown]
	ds_read_b128 v[84:87], v8 offset:96
	v_fmac_f32_e32 v11, v0, v26
	v_fmac_f32_e32 v10, v16, v32
	v_and_b32_e32 v26, 0xffff, v31
	v_and_b32_e32 v31, 0xffff, v109
	s_waitcnt lgkmcnt(0)
	v_lshrrev_b32_e32 v16, 16, v84
	v_and_b32_e32 v0, 0xffff, v84
	;;#ASMSTART
	v_cvt_f32_f16 v0, v0;
	;;#ASMEND
	;;#ASMSTART
	v_cvt_f32_f16 v16, v16;
	;;#ASMEND
	;;#ASMSTART
	v_cvt_f32_f16 v26, v26;
	;;#ASMEND
	;;#ASMSTART
	v_cvt_f32_f16 v31, v31;
	;;#ASMEND
	v_fmac_f32_e32 v37, v0, v26
	v_fmac_f32_e32 v54, v16, v31
	v_lshrrev_b32_e32 v16, 16, v85
	v_and_b32_e32 v0, 0xffff, v85
	v_and_b32_e32 v26, 0xffff, v124
	v_and_b32_e32 v31, 0xffff, v110
	;;#ASMSTART
	v_cvt_f32_f16 v0, v0;
	;;#ASMEND
	;;#ASMSTART
	v_cvt_f32_f16 v16, v16;
	;;#ASMEND
	;;#ASMSTART
	v_cvt_f32_f16 v26, v26;
	;;#ASMEND
	;;#ASMSTART
	v_cvt_f32_f16 v31, v31;
	;;#ASMEND
	v_fmac_f32_e32 v64, v0, v26
	v_fmac_f32_e32 v52, v16, v31
	v_lshrrev_b32_e32 v16, 16, v86
	v_and_b32_e32 v0, 0xffff, v86
	v_and_b32_e32 v26, 0xffff, v104
	;; [unrolled: 18-line block ×3, first 2 shown]
	v_and_b32_e32 v31, 0xffff, v35
	;;#ASMSTART
	v_cvt_f32_f16 v0, v0;
	;;#ASMEND
	;;#ASMSTART
	v_cvt_f32_f16 v16, v16;
	;;#ASMEND
	;; [unrolled: 3-line block ×4, first 2 shown]
	ds_read_b128 v[84:87], v8 offset:112
	v_fmac_f32_e32 v11, v0, v26
	v_fmac_f32_e32 v10, v16, v31
	v_and_b32_e32 v26, 0xffff, v102
	v_and_b32_e32 v31, 0xffff, v100
	s_waitcnt lgkmcnt(0)
	v_lshrrev_b32_e32 v16, 16, v84
	v_and_b32_e32 v0, 0xffff, v84
	;;#ASMSTART
	v_cvt_f32_f16 v0, v0;
	;;#ASMEND
	;;#ASMSTART
	v_cvt_f32_f16 v16, v16;
	;;#ASMEND
	;; [unrolled: 3-line block ×4, first 2 shown]
	v_fmac_f32_e32 v37, v0, v26
	v_fmac_f32_e32 v54, v16, v31
	v_lshrrev_b32_e32 v16, 16, v85
	v_and_b32_e32 v0, 0xffff, v85
	;;#ASMSTART
	v_cvt_f32_f16 v0, v0;
	;;#ASMEND
	;;#ASMSTART
	v_cvt_f32_f16 v16, v16;
	;;#ASMEND
	v_and_b32_e32 v26, 0xffff, v66
	v_and_b32_e32 v31, 0xffff, v69
	;;#ASMSTART
	v_cvt_f32_f16 v26, v26;
	;;#ASMEND
	;;#ASMSTART
	v_cvt_f32_f16 v31, v31;
	;;#ASMEND
	v_fmac_f32_e32 v64, v0, v26
	v_fmac_f32_e32 v52, v16, v31
	v_lshrrev_b32_e32 v16, 16, v86
	v_and_b32_e32 v0, 0xffff, v86
	;;#ASMSTART
	v_cvt_f32_f16 v0, v0;
	;;#ASMEND
	;;#ASMSTART
	v_cvt_f32_f16 v16, v16;
	;;#ASMEND
	v_and_b32_e32 v26, 0xffff, v65
	v_and_b32_e32 v31, 0xffff, v50
	;;#ASMSTART
	v_cvt_f32_f16 v26, v26;
	;;#ASMEND
	;;#ASMSTART
	v_cvt_f32_f16 v31, v31;
	;;#ASMEND
	v_fmac_f32_e32 v97, v0, v26
	v_fmac_f32_e32 v83, v16, v31
	v_lshrrev_b32_e32 v16, 16, v87
	v_and_b32_e32 v0, 0xffff, v87
	;;#ASMSTART
	v_cvt_f32_f16 v0, v0;
	;;#ASMEND
	;;#ASMSTART
	v_cvt_f32_f16 v16, v16;
	;;#ASMEND
	;; [unrolled: 3-line block ×4, first 2 shown]
	ds_read_b128 v[84:87], v8 offset:128
	v_fmac_f32_e32 v11, v0, v18
	v_fmac_f32_e32 v10, v16, v14
	v_and_b32_e32 v16, 0xffff, v49
	v_and_b32_e32 v18, 0xffff, v48
	s_waitcnt lgkmcnt(0)
	v_lshrrev_b32_e32 v14, 16, v84
	v_and_b32_e32 v0, 0xffff, v84
	;;#ASMSTART
	v_cvt_f32_f16 v0, v0;
	;;#ASMEND
	;;#ASMSTART
	v_cvt_f32_f16 v14, v14;
	;;#ASMEND
	;; [unrolled: 3-line block ×4, first 2 shown]
	v_fmac_f32_e32 v37, v0, v16
	v_fmac_f32_e32 v54, v14, v18
	v_lshrrev_b32_e32 v14, 16, v85
	v_and_b32_e32 v0, 0xffff, v85
	v_and_b32_e32 v16, 0xffff, v51
	;;#ASMSTART
	v_cvt_f32_f16 v0, v0;
	;;#ASMEND
	;;#ASMSTART
	v_cvt_f32_f16 v14, v14;
	;;#ASMEND
	;; [unrolled: 3-line block ×4, first 2 shown]
	v_fmac_f32_e32 v64, v0, v16
	v_fmac_f32_e32 v52, v14, v6
	v_lshrrev_b32_e32 v6, 16, v86
	v_and_b32_e32 v0, 0xffff, v86
	v_and_b32_e32 v14, 0xffff, v81
	;;#ASMSTART
	v_cvt_f32_f16 v0, v0;
	;;#ASMEND
	;;#ASMSTART
	v_cvt_f32_f16 v6, v6;
	;;#ASMEND
	;; [unrolled: 3-line block ×3, first 2 shown]
	v_and_b32_e32 v16, 0xffff, v71
	;;#ASMSTART
	v_cvt_f32_f16 v16, v16;
	;;#ASMEND
	v_fmac_f32_e32 v97, v0, v14
	v_fmac_f32_e32 v83, v6, v16
	v_lshrrev_b32_e32 v6, 16, v87
	v_and_b32_e32 v0, 0xffff, v87
	v_and_b32_e32 v14, 0xffff, v24
	;;#ASMSTART
	v_cvt_f32_f16 v0, v0;
	;;#ASMEND
	;;#ASMSTART
	v_cvt_f32_f16 v6, v6;
	;;#ASMEND
	;; [unrolled: 3-line block ×4, first 2 shown]
	ds_read_b128 v[48:51], v8 offset:144
	v_fmac_f32_e32 v11, v0, v14
	v_fmac_f32_e32 v10, v6, v13
	v_and_b32_e32 v13, 0xffff, v25
	v_and_b32_e32 v14, 0xffff, v22
	s_waitcnt lgkmcnt(0)
	v_lshrrev_b32_e32 v6, 16, v48
	v_and_b32_e32 v0, 0xffff, v48
	;;#ASMSTART
	v_cvt_f32_f16 v0, v0;
	;;#ASMEND
	;;#ASMSTART
	v_cvt_f32_f16 v6, v6;
	;;#ASMEND
	;; [unrolled: 3-line block ×4, first 2 shown]
	v_fmac_f32_e32 v37, v0, v13
	v_fmac_f32_e32 v54, v6, v14
	v_lshrrev_b32_e32 v6, 16, v49
	v_and_b32_e32 v0, 0xffff, v49
	v_and_b32_e32 v13, 0xffff, v55
	;;#ASMSTART
	v_cvt_f32_f16 v0, v0;
	;;#ASMEND
	;;#ASMSTART
	v_cvt_f32_f16 v6, v6;
	;;#ASMEND
	;; [unrolled: 3-line block ×3, first 2 shown]
	v_and_b32_e32 v14, 0xffff, v21
	;;#ASMSTART
	v_cvt_f32_f16 v14, v14;
	;;#ASMEND
	v_fmac_f32_e32 v64, v0, v13
	v_fmac_f32_e32 v52, v6, v14
	v_lshrrev_b32_e32 v6, 16, v50
	v_and_b32_e32 v0, 0xffff, v50
	v_and_b32_e32 v13, 0xffff, v20
	;;#ASMSTART
	v_cvt_f32_f16 v0, v0;
	;;#ASMEND
	;;#ASMSTART
	v_cvt_f32_f16 v6, v6;
	;;#ASMEND
	;; [unrolled: 3-line block ×3, first 2 shown]
	v_and_b32_e32 v14, 0xffff, v30
	;;#ASMSTART
	v_cvt_f32_f16 v14, v14;
	;;#ASMEND
	v_fmac_f32_e32 v97, v0, v13
	v_fmac_f32_e32 v83, v6, v14
	v_lshrrev_b32_e32 v6, 16, v51
	v_and_b32_e32 v0, 0xffff, v51
	v_and_b32_e32 v13, 0xffff, v38
	;;#ASMSTART
	v_cvt_f32_f16 v0, v0;
	;;#ASMEND
	;;#ASMSTART
	v_cvt_f32_f16 v6, v6;
	;;#ASMEND
	;; [unrolled: 3-line block ×4, first 2 shown]
	ds_read_b128 v[48:51], v8 offset:160
	v_fmac_f32_e32 v11, v0, v13
	v_fmac_f32_e32 v10, v6, v12
	v_and_b32_e32 v12, 0xffff, v15
	v_and_b32_e32 v13, 0xffff, v19
	s_waitcnt lgkmcnt(0)
	v_lshrrev_b32_e32 v6, 16, v48
	v_and_b32_e32 v0, 0xffff, v48
	;;#ASMSTART
	v_cvt_f32_f16 v0, v0;
	;;#ASMEND
	;;#ASMSTART
	v_cvt_f32_f16 v6, v6;
	;;#ASMEND
	;;#ASMSTART
	v_cvt_f32_f16 v12, v12;
	;;#ASMEND
	;;#ASMSTART
	v_cvt_f32_f16 v13, v13;
	;;#ASMEND
	v_fmac_f32_e32 v37, v0, v12
	v_fmac_f32_e32 v54, v6, v13
	v_lshrrev_b32_e32 v6, 16, v49
	v_and_b32_e32 v0, 0xffff, v49
	;;#ASMSTART
	v_cvt_f32_f16 v0, v0;
	;;#ASMEND
	;;#ASMSTART
	v_cvt_f32_f16 v6, v6;
	;;#ASMEND
	;; [unrolled: 3-line block ×4, first 2 shown]
	v_fmac_f32_e32 v64, v0, v2
	v_fmac_f32_e32 v52, v6, v3
	v_lshrrev_b32_e32 v2, 16, v50
	v_and_b32_e32 v0, 0xffff, v50
	v_and_b32_e32 v3, 0xffff, v4
	;;#ASMSTART
	v_cvt_f32_f16 v0, v0;
	;;#ASMEND
	;;#ASMSTART
	v_cvt_f32_f16 v2, v2;
	;;#ASMEND
	;; [unrolled: 3-line block ×4, first 2 shown]
	v_fmac_f32_e32 v97, v0, v1
	v_fmac_f32_e32 v83, v2, v3
	v_lshrrev_b32_e32 v0, 16, v51
	v_and_b32_e32 v1, 0xffff, v51
	v_and_b32_e32 v2, 0xffff, v5
	;; [unrolled: 1-line block ×3, first 2 shown]
	;;#ASMSTART
	v_cvt_f32_f16 v1, v1;
	;;#ASMEND
	;;#ASMSTART
	v_cvt_f32_f16 v0, v0;
	;;#ASMEND
	;; [unrolled: 3-line block ×4, first 2 shown]
	v_fmac_f32_e32 v11, v1, v2
	v_fmac_f32_e32 v10, v0, v3
	ds_read_b128 v[0:3], v8 offset:176
	v_and_b32_e32 v5, 0xffff, v53
	v_and_b32_e32 v6, 0xffff, v17
	s_waitcnt lgkmcnt(0)
	v_lshrrev_b32_e32 v4, 16, v0
	v_and_b32_e32 v0, 0xffff, v0
	;;#ASMSTART
	v_cvt_f32_f16 v0, v0;
	;;#ASMEND
	;;#ASMSTART
	v_cvt_f32_f16 v4, v4;
	;;#ASMEND
	;; [unrolled: 3-line block ×4, first 2 shown]
	v_fmac_f32_e32 v37, v0, v5
	v_fmac_f32_e32 v54, v4, v6
	v_lshrrev_b32_e32 v4, 16, v1
	v_and_b32_e32 v0, 0xffff, v1
	;;#ASMSTART
	v_cvt_f32_f16 v0, v0;
	;;#ASMEND
	;;#ASMSTART
	v_cvt_f32_f16 v1, v4;
	;;#ASMEND
	v_and_b32_e32 v4, 0xffff, v89
	v_and_b32_e32 v5, 0xffff, v90
	;;#ASMSTART
	v_cvt_f32_f16 v4, v4;
	;;#ASMEND
	;;#ASMSTART
	v_cvt_f32_f16 v5, v5;
	;;#ASMEND
	v_fmac_f32_e32 v64, v0, v4
	v_fmac_f32_e32 v52, v1, v5
	v_lshrrev_b32_e32 v1, 16, v2
	v_and_b32_e32 v0, 0xffff, v2
	v_and_b32_e32 v2, 0xffff, v93
	;;#ASMSTART
	v_cvt_f32_f16 v0, v0;
	;;#ASMEND
	;;#ASMSTART
	v_cvt_f32_f16 v1, v1;
	;;#ASMEND
	;; [unrolled: 3-line block ×3, first 2 shown]
	v_and_b32_e32 v4, 0xffff, v121
	;;#ASMSTART
	v_cvt_f32_f16 v4, v4;
	;;#ASMEND
	v_fmac_f32_e32 v97, v0, v2
	v_fmac_f32_e32 v83, v1, v4
	v_lshrrev_b32_e32 v1, 16, v3
	v_and_b32_e32 v0, 0xffff, v3
	v_and_b32_e32 v2, 0xffff, v120
	;; [unrolled: 1-line block ×3, first 2 shown]
	;;#ASMSTART
	v_cvt_f32_f16 v0, v0;
	;;#ASMEND
	;;#ASMSTART
	v_cvt_f32_f16 v1, v1;
	;;#ASMEND
	;; [unrolled: 3-line block ×4, first 2 shown]
	v_fmac_f32_e32 v11, v0, v2
	v_fmac_f32_e32 v10, v1, v3
	ds_read_b128 v[0:3], v8 offset:192
	v_and_b32_e32 v5, 0xffff, v94
	s_waitcnt lgkmcnt(0)
	v_lshrrev_b32_e32 v4, 16, v0
	v_and_b32_e32 v0, 0xffff, v0
	;;#ASMSTART
	v_cvt_f32_f16 v0, v0;
	;;#ASMEND
	;;#ASMSTART
	v_cvt_f32_f16 v4, v4;
	;;#ASMEND
	;; [unrolled: 3-line block ×3, first 2 shown]
	buffer_load_dword v6, off, s[0:3], s32 offset:292 ; 4-byte Folded Reload
	v_fmac_f32_e32 v37, v0, v5
	v_and_b32_e32 v0, 0xffff, v1
	s_waitcnt vmcnt(0)
	v_and_b32_e32 v6, 0xffff, v6
	;;#ASMSTART
	v_cvt_f32_f16 v6, v6;
	;;#ASMEND
	v_fmac_f32_e32 v54, v4, v6
	v_lshrrev_b32_e32 v4, 16, v1
	;;#ASMSTART
	v_cvt_f32_f16 v0, v0;
	;;#ASMEND
	;;#ASMSTART
	v_cvt_f32_f16 v1, v4;
	;;#ASMEND
	buffer_load_dword v4, off, s[0:3], s32 offset:288 ; 4-byte Folded Reload
	v_and_b32_e32 v6, 0xffff, v33
	s_waitcnt vmcnt(0)
	v_and_b32_e32 v4, 0xffff, v4
	;;#ASMSTART
	v_cvt_f32_f16 v4, v4;
	;;#ASMEND
	buffer_load_dword v5, off, s[0:3], s32 offset:284 ; 4-byte Folded Reload
	v_fmac_f32_e32 v64, v0, v4
	v_and_b32_e32 v0, 0xffff, v2
	s_waitcnt vmcnt(0)
	v_and_b32_e32 v5, 0xffff, v5
	;;#ASMSTART
	v_cvt_f32_f16 v5, v5;
	;;#ASMEND
	v_fmac_f32_e32 v52, v1, v5
	v_lshrrev_b32_e32 v1, 16, v2
	;;#ASMSTART
	v_cvt_f32_f16 v0, v0;
	;;#ASMEND
	;;#ASMSTART
	v_cvt_f32_f16 v1, v1;
	;;#ASMEND
	buffer_load_dword v2, off, s[0:3], s32 offset:280 ; 4-byte Folded Reload
	v_and_b32_e32 v5, 0xffff, v99
	s_waitcnt vmcnt(0)
	v_and_b32_e32 v2, 0xffff, v2
	;;#ASMSTART
	v_cvt_f32_f16 v2, v2;
	;;#ASMEND
	buffer_load_dword v4, off, s[0:3], s32 offset:276 ; 4-byte Folded Reload
	v_fmac_f32_e32 v97, v0, v2
	v_and_b32_e32 v0, 0xffff, v3
	s_waitcnt vmcnt(0)
	v_and_b32_e32 v4, 0xffff, v4
	;;#ASMSTART
	v_cvt_f32_f16 v4, v4;
	;;#ASMEND
	v_fmac_f32_e32 v83, v1, v4
	v_lshrrev_b32_e32 v1, 16, v3
	;;#ASMSTART
	v_cvt_f32_f16 v0, v0;
	;;#ASMEND
	;;#ASMSTART
	v_cvt_f32_f16 v1, v1;
	;;#ASMEND
	buffer_load_dword v2, off, s[0:3], s32 offset:272 ; 4-byte Folded Reload
	s_waitcnt vmcnt(0)
	v_and_b32_e32 v2, 0xffff, v2
	;;#ASMSTART
	v_cvt_f32_f16 v2, v2;
	;;#ASMEND
	buffer_load_dword v3, off, s[0:3], s32 offset:268 ; 4-byte Folded Reload
	v_fmac_f32_e32 v11, v0, v2
	s_waitcnt vmcnt(0)
	v_and_b32_e32 v3, 0xffff, v3
	;;#ASMSTART
	v_cvt_f32_f16 v3, v3;
	;;#ASMEND
	v_fmac_f32_e32 v10, v1, v3
	ds_read_b128 v[0:3], v8 offset:208
	s_waitcnt lgkmcnt(0)
	v_lshrrev_b32_e32 v4, 16, v0
	v_and_b32_e32 v0, 0xffff, v0
	;;#ASMSTART
	v_cvt_f32_f16 v0, v0;
	;;#ASMEND
	;;#ASMSTART
	v_cvt_f32_f16 v4, v4;
	;;#ASMEND
	;; [unrolled: 3-line block ×4, first 2 shown]
	v_fmac_f32_e32 v37, v0, v5
	v_fmac_f32_e32 v54, v4, v6
	v_lshrrev_b32_e32 v4, 16, v1
	v_and_b32_e32 v0, 0xffff, v1
	;;#ASMSTART
	v_cvt_f32_f16 v0, v0;
	;;#ASMEND
	;;#ASMSTART
	v_cvt_f32_f16 v1, v4;
	;;#ASMEND
	buffer_load_dword v4, off, s[0:3], s32 offset:264 ; 4-byte Folded Reload
	v_and_b32_e32 v5, 0xffff, v98
	s_waitcnt vmcnt(0)
	v_and_b32_e32 v4, 0xffff, v4
	;;#ASMSTART
	v_cvt_f32_f16 v4, v4;
	;;#ASMEND
	;;#ASMSTART
	v_cvt_f32_f16 v5, v5;
	;;#ASMEND
	v_fmac_f32_e32 v64, v0, v4
	v_fmac_f32_e32 v52, v1, v5
	v_lshrrev_b32_e32 v1, 16, v2
	v_and_b32_e32 v0, 0xffff, v2
	v_and_b32_e32 v2, 0xffff, v27
	;;#ASMSTART
	v_cvt_f32_f16 v0, v0;
	;;#ASMEND
	;;#ASMSTART
	v_cvt_f32_f16 v1, v1;
	;;#ASMEND
	;; [unrolled: 3-line block ×3, first 2 shown]
	buffer_load_dword v4, off, s[0:3], s32 offset:260 ; 4-byte Folded Reload
	v_fmac_f32_e32 v97, v0, v2
	v_and_b32_e32 v0, 0xffff, v3
	v_and_b32_e32 v2, 0xffff, v96
	s_waitcnt vmcnt(0)
	v_and_b32_e32 v4, 0xffff, v4
	;;#ASMSTART
	v_cvt_f32_f16 v4, v4;
	;;#ASMEND
	v_fmac_f32_e32 v83, v1, v4
	v_lshrrev_b32_e32 v1, 16, v3
	;;#ASMSTART
	v_cvt_f32_f16 v0, v0;
	;;#ASMEND
	;;#ASMSTART
	v_cvt_f32_f16 v1, v1;
	;;#ASMEND
	;;#ASMSTART
	v_cvt_f32_f16 v2, v2;
	;;#ASMEND
	buffer_load_dword v3, off, s[0:3], s32 offset:240 ; 4-byte Folded Reload
	v_fmac_f32_e32 v11, v0, v2
	v_add_f32_e32 v0, v37, v54
	v_add_f32_e32 v0, v0, v64
	;; [unrolled: 1-line block ×6, first 2 shown]
	s_waitcnt vmcnt(0)
	v_and_b32_e32 v3, 0xffff, v3
	;;#ASMSTART
	v_cvt_f32_f16 v3, v3;
	;;#ASMEND
	v_fmac_f32_e32 v10, v1, v3
	s_clause 0x1
	buffer_load_dword v1, off, s[0:3], s32 offset:308
	buffer_load_dword v13, off, s[0:3], s32 offset:256
	v_add_f32_e32 v0, v10, v0
	s_waitcnt vmcnt(1)
	v_fmac_f32_e32 v7, v1, v0
	v_cndmask_b32_e64 v0, 0, v7, s5
	ds_write_b32 v123, v0
	s_waitcnt vmcnt(0)
	v_max_f32_e32 v0, v13, v13
	v_max_f32_e32 v0, v0, v7
	v_cndmask_b32_e64 v13, v13, v0, s5
.LBB306_15:                             ;   in Loop: Header=BB306_16 Depth=1
	s_or_b32 exec_lo, exec_lo, s6
	buffer_load_dword v0, off, s[0:3], s32 offset:228 ; 4-byte Folded Reload
	v_add_nc_u32_e32 v82, 4, v82
	v_add_co_u32 v28, s6, v28, 16
	v_add_co_ci_u32_e64 v29, null, 0, v29, s6
	v_add_nc_u32_e32 v9, 0x80, v9
	v_add_nc_u32_e32 v67, 0x200, v67
	s_waitcnt vmcnt(0)
	v_cmp_ge_i32_e64 s5, v82, v0
	s_or_b32 s24, s5, s24
	s_andn2_b32 exec_lo, exec_lo, s24
	s_cbranch_execz .LBB306_912
.LBB306_16:                             ; =>This Inner Loop Header: Depth=1
	s_clause 0x1
	buffer_load_dword v1, off, s[0:3], s32 offset:232
	buffer_load_dword v4, off, s[0:3], s32 offset:224
	v_sub_nc_u32_e32 v0, 0, v9
	v_max_i32_e32 v0, v9, v0
	s_waitcnt vmcnt(1)
	v_mul_hi_u32 v1, v0, v1
	v_mul_lo_u32 v2, v1, v108
	v_sub_nc_u32_e32 v0, v0, v2
	v_add_nc_u32_e32 v2, 1, v1
	v_sub_nc_u32_e32 v3, v0, v108
	v_cmp_ge_u32_e64 s5, v0, v108
	v_cndmask_b32_e64 v1, v1, v2, s5
	v_cndmask_b32_e64 v0, v0, v3, s5
	v_ashrrev_i32_e32 v2, 31, v9
	v_add_nc_u32_e32 v3, 1, v1
	v_cmp_ge_u32_e64 s5, v0, v108
	s_waitcnt vmcnt(0)
	v_xor_b32_e32 v2, v2, v4
	v_cndmask_b32_e64 v0, v1, v3, s5
	v_xor_b32_e32 v0, v0, v2
	v_sub_nc_u32_e32 v0, v0, v2
	s_clause 0x3
	buffer_load_dword v1, off, s[0:3], s32 offset:216
	buffer_load_dword v2, off, s[0:3], s32 offset:220
	;; [unrolled: 1-line block ×4, first 2 shown]
	s_waitcnt vmcnt(3)
	v_add_nc_u32_e32 v1, v0, v1
	s_waitcnt vmcnt(2)
	v_sub_nc_u32_e32 v2, 0, v1
	v_max_i32_e32 v2, v1, v2
	v_ashrrev_i32_e32 v1, 31, v1
	s_waitcnt vmcnt(1)
	v_mul_hi_u32 v3, v2, v3
	s_waitcnt vmcnt(0)
	v_mul_lo_u32 v3, v3, v4
	v_sub_nc_u32_e32 v2, v2, v3
	v_sub_nc_u32_e32 v3, v2, v4
	v_cmp_ge_u32_e64 s5, v2, v4
	v_cndmask_b32_e64 v2, v2, v3, s5
	v_sub_nc_u32_e32 v3, v2, v4
	v_cmp_ge_u32_e64 s5, v2, v4
	v_cndmask_b32_e64 v2, v2, v3, s5
	v_xor_b32_e32 v2, v2, v1
	v_sub_nc_u32_e32 v1, v2, v1
	v_cmp_ne_u32_e64 s5, 0, v1
	buffer_load_dword v1, off, s[0:3], s32 offset:236 ; 4-byte Folded Reload
	s_waitcnt vmcnt(0)
	v_cmp_le_i32_e64 s6, v0, v1
	s_and_b32 s5, s5, s6
	s_and_saveexec_b32 s6, s5
	s_xor_b32 s5, exec_lo, s6
	s_cbranch_execz .LBB306_18
; %bb.17:                               ;   in Loop: Header=BB306_16 Depth=1
	s_waitcnt lgkmcnt(0)
	v_add_nc_u32_e32 v0, s17, v67
	v_mov_b32_e32 v1, 0xff7fffff
	ds_write_b32 v0, v1
.LBB306_18:                             ;   in Loop: Header=BB306_16 Depth=1
	s_andn2_saveexec_b32 s6, s5
	s_cbranch_execz .LBB306_15
; %bb.19:                               ;   in Loop: Header=BB306_16 Depth=1
	buffer_store_dword v13, off, s[0:3], s32 offset:256 ; 4-byte Folded Spill
	flat_load_dword v0, v[28:29]
	s_clause 0x2
	buffer_load_dword v1, off, s[0:3], s32 offset:244
	buffer_load_dword v2, off, s[0:3], s32 offset:316
	;; [unrolled: 1-line block ×3, first 2 shown]
	v_mov_b32_e32 v84, 0
	v_mov_b32_e32 v39, 0
	s_waitcnt vmcnt(0) lgkmcnt(0)
	v_mad_i64_i32 v[31:32], null, v0, v1, v[2:3]
	flat_load_dwordx2 v[33:34], v[31:32]
	s_clause 0x1
	buffer_load_dword v0, off, s[0:3], s32 offset:300
	buffer_load_dword v1, off, s[0:3], s32 offset:304
	s_waitcnt vmcnt(2) lgkmcnt(0)
	v_cmp_ne_u16_sdwa s5, v33, v8 src0_sel:BYTE_0 src1_sel:DWORD
	s_waitcnt vmcnt(0)
	flat_load_dword v83, v[0:1]
	s_and_saveexec_b32 s25, s5
	s_cbranch_execz .LBB306_27
; %bb.20:                               ;   in Loop: Header=BB306_16 Depth=1
	v_cmp_ne_u16_sdwa s5, v33, v68 src0_sel:BYTE_0 src1_sel:DWORD
	v_mov_b32_e32 v39, 0x8000
	s_and_saveexec_b32 s26, s5
	s_cbranch_execz .LBB306_26
; %bb.21:                               ;   in Loop: Header=BB306_16 Depth=1
	v_and_b32_e32 v2, 0x7f, v33
	v_mov_b32_e32 v39, 0x7c01
	s_mov_b32 s27, exec_lo
	v_cmpx_ne_u32_e32 0x7f, v2
	s_cbranch_execz .LBB306_25
; %bb.22:                               ;   in Loop: Header=BB306_16 Depth=1
	v_and_b32_e32 v0, 7, v33
	v_lshrrev_b32_e32 v1, 3, v2
	s_mov_b32 s28, exec_lo
	v_cmpx_gt_u32_e32 8, v2
; %bb.23:                               ;   in Loop: Header=BB306_16 Depth=1
	v_ffbh_u32_e32 v0, v0
	v_min_u32_e32 v2, 32, v0
	v_subrev_nc_u32_e32 v0, 28, v2
	v_lshlrev_b64 v[0:1], v0, v[33:34]
	v_sub_nc_u32_e32 v1, 29, v2
	v_and_b32_e32 v0, 7, v0
; %bb.24:                               ;   in Loop: Header=BB306_16 Depth=1
	s_or_b32 exec_lo, exec_lo, s28
	v_lshlrev_b32_e32 v2, 8, v33
	v_lshl_add_u32 v1, v1, 10, 0x2000
	v_lshlrev_b32_e32 v0, 7, v0
	v_and_b32_e32 v2, 0x8000, v2
	v_and_b32_e32 v1, 0xfc00, v1
	v_or3_b32 v39, v2, v1, v0
.LBB306_25:                             ;   in Loop: Header=BB306_16 Depth=1
	s_or_b32 exec_lo, exec_lo, s27
.LBB306_26:                             ;   in Loop: Header=BB306_16 Depth=1
	s_or_b32 exec_lo, exec_lo, s26
.LBB306_27:                             ;   in Loop: Header=BB306_16 Depth=1
	s_or_b32 exec_lo, exec_lo, s25
	v_lshrrev_b16 v7, 8, v33
	s_mov_b32 s25, exec_lo
	v_cmpx_ne_u16_e32 0, v7
	s_cbranch_execz .LBB306_35
; %bb.28:                               ;   in Loop: Header=BB306_16 Depth=1
	v_bfrev_b32_e32 v84, 1
	s_mov_b32 s26, exec_lo
	v_cmpx_ne_u16_e32 0x80, v7
	s_cbranch_execz .LBB306_34
; %bb.29:                               ;   in Loop: Header=BB306_16 Depth=1
	v_mov_b32_e32 v0, 0x7f
	v_mov_b32_e32 v84, 0x7c010000
	s_mov_b32 s27, exec_lo
	v_and_b32_sdwa v2, v7, v0 dst_sel:DWORD dst_unused:UNUSED_PAD src0_sel:WORD_0 src1_sel:DWORD
	v_cmpx_ne_u32_e32 0x7f, v2
	s_cbranch_execz .LBB306_33
; %bb.30:                               ;   in Loop: Header=BB306_16 Depth=1
	v_mov_b32_e32 v0, 7
	v_lshrrev_b32_e32 v1, 3, v2
	s_mov_b32 s28, exec_lo
	v_and_b32_sdwa v0, v7, v0 dst_sel:DWORD dst_unused:UNUSED_PAD src0_sel:WORD_0 src1_sel:DWORD
	v_cmpx_gt_u32_e32 8, v2
; %bb.31:                               ;   in Loop: Header=BB306_16 Depth=1
	v_ffbh_u32_e32 v0, v0
	v_min_u32_e32 v2, 32, v0
	v_subrev_nc_u32_e32 v0, 28, v2
	v_lshlrev_b64 v[0:1], v0, v[7:8]
	v_sub_nc_u32_e32 v1, 29, v2
	v_and_b32_e32 v0, 7, v0
; %bb.32:                               ;   in Loop: Header=BB306_16 Depth=1
	s_or_b32 exec_lo, exec_lo, s28
	v_mov_b32_e32 v2, 8
	v_lshl_add_u32 v1, v1, 10, 0x2000
	v_lshlrev_b32_e32 v0, 23, v0
	v_lshlrev_b32_sdwa v2, v2, v7 dst_sel:DWORD dst_unused:UNUSED_PAD src0_sel:DWORD src1_sel:WORD_0
	v_and_or_b32 v1, 0x8000, v2, v1
	v_lshl_or_b32 v84, v1, 16, v0
.LBB306_33:                             ;   in Loop: Header=BB306_16 Depth=1
	s_or_b32 exec_lo, exec_lo, s27
.LBB306_34:                             ;   in Loop: Header=BB306_16 Depth=1
	s_or_b32 exec_lo, exec_lo, s26
.LBB306_35:                             ;   in Loop: Header=BB306_16 Depth=1
	s_or_b32 exec_lo, exec_lo, s25
	v_lshrrev_b32_e32 v7, 16, v33
	v_mov_b32_e32 v86, 0
	v_mov_b32_e32 v125, 0
	v_cmp_ne_u16_sdwa s5, v7, v8 src0_sel:BYTE_0 src1_sel:DWORD
	s_and_saveexec_b32 s25, s5
	s_cbranch_execz .LBB306_43
; %bb.36:                               ;   in Loop: Header=BB306_16 Depth=1
	v_cmp_ne_u16_sdwa s5, v7, v68 src0_sel:BYTE_0 src1_sel:DWORD
	v_mov_b32_e32 v125, 0x8000
	s_and_saveexec_b32 s26, s5
	s_cbranch_execz .LBB306_42
; %bb.37:                               ;   in Loop: Header=BB306_16 Depth=1
	v_bfe_u32 v2, v33, 16, 7
	v_mov_b32_e32 v125, 0x7c01
	s_mov_b32 s27, exec_lo
	v_cmpx_ne_u32_e32 0x7f, v2
	s_cbranch_execz .LBB306_41
; %bb.38:                               ;   in Loop: Header=BB306_16 Depth=1
	v_and_b32_e32 v0, 7, v7
	v_lshrrev_b32_e32 v1, 3, v2
	s_mov_b32 s28, exec_lo
	v_cmpx_gt_u32_e32 8, v2
; %bb.39:                               ;   in Loop: Header=BB306_16 Depth=1
	v_ffbh_u32_e32 v0, v0
	v_min_u32_e32 v2, 32, v0
	v_subrev_nc_u32_e32 v0, 28, v2
	v_lshlrev_b64 v[0:1], v0, v[7:8]
	v_sub_nc_u32_e32 v1, 29, v2
	v_and_b32_e32 v0, 7, v0
; %bb.40:                               ;   in Loop: Header=BB306_16 Depth=1
	s_or_b32 exec_lo, exec_lo, s28
	v_lshlrev_b32_e32 v2, 8, v7
	v_lshl_add_u32 v1, v1, 10, 0x2000
	v_lshlrev_b32_e32 v0, 7, v0
	v_and_b32_e32 v2, 0x8000, v2
	v_and_b32_e32 v1, 0xfc00, v1
	v_or3_b32 v125, v2, v1, v0
.LBB306_41:                             ;   in Loop: Header=BB306_16 Depth=1
	s_or_b32 exec_lo, exec_lo, s27
.LBB306_42:                             ;   in Loop: Header=BB306_16 Depth=1
	s_or_b32 exec_lo, exec_lo, s26
.LBB306_43:                             ;   in Loop: Header=BB306_16 Depth=1
	s_or_b32 exec_lo, exec_lo, s25
	s_mov_b32 s25, exec_lo
	v_cmpx_lt_u32_e32 0xffffff, v33
	s_cbranch_execz .LBB306_51
; %bb.44:                               ;   in Loop: Header=BB306_16 Depth=1
	v_lshrrev_b32_e32 v7, 24, v33
	v_bfrev_b32_e32 v86, 1
	s_mov_b32 s26, exec_lo
	v_cmpx_ne_u32_e32 0x80, v7
	s_cbranch_execz .LBB306_50
; %bb.45:                               ;   in Loop: Header=BB306_16 Depth=1
	v_and_b32_e32 v2, 0x7f, v7
	v_mov_b32_e32 v86, 0x7c010000
	s_mov_b32 s27, exec_lo
	v_cmpx_ne_u32_e32 0x7f, v2
	s_cbranch_execz .LBB306_49
; %bb.46:                               ;   in Loop: Header=BB306_16 Depth=1
	v_and_b32_e32 v0, 7, v7
	v_lshrrev_b32_e32 v1, 3, v2
	s_mov_b32 s28, exec_lo
	v_cmpx_gt_u32_e32 8, v2
; %bb.47:                               ;   in Loop: Header=BB306_16 Depth=1
	v_ffbh_u32_e32 v0, v0
	v_min_u32_e32 v2, 32, v0
	v_subrev_nc_u32_e32 v0, 28, v2
	v_lshlrev_b64 v[0:1], v0, v[7:8]
	v_sub_nc_u32_e32 v1, 29, v2
	v_and_b32_e32 v0, 7, v0
; %bb.48:                               ;   in Loop: Header=BB306_16 Depth=1
	s_or_b32 exec_lo, exec_lo, s28
	v_lshlrev_b32_e32 v2, 8, v7
	v_lshl_add_u32 v1, v1, 10, 0x2000
	v_lshlrev_b32_e32 v0, 23, v0
	v_and_or_b32 v1, 0x8000, v2, v1
	v_lshl_or_b32 v86, v1, 16, v0
.LBB306_49:                             ;   in Loop: Header=BB306_16 Depth=1
	s_or_b32 exec_lo, exec_lo, s27
.LBB306_50:                             ;   in Loop: Header=BB306_16 Depth=1
	s_or_b32 exec_lo, exec_lo, s26
.LBB306_51:                             ;   in Loop: Header=BB306_16 Depth=1
	s_or_b32 exec_lo, exec_lo, s25
	v_mov_b32_e32 v7, v34
	v_cmp_ne_u16_sdwa s5, v34, v8 src0_sel:BYTE_0 src1_sel:DWORD
	v_mov_b32_e32 v126, 0
	v_mov_b32_e32 v127, 0
	s_and_saveexec_b32 s25, s5
	s_cbranch_execz .LBB306_59
; %bb.52:                               ;   in Loop: Header=BB306_16 Depth=1
	v_cmp_ne_u16_sdwa s5, v34, v68 src0_sel:BYTE_0 src1_sel:DWORD
	v_mov_b32_e32 v127, 0x8000
	s_and_saveexec_b32 s26, s5
	s_cbranch_execz .LBB306_58
; %bb.53:                               ;   in Loop: Header=BB306_16 Depth=1
	v_and_b32_e32 v2, 0x7f, v34
	v_mov_b32_e32 v127, 0x7c01
	s_mov_b32 s27, exec_lo
	v_cmpx_ne_u32_e32 0x7f, v2
	s_cbranch_execz .LBB306_57
; %bb.54:                               ;   in Loop: Header=BB306_16 Depth=1
	v_and_b32_e32 v0, 7, v34
	v_lshrrev_b32_e32 v1, 3, v2
	s_mov_b32 s28, exec_lo
	v_cmpx_gt_u32_e32 8, v2
; %bb.55:                               ;   in Loop: Header=BB306_16 Depth=1
	v_ffbh_u32_e32 v0, v0
	v_min_u32_e32 v2, 32, v0
	v_subrev_nc_u32_e32 v0, 28, v2
	v_lshlrev_b64 v[0:1], v0, v[7:8]
	v_sub_nc_u32_e32 v1, 29, v2
	v_and_b32_e32 v0, 7, v0
; %bb.56:                               ;   in Loop: Header=BB306_16 Depth=1
	s_or_b32 exec_lo, exec_lo, s28
	v_lshlrev_b32_e32 v2, 8, v34
	v_lshl_add_u32 v1, v1, 10, 0x2000
	v_lshlrev_b32_e32 v0, 7, v0
	v_and_b32_e32 v2, 0x8000, v2
	v_and_b32_e32 v1, 0xfc00, v1
	v_or3_b32 v127, v2, v1, v0
.LBB306_57:                             ;   in Loop: Header=BB306_16 Depth=1
	s_or_b32 exec_lo, exec_lo, s27
.LBB306_58:                             ;   in Loop: Header=BB306_16 Depth=1
	s_or_b32 exec_lo, exec_lo, s26
.LBB306_59:                             ;   in Loop: Header=BB306_16 Depth=1
	s_or_b32 exec_lo, exec_lo, s25
	v_lshrrev_b16 v7, 8, v7
	v_mov_b32_e32 v98, 0
	s_mov_b32 s25, exec_lo
	v_cmpx_ne_u16_e32 0, v7
	s_cbranch_execz .LBB306_67
; %bb.60:                               ;   in Loop: Header=BB306_16 Depth=1
	v_bfrev_b32_e32 v98, 1
	s_mov_b32 s26, exec_lo
	v_cmpx_ne_u16_e32 0x80, v7
	s_cbranch_execz .LBB306_66
; %bb.61:                               ;   in Loop: Header=BB306_16 Depth=1
	v_mov_b32_e32 v0, 0x7f
	v_mov_b32_e32 v98, 0x7c010000
	s_mov_b32 s27, exec_lo
	v_and_b32_sdwa v2, v7, v0 dst_sel:DWORD dst_unused:UNUSED_PAD src0_sel:WORD_0 src1_sel:DWORD
	v_cmpx_ne_u32_e32 0x7f, v2
	s_cbranch_execz .LBB306_65
; %bb.62:                               ;   in Loop: Header=BB306_16 Depth=1
	v_mov_b32_e32 v0, 7
	v_lshrrev_b32_e32 v1, 3, v2
	s_mov_b32 s28, exec_lo
	v_and_b32_sdwa v0, v7, v0 dst_sel:DWORD dst_unused:UNUSED_PAD src0_sel:WORD_0 src1_sel:DWORD
	v_cmpx_gt_u32_e32 8, v2
; %bb.63:                               ;   in Loop: Header=BB306_16 Depth=1
	v_ffbh_u32_e32 v0, v0
	v_min_u32_e32 v2, 32, v0
	v_subrev_nc_u32_e32 v0, 28, v2
	v_lshlrev_b64 v[0:1], v0, v[7:8]
	v_sub_nc_u32_e32 v1, 29, v2
	v_and_b32_e32 v0, 7, v0
; %bb.64:                               ;   in Loop: Header=BB306_16 Depth=1
	s_or_b32 exec_lo, exec_lo, s28
	v_mov_b32_e32 v2, 8
	v_lshl_add_u32 v1, v1, 10, 0x2000
	v_lshlrev_b32_e32 v0, 23, v0
	v_lshlrev_b32_sdwa v2, v2, v7 dst_sel:DWORD dst_unused:UNUSED_PAD src0_sel:DWORD src1_sel:WORD_0
	v_and_or_b32 v1, 0x8000, v2, v1
	v_lshl_or_b32 v98, v1, 16, v0
.LBB306_65:                             ;   in Loop: Header=BB306_16 Depth=1
	s_or_b32 exec_lo, exec_lo, s27
.LBB306_66:                             ;   in Loop: Header=BB306_16 Depth=1
	s_or_b32 exec_lo, exec_lo, s26
.LBB306_67:                             ;   in Loop: Header=BB306_16 Depth=1
	s_or_b32 exec_lo, exec_lo, s25
	v_lshrrev_b32_e32 v7, 16, v34
	v_cmp_ne_u16_sdwa s5, v7, v8 src0_sel:BYTE_0 src1_sel:DWORD
	s_and_saveexec_b32 s25, s5
	s_cbranch_execz .LBB306_75
; %bb.68:                               ;   in Loop: Header=BB306_16 Depth=1
	v_cmp_ne_u16_sdwa s5, v7, v68 src0_sel:BYTE_0 src1_sel:DWORD
	v_mov_b32_e32 v126, 0x8000
	s_and_saveexec_b32 s26, s5
	s_cbranch_execz .LBB306_74
; %bb.69:                               ;   in Loop: Header=BB306_16 Depth=1
	v_bfe_u32 v2, v34, 16, 7
	v_mov_b32_e32 v126, 0x7c01
	s_mov_b32 s27, exec_lo
	v_cmpx_ne_u32_e32 0x7f, v2
	s_cbranch_execz .LBB306_73
; %bb.70:                               ;   in Loop: Header=BB306_16 Depth=1
	v_and_b32_e32 v0, 7, v7
	v_lshrrev_b32_e32 v1, 3, v2
	s_mov_b32 s28, exec_lo
	v_cmpx_gt_u32_e32 8, v2
; %bb.71:                               ;   in Loop: Header=BB306_16 Depth=1
	v_ffbh_u32_e32 v0, v0
	v_min_u32_e32 v2, 32, v0
	v_subrev_nc_u32_e32 v0, 28, v2
	v_lshlrev_b64 v[0:1], v0, v[7:8]
	v_sub_nc_u32_e32 v1, 29, v2
	v_and_b32_e32 v0, 7, v0
; %bb.72:                               ;   in Loop: Header=BB306_16 Depth=1
	s_or_b32 exec_lo, exec_lo, s28
	v_lshlrev_b32_e32 v2, 8, v7
	v_lshl_add_u32 v1, v1, 10, 0x2000
	v_lshlrev_b32_e32 v0, 7, v0
	v_and_b32_e32 v2, 0x8000, v2
	v_and_b32_e32 v1, 0xfc00, v1
	v_or3_b32 v126, v2, v1, v0
.LBB306_73:                             ;   in Loop: Header=BB306_16 Depth=1
	s_or_b32 exec_lo, exec_lo, s27
.LBB306_74:                             ;   in Loop: Header=BB306_16 Depth=1
	s_or_b32 exec_lo, exec_lo, s26
.LBB306_75:                             ;   in Loop: Header=BB306_16 Depth=1
	s_or_b32 exec_lo, exec_lo, s25
	v_mov_b32_e32 v27, 0
	v_mov_b32_e32 v99, 0
	s_mov_b32 s25, exec_lo
	v_cmpx_lt_u64_e64 s[20:21], v[33:34]
	s_cbranch_execz .LBB306_83
; %bb.76:                               ;   in Loop: Header=BB306_16 Depth=1
	v_lshrrev_b32_e32 v7, 24, v34
	v_bfrev_b32_e32 v99, 1
	s_mov_b32 s26, exec_lo
	v_cmpx_ne_u32_e32 0x80, v7
	s_cbranch_execz .LBB306_82
; %bb.77:                               ;   in Loop: Header=BB306_16 Depth=1
	v_and_b32_e32 v2, 0x7f, v7
	v_mov_b32_e32 v99, 0x7c010000
	s_mov_b32 s27, exec_lo
	v_cmpx_ne_u32_e32 0x7f, v2
	s_cbranch_execz .LBB306_81
; %bb.78:                               ;   in Loop: Header=BB306_16 Depth=1
	v_and_b32_e32 v0, 7, v7
	v_lshrrev_b32_e32 v1, 3, v2
	s_mov_b32 s28, exec_lo
	v_cmpx_gt_u32_e32 8, v2
; %bb.79:                               ;   in Loop: Header=BB306_16 Depth=1
	v_ffbh_u32_e32 v0, v0
	v_min_u32_e32 v2, 32, v0
	v_subrev_nc_u32_e32 v0, 28, v2
	v_lshlrev_b64 v[0:1], v0, v[7:8]
	v_sub_nc_u32_e32 v1, 29, v2
	v_and_b32_e32 v0, 7, v0
; %bb.80:                               ;   in Loop: Header=BB306_16 Depth=1
	s_or_b32 exec_lo, exec_lo, s28
	v_lshlrev_b32_e32 v2, 8, v7
	v_lshl_add_u32 v1, v1, 10, 0x2000
	v_lshlrev_b32_e32 v0, 23, v0
	v_and_or_b32 v1, 0x8000, v2, v1
	v_lshl_or_b32 v99, v1, 16, v0
.LBB306_81:                             ;   in Loop: Header=BB306_16 Depth=1
	s_or_b32 exec_lo, exec_lo, s27
.LBB306_82:                             ;   in Loop: Header=BB306_16 Depth=1
	s_or_b32 exec_lo, exec_lo, s26
.LBB306_83:                             ;   in Loop: Header=BB306_16 Depth=1
	s_or_b32 exec_lo, exec_lo, s25
	flat_load_dwordx2 v[33:34], v[31:32] offset:8
	s_waitcnt vmcnt(0) lgkmcnt(0)
	v_cmp_ne_u16_sdwa s5, v33, v8 src0_sel:BYTE_0 src1_sel:DWORD
	s_and_saveexec_b32 s25, s5
	s_cbranch_execz .LBB306_91
; %bb.84:                               ;   in Loop: Header=BB306_16 Depth=1
	v_cmp_ne_u16_sdwa s5, v33, v68 src0_sel:BYTE_0 src1_sel:DWORD
	v_mov_b32_e32 v27, 0x8000
	s_and_saveexec_b32 s26, s5
	s_cbranch_execz .LBB306_90
; %bb.85:                               ;   in Loop: Header=BB306_16 Depth=1
	v_and_b32_e32 v2, 0x7f, v33
	v_mov_b32_e32 v27, 0x7c01
	s_mov_b32 s27, exec_lo
	v_cmpx_ne_u32_e32 0x7f, v2
	s_cbranch_execz .LBB306_89
; %bb.86:                               ;   in Loop: Header=BB306_16 Depth=1
	v_and_b32_e32 v0, 7, v33
	v_lshrrev_b32_e32 v1, 3, v2
	s_mov_b32 s28, exec_lo
	v_cmpx_gt_u32_e32 8, v2
; %bb.87:                               ;   in Loop: Header=BB306_16 Depth=1
	v_ffbh_u32_e32 v0, v0
	v_min_u32_e32 v2, 32, v0
	v_subrev_nc_u32_e32 v0, 28, v2
	v_lshlrev_b64 v[0:1], v0, v[33:34]
	v_sub_nc_u32_e32 v1, 29, v2
	v_and_b32_e32 v0, 7, v0
; %bb.88:                               ;   in Loop: Header=BB306_16 Depth=1
	s_or_b32 exec_lo, exec_lo, s28
	v_lshlrev_b32_e32 v2, 8, v33
	v_lshl_add_u32 v1, v1, 10, 0x2000
	v_lshlrev_b32_e32 v0, 7, v0
	v_and_b32_e32 v2, 0x8000, v2
	v_and_b32_e32 v1, 0xfc00, v1
	v_or3_b32 v27, v2, v1, v0
.LBB306_89:                             ;   in Loop: Header=BB306_16 Depth=1
	s_or_b32 exec_lo, exec_lo, s27
.LBB306_90:                             ;   in Loop: Header=BB306_16 Depth=1
	s_or_b32 exec_lo, exec_lo, s26
.LBB306_91:                             ;   in Loop: Header=BB306_16 Depth=1
	s_or_b32 exec_lo, exec_lo, s25
	v_lshrrev_b16 v7, 8, v33
	v_mov_b32_e32 v123, 0
	v_mov_b32_e32 v101, 0
	s_mov_b32 s25, exec_lo
	v_cmpx_ne_u16_e32 0, v7
	s_cbranch_execz .LBB306_99
; %bb.92:                               ;   in Loop: Header=BB306_16 Depth=1
	v_bfrev_b32_e32 v101, 1
	s_mov_b32 s26, exec_lo
	v_cmpx_ne_u16_e32 0x80, v7
	s_cbranch_execz .LBB306_98
; %bb.93:                               ;   in Loop: Header=BB306_16 Depth=1
	v_mov_b32_e32 v0, 0x7f
	v_mov_b32_e32 v101, 0x7c010000
	s_mov_b32 s27, exec_lo
	v_and_b32_sdwa v2, v7, v0 dst_sel:DWORD dst_unused:UNUSED_PAD src0_sel:WORD_0 src1_sel:DWORD
	v_cmpx_ne_u32_e32 0x7f, v2
	s_cbranch_execz .LBB306_97
; %bb.94:                               ;   in Loop: Header=BB306_16 Depth=1
	v_mov_b32_e32 v0, 7
	v_lshrrev_b32_e32 v1, 3, v2
	s_mov_b32 s28, exec_lo
	v_and_b32_sdwa v0, v7, v0 dst_sel:DWORD dst_unused:UNUSED_PAD src0_sel:WORD_0 src1_sel:DWORD
	v_cmpx_gt_u32_e32 8, v2
; %bb.95:                               ;   in Loop: Header=BB306_16 Depth=1
	v_ffbh_u32_e32 v0, v0
	v_min_u32_e32 v2, 32, v0
	v_subrev_nc_u32_e32 v0, 28, v2
	v_lshlrev_b64 v[0:1], v0, v[7:8]
	v_sub_nc_u32_e32 v1, 29, v2
	v_and_b32_e32 v0, 7, v0
; %bb.96:                               ;   in Loop: Header=BB306_16 Depth=1
	s_or_b32 exec_lo, exec_lo, s28
	v_mov_b32_e32 v2, 8
	v_lshl_add_u32 v1, v1, 10, 0x2000
	v_lshlrev_b32_e32 v0, 23, v0
	v_lshlrev_b32_sdwa v2, v2, v7 dst_sel:DWORD dst_unused:UNUSED_PAD src0_sel:DWORD src1_sel:WORD_0
	v_and_or_b32 v1, 0x8000, v2, v1
	v_lshl_or_b32 v101, v1, 16, v0
.LBB306_97:                             ;   in Loop: Header=BB306_16 Depth=1
	s_or_b32 exec_lo, exec_lo, s27
.LBB306_98:                             ;   in Loop: Header=BB306_16 Depth=1
	s_or_b32 exec_lo, exec_lo, s26
.LBB306_99:                             ;   in Loop: Header=BB306_16 Depth=1
	s_or_b32 exec_lo, exec_lo, s25
	v_lshrrev_b32_e32 v7, 16, v33
	v_cmp_ne_u16_sdwa s5, v7, v8 src0_sel:BYTE_0 src1_sel:DWORD
	s_and_saveexec_b32 s25, s5
	s_cbranch_execz .LBB306_107
; %bb.100:                              ;   in Loop: Header=BB306_16 Depth=1
	v_cmp_ne_u16_sdwa s5, v7, v68 src0_sel:BYTE_0 src1_sel:DWORD
	v_mov_b32_e32 v123, 0x8000
	s_and_saveexec_b32 s26, s5
	s_cbranch_execz .LBB306_106
; %bb.101:                              ;   in Loop: Header=BB306_16 Depth=1
	v_bfe_u32 v2, v33, 16, 7
	v_mov_b32_e32 v123, 0x7c01
	s_mov_b32 s27, exec_lo
	v_cmpx_ne_u32_e32 0x7f, v2
	s_cbranch_execz .LBB306_105
; %bb.102:                              ;   in Loop: Header=BB306_16 Depth=1
	v_and_b32_e32 v0, 7, v7
	v_lshrrev_b32_e32 v1, 3, v2
	s_mov_b32 s28, exec_lo
	v_cmpx_gt_u32_e32 8, v2
; %bb.103:                              ;   in Loop: Header=BB306_16 Depth=1
	v_ffbh_u32_e32 v0, v0
	v_min_u32_e32 v2, 32, v0
	v_subrev_nc_u32_e32 v0, 28, v2
	v_lshlrev_b64 v[0:1], v0, v[7:8]
	v_sub_nc_u32_e32 v1, 29, v2
	v_and_b32_e32 v0, 7, v0
; %bb.104:                              ;   in Loop: Header=BB306_16 Depth=1
	s_or_b32 exec_lo, exec_lo, s28
	v_lshlrev_b32_e32 v2, 8, v7
	v_lshl_add_u32 v1, v1, 10, 0x2000
	v_lshlrev_b32_e32 v0, 7, v0
	v_and_b32_e32 v2, 0x8000, v2
	v_and_b32_e32 v1, 0xfc00, v1
	v_or3_b32 v123, v2, v1, v0
.LBB306_105:                            ;   in Loop: Header=BB306_16 Depth=1
	s_or_b32 exec_lo, exec_lo, s27
.LBB306_106:                            ;   in Loop: Header=BB306_16 Depth=1
	s_or_b32 exec_lo, exec_lo, s26
.LBB306_107:                            ;   in Loop: Header=BB306_16 Depth=1
	s_or_b32 exec_lo, exec_lo, s25
	v_mov_b32_e32 v0, 0
	v_mov_b32_e32 v112, 0
	s_mov_b32 s25, exec_lo
	buffer_store_dword v0, off, s[0:3], s32 offset:240 ; 4-byte Folded Spill
	v_cmpx_lt_u32_e32 0xffffff, v33
	s_cbranch_execz .LBB306_115
; %bb.108:                              ;   in Loop: Header=BB306_16 Depth=1
	v_lshrrev_b32_e32 v7, 24, v33
	v_bfrev_b32_e32 v112, 1
	s_mov_b32 s26, exec_lo
	v_cmpx_ne_u32_e32 0x80, v7
	s_cbranch_execz .LBB306_114
; %bb.109:                              ;   in Loop: Header=BB306_16 Depth=1
	v_and_b32_e32 v2, 0x7f, v7
	v_mov_b32_e32 v112, 0x7c010000
	s_mov_b32 s27, exec_lo
	v_cmpx_ne_u32_e32 0x7f, v2
	s_cbranch_execz .LBB306_113
; %bb.110:                              ;   in Loop: Header=BB306_16 Depth=1
	v_and_b32_e32 v0, 7, v7
	v_lshrrev_b32_e32 v1, 3, v2
	s_mov_b32 s28, exec_lo
	v_cmpx_gt_u32_e32 8, v2
; %bb.111:                              ;   in Loop: Header=BB306_16 Depth=1
	v_ffbh_u32_e32 v0, v0
	v_min_u32_e32 v2, 32, v0
	v_subrev_nc_u32_e32 v0, 28, v2
	v_lshlrev_b64 v[0:1], v0, v[7:8]
	v_sub_nc_u32_e32 v1, 29, v2
	v_and_b32_e32 v0, 7, v0
; %bb.112:                              ;   in Loop: Header=BB306_16 Depth=1
	s_or_b32 exec_lo, exec_lo, s28
	v_lshlrev_b32_e32 v2, 8, v7
	v_lshl_add_u32 v1, v1, 10, 0x2000
	v_lshlrev_b32_e32 v0, 23, v0
	v_and_or_b32 v1, 0x8000, v2, v1
	v_lshl_or_b32 v112, v1, 16, v0
.LBB306_113:                            ;   in Loop: Header=BB306_16 Depth=1
	s_or_b32 exec_lo, exec_lo, s27
.LBB306_114:                            ;   in Loop: Header=BB306_16 Depth=1
	s_or_b32 exec_lo, exec_lo, s26
.LBB306_115:                            ;   in Loop: Header=BB306_16 Depth=1
	s_or_b32 exec_lo, exec_lo, s25
	v_mov_b32_e32 v7, v34
	v_cmp_ne_u16_sdwa s5, v34, v8 src0_sel:BYTE_0 src1_sel:DWORD
	s_and_saveexec_b32 s25, s5
	s_cbranch_execz .LBB306_123
; %bb.116:                              ;   in Loop: Header=BB306_16 Depth=1
	v_cmp_ne_u16_sdwa s5, v34, v68 src0_sel:BYTE_0 src1_sel:DWORD
	v_mov_b32_e32 v0, 0x8000
	buffer_store_dword v0, off, s[0:3], s32 offset:240 ; 4-byte Folded Spill
	s_and_saveexec_b32 s26, s5
	s_cbranch_execz .LBB306_122
; %bb.117:                              ;   in Loop: Header=BB306_16 Depth=1
	v_and_b32_e32 v2, 0x7f, v34
	v_mov_b32_e32 v0, 0x7c01
	s_mov_b32 s27, exec_lo
	buffer_store_dword v0, off, s[0:3], s32 offset:240 ; 4-byte Folded Spill
	v_cmpx_ne_u32_e32 0x7f, v2
	s_cbranch_execz .LBB306_121
; %bb.118:                              ;   in Loop: Header=BB306_16 Depth=1
	v_and_b32_e32 v0, 7, v34
	v_lshrrev_b32_e32 v1, 3, v2
	s_mov_b32 s28, exec_lo
	v_cmpx_gt_u32_e32 8, v2
; %bb.119:                              ;   in Loop: Header=BB306_16 Depth=1
	v_ffbh_u32_e32 v0, v0
	v_min_u32_e32 v2, 32, v0
	v_subrev_nc_u32_e32 v0, 28, v2
	v_lshlrev_b64 v[0:1], v0, v[7:8]
	v_sub_nc_u32_e32 v1, 29, v2
	v_and_b32_e32 v0, 7, v0
; %bb.120:                              ;   in Loop: Header=BB306_16 Depth=1
	s_or_b32 exec_lo, exec_lo, s28
	v_lshlrev_b32_e32 v2, 8, v34
	v_lshl_add_u32 v1, v1, 10, 0x2000
	v_lshlrev_b32_e32 v0, 7, v0
	v_and_b32_e32 v2, 0x8000, v2
	v_and_b32_e32 v1, 0xfc00, v1
	v_or3_b32 v0, v2, v1, v0
	buffer_store_dword v0, off, s[0:3], s32 offset:240 ; 4-byte Folded Spill
.LBB306_121:                            ;   in Loop: Header=BB306_16 Depth=1
	s_or_b32 exec_lo, exec_lo, s27
.LBB306_122:                            ;   in Loop: Header=BB306_16 Depth=1
	s_or_b32 exec_lo, exec_lo, s26
.LBB306_123:                            ;   in Loop: Header=BB306_16 Depth=1
	s_or_b32 exec_lo, exec_lo, s25
	v_lshrrev_b16 v7, 8, v7
	v_mov_b32_e32 v97, 0
	v_mov_b32_e32 v114, 0
	s_mov_b32 s25, exec_lo
	v_cmpx_ne_u16_e32 0, v7
	s_cbranch_execz .LBB306_131
; %bb.124:                              ;   in Loop: Header=BB306_16 Depth=1
	v_bfrev_b32_e32 v114, 1
	s_mov_b32 s26, exec_lo
	v_cmpx_ne_u16_e32 0x80, v7
	s_cbranch_execz .LBB306_130
; %bb.125:                              ;   in Loop: Header=BB306_16 Depth=1
	v_mov_b32_e32 v0, 0x7f
	v_mov_b32_e32 v114, 0x7c010000
	s_mov_b32 s27, exec_lo
	v_and_b32_sdwa v2, v7, v0 dst_sel:DWORD dst_unused:UNUSED_PAD src0_sel:WORD_0 src1_sel:DWORD
	v_cmpx_ne_u32_e32 0x7f, v2
	s_cbranch_execz .LBB306_129
; %bb.126:                              ;   in Loop: Header=BB306_16 Depth=1
	v_mov_b32_e32 v0, 7
	v_lshrrev_b32_e32 v1, 3, v2
	s_mov_b32 s28, exec_lo
	v_and_b32_sdwa v0, v7, v0 dst_sel:DWORD dst_unused:UNUSED_PAD src0_sel:WORD_0 src1_sel:DWORD
	v_cmpx_gt_u32_e32 8, v2
; %bb.127:                              ;   in Loop: Header=BB306_16 Depth=1
	v_ffbh_u32_e32 v0, v0
	v_min_u32_e32 v2, 32, v0
	v_subrev_nc_u32_e32 v0, 28, v2
	v_lshlrev_b64 v[0:1], v0, v[7:8]
	v_sub_nc_u32_e32 v1, 29, v2
	v_and_b32_e32 v0, 7, v0
; %bb.128:                              ;   in Loop: Header=BB306_16 Depth=1
	s_or_b32 exec_lo, exec_lo, s28
	v_mov_b32_e32 v2, 8
	v_lshl_add_u32 v1, v1, 10, 0x2000
	v_lshlrev_b32_e32 v0, 23, v0
	v_lshlrev_b32_sdwa v2, v2, v7 dst_sel:DWORD dst_unused:UNUSED_PAD src0_sel:DWORD src1_sel:WORD_0
	v_and_or_b32 v1, 0x8000, v2, v1
	v_lshl_or_b32 v114, v1, 16, v0
.LBB306_129:                            ;   in Loop: Header=BB306_16 Depth=1
	s_or_b32 exec_lo, exec_lo, s27
.LBB306_130:                            ;   in Loop: Header=BB306_16 Depth=1
	s_or_b32 exec_lo, exec_lo, s26
.LBB306_131:                            ;   in Loop: Header=BB306_16 Depth=1
	s_or_b32 exec_lo, exec_lo, s25
	v_lshrrev_b32_e32 v7, 16, v34
	v_cmp_ne_u16_sdwa s5, v7, v8 src0_sel:BYTE_0 src1_sel:DWORD
	s_and_saveexec_b32 s25, s5
	s_cbranch_execz .LBB306_139
; %bb.132:                              ;   in Loop: Header=BB306_16 Depth=1
	v_cmp_ne_u16_sdwa s5, v7, v68 src0_sel:BYTE_0 src1_sel:DWORD
	v_mov_b32_e32 v97, 0x8000
	s_and_saveexec_b32 s26, s5
	s_cbranch_execz .LBB306_138
; %bb.133:                              ;   in Loop: Header=BB306_16 Depth=1
	v_bfe_u32 v2, v34, 16, 7
	v_mov_b32_e32 v97, 0x7c01
	s_mov_b32 s27, exec_lo
	v_cmpx_ne_u32_e32 0x7f, v2
	s_cbranch_execz .LBB306_137
; %bb.134:                              ;   in Loop: Header=BB306_16 Depth=1
	v_and_b32_e32 v0, 7, v7
	v_lshrrev_b32_e32 v1, 3, v2
	s_mov_b32 s28, exec_lo
	v_cmpx_gt_u32_e32 8, v2
; %bb.135:                              ;   in Loop: Header=BB306_16 Depth=1
	v_ffbh_u32_e32 v0, v0
	v_min_u32_e32 v2, 32, v0
	v_subrev_nc_u32_e32 v0, 28, v2
	v_lshlrev_b64 v[0:1], v0, v[7:8]
	v_sub_nc_u32_e32 v1, 29, v2
	v_and_b32_e32 v0, 7, v0
; %bb.136:                              ;   in Loop: Header=BB306_16 Depth=1
	s_or_b32 exec_lo, exec_lo, s28
	v_lshlrev_b32_e32 v2, 8, v7
	v_lshl_add_u32 v1, v1, 10, 0x2000
	v_lshlrev_b32_e32 v0, 7, v0
	v_and_b32_e32 v2, 0x8000, v2
	v_and_b32_e32 v1, 0xfc00, v1
	v_or3_b32 v97, v2, v1, v0
.LBB306_137:                            ;   in Loop: Header=BB306_16 Depth=1
	s_or_b32 exec_lo, exec_lo, s27
.LBB306_138:                            ;   in Loop: Header=BB306_16 Depth=1
	s_or_b32 exec_lo, exec_lo, s26
.LBB306_139:                            ;   in Loop: Header=BB306_16 Depth=1
	s_or_b32 exec_lo, exec_lo, s25
	v_mov_b32_e32 v116, 0
	v_mov_b32_e32 v115, 0
	s_mov_b32 s25, exec_lo
	v_cmpx_lt_u64_e64 s[20:21], v[33:34]
	s_cbranch_execz .LBB306_147
; %bb.140:                              ;   in Loop: Header=BB306_16 Depth=1
	v_lshrrev_b32_e32 v7, 24, v34
	v_bfrev_b32_e32 v115, 1
	s_mov_b32 s26, exec_lo
	v_cmpx_ne_u32_e32 0x80, v7
	s_cbranch_execz .LBB306_146
; %bb.141:                              ;   in Loop: Header=BB306_16 Depth=1
	v_and_b32_e32 v2, 0x7f, v7
	v_mov_b32_e32 v115, 0x7c010000
	s_mov_b32 s27, exec_lo
	v_cmpx_ne_u32_e32 0x7f, v2
	s_cbranch_execz .LBB306_145
; %bb.142:                              ;   in Loop: Header=BB306_16 Depth=1
	v_and_b32_e32 v0, 7, v7
	v_lshrrev_b32_e32 v1, 3, v2
	s_mov_b32 s28, exec_lo
	v_cmpx_gt_u32_e32 8, v2
; %bb.143:                              ;   in Loop: Header=BB306_16 Depth=1
	v_ffbh_u32_e32 v0, v0
	v_min_u32_e32 v2, 32, v0
	v_subrev_nc_u32_e32 v0, 28, v2
	v_lshlrev_b64 v[0:1], v0, v[7:8]
	v_sub_nc_u32_e32 v1, 29, v2
	v_and_b32_e32 v0, 7, v0
; %bb.144:                              ;   in Loop: Header=BB306_16 Depth=1
	s_or_b32 exec_lo, exec_lo, s28
	v_lshlrev_b32_e32 v2, 8, v7
	v_lshl_add_u32 v1, v1, 10, 0x2000
	v_lshlrev_b32_e32 v0, 23, v0
	v_and_or_b32 v1, 0x8000, v2, v1
	v_lshl_or_b32 v115, v1, 16, v0
.LBB306_145:                            ;   in Loop: Header=BB306_16 Depth=1
	s_or_b32 exec_lo, exec_lo, s27
.LBB306_146:                            ;   in Loop: Header=BB306_16 Depth=1
	s_or_b32 exec_lo, exec_lo, s26
.LBB306_147:                            ;   in Loop: Header=BB306_16 Depth=1
	s_or_b32 exec_lo, exec_lo, s25
	flat_load_dwordx2 v[33:34], v[31:32] offset:512
	s_waitcnt vmcnt(0) lgkmcnt(0)
	v_cmp_ne_u16_sdwa s5, v33, v8 src0_sel:BYTE_0 src1_sel:DWORD
	s_and_saveexec_b32 s25, s5
	s_cbranch_execz .LBB306_155
; %bb.148:                              ;   in Loop: Header=BB306_16 Depth=1
	v_cmp_ne_u16_sdwa s5, v33, v68 src0_sel:BYTE_0 src1_sel:DWORD
	v_mov_b32_e32 v116, 0x8000
	s_and_saveexec_b32 s26, s5
	s_cbranch_execz .LBB306_154
; %bb.149:                              ;   in Loop: Header=BB306_16 Depth=1
	v_and_b32_e32 v2, 0x7f, v33
	v_mov_b32_e32 v116, 0x7c01
	s_mov_b32 s27, exec_lo
	v_cmpx_ne_u32_e32 0x7f, v2
	s_cbranch_execz .LBB306_153
; %bb.150:                              ;   in Loop: Header=BB306_16 Depth=1
	v_and_b32_e32 v0, 7, v33
	v_lshrrev_b32_e32 v1, 3, v2
	s_mov_b32 s28, exec_lo
	v_cmpx_gt_u32_e32 8, v2
; %bb.151:                              ;   in Loop: Header=BB306_16 Depth=1
	v_ffbh_u32_e32 v0, v0
	v_min_u32_e32 v2, 32, v0
	v_subrev_nc_u32_e32 v0, 28, v2
	v_lshlrev_b64 v[0:1], v0, v[33:34]
	v_sub_nc_u32_e32 v1, 29, v2
	v_and_b32_e32 v0, 7, v0
; %bb.152:                              ;   in Loop: Header=BB306_16 Depth=1
	s_or_b32 exec_lo, exec_lo, s28
	v_lshlrev_b32_e32 v2, 8, v33
	v_lshl_add_u32 v1, v1, 10, 0x2000
	v_lshlrev_b32_e32 v0, 7, v0
	v_and_b32_e32 v2, 0x8000, v2
	v_and_b32_e32 v1, 0xfc00, v1
	v_or3_b32 v116, v2, v1, v0
.LBB306_153:                            ;   in Loop: Header=BB306_16 Depth=1
	s_or_b32 exec_lo, exec_lo, s27
.LBB306_154:                            ;   in Loop: Header=BB306_16 Depth=1
	s_or_b32 exec_lo, exec_lo, s26
.LBB306_155:                            ;   in Loop: Header=BB306_16 Depth=1
	s_or_b32 exec_lo, exec_lo, s25
	v_lshrrev_b16 v7, 8, v33
	v_mov_b32_e32 v118, 0
	v_mov_b32_e32 v117, 0
	s_mov_b32 s25, exec_lo
	v_cmpx_ne_u16_e32 0, v7
	s_cbranch_execz .LBB306_163
; %bb.156:                              ;   in Loop: Header=BB306_16 Depth=1
	v_bfrev_b32_e32 v117, 1
	s_mov_b32 s26, exec_lo
	v_cmpx_ne_u16_e32 0x80, v7
	s_cbranch_execz .LBB306_162
; %bb.157:                              ;   in Loop: Header=BB306_16 Depth=1
	v_mov_b32_e32 v0, 0x7f
	v_mov_b32_e32 v117, 0x7c010000
	s_mov_b32 s27, exec_lo
	v_and_b32_sdwa v2, v7, v0 dst_sel:DWORD dst_unused:UNUSED_PAD src0_sel:WORD_0 src1_sel:DWORD
	v_cmpx_ne_u32_e32 0x7f, v2
	s_cbranch_execz .LBB306_161
; %bb.158:                              ;   in Loop: Header=BB306_16 Depth=1
	v_mov_b32_e32 v0, 7
	v_lshrrev_b32_e32 v1, 3, v2
	s_mov_b32 s28, exec_lo
	v_and_b32_sdwa v0, v7, v0 dst_sel:DWORD dst_unused:UNUSED_PAD src0_sel:WORD_0 src1_sel:DWORD
	v_cmpx_gt_u32_e32 8, v2
; %bb.159:                              ;   in Loop: Header=BB306_16 Depth=1
	v_ffbh_u32_e32 v0, v0
	v_min_u32_e32 v2, 32, v0
	v_subrev_nc_u32_e32 v0, 28, v2
	v_lshlrev_b64 v[0:1], v0, v[7:8]
	v_sub_nc_u32_e32 v1, 29, v2
	v_and_b32_e32 v0, 7, v0
; %bb.160:                              ;   in Loop: Header=BB306_16 Depth=1
	s_or_b32 exec_lo, exec_lo, s28
	v_mov_b32_e32 v2, 8
	v_lshl_add_u32 v1, v1, 10, 0x2000
	v_lshlrev_b32_e32 v0, 23, v0
	v_lshlrev_b32_sdwa v2, v2, v7 dst_sel:DWORD dst_unused:UNUSED_PAD src0_sel:DWORD src1_sel:WORD_0
	v_and_or_b32 v1, 0x8000, v2, v1
	v_lshl_or_b32 v117, v1, 16, v0
.LBB306_161:                            ;   in Loop: Header=BB306_16 Depth=1
	s_or_b32 exec_lo, exec_lo, s27
.LBB306_162:                            ;   in Loop: Header=BB306_16 Depth=1
	s_or_b32 exec_lo, exec_lo, s26
.LBB306_163:                            ;   in Loop: Header=BB306_16 Depth=1
	s_or_b32 exec_lo, exec_lo, s25
	v_lshrrev_b32_e32 v7, 16, v33
	v_cmp_ne_u16_sdwa s5, v7, v8 src0_sel:BYTE_0 src1_sel:DWORD
	s_and_saveexec_b32 s25, s5
	s_cbranch_execz .LBB306_171
; %bb.164:                              ;   in Loop: Header=BB306_16 Depth=1
	v_cmp_ne_u16_sdwa s5, v7, v68 src0_sel:BYTE_0 src1_sel:DWORD
	v_mov_b32_e32 v118, 0x8000
	s_and_saveexec_b32 s26, s5
	s_cbranch_execz .LBB306_170
; %bb.165:                              ;   in Loop: Header=BB306_16 Depth=1
	v_bfe_u32 v2, v33, 16, 7
	v_mov_b32_e32 v118, 0x7c01
	s_mov_b32 s27, exec_lo
	v_cmpx_ne_u32_e32 0x7f, v2
	s_cbranch_execz .LBB306_169
; %bb.166:                              ;   in Loop: Header=BB306_16 Depth=1
	v_and_b32_e32 v0, 7, v7
	v_lshrrev_b32_e32 v1, 3, v2
	s_mov_b32 s28, exec_lo
	v_cmpx_gt_u32_e32 8, v2
; %bb.167:                              ;   in Loop: Header=BB306_16 Depth=1
	v_ffbh_u32_e32 v0, v0
	v_min_u32_e32 v2, 32, v0
	v_subrev_nc_u32_e32 v0, 28, v2
	v_lshlrev_b64 v[0:1], v0, v[7:8]
	v_sub_nc_u32_e32 v1, 29, v2
	v_and_b32_e32 v0, 7, v0
; %bb.168:                              ;   in Loop: Header=BB306_16 Depth=1
	s_or_b32 exec_lo, exec_lo, s28
	v_lshlrev_b32_e32 v2, 8, v7
	v_lshl_add_u32 v1, v1, 10, 0x2000
	v_lshlrev_b32_e32 v0, 7, v0
	v_and_b32_e32 v2, 0x8000, v2
	v_and_b32_e32 v1, 0xfc00, v1
	v_or3_b32 v118, v2, v1, v0
.LBB306_169:                            ;   in Loop: Header=BB306_16 Depth=1
	s_or_b32 exec_lo, exec_lo, s27
.LBB306_170:                            ;   in Loop: Header=BB306_16 Depth=1
	s_or_b32 exec_lo, exec_lo, s26
.LBB306_171:                            ;   in Loop: Header=BB306_16 Depth=1
	s_or_b32 exec_lo, exec_lo, s25
	v_mov_b32_e32 v119, 0
	v_mov_b32_e32 v40, 0
	s_mov_b32 s25, exec_lo
	v_cmpx_lt_u32_e32 0xffffff, v33
	s_cbranch_execz .LBB306_179
; %bb.172:                              ;   in Loop: Header=BB306_16 Depth=1
	v_lshrrev_b32_e32 v7, 24, v33
	v_bfrev_b32_e32 v40, 1
	s_mov_b32 s26, exec_lo
	v_cmpx_ne_u32_e32 0x80, v7
	s_cbranch_execz .LBB306_178
; %bb.173:                              ;   in Loop: Header=BB306_16 Depth=1
	v_and_b32_e32 v2, 0x7f, v7
	v_mov_b32_e32 v40, 0x7c010000
	s_mov_b32 s27, exec_lo
	v_cmpx_ne_u32_e32 0x7f, v2
	s_cbranch_execz .LBB306_177
; %bb.174:                              ;   in Loop: Header=BB306_16 Depth=1
	v_and_b32_e32 v0, 7, v7
	v_lshrrev_b32_e32 v1, 3, v2
	s_mov_b32 s28, exec_lo
	v_cmpx_gt_u32_e32 8, v2
; %bb.175:                              ;   in Loop: Header=BB306_16 Depth=1
	v_ffbh_u32_e32 v0, v0
	v_min_u32_e32 v2, 32, v0
	v_subrev_nc_u32_e32 v0, 28, v2
	v_lshlrev_b64 v[0:1], v0, v[7:8]
	v_sub_nc_u32_e32 v1, 29, v2
	v_and_b32_e32 v0, 7, v0
; %bb.176:                              ;   in Loop: Header=BB306_16 Depth=1
	s_or_b32 exec_lo, exec_lo, s28
	v_lshlrev_b32_e32 v2, 8, v7
	v_lshl_add_u32 v1, v1, 10, 0x2000
	v_lshlrev_b32_e32 v0, 23, v0
	v_and_or_b32 v1, 0x8000, v2, v1
	v_lshl_or_b32 v40, v1, 16, v0
.LBB306_177:                            ;   in Loop: Header=BB306_16 Depth=1
	s_or_b32 exec_lo, exec_lo, s27
.LBB306_178:                            ;   in Loop: Header=BB306_16 Depth=1
	s_or_b32 exec_lo, exec_lo, s26
.LBB306_179:                            ;   in Loop: Header=BB306_16 Depth=1
	s_or_b32 exec_lo, exec_lo, s25
	v_mov_b32_e32 v7, v34
	v_cmp_ne_u16_sdwa s5, v34, v8 src0_sel:BYTE_0 src1_sel:DWORD
	s_and_saveexec_b32 s25, s5
	s_cbranch_execz .LBB306_187
; %bb.180:                              ;   in Loop: Header=BB306_16 Depth=1
	v_cmp_ne_u16_sdwa s5, v34, v68 src0_sel:BYTE_0 src1_sel:DWORD
	v_mov_b32_e32 v119, 0x8000
	s_and_saveexec_b32 s26, s5
	s_cbranch_execz .LBB306_186
; %bb.181:                              ;   in Loop: Header=BB306_16 Depth=1
	v_and_b32_e32 v2, 0x7f, v34
	v_mov_b32_e32 v119, 0x7c01
	s_mov_b32 s27, exec_lo
	v_cmpx_ne_u32_e32 0x7f, v2
	s_cbranch_execz .LBB306_185
; %bb.182:                              ;   in Loop: Header=BB306_16 Depth=1
	v_and_b32_e32 v0, 7, v34
	v_lshrrev_b32_e32 v1, 3, v2
	s_mov_b32 s28, exec_lo
	v_cmpx_gt_u32_e32 8, v2
; %bb.183:                              ;   in Loop: Header=BB306_16 Depth=1
	v_ffbh_u32_e32 v0, v0
	v_min_u32_e32 v2, 32, v0
	v_subrev_nc_u32_e32 v0, 28, v2
	v_lshlrev_b64 v[0:1], v0, v[7:8]
	v_sub_nc_u32_e32 v1, 29, v2
	v_and_b32_e32 v0, 7, v0
; %bb.184:                              ;   in Loop: Header=BB306_16 Depth=1
	s_or_b32 exec_lo, exec_lo, s28
	v_lshlrev_b32_e32 v2, 8, v34
	v_lshl_add_u32 v1, v1, 10, 0x2000
	v_lshlrev_b32_e32 v0, 7, v0
	v_and_b32_e32 v2, 0x8000, v2
	v_and_b32_e32 v1, 0xfc00, v1
	v_or3_b32 v119, v2, v1, v0
.LBB306_185:                            ;   in Loop: Header=BB306_16 Depth=1
	s_or_b32 exec_lo, exec_lo, s27
.LBB306_186:                            ;   in Loop: Header=BB306_16 Depth=1
	s_or_b32 exec_lo, exec_lo, s26
.LBB306_187:                            ;   in Loop: Header=BB306_16 Depth=1
	s_or_b32 exec_lo, exec_lo, s25
	v_lshrrev_b16 v7, 8, v7
	v_mov_b32_e32 v41, 0
	v_mov_b32_e32 v42, 0
	s_mov_b32 s25, exec_lo
	v_cmpx_ne_u16_e32 0, v7
	s_cbranch_execz .LBB306_195
; %bb.188:                              ;   in Loop: Header=BB306_16 Depth=1
	v_bfrev_b32_e32 v42, 1
	s_mov_b32 s26, exec_lo
	v_cmpx_ne_u16_e32 0x80, v7
	s_cbranch_execz .LBB306_194
; %bb.189:                              ;   in Loop: Header=BB306_16 Depth=1
	v_mov_b32_e32 v0, 0x7f
	v_mov_b32_e32 v42, 0x7c010000
	s_mov_b32 s27, exec_lo
	v_and_b32_sdwa v2, v7, v0 dst_sel:DWORD dst_unused:UNUSED_PAD src0_sel:WORD_0 src1_sel:DWORD
	v_cmpx_ne_u32_e32 0x7f, v2
	s_cbranch_execz .LBB306_193
; %bb.190:                              ;   in Loop: Header=BB306_16 Depth=1
	v_mov_b32_e32 v0, 7
	v_lshrrev_b32_e32 v1, 3, v2
	s_mov_b32 s28, exec_lo
	v_and_b32_sdwa v0, v7, v0 dst_sel:DWORD dst_unused:UNUSED_PAD src0_sel:WORD_0 src1_sel:DWORD
	v_cmpx_gt_u32_e32 8, v2
; %bb.191:                              ;   in Loop: Header=BB306_16 Depth=1
	v_ffbh_u32_e32 v0, v0
	v_min_u32_e32 v2, 32, v0
	v_subrev_nc_u32_e32 v0, 28, v2
	v_lshlrev_b64 v[0:1], v0, v[7:8]
	v_sub_nc_u32_e32 v1, 29, v2
	v_and_b32_e32 v0, 7, v0
; %bb.192:                              ;   in Loop: Header=BB306_16 Depth=1
	s_or_b32 exec_lo, exec_lo, s28
	v_mov_b32_e32 v2, 8
	v_lshl_add_u32 v1, v1, 10, 0x2000
	v_lshlrev_b32_e32 v0, 23, v0
	v_lshlrev_b32_sdwa v2, v2, v7 dst_sel:DWORD dst_unused:UNUSED_PAD src0_sel:DWORD src1_sel:WORD_0
	v_and_or_b32 v1, 0x8000, v2, v1
	v_lshl_or_b32 v42, v1, 16, v0
.LBB306_193:                            ;   in Loop: Header=BB306_16 Depth=1
	s_or_b32 exec_lo, exec_lo, s27
.LBB306_194:                            ;   in Loop: Header=BB306_16 Depth=1
	s_or_b32 exec_lo, exec_lo, s26
.LBB306_195:                            ;   in Loop: Header=BB306_16 Depth=1
	s_or_b32 exec_lo, exec_lo, s25
	v_lshrrev_b32_e32 v7, 16, v34
	v_cmp_ne_u16_sdwa s5, v7, v8 src0_sel:BYTE_0 src1_sel:DWORD
	s_and_saveexec_b32 s25, s5
	s_cbranch_execz .LBB306_203
; %bb.196:                              ;   in Loop: Header=BB306_16 Depth=1
	v_cmp_ne_u16_sdwa s5, v7, v68 src0_sel:BYTE_0 src1_sel:DWORD
	v_mov_b32_e32 v41, 0x8000
	s_and_saveexec_b32 s26, s5
	s_cbranch_execz .LBB306_202
; %bb.197:                              ;   in Loop: Header=BB306_16 Depth=1
	v_bfe_u32 v2, v34, 16, 7
	v_mov_b32_e32 v41, 0x7c01
	s_mov_b32 s27, exec_lo
	v_cmpx_ne_u32_e32 0x7f, v2
	s_cbranch_execz .LBB306_201
; %bb.198:                              ;   in Loop: Header=BB306_16 Depth=1
	v_and_b32_e32 v0, 7, v7
	v_lshrrev_b32_e32 v1, 3, v2
	s_mov_b32 s28, exec_lo
	v_cmpx_gt_u32_e32 8, v2
; %bb.199:                              ;   in Loop: Header=BB306_16 Depth=1
	v_ffbh_u32_e32 v0, v0
	v_min_u32_e32 v2, 32, v0
	v_subrev_nc_u32_e32 v0, 28, v2
	v_lshlrev_b64 v[0:1], v0, v[7:8]
	v_sub_nc_u32_e32 v1, 29, v2
	v_and_b32_e32 v0, 7, v0
; %bb.200:                              ;   in Loop: Header=BB306_16 Depth=1
	s_or_b32 exec_lo, exec_lo, s28
	v_lshlrev_b32_e32 v2, 8, v7
	v_lshl_add_u32 v1, v1, 10, 0x2000
	v_lshlrev_b32_e32 v0, 7, v0
	v_and_b32_e32 v2, 0x8000, v2
	v_and_b32_e32 v1, 0xfc00, v1
	v_or3_b32 v41, v2, v1, v0
.LBB306_201:                            ;   in Loop: Header=BB306_16 Depth=1
	s_or_b32 exec_lo, exec_lo, s27
.LBB306_202:                            ;   in Loop: Header=BB306_16 Depth=1
	s_or_b32 exec_lo, exec_lo, s26
.LBB306_203:                            ;   in Loop: Header=BB306_16 Depth=1
	s_or_b32 exec_lo, exec_lo, s25
	v_mov_b32_e32 v44, 0
	v_mov_b32_e32 v43, 0
	s_mov_b32 s25, exec_lo
	v_cmpx_lt_u64_e64 s[20:21], v[33:34]
	s_cbranch_execz .LBB306_211
; %bb.204:                              ;   in Loop: Header=BB306_16 Depth=1
	v_lshrrev_b32_e32 v7, 24, v34
	v_bfrev_b32_e32 v43, 1
	s_mov_b32 s26, exec_lo
	v_cmpx_ne_u32_e32 0x80, v7
	s_cbranch_execz .LBB306_210
; %bb.205:                              ;   in Loop: Header=BB306_16 Depth=1
	v_and_b32_e32 v2, 0x7f, v7
	v_mov_b32_e32 v43, 0x7c010000
	s_mov_b32 s27, exec_lo
	v_cmpx_ne_u32_e32 0x7f, v2
	s_cbranch_execz .LBB306_209
; %bb.206:                              ;   in Loop: Header=BB306_16 Depth=1
	v_and_b32_e32 v0, 7, v7
	v_lshrrev_b32_e32 v1, 3, v2
	s_mov_b32 s28, exec_lo
	v_cmpx_gt_u32_e32 8, v2
; %bb.207:                              ;   in Loop: Header=BB306_16 Depth=1
	v_ffbh_u32_e32 v0, v0
	v_min_u32_e32 v2, 32, v0
	v_subrev_nc_u32_e32 v0, 28, v2
	v_lshlrev_b64 v[0:1], v0, v[7:8]
	v_sub_nc_u32_e32 v1, 29, v2
	v_and_b32_e32 v0, 7, v0
; %bb.208:                              ;   in Loop: Header=BB306_16 Depth=1
	s_or_b32 exec_lo, exec_lo, s28
	v_lshlrev_b32_e32 v2, 8, v7
	v_lshl_add_u32 v1, v1, 10, 0x2000
	v_lshlrev_b32_e32 v0, 23, v0
	v_and_or_b32 v1, 0x8000, v2, v1
	v_lshl_or_b32 v43, v1, 16, v0
.LBB306_209:                            ;   in Loop: Header=BB306_16 Depth=1
	s_or_b32 exec_lo, exec_lo, s27
.LBB306_210:                            ;   in Loop: Header=BB306_16 Depth=1
	s_or_b32 exec_lo, exec_lo, s26
.LBB306_211:                            ;   in Loop: Header=BB306_16 Depth=1
	s_or_b32 exec_lo, exec_lo, s25
	flat_load_dwordx2 v[33:34], v[31:32] offset:520
	s_waitcnt vmcnt(0) lgkmcnt(0)
	v_cmp_ne_u16_sdwa s5, v33, v8 src0_sel:BYTE_0 src1_sel:DWORD
	s_and_saveexec_b32 s25, s5
	s_cbranch_execz .LBB306_219
; %bb.212:                              ;   in Loop: Header=BB306_16 Depth=1
	v_cmp_ne_u16_sdwa s5, v33, v68 src0_sel:BYTE_0 src1_sel:DWORD
	v_mov_b32_e32 v44, 0x8000
	s_and_saveexec_b32 s26, s5
	s_cbranch_execz .LBB306_218
; %bb.213:                              ;   in Loop: Header=BB306_16 Depth=1
	v_and_b32_e32 v2, 0x7f, v33
	v_mov_b32_e32 v44, 0x7c01
	s_mov_b32 s27, exec_lo
	v_cmpx_ne_u32_e32 0x7f, v2
	s_cbranch_execz .LBB306_217
; %bb.214:                              ;   in Loop: Header=BB306_16 Depth=1
	v_and_b32_e32 v0, 7, v33
	v_lshrrev_b32_e32 v1, 3, v2
	s_mov_b32 s28, exec_lo
	v_cmpx_gt_u32_e32 8, v2
; %bb.215:                              ;   in Loop: Header=BB306_16 Depth=1
	v_ffbh_u32_e32 v0, v0
	v_min_u32_e32 v2, 32, v0
	v_subrev_nc_u32_e32 v0, 28, v2
	v_lshlrev_b64 v[0:1], v0, v[33:34]
	v_sub_nc_u32_e32 v1, 29, v2
	v_and_b32_e32 v0, 7, v0
; %bb.216:                              ;   in Loop: Header=BB306_16 Depth=1
	s_or_b32 exec_lo, exec_lo, s28
	v_lshlrev_b32_e32 v2, 8, v33
	v_lshl_add_u32 v1, v1, 10, 0x2000
	v_lshlrev_b32_e32 v0, 7, v0
	v_and_b32_e32 v2, 0x8000, v2
	v_and_b32_e32 v1, 0xfc00, v1
	v_or3_b32 v44, v2, v1, v0
.LBB306_217:                            ;   in Loop: Header=BB306_16 Depth=1
	s_or_b32 exec_lo, exec_lo, s27
.LBB306_218:                            ;   in Loop: Header=BB306_16 Depth=1
	s_or_b32 exec_lo, exec_lo, s26
.LBB306_219:                            ;   in Loop: Header=BB306_16 Depth=1
	s_or_b32 exec_lo, exec_lo, s25
	v_lshrrev_b16 v7, 8, v33
	v_mov_b32_e32 v46, 0
	v_mov_b32_e32 v45, 0
	s_mov_b32 s25, exec_lo
	v_cmpx_ne_u16_e32 0, v7
	s_cbranch_execz .LBB306_227
; %bb.220:                              ;   in Loop: Header=BB306_16 Depth=1
	v_bfrev_b32_e32 v45, 1
	s_mov_b32 s26, exec_lo
	v_cmpx_ne_u16_e32 0x80, v7
	s_cbranch_execz .LBB306_226
; %bb.221:                              ;   in Loop: Header=BB306_16 Depth=1
	v_mov_b32_e32 v0, 0x7f
	v_mov_b32_e32 v45, 0x7c010000
	s_mov_b32 s27, exec_lo
	v_and_b32_sdwa v2, v7, v0 dst_sel:DWORD dst_unused:UNUSED_PAD src0_sel:WORD_0 src1_sel:DWORD
	v_cmpx_ne_u32_e32 0x7f, v2
	s_cbranch_execz .LBB306_225
; %bb.222:                              ;   in Loop: Header=BB306_16 Depth=1
	v_mov_b32_e32 v0, 7
	v_lshrrev_b32_e32 v1, 3, v2
	s_mov_b32 s28, exec_lo
	v_and_b32_sdwa v0, v7, v0 dst_sel:DWORD dst_unused:UNUSED_PAD src0_sel:WORD_0 src1_sel:DWORD
	v_cmpx_gt_u32_e32 8, v2
; %bb.223:                              ;   in Loop: Header=BB306_16 Depth=1
	v_ffbh_u32_e32 v0, v0
	v_min_u32_e32 v2, 32, v0
	v_subrev_nc_u32_e32 v0, 28, v2
	v_lshlrev_b64 v[0:1], v0, v[7:8]
	v_sub_nc_u32_e32 v1, 29, v2
	v_and_b32_e32 v0, 7, v0
; %bb.224:                              ;   in Loop: Header=BB306_16 Depth=1
	s_or_b32 exec_lo, exec_lo, s28
	v_mov_b32_e32 v2, 8
	v_lshl_add_u32 v1, v1, 10, 0x2000
	v_lshlrev_b32_e32 v0, 23, v0
	v_lshlrev_b32_sdwa v2, v2, v7 dst_sel:DWORD dst_unused:UNUSED_PAD src0_sel:DWORD src1_sel:WORD_0
	v_and_or_b32 v1, 0x8000, v2, v1
	v_lshl_or_b32 v45, v1, 16, v0
.LBB306_225:                            ;   in Loop: Header=BB306_16 Depth=1
	s_or_b32 exec_lo, exec_lo, s27
.LBB306_226:                            ;   in Loop: Header=BB306_16 Depth=1
	s_or_b32 exec_lo, exec_lo, s26
.LBB306_227:                            ;   in Loop: Header=BB306_16 Depth=1
	s_or_b32 exec_lo, exec_lo, s25
	v_lshrrev_b32_e32 v7, 16, v33
	v_cmp_ne_u16_sdwa s5, v7, v8 src0_sel:BYTE_0 src1_sel:DWORD
	s_and_saveexec_b32 s25, s5
	s_cbranch_execz .LBB306_235
; %bb.228:                              ;   in Loop: Header=BB306_16 Depth=1
	v_cmp_ne_u16_sdwa s5, v7, v68 src0_sel:BYTE_0 src1_sel:DWORD
	v_mov_b32_e32 v46, 0x8000
	s_and_saveexec_b32 s26, s5
	s_cbranch_execz .LBB306_234
; %bb.229:                              ;   in Loop: Header=BB306_16 Depth=1
	v_bfe_u32 v2, v33, 16, 7
	v_mov_b32_e32 v46, 0x7c01
	s_mov_b32 s27, exec_lo
	v_cmpx_ne_u32_e32 0x7f, v2
	s_cbranch_execz .LBB306_233
; %bb.230:                              ;   in Loop: Header=BB306_16 Depth=1
	v_and_b32_e32 v0, 7, v7
	v_lshrrev_b32_e32 v1, 3, v2
	s_mov_b32 s28, exec_lo
	v_cmpx_gt_u32_e32 8, v2
; %bb.231:                              ;   in Loop: Header=BB306_16 Depth=1
	v_ffbh_u32_e32 v0, v0
	v_min_u32_e32 v2, 32, v0
	v_subrev_nc_u32_e32 v0, 28, v2
	v_lshlrev_b64 v[0:1], v0, v[7:8]
	v_sub_nc_u32_e32 v1, 29, v2
	v_and_b32_e32 v0, 7, v0
; %bb.232:                              ;   in Loop: Header=BB306_16 Depth=1
	s_or_b32 exec_lo, exec_lo, s28
	v_lshlrev_b32_e32 v2, 8, v7
	v_lshl_add_u32 v1, v1, 10, 0x2000
	v_lshlrev_b32_e32 v0, 7, v0
	v_and_b32_e32 v2, 0x8000, v2
	v_and_b32_e32 v1, 0xfc00, v1
	v_or3_b32 v46, v2, v1, v0
.LBB306_233:                            ;   in Loop: Header=BB306_16 Depth=1
	s_or_b32 exec_lo, exec_lo, s27
.LBB306_234:                            ;   in Loop: Header=BB306_16 Depth=1
	s_or_b32 exec_lo, exec_lo, s26
.LBB306_235:                            ;   in Loop: Header=BB306_16 Depth=1
	s_or_b32 exec_lo, exec_lo, s25
	v_mov_b32_e32 v47, 0
	v_mov_b32_e32 v56, 0
	s_mov_b32 s25, exec_lo
	v_cmpx_lt_u32_e32 0xffffff, v33
	s_cbranch_execz .LBB306_243
; %bb.236:                              ;   in Loop: Header=BB306_16 Depth=1
	v_lshrrev_b32_e32 v7, 24, v33
	v_bfrev_b32_e32 v56, 1
	s_mov_b32 s26, exec_lo
	v_cmpx_ne_u32_e32 0x80, v7
	s_cbranch_execz .LBB306_242
; %bb.237:                              ;   in Loop: Header=BB306_16 Depth=1
	v_and_b32_e32 v2, 0x7f, v7
	v_mov_b32_e32 v56, 0x7c010000
	s_mov_b32 s27, exec_lo
	v_cmpx_ne_u32_e32 0x7f, v2
	s_cbranch_execz .LBB306_241
; %bb.238:                              ;   in Loop: Header=BB306_16 Depth=1
	v_and_b32_e32 v0, 7, v7
	v_lshrrev_b32_e32 v1, 3, v2
	s_mov_b32 s28, exec_lo
	v_cmpx_gt_u32_e32 8, v2
; %bb.239:                              ;   in Loop: Header=BB306_16 Depth=1
	v_ffbh_u32_e32 v0, v0
	v_min_u32_e32 v2, 32, v0
	v_subrev_nc_u32_e32 v0, 28, v2
	v_lshlrev_b64 v[0:1], v0, v[7:8]
	v_sub_nc_u32_e32 v1, 29, v2
	v_and_b32_e32 v0, 7, v0
; %bb.240:                              ;   in Loop: Header=BB306_16 Depth=1
	s_or_b32 exec_lo, exec_lo, s28
	v_lshlrev_b32_e32 v2, 8, v7
	v_lshl_add_u32 v1, v1, 10, 0x2000
	v_lshlrev_b32_e32 v0, 23, v0
	v_and_or_b32 v1, 0x8000, v2, v1
	v_lshl_or_b32 v56, v1, 16, v0
.LBB306_241:                            ;   in Loop: Header=BB306_16 Depth=1
	s_or_b32 exec_lo, exec_lo, s27
.LBB306_242:                            ;   in Loop: Header=BB306_16 Depth=1
	s_or_b32 exec_lo, exec_lo, s26
.LBB306_243:                            ;   in Loop: Header=BB306_16 Depth=1
	s_or_b32 exec_lo, exec_lo, s25
	v_mov_b32_e32 v7, v34
	v_cmp_ne_u16_sdwa s5, v34, v8 src0_sel:BYTE_0 src1_sel:DWORD
	s_and_saveexec_b32 s25, s5
	s_cbranch_execz .LBB306_251
; %bb.244:                              ;   in Loop: Header=BB306_16 Depth=1
	v_cmp_ne_u16_sdwa s5, v34, v68 src0_sel:BYTE_0 src1_sel:DWORD
	v_mov_b32_e32 v47, 0x8000
	s_and_saveexec_b32 s26, s5
	s_cbranch_execz .LBB306_250
; %bb.245:                              ;   in Loop: Header=BB306_16 Depth=1
	v_and_b32_e32 v2, 0x7f, v34
	v_mov_b32_e32 v47, 0x7c01
	s_mov_b32 s27, exec_lo
	v_cmpx_ne_u32_e32 0x7f, v2
	s_cbranch_execz .LBB306_249
; %bb.246:                              ;   in Loop: Header=BB306_16 Depth=1
	v_and_b32_e32 v0, 7, v34
	v_lshrrev_b32_e32 v1, 3, v2
	s_mov_b32 s28, exec_lo
	v_cmpx_gt_u32_e32 8, v2
; %bb.247:                              ;   in Loop: Header=BB306_16 Depth=1
	v_ffbh_u32_e32 v0, v0
	v_min_u32_e32 v2, 32, v0
	v_subrev_nc_u32_e32 v0, 28, v2
	v_lshlrev_b64 v[0:1], v0, v[7:8]
	v_sub_nc_u32_e32 v1, 29, v2
	v_and_b32_e32 v0, 7, v0
; %bb.248:                              ;   in Loop: Header=BB306_16 Depth=1
	s_or_b32 exec_lo, exec_lo, s28
	v_lshlrev_b32_e32 v2, 8, v34
	v_lshl_add_u32 v1, v1, 10, 0x2000
	v_lshlrev_b32_e32 v0, 7, v0
	v_and_b32_e32 v2, 0x8000, v2
	v_and_b32_e32 v1, 0xfc00, v1
	v_or3_b32 v47, v2, v1, v0
.LBB306_249:                            ;   in Loop: Header=BB306_16 Depth=1
	s_or_b32 exec_lo, exec_lo, s27
.LBB306_250:                            ;   in Loop: Header=BB306_16 Depth=1
	s_or_b32 exec_lo, exec_lo, s26
.LBB306_251:                            ;   in Loop: Header=BB306_16 Depth=1
	s_or_b32 exec_lo, exec_lo, s25
	v_lshrrev_b16 v7, 8, v7
	v_mov_b32_e32 v57, 0
	v_mov_b32_e32 v58, 0
	s_mov_b32 s25, exec_lo
	v_cmpx_ne_u16_e32 0, v7
	s_cbranch_execz .LBB306_259
; %bb.252:                              ;   in Loop: Header=BB306_16 Depth=1
	v_bfrev_b32_e32 v58, 1
	s_mov_b32 s26, exec_lo
	v_cmpx_ne_u16_e32 0x80, v7
	s_cbranch_execz .LBB306_258
; %bb.253:                              ;   in Loop: Header=BB306_16 Depth=1
	v_mov_b32_e32 v0, 0x7f
	v_mov_b32_e32 v58, 0x7c010000
	s_mov_b32 s27, exec_lo
	v_and_b32_sdwa v2, v7, v0 dst_sel:DWORD dst_unused:UNUSED_PAD src0_sel:WORD_0 src1_sel:DWORD
	v_cmpx_ne_u32_e32 0x7f, v2
	s_cbranch_execz .LBB306_257
; %bb.254:                              ;   in Loop: Header=BB306_16 Depth=1
	v_mov_b32_e32 v0, 7
	v_lshrrev_b32_e32 v1, 3, v2
	s_mov_b32 s28, exec_lo
	v_and_b32_sdwa v0, v7, v0 dst_sel:DWORD dst_unused:UNUSED_PAD src0_sel:WORD_0 src1_sel:DWORD
	v_cmpx_gt_u32_e32 8, v2
; %bb.255:                              ;   in Loop: Header=BB306_16 Depth=1
	v_ffbh_u32_e32 v0, v0
	v_min_u32_e32 v2, 32, v0
	v_subrev_nc_u32_e32 v0, 28, v2
	v_lshlrev_b64 v[0:1], v0, v[7:8]
	v_sub_nc_u32_e32 v1, 29, v2
	v_and_b32_e32 v0, 7, v0
; %bb.256:                              ;   in Loop: Header=BB306_16 Depth=1
	s_or_b32 exec_lo, exec_lo, s28
	v_mov_b32_e32 v2, 8
	v_lshl_add_u32 v1, v1, 10, 0x2000
	v_lshlrev_b32_e32 v0, 23, v0
	v_lshlrev_b32_sdwa v2, v2, v7 dst_sel:DWORD dst_unused:UNUSED_PAD src0_sel:DWORD src1_sel:WORD_0
	v_and_or_b32 v1, 0x8000, v2, v1
	v_lshl_or_b32 v58, v1, 16, v0
.LBB306_257:                            ;   in Loop: Header=BB306_16 Depth=1
	s_or_b32 exec_lo, exec_lo, s27
.LBB306_258:                            ;   in Loop: Header=BB306_16 Depth=1
	s_or_b32 exec_lo, exec_lo, s26
.LBB306_259:                            ;   in Loop: Header=BB306_16 Depth=1
	s_or_b32 exec_lo, exec_lo, s25
	v_lshrrev_b32_e32 v7, 16, v34
	v_cmp_ne_u16_sdwa s5, v7, v8 src0_sel:BYTE_0 src1_sel:DWORD
	s_and_saveexec_b32 s25, s5
	s_cbranch_execz .LBB306_267
; %bb.260:                              ;   in Loop: Header=BB306_16 Depth=1
	v_cmp_ne_u16_sdwa s5, v7, v68 src0_sel:BYTE_0 src1_sel:DWORD
	v_mov_b32_e32 v57, 0x8000
	s_and_saveexec_b32 s26, s5
	s_cbranch_execz .LBB306_266
; %bb.261:                              ;   in Loop: Header=BB306_16 Depth=1
	v_bfe_u32 v2, v34, 16, 7
	v_mov_b32_e32 v57, 0x7c01
	s_mov_b32 s27, exec_lo
	v_cmpx_ne_u32_e32 0x7f, v2
	s_cbranch_execz .LBB306_265
; %bb.262:                              ;   in Loop: Header=BB306_16 Depth=1
	v_and_b32_e32 v0, 7, v7
	v_lshrrev_b32_e32 v1, 3, v2
	s_mov_b32 s28, exec_lo
	v_cmpx_gt_u32_e32 8, v2
; %bb.263:                              ;   in Loop: Header=BB306_16 Depth=1
	v_ffbh_u32_e32 v0, v0
	v_min_u32_e32 v2, 32, v0
	v_subrev_nc_u32_e32 v0, 28, v2
	v_lshlrev_b64 v[0:1], v0, v[7:8]
	v_sub_nc_u32_e32 v1, 29, v2
	v_and_b32_e32 v0, 7, v0
; %bb.264:                              ;   in Loop: Header=BB306_16 Depth=1
	s_or_b32 exec_lo, exec_lo, s28
	v_lshlrev_b32_e32 v2, 8, v7
	v_lshl_add_u32 v1, v1, 10, 0x2000
	v_lshlrev_b32_e32 v0, 7, v0
	v_and_b32_e32 v2, 0x8000, v2
	v_and_b32_e32 v1, 0xfc00, v1
	v_or3_b32 v57, v2, v1, v0
.LBB306_265:                            ;   in Loop: Header=BB306_16 Depth=1
	s_or_b32 exec_lo, exec_lo, s27
.LBB306_266:                            ;   in Loop: Header=BB306_16 Depth=1
	s_or_b32 exec_lo, exec_lo, s26
.LBB306_267:                            ;   in Loop: Header=BB306_16 Depth=1
	s_or_b32 exec_lo, exec_lo, s25
	v_mov_b32_e32 v60, 0
	v_mov_b32_e32 v59, 0
	s_mov_b32 s25, exec_lo
	v_cmpx_lt_u64_e64 s[20:21], v[33:34]
	s_cbranch_execz .LBB306_275
; %bb.268:                              ;   in Loop: Header=BB306_16 Depth=1
	v_lshrrev_b32_e32 v7, 24, v34
	v_bfrev_b32_e32 v59, 1
	s_mov_b32 s26, exec_lo
	v_cmpx_ne_u32_e32 0x80, v7
	s_cbranch_execz .LBB306_274
; %bb.269:                              ;   in Loop: Header=BB306_16 Depth=1
	v_and_b32_e32 v2, 0x7f, v7
	v_mov_b32_e32 v59, 0x7c010000
	s_mov_b32 s27, exec_lo
	v_cmpx_ne_u32_e32 0x7f, v2
	s_cbranch_execz .LBB306_273
; %bb.270:                              ;   in Loop: Header=BB306_16 Depth=1
	v_and_b32_e32 v0, 7, v7
	v_lshrrev_b32_e32 v1, 3, v2
	s_mov_b32 s28, exec_lo
	v_cmpx_gt_u32_e32 8, v2
; %bb.271:                              ;   in Loop: Header=BB306_16 Depth=1
	v_ffbh_u32_e32 v0, v0
	v_min_u32_e32 v2, 32, v0
	v_subrev_nc_u32_e32 v0, 28, v2
	v_lshlrev_b64 v[0:1], v0, v[7:8]
	v_sub_nc_u32_e32 v1, 29, v2
	v_and_b32_e32 v0, 7, v0
; %bb.272:                              ;   in Loop: Header=BB306_16 Depth=1
	s_or_b32 exec_lo, exec_lo, s28
	v_lshlrev_b32_e32 v2, 8, v7
	v_lshl_add_u32 v1, v1, 10, 0x2000
	v_lshlrev_b32_e32 v0, 23, v0
	v_and_or_b32 v1, 0x8000, v2, v1
	v_lshl_or_b32 v59, v1, 16, v0
.LBB306_273:                            ;   in Loop: Header=BB306_16 Depth=1
	s_or_b32 exec_lo, exec_lo, s27
.LBB306_274:                            ;   in Loop: Header=BB306_16 Depth=1
	s_or_b32 exec_lo, exec_lo, s26
.LBB306_275:                            ;   in Loop: Header=BB306_16 Depth=1
	s_or_b32 exec_lo, exec_lo, s25
	flat_load_dwordx2 v[33:34], v[31:32] offset:1024
	s_waitcnt vmcnt(0) lgkmcnt(0)
	v_cmp_ne_u16_sdwa s5, v33, v8 src0_sel:BYTE_0 src1_sel:DWORD
	s_and_saveexec_b32 s25, s5
	s_cbranch_execz .LBB306_283
; %bb.276:                              ;   in Loop: Header=BB306_16 Depth=1
	v_cmp_ne_u16_sdwa s5, v33, v68 src0_sel:BYTE_0 src1_sel:DWORD
	v_mov_b32_e32 v60, 0x8000
	s_and_saveexec_b32 s26, s5
	s_cbranch_execz .LBB306_282
; %bb.277:                              ;   in Loop: Header=BB306_16 Depth=1
	v_and_b32_e32 v2, 0x7f, v33
	v_mov_b32_e32 v60, 0x7c01
	s_mov_b32 s27, exec_lo
	v_cmpx_ne_u32_e32 0x7f, v2
	s_cbranch_execz .LBB306_281
; %bb.278:                              ;   in Loop: Header=BB306_16 Depth=1
	v_and_b32_e32 v0, 7, v33
	v_lshrrev_b32_e32 v1, 3, v2
	s_mov_b32 s28, exec_lo
	v_cmpx_gt_u32_e32 8, v2
; %bb.279:                              ;   in Loop: Header=BB306_16 Depth=1
	v_ffbh_u32_e32 v0, v0
	v_min_u32_e32 v2, 32, v0
	v_subrev_nc_u32_e32 v0, 28, v2
	v_lshlrev_b64 v[0:1], v0, v[33:34]
	v_sub_nc_u32_e32 v1, 29, v2
	v_and_b32_e32 v0, 7, v0
; %bb.280:                              ;   in Loop: Header=BB306_16 Depth=1
	s_or_b32 exec_lo, exec_lo, s28
	v_lshlrev_b32_e32 v2, 8, v33
	v_lshl_add_u32 v1, v1, 10, 0x2000
	v_lshlrev_b32_e32 v0, 7, v0
	v_and_b32_e32 v2, 0x8000, v2
	v_and_b32_e32 v1, 0xfc00, v1
	v_or3_b32 v60, v2, v1, v0
.LBB306_281:                            ;   in Loop: Header=BB306_16 Depth=1
	s_or_b32 exec_lo, exec_lo, s27
.LBB306_282:                            ;   in Loop: Header=BB306_16 Depth=1
	s_or_b32 exec_lo, exec_lo, s26
.LBB306_283:                            ;   in Loop: Header=BB306_16 Depth=1
	s_or_b32 exec_lo, exec_lo, s25
	v_lshrrev_b16 v7, 8, v33
	v_mov_b32_e32 v62, 0
	v_mov_b32_e32 v61, 0
	s_mov_b32 s25, exec_lo
	v_cmpx_ne_u16_e32 0, v7
	s_cbranch_execz .LBB306_291
; %bb.284:                              ;   in Loop: Header=BB306_16 Depth=1
	v_bfrev_b32_e32 v61, 1
	s_mov_b32 s26, exec_lo
	v_cmpx_ne_u16_e32 0x80, v7
	s_cbranch_execz .LBB306_290
; %bb.285:                              ;   in Loop: Header=BB306_16 Depth=1
	v_mov_b32_e32 v0, 0x7f
	v_mov_b32_e32 v61, 0x7c010000
	s_mov_b32 s27, exec_lo
	v_and_b32_sdwa v2, v7, v0 dst_sel:DWORD dst_unused:UNUSED_PAD src0_sel:WORD_0 src1_sel:DWORD
	v_cmpx_ne_u32_e32 0x7f, v2
	s_cbranch_execz .LBB306_289
; %bb.286:                              ;   in Loop: Header=BB306_16 Depth=1
	v_mov_b32_e32 v0, 7
	v_lshrrev_b32_e32 v1, 3, v2
	s_mov_b32 s28, exec_lo
	v_and_b32_sdwa v0, v7, v0 dst_sel:DWORD dst_unused:UNUSED_PAD src0_sel:WORD_0 src1_sel:DWORD
	v_cmpx_gt_u32_e32 8, v2
; %bb.287:                              ;   in Loop: Header=BB306_16 Depth=1
	v_ffbh_u32_e32 v0, v0
	v_min_u32_e32 v2, 32, v0
	v_subrev_nc_u32_e32 v0, 28, v2
	v_lshlrev_b64 v[0:1], v0, v[7:8]
	v_sub_nc_u32_e32 v1, 29, v2
	v_and_b32_e32 v0, 7, v0
; %bb.288:                              ;   in Loop: Header=BB306_16 Depth=1
	s_or_b32 exec_lo, exec_lo, s28
	v_mov_b32_e32 v2, 8
	v_lshl_add_u32 v1, v1, 10, 0x2000
	v_lshlrev_b32_e32 v0, 23, v0
	v_lshlrev_b32_sdwa v2, v2, v7 dst_sel:DWORD dst_unused:UNUSED_PAD src0_sel:DWORD src1_sel:WORD_0
	v_and_or_b32 v1, 0x8000, v2, v1
	v_lshl_or_b32 v61, v1, 16, v0
.LBB306_289:                            ;   in Loop: Header=BB306_16 Depth=1
	s_or_b32 exec_lo, exec_lo, s27
.LBB306_290:                            ;   in Loop: Header=BB306_16 Depth=1
	s_or_b32 exec_lo, exec_lo, s26
.LBB306_291:                            ;   in Loop: Header=BB306_16 Depth=1
	s_or_b32 exec_lo, exec_lo, s25
	v_lshrrev_b32_e32 v7, 16, v33
	v_cmp_ne_u16_sdwa s5, v7, v8 src0_sel:BYTE_0 src1_sel:DWORD
	s_and_saveexec_b32 s25, s5
	s_cbranch_execz .LBB306_299
; %bb.292:                              ;   in Loop: Header=BB306_16 Depth=1
	v_cmp_ne_u16_sdwa s5, v7, v68 src0_sel:BYTE_0 src1_sel:DWORD
	v_mov_b32_e32 v62, 0x8000
	s_and_saveexec_b32 s26, s5
	s_cbranch_execz .LBB306_298
; %bb.293:                              ;   in Loop: Header=BB306_16 Depth=1
	v_bfe_u32 v2, v33, 16, 7
	v_mov_b32_e32 v62, 0x7c01
	s_mov_b32 s27, exec_lo
	v_cmpx_ne_u32_e32 0x7f, v2
	s_cbranch_execz .LBB306_297
; %bb.294:                              ;   in Loop: Header=BB306_16 Depth=1
	v_and_b32_e32 v0, 7, v7
	v_lshrrev_b32_e32 v1, 3, v2
	s_mov_b32 s28, exec_lo
	v_cmpx_gt_u32_e32 8, v2
; %bb.295:                              ;   in Loop: Header=BB306_16 Depth=1
	v_ffbh_u32_e32 v0, v0
	v_min_u32_e32 v2, 32, v0
	v_subrev_nc_u32_e32 v0, 28, v2
	v_lshlrev_b64 v[0:1], v0, v[7:8]
	v_sub_nc_u32_e32 v1, 29, v2
	v_and_b32_e32 v0, 7, v0
; %bb.296:                              ;   in Loop: Header=BB306_16 Depth=1
	s_or_b32 exec_lo, exec_lo, s28
	v_lshlrev_b32_e32 v2, 8, v7
	v_lshl_add_u32 v1, v1, 10, 0x2000
	v_lshlrev_b32_e32 v0, 7, v0
	v_and_b32_e32 v2, 0x8000, v2
	v_and_b32_e32 v1, 0xfc00, v1
	v_or3_b32 v62, v2, v1, v0
.LBB306_297:                            ;   in Loop: Header=BB306_16 Depth=1
	s_or_b32 exec_lo, exec_lo, s27
.LBB306_298:                            ;   in Loop: Header=BB306_16 Depth=1
	s_or_b32 exec_lo, exec_lo, s26
.LBB306_299:                            ;   in Loop: Header=BB306_16 Depth=1
	s_or_b32 exec_lo, exec_lo, s25
	v_mov_b32_e32 v63, 0
	v_mov_b32_e32 v72, 0
	s_mov_b32 s25, exec_lo
	v_cmpx_lt_u32_e32 0xffffff, v33
	s_cbranch_execz .LBB306_307
; %bb.300:                              ;   in Loop: Header=BB306_16 Depth=1
	v_lshrrev_b32_e32 v7, 24, v33
	v_bfrev_b32_e32 v72, 1
	s_mov_b32 s26, exec_lo
	v_cmpx_ne_u32_e32 0x80, v7
	s_cbranch_execz .LBB306_306
; %bb.301:                              ;   in Loop: Header=BB306_16 Depth=1
	v_and_b32_e32 v2, 0x7f, v7
	v_mov_b32_e32 v72, 0x7c010000
	s_mov_b32 s27, exec_lo
	v_cmpx_ne_u32_e32 0x7f, v2
	s_cbranch_execz .LBB306_305
; %bb.302:                              ;   in Loop: Header=BB306_16 Depth=1
	v_and_b32_e32 v0, 7, v7
	v_lshrrev_b32_e32 v1, 3, v2
	s_mov_b32 s28, exec_lo
	v_cmpx_gt_u32_e32 8, v2
; %bb.303:                              ;   in Loop: Header=BB306_16 Depth=1
	v_ffbh_u32_e32 v0, v0
	v_min_u32_e32 v2, 32, v0
	v_subrev_nc_u32_e32 v0, 28, v2
	v_lshlrev_b64 v[0:1], v0, v[7:8]
	v_sub_nc_u32_e32 v1, 29, v2
	v_and_b32_e32 v0, 7, v0
; %bb.304:                              ;   in Loop: Header=BB306_16 Depth=1
	s_or_b32 exec_lo, exec_lo, s28
	v_lshlrev_b32_e32 v2, 8, v7
	v_lshl_add_u32 v1, v1, 10, 0x2000
	v_lshlrev_b32_e32 v0, 23, v0
	v_and_or_b32 v1, 0x8000, v2, v1
	v_lshl_or_b32 v72, v1, 16, v0
.LBB306_305:                            ;   in Loop: Header=BB306_16 Depth=1
	s_or_b32 exec_lo, exec_lo, s27
.LBB306_306:                            ;   in Loop: Header=BB306_16 Depth=1
	s_or_b32 exec_lo, exec_lo, s26
.LBB306_307:                            ;   in Loop: Header=BB306_16 Depth=1
	s_or_b32 exec_lo, exec_lo, s25
	v_mov_b32_e32 v7, v34
	v_cmp_ne_u16_sdwa s5, v34, v8 src0_sel:BYTE_0 src1_sel:DWORD
	s_and_saveexec_b32 s25, s5
	s_cbranch_execz .LBB306_315
; %bb.308:                              ;   in Loop: Header=BB306_16 Depth=1
	v_cmp_ne_u16_sdwa s5, v34, v68 src0_sel:BYTE_0 src1_sel:DWORD
	v_mov_b32_e32 v63, 0x8000
	s_and_saveexec_b32 s26, s5
	s_cbranch_execz .LBB306_314
; %bb.309:                              ;   in Loop: Header=BB306_16 Depth=1
	v_and_b32_e32 v2, 0x7f, v34
	v_mov_b32_e32 v63, 0x7c01
	s_mov_b32 s27, exec_lo
	v_cmpx_ne_u32_e32 0x7f, v2
	s_cbranch_execz .LBB306_313
; %bb.310:                              ;   in Loop: Header=BB306_16 Depth=1
	v_and_b32_e32 v0, 7, v34
	v_lshrrev_b32_e32 v1, 3, v2
	s_mov_b32 s28, exec_lo
	v_cmpx_gt_u32_e32 8, v2
; %bb.311:                              ;   in Loop: Header=BB306_16 Depth=1
	v_ffbh_u32_e32 v0, v0
	v_min_u32_e32 v2, 32, v0
	v_subrev_nc_u32_e32 v0, 28, v2
	v_lshlrev_b64 v[0:1], v0, v[7:8]
	v_sub_nc_u32_e32 v1, 29, v2
	v_and_b32_e32 v0, 7, v0
; %bb.312:                              ;   in Loop: Header=BB306_16 Depth=1
	s_or_b32 exec_lo, exec_lo, s28
	v_lshlrev_b32_e32 v2, 8, v34
	v_lshl_add_u32 v1, v1, 10, 0x2000
	v_lshlrev_b32_e32 v0, 7, v0
	v_and_b32_e32 v2, 0x8000, v2
	v_and_b32_e32 v1, 0xfc00, v1
	v_or3_b32 v63, v2, v1, v0
.LBB306_313:                            ;   in Loop: Header=BB306_16 Depth=1
	s_or_b32 exec_lo, exec_lo, s27
.LBB306_314:                            ;   in Loop: Header=BB306_16 Depth=1
	s_or_b32 exec_lo, exec_lo, s26
.LBB306_315:                            ;   in Loop: Header=BB306_16 Depth=1
	s_or_b32 exec_lo, exec_lo, s25
	v_lshrrev_b16 v7, 8, v7
	v_mov_b32_e32 v73, 0
	v_mov_b32_e32 v74, 0
	s_mov_b32 s25, exec_lo
	v_cmpx_ne_u16_e32 0, v7
	s_cbranch_execz .LBB306_323
; %bb.316:                              ;   in Loop: Header=BB306_16 Depth=1
	v_bfrev_b32_e32 v74, 1
	s_mov_b32 s26, exec_lo
	v_cmpx_ne_u16_e32 0x80, v7
	s_cbranch_execz .LBB306_322
; %bb.317:                              ;   in Loop: Header=BB306_16 Depth=1
	v_mov_b32_e32 v0, 0x7f
	v_mov_b32_e32 v74, 0x7c010000
	s_mov_b32 s27, exec_lo
	v_and_b32_sdwa v2, v7, v0 dst_sel:DWORD dst_unused:UNUSED_PAD src0_sel:WORD_0 src1_sel:DWORD
	v_cmpx_ne_u32_e32 0x7f, v2
	s_cbranch_execz .LBB306_321
; %bb.318:                              ;   in Loop: Header=BB306_16 Depth=1
	v_mov_b32_e32 v0, 7
	v_lshrrev_b32_e32 v1, 3, v2
	s_mov_b32 s28, exec_lo
	v_and_b32_sdwa v0, v7, v0 dst_sel:DWORD dst_unused:UNUSED_PAD src0_sel:WORD_0 src1_sel:DWORD
	v_cmpx_gt_u32_e32 8, v2
; %bb.319:                              ;   in Loop: Header=BB306_16 Depth=1
	v_ffbh_u32_e32 v0, v0
	v_min_u32_e32 v2, 32, v0
	v_subrev_nc_u32_e32 v0, 28, v2
	v_lshlrev_b64 v[0:1], v0, v[7:8]
	v_sub_nc_u32_e32 v1, 29, v2
	v_and_b32_e32 v0, 7, v0
; %bb.320:                              ;   in Loop: Header=BB306_16 Depth=1
	s_or_b32 exec_lo, exec_lo, s28
	v_mov_b32_e32 v2, 8
	v_lshl_add_u32 v1, v1, 10, 0x2000
	v_lshlrev_b32_e32 v0, 23, v0
	v_lshlrev_b32_sdwa v2, v2, v7 dst_sel:DWORD dst_unused:UNUSED_PAD src0_sel:DWORD src1_sel:WORD_0
	v_and_or_b32 v1, 0x8000, v2, v1
	v_lshl_or_b32 v74, v1, 16, v0
.LBB306_321:                            ;   in Loop: Header=BB306_16 Depth=1
	s_or_b32 exec_lo, exec_lo, s27
.LBB306_322:                            ;   in Loop: Header=BB306_16 Depth=1
	s_or_b32 exec_lo, exec_lo, s26
.LBB306_323:                            ;   in Loop: Header=BB306_16 Depth=1
	s_or_b32 exec_lo, exec_lo, s25
	v_lshrrev_b32_e32 v7, 16, v34
	v_cmp_ne_u16_sdwa s5, v7, v8 src0_sel:BYTE_0 src1_sel:DWORD
	s_and_saveexec_b32 s25, s5
	s_cbranch_execz .LBB306_331
; %bb.324:                              ;   in Loop: Header=BB306_16 Depth=1
	v_cmp_ne_u16_sdwa s5, v7, v68 src0_sel:BYTE_0 src1_sel:DWORD
	v_mov_b32_e32 v73, 0x8000
	s_and_saveexec_b32 s26, s5
	s_cbranch_execz .LBB306_330
; %bb.325:                              ;   in Loop: Header=BB306_16 Depth=1
	v_bfe_u32 v2, v34, 16, 7
	v_mov_b32_e32 v73, 0x7c01
	s_mov_b32 s27, exec_lo
	v_cmpx_ne_u32_e32 0x7f, v2
	s_cbranch_execz .LBB306_329
; %bb.326:                              ;   in Loop: Header=BB306_16 Depth=1
	v_and_b32_e32 v0, 7, v7
	v_lshrrev_b32_e32 v1, 3, v2
	s_mov_b32 s28, exec_lo
	v_cmpx_gt_u32_e32 8, v2
; %bb.327:                              ;   in Loop: Header=BB306_16 Depth=1
	v_ffbh_u32_e32 v0, v0
	v_min_u32_e32 v2, 32, v0
	v_subrev_nc_u32_e32 v0, 28, v2
	v_lshlrev_b64 v[0:1], v0, v[7:8]
	v_sub_nc_u32_e32 v1, 29, v2
	v_and_b32_e32 v0, 7, v0
; %bb.328:                              ;   in Loop: Header=BB306_16 Depth=1
	s_or_b32 exec_lo, exec_lo, s28
	v_lshlrev_b32_e32 v2, 8, v7
	v_lshl_add_u32 v1, v1, 10, 0x2000
	v_lshlrev_b32_e32 v0, 7, v0
	v_and_b32_e32 v2, 0x8000, v2
	v_and_b32_e32 v1, 0xfc00, v1
	v_or3_b32 v73, v2, v1, v0
.LBB306_329:                            ;   in Loop: Header=BB306_16 Depth=1
	s_or_b32 exec_lo, exec_lo, s27
.LBB306_330:                            ;   in Loop: Header=BB306_16 Depth=1
	s_or_b32 exec_lo, exec_lo, s26
.LBB306_331:                            ;   in Loop: Header=BB306_16 Depth=1
	s_or_b32 exec_lo, exec_lo, s25
	v_mov_b32_e32 v76, 0
	v_mov_b32_e32 v75, 0
	s_mov_b32 s25, exec_lo
	v_cmpx_lt_u64_e64 s[20:21], v[33:34]
	s_cbranch_execz .LBB306_339
; %bb.332:                              ;   in Loop: Header=BB306_16 Depth=1
	v_lshrrev_b32_e32 v7, 24, v34
	v_bfrev_b32_e32 v75, 1
	s_mov_b32 s26, exec_lo
	v_cmpx_ne_u32_e32 0x80, v7
	s_cbranch_execz .LBB306_338
; %bb.333:                              ;   in Loop: Header=BB306_16 Depth=1
	v_and_b32_e32 v2, 0x7f, v7
	v_mov_b32_e32 v75, 0x7c010000
	s_mov_b32 s27, exec_lo
	v_cmpx_ne_u32_e32 0x7f, v2
	s_cbranch_execz .LBB306_337
; %bb.334:                              ;   in Loop: Header=BB306_16 Depth=1
	v_and_b32_e32 v0, 7, v7
	v_lshrrev_b32_e32 v1, 3, v2
	s_mov_b32 s28, exec_lo
	v_cmpx_gt_u32_e32 8, v2
; %bb.335:                              ;   in Loop: Header=BB306_16 Depth=1
	v_ffbh_u32_e32 v0, v0
	v_min_u32_e32 v2, 32, v0
	v_subrev_nc_u32_e32 v0, 28, v2
	v_lshlrev_b64 v[0:1], v0, v[7:8]
	v_sub_nc_u32_e32 v1, 29, v2
	v_and_b32_e32 v0, 7, v0
; %bb.336:                              ;   in Loop: Header=BB306_16 Depth=1
	s_or_b32 exec_lo, exec_lo, s28
	v_lshlrev_b32_e32 v2, 8, v7
	v_lshl_add_u32 v1, v1, 10, 0x2000
	v_lshlrev_b32_e32 v0, 23, v0
	v_and_or_b32 v1, 0x8000, v2, v1
	v_lshl_or_b32 v75, v1, 16, v0
.LBB306_337:                            ;   in Loop: Header=BB306_16 Depth=1
	s_or_b32 exec_lo, exec_lo, s27
.LBB306_338:                            ;   in Loop: Header=BB306_16 Depth=1
	s_or_b32 exec_lo, exec_lo, s26
.LBB306_339:                            ;   in Loop: Header=BB306_16 Depth=1
	s_or_b32 exec_lo, exec_lo, s25
	flat_load_dwordx2 v[33:34], v[31:32] offset:1032
	s_waitcnt vmcnt(0) lgkmcnt(0)
	v_cmp_ne_u16_sdwa s5, v33, v8 src0_sel:BYTE_0 src1_sel:DWORD
	s_and_saveexec_b32 s25, s5
	s_cbranch_execz .LBB306_347
; %bb.340:                              ;   in Loop: Header=BB306_16 Depth=1
	v_cmp_ne_u16_sdwa s5, v33, v68 src0_sel:BYTE_0 src1_sel:DWORD
	v_mov_b32_e32 v76, 0x8000
	s_and_saveexec_b32 s26, s5
	s_cbranch_execz .LBB306_346
; %bb.341:                              ;   in Loop: Header=BB306_16 Depth=1
	v_and_b32_e32 v2, 0x7f, v33
	v_mov_b32_e32 v76, 0x7c01
	s_mov_b32 s27, exec_lo
	v_cmpx_ne_u32_e32 0x7f, v2
	s_cbranch_execz .LBB306_345
; %bb.342:                              ;   in Loop: Header=BB306_16 Depth=1
	v_and_b32_e32 v0, 7, v33
	v_lshrrev_b32_e32 v1, 3, v2
	s_mov_b32 s28, exec_lo
	v_cmpx_gt_u32_e32 8, v2
; %bb.343:                              ;   in Loop: Header=BB306_16 Depth=1
	v_ffbh_u32_e32 v0, v0
	v_min_u32_e32 v2, 32, v0
	v_subrev_nc_u32_e32 v0, 28, v2
	v_lshlrev_b64 v[0:1], v0, v[33:34]
	v_sub_nc_u32_e32 v1, 29, v2
	v_and_b32_e32 v0, 7, v0
; %bb.344:                              ;   in Loop: Header=BB306_16 Depth=1
	s_or_b32 exec_lo, exec_lo, s28
	v_lshlrev_b32_e32 v2, 8, v33
	v_lshl_add_u32 v1, v1, 10, 0x2000
	v_lshlrev_b32_e32 v0, 7, v0
	v_and_b32_e32 v2, 0x8000, v2
	v_and_b32_e32 v1, 0xfc00, v1
	v_or3_b32 v76, v2, v1, v0
.LBB306_345:                            ;   in Loop: Header=BB306_16 Depth=1
	s_or_b32 exec_lo, exec_lo, s27
.LBB306_346:                            ;   in Loop: Header=BB306_16 Depth=1
	s_or_b32 exec_lo, exec_lo, s26
.LBB306_347:                            ;   in Loop: Header=BB306_16 Depth=1
	s_or_b32 exec_lo, exec_lo, s25
	v_lshrrev_b16 v7, 8, v33
	v_mov_b32_e32 v78, 0
	v_mov_b32_e32 v77, 0
	s_mov_b32 s25, exec_lo
	v_cmpx_ne_u16_e32 0, v7
	s_cbranch_execz .LBB306_355
; %bb.348:                              ;   in Loop: Header=BB306_16 Depth=1
	v_bfrev_b32_e32 v77, 1
	s_mov_b32 s26, exec_lo
	v_cmpx_ne_u16_e32 0x80, v7
	s_cbranch_execz .LBB306_354
; %bb.349:                              ;   in Loop: Header=BB306_16 Depth=1
	v_mov_b32_e32 v0, 0x7f
	v_mov_b32_e32 v77, 0x7c010000
	s_mov_b32 s27, exec_lo
	v_and_b32_sdwa v2, v7, v0 dst_sel:DWORD dst_unused:UNUSED_PAD src0_sel:WORD_0 src1_sel:DWORD
	v_cmpx_ne_u32_e32 0x7f, v2
	s_cbranch_execz .LBB306_353
; %bb.350:                              ;   in Loop: Header=BB306_16 Depth=1
	v_mov_b32_e32 v0, 7
	v_lshrrev_b32_e32 v1, 3, v2
	s_mov_b32 s28, exec_lo
	v_and_b32_sdwa v0, v7, v0 dst_sel:DWORD dst_unused:UNUSED_PAD src0_sel:WORD_0 src1_sel:DWORD
	v_cmpx_gt_u32_e32 8, v2
; %bb.351:                              ;   in Loop: Header=BB306_16 Depth=1
	v_ffbh_u32_e32 v0, v0
	v_min_u32_e32 v2, 32, v0
	v_subrev_nc_u32_e32 v0, 28, v2
	v_lshlrev_b64 v[0:1], v0, v[7:8]
	v_sub_nc_u32_e32 v1, 29, v2
	v_and_b32_e32 v0, 7, v0
; %bb.352:                              ;   in Loop: Header=BB306_16 Depth=1
	s_or_b32 exec_lo, exec_lo, s28
	v_mov_b32_e32 v2, 8
	v_lshl_add_u32 v1, v1, 10, 0x2000
	v_lshlrev_b32_e32 v0, 23, v0
	v_lshlrev_b32_sdwa v2, v2, v7 dst_sel:DWORD dst_unused:UNUSED_PAD src0_sel:DWORD src1_sel:WORD_0
	v_and_or_b32 v1, 0x8000, v2, v1
	v_lshl_or_b32 v77, v1, 16, v0
.LBB306_353:                            ;   in Loop: Header=BB306_16 Depth=1
	s_or_b32 exec_lo, exec_lo, s27
.LBB306_354:                            ;   in Loop: Header=BB306_16 Depth=1
	s_or_b32 exec_lo, exec_lo, s26
.LBB306_355:                            ;   in Loop: Header=BB306_16 Depth=1
	s_or_b32 exec_lo, exec_lo, s25
	v_lshrrev_b32_e32 v7, 16, v33
	v_cmp_ne_u16_sdwa s5, v7, v8 src0_sel:BYTE_0 src1_sel:DWORD
	s_and_saveexec_b32 s25, s5
	s_cbranch_execz .LBB306_363
; %bb.356:                              ;   in Loop: Header=BB306_16 Depth=1
	v_cmp_ne_u16_sdwa s5, v7, v68 src0_sel:BYTE_0 src1_sel:DWORD
	v_mov_b32_e32 v78, 0x8000
	s_and_saveexec_b32 s26, s5
	s_cbranch_execz .LBB306_362
; %bb.357:                              ;   in Loop: Header=BB306_16 Depth=1
	v_bfe_u32 v2, v33, 16, 7
	v_mov_b32_e32 v78, 0x7c01
	s_mov_b32 s27, exec_lo
	v_cmpx_ne_u32_e32 0x7f, v2
	s_cbranch_execz .LBB306_361
; %bb.358:                              ;   in Loop: Header=BB306_16 Depth=1
	v_and_b32_e32 v0, 7, v7
	v_lshrrev_b32_e32 v1, 3, v2
	s_mov_b32 s28, exec_lo
	v_cmpx_gt_u32_e32 8, v2
; %bb.359:                              ;   in Loop: Header=BB306_16 Depth=1
	v_ffbh_u32_e32 v0, v0
	v_min_u32_e32 v2, 32, v0
	v_subrev_nc_u32_e32 v0, 28, v2
	v_lshlrev_b64 v[0:1], v0, v[7:8]
	v_sub_nc_u32_e32 v1, 29, v2
	v_and_b32_e32 v0, 7, v0
; %bb.360:                              ;   in Loop: Header=BB306_16 Depth=1
	s_or_b32 exec_lo, exec_lo, s28
	v_lshlrev_b32_e32 v2, 8, v7
	v_lshl_add_u32 v1, v1, 10, 0x2000
	v_lshlrev_b32_e32 v0, 7, v0
	v_and_b32_e32 v2, 0x8000, v2
	v_and_b32_e32 v1, 0xfc00, v1
	v_or3_b32 v78, v2, v1, v0
.LBB306_361:                            ;   in Loop: Header=BB306_16 Depth=1
	s_or_b32 exec_lo, exec_lo, s27
.LBB306_362:                            ;   in Loop: Header=BB306_16 Depth=1
	s_or_b32 exec_lo, exec_lo, s26
.LBB306_363:                            ;   in Loop: Header=BB306_16 Depth=1
	s_or_b32 exec_lo, exec_lo, s25
	v_mov_b32_e32 v79, 0
	v_mov_b32_e32 v88, 0
	s_mov_b32 s25, exec_lo
	v_cmpx_lt_u32_e32 0xffffff, v33
	s_cbranch_execz .LBB306_371
; %bb.364:                              ;   in Loop: Header=BB306_16 Depth=1
	v_lshrrev_b32_e32 v7, 24, v33
	v_bfrev_b32_e32 v88, 1
	s_mov_b32 s26, exec_lo
	v_cmpx_ne_u32_e32 0x80, v7
	s_cbranch_execz .LBB306_370
; %bb.365:                              ;   in Loop: Header=BB306_16 Depth=1
	v_and_b32_e32 v2, 0x7f, v7
	v_mov_b32_e32 v88, 0x7c010000
	s_mov_b32 s27, exec_lo
	v_cmpx_ne_u32_e32 0x7f, v2
	s_cbranch_execz .LBB306_369
; %bb.366:                              ;   in Loop: Header=BB306_16 Depth=1
	v_and_b32_e32 v0, 7, v7
	v_lshrrev_b32_e32 v1, 3, v2
	s_mov_b32 s28, exec_lo
	v_cmpx_gt_u32_e32 8, v2
; %bb.367:                              ;   in Loop: Header=BB306_16 Depth=1
	v_ffbh_u32_e32 v0, v0
	v_min_u32_e32 v2, 32, v0
	v_subrev_nc_u32_e32 v0, 28, v2
	v_lshlrev_b64 v[0:1], v0, v[7:8]
	v_sub_nc_u32_e32 v1, 29, v2
	v_and_b32_e32 v0, 7, v0
; %bb.368:                              ;   in Loop: Header=BB306_16 Depth=1
	s_or_b32 exec_lo, exec_lo, s28
	v_lshlrev_b32_e32 v2, 8, v7
	v_lshl_add_u32 v1, v1, 10, 0x2000
	v_lshlrev_b32_e32 v0, 23, v0
	v_and_or_b32 v1, 0x8000, v2, v1
	v_lshl_or_b32 v88, v1, 16, v0
.LBB306_369:                            ;   in Loop: Header=BB306_16 Depth=1
	s_or_b32 exec_lo, exec_lo, s27
.LBB306_370:                            ;   in Loop: Header=BB306_16 Depth=1
	s_or_b32 exec_lo, exec_lo, s26
.LBB306_371:                            ;   in Loop: Header=BB306_16 Depth=1
	s_or_b32 exec_lo, exec_lo, s25
	v_mov_b32_e32 v7, v34
	v_cmp_ne_u16_sdwa s5, v34, v8 src0_sel:BYTE_0 src1_sel:DWORD
	s_and_saveexec_b32 s25, s5
	s_cbranch_execz .LBB306_379
; %bb.372:                              ;   in Loop: Header=BB306_16 Depth=1
	v_cmp_ne_u16_sdwa s5, v34, v68 src0_sel:BYTE_0 src1_sel:DWORD
	v_mov_b32_e32 v79, 0x8000
	s_and_saveexec_b32 s26, s5
	s_cbranch_execz .LBB306_378
; %bb.373:                              ;   in Loop: Header=BB306_16 Depth=1
	v_and_b32_e32 v2, 0x7f, v34
	v_mov_b32_e32 v79, 0x7c01
	s_mov_b32 s27, exec_lo
	v_cmpx_ne_u32_e32 0x7f, v2
	s_cbranch_execz .LBB306_377
; %bb.374:                              ;   in Loop: Header=BB306_16 Depth=1
	v_and_b32_e32 v0, 7, v34
	v_lshrrev_b32_e32 v1, 3, v2
	s_mov_b32 s28, exec_lo
	v_cmpx_gt_u32_e32 8, v2
; %bb.375:                              ;   in Loop: Header=BB306_16 Depth=1
	v_ffbh_u32_e32 v0, v0
	v_min_u32_e32 v2, 32, v0
	v_subrev_nc_u32_e32 v0, 28, v2
	v_lshlrev_b64 v[0:1], v0, v[7:8]
	v_sub_nc_u32_e32 v1, 29, v2
	v_and_b32_e32 v0, 7, v0
; %bb.376:                              ;   in Loop: Header=BB306_16 Depth=1
	s_or_b32 exec_lo, exec_lo, s28
	v_lshlrev_b32_e32 v2, 8, v34
	v_lshl_add_u32 v1, v1, 10, 0x2000
	v_lshlrev_b32_e32 v0, 7, v0
	v_and_b32_e32 v2, 0x8000, v2
	v_and_b32_e32 v1, 0xfc00, v1
	v_or3_b32 v79, v2, v1, v0
.LBB306_377:                            ;   in Loop: Header=BB306_16 Depth=1
	s_or_b32 exec_lo, exec_lo, s27
.LBB306_378:                            ;   in Loop: Header=BB306_16 Depth=1
	s_or_b32 exec_lo, exec_lo, s26
.LBB306_379:                            ;   in Loop: Header=BB306_16 Depth=1
	s_or_b32 exec_lo, exec_lo, s25
	v_lshrrev_b16 v7, 8, v7
	v_mov_b32_e32 v91, 0
	v_mov_b32_e32 v92, 0
	s_mov_b32 s25, exec_lo
	v_cmpx_ne_u16_e32 0, v7
	s_cbranch_execz .LBB306_387
; %bb.380:                              ;   in Loop: Header=BB306_16 Depth=1
	v_bfrev_b32_e32 v92, 1
	s_mov_b32 s26, exec_lo
	v_cmpx_ne_u16_e32 0x80, v7
	s_cbranch_execz .LBB306_386
; %bb.381:                              ;   in Loop: Header=BB306_16 Depth=1
	v_mov_b32_e32 v0, 0x7f
	v_mov_b32_e32 v92, 0x7c010000
	s_mov_b32 s27, exec_lo
	v_and_b32_sdwa v2, v7, v0 dst_sel:DWORD dst_unused:UNUSED_PAD src0_sel:WORD_0 src1_sel:DWORD
	v_cmpx_ne_u32_e32 0x7f, v2
	s_cbranch_execz .LBB306_385
; %bb.382:                              ;   in Loop: Header=BB306_16 Depth=1
	v_mov_b32_e32 v0, 7
	v_lshrrev_b32_e32 v1, 3, v2
	s_mov_b32 s28, exec_lo
	v_and_b32_sdwa v0, v7, v0 dst_sel:DWORD dst_unused:UNUSED_PAD src0_sel:WORD_0 src1_sel:DWORD
	v_cmpx_gt_u32_e32 8, v2
; %bb.383:                              ;   in Loop: Header=BB306_16 Depth=1
	v_ffbh_u32_e32 v0, v0
	v_min_u32_e32 v2, 32, v0
	v_subrev_nc_u32_e32 v0, 28, v2
	v_lshlrev_b64 v[0:1], v0, v[7:8]
	v_sub_nc_u32_e32 v1, 29, v2
	v_and_b32_e32 v0, 7, v0
; %bb.384:                              ;   in Loop: Header=BB306_16 Depth=1
	s_or_b32 exec_lo, exec_lo, s28
	v_mov_b32_e32 v2, 8
	v_lshl_add_u32 v1, v1, 10, 0x2000
	v_lshlrev_b32_e32 v0, 23, v0
	v_lshlrev_b32_sdwa v2, v2, v7 dst_sel:DWORD dst_unused:UNUSED_PAD src0_sel:DWORD src1_sel:WORD_0
	v_and_or_b32 v1, 0x8000, v2, v1
	v_lshl_or_b32 v92, v1, 16, v0
.LBB306_385:                            ;   in Loop: Header=BB306_16 Depth=1
	s_or_b32 exec_lo, exec_lo, s27
.LBB306_386:                            ;   in Loop: Header=BB306_16 Depth=1
	s_or_b32 exec_lo, exec_lo, s26
.LBB306_387:                            ;   in Loop: Header=BB306_16 Depth=1
	s_or_b32 exec_lo, exec_lo, s25
	v_lshrrev_b32_e32 v7, 16, v34
	v_cmp_ne_u16_sdwa s5, v7, v8 src0_sel:BYTE_0 src1_sel:DWORD
	s_and_saveexec_b32 s25, s5
	s_cbranch_execz .LBB306_395
; %bb.388:                              ;   in Loop: Header=BB306_16 Depth=1
	v_cmp_ne_u16_sdwa s5, v7, v68 src0_sel:BYTE_0 src1_sel:DWORD
	v_mov_b32_e32 v91, 0x8000
	s_and_saveexec_b32 s26, s5
	s_cbranch_execz .LBB306_394
; %bb.389:                              ;   in Loop: Header=BB306_16 Depth=1
	v_bfe_u32 v2, v34, 16, 7
	v_mov_b32_e32 v91, 0x7c01
	s_mov_b32 s27, exec_lo
	v_cmpx_ne_u32_e32 0x7f, v2
	s_cbranch_execz .LBB306_393
; %bb.390:                              ;   in Loop: Header=BB306_16 Depth=1
	v_and_b32_e32 v0, 7, v7
	v_lshrrev_b32_e32 v1, 3, v2
	s_mov_b32 s28, exec_lo
	v_cmpx_gt_u32_e32 8, v2
; %bb.391:                              ;   in Loop: Header=BB306_16 Depth=1
	v_ffbh_u32_e32 v0, v0
	v_min_u32_e32 v2, 32, v0
	v_subrev_nc_u32_e32 v0, 28, v2
	v_lshlrev_b64 v[0:1], v0, v[7:8]
	v_sub_nc_u32_e32 v1, 29, v2
	v_and_b32_e32 v0, 7, v0
; %bb.392:                              ;   in Loop: Header=BB306_16 Depth=1
	s_or_b32 exec_lo, exec_lo, s28
	v_lshlrev_b32_e32 v2, 8, v7
	v_lshl_add_u32 v1, v1, 10, 0x2000
	v_lshlrev_b32_e32 v0, 7, v0
	v_and_b32_e32 v2, 0x8000, v2
	v_and_b32_e32 v1, 0xfc00, v1
	v_or3_b32 v91, v2, v1, v0
.LBB306_393:                            ;   in Loop: Header=BB306_16 Depth=1
	s_or_b32 exec_lo, exec_lo, s27
.LBB306_394:                            ;   in Loop: Header=BB306_16 Depth=1
	s_or_b32 exec_lo, exec_lo, s26
.LBB306_395:                            ;   in Loop: Header=BB306_16 Depth=1
	s_or_b32 exec_lo, exec_lo, s25
	v_mov_b32_e32 v104, 0
	v_mov_b32_e32 v95, 0
	s_mov_b32 s25, exec_lo
	v_cmpx_lt_u64_e64 s[20:21], v[33:34]
	s_cbranch_execz .LBB306_403
; %bb.396:                              ;   in Loop: Header=BB306_16 Depth=1
	v_lshrrev_b32_e32 v7, 24, v34
	v_bfrev_b32_e32 v95, 1
	s_mov_b32 s26, exec_lo
	v_cmpx_ne_u32_e32 0x80, v7
	s_cbranch_execz .LBB306_402
; %bb.397:                              ;   in Loop: Header=BB306_16 Depth=1
	v_and_b32_e32 v2, 0x7f, v7
	v_mov_b32_e32 v95, 0x7c010000
	s_mov_b32 s27, exec_lo
	v_cmpx_ne_u32_e32 0x7f, v2
	s_cbranch_execz .LBB306_401
; %bb.398:                              ;   in Loop: Header=BB306_16 Depth=1
	v_and_b32_e32 v0, 7, v7
	v_lshrrev_b32_e32 v1, 3, v2
	s_mov_b32 s28, exec_lo
	v_cmpx_gt_u32_e32 8, v2
; %bb.399:                              ;   in Loop: Header=BB306_16 Depth=1
	v_ffbh_u32_e32 v0, v0
	v_min_u32_e32 v2, 32, v0
	v_subrev_nc_u32_e32 v0, 28, v2
	v_lshlrev_b64 v[0:1], v0, v[7:8]
	v_sub_nc_u32_e32 v1, 29, v2
	v_and_b32_e32 v0, 7, v0
; %bb.400:                              ;   in Loop: Header=BB306_16 Depth=1
	s_or_b32 exec_lo, exec_lo, s28
	v_lshlrev_b32_e32 v2, 8, v7
	v_lshl_add_u32 v1, v1, 10, 0x2000
	v_lshlrev_b32_e32 v0, 23, v0
	v_and_or_b32 v1, 0x8000, v2, v1
	v_lshl_or_b32 v95, v1, 16, v0
.LBB306_401:                            ;   in Loop: Header=BB306_16 Depth=1
	s_or_b32 exec_lo, exec_lo, s27
.LBB306_402:                            ;   in Loop: Header=BB306_16 Depth=1
	s_or_b32 exec_lo, exec_lo, s26
.LBB306_403:                            ;   in Loop: Header=BB306_16 Depth=1
	s_or_b32 exec_lo, exec_lo, s25
	flat_load_dwordx2 v[33:34], v[31:32] offset:1536
	s_waitcnt vmcnt(0) lgkmcnt(0)
	v_cmp_ne_u16_sdwa s5, v33, v8 src0_sel:BYTE_0 src1_sel:DWORD
	s_and_saveexec_b32 s25, s5
	s_cbranch_execz .LBB306_411
; %bb.404:                              ;   in Loop: Header=BB306_16 Depth=1
	v_cmp_ne_u16_sdwa s5, v33, v68 src0_sel:BYTE_0 src1_sel:DWORD
	v_mov_b32_e32 v104, 0x8000
	s_and_saveexec_b32 s26, s5
	s_cbranch_execz .LBB306_410
; %bb.405:                              ;   in Loop: Header=BB306_16 Depth=1
	v_and_b32_e32 v2, 0x7f, v33
	v_mov_b32_e32 v104, 0x7c01
	s_mov_b32 s27, exec_lo
	v_cmpx_ne_u32_e32 0x7f, v2
	s_cbranch_execz .LBB306_409
; %bb.406:                              ;   in Loop: Header=BB306_16 Depth=1
	v_and_b32_e32 v0, 7, v33
	v_lshrrev_b32_e32 v1, 3, v2
	s_mov_b32 s28, exec_lo
	v_cmpx_gt_u32_e32 8, v2
; %bb.407:                              ;   in Loop: Header=BB306_16 Depth=1
	v_ffbh_u32_e32 v0, v0
	v_min_u32_e32 v2, 32, v0
	v_subrev_nc_u32_e32 v0, 28, v2
	v_lshlrev_b64 v[0:1], v0, v[33:34]
	v_sub_nc_u32_e32 v1, 29, v2
	v_and_b32_e32 v0, 7, v0
; %bb.408:                              ;   in Loop: Header=BB306_16 Depth=1
	s_or_b32 exec_lo, exec_lo, s28
	v_lshlrev_b32_e32 v2, 8, v33
	v_lshl_add_u32 v1, v1, 10, 0x2000
	v_lshlrev_b32_e32 v0, 7, v0
	v_and_b32_e32 v2, 0x8000, v2
	v_and_b32_e32 v1, 0xfc00, v1
	v_or3_b32 v104, v2, v1, v0
.LBB306_409:                            ;   in Loop: Header=BB306_16 Depth=1
	s_or_b32 exec_lo, exec_lo, s27
.LBB306_410:                            ;   in Loop: Header=BB306_16 Depth=1
	s_or_b32 exec_lo, exec_lo, s26
.LBB306_411:                            ;   in Loop: Header=BB306_16 Depth=1
	s_or_b32 exec_lo, exec_lo, s25
	v_lshrrev_b16 v7, 8, v33
	v_mov_b32_e32 v110, 0
	v_mov_b32_e32 v109, 0
	s_mov_b32 s25, exec_lo
	v_cmpx_ne_u16_e32 0, v7
	s_cbranch_execz .LBB306_419
; %bb.412:                              ;   in Loop: Header=BB306_16 Depth=1
	v_bfrev_b32_e32 v109, 1
	s_mov_b32 s26, exec_lo
	v_cmpx_ne_u16_e32 0x80, v7
	s_cbranch_execz .LBB306_418
; %bb.413:                              ;   in Loop: Header=BB306_16 Depth=1
	v_mov_b32_e32 v0, 0x7f
	v_mov_b32_e32 v109, 0x7c010000
	s_mov_b32 s27, exec_lo
	v_and_b32_sdwa v2, v7, v0 dst_sel:DWORD dst_unused:UNUSED_PAD src0_sel:WORD_0 src1_sel:DWORD
	v_cmpx_ne_u32_e32 0x7f, v2
	s_cbranch_execz .LBB306_417
; %bb.414:                              ;   in Loop: Header=BB306_16 Depth=1
	v_mov_b32_e32 v0, 7
	v_lshrrev_b32_e32 v1, 3, v2
	s_mov_b32 s28, exec_lo
	v_and_b32_sdwa v0, v7, v0 dst_sel:DWORD dst_unused:UNUSED_PAD src0_sel:WORD_0 src1_sel:DWORD
	v_cmpx_gt_u32_e32 8, v2
; %bb.415:                              ;   in Loop: Header=BB306_16 Depth=1
	v_ffbh_u32_e32 v0, v0
	v_min_u32_e32 v2, 32, v0
	v_subrev_nc_u32_e32 v0, 28, v2
	v_lshlrev_b64 v[0:1], v0, v[7:8]
	v_sub_nc_u32_e32 v1, 29, v2
	v_and_b32_e32 v0, 7, v0
; %bb.416:                              ;   in Loop: Header=BB306_16 Depth=1
	s_or_b32 exec_lo, exec_lo, s28
	v_mov_b32_e32 v2, 8
	v_lshl_add_u32 v1, v1, 10, 0x2000
	v_lshlrev_b32_e32 v0, 23, v0
	v_lshlrev_b32_sdwa v2, v2, v7 dst_sel:DWORD dst_unused:UNUSED_PAD src0_sel:DWORD src1_sel:WORD_0
	v_and_or_b32 v1, 0x8000, v2, v1
	v_lshl_or_b32 v109, v1, 16, v0
.LBB306_417:                            ;   in Loop: Header=BB306_16 Depth=1
	s_or_b32 exec_lo, exec_lo, s27
.LBB306_418:                            ;   in Loop: Header=BB306_16 Depth=1
	s_or_b32 exec_lo, exec_lo, s26
.LBB306_419:                            ;   in Loop: Header=BB306_16 Depth=1
	s_or_b32 exec_lo, exec_lo, s25
	v_lshrrev_b32_e32 v7, 16, v33
	v_cmp_ne_u16_sdwa s5, v7, v8 src0_sel:BYTE_0 src1_sel:DWORD
	s_and_saveexec_b32 s25, s5
	s_cbranch_execz .LBB306_427
; %bb.420:                              ;   in Loop: Header=BB306_16 Depth=1
	v_cmp_ne_u16_sdwa s5, v7, v68 src0_sel:BYTE_0 src1_sel:DWORD
	v_mov_b32_e32 v110, 0x8000
	s_and_saveexec_b32 s26, s5
	s_cbranch_execz .LBB306_426
; %bb.421:                              ;   in Loop: Header=BB306_16 Depth=1
	v_bfe_u32 v2, v33, 16, 7
	v_mov_b32_e32 v110, 0x7c01
	s_mov_b32 s27, exec_lo
	v_cmpx_ne_u32_e32 0x7f, v2
	s_cbranch_execz .LBB306_425
; %bb.422:                              ;   in Loop: Header=BB306_16 Depth=1
	v_and_b32_e32 v0, 7, v7
	v_lshrrev_b32_e32 v1, 3, v2
	s_mov_b32 s28, exec_lo
	v_cmpx_gt_u32_e32 8, v2
; %bb.423:                              ;   in Loop: Header=BB306_16 Depth=1
	v_ffbh_u32_e32 v0, v0
	v_min_u32_e32 v2, 32, v0
	v_subrev_nc_u32_e32 v0, 28, v2
	v_lshlrev_b64 v[0:1], v0, v[7:8]
	v_sub_nc_u32_e32 v1, 29, v2
	v_and_b32_e32 v0, 7, v0
; %bb.424:                              ;   in Loop: Header=BB306_16 Depth=1
	s_or_b32 exec_lo, exec_lo, s28
	v_lshlrev_b32_e32 v2, 8, v7
	v_lshl_add_u32 v1, v1, 10, 0x2000
	v_lshlrev_b32_e32 v0, 7, v0
	v_and_b32_e32 v2, 0x8000, v2
	v_and_b32_e32 v1, 0xfc00, v1
	v_or3_b32 v110, v2, v1, v0
.LBB306_425:                            ;   in Loop: Header=BB306_16 Depth=1
	s_or_b32 exec_lo, exec_lo, s27
.LBB306_426:                            ;   in Loop: Header=BB306_16 Depth=1
	s_or_b32 exec_lo, exec_lo, s26
.LBB306_427:                            ;   in Loop: Header=BB306_16 Depth=1
	s_or_b32 exec_lo, exec_lo, s25
	v_mov_b32_e32 v122, 0
	v_mov_b32_e32 v124, 0
	s_mov_b32 s25, exec_lo
	v_cmpx_lt_u32_e32 0xffffff, v33
	s_cbranch_execz .LBB306_435
; %bb.428:                              ;   in Loop: Header=BB306_16 Depth=1
	v_lshrrev_b32_e32 v7, 24, v33
	v_bfrev_b32_e32 v124, 1
	s_mov_b32 s26, exec_lo
	v_cmpx_ne_u32_e32 0x80, v7
	s_cbranch_execz .LBB306_434
; %bb.429:                              ;   in Loop: Header=BB306_16 Depth=1
	v_and_b32_e32 v2, 0x7f, v7
	v_mov_b32_e32 v124, 0x7c010000
	s_mov_b32 s27, exec_lo
	v_cmpx_ne_u32_e32 0x7f, v2
	s_cbranch_execz .LBB306_433
; %bb.430:                              ;   in Loop: Header=BB306_16 Depth=1
	v_and_b32_e32 v0, 7, v7
	v_lshrrev_b32_e32 v1, 3, v2
	s_mov_b32 s28, exec_lo
	v_cmpx_gt_u32_e32 8, v2
; %bb.431:                              ;   in Loop: Header=BB306_16 Depth=1
	v_ffbh_u32_e32 v0, v0
	v_min_u32_e32 v2, 32, v0
	v_subrev_nc_u32_e32 v0, 28, v2
	v_lshlrev_b64 v[0:1], v0, v[7:8]
	v_sub_nc_u32_e32 v1, 29, v2
	v_and_b32_e32 v0, 7, v0
; %bb.432:                              ;   in Loop: Header=BB306_16 Depth=1
	s_or_b32 exec_lo, exec_lo, s28
	v_lshlrev_b32_e32 v2, 8, v7
	v_lshl_add_u32 v1, v1, 10, 0x2000
	v_lshlrev_b32_e32 v0, 23, v0
	v_and_or_b32 v1, 0x8000, v2, v1
	v_lshl_or_b32 v124, v1, 16, v0
.LBB306_433:                            ;   in Loop: Header=BB306_16 Depth=1
	s_or_b32 exec_lo, exec_lo, s27
.LBB306_434:                            ;   in Loop: Header=BB306_16 Depth=1
	s_or_b32 exec_lo, exec_lo, s26
.LBB306_435:                            ;   in Loop: Header=BB306_16 Depth=1
	s_or_b32 exec_lo, exec_lo, s25
	v_mov_b32_e32 v7, v34
	v_cmp_ne_u16_sdwa s5, v34, v8 src0_sel:BYTE_0 src1_sel:DWORD
	s_and_saveexec_b32 s25, s5
	s_cbranch_execz .LBB306_443
; %bb.436:                              ;   in Loop: Header=BB306_16 Depth=1
	v_cmp_ne_u16_sdwa s5, v34, v68 src0_sel:BYTE_0 src1_sel:DWORD
	v_mov_b32_e32 v122, 0x8000
	s_and_saveexec_b32 s26, s5
	s_cbranch_execz .LBB306_442
; %bb.437:                              ;   in Loop: Header=BB306_16 Depth=1
	v_and_b32_e32 v2, 0x7f, v34
	v_mov_b32_e32 v122, 0x7c01
	s_mov_b32 s27, exec_lo
	v_cmpx_ne_u32_e32 0x7f, v2
	s_cbranch_execz .LBB306_441
; %bb.438:                              ;   in Loop: Header=BB306_16 Depth=1
	v_and_b32_e32 v0, 7, v34
	v_lshrrev_b32_e32 v1, 3, v2
	s_mov_b32 s28, exec_lo
	v_cmpx_gt_u32_e32 8, v2
; %bb.439:                              ;   in Loop: Header=BB306_16 Depth=1
	v_ffbh_u32_e32 v0, v0
	v_min_u32_e32 v2, 32, v0
	v_subrev_nc_u32_e32 v0, 28, v2
	v_lshlrev_b64 v[0:1], v0, v[7:8]
	v_sub_nc_u32_e32 v1, 29, v2
	v_and_b32_e32 v0, 7, v0
; %bb.440:                              ;   in Loop: Header=BB306_16 Depth=1
	s_or_b32 exec_lo, exec_lo, s28
	v_lshlrev_b32_e32 v2, 8, v34
	v_lshl_add_u32 v1, v1, 10, 0x2000
	v_lshlrev_b32_e32 v0, 7, v0
	v_and_b32_e32 v2, 0x8000, v2
	v_and_b32_e32 v1, 0xfc00, v1
	v_or3_b32 v122, v2, v1, v0
.LBB306_441:                            ;   in Loop: Header=BB306_16 Depth=1
	s_or_b32 exec_lo, exec_lo, s27
.LBB306_442:                            ;   in Loop: Header=BB306_16 Depth=1
	s_or_b32 exec_lo, exec_lo, s26
.LBB306_443:                            ;   in Loop: Header=BB306_16 Depth=1
	s_or_b32 exec_lo, exec_lo, s25
	v_lshrrev_b16 v7, 8, v7
	v_mov_b32_e32 v64, 0
	v_mov_b32_e32 v37, 0
	s_mov_b32 s25, exec_lo
	v_cmpx_ne_u16_e32 0, v7
	s_cbranch_execz .LBB306_451
; %bb.444:                              ;   in Loop: Header=BB306_16 Depth=1
	v_bfrev_b32_e32 v37, 1
	s_mov_b32 s26, exec_lo
	v_cmpx_ne_u16_e32 0x80, v7
	s_cbranch_execz .LBB306_450
; %bb.445:                              ;   in Loop: Header=BB306_16 Depth=1
	v_mov_b32_e32 v0, 0x7f
	v_mov_b32_e32 v37, 0x7c010000
	s_mov_b32 s27, exec_lo
	v_and_b32_sdwa v2, v7, v0 dst_sel:DWORD dst_unused:UNUSED_PAD src0_sel:WORD_0 src1_sel:DWORD
	v_cmpx_ne_u32_e32 0x7f, v2
	s_cbranch_execz .LBB306_449
; %bb.446:                              ;   in Loop: Header=BB306_16 Depth=1
	v_mov_b32_e32 v0, 7
	v_lshrrev_b32_e32 v1, 3, v2
	s_mov_b32 s28, exec_lo
	v_and_b32_sdwa v0, v7, v0 dst_sel:DWORD dst_unused:UNUSED_PAD src0_sel:WORD_0 src1_sel:DWORD
	v_cmpx_gt_u32_e32 8, v2
; %bb.447:                              ;   in Loop: Header=BB306_16 Depth=1
	v_ffbh_u32_e32 v0, v0
	v_min_u32_e32 v2, 32, v0
	v_subrev_nc_u32_e32 v0, 28, v2
	v_lshlrev_b64 v[0:1], v0, v[7:8]
	v_sub_nc_u32_e32 v1, 29, v2
	v_and_b32_e32 v0, 7, v0
; %bb.448:                              ;   in Loop: Header=BB306_16 Depth=1
	s_or_b32 exec_lo, exec_lo, s28
	v_mov_b32_e32 v2, 8
	v_lshl_add_u32 v1, v1, 10, 0x2000
	v_lshlrev_b32_e32 v0, 23, v0
	v_lshlrev_b32_sdwa v2, v2, v7 dst_sel:DWORD dst_unused:UNUSED_PAD src0_sel:DWORD src1_sel:WORD_0
	v_and_or_b32 v1, 0x8000, v2, v1
	v_lshl_or_b32 v37, v1, 16, v0
.LBB306_449:                            ;   in Loop: Header=BB306_16 Depth=1
	s_or_b32 exec_lo, exec_lo, s27
.LBB306_450:                            ;   in Loop: Header=BB306_16 Depth=1
	s_or_b32 exec_lo, exec_lo, s26
.LBB306_451:                            ;   in Loop: Header=BB306_16 Depth=1
	s_or_b32 exec_lo, exec_lo, s25
	v_lshrrev_b32_e32 v7, 16, v34
	v_cmp_ne_u16_sdwa s5, v7, v8 src0_sel:BYTE_0 src1_sel:DWORD
	s_and_saveexec_b32 s25, s5
	s_cbranch_execz .LBB306_459
; %bb.452:                              ;   in Loop: Header=BB306_16 Depth=1
	v_cmp_ne_u16_sdwa s5, v7, v68 src0_sel:BYTE_0 src1_sel:DWORD
	v_mov_b32_e32 v64, 0x8000
	s_and_saveexec_b32 s26, s5
	s_cbranch_execz .LBB306_458
; %bb.453:                              ;   in Loop: Header=BB306_16 Depth=1
	v_bfe_u32 v2, v34, 16, 7
	v_mov_b32_e32 v64, 0x7c01
	s_mov_b32 s27, exec_lo
	v_cmpx_ne_u32_e32 0x7f, v2
	s_cbranch_execz .LBB306_457
; %bb.454:                              ;   in Loop: Header=BB306_16 Depth=1
	v_and_b32_e32 v0, 7, v7
	v_lshrrev_b32_e32 v1, 3, v2
	s_mov_b32 s28, exec_lo
	v_cmpx_gt_u32_e32 8, v2
; %bb.455:                              ;   in Loop: Header=BB306_16 Depth=1
	v_ffbh_u32_e32 v0, v0
	v_min_u32_e32 v2, 32, v0
	v_subrev_nc_u32_e32 v0, 28, v2
	v_lshlrev_b64 v[0:1], v0, v[7:8]
	v_sub_nc_u32_e32 v1, 29, v2
	v_and_b32_e32 v0, 7, v0
; %bb.456:                              ;   in Loop: Header=BB306_16 Depth=1
	s_or_b32 exec_lo, exec_lo, s28
	v_lshlrev_b32_e32 v2, 8, v7
	v_lshl_add_u32 v1, v1, 10, 0x2000
	v_lshlrev_b32_e32 v0, 7, v0
	v_and_b32_e32 v2, 0x8000, v2
	v_and_b32_e32 v1, 0xfc00, v1
	v_or3_b32 v64, v2, v1, v0
.LBB306_457:                            ;   in Loop: Header=BB306_16 Depth=1
	s_or_b32 exec_lo, exec_lo, s27
.LBB306_458:                            ;   in Loop: Header=BB306_16 Depth=1
	s_or_b32 exec_lo, exec_lo, s26
.LBB306_459:                            ;   in Loop: Header=BB306_16 Depth=1
	s_or_b32 exec_lo, exec_lo, s25
	v_mov_b32_e32 v52, 0
	v_mov_b32_e32 v54, 0
	s_mov_b32 s25, exec_lo
	v_cmpx_lt_u64_e64 s[20:21], v[33:34]
	s_cbranch_execz .LBB306_467
; %bb.460:                              ;   in Loop: Header=BB306_16 Depth=1
	v_lshrrev_b32_e32 v7, 24, v34
	v_bfrev_b32_e32 v54, 1
	s_mov_b32 s26, exec_lo
	v_cmpx_ne_u32_e32 0x80, v7
	s_cbranch_execz .LBB306_466
; %bb.461:                              ;   in Loop: Header=BB306_16 Depth=1
	v_and_b32_e32 v2, 0x7f, v7
	v_mov_b32_e32 v54, 0x7c010000
	s_mov_b32 s27, exec_lo
	v_cmpx_ne_u32_e32 0x7f, v2
	s_cbranch_execz .LBB306_465
; %bb.462:                              ;   in Loop: Header=BB306_16 Depth=1
	v_and_b32_e32 v0, 7, v7
	v_lshrrev_b32_e32 v1, 3, v2
	s_mov_b32 s28, exec_lo
	v_cmpx_gt_u32_e32 8, v2
; %bb.463:                              ;   in Loop: Header=BB306_16 Depth=1
	v_ffbh_u32_e32 v0, v0
	v_min_u32_e32 v2, 32, v0
	v_subrev_nc_u32_e32 v0, 28, v2
	v_lshlrev_b64 v[0:1], v0, v[7:8]
	v_sub_nc_u32_e32 v1, 29, v2
	v_and_b32_e32 v0, 7, v0
; %bb.464:                              ;   in Loop: Header=BB306_16 Depth=1
	s_or_b32 exec_lo, exec_lo, s28
	v_lshlrev_b32_e32 v2, 8, v7
	v_lshl_add_u32 v1, v1, 10, 0x2000
	v_lshlrev_b32_e32 v0, 23, v0
	v_and_or_b32 v1, 0x8000, v2, v1
	v_lshl_or_b32 v54, v1, 16, v0
.LBB306_465:                            ;   in Loop: Header=BB306_16 Depth=1
	s_or_b32 exec_lo, exec_lo, s27
.LBB306_466:                            ;   in Loop: Header=BB306_16 Depth=1
	s_or_b32 exec_lo, exec_lo, s26
.LBB306_467:                            ;   in Loop: Header=BB306_16 Depth=1
	s_or_b32 exec_lo, exec_lo, s25
	flat_load_dwordx2 v[33:34], v[31:32] offset:1544
	s_waitcnt vmcnt(0) lgkmcnt(0)
	v_cmp_ne_u16_sdwa s5, v33, v8 src0_sel:BYTE_0 src1_sel:DWORD
	s_and_saveexec_b32 s25, s5
	s_cbranch_execz .LBB306_475
; %bb.468:                              ;   in Loop: Header=BB306_16 Depth=1
	v_cmp_ne_u16_sdwa s5, v33, v68 src0_sel:BYTE_0 src1_sel:DWORD
	v_mov_b32_e32 v52, 0x8000
	s_and_saveexec_b32 s26, s5
	s_cbranch_execz .LBB306_474
; %bb.469:                              ;   in Loop: Header=BB306_16 Depth=1
	v_and_b32_e32 v2, 0x7f, v33
	v_mov_b32_e32 v52, 0x7c01
	s_mov_b32 s27, exec_lo
	v_cmpx_ne_u32_e32 0x7f, v2
	s_cbranch_execz .LBB306_473
; %bb.470:                              ;   in Loop: Header=BB306_16 Depth=1
	v_and_b32_e32 v0, 7, v33
	v_lshrrev_b32_e32 v1, 3, v2
	s_mov_b32 s28, exec_lo
	v_cmpx_gt_u32_e32 8, v2
; %bb.471:                              ;   in Loop: Header=BB306_16 Depth=1
	v_ffbh_u32_e32 v0, v0
	v_min_u32_e32 v2, 32, v0
	v_subrev_nc_u32_e32 v0, 28, v2
	v_lshlrev_b64 v[0:1], v0, v[33:34]
	v_sub_nc_u32_e32 v1, 29, v2
	v_and_b32_e32 v0, 7, v0
; %bb.472:                              ;   in Loop: Header=BB306_16 Depth=1
	s_or_b32 exec_lo, exec_lo, s28
	v_lshlrev_b32_e32 v2, 8, v33
	v_lshl_add_u32 v1, v1, 10, 0x2000
	v_lshlrev_b32_e32 v0, 7, v0
	v_and_b32_e32 v2, 0x8000, v2
	v_and_b32_e32 v1, 0xfc00, v1
	v_or3_b32 v52, v2, v1, v0
.LBB306_473:                            ;   in Loop: Header=BB306_16 Depth=1
	s_or_b32 exec_lo, exec_lo, s27
.LBB306_474:                            ;   in Loop: Header=BB306_16 Depth=1
	s_or_b32 exec_lo, exec_lo, s26
.LBB306_475:                            ;   in Loop: Header=BB306_16 Depth=1
	s_or_b32 exec_lo, exec_lo, s25
	v_lshrrev_b16 v7, 8, v33
	v_mov_b32_e32 v10, 0
	v_mov_b32_e32 v11, 0
	s_mov_b32 s25, exec_lo
	v_cmpx_ne_u16_e32 0, v7
	s_cbranch_execz .LBB306_483
; %bb.476:                              ;   in Loop: Header=BB306_16 Depth=1
	v_bfrev_b32_e32 v11, 1
	s_mov_b32 s26, exec_lo
	v_cmpx_ne_u16_e32 0x80, v7
	s_cbranch_execz .LBB306_482
; %bb.477:                              ;   in Loop: Header=BB306_16 Depth=1
	v_mov_b32_e32 v0, 0x7f
	v_mov_b32_e32 v11, 0x7c010000
	s_mov_b32 s27, exec_lo
	v_and_b32_sdwa v2, v7, v0 dst_sel:DWORD dst_unused:UNUSED_PAD src0_sel:WORD_0 src1_sel:DWORD
	v_cmpx_ne_u32_e32 0x7f, v2
	s_cbranch_execz .LBB306_481
; %bb.478:                              ;   in Loop: Header=BB306_16 Depth=1
	v_mov_b32_e32 v0, 7
	v_lshrrev_b32_e32 v1, 3, v2
	s_mov_b32 s28, exec_lo
	v_and_b32_sdwa v0, v7, v0 dst_sel:DWORD dst_unused:UNUSED_PAD src0_sel:WORD_0 src1_sel:DWORD
	v_cmpx_gt_u32_e32 8, v2
; %bb.479:                              ;   in Loop: Header=BB306_16 Depth=1
	v_ffbh_u32_e32 v0, v0
	v_min_u32_e32 v2, 32, v0
	v_subrev_nc_u32_e32 v0, 28, v2
	v_lshlrev_b64 v[0:1], v0, v[7:8]
	v_sub_nc_u32_e32 v1, 29, v2
	v_and_b32_e32 v0, 7, v0
; %bb.480:                              ;   in Loop: Header=BB306_16 Depth=1
	s_or_b32 exec_lo, exec_lo, s28
	v_mov_b32_e32 v2, 8
	v_lshl_add_u32 v1, v1, 10, 0x2000
	v_lshlrev_b32_e32 v0, 23, v0
	v_lshlrev_b32_sdwa v2, v2, v7 dst_sel:DWORD dst_unused:UNUSED_PAD src0_sel:DWORD src1_sel:WORD_0
	v_and_or_b32 v1, 0x8000, v2, v1
	v_lshl_or_b32 v11, v1, 16, v0
.LBB306_481:                            ;   in Loop: Header=BB306_16 Depth=1
	s_or_b32 exec_lo, exec_lo, s27
.LBB306_482:                            ;   in Loop: Header=BB306_16 Depth=1
	s_or_b32 exec_lo, exec_lo, s26
.LBB306_483:                            ;   in Loop: Header=BB306_16 Depth=1
	s_or_b32 exec_lo, exec_lo, s25
	v_lshrrev_b32_e32 v7, 16, v33
	v_cmp_ne_u16_sdwa s5, v7, v8 src0_sel:BYTE_0 src1_sel:DWORD
	s_and_saveexec_b32 s25, s5
	s_cbranch_execz .LBB306_491
; %bb.484:                              ;   in Loop: Header=BB306_16 Depth=1
	v_cmp_ne_u16_sdwa s5, v7, v68 src0_sel:BYTE_0 src1_sel:DWORD
	v_mov_b32_e32 v10, 0x8000
	s_and_saveexec_b32 s26, s5
	s_cbranch_execz .LBB306_490
; %bb.485:                              ;   in Loop: Header=BB306_16 Depth=1
	v_bfe_u32 v2, v33, 16, 7
	v_mov_b32_e32 v10, 0x7c01
	s_mov_b32 s27, exec_lo
	v_cmpx_ne_u32_e32 0x7f, v2
	s_cbranch_execz .LBB306_489
; %bb.486:                              ;   in Loop: Header=BB306_16 Depth=1
	v_and_b32_e32 v0, 7, v7
	v_lshrrev_b32_e32 v1, 3, v2
	s_mov_b32 s28, exec_lo
	v_cmpx_gt_u32_e32 8, v2
; %bb.487:                              ;   in Loop: Header=BB306_16 Depth=1
	v_ffbh_u32_e32 v0, v0
	v_min_u32_e32 v2, 32, v0
	v_subrev_nc_u32_e32 v0, 28, v2
	v_lshlrev_b64 v[0:1], v0, v[7:8]
	v_sub_nc_u32_e32 v1, 29, v2
	v_and_b32_e32 v0, 7, v0
; %bb.488:                              ;   in Loop: Header=BB306_16 Depth=1
	s_or_b32 exec_lo, exec_lo, s28
	v_lshlrev_b32_e32 v2, 8, v7
	v_lshl_add_u32 v1, v1, 10, 0x2000
	v_lshlrev_b32_e32 v0, 7, v0
	v_and_b32_e32 v2, 0x8000, v2
	v_and_b32_e32 v1, 0xfc00, v1
	v_or3_b32 v10, v2, v1, v0
.LBB306_489:                            ;   in Loop: Header=BB306_16 Depth=1
	s_or_b32 exec_lo, exec_lo, s27
.LBB306_490:                            ;   in Loop: Header=BB306_16 Depth=1
	s_or_b32 exec_lo, exec_lo, s26
.LBB306_491:                            ;   in Loop: Header=BB306_16 Depth=1
	s_or_b32 exec_lo, exec_lo, s25
	v_mov_b32_e32 v18, 0
	v_mov_b32_e32 v14, 0
	s_mov_b32 s25, exec_lo
	v_cmpx_lt_u32_e32 0xffffff, v33
	s_cbranch_execz .LBB306_499
; %bb.492:                              ;   in Loop: Header=BB306_16 Depth=1
	v_lshrrev_b32_e32 v7, 24, v33
	v_bfrev_b32_e32 v14, 1
	s_mov_b32 s26, exec_lo
	v_cmpx_ne_u32_e32 0x80, v7
	s_cbranch_execz .LBB306_498
; %bb.493:                              ;   in Loop: Header=BB306_16 Depth=1
	v_and_b32_e32 v2, 0x7f, v7
	v_mov_b32_e32 v14, 0x7c010000
	s_mov_b32 s27, exec_lo
	v_cmpx_ne_u32_e32 0x7f, v2
	s_cbranch_execz .LBB306_497
; %bb.494:                              ;   in Loop: Header=BB306_16 Depth=1
	v_and_b32_e32 v0, 7, v7
	v_lshrrev_b32_e32 v1, 3, v2
	s_mov_b32 s28, exec_lo
	v_cmpx_gt_u32_e32 8, v2
; %bb.495:                              ;   in Loop: Header=BB306_16 Depth=1
	v_ffbh_u32_e32 v0, v0
	v_min_u32_e32 v2, 32, v0
	v_subrev_nc_u32_e32 v0, 28, v2
	v_lshlrev_b64 v[0:1], v0, v[7:8]
	v_sub_nc_u32_e32 v1, 29, v2
	v_and_b32_e32 v0, 7, v0
; %bb.496:                              ;   in Loop: Header=BB306_16 Depth=1
	s_or_b32 exec_lo, exec_lo, s28
	v_lshlrev_b32_e32 v2, 8, v7
	v_lshl_add_u32 v1, v1, 10, 0x2000
	v_lshlrev_b32_e32 v0, 23, v0
	v_and_or_b32 v1, 0x8000, v2, v1
	v_lshl_or_b32 v14, v1, 16, v0
.LBB306_497:                            ;   in Loop: Header=BB306_16 Depth=1
	s_or_b32 exec_lo, exec_lo, s27
.LBB306_498:                            ;   in Loop: Header=BB306_16 Depth=1
	s_or_b32 exec_lo, exec_lo, s26
.LBB306_499:                            ;   in Loop: Header=BB306_16 Depth=1
	s_or_b32 exec_lo, exec_lo, s25
	v_mov_b32_e32 v7, v34
	v_cmp_ne_u16_sdwa s5, v34, v8 src0_sel:BYTE_0 src1_sel:DWORD
	s_and_saveexec_b32 s25, s5
	s_cbranch_execz .LBB306_507
; %bb.500:                              ;   in Loop: Header=BB306_16 Depth=1
	v_cmp_ne_u16_sdwa s5, v34, v68 src0_sel:BYTE_0 src1_sel:DWORD
	v_mov_b32_e32 v18, 0x8000
	s_and_saveexec_b32 s26, s5
	s_cbranch_execz .LBB306_506
; %bb.501:                              ;   in Loop: Header=BB306_16 Depth=1
	v_and_b32_e32 v2, 0x7f, v34
	v_mov_b32_e32 v18, 0x7c01
	s_mov_b32 s27, exec_lo
	v_cmpx_ne_u32_e32 0x7f, v2
	s_cbranch_execz .LBB306_505
; %bb.502:                              ;   in Loop: Header=BB306_16 Depth=1
	v_and_b32_e32 v0, 7, v34
	v_lshrrev_b32_e32 v1, 3, v2
	s_mov_b32 s28, exec_lo
	v_cmpx_gt_u32_e32 8, v2
; %bb.503:                              ;   in Loop: Header=BB306_16 Depth=1
	v_ffbh_u32_e32 v0, v0
	v_min_u32_e32 v2, 32, v0
	v_subrev_nc_u32_e32 v0, 28, v2
	v_lshlrev_b64 v[0:1], v0, v[7:8]
	v_sub_nc_u32_e32 v1, 29, v2
	v_and_b32_e32 v0, 7, v0
; %bb.504:                              ;   in Loop: Header=BB306_16 Depth=1
	s_or_b32 exec_lo, exec_lo, s28
	v_lshlrev_b32_e32 v2, 8, v34
	v_lshl_add_u32 v1, v1, 10, 0x2000
	v_lshlrev_b32_e32 v0, 7, v0
	v_and_b32_e32 v2, 0x8000, v2
	v_and_b32_e32 v1, 0xfc00, v1
	v_or3_b32 v18, v2, v1, v0
.LBB306_505:                            ;   in Loop: Header=BB306_16 Depth=1
	s_or_b32 exec_lo, exec_lo, s27
.LBB306_506:                            ;   in Loop: Header=BB306_16 Depth=1
	s_or_b32 exec_lo, exec_lo, s26
.LBB306_507:                            ;   in Loop: Header=BB306_16 Depth=1
	s_or_b32 exec_lo, exec_lo, s25
	v_lshrrev_b16 v7, 8, v7
	v_mov_b32_e32 v35, 0
	v_mov_b32_e32 v80, 0
	s_mov_b32 s25, exec_lo
	v_cmpx_ne_u16_e32 0, v7
	s_cbranch_execz .LBB306_515
; %bb.508:                              ;   in Loop: Header=BB306_16 Depth=1
	v_bfrev_b32_e32 v80, 1
	s_mov_b32 s26, exec_lo
	v_cmpx_ne_u16_e32 0x80, v7
	s_cbranch_execz .LBB306_514
; %bb.509:                              ;   in Loop: Header=BB306_16 Depth=1
	v_mov_b32_e32 v0, 0x7f
	v_mov_b32_e32 v80, 0x7c010000
	s_mov_b32 s27, exec_lo
	v_and_b32_sdwa v2, v7, v0 dst_sel:DWORD dst_unused:UNUSED_PAD src0_sel:WORD_0 src1_sel:DWORD
	v_cmpx_ne_u32_e32 0x7f, v2
	s_cbranch_execz .LBB306_513
; %bb.510:                              ;   in Loop: Header=BB306_16 Depth=1
	v_mov_b32_e32 v0, 7
	v_lshrrev_b32_e32 v1, 3, v2
	s_mov_b32 s28, exec_lo
	v_and_b32_sdwa v0, v7, v0 dst_sel:DWORD dst_unused:UNUSED_PAD src0_sel:WORD_0 src1_sel:DWORD
	v_cmpx_gt_u32_e32 8, v2
; %bb.511:                              ;   in Loop: Header=BB306_16 Depth=1
	v_ffbh_u32_e32 v0, v0
	v_min_u32_e32 v2, 32, v0
	v_subrev_nc_u32_e32 v0, 28, v2
	v_lshlrev_b64 v[0:1], v0, v[7:8]
	v_sub_nc_u32_e32 v1, 29, v2
	v_and_b32_e32 v0, 7, v0
; %bb.512:                              ;   in Loop: Header=BB306_16 Depth=1
	s_or_b32 exec_lo, exec_lo, s28
	v_mov_b32_e32 v2, 8
	v_lshl_add_u32 v1, v1, 10, 0x2000
	v_lshlrev_b32_e32 v0, 23, v0
	v_lshlrev_b32_sdwa v2, v2, v7 dst_sel:DWORD dst_unused:UNUSED_PAD src0_sel:DWORD src1_sel:WORD_0
	v_and_or_b32 v1, 0x8000, v2, v1
	v_lshl_or_b32 v80, v1, 16, v0
.LBB306_513:                            ;   in Loop: Header=BB306_16 Depth=1
	s_or_b32 exec_lo, exec_lo, s27
.LBB306_514:                            ;   in Loop: Header=BB306_16 Depth=1
	s_or_b32 exec_lo, exec_lo, s26
.LBB306_515:                            ;   in Loop: Header=BB306_16 Depth=1
	s_or_b32 exec_lo, exec_lo, s25
	v_lshrrev_b32_e32 v7, 16, v34
	v_cmp_ne_u16_sdwa s5, v7, v8 src0_sel:BYTE_0 src1_sel:DWORD
	s_and_saveexec_b32 s25, s5
	s_cbranch_execz .LBB306_523
; %bb.516:                              ;   in Loop: Header=BB306_16 Depth=1
	v_cmp_ne_u16_sdwa s5, v7, v68 src0_sel:BYTE_0 src1_sel:DWORD
	v_mov_b32_e32 v35, 0x8000
	s_and_saveexec_b32 s26, s5
	s_cbranch_execz .LBB306_522
; %bb.517:                              ;   in Loop: Header=BB306_16 Depth=1
	v_bfe_u32 v2, v34, 16, 7
	v_mov_b32_e32 v35, 0x7c01
	s_mov_b32 s27, exec_lo
	v_cmpx_ne_u32_e32 0x7f, v2
	s_cbranch_execz .LBB306_521
; %bb.518:                              ;   in Loop: Header=BB306_16 Depth=1
	v_and_b32_e32 v0, 7, v7
	v_lshrrev_b32_e32 v1, 3, v2
	s_mov_b32 s28, exec_lo
	v_cmpx_gt_u32_e32 8, v2
; %bb.519:                              ;   in Loop: Header=BB306_16 Depth=1
	v_ffbh_u32_e32 v0, v0
	v_min_u32_e32 v2, 32, v0
	v_subrev_nc_u32_e32 v0, 28, v2
	v_lshlrev_b64 v[0:1], v0, v[7:8]
	v_sub_nc_u32_e32 v1, 29, v2
	v_and_b32_e32 v0, 7, v0
; %bb.520:                              ;   in Loop: Header=BB306_16 Depth=1
	s_or_b32 exec_lo, exec_lo, s28
	v_lshlrev_b32_e32 v2, 8, v7
	v_lshl_add_u32 v1, v1, 10, 0x2000
	v_lshlrev_b32_e32 v0, 7, v0
	v_and_b32_e32 v2, 0x8000, v2
	v_and_b32_e32 v1, 0xfc00, v1
	v_or3_b32 v35, v2, v1, v0
.LBB306_521:                            ;   in Loop: Header=BB306_16 Depth=1
	s_or_b32 exec_lo, exec_lo, s27
.LBB306_522:                            ;   in Loop: Header=BB306_16 Depth=1
	s_or_b32 exec_lo, exec_lo, s26
.LBB306_523:                            ;   in Loop: Header=BB306_16 Depth=1
	s_or_b32 exec_lo, exec_lo, s25
	v_mov_b32_e32 v13, 0
	v_mov_b32_e32 v70, 0
	s_mov_b32 s25, exec_lo
	v_cmpx_lt_u64_e64 s[20:21], v[33:34]
	s_cbranch_execz .LBB306_531
; %bb.524:                              ;   in Loop: Header=BB306_16 Depth=1
	v_lshrrev_b32_e32 v7, 24, v34
	v_bfrev_b32_e32 v70, 1
	s_mov_b32 s26, exec_lo
	v_cmpx_ne_u32_e32 0x80, v7
	s_cbranch_execz .LBB306_530
; %bb.525:                              ;   in Loop: Header=BB306_16 Depth=1
	v_and_b32_e32 v2, 0x7f, v7
	v_mov_b32_e32 v70, 0x7c010000
	s_mov_b32 s27, exec_lo
	v_cmpx_ne_u32_e32 0x7f, v2
	s_cbranch_execz .LBB306_529
; %bb.526:                              ;   in Loop: Header=BB306_16 Depth=1
	v_and_b32_e32 v0, 7, v7
	v_lshrrev_b32_e32 v1, 3, v2
	s_mov_b32 s28, exec_lo
	v_cmpx_gt_u32_e32 8, v2
; %bb.527:                              ;   in Loop: Header=BB306_16 Depth=1
	v_ffbh_u32_e32 v0, v0
	v_min_u32_e32 v2, 32, v0
	v_subrev_nc_u32_e32 v0, 28, v2
	v_lshlrev_b64 v[0:1], v0, v[7:8]
	v_sub_nc_u32_e32 v1, 29, v2
	v_and_b32_e32 v0, 7, v0
; %bb.528:                              ;   in Loop: Header=BB306_16 Depth=1
	s_or_b32 exec_lo, exec_lo, s28
	v_lshlrev_b32_e32 v2, 8, v7
	v_lshl_add_u32 v1, v1, 10, 0x2000
	v_lshlrev_b32_e32 v0, 23, v0
	v_and_or_b32 v1, 0x8000, v2, v1
	v_lshl_or_b32 v70, v1, 16, v0
.LBB306_529:                            ;   in Loop: Header=BB306_16 Depth=1
	s_or_b32 exec_lo, exec_lo, s27
.LBB306_530:                            ;   in Loop: Header=BB306_16 Depth=1
	s_or_b32 exec_lo, exec_lo, s26
.LBB306_531:                            ;   in Loop: Header=BB306_16 Depth=1
	s_or_b32 exec_lo, exec_lo, s25
	v_add_co_u32 v31, s5, 0x800, v31
	v_add_co_ci_u32_e64 v32, null, 0, v32, s5
	flat_load_dwordx2 v[33:34], v[31:32]
	s_waitcnt vmcnt(0) lgkmcnt(0)
	v_cmp_ne_u16_sdwa s5, v33, v8 src0_sel:BYTE_0 src1_sel:DWORD
	s_and_saveexec_b32 s25, s5
	s_cbranch_execz .LBB306_539
; %bb.532:                              ;   in Loop: Header=BB306_16 Depth=1
	v_cmp_ne_u16_sdwa s5, v33, v68 src0_sel:BYTE_0 src1_sel:DWORD
	v_mov_b32_e32 v13, 0x8000
	s_and_saveexec_b32 s26, s5
	s_cbranch_execz .LBB306_538
; %bb.533:                              ;   in Loop: Header=BB306_16 Depth=1
	v_and_b32_e32 v2, 0x7f, v33
	v_mov_b32_e32 v13, 0x7c01
	s_mov_b32 s27, exec_lo
	v_cmpx_ne_u32_e32 0x7f, v2
	s_cbranch_execz .LBB306_537
; %bb.534:                              ;   in Loop: Header=BB306_16 Depth=1
	v_and_b32_e32 v0, 7, v33
	v_lshrrev_b32_e32 v1, 3, v2
	s_mov_b32 s28, exec_lo
	v_cmpx_gt_u32_e32 8, v2
; %bb.535:                              ;   in Loop: Header=BB306_16 Depth=1
	v_ffbh_u32_e32 v0, v0
	v_min_u32_e32 v2, 32, v0
	v_subrev_nc_u32_e32 v0, 28, v2
	v_lshlrev_b64 v[0:1], v0, v[33:34]
	v_sub_nc_u32_e32 v1, 29, v2
	v_and_b32_e32 v0, 7, v0
; %bb.536:                              ;   in Loop: Header=BB306_16 Depth=1
	s_or_b32 exec_lo, exec_lo, s28
	v_lshlrev_b32_e32 v2, 8, v33
	v_lshl_add_u32 v1, v1, 10, 0x2000
	v_lshlrev_b32_e32 v0, 7, v0
	v_and_b32_e32 v2, 0x8000, v2
	v_and_b32_e32 v1, 0xfc00, v1
	v_or3_b32 v13, v2, v1, v0
.LBB306_537:                            ;   in Loop: Header=BB306_16 Depth=1
	s_or_b32 exec_lo, exec_lo, s27
.LBB306_538:                            ;   in Loop: Header=BB306_16 Depth=1
	s_or_b32 exec_lo, exec_lo, s26
.LBB306_539:                            ;   in Loop: Header=BB306_16 Depth=1
	s_or_b32 exec_lo, exec_lo, s25
	v_lshrrev_b16 v7, 8, v33
	v_mov_b32_e32 v71, 0
	v_mov_b32_e32 v24, 0
	s_mov_b32 s25, exec_lo
	v_cmpx_ne_u16_e32 0, v7
	s_cbranch_execz .LBB306_547
; %bb.540:                              ;   in Loop: Header=BB306_16 Depth=1
	v_bfrev_b32_e32 v24, 1
	s_mov_b32 s26, exec_lo
	v_cmpx_ne_u16_e32 0x80, v7
	s_cbranch_execz .LBB306_546
; %bb.541:                              ;   in Loop: Header=BB306_16 Depth=1
	v_mov_b32_e32 v0, 0x7f
	v_mov_b32_e32 v24, 0x7c010000
	s_mov_b32 s27, exec_lo
	v_and_b32_sdwa v2, v7, v0 dst_sel:DWORD dst_unused:UNUSED_PAD src0_sel:WORD_0 src1_sel:DWORD
	v_cmpx_ne_u32_e32 0x7f, v2
	s_cbranch_execz .LBB306_545
; %bb.542:                              ;   in Loop: Header=BB306_16 Depth=1
	v_mov_b32_e32 v0, 7
	v_lshrrev_b32_e32 v1, 3, v2
	s_mov_b32 s28, exec_lo
	v_and_b32_sdwa v0, v7, v0 dst_sel:DWORD dst_unused:UNUSED_PAD src0_sel:WORD_0 src1_sel:DWORD
	v_cmpx_gt_u32_e32 8, v2
; %bb.543:                              ;   in Loop: Header=BB306_16 Depth=1
	v_ffbh_u32_e32 v0, v0
	v_min_u32_e32 v2, 32, v0
	v_subrev_nc_u32_e32 v0, 28, v2
	v_lshlrev_b64 v[0:1], v0, v[7:8]
	v_sub_nc_u32_e32 v1, 29, v2
	v_and_b32_e32 v0, 7, v0
; %bb.544:                              ;   in Loop: Header=BB306_16 Depth=1
	s_or_b32 exec_lo, exec_lo, s28
	v_mov_b32_e32 v2, 8
	v_lshl_add_u32 v1, v1, 10, 0x2000
	v_lshlrev_b32_e32 v0, 23, v0
	v_lshlrev_b32_sdwa v2, v2, v7 dst_sel:DWORD dst_unused:UNUSED_PAD src0_sel:DWORD src1_sel:WORD_0
	v_and_or_b32 v1, 0x8000, v2, v1
	v_lshl_or_b32 v24, v1, 16, v0
.LBB306_545:                            ;   in Loop: Header=BB306_16 Depth=1
	s_or_b32 exec_lo, exec_lo, s27
.LBB306_546:                            ;   in Loop: Header=BB306_16 Depth=1
	s_or_b32 exec_lo, exec_lo, s26
.LBB306_547:                            ;   in Loop: Header=BB306_16 Depth=1
	s_or_b32 exec_lo, exec_lo, s25
	v_lshrrev_b32_e32 v7, 16, v33
	v_cmp_ne_u16_sdwa s5, v7, v8 src0_sel:BYTE_0 src1_sel:DWORD
	s_and_saveexec_b32 s25, s5
	s_cbranch_execz .LBB306_555
; %bb.548:                              ;   in Loop: Header=BB306_16 Depth=1
	v_cmp_ne_u16_sdwa s5, v7, v68 src0_sel:BYTE_0 src1_sel:DWORD
	v_mov_b32_e32 v71, 0x8000
	s_and_saveexec_b32 s26, s5
	s_cbranch_execz .LBB306_554
; %bb.549:                              ;   in Loop: Header=BB306_16 Depth=1
	v_bfe_u32 v2, v33, 16, 7
	v_mov_b32_e32 v71, 0x7c01
	s_mov_b32 s27, exec_lo
	v_cmpx_ne_u32_e32 0x7f, v2
	s_cbranch_execz .LBB306_553
; %bb.550:                              ;   in Loop: Header=BB306_16 Depth=1
	v_and_b32_e32 v0, 7, v7
	v_lshrrev_b32_e32 v1, 3, v2
	s_mov_b32 s28, exec_lo
	v_cmpx_gt_u32_e32 8, v2
; %bb.551:                              ;   in Loop: Header=BB306_16 Depth=1
	v_ffbh_u32_e32 v0, v0
	v_min_u32_e32 v2, 32, v0
	v_subrev_nc_u32_e32 v0, 28, v2
	v_lshlrev_b64 v[0:1], v0, v[7:8]
	v_sub_nc_u32_e32 v1, 29, v2
	v_and_b32_e32 v0, 7, v0
; %bb.552:                              ;   in Loop: Header=BB306_16 Depth=1
	s_or_b32 exec_lo, exec_lo, s28
	v_lshlrev_b32_e32 v2, 8, v7
	v_lshl_add_u32 v1, v1, 10, 0x2000
	v_lshlrev_b32_e32 v0, 7, v0
	v_and_b32_e32 v2, 0x8000, v2
	v_and_b32_e32 v1, 0xfc00, v1
	v_or3_b32 v71, v2, v1, v0
.LBB306_553:                            ;   in Loop: Header=BB306_16 Depth=1
	s_or_b32 exec_lo, exec_lo, s27
.LBB306_554:                            ;   in Loop: Header=BB306_16 Depth=1
	s_or_b32 exec_lo, exec_lo, s26
.LBB306_555:                            ;   in Loop: Header=BB306_16 Depth=1
	s_or_b32 exec_lo, exec_lo, s25
	v_mov_b32_e32 v81, 0
	v_mov_b32_e32 v6, 0
	s_mov_b32 s25, exec_lo
	v_cmpx_lt_u32_e32 0xffffff, v33
	s_cbranch_execz .LBB306_563
; %bb.556:                              ;   in Loop: Header=BB306_16 Depth=1
	v_lshrrev_b32_e32 v7, 24, v33
	v_bfrev_b32_e32 v6, 1
	s_mov_b32 s26, exec_lo
	v_cmpx_ne_u32_e32 0x80, v7
	s_cbranch_execz .LBB306_562
; %bb.557:                              ;   in Loop: Header=BB306_16 Depth=1
	v_and_b32_e32 v2, 0x7f, v7
	v_mov_b32_e32 v6, 0x7c010000
	s_mov_b32 s27, exec_lo
	v_cmpx_ne_u32_e32 0x7f, v2
	s_cbranch_execz .LBB306_561
; %bb.558:                              ;   in Loop: Header=BB306_16 Depth=1
	v_and_b32_e32 v0, 7, v7
	v_lshrrev_b32_e32 v1, 3, v2
	s_mov_b32 s28, exec_lo
	v_cmpx_gt_u32_e32 8, v2
; %bb.559:                              ;   in Loop: Header=BB306_16 Depth=1
	v_ffbh_u32_e32 v0, v0
	v_min_u32_e32 v2, 32, v0
	v_subrev_nc_u32_e32 v0, 28, v2
	v_lshlrev_b64 v[0:1], v0, v[7:8]
	v_sub_nc_u32_e32 v1, 29, v2
	v_and_b32_e32 v0, 7, v0
; %bb.560:                              ;   in Loop: Header=BB306_16 Depth=1
	s_or_b32 exec_lo, exec_lo, s28
	v_lshlrev_b32_e32 v2, 8, v7
	v_lshl_add_u32 v1, v1, 10, 0x2000
	v_lshlrev_b32_e32 v0, 23, v0
	v_and_or_b32 v1, 0x8000, v2, v1
	v_lshl_or_b32 v6, v1, 16, v0
.LBB306_561:                            ;   in Loop: Header=BB306_16 Depth=1
	s_or_b32 exec_lo, exec_lo, s27
.LBB306_562:                            ;   in Loop: Header=BB306_16 Depth=1
	s_or_b32 exec_lo, exec_lo, s26
.LBB306_563:                            ;   in Loop: Header=BB306_16 Depth=1
	s_or_b32 exec_lo, exec_lo, s25
	v_mov_b32_e32 v7, v34
	v_cmp_ne_u16_sdwa s5, v34, v8 src0_sel:BYTE_0 src1_sel:DWORD
	s_and_saveexec_b32 s25, s5
	s_cbranch_execz .LBB306_571
; %bb.564:                              ;   in Loop: Header=BB306_16 Depth=1
	v_cmp_ne_u16_sdwa s5, v34, v68 src0_sel:BYTE_0 src1_sel:DWORD
	v_mov_b32_e32 v81, 0x8000
	s_and_saveexec_b32 s26, s5
	s_cbranch_execz .LBB306_570
; %bb.565:                              ;   in Loop: Header=BB306_16 Depth=1
	v_and_b32_e32 v2, 0x7f, v34
	v_mov_b32_e32 v81, 0x7c01
	s_mov_b32 s27, exec_lo
	v_cmpx_ne_u32_e32 0x7f, v2
	s_cbranch_execz .LBB306_569
; %bb.566:                              ;   in Loop: Header=BB306_16 Depth=1
	v_and_b32_e32 v0, 7, v34
	v_lshrrev_b32_e32 v1, 3, v2
	s_mov_b32 s28, exec_lo
	v_cmpx_gt_u32_e32 8, v2
; %bb.567:                              ;   in Loop: Header=BB306_16 Depth=1
	v_ffbh_u32_e32 v0, v0
	v_min_u32_e32 v2, 32, v0
	v_subrev_nc_u32_e32 v0, 28, v2
	v_lshlrev_b64 v[0:1], v0, v[7:8]
	v_sub_nc_u32_e32 v1, 29, v2
	v_and_b32_e32 v0, 7, v0
; %bb.568:                              ;   in Loop: Header=BB306_16 Depth=1
	s_or_b32 exec_lo, exec_lo, s28
	v_lshlrev_b32_e32 v2, 8, v34
	v_lshl_add_u32 v1, v1, 10, 0x2000
	v_lshlrev_b32_e32 v0, 7, v0
	v_and_b32_e32 v2, 0x8000, v2
	v_and_b32_e32 v1, 0xfc00, v1
	v_or3_b32 v81, v2, v1, v0
.LBB306_569:                            ;   in Loop: Header=BB306_16 Depth=1
	s_or_b32 exec_lo, exec_lo, s27
.LBB306_570:                            ;   in Loop: Header=BB306_16 Depth=1
	s_or_b32 exec_lo, exec_lo, s26
.LBB306_571:                            ;   in Loop: Header=BB306_16 Depth=1
	s_or_b32 exec_lo, exec_lo, s25
	v_lshrrev_b16 v7, 8, v7
	v_mov_b32_e32 v50, 0
	v_mov_b32_e32 v65, 0
	s_mov_b32 s25, exec_lo
	v_cmpx_ne_u16_e32 0, v7
	s_cbranch_execz .LBB306_579
; %bb.572:                              ;   in Loop: Header=BB306_16 Depth=1
	v_bfrev_b32_e32 v65, 1
	s_mov_b32 s26, exec_lo
	v_cmpx_ne_u16_e32 0x80, v7
	s_cbranch_execz .LBB306_578
; %bb.573:                              ;   in Loop: Header=BB306_16 Depth=1
	v_mov_b32_e32 v0, 0x7f
	v_mov_b32_e32 v65, 0x7c010000
	s_mov_b32 s27, exec_lo
	v_and_b32_sdwa v2, v7, v0 dst_sel:DWORD dst_unused:UNUSED_PAD src0_sel:WORD_0 src1_sel:DWORD
	v_cmpx_ne_u32_e32 0x7f, v2
	s_cbranch_execz .LBB306_577
; %bb.574:                              ;   in Loop: Header=BB306_16 Depth=1
	v_mov_b32_e32 v0, 7
	v_lshrrev_b32_e32 v1, 3, v2
	s_mov_b32 s28, exec_lo
	v_and_b32_sdwa v0, v7, v0 dst_sel:DWORD dst_unused:UNUSED_PAD src0_sel:WORD_0 src1_sel:DWORD
	v_cmpx_gt_u32_e32 8, v2
; %bb.575:                              ;   in Loop: Header=BB306_16 Depth=1
	v_ffbh_u32_e32 v0, v0
	v_min_u32_e32 v2, 32, v0
	v_subrev_nc_u32_e32 v0, 28, v2
	v_lshlrev_b64 v[0:1], v0, v[7:8]
	v_sub_nc_u32_e32 v1, 29, v2
	v_and_b32_e32 v0, 7, v0
; %bb.576:                              ;   in Loop: Header=BB306_16 Depth=1
	s_or_b32 exec_lo, exec_lo, s28
	v_mov_b32_e32 v2, 8
	v_lshl_add_u32 v1, v1, 10, 0x2000
	v_lshlrev_b32_e32 v0, 23, v0
	v_lshlrev_b32_sdwa v2, v2, v7 dst_sel:DWORD dst_unused:UNUSED_PAD src0_sel:DWORD src1_sel:WORD_0
	v_and_or_b32 v1, 0x8000, v2, v1
	v_lshl_or_b32 v65, v1, 16, v0
.LBB306_577:                            ;   in Loop: Header=BB306_16 Depth=1
	s_or_b32 exec_lo, exec_lo, s27
.LBB306_578:                            ;   in Loop: Header=BB306_16 Depth=1
	s_or_b32 exec_lo, exec_lo, s26
.LBB306_579:                            ;   in Loop: Header=BB306_16 Depth=1
	s_or_b32 exec_lo, exec_lo, s25
	v_lshrrev_b32_e32 v7, 16, v34
	v_cmp_ne_u16_sdwa s5, v7, v8 src0_sel:BYTE_0 src1_sel:DWORD
	s_and_saveexec_b32 s25, s5
	s_cbranch_execz .LBB306_587
; %bb.580:                              ;   in Loop: Header=BB306_16 Depth=1
	v_cmp_ne_u16_sdwa s5, v7, v68 src0_sel:BYTE_0 src1_sel:DWORD
	v_mov_b32_e32 v50, 0x8000
	s_and_saveexec_b32 s26, s5
	s_cbranch_execz .LBB306_586
; %bb.581:                              ;   in Loop: Header=BB306_16 Depth=1
	v_bfe_u32 v2, v34, 16, 7
	v_mov_b32_e32 v50, 0x7c01
	s_mov_b32 s27, exec_lo
	v_cmpx_ne_u32_e32 0x7f, v2
	s_cbranch_execz .LBB306_585
; %bb.582:                              ;   in Loop: Header=BB306_16 Depth=1
	v_and_b32_e32 v0, 7, v7
	v_lshrrev_b32_e32 v1, 3, v2
	s_mov_b32 s28, exec_lo
	v_cmpx_gt_u32_e32 8, v2
; %bb.583:                              ;   in Loop: Header=BB306_16 Depth=1
	v_ffbh_u32_e32 v0, v0
	v_min_u32_e32 v2, 32, v0
	v_subrev_nc_u32_e32 v0, 28, v2
	v_lshlrev_b64 v[0:1], v0, v[7:8]
	v_sub_nc_u32_e32 v1, 29, v2
	v_and_b32_e32 v0, 7, v0
; %bb.584:                              ;   in Loop: Header=BB306_16 Depth=1
	s_or_b32 exec_lo, exec_lo, s28
	v_lshlrev_b32_e32 v2, 8, v7
	v_lshl_add_u32 v1, v1, 10, 0x2000
	v_lshlrev_b32_e32 v0, 7, v0
	v_and_b32_e32 v2, 0x8000, v2
	v_and_b32_e32 v1, 0xfc00, v1
	v_or3_b32 v50, v2, v1, v0
.LBB306_585:                            ;   in Loop: Header=BB306_16 Depth=1
	s_or_b32 exec_lo, exec_lo, s27
.LBB306_586:                            ;   in Loop: Header=BB306_16 Depth=1
	s_or_b32 exec_lo, exec_lo, s26
.LBB306_587:                            ;   in Loop: Header=BB306_16 Depth=1
	s_or_b32 exec_lo, exec_lo, s25
	v_mov_b32_e32 v12, 0
	v_mov_b32_e32 v69, 0
	s_mov_b32 s25, exec_lo
	v_cmpx_lt_u64_e64 s[20:21], v[33:34]
	s_cbranch_execz .LBB306_595
; %bb.588:                              ;   in Loop: Header=BB306_16 Depth=1
	v_lshrrev_b32_e32 v7, 24, v34
	v_bfrev_b32_e32 v69, 1
	s_mov_b32 s26, exec_lo
	v_cmpx_ne_u32_e32 0x80, v7
	s_cbranch_execz .LBB306_594
; %bb.589:                              ;   in Loop: Header=BB306_16 Depth=1
	v_and_b32_e32 v2, 0x7f, v7
	v_mov_b32_e32 v69, 0x7c010000
	s_mov_b32 s27, exec_lo
	v_cmpx_ne_u32_e32 0x7f, v2
	s_cbranch_execz .LBB306_593
; %bb.590:                              ;   in Loop: Header=BB306_16 Depth=1
	v_and_b32_e32 v0, 7, v7
	v_lshrrev_b32_e32 v1, 3, v2
	s_mov_b32 s28, exec_lo
	v_cmpx_gt_u32_e32 8, v2
; %bb.591:                              ;   in Loop: Header=BB306_16 Depth=1
	v_ffbh_u32_e32 v0, v0
	v_min_u32_e32 v2, 32, v0
	v_subrev_nc_u32_e32 v0, 28, v2
	v_lshlrev_b64 v[0:1], v0, v[7:8]
	v_sub_nc_u32_e32 v1, 29, v2
	v_and_b32_e32 v0, 7, v0
; %bb.592:                              ;   in Loop: Header=BB306_16 Depth=1
	s_or_b32 exec_lo, exec_lo, s28
	v_lshlrev_b32_e32 v2, 8, v7
	v_lshl_add_u32 v1, v1, 10, 0x2000
	v_lshlrev_b32_e32 v0, 23, v0
	v_and_or_b32 v1, 0x8000, v2, v1
	v_lshl_or_b32 v69, v1, 16, v0
.LBB306_593:                            ;   in Loop: Header=BB306_16 Depth=1
	s_or_b32 exec_lo, exec_lo, s27
.LBB306_594:                            ;   in Loop: Header=BB306_16 Depth=1
	s_or_b32 exec_lo, exec_lo, s26
.LBB306_595:                            ;   in Loop: Header=BB306_16 Depth=1
	s_or_b32 exec_lo, exec_lo, s25
	flat_load_dwordx2 v[33:34], v[31:32] offset:8
	s_waitcnt vmcnt(0) lgkmcnt(0)
	v_cmp_ne_u16_sdwa s5, v33, v8 src0_sel:BYTE_0 src1_sel:DWORD
	s_and_saveexec_b32 s25, s5
	s_cbranch_execz .LBB306_603
; %bb.596:                              ;   in Loop: Header=BB306_16 Depth=1
	v_cmp_ne_u16_sdwa s5, v33, v68 src0_sel:BYTE_0 src1_sel:DWORD
	v_mov_b32_e32 v12, 0x8000
	s_and_saveexec_b32 s26, s5
	s_cbranch_execz .LBB306_602
; %bb.597:                              ;   in Loop: Header=BB306_16 Depth=1
	v_and_b32_e32 v2, 0x7f, v33
	v_mov_b32_e32 v12, 0x7c01
	s_mov_b32 s27, exec_lo
	v_cmpx_ne_u32_e32 0x7f, v2
	s_cbranch_execz .LBB306_601
; %bb.598:                              ;   in Loop: Header=BB306_16 Depth=1
	v_and_b32_e32 v0, 7, v33
	v_lshrrev_b32_e32 v1, 3, v2
	s_mov_b32 s28, exec_lo
	v_cmpx_gt_u32_e32 8, v2
; %bb.599:                              ;   in Loop: Header=BB306_16 Depth=1
	v_ffbh_u32_e32 v0, v0
	v_min_u32_e32 v2, 32, v0
	v_subrev_nc_u32_e32 v0, 28, v2
	v_lshlrev_b64 v[0:1], v0, v[33:34]
	v_sub_nc_u32_e32 v1, 29, v2
	v_and_b32_e32 v0, 7, v0
; %bb.600:                              ;   in Loop: Header=BB306_16 Depth=1
	s_or_b32 exec_lo, exec_lo, s28
	v_lshlrev_b32_e32 v2, 8, v33
	v_lshl_add_u32 v1, v1, 10, 0x2000
	v_lshlrev_b32_e32 v0, 7, v0
	v_and_b32_e32 v2, 0x8000, v2
	v_and_b32_e32 v1, 0xfc00, v1
	v_or3_b32 v12, v2, v1, v0
.LBB306_601:                            ;   in Loop: Header=BB306_16 Depth=1
	s_or_b32 exec_lo, exec_lo, s27
.LBB306_602:                            ;   in Loop: Header=BB306_16 Depth=1
	s_or_b32 exec_lo, exec_lo, s26
.LBB306_603:                            ;   in Loop: Header=BB306_16 Depth=1
	s_or_b32 exec_lo, exec_lo, s25
	v_lshrrev_b16 v7, 8, v33
	v_mov_b32_e32 v21, 0
	v_mov_b32_e32 v20, 0
	s_mov_b32 s25, exec_lo
	v_cmpx_ne_u16_e32 0, v7
	s_cbranch_execz .LBB306_611
; %bb.604:                              ;   in Loop: Header=BB306_16 Depth=1
	v_bfrev_b32_e32 v20, 1
	s_mov_b32 s26, exec_lo
	v_cmpx_ne_u16_e32 0x80, v7
	s_cbranch_execz .LBB306_610
; %bb.605:                              ;   in Loop: Header=BB306_16 Depth=1
	v_mov_b32_e32 v0, 0x7f
	v_mov_b32_e32 v20, 0x7c010000
	s_mov_b32 s27, exec_lo
	v_and_b32_sdwa v2, v7, v0 dst_sel:DWORD dst_unused:UNUSED_PAD src0_sel:WORD_0 src1_sel:DWORD
	v_cmpx_ne_u32_e32 0x7f, v2
	s_cbranch_execz .LBB306_609
; %bb.606:                              ;   in Loop: Header=BB306_16 Depth=1
	v_mov_b32_e32 v0, 7
	v_lshrrev_b32_e32 v1, 3, v2
	s_mov_b32 s28, exec_lo
	v_and_b32_sdwa v0, v7, v0 dst_sel:DWORD dst_unused:UNUSED_PAD src0_sel:WORD_0 src1_sel:DWORD
	v_cmpx_gt_u32_e32 8, v2
; %bb.607:                              ;   in Loop: Header=BB306_16 Depth=1
	v_ffbh_u32_e32 v0, v0
	v_min_u32_e32 v2, 32, v0
	v_subrev_nc_u32_e32 v0, 28, v2
	v_lshlrev_b64 v[0:1], v0, v[7:8]
	v_sub_nc_u32_e32 v1, 29, v2
	v_and_b32_e32 v0, 7, v0
; %bb.608:                              ;   in Loop: Header=BB306_16 Depth=1
	s_or_b32 exec_lo, exec_lo, s28
	v_mov_b32_e32 v2, 8
	v_lshl_add_u32 v1, v1, 10, 0x2000
	v_lshlrev_b32_e32 v0, 23, v0
	v_lshlrev_b32_sdwa v2, v2, v7 dst_sel:DWORD dst_unused:UNUSED_PAD src0_sel:DWORD src1_sel:WORD_0
	v_and_or_b32 v1, 0x8000, v2, v1
	v_lshl_or_b32 v20, v1, 16, v0
.LBB306_609:                            ;   in Loop: Header=BB306_16 Depth=1
	s_or_b32 exec_lo, exec_lo, s27
.LBB306_610:                            ;   in Loop: Header=BB306_16 Depth=1
	s_or_b32 exec_lo, exec_lo, s26
.LBB306_611:                            ;   in Loop: Header=BB306_16 Depth=1
	s_or_b32 exec_lo, exec_lo, s25
	v_lshrrev_b32_e32 v7, 16, v33
	v_cmp_ne_u16_sdwa s5, v7, v8 src0_sel:BYTE_0 src1_sel:DWORD
	s_and_saveexec_b32 s25, s5
	s_cbranch_execz .LBB306_619
; %bb.612:                              ;   in Loop: Header=BB306_16 Depth=1
	v_cmp_ne_u16_sdwa s5, v7, v68 src0_sel:BYTE_0 src1_sel:DWORD
	v_mov_b32_e32 v21, 0x8000
	s_and_saveexec_b32 s26, s5
	s_cbranch_execz .LBB306_618
; %bb.613:                              ;   in Loop: Header=BB306_16 Depth=1
	v_bfe_u32 v2, v33, 16, 7
	v_mov_b32_e32 v21, 0x7c01
	s_mov_b32 s27, exec_lo
	v_cmpx_ne_u32_e32 0x7f, v2
	s_cbranch_execz .LBB306_617
; %bb.614:                              ;   in Loop: Header=BB306_16 Depth=1
	v_and_b32_e32 v0, 7, v7
	v_lshrrev_b32_e32 v1, 3, v2
	s_mov_b32 s28, exec_lo
	v_cmpx_gt_u32_e32 8, v2
; %bb.615:                              ;   in Loop: Header=BB306_16 Depth=1
	v_ffbh_u32_e32 v0, v0
	v_min_u32_e32 v2, 32, v0
	v_subrev_nc_u32_e32 v0, 28, v2
	v_lshlrev_b64 v[0:1], v0, v[7:8]
	v_sub_nc_u32_e32 v1, 29, v2
	v_and_b32_e32 v0, 7, v0
; %bb.616:                              ;   in Loop: Header=BB306_16 Depth=1
	s_or_b32 exec_lo, exec_lo, s28
	v_lshlrev_b32_e32 v2, 8, v7
	v_lshl_add_u32 v1, v1, 10, 0x2000
	v_lshlrev_b32_e32 v0, 7, v0
	v_and_b32_e32 v2, 0x8000, v2
	v_and_b32_e32 v1, 0xfc00, v1
	v_or3_b32 v21, v2, v1, v0
.LBB306_617:                            ;   in Loop: Header=BB306_16 Depth=1
	s_or_b32 exec_lo, exec_lo, s27
.LBB306_618:                            ;   in Loop: Header=BB306_16 Depth=1
	s_or_b32 exec_lo, exec_lo, s26
.LBB306_619:                            ;   in Loop: Header=BB306_16 Depth=1
	s_or_b32 exec_lo, exec_lo, s25
	v_mov_b32_e32 v30, 0
	v_mov_b32_e32 v22, 0
	s_mov_b32 s25, exec_lo
	v_cmpx_lt_u32_e32 0xffffff, v33
	s_cbranch_execz .LBB306_627
; %bb.620:                              ;   in Loop: Header=BB306_16 Depth=1
	v_lshrrev_b32_e32 v7, 24, v33
	v_bfrev_b32_e32 v22, 1
	s_mov_b32 s26, exec_lo
	v_cmpx_ne_u32_e32 0x80, v7
	s_cbranch_execz .LBB306_626
; %bb.621:                              ;   in Loop: Header=BB306_16 Depth=1
	v_and_b32_e32 v2, 0x7f, v7
	v_mov_b32_e32 v22, 0x7c010000
	s_mov_b32 s27, exec_lo
	v_cmpx_ne_u32_e32 0x7f, v2
	s_cbranch_execz .LBB306_625
; %bb.622:                              ;   in Loop: Header=BB306_16 Depth=1
	v_and_b32_e32 v0, 7, v7
	v_lshrrev_b32_e32 v1, 3, v2
	s_mov_b32 s28, exec_lo
	v_cmpx_gt_u32_e32 8, v2
; %bb.623:                              ;   in Loop: Header=BB306_16 Depth=1
	v_ffbh_u32_e32 v0, v0
	v_min_u32_e32 v2, 32, v0
	v_subrev_nc_u32_e32 v0, 28, v2
	v_lshlrev_b64 v[0:1], v0, v[7:8]
	v_sub_nc_u32_e32 v1, 29, v2
	v_and_b32_e32 v0, 7, v0
; %bb.624:                              ;   in Loop: Header=BB306_16 Depth=1
	s_or_b32 exec_lo, exec_lo, s28
	v_lshlrev_b32_e32 v2, 8, v7
	v_lshl_add_u32 v1, v1, 10, 0x2000
	v_lshlrev_b32_e32 v0, 23, v0
	v_and_or_b32 v1, 0x8000, v2, v1
	v_lshl_or_b32 v22, v1, 16, v0
.LBB306_625:                            ;   in Loop: Header=BB306_16 Depth=1
	s_or_b32 exec_lo, exec_lo, s27
.LBB306_626:                            ;   in Loop: Header=BB306_16 Depth=1
	s_or_b32 exec_lo, exec_lo, s26
.LBB306_627:                            ;   in Loop: Header=BB306_16 Depth=1
	s_or_b32 exec_lo, exec_lo, s25
	v_mov_b32_e32 v7, v34
	v_cmp_ne_u16_sdwa s5, v34, v8 src0_sel:BYTE_0 src1_sel:DWORD
	s_and_saveexec_b32 s25, s5
	s_cbranch_execz .LBB306_635
; %bb.628:                              ;   in Loop: Header=BB306_16 Depth=1
	v_cmp_ne_u16_sdwa s5, v34, v68 src0_sel:BYTE_0 src1_sel:DWORD
	v_mov_b32_e32 v30, 0x8000
	s_and_saveexec_b32 s26, s5
	s_cbranch_execz .LBB306_634
; %bb.629:                              ;   in Loop: Header=BB306_16 Depth=1
	v_and_b32_e32 v2, 0x7f, v34
	v_mov_b32_e32 v30, 0x7c01
	s_mov_b32 s27, exec_lo
	v_cmpx_ne_u32_e32 0x7f, v2
	s_cbranch_execz .LBB306_633
; %bb.630:                              ;   in Loop: Header=BB306_16 Depth=1
	v_and_b32_e32 v0, 7, v34
	v_lshrrev_b32_e32 v1, 3, v2
	s_mov_b32 s28, exec_lo
	v_cmpx_gt_u32_e32 8, v2
; %bb.631:                              ;   in Loop: Header=BB306_16 Depth=1
	v_ffbh_u32_e32 v0, v0
	v_min_u32_e32 v2, 32, v0
	v_subrev_nc_u32_e32 v0, 28, v2
	v_lshlrev_b64 v[0:1], v0, v[7:8]
	v_sub_nc_u32_e32 v1, 29, v2
	v_and_b32_e32 v0, 7, v0
; %bb.632:                              ;   in Loop: Header=BB306_16 Depth=1
	s_or_b32 exec_lo, exec_lo, s28
	v_lshlrev_b32_e32 v2, 8, v34
	v_lshl_add_u32 v1, v1, 10, 0x2000
	v_lshlrev_b32_e32 v0, 7, v0
	v_and_b32_e32 v2, 0x8000, v2
	v_and_b32_e32 v1, 0xfc00, v1
	v_or3_b32 v30, v2, v1, v0
.LBB306_633:                            ;   in Loop: Header=BB306_16 Depth=1
	s_or_b32 exec_lo, exec_lo, s27
.LBB306_634:                            ;   in Loop: Header=BB306_16 Depth=1
	s_or_b32 exec_lo, exec_lo, s26
.LBB306_635:                            ;   in Loop: Header=BB306_16 Depth=1
	s_or_b32 exec_lo, exec_lo, s25
	v_lshrrev_b16 v7, 8, v7
	v_mov_b32_e32 v38, 0
	v_mov_b32_e32 v48, 0
	s_mov_b32 s25, exec_lo
	v_cmpx_ne_u16_e32 0, v7
	s_cbranch_execz .LBB306_643
; %bb.636:                              ;   in Loop: Header=BB306_16 Depth=1
	v_bfrev_b32_e32 v48, 1
	s_mov_b32 s26, exec_lo
	v_cmpx_ne_u16_e32 0x80, v7
	s_cbranch_execz .LBB306_642
; %bb.637:                              ;   in Loop: Header=BB306_16 Depth=1
	v_mov_b32_e32 v0, 0x7f
	v_mov_b32_e32 v48, 0x7c010000
	s_mov_b32 s27, exec_lo
	v_and_b32_sdwa v2, v7, v0 dst_sel:DWORD dst_unused:UNUSED_PAD src0_sel:WORD_0 src1_sel:DWORD
	v_cmpx_ne_u32_e32 0x7f, v2
	s_cbranch_execz .LBB306_641
; %bb.638:                              ;   in Loop: Header=BB306_16 Depth=1
	v_mov_b32_e32 v0, 7
	v_lshrrev_b32_e32 v1, 3, v2
	s_mov_b32 s28, exec_lo
	v_and_b32_sdwa v0, v7, v0 dst_sel:DWORD dst_unused:UNUSED_PAD src0_sel:WORD_0 src1_sel:DWORD
	v_cmpx_gt_u32_e32 8, v2
; %bb.639:                              ;   in Loop: Header=BB306_16 Depth=1
	v_ffbh_u32_e32 v0, v0
	v_min_u32_e32 v2, 32, v0
	v_subrev_nc_u32_e32 v0, 28, v2
	v_lshlrev_b64 v[0:1], v0, v[7:8]
	v_sub_nc_u32_e32 v1, 29, v2
	v_and_b32_e32 v0, 7, v0
; %bb.640:                              ;   in Loop: Header=BB306_16 Depth=1
	s_or_b32 exec_lo, exec_lo, s28
	v_mov_b32_e32 v2, 8
	v_lshl_add_u32 v1, v1, 10, 0x2000
	v_lshlrev_b32_e32 v0, 23, v0
	v_lshlrev_b32_sdwa v2, v2, v7 dst_sel:DWORD dst_unused:UNUSED_PAD src0_sel:DWORD src1_sel:WORD_0
	v_and_or_b32 v1, 0x8000, v2, v1
	v_lshl_or_b32 v48, v1, 16, v0
.LBB306_641:                            ;   in Loop: Header=BB306_16 Depth=1
	s_or_b32 exec_lo, exec_lo, s27
.LBB306_642:                            ;   in Loop: Header=BB306_16 Depth=1
	s_or_b32 exec_lo, exec_lo, s26
.LBB306_643:                            ;   in Loop: Header=BB306_16 Depth=1
	s_or_b32 exec_lo, exec_lo, s25
	v_lshrrev_b32_e32 v7, 16, v34
	v_cmp_ne_u16_sdwa s5, v7, v8 src0_sel:BYTE_0 src1_sel:DWORD
	s_and_saveexec_b32 s25, s5
	s_cbranch_execz .LBB306_651
; %bb.644:                              ;   in Loop: Header=BB306_16 Depth=1
	v_cmp_ne_u16_sdwa s5, v7, v68 src0_sel:BYTE_0 src1_sel:DWORD
	v_mov_b32_e32 v38, 0x8000
	s_and_saveexec_b32 s26, s5
	s_cbranch_execz .LBB306_650
; %bb.645:                              ;   in Loop: Header=BB306_16 Depth=1
	v_bfe_u32 v2, v34, 16, 7
	v_mov_b32_e32 v38, 0x7c01
	s_mov_b32 s27, exec_lo
	v_cmpx_ne_u32_e32 0x7f, v2
	s_cbranch_execz .LBB306_649
; %bb.646:                              ;   in Loop: Header=BB306_16 Depth=1
	v_and_b32_e32 v0, 7, v7
	v_lshrrev_b32_e32 v1, 3, v2
	s_mov_b32 s28, exec_lo
	v_cmpx_gt_u32_e32 8, v2
; %bb.647:                              ;   in Loop: Header=BB306_16 Depth=1
	v_ffbh_u32_e32 v0, v0
	v_min_u32_e32 v2, 32, v0
	v_subrev_nc_u32_e32 v0, 28, v2
	v_lshlrev_b64 v[0:1], v0, v[7:8]
	v_sub_nc_u32_e32 v1, 29, v2
	v_and_b32_e32 v0, 7, v0
; %bb.648:                              ;   in Loop: Header=BB306_16 Depth=1
	s_or_b32 exec_lo, exec_lo, s28
	v_lshlrev_b32_e32 v2, 8, v7
	v_lshl_add_u32 v1, v1, 10, 0x2000
	v_lshlrev_b32_e32 v0, 7, v0
	v_and_b32_e32 v2, 0x8000, v2
	v_and_b32_e32 v1, 0xfc00, v1
	v_or3_b32 v38, v2, v1, v0
.LBB306_649:                            ;   in Loop: Header=BB306_16 Depth=1
	s_or_b32 exec_lo, exec_lo, s27
.LBB306_650:                            ;   in Loop: Header=BB306_16 Depth=1
	s_or_b32 exec_lo, exec_lo, s26
.LBB306_651:                            ;   in Loop: Header=BB306_16 Depth=1
	s_or_b32 exec_lo, exec_lo, s25
	v_mov_b32_e32 v0, 0
	v_mov_b32_e32 v49, 0
	s_mov_b32 s25, exec_lo
	v_cmpx_lt_u64_e64 s[20:21], v[33:34]
	s_cbranch_execz .LBB306_659
; %bb.652:                              ;   in Loop: Header=BB306_16 Depth=1
	v_lshrrev_b32_e32 v7, 24, v34
	v_bfrev_b32_e32 v49, 1
	s_mov_b32 s26, exec_lo
	v_cmpx_ne_u32_e32 0x80, v7
	s_cbranch_execz .LBB306_658
; %bb.653:                              ;   in Loop: Header=BB306_16 Depth=1
	v_and_b32_e32 v3, 0x7f, v7
	v_mov_b32_e32 v49, 0x7c010000
	s_mov_b32 s27, exec_lo
	v_cmpx_ne_u32_e32 0x7f, v3
	s_cbranch_execz .LBB306_657
; %bb.654:                              ;   in Loop: Header=BB306_16 Depth=1
	v_and_b32_e32 v1, 7, v7
	v_lshrrev_b32_e32 v2, 3, v3
	s_mov_b32 s28, exec_lo
	v_cmpx_gt_u32_e32 8, v3
; %bb.655:                              ;   in Loop: Header=BB306_16 Depth=1
	v_ffbh_u32_e32 v1, v1
	v_min_u32_e32 v3, 32, v1
	v_subrev_nc_u32_e32 v1, 28, v3
	v_lshlrev_b64 v[1:2], v1, v[7:8]
	v_sub_nc_u32_e32 v2, 29, v3
	v_and_b32_e32 v1, 7, v1
; %bb.656:                              ;   in Loop: Header=BB306_16 Depth=1
	s_or_b32 exec_lo, exec_lo, s28
	v_lshlrev_b32_e32 v3, 8, v7
	v_lshl_add_u32 v2, v2, 10, 0x2000
	v_lshlrev_b32_e32 v1, 23, v1
	v_and_or_b32 v2, 0x8000, v3, v2
	v_lshl_or_b32 v49, v2, 16, v1
.LBB306_657:                            ;   in Loop: Header=BB306_16 Depth=1
	s_or_b32 exec_lo, exec_lo, s27
.LBB306_658:                            ;   in Loop: Header=BB306_16 Depth=1
	s_or_b32 exec_lo, exec_lo, s26
.LBB306_659:                            ;   in Loop: Header=BB306_16 Depth=1
	s_or_b32 exec_lo, exec_lo, s25
	flat_load_dwordx2 v[33:34], v[31:32] offset:512
	s_waitcnt vmcnt(0) lgkmcnt(0)
	v_cmp_ne_u16_sdwa s5, v33, v8 src0_sel:BYTE_0 src1_sel:DWORD
	s_and_saveexec_b32 s25, s5
	s_cbranch_execz .LBB306_667
; %bb.660:                              ;   in Loop: Header=BB306_16 Depth=1
	v_cmp_ne_u16_sdwa s5, v33, v68 src0_sel:BYTE_0 src1_sel:DWORD
	v_mov_b32_e32 v0, 0x8000
	s_and_saveexec_b32 s26, s5
	s_cbranch_execz .LBB306_666
; %bb.661:                              ;   in Loop: Header=BB306_16 Depth=1
	v_and_b32_e32 v2, 0x7f, v33
	v_mov_b32_e32 v0, 0x7c01
	s_mov_b32 s27, exec_lo
	v_cmpx_ne_u32_e32 0x7f, v2
	s_cbranch_execz .LBB306_665
; %bb.662:                              ;   in Loop: Header=BB306_16 Depth=1
	v_and_b32_e32 v0, 7, v33
	v_lshrrev_b32_e32 v1, 3, v2
	s_mov_b32 s28, exec_lo
	v_cmpx_gt_u32_e32 8, v2
; %bb.663:                              ;   in Loop: Header=BB306_16 Depth=1
	v_ffbh_u32_e32 v0, v0
	v_min_u32_e32 v2, 32, v0
	v_subrev_nc_u32_e32 v0, 28, v2
	v_lshlrev_b64 v[0:1], v0, v[33:34]
	v_sub_nc_u32_e32 v1, 29, v2
	v_and_b32_e32 v0, 7, v0
; %bb.664:                              ;   in Loop: Header=BB306_16 Depth=1
	s_or_b32 exec_lo, exec_lo, s28
	v_lshlrev_b32_e32 v2, 8, v33
	v_lshl_add_u32 v1, v1, 10, 0x2000
	v_lshlrev_b32_e32 v0, 7, v0
	v_and_b32_e32 v2, 0x8000, v2
	v_and_b32_e32 v1, 0xfc00, v1
	v_or3_b32 v0, v2, v1, v0
.LBB306_665:                            ;   in Loop: Header=BB306_16 Depth=1
	s_or_b32 exec_lo, exec_lo, s27
.LBB306_666:                            ;   in Loop: Header=BB306_16 Depth=1
	s_or_b32 exec_lo, exec_lo, s26
.LBB306_667:                            ;   in Loop: Header=BB306_16 Depth=1
	s_or_b32 exec_lo, exec_lo, s25
	v_lshrrev_b16 v7, 8, v33
	v_mov_b32_e32 v2, 0
	v_mov_b32_e32 v1, 0
	s_mov_b32 s25, exec_lo
	v_cmpx_ne_u16_e32 0, v7
	s_cbranch_execz .LBB306_675
; %bb.668:                              ;   in Loop: Header=BB306_16 Depth=1
	v_bfrev_b32_e32 v1, 1
	s_mov_b32 s26, exec_lo
	v_cmpx_ne_u16_e32 0x80, v7
	s_cbranch_execz .LBB306_674
; %bb.669:                              ;   in Loop: Header=BB306_16 Depth=1
	v_mov_b32_e32 v1, 0x7f
	s_mov_b32 s27, exec_lo
	v_and_b32_sdwa v4, v7, v1 dst_sel:DWORD dst_unused:UNUSED_PAD src0_sel:WORD_0 src1_sel:DWORD
	v_mov_b32_e32 v1, 0x7c010000
	v_cmpx_ne_u32_e32 0x7f, v4
	s_cbranch_execz .LBB306_673
; %bb.670:                              ;   in Loop: Header=BB306_16 Depth=1
	v_mov_b32_e32 v1, 7
	v_lshrrev_b32_e32 v3, 3, v4
	s_mov_b32 s28, exec_lo
	v_and_b32_sdwa v1, v7, v1 dst_sel:DWORD dst_unused:UNUSED_PAD src0_sel:WORD_0 src1_sel:DWORD
	v_cmpx_gt_u32_e32 8, v4
; %bb.671:                              ;   in Loop: Header=BB306_16 Depth=1
	v_ffbh_u32_e32 v1, v1
	v_min_u32_e32 v1, 32, v1
	v_subrev_nc_u32_e32 v3, 28, v1
	v_lshlrev_b64 v[4:5], v3, v[7:8]
	v_sub_nc_u32_e32 v3, 29, v1
	v_and_b32_e32 v1, 7, v4
; %bb.672:                              ;   in Loop: Header=BB306_16 Depth=1
	s_or_b32 exec_lo, exec_lo, s28
	v_mov_b32_e32 v4, 8
	v_lshl_add_u32 v3, v3, 10, 0x2000
	v_lshlrev_b32_e32 v1, 23, v1
	v_lshlrev_b32_sdwa v4, v4, v7 dst_sel:DWORD dst_unused:UNUSED_PAD src0_sel:DWORD src1_sel:WORD_0
	v_and_or_b32 v3, 0x8000, v4, v3
	v_lshl_or_b32 v1, v3, 16, v1
.LBB306_673:                            ;   in Loop: Header=BB306_16 Depth=1
	s_or_b32 exec_lo, exec_lo, s27
.LBB306_674:                            ;   in Loop: Header=BB306_16 Depth=1
	s_or_b32 exec_lo, exec_lo, s26
.LBB306_675:                            ;   in Loop: Header=BB306_16 Depth=1
	s_or_b32 exec_lo, exec_lo, s25
	v_lshrrev_b32_e32 v7, 16, v33
	v_cmp_ne_u16_sdwa s5, v7, v8 src0_sel:BYTE_0 src1_sel:DWORD
	s_and_saveexec_b32 s25, s5
	s_cbranch_execz .LBB306_683
; %bb.676:                              ;   in Loop: Header=BB306_16 Depth=1
	v_cmp_ne_u16_sdwa s5, v7, v68 src0_sel:BYTE_0 src1_sel:DWORD
	v_mov_b32_e32 v2, 0x8000
	s_and_saveexec_b32 s26, s5
	s_cbranch_execz .LBB306_682
; %bb.677:                              ;   in Loop: Header=BB306_16 Depth=1
	v_bfe_u32 v4, v33, 16, 7
	v_mov_b32_e32 v2, 0x7c01
	s_mov_b32 s27, exec_lo
	v_cmpx_ne_u32_e32 0x7f, v4
	s_cbranch_execz .LBB306_681
; %bb.678:                              ;   in Loop: Header=BB306_16 Depth=1
	v_and_b32_e32 v2, 7, v7
	v_lshrrev_b32_e32 v3, 3, v4
	s_mov_b32 s28, exec_lo
	v_cmpx_gt_u32_e32 8, v4
; %bb.679:                              ;   in Loop: Header=BB306_16 Depth=1
	v_ffbh_u32_e32 v2, v2
	v_min_u32_e32 v4, 32, v2
	v_subrev_nc_u32_e32 v2, 28, v4
	v_lshlrev_b64 v[2:3], v2, v[7:8]
	v_sub_nc_u32_e32 v3, 29, v4
	v_and_b32_e32 v2, 7, v2
; %bb.680:                              ;   in Loop: Header=BB306_16 Depth=1
	s_or_b32 exec_lo, exec_lo, s28
	v_lshlrev_b32_e32 v4, 8, v7
	v_lshl_add_u32 v3, v3, 10, 0x2000
	v_lshlrev_b32_e32 v2, 7, v2
	v_and_b32_e32 v4, 0x8000, v4
	v_and_b32_e32 v3, 0xfc00, v3
	v_or3_b32 v2, v4, v3, v2
.LBB306_681:                            ;   in Loop: Header=BB306_16 Depth=1
	s_or_b32 exec_lo, exec_lo, s27
.LBB306_682:                            ;   in Loop: Header=BB306_16 Depth=1
	s_or_b32 exec_lo, exec_lo, s26
.LBB306_683:                            ;   in Loop: Header=BB306_16 Depth=1
	s_or_b32 exec_lo, exec_lo, s25
	v_mov_b32_e32 v4, 0
	v_mov_b32_e32 v3, 0
	s_mov_b32 s25, exec_lo
	v_cmpx_lt_u32_e32 0xffffff, v33
	s_cbranch_execz .LBB306_691
; %bb.684:                              ;   in Loop: Header=BB306_16 Depth=1
	v_lshrrev_b32_e32 v7, 24, v33
	v_bfrev_b32_e32 v3, 1
	s_mov_b32 s26, exec_lo
	v_cmpx_ne_u32_e32 0x80, v7
	s_cbranch_execz .LBB306_690
; %bb.685:                              ;   in Loop: Header=BB306_16 Depth=1
	v_and_b32_e32 v15, 0x7f, v7
	v_mov_b32_e32 v3, 0x7c010000
	s_mov_b32 s27, exec_lo
	v_cmpx_ne_u32_e32 0x7f, v15
	s_cbranch_execz .LBB306_689
; %bb.686:                              ;   in Loop: Header=BB306_16 Depth=1
	v_and_b32_e32 v3, 7, v7
	v_lshrrev_b32_e32 v5, 3, v15
	s_mov_b32 s28, exec_lo
	v_cmpx_gt_u32_e32 8, v15
; %bb.687:                              ;   in Loop: Header=BB306_16 Depth=1
	v_ffbh_u32_e32 v3, v3
	v_min_u32_e32 v3, 32, v3
	v_subrev_nc_u32_e32 v5, 28, v3
	v_lshlrev_b64 v[15:16], v5, v[7:8]
	v_sub_nc_u32_e32 v5, 29, v3
	v_and_b32_e32 v3, 7, v15
; %bb.688:                              ;   in Loop: Header=BB306_16 Depth=1
	s_or_b32 exec_lo, exec_lo, s28
	v_lshlrev_b32_e32 v7, 8, v7
	v_lshl_add_u32 v5, v5, 10, 0x2000
	v_lshlrev_b32_e32 v3, 23, v3
	v_and_or_b32 v5, 0x8000, v7, v5
	v_lshl_or_b32 v3, v5, 16, v3
.LBB306_689:                            ;   in Loop: Header=BB306_16 Depth=1
	s_or_b32 exec_lo, exec_lo, s27
.LBB306_690:                            ;   in Loop: Header=BB306_16 Depth=1
	s_or_b32 exec_lo, exec_lo, s26
.LBB306_691:                            ;   in Loop: Header=BB306_16 Depth=1
	s_or_b32 exec_lo, exec_lo, s25
	v_mov_b32_e32 v7, v34
	v_cmp_ne_u16_sdwa s5, v34, v8 src0_sel:BYTE_0 src1_sel:DWORD
	s_and_saveexec_b32 s25, s5
	s_cbranch_execz .LBB306_699
; %bb.692:                              ;   in Loop: Header=BB306_16 Depth=1
	v_cmp_ne_u16_sdwa s5, v34, v68 src0_sel:BYTE_0 src1_sel:DWORD
	v_mov_b32_e32 v4, 0x8000
	s_and_saveexec_b32 s26, s5
	s_cbranch_execz .LBB306_698
; %bb.693:                              ;   in Loop: Header=BB306_16 Depth=1
	v_and_b32_e32 v15, 0x7f, v34
	v_mov_b32_e32 v4, 0x7c01
	s_mov_b32 s27, exec_lo
	v_cmpx_ne_u32_e32 0x7f, v15
	s_cbranch_execz .LBB306_697
; %bb.694:                              ;   in Loop: Header=BB306_16 Depth=1
	v_and_b32_e32 v4, 7, v34
	v_lshrrev_b32_e32 v5, 3, v15
	s_mov_b32 s28, exec_lo
	v_cmpx_gt_u32_e32 8, v15
; %bb.695:                              ;   in Loop: Header=BB306_16 Depth=1
	v_ffbh_u32_e32 v4, v4
	v_min_u32_e32 v15, 32, v4
	v_subrev_nc_u32_e32 v4, 28, v15
	v_lshlrev_b64 v[4:5], v4, v[7:8]
	v_sub_nc_u32_e32 v5, 29, v15
	v_and_b32_e32 v4, 7, v4
; %bb.696:                              ;   in Loop: Header=BB306_16 Depth=1
	s_or_b32 exec_lo, exec_lo, s28
	v_lshlrev_b32_e32 v15, 8, v34
	v_lshl_add_u32 v5, v5, 10, 0x2000
	v_lshlrev_b32_e32 v4, 7, v4
	v_and_b32_e32 v15, 0x8000, v15
	v_and_b32_e32 v5, 0xfc00, v5
	v_or3_b32 v4, v15, v5, v4
.LBB306_697:                            ;   in Loop: Header=BB306_16 Depth=1
	s_or_b32 exec_lo, exec_lo, s27
.LBB306_698:                            ;   in Loop: Header=BB306_16 Depth=1
	s_or_b32 exec_lo, exec_lo, s26
.LBB306_699:                            ;   in Loop: Header=BB306_16 Depth=1
	s_or_b32 exec_lo, exec_lo, s25
	v_lshrrev_b16 v7, 8, v7
	v_mov_b32_e32 v5, 0
	v_mov_b32_e32 v25, 0
	s_mov_b32 s25, exec_lo
	v_cmpx_ne_u16_e32 0, v7
	s_cbranch_execz .LBB306_707
; %bb.700:                              ;   in Loop: Header=BB306_16 Depth=1
	v_bfrev_b32_e32 v25, 1
	s_mov_b32 s26, exec_lo
	v_cmpx_ne_u16_e32 0x80, v7
	s_cbranch_execz .LBB306_706
; %bb.701:                              ;   in Loop: Header=BB306_16 Depth=1
	v_mov_b32_e32 v15, 0x7f
	v_mov_b32_e32 v25, 0x7c010000
	s_mov_b32 s27, exec_lo
	v_and_b32_sdwa v17, v7, v15 dst_sel:DWORD dst_unused:UNUSED_PAD src0_sel:WORD_0 src1_sel:DWORD
	v_cmpx_ne_u32_e32 0x7f, v17
	s_cbranch_execz .LBB306_705
; %bb.702:                              ;   in Loop: Header=BB306_16 Depth=1
	v_mov_b32_e32 v15, 7
	v_lshrrev_b32_e32 v16, 3, v17
	s_mov_b32 s28, exec_lo
	v_and_b32_sdwa v15, v7, v15 dst_sel:DWORD dst_unused:UNUSED_PAD src0_sel:WORD_0 src1_sel:DWORD
	v_cmpx_gt_u32_e32 8, v17
; %bb.703:                              ;   in Loop: Header=BB306_16 Depth=1
	v_ffbh_u32_e32 v15, v15
	v_min_u32_e32 v17, 32, v15
	v_subrev_nc_u32_e32 v15, 28, v17
	v_lshlrev_b64 v[15:16], v15, v[7:8]
	v_sub_nc_u32_e32 v16, 29, v17
	v_and_b32_e32 v15, 7, v15
; %bb.704:                              ;   in Loop: Header=BB306_16 Depth=1
	s_or_b32 exec_lo, exec_lo, s28
	v_mov_b32_e32 v17, 8
	v_lshl_add_u32 v16, v16, 10, 0x2000
	v_lshlrev_b32_e32 v15, 23, v15
	v_lshlrev_b32_sdwa v7, v17, v7 dst_sel:DWORD dst_unused:UNUSED_PAD src0_sel:DWORD src1_sel:WORD_0
	v_and_or_b32 v7, 0x8000, v7, v16
	v_lshl_or_b32 v25, v7, 16, v15
.LBB306_705:                            ;   in Loop: Header=BB306_16 Depth=1
	s_or_b32 exec_lo, exec_lo, s27
.LBB306_706:                            ;   in Loop: Header=BB306_16 Depth=1
	s_or_b32 exec_lo, exec_lo, s26
.LBB306_707:                            ;   in Loop: Header=BB306_16 Depth=1
	s_or_b32 exec_lo, exec_lo, s25
	v_lshrrev_b32_e32 v7, 16, v34
	v_cmp_ne_u16_sdwa s5, v7, v8 src0_sel:BYTE_0 src1_sel:DWORD
	s_and_saveexec_b32 s25, s5
	s_cbranch_execz .LBB306_715
; %bb.708:                              ;   in Loop: Header=BB306_16 Depth=1
	v_cmp_ne_u16_sdwa s5, v7, v68 src0_sel:BYTE_0 src1_sel:DWORD
	v_mov_b32_e32 v5, 0x8000
	s_and_saveexec_b32 s26, s5
	s_cbranch_execz .LBB306_714
; %bb.709:                              ;   in Loop: Header=BB306_16 Depth=1
	v_bfe_u32 v16, v34, 16, 7
	v_mov_b32_e32 v5, 0x7c01
	s_mov_b32 s27, exec_lo
	v_cmpx_ne_u32_e32 0x7f, v16
	s_cbranch_execz .LBB306_713
; %bb.710:                              ;   in Loop: Header=BB306_16 Depth=1
	v_and_b32_e32 v5, 7, v7
	v_lshrrev_b32_e32 v15, 3, v16
	s_mov_b32 s28, exec_lo
	v_cmpx_gt_u32_e32 8, v16
; %bb.711:                              ;   in Loop: Header=BB306_16 Depth=1
	v_ffbh_u32_e32 v5, v5
	v_min_u32_e32 v5, 32, v5
	v_subrev_nc_u32_e32 v15, 28, v5
	v_lshlrev_b64 v[16:17], v15, v[7:8]
	v_sub_nc_u32_e32 v15, 29, v5
	v_and_b32_e32 v5, 7, v16
; %bb.712:                              ;   in Loop: Header=BB306_16 Depth=1
	s_or_b32 exec_lo, exec_lo, s28
	v_lshlrev_b32_e32 v7, 8, v7
	v_lshl_add_u32 v15, v15, 10, 0x2000
	v_lshlrev_b32_e32 v5, 7, v5
	v_and_b32_e32 v7, 0x8000, v7
	v_and_b32_e32 v15, 0xfc00, v15
	v_or3_b32 v5, v7, v15, v5
.LBB306_713:                            ;   in Loop: Header=BB306_16 Depth=1
	s_or_b32 exec_lo, exec_lo, s27
.LBB306_714:                            ;   in Loop: Header=BB306_16 Depth=1
	s_or_b32 exec_lo, exec_lo, s26
.LBB306_715:                            ;   in Loop: Header=BB306_16 Depth=1
	s_or_b32 exec_lo, exec_lo, s25
	v_mov_b32_e32 v15, 0
	v_mov_b32_e32 v51, 0
	s_mov_b32 s25, exec_lo
	v_cmpx_lt_u64_e64 s[20:21], v[33:34]
	s_cbranch_execz .LBB306_723
; %bb.716:                              ;   in Loop: Header=BB306_16 Depth=1
	v_lshrrev_b32_e32 v7, 24, v34
	v_bfrev_b32_e32 v51, 1
	s_mov_b32 s26, exec_lo
	v_cmpx_ne_u32_e32 0x80, v7
	s_cbranch_execz .LBB306_722
; %bb.717:                              ;   in Loop: Header=BB306_16 Depth=1
	v_and_b32_e32 v19, 0x7f, v7
	v_mov_b32_e32 v51, 0x7c010000
	s_mov_b32 s27, exec_lo
	v_cmpx_ne_u32_e32 0x7f, v19
	s_cbranch_execz .LBB306_721
; %bb.718:                              ;   in Loop: Header=BB306_16 Depth=1
	v_and_b32_e32 v16, 7, v7
	v_lshrrev_b32_e32 v17, 3, v19
	s_mov_b32 s28, exec_lo
	v_cmpx_gt_u32_e32 8, v19
; %bb.719:                              ;   in Loop: Header=BB306_16 Depth=1
	v_ffbh_u32_e32 v16, v16
	v_min_u32_e32 v19, 32, v16
	v_subrev_nc_u32_e32 v16, 28, v19
	v_lshlrev_b64 v[16:17], v16, v[7:8]
	v_sub_nc_u32_e32 v17, 29, v19
	v_and_b32_e32 v16, 7, v16
; %bb.720:                              ;   in Loop: Header=BB306_16 Depth=1
	s_or_b32 exec_lo, exec_lo, s28
	v_lshlrev_b32_e32 v7, 8, v7
	v_lshl_add_u32 v17, v17, 10, 0x2000
	v_lshlrev_b32_e32 v16, 23, v16
	v_and_or_b32 v7, 0x8000, v7, v17
	v_lshl_or_b32 v51, v7, 16, v16
.LBB306_721:                            ;   in Loop: Header=BB306_16 Depth=1
	s_or_b32 exec_lo, exec_lo, s27
.LBB306_722:                            ;   in Loop: Header=BB306_16 Depth=1
	s_or_b32 exec_lo, exec_lo, s26
.LBB306_723:                            ;   in Loop: Header=BB306_16 Depth=1
	s_or_b32 exec_lo, exec_lo, s25
	flat_load_dwordx2 v[33:34], v[31:32] offset:520
	s_waitcnt vmcnt(0) lgkmcnt(0)
	v_cmp_ne_u16_sdwa s5, v33, v8 src0_sel:BYTE_0 src1_sel:DWORD
	s_and_saveexec_b32 s25, s5
	s_cbranch_execz .LBB306_731
; %bb.724:                              ;   in Loop: Header=BB306_16 Depth=1
	v_cmp_ne_u16_sdwa s5, v33, v68 src0_sel:BYTE_0 src1_sel:DWORD
	v_mov_b32_e32 v15, 0x8000
	s_and_saveexec_b32 s26, s5
	s_cbranch_execz .LBB306_730
; %bb.725:                              ;   in Loop: Header=BB306_16 Depth=1
	v_and_b32_e32 v16, 0x7f, v33
	v_mov_b32_e32 v15, 0x7c01
	s_mov_b32 s27, exec_lo
	v_cmpx_ne_u32_e32 0x7f, v16
	s_cbranch_execz .LBB306_729
; %bb.726:                              ;   in Loop: Header=BB306_16 Depth=1
	v_and_b32_e32 v7, 7, v33
	v_lshrrev_b32_e32 v15, 3, v16
	s_mov_b32 s28, exec_lo
	v_cmpx_gt_u32_e32 8, v16
; %bb.727:                              ;   in Loop: Header=BB306_16 Depth=1
	v_ffbh_u32_e32 v7, v7
	v_min_u32_e32 v7, 32, v7
	v_subrev_nc_u32_e32 v15, 28, v7
	v_lshlrev_b64 v[16:17], v15, v[33:34]
	v_sub_nc_u32_e32 v15, 29, v7
	v_and_b32_e32 v7, 7, v16
; %bb.728:                              ;   in Loop: Header=BB306_16 Depth=1
	s_or_b32 exec_lo, exec_lo, s28
	v_lshlrev_b32_e32 v16, 8, v33
	v_lshl_add_u32 v15, v15, 10, 0x2000
	v_lshlrev_b32_e32 v7, 7, v7
	v_and_b32_e32 v16, 0x8000, v16
	v_and_b32_e32 v15, 0xfc00, v15
	v_or3_b32 v15, v16, v15, v7
.LBB306_729:                            ;   in Loop: Header=BB306_16 Depth=1
	s_or_b32 exec_lo, exec_lo, s27
.LBB306_730:                            ;   in Loop: Header=BB306_16 Depth=1
	s_or_b32 exec_lo, exec_lo, s26
.LBB306_731:                            ;   in Loop: Header=BB306_16 Depth=1
	s_or_b32 exec_lo, exec_lo, s25
	v_lshrrev_b16 v7, 8, v33
	v_mov_b32_e32 v53, 0
	v_mov_b32_e32 v19, 0
	s_mov_b32 s25, exec_lo
	v_cmpx_ne_u16_e32 0, v7
	s_cbranch_execz .LBB306_739
; %bb.732:                              ;   in Loop: Header=BB306_16 Depth=1
	v_bfrev_b32_e32 v19, 1
	s_mov_b32 s26, exec_lo
	v_cmpx_ne_u16_e32 0x80, v7
	s_cbranch_execz .LBB306_738
; %bb.733:                              ;   in Loop: Header=BB306_16 Depth=1
	v_mov_b32_e32 v16, 0x7f
	v_mov_b32_e32 v19, 0x7c010000
	s_mov_b32 s27, exec_lo
	v_and_b32_sdwa v26, v7, v16 dst_sel:DWORD dst_unused:UNUSED_PAD src0_sel:WORD_0 src1_sel:DWORD
	v_cmpx_ne_u32_e32 0x7f, v26
	s_cbranch_execz .LBB306_737
; %bb.734:                              ;   in Loop: Header=BB306_16 Depth=1
	v_mov_b32_e32 v16, 7
	v_lshrrev_b32_e32 v17, 3, v26
	s_mov_b32 s28, exec_lo
	v_and_b32_sdwa v16, v7, v16 dst_sel:DWORD dst_unused:UNUSED_PAD src0_sel:WORD_0 src1_sel:DWORD
	v_cmpx_gt_u32_e32 8, v26
; %bb.735:                              ;   in Loop: Header=BB306_16 Depth=1
	v_ffbh_u32_e32 v16, v16
	v_min_u32_e32 v19, 32, v16
	v_subrev_nc_u32_e32 v16, 28, v19
	v_lshlrev_b64 v[16:17], v16, v[7:8]
	v_sub_nc_u32_e32 v17, 29, v19
	v_and_b32_e32 v16, 7, v16
; %bb.736:                              ;   in Loop: Header=BB306_16 Depth=1
	s_or_b32 exec_lo, exec_lo, s28
	v_mov_b32_e32 v19, 8
	v_lshl_add_u32 v17, v17, 10, 0x2000
	v_lshlrev_b32_e32 v16, 23, v16
	v_lshlrev_b32_sdwa v7, v19, v7 dst_sel:DWORD dst_unused:UNUSED_PAD src0_sel:DWORD src1_sel:WORD_0
	v_and_or_b32 v7, 0x8000, v7, v17
	v_lshl_or_b32 v19, v7, 16, v16
.LBB306_737:                            ;   in Loop: Header=BB306_16 Depth=1
	s_or_b32 exec_lo, exec_lo, s27
.LBB306_738:                            ;   in Loop: Header=BB306_16 Depth=1
	s_or_b32 exec_lo, exec_lo, s26
.LBB306_739:                            ;   in Loop: Header=BB306_16 Depth=1
	s_or_b32 exec_lo, exec_lo, s25
	v_lshrrev_b32_e32 v7, 16, v33
	v_cmp_ne_u16_sdwa s5, v7, v8 src0_sel:BYTE_0 src1_sel:DWORD
	s_and_saveexec_b32 s25, s5
	s_cbranch_execz .LBB306_747
; %bb.740:                              ;   in Loop: Header=BB306_16 Depth=1
	v_cmp_ne_u16_sdwa s5, v7, v68 src0_sel:BYTE_0 src1_sel:DWORD
	v_mov_b32_e32 v53, 0x8000
	s_and_saveexec_b32 s26, s5
	s_cbranch_execz .LBB306_746
; %bb.741:                              ;   in Loop: Header=BB306_16 Depth=1
	v_bfe_u32 v26, v33, 16, 7
	v_mov_b32_e32 v53, 0x7c01
	s_mov_b32 s27, exec_lo
	v_cmpx_ne_u32_e32 0x7f, v26
	s_cbranch_execz .LBB306_745
; %bb.742:                              ;   in Loop: Header=BB306_16 Depth=1
	v_and_b32_e32 v16, 7, v7
	v_lshrrev_b32_e32 v17, 3, v26
	s_mov_b32 s28, exec_lo
	v_cmpx_gt_u32_e32 8, v26
; %bb.743:                              ;   in Loop: Header=BB306_16 Depth=1
	v_ffbh_u32_e32 v16, v16
	v_min_u32_e32 v26, 32, v16
	v_subrev_nc_u32_e32 v16, 28, v26
	v_lshlrev_b64 v[16:17], v16, v[7:8]
	v_sub_nc_u32_e32 v17, 29, v26
	v_and_b32_e32 v16, 7, v16
; %bb.744:                              ;   in Loop: Header=BB306_16 Depth=1
	s_or_b32 exec_lo, exec_lo, s28
	v_lshlrev_b32_e32 v7, 8, v7
	v_lshl_add_u32 v17, v17, 10, 0x2000
	v_lshlrev_b32_e32 v16, 7, v16
	v_and_b32_e32 v7, 0x8000, v7
	v_and_b32_e32 v17, 0xfc00, v17
	v_or3_b32 v53, v7, v17, v16
.LBB306_745:                            ;   in Loop: Header=BB306_16 Depth=1
	s_or_b32 exec_lo, exec_lo, s27
.LBB306_746:                            ;   in Loop: Header=BB306_16 Depth=1
	s_or_b32 exec_lo, exec_lo, s26
.LBB306_747:                            ;   in Loop: Header=BB306_16 Depth=1
	s_or_b32 exec_lo, exec_lo, s25
	v_mov_b32_e32 v55, 0
	v_mov_b32_e32 v66, 0
	s_mov_b32 s25, exec_lo
	v_cmpx_lt_u32_e32 0xffffff, v33
	s_cbranch_execz .LBB306_755
; %bb.748:                              ;   in Loop: Header=BB306_16 Depth=1
	v_lshrrev_b32_e32 v7, 24, v33
	v_bfrev_b32_e32 v66, 1
	s_mov_b32 s26, exec_lo
	v_cmpx_ne_u32_e32 0x80, v7
	s_cbranch_execz .LBB306_754
; %bb.749:                              ;   in Loop: Header=BB306_16 Depth=1
	v_and_b32_e32 v26, 0x7f, v7
	v_mov_b32_e32 v66, 0x7c010000
	s_mov_b32 s27, exec_lo
	v_cmpx_ne_u32_e32 0x7f, v26
	s_cbranch_execz .LBB306_753
; %bb.750:                              ;   in Loop: Header=BB306_16 Depth=1
	v_and_b32_e32 v16, 7, v7
	v_lshrrev_b32_e32 v17, 3, v26
	s_mov_b32 s28, exec_lo
	v_cmpx_gt_u32_e32 8, v26
; %bb.751:                              ;   in Loop: Header=BB306_16 Depth=1
	v_ffbh_u32_e32 v16, v16
	v_min_u32_e32 v26, 32, v16
	v_subrev_nc_u32_e32 v16, 28, v26
	v_lshlrev_b64 v[16:17], v16, v[7:8]
	v_sub_nc_u32_e32 v17, 29, v26
	v_and_b32_e32 v16, 7, v16
; %bb.752:                              ;   in Loop: Header=BB306_16 Depth=1
	s_or_b32 exec_lo, exec_lo, s28
	v_lshlrev_b32_e32 v7, 8, v7
	v_lshl_add_u32 v17, v17, 10, 0x2000
	v_lshlrev_b32_e32 v16, 23, v16
	v_and_or_b32 v7, 0x8000, v7, v17
	v_lshl_or_b32 v66, v7, 16, v16
.LBB306_753:                            ;   in Loop: Header=BB306_16 Depth=1
	s_or_b32 exec_lo, exec_lo, s27
.LBB306_754:                            ;   in Loop: Header=BB306_16 Depth=1
	s_or_b32 exec_lo, exec_lo, s26
.LBB306_755:                            ;   in Loop: Header=BB306_16 Depth=1
	s_or_b32 exec_lo, exec_lo, s25
	v_mov_b32_e32 v7, v34
	v_cmp_ne_u16_sdwa s5, v34, v8 src0_sel:BYTE_0 src1_sel:DWORD
	s_and_saveexec_b32 s25, s5
	s_cbranch_execz .LBB306_763
; %bb.756:                              ;   in Loop: Header=BB306_16 Depth=1
	v_cmp_ne_u16_sdwa s5, v34, v68 src0_sel:BYTE_0 src1_sel:DWORD
	v_mov_b32_e32 v55, 0x8000
	s_and_saveexec_b32 s26, s5
	s_cbranch_execz .LBB306_762
; %bb.757:                              ;   in Loop: Header=BB306_16 Depth=1
	v_and_b32_e32 v26, 0x7f, v34
	v_mov_b32_e32 v55, 0x7c01
	s_mov_b32 s27, exec_lo
	v_cmpx_ne_u32_e32 0x7f, v26
	s_cbranch_execz .LBB306_761
; %bb.758:                              ;   in Loop: Header=BB306_16 Depth=1
	v_and_b32_e32 v16, 7, v34
	v_lshrrev_b32_e32 v17, 3, v26
	s_mov_b32 s28, exec_lo
	v_cmpx_gt_u32_e32 8, v26
; %bb.759:                              ;   in Loop: Header=BB306_16 Depth=1
	v_ffbh_u32_e32 v16, v16
	v_min_u32_e32 v26, 32, v16
	v_subrev_nc_u32_e32 v16, 28, v26
	v_lshlrev_b64 v[16:17], v16, v[7:8]
	v_sub_nc_u32_e32 v17, 29, v26
	v_and_b32_e32 v16, 7, v16
; %bb.760:                              ;   in Loop: Header=BB306_16 Depth=1
	s_or_b32 exec_lo, exec_lo, s28
	v_lshlrev_b32_e32 v26, 8, v34
	v_lshl_add_u32 v17, v17, 10, 0x2000
	v_lshlrev_b32_e32 v16, 7, v16
	v_and_b32_e32 v26, 0x8000, v26
	v_and_b32_e32 v17, 0xfc00, v17
	v_or3_b32 v55, v26, v17, v16
.LBB306_761:                            ;   in Loop: Header=BB306_16 Depth=1
	s_or_b32 exec_lo, exec_lo, s27
.LBB306_762:                            ;   in Loop: Header=BB306_16 Depth=1
	s_or_b32 exec_lo, exec_lo, s26
.LBB306_763:                            ;   in Loop: Header=BB306_16 Depth=1
	s_or_b32 exec_lo, exec_lo, s25
	v_lshrrev_b16 v7, 8, v7
	v_mov_b32_e32 v100, 0
	v_mov_b32_e32 v102, 0
	s_mov_b32 s25, exec_lo
	v_cmpx_ne_u16_e32 0, v7
	s_cbranch_execz .LBB306_771
; %bb.764:                              ;   in Loop: Header=BB306_16 Depth=1
	v_bfrev_b32_e32 v102, 1
	s_mov_b32 s26, exec_lo
	v_cmpx_ne_u16_e32 0x80, v7
	s_cbranch_execz .LBB306_770
; %bb.765:                              ;   in Loop: Header=BB306_16 Depth=1
	v_mov_b32_e32 v16, 0x7f
	v_mov_b32_e32 v102, 0x7c010000
	s_mov_b32 s27, exec_lo
	v_and_b32_sdwa v26, v7, v16 dst_sel:DWORD dst_unused:UNUSED_PAD src0_sel:WORD_0 src1_sel:DWORD
	v_cmpx_ne_u32_e32 0x7f, v26
	s_cbranch_execz .LBB306_769
; %bb.766:                              ;   in Loop: Header=BB306_16 Depth=1
	v_mov_b32_e32 v16, 7
	v_lshrrev_b32_e32 v17, 3, v26
	s_mov_b32 s28, exec_lo
	v_and_b32_sdwa v16, v7, v16 dst_sel:DWORD dst_unused:UNUSED_PAD src0_sel:WORD_0 src1_sel:DWORD
	v_cmpx_gt_u32_e32 8, v26
; %bb.767:                              ;   in Loop: Header=BB306_16 Depth=1
	v_ffbh_u32_e32 v16, v16
	v_min_u32_e32 v26, 32, v16
	v_subrev_nc_u32_e32 v16, 28, v26
	v_lshlrev_b64 v[16:17], v16, v[7:8]
	v_sub_nc_u32_e32 v17, 29, v26
	v_and_b32_e32 v16, 7, v16
; %bb.768:                              ;   in Loop: Header=BB306_16 Depth=1
	s_or_b32 exec_lo, exec_lo, s28
	v_mov_b32_e32 v26, 8
	v_lshl_add_u32 v17, v17, 10, 0x2000
	v_lshlrev_b32_e32 v16, 23, v16
	v_lshlrev_b32_sdwa v7, v26, v7 dst_sel:DWORD dst_unused:UNUSED_PAD src0_sel:DWORD src1_sel:WORD_0
	v_and_or_b32 v7, 0x8000, v7, v17
	v_lshl_or_b32 v102, v7, 16, v16
.LBB306_769:                            ;   in Loop: Header=BB306_16 Depth=1
	s_or_b32 exec_lo, exec_lo, s27
.LBB306_770:                            ;   in Loop: Header=BB306_16 Depth=1
	s_or_b32 exec_lo, exec_lo, s26
.LBB306_771:                            ;   in Loop: Header=BB306_16 Depth=1
	s_or_b32 exec_lo, exec_lo, s25
	v_lshrrev_b32_e32 v7, 16, v34
	v_cmp_ne_u16_sdwa s5, v7, v8 src0_sel:BYTE_0 src1_sel:DWORD
	s_and_saveexec_b32 s25, s5
	s_cbranch_execz .LBB306_779
; %bb.772:                              ;   in Loop: Header=BB306_16 Depth=1
	v_cmp_ne_u16_sdwa s5, v7, v68 src0_sel:BYTE_0 src1_sel:DWORD
	v_mov_b32_e32 v100, 0x8000
	s_and_saveexec_b32 s26, s5
	s_cbranch_execz .LBB306_778
; %bb.773:                              ;   in Loop: Header=BB306_16 Depth=1
	v_bfe_u32 v26, v34, 16, 7
	v_mov_b32_e32 v100, 0x7c01
	s_mov_b32 s27, exec_lo
	v_cmpx_ne_u32_e32 0x7f, v26
	s_cbranch_execz .LBB306_777
; %bb.774:                              ;   in Loop: Header=BB306_16 Depth=1
	v_and_b32_e32 v16, 7, v7
	v_lshrrev_b32_e32 v17, 3, v26
	s_mov_b32 s28, exec_lo
	v_cmpx_gt_u32_e32 8, v26
; %bb.775:                              ;   in Loop: Header=BB306_16 Depth=1
	v_ffbh_u32_e32 v16, v16
	v_min_u32_e32 v26, 32, v16
	v_subrev_nc_u32_e32 v16, 28, v26
	v_lshlrev_b64 v[16:17], v16, v[7:8]
	v_sub_nc_u32_e32 v17, 29, v26
	v_and_b32_e32 v16, 7, v16
; %bb.776:                              ;   in Loop: Header=BB306_16 Depth=1
	s_or_b32 exec_lo, exec_lo, s28
	v_lshlrev_b32_e32 v7, 8, v7
	v_lshl_add_u32 v17, v17, 10, 0x2000
	v_lshlrev_b32_e32 v16, 7, v16
	v_and_b32_e32 v7, 0x8000, v7
	v_and_b32_e32 v17, 0xfc00, v17
	v_or3_b32 v100, v7, v17, v16
.LBB306_777:                            ;   in Loop: Header=BB306_16 Depth=1
	s_or_b32 exec_lo, exec_lo, s27
.LBB306_778:                            ;   in Loop: Header=BB306_16 Depth=1
	s_or_b32 exec_lo, exec_lo, s26
.LBB306_779:                            ;   in Loop: Header=BB306_16 Depth=1
	s_or_b32 exec_lo, exec_lo, s25
	v_mov_b32_e32 v113, 0
	v_mov_b32_e32 v103, 0
	s_mov_b32 s25, exec_lo
	v_cmpx_lt_u64_e64 s[20:21], v[33:34]
	s_cbranch_execz .LBB306_787
; %bb.780:                              ;   in Loop: Header=BB306_16 Depth=1
	v_lshrrev_b32_e32 v7, 24, v34
	v_bfrev_b32_e32 v103, 1
	s_mov_b32 s26, exec_lo
	v_cmpx_ne_u32_e32 0x80, v7
	s_cbranch_execz .LBB306_786
; %bb.781:                              ;   in Loop: Header=BB306_16 Depth=1
	v_and_b32_e32 v26, 0x7f, v7
	v_mov_b32_e32 v103, 0x7c010000
	s_mov_b32 s27, exec_lo
	v_cmpx_ne_u32_e32 0x7f, v26
	s_cbranch_execz .LBB306_785
; %bb.782:                              ;   in Loop: Header=BB306_16 Depth=1
	v_and_b32_e32 v16, 7, v7
	v_lshrrev_b32_e32 v17, 3, v26
	s_mov_b32 s28, exec_lo
	v_cmpx_gt_u32_e32 8, v26
; %bb.783:                              ;   in Loop: Header=BB306_16 Depth=1
	v_ffbh_u32_e32 v16, v16
	v_min_u32_e32 v26, 32, v16
	v_subrev_nc_u32_e32 v16, 28, v26
	v_lshlrev_b64 v[16:17], v16, v[7:8]
	v_sub_nc_u32_e32 v17, 29, v26
	v_and_b32_e32 v16, 7, v16
; %bb.784:                              ;   in Loop: Header=BB306_16 Depth=1
	s_or_b32 exec_lo, exec_lo, s28
	v_lshlrev_b32_e32 v7, 8, v7
	v_lshl_add_u32 v17, v17, 10, 0x2000
	v_lshlrev_b32_e32 v16, 23, v16
	v_and_or_b32 v7, 0x8000, v7, v17
	v_lshl_or_b32 v103, v7, 16, v16
.LBB306_785:                            ;   in Loop: Header=BB306_16 Depth=1
	s_or_b32 exec_lo, exec_lo, s27
.LBB306_786:                            ;   in Loop: Header=BB306_16 Depth=1
	s_or_b32 exec_lo, exec_lo, s26
.LBB306_787:                            ;   in Loop: Header=BB306_16 Depth=1
	s_or_b32 exec_lo, exec_lo, s25
	flat_load_dwordx2 v[33:34], v[31:32] offset:1024
	s_waitcnt vmcnt(0) lgkmcnt(0)
	v_cmp_ne_u16_sdwa s5, v33, v8 src0_sel:BYTE_0 src1_sel:DWORD
	s_and_saveexec_b32 s25, s5
	s_cbranch_execz .LBB306_795
; %bb.788:                              ;   in Loop: Header=BB306_16 Depth=1
	v_cmp_ne_u16_sdwa s5, v33, v68 src0_sel:BYTE_0 src1_sel:DWORD
	v_mov_b32_e32 v113, 0x8000
	s_and_saveexec_b32 s26, s5
	s_cbranch_execz .LBB306_794
; %bb.789:                              ;   in Loop: Header=BB306_16 Depth=1
	v_and_b32_e32 v17, 0x7f, v33
	v_mov_b32_e32 v113, 0x7c01
	s_mov_b32 s27, exec_lo
	v_cmpx_ne_u32_e32 0x7f, v17
	s_cbranch_execz .LBB306_793
; %bb.790:                              ;   in Loop: Header=BB306_16 Depth=1
	v_and_b32_e32 v7, 7, v33
	v_lshrrev_b32_e32 v16, 3, v17
	s_mov_b32 s28, exec_lo
	v_cmpx_gt_u32_e32 8, v17
	s_cbranch_execz .LBB306_792
; %bb.791:                              ;   in Loop: Header=BB306_16 Depth=1
	v_ffbh_u32_e32 v7, v7
	v_mov_b32_e32 v17, v27
	v_min_u32_e32 v7, 32, v7
	v_subrev_nc_u32_e32 v16, 28, v7
	v_lshlrev_b64 v[26:27], v16, v[33:34]
	v_mov_b32_e32 v27, v17
	v_sub_nc_u32_e32 v16, 29, v7
	v_and_b32_e32 v7, 7, v26
.LBB306_792:                            ;   in Loop: Header=BB306_16 Depth=1
	s_or_b32 exec_lo, exec_lo, s28
	v_lshlrev_b32_e32 v17, 8, v33
	v_lshl_add_u32 v16, v16, 10, 0x2000
	v_lshlrev_b32_e32 v7, 7, v7
	v_and_b32_e32 v17, 0x8000, v17
	v_and_b32_e32 v16, 0xfc00, v16
	v_or3_b32 v113, v17, v16, v7
.LBB306_793:                            ;   in Loop: Header=BB306_16 Depth=1
	s_or_b32 exec_lo, exec_lo, s27
.LBB306_794:                            ;   in Loop: Header=BB306_16 Depth=1
	s_or_b32 exec_lo, exec_lo, s26
.LBB306_795:                            ;   in Loop: Header=BB306_16 Depth=1
	s_or_b32 exec_lo, exec_lo, s25
	v_lshrrev_b16 v7, 8, v33
	v_mov_b32_e32 v90, 0
	v_mov_b32_e32 v89, 0
	s_mov_b32 s25, exec_lo
	v_cmpx_ne_u16_e32 0, v7
	s_cbranch_execz .LBB306_803
; %bb.796:                              ;   in Loop: Header=BB306_16 Depth=1
	v_bfrev_b32_e32 v89, 1
	s_mov_b32 s26, exec_lo
	v_cmpx_ne_u16_e32 0x80, v7
	s_cbranch_execz .LBB306_802
; %bb.797:                              ;   in Loop: Header=BB306_16 Depth=1
	v_mov_b32_e32 v16, 0x7f
	v_mov_b32_e32 v89, 0x7c010000
	s_mov_b32 s27, exec_lo
	v_and_b32_sdwa v26, v7, v16 dst_sel:DWORD dst_unused:UNUSED_PAD src0_sel:WORD_0 src1_sel:DWORD
	v_cmpx_ne_u32_e32 0x7f, v26
	s_cbranch_execz .LBB306_801
; %bb.798:                              ;   in Loop: Header=BB306_16 Depth=1
	v_mov_b32_e32 v16, 7
	v_lshrrev_b32_e32 v17, 3, v26
	s_mov_b32 s28, exec_lo
	v_and_b32_sdwa v16, v7, v16 dst_sel:DWORD dst_unused:UNUSED_PAD src0_sel:WORD_0 src1_sel:DWORD
	v_cmpx_gt_u32_e32 8, v26
; %bb.799:                              ;   in Loop: Header=BB306_16 Depth=1
	v_ffbh_u32_e32 v16, v16
	v_min_u32_e32 v26, 32, v16
	v_subrev_nc_u32_e32 v16, 28, v26
	v_lshlrev_b64 v[16:17], v16, v[7:8]
	v_sub_nc_u32_e32 v17, 29, v26
	v_and_b32_e32 v16, 7, v16
; %bb.800:                              ;   in Loop: Header=BB306_16 Depth=1
	s_or_b32 exec_lo, exec_lo, s28
	v_mov_b32_e32 v26, 8
	v_lshl_add_u32 v17, v17, 10, 0x2000
	v_lshlrev_b32_e32 v16, 23, v16
	v_lshlrev_b32_sdwa v7, v26, v7 dst_sel:DWORD dst_unused:UNUSED_PAD src0_sel:DWORD src1_sel:WORD_0
	v_and_or_b32 v7, 0x8000, v7, v17
	v_lshl_or_b32 v89, v7, 16, v16
.LBB306_801:                            ;   in Loop: Header=BB306_16 Depth=1
	s_or_b32 exec_lo, exec_lo, s27
.LBB306_802:                            ;   in Loop: Header=BB306_16 Depth=1
	s_or_b32 exec_lo, exec_lo, s26
.LBB306_803:                            ;   in Loop: Header=BB306_16 Depth=1
	s_or_b32 exec_lo, exec_lo, s25
	v_lshrrev_b32_e32 v7, 16, v33
	v_cmp_ne_u16_sdwa s5, v7, v8 src0_sel:BYTE_0 src1_sel:DWORD
	s_and_saveexec_b32 s25, s5
	s_cbranch_execz .LBB306_811
; %bb.804:                              ;   in Loop: Header=BB306_16 Depth=1
	v_cmp_ne_u16_sdwa s5, v7, v68 src0_sel:BYTE_0 src1_sel:DWORD
	v_mov_b32_e32 v90, 0x8000
	s_and_saveexec_b32 s26, s5
	s_cbranch_execz .LBB306_810
; %bb.805:                              ;   in Loop: Header=BB306_16 Depth=1
	v_bfe_u32 v26, v33, 16, 7
	v_mov_b32_e32 v90, 0x7c01
	s_mov_b32 s27, exec_lo
	v_cmpx_ne_u32_e32 0x7f, v26
	s_cbranch_execz .LBB306_809
; %bb.806:                              ;   in Loop: Header=BB306_16 Depth=1
	v_and_b32_e32 v16, 7, v7
	v_lshrrev_b32_e32 v17, 3, v26
	s_mov_b32 s28, exec_lo
	v_cmpx_gt_u32_e32 8, v26
; %bb.807:                              ;   in Loop: Header=BB306_16 Depth=1
	v_ffbh_u32_e32 v16, v16
	v_min_u32_e32 v26, 32, v16
	v_subrev_nc_u32_e32 v16, 28, v26
	v_lshlrev_b64 v[16:17], v16, v[7:8]
	v_sub_nc_u32_e32 v17, 29, v26
	v_and_b32_e32 v16, 7, v16
; %bb.808:                              ;   in Loop: Header=BB306_16 Depth=1
	s_or_b32 exec_lo, exec_lo, s28
	v_lshlrev_b32_e32 v7, 8, v7
	v_lshl_add_u32 v17, v17, 10, 0x2000
	v_lshlrev_b32_e32 v16, 7, v16
	v_and_b32_e32 v7, 0x8000, v7
	v_and_b32_e32 v17, 0xfc00, v17
	v_or3_b32 v90, v7, v17, v16
.LBB306_809:                            ;   in Loop: Header=BB306_16 Depth=1
	s_or_b32 exec_lo, exec_lo, s27
.LBB306_810:                            ;   in Loop: Header=BB306_16 Depth=1
	s_or_b32 exec_lo, exec_lo, s26
.LBB306_811:                            ;   in Loop: Header=BB306_16 Depth=1
	s_or_b32 exec_lo, exec_lo, s25
	v_mov_b32_e32 v93, 0
	v_mov_b32_e32 v94, 0
	s_mov_b32 s25, exec_lo
	v_cmpx_lt_u32_e32 0xffffff, v33
	s_cbranch_execz .LBB306_819
; %bb.812:                              ;   in Loop: Header=BB306_16 Depth=1
	v_lshrrev_b32_e32 v7, 24, v33
	v_bfrev_b32_e32 v94, 1
	s_mov_b32 s26, exec_lo
	v_cmpx_ne_u32_e32 0x80, v7
	s_cbranch_execz .LBB306_818
; %bb.813:                              ;   in Loop: Header=BB306_16 Depth=1
	v_and_b32_e32 v26, 0x7f, v7
	v_mov_b32_e32 v94, 0x7c010000
	s_mov_b32 s27, exec_lo
	v_cmpx_ne_u32_e32 0x7f, v26
	s_cbranch_execz .LBB306_817
; %bb.814:                              ;   in Loop: Header=BB306_16 Depth=1
	v_and_b32_e32 v16, 7, v7
	v_lshrrev_b32_e32 v17, 3, v26
	s_mov_b32 s28, exec_lo
	v_cmpx_gt_u32_e32 8, v26
; %bb.815:                              ;   in Loop: Header=BB306_16 Depth=1
	v_ffbh_u32_e32 v16, v16
	v_min_u32_e32 v26, 32, v16
	v_subrev_nc_u32_e32 v16, 28, v26
	v_lshlrev_b64 v[16:17], v16, v[7:8]
	v_sub_nc_u32_e32 v17, 29, v26
	v_and_b32_e32 v16, 7, v16
; %bb.816:                              ;   in Loop: Header=BB306_16 Depth=1
	s_or_b32 exec_lo, exec_lo, s28
	v_lshlrev_b32_e32 v7, 8, v7
	v_lshl_add_u32 v17, v17, 10, 0x2000
	v_lshlrev_b32_e32 v16, 23, v16
	v_and_or_b32 v7, 0x8000, v7, v17
	v_lshl_or_b32 v94, v7, 16, v16
.LBB306_817:                            ;   in Loop: Header=BB306_16 Depth=1
	s_or_b32 exec_lo, exec_lo, s27
.LBB306_818:                            ;   in Loop: Header=BB306_16 Depth=1
	s_or_b32 exec_lo, exec_lo, s26
.LBB306_819:                            ;   in Loop: Header=BB306_16 Depth=1
	s_or_b32 exec_lo, exec_lo, s25
	v_mov_b32_e32 v7, v34
	v_cmp_ne_u16_sdwa s5, v34, v8 src0_sel:BYTE_0 src1_sel:DWORD
	s_and_saveexec_b32 s25, s5
	s_cbranch_execz .LBB306_827
; %bb.820:                              ;   in Loop: Header=BB306_16 Depth=1
	v_cmp_ne_u16_sdwa s5, v34, v68 src0_sel:BYTE_0 src1_sel:DWORD
	v_mov_b32_e32 v93, 0x8000
	s_and_saveexec_b32 s26, s5
	s_cbranch_execz .LBB306_826
; %bb.821:                              ;   in Loop: Header=BB306_16 Depth=1
	v_and_b32_e32 v26, 0x7f, v34
	v_mov_b32_e32 v93, 0x7c01
	s_mov_b32 s27, exec_lo
	v_cmpx_ne_u32_e32 0x7f, v26
	s_cbranch_execz .LBB306_825
; %bb.822:                              ;   in Loop: Header=BB306_16 Depth=1
	v_and_b32_e32 v16, 7, v34
	v_lshrrev_b32_e32 v17, 3, v26
	s_mov_b32 s28, exec_lo
	v_cmpx_gt_u32_e32 8, v26
; %bb.823:                              ;   in Loop: Header=BB306_16 Depth=1
	v_ffbh_u32_e32 v16, v16
	v_min_u32_e32 v26, 32, v16
	v_subrev_nc_u32_e32 v16, 28, v26
	v_lshlrev_b64 v[16:17], v16, v[7:8]
	v_sub_nc_u32_e32 v17, 29, v26
	v_and_b32_e32 v16, 7, v16
; %bb.824:                              ;   in Loop: Header=BB306_16 Depth=1
	s_or_b32 exec_lo, exec_lo, s28
	v_lshlrev_b32_e32 v26, 8, v34
	v_lshl_add_u32 v17, v17, 10, 0x2000
	v_lshlrev_b32_e32 v16, 7, v16
	v_and_b32_e32 v26, 0x8000, v26
	v_and_b32_e32 v17, 0xfc00, v17
	v_or3_b32 v93, v26, v17, v16
.LBB306_825:                            ;   in Loop: Header=BB306_16 Depth=1
	s_or_b32 exec_lo, exec_lo, s27
.LBB306_826:                            ;   in Loop: Header=BB306_16 Depth=1
	s_or_b32 exec_lo, exec_lo, s26
.LBB306_827:                            ;   in Loop: Header=BB306_16 Depth=1
	s_or_b32 exec_lo, exec_lo, s25
	v_lshrrev_b16 v7, 8, v7
	v_mov_b32_e32 v111, 0
	v_mov_b32_e32 v120, 0
	s_mov_b32 s25, exec_lo
	v_cmpx_ne_u16_e32 0, v7
	s_cbranch_execz .LBB306_835
; %bb.828:                              ;   in Loop: Header=BB306_16 Depth=1
	v_bfrev_b32_e32 v120, 1
	s_mov_b32 s26, exec_lo
	v_cmpx_ne_u16_e32 0x80, v7
	s_cbranch_execz .LBB306_834
; %bb.829:                              ;   in Loop: Header=BB306_16 Depth=1
	v_mov_b32_e32 v16, 0x7f
	v_mov_b32_e32 v120, 0x7c010000
	s_mov_b32 s27, exec_lo
	v_and_b32_sdwa v26, v7, v16 dst_sel:DWORD dst_unused:UNUSED_PAD src0_sel:WORD_0 src1_sel:DWORD
	v_cmpx_ne_u32_e32 0x7f, v26
	s_cbranch_execz .LBB306_833
; %bb.830:                              ;   in Loop: Header=BB306_16 Depth=1
	v_mov_b32_e32 v16, 7
	v_lshrrev_b32_e32 v17, 3, v26
	s_mov_b32 s28, exec_lo
	v_and_b32_sdwa v16, v7, v16 dst_sel:DWORD dst_unused:UNUSED_PAD src0_sel:WORD_0 src1_sel:DWORD
	v_cmpx_gt_u32_e32 8, v26
; %bb.831:                              ;   in Loop: Header=BB306_16 Depth=1
	v_ffbh_u32_e32 v16, v16
	v_min_u32_e32 v26, 32, v16
	v_subrev_nc_u32_e32 v16, 28, v26
	v_lshlrev_b64 v[16:17], v16, v[7:8]
	v_sub_nc_u32_e32 v17, 29, v26
	v_and_b32_e32 v16, 7, v16
; %bb.832:                              ;   in Loop: Header=BB306_16 Depth=1
	s_or_b32 exec_lo, exec_lo, s28
	v_mov_b32_e32 v26, 8
	v_lshl_add_u32 v17, v17, 10, 0x2000
	v_lshlrev_b32_e32 v16, 23, v16
	v_lshlrev_b32_sdwa v7, v26, v7 dst_sel:DWORD dst_unused:UNUSED_PAD src0_sel:DWORD src1_sel:WORD_0
	v_and_or_b32 v7, 0x8000, v7, v17
	v_lshl_or_b32 v120, v7, 16, v16
.LBB306_833:                            ;   in Loop: Header=BB306_16 Depth=1
	s_or_b32 exec_lo, exec_lo, s27
.LBB306_834:                            ;   in Loop: Header=BB306_16 Depth=1
	s_or_b32 exec_lo, exec_lo, s26
.LBB306_835:                            ;   in Loop: Header=BB306_16 Depth=1
	s_or_b32 exec_lo, exec_lo, s25
	v_lshrrev_b32_e32 v7, 16, v34
	v_cmp_ne_u16_sdwa s5, v7, v8 src0_sel:BYTE_0 src1_sel:DWORD
	s_and_saveexec_b32 s25, s5
	s_cbranch_execz .LBB306_843
; %bb.836:                              ;   in Loop: Header=BB306_16 Depth=1
	v_cmp_ne_u16_sdwa s5, v7, v68 src0_sel:BYTE_0 src1_sel:DWORD
	v_mov_b32_e32 v111, 0x8000
	s_and_saveexec_b32 s26, s5
	s_cbranch_execz .LBB306_842
; %bb.837:                              ;   in Loop: Header=BB306_16 Depth=1
	v_bfe_u32 v26, v34, 16, 7
	v_mov_b32_e32 v111, 0x7c01
	s_mov_b32 s27, exec_lo
	v_cmpx_ne_u32_e32 0x7f, v26
	s_cbranch_execz .LBB306_841
; %bb.838:                              ;   in Loop: Header=BB306_16 Depth=1
	v_and_b32_e32 v16, 7, v7
	v_lshrrev_b32_e32 v17, 3, v26
	s_mov_b32 s28, exec_lo
	v_cmpx_gt_u32_e32 8, v26
; %bb.839:                              ;   in Loop: Header=BB306_16 Depth=1
	v_ffbh_u32_e32 v16, v16
	v_min_u32_e32 v26, 32, v16
	v_subrev_nc_u32_e32 v16, 28, v26
	v_lshlrev_b64 v[16:17], v16, v[7:8]
	v_sub_nc_u32_e32 v17, 29, v26
	v_and_b32_e32 v16, 7, v16
; %bb.840:                              ;   in Loop: Header=BB306_16 Depth=1
	s_or_b32 exec_lo, exec_lo, s28
	v_lshlrev_b32_e32 v7, 8, v7
	v_lshl_add_u32 v17, v17, 10, 0x2000
	v_lshlrev_b32_e32 v16, 7, v16
	v_and_b32_e32 v7, 0x8000, v7
	v_and_b32_e32 v17, 0xfc00, v17
	v_or3_b32 v111, v7, v17, v16
.LBB306_841:                            ;   in Loop: Header=BB306_16 Depth=1
	s_or_b32 exec_lo, exec_lo, s27
.LBB306_842:                            ;   in Loop: Header=BB306_16 Depth=1
	s_or_b32 exec_lo, exec_lo, s26
.LBB306_843:                            ;   in Loop: Header=BB306_16 Depth=1
	s_or_b32 exec_lo, exec_lo, s25
	v_cmp_lt_u64_e64 s5, s[20:21], v[33:34]
	v_mov_b32_e32 v33, 0
	v_mov_b32_e32 v121, 0
	s_and_saveexec_b32 s25, s5
	s_cbranch_execz .LBB306_851
; %bb.844:                              ;   in Loop: Header=BB306_16 Depth=1
	v_lshrrev_b32_e32 v7, 24, v34
	v_bfrev_b32_e32 v121, 1
	s_mov_b32 s26, exec_lo
	v_cmpx_ne_u32_e32 0x80, v7
	s_cbranch_execz .LBB306_850
; %bb.845:                              ;   in Loop: Header=BB306_16 Depth=1
	v_and_b32_e32 v26, 0x7f, v7
	v_mov_b32_e32 v121, 0x7c010000
	s_mov_b32 s27, exec_lo
	v_cmpx_ne_u32_e32 0x7f, v26
	s_cbranch_execz .LBB306_849
; %bb.846:                              ;   in Loop: Header=BB306_16 Depth=1
	v_and_b32_e32 v16, 7, v7
	v_lshrrev_b32_e32 v17, 3, v26
	s_mov_b32 s28, exec_lo
	v_cmpx_gt_u32_e32 8, v26
; %bb.847:                              ;   in Loop: Header=BB306_16 Depth=1
	v_ffbh_u32_e32 v16, v16
	v_min_u32_e32 v26, 32, v16
	v_subrev_nc_u32_e32 v16, 28, v26
	v_lshlrev_b64 v[16:17], v16, v[7:8]
	v_sub_nc_u32_e32 v17, 29, v26
	v_and_b32_e32 v16, 7, v16
; %bb.848:                              ;   in Loop: Header=BB306_16 Depth=1
	s_or_b32 exec_lo, exec_lo, s28
	v_lshlrev_b32_e32 v7, 8, v7
	v_lshl_add_u32 v17, v17, 10, 0x2000
	v_lshlrev_b32_e32 v16, 23, v16
	v_and_or_b32 v7, 0x8000, v7, v17
	v_lshl_or_b32 v121, v7, 16, v16
.LBB306_849:                            ;   in Loop: Header=BB306_16 Depth=1
	s_or_b32 exec_lo, exec_lo, s27
.LBB306_850:                            ;   in Loop: Header=BB306_16 Depth=1
	s_or_b32 exec_lo, exec_lo, s26
.LBB306_851:                            ;   in Loop: Header=BB306_16 Depth=1
	s_or_b32 exec_lo, exec_lo, s25
	flat_load_dwordx2 v[31:32], v[31:32] offset:1032
	s_waitcnt vmcnt(0) lgkmcnt(0)
	v_cmp_ne_u16_sdwa s5, v31, v8 src0_sel:BYTE_0 src1_sel:DWORD
	s_and_saveexec_b32 s25, s5
	s_cbranch_execz .LBB306_859
; %bb.852:                              ;   in Loop: Header=BB306_16 Depth=1
	v_cmp_ne_u16_sdwa s5, v31, v68 src0_sel:BYTE_0 src1_sel:DWORD
	v_mov_b32_e32 v33, 0x8000
	s_and_saveexec_b32 s26, s5
	s_cbranch_execz .LBB306_858
; %bb.853:                              ;   in Loop: Header=BB306_16 Depth=1
	v_and_b32_e32 v17, 0x7f, v31
	v_mov_b32_e32 v33, 0x7c01
	s_mov_b32 s27, exec_lo
	v_cmpx_ne_u32_e32 0x7f, v17
	s_cbranch_execz .LBB306_857
; %bb.854:                              ;   in Loop: Header=BB306_16 Depth=1
	v_and_b32_e32 v7, 7, v31
	v_lshrrev_b32_e32 v16, 3, v17
	s_mov_b32 s28, exec_lo
	v_cmpx_gt_u32_e32 8, v17
	s_cbranch_execz .LBB306_856
; %bb.855:                              ;   in Loop: Header=BB306_16 Depth=1
	v_ffbh_u32_e32 v7, v7
	v_mov_b32_e32 v17, v27
	v_min_u32_e32 v7, 32, v7
	v_subrev_nc_u32_e32 v16, 28, v7
	v_lshlrev_b64 v[26:27], v16, v[31:32]
	v_mov_b32_e32 v27, v17
	v_sub_nc_u32_e32 v16, 29, v7
	v_and_b32_e32 v7, 7, v26
.LBB306_856:                            ;   in Loop: Header=BB306_16 Depth=1
	s_or_b32 exec_lo, exec_lo, s28
	v_lshlrev_b32_e32 v17, 8, v31
	v_lshl_add_u32 v16, v16, 10, 0x2000
	v_lshlrev_b32_e32 v7, 7, v7
	v_and_b32_e32 v17, 0x8000, v17
	v_and_b32_e32 v16, 0xfc00, v16
	v_or3_b32 v33, v17, v16, v7
.LBB306_857:                            ;   in Loop: Header=BB306_16 Depth=1
	s_or_b32 exec_lo, exec_lo, s27
.LBB306_858:                            ;   in Loop: Header=BB306_16 Depth=1
	s_or_b32 exec_lo, exec_lo, s26
.LBB306_859:                            ;   in Loop: Header=BB306_16 Depth=1
	s_or_b32 exec_lo, exec_lo, s25
	v_lshrrev_b16 v7, 8, v31
	v_mov_b32_e32 v85, 0
	v_mov_b32_e32 v87, 0
	s_mov_b32 s25, exec_lo
	v_cmpx_ne_u16_e32 0, v7
	s_cbranch_execz .LBB306_867
; %bb.860:                              ;   in Loop: Header=BB306_16 Depth=1
	v_bfrev_b32_e32 v87, 1
	s_mov_b32 s26, exec_lo
	v_cmpx_ne_u16_e32 0x80, v7
	s_cbranch_execz .LBB306_866
; %bb.861:                              ;   in Loop: Header=BB306_16 Depth=1
	v_mov_b32_e32 v16, 0x7f
	v_mov_b32_e32 v87, 0x7c010000
	s_mov_b32 s27, exec_lo
	v_and_b32_sdwa v26, v7, v16 dst_sel:DWORD dst_unused:UNUSED_PAD src0_sel:WORD_0 src1_sel:DWORD
	v_cmpx_ne_u32_e32 0x7f, v26
	s_cbranch_execz .LBB306_865
; %bb.862:                              ;   in Loop: Header=BB306_16 Depth=1
	v_mov_b32_e32 v16, 7
	v_lshrrev_b32_e32 v17, 3, v26
	s_mov_b32 s28, exec_lo
	v_and_b32_sdwa v16, v7, v16 dst_sel:DWORD dst_unused:UNUSED_PAD src0_sel:WORD_0 src1_sel:DWORD
	v_cmpx_gt_u32_e32 8, v26
; %bb.863:                              ;   in Loop: Header=BB306_16 Depth=1
	v_ffbh_u32_e32 v16, v16
	v_min_u32_e32 v26, 32, v16
	v_subrev_nc_u32_e32 v16, 28, v26
	v_lshlrev_b64 v[16:17], v16, v[7:8]
	v_sub_nc_u32_e32 v17, 29, v26
	v_and_b32_e32 v16, 7, v16
; %bb.864:                              ;   in Loop: Header=BB306_16 Depth=1
	s_or_b32 exec_lo, exec_lo, s28
	v_mov_b32_e32 v26, 8
	v_lshl_add_u32 v17, v17, 10, 0x2000
	v_lshlrev_b32_e32 v16, 23, v16
	v_lshlrev_b32_sdwa v7, v26, v7 dst_sel:DWORD dst_unused:UNUSED_PAD src0_sel:DWORD src1_sel:WORD_0
	v_and_or_b32 v7, 0x8000, v7, v17
	v_lshl_or_b32 v87, v7, 16, v16
.LBB306_865:                            ;   in Loop: Header=BB306_16 Depth=1
	s_or_b32 exec_lo, exec_lo, s27
.LBB306_866:                            ;   in Loop: Header=BB306_16 Depth=1
	s_or_b32 exec_lo, exec_lo, s26
.LBB306_867:                            ;   in Loop: Header=BB306_16 Depth=1
	s_or_b32 exec_lo, exec_lo, s25
	v_lshrrev_b32_e32 v7, 16, v31
	v_cmp_ne_u16_sdwa s5, v7, v8 src0_sel:BYTE_0 src1_sel:DWORD
	s_and_saveexec_b32 s25, s5
	s_cbranch_execz .LBB306_875
; %bb.868:                              ;   in Loop: Header=BB306_16 Depth=1
	v_cmp_ne_u16_sdwa s5, v7, v68 src0_sel:BYTE_0 src1_sel:DWORD
	v_mov_b32_e32 v85, 0x8000
	s_and_saveexec_b32 s26, s5
	s_cbranch_execz .LBB306_874
; %bb.869:                              ;   in Loop: Header=BB306_16 Depth=1
	v_bfe_u32 v26, v31, 16, 7
	v_mov_b32_e32 v85, 0x7c01
	s_mov_b32 s27, exec_lo
	v_cmpx_ne_u32_e32 0x7f, v26
	s_cbranch_execz .LBB306_873
; %bb.870:                              ;   in Loop: Header=BB306_16 Depth=1
	v_and_b32_e32 v16, 7, v7
	v_lshrrev_b32_e32 v17, 3, v26
	s_mov_b32 s28, exec_lo
	v_cmpx_gt_u32_e32 8, v26
; %bb.871:                              ;   in Loop: Header=BB306_16 Depth=1
	v_ffbh_u32_e32 v16, v16
	v_min_u32_e32 v26, 32, v16
	v_subrev_nc_u32_e32 v16, 28, v26
	v_lshlrev_b64 v[16:17], v16, v[7:8]
	v_sub_nc_u32_e32 v17, 29, v26
	v_and_b32_e32 v16, 7, v16
; %bb.872:                              ;   in Loop: Header=BB306_16 Depth=1
	s_or_b32 exec_lo, exec_lo, s28
	v_lshlrev_b32_e32 v7, 8, v7
	v_lshl_add_u32 v17, v17, 10, 0x2000
	v_lshlrev_b32_e32 v16, 7, v16
	v_and_b32_e32 v7, 0x8000, v7
	v_and_b32_e32 v17, 0xfc00, v17
	v_or3_b32 v85, v7, v17, v16
.LBB306_873:                            ;   in Loop: Header=BB306_16 Depth=1
	s_or_b32 exec_lo, exec_lo, s27
.LBB306_874:                            ;   in Loop: Header=BB306_16 Depth=1
	s_or_b32 exec_lo, exec_lo, s26
.LBB306_875:                            ;   in Loop: Header=BB306_16 Depth=1
	s_or_b32 exec_lo, exec_lo, s25
	v_mov_b32_e32 v96, 0
	v_mov_b32_e32 v105, 0
	s_mov_b32 s25, exec_lo
	v_cmpx_lt_u32_e32 0xffffff, v31
	s_cbranch_execz .LBB306_883
; %bb.876:                              ;   in Loop: Header=BB306_16 Depth=1
	v_lshrrev_b32_e32 v7, 24, v31
	v_bfrev_b32_e32 v105, 1
	s_mov_b32 s26, exec_lo
	v_cmpx_ne_u32_e32 0x80, v7
	s_cbranch_execz .LBB306_882
; %bb.877:                              ;   in Loop: Header=BB306_16 Depth=1
	v_and_b32_e32 v26, 0x7f, v7
	v_mov_b32_e32 v105, 0x7c010000
	s_mov_b32 s27, exec_lo
	v_cmpx_ne_u32_e32 0x7f, v26
	s_cbranch_execz .LBB306_881
; %bb.878:                              ;   in Loop: Header=BB306_16 Depth=1
	v_and_b32_e32 v16, 7, v7
	v_lshrrev_b32_e32 v17, 3, v26
	s_mov_b32 s28, exec_lo
	v_cmpx_gt_u32_e32 8, v26
; %bb.879:                              ;   in Loop: Header=BB306_16 Depth=1
	v_ffbh_u32_e32 v16, v16
	v_min_u32_e32 v26, 32, v16
	v_subrev_nc_u32_e32 v16, 28, v26
	v_lshlrev_b64 v[16:17], v16, v[7:8]
	v_sub_nc_u32_e32 v17, 29, v26
	v_and_b32_e32 v16, 7, v16
; %bb.880:                              ;   in Loop: Header=BB306_16 Depth=1
	s_or_b32 exec_lo, exec_lo, s28
	v_lshlrev_b32_e32 v7, 8, v7
	v_lshl_add_u32 v17, v17, 10, 0x2000
	v_lshlrev_b32_e32 v16, 23, v16
	v_and_or_b32 v7, 0x8000, v7, v17
	v_lshl_or_b32 v105, v7, 16, v16
.LBB306_881:                            ;   in Loop: Header=BB306_16 Depth=1
	s_or_b32 exec_lo, exec_lo, s27
.LBB306_882:                            ;   in Loop: Header=BB306_16 Depth=1
	s_or_b32 exec_lo, exec_lo, s26
.LBB306_883:                            ;   in Loop: Header=BB306_16 Depth=1
	s_or_b32 exec_lo, exec_lo, s25
	v_mov_b32_e32 v7, v32
	v_cmp_ne_u16_sdwa s5, v32, v8 src0_sel:BYTE_0 src1_sel:DWORD
	s_and_saveexec_b32 s25, s5
	s_cbranch_execz .LBB306_891
; %bb.884:                              ;   in Loop: Header=BB306_16 Depth=1
	v_cmp_ne_u16_sdwa s5, v32, v68 src0_sel:BYTE_0 src1_sel:DWORD
	v_mov_b32_e32 v96, 0x8000
	s_and_saveexec_b32 s26, s5
	s_cbranch_execz .LBB306_890
; %bb.885:                              ;   in Loop: Header=BB306_16 Depth=1
	v_and_b32_e32 v26, 0x7f, v32
	v_mov_b32_e32 v96, 0x7c01
	s_mov_b32 s27, exec_lo
	v_cmpx_ne_u32_e32 0x7f, v26
	s_cbranch_execz .LBB306_889
; %bb.886:                              ;   in Loop: Header=BB306_16 Depth=1
	v_and_b32_e32 v16, 7, v32
	v_lshrrev_b32_e32 v17, 3, v26
	s_mov_b32 s28, exec_lo
	v_cmpx_gt_u32_e32 8, v26
; %bb.887:                              ;   in Loop: Header=BB306_16 Depth=1
	v_ffbh_u32_e32 v16, v16
	v_min_u32_e32 v26, 32, v16
	v_subrev_nc_u32_e32 v16, 28, v26
	v_lshlrev_b64 v[16:17], v16, v[7:8]
	v_sub_nc_u32_e32 v17, 29, v26
	v_and_b32_e32 v16, 7, v16
; %bb.888:                              ;   in Loop: Header=BB306_16 Depth=1
	s_or_b32 exec_lo, exec_lo, s28
	v_lshlrev_b32_e32 v26, 8, v32
	v_lshl_add_u32 v17, v17, 10, 0x2000
	v_lshlrev_b32_e32 v16, 7, v16
	v_and_b32_e32 v26, 0x8000, v26
	v_and_b32_e32 v17, 0xfc00, v17
	v_or3_b32 v96, v26, v17, v16
.LBB306_889:                            ;   in Loop: Header=BB306_16 Depth=1
	s_or_b32 exec_lo, exec_lo, s27
.LBB306_890:                            ;   in Loop: Header=BB306_16 Depth=1
	s_or_b32 exec_lo, exec_lo, s26
.LBB306_891:                            ;   in Loop: Header=BB306_16 Depth=1
	s_or_b32 exec_lo, exec_lo, s25
	v_lshrrev_b16 v7, 8, v7
	v_mov_b32_e32 v106, 0
	v_mov_b32_e32 v107, 0
	s_mov_b32 s25, exec_lo
	v_cmpx_ne_u16_e32 0, v7
	s_cbranch_execz .LBB306_899
; %bb.892:                              ;   in Loop: Header=BB306_16 Depth=1
	v_bfrev_b32_e32 v107, 1
	s_mov_b32 s26, exec_lo
	v_cmpx_ne_u16_e32 0x80, v7
	s_cbranch_execz .LBB306_898
; %bb.893:                              ;   in Loop: Header=BB306_16 Depth=1
	v_mov_b32_e32 v16, 0x7f
	v_mov_b32_e32 v107, 0x7c010000
	s_mov_b32 s27, exec_lo
	v_and_b32_sdwa v26, v7, v16 dst_sel:DWORD dst_unused:UNUSED_PAD src0_sel:WORD_0 src1_sel:DWORD
	v_cmpx_ne_u32_e32 0x7f, v26
	s_cbranch_execz .LBB306_897
; %bb.894:                              ;   in Loop: Header=BB306_16 Depth=1
	v_mov_b32_e32 v16, 7
	v_lshrrev_b32_e32 v17, 3, v26
	s_mov_b32 s28, exec_lo
	v_and_b32_sdwa v16, v7, v16 dst_sel:DWORD dst_unused:UNUSED_PAD src0_sel:WORD_0 src1_sel:DWORD
	v_cmpx_gt_u32_e32 8, v26
; %bb.895:                              ;   in Loop: Header=BB306_16 Depth=1
	v_ffbh_u32_e32 v16, v16
	v_min_u32_e32 v26, 32, v16
	v_subrev_nc_u32_e32 v16, 28, v26
	v_lshlrev_b64 v[16:17], v16, v[7:8]
	v_sub_nc_u32_e32 v17, 29, v26
	v_and_b32_e32 v16, 7, v16
; %bb.896:                              ;   in Loop: Header=BB306_16 Depth=1
	s_or_b32 exec_lo, exec_lo, s28
	v_mov_b32_e32 v26, 8
	v_lshl_add_u32 v17, v17, 10, 0x2000
	v_lshlrev_b32_e32 v16, 23, v16
	v_lshlrev_b32_sdwa v7, v26, v7 dst_sel:DWORD dst_unused:UNUSED_PAD src0_sel:DWORD src1_sel:WORD_0
	v_and_or_b32 v7, 0x8000, v7, v17
	v_lshl_or_b32 v107, v7, 16, v16
.LBB306_897:                            ;   in Loop: Header=BB306_16 Depth=1
	s_or_b32 exec_lo, exec_lo, s27
.LBB306_898:                            ;   in Loop: Header=BB306_16 Depth=1
	s_or_b32 exec_lo, exec_lo, s26
.LBB306_899:                            ;   in Loop: Header=BB306_16 Depth=1
	s_or_b32 exec_lo, exec_lo, s25
	v_lshrrev_b32_e32 v7, 16, v32
	v_cmp_ne_u16_sdwa s5, v7, v8 src0_sel:BYTE_0 src1_sel:DWORD
	s_and_saveexec_b32 s25, s5
	s_cbranch_execz .LBB306_907
; %bb.900:                              ;   in Loop: Header=BB306_16 Depth=1
	v_cmp_ne_u16_sdwa s5, v7, v68 src0_sel:BYTE_0 src1_sel:DWORD
	v_mov_b32_e32 v106, 0x8000
	s_and_saveexec_b32 s26, s5
	s_cbranch_execz .LBB306_906
; %bb.901:                              ;   in Loop: Header=BB306_16 Depth=1
	v_bfe_u32 v26, v32, 16, 7
	v_mov_b32_e32 v106, 0x7c01
	s_mov_b32 s27, exec_lo
	v_cmpx_ne_u32_e32 0x7f, v26
	s_cbranch_execz .LBB306_905
; %bb.902:                              ;   in Loop: Header=BB306_16 Depth=1
	v_and_b32_e32 v16, 7, v7
	v_lshrrev_b32_e32 v17, 3, v26
	s_mov_b32 s28, exec_lo
	v_cmpx_gt_u32_e32 8, v26
; %bb.903:                              ;   in Loop: Header=BB306_16 Depth=1
	v_ffbh_u32_e32 v16, v16
	v_min_u32_e32 v26, 32, v16
	v_subrev_nc_u32_e32 v16, 28, v26
	v_lshlrev_b64 v[16:17], v16, v[7:8]
	v_sub_nc_u32_e32 v17, 29, v26
	v_and_b32_e32 v16, 7, v16
; %bb.904:                              ;   in Loop: Header=BB306_16 Depth=1
	s_or_b32 exec_lo, exec_lo, s28
	v_lshlrev_b32_e32 v7, 8, v7
	v_lshl_add_u32 v17, v17, 10, 0x2000
	v_lshlrev_b32_e32 v16, 7, v16
	v_and_b32_e32 v7, 0x8000, v7
	v_and_b32_e32 v17, 0xfc00, v17
	v_or3_b32 v106, v7, v17, v16
.LBB306_905:                            ;   in Loop: Header=BB306_16 Depth=1
	s_or_b32 exec_lo, exec_lo, s27
.LBB306_906:                            ;   in Loop: Header=BB306_16 Depth=1
	s_or_b32 exec_lo, exec_lo, s26
.LBB306_907:                            ;   in Loop: Header=BB306_16 Depth=1
	s_or_b32 exec_lo, exec_lo, s25
	v_mov_b32_e32 v16, 0
	s_mov_b32 s25, exec_lo
	v_cmpx_lt_u64_e64 s[20:21], v[31:32]
	s_cbranch_execz .LBB306_14
; %bb.908:                              ;   in Loop: Header=BB306_16 Depth=1
	v_lshrrev_b32_e32 v7, 24, v32
	v_bfrev_b32_e32 v16, 1
	s_mov_b32 s26, exec_lo
	v_cmpx_ne_u32_e32 0x80, v7
	s_cbranch_execz .LBB306_13
; %bb.909:                              ;   in Loop: Header=BB306_16 Depth=1
	v_and_b32_e32 v26, 0x7f, v7
	v_mov_b32_e32 v16, 0x7c010000
	s_mov_b32 s27, exec_lo
	v_cmpx_ne_u32_e32 0x7f, v26
	s_cbranch_execz .LBB306_12
; %bb.910:                              ;   in Loop: Header=BB306_16 Depth=1
	v_and_b32_e32 v16, 7, v7
	v_lshrrev_b32_e32 v17, 3, v26
	s_mov_b32 s28, exec_lo
	v_cmpx_gt_u32_e32 8, v26
	s_cbranch_execz .LBB306_11
; %bb.911:                              ;   in Loop: Header=BB306_16 Depth=1
	v_ffbh_u32_e32 v16, v16
	v_min_u32_e32 v26, 32, v16
	v_subrev_nc_u32_e32 v16, 28, v26
	v_lshlrev_b64 v[16:17], v16, v[7:8]
	v_sub_nc_u32_e32 v17, 29, v26
	v_and_b32_e32 v16, 7, v16
	s_branch .LBB306_11
.LBB306_912:
	s_or_b32 exec_lo, exec_lo, s24
	s_clause 0x10
	buffer_load_dword v19, off, s[0:3], s32 offset:340
	buffer_load_dword v15, off, s[0:3], s32 offset:344
	;; [unrolled: 1-line block ×17, first 2 shown]
.LBB306_913:
	s_or_b32 exec_lo, exec_lo, s23
	v_mbcnt_lo_u32_b32 v0, -1, 0
	v_max_f32_e32 v4, v13, v13
	s_waitcnt lgkmcnt(0)
	s_lshr_b32 s8, s22, 16
	v_xor_b32_e32 v1, 16, v0
	v_xor_b32_e32 v3, 8, v0
	;; [unrolled: 1-line block ×3, first 2 shown]
	v_cmp_gt_i32_e32 vcc_lo, 32, v1
	v_cndmask_b32_e32 v1, v0, v1, vcc_lo
	v_cmp_gt_i32_e32 vcc_lo, 32, v3
	v_lshlrev_b32_e32 v2, 2, v1
	v_cndmask_b32_e32 v3, v0, v3, vcc_lo
	v_cmp_gt_i32_e32 vcc_lo, 32, v5
	ds_bpermute_b32 v1, v2, v13
	v_lshlrev_b32_e32 v3, 2, v3
	v_cndmask_b32_e32 v5, v0, v5, vcc_lo
	s_waitcnt lgkmcnt(0)
	v_max_f32_e32 v1, v1, v1
	v_max_f32_e32 v1, v4, v1
	ds_bpermute_b32 v4, v3, v1
	s_waitcnt lgkmcnt(0)
	v_max_f32_e32 v6, v4, v4
	v_lshlrev_b32_e32 v4, 2, v5
	v_max_f32_e32 v1, v1, v6
	v_xor_b32_e32 v6, 2, v0
	ds_bpermute_b32 v5, v4, v1
	v_cmp_gt_i32_e32 vcc_lo, 32, v6
	v_cndmask_b32_e32 v6, v0, v6, vcc_lo
	v_lshlrev_b32_e32 v20, 2, v6
	v_xor_b32_e32 v6, 1, v0
	v_cmp_gt_i32_e32 vcc_lo, 32, v6
	s_waitcnt lgkmcnt(0)
	v_max_f32_e32 v5, v5, v5
	v_cndmask_b32_e32 v6, v0, v6, vcc_lo
	v_max_f32_e32 v1, v1, v5
	v_lshlrev_b32_e32 v13, 2, v6
	ds_bpermute_b32 v5, v20, v1
	s_waitcnt lgkmcnt(0)
	v_max_f32_e32 v5, v5, v5
	v_max_f32_e32 v0, v1, v5
	buffer_load_dword v5, off, s[0:3], s32 offset:296 ; 4-byte Folded Reload
	ds_bpermute_b32 v1, v13, v0
	s_waitcnt vmcnt(0)
	v_cmp_eq_u32_e32 vcc_lo, 0, v5
	buffer_load_dword v5, off, s[0:3], s32 offset:328 ; 4-byte Folded Reload
	s_waitcnt vmcnt(0)
	v_lshlrev_b32_e32 v5, 2, v5
	s_and_saveexec_b32 s5, vcc_lo
	s_cbranch_execz .LBB306_915
; %bb.914:
	s_waitcnt lgkmcnt(0)
	v_max_f32_e32 v1, v1, v1
	v_max_f32_e32 v0, v0, v0
	;; [unrolled: 1-line block ×3, first 2 shown]
	ds_write_b32 v5, v0 offset:224
.LBB306_915:
	s_or_b32 exec_lo, exec_lo, s5
	buffer_load_dword v0, off, s[0:3], s32 offset:296 ; 4-byte Folded Reload
	s_waitcnt vmcnt(0) lgkmcnt(0)
	s_waitcnt_vscnt null, 0x0
	s_barrier
	buffer_gl0_inv
	v_cmp_gt_u32_e64 s5, 4, v0
	v_mov_b32_e32 v0, 0xff7fffff
	s_and_saveexec_b32 s6, s5
; %bb.916:
	ds_read_b32 v0, v12 offset:224
; %bb.917:
	s_or_b32 exec_lo, exec_lo, s6
	buffer_load_dword v6, off, s[0:3], s32 offset:228 ; 4-byte Folded Reload
	s_waitcnt lgkmcnt(0)
	ds_bpermute_b32 v1, v20, v0
	v_max_f32_e32 v0, v0, v0
	s_waitcnt lgkmcnt(0)
	v_max_f32_e32 v1, v1, v1
	v_max_f32_e32 v0, v0, v1
	ds_bpermute_b32 v1, v13, v0
	s_waitcnt lgkmcnt(0)
	v_max_f32_e32 v1, v1, v1
	v_max_f32_e32 v0, v0, v1
	s_waitcnt vmcnt(0)
	v_subrev_nc_u32_e32 v7, s13, v6
	v_mov_b32_e32 v6, 0
	v_lshl_add_u32 v1, v7, 5, s7
	ds_bpermute_b32 v0, v6, v0
	v_min_i32_e32 v1, v1, v36
	v_subrev_nc_u32_e32 v1, s7, v1
	v_cmp_lt_i32_e64 s6, v19, v1
	s_and_saveexec_b32 s9, s6
	s_cbranch_execz .LBB306_921
; %bb.918:
	s_getpc_b64 s[20:21]
	s_add_u32 s20, s20, llvm.amdgcn.dynlds.offset.table@rel32@lo+4
	s_addc_u32 s21, s21, llvm.amdgcn.dynlds.offset.table@rel32@hi+12
	s_ashr_i32 s17, s16, 31
	v_mov_b32_e32 v6, 0
	s_lshl_b64 s[22:23], s[16:17], 2
	v_mov_b32_e32 v8, v19
	s_add_u32 s20, s20, s22
	s_addc_u32 s21, s21, s23
	s_mov_b32 s13, 0
	s_load_dword s7, s[20:21], 0x0
	s_waitcnt lgkmcnt(0)
	v_lshl_add_u32 v7, v19, 2, s7
	.p2align	6
.LBB306_919:                            ; =>This Inner Loop Header: Depth=1
	ds_read_b32 v9, v7
	v_add_nc_u32_e32 v8, 0x80, v8
	v_cmp_ge_i32_e64 s7, v8, v1
	s_or_b32 s13, s7, s13
	s_waitcnt lgkmcnt(0)
	v_sub_f32_e32 v9, v9, v0
	v_mul_f32_e32 v9, 0x3fb8aa3b, v9
	v_exp_f32_e32 v9, v9
	ds_write_b32 v7, v9
	v_add_f32_e32 v6, v6, v9
	v_add_nc_u32_e32 v7, 0x200, v7
	s_andn2_b32 exec_lo, exec_lo, s13
	s_cbranch_execnz .LBB306_919
; %bb.920:
	s_or_b32 exec_lo, exec_lo, s13
.LBB306_921:
	s_or_b32 exec_lo, exec_lo, s9
	ds_bpermute_b32 v2, v2, v6
	s_waitcnt lgkmcnt(0)
	v_add_f32_e32 v2, v6, v2
	ds_bpermute_b32 v3, v3, v2
	s_waitcnt lgkmcnt(0)
	v_add_f32_e32 v2, v2, v3
	;; [unrolled: 3-line block ×5, first 2 shown]
	s_and_saveexec_b32 s7, vcc_lo
; %bb.922:
	ds_write_b32 v5, v2 offset:240
; %bb.923:
	s_or_b32 exec_lo, exec_lo, s7
	s_waitcnt lgkmcnt(0)
	s_barrier
	buffer_gl0_inv
	s_and_saveexec_b32 s7, s5
; %bb.924:
	ds_read_b32 v2, v12 offset:240
; %bb.925:
	s_or_b32 exec_lo, exec_lo, s7
	s_waitcnt lgkmcnt(0)
	ds_bpermute_b32 v3, v20, v2
	s_waitcnt lgkmcnt(0)
	v_add_f32_e32 v2, v2, v3
	ds_bpermute_b32 v3, v13, v2
	s_waitcnt lgkmcnt(0)
	v_add_f32_e32 v2, v2, v3
	v_mov_b32_e32 v3, 0
	ds_bpermute_b32 v2, v3, v2
	s_and_saveexec_b32 s5, s6
	s_cbranch_execz .LBB306_928
; %bb.926:
	s_waitcnt lgkmcnt(0)
	v_add_f32_e32 v4, 0x358637bd, v2
	s_getpc_b64 s[6:7]
	s_add_u32 s6, s6, llvm.amdgcn.dynlds.offset.table@rel32@lo+4
	s_addc_u32 s7, s7, llvm.amdgcn.dynlds.offset.table@rel32@hi+12
	s_ashr_i32 s17, s16, 31
	s_lshl_b64 s[20:21], s[16:17], 2
	v_div_scale_f32 v3, null, v4, v4, 1.0
	v_div_scale_f32 v7, vcc_lo, 1.0, v4, 1.0
	s_add_u32 s6, s6, s20
	v_rcp_f32_e32 v5, v3
	s_addc_u32 s7, s7, s21
	s_load_dword s6, s[6:7], 0x0
	v_fma_f32 v6, -v3, v5, 1.0
	v_fmac_f32_e32 v5, v6, v5
	v_mul_f32_e32 v6, v7, v5
	v_fma_f32 v8, -v3, v6, v7
	v_fmac_f32_e32 v6, v8, v5
	v_fma_f32 v3, -v3, v6, v7
	v_div_fmas_f32 v5, v3, v5, v6
	s_waitcnt lgkmcnt(0)
	v_lshl_add_u32 v3, v19, 2, s6
	s_mov_b32 s6, 0
	v_div_fixup_f32 v4, v5, v4, 1.0
	v_mov_b32_e32 v5, v19
.LBB306_927:                            ; =>This Inner Loop Header: Depth=1
	ds_read_b32 v6, v3
	v_add_nc_u32_e32 v5, 0x80, v5
	v_cmp_ge_i32_e32 vcc_lo, v5, v1
	s_or_b32 s6, vcc_lo, s6
	s_waitcnt lgkmcnt(0)
	v_mul_f32_e32 v6, v4, v6
	ds_write_b32 v3, v6
	v_add_nc_u32_e32 v3, 0x200, v3
	s_andn2_b32 exec_lo, exec_lo, s6
	s_cbranch_execnz .LBB306_927
.LBB306_928:
	s_or_b32 exec_lo, exec_lo, s5
	s_and_b32 s5, 0xffff, s8
	s_mov_b32 s8, exec_lo
	s_cmp_lg_u32 s5, 0
	s_waitcnt lgkmcnt(0)
	s_cselect_b32 s5, -1, 0
	s_barrier
	s_cmp_lg_u32 s5, 0
	buffer_gl0_inv
	s_addc_u32 s5, s11, 0
	s_mul_i32 s6, s5, s18
	s_mul_i32 s6, s6, s15
	v_cmpx_eq_u32_e32 0, v19
	s_cbranch_execz .LBB306_930
; %bb.929:
	s_ashr_i32 s7, s6, 31
	s_mul_i32 s12, s5, s12
	s_lshl_b64 s[20:21], s[6:7], 2
	s_ashr_i32 s13, s12, 31
	v_add_co_u32 v1, vcc_lo, v26, s20
	v_add_co_ci_u32_e64 v3, null, s21, v25, vcc_lo
	s_lshl_b64 s[12:13], s[12:13], 2
	s_ashr_i32 s15, s14, 31
	v_add_co_u32 v1, vcc_lo, v1, s12
	v_add_co_ci_u32_e64 v4, null, s13, v3, vcc_lo
	v_add_co_u32 v3, vcc_lo, v24, s20
	v_add_co_ci_u32_e64 v5, null, s21, v22, vcc_lo
	s_lshl_b64 s[20:21], s[14:15], 2
	v_add_co_u32 v6, vcc_lo, v3, s12
	v_add_co_ci_u32_e64 v7, null, s13, v5, vcc_lo
	v_add_co_u32 v3, vcc_lo, v1, s20
	v_add_co_ci_u32_e64 v4, null, s21, v4, vcc_lo
	;; [unrolled: 2-line block ×3, first 2 shown]
	flat_store_dword v[3:4], v0
	flat_store_dword v[5:6], v2
.LBB306_930:
	s_or_b32 exec_lo, exec_lo, s8
	s_ashr_i32 s17, s16, 31
	s_getpc_b64 s[8:9]
	s_add_u32 s8, s8, llvm.amdgcn.dynlds.offset.table@rel32@lo+4
	s_addc_u32 s9, s9, llvm.amdgcn.dynlds.offset.table@rel32@hi+12
	s_lshl_b64 s[12:13], s[16:17], 2
	v_mov_b32_e32 v67, 0
	v_mov_b32_e32 v46, v19
	v_and_b32_e32 v21, 3, v19
	v_mov_b32_e32 v68, 0
	v_mov_b32_e32 v66, 0
	;; [unrolled: 1-line block ×13, first 2 shown]
	s_add_u32 s8, s8, s12
	s_addc_u32 s9, s9, s13
	s_and_saveexec_b32 s7, s4
	s_cbranch_execz .LBB306_1860
; %bb.931:
	s_load_dword s4, s[8:9], 0x0
	s_clause 0x2
	buffer_load_dword v2, off, s[0:3], s32 offset:208
	buffer_load_dword v3, off, s[0:3], s32 offset:212
	;; [unrolled: 1-line block ×3, first 2 shown]
	v_max_i32_e32 v30, v30, v18
	v_lshlrev_b32_e32 v0, 3, v46
	v_lshlrev_b32_e32 v7, 5, v21
	v_add_co_u32 v4, vcc_lo, v10, v16
	v_cvt_f32_u32_e32 v1, v30
	v_sub_nc_u32_e32 v8, 0, v30
	v_and_b32_e32 v70, 24, v0
	v_and_b32_e32 v0, 0xf8, v0
	v_add_co_ci_u32_e64 v5, null, v11, v27, vcc_lo
	v_rcp_iflag_f32_e32 v6, v1
	v_add_nc_u32_e32 v52, -1, v17
	v_mov_b32_e32 v1, 0
	v_mov_b32_e32 v17, 0x80
	;; [unrolled: 1-line block ×8, first 2 shown]
	v_mul_f32_e32 v6, 0x4f7ffffe, v6
	v_mov_b32_e32 v29, 0
	v_mov_b32_e32 v31, 0
	;; [unrolled: 1-line block ×4, first 2 shown]
	v_cvt_u32_f32_e32 v6, v6
	v_mov_b32_e32 v34, 0
	v_mov_b32_e32 v55, 0
	v_mov_b32_e32 v64, 0
	v_mov_b32_e32 v65, 0
	v_mul_lo_u32 v8, v8, v6
	v_mov_b32_e32 v66, 0
	v_mov_b32_e32 v68, 0
	v_mov_b32_e32 v67, 0
	s_mov_b32 s12, -1
	s_mov_b32 s13, 0xffffff
	s_mov_b32 s11, 0
	v_mul_hi_u32 v11, v6, v8
	s_waitcnt vmcnt(1)
	v_lshlrev_b64 v[2:3], 2, v[2:3]
	s_waitcnt vmcnt(0)
	v_lshl_or_b32 v9, v9, 7, v7
	v_add_co_u32 v7, vcc_lo, v37, v2
	v_add_co_ci_u32_e64 v10, null, v38, v3, vcc_lo
	v_add_co_u32 v2, vcc_lo, v4, v0
	v_add_co_ci_u32_e64 v3, null, 0, v5, vcc_lo
	;; [unrolled: 2-line block ×3, first 2 shown]
	s_waitcnt lgkmcnt(0)
	v_add_nc_u32_e32 v14, s4, v9
	v_add_nc_u32_e32 v15, v6, v11
	s_branch .LBB306_934
.LBB306_932:                            ;   in Loop: Header=BB306_934 Depth=1
	s_or_b32 exec_lo, exec_lo, s4
	v_add_f32_e32 v6, v6, v37
	v_add_f32_e32 v4, v4, v5
	;; [unrolled: 1-line block ×8, first 2 shown]
	;;#ASMSTART
	v_pk_mul_f16 v5, v83, v16;

	;;#ASMEND
	v_add_f32_e32 v18, v38, v48
	v_add_f32_e32 v25, v25, v11
	;; [unrolled: 1-line block ×3, first 2 shown]
	;;#ASMSTART
	v_pk_mul_f16 v6, v82, v10;

	;;#ASMEND
	;;#ASMSTART
	v_pk_mul_f16 v9, v81, v9;

	;;#ASMEND
	;; [unrolled: 4-line block ×3, first 2 shown]
	;;#ASMSTART
	v_pk_add_f16 v5, v5, v6;

	;;#ASMEND
	;;#ASMSTART
	v_pk_add_f16 v5, v5, v9;

	;;#ASMEND
	;; [unrolled: 4-line block ×3, first 2 shown]
	v_and_b32_e32 v9, 0xffff, v0
	v_lshrrev_b32_e32 v10, 16, v0
	;;#ASMSTART
	v_cvt_f32_f16 v9, v9;
	;;#ASMEND
	v_add_f32_e32 v28, v28, v12
	v_add_f32_e32 v11, v115, v116
	;; [unrolled: 1-line block ×8, first 2 shown]
	;;#ASMSTART
	v_cvt_f32_f16 v10, v10;
	;;#ASMEND
	v_add_f32_e32 v9, v9, v10
	v_add_f32_e32 v29, v29, v18
	;; [unrolled: 1-line block ×9, first 2 shown]
.LBB306_933:                            ;   in Loop: Header=BB306_934 Depth=1
	s_or_b32 exec_lo, exec_lo, s15
	s_clause 0x1
	buffer_load_dword v4, off, s[0:3], s32 offset:208
	buffer_load_dword v5, off, s[0:3], s32 offset:212
	v_add_co_u32 v7, s4, v7, 16
	v_add_co_ci_u32_e64 v8, null, 0, v8, s4
	v_add_nc_u32_e32 v23, 0x80, v23
	v_add_nc_u32_e32 v14, 0x200, v14
	s_waitcnt vmcnt(1)
	v_add_nc_u32_e32 v4, 4, v4
	v_mov_b32_e32 v0, v4
	buffer_store_dword v0, off, s[0:3], s32 offset:208 ; 4-byte Folded Spill
	buffer_store_dword v1, off, s[0:3], s32 offset:212 ; 4-byte Folded Spill
	buffer_load_dword v0, off, s[0:3], s32 offset:228 ; 4-byte Folded Reload
	s_waitcnt vmcnt(0)
	v_cmp_ge_i32_e32 vcc_lo, v4, v0
	s_or_b32 s11, vcc_lo, s11
	s_andn2_b32 exec_lo, exec_lo, s11
	s_cbranch_execz .LBB306_1859
.LBB306_934:                            ; =>This Inner Loop Header: Depth=1
	s_clause 0x1
	buffer_load_dword v4, off, s[0:3], s32 offset:232
	buffer_load_dword v9, off, s[0:3], s32 offset:224
	v_sub_nc_u32_e32 v0, 0, v23
	v_max_i32_e32 v0, v23, v0
	s_waitcnt vmcnt(1)
	v_mul_hi_u32 v4, v0, v4
	v_mul_lo_u32 v5, v4, v108
	v_sub_nc_u32_e32 v0, v0, v5
	v_add_nc_u32_e32 v5, 1, v4
	v_sub_nc_u32_e32 v6, v0, v108
	v_cmp_ge_u32_e32 vcc_lo, v0, v108
	v_cndmask_b32_e32 v4, v4, v5, vcc_lo
	v_cndmask_b32_e32 v0, v0, v6, vcc_lo
	v_ashrrev_i32_e32 v5, 31, v23
	v_add_nc_u32_e32 v6, 1, v4
	v_cmp_ge_u32_e32 vcc_lo, v0, v108
	s_waitcnt vmcnt(0)
	v_xor_b32_e32 v5, v5, v9
	v_cndmask_b32_e32 v0, v4, v6, vcc_lo
	v_xor_b32_e32 v0, v0, v5
	v_sub_nc_u32_e32 v0, v0, v5
	s_clause 0x1
	buffer_load_dword v4, off, s[0:3], s32 offset:216
	buffer_load_dword v5, off, s[0:3], s32 offset:220
	s_waitcnt vmcnt(1)
	v_add_nc_u32_e32 v4, v0, v4
	s_waitcnt vmcnt(0)
	v_sub_nc_u32_e32 v5, 0, v4
	v_max_i32_e32 v5, v4, v5
	v_ashrrev_i32_e32 v4, 31, v4
	v_mul_hi_u32 v6, v5, v15
	v_mul_lo_u32 v6, v6, v30
	v_sub_nc_u32_e32 v5, v5, v6
	v_sub_nc_u32_e32 v6, v5, v30
	v_cmp_ge_u32_e32 vcc_lo, v5, v30
	v_cndmask_b32_e32 v5, v5, v6, vcc_lo
	v_sub_nc_u32_e32 v6, v5, v30
	v_cmp_ge_u32_e32 vcc_lo, v5, v30
	v_cndmask_b32_e32 v5, v5, v6, vcc_lo
	v_xor_b32_e32 v5, v5, v4
	v_sub_nc_u32_e32 v4, v5, v4
	v_cmp_eq_u32_e32 vcc_lo, 0, v4
	buffer_load_dword v4, off, s[0:3], s32 offset:236 ; 4-byte Folded Reload
	s_waitcnt vmcnt(0)
	v_cmp_gt_i32_e64 s4, v0, v4
	s_or_b32 s4, vcc_lo, s4
	s_and_saveexec_b32 s15, s4
	s_cbranch_execz .LBB306_933
; %bb.935:                              ;   in Loop: Header=BB306_934 Depth=1
	flat_load_dword v0, v[7:8]
	ds_read2_b64 v[48:51], v14 offset1:1
	ds_read2_b64 v[80:83], v14 offset0:2 offset1:3
	s_waitcnt lgkmcnt(1)
	;;#ASMSTART
	v_cvt_f16_f32 v4, v48;

	;;#ASMEND
	buffer_load_dword v5, off, s[0:3], s32 offset:244 ; 4-byte Folded Reload
	s_waitcnt vmcnt(0)
	v_mad_i64_i32 v[9:10], null, v0, v5, v[2:3]
	;;#ASMSTART
	v_cvt_f16_f32 v5, v49;

	;;#ASMEND
	;;#ASMSTART
	v_cvt_f16_f32 v35, v50;

	;;#ASMEND
	;; [unrolled: 4-line block ×3, first 2 shown]
	s_waitcnt lgkmcnt(0)
	;;#ASMSTART
	v_cvt_f16_f32 v37, v80;

	;;#ASMEND
	;;#ASMSTART
	v_cvt_f16_f32 v19, v81;

	;;#ASMEND
	;; [unrolled: 4-line block ×4, first 2 shown]
	flat_load_dwordx2 v[11:12], v[9:10]
	s_clause 0x1
	buffer_load_dword v26, off, s[0:3], s32 offset:200
	buffer_load_dword v27, off, s[0:3], s32 offset:204
	v_mov_b32_e32 v49, 0
	v_mov_b32_e32 v50, 0
	s_waitcnt vmcnt(2) lgkmcnt(0)
	v_cmp_ne_u16_sdwa s16, v11, v1 src0_sel:BYTE_0 src1_sel:DWORD
	s_waitcnt vmcnt(0)
	flat_load_dword v48, v[26:27]
	s_and_saveexec_b32 s4, s16
	s_cbranch_execz .LBB306_943
; %bb.936:                              ;   in Loop: Header=BB306_934 Depth=1
	v_cmp_ne_u16_sdwa s17, v11, v17 src0_sel:BYTE_0 src1_sel:DWORD
	v_mov_b32_e32 v50, 0x8000
	s_and_saveexec_b32 s16, s17
	s_cbranch_execz .LBB306_942
; %bb.937:                              ;   in Loop: Header=BB306_934 Depth=1
	v_and_b32_e32 v18, 0x7f, v11
	v_mov_b32_e32 v50, 0x7c01
	s_mov_b32 s17, exec_lo
	v_cmpx_ne_u32_e32 0x7f, v18
	s_cbranch_execz .LBB306_941
; %bb.938:                              ;   in Loop: Header=BB306_934 Depth=1
	v_and_b32_e32 v0, 7, v11
	v_lshrrev_b32_e32 v16, 3, v18
	s_mov_b32 s18, exec_lo
	v_cmpx_gt_u32_e32 8, v18
; %bb.939:                              ;   in Loop: Header=BB306_934 Depth=1
	v_ffbh_u32_e32 v0, v0
	v_min_u32_e32 v0, 32, v0
	v_subrev_nc_u32_e32 v16, 28, v0
	v_lshlrev_b64 v[26:27], v16, v[11:12]
	v_sub_nc_u32_e32 v16, 29, v0
	v_and_b32_e32 v0, 7, v26
; %bb.940:                              ;   in Loop: Header=BB306_934 Depth=1
	s_or_b32 exec_lo, exec_lo, s18
	v_lshlrev_b32_e32 v18, 8, v11
	v_lshl_add_u32 v16, v16, 10, 0x2000
	v_lshlrev_b32_e32 v0, 7, v0
	v_and_b32_e32 v18, 0x8000, v18
	v_and_b32_e32 v16, 0xfc00, v16
	v_or3_b32 v50, v18, v16, v0
.LBB306_941:                            ;   in Loop: Header=BB306_934 Depth=1
	s_or_b32 exec_lo, exec_lo, s17
.LBB306_942:                            ;   in Loop: Header=BB306_934 Depth=1
	s_or_b32 exec_lo, exec_lo, s16
.LBB306_943:                            ;   in Loop: Header=BB306_934 Depth=1
	s_or_b32 exec_lo, exec_lo, s4
	v_lshrrev_b16 v0, 8, v11
	s_mov_b32 s4, exec_lo
	v_cmpx_ne_u16_e32 0, v0
	s_cbranch_execz .LBB306_951
; %bb.944:                              ;   in Loop: Header=BB306_934 Depth=1
	v_bfrev_b32_e32 v49, 1
	s_mov_b32 s16, exec_lo
	v_cmpx_ne_u16_e32 0x80, v0
	s_cbranch_execz .LBB306_950
; %bb.945:                              ;   in Loop: Header=BB306_934 Depth=1
	v_and_b32_sdwa v26, v0, v53 dst_sel:DWORD dst_unused:UNUSED_PAD src0_sel:WORD_0 src1_sel:DWORD
	v_mov_b32_e32 v49, 0x7c010000
	s_mov_b32 s17, exec_lo
	v_cmpx_ne_u32_e32 0x7f, v26
	s_cbranch_execz .LBB306_949
; %bb.946:                              ;   in Loop: Header=BB306_934 Depth=1
	v_and_b32_sdwa v16, v0, v54 dst_sel:DWORD dst_unused:UNUSED_PAD src0_sel:WORD_0 src1_sel:DWORD
	v_lshrrev_b32_e32 v18, 3, v26
	s_mov_b32 s18, exec_lo
	v_cmpx_gt_u32_e32 8, v26
; %bb.947:                              ;   in Loop: Header=BB306_934 Depth=1
	v_ffbh_u32_e32 v16, v16
	v_min_u32_e32 v16, 32, v16
	v_subrev_nc_u32_e32 v18, 28, v16
	v_lshlrev_b64 v[26:27], v18, v[0:1]
	v_sub_nc_u32_e32 v18, 29, v16
	v_and_b32_e32 v16, 7, v26
; %bb.948:                              ;   in Loop: Header=BB306_934 Depth=1
	s_or_b32 exec_lo, exec_lo, s18
	v_lshlrev_b32_sdwa v0, v69, v0 dst_sel:DWORD dst_unused:UNUSED_PAD src0_sel:DWORD src1_sel:WORD_0
	v_lshl_add_u32 v18, v18, 10, 0x2000
	v_lshlrev_b32_e32 v16, 23, v16
	v_and_or_b32 v0, 0x8000, v0, v18
	v_lshl_or_b32 v49, v0, 16, v16
.LBB306_949:                            ;   in Loop: Header=BB306_934 Depth=1
	s_or_b32 exec_lo, exec_lo, s17
.LBB306_950:                            ;   in Loop: Header=BB306_934 Depth=1
	s_or_b32 exec_lo, exec_lo, s16
.LBB306_951:                            ;   in Loop: Header=BB306_934 Depth=1
	s_or_b32 exec_lo, exec_lo, s4
	v_lshrrev_b32_e32 v0, 16, v11
	v_mov_b32_e32 v51, 0
	v_mov_b32_e32 v18, 0
	v_cmp_ne_u16_sdwa s16, v0, v1 src0_sel:BYTE_0 src1_sel:DWORD
	s_and_saveexec_b32 s4, s16
	s_cbranch_execz .LBB306_959
; %bb.952:                              ;   in Loop: Header=BB306_934 Depth=1
	v_cmp_ne_u16_sdwa s17, v0, v17 src0_sel:BYTE_0 src1_sel:DWORD
	v_mov_b32_e32 v18, 0x8000
	s_and_saveexec_b32 s16, s17
	s_cbranch_execz .LBB306_958
; %bb.953:                              ;   in Loop: Header=BB306_934 Depth=1
	v_bfe_u32 v26, v11, 16, 7
	v_mov_b32_e32 v18, 0x7c01
	s_mov_b32 s17, exec_lo
	v_cmpx_ne_u32_e32 0x7f, v26
	s_cbranch_execz .LBB306_957
; %bb.954:                              ;   in Loop: Header=BB306_934 Depth=1
	v_and_b32_e32 v16, 7, v0
	v_lshrrev_b32_e32 v18, 3, v26
	s_mov_b32 s18, exec_lo
	v_cmpx_gt_u32_e32 8, v26
; %bb.955:                              ;   in Loop: Header=BB306_934 Depth=1
	v_ffbh_u32_e32 v16, v16
	v_min_u32_e32 v16, 32, v16
	v_subrev_nc_u32_e32 v18, 28, v16
	v_lshlrev_b64 v[26:27], v18, v[0:1]
	v_sub_nc_u32_e32 v18, 29, v16
	v_and_b32_e32 v16, 7, v26
; %bb.956:                              ;   in Loop: Header=BB306_934 Depth=1
	s_or_b32 exec_lo, exec_lo, s18
	v_lshlrev_b32_e32 v0, 8, v0
	v_lshl_add_u32 v18, v18, 10, 0x2000
	v_lshlrev_b32_e32 v16, 7, v16
	v_and_b32_e32 v0, 0x8000, v0
	v_and_b32_e32 v18, 0xfc00, v18
	v_or3_b32 v18, v0, v18, v16
.LBB306_957:                            ;   in Loop: Header=BB306_934 Depth=1
	s_or_b32 exec_lo, exec_lo, s17
.LBB306_958:                            ;   in Loop: Header=BB306_934 Depth=1
	s_or_b32 exec_lo, exec_lo, s16
.LBB306_959:                            ;   in Loop: Header=BB306_934 Depth=1
	s_or_b32 exec_lo, exec_lo, s4
	s_mov_b32 s4, exec_lo
	v_cmpx_lt_u32_e32 0xffffff, v11
	s_cbranch_execz .LBB306_967
; %bb.960:                              ;   in Loop: Header=BB306_934 Depth=1
	v_lshrrev_b32_e32 v0, 24, v11
	v_bfrev_b32_e32 v51, 1
	s_mov_b32 s16, exec_lo
	v_cmpx_ne_u32_e32 0x80, v0
	s_cbranch_execz .LBB306_966
; %bb.961:                              ;   in Loop: Header=BB306_934 Depth=1
	v_and_b32_e32 v27, 0x7f, v0
	v_mov_b32_e32 v51, 0x7c010000
	s_mov_b32 s17, exec_lo
	v_cmpx_ne_u32_e32 0x7f, v27
	s_cbranch_execz .LBB306_965
; %bb.962:                              ;   in Loop: Header=BB306_934 Depth=1
	v_and_b32_e32 v16, 7, v0
	v_lshrrev_b32_e32 v26, 3, v27
	s_mov_b32 s18, exec_lo
	v_cmpx_gt_u32_e32 8, v27
; %bb.963:                              ;   in Loop: Header=BB306_934 Depth=1
	v_ffbh_u32_e32 v16, v16
	v_min_u32_e32 v16, 32, v16
	v_subrev_nc_u32_e32 v26, 28, v16
	v_lshlrev_b64 v[80:81], v26, v[0:1]
	v_sub_nc_u32_e32 v26, 29, v16
	v_and_b32_e32 v16, 7, v80
; %bb.964:                              ;   in Loop: Header=BB306_934 Depth=1
	s_or_b32 exec_lo, exec_lo, s18
	v_lshlrev_b32_e32 v0, 8, v0
	v_lshl_add_u32 v26, v26, 10, 0x2000
	v_lshlrev_b32_e32 v16, 23, v16
	v_and_or_b32 v0, 0x8000, v0, v26
	v_lshl_or_b32 v51, v0, 16, v16
.LBB306_965:                            ;   in Loop: Header=BB306_934 Depth=1
	s_or_b32 exec_lo, exec_lo, s17
.LBB306_966:                            ;   in Loop: Header=BB306_934 Depth=1
	s_or_b32 exec_lo, exec_lo, s16
.LBB306_967:                            ;   in Loop: Header=BB306_934 Depth=1
	s_or_b32 exec_lo, exec_lo, s4
	v_mov_b32_e32 v0, v12
	v_cmp_ne_u16_sdwa s16, v12, v1 src0_sel:BYTE_0 src1_sel:DWORD
	v_mov_b32_e32 v16, 0
	v_mov_b32_e32 v27, 0
	s_and_saveexec_b32 s4, s16
	s_cbranch_execz .LBB306_975
; %bb.968:                              ;   in Loop: Header=BB306_934 Depth=1
	v_cmp_ne_u16_sdwa s17, v12, v17 src0_sel:BYTE_0 src1_sel:DWORD
	v_mov_b32_e32 v27, 0x8000
	s_and_saveexec_b32 s16, s17
	s_cbranch_execz .LBB306_974
; %bb.969:                              ;   in Loop: Header=BB306_934 Depth=1
	v_and_b32_e32 v71, 0x7f, v12
	v_mov_b32_e32 v27, 0x7c01
	s_mov_b32 s17, exec_lo
	v_cmpx_ne_u32_e32 0x7f, v71
	s_cbranch_execz .LBB306_973
; %bb.970:                              ;   in Loop: Header=BB306_934 Depth=1
	v_and_b32_e32 v26, 7, v12
	v_lshrrev_b32_e32 v27, 3, v71
	s_mov_b32 s18, exec_lo
	v_cmpx_gt_u32_e32 8, v71
; %bb.971:                              ;   in Loop: Header=BB306_934 Depth=1
	v_ffbh_u32_e32 v26, v26
	v_min_u32_e32 v39, 32, v26
	v_subrev_nc_u32_e32 v26, 28, v39
	v_lshlrev_b64 v[26:27], v26, v[0:1]
	v_sub_nc_u32_e32 v27, 29, v39
	v_and_b32_e32 v26, 7, v26
; %bb.972:                              ;   in Loop: Header=BB306_934 Depth=1
	s_or_b32 exec_lo, exec_lo, s18
	v_lshlrev_b32_e32 v39, 8, v12
	v_lshl_add_u32 v27, v27, 10, 0x2000
	v_lshlrev_b32_e32 v26, 7, v26
	v_and_b32_e32 v39, 0x8000, v39
	v_and_b32_e32 v27, 0xfc00, v27
	v_or3_b32 v27, v39, v27, v26
.LBB306_973:                            ;   in Loop: Header=BB306_934 Depth=1
	s_or_b32 exec_lo, exec_lo, s17
.LBB306_974:                            ;   in Loop: Header=BB306_934 Depth=1
	s_or_b32 exec_lo, exec_lo, s16
.LBB306_975:                            ;   in Loop: Header=BB306_934 Depth=1
	s_or_b32 exec_lo, exec_lo, s4
	v_lshrrev_b16 v0, 8, v0
	v_mov_b32_e32 v26, 0
	s_mov_b32 s4, exec_lo
	v_cmpx_ne_u16_e32 0, v0
	s_cbranch_execz .LBB306_983
; %bb.976:                              ;   in Loop: Header=BB306_934 Depth=1
	v_bfrev_b32_e32 v26, 1
	s_mov_b32 s16, exec_lo
	v_cmpx_ne_u16_e32 0x80, v0
	s_cbranch_execz .LBB306_982
; %bb.977:                              ;   in Loop: Header=BB306_934 Depth=1
	v_and_b32_sdwa v80, v0, v53 dst_sel:DWORD dst_unused:UNUSED_PAD src0_sel:WORD_0 src1_sel:DWORD
	v_mov_b32_e32 v26, 0x7c010000
	s_mov_b32 s17, exec_lo
	v_cmpx_ne_u32_e32 0x7f, v80
	s_cbranch_execz .LBB306_981
; %bb.978:                              ;   in Loop: Header=BB306_934 Depth=1
	v_and_b32_sdwa v26, v0, v54 dst_sel:DWORD dst_unused:UNUSED_PAD src0_sel:WORD_0 src1_sel:DWORD
	v_lshrrev_b32_e32 v71, 3, v80
	s_mov_b32 s18, exec_lo
	v_cmpx_gt_u32_e32 8, v80
; %bb.979:                              ;   in Loop: Header=BB306_934 Depth=1
	v_ffbh_u32_e32 v26, v26
	v_min_u32_e32 v26, 32, v26
	v_subrev_nc_u32_e32 v39, 28, v26
	v_sub_nc_u32_e32 v71, 29, v26
	v_lshlrev_b64 v[80:81], v39, v[0:1]
	v_and_b32_e32 v26, 7, v80
; %bb.980:                              ;   in Loop: Header=BB306_934 Depth=1
	s_or_b32 exec_lo, exec_lo, s18
	v_lshlrev_b32_sdwa v0, v69, v0 dst_sel:DWORD dst_unused:UNUSED_PAD src0_sel:DWORD src1_sel:WORD_0
	v_lshl_add_u32 v39, v71, 10, 0x2000
	v_lshlrev_b32_e32 v26, 23, v26
	v_and_or_b32 v0, 0x8000, v0, v39
	v_lshl_or_b32 v26, v0, 16, v26
.LBB306_981:                            ;   in Loop: Header=BB306_934 Depth=1
	s_or_b32 exec_lo, exec_lo, s17
.LBB306_982:                            ;   in Loop: Header=BB306_934 Depth=1
	s_or_b32 exec_lo, exec_lo, s16
.LBB306_983:                            ;   in Loop: Header=BB306_934 Depth=1
	s_or_b32 exec_lo, exec_lo, s4
	v_lshrrev_b32_e32 v0, 16, v12
	v_cmp_ne_u16_sdwa s16, v0, v1 src0_sel:BYTE_0 src1_sel:DWORD
	s_and_saveexec_b32 s4, s16
	s_cbranch_execz .LBB306_991
; %bb.984:                              ;   in Loop: Header=BB306_934 Depth=1
	v_cmp_ne_u16_sdwa s17, v0, v17 src0_sel:BYTE_0 src1_sel:DWORD
	v_mov_b32_e32 v16, 0x8000
	s_and_saveexec_b32 s16, s17
	s_cbranch_execz .LBB306_990
; %bb.985:                              ;   in Loop: Header=BB306_934 Depth=1
	v_bfe_u32 v80, v12, 16, 7
	v_mov_b32_e32 v16, 0x7c01
	s_mov_b32 s17, exec_lo
	v_cmpx_ne_u32_e32 0x7f, v80
	s_cbranch_execz .LBB306_989
; %bb.986:                              ;   in Loop: Header=BB306_934 Depth=1
	v_and_b32_e32 v16, 7, v0
	v_lshrrev_b32_e32 v71, 3, v80
	s_mov_b32 s18, exec_lo
	v_cmpx_gt_u32_e32 8, v80
; %bb.987:                              ;   in Loop: Header=BB306_934 Depth=1
	v_ffbh_u32_e32 v16, v16
	v_min_u32_e32 v16, 32, v16
	v_subrev_nc_u32_e32 v39, 28, v16
	v_sub_nc_u32_e32 v71, 29, v16
	v_lshlrev_b64 v[80:81], v39, v[0:1]
	v_and_b32_e32 v16, 7, v80
; %bb.988:                              ;   in Loop: Header=BB306_934 Depth=1
	s_or_b32 exec_lo, exec_lo, s18
	v_lshlrev_b32_e32 v0, 8, v0
	v_lshl_add_u32 v39, v71, 10, 0x2000
	v_lshlrev_b32_e32 v16, 7, v16
	v_and_b32_e32 v0, 0x8000, v0
	v_and_b32_e32 v39, 0xfc00, v39
	v_or3_b32 v16, v0, v39, v16
.LBB306_989:                            ;   in Loop: Header=BB306_934 Depth=1
	s_or_b32 exec_lo, exec_lo, s17
.LBB306_990:                            ;   in Loop: Header=BB306_934 Depth=1
	s_or_b32 exec_lo, exec_lo, s16
.LBB306_991:                            ;   in Loop: Header=BB306_934 Depth=1
	s_or_b32 exec_lo, exec_lo, s4
	v_cmp_lt_u64_e32 vcc_lo, s[12:13], v[11:12]
	v_mov_b32_e32 v11, 0
	s_and_saveexec_b32 s4, vcc_lo
	s_cbranch_execz .LBB306_999
; %bb.992:                              ;   in Loop: Header=BB306_934 Depth=1
	v_lshrrev_b32_e32 v0, 24, v12
	v_bfrev_b32_e32 v11, 1
	s_mov_b32 s16, exec_lo
	v_cmpx_ne_u32_e32 0x80, v0
	s_cbranch_execz .LBB306_998
; %bb.993:                              ;   in Loop: Header=BB306_934 Depth=1
	v_and_b32_e32 v71, 0x7f, v0
	v_mov_b32_e32 v11, 0x7c010000
	s_mov_b32 s17, exec_lo
	v_cmpx_ne_u32_e32 0x7f, v71
	s_cbranch_execz .LBB306_997
; %bb.994:                              ;   in Loop: Header=BB306_934 Depth=1
	v_and_b32_e32 v11, 7, v0
	v_lshrrev_b32_e32 v12, 3, v71
	s_mov_b32 s18, exec_lo
	v_cmpx_gt_u32_e32 8, v71
; %bb.995:                              ;   in Loop: Header=BB306_934 Depth=1
	v_ffbh_u32_e32 v11, v11
	v_min_u32_e32 v39, 32, v11
	v_subrev_nc_u32_e32 v11, 28, v39
	v_lshlrev_b64 v[11:12], v11, v[0:1]
	v_sub_nc_u32_e32 v12, 29, v39
	v_and_b32_e32 v11, 7, v11
; %bb.996:                              ;   in Loop: Header=BB306_934 Depth=1
	s_or_b32 exec_lo, exec_lo, s18
	v_lshlrev_b32_e32 v0, 8, v0
	v_lshl_add_u32 v12, v12, 10, 0x2000
	v_lshlrev_b32_e32 v11, 23, v11
	v_and_or_b32 v0, 0x8000, v0, v12
	v_lshl_or_b32 v11, v0, 16, v11
.LBB306_997:                            ;   in Loop: Header=BB306_934 Depth=1
	s_or_b32 exec_lo, exec_lo, s17
.LBB306_998:                            ;   in Loop: Header=BB306_934 Depth=1
	s_or_b32 exec_lo, exec_lo, s16
.LBB306_999:                            ;   in Loop: Header=BB306_934 Depth=1
	s_or_b32 exec_lo, exec_lo, s4
	s_clause 0x1
	buffer_load_dword v81, off, s[0:3], s32 offset:208
	buffer_load_dword v82, off, s[0:3], s32 offset:212
	v_or_b32_e32 v0, v51, v18
	v_or_b32_e32 v39, v49, v50
	s_waitcnt vmcnt(2) lgkmcnt(0)
	v_fma_mixlo_f16 v49, v48, v49, 0 op_sel:[0,1,0] op_sel_hi:[0,1,0]
	v_or_b32_e32 v27, v26, v27
	v_or_b32_e32 v16, v11, v16
	v_fma_mixlo_f16 v0, v48, v0, 0 op_sel_hi:[0,1,0]
	v_fma_mixlo_f16 v12, v48, v51, 0 op_sel:[0,1,0] op_sel_hi:[0,1,0]
	v_lshlrev_b32_e32 v51, 16, v49
	v_fma_mixlo_f16 v26, v48, v26, 0 op_sel:[0,1,0] op_sel_hi:[0,1,0]
	v_fma_mixlo_f16 v27, v48, v27, 0 op_sel_hi:[0,1,0]
	v_and_b32_e32 v49, 0xffff, v0
	v_fma_mixlo_f16 v0, v48, v39, 0 op_sel_hi:[0,1,0]
	v_fma_mixlo_f16 v11, v48, v11, 0 op_sel:[0,1,0] op_sel_hi:[0,1,0]
	v_fma_mixlo_f16 v16, v48, v16, 0 op_sel_hi:[0,1,0]
	v_add_nc_u32_e32 v18, v70, v23
	v_lshlrev_b32_e32 v12, 16, v12
	v_and_b32_e32 v80, 0xffff, v0
	v_lshlrev_b32_e32 v48, 16, v26
	v_and_b32_e32 v71, 0xffff, v27
	;; [unrolled: 2-line block ×3, first 2 shown]
	v_or_b32_e32 v0, v12, v49
	v_or_b32_e32 v11, v51, v80
	;; [unrolled: 1-line block ×3, first 2 shown]
	v_add_nc_u32_e32 v98, 1, v18
	v_or_b32_e32 v27, v26, v50
	v_add_nc_u32_e32 v97, 2, v18
	v_add_nc_u32_e32 v96, 3, v18
	;; [unrolled: 1-line block ×6, first 2 shown]
	s_waitcnt vmcnt(1)
	v_cmp_eq_u32_e32 vcc_lo, v52, v81
	s_and_saveexec_b32 s16, vcc_lo
	s_cbranch_execz .LBB306_1001
; %bb.1000:                             ;   in Loop: Header=BB306_934 Depth=1
	v_cmp_lt_i32_e64 s4, v18, v36
	v_cndmask_b32_e64 v0, 0, v80, s4
	v_cmp_lt_i32_e64 s4, v98, v36
	v_cndmask_b32_e64 v11, 0, v51, s4
	v_cmp_lt_i32_e64 s4, v97, v36
	v_or_b32_e32 v11, v0, v11
	v_cndmask_b32_e64 v16, 0, v49, s4
	v_cmp_lt_i32_e64 s4, v96, v36
	v_cndmask_b32_e64 v12, 0, v12, s4
	v_cmp_lt_i32_e64 s4, v87, v36
	v_or_b32_e32 v0, v16, v12
	;; [unrolled: 5-line block ×3, first 2 shown]
	v_cndmask_b32_e64 v48, 0, v50, s4
	v_cmp_lt_i32_e64 s4, v84, v36
	v_cndmask_b32_e64 v26, 0, v26, s4
	v_or_b32_e32 v27, v48, v26
.LBB306_1001:                           ;   in Loop: Header=BB306_934 Depth=1
	s_or_b32 exec_lo, exec_lo, s16
	v_and_b32_e32 v4, 0xffff, v4
	v_and_b32_e32 v12, 0xffff, v35
	;; [unrolled: 1-line block ×4, first 2 shown]
	v_lshl_or_b32 v83, v5, 16, v4
	s_waitcnt vmcnt(0)
	v_lshl_or_b32 v82, v6, 16, v12
	;;#ASMSTART
	v_pk_mul_f16 v4, v83, v11;

	;;#ASMEND
	;;#ASMSTART
	v_pk_mul_f16 v0, v82, v0;

	;;#ASMEND
	v_lshl_or_b32 v81, v19, 16, v26
	v_lshl_or_b32 v80, v22, 16, v35
	;;#ASMSTART
	v_pk_mul_f16 v5, v81, v16;

	;;#ASMEND
	;;#ASMSTART
	v_pk_mul_f16 v6, v80, v27;

	;;#ASMEND
	;;#ASMSTART
	v_pk_add_f16 v0, v4, v0;

	;;#ASMEND
	;;#ASMSTART
	v_pk_add_f16 v0, v0, v5;
	;; [unrolled: 4-line block ×3, first 2 shown]

	;;#ASMEND
	v_and_b32_e32 v4, 0xffff, v0
	v_lshrrev_b32_e32 v0, 16, v0
	;;#ASMSTART
	v_cvt_f32_f16 v19, v4;
	;;#ASMEND
	;;#ASMSTART
	v_cvt_f32_f16 v71, v0;
	;;#ASMEND
	flat_load_dwordx2 v[11:12], v[9:10] offset:256
	s_clause 0x1
	buffer_load_dword v4, off, s[0:3], s32 offset:200
	buffer_load_dword v5, off, s[0:3], s32 offset:204
	v_mov_b32_e32 v6, 0
	s_waitcnt vmcnt(2) lgkmcnt(0)
	v_cmp_ne_u16_sdwa s4, v11, v1 src0_sel:BYTE_0 src1_sel:DWORD
	s_waitcnt vmcnt(0)
	flat_load_dword v4, v[4:5]
	v_mov_b32_e32 v5, 0
	s_and_saveexec_b32 s16, s4
	s_cbranch_execz .LBB306_1009
; %bb.1002:                             ;   in Loop: Header=BB306_934 Depth=1
	v_cmp_ne_u16_sdwa s4, v11, v17 src0_sel:BYTE_0 src1_sel:DWORD
	v_mov_b32_e32 v6, 0x8000
	s_and_saveexec_b32 s17, s4
	s_cbranch_execz .LBB306_1008
; %bb.1003:                             ;   in Loop: Header=BB306_934 Depth=1
	v_and_b32_e32 v16, 0x7f, v11
	v_mov_b32_e32 v6, 0x7c01
	s_mov_b32 s18, exec_lo
	v_cmpx_ne_u32_e32 0x7f, v16
	s_cbranch_execz .LBB306_1007
; %bb.1004:                             ;   in Loop: Header=BB306_934 Depth=1
	v_and_b32_e32 v0, 7, v11
	v_lshrrev_b32_e32 v6, 3, v16
	s_mov_b32 s20, exec_lo
	v_cmpx_gt_u32_e32 8, v16
; %bb.1005:                             ;   in Loop: Header=BB306_934 Depth=1
	v_ffbh_u32_e32 v0, v0
	v_min_u32_e32 v0, 32, v0
	v_subrev_nc_u32_e32 v6, 28, v0
	v_lshlrev_b64 v[26:27], v6, v[11:12]
	v_sub_nc_u32_e32 v6, 29, v0
	v_and_b32_e32 v0, 7, v26
; %bb.1006:                             ;   in Loop: Header=BB306_934 Depth=1
	s_or_b32 exec_lo, exec_lo, s20
	v_lshlrev_b32_e32 v16, 8, v11
	v_lshl_add_u32 v6, v6, 10, 0x2000
	v_lshlrev_b32_e32 v0, 7, v0
	v_and_b32_e32 v16, 0x8000, v16
	v_and_b32_e32 v6, 0xfc00, v6
	v_or3_b32 v6, v16, v6, v0
.LBB306_1007:                           ;   in Loop: Header=BB306_934 Depth=1
	s_or_b32 exec_lo, exec_lo, s18
.LBB306_1008:                           ;   in Loop: Header=BB306_934 Depth=1
	s_or_b32 exec_lo, exec_lo, s17
.LBB306_1009:                           ;   in Loop: Header=BB306_934 Depth=1
	s_or_b32 exec_lo, exec_lo, s16
	v_lshrrev_b16 v0, 8, v11
	s_mov_b32 s16, exec_lo
	v_cmpx_ne_u16_e32 0, v0
	s_cbranch_execz .LBB306_1017
; %bb.1010:                             ;   in Loop: Header=BB306_934 Depth=1
	v_bfrev_b32_e32 v5, 1
	s_mov_b32 s17, exec_lo
	v_cmpx_ne_u16_e32 0x80, v0
	s_cbranch_execz .LBB306_1016
; %bb.1011:                             ;   in Loop: Header=BB306_934 Depth=1
	v_and_b32_sdwa v22, v0, v53 dst_sel:DWORD dst_unused:UNUSED_PAD src0_sel:WORD_0 src1_sel:DWORD
	v_mov_b32_e32 v5, 0x7c010000
	s_mov_b32 s18, exec_lo
	v_cmpx_ne_u32_e32 0x7f, v22
	s_cbranch_execz .LBB306_1015
; %bb.1012:                             ;   in Loop: Header=BB306_934 Depth=1
	v_and_b32_sdwa v5, v0, v54 dst_sel:DWORD dst_unused:UNUSED_PAD src0_sel:WORD_0 src1_sel:DWORD
	v_lshrrev_b32_e32 v16, 3, v22
	s_mov_b32 s20, exec_lo
	v_cmpx_gt_u32_e32 8, v22
; %bb.1013:                             ;   in Loop: Header=BB306_934 Depth=1
	v_ffbh_u32_e32 v5, v5
	v_min_u32_e32 v5, 32, v5
	v_subrev_nc_u32_e32 v16, 28, v5
	v_lshlrev_b64 v[26:27], v16, v[0:1]
	v_sub_nc_u32_e32 v16, 29, v5
	v_and_b32_e32 v5, 7, v26
; %bb.1014:                             ;   in Loop: Header=BB306_934 Depth=1
	s_or_b32 exec_lo, exec_lo, s20
	v_lshlrev_b32_sdwa v0, v69, v0 dst_sel:DWORD dst_unused:UNUSED_PAD src0_sel:DWORD src1_sel:WORD_0
	v_lshl_add_u32 v16, v16, 10, 0x2000
	v_lshlrev_b32_e32 v5, 23, v5
	v_and_or_b32 v0, 0x8000, v0, v16
	v_lshl_or_b32 v5, v0, 16, v5
.LBB306_1015:                           ;   in Loop: Header=BB306_934 Depth=1
	s_or_b32 exec_lo, exec_lo, s18
.LBB306_1016:                           ;   in Loop: Header=BB306_934 Depth=1
	s_or_b32 exec_lo, exec_lo, s17
.LBB306_1017:                           ;   in Loop: Header=BB306_934 Depth=1
	s_or_b32 exec_lo, exec_lo, s16
	v_lshrrev_b32_e32 v0, 16, v11
	v_mov_b32_e32 v22, 0
	v_mov_b32_e32 v35, 0
	v_cmp_ne_u16_sdwa s4, v0, v1 src0_sel:BYTE_0 src1_sel:DWORD
	s_and_saveexec_b32 s16, s4
	s_cbranch_execz .LBB306_1025
; %bb.1018:                             ;   in Loop: Header=BB306_934 Depth=1
	v_cmp_ne_u16_sdwa s4, v0, v17 src0_sel:BYTE_0 src1_sel:DWORD
	v_mov_b32_e32 v35, 0x8000
	s_and_saveexec_b32 s17, s4
	s_cbranch_execz .LBB306_1024
; %bb.1019:                             ;   in Loop: Header=BB306_934 Depth=1
	v_bfe_u32 v27, v11, 16, 7
	v_mov_b32_e32 v35, 0x7c01
	s_mov_b32 s18, exec_lo
	v_cmpx_ne_u32_e32 0x7f, v27
	s_cbranch_execz .LBB306_1023
; %bb.1020:                             ;   in Loop: Header=BB306_934 Depth=1
	v_and_b32_e32 v16, 7, v0
	v_lshrrev_b32_e32 v26, 3, v27
	s_mov_b32 s20, exec_lo
	v_cmpx_gt_u32_e32 8, v27
; %bb.1021:                             ;   in Loop: Header=BB306_934 Depth=1
	v_ffbh_u32_e32 v16, v16
	v_min_u32_e32 v16, 32, v16
	v_subrev_nc_u32_e32 v26, 28, v16
	v_lshlrev_b64 v[37:38], v26, v[0:1]
	v_sub_nc_u32_e32 v26, 29, v16
	v_and_b32_e32 v16, 7, v37
; %bb.1022:                             ;   in Loop: Header=BB306_934 Depth=1
	s_or_b32 exec_lo, exec_lo, s20
	v_lshlrev_b32_e32 v0, 8, v0
	v_lshl_add_u32 v26, v26, 10, 0x2000
	v_lshlrev_b32_e32 v16, 7, v16
	v_and_b32_e32 v0, 0x8000, v0
	v_and_b32_e32 v26, 0xfc00, v26
	v_or3_b32 v35, v0, v26, v16
.LBB306_1023:                           ;   in Loop: Header=BB306_934 Depth=1
	s_or_b32 exec_lo, exec_lo, s18
.LBB306_1024:                           ;   in Loop: Header=BB306_934 Depth=1
	s_or_b32 exec_lo, exec_lo, s17
.LBB306_1025:                           ;   in Loop: Header=BB306_934 Depth=1
	s_or_b32 exec_lo, exec_lo, s16
	s_mov_b32 s16, exec_lo
	v_cmpx_lt_u32_e32 0xffffff, v11
	s_cbranch_execz .LBB306_1033
; %bb.1026:                             ;   in Loop: Header=BB306_934 Depth=1
	v_lshrrev_b32_e32 v0, 24, v11
	v_bfrev_b32_e32 v22, 1
	s_mov_b32 s17, exec_lo
	v_cmpx_ne_u32_e32 0x80, v0
	s_cbranch_execz .LBB306_1032
; %bb.1027:                             ;   in Loop: Header=BB306_934 Depth=1
	v_and_b32_e32 v26, 0x7f, v0
	v_mov_b32_e32 v22, 0x7c010000
	s_mov_b32 s18, exec_lo
	v_cmpx_ne_u32_e32 0x7f, v26
	s_cbranch_execz .LBB306_1031
; %bb.1028:                             ;   in Loop: Header=BB306_934 Depth=1
	v_and_b32_e32 v16, 7, v0
	v_lshrrev_b32_e32 v22, 3, v26
	s_mov_b32 s20, exec_lo
	v_cmpx_gt_u32_e32 8, v26
; %bb.1029:                             ;   in Loop: Header=BB306_934 Depth=1
	v_ffbh_u32_e32 v16, v16
	v_min_u32_e32 v16, 32, v16
	v_subrev_nc_u32_e32 v22, 28, v16
	v_lshlrev_b64 v[26:27], v22, v[0:1]
	v_sub_nc_u32_e32 v22, 29, v16
	v_and_b32_e32 v16, 7, v26
; %bb.1030:                             ;   in Loop: Header=BB306_934 Depth=1
	s_or_b32 exec_lo, exec_lo, s20
	v_lshlrev_b32_e32 v0, 8, v0
	v_lshl_add_u32 v22, v22, 10, 0x2000
	v_lshlrev_b32_e32 v16, 23, v16
	v_and_or_b32 v0, 0x8000, v0, v22
	v_lshl_or_b32 v22, v0, 16, v16
.LBB306_1031:                           ;   in Loop: Header=BB306_934 Depth=1
	s_or_b32 exec_lo, exec_lo, s18
.LBB306_1032:                           ;   in Loop: Header=BB306_934 Depth=1
	s_or_b32 exec_lo, exec_lo, s17
.LBB306_1033:                           ;   in Loop: Header=BB306_934 Depth=1
	s_or_b32 exec_lo, exec_lo, s16
	v_mov_b32_e32 v0, v12
	v_cmp_ne_u16_sdwa s4, v12, v1 src0_sel:BYTE_0 src1_sel:DWORD
	v_mov_b32_e32 v16, 0
	v_mov_b32_e32 v26, 0
	s_and_saveexec_b32 s16, s4
	s_cbranch_execz .LBB306_1041
; %bb.1034:                             ;   in Loop: Header=BB306_934 Depth=1
	v_cmp_ne_u16_sdwa s4, v12, v17 src0_sel:BYTE_0 src1_sel:DWORD
	v_mov_b32_e32 v26, 0x8000
	s_and_saveexec_b32 s17, s4
	s_cbranch_execz .LBB306_1040
; %bb.1035:                             ;   in Loop: Header=BB306_934 Depth=1
	v_and_b32_e32 v37, 0x7f, v12
	v_mov_b32_e32 v26, 0x7c01
	s_mov_b32 s18, exec_lo
	v_cmpx_ne_u32_e32 0x7f, v37
	s_cbranch_execz .LBB306_1039
; %bb.1036:                             ;   in Loop: Header=BB306_934 Depth=1
	v_and_b32_e32 v26, 7, v12
	v_lshrrev_b32_e32 v27, 3, v37
	s_mov_b32 s20, exec_lo
	v_cmpx_gt_u32_e32 8, v37
; %bb.1037:                             ;   in Loop: Header=BB306_934 Depth=1
	v_ffbh_u32_e32 v26, v26
	v_min_u32_e32 v37, 32, v26
	v_subrev_nc_u32_e32 v26, 28, v37
	v_lshlrev_b64 v[26:27], v26, v[0:1]
	v_sub_nc_u32_e32 v27, 29, v37
	v_and_b32_e32 v26, 7, v26
; %bb.1038:                             ;   in Loop: Header=BB306_934 Depth=1
	s_or_b32 exec_lo, exec_lo, s20
	v_lshlrev_b32_e32 v37, 8, v12
	v_lshl_add_u32 v27, v27, 10, 0x2000
	v_lshlrev_b32_e32 v26, 7, v26
	v_and_b32_e32 v37, 0x8000, v37
	v_and_b32_e32 v27, 0xfc00, v27
	v_or3_b32 v26, v37, v27, v26
.LBB306_1039:                           ;   in Loop: Header=BB306_934 Depth=1
	s_or_b32 exec_lo, exec_lo, s18
.LBB306_1040:                           ;   in Loop: Header=BB306_934 Depth=1
	s_or_b32 exec_lo, exec_lo, s17
.LBB306_1041:                           ;   in Loop: Header=BB306_934 Depth=1
	s_or_b32 exec_lo, exec_lo, s16
	v_lshrrev_b16 v0, 8, v0
	v_mov_b32_e32 v27, 0
	s_mov_b32 s16, exec_lo
	v_cmpx_ne_u16_e32 0, v0
	s_cbranch_execz .LBB306_1049
; %bb.1042:                             ;   in Loop: Header=BB306_934 Depth=1
	v_bfrev_b32_e32 v27, 1
	s_mov_b32 s17, exec_lo
	v_cmpx_ne_u16_e32 0x80, v0
	s_cbranch_execz .LBB306_1048
; %bb.1043:                             ;   in Loop: Header=BB306_934 Depth=1
	v_and_b32_sdwa v38, v0, v53 dst_sel:DWORD dst_unused:UNUSED_PAD src0_sel:WORD_0 src1_sel:DWORD
	v_mov_b32_e32 v27, 0x7c010000
	s_mov_b32 s18, exec_lo
	v_cmpx_ne_u32_e32 0x7f, v38
	s_cbranch_execz .LBB306_1047
; %bb.1044:                             ;   in Loop: Header=BB306_934 Depth=1
	v_and_b32_sdwa v27, v0, v54 dst_sel:DWORD dst_unused:UNUSED_PAD src0_sel:WORD_0 src1_sel:DWORD
	v_lshrrev_b32_e32 v37, 3, v38
	s_mov_b32 s20, exec_lo
	v_cmpx_gt_u32_e32 8, v38
; %bb.1045:                             ;   in Loop: Header=BB306_934 Depth=1
	v_ffbh_u32_e32 v27, v27
	v_min_u32_e32 v27, 32, v27
	v_subrev_nc_u32_e32 v37, 28, v27
	v_lshlrev_b64 v[48:49], v37, v[0:1]
	v_sub_nc_u32_e32 v37, 29, v27
	v_and_b32_e32 v27, 7, v48
; %bb.1046:                             ;   in Loop: Header=BB306_934 Depth=1
	s_or_b32 exec_lo, exec_lo, s20
	v_lshlrev_b32_sdwa v0, v69, v0 dst_sel:DWORD dst_unused:UNUSED_PAD src0_sel:DWORD src1_sel:WORD_0
	v_lshl_add_u32 v37, v37, 10, 0x2000
	v_lshlrev_b32_e32 v27, 23, v27
	v_and_or_b32 v0, 0x8000, v0, v37
	v_lshl_or_b32 v27, v0, 16, v27
.LBB306_1047:                           ;   in Loop: Header=BB306_934 Depth=1
	s_or_b32 exec_lo, exec_lo, s18
.LBB306_1048:                           ;   in Loop: Header=BB306_934 Depth=1
	s_or_b32 exec_lo, exec_lo, s17
.LBB306_1049:                           ;   in Loop: Header=BB306_934 Depth=1
	s_or_b32 exec_lo, exec_lo, s16
	v_lshrrev_b32_e32 v0, 16, v12
	v_cmp_ne_u16_sdwa s4, v0, v1 src0_sel:BYTE_0 src1_sel:DWORD
	s_and_saveexec_b32 s16, s4
	s_cbranch_execz .LBB306_1057
; %bb.1050:                             ;   in Loop: Header=BB306_934 Depth=1
	v_cmp_ne_u16_sdwa s4, v0, v17 src0_sel:BYTE_0 src1_sel:DWORD
	v_mov_b32_e32 v16, 0x8000
	s_and_saveexec_b32 s17, s4
	s_cbranch_execz .LBB306_1056
; %bb.1051:                             ;   in Loop: Header=BB306_934 Depth=1
	v_bfe_u32 v38, v12, 16, 7
	v_mov_b32_e32 v16, 0x7c01
	s_mov_b32 s18, exec_lo
	v_cmpx_ne_u32_e32 0x7f, v38
	s_cbranch_execz .LBB306_1055
; %bb.1052:                             ;   in Loop: Header=BB306_934 Depth=1
	v_and_b32_e32 v16, 7, v0
	v_lshrrev_b32_e32 v37, 3, v38
	s_mov_b32 s20, exec_lo
	v_cmpx_gt_u32_e32 8, v38
; %bb.1053:                             ;   in Loop: Header=BB306_934 Depth=1
	v_ffbh_u32_e32 v16, v16
	v_min_u32_e32 v16, 32, v16
	v_subrev_nc_u32_e32 v37, 28, v16
	v_lshlrev_b64 v[48:49], v37, v[0:1]
	v_sub_nc_u32_e32 v37, 29, v16
	v_and_b32_e32 v16, 7, v48
; %bb.1054:                             ;   in Loop: Header=BB306_934 Depth=1
	s_or_b32 exec_lo, exec_lo, s20
	v_lshlrev_b32_e32 v0, 8, v0
	v_lshl_add_u32 v37, v37, 10, 0x2000
	v_lshlrev_b32_e32 v16, 7, v16
	v_and_b32_e32 v0, 0x8000, v0
	v_and_b32_e32 v37, 0xfc00, v37
	v_or3_b32 v16, v0, v37, v16
.LBB306_1055:                           ;   in Loop: Header=BB306_934 Depth=1
	s_or_b32 exec_lo, exec_lo, s18
.LBB306_1056:                           ;   in Loop: Header=BB306_934 Depth=1
	s_or_b32 exec_lo, exec_lo, s17
.LBB306_1057:                           ;   in Loop: Header=BB306_934 Depth=1
	s_or_b32 exec_lo, exec_lo, s16
	v_cmp_lt_u64_e64 s4, s[12:13], v[11:12]
	v_mov_b32_e32 v11, 0
	s_and_saveexec_b32 s16, s4
	s_cbranch_execz .LBB306_1065
; %bb.1058:                             ;   in Loop: Header=BB306_934 Depth=1
	v_lshrrev_b32_e32 v0, 24, v12
	v_bfrev_b32_e32 v11, 1
	s_mov_b32 s17, exec_lo
	v_cmpx_ne_u32_e32 0x80, v0
	s_cbranch_execz .LBB306_1064
; %bb.1059:                             ;   in Loop: Header=BB306_934 Depth=1
	v_and_b32_e32 v37, 0x7f, v0
	v_mov_b32_e32 v11, 0x7c010000
	s_mov_b32 s18, exec_lo
	v_cmpx_ne_u32_e32 0x7f, v37
	s_cbranch_execz .LBB306_1063
; %bb.1060:                             ;   in Loop: Header=BB306_934 Depth=1
	v_and_b32_e32 v11, 7, v0
	v_lshrrev_b32_e32 v12, 3, v37
	s_mov_b32 s20, exec_lo
	v_cmpx_gt_u32_e32 8, v37
; %bb.1061:                             ;   in Loop: Header=BB306_934 Depth=1
	v_ffbh_u32_e32 v11, v11
	v_min_u32_e32 v37, 32, v11
	v_subrev_nc_u32_e32 v11, 28, v37
	v_lshlrev_b64 v[11:12], v11, v[0:1]
	v_sub_nc_u32_e32 v12, 29, v37
	v_and_b32_e32 v11, 7, v11
; %bb.1062:                             ;   in Loop: Header=BB306_934 Depth=1
	s_or_b32 exec_lo, exec_lo, s20
	v_lshlrev_b32_e32 v0, 8, v0
	v_lshl_add_u32 v12, v12, 10, 0x2000
	v_lshlrev_b32_e32 v11, 23, v11
	v_and_or_b32 v0, 0x8000, v0, v12
	v_lshl_or_b32 v11, v0, 16, v11
.LBB306_1063:                           ;   in Loop: Header=BB306_934 Depth=1
	s_or_b32 exec_lo, exec_lo, s18
.LBB306_1064:                           ;   in Loop: Header=BB306_934 Depth=1
	s_or_b32 exec_lo, exec_lo, s17
.LBB306_1065:                           ;   in Loop: Header=BB306_934 Depth=1
	s_or_b32 exec_lo, exec_lo, s16
	v_or_b32_e32 v0, v22, v35
	s_waitcnt vmcnt(0) lgkmcnt(0)
	v_fma_mixlo_f16 v12, v4, v22, 0 op_sel:[0,1,0] op_sel_hi:[0,1,0]
	v_or_b32_e32 v6, v5, v6
	v_fma_mixlo_f16 v5, v4, v5, 0 op_sel:[0,1,0] op_sel_hi:[0,1,0]
	v_or_b32_e32 v22, v27, v26
	v_fma_mixlo_f16 v26, v4, v0, 0 op_sel_hi:[0,1,0]
	v_or_b32_e32 v16, v11, v16
	v_lshlrev_b32_e32 v0, 16, v12
	v_lshlrev_b32_e32 v12, 16, v5
	v_fma_mixlo_f16 v6, v4, v6, 0 op_sel_hi:[0,1,0]
	v_and_b32_e32 v5, 0xffff, v26
	v_fma_mixlo_f16 v26, v4, v27, 0 op_sel:[0,1,0] op_sel_hi:[0,1,0]
	v_fma_mixlo_f16 v22, v4, v22, 0 op_sel_hi:[0,1,0]
	v_fma_mixlo_f16 v11, v4, v11, 0 op_sel:[0,1,0] op_sel_hi:[0,1,0]
	v_fma_mixlo_f16 v16, v4, v16, 0 op_sel_hi:[0,1,0]
	v_and_b32_e32 v37, 0xffff, v6
	v_lshlrev_b32_e32 v6, 16, v26
	v_and_b32_e32 v22, 0xffff, v22
	v_lshlrev_b32_e32 v4, 16, v11
	v_and_b32_e32 v11, 0xffff, v16
	v_or_b32_e32 v16, v0, v5
	v_or_b32_e32 v35, v12, v37
	;; [unrolled: 1-line block ×4, first 2 shown]
	s_and_saveexec_b32 s16, vcc_lo
	s_cbranch_execz .LBB306_1067
; %bb.1066:                             ;   in Loop: Header=BB306_934 Depth=1
	v_cmp_lt_i32_e64 s4, v18, v36
	v_cndmask_b32_e64 v16, 0, v37, s4
	v_cmp_lt_i32_e64 s4, v98, v36
	v_cndmask_b32_e64 v12, 0, v12, s4
	v_cmp_lt_i32_e64 s4, v97, v36
	v_or_b32_e32 v35, v16, v12
	v_cndmask_b32_e64 v5, 0, v5, s4
	v_cmp_lt_i32_e64 s4, v96, v36
	v_cndmask_b32_e64 v0, 0, v0, s4
	v_cmp_lt_i32_e64 s4, v87, v36
	v_or_b32_e32 v16, v5, v0
	;; [unrolled: 5-line block ×3, first 2 shown]
	v_cndmask_b32_e64 v11, 0, v11, s4
	v_cmp_lt_i32_e64 s4, v84, v36
	v_cndmask_b32_e64 v4, 0, v4, s4
	v_or_b32_e32 v26, v11, v4
.LBB306_1067:                           ;   in Loop: Header=BB306_934 Depth=1
	s_or_b32 exec_lo, exec_lo, s16
	;;#ASMSTART
	v_pk_mul_f16 v0, v83, v35;

	;;#ASMEND
	;;#ASMSTART
	v_pk_mul_f16 v4, v82, v16;

	;;#ASMEND
	;;#ASMSTART
	v_pk_mul_f16 v5, v81, v27;

	;;#ASMEND
	;;#ASMSTART
	v_pk_mul_f16 v6, v80, v26;

	;;#ASMEND
	;;#ASMSTART
	v_pk_add_f16 v0, v0, v4;

	;;#ASMEND
	;;#ASMSTART
	v_pk_add_f16 v0, v0, v5;

	;;#ASMEND
	;; [unrolled: 4-line block ×3, first 2 shown]
	v_and_b32_e32 v4, 0xffff, v0
	v_lshrrev_b32_e32 v0, 16, v0
	;;#ASMSTART
	v_cvt_f32_f16 v99, v4;
	;;#ASMEND
	;;#ASMSTART
	v_cvt_f32_f16 v100, v0;
	;;#ASMEND
	flat_load_dwordx2 v[11:12], v[9:10] offset:512
	s_clause 0x1
	buffer_load_dword v4, off, s[0:3], s32 offset:200
	buffer_load_dword v5, off, s[0:3], s32 offset:204
	v_mov_b32_e32 v6, 0
	s_waitcnt vmcnt(2) lgkmcnt(0)
	v_cmp_ne_u16_sdwa s4, v11, v1 src0_sel:BYTE_0 src1_sel:DWORD
	s_waitcnt vmcnt(0)
	flat_load_dword v4, v[4:5]
	v_mov_b32_e32 v5, 0
	s_and_saveexec_b32 s16, s4
	s_cbranch_execz .LBB306_1075
; %bb.1068:                             ;   in Loop: Header=BB306_934 Depth=1
	v_cmp_ne_u16_sdwa s4, v11, v17 src0_sel:BYTE_0 src1_sel:DWORD
	v_mov_b32_e32 v6, 0x8000
	s_and_saveexec_b32 s17, s4
	s_cbranch_execz .LBB306_1074
; %bb.1069:                             ;   in Loop: Header=BB306_934 Depth=1
	v_and_b32_e32 v16, 0x7f, v11
	v_mov_b32_e32 v6, 0x7c01
	s_mov_b32 s18, exec_lo
	v_cmpx_ne_u32_e32 0x7f, v16
	s_cbranch_execz .LBB306_1073
; %bb.1070:                             ;   in Loop: Header=BB306_934 Depth=1
	v_and_b32_e32 v0, 7, v11
	v_lshrrev_b32_e32 v6, 3, v16
	s_mov_b32 s20, exec_lo
	v_cmpx_gt_u32_e32 8, v16
; %bb.1071:                             ;   in Loop: Header=BB306_934 Depth=1
	v_ffbh_u32_e32 v0, v0
	v_min_u32_e32 v0, 32, v0
	v_subrev_nc_u32_e32 v6, 28, v0
	v_lshlrev_b64 v[26:27], v6, v[11:12]
	v_sub_nc_u32_e32 v6, 29, v0
	v_and_b32_e32 v0, 7, v26
; %bb.1072:                             ;   in Loop: Header=BB306_934 Depth=1
	s_or_b32 exec_lo, exec_lo, s20
	v_lshlrev_b32_e32 v16, 8, v11
	v_lshl_add_u32 v6, v6, 10, 0x2000
	v_lshlrev_b32_e32 v0, 7, v0
	v_and_b32_e32 v16, 0x8000, v16
	v_and_b32_e32 v6, 0xfc00, v6
	v_or3_b32 v6, v16, v6, v0
.LBB306_1073:                           ;   in Loop: Header=BB306_934 Depth=1
	s_or_b32 exec_lo, exec_lo, s18
.LBB306_1074:                           ;   in Loop: Header=BB306_934 Depth=1
	s_or_b32 exec_lo, exec_lo, s17
.LBB306_1075:                           ;   in Loop: Header=BB306_934 Depth=1
	s_or_b32 exec_lo, exec_lo, s16
	v_lshrrev_b16 v0, 8, v11
	s_mov_b32 s16, exec_lo
	v_cmpx_ne_u16_e32 0, v0
	s_cbranch_execz .LBB306_1083
; %bb.1076:                             ;   in Loop: Header=BB306_934 Depth=1
	v_bfrev_b32_e32 v5, 1
	s_mov_b32 s17, exec_lo
	v_cmpx_ne_u16_e32 0x80, v0
	s_cbranch_execz .LBB306_1082
; %bb.1077:                             ;   in Loop: Header=BB306_934 Depth=1
	v_and_b32_sdwa v22, v0, v53 dst_sel:DWORD dst_unused:UNUSED_PAD src0_sel:WORD_0 src1_sel:DWORD
	v_mov_b32_e32 v5, 0x7c010000
	s_mov_b32 s18, exec_lo
	v_cmpx_ne_u32_e32 0x7f, v22
	s_cbranch_execz .LBB306_1081
; %bb.1078:                             ;   in Loop: Header=BB306_934 Depth=1
	v_and_b32_sdwa v5, v0, v54 dst_sel:DWORD dst_unused:UNUSED_PAD src0_sel:WORD_0 src1_sel:DWORD
	v_lshrrev_b32_e32 v16, 3, v22
	s_mov_b32 s20, exec_lo
	v_cmpx_gt_u32_e32 8, v22
; %bb.1079:                             ;   in Loop: Header=BB306_934 Depth=1
	v_ffbh_u32_e32 v5, v5
	v_min_u32_e32 v5, 32, v5
	v_subrev_nc_u32_e32 v16, 28, v5
	v_lshlrev_b64 v[26:27], v16, v[0:1]
	v_sub_nc_u32_e32 v16, 29, v5
	v_and_b32_e32 v5, 7, v26
; %bb.1080:                             ;   in Loop: Header=BB306_934 Depth=1
	s_or_b32 exec_lo, exec_lo, s20
	v_lshlrev_b32_sdwa v0, v69, v0 dst_sel:DWORD dst_unused:UNUSED_PAD src0_sel:DWORD src1_sel:WORD_0
	v_lshl_add_u32 v16, v16, 10, 0x2000
	v_lshlrev_b32_e32 v5, 23, v5
	v_and_or_b32 v0, 0x8000, v0, v16
	v_lshl_or_b32 v5, v0, 16, v5
.LBB306_1081:                           ;   in Loop: Header=BB306_934 Depth=1
	s_or_b32 exec_lo, exec_lo, s18
.LBB306_1082:                           ;   in Loop: Header=BB306_934 Depth=1
	s_or_b32 exec_lo, exec_lo, s17
.LBB306_1083:                           ;   in Loop: Header=BB306_934 Depth=1
	s_or_b32 exec_lo, exec_lo, s16
	v_lshrrev_b32_e32 v0, 16, v11
	v_mov_b32_e32 v22, 0
	v_mov_b32_e32 v35, 0
	v_cmp_ne_u16_sdwa s4, v0, v1 src0_sel:BYTE_0 src1_sel:DWORD
	s_and_saveexec_b32 s16, s4
	s_cbranch_execz .LBB306_1091
; %bb.1084:                             ;   in Loop: Header=BB306_934 Depth=1
	v_cmp_ne_u16_sdwa s4, v0, v17 src0_sel:BYTE_0 src1_sel:DWORD
	v_mov_b32_e32 v35, 0x8000
	s_and_saveexec_b32 s17, s4
	s_cbranch_execz .LBB306_1090
; %bb.1085:                             ;   in Loop: Header=BB306_934 Depth=1
	v_bfe_u32 v27, v11, 16, 7
	v_mov_b32_e32 v35, 0x7c01
	s_mov_b32 s18, exec_lo
	v_cmpx_ne_u32_e32 0x7f, v27
	s_cbranch_execz .LBB306_1089
; %bb.1086:                             ;   in Loop: Header=BB306_934 Depth=1
	v_and_b32_e32 v16, 7, v0
	v_lshrrev_b32_e32 v26, 3, v27
	s_mov_b32 s20, exec_lo
	v_cmpx_gt_u32_e32 8, v27
; %bb.1087:                             ;   in Loop: Header=BB306_934 Depth=1
	v_ffbh_u32_e32 v16, v16
	v_min_u32_e32 v16, 32, v16
	v_subrev_nc_u32_e32 v26, 28, v16
	v_lshlrev_b64 v[37:38], v26, v[0:1]
	v_sub_nc_u32_e32 v26, 29, v16
	v_and_b32_e32 v16, 7, v37
; %bb.1088:                             ;   in Loop: Header=BB306_934 Depth=1
	s_or_b32 exec_lo, exec_lo, s20
	v_lshlrev_b32_e32 v0, 8, v0
	v_lshl_add_u32 v26, v26, 10, 0x2000
	v_lshlrev_b32_e32 v16, 7, v16
	v_and_b32_e32 v0, 0x8000, v0
	v_and_b32_e32 v26, 0xfc00, v26
	v_or3_b32 v35, v0, v26, v16
.LBB306_1089:                           ;   in Loop: Header=BB306_934 Depth=1
	s_or_b32 exec_lo, exec_lo, s18
.LBB306_1090:                           ;   in Loop: Header=BB306_934 Depth=1
	s_or_b32 exec_lo, exec_lo, s17
.LBB306_1091:                           ;   in Loop: Header=BB306_934 Depth=1
	s_or_b32 exec_lo, exec_lo, s16
	s_mov_b32 s16, exec_lo
	v_cmpx_lt_u32_e32 0xffffff, v11
	s_cbranch_execz .LBB306_1099
; %bb.1092:                             ;   in Loop: Header=BB306_934 Depth=1
	v_lshrrev_b32_e32 v0, 24, v11
	v_bfrev_b32_e32 v22, 1
	s_mov_b32 s17, exec_lo
	v_cmpx_ne_u32_e32 0x80, v0
	s_cbranch_execz .LBB306_1098
; %bb.1093:                             ;   in Loop: Header=BB306_934 Depth=1
	v_and_b32_e32 v26, 0x7f, v0
	v_mov_b32_e32 v22, 0x7c010000
	s_mov_b32 s18, exec_lo
	v_cmpx_ne_u32_e32 0x7f, v26
	s_cbranch_execz .LBB306_1097
; %bb.1094:                             ;   in Loop: Header=BB306_934 Depth=1
	v_and_b32_e32 v16, 7, v0
	v_lshrrev_b32_e32 v22, 3, v26
	s_mov_b32 s20, exec_lo
	v_cmpx_gt_u32_e32 8, v26
; %bb.1095:                             ;   in Loop: Header=BB306_934 Depth=1
	v_ffbh_u32_e32 v16, v16
	v_min_u32_e32 v16, 32, v16
	v_subrev_nc_u32_e32 v22, 28, v16
	v_lshlrev_b64 v[26:27], v22, v[0:1]
	v_sub_nc_u32_e32 v22, 29, v16
	v_and_b32_e32 v16, 7, v26
; %bb.1096:                             ;   in Loop: Header=BB306_934 Depth=1
	s_or_b32 exec_lo, exec_lo, s20
	v_lshlrev_b32_e32 v0, 8, v0
	v_lshl_add_u32 v22, v22, 10, 0x2000
	v_lshlrev_b32_e32 v16, 23, v16
	v_and_or_b32 v0, 0x8000, v0, v22
	v_lshl_or_b32 v22, v0, 16, v16
.LBB306_1097:                           ;   in Loop: Header=BB306_934 Depth=1
	s_or_b32 exec_lo, exec_lo, s18
.LBB306_1098:                           ;   in Loop: Header=BB306_934 Depth=1
	s_or_b32 exec_lo, exec_lo, s17
.LBB306_1099:                           ;   in Loop: Header=BB306_934 Depth=1
	s_or_b32 exec_lo, exec_lo, s16
	v_mov_b32_e32 v0, v12
	v_cmp_ne_u16_sdwa s4, v12, v1 src0_sel:BYTE_0 src1_sel:DWORD
	v_mov_b32_e32 v16, 0
	v_mov_b32_e32 v26, 0
	s_and_saveexec_b32 s16, s4
	s_cbranch_execz .LBB306_1107
; %bb.1100:                             ;   in Loop: Header=BB306_934 Depth=1
	v_cmp_ne_u16_sdwa s4, v12, v17 src0_sel:BYTE_0 src1_sel:DWORD
	v_mov_b32_e32 v26, 0x8000
	s_and_saveexec_b32 s17, s4
	s_cbranch_execz .LBB306_1106
; %bb.1101:                             ;   in Loop: Header=BB306_934 Depth=1
	v_and_b32_e32 v37, 0x7f, v12
	v_mov_b32_e32 v26, 0x7c01
	s_mov_b32 s18, exec_lo
	v_cmpx_ne_u32_e32 0x7f, v37
	s_cbranch_execz .LBB306_1105
; %bb.1102:                             ;   in Loop: Header=BB306_934 Depth=1
	v_and_b32_e32 v26, 7, v12
	v_lshrrev_b32_e32 v27, 3, v37
	s_mov_b32 s20, exec_lo
	v_cmpx_gt_u32_e32 8, v37
; %bb.1103:                             ;   in Loop: Header=BB306_934 Depth=1
	v_ffbh_u32_e32 v26, v26
	v_min_u32_e32 v37, 32, v26
	v_subrev_nc_u32_e32 v26, 28, v37
	v_lshlrev_b64 v[26:27], v26, v[0:1]
	v_sub_nc_u32_e32 v27, 29, v37
	v_and_b32_e32 v26, 7, v26
; %bb.1104:                             ;   in Loop: Header=BB306_934 Depth=1
	s_or_b32 exec_lo, exec_lo, s20
	v_lshlrev_b32_e32 v37, 8, v12
	v_lshl_add_u32 v27, v27, 10, 0x2000
	v_lshlrev_b32_e32 v26, 7, v26
	v_and_b32_e32 v37, 0x8000, v37
	v_and_b32_e32 v27, 0xfc00, v27
	v_or3_b32 v26, v37, v27, v26
.LBB306_1105:                           ;   in Loop: Header=BB306_934 Depth=1
	s_or_b32 exec_lo, exec_lo, s18
.LBB306_1106:                           ;   in Loop: Header=BB306_934 Depth=1
	s_or_b32 exec_lo, exec_lo, s17
.LBB306_1107:                           ;   in Loop: Header=BB306_934 Depth=1
	s_or_b32 exec_lo, exec_lo, s16
	v_lshrrev_b16 v0, 8, v0
	v_mov_b32_e32 v27, 0
	s_mov_b32 s16, exec_lo
	v_cmpx_ne_u16_e32 0, v0
	s_cbranch_execz .LBB306_1115
; %bb.1108:                             ;   in Loop: Header=BB306_934 Depth=1
	v_bfrev_b32_e32 v27, 1
	s_mov_b32 s17, exec_lo
	v_cmpx_ne_u16_e32 0x80, v0
	s_cbranch_execz .LBB306_1114
; %bb.1109:                             ;   in Loop: Header=BB306_934 Depth=1
	v_and_b32_sdwa v38, v0, v53 dst_sel:DWORD dst_unused:UNUSED_PAD src0_sel:WORD_0 src1_sel:DWORD
	v_mov_b32_e32 v27, 0x7c010000
	s_mov_b32 s18, exec_lo
	v_cmpx_ne_u32_e32 0x7f, v38
	s_cbranch_execz .LBB306_1113
; %bb.1110:                             ;   in Loop: Header=BB306_934 Depth=1
	v_and_b32_sdwa v27, v0, v54 dst_sel:DWORD dst_unused:UNUSED_PAD src0_sel:WORD_0 src1_sel:DWORD
	v_lshrrev_b32_e32 v37, 3, v38
	s_mov_b32 s20, exec_lo
	v_cmpx_gt_u32_e32 8, v38
; %bb.1111:                             ;   in Loop: Header=BB306_934 Depth=1
	v_ffbh_u32_e32 v27, v27
	v_min_u32_e32 v27, 32, v27
	v_subrev_nc_u32_e32 v37, 28, v27
	v_lshlrev_b64 v[48:49], v37, v[0:1]
	v_sub_nc_u32_e32 v37, 29, v27
	v_and_b32_e32 v27, 7, v48
; %bb.1112:                             ;   in Loop: Header=BB306_934 Depth=1
	s_or_b32 exec_lo, exec_lo, s20
	v_lshlrev_b32_sdwa v0, v69, v0 dst_sel:DWORD dst_unused:UNUSED_PAD src0_sel:DWORD src1_sel:WORD_0
	v_lshl_add_u32 v37, v37, 10, 0x2000
	v_lshlrev_b32_e32 v27, 23, v27
	v_and_or_b32 v0, 0x8000, v0, v37
	v_lshl_or_b32 v27, v0, 16, v27
.LBB306_1113:                           ;   in Loop: Header=BB306_934 Depth=1
	s_or_b32 exec_lo, exec_lo, s18
.LBB306_1114:                           ;   in Loop: Header=BB306_934 Depth=1
	s_or_b32 exec_lo, exec_lo, s17
.LBB306_1115:                           ;   in Loop: Header=BB306_934 Depth=1
	s_or_b32 exec_lo, exec_lo, s16
	v_lshrrev_b32_e32 v0, 16, v12
	v_cmp_ne_u16_sdwa s4, v0, v1 src0_sel:BYTE_0 src1_sel:DWORD
	s_and_saveexec_b32 s16, s4
	s_cbranch_execz .LBB306_1123
; %bb.1116:                             ;   in Loop: Header=BB306_934 Depth=1
	v_cmp_ne_u16_sdwa s4, v0, v17 src0_sel:BYTE_0 src1_sel:DWORD
	v_mov_b32_e32 v16, 0x8000
	s_and_saveexec_b32 s17, s4
	s_cbranch_execz .LBB306_1122
; %bb.1117:                             ;   in Loop: Header=BB306_934 Depth=1
	v_bfe_u32 v38, v12, 16, 7
	v_mov_b32_e32 v16, 0x7c01
	s_mov_b32 s18, exec_lo
	v_cmpx_ne_u32_e32 0x7f, v38
	s_cbranch_execz .LBB306_1121
; %bb.1118:                             ;   in Loop: Header=BB306_934 Depth=1
	v_and_b32_e32 v16, 7, v0
	v_lshrrev_b32_e32 v37, 3, v38
	s_mov_b32 s20, exec_lo
	v_cmpx_gt_u32_e32 8, v38
; %bb.1119:                             ;   in Loop: Header=BB306_934 Depth=1
	v_ffbh_u32_e32 v16, v16
	v_min_u32_e32 v16, 32, v16
	v_subrev_nc_u32_e32 v37, 28, v16
	v_lshlrev_b64 v[48:49], v37, v[0:1]
	v_sub_nc_u32_e32 v37, 29, v16
	v_and_b32_e32 v16, 7, v48
; %bb.1120:                             ;   in Loop: Header=BB306_934 Depth=1
	s_or_b32 exec_lo, exec_lo, s20
	v_lshlrev_b32_e32 v0, 8, v0
	v_lshl_add_u32 v37, v37, 10, 0x2000
	v_lshlrev_b32_e32 v16, 7, v16
	v_and_b32_e32 v0, 0x8000, v0
	v_and_b32_e32 v37, 0xfc00, v37
	v_or3_b32 v16, v0, v37, v16
.LBB306_1121:                           ;   in Loop: Header=BB306_934 Depth=1
	s_or_b32 exec_lo, exec_lo, s18
.LBB306_1122:                           ;   in Loop: Header=BB306_934 Depth=1
	s_or_b32 exec_lo, exec_lo, s17
.LBB306_1123:                           ;   in Loop: Header=BB306_934 Depth=1
	s_or_b32 exec_lo, exec_lo, s16
	v_cmp_lt_u64_e64 s4, s[12:13], v[11:12]
	v_mov_b32_e32 v11, 0
	s_and_saveexec_b32 s16, s4
	s_cbranch_execz .LBB306_1131
; %bb.1124:                             ;   in Loop: Header=BB306_934 Depth=1
	v_lshrrev_b32_e32 v0, 24, v12
	v_bfrev_b32_e32 v11, 1
	s_mov_b32 s17, exec_lo
	v_cmpx_ne_u32_e32 0x80, v0
	s_cbranch_execz .LBB306_1130
; %bb.1125:                             ;   in Loop: Header=BB306_934 Depth=1
	v_and_b32_e32 v37, 0x7f, v0
	v_mov_b32_e32 v11, 0x7c010000
	s_mov_b32 s18, exec_lo
	v_cmpx_ne_u32_e32 0x7f, v37
	s_cbranch_execz .LBB306_1129
; %bb.1126:                             ;   in Loop: Header=BB306_934 Depth=1
	v_and_b32_e32 v11, 7, v0
	v_lshrrev_b32_e32 v12, 3, v37
	s_mov_b32 s20, exec_lo
	v_cmpx_gt_u32_e32 8, v37
; %bb.1127:                             ;   in Loop: Header=BB306_934 Depth=1
	v_ffbh_u32_e32 v11, v11
	v_min_u32_e32 v37, 32, v11
	v_subrev_nc_u32_e32 v11, 28, v37
	v_lshlrev_b64 v[11:12], v11, v[0:1]
	v_sub_nc_u32_e32 v12, 29, v37
	v_and_b32_e32 v11, 7, v11
; %bb.1128:                             ;   in Loop: Header=BB306_934 Depth=1
	s_or_b32 exec_lo, exec_lo, s20
	v_lshlrev_b32_e32 v0, 8, v0
	v_lshl_add_u32 v12, v12, 10, 0x2000
	v_lshlrev_b32_e32 v11, 23, v11
	v_and_or_b32 v0, 0x8000, v0, v12
	v_lshl_or_b32 v11, v0, 16, v11
.LBB306_1129:                           ;   in Loop: Header=BB306_934 Depth=1
	s_or_b32 exec_lo, exec_lo, s18
.LBB306_1130:                           ;   in Loop: Header=BB306_934 Depth=1
	s_or_b32 exec_lo, exec_lo, s17
.LBB306_1131:                           ;   in Loop: Header=BB306_934 Depth=1
	s_or_b32 exec_lo, exec_lo, s16
	v_or_b32_e32 v0, v22, v35
	s_waitcnt vmcnt(0) lgkmcnt(0)
	v_fma_mixlo_f16 v12, v4, v22, 0 op_sel:[0,1,0] op_sel_hi:[0,1,0]
	v_or_b32_e32 v6, v5, v6
	v_fma_mixlo_f16 v5, v4, v5, 0 op_sel:[0,1,0] op_sel_hi:[0,1,0]
	v_or_b32_e32 v22, v27, v26
	v_fma_mixlo_f16 v26, v4, v0, 0 op_sel_hi:[0,1,0]
	v_or_b32_e32 v16, v11, v16
	v_lshlrev_b32_e32 v0, 16, v12
	v_lshlrev_b32_e32 v12, 16, v5
	v_fma_mixlo_f16 v6, v4, v6, 0 op_sel_hi:[0,1,0]
	v_and_b32_e32 v5, 0xffff, v26
	v_fma_mixlo_f16 v26, v4, v27, 0 op_sel:[0,1,0] op_sel_hi:[0,1,0]
	v_fma_mixlo_f16 v22, v4, v22, 0 op_sel_hi:[0,1,0]
	v_fma_mixlo_f16 v11, v4, v11, 0 op_sel:[0,1,0] op_sel_hi:[0,1,0]
	v_fma_mixlo_f16 v16, v4, v16, 0 op_sel_hi:[0,1,0]
	v_and_b32_e32 v37, 0xffff, v6
	v_lshlrev_b32_e32 v6, 16, v26
	v_and_b32_e32 v22, 0xffff, v22
	v_lshlrev_b32_e32 v4, 16, v11
	v_and_b32_e32 v11, 0xffff, v16
	v_or_b32_e32 v16, v0, v5
	v_or_b32_e32 v35, v12, v37
	;; [unrolled: 1-line block ×4, first 2 shown]
	s_and_saveexec_b32 s16, vcc_lo
	s_cbranch_execz .LBB306_1133
; %bb.1132:                             ;   in Loop: Header=BB306_934 Depth=1
	v_cmp_lt_i32_e64 s4, v18, v36
	v_cndmask_b32_e64 v16, 0, v37, s4
	v_cmp_lt_i32_e64 s4, v98, v36
	v_cndmask_b32_e64 v12, 0, v12, s4
	v_cmp_lt_i32_e64 s4, v97, v36
	v_or_b32_e32 v35, v16, v12
	v_cndmask_b32_e64 v5, 0, v5, s4
	v_cmp_lt_i32_e64 s4, v96, v36
	v_cndmask_b32_e64 v0, 0, v0, s4
	v_cmp_lt_i32_e64 s4, v87, v36
	v_or_b32_e32 v16, v5, v0
	;; [unrolled: 5-line block ×3, first 2 shown]
	v_cndmask_b32_e64 v11, 0, v11, s4
	v_cmp_lt_i32_e64 s4, v84, v36
	v_cndmask_b32_e64 v4, 0, v4, s4
	v_or_b32_e32 v26, v11, v4
.LBB306_1133:                           ;   in Loop: Header=BB306_934 Depth=1
	s_or_b32 exec_lo, exec_lo, s16
	;;#ASMSTART
	v_pk_mul_f16 v0, v83, v35;

	;;#ASMEND
	;;#ASMSTART
	v_pk_mul_f16 v4, v82, v16;

	;;#ASMEND
	;; [unrolled: 4-line block ×4, first 2 shown]
	;;#ASMSTART
	v_pk_add_f16 v0, v0, v4;

	;;#ASMEND
	;;#ASMSTART
	v_pk_add_f16 v0, v0, v5;

	;;#ASMEND
	;; [unrolled: 4-line block ×3, first 2 shown]
	v_and_b32_e32 v4, 0xffff, v0
	v_lshrrev_b32_e32 v0, 16, v0
	;;#ASMSTART
	v_cvt_f32_f16 v101, v4;
	;;#ASMEND
	;;#ASMSTART
	v_cvt_f32_f16 v102, v0;
	;;#ASMEND
	flat_load_dwordx2 v[11:12], v[9:10] offset:768
	s_clause 0x1
	buffer_load_dword v4, off, s[0:3], s32 offset:200
	buffer_load_dword v5, off, s[0:3], s32 offset:204
	v_mov_b32_e32 v6, 0
	s_waitcnt vmcnt(2) lgkmcnt(0)
	v_cmp_ne_u16_sdwa s4, v11, v1 src0_sel:BYTE_0 src1_sel:DWORD
	s_waitcnt vmcnt(0)
	flat_load_dword v4, v[4:5]
	v_mov_b32_e32 v5, 0
	s_and_saveexec_b32 s16, s4
	s_cbranch_execz .LBB306_1141
; %bb.1134:                             ;   in Loop: Header=BB306_934 Depth=1
	v_cmp_ne_u16_sdwa s4, v11, v17 src0_sel:BYTE_0 src1_sel:DWORD
	v_mov_b32_e32 v6, 0x8000
	s_and_saveexec_b32 s17, s4
	s_cbranch_execz .LBB306_1140
; %bb.1135:                             ;   in Loop: Header=BB306_934 Depth=1
	v_and_b32_e32 v16, 0x7f, v11
	v_mov_b32_e32 v6, 0x7c01
	s_mov_b32 s18, exec_lo
	v_cmpx_ne_u32_e32 0x7f, v16
	s_cbranch_execz .LBB306_1139
; %bb.1136:                             ;   in Loop: Header=BB306_934 Depth=1
	v_and_b32_e32 v0, 7, v11
	v_lshrrev_b32_e32 v6, 3, v16
	s_mov_b32 s20, exec_lo
	v_cmpx_gt_u32_e32 8, v16
; %bb.1137:                             ;   in Loop: Header=BB306_934 Depth=1
	v_ffbh_u32_e32 v0, v0
	v_min_u32_e32 v0, 32, v0
	v_subrev_nc_u32_e32 v6, 28, v0
	v_lshlrev_b64 v[26:27], v6, v[11:12]
	v_sub_nc_u32_e32 v6, 29, v0
	v_and_b32_e32 v0, 7, v26
; %bb.1138:                             ;   in Loop: Header=BB306_934 Depth=1
	s_or_b32 exec_lo, exec_lo, s20
	v_lshlrev_b32_e32 v16, 8, v11
	v_lshl_add_u32 v6, v6, 10, 0x2000
	v_lshlrev_b32_e32 v0, 7, v0
	v_and_b32_e32 v16, 0x8000, v16
	v_and_b32_e32 v6, 0xfc00, v6
	v_or3_b32 v6, v16, v6, v0
.LBB306_1139:                           ;   in Loop: Header=BB306_934 Depth=1
	s_or_b32 exec_lo, exec_lo, s18
.LBB306_1140:                           ;   in Loop: Header=BB306_934 Depth=1
	s_or_b32 exec_lo, exec_lo, s17
.LBB306_1141:                           ;   in Loop: Header=BB306_934 Depth=1
	s_or_b32 exec_lo, exec_lo, s16
	v_lshrrev_b16 v0, 8, v11
	s_mov_b32 s16, exec_lo
	v_cmpx_ne_u16_e32 0, v0
	s_cbranch_execz .LBB306_1149
; %bb.1142:                             ;   in Loop: Header=BB306_934 Depth=1
	v_bfrev_b32_e32 v5, 1
	s_mov_b32 s17, exec_lo
	v_cmpx_ne_u16_e32 0x80, v0
	s_cbranch_execz .LBB306_1148
; %bb.1143:                             ;   in Loop: Header=BB306_934 Depth=1
	v_and_b32_sdwa v22, v0, v53 dst_sel:DWORD dst_unused:UNUSED_PAD src0_sel:WORD_0 src1_sel:DWORD
	v_mov_b32_e32 v5, 0x7c010000
	s_mov_b32 s18, exec_lo
	v_cmpx_ne_u32_e32 0x7f, v22
	s_cbranch_execz .LBB306_1147
; %bb.1144:                             ;   in Loop: Header=BB306_934 Depth=1
	v_and_b32_sdwa v5, v0, v54 dst_sel:DWORD dst_unused:UNUSED_PAD src0_sel:WORD_0 src1_sel:DWORD
	v_lshrrev_b32_e32 v16, 3, v22
	s_mov_b32 s20, exec_lo
	v_cmpx_gt_u32_e32 8, v22
; %bb.1145:                             ;   in Loop: Header=BB306_934 Depth=1
	v_ffbh_u32_e32 v5, v5
	v_min_u32_e32 v5, 32, v5
	v_subrev_nc_u32_e32 v16, 28, v5
	v_lshlrev_b64 v[26:27], v16, v[0:1]
	v_sub_nc_u32_e32 v16, 29, v5
	v_and_b32_e32 v5, 7, v26
; %bb.1146:                             ;   in Loop: Header=BB306_934 Depth=1
	s_or_b32 exec_lo, exec_lo, s20
	v_lshlrev_b32_sdwa v0, v69, v0 dst_sel:DWORD dst_unused:UNUSED_PAD src0_sel:DWORD src1_sel:WORD_0
	v_lshl_add_u32 v16, v16, 10, 0x2000
	v_lshlrev_b32_e32 v5, 23, v5
	v_and_or_b32 v0, 0x8000, v0, v16
	v_lshl_or_b32 v5, v0, 16, v5
.LBB306_1147:                           ;   in Loop: Header=BB306_934 Depth=1
	s_or_b32 exec_lo, exec_lo, s18
.LBB306_1148:                           ;   in Loop: Header=BB306_934 Depth=1
	s_or_b32 exec_lo, exec_lo, s17
.LBB306_1149:                           ;   in Loop: Header=BB306_934 Depth=1
	s_or_b32 exec_lo, exec_lo, s16
	v_lshrrev_b32_e32 v0, 16, v11
	v_mov_b32_e32 v22, 0
	v_mov_b32_e32 v35, 0
	v_cmp_ne_u16_sdwa s4, v0, v1 src0_sel:BYTE_0 src1_sel:DWORD
	s_and_saveexec_b32 s16, s4
	s_cbranch_execz .LBB306_1157
; %bb.1150:                             ;   in Loop: Header=BB306_934 Depth=1
	v_cmp_ne_u16_sdwa s4, v0, v17 src0_sel:BYTE_0 src1_sel:DWORD
	v_mov_b32_e32 v35, 0x8000
	s_and_saveexec_b32 s17, s4
	s_cbranch_execz .LBB306_1156
; %bb.1151:                             ;   in Loop: Header=BB306_934 Depth=1
	v_bfe_u32 v27, v11, 16, 7
	v_mov_b32_e32 v35, 0x7c01
	s_mov_b32 s18, exec_lo
	v_cmpx_ne_u32_e32 0x7f, v27
	s_cbranch_execz .LBB306_1155
; %bb.1152:                             ;   in Loop: Header=BB306_934 Depth=1
	v_and_b32_e32 v16, 7, v0
	v_lshrrev_b32_e32 v26, 3, v27
	s_mov_b32 s20, exec_lo
	v_cmpx_gt_u32_e32 8, v27
; %bb.1153:                             ;   in Loop: Header=BB306_934 Depth=1
	v_ffbh_u32_e32 v16, v16
	v_min_u32_e32 v16, 32, v16
	v_subrev_nc_u32_e32 v26, 28, v16
	v_lshlrev_b64 v[37:38], v26, v[0:1]
	v_sub_nc_u32_e32 v26, 29, v16
	v_and_b32_e32 v16, 7, v37
; %bb.1154:                             ;   in Loop: Header=BB306_934 Depth=1
	s_or_b32 exec_lo, exec_lo, s20
	v_lshlrev_b32_e32 v0, 8, v0
	v_lshl_add_u32 v26, v26, 10, 0x2000
	v_lshlrev_b32_e32 v16, 7, v16
	v_and_b32_e32 v0, 0x8000, v0
	v_and_b32_e32 v26, 0xfc00, v26
	v_or3_b32 v35, v0, v26, v16
.LBB306_1155:                           ;   in Loop: Header=BB306_934 Depth=1
	s_or_b32 exec_lo, exec_lo, s18
.LBB306_1156:                           ;   in Loop: Header=BB306_934 Depth=1
	s_or_b32 exec_lo, exec_lo, s17
.LBB306_1157:                           ;   in Loop: Header=BB306_934 Depth=1
	s_or_b32 exec_lo, exec_lo, s16
	s_mov_b32 s16, exec_lo
	v_cmpx_lt_u32_e32 0xffffff, v11
	s_cbranch_execz .LBB306_1165
; %bb.1158:                             ;   in Loop: Header=BB306_934 Depth=1
	v_lshrrev_b32_e32 v0, 24, v11
	v_bfrev_b32_e32 v22, 1
	s_mov_b32 s17, exec_lo
	v_cmpx_ne_u32_e32 0x80, v0
	s_cbranch_execz .LBB306_1164
; %bb.1159:                             ;   in Loop: Header=BB306_934 Depth=1
	v_and_b32_e32 v26, 0x7f, v0
	v_mov_b32_e32 v22, 0x7c010000
	s_mov_b32 s18, exec_lo
	v_cmpx_ne_u32_e32 0x7f, v26
	s_cbranch_execz .LBB306_1163
; %bb.1160:                             ;   in Loop: Header=BB306_934 Depth=1
	v_and_b32_e32 v16, 7, v0
	v_lshrrev_b32_e32 v22, 3, v26
	s_mov_b32 s20, exec_lo
	v_cmpx_gt_u32_e32 8, v26
; %bb.1161:                             ;   in Loop: Header=BB306_934 Depth=1
	v_ffbh_u32_e32 v16, v16
	v_min_u32_e32 v16, 32, v16
	v_subrev_nc_u32_e32 v22, 28, v16
	v_lshlrev_b64 v[26:27], v22, v[0:1]
	v_sub_nc_u32_e32 v22, 29, v16
	v_and_b32_e32 v16, 7, v26
; %bb.1162:                             ;   in Loop: Header=BB306_934 Depth=1
	s_or_b32 exec_lo, exec_lo, s20
	v_lshlrev_b32_e32 v0, 8, v0
	v_lshl_add_u32 v22, v22, 10, 0x2000
	v_lshlrev_b32_e32 v16, 23, v16
	v_and_or_b32 v0, 0x8000, v0, v22
	v_lshl_or_b32 v22, v0, 16, v16
.LBB306_1163:                           ;   in Loop: Header=BB306_934 Depth=1
	s_or_b32 exec_lo, exec_lo, s18
.LBB306_1164:                           ;   in Loop: Header=BB306_934 Depth=1
	s_or_b32 exec_lo, exec_lo, s17
.LBB306_1165:                           ;   in Loop: Header=BB306_934 Depth=1
	s_or_b32 exec_lo, exec_lo, s16
	v_mov_b32_e32 v0, v12
	v_cmp_ne_u16_sdwa s4, v12, v1 src0_sel:BYTE_0 src1_sel:DWORD
	v_mov_b32_e32 v16, 0
	v_mov_b32_e32 v26, 0
	s_and_saveexec_b32 s16, s4
	s_cbranch_execz .LBB306_1173
; %bb.1166:                             ;   in Loop: Header=BB306_934 Depth=1
	v_cmp_ne_u16_sdwa s4, v12, v17 src0_sel:BYTE_0 src1_sel:DWORD
	v_mov_b32_e32 v26, 0x8000
	s_and_saveexec_b32 s17, s4
	s_cbranch_execz .LBB306_1172
; %bb.1167:                             ;   in Loop: Header=BB306_934 Depth=1
	v_and_b32_e32 v37, 0x7f, v12
	v_mov_b32_e32 v26, 0x7c01
	s_mov_b32 s18, exec_lo
	v_cmpx_ne_u32_e32 0x7f, v37
	s_cbranch_execz .LBB306_1171
; %bb.1168:                             ;   in Loop: Header=BB306_934 Depth=1
	v_and_b32_e32 v26, 7, v12
	v_lshrrev_b32_e32 v27, 3, v37
	s_mov_b32 s20, exec_lo
	v_cmpx_gt_u32_e32 8, v37
; %bb.1169:                             ;   in Loop: Header=BB306_934 Depth=1
	v_ffbh_u32_e32 v26, v26
	v_min_u32_e32 v37, 32, v26
	v_subrev_nc_u32_e32 v26, 28, v37
	v_lshlrev_b64 v[26:27], v26, v[0:1]
	v_sub_nc_u32_e32 v27, 29, v37
	v_and_b32_e32 v26, 7, v26
; %bb.1170:                             ;   in Loop: Header=BB306_934 Depth=1
	s_or_b32 exec_lo, exec_lo, s20
	v_lshlrev_b32_e32 v37, 8, v12
	v_lshl_add_u32 v27, v27, 10, 0x2000
	v_lshlrev_b32_e32 v26, 7, v26
	v_and_b32_e32 v37, 0x8000, v37
	v_and_b32_e32 v27, 0xfc00, v27
	v_or3_b32 v26, v37, v27, v26
.LBB306_1171:                           ;   in Loop: Header=BB306_934 Depth=1
	s_or_b32 exec_lo, exec_lo, s18
.LBB306_1172:                           ;   in Loop: Header=BB306_934 Depth=1
	s_or_b32 exec_lo, exec_lo, s17
.LBB306_1173:                           ;   in Loop: Header=BB306_934 Depth=1
	s_or_b32 exec_lo, exec_lo, s16
	v_lshrrev_b16 v0, 8, v0
	v_mov_b32_e32 v27, 0
	s_mov_b32 s16, exec_lo
	v_cmpx_ne_u16_e32 0, v0
	s_cbranch_execz .LBB306_1181
; %bb.1174:                             ;   in Loop: Header=BB306_934 Depth=1
	v_bfrev_b32_e32 v27, 1
	s_mov_b32 s17, exec_lo
	v_cmpx_ne_u16_e32 0x80, v0
	s_cbranch_execz .LBB306_1180
; %bb.1175:                             ;   in Loop: Header=BB306_934 Depth=1
	v_and_b32_sdwa v38, v0, v53 dst_sel:DWORD dst_unused:UNUSED_PAD src0_sel:WORD_0 src1_sel:DWORD
	v_mov_b32_e32 v27, 0x7c010000
	s_mov_b32 s18, exec_lo
	v_cmpx_ne_u32_e32 0x7f, v38
	s_cbranch_execz .LBB306_1179
; %bb.1176:                             ;   in Loop: Header=BB306_934 Depth=1
	v_and_b32_sdwa v27, v0, v54 dst_sel:DWORD dst_unused:UNUSED_PAD src0_sel:WORD_0 src1_sel:DWORD
	v_lshrrev_b32_e32 v37, 3, v38
	s_mov_b32 s20, exec_lo
	v_cmpx_gt_u32_e32 8, v38
; %bb.1177:                             ;   in Loop: Header=BB306_934 Depth=1
	v_ffbh_u32_e32 v27, v27
	v_min_u32_e32 v27, 32, v27
	v_subrev_nc_u32_e32 v37, 28, v27
	v_lshlrev_b64 v[48:49], v37, v[0:1]
	v_sub_nc_u32_e32 v37, 29, v27
	v_and_b32_e32 v27, 7, v48
; %bb.1178:                             ;   in Loop: Header=BB306_934 Depth=1
	s_or_b32 exec_lo, exec_lo, s20
	v_lshlrev_b32_sdwa v0, v69, v0 dst_sel:DWORD dst_unused:UNUSED_PAD src0_sel:DWORD src1_sel:WORD_0
	v_lshl_add_u32 v37, v37, 10, 0x2000
	v_lshlrev_b32_e32 v27, 23, v27
	v_and_or_b32 v0, 0x8000, v0, v37
	v_lshl_or_b32 v27, v0, 16, v27
.LBB306_1179:                           ;   in Loop: Header=BB306_934 Depth=1
	s_or_b32 exec_lo, exec_lo, s18
.LBB306_1180:                           ;   in Loop: Header=BB306_934 Depth=1
	s_or_b32 exec_lo, exec_lo, s17
.LBB306_1181:                           ;   in Loop: Header=BB306_934 Depth=1
	s_or_b32 exec_lo, exec_lo, s16
	v_lshrrev_b32_e32 v0, 16, v12
	v_cmp_ne_u16_sdwa s4, v0, v1 src0_sel:BYTE_0 src1_sel:DWORD
	s_and_saveexec_b32 s16, s4
	s_cbranch_execz .LBB306_1189
; %bb.1182:                             ;   in Loop: Header=BB306_934 Depth=1
	v_cmp_ne_u16_sdwa s4, v0, v17 src0_sel:BYTE_0 src1_sel:DWORD
	v_mov_b32_e32 v16, 0x8000
	s_and_saveexec_b32 s17, s4
	s_cbranch_execz .LBB306_1188
; %bb.1183:                             ;   in Loop: Header=BB306_934 Depth=1
	v_bfe_u32 v38, v12, 16, 7
	v_mov_b32_e32 v16, 0x7c01
	s_mov_b32 s18, exec_lo
	v_cmpx_ne_u32_e32 0x7f, v38
	s_cbranch_execz .LBB306_1187
; %bb.1184:                             ;   in Loop: Header=BB306_934 Depth=1
	v_and_b32_e32 v16, 7, v0
	v_lshrrev_b32_e32 v37, 3, v38
	s_mov_b32 s20, exec_lo
	v_cmpx_gt_u32_e32 8, v38
; %bb.1185:                             ;   in Loop: Header=BB306_934 Depth=1
	v_ffbh_u32_e32 v16, v16
	v_min_u32_e32 v16, 32, v16
	v_subrev_nc_u32_e32 v37, 28, v16
	v_lshlrev_b64 v[48:49], v37, v[0:1]
	v_sub_nc_u32_e32 v37, 29, v16
	v_and_b32_e32 v16, 7, v48
; %bb.1186:                             ;   in Loop: Header=BB306_934 Depth=1
	s_or_b32 exec_lo, exec_lo, s20
	v_lshlrev_b32_e32 v0, 8, v0
	v_lshl_add_u32 v37, v37, 10, 0x2000
	v_lshlrev_b32_e32 v16, 7, v16
	v_and_b32_e32 v0, 0x8000, v0
	v_and_b32_e32 v37, 0xfc00, v37
	v_or3_b32 v16, v0, v37, v16
.LBB306_1187:                           ;   in Loop: Header=BB306_934 Depth=1
	s_or_b32 exec_lo, exec_lo, s18
.LBB306_1188:                           ;   in Loop: Header=BB306_934 Depth=1
	s_or_b32 exec_lo, exec_lo, s17
.LBB306_1189:                           ;   in Loop: Header=BB306_934 Depth=1
	s_or_b32 exec_lo, exec_lo, s16
	v_cmp_lt_u64_e64 s4, s[12:13], v[11:12]
	v_mov_b32_e32 v11, 0
	s_and_saveexec_b32 s16, s4
	s_cbranch_execz .LBB306_1197
; %bb.1190:                             ;   in Loop: Header=BB306_934 Depth=1
	v_lshrrev_b32_e32 v0, 24, v12
	v_bfrev_b32_e32 v11, 1
	s_mov_b32 s17, exec_lo
	v_cmpx_ne_u32_e32 0x80, v0
	s_cbranch_execz .LBB306_1196
; %bb.1191:                             ;   in Loop: Header=BB306_934 Depth=1
	v_and_b32_e32 v37, 0x7f, v0
	v_mov_b32_e32 v11, 0x7c010000
	s_mov_b32 s18, exec_lo
	v_cmpx_ne_u32_e32 0x7f, v37
	s_cbranch_execz .LBB306_1195
; %bb.1192:                             ;   in Loop: Header=BB306_934 Depth=1
	v_and_b32_e32 v11, 7, v0
	v_lshrrev_b32_e32 v12, 3, v37
	s_mov_b32 s20, exec_lo
	v_cmpx_gt_u32_e32 8, v37
; %bb.1193:                             ;   in Loop: Header=BB306_934 Depth=1
	v_ffbh_u32_e32 v11, v11
	v_min_u32_e32 v37, 32, v11
	v_subrev_nc_u32_e32 v11, 28, v37
	v_lshlrev_b64 v[11:12], v11, v[0:1]
	v_sub_nc_u32_e32 v12, 29, v37
	v_and_b32_e32 v11, 7, v11
; %bb.1194:                             ;   in Loop: Header=BB306_934 Depth=1
	s_or_b32 exec_lo, exec_lo, s20
	v_lshlrev_b32_e32 v0, 8, v0
	v_lshl_add_u32 v12, v12, 10, 0x2000
	v_lshlrev_b32_e32 v11, 23, v11
	v_and_or_b32 v0, 0x8000, v0, v12
	v_lshl_or_b32 v11, v0, 16, v11
.LBB306_1195:                           ;   in Loop: Header=BB306_934 Depth=1
	s_or_b32 exec_lo, exec_lo, s18
.LBB306_1196:                           ;   in Loop: Header=BB306_934 Depth=1
	s_or_b32 exec_lo, exec_lo, s17
.LBB306_1197:                           ;   in Loop: Header=BB306_934 Depth=1
	s_or_b32 exec_lo, exec_lo, s16
	v_or_b32_e32 v0, v22, v35
	s_waitcnt vmcnt(0) lgkmcnt(0)
	v_fma_mixlo_f16 v12, v4, v22, 0 op_sel:[0,1,0] op_sel_hi:[0,1,0]
	v_or_b32_e32 v6, v5, v6
	v_fma_mixlo_f16 v5, v4, v5, 0 op_sel:[0,1,0] op_sel_hi:[0,1,0]
	v_or_b32_e32 v22, v27, v26
	v_fma_mixlo_f16 v26, v4, v0, 0 op_sel_hi:[0,1,0]
	v_or_b32_e32 v16, v11, v16
	v_lshlrev_b32_e32 v0, 16, v12
	v_lshlrev_b32_e32 v12, 16, v5
	v_fma_mixlo_f16 v6, v4, v6, 0 op_sel_hi:[0,1,0]
	v_and_b32_e32 v5, 0xffff, v26
	v_fma_mixlo_f16 v26, v4, v27, 0 op_sel:[0,1,0] op_sel_hi:[0,1,0]
	v_fma_mixlo_f16 v22, v4, v22, 0 op_sel_hi:[0,1,0]
	v_fma_mixlo_f16 v11, v4, v11, 0 op_sel:[0,1,0] op_sel_hi:[0,1,0]
	v_fma_mixlo_f16 v16, v4, v16, 0 op_sel_hi:[0,1,0]
	v_and_b32_e32 v37, 0xffff, v6
	v_lshlrev_b32_e32 v6, 16, v26
	v_and_b32_e32 v22, 0xffff, v22
	v_lshlrev_b32_e32 v4, 16, v11
	v_and_b32_e32 v11, 0xffff, v16
	v_or_b32_e32 v16, v0, v5
	v_or_b32_e32 v35, v12, v37
	;; [unrolled: 1-line block ×4, first 2 shown]
	s_and_saveexec_b32 s16, vcc_lo
	s_cbranch_execz .LBB306_1199
; %bb.1198:                             ;   in Loop: Header=BB306_934 Depth=1
	v_cmp_lt_i32_e64 s4, v18, v36
	v_cndmask_b32_e64 v16, 0, v37, s4
	v_cmp_lt_i32_e64 s4, v98, v36
	v_cndmask_b32_e64 v12, 0, v12, s4
	v_cmp_lt_i32_e64 s4, v97, v36
	v_or_b32_e32 v35, v16, v12
	v_cndmask_b32_e64 v5, 0, v5, s4
	v_cmp_lt_i32_e64 s4, v96, v36
	v_cndmask_b32_e64 v0, 0, v0, s4
	v_cmp_lt_i32_e64 s4, v87, v36
	v_or_b32_e32 v16, v5, v0
	;; [unrolled: 5-line block ×3, first 2 shown]
	v_cndmask_b32_e64 v11, 0, v11, s4
	v_cmp_lt_i32_e64 s4, v84, v36
	v_cndmask_b32_e64 v4, 0, v4, s4
	v_or_b32_e32 v26, v11, v4
.LBB306_1199:                           ;   in Loop: Header=BB306_934 Depth=1
	s_or_b32 exec_lo, exec_lo, s16
	;;#ASMSTART
	v_pk_mul_f16 v0, v83, v35;

	;;#ASMEND
	;;#ASMSTART
	v_pk_mul_f16 v4, v82, v16;

	;;#ASMEND
	;; [unrolled: 4-line block ×4, first 2 shown]
	;;#ASMSTART
	v_pk_add_f16 v0, v0, v4;

	;;#ASMEND
	;;#ASMSTART
	v_pk_add_f16 v0, v0, v5;

	;;#ASMEND
	;; [unrolled: 4-line block ×3, first 2 shown]
	v_and_b32_e32 v4, 0xffff, v0
	v_lshrrev_b32_e32 v0, 16, v0
	;;#ASMSTART
	v_cvt_f32_f16 v103, v4;
	;;#ASMEND
	;;#ASMSTART
	v_cvt_f32_f16 v112, v0;
	;;#ASMEND
	flat_load_dwordx2 v[11:12], v[9:10] offset:1024
	s_clause 0x1
	buffer_load_dword v4, off, s[0:3], s32 offset:200
	buffer_load_dword v5, off, s[0:3], s32 offset:204
	v_mov_b32_e32 v6, 0
	s_waitcnt vmcnt(2) lgkmcnt(0)
	v_cmp_ne_u16_sdwa s4, v11, v1 src0_sel:BYTE_0 src1_sel:DWORD
	s_waitcnt vmcnt(0)
	flat_load_dword v4, v[4:5]
	v_mov_b32_e32 v5, 0
	s_and_saveexec_b32 s16, s4
	s_cbranch_execz .LBB306_1207
; %bb.1200:                             ;   in Loop: Header=BB306_934 Depth=1
	v_cmp_ne_u16_sdwa s4, v11, v17 src0_sel:BYTE_0 src1_sel:DWORD
	v_mov_b32_e32 v6, 0x8000
	s_and_saveexec_b32 s17, s4
	s_cbranch_execz .LBB306_1206
; %bb.1201:                             ;   in Loop: Header=BB306_934 Depth=1
	v_and_b32_e32 v16, 0x7f, v11
	v_mov_b32_e32 v6, 0x7c01
	s_mov_b32 s18, exec_lo
	v_cmpx_ne_u32_e32 0x7f, v16
	s_cbranch_execz .LBB306_1205
; %bb.1202:                             ;   in Loop: Header=BB306_934 Depth=1
	v_and_b32_e32 v0, 7, v11
	v_lshrrev_b32_e32 v6, 3, v16
	s_mov_b32 s20, exec_lo
	v_cmpx_gt_u32_e32 8, v16
; %bb.1203:                             ;   in Loop: Header=BB306_934 Depth=1
	v_ffbh_u32_e32 v0, v0
	v_min_u32_e32 v0, 32, v0
	v_subrev_nc_u32_e32 v6, 28, v0
	v_lshlrev_b64 v[26:27], v6, v[11:12]
	v_sub_nc_u32_e32 v6, 29, v0
	v_and_b32_e32 v0, 7, v26
; %bb.1204:                             ;   in Loop: Header=BB306_934 Depth=1
	s_or_b32 exec_lo, exec_lo, s20
	v_lshlrev_b32_e32 v16, 8, v11
	v_lshl_add_u32 v6, v6, 10, 0x2000
	v_lshlrev_b32_e32 v0, 7, v0
	v_and_b32_e32 v16, 0x8000, v16
	v_and_b32_e32 v6, 0xfc00, v6
	v_or3_b32 v6, v16, v6, v0
.LBB306_1205:                           ;   in Loop: Header=BB306_934 Depth=1
	s_or_b32 exec_lo, exec_lo, s18
.LBB306_1206:                           ;   in Loop: Header=BB306_934 Depth=1
	s_or_b32 exec_lo, exec_lo, s17
.LBB306_1207:                           ;   in Loop: Header=BB306_934 Depth=1
	s_or_b32 exec_lo, exec_lo, s16
	v_lshrrev_b16 v0, 8, v11
	s_mov_b32 s16, exec_lo
	v_cmpx_ne_u16_e32 0, v0
	s_cbranch_execz .LBB306_1215
; %bb.1208:                             ;   in Loop: Header=BB306_934 Depth=1
	v_bfrev_b32_e32 v5, 1
	s_mov_b32 s17, exec_lo
	v_cmpx_ne_u16_e32 0x80, v0
	s_cbranch_execz .LBB306_1214
; %bb.1209:                             ;   in Loop: Header=BB306_934 Depth=1
	v_and_b32_sdwa v22, v0, v53 dst_sel:DWORD dst_unused:UNUSED_PAD src0_sel:WORD_0 src1_sel:DWORD
	v_mov_b32_e32 v5, 0x7c010000
	s_mov_b32 s18, exec_lo
	v_cmpx_ne_u32_e32 0x7f, v22
	s_cbranch_execz .LBB306_1213
; %bb.1210:                             ;   in Loop: Header=BB306_934 Depth=1
	v_and_b32_sdwa v5, v0, v54 dst_sel:DWORD dst_unused:UNUSED_PAD src0_sel:WORD_0 src1_sel:DWORD
	v_lshrrev_b32_e32 v16, 3, v22
	s_mov_b32 s20, exec_lo
	v_cmpx_gt_u32_e32 8, v22
; %bb.1211:                             ;   in Loop: Header=BB306_934 Depth=1
	v_ffbh_u32_e32 v5, v5
	v_min_u32_e32 v5, 32, v5
	v_subrev_nc_u32_e32 v16, 28, v5
	v_lshlrev_b64 v[26:27], v16, v[0:1]
	v_sub_nc_u32_e32 v16, 29, v5
	v_and_b32_e32 v5, 7, v26
; %bb.1212:                             ;   in Loop: Header=BB306_934 Depth=1
	s_or_b32 exec_lo, exec_lo, s20
	v_lshlrev_b32_sdwa v0, v69, v0 dst_sel:DWORD dst_unused:UNUSED_PAD src0_sel:DWORD src1_sel:WORD_0
	v_lshl_add_u32 v16, v16, 10, 0x2000
	v_lshlrev_b32_e32 v5, 23, v5
	v_and_or_b32 v0, 0x8000, v0, v16
	v_lshl_or_b32 v5, v0, 16, v5
.LBB306_1213:                           ;   in Loop: Header=BB306_934 Depth=1
	s_or_b32 exec_lo, exec_lo, s18
.LBB306_1214:                           ;   in Loop: Header=BB306_934 Depth=1
	s_or_b32 exec_lo, exec_lo, s17
.LBB306_1215:                           ;   in Loop: Header=BB306_934 Depth=1
	s_or_b32 exec_lo, exec_lo, s16
	v_lshrrev_b32_e32 v0, 16, v11
	v_mov_b32_e32 v22, 0
	v_mov_b32_e32 v35, 0
	v_cmp_ne_u16_sdwa s4, v0, v1 src0_sel:BYTE_0 src1_sel:DWORD
	s_and_saveexec_b32 s16, s4
	s_cbranch_execz .LBB306_1223
; %bb.1216:                             ;   in Loop: Header=BB306_934 Depth=1
	v_cmp_ne_u16_sdwa s4, v0, v17 src0_sel:BYTE_0 src1_sel:DWORD
	v_mov_b32_e32 v35, 0x8000
	s_and_saveexec_b32 s17, s4
	s_cbranch_execz .LBB306_1222
; %bb.1217:                             ;   in Loop: Header=BB306_934 Depth=1
	v_bfe_u32 v27, v11, 16, 7
	v_mov_b32_e32 v35, 0x7c01
	s_mov_b32 s18, exec_lo
	v_cmpx_ne_u32_e32 0x7f, v27
	s_cbranch_execz .LBB306_1221
; %bb.1218:                             ;   in Loop: Header=BB306_934 Depth=1
	v_and_b32_e32 v16, 7, v0
	v_lshrrev_b32_e32 v26, 3, v27
	s_mov_b32 s20, exec_lo
	v_cmpx_gt_u32_e32 8, v27
; %bb.1219:                             ;   in Loop: Header=BB306_934 Depth=1
	v_ffbh_u32_e32 v16, v16
	v_min_u32_e32 v16, 32, v16
	v_subrev_nc_u32_e32 v26, 28, v16
	v_lshlrev_b64 v[37:38], v26, v[0:1]
	v_sub_nc_u32_e32 v26, 29, v16
	v_and_b32_e32 v16, 7, v37
; %bb.1220:                             ;   in Loop: Header=BB306_934 Depth=1
	s_or_b32 exec_lo, exec_lo, s20
	v_lshlrev_b32_e32 v0, 8, v0
	v_lshl_add_u32 v26, v26, 10, 0x2000
	v_lshlrev_b32_e32 v16, 7, v16
	v_and_b32_e32 v0, 0x8000, v0
	v_and_b32_e32 v26, 0xfc00, v26
	v_or3_b32 v35, v0, v26, v16
.LBB306_1221:                           ;   in Loop: Header=BB306_934 Depth=1
	s_or_b32 exec_lo, exec_lo, s18
.LBB306_1222:                           ;   in Loop: Header=BB306_934 Depth=1
	s_or_b32 exec_lo, exec_lo, s17
.LBB306_1223:                           ;   in Loop: Header=BB306_934 Depth=1
	s_or_b32 exec_lo, exec_lo, s16
	s_mov_b32 s16, exec_lo
	v_cmpx_lt_u32_e32 0xffffff, v11
	s_cbranch_execz .LBB306_1231
; %bb.1224:                             ;   in Loop: Header=BB306_934 Depth=1
	v_lshrrev_b32_e32 v0, 24, v11
	v_bfrev_b32_e32 v22, 1
	s_mov_b32 s17, exec_lo
	v_cmpx_ne_u32_e32 0x80, v0
	s_cbranch_execz .LBB306_1230
; %bb.1225:                             ;   in Loop: Header=BB306_934 Depth=1
	v_and_b32_e32 v26, 0x7f, v0
	v_mov_b32_e32 v22, 0x7c010000
	s_mov_b32 s18, exec_lo
	v_cmpx_ne_u32_e32 0x7f, v26
	s_cbranch_execz .LBB306_1229
; %bb.1226:                             ;   in Loop: Header=BB306_934 Depth=1
	v_and_b32_e32 v16, 7, v0
	v_lshrrev_b32_e32 v22, 3, v26
	s_mov_b32 s20, exec_lo
	v_cmpx_gt_u32_e32 8, v26
; %bb.1227:                             ;   in Loop: Header=BB306_934 Depth=1
	v_ffbh_u32_e32 v16, v16
	v_min_u32_e32 v16, 32, v16
	v_subrev_nc_u32_e32 v22, 28, v16
	v_lshlrev_b64 v[26:27], v22, v[0:1]
	v_sub_nc_u32_e32 v22, 29, v16
	v_and_b32_e32 v16, 7, v26
; %bb.1228:                             ;   in Loop: Header=BB306_934 Depth=1
	s_or_b32 exec_lo, exec_lo, s20
	v_lshlrev_b32_e32 v0, 8, v0
	v_lshl_add_u32 v22, v22, 10, 0x2000
	v_lshlrev_b32_e32 v16, 23, v16
	v_and_or_b32 v0, 0x8000, v0, v22
	v_lshl_or_b32 v22, v0, 16, v16
.LBB306_1229:                           ;   in Loop: Header=BB306_934 Depth=1
	s_or_b32 exec_lo, exec_lo, s18
.LBB306_1230:                           ;   in Loop: Header=BB306_934 Depth=1
	s_or_b32 exec_lo, exec_lo, s17
.LBB306_1231:                           ;   in Loop: Header=BB306_934 Depth=1
	s_or_b32 exec_lo, exec_lo, s16
	v_mov_b32_e32 v0, v12
	v_cmp_ne_u16_sdwa s4, v12, v1 src0_sel:BYTE_0 src1_sel:DWORD
	v_mov_b32_e32 v16, 0
	v_mov_b32_e32 v26, 0
	s_and_saveexec_b32 s16, s4
	s_cbranch_execz .LBB306_1239
; %bb.1232:                             ;   in Loop: Header=BB306_934 Depth=1
	v_cmp_ne_u16_sdwa s4, v12, v17 src0_sel:BYTE_0 src1_sel:DWORD
	v_mov_b32_e32 v26, 0x8000
	s_and_saveexec_b32 s17, s4
	s_cbranch_execz .LBB306_1238
; %bb.1233:                             ;   in Loop: Header=BB306_934 Depth=1
	v_and_b32_e32 v37, 0x7f, v12
	v_mov_b32_e32 v26, 0x7c01
	s_mov_b32 s18, exec_lo
	v_cmpx_ne_u32_e32 0x7f, v37
	s_cbranch_execz .LBB306_1237
; %bb.1234:                             ;   in Loop: Header=BB306_934 Depth=1
	v_and_b32_e32 v26, 7, v12
	v_lshrrev_b32_e32 v27, 3, v37
	s_mov_b32 s20, exec_lo
	v_cmpx_gt_u32_e32 8, v37
; %bb.1235:                             ;   in Loop: Header=BB306_934 Depth=1
	v_ffbh_u32_e32 v26, v26
	v_min_u32_e32 v37, 32, v26
	v_subrev_nc_u32_e32 v26, 28, v37
	v_lshlrev_b64 v[26:27], v26, v[0:1]
	v_sub_nc_u32_e32 v27, 29, v37
	v_and_b32_e32 v26, 7, v26
; %bb.1236:                             ;   in Loop: Header=BB306_934 Depth=1
	s_or_b32 exec_lo, exec_lo, s20
	v_lshlrev_b32_e32 v37, 8, v12
	v_lshl_add_u32 v27, v27, 10, 0x2000
	v_lshlrev_b32_e32 v26, 7, v26
	v_and_b32_e32 v37, 0x8000, v37
	v_and_b32_e32 v27, 0xfc00, v27
	v_or3_b32 v26, v37, v27, v26
.LBB306_1237:                           ;   in Loop: Header=BB306_934 Depth=1
	s_or_b32 exec_lo, exec_lo, s18
.LBB306_1238:                           ;   in Loop: Header=BB306_934 Depth=1
	s_or_b32 exec_lo, exec_lo, s17
.LBB306_1239:                           ;   in Loop: Header=BB306_934 Depth=1
	s_or_b32 exec_lo, exec_lo, s16
	v_lshrrev_b16 v0, 8, v0
	v_mov_b32_e32 v27, 0
	s_mov_b32 s16, exec_lo
	v_cmpx_ne_u16_e32 0, v0
	s_cbranch_execz .LBB306_1247
; %bb.1240:                             ;   in Loop: Header=BB306_934 Depth=1
	v_bfrev_b32_e32 v27, 1
	s_mov_b32 s17, exec_lo
	v_cmpx_ne_u16_e32 0x80, v0
	s_cbranch_execz .LBB306_1246
; %bb.1241:                             ;   in Loop: Header=BB306_934 Depth=1
	v_and_b32_sdwa v38, v0, v53 dst_sel:DWORD dst_unused:UNUSED_PAD src0_sel:WORD_0 src1_sel:DWORD
	v_mov_b32_e32 v27, 0x7c010000
	s_mov_b32 s18, exec_lo
	v_cmpx_ne_u32_e32 0x7f, v38
	s_cbranch_execz .LBB306_1245
; %bb.1242:                             ;   in Loop: Header=BB306_934 Depth=1
	v_and_b32_sdwa v27, v0, v54 dst_sel:DWORD dst_unused:UNUSED_PAD src0_sel:WORD_0 src1_sel:DWORD
	v_lshrrev_b32_e32 v37, 3, v38
	s_mov_b32 s20, exec_lo
	v_cmpx_gt_u32_e32 8, v38
; %bb.1243:                             ;   in Loop: Header=BB306_934 Depth=1
	v_ffbh_u32_e32 v27, v27
	v_min_u32_e32 v27, 32, v27
	v_subrev_nc_u32_e32 v37, 28, v27
	v_lshlrev_b64 v[48:49], v37, v[0:1]
	v_sub_nc_u32_e32 v37, 29, v27
	v_and_b32_e32 v27, 7, v48
; %bb.1244:                             ;   in Loop: Header=BB306_934 Depth=1
	s_or_b32 exec_lo, exec_lo, s20
	v_lshlrev_b32_sdwa v0, v69, v0 dst_sel:DWORD dst_unused:UNUSED_PAD src0_sel:DWORD src1_sel:WORD_0
	v_lshl_add_u32 v37, v37, 10, 0x2000
	v_lshlrev_b32_e32 v27, 23, v27
	v_and_or_b32 v0, 0x8000, v0, v37
	v_lshl_or_b32 v27, v0, 16, v27
.LBB306_1245:                           ;   in Loop: Header=BB306_934 Depth=1
	s_or_b32 exec_lo, exec_lo, s18
.LBB306_1246:                           ;   in Loop: Header=BB306_934 Depth=1
	s_or_b32 exec_lo, exec_lo, s17
.LBB306_1247:                           ;   in Loop: Header=BB306_934 Depth=1
	s_or_b32 exec_lo, exec_lo, s16
	v_lshrrev_b32_e32 v0, 16, v12
	v_cmp_ne_u16_sdwa s4, v0, v1 src0_sel:BYTE_0 src1_sel:DWORD
	s_and_saveexec_b32 s16, s4
	s_cbranch_execz .LBB306_1255
; %bb.1248:                             ;   in Loop: Header=BB306_934 Depth=1
	v_cmp_ne_u16_sdwa s4, v0, v17 src0_sel:BYTE_0 src1_sel:DWORD
	v_mov_b32_e32 v16, 0x8000
	s_and_saveexec_b32 s17, s4
	s_cbranch_execz .LBB306_1254
; %bb.1249:                             ;   in Loop: Header=BB306_934 Depth=1
	v_bfe_u32 v38, v12, 16, 7
	v_mov_b32_e32 v16, 0x7c01
	s_mov_b32 s18, exec_lo
	v_cmpx_ne_u32_e32 0x7f, v38
	s_cbranch_execz .LBB306_1253
; %bb.1250:                             ;   in Loop: Header=BB306_934 Depth=1
	v_and_b32_e32 v16, 7, v0
	v_lshrrev_b32_e32 v37, 3, v38
	s_mov_b32 s20, exec_lo
	v_cmpx_gt_u32_e32 8, v38
; %bb.1251:                             ;   in Loop: Header=BB306_934 Depth=1
	v_ffbh_u32_e32 v16, v16
	v_min_u32_e32 v16, 32, v16
	v_subrev_nc_u32_e32 v37, 28, v16
	v_lshlrev_b64 v[48:49], v37, v[0:1]
	v_sub_nc_u32_e32 v37, 29, v16
	v_and_b32_e32 v16, 7, v48
; %bb.1252:                             ;   in Loop: Header=BB306_934 Depth=1
	s_or_b32 exec_lo, exec_lo, s20
	v_lshlrev_b32_e32 v0, 8, v0
	v_lshl_add_u32 v37, v37, 10, 0x2000
	v_lshlrev_b32_e32 v16, 7, v16
	v_and_b32_e32 v0, 0x8000, v0
	v_and_b32_e32 v37, 0xfc00, v37
	v_or3_b32 v16, v0, v37, v16
.LBB306_1253:                           ;   in Loop: Header=BB306_934 Depth=1
	s_or_b32 exec_lo, exec_lo, s18
.LBB306_1254:                           ;   in Loop: Header=BB306_934 Depth=1
	s_or_b32 exec_lo, exec_lo, s17
.LBB306_1255:                           ;   in Loop: Header=BB306_934 Depth=1
	s_or_b32 exec_lo, exec_lo, s16
	v_cmp_lt_u64_e64 s4, s[12:13], v[11:12]
	v_mov_b32_e32 v11, 0
	s_and_saveexec_b32 s16, s4
	s_cbranch_execz .LBB306_1263
; %bb.1256:                             ;   in Loop: Header=BB306_934 Depth=1
	v_lshrrev_b32_e32 v0, 24, v12
	v_bfrev_b32_e32 v11, 1
	s_mov_b32 s17, exec_lo
	v_cmpx_ne_u32_e32 0x80, v0
	s_cbranch_execz .LBB306_1262
; %bb.1257:                             ;   in Loop: Header=BB306_934 Depth=1
	v_and_b32_e32 v37, 0x7f, v0
	v_mov_b32_e32 v11, 0x7c010000
	s_mov_b32 s18, exec_lo
	v_cmpx_ne_u32_e32 0x7f, v37
	s_cbranch_execz .LBB306_1261
; %bb.1258:                             ;   in Loop: Header=BB306_934 Depth=1
	v_and_b32_e32 v11, 7, v0
	v_lshrrev_b32_e32 v12, 3, v37
	s_mov_b32 s20, exec_lo
	v_cmpx_gt_u32_e32 8, v37
; %bb.1259:                             ;   in Loop: Header=BB306_934 Depth=1
	v_ffbh_u32_e32 v11, v11
	v_min_u32_e32 v37, 32, v11
	v_subrev_nc_u32_e32 v11, 28, v37
	v_lshlrev_b64 v[11:12], v11, v[0:1]
	v_sub_nc_u32_e32 v12, 29, v37
	v_and_b32_e32 v11, 7, v11
; %bb.1260:                             ;   in Loop: Header=BB306_934 Depth=1
	s_or_b32 exec_lo, exec_lo, s20
	v_lshlrev_b32_e32 v0, 8, v0
	v_lshl_add_u32 v12, v12, 10, 0x2000
	v_lshlrev_b32_e32 v11, 23, v11
	v_and_or_b32 v0, 0x8000, v0, v12
	v_lshl_or_b32 v11, v0, 16, v11
.LBB306_1261:                           ;   in Loop: Header=BB306_934 Depth=1
	s_or_b32 exec_lo, exec_lo, s18
.LBB306_1262:                           ;   in Loop: Header=BB306_934 Depth=1
	s_or_b32 exec_lo, exec_lo, s17
.LBB306_1263:                           ;   in Loop: Header=BB306_934 Depth=1
	s_or_b32 exec_lo, exec_lo, s16
	v_or_b32_e32 v0, v22, v35
	s_waitcnt vmcnt(0) lgkmcnt(0)
	v_fma_mixlo_f16 v12, v4, v22, 0 op_sel:[0,1,0] op_sel_hi:[0,1,0]
	v_or_b32_e32 v6, v5, v6
	v_fma_mixlo_f16 v5, v4, v5, 0 op_sel:[0,1,0] op_sel_hi:[0,1,0]
	v_or_b32_e32 v22, v27, v26
	v_fma_mixlo_f16 v26, v4, v0, 0 op_sel_hi:[0,1,0]
	v_or_b32_e32 v16, v11, v16
	v_lshlrev_b32_e32 v0, 16, v12
	v_lshlrev_b32_e32 v12, 16, v5
	v_fma_mixlo_f16 v6, v4, v6, 0 op_sel_hi:[0,1,0]
	v_and_b32_e32 v5, 0xffff, v26
	v_fma_mixlo_f16 v26, v4, v27, 0 op_sel:[0,1,0] op_sel_hi:[0,1,0]
	v_fma_mixlo_f16 v22, v4, v22, 0 op_sel_hi:[0,1,0]
	v_fma_mixlo_f16 v11, v4, v11, 0 op_sel:[0,1,0] op_sel_hi:[0,1,0]
	v_fma_mixlo_f16 v16, v4, v16, 0 op_sel_hi:[0,1,0]
	v_and_b32_e32 v37, 0xffff, v6
	v_lshlrev_b32_e32 v6, 16, v26
	v_and_b32_e32 v22, 0xffff, v22
	v_lshlrev_b32_e32 v4, 16, v11
	v_and_b32_e32 v11, 0xffff, v16
	v_or_b32_e32 v16, v0, v5
	v_or_b32_e32 v35, v12, v37
	v_or_b32_e32 v27, v6, v22
	v_or_b32_e32 v26, v4, v11
	s_and_saveexec_b32 s16, vcc_lo
	s_cbranch_execz .LBB306_1265
; %bb.1264:                             ;   in Loop: Header=BB306_934 Depth=1
	v_cmp_lt_i32_e64 s4, v18, v36
	v_cndmask_b32_e64 v16, 0, v37, s4
	v_cmp_lt_i32_e64 s4, v98, v36
	v_cndmask_b32_e64 v12, 0, v12, s4
	v_cmp_lt_i32_e64 s4, v97, v36
	v_or_b32_e32 v35, v16, v12
	v_cndmask_b32_e64 v5, 0, v5, s4
	v_cmp_lt_i32_e64 s4, v96, v36
	v_cndmask_b32_e64 v0, 0, v0, s4
	v_cmp_lt_i32_e64 s4, v87, v36
	v_or_b32_e32 v16, v5, v0
	;; [unrolled: 5-line block ×3, first 2 shown]
	v_cndmask_b32_e64 v11, 0, v11, s4
	v_cmp_lt_i32_e64 s4, v84, v36
	v_cndmask_b32_e64 v4, 0, v4, s4
	v_or_b32_e32 v26, v11, v4
.LBB306_1265:                           ;   in Loop: Header=BB306_934 Depth=1
	s_or_b32 exec_lo, exec_lo, s16
	;;#ASMSTART
	v_pk_mul_f16 v0, v83, v35;

	;;#ASMEND
	;;#ASMSTART
	v_pk_mul_f16 v4, v82, v16;

	;;#ASMEND
	;; [unrolled: 4-line block ×4, first 2 shown]
	;;#ASMSTART
	v_pk_add_f16 v0, v0, v4;

	;;#ASMEND
	;;#ASMSTART
	v_pk_add_f16 v0, v0, v5;

	;;#ASMEND
	;; [unrolled: 4-line block ×3, first 2 shown]
	v_and_b32_e32 v4, 0xffff, v0
	v_lshrrev_b32_e32 v0, 16, v0
	;;#ASMSTART
	v_cvt_f32_f16 v113, v4;
	;;#ASMEND
	;;#ASMSTART
	v_cvt_f32_f16 v114, v0;
	;;#ASMEND
	flat_load_dwordx2 v[11:12], v[9:10] offset:1280
	s_clause 0x1
	buffer_load_dword v4, off, s[0:3], s32 offset:200
	buffer_load_dword v5, off, s[0:3], s32 offset:204
	v_mov_b32_e32 v6, 0
	s_waitcnt vmcnt(2) lgkmcnt(0)
	v_cmp_ne_u16_sdwa s4, v11, v1 src0_sel:BYTE_0 src1_sel:DWORD
	s_waitcnt vmcnt(0)
	flat_load_dword v4, v[4:5]
	v_mov_b32_e32 v5, 0
	s_and_saveexec_b32 s16, s4
	s_cbranch_execz .LBB306_1273
; %bb.1266:                             ;   in Loop: Header=BB306_934 Depth=1
	v_cmp_ne_u16_sdwa s4, v11, v17 src0_sel:BYTE_0 src1_sel:DWORD
	v_mov_b32_e32 v6, 0x8000
	s_and_saveexec_b32 s17, s4
	s_cbranch_execz .LBB306_1272
; %bb.1267:                             ;   in Loop: Header=BB306_934 Depth=1
	v_and_b32_e32 v16, 0x7f, v11
	v_mov_b32_e32 v6, 0x7c01
	s_mov_b32 s18, exec_lo
	v_cmpx_ne_u32_e32 0x7f, v16
	s_cbranch_execz .LBB306_1271
; %bb.1268:                             ;   in Loop: Header=BB306_934 Depth=1
	v_and_b32_e32 v0, 7, v11
	v_lshrrev_b32_e32 v6, 3, v16
	s_mov_b32 s20, exec_lo
	v_cmpx_gt_u32_e32 8, v16
; %bb.1269:                             ;   in Loop: Header=BB306_934 Depth=1
	v_ffbh_u32_e32 v0, v0
	v_min_u32_e32 v0, 32, v0
	v_subrev_nc_u32_e32 v6, 28, v0
	v_lshlrev_b64 v[26:27], v6, v[11:12]
	v_sub_nc_u32_e32 v6, 29, v0
	v_and_b32_e32 v0, 7, v26
; %bb.1270:                             ;   in Loop: Header=BB306_934 Depth=1
	s_or_b32 exec_lo, exec_lo, s20
	v_lshlrev_b32_e32 v16, 8, v11
	v_lshl_add_u32 v6, v6, 10, 0x2000
	v_lshlrev_b32_e32 v0, 7, v0
	v_and_b32_e32 v16, 0x8000, v16
	v_and_b32_e32 v6, 0xfc00, v6
	v_or3_b32 v6, v16, v6, v0
.LBB306_1271:                           ;   in Loop: Header=BB306_934 Depth=1
	s_or_b32 exec_lo, exec_lo, s18
.LBB306_1272:                           ;   in Loop: Header=BB306_934 Depth=1
	s_or_b32 exec_lo, exec_lo, s17
.LBB306_1273:                           ;   in Loop: Header=BB306_934 Depth=1
	s_or_b32 exec_lo, exec_lo, s16
	v_lshrrev_b16 v0, 8, v11
	s_mov_b32 s16, exec_lo
	v_cmpx_ne_u16_e32 0, v0
	s_cbranch_execz .LBB306_1281
; %bb.1274:                             ;   in Loop: Header=BB306_934 Depth=1
	v_bfrev_b32_e32 v5, 1
	s_mov_b32 s17, exec_lo
	v_cmpx_ne_u16_e32 0x80, v0
	s_cbranch_execz .LBB306_1280
; %bb.1275:                             ;   in Loop: Header=BB306_934 Depth=1
	v_and_b32_sdwa v22, v0, v53 dst_sel:DWORD dst_unused:UNUSED_PAD src0_sel:WORD_0 src1_sel:DWORD
	v_mov_b32_e32 v5, 0x7c010000
	s_mov_b32 s18, exec_lo
	v_cmpx_ne_u32_e32 0x7f, v22
	s_cbranch_execz .LBB306_1279
; %bb.1276:                             ;   in Loop: Header=BB306_934 Depth=1
	v_and_b32_sdwa v5, v0, v54 dst_sel:DWORD dst_unused:UNUSED_PAD src0_sel:WORD_0 src1_sel:DWORD
	v_lshrrev_b32_e32 v16, 3, v22
	s_mov_b32 s20, exec_lo
	v_cmpx_gt_u32_e32 8, v22
; %bb.1277:                             ;   in Loop: Header=BB306_934 Depth=1
	v_ffbh_u32_e32 v5, v5
	v_min_u32_e32 v5, 32, v5
	v_subrev_nc_u32_e32 v16, 28, v5
	v_lshlrev_b64 v[26:27], v16, v[0:1]
	v_sub_nc_u32_e32 v16, 29, v5
	v_and_b32_e32 v5, 7, v26
; %bb.1278:                             ;   in Loop: Header=BB306_934 Depth=1
	s_or_b32 exec_lo, exec_lo, s20
	v_lshlrev_b32_sdwa v0, v69, v0 dst_sel:DWORD dst_unused:UNUSED_PAD src0_sel:DWORD src1_sel:WORD_0
	v_lshl_add_u32 v16, v16, 10, 0x2000
	v_lshlrev_b32_e32 v5, 23, v5
	v_and_or_b32 v0, 0x8000, v0, v16
	v_lshl_or_b32 v5, v0, 16, v5
.LBB306_1279:                           ;   in Loop: Header=BB306_934 Depth=1
	s_or_b32 exec_lo, exec_lo, s18
.LBB306_1280:                           ;   in Loop: Header=BB306_934 Depth=1
	s_or_b32 exec_lo, exec_lo, s17
.LBB306_1281:                           ;   in Loop: Header=BB306_934 Depth=1
	s_or_b32 exec_lo, exec_lo, s16
	v_lshrrev_b32_e32 v0, 16, v11
	v_mov_b32_e32 v22, 0
	v_mov_b32_e32 v35, 0
	v_cmp_ne_u16_sdwa s4, v0, v1 src0_sel:BYTE_0 src1_sel:DWORD
	s_and_saveexec_b32 s16, s4
	s_cbranch_execz .LBB306_1289
; %bb.1282:                             ;   in Loop: Header=BB306_934 Depth=1
	v_cmp_ne_u16_sdwa s4, v0, v17 src0_sel:BYTE_0 src1_sel:DWORD
	v_mov_b32_e32 v35, 0x8000
	s_and_saveexec_b32 s17, s4
	s_cbranch_execz .LBB306_1288
; %bb.1283:                             ;   in Loop: Header=BB306_934 Depth=1
	v_bfe_u32 v27, v11, 16, 7
	v_mov_b32_e32 v35, 0x7c01
	s_mov_b32 s18, exec_lo
	v_cmpx_ne_u32_e32 0x7f, v27
	s_cbranch_execz .LBB306_1287
; %bb.1284:                             ;   in Loop: Header=BB306_934 Depth=1
	v_and_b32_e32 v16, 7, v0
	v_lshrrev_b32_e32 v26, 3, v27
	s_mov_b32 s20, exec_lo
	v_cmpx_gt_u32_e32 8, v27
; %bb.1285:                             ;   in Loop: Header=BB306_934 Depth=1
	v_ffbh_u32_e32 v16, v16
	v_min_u32_e32 v16, 32, v16
	v_subrev_nc_u32_e32 v26, 28, v16
	v_lshlrev_b64 v[37:38], v26, v[0:1]
	v_sub_nc_u32_e32 v26, 29, v16
	v_and_b32_e32 v16, 7, v37
; %bb.1286:                             ;   in Loop: Header=BB306_934 Depth=1
	s_or_b32 exec_lo, exec_lo, s20
	v_lshlrev_b32_e32 v0, 8, v0
	v_lshl_add_u32 v26, v26, 10, 0x2000
	v_lshlrev_b32_e32 v16, 7, v16
	v_and_b32_e32 v0, 0x8000, v0
	v_and_b32_e32 v26, 0xfc00, v26
	v_or3_b32 v35, v0, v26, v16
.LBB306_1287:                           ;   in Loop: Header=BB306_934 Depth=1
	s_or_b32 exec_lo, exec_lo, s18
.LBB306_1288:                           ;   in Loop: Header=BB306_934 Depth=1
	s_or_b32 exec_lo, exec_lo, s17
.LBB306_1289:                           ;   in Loop: Header=BB306_934 Depth=1
	s_or_b32 exec_lo, exec_lo, s16
	s_mov_b32 s16, exec_lo
	v_cmpx_lt_u32_e32 0xffffff, v11
	s_cbranch_execz .LBB306_1297
; %bb.1290:                             ;   in Loop: Header=BB306_934 Depth=1
	v_lshrrev_b32_e32 v0, 24, v11
	v_bfrev_b32_e32 v22, 1
	s_mov_b32 s17, exec_lo
	v_cmpx_ne_u32_e32 0x80, v0
	s_cbranch_execz .LBB306_1296
; %bb.1291:                             ;   in Loop: Header=BB306_934 Depth=1
	v_and_b32_e32 v26, 0x7f, v0
	v_mov_b32_e32 v22, 0x7c010000
	s_mov_b32 s18, exec_lo
	v_cmpx_ne_u32_e32 0x7f, v26
	s_cbranch_execz .LBB306_1295
; %bb.1292:                             ;   in Loop: Header=BB306_934 Depth=1
	v_and_b32_e32 v16, 7, v0
	v_lshrrev_b32_e32 v22, 3, v26
	s_mov_b32 s20, exec_lo
	v_cmpx_gt_u32_e32 8, v26
; %bb.1293:                             ;   in Loop: Header=BB306_934 Depth=1
	v_ffbh_u32_e32 v16, v16
	v_min_u32_e32 v16, 32, v16
	v_subrev_nc_u32_e32 v22, 28, v16
	v_lshlrev_b64 v[26:27], v22, v[0:1]
	v_sub_nc_u32_e32 v22, 29, v16
	v_and_b32_e32 v16, 7, v26
; %bb.1294:                             ;   in Loop: Header=BB306_934 Depth=1
	s_or_b32 exec_lo, exec_lo, s20
	v_lshlrev_b32_e32 v0, 8, v0
	v_lshl_add_u32 v22, v22, 10, 0x2000
	v_lshlrev_b32_e32 v16, 23, v16
	v_and_or_b32 v0, 0x8000, v0, v22
	v_lshl_or_b32 v22, v0, 16, v16
.LBB306_1295:                           ;   in Loop: Header=BB306_934 Depth=1
	s_or_b32 exec_lo, exec_lo, s18
.LBB306_1296:                           ;   in Loop: Header=BB306_934 Depth=1
	s_or_b32 exec_lo, exec_lo, s17
.LBB306_1297:                           ;   in Loop: Header=BB306_934 Depth=1
	s_or_b32 exec_lo, exec_lo, s16
	v_mov_b32_e32 v0, v12
	v_cmp_ne_u16_sdwa s4, v12, v1 src0_sel:BYTE_0 src1_sel:DWORD
	v_mov_b32_e32 v16, 0
	v_mov_b32_e32 v26, 0
	s_and_saveexec_b32 s16, s4
	s_cbranch_execz .LBB306_1305
; %bb.1298:                             ;   in Loop: Header=BB306_934 Depth=1
	v_cmp_ne_u16_sdwa s4, v12, v17 src0_sel:BYTE_0 src1_sel:DWORD
	v_mov_b32_e32 v26, 0x8000
	s_and_saveexec_b32 s17, s4
	s_cbranch_execz .LBB306_1304
; %bb.1299:                             ;   in Loop: Header=BB306_934 Depth=1
	v_and_b32_e32 v37, 0x7f, v12
	v_mov_b32_e32 v26, 0x7c01
	s_mov_b32 s18, exec_lo
	v_cmpx_ne_u32_e32 0x7f, v37
	s_cbranch_execz .LBB306_1303
; %bb.1300:                             ;   in Loop: Header=BB306_934 Depth=1
	v_and_b32_e32 v26, 7, v12
	v_lshrrev_b32_e32 v27, 3, v37
	s_mov_b32 s20, exec_lo
	v_cmpx_gt_u32_e32 8, v37
; %bb.1301:                             ;   in Loop: Header=BB306_934 Depth=1
	v_ffbh_u32_e32 v26, v26
	v_min_u32_e32 v37, 32, v26
	v_subrev_nc_u32_e32 v26, 28, v37
	v_lshlrev_b64 v[26:27], v26, v[0:1]
	v_sub_nc_u32_e32 v27, 29, v37
	v_and_b32_e32 v26, 7, v26
; %bb.1302:                             ;   in Loop: Header=BB306_934 Depth=1
	s_or_b32 exec_lo, exec_lo, s20
	v_lshlrev_b32_e32 v37, 8, v12
	v_lshl_add_u32 v27, v27, 10, 0x2000
	v_lshlrev_b32_e32 v26, 7, v26
	v_and_b32_e32 v37, 0x8000, v37
	v_and_b32_e32 v27, 0xfc00, v27
	v_or3_b32 v26, v37, v27, v26
.LBB306_1303:                           ;   in Loop: Header=BB306_934 Depth=1
	s_or_b32 exec_lo, exec_lo, s18
.LBB306_1304:                           ;   in Loop: Header=BB306_934 Depth=1
	s_or_b32 exec_lo, exec_lo, s17
.LBB306_1305:                           ;   in Loop: Header=BB306_934 Depth=1
	s_or_b32 exec_lo, exec_lo, s16
	v_lshrrev_b16 v0, 8, v0
	v_mov_b32_e32 v27, 0
	s_mov_b32 s16, exec_lo
	v_cmpx_ne_u16_e32 0, v0
	s_cbranch_execz .LBB306_1313
; %bb.1306:                             ;   in Loop: Header=BB306_934 Depth=1
	v_bfrev_b32_e32 v27, 1
	s_mov_b32 s17, exec_lo
	v_cmpx_ne_u16_e32 0x80, v0
	s_cbranch_execz .LBB306_1312
; %bb.1307:                             ;   in Loop: Header=BB306_934 Depth=1
	v_and_b32_sdwa v38, v0, v53 dst_sel:DWORD dst_unused:UNUSED_PAD src0_sel:WORD_0 src1_sel:DWORD
	v_mov_b32_e32 v27, 0x7c010000
	s_mov_b32 s18, exec_lo
	v_cmpx_ne_u32_e32 0x7f, v38
	s_cbranch_execz .LBB306_1311
; %bb.1308:                             ;   in Loop: Header=BB306_934 Depth=1
	v_and_b32_sdwa v27, v0, v54 dst_sel:DWORD dst_unused:UNUSED_PAD src0_sel:WORD_0 src1_sel:DWORD
	v_lshrrev_b32_e32 v37, 3, v38
	s_mov_b32 s20, exec_lo
	v_cmpx_gt_u32_e32 8, v38
; %bb.1309:                             ;   in Loop: Header=BB306_934 Depth=1
	v_ffbh_u32_e32 v27, v27
	v_min_u32_e32 v27, 32, v27
	v_subrev_nc_u32_e32 v37, 28, v27
	v_lshlrev_b64 v[48:49], v37, v[0:1]
	v_sub_nc_u32_e32 v37, 29, v27
	v_and_b32_e32 v27, 7, v48
; %bb.1310:                             ;   in Loop: Header=BB306_934 Depth=1
	s_or_b32 exec_lo, exec_lo, s20
	v_lshlrev_b32_sdwa v0, v69, v0 dst_sel:DWORD dst_unused:UNUSED_PAD src0_sel:DWORD src1_sel:WORD_0
	v_lshl_add_u32 v37, v37, 10, 0x2000
	v_lshlrev_b32_e32 v27, 23, v27
	v_and_or_b32 v0, 0x8000, v0, v37
	v_lshl_or_b32 v27, v0, 16, v27
.LBB306_1311:                           ;   in Loop: Header=BB306_934 Depth=1
	s_or_b32 exec_lo, exec_lo, s18
.LBB306_1312:                           ;   in Loop: Header=BB306_934 Depth=1
	s_or_b32 exec_lo, exec_lo, s17
.LBB306_1313:                           ;   in Loop: Header=BB306_934 Depth=1
	s_or_b32 exec_lo, exec_lo, s16
	v_lshrrev_b32_e32 v0, 16, v12
	v_cmp_ne_u16_sdwa s4, v0, v1 src0_sel:BYTE_0 src1_sel:DWORD
	s_and_saveexec_b32 s16, s4
	s_cbranch_execz .LBB306_1321
; %bb.1314:                             ;   in Loop: Header=BB306_934 Depth=1
	v_cmp_ne_u16_sdwa s4, v0, v17 src0_sel:BYTE_0 src1_sel:DWORD
	v_mov_b32_e32 v16, 0x8000
	s_and_saveexec_b32 s17, s4
	s_cbranch_execz .LBB306_1320
; %bb.1315:                             ;   in Loop: Header=BB306_934 Depth=1
	v_bfe_u32 v38, v12, 16, 7
	v_mov_b32_e32 v16, 0x7c01
	s_mov_b32 s18, exec_lo
	v_cmpx_ne_u32_e32 0x7f, v38
	s_cbranch_execz .LBB306_1319
; %bb.1316:                             ;   in Loop: Header=BB306_934 Depth=1
	v_and_b32_e32 v16, 7, v0
	v_lshrrev_b32_e32 v37, 3, v38
	s_mov_b32 s20, exec_lo
	v_cmpx_gt_u32_e32 8, v38
; %bb.1317:                             ;   in Loop: Header=BB306_934 Depth=1
	v_ffbh_u32_e32 v16, v16
	v_min_u32_e32 v16, 32, v16
	v_subrev_nc_u32_e32 v37, 28, v16
	v_lshlrev_b64 v[48:49], v37, v[0:1]
	v_sub_nc_u32_e32 v37, 29, v16
	v_and_b32_e32 v16, 7, v48
; %bb.1318:                             ;   in Loop: Header=BB306_934 Depth=1
	s_or_b32 exec_lo, exec_lo, s20
	v_lshlrev_b32_e32 v0, 8, v0
	v_lshl_add_u32 v37, v37, 10, 0x2000
	v_lshlrev_b32_e32 v16, 7, v16
	v_and_b32_e32 v0, 0x8000, v0
	v_and_b32_e32 v37, 0xfc00, v37
	v_or3_b32 v16, v0, v37, v16
.LBB306_1319:                           ;   in Loop: Header=BB306_934 Depth=1
	s_or_b32 exec_lo, exec_lo, s18
.LBB306_1320:                           ;   in Loop: Header=BB306_934 Depth=1
	s_or_b32 exec_lo, exec_lo, s17
.LBB306_1321:                           ;   in Loop: Header=BB306_934 Depth=1
	s_or_b32 exec_lo, exec_lo, s16
	v_cmp_lt_u64_e64 s4, s[12:13], v[11:12]
	v_mov_b32_e32 v11, 0
	s_and_saveexec_b32 s16, s4
	s_cbranch_execz .LBB306_1329
; %bb.1322:                             ;   in Loop: Header=BB306_934 Depth=1
	v_lshrrev_b32_e32 v0, 24, v12
	v_bfrev_b32_e32 v11, 1
	s_mov_b32 s17, exec_lo
	v_cmpx_ne_u32_e32 0x80, v0
	s_cbranch_execz .LBB306_1328
; %bb.1323:                             ;   in Loop: Header=BB306_934 Depth=1
	v_and_b32_e32 v37, 0x7f, v0
	v_mov_b32_e32 v11, 0x7c010000
	s_mov_b32 s18, exec_lo
	v_cmpx_ne_u32_e32 0x7f, v37
	s_cbranch_execz .LBB306_1327
; %bb.1324:                             ;   in Loop: Header=BB306_934 Depth=1
	v_and_b32_e32 v11, 7, v0
	v_lshrrev_b32_e32 v12, 3, v37
	s_mov_b32 s20, exec_lo
	v_cmpx_gt_u32_e32 8, v37
; %bb.1325:                             ;   in Loop: Header=BB306_934 Depth=1
	v_ffbh_u32_e32 v11, v11
	v_min_u32_e32 v37, 32, v11
	v_subrev_nc_u32_e32 v11, 28, v37
	v_lshlrev_b64 v[11:12], v11, v[0:1]
	v_sub_nc_u32_e32 v12, 29, v37
	v_and_b32_e32 v11, 7, v11
; %bb.1326:                             ;   in Loop: Header=BB306_934 Depth=1
	s_or_b32 exec_lo, exec_lo, s20
	v_lshlrev_b32_e32 v0, 8, v0
	v_lshl_add_u32 v12, v12, 10, 0x2000
	v_lshlrev_b32_e32 v11, 23, v11
	v_and_or_b32 v0, 0x8000, v0, v12
	v_lshl_or_b32 v11, v0, 16, v11
.LBB306_1327:                           ;   in Loop: Header=BB306_934 Depth=1
	s_or_b32 exec_lo, exec_lo, s18
.LBB306_1328:                           ;   in Loop: Header=BB306_934 Depth=1
	s_or_b32 exec_lo, exec_lo, s17
.LBB306_1329:                           ;   in Loop: Header=BB306_934 Depth=1
	s_or_b32 exec_lo, exec_lo, s16
	v_or_b32_e32 v0, v22, v35
	s_waitcnt vmcnt(0) lgkmcnt(0)
	v_fma_mixlo_f16 v12, v4, v22, 0 op_sel:[0,1,0] op_sel_hi:[0,1,0]
	v_or_b32_e32 v6, v5, v6
	v_fma_mixlo_f16 v5, v4, v5, 0 op_sel:[0,1,0] op_sel_hi:[0,1,0]
	v_or_b32_e32 v22, v27, v26
	v_fma_mixlo_f16 v26, v4, v0, 0 op_sel_hi:[0,1,0]
	v_or_b32_e32 v16, v11, v16
	v_lshlrev_b32_e32 v0, 16, v12
	v_lshlrev_b32_e32 v12, 16, v5
	v_fma_mixlo_f16 v6, v4, v6, 0 op_sel_hi:[0,1,0]
	v_and_b32_e32 v5, 0xffff, v26
	v_fma_mixlo_f16 v26, v4, v27, 0 op_sel:[0,1,0] op_sel_hi:[0,1,0]
	v_fma_mixlo_f16 v22, v4, v22, 0 op_sel_hi:[0,1,0]
	v_fma_mixlo_f16 v11, v4, v11, 0 op_sel:[0,1,0] op_sel_hi:[0,1,0]
	v_fma_mixlo_f16 v16, v4, v16, 0 op_sel_hi:[0,1,0]
	v_and_b32_e32 v37, 0xffff, v6
	v_lshlrev_b32_e32 v6, 16, v26
	v_and_b32_e32 v22, 0xffff, v22
	v_lshlrev_b32_e32 v4, 16, v11
	v_and_b32_e32 v11, 0xffff, v16
	v_or_b32_e32 v16, v0, v5
	v_or_b32_e32 v35, v12, v37
	;; [unrolled: 1-line block ×4, first 2 shown]
	s_and_saveexec_b32 s16, vcc_lo
	s_cbranch_execz .LBB306_1331
; %bb.1330:                             ;   in Loop: Header=BB306_934 Depth=1
	v_cmp_lt_i32_e64 s4, v18, v36
	v_cndmask_b32_e64 v16, 0, v37, s4
	v_cmp_lt_i32_e64 s4, v98, v36
	v_cndmask_b32_e64 v12, 0, v12, s4
	v_cmp_lt_i32_e64 s4, v97, v36
	v_or_b32_e32 v35, v16, v12
	v_cndmask_b32_e64 v5, 0, v5, s4
	v_cmp_lt_i32_e64 s4, v96, v36
	v_cndmask_b32_e64 v0, 0, v0, s4
	v_cmp_lt_i32_e64 s4, v87, v36
	v_or_b32_e32 v16, v5, v0
	;; [unrolled: 5-line block ×3, first 2 shown]
	v_cndmask_b32_e64 v11, 0, v11, s4
	v_cmp_lt_i32_e64 s4, v84, v36
	v_cndmask_b32_e64 v4, 0, v4, s4
	v_or_b32_e32 v26, v11, v4
.LBB306_1331:                           ;   in Loop: Header=BB306_934 Depth=1
	s_or_b32 exec_lo, exec_lo, s16
	;;#ASMSTART
	v_pk_mul_f16 v0, v83, v35;

	;;#ASMEND
	;;#ASMSTART
	v_pk_mul_f16 v4, v82, v16;

	;;#ASMEND
	;;#ASMSTART
	v_pk_mul_f16 v5, v81, v27;

	;;#ASMEND
	;;#ASMSTART
	v_pk_mul_f16 v6, v80, v26;

	;;#ASMEND
	;;#ASMSTART
	v_pk_add_f16 v0, v0, v4;

	;;#ASMEND
	;;#ASMSTART
	v_pk_add_f16 v0, v0, v5;

	;;#ASMEND
	;; [unrolled: 4-line block ×3, first 2 shown]
	v_and_b32_e32 v4, 0xffff, v0
	v_lshrrev_b32_e32 v0, 16, v0
	;;#ASMSTART
	v_cvt_f32_f16 v115, v4;
	;;#ASMEND
	;;#ASMSTART
	v_cvt_f32_f16 v116, v0;
	;;#ASMEND
	flat_load_dwordx2 v[11:12], v[9:10] offset:1536
	s_clause 0x1
	buffer_load_dword v4, off, s[0:3], s32 offset:200
	buffer_load_dword v5, off, s[0:3], s32 offset:204
	v_mov_b32_e32 v6, 0
	s_waitcnt vmcnt(2) lgkmcnt(0)
	v_cmp_ne_u16_sdwa s4, v11, v1 src0_sel:BYTE_0 src1_sel:DWORD
	s_waitcnt vmcnt(0)
	flat_load_dword v4, v[4:5]
	v_mov_b32_e32 v5, 0
	s_and_saveexec_b32 s16, s4
	s_cbranch_execz .LBB306_1339
; %bb.1332:                             ;   in Loop: Header=BB306_934 Depth=1
	v_cmp_ne_u16_sdwa s4, v11, v17 src0_sel:BYTE_0 src1_sel:DWORD
	v_mov_b32_e32 v6, 0x8000
	s_and_saveexec_b32 s17, s4
	s_cbranch_execz .LBB306_1338
; %bb.1333:                             ;   in Loop: Header=BB306_934 Depth=1
	v_and_b32_e32 v16, 0x7f, v11
	v_mov_b32_e32 v6, 0x7c01
	s_mov_b32 s18, exec_lo
	v_cmpx_ne_u32_e32 0x7f, v16
	s_cbranch_execz .LBB306_1337
; %bb.1334:                             ;   in Loop: Header=BB306_934 Depth=1
	v_and_b32_e32 v0, 7, v11
	v_lshrrev_b32_e32 v6, 3, v16
	s_mov_b32 s20, exec_lo
	v_cmpx_gt_u32_e32 8, v16
; %bb.1335:                             ;   in Loop: Header=BB306_934 Depth=1
	v_ffbh_u32_e32 v0, v0
	v_min_u32_e32 v0, 32, v0
	v_subrev_nc_u32_e32 v6, 28, v0
	v_lshlrev_b64 v[26:27], v6, v[11:12]
	v_sub_nc_u32_e32 v6, 29, v0
	v_and_b32_e32 v0, 7, v26
; %bb.1336:                             ;   in Loop: Header=BB306_934 Depth=1
	s_or_b32 exec_lo, exec_lo, s20
	v_lshlrev_b32_e32 v16, 8, v11
	v_lshl_add_u32 v6, v6, 10, 0x2000
	v_lshlrev_b32_e32 v0, 7, v0
	v_and_b32_e32 v16, 0x8000, v16
	v_and_b32_e32 v6, 0xfc00, v6
	v_or3_b32 v6, v16, v6, v0
.LBB306_1337:                           ;   in Loop: Header=BB306_934 Depth=1
	s_or_b32 exec_lo, exec_lo, s18
.LBB306_1338:                           ;   in Loop: Header=BB306_934 Depth=1
	s_or_b32 exec_lo, exec_lo, s17
.LBB306_1339:                           ;   in Loop: Header=BB306_934 Depth=1
	s_or_b32 exec_lo, exec_lo, s16
	v_lshrrev_b16 v0, 8, v11
	s_mov_b32 s16, exec_lo
	v_cmpx_ne_u16_e32 0, v0
	s_cbranch_execz .LBB306_1347
; %bb.1340:                             ;   in Loop: Header=BB306_934 Depth=1
	v_bfrev_b32_e32 v5, 1
	s_mov_b32 s17, exec_lo
	v_cmpx_ne_u16_e32 0x80, v0
	s_cbranch_execz .LBB306_1346
; %bb.1341:                             ;   in Loop: Header=BB306_934 Depth=1
	v_and_b32_sdwa v22, v0, v53 dst_sel:DWORD dst_unused:UNUSED_PAD src0_sel:WORD_0 src1_sel:DWORD
	v_mov_b32_e32 v5, 0x7c010000
	s_mov_b32 s18, exec_lo
	v_cmpx_ne_u32_e32 0x7f, v22
	s_cbranch_execz .LBB306_1345
; %bb.1342:                             ;   in Loop: Header=BB306_934 Depth=1
	v_and_b32_sdwa v5, v0, v54 dst_sel:DWORD dst_unused:UNUSED_PAD src0_sel:WORD_0 src1_sel:DWORD
	v_lshrrev_b32_e32 v16, 3, v22
	s_mov_b32 s20, exec_lo
	v_cmpx_gt_u32_e32 8, v22
; %bb.1343:                             ;   in Loop: Header=BB306_934 Depth=1
	v_ffbh_u32_e32 v5, v5
	v_min_u32_e32 v5, 32, v5
	v_subrev_nc_u32_e32 v16, 28, v5
	v_lshlrev_b64 v[26:27], v16, v[0:1]
	v_sub_nc_u32_e32 v16, 29, v5
	v_and_b32_e32 v5, 7, v26
; %bb.1344:                             ;   in Loop: Header=BB306_934 Depth=1
	s_or_b32 exec_lo, exec_lo, s20
	v_lshlrev_b32_sdwa v0, v69, v0 dst_sel:DWORD dst_unused:UNUSED_PAD src0_sel:DWORD src1_sel:WORD_0
	v_lshl_add_u32 v16, v16, 10, 0x2000
	v_lshlrev_b32_e32 v5, 23, v5
	v_and_or_b32 v0, 0x8000, v0, v16
	v_lshl_or_b32 v5, v0, 16, v5
.LBB306_1345:                           ;   in Loop: Header=BB306_934 Depth=1
	s_or_b32 exec_lo, exec_lo, s18
.LBB306_1346:                           ;   in Loop: Header=BB306_934 Depth=1
	s_or_b32 exec_lo, exec_lo, s17
.LBB306_1347:                           ;   in Loop: Header=BB306_934 Depth=1
	s_or_b32 exec_lo, exec_lo, s16
	v_lshrrev_b32_e32 v0, 16, v11
	v_mov_b32_e32 v22, 0
	v_mov_b32_e32 v35, 0
	v_cmp_ne_u16_sdwa s4, v0, v1 src0_sel:BYTE_0 src1_sel:DWORD
	s_and_saveexec_b32 s16, s4
	s_cbranch_execz .LBB306_1355
; %bb.1348:                             ;   in Loop: Header=BB306_934 Depth=1
	v_cmp_ne_u16_sdwa s4, v0, v17 src0_sel:BYTE_0 src1_sel:DWORD
	v_mov_b32_e32 v35, 0x8000
	s_and_saveexec_b32 s17, s4
	s_cbranch_execz .LBB306_1354
; %bb.1349:                             ;   in Loop: Header=BB306_934 Depth=1
	v_bfe_u32 v27, v11, 16, 7
	v_mov_b32_e32 v35, 0x7c01
	s_mov_b32 s18, exec_lo
	v_cmpx_ne_u32_e32 0x7f, v27
	s_cbranch_execz .LBB306_1353
; %bb.1350:                             ;   in Loop: Header=BB306_934 Depth=1
	v_and_b32_e32 v16, 7, v0
	v_lshrrev_b32_e32 v26, 3, v27
	s_mov_b32 s20, exec_lo
	v_cmpx_gt_u32_e32 8, v27
; %bb.1351:                             ;   in Loop: Header=BB306_934 Depth=1
	v_ffbh_u32_e32 v16, v16
	v_min_u32_e32 v16, 32, v16
	v_subrev_nc_u32_e32 v26, 28, v16
	v_lshlrev_b64 v[37:38], v26, v[0:1]
	v_sub_nc_u32_e32 v26, 29, v16
	v_and_b32_e32 v16, 7, v37
; %bb.1352:                             ;   in Loop: Header=BB306_934 Depth=1
	s_or_b32 exec_lo, exec_lo, s20
	v_lshlrev_b32_e32 v0, 8, v0
	v_lshl_add_u32 v26, v26, 10, 0x2000
	v_lshlrev_b32_e32 v16, 7, v16
	v_and_b32_e32 v0, 0x8000, v0
	v_and_b32_e32 v26, 0xfc00, v26
	v_or3_b32 v35, v0, v26, v16
.LBB306_1353:                           ;   in Loop: Header=BB306_934 Depth=1
	s_or_b32 exec_lo, exec_lo, s18
.LBB306_1354:                           ;   in Loop: Header=BB306_934 Depth=1
	s_or_b32 exec_lo, exec_lo, s17
.LBB306_1355:                           ;   in Loop: Header=BB306_934 Depth=1
	s_or_b32 exec_lo, exec_lo, s16
	s_mov_b32 s16, exec_lo
	v_cmpx_lt_u32_e32 0xffffff, v11
	s_cbranch_execz .LBB306_1363
; %bb.1356:                             ;   in Loop: Header=BB306_934 Depth=1
	v_lshrrev_b32_e32 v0, 24, v11
	v_bfrev_b32_e32 v22, 1
	s_mov_b32 s17, exec_lo
	v_cmpx_ne_u32_e32 0x80, v0
	s_cbranch_execz .LBB306_1362
; %bb.1357:                             ;   in Loop: Header=BB306_934 Depth=1
	v_and_b32_e32 v26, 0x7f, v0
	v_mov_b32_e32 v22, 0x7c010000
	s_mov_b32 s18, exec_lo
	v_cmpx_ne_u32_e32 0x7f, v26
	s_cbranch_execz .LBB306_1361
; %bb.1358:                             ;   in Loop: Header=BB306_934 Depth=1
	v_and_b32_e32 v16, 7, v0
	v_lshrrev_b32_e32 v22, 3, v26
	s_mov_b32 s20, exec_lo
	v_cmpx_gt_u32_e32 8, v26
; %bb.1359:                             ;   in Loop: Header=BB306_934 Depth=1
	v_ffbh_u32_e32 v16, v16
	v_min_u32_e32 v16, 32, v16
	v_subrev_nc_u32_e32 v22, 28, v16
	v_lshlrev_b64 v[26:27], v22, v[0:1]
	v_sub_nc_u32_e32 v22, 29, v16
	v_and_b32_e32 v16, 7, v26
; %bb.1360:                             ;   in Loop: Header=BB306_934 Depth=1
	s_or_b32 exec_lo, exec_lo, s20
	v_lshlrev_b32_e32 v0, 8, v0
	v_lshl_add_u32 v22, v22, 10, 0x2000
	v_lshlrev_b32_e32 v16, 23, v16
	v_and_or_b32 v0, 0x8000, v0, v22
	v_lshl_or_b32 v22, v0, 16, v16
.LBB306_1361:                           ;   in Loop: Header=BB306_934 Depth=1
	s_or_b32 exec_lo, exec_lo, s18
.LBB306_1362:                           ;   in Loop: Header=BB306_934 Depth=1
	s_or_b32 exec_lo, exec_lo, s17
.LBB306_1363:                           ;   in Loop: Header=BB306_934 Depth=1
	s_or_b32 exec_lo, exec_lo, s16
	v_mov_b32_e32 v0, v12
	v_cmp_ne_u16_sdwa s4, v12, v1 src0_sel:BYTE_0 src1_sel:DWORD
	v_mov_b32_e32 v16, 0
	v_mov_b32_e32 v26, 0
	s_and_saveexec_b32 s16, s4
	s_cbranch_execz .LBB306_1371
; %bb.1364:                             ;   in Loop: Header=BB306_934 Depth=1
	v_cmp_ne_u16_sdwa s4, v12, v17 src0_sel:BYTE_0 src1_sel:DWORD
	v_mov_b32_e32 v26, 0x8000
	s_and_saveexec_b32 s17, s4
	s_cbranch_execz .LBB306_1370
; %bb.1365:                             ;   in Loop: Header=BB306_934 Depth=1
	v_and_b32_e32 v37, 0x7f, v12
	v_mov_b32_e32 v26, 0x7c01
	s_mov_b32 s18, exec_lo
	v_cmpx_ne_u32_e32 0x7f, v37
	s_cbranch_execz .LBB306_1369
; %bb.1366:                             ;   in Loop: Header=BB306_934 Depth=1
	v_and_b32_e32 v26, 7, v12
	v_lshrrev_b32_e32 v27, 3, v37
	s_mov_b32 s20, exec_lo
	v_cmpx_gt_u32_e32 8, v37
; %bb.1367:                             ;   in Loop: Header=BB306_934 Depth=1
	v_ffbh_u32_e32 v26, v26
	v_min_u32_e32 v37, 32, v26
	v_subrev_nc_u32_e32 v26, 28, v37
	v_lshlrev_b64 v[26:27], v26, v[0:1]
	v_sub_nc_u32_e32 v27, 29, v37
	v_and_b32_e32 v26, 7, v26
; %bb.1368:                             ;   in Loop: Header=BB306_934 Depth=1
	s_or_b32 exec_lo, exec_lo, s20
	v_lshlrev_b32_e32 v37, 8, v12
	v_lshl_add_u32 v27, v27, 10, 0x2000
	v_lshlrev_b32_e32 v26, 7, v26
	v_and_b32_e32 v37, 0x8000, v37
	v_and_b32_e32 v27, 0xfc00, v27
	v_or3_b32 v26, v37, v27, v26
.LBB306_1369:                           ;   in Loop: Header=BB306_934 Depth=1
	s_or_b32 exec_lo, exec_lo, s18
.LBB306_1370:                           ;   in Loop: Header=BB306_934 Depth=1
	s_or_b32 exec_lo, exec_lo, s17
.LBB306_1371:                           ;   in Loop: Header=BB306_934 Depth=1
	s_or_b32 exec_lo, exec_lo, s16
	v_lshrrev_b16 v0, 8, v0
	v_mov_b32_e32 v27, 0
	s_mov_b32 s16, exec_lo
	v_cmpx_ne_u16_e32 0, v0
	s_cbranch_execz .LBB306_1379
; %bb.1372:                             ;   in Loop: Header=BB306_934 Depth=1
	v_bfrev_b32_e32 v27, 1
	s_mov_b32 s17, exec_lo
	v_cmpx_ne_u16_e32 0x80, v0
	s_cbranch_execz .LBB306_1378
; %bb.1373:                             ;   in Loop: Header=BB306_934 Depth=1
	v_and_b32_sdwa v38, v0, v53 dst_sel:DWORD dst_unused:UNUSED_PAD src0_sel:WORD_0 src1_sel:DWORD
	v_mov_b32_e32 v27, 0x7c010000
	s_mov_b32 s18, exec_lo
	v_cmpx_ne_u32_e32 0x7f, v38
	s_cbranch_execz .LBB306_1377
; %bb.1374:                             ;   in Loop: Header=BB306_934 Depth=1
	v_and_b32_sdwa v27, v0, v54 dst_sel:DWORD dst_unused:UNUSED_PAD src0_sel:WORD_0 src1_sel:DWORD
	v_lshrrev_b32_e32 v37, 3, v38
	s_mov_b32 s20, exec_lo
	v_cmpx_gt_u32_e32 8, v38
; %bb.1375:                             ;   in Loop: Header=BB306_934 Depth=1
	v_ffbh_u32_e32 v27, v27
	v_min_u32_e32 v27, 32, v27
	v_subrev_nc_u32_e32 v37, 28, v27
	v_lshlrev_b64 v[48:49], v37, v[0:1]
	v_sub_nc_u32_e32 v37, 29, v27
	v_and_b32_e32 v27, 7, v48
; %bb.1376:                             ;   in Loop: Header=BB306_934 Depth=1
	s_or_b32 exec_lo, exec_lo, s20
	v_lshlrev_b32_sdwa v0, v69, v0 dst_sel:DWORD dst_unused:UNUSED_PAD src0_sel:DWORD src1_sel:WORD_0
	v_lshl_add_u32 v37, v37, 10, 0x2000
	v_lshlrev_b32_e32 v27, 23, v27
	v_and_or_b32 v0, 0x8000, v0, v37
	v_lshl_or_b32 v27, v0, 16, v27
.LBB306_1377:                           ;   in Loop: Header=BB306_934 Depth=1
	s_or_b32 exec_lo, exec_lo, s18
.LBB306_1378:                           ;   in Loop: Header=BB306_934 Depth=1
	s_or_b32 exec_lo, exec_lo, s17
.LBB306_1379:                           ;   in Loop: Header=BB306_934 Depth=1
	s_or_b32 exec_lo, exec_lo, s16
	v_lshrrev_b32_e32 v0, 16, v12
	v_cmp_ne_u16_sdwa s4, v0, v1 src0_sel:BYTE_0 src1_sel:DWORD
	s_and_saveexec_b32 s16, s4
	s_cbranch_execz .LBB306_1387
; %bb.1380:                             ;   in Loop: Header=BB306_934 Depth=1
	v_cmp_ne_u16_sdwa s4, v0, v17 src0_sel:BYTE_0 src1_sel:DWORD
	v_mov_b32_e32 v16, 0x8000
	s_and_saveexec_b32 s17, s4
	s_cbranch_execz .LBB306_1386
; %bb.1381:                             ;   in Loop: Header=BB306_934 Depth=1
	v_bfe_u32 v38, v12, 16, 7
	v_mov_b32_e32 v16, 0x7c01
	s_mov_b32 s18, exec_lo
	v_cmpx_ne_u32_e32 0x7f, v38
	s_cbranch_execz .LBB306_1385
; %bb.1382:                             ;   in Loop: Header=BB306_934 Depth=1
	v_and_b32_e32 v16, 7, v0
	v_lshrrev_b32_e32 v37, 3, v38
	s_mov_b32 s20, exec_lo
	v_cmpx_gt_u32_e32 8, v38
; %bb.1383:                             ;   in Loop: Header=BB306_934 Depth=1
	v_ffbh_u32_e32 v16, v16
	v_min_u32_e32 v16, 32, v16
	v_subrev_nc_u32_e32 v37, 28, v16
	v_lshlrev_b64 v[48:49], v37, v[0:1]
	v_sub_nc_u32_e32 v37, 29, v16
	v_and_b32_e32 v16, 7, v48
; %bb.1384:                             ;   in Loop: Header=BB306_934 Depth=1
	s_or_b32 exec_lo, exec_lo, s20
	v_lshlrev_b32_e32 v0, 8, v0
	v_lshl_add_u32 v37, v37, 10, 0x2000
	v_lshlrev_b32_e32 v16, 7, v16
	v_and_b32_e32 v0, 0x8000, v0
	v_and_b32_e32 v37, 0xfc00, v37
	v_or3_b32 v16, v0, v37, v16
.LBB306_1385:                           ;   in Loop: Header=BB306_934 Depth=1
	s_or_b32 exec_lo, exec_lo, s18
.LBB306_1386:                           ;   in Loop: Header=BB306_934 Depth=1
	s_or_b32 exec_lo, exec_lo, s17
.LBB306_1387:                           ;   in Loop: Header=BB306_934 Depth=1
	s_or_b32 exec_lo, exec_lo, s16
	v_cmp_lt_u64_e64 s4, s[12:13], v[11:12]
	v_mov_b32_e32 v11, 0
	s_and_saveexec_b32 s16, s4
	s_cbranch_execz .LBB306_1395
; %bb.1388:                             ;   in Loop: Header=BB306_934 Depth=1
	v_lshrrev_b32_e32 v0, 24, v12
	v_bfrev_b32_e32 v11, 1
	s_mov_b32 s17, exec_lo
	v_cmpx_ne_u32_e32 0x80, v0
	s_cbranch_execz .LBB306_1394
; %bb.1389:                             ;   in Loop: Header=BB306_934 Depth=1
	v_and_b32_e32 v37, 0x7f, v0
	v_mov_b32_e32 v11, 0x7c010000
	s_mov_b32 s18, exec_lo
	v_cmpx_ne_u32_e32 0x7f, v37
	s_cbranch_execz .LBB306_1393
; %bb.1390:                             ;   in Loop: Header=BB306_934 Depth=1
	v_and_b32_e32 v11, 7, v0
	v_lshrrev_b32_e32 v12, 3, v37
	s_mov_b32 s20, exec_lo
	v_cmpx_gt_u32_e32 8, v37
; %bb.1391:                             ;   in Loop: Header=BB306_934 Depth=1
	v_ffbh_u32_e32 v11, v11
	v_min_u32_e32 v37, 32, v11
	v_subrev_nc_u32_e32 v11, 28, v37
	v_lshlrev_b64 v[11:12], v11, v[0:1]
	v_sub_nc_u32_e32 v12, 29, v37
	v_and_b32_e32 v11, 7, v11
; %bb.1392:                             ;   in Loop: Header=BB306_934 Depth=1
	s_or_b32 exec_lo, exec_lo, s20
	v_lshlrev_b32_e32 v0, 8, v0
	v_lshl_add_u32 v12, v12, 10, 0x2000
	v_lshlrev_b32_e32 v11, 23, v11
	v_and_or_b32 v0, 0x8000, v0, v12
	v_lshl_or_b32 v11, v0, 16, v11
.LBB306_1393:                           ;   in Loop: Header=BB306_934 Depth=1
	s_or_b32 exec_lo, exec_lo, s18
.LBB306_1394:                           ;   in Loop: Header=BB306_934 Depth=1
	s_or_b32 exec_lo, exec_lo, s17
.LBB306_1395:                           ;   in Loop: Header=BB306_934 Depth=1
	s_or_b32 exec_lo, exec_lo, s16
	v_or_b32_e32 v0, v22, v35
	s_waitcnt vmcnt(0) lgkmcnt(0)
	v_fma_mixlo_f16 v12, v4, v22, 0 op_sel:[0,1,0] op_sel_hi:[0,1,0]
	v_or_b32_e32 v6, v5, v6
	v_fma_mixlo_f16 v5, v4, v5, 0 op_sel:[0,1,0] op_sel_hi:[0,1,0]
	v_or_b32_e32 v22, v27, v26
	v_fma_mixlo_f16 v26, v4, v0, 0 op_sel_hi:[0,1,0]
	v_or_b32_e32 v16, v11, v16
	v_lshlrev_b32_e32 v0, 16, v12
	v_lshlrev_b32_e32 v12, 16, v5
	v_fma_mixlo_f16 v6, v4, v6, 0 op_sel_hi:[0,1,0]
	v_and_b32_e32 v5, 0xffff, v26
	v_fma_mixlo_f16 v26, v4, v27, 0 op_sel:[0,1,0] op_sel_hi:[0,1,0]
	v_fma_mixlo_f16 v22, v4, v22, 0 op_sel_hi:[0,1,0]
	v_fma_mixlo_f16 v11, v4, v11, 0 op_sel:[0,1,0] op_sel_hi:[0,1,0]
	v_fma_mixlo_f16 v16, v4, v16, 0 op_sel_hi:[0,1,0]
	v_and_b32_e32 v37, 0xffff, v6
	v_lshlrev_b32_e32 v6, 16, v26
	v_and_b32_e32 v22, 0xffff, v22
	v_lshlrev_b32_e32 v4, 16, v11
	v_and_b32_e32 v11, 0xffff, v16
	v_or_b32_e32 v16, v0, v5
	v_or_b32_e32 v35, v12, v37
	;; [unrolled: 1-line block ×4, first 2 shown]
	s_and_saveexec_b32 s16, vcc_lo
	s_cbranch_execz .LBB306_1397
; %bb.1396:                             ;   in Loop: Header=BB306_934 Depth=1
	v_cmp_lt_i32_e64 s4, v18, v36
	v_cndmask_b32_e64 v16, 0, v37, s4
	v_cmp_lt_i32_e64 s4, v98, v36
	v_cndmask_b32_e64 v12, 0, v12, s4
	v_cmp_lt_i32_e64 s4, v97, v36
	v_or_b32_e32 v35, v16, v12
	v_cndmask_b32_e64 v5, 0, v5, s4
	v_cmp_lt_i32_e64 s4, v96, v36
	v_cndmask_b32_e64 v0, 0, v0, s4
	v_cmp_lt_i32_e64 s4, v87, v36
	v_or_b32_e32 v16, v5, v0
	;; [unrolled: 5-line block ×3, first 2 shown]
	v_cndmask_b32_e64 v11, 0, v11, s4
	v_cmp_lt_i32_e64 s4, v84, v36
	v_cndmask_b32_e64 v4, 0, v4, s4
	v_or_b32_e32 v26, v11, v4
.LBB306_1397:                           ;   in Loop: Header=BB306_934 Depth=1
	s_or_b32 exec_lo, exec_lo, s16
	;;#ASMSTART
	v_pk_mul_f16 v0, v83, v35;

	;;#ASMEND
	;;#ASMSTART
	v_pk_mul_f16 v4, v82, v16;

	;;#ASMEND
	;; [unrolled: 4-line block ×4, first 2 shown]
	;;#ASMSTART
	v_pk_add_f16 v0, v0, v4;

	;;#ASMEND
	;;#ASMSTART
	v_pk_add_f16 v0, v0, v5;

	;;#ASMEND
	;; [unrolled: 4-line block ×3, first 2 shown]
	v_and_b32_e32 v4, 0xffff, v0
	v_lshrrev_b32_e32 v0, 16, v0
	;;#ASMSTART
	v_cvt_f32_f16 v117, v4;
	;;#ASMEND
	;;#ASMSTART
	v_cvt_f32_f16 v118, v0;
	;;#ASMEND
	flat_load_dwordx2 v[11:12], v[9:10] offset:1792
	s_clause 0x1
	buffer_load_dword v4, off, s[0:3], s32 offset:200
	buffer_load_dword v5, off, s[0:3], s32 offset:204
	v_mov_b32_e32 v6, 0
	s_waitcnt vmcnt(2) lgkmcnt(0)
	v_cmp_ne_u16_sdwa s4, v11, v1 src0_sel:BYTE_0 src1_sel:DWORD
	s_waitcnt vmcnt(0)
	flat_load_dword v4, v[4:5]
	v_mov_b32_e32 v5, 0
	s_and_saveexec_b32 s16, s4
	s_cbranch_execz .LBB306_1405
; %bb.1398:                             ;   in Loop: Header=BB306_934 Depth=1
	v_cmp_ne_u16_sdwa s4, v11, v17 src0_sel:BYTE_0 src1_sel:DWORD
	v_mov_b32_e32 v6, 0x8000
	s_and_saveexec_b32 s17, s4
	s_cbranch_execz .LBB306_1404
; %bb.1399:                             ;   in Loop: Header=BB306_934 Depth=1
	v_and_b32_e32 v16, 0x7f, v11
	v_mov_b32_e32 v6, 0x7c01
	s_mov_b32 s18, exec_lo
	v_cmpx_ne_u32_e32 0x7f, v16
	s_cbranch_execz .LBB306_1403
; %bb.1400:                             ;   in Loop: Header=BB306_934 Depth=1
	v_and_b32_e32 v0, 7, v11
	v_lshrrev_b32_e32 v6, 3, v16
	s_mov_b32 s20, exec_lo
	v_cmpx_gt_u32_e32 8, v16
; %bb.1401:                             ;   in Loop: Header=BB306_934 Depth=1
	v_ffbh_u32_e32 v0, v0
	v_min_u32_e32 v0, 32, v0
	v_subrev_nc_u32_e32 v6, 28, v0
	v_lshlrev_b64 v[26:27], v6, v[11:12]
	v_sub_nc_u32_e32 v6, 29, v0
	v_and_b32_e32 v0, 7, v26
; %bb.1402:                             ;   in Loop: Header=BB306_934 Depth=1
	s_or_b32 exec_lo, exec_lo, s20
	v_lshlrev_b32_e32 v16, 8, v11
	v_lshl_add_u32 v6, v6, 10, 0x2000
	v_lshlrev_b32_e32 v0, 7, v0
	v_and_b32_e32 v16, 0x8000, v16
	v_and_b32_e32 v6, 0xfc00, v6
	v_or3_b32 v6, v16, v6, v0
.LBB306_1403:                           ;   in Loop: Header=BB306_934 Depth=1
	s_or_b32 exec_lo, exec_lo, s18
.LBB306_1404:                           ;   in Loop: Header=BB306_934 Depth=1
	s_or_b32 exec_lo, exec_lo, s17
.LBB306_1405:                           ;   in Loop: Header=BB306_934 Depth=1
	s_or_b32 exec_lo, exec_lo, s16
	v_lshrrev_b16 v0, 8, v11
	s_mov_b32 s16, exec_lo
	v_cmpx_ne_u16_e32 0, v0
	s_cbranch_execz .LBB306_1413
; %bb.1406:                             ;   in Loop: Header=BB306_934 Depth=1
	v_bfrev_b32_e32 v5, 1
	s_mov_b32 s17, exec_lo
	v_cmpx_ne_u16_e32 0x80, v0
	s_cbranch_execz .LBB306_1412
; %bb.1407:                             ;   in Loop: Header=BB306_934 Depth=1
	v_and_b32_sdwa v22, v0, v53 dst_sel:DWORD dst_unused:UNUSED_PAD src0_sel:WORD_0 src1_sel:DWORD
	v_mov_b32_e32 v5, 0x7c010000
	s_mov_b32 s18, exec_lo
	v_cmpx_ne_u32_e32 0x7f, v22
	s_cbranch_execz .LBB306_1411
; %bb.1408:                             ;   in Loop: Header=BB306_934 Depth=1
	v_and_b32_sdwa v5, v0, v54 dst_sel:DWORD dst_unused:UNUSED_PAD src0_sel:WORD_0 src1_sel:DWORD
	v_lshrrev_b32_e32 v16, 3, v22
	s_mov_b32 s20, exec_lo
	v_cmpx_gt_u32_e32 8, v22
; %bb.1409:                             ;   in Loop: Header=BB306_934 Depth=1
	v_ffbh_u32_e32 v5, v5
	v_min_u32_e32 v5, 32, v5
	v_subrev_nc_u32_e32 v16, 28, v5
	v_lshlrev_b64 v[26:27], v16, v[0:1]
	v_sub_nc_u32_e32 v16, 29, v5
	v_and_b32_e32 v5, 7, v26
; %bb.1410:                             ;   in Loop: Header=BB306_934 Depth=1
	s_or_b32 exec_lo, exec_lo, s20
	v_lshlrev_b32_sdwa v0, v69, v0 dst_sel:DWORD dst_unused:UNUSED_PAD src0_sel:DWORD src1_sel:WORD_0
	v_lshl_add_u32 v16, v16, 10, 0x2000
	v_lshlrev_b32_e32 v5, 23, v5
	v_and_or_b32 v0, 0x8000, v0, v16
	v_lshl_or_b32 v5, v0, 16, v5
.LBB306_1411:                           ;   in Loop: Header=BB306_934 Depth=1
	s_or_b32 exec_lo, exec_lo, s18
.LBB306_1412:                           ;   in Loop: Header=BB306_934 Depth=1
	s_or_b32 exec_lo, exec_lo, s17
.LBB306_1413:                           ;   in Loop: Header=BB306_934 Depth=1
	s_or_b32 exec_lo, exec_lo, s16
	v_lshrrev_b32_e32 v0, 16, v11
	v_mov_b32_e32 v22, 0
	v_mov_b32_e32 v35, 0
	v_cmp_ne_u16_sdwa s4, v0, v1 src0_sel:BYTE_0 src1_sel:DWORD
	s_and_saveexec_b32 s16, s4
	s_cbranch_execz .LBB306_1421
; %bb.1414:                             ;   in Loop: Header=BB306_934 Depth=1
	v_cmp_ne_u16_sdwa s4, v0, v17 src0_sel:BYTE_0 src1_sel:DWORD
	v_mov_b32_e32 v35, 0x8000
	s_and_saveexec_b32 s17, s4
	s_cbranch_execz .LBB306_1420
; %bb.1415:                             ;   in Loop: Header=BB306_934 Depth=1
	v_bfe_u32 v27, v11, 16, 7
	v_mov_b32_e32 v35, 0x7c01
	s_mov_b32 s18, exec_lo
	v_cmpx_ne_u32_e32 0x7f, v27
	s_cbranch_execz .LBB306_1419
; %bb.1416:                             ;   in Loop: Header=BB306_934 Depth=1
	v_and_b32_e32 v16, 7, v0
	v_lshrrev_b32_e32 v26, 3, v27
	s_mov_b32 s20, exec_lo
	v_cmpx_gt_u32_e32 8, v27
; %bb.1417:                             ;   in Loop: Header=BB306_934 Depth=1
	v_ffbh_u32_e32 v16, v16
	v_min_u32_e32 v16, 32, v16
	v_subrev_nc_u32_e32 v26, 28, v16
	v_lshlrev_b64 v[37:38], v26, v[0:1]
	v_sub_nc_u32_e32 v26, 29, v16
	v_and_b32_e32 v16, 7, v37
; %bb.1418:                             ;   in Loop: Header=BB306_934 Depth=1
	s_or_b32 exec_lo, exec_lo, s20
	v_lshlrev_b32_e32 v0, 8, v0
	v_lshl_add_u32 v26, v26, 10, 0x2000
	v_lshlrev_b32_e32 v16, 7, v16
	v_and_b32_e32 v0, 0x8000, v0
	v_and_b32_e32 v26, 0xfc00, v26
	v_or3_b32 v35, v0, v26, v16
.LBB306_1419:                           ;   in Loop: Header=BB306_934 Depth=1
	s_or_b32 exec_lo, exec_lo, s18
.LBB306_1420:                           ;   in Loop: Header=BB306_934 Depth=1
	s_or_b32 exec_lo, exec_lo, s17
.LBB306_1421:                           ;   in Loop: Header=BB306_934 Depth=1
	s_or_b32 exec_lo, exec_lo, s16
	s_mov_b32 s16, exec_lo
	v_cmpx_lt_u32_e32 0xffffff, v11
	s_cbranch_execz .LBB306_1429
; %bb.1422:                             ;   in Loop: Header=BB306_934 Depth=1
	v_lshrrev_b32_e32 v0, 24, v11
	v_bfrev_b32_e32 v22, 1
	s_mov_b32 s17, exec_lo
	v_cmpx_ne_u32_e32 0x80, v0
	s_cbranch_execz .LBB306_1428
; %bb.1423:                             ;   in Loop: Header=BB306_934 Depth=1
	v_and_b32_e32 v26, 0x7f, v0
	v_mov_b32_e32 v22, 0x7c010000
	s_mov_b32 s18, exec_lo
	v_cmpx_ne_u32_e32 0x7f, v26
	s_cbranch_execz .LBB306_1427
; %bb.1424:                             ;   in Loop: Header=BB306_934 Depth=1
	v_and_b32_e32 v16, 7, v0
	v_lshrrev_b32_e32 v22, 3, v26
	s_mov_b32 s20, exec_lo
	v_cmpx_gt_u32_e32 8, v26
; %bb.1425:                             ;   in Loop: Header=BB306_934 Depth=1
	v_ffbh_u32_e32 v16, v16
	v_min_u32_e32 v16, 32, v16
	v_subrev_nc_u32_e32 v22, 28, v16
	v_lshlrev_b64 v[26:27], v22, v[0:1]
	v_sub_nc_u32_e32 v22, 29, v16
	v_and_b32_e32 v16, 7, v26
; %bb.1426:                             ;   in Loop: Header=BB306_934 Depth=1
	s_or_b32 exec_lo, exec_lo, s20
	v_lshlrev_b32_e32 v0, 8, v0
	v_lshl_add_u32 v22, v22, 10, 0x2000
	v_lshlrev_b32_e32 v16, 23, v16
	v_and_or_b32 v0, 0x8000, v0, v22
	v_lshl_or_b32 v22, v0, 16, v16
.LBB306_1427:                           ;   in Loop: Header=BB306_934 Depth=1
	s_or_b32 exec_lo, exec_lo, s18
.LBB306_1428:                           ;   in Loop: Header=BB306_934 Depth=1
	s_or_b32 exec_lo, exec_lo, s17
.LBB306_1429:                           ;   in Loop: Header=BB306_934 Depth=1
	s_or_b32 exec_lo, exec_lo, s16
	v_mov_b32_e32 v0, v12
	v_cmp_ne_u16_sdwa s4, v12, v1 src0_sel:BYTE_0 src1_sel:DWORD
	v_mov_b32_e32 v16, 0
	v_mov_b32_e32 v26, 0
	s_and_saveexec_b32 s16, s4
	s_cbranch_execz .LBB306_1437
; %bb.1430:                             ;   in Loop: Header=BB306_934 Depth=1
	v_cmp_ne_u16_sdwa s4, v12, v17 src0_sel:BYTE_0 src1_sel:DWORD
	v_mov_b32_e32 v26, 0x8000
	s_and_saveexec_b32 s17, s4
	s_cbranch_execz .LBB306_1436
; %bb.1431:                             ;   in Loop: Header=BB306_934 Depth=1
	v_and_b32_e32 v37, 0x7f, v12
	v_mov_b32_e32 v26, 0x7c01
	s_mov_b32 s18, exec_lo
	v_cmpx_ne_u32_e32 0x7f, v37
	s_cbranch_execz .LBB306_1435
; %bb.1432:                             ;   in Loop: Header=BB306_934 Depth=1
	v_and_b32_e32 v26, 7, v12
	v_lshrrev_b32_e32 v27, 3, v37
	s_mov_b32 s20, exec_lo
	v_cmpx_gt_u32_e32 8, v37
; %bb.1433:                             ;   in Loop: Header=BB306_934 Depth=1
	v_ffbh_u32_e32 v26, v26
	v_min_u32_e32 v37, 32, v26
	v_subrev_nc_u32_e32 v26, 28, v37
	v_lshlrev_b64 v[26:27], v26, v[0:1]
	v_sub_nc_u32_e32 v27, 29, v37
	v_and_b32_e32 v26, 7, v26
; %bb.1434:                             ;   in Loop: Header=BB306_934 Depth=1
	s_or_b32 exec_lo, exec_lo, s20
	v_lshlrev_b32_e32 v37, 8, v12
	v_lshl_add_u32 v27, v27, 10, 0x2000
	v_lshlrev_b32_e32 v26, 7, v26
	v_and_b32_e32 v37, 0x8000, v37
	v_and_b32_e32 v27, 0xfc00, v27
	v_or3_b32 v26, v37, v27, v26
.LBB306_1435:                           ;   in Loop: Header=BB306_934 Depth=1
	s_or_b32 exec_lo, exec_lo, s18
.LBB306_1436:                           ;   in Loop: Header=BB306_934 Depth=1
	s_or_b32 exec_lo, exec_lo, s17
.LBB306_1437:                           ;   in Loop: Header=BB306_934 Depth=1
	s_or_b32 exec_lo, exec_lo, s16
	v_lshrrev_b16 v0, 8, v0
	v_mov_b32_e32 v27, 0
	s_mov_b32 s16, exec_lo
	v_cmpx_ne_u16_e32 0, v0
	s_cbranch_execz .LBB306_1445
; %bb.1438:                             ;   in Loop: Header=BB306_934 Depth=1
	v_bfrev_b32_e32 v27, 1
	s_mov_b32 s17, exec_lo
	v_cmpx_ne_u16_e32 0x80, v0
	s_cbranch_execz .LBB306_1444
; %bb.1439:                             ;   in Loop: Header=BB306_934 Depth=1
	v_and_b32_sdwa v38, v0, v53 dst_sel:DWORD dst_unused:UNUSED_PAD src0_sel:WORD_0 src1_sel:DWORD
	v_mov_b32_e32 v27, 0x7c010000
	s_mov_b32 s18, exec_lo
	v_cmpx_ne_u32_e32 0x7f, v38
	s_cbranch_execz .LBB306_1443
; %bb.1440:                             ;   in Loop: Header=BB306_934 Depth=1
	v_and_b32_sdwa v27, v0, v54 dst_sel:DWORD dst_unused:UNUSED_PAD src0_sel:WORD_0 src1_sel:DWORD
	v_lshrrev_b32_e32 v37, 3, v38
	s_mov_b32 s20, exec_lo
	v_cmpx_gt_u32_e32 8, v38
; %bb.1441:                             ;   in Loop: Header=BB306_934 Depth=1
	v_ffbh_u32_e32 v27, v27
	v_min_u32_e32 v27, 32, v27
	v_subrev_nc_u32_e32 v37, 28, v27
	v_lshlrev_b64 v[48:49], v37, v[0:1]
	v_sub_nc_u32_e32 v37, 29, v27
	v_and_b32_e32 v27, 7, v48
; %bb.1442:                             ;   in Loop: Header=BB306_934 Depth=1
	s_or_b32 exec_lo, exec_lo, s20
	v_lshlrev_b32_sdwa v0, v69, v0 dst_sel:DWORD dst_unused:UNUSED_PAD src0_sel:DWORD src1_sel:WORD_0
	v_lshl_add_u32 v37, v37, 10, 0x2000
	v_lshlrev_b32_e32 v27, 23, v27
	v_and_or_b32 v0, 0x8000, v0, v37
	v_lshl_or_b32 v27, v0, 16, v27
.LBB306_1443:                           ;   in Loop: Header=BB306_934 Depth=1
	s_or_b32 exec_lo, exec_lo, s18
.LBB306_1444:                           ;   in Loop: Header=BB306_934 Depth=1
	s_or_b32 exec_lo, exec_lo, s17
.LBB306_1445:                           ;   in Loop: Header=BB306_934 Depth=1
	s_or_b32 exec_lo, exec_lo, s16
	v_lshrrev_b32_e32 v0, 16, v12
	v_cmp_ne_u16_sdwa s4, v0, v1 src0_sel:BYTE_0 src1_sel:DWORD
	s_and_saveexec_b32 s16, s4
	s_cbranch_execz .LBB306_1453
; %bb.1446:                             ;   in Loop: Header=BB306_934 Depth=1
	v_cmp_ne_u16_sdwa s4, v0, v17 src0_sel:BYTE_0 src1_sel:DWORD
	v_mov_b32_e32 v16, 0x8000
	s_and_saveexec_b32 s17, s4
	s_cbranch_execz .LBB306_1452
; %bb.1447:                             ;   in Loop: Header=BB306_934 Depth=1
	v_bfe_u32 v38, v12, 16, 7
	v_mov_b32_e32 v16, 0x7c01
	s_mov_b32 s18, exec_lo
	v_cmpx_ne_u32_e32 0x7f, v38
	s_cbranch_execz .LBB306_1451
; %bb.1448:                             ;   in Loop: Header=BB306_934 Depth=1
	v_and_b32_e32 v16, 7, v0
	v_lshrrev_b32_e32 v37, 3, v38
	s_mov_b32 s20, exec_lo
	v_cmpx_gt_u32_e32 8, v38
; %bb.1449:                             ;   in Loop: Header=BB306_934 Depth=1
	v_ffbh_u32_e32 v16, v16
	v_min_u32_e32 v16, 32, v16
	v_subrev_nc_u32_e32 v37, 28, v16
	v_lshlrev_b64 v[48:49], v37, v[0:1]
	v_sub_nc_u32_e32 v37, 29, v16
	v_and_b32_e32 v16, 7, v48
; %bb.1450:                             ;   in Loop: Header=BB306_934 Depth=1
	s_or_b32 exec_lo, exec_lo, s20
	v_lshlrev_b32_e32 v0, 8, v0
	v_lshl_add_u32 v37, v37, 10, 0x2000
	v_lshlrev_b32_e32 v16, 7, v16
	v_and_b32_e32 v0, 0x8000, v0
	v_and_b32_e32 v37, 0xfc00, v37
	v_or3_b32 v16, v0, v37, v16
.LBB306_1451:                           ;   in Loop: Header=BB306_934 Depth=1
	s_or_b32 exec_lo, exec_lo, s18
.LBB306_1452:                           ;   in Loop: Header=BB306_934 Depth=1
	s_or_b32 exec_lo, exec_lo, s17
.LBB306_1453:                           ;   in Loop: Header=BB306_934 Depth=1
	s_or_b32 exec_lo, exec_lo, s16
	v_cmp_lt_u64_e64 s4, s[12:13], v[11:12]
	v_mov_b32_e32 v11, 0
	s_and_saveexec_b32 s16, s4
	s_cbranch_execz .LBB306_1461
; %bb.1454:                             ;   in Loop: Header=BB306_934 Depth=1
	v_lshrrev_b32_e32 v0, 24, v12
	v_bfrev_b32_e32 v11, 1
	s_mov_b32 s17, exec_lo
	v_cmpx_ne_u32_e32 0x80, v0
	s_cbranch_execz .LBB306_1460
; %bb.1455:                             ;   in Loop: Header=BB306_934 Depth=1
	v_and_b32_e32 v37, 0x7f, v0
	v_mov_b32_e32 v11, 0x7c010000
	s_mov_b32 s18, exec_lo
	v_cmpx_ne_u32_e32 0x7f, v37
	s_cbranch_execz .LBB306_1459
; %bb.1456:                             ;   in Loop: Header=BB306_934 Depth=1
	v_and_b32_e32 v11, 7, v0
	v_lshrrev_b32_e32 v12, 3, v37
	s_mov_b32 s20, exec_lo
	v_cmpx_gt_u32_e32 8, v37
; %bb.1457:                             ;   in Loop: Header=BB306_934 Depth=1
	v_ffbh_u32_e32 v11, v11
	v_min_u32_e32 v37, 32, v11
	v_subrev_nc_u32_e32 v11, 28, v37
	v_lshlrev_b64 v[11:12], v11, v[0:1]
	v_sub_nc_u32_e32 v12, 29, v37
	v_and_b32_e32 v11, 7, v11
; %bb.1458:                             ;   in Loop: Header=BB306_934 Depth=1
	s_or_b32 exec_lo, exec_lo, s20
	v_lshlrev_b32_e32 v0, 8, v0
	v_lshl_add_u32 v12, v12, 10, 0x2000
	v_lshlrev_b32_e32 v11, 23, v11
	v_and_or_b32 v0, 0x8000, v0, v12
	v_lshl_or_b32 v11, v0, 16, v11
.LBB306_1459:                           ;   in Loop: Header=BB306_934 Depth=1
	s_or_b32 exec_lo, exec_lo, s18
.LBB306_1460:                           ;   in Loop: Header=BB306_934 Depth=1
	s_or_b32 exec_lo, exec_lo, s17
.LBB306_1461:                           ;   in Loop: Header=BB306_934 Depth=1
	s_or_b32 exec_lo, exec_lo, s16
	v_or_b32_e32 v0, v22, v35
	s_waitcnt vmcnt(0) lgkmcnt(0)
	v_fma_mixlo_f16 v12, v4, v22, 0 op_sel:[0,1,0] op_sel_hi:[0,1,0]
	v_or_b32_e32 v6, v5, v6
	v_fma_mixlo_f16 v5, v4, v5, 0 op_sel:[0,1,0] op_sel_hi:[0,1,0]
	v_or_b32_e32 v22, v27, v26
	v_fma_mixlo_f16 v26, v4, v0, 0 op_sel_hi:[0,1,0]
	v_or_b32_e32 v16, v11, v16
	v_lshlrev_b32_e32 v0, 16, v12
	v_lshlrev_b32_e32 v12, 16, v5
	v_fma_mixlo_f16 v6, v4, v6, 0 op_sel_hi:[0,1,0]
	v_and_b32_e32 v5, 0xffff, v26
	v_fma_mixlo_f16 v26, v4, v27, 0 op_sel:[0,1,0] op_sel_hi:[0,1,0]
	v_fma_mixlo_f16 v22, v4, v22, 0 op_sel_hi:[0,1,0]
	v_fma_mixlo_f16 v11, v4, v11, 0 op_sel:[0,1,0] op_sel_hi:[0,1,0]
	v_fma_mixlo_f16 v16, v4, v16, 0 op_sel_hi:[0,1,0]
	v_and_b32_e32 v37, 0xffff, v6
	v_lshlrev_b32_e32 v6, 16, v26
	v_and_b32_e32 v22, 0xffff, v22
	v_lshlrev_b32_e32 v4, 16, v11
	v_and_b32_e32 v11, 0xffff, v16
	v_or_b32_e32 v16, v0, v5
	v_or_b32_e32 v35, v12, v37
	;; [unrolled: 1-line block ×4, first 2 shown]
	s_and_saveexec_b32 s16, vcc_lo
	s_cbranch_execz .LBB306_1463
; %bb.1462:                             ;   in Loop: Header=BB306_934 Depth=1
	v_cmp_lt_i32_e64 s4, v18, v36
	v_cndmask_b32_e64 v16, 0, v37, s4
	v_cmp_lt_i32_e64 s4, v98, v36
	v_cndmask_b32_e64 v12, 0, v12, s4
	v_cmp_lt_i32_e64 s4, v97, v36
	v_or_b32_e32 v35, v16, v12
	v_cndmask_b32_e64 v5, 0, v5, s4
	v_cmp_lt_i32_e64 s4, v96, v36
	v_cndmask_b32_e64 v0, 0, v0, s4
	v_cmp_lt_i32_e64 s4, v87, v36
	v_or_b32_e32 v16, v5, v0
	;; [unrolled: 5-line block ×3, first 2 shown]
	v_cndmask_b32_e64 v11, 0, v11, s4
	v_cmp_lt_i32_e64 s4, v84, v36
	v_cndmask_b32_e64 v4, 0, v4, s4
	v_or_b32_e32 v26, v11, v4
.LBB306_1463:                           ;   in Loop: Header=BB306_934 Depth=1
	s_or_b32 exec_lo, exec_lo, s16
	v_add_co_u32 v9, s4, 0x800, v9
	v_add_co_ci_u32_e64 v10, null, 0, v10, s4
	;;#ASMSTART
	v_pk_mul_f16 v0, v83, v35;

	;;#ASMEND
	;;#ASMSTART
	v_pk_mul_f16 v4, v82, v16;

	;;#ASMEND
	;; [unrolled: 4-line block ×4, first 2 shown]
	;;#ASMSTART
	v_pk_add_f16 v0, v0, v4;

	;;#ASMEND
	;;#ASMSTART
	v_pk_add_f16 v0, v0, v5;

	;;#ASMEND
	;; [unrolled: 4-line block ×3, first 2 shown]
	v_lshrrev_b32_e32 v5, 16, v0
	v_and_b32_e32 v0, 0xffff, v0
	;;#ASMSTART
	v_cvt_f32_f16 v4, v0;
	;;#ASMEND
	;;#ASMSTART
	v_cvt_f32_f16 v5, v5;
	;;#ASMEND
	flat_load_dwordx2 v[11:12], v[9:10]
	s_clause 0x1
	buffer_load_dword v26, off, s[0:3], s32 offset:200
	buffer_load_dword v27, off, s[0:3], s32 offset:204
	v_mov_b32_e32 v22, 0
	v_mov_b32_e32 v35, 0
	s_waitcnt vmcnt(2) lgkmcnt(0)
	v_cmp_ne_u16_sdwa s4, v11, v1 src0_sel:BYTE_0 src1_sel:DWORD
	s_waitcnt vmcnt(0)
	flat_load_dword v6, v[26:27]
	s_and_saveexec_b32 s16, s4
	s_cbranch_execz .LBB306_1471
; %bb.1464:                             ;   in Loop: Header=BB306_934 Depth=1
	v_cmp_ne_u16_sdwa s4, v11, v17 src0_sel:BYTE_0 src1_sel:DWORD
	v_mov_b32_e32 v35, 0x8000
	s_and_saveexec_b32 s17, s4
	s_cbranch_execz .LBB306_1470
; %bb.1465:                             ;   in Loop: Header=BB306_934 Depth=1
	v_and_b32_e32 v26, 0x7f, v11
	v_mov_b32_e32 v35, 0x7c01
	s_mov_b32 s18, exec_lo
	v_cmpx_ne_u32_e32 0x7f, v26
	s_cbranch_execz .LBB306_1469
; %bb.1466:                             ;   in Loop: Header=BB306_934 Depth=1
	v_and_b32_e32 v0, 7, v11
	v_lshrrev_b32_e32 v16, 3, v26
	s_mov_b32 s20, exec_lo
	v_cmpx_gt_u32_e32 8, v26
; %bb.1467:                             ;   in Loop: Header=BB306_934 Depth=1
	v_ffbh_u32_e32 v0, v0
	v_min_u32_e32 v0, 32, v0
	v_subrev_nc_u32_e32 v16, 28, v0
	v_lshlrev_b64 v[26:27], v16, v[11:12]
	v_sub_nc_u32_e32 v16, 29, v0
	v_and_b32_e32 v0, 7, v26
; %bb.1468:                             ;   in Loop: Header=BB306_934 Depth=1
	s_or_b32 exec_lo, exec_lo, s20
	v_lshlrev_b32_e32 v26, 8, v11
	v_lshl_add_u32 v16, v16, 10, 0x2000
	v_lshlrev_b32_e32 v0, 7, v0
	v_and_b32_e32 v26, 0x8000, v26
	v_and_b32_e32 v16, 0xfc00, v16
	v_or3_b32 v35, v26, v16, v0
.LBB306_1469:                           ;   in Loop: Header=BB306_934 Depth=1
	s_or_b32 exec_lo, exec_lo, s18
.LBB306_1470:                           ;   in Loop: Header=BB306_934 Depth=1
	s_or_b32 exec_lo, exec_lo, s17
.LBB306_1471:                           ;   in Loop: Header=BB306_934 Depth=1
	s_or_b32 exec_lo, exec_lo, s16
	v_lshrrev_b16 v0, 8, v11
	s_mov_b32 s16, exec_lo
	v_cmpx_ne_u16_e32 0, v0
	s_cbranch_execz .LBB306_1479
; %bb.1472:                             ;   in Loop: Header=BB306_934 Depth=1
	v_bfrev_b32_e32 v22, 1
	s_mov_b32 s17, exec_lo
	v_cmpx_ne_u16_e32 0x80, v0
	s_cbranch_execz .LBB306_1478
; %bb.1473:                             ;   in Loop: Header=BB306_934 Depth=1
	v_and_b32_sdwa v26, v0, v53 dst_sel:DWORD dst_unused:UNUSED_PAD src0_sel:WORD_0 src1_sel:DWORD
	v_mov_b32_e32 v22, 0x7c010000
	s_mov_b32 s18, exec_lo
	v_cmpx_ne_u32_e32 0x7f, v26
	s_cbranch_execz .LBB306_1477
; %bb.1474:                             ;   in Loop: Header=BB306_934 Depth=1
	v_and_b32_sdwa v16, v0, v54 dst_sel:DWORD dst_unused:UNUSED_PAD src0_sel:WORD_0 src1_sel:DWORD
	v_lshrrev_b32_e32 v22, 3, v26
	s_mov_b32 s20, exec_lo
	v_cmpx_gt_u32_e32 8, v26
; %bb.1475:                             ;   in Loop: Header=BB306_934 Depth=1
	v_ffbh_u32_e32 v16, v16
	v_min_u32_e32 v16, 32, v16
	v_subrev_nc_u32_e32 v22, 28, v16
	v_lshlrev_b64 v[26:27], v22, v[0:1]
	v_sub_nc_u32_e32 v22, 29, v16
	v_and_b32_e32 v16, 7, v26
; %bb.1476:                             ;   in Loop: Header=BB306_934 Depth=1
	s_or_b32 exec_lo, exec_lo, s20
	v_lshlrev_b32_sdwa v0, v69, v0 dst_sel:DWORD dst_unused:UNUSED_PAD src0_sel:DWORD src1_sel:WORD_0
	v_lshl_add_u32 v22, v22, 10, 0x2000
	v_lshlrev_b32_e32 v16, 23, v16
	v_and_or_b32 v0, 0x8000, v0, v22
	v_lshl_or_b32 v22, v0, 16, v16
.LBB306_1477:                           ;   in Loop: Header=BB306_934 Depth=1
	s_or_b32 exec_lo, exec_lo, s18
.LBB306_1478:                           ;   in Loop: Header=BB306_934 Depth=1
	s_or_b32 exec_lo, exec_lo, s17
.LBB306_1479:                           ;   in Loop: Header=BB306_934 Depth=1
	s_or_b32 exec_lo, exec_lo, s16
	v_lshrrev_b32_e32 v0, 16, v11
	v_mov_b32_e32 v37, 0
	v_mov_b32_e32 v38, 0
	v_cmp_ne_u16_sdwa s4, v0, v1 src0_sel:BYTE_0 src1_sel:DWORD
	s_and_saveexec_b32 s16, s4
	s_cbranch_execz .LBB306_1487
; %bb.1480:                             ;   in Loop: Header=BB306_934 Depth=1
	v_cmp_ne_u16_sdwa s4, v0, v17 src0_sel:BYTE_0 src1_sel:DWORD
	v_mov_b32_e32 v38, 0x8000
	s_and_saveexec_b32 s17, s4
	s_cbranch_execz .LBB306_1486
; %bb.1481:                             ;   in Loop: Header=BB306_934 Depth=1
	v_bfe_u32 v27, v11, 16, 7
	v_mov_b32_e32 v38, 0x7c01
	s_mov_b32 s18, exec_lo
	v_cmpx_ne_u32_e32 0x7f, v27
	s_cbranch_execz .LBB306_1485
; %bb.1482:                             ;   in Loop: Header=BB306_934 Depth=1
	v_and_b32_e32 v16, 7, v0
	v_lshrrev_b32_e32 v26, 3, v27
	s_mov_b32 s20, exec_lo
	v_cmpx_gt_u32_e32 8, v27
; %bb.1483:                             ;   in Loop: Header=BB306_934 Depth=1
	v_ffbh_u32_e32 v16, v16
	v_min_u32_e32 v16, 32, v16
	v_subrev_nc_u32_e32 v26, 28, v16
	v_lshlrev_b64 v[48:49], v26, v[0:1]
	v_sub_nc_u32_e32 v26, 29, v16
	v_and_b32_e32 v16, 7, v48
; %bb.1484:                             ;   in Loop: Header=BB306_934 Depth=1
	s_or_b32 exec_lo, exec_lo, s20
	v_lshlrev_b32_e32 v0, 8, v0
	v_lshl_add_u32 v26, v26, 10, 0x2000
	v_lshlrev_b32_e32 v16, 7, v16
	v_and_b32_e32 v0, 0x8000, v0
	v_and_b32_e32 v26, 0xfc00, v26
	v_or3_b32 v38, v0, v26, v16
.LBB306_1485:                           ;   in Loop: Header=BB306_934 Depth=1
	s_or_b32 exec_lo, exec_lo, s18
.LBB306_1486:                           ;   in Loop: Header=BB306_934 Depth=1
	s_or_b32 exec_lo, exec_lo, s17
.LBB306_1487:                           ;   in Loop: Header=BB306_934 Depth=1
	s_or_b32 exec_lo, exec_lo, s16
	s_mov_b32 s16, exec_lo
	v_cmpx_lt_u32_e32 0xffffff, v11
	s_cbranch_execz .LBB306_1495
; %bb.1488:                             ;   in Loop: Header=BB306_934 Depth=1
	v_lshrrev_b32_e32 v0, 24, v11
	v_bfrev_b32_e32 v37, 1
	s_mov_b32 s17, exec_lo
	v_cmpx_ne_u32_e32 0x80, v0
	s_cbranch_execz .LBB306_1494
; %bb.1489:                             ;   in Loop: Header=BB306_934 Depth=1
	v_and_b32_e32 v27, 0x7f, v0
	v_mov_b32_e32 v37, 0x7c010000
	s_mov_b32 s18, exec_lo
	v_cmpx_ne_u32_e32 0x7f, v27
	s_cbranch_execz .LBB306_1493
; %bb.1490:                             ;   in Loop: Header=BB306_934 Depth=1
	v_and_b32_e32 v16, 7, v0
	v_lshrrev_b32_e32 v26, 3, v27
	s_mov_b32 s20, exec_lo
	v_cmpx_gt_u32_e32 8, v27
; %bb.1491:                             ;   in Loop: Header=BB306_934 Depth=1
	v_ffbh_u32_e32 v16, v16
	v_min_u32_e32 v16, 32, v16
	v_subrev_nc_u32_e32 v26, 28, v16
	v_lshlrev_b64 v[48:49], v26, v[0:1]
	v_sub_nc_u32_e32 v26, 29, v16
	v_and_b32_e32 v16, 7, v48
; %bb.1492:                             ;   in Loop: Header=BB306_934 Depth=1
	s_or_b32 exec_lo, exec_lo, s20
	v_lshlrev_b32_e32 v0, 8, v0
	v_lshl_add_u32 v26, v26, 10, 0x2000
	v_lshlrev_b32_e32 v16, 23, v16
	v_and_or_b32 v0, 0x8000, v0, v26
	v_lshl_or_b32 v37, v0, 16, v16
.LBB306_1493:                           ;   in Loop: Header=BB306_934 Depth=1
	s_or_b32 exec_lo, exec_lo, s18
.LBB306_1494:                           ;   in Loop: Header=BB306_934 Depth=1
	s_or_b32 exec_lo, exec_lo, s17
.LBB306_1495:                           ;   in Loop: Header=BB306_934 Depth=1
	s_or_b32 exec_lo, exec_lo, s16
	v_mov_b32_e32 v0, v12
	v_cmp_ne_u16_sdwa s4, v12, v1 src0_sel:BYTE_0 src1_sel:DWORD
	v_mov_b32_e32 v16, 0
	v_mov_b32_e32 v26, 0
	s_and_saveexec_b32 s16, s4
	s_cbranch_execz .LBB306_1503
; %bb.1496:                             ;   in Loop: Header=BB306_934 Depth=1
	v_cmp_ne_u16_sdwa s4, v12, v17 src0_sel:BYTE_0 src1_sel:DWORD
	v_mov_b32_e32 v26, 0x8000
	s_and_saveexec_b32 s17, s4
	s_cbranch_execz .LBB306_1502
; %bb.1497:                             ;   in Loop: Header=BB306_934 Depth=1
	v_and_b32_e32 v48, 0x7f, v12
	v_mov_b32_e32 v26, 0x7c01
	s_mov_b32 s18, exec_lo
	v_cmpx_ne_u32_e32 0x7f, v48
	s_cbranch_execz .LBB306_1501
; %bb.1498:                             ;   in Loop: Header=BB306_934 Depth=1
	v_and_b32_e32 v26, 7, v12
	v_lshrrev_b32_e32 v27, 3, v48
	s_mov_b32 s20, exec_lo
	v_cmpx_gt_u32_e32 8, v48
; %bb.1499:                             ;   in Loop: Header=BB306_934 Depth=1
	v_ffbh_u32_e32 v26, v26
	v_min_u32_e32 v39, 32, v26
	v_subrev_nc_u32_e32 v26, 28, v39
	v_lshlrev_b64 v[26:27], v26, v[0:1]
	v_sub_nc_u32_e32 v27, 29, v39
	v_and_b32_e32 v26, 7, v26
; %bb.1500:                             ;   in Loop: Header=BB306_934 Depth=1
	s_or_b32 exec_lo, exec_lo, s20
	v_lshlrev_b32_e32 v39, 8, v12
	v_lshl_add_u32 v27, v27, 10, 0x2000
	v_lshlrev_b32_e32 v26, 7, v26
	v_and_b32_e32 v39, 0x8000, v39
	v_and_b32_e32 v27, 0xfc00, v27
	v_or3_b32 v26, v39, v27, v26
.LBB306_1501:                           ;   in Loop: Header=BB306_934 Depth=1
	s_or_b32 exec_lo, exec_lo, s18
.LBB306_1502:                           ;   in Loop: Header=BB306_934 Depth=1
	s_or_b32 exec_lo, exec_lo, s17
.LBB306_1503:                           ;   in Loop: Header=BB306_934 Depth=1
	s_or_b32 exec_lo, exec_lo, s16
	v_lshrrev_b16 v0, 8, v0
	v_mov_b32_e32 v27, 0
	s_mov_b32 s16, exec_lo
	v_cmpx_ne_u16_e32 0, v0
	s_cbranch_execz .LBB306_1511
; %bb.1504:                             ;   in Loop: Header=BB306_934 Depth=1
	v_bfrev_b32_e32 v27, 1
	s_mov_b32 s17, exec_lo
	v_cmpx_ne_u16_e32 0x80, v0
	s_cbranch_execz .LBB306_1510
; %bb.1505:                             ;   in Loop: Header=BB306_934 Depth=1
	v_and_b32_sdwa v49, v0, v53 dst_sel:DWORD dst_unused:UNUSED_PAD src0_sel:WORD_0 src1_sel:DWORD
	v_mov_b32_e32 v27, 0x7c010000
	s_mov_b32 s18, exec_lo
	v_cmpx_ne_u32_e32 0x7f, v49
	s_cbranch_execz .LBB306_1509
; %bb.1506:                             ;   in Loop: Header=BB306_934 Depth=1
	v_and_b32_sdwa v27, v0, v54 dst_sel:DWORD dst_unused:UNUSED_PAD src0_sel:WORD_0 src1_sel:DWORD
	v_lshrrev_b32_e32 v48, 3, v49
	s_mov_b32 s20, exec_lo
	v_cmpx_gt_u32_e32 8, v49
; %bb.1507:                             ;   in Loop: Header=BB306_934 Depth=1
	v_ffbh_u32_e32 v27, v27
	v_min_u32_e32 v27, 32, v27
	v_subrev_nc_u32_e32 v39, 28, v27
	v_sub_nc_u32_e32 v48, 29, v27
	v_lshlrev_b64 v[49:50], v39, v[0:1]
	v_and_b32_e32 v27, 7, v49
; %bb.1508:                             ;   in Loop: Header=BB306_934 Depth=1
	s_or_b32 exec_lo, exec_lo, s20
	v_lshlrev_b32_sdwa v0, v69, v0 dst_sel:DWORD dst_unused:UNUSED_PAD src0_sel:DWORD src1_sel:WORD_0
	v_lshl_add_u32 v39, v48, 10, 0x2000
	v_lshlrev_b32_e32 v27, 23, v27
	v_and_or_b32 v0, 0x8000, v0, v39
	v_lshl_or_b32 v27, v0, 16, v27
.LBB306_1509:                           ;   in Loop: Header=BB306_934 Depth=1
	s_or_b32 exec_lo, exec_lo, s18
.LBB306_1510:                           ;   in Loop: Header=BB306_934 Depth=1
	s_or_b32 exec_lo, exec_lo, s17
.LBB306_1511:                           ;   in Loop: Header=BB306_934 Depth=1
	s_or_b32 exec_lo, exec_lo, s16
	v_lshrrev_b32_e32 v0, 16, v12
	v_cmp_ne_u16_sdwa s4, v0, v1 src0_sel:BYTE_0 src1_sel:DWORD
	s_and_saveexec_b32 s16, s4
	s_cbranch_execz .LBB306_1519
; %bb.1512:                             ;   in Loop: Header=BB306_934 Depth=1
	v_cmp_ne_u16_sdwa s4, v0, v17 src0_sel:BYTE_0 src1_sel:DWORD
	v_mov_b32_e32 v16, 0x8000
	s_and_saveexec_b32 s17, s4
	s_cbranch_execz .LBB306_1518
; %bb.1513:                             ;   in Loop: Header=BB306_934 Depth=1
	v_bfe_u32 v49, v12, 16, 7
	v_mov_b32_e32 v16, 0x7c01
	s_mov_b32 s18, exec_lo
	v_cmpx_ne_u32_e32 0x7f, v49
	s_cbranch_execz .LBB306_1517
; %bb.1514:                             ;   in Loop: Header=BB306_934 Depth=1
	v_and_b32_e32 v16, 7, v0
	v_lshrrev_b32_e32 v48, 3, v49
	s_mov_b32 s20, exec_lo
	v_cmpx_gt_u32_e32 8, v49
; %bb.1515:                             ;   in Loop: Header=BB306_934 Depth=1
	v_ffbh_u32_e32 v16, v16
	v_min_u32_e32 v16, 32, v16
	v_subrev_nc_u32_e32 v39, 28, v16
	v_sub_nc_u32_e32 v48, 29, v16
	v_lshlrev_b64 v[49:50], v39, v[0:1]
	v_and_b32_e32 v16, 7, v49
; %bb.1516:                             ;   in Loop: Header=BB306_934 Depth=1
	s_or_b32 exec_lo, exec_lo, s20
	v_lshlrev_b32_e32 v0, 8, v0
	v_lshl_add_u32 v39, v48, 10, 0x2000
	v_lshlrev_b32_e32 v16, 7, v16
	v_and_b32_e32 v0, 0x8000, v0
	v_and_b32_e32 v39, 0xfc00, v39
	v_or3_b32 v16, v0, v39, v16
.LBB306_1517:                           ;   in Loop: Header=BB306_934 Depth=1
	s_or_b32 exec_lo, exec_lo, s18
.LBB306_1518:                           ;   in Loop: Header=BB306_934 Depth=1
	s_or_b32 exec_lo, exec_lo, s17
.LBB306_1519:                           ;   in Loop: Header=BB306_934 Depth=1
	s_or_b32 exec_lo, exec_lo, s16
	v_cmp_lt_u64_e64 s4, s[12:13], v[11:12]
	v_mov_b32_e32 v11, 0
	s_and_saveexec_b32 s16, s4
	s_cbranch_execz .LBB306_1527
; %bb.1520:                             ;   in Loop: Header=BB306_934 Depth=1
	v_lshrrev_b32_e32 v0, 24, v12
	v_bfrev_b32_e32 v11, 1
	s_mov_b32 s17, exec_lo
	v_cmpx_ne_u32_e32 0x80, v0
	s_cbranch_execz .LBB306_1526
; %bb.1521:                             ;   in Loop: Header=BB306_934 Depth=1
	v_and_b32_e32 v48, 0x7f, v0
	v_mov_b32_e32 v11, 0x7c010000
	s_mov_b32 s18, exec_lo
	v_cmpx_ne_u32_e32 0x7f, v48
	s_cbranch_execz .LBB306_1525
; %bb.1522:                             ;   in Loop: Header=BB306_934 Depth=1
	v_and_b32_e32 v11, 7, v0
	v_lshrrev_b32_e32 v12, 3, v48
	s_mov_b32 s20, exec_lo
	v_cmpx_gt_u32_e32 8, v48
; %bb.1523:                             ;   in Loop: Header=BB306_934 Depth=1
	v_ffbh_u32_e32 v11, v11
	v_min_u32_e32 v39, 32, v11
	v_subrev_nc_u32_e32 v11, 28, v39
	v_lshlrev_b64 v[11:12], v11, v[0:1]
	v_sub_nc_u32_e32 v12, 29, v39
	v_and_b32_e32 v11, 7, v11
; %bb.1524:                             ;   in Loop: Header=BB306_934 Depth=1
	s_or_b32 exec_lo, exec_lo, s20
	v_lshlrev_b32_e32 v0, 8, v0
	v_lshl_add_u32 v12, v12, 10, 0x2000
	v_lshlrev_b32_e32 v11, 23, v11
	v_and_or_b32 v0, 0x8000, v0, v12
	v_lshl_or_b32 v11, v0, 16, v11
.LBB306_1525:                           ;   in Loop: Header=BB306_934 Depth=1
	s_or_b32 exec_lo, exec_lo, s18
.LBB306_1526:                           ;   in Loop: Header=BB306_934 Depth=1
	s_or_b32 exec_lo, exec_lo, s17
.LBB306_1527:                           ;   in Loop: Header=BB306_934 Depth=1
	s_or_b32 exec_lo, exec_lo, s16
	v_or_b32_e32 v0, v37, v38
	s_waitcnt vmcnt(0) lgkmcnt(0)
	v_fma_mixlo_f16 v12, v6, v37, 0 op_sel:[0,1,0] op_sel_hi:[0,1,0]
	v_or_b32_e32 v35, v22, v35
	v_or_b32_e32 v26, v27, v26
	;; [unrolled: 1-line block ×3, first 2 shown]
	v_fma_mixlo_f16 v37, v6, v0, 0 op_sel_hi:[0,1,0]
	v_fma_mixlo_f16 v22, v6, v22, 0 op_sel:[0,1,0] op_sel_hi:[0,1,0]
	v_lshlrev_b32_e32 v0, 16, v12
	v_fma_mixlo_f16 v35, v6, v35, 0 op_sel_hi:[0,1,0]
	v_fma_mixlo_f16 v27, v6, v27, 0 op_sel:[0,1,0] op_sel_hi:[0,1,0]
	v_and_b32_e32 v12, 0xffff, v37
	v_fma_mixlo_f16 v26, v6, v26, 0 op_sel_hi:[0,1,0]
	v_fma_mixlo_f16 v37, v6, v11, 0 op_sel:[0,1,0] op_sel_hi:[0,1,0]
	v_fma_mixlo_f16 v16, v6, v16, 0 op_sel_hi:[0,1,0]
	v_lshlrev_b32_e32 v22, 16, v22
	v_and_b32_e32 v48, 0xffff, v35
	v_lshlrev_b32_e32 v11, 16, v27
	v_and_b32_e32 v27, 0xffff, v26
	;; [unrolled: 2-line block ×3, first 2 shown]
	v_or_b32_e32 v26, v0, v12
	v_or_b32_e32 v38, v22, v48
	v_or_b32_e32 v37, v11, v27
	v_or_b32_e32 v35, v6, v16
	s_and_saveexec_b32 s16, vcc_lo
	s_cbranch_execz .LBB306_1529
; %bb.1528:                             ;   in Loop: Header=BB306_934 Depth=1
	v_cmp_lt_i32_e64 s4, v18, v36
	v_cndmask_b32_e64 v26, 0, v48, s4
	v_cmp_lt_i32_e64 s4, v98, v36
	v_cndmask_b32_e64 v22, 0, v22, s4
	v_cmp_lt_i32_e64 s4, v97, v36
	v_or_b32_e32 v38, v26, v22
	v_cndmask_b32_e64 v12, 0, v12, s4
	v_cmp_lt_i32_e64 s4, v96, v36
	v_cndmask_b32_e64 v0, 0, v0, s4
	v_cmp_lt_i32_e64 s4, v87, v36
	v_or_b32_e32 v26, v12, v0
	;; [unrolled: 5-line block ×3, first 2 shown]
	v_cndmask_b32_e64 v16, 0, v16, s4
	v_cmp_lt_i32_e64 s4, v84, v36
	v_cndmask_b32_e64 v6, 0, v6, s4
	v_or_b32_e32 v35, v16, v6
.LBB306_1529:                           ;   in Loop: Header=BB306_934 Depth=1
	s_or_b32 exec_lo, exec_lo, s16
	;;#ASMSTART
	v_pk_mul_f16 v0, v83, v38;

	;;#ASMEND
	;;#ASMSTART
	v_pk_mul_f16 v6, v82, v26;

	;;#ASMEND
	;; [unrolled: 4-line block ×4, first 2 shown]
	;;#ASMSTART
	v_pk_add_f16 v0, v0, v6;

	;;#ASMEND
	;;#ASMSTART
	v_pk_add_f16 v0, v0, v11;

	;;#ASMEND
	;; [unrolled: 4-line block ×3, first 2 shown]
	v_and_b32_e32 v6, 0xffff, v0
	v_lshrrev_b32_e32 v0, 16, v0
	;;#ASMSTART
	v_cvt_f32_f16 v22, v6;
	;;#ASMEND
	;;#ASMSTART
	v_cvt_f32_f16 v35, v0;
	;;#ASMEND
	flat_load_dwordx2 v[11:12], v[9:10] offset:256
	s_clause 0x1
	buffer_load_dword v26, off, s[0:3], s32 offset:200
	buffer_load_dword v27, off, s[0:3], s32 offset:204
	v_mov_b32_e32 v37, 0
	v_mov_b32_e32 v38, 0
	s_waitcnt vmcnt(2) lgkmcnt(0)
	v_cmp_ne_u16_sdwa s4, v11, v1 src0_sel:BYTE_0 src1_sel:DWORD
	s_waitcnt vmcnt(0)
	flat_load_dword v6, v[26:27]
	s_and_saveexec_b32 s16, s4
	s_cbranch_execz .LBB306_1537
; %bb.1530:                             ;   in Loop: Header=BB306_934 Depth=1
	v_cmp_ne_u16_sdwa s4, v11, v17 src0_sel:BYTE_0 src1_sel:DWORD
	v_mov_b32_e32 v38, 0x8000
	s_and_saveexec_b32 s17, s4
	s_cbranch_execz .LBB306_1536
; %bb.1531:                             ;   in Loop: Header=BB306_934 Depth=1
	v_and_b32_e32 v26, 0x7f, v11
	v_mov_b32_e32 v38, 0x7c01
	s_mov_b32 s18, exec_lo
	v_cmpx_ne_u32_e32 0x7f, v26
	s_cbranch_execz .LBB306_1535
; %bb.1532:                             ;   in Loop: Header=BB306_934 Depth=1
	v_and_b32_e32 v0, 7, v11
	v_lshrrev_b32_e32 v16, 3, v26
	s_mov_b32 s20, exec_lo
	v_cmpx_gt_u32_e32 8, v26
; %bb.1533:                             ;   in Loop: Header=BB306_934 Depth=1
	v_ffbh_u32_e32 v0, v0
	v_min_u32_e32 v0, 32, v0
	v_subrev_nc_u32_e32 v16, 28, v0
	v_lshlrev_b64 v[26:27], v16, v[11:12]
	v_sub_nc_u32_e32 v16, 29, v0
	v_and_b32_e32 v0, 7, v26
; %bb.1534:                             ;   in Loop: Header=BB306_934 Depth=1
	s_or_b32 exec_lo, exec_lo, s20
	v_lshlrev_b32_e32 v26, 8, v11
	v_lshl_add_u32 v16, v16, 10, 0x2000
	v_lshlrev_b32_e32 v0, 7, v0
	v_and_b32_e32 v26, 0x8000, v26
	v_and_b32_e32 v16, 0xfc00, v16
	v_or3_b32 v38, v26, v16, v0
.LBB306_1535:                           ;   in Loop: Header=BB306_934 Depth=1
	s_or_b32 exec_lo, exec_lo, s18
.LBB306_1536:                           ;   in Loop: Header=BB306_934 Depth=1
	s_or_b32 exec_lo, exec_lo, s17
.LBB306_1537:                           ;   in Loop: Header=BB306_934 Depth=1
	s_or_b32 exec_lo, exec_lo, s16
	v_lshrrev_b16 v0, 8, v11
	s_mov_b32 s16, exec_lo
	v_cmpx_ne_u16_e32 0, v0
	s_cbranch_execz .LBB306_1545
; %bb.1538:                             ;   in Loop: Header=BB306_934 Depth=1
	v_bfrev_b32_e32 v37, 1
	s_mov_b32 s17, exec_lo
	v_cmpx_ne_u16_e32 0x80, v0
	s_cbranch_execz .LBB306_1544
; %bb.1539:                             ;   in Loop: Header=BB306_934 Depth=1
	v_and_b32_sdwa v27, v0, v53 dst_sel:DWORD dst_unused:UNUSED_PAD src0_sel:WORD_0 src1_sel:DWORD
	v_mov_b32_e32 v37, 0x7c010000
	s_mov_b32 s18, exec_lo
	v_cmpx_ne_u32_e32 0x7f, v27
	s_cbranch_execz .LBB306_1543
; %bb.1540:                             ;   in Loop: Header=BB306_934 Depth=1
	v_and_b32_sdwa v16, v0, v54 dst_sel:DWORD dst_unused:UNUSED_PAD src0_sel:WORD_0 src1_sel:DWORD
	v_lshrrev_b32_e32 v26, 3, v27
	s_mov_b32 s20, exec_lo
	v_cmpx_gt_u32_e32 8, v27
; %bb.1541:                             ;   in Loop: Header=BB306_934 Depth=1
	v_ffbh_u32_e32 v16, v16
	v_min_u32_e32 v16, 32, v16
	v_subrev_nc_u32_e32 v26, 28, v16
	v_lshlrev_b64 v[48:49], v26, v[0:1]
	v_sub_nc_u32_e32 v26, 29, v16
	v_and_b32_e32 v16, 7, v48
; %bb.1542:                             ;   in Loop: Header=BB306_934 Depth=1
	s_or_b32 exec_lo, exec_lo, s20
	v_lshlrev_b32_sdwa v0, v69, v0 dst_sel:DWORD dst_unused:UNUSED_PAD src0_sel:DWORD src1_sel:WORD_0
	v_lshl_add_u32 v26, v26, 10, 0x2000
	v_lshlrev_b32_e32 v16, 23, v16
	v_and_or_b32 v0, 0x8000, v0, v26
	v_lshl_or_b32 v37, v0, 16, v16
.LBB306_1543:                           ;   in Loop: Header=BB306_934 Depth=1
	s_or_b32 exec_lo, exec_lo, s18
.LBB306_1544:                           ;   in Loop: Header=BB306_934 Depth=1
	s_or_b32 exec_lo, exec_lo, s17
.LBB306_1545:                           ;   in Loop: Header=BB306_934 Depth=1
	s_or_b32 exec_lo, exec_lo, s16
	v_lshrrev_b32_e32 v0, 16, v11
	v_mov_b32_e32 v48, 0
	v_mov_b32_e32 v49, 0
	v_cmp_ne_u16_sdwa s4, v0, v1 src0_sel:BYTE_0 src1_sel:DWORD
	s_and_saveexec_b32 s16, s4
	s_cbranch_execz .LBB306_1553
; %bb.1546:                             ;   in Loop: Header=BB306_934 Depth=1
	v_cmp_ne_u16_sdwa s4, v0, v17 src0_sel:BYTE_0 src1_sel:DWORD
	v_mov_b32_e32 v49, 0x8000
	s_and_saveexec_b32 s17, s4
	s_cbranch_execz .LBB306_1552
; %bb.1547:                             ;   in Loop: Header=BB306_934 Depth=1
	v_bfe_u32 v27, v11, 16, 7
	v_mov_b32_e32 v49, 0x7c01
	s_mov_b32 s18, exec_lo
	v_cmpx_ne_u32_e32 0x7f, v27
	s_cbranch_execz .LBB306_1551
; %bb.1548:                             ;   in Loop: Header=BB306_934 Depth=1
	v_and_b32_e32 v16, 7, v0
	v_lshrrev_b32_e32 v26, 3, v27
	s_mov_b32 s20, exec_lo
	v_cmpx_gt_u32_e32 8, v27
; %bb.1549:                             ;   in Loop: Header=BB306_934 Depth=1
	v_ffbh_u32_e32 v16, v16
	v_min_u32_e32 v16, 32, v16
	v_subrev_nc_u32_e32 v26, 28, v16
	v_lshlrev_b64 v[49:50], v26, v[0:1]
	v_sub_nc_u32_e32 v26, 29, v16
	v_and_b32_e32 v16, 7, v49
; %bb.1550:                             ;   in Loop: Header=BB306_934 Depth=1
	s_or_b32 exec_lo, exec_lo, s20
	v_lshlrev_b32_e32 v0, 8, v0
	v_lshl_add_u32 v26, v26, 10, 0x2000
	v_lshlrev_b32_e32 v16, 7, v16
	v_and_b32_e32 v0, 0x8000, v0
	v_and_b32_e32 v26, 0xfc00, v26
	v_or3_b32 v49, v0, v26, v16
.LBB306_1551:                           ;   in Loop: Header=BB306_934 Depth=1
	s_or_b32 exec_lo, exec_lo, s18
.LBB306_1552:                           ;   in Loop: Header=BB306_934 Depth=1
	s_or_b32 exec_lo, exec_lo, s17
.LBB306_1553:                           ;   in Loop: Header=BB306_934 Depth=1
	s_or_b32 exec_lo, exec_lo, s16
	s_mov_b32 s16, exec_lo
	v_cmpx_lt_u32_e32 0xffffff, v11
	s_cbranch_execz .LBB306_1561
; %bb.1554:                             ;   in Loop: Header=BB306_934 Depth=1
	v_lshrrev_b32_e32 v0, 24, v11
	v_bfrev_b32_e32 v48, 1
	s_mov_b32 s17, exec_lo
	v_cmpx_ne_u32_e32 0x80, v0
	s_cbranch_execz .LBB306_1560
; %bb.1555:                             ;   in Loop: Header=BB306_934 Depth=1
	v_and_b32_e32 v27, 0x7f, v0
	v_mov_b32_e32 v48, 0x7c010000
	s_mov_b32 s18, exec_lo
	v_cmpx_ne_u32_e32 0x7f, v27
	s_cbranch_execz .LBB306_1559
; %bb.1556:                             ;   in Loop: Header=BB306_934 Depth=1
	v_and_b32_e32 v16, 7, v0
	v_lshrrev_b32_e32 v26, 3, v27
	s_mov_b32 s20, exec_lo
	v_cmpx_gt_u32_e32 8, v27
; %bb.1557:                             ;   in Loop: Header=BB306_934 Depth=1
	v_ffbh_u32_e32 v16, v16
	v_min_u32_e32 v16, 32, v16
	v_subrev_nc_u32_e32 v26, 28, v16
	v_lshlrev_b64 v[50:51], v26, v[0:1]
	v_sub_nc_u32_e32 v26, 29, v16
	v_and_b32_e32 v16, 7, v50
; %bb.1558:                             ;   in Loop: Header=BB306_934 Depth=1
	s_or_b32 exec_lo, exec_lo, s20
	v_lshlrev_b32_e32 v0, 8, v0
	v_lshl_add_u32 v26, v26, 10, 0x2000
	v_lshlrev_b32_e32 v16, 23, v16
	v_and_or_b32 v0, 0x8000, v0, v26
	v_lshl_or_b32 v48, v0, 16, v16
.LBB306_1559:                           ;   in Loop: Header=BB306_934 Depth=1
	s_or_b32 exec_lo, exec_lo, s18
.LBB306_1560:                           ;   in Loop: Header=BB306_934 Depth=1
	s_or_b32 exec_lo, exec_lo, s17
.LBB306_1561:                           ;   in Loop: Header=BB306_934 Depth=1
	s_or_b32 exec_lo, exec_lo, s16
	v_mov_b32_e32 v0, v12
	v_cmp_ne_u16_sdwa s4, v12, v1 src0_sel:BYTE_0 src1_sel:DWORD
	v_mov_b32_e32 v16, 0
	v_mov_b32_e32 v26, 0
	s_and_saveexec_b32 s16, s4
	s_cbranch_execz .LBB306_1569
; %bb.1562:                             ;   in Loop: Header=BB306_934 Depth=1
	v_cmp_ne_u16_sdwa s4, v12, v17 src0_sel:BYTE_0 src1_sel:DWORD
	v_mov_b32_e32 v26, 0x8000
	s_and_saveexec_b32 s17, s4
	s_cbranch_execz .LBB306_1568
; %bb.1563:                             ;   in Loop: Header=BB306_934 Depth=1
	v_and_b32_e32 v50, 0x7f, v12
	v_mov_b32_e32 v26, 0x7c01
	s_mov_b32 s18, exec_lo
	v_cmpx_ne_u32_e32 0x7f, v50
	s_cbranch_execz .LBB306_1567
; %bb.1564:                             ;   in Loop: Header=BB306_934 Depth=1
	v_and_b32_e32 v26, 7, v12
	v_lshrrev_b32_e32 v27, 3, v50
	s_mov_b32 s20, exec_lo
	v_cmpx_gt_u32_e32 8, v50
; %bb.1565:                             ;   in Loop: Header=BB306_934 Depth=1
	v_ffbh_u32_e32 v26, v26
	v_min_u32_e32 v39, 32, v26
	v_subrev_nc_u32_e32 v26, 28, v39
	v_lshlrev_b64 v[26:27], v26, v[0:1]
	v_sub_nc_u32_e32 v27, 29, v39
	v_and_b32_e32 v26, 7, v26
; %bb.1566:                             ;   in Loop: Header=BB306_934 Depth=1
	s_or_b32 exec_lo, exec_lo, s20
	v_lshlrev_b32_e32 v39, 8, v12
	v_lshl_add_u32 v27, v27, 10, 0x2000
	v_lshlrev_b32_e32 v26, 7, v26
	v_and_b32_e32 v39, 0x8000, v39
	v_and_b32_e32 v27, 0xfc00, v27
	v_or3_b32 v26, v39, v27, v26
.LBB306_1567:                           ;   in Loop: Header=BB306_934 Depth=1
	s_or_b32 exec_lo, exec_lo, s18
.LBB306_1568:                           ;   in Loop: Header=BB306_934 Depth=1
	s_or_b32 exec_lo, exec_lo, s17
.LBB306_1569:                           ;   in Loop: Header=BB306_934 Depth=1
	s_or_b32 exec_lo, exec_lo, s16
	v_lshrrev_b16 v0, 8, v0
	v_mov_b32_e32 v27, 0
	s_mov_b32 s16, exec_lo
	v_cmpx_ne_u16_e32 0, v0
	s_cbranch_execz .LBB306_1577
; %bb.1570:                             ;   in Loop: Header=BB306_934 Depth=1
	v_bfrev_b32_e32 v27, 1
	s_mov_b32 s17, exec_lo
	v_cmpx_ne_u16_e32 0x80, v0
	s_cbranch_execz .LBB306_1576
; %bb.1571:                             ;   in Loop: Header=BB306_934 Depth=1
	v_and_b32_sdwa v51, v0, v53 dst_sel:DWORD dst_unused:UNUSED_PAD src0_sel:WORD_0 src1_sel:DWORD
	v_mov_b32_e32 v27, 0x7c010000
	s_mov_b32 s18, exec_lo
	v_cmpx_ne_u32_e32 0x7f, v51
	s_cbranch_execz .LBB306_1575
; %bb.1572:                             ;   in Loop: Header=BB306_934 Depth=1
	v_and_b32_sdwa v27, v0, v54 dst_sel:DWORD dst_unused:UNUSED_PAD src0_sel:WORD_0 src1_sel:DWORD
	v_lshrrev_b32_e32 v50, 3, v51
	s_mov_b32 s20, exec_lo
	v_cmpx_gt_u32_e32 8, v51
; %bb.1573:                             ;   in Loop: Header=BB306_934 Depth=1
	v_ffbh_u32_e32 v27, v27
	v_min_u32_e32 v27, 32, v27
	v_subrev_nc_u32_e32 v39, 28, v27
	v_sub_nc_u32_e32 v50, 29, v27
	v_lshlrev_b64 v[40:41], v39, v[0:1]
	v_and_b32_e32 v27, 7, v40
; %bb.1574:                             ;   in Loop: Header=BB306_934 Depth=1
	s_or_b32 exec_lo, exec_lo, s20
	v_lshlrev_b32_sdwa v0, v69, v0 dst_sel:DWORD dst_unused:UNUSED_PAD src0_sel:DWORD src1_sel:WORD_0
	v_lshl_add_u32 v39, v50, 10, 0x2000
	v_lshlrev_b32_e32 v27, 23, v27
	v_and_or_b32 v0, 0x8000, v0, v39
	v_lshl_or_b32 v27, v0, 16, v27
.LBB306_1575:                           ;   in Loop: Header=BB306_934 Depth=1
	s_or_b32 exec_lo, exec_lo, s18
.LBB306_1576:                           ;   in Loop: Header=BB306_934 Depth=1
	s_or_b32 exec_lo, exec_lo, s17
.LBB306_1577:                           ;   in Loop: Header=BB306_934 Depth=1
	s_or_b32 exec_lo, exec_lo, s16
	v_lshrrev_b32_e32 v0, 16, v12
	v_cmp_ne_u16_sdwa s4, v0, v1 src0_sel:BYTE_0 src1_sel:DWORD
	s_and_saveexec_b32 s16, s4
	s_cbranch_execz .LBB306_1585
; %bb.1578:                             ;   in Loop: Header=BB306_934 Depth=1
	v_cmp_ne_u16_sdwa s4, v0, v17 src0_sel:BYTE_0 src1_sel:DWORD
	v_mov_b32_e32 v16, 0x8000
	s_and_saveexec_b32 s17, s4
	s_cbranch_execz .LBB306_1584
; %bb.1579:                             ;   in Loop: Header=BB306_934 Depth=1
	v_bfe_u32 v51, v12, 16, 7
	v_mov_b32_e32 v16, 0x7c01
	s_mov_b32 s18, exec_lo
	v_cmpx_ne_u32_e32 0x7f, v51
	s_cbranch_execz .LBB306_1583
; %bb.1580:                             ;   in Loop: Header=BB306_934 Depth=1
	v_and_b32_e32 v16, 7, v0
	v_lshrrev_b32_e32 v50, 3, v51
	s_mov_b32 s20, exec_lo
	v_cmpx_gt_u32_e32 8, v51
; %bb.1581:                             ;   in Loop: Header=BB306_934 Depth=1
	v_ffbh_u32_e32 v16, v16
	v_min_u32_e32 v16, 32, v16
	v_subrev_nc_u32_e32 v39, 28, v16
	v_sub_nc_u32_e32 v50, 29, v16
	v_lshlrev_b64 v[40:41], v39, v[0:1]
	v_and_b32_e32 v16, 7, v40
; %bb.1582:                             ;   in Loop: Header=BB306_934 Depth=1
	s_or_b32 exec_lo, exec_lo, s20
	v_lshlrev_b32_e32 v0, 8, v0
	v_lshl_add_u32 v39, v50, 10, 0x2000
	v_lshlrev_b32_e32 v16, 7, v16
	v_and_b32_e32 v0, 0x8000, v0
	v_and_b32_e32 v39, 0xfc00, v39
	v_or3_b32 v16, v0, v39, v16
.LBB306_1583:                           ;   in Loop: Header=BB306_934 Depth=1
	s_or_b32 exec_lo, exec_lo, s18
.LBB306_1584:                           ;   in Loop: Header=BB306_934 Depth=1
	s_or_b32 exec_lo, exec_lo, s17
.LBB306_1585:                           ;   in Loop: Header=BB306_934 Depth=1
	s_or_b32 exec_lo, exec_lo, s16
	v_cmp_lt_u64_e64 s4, s[12:13], v[11:12]
	v_mov_b32_e32 v11, 0
	s_and_saveexec_b32 s16, s4
	s_cbranch_execz .LBB306_1593
; %bb.1586:                             ;   in Loop: Header=BB306_934 Depth=1
	v_lshrrev_b32_e32 v0, 24, v12
	v_bfrev_b32_e32 v11, 1
	s_mov_b32 s17, exec_lo
	v_cmpx_ne_u32_e32 0x80, v0
	s_cbranch_execz .LBB306_1592
; %bb.1587:                             ;   in Loop: Header=BB306_934 Depth=1
	v_and_b32_e32 v50, 0x7f, v0
	v_mov_b32_e32 v11, 0x7c010000
	s_mov_b32 s18, exec_lo
	v_cmpx_ne_u32_e32 0x7f, v50
	s_cbranch_execz .LBB306_1591
; %bb.1588:                             ;   in Loop: Header=BB306_934 Depth=1
	v_and_b32_e32 v11, 7, v0
	v_lshrrev_b32_e32 v12, 3, v50
	s_mov_b32 s20, exec_lo
	v_cmpx_gt_u32_e32 8, v50
; %bb.1589:                             ;   in Loop: Header=BB306_934 Depth=1
	v_ffbh_u32_e32 v11, v11
	v_min_u32_e32 v39, 32, v11
	v_subrev_nc_u32_e32 v11, 28, v39
	v_lshlrev_b64 v[11:12], v11, v[0:1]
	v_sub_nc_u32_e32 v12, 29, v39
	v_and_b32_e32 v11, 7, v11
; %bb.1590:                             ;   in Loop: Header=BB306_934 Depth=1
	s_or_b32 exec_lo, exec_lo, s20
	v_lshlrev_b32_e32 v0, 8, v0
	v_lshl_add_u32 v12, v12, 10, 0x2000
	v_lshlrev_b32_e32 v11, 23, v11
	v_and_or_b32 v0, 0x8000, v0, v12
	v_lshl_or_b32 v11, v0, 16, v11
.LBB306_1591:                           ;   in Loop: Header=BB306_934 Depth=1
	s_or_b32 exec_lo, exec_lo, s18
.LBB306_1592:                           ;   in Loop: Header=BB306_934 Depth=1
	s_or_b32 exec_lo, exec_lo, s17
.LBB306_1593:                           ;   in Loop: Header=BB306_934 Depth=1
	s_or_b32 exec_lo, exec_lo, s16
	v_or_b32_e32 v0, v48, v49
	v_or_b32_e32 v38, v37, v38
	s_waitcnt vmcnt(0) lgkmcnt(0)
	v_fma_mixlo_f16 v37, v6, v37, 0 op_sel:[0,1,0] op_sel_hi:[0,1,0]
	v_or_b32_e32 v39, v27, v26
	v_or_b32_e32 v16, v11, v16
	v_fma_mixlo_f16 v12, v6, v48, 0 op_sel:[0,1,0] op_sel_hi:[0,1,0]
	v_fma_mixlo_f16 v48, v6, v0, 0 op_sel_hi:[0,1,0]
	v_lshlrev_b32_e32 v26, 16, v37
	v_fma_mixlo_f16 v37, v6, v38, 0 op_sel_hi:[0,1,0]
	v_fma_mixlo_f16 v27, v6, v27, 0 op_sel:[0,1,0] op_sel_hi:[0,1,0]
	v_fma_mixlo_f16 v38, v6, v39, 0 op_sel_hi:[0,1,0]
	v_fma_mixlo_f16 v39, v6, v11, 0 op_sel:[0,1,0] op_sel_hi:[0,1,0]
	v_fma_mixlo_f16 v16, v6, v16, 0 op_sel_hi:[0,1,0]
	v_lshlrev_b32_e32 v0, 16, v12
	v_and_b32_e32 v12, 0xffff, v48
	v_and_b32_e32 v50, 0xffff, v37
	v_lshlrev_b32_e32 v11, 16, v27
	v_and_b32_e32 v37, 0xffff, v38
	v_lshlrev_b32_e32 v6, 16, v39
	v_and_b32_e32 v16, 0xffff, v16
	v_or_b32_e32 v27, v0, v12
	v_or_b32_e32 v49, v26, v50
	v_or_b32_e32 v48, v11, v37
	v_or_b32_e32 v38, v6, v16
	s_and_saveexec_b32 s16, vcc_lo
	s_cbranch_execz .LBB306_1595
; %bb.1594:                             ;   in Loop: Header=BB306_934 Depth=1
	v_cmp_lt_i32_e64 s4, v18, v36
	v_cndmask_b32_e64 v27, 0, v50, s4
	v_cmp_lt_i32_e64 s4, v98, v36
	v_cndmask_b32_e64 v26, 0, v26, s4
	v_cmp_lt_i32_e64 s4, v97, v36
	v_or_b32_e32 v49, v27, v26
	v_cndmask_b32_e64 v12, 0, v12, s4
	v_cmp_lt_i32_e64 s4, v96, v36
	v_cndmask_b32_e64 v0, 0, v0, s4
	v_cmp_lt_i32_e64 s4, v87, v36
	v_or_b32_e32 v27, v12, v0
	;; [unrolled: 5-line block ×3, first 2 shown]
	v_cndmask_b32_e64 v16, 0, v16, s4
	v_cmp_lt_i32_e64 s4, v84, v36
	v_cndmask_b32_e64 v6, 0, v6, s4
	v_or_b32_e32 v38, v16, v6
.LBB306_1595:                           ;   in Loop: Header=BB306_934 Depth=1
	s_or_b32 exec_lo, exec_lo, s16
	;;#ASMSTART
	v_pk_mul_f16 v0, v83, v49;

	;;#ASMEND
	;;#ASMSTART
	v_pk_mul_f16 v6, v82, v27;

	;;#ASMEND
	;; [unrolled: 4-line block ×4, first 2 shown]
	;;#ASMSTART
	v_pk_add_f16 v0, v0, v6;

	;;#ASMEND
	;;#ASMSTART
	v_pk_add_f16 v0, v0, v11;

	;;#ASMEND
	;; [unrolled: 4-line block ×3, first 2 shown]
	v_and_b32_e32 v6, 0xffff, v0
	v_lshrrev_b32_e32 v0, 16, v0
	;;#ASMSTART
	v_cvt_f32_f16 v6, v6;
	;;#ASMEND
	;;#ASMSTART
	v_cvt_f32_f16 v37, v0;
	;;#ASMEND
	flat_load_dwordx2 v[11:12], v[9:10] offset:512
	s_clause 0x1
	buffer_load_dword v26, off, s[0:3], s32 offset:200
	buffer_load_dword v27, off, s[0:3], s32 offset:204
	v_mov_b32_e32 v48, 0
	v_mov_b32_e32 v49, 0
	s_waitcnt vmcnt(2) lgkmcnt(0)
	v_cmp_ne_u16_sdwa s4, v11, v1 src0_sel:BYTE_0 src1_sel:DWORD
	s_waitcnt vmcnt(0)
	flat_load_dword v38, v[26:27]
	s_and_saveexec_b32 s16, s4
	s_cbranch_execz .LBB306_1603
; %bb.1596:                             ;   in Loop: Header=BB306_934 Depth=1
	v_cmp_ne_u16_sdwa s4, v11, v17 src0_sel:BYTE_0 src1_sel:DWORD
	v_mov_b32_e32 v49, 0x8000
	s_and_saveexec_b32 s17, s4
	s_cbranch_execz .LBB306_1602
; %bb.1597:                             ;   in Loop: Header=BB306_934 Depth=1
	v_and_b32_e32 v26, 0x7f, v11
	v_mov_b32_e32 v49, 0x7c01
	s_mov_b32 s18, exec_lo
	v_cmpx_ne_u32_e32 0x7f, v26
	s_cbranch_execz .LBB306_1601
; %bb.1598:                             ;   in Loop: Header=BB306_934 Depth=1
	v_and_b32_e32 v0, 7, v11
	v_lshrrev_b32_e32 v16, 3, v26
	s_mov_b32 s20, exec_lo
	v_cmpx_gt_u32_e32 8, v26
; %bb.1599:                             ;   in Loop: Header=BB306_934 Depth=1
	v_ffbh_u32_e32 v0, v0
	v_min_u32_e32 v0, 32, v0
	v_subrev_nc_u32_e32 v16, 28, v0
	v_lshlrev_b64 v[26:27], v16, v[11:12]
	v_sub_nc_u32_e32 v16, 29, v0
	v_and_b32_e32 v0, 7, v26
; %bb.1600:                             ;   in Loop: Header=BB306_934 Depth=1
	s_or_b32 exec_lo, exec_lo, s20
	v_lshlrev_b32_e32 v26, 8, v11
	v_lshl_add_u32 v16, v16, 10, 0x2000
	v_lshlrev_b32_e32 v0, 7, v0
	v_and_b32_e32 v26, 0x8000, v26
	v_and_b32_e32 v16, 0xfc00, v16
	v_or3_b32 v49, v26, v16, v0
.LBB306_1601:                           ;   in Loop: Header=BB306_934 Depth=1
	s_or_b32 exec_lo, exec_lo, s18
.LBB306_1602:                           ;   in Loop: Header=BB306_934 Depth=1
	s_or_b32 exec_lo, exec_lo, s17
.LBB306_1603:                           ;   in Loop: Header=BB306_934 Depth=1
	s_or_b32 exec_lo, exec_lo, s16
	v_lshrrev_b16 v0, 8, v11
	s_mov_b32 s16, exec_lo
	v_cmpx_ne_u16_e32 0, v0
	s_cbranch_execz .LBB306_1611
; %bb.1604:                             ;   in Loop: Header=BB306_934 Depth=1
	v_bfrev_b32_e32 v48, 1
	s_mov_b32 s17, exec_lo
	v_cmpx_ne_u16_e32 0x80, v0
	s_cbranch_execz .LBB306_1610
; %bb.1605:                             ;   in Loop: Header=BB306_934 Depth=1
	v_and_b32_sdwa v27, v0, v53 dst_sel:DWORD dst_unused:UNUSED_PAD src0_sel:WORD_0 src1_sel:DWORD
	v_mov_b32_e32 v48, 0x7c010000
	s_mov_b32 s18, exec_lo
	v_cmpx_ne_u32_e32 0x7f, v27
	s_cbranch_execz .LBB306_1609
; %bb.1606:                             ;   in Loop: Header=BB306_934 Depth=1
	v_and_b32_sdwa v16, v0, v54 dst_sel:DWORD dst_unused:UNUSED_PAD src0_sel:WORD_0 src1_sel:DWORD
	v_lshrrev_b32_e32 v26, 3, v27
	s_mov_b32 s20, exec_lo
	v_cmpx_gt_u32_e32 8, v27
; %bb.1607:                             ;   in Loop: Header=BB306_934 Depth=1
	v_ffbh_u32_e32 v16, v16
	v_min_u32_e32 v16, 32, v16
	v_subrev_nc_u32_e32 v26, 28, v16
	v_lshlrev_b64 v[50:51], v26, v[0:1]
	v_sub_nc_u32_e32 v26, 29, v16
	v_and_b32_e32 v16, 7, v50
; %bb.1608:                             ;   in Loop: Header=BB306_934 Depth=1
	s_or_b32 exec_lo, exec_lo, s20
	v_lshlrev_b32_sdwa v0, v69, v0 dst_sel:DWORD dst_unused:UNUSED_PAD src0_sel:DWORD src1_sel:WORD_0
	v_lshl_add_u32 v26, v26, 10, 0x2000
	v_lshlrev_b32_e32 v16, 23, v16
	v_and_or_b32 v0, 0x8000, v0, v26
	v_lshl_or_b32 v48, v0, 16, v16
.LBB306_1609:                           ;   in Loop: Header=BB306_934 Depth=1
	s_or_b32 exec_lo, exec_lo, s18
.LBB306_1610:                           ;   in Loop: Header=BB306_934 Depth=1
	s_or_b32 exec_lo, exec_lo, s17
.LBB306_1611:                           ;   in Loop: Header=BB306_934 Depth=1
	s_or_b32 exec_lo, exec_lo, s16
	v_lshrrev_b32_e32 v0, 16, v11
	v_mov_b32_e32 v50, 0
	v_mov_b32_e32 v51, 0
	v_cmp_ne_u16_sdwa s4, v0, v1 src0_sel:BYTE_0 src1_sel:DWORD
	s_and_saveexec_b32 s16, s4
	s_cbranch_execz .LBB306_1619
; %bb.1612:                             ;   in Loop: Header=BB306_934 Depth=1
	v_cmp_ne_u16_sdwa s4, v0, v17 src0_sel:BYTE_0 src1_sel:DWORD
	v_mov_b32_e32 v51, 0x8000
	s_and_saveexec_b32 s17, s4
	s_cbranch_execz .LBB306_1618
; %bb.1613:                             ;   in Loop: Header=BB306_934 Depth=1
	v_bfe_u32 v27, v11, 16, 7
	v_mov_b32_e32 v51, 0x7c01
	s_mov_b32 s18, exec_lo
	v_cmpx_ne_u32_e32 0x7f, v27
	s_cbranch_execz .LBB306_1617
; %bb.1614:                             ;   in Loop: Header=BB306_934 Depth=1
	v_and_b32_e32 v16, 7, v0
	v_lshrrev_b32_e32 v26, 3, v27
	s_mov_b32 s20, exec_lo
	v_cmpx_gt_u32_e32 8, v27
; %bb.1615:                             ;   in Loop: Header=BB306_934 Depth=1
	v_ffbh_u32_e32 v16, v16
	v_min_u32_e32 v16, 32, v16
	v_subrev_nc_u32_e32 v26, 28, v16
	v_lshlrev_b64 v[40:41], v26, v[0:1]
	v_sub_nc_u32_e32 v26, 29, v16
	v_and_b32_e32 v16, 7, v40
; %bb.1616:                             ;   in Loop: Header=BB306_934 Depth=1
	s_or_b32 exec_lo, exec_lo, s20
	v_lshlrev_b32_e32 v0, 8, v0
	v_lshl_add_u32 v26, v26, 10, 0x2000
	v_lshlrev_b32_e32 v16, 7, v16
	v_and_b32_e32 v0, 0x8000, v0
	v_and_b32_e32 v26, 0xfc00, v26
	v_or3_b32 v51, v0, v26, v16
.LBB306_1617:                           ;   in Loop: Header=BB306_934 Depth=1
	s_or_b32 exec_lo, exec_lo, s18
.LBB306_1618:                           ;   in Loop: Header=BB306_934 Depth=1
	s_or_b32 exec_lo, exec_lo, s17
.LBB306_1619:                           ;   in Loop: Header=BB306_934 Depth=1
	s_or_b32 exec_lo, exec_lo, s16
	s_mov_b32 s16, exec_lo
	v_cmpx_lt_u32_e32 0xffffff, v11
	s_cbranch_execz .LBB306_1627
; %bb.1620:                             ;   in Loop: Header=BB306_934 Depth=1
	v_lshrrev_b32_e32 v0, 24, v11
	v_bfrev_b32_e32 v50, 1
	s_mov_b32 s17, exec_lo
	v_cmpx_ne_u32_e32 0x80, v0
	s_cbranch_execz .LBB306_1626
; %bb.1621:                             ;   in Loop: Header=BB306_934 Depth=1
	v_and_b32_e32 v27, 0x7f, v0
	v_mov_b32_e32 v50, 0x7c010000
	s_mov_b32 s18, exec_lo
	v_cmpx_ne_u32_e32 0x7f, v27
	s_cbranch_execz .LBB306_1625
; %bb.1622:                             ;   in Loop: Header=BB306_934 Depth=1
	v_and_b32_e32 v16, 7, v0
	v_lshrrev_b32_e32 v26, 3, v27
	s_mov_b32 s20, exec_lo
	v_cmpx_gt_u32_e32 8, v27
; %bb.1623:                             ;   in Loop: Header=BB306_934 Depth=1
	v_ffbh_u32_e32 v16, v16
	v_min_u32_e32 v16, 32, v16
	v_subrev_nc_u32_e32 v26, 28, v16
	v_lshlrev_b64 v[40:41], v26, v[0:1]
	v_sub_nc_u32_e32 v26, 29, v16
	v_and_b32_e32 v16, 7, v40
; %bb.1624:                             ;   in Loop: Header=BB306_934 Depth=1
	s_or_b32 exec_lo, exec_lo, s20
	v_lshlrev_b32_e32 v0, 8, v0
	v_lshl_add_u32 v26, v26, 10, 0x2000
	v_lshlrev_b32_e32 v16, 23, v16
	v_and_or_b32 v0, 0x8000, v0, v26
	v_lshl_or_b32 v50, v0, 16, v16
.LBB306_1625:                           ;   in Loop: Header=BB306_934 Depth=1
	s_or_b32 exec_lo, exec_lo, s18
.LBB306_1626:                           ;   in Loop: Header=BB306_934 Depth=1
	s_or_b32 exec_lo, exec_lo, s17
.LBB306_1627:                           ;   in Loop: Header=BB306_934 Depth=1
	s_or_b32 exec_lo, exec_lo, s16
	v_mov_b32_e32 v0, v12
	v_cmp_ne_u16_sdwa s4, v12, v1 src0_sel:BYTE_0 src1_sel:DWORD
	v_mov_b32_e32 v16, 0
	v_mov_b32_e32 v26, 0
	s_and_saveexec_b32 s16, s4
	s_cbranch_execz .LBB306_1635
; %bb.1628:                             ;   in Loop: Header=BB306_934 Depth=1
	v_cmp_ne_u16_sdwa s4, v12, v17 src0_sel:BYTE_0 src1_sel:DWORD
	v_mov_b32_e32 v26, 0x8000
	s_and_saveexec_b32 s17, s4
	s_cbranch_execz .LBB306_1634
; %bb.1629:                             ;   in Loop: Header=BB306_934 Depth=1
	v_and_b32_e32 v119, 0x7f, v12
	v_mov_b32_e32 v26, 0x7c01
	s_mov_b32 s18, exec_lo
	v_cmpx_ne_u32_e32 0x7f, v119
	s_cbranch_execz .LBB306_1633
; %bb.1630:                             ;   in Loop: Header=BB306_934 Depth=1
	v_and_b32_e32 v26, 7, v12
	v_lshrrev_b32_e32 v27, 3, v119
	s_mov_b32 s20, exec_lo
	v_cmpx_gt_u32_e32 8, v119
; %bb.1631:                             ;   in Loop: Header=BB306_934 Depth=1
	v_ffbh_u32_e32 v26, v26
	v_min_u32_e32 v39, 32, v26
	v_subrev_nc_u32_e32 v26, 28, v39
	v_lshlrev_b64 v[26:27], v26, v[0:1]
	v_sub_nc_u32_e32 v27, 29, v39
	v_and_b32_e32 v26, 7, v26
; %bb.1632:                             ;   in Loop: Header=BB306_934 Depth=1
	s_or_b32 exec_lo, exec_lo, s20
	v_lshlrev_b32_e32 v39, 8, v12
	v_lshl_add_u32 v27, v27, 10, 0x2000
	v_lshlrev_b32_e32 v26, 7, v26
	v_and_b32_e32 v39, 0x8000, v39
	v_and_b32_e32 v27, 0xfc00, v27
	v_or3_b32 v26, v39, v27, v26
.LBB306_1633:                           ;   in Loop: Header=BB306_934 Depth=1
	s_or_b32 exec_lo, exec_lo, s18
.LBB306_1634:                           ;   in Loop: Header=BB306_934 Depth=1
	s_or_b32 exec_lo, exec_lo, s17
.LBB306_1635:                           ;   in Loop: Header=BB306_934 Depth=1
	s_or_b32 exec_lo, exec_lo, s16
	v_lshrrev_b16 v0, 8, v0
	v_mov_b32_e32 v27, 0
	s_mov_b32 s16, exec_lo
	v_cmpx_ne_u16_e32 0, v0
	s_cbranch_execz .LBB306_1643
; %bb.1636:                             ;   in Loop: Header=BB306_934 Depth=1
	v_bfrev_b32_e32 v27, 1
	s_mov_b32 s17, exec_lo
	v_cmpx_ne_u16_e32 0x80, v0
	s_cbranch_execz .LBB306_1642
; %bb.1637:                             ;   in Loop: Header=BB306_934 Depth=1
	v_and_b32_sdwa v40, v0, v53 dst_sel:DWORD dst_unused:UNUSED_PAD src0_sel:WORD_0 src1_sel:DWORD
	v_mov_b32_e32 v27, 0x7c010000
	s_mov_b32 s18, exec_lo
	v_cmpx_ne_u32_e32 0x7f, v40
	s_cbranch_execz .LBB306_1641
; %bb.1638:                             ;   in Loop: Header=BB306_934 Depth=1
	v_and_b32_sdwa v27, v0, v54 dst_sel:DWORD dst_unused:UNUSED_PAD src0_sel:WORD_0 src1_sel:DWORD
	v_lshrrev_b32_e32 v119, 3, v40
	s_mov_b32 s20, exec_lo
	v_cmpx_gt_u32_e32 8, v40
; %bb.1639:                             ;   in Loop: Header=BB306_934 Depth=1
	v_ffbh_u32_e32 v27, v27
	v_min_u32_e32 v27, 32, v27
	v_subrev_nc_u32_e32 v39, 28, v27
	v_sub_nc_u32_e32 v119, 29, v27
	v_lshlrev_b64 v[40:41], v39, v[0:1]
	v_and_b32_e32 v27, 7, v40
; %bb.1640:                             ;   in Loop: Header=BB306_934 Depth=1
	s_or_b32 exec_lo, exec_lo, s20
	v_lshlrev_b32_sdwa v0, v69, v0 dst_sel:DWORD dst_unused:UNUSED_PAD src0_sel:DWORD src1_sel:WORD_0
	v_lshl_add_u32 v39, v119, 10, 0x2000
	v_lshlrev_b32_e32 v27, 23, v27
	v_and_or_b32 v0, 0x8000, v0, v39
	v_lshl_or_b32 v27, v0, 16, v27
.LBB306_1641:                           ;   in Loop: Header=BB306_934 Depth=1
	s_or_b32 exec_lo, exec_lo, s18
.LBB306_1642:                           ;   in Loop: Header=BB306_934 Depth=1
	s_or_b32 exec_lo, exec_lo, s17
.LBB306_1643:                           ;   in Loop: Header=BB306_934 Depth=1
	s_or_b32 exec_lo, exec_lo, s16
	v_lshrrev_b32_e32 v0, 16, v12
	v_cmp_ne_u16_sdwa s4, v0, v1 src0_sel:BYTE_0 src1_sel:DWORD
	s_and_saveexec_b32 s16, s4
	s_cbranch_execz .LBB306_1651
; %bb.1644:                             ;   in Loop: Header=BB306_934 Depth=1
	v_cmp_ne_u16_sdwa s4, v0, v17 src0_sel:BYTE_0 src1_sel:DWORD
	v_mov_b32_e32 v16, 0x8000
	s_and_saveexec_b32 s17, s4
	s_cbranch_execz .LBB306_1650
; %bb.1645:                             ;   in Loop: Header=BB306_934 Depth=1
	v_bfe_u32 v40, v12, 16, 7
	v_mov_b32_e32 v16, 0x7c01
	s_mov_b32 s18, exec_lo
	v_cmpx_ne_u32_e32 0x7f, v40
	s_cbranch_execz .LBB306_1649
; %bb.1646:                             ;   in Loop: Header=BB306_934 Depth=1
	v_and_b32_e32 v16, 7, v0
	v_lshrrev_b32_e32 v119, 3, v40
	s_mov_b32 s20, exec_lo
	v_cmpx_gt_u32_e32 8, v40
; %bb.1647:                             ;   in Loop: Header=BB306_934 Depth=1
	v_ffbh_u32_e32 v16, v16
	v_min_u32_e32 v16, 32, v16
	v_subrev_nc_u32_e32 v39, 28, v16
	v_sub_nc_u32_e32 v119, 29, v16
	v_lshlrev_b64 v[40:41], v39, v[0:1]
	v_and_b32_e32 v16, 7, v40
; %bb.1648:                             ;   in Loop: Header=BB306_934 Depth=1
	s_or_b32 exec_lo, exec_lo, s20
	v_lshlrev_b32_e32 v0, 8, v0
	v_lshl_add_u32 v39, v119, 10, 0x2000
	v_lshlrev_b32_e32 v16, 7, v16
	v_and_b32_e32 v0, 0x8000, v0
	v_and_b32_e32 v39, 0xfc00, v39
	v_or3_b32 v16, v0, v39, v16
.LBB306_1649:                           ;   in Loop: Header=BB306_934 Depth=1
	s_or_b32 exec_lo, exec_lo, s18
.LBB306_1650:                           ;   in Loop: Header=BB306_934 Depth=1
	s_or_b32 exec_lo, exec_lo, s17
.LBB306_1651:                           ;   in Loop: Header=BB306_934 Depth=1
	s_or_b32 exec_lo, exec_lo, s16
	v_cmp_lt_u64_e64 s4, s[12:13], v[11:12]
	v_mov_b32_e32 v11, 0
	s_and_saveexec_b32 s16, s4
	s_cbranch_execz .LBB306_1659
; %bb.1652:                             ;   in Loop: Header=BB306_934 Depth=1
	v_lshrrev_b32_e32 v0, 24, v12
	v_bfrev_b32_e32 v11, 1
	s_mov_b32 s17, exec_lo
	v_cmpx_ne_u32_e32 0x80, v0
	s_cbranch_execz .LBB306_1658
; %bb.1653:                             ;   in Loop: Header=BB306_934 Depth=1
	v_and_b32_e32 v119, 0x7f, v0
	v_mov_b32_e32 v11, 0x7c010000
	s_mov_b32 s18, exec_lo
	v_cmpx_ne_u32_e32 0x7f, v119
	s_cbranch_execz .LBB306_1657
; %bb.1654:                             ;   in Loop: Header=BB306_934 Depth=1
	v_and_b32_e32 v11, 7, v0
	v_lshrrev_b32_e32 v12, 3, v119
	s_mov_b32 s20, exec_lo
	v_cmpx_gt_u32_e32 8, v119
; %bb.1655:                             ;   in Loop: Header=BB306_934 Depth=1
	v_ffbh_u32_e32 v11, v11
	v_min_u32_e32 v39, 32, v11
	v_subrev_nc_u32_e32 v11, 28, v39
	v_lshlrev_b64 v[11:12], v11, v[0:1]
	v_sub_nc_u32_e32 v12, 29, v39
	v_and_b32_e32 v11, 7, v11
; %bb.1656:                             ;   in Loop: Header=BB306_934 Depth=1
	s_or_b32 exec_lo, exec_lo, s20
	v_lshlrev_b32_e32 v0, 8, v0
	v_lshl_add_u32 v12, v12, 10, 0x2000
	v_lshlrev_b32_e32 v11, 23, v11
	v_and_or_b32 v0, 0x8000, v0, v12
	v_lshl_or_b32 v11, v0, 16, v11
.LBB306_1657:                           ;   in Loop: Header=BB306_934 Depth=1
	s_or_b32 exec_lo, exec_lo, s18
.LBB306_1658:                           ;   in Loop: Header=BB306_934 Depth=1
	s_or_b32 exec_lo, exec_lo, s17
.LBB306_1659:                           ;   in Loop: Header=BB306_934 Depth=1
	s_or_b32 exec_lo, exec_lo, s16
	v_or_b32_e32 v0, v50, v51
	s_waitcnt vmcnt(0) lgkmcnt(0)
	v_fma_mixlo_f16 v12, v38, v50, 0 op_sel:[0,1,0] op_sel_hi:[0,1,0]
	v_or_b32_e32 v39, v48, v49
	v_or_b32_e32 v26, v27, v26
	v_or_b32_e32 v16, v11, v16
	v_fma_mixlo_f16 v49, v38, v0, 0 op_sel_hi:[0,1,0]
	v_fma_mixlo_f16 v48, v38, v48, 0 op_sel:[0,1,0] op_sel_hi:[0,1,0]
	v_lshlrev_b32_e32 v0, 16, v12
	v_fma_mixlo_f16 v39, v38, v39, 0 op_sel_hi:[0,1,0]
	v_fma_mixlo_f16 v27, v38, v27, 0 op_sel:[0,1,0] op_sel_hi:[0,1,0]
	v_and_b32_e32 v12, 0xffff, v49
	v_fma_mixlo_f16 v26, v38, v26, 0 op_sel_hi:[0,1,0]
	v_fma_mixlo_f16 v11, v38, v11, 0 op_sel:[0,1,0] op_sel_hi:[0,1,0]
	v_fma_mixlo_f16 v49, v38, v16, 0 op_sel_hi:[0,1,0]
	v_lshlrev_b32_e32 v48, 16, v48
	v_and_b32_e32 v119, 0xffff, v39
	v_lshlrev_b32_e32 v16, 16, v27
	v_and_b32_e32 v38, 0xffff, v26
	;; [unrolled: 2-line block ×3, first 2 shown]
	v_or_b32_e32 v27, v0, v12
	v_or_b32_e32 v51, v48, v119
	;; [unrolled: 1-line block ×4, first 2 shown]
	s_and_saveexec_b32 s16, vcc_lo
	s_cbranch_execz .LBB306_1661
; %bb.1660:                             ;   in Loop: Header=BB306_934 Depth=1
	v_cmp_lt_i32_e64 s4, v18, v36
	v_cndmask_b32_e64 v27, 0, v119, s4
	v_cmp_lt_i32_e64 s4, v98, v36
	v_cndmask_b32_e64 v39, 0, v48, s4
	v_cmp_lt_i32_e64 s4, v97, v36
	v_or_b32_e32 v51, v27, v39
	v_cndmask_b32_e64 v12, 0, v12, s4
	v_cmp_lt_i32_e64 s4, v96, v36
	v_cndmask_b32_e64 v0, 0, v0, s4
	v_cmp_lt_i32_e64 s4, v87, v36
	v_or_b32_e32 v27, v12, v0
	;; [unrolled: 5-line block ×3, first 2 shown]
	v_cndmask_b32_e64 v26, 0, v26, s4
	v_cmp_lt_i32_e64 s4, v84, v36
	v_cndmask_b32_e64 v11, 0, v11, s4
	v_or_b32_e32 v49, v26, v11
.LBB306_1661:                           ;   in Loop: Header=BB306_934 Depth=1
	s_or_b32 exec_lo, exec_lo, s16
	;;#ASMSTART
	v_pk_mul_f16 v0, v83, v51;

	;;#ASMEND
	;;#ASMSTART
	v_pk_mul_f16 v11, v82, v27;

	;;#ASMEND
	;;#ASMSTART
	v_pk_mul_f16 v12, v81, v50;

	;;#ASMEND
	;;#ASMSTART
	v_pk_mul_f16 v16, v80, v49;

	;;#ASMEND
	;;#ASMSTART
	v_pk_add_f16 v0, v0, v11;

	;;#ASMEND
	;;#ASMSTART
	v_pk_add_f16 v0, v0, v12;

	;;#ASMEND
	;; [unrolled: 4-line block ×3, first 2 shown]
	v_and_b32_e32 v11, 0xffff, v0
	v_lshrrev_b32_e32 v0, 16, v0
	;;#ASMSTART
	v_cvt_f32_f16 v38, v11;
	;;#ASMEND
	;;#ASMSTART
	v_cvt_f32_f16 v48, v0;
	;;#ASMEND
	flat_load_dwordx2 v[11:12], v[9:10] offset:768
	s_clause 0x1
	buffer_load_dword v26, off, s[0:3], s32 offset:200
	buffer_load_dword v27, off, s[0:3], s32 offset:204
	v_mov_b32_e32 v50, 0
	v_mov_b32_e32 v51, 0
	s_waitcnt vmcnt(2) lgkmcnt(0)
	v_cmp_ne_u16_sdwa s4, v11, v1 src0_sel:BYTE_0 src1_sel:DWORD
	s_waitcnt vmcnt(0)
	flat_load_dword v49, v[26:27]
	s_and_saveexec_b32 s16, s4
	s_cbranch_execz .LBB306_1669
; %bb.1662:                             ;   in Loop: Header=BB306_934 Depth=1
	v_cmp_ne_u16_sdwa s4, v11, v17 src0_sel:BYTE_0 src1_sel:DWORD
	v_mov_b32_e32 v51, 0x8000
	s_and_saveexec_b32 s17, s4
	s_cbranch_execz .LBB306_1668
; %bb.1663:                             ;   in Loop: Header=BB306_934 Depth=1
	v_and_b32_e32 v26, 0x7f, v11
	v_mov_b32_e32 v51, 0x7c01
	s_mov_b32 s18, exec_lo
	v_cmpx_ne_u32_e32 0x7f, v26
	s_cbranch_execz .LBB306_1667
; %bb.1664:                             ;   in Loop: Header=BB306_934 Depth=1
	v_and_b32_e32 v0, 7, v11
	v_lshrrev_b32_e32 v16, 3, v26
	s_mov_b32 s20, exec_lo
	v_cmpx_gt_u32_e32 8, v26
; %bb.1665:                             ;   in Loop: Header=BB306_934 Depth=1
	v_ffbh_u32_e32 v0, v0
	v_min_u32_e32 v0, 32, v0
	v_subrev_nc_u32_e32 v16, 28, v0
	v_lshlrev_b64 v[26:27], v16, v[11:12]
	v_sub_nc_u32_e32 v16, 29, v0
	v_and_b32_e32 v0, 7, v26
; %bb.1666:                             ;   in Loop: Header=BB306_934 Depth=1
	s_or_b32 exec_lo, exec_lo, s20
	v_lshlrev_b32_e32 v26, 8, v11
	v_lshl_add_u32 v16, v16, 10, 0x2000
	v_lshlrev_b32_e32 v0, 7, v0
	v_and_b32_e32 v26, 0x8000, v26
	v_and_b32_e32 v16, 0xfc00, v16
	v_or3_b32 v51, v26, v16, v0
.LBB306_1667:                           ;   in Loop: Header=BB306_934 Depth=1
	s_or_b32 exec_lo, exec_lo, s18
.LBB306_1668:                           ;   in Loop: Header=BB306_934 Depth=1
	s_or_b32 exec_lo, exec_lo, s17
.LBB306_1669:                           ;   in Loop: Header=BB306_934 Depth=1
	s_or_b32 exec_lo, exec_lo, s16
	v_lshrrev_b16 v0, 8, v11
	s_mov_b32 s16, exec_lo
	v_cmpx_ne_u16_e32 0, v0
	s_cbranch_execz .LBB306_1677
; %bb.1670:                             ;   in Loop: Header=BB306_934 Depth=1
	v_bfrev_b32_e32 v50, 1
	s_mov_b32 s17, exec_lo
	v_cmpx_ne_u16_e32 0x80, v0
	s_cbranch_execz .LBB306_1676
; %bb.1671:                             ;   in Loop: Header=BB306_934 Depth=1
	v_and_b32_sdwa v27, v0, v53 dst_sel:DWORD dst_unused:UNUSED_PAD src0_sel:WORD_0 src1_sel:DWORD
	v_mov_b32_e32 v50, 0x7c010000
	s_mov_b32 s18, exec_lo
	v_cmpx_ne_u32_e32 0x7f, v27
	s_cbranch_execz .LBB306_1675
; %bb.1672:                             ;   in Loop: Header=BB306_934 Depth=1
	v_and_b32_sdwa v16, v0, v54 dst_sel:DWORD dst_unused:UNUSED_PAD src0_sel:WORD_0 src1_sel:DWORD
	v_lshrrev_b32_e32 v26, 3, v27
	s_mov_b32 s20, exec_lo
	v_cmpx_gt_u32_e32 8, v27
; %bb.1673:                             ;   in Loop: Header=BB306_934 Depth=1
	v_ffbh_u32_e32 v16, v16
	v_min_u32_e32 v16, 32, v16
	v_subrev_nc_u32_e32 v26, 28, v16
	v_lshlrev_b64 v[40:41], v26, v[0:1]
	v_sub_nc_u32_e32 v26, 29, v16
	v_and_b32_e32 v16, 7, v40
; %bb.1674:                             ;   in Loop: Header=BB306_934 Depth=1
	s_or_b32 exec_lo, exec_lo, s20
	v_lshlrev_b32_sdwa v0, v69, v0 dst_sel:DWORD dst_unused:UNUSED_PAD src0_sel:DWORD src1_sel:WORD_0
	v_lshl_add_u32 v26, v26, 10, 0x2000
	v_lshlrev_b32_e32 v16, 23, v16
	v_and_or_b32 v0, 0x8000, v0, v26
	v_lshl_or_b32 v50, v0, 16, v16
.LBB306_1675:                           ;   in Loop: Header=BB306_934 Depth=1
	s_or_b32 exec_lo, exec_lo, s18
.LBB306_1676:                           ;   in Loop: Header=BB306_934 Depth=1
	s_or_b32 exec_lo, exec_lo, s17
.LBB306_1677:                           ;   in Loop: Header=BB306_934 Depth=1
	s_or_b32 exec_lo, exec_lo, s16
	v_lshrrev_b32_e32 v0, 16, v11
	v_mov_b32_e32 v119, 0
	v_mov_b32_e32 v40, 0
	v_cmp_ne_u16_sdwa s4, v0, v1 src0_sel:BYTE_0 src1_sel:DWORD
	s_and_saveexec_b32 s16, s4
	s_cbranch_execz .LBB306_1685
; %bb.1678:                             ;   in Loop: Header=BB306_934 Depth=1
	v_cmp_ne_u16_sdwa s4, v0, v17 src0_sel:BYTE_0 src1_sel:DWORD
	v_mov_b32_e32 v40, 0x8000
	s_and_saveexec_b32 s17, s4
	s_cbranch_execz .LBB306_1684
; %bb.1679:                             ;   in Loop: Header=BB306_934 Depth=1
	v_bfe_u32 v27, v11, 16, 7
	v_mov_b32_e32 v40, 0x7c01
	s_mov_b32 s18, exec_lo
	v_cmpx_ne_u32_e32 0x7f, v27
	s_cbranch_execz .LBB306_1683
; %bb.1680:                             ;   in Loop: Header=BB306_934 Depth=1
	v_and_b32_e32 v16, 7, v0
	v_lshrrev_b32_e32 v26, 3, v27
	s_mov_b32 s20, exec_lo
	v_cmpx_gt_u32_e32 8, v27
; %bb.1681:                             ;   in Loop: Header=BB306_934 Depth=1
	v_ffbh_u32_e32 v16, v16
	v_min_u32_e32 v16, 32, v16
	v_subrev_nc_u32_e32 v26, 28, v16
	v_lshlrev_b64 v[40:41], v26, v[0:1]
	v_sub_nc_u32_e32 v26, 29, v16
	v_and_b32_e32 v16, 7, v40
; %bb.1682:                             ;   in Loop: Header=BB306_934 Depth=1
	s_or_b32 exec_lo, exec_lo, s20
	v_lshlrev_b32_e32 v0, 8, v0
	v_lshl_add_u32 v26, v26, 10, 0x2000
	v_lshlrev_b32_e32 v16, 7, v16
	v_and_b32_e32 v0, 0x8000, v0
	v_and_b32_e32 v26, 0xfc00, v26
	v_or3_b32 v40, v0, v26, v16
.LBB306_1683:                           ;   in Loop: Header=BB306_934 Depth=1
	s_or_b32 exec_lo, exec_lo, s18
.LBB306_1684:                           ;   in Loop: Header=BB306_934 Depth=1
	s_or_b32 exec_lo, exec_lo, s17
.LBB306_1685:                           ;   in Loop: Header=BB306_934 Depth=1
	s_or_b32 exec_lo, exec_lo, s16
	s_mov_b32 s16, exec_lo
	v_cmpx_lt_u32_e32 0xffffff, v11
	s_cbranch_execz .LBB306_1693
; %bb.1686:                             ;   in Loop: Header=BB306_934 Depth=1
	v_lshrrev_b32_e32 v0, 24, v11
	v_bfrev_b32_e32 v119, 1
	s_mov_b32 s17, exec_lo
	v_cmpx_ne_u32_e32 0x80, v0
	s_cbranch_execz .LBB306_1692
; %bb.1687:                             ;   in Loop: Header=BB306_934 Depth=1
	v_and_b32_e32 v27, 0x7f, v0
	v_mov_b32_e32 v119, 0x7c010000
	s_mov_b32 s18, exec_lo
	v_cmpx_ne_u32_e32 0x7f, v27
	s_cbranch_execz .LBB306_1691
; %bb.1688:                             ;   in Loop: Header=BB306_934 Depth=1
	v_and_b32_e32 v16, 7, v0
	v_lshrrev_b32_e32 v26, 3, v27
	s_mov_b32 s20, exec_lo
	v_cmpx_gt_u32_e32 8, v27
; %bb.1689:                             ;   in Loop: Header=BB306_934 Depth=1
	v_ffbh_u32_e32 v16, v16
	v_min_u32_e32 v16, 32, v16
	v_subrev_nc_u32_e32 v26, 28, v16
	v_lshlrev_b64 v[41:42], v26, v[0:1]
	v_sub_nc_u32_e32 v26, 29, v16
	v_and_b32_e32 v16, 7, v41
; %bb.1690:                             ;   in Loop: Header=BB306_934 Depth=1
	s_or_b32 exec_lo, exec_lo, s20
	v_lshlrev_b32_e32 v0, 8, v0
	v_lshl_add_u32 v26, v26, 10, 0x2000
	v_lshlrev_b32_e32 v16, 23, v16
	v_and_or_b32 v0, 0x8000, v0, v26
	v_lshl_or_b32 v119, v0, 16, v16
.LBB306_1691:                           ;   in Loop: Header=BB306_934 Depth=1
	s_or_b32 exec_lo, exec_lo, s18
.LBB306_1692:                           ;   in Loop: Header=BB306_934 Depth=1
	s_or_b32 exec_lo, exec_lo, s17
.LBB306_1693:                           ;   in Loop: Header=BB306_934 Depth=1
	s_or_b32 exec_lo, exec_lo, s16
	v_mov_b32_e32 v0, v12
	v_cmp_ne_u16_sdwa s4, v12, v1 src0_sel:BYTE_0 src1_sel:DWORD
	v_mov_b32_e32 v16, 0
	v_mov_b32_e32 v26, 0
	s_and_saveexec_b32 s16, s4
	s_cbranch_execz .LBB306_1701
; %bb.1694:                             ;   in Loop: Header=BB306_934 Depth=1
	v_cmp_ne_u16_sdwa s4, v12, v17 src0_sel:BYTE_0 src1_sel:DWORD
	v_mov_b32_e32 v26, 0x8000
	s_and_saveexec_b32 s17, s4
	s_cbranch_execz .LBB306_1700
; %bb.1695:                             ;   in Loop: Header=BB306_934 Depth=1
	v_and_b32_e32 v41, 0x7f, v12
	v_mov_b32_e32 v26, 0x7c01
	s_mov_b32 s18, exec_lo
	v_cmpx_ne_u32_e32 0x7f, v41
	s_cbranch_execz .LBB306_1699
; %bb.1696:                             ;   in Loop: Header=BB306_934 Depth=1
	v_and_b32_e32 v26, 7, v12
	v_lshrrev_b32_e32 v27, 3, v41
	s_mov_b32 s20, exec_lo
	v_cmpx_gt_u32_e32 8, v41
; %bb.1697:                             ;   in Loop: Header=BB306_934 Depth=1
	v_ffbh_u32_e32 v26, v26
	v_min_u32_e32 v39, 32, v26
	v_subrev_nc_u32_e32 v26, 28, v39
	v_lshlrev_b64 v[26:27], v26, v[0:1]
	v_sub_nc_u32_e32 v27, 29, v39
	v_and_b32_e32 v26, 7, v26
; %bb.1698:                             ;   in Loop: Header=BB306_934 Depth=1
	s_or_b32 exec_lo, exec_lo, s20
	v_lshlrev_b32_e32 v39, 8, v12
	v_lshl_add_u32 v27, v27, 10, 0x2000
	v_lshlrev_b32_e32 v26, 7, v26
	v_and_b32_e32 v39, 0x8000, v39
	v_and_b32_e32 v27, 0xfc00, v27
	v_or3_b32 v26, v39, v27, v26
.LBB306_1699:                           ;   in Loop: Header=BB306_934 Depth=1
	s_or_b32 exec_lo, exec_lo, s18
.LBB306_1700:                           ;   in Loop: Header=BB306_934 Depth=1
	s_or_b32 exec_lo, exec_lo, s17
.LBB306_1701:                           ;   in Loop: Header=BB306_934 Depth=1
	s_or_b32 exec_lo, exec_lo, s16
	v_lshrrev_b16 v0, 8, v0
	v_mov_b32_e32 v27, 0
	s_mov_b32 s16, exec_lo
	v_cmpx_ne_u16_e32 0, v0
	s_cbranch_execz .LBB306_1709
; %bb.1702:                             ;   in Loop: Header=BB306_934 Depth=1
	v_bfrev_b32_e32 v27, 1
	s_mov_b32 s17, exec_lo
	v_cmpx_ne_u16_e32 0x80, v0
	s_cbranch_execz .LBB306_1708
; %bb.1703:                             ;   in Loop: Header=BB306_934 Depth=1
	v_and_b32_sdwa v42, v0, v53 dst_sel:DWORD dst_unused:UNUSED_PAD src0_sel:WORD_0 src1_sel:DWORD
	v_mov_b32_e32 v27, 0x7c010000
	s_mov_b32 s18, exec_lo
	v_cmpx_ne_u32_e32 0x7f, v42
	s_cbranch_execz .LBB306_1707
; %bb.1704:                             ;   in Loop: Header=BB306_934 Depth=1
	v_and_b32_sdwa v27, v0, v54 dst_sel:DWORD dst_unused:UNUSED_PAD src0_sel:WORD_0 src1_sel:DWORD
	v_lshrrev_b32_e32 v41, 3, v42
	s_mov_b32 s20, exec_lo
	v_cmpx_gt_u32_e32 8, v42
; %bb.1705:                             ;   in Loop: Header=BB306_934 Depth=1
	v_ffbh_u32_e32 v27, v27
	v_min_u32_e32 v27, 32, v27
	v_subrev_nc_u32_e32 v39, 28, v27
	v_sub_nc_u32_e32 v41, 29, v27
	v_lshlrev_b64 v[42:43], v39, v[0:1]
	v_and_b32_e32 v27, 7, v42
; %bb.1706:                             ;   in Loop: Header=BB306_934 Depth=1
	s_or_b32 exec_lo, exec_lo, s20
	v_lshlrev_b32_sdwa v0, v69, v0 dst_sel:DWORD dst_unused:UNUSED_PAD src0_sel:DWORD src1_sel:WORD_0
	v_lshl_add_u32 v39, v41, 10, 0x2000
	v_lshlrev_b32_e32 v27, 23, v27
	v_and_or_b32 v0, 0x8000, v0, v39
	v_lshl_or_b32 v27, v0, 16, v27
.LBB306_1707:                           ;   in Loop: Header=BB306_934 Depth=1
	s_or_b32 exec_lo, exec_lo, s18
.LBB306_1708:                           ;   in Loop: Header=BB306_934 Depth=1
	s_or_b32 exec_lo, exec_lo, s17
.LBB306_1709:                           ;   in Loop: Header=BB306_934 Depth=1
	s_or_b32 exec_lo, exec_lo, s16
	v_lshrrev_b32_e32 v0, 16, v12
	v_cmp_ne_u16_sdwa s4, v0, v1 src0_sel:BYTE_0 src1_sel:DWORD
	s_and_saveexec_b32 s16, s4
	s_cbranch_execz .LBB306_1717
; %bb.1710:                             ;   in Loop: Header=BB306_934 Depth=1
	v_cmp_ne_u16_sdwa s4, v0, v17 src0_sel:BYTE_0 src1_sel:DWORD
	v_mov_b32_e32 v16, 0x8000
	s_and_saveexec_b32 s17, s4
	s_cbranch_execz .LBB306_1716
; %bb.1711:                             ;   in Loop: Header=BB306_934 Depth=1
	v_bfe_u32 v42, v12, 16, 7
	v_mov_b32_e32 v16, 0x7c01
	s_mov_b32 s18, exec_lo
	v_cmpx_ne_u32_e32 0x7f, v42
	s_cbranch_execz .LBB306_1715
; %bb.1712:                             ;   in Loop: Header=BB306_934 Depth=1
	v_and_b32_e32 v16, 7, v0
	v_lshrrev_b32_e32 v41, 3, v42
	s_mov_b32 s20, exec_lo
	v_cmpx_gt_u32_e32 8, v42
; %bb.1713:                             ;   in Loop: Header=BB306_934 Depth=1
	v_ffbh_u32_e32 v16, v16
	v_min_u32_e32 v16, 32, v16
	v_subrev_nc_u32_e32 v39, 28, v16
	v_sub_nc_u32_e32 v41, 29, v16
	v_lshlrev_b64 v[42:43], v39, v[0:1]
	v_and_b32_e32 v16, 7, v42
; %bb.1714:                             ;   in Loop: Header=BB306_934 Depth=1
	s_or_b32 exec_lo, exec_lo, s20
	v_lshlrev_b32_e32 v0, 8, v0
	v_lshl_add_u32 v39, v41, 10, 0x2000
	v_lshlrev_b32_e32 v16, 7, v16
	v_and_b32_e32 v0, 0x8000, v0
	v_and_b32_e32 v39, 0xfc00, v39
	v_or3_b32 v16, v0, v39, v16
.LBB306_1715:                           ;   in Loop: Header=BB306_934 Depth=1
	s_or_b32 exec_lo, exec_lo, s18
.LBB306_1716:                           ;   in Loop: Header=BB306_934 Depth=1
	s_or_b32 exec_lo, exec_lo, s17
.LBB306_1717:                           ;   in Loop: Header=BB306_934 Depth=1
	s_or_b32 exec_lo, exec_lo, s16
	v_cmp_lt_u64_e64 s4, s[12:13], v[11:12]
	v_mov_b32_e32 v11, 0
	s_and_saveexec_b32 s16, s4
	s_cbranch_execz .LBB306_1725
; %bb.1718:                             ;   in Loop: Header=BB306_934 Depth=1
	v_lshrrev_b32_e32 v0, 24, v12
	v_bfrev_b32_e32 v11, 1
	s_mov_b32 s17, exec_lo
	v_cmpx_ne_u32_e32 0x80, v0
	s_cbranch_execz .LBB306_1724
; %bb.1719:                             ;   in Loop: Header=BB306_934 Depth=1
	v_and_b32_e32 v41, 0x7f, v0
	v_mov_b32_e32 v11, 0x7c010000
	s_mov_b32 s18, exec_lo
	v_cmpx_ne_u32_e32 0x7f, v41
	s_cbranch_execz .LBB306_1723
; %bb.1720:                             ;   in Loop: Header=BB306_934 Depth=1
	v_and_b32_e32 v11, 7, v0
	v_lshrrev_b32_e32 v12, 3, v41
	s_mov_b32 s20, exec_lo
	v_cmpx_gt_u32_e32 8, v41
; %bb.1721:                             ;   in Loop: Header=BB306_934 Depth=1
	v_ffbh_u32_e32 v11, v11
	v_min_u32_e32 v39, 32, v11
	v_subrev_nc_u32_e32 v11, 28, v39
	v_lshlrev_b64 v[11:12], v11, v[0:1]
	v_sub_nc_u32_e32 v12, 29, v39
	v_and_b32_e32 v11, 7, v11
; %bb.1722:                             ;   in Loop: Header=BB306_934 Depth=1
	s_or_b32 exec_lo, exec_lo, s20
	v_lshlrev_b32_e32 v0, 8, v0
	v_lshl_add_u32 v12, v12, 10, 0x2000
	v_lshlrev_b32_e32 v11, 23, v11
	v_and_or_b32 v0, 0x8000, v0, v12
	v_lshl_or_b32 v11, v0, 16, v11
.LBB306_1723:                           ;   in Loop: Header=BB306_934 Depth=1
	s_or_b32 exec_lo, exec_lo, s18
.LBB306_1724:                           ;   in Loop: Header=BB306_934 Depth=1
	s_or_b32 exec_lo, exec_lo, s17
.LBB306_1725:                           ;   in Loop: Header=BB306_934 Depth=1
	s_or_b32 exec_lo, exec_lo, s16
	v_or_b32_e32 v0, v119, v40
	s_waitcnt vmcnt(0) lgkmcnt(0)
	v_fma_mixlo_f16 v12, v49, v119, 0 op_sel:[0,1,0] op_sel_hi:[0,1,0]
	v_or_b32_e32 v39, v50, v51
	v_or_b32_e32 v26, v27, v26
	;; [unrolled: 1-line block ×3, first 2 shown]
	v_fma_mixlo_f16 v51, v49, v0, 0 op_sel_hi:[0,1,0]
	v_fma_mixlo_f16 v50, v49, v50, 0 op_sel:[0,1,0] op_sel_hi:[0,1,0]
	v_lshlrev_b32_e32 v0, 16, v12
	v_fma_mixlo_f16 v39, v49, v39, 0 op_sel_hi:[0,1,0]
	v_fma_mixlo_f16 v27, v49, v27, 0 op_sel:[0,1,0] op_sel_hi:[0,1,0]
	v_and_b32_e32 v12, 0xffff, v51
	v_fma_mixlo_f16 v26, v49, v26, 0 op_sel_hi:[0,1,0]
	v_fma_mixlo_f16 v11, v49, v11, 0 op_sel:[0,1,0] op_sel_hi:[0,1,0]
	v_fma_mixlo_f16 v51, v49, v16, 0 op_sel_hi:[0,1,0]
	v_lshlrev_b32_e32 v50, 16, v50
	v_and_b32_e32 v41, 0xffff, v39
	v_lshlrev_b32_e32 v16, 16, v27
	v_and_b32_e32 v49, 0xffff, v26
	;; [unrolled: 2-line block ×3, first 2 shown]
	v_or_b32_e32 v27, v0, v12
	v_or_b32_e32 v40, v50, v41
	;; [unrolled: 1-line block ×4, first 2 shown]
	s_and_saveexec_b32 s16, vcc_lo
	s_cbranch_execz .LBB306_1727
; %bb.1726:                             ;   in Loop: Header=BB306_934 Depth=1
	v_cmp_lt_i32_e64 s4, v18, v36
	v_cndmask_b32_e64 v27, 0, v41, s4
	v_cmp_lt_i32_e64 s4, v98, v36
	v_cndmask_b32_e64 v39, 0, v50, s4
	v_cmp_lt_i32_e64 s4, v97, v36
	v_or_b32_e32 v40, v27, v39
	v_cndmask_b32_e64 v12, 0, v12, s4
	v_cmp_lt_i32_e64 s4, v96, v36
	v_cndmask_b32_e64 v0, 0, v0, s4
	v_cmp_lt_i32_e64 s4, v87, v36
	v_or_b32_e32 v27, v12, v0
	;; [unrolled: 5-line block ×3, first 2 shown]
	v_cndmask_b32_e64 v26, 0, v26, s4
	v_cmp_lt_i32_e64 s4, v84, v36
	v_cndmask_b32_e64 v11, 0, v11, s4
	v_or_b32_e32 v51, v26, v11
.LBB306_1727:                           ;   in Loop: Header=BB306_934 Depth=1
	s_or_b32 exec_lo, exec_lo, s16
	;;#ASMSTART
	v_pk_mul_f16 v0, v83, v40;

	;;#ASMEND
	;;#ASMSTART
	v_pk_mul_f16 v11, v82, v27;

	;;#ASMEND
	;; [unrolled: 4-line block ×4, first 2 shown]
	;;#ASMSTART
	v_pk_add_f16 v0, v0, v11;

	;;#ASMEND
	;;#ASMSTART
	v_pk_add_f16 v0, v0, v12;

	;;#ASMEND
	;; [unrolled: 4-line block ×3, first 2 shown]
	v_and_b32_e32 v11, 0xffff, v0
	v_lshrrev_b32_e32 v0, 16, v0
	;;#ASMSTART
	v_cvt_f32_f16 v49, v11;
	;;#ASMEND
	;;#ASMSTART
	v_cvt_f32_f16 v50, v0;
	;;#ASMEND
	flat_load_dwordx2 v[11:12], v[9:10] offset:1024
	s_clause 0x1
	buffer_load_dword v26, off, s[0:3], s32 offset:200
	buffer_load_dword v27, off, s[0:3], s32 offset:204
	v_mov_b32_e32 v119, 0
	v_mov_b32_e32 v40, 0
	s_waitcnt vmcnt(2) lgkmcnt(0)
	v_cmp_ne_u16_sdwa s4, v11, v1 src0_sel:BYTE_0 src1_sel:DWORD
	s_waitcnt vmcnt(0)
	flat_load_dword v51, v[26:27]
	s_and_saveexec_b32 s16, s4
	s_cbranch_execz .LBB306_1735
; %bb.1728:                             ;   in Loop: Header=BB306_934 Depth=1
	v_cmp_ne_u16_sdwa s4, v11, v17 src0_sel:BYTE_0 src1_sel:DWORD
	v_mov_b32_e32 v40, 0x8000
	s_and_saveexec_b32 s17, s4
	s_cbranch_execz .LBB306_1734
; %bb.1729:                             ;   in Loop: Header=BB306_934 Depth=1
	v_and_b32_e32 v26, 0x7f, v11
	v_mov_b32_e32 v40, 0x7c01
	s_mov_b32 s18, exec_lo
	v_cmpx_ne_u32_e32 0x7f, v26
	s_cbranch_execz .LBB306_1733
; %bb.1730:                             ;   in Loop: Header=BB306_934 Depth=1
	v_and_b32_e32 v0, 7, v11
	v_lshrrev_b32_e32 v16, 3, v26
	s_mov_b32 s20, exec_lo
	v_cmpx_gt_u32_e32 8, v26
; %bb.1731:                             ;   in Loop: Header=BB306_934 Depth=1
	v_ffbh_u32_e32 v0, v0
	v_min_u32_e32 v0, 32, v0
	v_subrev_nc_u32_e32 v16, 28, v0
	v_lshlrev_b64 v[26:27], v16, v[11:12]
	v_sub_nc_u32_e32 v16, 29, v0
	v_and_b32_e32 v0, 7, v26
; %bb.1732:                             ;   in Loop: Header=BB306_934 Depth=1
	s_or_b32 exec_lo, exec_lo, s20
	v_lshlrev_b32_e32 v26, 8, v11
	v_lshl_add_u32 v16, v16, 10, 0x2000
	v_lshlrev_b32_e32 v0, 7, v0
	v_and_b32_e32 v26, 0x8000, v26
	v_and_b32_e32 v16, 0xfc00, v16
	v_or3_b32 v40, v26, v16, v0
.LBB306_1733:                           ;   in Loop: Header=BB306_934 Depth=1
	s_or_b32 exec_lo, exec_lo, s18
.LBB306_1734:                           ;   in Loop: Header=BB306_934 Depth=1
	s_or_b32 exec_lo, exec_lo, s17
.LBB306_1735:                           ;   in Loop: Header=BB306_934 Depth=1
	s_or_b32 exec_lo, exec_lo, s16
	v_lshrrev_b16 v0, 8, v11
	s_mov_b32 s16, exec_lo
	v_cmpx_ne_u16_e32 0, v0
	s_cbranch_execz .LBB306_1743
; %bb.1736:                             ;   in Loop: Header=BB306_934 Depth=1
	v_bfrev_b32_e32 v119, 1
	s_mov_b32 s17, exec_lo
	v_cmpx_ne_u16_e32 0x80, v0
	s_cbranch_execz .LBB306_1742
; %bb.1737:                             ;   in Loop: Header=BB306_934 Depth=1
	v_and_b32_sdwa v27, v0, v53 dst_sel:DWORD dst_unused:UNUSED_PAD src0_sel:WORD_0 src1_sel:DWORD
	v_mov_b32_e32 v119, 0x7c010000
	s_mov_b32 s18, exec_lo
	v_cmpx_ne_u32_e32 0x7f, v27
	s_cbranch_execz .LBB306_1741
; %bb.1738:                             ;   in Loop: Header=BB306_934 Depth=1
	v_and_b32_sdwa v16, v0, v54 dst_sel:DWORD dst_unused:UNUSED_PAD src0_sel:WORD_0 src1_sel:DWORD
	v_lshrrev_b32_e32 v26, 3, v27
	s_mov_b32 s20, exec_lo
	v_cmpx_gt_u32_e32 8, v27
; %bb.1739:                             ;   in Loop: Header=BB306_934 Depth=1
	v_ffbh_u32_e32 v16, v16
	v_min_u32_e32 v16, 32, v16
	v_subrev_nc_u32_e32 v26, 28, v16
	v_lshlrev_b64 v[41:42], v26, v[0:1]
	v_sub_nc_u32_e32 v26, 29, v16
	v_and_b32_e32 v16, 7, v41
; %bb.1740:                             ;   in Loop: Header=BB306_934 Depth=1
	s_or_b32 exec_lo, exec_lo, s20
	v_lshlrev_b32_sdwa v0, v69, v0 dst_sel:DWORD dst_unused:UNUSED_PAD src0_sel:DWORD src1_sel:WORD_0
	v_lshl_add_u32 v26, v26, 10, 0x2000
	v_lshlrev_b32_e32 v16, 23, v16
	v_and_or_b32 v0, 0x8000, v0, v26
	v_lshl_or_b32 v119, v0, 16, v16
.LBB306_1741:                           ;   in Loop: Header=BB306_934 Depth=1
	s_or_b32 exec_lo, exec_lo, s18
.LBB306_1742:                           ;   in Loop: Header=BB306_934 Depth=1
	s_or_b32 exec_lo, exec_lo, s17
.LBB306_1743:                           ;   in Loop: Header=BB306_934 Depth=1
	s_or_b32 exec_lo, exec_lo, s16
	v_lshrrev_b32_e32 v0, 16, v11
	v_mov_b32_e32 v41, 0
	v_mov_b32_e32 v42, 0
	v_cmp_ne_u16_sdwa s4, v0, v1 src0_sel:BYTE_0 src1_sel:DWORD
	s_and_saveexec_b32 s16, s4
	s_cbranch_execz .LBB306_1751
; %bb.1744:                             ;   in Loop: Header=BB306_934 Depth=1
	v_cmp_ne_u16_sdwa s4, v0, v17 src0_sel:BYTE_0 src1_sel:DWORD
	v_mov_b32_e32 v42, 0x8000
	s_and_saveexec_b32 s17, s4
	s_cbranch_execz .LBB306_1750
; %bb.1745:                             ;   in Loop: Header=BB306_934 Depth=1
	v_bfe_u32 v27, v11, 16, 7
	v_mov_b32_e32 v42, 0x7c01
	s_mov_b32 s18, exec_lo
	v_cmpx_ne_u32_e32 0x7f, v27
	s_cbranch_execz .LBB306_1749
; %bb.1746:                             ;   in Loop: Header=BB306_934 Depth=1
	v_and_b32_e32 v16, 7, v0
	v_lshrrev_b32_e32 v26, 3, v27
	s_mov_b32 s20, exec_lo
	v_cmpx_gt_u32_e32 8, v27
; %bb.1747:                             ;   in Loop: Header=BB306_934 Depth=1
	v_ffbh_u32_e32 v16, v16
	v_min_u32_e32 v16, 32, v16
	v_subrev_nc_u32_e32 v26, 28, v16
	v_lshlrev_b64 v[42:43], v26, v[0:1]
	v_sub_nc_u32_e32 v26, 29, v16
	v_and_b32_e32 v16, 7, v42
; %bb.1748:                             ;   in Loop: Header=BB306_934 Depth=1
	s_or_b32 exec_lo, exec_lo, s20
	v_lshlrev_b32_e32 v0, 8, v0
	v_lshl_add_u32 v26, v26, 10, 0x2000
	v_lshlrev_b32_e32 v16, 7, v16
	v_and_b32_e32 v0, 0x8000, v0
	v_and_b32_e32 v26, 0xfc00, v26
	v_or3_b32 v42, v0, v26, v16
.LBB306_1749:                           ;   in Loop: Header=BB306_934 Depth=1
	s_or_b32 exec_lo, exec_lo, s18
.LBB306_1750:                           ;   in Loop: Header=BB306_934 Depth=1
	s_or_b32 exec_lo, exec_lo, s17
.LBB306_1751:                           ;   in Loop: Header=BB306_934 Depth=1
	s_or_b32 exec_lo, exec_lo, s16
	s_mov_b32 s16, exec_lo
	v_cmpx_lt_u32_e32 0xffffff, v11
	s_cbranch_execz .LBB306_1759
; %bb.1752:                             ;   in Loop: Header=BB306_934 Depth=1
	v_lshrrev_b32_e32 v0, 24, v11
	v_bfrev_b32_e32 v41, 1
	s_mov_b32 s17, exec_lo
	v_cmpx_ne_u32_e32 0x80, v0
	s_cbranch_execz .LBB306_1758
; %bb.1753:                             ;   in Loop: Header=BB306_934 Depth=1
	v_and_b32_e32 v27, 0x7f, v0
	v_mov_b32_e32 v41, 0x7c010000
	s_mov_b32 s18, exec_lo
	v_cmpx_ne_u32_e32 0x7f, v27
	s_cbranch_execz .LBB306_1757
; %bb.1754:                             ;   in Loop: Header=BB306_934 Depth=1
	v_and_b32_e32 v16, 7, v0
	v_lshrrev_b32_e32 v26, 3, v27
	s_mov_b32 s20, exec_lo
	v_cmpx_gt_u32_e32 8, v27
; %bb.1755:                             ;   in Loop: Header=BB306_934 Depth=1
	v_ffbh_u32_e32 v16, v16
	v_min_u32_e32 v16, 32, v16
	v_subrev_nc_u32_e32 v26, 28, v16
	v_lshlrev_b64 v[43:44], v26, v[0:1]
	v_sub_nc_u32_e32 v26, 29, v16
	v_and_b32_e32 v16, 7, v43
; %bb.1756:                             ;   in Loop: Header=BB306_934 Depth=1
	s_or_b32 exec_lo, exec_lo, s20
	v_lshlrev_b32_e32 v0, 8, v0
	v_lshl_add_u32 v26, v26, 10, 0x2000
	v_lshlrev_b32_e32 v16, 23, v16
	v_and_or_b32 v0, 0x8000, v0, v26
	v_lshl_or_b32 v41, v0, 16, v16
.LBB306_1757:                           ;   in Loop: Header=BB306_934 Depth=1
	s_or_b32 exec_lo, exec_lo, s18
.LBB306_1758:                           ;   in Loop: Header=BB306_934 Depth=1
	s_or_b32 exec_lo, exec_lo, s17
.LBB306_1759:                           ;   in Loop: Header=BB306_934 Depth=1
	s_or_b32 exec_lo, exec_lo, s16
	v_mov_b32_e32 v0, v12
	v_cmp_ne_u16_sdwa s4, v12, v1 src0_sel:BYTE_0 src1_sel:DWORD
	v_mov_b32_e32 v16, 0
	v_mov_b32_e32 v26, 0
	s_and_saveexec_b32 s16, s4
	s_cbranch_execz .LBB306_1767
; %bb.1760:                             ;   in Loop: Header=BB306_934 Depth=1
	v_cmp_ne_u16_sdwa s4, v12, v17 src0_sel:BYTE_0 src1_sel:DWORD
	v_mov_b32_e32 v26, 0x8000
	s_and_saveexec_b32 s17, s4
	s_cbranch_execz .LBB306_1766
; %bb.1761:                             ;   in Loop: Header=BB306_934 Depth=1
	v_and_b32_e32 v43, 0x7f, v12
	v_mov_b32_e32 v26, 0x7c01
	s_mov_b32 s18, exec_lo
	v_cmpx_ne_u32_e32 0x7f, v43
	s_cbranch_execz .LBB306_1765
; %bb.1762:                             ;   in Loop: Header=BB306_934 Depth=1
	v_and_b32_e32 v26, 7, v12
	v_lshrrev_b32_e32 v27, 3, v43
	s_mov_b32 s20, exec_lo
	v_cmpx_gt_u32_e32 8, v43
; %bb.1763:                             ;   in Loop: Header=BB306_934 Depth=1
	v_ffbh_u32_e32 v26, v26
	v_min_u32_e32 v39, 32, v26
	v_subrev_nc_u32_e32 v26, 28, v39
	v_lshlrev_b64 v[26:27], v26, v[0:1]
	v_sub_nc_u32_e32 v27, 29, v39
	v_and_b32_e32 v26, 7, v26
; %bb.1764:                             ;   in Loop: Header=BB306_934 Depth=1
	s_or_b32 exec_lo, exec_lo, s20
	v_lshlrev_b32_e32 v39, 8, v12
	v_lshl_add_u32 v27, v27, 10, 0x2000
	v_lshlrev_b32_e32 v26, 7, v26
	v_and_b32_e32 v39, 0x8000, v39
	v_and_b32_e32 v27, 0xfc00, v27
	v_or3_b32 v26, v39, v27, v26
.LBB306_1765:                           ;   in Loop: Header=BB306_934 Depth=1
	s_or_b32 exec_lo, exec_lo, s18
.LBB306_1766:                           ;   in Loop: Header=BB306_934 Depth=1
	s_or_b32 exec_lo, exec_lo, s17
.LBB306_1767:                           ;   in Loop: Header=BB306_934 Depth=1
	s_or_b32 exec_lo, exec_lo, s16
	v_lshrrev_b16 v0, 8, v0
	v_mov_b32_e32 v27, 0
	s_mov_b32 s16, exec_lo
	v_cmpx_ne_u16_e32 0, v0
	s_cbranch_execz .LBB306_1775
; %bb.1768:                             ;   in Loop: Header=BB306_934 Depth=1
	v_bfrev_b32_e32 v27, 1
	s_mov_b32 s17, exec_lo
	v_cmpx_ne_u16_e32 0x80, v0
	s_cbranch_execz .LBB306_1774
; %bb.1769:                             ;   in Loop: Header=BB306_934 Depth=1
	v_and_b32_sdwa v44, v0, v53 dst_sel:DWORD dst_unused:UNUSED_PAD src0_sel:WORD_0 src1_sel:DWORD
	v_mov_b32_e32 v27, 0x7c010000
	s_mov_b32 s18, exec_lo
	v_cmpx_ne_u32_e32 0x7f, v44
	s_cbranch_execz .LBB306_1773
; %bb.1770:                             ;   in Loop: Header=BB306_934 Depth=1
	v_and_b32_sdwa v27, v0, v54 dst_sel:DWORD dst_unused:UNUSED_PAD src0_sel:WORD_0 src1_sel:DWORD
	v_lshrrev_b32_e32 v43, 3, v44
	s_mov_b32 s20, exec_lo
	v_cmpx_gt_u32_e32 8, v44
; %bb.1771:                             ;   in Loop: Header=BB306_934 Depth=1
	v_ffbh_u32_e32 v27, v27
	v_min_u32_e32 v27, 32, v27
	v_subrev_nc_u32_e32 v39, 28, v27
	v_sub_nc_u32_e32 v43, 29, v27
	v_lshlrev_b64 v[44:45], v39, v[0:1]
	v_and_b32_e32 v27, 7, v44
; %bb.1772:                             ;   in Loop: Header=BB306_934 Depth=1
	s_or_b32 exec_lo, exec_lo, s20
	v_lshlrev_b32_sdwa v0, v69, v0 dst_sel:DWORD dst_unused:UNUSED_PAD src0_sel:DWORD src1_sel:WORD_0
	v_lshl_add_u32 v39, v43, 10, 0x2000
	v_lshlrev_b32_e32 v27, 23, v27
	v_and_or_b32 v0, 0x8000, v0, v39
	v_lshl_or_b32 v27, v0, 16, v27
.LBB306_1773:                           ;   in Loop: Header=BB306_934 Depth=1
	s_or_b32 exec_lo, exec_lo, s18
.LBB306_1774:                           ;   in Loop: Header=BB306_934 Depth=1
	s_or_b32 exec_lo, exec_lo, s17
.LBB306_1775:                           ;   in Loop: Header=BB306_934 Depth=1
	s_or_b32 exec_lo, exec_lo, s16
	v_lshrrev_b32_e32 v0, 16, v12
	v_cmp_ne_u16_sdwa s4, v0, v1 src0_sel:BYTE_0 src1_sel:DWORD
	s_and_saveexec_b32 s16, s4
	s_cbranch_execz .LBB306_1783
; %bb.1776:                             ;   in Loop: Header=BB306_934 Depth=1
	v_cmp_ne_u16_sdwa s4, v0, v17 src0_sel:BYTE_0 src1_sel:DWORD
	v_mov_b32_e32 v16, 0x8000
	s_and_saveexec_b32 s17, s4
	s_cbranch_execz .LBB306_1782
; %bb.1777:                             ;   in Loop: Header=BB306_934 Depth=1
	v_bfe_u32 v44, v12, 16, 7
	v_mov_b32_e32 v16, 0x7c01
	s_mov_b32 s18, exec_lo
	v_cmpx_ne_u32_e32 0x7f, v44
	s_cbranch_execz .LBB306_1781
; %bb.1778:                             ;   in Loop: Header=BB306_934 Depth=1
	v_and_b32_e32 v16, 7, v0
	v_lshrrev_b32_e32 v43, 3, v44
	s_mov_b32 s20, exec_lo
	v_cmpx_gt_u32_e32 8, v44
; %bb.1779:                             ;   in Loop: Header=BB306_934 Depth=1
	v_ffbh_u32_e32 v16, v16
	v_min_u32_e32 v16, 32, v16
	v_subrev_nc_u32_e32 v39, 28, v16
	v_sub_nc_u32_e32 v43, 29, v16
	v_lshlrev_b64 v[44:45], v39, v[0:1]
	v_and_b32_e32 v16, 7, v44
; %bb.1780:                             ;   in Loop: Header=BB306_934 Depth=1
	s_or_b32 exec_lo, exec_lo, s20
	v_lshlrev_b32_e32 v0, 8, v0
	v_lshl_add_u32 v39, v43, 10, 0x2000
	v_lshlrev_b32_e32 v16, 7, v16
	v_and_b32_e32 v0, 0x8000, v0
	v_and_b32_e32 v39, 0xfc00, v39
	v_or3_b32 v16, v0, v39, v16
.LBB306_1781:                           ;   in Loop: Header=BB306_934 Depth=1
	s_or_b32 exec_lo, exec_lo, s18
.LBB306_1782:                           ;   in Loop: Header=BB306_934 Depth=1
	s_or_b32 exec_lo, exec_lo, s17
.LBB306_1783:                           ;   in Loop: Header=BB306_934 Depth=1
	s_or_b32 exec_lo, exec_lo, s16
	v_cmp_lt_u64_e64 s4, s[12:13], v[11:12]
	v_mov_b32_e32 v11, 0
	s_and_saveexec_b32 s16, s4
	s_cbranch_execz .LBB306_1791
; %bb.1784:                             ;   in Loop: Header=BB306_934 Depth=1
	v_lshrrev_b32_e32 v0, 24, v12
	v_bfrev_b32_e32 v11, 1
	s_mov_b32 s17, exec_lo
	v_cmpx_ne_u32_e32 0x80, v0
	s_cbranch_execz .LBB306_1790
; %bb.1785:                             ;   in Loop: Header=BB306_934 Depth=1
	v_and_b32_e32 v43, 0x7f, v0
	v_mov_b32_e32 v11, 0x7c010000
	s_mov_b32 s18, exec_lo
	v_cmpx_ne_u32_e32 0x7f, v43
	s_cbranch_execz .LBB306_1789
; %bb.1786:                             ;   in Loop: Header=BB306_934 Depth=1
	v_and_b32_e32 v11, 7, v0
	v_lshrrev_b32_e32 v12, 3, v43
	s_mov_b32 s20, exec_lo
	v_cmpx_gt_u32_e32 8, v43
; %bb.1787:                             ;   in Loop: Header=BB306_934 Depth=1
	v_ffbh_u32_e32 v11, v11
	v_min_u32_e32 v39, 32, v11
	v_subrev_nc_u32_e32 v11, 28, v39
	v_lshlrev_b64 v[11:12], v11, v[0:1]
	v_sub_nc_u32_e32 v12, 29, v39
	v_and_b32_e32 v11, 7, v11
; %bb.1788:                             ;   in Loop: Header=BB306_934 Depth=1
	s_or_b32 exec_lo, exec_lo, s20
	v_lshlrev_b32_e32 v0, 8, v0
	v_lshl_add_u32 v12, v12, 10, 0x2000
	v_lshlrev_b32_e32 v11, 23, v11
	v_and_or_b32 v0, 0x8000, v0, v12
	v_lshl_or_b32 v11, v0, 16, v11
.LBB306_1789:                           ;   in Loop: Header=BB306_934 Depth=1
	s_or_b32 exec_lo, exec_lo, s18
.LBB306_1790:                           ;   in Loop: Header=BB306_934 Depth=1
	s_or_b32 exec_lo, exec_lo, s17
.LBB306_1791:                           ;   in Loop: Header=BB306_934 Depth=1
	s_or_b32 exec_lo, exec_lo, s16
	v_or_b32_e32 v0, v41, v42
	s_waitcnt vmcnt(0) lgkmcnt(0)
	v_fma_mixlo_f16 v12, v51, v41, 0 op_sel:[0,1,0] op_sel_hi:[0,1,0]
	v_or_b32_e32 v39, v119, v40
	v_or_b32_e32 v26, v27, v26
	;; [unrolled: 1-line block ×3, first 2 shown]
	v_fma_mixlo_f16 v40, v51, v0, 0 op_sel_hi:[0,1,0]
	v_fma_mixlo_f16 v119, v51, v119, 0 op_sel:[0,1,0] op_sel_hi:[0,1,0]
	v_lshlrev_b32_e32 v0, 16, v12
	v_fma_mixlo_f16 v39, v51, v39, 0 op_sel_hi:[0,1,0]
	v_fma_mixlo_f16 v27, v51, v27, 0 op_sel:[0,1,0] op_sel_hi:[0,1,0]
	v_and_b32_e32 v12, 0xffff, v40
	v_fma_mixlo_f16 v26, v51, v26, 0 op_sel_hi:[0,1,0]
	v_fma_mixlo_f16 v11, v51, v11, 0 op_sel:[0,1,0] op_sel_hi:[0,1,0]
	v_fma_mixlo_f16 v40, v51, v16, 0 op_sel_hi:[0,1,0]
	v_lshlrev_b32_e32 v119, 16, v119
	v_and_b32_e32 v43, 0xffff, v39
	v_lshlrev_b32_e32 v16, 16, v27
	v_and_b32_e32 v51, 0xffff, v26
	;; [unrolled: 2-line block ×3, first 2 shown]
	v_or_b32_e32 v27, v0, v12
	v_or_b32_e32 v42, v119, v43
	;; [unrolled: 1-line block ×4, first 2 shown]
	s_and_saveexec_b32 s16, vcc_lo
	s_cbranch_execz .LBB306_1793
; %bb.1792:                             ;   in Loop: Header=BB306_934 Depth=1
	v_cmp_lt_i32_e64 s4, v18, v36
	v_cndmask_b32_e64 v27, 0, v43, s4
	v_cmp_lt_i32_e64 s4, v98, v36
	v_cndmask_b32_e64 v39, 0, v119, s4
	v_cmp_lt_i32_e64 s4, v97, v36
	v_or_b32_e32 v42, v27, v39
	v_cndmask_b32_e64 v12, 0, v12, s4
	v_cmp_lt_i32_e64 s4, v96, v36
	v_cndmask_b32_e64 v0, 0, v0, s4
	v_cmp_lt_i32_e64 s4, v87, v36
	v_or_b32_e32 v27, v12, v0
	;; [unrolled: 5-line block ×3, first 2 shown]
	v_cndmask_b32_e64 v26, 0, v26, s4
	v_cmp_lt_i32_e64 s4, v84, v36
	v_cndmask_b32_e64 v11, 0, v11, s4
	v_or_b32_e32 v40, v26, v11
.LBB306_1793:                           ;   in Loop: Header=BB306_934 Depth=1
	s_or_b32 exec_lo, exec_lo, s16
	;;#ASMSTART
	v_pk_mul_f16 v0, v83, v42;

	;;#ASMEND
	;;#ASMSTART
	v_pk_mul_f16 v11, v82, v27;

	;;#ASMEND
	;; [unrolled: 4-line block ×4, first 2 shown]
	;;#ASMSTART
	v_pk_add_f16 v0, v0, v11;

	;;#ASMEND
	;;#ASMSTART
	v_pk_add_f16 v0, v0, v12;

	;;#ASMEND
	;; [unrolled: 4-line block ×3, first 2 shown]
	v_and_b32_e32 v11, 0xffff, v0
	v_lshrrev_b32_e32 v0, 16, v0
	;;#ASMSTART
	v_cvt_f32_f16 v11, v11;
	;;#ASMEND
	;;#ASMSTART
	v_cvt_f32_f16 v12, v0;
	;;#ASMEND
	flat_load_dwordx2 v[9:10], v[9:10] offset:1280
	s_clause 0x1
	buffer_load_dword v26, off, s[0:3], s32 offset:200
	buffer_load_dword v27, off, s[0:3], s32 offset:204
	v_mov_b32_e32 v119, 0
	v_mov_b32_e32 v40, 0
	s_waitcnt vmcnt(2) lgkmcnt(0)
	v_cmp_ne_u16_sdwa s4, v9, v1 src0_sel:BYTE_0 src1_sel:DWORD
	s_waitcnt vmcnt(0)
	flat_load_dword v51, v[26:27]
	s_and_saveexec_b32 s16, s4
	s_cbranch_execz .LBB306_1801
; %bb.1794:                             ;   in Loop: Header=BB306_934 Depth=1
	v_cmp_ne_u16_sdwa s4, v9, v17 src0_sel:BYTE_0 src1_sel:DWORD
	v_mov_b32_e32 v40, 0x8000
	s_and_saveexec_b32 s17, s4
	s_cbranch_execz .LBB306_1800
; %bb.1795:                             ;   in Loop: Header=BB306_934 Depth=1
	v_and_b32_e32 v26, 0x7f, v9
	v_mov_b32_e32 v40, 0x7c01
	s_mov_b32 s18, exec_lo
	v_cmpx_ne_u32_e32 0x7f, v26
	s_cbranch_execz .LBB306_1799
; %bb.1796:                             ;   in Loop: Header=BB306_934 Depth=1
	v_and_b32_e32 v0, 7, v9
	v_lshrrev_b32_e32 v16, 3, v26
	s_mov_b32 s20, exec_lo
	v_cmpx_gt_u32_e32 8, v26
; %bb.1797:                             ;   in Loop: Header=BB306_934 Depth=1
	v_ffbh_u32_e32 v0, v0
	v_min_u32_e32 v0, 32, v0
	v_subrev_nc_u32_e32 v16, 28, v0
	v_lshlrev_b64 v[26:27], v16, v[9:10]
	v_sub_nc_u32_e32 v16, 29, v0
	v_and_b32_e32 v0, 7, v26
; %bb.1798:                             ;   in Loop: Header=BB306_934 Depth=1
	s_or_b32 exec_lo, exec_lo, s20
	v_lshlrev_b32_e32 v26, 8, v9
	v_lshl_add_u32 v16, v16, 10, 0x2000
	v_lshlrev_b32_e32 v0, 7, v0
	v_and_b32_e32 v26, 0x8000, v26
	v_and_b32_e32 v16, 0xfc00, v16
	v_or3_b32 v40, v26, v16, v0
.LBB306_1799:                           ;   in Loop: Header=BB306_934 Depth=1
	s_or_b32 exec_lo, exec_lo, s18
.LBB306_1800:                           ;   in Loop: Header=BB306_934 Depth=1
	s_or_b32 exec_lo, exec_lo, s17
.LBB306_1801:                           ;   in Loop: Header=BB306_934 Depth=1
	s_or_b32 exec_lo, exec_lo, s16
	v_lshrrev_b16 v0, 8, v9
	s_mov_b32 s16, exec_lo
	v_cmpx_ne_u16_e32 0, v0
	s_cbranch_execz .LBB306_1809
; %bb.1802:                             ;   in Loop: Header=BB306_934 Depth=1
	v_bfrev_b32_e32 v119, 1
	s_mov_b32 s17, exec_lo
	v_cmpx_ne_u16_e32 0x80, v0
	s_cbranch_execz .LBB306_1808
; %bb.1803:                             ;   in Loop: Header=BB306_934 Depth=1
	v_and_b32_sdwa v27, v0, v53 dst_sel:DWORD dst_unused:UNUSED_PAD src0_sel:WORD_0 src1_sel:DWORD
	v_mov_b32_e32 v119, 0x7c010000
	s_mov_b32 s18, exec_lo
	v_cmpx_ne_u32_e32 0x7f, v27
	s_cbranch_execz .LBB306_1807
; %bb.1804:                             ;   in Loop: Header=BB306_934 Depth=1
	v_and_b32_sdwa v16, v0, v54 dst_sel:DWORD dst_unused:UNUSED_PAD src0_sel:WORD_0 src1_sel:DWORD
	v_lshrrev_b32_e32 v26, 3, v27
	s_mov_b32 s20, exec_lo
	v_cmpx_gt_u32_e32 8, v27
; %bb.1805:                             ;   in Loop: Header=BB306_934 Depth=1
	v_ffbh_u32_e32 v16, v16
	v_min_u32_e32 v16, 32, v16
	v_subrev_nc_u32_e32 v26, 28, v16
	v_lshlrev_b64 v[41:42], v26, v[0:1]
	v_sub_nc_u32_e32 v26, 29, v16
	v_and_b32_e32 v16, 7, v41
; %bb.1806:                             ;   in Loop: Header=BB306_934 Depth=1
	s_or_b32 exec_lo, exec_lo, s20
	v_lshlrev_b32_sdwa v0, v69, v0 dst_sel:DWORD dst_unused:UNUSED_PAD src0_sel:DWORD src1_sel:WORD_0
	v_lshl_add_u32 v26, v26, 10, 0x2000
	v_lshlrev_b32_e32 v16, 23, v16
	v_and_or_b32 v0, 0x8000, v0, v26
	v_lshl_or_b32 v119, v0, 16, v16
.LBB306_1807:                           ;   in Loop: Header=BB306_934 Depth=1
	s_or_b32 exec_lo, exec_lo, s18
.LBB306_1808:                           ;   in Loop: Header=BB306_934 Depth=1
	s_or_b32 exec_lo, exec_lo, s17
.LBB306_1809:                           ;   in Loop: Header=BB306_934 Depth=1
	s_or_b32 exec_lo, exec_lo, s16
	v_lshrrev_b32_e32 v0, 16, v9
	v_mov_b32_e32 v41, 0
	v_mov_b32_e32 v42, 0
	v_cmp_ne_u16_sdwa s4, v0, v1 src0_sel:BYTE_0 src1_sel:DWORD
	s_and_saveexec_b32 s16, s4
	s_cbranch_execz .LBB306_1817
; %bb.1810:                             ;   in Loop: Header=BB306_934 Depth=1
	v_cmp_ne_u16_sdwa s4, v0, v17 src0_sel:BYTE_0 src1_sel:DWORD
	v_mov_b32_e32 v42, 0x8000
	s_and_saveexec_b32 s17, s4
	s_cbranch_execz .LBB306_1816
; %bb.1811:                             ;   in Loop: Header=BB306_934 Depth=1
	v_bfe_u32 v27, v9, 16, 7
	v_mov_b32_e32 v42, 0x7c01
	s_mov_b32 s18, exec_lo
	v_cmpx_ne_u32_e32 0x7f, v27
	s_cbranch_execz .LBB306_1815
; %bb.1812:                             ;   in Loop: Header=BB306_934 Depth=1
	v_and_b32_e32 v16, 7, v0
	v_lshrrev_b32_e32 v26, 3, v27
	s_mov_b32 s20, exec_lo
	v_cmpx_gt_u32_e32 8, v27
; %bb.1813:                             ;   in Loop: Header=BB306_934 Depth=1
	v_ffbh_u32_e32 v16, v16
	v_min_u32_e32 v16, 32, v16
	v_subrev_nc_u32_e32 v26, 28, v16
	v_lshlrev_b64 v[42:43], v26, v[0:1]
	v_sub_nc_u32_e32 v26, 29, v16
	v_and_b32_e32 v16, 7, v42
; %bb.1814:                             ;   in Loop: Header=BB306_934 Depth=1
	s_or_b32 exec_lo, exec_lo, s20
	v_lshlrev_b32_e32 v0, 8, v0
	v_lshl_add_u32 v26, v26, 10, 0x2000
	v_lshlrev_b32_e32 v16, 7, v16
	v_and_b32_e32 v0, 0x8000, v0
	v_and_b32_e32 v26, 0xfc00, v26
	v_or3_b32 v42, v0, v26, v16
.LBB306_1815:                           ;   in Loop: Header=BB306_934 Depth=1
	s_or_b32 exec_lo, exec_lo, s18
.LBB306_1816:                           ;   in Loop: Header=BB306_934 Depth=1
	s_or_b32 exec_lo, exec_lo, s17
.LBB306_1817:                           ;   in Loop: Header=BB306_934 Depth=1
	s_or_b32 exec_lo, exec_lo, s16
	s_mov_b32 s16, exec_lo
	v_cmpx_lt_u32_e32 0xffffff, v9
	s_cbranch_execz .LBB306_1825
; %bb.1818:                             ;   in Loop: Header=BB306_934 Depth=1
	v_lshrrev_b32_e32 v0, 24, v9
	v_bfrev_b32_e32 v41, 1
	s_mov_b32 s17, exec_lo
	v_cmpx_ne_u32_e32 0x80, v0
	s_cbranch_execz .LBB306_1824
; %bb.1819:                             ;   in Loop: Header=BB306_934 Depth=1
	v_and_b32_e32 v27, 0x7f, v0
	v_mov_b32_e32 v41, 0x7c010000
	s_mov_b32 s18, exec_lo
	v_cmpx_ne_u32_e32 0x7f, v27
	s_cbranch_execz .LBB306_1823
; %bb.1820:                             ;   in Loop: Header=BB306_934 Depth=1
	v_and_b32_e32 v16, 7, v0
	v_lshrrev_b32_e32 v26, 3, v27
	s_mov_b32 s20, exec_lo
	v_cmpx_gt_u32_e32 8, v27
; %bb.1821:                             ;   in Loop: Header=BB306_934 Depth=1
	v_ffbh_u32_e32 v16, v16
	v_min_u32_e32 v16, 32, v16
	v_subrev_nc_u32_e32 v26, 28, v16
	v_lshlrev_b64 v[43:44], v26, v[0:1]
	v_sub_nc_u32_e32 v26, 29, v16
	v_and_b32_e32 v16, 7, v43
; %bb.1822:                             ;   in Loop: Header=BB306_934 Depth=1
	s_or_b32 exec_lo, exec_lo, s20
	v_lshlrev_b32_e32 v0, 8, v0
	v_lshl_add_u32 v26, v26, 10, 0x2000
	v_lshlrev_b32_e32 v16, 23, v16
	v_and_or_b32 v0, 0x8000, v0, v26
	v_lshl_or_b32 v41, v0, 16, v16
.LBB306_1823:                           ;   in Loop: Header=BB306_934 Depth=1
	s_or_b32 exec_lo, exec_lo, s18
.LBB306_1824:                           ;   in Loop: Header=BB306_934 Depth=1
	s_or_b32 exec_lo, exec_lo, s17
.LBB306_1825:                           ;   in Loop: Header=BB306_934 Depth=1
	s_or_b32 exec_lo, exec_lo, s16
	v_mov_b32_e32 v0, v10
	v_cmp_ne_u16_sdwa s4, v10, v1 src0_sel:BYTE_0 src1_sel:DWORD
	v_mov_b32_e32 v16, 0
	v_mov_b32_e32 v26, 0
	s_and_saveexec_b32 s16, s4
	s_cbranch_execz .LBB306_1833
; %bb.1826:                             ;   in Loop: Header=BB306_934 Depth=1
	v_cmp_ne_u16_sdwa s4, v10, v17 src0_sel:BYTE_0 src1_sel:DWORD
	v_mov_b32_e32 v26, 0x8000
	s_and_saveexec_b32 s17, s4
	s_cbranch_execz .LBB306_1832
; %bb.1827:                             ;   in Loop: Header=BB306_934 Depth=1
	v_and_b32_e32 v43, 0x7f, v10
	v_mov_b32_e32 v26, 0x7c01
	s_mov_b32 s18, exec_lo
	v_cmpx_ne_u32_e32 0x7f, v43
	s_cbranch_execz .LBB306_1831
; %bb.1828:                             ;   in Loop: Header=BB306_934 Depth=1
	v_and_b32_e32 v26, 7, v10
	v_lshrrev_b32_e32 v27, 3, v43
	s_mov_b32 s20, exec_lo
	v_cmpx_gt_u32_e32 8, v43
; %bb.1829:                             ;   in Loop: Header=BB306_934 Depth=1
	v_ffbh_u32_e32 v26, v26
	v_min_u32_e32 v39, 32, v26
	v_subrev_nc_u32_e32 v26, 28, v39
	v_lshlrev_b64 v[26:27], v26, v[0:1]
	v_sub_nc_u32_e32 v27, 29, v39
	v_and_b32_e32 v26, 7, v26
; %bb.1830:                             ;   in Loop: Header=BB306_934 Depth=1
	s_or_b32 exec_lo, exec_lo, s20
	v_lshlrev_b32_e32 v39, 8, v10
	v_lshl_add_u32 v27, v27, 10, 0x2000
	v_lshlrev_b32_e32 v26, 7, v26
	v_and_b32_e32 v39, 0x8000, v39
	v_and_b32_e32 v27, 0xfc00, v27
	v_or3_b32 v26, v39, v27, v26
.LBB306_1831:                           ;   in Loop: Header=BB306_934 Depth=1
	s_or_b32 exec_lo, exec_lo, s18
.LBB306_1832:                           ;   in Loop: Header=BB306_934 Depth=1
	s_or_b32 exec_lo, exec_lo, s17
.LBB306_1833:                           ;   in Loop: Header=BB306_934 Depth=1
	s_or_b32 exec_lo, exec_lo, s16
	v_lshrrev_b16 v0, 8, v0
	v_mov_b32_e32 v27, 0
	s_mov_b32 s16, exec_lo
	v_cmpx_ne_u16_e32 0, v0
	s_cbranch_execz .LBB306_1841
; %bb.1834:                             ;   in Loop: Header=BB306_934 Depth=1
	v_bfrev_b32_e32 v27, 1
	s_mov_b32 s17, exec_lo
	v_cmpx_ne_u16_e32 0x80, v0
	s_cbranch_execz .LBB306_1840
; %bb.1835:                             ;   in Loop: Header=BB306_934 Depth=1
	v_and_b32_sdwa v44, v0, v53 dst_sel:DWORD dst_unused:UNUSED_PAD src0_sel:WORD_0 src1_sel:DWORD
	v_mov_b32_e32 v27, 0x7c010000
	s_mov_b32 s18, exec_lo
	v_cmpx_ne_u32_e32 0x7f, v44
	s_cbranch_execz .LBB306_1839
; %bb.1836:                             ;   in Loop: Header=BB306_934 Depth=1
	v_and_b32_sdwa v27, v0, v54 dst_sel:DWORD dst_unused:UNUSED_PAD src0_sel:WORD_0 src1_sel:DWORD
	v_lshrrev_b32_e32 v43, 3, v44
	s_mov_b32 s20, exec_lo
	v_cmpx_gt_u32_e32 8, v44
; %bb.1837:                             ;   in Loop: Header=BB306_934 Depth=1
	v_ffbh_u32_e32 v27, v27
	v_min_u32_e32 v27, 32, v27
	v_subrev_nc_u32_e32 v39, 28, v27
	v_sub_nc_u32_e32 v43, 29, v27
	v_lshlrev_b64 v[44:45], v39, v[0:1]
	v_and_b32_e32 v27, 7, v44
; %bb.1838:                             ;   in Loop: Header=BB306_934 Depth=1
	s_or_b32 exec_lo, exec_lo, s20
	v_lshlrev_b32_sdwa v0, v69, v0 dst_sel:DWORD dst_unused:UNUSED_PAD src0_sel:DWORD src1_sel:WORD_0
	v_lshl_add_u32 v39, v43, 10, 0x2000
	v_lshlrev_b32_e32 v27, 23, v27
	v_and_or_b32 v0, 0x8000, v0, v39
	v_lshl_or_b32 v27, v0, 16, v27
.LBB306_1839:                           ;   in Loop: Header=BB306_934 Depth=1
	s_or_b32 exec_lo, exec_lo, s18
.LBB306_1840:                           ;   in Loop: Header=BB306_934 Depth=1
	s_or_b32 exec_lo, exec_lo, s17
.LBB306_1841:                           ;   in Loop: Header=BB306_934 Depth=1
	s_or_b32 exec_lo, exec_lo, s16
	v_lshrrev_b32_e32 v0, 16, v10
	v_cmp_ne_u16_sdwa s4, v0, v1 src0_sel:BYTE_0 src1_sel:DWORD
	s_and_saveexec_b32 s16, s4
	s_cbranch_execz .LBB306_1849
; %bb.1842:                             ;   in Loop: Header=BB306_934 Depth=1
	v_cmp_ne_u16_sdwa s4, v0, v17 src0_sel:BYTE_0 src1_sel:DWORD
	v_mov_b32_e32 v16, 0x8000
	s_and_saveexec_b32 s17, s4
	s_cbranch_execz .LBB306_1848
; %bb.1843:                             ;   in Loop: Header=BB306_934 Depth=1
	v_bfe_u32 v44, v10, 16, 7
	v_mov_b32_e32 v16, 0x7c01
	s_mov_b32 s18, exec_lo
	v_cmpx_ne_u32_e32 0x7f, v44
	s_cbranch_execz .LBB306_1847
; %bb.1844:                             ;   in Loop: Header=BB306_934 Depth=1
	v_and_b32_e32 v16, 7, v0
	v_lshrrev_b32_e32 v43, 3, v44
	s_mov_b32 s20, exec_lo
	v_cmpx_gt_u32_e32 8, v44
; %bb.1845:                             ;   in Loop: Header=BB306_934 Depth=1
	v_ffbh_u32_e32 v16, v16
	v_min_u32_e32 v16, 32, v16
	v_subrev_nc_u32_e32 v39, 28, v16
	v_sub_nc_u32_e32 v43, 29, v16
	v_lshlrev_b64 v[44:45], v39, v[0:1]
	v_and_b32_e32 v16, 7, v44
; %bb.1846:                             ;   in Loop: Header=BB306_934 Depth=1
	s_or_b32 exec_lo, exec_lo, s20
	v_lshlrev_b32_e32 v0, 8, v0
	v_lshl_add_u32 v39, v43, 10, 0x2000
	v_lshlrev_b32_e32 v16, 7, v16
	v_and_b32_e32 v0, 0x8000, v0
	v_and_b32_e32 v39, 0xfc00, v39
	v_or3_b32 v16, v0, v39, v16
.LBB306_1847:                           ;   in Loop: Header=BB306_934 Depth=1
	s_or_b32 exec_lo, exec_lo, s18
.LBB306_1848:                           ;   in Loop: Header=BB306_934 Depth=1
	s_or_b32 exec_lo, exec_lo, s17
.LBB306_1849:                           ;   in Loop: Header=BB306_934 Depth=1
	s_or_b32 exec_lo, exec_lo, s16
	v_cmp_lt_u64_e64 s4, s[12:13], v[9:10]
	v_mov_b32_e32 v9, 0
	s_and_saveexec_b32 s16, s4
	s_cbranch_execz .LBB306_1857
; %bb.1850:                             ;   in Loop: Header=BB306_934 Depth=1
	v_lshrrev_b32_e32 v0, 24, v10
	v_bfrev_b32_e32 v9, 1
	s_mov_b32 s17, exec_lo
	v_cmpx_ne_u32_e32 0x80, v0
	s_cbranch_execz .LBB306_1856
; %bb.1851:                             ;   in Loop: Header=BB306_934 Depth=1
	v_and_b32_e32 v43, 0x7f, v0
	v_mov_b32_e32 v9, 0x7c010000
	s_mov_b32 s18, exec_lo
	v_cmpx_ne_u32_e32 0x7f, v43
	s_cbranch_execz .LBB306_1855
; %bb.1852:                             ;   in Loop: Header=BB306_934 Depth=1
	v_and_b32_e32 v9, 7, v0
	v_lshrrev_b32_e32 v10, 3, v43
	s_mov_b32 s20, exec_lo
	v_cmpx_gt_u32_e32 8, v43
; %bb.1853:                             ;   in Loop: Header=BB306_934 Depth=1
	v_ffbh_u32_e32 v9, v9
	v_min_u32_e32 v39, 32, v9
	v_subrev_nc_u32_e32 v9, 28, v39
	v_lshlrev_b64 v[9:10], v9, v[0:1]
	v_sub_nc_u32_e32 v10, 29, v39
	v_and_b32_e32 v9, 7, v9
; %bb.1854:                             ;   in Loop: Header=BB306_934 Depth=1
	s_or_b32 exec_lo, exec_lo, s20
	v_lshlrev_b32_e32 v0, 8, v0
	v_lshl_add_u32 v10, v10, 10, 0x2000
	v_lshlrev_b32_e32 v9, 23, v9
	v_and_or_b32 v0, 0x8000, v0, v10
	v_lshl_or_b32 v9, v0, 16, v9
.LBB306_1855:                           ;   in Loop: Header=BB306_934 Depth=1
	s_or_b32 exec_lo, exec_lo, s18
.LBB306_1856:                           ;   in Loop: Header=BB306_934 Depth=1
	s_or_b32 exec_lo, exec_lo, s17
.LBB306_1857:                           ;   in Loop: Header=BB306_934 Depth=1
	s_or_b32 exec_lo, exec_lo, s16
	v_or_b32_e32 v0, v41, v42
	s_waitcnt vmcnt(0) lgkmcnt(0)
	v_fma_mixlo_f16 v10, v51, v41, 0 op_sel:[0,1,0] op_sel_hi:[0,1,0]
	v_or_b32_e32 v39, v119, v40
	v_fma_mixlo_f16 v119, v51, v119, 0 op_sel:[0,1,0] op_sel_hi:[0,1,0]
	v_or_b32_e32 v40, v27, v26
	v_fma_mixlo_f16 v0, v51, v0, 0 op_sel_hi:[0,1,0]
	v_or_b32_e32 v16, v9, v16
	v_lshlrev_b32_e32 v26, 16, v10
	v_lshlrev_b32_e32 v41, 16, v119
	v_fma_mixlo_f16 v10, v51, v39, 0 op_sel_hi:[0,1,0]
	v_and_b32_e32 v119, 0xffff, v0
	v_fma_mixlo_f16 v0, v51, v27, 0 op_sel:[0,1,0] op_sel_hi:[0,1,0]
	v_fma_mixlo_f16 v27, v51, v40, 0 op_sel_hi:[0,1,0]
	v_fma_mixlo_f16 v9, v51, v9, 0 op_sel:[0,1,0] op_sel_hi:[0,1,0]
	v_fma_mixlo_f16 v16, v51, v16, 0 op_sel_hi:[0,1,0]
	v_and_b32_e32 v43, 0xffff, v10
	v_lshlrev_b32_e32 v51, 16, v0
	v_and_b32_e32 v42, 0xffff, v27
	v_lshlrev_b32_e32 v27, 16, v9
	v_and_b32_e32 v40, 0xffff, v16
	v_or_b32_e32 v10, v26, v119
	v_or_b32_e32 v16, v41, v43
	;; [unrolled: 1-line block ×4, first 2 shown]
	s_and_saveexec_b32 s4, vcc_lo
	s_cbranch_execz .LBB306_932
; %bb.1858:                             ;   in Loop: Header=BB306_934 Depth=1
	v_cmp_lt_i32_e32 vcc_lo, v18, v36
	v_cndmask_b32_e32 v0, 0, v43, vcc_lo
	v_cmp_lt_i32_e32 vcc_lo, v98, v36
	v_cndmask_b32_e32 v9, 0, v41, vcc_lo
	v_cmp_lt_i32_e32 vcc_lo, v97, v36
	v_or_b32_e32 v16, v0, v9
	v_cndmask_b32_e32 v10, 0, v119, vcc_lo
	v_cmp_lt_i32_e32 vcc_lo, v96, v36
	v_cndmask_b32_e32 v18, 0, v26, vcc_lo
	v_cmp_lt_i32_e32 vcc_lo, v87, v36
	v_or_b32_e32 v10, v10, v18
	;; [unrolled: 5-line block ×3, first 2 shown]
	v_cndmask_b32_e32 v51, 0, v40, vcc_lo
	v_cmp_lt_i32_e32 vcc_lo, v84, v36
	v_cndmask_b32_e32 v27, 0, v27, vcc_lo
	v_or_b32_e32 v0, v51, v27
	s_branch .LBB306_932
.LBB306_1859:
	s_or_b32 exec_lo, exec_lo, s11
.LBB306_1860:
	s_or_b32 exec_lo, exec_lo, s7
	ds_bpermute_b32 v1, v20, v68
	ds_bpermute_b32 v12, v20, v25
	s_waitcnt lgkmcnt(0)
	s_waitcnt_vscnt null, 0x0
	s_barrier
	buffer_gl0_inv
	ds_bpermute_b32 v0, v20, v67
	ds_bpermute_b32 v2, v20, v66
	;; [unrolled: 1-line block ×12, first 2 shown]
	s_load_dword s4, s[8:9], 0x0
	s_mov_b32 s7, exec_lo
	v_add_f32_e32 v1, v68, v1
	v_add_f32_e32 v25, v25, v12
	s_waitcnt lgkmcnt(0)
	v_add_f32_e32 v0, v67, v0
	ds_bpermute_b32 v16, v13, v1
	v_add_f32_e32 v2, v66, v2
	v_add_f32_e32 v6, v34, v6
	;; [unrolled: 1-line block ×4, first 2 shown]
	ds_bpermute_b32 v7, v13, v0
	ds_bpermute_b32 v17, v13, v2
	;; [unrolled: 1-line block ×5, first 2 shown]
	v_add_f32_e32 v3, v65, v3
	v_add_f32_e32 v4, v64, v4
	;; [unrolled: 1-line block ×7, first 2 shown]
	ds_bpermute_b32 v18, v13, v3
	ds_bpermute_b32 v8, v13, v4
	;; [unrolled: 1-line block ×3, first 2 shown]
	s_waitcnt lgkmcnt(8)
	v_add_f32_e32 v12, v1, v16
	buffer_load_dword v16, off, s[0:3], s32 offset:296 ; 4-byte Folded Reload
	ds_bpermute_b32 v26, v13, v19
	ds_bpermute_b32 v24, v13, v27
	;; [unrolled: 1-line block ×5, first 2 shown]
	s_waitcnt lgkmcnt(12)
	v_add_f32_e32 v13, v0, v7
	s_waitcnt lgkmcnt(11)
	v_add_f32_e32 v11, v2, v17
	;; [unrolled: 2-line block ×5, first 2 shown]
	v_and_b32_e32 v17, 0x3c3, v46
	s_waitcnt lgkmcnt(7)
	v_add_f32_e32 v10, v3, v18
	s_waitcnt lgkmcnt(6)
	v_add_f32_e32 v9, v4, v8
	;; [unrolled: 2-line block ×8, first 2 shown]
	s_waitcnt vmcnt(0)
	v_and_b32_e32 v15, 28, v16
	v_lshrrev_b32_e32 v14, 2, v16
	buffer_load_dword v16, off, s[0:3], s32 offset:328 ; 4-byte Folded Reload
	v_add_nc_u32_e32 v15, s4, v15
	s_waitcnt vmcnt(0)
	v_mul_u32_u24_e32 v16, 0x1c0, v16
	v_cmpx_eq_u32_e32 64, v17
	s_cbranch_execz .LBB306_1862
; %bb.1861:
	v_add_nc_u32_e32 v17, v15, v16
	v_add_nc_u32_e32 v18, 0xfffffc80, v17
	;; [unrolled: 1-line block ×7, first 2 shown]
	ds_write_b32 v18, v13
	ds_write_b32 v19, v12
	ds_write_b32 v20, v11
	ds_write_b32 v22, v10
	v_add_nc_u32_e32 v18, 0xfffffd40, v17
	v_add_nc_u32_e32 v19, 0xfffffd60, v17
	;; [unrolled: 1-line block ×3, first 2 shown]
	ds_write_b32 v23, v9
	ds_write_b32 v24, v8
	;; [unrolled: 1-line block ×5, first 2 shown]
	v_add_nc_u32_e32 v18, 0xfffffda0, v17
	v_add_nc_u32_e32 v19, 0xfffffdc0, v17
	;; [unrolled: 1-line block ×5, first 2 shown]
	ds_write_b32 v18, v4
	ds_write_b32 v19, v3
	;; [unrolled: 1-line block ×5, first 2 shown]
.LBB306_1862:
	s_or_b32 exec_lo, exec_lo, s7
	v_lshlrev_b32_e32 v14, 2, v14
	s_mov_b32 s7, exec_lo
	v_cmp_eq_u32_e32 vcc_lo, 0, v21
	s_waitcnt lgkmcnt(0)
	s_barrier
	v_add3_u32 v14, s4, v16, v14
	buffer_gl0_inv
	v_cmpx_gt_u32_e32 64, v46
	s_cbranch_execz .LBB306_1879
; %bb.1863:
	s_and_saveexec_b32 s4, vcc_lo
	s_cbranch_execnz .LBB306_1901
; %bb.1864:
	s_or_b32 exec_lo, exec_lo, s4
	s_and_saveexec_b32 s4, vcc_lo
	s_cbranch_execnz .LBB306_1902
.LBB306_1865:
	s_or_b32 exec_lo, exec_lo, s4
	s_and_saveexec_b32 s4, vcc_lo
	s_cbranch_execnz .LBB306_1903
.LBB306_1866:
	s_or_b32 exec_lo, exec_lo, s4
	s_and_saveexec_b32 s4, vcc_lo
	s_cbranch_execnz .LBB306_1904
.LBB306_1867:
	s_or_b32 exec_lo, exec_lo, s4
	s_and_saveexec_b32 s4, vcc_lo
	s_cbranch_execnz .LBB306_1905
.LBB306_1868:
	s_or_b32 exec_lo, exec_lo, s4
	s_and_saveexec_b32 s4, vcc_lo
	s_cbranch_execnz .LBB306_1906
.LBB306_1869:
	s_or_b32 exec_lo, exec_lo, s4
	s_and_saveexec_b32 s4, vcc_lo
	s_cbranch_execnz .LBB306_1907
.LBB306_1870:
	s_or_b32 exec_lo, exec_lo, s4
	s_and_saveexec_b32 s4, vcc_lo
	s_cbranch_execnz .LBB306_1908
.LBB306_1871:
	s_or_b32 exec_lo, exec_lo, s4
	s_and_saveexec_b32 s4, vcc_lo
	s_cbranch_execnz .LBB306_1909
.LBB306_1872:
	s_or_b32 exec_lo, exec_lo, s4
	s_and_saveexec_b32 s4, vcc_lo
	s_cbranch_execnz .LBB306_1910
.LBB306_1873:
	s_or_b32 exec_lo, exec_lo, s4
	s_and_saveexec_b32 s4, vcc_lo
	s_cbranch_execnz .LBB306_1911
.LBB306_1874:
	s_or_b32 exec_lo, exec_lo, s4
	s_and_saveexec_b32 s4, vcc_lo
	s_cbranch_execnz .LBB306_1912
.LBB306_1875:
	s_or_b32 exec_lo, exec_lo, s4
	s_and_saveexec_b32 s4, vcc_lo
	s_cbranch_execnz .LBB306_1913
.LBB306_1876:
	s_or_b32 exec_lo, exec_lo, s4
	s_and_saveexec_b32 s4, vcc_lo
	s_cbranch_execz .LBB306_1878
.LBB306_1877:
	ds_read_b32 v16, v14 offset:416
	s_waitcnt lgkmcnt(0)
	v_add_f32_e32 v2, v16, v2
.LBB306_1878:
	s_or_b32 exec_lo, exec_lo, s4
.LBB306_1879:
	s_or_b32 exec_lo, exec_lo, s7
	v_and_b32_e32 v16, 0x3e3, v46
	s_mov_b32 s7, exec_lo
	s_barrier
	buffer_gl0_inv
	v_cmpx_eq_u32_e32 32, v16
	s_cbranch_execz .LBB306_1881
; %bb.1880:
	ds_write2_b32 v15, v13, v12 offset1:8
	ds_write2_b32 v15, v11, v10 offset0:16 offset1:24
	ds_write2_b32 v15, v9, v8 offset0:32 offset1:40
	;; [unrolled: 1-line block ×6, first 2 shown]
.LBB306_1881:
	s_or_b32 exec_lo, exec_lo, s7
	s_mov_b32 s7, exec_lo
	s_waitcnt lgkmcnt(0)
	s_barrier
	buffer_gl0_inv
	v_cmpx_gt_u32_e32 32, v46
	s_cbranch_execz .LBB306_1898
; %bb.1882:
	s_and_saveexec_b32 s4, vcc_lo
	s_cbranch_execnz .LBB306_1914
; %bb.1883:
	s_or_b32 exec_lo, exec_lo, s4
	s_and_saveexec_b32 s4, vcc_lo
	s_cbranch_execnz .LBB306_1915
.LBB306_1884:
	s_or_b32 exec_lo, exec_lo, s4
	s_and_saveexec_b32 s4, vcc_lo
	s_cbranch_execnz .LBB306_1916
.LBB306_1885:
	s_or_b32 exec_lo, exec_lo, s4
	s_and_saveexec_b32 s4, vcc_lo
	s_cbranch_execnz .LBB306_1917
.LBB306_1886:
	s_or_b32 exec_lo, exec_lo, s4
	s_and_saveexec_b32 s4, vcc_lo
	s_cbranch_execnz .LBB306_1918
.LBB306_1887:
	s_or_b32 exec_lo, exec_lo, s4
	s_and_saveexec_b32 s4, vcc_lo
	s_cbranch_execnz .LBB306_1919
.LBB306_1888:
	s_or_b32 exec_lo, exec_lo, s4
	s_and_saveexec_b32 s4, vcc_lo
	s_cbranch_execnz .LBB306_1920
.LBB306_1889:
	s_or_b32 exec_lo, exec_lo, s4
	s_and_saveexec_b32 s4, vcc_lo
	s_cbranch_execnz .LBB306_1921
.LBB306_1890:
	s_or_b32 exec_lo, exec_lo, s4
	s_and_saveexec_b32 s4, vcc_lo
	s_cbranch_execnz .LBB306_1922
.LBB306_1891:
	s_or_b32 exec_lo, exec_lo, s4
	s_and_saveexec_b32 s4, vcc_lo
	s_cbranch_execnz .LBB306_1923
.LBB306_1892:
	s_or_b32 exec_lo, exec_lo, s4
	s_and_saveexec_b32 s4, vcc_lo
	s_cbranch_execnz .LBB306_1924
.LBB306_1893:
	s_or_b32 exec_lo, exec_lo, s4
	s_and_saveexec_b32 s4, vcc_lo
	s_cbranch_execnz .LBB306_1925
.LBB306_1894:
	s_or_b32 exec_lo, exec_lo, s4
	s_and_saveexec_b32 s4, vcc_lo
	s_cbranch_execnz .LBB306_1926
.LBB306_1895:
	s_or_b32 exec_lo, exec_lo, s4
	s_and_saveexec_b32 s4, vcc_lo
	s_cbranch_execz .LBB306_1897
.LBB306_1896:
	ds_read_b32 v14, v14 offset:416
	s_waitcnt lgkmcnt(0)
	v_add_f32_e32 v2, v14, v2
.LBB306_1897:
	s_or_b32 exec_lo, exec_lo, s4
.LBB306_1898:
	s_or_b32 exec_lo, exec_lo, s7
	v_cmp_eq_u32_e32 vcc_lo, 0, v16
	s_barrier
	buffer_gl0_inv
	s_and_b32 exec_lo, exec_lo, vcc_lo
	s_cbranch_execz .LBB306_1900
; %bb.1899:
	s_clause 0x1
	buffer_load_dword v14, off, s[0:3], s32 offset:336
	buffer_load_dword v15, off, s[0:3], s32 offset:332
	s_mulk_i32 s6, 0x70
	s_mul_i32 s4, s10, s5
	s_ashr_i32 s7, s6, 31
	s_ashr_i32 s5, s4, 31
	s_lshl_b64 s[6:7], s[6:7], 1
	s_lshl_b64 s[4:5], s[4:5], 1
	v_lshrrev_b32_e32 v16, 1, v46
	;;#ASMSTART
	v_cvt_f16_f32 v13, v13;

	;;#ASMEND
	s_waitcnt vmcnt(1)
	v_add_co_u32 v14, vcc_lo, v14, s6
	s_waitcnt vmcnt(0)
	v_add_co_ci_u32_e64 v15, null, s7, v15, vcc_lo
	s_mul_i32 s6, s14, 0x70
	v_add_co_u32 v14, vcc_lo, v14, s4
	s_ashr_i32 s7, s6, 31
	v_add_co_ci_u32_e64 v15, null, s5, v15, vcc_lo
	s_lshl_b64 s[4:5], s[6:7], 1
	v_add_co_u32 v14, vcc_lo, v14, s4
	v_add_co_ci_u32_e64 v15, null, s5, v15, vcc_lo
	v_add_co_u32 v14, vcc_lo, v14, v16
	v_add_co_ci_u32_e64 v15, null, 0, v15, vcc_lo
	flat_store_short v[14:15], v13
	;;#ASMSTART
	v_cvt_f16_f32 v12, v12;

	;;#ASMEND
	flat_store_short v[14:15], v12 offset:16
	;;#ASMSTART
	v_cvt_f16_f32 v11, v11;

	;;#ASMEND
	flat_store_short v[14:15], v11 offset:32
	;; [unrolled: 5-line block ×13, first 2 shown]
.LBB306_1900:
	s_or_b32 exec_lo, exec_lo, s19
	s_clause 0x2f
	buffer_load_dword v127, off, s[0:3], s32 offset:8
	buffer_load_dword v126, off, s[0:3], s32 offset:12
	buffer_load_dword v125, off, s[0:3], s32 offset:16
	buffer_load_dword v124, off, s[0:3], s32 offset:20
	buffer_load_dword v123, off, s[0:3], s32 offset:24
	buffer_load_dword v122, off, s[0:3], s32 offset:28
	buffer_load_dword v121, off, s[0:3], s32 offset:32
	buffer_load_dword v120, off, s[0:3], s32 offset:36
	buffer_load_dword v111, off, s[0:3], s32 offset:40
	buffer_load_dword v110, off, s[0:3], s32 offset:44
	buffer_load_dword v109, off, s[0:3], s32 offset:48
	buffer_load_dword v108, off, s[0:3], s32 offset:52
	buffer_load_dword v107, off, s[0:3], s32 offset:56
	buffer_load_dword v106, off, s[0:3], s32 offset:60
	buffer_load_dword v105, off, s[0:3], s32 offset:64
	buffer_load_dword v104, off, s[0:3], s32 offset:68
	buffer_load_dword v95, off, s[0:3], s32 offset:72
	buffer_load_dword v94, off, s[0:3], s32 offset:76
	buffer_load_dword v93, off, s[0:3], s32 offset:80
	buffer_load_dword v92, off, s[0:3], s32 offset:84
	buffer_load_dword v91, off, s[0:3], s32 offset:88
	buffer_load_dword v90, off, s[0:3], s32 offset:92
	buffer_load_dword v89, off, s[0:3], s32 offset:96
	buffer_load_dword v88, off, s[0:3], s32 offset:100
	buffer_load_dword v79, off, s[0:3], s32 offset:104
	buffer_load_dword v78, off, s[0:3], s32 offset:108
	buffer_load_dword v77, off, s[0:3], s32 offset:112
	buffer_load_dword v76, off, s[0:3], s32 offset:116
	buffer_load_dword v75, off, s[0:3], s32 offset:120
	buffer_load_dword v74, off, s[0:3], s32 offset:124
	buffer_load_dword v73, off, s[0:3], s32 offset:128
	buffer_load_dword v72, off, s[0:3], s32 offset:132
	buffer_load_dword v63, off, s[0:3], s32 offset:136
	buffer_load_dword v62, off, s[0:3], s32 offset:140
	buffer_load_dword v61, off, s[0:3], s32 offset:144
	buffer_load_dword v60, off, s[0:3], s32 offset:148
	buffer_load_dword v59, off, s[0:3], s32 offset:152
	buffer_load_dword v58, off, s[0:3], s32 offset:156
	buffer_load_dword v57, off, s[0:3], s32 offset:160
	buffer_load_dword v56, off, s[0:3], s32 offset:164
	buffer_load_dword v47, off, s[0:3], s32 offset:168
	buffer_load_dword v46, off, s[0:3], s32 offset:172
	buffer_load_dword v45, off, s[0:3], s32 offset:176
	buffer_load_dword v44, off, s[0:3], s32 offset:180
	buffer_load_dword v43, off, s[0:3], s32 offset:184
	buffer_load_dword v42, off, s[0:3], s32 offset:188
	buffer_load_dword v41, off, s[0:3], s32 offset:192
	buffer_load_dword v40, off, s[0:3], s32 offset:196
	s_waitcnt vmcnt(0) lgkmcnt(0)
	s_setpc_b64 s[30:31]
.LBB306_1901:
	ds_read_b32 v16, v14
	s_waitcnt lgkmcnt(0)
	v_add_f32_e32 v13, v16, v13
	s_or_b32 exec_lo, exec_lo, s4
	s_and_saveexec_b32 s4, vcc_lo
	s_cbranch_execz .LBB306_1865
.LBB306_1902:
	ds_read_b32 v16, v14 offset:32
	s_waitcnt lgkmcnt(0)
	v_add_f32_e32 v12, v16, v12
	s_or_b32 exec_lo, exec_lo, s4
	s_and_saveexec_b32 s4, vcc_lo
	s_cbranch_execz .LBB306_1866
.LBB306_1903:
	ds_read_b32 v16, v14 offset:64
	s_waitcnt lgkmcnt(0)
	v_add_f32_e32 v11, v16, v11
	s_or_b32 exec_lo, exec_lo, s4
	s_and_saveexec_b32 s4, vcc_lo
	s_cbranch_execz .LBB306_1867
.LBB306_1904:
	ds_read_b32 v16, v14 offset:96
	s_waitcnt lgkmcnt(0)
	v_add_f32_e32 v10, v16, v10
	s_or_b32 exec_lo, exec_lo, s4
	s_and_saveexec_b32 s4, vcc_lo
	s_cbranch_execz .LBB306_1868
.LBB306_1905:
	ds_read_b32 v16, v14 offset:128
	s_waitcnt lgkmcnt(0)
	v_add_f32_e32 v9, v16, v9
	s_or_b32 exec_lo, exec_lo, s4
	s_and_saveexec_b32 s4, vcc_lo
	s_cbranch_execz .LBB306_1869
.LBB306_1906:
	ds_read_b32 v16, v14 offset:160
	s_waitcnt lgkmcnt(0)
	v_add_f32_e32 v8, v16, v8
	s_or_b32 exec_lo, exec_lo, s4
	s_and_saveexec_b32 s4, vcc_lo
	s_cbranch_execz .LBB306_1870
.LBB306_1907:
	ds_read_b32 v16, v14 offset:192
	s_waitcnt lgkmcnt(0)
	v_add_f32_e32 v7, v16, v7
	s_or_b32 exec_lo, exec_lo, s4
	s_and_saveexec_b32 s4, vcc_lo
	s_cbranch_execz .LBB306_1871
.LBB306_1908:
	ds_read_b32 v16, v14 offset:224
	s_waitcnt lgkmcnt(0)
	v_add_f32_e32 v6, v16, v6
	s_or_b32 exec_lo, exec_lo, s4
	s_and_saveexec_b32 s4, vcc_lo
	s_cbranch_execz .LBB306_1872
.LBB306_1909:
	ds_read_b32 v16, v14 offset:256
	s_waitcnt lgkmcnt(0)
	v_add_f32_e32 v5, v16, v5
	s_or_b32 exec_lo, exec_lo, s4
	s_and_saveexec_b32 s4, vcc_lo
	s_cbranch_execz .LBB306_1873
.LBB306_1910:
	ds_read_b32 v16, v14 offset:288
	s_waitcnt lgkmcnt(0)
	v_add_f32_e32 v4, v16, v4
	s_or_b32 exec_lo, exec_lo, s4
	s_and_saveexec_b32 s4, vcc_lo
	s_cbranch_execz .LBB306_1874
.LBB306_1911:
	ds_read_b32 v16, v14 offset:320
	s_waitcnt lgkmcnt(0)
	v_add_f32_e32 v3, v16, v3
	s_or_b32 exec_lo, exec_lo, s4
	s_and_saveexec_b32 s4, vcc_lo
	s_cbranch_execz .LBB306_1875
.LBB306_1912:
	ds_read_b32 v16, v14 offset:352
	s_waitcnt lgkmcnt(0)
	v_add_f32_e32 v1, v16, v1
	s_or_b32 exec_lo, exec_lo, s4
	s_and_saveexec_b32 s4, vcc_lo
	s_cbranch_execz .LBB306_1876
.LBB306_1913:
	ds_read_b32 v16, v14 offset:384
	s_waitcnt lgkmcnt(0)
	v_add_f32_e32 v0, v16, v0
	s_or_b32 exec_lo, exec_lo, s4
	s_and_saveexec_b32 s4, vcc_lo
	s_cbranch_execnz .LBB306_1877
	s_branch .LBB306_1878
.LBB306_1914:
	ds_read_b32 v15, v14
	s_waitcnt lgkmcnt(0)
	v_add_f32_e32 v13, v15, v13
	s_or_b32 exec_lo, exec_lo, s4
	s_and_saveexec_b32 s4, vcc_lo
	s_cbranch_execz .LBB306_1884
.LBB306_1915:
	ds_read_b32 v15, v14 offset:32
	s_waitcnt lgkmcnt(0)
	v_add_f32_e32 v12, v15, v12
	s_or_b32 exec_lo, exec_lo, s4
	s_and_saveexec_b32 s4, vcc_lo
	s_cbranch_execz .LBB306_1885
.LBB306_1916:
	ds_read_b32 v15, v14 offset:64
	s_waitcnt lgkmcnt(0)
	v_add_f32_e32 v11, v15, v11
	s_or_b32 exec_lo, exec_lo, s4
	s_and_saveexec_b32 s4, vcc_lo
	s_cbranch_execz .LBB306_1886
.LBB306_1917:
	ds_read_b32 v15, v14 offset:96
	s_waitcnt lgkmcnt(0)
	v_add_f32_e32 v10, v15, v10
	s_or_b32 exec_lo, exec_lo, s4
	s_and_saveexec_b32 s4, vcc_lo
	s_cbranch_execz .LBB306_1887
.LBB306_1918:
	ds_read_b32 v15, v14 offset:128
	s_waitcnt lgkmcnt(0)
	v_add_f32_e32 v9, v15, v9
	s_or_b32 exec_lo, exec_lo, s4
	s_and_saveexec_b32 s4, vcc_lo
	s_cbranch_execz .LBB306_1888
.LBB306_1919:
	ds_read_b32 v15, v14 offset:160
	s_waitcnt lgkmcnt(0)
	v_add_f32_e32 v8, v15, v8
	s_or_b32 exec_lo, exec_lo, s4
	s_and_saveexec_b32 s4, vcc_lo
	s_cbranch_execz .LBB306_1889
.LBB306_1920:
	ds_read_b32 v15, v14 offset:192
	s_waitcnt lgkmcnt(0)
	v_add_f32_e32 v7, v15, v7
	s_or_b32 exec_lo, exec_lo, s4
	s_and_saveexec_b32 s4, vcc_lo
	s_cbranch_execz .LBB306_1890
.LBB306_1921:
	ds_read_b32 v15, v14 offset:224
	s_waitcnt lgkmcnt(0)
	v_add_f32_e32 v6, v15, v6
	s_or_b32 exec_lo, exec_lo, s4
	s_and_saveexec_b32 s4, vcc_lo
	s_cbranch_execz .LBB306_1891
.LBB306_1922:
	ds_read_b32 v15, v14 offset:256
	s_waitcnt lgkmcnt(0)
	v_add_f32_e32 v5, v15, v5
	s_or_b32 exec_lo, exec_lo, s4
	s_and_saveexec_b32 s4, vcc_lo
	s_cbranch_execz .LBB306_1892
.LBB306_1923:
	ds_read_b32 v15, v14 offset:288
	s_waitcnt lgkmcnt(0)
	v_add_f32_e32 v4, v15, v4
	s_or_b32 exec_lo, exec_lo, s4
	s_and_saveexec_b32 s4, vcc_lo
	s_cbranch_execz .LBB306_1893
.LBB306_1924:
	ds_read_b32 v15, v14 offset:320
	s_waitcnt lgkmcnt(0)
	v_add_f32_e32 v3, v15, v3
	s_or_b32 exec_lo, exec_lo, s4
	s_and_saveexec_b32 s4, vcc_lo
	s_cbranch_execz .LBB306_1894
.LBB306_1925:
	ds_read_b32 v15, v14 offset:352
	s_waitcnt lgkmcnt(0)
	v_add_f32_e32 v1, v15, v1
	s_or_b32 exec_lo, exec_lo, s4
	s_and_saveexec_b32 s4, vcc_lo
	s_cbranch_execz .LBB306_1895
.LBB306_1926:
	ds_read_b32 v15, v14 offset:384
	s_waitcnt lgkmcnt(0)
	v_add_f32_e32 v0, v15, v0
	s_or_b32 exec_lo, exec_lo, s4
	s_and_saveexec_b32 s4, vcc_lo
	s_cbranch_execnz .LBB306_1896
	s_branch .LBB306_1897
.Lfunc_end306:
	.size	_ZN4vllm22paged_attention_kernelIthLi112ELi32ELi128ELNS_18Fp8KVCacheDataTypeE1ELb1ELi512EEEvPfS2_PT_PKS3_PKT0_S9_ifPKiSB_iPKfiiiSD_SD_iiiii, .Lfunc_end306-_ZN4vllm22paged_attention_kernelIthLi112ELi32ELi128ELNS_18Fp8KVCacheDataTypeE1ELb1ELi512EEEvPfS2_PT_PKS3_PKT0_S9_ifPKiSB_iPKfiiiSD_SD_iiiii
                                        ; -- End function
	.set .L_ZN4vllm22paged_attention_kernelIthLi112ELi32ELi128ELNS_18Fp8KVCacheDataTypeE1ELb1ELi512EEEvPfS2_PT_PKS3_PKT0_S9_ifPKiSB_iPKfiiiSD_SD_iiiii.num_vgpr, 128
	.set .L_ZN4vllm22paged_attention_kernelIthLi112ELi32ELi128ELNS_18Fp8KVCacheDataTypeE1ELb1ELi512EEEvPfS2_PT_PKS3_PKT0_S9_ifPKiSB_iPKfiiiSD_SD_iiiii.num_agpr, 0
	.set .L_ZN4vllm22paged_attention_kernelIthLi112ELi32ELi128ELNS_18Fp8KVCacheDataTypeE1ELb1ELi512EEEvPfS2_PT_PKS3_PKT0_S9_ifPKiSB_iPKfiiiSD_SD_iiiii.numbered_sgpr, 33
	.set .L_ZN4vllm22paged_attention_kernelIthLi112ELi32ELi128ELNS_18Fp8KVCacheDataTypeE1ELb1ELi512EEEvPfS2_PT_PKS3_PKT0_S9_ifPKiSB_iPKfiiiSD_SD_iiiii.num_named_barrier, 0
	.set .L_ZN4vllm22paged_attention_kernelIthLi112ELi32ELi128ELNS_18Fp8KVCacheDataTypeE1ELb1ELi512EEEvPfS2_PT_PKS3_PKT0_S9_ifPKiSB_iPKfiiiSD_SD_iiiii.private_seg_size, 412
	.set .L_ZN4vllm22paged_attention_kernelIthLi112ELi32ELi128ELNS_18Fp8KVCacheDataTypeE1ELb1ELi512EEEvPfS2_PT_PKS3_PKT0_S9_ifPKiSB_iPKfiiiSD_SD_iiiii.uses_vcc, 1
	.set .L_ZN4vllm22paged_attention_kernelIthLi112ELi32ELi128ELNS_18Fp8KVCacheDataTypeE1ELb1ELi512EEEvPfS2_PT_PKS3_PKT0_S9_ifPKiSB_iPKfiiiSD_SD_iiiii.uses_flat_scratch, 0
	.set .L_ZN4vllm22paged_attention_kernelIthLi112ELi32ELi128ELNS_18Fp8KVCacheDataTypeE1ELb1ELi512EEEvPfS2_PT_PKS3_PKT0_S9_ifPKiSB_iPKfiiiSD_SD_iiiii.has_dyn_sized_stack, 0
	.set .L_ZN4vllm22paged_attention_kernelIthLi112ELi32ELi128ELNS_18Fp8KVCacheDataTypeE1ELb1ELi512EEEvPfS2_PT_PKS3_PKT0_S9_ifPKiSB_iPKfiiiSD_SD_iiiii.has_recursion, 0
	.set .L_ZN4vllm22paged_attention_kernelIthLi112ELi32ELi128ELNS_18Fp8KVCacheDataTypeE1ELb1ELi512EEEvPfS2_PT_PKS3_PKT0_S9_ifPKiSB_iPKfiiiSD_SD_iiiii.has_indirect_call, 0
	.section	.AMDGPU.csdata,"",@progbits
; Function info:
; codeLenInByte = 65080
; TotalNumSgprs: 35
; NumVgprs: 128
; ScratchSize: 412
; MemoryBound: 0
	.section	.text._ZN4vllm25paged_attention_v2_kernelIthLi112ELi32ELi128ELNS_18Fp8KVCacheDataTypeE1ELb1ELi512EEEvPfS2_PT_PKS3_PKT0_S9_ifPKiSB_iPKfiiiSD_SD_iiiii,"axG",@progbits,_ZN4vllm25paged_attention_v2_kernelIthLi112ELi32ELi128ELNS_18Fp8KVCacheDataTypeE1ELb1ELi512EEEvPfS2_PT_PKS3_PKT0_S9_ifPKiSB_iPKfiiiSD_SD_iiiii,comdat
	.protected	_ZN4vllm25paged_attention_v2_kernelIthLi112ELi32ELi128ELNS_18Fp8KVCacheDataTypeE1ELb1ELi512EEEvPfS2_PT_PKS3_PKT0_S9_ifPKiSB_iPKfiiiSD_SD_iiiii ; -- Begin function _ZN4vllm25paged_attention_v2_kernelIthLi112ELi32ELi128ELNS_18Fp8KVCacheDataTypeE1ELb1ELi512EEEvPfS2_PT_PKS3_PKT0_S9_ifPKiSB_iPKfiiiSD_SD_iiiii
	.globl	_ZN4vllm25paged_attention_v2_kernelIthLi112ELi32ELi128ELNS_18Fp8KVCacheDataTypeE1ELb1ELi512EEEvPfS2_PT_PKS3_PKT0_S9_ifPKiSB_iPKfiiiSD_SD_iiiii
	.p2align	8
	.type	_ZN4vllm25paged_attention_v2_kernelIthLi112ELi32ELi128ELNS_18Fp8KVCacheDataTypeE1ELb1ELi512EEEvPfS2_PT_PKS3_PKT0_S9_ifPKiSB_iPKfiiiSD_SD_iiiii,@function
_ZN4vllm25paged_attention_v2_kernelIthLi112ELi32ELi128ELNS_18Fp8KVCacheDataTypeE1ELb1ELi512EEEvPfS2_PT_PKS3_PKT0_S9_ifPKiSB_iPKfiiiSD_SD_iiiii: ; @_ZN4vllm25paged_attention_v2_kernelIthLi112ELi32ELi128ELNS_18Fp8KVCacheDataTypeE1ELb1ELi512EEEvPfS2_PT_PKS3_PKT0_S9_ifPKiSB_iPKfiiiSD_SD_iiiii
; %bb.0:
	s_mov_b32 s14, s8
	s_clause 0x7
	s_load_dwordx4 s[36:39], s[4:5], 0x78
	s_load_dword s8, s[4:5], 0x88
	s_load_dwordx8 s[40:47], s[4:5], 0x0
	s_load_dwordx8 s[24:31], s[4:5], 0x20
	s_load_dwordx2 s[10:11], s[4:5], 0x40
	s_load_dwordx2 s[34:35], s[4:5], 0x50
	s_load_dword s13, s[4:5], 0x48
	s_load_dwordx8 s[16:23], s[4:5], 0x58
	s_add_u32 s0, s0, s9
	s_mov_b32 s32, 0
	s_addc_u32 s1, s1, 0
	v_mov_b32_e32 v31, v0
	s_mov_b32 s12, s6
	s_mov_b32 s15, 35
	s_waitcnt lgkmcnt(0)
	v_mov_b32_e32 v1, s39
	v_mov_b32_e32 v2, s8
	;; [unrolled: 1-line block ×4, first 2 shown]
	buffer_store_dword v1, off, s[0:3], s32
	buffer_store_dword v2, off, s[0:3], s32 offset:4
	v_mov_b32_e32 v1, s41
	v_mov_b32_e32 v2, s42
	;; [unrolled: 1-line block ×29, first 2 shown]
	s_add_u32 s8, s4, 0x90
	s_addc_u32 s9, s5, 0
	s_getpc_b64 s[4:5]
	s_add_u32 s4, s4, _ZN4vllm22paged_attention_kernelIthLi112ELi32ELi128ELNS_18Fp8KVCacheDataTypeE1ELb1ELi512EEEvPfS2_PT_PKS3_PKT0_S9_ifPKiSB_iPKfiiiSD_SD_iiiii@rel32@lo+4
	s_addc_u32 s5, s5, _ZN4vllm22paged_attention_kernelIthLi112ELi32ELi128ELNS_18Fp8KVCacheDataTypeE1ELb1ELi512EEEvPfS2_PT_PKS3_PKT0_S9_ifPKiSB_iPKfiiiSD_SD_iiiii@rel32@hi+12
	s_mov_b32 s13, s7
	s_swappc_b64 s[30:31], s[4:5]
	s_endpgm
	.section	.rodata,"a",@progbits
	.p2align	6, 0x0
	.amdhsa_kernel _ZN4vllm25paged_attention_v2_kernelIthLi112ELi32ELi128ELNS_18Fp8KVCacheDataTypeE1ELb1ELi512EEEvPfS2_PT_PKS3_PKT0_S9_ifPKiSB_iPKfiiiSD_SD_iiiii
		.amdhsa_group_segment_fixed_size 256
		.amdhsa_private_segment_fixed_size 412
		.amdhsa_kernarg_size 400
		.amdhsa_user_sgpr_count 6
		.amdhsa_user_sgpr_private_segment_buffer 1
		.amdhsa_user_sgpr_dispatch_ptr 0
		.amdhsa_user_sgpr_queue_ptr 0
		.amdhsa_user_sgpr_kernarg_segment_ptr 1
		.amdhsa_user_sgpr_dispatch_id 0
		.amdhsa_user_sgpr_flat_scratch_init 0
		.amdhsa_user_sgpr_private_segment_size 0
		.amdhsa_wavefront_size32 1
		.amdhsa_uses_dynamic_stack 0
		.amdhsa_system_sgpr_private_segment_wavefront_offset 1
		.amdhsa_system_sgpr_workgroup_id_x 1
		.amdhsa_system_sgpr_workgroup_id_y 1
		.amdhsa_system_sgpr_workgroup_id_z 1
		.amdhsa_system_sgpr_workgroup_info 0
		.amdhsa_system_vgpr_workitem_id 0
		.amdhsa_next_free_vgpr 128
		.amdhsa_next_free_sgpr 48
		.amdhsa_reserve_vcc 1
		.amdhsa_reserve_flat_scratch 0
		.amdhsa_float_round_mode_32 0
		.amdhsa_float_round_mode_16_64 0
		.amdhsa_float_denorm_mode_32 3
		.amdhsa_float_denorm_mode_16_64 3
		.amdhsa_dx10_clamp 1
		.amdhsa_ieee_mode 1
		.amdhsa_fp16_overflow 0
		.amdhsa_workgroup_processor_mode 1
		.amdhsa_memory_ordered 1
		.amdhsa_forward_progress 1
		.amdhsa_shared_vgpr_count 0
		.amdhsa_exception_fp_ieee_invalid_op 0
		.amdhsa_exception_fp_denorm_src 0
		.amdhsa_exception_fp_ieee_div_zero 0
		.amdhsa_exception_fp_ieee_overflow 0
		.amdhsa_exception_fp_ieee_underflow 0
		.amdhsa_exception_fp_ieee_inexact 0
		.amdhsa_exception_int_div_zero 0
	.end_amdhsa_kernel
	.section	.text._ZN4vllm25paged_attention_v2_kernelIthLi112ELi32ELi128ELNS_18Fp8KVCacheDataTypeE1ELb1ELi512EEEvPfS2_PT_PKS3_PKT0_S9_ifPKiSB_iPKfiiiSD_SD_iiiii,"axG",@progbits,_ZN4vllm25paged_attention_v2_kernelIthLi112ELi32ELi128ELNS_18Fp8KVCacheDataTypeE1ELb1ELi512EEEvPfS2_PT_PKS3_PKT0_S9_ifPKiSB_iPKfiiiSD_SD_iiiii,comdat
.Lfunc_end307:
	.size	_ZN4vllm25paged_attention_v2_kernelIthLi112ELi32ELi128ELNS_18Fp8KVCacheDataTypeE1ELb1ELi512EEEvPfS2_PT_PKS3_PKT0_S9_ifPKiSB_iPKfiiiSD_SD_iiiii, .Lfunc_end307-_ZN4vllm25paged_attention_v2_kernelIthLi112ELi32ELi128ELNS_18Fp8KVCacheDataTypeE1ELb1ELi512EEEvPfS2_PT_PKS3_PKT0_S9_ifPKiSB_iPKfiiiSD_SD_iiiii
                                        ; -- End function
	.set _ZN4vllm25paged_attention_v2_kernelIthLi112ELi32ELi128ELNS_18Fp8KVCacheDataTypeE1ELb1ELi512EEEvPfS2_PT_PKS3_PKT0_S9_ifPKiSB_iPKfiiiSD_SD_iiiii.num_vgpr, max(32, .L_ZN4vllm22paged_attention_kernelIthLi112ELi32ELi128ELNS_18Fp8KVCacheDataTypeE1ELb1ELi512EEEvPfS2_PT_PKS3_PKT0_S9_ifPKiSB_iPKfiiiSD_SD_iiiii.num_vgpr)
	.set _ZN4vllm25paged_attention_v2_kernelIthLi112ELi32ELi128ELNS_18Fp8KVCacheDataTypeE1ELb1ELi512EEEvPfS2_PT_PKS3_PKT0_S9_ifPKiSB_iPKfiiiSD_SD_iiiii.num_agpr, max(0, .L_ZN4vllm22paged_attention_kernelIthLi112ELi32ELi128ELNS_18Fp8KVCacheDataTypeE1ELb1ELi512EEEvPfS2_PT_PKS3_PKT0_S9_ifPKiSB_iPKfiiiSD_SD_iiiii.num_agpr)
	.set _ZN4vllm25paged_attention_v2_kernelIthLi112ELi32ELi128ELNS_18Fp8KVCacheDataTypeE1ELb1ELi512EEEvPfS2_PT_PKS3_PKT0_S9_ifPKiSB_iPKfiiiSD_SD_iiiii.numbered_sgpr, max(48, .L_ZN4vllm22paged_attention_kernelIthLi112ELi32ELi128ELNS_18Fp8KVCacheDataTypeE1ELb1ELi512EEEvPfS2_PT_PKS3_PKT0_S9_ifPKiSB_iPKfiiiSD_SD_iiiii.numbered_sgpr)
	.set _ZN4vllm25paged_attention_v2_kernelIthLi112ELi32ELi128ELNS_18Fp8KVCacheDataTypeE1ELb1ELi512EEEvPfS2_PT_PKS3_PKT0_S9_ifPKiSB_iPKfiiiSD_SD_iiiii.num_named_barrier, max(0, .L_ZN4vllm22paged_attention_kernelIthLi112ELi32ELi128ELNS_18Fp8KVCacheDataTypeE1ELb1ELi512EEEvPfS2_PT_PKS3_PKT0_S9_ifPKiSB_iPKfiiiSD_SD_iiiii.num_named_barrier)
	.set _ZN4vllm25paged_attention_v2_kernelIthLi112ELi32ELi128ELNS_18Fp8KVCacheDataTypeE1ELb1ELi512EEEvPfS2_PT_PKS3_PKT0_S9_ifPKiSB_iPKfiiiSD_SD_iiiii.private_seg_size, 0+max(.L_ZN4vllm22paged_attention_kernelIthLi112ELi32ELi128ELNS_18Fp8KVCacheDataTypeE1ELb1ELi512EEEvPfS2_PT_PKS3_PKT0_S9_ifPKiSB_iPKfiiiSD_SD_iiiii.private_seg_size)
	.set _ZN4vllm25paged_attention_v2_kernelIthLi112ELi32ELi128ELNS_18Fp8KVCacheDataTypeE1ELb1ELi512EEEvPfS2_PT_PKS3_PKT0_S9_ifPKiSB_iPKfiiiSD_SD_iiiii.uses_vcc, or(1, .L_ZN4vllm22paged_attention_kernelIthLi112ELi32ELi128ELNS_18Fp8KVCacheDataTypeE1ELb1ELi512EEEvPfS2_PT_PKS3_PKT0_S9_ifPKiSB_iPKfiiiSD_SD_iiiii.uses_vcc)
	.set _ZN4vllm25paged_attention_v2_kernelIthLi112ELi32ELi128ELNS_18Fp8KVCacheDataTypeE1ELb1ELi512EEEvPfS2_PT_PKS3_PKT0_S9_ifPKiSB_iPKfiiiSD_SD_iiiii.uses_flat_scratch, or(0, .L_ZN4vllm22paged_attention_kernelIthLi112ELi32ELi128ELNS_18Fp8KVCacheDataTypeE1ELb1ELi512EEEvPfS2_PT_PKS3_PKT0_S9_ifPKiSB_iPKfiiiSD_SD_iiiii.uses_flat_scratch)
	.set _ZN4vllm25paged_attention_v2_kernelIthLi112ELi32ELi128ELNS_18Fp8KVCacheDataTypeE1ELb1ELi512EEEvPfS2_PT_PKS3_PKT0_S9_ifPKiSB_iPKfiiiSD_SD_iiiii.has_dyn_sized_stack, or(0, .L_ZN4vllm22paged_attention_kernelIthLi112ELi32ELi128ELNS_18Fp8KVCacheDataTypeE1ELb1ELi512EEEvPfS2_PT_PKS3_PKT0_S9_ifPKiSB_iPKfiiiSD_SD_iiiii.has_dyn_sized_stack)
	.set _ZN4vllm25paged_attention_v2_kernelIthLi112ELi32ELi128ELNS_18Fp8KVCacheDataTypeE1ELb1ELi512EEEvPfS2_PT_PKS3_PKT0_S9_ifPKiSB_iPKfiiiSD_SD_iiiii.has_recursion, or(0, .L_ZN4vllm22paged_attention_kernelIthLi112ELi32ELi128ELNS_18Fp8KVCacheDataTypeE1ELb1ELi512EEEvPfS2_PT_PKS3_PKT0_S9_ifPKiSB_iPKfiiiSD_SD_iiiii.has_recursion)
	.set _ZN4vllm25paged_attention_v2_kernelIthLi112ELi32ELi128ELNS_18Fp8KVCacheDataTypeE1ELb1ELi512EEEvPfS2_PT_PKS3_PKT0_S9_ifPKiSB_iPKfiiiSD_SD_iiiii.has_indirect_call, or(0, .L_ZN4vllm22paged_attention_kernelIthLi112ELi32ELi128ELNS_18Fp8KVCacheDataTypeE1ELb1ELi512EEEvPfS2_PT_PKS3_PKT0_S9_ifPKiSB_iPKfiiiSD_SD_iiiii.has_indirect_call)
	.section	.AMDGPU.csdata,"",@progbits
; Kernel info:
; codeLenInByte = 292
; TotalNumSgprs: 50
; NumVgprs: 128
; ScratchSize: 412
; MemoryBound: 0
; FloatMode: 240
; IeeeMode: 1
; LDSByteSize: 256 bytes/workgroup (compile time only)
; SGPRBlocks: 0
; VGPRBlocks: 15
; NumSGPRsForWavesPerEU: 50
; NumVGPRsForWavesPerEU: 128
; Occupancy: 8
; WaveLimiterHint : 1
; COMPUTE_PGM_RSRC2:SCRATCH_EN: 1
; COMPUTE_PGM_RSRC2:USER_SGPR: 6
; COMPUTE_PGM_RSRC2:TRAP_HANDLER: 0
; COMPUTE_PGM_RSRC2:TGID_X_EN: 1
; COMPUTE_PGM_RSRC2:TGID_Y_EN: 1
; COMPUTE_PGM_RSRC2:TGID_Z_EN: 1
; COMPUTE_PGM_RSRC2:TIDIG_COMP_CNT: 0
	.text
	.p2align	2                               ; -- Begin function _ZN4vllm22paged_attention_kernelIthLi120ELi32ELi128ELNS_18Fp8KVCacheDataTypeE1ELb1ELi512EEEvPfS2_PT_PKS3_PKT0_S9_ifPKiSB_iPKfiiiSD_SD_iiiii
	.type	_ZN4vllm22paged_attention_kernelIthLi120ELi32ELi128ELNS_18Fp8KVCacheDataTypeE1ELb1ELi512EEEvPfS2_PT_PKS3_PKT0_S9_ifPKiSB_iPKfiiiSD_SD_iiiii,@function
_ZN4vllm22paged_attention_kernelIthLi120ELi32ELi128ELNS_18Fp8KVCacheDataTypeE1ELb1ELi512EEEvPfS2_PT_PKS3_PKT0_S9_ifPKiSB_iPKfiiiSD_SD_iiiii: ; @_ZN4vllm22paged_attention_kernelIthLi120ELi32ELi128ELNS_18Fp8KVCacheDataTypeE1ELb1ELi512EEEvPfS2_PT_PKS3_PKT0_S9_ifPKiSB_iPKfiiiSD_SD_iiiii
; %bb.0:
	s_waitcnt vmcnt(0) expcnt(0) lgkmcnt(0)
	buffer_store_dword v40, off, s[0:3], s32 offset:196 ; 4-byte Folded Spill
	buffer_store_dword v41, off, s[0:3], s32 offset:192 ; 4-byte Folded Spill
	;; [unrolled: 1-line block ×48, first 2 shown]
	s_mov_b32 s18, s13
	s_ashr_i32 s19, s13, 31
	buffer_store_dword v26, off, s[0:3], s32 offset:200 ; 4-byte Folded Spill
	buffer_store_dword v27, off, s[0:3], s32 offset:204 ; 4-byte Folded Spill
	;; [unrolled: 1-line block ×8, first 2 shown]
	s_lshl_b64 s[4:5], s[18:19], 2
	v_mov_b32_e32 v24, v0
	v_add_co_u32 v0, vcc_lo, v16, s4
	v_mov_b32_e32 v22, v1
	v_add_co_ci_u32_e64 v1, null, s5, v17, vcc_lo
	v_mov_b32_e32 v25, v3
	v_mov_b32_e32 v26, v2
	s_lshl_b32 s7, s14, 9
	flat_load_dword v36, v[0:1]
	s_clause 0x1
	buffer_load_dword v0, off, s[0:3], s32 offset:4
	buffer_load_dword v1, off, s[0:3], s32
	s_mov_b32 s19, exec_lo
	s_waitcnt vmcnt(2) lgkmcnt(0)
	v_cmpx_lt_i32_e64 s7, v36
	s_cbranch_execz .LBB308_2032
; %bb.1:
	v_sub_nc_u32_e32 v2, 0, v12
	s_clause 0x1
	s_load_dword s4, s[8:9], 0x10
	s_load_dword s5, s[8:9], 0x0
	s_mov_b32 s16, s15
	v_max_i32_e32 v2, v12, v2
	v_cvt_f32_u32_e32 v3, v2
	v_sub_nc_u32_e32 v4, 0, v2
	v_rcp_iflag_f32_e32 v3, v3
	s_waitcnt lgkmcnt(0)
	s_lshr_b32 s4, s4, 16
	s_cmp_lg_u32 s4, 0
	s_cselect_b32 s4, -1, 0
	v_mul_f32_e32 v3, 0x4f7ffffe, v3
	s_cmp_lg_u32 s4, 0
	s_addc_u32 s15, s5, 0
	s_mov_b32 s5, exec_lo
	v_cvt_u32_f32_e32 v3, v3
	s_abs_i32 s4, s15
	v_mul_lo_u32 v4, v4, v3
	v_mul_hi_u32 v4, v3, v4
	v_add_nc_u32_e32 v3, v3, v4
	v_mul_hi_u32 v3, s4, v3
	v_mul_lo_u32 v4, v3, v2
	v_add_nc_u32_e32 v5, 1, v3
	v_sub_nc_u32_e32 v4, s4, v4
	s_abs_i32 s4, s12
	v_sub_nc_u32_e32 v13, v4, v2
	v_cmp_ge_u32_e32 vcc_lo, v4, v2
	v_cndmask_b32_e32 v3, v3, v5, vcc_lo
	v_cndmask_b32_e32 v4, v4, v13, vcc_lo
	v_xor_b32_e32 v5, s15, v12
	v_add_nc_u32_e32 v13, 1, v3
	v_cmp_ge_u32_e32 vcc_lo, v4, v2
	v_ashrrev_i32_e32 v5, 31, v5
	v_cndmask_b32_e32 v2, v3, v13, vcc_lo
	v_xor_b32_e32 v2, v2, v5
	v_sub_nc_u32_e32 v3, v2, v5
	v_sub_nc_u32_e32 v2, 0, v3
	v_max_i32_e32 v2, v3, v2
	v_cvt_f32_u32_e32 v4, v2
	v_sub_nc_u32_e32 v5, 0, v2
	v_rcp_iflag_f32_e32 v4, v4
	v_mul_f32_e32 v4, 0x4f7ffffe, v4
	v_cvt_u32_f32_e32 v4, v4
	v_mul_lo_u32 v5, v5, v4
	v_mul_hi_u32 v5, v4, v5
	v_add_nc_u32_e32 v4, v4, v5
	v_mad_u64_u32 v[16:17], null, s4, v4, 0
	v_mov_b32_e32 v4, 0
	buffer_store_dword v4, off, s[0:3], s32 offset:364 ; 4-byte Folded Spill
	v_cmpx_ne_u64_e32 0, v[19:20]
	s_cbranch_execz .LBB308_3
; %bb.2:
	s_ashr_i32 s13, s12, 31
	s_lshl_b64 s[10:11], s[12:13], 2
	v_add_co_u32 v4, vcc_lo, v19, s10
	v_add_co_ci_u32_e64 v5, null, s11, v20, vcc_lo
	flat_load_dword v4, v[4:5]
	s_waitcnt vmcnt(0) lgkmcnt(0)
	buffer_store_dword v4, off, s[0:3], s32 offset:364 ; 4-byte Folded Spill
.LBB308_3:
	s_or_b32 exec_lo, exec_lo, s5
	v_and_b32_e32 v19, 0x3ff, v31
	v_ashrrev_i32_e32 v3, 31, v3
	s_ashr_i32 s5, s12, 31
	s_mul_i32 s10, s12, 0x78
	s_mov_b32 s6, exec_lo
	v_cmpx_gt_u32_e32 15, v19
	s_cbranch_execz .LBB308_5
; %bb.4:
	v_mul_lo_u32 v4, v21, s18
	s_ashr_i32 s11, s10, 31
	v_lshlrev_b32_e32 v13, 4, v19
	s_lshl_b64 s[20:21], s[10:11], 1
	v_ashrrev_i32_e32 v5, 31, v4
	v_lshlrev_b64 v[4:5], 1, v[4:5]
	v_add_co_u32 v4, vcc_lo, v6, v4
	v_add_co_ci_u32_e64 v5, null, v7, v5, vcc_lo
	v_add_co_u32 v4, vcc_lo, v4, s20
	v_add_co_ci_u32_e64 v5, null, s21, v5, vcc_lo
	;; [unrolled: 2-line block ×3, first 2 shown]
	flat_load_dwordx4 v[4:7], v[4:5]
	s_waitcnt vmcnt(0) lgkmcnt(0)
	ds_write_b128 v13, v[4:7]
.LBB308_5:
	s_or_b32 exec_lo, exec_lo, s6
	s_waitcnt vmcnt(0)
	v_sub_nc_u32_e32 v4, 0, v1
	v_mul_lo_u32 v5, v17, v2
	v_xor_b32_e32 v3, s5, v3
	v_max_i32_e32 v7, v1, v4
	v_sub_nc_u32_e32 v5, s4, v5
	v_cvt_f32_u32_e32 v4, v7
	buffer_store_dword v7, off, s[0:3], s32 offset:216 ; 4-byte Folded Spill
	s_mov_b32 s4, exec_lo
	v_sub_nc_u32_e32 v16, v5, v2
	v_rcp_iflag_f32_e32 v4, v4
	v_cmp_ge_u32_e32 vcc_lo, v5, v2
	v_cndmask_b32_e32 v5, v5, v16, vcc_lo
	v_mul_f32_e32 v4, 0x4f7ffffe, v4
	v_cvt_u32_f32_e32 v6, v4
	v_sub_nc_u32_e32 v4, 0, v7
	v_add_nc_u32_e32 v7, 1, v17
	v_mul_lo_u32 v13, v4, v6
	v_cndmask_b32_e32 v7, v17, v7, vcc_lo
	v_add_nc_u32_e32 v4, -1, v36
	v_cmp_ge_u32_e32 vcc_lo, v5, v2
	v_add_nc_u32_e32 v17, 1, v7
	v_mul_hi_u32 v16, v6, v13
	v_sub_nc_u32_e32 v13, 0, v4
	v_cndmask_b32_e32 v5, v7, v17, vcc_lo
	v_max_i32_e32 v2, v4, v13
	v_add_nc_u32_e32 v6, v6, v16
	v_xor_b32_e32 v5, v5, v3
	v_mad_u64_u32 v[16:17], null, v2, v6, 0
	v_sub_nc_u32_e32 v16, v5, v3
                                        ; implicit-def: $vgpr3
	buffer_store_dword v6, off, s[0:3], s32 offset:236 ; 4-byte Folded Spill
	s_waitcnt lgkmcnt(0)
	s_waitcnt_vscnt null, 0x0
	s_barrier
	buffer_gl0_inv
	buffer_store_dword v3, off, s[0:3], s32 offset:220 ; 4-byte Folded Spill
	buffer_store_dword v4, off, s[0:3], s32 offset:224 ; 4-byte Folded Spill
	v_cmpx_gt_i32_e32 0, v0
	s_xor_b32 s4, exec_lo, s4
	s_cbranch_execz .LBB308_7
; %bb.6:
	v_mad_u64_u32 v[5:6], null, v28, v12, v[16:17]
                                        ; implicit-def: $vgpr28
	v_mul_lo_u32 v0, v5, v0
	v_sub_nc_u32_e32 v0, 1, v0
	buffer_store_dword v0, off, s[0:3], s32 offset:220 ; 4-byte Folded Spill
	buffer_store_dword v1, off, s[0:3], s32 offset:224 ; 4-byte Folded Spill
                                        ; implicit-def: $vgpr0
.LBB308_7:
	s_or_saveexec_b32 s4, s4
	v_ashrrev_i32_e32 v3, 31, v4
	v_ashrrev_i32_e32 v1, 31, v1
	buffer_store_dword v1, off, s[0:3], s32 offset:228 ; 4-byte Folded Spill
	s_xor_b32 exec_lo, exec_lo, s4
	s_cbranch_execz .LBB308_9
; %bb.8:
	v_mad_u64_u32 v[4:5], null, s15, v28, s[12:13]
	v_mad_u64_u32 v[0:1], null, v4, v0, 1
	buffer_store_dword v0, off, s[0:3], s32 offset:220 ; 4-byte Folded Spill
	buffer_store_dword v1, off, s[0:3], s32 offset:224 ; 4-byte Folded Spill
.LBB308_9:
	s_or_b32 exec_lo, exec_lo, s4
	buffer_load_dword v12, off, s[0:3], s32 offset:216 ; 4-byte Folded Reload
	s_clause 0x1
	s_load_dword s22, s[8:9], 0x14
	s_load_dword s11, s[8:9], 0x8
	buffer_load_dword v5, off, s[0:3], s32 offset:228 ; 4-byte Folded Reload
	v_add_nc_u32_e32 v1, 31, v36
	v_add_nc_u32_e32 v4, 1, v17
	v_lshrrev_b32_e32 v7, 5, v19
	s_lshl_b32 s13, s14, 4
	v_and_b32_e32 v13, 31, v19
	s_add_i32 s4, s13, 16
	v_mov_b32_e32 v20, 0xff7fffff
	buffer_store_dword v7, off, s[0:3], s32 offset:380 ; 4-byte Folded Spill
	v_lshl_add_u32 v92, v7, 5, s7
	v_lshlrev_b32_e32 v21, 2, v13
	s_waitcnt vmcnt(1)
	v_mul_lo_u32 v0, v17, v12
	s_waitcnt vmcnt(0)
	v_xor_b32_e32 v3, v3, v5
	v_ashrrev_i32_e32 v5, 31, v1
	v_lshrrev_b32_e32 v5, 27, v5
	v_sub_nc_u32_e32 v2, v2, v0
	v_mul_lo_u32 v0, v18, s18
	v_add_nc_u32_e32 v1, v1, v5
	v_sub_nc_u32_e32 v6, v2, v12
	v_cmp_ge_u32_e32 vcc_lo, v2, v12
	v_cndmask_b32_e32 v4, v17, v4, vcc_lo
	v_cndmask_b32_e32 v2, v2, v6, vcc_lo
	v_sub_nc_u32_e32 v17, 0, v30
	v_add_nc_u32_e32 v6, 1, v4
	v_cmp_ge_u32_e32 vcc_lo, v2, v12
	v_mul_lo_u32 v12, v16, v23
	v_ashrrev_i32_e32 v16, 5, v1
	v_ashrrev_i32_e32 v1, 31, v0
	v_cndmask_b32_e32 v2, v4, v6, vcc_lo
	v_add_nc_u32_e32 v4, s13, v7
	v_min_i32_e32 v6, s4, v16
	v_lshlrev_b64 v[37:38], 2, v[0:1]
	v_ashrrev_i32_e32 v18, 31, v12
	v_xor_b32_e32 v2, v2, v3
	v_ashrrev_i32_e32 v5, 31, v4
	buffer_store_dword v4, off, s[0:3], s32 offset:208 ; 4-byte Folded Spill
	buffer_store_dword v5, off, s[0:3], s32 offset:212 ; 4-byte Folded Spill
	;; [unrolled: 1-line block ×3, first 2 shown]
	v_sub_nc_u32_e32 v2, v2, v3
	v_sub_nc_u32_e32 v0, v2, v29
	buffer_store_dword v0, off, s[0:3], s32 offset:240 ; 4-byte Folded Spill
	buffer_store_dword v13, off, s[0:3], s32 offset:348 ; 4-byte Folded Spill
	v_cmp_lt_i32_e64 s4, v4, v6
	s_and_saveexec_b32 s23, s4
	s_cbranch_execz .LBB308_977
; %bb.10:
	v_max_i32_e32 v13, v30, v17
	buffer_store_dword v16, off, s[0:3], s32 offset:444 ; 4-byte Folded Spill
	buffer_store_dword v26, off, s[0:3], s32 offset:428 ; 4-byte Folded Spill
	;; [unrolled: 1-line block ×10, first 2 shown]
	buffer_load_dword v7, off, s[0:3], s32 offset:348 ; 4-byte Folded Reload
	buffer_store_dword v12, off, s[0:3], s32 offset:440 ; 4-byte Folded Spill
	buffer_store_dword v18, off, s[0:3], s32 offset:452 ; 4-byte Folded Spill
	v_cvt_f32_u32_e32 v0, v13
	v_add_co_u32 v3, vcc_lo, v8, v12
	v_add_co_ci_u32_e64 v4, null, v9, v18, vcc_lo
	v_rcp_iflag_f32_e32 v2, v0
	s_clause 0x3
	buffer_load_dword v0, off, s[0:3], s32 offset:364
	buffer_load_dword v10, off, s[0:3], s32 offset:208
	;; [unrolled: 1-line block ×4, first 2 shown]
	s_ashr_i32 s17, s16, 31
	s_getpc_b64 s[8:9]
	s_add_u32 s8, s8, llvm.amdgcn.dynlds.offset.table@rel32@lo+4
	s_addc_u32 s9, s9, llvm.amdgcn.dynlds.offset.table@rel32@hi+12
	s_lshl_b64 s[20:21], s[16:17], 2
	buffer_store_dword v21, off, s[0:3], s32 offset:456 ; 4-byte Folded Spill
	s_add_u32 s8, s8, s20
	s_addc_u32 s9, s9, s21
	buffer_store_dword v13, off, s[0:3], s32 offset:280 ; 4-byte Folded Spill
	s_load_dword s17, s[8:9], 0x0
	v_mul_f32_e32 v2, 0x4f7ffffe, v2
	v_mov_b32_e32 v8, 0
	v_mov_b32_e32 v68, 0x80
	;; [unrolled: 1-line block ×3, first 2 shown]
	s_mov_b32 s20, -1
	v_cvt_u32_f32_e32 v2, v2
	s_mov_b32 s24, 0
	s_mov_b32 s21, 0xffffff
	s_waitcnt vmcnt(4)
	v_lshlrev_b32_e32 v5, 4, v7
	v_add_co_u32 v3, s5, v3, v5
	v_add_co_ci_u32_e64 v4, null, 0, v4, s5
	s_waitcnt vmcnt(3)
	v_cmp_neq_f32_e32 vcc_lo, 0, v0
	s_waitcnt vmcnt(1)
	v_lshlrev_b64 v[0:1], 2, v[10:11]
	buffer_store_dword v3, off, s[0:3], s32 offset:368 ; 4-byte Folded Spill
	buffer_store_dword v4, off, s[0:3], s32 offset:372 ; 4-byte Folded Spill
	s_waitcnt vmcnt(0)
	v_lshl_add_u32 v9, v6, 5, s7
	v_lshl_or_b32 v67, v6, 7, v21
	v_sub_nc_u32_e32 v6, v7, v36
	v_add_co_u32 v0, s5, v37, v0
	buffer_store_dword v37, off, s[0:3], s32 offset:432 ; 4-byte Folded Spill
	buffer_store_dword v38, off, s[0:3], s32 offset:436 ; 4-byte Folded Spill
	v_sub_nc_u32_e32 v7, 0, v13
	v_add_nc_u32_e32 v4, 1, v6
	v_mov_b32_e32 v82, v10
	buffer_store_dword v4, off, s[0:3], s32 offset:376 ; 4-byte Folded Spill
	buffer_store_dword v14, off, s[0:3], s32 offset:400 ; 4-byte Folded Spill
	v_mul_lo_u32 v7, v7, v2
	buffer_store_dword v15, off, s[0:3], s32 offset:396 ; 4-byte Folded Spill
	v_mul_hi_u32 v3, v2, v7
	v_add_co_ci_u32_e64 v1, null, v38, v1, s5
	v_add_co_u32 v80, s5, v14, v0
	v_add_nc_u32_e32 v0, v2, v3
	v_add_co_ci_u32_e64 v81, null, v15, v1, s5
	buffer_store_dword v0, off, s[0:3], s32 offset:284 ; 4-byte Folded Spill
	s_branch .LBB308_16
.LBB308_11:                             ;   in Loop: Header=BB308_16 Depth=1
	s_or_b32 exec_lo, exec_lo, s28
	v_lshlrev_b32_e32 v7, 8, v7
	v_lshl_add_u32 v27, v27, 10, 0x2000
	v_lshlrev_b32_e32 v26, 23, v26
	v_and_or_b32 v7, 0x8000, v7, v27
	v_lshl_or_b32 v26, v7, 16, v26
.LBB308_12:                             ;   in Loop: Header=BB308_16 Depth=1
	s_or_b32 exec_lo, exec_lo, s27
.LBB308_13:                             ;   in Loop: Header=BB308_16 Depth=1
	s_or_b32 exec_lo, exec_lo, s26
.LBB308_14:                             ;   in Loop: Header=BB308_16 Depth=1
	s_or_b32 exec_lo, exec_lo, s25
	v_or_b32_e32 v7, v107, v105
	v_or_b32_e32 v4, v5, v4
	v_fma_mixlo_f16 v27, v83, v107, 0 op_sel:[0,1,0] op_sel_hi:[0,1,0]
	v_fma_mixlo_f16 v105, v83, v5, 0 op_sel:[0,1,0] op_sel_hi:[0,1,0]
	;; [unrolled: 1-line block ×3, first 2 shown]
	v_fma_mixlo_f16 v7, v83, v7, 0 op_sel_hi:[0,1,0]
	v_fma_mixlo_f16 v34, v83, v0, 0 op_sel:[0,1,0] op_sel_hi:[0,1,0]
	buffer_store_dword v27, off, s[0:3], s32 offset:308 ; 4-byte Folded Spill
	v_fma_mixlo_f16 v27, v83, v93, 0 op_sel:[0,1,0] op_sel_hi:[0,1,0]
	buffer_store_dword v5, off, s[0:3], s32 offset:332 ; 4-byte Folded Spill
	buffer_store_dword v7, off, s[0:3], s32 offset:312 ; 4-byte Folded Spill
	v_or_b32_e32 v7, v93, v118
	v_fma_mixlo_f16 v5, v83, v15, 0 op_sel:[0,1,0] op_sel_hi:[0,1,0]
	v_fma_mixlo_f16 v31, v83, v6, 0 op_sel:[0,1,0] op_sel_hi:[0,1,0]
	buffer_store_dword v27, off, s[0:3], s32 offset:316 ; 4-byte Folded Spill
	v_fma_mixlo_f16 v32, v83, v2, 0 op_sel:[0,1,0] op_sel_hi:[0,1,0]
	v_fma_mixlo_f16 v7, v83, v7, 0 op_sel_hi:[0,1,0]
	buffer_store_dword v5, off, s[0:3], s32 offset:344 ; 4-byte Folded Spill
	v_fma_mixlo_f16 v5, v83, v21, 0 op_sel:[0,1,0] op_sel_hi:[0,1,0]
	buffer_store_dword v7, off, s[0:3], s32 offset:320 ; 4-byte Folded Spill
	v_or_b32_e32 v7, v17, v106
	v_fma_mixlo_f16 v17, v83, v17, 0 op_sel:[0,1,0] op_sel_hi:[0,1,0]
	v_fma_mixlo_f16 v106, v83, v53, 0 op_sel:[0,1,0] op_sel_hi:[0,1,0]
	v_and_b32_e32 v5, 0xffff, v5
	v_fma_mixlo_f16 v7, v83, v7, 0 op_sel_hi:[0,1,0]
	buffer_store_dword v17, off, s[0:3], s32 offset:300 ; 4-byte Folded Spill
	v_fma_mixlo_f16 v17, v83, v4, 0 op_sel_hi:[0,1,0]
	v_or_b32_e32 v4, v102, v71
	buffer_store_dword v7, off, s[0:3], s32 offset:304 ; 4-byte Folded Spill
	v_or_b32_e32 v7, v33, v16
	v_fma_mixlo_f16 v107, v83, v4, 0 op_sel_hi:[0,1,0]
	v_or_b32_e32 v4, v116, v100
	v_fma_mixlo_f16 v7, v83, v7, 0 op_sel_hi:[0,1,0]
	v_fma_mixlo_f16 v4, v83, v4, 0 op_sel_hi:[0,1,0]
	buffer_store_dword v7, off, s[0:3], s32 offset:296 ; 4-byte Folded Spill
	v_fma_mixlo_f16 v7, v83, v33, 0 op_sel:[0,1,0] op_sel_hi:[0,1,0]
	buffer_store_dword v4, off, s[0:3], s32 offset:328 ; 4-byte Folded Spill
	v_fma_mixlo_f16 v4, v83, v116, 0 op_sel:[0,1,0] op_sel_hi:[0,1,0]
	v_fma_mixlo_f16 v116, v83, v11, 0 op_sel:[0,1,0] op_sel_hi:[0,1,0]
	buffer_store_dword v7, off, s[0:3], s32 offset:292 ; 4-byte Folded Spill
	v_or_b32_e32 v7, v53, v38
	v_fma_mixlo_f16 v53, v83, v18, 0 op_sel:[0,1,0] op_sel_hi:[0,1,0]
	buffer_store_dword v4, off, s[0:3], s32 offset:324 ; 4-byte Folded Spill
	v_or_b32_e32 v4, v15, v14
	v_fma_mixlo_f16 v14, v83, v96, 0 op_sel:[0,1,0] op_sel_hi:[0,1,0]
	v_fma_mixlo_f16 v7, v83, v7, 0 op_sel_hi:[0,1,0]
	v_fma_mixlo_f16 v99, v83, v4, 0 op_sel_hi:[0,1,0]
	v_or_b32_e32 v4, v18, v12
	buffer_store_dword v7, off, s[0:3], s32 offset:336 ; 4-byte Folded Spill
	v_fma_mixlo_f16 v38, v83, v4, 0 op_sel_hi:[0,1,0]
	v_or_b32_e32 v4, v52, v19
	v_fma_mixlo_f16 v52, v83, v52, 0 op_sel:[0,1,0] op_sel_hi:[0,1,0]
	v_fma_mixlo_f16 v19, v83, v4, 0 op_sel_hi:[0,1,0]
	v_or_b32_e32 v4, v54, v25
	v_fma_mixlo_f16 v54, v83, v54, 0 op_sel:[0,1,0] op_sel_hi:[0,1,0]
	v_fma_mixlo_f16 v4, v83, v4, 0 op_sel_hi:[0,1,0]
	buffer_store_dword v4, off, s[0:3], s32 offset:340 ; 4-byte Folded Spill
	v_or_b32_e32 v4, v24, v22
	v_fma_mixlo_f16 v22, v83, v24, 0 op_sel:[0,1,0] op_sel_hi:[0,1,0]
	v_fma_mixlo_f16 v24, v83, v20, 0 op_sel:[0,1,0] op_sel_hi:[0,1,0]
	v_fma_mixlo_f16 v25, v83, v4, 0 op_sel_hi:[0,1,0]
	v_or_b32_e32 v4, v20, v13
	v_fma_mixlo_f16 v13, v83, v64, 0 op_sel:[0,1,0] op_sel_hi:[0,1,0]
	v_fma_mixlo_f16 v71, v83, v4, 0 op_sel_hi:[0,1,0]
	v_or_b32_e32 v4, v70, v30
	v_fma_mixlo_f16 v70, v83, v70, 0 op_sel:[0,1,0] op_sel_hi:[0,1,0]
	v_fma_mixlo_f16 v30, v83, v97, 0 op_sel:[0,1,0] op_sel_hi:[0,1,0]
	v_and_b32_e32 v13, 0xffff, v13
	v_fma_mixlo_f16 v15, v83, v4, 0 op_sel_hi:[0,1,0]
	v_or_b32_e32 v4, v97, v87
	v_fma_mixlo_f16 v97, v83, v66, 0 op_sel:[0,1,0] op_sel_hi:[0,1,0]
	v_fma_mixlo_f16 v20, v83, v4, 0 op_sel_hi:[0,1,0]
	v_or_b32_e32 v4, v66, v65
	v_fma_mixlo_f16 v65, v83, v113, 0 op_sel:[0,1,0] op_sel_hi:[0,1,0]
	v_fma_mixlo_f16 v66, v83, v51, 0 op_sel:[0,1,0] op_sel_hi:[0,1,0]
	v_fma_mixlo_f16 v100, v83, v4, 0 op_sel_hi:[0,1,0]
	v_or_b32_e32 v4, v51, v48
	v_fma_mixlo_f16 v51, v83, v85, 0 op_sel:[0,1,0] op_sel_hi:[0,1,0]
	v_fma_mixlo_f16 v102, v83, v4, 0 op_sel_hi:[0,1,0]
	v_or_b32_e32 v4, v113, v69
	v_fma_mixlo_f16 v69, v83, v4, 0 op_sel_hi:[0,1,0]
	v_or_b32_e32 v4, v85, v103
	;; [unrolled: 2-line block ×5, first 2 shown]
	v_fma_mixlo_f16 v50, v83, v50, 0 op_sel:[0,1,0] op_sel_hi:[0,1,0]
	v_fma_mixlo_f16 v55, v83, v4, 0 op_sel_hi:[0,1,0]
	v_or_b32_e32 v4, v96, v49
	v_fma_mixlo_f16 v49, v83, v35, 0 op_sel:[0,1,0] op_sel_hi:[0,1,0]
	v_fma_mixlo_f16 v96, v83, v95, 0 op_sel:[0,1,0] op_sel_hi:[0,1,0]
	v_fma_mixlo_f16 v21, v83, v4, 0 op_sel_hi:[0,1,0]
	v_or_b32_e32 v4, v0, v10
	v_or_b32_e32 v0, v11, v37
	v_fma_mixlo_f16 v37, v83, v114, 0 op_sel:[0,1,0] op_sel_hi:[0,1,0]
	v_fma_mixlo_f16 v10, v83, v39, 0 op_sel:[0,1,0] op_sel_hi:[0,1,0]
	v_fma_mixlo_f16 v85, v83, v4, 0 op_sel_hi:[0,1,0]
	v_fma_mixlo_f16 v87, v83, v0, 0 op_sel_hi:[0,1,0]
	v_or_b32_e32 v0, v2, v1
	v_fma_mixlo_f16 v4, v83, v112, 0 op_sel:[0,1,0] op_sel_hi:[0,1,0]
	v_and_b32_e32 v10, 0xffff, v10
	v_fma_mixlo_f16 v33, v83, v0, 0 op_sel_hi:[0,1,0]
	v_or_b32_e32 v0, v35, v3
	v_and_b32_e32 v4, 0xffff, v4
	v_fma_mixlo_f16 v12, v83, v0, 0 op_sel_hi:[0,1,0]
	v_or_b32_e32 v0, v110, v104
	v_fma_mixlo_f16 v104, v83, v124, 0 op_sel:[0,1,0] op_sel_hi:[0,1,0]
	v_fma_mixlo_f16 v110, v83, v110, 0 op_sel:[0,1,0] op_sel_hi:[0,1,0]
	v_fma_mixlo_f16 v35, v83, v0, 0 op_sel_hi:[0,1,0]
	v_or_b32_e32 v0, v95, v23
	v_fma_mixlo_f16 v23, v83, v101, 0 op_sel:[0,1,0] op_sel_hi:[0,1,0]
	v_fma_mixlo_f16 v118, v83, v0, 0 op_sel_hi:[0,1,0]
	v_or_b32_e32 v0, v124, v109
	v_fma_mixlo_f16 v124, v83, v77, 0 op_sel:[0,1,0] op_sel_hi:[0,1,0]
	v_fma_mixlo_f16 v109, v83, v0, 0 op_sel_hi:[0,1,0]
	v_or_b32_e32 v0, v64, v123
	v_fma_mixlo_f16 v95, v83, v0, 0 op_sel_hi:[0,1,0]
	v_or_b32_e32 v0, v88, v78
	v_fma_mixlo_f16 v78, v83, v90, 0 op_sel:[0,1,0] op_sel_hi:[0,1,0]
	v_fma_mixlo_f16 v88, v83, v88, 0 op_sel:[0,1,0] op_sel_hi:[0,1,0]
	v_fma_mixlo_f16 v123, v83, v0, 0 op_sel_hi:[0,1,0]
	v_or_b32_e32 v0, v77, v76
	v_fma_mixlo_f16 v76, v83, v91, 0 op_sel:[0,1,0] op_sel_hi:[0,1,0]
	v_fma_mixlo_f16 v93, v83, v0, 0 op_sel_hi:[0,1,0]
	v_or_b32_e32 v0, v90, v79
	v_fma_mixlo_f16 v90, v83, v61, 0 op_sel:[0,1,0] op_sel_hi:[0,1,0]
	v_fma_mixlo_f16 v79, v83, v0, 0 op_sel_hi:[0,1,0]
	v_or_b32_e32 v0, v91, v89
	;; [unrolled: 12-line block ×3, first 2 shown]
	v_fma_mixlo_f16 v61, v83, v0, 0 op_sel_hi:[0,1,0]
	v_or_b32_e32 v0, v56, v46
	v_fma_mixlo_f16 v46, v83, v58, 0 op_sel:[0,1,0] op_sel_hi:[0,1,0]
	v_fma_mixlo_f16 v56, v83, v56, 0 op_sel:[0,1,0] op_sel_hi:[0,1,0]
	v_fma_mixlo_f16 v73, v83, v0, 0 op_sel_hi:[0,1,0]
	v_or_b32_e32 v0, v45, v44
	v_fma_mixlo_f16 v44, v83, v59, 0 op_sel:[0,1,0] op_sel_hi:[0,1,0]
	v_fma_mixlo_f16 v75, v83, v0, 0 op_sel_hi:[0,1,0]
	v_or_b32_e32 v0, v58, v47
	v_fma_mixlo_f16 v47, v83, v0, 0 op_sel_hi:[0,1,0]
	v_or_b32_e32 v0, v59, v57
	v_fma_mixlo_f16 v57, v83, v40, 0 op_sel:[0,1,0] op_sel_hi:[0,1,0]
	v_fma_mixlo_f16 v59, v83, v117, 0 op_sel:[0,1,0] op_sel_hi:[0,1,0]
	v_fma_mixlo_f16 v45, v83, v0, 0 op_sel_hi:[0,1,0]
	v_or_b32_e32 v0, v40, v94
	v_fma_mixlo_f16 v40, v83, v42, 0 op_sel:[0,1,0] op_sel_hi:[0,1,0]
	v_fma_mixlo_f16 v58, v83, v0, 0 op_sel_hi:[0,1,0]
	buffer_load_dword v0, off, s[0:3], s32 offset:268 ; 4-byte Folded Reload
	s_waitcnt vmcnt(0)
	v_or_b32_e32 v0, v117, v0
	v_fma_mixlo_f16 v117, v83, v43, 0 op_sel:[0,1,0] op_sel_hi:[0,1,0]
	v_fma_mixlo_f16 v94, v83, v0, 0 op_sel_hi:[0,1,0]
	v_or_b32_e32 v0, v42, v119
	v_fma_mixlo_f16 v42, v83, v0, 0 op_sel_hi:[0,1,0]
	v_or_b32_e32 v0, v43, v125
	v_fma_mixlo_f16 v119, v83, v0, 0 op_sel_hi:[0,1,0]
	buffer_load_dword v0, off, s[0:3], s32 offset:256 ; 4-byte Folded Reload
	s_waitcnt vmcnt(0)
	v_or_b32_e32 v0, v101, v0
	v_fma_mixlo_f16 v7, v83, v0, 0 op_sel_hi:[0,1,0]
	buffer_load_dword v0, off, s[0:3], s32 offset:252 ; 4-byte Folded Reload
	s_waitcnt vmcnt(0)
	v_or_b32_e32 v0, v39, v0
	v_fma_mixlo_f16 v11, v83, v0, 0 op_sel_hi:[0,1,0]
	buffer_load_dword v0, off, s[0:3], s32 offset:260 ; 4-byte Folded Reload
	v_and_b32_e32 v11, 0xffff, v11
	s_waitcnt vmcnt(0)
	v_or_b32_e32 v0, v114, v0
	v_fma_mixlo_f16 v114, v83, v41, 0 op_sel:[0,1,0] op_sel_hi:[0,1,0]
	v_fma_mixlo_f16 v64, v83, v0, 0 op_sel_hi:[0,1,0]
	buffer_load_dword v0, off, s[0:3], s32 offset:264 ; 4-byte Folded Reload
	s_waitcnt vmcnt(0)
	v_or_b32_e32 v0, v112, v0
	v_fma_mixlo_f16 v6, v83, v0, 0 op_sel_hi:[0,1,0]
	v_or_b32_e32 v0, v121, v126
	v_fma_mixlo_f16 v121, v83, v121, 0 op_sel:[0,1,0] op_sel_hi:[0,1,0]
	v_fma_mixlo_f16 v125, v83, v0, 0 op_sel_hi:[0,1,0]
	v_or_b32_e32 v0, v41, v120
	v_fma_mixlo_f16 v126, v83, v0, 0 op_sel_hi:[0,1,0]
	s_clause 0x1
	buffer_load_dword v0, off, s[0:3], s32 offset:244
	buffer_load_dword v1, off, s[0:3], s32 offset:248
	s_load_dword s25, s[8:9], 0x0
	buffer_load_dword v2, off, s[0:3], s32 offset:364 ; 4-byte Folded Reload
	s_waitcnt vmcnt(1)
	v_or_b32_e32 v0, v1, v0
	v_fma_mixlo_f16 v16, v83, v1, 0 op_sel:[0,1,0] op_sel_hi:[0,1,0]
	buffer_load_dword v1, off, s[0:3], s32 offset:272 ; 4-byte Folded Reload
	v_fma_mixlo_f16 v120, v83, v0, 0 op_sel_hi:[0,1,0]
	s_waitcnt vmcnt(0)
	v_or_b32_e32 v0, v1, v115
	v_fma_mixlo_f16 v41, v83, v1, 0 op_sel:[0,1,0] op_sel_hi:[0,1,0]
	buffer_load_dword v1, off, s[0:3], s32 offset:376 ; 4-byte Folded Reload
	v_fma_mixlo_f16 v43, v83, v0, 0 op_sel_hi:[0,1,0]
	buffer_load_dword v0, off, s[0:3], s32 offset:348 ; 4-byte Folded Reload
	s_waitcnt vmcnt(1)
	v_add_nc_u32_e32 v1, v1, v9
	s_waitcnt vmcnt(0)
	v_add_nc_u32_e32 v0, v0, v9
	v_cvt_f32_i32_e32 v1, v1
	v_cmp_lt_i32_e64 s5, v0, v36
	v_mul_f32_e32 v1, v2, v1
	v_fma_mixlo_f16 v2, v83, v84, 0 op_sel:[0,1,0] op_sel_hi:[0,1,0]
	s_waitcnt lgkmcnt(0)
	v_add_nc_u32_e32 v0, s25, v67
	v_cndmask_b32_e32 v18, 0, v1, vcc_lo
	v_or_b32_e32 v1, v84, v108
	buffer_store_dword v2, off, s[0:3], s32 offset:252 ; 4-byte Folded Spill
	buffer_store_dword v0, off, s[0:3], s32 offset:244 ; 4-byte Folded Spill
	v_fma_mixlo_f16 v108, v83, v127, 0 op_sel:[0,1,0] op_sel_hi:[0,1,0]
	v_fma_mixlo_f16 v1, v83, v1, 0 op_sel_hi:[0,1,0]
	buffer_store_dword v1, off, s[0:3], s32 offset:256 ; 4-byte Folded Spill
	v_or_b32_e32 v1, v127, v111
	v_fma_mixlo_f16 v111, v83, v98, 0 op_sel:[0,1,0] op_sel_hi:[0,1,0]
	v_fma_mixlo_f16 v84, v83, v1, 0 op_sel_hi:[0,1,0]
	v_or_b32_e32 v1, v98, v122
	v_fma_mixlo_f16 v98, v83, v1, 0 op_sel_hi:[0,1,0]
	v_or_b32_e32 v1, v26, v86
	v_fma_mixlo_f16 v1, v83, v1, 0 op_sel_hi:[0,1,0]
	v_fma_mixlo_f16 v83, v83, v26, 0 op_sel:[0,1,0] op_sel_hi:[0,1,0]
	buffer_store_dword v1, off, s[0:3], s32 offset:248 ; 4-byte Folded Spill
	ds_read_b128 v[0:3], v8
	s_waitcnt lgkmcnt(0)
	v_lshrrev_b32_e32 v26, 16, v0
	v_and_b32_e32 v0, 0xffff, v0
	;;#ASMSTART
	v_cvt_f32_f16 v115, v0;
	;;#ASMEND
	v_and_b32_e32 v0, 0xffff, v126
	;;#ASMSTART
	v_cvt_f32_f16 v112, v26;
	;;#ASMEND
	;;#ASMSTART
	v_cvt_f32_f16 v27, v0;
	;;#ASMEND
	v_and_b32_e32 v0, 0xffff, v114
	;;#ASMSTART
	v_cvt_f32_f16 v26, v0;
	;;#ASMEND
	v_lshrrev_b32_e32 v0, 16, v1
	v_and_b32_e32 v1, 0xffff, v1
	;;#ASMSTART
	v_cvt_f32_f16 v127, v1;
	;;#ASMEND
	;;#ASMSTART
	v_cvt_f32_f16 v126, v0;
	;;#ASMEND
	v_and_b32_e32 v0, 0xffff, v125
	;;#ASMSTART
	v_cvt_f32_f16 v39, v0;
	;;#ASMEND
	v_and_b32_e32 v0, 0xffff, v121
	;;#ASMSTART
	v_cvt_f32_f16 v101, v0;
	;;#ASMEND
	v_lshrrev_b32_e32 v0, 16, v2
	v_and_b32_e32 v1, 0xffff, v2
	;;#ASMSTART
	v_cvt_f32_f16 v122, v1;
	;;#ASMEND
	;;#ASMSTART
	v_cvt_f32_f16 v121, v0;
	;;#ASMEND
	v_and_b32_e32 v0, 0xffff, v120
	;;#ASMSTART
	v_cvt_f32_f16 v120, v0;
	;;#ASMEND
	v_and_b32_e32 v0, 0xffff, v16
	;;#ASMSTART
	v_cvt_f32_f16 v125, v0;
	;;#ASMEND
	v_lshrrev_b32_e32 v0, 16, v3
	v_and_b32_e32 v1, 0xffff, v3
	;;#ASMSTART
	v_cvt_f32_f16 v114, v1;
	;;#ASMEND
	;;#ASMSTART
	v_cvt_f32_f16 v16, v0;
	;;#ASMEND
	v_and_b32_e32 v0, 0xffff, v43
	;;#ASMSTART
	v_cvt_f32_f16 v86, v0;
	;;#ASMEND
	v_and_b32_e32 v0, 0xffff, v41
	;;#ASMSTART
	v_cvt_f32_f16 v41, v0;
	;;#ASMEND
	ds_read_b128 v[0:3], v8 offset:16
	s_waitcnt lgkmcnt(0)
	v_lshrrev_b32_e32 v28, 16, v0
	v_and_b32_e32 v0, 0xffff, v0
	;;#ASMSTART
	v_cvt_f32_f16 v0, v0;
	;;#ASMEND
	;;#ASMSTART
	v_cvt_f32_f16 v28, v28;
	;;#ASMEND
	;; [unrolled: 3-line block ×4, first 2 shown]
	v_mul_f32_e32 v10, v0, v11
	v_mul_f32_e32 v11, v28, v29
	v_and_b32_e32 v0, 0xffff, v1
	;;#ASMSTART
	v_cvt_f32_f16 v0, v0;
	;;#ASMEND
	v_fmac_f32_e32 v10, v115, v27
	v_fmac_f32_e32 v11, v112, v26
	v_lshrrev_b32_e32 v26, 16, v1
	v_and_b32_e32 v1, 0xffff, v7
	v_and_b32_e32 v7, 0xffff, v23
	;;#ASMSTART
	v_cvt_f32_f16 v26, v26;
	;;#ASMEND
	;;#ASMSTART
	v_cvt_f32_f16 v1, v1;
	;;#ASMEND
	;; [unrolled: 3-line block ×3, first 2 shown]
	v_mul_f32_e32 v1, v0, v1
	v_mul_f32_e32 v0, v26, v7
	v_lshrrev_b32_e32 v7, 16, v2
	v_and_b32_e32 v2, 0xffff, v2
	;;#ASMSTART
	v_cvt_f32_f16 v2, v2;
	;;#ASMEND
	;;#ASMSTART
	v_cvt_f32_f16 v7, v7;
	;;#ASMEND
	v_and_b32_e32 v23, 0xffff, v64
	v_and_b32_e32 v26, 0xffff, v37
	;;#ASMSTART
	v_cvt_f32_f16 v23, v23;
	;;#ASMEND
	;;#ASMSTART
	v_cvt_f32_f16 v26, v26;
	;;#ASMEND
	v_mul_f32_e32 v64, v2, v23
	v_mul_f32_e32 v37, v7, v26
	v_lshrrev_b32_e32 v7, 16, v3
	v_and_b32_e32 v2, 0xffff, v3
	v_and_b32_e32 v3, 0xffff, v6
	;;#ASMSTART
	v_cvt_f32_f16 v2, v2;
	;;#ASMEND
	;;#ASMSTART
	v_cvt_f32_f16 v7, v7;
	;;#ASMEND
	;;#ASMSTART
	v_cvt_f32_f16 v3, v3;
	;;#ASMEND
	;;#ASMSTART
	v_cvt_f32_f16 v4, v4;
	;;#ASMEND
	ds_read_b128 v[26:29], v8 offset:32
	v_mul_f32_e32 v3, v2, v3
	v_mul_f32_e32 v2, v7, v4
	v_fmac_f32_e32 v1, v127, v39
	v_fmac_f32_e32 v0, v126, v101
	v_and_b32_e32 v7, 0xffff, v94
	v_fmac_f32_e32 v64, v122, v120
	v_fmac_f32_e32 v2, v16, v41
	v_and_b32_e32 v16, 0xffff, v59
	v_fmac_f32_e32 v37, v121, v125
	v_fmac_f32_e32 v3, v114, v86
	s_waitcnt lgkmcnt(0)
	v_lshrrev_b32_e32 v6, 16, v26
	v_and_b32_e32 v4, 0xffff, v26
	;;#ASMSTART
	v_cvt_f32_f16 v4, v4;
	;;#ASMEND
	;;#ASMSTART
	v_cvt_f32_f16 v6, v6;
	;;#ASMEND
	;;#ASMSTART
	v_cvt_f32_f16 v7, v7;
	;;#ASMEND
	;;#ASMSTART
	v_cvt_f32_f16 v16, v16;
	;;#ASMEND
	v_fmac_f32_e32 v10, v4, v7
	v_fmac_f32_e32 v11, v6, v16
	v_lshrrev_b32_e32 v6, 16, v27
	v_and_b32_e32 v4, 0xffff, v27
	v_and_b32_e32 v7, 0xffff, v58
	v_and_b32_e32 v16, 0xffff, v57
	;;#ASMSTART
	v_cvt_f32_f16 v4, v4;
	;;#ASMEND
	;;#ASMSTART
	v_cvt_f32_f16 v6, v6;
	;;#ASMEND
	;;#ASMSTART
	v_cvt_f32_f16 v7, v7;
	;;#ASMEND
	;;#ASMSTART
	v_cvt_f32_f16 v16, v16;
	;;#ASMEND
	v_fmac_f32_e32 v1, v4, v7
	v_fmac_f32_e32 v0, v6, v16
	v_lshrrev_b32_e32 v6, 16, v28
	v_and_b32_e32 v4, 0xffff, v28
	v_and_b32_e32 v7, 0xffff, v42
	;; [unrolled: 18-line block ×3, first 2 shown]
	v_and_b32_e32 v16, 0xffff, v117
	;;#ASMSTART
	v_cvt_f32_f16 v4, v4;
	;;#ASMEND
	;;#ASMSTART
	v_cvt_f32_f16 v6, v6;
	;;#ASMEND
	;; [unrolled: 3-line block ×4, first 2 shown]
	ds_read_b128 v[26:29], v8 offset:48
	v_fmac_f32_e32 v3, v4, v7
	v_fmac_f32_e32 v2, v6, v16
	v_and_b32_e32 v7, 0xffff, v75
	v_and_b32_e32 v16, 0xffff, v74
	s_waitcnt lgkmcnt(0)
	v_lshrrev_b32_e32 v6, 16, v26
	v_and_b32_e32 v4, 0xffff, v26
	;;#ASMSTART
	v_cvt_f32_f16 v4, v4;
	;;#ASMEND
	;;#ASMSTART
	v_cvt_f32_f16 v6, v6;
	;;#ASMEND
	;;#ASMSTART
	v_cvt_f32_f16 v7, v7;
	;;#ASMEND
	;;#ASMSTART
	v_cvt_f32_f16 v16, v16;
	;;#ASMEND
	v_fmac_f32_e32 v10, v4, v7
	v_fmac_f32_e32 v11, v6, v16
	v_lshrrev_b32_e32 v6, 16, v27
	v_and_b32_e32 v4, 0xffff, v27
	v_and_b32_e32 v7, 0xffff, v73
	v_and_b32_e32 v16, 0xffff, v56
	;;#ASMSTART
	v_cvt_f32_f16 v4, v4;
	;;#ASMEND
	;;#ASMSTART
	v_cvt_f32_f16 v6, v6;
	;;#ASMEND
	;;#ASMSTART
	v_cvt_f32_f16 v7, v7;
	;;#ASMEND
	;;#ASMSTART
	v_cvt_f32_f16 v16, v16;
	;;#ASMEND
	v_fmac_f32_e32 v1, v4, v7
	v_fmac_f32_e32 v0, v6, v16
	v_lshrrev_b32_e32 v6, 16, v28
	v_and_b32_e32 v4, 0xffff, v28
	v_and_b32_e32 v7, 0xffff, v47
	;; [unrolled: 18-line block ×3, first 2 shown]
	v_and_b32_e32 v16, 0xffff, v44
	;;#ASMSTART
	v_cvt_f32_f16 v4, v4;
	;;#ASMEND
	;;#ASMSTART
	v_cvt_f32_f16 v6, v6;
	;;#ASMEND
	;;#ASMSTART
	v_cvt_f32_f16 v7, v7;
	;;#ASMEND
	;;#ASMSTART
	v_cvt_f32_f16 v16, v16;
	;;#ASMEND
	ds_read_b128 v[26:29], v8 offset:64
	v_fmac_f32_e32 v3, v4, v7
	v_fmac_f32_e32 v2, v6, v16
	v_and_b32_e32 v7, 0xffff, v91
	v_and_b32_e32 v16, 0xffff, v90
	s_waitcnt lgkmcnt(0)
	v_lshrrev_b32_e32 v6, 16, v26
	v_and_b32_e32 v4, 0xffff, v26
	;;#ASMSTART
	v_cvt_f32_f16 v4, v4;
	;;#ASMEND
	;;#ASMSTART
	v_cvt_f32_f16 v6, v6;
	;;#ASMEND
	;;#ASMSTART
	v_cvt_f32_f16 v7, v7;
	;;#ASMEND
	;;#ASMSTART
	v_cvt_f32_f16 v16, v16;
	;;#ASMEND
	v_fmac_f32_e32 v10, v4, v7
	v_fmac_f32_e32 v11, v6, v16
	v_lshrrev_b32_e32 v6, 16, v27
	v_and_b32_e32 v4, 0xffff, v27
	v_and_b32_e32 v7, 0xffff, v89
	v_and_b32_e32 v16, 0xffff, v72
	;;#ASMSTART
	v_cvt_f32_f16 v4, v4;
	;;#ASMEND
	;;#ASMSTART
	v_cvt_f32_f16 v6, v6;
	;;#ASMEND
	;;#ASMSTART
	v_cvt_f32_f16 v7, v7;
	;;#ASMEND
	;;#ASMSTART
	v_cvt_f32_f16 v16, v16;
	;;#ASMEND
	v_fmac_f32_e32 v1, v4, v7
	v_fmac_f32_e32 v0, v6, v16
	v_lshrrev_b32_e32 v6, 16, v28
	v_and_b32_e32 v4, 0xffff, v28
	v_and_b32_e32 v7, 0xffff, v63
	;; [unrolled: 18-line block ×3, first 2 shown]
	v_and_b32_e32 v16, 0xffff, v60
	;;#ASMSTART
	v_cvt_f32_f16 v4, v4;
	;;#ASMEND
	;;#ASMSTART
	v_cvt_f32_f16 v6, v6;
	;;#ASMEND
	;; [unrolled: 3-line block ×4, first 2 shown]
	ds_read_b128 v[26:29], v8 offset:80
	v_fmac_f32_e32 v3, v4, v7
	v_fmac_f32_e32 v2, v6, v16
	v_and_b32_e32 v7, 0xffff, v93
	v_and_b32_e32 v16, 0xffff, v124
	s_waitcnt lgkmcnt(0)
	v_lshrrev_b32_e32 v6, 16, v26
	v_and_b32_e32 v4, 0xffff, v26
	;;#ASMSTART
	v_cvt_f32_f16 v4, v4;
	;;#ASMEND
	;;#ASMSTART
	v_cvt_f32_f16 v6, v6;
	;;#ASMEND
	;;#ASMSTART
	v_cvt_f32_f16 v7, v7;
	;;#ASMEND
	;;#ASMSTART
	v_cvt_f32_f16 v16, v16;
	;;#ASMEND
	v_fmac_f32_e32 v10, v4, v7
	v_fmac_f32_e32 v11, v6, v16
	v_lshrrev_b32_e32 v6, 16, v27
	v_and_b32_e32 v4, 0xffff, v27
	v_and_b32_e32 v7, 0xffff, v123
	v_and_b32_e32 v16, 0xffff, v88
	;;#ASMSTART
	v_cvt_f32_f16 v4, v4;
	;;#ASMEND
	;;#ASMSTART
	v_cvt_f32_f16 v6, v6;
	;;#ASMEND
	;;#ASMSTART
	v_cvt_f32_f16 v7, v7;
	;;#ASMEND
	;;#ASMSTART
	v_cvt_f32_f16 v16, v16;
	;;#ASMEND
	v_fmac_f32_e32 v1, v4, v7
	v_fmac_f32_e32 v0, v6, v16
	v_lshrrev_b32_e32 v6, 16, v28
	v_and_b32_e32 v4, 0xffff, v28
	v_and_b32_e32 v7, 0xffff, v79
	v_and_b32_e32 v16, 0xffff, v78
	;;#ASMSTART
	v_cvt_f32_f16 v4, v4;
	;;#ASMEND
	;;#ASMSTART
	v_cvt_f32_f16 v6, v6;
	;;#ASMEND
	;;#ASMSTART
	v_cvt_f32_f16 v7, v7;
	;;#ASMEND
	;;#ASMSTART
	v_cvt_f32_f16 v16, v16;
	;;#ASMEND
	v_fmac_f32_e32 v64, v4, v7
	v_fmac_f32_e32 v37, v6, v16
	v_lshrrev_b32_e32 v6, 16, v29
	v_and_b32_e32 v4, 0xffff, v29
	v_and_b32_e32 v7, 0xffff, v77
	v_and_b32_e32 v16, 0xffff, v76
	;;#ASMSTART
	v_cvt_f32_f16 v4, v4;
	;;#ASMEND
	;;#ASMSTART
	v_cvt_f32_f16 v6, v6;
	;;#ASMEND
	;; [unrolled: 3-line block ×4, first 2 shown]
	ds_read_b128 v[26:29], v8 offset:96
	v_fmac_f32_e32 v3, v4, v7
	v_fmac_f32_e32 v2, v6, v16
	v_and_b32_e32 v7, 0xffff, v118
	v_and_b32_e32 v16, 0xffff, v96
	s_waitcnt lgkmcnt(0)
	v_lshrrev_b32_e32 v6, 16, v26
	v_and_b32_e32 v4, 0xffff, v26
	;;#ASMSTART
	v_cvt_f32_f16 v4, v4;
	;;#ASMEND
	;;#ASMSTART
	v_cvt_f32_f16 v6, v6;
	;;#ASMEND
	;; [unrolled: 3-line block ×4, first 2 shown]
	v_fmac_f32_e32 v10, v4, v7
	v_fmac_f32_e32 v11, v6, v16
	v_lshrrev_b32_e32 v6, 16, v27
	v_and_b32_e32 v4, 0xffff, v27
	v_and_b32_e32 v7, 0xffff, v35
	;;#ASMSTART
	v_cvt_f32_f16 v4, v4;
	;;#ASMEND
	;;#ASMSTART
	v_cvt_f32_f16 v6, v6;
	;;#ASMEND
	;; [unrolled: 3-line block ×3, first 2 shown]
	v_and_b32_e32 v16, 0xffff, v110
	;;#ASMSTART
	v_cvt_f32_f16 v16, v16;
	;;#ASMEND
	v_fmac_f32_e32 v1, v4, v7
	v_fmac_f32_e32 v0, v6, v16
	v_lshrrev_b32_e32 v6, 16, v28
	v_and_b32_e32 v4, 0xffff, v28
	v_and_b32_e32 v7, 0xffff, v109
	;;#ASMSTART
	v_cvt_f32_f16 v4, v4;
	;;#ASMEND
	;;#ASMSTART
	v_cvt_f32_f16 v6, v6;
	;;#ASMEND
	;; [unrolled: 3-line block ×3, first 2 shown]
	v_and_b32_e32 v16, 0xffff, v104
	;;#ASMSTART
	v_cvt_f32_f16 v16, v16;
	;;#ASMEND
	v_fmac_f32_e32 v64, v4, v7
	v_fmac_f32_e32 v37, v6, v16
	v_lshrrev_b32_e32 v6, 16, v29
	v_and_b32_e32 v4, 0xffff, v29
	v_and_b32_e32 v7, 0xffff, v95
	;;#ASMSTART
	v_cvt_f32_f16 v4, v4;
	;;#ASMEND
	;;#ASMSTART
	v_cvt_f32_f16 v6, v6;
	;;#ASMEND
	;; [unrolled: 3-line block ×4, first 2 shown]
	ds_read_b128 v[26:29], v8 offset:112
	v_fmac_f32_e32 v3, v4, v7
	v_fmac_f32_e32 v2, v6, v13
	v_and_b32_e32 v7, 0xffff, v87
	v_and_b32_e32 v13, 0xffff, v116
	s_waitcnt lgkmcnt(0)
	v_lshrrev_b32_e32 v6, 16, v26
	v_and_b32_e32 v4, 0xffff, v26
	;;#ASMSTART
	v_cvt_f32_f16 v4, v4;
	;;#ASMEND
	;;#ASMSTART
	v_cvt_f32_f16 v6, v6;
	;;#ASMEND
	;; [unrolled: 3-line block ×4, first 2 shown]
	v_fmac_f32_e32 v10, v4, v7
	v_fmac_f32_e32 v11, v6, v13
	v_lshrrev_b32_e32 v6, 16, v27
	v_and_b32_e32 v4, 0xffff, v27
	v_and_b32_e32 v7, 0xffff, v85
	;;#ASMSTART
	v_cvt_f32_f16 v4, v4;
	;;#ASMEND
	;;#ASMSTART
	v_cvt_f32_f16 v6, v6;
	;;#ASMEND
	;; [unrolled: 3-line block ×3, first 2 shown]
	v_and_b32_e32 v13, 0xffff, v34
	;;#ASMSTART
	v_cvt_f32_f16 v13, v13;
	;;#ASMEND
	v_fmac_f32_e32 v1, v4, v7
	v_fmac_f32_e32 v0, v6, v13
	v_lshrrev_b32_e32 v6, 16, v28
	v_and_b32_e32 v4, 0xffff, v28
	v_and_b32_e32 v7, 0xffff, v33
	;;#ASMSTART
	v_cvt_f32_f16 v4, v4;
	;;#ASMEND
	;;#ASMSTART
	v_cvt_f32_f16 v6, v6;
	;;#ASMEND
	;; [unrolled: 3-line block ×3, first 2 shown]
	v_and_b32_e32 v13, 0xffff, v32
	;;#ASMSTART
	v_cvt_f32_f16 v13, v13;
	;;#ASMEND
	v_fmac_f32_e32 v64, v4, v7
	v_fmac_f32_e32 v37, v6, v13
	v_lshrrev_b32_e32 v6, 16, v29
	v_and_b32_e32 v4, 0xffff, v29
	v_and_b32_e32 v7, 0xffff, v12
	v_and_b32_e32 v12, 0xffff, v49
	;;#ASMSTART
	v_cvt_f32_f16 v4, v4;
	;;#ASMEND
	;;#ASMSTART
	v_cvt_f32_f16 v6, v6;
	;;#ASMEND
	;; [unrolled: 3-line block ×4, first 2 shown]
	ds_read_b128 v[26:29], v8 offset:128
	v_fmac_f32_e32 v3, v4, v7
	v_fmac_f32_e32 v2, v6, v12
	v_and_b32_e32 v7, 0xffff, v113
	v_and_b32_e32 v13, 0xffff, v102
	s_waitcnt lgkmcnt(0)
	v_lshrrev_b32_e32 v6, 16, v26
	v_and_b32_e32 v4, 0xffff, v26
	;;#ASMSTART
	v_cvt_f32_f16 v4, v4;
	;;#ASMEND
	;;#ASMSTART
	v_cvt_f32_f16 v6, v6;
	;;#ASMEND
	;;#ASMSTART
	v_cvt_f32_f16 v7, v7;
	;;#ASMEND
	;;#ASMSTART
	v_cvt_f32_f16 v5, v5;
	;;#ASMEND
	v_fmac_f32_e32 v10, v4, v7
	v_fmac_f32_e32 v11, v6, v5
	v_lshrrev_b32_e32 v5, 16, v27
	v_and_b32_e32 v4, 0xffff, v27
	v_and_b32_e32 v6, 0xffff, v103
	v_and_b32_e32 v7, 0xffff, v31
	;;#ASMSTART
	v_cvt_f32_f16 v4, v4;
	;;#ASMEND
	;;#ASMSTART
	v_cvt_f32_f16 v5, v5;
	;;#ASMEND
	;;#ASMSTART
	v_cvt_f32_f16 v6, v6;
	;;#ASMEND
	;;#ASMSTART
	v_cvt_f32_f16 v7, v7;
	;;#ASMEND
	v_fmac_f32_e32 v1, v4, v6
	v_fmac_f32_e32 v0, v5, v7
	v_lshrrev_b32_e32 v5, 16, v28
	v_and_b32_e32 v4, 0xffff, v28
	v_and_b32_e32 v6, 0xffff, v55
	;; [unrolled: 18-line block ×3, first 2 shown]
	v_and_b32_e32 v7, 0xffff, v14
	;;#ASMSTART
	v_cvt_f32_f16 v4, v4;
	;;#ASMEND
	;;#ASMSTART
	v_cvt_f32_f16 v5, v5;
	;;#ASMEND
	;; [unrolled: 3-line block ×4, first 2 shown]
	v_fmac_f32_e32 v3, v4, v6
	v_fmac_f32_e32 v2, v5, v7
	ds_read_b128 v[4:7], v8 offset:144
	v_and_b32_e32 v14, 0xffff, v66
	s_waitcnt lgkmcnt(0)
	v_lshrrev_b32_e32 v12, 16, v4
	v_and_b32_e32 v4, 0xffff, v4
	;;#ASMSTART
	v_cvt_f32_f16 v4, v4;
	;;#ASMEND
	;;#ASMSTART
	v_cvt_f32_f16 v12, v12;
	;;#ASMEND
	;; [unrolled: 3-line block ×4, first 2 shown]
	v_fmac_f32_e32 v10, v4, v13
	v_fmac_f32_e32 v11, v12, v14
	v_lshrrev_b32_e32 v12, 16, v5
	v_and_b32_e32 v4, 0xffff, v5
	;;#ASMSTART
	v_cvt_f32_f16 v4, v4;
	;;#ASMEND
	;;#ASMSTART
	v_cvt_f32_f16 v5, v12;
	;;#ASMEND
	v_and_b32_e32 v12, 0xffff, v100
	v_and_b32_e32 v13, 0xffff, v97
	;;#ASMSTART
	v_cvt_f32_f16 v12, v12;
	;;#ASMEND
	;;#ASMSTART
	v_cvt_f32_f16 v13, v13;
	;;#ASMEND
	v_fmac_f32_e32 v1, v4, v12
	v_fmac_f32_e32 v0, v5, v13
	v_lshrrev_b32_e32 v5, 16, v6
	v_and_b32_e32 v4, 0xffff, v6
	v_and_b32_e32 v6, 0xffff, v69
	;;#ASMSTART
	v_cvt_f32_f16 v4, v4;
	;;#ASMEND
	;;#ASMSTART
	v_cvt_f32_f16 v5, v5;
	;;#ASMEND
	;; [unrolled: 3-line block ×3, first 2 shown]
	v_and_b32_e32 v12, 0xffff, v65
	;;#ASMSTART
	v_cvt_f32_f16 v12, v12;
	;;#ASMEND
	v_fmac_f32_e32 v64, v4, v6
	v_fmac_f32_e32 v37, v5, v12
	v_lshrrev_b32_e32 v5, 16, v7
	v_and_b32_e32 v4, 0xffff, v7
	v_and_b32_e32 v6, 0xffff, v48
	;; [unrolled: 1-line block ×3, first 2 shown]
	;;#ASMSTART
	v_cvt_f32_f16 v4, v4;
	;;#ASMEND
	;;#ASMSTART
	v_cvt_f32_f16 v5, v5;
	;;#ASMEND
	;; [unrolled: 3-line block ×4, first 2 shown]
	v_fmac_f32_e32 v3, v4, v6
	v_fmac_f32_e32 v2, v5, v7
	ds_read_b128 v[4:7], v8 offset:160
	v_and_b32_e32 v13, 0xffff, v71
	v_and_b32_e32 v14, 0xffff, v24
	s_waitcnt lgkmcnt(0)
	v_lshrrev_b32_e32 v12, 16, v4
	v_and_b32_e32 v4, 0xffff, v4
	;;#ASMSTART
	v_cvt_f32_f16 v4, v4;
	;;#ASMEND
	;;#ASMSTART
	v_cvt_f32_f16 v12, v12;
	;;#ASMEND
	;;#ASMSTART
	v_cvt_f32_f16 v13, v13;
	;;#ASMEND
	;;#ASMSTART
	v_cvt_f32_f16 v14, v14;
	;;#ASMEND
	v_fmac_f32_e32 v10, v4, v13
	v_fmac_f32_e32 v11, v12, v14
	v_lshrrev_b32_e32 v12, 16, v5
	v_and_b32_e32 v4, 0xffff, v5
	;;#ASMSTART
	v_cvt_f32_f16 v4, v4;
	;;#ASMEND
	;;#ASMSTART
	v_cvt_f32_f16 v5, v12;
	;;#ASMEND
	v_and_b32_e32 v12, 0xffff, v25
	v_and_b32_e32 v13, 0xffff, v22
	;;#ASMSTART
	v_cvt_f32_f16 v12, v12;
	;;#ASMEND
	;;#ASMSTART
	v_cvt_f32_f16 v13, v13;
	;;#ASMEND
	v_fmac_f32_e32 v1, v4, v12
	v_fmac_f32_e32 v0, v5, v13
	v_lshrrev_b32_e32 v5, 16, v6
	v_and_b32_e32 v4, 0xffff, v6
	v_and_b32_e32 v6, 0xffff, v15
	;;#ASMSTART
	v_cvt_f32_f16 v4, v4;
	;;#ASMEND
	;;#ASMSTART
	v_cvt_f32_f16 v5, v5;
	;;#ASMEND
	;; [unrolled: 3-line block ×3, first 2 shown]
	v_and_b32_e32 v12, 0xffff, v70
	;;#ASMSTART
	v_cvt_f32_f16 v12, v12;
	;;#ASMEND
	v_fmac_f32_e32 v64, v4, v6
	v_fmac_f32_e32 v37, v5, v12
	v_lshrrev_b32_e32 v5, 16, v7
	v_and_b32_e32 v4, 0xffff, v7
	v_and_b32_e32 v6, 0xffff, v20
	;; [unrolled: 1-line block ×3, first 2 shown]
	;;#ASMSTART
	v_cvt_f32_f16 v4, v4;
	;;#ASMEND
	;;#ASMSTART
	v_cvt_f32_f16 v5, v5;
	;;#ASMEND
	;; [unrolled: 3-line block ×4, first 2 shown]
	v_fmac_f32_e32 v3, v4, v6
	v_fmac_f32_e32 v2, v5, v7
	ds_read_b128 v[4:7], v8 offset:176
	v_and_b32_e32 v13, 0xffff, v38
	v_and_b32_e32 v14, 0xffff, v53
	s_waitcnt lgkmcnt(0)
	v_lshrrev_b32_e32 v12, 16, v4
	v_and_b32_e32 v4, 0xffff, v4
	;;#ASMSTART
	v_cvt_f32_f16 v4, v4;
	;;#ASMEND
	;;#ASMSTART
	v_cvt_f32_f16 v12, v12;
	;;#ASMEND
	;; [unrolled: 3-line block ×4, first 2 shown]
	v_fmac_f32_e32 v10, v4, v13
	v_fmac_f32_e32 v11, v12, v14
	v_lshrrev_b32_e32 v12, 16, v5
	v_and_b32_e32 v4, 0xffff, v5
	;;#ASMSTART
	v_cvt_f32_f16 v4, v4;
	;;#ASMEND
	;;#ASMSTART
	v_cvt_f32_f16 v5, v12;
	;;#ASMEND
	v_and_b32_e32 v12, 0xffff, v99
	;;#ASMSTART
	v_cvt_f32_f16 v12, v12;
	;;#ASMEND
	buffer_load_dword v13, off, s[0:3], s32 offset:344 ; 4-byte Folded Reload
	v_fmac_f32_e32 v1, v4, v12
	v_and_b32_e32 v4, 0xffff, v6
	v_and_b32_e32 v12, 0xffff, v52
	;; [unrolled: 1-line block ×3, first 2 shown]
	s_waitcnt vmcnt(0)
	v_and_b32_e32 v13, 0xffff, v13
	;;#ASMSTART
	v_cvt_f32_f16 v13, v13;
	;;#ASMEND
	v_fmac_f32_e32 v0, v5, v13
	v_lshrrev_b32_e32 v5, 16, v6
	;;#ASMSTART
	v_cvt_f32_f16 v4, v4;
	;;#ASMEND
	v_and_b32_e32 v6, 0xffff, v19
	;;#ASMSTART
	v_cvt_f32_f16 v5, v5;
	;;#ASMEND
	;;#ASMSTART
	v_cvt_f32_f16 v6, v6;
	;;#ASMEND
	;; [unrolled: 3-line block ×3, first 2 shown]
	v_fmac_f32_e32 v64, v4, v6
	v_lshrrev_b32_e32 v4, 16, v7
	v_fmac_f32_e32 v37, v5, v12
	v_and_b32_e32 v5, 0xffff, v7
	;;#ASMSTART
	v_cvt_f32_f16 v12, v5;
	;;#ASMEND
	;;#ASMSTART
	v_cvt_f32_f16 v6, v4;
	;;#ASMEND
	buffer_load_dword v4, off, s[0:3], s32 offset:340 ; 4-byte Folded Reload
	v_and_b32_e32 v5, 0xffff, v54
	v_and_b32_e32 v13, 0xffff, v17
	s_waitcnt vmcnt(0)
	v_and_b32_e32 v4, 0xffff, v4
	;;#ASMSTART
	v_cvt_f32_f16 v4, v4;
	;;#ASMEND
	;;#ASMSTART
	v_cvt_f32_f16 v5, v5;
	;;#ASMEND
	v_fmac_f32_e32 v3, v12, v4
	v_fmac_f32_e32 v2, v6, v5
	ds_read_b128 v[4:7], v8 offset:192
	s_waitcnt lgkmcnt(0)
	v_lshrrev_b32_e32 v12, 16, v4
	v_and_b32_e32 v4, 0xffff, v4
	;;#ASMSTART
	v_cvt_f32_f16 v4, v4;
	;;#ASMEND
	;;#ASMSTART
	v_cvt_f32_f16 v12, v12;
	;;#ASMEND
	;; [unrolled: 3-line block ×4, first 2 shown]
	v_fmac_f32_e32 v10, v4, v13
	v_fmac_f32_e32 v11, v12, v14
	v_lshrrev_b32_e32 v12, 16, v5
	v_and_b32_e32 v4, 0xffff, v5
	;;#ASMSTART
	v_cvt_f32_f16 v4, v4;
	;;#ASMEND
	;;#ASMSTART
	v_cvt_f32_f16 v5, v12;
	;;#ASMEND
	buffer_load_dword v12, off, s[0:3], s32 offset:336 ; 4-byte Folded Reload
	v_and_b32_e32 v13, 0xffff, v106
	s_waitcnt vmcnt(0)
	v_and_b32_e32 v12, 0xffff, v12
	;;#ASMSTART
	v_cvt_f32_f16 v12, v12;
	;;#ASMEND
	;;#ASMSTART
	v_cvt_f32_f16 v13, v13;
	;;#ASMEND
	v_fmac_f32_e32 v1, v4, v12
	v_fmac_f32_e32 v0, v5, v13
	v_lshrrev_b32_e32 v5, 16, v6
	v_and_b32_e32 v4, 0xffff, v6
	v_and_b32_e32 v6, 0xffff, v107
	;;#ASMSTART
	v_cvt_f32_f16 v4, v4;
	;;#ASMEND
	;;#ASMSTART
	v_cvt_f32_f16 v5, v5;
	;;#ASMEND
	;; [unrolled: 3-line block ×3, first 2 shown]
	buffer_load_dword v12, off, s[0:3], s32 offset:332 ; 4-byte Folded Reload
	v_fmac_f32_e32 v64, v4, v6
	v_and_b32_e32 v4, 0xffff, v7
	s_waitcnt vmcnt(0)
	v_and_b32_e32 v12, 0xffff, v12
	;;#ASMSTART
	v_cvt_f32_f16 v12, v12;
	;;#ASMEND
	v_fmac_f32_e32 v37, v5, v12
	v_lshrrev_b32_e32 v5, 16, v7
	;;#ASMSTART
	v_cvt_f32_f16 v4, v4;
	;;#ASMEND
	;;#ASMSTART
	v_cvt_f32_f16 v5, v5;
	;;#ASMEND
	buffer_load_dword v6, off, s[0:3], s32 offset:328 ; 4-byte Folded Reload
	s_waitcnt vmcnt(0)
	v_and_b32_e32 v6, 0xffff, v6
	;;#ASMSTART
	v_cvt_f32_f16 v6, v6;
	;;#ASMEND
	buffer_load_dword v7, off, s[0:3], s32 offset:324 ; 4-byte Folded Reload
	v_fmac_f32_e32 v3, v4, v6
	s_waitcnt vmcnt(0)
	v_and_b32_e32 v7, 0xffff, v7
	;;#ASMSTART
	v_cvt_f32_f16 v7, v7;
	;;#ASMEND
	v_fmac_f32_e32 v2, v5, v7
	ds_read_b128 v[4:7], v8 offset:208
	s_waitcnt lgkmcnt(0)
	v_lshrrev_b32_e32 v12, 16, v4
	v_and_b32_e32 v4, 0xffff, v4
	;;#ASMSTART
	v_cvt_f32_f16 v4, v4;
	;;#ASMEND
	;;#ASMSTART
	v_cvt_f32_f16 v12, v12;
	;;#ASMEND
	buffer_load_dword v13, off, s[0:3], s32 offset:320 ; 4-byte Folded Reload
	s_waitcnt vmcnt(0)
	v_and_b32_e32 v13, 0xffff, v13
	;;#ASMSTART
	v_cvt_f32_f16 v13, v13;
	;;#ASMEND
	buffer_load_dword v14, off, s[0:3], s32 offset:316 ; 4-byte Folded Reload
	v_fmac_f32_e32 v10, v4, v13
	v_and_b32_e32 v4, 0xffff, v5
	s_waitcnt vmcnt(0)
	v_and_b32_e32 v14, 0xffff, v14
	;;#ASMSTART
	v_cvt_f32_f16 v14, v14;
	;;#ASMEND
	v_fmac_f32_e32 v11, v12, v14
	v_lshrrev_b32_e32 v12, 16, v5
	;;#ASMSTART
	v_cvt_f32_f16 v4, v4;
	;;#ASMEND
	;;#ASMSTART
	v_cvt_f32_f16 v5, v12;
	;;#ASMEND
	buffer_load_dword v12, off, s[0:3], s32 offset:312 ; 4-byte Folded Reload
	v_and_b32_e32 v14, 0xffff, v108
	s_waitcnt vmcnt(0)
	v_and_b32_e32 v12, 0xffff, v12
	;;#ASMSTART
	v_cvt_f32_f16 v12, v12;
	;;#ASMEND
	buffer_load_dword v13, off, s[0:3], s32 offset:308 ; 4-byte Folded Reload
	v_fmac_f32_e32 v1, v4, v12
	v_and_b32_e32 v4, 0xffff, v6
	s_waitcnt vmcnt(0)
	v_and_b32_e32 v13, 0xffff, v13
	;;#ASMSTART
	v_cvt_f32_f16 v13, v13;
	;;#ASMEND
	v_fmac_f32_e32 v0, v5, v13
	v_lshrrev_b32_e32 v5, 16, v6
	;;#ASMSTART
	v_cvt_f32_f16 v4, v4;
	;;#ASMEND
	;;#ASMSTART
	v_cvt_f32_f16 v5, v5;
	;;#ASMEND
	buffer_load_dword v6, off, s[0:3], s32 offset:304 ; 4-byte Folded Reload
	v_and_b32_e32 v13, 0xffff, v84
	s_waitcnt vmcnt(0)
	v_and_b32_e32 v6, 0xffff, v6
	;;#ASMSTART
	v_cvt_f32_f16 v6, v6;
	;;#ASMEND
	buffer_load_dword v12, off, s[0:3], s32 offset:300 ; 4-byte Folded Reload
	v_fmac_f32_e32 v64, v4, v6
	v_and_b32_e32 v4, 0xffff, v7
	s_waitcnt vmcnt(0)
	v_and_b32_e32 v12, 0xffff, v12
	;;#ASMSTART
	v_cvt_f32_f16 v12, v12;
	;;#ASMEND
	v_fmac_f32_e32 v37, v5, v12
	v_lshrrev_b32_e32 v5, 16, v7
	;;#ASMSTART
	v_cvt_f32_f16 v4, v4;
	;;#ASMEND
	;;#ASMSTART
	v_cvt_f32_f16 v5, v5;
	;;#ASMEND
	buffer_load_dword v6, off, s[0:3], s32 offset:296 ; 4-byte Folded Reload
	s_waitcnt vmcnt(0)
	v_and_b32_e32 v6, 0xffff, v6
	;;#ASMSTART
	v_cvt_f32_f16 v6, v6;
	;;#ASMEND
	buffer_load_dword v7, off, s[0:3], s32 offset:292 ; 4-byte Folded Reload
	v_fmac_f32_e32 v3, v4, v6
	s_waitcnt vmcnt(0)
	v_and_b32_e32 v7, 0xffff, v7
	;;#ASMSTART
	v_cvt_f32_f16 v7, v7;
	;;#ASMEND
	v_fmac_f32_e32 v2, v5, v7
	ds_read_b128 v[4:7], v8 offset:224
	s_waitcnt lgkmcnt(0)
	v_lshrrev_b32_e32 v12, 16, v4
	v_and_b32_e32 v4, 0xffff, v4
	;;#ASMSTART
	v_cvt_f32_f16 v4, v4;
	;;#ASMEND
	;;#ASMSTART
	v_cvt_f32_f16 v12, v12;
	;;#ASMEND
	;; [unrolled: 3-line block ×4, first 2 shown]
	v_fmac_f32_e32 v10, v4, v13
	v_fmac_f32_e32 v11, v12, v14
	v_lshrrev_b32_e32 v12, 16, v5
	v_and_b32_e32 v4, 0xffff, v5
	;;#ASMSTART
	v_cvt_f32_f16 v4, v4;
	;;#ASMEND
	;;#ASMSTART
	v_cvt_f32_f16 v5, v12;
	;;#ASMEND
	buffer_load_dword v12, off, s[0:3], s32 offset:256 ; 4-byte Folded Reload
	s_waitcnt vmcnt(0)
	v_and_b32_e32 v12, 0xffff, v12
	;;#ASMSTART
	v_cvt_f32_f16 v12, v12;
	;;#ASMEND
	buffer_load_dword v13, off, s[0:3], s32 offset:252 ; 4-byte Folded Reload
	v_fmac_f32_e32 v1, v4, v12
	v_and_b32_e32 v4, 0xffff, v6
	v_and_b32_e32 v12, 0xffff, v111
	s_waitcnt vmcnt(0)
	v_and_b32_e32 v13, 0xffff, v13
	;;#ASMSTART
	v_cvt_f32_f16 v13, v13;
	;;#ASMEND
	v_fmac_f32_e32 v0, v5, v13
	v_lshrrev_b32_e32 v5, 16, v6
	;;#ASMSTART
	v_cvt_f32_f16 v4, v4;
	;;#ASMEND
	;;#ASMSTART
	v_cvt_f32_f16 v5, v5;
	;;#ASMEND
	v_and_b32_e32 v6, 0xffff, v98
	;;#ASMSTART
	v_cvt_f32_f16 v6, v6;
	;;#ASMEND
	;;#ASMSTART
	v_cvt_f32_f16 v12, v12;
	;;#ASMEND
	v_fmac_f32_e32 v64, v4, v6
	v_fmac_f32_e32 v37, v5, v12
	v_lshrrev_b32_e32 v5, 16, v7
	v_and_b32_e32 v4, 0xffff, v7
	;;#ASMSTART
	v_cvt_f32_f16 v4, v4;
	;;#ASMEND
	;;#ASMSTART
	v_cvt_f32_f16 v5, v5;
	;;#ASMEND
	buffer_load_dword v6, off, s[0:3], s32 offset:248 ; 4-byte Folded Reload
	v_and_b32_e32 v7, 0xffff, v83
	s_waitcnt vmcnt(0)
	v_and_b32_e32 v6, 0xffff, v6
	;;#ASMSTART
	v_cvt_f32_f16 v6, v6;
	;;#ASMEND
	v_fmac_f32_e32 v3, v4, v6
	v_add_f32_e32 v4, v10, v11
	;;#ASMSTART
	v_cvt_f32_f16 v7, v7;
	;;#ASMEND
	v_fmac_f32_e32 v2, v5, v7
	buffer_load_dword v20, off, s[0:3], s32 offset:288 ; 4-byte Folded Reload
	v_add_f32_e32 v1, v4, v1
	v_add_f32_e32 v0, v0, v1
	buffer_load_dword v1, off, s[0:3], s32 offset:360 ; 4-byte Folded Reload
	v_add_f32_e32 v0, v0, v64
	v_add_f32_e32 v0, v37, v0
	;; [unrolled: 1-line block ×4, first 2 shown]
	s_waitcnt vmcnt(0)
	v_fmac_f32_e32 v18, v1, v0
	buffer_load_dword v1, off, s[0:3], s32 offset:244 ; 4-byte Folded Reload
	v_cndmask_b32_e64 v0, 0, v18, s5
	s_waitcnt vmcnt(0)
	ds_write_b32 v1, v0
	v_max_f32_e32 v0, v20, v20
	v_max_f32_e32 v0, v0, v18
	v_cndmask_b32_e64 v20, v20, v0, s5
.LBB308_15:                             ;   in Loop: Header=BB308_16 Depth=1
	s_or_b32 exec_lo, exec_lo, s6
	buffer_load_dword v0, off, s[0:3], s32 offset:232 ; 4-byte Folded Reload
	v_add_nc_u32_e32 v82, 4, v82
	v_add_co_u32 v80, s6, v80, 16
	v_add_co_ci_u32_e64 v81, null, 0, v81, s6
	v_add_nc_u32_e32 v9, 0x80, v9
	v_add_nc_u32_e32 v67, 0x200, v67
	s_waitcnt vmcnt(0)
	v_cmp_ge_i32_e64 s5, v82, v0
	s_or_b32 s24, s5, s24
	s_andn2_b32 exec_lo, exec_lo, s24
	s_cbranch_execz .LBB308_976
.LBB308_16:                             ; =>This Inner Loop Header: Depth=1
	s_clause 0x2
	buffer_load_dword v1, off, s[0:3], s32 offset:236
	buffer_load_dword v4, off, s[0:3], s32 offset:216
	;; [unrolled: 1-line block ×3, first 2 shown]
	v_sub_nc_u32_e32 v0, 0, v9
	v_max_i32_e32 v0, v9, v0
	s_waitcnt vmcnt(2)
	v_mul_hi_u32 v1, v0, v1
	s_waitcnt vmcnt(1)
	v_mul_lo_u32 v2, v1, v4
	v_sub_nc_u32_e32 v0, v0, v2
	v_add_nc_u32_e32 v2, 1, v1
	v_sub_nc_u32_e32 v3, v0, v4
	v_cmp_ge_u32_e64 s5, v0, v4
	v_cndmask_b32_e64 v1, v1, v2, s5
	v_cndmask_b32_e64 v0, v0, v3, s5
	v_ashrrev_i32_e32 v2, 31, v9
	v_add_nc_u32_e32 v3, 1, v1
	v_cmp_ge_u32_e64 s5, v0, v4
	s_waitcnt vmcnt(0)
	v_xor_b32_e32 v2, v2, v5
	v_cndmask_b32_e64 v0, v1, v3, s5
	v_xor_b32_e32 v0, v0, v2
	v_sub_nc_u32_e32 v0, v0, v2
	s_clause 0x3
	buffer_load_dword v1, off, s[0:3], s32 offset:220
	buffer_load_dword v2, off, s[0:3], s32 offset:224
	;; [unrolled: 1-line block ×4, first 2 shown]
	s_waitcnt vmcnt(3)
	v_add_nc_u32_e32 v1, v0, v1
	s_waitcnt vmcnt(2)
	v_sub_nc_u32_e32 v2, 0, v1
	v_max_i32_e32 v2, v1, v2
	v_ashrrev_i32_e32 v1, 31, v1
	s_waitcnt vmcnt(1)
	v_mul_hi_u32 v3, v2, v3
	s_waitcnt vmcnt(0)
	v_mul_lo_u32 v3, v3, v4
	v_sub_nc_u32_e32 v2, v2, v3
	v_sub_nc_u32_e32 v3, v2, v4
	v_cmp_ge_u32_e64 s5, v2, v4
	v_cndmask_b32_e64 v2, v2, v3, s5
	v_sub_nc_u32_e32 v3, v2, v4
	v_cmp_ge_u32_e64 s5, v2, v4
	v_cndmask_b32_e64 v2, v2, v3, s5
	v_xor_b32_e32 v2, v2, v1
	v_sub_nc_u32_e32 v1, v2, v1
	v_cmp_ne_u32_e64 s5, 0, v1
	buffer_load_dword v1, off, s[0:3], s32 offset:240 ; 4-byte Folded Reload
	s_waitcnt vmcnt(0)
	v_cmp_le_i32_e64 s6, v0, v1
	s_and_b32 s5, s5, s6
	s_and_saveexec_b32 s6, s5
	s_xor_b32 s5, exec_lo, s6
	s_cbranch_execz .LBB308_18
; %bb.17:                               ;   in Loop: Header=BB308_16 Depth=1
	s_waitcnt lgkmcnt(0)
	v_add_nc_u32_e32 v0, s17, v67
	v_mov_b32_e32 v1, 0xff7fffff
	ds_write_b32 v0, v1
.LBB308_18:                             ;   in Loop: Header=BB308_16 Depth=1
	s_andn2_saveexec_b32 s6, s5
	s_cbranch_execz .LBB308_15
; %bb.19:                               ;   in Loop: Header=BB308_16 Depth=1
	buffer_store_dword v20, off, s[0:3], s32 offset:288 ; 4-byte Folded Spill
	flat_load_dword v0, v[80:81]
	s_clause 0x2
	buffer_load_dword v1, off, s[0:3], s32 offset:276
	buffer_load_dword v2, off, s[0:3], s32 offset:368
	buffer_load_dword v3, off, s[0:3], s32 offset:372
	v_mov_b32_e32 v41, 0
	v_mov_b32_e32 v120, 0
	s_waitcnt vmcnt(0) lgkmcnt(0)
	v_mad_i64_i32 v[31:32], null, v0, v1, v[2:3]
	flat_load_dwordx2 v[33:34], v[31:32]
	s_clause 0x1
	buffer_load_dword v0, off, s[0:3], s32 offset:352
	buffer_load_dword v1, off, s[0:3], s32 offset:356
	s_waitcnt vmcnt(2) lgkmcnt(0)
	v_cmp_ne_u16_sdwa s5, v33, v8 src0_sel:BYTE_0 src1_sel:DWORD
	s_waitcnt vmcnt(0)
	flat_load_dword v83, v[0:1]
	s_and_saveexec_b32 s25, s5
	s_cbranch_execz .LBB308_27
; %bb.20:                               ;   in Loop: Header=BB308_16 Depth=1
	v_cmp_ne_u16_sdwa s5, v33, v68 src0_sel:BYTE_0 src1_sel:DWORD
	v_mov_b32_e32 v120, 0x8000
	s_and_saveexec_b32 s26, s5
	s_cbranch_execz .LBB308_26
; %bb.21:                               ;   in Loop: Header=BB308_16 Depth=1
	v_and_b32_e32 v2, 0x7f, v33
	v_mov_b32_e32 v120, 0x7c01
	s_mov_b32 s27, exec_lo
	v_cmpx_ne_u32_e32 0x7f, v2
	s_cbranch_execz .LBB308_25
; %bb.22:                               ;   in Loop: Header=BB308_16 Depth=1
	v_and_b32_e32 v0, 7, v33
	v_lshrrev_b32_e32 v1, 3, v2
	s_mov_b32 s28, exec_lo
	v_cmpx_gt_u32_e32 8, v2
; %bb.23:                               ;   in Loop: Header=BB308_16 Depth=1
	v_ffbh_u32_e32 v0, v0
	v_min_u32_e32 v2, 32, v0
	v_subrev_nc_u32_e32 v0, 28, v2
	v_lshlrev_b64 v[0:1], v0, v[33:34]
	v_sub_nc_u32_e32 v1, 29, v2
	v_and_b32_e32 v0, 7, v0
; %bb.24:                               ;   in Loop: Header=BB308_16 Depth=1
	s_or_b32 exec_lo, exec_lo, s28
	v_lshlrev_b32_e32 v2, 8, v33
	v_lshl_add_u32 v1, v1, 10, 0x2000
	v_lshlrev_b32_e32 v0, 7, v0
	v_and_b32_e32 v2, 0x8000, v2
	v_and_b32_e32 v1, 0xfc00, v1
	v_or3_b32 v120, v2, v1, v0
.LBB308_25:                             ;   in Loop: Header=BB308_16 Depth=1
	s_or_b32 exec_lo, exec_lo, s27
.LBB308_26:                             ;   in Loop: Header=BB308_16 Depth=1
	s_or_b32 exec_lo, exec_lo, s26
.LBB308_27:                             ;   in Loop: Header=BB308_16 Depth=1
	s_or_b32 exec_lo, exec_lo, s25
	v_lshrrev_b16 v7, 8, v33
	s_mov_b32 s25, exec_lo
	v_cmpx_ne_u16_e32 0, v7
	s_cbranch_execz .LBB308_35
; %bb.28:                               ;   in Loop: Header=BB308_16 Depth=1
	v_bfrev_b32_e32 v41, 1
	s_mov_b32 s26, exec_lo
	v_cmpx_ne_u16_e32 0x80, v7
	s_cbranch_execz .LBB308_34
; %bb.29:                               ;   in Loop: Header=BB308_16 Depth=1
	v_mov_b32_e32 v0, 0x7f
	v_mov_b32_e32 v41, 0x7c010000
	s_mov_b32 s27, exec_lo
	v_and_b32_sdwa v2, v7, v0 dst_sel:DWORD dst_unused:UNUSED_PAD src0_sel:WORD_0 src1_sel:DWORD
	v_cmpx_ne_u32_e32 0x7f, v2
	s_cbranch_execz .LBB308_33
; %bb.30:                               ;   in Loop: Header=BB308_16 Depth=1
	v_mov_b32_e32 v0, 7
	v_lshrrev_b32_e32 v1, 3, v2
	s_mov_b32 s28, exec_lo
	v_and_b32_sdwa v0, v7, v0 dst_sel:DWORD dst_unused:UNUSED_PAD src0_sel:WORD_0 src1_sel:DWORD
	v_cmpx_gt_u32_e32 8, v2
; %bb.31:                               ;   in Loop: Header=BB308_16 Depth=1
	v_ffbh_u32_e32 v0, v0
	v_min_u32_e32 v2, 32, v0
	v_subrev_nc_u32_e32 v0, 28, v2
	v_lshlrev_b64 v[0:1], v0, v[7:8]
	v_sub_nc_u32_e32 v1, 29, v2
	v_and_b32_e32 v0, 7, v0
; %bb.32:                               ;   in Loop: Header=BB308_16 Depth=1
	s_or_b32 exec_lo, exec_lo, s28
	v_mov_b32_e32 v2, 8
	v_lshl_add_u32 v1, v1, 10, 0x2000
	v_lshlrev_b32_e32 v0, 23, v0
	v_lshlrev_b32_sdwa v2, v2, v7 dst_sel:DWORD dst_unused:UNUSED_PAD src0_sel:DWORD src1_sel:WORD_0
	v_and_or_b32 v1, 0x8000, v2, v1
	v_lshl_or_b32 v41, v1, 16, v0
.LBB308_33:                             ;   in Loop: Header=BB308_16 Depth=1
	s_or_b32 exec_lo, exec_lo, s27
.LBB308_34:                             ;   in Loop: Header=BB308_16 Depth=1
	s_or_b32 exec_lo, exec_lo, s26
.LBB308_35:                             ;   in Loop: Header=BB308_16 Depth=1
	s_or_b32 exec_lo, exec_lo, s25
	v_lshrrev_b32_e32 v7, 16, v33
	v_mov_b32_e32 v121, 0
	v_mov_b32_e32 v126, 0
	v_cmp_ne_u16_sdwa s5, v7, v8 src0_sel:BYTE_0 src1_sel:DWORD
	s_and_saveexec_b32 s25, s5
	s_cbranch_execz .LBB308_43
; %bb.36:                               ;   in Loop: Header=BB308_16 Depth=1
	v_cmp_ne_u16_sdwa s5, v7, v68 src0_sel:BYTE_0 src1_sel:DWORD
	v_mov_b32_e32 v126, 0x8000
	s_and_saveexec_b32 s26, s5
	s_cbranch_execz .LBB308_42
; %bb.37:                               ;   in Loop: Header=BB308_16 Depth=1
	v_bfe_u32 v2, v33, 16, 7
	v_mov_b32_e32 v126, 0x7c01
	s_mov_b32 s27, exec_lo
	v_cmpx_ne_u32_e32 0x7f, v2
	s_cbranch_execz .LBB308_41
; %bb.38:                               ;   in Loop: Header=BB308_16 Depth=1
	v_and_b32_e32 v0, 7, v7
	v_lshrrev_b32_e32 v1, 3, v2
	s_mov_b32 s28, exec_lo
	v_cmpx_gt_u32_e32 8, v2
; %bb.39:                               ;   in Loop: Header=BB308_16 Depth=1
	v_ffbh_u32_e32 v0, v0
	v_min_u32_e32 v2, 32, v0
	v_subrev_nc_u32_e32 v0, 28, v2
	v_lshlrev_b64 v[0:1], v0, v[7:8]
	v_sub_nc_u32_e32 v1, 29, v2
	v_and_b32_e32 v0, 7, v0
; %bb.40:                               ;   in Loop: Header=BB308_16 Depth=1
	s_or_b32 exec_lo, exec_lo, s28
	v_lshlrev_b32_e32 v2, 8, v7
	v_lshl_add_u32 v1, v1, 10, 0x2000
	v_lshlrev_b32_e32 v0, 7, v0
	v_and_b32_e32 v2, 0x8000, v2
	v_and_b32_e32 v1, 0xfc00, v1
	v_or3_b32 v126, v2, v1, v0
.LBB308_41:                             ;   in Loop: Header=BB308_16 Depth=1
	s_or_b32 exec_lo, exec_lo, s27
.LBB308_42:                             ;   in Loop: Header=BB308_16 Depth=1
	s_or_b32 exec_lo, exec_lo, s26
.LBB308_43:                             ;   in Loop: Header=BB308_16 Depth=1
	s_or_b32 exec_lo, exec_lo, s25
	s_mov_b32 s25, exec_lo
	v_cmpx_lt_u32_e32 0xffffff, v33
	s_cbranch_execz .LBB308_51
; %bb.44:                               ;   in Loop: Header=BB308_16 Depth=1
	v_lshrrev_b32_e32 v7, 24, v33
	v_bfrev_b32_e32 v121, 1
	s_mov_b32 s26, exec_lo
	v_cmpx_ne_u32_e32 0x80, v7
	s_cbranch_execz .LBB308_50
; %bb.45:                               ;   in Loop: Header=BB308_16 Depth=1
	v_and_b32_e32 v2, 0x7f, v7
	v_mov_b32_e32 v121, 0x7c010000
	s_mov_b32 s27, exec_lo
	v_cmpx_ne_u32_e32 0x7f, v2
	s_cbranch_execz .LBB308_49
; %bb.46:                               ;   in Loop: Header=BB308_16 Depth=1
	v_and_b32_e32 v0, 7, v7
	v_lshrrev_b32_e32 v1, 3, v2
	s_mov_b32 s28, exec_lo
	v_cmpx_gt_u32_e32 8, v2
; %bb.47:                               ;   in Loop: Header=BB308_16 Depth=1
	v_ffbh_u32_e32 v0, v0
	v_min_u32_e32 v2, 32, v0
	v_subrev_nc_u32_e32 v0, 28, v2
	v_lshlrev_b64 v[0:1], v0, v[7:8]
	v_sub_nc_u32_e32 v1, 29, v2
	v_and_b32_e32 v0, 7, v0
; %bb.48:                               ;   in Loop: Header=BB308_16 Depth=1
	s_or_b32 exec_lo, exec_lo, s28
	v_lshlrev_b32_e32 v2, 8, v7
	v_lshl_add_u32 v1, v1, 10, 0x2000
	v_lshlrev_b32_e32 v0, 23, v0
	v_and_or_b32 v1, 0x8000, v2, v1
	v_lshl_or_b32 v121, v1, 16, v0
.LBB308_49:                             ;   in Loop: Header=BB308_16 Depth=1
	s_or_b32 exec_lo, exec_lo, s27
.LBB308_50:                             ;   in Loop: Header=BB308_16 Depth=1
	s_or_b32 exec_lo, exec_lo, s26
.LBB308_51:                             ;   in Loop: Header=BB308_16 Depth=1
	s_or_b32 exec_lo, exec_lo, s25
	v_mov_b32_e32 v7, v34
	v_cmp_ne_u16_sdwa s5, v34, v8 src0_sel:BYTE_0 src1_sel:DWORD
	v_mov_b32_e32 v115, 0
	v_mov_b32_e32 v0, 0
	buffer_store_dword v0, off, s[0:3], s32 offset:244 ; 4-byte Folded Spill
	s_and_saveexec_b32 s25, s5
	s_cbranch_execz .LBB308_59
; %bb.52:                               ;   in Loop: Header=BB308_16 Depth=1
	v_cmp_ne_u16_sdwa s5, v34, v68 src0_sel:BYTE_0 src1_sel:DWORD
	v_mov_b32_e32 v0, 0x8000
	buffer_store_dword v0, off, s[0:3], s32 offset:244 ; 4-byte Folded Spill
	s_and_saveexec_b32 s26, s5
	s_cbranch_execz .LBB308_58
; %bb.53:                               ;   in Loop: Header=BB308_16 Depth=1
	v_and_b32_e32 v2, 0x7f, v34
	v_mov_b32_e32 v0, 0x7c01
	s_mov_b32 s27, exec_lo
	buffer_store_dword v0, off, s[0:3], s32 offset:244 ; 4-byte Folded Spill
	v_cmpx_ne_u32_e32 0x7f, v2
	s_cbranch_execz .LBB308_57
; %bb.54:                               ;   in Loop: Header=BB308_16 Depth=1
	v_and_b32_e32 v0, 7, v34
	v_lshrrev_b32_e32 v1, 3, v2
	s_mov_b32 s28, exec_lo
	v_cmpx_gt_u32_e32 8, v2
; %bb.55:                               ;   in Loop: Header=BB308_16 Depth=1
	v_ffbh_u32_e32 v0, v0
	v_min_u32_e32 v2, 32, v0
	v_subrev_nc_u32_e32 v0, 28, v2
	v_lshlrev_b64 v[0:1], v0, v[7:8]
	v_sub_nc_u32_e32 v1, 29, v2
	v_and_b32_e32 v0, 7, v0
; %bb.56:                               ;   in Loop: Header=BB308_16 Depth=1
	s_or_b32 exec_lo, exec_lo, s28
	v_lshlrev_b32_e32 v2, 8, v34
	v_lshl_add_u32 v1, v1, 10, 0x2000
	v_lshlrev_b32_e32 v0, 7, v0
	v_and_b32_e32 v2, 0x8000, v2
	v_and_b32_e32 v1, 0xfc00, v1
	v_or3_b32 v0, v2, v1, v0
	buffer_store_dword v0, off, s[0:3], s32 offset:244 ; 4-byte Folded Spill
.LBB308_57:                             ;   in Loop: Header=BB308_16 Depth=1
	s_or_b32 exec_lo, exec_lo, s27
.LBB308_58:                             ;   in Loop: Header=BB308_16 Depth=1
	s_or_b32 exec_lo, exec_lo, s26
.LBB308_59:                             ;   in Loop: Header=BB308_16 Depth=1
	s_or_b32 exec_lo, exec_lo, s25
	v_lshrrev_b16 v7, 8, v7
	v_mov_b32_e32 v0, 0
	s_mov_b32 s25, exec_lo
	buffer_store_dword v0, off, s[0:3], s32 offset:248 ; 4-byte Folded Spill
	v_cmpx_ne_u16_e32 0, v7
	s_cbranch_execz .LBB308_67
; %bb.60:                               ;   in Loop: Header=BB308_16 Depth=1
	v_bfrev_b32_e32 v0, 1
	s_mov_b32 s26, exec_lo
	buffer_store_dword v0, off, s[0:3], s32 offset:248 ; 4-byte Folded Spill
	v_cmpx_ne_u16_e32 0x80, v7
	s_cbranch_execz .LBB308_66
; %bb.61:                               ;   in Loop: Header=BB308_16 Depth=1
	v_mov_b32_e32 v0, 0x7f
	s_mov_b32 s27, exec_lo
	v_and_b32_sdwa v2, v7, v0 dst_sel:DWORD dst_unused:UNUSED_PAD src0_sel:WORD_0 src1_sel:DWORD
	v_mov_b32_e32 v0, 0x7c010000
	buffer_store_dword v0, off, s[0:3], s32 offset:248 ; 4-byte Folded Spill
	v_cmpx_ne_u32_e32 0x7f, v2
	s_cbranch_execz .LBB308_65
; %bb.62:                               ;   in Loop: Header=BB308_16 Depth=1
	v_mov_b32_e32 v0, 7
	v_lshrrev_b32_e32 v1, 3, v2
	s_mov_b32 s28, exec_lo
	v_and_b32_sdwa v0, v7, v0 dst_sel:DWORD dst_unused:UNUSED_PAD src0_sel:WORD_0 src1_sel:DWORD
	v_cmpx_gt_u32_e32 8, v2
; %bb.63:                               ;   in Loop: Header=BB308_16 Depth=1
	v_ffbh_u32_e32 v0, v0
	v_min_u32_e32 v2, 32, v0
	v_subrev_nc_u32_e32 v0, 28, v2
	v_lshlrev_b64 v[0:1], v0, v[7:8]
	v_sub_nc_u32_e32 v1, 29, v2
	v_and_b32_e32 v0, 7, v0
; %bb.64:                               ;   in Loop: Header=BB308_16 Depth=1
	s_or_b32 exec_lo, exec_lo, s28
	v_mov_b32_e32 v2, 8
	v_lshl_add_u32 v1, v1, 10, 0x2000
	v_lshlrev_b32_e32 v0, 23, v0
	v_lshlrev_b32_sdwa v2, v2, v7 dst_sel:DWORD dst_unused:UNUSED_PAD src0_sel:DWORD src1_sel:WORD_0
	v_and_or_b32 v1, 0x8000, v2, v1
	v_lshl_or_b32 v0, v1, 16, v0
	buffer_store_dword v0, off, s[0:3], s32 offset:248 ; 4-byte Folded Spill
.LBB308_65:                             ;   in Loop: Header=BB308_16 Depth=1
	s_or_b32 exec_lo, exec_lo, s27
.LBB308_66:                             ;   in Loop: Header=BB308_16 Depth=1
	s_or_b32 exec_lo, exec_lo, s26
.LBB308_67:                             ;   in Loop: Header=BB308_16 Depth=1
	s_or_b32 exec_lo, exec_lo, s25
	v_lshrrev_b32_e32 v7, 16, v34
	v_cmp_ne_u16_sdwa s5, v7, v8 src0_sel:BYTE_0 src1_sel:DWORD
	s_and_saveexec_b32 s25, s5
	s_cbranch_execz .LBB308_75
; %bb.68:                               ;   in Loop: Header=BB308_16 Depth=1
	v_cmp_ne_u16_sdwa s5, v7, v68 src0_sel:BYTE_0 src1_sel:DWORD
	v_mov_b32_e32 v115, 0x8000
	s_and_saveexec_b32 s26, s5
	s_cbranch_execz .LBB308_74
; %bb.69:                               ;   in Loop: Header=BB308_16 Depth=1
	v_bfe_u32 v2, v34, 16, 7
	v_mov_b32_e32 v115, 0x7c01
	s_mov_b32 s27, exec_lo
	v_cmpx_ne_u32_e32 0x7f, v2
	s_cbranch_execz .LBB308_73
; %bb.70:                               ;   in Loop: Header=BB308_16 Depth=1
	v_and_b32_e32 v0, 7, v7
	v_lshrrev_b32_e32 v1, 3, v2
	s_mov_b32 s28, exec_lo
	v_cmpx_gt_u32_e32 8, v2
; %bb.71:                               ;   in Loop: Header=BB308_16 Depth=1
	v_ffbh_u32_e32 v0, v0
	v_min_u32_e32 v2, 32, v0
	v_subrev_nc_u32_e32 v0, 28, v2
	v_lshlrev_b64 v[0:1], v0, v[7:8]
	v_sub_nc_u32_e32 v1, 29, v2
	v_and_b32_e32 v0, 7, v0
; %bb.72:                               ;   in Loop: Header=BB308_16 Depth=1
	s_or_b32 exec_lo, exec_lo, s28
	v_lshlrev_b32_e32 v2, 8, v7
	v_lshl_add_u32 v1, v1, 10, 0x2000
	v_lshlrev_b32_e32 v0, 7, v0
	v_and_b32_e32 v2, 0x8000, v2
	v_and_b32_e32 v1, 0xfc00, v1
	v_or3_b32 v115, v2, v1, v0
.LBB308_73:                             ;   in Loop: Header=BB308_16 Depth=1
	s_or_b32 exec_lo, exec_lo, s27
.LBB308_74:                             ;   in Loop: Header=BB308_16 Depth=1
	s_or_b32 exec_lo, exec_lo, s26
.LBB308_75:                             ;   in Loop: Header=BB308_16 Depth=1
	s_or_b32 exec_lo, exec_lo, s25
	v_mov_b32_e32 v0, 0
	s_mov_b32 s25, exec_lo
	buffer_store_dword v0, off, s[0:3], s32 offset:252 ; 4-byte Folded Spill
	v_mov_b32_e32 v0, 0
	buffer_store_dword v0, off, s[0:3], s32 offset:272 ; 4-byte Folded Spill
	v_cmpx_lt_u64_e64 s[20:21], v[33:34]
	s_cbranch_execz .LBB308_83
; %bb.76:                               ;   in Loop: Header=BB308_16 Depth=1
	v_lshrrev_b32_e32 v7, 24, v34
	v_bfrev_b32_e32 v0, 1
	s_mov_b32 s26, exec_lo
	v_cmpx_ne_u32_e32 0x80, v7
	s_cbranch_execz .LBB308_82
; %bb.77:                               ;   in Loop: Header=BB308_16 Depth=1
	v_and_b32_e32 v2, 0x7f, v7
	v_mov_b32_e32 v0, 0x7c010000
	s_mov_b32 s27, exec_lo
	v_cmpx_ne_u32_e32 0x7f, v2
	s_cbranch_execz .LBB308_81
; %bb.78:                               ;   in Loop: Header=BB308_16 Depth=1
	v_and_b32_e32 v0, 7, v7
	v_lshrrev_b32_e32 v1, 3, v2
	s_mov_b32 s28, exec_lo
	v_cmpx_gt_u32_e32 8, v2
; %bb.79:                               ;   in Loop: Header=BB308_16 Depth=1
	v_ffbh_u32_e32 v0, v0
	v_min_u32_e32 v2, 32, v0
	v_subrev_nc_u32_e32 v0, 28, v2
	v_lshlrev_b64 v[0:1], v0, v[7:8]
	v_sub_nc_u32_e32 v1, 29, v2
	v_and_b32_e32 v0, 7, v0
; %bb.80:                               ;   in Loop: Header=BB308_16 Depth=1
	s_or_b32 exec_lo, exec_lo, s28
	v_lshlrev_b32_e32 v2, 8, v7
	v_lshl_add_u32 v1, v1, 10, 0x2000
	v_lshlrev_b32_e32 v0, 23, v0
	v_and_or_b32 v1, 0x8000, v2, v1
	v_lshl_or_b32 v0, v1, 16, v0
.LBB308_81:                             ;   in Loop: Header=BB308_16 Depth=1
	s_or_b32 exec_lo, exec_lo, s27
.LBB308_82:                             ;   in Loop: Header=BB308_16 Depth=1
	s_or_b32 exec_lo, exec_lo, s26
	buffer_store_dword v0, off, s[0:3], s32 offset:272 ; 4-byte Folded Spill
.LBB308_83:                             ;   in Loop: Header=BB308_16 Depth=1
	s_or_b32 exec_lo, exec_lo, s25
	flat_load_dwordx2 v[33:34], v[31:32] offset:8
	s_waitcnt vmcnt(0) lgkmcnt(0)
	v_cmp_ne_u16_sdwa s5, v33, v8 src0_sel:BYTE_0 src1_sel:DWORD
	s_and_saveexec_b32 s25, s5
	s_cbranch_execz .LBB308_91
; %bb.84:                               ;   in Loop: Header=BB308_16 Depth=1
	v_cmp_ne_u16_sdwa s5, v33, v68 src0_sel:BYTE_0 src1_sel:DWORD
	v_mov_b32_e32 v0, 0x8000
	buffer_store_dword v0, off, s[0:3], s32 offset:252 ; 4-byte Folded Spill
	s_and_saveexec_b32 s26, s5
	s_cbranch_execz .LBB308_90
; %bb.85:                               ;   in Loop: Header=BB308_16 Depth=1
	v_and_b32_e32 v2, 0x7f, v33
	v_mov_b32_e32 v0, 0x7c01
	s_mov_b32 s27, exec_lo
	buffer_store_dword v0, off, s[0:3], s32 offset:252 ; 4-byte Folded Spill
	v_cmpx_ne_u32_e32 0x7f, v2
	s_cbranch_execz .LBB308_89
; %bb.86:                               ;   in Loop: Header=BB308_16 Depth=1
	v_and_b32_e32 v0, 7, v33
	v_lshrrev_b32_e32 v1, 3, v2
	s_mov_b32 s28, exec_lo
	v_cmpx_gt_u32_e32 8, v2
; %bb.87:                               ;   in Loop: Header=BB308_16 Depth=1
	v_ffbh_u32_e32 v0, v0
	v_min_u32_e32 v2, 32, v0
	v_subrev_nc_u32_e32 v0, 28, v2
	v_lshlrev_b64 v[0:1], v0, v[33:34]
	v_sub_nc_u32_e32 v1, 29, v2
	v_and_b32_e32 v0, 7, v0
; %bb.88:                               ;   in Loop: Header=BB308_16 Depth=1
	s_or_b32 exec_lo, exec_lo, s28
	v_lshlrev_b32_e32 v2, 8, v33
	v_lshl_add_u32 v1, v1, 10, 0x2000
	v_lshlrev_b32_e32 v0, 7, v0
	v_and_b32_e32 v2, 0x8000, v2
	v_and_b32_e32 v1, 0xfc00, v1
	v_or3_b32 v0, v2, v1, v0
	buffer_store_dword v0, off, s[0:3], s32 offset:252 ; 4-byte Folded Spill
.LBB308_89:                             ;   in Loop: Header=BB308_16 Depth=1
	s_or_b32 exec_lo, exec_lo, s27
.LBB308_90:                             ;   in Loop: Header=BB308_16 Depth=1
	s_or_b32 exec_lo, exec_lo, s26
.LBB308_91:                             ;   in Loop: Header=BB308_16 Depth=1
	s_or_b32 exec_lo, exec_lo, s25
	v_lshrrev_b16 v7, 8, v33
	v_mov_b32_e32 v0, 0
	v_mov_b32_e32 v39, 0
	s_mov_b32 s25, exec_lo
	buffer_store_dword v0, off, s[0:3], s32 offset:256 ; 4-byte Folded Spill
	v_cmpx_ne_u16_e32 0, v7
	s_cbranch_execz .LBB308_99
; %bb.92:                               ;   in Loop: Header=BB308_16 Depth=1
	v_bfrev_b32_e32 v39, 1
	s_mov_b32 s26, exec_lo
	v_cmpx_ne_u16_e32 0x80, v7
	s_cbranch_execz .LBB308_98
; %bb.93:                               ;   in Loop: Header=BB308_16 Depth=1
	v_mov_b32_e32 v0, 0x7f
	v_mov_b32_e32 v39, 0x7c010000
	s_mov_b32 s27, exec_lo
	v_and_b32_sdwa v2, v7, v0 dst_sel:DWORD dst_unused:UNUSED_PAD src0_sel:WORD_0 src1_sel:DWORD
	v_cmpx_ne_u32_e32 0x7f, v2
	s_cbranch_execz .LBB308_97
; %bb.94:                               ;   in Loop: Header=BB308_16 Depth=1
	v_mov_b32_e32 v0, 7
	v_lshrrev_b32_e32 v1, 3, v2
	s_mov_b32 s28, exec_lo
	v_and_b32_sdwa v0, v7, v0 dst_sel:DWORD dst_unused:UNUSED_PAD src0_sel:WORD_0 src1_sel:DWORD
	v_cmpx_gt_u32_e32 8, v2
; %bb.95:                               ;   in Loop: Header=BB308_16 Depth=1
	v_ffbh_u32_e32 v0, v0
	v_min_u32_e32 v2, 32, v0
	v_subrev_nc_u32_e32 v0, 28, v2
	v_lshlrev_b64 v[0:1], v0, v[7:8]
	v_sub_nc_u32_e32 v1, 29, v2
	v_and_b32_e32 v0, 7, v0
; %bb.96:                               ;   in Loop: Header=BB308_16 Depth=1
	s_or_b32 exec_lo, exec_lo, s28
	v_mov_b32_e32 v2, 8
	v_lshl_add_u32 v1, v1, 10, 0x2000
	v_lshlrev_b32_e32 v0, 23, v0
	v_lshlrev_b32_sdwa v2, v2, v7 dst_sel:DWORD dst_unused:UNUSED_PAD src0_sel:DWORD src1_sel:WORD_0
	v_and_or_b32 v1, 0x8000, v2, v1
	v_lshl_or_b32 v39, v1, 16, v0
.LBB308_97:                             ;   in Loop: Header=BB308_16 Depth=1
	s_or_b32 exec_lo, exec_lo, s27
.LBB308_98:                             ;   in Loop: Header=BB308_16 Depth=1
	s_or_b32 exec_lo, exec_lo, s26
.LBB308_99:                             ;   in Loop: Header=BB308_16 Depth=1
	s_or_b32 exec_lo, exec_lo, s25
	v_lshrrev_b32_e32 v7, 16, v33
	v_cmp_ne_u16_sdwa s5, v7, v8 src0_sel:BYTE_0 src1_sel:DWORD
	s_and_saveexec_b32 s25, s5
	s_cbranch_execz .LBB308_107
; %bb.100:                              ;   in Loop: Header=BB308_16 Depth=1
	v_cmp_ne_u16_sdwa s5, v7, v68 src0_sel:BYTE_0 src1_sel:DWORD
	v_mov_b32_e32 v0, 0x8000
	buffer_store_dword v0, off, s[0:3], s32 offset:256 ; 4-byte Folded Spill
	s_and_saveexec_b32 s26, s5
	s_cbranch_execz .LBB308_106
; %bb.101:                              ;   in Loop: Header=BB308_16 Depth=1
	v_bfe_u32 v2, v33, 16, 7
	v_mov_b32_e32 v0, 0x7c01
	s_mov_b32 s27, exec_lo
	buffer_store_dword v0, off, s[0:3], s32 offset:256 ; 4-byte Folded Spill
	v_cmpx_ne_u32_e32 0x7f, v2
	s_cbranch_execz .LBB308_105
; %bb.102:                              ;   in Loop: Header=BB308_16 Depth=1
	v_and_b32_e32 v0, 7, v7
	v_lshrrev_b32_e32 v1, 3, v2
	s_mov_b32 s28, exec_lo
	v_cmpx_gt_u32_e32 8, v2
; %bb.103:                              ;   in Loop: Header=BB308_16 Depth=1
	v_ffbh_u32_e32 v0, v0
	v_min_u32_e32 v2, 32, v0
	v_subrev_nc_u32_e32 v0, 28, v2
	v_lshlrev_b64 v[0:1], v0, v[7:8]
	v_sub_nc_u32_e32 v1, 29, v2
	v_and_b32_e32 v0, 7, v0
; %bb.104:                              ;   in Loop: Header=BB308_16 Depth=1
	s_or_b32 exec_lo, exec_lo, s28
	v_lshlrev_b32_e32 v2, 8, v7
	v_lshl_add_u32 v1, v1, 10, 0x2000
	v_lshlrev_b32_e32 v0, 7, v0
	v_and_b32_e32 v2, 0x8000, v2
	v_and_b32_e32 v1, 0xfc00, v1
	v_or3_b32 v0, v2, v1, v0
	buffer_store_dword v0, off, s[0:3], s32 offset:256 ; 4-byte Folded Spill
.LBB308_105:                            ;   in Loop: Header=BB308_16 Depth=1
	s_or_b32 exec_lo, exec_lo, s27
.LBB308_106:                            ;   in Loop: Header=BB308_16 Depth=1
	s_or_b32 exec_lo, exec_lo, s26
.LBB308_107:                            ;   in Loop: Header=BB308_16 Depth=1
	s_or_b32 exec_lo, exec_lo, s25
	v_mov_b32_e32 v0, 0
	v_mov_b32_e32 v101, 0
	s_mov_b32 s25, exec_lo
	buffer_store_dword v0, off, s[0:3], s32 offset:260 ; 4-byte Folded Spill
	v_cmpx_lt_u32_e32 0xffffff, v33
	s_cbranch_execz .LBB308_115
; %bb.108:                              ;   in Loop: Header=BB308_16 Depth=1
	v_lshrrev_b32_e32 v7, 24, v33
	v_bfrev_b32_e32 v101, 1
	s_mov_b32 s26, exec_lo
	v_cmpx_ne_u32_e32 0x80, v7
	s_cbranch_execz .LBB308_114
; %bb.109:                              ;   in Loop: Header=BB308_16 Depth=1
	v_and_b32_e32 v2, 0x7f, v7
	v_mov_b32_e32 v101, 0x7c010000
	s_mov_b32 s27, exec_lo
	v_cmpx_ne_u32_e32 0x7f, v2
	s_cbranch_execz .LBB308_113
; %bb.110:                              ;   in Loop: Header=BB308_16 Depth=1
	v_and_b32_e32 v0, 7, v7
	v_lshrrev_b32_e32 v1, 3, v2
	s_mov_b32 s28, exec_lo
	v_cmpx_gt_u32_e32 8, v2
; %bb.111:                              ;   in Loop: Header=BB308_16 Depth=1
	v_ffbh_u32_e32 v0, v0
	v_min_u32_e32 v2, 32, v0
	v_subrev_nc_u32_e32 v0, 28, v2
	v_lshlrev_b64 v[0:1], v0, v[7:8]
	v_sub_nc_u32_e32 v1, 29, v2
	v_and_b32_e32 v0, 7, v0
; %bb.112:                              ;   in Loop: Header=BB308_16 Depth=1
	s_or_b32 exec_lo, exec_lo, s28
	v_lshlrev_b32_e32 v2, 8, v7
	v_lshl_add_u32 v1, v1, 10, 0x2000
	v_lshlrev_b32_e32 v0, 23, v0
	v_and_or_b32 v1, 0x8000, v2, v1
	v_lshl_or_b32 v101, v1, 16, v0
.LBB308_113:                            ;   in Loop: Header=BB308_16 Depth=1
	s_or_b32 exec_lo, exec_lo, s27
.LBB308_114:                            ;   in Loop: Header=BB308_16 Depth=1
	s_or_b32 exec_lo, exec_lo, s26
.LBB308_115:                            ;   in Loop: Header=BB308_16 Depth=1
	s_or_b32 exec_lo, exec_lo, s25
	v_mov_b32_e32 v7, v34
	v_cmp_ne_u16_sdwa s5, v34, v8 src0_sel:BYTE_0 src1_sel:DWORD
	s_and_saveexec_b32 s25, s5
	s_cbranch_execz .LBB308_123
; %bb.116:                              ;   in Loop: Header=BB308_16 Depth=1
	v_cmp_ne_u16_sdwa s5, v34, v68 src0_sel:BYTE_0 src1_sel:DWORD
	v_mov_b32_e32 v0, 0x8000
	buffer_store_dword v0, off, s[0:3], s32 offset:260 ; 4-byte Folded Spill
	s_and_saveexec_b32 s26, s5
	s_cbranch_execz .LBB308_122
; %bb.117:                              ;   in Loop: Header=BB308_16 Depth=1
	v_and_b32_e32 v2, 0x7f, v34
	v_mov_b32_e32 v0, 0x7c01
	s_mov_b32 s27, exec_lo
	buffer_store_dword v0, off, s[0:3], s32 offset:260 ; 4-byte Folded Spill
	v_cmpx_ne_u32_e32 0x7f, v2
	s_cbranch_execz .LBB308_121
; %bb.118:                              ;   in Loop: Header=BB308_16 Depth=1
	v_and_b32_e32 v0, 7, v34
	v_lshrrev_b32_e32 v1, 3, v2
	s_mov_b32 s28, exec_lo
	v_cmpx_gt_u32_e32 8, v2
; %bb.119:                              ;   in Loop: Header=BB308_16 Depth=1
	v_ffbh_u32_e32 v0, v0
	v_min_u32_e32 v2, 32, v0
	v_subrev_nc_u32_e32 v0, 28, v2
	v_lshlrev_b64 v[0:1], v0, v[7:8]
	v_sub_nc_u32_e32 v1, 29, v2
	v_and_b32_e32 v0, 7, v0
; %bb.120:                              ;   in Loop: Header=BB308_16 Depth=1
	s_or_b32 exec_lo, exec_lo, s28
	v_lshlrev_b32_e32 v2, 8, v34
	v_lshl_add_u32 v1, v1, 10, 0x2000
	v_lshlrev_b32_e32 v0, 7, v0
	v_and_b32_e32 v2, 0x8000, v2
	v_and_b32_e32 v1, 0xfc00, v1
	v_or3_b32 v0, v2, v1, v0
	buffer_store_dword v0, off, s[0:3], s32 offset:260 ; 4-byte Folded Spill
.LBB308_121:                            ;   in Loop: Header=BB308_16 Depth=1
	s_or_b32 exec_lo, exec_lo, s27
.LBB308_122:                            ;   in Loop: Header=BB308_16 Depth=1
	s_or_b32 exec_lo, exec_lo, s26
.LBB308_123:                            ;   in Loop: Header=BB308_16 Depth=1
	s_or_b32 exec_lo, exec_lo, s25
	v_lshrrev_b16 v7, 8, v7
	v_mov_b32_e32 v0, 0
	v_mov_b32_e32 v114, 0
	s_mov_b32 s25, exec_lo
	buffer_store_dword v0, off, s[0:3], s32 offset:264 ; 4-byte Folded Spill
	v_cmpx_ne_u16_e32 0, v7
	s_cbranch_execz .LBB308_131
; %bb.124:                              ;   in Loop: Header=BB308_16 Depth=1
	v_bfrev_b32_e32 v114, 1
	s_mov_b32 s26, exec_lo
	v_cmpx_ne_u16_e32 0x80, v7
	s_cbranch_execz .LBB308_130
; %bb.125:                              ;   in Loop: Header=BB308_16 Depth=1
	v_mov_b32_e32 v0, 0x7f
	v_mov_b32_e32 v114, 0x7c010000
	s_mov_b32 s27, exec_lo
	v_and_b32_sdwa v2, v7, v0 dst_sel:DWORD dst_unused:UNUSED_PAD src0_sel:WORD_0 src1_sel:DWORD
	v_cmpx_ne_u32_e32 0x7f, v2
	s_cbranch_execz .LBB308_129
; %bb.126:                              ;   in Loop: Header=BB308_16 Depth=1
	v_mov_b32_e32 v0, 7
	v_lshrrev_b32_e32 v1, 3, v2
	s_mov_b32 s28, exec_lo
	v_and_b32_sdwa v0, v7, v0 dst_sel:DWORD dst_unused:UNUSED_PAD src0_sel:WORD_0 src1_sel:DWORD
	v_cmpx_gt_u32_e32 8, v2
; %bb.127:                              ;   in Loop: Header=BB308_16 Depth=1
	v_ffbh_u32_e32 v0, v0
	v_min_u32_e32 v2, 32, v0
	v_subrev_nc_u32_e32 v0, 28, v2
	v_lshlrev_b64 v[0:1], v0, v[7:8]
	v_sub_nc_u32_e32 v1, 29, v2
	v_and_b32_e32 v0, 7, v0
; %bb.128:                              ;   in Loop: Header=BB308_16 Depth=1
	s_or_b32 exec_lo, exec_lo, s28
	v_mov_b32_e32 v2, 8
	v_lshl_add_u32 v1, v1, 10, 0x2000
	v_lshlrev_b32_e32 v0, 23, v0
	v_lshlrev_b32_sdwa v2, v2, v7 dst_sel:DWORD dst_unused:UNUSED_PAD src0_sel:DWORD src1_sel:WORD_0
	v_and_or_b32 v1, 0x8000, v2, v1
	v_lshl_or_b32 v114, v1, 16, v0
.LBB308_129:                            ;   in Loop: Header=BB308_16 Depth=1
	s_or_b32 exec_lo, exec_lo, s27
.LBB308_130:                            ;   in Loop: Header=BB308_16 Depth=1
	s_or_b32 exec_lo, exec_lo, s26
.LBB308_131:                            ;   in Loop: Header=BB308_16 Depth=1
	s_or_b32 exec_lo, exec_lo, s25
	v_lshrrev_b32_e32 v7, 16, v34
	v_cmp_ne_u16_sdwa s5, v7, v8 src0_sel:BYTE_0 src1_sel:DWORD
	s_and_saveexec_b32 s25, s5
	s_cbranch_execz .LBB308_139
; %bb.132:                              ;   in Loop: Header=BB308_16 Depth=1
	v_cmp_ne_u16_sdwa s5, v7, v68 src0_sel:BYTE_0 src1_sel:DWORD
	v_mov_b32_e32 v0, 0x8000
	buffer_store_dword v0, off, s[0:3], s32 offset:264 ; 4-byte Folded Spill
	s_and_saveexec_b32 s26, s5
	s_cbranch_execz .LBB308_138
; %bb.133:                              ;   in Loop: Header=BB308_16 Depth=1
	v_bfe_u32 v2, v34, 16, 7
	v_mov_b32_e32 v0, 0x7c01
	s_mov_b32 s27, exec_lo
	buffer_store_dword v0, off, s[0:3], s32 offset:264 ; 4-byte Folded Spill
	v_cmpx_ne_u32_e32 0x7f, v2
	s_cbranch_execz .LBB308_137
; %bb.134:                              ;   in Loop: Header=BB308_16 Depth=1
	v_and_b32_e32 v0, 7, v7
	v_lshrrev_b32_e32 v1, 3, v2
	s_mov_b32 s28, exec_lo
	v_cmpx_gt_u32_e32 8, v2
; %bb.135:                              ;   in Loop: Header=BB308_16 Depth=1
	v_ffbh_u32_e32 v0, v0
	v_min_u32_e32 v2, 32, v0
	v_subrev_nc_u32_e32 v0, 28, v2
	v_lshlrev_b64 v[0:1], v0, v[7:8]
	v_sub_nc_u32_e32 v1, 29, v2
	v_and_b32_e32 v0, 7, v0
; %bb.136:                              ;   in Loop: Header=BB308_16 Depth=1
	s_or_b32 exec_lo, exec_lo, s28
	v_lshlrev_b32_e32 v2, 8, v7
	v_lshl_add_u32 v1, v1, 10, 0x2000
	v_lshlrev_b32_e32 v0, 7, v0
	v_and_b32_e32 v2, 0x8000, v2
	v_and_b32_e32 v1, 0xfc00, v1
	v_or3_b32 v0, v2, v1, v0
	buffer_store_dword v0, off, s[0:3], s32 offset:264 ; 4-byte Folded Spill
.LBB308_137:                            ;   in Loop: Header=BB308_16 Depth=1
	s_or_b32 exec_lo, exec_lo, s27
.LBB308_138:                            ;   in Loop: Header=BB308_16 Depth=1
	s_or_b32 exec_lo, exec_lo, s26
.LBB308_139:                            ;   in Loop: Header=BB308_16 Depth=1
	s_or_b32 exec_lo, exec_lo, s25
	v_mov_b32_e32 v0, 0
	v_mov_b32_e32 v112, 0
	s_mov_b32 s25, exec_lo
	buffer_store_dword v0, off, s[0:3], s32 offset:268 ; 4-byte Folded Spill
	v_cmpx_lt_u64_e64 s[20:21], v[33:34]
	s_cbranch_execz .LBB308_147
; %bb.140:                              ;   in Loop: Header=BB308_16 Depth=1
	v_lshrrev_b32_e32 v7, 24, v34
	v_bfrev_b32_e32 v112, 1
	s_mov_b32 s26, exec_lo
	v_cmpx_ne_u32_e32 0x80, v7
	s_cbranch_execz .LBB308_146
; %bb.141:                              ;   in Loop: Header=BB308_16 Depth=1
	v_and_b32_e32 v2, 0x7f, v7
	v_mov_b32_e32 v112, 0x7c010000
	s_mov_b32 s27, exec_lo
	v_cmpx_ne_u32_e32 0x7f, v2
	s_cbranch_execz .LBB308_145
; %bb.142:                              ;   in Loop: Header=BB308_16 Depth=1
	v_and_b32_e32 v0, 7, v7
	v_lshrrev_b32_e32 v1, 3, v2
	s_mov_b32 s28, exec_lo
	v_cmpx_gt_u32_e32 8, v2
; %bb.143:                              ;   in Loop: Header=BB308_16 Depth=1
	v_ffbh_u32_e32 v0, v0
	v_min_u32_e32 v2, 32, v0
	v_subrev_nc_u32_e32 v0, 28, v2
	v_lshlrev_b64 v[0:1], v0, v[7:8]
	v_sub_nc_u32_e32 v1, 29, v2
	v_and_b32_e32 v0, 7, v0
; %bb.144:                              ;   in Loop: Header=BB308_16 Depth=1
	s_or_b32 exec_lo, exec_lo, s28
	v_lshlrev_b32_e32 v2, 8, v7
	v_lshl_add_u32 v1, v1, 10, 0x2000
	v_lshlrev_b32_e32 v0, 23, v0
	v_and_or_b32 v1, 0x8000, v2, v1
	v_lshl_or_b32 v112, v1, 16, v0
.LBB308_145:                            ;   in Loop: Header=BB308_16 Depth=1
	s_or_b32 exec_lo, exec_lo, s27
.LBB308_146:                            ;   in Loop: Header=BB308_16 Depth=1
	s_or_b32 exec_lo, exec_lo, s26
.LBB308_147:                            ;   in Loop: Header=BB308_16 Depth=1
	s_or_b32 exec_lo, exec_lo, s25
	flat_load_dwordx2 v[33:34], v[31:32] offset:512
	s_waitcnt vmcnt(0) lgkmcnt(0)
	v_cmp_ne_u16_sdwa s5, v33, v8 src0_sel:BYTE_0 src1_sel:DWORD
	s_and_saveexec_b32 s25, s5
	s_cbranch_execz .LBB308_155
; %bb.148:                              ;   in Loop: Header=BB308_16 Depth=1
	v_cmp_ne_u16_sdwa s5, v33, v68 src0_sel:BYTE_0 src1_sel:DWORD
	v_mov_b32_e32 v0, 0x8000
	buffer_store_dword v0, off, s[0:3], s32 offset:268 ; 4-byte Folded Spill
	s_and_saveexec_b32 s26, s5
	s_cbranch_execz .LBB308_154
; %bb.149:                              ;   in Loop: Header=BB308_16 Depth=1
	v_and_b32_e32 v2, 0x7f, v33
	v_mov_b32_e32 v0, 0x7c01
	s_mov_b32 s27, exec_lo
	buffer_store_dword v0, off, s[0:3], s32 offset:268 ; 4-byte Folded Spill
	v_cmpx_ne_u32_e32 0x7f, v2
	s_cbranch_execz .LBB308_153
; %bb.150:                              ;   in Loop: Header=BB308_16 Depth=1
	v_and_b32_e32 v0, 7, v33
	v_lshrrev_b32_e32 v1, 3, v2
	s_mov_b32 s28, exec_lo
	v_cmpx_gt_u32_e32 8, v2
; %bb.151:                              ;   in Loop: Header=BB308_16 Depth=1
	v_ffbh_u32_e32 v0, v0
	v_min_u32_e32 v2, 32, v0
	v_subrev_nc_u32_e32 v0, 28, v2
	v_lshlrev_b64 v[0:1], v0, v[33:34]
	v_sub_nc_u32_e32 v1, 29, v2
	v_and_b32_e32 v0, 7, v0
; %bb.152:                              ;   in Loop: Header=BB308_16 Depth=1
	s_or_b32 exec_lo, exec_lo, s28
	v_lshlrev_b32_e32 v2, 8, v33
	v_lshl_add_u32 v1, v1, 10, 0x2000
	v_lshlrev_b32_e32 v0, 7, v0
	v_and_b32_e32 v2, 0x8000, v2
	v_and_b32_e32 v1, 0xfc00, v1
	v_or3_b32 v0, v2, v1, v0
	buffer_store_dword v0, off, s[0:3], s32 offset:268 ; 4-byte Folded Spill
.LBB308_153:                            ;   in Loop: Header=BB308_16 Depth=1
	s_or_b32 exec_lo, exec_lo, s27
.LBB308_154:                            ;   in Loop: Header=BB308_16 Depth=1
	s_or_b32 exec_lo, exec_lo, s26
.LBB308_155:                            ;   in Loop: Header=BB308_16 Depth=1
	s_or_b32 exec_lo, exec_lo, s25
	v_lshrrev_b16 v7, 8, v33
	v_mov_b32_e32 v94, 0
	v_mov_b32_e32 v117, 0
	s_mov_b32 s25, exec_lo
	v_cmpx_ne_u16_e32 0, v7
	s_cbranch_execz .LBB308_163
; %bb.156:                              ;   in Loop: Header=BB308_16 Depth=1
	v_bfrev_b32_e32 v117, 1
	s_mov_b32 s26, exec_lo
	v_cmpx_ne_u16_e32 0x80, v7
	s_cbranch_execz .LBB308_162
; %bb.157:                              ;   in Loop: Header=BB308_16 Depth=1
	v_mov_b32_e32 v0, 0x7f
	v_mov_b32_e32 v117, 0x7c010000
	s_mov_b32 s27, exec_lo
	v_and_b32_sdwa v2, v7, v0 dst_sel:DWORD dst_unused:UNUSED_PAD src0_sel:WORD_0 src1_sel:DWORD
	v_cmpx_ne_u32_e32 0x7f, v2
	s_cbranch_execz .LBB308_161
; %bb.158:                              ;   in Loop: Header=BB308_16 Depth=1
	v_mov_b32_e32 v0, 7
	v_lshrrev_b32_e32 v1, 3, v2
	s_mov_b32 s28, exec_lo
	v_and_b32_sdwa v0, v7, v0 dst_sel:DWORD dst_unused:UNUSED_PAD src0_sel:WORD_0 src1_sel:DWORD
	v_cmpx_gt_u32_e32 8, v2
; %bb.159:                              ;   in Loop: Header=BB308_16 Depth=1
	v_ffbh_u32_e32 v0, v0
	v_min_u32_e32 v2, 32, v0
	v_subrev_nc_u32_e32 v0, 28, v2
	v_lshlrev_b64 v[0:1], v0, v[7:8]
	v_sub_nc_u32_e32 v1, 29, v2
	v_and_b32_e32 v0, 7, v0
; %bb.160:                              ;   in Loop: Header=BB308_16 Depth=1
	s_or_b32 exec_lo, exec_lo, s28
	v_mov_b32_e32 v2, 8
	v_lshl_add_u32 v1, v1, 10, 0x2000
	v_lshlrev_b32_e32 v0, 23, v0
	v_lshlrev_b32_sdwa v2, v2, v7 dst_sel:DWORD dst_unused:UNUSED_PAD src0_sel:DWORD src1_sel:WORD_0
	v_and_or_b32 v1, 0x8000, v2, v1
	v_lshl_or_b32 v117, v1, 16, v0
.LBB308_161:                            ;   in Loop: Header=BB308_16 Depth=1
	s_or_b32 exec_lo, exec_lo, s27
.LBB308_162:                            ;   in Loop: Header=BB308_16 Depth=1
	s_or_b32 exec_lo, exec_lo, s26
.LBB308_163:                            ;   in Loop: Header=BB308_16 Depth=1
	s_or_b32 exec_lo, exec_lo, s25
	v_lshrrev_b32_e32 v7, 16, v33
	v_cmp_ne_u16_sdwa s5, v7, v8 src0_sel:BYTE_0 src1_sel:DWORD
	s_and_saveexec_b32 s25, s5
	s_cbranch_execz .LBB308_171
; %bb.164:                              ;   in Loop: Header=BB308_16 Depth=1
	v_cmp_ne_u16_sdwa s5, v7, v68 src0_sel:BYTE_0 src1_sel:DWORD
	v_mov_b32_e32 v94, 0x8000
	s_and_saveexec_b32 s26, s5
	s_cbranch_execz .LBB308_170
; %bb.165:                              ;   in Loop: Header=BB308_16 Depth=1
	v_bfe_u32 v2, v33, 16, 7
	v_mov_b32_e32 v94, 0x7c01
	s_mov_b32 s27, exec_lo
	v_cmpx_ne_u32_e32 0x7f, v2
	s_cbranch_execz .LBB308_169
; %bb.166:                              ;   in Loop: Header=BB308_16 Depth=1
	v_and_b32_e32 v0, 7, v7
	v_lshrrev_b32_e32 v1, 3, v2
	s_mov_b32 s28, exec_lo
	v_cmpx_gt_u32_e32 8, v2
; %bb.167:                              ;   in Loop: Header=BB308_16 Depth=1
	v_ffbh_u32_e32 v0, v0
	v_min_u32_e32 v2, 32, v0
	v_subrev_nc_u32_e32 v0, 28, v2
	v_lshlrev_b64 v[0:1], v0, v[7:8]
	v_sub_nc_u32_e32 v1, 29, v2
	v_and_b32_e32 v0, 7, v0
; %bb.168:                              ;   in Loop: Header=BB308_16 Depth=1
	s_or_b32 exec_lo, exec_lo, s28
	v_lshlrev_b32_e32 v2, 8, v7
	v_lshl_add_u32 v1, v1, 10, 0x2000
	v_lshlrev_b32_e32 v0, 7, v0
	v_and_b32_e32 v2, 0x8000, v2
	v_and_b32_e32 v1, 0xfc00, v1
	v_or3_b32 v94, v2, v1, v0
.LBB308_169:                            ;   in Loop: Header=BB308_16 Depth=1
	s_or_b32 exec_lo, exec_lo, s27
.LBB308_170:                            ;   in Loop: Header=BB308_16 Depth=1
	s_or_b32 exec_lo, exec_lo, s26
.LBB308_171:                            ;   in Loop: Header=BB308_16 Depth=1
	s_or_b32 exec_lo, exec_lo, s25
	v_mov_b32_e32 v119, 0
	v_mov_b32_e32 v40, 0
	s_mov_b32 s25, exec_lo
	v_cmpx_lt_u32_e32 0xffffff, v33
	s_cbranch_execz .LBB308_179
; %bb.172:                              ;   in Loop: Header=BB308_16 Depth=1
	v_lshrrev_b32_e32 v7, 24, v33
	v_bfrev_b32_e32 v40, 1
	s_mov_b32 s26, exec_lo
	v_cmpx_ne_u32_e32 0x80, v7
	s_cbranch_execz .LBB308_178
; %bb.173:                              ;   in Loop: Header=BB308_16 Depth=1
	v_and_b32_e32 v2, 0x7f, v7
	v_mov_b32_e32 v40, 0x7c010000
	s_mov_b32 s27, exec_lo
	v_cmpx_ne_u32_e32 0x7f, v2
	s_cbranch_execz .LBB308_177
; %bb.174:                              ;   in Loop: Header=BB308_16 Depth=1
	v_and_b32_e32 v0, 7, v7
	v_lshrrev_b32_e32 v1, 3, v2
	s_mov_b32 s28, exec_lo
	v_cmpx_gt_u32_e32 8, v2
; %bb.175:                              ;   in Loop: Header=BB308_16 Depth=1
	v_ffbh_u32_e32 v0, v0
	v_min_u32_e32 v2, 32, v0
	v_subrev_nc_u32_e32 v0, 28, v2
	v_lshlrev_b64 v[0:1], v0, v[7:8]
	v_sub_nc_u32_e32 v1, 29, v2
	v_and_b32_e32 v0, 7, v0
; %bb.176:                              ;   in Loop: Header=BB308_16 Depth=1
	s_or_b32 exec_lo, exec_lo, s28
	v_lshlrev_b32_e32 v2, 8, v7
	v_lshl_add_u32 v1, v1, 10, 0x2000
	v_lshlrev_b32_e32 v0, 23, v0
	v_and_or_b32 v1, 0x8000, v2, v1
	v_lshl_or_b32 v40, v1, 16, v0
.LBB308_177:                            ;   in Loop: Header=BB308_16 Depth=1
	s_or_b32 exec_lo, exec_lo, s27
.LBB308_178:                            ;   in Loop: Header=BB308_16 Depth=1
	s_or_b32 exec_lo, exec_lo, s26
.LBB308_179:                            ;   in Loop: Header=BB308_16 Depth=1
	s_or_b32 exec_lo, exec_lo, s25
	v_mov_b32_e32 v7, v34
	v_cmp_ne_u16_sdwa s5, v34, v8 src0_sel:BYTE_0 src1_sel:DWORD
	s_and_saveexec_b32 s25, s5
	s_cbranch_execz .LBB308_187
; %bb.180:                              ;   in Loop: Header=BB308_16 Depth=1
	v_cmp_ne_u16_sdwa s5, v34, v68 src0_sel:BYTE_0 src1_sel:DWORD
	v_mov_b32_e32 v119, 0x8000
	s_and_saveexec_b32 s26, s5
	s_cbranch_execz .LBB308_186
; %bb.181:                              ;   in Loop: Header=BB308_16 Depth=1
	v_and_b32_e32 v2, 0x7f, v34
	v_mov_b32_e32 v119, 0x7c01
	s_mov_b32 s27, exec_lo
	v_cmpx_ne_u32_e32 0x7f, v2
	s_cbranch_execz .LBB308_185
; %bb.182:                              ;   in Loop: Header=BB308_16 Depth=1
	v_and_b32_e32 v0, 7, v34
	v_lshrrev_b32_e32 v1, 3, v2
	s_mov_b32 s28, exec_lo
	v_cmpx_gt_u32_e32 8, v2
; %bb.183:                              ;   in Loop: Header=BB308_16 Depth=1
	v_ffbh_u32_e32 v0, v0
	v_min_u32_e32 v2, 32, v0
	v_subrev_nc_u32_e32 v0, 28, v2
	v_lshlrev_b64 v[0:1], v0, v[7:8]
	v_sub_nc_u32_e32 v1, 29, v2
	v_and_b32_e32 v0, 7, v0
; %bb.184:                              ;   in Loop: Header=BB308_16 Depth=1
	s_or_b32 exec_lo, exec_lo, s28
	v_lshlrev_b32_e32 v2, 8, v34
	v_lshl_add_u32 v1, v1, 10, 0x2000
	v_lshlrev_b32_e32 v0, 7, v0
	v_and_b32_e32 v2, 0x8000, v2
	v_and_b32_e32 v1, 0xfc00, v1
	v_or3_b32 v119, v2, v1, v0
.LBB308_185:                            ;   in Loop: Header=BB308_16 Depth=1
	s_or_b32 exec_lo, exec_lo, s27
.LBB308_186:                            ;   in Loop: Header=BB308_16 Depth=1
	s_or_b32 exec_lo, exec_lo, s26
.LBB308_187:                            ;   in Loop: Header=BB308_16 Depth=1
	s_or_b32 exec_lo, exec_lo, s25
	v_lshrrev_b16 v7, 8, v7
	v_mov_b32_e32 v125, 0
	v_mov_b32_e32 v42, 0
	s_mov_b32 s25, exec_lo
	v_cmpx_ne_u16_e32 0, v7
	s_cbranch_execz .LBB308_195
; %bb.188:                              ;   in Loop: Header=BB308_16 Depth=1
	v_bfrev_b32_e32 v42, 1
	s_mov_b32 s26, exec_lo
	v_cmpx_ne_u16_e32 0x80, v7
	s_cbranch_execz .LBB308_194
; %bb.189:                              ;   in Loop: Header=BB308_16 Depth=1
	v_mov_b32_e32 v0, 0x7f
	v_mov_b32_e32 v42, 0x7c010000
	s_mov_b32 s27, exec_lo
	v_and_b32_sdwa v2, v7, v0 dst_sel:DWORD dst_unused:UNUSED_PAD src0_sel:WORD_0 src1_sel:DWORD
	v_cmpx_ne_u32_e32 0x7f, v2
	s_cbranch_execz .LBB308_193
; %bb.190:                              ;   in Loop: Header=BB308_16 Depth=1
	v_mov_b32_e32 v0, 7
	v_lshrrev_b32_e32 v1, 3, v2
	s_mov_b32 s28, exec_lo
	v_and_b32_sdwa v0, v7, v0 dst_sel:DWORD dst_unused:UNUSED_PAD src0_sel:WORD_0 src1_sel:DWORD
	v_cmpx_gt_u32_e32 8, v2
; %bb.191:                              ;   in Loop: Header=BB308_16 Depth=1
	v_ffbh_u32_e32 v0, v0
	v_min_u32_e32 v2, 32, v0
	v_subrev_nc_u32_e32 v0, 28, v2
	v_lshlrev_b64 v[0:1], v0, v[7:8]
	v_sub_nc_u32_e32 v1, 29, v2
	v_and_b32_e32 v0, 7, v0
; %bb.192:                              ;   in Loop: Header=BB308_16 Depth=1
	s_or_b32 exec_lo, exec_lo, s28
	v_mov_b32_e32 v2, 8
	v_lshl_add_u32 v1, v1, 10, 0x2000
	v_lshlrev_b32_e32 v0, 23, v0
	v_lshlrev_b32_sdwa v2, v2, v7 dst_sel:DWORD dst_unused:UNUSED_PAD src0_sel:DWORD src1_sel:WORD_0
	v_and_or_b32 v1, 0x8000, v2, v1
	v_lshl_or_b32 v42, v1, 16, v0
.LBB308_193:                            ;   in Loop: Header=BB308_16 Depth=1
	s_or_b32 exec_lo, exec_lo, s27
.LBB308_194:                            ;   in Loop: Header=BB308_16 Depth=1
	s_or_b32 exec_lo, exec_lo, s26
.LBB308_195:                            ;   in Loop: Header=BB308_16 Depth=1
	s_or_b32 exec_lo, exec_lo, s25
	v_lshrrev_b32_e32 v7, 16, v34
	v_cmp_ne_u16_sdwa s5, v7, v8 src0_sel:BYTE_0 src1_sel:DWORD
	s_and_saveexec_b32 s25, s5
	s_cbranch_execz .LBB308_203
; %bb.196:                              ;   in Loop: Header=BB308_16 Depth=1
	v_cmp_ne_u16_sdwa s5, v7, v68 src0_sel:BYTE_0 src1_sel:DWORD
	v_mov_b32_e32 v125, 0x8000
	s_and_saveexec_b32 s26, s5
	s_cbranch_execz .LBB308_202
; %bb.197:                              ;   in Loop: Header=BB308_16 Depth=1
	v_bfe_u32 v2, v34, 16, 7
	v_mov_b32_e32 v125, 0x7c01
	s_mov_b32 s27, exec_lo
	v_cmpx_ne_u32_e32 0x7f, v2
	s_cbranch_execz .LBB308_201
; %bb.198:                              ;   in Loop: Header=BB308_16 Depth=1
	v_and_b32_e32 v0, 7, v7
	v_lshrrev_b32_e32 v1, 3, v2
	s_mov_b32 s28, exec_lo
	v_cmpx_gt_u32_e32 8, v2
; %bb.199:                              ;   in Loop: Header=BB308_16 Depth=1
	v_ffbh_u32_e32 v0, v0
	v_min_u32_e32 v2, 32, v0
	v_subrev_nc_u32_e32 v0, 28, v2
	v_lshlrev_b64 v[0:1], v0, v[7:8]
	v_sub_nc_u32_e32 v1, 29, v2
	v_and_b32_e32 v0, 7, v0
; %bb.200:                              ;   in Loop: Header=BB308_16 Depth=1
	s_or_b32 exec_lo, exec_lo, s28
	v_lshlrev_b32_e32 v2, 8, v7
	v_lshl_add_u32 v1, v1, 10, 0x2000
	v_lshlrev_b32_e32 v0, 7, v0
	v_and_b32_e32 v2, 0x8000, v2
	v_and_b32_e32 v1, 0xfc00, v1
	v_or3_b32 v125, v2, v1, v0
.LBB308_201:                            ;   in Loop: Header=BB308_16 Depth=1
	s_or_b32 exec_lo, exec_lo, s27
.LBB308_202:                            ;   in Loop: Header=BB308_16 Depth=1
	s_or_b32 exec_lo, exec_lo, s26
.LBB308_203:                            ;   in Loop: Header=BB308_16 Depth=1
	s_or_b32 exec_lo, exec_lo, s25
	v_mov_b32_e32 v44, 0
	v_mov_b32_e32 v43, 0
	s_mov_b32 s25, exec_lo
	v_cmpx_lt_u64_e64 s[20:21], v[33:34]
	s_cbranch_execz .LBB308_211
; %bb.204:                              ;   in Loop: Header=BB308_16 Depth=1
	v_lshrrev_b32_e32 v7, 24, v34
	v_bfrev_b32_e32 v43, 1
	s_mov_b32 s26, exec_lo
	v_cmpx_ne_u32_e32 0x80, v7
	s_cbranch_execz .LBB308_210
; %bb.205:                              ;   in Loop: Header=BB308_16 Depth=1
	v_and_b32_e32 v2, 0x7f, v7
	v_mov_b32_e32 v43, 0x7c010000
	s_mov_b32 s27, exec_lo
	v_cmpx_ne_u32_e32 0x7f, v2
	s_cbranch_execz .LBB308_209
; %bb.206:                              ;   in Loop: Header=BB308_16 Depth=1
	v_and_b32_e32 v0, 7, v7
	v_lshrrev_b32_e32 v1, 3, v2
	s_mov_b32 s28, exec_lo
	v_cmpx_gt_u32_e32 8, v2
; %bb.207:                              ;   in Loop: Header=BB308_16 Depth=1
	v_ffbh_u32_e32 v0, v0
	v_min_u32_e32 v2, 32, v0
	v_subrev_nc_u32_e32 v0, 28, v2
	v_lshlrev_b64 v[0:1], v0, v[7:8]
	v_sub_nc_u32_e32 v1, 29, v2
	v_and_b32_e32 v0, 7, v0
; %bb.208:                              ;   in Loop: Header=BB308_16 Depth=1
	s_or_b32 exec_lo, exec_lo, s28
	v_lshlrev_b32_e32 v2, 8, v7
	v_lshl_add_u32 v1, v1, 10, 0x2000
	v_lshlrev_b32_e32 v0, 23, v0
	v_and_or_b32 v1, 0x8000, v2, v1
	v_lshl_or_b32 v43, v1, 16, v0
.LBB308_209:                            ;   in Loop: Header=BB308_16 Depth=1
	s_or_b32 exec_lo, exec_lo, s27
.LBB308_210:                            ;   in Loop: Header=BB308_16 Depth=1
	s_or_b32 exec_lo, exec_lo, s26
.LBB308_211:                            ;   in Loop: Header=BB308_16 Depth=1
	s_or_b32 exec_lo, exec_lo, s25
	flat_load_dwordx2 v[33:34], v[31:32] offset:520
	s_waitcnt vmcnt(0) lgkmcnt(0)
	v_cmp_ne_u16_sdwa s5, v33, v8 src0_sel:BYTE_0 src1_sel:DWORD
	s_and_saveexec_b32 s25, s5
	s_cbranch_execz .LBB308_219
; %bb.212:                              ;   in Loop: Header=BB308_16 Depth=1
	v_cmp_ne_u16_sdwa s5, v33, v68 src0_sel:BYTE_0 src1_sel:DWORD
	v_mov_b32_e32 v44, 0x8000
	s_and_saveexec_b32 s26, s5
	s_cbranch_execz .LBB308_218
; %bb.213:                              ;   in Loop: Header=BB308_16 Depth=1
	v_and_b32_e32 v2, 0x7f, v33
	v_mov_b32_e32 v44, 0x7c01
	s_mov_b32 s27, exec_lo
	v_cmpx_ne_u32_e32 0x7f, v2
	s_cbranch_execz .LBB308_217
; %bb.214:                              ;   in Loop: Header=BB308_16 Depth=1
	v_and_b32_e32 v0, 7, v33
	v_lshrrev_b32_e32 v1, 3, v2
	s_mov_b32 s28, exec_lo
	v_cmpx_gt_u32_e32 8, v2
; %bb.215:                              ;   in Loop: Header=BB308_16 Depth=1
	v_ffbh_u32_e32 v0, v0
	v_min_u32_e32 v2, 32, v0
	v_subrev_nc_u32_e32 v0, 28, v2
	v_lshlrev_b64 v[0:1], v0, v[33:34]
	v_sub_nc_u32_e32 v1, 29, v2
	v_and_b32_e32 v0, 7, v0
; %bb.216:                              ;   in Loop: Header=BB308_16 Depth=1
	s_or_b32 exec_lo, exec_lo, s28
	v_lshlrev_b32_e32 v2, 8, v33
	v_lshl_add_u32 v1, v1, 10, 0x2000
	v_lshlrev_b32_e32 v0, 7, v0
	v_and_b32_e32 v2, 0x8000, v2
	v_and_b32_e32 v1, 0xfc00, v1
	v_or3_b32 v44, v2, v1, v0
.LBB308_217:                            ;   in Loop: Header=BB308_16 Depth=1
	s_or_b32 exec_lo, exec_lo, s27
.LBB308_218:                            ;   in Loop: Header=BB308_16 Depth=1
	s_or_b32 exec_lo, exec_lo, s26
.LBB308_219:                            ;   in Loop: Header=BB308_16 Depth=1
	s_or_b32 exec_lo, exec_lo, s25
	v_lshrrev_b16 v7, 8, v33
	v_mov_b32_e32 v46, 0
	v_mov_b32_e32 v45, 0
	s_mov_b32 s25, exec_lo
	v_cmpx_ne_u16_e32 0, v7
	s_cbranch_execz .LBB308_227
; %bb.220:                              ;   in Loop: Header=BB308_16 Depth=1
	v_bfrev_b32_e32 v45, 1
	s_mov_b32 s26, exec_lo
	v_cmpx_ne_u16_e32 0x80, v7
	s_cbranch_execz .LBB308_226
; %bb.221:                              ;   in Loop: Header=BB308_16 Depth=1
	v_mov_b32_e32 v0, 0x7f
	v_mov_b32_e32 v45, 0x7c010000
	s_mov_b32 s27, exec_lo
	v_and_b32_sdwa v2, v7, v0 dst_sel:DWORD dst_unused:UNUSED_PAD src0_sel:WORD_0 src1_sel:DWORD
	v_cmpx_ne_u32_e32 0x7f, v2
	s_cbranch_execz .LBB308_225
; %bb.222:                              ;   in Loop: Header=BB308_16 Depth=1
	v_mov_b32_e32 v0, 7
	v_lshrrev_b32_e32 v1, 3, v2
	s_mov_b32 s28, exec_lo
	v_and_b32_sdwa v0, v7, v0 dst_sel:DWORD dst_unused:UNUSED_PAD src0_sel:WORD_0 src1_sel:DWORD
	v_cmpx_gt_u32_e32 8, v2
; %bb.223:                              ;   in Loop: Header=BB308_16 Depth=1
	v_ffbh_u32_e32 v0, v0
	v_min_u32_e32 v2, 32, v0
	v_subrev_nc_u32_e32 v0, 28, v2
	v_lshlrev_b64 v[0:1], v0, v[7:8]
	v_sub_nc_u32_e32 v1, 29, v2
	v_and_b32_e32 v0, 7, v0
; %bb.224:                              ;   in Loop: Header=BB308_16 Depth=1
	s_or_b32 exec_lo, exec_lo, s28
	v_mov_b32_e32 v2, 8
	v_lshl_add_u32 v1, v1, 10, 0x2000
	v_lshlrev_b32_e32 v0, 23, v0
	v_lshlrev_b32_sdwa v2, v2, v7 dst_sel:DWORD dst_unused:UNUSED_PAD src0_sel:DWORD src1_sel:WORD_0
	v_and_or_b32 v1, 0x8000, v2, v1
	v_lshl_or_b32 v45, v1, 16, v0
.LBB308_225:                            ;   in Loop: Header=BB308_16 Depth=1
	s_or_b32 exec_lo, exec_lo, s27
.LBB308_226:                            ;   in Loop: Header=BB308_16 Depth=1
	s_or_b32 exec_lo, exec_lo, s26
.LBB308_227:                            ;   in Loop: Header=BB308_16 Depth=1
	s_or_b32 exec_lo, exec_lo, s25
	v_lshrrev_b32_e32 v7, 16, v33
	v_cmp_ne_u16_sdwa s5, v7, v8 src0_sel:BYTE_0 src1_sel:DWORD
	s_and_saveexec_b32 s25, s5
	s_cbranch_execz .LBB308_235
; %bb.228:                              ;   in Loop: Header=BB308_16 Depth=1
	v_cmp_ne_u16_sdwa s5, v7, v68 src0_sel:BYTE_0 src1_sel:DWORD
	v_mov_b32_e32 v46, 0x8000
	s_and_saveexec_b32 s26, s5
	s_cbranch_execz .LBB308_234
; %bb.229:                              ;   in Loop: Header=BB308_16 Depth=1
	v_bfe_u32 v2, v33, 16, 7
	v_mov_b32_e32 v46, 0x7c01
	s_mov_b32 s27, exec_lo
	v_cmpx_ne_u32_e32 0x7f, v2
	s_cbranch_execz .LBB308_233
; %bb.230:                              ;   in Loop: Header=BB308_16 Depth=1
	v_and_b32_e32 v0, 7, v7
	v_lshrrev_b32_e32 v1, 3, v2
	s_mov_b32 s28, exec_lo
	v_cmpx_gt_u32_e32 8, v2
; %bb.231:                              ;   in Loop: Header=BB308_16 Depth=1
	v_ffbh_u32_e32 v0, v0
	v_min_u32_e32 v2, 32, v0
	v_subrev_nc_u32_e32 v0, 28, v2
	v_lshlrev_b64 v[0:1], v0, v[7:8]
	v_sub_nc_u32_e32 v1, 29, v2
	v_and_b32_e32 v0, 7, v0
; %bb.232:                              ;   in Loop: Header=BB308_16 Depth=1
	s_or_b32 exec_lo, exec_lo, s28
	v_lshlrev_b32_e32 v2, 8, v7
	v_lshl_add_u32 v1, v1, 10, 0x2000
	v_lshlrev_b32_e32 v0, 7, v0
	v_and_b32_e32 v2, 0x8000, v2
	v_and_b32_e32 v1, 0xfc00, v1
	v_or3_b32 v46, v2, v1, v0
.LBB308_233:                            ;   in Loop: Header=BB308_16 Depth=1
	s_or_b32 exec_lo, exec_lo, s27
.LBB308_234:                            ;   in Loop: Header=BB308_16 Depth=1
	s_or_b32 exec_lo, exec_lo, s26
.LBB308_235:                            ;   in Loop: Header=BB308_16 Depth=1
	s_or_b32 exec_lo, exec_lo, s25
	v_mov_b32_e32 v47, 0
	v_mov_b32_e32 v56, 0
	s_mov_b32 s25, exec_lo
	v_cmpx_lt_u32_e32 0xffffff, v33
	s_cbranch_execz .LBB308_243
; %bb.236:                              ;   in Loop: Header=BB308_16 Depth=1
	v_lshrrev_b32_e32 v7, 24, v33
	v_bfrev_b32_e32 v56, 1
	s_mov_b32 s26, exec_lo
	v_cmpx_ne_u32_e32 0x80, v7
	s_cbranch_execz .LBB308_242
; %bb.237:                              ;   in Loop: Header=BB308_16 Depth=1
	v_and_b32_e32 v2, 0x7f, v7
	v_mov_b32_e32 v56, 0x7c010000
	s_mov_b32 s27, exec_lo
	v_cmpx_ne_u32_e32 0x7f, v2
	s_cbranch_execz .LBB308_241
; %bb.238:                              ;   in Loop: Header=BB308_16 Depth=1
	v_and_b32_e32 v0, 7, v7
	v_lshrrev_b32_e32 v1, 3, v2
	s_mov_b32 s28, exec_lo
	v_cmpx_gt_u32_e32 8, v2
; %bb.239:                              ;   in Loop: Header=BB308_16 Depth=1
	v_ffbh_u32_e32 v0, v0
	v_min_u32_e32 v2, 32, v0
	v_subrev_nc_u32_e32 v0, 28, v2
	v_lshlrev_b64 v[0:1], v0, v[7:8]
	v_sub_nc_u32_e32 v1, 29, v2
	v_and_b32_e32 v0, 7, v0
; %bb.240:                              ;   in Loop: Header=BB308_16 Depth=1
	s_or_b32 exec_lo, exec_lo, s28
	v_lshlrev_b32_e32 v2, 8, v7
	v_lshl_add_u32 v1, v1, 10, 0x2000
	v_lshlrev_b32_e32 v0, 23, v0
	v_and_or_b32 v1, 0x8000, v2, v1
	v_lshl_or_b32 v56, v1, 16, v0
.LBB308_241:                            ;   in Loop: Header=BB308_16 Depth=1
	s_or_b32 exec_lo, exec_lo, s27
.LBB308_242:                            ;   in Loop: Header=BB308_16 Depth=1
	s_or_b32 exec_lo, exec_lo, s26
.LBB308_243:                            ;   in Loop: Header=BB308_16 Depth=1
	s_or_b32 exec_lo, exec_lo, s25
	v_mov_b32_e32 v7, v34
	v_cmp_ne_u16_sdwa s5, v34, v8 src0_sel:BYTE_0 src1_sel:DWORD
	s_and_saveexec_b32 s25, s5
	s_cbranch_execz .LBB308_251
; %bb.244:                              ;   in Loop: Header=BB308_16 Depth=1
	v_cmp_ne_u16_sdwa s5, v34, v68 src0_sel:BYTE_0 src1_sel:DWORD
	v_mov_b32_e32 v47, 0x8000
	s_and_saveexec_b32 s26, s5
	s_cbranch_execz .LBB308_250
; %bb.245:                              ;   in Loop: Header=BB308_16 Depth=1
	v_and_b32_e32 v2, 0x7f, v34
	v_mov_b32_e32 v47, 0x7c01
	s_mov_b32 s27, exec_lo
	v_cmpx_ne_u32_e32 0x7f, v2
	s_cbranch_execz .LBB308_249
; %bb.246:                              ;   in Loop: Header=BB308_16 Depth=1
	v_and_b32_e32 v0, 7, v34
	v_lshrrev_b32_e32 v1, 3, v2
	s_mov_b32 s28, exec_lo
	v_cmpx_gt_u32_e32 8, v2
; %bb.247:                              ;   in Loop: Header=BB308_16 Depth=1
	v_ffbh_u32_e32 v0, v0
	v_min_u32_e32 v2, 32, v0
	v_subrev_nc_u32_e32 v0, 28, v2
	v_lshlrev_b64 v[0:1], v0, v[7:8]
	v_sub_nc_u32_e32 v1, 29, v2
	v_and_b32_e32 v0, 7, v0
; %bb.248:                              ;   in Loop: Header=BB308_16 Depth=1
	s_or_b32 exec_lo, exec_lo, s28
	v_lshlrev_b32_e32 v2, 8, v34
	v_lshl_add_u32 v1, v1, 10, 0x2000
	v_lshlrev_b32_e32 v0, 7, v0
	v_and_b32_e32 v2, 0x8000, v2
	v_and_b32_e32 v1, 0xfc00, v1
	v_or3_b32 v47, v2, v1, v0
.LBB308_249:                            ;   in Loop: Header=BB308_16 Depth=1
	s_or_b32 exec_lo, exec_lo, s27
.LBB308_250:                            ;   in Loop: Header=BB308_16 Depth=1
	s_or_b32 exec_lo, exec_lo, s26
.LBB308_251:                            ;   in Loop: Header=BB308_16 Depth=1
	s_or_b32 exec_lo, exec_lo, s25
	v_lshrrev_b16 v7, 8, v7
	v_mov_b32_e32 v57, 0
	v_mov_b32_e32 v58, 0
	s_mov_b32 s25, exec_lo
	v_cmpx_ne_u16_e32 0, v7
	s_cbranch_execz .LBB308_259
; %bb.252:                              ;   in Loop: Header=BB308_16 Depth=1
	v_bfrev_b32_e32 v58, 1
	s_mov_b32 s26, exec_lo
	v_cmpx_ne_u16_e32 0x80, v7
	s_cbranch_execz .LBB308_258
; %bb.253:                              ;   in Loop: Header=BB308_16 Depth=1
	v_mov_b32_e32 v0, 0x7f
	v_mov_b32_e32 v58, 0x7c010000
	s_mov_b32 s27, exec_lo
	v_and_b32_sdwa v2, v7, v0 dst_sel:DWORD dst_unused:UNUSED_PAD src0_sel:WORD_0 src1_sel:DWORD
	v_cmpx_ne_u32_e32 0x7f, v2
	s_cbranch_execz .LBB308_257
; %bb.254:                              ;   in Loop: Header=BB308_16 Depth=1
	v_mov_b32_e32 v0, 7
	v_lshrrev_b32_e32 v1, 3, v2
	s_mov_b32 s28, exec_lo
	v_and_b32_sdwa v0, v7, v0 dst_sel:DWORD dst_unused:UNUSED_PAD src0_sel:WORD_0 src1_sel:DWORD
	v_cmpx_gt_u32_e32 8, v2
; %bb.255:                              ;   in Loop: Header=BB308_16 Depth=1
	v_ffbh_u32_e32 v0, v0
	v_min_u32_e32 v2, 32, v0
	v_subrev_nc_u32_e32 v0, 28, v2
	v_lshlrev_b64 v[0:1], v0, v[7:8]
	v_sub_nc_u32_e32 v1, 29, v2
	v_and_b32_e32 v0, 7, v0
; %bb.256:                              ;   in Loop: Header=BB308_16 Depth=1
	s_or_b32 exec_lo, exec_lo, s28
	v_mov_b32_e32 v2, 8
	v_lshl_add_u32 v1, v1, 10, 0x2000
	v_lshlrev_b32_e32 v0, 23, v0
	v_lshlrev_b32_sdwa v2, v2, v7 dst_sel:DWORD dst_unused:UNUSED_PAD src0_sel:DWORD src1_sel:WORD_0
	v_and_or_b32 v1, 0x8000, v2, v1
	v_lshl_or_b32 v58, v1, 16, v0
.LBB308_257:                            ;   in Loop: Header=BB308_16 Depth=1
	s_or_b32 exec_lo, exec_lo, s27
.LBB308_258:                            ;   in Loop: Header=BB308_16 Depth=1
	s_or_b32 exec_lo, exec_lo, s26
.LBB308_259:                            ;   in Loop: Header=BB308_16 Depth=1
	s_or_b32 exec_lo, exec_lo, s25
	v_lshrrev_b32_e32 v7, 16, v34
	v_cmp_ne_u16_sdwa s5, v7, v8 src0_sel:BYTE_0 src1_sel:DWORD
	s_and_saveexec_b32 s25, s5
	s_cbranch_execz .LBB308_267
; %bb.260:                              ;   in Loop: Header=BB308_16 Depth=1
	v_cmp_ne_u16_sdwa s5, v7, v68 src0_sel:BYTE_0 src1_sel:DWORD
	v_mov_b32_e32 v57, 0x8000
	s_and_saveexec_b32 s26, s5
	s_cbranch_execz .LBB308_266
; %bb.261:                              ;   in Loop: Header=BB308_16 Depth=1
	v_bfe_u32 v2, v34, 16, 7
	v_mov_b32_e32 v57, 0x7c01
	s_mov_b32 s27, exec_lo
	v_cmpx_ne_u32_e32 0x7f, v2
	s_cbranch_execz .LBB308_265
; %bb.262:                              ;   in Loop: Header=BB308_16 Depth=1
	v_and_b32_e32 v0, 7, v7
	v_lshrrev_b32_e32 v1, 3, v2
	s_mov_b32 s28, exec_lo
	v_cmpx_gt_u32_e32 8, v2
; %bb.263:                              ;   in Loop: Header=BB308_16 Depth=1
	v_ffbh_u32_e32 v0, v0
	v_min_u32_e32 v2, 32, v0
	v_subrev_nc_u32_e32 v0, 28, v2
	v_lshlrev_b64 v[0:1], v0, v[7:8]
	v_sub_nc_u32_e32 v1, 29, v2
	v_and_b32_e32 v0, 7, v0
; %bb.264:                              ;   in Loop: Header=BB308_16 Depth=1
	s_or_b32 exec_lo, exec_lo, s28
	v_lshlrev_b32_e32 v2, 8, v7
	v_lshl_add_u32 v1, v1, 10, 0x2000
	v_lshlrev_b32_e32 v0, 7, v0
	v_and_b32_e32 v2, 0x8000, v2
	v_and_b32_e32 v1, 0xfc00, v1
	v_or3_b32 v57, v2, v1, v0
.LBB308_265:                            ;   in Loop: Header=BB308_16 Depth=1
	s_or_b32 exec_lo, exec_lo, s27
.LBB308_266:                            ;   in Loop: Header=BB308_16 Depth=1
	s_or_b32 exec_lo, exec_lo, s26
.LBB308_267:                            ;   in Loop: Header=BB308_16 Depth=1
	s_or_b32 exec_lo, exec_lo, s25
	v_mov_b32_e32 v60, 0
	v_mov_b32_e32 v59, 0
	s_mov_b32 s25, exec_lo
	v_cmpx_lt_u64_e64 s[20:21], v[33:34]
	s_cbranch_execz .LBB308_275
; %bb.268:                              ;   in Loop: Header=BB308_16 Depth=1
	v_lshrrev_b32_e32 v7, 24, v34
	v_bfrev_b32_e32 v59, 1
	s_mov_b32 s26, exec_lo
	v_cmpx_ne_u32_e32 0x80, v7
	s_cbranch_execz .LBB308_274
; %bb.269:                              ;   in Loop: Header=BB308_16 Depth=1
	v_and_b32_e32 v2, 0x7f, v7
	v_mov_b32_e32 v59, 0x7c010000
	s_mov_b32 s27, exec_lo
	v_cmpx_ne_u32_e32 0x7f, v2
	s_cbranch_execz .LBB308_273
; %bb.270:                              ;   in Loop: Header=BB308_16 Depth=1
	v_and_b32_e32 v0, 7, v7
	v_lshrrev_b32_e32 v1, 3, v2
	s_mov_b32 s28, exec_lo
	v_cmpx_gt_u32_e32 8, v2
; %bb.271:                              ;   in Loop: Header=BB308_16 Depth=1
	v_ffbh_u32_e32 v0, v0
	v_min_u32_e32 v2, 32, v0
	v_subrev_nc_u32_e32 v0, 28, v2
	v_lshlrev_b64 v[0:1], v0, v[7:8]
	v_sub_nc_u32_e32 v1, 29, v2
	v_and_b32_e32 v0, 7, v0
; %bb.272:                              ;   in Loop: Header=BB308_16 Depth=1
	s_or_b32 exec_lo, exec_lo, s28
	v_lshlrev_b32_e32 v2, 8, v7
	v_lshl_add_u32 v1, v1, 10, 0x2000
	v_lshlrev_b32_e32 v0, 23, v0
	v_and_or_b32 v1, 0x8000, v2, v1
	v_lshl_or_b32 v59, v1, 16, v0
.LBB308_273:                            ;   in Loop: Header=BB308_16 Depth=1
	s_or_b32 exec_lo, exec_lo, s27
.LBB308_274:                            ;   in Loop: Header=BB308_16 Depth=1
	s_or_b32 exec_lo, exec_lo, s26
.LBB308_275:                            ;   in Loop: Header=BB308_16 Depth=1
	s_or_b32 exec_lo, exec_lo, s25
	flat_load_dwordx2 v[33:34], v[31:32] offset:1024
	s_waitcnt vmcnt(0) lgkmcnt(0)
	v_cmp_ne_u16_sdwa s5, v33, v8 src0_sel:BYTE_0 src1_sel:DWORD
	s_and_saveexec_b32 s25, s5
	s_cbranch_execz .LBB308_283
; %bb.276:                              ;   in Loop: Header=BB308_16 Depth=1
	v_cmp_ne_u16_sdwa s5, v33, v68 src0_sel:BYTE_0 src1_sel:DWORD
	v_mov_b32_e32 v60, 0x8000
	s_and_saveexec_b32 s26, s5
	s_cbranch_execz .LBB308_282
; %bb.277:                              ;   in Loop: Header=BB308_16 Depth=1
	v_and_b32_e32 v2, 0x7f, v33
	v_mov_b32_e32 v60, 0x7c01
	s_mov_b32 s27, exec_lo
	v_cmpx_ne_u32_e32 0x7f, v2
	s_cbranch_execz .LBB308_281
; %bb.278:                              ;   in Loop: Header=BB308_16 Depth=1
	v_and_b32_e32 v0, 7, v33
	v_lshrrev_b32_e32 v1, 3, v2
	s_mov_b32 s28, exec_lo
	v_cmpx_gt_u32_e32 8, v2
; %bb.279:                              ;   in Loop: Header=BB308_16 Depth=1
	v_ffbh_u32_e32 v0, v0
	v_min_u32_e32 v2, 32, v0
	v_subrev_nc_u32_e32 v0, 28, v2
	v_lshlrev_b64 v[0:1], v0, v[33:34]
	v_sub_nc_u32_e32 v1, 29, v2
	v_and_b32_e32 v0, 7, v0
; %bb.280:                              ;   in Loop: Header=BB308_16 Depth=1
	s_or_b32 exec_lo, exec_lo, s28
	v_lshlrev_b32_e32 v2, 8, v33
	v_lshl_add_u32 v1, v1, 10, 0x2000
	v_lshlrev_b32_e32 v0, 7, v0
	v_and_b32_e32 v2, 0x8000, v2
	v_and_b32_e32 v1, 0xfc00, v1
	v_or3_b32 v60, v2, v1, v0
.LBB308_281:                            ;   in Loop: Header=BB308_16 Depth=1
	s_or_b32 exec_lo, exec_lo, s27
.LBB308_282:                            ;   in Loop: Header=BB308_16 Depth=1
	s_or_b32 exec_lo, exec_lo, s26
.LBB308_283:                            ;   in Loop: Header=BB308_16 Depth=1
	s_or_b32 exec_lo, exec_lo, s25
	v_lshrrev_b16 v7, 8, v33
	v_mov_b32_e32 v62, 0
	v_mov_b32_e32 v61, 0
	s_mov_b32 s25, exec_lo
	v_cmpx_ne_u16_e32 0, v7
	s_cbranch_execz .LBB308_291
; %bb.284:                              ;   in Loop: Header=BB308_16 Depth=1
	v_bfrev_b32_e32 v61, 1
	s_mov_b32 s26, exec_lo
	v_cmpx_ne_u16_e32 0x80, v7
	s_cbranch_execz .LBB308_290
; %bb.285:                              ;   in Loop: Header=BB308_16 Depth=1
	v_mov_b32_e32 v0, 0x7f
	v_mov_b32_e32 v61, 0x7c010000
	s_mov_b32 s27, exec_lo
	v_and_b32_sdwa v2, v7, v0 dst_sel:DWORD dst_unused:UNUSED_PAD src0_sel:WORD_0 src1_sel:DWORD
	v_cmpx_ne_u32_e32 0x7f, v2
	s_cbranch_execz .LBB308_289
; %bb.286:                              ;   in Loop: Header=BB308_16 Depth=1
	v_mov_b32_e32 v0, 7
	v_lshrrev_b32_e32 v1, 3, v2
	s_mov_b32 s28, exec_lo
	v_and_b32_sdwa v0, v7, v0 dst_sel:DWORD dst_unused:UNUSED_PAD src0_sel:WORD_0 src1_sel:DWORD
	v_cmpx_gt_u32_e32 8, v2
; %bb.287:                              ;   in Loop: Header=BB308_16 Depth=1
	v_ffbh_u32_e32 v0, v0
	v_min_u32_e32 v2, 32, v0
	v_subrev_nc_u32_e32 v0, 28, v2
	v_lshlrev_b64 v[0:1], v0, v[7:8]
	v_sub_nc_u32_e32 v1, 29, v2
	v_and_b32_e32 v0, 7, v0
; %bb.288:                              ;   in Loop: Header=BB308_16 Depth=1
	s_or_b32 exec_lo, exec_lo, s28
	v_mov_b32_e32 v2, 8
	v_lshl_add_u32 v1, v1, 10, 0x2000
	v_lshlrev_b32_e32 v0, 23, v0
	v_lshlrev_b32_sdwa v2, v2, v7 dst_sel:DWORD dst_unused:UNUSED_PAD src0_sel:DWORD src1_sel:WORD_0
	v_and_or_b32 v1, 0x8000, v2, v1
	v_lshl_or_b32 v61, v1, 16, v0
.LBB308_289:                            ;   in Loop: Header=BB308_16 Depth=1
	s_or_b32 exec_lo, exec_lo, s27
.LBB308_290:                            ;   in Loop: Header=BB308_16 Depth=1
	s_or_b32 exec_lo, exec_lo, s26
.LBB308_291:                            ;   in Loop: Header=BB308_16 Depth=1
	s_or_b32 exec_lo, exec_lo, s25
	v_lshrrev_b32_e32 v7, 16, v33
	v_cmp_ne_u16_sdwa s5, v7, v8 src0_sel:BYTE_0 src1_sel:DWORD
	s_and_saveexec_b32 s25, s5
	s_cbranch_execz .LBB308_299
; %bb.292:                              ;   in Loop: Header=BB308_16 Depth=1
	v_cmp_ne_u16_sdwa s5, v7, v68 src0_sel:BYTE_0 src1_sel:DWORD
	v_mov_b32_e32 v62, 0x8000
	s_and_saveexec_b32 s26, s5
	s_cbranch_execz .LBB308_298
; %bb.293:                              ;   in Loop: Header=BB308_16 Depth=1
	v_bfe_u32 v2, v33, 16, 7
	v_mov_b32_e32 v62, 0x7c01
	s_mov_b32 s27, exec_lo
	v_cmpx_ne_u32_e32 0x7f, v2
	s_cbranch_execz .LBB308_297
; %bb.294:                              ;   in Loop: Header=BB308_16 Depth=1
	v_and_b32_e32 v0, 7, v7
	v_lshrrev_b32_e32 v1, 3, v2
	s_mov_b32 s28, exec_lo
	v_cmpx_gt_u32_e32 8, v2
; %bb.295:                              ;   in Loop: Header=BB308_16 Depth=1
	v_ffbh_u32_e32 v0, v0
	v_min_u32_e32 v2, 32, v0
	v_subrev_nc_u32_e32 v0, 28, v2
	v_lshlrev_b64 v[0:1], v0, v[7:8]
	v_sub_nc_u32_e32 v1, 29, v2
	v_and_b32_e32 v0, 7, v0
; %bb.296:                              ;   in Loop: Header=BB308_16 Depth=1
	s_or_b32 exec_lo, exec_lo, s28
	v_lshlrev_b32_e32 v2, 8, v7
	v_lshl_add_u32 v1, v1, 10, 0x2000
	v_lshlrev_b32_e32 v0, 7, v0
	v_and_b32_e32 v2, 0x8000, v2
	v_and_b32_e32 v1, 0xfc00, v1
	v_or3_b32 v62, v2, v1, v0
.LBB308_297:                            ;   in Loop: Header=BB308_16 Depth=1
	s_or_b32 exec_lo, exec_lo, s27
.LBB308_298:                            ;   in Loop: Header=BB308_16 Depth=1
	s_or_b32 exec_lo, exec_lo, s26
.LBB308_299:                            ;   in Loop: Header=BB308_16 Depth=1
	s_or_b32 exec_lo, exec_lo, s25
	v_mov_b32_e32 v63, 0
	v_mov_b32_e32 v72, 0
	s_mov_b32 s25, exec_lo
	v_cmpx_lt_u32_e32 0xffffff, v33
	s_cbranch_execz .LBB308_307
; %bb.300:                              ;   in Loop: Header=BB308_16 Depth=1
	v_lshrrev_b32_e32 v7, 24, v33
	v_bfrev_b32_e32 v72, 1
	s_mov_b32 s26, exec_lo
	v_cmpx_ne_u32_e32 0x80, v7
	s_cbranch_execz .LBB308_306
; %bb.301:                              ;   in Loop: Header=BB308_16 Depth=1
	v_and_b32_e32 v2, 0x7f, v7
	v_mov_b32_e32 v72, 0x7c010000
	s_mov_b32 s27, exec_lo
	v_cmpx_ne_u32_e32 0x7f, v2
	s_cbranch_execz .LBB308_305
; %bb.302:                              ;   in Loop: Header=BB308_16 Depth=1
	v_and_b32_e32 v0, 7, v7
	v_lshrrev_b32_e32 v1, 3, v2
	s_mov_b32 s28, exec_lo
	v_cmpx_gt_u32_e32 8, v2
; %bb.303:                              ;   in Loop: Header=BB308_16 Depth=1
	v_ffbh_u32_e32 v0, v0
	v_min_u32_e32 v2, 32, v0
	v_subrev_nc_u32_e32 v0, 28, v2
	v_lshlrev_b64 v[0:1], v0, v[7:8]
	v_sub_nc_u32_e32 v1, 29, v2
	v_and_b32_e32 v0, 7, v0
; %bb.304:                              ;   in Loop: Header=BB308_16 Depth=1
	s_or_b32 exec_lo, exec_lo, s28
	v_lshlrev_b32_e32 v2, 8, v7
	v_lshl_add_u32 v1, v1, 10, 0x2000
	v_lshlrev_b32_e32 v0, 23, v0
	v_and_or_b32 v1, 0x8000, v2, v1
	v_lshl_or_b32 v72, v1, 16, v0
.LBB308_305:                            ;   in Loop: Header=BB308_16 Depth=1
	s_or_b32 exec_lo, exec_lo, s27
.LBB308_306:                            ;   in Loop: Header=BB308_16 Depth=1
	s_or_b32 exec_lo, exec_lo, s26
.LBB308_307:                            ;   in Loop: Header=BB308_16 Depth=1
	s_or_b32 exec_lo, exec_lo, s25
	v_mov_b32_e32 v7, v34
	v_cmp_ne_u16_sdwa s5, v34, v8 src0_sel:BYTE_0 src1_sel:DWORD
	s_and_saveexec_b32 s25, s5
	s_cbranch_execz .LBB308_315
; %bb.308:                              ;   in Loop: Header=BB308_16 Depth=1
	v_cmp_ne_u16_sdwa s5, v34, v68 src0_sel:BYTE_0 src1_sel:DWORD
	v_mov_b32_e32 v63, 0x8000
	s_and_saveexec_b32 s26, s5
	s_cbranch_execz .LBB308_314
; %bb.309:                              ;   in Loop: Header=BB308_16 Depth=1
	v_and_b32_e32 v2, 0x7f, v34
	v_mov_b32_e32 v63, 0x7c01
	s_mov_b32 s27, exec_lo
	v_cmpx_ne_u32_e32 0x7f, v2
	s_cbranch_execz .LBB308_313
; %bb.310:                              ;   in Loop: Header=BB308_16 Depth=1
	v_and_b32_e32 v0, 7, v34
	v_lshrrev_b32_e32 v1, 3, v2
	s_mov_b32 s28, exec_lo
	v_cmpx_gt_u32_e32 8, v2
; %bb.311:                              ;   in Loop: Header=BB308_16 Depth=1
	v_ffbh_u32_e32 v0, v0
	v_min_u32_e32 v2, 32, v0
	v_subrev_nc_u32_e32 v0, 28, v2
	v_lshlrev_b64 v[0:1], v0, v[7:8]
	v_sub_nc_u32_e32 v1, 29, v2
	v_and_b32_e32 v0, 7, v0
; %bb.312:                              ;   in Loop: Header=BB308_16 Depth=1
	s_or_b32 exec_lo, exec_lo, s28
	v_lshlrev_b32_e32 v2, 8, v34
	v_lshl_add_u32 v1, v1, 10, 0x2000
	v_lshlrev_b32_e32 v0, 7, v0
	v_and_b32_e32 v2, 0x8000, v2
	v_and_b32_e32 v1, 0xfc00, v1
	v_or3_b32 v63, v2, v1, v0
.LBB308_313:                            ;   in Loop: Header=BB308_16 Depth=1
	s_or_b32 exec_lo, exec_lo, s27
.LBB308_314:                            ;   in Loop: Header=BB308_16 Depth=1
	s_or_b32 exec_lo, exec_lo, s26
.LBB308_315:                            ;   in Loop: Header=BB308_16 Depth=1
	s_or_b32 exec_lo, exec_lo, s25
	v_lshrrev_b16 v7, 8, v7
	v_mov_b32_e32 v73, 0
	v_mov_b32_e32 v74, 0
	s_mov_b32 s25, exec_lo
	v_cmpx_ne_u16_e32 0, v7
	s_cbranch_execz .LBB308_323
; %bb.316:                              ;   in Loop: Header=BB308_16 Depth=1
	v_bfrev_b32_e32 v74, 1
	s_mov_b32 s26, exec_lo
	v_cmpx_ne_u16_e32 0x80, v7
	s_cbranch_execz .LBB308_322
; %bb.317:                              ;   in Loop: Header=BB308_16 Depth=1
	v_mov_b32_e32 v0, 0x7f
	v_mov_b32_e32 v74, 0x7c010000
	s_mov_b32 s27, exec_lo
	v_and_b32_sdwa v2, v7, v0 dst_sel:DWORD dst_unused:UNUSED_PAD src0_sel:WORD_0 src1_sel:DWORD
	v_cmpx_ne_u32_e32 0x7f, v2
	s_cbranch_execz .LBB308_321
; %bb.318:                              ;   in Loop: Header=BB308_16 Depth=1
	v_mov_b32_e32 v0, 7
	v_lshrrev_b32_e32 v1, 3, v2
	s_mov_b32 s28, exec_lo
	v_and_b32_sdwa v0, v7, v0 dst_sel:DWORD dst_unused:UNUSED_PAD src0_sel:WORD_0 src1_sel:DWORD
	v_cmpx_gt_u32_e32 8, v2
; %bb.319:                              ;   in Loop: Header=BB308_16 Depth=1
	v_ffbh_u32_e32 v0, v0
	v_min_u32_e32 v2, 32, v0
	v_subrev_nc_u32_e32 v0, 28, v2
	v_lshlrev_b64 v[0:1], v0, v[7:8]
	v_sub_nc_u32_e32 v1, 29, v2
	v_and_b32_e32 v0, 7, v0
; %bb.320:                              ;   in Loop: Header=BB308_16 Depth=1
	s_or_b32 exec_lo, exec_lo, s28
	v_mov_b32_e32 v2, 8
	v_lshl_add_u32 v1, v1, 10, 0x2000
	v_lshlrev_b32_e32 v0, 23, v0
	v_lshlrev_b32_sdwa v2, v2, v7 dst_sel:DWORD dst_unused:UNUSED_PAD src0_sel:DWORD src1_sel:WORD_0
	v_and_or_b32 v1, 0x8000, v2, v1
	v_lshl_or_b32 v74, v1, 16, v0
.LBB308_321:                            ;   in Loop: Header=BB308_16 Depth=1
	s_or_b32 exec_lo, exec_lo, s27
.LBB308_322:                            ;   in Loop: Header=BB308_16 Depth=1
	s_or_b32 exec_lo, exec_lo, s26
.LBB308_323:                            ;   in Loop: Header=BB308_16 Depth=1
	s_or_b32 exec_lo, exec_lo, s25
	v_lshrrev_b32_e32 v7, 16, v34
	v_cmp_ne_u16_sdwa s5, v7, v8 src0_sel:BYTE_0 src1_sel:DWORD
	s_and_saveexec_b32 s25, s5
	s_cbranch_execz .LBB308_331
; %bb.324:                              ;   in Loop: Header=BB308_16 Depth=1
	v_cmp_ne_u16_sdwa s5, v7, v68 src0_sel:BYTE_0 src1_sel:DWORD
	v_mov_b32_e32 v73, 0x8000
	s_and_saveexec_b32 s26, s5
	s_cbranch_execz .LBB308_330
; %bb.325:                              ;   in Loop: Header=BB308_16 Depth=1
	v_bfe_u32 v2, v34, 16, 7
	v_mov_b32_e32 v73, 0x7c01
	s_mov_b32 s27, exec_lo
	v_cmpx_ne_u32_e32 0x7f, v2
	s_cbranch_execz .LBB308_329
; %bb.326:                              ;   in Loop: Header=BB308_16 Depth=1
	v_and_b32_e32 v0, 7, v7
	v_lshrrev_b32_e32 v1, 3, v2
	s_mov_b32 s28, exec_lo
	v_cmpx_gt_u32_e32 8, v2
; %bb.327:                              ;   in Loop: Header=BB308_16 Depth=1
	v_ffbh_u32_e32 v0, v0
	v_min_u32_e32 v2, 32, v0
	v_subrev_nc_u32_e32 v0, 28, v2
	v_lshlrev_b64 v[0:1], v0, v[7:8]
	v_sub_nc_u32_e32 v1, 29, v2
	v_and_b32_e32 v0, 7, v0
; %bb.328:                              ;   in Loop: Header=BB308_16 Depth=1
	s_or_b32 exec_lo, exec_lo, s28
	v_lshlrev_b32_e32 v2, 8, v7
	v_lshl_add_u32 v1, v1, 10, 0x2000
	v_lshlrev_b32_e32 v0, 7, v0
	v_and_b32_e32 v2, 0x8000, v2
	v_and_b32_e32 v1, 0xfc00, v1
	v_or3_b32 v73, v2, v1, v0
.LBB308_329:                            ;   in Loop: Header=BB308_16 Depth=1
	s_or_b32 exec_lo, exec_lo, s27
.LBB308_330:                            ;   in Loop: Header=BB308_16 Depth=1
	s_or_b32 exec_lo, exec_lo, s26
.LBB308_331:                            ;   in Loop: Header=BB308_16 Depth=1
	s_or_b32 exec_lo, exec_lo, s25
	v_mov_b32_e32 v76, 0
	v_mov_b32_e32 v75, 0
	s_mov_b32 s25, exec_lo
	v_cmpx_lt_u64_e64 s[20:21], v[33:34]
	s_cbranch_execz .LBB308_339
; %bb.332:                              ;   in Loop: Header=BB308_16 Depth=1
	v_lshrrev_b32_e32 v7, 24, v34
	v_bfrev_b32_e32 v75, 1
	s_mov_b32 s26, exec_lo
	v_cmpx_ne_u32_e32 0x80, v7
	s_cbranch_execz .LBB308_338
; %bb.333:                              ;   in Loop: Header=BB308_16 Depth=1
	v_and_b32_e32 v2, 0x7f, v7
	v_mov_b32_e32 v75, 0x7c010000
	s_mov_b32 s27, exec_lo
	v_cmpx_ne_u32_e32 0x7f, v2
	s_cbranch_execz .LBB308_337
; %bb.334:                              ;   in Loop: Header=BB308_16 Depth=1
	v_and_b32_e32 v0, 7, v7
	v_lshrrev_b32_e32 v1, 3, v2
	s_mov_b32 s28, exec_lo
	v_cmpx_gt_u32_e32 8, v2
; %bb.335:                              ;   in Loop: Header=BB308_16 Depth=1
	v_ffbh_u32_e32 v0, v0
	v_min_u32_e32 v2, 32, v0
	v_subrev_nc_u32_e32 v0, 28, v2
	v_lshlrev_b64 v[0:1], v0, v[7:8]
	v_sub_nc_u32_e32 v1, 29, v2
	v_and_b32_e32 v0, 7, v0
; %bb.336:                              ;   in Loop: Header=BB308_16 Depth=1
	s_or_b32 exec_lo, exec_lo, s28
	v_lshlrev_b32_e32 v2, 8, v7
	v_lshl_add_u32 v1, v1, 10, 0x2000
	v_lshlrev_b32_e32 v0, 23, v0
	v_and_or_b32 v1, 0x8000, v2, v1
	v_lshl_or_b32 v75, v1, 16, v0
.LBB308_337:                            ;   in Loop: Header=BB308_16 Depth=1
	s_or_b32 exec_lo, exec_lo, s27
.LBB308_338:                            ;   in Loop: Header=BB308_16 Depth=1
	s_or_b32 exec_lo, exec_lo, s26
.LBB308_339:                            ;   in Loop: Header=BB308_16 Depth=1
	s_or_b32 exec_lo, exec_lo, s25
	flat_load_dwordx2 v[33:34], v[31:32] offset:1032
	s_waitcnt vmcnt(0) lgkmcnt(0)
	v_cmp_ne_u16_sdwa s5, v33, v8 src0_sel:BYTE_0 src1_sel:DWORD
	s_and_saveexec_b32 s25, s5
	s_cbranch_execz .LBB308_347
; %bb.340:                              ;   in Loop: Header=BB308_16 Depth=1
	v_cmp_ne_u16_sdwa s5, v33, v68 src0_sel:BYTE_0 src1_sel:DWORD
	v_mov_b32_e32 v76, 0x8000
	s_and_saveexec_b32 s26, s5
	s_cbranch_execz .LBB308_346
; %bb.341:                              ;   in Loop: Header=BB308_16 Depth=1
	v_and_b32_e32 v2, 0x7f, v33
	v_mov_b32_e32 v76, 0x7c01
	s_mov_b32 s27, exec_lo
	v_cmpx_ne_u32_e32 0x7f, v2
	s_cbranch_execz .LBB308_345
; %bb.342:                              ;   in Loop: Header=BB308_16 Depth=1
	v_and_b32_e32 v0, 7, v33
	v_lshrrev_b32_e32 v1, 3, v2
	s_mov_b32 s28, exec_lo
	v_cmpx_gt_u32_e32 8, v2
; %bb.343:                              ;   in Loop: Header=BB308_16 Depth=1
	v_ffbh_u32_e32 v0, v0
	v_min_u32_e32 v2, 32, v0
	v_subrev_nc_u32_e32 v0, 28, v2
	v_lshlrev_b64 v[0:1], v0, v[33:34]
	v_sub_nc_u32_e32 v1, 29, v2
	v_and_b32_e32 v0, 7, v0
; %bb.344:                              ;   in Loop: Header=BB308_16 Depth=1
	s_or_b32 exec_lo, exec_lo, s28
	v_lshlrev_b32_e32 v2, 8, v33
	v_lshl_add_u32 v1, v1, 10, 0x2000
	v_lshlrev_b32_e32 v0, 7, v0
	v_and_b32_e32 v2, 0x8000, v2
	v_and_b32_e32 v1, 0xfc00, v1
	v_or3_b32 v76, v2, v1, v0
.LBB308_345:                            ;   in Loop: Header=BB308_16 Depth=1
	s_or_b32 exec_lo, exec_lo, s27
.LBB308_346:                            ;   in Loop: Header=BB308_16 Depth=1
	s_or_b32 exec_lo, exec_lo, s26
.LBB308_347:                            ;   in Loop: Header=BB308_16 Depth=1
	s_or_b32 exec_lo, exec_lo, s25
	v_lshrrev_b16 v7, 8, v33
	v_mov_b32_e32 v78, 0
	v_mov_b32_e32 v77, 0
	s_mov_b32 s25, exec_lo
	v_cmpx_ne_u16_e32 0, v7
	s_cbranch_execz .LBB308_355
; %bb.348:                              ;   in Loop: Header=BB308_16 Depth=1
	v_bfrev_b32_e32 v77, 1
	s_mov_b32 s26, exec_lo
	v_cmpx_ne_u16_e32 0x80, v7
	s_cbranch_execz .LBB308_354
; %bb.349:                              ;   in Loop: Header=BB308_16 Depth=1
	v_mov_b32_e32 v0, 0x7f
	v_mov_b32_e32 v77, 0x7c010000
	s_mov_b32 s27, exec_lo
	v_and_b32_sdwa v2, v7, v0 dst_sel:DWORD dst_unused:UNUSED_PAD src0_sel:WORD_0 src1_sel:DWORD
	v_cmpx_ne_u32_e32 0x7f, v2
	s_cbranch_execz .LBB308_353
; %bb.350:                              ;   in Loop: Header=BB308_16 Depth=1
	v_mov_b32_e32 v0, 7
	v_lshrrev_b32_e32 v1, 3, v2
	s_mov_b32 s28, exec_lo
	v_and_b32_sdwa v0, v7, v0 dst_sel:DWORD dst_unused:UNUSED_PAD src0_sel:WORD_0 src1_sel:DWORD
	v_cmpx_gt_u32_e32 8, v2
; %bb.351:                              ;   in Loop: Header=BB308_16 Depth=1
	v_ffbh_u32_e32 v0, v0
	v_min_u32_e32 v2, 32, v0
	v_subrev_nc_u32_e32 v0, 28, v2
	v_lshlrev_b64 v[0:1], v0, v[7:8]
	v_sub_nc_u32_e32 v1, 29, v2
	v_and_b32_e32 v0, 7, v0
; %bb.352:                              ;   in Loop: Header=BB308_16 Depth=1
	s_or_b32 exec_lo, exec_lo, s28
	v_mov_b32_e32 v2, 8
	v_lshl_add_u32 v1, v1, 10, 0x2000
	v_lshlrev_b32_e32 v0, 23, v0
	v_lshlrev_b32_sdwa v2, v2, v7 dst_sel:DWORD dst_unused:UNUSED_PAD src0_sel:DWORD src1_sel:WORD_0
	v_and_or_b32 v1, 0x8000, v2, v1
	v_lshl_or_b32 v77, v1, 16, v0
.LBB308_353:                            ;   in Loop: Header=BB308_16 Depth=1
	s_or_b32 exec_lo, exec_lo, s27
.LBB308_354:                            ;   in Loop: Header=BB308_16 Depth=1
	s_or_b32 exec_lo, exec_lo, s26
.LBB308_355:                            ;   in Loop: Header=BB308_16 Depth=1
	s_or_b32 exec_lo, exec_lo, s25
	v_lshrrev_b32_e32 v7, 16, v33
	v_cmp_ne_u16_sdwa s5, v7, v8 src0_sel:BYTE_0 src1_sel:DWORD
	s_and_saveexec_b32 s25, s5
	s_cbranch_execz .LBB308_363
; %bb.356:                              ;   in Loop: Header=BB308_16 Depth=1
	v_cmp_ne_u16_sdwa s5, v7, v68 src0_sel:BYTE_0 src1_sel:DWORD
	v_mov_b32_e32 v78, 0x8000
	s_and_saveexec_b32 s26, s5
	s_cbranch_execz .LBB308_362
; %bb.357:                              ;   in Loop: Header=BB308_16 Depth=1
	v_bfe_u32 v2, v33, 16, 7
	v_mov_b32_e32 v78, 0x7c01
	s_mov_b32 s27, exec_lo
	v_cmpx_ne_u32_e32 0x7f, v2
	s_cbranch_execz .LBB308_361
; %bb.358:                              ;   in Loop: Header=BB308_16 Depth=1
	v_and_b32_e32 v0, 7, v7
	v_lshrrev_b32_e32 v1, 3, v2
	s_mov_b32 s28, exec_lo
	v_cmpx_gt_u32_e32 8, v2
; %bb.359:                              ;   in Loop: Header=BB308_16 Depth=1
	v_ffbh_u32_e32 v0, v0
	v_min_u32_e32 v2, 32, v0
	v_subrev_nc_u32_e32 v0, 28, v2
	v_lshlrev_b64 v[0:1], v0, v[7:8]
	v_sub_nc_u32_e32 v1, 29, v2
	v_and_b32_e32 v0, 7, v0
; %bb.360:                              ;   in Loop: Header=BB308_16 Depth=1
	s_or_b32 exec_lo, exec_lo, s28
	v_lshlrev_b32_e32 v2, 8, v7
	v_lshl_add_u32 v1, v1, 10, 0x2000
	v_lshlrev_b32_e32 v0, 7, v0
	v_and_b32_e32 v2, 0x8000, v2
	v_and_b32_e32 v1, 0xfc00, v1
	v_or3_b32 v78, v2, v1, v0
.LBB308_361:                            ;   in Loop: Header=BB308_16 Depth=1
	s_or_b32 exec_lo, exec_lo, s27
.LBB308_362:                            ;   in Loop: Header=BB308_16 Depth=1
	s_or_b32 exec_lo, exec_lo, s26
.LBB308_363:                            ;   in Loop: Header=BB308_16 Depth=1
	s_or_b32 exec_lo, exec_lo, s25
	v_mov_b32_e32 v79, 0
	v_mov_b32_e32 v88, 0
	s_mov_b32 s25, exec_lo
	v_cmpx_lt_u32_e32 0xffffff, v33
	s_cbranch_execz .LBB308_371
; %bb.364:                              ;   in Loop: Header=BB308_16 Depth=1
	v_lshrrev_b32_e32 v7, 24, v33
	v_bfrev_b32_e32 v88, 1
	s_mov_b32 s26, exec_lo
	v_cmpx_ne_u32_e32 0x80, v7
	s_cbranch_execz .LBB308_370
; %bb.365:                              ;   in Loop: Header=BB308_16 Depth=1
	v_and_b32_e32 v2, 0x7f, v7
	v_mov_b32_e32 v88, 0x7c010000
	s_mov_b32 s27, exec_lo
	v_cmpx_ne_u32_e32 0x7f, v2
	s_cbranch_execz .LBB308_369
; %bb.366:                              ;   in Loop: Header=BB308_16 Depth=1
	v_and_b32_e32 v0, 7, v7
	v_lshrrev_b32_e32 v1, 3, v2
	s_mov_b32 s28, exec_lo
	v_cmpx_gt_u32_e32 8, v2
; %bb.367:                              ;   in Loop: Header=BB308_16 Depth=1
	v_ffbh_u32_e32 v0, v0
	v_min_u32_e32 v2, 32, v0
	v_subrev_nc_u32_e32 v0, 28, v2
	v_lshlrev_b64 v[0:1], v0, v[7:8]
	v_sub_nc_u32_e32 v1, 29, v2
	v_and_b32_e32 v0, 7, v0
; %bb.368:                              ;   in Loop: Header=BB308_16 Depth=1
	s_or_b32 exec_lo, exec_lo, s28
	v_lshlrev_b32_e32 v2, 8, v7
	v_lshl_add_u32 v1, v1, 10, 0x2000
	v_lshlrev_b32_e32 v0, 23, v0
	v_and_or_b32 v1, 0x8000, v2, v1
	v_lshl_or_b32 v88, v1, 16, v0
.LBB308_369:                            ;   in Loop: Header=BB308_16 Depth=1
	s_or_b32 exec_lo, exec_lo, s27
.LBB308_370:                            ;   in Loop: Header=BB308_16 Depth=1
	s_or_b32 exec_lo, exec_lo, s26
.LBB308_371:                            ;   in Loop: Header=BB308_16 Depth=1
	s_or_b32 exec_lo, exec_lo, s25
	v_mov_b32_e32 v7, v34
	v_cmp_ne_u16_sdwa s5, v34, v8 src0_sel:BYTE_0 src1_sel:DWORD
	s_and_saveexec_b32 s25, s5
	s_cbranch_execz .LBB308_379
; %bb.372:                              ;   in Loop: Header=BB308_16 Depth=1
	v_cmp_ne_u16_sdwa s5, v34, v68 src0_sel:BYTE_0 src1_sel:DWORD
	v_mov_b32_e32 v79, 0x8000
	s_and_saveexec_b32 s26, s5
	s_cbranch_execz .LBB308_378
; %bb.373:                              ;   in Loop: Header=BB308_16 Depth=1
	v_and_b32_e32 v2, 0x7f, v34
	v_mov_b32_e32 v79, 0x7c01
	s_mov_b32 s27, exec_lo
	v_cmpx_ne_u32_e32 0x7f, v2
	s_cbranch_execz .LBB308_377
; %bb.374:                              ;   in Loop: Header=BB308_16 Depth=1
	v_and_b32_e32 v0, 7, v34
	v_lshrrev_b32_e32 v1, 3, v2
	s_mov_b32 s28, exec_lo
	v_cmpx_gt_u32_e32 8, v2
; %bb.375:                              ;   in Loop: Header=BB308_16 Depth=1
	v_ffbh_u32_e32 v0, v0
	v_min_u32_e32 v2, 32, v0
	v_subrev_nc_u32_e32 v0, 28, v2
	v_lshlrev_b64 v[0:1], v0, v[7:8]
	v_sub_nc_u32_e32 v1, 29, v2
	v_and_b32_e32 v0, 7, v0
; %bb.376:                              ;   in Loop: Header=BB308_16 Depth=1
	s_or_b32 exec_lo, exec_lo, s28
	v_lshlrev_b32_e32 v2, 8, v34
	v_lshl_add_u32 v1, v1, 10, 0x2000
	v_lshlrev_b32_e32 v0, 7, v0
	v_and_b32_e32 v2, 0x8000, v2
	v_and_b32_e32 v1, 0xfc00, v1
	v_or3_b32 v79, v2, v1, v0
.LBB308_377:                            ;   in Loop: Header=BB308_16 Depth=1
	s_or_b32 exec_lo, exec_lo, s27
.LBB308_378:                            ;   in Loop: Header=BB308_16 Depth=1
	s_or_b32 exec_lo, exec_lo, s26
.LBB308_379:                            ;   in Loop: Header=BB308_16 Depth=1
	s_or_b32 exec_lo, exec_lo, s25
	v_lshrrev_b16 v7, 8, v7
	v_mov_b32_e32 v89, 0
	v_mov_b32_e32 v90, 0
	s_mov_b32 s25, exec_lo
	v_cmpx_ne_u16_e32 0, v7
	s_cbranch_execz .LBB308_387
; %bb.380:                              ;   in Loop: Header=BB308_16 Depth=1
	v_bfrev_b32_e32 v90, 1
	s_mov_b32 s26, exec_lo
	v_cmpx_ne_u16_e32 0x80, v7
	s_cbranch_execz .LBB308_386
; %bb.381:                              ;   in Loop: Header=BB308_16 Depth=1
	v_mov_b32_e32 v0, 0x7f
	v_mov_b32_e32 v90, 0x7c010000
	s_mov_b32 s27, exec_lo
	v_and_b32_sdwa v2, v7, v0 dst_sel:DWORD dst_unused:UNUSED_PAD src0_sel:WORD_0 src1_sel:DWORD
	v_cmpx_ne_u32_e32 0x7f, v2
	s_cbranch_execz .LBB308_385
; %bb.382:                              ;   in Loop: Header=BB308_16 Depth=1
	v_mov_b32_e32 v0, 7
	v_lshrrev_b32_e32 v1, 3, v2
	s_mov_b32 s28, exec_lo
	v_and_b32_sdwa v0, v7, v0 dst_sel:DWORD dst_unused:UNUSED_PAD src0_sel:WORD_0 src1_sel:DWORD
	v_cmpx_gt_u32_e32 8, v2
; %bb.383:                              ;   in Loop: Header=BB308_16 Depth=1
	v_ffbh_u32_e32 v0, v0
	v_min_u32_e32 v2, 32, v0
	v_subrev_nc_u32_e32 v0, 28, v2
	v_lshlrev_b64 v[0:1], v0, v[7:8]
	v_sub_nc_u32_e32 v1, 29, v2
	v_and_b32_e32 v0, 7, v0
; %bb.384:                              ;   in Loop: Header=BB308_16 Depth=1
	s_or_b32 exec_lo, exec_lo, s28
	v_mov_b32_e32 v2, 8
	v_lshl_add_u32 v1, v1, 10, 0x2000
	v_lshlrev_b32_e32 v0, 23, v0
	v_lshlrev_b32_sdwa v2, v2, v7 dst_sel:DWORD dst_unused:UNUSED_PAD src0_sel:DWORD src1_sel:WORD_0
	v_and_or_b32 v1, 0x8000, v2, v1
	v_lshl_or_b32 v90, v1, 16, v0
.LBB308_385:                            ;   in Loop: Header=BB308_16 Depth=1
	s_or_b32 exec_lo, exec_lo, s27
.LBB308_386:                            ;   in Loop: Header=BB308_16 Depth=1
	s_or_b32 exec_lo, exec_lo, s26
.LBB308_387:                            ;   in Loop: Header=BB308_16 Depth=1
	s_or_b32 exec_lo, exec_lo, s25
	v_lshrrev_b32_e32 v7, 16, v34
	v_cmp_ne_u16_sdwa s5, v7, v8 src0_sel:BYTE_0 src1_sel:DWORD
	s_and_saveexec_b32 s25, s5
	s_cbranch_execz .LBB308_395
; %bb.388:                              ;   in Loop: Header=BB308_16 Depth=1
	v_cmp_ne_u16_sdwa s5, v7, v68 src0_sel:BYTE_0 src1_sel:DWORD
	v_mov_b32_e32 v89, 0x8000
	s_and_saveexec_b32 s26, s5
	s_cbranch_execz .LBB308_394
; %bb.389:                              ;   in Loop: Header=BB308_16 Depth=1
	v_bfe_u32 v2, v34, 16, 7
	v_mov_b32_e32 v89, 0x7c01
	s_mov_b32 s27, exec_lo
	v_cmpx_ne_u32_e32 0x7f, v2
	s_cbranch_execz .LBB308_393
; %bb.390:                              ;   in Loop: Header=BB308_16 Depth=1
	v_and_b32_e32 v0, 7, v7
	v_lshrrev_b32_e32 v1, 3, v2
	s_mov_b32 s28, exec_lo
	v_cmpx_gt_u32_e32 8, v2
; %bb.391:                              ;   in Loop: Header=BB308_16 Depth=1
	v_ffbh_u32_e32 v0, v0
	v_min_u32_e32 v2, 32, v0
	v_subrev_nc_u32_e32 v0, 28, v2
	v_lshlrev_b64 v[0:1], v0, v[7:8]
	v_sub_nc_u32_e32 v1, 29, v2
	v_and_b32_e32 v0, 7, v0
; %bb.392:                              ;   in Loop: Header=BB308_16 Depth=1
	s_or_b32 exec_lo, exec_lo, s28
	v_lshlrev_b32_e32 v2, 8, v7
	v_lshl_add_u32 v1, v1, 10, 0x2000
	v_lshlrev_b32_e32 v0, 7, v0
	v_and_b32_e32 v2, 0x8000, v2
	v_and_b32_e32 v1, 0xfc00, v1
	v_or3_b32 v89, v2, v1, v0
.LBB308_393:                            ;   in Loop: Header=BB308_16 Depth=1
	s_or_b32 exec_lo, exec_lo, s27
.LBB308_394:                            ;   in Loop: Header=BB308_16 Depth=1
	s_or_b32 exec_lo, exec_lo, s26
.LBB308_395:                            ;   in Loop: Header=BB308_16 Depth=1
	s_or_b32 exec_lo, exec_lo, s25
	v_mov_b32_e32 v23, 0
	v_mov_b32_e32 v91, 0
	s_mov_b32 s25, exec_lo
	v_cmpx_lt_u64_e64 s[20:21], v[33:34]
	s_cbranch_execz .LBB308_403
; %bb.396:                              ;   in Loop: Header=BB308_16 Depth=1
	v_lshrrev_b32_e32 v7, 24, v34
	v_bfrev_b32_e32 v91, 1
	s_mov_b32 s26, exec_lo
	v_cmpx_ne_u32_e32 0x80, v7
	s_cbranch_execz .LBB308_402
; %bb.397:                              ;   in Loop: Header=BB308_16 Depth=1
	v_and_b32_e32 v2, 0x7f, v7
	v_mov_b32_e32 v91, 0x7c010000
	s_mov_b32 s27, exec_lo
	v_cmpx_ne_u32_e32 0x7f, v2
	s_cbranch_execz .LBB308_401
; %bb.398:                              ;   in Loop: Header=BB308_16 Depth=1
	v_and_b32_e32 v0, 7, v7
	v_lshrrev_b32_e32 v1, 3, v2
	s_mov_b32 s28, exec_lo
	v_cmpx_gt_u32_e32 8, v2
; %bb.399:                              ;   in Loop: Header=BB308_16 Depth=1
	v_ffbh_u32_e32 v0, v0
	v_min_u32_e32 v2, 32, v0
	v_subrev_nc_u32_e32 v0, 28, v2
	v_lshlrev_b64 v[0:1], v0, v[7:8]
	v_sub_nc_u32_e32 v1, 29, v2
	v_and_b32_e32 v0, 7, v0
; %bb.400:                              ;   in Loop: Header=BB308_16 Depth=1
	s_or_b32 exec_lo, exec_lo, s28
	v_lshlrev_b32_e32 v2, 8, v7
	v_lshl_add_u32 v1, v1, 10, 0x2000
	v_lshlrev_b32_e32 v0, 23, v0
	v_and_or_b32 v1, 0x8000, v2, v1
	v_lshl_or_b32 v91, v1, 16, v0
.LBB308_401:                            ;   in Loop: Header=BB308_16 Depth=1
	s_or_b32 exec_lo, exec_lo, s27
.LBB308_402:                            ;   in Loop: Header=BB308_16 Depth=1
	s_or_b32 exec_lo, exec_lo, s26
.LBB308_403:                            ;   in Loop: Header=BB308_16 Depth=1
	s_or_b32 exec_lo, exec_lo, s25
	flat_load_dwordx2 v[33:34], v[31:32] offset:1536
	s_waitcnt vmcnt(0) lgkmcnt(0)
	v_cmp_ne_u16_sdwa s5, v33, v8 src0_sel:BYTE_0 src1_sel:DWORD
	s_and_saveexec_b32 s25, s5
	s_cbranch_execz .LBB308_411
; %bb.404:                              ;   in Loop: Header=BB308_16 Depth=1
	v_cmp_ne_u16_sdwa s5, v33, v68 src0_sel:BYTE_0 src1_sel:DWORD
	v_mov_b32_e32 v23, 0x8000
	s_and_saveexec_b32 s26, s5
	s_cbranch_execz .LBB308_410
; %bb.405:                              ;   in Loop: Header=BB308_16 Depth=1
	v_and_b32_e32 v2, 0x7f, v33
	v_mov_b32_e32 v23, 0x7c01
	s_mov_b32 s27, exec_lo
	v_cmpx_ne_u32_e32 0x7f, v2
	s_cbranch_execz .LBB308_409
; %bb.406:                              ;   in Loop: Header=BB308_16 Depth=1
	v_and_b32_e32 v0, 7, v33
	v_lshrrev_b32_e32 v1, 3, v2
	s_mov_b32 s28, exec_lo
	v_cmpx_gt_u32_e32 8, v2
; %bb.407:                              ;   in Loop: Header=BB308_16 Depth=1
	v_ffbh_u32_e32 v0, v0
	v_min_u32_e32 v2, 32, v0
	v_subrev_nc_u32_e32 v0, 28, v2
	v_lshlrev_b64 v[0:1], v0, v[33:34]
	v_sub_nc_u32_e32 v1, 29, v2
	v_and_b32_e32 v0, 7, v0
; %bb.408:                              ;   in Loop: Header=BB308_16 Depth=1
	s_or_b32 exec_lo, exec_lo, s28
	v_lshlrev_b32_e32 v2, 8, v33
	v_lshl_add_u32 v1, v1, 10, 0x2000
	v_lshlrev_b32_e32 v0, 7, v0
	v_and_b32_e32 v2, 0x8000, v2
	v_and_b32_e32 v1, 0xfc00, v1
	v_or3_b32 v23, v2, v1, v0
.LBB308_409:                            ;   in Loop: Header=BB308_16 Depth=1
	s_or_b32 exec_lo, exec_lo, s27
.LBB308_410:                            ;   in Loop: Header=BB308_16 Depth=1
	s_or_b32 exec_lo, exec_lo, s26
.LBB308_411:                            ;   in Loop: Header=BB308_16 Depth=1
	s_or_b32 exec_lo, exec_lo, s25
	v_lshrrev_b16 v7, 8, v33
	v_mov_b32_e32 v104, 0
	v_mov_b32_e32 v95, 0
	s_mov_b32 s25, exec_lo
	v_cmpx_ne_u16_e32 0, v7
	s_cbranch_execz .LBB308_419
; %bb.412:                              ;   in Loop: Header=BB308_16 Depth=1
	v_bfrev_b32_e32 v95, 1
	s_mov_b32 s26, exec_lo
	v_cmpx_ne_u16_e32 0x80, v7
	s_cbranch_execz .LBB308_418
; %bb.413:                              ;   in Loop: Header=BB308_16 Depth=1
	v_mov_b32_e32 v0, 0x7f
	v_mov_b32_e32 v95, 0x7c010000
	s_mov_b32 s27, exec_lo
	v_and_b32_sdwa v2, v7, v0 dst_sel:DWORD dst_unused:UNUSED_PAD src0_sel:WORD_0 src1_sel:DWORD
	v_cmpx_ne_u32_e32 0x7f, v2
	s_cbranch_execz .LBB308_417
; %bb.414:                              ;   in Loop: Header=BB308_16 Depth=1
	v_mov_b32_e32 v0, 7
	v_lshrrev_b32_e32 v1, 3, v2
	s_mov_b32 s28, exec_lo
	v_and_b32_sdwa v0, v7, v0 dst_sel:DWORD dst_unused:UNUSED_PAD src0_sel:WORD_0 src1_sel:DWORD
	v_cmpx_gt_u32_e32 8, v2
; %bb.415:                              ;   in Loop: Header=BB308_16 Depth=1
	v_ffbh_u32_e32 v0, v0
	v_min_u32_e32 v2, 32, v0
	v_subrev_nc_u32_e32 v0, 28, v2
	v_lshlrev_b64 v[0:1], v0, v[7:8]
	v_sub_nc_u32_e32 v1, 29, v2
	v_and_b32_e32 v0, 7, v0
; %bb.416:                              ;   in Loop: Header=BB308_16 Depth=1
	s_or_b32 exec_lo, exec_lo, s28
	v_mov_b32_e32 v2, 8
	v_lshl_add_u32 v1, v1, 10, 0x2000
	v_lshlrev_b32_e32 v0, 23, v0
	v_lshlrev_b32_sdwa v2, v2, v7 dst_sel:DWORD dst_unused:UNUSED_PAD src0_sel:DWORD src1_sel:WORD_0
	v_and_or_b32 v1, 0x8000, v2, v1
	v_lshl_or_b32 v95, v1, 16, v0
.LBB308_417:                            ;   in Loop: Header=BB308_16 Depth=1
	s_or_b32 exec_lo, exec_lo, s27
.LBB308_418:                            ;   in Loop: Header=BB308_16 Depth=1
	s_or_b32 exec_lo, exec_lo, s26
.LBB308_419:                            ;   in Loop: Header=BB308_16 Depth=1
	s_or_b32 exec_lo, exec_lo, s25
	v_lshrrev_b32_e32 v7, 16, v33
	v_cmp_ne_u16_sdwa s5, v7, v8 src0_sel:BYTE_0 src1_sel:DWORD
	s_and_saveexec_b32 s25, s5
	s_cbranch_execz .LBB308_427
; %bb.420:                              ;   in Loop: Header=BB308_16 Depth=1
	v_cmp_ne_u16_sdwa s5, v7, v68 src0_sel:BYTE_0 src1_sel:DWORD
	v_mov_b32_e32 v104, 0x8000
	s_and_saveexec_b32 s26, s5
	s_cbranch_execz .LBB308_426
; %bb.421:                              ;   in Loop: Header=BB308_16 Depth=1
	v_bfe_u32 v2, v33, 16, 7
	v_mov_b32_e32 v104, 0x7c01
	s_mov_b32 s27, exec_lo
	v_cmpx_ne_u32_e32 0x7f, v2
	s_cbranch_execz .LBB308_425
; %bb.422:                              ;   in Loop: Header=BB308_16 Depth=1
	v_and_b32_e32 v0, 7, v7
	v_lshrrev_b32_e32 v1, 3, v2
	s_mov_b32 s28, exec_lo
	v_cmpx_gt_u32_e32 8, v2
; %bb.423:                              ;   in Loop: Header=BB308_16 Depth=1
	v_ffbh_u32_e32 v0, v0
	v_min_u32_e32 v2, 32, v0
	v_subrev_nc_u32_e32 v0, 28, v2
	v_lshlrev_b64 v[0:1], v0, v[7:8]
	v_sub_nc_u32_e32 v1, 29, v2
	v_and_b32_e32 v0, 7, v0
; %bb.424:                              ;   in Loop: Header=BB308_16 Depth=1
	s_or_b32 exec_lo, exec_lo, s28
	v_lshlrev_b32_e32 v2, 8, v7
	v_lshl_add_u32 v1, v1, 10, 0x2000
	v_lshlrev_b32_e32 v0, 7, v0
	v_and_b32_e32 v2, 0x8000, v2
	v_and_b32_e32 v1, 0xfc00, v1
	v_or3_b32 v104, v2, v1, v0
.LBB308_425:                            ;   in Loop: Header=BB308_16 Depth=1
	s_or_b32 exec_lo, exec_lo, s27
.LBB308_426:                            ;   in Loop: Header=BB308_16 Depth=1
	s_or_b32 exec_lo, exec_lo, s26
.LBB308_427:                            ;   in Loop: Header=BB308_16 Depth=1
	s_or_b32 exec_lo, exec_lo, s25
	v_mov_b32_e32 v109, 0
	v_mov_b32_e32 v110, 0
	s_mov_b32 s25, exec_lo
	v_cmpx_lt_u32_e32 0xffffff, v33
	s_cbranch_execz .LBB308_435
; %bb.428:                              ;   in Loop: Header=BB308_16 Depth=1
	v_lshrrev_b32_e32 v7, 24, v33
	v_bfrev_b32_e32 v110, 1
	s_mov_b32 s26, exec_lo
	v_cmpx_ne_u32_e32 0x80, v7
	s_cbranch_execz .LBB308_434
; %bb.429:                              ;   in Loop: Header=BB308_16 Depth=1
	v_and_b32_e32 v2, 0x7f, v7
	v_mov_b32_e32 v110, 0x7c010000
	s_mov_b32 s27, exec_lo
	v_cmpx_ne_u32_e32 0x7f, v2
	s_cbranch_execz .LBB308_433
; %bb.430:                              ;   in Loop: Header=BB308_16 Depth=1
	v_and_b32_e32 v0, 7, v7
	v_lshrrev_b32_e32 v1, 3, v2
	s_mov_b32 s28, exec_lo
	v_cmpx_gt_u32_e32 8, v2
; %bb.431:                              ;   in Loop: Header=BB308_16 Depth=1
	v_ffbh_u32_e32 v0, v0
	v_min_u32_e32 v2, 32, v0
	v_subrev_nc_u32_e32 v0, 28, v2
	v_lshlrev_b64 v[0:1], v0, v[7:8]
	v_sub_nc_u32_e32 v1, 29, v2
	v_and_b32_e32 v0, 7, v0
; %bb.432:                              ;   in Loop: Header=BB308_16 Depth=1
	s_or_b32 exec_lo, exec_lo, s28
	v_lshlrev_b32_e32 v2, 8, v7
	v_lshl_add_u32 v1, v1, 10, 0x2000
	v_lshlrev_b32_e32 v0, 23, v0
	v_and_or_b32 v1, 0x8000, v2, v1
	v_lshl_or_b32 v110, v1, 16, v0
.LBB308_433:                            ;   in Loop: Header=BB308_16 Depth=1
	s_or_b32 exec_lo, exec_lo, s27
.LBB308_434:                            ;   in Loop: Header=BB308_16 Depth=1
	s_or_b32 exec_lo, exec_lo, s26
.LBB308_435:                            ;   in Loop: Header=BB308_16 Depth=1
	s_or_b32 exec_lo, exec_lo, s25
	v_mov_b32_e32 v7, v34
	v_cmp_ne_u16_sdwa s5, v34, v8 src0_sel:BYTE_0 src1_sel:DWORD
	s_and_saveexec_b32 s25, s5
	s_cbranch_execz .LBB308_443
; %bb.436:                              ;   in Loop: Header=BB308_16 Depth=1
	v_cmp_ne_u16_sdwa s5, v34, v68 src0_sel:BYTE_0 src1_sel:DWORD
	v_mov_b32_e32 v109, 0x8000
	s_and_saveexec_b32 s26, s5
	s_cbranch_execz .LBB308_442
; %bb.437:                              ;   in Loop: Header=BB308_16 Depth=1
	v_and_b32_e32 v2, 0x7f, v34
	v_mov_b32_e32 v109, 0x7c01
	s_mov_b32 s27, exec_lo
	v_cmpx_ne_u32_e32 0x7f, v2
	s_cbranch_execz .LBB308_441
; %bb.438:                              ;   in Loop: Header=BB308_16 Depth=1
	v_and_b32_e32 v0, 7, v34
	v_lshrrev_b32_e32 v1, 3, v2
	s_mov_b32 s28, exec_lo
	v_cmpx_gt_u32_e32 8, v2
; %bb.439:                              ;   in Loop: Header=BB308_16 Depth=1
	v_ffbh_u32_e32 v0, v0
	v_min_u32_e32 v2, 32, v0
	v_subrev_nc_u32_e32 v0, 28, v2
	v_lshlrev_b64 v[0:1], v0, v[7:8]
	v_sub_nc_u32_e32 v1, 29, v2
	v_and_b32_e32 v0, 7, v0
; %bb.440:                              ;   in Loop: Header=BB308_16 Depth=1
	s_or_b32 exec_lo, exec_lo, s28
	v_lshlrev_b32_e32 v2, 8, v34
	v_lshl_add_u32 v1, v1, 10, 0x2000
	v_lshlrev_b32_e32 v0, 7, v0
	v_and_b32_e32 v2, 0x8000, v2
	v_and_b32_e32 v1, 0xfc00, v1
	v_or3_b32 v109, v2, v1, v0
.LBB308_441:                            ;   in Loop: Header=BB308_16 Depth=1
	s_or_b32 exec_lo, exec_lo, s27
.LBB308_442:                            ;   in Loop: Header=BB308_16 Depth=1
	s_or_b32 exec_lo, exec_lo, s26
.LBB308_443:                            ;   in Loop: Header=BB308_16 Depth=1
	s_or_b32 exec_lo, exec_lo, s25
	v_lshrrev_b16 v7, 8, v7
	v_mov_b32_e32 v123, 0
	v_mov_b32_e32 v124, 0
	s_mov_b32 s25, exec_lo
	v_cmpx_ne_u16_e32 0, v7
	s_cbranch_execz .LBB308_451
; %bb.444:                              ;   in Loop: Header=BB308_16 Depth=1
	v_bfrev_b32_e32 v124, 1
	s_mov_b32 s26, exec_lo
	v_cmpx_ne_u16_e32 0x80, v7
	s_cbranch_execz .LBB308_450
; %bb.445:                              ;   in Loop: Header=BB308_16 Depth=1
	v_mov_b32_e32 v0, 0x7f
	v_mov_b32_e32 v124, 0x7c010000
	s_mov_b32 s27, exec_lo
	v_and_b32_sdwa v2, v7, v0 dst_sel:DWORD dst_unused:UNUSED_PAD src0_sel:WORD_0 src1_sel:DWORD
	v_cmpx_ne_u32_e32 0x7f, v2
	s_cbranch_execz .LBB308_449
; %bb.446:                              ;   in Loop: Header=BB308_16 Depth=1
	v_mov_b32_e32 v0, 7
	v_lshrrev_b32_e32 v1, 3, v2
	s_mov_b32 s28, exec_lo
	v_and_b32_sdwa v0, v7, v0 dst_sel:DWORD dst_unused:UNUSED_PAD src0_sel:WORD_0 src1_sel:DWORD
	v_cmpx_gt_u32_e32 8, v2
; %bb.447:                              ;   in Loop: Header=BB308_16 Depth=1
	v_ffbh_u32_e32 v0, v0
	v_min_u32_e32 v2, 32, v0
	v_subrev_nc_u32_e32 v0, 28, v2
	v_lshlrev_b64 v[0:1], v0, v[7:8]
	v_sub_nc_u32_e32 v1, 29, v2
	v_and_b32_e32 v0, 7, v0
; %bb.448:                              ;   in Loop: Header=BB308_16 Depth=1
	s_or_b32 exec_lo, exec_lo, s28
	v_mov_b32_e32 v2, 8
	v_lshl_add_u32 v1, v1, 10, 0x2000
	v_lshlrev_b32_e32 v0, 23, v0
	v_lshlrev_b32_sdwa v2, v2, v7 dst_sel:DWORD dst_unused:UNUSED_PAD src0_sel:DWORD src1_sel:WORD_0
	v_and_or_b32 v1, 0x8000, v2, v1
	v_lshl_or_b32 v124, v1, 16, v0
.LBB308_449:                            ;   in Loop: Header=BB308_16 Depth=1
	s_or_b32 exec_lo, exec_lo, s27
.LBB308_450:                            ;   in Loop: Header=BB308_16 Depth=1
	s_or_b32 exec_lo, exec_lo, s26
.LBB308_451:                            ;   in Loop: Header=BB308_16 Depth=1
	s_or_b32 exec_lo, exec_lo, s25
	v_lshrrev_b32_e32 v7, 16, v34
	v_cmp_ne_u16_sdwa s5, v7, v8 src0_sel:BYTE_0 src1_sel:DWORD
	s_and_saveexec_b32 s25, s5
	s_cbranch_execz .LBB308_459
; %bb.452:                              ;   in Loop: Header=BB308_16 Depth=1
	v_cmp_ne_u16_sdwa s5, v7, v68 src0_sel:BYTE_0 src1_sel:DWORD
	v_mov_b32_e32 v123, 0x8000
	s_and_saveexec_b32 s26, s5
	s_cbranch_execz .LBB308_458
; %bb.453:                              ;   in Loop: Header=BB308_16 Depth=1
	v_bfe_u32 v2, v34, 16, 7
	v_mov_b32_e32 v123, 0x7c01
	s_mov_b32 s27, exec_lo
	v_cmpx_ne_u32_e32 0x7f, v2
	s_cbranch_execz .LBB308_457
; %bb.454:                              ;   in Loop: Header=BB308_16 Depth=1
	v_and_b32_e32 v0, 7, v7
	v_lshrrev_b32_e32 v1, 3, v2
	s_mov_b32 s28, exec_lo
	v_cmpx_gt_u32_e32 8, v2
; %bb.455:                              ;   in Loop: Header=BB308_16 Depth=1
	v_ffbh_u32_e32 v0, v0
	v_min_u32_e32 v2, 32, v0
	v_subrev_nc_u32_e32 v0, 28, v2
	v_lshlrev_b64 v[0:1], v0, v[7:8]
	v_sub_nc_u32_e32 v1, 29, v2
	v_and_b32_e32 v0, 7, v0
; %bb.456:                              ;   in Loop: Header=BB308_16 Depth=1
	s_or_b32 exec_lo, exec_lo, s28
	v_lshlrev_b32_e32 v2, 8, v7
	v_lshl_add_u32 v1, v1, 10, 0x2000
	v_lshlrev_b32_e32 v0, 7, v0
	v_and_b32_e32 v2, 0x8000, v2
	v_and_b32_e32 v1, 0xfc00, v1
	v_or3_b32 v123, v2, v1, v0
.LBB308_457:                            ;   in Loop: Header=BB308_16 Depth=1
	s_or_b32 exec_lo, exec_lo, s27
.LBB308_458:                            ;   in Loop: Header=BB308_16 Depth=1
	s_or_b32 exec_lo, exec_lo, s26
.LBB308_459:                            ;   in Loop: Header=BB308_16 Depth=1
	s_or_b32 exec_lo, exec_lo, s25
	v_mov_b32_e32 v37, 0
	v_mov_b32_e32 v64, 0
	s_mov_b32 s25, exec_lo
	v_cmpx_lt_u64_e64 s[20:21], v[33:34]
	s_cbranch_execz .LBB308_467
; %bb.460:                              ;   in Loop: Header=BB308_16 Depth=1
	v_lshrrev_b32_e32 v7, 24, v34
	v_bfrev_b32_e32 v64, 1
	s_mov_b32 s26, exec_lo
	v_cmpx_ne_u32_e32 0x80, v7
	s_cbranch_execz .LBB308_466
; %bb.461:                              ;   in Loop: Header=BB308_16 Depth=1
	v_and_b32_e32 v2, 0x7f, v7
	v_mov_b32_e32 v64, 0x7c010000
	s_mov_b32 s27, exec_lo
	v_cmpx_ne_u32_e32 0x7f, v2
	s_cbranch_execz .LBB308_465
; %bb.462:                              ;   in Loop: Header=BB308_16 Depth=1
	v_and_b32_e32 v0, 7, v7
	v_lshrrev_b32_e32 v1, 3, v2
	s_mov_b32 s28, exec_lo
	v_cmpx_gt_u32_e32 8, v2
; %bb.463:                              ;   in Loop: Header=BB308_16 Depth=1
	v_ffbh_u32_e32 v0, v0
	v_min_u32_e32 v2, 32, v0
	v_subrev_nc_u32_e32 v0, 28, v2
	v_lshlrev_b64 v[0:1], v0, v[7:8]
	v_sub_nc_u32_e32 v1, 29, v2
	v_and_b32_e32 v0, 7, v0
; %bb.464:                              ;   in Loop: Header=BB308_16 Depth=1
	s_or_b32 exec_lo, exec_lo, s28
	v_lshlrev_b32_e32 v2, 8, v7
	v_lshl_add_u32 v1, v1, 10, 0x2000
	v_lshlrev_b32_e32 v0, 23, v0
	v_and_or_b32 v1, 0x8000, v2, v1
	v_lshl_or_b32 v64, v1, 16, v0
.LBB308_465:                            ;   in Loop: Header=BB308_16 Depth=1
	s_or_b32 exec_lo, exec_lo, s27
.LBB308_466:                            ;   in Loop: Header=BB308_16 Depth=1
	s_or_b32 exec_lo, exec_lo, s26
.LBB308_467:                            ;   in Loop: Header=BB308_16 Depth=1
	s_or_b32 exec_lo, exec_lo, s25
	flat_load_dwordx2 v[33:34], v[31:32] offset:1544
	s_waitcnt vmcnt(0) lgkmcnt(0)
	v_cmp_ne_u16_sdwa s5, v33, v8 src0_sel:BYTE_0 src1_sel:DWORD
	s_and_saveexec_b32 s25, s5
	s_cbranch_execz .LBB308_475
; %bb.468:                              ;   in Loop: Header=BB308_16 Depth=1
	v_cmp_ne_u16_sdwa s5, v33, v68 src0_sel:BYTE_0 src1_sel:DWORD
	v_mov_b32_e32 v37, 0x8000
	s_and_saveexec_b32 s26, s5
	s_cbranch_execz .LBB308_474
; %bb.469:                              ;   in Loop: Header=BB308_16 Depth=1
	v_and_b32_e32 v2, 0x7f, v33
	v_mov_b32_e32 v37, 0x7c01
	s_mov_b32 s27, exec_lo
	v_cmpx_ne_u32_e32 0x7f, v2
	s_cbranch_execz .LBB308_473
; %bb.470:                              ;   in Loop: Header=BB308_16 Depth=1
	v_and_b32_e32 v0, 7, v33
	v_lshrrev_b32_e32 v1, 3, v2
	s_mov_b32 s28, exec_lo
	v_cmpx_gt_u32_e32 8, v2
; %bb.471:                              ;   in Loop: Header=BB308_16 Depth=1
	v_ffbh_u32_e32 v0, v0
	v_min_u32_e32 v2, 32, v0
	v_subrev_nc_u32_e32 v0, 28, v2
	v_lshlrev_b64 v[0:1], v0, v[33:34]
	v_sub_nc_u32_e32 v1, 29, v2
	v_and_b32_e32 v0, 7, v0
; %bb.472:                              ;   in Loop: Header=BB308_16 Depth=1
	s_or_b32 exec_lo, exec_lo, s28
	v_lshlrev_b32_e32 v2, 8, v33
	v_lshl_add_u32 v1, v1, 10, 0x2000
	v_lshlrev_b32_e32 v0, 7, v0
	v_and_b32_e32 v2, 0x8000, v2
	v_and_b32_e32 v1, 0xfc00, v1
	v_or3_b32 v37, v2, v1, v0
.LBB308_473:                            ;   in Loop: Header=BB308_16 Depth=1
	s_or_b32 exec_lo, exec_lo, s27
.LBB308_474:                            ;   in Loop: Header=BB308_16 Depth=1
	s_or_b32 exec_lo, exec_lo, s26
.LBB308_475:                            ;   in Loop: Header=BB308_16 Depth=1
	s_or_b32 exec_lo, exec_lo, s25
	v_lshrrev_b16 v7, 8, v33
	v_mov_b32_e32 v10, 0
	v_mov_b32_e32 v11, 0
	s_mov_b32 s25, exec_lo
	v_cmpx_ne_u16_e32 0, v7
	s_cbranch_execz .LBB308_483
; %bb.476:                              ;   in Loop: Header=BB308_16 Depth=1
	v_bfrev_b32_e32 v11, 1
	s_mov_b32 s26, exec_lo
	v_cmpx_ne_u16_e32 0x80, v7
	s_cbranch_execz .LBB308_482
; %bb.477:                              ;   in Loop: Header=BB308_16 Depth=1
	v_mov_b32_e32 v0, 0x7f
	v_mov_b32_e32 v11, 0x7c010000
	s_mov_b32 s27, exec_lo
	v_and_b32_sdwa v2, v7, v0 dst_sel:DWORD dst_unused:UNUSED_PAD src0_sel:WORD_0 src1_sel:DWORD
	v_cmpx_ne_u32_e32 0x7f, v2
	s_cbranch_execz .LBB308_481
; %bb.478:                              ;   in Loop: Header=BB308_16 Depth=1
	v_mov_b32_e32 v0, 7
	v_lshrrev_b32_e32 v1, 3, v2
	s_mov_b32 s28, exec_lo
	v_and_b32_sdwa v0, v7, v0 dst_sel:DWORD dst_unused:UNUSED_PAD src0_sel:WORD_0 src1_sel:DWORD
	v_cmpx_gt_u32_e32 8, v2
; %bb.479:                              ;   in Loop: Header=BB308_16 Depth=1
	v_ffbh_u32_e32 v0, v0
	v_min_u32_e32 v2, 32, v0
	v_subrev_nc_u32_e32 v0, 28, v2
	v_lshlrev_b64 v[0:1], v0, v[7:8]
	v_sub_nc_u32_e32 v1, 29, v2
	v_and_b32_e32 v0, 7, v0
; %bb.480:                              ;   in Loop: Header=BB308_16 Depth=1
	s_or_b32 exec_lo, exec_lo, s28
	v_mov_b32_e32 v2, 8
	v_lshl_add_u32 v1, v1, 10, 0x2000
	v_lshlrev_b32_e32 v0, 23, v0
	v_lshlrev_b32_sdwa v2, v2, v7 dst_sel:DWORD dst_unused:UNUSED_PAD src0_sel:DWORD src1_sel:WORD_0
	v_and_or_b32 v1, 0x8000, v2, v1
	v_lshl_or_b32 v11, v1, 16, v0
.LBB308_481:                            ;   in Loop: Header=BB308_16 Depth=1
	s_or_b32 exec_lo, exec_lo, s27
.LBB308_482:                            ;   in Loop: Header=BB308_16 Depth=1
	s_or_b32 exec_lo, exec_lo, s26
.LBB308_483:                            ;   in Loop: Header=BB308_16 Depth=1
	s_or_b32 exec_lo, exec_lo, s25
	v_lshrrev_b32_e32 v7, 16, v33
	v_cmp_ne_u16_sdwa s5, v7, v8 src0_sel:BYTE_0 src1_sel:DWORD
	s_and_saveexec_b32 s25, s5
	s_cbranch_execz .LBB308_491
; %bb.484:                              ;   in Loop: Header=BB308_16 Depth=1
	v_cmp_ne_u16_sdwa s5, v7, v68 src0_sel:BYTE_0 src1_sel:DWORD
	v_mov_b32_e32 v10, 0x8000
	s_and_saveexec_b32 s26, s5
	s_cbranch_execz .LBB308_490
; %bb.485:                              ;   in Loop: Header=BB308_16 Depth=1
	v_bfe_u32 v2, v33, 16, 7
	v_mov_b32_e32 v10, 0x7c01
	s_mov_b32 s27, exec_lo
	v_cmpx_ne_u32_e32 0x7f, v2
	s_cbranch_execz .LBB308_489
; %bb.486:                              ;   in Loop: Header=BB308_16 Depth=1
	v_and_b32_e32 v0, 7, v7
	v_lshrrev_b32_e32 v1, 3, v2
	s_mov_b32 s28, exec_lo
	v_cmpx_gt_u32_e32 8, v2
; %bb.487:                              ;   in Loop: Header=BB308_16 Depth=1
	v_ffbh_u32_e32 v0, v0
	v_min_u32_e32 v2, 32, v0
	v_subrev_nc_u32_e32 v0, 28, v2
	v_lshlrev_b64 v[0:1], v0, v[7:8]
	v_sub_nc_u32_e32 v1, 29, v2
	v_and_b32_e32 v0, 7, v0
; %bb.488:                              ;   in Loop: Header=BB308_16 Depth=1
	s_or_b32 exec_lo, exec_lo, s28
	v_lshlrev_b32_e32 v2, 8, v7
	v_lshl_add_u32 v1, v1, 10, 0x2000
	v_lshlrev_b32_e32 v0, 7, v0
	v_and_b32_e32 v2, 0x8000, v2
	v_and_b32_e32 v1, 0xfc00, v1
	v_or3_b32 v10, v2, v1, v0
.LBB308_489:                            ;   in Loop: Header=BB308_16 Depth=1
	s_or_b32 exec_lo, exec_lo, s27
.LBB308_490:                            ;   in Loop: Header=BB308_16 Depth=1
	s_or_b32 exec_lo, exec_lo, s26
.LBB308_491:                            ;   in Loop: Header=BB308_16 Depth=1
	s_or_b32 exec_lo, exec_lo, s25
	v_mov_b32_e32 v1, 0
	v_mov_b32_e32 v0, 0
	s_mov_b32 s25, exec_lo
	v_cmpx_lt_u32_e32 0xffffff, v33
	s_cbranch_execz .LBB308_499
; %bb.492:                              ;   in Loop: Header=BB308_16 Depth=1
	v_lshrrev_b32_e32 v7, 24, v33
	v_bfrev_b32_e32 v0, 1
	s_mov_b32 s26, exec_lo
	v_cmpx_ne_u32_e32 0x80, v7
	s_cbranch_execz .LBB308_498
; %bb.493:                              ;   in Loop: Header=BB308_16 Depth=1
	v_and_b32_e32 v3, 0x7f, v7
	v_mov_b32_e32 v0, 0x7c010000
	s_mov_b32 s27, exec_lo
	v_cmpx_ne_u32_e32 0x7f, v3
	s_cbranch_execz .LBB308_497
; %bb.494:                              ;   in Loop: Header=BB308_16 Depth=1
	v_and_b32_e32 v0, 7, v7
	v_lshrrev_b32_e32 v2, 3, v3
	s_mov_b32 s28, exec_lo
	v_cmpx_gt_u32_e32 8, v3
; %bb.495:                              ;   in Loop: Header=BB308_16 Depth=1
	v_ffbh_u32_e32 v0, v0
	v_min_u32_e32 v0, 32, v0
	v_subrev_nc_u32_e32 v2, 28, v0
	v_lshlrev_b64 v[3:4], v2, v[7:8]
	v_sub_nc_u32_e32 v2, 29, v0
	v_and_b32_e32 v0, 7, v3
; %bb.496:                              ;   in Loop: Header=BB308_16 Depth=1
	s_or_b32 exec_lo, exec_lo, s28
	v_lshlrev_b32_e32 v3, 8, v7
	v_lshl_add_u32 v2, v2, 10, 0x2000
	v_lshlrev_b32_e32 v0, 23, v0
	v_and_or_b32 v2, 0x8000, v3, v2
	v_lshl_or_b32 v0, v2, 16, v0
.LBB308_497:                            ;   in Loop: Header=BB308_16 Depth=1
	s_or_b32 exec_lo, exec_lo, s27
.LBB308_498:                            ;   in Loop: Header=BB308_16 Depth=1
	s_or_b32 exec_lo, exec_lo, s26
.LBB308_499:                            ;   in Loop: Header=BB308_16 Depth=1
	s_or_b32 exec_lo, exec_lo, s25
	v_mov_b32_e32 v7, v34
	v_cmp_ne_u16_sdwa s5, v34, v8 src0_sel:BYTE_0 src1_sel:DWORD
	s_and_saveexec_b32 s25, s5
	s_cbranch_execz .LBB308_507
; %bb.500:                              ;   in Loop: Header=BB308_16 Depth=1
	v_cmp_ne_u16_sdwa s5, v34, v68 src0_sel:BYTE_0 src1_sel:DWORD
	v_mov_b32_e32 v1, 0x8000
	s_and_saveexec_b32 s26, s5
	s_cbranch_execz .LBB308_506
; %bb.501:                              ;   in Loop: Header=BB308_16 Depth=1
	v_and_b32_e32 v3, 0x7f, v34
	v_mov_b32_e32 v1, 0x7c01
	s_mov_b32 s27, exec_lo
	v_cmpx_ne_u32_e32 0x7f, v3
	s_cbranch_execz .LBB308_505
; %bb.502:                              ;   in Loop: Header=BB308_16 Depth=1
	v_and_b32_e32 v1, 7, v34
	v_lshrrev_b32_e32 v2, 3, v3
	s_mov_b32 s28, exec_lo
	v_cmpx_gt_u32_e32 8, v3
; %bb.503:                              ;   in Loop: Header=BB308_16 Depth=1
	v_ffbh_u32_e32 v1, v1
	v_min_u32_e32 v3, 32, v1
	v_subrev_nc_u32_e32 v1, 28, v3
	v_lshlrev_b64 v[1:2], v1, v[7:8]
	v_sub_nc_u32_e32 v2, 29, v3
	v_and_b32_e32 v1, 7, v1
; %bb.504:                              ;   in Loop: Header=BB308_16 Depth=1
	s_or_b32 exec_lo, exec_lo, s28
	v_lshlrev_b32_e32 v3, 8, v34
	v_lshl_add_u32 v2, v2, 10, 0x2000
	v_lshlrev_b32_e32 v1, 7, v1
	v_and_b32_e32 v3, 0x8000, v3
	v_and_b32_e32 v2, 0xfc00, v2
	v_or3_b32 v1, v3, v2, v1
.LBB308_505:                            ;   in Loop: Header=BB308_16 Depth=1
	s_or_b32 exec_lo, exec_lo, s27
.LBB308_506:                            ;   in Loop: Header=BB308_16 Depth=1
	s_or_b32 exec_lo, exec_lo, s26
.LBB308_507:                            ;   in Loop: Header=BB308_16 Depth=1
	s_or_b32 exec_lo, exec_lo, s25
	v_lshrrev_b16 v7, 8, v7
	v_mov_b32_e32 v3, 0
	v_mov_b32_e32 v2, 0
	s_mov_b32 s25, exec_lo
	v_cmpx_ne_u16_e32 0, v7
	s_cbranch_execz .LBB308_515
; %bb.508:                              ;   in Loop: Header=BB308_16 Depth=1
	v_bfrev_b32_e32 v2, 1
	s_mov_b32 s26, exec_lo
	v_cmpx_ne_u16_e32 0x80, v7
	s_cbranch_execz .LBB308_514
; %bb.509:                              ;   in Loop: Header=BB308_16 Depth=1
	v_mov_b32_e32 v2, 0x7f
	s_mov_b32 s27, exec_lo
	v_and_b32_sdwa v5, v7, v2 dst_sel:DWORD dst_unused:UNUSED_PAD src0_sel:WORD_0 src1_sel:DWORD
	v_mov_b32_e32 v2, 0x7c010000
	v_cmpx_ne_u32_e32 0x7f, v5
	s_cbranch_execz .LBB308_513
; %bb.510:                              ;   in Loop: Header=BB308_16 Depth=1
	v_mov_b32_e32 v2, 7
	v_lshrrev_b32_e32 v4, 3, v5
	s_mov_b32 s28, exec_lo
	v_and_b32_sdwa v2, v7, v2 dst_sel:DWORD dst_unused:UNUSED_PAD src0_sel:WORD_0 src1_sel:DWORD
	v_cmpx_gt_u32_e32 8, v5
; %bb.511:                              ;   in Loop: Header=BB308_16 Depth=1
	v_ffbh_u32_e32 v2, v2
	v_min_u32_e32 v2, 32, v2
	v_subrev_nc_u32_e32 v4, 28, v2
	v_lshlrev_b64 v[5:6], v4, v[7:8]
	v_sub_nc_u32_e32 v4, 29, v2
	v_and_b32_e32 v2, 7, v5
; %bb.512:                              ;   in Loop: Header=BB308_16 Depth=1
	s_or_b32 exec_lo, exec_lo, s28
	v_mov_b32_e32 v5, 8
	v_lshl_add_u32 v4, v4, 10, 0x2000
	v_lshlrev_b32_e32 v2, 23, v2
	v_lshlrev_b32_sdwa v5, v5, v7 dst_sel:DWORD dst_unused:UNUSED_PAD src0_sel:DWORD src1_sel:WORD_0
	v_and_or_b32 v4, 0x8000, v5, v4
	v_lshl_or_b32 v2, v4, 16, v2
.LBB308_513:                            ;   in Loop: Header=BB308_16 Depth=1
	s_or_b32 exec_lo, exec_lo, s27
.LBB308_514:                            ;   in Loop: Header=BB308_16 Depth=1
	s_or_b32 exec_lo, exec_lo, s26
.LBB308_515:                            ;   in Loop: Header=BB308_16 Depth=1
	s_or_b32 exec_lo, exec_lo, s25
	v_lshrrev_b32_e32 v7, 16, v34
	v_cmp_ne_u16_sdwa s5, v7, v8 src0_sel:BYTE_0 src1_sel:DWORD
	s_and_saveexec_b32 s25, s5
	s_cbranch_execz .LBB308_523
; %bb.516:                              ;   in Loop: Header=BB308_16 Depth=1
	v_cmp_ne_u16_sdwa s5, v7, v68 src0_sel:BYTE_0 src1_sel:DWORD
	v_mov_b32_e32 v3, 0x8000
	s_and_saveexec_b32 s26, s5
	s_cbranch_execz .LBB308_522
; %bb.517:                              ;   in Loop: Header=BB308_16 Depth=1
	v_bfe_u32 v5, v34, 16, 7
	v_mov_b32_e32 v3, 0x7c01
	s_mov_b32 s27, exec_lo
	v_cmpx_ne_u32_e32 0x7f, v5
	s_cbranch_execz .LBB308_521
; %bb.518:                              ;   in Loop: Header=BB308_16 Depth=1
	v_and_b32_e32 v3, 7, v7
	v_lshrrev_b32_e32 v4, 3, v5
	s_mov_b32 s28, exec_lo
	v_cmpx_gt_u32_e32 8, v5
; %bb.519:                              ;   in Loop: Header=BB308_16 Depth=1
	v_ffbh_u32_e32 v3, v3
	v_min_u32_e32 v5, 32, v3
	v_subrev_nc_u32_e32 v3, 28, v5
	v_lshlrev_b64 v[3:4], v3, v[7:8]
	v_sub_nc_u32_e32 v4, 29, v5
	v_and_b32_e32 v3, 7, v3
; %bb.520:                              ;   in Loop: Header=BB308_16 Depth=1
	s_or_b32 exec_lo, exec_lo, s28
	v_lshlrev_b32_e32 v5, 8, v7
	v_lshl_add_u32 v4, v4, 10, 0x2000
	v_lshlrev_b32_e32 v3, 7, v3
	v_and_b32_e32 v5, 0x8000, v5
	v_and_b32_e32 v4, 0xfc00, v4
	v_or3_b32 v3, v5, v4, v3
.LBB308_521:                            ;   in Loop: Header=BB308_16 Depth=1
	s_or_b32 exec_lo, exec_lo, s27
.LBB308_522:                            ;   in Loop: Header=BB308_16 Depth=1
	s_or_b32 exec_lo, exec_lo, s26
.LBB308_523:                            ;   in Loop: Header=BB308_16 Depth=1
	s_or_b32 exec_lo, exec_lo, s25
	v_mov_b32_e32 v28, 0
	v_mov_b32_e32 v35, 0
	s_mov_b32 s25, exec_lo
	v_cmpx_lt_u64_e64 s[20:21], v[33:34]
	s_cbranch_execz .LBB308_531
; %bb.524:                              ;   in Loop: Header=BB308_16 Depth=1
	v_lshrrev_b32_e32 v7, 24, v34
	v_bfrev_b32_e32 v35, 1
	s_mov_b32 s26, exec_lo
	v_cmpx_ne_u32_e32 0x80, v7
	s_cbranch_execz .LBB308_530
; %bb.525:                              ;   in Loop: Header=BB308_16 Depth=1
	v_and_b32_e32 v6, 0x7f, v7
	v_mov_b32_e32 v35, 0x7c010000
	s_mov_b32 s27, exec_lo
	v_cmpx_ne_u32_e32 0x7f, v6
	s_cbranch_execz .LBB308_529
; %bb.526:                              ;   in Loop: Header=BB308_16 Depth=1
	v_and_b32_e32 v4, 7, v7
	v_lshrrev_b32_e32 v5, 3, v6
	s_mov_b32 s28, exec_lo
	v_cmpx_gt_u32_e32 8, v6
; %bb.527:                              ;   in Loop: Header=BB308_16 Depth=1
	v_ffbh_u32_e32 v4, v4
	v_min_u32_e32 v6, 32, v4
	v_subrev_nc_u32_e32 v4, 28, v6
	v_lshlrev_b64 v[4:5], v4, v[7:8]
	v_sub_nc_u32_e32 v5, 29, v6
	v_and_b32_e32 v4, 7, v4
; %bb.528:                              ;   in Loop: Header=BB308_16 Depth=1
	s_or_b32 exec_lo, exec_lo, s28
	v_lshlrev_b32_e32 v6, 8, v7
	v_lshl_add_u32 v5, v5, 10, 0x2000
	v_lshlrev_b32_e32 v4, 23, v4
	v_and_or_b32 v5, 0x8000, v6, v5
	v_lshl_or_b32 v35, v5, 16, v4
.LBB308_529:                            ;   in Loop: Header=BB308_16 Depth=1
	s_or_b32 exec_lo, exec_lo, s27
.LBB308_530:                            ;   in Loop: Header=BB308_16 Depth=1
	s_or_b32 exec_lo, exec_lo, s26
.LBB308_531:                            ;   in Loop: Header=BB308_16 Depth=1
	s_or_b32 exec_lo, exec_lo, s25
	v_add_co_u32 v31, s5, 0x800, v31
	v_add_co_ci_u32_e64 v32, null, 0, v32, s5
	flat_load_dwordx2 v[33:34], v[31:32]
	s_waitcnt vmcnt(0) lgkmcnt(0)
	v_cmp_ne_u16_sdwa s5, v33, v8 src0_sel:BYTE_0 src1_sel:DWORD
	s_and_saveexec_b32 s25, s5
	s_cbranch_execz .LBB308_539
; %bb.532:                              ;   in Loop: Header=BB308_16 Depth=1
	v_cmp_ne_u16_sdwa s5, v33, v68 src0_sel:BYTE_0 src1_sel:DWORD
	v_mov_b32_e32 v28, 0x8000
	s_and_saveexec_b32 s26, s5
	s_cbranch_execz .LBB308_538
; %bb.533:                              ;   in Loop: Header=BB308_16 Depth=1
	v_and_b32_e32 v6, 0x7f, v33
	v_mov_b32_e32 v28, 0x7c01
	s_mov_b32 s27, exec_lo
	v_cmpx_ne_u32_e32 0x7f, v6
	s_cbranch_execz .LBB308_537
; %bb.534:                              ;   in Loop: Header=BB308_16 Depth=1
	v_and_b32_e32 v4, 7, v33
	v_lshrrev_b32_e32 v5, 3, v6
	s_mov_b32 s28, exec_lo
	v_cmpx_gt_u32_e32 8, v6
; %bb.535:                              ;   in Loop: Header=BB308_16 Depth=1
	v_ffbh_u32_e32 v4, v4
	v_min_u32_e32 v6, 32, v4
	v_subrev_nc_u32_e32 v4, 28, v6
	v_lshlrev_b64 v[4:5], v4, v[33:34]
	v_sub_nc_u32_e32 v5, 29, v6
	v_and_b32_e32 v4, 7, v4
; %bb.536:                              ;   in Loop: Header=BB308_16 Depth=1
	s_or_b32 exec_lo, exec_lo, s28
	v_lshlrev_b32_e32 v6, 8, v33
	v_lshl_add_u32 v5, v5, 10, 0x2000
	v_lshlrev_b32_e32 v4, 7, v4
	v_and_b32_e32 v6, 0x8000, v6
	v_and_b32_e32 v5, 0xfc00, v5
	v_or3_b32 v28, v6, v5, v4
.LBB308_537:                            ;   in Loop: Header=BB308_16 Depth=1
	s_or_b32 exec_lo, exec_lo, s27
.LBB308_538:                            ;   in Loop: Header=BB308_16 Depth=1
	s_or_b32 exec_lo, exec_lo, s26
.LBB308_539:                            ;   in Loop: Header=BB308_16 Depth=1
	s_or_b32 exec_lo, exec_lo, s25
	v_lshrrev_b16 v7, 8, v33
	v_mov_b32_e32 v55, 0
	v_mov_b32_e32 v21, 0
	s_mov_b32 s25, exec_lo
	v_cmpx_ne_u16_e32 0, v7
	s_cbranch_execz .LBB308_547
; %bb.540:                              ;   in Loop: Header=BB308_16 Depth=1
	v_bfrev_b32_e32 v21, 1
	s_mov_b32 s26, exec_lo
	v_cmpx_ne_u16_e32 0x80, v7
	s_cbranch_execz .LBB308_546
; %bb.541:                              ;   in Loop: Header=BB308_16 Depth=1
	v_mov_b32_e32 v4, 0x7f
	v_mov_b32_e32 v21, 0x7c010000
	s_mov_b32 s27, exec_lo
	v_and_b32_sdwa v6, v7, v4 dst_sel:DWORD dst_unused:UNUSED_PAD src0_sel:WORD_0 src1_sel:DWORD
	v_cmpx_ne_u32_e32 0x7f, v6
	s_cbranch_execz .LBB308_545
; %bb.542:                              ;   in Loop: Header=BB308_16 Depth=1
	v_mov_b32_e32 v4, 7
	v_lshrrev_b32_e32 v5, 3, v6
	s_mov_b32 s28, exec_lo
	v_and_b32_sdwa v4, v7, v4 dst_sel:DWORD dst_unused:UNUSED_PAD src0_sel:WORD_0 src1_sel:DWORD
	v_cmpx_gt_u32_e32 8, v6
; %bb.543:                              ;   in Loop: Header=BB308_16 Depth=1
	v_ffbh_u32_e32 v4, v4
	v_min_u32_e32 v6, 32, v4
	v_subrev_nc_u32_e32 v4, 28, v6
	v_lshlrev_b64 v[4:5], v4, v[7:8]
	v_sub_nc_u32_e32 v5, 29, v6
	v_and_b32_e32 v4, 7, v4
; %bb.544:                              ;   in Loop: Header=BB308_16 Depth=1
	s_or_b32 exec_lo, exec_lo, s28
	v_mov_b32_e32 v6, 8
	v_lshl_add_u32 v5, v5, 10, 0x2000
	v_lshlrev_b32_e32 v4, 23, v4
	v_lshlrev_b32_sdwa v6, v6, v7 dst_sel:DWORD dst_unused:UNUSED_PAD src0_sel:DWORD src1_sel:WORD_0
	v_and_or_b32 v5, 0x8000, v6, v5
	v_lshl_or_b32 v21, v5, 16, v4
.LBB308_545:                            ;   in Loop: Header=BB308_16 Depth=1
	s_or_b32 exec_lo, exec_lo, s27
.LBB308_546:                            ;   in Loop: Header=BB308_16 Depth=1
	s_or_b32 exec_lo, exec_lo, s26
.LBB308_547:                            ;   in Loop: Header=BB308_16 Depth=1
	s_or_b32 exec_lo, exec_lo, s25
	v_lshrrev_b32_e32 v7, 16, v33
	v_cmp_ne_u16_sdwa s5, v7, v8 src0_sel:BYTE_0 src1_sel:DWORD
	s_and_saveexec_b32 s25, s5
	s_cbranch_execz .LBB308_555
; %bb.548:                              ;   in Loop: Header=BB308_16 Depth=1
	v_cmp_ne_u16_sdwa s5, v7, v68 src0_sel:BYTE_0 src1_sel:DWORD
	v_mov_b32_e32 v55, 0x8000
	s_and_saveexec_b32 s26, s5
	s_cbranch_execz .LBB308_554
; %bb.549:                              ;   in Loop: Header=BB308_16 Depth=1
	v_bfe_u32 v6, v33, 16, 7
	v_mov_b32_e32 v55, 0x7c01
	s_mov_b32 s27, exec_lo
	v_cmpx_ne_u32_e32 0x7f, v6
	s_cbranch_execz .LBB308_553
; %bb.550:                              ;   in Loop: Header=BB308_16 Depth=1
	v_and_b32_e32 v4, 7, v7
	v_lshrrev_b32_e32 v5, 3, v6
	s_mov_b32 s28, exec_lo
	v_cmpx_gt_u32_e32 8, v6
; %bb.551:                              ;   in Loop: Header=BB308_16 Depth=1
	v_ffbh_u32_e32 v4, v4
	v_min_u32_e32 v6, 32, v4
	v_subrev_nc_u32_e32 v4, 28, v6
	v_lshlrev_b64 v[4:5], v4, v[7:8]
	v_sub_nc_u32_e32 v5, 29, v6
	v_and_b32_e32 v4, 7, v4
; %bb.552:                              ;   in Loop: Header=BB308_16 Depth=1
	s_or_b32 exec_lo, exec_lo, s28
	v_lshlrev_b32_e32 v6, 8, v7
	v_lshl_add_u32 v5, v5, 10, 0x2000
	v_lshlrev_b32_e32 v4, 7, v4
	v_and_b32_e32 v6, 0x8000, v6
	v_and_b32_e32 v5, 0xfc00, v5
	v_or3_b32 v55, v6, v5, v4
.LBB308_553:                            ;   in Loop: Header=BB308_16 Depth=1
	s_or_b32 exec_lo, exec_lo, s27
.LBB308_554:                            ;   in Loop: Header=BB308_16 Depth=1
	s_or_b32 exec_lo, exec_lo, s26
.LBB308_555:                            ;   in Loop: Header=BB308_16 Depth=1
	s_or_b32 exec_lo, exec_lo, s25
	v_mov_b32_e32 v29, 0
	v_mov_b32_e32 v6, 0
	s_mov_b32 s25, exec_lo
	v_cmpx_lt_u32_e32 0xffffff, v33
	s_cbranch_execz .LBB308_563
; %bb.556:                              ;   in Loop: Header=BB308_16 Depth=1
	v_lshrrev_b32_e32 v7, 24, v33
	v_bfrev_b32_e32 v6, 1
	s_mov_b32 s26, exec_lo
	v_cmpx_ne_u32_e32 0x80, v7
	s_cbranch_execz .LBB308_562
; %bb.557:                              ;   in Loop: Header=BB308_16 Depth=1
	v_and_b32_e32 v12, 0x7f, v7
	v_mov_b32_e32 v6, 0x7c010000
	s_mov_b32 s27, exec_lo
	v_cmpx_ne_u32_e32 0x7f, v12
	s_cbranch_execz .LBB308_561
; %bb.558:                              ;   in Loop: Header=BB308_16 Depth=1
	v_and_b32_e32 v4, 7, v7
	v_lshrrev_b32_e32 v5, 3, v12
	s_mov_b32 s28, exec_lo
	v_cmpx_gt_u32_e32 8, v12
; %bb.559:                              ;   in Loop: Header=BB308_16 Depth=1
	v_ffbh_u32_e32 v4, v4
	v_min_u32_e32 v6, 32, v4
	v_subrev_nc_u32_e32 v4, 28, v6
	v_lshlrev_b64 v[4:5], v4, v[7:8]
	v_sub_nc_u32_e32 v5, 29, v6
	v_and_b32_e32 v4, 7, v4
; %bb.560:                              ;   in Loop: Header=BB308_16 Depth=1
	s_or_b32 exec_lo, exec_lo, s28
	v_lshlrev_b32_e32 v6, 8, v7
	v_lshl_add_u32 v5, v5, 10, 0x2000
	v_lshlrev_b32_e32 v4, 23, v4
	v_and_or_b32 v5, 0x8000, v6, v5
	v_lshl_or_b32 v6, v5, 16, v4
.LBB308_561:                            ;   in Loop: Header=BB308_16 Depth=1
	s_or_b32 exec_lo, exec_lo, s27
.LBB308_562:                            ;   in Loop: Header=BB308_16 Depth=1
	s_or_b32 exec_lo, exec_lo, s26
.LBB308_563:                            ;   in Loop: Header=BB308_16 Depth=1
	s_or_b32 exec_lo, exec_lo, s25
	v_mov_b32_e32 v7, v34
	v_cmp_ne_u16_sdwa s5, v34, v8 src0_sel:BYTE_0 src1_sel:DWORD
	s_and_saveexec_b32 s25, s5
	s_cbranch_execz .LBB308_571
; %bb.564:                              ;   in Loop: Header=BB308_16 Depth=1
	v_cmp_ne_u16_sdwa s5, v34, v68 src0_sel:BYTE_0 src1_sel:DWORD
	v_mov_b32_e32 v29, 0x8000
	s_and_saveexec_b32 s26, s5
	s_cbranch_execz .LBB308_570
; %bb.565:                              ;   in Loop: Header=BB308_16 Depth=1
	v_and_b32_e32 v12, 0x7f, v34
	v_mov_b32_e32 v29, 0x7c01
	s_mov_b32 s27, exec_lo
	v_cmpx_ne_u32_e32 0x7f, v12
	s_cbranch_execz .LBB308_569
; %bb.566:                              ;   in Loop: Header=BB308_16 Depth=1
	v_and_b32_e32 v4, 7, v34
	v_lshrrev_b32_e32 v5, 3, v12
	s_mov_b32 s28, exec_lo
	v_cmpx_gt_u32_e32 8, v12
; %bb.567:                              ;   in Loop: Header=BB308_16 Depth=1
	v_ffbh_u32_e32 v4, v4
	v_min_u32_e32 v12, 32, v4
	v_subrev_nc_u32_e32 v4, 28, v12
	v_lshlrev_b64 v[4:5], v4, v[7:8]
	v_sub_nc_u32_e32 v5, 29, v12
	v_and_b32_e32 v4, 7, v4
; %bb.568:                              ;   in Loop: Header=BB308_16 Depth=1
	s_or_b32 exec_lo, exec_lo, s28
	v_lshlrev_b32_e32 v12, 8, v34
	v_lshl_add_u32 v5, v5, 10, 0x2000
	v_lshlrev_b32_e32 v4, 7, v4
	v_and_b32_e32 v12, 0x8000, v12
	v_and_b32_e32 v5, 0xfc00, v5
	v_or3_b32 v29, v12, v5, v4
.LBB308_569:                            ;   in Loop: Header=BB308_16 Depth=1
	s_or_b32 exec_lo, exec_lo, s27
.LBB308_570:                            ;   in Loop: Header=BB308_16 Depth=1
	s_or_b32 exec_lo, exec_lo, s26
.LBB308_571:                            ;   in Loop: Header=BB308_16 Depth=1
	s_or_b32 exec_lo, exec_lo, s25
	v_lshrrev_b16 v7, 8, v7
	v_mov_b32_e32 v49, 0
	v_mov_b32_e32 v50, 0
	s_mov_b32 s25, exec_lo
	v_cmpx_ne_u16_e32 0, v7
	s_cbranch_execz .LBB308_579
; %bb.572:                              ;   in Loop: Header=BB308_16 Depth=1
	v_bfrev_b32_e32 v50, 1
	s_mov_b32 s26, exec_lo
	v_cmpx_ne_u16_e32 0x80, v7
	s_cbranch_execz .LBB308_578
; %bb.573:                              ;   in Loop: Header=BB308_16 Depth=1
	v_mov_b32_e32 v4, 0x7f
	v_mov_b32_e32 v50, 0x7c010000
	s_mov_b32 s27, exec_lo
	v_and_b32_sdwa v12, v7, v4 dst_sel:DWORD dst_unused:UNUSED_PAD src0_sel:WORD_0 src1_sel:DWORD
	v_cmpx_ne_u32_e32 0x7f, v12
	s_cbranch_execz .LBB308_577
; %bb.574:                              ;   in Loop: Header=BB308_16 Depth=1
	v_mov_b32_e32 v4, 7
	v_lshrrev_b32_e32 v5, 3, v12
	s_mov_b32 s28, exec_lo
	v_and_b32_sdwa v4, v7, v4 dst_sel:DWORD dst_unused:UNUSED_PAD src0_sel:WORD_0 src1_sel:DWORD
	v_cmpx_gt_u32_e32 8, v12
; %bb.575:                              ;   in Loop: Header=BB308_16 Depth=1
	v_ffbh_u32_e32 v4, v4
	v_min_u32_e32 v12, 32, v4
	v_subrev_nc_u32_e32 v4, 28, v12
	v_lshlrev_b64 v[4:5], v4, v[7:8]
	v_sub_nc_u32_e32 v5, 29, v12
	v_and_b32_e32 v4, 7, v4
; %bb.576:                              ;   in Loop: Header=BB308_16 Depth=1
	s_or_b32 exec_lo, exec_lo, s28
	v_mov_b32_e32 v12, 8
	v_lshl_add_u32 v5, v5, 10, 0x2000
	v_lshlrev_b32_e32 v4, 23, v4
	v_lshlrev_b32_sdwa v7, v12, v7 dst_sel:DWORD dst_unused:UNUSED_PAD src0_sel:DWORD src1_sel:WORD_0
	v_and_or_b32 v5, 0x8000, v7, v5
	v_lshl_or_b32 v50, v5, 16, v4
.LBB308_577:                            ;   in Loop: Header=BB308_16 Depth=1
	s_or_b32 exec_lo, exec_lo, s27
.LBB308_578:                            ;   in Loop: Header=BB308_16 Depth=1
	s_or_b32 exec_lo, exec_lo, s26
.LBB308_579:                            ;   in Loop: Header=BB308_16 Depth=1
	s_or_b32 exec_lo, exec_lo, s25
	v_lshrrev_b32_e32 v7, 16, v34
	v_cmp_ne_u16_sdwa s5, v7, v8 src0_sel:BYTE_0 src1_sel:DWORD
	s_and_saveexec_b32 s25, s5
	s_cbranch_execz .LBB308_587
; %bb.580:                              ;   in Loop: Header=BB308_16 Depth=1
	v_cmp_ne_u16_sdwa s5, v7, v68 src0_sel:BYTE_0 src1_sel:DWORD
	v_mov_b32_e32 v49, 0x8000
	s_and_saveexec_b32 s26, s5
	s_cbranch_execz .LBB308_586
; %bb.581:                              ;   in Loop: Header=BB308_16 Depth=1
	v_bfe_u32 v12, v34, 16, 7
	v_mov_b32_e32 v49, 0x7c01
	s_mov_b32 s27, exec_lo
	v_cmpx_ne_u32_e32 0x7f, v12
	s_cbranch_execz .LBB308_585
; %bb.582:                              ;   in Loop: Header=BB308_16 Depth=1
	v_and_b32_e32 v4, 7, v7
	v_lshrrev_b32_e32 v5, 3, v12
	s_mov_b32 s28, exec_lo
	v_cmpx_gt_u32_e32 8, v12
; %bb.583:                              ;   in Loop: Header=BB308_16 Depth=1
	v_ffbh_u32_e32 v4, v4
	v_min_u32_e32 v12, 32, v4
	v_subrev_nc_u32_e32 v4, 28, v12
	v_lshlrev_b64 v[4:5], v4, v[7:8]
	v_sub_nc_u32_e32 v5, 29, v12
	v_and_b32_e32 v4, 7, v4
; %bb.584:                              ;   in Loop: Header=BB308_16 Depth=1
	s_or_b32 exec_lo, exec_lo, s28
	v_lshlrev_b32_e32 v7, 8, v7
	v_lshl_add_u32 v5, v5, 10, 0x2000
	v_lshlrev_b32_e32 v4, 7, v4
	v_and_b32_e32 v7, 0x8000, v7
	v_and_b32_e32 v5, 0xfc00, v5
	v_or3_b32 v49, v7, v5, v4
.LBB308_585:                            ;   in Loop: Header=BB308_16 Depth=1
	s_or_b32 exec_lo, exec_lo, s27
.LBB308_586:                            ;   in Loop: Header=BB308_16 Depth=1
	s_or_b32 exec_lo, exec_lo, s26
.LBB308_587:                            ;   in Loop: Header=BB308_16 Depth=1
	s_or_b32 exec_lo, exec_lo, s25
	v_mov_b32_e32 v48, 0
	v_mov_b32_e32 v96, 0
	s_mov_b32 s25, exec_lo
	v_cmpx_lt_u64_e64 s[20:21], v[33:34]
	s_cbranch_execz .LBB308_595
; %bb.588:                              ;   in Loop: Header=BB308_16 Depth=1
	v_lshrrev_b32_e32 v7, 24, v34
	v_bfrev_b32_e32 v96, 1
	s_mov_b32 s26, exec_lo
	v_cmpx_ne_u32_e32 0x80, v7
	s_cbranch_execz .LBB308_594
; %bb.589:                              ;   in Loop: Header=BB308_16 Depth=1
	v_and_b32_e32 v12, 0x7f, v7
	v_mov_b32_e32 v96, 0x7c010000
	s_mov_b32 s27, exec_lo
	v_cmpx_ne_u32_e32 0x7f, v12
	s_cbranch_execz .LBB308_593
; %bb.590:                              ;   in Loop: Header=BB308_16 Depth=1
	v_and_b32_e32 v4, 7, v7
	v_lshrrev_b32_e32 v5, 3, v12
	s_mov_b32 s28, exec_lo
	v_cmpx_gt_u32_e32 8, v12
; %bb.591:                              ;   in Loop: Header=BB308_16 Depth=1
	v_ffbh_u32_e32 v4, v4
	v_min_u32_e32 v12, 32, v4
	v_subrev_nc_u32_e32 v4, 28, v12
	v_lshlrev_b64 v[4:5], v4, v[7:8]
	v_sub_nc_u32_e32 v5, 29, v12
	v_and_b32_e32 v4, 7, v4
; %bb.592:                              ;   in Loop: Header=BB308_16 Depth=1
	s_or_b32 exec_lo, exec_lo, s28
	v_lshlrev_b32_e32 v7, 8, v7
	v_lshl_add_u32 v5, v5, 10, 0x2000
	v_lshlrev_b32_e32 v4, 23, v4
	v_and_or_b32 v5, 0x8000, v7, v5
	v_lshl_or_b32 v96, v5, 16, v4
.LBB308_593:                            ;   in Loop: Header=BB308_16 Depth=1
	s_or_b32 exec_lo, exec_lo, s27
.LBB308_594:                            ;   in Loop: Header=BB308_16 Depth=1
	s_or_b32 exec_lo, exec_lo, s26
.LBB308_595:                            ;   in Loop: Header=BB308_16 Depth=1
	s_or_b32 exec_lo, exec_lo, s25
	flat_load_dwordx2 v[33:34], v[31:32] offset:8
	s_waitcnt vmcnt(0) lgkmcnt(0)
	v_cmp_ne_u16_sdwa s5, v33, v8 src0_sel:BYTE_0 src1_sel:DWORD
	s_and_saveexec_b32 s25, s5
	s_cbranch_execz .LBB308_603
; %bb.596:                              ;   in Loop: Header=BB308_16 Depth=1
	v_cmp_ne_u16_sdwa s5, v33, v68 src0_sel:BYTE_0 src1_sel:DWORD
	v_mov_b32_e32 v48, 0x8000
	s_and_saveexec_b32 s26, s5
	s_cbranch_execz .LBB308_602
; %bb.597:                              ;   in Loop: Header=BB308_16 Depth=1
	v_and_b32_e32 v7, 0x7f, v33
	v_mov_b32_e32 v48, 0x7c01
	s_mov_b32 s27, exec_lo
	v_cmpx_ne_u32_e32 0x7f, v7
	s_cbranch_execz .LBB308_601
; %bb.598:                              ;   in Loop: Header=BB308_16 Depth=1
	v_and_b32_e32 v4, 7, v33
	v_lshrrev_b32_e32 v5, 3, v7
	s_mov_b32 s28, exec_lo
	v_cmpx_gt_u32_e32 8, v7
; %bb.599:                              ;   in Loop: Header=BB308_16 Depth=1
	v_ffbh_u32_e32 v4, v4
	v_min_u32_e32 v7, 32, v4
	v_subrev_nc_u32_e32 v4, 28, v7
	v_lshlrev_b64 v[4:5], v4, v[33:34]
	v_sub_nc_u32_e32 v5, 29, v7
	v_and_b32_e32 v4, 7, v4
; %bb.600:                              ;   in Loop: Header=BB308_16 Depth=1
	s_or_b32 exec_lo, exec_lo, s28
	v_lshlrev_b32_e32 v7, 8, v33
	v_lshl_add_u32 v5, v5, 10, 0x2000
	v_lshlrev_b32_e32 v4, 7, v4
	v_and_b32_e32 v7, 0x8000, v7
	v_and_b32_e32 v5, 0xfc00, v5
	v_or3_b32 v48, v7, v5, v4
.LBB308_601:                            ;   in Loop: Header=BB308_16 Depth=1
	s_or_b32 exec_lo, exec_lo, s27
.LBB308_602:                            ;   in Loop: Header=BB308_16 Depth=1
	s_or_b32 exec_lo, exec_lo, s26
.LBB308_603:                            ;   in Loop: Header=BB308_16 Depth=1
	s_or_b32 exec_lo, exec_lo, s25
	v_lshrrev_b16 v7, 8, v33
	v_mov_b32_e32 v65, 0
	v_mov_b32_e32 v51, 0
	s_mov_b32 s25, exec_lo
	v_cmpx_ne_u16_e32 0, v7
	s_cbranch_execz .LBB308_611
; %bb.604:                              ;   in Loop: Header=BB308_16 Depth=1
	v_bfrev_b32_e32 v51, 1
	s_mov_b32 s26, exec_lo
	v_cmpx_ne_u16_e32 0x80, v7
	s_cbranch_execz .LBB308_610
; %bb.605:                              ;   in Loop: Header=BB308_16 Depth=1
	v_mov_b32_e32 v4, 0x7f
	v_mov_b32_e32 v51, 0x7c010000
	s_mov_b32 s27, exec_lo
	v_and_b32_sdwa v12, v7, v4 dst_sel:DWORD dst_unused:UNUSED_PAD src0_sel:WORD_0 src1_sel:DWORD
	v_cmpx_ne_u32_e32 0x7f, v12
	s_cbranch_execz .LBB308_609
; %bb.606:                              ;   in Loop: Header=BB308_16 Depth=1
	v_mov_b32_e32 v4, 7
	v_lshrrev_b32_e32 v5, 3, v12
	s_mov_b32 s28, exec_lo
	v_and_b32_sdwa v4, v7, v4 dst_sel:DWORD dst_unused:UNUSED_PAD src0_sel:WORD_0 src1_sel:DWORD
	v_cmpx_gt_u32_e32 8, v12
; %bb.607:                              ;   in Loop: Header=BB308_16 Depth=1
	v_ffbh_u32_e32 v4, v4
	v_min_u32_e32 v12, 32, v4
	v_subrev_nc_u32_e32 v4, 28, v12
	v_lshlrev_b64 v[4:5], v4, v[7:8]
	v_sub_nc_u32_e32 v5, 29, v12
	v_and_b32_e32 v4, 7, v4
; %bb.608:                              ;   in Loop: Header=BB308_16 Depth=1
	s_or_b32 exec_lo, exec_lo, s28
	v_mov_b32_e32 v12, 8
	v_lshl_add_u32 v5, v5, 10, 0x2000
	v_lshlrev_b32_e32 v4, 23, v4
	v_lshlrev_b32_sdwa v7, v12, v7 dst_sel:DWORD dst_unused:UNUSED_PAD src0_sel:DWORD src1_sel:WORD_0
	v_and_or_b32 v5, 0x8000, v7, v5
	v_lshl_or_b32 v51, v5, 16, v4
.LBB308_609:                            ;   in Loop: Header=BB308_16 Depth=1
	s_or_b32 exec_lo, exec_lo, s27
.LBB308_610:                            ;   in Loop: Header=BB308_16 Depth=1
	s_or_b32 exec_lo, exec_lo, s26
.LBB308_611:                            ;   in Loop: Header=BB308_16 Depth=1
	s_or_b32 exec_lo, exec_lo, s25
	v_lshrrev_b32_e32 v7, 16, v33
	v_cmp_ne_u16_sdwa s5, v7, v8 src0_sel:BYTE_0 src1_sel:DWORD
	s_and_saveexec_b32 s25, s5
	s_cbranch_execz .LBB308_619
; %bb.612:                              ;   in Loop: Header=BB308_16 Depth=1
	v_cmp_ne_u16_sdwa s5, v7, v68 src0_sel:BYTE_0 src1_sel:DWORD
	v_mov_b32_e32 v65, 0x8000
	s_and_saveexec_b32 s26, s5
	s_cbranch_execz .LBB308_618
; %bb.613:                              ;   in Loop: Header=BB308_16 Depth=1
	v_bfe_u32 v12, v33, 16, 7
	v_mov_b32_e32 v65, 0x7c01
	s_mov_b32 s27, exec_lo
	v_cmpx_ne_u32_e32 0x7f, v12
	s_cbranch_execz .LBB308_617
; %bb.614:                              ;   in Loop: Header=BB308_16 Depth=1
	v_and_b32_e32 v4, 7, v7
	v_lshrrev_b32_e32 v5, 3, v12
	s_mov_b32 s28, exec_lo
	v_cmpx_gt_u32_e32 8, v12
; %bb.615:                              ;   in Loop: Header=BB308_16 Depth=1
	v_ffbh_u32_e32 v4, v4
	v_min_u32_e32 v12, 32, v4
	v_subrev_nc_u32_e32 v4, 28, v12
	v_lshlrev_b64 v[4:5], v4, v[7:8]
	v_sub_nc_u32_e32 v5, 29, v12
	v_and_b32_e32 v4, 7, v4
; %bb.616:                              ;   in Loop: Header=BB308_16 Depth=1
	s_or_b32 exec_lo, exec_lo, s28
	v_lshlrev_b32_e32 v7, 8, v7
	v_lshl_add_u32 v5, v5, 10, 0x2000
	v_lshlrev_b32_e32 v4, 7, v4
	v_and_b32_e32 v7, 0x8000, v7
	v_and_b32_e32 v5, 0xfc00, v5
	v_or3_b32 v65, v7, v5, v4
.LBB308_617:                            ;   in Loop: Header=BB308_16 Depth=1
	s_or_b32 exec_lo, exec_lo, s27
.LBB308_618:                            ;   in Loop: Header=BB308_16 Depth=1
	s_or_b32 exec_lo, exec_lo, s26
.LBB308_619:                            ;   in Loop: Header=BB308_16 Depth=1
	s_or_b32 exec_lo, exec_lo, s25
	v_mov_b32_e32 v69, 0
	v_mov_b32_e32 v66, 0
	s_mov_b32 s25, exec_lo
	v_cmpx_lt_u32_e32 0xffffff, v33
	s_cbranch_execz .LBB308_627
; %bb.620:                              ;   in Loop: Header=BB308_16 Depth=1
	v_lshrrev_b32_e32 v7, 24, v33
	v_bfrev_b32_e32 v66, 1
	s_mov_b32 s26, exec_lo
	v_cmpx_ne_u32_e32 0x80, v7
	s_cbranch_execz .LBB308_626
; %bb.621:                              ;   in Loop: Header=BB308_16 Depth=1
	v_and_b32_e32 v12, 0x7f, v7
	v_mov_b32_e32 v66, 0x7c010000
	s_mov_b32 s27, exec_lo
	v_cmpx_ne_u32_e32 0x7f, v12
	s_cbranch_execz .LBB308_625
; %bb.622:                              ;   in Loop: Header=BB308_16 Depth=1
	v_and_b32_e32 v4, 7, v7
	v_lshrrev_b32_e32 v5, 3, v12
	s_mov_b32 s28, exec_lo
	v_cmpx_gt_u32_e32 8, v12
; %bb.623:                              ;   in Loop: Header=BB308_16 Depth=1
	v_ffbh_u32_e32 v4, v4
	v_min_u32_e32 v12, 32, v4
	v_subrev_nc_u32_e32 v4, 28, v12
	v_lshlrev_b64 v[4:5], v4, v[7:8]
	v_sub_nc_u32_e32 v5, 29, v12
	v_and_b32_e32 v4, 7, v4
; %bb.624:                              ;   in Loop: Header=BB308_16 Depth=1
	s_or_b32 exec_lo, exec_lo, s28
	v_lshlrev_b32_e32 v7, 8, v7
	v_lshl_add_u32 v5, v5, 10, 0x2000
	v_lshlrev_b32_e32 v4, 23, v4
	v_and_or_b32 v5, 0x8000, v7, v5
	v_lshl_or_b32 v66, v5, 16, v4
.LBB308_625:                            ;   in Loop: Header=BB308_16 Depth=1
	s_or_b32 exec_lo, exec_lo, s27
.LBB308_626:                            ;   in Loop: Header=BB308_16 Depth=1
	s_or_b32 exec_lo, exec_lo, s26
.LBB308_627:                            ;   in Loop: Header=BB308_16 Depth=1
	s_or_b32 exec_lo, exec_lo, s25
	v_mov_b32_e32 v7, v34
	v_cmp_ne_u16_sdwa s5, v34, v8 src0_sel:BYTE_0 src1_sel:DWORD
	s_and_saveexec_b32 s25, s5
	s_cbranch_execz .LBB308_635
; %bb.628:                              ;   in Loop: Header=BB308_16 Depth=1
	v_cmp_ne_u16_sdwa s5, v34, v68 src0_sel:BYTE_0 src1_sel:DWORD
	v_mov_b32_e32 v69, 0x8000
	s_and_saveexec_b32 s26, s5
	s_cbranch_execz .LBB308_634
; %bb.629:                              ;   in Loop: Header=BB308_16 Depth=1
	v_and_b32_e32 v12, 0x7f, v34
	v_mov_b32_e32 v69, 0x7c01
	s_mov_b32 s27, exec_lo
	v_cmpx_ne_u32_e32 0x7f, v12
	s_cbranch_execz .LBB308_633
; %bb.630:                              ;   in Loop: Header=BB308_16 Depth=1
	v_and_b32_e32 v4, 7, v34
	v_lshrrev_b32_e32 v5, 3, v12
	s_mov_b32 s28, exec_lo
	v_cmpx_gt_u32_e32 8, v12
; %bb.631:                              ;   in Loop: Header=BB308_16 Depth=1
	v_ffbh_u32_e32 v4, v4
	v_min_u32_e32 v12, 32, v4
	v_subrev_nc_u32_e32 v4, 28, v12
	v_lshlrev_b64 v[4:5], v4, v[7:8]
	v_sub_nc_u32_e32 v5, 29, v12
	v_and_b32_e32 v4, 7, v4
; %bb.632:                              ;   in Loop: Header=BB308_16 Depth=1
	s_or_b32 exec_lo, exec_lo, s28
	v_lshlrev_b32_e32 v12, 8, v34
	v_lshl_add_u32 v5, v5, 10, 0x2000
	v_lshlrev_b32_e32 v4, 7, v4
	v_and_b32_e32 v12, 0x8000, v12
	v_and_b32_e32 v5, 0xfc00, v5
	v_or3_b32 v69, v12, v5, v4
.LBB308_633:                            ;   in Loop: Header=BB308_16 Depth=1
	s_or_b32 exec_lo, exec_lo, s27
.LBB308_634:                            ;   in Loop: Header=BB308_16 Depth=1
	s_or_b32 exec_lo, exec_lo, s26
.LBB308_635:                            ;   in Loop: Header=BB308_16 Depth=1
	s_or_b32 exec_lo, exec_lo, s25
	v_lshrrev_b16 v7, 8, v7
	v_mov_b32_e32 v103, 0
	v_mov_b32_e32 v113, 0
	s_mov_b32 s25, exec_lo
	v_cmpx_ne_u16_e32 0, v7
	s_cbranch_execz .LBB308_643
; %bb.636:                              ;   in Loop: Header=BB308_16 Depth=1
	v_bfrev_b32_e32 v113, 1
	s_mov_b32 s26, exec_lo
	v_cmpx_ne_u16_e32 0x80, v7
	s_cbranch_execz .LBB308_642
; %bb.637:                              ;   in Loop: Header=BB308_16 Depth=1
	v_mov_b32_e32 v4, 0x7f
	v_mov_b32_e32 v113, 0x7c010000
	s_mov_b32 s27, exec_lo
	v_and_b32_sdwa v12, v7, v4 dst_sel:DWORD dst_unused:UNUSED_PAD src0_sel:WORD_0 src1_sel:DWORD
	v_cmpx_ne_u32_e32 0x7f, v12
	s_cbranch_execz .LBB308_641
; %bb.638:                              ;   in Loop: Header=BB308_16 Depth=1
	v_mov_b32_e32 v4, 7
	v_lshrrev_b32_e32 v5, 3, v12
	s_mov_b32 s28, exec_lo
	v_and_b32_sdwa v4, v7, v4 dst_sel:DWORD dst_unused:UNUSED_PAD src0_sel:WORD_0 src1_sel:DWORD
	v_cmpx_gt_u32_e32 8, v12
; %bb.639:                              ;   in Loop: Header=BB308_16 Depth=1
	v_ffbh_u32_e32 v4, v4
	v_min_u32_e32 v12, 32, v4
	v_subrev_nc_u32_e32 v4, 28, v12
	v_lshlrev_b64 v[4:5], v4, v[7:8]
	v_sub_nc_u32_e32 v5, 29, v12
	v_and_b32_e32 v4, 7, v4
; %bb.640:                              ;   in Loop: Header=BB308_16 Depth=1
	s_or_b32 exec_lo, exec_lo, s28
	v_mov_b32_e32 v12, 8
	v_lshl_add_u32 v5, v5, 10, 0x2000
	v_lshlrev_b32_e32 v4, 23, v4
	v_lshlrev_b32_sdwa v7, v12, v7 dst_sel:DWORD dst_unused:UNUSED_PAD src0_sel:DWORD src1_sel:WORD_0
	v_and_or_b32 v5, 0x8000, v7, v5
	v_lshl_or_b32 v113, v5, 16, v4
.LBB308_641:                            ;   in Loop: Header=BB308_16 Depth=1
	s_or_b32 exec_lo, exec_lo, s27
.LBB308_642:                            ;   in Loop: Header=BB308_16 Depth=1
	s_or_b32 exec_lo, exec_lo, s26
.LBB308_643:                            ;   in Loop: Header=BB308_16 Depth=1
	s_or_b32 exec_lo, exec_lo, s25
	v_lshrrev_b32_e32 v7, 16, v34
	v_cmp_ne_u16_sdwa s5, v7, v8 src0_sel:BYTE_0 src1_sel:DWORD
	s_and_saveexec_b32 s25, s5
	s_cbranch_execz .LBB308_651
; %bb.644:                              ;   in Loop: Header=BB308_16 Depth=1
	v_cmp_ne_u16_sdwa s5, v7, v68 src0_sel:BYTE_0 src1_sel:DWORD
	v_mov_b32_e32 v103, 0x8000
	s_and_saveexec_b32 s26, s5
	s_cbranch_execz .LBB308_650
; %bb.645:                              ;   in Loop: Header=BB308_16 Depth=1
	v_bfe_u32 v12, v34, 16, 7
	v_mov_b32_e32 v103, 0x7c01
	s_mov_b32 s27, exec_lo
	v_cmpx_ne_u32_e32 0x7f, v12
	s_cbranch_execz .LBB308_649
; %bb.646:                              ;   in Loop: Header=BB308_16 Depth=1
	v_and_b32_e32 v4, 7, v7
	v_lshrrev_b32_e32 v5, 3, v12
	s_mov_b32 s28, exec_lo
	v_cmpx_gt_u32_e32 8, v12
; %bb.647:                              ;   in Loop: Header=BB308_16 Depth=1
	v_ffbh_u32_e32 v4, v4
	v_min_u32_e32 v12, 32, v4
	v_subrev_nc_u32_e32 v4, 28, v12
	v_lshlrev_b64 v[4:5], v4, v[7:8]
	v_sub_nc_u32_e32 v5, 29, v12
	v_and_b32_e32 v4, 7, v4
; %bb.648:                              ;   in Loop: Header=BB308_16 Depth=1
	s_or_b32 exec_lo, exec_lo, s28
	v_lshlrev_b32_e32 v7, 8, v7
	v_lshl_add_u32 v5, v5, 10, 0x2000
	v_lshlrev_b32_e32 v4, 7, v4
	v_and_b32_e32 v7, 0x8000, v7
	v_and_b32_e32 v5, 0xfc00, v5
	v_or3_b32 v103, v7, v5, v4
.LBB308_649:                            ;   in Loop: Header=BB308_16 Depth=1
	s_or_b32 exec_lo, exec_lo, s27
.LBB308_650:                            ;   in Loop: Header=BB308_16 Depth=1
	s_or_b32 exec_lo, exec_lo, s26
.LBB308_651:                            ;   in Loop: Header=BB308_16 Depth=1
	s_or_b32 exec_lo, exec_lo, s25
	v_mov_b32_e32 v13, 0
	v_mov_b32_e32 v85, 0
	s_mov_b32 s25, exec_lo
	v_cmpx_lt_u64_e64 s[20:21], v[33:34]
	s_cbranch_execz .LBB308_659
; %bb.652:                              ;   in Loop: Header=BB308_16 Depth=1
	v_lshrrev_b32_e32 v7, 24, v34
	v_bfrev_b32_e32 v85, 1
	s_mov_b32 s26, exec_lo
	v_cmpx_ne_u32_e32 0x80, v7
	s_cbranch_execz .LBB308_658
; %bb.653:                              ;   in Loop: Header=BB308_16 Depth=1
	v_and_b32_e32 v12, 0x7f, v7
	v_mov_b32_e32 v85, 0x7c010000
	s_mov_b32 s27, exec_lo
	v_cmpx_ne_u32_e32 0x7f, v12
	s_cbranch_execz .LBB308_657
; %bb.654:                              ;   in Loop: Header=BB308_16 Depth=1
	v_and_b32_e32 v4, 7, v7
	v_lshrrev_b32_e32 v5, 3, v12
	s_mov_b32 s28, exec_lo
	v_cmpx_gt_u32_e32 8, v12
; %bb.655:                              ;   in Loop: Header=BB308_16 Depth=1
	v_ffbh_u32_e32 v4, v4
	v_min_u32_e32 v12, 32, v4
	v_subrev_nc_u32_e32 v4, 28, v12
	v_lshlrev_b64 v[4:5], v4, v[7:8]
	v_sub_nc_u32_e32 v5, 29, v12
	v_and_b32_e32 v4, 7, v4
; %bb.656:                              ;   in Loop: Header=BB308_16 Depth=1
	s_or_b32 exec_lo, exec_lo, s28
	v_lshlrev_b32_e32 v7, 8, v7
	v_lshl_add_u32 v5, v5, 10, 0x2000
	v_lshlrev_b32_e32 v4, 23, v4
	v_and_or_b32 v5, 0x8000, v7, v5
	v_lshl_or_b32 v85, v5, 16, v4
.LBB308_657:                            ;   in Loop: Header=BB308_16 Depth=1
	s_or_b32 exec_lo, exec_lo, s27
.LBB308_658:                            ;   in Loop: Header=BB308_16 Depth=1
	s_or_b32 exec_lo, exec_lo, s26
.LBB308_659:                            ;   in Loop: Header=BB308_16 Depth=1
	s_or_b32 exec_lo, exec_lo, s25
	flat_load_dwordx2 v[33:34], v[31:32] offset:512
	s_waitcnt vmcnt(0) lgkmcnt(0)
	v_cmp_ne_u16_sdwa s5, v33, v8 src0_sel:BYTE_0 src1_sel:DWORD
	s_and_saveexec_b32 s25, s5
	s_cbranch_execz .LBB308_667
; %bb.660:                              ;   in Loop: Header=BB308_16 Depth=1
	v_cmp_ne_u16_sdwa s5, v33, v68 src0_sel:BYTE_0 src1_sel:DWORD
	v_mov_b32_e32 v13, 0x8000
	s_and_saveexec_b32 s26, s5
	s_cbranch_execz .LBB308_666
; %bb.661:                              ;   in Loop: Header=BB308_16 Depth=1
	v_and_b32_e32 v7, 0x7f, v33
	v_mov_b32_e32 v13, 0x7c01
	s_mov_b32 s27, exec_lo
	v_cmpx_ne_u32_e32 0x7f, v7
	s_cbranch_execz .LBB308_665
; %bb.662:                              ;   in Loop: Header=BB308_16 Depth=1
	v_and_b32_e32 v4, 7, v33
	v_lshrrev_b32_e32 v5, 3, v7
	s_mov_b32 s28, exec_lo
	v_cmpx_gt_u32_e32 8, v7
; %bb.663:                              ;   in Loop: Header=BB308_16 Depth=1
	v_ffbh_u32_e32 v4, v4
	v_min_u32_e32 v7, 32, v4
	v_subrev_nc_u32_e32 v4, 28, v7
	v_lshlrev_b64 v[4:5], v4, v[33:34]
	v_sub_nc_u32_e32 v5, 29, v7
	v_and_b32_e32 v4, 7, v4
; %bb.664:                              ;   in Loop: Header=BB308_16 Depth=1
	s_or_b32 exec_lo, exec_lo, s28
	v_lshlrev_b32_e32 v7, 8, v33
	v_lshl_add_u32 v5, v5, 10, 0x2000
	v_lshlrev_b32_e32 v4, 7, v4
	v_and_b32_e32 v7, 0x8000, v7
	v_and_b32_e32 v5, 0xfc00, v5
	v_or3_b32 v13, v7, v5, v4
.LBB308_665:                            ;   in Loop: Header=BB308_16 Depth=1
	s_or_b32 exec_lo, exec_lo, s27
.LBB308_666:                            ;   in Loop: Header=BB308_16 Depth=1
	s_or_b32 exec_lo, exec_lo, s26
.LBB308_667:                            ;   in Loop: Header=BB308_16 Depth=1
	s_or_b32 exec_lo, exec_lo, s25
	v_lshrrev_b16 v7, 8, v33
	v_mov_b32_e32 v22, 0
	v_mov_b32_e32 v20, 0
	s_mov_b32 s25, exec_lo
	v_cmpx_ne_u16_e32 0, v7
	s_cbranch_execz .LBB308_675
; %bb.668:                              ;   in Loop: Header=BB308_16 Depth=1
	v_bfrev_b32_e32 v20, 1
	s_mov_b32 s26, exec_lo
	v_cmpx_ne_u16_e32 0x80, v7
	s_cbranch_execz .LBB308_674
; %bb.669:                              ;   in Loop: Header=BB308_16 Depth=1
	v_mov_b32_e32 v4, 0x7f
	v_mov_b32_e32 v20, 0x7c010000
	s_mov_b32 s27, exec_lo
	v_and_b32_sdwa v12, v7, v4 dst_sel:DWORD dst_unused:UNUSED_PAD src0_sel:WORD_0 src1_sel:DWORD
	v_cmpx_ne_u32_e32 0x7f, v12
	s_cbranch_execz .LBB308_673
; %bb.670:                              ;   in Loop: Header=BB308_16 Depth=1
	v_mov_b32_e32 v4, 7
	v_lshrrev_b32_e32 v5, 3, v12
	s_mov_b32 s28, exec_lo
	v_and_b32_sdwa v4, v7, v4 dst_sel:DWORD dst_unused:UNUSED_PAD src0_sel:WORD_0 src1_sel:DWORD
	v_cmpx_gt_u32_e32 8, v12
; %bb.671:                              ;   in Loop: Header=BB308_16 Depth=1
	v_ffbh_u32_e32 v4, v4
	v_min_u32_e32 v12, 32, v4
	v_subrev_nc_u32_e32 v4, 28, v12
	v_lshlrev_b64 v[4:5], v4, v[7:8]
	v_sub_nc_u32_e32 v5, 29, v12
	v_and_b32_e32 v4, 7, v4
; %bb.672:                              ;   in Loop: Header=BB308_16 Depth=1
	s_or_b32 exec_lo, exec_lo, s28
	v_mov_b32_e32 v12, 8
	v_lshl_add_u32 v5, v5, 10, 0x2000
	v_lshlrev_b32_e32 v4, 23, v4
	v_lshlrev_b32_sdwa v7, v12, v7 dst_sel:DWORD dst_unused:UNUSED_PAD src0_sel:DWORD src1_sel:WORD_0
	v_and_or_b32 v5, 0x8000, v7, v5
	v_lshl_or_b32 v20, v5, 16, v4
.LBB308_673:                            ;   in Loop: Header=BB308_16 Depth=1
	s_or_b32 exec_lo, exec_lo, s27
.LBB308_674:                            ;   in Loop: Header=BB308_16 Depth=1
	s_or_b32 exec_lo, exec_lo, s26
.LBB308_675:                            ;   in Loop: Header=BB308_16 Depth=1
	s_or_b32 exec_lo, exec_lo, s25
	v_lshrrev_b32_e32 v7, 16, v33
	v_cmp_ne_u16_sdwa s5, v7, v8 src0_sel:BYTE_0 src1_sel:DWORD
	s_and_saveexec_b32 s25, s5
	s_cbranch_execz .LBB308_683
; %bb.676:                              ;   in Loop: Header=BB308_16 Depth=1
	v_cmp_ne_u16_sdwa s5, v7, v68 src0_sel:BYTE_0 src1_sel:DWORD
	v_mov_b32_e32 v22, 0x8000
	s_and_saveexec_b32 s26, s5
	s_cbranch_execz .LBB308_682
; %bb.677:                              ;   in Loop: Header=BB308_16 Depth=1
	v_bfe_u32 v12, v33, 16, 7
	v_mov_b32_e32 v22, 0x7c01
	s_mov_b32 s27, exec_lo
	v_cmpx_ne_u32_e32 0x7f, v12
	s_cbranch_execz .LBB308_681
; %bb.678:                              ;   in Loop: Header=BB308_16 Depth=1
	v_and_b32_e32 v4, 7, v7
	v_lshrrev_b32_e32 v5, 3, v12
	s_mov_b32 s28, exec_lo
	v_cmpx_gt_u32_e32 8, v12
; %bb.679:                              ;   in Loop: Header=BB308_16 Depth=1
	v_ffbh_u32_e32 v4, v4
	v_min_u32_e32 v12, 32, v4
	v_subrev_nc_u32_e32 v4, 28, v12
	v_lshlrev_b64 v[4:5], v4, v[7:8]
	v_sub_nc_u32_e32 v5, 29, v12
	v_and_b32_e32 v4, 7, v4
; %bb.680:                              ;   in Loop: Header=BB308_16 Depth=1
	s_or_b32 exec_lo, exec_lo, s28
	v_lshlrev_b32_e32 v7, 8, v7
	v_lshl_add_u32 v5, v5, 10, 0x2000
	v_lshlrev_b32_e32 v4, 7, v4
	v_and_b32_e32 v7, 0x8000, v7
	v_and_b32_e32 v5, 0xfc00, v5
	v_or3_b32 v22, v7, v5, v4
.LBB308_681:                            ;   in Loop: Header=BB308_16 Depth=1
	s_or_b32 exec_lo, exec_lo, s27
.LBB308_682:                            ;   in Loop: Header=BB308_16 Depth=1
	s_or_b32 exec_lo, exec_lo, s26
.LBB308_683:                            ;   in Loop: Header=BB308_16 Depth=1
	s_or_b32 exec_lo, exec_lo, s25
	v_mov_b32_e32 v30, 0
	v_mov_b32_e32 v24, 0
	s_mov_b32 s25, exec_lo
	v_cmpx_lt_u32_e32 0xffffff, v33
	s_cbranch_execz .LBB308_691
; %bb.684:                              ;   in Loop: Header=BB308_16 Depth=1
	v_lshrrev_b32_e32 v7, 24, v33
	v_bfrev_b32_e32 v24, 1
	s_mov_b32 s26, exec_lo
	v_cmpx_ne_u32_e32 0x80, v7
	s_cbranch_execz .LBB308_690
; %bb.685:                              ;   in Loop: Header=BB308_16 Depth=1
	v_and_b32_e32 v12, 0x7f, v7
	v_mov_b32_e32 v24, 0x7c010000
	s_mov_b32 s27, exec_lo
	v_cmpx_ne_u32_e32 0x7f, v12
	s_cbranch_execz .LBB308_689
; %bb.686:                              ;   in Loop: Header=BB308_16 Depth=1
	v_and_b32_e32 v4, 7, v7
	v_lshrrev_b32_e32 v5, 3, v12
	s_mov_b32 s28, exec_lo
	v_cmpx_gt_u32_e32 8, v12
; %bb.687:                              ;   in Loop: Header=BB308_16 Depth=1
	v_ffbh_u32_e32 v4, v4
	v_min_u32_e32 v12, 32, v4
	v_subrev_nc_u32_e32 v4, 28, v12
	v_lshlrev_b64 v[4:5], v4, v[7:8]
	v_sub_nc_u32_e32 v5, 29, v12
	v_and_b32_e32 v4, 7, v4
; %bb.688:                              ;   in Loop: Header=BB308_16 Depth=1
	s_or_b32 exec_lo, exec_lo, s28
	v_lshlrev_b32_e32 v7, 8, v7
	v_lshl_add_u32 v5, v5, 10, 0x2000
	v_lshlrev_b32_e32 v4, 23, v4
	v_and_or_b32 v5, 0x8000, v7, v5
	v_lshl_or_b32 v24, v5, 16, v4
.LBB308_689:                            ;   in Loop: Header=BB308_16 Depth=1
	s_or_b32 exec_lo, exec_lo, s27
.LBB308_690:                            ;   in Loop: Header=BB308_16 Depth=1
	s_or_b32 exec_lo, exec_lo, s26
.LBB308_691:                            ;   in Loop: Header=BB308_16 Depth=1
	s_or_b32 exec_lo, exec_lo, s25
	v_mov_b32_e32 v7, v34
	v_cmp_ne_u16_sdwa s5, v34, v8 src0_sel:BYTE_0 src1_sel:DWORD
	s_and_saveexec_b32 s25, s5
	s_cbranch_execz .LBB308_699
; %bb.692:                              ;   in Loop: Header=BB308_16 Depth=1
	v_cmp_ne_u16_sdwa s5, v34, v68 src0_sel:BYTE_0 src1_sel:DWORD
	v_mov_b32_e32 v30, 0x8000
	s_and_saveexec_b32 s26, s5
	s_cbranch_execz .LBB308_698
; %bb.693:                              ;   in Loop: Header=BB308_16 Depth=1
	v_and_b32_e32 v12, 0x7f, v34
	v_mov_b32_e32 v30, 0x7c01
	s_mov_b32 s27, exec_lo
	v_cmpx_ne_u32_e32 0x7f, v12
	s_cbranch_execz .LBB308_697
; %bb.694:                              ;   in Loop: Header=BB308_16 Depth=1
	v_and_b32_e32 v4, 7, v34
	v_lshrrev_b32_e32 v5, 3, v12
	s_mov_b32 s28, exec_lo
	v_cmpx_gt_u32_e32 8, v12
; %bb.695:                              ;   in Loop: Header=BB308_16 Depth=1
	v_ffbh_u32_e32 v4, v4
	v_min_u32_e32 v12, 32, v4
	v_subrev_nc_u32_e32 v4, 28, v12
	v_lshlrev_b64 v[4:5], v4, v[7:8]
	v_sub_nc_u32_e32 v5, 29, v12
	v_and_b32_e32 v4, 7, v4
; %bb.696:                              ;   in Loop: Header=BB308_16 Depth=1
	s_or_b32 exec_lo, exec_lo, s28
	v_lshlrev_b32_e32 v12, 8, v34
	v_lshl_add_u32 v5, v5, 10, 0x2000
	v_lshlrev_b32_e32 v4, 7, v4
	v_and_b32_e32 v12, 0x8000, v12
	v_and_b32_e32 v5, 0xfc00, v5
	v_or3_b32 v30, v12, v5, v4
.LBB308_697:                            ;   in Loop: Header=BB308_16 Depth=1
	s_or_b32 exec_lo, exec_lo, s27
.LBB308_698:                            ;   in Loop: Header=BB308_16 Depth=1
	s_or_b32 exec_lo, exec_lo, s26
.LBB308_699:                            ;   in Loop: Header=BB308_16 Depth=1
	s_or_b32 exec_lo, exec_lo, s25
	v_lshrrev_b16 v7, 8, v7
	v_mov_b32_e32 v87, 0
	v_mov_b32_e32 v70, 0
	s_mov_b32 s25, exec_lo
	v_cmpx_ne_u16_e32 0, v7
	s_cbranch_execz .LBB308_707
; %bb.700:                              ;   in Loop: Header=BB308_16 Depth=1
	v_bfrev_b32_e32 v70, 1
	s_mov_b32 s26, exec_lo
	v_cmpx_ne_u16_e32 0x80, v7
	s_cbranch_execz .LBB308_706
; %bb.701:                              ;   in Loop: Header=BB308_16 Depth=1
	v_mov_b32_e32 v4, 0x7f
	v_mov_b32_e32 v70, 0x7c010000
	s_mov_b32 s27, exec_lo
	v_and_b32_sdwa v12, v7, v4 dst_sel:DWORD dst_unused:UNUSED_PAD src0_sel:WORD_0 src1_sel:DWORD
	v_cmpx_ne_u32_e32 0x7f, v12
	s_cbranch_execz .LBB308_705
; %bb.702:                              ;   in Loop: Header=BB308_16 Depth=1
	v_mov_b32_e32 v4, 7
	v_lshrrev_b32_e32 v5, 3, v12
	s_mov_b32 s28, exec_lo
	v_and_b32_sdwa v4, v7, v4 dst_sel:DWORD dst_unused:UNUSED_PAD src0_sel:WORD_0 src1_sel:DWORD
	v_cmpx_gt_u32_e32 8, v12
; %bb.703:                              ;   in Loop: Header=BB308_16 Depth=1
	v_ffbh_u32_e32 v4, v4
	v_min_u32_e32 v12, 32, v4
	v_subrev_nc_u32_e32 v4, 28, v12
	v_lshlrev_b64 v[4:5], v4, v[7:8]
	v_sub_nc_u32_e32 v5, 29, v12
	v_and_b32_e32 v4, 7, v4
; %bb.704:                              ;   in Loop: Header=BB308_16 Depth=1
	s_or_b32 exec_lo, exec_lo, s28
	v_mov_b32_e32 v12, 8
	v_lshl_add_u32 v5, v5, 10, 0x2000
	v_lshlrev_b32_e32 v4, 23, v4
	v_lshlrev_b32_sdwa v7, v12, v7 dst_sel:DWORD dst_unused:UNUSED_PAD src0_sel:DWORD src1_sel:WORD_0
	v_and_or_b32 v5, 0x8000, v7, v5
	v_lshl_or_b32 v70, v5, 16, v4
.LBB308_705:                            ;   in Loop: Header=BB308_16 Depth=1
	s_or_b32 exec_lo, exec_lo, s27
.LBB308_706:                            ;   in Loop: Header=BB308_16 Depth=1
	s_or_b32 exec_lo, exec_lo, s26
.LBB308_707:                            ;   in Loop: Header=BB308_16 Depth=1
	s_or_b32 exec_lo, exec_lo, s25
	v_lshrrev_b32_e32 v7, 16, v34
	v_cmp_ne_u16_sdwa s5, v7, v8 src0_sel:BYTE_0 src1_sel:DWORD
	s_and_saveexec_b32 s25, s5
	s_cbranch_execz .LBB308_715
; %bb.708:                              ;   in Loop: Header=BB308_16 Depth=1
	v_cmp_ne_u16_sdwa s5, v7, v68 src0_sel:BYTE_0 src1_sel:DWORD
	v_mov_b32_e32 v87, 0x8000
	s_and_saveexec_b32 s26, s5
	s_cbranch_execz .LBB308_714
; %bb.709:                              ;   in Loop: Header=BB308_16 Depth=1
	v_bfe_u32 v12, v34, 16, 7
	v_mov_b32_e32 v87, 0x7c01
	s_mov_b32 s27, exec_lo
	v_cmpx_ne_u32_e32 0x7f, v12
	s_cbranch_execz .LBB308_713
; %bb.710:                              ;   in Loop: Header=BB308_16 Depth=1
	v_and_b32_e32 v4, 7, v7
	v_lshrrev_b32_e32 v5, 3, v12
	s_mov_b32 s28, exec_lo
	v_cmpx_gt_u32_e32 8, v12
; %bb.711:                              ;   in Loop: Header=BB308_16 Depth=1
	v_ffbh_u32_e32 v4, v4
	v_min_u32_e32 v12, 32, v4
	v_subrev_nc_u32_e32 v4, 28, v12
	v_lshlrev_b64 v[4:5], v4, v[7:8]
	v_sub_nc_u32_e32 v5, 29, v12
	v_and_b32_e32 v4, 7, v4
; %bb.712:                              ;   in Loop: Header=BB308_16 Depth=1
	s_or_b32 exec_lo, exec_lo, s28
	v_lshlrev_b32_e32 v7, 8, v7
	v_lshl_add_u32 v5, v5, 10, 0x2000
	v_lshlrev_b32_e32 v4, 7, v4
	v_and_b32_e32 v7, 0x8000, v7
	v_and_b32_e32 v5, 0xfc00, v5
	v_or3_b32 v87, v7, v5, v4
.LBB308_713:                            ;   in Loop: Header=BB308_16 Depth=1
	s_or_b32 exec_lo, exec_lo, s27
.LBB308_714:                            ;   in Loop: Header=BB308_16 Depth=1
	s_or_b32 exec_lo, exec_lo, s26
.LBB308_715:                            ;   in Loop: Header=BB308_16 Depth=1
	s_or_b32 exec_lo, exec_lo, s25
	v_mov_b32_e32 v12, 0
	v_mov_b32_e32 v97, 0
	s_mov_b32 s25, exec_lo
	v_cmpx_lt_u64_e64 s[20:21], v[33:34]
	s_cbranch_execz .LBB308_723
; %bb.716:                              ;   in Loop: Header=BB308_16 Depth=1
	v_lshrrev_b32_e32 v7, 24, v34
	v_bfrev_b32_e32 v97, 1
	s_mov_b32 s26, exec_lo
	v_cmpx_ne_u32_e32 0x80, v7
	s_cbranch_execz .LBB308_722
; %bb.717:                              ;   in Loop: Header=BB308_16 Depth=1
	v_and_b32_e32 v14, 0x7f, v7
	v_mov_b32_e32 v97, 0x7c010000
	s_mov_b32 s27, exec_lo
	v_cmpx_ne_u32_e32 0x7f, v14
	s_cbranch_execz .LBB308_721
; %bb.718:                              ;   in Loop: Header=BB308_16 Depth=1
	v_and_b32_e32 v4, 7, v7
	v_lshrrev_b32_e32 v5, 3, v14
	s_mov_b32 s28, exec_lo
	v_cmpx_gt_u32_e32 8, v14
; %bb.719:                              ;   in Loop: Header=BB308_16 Depth=1
	v_ffbh_u32_e32 v4, v4
	v_min_u32_e32 v14, 32, v4
	v_subrev_nc_u32_e32 v4, 28, v14
	v_lshlrev_b64 v[4:5], v4, v[7:8]
	v_sub_nc_u32_e32 v5, 29, v14
	v_and_b32_e32 v4, 7, v4
; %bb.720:                              ;   in Loop: Header=BB308_16 Depth=1
	s_or_b32 exec_lo, exec_lo, s28
	v_lshlrev_b32_e32 v7, 8, v7
	v_lshl_add_u32 v5, v5, 10, 0x2000
	v_lshlrev_b32_e32 v4, 23, v4
	v_and_or_b32 v5, 0x8000, v7, v5
	v_lshl_or_b32 v97, v5, 16, v4
.LBB308_721:                            ;   in Loop: Header=BB308_16 Depth=1
	s_or_b32 exec_lo, exec_lo, s27
.LBB308_722:                            ;   in Loop: Header=BB308_16 Depth=1
	s_or_b32 exec_lo, exec_lo, s26
.LBB308_723:                            ;   in Loop: Header=BB308_16 Depth=1
	s_or_b32 exec_lo, exec_lo, s25
	flat_load_dwordx2 v[33:34], v[31:32] offset:520
	s_waitcnt vmcnt(0) lgkmcnt(0)
	v_cmp_ne_u16_sdwa s5, v33, v8 src0_sel:BYTE_0 src1_sel:DWORD
	s_and_saveexec_b32 s25, s5
	s_cbranch_execz .LBB308_731
; %bb.724:                              ;   in Loop: Header=BB308_16 Depth=1
	v_cmp_ne_u16_sdwa s5, v33, v68 src0_sel:BYTE_0 src1_sel:DWORD
	v_mov_b32_e32 v12, 0x8000
	s_and_saveexec_b32 s26, s5
	s_cbranch_execz .LBB308_730
; %bb.725:                              ;   in Loop: Header=BB308_16 Depth=1
	v_and_b32_e32 v7, 0x7f, v33
	v_mov_b32_e32 v12, 0x7c01
	s_mov_b32 s27, exec_lo
	v_cmpx_ne_u32_e32 0x7f, v7
	s_cbranch_execz .LBB308_729
; %bb.726:                              ;   in Loop: Header=BB308_16 Depth=1
	v_and_b32_e32 v4, 7, v33
	v_lshrrev_b32_e32 v5, 3, v7
	s_mov_b32 s28, exec_lo
	v_cmpx_gt_u32_e32 8, v7
; %bb.727:                              ;   in Loop: Header=BB308_16 Depth=1
	v_ffbh_u32_e32 v4, v4
	v_min_u32_e32 v7, 32, v4
	v_subrev_nc_u32_e32 v4, 28, v7
	v_lshlrev_b64 v[4:5], v4, v[33:34]
	v_sub_nc_u32_e32 v5, 29, v7
	v_and_b32_e32 v4, 7, v4
; %bb.728:                              ;   in Loop: Header=BB308_16 Depth=1
	s_or_b32 exec_lo, exec_lo, s28
	v_lshlrev_b32_e32 v7, 8, v33
	v_lshl_add_u32 v5, v5, 10, 0x2000
	v_lshlrev_b32_e32 v4, 7, v4
	v_and_b32_e32 v7, 0x8000, v7
	v_and_b32_e32 v5, 0xfc00, v5
	v_or3_b32 v12, v7, v5, v4
.LBB308_729:                            ;   in Loop: Header=BB308_16 Depth=1
	s_or_b32 exec_lo, exec_lo, s27
.LBB308_730:                            ;   in Loop: Header=BB308_16 Depth=1
	s_or_b32 exec_lo, exec_lo, s26
.LBB308_731:                            ;   in Loop: Header=BB308_16 Depth=1
	s_or_b32 exec_lo, exec_lo, s25
	v_lshrrev_b16 v7, 8, v33
	v_mov_b32_e32 v14, 0
	v_mov_b32_e32 v18, 0
	s_mov_b32 s25, exec_lo
	v_cmpx_ne_u16_e32 0, v7
	s_cbranch_execz .LBB308_739
; %bb.732:                              ;   in Loop: Header=BB308_16 Depth=1
	v_bfrev_b32_e32 v18, 1
	s_mov_b32 s26, exec_lo
	v_cmpx_ne_u16_e32 0x80, v7
	s_cbranch_execz .LBB308_738
; %bb.733:                              ;   in Loop: Header=BB308_16 Depth=1
	v_mov_b32_e32 v4, 0x7f
	v_mov_b32_e32 v18, 0x7c010000
	s_mov_b32 s27, exec_lo
	v_and_b32_sdwa v15, v7, v4 dst_sel:DWORD dst_unused:UNUSED_PAD src0_sel:WORD_0 src1_sel:DWORD
	v_cmpx_ne_u32_e32 0x7f, v15
	s_cbranch_execz .LBB308_737
; %bb.734:                              ;   in Loop: Header=BB308_16 Depth=1
	v_mov_b32_e32 v4, 7
	v_lshrrev_b32_e32 v5, 3, v15
	s_mov_b32 s28, exec_lo
	v_and_b32_sdwa v4, v7, v4 dst_sel:DWORD dst_unused:UNUSED_PAD src0_sel:WORD_0 src1_sel:DWORD
	v_cmpx_gt_u32_e32 8, v15
; %bb.735:                              ;   in Loop: Header=BB308_16 Depth=1
	v_ffbh_u32_e32 v4, v4
	v_min_u32_e32 v15, 32, v4
	v_subrev_nc_u32_e32 v4, 28, v15
	v_lshlrev_b64 v[4:5], v4, v[7:8]
	v_sub_nc_u32_e32 v5, 29, v15
	v_and_b32_e32 v4, 7, v4
; %bb.736:                              ;   in Loop: Header=BB308_16 Depth=1
	s_or_b32 exec_lo, exec_lo, s28
	v_mov_b32_e32 v15, 8
	v_lshl_add_u32 v5, v5, 10, 0x2000
	v_lshlrev_b32_e32 v4, 23, v4
	v_lshlrev_b32_sdwa v7, v15, v7 dst_sel:DWORD dst_unused:UNUSED_PAD src0_sel:DWORD src1_sel:WORD_0
	v_and_or_b32 v5, 0x8000, v7, v5
	v_lshl_or_b32 v18, v5, 16, v4
.LBB308_737:                            ;   in Loop: Header=BB308_16 Depth=1
	s_or_b32 exec_lo, exec_lo, s27
.LBB308_738:                            ;   in Loop: Header=BB308_16 Depth=1
	s_or_b32 exec_lo, exec_lo, s26
.LBB308_739:                            ;   in Loop: Header=BB308_16 Depth=1
	s_or_b32 exec_lo, exec_lo, s25
	v_lshrrev_b32_e32 v7, 16, v33
	v_cmp_ne_u16_sdwa s5, v7, v8 src0_sel:BYTE_0 src1_sel:DWORD
	s_and_saveexec_b32 s25, s5
	s_cbranch_execz .LBB308_747
; %bb.740:                              ;   in Loop: Header=BB308_16 Depth=1
	v_cmp_ne_u16_sdwa s5, v7, v68 src0_sel:BYTE_0 src1_sel:DWORD
	v_mov_b32_e32 v14, 0x8000
	s_and_saveexec_b32 s26, s5
	s_cbranch_execz .LBB308_746
; %bb.741:                              ;   in Loop: Header=BB308_16 Depth=1
	v_bfe_u32 v15, v33, 16, 7
	v_mov_b32_e32 v14, 0x7c01
	s_mov_b32 s27, exec_lo
	v_cmpx_ne_u32_e32 0x7f, v15
	s_cbranch_execz .LBB308_745
; %bb.742:                              ;   in Loop: Header=BB308_16 Depth=1
	v_and_b32_e32 v4, 7, v7
	v_lshrrev_b32_e32 v5, 3, v15
	s_mov_b32 s28, exec_lo
	v_cmpx_gt_u32_e32 8, v15
; %bb.743:                              ;   in Loop: Header=BB308_16 Depth=1
	v_ffbh_u32_e32 v4, v4
	v_min_u32_e32 v14, 32, v4
	v_subrev_nc_u32_e32 v4, 28, v14
	v_lshlrev_b64 v[4:5], v4, v[7:8]
	v_sub_nc_u32_e32 v5, 29, v14
	v_and_b32_e32 v4, 7, v4
; %bb.744:                              ;   in Loop: Header=BB308_16 Depth=1
	s_or_b32 exec_lo, exec_lo, s28
	v_lshlrev_b32_e32 v7, 8, v7
	v_lshl_add_u32 v5, v5, 10, 0x2000
	v_lshlrev_b32_e32 v4, 7, v4
	v_and_b32_e32 v7, 0x8000, v7
	v_and_b32_e32 v5, 0xfc00, v5
	v_or3_b32 v14, v7, v5, v4
.LBB308_745:                            ;   in Loop: Header=BB308_16 Depth=1
	s_or_b32 exec_lo, exec_lo, s27
.LBB308_746:                            ;   in Loop: Header=BB308_16 Depth=1
	s_or_b32 exec_lo, exec_lo, s26
.LBB308_747:                            ;   in Loop: Header=BB308_16 Depth=1
	s_or_b32 exec_lo, exec_lo, s25
	v_mov_b32_e32 v19, 0
	v_mov_b32_e32 v15, 0
	s_mov_b32 s25, exec_lo
	v_cmpx_lt_u32_e32 0xffffff, v33
	s_cbranch_execz .LBB308_755
; %bb.748:                              ;   in Loop: Header=BB308_16 Depth=1
	v_lshrrev_b32_e32 v7, 24, v33
	v_bfrev_b32_e32 v15, 1
	s_mov_b32 s26, exec_lo
	v_cmpx_ne_u32_e32 0x80, v7
	s_cbranch_execz .LBB308_754
; %bb.749:                              ;   in Loop: Header=BB308_16 Depth=1
	v_and_b32_e32 v16, 0x7f, v7
	v_mov_b32_e32 v15, 0x7c010000
	s_mov_b32 s27, exec_lo
	v_cmpx_ne_u32_e32 0x7f, v16
	s_cbranch_execz .LBB308_753
; %bb.750:                              ;   in Loop: Header=BB308_16 Depth=1
	v_and_b32_e32 v4, 7, v7
	v_lshrrev_b32_e32 v5, 3, v16
	s_mov_b32 s28, exec_lo
	v_cmpx_gt_u32_e32 8, v16
; %bb.751:                              ;   in Loop: Header=BB308_16 Depth=1
	v_ffbh_u32_e32 v4, v4
	v_min_u32_e32 v15, 32, v4
	v_subrev_nc_u32_e32 v4, 28, v15
	v_lshlrev_b64 v[4:5], v4, v[7:8]
	v_sub_nc_u32_e32 v5, 29, v15
	v_and_b32_e32 v4, 7, v4
; %bb.752:                              ;   in Loop: Header=BB308_16 Depth=1
	s_or_b32 exec_lo, exec_lo, s28
	v_lshlrev_b32_e32 v7, 8, v7
	v_lshl_add_u32 v5, v5, 10, 0x2000
	v_lshlrev_b32_e32 v4, 23, v4
	v_and_or_b32 v5, 0x8000, v7, v5
	v_lshl_or_b32 v15, v5, 16, v4
.LBB308_753:                            ;   in Loop: Header=BB308_16 Depth=1
	s_or_b32 exec_lo, exec_lo, s27
.LBB308_754:                            ;   in Loop: Header=BB308_16 Depth=1
	s_or_b32 exec_lo, exec_lo, s26
.LBB308_755:                            ;   in Loop: Header=BB308_16 Depth=1
	s_or_b32 exec_lo, exec_lo, s25
	v_mov_b32_e32 v7, v34
	v_cmp_ne_u16_sdwa s5, v34, v8 src0_sel:BYTE_0 src1_sel:DWORD
	s_and_saveexec_b32 s25, s5
	s_cbranch_execz .LBB308_763
; %bb.756:                              ;   in Loop: Header=BB308_16 Depth=1
	v_cmp_ne_u16_sdwa s5, v34, v68 src0_sel:BYTE_0 src1_sel:DWORD
	v_mov_b32_e32 v19, 0x8000
	s_and_saveexec_b32 s26, s5
	s_cbranch_execz .LBB308_762
; %bb.757:                              ;   in Loop: Header=BB308_16 Depth=1
	v_and_b32_e32 v16, 0x7f, v34
	v_mov_b32_e32 v19, 0x7c01
	s_mov_b32 s27, exec_lo
	v_cmpx_ne_u32_e32 0x7f, v16
	s_cbranch_execz .LBB308_761
; %bb.758:                              ;   in Loop: Header=BB308_16 Depth=1
	v_and_b32_e32 v4, 7, v34
	v_lshrrev_b32_e32 v5, 3, v16
	s_mov_b32 s28, exec_lo
	v_cmpx_gt_u32_e32 8, v16
; %bb.759:                              ;   in Loop: Header=BB308_16 Depth=1
	v_ffbh_u32_e32 v4, v4
	v_min_u32_e32 v16, 32, v4
	v_subrev_nc_u32_e32 v4, 28, v16
	v_lshlrev_b64 v[4:5], v4, v[7:8]
	v_sub_nc_u32_e32 v5, 29, v16
	v_and_b32_e32 v4, 7, v4
; %bb.760:                              ;   in Loop: Header=BB308_16 Depth=1
	s_or_b32 exec_lo, exec_lo, s28
	v_lshlrev_b32_e32 v16, 8, v34
	v_lshl_add_u32 v5, v5, 10, 0x2000
	v_lshlrev_b32_e32 v4, 7, v4
	v_and_b32_e32 v16, 0x8000, v16
	v_and_b32_e32 v5, 0xfc00, v5
	v_or3_b32 v19, v16, v5, v4
.LBB308_761:                            ;   in Loop: Header=BB308_16 Depth=1
	s_or_b32 exec_lo, exec_lo, s27
.LBB308_762:                            ;   in Loop: Header=BB308_16 Depth=1
	s_or_b32 exec_lo, exec_lo, s26
.LBB308_763:                            ;   in Loop: Header=BB308_16 Depth=1
	s_or_b32 exec_lo, exec_lo, s25
	v_lshrrev_b16 v7, 8, v7
	v_mov_b32_e32 v25, 0
	v_mov_b32_e32 v52, 0
	s_mov_b32 s25, exec_lo
	v_cmpx_ne_u16_e32 0, v7
	s_cbranch_execz .LBB308_771
; %bb.764:                              ;   in Loop: Header=BB308_16 Depth=1
	v_bfrev_b32_e32 v52, 1
	s_mov_b32 s26, exec_lo
	v_cmpx_ne_u16_e32 0x80, v7
	s_cbranch_execz .LBB308_770
; %bb.765:                              ;   in Loop: Header=BB308_16 Depth=1
	v_mov_b32_e32 v4, 0x7f
	v_mov_b32_e32 v52, 0x7c010000
	s_mov_b32 s27, exec_lo
	v_and_b32_sdwa v16, v7, v4 dst_sel:DWORD dst_unused:UNUSED_PAD src0_sel:WORD_0 src1_sel:DWORD
	v_cmpx_ne_u32_e32 0x7f, v16
	s_cbranch_execz .LBB308_769
; %bb.766:                              ;   in Loop: Header=BB308_16 Depth=1
	v_mov_b32_e32 v4, 7
	v_lshrrev_b32_e32 v5, 3, v16
	s_mov_b32 s28, exec_lo
	v_and_b32_sdwa v4, v7, v4 dst_sel:DWORD dst_unused:UNUSED_PAD src0_sel:WORD_0 src1_sel:DWORD
	v_cmpx_gt_u32_e32 8, v16
; %bb.767:                              ;   in Loop: Header=BB308_16 Depth=1
	v_ffbh_u32_e32 v4, v4
	v_min_u32_e32 v16, 32, v4
	v_subrev_nc_u32_e32 v4, 28, v16
	v_lshlrev_b64 v[4:5], v4, v[7:8]
	v_sub_nc_u32_e32 v5, 29, v16
	v_and_b32_e32 v4, 7, v4
; %bb.768:                              ;   in Loop: Header=BB308_16 Depth=1
	s_or_b32 exec_lo, exec_lo, s28
	v_mov_b32_e32 v16, 8
	v_lshl_add_u32 v5, v5, 10, 0x2000
	v_lshlrev_b32_e32 v4, 23, v4
	v_lshlrev_b32_sdwa v7, v16, v7 dst_sel:DWORD dst_unused:UNUSED_PAD src0_sel:DWORD src1_sel:WORD_0
	v_and_or_b32 v5, 0x8000, v7, v5
	v_lshl_or_b32 v52, v5, 16, v4
.LBB308_769:                            ;   in Loop: Header=BB308_16 Depth=1
	s_or_b32 exec_lo, exec_lo, s27
.LBB308_770:                            ;   in Loop: Header=BB308_16 Depth=1
	s_or_b32 exec_lo, exec_lo, s26
.LBB308_771:                            ;   in Loop: Header=BB308_16 Depth=1
	s_or_b32 exec_lo, exec_lo, s25
	v_lshrrev_b32_e32 v7, 16, v34
	v_cmp_ne_u16_sdwa s5, v7, v8 src0_sel:BYTE_0 src1_sel:DWORD
	s_and_saveexec_b32 s25, s5
	s_cbranch_execz .LBB308_779
; %bb.772:                              ;   in Loop: Header=BB308_16 Depth=1
	v_cmp_ne_u16_sdwa s5, v7, v68 src0_sel:BYTE_0 src1_sel:DWORD
	v_mov_b32_e32 v25, 0x8000
	s_and_saveexec_b32 s26, s5
	s_cbranch_execz .LBB308_778
; %bb.773:                              ;   in Loop: Header=BB308_16 Depth=1
	v_bfe_u32 v16, v34, 16, 7
	v_mov_b32_e32 v25, 0x7c01
	s_mov_b32 s27, exec_lo
	v_cmpx_ne_u32_e32 0x7f, v16
	s_cbranch_execz .LBB308_777
; %bb.774:                              ;   in Loop: Header=BB308_16 Depth=1
	v_and_b32_e32 v4, 7, v7
	v_lshrrev_b32_e32 v5, 3, v16
	s_mov_b32 s28, exec_lo
	v_cmpx_gt_u32_e32 8, v16
; %bb.775:                              ;   in Loop: Header=BB308_16 Depth=1
	v_ffbh_u32_e32 v4, v4
	v_min_u32_e32 v16, 32, v4
	v_subrev_nc_u32_e32 v4, 28, v16
	v_lshlrev_b64 v[4:5], v4, v[7:8]
	v_sub_nc_u32_e32 v5, 29, v16
	v_and_b32_e32 v4, 7, v4
; %bb.776:                              ;   in Loop: Header=BB308_16 Depth=1
	s_or_b32 exec_lo, exec_lo, s28
	v_lshlrev_b32_e32 v7, 8, v7
	v_lshl_add_u32 v5, v5, 10, 0x2000
	v_lshlrev_b32_e32 v4, 7, v4
	v_and_b32_e32 v7, 0x8000, v7
	v_and_b32_e32 v5, 0xfc00, v5
	v_or3_b32 v25, v7, v5, v4
.LBB308_777:                            ;   in Loop: Header=BB308_16 Depth=1
	s_or_b32 exec_lo, exec_lo, s27
.LBB308_778:                            ;   in Loop: Header=BB308_16 Depth=1
	s_or_b32 exec_lo, exec_lo, s26
.LBB308_779:                            ;   in Loop: Header=BB308_16 Depth=1
	s_or_b32 exec_lo, exec_lo, s25
	v_mov_b32_e32 v4, 0
	v_mov_b32_e32 v54, 0
	s_mov_b32 s25, exec_lo
	v_cmpx_lt_u64_e64 s[20:21], v[33:34]
	s_cbranch_execz .LBB308_787
; %bb.780:                              ;   in Loop: Header=BB308_16 Depth=1
	v_lshrrev_b32_e32 v7, 24, v34
	v_bfrev_b32_e32 v54, 1
	s_mov_b32 s26, exec_lo
	v_cmpx_ne_u32_e32 0x80, v7
	s_cbranch_execz .LBB308_786
; %bb.781:                              ;   in Loop: Header=BB308_16 Depth=1
	v_and_b32_e32 v17, 0x7f, v7
	v_mov_b32_e32 v54, 0x7c010000
	s_mov_b32 s27, exec_lo
	v_cmpx_ne_u32_e32 0x7f, v17
	s_cbranch_execz .LBB308_785
; %bb.782:                              ;   in Loop: Header=BB308_16 Depth=1
	v_and_b32_e32 v5, 7, v7
	v_lshrrev_b32_e32 v16, 3, v17
	s_mov_b32 s28, exec_lo
	v_cmpx_gt_u32_e32 8, v17
; %bb.783:                              ;   in Loop: Header=BB308_16 Depth=1
	v_ffbh_u32_e32 v5, v5
	v_min_u32_e32 v5, 32, v5
	v_subrev_nc_u32_e32 v16, 28, v5
	v_lshlrev_b64 v[26:27], v16, v[7:8]
	v_sub_nc_u32_e32 v16, 29, v5
	v_and_b32_e32 v5, 7, v26
; %bb.784:                              ;   in Loop: Header=BB308_16 Depth=1
	s_or_b32 exec_lo, exec_lo, s28
	v_lshlrev_b32_e32 v7, 8, v7
	v_lshl_add_u32 v16, v16, 10, 0x2000
	v_lshlrev_b32_e32 v5, 23, v5
	v_and_or_b32 v7, 0x8000, v7, v16
	v_lshl_or_b32 v54, v7, 16, v5
.LBB308_785:                            ;   in Loop: Header=BB308_16 Depth=1
	s_or_b32 exec_lo, exec_lo, s27
.LBB308_786:                            ;   in Loop: Header=BB308_16 Depth=1
	s_or_b32 exec_lo, exec_lo, s26
.LBB308_787:                            ;   in Loop: Header=BB308_16 Depth=1
	s_or_b32 exec_lo, exec_lo, s25
	flat_load_dwordx2 v[33:34], v[31:32] offset:1024
	s_waitcnt vmcnt(0) lgkmcnt(0)
	v_cmp_ne_u16_sdwa s5, v33, v8 src0_sel:BYTE_0 src1_sel:DWORD
	s_and_saveexec_b32 s25, s5
	s_cbranch_execz .LBB308_795
; %bb.788:                              ;   in Loop: Header=BB308_16 Depth=1
	v_cmp_ne_u16_sdwa s5, v33, v68 src0_sel:BYTE_0 src1_sel:DWORD
	v_mov_b32_e32 v4, 0x8000
	s_and_saveexec_b32 s26, s5
	s_cbranch_execz .LBB308_794
; %bb.789:                              ;   in Loop: Header=BB308_16 Depth=1
	v_and_b32_e32 v7, 0x7f, v33
	v_mov_b32_e32 v4, 0x7c01
	s_mov_b32 s27, exec_lo
	v_cmpx_ne_u32_e32 0x7f, v7
	s_cbranch_execz .LBB308_793
; %bb.790:                              ;   in Loop: Header=BB308_16 Depth=1
	v_and_b32_e32 v4, 7, v33
	v_lshrrev_b32_e32 v5, 3, v7
	s_mov_b32 s28, exec_lo
	v_cmpx_gt_u32_e32 8, v7
; %bb.791:                              ;   in Loop: Header=BB308_16 Depth=1
	v_ffbh_u32_e32 v4, v4
	v_min_u32_e32 v7, 32, v4
	v_subrev_nc_u32_e32 v4, 28, v7
	v_lshlrev_b64 v[4:5], v4, v[33:34]
	v_sub_nc_u32_e32 v5, 29, v7
	v_and_b32_e32 v4, 7, v4
; %bb.792:                              ;   in Loop: Header=BB308_16 Depth=1
	s_or_b32 exec_lo, exec_lo, s28
	v_lshlrev_b32_e32 v7, 8, v33
	v_lshl_add_u32 v5, v5, 10, 0x2000
	v_lshlrev_b32_e32 v4, 7, v4
	v_and_b32_e32 v7, 0x8000, v7
	v_and_b32_e32 v5, 0xfc00, v5
	v_or3_b32 v4, v7, v5, v4
.LBB308_793:                            ;   in Loop: Header=BB308_16 Depth=1
	s_or_b32 exec_lo, exec_lo, s27
.LBB308_794:                            ;   in Loop: Header=BB308_16 Depth=1
	s_or_b32 exec_lo, exec_lo, s26
.LBB308_795:                            ;   in Loop: Header=BB308_16 Depth=1
	s_or_b32 exec_lo, exec_lo, s25
	v_lshrrev_b16 v7, 8, v33
	v_mov_b32_e32 v38, 0
	v_mov_b32_e32 v5, 0
	s_mov_b32 s25, exec_lo
	v_cmpx_ne_u16_e32 0, v7
	s_cbranch_execz .LBB308_803
; %bb.796:                              ;   in Loop: Header=BB308_16 Depth=1
	v_bfrev_b32_e32 v5, 1
	s_mov_b32 s26, exec_lo
	v_cmpx_ne_u16_e32 0x80, v7
	s_cbranch_execz .LBB308_802
; %bb.797:                              ;   in Loop: Header=BB308_16 Depth=1
	v_mov_b32_e32 v5, 0x7f
	s_mov_b32 s27, exec_lo
	v_and_b32_sdwa v17, v7, v5 dst_sel:DWORD dst_unused:UNUSED_PAD src0_sel:WORD_0 src1_sel:DWORD
	v_mov_b32_e32 v5, 0x7c010000
	v_cmpx_ne_u32_e32 0x7f, v17
	s_cbranch_execz .LBB308_801
; %bb.798:                              ;   in Loop: Header=BB308_16 Depth=1
	v_mov_b32_e32 v5, 7
	v_lshrrev_b32_e32 v16, 3, v17
	s_mov_b32 s28, exec_lo
	v_and_b32_sdwa v5, v7, v5 dst_sel:DWORD dst_unused:UNUSED_PAD src0_sel:WORD_0 src1_sel:DWORD
	v_cmpx_gt_u32_e32 8, v17
; %bb.799:                              ;   in Loop: Header=BB308_16 Depth=1
	v_ffbh_u32_e32 v5, v5
	v_min_u32_e32 v5, 32, v5
	v_subrev_nc_u32_e32 v16, 28, v5
	v_lshlrev_b64 v[26:27], v16, v[7:8]
	v_sub_nc_u32_e32 v16, 29, v5
	v_and_b32_e32 v5, 7, v26
; %bb.800:                              ;   in Loop: Header=BB308_16 Depth=1
	s_or_b32 exec_lo, exec_lo, s28
	v_mov_b32_e32 v17, 8
	v_lshl_add_u32 v16, v16, 10, 0x2000
	v_lshlrev_b32_e32 v5, 23, v5
	v_lshlrev_b32_sdwa v7, v17, v7 dst_sel:DWORD dst_unused:UNUSED_PAD src0_sel:DWORD src1_sel:WORD_0
	v_and_or_b32 v7, 0x8000, v7, v16
	v_lshl_or_b32 v5, v7, 16, v5
.LBB308_801:                            ;   in Loop: Header=BB308_16 Depth=1
	s_or_b32 exec_lo, exec_lo, s27
.LBB308_802:                            ;   in Loop: Header=BB308_16 Depth=1
	s_or_b32 exec_lo, exec_lo, s26
.LBB308_803:                            ;   in Loop: Header=BB308_16 Depth=1
	s_or_b32 exec_lo, exec_lo, s25
	v_lshrrev_b32_e32 v7, 16, v33
	v_cmp_ne_u16_sdwa s5, v7, v8 src0_sel:BYTE_0 src1_sel:DWORD
	s_and_saveexec_b32 s25, s5
	s_cbranch_execz .LBB308_811
; %bb.804:                              ;   in Loop: Header=BB308_16 Depth=1
	v_cmp_ne_u16_sdwa s5, v7, v68 src0_sel:BYTE_0 src1_sel:DWORD
	v_mov_b32_e32 v38, 0x8000
	s_and_saveexec_b32 s26, s5
	s_cbranch_execz .LBB308_810
; %bb.805:                              ;   in Loop: Header=BB308_16 Depth=1
	v_bfe_u32 v26, v33, 16, 7
	v_mov_b32_e32 v38, 0x7c01
	s_mov_b32 s27, exec_lo
	v_cmpx_ne_u32_e32 0x7f, v26
	s_cbranch_execz .LBB308_809
; %bb.806:                              ;   in Loop: Header=BB308_16 Depth=1
	v_and_b32_e32 v16, 7, v7
	v_lshrrev_b32_e32 v17, 3, v26
	s_mov_b32 s28, exec_lo
	v_cmpx_gt_u32_e32 8, v26
; %bb.807:                              ;   in Loop: Header=BB308_16 Depth=1
	v_ffbh_u32_e32 v16, v16
	v_min_u32_e32 v26, 32, v16
	v_subrev_nc_u32_e32 v16, 28, v26
	v_lshlrev_b64 v[16:17], v16, v[7:8]
	v_sub_nc_u32_e32 v17, 29, v26
	v_and_b32_e32 v16, 7, v16
; %bb.808:                              ;   in Loop: Header=BB308_16 Depth=1
	s_or_b32 exec_lo, exec_lo, s28
	v_lshlrev_b32_e32 v7, 8, v7
	v_lshl_add_u32 v17, v17, 10, 0x2000
	v_lshlrev_b32_e32 v16, 7, v16
	v_and_b32_e32 v7, 0x8000, v7
	v_and_b32_e32 v17, 0xfc00, v17
	v_or3_b32 v38, v7, v17, v16
.LBB308_809:                            ;   in Loop: Header=BB308_16 Depth=1
	s_or_b32 exec_lo, exec_lo, s27
.LBB308_810:                            ;   in Loop: Header=BB308_16 Depth=1
	s_or_b32 exec_lo, exec_lo, s26
.LBB308_811:                            ;   in Loop: Header=BB308_16 Depth=1
	s_or_b32 exec_lo, exec_lo, s25
	v_mov_b32_e32 v71, 0
	v_mov_b32_e32 v53, 0
	s_mov_b32 s25, exec_lo
	v_cmpx_lt_u32_e32 0xffffff, v33
	s_cbranch_execz .LBB308_819
; %bb.812:                              ;   in Loop: Header=BB308_16 Depth=1
	v_lshrrev_b32_e32 v7, 24, v33
	v_bfrev_b32_e32 v53, 1
	s_mov_b32 s26, exec_lo
	v_cmpx_ne_u32_e32 0x80, v7
	s_cbranch_execz .LBB308_818
; %bb.813:                              ;   in Loop: Header=BB308_16 Depth=1
	v_and_b32_e32 v26, 0x7f, v7
	v_mov_b32_e32 v53, 0x7c010000
	s_mov_b32 s27, exec_lo
	v_cmpx_ne_u32_e32 0x7f, v26
	s_cbranch_execz .LBB308_817
; %bb.814:                              ;   in Loop: Header=BB308_16 Depth=1
	v_and_b32_e32 v16, 7, v7
	v_lshrrev_b32_e32 v17, 3, v26
	s_mov_b32 s28, exec_lo
	v_cmpx_gt_u32_e32 8, v26
; %bb.815:                              ;   in Loop: Header=BB308_16 Depth=1
	v_ffbh_u32_e32 v16, v16
	v_min_u32_e32 v26, 32, v16
	v_subrev_nc_u32_e32 v16, 28, v26
	v_lshlrev_b64 v[16:17], v16, v[7:8]
	v_sub_nc_u32_e32 v17, 29, v26
	v_and_b32_e32 v16, 7, v16
; %bb.816:                              ;   in Loop: Header=BB308_16 Depth=1
	s_or_b32 exec_lo, exec_lo, s28
	v_lshlrev_b32_e32 v7, 8, v7
	v_lshl_add_u32 v17, v17, 10, 0x2000
	v_lshlrev_b32_e32 v16, 23, v16
	v_and_or_b32 v7, 0x8000, v7, v17
	v_lshl_or_b32 v53, v7, 16, v16
.LBB308_817:                            ;   in Loop: Header=BB308_16 Depth=1
	s_or_b32 exec_lo, exec_lo, s27
.LBB308_818:                            ;   in Loop: Header=BB308_16 Depth=1
	s_or_b32 exec_lo, exec_lo, s26
.LBB308_819:                            ;   in Loop: Header=BB308_16 Depth=1
	s_or_b32 exec_lo, exec_lo, s25
	v_mov_b32_e32 v7, v34
	v_cmp_ne_u16_sdwa s5, v34, v8 src0_sel:BYTE_0 src1_sel:DWORD
	s_and_saveexec_b32 s25, s5
	s_cbranch_execz .LBB308_827
; %bb.820:                              ;   in Loop: Header=BB308_16 Depth=1
	v_cmp_ne_u16_sdwa s5, v34, v68 src0_sel:BYTE_0 src1_sel:DWORD
	v_mov_b32_e32 v71, 0x8000
	s_and_saveexec_b32 s26, s5
	s_cbranch_execz .LBB308_826
; %bb.821:                              ;   in Loop: Header=BB308_16 Depth=1
	v_and_b32_e32 v26, 0x7f, v34
	v_mov_b32_e32 v71, 0x7c01
	s_mov_b32 s27, exec_lo
	v_cmpx_ne_u32_e32 0x7f, v26
	s_cbranch_execz .LBB308_825
; %bb.822:                              ;   in Loop: Header=BB308_16 Depth=1
	v_and_b32_e32 v16, 7, v34
	v_lshrrev_b32_e32 v17, 3, v26
	s_mov_b32 s28, exec_lo
	v_cmpx_gt_u32_e32 8, v26
; %bb.823:                              ;   in Loop: Header=BB308_16 Depth=1
	v_ffbh_u32_e32 v16, v16
	v_min_u32_e32 v26, 32, v16
	v_subrev_nc_u32_e32 v16, 28, v26
	v_lshlrev_b64 v[16:17], v16, v[7:8]
	v_sub_nc_u32_e32 v17, 29, v26
	v_and_b32_e32 v16, 7, v16
; %bb.824:                              ;   in Loop: Header=BB308_16 Depth=1
	s_or_b32 exec_lo, exec_lo, s28
	v_lshlrev_b32_e32 v26, 8, v34
	v_lshl_add_u32 v17, v17, 10, 0x2000
	v_lshlrev_b32_e32 v16, 7, v16
	v_and_b32_e32 v26, 0x8000, v26
	v_and_b32_e32 v17, 0xfc00, v17
	v_or3_b32 v71, v26, v17, v16
.LBB308_825:                            ;   in Loop: Header=BB308_16 Depth=1
	s_or_b32 exec_lo, exec_lo, s27
.LBB308_826:                            ;   in Loop: Header=BB308_16 Depth=1
	s_or_b32 exec_lo, exec_lo, s26
.LBB308_827:                            ;   in Loop: Header=BB308_16 Depth=1
	s_or_b32 exec_lo, exec_lo, s25
	v_lshrrev_b16 v7, 8, v7
	v_mov_b32_e32 v100, 0
	v_mov_b32_e32 v102, 0
	s_mov_b32 s25, exec_lo
	v_cmpx_ne_u16_e32 0, v7
	s_cbranch_execz .LBB308_835
; %bb.828:                              ;   in Loop: Header=BB308_16 Depth=1
	v_bfrev_b32_e32 v102, 1
	s_mov_b32 s26, exec_lo
	v_cmpx_ne_u16_e32 0x80, v7
	s_cbranch_execz .LBB308_834
; %bb.829:                              ;   in Loop: Header=BB308_16 Depth=1
	v_mov_b32_e32 v16, 0x7f
	v_mov_b32_e32 v102, 0x7c010000
	s_mov_b32 s27, exec_lo
	v_and_b32_sdwa v26, v7, v16 dst_sel:DWORD dst_unused:UNUSED_PAD src0_sel:WORD_0 src1_sel:DWORD
	v_cmpx_ne_u32_e32 0x7f, v26
	s_cbranch_execz .LBB308_833
; %bb.830:                              ;   in Loop: Header=BB308_16 Depth=1
	v_mov_b32_e32 v16, 7
	v_lshrrev_b32_e32 v17, 3, v26
	s_mov_b32 s28, exec_lo
	v_and_b32_sdwa v16, v7, v16 dst_sel:DWORD dst_unused:UNUSED_PAD src0_sel:WORD_0 src1_sel:DWORD
	v_cmpx_gt_u32_e32 8, v26
; %bb.831:                              ;   in Loop: Header=BB308_16 Depth=1
	v_ffbh_u32_e32 v16, v16
	v_min_u32_e32 v26, 32, v16
	v_subrev_nc_u32_e32 v16, 28, v26
	v_lshlrev_b64 v[16:17], v16, v[7:8]
	v_sub_nc_u32_e32 v17, 29, v26
	v_and_b32_e32 v16, 7, v16
; %bb.832:                              ;   in Loop: Header=BB308_16 Depth=1
	s_or_b32 exec_lo, exec_lo, s28
	v_mov_b32_e32 v26, 8
	v_lshl_add_u32 v17, v17, 10, 0x2000
	v_lshlrev_b32_e32 v16, 23, v16
	v_lshlrev_b32_sdwa v7, v26, v7 dst_sel:DWORD dst_unused:UNUSED_PAD src0_sel:DWORD src1_sel:WORD_0
	v_and_or_b32 v7, 0x8000, v7, v17
	v_lshl_or_b32 v102, v7, 16, v16
.LBB308_833:                            ;   in Loop: Header=BB308_16 Depth=1
	s_or_b32 exec_lo, exec_lo, s27
.LBB308_834:                            ;   in Loop: Header=BB308_16 Depth=1
	s_or_b32 exec_lo, exec_lo, s26
.LBB308_835:                            ;   in Loop: Header=BB308_16 Depth=1
	s_or_b32 exec_lo, exec_lo, s25
	v_lshrrev_b32_e32 v7, 16, v34
	v_cmp_ne_u16_sdwa s5, v7, v8 src0_sel:BYTE_0 src1_sel:DWORD
	s_and_saveexec_b32 s25, s5
	s_cbranch_execz .LBB308_843
; %bb.836:                              ;   in Loop: Header=BB308_16 Depth=1
	v_cmp_ne_u16_sdwa s5, v7, v68 src0_sel:BYTE_0 src1_sel:DWORD
	v_mov_b32_e32 v100, 0x8000
	s_and_saveexec_b32 s26, s5
	s_cbranch_execz .LBB308_842
; %bb.837:                              ;   in Loop: Header=BB308_16 Depth=1
	v_bfe_u32 v26, v34, 16, 7
	v_mov_b32_e32 v100, 0x7c01
	s_mov_b32 s27, exec_lo
	v_cmpx_ne_u32_e32 0x7f, v26
	s_cbranch_execz .LBB308_841
; %bb.838:                              ;   in Loop: Header=BB308_16 Depth=1
	v_and_b32_e32 v16, 7, v7
	v_lshrrev_b32_e32 v17, 3, v26
	s_mov_b32 s28, exec_lo
	v_cmpx_gt_u32_e32 8, v26
; %bb.839:                              ;   in Loop: Header=BB308_16 Depth=1
	v_ffbh_u32_e32 v16, v16
	v_min_u32_e32 v26, 32, v16
	v_subrev_nc_u32_e32 v16, 28, v26
	v_lshlrev_b64 v[16:17], v16, v[7:8]
	v_sub_nc_u32_e32 v17, 29, v26
	v_and_b32_e32 v16, 7, v16
; %bb.840:                              ;   in Loop: Header=BB308_16 Depth=1
	s_or_b32 exec_lo, exec_lo, s28
	v_lshlrev_b32_e32 v7, 8, v7
	v_lshl_add_u32 v17, v17, 10, 0x2000
	v_lshlrev_b32_e32 v16, 7, v16
	v_and_b32_e32 v7, 0x8000, v7
	v_and_b32_e32 v17, 0xfc00, v17
	v_or3_b32 v100, v7, v17, v16
.LBB308_841:                            ;   in Loop: Header=BB308_16 Depth=1
	s_or_b32 exec_lo, exec_lo, s27
.LBB308_842:                            ;   in Loop: Header=BB308_16 Depth=1
	s_or_b32 exec_lo, exec_lo, s26
.LBB308_843:                            ;   in Loop: Header=BB308_16 Depth=1
	s_or_b32 exec_lo, exec_lo, s25
	v_mov_b32_e32 v118, 0
	v_mov_b32_e32 v116, 0
	s_mov_b32 s25, exec_lo
	v_cmpx_lt_u64_e64 s[20:21], v[33:34]
	s_cbranch_execz .LBB308_851
; %bb.844:                              ;   in Loop: Header=BB308_16 Depth=1
	v_lshrrev_b32_e32 v7, 24, v34
	v_bfrev_b32_e32 v116, 1
	s_mov_b32 s26, exec_lo
	v_cmpx_ne_u32_e32 0x80, v7
	s_cbranch_execz .LBB308_850
; %bb.845:                              ;   in Loop: Header=BB308_16 Depth=1
	v_and_b32_e32 v26, 0x7f, v7
	v_mov_b32_e32 v116, 0x7c010000
	s_mov_b32 s27, exec_lo
	v_cmpx_ne_u32_e32 0x7f, v26
	s_cbranch_execz .LBB308_849
; %bb.846:                              ;   in Loop: Header=BB308_16 Depth=1
	v_and_b32_e32 v16, 7, v7
	v_lshrrev_b32_e32 v17, 3, v26
	s_mov_b32 s28, exec_lo
	v_cmpx_gt_u32_e32 8, v26
; %bb.847:                              ;   in Loop: Header=BB308_16 Depth=1
	v_ffbh_u32_e32 v16, v16
	v_min_u32_e32 v26, 32, v16
	v_subrev_nc_u32_e32 v16, 28, v26
	v_lshlrev_b64 v[16:17], v16, v[7:8]
	v_sub_nc_u32_e32 v17, 29, v26
	v_and_b32_e32 v16, 7, v16
; %bb.848:                              ;   in Loop: Header=BB308_16 Depth=1
	s_or_b32 exec_lo, exec_lo, s28
	v_lshlrev_b32_e32 v7, 8, v7
	v_lshl_add_u32 v17, v17, 10, 0x2000
	v_lshlrev_b32_e32 v16, 23, v16
	v_and_or_b32 v7, 0x8000, v7, v17
	v_lshl_or_b32 v116, v7, 16, v16
.LBB308_849:                            ;   in Loop: Header=BB308_16 Depth=1
	s_or_b32 exec_lo, exec_lo, s27
.LBB308_850:                            ;   in Loop: Header=BB308_16 Depth=1
	s_or_b32 exec_lo, exec_lo, s26
.LBB308_851:                            ;   in Loop: Header=BB308_16 Depth=1
	s_or_b32 exec_lo, exec_lo, s25
	flat_load_dwordx2 v[33:34], v[31:32] offset:1032
	s_waitcnt vmcnt(0) lgkmcnt(0)
	v_cmp_ne_u16_sdwa s5, v33, v8 src0_sel:BYTE_0 src1_sel:DWORD
	s_and_saveexec_b32 s25, s5
	s_cbranch_execz .LBB308_859
; %bb.852:                              ;   in Loop: Header=BB308_16 Depth=1
	v_cmp_ne_u16_sdwa s5, v33, v68 src0_sel:BYTE_0 src1_sel:DWORD
	v_mov_b32_e32 v118, 0x8000
	s_and_saveexec_b32 s26, s5
	s_cbranch_execz .LBB308_858
; %bb.853:                              ;   in Loop: Header=BB308_16 Depth=1
	v_and_b32_e32 v17, 0x7f, v33
	v_mov_b32_e32 v118, 0x7c01
	s_mov_b32 s27, exec_lo
	v_cmpx_ne_u32_e32 0x7f, v17
	s_cbranch_execz .LBB308_857
; %bb.854:                              ;   in Loop: Header=BB308_16 Depth=1
	v_and_b32_e32 v7, 7, v33
	v_lshrrev_b32_e32 v16, 3, v17
	s_mov_b32 s28, exec_lo
	v_cmpx_gt_u32_e32 8, v17
; %bb.855:                              ;   in Loop: Header=BB308_16 Depth=1
	v_ffbh_u32_e32 v7, v7
	v_min_u32_e32 v7, 32, v7
	v_subrev_nc_u32_e32 v16, 28, v7
	v_lshlrev_b64 v[26:27], v16, v[33:34]
	v_sub_nc_u32_e32 v16, 29, v7
	v_and_b32_e32 v7, 7, v26
; %bb.856:                              ;   in Loop: Header=BB308_16 Depth=1
	s_or_b32 exec_lo, exec_lo, s28
	v_lshlrev_b32_e32 v17, 8, v33
	v_lshl_add_u32 v16, v16, 10, 0x2000
	v_lshlrev_b32_e32 v7, 7, v7
	v_and_b32_e32 v17, 0x8000, v17
	v_and_b32_e32 v16, 0xfc00, v16
	v_or3_b32 v118, v17, v16, v7
.LBB308_857:                            ;   in Loop: Header=BB308_16 Depth=1
	s_or_b32 exec_lo, exec_lo, s27
.LBB308_858:                            ;   in Loop: Header=BB308_16 Depth=1
	s_or_b32 exec_lo, exec_lo, s26
.LBB308_859:                            ;   in Loop: Header=BB308_16 Depth=1
	s_or_b32 exec_lo, exec_lo, s25
	v_lshrrev_b16 v7, 8, v33
	v_mov_b32_e32 v105, 0
	v_mov_b32_e32 v93, 0
	s_mov_b32 s25, exec_lo
	v_cmpx_ne_u16_e32 0, v7
	s_cbranch_execz .LBB308_867
; %bb.860:                              ;   in Loop: Header=BB308_16 Depth=1
	v_bfrev_b32_e32 v93, 1
	s_mov_b32 s26, exec_lo
	v_cmpx_ne_u16_e32 0x80, v7
	s_cbranch_execz .LBB308_866
; %bb.861:                              ;   in Loop: Header=BB308_16 Depth=1
	v_mov_b32_e32 v16, 0x7f
	v_mov_b32_e32 v93, 0x7c010000
	s_mov_b32 s27, exec_lo
	v_and_b32_sdwa v26, v7, v16 dst_sel:DWORD dst_unused:UNUSED_PAD src0_sel:WORD_0 src1_sel:DWORD
	v_cmpx_ne_u32_e32 0x7f, v26
	s_cbranch_execz .LBB308_865
; %bb.862:                              ;   in Loop: Header=BB308_16 Depth=1
	v_mov_b32_e32 v16, 7
	v_lshrrev_b32_e32 v17, 3, v26
	s_mov_b32 s28, exec_lo
	v_and_b32_sdwa v16, v7, v16 dst_sel:DWORD dst_unused:UNUSED_PAD src0_sel:WORD_0 src1_sel:DWORD
	v_cmpx_gt_u32_e32 8, v26
; %bb.863:                              ;   in Loop: Header=BB308_16 Depth=1
	v_ffbh_u32_e32 v16, v16
	v_min_u32_e32 v26, 32, v16
	v_subrev_nc_u32_e32 v16, 28, v26
	v_lshlrev_b64 v[16:17], v16, v[7:8]
	v_sub_nc_u32_e32 v17, 29, v26
	v_and_b32_e32 v16, 7, v16
; %bb.864:                              ;   in Loop: Header=BB308_16 Depth=1
	s_or_b32 exec_lo, exec_lo, s28
	v_mov_b32_e32 v26, 8
	v_lshl_add_u32 v17, v17, 10, 0x2000
	v_lshlrev_b32_e32 v16, 23, v16
	v_lshlrev_b32_sdwa v7, v26, v7 dst_sel:DWORD dst_unused:UNUSED_PAD src0_sel:DWORD src1_sel:WORD_0
	v_and_or_b32 v7, 0x8000, v7, v17
	v_lshl_or_b32 v93, v7, 16, v16
.LBB308_865:                            ;   in Loop: Header=BB308_16 Depth=1
	s_or_b32 exec_lo, exec_lo, s27
.LBB308_866:                            ;   in Loop: Header=BB308_16 Depth=1
	s_or_b32 exec_lo, exec_lo, s26
.LBB308_867:                            ;   in Loop: Header=BB308_16 Depth=1
	s_or_b32 exec_lo, exec_lo, s25
	v_lshrrev_b32_e32 v7, 16, v33
	v_cmp_ne_u16_sdwa s5, v7, v8 src0_sel:BYTE_0 src1_sel:DWORD
	s_and_saveexec_b32 s25, s5
	s_cbranch_execz .LBB308_875
; %bb.868:                              ;   in Loop: Header=BB308_16 Depth=1
	v_cmp_ne_u16_sdwa s5, v7, v68 src0_sel:BYTE_0 src1_sel:DWORD
	v_mov_b32_e32 v105, 0x8000
	s_and_saveexec_b32 s26, s5
	s_cbranch_execz .LBB308_874
; %bb.869:                              ;   in Loop: Header=BB308_16 Depth=1
	v_bfe_u32 v26, v33, 16, 7
	v_mov_b32_e32 v105, 0x7c01
	s_mov_b32 s27, exec_lo
	v_cmpx_ne_u32_e32 0x7f, v26
	s_cbranch_execz .LBB308_873
; %bb.870:                              ;   in Loop: Header=BB308_16 Depth=1
	v_and_b32_e32 v16, 7, v7
	v_lshrrev_b32_e32 v17, 3, v26
	s_mov_b32 s28, exec_lo
	v_cmpx_gt_u32_e32 8, v26
; %bb.871:                              ;   in Loop: Header=BB308_16 Depth=1
	v_ffbh_u32_e32 v16, v16
	v_min_u32_e32 v26, 32, v16
	v_subrev_nc_u32_e32 v16, 28, v26
	v_lshlrev_b64 v[16:17], v16, v[7:8]
	v_sub_nc_u32_e32 v17, 29, v26
	v_and_b32_e32 v16, 7, v16
; %bb.872:                              ;   in Loop: Header=BB308_16 Depth=1
	s_or_b32 exec_lo, exec_lo, s28
	v_lshlrev_b32_e32 v7, 8, v7
	v_lshl_add_u32 v17, v17, 10, 0x2000
	v_lshlrev_b32_e32 v16, 7, v16
	v_and_b32_e32 v7, 0x8000, v7
	v_and_b32_e32 v17, 0xfc00, v17
	v_or3_b32 v105, v7, v17, v16
.LBB308_873:                            ;   in Loop: Header=BB308_16 Depth=1
	s_or_b32 exec_lo, exec_lo, s27
.LBB308_874:                            ;   in Loop: Header=BB308_16 Depth=1
	s_or_b32 exec_lo, exec_lo, s26
.LBB308_875:                            ;   in Loop: Header=BB308_16 Depth=1
	s_or_b32 exec_lo, exec_lo, s25
	v_mov_b32_e32 v106, 0
	v_mov_b32_e32 v107, 0
	s_mov_b32 s25, exec_lo
	v_cmpx_lt_u32_e32 0xffffff, v33
	s_cbranch_execz .LBB308_883
; %bb.876:                              ;   in Loop: Header=BB308_16 Depth=1
	v_lshrrev_b32_e32 v7, 24, v33
	v_bfrev_b32_e32 v107, 1
	s_mov_b32 s26, exec_lo
	v_cmpx_ne_u32_e32 0x80, v7
	s_cbranch_execz .LBB308_882
; %bb.877:                              ;   in Loop: Header=BB308_16 Depth=1
	v_and_b32_e32 v26, 0x7f, v7
	v_mov_b32_e32 v107, 0x7c010000
	s_mov_b32 s27, exec_lo
	v_cmpx_ne_u32_e32 0x7f, v26
	s_cbranch_execz .LBB308_881
; %bb.878:                              ;   in Loop: Header=BB308_16 Depth=1
	v_and_b32_e32 v16, 7, v7
	v_lshrrev_b32_e32 v17, 3, v26
	s_mov_b32 s28, exec_lo
	v_cmpx_gt_u32_e32 8, v26
; %bb.879:                              ;   in Loop: Header=BB308_16 Depth=1
	v_ffbh_u32_e32 v16, v16
	v_min_u32_e32 v26, 32, v16
	v_subrev_nc_u32_e32 v16, 28, v26
	v_lshlrev_b64 v[16:17], v16, v[7:8]
	v_sub_nc_u32_e32 v17, 29, v26
	v_and_b32_e32 v16, 7, v16
; %bb.880:                              ;   in Loop: Header=BB308_16 Depth=1
	s_or_b32 exec_lo, exec_lo, s28
	v_lshlrev_b32_e32 v7, 8, v7
	v_lshl_add_u32 v17, v17, 10, 0x2000
	v_lshlrev_b32_e32 v16, 23, v16
	v_and_or_b32 v7, 0x8000, v7, v17
	v_lshl_or_b32 v107, v7, 16, v16
.LBB308_881:                            ;   in Loop: Header=BB308_16 Depth=1
	s_or_b32 exec_lo, exec_lo, s27
.LBB308_882:                            ;   in Loop: Header=BB308_16 Depth=1
	s_or_b32 exec_lo, exec_lo, s26
.LBB308_883:                            ;   in Loop: Header=BB308_16 Depth=1
	s_or_b32 exec_lo, exec_lo, s25
	v_mov_b32_e32 v7, v34
	v_cmp_ne_u16_sdwa s5, v34, v8 src0_sel:BYTE_0 src1_sel:DWORD
	s_and_saveexec_b32 s25, s5
	s_cbranch_execz .LBB308_891
; %bb.884:                              ;   in Loop: Header=BB308_16 Depth=1
	v_cmp_ne_u16_sdwa s5, v34, v68 src0_sel:BYTE_0 src1_sel:DWORD
	v_mov_b32_e32 v106, 0x8000
	s_and_saveexec_b32 s26, s5
	s_cbranch_execz .LBB308_890
; %bb.885:                              ;   in Loop: Header=BB308_16 Depth=1
	v_and_b32_e32 v26, 0x7f, v34
	v_mov_b32_e32 v106, 0x7c01
	s_mov_b32 s27, exec_lo
	v_cmpx_ne_u32_e32 0x7f, v26
	s_cbranch_execz .LBB308_889
; %bb.886:                              ;   in Loop: Header=BB308_16 Depth=1
	v_and_b32_e32 v16, 7, v34
	v_lshrrev_b32_e32 v17, 3, v26
	s_mov_b32 s28, exec_lo
	v_cmpx_gt_u32_e32 8, v26
; %bb.887:                              ;   in Loop: Header=BB308_16 Depth=1
	v_ffbh_u32_e32 v16, v16
	v_min_u32_e32 v26, 32, v16
	v_subrev_nc_u32_e32 v16, 28, v26
	v_lshlrev_b64 v[16:17], v16, v[7:8]
	v_sub_nc_u32_e32 v17, 29, v26
	v_and_b32_e32 v16, 7, v16
; %bb.888:                              ;   in Loop: Header=BB308_16 Depth=1
	s_or_b32 exec_lo, exec_lo, s28
	v_lshlrev_b32_e32 v26, 8, v34
	v_lshl_add_u32 v17, v17, 10, 0x2000
	v_lshlrev_b32_e32 v16, 7, v16
	v_and_b32_e32 v26, 0x8000, v26
	v_and_b32_e32 v17, 0xfc00, v17
	v_or3_b32 v106, v26, v17, v16
.LBB308_889:                            ;   in Loop: Header=BB308_16 Depth=1
	s_or_b32 exec_lo, exec_lo, s27
.LBB308_890:                            ;   in Loop: Header=BB308_16 Depth=1
	s_or_b32 exec_lo, exec_lo, s26
.LBB308_891:                            ;   in Loop: Header=BB308_16 Depth=1
	s_or_b32 exec_lo, exec_lo, s25
	v_lshrrev_b16 v7, 8, v7
	v_mov_b32_e32 v16, 0
	v_mov_b32_e32 v17, 0
	s_mov_b32 s25, exec_lo
	v_cmpx_ne_u16_e32 0, v7
	s_cbranch_execz .LBB308_899
; %bb.892:                              ;   in Loop: Header=BB308_16 Depth=1
	v_bfrev_b32_e32 v17, 1
	s_mov_b32 s26, exec_lo
	v_cmpx_ne_u16_e32 0x80, v7
	s_cbranch_execz .LBB308_898
; %bb.893:                              ;   in Loop: Header=BB308_16 Depth=1
	v_mov_b32_e32 v17, 0x7f
	s_mov_b32 s27, exec_lo
	v_and_b32_sdwa v27, v7, v17 dst_sel:DWORD dst_unused:UNUSED_PAD src0_sel:WORD_0 src1_sel:DWORD
	v_mov_b32_e32 v17, 0x7c010000
	v_cmpx_ne_u32_e32 0x7f, v27
	s_cbranch_execz .LBB308_897
; %bb.894:                              ;   in Loop: Header=BB308_16 Depth=1
	v_mov_b32_e32 v17, 7
	v_lshrrev_b32_e32 v26, 3, v27
	s_mov_b32 s28, exec_lo
	v_and_b32_sdwa v17, v7, v17 dst_sel:DWORD dst_unused:UNUSED_PAD src0_sel:WORD_0 src1_sel:DWORD
	v_cmpx_gt_u32_e32 8, v27
; %bb.895:                              ;   in Loop: Header=BB308_16 Depth=1
	v_ffbh_u32_e32 v17, v17
	v_min_u32_e32 v17, 32, v17
	v_subrev_nc_u32_e32 v26, 28, v17
	v_lshlrev_b64 v[98:99], v26, v[7:8]
	v_sub_nc_u32_e32 v26, 29, v17
	v_and_b32_e32 v17, 7, v98
; %bb.896:                              ;   in Loop: Header=BB308_16 Depth=1
	s_or_b32 exec_lo, exec_lo, s28
	v_mov_b32_e32 v27, 8
	v_lshl_add_u32 v26, v26, 10, 0x2000
	v_lshlrev_b32_e32 v17, 23, v17
	v_lshlrev_b32_sdwa v7, v27, v7 dst_sel:DWORD dst_unused:UNUSED_PAD src0_sel:DWORD src1_sel:WORD_0
	v_and_or_b32 v7, 0x8000, v7, v26
	v_lshl_or_b32 v17, v7, 16, v17
.LBB308_897:                            ;   in Loop: Header=BB308_16 Depth=1
	s_or_b32 exec_lo, exec_lo, s27
.LBB308_898:                            ;   in Loop: Header=BB308_16 Depth=1
	s_or_b32 exec_lo, exec_lo, s26
.LBB308_899:                            ;   in Loop: Header=BB308_16 Depth=1
	s_or_b32 exec_lo, exec_lo, s25
	v_lshrrev_b32_e32 v7, 16, v34
	v_cmp_ne_u16_sdwa s5, v7, v8 src0_sel:BYTE_0 src1_sel:DWORD
	s_and_saveexec_b32 s25, s5
	s_cbranch_execz .LBB308_907
; %bb.900:                              ;   in Loop: Header=BB308_16 Depth=1
	v_cmp_ne_u16_sdwa s5, v7, v68 src0_sel:BYTE_0 src1_sel:DWORD
	v_mov_b32_e32 v16, 0x8000
	s_and_saveexec_b32 s26, s5
	s_cbranch_execz .LBB308_906
; %bb.901:                              ;   in Loop: Header=BB308_16 Depth=1
	v_bfe_u32 v27, v34, 16, 7
	v_mov_b32_e32 v16, 0x7c01
	s_mov_b32 s27, exec_lo
	v_cmpx_ne_u32_e32 0x7f, v27
	s_cbranch_execz .LBB308_905
; %bb.902:                              ;   in Loop: Header=BB308_16 Depth=1
	v_and_b32_e32 v16, 7, v7
	v_lshrrev_b32_e32 v26, 3, v27
	s_mov_b32 s28, exec_lo
	v_cmpx_gt_u32_e32 8, v27
; %bb.903:                              ;   in Loop: Header=BB308_16 Depth=1
	v_ffbh_u32_e32 v16, v16
	v_min_u32_e32 v16, 32, v16
	v_subrev_nc_u32_e32 v26, 28, v16
	v_lshlrev_b64 v[98:99], v26, v[7:8]
	v_sub_nc_u32_e32 v26, 29, v16
	v_and_b32_e32 v16, 7, v98
; %bb.904:                              ;   in Loop: Header=BB308_16 Depth=1
	s_or_b32 exec_lo, exec_lo, s28
	v_lshlrev_b32_e32 v7, 8, v7
	v_lshl_add_u32 v26, v26, 10, 0x2000
	v_lshlrev_b32_e32 v16, 7, v16
	v_and_b32_e32 v7, 0x8000, v7
	v_and_b32_e32 v26, 0xfc00, v26
	v_or3_b32 v16, v7, v26, v16
.LBB308_905:                            ;   in Loop: Header=BB308_16 Depth=1
	s_or_b32 exec_lo, exec_lo, s27
.LBB308_906:                            ;   in Loop: Header=BB308_16 Depth=1
	s_or_b32 exec_lo, exec_lo, s26
.LBB308_907:                            ;   in Loop: Header=BB308_16 Depth=1
	s_or_b32 exec_lo, exec_lo, s25
	v_cmp_lt_u64_e64 s5, s[20:21], v[33:34]
	v_mov_b32_e32 v111, 0
	v_mov_b32_e32 v33, 0
	s_and_saveexec_b32 s25, s5
	s_cbranch_execz .LBB308_915
; %bb.908:                              ;   in Loop: Header=BB308_16 Depth=1
	v_lshrrev_b32_e32 v7, 24, v34
	v_bfrev_b32_e32 v33, 1
	s_mov_b32 s26, exec_lo
	v_cmpx_ne_u32_e32 0x80, v7
	s_cbranch_execz .LBB308_914
; %bb.909:                              ;   in Loop: Header=BB308_16 Depth=1
	v_and_b32_e32 v34, 0x7f, v7
	v_mov_b32_e32 v33, 0x7c010000
	s_mov_b32 s27, exec_lo
	v_cmpx_ne_u32_e32 0x7f, v34
	s_cbranch_execz .LBB308_913
; %bb.910:                              ;   in Loop: Header=BB308_16 Depth=1
	v_and_b32_e32 v26, 7, v7
	v_lshrrev_b32_e32 v27, 3, v34
	s_mov_b32 s28, exec_lo
	v_cmpx_gt_u32_e32 8, v34
; %bb.911:                              ;   in Loop: Header=BB308_16 Depth=1
	v_ffbh_u32_e32 v26, v26
	v_min_u32_e32 v33, 32, v26
	v_subrev_nc_u32_e32 v26, 28, v33
	v_lshlrev_b64 v[26:27], v26, v[7:8]
	v_sub_nc_u32_e32 v27, 29, v33
	v_and_b32_e32 v26, 7, v26
; %bb.912:                              ;   in Loop: Header=BB308_16 Depth=1
	s_or_b32 exec_lo, exec_lo, s28
	v_lshlrev_b32_e32 v7, 8, v7
	v_lshl_add_u32 v27, v27, 10, 0x2000
	v_lshlrev_b32_e32 v26, 23, v26
	v_and_or_b32 v7, 0x8000, v7, v27
	v_lshl_or_b32 v33, v7, 16, v26
.LBB308_913:                            ;   in Loop: Header=BB308_16 Depth=1
	s_or_b32 exec_lo, exec_lo, s27
.LBB308_914:                            ;   in Loop: Header=BB308_16 Depth=1
	s_or_b32 exec_lo, exec_lo, s26
.LBB308_915:                            ;   in Loop: Header=BB308_16 Depth=1
	s_or_b32 exec_lo, exec_lo, s25
	flat_load_dwordx2 v[31:32], v[31:32] offset:1536
	s_waitcnt vmcnt(0) lgkmcnt(0)
	v_cmp_ne_u16_sdwa s5, v31, v8 src0_sel:BYTE_0 src1_sel:DWORD
	s_and_saveexec_b32 s25, s5
	s_cbranch_execz .LBB308_923
; %bb.916:                              ;   in Loop: Header=BB308_16 Depth=1
	v_cmp_ne_u16_sdwa s5, v31, v68 src0_sel:BYTE_0 src1_sel:DWORD
	v_mov_b32_e32 v111, 0x8000
	s_and_saveexec_b32 s26, s5
	s_cbranch_execz .LBB308_922
; %bb.917:                              ;   in Loop: Header=BB308_16 Depth=1
	v_and_b32_e32 v27, 0x7f, v31
	v_mov_b32_e32 v111, 0x7c01
	s_mov_b32 s27, exec_lo
	v_cmpx_ne_u32_e32 0x7f, v27
	s_cbranch_execz .LBB308_921
; %bb.918:                              ;   in Loop: Header=BB308_16 Depth=1
	v_and_b32_e32 v7, 7, v31
	v_lshrrev_b32_e32 v26, 3, v27
	s_mov_b32 s28, exec_lo
	v_cmpx_gt_u32_e32 8, v27
; %bb.919:                              ;   in Loop: Header=BB308_16 Depth=1
	v_ffbh_u32_e32 v7, v7
	v_min_u32_e32 v7, 32, v7
	v_subrev_nc_u32_e32 v26, 28, v7
	v_lshlrev_b64 v[98:99], v26, v[31:32]
	v_sub_nc_u32_e32 v26, 29, v7
	v_and_b32_e32 v7, 7, v98
; %bb.920:                              ;   in Loop: Header=BB308_16 Depth=1
	s_or_b32 exec_lo, exec_lo, s28
	v_lshlrev_b32_e32 v27, 8, v31
	v_lshl_add_u32 v26, v26, 10, 0x2000
	v_lshlrev_b32_e32 v7, 7, v7
	v_and_b32_e32 v27, 0x8000, v27
	v_and_b32_e32 v26, 0xfc00, v26
	v_or3_b32 v111, v27, v26, v7
.LBB308_921:                            ;   in Loop: Header=BB308_16 Depth=1
	s_or_b32 exec_lo, exec_lo, s27
.LBB308_922:                            ;   in Loop: Header=BB308_16 Depth=1
	s_or_b32 exec_lo, exec_lo, s26
.LBB308_923:                            ;   in Loop: Header=BB308_16 Depth=1
	s_or_b32 exec_lo, exec_lo, s25
	v_lshrrev_b16 v7, 8, v31
	v_mov_b32_e32 v108, 0
	v_mov_b32_e32 v127, 0
	s_mov_b32 s25, exec_lo
	v_cmpx_ne_u16_e32 0, v7
	s_cbranch_execz .LBB308_931
; %bb.924:                              ;   in Loop: Header=BB308_16 Depth=1
	v_bfrev_b32_e32 v127, 1
	s_mov_b32 s26, exec_lo
	v_cmpx_ne_u16_e32 0x80, v7
	s_cbranch_execz .LBB308_930
; %bb.925:                              ;   in Loop: Header=BB308_16 Depth=1
	v_mov_b32_e32 v26, 0x7f
	v_mov_b32_e32 v127, 0x7c010000
	s_mov_b32 s27, exec_lo
	v_and_b32_sdwa v34, v7, v26 dst_sel:DWORD dst_unused:UNUSED_PAD src0_sel:WORD_0 src1_sel:DWORD
	v_cmpx_ne_u32_e32 0x7f, v34
	s_cbranch_execz .LBB308_929
; %bb.926:                              ;   in Loop: Header=BB308_16 Depth=1
	v_mov_b32_e32 v26, 7
	v_lshrrev_b32_e32 v27, 3, v34
	s_mov_b32 s28, exec_lo
	v_and_b32_sdwa v26, v7, v26 dst_sel:DWORD dst_unused:UNUSED_PAD src0_sel:WORD_0 src1_sel:DWORD
	v_cmpx_gt_u32_e32 8, v34
; %bb.927:                              ;   in Loop: Header=BB308_16 Depth=1
	v_ffbh_u32_e32 v26, v26
	v_min_u32_e32 v34, 32, v26
	v_subrev_nc_u32_e32 v26, 28, v34
	v_lshlrev_b64 v[26:27], v26, v[7:8]
	v_sub_nc_u32_e32 v27, 29, v34
	v_and_b32_e32 v26, 7, v26
; %bb.928:                              ;   in Loop: Header=BB308_16 Depth=1
	s_or_b32 exec_lo, exec_lo, s28
	v_mov_b32_e32 v34, 8
	v_lshl_add_u32 v27, v27, 10, 0x2000
	v_lshlrev_b32_e32 v26, 23, v26
	v_lshlrev_b32_sdwa v7, v34, v7 dst_sel:DWORD dst_unused:UNUSED_PAD src0_sel:DWORD src1_sel:WORD_0
	v_and_or_b32 v7, 0x8000, v7, v27
	v_lshl_or_b32 v127, v7, 16, v26
.LBB308_929:                            ;   in Loop: Header=BB308_16 Depth=1
	s_or_b32 exec_lo, exec_lo, s27
.LBB308_930:                            ;   in Loop: Header=BB308_16 Depth=1
	s_or_b32 exec_lo, exec_lo, s26
.LBB308_931:                            ;   in Loop: Header=BB308_16 Depth=1
	s_or_b32 exec_lo, exec_lo, s25
	v_lshrrev_b32_e32 v7, 16, v31
	v_cmp_ne_u16_sdwa s5, v7, v8 src0_sel:BYTE_0 src1_sel:DWORD
	s_and_saveexec_b32 s25, s5
	s_cbranch_execz .LBB308_939
; %bb.932:                              ;   in Loop: Header=BB308_16 Depth=1
	v_cmp_ne_u16_sdwa s5, v7, v68 src0_sel:BYTE_0 src1_sel:DWORD
	v_mov_b32_e32 v108, 0x8000
	s_and_saveexec_b32 s26, s5
	s_cbranch_execz .LBB308_938
; %bb.933:                              ;   in Loop: Header=BB308_16 Depth=1
	v_bfe_u32 v34, v31, 16, 7
	v_mov_b32_e32 v108, 0x7c01
	s_mov_b32 s27, exec_lo
	v_cmpx_ne_u32_e32 0x7f, v34
	s_cbranch_execz .LBB308_937
; %bb.934:                              ;   in Loop: Header=BB308_16 Depth=1
	v_and_b32_e32 v26, 7, v7
	v_lshrrev_b32_e32 v27, 3, v34
	s_mov_b32 s28, exec_lo
	v_cmpx_gt_u32_e32 8, v34
; %bb.935:                              ;   in Loop: Header=BB308_16 Depth=1
	v_ffbh_u32_e32 v26, v26
	v_min_u32_e32 v34, 32, v26
	v_subrev_nc_u32_e32 v26, 28, v34
	v_lshlrev_b64 v[26:27], v26, v[7:8]
	v_sub_nc_u32_e32 v27, 29, v34
	v_and_b32_e32 v26, 7, v26
; %bb.936:                              ;   in Loop: Header=BB308_16 Depth=1
	s_or_b32 exec_lo, exec_lo, s28
	v_lshlrev_b32_e32 v7, 8, v7
	v_lshl_add_u32 v27, v27, 10, 0x2000
	v_lshlrev_b32_e32 v26, 7, v26
	v_and_b32_e32 v7, 0x8000, v7
	v_and_b32_e32 v27, 0xfc00, v27
	v_or3_b32 v108, v7, v27, v26
.LBB308_937:                            ;   in Loop: Header=BB308_16 Depth=1
	s_or_b32 exec_lo, exec_lo, s27
.LBB308_938:                            ;   in Loop: Header=BB308_16 Depth=1
	s_or_b32 exec_lo, exec_lo, s26
.LBB308_939:                            ;   in Loop: Header=BB308_16 Depth=1
	s_or_b32 exec_lo, exec_lo, s25
	v_mov_b32_e32 v122, 0
	v_mov_b32_e32 v84, 0
	s_mov_b32 s25, exec_lo
	v_cmpx_lt_u32_e32 0xffffff, v31
	s_cbranch_execz .LBB308_947
; %bb.940:                              ;   in Loop: Header=BB308_16 Depth=1
	v_lshrrev_b32_e32 v7, 24, v31
	v_bfrev_b32_e32 v84, 1
	s_mov_b32 s26, exec_lo
	v_cmpx_ne_u32_e32 0x80, v7
	s_cbranch_execz .LBB308_946
; %bb.941:                              ;   in Loop: Header=BB308_16 Depth=1
	v_and_b32_e32 v34, 0x7f, v7
	v_mov_b32_e32 v84, 0x7c010000
	s_mov_b32 s27, exec_lo
	v_cmpx_ne_u32_e32 0x7f, v34
	s_cbranch_execz .LBB308_945
; %bb.942:                              ;   in Loop: Header=BB308_16 Depth=1
	v_and_b32_e32 v26, 7, v7
	v_lshrrev_b32_e32 v27, 3, v34
	s_mov_b32 s28, exec_lo
	v_cmpx_gt_u32_e32 8, v34
; %bb.943:                              ;   in Loop: Header=BB308_16 Depth=1
	v_ffbh_u32_e32 v26, v26
	v_min_u32_e32 v34, 32, v26
	v_subrev_nc_u32_e32 v26, 28, v34
	v_lshlrev_b64 v[26:27], v26, v[7:8]
	v_sub_nc_u32_e32 v27, 29, v34
	v_and_b32_e32 v26, 7, v26
; %bb.944:                              ;   in Loop: Header=BB308_16 Depth=1
	s_or_b32 exec_lo, exec_lo, s28
	v_lshlrev_b32_e32 v7, 8, v7
	v_lshl_add_u32 v27, v27, 10, 0x2000
	v_lshlrev_b32_e32 v26, 23, v26
	v_and_or_b32 v7, 0x8000, v7, v27
	v_lshl_or_b32 v84, v7, 16, v26
.LBB308_945:                            ;   in Loop: Header=BB308_16 Depth=1
	s_or_b32 exec_lo, exec_lo, s27
.LBB308_946:                            ;   in Loop: Header=BB308_16 Depth=1
	s_or_b32 exec_lo, exec_lo, s26
.LBB308_947:                            ;   in Loop: Header=BB308_16 Depth=1
	s_or_b32 exec_lo, exec_lo, s25
	v_mov_b32_e32 v7, v32
	v_cmp_ne_u16_sdwa s5, v32, v8 src0_sel:BYTE_0 src1_sel:DWORD
	s_and_saveexec_b32 s25, s5
	s_cbranch_execz .LBB308_955
; %bb.948:                              ;   in Loop: Header=BB308_16 Depth=1
	v_cmp_ne_u16_sdwa s5, v32, v68 src0_sel:BYTE_0 src1_sel:DWORD
	v_mov_b32_e32 v122, 0x8000
	s_and_saveexec_b32 s26, s5
	s_cbranch_execz .LBB308_954
; %bb.949:                              ;   in Loop: Header=BB308_16 Depth=1
	v_and_b32_e32 v34, 0x7f, v32
	v_mov_b32_e32 v122, 0x7c01
	s_mov_b32 s27, exec_lo
	v_cmpx_ne_u32_e32 0x7f, v34
	s_cbranch_execz .LBB308_953
; %bb.950:                              ;   in Loop: Header=BB308_16 Depth=1
	v_and_b32_e32 v26, 7, v32
	v_lshrrev_b32_e32 v27, 3, v34
	s_mov_b32 s28, exec_lo
	v_cmpx_gt_u32_e32 8, v34
; %bb.951:                              ;   in Loop: Header=BB308_16 Depth=1
	v_ffbh_u32_e32 v26, v26
	v_min_u32_e32 v34, 32, v26
	v_subrev_nc_u32_e32 v26, 28, v34
	v_lshlrev_b64 v[26:27], v26, v[7:8]
	v_sub_nc_u32_e32 v27, 29, v34
	v_and_b32_e32 v26, 7, v26
; %bb.952:                              ;   in Loop: Header=BB308_16 Depth=1
	s_or_b32 exec_lo, exec_lo, s28
	v_lshlrev_b32_e32 v34, 8, v32
	v_lshl_add_u32 v27, v27, 10, 0x2000
	v_lshlrev_b32_e32 v26, 7, v26
	v_and_b32_e32 v34, 0x8000, v34
	v_and_b32_e32 v27, 0xfc00, v27
	v_or3_b32 v122, v34, v27, v26
.LBB308_953:                            ;   in Loop: Header=BB308_16 Depth=1
	s_or_b32 exec_lo, exec_lo, s27
.LBB308_954:                            ;   in Loop: Header=BB308_16 Depth=1
	s_or_b32 exec_lo, exec_lo, s26
.LBB308_955:                            ;   in Loop: Header=BB308_16 Depth=1
	s_or_b32 exec_lo, exec_lo, s25
	v_lshrrev_b16 v7, 8, v7
	v_mov_b32_e32 v86, 0
	v_mov_b32_e32 v98, 0
	s_mov_b32 s25, exec_lo
	v_cmpx_ne_u16_e32 0, v7
	s_cbranch_execz .LBB308_963
; %bb.956:                              ;   in Loop: Header=BB308_16 Depth=1
	v_bfrev_b32_e32 v98, 1
	s_mov_b32 s26, exec_lo
	v_cmpx_ne_u16_e32 0x80, v7
	s_cbranch_execz .LBB308_962
; %bb.957:                              ;   in Loop: Header=BB308_16 Depth=1
	v_mov_b32_e32 v26, 0x7f
	v_mov_b32_e32 v98, 0x7c010000
	s_mov_b32 s27, exec_lo
	v_and_b32_sdwa v34, v7, v26 dst_sel:DWORD dst_unused:UNUSED_PAD src0_sel:WORD_0 src1_sel:DWORD
	v_cmpx_ne_u32_e32 0x7f, v34
	s_cbranch_execz .LBB308_961
; %bb.958:                              ;   in Loop: Header=BB308_16 Depth=1
	v_mov_b32_e32 v26, 7
	v_lshrrev_b32_e32 v27, 3, v34
	s_mov_b32 s28, exec_lo
	v_and_b32_sdwa v26, v7, v26 dst_sel:DWORD dst_unused:UNUSED_PAD src0_sel:WORD_0 src1_sel:DWORD
	v_cmpx_gt_u32_e32 8, v34
; %bb.959:                              ;   in Loop: Header=BB308_16 Depth=1
	v_ffbh_u32_e32 v26, v26
	v_min_u32_e32 v34, 32, v26
	v_subrev_nc_u32_e32 v26, 28, v34
	v_lshlrev_b64 v[26:27], v26, v[7:8]
	v_sub_nc_u32_e32 v27, 29, v34
	v_and_b32_e32 v26, 7, v26
; %bb.960:                              ;   in Loop: Header=BB308_16 Depth=1
	s_or_b32 exec_lo, exec_lo, s28
	v_mov_b32_e32 v34, 8
	v_lshl_add_u32 v27, v27, 10, 0x2000
	v_lshlrev_b32_e32 v26, 23, v26
	v_lshlrev_b32_sdwa v7, v34, v7 dst_sel:DWORD dst_unused:UNUSED_PAD src0_sel:DWORD src1_sel:WORD_0
	v_and_or_b32 v7, 0x8000, v7, v27
	v_lshl_or_b32 v98, v7, 16, v26
.LBB308_961:                            ;   in Loop: Header=BB308_16 Depth=1
	s_or_b32 exec_lo, exec_lo, s27
.LBB308_962:                            ;   in Loop: Header=BB308_16 Depth=1
	s_or_b32 exec_lo, exec_lo, s26
.LBB308_963:                            ;   in Loop: Header=BB308_16 Depth=1
	s_or_b32 exec_lo, exec_lo, s25
	v_lshrrev_b32_e32 v7, 16, v32
	v_cmp_ne_u16_sdwa s5, v7, v8 src0_sel:BYTE_0 src1_sel:DWORD
	s_and_saveexec_b32 s25, s5
	s_cbranch_execz .LBB308_971
; %bb.964:                              ;   in Loop: Header=BB308_16 Depth=1
	v_cmp_ne_u16_sdwa s5, v7, v68 src0_sel:BYTE_0 src1_sel:DWORD
	v_mov_b32_e32 v86, 0x8000
	s_and_saveexec_b32 s26, s5
	s_cbranch_execz .LBB308_970
; %bb.965:                              ;   in Loop: Header=BB308_16 Depth=1
	v_bfe_u32 v34, v32, 16, 7
	v_mov_b32_e32 v86, 0x7c01
	s_mov_b32 s27, exec_lo
	v_cmpx_ne_u32_e32 0x7f, v34
	s_cbranch_execz .LBB308_969
; %bb.966:                              ;   in Loop: Header=BB308_16 Depth=1
	v_and_b32_e32 v26, 7, v7
	v_lshrrev_b32_e32 v27, 3, v34
	s_mov_b32 s28, exec_lo
	v_cmpx_gt_u32_e32 8, v34
; %bb.967:                              ;   in Loop: Header=BB308_16 Depth=1
	v_ffbh_u32_e32 v26, v26
	v_min_u32_e32 v34, 32, v26
	v_subrev_nc_u32_e32 v26, 28, v34
	v_lshlrev_b64 v[26:27], v26, v[7:8]
	v_sub_nc_u32_e32 v27, 29, v34
	v_and_b32_e32 v26, 7, v26
; %bb.968:                              ;   in Loop: Header=BB308_16 Depth=1
	s_or_b32 exec_lo, exec_lo, s28
	v_lshlrev_b32_e32 v7, 8, v7
	v_lshl_add_u32 v27, v27, 10, 0x2000
	v_lshlrev_b32_e32 v26, 7, v26
	v_and_b32_e32 v7, 0x8000, v7
	v_and_b32_e32 v27, 0xfc00, v27
	v_or3_b32 v86, v7, v27, v26
.LBB308_969:                            ;   in Loop: Header=BB308_16 Depth=1
	s_or_b32 exec_lo, exec_lo, s27
.LBB308_970:                            ;   in Loop: Header=BB308_16 Depth=1
	s_or_b32 exec_lo, exec_lo, s26
.LBB308_971:                            ;   in Loop: Header=BB308_16 Depth=1
	s_or_b32 exec_lo, exec_lo, s25
	v_mov_b32_e32 v26, 0
	s_mov_b32 s25, exec_lo
	v_cmpx_lt_u64_e64 s[20:21], v[31:32]
	s_cbranch_execz .LBB308_14
; %bb.972:                              ;   in Loop: Header=BB308_16 Depth=1
	v_lshrrev_b32_e32 v7, 24, v32
	v_bfrev_b32_e32 v26, 1
	s_mov_b32 s26, exec_lo
	v_cmpx_ne_u32_e32 0x80, v7
	s_cbranch_execz .LBB308_13
; %bb.973:                              ;   in Loop: Header=BB308_16 Depth=1
	v_and_b32_e32 v31, 0x7f, v7
	v_mov_b32_e32 v26, 0x7c010000
	s_mov_b32 s27, exec_lo
	v_cmpx_ne_u32_e32 0x7f, v31
	s_cbranch_execz .LBB308_12
; %bb.974:                              ;   in Loop: Header=BB308_16 Depth=1
	v_and_b32_e32 v26, 7, v7
	v_lshrrev_b32_e32 v27, 3, v31
	s_mov_b32 s28, exec_lo
	v_cmpx_gt_u32_e32 8, v31
	s_cbranch_execz .LBB308_11
; %bb.975:                              ;   in Loop: Header=BB308_16 Depth=1
	v_ffbh_u32_e32 v26, v26
	v_min_u32_e32 v31, 32, v26
	v_subrev_nc_u32_e32 v26, 28, v31
	v_lshlrev_b64 v[26:27], v26, v[7:8]
	v_sub_nc_u32_e32 v27, 29, v31
	v_and_b32_e32 v26, 7, v26
	s_branch .LBB308_11
.LBB308_976:
	s_or_b32 exec_lo, exec_lo, s24
	s_clause 0x10
	buffer_load_dword v19, off, s[0:3], s32 offset:392
	buffer_load_dword v15, off, s[0:3], s32 offset:396
	;; [unrolled: 1-line block ×17, first 2 shown]
.LBB308_977:
	s_or_b32 exec_lo, exec_lo, s23
	v_mbcnt_lo_u32_b32 v0, -1, 0
	v_max_f32_e32 v4, v20, v20
	s_waitcnt lgkmcnt(0)
	s_lshr_b32 s8, s22, 16
	v_xor_b32_e32 v1, 16, v0
	v_xor_b32_e32 v3, 8, v0
	;; [unrolled: 1-line block ×3, first 2 shown]
	v_cmp_gt_i32_e32 vcc_lo, 32, v1
	v_cndmask_b32_e32 v1, v0, v1, vcc_lo
	v_cmp_gt_i32_e32 vcc_lo, 32, v3
	v_lshlrev_b32_e32 v2, 2, v1
	v_cndmask_b32_e32 v3, v0, v3, vcc_lo
	v_cmp_gt_i32_e32 vcc_lo, 32, v5
	ds_bpermute_b32 v1, v2, v20
	v_lshlrev_b32_e32 v3, 2, v3
	v_cndmask_b32_e32 v5, v0, v5, vcc_lo
	s_waitcnt lgkmcnt(0)
	v_max_f32_e32 v1, v1, v1
	v_max_f32_e32 v1, v4, v1
	ds_bpermute_b32 v4, v3, v1
	s_waitcnt lgkmcnt(0)
	v_max_f32_e32 v6, v4, v4
	v_lshlrev_b32_e32 v4, 2, v5
	v_max_f32_e32 v1, v1, v6
	v_xor_b32_e32 v6, 2, v0
	ds_bpermute_b32 v5, v4, v1
	v_cmp_gt_i32_e32 vcc_lo, 32, v6
	v_cndmask_b32_e32 v6, v0, v6, vcc_lo
	v_lshlrev_b32_e32 v20, 2, v6
	v_xor_b32_e32 v6, 1, v0
	v_cmp_gt_i32_e32 vcc_lo, 32, v6
	s_waitcnt lgkmcnt(0)
	v_max_f32_e32 v5, v5, v5
	v_cndmask_b32_e32 v6, v0, v6, vcc_lo
	v_max_f32_e32 v1, v1, v5
	v_lshlrev_b32_e32 v13, 2, v6
	ds_bpermute_b32 v5, v20, v1
	s_waitcnt lgkmcnt(0)
	v_max_f32_e32 v5, v5, v5
	v_max_f32_e32 v0, v1, v5
	buffer_load_dword v5, off, s[0:3], s32 offset:348 ; 4-byte Folded Reload
	ds_bpermute_b32 v1, v13, v0
	s_waitcnt vmcnt(0)
	v_cmp_eq_u32_e32 vcc_lo, 0, v5
	buffer_load_dword v5, off, s[0:3], s32 offset:380 ; 4-byte Folded Reload
	s_waitcnt vmcnt(0)
	v_lshlrev_b32_e32 v5, 2, v5
	s_and_saveexec_b32 s5, vcc_lo
	s_cbranch_execz .LBB308_979
; %bb.978:
	s_waitcnt lgkmcnt(0)
	v_max_f32_e32 v1, v1, v1
	v_max_f32_e32 v0, v0, v0
	;; [unrolled: 1-line block ×3, first 2 shown]
	ds_write_b32 v5, v0 offset:240
.LBB308_979:
	s_or_b32 exec_lo, exec_lo, s5
	buffer_load_dword v0, off, s[0:3], s32 offset:348 ; 4-byte Folded Reload
	s_waitcnt vmcnt(0) lgkmcnt(0)
	s_waitcnt_vscnt null, 0x0
	s_barrier
	buffer_gl0_inv
	v_cmp_gt_u32_e64 s5, 4, v0
	v_mov_b32_e32 v0, 0xff7fffff
	s_and_saveexec_b32 s6, s5
; %bb.980:
	ds_read_b32 v0, v21 offset:240
; %bb.981:
	s_or_b32 exec_lo, exec_lo, s6
	buffer_load_dword v6, off, s[0:3], s32 offset:232 ; 4-byte Folded Reload
	s_waitcnt lgkmcnt(0)
	ds_bpermute_b32 v1, v20, v0
	v_max_f32_e32 v0, v0, v0
	s_waitcnt lgkmcnt(0)
	v_max_f32_e32 v1, v1, v1
	v_max_f32_e32 v0, v0, v1
	ds_bpermute_b32 v1, v13, v0
	s_waitcnt lgkmcnt(0)
	v_max_f32_e32 v1, v1, v1
	v_max_f32_e32 v0, v0, v1
	s_waitcnt vmcnt(0)
	v_subrev_nc_u32_e32 v7, s13, v6
	v_mov_b32_e32 v6, 0
	v_lshl_add_u32 v1, v7, 5, s7
	ds_bpermute_b32 v0, v6, v0
	v_min_i32_e32 v1, v1, v36
	v_subrev_nc_u32_e32 v1, s7, v1
	v_cmp_lt_i32_e64 s6, v19, v1
	s_and_saveexec_b32 s9, s6
	s_cbranch_execz .LBB308_985
; %bb.982:
	s_getpc_b64 s[20:21]
	s_add_u32 s20, s20, llvm.amdgcn.dynlds.offset.table@rel32@lo+4
	s_addc_u32 s21, s21, llvm.amdgcn.dynlds.offset.table@rel32@hi+12
	s_ashr_i32 s17, s16, 31
	v_mov_b32_e32 v6, 0
	s_lshl_b64 s[22:23], s[16:17], 2
	v_mov_b32_e32 v8, v19
	s_add_u32 s20, s20, s22
	s_addc_u32 s21, s21, s23
	s_mov_b32 s13, 0
	s_load_dword s7, s[20:21], 0x0
	s_waitcnt lgkmcnt(0)
	v_lshl_add_u32 v7, v19, 2, s7
	.p2align	6
.LBB308_983:                            ; =>This Inner Loop Header: Depth=1
	ds_read_b32 v9, v7
	v_add_nc_u32_e32 v8, 0x80, v8
	v_cmp_ge_i32_e64 s7, v8, v1
	s_or_b32 s13, s7, s13
	s_waitcnt lgkmcnt(0)
	v_sub_f32_e32 v9, v9, v0
	v_mul_f32_e32 v9, 0x3fb8aa3b, v9
	v_exp_f32_e32 v9, v9
	ds_write_b32 v7, v9
	v_add_f32_e32 v6, v6, v9
	v_add_nc_u32_e32 v7, 0x200, v7
	s_andn2_b32 exec_lo, exec_lo, s13
	s_cbranch_execnz .LBB308_983
; %bb.984:
	s_or_b32 exec_lo, exec_lo, s13
.LBB308_985:
	s_or_b32 exec_lo, exec_lo, s9
	ds_bpermute_b32 v2, v2, v6
	s_waitcnt lgkmcnt(0)
	v_add_f32_e32 v2, v6, v2
	ds_bpermute_b32 v3, v3, v2
	s_waitcnt lgkmcnt(0)
	v_add_f32_e32 v2, v2, v3
	;; [unrolled: 3-line block ×5, first 2 shown]
	s_and_saveexec_b32 s7, vcc_lo
; %bb.986:
	ds_write_b32 v5, v2 offset:256
; %bb.987:
	s_or_b32 exec_lo, exec_lo, s7
	s_waitcnt lgkmcnt(0)
	s_barrier
	buffer_gl0_inv
	s_and_saveexec_b32 s7, s5
; %bb.988:
	ds_read_b32 v2, v21 offset:256
; %bb.989:
	s_or_b32 exec_lo, exec_lo, s7
	s_waitcnt lgkmcnt(0)
	ds_bpermute_b32 v3, v20, v2
	s_waitcnt lgkmcnt(0)
	v_add_f32_e32 v2, v2, v3
	ds_bpermute_b32 v3, v13, v2
	s_waitcnt lgkmcnt(0)
	v_add_f32_e32 v2, v2, v3
	v_mov_b32_e32 v3, 0
	ds_bpermute_b32 v2, v3, v2
	s_and_saveexec_b32 s5, s6
	s_cbranch_execz .LBB308_992
; %bb.990:
	s_waitcnt lgkmcnt(0)
	v_add_f32_e32 v4, 0x358637bd, v2
	s_getpc_b64 s[6:7]
	s_add_u32 s6, s6, llvm.amdgcn.dynlds.offset.table@rel32@lo+4
	s_addc_u32 s7, s7, llvm.amdgcn.dynlds.offset.table@rel32@hi+12
	s_ashr_i32 s17, s16, 31
	s_lshl_b64 s[20:21], s[16:17], 2
	v_div_scale_f32 v3, null, v4, v4, 1.0
	v_div_scale_f32 v7, vcc_lo, 1.0, v4, 1.0
	s_add_u32 s6, s6, s20
	v_rcp_f32_e32 v5, v3
	s_addc_u32 s7, s7, s21
	s_load_dword s6, s[6:7], 0x0
	v_fma_f32 v6, -v3, v5, 1.0
	v_fmac_f32_e32 v5, v6, v5
	v_mul_f32_e32 v6, v7, v5
	v_fma_f32 v8, -v3, v6, v7
	v_fmac_f32_e32 v6, v8, v5
	v_fma_f32 v3, -v3, v6, v7
	v_div_fmas_f32 v5, v3, v5, v6
	s_waitcnt lgkmcnt(0)
	v_lshl_add_u32 v3, v19, 2, s6
	s_mov_b32 s6, 0
	v_div_fixup_f32 v4, v5, v4, 1.0
	v_mov_b32_e32 v5, v19
.LBB308_991:                            ; =>This Inner Loop Header: Depth=1
	ds_read_b32 v6, v3
	v_add_nc_u32_e32 v5, 0x80, v5
	v_cmp_ge_i32_e32 vcc_lo, v5, v1
	s_or_b32 s6, vcc_lo, s6
	s_waitcnt lgkmcnt(0)
	v_mul_f32_e32 v6, v4, v6
	ds_write_b32 v3, v6
	v_add_nc_u32_e32 v3, 0x200, v3
	s_andn2_b32 exec_lo, exec_lo, s6
	s_cbranch_execnz .LBB308_991
.LBB308_992:
	s_or_b32 exec_lo, exec_lo, s5
	s_and_b32 s5, 0xffff, s8
	s_mov_b32 s8, exec_lo
	s_cmp_lg_u32 s5, 0
	s_waitcnt lgkmcnt(0)
	s_cselect_b32 s5, -1, 0
	s_barrier
	s_cmp_lg_u32 s5, 0
	buffer_gl0_inv
	s_addc_u32 s5, s11, 0
	s_mul_i32 s6, s5, s18
	s_mul_i32 s6, s6, s15
	v_cmpx_eq_u32_e32 0, v19
	s_cbranch_execz .LBB308_994
; %bb.993:
	s_ashr_i32 s7, s6, 31
	s_mul_i32 s12, s5, s12
	s_lshl_b64 s[20:21], s[6:7], 2
	s_ashr_i32 s13, s12, 31
	v_add_co_u32 v1, vcc_lo, v26, s20
	v_add_co_ci_u32_e64 v3, null, s21, v25, vcc_lo
	s_lshl_b64 s[12:13], s[12:13], 2
	s_ashr_i32 s15, s14, 31
	v_add_co_u32 v1, vcc_lo, v1, s12
	v_add_co_ci_u32_e64 v4, null, s13, v3, vcc_lo
	v_add_co_u32 v3, vcc_lo, v24, s20
	v_add_co_ci_u32_e64 v5, null, s21, v22, vcc_lo
	s_lshl_b64 s[20:21], s[14:15], 2
	v_add_co_u32 v6, vcc_lo, v3, s12
	v_add_co_ci_u32_e64 v7, null, s13, v5, vcc_lo
	v_add_co_u32 v3, vcc_lo, v1, s20
	v_add_co_ci_u32_e64 v4, null, s21, v4, vcc_lo
	;; [unrolled: 2-line block ×3, first 2 shown]
	flat_store_dword v[3:4], v0
	flat_store_dword v[5:6], v2
.LBB308_994:
	s_or_b32 exec_lo, exec_lo, s8
	s_ashr_i32 s17, s16, 31
	s_getpc_b64 s[8:9]
	s_add_u32 s8, s8, llvm.amdgcn.dynlds.offset.table@rel32@lo+4
	s_addc_u32 s9, s9, llvm.amdgcn.dynlds.offset.table@rel32@hi+12
	s_lshl_b64 s[12:13], s[16:17], 2
	v_mov_b32_e32 v68, 0
	v_mov_b32_e32 v56, v19
	v_and_b32_e32 v21, 3, v19
	v_mov_b32_e32 v69, 0
	v_mov_b32_e32 v67, 0
	;; [unrolled: 1-line block ×14, first 2 shown]
	s_add_u32 s8, s8, s12
	s_addc_u32 s9, s9, s13
	s_and_saveexec_b32 s7, s4
	s_cbranch_execz .LBB308_1990
; %bb.995:
	s_load_dword s4, s[8:9], 0x0
	s_clause 0x2
	buffer_load_dword v2, off, s[0:3], s32 offset:208
	buffer_load_dword v3, off, s[0:3], s32 offset:212
	buffer_load_dword v9, off, s[0:3], s32 offset:380
	v_max_i32_e32 v30, v30, v17
	v_lshlrev_b32_e32 v0, 3, v56
	v_lshlrev_b32_e32 v7, 5, v21
	v_add_co_u32 v4, vcc_lo, v10, v12
	v_cvt_f32_u32_e32 v1, v30
	v_sub_nc_u32_e32 v8, 0, v30
	v_and_b32_e32 v71, 24, v0
	v_and_b32_e32 v0, 0xf8, v0
	v_add_co_ci_u32_e64 v5, null, v11, v18, vcc_lo
	v_rcp_iflag_f32_e32 v6, v1
	v_add_nc_u32_e32 v52, -1, v16
	v_mov_b32_e32 v1, 0
	v_mov_b32_e32 v17, 0x80
	;; [unrolled: 1-line block ×8, first 2 shown]
	v_mul_f32_e32 v6, 0x4f7ffffe, v6
	v_mov_b32_e32 v29, 0
	v_mov_b32_e32 v31, 0
	;; [unrolled: 1-line block ×4, first 2 shown]
	v_cvt_u32_f32_e32 v6, v6
	v_mov_b32_e32 v34, 0
	v_mov_b32_e32 v55, 0
	;; [unrolled: 1-line block ×4, first 2 shown]
	v_mul_lo_u32 v8, v8, v6
	v_mov_b32_e32 v66, 0
	v_mov_b32_e32 v67, 0
	;; [unrolled: 1-line block ×4, first 2 shown]
	s_mov_b32 s12, -1
	s_mov_b32 s13, 0xffffff
	s_mov_b32 s11, 0
	v_mul_hi_u32 v11, v6, v8
	s_waitcnt vmcnt(1)
	v_lshlrev_b64 v[2:3], 2, v[2:3]
	s_waitcnt vmcnt(0)
	v_lshl_or_b32 v9, v9, 7, v7
	v_add_co_u32 v7, vcc_lo, v37, v2
	v_add_co_ci_u32_e64 v10, null, v38, v3, vcc_lo
	v_add_co_u32 v2, vcc_lo, v4, v0
	v_add_co_ci_u32_e64 v3, null, 0, v5, vcc_lo
	;; [unrolled: 2-line block ×3, first 2 shown]
	s_waitcnt lgkmcnt(0)
	v_add_nc_u32_e32 v14, s4, v9
	v_add_nc_u32_e32 v15, v6, v11
	s_branch .LBB308_998
.LBB308_996:                            ;   in Loop: Header=BB308_998 Depth=1
	s_or_b32 exec_lo, exec_lo, s4
	v_add_f32_e32 v6, v6, v22
	v_add_f32_e32 v4, v4, v5
	;; [unrolled: 1-line block ×8, first 2 shown]
	;;#ASMSTART
	v_pk_mul_f16 v5, v84, v16;

	;;#ASMEND
	v_add_f32_e32 v18, v48, v49
	v_add_f32_e32 v23, v35, v38
	;; [unrolled: 1-line block ×3, first 2 shown]
	;;#ASMSTART
	v_pk_mul_f16 v6, v83, v10;

	;;#ASMEND
	;;#ASMSTART
	v_pk_mul_f16 v9, v82, v9;

	;;#ASMEND
	;; [unrolled: 4-line block ×3, first 2 shown]
	;;#ASMSTART
	v_pk_add_f16 v5, v5, v6;

	;;#ASMEND
	;;#ASMSTART
	v_pk_add_f16 v5, v5, v9;

	;;#ASMEND
	;; [unrolled: 4-line block ×3, first 2 shown]
	v_and_b32_e32 v9, 0xffff, v0
	v_lshrrev_b32_e32 v10, 16, v0
	;;#ASMSTART
	v_cvt_f32_f16 v9, v9;
	;;#ASMEND
	v_add_f32_e32 v25, v25, v11
	v_add_f32_e32 v28, v28, v12
	;; [unrolled: 1-line block ×9, first 2 shown]
	;;#ASMSTART
	v_cvt_f32_f16 v10, v10;
	;;#ASMEND
	v_add_f32_e32 v9, v9, v10
	v_add_f32_e32 v29, v29, v18
	v_add_f32_e32 v31, v31, v23
	v_add_f32_e32 v64, v64, v11
	v_add_f32_e32 v65, v65, v12
	v_add_f32_e32 v66, v66, v4
	v_add_f32_e32 v67, v67, v0
	v_add_f32_e32 v69, v69, v5
	v_add_f32_e32 v68, v68, v6
	v_add_f32_e32 v24, v24, v9
.LBB308_997:                            ;   in Loop: Header=BB308_998 Depth=1
	s_or_b32 exec_lo, exec_lo, s15
	s_clause 0x1
	buffer_load_dword v4, off, s[0:3], s32 offset:208
	buffer_load_dword v5, off, s[0:3], s32 offset:212
	v_add_co_u32 v7, s4, v7, 16
	v_add_co_ci_u32_e64 v8, null, 0, v8, s4
	v_add_nc_u32_e32 v92, 0x80, v92
	v_add_nc_u32_e32 v14, 0x200, v14
	s_waitcnt vmcnt(1)
	v_add_nc_u32_e32 v4, 4, v4
	v_mov_b32_e32 v0, v4
	buffer_store_dword v0, off, s[0:3], s32 offset:208 ; 4-byte Folded Spill
	buffer_store_dword v1, off, s[0:3], s32 offset:212 ; 4-byte Folded Spill
	buffer_load_dword v0, off, s[0:3], s32 offset:232 ; 4-byte Folded Reload
	s_waitcnt vmcnt(0)
	v_cmp_ge_i32_e32 vcc_lo, v4, v0
	s_or_b32 s11, vcc_lo, s11
	s_andn2_b32 exec_lo, exec_lo, s11
	s_cbranch_execz .LBB308_1989
.LBB308_998:                            ; =>This Inner Loop Header: Depth=1
	s_clause 0x2
	buffer_load_dword v4, off, s[0:3], s32 offset:236
	buffer_load_dword v9, off, s[0:3], s32 offset:216
	;; [unrolled: 1-line block ×3, first 2 shown]
	v_sub_nc_u32_e32 v0, 0, v92
	v_max_i32_e32 v0, v92, v0
	s_waitcnt vmcnt(2)
	v_mul_hi_u32 v4, v0, v4
	s_waitcnt vmcnt(1)
	v_mul_lo_u32 v5, v4, v9
	v_sub_nc_u32_e32 v0, v0, v5
	v_add_nc_u32_e32 v5, 1, v4
	v_sub_nc_u32_e32 v6, v0, v9
	v_cmp_ge_u32_e32 vcc_lo, v0, v9
	v_cndmask_b32_e32 v4, v4, v5, vcc_lo
	v_cndmask_b32_e32 v0, v0, v6, vcc_lo
	v_ashrrev_i32_e32 v5, 31, v92
	v_add_nc_u32_e32 v6, 1, v4
	v_cmp_ge_u32_e32 vcc_lo, v0, v9
	s_waitcnt vmcnt(0)
	v_xor_b32_e32 v5, v5, v10
	v_cndmask_b32_e32 v0, v4, v6, vcc_lo
	v_xor_b32_e32 v0, v0, v5
	v_sub_nc_u32_e32 v0, v0, v5
	s_clause 0x1
	buffer_load_dword v4, off, s[0:3], s32 offset:220
	buffer_load_dword v5, off, s[0:3], s32 offset:224
	s_waitcnt vmcnt(1)
	v_add_nc_u32_e32 v4, v0, v4
	s_waitcnt vmcnt(0)
	v_sub_nc_u32_e32 v5, 0, v4
	v_max_i32_e32 v5, v4, v5
	v_ashrrev_i32_e32 v4, 31, v4
	v_mul_hi_u32 v6, v5, v15
	v_mul_lo_u32 v6, v6, v30
	v_sub_nc_u32_e32 v5, v5, v6
	v_sub_nc_u32_e32 v6, v5, v30
	v_cmp_ge_u32_e32 vcc_lo, v5, v30
	v_cndmask_b32_e32 v5, v5, v6, vcc_lo
	v_sub_nc_u32_e32 v6, v5, v30
	v_cmp_ge_u32_e32 vcc_lo, v5, v30
	v_cndmask_b32_e32 v5, v5, v6, vcc_lo
	v_xor_b32_e32 v5, v5, v4
	v_sub_nc_u32_e32 v4, v5, v4
	v_cmp_eq_u32_e32 vcc_lo, 0, v4
	buffer_load_dword v4, off, s[0:3], s32 offset:240 ; 4-byte Folded Reload
	s_waitcnt vmcnt(0)
	v_cmp_gt_i32_e64 s4, v0, v4
	s_or_b32 s4, vcc_lo, s4
	s_and_saveexec_b32 s15, s4
	s_cbranch_execz .LBB308_997
; %bb.999:                              ;   in Loop: Header=BB308_998 Depth=1
	flat_load_dword v0, v[7:8]
	ds_read2_b64 v[48:51], v14 offset1:1
	ds_read2_b64 v[80:83], v14 offset0:2 offset1:3
	s_waitcnt lgkmcnt(1)
	;;#ASMSTART
	v_cvt_f16_f32 v4, v48;

	;;#ASMEND
	buffer_load_dword v5, off, s[0:3], s32 offset:276 ; 4-byte Folded Reload
	v_mov_b32_e32 v48, 0
	s_waitcnt vmcnt(0)
	v_mad_i64_i32 v[9:10], null, v0, v5, v[2:3]
	;;#ASMSTART
	v_cvt_f16_f32 v5, v49;

	;;#ASMEND
	;;#ASMSTART
	v_cvt_f16_f32 v22, v50;

	;;#ASMEND
	;; [unrolled: 4-line block ×3, first 2 shown]
	s_waitcnt lgkmcnt(0)
	;;#ASMSTART
	v_cvt_f16_f32 v35, v80;

	;;#ASMEND
	;;#ASMSTART
	v_cvt_f16_f32 v16, v81;

	;;#ASMEND
	;; [unrolled: 4-line block ×4, first 2 shown]
	flat_load_dwordx2 v[11:12], v[9:10]
	s_clause 0x1
	buffer_load_dword v26, off, s[0:3], s32 offset:200
	buffer_load_dword v27, off, s[0:3], s32 offset:204
	v_mov_b32_e32 v49, 0
	s_waitcnt vmcnt(2) lgkmcnt(0)
	v_cmp_ne_u16_sdwa s16, v11, v1 src0_sel:BYTE_0 src1_sel:DWORD
	s_waitcnt vmcnt(0)
	flat_load_dword v38, v[26:27]
	s_and_saveexec_b32 s4, s16
	s_cbranch_execz .LBB308_1007
; %bb.1000:                             ;   in Loop: Header=BB308_998 Depth=1
	v_cmp_ne_u16_sdwa s17, v11, v17 src0_sel:BYTE_0 src1_sel:DWORD
	v_mov_b32_e32 v49, 0x8000
	s_and_saveexec_b32 s16, s17
	s_cbranch_execz .LBB308_1006
; %bb.1001:                             ;   in Loop: Header=BB308_998 Depth=1
	v_and_b32_e32 v26, 0x7f, v11
	v_mov_b32_e32 v49, 0x7c01
	s_mov_b32 s17, exec_lo
	v_cmpx_ne_u32_e32 0x7f, v26
	s_cbranch_execz .LBB308_1005
; %bb.1002:                             ;   in Loop: Header=BB308_998 Depth=1
	v_and_b32_e32 v0, 7, v11
	v_lshrrev_b32_e32 v18, 3, v26
	s_mov_b32 s18, exec_lo
	v_cmpx_gt_u32_e32 8, v26
; %bb.1003:                             ;   in Loop: Header=BB308_998 Depth=1
	v_ffbh_u32_e32 v0, v0
	v_min_u32_e32 v0, 32, v0
	v_subrev_nc_u32_e32 v18, 28, v0
	v_lshlrev_b64 v[26:27], v18, v[11:12]
	v_sub_nc_u32_e32 v18, 29, v0
	v_and_b32_e32 v0, 7, v26
; %bb.1004:                             ;   in Loop: Header=BB308_998 Depth=1
	s_or_b32 exec_lo, exec_lo, s18
	v_lshlrev_b32_e32 v23, 8, v11
	v_lshl_add_u32 v18, v18, 10, 0x2000
	v_lshlrev_b32_e32 v0, 7, v0
	v_and_b32_e32 v23, 0x8000, v23
	v_and_b32_e32 v18, 0xfc00, v18
	v_or3_b32 v49, v23, v18, v0
.LBB308_1005:                           ;   in Loop: Header=BB308_998 Depth=1
	s_or_b32 exec_lo, exec_lo, s17
.LBB308_1006:                           ;   in Loop: Header=BB308_998 Depth=1
	s_or_b32 exec_lo, exec_lo, s16
.LBB308_1007:                           ;   in Loop: Header=BB308_998 Depth=1
	s_or_b32 exec_lo, exec_lo, s4
	v_lshrrev_b16 v0, 8, v11
	s_mov_b32 s4, exec_lo
	v_cmpx_ne_u16_e32 0, v0
	s_cbranch_execz .LBB308_1015
; %bb.1008:                             ;   in Loop: Header=BB308_998 Depth=1
	v_bfrev_b32_e32 v48, 1
	s_mov_b32 s16, exec_lo
	v_cmpx_ne_u16_e32 0x80, v0
	s_cbranch_execz .LBB308_1014
; %bb.1009:                             ;   in Loop: Header=BB308_998 Depth=1
	v_and_b32_sdwa v27, v0, v53 dst_sel:DWORD dst_unused:UNUSED_PAD src0_sel:WORD_0 src1_sel:DWORD
	v_mov_b32_e32 v48, 0x7c010000
	s_mov_b32 s17, exec_lo
	v_cmpx_ne_u32_e32 0x7f, v27
	s_cbranch_execz .LBB308_1013
; %bb.1010:                             ;   in Loop: Header=BB308_998 Depth=1
	v_and_b32_sdwa v18, v0, v54 dst_sel:DWORD dst_unused:UNUSED_PAD src0_sel:WORD_0 src1_sel:DWORD
	v_lshrrev_b32_e32 v26, 3, v27
	s_mov_b32 s18, exec_lo
	v_cmpx_gt_u32_e32 8, v27
; %bb.1011:                             ;   in Loop: Header=BB308_998 Depth=1
	v_ffbh_u32_e32 v18, v18
	v_min_u32_e32 v18, 32, v18
	v_subrev_nc_u32_e32 v23, 28, v18
	v_sub_nc_u32_e32 v26, 29, v18
	v_lshlrev_b64 v[50:51], v23, v[0:1]
	v_and_b32_e32 v18, 7, v50
; %bb.1012:                             ;   in Loop: Header=BB308_998 Depth=1
	s_or_b32 exec_lo, exec_lo, s18
	v_lshlrev_b32_sdwa v0, v70, v0 dst_sel:DWORD dst_unused:UNUSED_PAD src0_sel:DWORD src1_sel:WORD_0
	v_lshl_add_u32 v23, v26, 10, 0x2000
	v_lshlrev_b32_e32 v18, 23, v18
	v_and_or_b32 v0, 0x8000, v0, v23
	v_lshl_or_b32 v48, v0, 16, v18
.LBB308_1013:                           ;   in Loop: Header=BB308_998 Depth=1
	s_or_b32 exec_lo, exec_lo, s17
.LBB308_1014:                           ;   in Loop: Header=BB308_998 Depth=1
	s_or_b32 exec_lo, exec_lo, s16
.LBB308_1015:                           ;   in Loop: Header=BB308_998 Depth=1
	s_or_b32 exec_lo, exec_lo, s4
	v_lshrrev_b32_e32 v0, 16, v11
	v_mov_b32_e32 v50, 0
	v_mov_b32_e32 v18, 0
	v_cmp_ne_u16_sdwa s16, v0, v1 src0_sel:BYTE_0 src1_sel:DWORD
	s_and_saveexec_b32 s4, s16
	s_cbranch_execz .LBB308_1023
; %bb.1016:                             ;   in Loop: Header=BB308_998 Depth=1
	v_cmp_ne_u16_sdwa s17, v0, v17 src0_sel:BYTE_0 src1_sel:DWORD
	v_mov_b32_e32 v18, 0x8000
	s_and_saveexec_b32 s16, s17
	s_cbranch_execz .LBB308_1022
; %bb.1017:                             ;   in Loop: Header=BB308_998 Depth=1
	v_bfe_u32 v27, v11, 16, 7
	v_mov_b32_e32 v18, 0x7c01
	s_mov_b32 s17, exec_lo
	v_cmpx_ne_u32_e32 0x7f, v27
	s_cbranch_execz .LBB308_1021
; %bb.1018:                             ;   in Loop: Header=BB308_998 Depth=1
	v_and_b32_e32 v18, 7, v0
	v_lshrrev_b32_e32 v26, 3, v27
	s_mov_b32 s18, exec_lo
	v_cmpx_gt_u32_e32 8, v27
; %bb.1019:                             ;   in Loop: Header=BB308_998 Depth=1
	v_ffbh_u32_e32 v18, v18
	v_min_u32_e32 v18, 32, v18
	v_subrev_nc_u32_e32 v23, 28, v18
	v_sub_nc_u32_e32 v26, 29, v18
	v_lshlrev_b64 v[80:81], v23, v[0:1]
	v_and_b32_e32 v18, 7, v80
; %bb.1020:                             ;   in Loop: Header=BB308_998 Depth=1
	s_or_b32 exec_lo, exec_lo, s18
	v_lshlrev_b32_e32 v0, 8, v0
	v_lshl_add_u32 v23, v26, 10, 0x2000
	v_lshlrev_b32_e32 v18, 7, v18
	v_and_b32_e32 v0, 0x8000, v0
	v_and_b32_e32 v23, 0xfc00, v23
	v_or3_b32 v18, v0, v23, v18
.LBB308_1021:                           ;   in Loop: Header=BB308_998 Depth=1
	s_or_b32 exec_lo, exec_lo, s17
.LBB308_1022:                           ;   in Loop: Header=BB308_998 Depth=1
	s_or_b32 exec_lo, exec_lo, s16
.LBB308_1023:                           ;   in Loop: Header=BB308_998 Depth=1
	s_or_b32 exec_lo, exec_lo, s4
	s_mov_b32 s4, exec_lo
	v_cmpx_lt_u32_e32 0xffffff, v11
	s_cbranch_execz .LBB308_1031
; %bb.1024:                             ;   in Loop: Header=BB308_998 Depth=1
	v_lshrrev_b32_e32 v0, 24, v11
	v_bfrev_b32_e32 v50, 1
	s_mov_b32 s16, exec_lo
	v_cmpx_ne_u32_e32 0x80, v0
	s_cbranch_execz .LBB308_1030
; %bb.1025:                             ;   in Loop: Header=BB308_998 Depth=1
	v_and_b32_e32 v39, 0x7f, v0
	v_mov_b32_e32 v50, 0x7c010000
	s_mov_b32 s17, exec_lo
	v_cmpx_ne_u32_e32 0x7f, v39
	s_cbranch_execz .LBB308_1029
; %bb.1026:                             ;   in Loop: Header=BB308_998 Depth=1
	v_and_b32_e32 v26, 7, v0
	v_lshrrev_b32_e32 v27, 3, v39
	s_mov_b32 s18, exec_lo
	v_cmpx_gt_u32_e32 8, v39
; %bb.1027:                             ;   in Loop: Header=BB308_998 Depth=1
	v_ffbh_u32_e32 v23, v26
	v_min_u32_e32 v23, 32, v23
	v_subrev_nc_u32_e32 v26, 28, v23
	v_lshlrev_b64 v[26:27], v26, v[0:1]
	v_sub_nc_u32_e32 v27, 29, v23
	v_and_b32_e32 v26, 7, v26
; %bb.1028:                             ;   in Loop: Header=BB308_998 Depth=1
	s_or_b32 exec_lo, exec_lo, s18
	v_lshlrev_b32_e32 v0, 8, v0
	v_lshl_add_u32 v23, v27, 10, 0x2000
	v_and_or_b32 v0, 0x8000, v0, v23
	v_lshlrev_b32_e32 v23, 23, v26
	v_lshl_or_b32 v50, v0, 16, v23
.LBB308_1029:                           ;   in Loop: Header=BB308_998 Depth=1
	s_or_b32 exec_lo, exec_lo, s17
.LBB308_1030:                           ;   in Loop: Header=BB308_998 Depth=1
	s_or_b32 exec_lo, exec_lo, s16
.LBB308_1031:                           ;   in Loop: Header=BB308_998 Depth=1
	s_or_b32 exec_lo, exec_lo, s4
	v_mov_b32_e32 v0, v12
	v_cmp_ne_u16_sdwa s16, v12, v1 src0_sel:BYTE_0 src1_sel:DWORD
	v_mov_b32_e32 v39, 0
	v_mov_b32_e32 v27, 0
	s_and_saveexec_b32 s4, s16
	s_cbranch_execz .LBB308_1039
; %bb.1032:                             ;   in Loop: Header=BB308_998 Depth=1
	v_cmp_ne_u16_sdwa s17, v12, v17 src0_sel:BYTE_0 src1_sel:DWORD
	v_mov_b32_e32 v27, 0x8000
	s_and_saveexec_b32 s16, s17
	s_cbranch_execz .LBB308_1038
; %bb.1033:                             ;   in Loop: Header=BB308_998 Depth=1
	v_and_b32_e32 v51, 0x7f, v12
	v_mov_b32_e32 v27, 0x7c01
	s_mov_b32 s17, exec_lo
	v_cmpx_ne_u32_e32 0x7f, v51
	s_cbranch_execz .LBB308_1037
; %bb.1034:                             ;   in Loop: Header=BB308_998 Depth=1
	v_and_b32_e32 v26, 7, v12
	v_lshrrev_b32_e32 v27, 3, v51
	s_mov_b32 s18, exec_lo
	v_cmpx_gt_u32_e32 8, v51
; %bb.1035:                             ;   in Loop: Header=BB308_998 Depth=1
	v_ffbh_u32_e32 v23, v26
	v_min_u32_e32 v23, 32, v23
	v_subrev_nc_u32_e32 v26, 28, v23
	v_lshlrev_b64 v[26:27], v26, v[0:1]
	v_sub_nc_u32_e32 v27, 29, v23
	v_and_b32_e32 v26, 7, v26
; %bb.1036:                             ;   in Loop: Header=BB308_998 Depth=1
	s_or_b32 exec_lo, exec_lo, s18
	v_lshlrev_b32_e32 v23, 8, v12
	v_lshl_add_u32 v27, v27, 10, 0x2000
	v_lshlrev_b32_e32 v26, 7, v26
	v_and_b32_e32 v23, 0x8000, v23
	v_and_b32_e32 v27, 0xfc00, v27
	v_or3_b32 v27, v23, v27, v26
.LBB308_1037:                           ;   in Loop: Header=BB308_998 Depth=1
	s_or_b32 exec_lo, exec_lo, s17
.LBB308_1038:                           ;   in Loop: Header=BB308_998 Depth=1
	s_or_b32 exec_lo, exec_lo, s16
.LBB308_1039:                           ;   in Loop: Header=BB308_998 Depth=1
	s_or_b32 exec_lo, exec_lo, s4
	v_lshrrev_b16 v0, 8, v0
	v_mov_b32_e32 v26, 0
	s_mov_b32 s4, exec_lo
	v_cmpx_ne_u16_e32 0, v0
	s_cbranch_execz .LBB308_1047
; %bb.1040:                             ;   in Loop: Header=BB308_998 Depth=1
	v_bfrev_b32_e32 v26, 1
	s_mov_b32 s16, exec_lo
	v_cmpx_ne_u16_e32 0x80, v0
	s_cbranch_execz .LBB308_1046
; %bb.1041:                             ;   in Loop: Header=BB308_998 Depth=1
	v_and_b32_sdwa v80, v0, v53 dst_sel:DWORD dst_unused:UNUSED_PAD src0_sel:WORD_0 src1_sel:DWORD
	v_mov_b32_e32 v26, 0x7c010000
	s_mov_b32 s17, exec_lo
	v_cmpx_ne_u32_e32 0x7f, v80
	s_cbranch_execz .LBB308_1045
; %bb.1042:                             ;   in Loop: Header=BB308_998 Depth=1
	v_and_b32_sdwa v26, v0, v54 dst_sel:DWORD dst_unused:UNUSED_PAD src0_sel:WORD_0 src1_sel:DWORD
	v_lshrrev_b32_e32 v51, 3, v80
	s_mov_b32 s18, exec_lo
	v_cmpx_gt_u32_e32 8, v80
; %bb.1043:                             ;   in Loop: Header=BB308_998 Depth=1
	v_ffbh_u32_e32 v23, v26
	v_min_u32_e32 v23, 32, v23
	v_subrev_nc_u32_e32 v26, 28, v23
	v_sub_nc_u32_e32 v51, 29, v23
	v_lshlrev_b64 v[80:81], v26, v[0:1]
	v_and_b32_e32 v26, 7, v80
; %bb.1044:                             ;   in Loop: Header=BB308_998 Depth=1
	s_or_b32 exec_lo, exec_lo, s18
	v_lshlrev_b32_sdwa v0, v70, v0 dst_sel:DWORD dst_unused:UNUSED_PAD src0_sel:DWORD src1_sel:WORD_0
	v_lshl_add_u32 v23, v51, 10, 0x2000
	v_and_or_b32 v0, 0x8000, v0, v23
	v_lshlrev_b32_e32 v23, 23, v26
	v_lshl_or_b32 v26, v0, 16, v23
.LBB308_1045:                           ;   in Loop: Header=BB308_998 Depth=1
	s_or_b32 exec_lo, exec_lo, s17
.LBB308_1046:                           ;   in Loop: Header=BB308_998 Depth=1
	s_or_b32 exec_lo, exec_lo, s16
.LBB308_1047:                           ;   in Loop: Header=BB308_998 Depth=1
	s_or_b32 exec_lo, exec_lo, s4
	v_lshrrev_b32_e32 v0, 16, v12
	v_cmp_ne_u16_sdwa s16, v0, v1 src0_sel:BYTE_0 src1_sel:DWORD
	s_and_saveexec_b32 s4, s16
	s_cbranch_execz .LBB308_1055
; %bb.1048:                             ;   in Loop: Header=BB308_998 Depth=1
	v_cmp_ne_u16_sdwa s17, v0, v17 src0_sel:BYTE_0 src1_sel:DWORD
	v_mov_b32_e32 v39, 0x8000
	s_and_saveexec_b32 s16, s17
	s_cbranch_execz .LBB308_1054
; %bb.1049:                             ;   in Loop: Header=BB308_998 Depth=1
	v_bfe_u32 v80, v12, 16, 7
	v_mov_b32_e32 v39, 0x7c01
	s_mov_b32 s17, exec_lo
	v_cmpx_ne_u32_e32 0x7f, v80
	s_cbranch_execz .LBB308_1053
; %bb.1050:                             ;   in Loop: Header=BB308_998 Depth=1
	v_and_b32_e32 v39, 7, v0
	v_lshrrev_b32_e32 v51, 3, v80
	s_mov_b32 s18, exec_lo
	v_cmpx_gt_u32_e32 8, v80
; %bb.1051:                             ;   in Loop: Header=BB308_998 Depth=1
	v_ffbh_u32_e32 v23, v39
	v_min_u32_e32 v23, 32, v23
	v_subrev_nc_u32_e32 v39, 28, v23
	v_sub_nc_u32_e32 v51, 29, v23
	v_lshlrev_b64 v[80:81], v39, v[0:1]
	v_and_b32_e32 v39, 7, v80
; %bb.1052:                             ;   in Loop: Header=BB308_998 Depth=1
	s_or_b32 exec_lo, exec_lo, s18
	v_lshlrev_b32_e32 v0, 8, v0
	v_lshl_add_u32 v23, v51, 10, 0x2000
	v_lshlrev_b32_e32 v39, 7, v39
	v_and_b32_e32 v0, 0x8000, v0
	v_and_b32_e32 v23, 0xfc00, v23
	v_or3_b32 v39, v0, v23, v39
.LBB308_1053:                           ;   in Loop: Header=BB308_998 Depth=1
	s_or_b32 exec_lo, exec_lo, s17
.LBB308_1054:                           ;   in Loop: Header=BB308_998 Depth=1
	s_or_b32 exec_lo, exec_lo, s16
.LBB308_1055:                           ;   in Loop: Header=BB308_998 Depth=1
	s_or_b32 exec_lo, exec_lo, s4
	v_cmp_lt_u64_e32 vcc_lo, s[12:13], v[11:12]
	v_mov_b32_e32 v11, 0
	s_and_saveexec_b32 s4, vcc_lo
	s_cbranch_execz .LBB308_1063
; %bb.1056:                             ;   in Loop: Header=BB308_998 Depth=1
	v_lshrrev_b32_e32 v0, 24, v12
	v_bfrev_b32_e32 v11, 1
	s_mov_b32 s16, exec_lo
	v_cmpx_ne_u32_e32 0x80, v0
	s_cbranch_execz .LBB308_1062
; %bb.1057:                             ;   in Loop: Header=BB308_998 Depth=1
	v_and_b32_e32 v51, 0x7f, v0
	v_mov_b32_e32 v11, 0x7c010000
	s_mov_b32 s17, exec_lo
	v_cmpx_ne_u32_e32 0x7f, v51
	s_cbranch_execz .LBB308_1061
; %bb.1058:                             ;   in Loop: Header=BB308_998 Depth=1
	v_and_b32_e32 v11, 7, v0
	v_lshrrev_b32_e32 v12, 3, v51
	s_mov_b32 s18, exec_lo
	v_cmpx_gt_u32_e32 8, v51
; %bb.1059:                             ;   in Loop: Header=BB308_998 Depth=1
	v_ffbh_u32_e32 v11, v11
	v_min_u32_e32 v23, 32, v11
	v_subrev_nc_u32_e32 v11, 28, v23
	v_lshlrev_b64 v[11:12], v11, v[0:1]
	v_sub_nc_u32_e32 v12, 29, v23
	v_and_b32_e32 v11, 7, v11
; %bb.1060:                             ;   in Loop: Header=BB308_998 Depth=1
	s_or_b32 exec_lo, exec_lo, s18
	v_lshlrev_b32_e32 v0, 8, v0
	v_lshl_add_u32 v12, v12, 10, 0x2000
	v_lshlrev_b32_e32 v11, 23, v11
	v_and_or_b32 v0, 0x8000, v0, v12
	v_lshl_or_b32 v11, v0, 16, v11
.LBB308_1061:                           ;   in Loop: Header=BB308_998 Depth=1
	s_or_b32 exec_lo, exec_lo, s17
.LBB308_1062:                           ;   in Loop: Header=BB308_998 Depth=1
	s_or_b32 exec_lo, exec_lo, s16
.LBB308_1063:                           ;   in Loop: Header=BB308_998 Depth=1
	s_or_b32 exec_lo, exec_lo, s4
	s_clause 0x1
	buffer_load_dword v81, off, s[0:3], s32 offset:208
	buffer_load_dword v82, off, s[0:3], s32 offset:212
	v_or_b32_e32 v0, v50, v18
	v_or_b32_e32 v23, v48, v49
	;; [unrolled: 1-line block ×4, first 2 shown]
	s_waitcnt vmcnt(2) lgkmcnt(0)
	v_fma_mixlo_f16 v12, v38, v50, 0 op_sel:[0,1,0] op_sel_hi:[0,1,0]
	v_fma_mixlo_f16 v0, v38, v0, 0 op_sel_hi:[0,1,0]
	v_fma_mixlo_f16 v48, v38, v48, 0 op_sel:[0,1,0] op_sel_hi:[0,1,0]
	v_fma_mixlo_f16 v11, v38, v11, 0 op_sel:[0,1,0] op_sel_hi:[0,1,0]
	v_add_nc_u32_e32 v18, v71, v92
	v_lshlrev_b32_e32 v12, 16, v12
	v_and_b32_e32 v39, 0xffff, v0
	v_fma_mixlo_f16 v0, v38, v23, 0 op_sel_hi:[0,1,0]
	v_fma_mixlo_f16 v23, v38, v26, 0 op_sel:[0,1,0] op_sel_hi:[0,1,0]
	v_fma_mixlo_f16 v26, v38, v27, 0 op_sel_hi:[0,1,0]
	v_fma_mixlo_f16 v38, v38, v49, 0 op_sel_hi:[0,1,0]
	v_lshlrev_b32_e32 v50, 16, v48
	v_and_b32_e32 v80, 0xffff, v0
	v_lshlrev_b32_e32 v48, 16, v23
	v_and_b32_e32 v51, 0xffff, v26
	v_lshlrev_b32_e32 v27, 16, v11
	v_and_b32_e32 v49, 0xffff, v38
	v_or_b32_e32 v0, v12, v39
	v_or_b32_e32 v11, v50, v80
	;; [unrolled: 1-line block ×3, first 2 shown]
	v_add_nc_u32_e32 v99, 1, v18
	v_or_b32_e32 v38, v27, v49
	v_add_nc_u32_e32 v98, 2, v18
	v_add_nc_u32_e32 v97, 3, v18
	;; [unrolled: 1-line block ×6, first 2 shown]
	s_waitcnt vmcnt(1)
	v_cmp_eq_u32_e32 vcc_lo, v52, v81
	s_and_saveexec_b32 s16, vcc_lo
	s_cbranch_execz .LBB308_1065
; %bb.1064:                             ;   in Loop: Header=BB308_998 Depth=1
	v_cmp_lt_i32_e64 s4, v18, v36
	v_cndmask_b32_e64 v0, 0, v80, s4
	v_cmp_lt_i32_e64 s4, v99, v36
	v_cndmask_b32_e64 v11, 0, v50, s4
	v_cmp_lt_i32_e64 s4, v98, v36
	v_or_b32_e32 v11, v0, v11
	v_cndmask_b32_e64 v23, 0, v39, s4
	v_cmp_lt_i32_e64 s4, v97, v36
	v_cndmask_b32_e64 v12, 0, v12, s4
	v_cmp_lt_i32_e64 s4, v96, v36
	v_or_b32_e32 v0, v23, v12
	;; [unrolled: 5-line block ×3, first 2 shown]
	v_cndmask_b32_e64 v39, 0, v49, s4
	v_cmp_lt_i32_e64 s4, v85, v36
	v_cndmask_b32_e64 v27, 0, v27, s4
	v_or_b32_e32 v38, v39, v27
.LBB308_1065:                           ;   in Loop: Header=BB308_998 Depth=1
	s_or_b32 exec_lo, exec_lo, s16
	v_and_b32_e32 v4, 0xffff, v4
	v_and_b32_e32 v12, 0xffff, v22
	;; [unrolled: 1-line block ×4, first 2 shown]
	v_lshl_or_b32 v84, v5, 16, v4
	v_lshl_or_b32 v83, v6, 16, v12
	;;#ASMSTART
	v_pk_mul_f16 v4, v84, v11;

	;;#ASMEND
	;;#ASMSTART
	v_pk_mul_f16 v0, v83, v0;

	;;#ASMEND
	s_waitcnt vmcnt(0)
	v_lshl_or_b32 v82, v16, 16, v22
	v_lshl_or_b32 v81, v19, 16, v23
	;;#ASMSTART
	v_pk_mul_f16 v5, v82, v26;

	;;#ASMEND
	;;#ASMSTART
	v_pk_mul_f16 v6, v81, v38;

	;;#ASMEND
	;;#ASMSTART
	v_pk_add_f16 v0, v4, v0;

	;;#ASMEND
	;;#ASMSTART
	v_pk_add_f16 v0, v0, v5;
	;; [unrolled: 4-line block ×3, first 2 shown]

	;;#ASMEND
	v_and_b32_e32 v4, 0xffff, v0
	v_lshrrev_b32_e32 v0, 16, v0
	;;#ASMSTART
	v_cvt_f32_f16 v19, v4;
	;;#ASMEND
	;;#ASMSTART
	v_cvt_f32_f16 v80, v0;
	;;#ASMEND
	flat_load_dwordx2 v[11:12], v[9:10] offset:256
	s_clause 0x1
	buffer_load_dword v4, off, s[0:3], s32 offset:200
	buffer_load_dword v5, off, s[0:3], s32 offset:204
	v_mov_b32_e32 v6, 0
	s_waitcnt vmcnt(2) lgkmcnt(0)
	v_cmp_ne_u16_sdwa s4, v11, v1 src0_sel:BYTE_0 src1_sel:DWORD
	s_waitcnt vmcnt(0)
	flat_load_dword v4, v[4:5]
	v_mov_b32_e32 v5, 0
	s_and_saveexec_b32 s16, s4
	s_cbranch_execz .LBB308_1073
; %bb.1066:                             ;   in Loop: Header=BB308_998 Depth=1
	v_cmp_ne_u16_sdwa s4, v11, v17 src0_sel:BYTE_0 src1_sel:DWORD
	v_mov_b32_e32 v6, 0x8000
	s_and_saveexec_b32 s17, s4
	s_cbranch_execz .LBB308_1072
; %bb.1067:                             ;   in Loop: Header=BB308_998 Depth=1
	v_and_b32_e32 v16, 0x7f, v11
	v_mov_b32_e32 v6, 0x7c01
	s_mov_b32 s18, exec_lo
	v_cmpx_ne_u32_e32 0x7f, v16
	s_cbranch_execz .LBB308_1071
; %bb.1068:                             ;   in Loop: Header=BB308_998 Depth=1
	v_and_b32_e32 v0, 7, v11
	v_lshrrev_b32_e32 v6, 3, v16
	s_mov_b32 s20, exec_lo
	v_cmpx_gt_u32_e32 8, v16
; %bb.1069:                             ;   in Loop: Header=BB308_998 Depth=1
	v_ffbh_u32_e32 v0, v0
	v_min_u32_e32 v0, 32, v0
	v_subrev_nc_u32_e32 v6, 28, v0
	v_lshlrev_b64 v[22:23], v6, v[11:12]
	v_sub_nc_u32_e32 v6, 29, v0
	v_and_b32_e32 v0, 7, v22
; %bb.1070:                             ;   in Loop: Header=BB308_998 Depth=1
	s_or_b32 exec_lo, exec_lo, s20
	v_lshlrev_b32_e32 v16, 8, v11
	v_lshl_add_u32 v6, v6, 10, 0x2000
	v_lshlrev_b32_e32 v0, 7, v0
	v_and_b32_e32 v16, 0x8000, v16
	v_and_b32_e32 v6, 0xfc00, v6
	v_or3_b32 v6, v16, v6, v0
.LBB308_1071:                           ;   in Loop: Header=BB308_998 Depth=1
	s_or_b32 exec_lo, exec_lo, s18
.LBB308_1072:                           ;   in Loop: Header=BB308_998 Depth=1
	s_or_b32 exec_lo, exec_lo, s17
.LBB308_1073:                           ;   in Loop: Header=BB308_998 Depth=1
	s_or_b32 exec_lo, exec_lo, s16
	v_lshrrev_b16 v0, 8, v11
	s_mov_b32 s16, exec_lo
	v_cmpx_ne_u16_e32 0, v0
	s_cbranch_execz .LBB308_1081
; %bb.1074:                             ;   in Loop: Header=BB308_998 Depth=1
	v_bfrev_b32_e32 v5, 1
	s_mov_b32 s17, exec_lo
	v_cmpx_ne_u16_e32 0x80, v0
	s_cbranch_execz .LBB308_1080
; %bb.1075:                             ;   in Loop: Header=BB308_998 Depth=1
	v_and_b32_sdwa v22, v0, v53 dst_sel:DWORD dst_unused:UNUSED_PAD src0_sel:WORD_0 src1_sel:DWORD
	v_mov_b32_e32 v5, 0x7c010000
	s_mov_b32 s18, exec_lo
	v_cmpx_ne_u32_e32 0x7f, v22
	s_cbranch_execz .LBB308_1079
; %bb.1076:                             ;   in Loop: Header=BB308_998 Depth=1
	v_and_b32_sdwa v5, v0, v54 dst_sel:DWORD dst_unused:UNUSED_PAD src0_sel:WORD_0 src1_sel:DWORD
	v_lshrrev_b32_e32 v16, 3, v22
	s_mov_b32 s20, exec_lo
	v_cmpx_gt_u32_e32 8, v22
; %bb.1077:                             ;   in Loop: Header=BB308_998 Depth=1
	v_ffbh_u32_e32 v5, v5
	v_min_u32_e32 v5, 32, v5
	v_subrev_nc_u32_e32 v16, 28, v5
	v_lshlrev_b64 v[22:23], v16, v[0:1]
	v_sub_nc_u32_e32 v16, 29, v5
	v_and_b32_e32 v5, 7, v22
; %bb.1078:                             ;   in Loop: Header=BB308_998 Depth=1
	s_or_b32 exec_lo, exec_lo, s20
	v_lshlrev_b32_sdwa v0, v70, v0 dst_sel:DWORD dst_unused:UNUSED_PAD src0_sel:DWORD src1_sel:WORD_0
	v_lshl_add_u32 v16, v16, 10, 0x2000
	v_lshlrev_b32_e32 v5, 23, v5
	v_and_or_b32 v0, 0x8000, v0, v16
	v_lshl_or_b32 v5, v0, 16, v5
.LBB308_1079:                           ;   in Loop: Header=BB308_998 Depth=1
	s_or_b32 exec_lo, exec_lo, s18
.LBB308_1080:                           ;   in Loop: Header=BB308_998 Depth=1
	s_or_b32 exec_lo, exec_lo, s17
.LBB308_1081:                           ;   in Loop: Header=BB308_998 Depth=1
	s_or_b32 exec_lo, exec_lo, s16
	v_lshrrev_b32_e32 v0, 16, v11
	v_mov_b32_e32 v16, 0
	v_mov_b32_e32 v22, 0
	v_cmp_ne_u16_sdwa s4, v0, v1 src0_sel:BYTE_0 src1_sel:DWORD
	s_and_saveexec_b32 s16, s4
	s_cbranch_execz .LBB308_1089
; %bb.1082:                             ;   in Loop: Header=BB308_998 Depth=1
	v_cmp_ne_u16_sdwa s4, v0, v17 src0_sel:BYTE_0 src1_sel:DWORD
	v_mov_b32_e32 v22, 0x8000
	s_and_saveexec_b32 s17, s4
	s_cbranch_execz .LBB308_1088
; %bb.1083:                             ;   in Loop: Header=BB308_998 Depth=1
	v_bfe_u32 v27, v11, 16, 7
	v_mov_b32_e32 v22, 0x7c01
	s_mov_b32 s18, exec_lo
	v_cmpx_ne_u32_e32 0x7f, v27
	s_cbranch_execz .LBB308_1087
; %bb.1084:                             ;   in Loop: Header=BB308_998 Depth=1
	v_and_b32_e32 v22, 7, v0
	v_lshrrev_b32_e32 v26, 3, v27
	s_mov_b32 s20, exec_lo
	v_cmpx_gt_u32_e32 8, v27
; %bb.1085:                             ;   in Loop: Header=BB308_998 Depth=1
	v_ffbh_u32_e32 v22, v22
	v_min_u32_e32 v26, 32, v22
	v_subrev_nc_u32_e32 v22, 28, v26
	v_sub_nc_u32_e32 v26, 29, v26
	v_lshlrev_b64 v[22:23], v22, v[0:1]
	v_and_b32_e32 v22, 7, v22
; %bb.1086:                             ;   in Loop: Header=BB308_998 Depth=1
	s_or_b32 exec_lo, exec_lo, s20
	v_lshlrev_b32_e32 v0, 8, v0
	v_lshl_add_u32 v23, v26, 10, 0x2000
	v_lshlrev_b32_e32 v22, 7, v22
	v_and_b32_e32 v0, 0x8000, v0
	v_and_b32_e32 v23, 0xfc00, v23
	v_or3_b32 v22, v0, v23, v22
.LBB308_1087:                           ;   in Loop: Header=BB308_998 Depth=1
	s_or_b32 exec_lo, exec_lo, s18
.LBB308_1088:                           ;   in Loop: Header=BB308_998 Depth=1
	s_or_b32 exec_lo, exec_lo, s17
.LBB308_1089:                           ;   in Loop: Header=BB308_998 Depth=1
	s_or_b32 exec_lo, exec_lo, s16
	s_mov_b32 s16, exec_lo
	v_cmpx_lt_u32_e32 0xffffff, v11
	s_cbranch_execz .LBB308_1097
; %bb.1090:                             ;   in Loop: Header=BB308_998 Depth=1
	v_lshrrev_b32_e32 v0, 24, v11
	v_bfrev_b32_e32 v16, 1
	s_mov_b32 s17, exec_lo
	v_cmpx_ne_u32_e32 0x80, v0
	s_cbranch_execz .LBB308_1096
; %bb.1091:                             ;   in Loop: Header=BB308_998 Depth=1
	v_and_b32_e32 v27, 0x7f, v0
	v_mov_b32_e32 v16, 0x7c010000
	s_mov_b32 s18, exec_lo
	v_cmpx_ne_u32_e32 0x7f, v27
	s_cbranch_execz .LBB308_1095
; %bb.1092:                             ;   in Loop: Header=BB308_998 Depth=1
	v_and_b32_e32 v16, 7, v0
	v_lshrrev_b32_e32 v26, 3, v27
	s_mov_b32 s20, exec_lo
	v_cmpx_gt_u32_e32 8, v27
; %bb.1093:                             ;   in Loop: Header=BB308_998 Depth=1
	v_ffbh_u32_e32 v16, v16
	v_min_u32_e32 v16, 32, v16
	v_subrev_nc_u32_e32 v23, 28, v16
	v_sub_nc_u32_e32 v26, 29, v16
	v_lshlrev_b64 v[37:38], v23, v[0:1]
	v_and_b32_e32 v16, 7, v37
; %bb.1094:                             ;   in Loop: Header=BB308_998 Depth=1
	s_or_b32 exec_lo, exec_lo, s20
	v_lshlrev_b32_e32 v0, 8, v0
	v_lshl_add_u32 v23, v26, 10, 0x2000
	v_lshlrev_b32_e32 v16, 23, v16
	v_and_or_b32 v0, 0x8000, v0, v23
	v_lshl_or_b32 v16, v0, 16, v16
.LBB308_1095:                           ;   in Loop: Header=BB308_998 Depth=1
	s_or_b32 exec_lo, exec_lo, s18
.LBB308_1096:                           ;   in Loop: Header=BB308_998 Depth=1
	s_or_b32 exec_lo, exec_lo, s17
.LBB308_1097:                           ;   in Loop: Header=BB308_998 Depth=1
	s_or_b32 exec_lo, exec_lo, s16
	v_mov_b32_e32 v0, v12
	v_cmp_ne_u16_sdwa s4, v12, v1 src0_sel:BYTE_0 src1_sel:DWORD
	v_mov_b32_e32 v35, 0
	v_mov_b32_e32 v26, 0
	s_and_saveexec_b32 s16, s4
	s_cbranch_execz .LBB308_1105
; %bb.1098:                             ;   in Loop: Header=BB308_998 Depth=1
	v_cmp_ne_u16_sdwa s4, v12, v17 src0_sel:BYTE_0 src1_sel:DWORD
	v_mov_b32_e32 v26, 0x8000
	s_and_saveexec_b32 s17, s4
	s_cbranch_execz .LBB308_1104
; %bb.1099:                             ;   in Loop: Header=BB308_998 Depth=1
	v_and_b32_e32 v37, 0x7f, v12
	v_mov_b32_e32 v26, 0x7c01
	s_mov_b32 s18, exec_lo
	v_cmpx_ne_u32_e32 0x7f, v37
	s_cbranch_execz .LBB308_1103
; %bb.1100:                             ;   in Loop: Header=BB308_998 Depth=1
	v_and_b32_e32 v26, 7, v12
	v_lshrrev_b32_e32 v27, 3, v37
	s_mov_b32 s20, exec_lo
	v_cmpx_gt_u32_e32 8, v37
; %bb.1101:                             ;   in Loop: Header=BB308_998 Depth=1
	v_ffbh_u32_e32 v23, v26
	v_min_u32_e32 v23, 32, v23
	v_subrev_nc_u32_e32 v26, 28, v23
	v_lshlrev_b64 v[26:27], v26, v[0:1]
	v_sub_nc_u32_e32 v27, 29, v23
	v_and_b32_e32 v26, 7, v26
; %bb.1102:                             ;   in Loop: Header=BB308_998 Depth=1
	s_or_b32 exec_lo, exec_lo, s20
	v_lshlrev_b32_e32 v23, 8, v12
	v_lshl_add_u32 v27, v27, 10, 0x2000
	v_lshlrev_b32_e32 v26, 7, v26
	v_and_b32_e32 v23, 0x8000, v23
	v_and_b32_e32 v27, 0xfc00, v27
	v_or3_b32 v26, v23, v27, v26
.LBB308_1103:                           ;   in Loop: Header=BB308_998 Depth=1
	s_or_b32 exec_lo, exec_lo, s18
.LBB308_1104:                           ;   in Loop: Header=BB308_998 Depth=1
	s_or_b32 exec_lo, exec_lo, s17
.LBB308_1105:                           ;   in Loop: Header=BB308_998 Depth=1
	s_or_b32 exec_lo, exec_lo, s16
	v_lshrrev_b16 v0, 8, v0
	v_mov_b32_e32 v27, 0
	s_mov_b32 s16, exec_lo
	v_cmpx_ne_u16_e32 0, v0
	s_cbranch_execz .LBB308_1113
; %bb.1106:                             ;   in Loop: Header=BB308_998 Depth=1
	v_bfrev_b32_e32 v27, 1
	s_mov_b32 s17, exec_lo
	v_cmpx_ne_u16_e32 0x80, v0
	s_cbranch_execz .LBB308_1112
; %bb.1107:                             ;   in Loop: Header=BB308_998 Depth=1
	v_and_b32_sdwa v38, v0, v53 dst_sel:DWORD dst_unused:UNUSED_PAD src0_sel:WORD_0 src1_sel:DWORD
	v_mov_b32_e32 v27, 0x7c010000
	s_mov_b32 s18, exec_lo
	v_cmpx_ne_u32_e32 0x7f, v38
	s_cbranch_execz .LBB308_1111
; %bb.1108:                             ;   in Loop: Header=BB308_998 Depth=1
	v_and_b32_sdwa v27, v0, v54 dst_sel:DWORD dst_unused:UNUSED_PAD src0_sel:WORD_0 src1_sel:DWORD
	v_lshrrev_b32_e32 v37, 3, v38
	s_mov_b32 s20, exec_lo
	v_cmpx_gt_u32_e32 8, v38
; %bb.1109:                             ;   in Loop: Header=BB308_998 Depth=1
	v_ffbh_u32_e32 v23, v27
	v_min_u32_e32 v23, 32, v23
	v_subrev_nc_u32_e32 v27, 28, v23
	v_sub_nc_u32_e32 v37, 29, v23
	v_lshlrev_b64 v[38:39], v27, v[0:1]
	v_and_b32_e32 v27, 7, v38
; %bb.1110:                             ;   in Loop: Header=BB308_998 Depth=1
	s_or_b32 exec_lo, exec_lo, s20
	v_lshlrev_b32_sdwa v0, v70, v0 dst_sel:DWORD dst_unused:UNUSED_PAD src0_sel:DWORD src1_sel:WORD_0
	v_lshl_add_u32 v23, v37, 10, 0x2000
	v_and_or_b32 v0, 0x8000, v0, v23
	v_lshlrev_b32_e32 v23, 23, v27
	v_lshl_or_b32 v27, v0, 16, v23
.LBB308_1111:                           ;   in Loop: Header=BB308_998 Depth=1
	s_or_b32 exec_lo, exec_lo, s18
.LBB308_1112:                           ;   in Loop: Header=BB308_998 Depth=1
	s_or_b32 exec_lo, exec_lo, s17
.LBB308_1113:                           ;   in Loop: Header=BB308_998 Depth=1
	s_or_b32 exec_lo, exec_lo, s16
	v_lshrrev_b32_e32 v0, 16, v12
	v_cmp_ne_u16_sdwa s4, v0, v1 src0_sel:BYTE_0 src1_sel:DWORD
	s_and_saveexec_b32 s16, s4
	s_cbranch_execz .LBB308_1121
; %bb.1114:                             ;   in Loop: Header=BB308_998 Depth=1
	v_cmp_ne_u16_sdwa s4, v0, v17 src0_sel:BYTE_0 src1_sel:DWORD
	v_mov_b32_e32 v35, 0x8000
	s_and_saveexec_b32 s17, s4
	s_cbranch_execz .LBB308_1120
; %bb.1115:                             ;   in Loop: Header=BB308_998 Depth=1
	v_bfe_u32 v38, v12, 16, 7
	v_mov_b32_e32 v35, 0x7c01
	s_mov_b32 s18, exec_lo
	v_cmpx_ne_u32_e32 0x7f, v38
	s_cbranch_execz .LBB308_1119
; %bb.1116:                             ;   in Loop: Header=BB308_998 Depth=1
	v_and_b32_e32 v35, 7, v0
	v_lshrrev_b32_e32 v37, 3, v38
	s_mov_b32 s20, exec_lo
	v_cmpx_gt_u32_e32 8, v38
; %bb.1117:                             ;   in Loop: Header=BB308_998 Depth=1
	v_ffbh_u32_e32 v23, v35
	v_min_u32_e32 v23, 32, v23
	v_subrev_nc_u32_e32 v35, 28, v23
	v_sub_nc_u32_e32 v37, 29, v23
	v_lshlrev_b64 v[38:39], v35, v[0:1]
	v_and_b32_e32 v35, 7, v38
; %bb.1118:                             ;   in Loop: Header=BB308_998 Depth=1
	s_or_b32 exec_lo, exec_lo, s20
	v_lshlrev_b32_e32 v0, 8, v0
	v_lshl_add_u32 v23, v37, 10, 0x2000
	v_lshlrev_b32_e32 v35, 7, v35
	v_and_b32_e32 v0, 0x8000, v0
	v_and_b32_e32 v23, 0xfc00, v23
	v_or3_b32 v35, v0, v23, v35
.LBB308_1119:                           ;   in Loop: Header=BB308_998 Depth=1
	s_or_b32 exec_lo, exec_lo, s18
.LBB308_1120:                           ;   in Loop: Header=BB308_998 Depth=1
	s_or_b32 exec_lo, exec_lo, s17
.LBB308_1121:                           ;   in Loop: Header=BB308_998 Depth=1
	s_or_b32 exec_lo, exec_lo, s16
	v_cmp_lt_u64_e64 s4, s[12:13], v[11:12]
	v_mov_b32_e32 v11, 0
	s_and_saveexec_b32 s16, s4
	s_cbranch_execz .LBB308_1129
; %bb.1122:                             ;   in Loop: Header=BB308_998 Depth=1
	v_lshrrev_b32_e32 v0, 24, v12
	v_bfrev_b32_e32 v11, 1
	s_mov_b32 s17, exec_lo
	v_cmpx_ne_u32_e32 0x80, v0
	s_cbranch_execz .LBB308_1128
; %bb.1123:                             ;   in Loop: Header=BB308_998 Depth=1
	v_and_b32_e32 v37, 0x7f, v0
	v_mov_b32_e32 v11, 0x7c010000
	s_mov_b32 s18, exec_lo
	v_cmpx_ne_u32_e32 0x7f, v37
	s_cbranch_execz .LBB308_1127
; %bb.1124:                             ;   in Loop: Header=BB308_998 Depth=1
	v_and_b32_e32 v11, 7, v0
	v_lshrrev_b32_e32 v12, 3, v37
	s_mov_b32 s20, exec_lo
	v_cmpx_gt_u32_e32 8, v37
; %bb.1125:                             ;   in Loop: Header=BB308_998 Depth=1
	v_ffbh_u32_e32 v11, v11
	v_min_u32_e32 v23, 32, v11
	v_subrev_nc_u32_e32 v11, 28, v23
	v_lshlrev_b64 v[11:12], v11, v[0:1]
	v_sub_nc_u32_e32 v12, 29, v23
	v_and_b32_e32 v11, 7, v11
; %bb.1126:                             ;   in Loop: Header=BB308_998 Depth=1
	s_or_b32 exec_lo, exec_lo, s20
	v_lshlrev_b32_e32 v0, 8, v0
	v_lshl_add_u32 v12, v12, 10, 0x2000
	v_lshlrev_b32_e32 v11, 23, v11
	v_and_or_b32 v0, 0x8000, v0, v12
	v_lshl_or_b32 v11, v0, 16, v11
.LBB308_1127:                           ;   in Loop: Header=BB308_998 Depth=1
	s_or_b32 exec_lo, exec_lo, s18
.LBB308_1128:                           ;   in Loop: Header=BB308_998 Depth=1
	s_or_b32 exec_lo, exec_lo, s17
.LBB308_1129:                           ;   in Loop: Header=BB308_998 Depth=1
	s_or_b32 exec_lo, exec_lo, s16
	v_or_b32_e32 v0, v16, v22
	s_waitcnt vmcnt(0) lgkmcnt(0)
	v_fma_mixlo_f16 v12, v4, v16, 0 op_sel:[0,1,0] op_sel_hi:[0,1,0]
	v_or_b32_e32 v6, v5, v6
	v_fma_mixlo_f16 v5, v4, v5, 0 op_sel:[0,1,0] op_sel_hi:[0,1,0]
	v_or_b32_e32 v16, v27, v26
	v_fma_mixlo_f16 v22, v4, v0, 0 op_sel_hi:[0,1,0]
	v_or_b32_e32 v23, v11, v35
	v_lshlrev_b32_e32 v0, 16, v12
	v_lshlrev_b32_e32 v12, 16, v5
	v_fma_mixlo_f16 v6, v4, v6, 0 op_sel_hi:[0,1,0]
	v_and_b32_e32 v5, 0xffff, v22
	v_fma_mixlo_f16 v22, v4, v27, 0 op_sel:[0,1,0] op_sel_hi:[0,1,0]
	v_fma_mixlo_f16 v16, v4, v16, 0 op_sel_hi:[0,1,0]
	v_fma_mixlo_f16 v11, v4, v11, 0 op_sel:[0,1,0] op_sel_hi:[0,1,0]
	v_fma_mixlo_f16 v23, v4, v23, 0 op_sel_hi:[0,1,0]
	v_and_b32_e32 v37, 0xffff, v6
	v_lshlrev_b32_e32 v6, 16, v22
	v_and_b32_e32 v22, 0xffff, v16
	v_lshlrev_b32_e32 v4, 16, v11
	v_and_b32_e32 v11, 0xffff, v23
	v_or_b32_e32 v16, v0, v5
	v_or_b32_e32 v35, v12, v37
	;; [unrolled: 1-line block ×4, first 2 shown]
	s_and_saveexec_b32 s16, vcc_lo
	s_cbranch_execz .LBB308_1131
; %bb.1130:                             ;   in Loop: Header=BB308_998 Depth=1
	v_cmp_lt_i32_e64 s4, v18, v36
	v_cndmask_b32_e64 v16, 0, v37, s4
	v_cmp_lt_i32_e64 s4, v99, v36
	v_cndmask_b32_e64 v12, 0, v12, s4
	v_cmp_lt_i32_e64 s4, v98, v36
	v_or_b32_e32 v35, v16, v12
	v_cndmask_b32_e64 v5, 0, v5, s4
	v_cmp_lt_i32_e64 s4, v97, v36
	v_cndmask_b32_e64 v0, 0, v0, s4
	v_cmp_lt_i32_e64 s4, v96, v36
	v_or_b32_e32 v16, v5, v0
	;; [unrolled: 5-line block ×3, first 2 shown]
	v_cndmask_b32_e64 v11, 0, v11, s4
	v_cmp_lt_i32_e64 s4, v85, v36
	v_cndmask_b32_e64 v4, 0, v4, s4
	v_or_b32_e32 v26, v11, v4
.LBB308_1131:                           ;   in Loop: Header=BB308_998 Depth=1
	s_or_b32 exec_lo, exec_lo, s16
	;;#ASMSTART
	v_pk_mul_f16 v0, v84, v35;

	;;#ASMEND
	;;#ASMSTART
	v_pk_mul_f16 v4, v83, v16;

	;;#ASMEND
	;; [unrolled: 4-line block ×4, first 2 shown]
	;;#ASMSTART
	v_pk_add_f16 v0, v0, v4;

	;;#ASMEND
	;;#ASMSTART
	v_pk_add_f16 v0, v0, v5;

	;;#ASMEND
	;; [unrolled: 4-line block ×3, first 2 shown]
	v_and_b32_e32 v4, 0xffff, v0
	v_lshrrev_b32_e32 v0, 16, v0
	;;#ASMSTART
	v_cvt_f32_f16 v100, v4;
	;;#ASMEND
	;;#ASMSTART
	v_cvt_f32_f16 v39, v0;
	;;#ASMEND
	flat_load_dwordx2 v[11:12], v[9:10] offset:512
	s_clause 0x1
	buffer_load_dword v4, off, s[0:3], s32 offset:200
	buffer_load_dword v5, off, s[0:3], s32 offset:204
	v_mov_b32_e32 v6, 0
	s_waitcnt vmcnt(2) lgkmcnt(0)
	v_cmp_ne_u16_sdwa s4, v11, v1 src0_sel:BYTE_0 src1_sel:DWORD
	s_waitcnt vmcnt(0)
	flat_load_dword v4, v[4:5]
	v_mov_b32_e32 v5, 0
	s_and_saveexec_b32 s16, s4
	s_cbranch_execz .LBB308_1139
; %bb.1132:                             ;   in Loop: Header=BB308_998 Depth=1
	v_cmp_ne_u16_sdwa s4, v11, v17 src0_sel:BYTE_0 src1_sel:DWORD
	v_mov_b32_e32 v6, 0x8000
	s_and_saveexec_b32 s17, s4
	s_cbranch_execz .LBB308_1138
; %bb.1133:                             ;   in Loop: Header=BB308_998 Depth=1
	v_and_b32_e32 v16, 0x7f, v11
	v_mov_b32_e32 v6, 0x7c01
	s_mov_b32 s18, exec_lo
	v_cmpx_ne_u32_e32 0x7f, v16
	s_cbranch_execz .LBB308_1137
; %bb.1134:                             ;   in Loop: Header=BB308_998 Depth=1
	v_and_b32_e32 v0, 7, v11
	v_lshrrev_b32_e32 v6, 3, v16
	s_mov_b32 s20, exec_lo
	v_cmpx_gt_u32_e32 8, v16
; %bb.1135:                             ;   in Loop: Header=BB308_998 Depth=1
	v_ffbh_u32_e32 v0, v0
	v_min_u32_e32 v0, 32, v0
	v_subrev_nc_u32_e32 v6, 28, v0
	v_lshlrev_b64 v[22:23], v6, v[11:12]
	v_sub_nc_u32_e32 v6, 29, v0
	v_and_b32_e32 v0, 7, v22
; %bb.1136:                             ;   in Loop: Header=BB308_998 Depth=1
	s_or_b32 exec_lo, exec_lo, s20
	v_lshlrev_b32_e32 v16, 8, v11
	v_lshl_add_u32 v6, v6, 10, 0x2000
	v_lshlrev_b32_e32 v0, 7, v0
	v_and_b32_e32 v16, 0x8000, v16
	v_and_b32_e32 v6, 0xfc00, v6
	v_or3_b32 v6, v16, v6, v0
.LBB308_1137:                           ;   in Loop: Header=BB308_998 Depth=1
	s_or_b32 exec_lo, exec_lo, s18
.LBB308_1138:                           ;   in Loop: Header=BB308_998 Depth=1
	s_or_b32 exec_lo, exec_lo, s17
.LBB308_1139:                           ;   in Loop: Header=BB308_998 Depth=1
	s_or_b32 exec_lo, exec_lo, s16
	v_lshrrev_b16 v0, 8, v11
	s_mov_b32 s16, exec_lo
	v_cmpx_ne_u16_e32 0, v0
	s_cbranch_execz .LBB308_1147
; %bb.1140:                             ;   in Loop: Header=BB308_998 Depth=1
	v_bfrev_b32_e32 v5, 1
	s_mov_b32 s17, exec_lo
	v_cmpx_ne_u16_e32 0x80, v0
	s_cbranch_execz .LBB308_1146
; %bb.1141:                             ;   in Loop: Header=BB308_998 Depth=1
	v_and_b32_sdwa v22, v0, v53 dst_sel:DWORD dst_unused:UNUSED_PAD src0_sel:WORD_0 src1_sel:DWORD
	v_mov_b32_e32 v5, 0x7c010000
	s_mov_b32 s18, exec_lo
	v_cmpx_ne_u32_e32 0x7f, v22
	s_cbranch_execz .LBB308_1145
; %bb.1142:                             ;   in Loop: Header=BB308_998 Depth=1
	v_and_b32_sdwa v5, v0, v54 dst_sel:DWORD dst_unused:UNUSED_PAD src0_sel:WORD_0 src1_sel:DWORD
	v_lshrrev_b32_e32 v16, 3, v22
	s_mov_b32 s20, exec_lo
	v_cmpx_gt_u32_e32 8, v22
; %bb.1143:                             ;   in Loop: Header=BB308_998 Depth=1
	v_ffbh_u32_e32 v5, v5
	v_min_u32_e32 v5, 32, v5
	v_subrev_nc_u32_e32 v16, 28, v5
	v_lshlrev_b64 v[22:23], v16, v[0:1]
	v_sub_nc_u32_e32 v16, 29, v5
	v_and_b32_e32 v5, 7, v22
; %bb.1144:                             ;   in Loop: Header=BB308_998 Depth=1
	s_or_b32 exec_lo, exec_lo, s20
	v_lshlrev_b32_sdwa v0, v70, v0 dst_sel:DWORD dst_unused:UNUSED_PAD src0_sel:DWORD src1_sel:WORD_0
	v_lshl_add_u32 v16, v16, 10, 0x2000
	v_lshlrev_b32_e32 v5, 23, v5
	v_and_or_b32 v0, 0x8000, v0, v16
	v_lshl_or_b32 v5, v0, 16, v5
.LBB308_1145:                           ;   in Loop: Header=BB308_998 Depth=1
	s_or_b32 exec_lo, exec_lo, s18
.LBB308_1146:                           ;   in Loop: Header=BB308_998 Depth=1
	s_or_b32 exec_lo, exec_lo, s17
.LBB308_1147:                           ;   in Loop: Header=BB308_998 Depth=1
	s_or_b32 exec_lo, exec_lo, s16
	v_lshrrev_b32_e32 v0, 16, v11
	v_mov_b32_e32 v16, 0
	v_mov_b32_e32 v22, 0
	v_cmp_ne_u16_sdwa s4, v0, v1 src0_sel:BYTE_0 src1_sel:DWORD
	s_and_saveexec_b32 s16, s4
	s_cbranch_execz .LBB308_1155
; %bb.1148:                             ;   in Loop: Header=BB308_998 Depth=1
	v_cmp_ne_u16_sdwa s4, v0, v17 src0_sel:BYTE_0 src1_sel:DWORD
	v_mov_b32_e32 v22, 0x8000
	s_and_saveexec_b32 s17, s4
	s_cbranch_execz .LBB308_1154
; %bb.1149:                             ;   in Loop: Header=BB308_998 Depth=1
	v_bfe_u32 v27, v11, 16, 7
	v_mov_b32_e32 v22, 0x7c01
	s_mov_b32 s18, exec_lo
	v_cmpx_ne_u32_e32 0x7f, v27
	s_cbranch_execz .LBB308_1153
; %bb.1150:                             ;   in Loop: Header=BB308_998 Depth=1
	v_and_b32_e32 v22, 7, v0
	v_lshrrev_b32_e32 v26, 3, v27
	s_mov_b32 s20, exec_lo
	v_cmpx_gt_u32_e32 8, v27
; %bb.1151:                             ;   in Loop: Header=BB308_998 Depth=1
	v_ffbh_u32_e32 v22, v22
	v_min_u32_e32 v26, 32, v22
	v_subrev_nc_u32_e32 v22, 28, v26
	v_sub_nc_u32_e32 v26, 29, v26
	v_lshlrev_b64 v[22:23], v22, v[0:1]
	v_and_b32_e32 v22, 7, v22
; %bb.1152:                             ;   in Loop: Header=BB308_998 Depth=1
	s_or_b32 exec_lo, exec_lo, s20
	v_lshlrev_b32_e32 v0, 8, v0
	v_lshl_add_u32 v23, v26, 10, 0x2000
	v_lshlrev_b32_e32 v22, 7, v22
	v_and_b32_e32 v0, 0x8000, v0
	v_and_b32_e32 v23, 0xfc00, v23
	v_or3_b32 v22, v0, v23, v22
.LBB308_1153:                           ;   in Loop: Header=BB308_998 Depth=1
	s_or_b32 exec_lo, exec_lo, s18
.LBB308_1154:                           ;   in Loop: Header=BB308_998 Depth=1
	s_or_b32 exec_lo, exec_lo, s17
.LBB308_1155:                           ;   in Loop: Header=BB308_998 Depth=1
	s_or_b32 exec_lo, exec_lo, s16
	s_mov_b32 s16, exec_lo
	v_cmpx_lt_u32_e32 0xffffff, v11
	s_cbranch_execz .LBB308_1163
; %bb.1156:                             ;   in Loop: Header=BB308_998 Depth=1
	v_lshrrev_b32_e32 v0, 24, v11
	v_bfrev_b32_e32 v16, 1
	s_mov_b32 s17, exec_lo
	v_cmpx_ne_u32_e32 0x80, v0
	s_cbranch_execz .LBB308_1162
; %bb.1157:                             ;   in Loop: Header=BB308_998 Depth=1
	v_and_b32_e32 v27, 0x7f, v0
	v_mov_b32_e32 v16, 0x7c010000
	s_mov_b32 s18, exec_lo
	v_cmpx_ne_u32_e32 0x7f, v27
	s_cbranch_execz .LBB308_1161
; %bb.1158:                             ;   in Loop: Header=BB308_998 Depth=1
	v_and_b32_e32 v16, 7, v0
	v_lshrrev_b32_e32 v26, 3, v27
	s_mov_b32 s20, exec_lo
	v_cmpx_gt_u32_e32 8, v27
; %bb.1159:                             ;   in Loop: Header=BB308_998 Depth=1
	v_ffbh_u32_e32 v16, v16
	v_min_u32_e32 v16, 32, v16
	v_subrev_nc_u32_e32 v23, 28, v16
	v_sub_nc_u32_e32 v26, 29, v16
	v_lshlrev_b64 v[37:38], v23, v[0:1]
	v_and_b32_e32 v16, 7, v37
; %bb.1160:                             ;   in Loop: Header=BB308_998 Depth=1
	s_or_b32 exec_lo, exec_lo, s20
	v_lshlrev_b32_e32 v0, 8, v0
	v_lshl_add_u32 v23, v26, 10, 0x2000
	v_lshlrev_b32_e32 v16, 23, v16
	v_and_or_b32 v0, 0x8000, v0, v23
	v_lshl_or_b32 v16, v0, 16, v16
.LBB308_1161:                           ;   in Loop: Header=BB308_998 Depth=1
	s_or_b32 exec_lo, exec_lo, s18
.LBB308_1162:                           ;   in Loop: Header=BB308_998 Depth=1
	s_or_b32 exec_lo, exec_lo, s17
.LBB308_1163:                           ;   in Loop: Header=BB308_998 Depth=1
	s_or_b32 exec_lo, exec_lo, s16
	v_mov_b32_e32 v0, v12
	v_cmp_ne_u16_sdwa s4, v12, v1 src0_sel:BYTE_0 src1_sel:DWORD
	v_mov_b32_e32 v35, 0
	v_mov_b32_e32 v26, 0
	s_and_saveexec_b32 s16, s4
	s_cbranch_execz .LBB308_1171
; %bb.1164:                             ;   in Loop: Header=BB308_998 Depth=1
	v_cmp_ne_u16_sdwa s4, v12, v17 src0_sel:BYTE_0 src1_sel:DWORD
	v_mov_b32_e32 v26, 0x8000
	s_and_saveexec_b32 s17, s4
	s_cbranch_execz .LBB308_1170
; %bb.1165:                             ;   in Loop: Header=BB308_998 Depth=1
	v_and_b32_e32 v37, 0x7f, v12
	v_mov_b32_e32 v26, 0x7c01
	s_mov_b32 s18, exec_lo
	v_cmpx_ne_u32_e32 0x7f, v37
	s_cbranch_execz .LBB308_1169
; %bb.1166:                             ;   in Loop: Header=BB308_998 Depth=1
	v_and_b32_e32 v26, 7, v12
	v_lshrrev_b32_e32 v27, 3, v37
	s_mov_b32 s20, exec_lo
	v_cmpx_gt_u32_e32 8, v37
; %bb.1167:                             ;   in Loop: Header=BB308_998 Depth=1
	v_ffbh_u32_e32 v23, v26
	v_min_u32_e32 v23, 32, v23
	v_subrev_nc_u32_e32 v26, 28, v23
	v_lshlrev_b64 v[26:27], v26, v[0:1]
	v_sub_nc_u32_e32 v27, 29, v23
	v_and_b32_e32 v26, 7, v26
; %bb.1168:                             ;   in Loop: Header=BB308_998 Depth=1
	s_or_b32 exec_lo, exec_lo, s20
	v_lshlrev_b32_e32 v23, 8, v12
	v_lshl_add_u32 v27, v27, 10, 0x2000
	v_lshlrev_b32_e32 v26, 7, v26
	v_and_b32_e32 v23, 0x8000, v23
	v_and_b32_e32 v27, 0xfc00, v27
	v_or3_b32 v26, v23, v27, v26
.LBB308_1169:                           ;   in Loop: Header=BB308_998 Depth=1
	s_or_b32 exec_lo, exec_lo, s18
.LBB308_1170:                           ;   in Loop: Header=BB308_998 Depth=1
	s_or_b32 exec_lo, exec_lo, s17
.LBB308_1171:                           ;   in Loop: Header=BB308_998 Depth=1
	s_or_b32 exec_lo, exec_lo, s16
	v_lshrrev_b16 v0, 8, v0
	v_mov_b32_e32 v27, 0
	s_mov_b32 s16, exec_lo
	v_cmpx_ne_u16_e32 0, v0
	s_cbranch_execz .LBB308_1179
; %bb.1172:                             ;   in Loop: Header=BB308_998 Depth=1
	v_bfrev_b32_e32 v27, 1
	s_mov_b32 s17, exec_lo
	v_cmpx_ne_u16_e32 0x80, v0
	s_cbranch_execz .LBB308_1178
; %bb.1173:                             ;   in Loop: Header=BB308_998 Depth=1
	v_and_b32_sdwa v38, v0, v53 dst_sel:DWORD dst_unused:UNUSED_PAD src0_sel:WORD_0 src1_sel:DWORD
	v_mov_b32_e32 v27, 0x7c010000
	s_mov_b32 s18, exec_lo
	v_cmpx_ne_u32_e32 0x7f, v38
	s_cbranch_execz .LBB308_1177
; %bb.1174:                             ;   in Loop: Header=BB308_998 Depth=1
	v_and_b32_sdwa v27, v0, v54 dst_sel:DWORD dst_unused:UNUSED_PAD src0_sel:WORD_0 src1_sel:DWORD
	v_lshrrev_b32_e32 v37, 3, v38
	s_mov_b32 s20, exec_lo
	v_cmpx_gt_u32_e32 8, v38
; %bb.1175:                             ;   in Loop: Header=BB308_998 Depth=1
	v_ffbh_u32_e32 v23, v27
	v_min_u32_e32 v23, 32, v23
	v_subrev_nc_u32_e32 v27, 28, v23
	v_sub_nc_u32_e32 v37, 29, v23
	v_lshlrev_b64 v[48:49], v27, v[0:1]
	v_and_b32_e32 v27, 7, v48
; %bb.1176:                             ;   in Loop: Header=BB308_998 Depth=1
	s_or_b32 exec_lo, exec_lo, s20
	v_lshlrev_b32_sdwa v0, v70, v0 dst_sel:DWORD dst_unused:UNUSED_PAD src0_sel:DWORD src1_sel:WORD_0
	v_lshl_add_u32 v23, v37, 10, 0x2000
	v_and_or_b32 v0, 0x8000, v0, v23
	v_lshlrev_b32_e32 v23, 23, v27
	v_lshl_or_b32 v27, v0, 16, v23
.LBB308_1177:                           ;   in Loop: Header=BB308_998 Depth=1
	s_or_b32 exec_lo, exec_lo, s18
.LBB308_1178:                           ;   in Loop: Header=BB308_998 Depth=1
	s_or_b32 exec_lo, exec_lo, s17
.LBB308_1179:                           ;   in Loop: Header=BB308_998 Depth=1
	s_or_b32 exec_lo, exec_lo, s16
	v_lshrrev_b32_e32 v0, 16, v12
	v_cmp_ne_u16_sdwa s4, v0, v1 src0_sel:BYTE_0 src1_sel:DWORD
	s_and_saveexec_b32 s16, s4
	s_cbranch_execz .LBB308_1187
; %bb.1180:                             ;   in Loop: Header=BB308_998 Depth=1
	v_cmp_ne_u16_sdwa s4, v0, v17 src0_sel:BYTE_0 src1_sel:DWORD
	v_mov_b32_e32 v35, 0x8000
	s_and_saveexec_b32 s17, s4
	s_cbranch_execz .LBB308_1186
; %bb.1181:                             ;   in Loop: Header=BB308_998 Depth=1
	v_bfe_u32 v38, v12, 16, 7
	v_mov_b32_e32 v35, 0x7c01
	s_mov_b32 s18, exec_lo
	v_cmpx_ne_u32_e32 0x7f, v38
	s_cbranch_execz .LBB308_1185
; %bb.1182:                             ;   in Loop: Header=BB308_998 Depth=1
	v_and_b32_e32 v35, 7, v0
	v_lshrrev_b32_e32 v37, 3, v38
	s_mov_b32 s20, exec_lo
	v_cmpx_gt_u32_e32 8, v38
; %bb.1183:                             ;   in Loop: Header=BB308_998 Depth=1
	v_ffbh_u32_e32 v23, v35
	v_min_u32_e32 v23, 32, v23
	v_subrev_nc_u32_e32 v35, 28, v23
	v_sub_nc_u32_e32 v37, 29, v23
	v_lshlrev_b64 v[48:49], v35, v[0:1]
	v_and_b32_e32 v35, 7, v48
; %bb.1184:                             ;   in Loop: Header=BB308_998 Depth=1
	s_or_b32 exec_lo, exec_lo, s20
	v_lshlrev_b32_e32 v0, 8, v0
	v_lshl_add_u32 v23, v37, 10, 0x2000
	v_lshlrev_b32_e32 v35, 7, v35
	v_and_b32_e32 v0, 0x8000, v0
	v_and_b32_e32 v23, 0xfc00, v23
	v_or3_b32 v35, v0, v23, v35
.LBB308_1185:                           ;   in Loop: Header=BB308_998 Depth=1
	s_or_b32 exec_lo, exec_lo, s18
.LBB308_1186:                           ;   in Loop: Header=BB308_998 Depth=1
	s_or_b32 exec_lo, exec_lo, s17
.LBB308_1187:                           ;   in Loop: Header=BB308_998 Depth=1
	s_or_b32 exec_lo, exec_lo, s16
	v_cmp_lt_u64_e64 s4, s[12:13], v[11:12]
	v_mov_b32_e32 v11, 0
	s_and_saveexec_b32 s16, s4
	s_cbranch_execz .LBB308_1195
; %bb.1188:                             ;   in Loop: Header=BB308_998 Depth=1
	v_lshrrev_b32_e32 v0, 24, v12
	v_bfrev_b32_e32 v11, 1
	s_mov_b32 s17, exec_lo
	v_cmpx_ne_u32_e32 0x80, v0
	s_cbranch_execz .LBB308_1194
; %bb.1189:                             ;   in Loop: Header=BB308_998 Depth=1
	v_and_b32_e32 v37, 0x7f, v0
	v_mov_b32_e32 v11, 0x7c010000
	s_mov_b32 s18, exec_lo
	v_cmpx_ne_u32_e32 0x7f, v37
	s_cbranch_execz .LBB308_1193
; %bb.1190:                             ;   in Loop: Header=BB308_998 Depth=1
	v_and_b32_e32 v11, 7, v0
	v_lshrrev_b32_e32 v12, 3, v37
	s_mov_b32 s20, exec_lo
	v_cmpx_gt_u32_e32 8, v37
; %bb.1191:                             ;   in Loop: Header=BB308_998 Depth=1
	v_ffbh_u32_e32 v11, v11
	v_min_u32_e32 v23, 32, v11
	v_subrev_nc_u32_e32 v11, 28, v23
	v_lshlrev_b64 v[11:12], v11, v[0:1]
	v_sub_nc_u32_e32 v12, 29, v23
	v_and_b32_e32 v11, 7, v11
; %bb.1192:                             ;   in Loop: Header=BB308_998 Depth=1
	s_or_b32 exec_lo, exec_lo, s20
	v_lshlrev_b32_e32 v0, 8, v0
	v_lshl_add_u32 v12, v12, 10, 0x2000
	v_lshlrev_b32_e32 v11, 23, v11
	v_and_or_b32 v0, 0x8000, v0, v12
	v_lshl_or_b32 v11, v0, 16, v11
.LBB308_1193:                           ;   in Loop: Header=BB308_998 Depth=1
	s_or_b32 exec_lo, exec_lo, s18
.LBB308_1194:                           ;   in Loop: Header=BB308_998 Depth=1
	s_or_b32 exec_lo, exec_lo, s17
.LBB308_1195:                           ;   in Loop: Header=BB308_998 Depth=1
	s_or_b32 exec_lo, exec_lo, s16
	v_or_b32_e32 v0, v16, v22
	s_waitcnt vmcnt(0) lgkmcnt(0)
	v_fma_mixlo_f16 v12, v4, v16, 0 op_sel:[0,1,0] op_sel_hi:[0,1,0]
	v_or_b32_e32 v6, v5, v6
	v_fma_mixlo_f16 v5, v4, v5, 0 op_sel:[0,1,0] op_sel_hi:[0,1,0]
	v_or_b32_e32 v16, v27, v26
	v_fma_mixlo_f16 v22, v4, v0, 0 op_sel_hi:[0,1,0]
	v_or_b32_e32 v23, v11, v35
	v_lshlrev_b32_e32 v0, 16, v12
	v_lshlrev_b32_e32 v12, 16, v5
	v_fma_mixlo_f16 v6, v4, v6, 0 op_sel_hi:[0,1,0]
	v_and_b32_e32 v5, 0xffff, v22
	v_fma_mixlo_f16 v22, v4, v27, 0 op_sel:[0,1,0] op_sel_hi:[0,1,0]
	v_fma_mixlo_f16 v16, v4, v16, 0 op_sel_hi:[0,1,0]
	v_fma_mixlo_f16 v11, v4, v11, 0 op_sel:[0,1,0] op_sel_hi:[0,1,0]
	v_fma_mixlo_f16 v23, v4, v23, 0 op_sel_hi:[0,1,0]
	v_and_b32_e32 v37, 0xffff, v6
	v_lshlrev_b32_e32 v6, 16, v22
	v_and_b32_e32 v22, 0xffff, v16
	v_lshlrev_b32_e32 v4, 16, v11
	v_and_b32_e32 v11, 0xffff, v23
	v_or_b32_e32 v16, v0, v5
	v_or_b32_e32 v35, v12, v37
	;; [unrolled: 1-line block ×4, first 2 shown]
	s_and_saveexec_b32 s16, vcc_lo
	s_cbranch_execz .LBB308_1197
; %bb.1196:                             ;   in Loop: Header=BB308_998 Depth=1
	v_cmp_lt_i32_e64 s4, v18, v36
	v_cndmask_b32_e64 v16, 0, v37, s4
	v_cmp_lt_i32_e64 s4, v99, v36
	v_cndmask_b32_e64 v12, 0, v12, s4
	v_cmp_lt_i32_e64 s4, v98, v36
	v_or_b32_e32 v35, v16, v12
	v_cndmask_b32_e64 v5, 0, v5, s4
	v_cmp_lt_i32_e64 s4, v97, v36
	v_cndmask_b32_e64 v0, 0, v0, s4
	v_cmp_lt_i32_e64 s4, v96, v36
	v_or_b32_e32 v16, v5, v0
	;; [unrolled: 5-line block ×3, first 2 shown]
	v_cndmask_b32_e64 v11, 0, v11, s4
	v_cmp_lt_i32_e64 s4, v85, v36
	v_cndmask_b32_e64 v4, 0, v4, s4
	v_or_b32_e32 v26, v11, v4
.LBB308_1197:                           ;   in Loop: Header=BB308_998 Depth=1
	s_or_b32 exec_lo, exec_lo, s16
	;;#ASMSTART
	v_pk_mul_f16 v0, v84, v35;

	;;#ASMEND
	;;#ASMSTART
	v_pk_mul_f16 v4, v83, v16;

	;;#ASMEND
	;; [unrolled: 4-line block ×4, first 2 shown]
	;;#ASMSTART
	v_pk_add_f16 v0, v0, v4;

	;;#ASMEND
	;;#ASMSTART
	v_pk_add_f16 v0, v0, v5;

	;;#ASMEND
	;; [unrolled: 4-line block ×3, first 2 shown]
	v_and_b32_e32 v4, 0xffff, v0
	v_lshrrev_b32_e32 v0, 16, v0
	;;#ASMSTART
	v_cvt_f32_f16 v102, v4;
	;;#ASMEND
	;;#ASMSTART
	v_cvt_f32_f16 v103, v0;
	;;#ASMEND
	flat_load_dwordx2 v[11:12], v[9:10] offset:768
	s_clause 0x1
	buffer_load_dword v4, off, s[0:3], s32 offset:200
	buffer_load_dword v5, off, s[0:3], s32 offset:204
	v_mov_b32_e32 v6, 0
	s_waitcnt vmcnt(2) lgkmcnt(0)
	v_cmp_ne_u16_sdwa s4, v11, v1 src0_sel:BYTE_0 src1_sel:DWORD
	s_waitcnt vmcnt(0)
	flat_load_dword v4, v[4:5]
	v_mov_b32_e32 v5, 0
	s_and_saveexec_b32 s16, s4
	s_cbranch_execz .LBB308_1205
; %bb.1198:                             ;   in Loop: Header=BB308_998 Depth=1
	v_cmp_ne_u16_sdwa s4, v11, v17 src0_sel:BYTE_0 src1_sel:DWORD
	v_mov_b32_e32 v6, 0x8000
	s_and_saveexec_b32 s17, s4
	s_cbranch_execz .LBB308_1204
; %bb.1199:                             ;   in Loop: Header=BB308_998 Depth=1
	v_and_b32_e32 v16, 0x7f, v11
	v_mov_b32_e32 v6, 0x7c01
	s_mov_b32 s18, exec_lo
	v_cmpx_ne_u32_e32 0x7f, v16
	s_cbranch_execz .LBB308_1203
; %bb.1200:                             ;   in Loop: Header=BB308_998 Depth=1
	v_and_b32_e32 v0, 7, v11
	v_lshrrev_b32_e32 v6, 3, v16
	s_mov_b32 s20, exec_lo
	v_cmpx_gt_u32_e32 8, v16
; %bb.1201:                             ;   in Loop: Header=BB308_998 Depth=1
	v_ffbh_u32_e32 v0, v0
	v_min_u32_e32 v0, 32, v0
	v_subrev_nc_u32_e32 v6, 28, v0
	v_lshlrev_b64 v[22:23], v6, v[11:12]
	v_sub_nc_u32_e32 v6, 29, v0
	v_and_b32_e32 v0, 7, v22
; %bb.1202:                             ;   in Loop: Header=BB308_998 Depth=1
	s_or_b32 exec_lo, exec_lo, s20
	v_lshlrev_b32_e32 v16, 8, v11
	v_lshl_add_u32 v6, v6, 10, 0x2000
	v_lshlrev_b32_e32 v0, 7, v0
	v_and_b32_e32 v16, 0x8000, v16
	v_and_b32_e32 v6, 0xfc00, v6
	v_or3_b32 v6, v16, v6, v0
.LBB308_1203:                           ;   in Loop: Header=BB308_998 Depth=1
	s_or_b32 exec_lo, exec_lo, s18
.LBB308_1204:                           ;   in Loop: Header=BB308_998 Depth=1
	s_or_b32 exec_lo, exec_lo, s17
.LBB308_1205:                           ;   in Loop: Header=BB308_998 Depth=1
	s_or_b32 exec_lo, exec_lo, s16
	v_lshrrev_b16 v0, 8, v11
	s_mov_b32 s16, exec_lo
	v_cmpx_ne_u16_e32 0, v0
	s_cbranch_execz .LBB308_1213
; %bb.1206:                             ;   in Loop: Header=BB308_998 Depth=1
	v_bfrev_b32_e32 v5, 1
	s_mov_b32 s17, exec_lo
	v_cmpx_ne_u16_e32 0x80, v0
	s_cbranch_execz .LBB308_1212
; %bb.1207:                             ;   in Loop: Header=BB308_998 Depth=1
	v_and_b32_sdwa v22, v0, v53 dst_sel:DWORD dst_unused:UNUSED_PAD src0_sel:WORD_0 src1_sel:DWORD
	v_mov_b32_e32 v5, 0x7c010000
	s_mov_b32 s18, exec_lo
	v_cmpx_ne_u32_e32 0x7f, v22
	s_cbranch_execz .LBB308_1211
; %bb.1208:                             ;   in Loop: Header=BB308_998 Depth=1
	v_and_b32_sdwa v5, v0, v54 dst_sel:DWORD dst_unused:UNUSED_PAD src0_sel:WORD_0 src1_sel:DWORD
	v_lshrrev_b32_e32 v16, 3, v22
	s_mov_b32 s20, exec_lo
	v_cmpx_gt_u32_e32 8, v22
; %bb.1209:                             ;   in Loop: Header=BB308_998 Depth=1
	v_ffbh_u32_e32 v5, v5
	v_min_u32_e32 v5, 32, v5
	v_subrev_nc_u32_e32 v16, 28, v5
	v_lshlrev_b64 v[22:23], v16, v[0:1]
	v_sub_nc_u32_e32 v16, 29, v5
	v_and_b32_e32 v5, 7, v22
; %bb.1210:                             ;   in Loop: Header=BB308_998 Depth=1
	s_or_b32 exec_lo, exec_lo, s20
	v_lshlrev_b32_sdwa v0, v70, v0 dst_sel:DWORD dst_unused:UNUSED_PAD src0_sel:DWORD src1_sel:WORD_0
	v_lshl_add_u32 v16, v16, 10, 0x2000
	v_lshlrev_b32_e32 v5, 23, v5
	v_and_or_b32 v0, 0x8000, v0, v16
	v_lshl_or_b32 v5, v0, 16, v5
.LBB308_1211:                           ;   in Loop: Header=BB308_998 Depth=1
	s_or_b32 exec_lo, exec_lo, s18
.LBB308_1212:                           ;   in Loop: Header=BB308_998 Depth=1
	s_or_b32 exec_lo, exec_lo, s17
.LBB308_1213:                           ;   in Loop: Header=BB308_998 Depth=1
	s_or_b32 exec_lo, exec_lo, s16
	v_lshrrev_b32_e32 v0, 16, v11
	v_mov_b32_e32 v16, 0
	v_mov_b32_e32 v22, 0
	v_cmp_ne_u16_sdwa s4, v0, v1 src0_sel:BYTE_0 src1_sel:DWORD
	s_and_saveexec_b32 s16, s4
	s_cbranch_execz .LBB308_1221
; %bb.1214:                             ;   in Loop: Header=BB308_998 Depth=1
	v_cmp_ne_u16_sdwa s4, v0, v17 src0_sel:BYTE_0 src1_sel:DWORD
	v_mov_b32_e32 v22, 0x8000
	s_and_saveexec_b32 s17, s4
	s_cbranch_execz .LBB308_1220
; %bb.1215:                             ;   in Loop: Header=BB308_998 Depth=1
	v_bfe_u32 v27, v11, 16, 7
	v_mov_b32_e32 v22, 0x7c01
	s_mov_b32 s18, exec_lo
	v_cmpx_ne_u32_e32 0x7f, v27
	s_cbranch_execz .LBB308_1219
; %bb.1216:                             ;   in Loop: Header=BB308_998 Depth=1
	v_and_b32_e32 v22, 7, v0
	v_lshrrev_b32_e32 v26, 3, v27
	s_mov_b32 s20, exec_lo
	v_cmpx_gt_u32_e32 8, v27
; %bb.1217:                             ;   in Loop: Header=BB308_998 Depth=1
	v_ffbh_u32_e32 v22, v22
	v_min_u32_e32 v26, 32, v22
	v_subrev_nc_u32_e32 v22, 28, v26
	v_sub_nc_u32_e32 v26, 29, v26
	v_lshlrev_b64 v[22:23], v22, v[0:1]
	v_and_b32_e32 v22, 7, v22
; %bb.1218:                             ;   in Loop: Header=BB308_998 Depth=1
	s_or_b32 exec_lo, exec_lo, s20
	v_lshlrev_b32_e32 v0, 8, v0
	v_lshl_add_u32 v23, v26, 10, 0x2000
	v_lshlrev_b32_e32 v22, 7, v22
	v_and_b32_e32 v0, 0x8000, v0
	v_and_b32_e32 v23, 0xfc00, v23
	v_or3_b32 v22, v0, v23, v22
.LBB308_1219:                           ;   in Loop: Header=BB308_998 Depth=1
	s_or_b32 exec_lo, exec_lo, s18
.LBB308_1220:                           ;   in Loop: Header=BB308_998 Depth=1
	s_or_b32 exec_lo, exec_lo, s17
.LBB308_1221:                           ;   in Loop: Header=BB308_998 Depth=1
	s_or_b32 exec_lo, exec_lo, s16
	s_mov_b32 s16, exec_lo
	v_cmpx_lt_u32_e32 0xffffff, v11
	s_cbranch_execz .LBB308_1229
; %bb.1222:                             ;   in Loop: Header=BB308_998 Depth=1
	v_lshrrev_b32_e32 v0, 24, v11
	v_bfrev_b32_e32 v16, 1
	s_mov_b32 s17, exec_lo
	v_cmpx_ne_u32_e32 0x80, v0
	s_cbranch_execz .LBB308_1228
; %bb.1223:                             ;   in Loop: Header=BB308_998 Depth=1
	v_and_b32_e32 v27, 0x7f, v0
	v_mov_b32_e32 v16, 0x7c010000
	s_mov_b32 s18, exec_lo
	v_cmpx_ne_u32_e32 0x7f, v27
	s_cbranch_execz .LBB308_1227
; %bb.1224:                             ;   in Loop: Header=BB308_998 Depth=1
	v_and_b32_e32 v16, 7, v0
	v_lshrrev_b32_e32 v26, 3, v27
	s_mov_b32 s20, exec_lo
	v_cmpx_gt_u32_e32 8, v27
; %bb.1225:                             ;   in Loop: Header=BB308_998 Depth=1
	v_ffbh_u32_e32 v16, v16
	v_min_u32_e32 v16, 32, v16
	v_subrev_nc_u32_e32 v23, 28, v16
	v_sub_nc_u32_e32 v26, 29, v16
	v_lshlrev_b64 v[37:38], v23, v[0:1]
	v_and_b32_e32 v16, 7, v37
; %bb.1226:                             ;   in Loop: Header=BB308_998 Depth=1
	s_or_b32 exec_lo, exec_lo, s20
	v_lshlrev_b32_e32 v0, 8, v0
	v_lshl_add_u32 v23, v26, 10, 0x2000
	v_lshlrev_b32_e32 v16, 23, v16
	v_and_or_b32 v0, 0x8000, v0, v23
	v_lshl_or_b32 v16, v0, 16, v16
.LBB308_1227:                           ;   in Loop: Header=BB308_998 Depth=1
	s_or_b32 exec_lo, exec_lo, s18
.LBB308_1228:                           ;   in Loop: Header=BB308_998 Depth=1
	s_or_b32 exec_lo, exec_lo, s17
.LBB308_1229:                           ;   in Loop: Header=BB308_998 Depth=1
	s_or_b32 exec_lo, exec_lo, s16
	v_mov_b32_e32 v0, v12
	v_cmp_ne_u16_sdwa s4, v12, v1 src0_sel:BYTE_0 src1_sel:DWORD
	v_mov_b32_e32 v35, 0
	v_mov_b32_e32 v26, 0
	s_and_saveexec_b32 s16, s4
	s_cbranch_execz .LBB308_1237
; %bb.1230:                             ;   in Loop: Header=BB308_998 Depth=1
	v_cmp_ne_u16_sdwa s4, v12, v17 src0_sel:BYTE_0 src1_sel:DWORD
	v_mov_b32_e32 v26, 0x8000
	s_and_saveexec_b32 s17, s4
	s_cbranch_execz .LBB308_1236
; %bb.1231:                             ;   in Loop: Header=BB308_998 Depth=1
	v_and_b32_e32 v37, 0x7f, v12
	v_mov_b32_e32 v26, 0x7c01
	s_mov_b32 s18, exec_lo
	v_cmpx_ne_u32_e32 0x7f, v37
	s_cbranch_execz .LBB308_1235
; %bb.1232:                             ;   in Loop: Header=BB308_998 Depth=1
	v_and_b32_e32 v26, 7, v12
	v_lshrrev_b32_e32 v27, 3, v37
	s_mov_b32 s20, exec_lo
	v_cmpx_gt_u32_e32 8, v37
; %bb.1233:                             ;   in Loop: Header=BB308_998 Depth=1
	v_ffbh_u32_e32 v23, v26
	v_min_u32_e32 v23, 32, v23
	v_subrev_nc_u32_e32 v26, 28, v23
	v_lshlrev_b64 v[26:27], v26, v[0:1]
	v_sub_nc_u32_e32 v27, 29, v23
	v_and_b32_e32 v26, 7, v26
; %bb.1234:                             ;   in Loop: Header=BB308_998 Depth=1
	s_or_b32 exec_lo, exec_lo, s20
	v_lshlrev_b32_e32 v23, 8, v12
	v_lshl_add_u32 v27, v27, 10, 0x2000
	v_lshlrev_b32_e32 v26, 7, v26
	v_and_b32_e32 v23, 0x8000, v23
	v_and_b32_e32 v27, 0xfc00, v27
	v_or3_b32 v26, v23, v27, v26
.LBB308_1235:                           ;   in Loop: Header=BB308_998 Depth=1
	s_or_b32 exec_lo, exec_lo, s18
.LBB308_1236:                           ;   in Loop: Header=BB308_998 Depth=1
	s_or_b32 exec_lo, exec_lo, s17
.LBB308_1237:                           ;   in Loop: Header=BB308_998 Depth=1
	s_or_b32 exec_lo, exec_lo, s16
	v_lshrrev_b16 v0, 8, v0
	v_mov_b32_e32 v27, 0
	s_mov_b32 s16, exec_lo
	v_cmpx_ne_u16_e32 0, v0
	s_cbranch_execz .LBB308_1245
; %bb.1238:                             ;   in Loop: Header=BB308_998 Depth=1
	v_bfrev_b32_e32 v27, 1
	s_mov_b32 s17, exec_lo
	v_cmpx_ne_u16_e32 0x80, v0
	s_cbranch_execz .LBB308_1244
; %bb.1239:                             ;   in Loop: Header=BB308_998 Depth=1
	v_and_b32_sdwa v38, v0, v53 dst_sel:DWORD dst_unused:UNUSED_PAD src0_sel:WORD_0 src1_sel:DWORD
	v_mov_b32_e32 v27, 0x7c010000
	s_mov_b32 s18, exec_lo
	v_cmpx_ne_u32_e32 0x7f, v38
	s_cbranch_execz .LBB308_1243
; %bb.1240:                             ;   in Loop: Header=BB308_998 Depth=1
	v_and_b32_sdwa v27, v0, v54 dst_sel:DWORD dst_unused:UNUSED_PAD src0_sel:WORD_0 src1_sel:DWORD
	v_lshrrev_b32_e32 v37, 3, v38
	s_mov_b32 s20, exec_lo
	v_cmpx_gt_u32_e32 8, v38
; %bb.1241:                             ;   in Loop: Header=BB308_998 Depth=1
	v_ffbh_u32_e32 v23, v27
	v_min_u32_e32 v23, 32, v23
	v_subrev_nc_u32_e32 v27, 28, v23
	v_sub_nc_u32_e32 v37, 29, v23
	v_lshlrev_b64 v[48:49], v27, v[0:1]
	v_and_b32_e32 v27, 7, v48
; %bb.1242:                             ;   in Loop: Header=BB308_998 Depth=1
	s_or_b32 exec_lo, exec_lo, s20
	v_lshlrev_b32_sdwa v0, v70, v0 dst_sel:DWORD dst_unused:UNUSED_PAD src0_sel:DWORD src1_sel:WORD_0
	v_lshl_add_u32 v23, v37, 10, 0x2000
	v_and_or_b32 v0, 0x8000, v0, v23
	v_lshlrev_b32_e32 v23, 23, v27
	v_lshl_or_b32 v27, v0, 16, v23
.LBB308_1243:                           ;   in Loop: Header=BB308_998 Depth=1
	s_or_b32 exec_lo, exec_lo, s18
.LBB308_1244:                           ;   in Loop: Header=BB308_998 Depth=1
	s_or_b32 exec_lo, exec_lo, s17
.LBB308_1245:                           ;   in Loop: Header=BB308_998 Depth=1
	s_or_b32 exec_lo, exec_lo, s16
	v_lshrrev_b32_e32 v0, 16, v12
	v_cmp_ne_u16_sdwa s4, v0, v1 src0_sel:BYTE_0 src1_sel:DWORD
	s_and_saveexec_b32 s16, s4
	s_cbranch_execz .LBB308_1253
; %bb.1246:                             ;   in Loop: Header=BB308_998 Depth=1
	v_cmp_ne_u16_sdwa s4, v0, v17 src0_sel:BYTE_0 src1_sel:DWORD
	v_mov_b32_e32 v35, 0x8000
	s_and_saveexec_b32 s17, s4
	s_cbranch_execz .LBB308_1252
; %bb.1247:                             ;   in Loop: Header=BB308_998 Depth=1
	v_bfe_u32 v38, v12, 16, 7
	v_mov_b32_e32 v35, 0x7c01
	s_mov_b32 s18, exec_lo
	v_cmpx_ne_u32_e32 0x7f, v38
	s_cbranch_execz .LBB308_1251
; %bb.1248:                             ;   in Loop: Header=BB308_998 Depth=1
	v_and_b32_e32 v35, 7, v0
	v_lshrrev_b32_e32 v37, 3, v38
	s_mov_b32 s20, exec_lo
	v_cmpx_gt_u32_e32 8, v38
; %bb.1249:                             ;   in Loop: Header=BB308_998 Depth=1
	v_ffbh_u32_e32 v23, v35
	v_min_u32_e32 v23, 32, v23
	v_subrev_nc_u32_e32 v35, 28, v23
	v_sub_nc_u32_e32 v37, 29, v23
	v_lshlrev_b64 v[48:49], v35, v[0:1]
	v_and_b32_e32 v35, 7, v48
; %bb.1250:                             ;   in Loop: Header=BB308_998 Depth=1
	s_or_b32 exec_lo, exec_lo, s20
	v_lshlrev_b32_e32 v0, 8, v0
	v_lshl_add_u32 v23, v37, 10, 0x2000
	v_lshlrev_b32_e32 v35, 7, v35
	v_and_b32_e32 v0, 0x8000, v0
	v_and_b32_e32 v23, 0xfc00, v23
	v_or3_b32 v35, v0, v23, v35
.LBB308_1251:                           ;   in Loop: Header=BB308_998 Depth=1
	s_or_b32 exec_lo, exec_lo, s18
.LBB308_1252:                           ;   in Loop: Header=BB308_998 Depth=1
	s_or_b32 exec_lo, exec_lo, s17
.LBB308_1253:                           ;   in Loop: Header=BB308_998 Depth=1
	s_or_b32 exec_lo, exec_lo, s16
	v_cmp_lt_u64_e64 s4, s[12:13], v[11:12]
	v_mov_b32_e32 v11, 0
	s_and_saveexec_b32 s16, s4
	s_cbranch_execz .LBB308_1261
; %bb.1254:                             ;   in Loop: Header=BB308_998 Depth=1
	v_lshrrev_b32_e32 v0, 24, v12
	v_bfrev_b32_e32 v11, 1
	s_mov_b32 s17, exec_lo
	v_cmpx_ne_u32_e32 0x80, v0
	s_cbranch_execz .LBB308_1260
; %bb.1255:                             ;   in Loop: Header=BB308_998 Depth=1
	v_and_b32_e32 v37, 0x7f, v0
	v_mov_b32_e32 v11, 0x7c010000
	s_mov_b32 s18, exec_lo
	v_cmpx_ne_u32_e32 0x7f, v37
	s_cbranch_execz .LBB308_1259
; %bb.1256:                             ;   in Loop: Header=BB308_998 Depth=1
	v_and_b32_e32 v11, 7, v0
	v_lshrrev_b32_e32 v12, 3, v37
	s_mov_b32 s20, exec_lo
	v_cmpx_gt_u32_e32 8, v37
; %bb.1257:                             ;   in Loop: Header=BB308_998 Depth=1
	v_ffbh_u32_e32 v11, v11
	v_min_u32_e32 v23, 32, v11
	v_subrev_nc_u32_e32 v11, 28, v23
	v_lshlrev_b64 v[11:12], v11, v[0:1]
	v_sub_nc_u32_e32 v12, 29, v23
	v_and_b32_e32 v11, 7, v11
; %bb.1258:                             ;   in Loop: Header=BB308_998 Depth=1
	s_or_b32 exec_lo, exec_lo, s20
	v_lshlrev_b32_e32 v0, 8, v0
	v_lshl_add_u32 v12, v12, 10, 0x2000
	v_lshlrev_b32_e32 v11, 23, v11
	v_and_or_b32 v0, 0x8000, v0, v12
	v_lshl_or_b32 v11, v0, 16, v11
.LBB308_1259:                           ;   in Loop: Header=BB308_998 Depth=1
	s_or_b32 exec_lo, exec_lo, s18
.LBB308_1260:                           ;   in Loop: Header=BB308_998 Depth=1
	s_or_b32 exec_lo, exec_lo, s17
.LBB308_1261:                           ;   in Loop: Header=BB308_998 Depth=1
	s_or_b32 exec_lo, exec_lo, s16
	v_or_b32_e32 v0, v16, v22
	s_waitcnt vmcnt(0) lgkmcnt(0)
	v_fma_mixlo_f16 v12, v4, v16, 0 op_sel:[0,1,0] op_sel_hi:[0,1,0]
	v_or_b32_e32 v6, v5, v6
	v_fma_mixlo_f16 v5, v4, v5, 0 op_sel:[0,1,0] op_sel_hi:[0,1,0]
	v_or_b32_e32 v16, v27, v26
	v_fma_mixlo_f16 v22, v4, v0, 0 op_sel_hi:[0,1,0]
	v_or_b32_e32 v23, v11, v35
	v_lshlrev_b32_e32 v0, 16, v12
	v_lshlrev_b32_e32 v12, 16, v5
	v_fma_mixlo_f16 v6, v4, v6, 0 op_sel_hi:[0,1,0]
	v_and_b32_e32 v5, 0xffff, v22
	v_fma_mixlo_f16 v22, v4, v27, 0 op_sel:[0,1,0] op_sel_hi:[0,1,0]
	v_fma_mixlo_f16 v16, v4, v16, 0 op_sel_hi:[0,1,0]
	v_fma_mixlo_f16 v11, v4, v11, 0 op_sel:[0,1,0] op_sel_hi:[0,1,0]
	v_fma_mixlo_f16 v23, v4, v23, 0 op_sel_hi:[0,1,0]
	v_and_b32_e32 v37, 0xffff, v6
	v_lshlrev_b32_e32 v6, 16, v22
	v_and_b32_e32 v22, 0xffff, v16
	v_lshlrev_b32_e32 v4, 16, v11
	v_and_b32_e32 v11, 0xffff, v23
	v_or_b32_e32 v16, v0, v5
	v_or_b32_e32 v35, v12, v37
	;; [unrolled: 1-line block ×4, first 2 shown]
	s_and_saveexec_b32 s16, vcc_lo
	s_cbranch_execz .LBB308_1263
; %bb.1262:                             ;   in Loop: Header=BB308_998 Depth=1
	v_cmp_lt_i32_e64 s4, v18, v36
	v_cndmask_b32_e64 v16, 0, v37, s4
	v_cmp_lt_i32_e64 s4, v99, v36
	v_cndmask_b32_e64 v12, 0, v12, s4
	v_cmp_lt_i32_e64 s4, v98, v36
	v_or_b32_e32 v35, v16, v12
	v_cndmask_b32_e64 v5, 0, v5, s4
	v_cmp_lt_i32_e64 s4, v97, v36
	v_cndmask_b32_e64 v0, 0, v0, s4
	v_cmp_lt_i32_e64 s4, v96, v36
	v_or_b32_e32 v16, v5, v0
	;; [unrolled: 5-line block ×3, first 2 shown]
	v_cndmask_b32_e64 v11, 0, v11, s4
	v_cmp_lt_i32_e64 s4, v85, v36
	v_cndmask_b32_e64 v4, 0, v4, s4
	v_or_b32_e32 v26, v11, v4
.LBB308_1263:                           ;   in Loop: Header=BB308_998 Depth=1
	s_or_b32 exec_lo, exec_lo, s16
	;;#ASMSTART
	v_pk_mul_f16 v0, v84, v35;

	;;#ASMEND
	;;#ASMSTART
	v_pk_mul_f16 v4, v83, v16;

	;;#ASMEND
	;; [unrolled: 4-line block ×4, first 2 shown]
	;;#ASMSTART
	v_pk_add_f16 v0, v0, v4;

	;;#ASMEND
	;;#ASMSTART
	v_pk_add_f16 v0, v0, v5;

	;;#ASMEND
	;; [unrolled: 4-line block ×3, first 2 shown]
	v_and_b32_e32 v4, 0xffff, v0
	v_lshrrev_b32_e32 v0, 16, v0
	;;#ASMSTART
	v_cvt_f32_f16 v101, v4;
	;;#ASMEND
	;;#ASMSTART
	v_cvt_f32_f16 v113, v0;
	;;#ASMEND
	flat_load_dwordx2 v[11:12], v[9:10] offset:1024
	s_clause 0x1
	buffer_load_dword v4, off, s[0:3], s32 offset:200
	buffer_load_dword v5, off, s[0:3], s32 offset:204
	v_mov_b32_e32 v6, 0
	s_waitcnt vmcnt(2) lgkmcnt(0)
	v_cmp_ne_u16_sdwa s4, v11, v1 src0_sel:BYTE_0 src1_sel:DWORD
	s_waitcnt vmcnt(0)
	flat_load_dword v4, v[4:5]
	v_mov_b32_e32 v5, 0
	s_and_saveexec_b32 s16, s4
	s_cbranch_execz .LBB308_1271
; %bb.1264:                             ;   in Loop: Header=BB308_998 Depth=1
	v_cmp_ne_u16_sdwa s4, v11, v17 src0_sel:BYTE_0 src1_sel:DWORD
	v_mov_b32_e32 v6, 0x8000
	s_and_saveexec_b32 s17, s4
	s_cbranch_execz .LBB308_1270
; %bb.1265:                             ;   in Loop: Header=BB308_998 Depth=1
	v_and_b32_e32 v16, 0x7f, v11
	v_mov_b32_e32 v6, 0x7c01
	s_mov_b32 s18, exec_lo
	v_cmpx_ne_u32_e32 0x7f, v16
	s_cbranch_execz .LBB308_1269
; %bb.1266:                             ;   in Loop: Header=BB308_998 Depth=1
	v_and_b32_e32 v0, 7, v11
	v_lshrrev_b32_e32 v6, 3, v16
	s_mov_b32 s20, exec_lo
	v_cmpx_gt_u32_e32 8, v16
; %bb.1267:                             ;   in Loop: Header=BB308_998 Depth=1
	v_ffbh_u32_e32 v0, v0
	v_min_u32_e32 v0, 32, v0
	v_subrev_nc_u32_e32 v6, 28, v0
	v_lshlrev_b64 v[22:23], v6, v[11:12]
	v_sub_nc_u32_e32 v6, 29, v0
	v_and_b32_e32 v0, 7, v22
; %bb.1268:                             ;   in Loop: Header=BB308_998 Depth=1
	s_or_b32 exec_lo, exec_lo, s20
	v_lshlrev_b32_e32 v16, 8, v11
	v_lshl_add_u32 v6, v6, 10, 0x2000
	v_lshlrev_b32_e32 v0, 7, v0
	v_and_b32_e32 v16, 0x8000, v16
	v_and_b32_e32 v6, 0xfc00, v6
	v_or3_b32 v6, v16, v6, v0
.LBB308_1269:                           ;   in Loop: Header=BB308_998 Depth=1
	s_or_b32 exec_lo, exec_lo, s18
.LBB308_1270:                           ;   in Loop: Header=BB308_998 Depth=1
	s_or_b32 exec_lo, exec_lo, s17
.LBB308_1271:                           ;   in Loop: Header=BB308_998 Depth=1
	s_or_b32 exec_lo, exec_lo, s16
	v_lshrrev_b16 v0, 8, v11
	s_mov_b32 s16, exec_lo
	v_cmpx_ne_u16_e32 0, v0
	s_cbranch_execz .LBB308_1279
; %bb.1272:                             ;   in Loop: Header=BB308_998 Depth=1
	v_bfrev_b32_e32 v5, 1
	s_mov_b32 s17, exec_lo
	v_cmpx_ne_u16_e32 0x80, v0
	s_cbranch_execz .LBB308_1278
; %bb.1273:                             ;   in Loop: Header=BB308_998 Depth=1
	v_and_b32_sdwa v22, v0, v53 dst_sel:DWORD dst_unused:UNUSED_PAD src0_sel:WORD_0 src1_sel:DWORD
	v_mov_b32_e32 v5, 0x7c010000
	s_mov_b32 s18, exec_lo
	v_cmpx_ne_u32_e32 0x7f, v22
	s_cbranch_execz .LBB308_1277
; %bb.1274:                             ;   in Loop: Header=BB308_998 Depth=1
	v_and_b32_sdwa v5, v0, v54 dst_sel:DWORD dst_unused:UNUSED_PAD src0_sel:WORD_0 src1_sel:DWORD
	v_lshrrev_b32_e32 v16, 3, v22
	s_mov_b32 s20, exec_lo
	v_cmpx_gt_u32_e32 8, v22
; %bb.1275:                             ;   in Loop: Header=BB308_998 Depth=1
	v_ffbh_u32_e32 v5, v5
	v_min_u32_e32 v5, 32, v5
	v_subrev_nc_u32_e32 v16, 28, v5
	v_lshlrev_b64 v[22:23], v16, v[0:1]
	v_sub_nc_u32_e32 v16, 29, v5
	v_and_b32_e32 v5, 7, v22
; %bb.1276:                             ;   in Loop: Header=BB308_998 Depth=1
	s_or_b32 exec_lo, exec_lo, s20
	v_lshlrev_b32_sdwa v0, v70, v0 dst_sel:DWORD dst_unused:UNUSED_PAD src0_sel:DWORD src1_sel:WORD_0
	v_lshl_add_u32 v16, v16, 10, 0x2000
	v_lshlrev_b32_e32 v5, 23, v5
	v_and_or_b32 v0, 0x8000, v0, v16
	v_lshl_or_b32 v5, v0, 16, v5
.LBB308_1277:                           ;   in Loop: Header=BB308_998 Depth=1
	s_or_b32 exec_lo, exec_lo, s18
.LBB308_1278:                           ;   in Loop: Header=BB308_998 Depth=1
	s_or_b32 exec_lo, exec_lo, s17
.LBB308_1279:                           ;   in Loop: Header=BB308_998 Depth=1
	s_or_b32 exec_lo, exec_lo, s16
	v_lshrrev_b32_e32 v0, 16, v11
	v_mov_b32_e32 v16, 0
	v_mov_b32_e32 v22, 0
	v_cmp_ne_u16_sdwa s4, v0, v1 src0_sel:BYTE_0 src1_sel:DWORD
	s_and_saveexec_b32 s16, s4
	s_cbranch_execz .LBB308_1287
; %bb.1280:                             ;   in Loop: Header=BB308_998 Depth=1
	v_cmp_ne_u16_sdwa s4, v0, v17 src0_sel:BYTE_0 src1_sel:DWORD
	v_mov_b32_e32 v22, 0x8000
	s_and_saveexec_b32 s17, s4
	s_cbranch_execz .LBB308_1286
; %bb.1281:                             ;   in Loop: Header=BB308_998 Depth=1
	v_bfe_u32 v27, v11, 16, 7
	v_mov_b32_e32 v22, 0x7c01
	s_mov_b32 s18, exec_lo
	v_cmpx_ne_u32_e32 0x7f, v27
	s_cbranch_execz .LBB308_1285
; %bb.1282:                             ;   in Loop: Header=BB308_998 Depth=1
	v_and_b32_e32 v22, 7, v0
	v_lshrrev_b32_e32 v26, 3, v27
	s_mov_b32 s20, exec_lo
	v_cmpx_gt_u32_e32 8, v27
; %bb.1283:                             ;   in Loop: Header=BB308_998 Depth=1
	v_ffbh_u32_e32 v22, v22
	v_min_u32_e32 v26, 32, v22
	v_subrev_nc_u32_e32 v22, 28, v26
	v_sub_nc_u32_e32 v26, 29, v26
	v_lshlrev_b64 v[22:23], v22, v[0:1]
	v_and_b32_e32 v22, 7, v22
; %bb.1284:                             ;   in Loop: Header=BB308_998 Depth=1
	s_or_b32 exec_lo, exec_lo, s20
	v_lshlrev_b32_e32 v0, 8, v0
	v_lshl_add_u32 v23, v26, 10, 0x2000
	v_lshlrev_b32_e32 v22, 7, v22
	v_and_b32_e32 v0, 0x8000, v0
	v_and_b32_e32 v23, 0xfc00, v23
	v_or3_b32 v22, v0, v23, v22
.LBB308_1285:                           ;   in Loop: Header=BB308_998 Depth=1
	s_or_b32 exec_lo, exec_lo, s18
.LBB308_1286:                           ;   in Loop: Header=BB308_998 Depth=1
	s_or_b32 exec_lo, exec_lo, s17
.LBB308_1287:                           ;   in Loop: Header=BB308_998 Depth=1
	s_or_b32 exec_lo, exec_lo, s16
	s_mov_b32 s16, exec_lo
	v_cmpx_lt_u32_e32 0xffffff, v11
	s_cbranch_execz .LBB308_1295
; %bb.1288:                             ;   in Loop: Header=BB308_998 Depth=1
	v_lshrrev_b32_e32 v0, 24, v11
	v_bfrev_b32_e32 v16, 1
	s_mov_b32 s17, exec_lo
	v_cmpx_ne_u32_e32 0x80, v0
	s_cbranch_execz .LBB308_1294
; %bb.1289:                             ;   in Loop: Header=BB308_998 Depth=1
	v_and_b32_e32 v27, 0x7f, v0
	v_mov_b32_e32 v16, 0x7c010000
	s_mov_b32 s18, exec_lo
	v_cmpx_ne_u32_e32 0x7f, v27
	s_cbranch_execz .LBB308_1293
; %bb.1290:                             ;   in Loop: Header=BB308_998 Depth=1
	v_and_b32_e32 v16, 7, v0
	v_lshrrev_b32_e32 v26, 3, v27
	s_mov_b32 s20, exec_lo
	v_cmpx_gt_u32_e32 8, v27
; %bb.1291:                             ;   in Loop: Header=BB308_998 Depth=1
	v_ffbh_u32_e32 v16, v16
	v_min_u32_e32 v16, 32, v16
	v_subrev_nc_u32_e32 v23, 28, v16
	v_sub_nc_u32_e32 v26, 29, v16
	v_lshlrev_b64 v[37:38], v23, v[0:1]
	v_and_b32_e32 v16, 7, v37
; %bb.1292:                             ;   in Loop: Header=BB308_998 Depth=1
	s_or_b32 exec_lo, exec_lo, s20
	v_lshlrev_b32_e32 v0, 8, v0
	v_lshl_add_u32 v23, v26, 10, 0x2000
	v_lshlrev_b32_e32 v16, 23, v16
	v_and_or_b32 v0, 0x8000, v0, v23
	v_lshl_or_b32 v16, v0, 16, v16
.LBB308_1293:                           ;   in Loop: Header=BB308_998 Depth=1
	s_or_b32 exec_lo, exec_lo, s18
.LBB308_1294:                           ;   in Loop: Header=BB308_998 Depth=1
	s_or_b32 exec_lo, exec_lo, s17
.LBB308_1295:                           ;   in Loop: Header=BB308_998 Depth=1
	s_or_b32 exec_lo, exec_lo, s16
	v_mov_b32_e32 v0, v12
	v_cmp_ne_u16_sdwa s4, v12, v1 src0_sel:BYTE_0 src1_sel:DWORD
	v_mov_b32_e32 v35, 0
	v_mov_b32_e32 v26, 0
	s_and_saveexec_b32 s16, s4
	s_cbranch_execz .LBB308_1303
; %bb.1296:                             ;   in Loop: Header=BB308_998 Depth=1
	v_cmp_ne_u16_sdwa s4, v12, v17 src0_sel:BYTE_0 src1_sel:DWORD
	v_mov_b32_e32 v26, 0x8000
	s_and_saveexec_b32 s17, s4
	s_cbranch_execz .LBB308_1302
; %bb.1297:                             ;   in Loop: Header=BB308_998 Depth=1
	v_and_b32_e32 v37, 0x7f, v12
	v_mov_b32_e32 v26, 0x7c01
	s_mov_b32 s18, exec_lo
	v_cmpx_ne_u32_e32 0x7f, v37
	s_cbranch_execz .LBB308_1301
; %bb.1298:                             ;   in Loop: Header=BB308_998 Depth=1
	v_and_b32_e32 v26, 7, v12
	v_lshrrev_b32_e32 v27, 3, v37
	s_mov_b32 s20, exec_lo
	v_cmpx_gt_u32_e32 8, v37
; %bb.1299:                             ;   in Loop: Header=BB308_998 Depth=1
	v_ffbh_u32_e32 v23, v26
	v_min_u32_e32 v23, 32, v23
	v_subrev_nc_u32_e32 v26, 28, v23
	v_lshlrev_b64 v[26:27], v26, v[0:1]
	v_sub_nc_u32_e32 v27, 29, v23
	v_and_b32_e32 v26, 7, v26
; %bb.1300:                             ;   in Loop: Header=BB308_998 Depth=1
	s_or_b32 exec_lo, exec_lo, s20
	v_lshlrev_b32_e32 v23, 8, v12
	v_lshl_add_u32 v27, v27, 10, 0x2000
	v_lshlrev_b32_e32 v26, 7, v26
	v_and_b32_e32 v23, 0x8000, v23
	v_and_b32_e32 v27, 0xfc00, v27
	v_or3_b32 v26, v23, v27, v26
.LBB308_1301:                           ;   in Loop: Header=BB308_998 Depth=1
	s_or_b32 exec_lo, exec_lo, s18
.LBB308_1302:                           ;   in Loop: Header=BB308_998 Depth=1
	s_or_b32 exec_lo, exec_lo, s17
.LBB308_1303:                           ;   in Loop: Header=BB308_998 Depth=1
	s_or_b32 exec_lo, exec_lo, s16
	v_lshrrev_b16 v0, 8, v0
	v_mov_b32_e32 v27, 0
	s_mov_b32 s16, exec_lo
	v_cmpx_ne_u16_e32 0, v0
	s_cbranch_execz .LBB308_1311
; %bb.1304:                             ;   in Loop: Header=BB308_998 Depth=1
	v_bfrev_b32_e32 v27, 1
	s_mov_b32 s17, exec_lo
	v_cmpx_ne_u16_e32 0x80, v0
	s_cbranch_execz .LBB308_1310
; %bb.1305:                             ;   in Loop: Header=BB308_998 Depth=1
	v_and_b32_sdwa v38, v0, v53 dst_sel:DWORD dst_unused:UNUSED_PAD src0_sel:WORD_0 src1_sel:DWORD
	v_mov_b32_e32 v27, 0x7c010000
	s_mov_b32 s18, exec_lo
	v_cmpx_ne_u32_e32 0x7f, v38
	s_cbranch_execz .LBB308_1309
; %bb.1306:                             ;   in Loop: Header=BB308_998 Depth=1
	v_and_b32_sdwa v27, v0, v54 dst_sel:DWORD dst_unused:UNUSED_PAD src0_sel:WORD_0 src1_sel:DWORD
	v_lshrrev_b32_e32 v37, 3, v38
	s_mov_b32 s20, exec_lo
	v_cmpx_gt_u32_e32 8, v38
; %bb.1307:                             ;   in Loop: Header=BB308_998 Depth=1
	v_ffbh_u32_e32 v23, v27
	v_min_u32_e32 v23, 32, v23
	v_subrev_nc_u32_e32 v27, 28, v23
	v_sub_nc_u32_e32 v37, 29, v23
	v_lshlrev_b64 v[48:49], v27, v[0:1]
	v_and_b32_e32 v27, 7, v48
; %bb.1308:                             ;   in Loop: Header=BB308_998 Depth=1
	s_or_b32 exec_lo, exec_lo, s20
	v_lshlrev_b32_sdwa v0, v70, v0 dst_sel:DWORD dst_unused:UNUSED_PAD src0_sel:DWORD src1_sel:WORD_0
	v_lshl_add_u32 v23, v37, 10, 0x2000
	v_and_or_b32 v0, 0x8000, v0, v23
	v_lshlrev_b32_e32 v23, 23, v27
	v_lshl_or_b32 v27, v0, 16, v23
.LBB308_1309:                           ;   in Loop: Header=BB308_998 Depth=1
	s_or_b32 exec_lo, exec_lo, s18
.LBB308_1310:                           ;   in Loop: Header=BB308_998 Depth=1
	s_or_b32 exec_lo, exec_lo, s17
.LBB308_1311:                           ;   in Loop: Header=BB308_998 Depth=1
	s_or_b32 exec_lo, exec_lo, s16
	v_lshrrev_b32_e32 v0, 16, v12
	v_cmp_ne_u16_sdwa s4, v0, v1 src0_sel:BYTE_0 src1_sel:DWORD
	s_and_saveexec_b32 s16, s4
	s_cbranch_execz .LBB308_1319
; %bb.1312:                             ;   in Loop: Header=BB308_998 Depth=1
	v_cmp_ne_u16_sdwa s4, v0, v17 src0_sel:BYTE_0 src1_sel:DWORD
	v_mov_b32_e32 v35, 0x8000
	s_and_saveexec_b32 s17, s4
	s_cbranch_execz .LBB308_1318
; %bb.1313:                             ;   in Loop: Header=BB308_998 Depth=1
	v_bfe_u32 v38, v12, 16, 7
	v_mov_b32_e32 v35, 0x7c01
	s_mov_b32 s18, exec_lo
	v_cmpx_ne_u32_e32 0x7f, v38
	s_cbranch_execz .LBB308_1317
; %bb.1314:                             ;   in Loop: Header=BB308_998 Depth=1
	v_and_b32_e32 v35, 7, v0
	v_lshrrev_b32_e32 v37, 3, v38
	s_mov_b32 s20, exec_lo
	v_cmpx_gt_u32_e32 8, v38
; %bb.1315:                             ;   in Loop: Header=BB308_998 Depth=1
	v_ffbh_u32_e32 v23, v35
	v_min_u32_e32 v23, 32, v23
	v_subrev_nc_u32_e32 v35, 28, v23
	v_sub_nc_u32_e32 v37, 29, v23
	v_lshlrev_b64 v[48:49], v35, v[0:1]
	v_and_b32_e32 v35, 7, v48
; %bb.1316:                             ;   in Loop: Header=BB308_998 Depth=1
	s_or_b32 exec_lo, exec_lo, s20
	v_lshlrev_b32_e32 v0, 8, v0
	v_lshl_add_u32 v23, v37, 10, 0x2000
	v_lshlrev_b32_e32 v35, 7, v35
	v_and_b32_e32 v0, 0x8000, v0
	v_and_b32_e32 v23, 0xfc00, v23
	v_or3_b32 v35, v0, v23, v35
.LBB308_1317:                           ;   in Loop: Header=BB308_998 Depth=1
	s_or_b32 exec_lo, exec_lo, s18
.LBB308_1318:                           ;   in Loop: Header=BB308_998 Depth=1
	s_or_b32 exec_lo, exec_lo, s17
.LBB308_1319:                           ;   in Loop: Header=BB308_998 Depth=1
	s_or_b32 exec_lo, exec_lo, s16
	v_cmp_lt_u64_e64 s4, s[12:13], v[11:12]
	v_mov_b32_e32 v11, 0
	s_and_saveexec_b32 s16, s4
	s_cbranch_execz .LBB308_1327
; %bb.1320:                             ;   in Loop: Header=BB308_998 Depth=1
	v_lshrrev_b32_e32 v0, 24, v12
	v_bfrev_b32_e32 v11, 1
	s_mov_b32 s17, exec_lo
	v_cmpx_ne_u32_e32 0x80, v0
	s_cbranch_execz .LBB308_1326
; %bb.1321:                             ;   in Loop: Header=BB308_998 Depth=1
	v_and_b32_e32 v37, 0x7f, v0
	v_mov_b32_e32 v11, 0x7c010000
	s_mov_b32 s18, exec_lo
	v_cmpx_ne_u32_e32 0x7f, v37
	s_cbranch_execz .LBB308_1325
; %bb.1322:                             ;   in Loop: Header=BB308_998 Depth=1
	v_and_b32_e32 v11, 7, v0
	v_lshrrev_b32_e32 v12, 3, v37
	s_mov_b32 s20, exec_lo
	v_cmpx_gt_u32_e32 8, v37
; %bb.1323:                             ;   in Loop: Header=BB308_998 Depth=1
	v_ffbh_u32_e32 v11, v11
	v_min_u32_e32 v23, 32, v11
	v_subrev_nc_u32_e32 v11, 28, v23
	v_lshlrev_b64 v[11:12], v11, v[0:1]
	v_sub_nc_u32_e32 v12, 29, v23
	v_and_b32_e32 v11, 7, v11
; %bb.1324:                             ;   in Loop: Header=BB308_998 Depth=1
	s_or_b32 exec_lo, exec_lo, s20
	v_lshlrev_b32_e32 v0, 8, v0
	v_lshl_add_u32 v12, v12, 10, 0x2000
	v_lshlrev_b32_e32 v11, 23, v11
	v_and_or_b32 v0, 0x8000, v0, v12
	v_lshl_or_b32 v11, v0, 16, v11
.LBB308_1325:                           ;   in Loop: Header=BB308_998 Depth=1
	s_or_b32 exec_lo, exec_lo, s18
.LBB308_1326:                           ;   in Loop: Header=BB308_998 Depth=1
	s_or_b32 exec_lo, exec_lo, s17
.LBB308_1327:                           ;   in Loop: Header=BB308_998 Depth=1
	s_or_b32 exec_lo, exec_lo, s16
	v_or_b32_e32 v0, v16, v22
	s_waitcnt vmcnt(0) lgkmcnt(0)
	v_fma_mixlo_f16 v12, v4, v16, 0 op_sel:[0,1,0] op_sel_hi:[0,1,0]
	v_or_b32_e32 v6, v5, v6
	v_fma_mixlo_f16 v5, v4, v5, 0 op_sel:[0,1,0] op_sel_hi:[0,1,0]
	v_or_b32_e32 v16, v27, v26
	v_fma_mixlo_f16 v22, v4, v0, 0 op_sel_hi:[0,1,0]
	v_or_b32_e32 v23, v11, v35
	v_lshlrev_b32_e32 v0, 16, v12
	v_lshlrev_b32_e32 v12, 16, v5
	v_fma_mixlo_f16 v6, v4, v6, 0 op_sel_hi:[0,1,0]
	v_and_b32_e32 v5, 0xffff, v22
	v_fma_mixlo_f16 v22, v4, v27, 0 op_sel:[0,1,0] op_sel_hi:[0,1,0]
	v_fma_mixlo_f16 v16, v4, v16, 0 op_sel_hi:[0,1,0]
	v_fma_mixlo_f16 v11, v4, v11, 0 op_sel:[0,1,0] op_sel_hi:[0,1,0]
	v_fma_mixlo_f16 v23, v4, v23, 0 op_sel_hi:[0,1,0]
	v_and_b32_e32 v37, 0xffff, v6
	v_lshlrev_b32_e32 v6, 16, v22
	v_and_b32_e32 v22, 0xffff, v16
	v_lshlrev_b32_e32 v4, 16, v11
	v_and_b32_e32 v11, 0xffff, v23
	v_or_b32_e32 v16, v0, v5
	v_or_b32_e32 v35, v12, v37
	v_or_b32_e32 v27, v6, v22
	v_or_b32_e32 v26, v4, v11
	s_and_saveexec_b32 s16, vcc_lo
	s_cbranch_execz .LBB308_1329
; %bb.1328:                             ;   in Loop: Header=BB308_998 Depth=1
	v_cmp_lt_i32_e64 s4, v18, v36
	v_cndmask_b32_e64 v16, 0, v37, s4
	v_cmp_lt_i32_e64 s4, v99, v36
	v_cndmask_b32_e64 v12, 0, v12, s4
	v_cmp_lt_i32_e64 s4, v98, v36
	v_or_b32_e32 v35, v16, v12
	v_cndmask_b32_e64 v5, 0, v5, s4
	v_cmp_lt_i32_e64 s4, v97, v36
	v_cndmask_b32_e64 v0, 0, v0, s4
	v_cmp_lt_i32_e64 s4, v96, v36
	v_or_b32_e32 v16, v5, v0
	;; [unrolled: 5-line block ×3, first 2 shown]
	v_cndmask_b32_e64 v11, 0, v11, s4
	v_cmp_lt_i32_e64 s4, v85, v36
	v_cndmask_b32_e64 v4, 0, v4, s4
	v_or_b32_e32 v26, v11, v4
.LBB308_1329:                           ;   in Loop: Header=BB308_998 Depth=1
	s_or_b32 exec_lo, exec_lo, s16
	;;#ASMSTART
	v_pk_mul_f16 v0, v84, v35;

	;;#ASMEND
	;;#ASMSTART
	v_pk_mul_f16 v4, v83, v16;

	;;#ASMEND
	;; [unrolled: 4-line block ×4, first 2 shown]
	;;#ASMSTART
	v_pk_add_f16 v0, v0, v4;

	;;#ASMEND
	;;#ASMSTART
	v_pk_add_f16 v0, v0, v5;

	;;#ASMEND
	;; [unrolled: 4-line block ×3, first 2 shown]
	v_and_b32_e32 v4, 0xffff, v0
	v_lshrrev_b32_e32 v0, 16, v0
	;;#ASMSTART
	v_cvt_f32_f16 v114, v4;
	;;#ASMEND
	;;#ASMSTART
	v_cvt_f32_f16 v112, v0;
	;;#ASMEND
	flat_load_dwordx2 v[11:12], v[9:10] offset:1280
	s_clause 0x1
	buffer_load_dword v4, off, s[0:3], s32 offset:200
	buffer_load_dword v5, off, s[0:3], s32 offset:204
	v_mov_b32_e32 v6, 0
	s_waitcnt vmcnt(2) lgkmcnt(0)
	v_cmp_ne_u16_sdwa s4, v11, v1 src0_sel:BYTE_0 src1_sel:DWORD
	s_waitcnt vmcnt(0)
	flat_load_dword v4, v[4:5]
	v_mov_b32_e32 v5, 0
	s_and_saveexec_b32 s16, s4
	s_cbranch_execz .LBB308_1337
; %bb.1330:                             ;   in Loop: Header=BB308_998 Depth=1
	v_cmp_ne_u16_sdwa s4, v11, v17 src0_sel:BYTE_0 src1_sel:DWORD
	v_mov_b32_e32 v6, 0x8000
	s_and_saveexec_b32 s17, s4
	s_cbranch_execz .LBB308_1336
; %bb.1331:                             ;   in Loop: Header=BB308_998 Depth=1
	v_and_b32_e32 v16, 0x7f, v11
	v_mov_b32_e32 v6, 0x7c01
	s_mov_b32 s18, exec_lo
	v_cmpx_ne_u32_e32 0x7f, v16
	s_cbranch_execz .LBB308_1335
; %bb.1332:                             ;   in Loop: Header=BB308_998 Depth=1
	v_and_b32_e32 v0, 7, v11
	v_lshrrev_b32_e32 v6, 3, v16
	s_mov_b32 s20, exec_lo
	v_cmpx_gt_u32_e32 8, v16
; %bb.1333:                             ;   in Loop: Header=BB308_998 Depth=1
	v_ffbh_u32_e32 v0, v0
	v_min_u32_e32 v0, 32, v0
	v_subrev_nc_u32_e32 v6, 28, v0
	v_lshlrev_b64 v[22:23], v6, v[11:12]
	v_sub_nc_u32_e32 v6, 29, v0
	v_and_b32_e32 v0, 7, v22
; %bb.1334:                             ;   in Loop: Header=BB308_998 Depth=1
	s_or_b32 exec_lo, exec_lo, s20
	v_lshlrev_b32_e32 v16, 8, v11
	v_lshl_add_u32 v6, v6, 10, 0x2000
	v_lshlrev_b32_e32 v0, 7, v0
	v_and_b32_e32 v16, 0x8000, v16
	v_and_b32_e32 v6, 0xfc00, v6
	v_or3_b32 v6, v16, v6, v0
.LBB308_1335:                           ;   in Loop: Header=BB308_998 Depth=1
	s_or_b32 exec_lo, exec_lo, s18
.LBB308_1336:                           ;   in Loop: Header=BB308_998 Depth=1
	s_or_b32 exec_lo, exec_lo, s17
.LBB308_1337:                           ;   in Loop: Header=BB308_998 Depth=1
	s_or_b32 exec_lo, exec_lo, s16
	v_lshrrev_b16 v0, 8, v11
	s_mov_b32 s16, exec_lo
	v_cmpx_ne_u16_e32 0, v0
	s_cbranch_execz .LBB308_1345
; %bb.1338:                             ;   in Loop: Header=BB308_998 Depth=1
	v_bfrev_b32_e32 v5, 1
	s_mov_b32 s17, exec_lo
	v_cmpx_ne_u16_e32 0x80, v0
	s_cbranch_execz .LBB308_1344
; %bb.1339:                             ;   in Loop: Header=BB308_998 Depth=1
	v_and_b32_sdwa v22, v0, v53 dst_sel:DWORD dst_unused:UNUSED_PAD src0_sel:WORD_0 src1_sel:DWORD
	v_mov_b32_e32 v5, 0x7c010000
	s_mov_b32 s18, exec_lo
	v_cmpx_ne_u32_e32 0x7f, v22
	s_cbranch_execz .LBB308_1343
; %bb.1340:                             ;   in Loop: Header=BB308_998 Depth=1
	v_and_b32_sdwa v5, v0, v54 dst_sel:DWORD dst_unused:UNUSED_PAD src0_sel:WORD_0 src1_sel:DWORD
	v_lshrrev_b32_e32 v16, 3, v22
	s_mov_b32 s20, exec_lo
	v_cmpx_gt_u32_e32 8, v22
; %bb.1341:                             ;   in Loop: Header=BB308_998 Depth=1
	v_ffbh_u32_e32 v5, v5
	v_min_u32_e32 v5, 32, v5
	v_subrev_nc_u32_e32 v16, 28, v5
	v_lshlrev_b64 v[22:23], v16, v[0:1]
	v_sub_nc_u32_e32 v16, 29, v5
	v_and_b32_e32 v5, 7, v22
; %bb.1342:                             ;   in Loop: Header=BB308_998 Depth=1
	s_or_b32 exec_lo, exec_lo, s20
	v_lshlrev_b32_sdwa v0, v70, v0 dst_sel:DWORD dst_unused:UNUSED_PAD src0_sel:DWORD src1_sel:WORD_0
	v_lshl_add_u32 v16, v16, 10, 0x2000
	v_lshlrev_b32_e32 v5, 23, v5
	v_and_or_b32 v0, 0x8000, v0, v16
	v_lshl_or_b32 v5, v0, 16, v5
.LBB308_1343:                           ;   in Loop: Header=BB308_998 Depth=1
	s_or_b32 exec_lo, exec_lo, s18
.LBB308_1344:                           ;   in Loop: Header=BB308_998 Depth=1
	s_or_b32 exec_lo, exec_lo, s17
.LBB308_1345:                           ;   in Loop: Header=BB308_998 Depth=1
	s_or_b32 exec_lo, exec_lo, s16
	v_lshrrev_b32_e32 v0, 16, v11
	v_mov_b32_e32 v16, 0
	v_mov_b32_e32 v22, 0
	v_cmp_ne_u16_sdwa s4, v0, v1 src0_sel:BYTE_0 src1_sel:DWORD
	s_and_saveexec_b32 s16, s4
	s_cbranch_execz .LBB308_1353
; %bb.1346:                             ;   in Loop: Header=BB308_998 Depth=1
	v_cmp_ne_u16_sdwa s4, v0, v17 src0_sel:BYTE_0 src1_sel:DWORD
	v_mov_b32_e32 v22, 0x8000
	s_and_saveexec_b32 s17, s4
	s_cbranch_execz .LBB308_1352
; %bb.1347:                             ;   in Loop: Header=BB308_998 Depth=1
	v_bfe_u32 v27, v11, 16, 7
	v_mov_b32_e32 v22, 0x7c01
	s_mov_b32 s18, exec_lo
	v_cmpx_ne_u32_e32 0x7f, v27
	s_cbranch_execz .LBB308_1351
; %bb.1348:                             ;   in Loop: Header=BB308_998 Depth=1
	v_and_b32_e32 v22, 7, v0
	v_lshrrev_b32_e32 v26, 3, v27
	s_mov_b32 s20, exec_lo
	v_cmpx_gt_u32_e32 8, v27
; %bb.1349:                             ;   in Loop: Header=BB308_998 Depth=1
	v_ffbh_u32_e32 v22, v22
	v_min_u32_e32 v26, 32, v22
	v_subrev_nc_u32_e32 v22, 28, v26
	v_sub_nc_u32_e32 v26, 29, v26
	v_lshlrev_b64 v[22:23], v22, v[0:1]
	v_and_b32_e32 v22, 7, v22
; %bb.1350:                             ;   in Loop: Header=BB308_998 Depth=1
	s_or_b32 exec_lo, exec_lo, s20
	v_lshlrev_b32_e32 v0, 8, v0
	v_lshl_add_u32 v23, v26, 10, 0x2000
	v_lshlrev_b32_e32 v22, 7, v22
	v_and_b32_e32 v0, 0x8000, v0
	v_and_b32_e32 v23, 0xfc00, v23
	v_or3_b32 v22, v0, v23, v22
.LBB308_1351:                           ;   in Loop: Header=BB308_998 Depth=1
	s_or_b32 exec_lo, exec_lo, s18
.LBB308_1352:                           ;   in Loop: Header=BB308_998 Depth=1
	s_or_b32 exec_lo, exec_lo, s17
.LBB308_1353:                           ;   in Loop: Header=BB308_998 Depth=1
	s_or_b32 exec_lo, exec_lo, s16
	s_mov_b32 s16, exec_lo
	v_cmpx_lt_u32_e32 0xffffff, v11
	s_cbranch_execz .LBB308_1361
; %bb.1354:                             ;   in Loop: Header=BB308_998 Depth=1
	v_lshrrev_b32_e32 v0, 24, v11
	v_bfrev_b32_e32 v16, 1
	s_mov_b32 s17, exec_lo
	v_cmpx_ne_u32_e32 0x80, v0
	s_cbranch_execz .LBB308_1360
; %bb.1355:                             ;   in Loop: Header=BB308_998 Depth=1
	v_and_b32_e32 v27, 0x7f, v0
	v_mov_b32_e32 v16, 0x7c010000
	s_mov_b32 s18, exec_lo
	v_cmpx_ne_u32_e32 0x7f, v27
	s_cbranch_execz .LBB308_1359
; %bb.1356:                             ;   in Loop: Header=BB308_998 Depth=1
	v_and_b32_e32 v16, 7, v0
	v_lshrrev_b32_e32 v26, 3, v27
	s_mov_b32 s20, exec_lo
	v_cmpx_gt_u32_e32 8, v27
; %bb.1357:                             ;   in Loop: Header=BB308_998 Depth=1
	v_ffbh_u32_e32 v16, v16
	v_min_u32_e32 v16, 32, v16
	v_subrev_nc_u32_e32 v23, 28, v16
	v_sub_nc_u32_e32 v26, 29, v16
	v_lshlrev_b64 v[37:38], v23, v[0:1]
	v_and_b32_e32 v16, 7, v37
; %bb.1358:                             ;   in Loop: Header=BB308_998 Depth=1
	s_or_b32 exec_lo, exec_lo, s20
	v_lshlrev_b32_e32 v0, 8, v0
	v_lshl_add_u32 v23, v26, 10, 0x2000
	v_lshlrev_b32_e32 v16, 23, v16
	v_and_or_b32 v0, 0x8000, v0, v23
	v_lshl_or_b32 v16, v0, 16, v16
.LBB308_1359:                           ;   in Loop: Header=BB308_998 Depth=1
	s_or_b32 exec_lo, exec_lo, s18
.LBB308_1360:                           ;   in Loop: Header=BB308_998 Depth=1
	s_or_b32 exec_lo, exec_lo, s17
.LBB308_1361:                           ;   in Loop: Header=BB308_998 Depth=1
	s_or_b32 exec_lo, exec_lo, s16
	v_mov_b32_e32 v0, v12
	v_cmp_ne_u16_sdwa s4, v12, v1 src0_sel:BYTE_0 src1_sel:DWORD
	v_mov_b32_e32 v35, 0
	v_mov_b32_e32 v26, 0
	s_and_saveexec_b32 s16, s4
	s_cbranch_execz .LBB308_1369
; %bb.1362:                             ;   in Loop: Header=BB308_998 Depth=1
	v_cmp_ne_u16_sdwa s4, v12, v17 src0_sel:BYTE_0 src1_sel:DWORD
	v_mov_b32_e32 v26, 0x8000
	s_and_saveexec_b32 s17, s4
	s_cbranch_execz .LBB308_1368
; %bb.1363:                             ;   in Loop: Header=BB308_998 Depth=1
	v_and_b32_e32 v37, 0x7f, v12
	v_mov_b32_e32 v26, 0x7c01
	s_mov_b32 s18, exec_lo
	v_cmpx_ne_u32_e32 0x7f, v37
	s_cbranch_execz .LBB308_1367
; %bb.1364:                             ;   in Loop: Header=BB308_998 Depth=1
	v_and_b32_e32 v26, 7, v12
	v_lshrrev_b32_e32 v27, 3, v37
	s_mov_b32 s20, exec_lo
	v_cmpx_gt_u32_e32 8, v37
; %bb.1365:                             ;   in Loop: Header=BB308_998 Depth=1
	v_ffbh_u32_e32 v23, v26
	v_min_u32_e32 v23, 32, v23
	v_subrev_nc_u32_e32 v26, 28, v23
	v_lshlrev_b64 v[26:27], v26, v[0:1]
	v_sub_nc_u32_e32 v27, 29, v23
	v_and_b32_e32 v26, 7, v26
; %bb.1366:                             ;   in Loop: Header=BB308_998 Depth=1
	s_or_b32 exec_lo, exec_lo, s20
	v_lshlrev_b32_e32 v23, 8, v12
	v_lshl_add_u32 v27, v27, 10, 0x2000
	v_lshlrev_b32_e32 v26, 7, v26
	v_and_b32_e32 v23, 0x8000, v23
	v_and_b32_e32 v27, 0xfc00, v27
	v_or3_b32 v26, v23, v27, v26
.LBB308_1367:                           ;   in Loop: Header=BB308_998 Depth=1
	s_or_b32 exec_lo, exec_lo, s18
.LBB308_1368:                           ;   in Loop: Header=BB308_998 Depth=1
	s_or_b32 exec_lo, exec_lo, s17
.LBB308_1369:                           ;   in Loop: Header=BB308_998 Depth=1
	s_or_b32 exec_lo, exec_lo, s16
	v_lshrrev_b16 v0, 8, v0
	v_mov_b32_e32 v27, 0
	s_mov_b32 s16, exec_lo
	v_cmpx_ne_u16_e32 0, v0
	s_cbranch_execz .LBB308_1377
; %bb.1370:                             ;   in Loop: Header=BB308_998 Depth=1
	v_bfrev_b32_e32 v27, 1
	s_mov_b32 s17, exec_lo
	v_cmpx_ne_u16_e32 0x80, v0
	s_cbranch_execz .LBB308_1376
; %bb.1371:                             ;   in Loop: Header=BB308_998 Depth=1
	v_and_b32_sdwa v38, v0, v53 dst_sel:DWORD dst_unused:UNUSED_PAD src0_sel:WORD_0 src1_sel:DWORD
	v_mov_b32_e32 v27, 0x7c010000
	s_mov_b32 s18, exec_lo
	v_cmpx_ne_u32_e32 0x7f, v38
	s_cbranch_execz .LBB308_1375
; %bb.1372:                             ;   in Loop: Header=BB308_998 Depth=1
	v_and_b32_sdwa v27, v0, v54 dst_sel:DWORD dst_unused:UNUSED_PAD src0_sel:WORD_0 src1_sel:DWORD
	v_lshrrev_b32_e32 v37, 3, v38
	s_mov_b32 s20, exec_lo
	v_cmpx_gt_u32_e32 8, v38
; %bb.1373:                             ;   in Loop: Header=BB308_998 Depth=1
	v_ffbh_u32_e32 v23, v27
	v_min_u32_e32 v23, 32, v23
	v_subrev_nc_u32_e32 v27, 28, v23
	v_sub_nc_u32_e32 v37, 29, v23
	v_lshlrev_b64 v[48:49], v27, v[0:1]
	v_and_b32_e32 v27, 7, v48
; %bb.1374:                             ;   in Loop: Header=BB308_998 Depth=1
	s_or_b32 exec_lo, exec_lo, s20
	v_lshlrev_b32_sdwa v0, v70, v0 dst_sel:DWORD dst_unused:UNUSED_PAD src0_sel:DWORD src1_sel:WORD_0
	v_lshl_add_u32 v23, v37, 10, 0x2000
	v_and_or_b32 v0, 0x8000, v0, v23
	v_lshlrev_b32_e32 v23, 23, v27
	v_lshl_or_b32 v27, v0, 16, v23
.LBB308_1375:                           ;   in Loop: Header=BB308_998 Depth=1
	s_or_b32 exec_lo, exec_lo, s18
.LBB308_1376:                           ;   in Loop: Header=BB308_998 Depth=1
	s_or_b32 exec_lo, exec_lo, s17
.LBB308_1377:                           ;   in Loop: Header=BB308_998 Depth=1
	s_or_b32 exec_lo, exec_lo, s16
	v_lshrrev_b32_e32 v0, 16, v12
	v_cmp_ne_u16_sdwa s4, v0, v1 src0_sel:BYTE_0 src1_sel:DWORD
	s_and_saveexec_b32 s16, s4
	s_cbranch_execz .LBB308_1385
; %bb.1378:                             ;   in Loop: Header=BB308_998 Depth=1
	v_cmp_ne_u16_sdwa s4, v0, v17 src0_sel:BYTE_0 src1_sel:DWORD
	v_mov_b32_e32 v35, 0x8000
	s_and_saveexec_b32 s17, s4
	s_cbranch_execz .LBB308_1384
; %bb.1379:                             ;   in Loop: Header=BB308_998 Depth=1
	v_bfe_u32 v38, v12, 16, 7
	v_mov_b32_e32 v35, 0x7c01
	s_mov_b32 s18, exec_lo
	v_cmpx_ne_u32_e32 0x7f, v38
	s_cbranch_execz .LBB308_1383
; %bb.1380:                             ;   in Loop: Header=BB308_998 Depth=1
	v_and_b32_e32 v35, 7, v0
	v_lshrrev_b32_e32 v37, 3, v38
	s_mov_b32 s20, exec_lo
	v_cmpx_gt_u32_e32 8, v38
; %bb.1381:                             ;   in Loop: Header=BB308_998 Depth=1
	v_ffbh_u32_e32 v23, v35
	v_min_u32_e32 v23, 32, v23
	v_subrev_nc_u32_e32 v35, 28, v23
	v_sub_nc_u32_e32 v37, 29, v23
	v_lshlrev_b64 v[48:49], v35, v[0:1]
	v_and_b32_e32 v35, 7, v48
; %bb.1382:                             ;   in Loop: Header=BB308_998 Depth=1
	s_or_b32 exec_lo, exec_lo, s20
	v_lshlrev_b32_e32 v0, 8, v0
	v_lshl_add_u32 v23, v37, 10, 0x2000
	v_lshlrev_b32_e32 v35, 7, v35
	v_and_b32_e32 v0, 0x8000, v0
	v_and_b32_e32 v23, 0xfc00, v23
	v_or3_b32 v35, v0, v23, v35
.LBB308_1383:                           ;   in Loop: Header=BB308_998 Depth=1
	s_or_b32 exec_lo, exec_lo, s18
.LBB308_1384:                           ;   in Loop: Header=BB308_998 Depth=1
	s_or_b32 exec_lo, exec_lo, s17
.LBB308_1385:                           ;   in Loop: Header=BB308_998 Depth=1
	s_or_b32 exec_lo, exec_lo, s16
	v_cmp_lt_u64_e64 s4, s[12:13], v[11:12]
	v_mov_b32_e32 v11, 0
	s_and_saveexec_b32 s16, s4
	s_cbranch_execz .LBB308_1393
; %bb.1386:                             ;   in Loop: Header=BB308_998 Depth=1
	v_lshrrev_b32_e32 v0, 24, v12
	v_bfrev_b32_e32 v11, 1
	s_mov_b32 s17, exec_lo
	v_cmpx_ne_u32_e32 0x80, v0
	s_cbranch_execz .LBB308_1392
; %bb.1387:                             ;   in Loop: Header=BB308_998 Depth=1
	v_and_b32_e32 v37, 0x7f, v0
	v_mov_b32_e32 v11, 0x7c010000
	s_mov_b32 s18, exec_lo
	v_cmpx_ne_u32_e32 0x7f, v37
	s_cbranch_execz .LBB308_1391
; %bb.1388:                             ;   in Loop: Header=BB308_998 Depth=1
	v_and_b32_e32 v11, 7, v0
	v_lshrrev_b32_e32 v12, 3, v37
	s_mov_b32 s20, exec_lo
	v_cmpx_gt_u32_e32 8, v37
; %bb.1389:                             ;   in Loop: Header=BB308_998 Depth=1
	v_ffbh_u32_e32 v11, v11
	v_min_u32_e32 v23, 32, v11
	v_subrev_nc_u32_e32 v11, 28, v23
	v_lshlrev_b64 v[11:12], v11, v[0:1]
	v_sub_nc_u32_e32 v12, 29, v23
	v_and_b32_e32 v11, 7, v11
; %bb.1390:                             ;   in Loop: Header=BB308_998 Depth=1
	s_or_b32 exec_lo, exec_lo, s20
	v_lshlrev_b32_e32 v0, 8, v0
	v_lshl_add_u32 v12, v12, 10, 0x2000
	v_lshlrev_b32_e32 v11, 23, v11
	v_and_or_b32 v0, 0x8000, v0, v12
	v_lshl_or_b32 v11, v0, 16, v11
.LBB308_1391:                           ;   in Loop: Header=BB308_998 Depth=1
	s_or_b32 exec_lo, exec_lo, s18
.LBB308_1392:                           ;   in Loop: Header=BB308_998 Depth=1
	s_or_b32 exec_lo, exec_lo, s17
.LBB308_1393:                           ;   in Loop: Header=BB308_998 Depth=1
	s_or_b32 exec_lo, exec_lo, s16
	v_or_b32_e32 v0, v16, v22
	s_waitcnt vmcnt(0) lgkmcnt(0)
	v_fma_mixlo_f16 v12, v4, v16, 0 op_sel:[0,1,0] op_sel_hi:[0,1,0]
	v_or_b32_e32 v6, v5, v6
	v_fma_mixlo_f16 v5, v4, v5, 0 op_sel:[0,1,0] op_sel_hi:[0,1,0]
	v_or_b32_e32 v16, v27, v26
	v_fma_mixlo_f16 v22, v4, v0, 0 op_sel_hi:[0,1,0]
	v_or_b32_e32 v23, v11, v35
	v_lshlrev_b32_e32 v0, 16, v12
	v_lshlrev_b32_e32 v12, 16, v5
	v_fma_mixlo_f16 v6, v4, v6, 0 op_sel_hi:[0,1,0]
	v_and_b32_e32 v5, 0xffff, v22
	v_fma_mixlo_f16 v22, v4, v27, 0 op_sel:[0,1,0] op_sel_hi:[0,1,0]
	v_fma_mixlo_f16 v16, v4, v16, 0 op_sel_hi:[0,1,0]
	v_fma_mixlo_f16 v11, v4, v11, 0 op_sel:[0,1,0] op_sel_hi:[0,1,0]
	v_fma_mixlo_f16 v23, v4, v23, 0 op_sel_hi:[0,1,0]
	v_and_b32_e32 v37, 0xffff, v6
	v_lshlrev_b32_e32 v6, 16, v22
	v_and_b32_e32 v22, 0xffff, v16
	v_lshlrev_b32_e32 v4, 16, v11
	v_and_b32_e32 v11, 0xffff, v23
	v_or_b32_e32 v16, v0, v5
	v_or_b32_e32 v35, v12, v37
	v_or_b32_e32 v27, v6, v22
	v_or_b32_e32 v26, v4, v11
	s_and_saveexec_b32 s16, vcc_lo
	s_cbranch_execz .LBB308_1395
; %bb.1394:                             ;   in Loop: Header=BB308_998 Depth=1
	v_cmp_lt_i32_e64 s4, v18, v36
	v_cndmask_b32_e64 v16, 0, v37, s4
	v_cmp_lt_i32_e64 s4, v99, v36
	v_cndmask_b32_e64 v12, 0, v12, s4
	v_cmp_lt_i32_e64 s4, v98, v36
	v_or_b32_e32 v35, v16, v12
	v_cndmask_b32_e64 v5, 0, v5, s4
	v_cmp_lt_i32_e64 s4, v97, v36
	v_cndmask_b32_e64 v0, 0, v0, s4
	v_cmp_lt_i32_e64 s4, v96, v36
	v_or_b32_e32 v16, v5, v0
	;; [unrolled: 5-line block ×3, first 2 shown]
	v_cndmask_b32_e64 v11, 0, v11, s4
	v_cmp_lt_i32_e64 s4, v85, v36
	v_cndmask_b32_e64 v4, 0, v4, s4
	v_or_b32_e32 v26, v11, v4
.LBB308_1395:                           ;   in Loop: Header=BB308_998 Depth=1
	s_or_b32 exec_lo, exec_lo, s16
	;;#ASMSTART
	v_pk_mul_f16 v0, v84, v35;

	;;#ASMEND
	;;#ASMSTART
	v_pk_mul_f16 v4, v83, v16;

	;;#ASMEND
	;; [unrolled: 4-line block ×4, first 2 shown]
	;;#ASMSTART
	v_pk_add_f16 v0, v0, v4;

	;;#ASMEND
	;;#ASMSTART
	v_pk_add_f16 v0, v0, v5;

	;;#ASMEND
	;; [unrolled: 4-line block ×3, first 2 shown]
	v_and_b32_e32 v4, 0xffff, v0
	v_lshrrev_b32_e32 v0, 16, v0
	;;#ASMSTART
	v_cvt_f32_f16 v116, v4;
	;;#ASMEND
	;;#ASMSTART
	v_cvt_f32_f16 v117, v0;
	;;#ASMEND
	flat_load_dwordx2 v[11:12], v[9:10] offset:1536
	s_clause 0x1
	buffer_load_dword v4, off, s[0:3], s32 offset:200
	buffer_load_dword v5, off, s[0:3], s32 offset:204
	v_mov_b32_e32 v6, 0
	s_waitcnt vmcnt(2) lgkmcnt(0)
	v_cmp_ne_u16_sdwa s4, v11, v1 src0_sel:BYTE_0 src1_sel:DWORD
	s_waitcnt vmcnt(0)
	flat_load_dword v4, v[4:5]
	v_mov_b32_e32 v5, 0
	s_and_saveexec_b32 s16, s4
	s_cbranch_execz .LBB308_1403
; %bb.1396:                             ;   in Loop: Header=BB308_998 Depth=1
	v_cmp_ne_u16_sdwa s4, v11, v17 src0_sel:BYTE_0 src1_sel:DWORD
	v_mov_b32_e32 v6, 0x8000
	s_and_saveexec_b32 s17, s4
	s_cbranch_execz .LBB308_1402
; %bb.1397:                             ;   in Loop: Header=BB308_998 Depth=1
	v_and_b32_e32 v16, 0x7f, v11
	v_mov_b32_e32 v6, 0x7c01
	s_mov_b32 s18, exec_lo
	v_cmpx_ne_u32_e32 0x7f, v16
	s_cbranch_execz .LBB308_1401
; %bb.1398:                             ;   in Loop: Header=BB308_998 Depth=1
	v_and_b32_e32 v0, 7, v11
	v_lshrrev_b32_e32 v6, 3, v16
	s_mov_b32 s20, exec_lo
	v_cmpx_gt_u32_e32 8, v16
; %bb.1399:                             ;   in Loop: Header=BB308_998 Depth=1
	v_ffbh_u32_e32 v0, v0
	v_min_u32_e32 v0, 32, v0
	v_subrev_nc_u32_e32 v6, 28, v0
	v_lshlrev_b64 v[22:23], v6, v[11:12]
	v_sub_nc_u32_e32 v6, 29, v0
	v_and_b32_e32 v0, 7, v22
; %bb.1400:                             ;   in Loop: Header=BB308_998 Depth=1
	s_or_b32 exec_lo, exec_lo, s20
	v_lshlrev_b32_e32 v16, 8, v11
	v_lshl_add_u32 v6, v6, 10, 0x2000
	v_lshlrev_b32_e32 v0, 7, v0
	v_and_b32_e32 v16, 0x8000, v16
	v_and_b32_e32 v6, 0xfc00, v6
	v_or3_b32 v6, v16, v6, v0
.LBB308_1401:                           ;   in Loop: Header=BB308_998 Depth=1
	s_or_b32 exec_lo, exec_lo, s18
.LBB308_1402:                           ;   in Loop: Header=BB308_998 Depth=1
	s_or_b32 exec_lo, exec_lo, s17
.LBB308_1403:                           ;   in Loop: Header=BB308_998 Depth=1
	s_or_b32 exec_lo, exec_lo, s16
	v_lshrrev_b16 v0, 8, v11
	s_mov_b32 s16, exec_lo
	v_cmpx_ne_u16_e32 0, v0
	s_cbranch_execz .LBB308_1411
; %bb.1404:                             ;   in Loop: Header=BB308_998 Depth=1
	v_bfrev_b32_e32 v5, 1
	s_mov_b32 s17, exec_lo
	v_cmpx_ne_u16_e32 0x80, v0
	s_cbranch_execz .LBB308_1410
; %bb.1405:                             ;   in Loop: Header=BB308_998 Depth=1
	v_and_b32_sdwa v22, v0, v53 dst_sel:DWORD dst_unused:UNUSED_PAD src0_sel:WORD_0 src1_sel:DWORD
	v_mov_b32_e32 v5, 0x7c010000
	s_mov_b32 s18, exec_lo
	v_cmpx_ne_u32_e32 0x7f, v22
	s_cbranch_execz .LBB308_1409
; %bb.1406:                             ;   in Loop: Header=BB308_998 Depth=1
	v_and_b32_sdwa v5, v0, v54 dst_sel:DWORD dst_unused:UNUSED_PAD src0_sel:WORD_0 src1_sel:DWORD
	v_lshrrev_b32_e32 v16, 3, v22
	s_mov_b32 s20, exec_lo
	v_cmpx_gt_u32_e32 8, v22
; %bb.1407:                             ;   in Loop: Header=BB308_998 Depth=1
	v_ffbh_u32_e32 v5, v5
	v_min_u32_e32 v5, 32, v5
	v_subrev_nc_u32_e32 v16, 28, v5
	v_lshlrev_b64 v[22:23], v16, v[0:1]
	v_sub_nc_u32_e32 v16, 29, v5
	v_and_b32_e32 v5, 7, v22
; %bb.1408:                             ;   in Loop: Header=BB308_998 Depth=1
	s_or_b32 exec_lo, exec_lo, s20
	v_lshlrev_b32_sdwa v0, v70, v0 dst_sel:DWORD dst_unused:UNUSED_PAD src0_sel:DWORD src1_sel:WORD_0
	v_lshl_add_u32 v16, v16, 10, 0x2000
	v_lshlrev_b32_e32 v5, 23, v5
	v_and_or_b32 v0, 0x8000, v0, v16
	v_lshl_or_b32 v5, v0, 16, v5
.LBB308_1409:                           ;   in Loop: Header=BB308_998 Depth=1
	s_or_b32 exec_lo, exec_lo, s18
.LBB308_1410:                           ;   in Loop: Header=BB308_998 Depth=1
	s_or_b32 exec_lo, exec_lo, s17
.LBB308_1411:                           ;   in Loop: Header=BB308_998 Depth=1
	s_or_b32 exec_lo, exec_lo, s16
	v_lshrrev_b32_e32 v0, 16, v11
	v_mov_b32_e32 v16, 0
	v_mov_b32_e32 v22, 0
	v_cmp_ne_u16_sdwa s4, v0, v1 src0_sel:BYTE_0 src1_sel:DWORD
	s_and_saveexec_b32 s16, s4
	s_cbranch_execz .LBB308_1419
; %bb.1412:                             ;   in Loop: Header=BB308_998 Depth=1
	v_cmp_ne_u16_sdwa s4, v0, v17 src0_sel:BYTE_0 src1_sel:DWORD
	v_mov_b32_e32 v22, 0x8000
	s_and_saveexec_b32 s17, s4
	s_cbranch_execz .LBB308_1418
; %bb.1413:                             ;   in Loop: Header=BB308_998 Depth=1
	v_bfe_u32 v27, v11, 16, 7
	v_mov_b32_e32 v22, 0x7c01
	s_mov_b32 s18, exec_lo
	v_cmpx_ne_u32_e32 0x7f, v27
	s_cbranch_execz .LBB308_1417
; %bb.1414:                             ;   in Loop: Header=BB308_998 Depth=1
	v_and_b32_e32 v22, 7, v0
	v_lshrrev_b32_e32 v26, 3, v27
	s_mov_b32 s20, exec_lo
	v_cmpx_gt_u32_e32 8, v27
; %bb.1415:                             ;   in Loop: Header=BB308_998 Depth=1
	v_ffbh_u32_e32 v22, v22
	v_min_u32_e32 v26, 32, v22
	v_subrev_nc_u32_e32 v22, 28, v26
	v_sub_nc_u32_e32 v26, 29, v26
	v_lshlrev_b64 v[22:23], v22, v[0:1]
	v_and_b32_e32 v22, 7, v22
; %bb.1416:                             ;   in Loop: Header=BB308_998 Depth=1
	s_or_b32 exec_lo, exec_lo, s20
	v_lshlrev_b32_e32 v0, 8, v0
	v_lshl_add_u32 v23, v26, 10, 0x2000
	v_lshlrev_b32_e32 v22, 7, v22
	v_and_b32_e32 v0, 0x8000, v0
	v_and_b32_e32 v23, 0xfc00, v23
	v_or3_b32 v22, v0, v23, v22
.LBB308_1417:                           ;   in Loop: Header=BB308_998 Depth=1
	s_or_b32 exec_lo, exec_lo, s18
.LBB308_1418:                           ;   in Loop: Header=BB308_998 Depth=1
	s_or_b32 exec_lo, exec_lo, s17
.LBB308_1419:                           ;   in Loop: Header=BB308_998 Depth=1
	s_or_b32 exec_lo, exec_lo, s16
	s_mov_b32 s16, exec_lo
	v_cmpx_lt_u32_e32 0xffffff, v11
	s_cbranch_execz .LBB308_1427
; %bb.1420:                             ;   in Loop: Header=BB308_998 Depth=1
	v_lshrrev_b32_e32 v0, 24, v11
	v_bfrev_b32_e32 v16, 1
	s_mov_b32 s17, exec_lo
	v_cmpx_ne_u32_e32 0x80, v0
	s_cbranch_execz .LBB308_1426
; %bb.1421:                             ;   in Loop: Header=BB308_998 Depth=1
	v_and_b32_e32 v27, 0x7f, v0
	v_mov_b32_e32 v16, 0x7c010000
	s_mov_b32 s18, exec_lo
	v_cmpx_ne_u32_e32 0x7f, v27
	s_cbranch_execz .LBB308_1425
; %bb.1422:                             ;   in Loop: Header=BB308_998 Depth=1
	v_and_b32_e32 v16, 7, v0
	v_lshrrev_b32_e32 v26, 3, v27
	s_mov_b32 s20, exec_lo
	v_cmpx_gt_u32_e32 8, v27
; %bb.1423:                             ;   in Loop: Header=BB308_998 Depth=1
	v_ffbh_u32_e32 v16, v16
	v_min_u32_e32 v16, 32, v16
	v_subrev_nc_u32_e32 v23, 28, v16
	v_sub_nc_u32_e32 v26, 29, v16
	v_lshlrev_b64 v[37:38], v23, v[0:1]
	v_and_b32_e32 v16, 7, v37
; %bb.1424:                             ;   in Loop: Header=BB308_998 Depth=1
	s_or_b32 exec_lo, exec_lo, s20
	v_lshlrev_b32_e32 v0, 8, v0
	v_lshl_add_u32 v23, v26, 10, 0x2000
	v_lshlrev_b32_e32 v16, 23, v16
	v_and_or_b32 v0, 0x8000, v0, v23
	v_lshl_or_b32 v16, v0, 16, v16
.LBB308_1425:                           ;   in Loop: Header=BB308_998 Depth=1
	s_or_b32 exec_lo, exec_lo, s18
.LBB308_1426:                           ;   in Loop: Header=BB308_998 Depth=1
	s_or_b32 exec_lo, exec_lo, s17
.LBB308_1427:                           ;   in Loop: Header=BB308_998 Depth=1
	s_or_b32 exec_lo, exec_lo, s16
	v_mov_b32_e32 v0, v12
	v_cmp_ne_u16_sdwa s4, v12, v1 src0_sel:BYTE_0 src1_sel:DWORD
	v_mov_b32_e32 v35, 0
	v_mov_b32_e32 v26, 0
	s_and_saveexec_b32 s16, s4
	s_cbranch_execz .LBB308_1435
; %bb.1428:                             ;   in Loop: Header=BB308_998 Depth=1
	v_cmp_ne_u16_sdwa s4, v12, v17 src0_sel:BYTE_0 src1_sel:DWORD
	v_mov_b32_e32 v26, 0x8000
	s_and_saveexec_b32 s17, s4
	s_cbranch_execz .LBB308_1434
; %bb.1429:                             ;   in Loop: Header=BB308_998 Depth=1
	v_and_b32_e32 v37, 0x7f, v12
	v_mov_b32_e32 v26, 0x7c01
	s_mov_b32 s18, exec_lo
	v_cmpx_ne_u32_e32 0x7f, v37
	s_cbranch_execz .LBB308_1433
; %bb.1430:                             ;   in Loop: Header=BB308_998 Depth=1
	v_and_b32_e32 v26, 7, v12
	v_lshrrev_b32_e32 v27, 3, v37
	s_mov_b32 s20, exec_lo
	v_cmpx_gt_u32_e32 8, v37
; %bb.1431:                             ;   in Loop: Header=BB308_998 Depth=1
	v_ffbh_u32_e32 v23, v26
	v_min_u32_e32 v23, 32, v23
	v_subrev_nc_u32_e32 v26, 28, v23
	v_lshlrev_b64 v[26:27], v26, v[0:1]
	v_sub_nc_u32_e32 v27, 29, v23
	v_and_b32_e32 v26, 7, v26
; %bb.1432:                             ;   in Loop: Header=BB308_998 Depth=1
	s_or_b32 exec_lo, exec_lo, s20
	v_lshlrev_b32_e32 v23, 8, v12
	v_lshl_add_u32 v27, v27, 10, 0x2000
	v_lshlrev_b32_e32 v26, 7, v26
	v_and_b32_e32 v23, 0x8000, v23
	v_and_b32_e32 v27, 0xfc00, v27
	v_or3_b32 v26, v23, v27, v26
.LBB308_1433:                           ;   in Loop: Header=BB308_998 Depth=1
	s_or_b32 exec_lo, exec_lo, s18
.LBB308_1434:                           ;   in Loop: Header=BB308_998 Depth=1
	s_or_b32 exec_lo, exec_lo, s17
.LBB308_1435:                           ;   in Loop: Header=BB308_998 Depth=1
	s_or_b32 exec_lo, exec_lo, s16
	v_lshrrev_b16 v0, 8, v0
	v_mov_b32_e32 v27, 0
	s_mov_b32 s16, exec_lo
	v_cmpx_ne_u16_e32 0, v0
	s_cbranch_execz .LBB308_1443
; %bb.1436:                             ;   in Loop: Header=BB308_998 Depth=1
	v_bfrev_b32_e32 v27, 1
	s_mov_b32 s17, exec_lo
	v_cmpx_ne_u16_e32 0x80, v0
	s_cbranch_execz .LBB308_1442
; %bb.1437:                             ;   in Loop: Header=BB308_998 Depth=1
	v_and_b32_sdwa v38, v0, v53 dst_sel:DWORD dst_unused:UNUSED_PAD src0_sel:WORD_0 src1_sel:DWORD
	v_mov_b32_e32 v27, 0x7c010000
	s_mov_b32 s18, exec_lo
	v_cmpx_ne_u32_e32 0x7f, v38
	s_cbranch_execz .LBB308_1441
; %bb.1438:                             ;   in Loop: Header=BB308_998 Depth=1
	v_and_b32_sdwa v27, v0, v54 dst_sel:DWORD dst_unused:UNUSED_PAD src0_sel:WORD_0 src1_sel:DWORD
	v_lshrrev_b32_e32 v37, 3, v38
	s_mov_b32 s20, exec_lo
	v_cmpx_gt_u32_e32 8, v38
; %bb.1439:                             ;   in Loop: Header=BB308_998 Depth=1
	v_ffbh_u32_e32 v23, v27
	v_min_u32_e32 v23, 32, v23
	v_subrev_nc_u32_e32 v27, 28, v23
	v_sub_nc_u32_e32 v37, 29, v23
	v_lshlrev_b64 v[48:49], v27, v[0:1]
	v_and_b32_e32 v27, 7, v48
; %bb.1440:                             ;   in Loop: Header=BB308_998 Depth=1
	s_or_b32 exec_lo, exec_lo, s20
	v_lshlrev_b32_sdwa v0, v70, v0 dst_sel:DWORD dst_unused:UNUSED_PAD src0_sel:DWORD src1_sel:WORD_0
	v_lshl_add_u32 v23, v37, 10, 0x2000
	v_and_or_b32 v0, 0x8000, v0, v23
	v_lshlrev_b32_e32 v23, 23, v27
	v_lshl_or_b32 v27, v0, 16, v23
.LBB308_1441:                           ;   in Loop: Header=BB308_998 Depth=1
	s_or_b32 exec_lo, exec_lo, s18
.LBB308_1442:                           ;   in Loop: Header=BB308_998 Depth=1
	s_or_b32 exec_lo, exec_lo, s17
.LBB308_1443:                           ;   in Loop: Header=BB308_998 Depth=1
	s_or_b32 exec_lo, exec_lo, s16
	v_lshrrev_b32_e32 v0, 16, v12
	v_cmp_ne_u16_sdwa s4, v0, v1 src0_sel:BYTE_0 src1_sel:DWORD
	s_and_saveexec_b32 s16, s4
	s_cbranch_execz .LBB308_1451
; %bb.1444:                             ;   in Loop: Header=BB308_998 Depth=1
	v_cmp_ne_u16_sdwa s4, v0, v17 src0_sel:BYTE_0 src1_sel:DWORD
	v_mov_b32_e32 v35, 0x8000
	s_and_saveexec_b32 s17, s4
	s_cbranch_execz .LBB308_1450
; %bb.1445:                             ;   in Loop: Header=BB308_998 Depth=1
	v_bfe_u32 v38, v12, 16, 7
	v_mov_b32_e32 v35, 0x7c01
	s_mov_b32 s18, exec_lo
	v_cmpx_ne_u32_e32 0x7f, v38
	s_cbranch_execz .LBB308_1449
; %bb.1446:                             ;   in Loop: Header=BB308_998 Depth=1
	v_and_b32_e32 v35, 7, v0
	v_lshrrev_b32_e32 v37, 3, v38
	s_mov_b32 s20, exec_lo
	v_cmpx_gt_u32_e32 8, v38
; %bb.1447:                             ;   in Loop: Header=BB308_998 Depth=1
	v_ffbh_u32_e32 v23, v35
	v_min_u32_e32 v23, 32, v23
	v_subrev_nc_u32_e32 v35, 28, v23
	v_sub_nc_u32_e32 v37, 29, v23
	v_lshlrev_b64 v[48:49], v35, v[0:1]
	v_and_b32_e32 v35, 7, v48
; %bb.1448:                             ;   in Loop: Header=BB308_998 Depth=1
	s_or_b32 exec_lo, exec_lo, s20
	v_lshlrev_b32_e32 v0, 8, v0
	v_lshl_add_u32 v23, v37, 10, 0x2000
	v_lshlrev_b32_e32 v35, 7, v35
	v_and_b32_e32 v0, 0x8000, v0
	v_and_b32_e32 v23, 0xfc00, v23
	v_or3_b32 v35, v0, v23, v35
.LBB308_1449:                           ;   in Loop: Header=BB308_998 Depth=1
	s_or_b32 exec_lo, exec_lo, s18
.LBB308_1450:                           ;   in Loop: Header=BB308_998 Depth=1
	s_or_b32 exec_lo, exec_lo, s17
.LBB308_1451:                           ;   in Loop: Header=BB308_998 Depth=1
	s_or_b32 exec_lo, exec_lo, s16
	v_cmp_lt_u64_e64 s4, s[12:13], v[11:12]
	v_mov_b32_e32 v11, 0
	s_and_saveexec_b32 s16, s4
	s_cbranch_execz .LBB308_1459
; %bb.1452:                             ;   in Loop: Header=BB308_998 Depth=1
	v_lshrrev_b32_e32 v0, 24, v12
	v_bfrev_b32_e32 v11, 1
	s_mov_b32 s17, exec_lo
	v_cmpx_ne_u32_e32 0x80, v0
	s_cbranch_execz .LBB308_1458
; %bb.1453:                             ;   in Loop: Header=BB308_998 Depth=1
	v_and_b32_e32 v37, 0x7f, v0
	v_mov_b32_e32 v11, 0x7c010000
	s_mov_b32 s18, exec_lo
	v_cmpx_ne_u32_e32 0x7f, v37
	s_cbranch_execz .LBB308_1457
; %bb.1454:                             ;   in Loop: Header=BB308_998 Depth=1
	v_and_b32_e32 v11, 7, v0
	v_lshrrev_b32_e32 v12, 3, v37
	s_mov_b32 s20, exec_lo
	v_cmpx_gt_u32_e32 8, v37
; %bb.1455:                             ;   in Loop: Header=BB308_998 Depth=1
	v_ffbh_u32_e32 v11, v11
	v_min_u32_e32 v23, 32, v11
	v_subrev_nc_u32_e32 v11, 28, v23
	v_lshlrev_b64 v[11:12], v11, v[0:1]
	v_sub_nc_u32_e32 v12, 29, v23
	v_and_b32_e32 v11, 7, v11
; %bb.1456:                             ;   in Loop: Header=BB308_998 Depth=1
	s_or_b32 exec_lo, exec_lo, s20
	v_lshlrev_b32_e32 v0, 8, v0
	v_lshl_add_u32 v12, v12, 10, 0x2000
	v_lshlrev_b32_e32 v11, 23, v11
	v_and_or_b32 v0, 0x8000, v0, v12
	v_lshl_or_b32 v11, v0, 16, v11
.LBB308_1457:                           ;   in Loop: Header=BB308_998 Depth=1
	s_or_b32 exec_lo, exec_lo, s18
.LBB308_1458:                           ;   in Loop: Header=BB308_998 Depth=1
	s_or_b32 exec_lo, exec_lo, s17
.LBB308_1459:                           ;   in Loop: Header=BB308_998 Depth=1
	s_or_b32 exec_lo, exec_lo, s16
	v_or_b32_e32 v0, v16, v22
	s_waitcnt vmcnt(0) lgkmcnt(0)
	v_fma_mixlo_f16 v12, v4, v16, 0 op_sel:[0,1,0] op_sel_hi:[0,1,0]
	v_or_b32_e32 v6, v5, v6
	v_fma_mixlo_f16 v5, v4, v5, 0 op_sel:[0,1,0] op_sel_hi:[0,1,0]
	v_or_b32_e32 v16, v27, v26
	v_fma_mixlo_f16 v22, v4, v0, 0 op_sel_hi:[0,1,0]
	v_or_b32_e32 v23, v11, v35
	v_lshlrev_b32_e32 v0, 16, v12
	v_lshlrev_b32_e32 v12, 16, v5
	v_fma_mixlo_f16 v6, v4, v6, 0 op_sel_hi:[0,1,0]
	v_and_b32_e32 v5, 0xffff, v22
	v_fma_mixlo_f16 v22, v4, v27, 0 op_sel:[0,1,0] op_sel_hi:[0,1,0]
	v_fma_mixlo_f16 v16, v4, v16, 0 op_sel_hi:[0,1,0]
	v_fma_mixlo_f16 v11, v4, v11, 0 op_sel:[0,1,0] op_sel_hi:[0,1,0]
	v_fma_mixlo_f16 v23, v4, v23, 0 op_sel_hi:[0,1,0]
	v_and_b32_e32 v37, 0xffff, v6
	v_lshlrev_b32_e32 v6, 16, v22
	v_and_b32_e32 v22, 0xffff, v16
	v_lshlrev_b32_e32 v4, 16, v11
	v_and_b32_e32 v11, 0xffff, v23
	v_or_b32_e32 v16, v0, v5
	v_or_b32_e32 v35, v12, v37
	;; [unrolled: 1-line block ×4, first 2 shown]
	s_and_saveexec_b32 s16, vcc_lo
	s_cbranch_execz .LBB308_1461
; %bb.1460:                             ;   in Loop: Header=BB308_998 Depth=1
	v_cmp_lt_i32_e64 s4, v18, v36
	v_cndmask_b32_e64 v16, 0, v37, s4
	v_cmp_lt_i32_e64 s4, v99, v36
	v_cndmask_b32_e64 v12, 0, v12, s4
	v_cmp_lt_i32_e64 s4, v98, v36
	v_or_b32_e32 v35, v16, v12
	v_cndmask_b32_e64 v5, 0, v5, s4
	v_cmp_lt_i32_e64 s4, v97, v36
	v_cndmask_b32_e64 v0, 0, v0, s4
	v_cmp_lt_i32_e64 s4, v96, v36
	v_or_b32_e32 v16, v5, v0
	;; [unrolled: 5-line block ×3, first 2 shown]
	v_cndmask_b32_e64 v11, 0, v11, s4
	v_cmp_lt_i32_e64 s4, v85, v36
	v_cndmask_b32_e64 v4, 0, v4, s4
	v_or_b32_e32 v26, v11, v4
.LBB308_1461:                           ;   in Loop: Header=BB308_998 Depth=1
	s_or_b32 exec_lo, exec_lo, s16
	;;#ASMSTART
	v_pk_mul_f16 v0, v84, v35;

	;;#ASMEND
	;;#ASMSTART
	v_pk_mul_f16 v4, v83, v16;

	;;#ASMEND
	;; [unrolled: 4-line block ×4, first 2 shown]
	;;#ASMSTART
	v_pk_add_f16 v0, v0, v4;

	;;#ASMEND
	;;#ASMSTART
	v_pk_add_f16 v0, v0, v5;

	;;#ASMEND
	;; [unrolled: 4-line block ×3, first 2 shown]
	v_and_b32_e32 v4, 0xffff, v0
	v_lshrrev_b32_e32 v0, 16, v0
	;;#ASMSTART
	v_cvt_f32_f16 v118, v4;
	;;#ASMEND
	;;#ASMSTART
	v_cvt_f32_f16 v119, v0;
	;;#ASMEND
	flat_load_dwordx2 v[11:12], v[9:10] offset:1792
	s_clause 0x1
	buffer_load_dword v4, off, s[0:3], s32 offset:200
	buffer_load_dword v5, off, s[0:3], s32 offset:204
	v_mov_b32_e32 v6, 0
	s_waitcnt vmcnt(2) lgkmcnt(0)
	v_cmp_ne_u16_sdwa s4, v11, v1 src0_sel:BYTE_0 src1_sel:DWORD
	s_waitcnt vmcnt(0)
	flat_load_dword v4, v[4:5]
	v_mov_b32_e32 v5, 0
	s_and_saveexec_b32 s16, s4
	s_cbranch_execz .LBB308_1469
; %bb.1462:                             ;   in Loop: Header=BB308_998 Depth=1
	v_cmp_ne_u16_sdwa s4, v11, v17 src0_sel:BYTE_0 src1_sel:DWORD
	v_mov_b32_e32 v6, 0x8000
	s_and_saveexec_b32 s17, s4
	s_cbranch_execz .LBB308_1468
; %bb.1463:                             ;   in Loop: Header=BB308_998 Depth=1
	v_and_b32_e32 v16, 0x7f, v11
	v_mov_b32_e32 v6, 0x7c01
	s_mov_b32 s18, exec_lo
	v_cmpx_ne_u32_e32 0x7f, v16
	s_cbranch_execz .LBB308_1467
; %bb.1464:                             ;   in Loop: Header=BB308_998 Depth=1
	v_and_b32_e32 v0, 7, v11
	v_lshrrev_b32_e32 v6, 3, v16
	s_mov_b32 s20, exec_lo
	v_cmpx_gt_u32_e32 8, v16
; %bb.1465:                             ;   in Loop: Header=BB308_998 Depth=1
	v_ffbh_u32_e32 v0, v0
	v_min_u32_e32 v0, 32, v0
	v_subrev_nc_u32_e32 v6, 28, v0
	v_lshlrev_b64 v[22:23], v6, v[11:12]
	v_sub_nc_u32_e32 v6, 29, v0
	v_and_b32_e32 v0, 7, v22
; %bb.1466:                             ;   in Loop: Header=BB308_998 Depth=1
	s_or_b32 exec_lo, exec_lo, s20
	v_lshlrev_b32_e32 v16, 8, v11
	v_lshl_add_u32 v6, v6, 10, 0x2000
	v_lshlrev_b32_e32 v0, 7, v0
	v_and_b32_e32 v16, 0x8000, v16
	v_and_b32_e32 v6, 0xfc00, v6
	v_or3_b32 v6, v16, v6, v0
.LBB308_1467:                           ;   in Loop: Header=BB308_998 Depth=1
	s_or_b32 exec_lo, exec_lo, s18
.LBB308_1468:                           ;   in Loop: Header=BB308_998 Depth=1
	s_or_b32 exec_lo, exec_lo, s17
.LBB308_1469:                           ;   in Loop: Header=BB308_998 Depth=1
	s_or_b32 exec_lo, exec_lo, s16
	v_lshrrev_b16 v0, 8, v11
	s_mov_b32 s16, exec_lo
	v_cmpx_ne_u16_e32 0, v0
	s_cbranch_execz .LBB308_1477
; %bb.1470:                             ;   in Loop: Header=BB308_998 Depth=1
	v_bfrev_b32_e32 v5, 1
	s_mov_b32 s17, exec_lo
	v_cmpx_ne_u16_e32 0x80, v0
	s_cbranch_execz .LBB308_1476
; %bb.1471:                             ;   in Loop: Header=BB308_998 Depth=1
	v_and_b32_sdwa v22, v0, v53 dst_sel:DWORD dst_unused:UNUSED_PAD src0_sel:WORD_0 src1_sel:DWORD
	v_mov_b32_e32 v5, 0x7c010000
	s_mov_b32 s18, exec_lo
	v_cmpx_ne_u32_e32 0x7f, v22
	s_cbranch_execz .LBB308_1475
; %bb.1472:                             ;   in Loop: Header=BB308_998 Depth=1
	v_and_b32_sdwa v5, v0, v54 dst_sel:DWORD dst_unused:UNUSED_PAD src0_sel:WORD_0 src1_sel:DWORD
	v_lshrrev_b32_e32 v16, 3, v22
	s_mov_b32 s20, exec_lo
	v_cmpx_gt_u32_e32 8, v22
; %bb.1473:                             ;   in Loop: Header=BB308_998 Depth=1
	v_ffbh_u32_e32 v5, v5
	v_min_u32_e32 v5, 32, v5
	v_subrev_nc_u32_e32 v16, 28, v5
	v_lshlrev_b64 v[22:23], v16, v[0:1]
	v_sub_nc_u32_e32 v16, 29, v5
	v_and_b32_e32 v5, 7, v22
; %bb.1474:                             ;   in Loop: Header=BB308_998 Depth=1
	s_or_b32 exec_lo, exec_lo, s20
	v_lshlrev_b32_sdwa v0, v70, v0 dst_sel:DWORD dst_unused:UNUSED_PAD src0_sel:DWORD src1_sel:WORD_0
	v_lshl_add_u32 v16, v16, 10, 0x2000
	v_lshlrev_b32_e32 v5, 23, v5
	v_and_or_b32 v0, 0x8000, v0, v16
	v_lshl_or_b32 v5, v0, 16, v5
.LBB308_1475:                           ;   in Loop: Header=BB308_998 Depth=1
	s_or_b32 exec_lo, exec_lo, s18
.LBB308_1476:                           ;   in Loop: Header=BB308_998 Depth=1
	s_or_b32 exec_lo, exec_lo, s17
.LBB308_1477:                           ;   in Loop: Header=BB308_998 Depth=1
	s_or_b32 exec_lo, exec_lo, s16
	v_lshrrev_b32_e32 v0, 16, v11
	v_mov_b32_e32 v16, 0
	v_mov_b32_e32 v22, 0
	v_cmp_ne_u16_sdwa s4, v0, v1 src0_sel:BYTE_0 src1_sel:DWORD
	s_and_saveexec_b32 s16, s4
	s_cbranch_execz .LBB308_1485
; %bb.1478:                             ;   in Loop: Header=BB308_998 Depth=1
	v_cmp_ne_u16_sdwa s4, v0, v17 src0_sel:BYTE_0 src1_sel:DWORD
	v_mov_b32_e32 v22, 0x8000
	s_and_saveexec_b32 s17, s4
	s_cbranch_execz .LBB308_1484
; %bb.1479:                             ;   in Loop: Header=BB308_998 Depth=1
	v_bfe_u32 v27, v11, 16, 7
	v_mov_b32_e32 v22, 0x7c01
	s_mov_b32 s18, exec_lo
	v_cmpx_ne_u32_e32 0x7f, v27
	s_cbranch_execz .LBB308_1483
; %bb.1480:                             ;   in Loop: Header=BB308_998 Depth=1
	v_and_b32_e32 v22, 7, v0
	v_lshrrev_b32_e32 v26, 3, v27
	s_mov_b32 s20, exec_lo
	v_cmpx_gt_u32_e32 8, v27
; %bb.1481:                             ;   in Loop: Header=BB308_998 Depth=1
	v_ffbh_u32_e32 v22, v22
	v_min_u32_e32 v26, 32, v22
	v_subrev_nc_u32_e32 v22, 28, v26
	v_sub_nc_u32_e32 v26, 29, v26
	v_lshlrev_b64 v[22:23], v22, v[0:1]
	v_and_b32_e32 v22, 7, v22
; %bb.1482:                             ;   in Loop: Header=BB308_998 Depth=1
	s_or_b32 exec_lo, exec_lo, s20
	v_lshlrev_b32_e32 v0, 8, v0
	v_lshl_add_u32 v23, v26, 10, 0x2000
	v_lshlrev_b32_e32 v22, 7, v22
	v_and_b32_e32 v0, 0x8000, v0
	v_and_b32_e32 v23, 0xfc00, v23
	v_or3_b32 v22, v0, v23, v22
.LBB308_1483:                           ;   in Loop: Header=BB308_998 Depth=1
	s_or_b32 exec_lo, exec_lo, s18
.LBB308_1484:                           ;   in Loop: Header=BB308_998 Depth=1
	s_or_b32 exec_lo, exec_lo, s17
.LBB308_1485:                           ;   in Loop: Header=BB308_998 Depth=1
	s_or_b32 exec_lo, exec_lo, s16
	s_mov_b32 s16, exec_lo
	v_cmpx_lt_u32_e32 0xffffff, v11
	s_cbranch_execz .LBB308_1493
; %bb.1486:                             ;   in Loop: Header=BB308_998 Depth=1
	v_lshrrev_b32_e32 v0, 24, v11
	v_bfrev_b32_e32 v16, 1
	s_mov_b32 s17, exec_lo
	v_cmpx_ne_u32_e32 0x80, v0
	s_cbranch_execz .LBB308_1492
; %bb.1487:                             ;   in Loop: Header=BB308_998 Depth=1
	v_and_b32_e32 v27, 0x7f, v0
	v_mov_b32_e32 v16, 0x7c010000
	s_mov_b32 s18, exec_lo
	v_cmpx_ne_u32_e32 0x7f, v27
	s_cbranch_execz .LBB308_1491
; %bb.1488:                             ;   in Loop: Header=BB308_998 Depth=1
	v_and_b32_e32 v16, 7, v0
	v_lshrrev_b32_e32 v26, 3, v27
	s_mov_b32 s20, exec_lo
	v_cmpx_gt_u32_e32 8, v27
; %bb.1489:                             ;   in Loop: Header=BB308_998 Depth=1
	v_ffbh_u32_e32 v16, v16
	v_min_u32_e32 v16, 32, v16
	v_subrev_nc_u32_e32 v23, 28, v16
	v_sub_nc_u32_e32 v26, 29, v16
	v_lshlrev_b64 v[37:38], v23, v[0:1]
	v_and_b32_e32 v16, 7, v37
; %bb.1490:                             ;   in Loop: Header=BB308_998 Depth=1
	s_or_b32 exec_lo, exec_lo, s20
	v_lshlrev_b32_e32 v0, 8, v0
	v_lshl_add_u32 v23, v26, 10, 0x2000
	v_lshlrev_b32_e32 v16, 23, v16
	v_and_or_b32 v0, 0x8000, v0, v23
	v_lshl_or_b32 v16, v0, 16, v16
.LBB308_1491:                           ;   in Loop: Header=BB308_998 Depth=1
	s_or_b32 exec_lo, exec_lo, s18
.LBB308_1492:                           ;   in Loop: Header=BB308_998 Depth=1
	s_or_b32 exec_lo, exec_lo, s17
.LBB308_1493:                           ;   in Loop: Header=BB308_998 Depth=1
	s_or_b32 exec_lo, exec_lo, s16
	v_mov_b32_e32 v0, v12
	v_cmp_ne_u16_sdwa s4, v12, v1 src0_sel:BYTE_0 src1_sel:DWORD
	v_mov_b32_e32 v35, 0
	v_mov_b32_e32 v26, 0
	s_and_saveexec_b32 s16, s4
	s_cbranch_execz .LBB308_1501
; %bb.1494:                             ;   in Loop: Header=BB308_998 Depth=1
	v_cmp_ne_u16_sdwa s4, v12, v17 src0_sel:BYTE_0 src1_sel:DWORD
	v_mov_b32_e32 v26, 0x8000
	s_and_saveexec_b32 s17, s4
	s_cbranch_execz .LBB308_1500
; %bb.1495:                             ;   in Loop: Header=BB308_998 Depth=1
	v_and_b32_e32 v37, 0x7f, v12
	v_mov_b32_e32 v26, 0x7c01
	s_mov_b32 s18, exec_lo
	v_cmpx_ne_u32_e32 0x7f, v37
	s_cbranch_execz .LBB308_1499
; %bb.1496:                             ;   in Loop: Header=BB308_998 Depth=1
	v_and_b32_e32 v26, 7, v12
	v_lshrrev_b32_e32 v27, 3, v37
	s_mov_b32 s20, exec_lo
	v_cmpx_gt_u32_e32 8, v37
; %bb.1497:                             ;   in Loop: Header=BB308_998 Depth=1
	v_ffbh_u32_e32 v23, v26
	v_min_u32_e32 v23, 32, v23
	v_subrev_nc_u32_e32 v26, 28, v23
	v_lshlrev_b64 v[26:27], v26, v[0:1]
	v_sub_nc_u32_e32 v27, 29, v23
	v_and_b32_e32 v26, 7, v26
; %bb.1498:                             ;   in Loop: Header=BB308_998 Depth=1
	s_or_b32 exec_lo, exec_lo, s20
	v_lshlrev_b32_e32 v23, 8, v12
	v_lshl_add_u32 v27, v27, 10, 0x2000
	v_lshlrev_b32_e32 v26, 7, v26
	v_and_b32_e32 v23, 0x8000, v23
	v_and_b32_e32 v27, 0xfc00, v27
	v_or3_b32 v26, v23, v27, v26
.LBB308_1499:                           ;   in Loop: Header=BB308_998 Depth=1
	s_or_b32 exec_lo, exec_lo, s18
.LBB308_1500:                           ;   in Loop: Header=BB308_998 Depth=1
	s_or_b32 exec_lo, exec_lo, s17
.LBB308_1501:                           ;   in Loop: Header=BB308_998 Depth=1
	s_or_b32 exec_lo, exec_lo, s16
	v_lshrrev_b16 v0, 8, v0
	v_mov_b32_e32 v27, 0
	s_mov_b32 s16, exec_lo
	v_cmpx_ne_u16_e32 0, v0
	s_cbranch_execz .LBB308_1509
; %bb.1502:                             ;   in Loop: Header=BB308_998 Depth=1
	v_bfrev_b32_e32 v27, 1
	s_mov_b32 s17, exec_lo
	v_cmpx_ne_u16_e32 0x80, v0
	s_cbranch_execz .LBB308_1508
; %bb.1503:                             ;   in Loop: Header=BB308_998 Depth=1
	v_and_b32_sdwa v38, v0, v53 dst_sel:DWORD dst_unused:UNUSED_PAD src0_sel:WORD_0 src1_sel:DWORD
	v_mov_b32_e32 v27, 0x7c010000
	s_mov_b32 s18, exec_lo
	v_cmpx_ne_u32_e32 0x7f, v38
	s_cbranch_execz .LBB308_1507
; %bb.1504:                             ;   in Loop: Header=BB308_998 Depth=1
	v_and_b32_sdwa v27, v0, v54 dst_sel:DWORD dst_unused:UNUSED_PAD src0_sel:WORD_0 src1_sel:DWORD
	v_lshrrev_b32_e32 v37, 3, v38
	s_mov_b32 s20, exec_lo
	v_cmpx_gt_u32_e32 8, v38
; %bb.1505:                             ;   in Loop: Header=BB308_998 Depth=1
	v_ffbh_u32_e32 v23, v27
	v_min_u32_e32 v23, 32, v23
	v_subrev_nc_u32_e32 v27, 28, v23
	v_sub_nc_u32_e32 v37, 29, v23
	v_lshlrev_b64 v[48:49], v27, v[0:1]
	v_and_b32_e32 v27, 7, v48
; %bb.1506:                             ;   in Loop: Header=BB308_998 Depth=1
	s_or_b32 exec_lo, exec_lo, s20
	v_lshlrev_b32_sdwa v0, v70, v0 dst_sel:DWORD dst_unused:UNUSED_PAD src0_sel:DWORD src1_sel:WORD_0
	v_lshl_add_u32 v23, v37, 10, 0x2000
	v_and_or_b32 v0, 0x8000, v0, v23
	v_lshlrev_b32_e32 v23, 23, v27
	v_lshl_or_b32 v27, v0, 16, v23
.LBB308_1507:                           ;   in Loop: Header=BB308_998 Depth=1
	s_or_b32 exec_lo, exec_lo, s18
.LBB308_1508:                           ;   in Loop: Header=BB308_998 Depth=1
	s_or_b32 exec_lo, exec_lo, s17
.LBB308_1509:                           ;   in Loop: Header=BB308_998 Depth=1
	s_or_b32 exec_lo, exec_lo, s16
	v_lshrrev_b32_e32 v0, 16, v12
	v_cmp_ne_u16_sdwa s4, v0, v1 src0_sel:BYTE_0 src1_sel:DWORD
	s_and_saveexec_b32 s16, s4
	s_cbranch_execz .LBB308_1517
; %bb.1510:                             ;   in Loop: Header=BB308_998 Depth=1
	v_cmp_ne_u16_sdwa s4, v0, v17 src0_sel:BYTE_0 src1_sel:DWORD
	v_mov_b32_e32 v35, 0x8000
	s_and_saveexec_b32 s17, s4
	s_cbranch_execz .LBB308_1516
; %bb.1511:                             ;   in Loop: Header=BB308_998 Depth=1
	v_bfe_u32 v38, v12, 16, 7
	v_mov_b32_e32 v35, 0x7c01
	s_mov_b32 s18, exec_lo
	v_cmpx_ne_u32_e32 0x7f, v38
	s_cbranch_execz .LBB308_1515
; %bb.1512:                             ;   in Loop: Header=BB308_998 Depth=1
	v_and_b32_e32 v35, 7, v0
	v_lshrrev_b32_e32 v37, 3, v38
	s_mov_b32 s20, exec_lo
	v_cmpx_gt_u32_e32 8, v38
; %bb.1513:                             ;   in Loop: Header=BB308_998 Depth=1
	v_ffbh_u32_e32 v23, v35
	v_min_u32_e32 v23, 32, v23
	v_subrev_nc_u32_e32 v35, 28, v23
	v_sub_nc_u32_e32 v37, 29, v23
	v_lshlrev_b64 v[48:49], v35, v[0:1]
	v_and_b32_e32 v35, 7, v48
; %bb.1514:                             ;   in Loop: Header=BB308_998 Depth=1
	s_or_b32 exec_lo, exec_lo, s20
	v_lshlrev_b32_e32 v0, 8, v0
	v_lshl_add_u32 v23, v37, 10, 0x2000
	v_lshlrev_b32_e32 v35, 7, v35
	v_and_b32_e32 v0, 0x8000, v0
	v_and_b32_e32 v23, 0xfc00, v23
	v_or3_b32 v35, v0, v23, v35
.LBB308_1515:                           ;   in Loop: Header=BB308_998 Depth=1
	s_or_b32 exec_lo, exec_lo, s18
.LBB308_1516:                           ;   in Loop: Header=BB308_998 Depth=1
	s_or_b32 exec_lo, exec_lo, s17
.LBB308_1517:                           ;   in Loop: Header=BB308_998 Depth=1
	s_or_b32 exec_lo, exec_lo, s16
	v_cmp_lt_u64_e64 s4, s[12:13], v[11:12]
	v_mov_b32_e32 v11, 0
	s_and_saveexec_b32 s16, s4
	s_cbranch_execz .LBB308_1525
; %bb.1518:                             ;   in Loop: Header=BB308_998 Depth=1
	v_lshrrev_b32_e32 v0, 24, v12
	v_bfrev_b32_e32 v11, 1
	s_mov_b32 s17, exec_lo
	v_cmpx_ne_u32_e32 0x80, v0
	s_cbranch_execz .LBB308_1524
; %bb.1519:                             ;   in Loop: Header=BB308_998 Depth=1
	v_and_b32_e32 v37, 0x7f, v0
	v_mov_b32_e32 v11, 0x7c010000
	s_mov_b32 s18, exec_lo
	v_cmpx_ne_u32_e32 0x7f, v37
	s_cbranch_execz .LBB308_1523
; %bb.1520:                             ;   in Loop: Header=BB308_998 Depth=1
	v_and_b32_e32 v11, 7, v0
	v_lshrrev_b32_e32 v12, 3, v37
	s_mov_b32 s20, exec_lo
	v_cmpx_gt_u32_e32 8, v37
; %bb.1521:                             ;   in Loop: Header=BB308_998 Depth=1
	v_ffbh_u32_e32 v11, v11
	v_min_u32_e32 v23, 32, v11
	v_subrev_nc_u32_e32 v11, 28, v23
	v_lshlrev_b64 v[11:12], v11, v[0:1]
	v_sub_nc_u32_e32 v12, 29, v23
	v_and_b32_e32 v11, 7, v11
; %bb.1522:                             ;   in Loop: Header=BB308_998 Depth=1
	s_or_b32 exec_lo, exec_lo, s20
	v_lshlrev_b32_e32 v0, 8, v0
	v_lshl_add_u32 v12, v12, 10, 0x2000
	v_lshlrev_b32_e32 v11, 23, v11
	v_and_or_b32 v0, 0x8000, v0, v12
	v_lshl_or_b32 v11, v0, 16, v11
.LBB308_1523:                           ;   in Loop: Header=BB308_998 Depth=1
	s_or_b32 exec_lo, exec_lo, s18
.LBB308_1524:                           ;   in Loop: Header=BB308_998 Depth=1
	s_or_b32 exec_lo, exec_lo, s17
.LBB308_1525:                           ;   in Loop: Header=BB308_998 Depth=1
	s_or_b32 exec_lo, exec_lo, s16
	v_or_b32_e32 v0, v16, v22
	s_waitcnt vmcnt(0) lgkmcnt(0)
	v_fma_mixlo_f16 v12, v4, v16, 0 op_sel:[0,1,0] op_sel_hi:[0,1,0]
	v_or_b32_e32 v6, v5, v6
	v_fma_mixlo_f16 v5, v4, v5, 0 op_sel:[0,1,0] op_sel_hi:[0,1,0]
	v_or_b32_e32 v16, v27, v26
	v_fma_mixlo_f16 v22, v4, v0, 0 op_sel_hi:[0,1,0]
	v_or_b32_e32 v23, v11, v35
	v_lshlrev_b32_e32 v0, 16, v12
	v_lshlrev_b32_e32 v12, 16, v5
	v_fma_mixlo_f16 v6, v4, v6, 0 op_sel_hi:[0,1,0]
	v_and_b32_e32 v5, 0xffff, v22
	v_fma_mixlo_f16 v22, v4, v27, 0 op_sel:[0,1,0] op_sel_hi:[0,1,0]
	v_fma_mixlo_f16 v16, v4, v16, 0 op_sel_hi:[0,1,0]
	v_fma_mixlo_f16 v11, v4, v11, 0 op_sel:[0,1,0] op_sel_hi:[0,1,0]
	v_fma_mixlo_f16 v23, v4, v23, 0 op_sel_hi:[0,1,0]
	v_and_b32_e32 v37, 0xffff, v6
	v_lshlrev_b32_e32 v6, 16, v22
	v_and_b32_e32 v22, 0xffff, v16
	v_lshlrev_b32_e32 v4, 16, v11
	v_and_b32_e32 v11, 0xffff, v23
	v_or_b32_e32 v16, v0, v5
	v_or_b32_e32 v35, v12, v37
	;; [unrolled: 1-line block ×4, first 2 shown]
	s_and_saveexec_b32 s16, vcc_lo
	s_cbranch_execz .LBB308_1527
; %bb.1526:                             ;   in Loop: Header=BB308_998 Depth=1
	v_cmp_lt_i32_e64 s4, v18, v36
	v_cndmask_b32_e64 v16, 0, v37, s4
	v_cmp_lt_i32_e64 s4, v99, v36
	v_cndmask_b32_e64 v12, 0, v12, s4
	v_cmp_lt_i32_e64 s4, v98, v36
	v_or_b32_e32 v35, v16, v12
	v_cndmask_b32_e64 v5, 0, v5, s4
	v_cmp_lt_i32_e64 s4, v97, v36
	v_cndmask_b32_e64 v0, 0, v0, s4
	v_cmp_lt_i32_e64 s4, v96, v36
	v_or_b32_e32 v16, v5, v0
	;; [unrolled: 5-line block ×3, first 2 shown]
	v_cndmask_b32_e64 v11, 0, v11, s4
	v_cmp_lt_i32_e64 s4, v85, v36
	v_cndmask_b32_e64 v4, 0, v4, s4
	v_or_b32_e32 v26, v11, v4
.LBB308_1527:                           ;   in Loop: Header=BB308_998 Depth=1
	s_or_b32 exec_lo, exec_lo, s16
	v_add_co_u32 v9, s4, 0x800, v9
	v_add_co_ci_u32_e64 v10, null, 0, v10, s4
	;;#ASMSTART
	v_pk_mul_f16 v0, v84, v35;

	;;#ASMEND
	;;#ASMSTART
	v_pk_mul_f16 v4, v83, v16;

	;;#ASMEND
	;; [unrolled: 4-line block ×4, first 2 shown]
	;;#ASMSTART
	v_pk_add_f16 v0, v0, v4;

	;;#ASMEND
	;;#ASMSTART
	v_pk_add_f16 v0, v0, v5;

	;;#ASMEND
	;; [unrolled: 4-line block ×3, first 2 shown]
	v_lshrrev_b32_e32 v4, 16, v0
	v_and_b32_e32 v0, 0xffff, v0
	;;#ASMSTART
	v_cvt_f32_f16 v37, v0;
	;;#ASMEND
	;;#ASMSTART
	v_cvt_f32_f16 v40, v4;
	;;#ASMEND
	flat_load_dwordx2 v[11:12], v[9:10]
	s_clause 0x1
	buffer_load_dword v4, off, s[0:3], s32 offset:200
	buffer_load_dword v5, off, s[0:3], s32 offset:204
	v_mov_b32_e32 v6, 0
	s_waitcnt vmcnt(2) lgkmcnt(0)
	v_cmp_ne_u16_sdwa s4, v11, v1 src0_sel:BYTE_0 src1_sel:DWORD
	s_waitcnt vmcnt(0)
	flat_load_dword v4, v[4:5]
	v_mov_b32_e32 v5, 0
	s_and_saveexec_b32 s16, s4
	s_cbranch_execz .LBB308_1535
; %bb.1528:                             ;   in Loop: Header=BB308_998 Depth=1
	v_cmp_ne_u16_sdwa s4, v11, v17 src0_sel:BYTE_0 src1_sel:DWORD
	v_mov_b32_e32 v6, 0x8000
	s_and_saveexec_b32 s17, s4
	s_cbranch_execz .LBB308_1534
; %bb.1529:                             ;   in Loop: Header=BB308_998 Depth=1
	v_and_b32_e32 v16, 0x7f, v11
	v_mov_b32_e32 v6, 0x7c01
	s_mov_b32 s18, exec_lo
	v_cmpx_ne_u32_e32 0x7f, v16
	s_cbranch_execz .LBB308_1533
; %bb.1530:                             ;   in Loop: Header=BB308_998 Depth=1
	v_and_b32_e32 v0, 7, v11
	v_lshrrev_b32_e32 v6, 3, v16
	s_mov_b32 s20, exec_lo
	v_cmpx_gt_u32_e32 8, v16
; %bb.1531:                             ;   in Loop: Header=BB308_998 Depth=1
	v_ffbh_u32_e32 v0, v0
	v_min_u32_e32 v0, 32, v0
	v_subrev_nc_u32_e32 v6, 28, v0
	v_lshlrev_b64 v[22:23], v6, v[11:12]
	v_sub_nc_u32_e32 v6, 29, v0
	v_and_b32_e32 v0, 7, v22
; %bb.1532:                             ;   in Loop: Header=BB308_998 Depth=1
	s_or_b32 exec_lo, exec_lo, s20
	v_lshlrev_b32_e32 v16, 8, v11
	v_lshl_add_u32 v6, v6, 10, 0x2000
	v_lshlrev_b32_e32 v0, 7, v0
	v_and_b32_e32 v16, 0x8000, v16
	v_and_b32_e32 v6, 0xfc00, v6
	v_or3_b32 v6, v16, v6, v0
.LBB308_1533:                           ;   in Loop: Header=BB308_998 Depth=1
	s_or_b32 exec_lo, exec_lo, s18
.LBB308_1534:                           ;   in Loop: Header=BB308_998 Depth=1
	s_or_b32 exec_lo, exec_lo, s17
.LBB308_1535:                           ;   in Loop: Header=BB308_998 Depth=1
	s_or_b32 exec_lo, exec_lo, s16
	v_lshrrev_b16 v0, 8, v11
	s_mov_b32 s16, exec_lo
	v_cmpx_ne_u16_e32 0, v0
	s_cbranch_execz .LBB308_1543
; %bb.1536:                             ;   in Loop: Header=BB308_998 Depth=1
	v_bfrev_b32_e32 v5, 1
	s_mov_b32 s17, exec_lo
	v_cmpx_ne_u16_e32 0x80, v0
	s_cbranch_execz .LBB308_1542
; %bb.1537:                             ;   in Loop: Header=BB308_998 Depth=1
	v_and_b32_sdwa v22, v0, v53 dst_sel:DWORD dst_unused:UNUSED_PAD src0_sel:WORD_0 src1_sel:DWORD
	v_mov_b32_e32 v5, 0x7c010000
	s_mov_b32 s18, exec_lo
	v_cmpx_ne_u32_e32 0x7f, v22
	s_cbranch_execz .LBB308_1541
; %bb.1538:                             ;   in Loop: Header=BB308_998 Depth=1
	v_and_b32_sdwa v5, v0, v54 dst_sel:DWORD dst_unused:UNUSED_PAD src0_sel:WORD_0 src1_sel:DWORD
	v_lshrrev_b32_e32 v16, 3, v22
	s_mov_b32 s20, exec_lo
	v_cmpx_gt_u32_e32 8, v22
; %bb.1539:                             ;   in Loop: Header=BB308_998 Depth=1
	v_ffbh_u32_e32 v5, v5
	v_min_u32_e32 v5, 32, v5
	v_subrev_nc_u32_e32 v16, 28, v5
	v_lshlrev_b64 v[22:23], v16, v[0:1]
	v_sub_nc_u32_e32 v16, 29, v5
	v_and_b32_e32 v5, 7, v22
; %bb.1540:                             ;   in Loop: Header=BB308_998 Depth=1
	s_or_b32 exec_lo, exec_lo, s20
	v_lshlrev_b32_sdwa v0, v70, v0 dst_sel:DWORD dst_unused:UNUSED_PAD src0_sel:DWORD src1_sel:WORD_0
	v_lshl_add_u32 v16, v16, 10, 0x2000
	v_lshlrev_b32_e32 v5, 23, v5
	v_and_or_b32 v0, 0x8000, v0, v16
	v_lshl_or_b32 v5, v0, 16, v5
.LBB308_1541:                           ;   in Loop: Header=BB308_998 Depth=1
	s_or_b32 exec_lo, exec_lo, s18
.LBB308_1542:                           ;   in Loop: Header=BB308_998 Depth=1
	s_or_b32 exec_lo, exec_lo, s17
.LBB308_1543:                           ;   in Loop: Header=BB308_998 Depth=1
	s_or_b32 exec_lo, exec_lo, s16
	v_lshrrev_b32_e32 v0, 16, v11
	v_mov_b32_e32 v16, 0
	v_mov_b32_e32 v22, 0
	v_cmp_ne_u16_sdwa s4, v0, v1 src0_sel:BYTE_0 src1_sel:DWORD
	s_and_saveexec_b32 s16, s4
	s_cbranch_execz .LBB308_1551
; %bb.1544:                             ;   in Loop: Header=BB308_998 Depth=1
	v_cmp_ne_u16_sdwa s4, v0, v17 src0_sel:BYTE_0 src1_sel:DWORD
	v_mov_b32_e32 v22, 0x8000
	s_and_saveexec_b32 s17, s4
	s_cbranch_execz .LBB308_1550
; %bb.1545:                             ;   in Loop: Header=BB308_998 Depth=1
	v_bfe_u32 v27, v11, 16, 7
	v_mov_b32_e32 v22, 0x7c01
	s_mov_b32 s18, exec_lo
	v_cmpx_ne_u32_e32 0x7f, v27
	s_cbranch_execz .LBB308_1549
; %bb.1546:                             ;   in Loop: Header=BB308_998 Depth=1
	v_and_b32_e32 v22, 7, v0
	v_lshrrev_b32_e32 v26, 3, v27
	s_mov_b32 s20, exec_lo
	v_cmpx_gt_u32_e32 8, v27
; %bb.1547:                             ;   in Loop: Header=BB308_998 Depth=1
	v_ffbh_u32_e32 v22, v22
	v_min_u32_e32 v26, 32, v22
	v_subrev_nc_u32_e32 v22, 28, v26
	v_sub_nc_u32_e32 v26, 29, v26
	v_lshlrev_b64 v[22:23], v22, v[0:1]
	v_and_b32_e32 v22, 7, v22
; %bb.1548:                             ;   in Loop: Header=BB308_998 Depth=1
	s_or_b32 exec_lo, exec_lo, s20
	v_lshlrev_b32_e32 v0, 8, v0
	v_lshl_add_u32 v23, v26, 10, 0x2000
	v_lshlrev_b32_e32 v22, 7, v22
	v_and_b32_e32 v0, 0x8000, v0
	v_and_b32_e32 v23, 0xfc00, v23
	v_or3_b32 v22, v0, v23, v22
.LBB308_1549:                           ;   in Loop: Header=BB308_998 Depth=1
	s_or_b32 exec_lo, exec_lo, s18
.LBB308_1550:                           ;   in Loop: Header=BB308_998 Depth=1
	s_or_b32 exec_lo, exec_lo, s17
.LBB308_1551:                           ;   in Loop: Header=BB308_998 Depth=1
	s_or_b32 exec_lo, exec_lo, s16
	s_mov_b32 s16, exec_lo
	v_cmpx_lt_u32_e32 0xffffff, v11
	s_cbranch_execz .LBB308_1559
; %bb.1552:                             ;   in Loop: Header=BB308_998 Depth=1
	v_lshrrev_b32_e32 v0, 24, v11
	v_bfrev_b32_e32 v16, 1
	s_mov_b32 s17, exec_lo
	v_cmpx_ne_u32_e32 0x80, v0
	s_cbranch_execz .LBB308_1558
; %bb.1553:                             ;   in Loop: Header=BB308_998 Depth=1
	v_and_b32_e32 v27, 0x7f, v0
	v_mov_b32_e32 v16, 0x7c010000
	s_mov_b32 s18, exec_lo
	v_cmpx_ne_u32_e32 0x7f, v27
	s_cbranch_execz .LBB308_1557
; %bb.1554:                             ;   in Loop: Header=BB308_998 Depth=1
	v_and_b32_e32 v16, 7, v0
	v_lshrrev_b32_e32 v26, 3, v27
	s_mov_b32 s20, exec_lo
	v_cmpx_gt_u32_e32 8, v27
; %bb.1555:                             ;   in Loop: Header=BB308_998 Depth=1
	v_ffbh_u32_e32 v16, v16
	v_min_u32_e32 v16, 32, v16
	v_subrev_nc_u32_e32 v23, 28, v16
	v_sub_nc_u32_e32 v26, 29, v16
	v_lshlrev_b64 v[48:49], v23, v[0:1]
	v_and_b32_e32 v16, 7, v48
; %bb.1556:                             ;   in Loop: Header=BB308_998 Depth=1
	s_or_b32 exec_lo, exec_lo, s20
	v_lshlrev_b32_e32 v0, 8, v0
	v_lshl_add_u32 v23, v26, 10, 0x2000
	v_lshlrev_b32_e32 v16, 23, v16
	v_and_or_b32 v0, 0x8000, v0, v23
	v_lshl_or_b32 v16, v0, 16, v16
.LBB308_1557:                           ;   in Loop: Header=BB308_998 Depth=1
	s_or_b32 exec_lo, exec_lo, s18
.LBB308_1558:                           ;   in Loop: Header=BB308_998 Depth=1
	s_or_b32 exec_lo, exec_lo, s17
.LBB308_1559:                           ;   in Loop: Header=BB308_998 Depth=1
	s_or_b32 exec_lo, exec_lo, s16
	v_mov_b32_e32 v0, v12
	v_cmp_ne_u16_sdwa s4, v12, v1 src0_sel:BYTE_0 src1_sel:DWORD
	v_mov_b32_e32 v35, 0
	v_mov_b32_e32 v26, 0
	s_and_saveexec_b32 s16, s4
	s_cbranch_execz .LBB308_1567
; %bb.1560:                             ;   in Loop: Header=BB308_998 Depth=1
	v_cmp_ne_u16_sdwa s4, v12, v17 src0_sel:BYTE_0 src1_sel:DWORD
	v_mov_b32_e32 v26, 0x8000
	s_and_saveexec_b32 s17, s4
	s_cbranch_execz .LBB308_1566
; %bb.1561:                             ;   in Loop: Header=BB308_998 Depth=1
	v_and_b32_e32 v38, 0x7f, v12
	v_mov_b32_e32 v26, 0x7c01
	s_mov_b32 s18, exec_lo
	v_cmpx_ne_u32_e32 0x7f, v38
	s_cbranch_execz .LBB308_1565
; %bb.1562:                             ;   in Loop: Header=BB308_998 Depth=1
	v_and_b32_e32 v26, 7, v12
	v_lshrrev_b32_e32 v27, 3, v38
	s_mov_b32 s20, exec_lo
	v_cmpx_gt_u32_e32 8, v38
; %bb.1563:                             ;   in Loop: Header=BB308_998 Depth=1
	v_ffbh_u32_e32 v23, v26
	v_min_u32_e32 v23, 32, v23
	v_subrev_nc_u32_e32 v26, 28, v23
	v_lshlrev_b64 v[26:27], v26, v[0:1]
	v_sub_nc_u32_e32 v27, 29, v23
	v_and_b32_e32 v26, 7, v26
; %bb.1564:                             ;   in Loop: Header=BB308_998 Depth=1
	s_or_b32 exec_lo, exec_lo, s20
	v_lshlrev_b32_e32 v23, 8, v12
	v_lshl_add_u32 v27, v27, 10, 0x2000
	v_lshlrev_b32_e32 v26, 7, v26
	v_and_b32_e32 v23, 0x8000, v23
	v_and_b32_e32 v27, 0xfc00, v27
	v_or3_b32 v26, v23, v27, v26
.LBB308_1565:                           ;   in Loop: Header=BB308_998 Depth=1
	s_or_b32 exec_lo, exec_lo, s18
.LBB308_1566:                           ;   in Loop: Header=BB308_998 Depth=1
	s_or_b32 exec_lo, exec_lo, s17
.LBB308_1567:                           ;   in Loop: Header=BB308_998 Depth=1
	s_or_b32 exec_lo, exec_lo, s16
	v_lshrrev_b16 v0, 8, v0
	v_mov_b32_e32 v27, 0
	s_mov_b32 s16, exec_lo
	v_cmpx_ne_u16_e32 0, v0
	s_cbranch_execz .LBB308_1575
; %bb.1568:                             ;   in Loop: Header=BB308_998 Depth=1
	v_bfrev_b32_e32 v27, 1
	s_mov_b32 s17, exec_lo
	v_cmpx_ne_u16_e32 0x80, v0
	s_cbranch_execz .LBB308_1574
; %bb.1569:                             ;   in Loop: Header=BB308_998 Depth=1
	v_and_b32_sdwa v48, v0, v53 dst_sel:DWORD dst_unused:UNUSED_PAD src0_sel:WORD_0 src1_sel:DWORD
	v_mov_b32_e32 v27, 0x7c010000
	s_mov_b32 s18, exec_lo
	v_cmpx_ne_u32_e32 0x7f, v48
	s_cbranch_execz .LBB308_1573
; %bb.1570:                             ;   in Loop: Header=BB308_998 Depth=1
	v_and_b32_sdwa v27, v0, v54 dst_sel:DWORD dst_unused:UNUSED_PAD src0_sel:WORD_0 src1_sel:DWORD
	v_lshrrev_b32_e32 v38, 3, v48
	s_mov_b32 s20, exec_lo
	v_cmpx_gt_u32_e32 8, v48
; %bb.1571:                             ;   in Loop: Header=BB308_998 Depth=1
	v_ffbh_u32_e32 v23, v27
	v_min_u32_e32 v23, 32, v23
	v_subrev_nc_u32_e32 v27, 28, v23
	v_sub_nc_u32_e32 v38, 29, v23
	v_lshlrev_b64 v[48:49], v27, v[0:1]
	v_and_b32_e32 v27, 7, v48
; %bb.1572:                             ;   in Loop: Header=BB308_998 Depth=1
	s_or_b32 exec_lo, exec_lo, s20
	v_lshlrev_b32_sdwa v0, v70, v0 dst_sel:DWORD dst_unused:UNUSED_PAD src0_sel:DWORD src1_sel:WORD_0
	v_lshl_add_u32 v23, v38, 10, 0x2000
	v_and_or_b32 v0, 0x8000, v0, v23
	v_lshlrev_b32_e32 v23, 23, v27
	v_lshl_or_b32 v27, v0, 16, v23
.LBB308_1573:                           ;   in Loop: Header=BB308_998 Depth=1
	s_or_b32 exec_lo, exec_lo, s18
.LBB308_1574:                           ;   in Loop: Header=BB308_998 Depth=1
	s_or_b32 exec_lo, exec_lo, s17
.LBB308_1575:                           ;   in Loop: Header=BB308_998 Depth=1
	s_or_b32 exec_lo, exec_lo, s16
	v_lshrrev_b32_e32 v0, 16, v12
	v_cmp_ne_u16_sdwa s4, v0, v1 src0_sel:BYTE_0 src1_sel:DWORD
	s_and_saveexec_b32 s16, s4
	s_cbranch_execz .LBB308_1583
; %bb.1576:                             ;   in Loop: Header=BB308_998 Depth=1
	v_cmp_ne_u16_sdwa s4, v0, v17 src0_sel:BYTE_0 src1_sel:DWORD
	v_mov_b32_e32 v35, 0x8000
	s_and_saveexec_b32 s17, s4
	s_cbranch_execz .LBB308_1582
; %bb.1577:                             ;   in Loop: Header=BB308_998 Depth=1
	v_bfe_u32 v48, v12, 16, 7
	v_mov_b32_e32 v35, 0x7c01
	s_mov_b32 s18, exec_lo
	v_cmpx_ne_u32_e32 0x7f, v48
	s_cbranch_execz .LBB308_1581
; %bb.1578:                             ;   in Loop: Header=BB308_998 Depth=1
	v_and_b32_e32 v35, 7, v0
	v_lshrrev_b32_e32 v38, 3, v48
	s_mov_b32 s20, exec_lo
	v_cmpx_gt_u32_e32 8, v48
; %bb.1579:                             ;   in Loop: Header=BB308_998 Depth=1
	v_ffbh_u32_e32 v23, v35
	v_min_u32_e32 v23, 32, v23
	v_subrev_nc_u32_e32 v35, 28, v23
	v_sub_nc_u32_e32 v38, 29, v23
	v_lshlrev_b64 v[48:49], v35, v[0:1]
	v_and_b32_e32 v35, 7, v48
; %bb.1580:                             ;   in Loop: Header=BB308_998 Depth=1
	s_or_b32 exec_lo, exec_lo, s20
	v_lshlrev_b32_e32 v0, 8, v0
	v_lshl_add_u32 v23, v38, 10, 0x2000
	v_lshlrev_b32_e32 v35, 7, v35
	v_and_b32_e32 v0, 0x8000, v0
	v_and_b32_e32 v23, 0xfc00, v23
	v_or3_b32 v35, v0, v23, v35
.LBB308_1581:                           ;   in Loop: Header=BB308_998 Depth=1
	s_or_b32 exec_lo, exec_lo, s18
.LBB308_1582:                           ;   in Loop: Header=BB308_998 Depth=1
	s_or_b32 exec_lo, exec_lo, s17
.LBB308_1583:                           ;   in Loop: Header=BB308_998 Depth=1
	s_or_b32 exec_lo, exec_lo, s16
	v_cmp_lt_u64_e64 s4, s[12:13], v[11:12]
	v_mov_b32_e32 v11, 0
	s_and_saveexec_b32 s16, s4
	s_cbranch_execz .LBB308_1591
; %bb.1584:                             ;   in Loop: Header=BB308_998 Depth=1
	v_lshrrev_b32_e32 v0, 24, v12
	v_bfrev_b32_e32 v11, 1
	s_mov_b32 s17, exec_lo
	v_cmpx_ne_u32_e32 0x80, v0
	s_cbranch_execz .LBB308_1590
; %bb.1585:                             ;   in Loop: Header=BB308_998 Depth=1
	v_and_b32_e32 v38, 0x7f, v0
	v_mov_b32_e32 v11, 0x7c010000
	s_mov_b32 s18, exec_lo
	v_cmpx_ne_u32_e32 0x7f, v38
	s_cbranch_execz .LBB308_1589
; %bb.1586:                             ;   in Loop: Header=BB308_998 Depth=1
	v_and_b32_e32 v11, 7, v0
	v_lshrrev_b32_e32 v12, 3, v38
	s_mov_b32 s20, exec_lo
	v_cmpx_gt_u32_e32 8, v38
; %bb.1587:                             ;   in Loop: Header=BB308_998 Depth=1
	v_ffbh_u32_e32 v11, v11
	v_min_u32_e32 v23, 32, v11
	v_subrev_nc_u32_e32 v11, 28, v23
	v_lshlrev_b64 v[11:12], v11, v[0:1]
	v_sub_nc_u32_e32 v12, 29, v23
	v_and_b32_e32 v11, 7, v11
; %bb.1588:                             ;   in Loop: Header=BB308_998 Depth=1
	s_or_b32 exec_lo, exec_lo, s20
	v_lshlrev_b32_e32 v0, 8, v0
	v_lshl_add_u32 v12, v12, 10, 0x2000
	v_lshlrev_b32_e32 v11, 23, v11
	v_and_or_b32 v0, 0x8000, v0, v12
	v_lshl_or_b32 v11, v0, 16, v11
.LBB308_1589:                           ;   in Loop: Header=BB308_998 Depth=1
	s_or_b32 exec_lo, exec_lo, s18
.LBB308_1590:                           ;   in Loop: Header=BB308_998 Depth=1
	s_or_b32 exec_lo, exec_lo, s17
.LBB308_1591:                           ;   in Loop: Header=BB308_998 Depth=1
	s_or_b32 exec_lo, exec_lo, s16
	v_or_b32_e32 v0, v16, v22
	s_waitcnt vmcnt(0) lgkmcnt(0)
	v_fma_mixlo_f16 v12, v4, v16, 0 op_sel:[0,1,0] op_sel_hi:[0,1,0]
	v_or_b32_e32 v6, v5, v6
	v_fma_mixlo_f16 v5, v4, v5, 0 op_sel:[0,1,0] op_sel_hi:[0,1,0]
	v_or_b32_e32 v16, v27, v26
	v_fma_mixlo_f16 v22, v4, v0, 0 op_sel_hi:[0,1,0]
	v_or_b32_e32 v23, v11, v35
	v_lshlrev_b32_e32 v0, 16, v12
	v_lshlrev_b32_e32 v12, 16, v5
	v_fma_mixlo_f16 v6, v4, v6, 0 op_sel_hi:[0,1,0]
	v_and_b32_e32 v5, 0xffff, v22
	v_fma_mixlo_f16 v22, v4, v27, 0 op_sel:[0,1,0] op_sel_hi:[0,1,0]
	v_fma_mixlo_f16 v16, v4, v16, 0 op_sel_hi:[0,1,0]
	v_fma_mixlo_f16 v11, v4, v11, 0 op_sel:[0,1,0] op_sel_hi:[0,1,0]
	v_fma_mixlo_f16 v23, v4, v23, 0 op_sel_hi:[0,1,0]
	v_and_b32_e32 v38, 0xffff, v6
	v_lshlrev_b32_e32 v6, 16, v22
	v_and_b32_e32 v22, 0xffff, v16
	v_lshlrev_b32_e32 v4, 16, v11
	v_and_b32_e32 v11, 0xffff, v23
	v_or_b32_e32 v16, v0, v5
	v_or_b32_e32 v35, v12, v38
	;; [unrolled: 1-line block ×4, first 2 shown]
	s_and_saveexec_b32 s16, vcc_lo
	s_cbranch_execz .LBB308_1593
; %bb.1592:                             ;   in Loop: Header=BB308_998 Depth=1
	v_cmp_lt_i32_e64 s4, v18, v36
	v_cndmask_b32_e64 v16, 0, v38, s4
	v_cmp_lt_i32_e64 s4, v99, v36
	v_cndmask_b32_e64 v12, 0, v12, s4
	v_cmp_lt_i32_e64 s4, v98, v36
	v_or_b32_e32 v35, v16, v12
	v_cndmask_b32_e64 v5, 0, v5, s4
	v_cmp_lt_i32_e64 s4, v97, v36
	v_cndmask_b32_e64 v0, 0, v0, s4
	v_cmp_lt_i32_e64 s4, v96, v36
	v_or_b32_e32 v16, v5, v0
	;; [unrolled: 5-line block ×3, first 2 shown]
	v_cndmask_b32_e64 v11, 0, v11, s4
	v_cmp_lt_i32_e64 s4, v85, v36
	v_cndmask_b32_e64 v4, 0, v4, s4
	v_or_b32_e32 v26, v11, v4
.LBB308_1593:                           ;   in Loop: Header=BB308_998 Depth=1
	s_or_b32 exec_lo, exec_lo, s16
	;;#ASMSTART
	v_pk_mul_f16 v0, v84, v35;

	;;#ASMEND
	;;#ASMSTART
	v_pk_mul_f16 v4, v83, v16;

	;;#ASMEND
	;; [unrolled: 4-line block ×4, first 2 shown]
	;;#ASMSTART
	v_pk_add_f16 v0, v0, v4;

	;;#ASMEND
	;;#ASMSTART
	v_pk_add_f16 v0, v0, v5;

	;;#ASMEND
	;; [unrolled: 4-line block ×3, first 2 shown]
	v_and_b32_e32 v4, 0xffff, v0
	v_lshrrev_b32_e32 v0, 16, v0
	;;#ASMSTART
	v_cvt_f32_f16 v4, v4;
	;;#ASMEND
	;;#ASMSTART
	v_cvt_f32_f16 v5, v0;
	;;#ASMEND
	flat_load_dwordx2 v[11:12], v[9:10] offset:256
	s_clause 0x1
	buffer_load_dword v22, off, s[0:3], s32 offset:200
	buffer_load_dword v23, off, s[0:3], s32 offset:204
	v_mov_b32_e32 v16, 0
	s_waitcnt vmcnt(2) lgkmcnt(0)
	v_cmp_ne_u16_sdwa s4, v11, v1 src0_sel:BYTE_0 src1_sel:DWORD
	s_waitcnt vmcnt(0)
	flat_load_dword v6, v[22:23]
	v_mov_b32_e32 v22, 0
	s_and_saveexec_b32 s16, s4
	s_cbranch_execz .LBB308_1601
; %bb.1594:                             ;   in Loop: Header=BB308_998 Depth=1
	v_cmp_ne_u16_sdwa s4, v11, v17 src0_sel:BYTE_0 src1_sel:DWORD
	v_mov_b32_e32 v22, 0x8000
	s_and_saveexec_b32 s17, s4
	s_cbranch_execz .LBB308_1600
; %bb.1595:                             ;   in Loop: Header=BB308_998 Depth=1
	v_and_b32_e32 v26, 0x7f, v11
	v_mov_b32_e32 v22, 0x7c01
	s_mov_b32 s18, exec_lo
	v_cmpx_ne_u32_e32 0x7f, v26
	s_cbranch_execz .LBB308_1599
; %bb.1596:                             ;   in Loop: Header=BB308_998 Depth=1
	v_and_b32_e32 v0, 7, v11
	v_lshrrev_b32_e32 v22, 3, v26
	s_mov_b32 s20, exec_lo
	v_cmpx_gt_u32_e32 8, v26
; %bb.1597:                             ;   in Loop: Header=BB308_998 Depth=1
	v_ffbh_u32_e32 v0, v0
	v_min_u32_e32 v0, 32, v0
	v_subrev_nc_u32_e32 v22, 28, v0
	v_lshlrev_b64 v[26:27], v22, v[11:12]
	v_sub_nc_u32_e32 v22, 29, v0
	v_and_b32_e32 v0, 7, v26
; %bb.1598:                             ;   in Loop: Header=BB308_998 Depth=1
	s_or_b32 exec_lo, exec_lo, s20
	v_lshlrev_b32_e32 v23, 8, v11
	v_lshl_add_u32 v22, v22, 10, 0x2000
	v_lshlrev_b32_e32 v0, 7, v0
	v_and_b32_e32 v23, 0x8000, v23
	v_and_b32_e32 v22, 0xfc00, v22
	v_or3_b32 v22, v23, v22, v0
.LBB308_1599:                           ;   in Loop: Header=BB308_998 Depth=1
	s_or_b32 exec_lo, exec_lo, s18
.LBB308_1600:                           ;   in Loop: Header=BB308_998 Depth=1
	s_or_b32 exec_lo, exec_lo, s17
.LBB308_1601:                           ;   in Loop: Header=BB308_998 Depth=1
	s_or_b32 exec_lo, exec_lo, s16
	v_lshrrev_b16 v0, 8, v11
	s_mov_b32 s16, exec_lo
	v_cmpx_ne_u16_e32 0, v0
	s_cbranch_execz .LBB308_1609
; %bb.1602:                             ;   in Loop: Header=BB308_998 Depth=1
	v_bfrev_b32_e32 v16, 1
	s_mov_b32 s17, exec_lo
	v_cmpx_ne_u16_e32 0x80, v0
	s_cbranch_execz .LBB308_1608
; %bb.1603:                             ;   in Loop: Header=BB308_998 Depth=1
	v_and_b32_sdwa v27, v0, v53 dst_sel:DWORD dst_unused:UNUSED_PAD src0_sel:WORD_0 src1_sel:DWORD
	v_mov_b32_e32 v16, 0x7c010000
	s_mov_b32 s18, exec_lo
	v_cmpx_ne_u32_e32 0x7f, v27
	s_cbranch_execz .LBB308_1607
; %bb.1604:                             ;   in Loop: Header=BB308_998 Depth=1
	v_and_b32_sdwa v16, v0, v54 dst_sel:DWORD dst_unused:UNUSED_PAD src0_sel:WORD_0 src1_sel:DWORD
	v_lshrrev_b32_e32 v26, 3, v27
	s_mov_b32 s20, exec_lo
	v_cmpx_gt_u32_e32 8, v27
; %bb.1605:                             ;   in Loop: Header=BB308_998 Depth=1
	v_ffbh_u32_e32 v16, v16
	v_min_u32_e32 v16, 32, v16
	v_subrev_nc_u32_e32 v23, 28, v16
	v_sub_nc_u32_e32 v26, 29, v16
	v_lshlrev_b64 v[48:49], v23, v[0:1]
	v_and_b32_e32 v16, 7, v48
; %bb.1606:                             ;   in Loop: Header=BB308_998 Depth=1
	s_or_b32 exec_lo, exec_lo, s20
	v_lshlrev_b32_sdwa v0, v70, v0 dst_sel:DWORD dst_unused:UNUSED_PAD src0_sel:DWORD src1_sel:WORD_0
	v_lshl_add_u32 v23, v26, 10, 0x2000
	v_lshlrev_b32_e32 v16, 23, v16
	v_and_or_b32 v0, 0x8000, v0, v23
	v_lshl_or_b32 v16, v0, 16, v16
.LBB308_1607:                           ;   in Loop: Header=BB308_998 Depth=1
	s_or_b32 exec_lo, exec_lo, s18
.LBB308_1608:                           ;   in Loop: Header=BB308_998 Depth=1
	s_or_b32 exec_lo, exec_lo, s17
.LBB308_1609:                           ;   in Loop: Header=BB308_998 Depth=1
	s_or_b32 exec_lo, exec_lo, s16
	v_lshrrev_b32_e32 v0, 16, v11
	v_mov_b32_e32 v35, 0
	v_mov_b32_e32 v38, 0
	v_cmp_ne_u16_sdwa s4, v0, v1 src0_sel:BYTE_0 src1_sel:DWORD
	s_and_saveexec_b32 s16, s4
	s_cbranch_execz .LBB308_1617
; %bb.1610:                             ;   in Loop: Header=BB308_998 Depth=1
	v_cmp_ne_u16_sdwa s4, v0, v17 src0_sel:BYTE_0 src1_sel:DWORD
	v_mov_b32_e32 v38, 0x8000
	s_and_saveexec_b32 s17, s4
	s_cbranch_execz .LBB308_1616
; %bb.1611:                             ;   in Loop: Header=BB308_998 Depth=1
	v_bfe_u32 v48, v11, 16, 7
	v_mov_b32_e32 v38, 0x7c01
	s_mov_b32 s18, exec_lo
	v_cmpx_ne_u32_e32 0x7f, v48
	s_cbranch_execz .LBB308_1615
; %bb.1612:                             ;   in Loop: Header=BB308_998 Depth=1
	v_and_b32_e32 v26, 7, v0
	v_lshrrev_b32_e32 v27, 3, v48
	s_mov_b32 s20, exec_lo
	v_cmpx_gt_u32_e32 8, v48
; %bb.1613:                             ;   in Loop: Header=BB308_998 Depth=1
	v_ffbh_u32_e32 v23, v26
	v_min_u32_e32 v23, 32, v23
	v_subrev_nc_u32_e32 v26, 28, v23
	v_lshlrev_b64 v[26:27], v26, v[0:1]
	v_sub_nc_u32_e32 v27, 29, v23
	v_and_b32_e32 v26, 7, v26
; %bb.1614:                             ;   in Loop: Header=BB308_998 Depth=1
	s_or_b32 exec_lo, exec_lo, s20
	v_lshlrev_b32_e32 v0, 8, v0
	v_lshl_add_u32 v23, v27, 10, 0x2000
	v_lshlrev_b32_e32 v26, 7, v26
	v_and_b32_e32 v0, 0x8000, v0
	v_and_b32_e32 v23, 0xfc00, v23
	v_or3_b32 v38, v0, v23, v26
.LBB308_1615:                           ;   in Loop: Header=BB308_998 Depth=1
	s_or_b32 exec_lo, exec_lo, s18
.LBB308_1616:                           ;   in Loop: Header=BB308_998 Depth=1
	s_or_b32 exec_lo, exec_lo, s17
.LBB308_1617:                           ;   in Loop: Header=BB308_998 Depth=1
	s_or_b32 exec_lo, exec_lo, s16
	s_mov_b32 s16, exec_lo
	v_cmpx_lt_u32_e32 0xffffff, v11
	s_cbranch_execz .LBB308_1625
; %bb.1618:                             ;   in Loop: Header=BB308_998 Depth=1
	v_lshrrev_b32_e32 v0, 24, v11
	v_bfrev_b32_e32 v35, 1
	s_mov_b32 s17, exec_lo
	v_cmpx_ne_u32_e32 0x80, v0
	s_cbranch_execz .LBB308_1624
; %bb.1619:                             ;   in Loop: Header=BB308_998 Depth=1
	v_and_b32_e32 v48, 0x7f, v0
	v_mov_b32_e32 v35, 0x7c010000
	s_mov_b32 s18, exec_lo
	v_cmpx_ne_u32_e32 0x7f, v48
	s_cbranch_execz .LBB308_1623
; %bb.1620:                             ;   in Loop: Header=BB308_998 Depth=1
	v_and_b32_e32 v26, 7, v0
	v_lshrrev_b32_e32 v27, 3, v48
	s_mov_b32 s20, exec_lo
	v_cmpx_gt_u32_e32 8, v48
; %bb.1621:                             ;   in Loop: Header=BB308_998 Depth=1
	v_ffbh_u32_e32 v23, v26
	v_min_u32_e32 v23, 32, v23
	v_subrev_nc_u32_e32 v26, 28, v23
	v_lshlrev_b64 v[26:27], v26, v[0:1]
	v_sub_nc_u32_e32 v27, 29, v23
	v_and_b32_e32 v26, 7, v26
; %bb.1622:                             ;   in Loop: Header=BB308_998 Depth=1
	s_or_b32 exec_lo, exec_lo, s20
	v_lshlrev_b32_e32 v0, 8, v0
	v_lshl_add_u32 v23, v27, 10, 0x2000
	v_and_or_b32 v0, 0x8000, v0, v23
	v_lshlrev_b32_e32 v23, 23, v26
	v_lshl_or_b32 v35, v0, 16, v23
.LBB308_1623:                           ;   in Loop: Header=BB308_998 Depth=1
	s_or_b32 exec_lo, exec_lo, s18
.LBB308_1624:                           ;   in Loop: Header=BB308_998 Depth=1
	s_or_b32 exec_lo, exec_lo, s17
.LBB308_1625:                           ;   in Loop: Header=BB308_998 Depth=1
	s_or_b32 exec_lo, exec_lo, s16
	v_mov_b32_e32 v0, v12
	v_cmp_ne_u16_sdwa s4, v12, v1 src0_sel:BYTE_0 src1_sel:DWORD
	v_mov_b32_e32 v48, 0
	v_mov_b32_e32 v26, 0
	s_and_saveexec_b32 s16, s4
	s_cbranch_execz .LBB308_1633
; %bb.1626:                             ;   in Loop: Header=BB308_998 Depth=1
	v_cmp_ne_u16_sdwa s4, v12, v17 src0_sel:BYTE_0 src1_sel:DWORD
	v_mov_b32_e32 v26, 0x8000
	s_and_saveexec_b32 s17, s4
	s_cbranch_execz .LBB308_1632
; %bb.1627:                             ;   in Loop: Header=BB308_998 Depth=1
	v_and_b32_e32 v49, 0x7f, v12
	v_mov_b32_e32 v26, 0x7c01
	s_mov_b32 s18, exec_lo
	v_cmpx_ne_u32_e32 0x7f, v49
	s_cbranch_execz .LBB308_1631
; %bb.1628:                             ;   in Loop: Header=BB308_998 Depth=1
	v_and_b32_e32 v26, 7, v12
	v_lshrrev_b32_e32 v27, 3, v49
	s_mov_b32 s20, exec_lo
	v_cmpx_gt_u32_e32 8, v49
; %bb.1629:                             ;   in Loop: Header=BB308_998 Depth=1
	v_ffbh_u32_e32 v23, v26
	v_min_u32_e32 v23, 32, v23
	v_subrev_nc_u32_e32 v26, 28, v23
	v_lshlrev_b64 v[26:27], v26, v[0:1]
	v_sub_nc_u32_e32 v27, 29, v23
	v_and_b32_e32 v26, 7, v26
; %bb.1630:                             ;   in Loop: Header=BB308_998 Depth=1
	s_or_b32 exec_lo, exec_lo, s20
	v_lshlrev_b32_e32 v23, 8, v12
	v_lshl_add_u32 v27, v27, 10, 0x2000
	v_lshlrev_b32_e32 v26, 7, v26
	v_and_b32_e32 v23, 0x8000, v23
	v_and_b32_e32 v27, 0xfc00, v27
	v_or3_b32 v26, v23, v27, v26
.LBB308_1631:                           ;   in Loop: Header=BB308_998 Depth=1
	s_or_b32 exec_lo, exec_lo, s18
.LBB308_1632:                           ;   in Loop: Header=BB308_998 Depth=1
	s_or_b32 exec_lo, exec_lo, s17
.LBB308_1633:                           ;   in Loop: Header=BB308_998 Depth=1
	s_or_b32 exec_lo, exec_lo, s16
	v_lshrrev_b16 v0, 8, v0
	v_mov_b32_e32 v27, 0
	s_mov_b32 s16, exec_lo
	v_cmpx_ne_u16_e32 0, v0
	s_cbranch_execz .LBB308_1641
; %bb.1634:                             ;   in Loop: Header=BB308_998 Depth=1
	v_bfrev_b32_e32 v27, 1
	s_mov_b32 s17, exec_lo
	v_cmpx_ne_u16_e32 0x80, v0
	s_cbranch_execz .LBB308_1640
; %bb.1635:                             ;   in Loop: Header=BB308_998 Depth=1
	v_and_b32_sdwa v50, v0, v53 dst_sel:DWORD dst_unused:UNUSED_PAD src0_sel:WORD_0 src1_sel:DWORD
	v_mov_b32_e32 v27, 0x7c010000
	s_mov_b32 s18, exec_lo
	v_cmpx_ne_u32_e32 0x7f, v50
	s_cbranch_execz .LBB308_1639
; %bb.1636:                             ;   in Loop: Header=BB308_998 Depth=1
	v_and_b32_sdwa v27, v0, v54 dst_sel:DWORD dst_unused:UNUSED_PAD src0_sel:WORD_0 src1_sel:DWORD
	v_lshrrev_b32_e32 v49, 3, v50
	s_mov_b32 s20, exec_lo
	v_cmpx_gt_u32_e32 8, v50
; %bb.1637:                             ;   in Loop: Header=BB308_998 Depth=1
	v_ffbh_u32_e32 v23, v27
	v_min_u32_e32 v23, 32, v23
	v_subrev_nc_u32_e32 v27, 28, v23
	v_sub_nc_u32_e32 v49, 29, v23
	v_lshlrev_b64 v[50:51], v27, v[0:1]
	v_and_b32_e32 v27, 7, v50
; %bb.1638:                             ;   in Loop: Header=BB308_998 Depth=1
	s_or_b32 exec_lo, exec_lo, s20
	v_lshlrev_b32_sdwa v0, v70, v0 dst_sel:DWORD dst_unused:UNUSED_PAD src0_sel:DWORD src1_sel:WORD_0
	v_lshl_add_u32 v23, v49, 10, 0x2000
	v_and_or_b32 v0, 0x8000, v0, v23
	v_lshlrev_b32_e32 v23, 23, v27
	v_lshl_or_b32 v27, v0, 16, v23
.LBB308_1639:                           ;   in Loop: Header=BB308_998 Depth=1
	s_or_b32 exec_lo, exec_lo, s18
.LBB308_1640:                           ;   in Loop: Header=BB308_998 Depth=1
	s_or_b32 exec_lo, exec_lo, s17
.LBB308_1641:                           ;   in Loop: Header=BB308_998 Depth=1
	s_or_b32 exec_lo, exec_lo, s16
	v_lshrrev_b32_e32 v0, 16, v12
	v_cmp_ne_u16_sdwa s4, v0, v1 src0_sel:BYTE_0 src1_sel:DWORD
	s_and_saveexec_b32 s16, s4
	s_cbranch_execz .LBB308_1649
; %bb.1642:                             ;   in Loop: Header=BB308_998 Depth=1
	v_cmp_ne_u16_sdwa s4, v0, v17 src0_sel:BYTE_0 src1_sel:DWORD
	v_mov_b32_e32 v48, 0x8000
	s_and_saveexec_b32 s17, s4
	s_cbranch_execz .LBB308_1648
; %bb.1643:                             ;   in Loop: Header=BB308_998 Depth=1
	v_bfe_u32 v50, v12, 16, 7
	v_mov_b32_e32 v48, 0x7c01
	s_mov_b32 s18, exec_lo
	v_cmpx_ne_u32_e32 0x7f, v50
	s_cbranch_execz .LBB308_1647
; %bb.1644:                             ;   in Loop: Header=BB308_998 Depth=1
	v_and_b32_e32 v48, 7, v0
	v_lshrrev_b32_e32 v49, 3, v50
	s_mov_b32 s20, exec_lo
	v_cmpx_gt_u32_e32 8, v50
; %bb.1645:                             ;   in Loop: Header=BB308_998 Depth=1
	v_ffbh_u32_e32 v23, v48
	v_min_u32_e32 v23, 32, v23
	v_subrev_nc_u32_e32 v48, 28, v23
	v_lshlrev_b64 v[48:49], v48, v[0:1]
	v_sub_nc_u32_e32 v49, 29, v23
	v_and_b32_e32 v48, 7, v48
; %bb.1646:                             ;   in Loop: Header=BB308_998 Depth=1
	s_or_b32 exec_lo, exec_lo, s20
	v_lshlrev_b32_e32 v0, 8, v0
	v_lshl_add_u32 v23, v49, 10, 0x2000
	v_lshlrev_b32_e32 v48, 7, v48
	v_and_b32_e32 v0, 0x8000, v0
	v_and_b32_e32 v23, 0xfc00, v23
	v_or3_b32 v48, v0, v23, v48
.LBB308_1647:                           ;   in Loop: Header=BB308_998 Depth=1
	s_or_b32 exec_lo, exec_lo, s18
.LBB308_1648:                           ;   in Loop: Header=BB308_998 Depth=1
	s_or_b32 exec_lo, exec_lo, s17
.LBB308_1649:                           ;   in Loop: Header=BB308_998 Depth=1
	s_or_b32 exec_lo, exec_lo, s16
	v_cmp_lt_u64_e64 s4, s[12:13], v[11:12]
	v_mov_b32_e32 v11, 0
	s_and_saveexec_b32 s16, s4
	s_cbranch_execz .LBB308_1657
; %bb.1650:                             ;   in Loop: Header=BB308_998 Depth=1
	v_lshrrev_b32_e32 v0, 24, v12
	v_bfrev_b32_e32 v11, 1
	s_mov_b32 s17, exec_lo
	v_cmpx_ne_u32_e32 0x80, v0
	s_cbranch_execz .LBB308_1656
; %bb.1651:                             ;   in Loop: Header=BB308_998 Depth=1
	v_and_b32_e32 v49, 0x7f, v0
	v_mov_b32_e32 v11, 0x7c010000
	s_mov_b32 s18, exec_lo
	v_cmpx_ne_u32_e32 0x7f, v49
	s_cbranch_execz .LBB308_1655
; %bb.1652:                             ;   in Loop: Header=BB308_998 Depth=1
	v_and_b32_e32 v11, 7, v0
	v_lshrrev_b32_e32 v12, 3, v49
	s_mov_b32 s20, exec_lo
	v_cmpx_gt_u32_e32 8, v49
; %bb.1653:                             ;   in Loop: Header=BB308_998 Depth=1
	v_ffbh_u32_e32 v11, v11
	v_min_u32_e32 v23, 32, v11
	v_subrev_nc_u32_e32 v11, 28, v23
	v_lshlrev_b64 v[11:12], v11, v[0:1]
	v_sub_nc_u32_e32 v12, 29, v23
	v_and_b32_e32 v11, 7, v11
; %bb.1654:                             ;   in Loop: Header=BB308_998 Depth=1
	s_or_b32 exec_lo, exec_lo, s20
	v_lshlrev_b32_e32 v0, 8, v0
	v_lshl_add_u32 v12, v12, 10, 0x2000
	v_lshlrev_b32_e32 v11, 23, v11
	v_and_or_b32 v0, 0x8000, v0, v12
	v_lshl_or_b32 v11, v0, 16, v11
.LBB308_1655:                           ;   in Loop: Header=BB308_998 Depth=1
	s_or_b32 exec_lo, exec_lo, s18
.LBB308_1656:                           ;   in Loop: Header=BB308_998 Depth=1
	s_or_b32 exec_lo, exec_lo, s17
.LBB308_1657:                           ;   in Loop: Header=BB308_998 Depth=1
	s_or_b32 exec_lo, exec_lo, s16
	v_or_b32_e32 v0, v35, v38
	s_waitcnt vmcnt(0) lgkmcnt(0)
	v_fma_mixlo_f16 v12, v6, v35, 0 op_sel:[0,1,0] op_sel_hi:[0,1,0]
	v_or_b32_e32 v23, v16, v22
	v_fma_mixlo_f16 v16, v6, v16, 0 op_sel:[0,1,0] op_sel_hi:[0,1,0]
	v_or_b32_e32 v26, v27, v26
	v_fma_mixlo_f16 v35, v6, v0, 0 op_sel_hi:[0,1,0]
	v_or_b32_e32 v38, v11, v48
	v_lshlrev_b32_e32 v0, 16, v12
	v_lshlrev_b32_e32 v22, 16, v16
	v_fma_mixlo_f16 v16, v6, v23, 0 op_sel_hi:[0,1,0]
	v_and_b32_e32 v12, 0xffff, v35
	v_fma_mixlo_f16 v23, v6, v27, 0 op_sel:[0,1,0] op_sel_hi:[0,1,0]
	v_fma_mixlo_f16 v26, v6, v26, 0 op_sel_hi:[0,1,0]
	v_fma_mixlo_f16 v35, v6, v11, 0 op_sel:[0,1,0] op_sel_hi:[0,1,0]
	v_fma_mixlo_f16 v38, v6, v38, 0 op_sel_hi:[0,1,0]
	v_and_b32_e32 v49, 0xffff, v16
	v_lshlrev_b32_e32 v11, 16, v23
	v_and_b32_e32 v27, 0xffff, v26
	v_lshlrev_b32_e32 v6, 16, v35
	v_and_b32_e32 v16, 0xffff, v38
	v_or_b32_e32 v26, v0, v12
	v_or_b32_e32 v48, v22, v49
	;; [unrolled: 1-line block ×4, first 2 shown]
	s_and_saveexec_b32 s16, vcc_lo
	s_cbranch_execz .LBB308_1659
; %bb.1658:                             ;   in Loop: Header=BB308_998 Depth=1
	v_cmp_lt_i32_e64 s4, v18, v36
	v_cndmask_b32_e64 v23, 0, v49, s4
	v_cmp_lt_i32_e64 s4, v99, v36
	v_cndmask_b32_e64 v22, 0, v22, s4
	v_cmp_lt_i32_e64 s4, v98, v36
	v_or_b32_e32 v48, v23, v22
	v_cndmask_b32_e64 v12, 0, v12, s4
	v_cmp_lt_i32_e64 s4, v97, v36
	v_cndmask_b32_e64 v0, 0, v0, s4
	v_cmp_lt_i32_e64 s4, v96, v36
	v_or_b32_e32 v26, v12, v0
	;; [unrolled: 5-line block ×3, first 2 shown]
	v_cndmask_b32_e64 v16, 0, v16, s4
	v_cmp_lt_i32_e64 s4, v85, v36
	v_cndmask_b32_e64 v6, 0, v6, s4
	v_or_b32_e32 v35, v16, v6
.LBB308_1659:                           ;   in Loop: Header=BB308_998 Depth=1
	s_or_b32 exec_lo, exec_lo, s16
	;;#ASMSTART
	v_pk_mul_f16 v0, v84, v48;

	;;#ASMEND
	;;#ASMSTART
	v_pk_mul_f16 v6, v83, v26;

	;;#ASMEND
	;; [unrolled: 4-line block ×4, first 2 shown]
	;;#ASMSTART
	v_pk_add_f16 v0, v0, v6;

	;;#ASMEND
	;;#ASMSTART
	v_pk_add_f16 v0, v0, v11;

	;;#ASMEND
	;; [unrolled: 4-line block ×3, first 2 shown]
	v_and_b32_e32 v6, 0xffff, v0
	v_lshrrev_b32_e32 v0, 16, v0
	;;#ASMSTART
	v_cvt_f32_f16 v6, v6;
	;;#ASMEND
	;;#ASMSTART
	v_cvt_f32_f16 v22, v0;
	;;#ASMEND
	flat_load_dwordx2 v[11:12], v[9:10] offset:512
	s_clause 0x1
	buffer_load_dword v26, off, s[0:3], s32 offset:200
	buffer_load_dword v27, off, s[0:3], s32 offset:204
	v_mov_b32_e32 v35, 0
	v_mov_b32_e32 v38, 0
	s_waitcnt vmcnt(2) lgkmcnt(0)
	v_cmp_ne_u16_sdwa s4, v11, v1 src0_sel:BYTE_0 src1_sel:DWORD
	s_waitcnt vmcnt(0)
	flat_load_dword v16, v[26:27]
	s_and_saveexec_b32 s16, s4
	s_cbranch_execz .LBB308_1667
; %bb.1660:                             ;   in Loop: Header=BB308_998 Depth=1
	v_cmp_ne_u16_sdwa s4, v11, v17 src0_sel:BYTE_0 src1_sel:DWORD
	v_mov_b32_e32 v38, 0x8000
	s_and_saveexec_b32 s17, s4
	s_cbranch_execz .LBB308_1666
; %bb.1661:                             ;   in Loop: Header=BB308_998 Depth=1
	v_and_b32_e32 v27, 0x7f, v11
	v_mov_b32_e32 v38, 0x7c01
	s_mov_b32 s18, exec_lo
	v_cmpx_ne_u32_e32 0x7f, v27
	s_cbranch_execz .LBB308_1665
; %bb.1662:                             ;   in Loop: Header=BB308_998 Depth=1
	v_and_b32_e32 v0, 7, v11
	v_lshrrev_b32_e32 v26, 3, v27
	s_mov_b32 s20, exec_lo
	v_cmpx_gt_u32_e32 8, v27
; %bb.1663:                             ;   in Loop: Header=BB308_998 Depth=1
	v_ffbh_u32_e32 v0, v0
	v_min_u32_e32 v0, 32, v0
	v_subrev_nc_u32_e32 v23, 28, v0
	v_sub_nc_u32_e32 v26, 29, v0
	v_lshlrev_b64 v[48:49], v23, v[11:12]
	v_and_b32_e32 v0, 7, v48
; %bb.1664:                             ;   in Loop: Header=BB308_998 Depth=1
	s_or_b32 exec_lo, exec_lo, s20
	v_lshlrev_b32_e32 v23, 8, v11
	v_lshl_add_u32 v26, v26, 10, 0x2000
	v_lshlrev_b32_e32 v0, 7, v0
	v_and_b32_e32 v23, 0x8000, v23
	v_and_b32_e32 v26, 0xfc00, v26
	v_or3_b32 v38, v23, v26, v0
.LBB308_1665:                           ;   in Loop: Header=BB308_998 Depth=1
	s_or_b32 exec_lo, exec_lo, s18
.LBB308_1666:                           ;   in Loop: Header=BB308_998 Depth=1
	s_or_b32 exec_lo, exec_lo, s17
.LBB308_1667:                           ;   in Loop: Header=BB308_998 Depth=1
	s_or_b32 exec_lo, exec_lo, s16
	v_lshrrev_b16 v0, 8, v11
	s_mov_b32 s16, exec_lo
	v_cmpx_ne_u16_e32 0, v0
	s_cbranch_execz .LBB308_1675
; %bb.1668:                             ;   in Loop: Header=BB308_998 Depth=1
	v_bfrev_b32_e32 v35, 1
	s_mov_b32 s17, exec_lo
	v_cmpx_ne_u16_e32 0x80, v0
	s_cbranch_execz .LBB308_1674
; %bb.1669:                             ;   in Loop: Header=BB308_998 Depth=1
	v_and_b32_sdwa v48, v0, v53 dst_sel:DWORD dst_unused:UNUSED_PAD src0_sel:WORD_0 src1_sel:DWORD
	v_mov_b32_e32 v35, 0x7c010000
	s_mov_b32 s18, exec_lo
	v_cmpx_ne_u32_e32 0x7f, v48
	s_cbranch_execz .LBB308_1673
; %bb.1670:                             ;   in Loop: Header=BB308_998 Depth=1
	v_and_b32_sdwa v26, v0, v54 dst_sel:DWORD dst_unused:UNUSED_PAD src0_sel:WORD_0 src1_sel:DWORD
	v_lshrrev_b32_e32 v27, 3, v48
	s_mov_b32 s20, exec_lo
	v_cmpx_gt_u32_e32 8, v48
; %bb.1671:                             ;   in Loop: Header=BB308_998 Depth=1
	v_ffbh_u32_e32 v23, v26
	v_min_u32_e32 v23, 32, v23
	v_subrev_nc_u32_e32 v26, 28, v23
	v_lshlrev_b64 v[26:27], v26, v[0:1]
	v_sub_nc_u32_e32 v27, 29, v23
	v_and_b32_e32 v26, 7, v26
; %bb.1672:                             ;   in Loop: Header=BB308_998 Depth=1
	s_or_b32 exec_lo, exec_lo, s20
	v_lshlrev_b32_sdwa v0, v70, v0 dst_sel:DWORD dst_unused:UNUSED_PAD src0_sel:DWORD src1_sel:WORD_0
	v_lshl_add_u32 v23, v27, 10, 0x2000
	v_and_or_b32 v0, 0x8000, v0, v23
	v_lshlrev_b32_e32 v23, 23, v26
	v_lshl_or_b32 v35, v0, 16, v23
.LBB308_1673:                           ;   in Loop: Header=BB308_998 Depth=1
	s_or_b32 exec_lo, exec_lo, s18
.LBB308_1674:                           ;   in Loop: Header=BB308_998 Depth=1
	s_or_b32 exec_lo, exec_lo, s17
.LBB308_1675:                           ;   in Loop: Header=BB308_998 Depth=1
	s_or_b32 exec_lo, exec_lo, s16
	v_lshrrev_b32_e32 v0, 16, v11
	v_mov_b32_e32 v48, 0
	v_mov_b32_e32 v49, 0
	v_cmp_ne_u16_sdwa s4, v0, v1 src0_sel:BYTE_0 src1_sel:DWORD
	s_and_saveexec_b32 s16, s4
	s_cbranch_execz .LBB308_1683
; %bb.1676:                             ;   in Loop: Header=BB308_998 Depth=1
	v_cmp_ne_u16_sdwa s4, v0, v17 src0_sel:BYTE_0 src1_sel:DWORD
	v_mov_b32_e32 v49, 0x8000
	s_and_saveexec_b32 s17, s4
	s_cbranch_execz .LBB308_1682
; %bb.1677:                             ;   in Loop: Header=BB308_998 Depth=1
	v_bfe_u32 v50, v11, 16, 7
	v_mov_b32_e32 v49, 0x7c01
	s_mov_b32 s18, exec_lo
	v_cmpx_ne_u32_e32 0x7f, v50
	s_cbranch_execz .LBB308_1681
; %bb.1678:                             ;   in Loop: Header=BB308_998 Depth=1
	v_and_b32_e32 v26, 7, v0
	v_lshrrev_b32_e32 v27, 3, v50
	s_mov_b32 s20, exec_lo
	v_cmpx_gt_u32_e32 8, v50
; %bb.1679:                             ;   in Loop: Header=BB308_998 Depth=1
	v_ffbh_u32_e32 v23, v26
	v_min_u32_e32 v23, 32, v23
	v_subrev_nc_u32_e32 v26, 28, v23
	v_lshlrev_b64 v[26:27], v26, v[0:1]
	v_sub_nc_u32_e32 v27, 29, v23
	v_and_b32_e32 v26, 7, v26
; %bb.1680:                             ;   in Loop: Header=BB308_998 Depth=1
	s_or_b32 exec_lo, exec_lo, s20
	v_lshlrev_b32_e32 v0, 8, v0
	v_lshl_add_u32 v23, v27, 10, 0x2000
	v_lshlrev_b32_e32 v26, 7, v26
	v_and_b32_e32 v0, 0x8000, v0
	v_and_b32_e32 v23, 0xfc00, v23
	v_or3_b32 v49, v0, v23, v26
.LBB308_1681:                           ;   in Loop: Header=BB308_998 Depth=1
	s_or_b32 exec_lo, exec_lo, s18
.LBB308_1682:                           ;   in Loop: Header=BB308_998 Depth=1
	s_or_b32 exec_lo, exec_lo, s17
.LBB308_1683:                           ;   in Loop: Header=BB308_998 Depth=1
	s_or_b32 exec_lo, exec_lo, s16
	s_mov_b32 s16, exec_lo
	v_cmpx_lt_u32_e32 0xffffff, v11
	s_cbranch_execz .LBB308_1691
; %bb.1684:                             ;   in Loop: Header=BB308_998 Depth=1
	v_lshrrev_b32_e32 v0, 24, v11
	v_bfrev_b32_e32 v48, 1
	s_mov_b32 s17, exec_lo
	v_cmpx_ne_u32_e32 0x80, v0
	s_cbranch_execz .LBB308_1690
; %bb.1685:                             ;   in Loop: Header=BB308_998 Depth=1
	v_and_b32_e32 v50, 0x7f, v0
	v_mov_b32_e32 v48, 0x7c010000
	s_mov_b32 s18, exec_lo
	v_cmpx_ne_u32_e32 0x7f, v50
	s_cbranch_execz .LBB308_1689
; %bb.1686:                             ;   in Loop: Header=BB308_998 Depth=1
	v_and_b32_e32 v26, 7, v0
	v_lshrrev_b32_e32 v27, 3, v50
	s_mov_b32 s20, exec_lo
	v_cmpx_gt_u32_e32 8, v50
; %bb.1687:                             ;   in Loop: Header=BB308_998 Depth=1
	v_ffbh_u32_e32 v23, v26
	v_min_u32_e32 v23, 32, v23
	v_subrev_nc_u32_e32 v26, 28, v23
	v_lshlrev_b64 v[26:27], v26, v[0:1]
	v_sub_nc_u32_e32 v27, 29, v23
	v_and_b32_e32 v26, 7, v26
; %bb.1688:                             ;   in Loop: Header=BB308_998 Depth=1
	s_or_b32 exec_lo, exec_lo, s20
	v_lshlrev_b32_e32 v0, 8, v0
	v_lshl_add_u32 v23, v27, 10, 0x2000
	v_and_or_b32 v0, 0x8000, v0, v23
	v_lshlrev_b32_e32 v23, 23, v26
	v_lshl_or_b32 v48, v0, 16, v23
.LBB308_1689:                           ;   in Loop: Header=BB308_998 Depth=1
	s_or_b32 exec_lo, exec_lo, s18
.LBB308_1690:                           ;   in Loop: Header=BB308_998 Depth=1
	s_or_b32 exec_lo, exec_lo, s17
.LBB308_1691:                           ;   in Loop: Header=BB308_998 Depth=1
	s_or_b32 exec_lo, exec_lo, s16
	v_mov_b32_e32 v0, v12
	v_cmp_ne_u16_sdwa s4, v12, v1 src0_sel:BYTE_0 src1_sel:DWORD
	v_mov_b32_e32 v50, 0
	v_mov_b32_e32 v26, 0
	s_and_saveexec_b32 s16, s4
	s_cbranch_execz .LBB308_1699
; %bb.1692:                             ;   in Loop: Header=BB308_998 Depth=1
	v_cmp_ne_u16_sdwa s4, v12, v17 src0_sel:BYTE_0 src1_sel:DWORD
	v_mov_b32_e32 v26, 0x8000
	s_and_saveexec_b32 s17, s4
	s_cbranch_execz .LBB308_1698
; %bb.1693:                             ;   in Loop: Header=BB308_998 Depth=1
	v_and_b32_e32 v51, 0x7f, v12
	v_mov_b32_e32 v26, 0x7c01
	s_mov_b32 s18, exec_lo
	v_cmpx_ne_u32_e32 0x7f, v51
	s_cbranch_execz .LBB308_1697
; %bb.1694:                             ;   in Loop: Header=BB308_998 Depth=1
	v_and_b32_e32 v26, 7, v12
	v_lshrrev_b32_e32 v27, 3, v51
	s_mov_b32 s20, exec_lo
	v_cmpx_gt_u32_e32 8, v51
; %bb.1695:                             ;   in Loop: Header=BB308_998 Depth=1
	v_ffbh_u32_e32 v23, v26
	v_min_u32_e32 v23, 32, v23
	v_subrev_nc_u32_e32 v26, 28, v23
	v_lshlrev_b64 v[26:27], v26, v[0:1]
	v_sub_nc_u32_e32 v27, 29, v23
	v_and_b32_e32 v26, 7, v26
; %bb.1696:                             ;   in Loop: Header=BB308_998 Depth=1
	s_or_b32 exec_lo, exec_lo, s20
	v_lshlrev_b32_e32 v23, 8, v12
	v_lshl_add_u32 v27, v27, 10, 0x2000
	v_lshlrev_b32_e32 v26, 7, v26
	v_and_b32_e32 v23, 0x8000, v23
	v_and_b32_e32 v27, 0xfc00, v27
	v_or3_b32 v26, v23, v27, v26
.LBB308_1697:                           ;   in Loop: Header=BB308_998 Depth=1
	s_or_b32 exec_lo, exec_lo, s18
.LBB308_1698:                           ;   in Loop: Header=BB308_998 Depth=1
	s_or_b32 exec_lo, exec_lo, s17
.LBB308_1699:                           ;   in Loop: Header=BB308_998 Depth=1
	s_or_b32 exec_lo, exec_lo, s16
	v_lshrrev_b16 v0, 8, v0
	v_mov_b32_e32 v27, 0
	s_mov_b32 s16, exec_lo
	v_cmpx_ne_u16_e32 0, v0
	s_cbranch_execz .LBB308_1707
; %bb.1700:                             ;   in Loop: Header=BB308_998 Depth=1
	v_bfrev_b32_e32 v27, 1
	s_mov_b32 s17, exec_lo
	v_cmpx_ne_u16_e32 0x80, v0
	s_cbranch_execz .LBB308_1706
; %bb.1701:                             ;   in Loop: Header=BB308_998 Depth=1
	v_and_b32_sdwa v115, v0, v53 dst_sel:DWORD dst_unused:UNUSED_PAD src0_sel:WORD_0 src1_sel:DWORD
	v_mov_b32_e32 v27, 0x7c010000
	s_mov_b32 s18, exec_lo
	v_cmpx_ne_u32_e32 0x7f, v115
	s_cbranch_execz .LBB308_1705
; %bb.1702:                             ;   in Loop: Header=BB308_998 Depth=1
	v_and_b32_sdwa v27, v0, v54 dst_sel:DWORD dst_unused:UNUSED_PAD src0_sel:WORD_0 src1_sel:DWORD
	v_lshrrev_b32_e32 v51, 3, v115
	s_mov_b32 s20, exec_lo
	v_cmpx_gt_u32_e32 8, v115
; %bb.1703:                             ;   in Loop: Header=BB308_998 Depth=1
	v_ffbh_u32_e32 v23, v27
	v_min_u32_e32 v23, 32, v23
	v_subrev_nc_u32_e32 v27, 28, v23
	v_sub_nc_u32_e32 v51, 29, v23
	v_lshlrev_b64 v[41:42], v27, v[0:1]
	v_and_b32_e32 v27, 7, v41
; %bb.1704:                             ;   in Loop: Header=BB308_998 Depth=1
	s_or_b32 exec_lo, exec_lo, s20
	v_lshlrev_b32_sdwa v0, v70, v0 dst_sel:DWORD dst_unused:UNUSED_PAD src0_sel:DWORD src1_sel:WORD_0
	v_lshl_add_u32 v23, v51, 10, 0x2000
	v_and_or_b32 v0, 0x8000, v0, v23
	v_lshlrev_b32_e32 v23, 23, v27
	v_lshl_or_b32 v27, v0, 16, v23
.LBB308_1705:                           ;   in Loop: Header=BB308_998 Depth=1
	s_or_b32 exec_lo, exec_lo, s18
.LBB308_1706:                           ;   in Loop: Header=BB308_998 Depth=1
	s_or_b32 exec_lo, exec_lo, s17
.LBB308_1707:                           ;   in Loop: Header=BB308_998 Depth=1
	s_or_b32 exec_lo, exec_lo, s16
	v_lshrrev_b32_e32 v0, 16, v12
	v_cmp_ne_u16_sdwa s4, v0, v1 src0_sel:BYTE_0 src1_sel:DWORD
	s_and_saveexec_b32 s16, s4
	s_cbranch_execz .LBB308_1715
; %bb.1708:                             ;   in Loop: Header=BB308_998 Depth=1
	v_cmp_ne_u16_sdwa s4, v0, v17 src0_sel:BYTE_0 src1_sel:DWORD
	v_mov_b32_e32 v50, 0x8000
	s_and_saveexec_b32 s17, s4
	s_cbranch_execz .LBB308_1714
; %bb.1709:                             ;   in Loop: Header=BB308_998 Depth=1
	v_bfe_u32 v115, v12, 16, 7
	v_mov_b32_e32 v50, 0x7c01
	s_mov_b32 s18, exec_lo
	v_cmpx_ne_u32_e32 0x7f, v115
	s_cbranch_execz .LBB308_1713
; %bb.1710:                             ;   in Loop: Header=BB308_998 Depth=1
	v_and_b32_e32 v50, 7, v0
	v_lshrrev_b32_e32 v51, 3, v115
	s_mov_b32 s20, exec_lo
	v_cmpx_gt_u32_e32 8, v115
; %bb.1711:                             ;   in Loop: Header=BB308_998 Depth=1
	v_ffbh_u32_e32 v23, v50
	v_min_u32_e32 v23, 32, v23
	v_subrev_nc_u32_e32 v50, 28, v23
	v_lshlrev_b64 v[50:51], v50, v[0:1]
	v_sub_nc_u32_e32 v51, 29, v23
	v_and_b32_e32 v50, 7, v50
; %bb.1712:                             ;   in Loop: Header=BB308_998 Depth=1
	s_or_b32 exec_lo, exec_lo, s20
	v_lshlrev_b32_e32 v0, 8, v0
	v_lshl_add_u32 v23, v51, 10, 0x2000
	v_lshlrev_b32_e32 v50, 7, v50
	v_and_b32_e32 v0, 0x8000, v0
	v_and_b32_e32 v23, 0xfc00, v23
	v_or3_b32 v50, v0, v23, v50
.LBB308_1713:                           ;   in Loop: Header=BB308_998 Depth=1
	s_or_b32 exec_lo, exec_lo, s18
.LBB308_1714:                           ;   in Loop: Header=BB308_998 Depth=1
	s_or_b32 exec_lo, exec_lo, s17
.LBB308_1715:                           ;   in Loop: Header=BB308_998 Depth=1
	s_or_b32 exec_lo, exec_lo, s16
	v_cmp_lt_u64_e64 s4, s[12:13], v[11:12]
	v_mov_b32_e32 v11, 0
	s_and_saveexec_b32 s16, s4
	s_cbranch_execz .LBB308_1723
; %bb.1716:                             ;   in Loop: Header=BB308_998 Depth=1
	v_lshrrev_b32_e32 v0, 24, v12
	v_bfrev_b32_e32 v11, 1
	s_mov_b32 s17, exec_lo
	v_cmpx_ne_u32_e32 0x80, v0
	s_cbranch_execz .LBB308_1722
; %bb.1717:                             ;   in Loop: Header=BB308_998 Depth=1
	v_and_b32_e32 v51, 0x7f, v0
	v_mov_b32_e32 v11, 0x7c010000
	s_mov_b32 s18, exec_lo
	v_cmpx_ne_u32_e32 0x7f, v51
	s_cbranch_execz .LBB308_1721
; %bb.1718:                             ;   in Loop: Header=BB308_998 Depth=1
	v_and_b32_e32 v11, 7, v0
	v_lshrrev_b32_e32 v12, 3, v51
	s_mov_b32 s20, exec_lo
	v_cmpx_gt_u32_e32 8, v51
; %bb.1719:                             ;   in Loop: Header=BB308_998 Depth=1
	v_ffbh_u32_e32 v11, v11
	v_min_u32_e32 v23, 32, v11
	v_subrev_nc_u32_e32 v11, 28, v23
	v_lshlrev_b64 v[11:12], v11, v[0:1]
	v_sub_nc_u32_e32 v12, 29, v23
	v_and_b32_e32 v11, 7, v11
; %bb.1720:                             ;   in Loop: Header=BB308_998 Depth=1
	s_or_b32 exec_lo, exec_lo, s20
	v_lshlrev_b32_e32 v0, 8, v0
	v_lshl_add_u32 v12, v12, 10, 0x2000
	v_lshlrev_b32_e32 v11, 23, v11
	v_and_or_b32 v0, 0x8000, v0, v12
	v_lshl_or_b32 v11, v0, 16, v11
.LBB308_1721:                           ;   in Loop: Header=BB308_998 Depth=1
	s_or_b32 exec_lo, exec_lo, s18
.LBB308_1722:                           ;   in Loop: Header=BB308_998 Depth=1
	s_or_b32 exec_lo, exec_lo, s17
.LBB308_1723:                           ;   in Loop: Header=BB308_998 Depth=1
	s_or_b32 exec_lo, exec_lo, s16
	v_or_b32_e32 v0, v48, v49
	s_waitcnt vmcnt(0) lgkmcnt(0)
	v_fma_mixlo_f16 v12, v16, v48, 0 op_sel:[0,1,0] op_sel_hi:[0,1,0]
	v_or_b32_e32 v23, v35, v38
	v_or_b32_e32 v26, v27, v26
	;; [unrolled: 1-line block ×3, first 2 shown]
	v_fma_mixlo_f16 v35, v16, v35, 0 op_sel:[0,1,0] op_sel_hi:[0,1,0]
	v_fma_mixlo_f16 v38, v16, v0, 0 op_sel_hi:[0,1,0]
	v_fma_mixlo_f16 v23, v16, v23, 0 op_sel_hi:[0,1,0]
	v_fma_mixlo_f16 v27, v16, v27, 0 op_sel:[0,1,0] op_sel_hi:[0,1,0]
	v_fma_mixlo_f16 v26, v16, v26, 0 op_sel_hi:[0,1,0]
	v_fma_mixlo_f16 v11, v16, v11, 0 op_sel:[0,1,0] op_sel_hi:[0,1,0]
	v_fma_mixlo_f16 v48, v16, v48, 0 op_sel_hi:[0,1,0]
	v_lshlrev_b32_e32 v0, 16, v12
	v_lshlrev_b32_e32 v35, 16, v35
	v_and_b32_e32 v12, 0xffff, v38
	v_and_b32_e32 v51, 0xffff, v23
	v_lshlrev_b32_e32 v16, 16, v27
	v_and_b32_e32 v38, 0xffff, v26
	v_lshlrev_b32_e32 v11, 16, v11
	v_and_b32_e32 v26, 0xffff, v48
	v_or_b32_e32 v27, v0, v12
	v_or_b32_e32 v50, v35, v51
	;; [unrolled: 1-line block ×4, first 2 shown]
	s_and_saveexec_b32 s16, vcc_lo
	s_cbranch_execz .LBB308_1725
; %bb.1724:                             ;   in Loop: Header=BB308_998 Depth=1
	v_cmp_lt_i32_e64 s4, v18, v36
	v_cndmask_b32_e64 v23, 0, v51, s4
	v_cmp_lt_i32_e64 s4, v99, v36
	v_cndmask_b32_e64 v27, 0, v35, s4
	v_cmp_lt_i32_e64 s4, v98, v36
	v_or_b32_e32 v50, v23, v27
	v_cndmask_b32_e64 v12, 0, v12, s4
	v_cmp_lt_i32_e64 s4, v97, v36
	v_cndmask_b32_e64 v0, 0, v0, s4
	v_cmp_lt_i32_e64 s4, v96, v36
	v_or_b32_e32 v27, v12, v0
	;; [unrolled: 5-line block ×3, first 2 shown]
	v_cndmask_b32_e64 v26, 0, v26, s4
	v_cmp_lt_i32_e64 s4, v85, v36
	v_cndmask_b32_e64 v11, 0, v11, s4
	v_or_b32_e32 v48, v26, v11
.LBB308_1725:                           ;   in Loop: Header=BB308_998 Depth=1
	s_or_b32 exec_lo, exec_lo, s16
	;;#ASMSTART
	v_pk_mul_f16 v0, v84, v50;

	;;#ASMEND
	;;#ASMSTART
	v_pk_mul_f16 v11, v83, v27;

	;;#ASMEND
	;; [unrolled: 4-line block ×4, first 2 shown]
	;;#ASMSTART
	v_pk_add_f16 v0, v0, v11;

	;;#ASMEND
	;;#ASMSTART
	v_pk_add_f16 v0, v0, v12;

	;;#ASMEND
	;; [unrolled: 4-line block ×3, first 2 shown]
	v_and_b32_e32 v11, 0xffff, v0
	v_lshrrev_b32_e32 v0, 16, v0
	;;#ASMSTART
	v_cvt_f32_f16 v35, v11;
	;;#ASMEND
	;;#ASMSTART
	v_cvt_f32_f16 v38, v0;
	;;#ASMEND
	flat_load_dwordx2 v[11:12], v[9:10] offset:768
	s_clause 0x1
	buffer_load_dword v26, off, s[0:3], s32 offset:200
	buffer_load_dword v27, off, s[0:3], s32 offset:204
	v_mov_b32_e32 v48, 0
	v_mov_b32_e32 v49, 0
	s_waitcnt vmcnt(2) lgkmcnt(0)
	v_cmp_ne_u16_sdwa s4, v11, v1 src0_sel:BYTE_0 src1_sel:DWORD
	s_waitcnt vmcnt(0)
	flat_load_dword v16, v[26:27]
	s_and_saveexec_b32 s16, s4
	s_cbranch_execz .LBB308_1733
; %bb.1726:                             ;   in Loop: Header=BB308_998 Depth=1
	v_cmp_ne_u16_sdwa s4, v11, v17 src0_sel:BYTE_0 src1_sel:DWORD
	v_mov_b32_e32 v49, 0x8000
	s_and_saveexec_b32 s17, s4
	s_cbranch_execz .LBB308_1732
; %bb.1727:                             ;   in Loop: Header=BB308_998 Depth=1
	v_and_b32_e32 v27, 0x7f, v11
	v_mov_b32_e32 v49, 0x7c01
	s_mov_b32 s18, exec_lo
	v_cmpx_ne_u32_e32 0x7f, v27
	s_cbranch_execz .LBB308_1731
; %bb.1728:                             ;   in Loop: Header=BB308_998 Depth=1
	v_and_b32_e32 v0, 7, v11
	v_lshrrev_b32_e32 v26, 3, v27
	s_mov_b32 s20, exec_lo
	v_cmpx_gt_u32_e32 8, v27
; %bb.1729:                             ;   in Loop: Header=BB308_998 Depth=1
	v_ffbh_u32_e32 v0, v0
	v_min_u32_e32 v0, 32, v0
	v_subrev_nc_u32_e32 v23, 28, v0
	v_sub_nc_u32_e32 v26, 29, v0
	v_lshlrev_b64 v[49:50], v23, v[11:12]
	v_and_b32_e32 v0, 7, v49
; %bb.1730:                             ;   in Loop: Header=BB308_998 Depth=1
	s_or_b32 exec_lo, exec_lo, s20
	v_lshlrev_b32_e32 v23, 8, v11
	v_lshl_add_u32 v26, v26, 10, 0x2000
	v_lshlrev_b32_e32 v0, 7, v0
	v_and_b32_e32 v23, 0x8000, v23
	v_and_b32_e32 v26, 0xfc00, v26
	v_or3_b32 v49, v23, v26, v0
.LBB308_1731:                           ;   in Loop: Header=BB308_998 Depth=1
	s_or_b32 exec_lo, exec_lo, s18
.LBB308_1732:                           ;   in Loop: Header=BB308_998 Depth=1
	s_or_b32 exec_lo, exec_lo, s17
.LBB308_1733:                           ;   in Loop: Header=BB308_998 Depth=1
	s_or_b32 exec_lo, exec_lo, s16
	v_lshrrev_b16 v0, 8, v11
	s_mov_b32 s16, exec_lo
	v_cmpx_ne_u16_e32 0, v0
	s_cbranch_execz .LBB308_1741
; %bb.1734:                             ;   in Loop: Header=BB308_998 Depth=1
	v_bfrev_b32_e32 v48, 1
	s_mov_b32 s17, exec_lo
	v_cmpx_ne_u16_e32 0x80, v0
	s_cbranch_execz .LBB308_1740
; %bb.1735:                             ;   in Loop: Header=BB308_998 Depth=1
	v_and_b32_sdwa v50, v0, v53 dst_sel:DWORD dst_unused:UNUSED_PAD src0_sel:WORD_0 src1_sel:DWORD
	v_mov_b32_e32 v48, 0x7c010000
	s_mov_b32 s18, exec_lo
	v_cmpx_ne_u32_e32 0x7f, v50
	s_cbranch_execz .LBB308_1739
; %bb.1736:                             ;   in Loop: Header=BB308_998 Depth=1
	v_and_b32_sdwa v26, v0, v54 dst_sel:DWORD dst_unused:UNUSED_PAD src0_sel:WORD_0 src1_sel:DWORD
	v_lshrrev_b32_e32 v27, 3, v50
	s_mov_b32 s20, exec_lo
	v_cmpx_gt_u32_e32 8, v50
; %bb.1737:                             ;   in Loop: Header=BB308_998 Depth=1
	v_ffbh_u32_e32 v23, v26
	v_min_u32_e32 v23, 32, v23
	v_subrev_nc_u32_e32 v26, 28, v23
	v_lshlrev_b64 v[26:27], v26, v[0:1]
	v_sub_nc_u32_e32 v27, 29, v23
	v_and_b32_e32 v26, 7, v26
; %bb.1738:                             ;   in Loop: Header=BB308_998 Depth=1
	s_or_b32 exec_lo, exec_lo, s20
	v_lshlrev_b32_sdwa v0, v70, v0 dst_sel:DWORD dst_unused:UNUSED_PAD src0_sel:DWORD src1_sel:WORD_0
	v_lshl_add_u32 v23, v27, 10, 0x2000
	v_and_or_b32 v0, 0x8000, v0, v23
	v_lshlrev_b32_e32 v23, 23, v26
	v_lshl_or_b32 v48, v0, 16, v23
.LBB308_1739:                           ;   in Loop: Header=BB308_998 Depth=1
	s_or_b32 exec_lo, exec_lo, s18
.LBB308_1740:                           ;   in Loop: Header=BB308_998 Depth=1
	s_or_b32 exec_lo, exec_lo, s17
.LBB308_1741:                           ;   in Loop: Header=BB308_998 Depth=1
	s_or_b32 exec_lo, exec_lo, s16
	v_lshrrev_b32_e32 v0, 16, v11
	v_mov_b32_e32 v50, 0
	v_mov_b32_e32 v51, 0
	v_cmp_ne_u16_sdwa s4, v0, v1 src0_sel:BYTE_0 src1_sel:DWORD
	s_and_saveexec_b32 s16, s4
	s_cbranch_execz .LBB308_1749
; %bb.1742:                             ;   in Loop: Header=BB308_998 Depth=1
	v_cmp_ne_u16_sdwa s4, v0, v17 src0_sel:BYTE_0 src1_sel:DWORD
	v_mov_b32_e32 v51, 0x8000
	s_and_saveexec_b32 s17, s4
	s_cbranch_execz .LBB308_1748
; %bb.1743:                             ;   in Loop: Header=BB308_998 Depth=1
	v_bfe_u32 v115, v11, 16, 7
	v_mov_b32_e32 v51, 0x7c01
	s_mov_b32 s18, exec_lo
	v_cmpx_ne_u32_e32 0x7f, v115
	s_cbranch_execz .LBB308_1747
; %bb.1744:                             ;   in Loop: Header=BB308_998 Depth=1
	v_and_b32_e32 v26, 7, v0
	v_lshrrev_b32_e32 v27, 3, v115
	s_mov_b32 s20, exec_lo
	v_cmpx_gt_u32_e32 8, v115
; %bb.1745:                             ;   in Loop: Header=BB308_998 Depth=1
	v_ffbh_u32_e32 v23, v26
	v_min_u32_e32 v23, 32, v23
	v_subrev_nc_u32_e32 v26, 28, v23
	v_lshlrev_b64 v[26:27], v26, v[0:1]
	v_sub_nc_u32_e32 v27, 29, v23
	v_and_b32_e32 v26, 7, v26
; %bb.1746:                             ;   in Loop: Header=BB308_998 Depth=1
	s_or_b32 exec_lo, exec_lo, s20
	v_lshlrev_b32_e32 v0, 8, v0
	v_lshl_add_u32 v23, v27, 10, 0x2000
	v_lshlrev_b32_e32 v26, 7, v26
	v_and_b32_e32 v0, 0x8000, v0
	v_and_b32_e32 v23, 0xfc00, v23
	v_or3_b32 v51, v0, v23, v26
.LBB308_1747:                           ;   in Loop: Header=BB308_998 Depth=1
	s_or_b32 exec_lo, exec_lo, s18
.LBB308_1748:                           ;   in Loop: Header=BB308_998 Depth=1
	s_or_b32 exec_lo, exec_lo, s17
.LBB308_1749:                           ;   in Loop: Header=BB308_998 Depth=1
	s_or_b32 exec_lo, exec_lo, s16
	s_mov_b32 s16, exec_lo
	v_cmpx_lt_u32_e32 0xffffff, v11
	s_cbranch_execz .LBB308_1757
; %bb.1750:                             ;   in Loop: Header=BB308_998 Depth=1
	v_lshrrev_b32_e32 v0, 24, v11
	v_bfrev_b32_e32 v50, 1
	s_mov_b32 s17, exec_lo
	v_cmpx_ne_u32_e32 0x80, v0
	s_cbranch_execz .LBB308_1756
; %bb.1751:                             ;   in Loop: Header=BB308_998 Depth=1
	v_and_b32_e32 v115, 0x7f, v0
	v_mov_b32_e32 v50, 0x7c010000
	s_mov_b32 s18, exec_lo
	v_cmpx_ne_u32_e32 0x7f, v115
	s_cbranch_execz .LBB308_1755
; %bb.1752:                             ;   in Loop: Header=BB308_998 Depth=1
	v_and_b32_e32 v26, 7, v0
	v_lshrrev_b32_e32 v27, 3, v115
	s_mov_b32 s20, exec_lo
	v_cmpx_gt_u32_e32 8, v115
; %bb.1753:                             ;   in Loop: Header=BB308_998 Depth=1
	v_ffbh_u32_e32 v23, v26
	v_min_u32_e32 v23, 32, v23
	v_subrev_nc_u32_e32 v26, 28, v23
	v_lshlrev_b64 v[26:27], v26, v[0:1]
	v_sub_nc_u32_e32 v27, 29, v23
	v_and_b32_e32 v26, 7, v26
; %bb.1754:                             ;   in Loop: Header=BB308_998 Depth=1
	s_or_b32 exec_lo, exec_lo, s20
	v_lshlrev_b32_e32 v0, 8, v0
	v_lshl_add_u32 v23, v27, 10, 0x2000
	v_and_or_b32 v0, 0x8000, v0, v23
	v_lshlrev_b32_e32 v23, 23, v26
	v_lshl_or_b32 v50, v0, 16, v23
.LBB308_1755:                           ;   in Loop: Header=BB308_998 Depth=1
	s_or_b32 exec_lo, exec_lo, s18
.LBB308_1756:                           ;   in Loop: Header=BB308_998 Depth=1
	s_or_b32 exec_lo, exec_lo, s17
.LBB308_1757:                           ;   in Loop: Header=BB308_998 Depth=1
	s_or_b32 exec_lo, exec_lo, s16
	v_mov_b32_e32 v0, v12
	v_cmp_ne_u16_sdwa s4, v12, v1 src0_sel:BYTE_0 src1_sel:DWORD
	v_mov_b32_e32 v41, 0
	v_mov_b32_e32 v26, 0
	s_and_saveexec_b32 s16, s4
	s_cbranch_execz .LBB308_1765
; %bb.1758:                             ;   in Loop: Header=BB308_998 Depth=1
	v_cmp_ne_u16_sdwa s4, v12, v17 src0_sel:BYTE_0 src1_sel:DWORD
	v_mov_b32_e32 v26, 0x8000
	s_and_saveexec_b32 s17, s4
	s_cbranch_execz .LBB308_1764
; %bb.1759:                             ;   in Loop: Header=BB308_998 Depth=1
	v_and_b32_e32 v115, 0x7f, v12
	v_mov_b32_e32 v26, 0x7c01
	s_mov_b32 s18, exec_lo
	v_cmpx_ne_u32_e32 0x7f, v115
	s_cbranch_execz .LBB308_1763
; %bb.1760:                             ;   in Loop: Header=BB308_998 Depth=1
	v_and_b32_e32 v26, 7, v12
	v_lshrrev_b32_e32 v27, 3, v115
	s_mov_b32 s20, exec_lo
	v_cmpx_gt_u32_e32 8, v115
; %bb.1761:                             ;   in Loop: Header=BB308_998 Depth=1
	v_ffbh_u32_e32 v23, v26
	v_min_u32_e32 v23, 32, v23
	v_subrev_nc_u32_e32 v26, 28, v23
	v_lshlrev_b64 v[26:27], v26, v[0:1]
	v_sub_nc_u32_e32 v27, 29, v23
	v_and_b32_e32 v26, 7, v26
; %bb.1762:                             ;   in Loop: Header=BB308_998 Depth=1
	s_or_b32 exec_lo, exec_lo, s20
	v_lshlrev_b32_e32 v23, 8, v12
	v_lshl_add_u32 v27, v27, 10, 0x2000
	v_lshlrev_b32_e32 v26, 7, v26
	v_and_b32_e32 v23, 0x8000, v23
	v_and_b32_e32 v27, 0xfc00, v27
	v_or3_b32 v26, v23, v27, v26
.LBB308_1763:                           ;   in Loop: Header=BB308_998 Depth=1
	s_or_b32 exec_lo, exec_lo, s18
.LBB308_1764:                           ;   in Loop: Header=BB308_998 Depth=1
	s_or_b32 exec_lo, exec_lo, s17
.LBB308_1765:                           ;   in Loop: Header=BB308_998 Depth=1
	s_or_b32 exec_lo, exec_lo, s16
	v_lshrrev_b16 v0, 8, v0
	v_mov_b32_e32 v27, 0
	s_mov_b32 s16, exec_lo
	v_cmpx_ne_u16_e32 0, v0
	s_cbranch_execz .LBB308_1773
; %bb.1766:                             ;   in Loop: Header=BB308_998 Depth=1
	v_bfrev_b32_e32 v27, 1
	s_mov_b32 s17, exec_lo
	v_cmpx_ne_u16_e32 0x80, v0
	s_cbranch_execz .LBB308_1772
; %bb.1767:                             ;   in Loop: Header=BB308_998 Depth=1
	v_and_b32_sdwa v42, v0, v53 dst_sel:DWORD dst_unused:UNUSED_PAD src0_sel:WORD_0 src1_sel:DWORD
	v_mov_b32_e32 v27, 0x7c010000
	s_mov_b32 s18, exec_lo
	v_cmpx_ne_u32_e32 0x7f, v42
	s_cbranch_execz .LBB308_1771
; %bb.1768:                             ;   in Loop: Header=BB308_998 Depth=1
	v_and_b32_sdwa v27, v0, v54 dst_sel:DWORD dst_unused:UNUSED_PAD src0_sel:WORD_0 src1_sel:DWORD
	v_lshrrev_b32_e32 v115, 3, v42
	s_mov_b32 s20, exec_lo
	v_cmpx_gt_u32_e32 8, v42
; %bb.1769:                             ;   in Loop: Header=BB308_998 Depth=1
	v_ffbh_u32_e32 v23, v27
	v_min_u32_e32 v23, 32, v23
	v_subrev_nc_u32_e32 v27, 28, v23
	v_sub_nc_u32_e32 v115, 29, v23
	v_lshlrev_b64 v[42:43], v27, v[0:1]
	v_and_b32_e32 v27, 7, v42
; %bb.1770:                             ;   in Loop: Header=BB308_998 Depth=1
	s_or_b32 exec_lo, exec_lo, s20
	v_lshlrev_b32_sdwa v0, v70, v0 dst_sel:DWORD dst_unused:UNUSED_PAD src0_sel:DWORD src1_sel:WORD_0
	v_lshl_add_u32 v23, v115, 10, 0x2000
	v_and_or_b32 v0, 0x8000, v0, v23
	v_lshlrev_b32_e32 v23, 23, v27
	v_lshl_or_b32 v27, v0, 16, v23
.LBB308_1771:                           ;   in Loop: Header=BB308_998 Depth=1
	s_or_b32 exec_lo, exec_lo, s18
.LBB308_1772:                           ;   in Loop: Header=BB308_998 Depth=1
	s_or_b32 exec_lo, exec_lo, s17
.LBB308_1773:                           ;   in Loop: Header=BB308_998 Depth=1
	s_or_b32 exec_lo, exec_lo, s16
	v_lshrrev_b32_e32 v0, 16, v12
	v_cmp_ne_u16_sdwa s4, v0, v1 src0_sel:BYTE_0 src1_sel:DWORD
	s_and_saveexec_b32 s16, s4
	s_cbranch_execz .LBB308_1781
; %bb.1774:                             ;   in Loop: Header=BB308_998 Depth=1
	v_cmp_ne_u16_sdwa s4, v0, v17 src0_sel:BYTE_0 src1_sel:DWORD
	v_mov_b32_e32 v41, 0x8000
	s_and_saveexec_b32 s17, s4
	s_cbranch_execz .LBB308_1780
; %bb.1775:                             ;   in Loop: Header=BB308_998 Depth=1
	v_bfe_u32 v42, v12, 16, 7
	v_mov_b32_e32 v41, 0x7c01
	s_mov_b32 s18, exec_lo
	v_cmpx_ne_u32_e32 0x7f, v42
	s_cbranch_execz .LBB308_1779
; %bb.1776:                             ;   in Loop: Header=BB308_998 Depth=1
	v_and_b32_e32 v115, 7, v0
	v_lshrrev_b32_e32 v41, 3, v42
	s_mov_b32 s20, exec_lo
	v_cmpx_gt_u32_e32 8, v42
; %bb.1777:                             ;   in Loop: Header=BB308_998 Depth=1
	v_ffbh_u32_e32 v23, v115
	v_min_u32_e32 v23, 32, v23
	v_subrev_nc_u32_e32 v115, 28, v23
	v_sub_nc_u32_e32 v41, 29, v23
	v_lshlrev_b64 v[42:43], v115, v[0:1]
	v_and_b32_e32 v115, 7, v42
; %bb.1778:                             ;   in Loop: Header=BB308_998 Depth=1
	s_or_b32 exec_lo, exec_lo, s20
	v_lshlrev_b32_e32 v0, 8, v0
	v_lshl_add_u32 v23, v41, 10, 0x2000
	v_lshlrev_b32_e32 v115, 7, v115
	v_and_b32_e32 v0, 0x8000, v0
	v_and_b32_e32 v23, 0xfc00, v23
	v_or3_b32 v41, v0, v23, v115
.LBB308_1779:                           ;   in Loop: Header=BB308_998 Depth=1
	s_or_b32 exec_lo, exec_lo, s18
.LBB308_1780:                           ;   in Loop: Header=BB308_998 Depth=1
	s_or_b32 exec_lo, exec_lo, s17
.LBB308_1781:                           ;   in Loop: Header=BB308_998 Depth=1
	s_or_b32 exec_lo, exec_lo, s16
	v_cmp_lt_u64_e64 s4, s[12:13], v[11:12]
	v_mov_b32_e32 v11, 0
	s_and_saveexec_b32 s16, s4
	s_cbranch_execz .LBB308_1789
; %bb.1782:                             ;   in Loop: Header=BB308_998 Depth=1
	v_lshrrev_b32_e32 v0, 24, v12
	v_bfrev_b32_e32 v11, 1
	s_mov_b32 s17, exec_lo
	v_cmpx_ne_u32_e32 0x80, v0
	s_cbranch_execz .LBB308_1788
; %bb.1783:                             ;   in Loop: Header=BB308_998 Depth=1
	v_and_b32_e32 v115, 0x7f, v0
	v_mov_b32_e32 v11, 0x7c010000
	s_mov_b32 s18, exec_lo
	v_cmpx_ne_u32_e32 0x7f, v115
	s_cbranch_execz .LBB308_1787
; %bb.1784:                             ;   in Loop: Header=BB308_998 Depth=1
	v_and_b32_e32 v11, 7, v0
	v_lshrrev_b32_e32 v12, 3, v115
	s_mov_b32 s20, exec_lo
	v_cmpx_gt_u32_e32 8, v115
; %bb.1785:                             ;   in Loop: Header=BB308_998 Depth=1
	v_ffbh_u32_e32 v11, v11
	v_min_u32_e32 v23, 32, v11
	v_subrev_nc_u32_e32 v11, 28, v23
	v_lshlrev_b64 v[11:12], v11, v[0:1]
	v_sub_nc_u32_e32 v12, 29, v23
	v_and_b32_e32 v11, 7, v11
; %bb.1786:                             ;   in Loop: Header=BB308_998 Depth=1
	s_or_b32 exec_lo, exec_lo, s20
	v_lshlrev_b32_e32 v0, 8, v0
	v_lshl_add_u32 v12, v12, 10, 0x2000
	v_lshlrev_b32_e32 v11, 23, v11
	v_and_or_b32 v0, 0x8000, v0, v12
	v_lshl_or_b32 v11, v0, 16, v11
.LBB308_1787:                           ;   in Loop: Header=BB308_998 Depth=1
	s_or_b32 exec_lo, exec_lo, s18
.LBB308_1788:                           ;   in Loop: Header=BB308_998 Depth=1
	s_or_b32 exec_lo, exec_lo, s17
.LBB308_1789:                           ;   in Loop: Header=BB308_998 Depth=1
	s_or_b32 exec_lo, exec_lo, s16
	v_or_b32_e32 v0, v50, v51
	s_waitcnt vmcnt(0) lgkmcnt(0)
	v_fma_mixlo_f16 v12, v16, v50, 0 op_sel:[0,1,0] op_sel_hi:[0,1,0]
	v_or_b32_e32 v23, v48, v49
	v_or_b32_e32 v26, v27, v26
	;; [unrolled: 1-line block ×3, first 2 shown]
	v_fma_mixlo_f16 v48, v16, v48, 0 op_sel:[0,1,0] op_sel_hi:[0,1,0]
	v_fma_mixlo_f16 v49, v16, v0, 0 op_sel_hi:[0,1,0]
	v_fma_mixlo_f16 v23, v16, v23, 0 op_sel_hi:[0,1,0]
	v_fma_mixlo_f16 v27, v16, v27, 0 op_sel:[0,1,0] op_sel_hi:[0,1,0]
	v_fma_mixlo_f16 v26, v16, v26, 0 op_sel_hi:[0,1,0]
	v_fma_mixlo_f16 v11, v16, v11, 0 op_sel:[0,1,0] op_sel_hi:[0,1,0]
	v_fma_mixlo_f16 v50, v16, v50, 0 op_sel_hi:[0,1,0]
	v_lshlrev_b32_e32 v0, 16, v12
	v_lshlrev_b32_e32 v48, 16, v48
	v_and_b32_e32 v12, 0xffff, v49
	v_and_b32_e32 v41, 0xffff, v23
	v_lshlrev_b32_e32 v16, 16, v27
	v_and_b32_e32 v49, 0xffff, v26
	v_lshlrev_b32_e32 v11, 16, v11
	v_and_b32_e32 v26, 0xffff, v50
	v_or_b32_e32 v27, v0, v12
	v_or_b32_e32 v115, v48, v41
	;; [unrolled: 1-line block ×4, first 2 shown]
	s_and_saveexec_b32 s16, vcc_lo
	s_cbranch_execz .LBB308_1791
; %bb.1790:                             ;   in Loop: Header=BB308_998 Depth=1
	v_cmp_lt_i32_e64 s4, v18, v36
	v_cndmask_b32_e64 v23, 0, v41, s4
	v_cmp_lt_i32_e64 s4, v99, v36
	v_cndmask_b32_e64 v27, 0, v48, s4
	v_cmp_lt_i32_e64 s4, v98, v36
	v_or_b32_e32 v115, v23, v27
	v_cndmask_b32_e64 v12, 0, v12, s4
	v_cmp_lt_i32_e64 s4, v97, v36
	v_cndmask_b32_e64 v0, 0, v0, s4
	v_cmp_lt_i32_e64 s4, v96, v36
	v_or_b32_e32 v27, v12, v0
	;; [unrolled: 5-line block ×3, first 2 shown]
	v_cndmask_b32_e64 v26, 0, v26, s4
	v_cmp_lt_i32_e64 s4, v85, v36
	v_cndmask_b32_e64 v11, 0, v11, s4
	v_or_b32_e32 v50, v26, v11
.LBB308_1791:                           ;   in Loop: Header=BB308_998 Depth=1
	s_or_b32 exec_lo, exec_lo, s16
	;;#ASMSTART
	v_pk_mul_f16 v0, v84, v115;

	;;#ASMEND
	;;#ASMSTART
	v_pk_mul_f16 v11, v83, v27;

	;;#ASMEND
	;; [unrolled: 4-line block ×4, first 2 shown]
	;;#ASMSTART
	v_pk_add_f16 v0, v0, v11;

	;;#ASMEND
	;;#ASMSTART
	v_pk_add_f16 v0, v0, v12;

	;;#ASMEND
	;; [unrolled: 4-line block ×3, first 2 shown]
	v_and_b32_e32 v11, 0xffff, v0
	v_lshrrev_b32_e32 v0, 16, v0
	;;#ASMSTART
	v_cvt_f32_f16 v48, v11;
	;;#ASMEND
	;;#ASMSTART
	v_cvt_f32_f16 v49, v0;
	;;#ASMEND
	flat_load_dwordx2 v[11:12], v[9:10] offset:1024
	s_clause 0x1
	buffer_load_dword v26, off, s[0:3], s32 offset:200
	buffer_load_dword v27, off, s[0:3], s32 offset:204
	v_mov_b32_e32 v50, 0
	v_mov_b32_e32 v51, 0
	s_waitcnt vmcnt(2) lgkmcnt(0)
	v_cmp_ne_u16_sdwa s4, v11, v1 src0_sel:BYTE_0 src1_sel:DWORD
	s_waitcnt vmcnt(0)
	flat_load_dword v16, v[26:27]
	s_and_saveexec_b32 s16, s4
	s_cbranch_execz .LBB308_1799
; %bb.1792:                             ;   in Loop: Header=BB308_998 Depth=1
	v_cmp_ne_u16_sdwa s4, v11, v17 src0_sel:BYTE_0 src1_sel:DWORD
	v_mov_b32_e32 v51, 0x8000
	s_and_saveexec_b32 s17, s4
	s_cbranch_execz .LBB308_1798
; %bb.1793:                             ;   in Loop: Header=BB308_998 Depth=1
	v_and_b32_e32 v27, 0x7f, v11
	v_mov_b32_e32 v51, 0x7c01
	s_mov_b32 s18, exec_lo
	v_cmpx_ne_u32_e32 0x7f, v27
	s_cbranch_execz .LBB308_1797
; %bb.1794:                             ;   in Loop: Header=BB308_998 Depth=1
	v_and_b32_e32 v0, 7, v11
	v_lshrrev_b32_e32 v26, 3, v27
	s_mov_b32 s20, exec_lo
	v_cmpx_gt_u32_e32 8, v27
; %bb.1795:                             ;   in Loop: Header=BB308_998 Depth=1
	v_ffbh_u32_e32 v0, v0
	v_min_u32_e32 v0, 32, v0
	v_subrev_nc_u32_e32 v23, 28, v0
	v_sub_nc_u32_e32 v26, 29, v0
	v_lshlrev_b64 v[41:42], v23, v[11:12]
	v_and_b32_e32 v0, 7, v41
; %bb.1796:                             ;   in Loop: Header=BB308_998 Depth=1
	s_or_b32 exec_lo, exec_lo, s20
	v_lshlrev_b32_e32 v23, 8, v11
	v_lshl_add_u32 v26, v26, 10, 0x2000
	v_lshlrev_b32_e32 v0, 7, v0
	v_and_b32_e32 v23, 0x8000, v23
	v_and_b32_e32 v26, 0xfc00, v26
	v_or3_b32 v51, v23, v26, v0
.LBB308_1797:                           ;   in Loop: Header=BB308_998 Depth=1
	s_or_b32 exec_lo, exec_lo, s18
.LBB308_1798:                           ;   in Loop: Header=BB308_998 Depth=1
	s_or_b32 exec_lo, exec_lo, s17
.LBB308_1799:                           ;   in Loop: Header=BB308_998 Depth=1
	s_or_b32 exec_lo, exec_lo, s16
	v_lshrrev_b16 v0, 8, v11
	s_mov_b32 s16, exec_lo
	v_cmpx_ne_u16_e32 0, v0
	s_cbranch_execz .LBB308_1807
; %bb.1800:                             ;   in Loop: Header=BB308_998 Depth=1
	v_bfrev_b32_e32 v50, 1
	s_mov_b32 s17, exec_lo
	v_cmpx_ne_u16_e32 0x80, v0
	s_cbranch_execz .LBB308_1806
; %bb.1801:                             ;   in Loop: Header=BB308_998 Depth=1
	v_and_b32_sdwa v115, v0, v53 dst_sel:DWORD dst_unused:UNUSED_PAD src0_sel:WORD_0 src1_sel:DWORD
	v_mov_b32_e32 v50, 0x7c010000
	s_mov_b32 s18, exec_lo
	v_cmpx_ne_u32_e32 0x7f, v115
	s_cbranch_execz .LBB308_1805
; %bb.1802:                             ;   in Loop: Header=BB308_998 Depth=1
	v_and_b32_sdwa v26, v0, v54 dst_sel:DWORD dst_unused:UNUSED_PAD src0_sel:WORD_0 src1_sel:DWORD
	v_lshrrev_b32_e32 v27, 3, v115
	s_mov_b32 s20, exec_lo
	v_cmpx_gt_u32_e32 8, v115
; %bb.1803:                             ;   in Loop: Header=BB308_998 Depth=1
	v_ffbh_u32_e32 v23, v26
	v_min_u32_e32 v23, 32, v23
	v_subrev_nc_u32_e32 v26, 28, v23
	v_lshlrev_b64 v[26:27], v26, v[0:1]
	v_sub_nc_u32_e32 v27, 29, v23
	v_and_b32_e32 v26, 7, v26
; %bb.1804:                             ;   in Loop: Header=BB308_998 Depth=1
	s_or_b32 exec_lo, exec_lo, s20
	v_lshlrev_b32_sdwa v0, v70, v0 dst_sel:DWORD dst_unused:UNUSED_PAD src0_sel:DWORD src1_sel:WORD_0
	v_lshl_add_u32 v23, v27, 10, 0x2000
	v_and_or_b32 v0, 0x8000, v0, v23
	v_lshlrev_b32_e32 v23, 23, v26
	v_lshl_or_b32 v50, v0, 16, v23
.LBB308_1805:                           ;   in Loop: Header=BB308_998 Depth=1
	s_or_b32 exec_lo, exec_lo, s18
.LBB308_1806:                           ;   in Loop: Header=BB308_998 Depth=1
	s_or_b32 exec_lo, exec_lo, s17
.LBB308_1807:                           ;   in Loop: Header=BB308_998 Depth=1
	s_or_b32 exec_lo, exec_lo, s16
	v_lshrrev_b32_e32 v0, 16, v11
	v_mov_b32_e32 v41, 0
	v_mov_b32_e32 v42, 0
	v_cmp_ne_u16_sdwa s4, v0, v1 src0_sel:BYTE_0 src1_sel:DWORD
	s_and_saveexec_b32 s16, s4
	s_cbranch_execz .LBB308_1815
; %bb.1808:                             ;   in Loop: Header=BB308_998 Depth=1
	v_cmp_ne_u16_sdwa s4, v0, v17 src0_sel:BYTE_0 src1_sel:DWORD
	v_mov_b32_e32 v42, 0x8000
	s_and_saveexec_b32 s17, s4
	s_cbranch_execz .LBB308_1814
; %bb.1809:                             ;   in Loop: Header=BB308_998 Depth=1
	v_bfe_u32 v115, v11, 16, 7
	v_mov_b32_e32 v42, 0x7c01
	s_mov_b32 s18, exec_lo
	v_cmpx_ne_u32_e32 0x7f, v115
	s_cbranch_execz .LBB308_1813
; %bb.1810:                             ;   in Loop: Header=BB308_998 Depth=1
	v_and_b32_e32 v26, 7, v0
	v_lshrrev_b32_e32 v27, 3, v115
	s_mov_b32 s20, exec_lo
	v_cmpx_gt_u32_e32 8, v115
; %bb.1811:                             ;   in Loop: Header=BB308_998 Depth=1
	v_ffbh_u32_e32 v23, v26
	v_min_u32_e32 v23, 32, v23
	v_subrev_nc_u32_e32 v26, 28, v23
	v_lshlrev_b64 v[26:27], v26, v[0:1]
	v_sub_nc_u32_e32 v27, 29, v23
	v_and_b32_e32 v26, 7, v26
; %bb.1812:                             ;   in Loop: Header=BB308_998 Depth=1
	s_or_b32 exec_lo, exec_lo, s20
	v_lshlrev_b32_e32 v0, 8, v0
	v_lshl_add_u32 v23, v27, 10, 0x2000
	v_lshlrev_b32_e32 v26, 7, v26
	v_and_b32_e32 v0, 0x8000, v0
	v_and_b32_e32 v23, 0xfc00, v23
	v_or3_b32 v42, v0, v23, v26
.LBB308_1813:                           ;   in Loop: Header=BB308_998 Depth=1
	s_or_b32 exec_lo, exec_lo, s18
.LBB308_1814:                           ;   in Loop: Header=BB308_998 Depth=1
	s_or_b32 exec_lo, exec_lo, s17
.LBB308_1815:                           ;   in Loop: Header=BB308_998 Depth=1
	s_or_b32 exec_lo, exec_lo, s16
	s_mov_b32 s16, exec_lo
	v_cmpx_lt_u32_e32 0xffffff, v11
	s_cbranch_execz .LBB308_1823
; %bb.1816:                             ;   in Loop: Header=BB308_998 Depth=1
	v_lshrrev_b32_e32 v0, 24, v11
	v_bfrev_b32_e32 v41, 1
	s_mov_b32 s17, exec_lo
	v_cmpx_ne_u32_e32 0x80, v0
	s_cbranch_execz .LBB308_1822
; %bb.1817:                             ;   in Loop: Header=BB308_998 Depth=1
	v_and_b32_e32 v115, 0x7f, v0
	v_mov_b32_e32 v41, 0x7c010000
	s_mov_b32 s18, exec_lo
	v_cmpx_ne_u32_e32 0x7f, v115
	s_cbranch_execz .LBB308_1821
; %bb.1818:                             ;   in Loop: Header=BB308_998 Depth=1
	v_and_b32_e32 v26, 7, v0
	v_lshrrev_b32_e32 v27, 3, v115
	s_mov_b32 s20, exec_lo
	v_cmpx_gt_u32_e32 8, v115
; %bb.1819:                             ;   in Loop: Header=BB308_998 Depth=1
	v_ffbh_u32_e32 v23, v26
	v_min_u32_e32 v23, 32, v23
	v_subrev_nc_u32_e32 v26, 28, v23
	v_lshlrev_b64 v[26:27], v26, v[0:1]
	v_sub_nc_u32_e32 v27, 29, v23
	v_and_b32_e32 v26, 7, v26
; %bb.1820:                             ;   in Loop: Header=BB308_998 Depth=1
	s_or_b32 exec_lo, exec_lo, s20
	v_lshlrev_b32_e32 v0, 8, v0
	v_lshl_add_u32 v23, v27, 10, 0x2000
	v_and_or_b32 v0, 0x8000, v0, v23
	v_lshlrev_b32_e32 v23, 23, v26
	v_lshl_or_b32 v41, v0, 16, v23
.LBB308_1821:                           ;   in Loop: Header=BB308_998 Depth=1
	s_or_b32 exec_lo, exec_lo, s18
.LBB308_1822:                           ;   in Loop: Header=BB308_998 Depth=1
	s_or_b32 exec_lo, exec_lo, s17
.LBB308_1823:                           ;   in Loop: Header=BB308_998 Depth=1
	s_or_b32 exec_lo, exec_lo, s16
	v_mov_b32_e32 v0, v12
	v_cmp_ne_u16_sdwa s4, v12, v1 src0_sel:BYTE_0 src1_sel:DWORD
	v_mov_b32_e32 v43, 0
	v_mov_b32_e32 v26, 0
	s_and_saveexec_b32 s16, s4
	s_cbranch_execz .LBB308_1831
; %bb.1824:                             ;   in Loop: Header=BB308_998 Depth=1
	v_cmp_ne_u16_sdwa s4, v12, v17 src0_sel:BYTE_0 src1_sel:DWORD
	v_mov_b32_e32 v26, 0x8000
	s_and_saveexec_b32 s17, s4
	s_cbranch_execz .LBB308_1830
; %bb.1825:                             ;   in Loop: Header=BB308_998 Depth=1
	v_and_b32_e32 v115, 0x7f, v12
	v_mov_b32_e32 v26, 0x7c01
	s_mov_b32 s18, exec_lo
	v_cmpx_ne_u32_e32 0x7f, v115
	s_cbranch_execz .LBB308_1829
; %bb.1826:                             ;   in Loop: Header=BB308_998 Depth=1
	v_and_b32_e32 v26, 7, v12
	v_lshrrev_b32_e32 v27, 3, v115
	s_mov_b32 s20, exec_lo
	v_cmpx_gt_u32_e32 8, v115
; %bb.1827:                             ;   in Loop: Header=BB308_998 Depth=1
	v_ffbh_u32_e32 v23, v26
	v_min_u32_e32 v23, 32, v23
	v_subrev_nc_u32_e32 v26, 28, v23
	v_lshlrev_b64 v[26:27], v26, v[0:1]
	v_sub_nc_u32_e32 v27, 29, v23
	v_and_b32_e32 v26, 7, v26
; %bb.1828:                             ;   in Loop: Header=BB308_998 Depth=1
	s_or_b32 exec_lo, exec_lo, s20
	v_lshlrev_b32_e32 v23, 8, v12
	v_lshl_add_u32 v27, v27, 10, 0x2000
	v_lshlrev_b32_e32 v26, 7, v26
	v_and_b32_e32 v23, 0x8000, v23
	v_and_b32_e32 v27, 0xfc00, v27
	v_or3_b32 v26, v23, v27, v26
.LBB308_1829:                           ;   in Loop: Header=BB308_998 Depth=1
	s_or_b32 exec_lo, exec_lo, s18
.LBB308_1830:                           ;   in Loop: Header=BB308_998 Depth=1
	s_or_b32 exec_lo, exec_lo, s17
.LBB308_1831:                           ;   in Loop: Header=BB308_998 Depth=1
	s_or_b32 exec_lo, exec_lo, s16
	v_lshrrev_b16 v0, 8, v0
	v_mov_b32_e32 v27, 0
	s_mov_b32 s16, exec_lo
	v_cmpx_ne_u16_e32 0, v0
	s_cbranch_execz .LBB308_1839
; %bb.1832:                             ;   in Loop: Header=BB308_998 Depth=1
	v_bfrev_b32_e32 v27, 1
	s_mov_b32 s17, exec_lo
	v_cmpx_ne_u16_e32 0x80, v0
	s_cbranch_execz .LBB308_1838
; %bb.1833:                             ;   in Loop: Header=BB308_998 Depth=1
	v_and_b32_sdwa v44, v0, v53 dst_sel:DWORD dst_unused:UNUSED_PAD src0_sel:WORD_0 src1_sel:DWORD
	v_mov_b32_e32 v27, 0x7c010000
	s_mov_b32 s18, exec_lo
	v_cmpx_ne_u32_e32 0x7f, v44
	s_cbranch_execz .LBB308_1837
; %bb.1834:                             ;   in Loop: Header=BB308_998 Depth=1
	v_and_b32_sdwa v27, v0, v54 dst_sel:DWORD dst_unused:UNUSED_PAD src0_sel:WORD_0 src1_sel:DWORD
	v_lshrrev_b32_e32 v115, 3, v44
	s_mov_b32 s20, exec_lo
	v_cmpx_gt_u32_e32 8, v44
; %bb.1835:                             ;   in Loop: Header=BB308_998 Depth=1
	v_ffbh_u32_e32 v23, v27
	v_min_u32_e32 v23, 32, v23
	v_subrev_nc_u32_e32 v27, 28, v23
	v_sub_nc_u32_e32 v115, 29, v23
	v_lshlrev_b64 v[44:45], v27, v[0:1]
	v_and_b32_e32 v27, 7, v44
; %bb.1836:                             ;   in Loop: Header=BB308_998 Depth=1
	s_or_b32 exec_lo, exec_lo, s20
	v_lshlrev_b32_sdwa v0, v70, v0 dst_sel:DWORD dst_unused:UNUSED_PAD src0_sel:DWORD src1_sel:WORD_0
	v_lshl_add_u32 v23, v115, 10, 0x2000
	v_and_or_b32 v0, 0x8000, v0, v23
	v_lshlrev_b32_e32 v23, 23, v27
	v_lshl_or_b32 v27, v0, 16, v23
.LBB308_1837:                           ;   in Loop: Header=BB308_998 Depth=1
	s_or_b32 exec_lo, exec_lo, s18
.LBB308_1838:                           ;   in Loop: Header=BB308_998 Depth=1
	s_or_b32 exec_lo, exec_lo, s17
.LBB308_1839:                           ;   in Loop: Header=BB308_998 Depth=1
	s_or_b32 exec_lo, exec_lo, s16
	v_lshrrev_b32_e32 v0, 16, v12
	v_cmp_ne_u16_sdwa s4, v0, v1 src0_sel:BYTE_0 src1_sel:DWORD
	s_and_saveexec_b32 s16, s4
	s_cbranch_execz .LBB308_1847
; %bb.1840:                             ;   in Loop: Header=BB308_998 Depth=1
	v_cmp_ne_u16_sdwa s4, v0, v17 src0_sel:BYTE_0 src1_sel:DWORD
	v_mov_b32_e32 v43, 0x8000
	s_and_saveexec_b32 s17, s4
	s_cbranch_execz .LBB308_1846
; %bb.1841:                             ;   in Loop: Header=BB308_998 Depth=1
	v_bfe_u32 v44, v12, 16, 7
	v_mov_b32_e32 v43, 0x7c01
	s_mov_b32 s18, exec_lo
	v_cmpx_ne_u32_e32 0x7f, v44
	s_cbranch_execz .LBB308_1845
; %bb.1842:                             ;   in Loop: Header=BB308_998 Depth=1
	v_and_b32_e32 v115, 7, v0
	v_lshrrev_b32_e32 v43, 3, v44
	s_mov_b32 s20, exec_lo
	v_cmpx_gt_u32_e32 8, v44
; %bb.1843:                             ;   in Loop: Header=BB308_998 Depth=1
	v_ffbh_u32_e32 v23, v115
	v_min_u32_e32 v23, 32, v23
	v_subrev_nc_u32_e32 v115, 28, v23
	v_sub_nc_u32_e32 v43, 29, v23
	v_lshlrev_b64 v[44:45], v115, v[0:1]
	v_and_b32_e32 v115, 7, v44
; %bb.1844:                             ;   in Loop: Header=BB308_998 Depth=1
	s_or_b32 exec_lo, exec_lo, s20
	v_lshlrev_b32_e32 v0, 8, v0
	v_lshl_add_u32 v23, v43, 10, 0x2000
	v_lshlrev_b32_e32 v115, 7, v115
	v_and_b32_e32 v0, 0x8000, v0
	v_and_b32_e32 v23, 0xfc00, v23
	v_or3_b32 v43, v0, v23, v115
.LBB308_1845:                           ;   in Loop: Header=BB308_998 Depth=1
	s_or_b32 exec_lo, exec_lo, s18
.LBB308_1846:                           ;   in Loop: Header=BB308_998 Depth=1
	s_or_b32 exec_lo, exec_lo, s17
.LBB308_1847:                           ;   in Loop: Header=BB308_998 Depth=1
	s_or_b32 exec_lo, exec_lo, s16
	v_cmp_lt_u64_e64 s4, s[12:13], v[11:12]
	v_mov_b32_e32 v11, 0
	s_and_saveexec_b32 s16, s4
	s_cbranch_execz .LBB308_1855
; %bb.1848:                             ;   in Loop: Header=BB308_998 Depth=1
	v_lshrrev_b32_e32 v0, 24, v12
	v_bfrev_b32_e32 v11, 1
	s_mov_b32 s17, exec_lo
	v_cmpx_ne_u32_e32 0x80, v0
	s_cbranch_execz .LBB308_1854
; %bb.1849:                             ;   in Loop: Header=BB308_998 Depth=1
	v_and_b32_e32 v115, 0x7f, v0
	v_mov_b32_e32 v11, 0x7c010000
	s_mov_b32 s18, exec_lo
	v_cmpx_ne_u32_e32 0x7f, v115
	s_cbranch_execz .LBB308_1853
; %bb.1850:                             ;   in Loop: Header=BB308_998 Depth=1
	v_and_b32_e32 v11, 7, v0
	v_lshrrev_b32_e32 v12, 3, v115
	s_mov_b32 s20, exec_lo
	v_cmpx_gt_u32_e32 8, v115
; %bb.1851:                             ;   in Loop: Header=BB308_998 Depth=1
	v_ffbh_u32_e32 v11, v11
	v_min_u32_e32 v23, 32, v11
	v_subrev_nc_u32_e32 v11, 28, v23
	v_lshlrev_b64 v[11:12], v11, v[0:1]
	v_sub_nc_u32_e32 v12, 29, v23
	v_and_b32_e32 v11, 7, v11
; %bb.1852:                             ;   in Loop: Header=BB308_998 Depth=1
	s_or_b32 exec_lo, exec_lo, s20
	v_lshlrev_b32_e32 v0, 8, v0
	v_lshl_add_u32 v12, v12, 10, 0x2000
	v_lshlrev_b32_e32 v11, 23, v11
	v_and_or_b32 v0, 0x8000, v0, v12
	v_lshl_or_b32 v11, v0, 16, v11
.LBB308_1853:                           ;   in Loop: Header=BB308_998 Depth=1
	s_or_b32 exec_lo, exec_lo, s18
.LBB308_1854:                           ;   in Loop: Header=BB308_998 Depth=1
	s_or_b32 exec_lo, exec_lo, s17
.LBB308_1855:                           ;   in Loop: Header=BB308_998 Depth=1
	s_or_b32 exec_lo, exec_lo, s16
	v_or_b32_e32 v0, v41, v42
	v_or_b32_e32 v23, v50, v51
	;; [unrolled: 1-line block ×4, first 2 shown]
	s_waitcnt vmcnt(0) lgkmcnt(0)
	v_fma_mixlo_f16 v12, v16, v41, 0 op_sel:[0,1,0] op_sel_hi:[0,1,0]
	v_fma_mixlo_f16 v50, v16, v50, 0 op_sel:[0,1,0] op_sel_hi:[0,1,0]
	v_fma_mixlo_f16 v51, v16, v0, 0 op_sel_hi:[0,1,0]
	v_fma_mixlo_f16 v23, v16, v23, 0 op_sel_hi:[0,1,0]
	v_fma_mixlo_f16 v27, v16, v27, 0 op_sel:[0,1,0] op_sel_hi:[0,1,0]
	v_fma_mixlo_f16 v26, v16, v26, 0 op_sel_hi:[0,1,0]
	v_fma_mixlo_f16 v11, v16, v11, 0 op_sel:[0,1,0] op_sel_hi:[0,1,0]
	v_fma_mixlo_f16 v115, v16, v115, 0 op_sel_hi:[0,1,0]
	v_lshlrev_b32_e32 v0, 16, v12
	v_lshlrev_b32_e32 v50, 16, v50
	v_and_b32_e32 v12, 0xffff, v51
	v_and_b32_e32 v43, 0xffff, v23
	v_lshlrev_b32_e32 v16, 16, v27
	v_and_b32_e32 v51, 0xffff, v26
	v_lshlrev_b32_e32 v11, 16, v11
	v_and_b32_e32 v26, 0xffff, v115
	v_or_b32_e32 v27, v0, v12
	v_or_b32_e32 v42, v50, v43
	;; [unrolled: 1-line block ×4, first 2 shown]
	s_and_saveexec_b32 s16, vcc_lo
	s_cbranch_execz .LBB308_1857
; %bb.1856:                             ;   in Loop: Header=BB308_998 Depth=1
	v_cmp_lt_i32_e64 s4, v18, v36
	v_cndmask_b32_e64 v23, 0, v43, s4
	v_cmp_lt_i32_e64 s4, v99, v36
	v_cndmask_b32_e64 v27, 0, v50, s4
	v_cmp_lt_i32_e64 s4, v98, v36
	v_or_b32_e32 v42, v23, v27
	v_cndmask_b32_e64 v12, 0, v12, s4
	v_cmp_lt_i32_e64 s4, v97, v36
	v_cndmask_b32_e64 v0, 0, v0, s4
	v_cmp_lt_i32_e64 s4, v96, v36
	v_or_b32_e32 v27, v12, v0
	;; [unrolled: 5-line block ×3, first 2 shown]
	v_cndmask_b32_e64 v26, 0, v26, s4
	v_cmp_lt_i32_e64 s4, v85, v36
	v_cndmask_b32_e64 v11, 0, v11, s4
	v_or_b32_e32 v115, v26, v11
.LBB308_1857:                           ;   in Loop: Header=BB308_998 Depth=1
	s_or_b32 exec_lo, exec_lo, s16
	;;#ASMSTART
	v_pk_mul_f16 v0, v84, v42;

	;;#ASMEND
	;;#ASMSTART
	v_pk_mul_f16 v11, v83, v27;

	;;#ASMEND
	;; [unrolled: 4-line block ×4, first 2 shown]
	;;#ASMSTART
	v_pk_add_f16 v0, v0, v11;

	;;#ASMEND
	;;#ASMSTART
	v_pk_add_f16 v0, v0, v12;

	;;#ASMEND
	;; [unrolled: 4-line block ×3, first 2 shown]
	v_and_b32_e32 v11, 0xffff, v0
	v_lshrrev_b32_e32 v0, 16, v0
	;;#ASMSTART
	v_cvt_f32_f16 v50, v11;
	;;#ASMEND
	;;#ASMSTART
	v_cvt_f32_f16 v51, v0;
	;;#ASMEND
	flat_load_dwordx2 v[11:12], v[9:10] offset:1280
	s_clause 0x1
	buffer_load_dword v26, off, s[0:3], s32 offset:200
	buffer_load_dword v27, off, s[0:3], s32 offset:204
	v_mov_b32_e32 v41, 0
	v_mov_b32_e32 v42, 0
	s_waitcnt vmcnt(2) lgkmcnt(0)
	v_cmp_ne_u16_sdwa s4, v11, v1 src0_sel:BYTE_0 src1_sel:DWORD
	s_waitcnt vmcnt(0)
	flat_load_dword v16, v[26:27]
	s_and_saveexec_b32 s16, s4
	s_cbranch_execz .LBB308_1865
; %bb.1858:                             ;   in Loop: Header=BB308_998 Depth=1
	v_cmp_ne_u16_sdwa s4, v11, v17 src0_sel:BYTE_0 src1_sel:DWORD
	v_mov_b32_e32 v42, 0x8000
	s_and_saveexec_b32 s17, s4
	s_cbranch_execz .LBB308_1864
; %bb.1859:                             ;   in Loop: Header=BB308_998 Depth=1
	v_and_b32_e32 v27, 0x7f, v11
	v_mov_b32_e32 v42, 0x7c01
	s_mov_b32 s18, exec_lo
	v_cmpx_ne_u32_e32 0x7f, v27
	s_cbranch_execz .LBB308_1863
; %bb.1860:                             ;   in Loop: Header=BB308_998 Depth=1
	v_and_b32_e32 v0, 7, v11
	v_lshrrev_b32_e32 v26, 3, v27
	s_mov_b32 s20, exec_lo
	v_cmpx_gt_u32_e32 8, v27
; %bb.1861:                             ;   in Loop: Header=BB308_998 Depth=1
	v_ffbh_u32_e32 v0, v0
	v_min_u32_e32 v0, 32, v0
	v_subrev_nc_u32_e32 v23, 28, v0
	v_sub_nc_u32_e32 v26, 29, v0
	v_lshlrev_b64 v[42:43], v23, v[11:12]
	v_and_b32_e32 v0, 7, v42
; %bb.1862:                             ;   in Loop: Header=BB308_998 Depth=1
	s_or_b32 exec_lo, exec_lo, s20
	v_lshlrev_b32_e32 v23, 8, v11
	v_lshl_add_u32 v26, v26, 10, 0x2000
	v_lshlrev_b32_e32 v0, 7, v0
	v_and_b32_e32 v23, 0x8000, v23
	v_and_b32_e32 v26, 0xfc00, v26
	v_or3_b32 v42, v23, v26, v0
.LBB308_1863:                           ;   in Loop: Header=BB308_998 Depth=1
	s_or_b32 exec_lo, exec_lo, s18
.LBB308_1864:                           ;   in Loop: Header=BB308_998 Depth=1
	s_or_b32 exec_lo, exec_lo, s17
.LBB308_1865:                           ;   in Loop: Header=BB308_998 Depth=1
	s_or_b32 exec_lo, exec_lo, s16
	v_lshrrev_b16 v0, 8, v11
	s_mov_b32 s16, exec_lo
	v_cmpx_ne_u16_e32 0, v0
	s_cbranch_execz .LBB308_1873
; %bb.1866:                             ;   in Loop: Header=BB308_998 Depth=1
	v_bfrev_b32_e32 v41, 1
	s_mov_b32 s17, exec_lo
	v_cmpx_ne_u16_e32 0x80, v0
	s_cbranch_execz .LBB308_1872
; %bb.1867:                             ;   in Loop: Header=BB308_998 Depth=1
	v_and_b32_sdwa v115, v0, v53 dst_sel:DWORD dst_unused:UNUSED_PAD src0_sel:WORD_0 src1_sel:DWORD
	v_mov_b32_e32 v41, 0x7c010000
	s_mov_b32 s18, exec_lo
	v_cmpx_ne_u32_e32 0x7f, v115
	s_cbranch_execz .LBB308_1871
; %bb.1868:                             ;   in Loop: Header=BB308_998 Depth=1
	v_and_b32_sdwa v26, v0, v54 dst_sel:DWORD dst_unused:UNUSED_PAD src0_sel:WORD_0 src1_sel:DWORD
	v_lshrrev_b32_e32 v27, 3, v115
	s_mov_b32 s20, exec_lo
	v_cmpx_gt_u32_e32 8, v115
; %bb.1869:                             ;   in Loop: Header=BB308_998 Depth=1
	v_ffbh_u32_e32 v23, v26
	v_min_u32_e32 v23, 32, v23
	v_subrev_nc_u32_e32 v26, 28, v23
	v_lshlrev_b64 v[26:27], v26, v[0:1]
	v_sub_nc_u32_e32 v27, 29, v23
	v_and_b32_e32 v26, 7, v26
; %bb.1870:                             ;   in Loop: Header=BB308_998 Depth=1
	s_or_b32 exec_lo, exec_lo, s20
	v_lshlrev_b32_sdwa v0, v70, v0 dst_sel:DWORD dst_unused:UNUSED_PAD src0_sel:DWORD src1_sel:WORD_0
	v_lshl_add_u32 v23, v27, 10, 0x2000
	v_and_or_b32 v0, 0x8000, v0, v23
	v_lshlrev_b32_e32 v23, 23, v26
	v_lshl_or_b32 v41, v0, 16, v23
.LBB308_1871:                           ;   in Loop: Header=BB308_998 Depth=1
	s_or_b32 exec_lo, exec_lo, s18
.LBB308_1872:                           ;   in Loop: Header=BB308_998 Depth=1
	s_or_b32 exec_lo, exec_lo, s17
.LBB308_1873:                           ;   in Loop: Header=BB308_998 Depth=1
	s_or_b32 exec_lo, exec_lo, s16
	v_lshrrev_b32_e32 v0, 16, v11
	v_mov_b32_e32 v43, 0
	v_mov_b32_e32 v44, 0
	v_cmp_ne_u16_sdwa s4, v0, v1 src0_sel:BYTE_0 src1_sel:DWORD
	s_and_saveexec_b32 s16, s4
	s_cbranch_execz .LBB308_1881
; %bb.1874:                             ;   in Loop: Header=BB308_998 Depth=1
	v_cmp_ne_u16_sdwa s4, v0, v17 src0_sel:BYTE_0 src1_sel:DWORD
	v_mov_b32_e32 v44, 0x8000
	s_and_saveexec_b32 s17, s4
	s_cbranch_execz .LBB308_1880
; %bb.1875:                             ;   in Loop: Header=BB308_998 Depth=1
	v_bfe_u32 v115, v11, 16, 7
	v_mov_b32_e32 v44, 0x7c01
	s_mov_b32 s18, exec_lo
	v_cmpx_ne_u32_e32 0x7f, v115
	s_cbranch_execz .LBB308_1879
; %bb.1876:                             ;   in Loop: Header=BB308_998 Depth=1
	v_and_b32_e32 v26, 7, v0
	v_lshrrev_b32_e32 v27, 3, v115
	s_mov_b32 s20, exec_lo
	v_cmpx_gt_u32_e32 8, v115
; %bb.1877:                             ;   in Loop: Header=BB308_998 Depth=1
	v_ffbh_u32_e32 v23, v26
	v_min_u32_e32 v23, 32, v23
	v_subrev_nc_u32_e32 v26, 28, v23
	v_lshlrev_b64 v[26:27], v26, v[0:1]
	v_sub_nc_u32_e32 v27, 29, v23
	v_and_b32_e32 v26, 7, v26
; %bb.1878:                             ;   in Loop: Header=BB308_998 Depth=1
	s_or_b32 exec_lo, exec_lo, s20
	v_lshlrev_b32_e32 v0, 8, v0
	v_lshl_add_u32 v23, v27, 10, 0x2000
	v_lshlrev_b32_e32 v26, 7, v26
	v_and_b32_e32 v0, 0x8000, v0
	v_and_b32_e32 v23, 0xfc00, v23
	v_or3_b32 v44, v0, v23, v26
.LBB308_1879:                           ;   in Loop: Header=BB308_998 Depth=1
	s_or_b32 exec_lo, exec_lo, s18
.LBB308_1880:                           ;   in Loop: Header=BB308_998 Depth=1
	s_or_b32 exec_lo, exec_lo, s17
.LBB308_1881:                           ;   in Loop: Header=BB308_998 Depth=1
	s_or_b32 exec_lo, exec_lo, s16
	s_mov_b32 s16, exec_lo
	v_cmpx_lt_u32_e32 0xffffff, v11
	s_cbranch_execz .LBB308_1889
; %bb.1882:                             ;   in Loop: Header=BB308_998 Depth=1
	v_lshrrev_b32_e32 v0, 24, v11
	v_bfrev_b32_e32 v43, 1
	s_mov_b32 s17, exec_lo
	v_cmpx_ne_u32_e32 0x80, v0
	s_cbranch_execz .LBB308_1888
; %bb.1883:                             ;   in Loop: Header=BB308_998 Depth=1
	v_and_b32_e32 v115, 0x7f, v0
	v_mov_b32_e32 v43, 0x7c010000
	s_mov_b32 s18, exec_lo
	v_cmpx_ne_u32_e32 0x7f, v115
	s_cbranch_execz .LBB308_1887
; %bb.1884:                             ;   in Loop: Header=BB308_998 Depth=1
	v_and_b32_e32 v26, 7, v0
	v_lshrrev_b32_e32 v27, 3, v115
	s_mov_b32 s20, exec_lo
	v_cmpx_gt_u32_e32 8, v115
; %bb.1885:                             ;   in Loop: Header=BB308_998 Depth=1
	v_ffbh_u32_e32 v23, v26
	v_min_u32_e32 v23, 32, v23
	v_subrev_nc_u32_e32 v26, 28, v23
	v_lshlrev_b64 v[26:27], v26, v[0:1]
	v_sub_nc_u32_e32 v27, 29, v23
	v_and_b32_e32 v26, 7, v26
; %bb.1886:                             ;   in Loop: Header=BB308_998 Depth=1
	s_or_b32 exec_lo, exec_lo, s20
	v_lshlrev_b32_e32 v0, 8, v0
	v_lshl_add_u32 v23, v27, 10, 0x2000
	v_and_or_b32 v0, 0x8000, v0, v23
	v_lshlrev_b32_e32 v23, 23, v26
	v_lshl_or_b32 v43, v0, 16, v23
.LBB308_1887:                           ;   in Loop: Header=BB308_998 Depth=1
	s_or_b32 exec_lo, exec_lo, s18
.LBB308_1888:                           ;   in Loop: Header=BB308_998 Depth=1
	s_or_b32 exec_lo, exec_lo, s17
.LBB308_1889:                           ;   in Loop: Header=BB308_998 Depth=1
	s_or_b32 exec_lo, exec_lo, s16
	v_mov_b32_e32 v0, v12
	v_cmp_ne_u16_sdwa s4, v12, v1 src0_sel:BYTE_0 src1_sel:DWORD
	v_mov_b32_e32 v45, 0
	v_mov_b32_e32 v26, 0
	s_and_saveexec_b32 s16, s4
	s_cbranch_execz .LBB308_1897
; %bb.1890:                             ;   in Loop: Header=BB308_998 Depth=1
	v_cmp_ne_u16_sdwa s4, v12, v17 src0_sel:BYTE_0 src1_sel:DWORD
	v_mov_b32_e32 v26, 0x8000
	s_and_saveexec_b32 s17, s4
	s_cbranch_execz .LBB308_1896
; %bb.1891:                             ;   in Loop: Header=BB308_998 Depth=1
	v_and_b32_e32 v115, 0x7f, v12
	v_mov_b32_e32 v26, 0x7c01
	s_mov_b32 s18, exec_lo
	v_cmpx_ne_u32_e32 0x7f, v115
	s_cbranch_execz .LBB308_1895
; %bb.1892:                             ;   in Loop: Header=BB308_998 Depth=1
	v_and_b32_e32 v26, 7, v12
	v_lshrrev_b32_e32 v27, 3, v115
	s_mov_b32 s20, exec_lo
	v_cmpx_gt_u32_e32 8, v115
; %bb.1893:                             ;   in Loop: Header=BB308_998 Depth=1
	v_ffbh_u32_e32 v23, v26
	v_min_u32_e32 v23, 32, v23
	v_subrev_nc_u32_e32 v26, 28, v23
	v_lshlrev_b64 v[26:27], v26, v[0:1]
	v_sub_nc_u32_e32 v27, 29, v23
	v_and_b32_e32 v26, 7, v26
; %bb.1894:                             ;   in Loop: Header=BB308_998 Depth=1
	s_or_b32 exec_lo, exec_lo, s20
	v_lshlrev_b32_e32 v23, 8, v12
	v_lshl_add_u32 v27, v27, 10, 0x2000
	v_lshlrev_b32_e32 v26, 7, v26
	v_and_b32_e32 v23, 0x8000, v23
	v_and_b32_e32 v27, 0xfc00, v27
	v_or3_b32 v26, v23, v27, v26
.LBB308_1895:                           ;   in Loop: Header=BB308_998 Depth=1
	s_or_b32 exec_lo, exec_lo, s18
.LBB308_1896:                           ;   in Loop: Header=BB308_998 Depth=1
	s_or_b32 exec_lo, exec_lo, s17
.LBB308_1897:                           ;   in Loop: Header=BB308_998 Depth=1
	s_or_b32 exec_lo, exec_lo, s16
	v_lshrrev_b16 v0, 8, v0
	v_mov_b32_e32 v27, 0
	s_mov_b32 s16, exec_lo
	v_cmpx_ne_u16_e32 0, v0
	s_cbranch_execz .LBB308_1905
; %bb.1898:                             ;   in Loop: Header=BB308_998 Depth=1
	v_bfrev_b32_e32 v27, 1
	s_mov_b32 s17, exec_lo
	v_cmpx_ne_u16_e32 0x80, v0
	s_cbranch_execz .LBB308_1904
; %bb.1899:                             ;   in Loop: Header=BB308_998 Depth=1
	v_and_b32_sdwa v46, v0, v53 dst_sel:DWORD dst_unused:UNUSED_PAD src0_sel:WORD_0 src1_sel:DWORD
	v_mov_b32_e32 v27, 0x7c010000
	s_mov_b32 s18, exec_lo
	v_cmpx_ne_u32_e32 0x7f, v46
	s_cbranch_execz .LBB308_1903
; %bb.1900:                             ;   in Loop: Header=BB308_998 Depth=1
	v_and_b32_sdwa v27, v0, v54 dst_sel:DWORD dst_unused:UNUSED_PAD src0_sel:WORD_0 src1_sel:DWORD
	v_lshrrev_b32_e32 v115, 3, v46
	s_mov_b32 s20, exec_lo
	v_cmpx_gt_u32_e32 8, v46
; %bb.1901:                             ;   in Loop: Header=BB308_998 Depth=1
	v_ffbh_u32_e32 v23, v27
	v_min_u32_e32 v23, 32, v23
	v_subrev_nc_u32_e32 v27, 28, v23
	v_sub_nc_u32_e32 v115, 29, v23
	v_lshlrev_b64 v[46:47], v27, v[0:1]
	v_and_b32_e32 v27, 7, v46
; %bb.1902:                             ;   in Loop: Header=BB308_998 Depth=1
	s_or_b32 exec_lo, exec_lo, s20
	v_lshlrev_b32_sdwa v0, v70, v0 dst_sel:DWORD dst_unused:UNUSED_PAD src0_sel:DWORD src1_sel:WORD_0
	v_lshl_add_u32 v23, v115, 10, 0x2000
	v_and_or_b32 v0, 0x8000, v0, v23
	v_lshlrev_b32_e32 v23, 23, v27
	v_lshl_or_b32 v27, v0, 16, v23
.LBB308_1903:                           ;   in Loop: Header=BB308_998 Depth=1
	s_or_b32 exec_lo, exec_lo, s18
.LBB308_1904:                           ;   in Loop: Header=BB308_998 Depth=1
	s_or_b32 exec_lo, exec_lo, s17
.LBB308_1905:                           ;   in Loop: Header=BB308_998 Depth=1
	s_or_b32 exec_lo, exec_lo, s16
	v_lshrrev_b32_e32 v0, 16, v12
	v_cmp_ne_u16_sdwa s4, v0, v1 src0_sel:BYTE_0 src1_sel:DWORD
	s_and_saveexec_b32 s16, s4
	s_cbranch_execz .LBB308_1913
; %bb.1906:                             ;   in Loop: Header=BB308_998 Depth=1
	v_cmp_ne_u16_sdwa s4, v0, v17 src0_sel:BYTE_0 src1_sel:DWORD
	v_mov_b32_e32 v45, 0x8000
	s_and_saveexec_b32 s17, s4
	s_cbranch_execz .LBB308_1912
; %bb.1907:                             ;   in Loop: Header=BB308_998 Depth=1
	v_bfe_u32 v46, v12, 16, 7
	v_mov_b32_e32 v45, 0x7c01
	s_mov_b32 s18, exec_lo
	v_cmpx_ne_u32_e32 0x7f, v46
	s_cbranch_execz .LBB308_1911
; %bb.1908:                             ;   in Loop: Header=BB308_998 Depth=1
	v_and_b32_e32 v115, 7, v0
	v_lshrrev_b32_e32 v45, 3, v46
	s_mov_b32 s20, exec_lo
	v_cmpx_gt_u32_e32 8, v46
; %bb.1909:                             ;   in Loop: Header=BB308_998 Depth=1
	v_ffbh_u32_e32 v23, v115
	v_min_u32_e32 v23, 32, v23
	v_subrev_nc_u32_e32 v115, 28, v23
	v_sub_nc_u32_e32 v45, 29, v23
	v_lshlrev_b64 v[46:47], v115, v[0:1]
	v_and_b32_e32 v115, 7, v46
; %bb.1910:                             ;   in Loop: Header=BB308_998 Depth=1
	s_or_b32 exec_lo, exec_lo, s20
	v_lshlrev_b32_e32 v0, 8, v0
	v_lshl_add_u32 v23, v45, 10, 0x2000
	v_lshlrev_b32_e32 v115, 7, v115
	v_and_b32_e32 v0, 0x8000, v0
	v_and_b32_e32 v23, 0xfc00, v23
	v_or3_b32 v45, v0, v23, v115
.LBB308_1911:                           ;   in Loop: Header=BB308_998 Depth=1
	s_or_b32 exec_lo, exec_lo, s18
.LBB308_1912:                           ;   in Loop: Header=BB308_998 Depth=1
	s_or_b32 exec_lo, exec_lo, s17
.LBB308_1913:                           ;   in Loop: Header=BB308_998 Depth=1
	s_or_b32 exec_lo, exec_lo, s16
	v_cmp_lt_u64_e64 s4, s[12:13], v[11:12]
	v_mov_b32_e32 v11, 0
	s_and_saveexec_b32 s16, s4
	s_cbranch_execz .LBB308_1921
; %bb.1914:                             ;   in Loop: Header=BB308_998 Depth=1
	v_lshrrev_b32_e32 v0, 24, v12
	v_bfrev_b32_e32 v11, 1
	s_mov_b32 s17, exec_lo
	v_cmpx_ne_u32_e32 0x80, v0
	s_cbranch_execz .LBB308_1920
; %bb.1915:                             ;   in Loop: Header=BB308_998 Depth=1
	v_and_b32_e32 v115, 0x7f, v0
	v_mov_b32_e32 v11, 0x7c010000
	s_mov_b32 s18, exec_lo
	v_cmpx_ne_u32_e32 0x7f, v115
	s_cbranch_execz .LBB308_1919
; %bb.1916:                             ;   in Loop: Header=BB308_998 Depth=1
	v_and_b32_e32 v11, 7, v0
	v_lshrrev_b32_e32 v12, 3, v115
	s_mov_b32 s20, exec_lo
	v_cmpx_gt_u32_e32 8, v115
; %bb.1917:                             ;   in Loop: Header=BB308_998 Depth=1
	v_ffbh_u32_e32 v11, v11
	v_min_u32_e32 v23, 32, v11
	v_subrev_nc_u32_e32 v11, 28, v23
	v_lshlrev_b64 v[11:12], v11, v[0:1]
	v_sub_nc_u32_e32 v12, 29, v23
	v_and_b32_e32 v11, 7, v11
; %bb.1918:                             ;   in Loop: Header=BB308_998 Depth=1
	s_or_b32 exec_lo, exec_lo, s20
	v_lshlrev_b32_e32 v0, 8, v0
	v_lshl_add_u32 v12, v12, 10, 0x2000
	v_lshlrev_b32_e32 v11, 23, v11
	v_and_or_b32 v0, 0x8000, v0, v12
	v_lshl_or_b32 v11, v0, 16, v11
.LBB308_1919:                           ;   in Loop: Header=BB308_998 Depth=1
	s_or_b32 exec_lo, exec_lo, s18
.LBB308_1920:                           ;   in Loop: Header=BB308_998 Depth=1
	s_or_b32 exec_lo, exec_lo, s17
.LBB308_1921:                           ;   in Loop: Header=BB308_998 Depth=1
	s_or_b32 exec_lo, exec_lo, s16
	v_or_b32_e32 v0, v43, v44
	v_or_b32_e32 v23, v41, v42
	;; [unrolled: 1-line block ×4, first 2 shown]
	s_waitcnt vmcnt(0) lgkmcnt(0)
	v_fma_mixlo_f16 v12, v16, v43, 0 op_sel:[0,1,0] op_sel_hi:[0,1,0]
	v_fma_mixlo_f16 v115, v16, v41, 0 op_sel:[0,1,0] op_sel_hi:[0,1,0]
	v_fma_mixlo_f16 v41, v16, v0, 0 op_sel_hi:[0,1,0]
	v_fma_mixlo_f16 v23, v16, v23, 0 op_sel_hi:[0,1,0]
	v_fma_mixlo_f16 v27, v16, v27, 0 op_sel:[0,1,0] op_sel_hi:[0,1,0]
	v_fma_mixlo_f16 v26, v16, v26, 0 op_sel_hi:[0,1,0]
	v_fma_mixlo_f16 v11, v16, v11, 0 op_sel:[0,1,0] op_sel_hi:[0,1,0]
	v_fma_mixlo_f16 v42, v16, v42, 0 op_sel_hi:[0,1,0]
	v_lshlrev_b32_e32 v0, 16, v12
	v_lshlrev_b32_e32 v115, 16, v115
	v_and_b32_e32 v12, 0xffff, v41
	v_and_b32_e32 v45, 0xffff, v23
	v_lshlrev_b32_e32 v16, 16, v27
	v_and_b32_e32 v41, 0xffff, v26
	v_lshlrev_b32_e32 v11, 16, v11
	v_and_b32_e32 v26, 0xffff, v42
	v_or_b32_e32 v27, v0, v12
	v_or_b32_e32 v44, v115, v45
	;; [unrolled: 1-line block ×4, first 2 shown]
	s_and_saveexec_b32 s16, vcc_lo
	s_cbranch_execz .LBB308_1923
; %bb.1922:                             ;   in Loop: Header=BB308_998 Depth=1
	v_cmp_lt_i32_e64 s4, v18, v36
	v_cndmask_b32_e64 v23, 0, v45, s4
	v_cmp_lt_i32_e64 s4, v99, v36
	v_cndmask_b32_e64 v27, 0, v115, s4
	v_cmp_lt_i32_e64 s4, v98, v36
	v_or_b32_e32 v44, v23, v27
	v_cndmask_b32_e64 v12, 0, v12, s4
	v_cmp_lt_i32_e64 s4, v97, v36
	v_cndmask_b32_e64 v0, 0, v0, s4
	v_cmp_lt_i32_e64 s4, v96, v36
	v_or_b32_e32 v27, v12, v0
	;; [unrolled: 5-line block ×3, first 2 shown]
	v_cndmask_b32_e64 v26, 0, v26, s4
	v_cmp_lt_i32_e64 s4, v85, v36
	v_cndmask_b32_e64 v11, 0, v11, s4
	v_or_b32_e32 v42, v26, v11
.LBB308_1923:                           ;   in Loop: Header=BB308_998 Depth=1
	s_or_b32 exec_lo, exec_lo, s16
	;;#ASMSTART
	v_pk_mul_f16 v0, v84, v44;

	;;#ASMEND
	;;#ASMSTART
	v_pk_mul_f16 v11, v83, v27;

	;;#ASMEND
	;; [unrolled: 4-line block ×4, first 2 shown]
	;;#ASMSTART
	v_pk_add_f16 v0, v0, v11;

	;;#ASMEND
	;;#ASMSTART
	v_pk_add_f16 v0, v0, v12;

	;;#ASMEND
	;; [unrolled: 4-line block ×3, first 2 shown]
	v_and_b32_e32 v11, 0xffff, v0
	v_lshrrev_b32_e32 v0, 16, v0
	;;#ASMSTART
	v_cvt_f32_f16 v11, v11;
	;;#ASMEND
	;;#ASMSTART
	v_cvt_f32_f16 v12, v0;
	;;#ASMEND
	flat_load_dwordx2 v[9:10], v[9:10] offset:1536
	s_clause 0x1
	buffer_load_dword v26, off, s[0:3], s32 offset:200
	buffer_load_dword v27, off, s[0:3], s32 offset:204
	v_mov_b32_e32 v41, 0
	v_mov_b32_e32 v42, 0
	s_waitcnt vmcnt(2) lgkmcnt(0)
	v_cmp_ne_u16_sdwa s4, v9, v1 src0_sel:BYTE_0 src1_sel:DWORD
	s_waitcnt vmcnt(0)
	flat_load_dword v16, v[26:27]
	s_and_saveexec_b32 s16, s4
	s_cbranch_execz .LBB308_1931
; %bb.1924:                             ;   in Loop: Header=BB308_998 Depth=1
	v_cmp_ne_u16_sdwa s4, v9, v17 src0_sel:BYTE_0 src1_sel:DWORD
	v_mov_b32_e32 v42, 0x8000
	s_and_saveexec_b32 s17, s4
	s_cbranch_execz .LBB308_1930
; %bb.1925:                             ;   in Loop: Header=BB308_998 Depth=1
	v_and_b32_e32 v27, 0x7f, v9
	v_mov_b32_e32 v42, 0x7c01
	s_mov_b32 s18, exec_lo
	v_cmpx_ne_u32_e32 0x7f, v27
	s_cbranch_execz .LBB308_1929
; %bb.1926:                             ;   in Loop: Header=BB308_998 Depth=1
	v_and_b32_e32 v0, 7, v9
	v_lshrrev_b32_e32 v26, 3, v27
	s_mov_b32 s20, exec_lo
	v_cmpx_gt_u32_e32 8, v27
; %bb.1927:                             ;   in Loop: Header=BB308_998 Depth=1
	v_ffbh_u32_e32 v0, v0
	v_min_u32_e32 v0, 32, v0
	v_subrev_nc_u32_e32 v23, 28, v0
	v_sub_nc_u32_e32 v26, 29, v0
	v_lshlrev_b64 v[42:43], v23, v[9:10]
	v_and_b32_e32 v0, 7, v42
; %bb.1928:                             ;   in Loop: Header=BB308_998 Depth=1
	s_or_b32 exec_lo, exec_lo, s20
	v_lshlrev_b32_e32 v23, 8, v9
	v_lshl_add_u32 v26, v26, 10, 0x2000
	v_lshlrev_b32_e32 v0, 7, v0
	v_and_b32_e32 v23, 0x8000, v23
	v_and_b32_e32 v26, 0xfc00, v26
	v_or3_b32 v42, v23, v26, v0
.LBB308_1929:                           ;   in Loop: Header=BB308_998 Depth=1
	s_or_b32 exec_lo, exec_lo, s18
.LBB308_1930:                           ;   in Loop: Header=BB308_998 Depth=1
	s_or_b32 exec_lo, exec_lo, s17
.LBB308_1931:                           ;   in Loop: Header=BB308_998 Depth=1
	s_or_b32 exec_lo, exec_lo, s16
	v_lshrrev_b16 v0, 8, v9
	s_mov_b32 s16, exec_lo
	v_cmpx_ne_u16_e32 0, v0
	s_cbranch_execz .LBB308_1939
; %bb.1932:                             ;   in Loop: Header=BB308_998 Depth=1
	v_bfrev_b32_e32 v41, 1
	s_mov_b32 s17, exec_lo
	v_cmpx_ne_u16_e32 0x80, v0
	s_cbranch_execz .LBB308_1938
; %bb.1933:                             ;   in Loop: Header=BB308_998 Depth=1
	v_and_b32_sdwa v115, v0, v53 dst_sel:DWORD dst_unused:UNUSED_PAD src0_sel:WORD_0 src1_sel:DWORD
	v_mov_b32_e32 v41, 0x7c010000
	s_mov_b32 s18, exec_lo
	v_cmpx_ne_u32_e32 0x7f, v115
	s_cbranch_execz .LBB308_1937
; %bb.1934:                             ;   in Loop: Header=BB308_998 Depth=1
	v_and_b32_sdwa v26, v0, v54 dst_sel:DWORD dst_unused:UNUSED_PAD src0_sel:WORD_0 src1_sel:DWORD
	v_lshrrev_b32_e32 v27, 3, v115
	s_mov_b32 s20, exec_lo
	v_cmpx_gt_u32_e32 8, v115
; %bb.1935:                             ;   in Loop: Header=BB308_998 Depth=1
	v_ffbh_u32_e32 v23, v26
	v_min_u32_e32 v23, 32, v23
	v_subrev_nc_u32_e32 v26, 28, v23
	v_lshlrev_b64 v[26:27], v26, v[0:1]
	v_sub_nc_u32_e32 v27, 29, v23
	v_and_b32_e32 v26, 7, v26
; %bb.1936:                             ;   in Loop: Header=BB308_998 Depth=1
	s_or_b32 exec_lo, exec_lo, s20
	v_lshlrev_b32_sdwa v0, v70, v0 dst_sel:DWORD dst_unused:UNUSED_PAD src0_sel:DWORD src1_sel:WORD_0
	v_lshl_add_u32 v23, v27, 10, 0x2000
	v_and_or_b32 v0, 0x8000, v0, v23
	v_lshlrev_b32_e32 v23, 23, v26
	v_lshl_or_b32 v41, v0, 16, v23
.LBB308_1937:                           ;   in Loop: Header=BB308_998 Depth=1
	s_or_b32 exec_lo, exec_lo, s18
.LBB308_1938:                           ;   in Loop: Header=BB308_998 Depth=1
	s_or_b32 exec_lo, exec_lo, s17
.LBB308_1939:                           ;   in Loop: Header=BB308_998 Depth=1
	s_or_b32 exec_lo, exec_lo, s16
	v_lshrrev_b32_e32 v0, 16, v9
	v_mov_b32_e32 v43, 0
	v_mov_b32_e32 v44, 0
	v_cmp_ne_u16_sdwa s4, v0, v1 src0_sel:BYTE_0 src1_sel:DWORD
	s_and_saveexec_b32 s16, s4
	s_cbranch_execz .LBB308_1947
; %bb.1940:                             ;   in Loop: Header=BB308_998 Depth=1
	v_cmp_ne_u16_sdwa s4, v0, v17 src0_sel:BYTE_0 src1_sel:DWORD
	v_mov_b32_e32 v44, 0x8000
	s_and_saveexec_b32 s17, s4
	s_cbranch_execz .LBB308_1946
; %bb.1941:                             ;   in Loop: Header=BB308_998 Depth=1
	v_bfe_u32 v115, v9, 16, 7
	v_mov_b32_e32 v44, 0x7c01
	s_mov_b32 s18, exec_lo
	v_cmpx_ne_u32_e32 0x7f, v115
	s_cbranch_execz .LBB308_1945
; %bb.1942:                             ;   in Loop: Header=BB308_998 Depth=1
	v_and_b32_e32 v26, 7, v0
	v_lshrrev_b32_e32 v27, 3, v115
	s_mov_b32 s20, exec_lo
	v_cmpx_gt_u32_e32 8, v115
; %bb.1943:                             ;   in Loop: Header=BB308_998 Depth=1
	v_ffbh_u32_e32 v23, v26
	v_min_u32_e32 v23, 32, v23
	v_subrev_nc_u32_e32 v26, 28, v23
	v_lshlrev_b64 v[26:27], v26, v[0:1]
	v_sub_nc_u32_e32 v27, 29, v23
	v_and_b32_e32 v26, 7, v26
; %bb.1944:                             ;   in Loop: Header=BB308_998 Depth=1
	s_or_b32 exec_lo, exec_lo, s20
	v_lshlrev_b32_e32 v0, 8, v0
	v_lshl_add_u32 v23, v27, 10, 0x2000
	v_lshlrev_b32_e32 v26, 7, v26
	v_and_b32_e32 v0, 0x8000, v0
	v_and_b32_e32 v23, 0xfc00, v23
	v_or3_b32 v44, v0, v23, v26
.LBB308_1945:                           ;   in Loop: Header=BB308_998 Depth=1
	s_or_b32 exec_lo, exec_lo, s18
.LBB308_1946:                           ;   in Loop: Header=BB308_998 Depth=1
	s_or_b32 exec_lo, exec_lo, s17
.LBB308_1947:                           ;   in Loop: Header=BB308_998 Depth=1
	s_or_b32 exec_lo, exec_lo, s16
	s_mov_b32 s16, exec_lo
	v_cmpx_lt_u32_e32 0xffffff, v9
	s_cbranch_execz .LBB308_1955
; %bb.1948:                             ;   in Loop: Header=BB308_998 Depth=1
	v_lshrrev_b32_e32 v0, 24, v9
	v_bfrev_b32_e32 v43, 1
	s_mov_b32 s17, exec_lo
	v_cmpx_ne_u32_e32 0x80, v0
	s_cbranch_execz .LBB308_1954
; %bb.1949:                             ;   in Loop: Header=BB308_998 Depth=1
	v_and_b32_e32 v115, 0x7f, v0
	v_mov_b32_e32 v43, 0x7c010000
	s_mov_b32 s18, exec_lo
	v_cmpx_ne_u32_e32 0x7f, v115
	s_cbranch_execz .LBB308_1953
; %bb.1950:                             ;   in Loop: Header=BB308_998 Depth=1
	v_and_b32_e32 v26, 7, v0
	v_lshrrev_b32_e32 v27, 3, v115
	s_mov_b32 s20, exec_lo
	v_cmpx_gt_u32_e32 8, v115
; %bb.1951:                             ;   in Loop: Header=BB308_998 Depth=1
	v_ffbh_u32_e32 v23, v26
	v_min_u32_e32 v23, 32, v23
	v_subrev_nc_u32_e32 v26, 28, v23
	v_lshlrev_b64 v[26:27], v26, v[0:1]
	v_sub_nc_u32_e32 v27, 29, v23
	v_and_b32_e32 v26, 7, v26
; %bb.1952:                             ;   in Loop: Header=BB308_998 Depth=1
	s_or_b32 exec_lo, exec_lo, s20
	v_lshlrev_b32_e32 v0, 8, v0
	v_lshl_add_u32 v23, v27, 10, 0x2000
	v_and_or_b32 v0, 0x8000, v0, v23
	v_lshlrev_b32_e32 v23, 23, v26
	v_lshl_or_b32 v43, v0, 16, v23
.LBB308_1953:                           ;   in Loop: Header=BB308_998 Depth=1
	s_or_b32 exec_lo, exec_lo, s18
.LBB308_1954:                           ;   in Loop: Header=BB308_998 Depth=1
	s_or_b32 exec_lo, exec_lo, s17
.LBB308_1955:                           ;   in Loop: Header=BB308_998 Depth=1
	s_or_b32 exec_lo, exec_lo, s16
	v_mov_b32_e32 v0, v10
	v_cmp_ne_u16_sdwa s4, v10, v1 src0_sel:BYTE_0 src1_sel:DWORD
	v_mov_b32_e32 v45, 0
	v_mov_b32_e32 v26, 0
	s_and_saveexec_b32 s16, s4
	s_cbranch_execz .LBB308_1963
; %bb.1956:                             ;   in Loop: Header=BB308_998 Depth=1
	v_cmp_ne_u16_sdwa s4, v10, v17 src0_sel:BYTE_0 src1_sel:DWORD
	v_mov_b32_e32 v26, 0x8000
	s_and_saveexec_b32 s17, s4
	s_cbranch_execz .LBB308_1962
; %bb.1957:                             ;   in Loop: Header=BB308_998 Depth=1
	v_and_b32_e32 v115, 0x7f, v10
	v_mov_b32_e32 v26, 0x7c01
	s_mov_b32 s18, exec_lo
	v_cmpx_ne_u32_e32 0x7f, v115
	s_cbranch_execz .LBB308_1961
; %bb.1958:                             ;   in Loop: Header=BB308_998 Depth=1
	v_and_b32_e32 v26, 7, v10
	v_lshrrev_b32_e32 v27, 3, v115
	s_mov_b32 s20, exec_lo
	v_cmpx_gt_u32_e32 8, v115
; %bb.1959:                             ;   in Loop: Header=BB308_998 Depth=1
	v_ffbh_u32_e32 v23, v26
	v_min_u32_e32 v23, 32, v23
	v_subrev_nc_u32_e32 v26, 28, v23
	v_lshlrev_b64 v[26:27], v26, v[0:1]
	v_sub_nc_u32_e32 v27, 29, v23
	v_and_b32_e32 v26, 7, v26
; %bb.1960:                             ;   in Loop: Header=BB308_998 Depth=1
	s_or_b32 exec_lo, exec_lo, s20
	v_lshlrev_b32_e32 v23, 8, v10
	v_lshl_add_u32 v27, v27, 10, 0x2000
	v_lshlrev_b32_e32 v26, 7, v26
	v_and_b32_e32 v23, 0x8000, v23
	v_and_b32_e32 v27, 0xfc00, v27
	v_or3_b32 v26, v23, v27, v26
.LBB308_1961:                           ;   in Loop: Header=BB308_998 Depth=1
	s_or_b32 exec_lo, exec_lo, s18
.LBB308_1962:                           ;   in Loop: Header=BB308_998 Depth=1
	s_or_b32 exec_lo, exec_lo, s17
.LBB308_1963:                           ;   in Loop: Header=BB308_998 Depth=1
	s_or_b32 exec_lo, exec_lo, s16
	v_lshrrev_b16 v0, 8, v0
	v_mov_b32_e32 v27, 0
	s_mov_b32 s16, exec_lo
	v_cmpx_ne_u16_e32 0, v0
	s_cbranch_execz .LBB308_1971
; %bb.1964:                             ;   in Loop: Header=BB308_998 Depth=1
	v_bfrev_b32_e32 v27, 1
	s_mov_b32 s17, exec_lo
	v_cmpx_ne_u16_e32 0x80, v0
	s_cbranch_execz .LBB308_1970
; %bb.1965:                             ;   in Loop: Header=BB308_998 Depth=1
	v_and_b32_sdwa v46, v0, v53 dst_sel:DWORD dst_unused:UNUSED_PAD src0_sel:WORD_0 src1_sel:DWORD
	v_mov_b32_e32 v27, 0x7c010000
	s_mov_b32 s18, exec_lo
	v_cmpx_ne_u32_e32 0x7f, v46
	s_cbranch_execz .LBB308_1969
; %bb.1966:                             ;   in Loop: Header=BB308_998 Depth=1
	v_and_b32_sdwa v27, v0, v54 dst_sel:DWORD dst_unused:UNUSED_PAD src0_sel:WORD_0 src1_sel:DWORD
	v_lshrrev_b32_e32 v115, 3, v46
	s_mov_b32 s20, exec_lo
	v_cmpx_gt_u32_e32 8, v46
; %bb.1967:                             ;   in Loop: Header=BB308_998 Depth=1
	v_ffbh_u32_e32 v23, v27
	v_min_u32_e32 v23, 32, v23
	v_subrev_nc_u32_e32 v27, 28, v23
	v_sub_nc_u32_e32 v115, 29, v23
	v_lshlrev_b64 v[46:47], v27, v[0:1]
	v_and_b32_e32 v27, 7, v46
; %bb.1968:                             ;   in Loop: Header=BB308_998 Depth=1
	s_or_b32 exec_lo, exec_lo, s20
	v_lshlrev_b32_sdwa v0, v70, v0 dst_sel:DWORD dst_unused:UNUSED_PAD src0_sel:DWORD src1_sel:WORD_0
	v_lshl_add_u32 v23, v115, 10, 0x2000
	v_and_or_b32 v0, 0x8000, v0, v23
	v_lshlrev_b32_e32 v23, 23, v27
	v_lshl_or_b32 v27, v0, 16, v23
.LBB308_1969:                           ;   in Loop: Header=BB308_998 Depth=1
	s_or_b32 exec_lo, exec_lo, s18
.LBB308_1970:                           ;   in Loop: Header=BB308_998 Depth=1
	s_or_b32 exec_lo, exec_lo, s17
.LBB308_1971:                           ;   in Loop: Header=BB308_998 Depth=1
	s_or_b32 exec_lo, exec_lo, s16
	v_lshrrev_b32_e32 v0, 16, v10
	v_cmp_ne_u16_sdwa s4, v0, v1 src0_sel:BYTE_0 src1_sel:DWORD
	s_and_saveexec_b32 s16, s4
	s_cbranch_execz .LBB308_1979
; %bb.1972:                             ;   in Loop: Header=BB308_998 Depth=1
	v_cmp_ne_u16_sdwa s4, v0, v17 src0_sel:BYTE_0 src1_sel:DWORD
	v_mov_b32_e32 v45, 0x8000
	s_and_saveexec_b32 s17, s4
	s_cbranch_execz .LBB308_1978
; %bb.1973:                             ;   in Loop: Header=BB308_998 Depth=1
	v_bfe_u32 v46, v10, 16, 7
	v_mov_b32_e32 v45, 0x7c01
	s_mov_b32 s18, exec_lo
	v_cmpx_ne_u32_e32 0x7f, v46
	s_cbranch_execz .LBB308_1977
; %bb.1974:                             ;   in Loop: Header=BB308_998 Depth=1
	v_and_b32_e32 v115, 7, v0
	v_lshrrev_b32_e32 v45, 3, v46
	s_mov_b32 s20, exec_lo
	v_cmpx_gt_u32_e32 8, v46
; %bb.1975:                             ;   in Loop: Header=BB308_998 Depth=1
	v_ffbh_u32_e32 v23, v115
	v_min_u32_e32 v23, 32, v23
	v_subrev_nc_u32_e32 v115, 28, v23
	v_sub_nc_u32_e32 v45, 29, v23
	v_lshlrev_b64 v[46:47], v115, v[0:1]
	v_and_b32_e32 v115, 7, v46
; %bb.1976:                             ;   in Loop: Header=BB308_998 Depth=1
	s_or_b32 exec_lo, exec_lo, s20
	v_lshlrev_b32_e32 v0, 8, v0
	v_lshl_add_u32 v23, v45, 10, 0x2000
	v_lshlrev_b32_e32 v115, 7, v115
	v_and_b32_e32 v0, 0x8000, v0
	v_and_b32_e32 v23, 0xfc00, v23
	v_or3_b32 v45, v0, v23, v115
.LBB308_1977:                           ;   in Loop: Header=BB308_998 Depth=1
	s_or_b32 exec_lo, exec_lo, s18
.LBB308_1978:                           ;   in Loop: Header=BB308_998 Depth=1
	s_or_b32 exec_lo, exec_lo, s17
.LBB308_1979:                           ;   in Loop: Header=BB308_998 Depth=1
	s_or_b32 exec_lo, exec_lo, s16
	v_cmp_lt_u64_e64 s4, s[12:13], v[9:10]
	v_mov_b32_e32 v9, 0
	s_and_saveexec_b32 s16, s4
	s_cbranch_execz .LBB308_1987
; %bb.1980:                             ;   in Loop: Header=BB308_998 Depth=1
	v_lshrrev_b32_e32 v0, 24, v10
	v_bfrev_b32_e32 v9, 1
	s_mov_b32 s17, exec_lo
	v_cmpx_ne_u32_e32 0x80, v0
	s_cbranch_execz .LBB308_1986
; %bb.1981:                             ;   in Loop: Header=BB308_998 Depth=1
	v_and_b32_e32 v115, 0x7f, v0
	v_mov_b32_e32 v9, 0x7c010000
	s_mov_b32 s18, exec_lo
	v_cmpx_ne_u32_e32 0x7f, v115
	s_cbranch_execz .LBB308_1985
; %bb.1982:                             ;   in Loop: Header=BB308_998 Depth=1
	v_and_b32_e32 v9, 7, v0
	v_lshrrev_b32_e32 v10, 3, v115
	s_mov_b32 s20, exec_lo
	v_cmpx_gt_u32_e32 8, v115
; %bb.1983:                             ;   in Loop: Header=BB308_998 Depth=1
	v_ffbh_u32_e32 v9, v9
	v_min_u32_e32 v23, 32, v9
	v_subrev_nc_u32_e32 v9, 28, v23
	v_lshlrev_b64 v[9:10], v9, v[0:1]
	v_sub_nc_u32_e32 v10, 29, v23
	v_and_b32_e32 v9, 7, v9
; %bb.1984:                             ;   in Loop: Header=BB308_998 Depth=1
	s_or_b32 exec_lo, exec_lo, s20
	v_lshlrev_b32_e32 v0, 8, v0
	v_lshl_add_u32 v10, v10, 10, 0x2000
	v_lshlrev_b32_e32 v9, 23, v9
	v_and_or_b32 v0, 0x8000, v0, v10
	v_lshl_or_b32 v9, v0, 16, v9
.LBB308_1985:                           ;   in Loop: Header=BB308_998 Depth=1
	s_or_b32 exec_lo, exec_lo, s18
.LBB308_1986:                           ;   in Loop: Header=BB308_998 Depth=1
	s_or_b32 exec_lo, exec_lo, s17
.LBB308_1987:                           ;   in Loop: Header=BB308_998 Depth=1
	s_or_b32 exec_lo, exec_lo, s16
	v_or_b32_e32 v0, v43, v44
	s_waitcnt vmcnt(0) lgkmcnt(0)
	v_fma_mixlo_f16 v10, v16, v43, 0 op_sel:[0,1,0] op_sel_hi:[0,1,0]
	v_or_b32_e32 v23, v41, v42
	v_fma_mixlo_f16 v115, v16, v41, 0 op_sel:[0,1,0] op_sel_hi:[0,1,0]
	v_or_b32_e32 v41, v27, v26
	v_fma_mixlo_f16 v0, v16, v0, 0 op_sel_hi:[0,1,0]
	v_or_b32_e32 v42, v9, v45
	v_lshlrev_b32_e32 v26, 16, v10
	v_lshlrev_b32_e32 v43, 16, v115
	v_fma_mixlo_f16 v10, v16, v23, 0 op_sel_hi:[0,1,0]
	v_and_b32_e32 v115, 0xffff, v0
	v_fma_mixlo_f16 v0, v16, v27, 0 op_sel:[0,1,0] op_sel_hi:[0,1,0]
	v_fma_mixlo_f16 v23, v16, v41, 0 op_sel_hi:[0,1,0]
	v_fma_mixlo_f16 v9, v16, v9, 0 op_sel:[0,1,0] op_sel_hi:[0,1,0]
	v_fma_mixlo_f16 v16, v16, v42, 0 op_sel_hi:[0,1,0]
	v_and_b32_e32 v45, 0xffff, v10
	v_lshlrev_b32_e32 v41, 16, v0
	v_and_b32_e32 v44, 0xffff, v23
	v_lshlrev_b32_e32 v27, 16, v9
	v_and_b32_e32 v42, 0xffff, v16
	v_or_b32_e32 v10, v26, v115
	v_or_b32_e32 v16, v43, v45
	;; [unrolled: 1-line block ×4, first 2 shown]
	s_and_saveexec_b32 s4, vcc_lo
	s_cbranch_execz .LBB308_996
; %bb.1988:                             ;   in Loop: Header=BB308_998 Depth=1
	v_cmp_lt_i32_e32 vcc_lo, v18, v36
	v_cndmask_b32_e32 v0, 0, v45, vcc_lo
	v_cmp_lt_i32_e32 vcc_lo, v99, v36
	v_cndmask_b32_e32 v9, 0, v43, vcc_lo
	v_cmp_lt_i32_e32 vcc_lo, v98, v36
	v_or_b32_e32 v16, v0, v9
	v_cndmask_b32_e32 v10, 0, v115, vcc_lo
	v_cmp_lt_i32_e32 vcc_lo, v97, v36
	v_cndmask_b32_e32 v18, 0, v26, vcc_lo
	v_cmp_lt_i32_e32 vcc_lo, v96, v36
	v_or_b32_e32 v10, v10, v18
	;; [unrolled: 5-line block ×3, first 2 shown]
	v_cndmask_b32_e32 v86, 0, v42, vcc_lo
	v_cmp_lt_i32_e32 vcc_lo, v85, v36
	v_cndmask_b32_e32 v27, 0, v27, vcc_lo
	v_or_b32_e32 v0, v86, v27
	s_branch .LBB308_996
.LBB308_1989:
	s_or_b32 exec_lo, exec_lo, s11
.LBB308_1990:
	s_or_b32 exec_lo, exec_lo, s7
	ds_bpermute_b32 v1, v20, v69
	ds_bpermute_b32 v0, v20, v68
	;; [unrolled: 1-line block ×15, first 2 shown]
	s_waitcnt lgkmcnt(0)
	s_waitcnt_vscnt null, 0x0
	s_barrier
	buffer_gl0_inv
	s_load_dword s4, s[8:9], 0x0
	s_mov_b32 s7, exec_lo
	v_add_f32_e32 v1, v69, v1
	v_add_f32_e32 v0, v68, v0
	;; [unrolled: 1-line block ×5, first 2 shown]
	ds_bpermute_b32 v17, v13, v1
	v_add_f32_e32 v5, v64, v5
	v_add_f32_e32 v6, v55, v6
	;; [unrolled: 1-line block ×10, first 2 shown]
	ds_bpermute_b32 v16, v13, v0
	ds_bpermute_b32 v18, v13, v2
	;; [unrolled: 1-line block ×14, first 2 shown]
	s_waitcnt lgkmcnt(0)
	v_add_f32_e32 v13, v1, v17
	buffer_load_dword v17, off, s[0:3], s32 offset:348 ; 4-byte Folded Reload
	v_add_f32_e32 v14, v0, v16
	v_add_f32_e32 v12, v2, v18
	;; [unrolled: 1-line block ×14, first 2 shown]
	v_and_b32_e32 v18, 0x3c3, v56
	s_waitcnt vmcnt(0)
	v_and_b32_e32 v16, 28, v17
	v_lshrrev_b32_e32 v15, 2, v17
	buffer_load_dword v17, off, s[0:3], s32 offset:380 ; 4-byte Folded Reload
	v_add_nc_u32_e32 v16, s4, v16
	s_waitcnt vmcnt(0)
	v_mul_u32_u24_e32 v17, 0x1e0, v17
	v_cmpx_eq_u32_e32 64, v18
	s_cbranch_execz .LBB308_1992
; %bb.1991:
	v_add_nc_u32_e32 v18, v16, v17
	v_add_nc_u32_e32 v19, 0xfffffc40, v18
	;; [unrolled: 1-line block ×6, first 2 shown]
	ds_write_b32 v19, v14
	ds_write_b32 v20, v13
	;; [unrolled: 1-line block ×5, first 2 shown]
	v_add_nc_u32_e32 v19, 0xfffffce0, v18
	v_add_nc_u32_e32 v20, 0xfffffd00, v18
	;; [unrolled: 1-line block ×5, first 2 shown]
	ds_write_b32 v19, v9
	ds_write_b32 v20, v8
	;; [unrolled: 1-line block ×5, first 2 shown]
	v_add_nc_u32_e32 v19, 0xfffffd80, v18
	v_add_nc_u32_e32 v20, 0xfffffda0, v18
	;; [unrolled: 1-line block ×5, first 2 shown]
	ds_write_b32 v19, v4
	ds_write_b32 v20, v3
	;; [unrolled: 1-line block ×5, first 2 shown]
.LBB308_1992:
	s_or_b32 exec_lo, exec_lo, s7
	v_lshlrev_b32_e32 v15, 2, v15
	s_mov_b32 s7, exec_lo
	v_cmp_eq_u32_e32 vcc_lo, 0, v21
	s_waitcnt lgkmcnt(0)
	s_barrier
	v_add3_u32 v15, s4, v17, v15
	buffer_gl0_inv
	v_cmpx_gt_u32_e32 64, v56
	s_cbranch_execz .LBB308_2010
; %bb.1993:
	s_and_saveexec_b32 s4, vcc_lo
	s_cbranch_execnz .LBB308_2033
; %bb.1994:
	s_or_b32 exec_lo, exec_lo, s4
	s_and_saveexec_b32 s4, vcc_lo
	s_cbranch_execnz .LBB308_2034
.LBB308_1995:
	s_or_b32 exec_lo, exec_lo, s4
	s_and_saveexec_b32 s4, vcc_lo
	s_cbranch_execnz .LBB308_2035
.LBB308_1996:
	s_or_b32 exec_lo, exec_lo, s4
	s_and_saveexec_b32 s4, vcc_lo
	s_cbranch_execnz .LBB308_2036
.LBB308_1997:
	s_or_b32 exec_lo, exec_lo, s4
	s_and_saveexec_b32 s4, vcc_lo
	s_cbranch_execnz .LBB308_2037
.LBB308_1998:
	s_or_b32 exec_lo, exec_lo, s4
	s_and_saveexec_b32 s4, vcc_lo
	s_cbranch_execnz .LBB308_2038
.LBB308_1999:
	s_or_b32 exec_lo, exec_lo, s4
	s_and_saveexec_b32 s4, vcc_lo
	s_cbranch_execnz .LBB308_2039
.LBB308_2000:
	s_or_b32 exec_lo, exec_lo, s4
	s_and_saveexec_b32 s4, vcc_lo
	s_cbranch_execnz .LBB308_2040
.LBB308_2001:
	s_or_b32 exec_lo, exec_lo, s4
	s_and_saveexec_b32 s4, vcc_lo
	s_cbranch_execnz .LBB308_2041
.LBB308_2002:
	s_or_b32 exec_lo, exec_lo, s4
	s_and_saveexec_b32 s4, vcc_lo
	s_cbranch_execnz .LBB308_2042
.LBB308_2003:
	s_or_b32 exec_lo, exec_lo, s4
	s_and_saveexec_b32 s4, vcc_lo
	s_cbranch_execnz .LBB308_2043
.LBB308_2004:
	s_or_b32 exec_lo, exec_lo, s4
	s_and_saveexec_b32 s4, vcc_lo
	s_cbranch_execnz .LBB308_2044
.LBB308_2005:
	s_or_b32 exec_lo, exec_lo, s4
	s_and_saveexec_b32 s4, vcc_lo
	s_cbranch_execnz .LBB308_2045
.LBB308_2006:
	s_or_b32 exec_lo, exec_lo, s4
	s_and_saveexec_b32 s4, vcc_lo
	s_cbranch_execnz .LBB308_2046
.LBB308_2007:
	s_or_b32 exec_lo, exec_lo, s4
	s_and_saveexec_b32 s4, vcc_lo
	s_cbranch_execz .LBB308_2009
.LBB308_2008:
	ds_read_b32 v17, v15 offset:448
	s_waitcnt lgkmcnt(0)
	v_add_f32_e32 v2, v17, v2
.LBB308_2009:
	s_or_b32 exec_lo, exec_lo, s4
.LBB308_2010:
	s_or_b32 exec_lo, exec_lo, s7
	v_and_b32_e32 v17, 0x3e3, v56
	s_mov_b32 s7, exec_lo
	s_barrier
	buffer_gl0_inv
	v_cmpx_eq_u32_e32 32, v17
	s_cbranch_execz .LBB308_2012
; %bb.2011:
	ds_write2_b32 v16, v14, v13 offset1:8
	ds_write2_b32 v16, v12, v11 offset0:16 offset1:24
	ds_write2_b32 v16, v10, v9 offset0:32 offset1:40
	;; [unrolled: 1-line block ×6, first 2 shown]
	ds_write_b32 v16, v2 offset:448
.LBB308_2012:
	s_or_b32 exec_lo, exec_lo, s7
	s_mov_b32 s7, exec_lo
	s_waitcnt lgkmcnt(0)
	s_barrier
	buffer_gl0_inv
	v_cmpx_gt_u32_e32 32, v56
	s_cbranch_execz .LBB308_2030
; %bb.2013:
	s_and_saveexec_b32 s4, vcc_lo
	s_cbranch_execnz .LBB308_2047
; %bb.2014:
	s_or_b32 exec_lo, exec_lo, s4
	s_and_saveexec_b32 s4, vcc_lo
	s_cbranch_execnz .LBB308_2048
.LBB308_2015:
	s_or_b32 exec_lo, exec_lo, s4
	s_and_saveexec_b32 s4, vcc_lo
	s_cbranch_execnz .LBB308_2049
.LBB308_2016:
	s_or_b32 exec_lo, exec_lo, s4
	s_and_saveexec_b32 s4, vcc_lo
	s_cbranch_execnz .LBB308_2050
.LBB308_2017:
	s_or_b32 exec_lo, exec_lo, s4
	s_and_saveexec_b32 s4, vcc_lo
	s_cbranch_execnz .LBB308_2051
.LBB308_2018:
	s_or_b32 exec_lo, exec_lo, s4
	s_and_saveexec_b32 s4, vcc_lo
	s_cbranch_execnz .LBB308_2052
.LBB308_2019:
	s_or_b32 exec_lo, exec_lo, s4
	s_and_saveexec_b32 s4, vcc_lo
	s_cbranch_execnz .LBB308_2053
.LBB308_2020:
	s_or_b32 exec_lo, exec_lo, s4
	s_and_saveexec_b32 s4, vcc_lo
	s_cbranch_execnz .LBB308_2054
.LBB308_2021:
	s_or_b32 exec_lo, exec_lo, s4
	s_and_saveexec_b32 s4, vcc_lo
	s_cbranch_execnz .LBB308_2055
.LBB308_2022:
	s_or_b32 exec_lo, exec_lo, s4
	s_and_saveexec_b32 s4, vcc_lo
	s_cbranch_execnz .LBB308_2056
.LBB308_2023:
	s_or_b32 exec_lo, exec_lo, s4
	s_and_saveexec_b32 s4, vcc_lo
	s_cbranch_execnz .LBB308_2057
.LBB308_2024:
	s_or_b32 exec_lo, exec_lo, s4
	s_and_saveexec_b32 s4, vcc_lo
	s_cbranch_execnz .LBB308_2058
.LBB308_2025:
	s_or_b32 exec_lo, exec_lo, s4
	s_and_saveexec_b32 s4, vcc_lo
	s_cbranch_execnz .LBB308_2059
.LBB308_2026:
	s_or_b32 exec_lo, exec_lo, s4
	s_and_saveexec_b32 s4, vcc_lo
	s_cbranch_execnz .LBB308_2060
.LBB308_2027:
	s_or_b32 exec_lo, exec_lo, s4
	s_and_saveexec_b32 s4, vcc_lo
	s_cbranch_execz .LBB308_2029
.LBB308_2028:
	ds_read_b32 v15, v15 offset:448
	s_waitcnt lgkmcnt(0)
	v_add_f32_e32 v2, v15, v2
.LBB308_2029:
	s_or_b32 exec_lo, exec_lo, s4
.LBB308_2030:
	s_or_b32 exec_lo, exec_lo, s7
	v_cmp_eq_u32_e32 vcc_lo, 0, v17
	s_barrier
	buffer_gl0_inv
	s_and_b32 exec_lo, exec_lo, vcc_lo
	s_cbranch_execz .LBB308_2032
; %bb.2031:
	s_clause 0x1
	buffer_load_dword v15, off, s[0:3], s32 offset:388
	buffer_load_dword v16, off, s[0:3], s32 offset:384
	s_mulk_i32 s6, 0x78
	s_mul_i32 s4, s10, s5
	s_ashr_i32 s7, s6, 31
	s_ashr_i32 s5, s4, 31
	s_lshl_b64 s[6:7], s[6:7], 1
	s_lshl_b64 s[4:5], s[4:5], 1
	v_lshrrev_b32_e32 v17, 1, v56
	;;#ASMSTART
	v_cvt_f16_f32 v14, v14;

	;;#ASMEND
	s_waitcnt vmcnt(1)
	v_add_co_u32 v15, vcc_lo, v15, s6
	s_waitcnt vmcnt(0)
	v_add_co_ci_u32_e64 v16, null, s7, v16, vcc_lo
	s_mul_i32 s6, s14, 0x78
	v_add_co_u32 v15, vcc_lo, v15, s4
	s_ashr_i32 s7, s6, 31
	v_add_co_ci_u32_e64 v16, null, s5, v16, vcc_lo
	s_lshl_b64 s[4:5], s[6:7], 1
	v_add_co_u32 v15, vcc_lo, v15, s4
	v_add_co_ci_u32_e64 v16, null, s5, v16, vcc_lo
	v_add_co_u32 v15, vcc_lo, v15, v17
	v_add_co_ci_u32_e64 v16, null, 0, v16, vcc_lo
	flat_store_short v[15:16], v14
	;;#ASMSTART
	v_cvt_f16_f32 v13, v13;

	;;#ASMEND
	flat_store_short v[15:16], v13 offset:16
	;;#ASMSTART
	v_cvt_f16_f32 v12, v12;

	;;#ASMEND
	flat_store_short v[15:16], v12 offset:32
	;; [unrolled: 5-line block ×14, first 2 shown]
.LBB308_2032:
	s_or_b32 exec_lo, exec_lo, s19
	s_clause 0x2f
	buffer_load_dword v127, off, s[0:3], s32 offset:8
	buffer_load_dword v126, off, s[0:3], s32 offset:12
	;; [unrolled: 1-line block ×48, first 2 shown]
	s_waitcnt vmcnt(0) lgkmcnt(0)
	s_setpc_b64 s[30:31]
.LBB308_2033:
	ds_read_b32 v17, v15
	s_waitcnt lgkmcnt(0)
	v_add_f32_e32 v14, v17, v14
	s_or_b32 exec_lo, exec_lo, s4
	s_and_saveexec_b32 s4, vcc_lo
	s_cbranch_execz .LBB308_1995
.LBB308_2034:
	ds_read_b32 v17, v15 offset:32
	s_waitcnt lgkmcnt(0)
	v_add_f32_e32 v13, v17, v13
	s_or_b32 exec_lo, exec_lo, s4
	s_and_saveexec_b32 s4, vcc_lo
	s_cbranch_execz .LBB308_1996
.LBB308_2035:
	ds_read_b32 v17, v15 offset:64
	s_waitcnt lgkmcnt(0)
	v_add_f32_e32 v12, v17, v12
	s_or_b32 exec_lo, exec_lo, s4
	s_and_saveexec_b32 s4, vcc_lo
	s_cbranch_execz .LBB308_1997
.LBB308_2036:
	ds_read_b32 v17, v15 offset:96
	s_waitcnt lgkmcnt(0)
	v_add_f32_e32 v11, v17, v11
	s_or_b32 exec_lo, exec_lo, s4
	s_and_saveexec_b32 s4, vcc_lo
	s_cbranch_execz .LBB308_1998
.LBB308_2037:
	ds_read_b32 v17, v15 offset:128
	s_waitcnt lgkmcnt(0)
	v_add_f32_e32 v10, v17, v10
	s_or_b32 exec_lo, exec_lo, s4
	s_and_saveexec_b32 s4, vcc_lo
	s_cbranch_execz .LBB308_1999
.LBB308_2038:
	ds_read_b32 v17, v15 offset:160
	s_waitcnt lgkmcnt(0)
	v_add_f32_e32 v9, v17, v9
	s_or_b32 exec_lo, exec_lo, s4
	s_and_saveexec_b32 s4, vcc_lo
	s_cbranch_execz .LBB308_2000
.LBB308_2039:
	ds_read_b32 v17, v15 offset:192
	s_waitcnt lgkmcnt(0)
	v_add_f32_e32 v8, v17, v8
	s_or_b32 exec_lo, exec_lo, s4
	s_and_saveexec_b32 s4, vcc_lo
	s_cbranch_execz .LBB308_2001
.LBB308_2040:
	ds_read_b32 v17, v15 offset:224
	s_waitcnt lgkmcnt(0)
	v_add_f32_e32 v7, v17, v7
	s_or_b32 exec_lo, exec_lo, s4
	s_and_saveexec_b32 s4, vcc_lo
	s_cbranch_execz .LBB308_2002
.LBB308_2041:
	ds_read_b32 v17, v15 offset:256
	s_waitcnt lgkmcnt(0)
	v_add_f32_e32 v6, v17, v6
	s_or_b32 exec_lo, exec_lo, s4
	s_and_saveexec_b32 s4, vcc_lo
	s_cbranch_execz .LBB308_2003
.LBB308_2042:
	ds_read_b32 v17, v15 offset:288
	s_waitcnt lgkmcnt(0)
	v_add_f32_e32 v5, v17, v5
	s_or_b32 exec_lo, exec_lo, s4
	s_and_saveexec_b32 s4, vcc_lo
	s_cbranch_execz .LBB308_2004
.LBB308_2043:
	ds_read_b32 v17, v15 offset:320
	s_waitcnt lgkmcnt(0)
	v_add_f32_e32 v4, v17, v4
	s_or_b32 exec_lo, exec_lo, s4
	s_and_saveexec_b32 s4, vcc_lo
	s_cbranch_execz .LBB308_2005
.LBB308_2044:
	ds_read_b32 v17, v15 offset:352
	s_waitcnt lgkmcnt(0)
	v_add_f32_e32 v3, v17, v3
	s_or_b32 exec_lo, exec_lo, s4
	s_and_saveexec_b32 s4, vcc_lo
	s_cbranch_execz .LBB308_2006
.LBB308_2045:
	ds_read_b32 v17, v15 offset:384
	s_waitcnt lgkmcnt(0)
	v_add_f32_e32 v1, v17, v1
	s_or_b32 exec_lo, exec_lo, s4
	s_and_saveexec_b32 s4, vcc_lo
	s_cbranch_execz .LBB308_2007
.LBB308_2046:
	ds_read_b32 v17, v15 offset:416
	s_waitcnt lgkmcnt(0)
	v_add_f32_e32 v0, v17, v0
	s_or_b32 exec_lo, exec_lo, s4
	s_and_saveexec_b32 s4, vcc_lo
	s_cbranch_execnz .LBB308_2008
	s_branch .LBB308_2009
.LBB308_2047:
	ds_read_b32 v16, v15
	s_waitcnt lgkmcnt(0)
	v_add_f32_e32 v14, v16, v14
	s_or_b32 exec_lo, exec_lo, s4
	s_and_saveexec_b32 s4, vcc_lo
	s_cbranch_execz .LBB308_2015
.LBB308_2048:
	ds_read_b32 v16, v15 offset:32
	s_waitcnt lgkmcnt(0)
	v_add_f32_e32 v13, v16, v13
	s_or_b32 exec_lo, exec_lo, s4
	s_and_saveexec_b32 s4, vcc_lo
	s_cbranch_execz .LBB308_2016
.LBB308_2049:
	ds_read_b32 v16, v15 offset:64
	s_waitcnt lgkmcnt(0)
	v_add_f32_e32 v12, v16, v12
	s_or_b32 exec_lo, exec_lo, s4
	s_and_saveexec_b32 s4, vcc_lo
	s_cbranch_execz .LBB308_2017
.LBB308_2050:
	ds_read_b32 v16, v15 offset:96
	s_waitcnt lgkmcnt(0)
	v_add_f32_e32 v11, v16, v11
	s_or_b32 exec_lo, exec_lo, s4
	s_and_saveexec_b32 s4, vcc_lo
	s_cbranch_execz .LBB308_2018
.LBB308_2051:
	ds_read_b32 v16, v15 offset:128
	s_waitcnt lgkmcnt(0)
	v_add_f32_e32 v10, v16, v10
	s_or_b32 exec_lo, exec_lo, s4
	s_and_saveexec_b32 s4, vcc_lo
	s_cbranch_execz .LBB308_2019
.LBB308_2052:
	ds_read_b32 v16, v15 offset:160
	s_waitcnt lgkmcnt(0)
	v_add_f32_e32 v9, v16, v9
	s_or_b32 exec_lo, exec_lo, s4
	s_and_saveexec_b32 s4, vcc_lo
	s_cbranch_execz .LBB308_2020
.LBB308_2053:
	ds_read_b32 v16, v15 offset:192
	s_waitcnt lgkmcnt(0)
	v_add_f32_e32 v8, v16, v8
	s_or_b32 exec_lo, exec_lo, s4
	s_and_saveexec_b32 s4, vcc_lo
	s_cbranch_execz .LBB308_2021
.LBB308_2054:
	ds_read_b32 v16, v15 offset:224
	s_waitcnt lgkmcnt(0)
	v_add_f32_e32 v7, v16, v7
	s_or_b32 exec_lo, exec_lo, s4
	s_and_saveexec_b32 s4, vcc_lo
	s_cbranch_execz .LBB308_2022
.LBB308_2055:
	ds_read_b32 v16, v15 offset:256
	s_waitcnt lgkmcnt(0)
	v_add_f32_e32 v6, v16, v6
	s_or_b32 exec_lo, exec_lo, s4
	s_and_saveexec_b32 s4, vcc_lo
	s_cbranch_execz .LBB308_2023
.LBB308_2056:
	ds_read_b32 v16, v15 offset:288
	s_waitcnt lgkmcnt(0)
	v_add_f32_e32 v5, v16, v5
	s_or_b32 exec_lo, exec_lo, s4
	s_and_saveexec_b32 s4, vcc_lo
	s_cbranch_execz .LBB308_2024
.LBB308_2057:
	ds_read_b32 v16, v15 offset:320
	s_waitcnt lgkmcnt(0)
	v_add_f32_e32 v4, v16, v4
	s_or_b32 exec_lo, exec_lo, s4
	s_and_saveexec_b32 s4, vcc_lo
	s_cbranch_execz .LBB308_2025
.LBB308_2058:
	ds_read_b32 v16, v15 offset:352
	s_waitcnt lgkmcnt(0)
	v_add_f32_e32 v3, v16, v3
	s_or_b32 exec_lo, exec_lo, s4
	s_and_saveexec_b32 s4, vcc_lo
	s_cbranch_execz .LBB308_2026
.LBB308_2059:
	ds_read_b32 v16, v15 offset:384
	s_waitcnt lgkmcnt(0)
	v_add_f32_e32 v1, v16, v1
	s_or_b32 exec_lo, exec_lo, s4
	s_and_saveexec_b32 s4, vcc_lo
	s_cbranch_execz .LBB308_2027
.LBB308_2060:
	ds_read_b32 v16, v15 offset:416
	s_waitcnt lgkmcnt(0)
	v_add_f32_e32 v0, v16, v0
	s_or_b32 exec_lo, exec_lo, s4
	s_and_saveexec_b32 s4, vcc_lo
	s_cbranch_execnz .LBB308_2028
	s_branch .LBB308_2029
.Lfunc_end308:
	.size	_ZN4vllm22paged_attention_kernelIthLi120ELi32ELi128ELNS_18Fp8KVCacheDataTypeE1ELb1ELi512EEEvPfS2_PT_PKS3_PKT0_S9_ifPKiSB_iPKfiiiSD_SD_iiiii, .Lfunc_end308-_ZN4vllm22paged_attention_kernelIthLi120ELi32ELi128ELNS_18Fp8KVCacheDataTypeE1ELb1ELi512EEEvPfS2_PT_PKS3_PKT0_S9_ifPKiSB_iPKfiiiSD_SD_iiiii
                                        ; -- End function
	.set .L_ZN4vllm22paged_attention_kernelIthLi120ELi32ELi128ELNS_18Fp8KVCacheDataTypeE1ELb1ELi512EEEvPfS2_PT_PKS3_PKT0_S9_ifPKiSB_iPKfiiiSD_SD_iiiii.num_vgpr, 128
	.set .L_ZN4vllm22paged_attention_kernelIthLi120ELi32ELi128ELNS_18Fp8KVCacheDataTypeE1ELb1ELi512EEEvPfS2_PT_PKS3_PKT0_S9_ifPKiSB_iPKfiiiSD_SD_iiiii.num_agpr, 0
	.set .L_ZN4vllm22paged_attention_kernelIthLi120ELi32ELi128ELNS_18Fp8KVCacheDataTypeE1ELb1ELi512EEEvPfS2_PT_PKS3_PKT0_S9_ifPKiSB_iPKfiiiSD_SD_iiiii.numbered_sgpr, 33
	.set .L_ZN4vllm22paged_attention_kernelIthLi120ELi32ELi128ELNS_18Fp8KVCacheDataTypeE1ELb1ELi512EEEvPfS2_PT_PKS3_PKT0_S9_ifPKiSB_iPKfiiiSD_SD_iiiii.num_named_barrier, 0
	.set .L_ZN4vllm22paged_attention_kernelIthLi120ELi32ELi128ELNS_18Fp8KVCacheDataTypeE1ELb1ELi512EEEvPfS2_PT_PKS3_PKT0_S9_ifPKiSB_iPKfiiiSD_SD_iiiii.private_seg_size, 464
	.set .L_ZN4vllm22paged_attention_kernelIthLi120ELi32ELi128ELNS_18Fp8KVCacheDataTypeE1ELb1ELi512EEEvPfS2_PT_PKS3_PKT0_S9_ifPKiSB_iPKfiiiSD_SD_iiiii.uses_vcc, 1
	.set .L_ZN4vllm22paged_attention_kernelIthLi120ELi32ELi128ELNS_18Fp8KVCacheDataTypeE1ELb1ELi512EEEvPfS2_PT_PKS3_PKT0_S9_ifPKiSB_iPKfiiiSD_SD_iiiii.uses_flat_scratch, 0
	.set .L_ZN4vllm22paged_attention_kernelIthLi120ELi32ELi128ELNS_18Fp8KVCacheDataTypeE1ELb1ELi512EEEvPfS2_PT_PKS3_PKT0_S9_ifPKiSB_iPKfiiiSD_SD_iiiii.has_dyn_sized_stack, 0
	.set .L_ZN4vllm22paged_attention_kernelIthLi120ELi32ELi128ELNS_18Fp8KVCacheDataTypeE1ELb1ELi512EEEvPfS2_PT_PKS3_PKT0_S9_ifPKiSB_iPKfiiiSD_SD_iiiii.has_recursion, 0
	.set .L_ZN4vllm22paged_attention_kernelIthLi120ELi32ELi128ELNS_18Fp8KVCacheDataTypeE1ELb1ELi512EEEvPfS2_PT_PKS3_PKT0_S9_ifPKiSB_iPKfiiiSD_SD_iiiii.has_indirect_call, 0
	.section	.AMDGPU.csdata,"",@progbits
; Function info:
; codeLenInByte = 69696
; TotalNumSgprs: 35
; NumVgprs: 128
; ScratchSize: 464
; MemoryBound: 0
	.section	.text._ZN4vllm25paged_attention_v2_kernelIthLi120ELi32ELi128ELNS_18Fp8KVCacheDataTypeE1ELb1ELi512EEEvPfS2_PT_PKS3_PKT0_S9_ifPKiSB_iPKfiiiSD_SD_iiiii,"axG",@progbits,_ZN4vllm25paged_attention_v2_kernelIthLi120ELi32ELi128ELNS_18Fp8KVCacheDataTypeE1ELb1ELi512EEEvPfS2_PT_PKS3_PKT0_S9_ifPKiSB_iPKfiiiSD_SD_iiiii,comdat
	.protected	_ZN4vllm25paged_attention_v2_kernelIthLi120ELi32ELi128ELNS_18Fp8KVCacheDataTypeE1ELb1ELi512EEEvPfS2_PT_PKS3_PKT0_S9_ifPKiSB_iPKfiiiSD_SD_iiiii ; -- Begin function _ZN4vllm25paged_attention_v2_kernelIthLi120ELi32ELi128ELNS_18Fp8KVCacheDataTypeE1ELb1ELi512EEEvPfS2_PT_PKS3_PKT0_S9_ifPKiSB_iPKfiiiSD_SD_iiiii
	.globl	_ZN4vllm25paged_attention_v2_kernelIthLi120ELi32ELi128ELNS_18Fp8KVCacheDataTypeE1ELb1ELi512EEEvPfS2_PT_PKS3_PKT0_S9_ifPKiSB_iPKfiiiSD_SD_iiiii
	.p2align	8
	.type	_ZN4vllm25paged_attention_v2_kernelIthLi120ELi32ELi128ELNS_18Fp8KVCacheDataTypeE1ELb1ELi512EEEvPfS2_PT_PKS3_PKT0_S9_ifPKiSB_iPKfiiiSD_SD_iiiii,@function
_ZN4vllm25paged_attention_v2_kernelIthLi120ELi32ELi128ELNS_18Fp8KVCacheDataTypeE1ELb1ELi512EEEvPfS2_PT_PKS3_PKT0_S9_ifPKiSB_iPKfiiiSD_SD_iiiii: ; @_ZN4vllm25paged_attention_v2_kernelIthLi120ELi32ELi128ELNS_18Fp8KVCacheDataTypeE1ELb1ELi512EEEvPfS2_PT_PKS3_PKT0_S9_ifPKiSB_iPKfiiiSD_SD_iiiii
; %bb.0:
	s_mov_b32 s14, s8
	s_clause 0x7
	s_load_dwordx4 s[36:39], s[4:5], 0x78
	s_load_dword s8, s[4:5], 0x88
	s_load_dwordx8 s[40:47], s[4:5], 0x0
	s_load_dwordx8 s[24:31], s[4:5], 0x20
	s_load_dwordx2 s[10:11], s[4:5], 0x40
	s_load_dwordx2 s[34:35], s[4:5], 0x50
	s_load_dword s13, s[4:5], 0x48
	s_load_dwordx8 s[16:23], s[4:5], 0x58
	s_add_u32 s0, s0, s9
	s_mov_b32 s32, 0
	s_addc_u32 s1, s1, 0
	v_mov_b32_e32 v31, v0
	s_mov_b32 s12, s6
	s_mov_b32 s15, 37
	s_waitcnt lgkmcnt(0)
	v_mov_b32_e32 v1, s39
	v_mov_b32_e32 v2, s8
	;; [unrolled: 1-line block ×4, first 2 shown]
	buffer_store_dword v1, off, s[0:3], s32
	buffer_store_dword v2, off, s[0:3], s32 offset:4
	v_mov_b32_e32 v1, s41
	v_mov_b32_e32 v2, s42
	;; [unrolled: 1-line block ×29, first 2 shown]
	s_add_u32 s8, s4, 0x90
	s_addc_u32 s9, s5, 0
	s_getpc_b64 s[4:5]
	s_add_u32 s4, s4, _ZN4vllm22paged_attention_kernelIthLi120ELi32ELi128ELNS_18Fp8KVCacheDataTypeE1ELb1ELi512EEEvPfS2_PT_PKS3_PKT0_S9_ifPKiSB_iPKfiiiSD_SD_iiiii@rel32@lo+4
	s_addc_u32 s5, s5, _ZN4vllm22paged_attention_kernelIthLi120ELi32ELi128ELNS_18Fp8KVCacheDataTypeE1ELb1ELi512EEEvPfS2_PT_PKS3_PKT0_S9_ifPKiSB_iPKfiiiSD_SD_iiiii@rel32@hi+12
	s_mov_b32 s13, s7
	s_swappc_b64 s[30:31], s[4:5]
	s_endpgm
	.section	.rodata,"a",@progbits
	.p2align	6, 0x0
	.amdhsa_kernel _ZN4vllm25paged_attention_v2_kernelIthLi120ELi32ELi128ELNS_18Fp8KVCacheDataTypeE1ELb1ELi512EEEvPfS2_PT_PKS3_PKT0_S9_ifPKiSB_iPKfiiiSD_SD_iiiii
		.amdhsa_group_segment_fixed_size 272
		.amdhsa_private_segment_fixed_size 464
		.amdhsa_kernarg_size 400
		.amdhsa_user_sgpr_count 6
		.amdhsa_user_sgpr_private_segment_buffer 1
		.amdhsa_user_sgpr_dispatch_ptr 0
		.amdhsa_user_sgpr_queue_ptr 0
		.amdhsa_user_sgpr_kernarg_segment_ptr 1
		.amdhsa_user_sgpr_dispatch_id 0
		.amdhsa_user_sgpr_flat_scratch_init 0
		.amdhsa_user_sgpr_private_segment_size 0
		.amdhsa_wavefront_size32 1
		.amdhsa_uses_dynamic_stack 0
		.amdhsa_system_sgpr_private_segment_wavefront_offset 1
		.amdhsa_system_sgpr_workgroup_id_x 1
		.amdhsa_system_sgpr_workgroup_id_y 1
		.amdhsa_system_sgpr_workgroup_id_z 1
		.amdhsa_system_sgpr_workgroup_info 0
		.amdhsa_system_vgpr_workitem_id 0
		.amdhsa_next_free_vgpr 128
		.amdhsa_next_free_sgpr 48
		.amdhsa_reserve_vcc 1
		.amdhsa_reserve_flat_scratch 0
		.amdhsa_float_round_mode_32 0
		.amdhsa_float_round_mode_16_64 0
		.amdhsa_float_denorm_mode_32 3
		.amdhsa_float_denorm_mode_16_64 3
		.amdhsa_dx10_clamp 1
		.amdhsa_ieee_mode 1
		.amdhsa_fp16_overflow 0
		.amdhsa_workgroup_processor_mode 1
		.amdhsa_memory_ordered 1
		.amdhsa_forward_progress 1
		.amdhsa_shared_vgpr_count 0
		.amdhsa_exception_fp_ieee_invalid_op 0
		.amdhsa_exception_fp_denorm_src 0
		.amdhsa_exception_fp_ieee_div_zero 0
		.amdhsa_exception_fp_ieee_overflow 0
		.amdhsa_exception_fp_ieee_underflow 0
		.amdhsa_exception_fp_ieee_inexact 0
		.amdhsa_exception_int_div_zero 0
	.end_amdhsa_kernel
	.section	.text._ZN4vllm25paged_attention_v2_kernelIthLi120ELi32ELi128ELNS_18Fp8KVCacheDataTypeE1ELb1ELi512EEEvPfS2_PT_PKS3_PKT0_S9_ifPKiSB_iPKfiiiSD_SD_iiiii,"axG",@progbits,_ZN4vllm25paged_attention_v2_kernelIthLi120ELi32ELi128ELNS_18Fp8KVCacheDataTypeE1ELb1ELi512EEEvPfS2_PT_PKS3_PKT0_S9_ifPKiSB_iPKfiiiSD_SD_iiiii,comdat
.Lfunc_end309:
	.size	_ZN4vllm25paged_attention_v2_kernelIthLi120ELi32ELi128ELNS_18Fp8KVCacheDataTypeE1ELb1ELi512EEEvPfS2_PT_PKS3_PKT0_S9_ifPKiSB_iPKfiiiSD_SD_iiiii, .Lfunc_end309-_ZN4vllm25paged_attention_v2_kernelIthLi120ELi32ELi128ELNS_18Fp8KVCacheDataTypeE1ELb1ELi512EEEvPfS2_PT_PKS3_PKT0_S9_ifPKiSB_iPKfiiiSD_SD_iiiii
                                        ; -- End function
	.set _ZN4vllm25paged_attention_v2_kernelIthLi120ELi32ELi128ELNS_18Fp8KVCacheDataTypeE1ELb1ELi512EEEvPfS2_PT_PKS3_PKT0_S9_ifPKiSB_iPKfiiiSD_SD_iiiii.num_vgpr, max(32, .L_ZN4vllm22paged_attention_kernelIthLi120ELi32ELi128ELNS_18Fp8KVCacheDataTypeE1ELb1ELi512EEEvPfS2_PT_PKS3_PKT0_S9_ifPKiSB_iPKfiiiSD_SD_iiiii.num_vgpr)
	.set _ZN4vllm25paged_attention_v2_kernelIthLi120ELi32ELi128ELNS_18Fp8KVCacheDataTypeE1ELb1ELi512EEEvPfS2_PT_PKS3_PKT0_S9_ifPKiSB_iPKfiiiSD_SD_iiiii.num_agpr, max(0, .L_ZN4vllm22paged_attention_kernelIthLi120ELi32ELi128ELNS_18Fp8KVCacheDataTypeE1ELb1ELi512EEEvPfS2_PT_PKS3_PKT0_S9_ifPKiSB_iPKfiiiSD_SD_iiiii.num_agpr)
	.set _ZN4vllm25paged_attention_v2_kernelIthLi120ELi32ELi128ELNS_18Fp8KVCacheDataTypeE1ELb1ELi512EEEvPfS2_PT_PKS3_PKT0_S9_ifPKiSB_iPKfiiiSD_SD_iiiii.numbered_sgpr, max(48, .L_ZN4vllm22paged_attention_kernelIthLi120ELi32ELi128ELNS_18Fp8KVCacheDataTypeE1ELb1ELi512EEEvPfS2_PT_PKS3_PKT0_S9_ifPKiSB_iPKfiiiSD_SD_iiiii.numbered_sgpr)
	.set _ZN4vllm25paged_attention_v2_kernelIthLi120ELi32ELi128ELNS_18Fp8KVCacheDataTypeE1ELb1ELi512EEEvPfS2_PT_PKS3_PKT0_S9_ifPKiSB_iPKfiiiSD_SD_iiiii.num_named_barrier, max(0, .L_ZN4vllm22paged_attention_kernelIthLi120ELi32ELi128ELNS_18Fp8KVCacheDataTypeE1ELb1ELi512EEEvPfS2_PT_PKS3_PKT0_S9_ifPKiSB_iPKfiiiSD_SD_iiiii.num_named_barrier)
	.set _ZN4vllm25paged_attention_v2_kernelIthLi120ELi32ELi128ELNS_18Fp8KVCacheDataTypeE1ELb1ELi512EEEvPfS2_PT_PKS3_PKT0_S9_ifPKiSB_iPKfiiiSD_SD_iiiii.private_seg_size, 0+max(.L_ZN4vllm22paged_attention_kernelIthLi120ELi32ELi128ELNS_18Fp8KVCacheDataTypeE1ELb1ELi512EEEvPfS2_PT_PKS3_PKT0_S9_ifPKiSB_iPKfiiiSD_SD_iiiii.private_seg_size)
	.set _ZN4vllm25paged_attention_v2_kernelIthLi120ELi32ELi128ELNS_18Fp8KVCacheDataTypeE1ELb1ELi512EEEvPfS2_PT_PKS3_PKT0_S9_ifPKiSB_iPKfiiiSD_SD_iiiii.uses_vcc, or(1, .L_ZN4vllm22paged_attention_kernelIthLi120ELi32ELi128ELNS_18Fp8KVCacheDataTypeE1ELb1ELi512EEEvPfS2_PT_PKS3_PKT0_S9_ifPKiSB_iPKfiiiSD_SD_iiiii.uses_vcc)
	.set _ZN4vllm25paged_attention_v2_kernelIthLi120ELi32ELi128ELNS_18Fp8KVCacheDataTypeE1ELb1ELi512EEEvPfS2_PT_PKS3_PKT0_S9_ifPKiSB_iPKfiiiSD_SD_iiiii.uses_flat_scratch, or(0, .L_ZN4vllm22paged_attention_kernelIthLi120ELi32ELi128ELNS_18Fp8KVCacheDataTypeE1ELb1ELi512EEEvPfS2_PT_PKS3_PKT0_S9_ifPKiSB_iPKfiiiSD_SD_iiiii.uses_flat_scratch)
	.set _ZN4vllm25paged_attention_v2_kernelIthLi120ELi32ELi128ELNS_18Fp8KVCacheDataTypeE1ELb1ELi512EEEvPfS2_PT_PKS3_PKT0_S9_ifPKiSB_iPKfiiiSD_SD_iiiii.has_dyn_sized_stack, or(0, .L_ZN4vllm22paged_attention_kernelIthLi120ELi32ELi128ELNS_18Fp8KVCacheDataTypeE1ELb1ELi512EEEvPfS2_PT_PKS3_PKT0_S9_ifPKiSB_iPKfiiiSD_SD_iiiii.has_dyn_sized_stack)
	.set _ZN4vllm25paged_attention_v2_kernelIthLi120ELi32ELi128ELNS_18Fp8KVCacheDataTypeE1ELb1ELi512EEEvPfS2_PT_PKS3_PKT0_S9_ifPKiSB_iPKfiiiSD_SD_iiiii.has_recursion, or(0, .L_ZN4vllm22paged_attention_kernelIthLi120ELi32ELi128ELNS_18Fp8KVCacheDataTypeE1ELb1ELi512EEEvPfS2_PT_PKS3_PKT0_S9_ifPKiSB_iPKfiiiSD_SD_iiiii.has_recursion)
	.set _ZN4vllm25paged_attention_v2_kernelIthLi120ELi32ELi128ELNS_18Fp8KVCacheDataTypeE1ELb1ELi512EEEvPfS2_PT_PKS3_PKT0_S9_ifPKiSB_iPKfiiiSD_SD_iiiii.has_indirect_call, or(0, .L_ZN4vllm22paged_attention_kernelIthLi120ELi32ELi128ELNS_18Fp8KVCacheDataTypeE1ELb1ELi512EEEvPfS2_PT_PKS3_PKT0_S9_ifPKiSB_iPKfiiiSD_SD_iiiii.has_indirect_call)
	.section	.AMDGPU.csdata,"",@progbits
; Kernel info:
; codeLenInByte = 292
; TotalNumSgprs: 50
; NumVgprs: 128
; ScratchSize: 464
; MemoryBound: 0
; FloatMode: 240
; IeeeMode: 1
; LDSByteSize: 272 bytes/workgroup (compile time only)
; SGPRBlocks: 0
; VGPRBlocks: 15
; NumSGPRsForWavesPerEU: 50
; NumVGPRsForWavesPerEU: 128
; Occupancy: 8
; WaveLimiterHint : 1
; COMPUTE_PGM_RSRC2:SCRATCH_EN: 1
; COMPUTE_PGM_RSRC2:USER_SGPR: 6
; COMPUTE_PGM_RSRC2:TRAP_HANDLER: 0
; COMPUTE_PGM_RSRC2:TGID_X_EN: 1
; COMPUTE_PGM_RSRC2:TGID_Y_EN: 1
; COMPUTE_PGM_RSRC2:TGID_Z_EN: 1
; COMPUTE_PGM_RSRC2:TIDIG_COMP_CNT: 0
	.text
	.p2align	2                               ; -- Begin function _ZN4vllm22paged_attention_kernelIthLi128ELi32ELi128ELNS_18Fp8KVCacheDataTypeE1ELb1ELi512EEEvPfS2_PT_PKS3_PKT0_S9_ifPKiSB_iPKfiiiSD_SD_iiiii
	.type	_ZN4vllm22paged_attention_kernelIthLi128ELi32ELi128ELNS_18Fp8KVCacheDataTypeE1ELb1ELi512EEEvPfS2_PT_PKS3_PKT0_S9_ifPKiSB_iPKfiiiSD_SD_iiiii,@function
_ZN4vllm22paged_attention_kernelIthLi128ELi32ELi128ELNS_18Fp8KVCacheDataTypeE1ELb1ELi512EEEvPfS2_PT_PKS3_PKT0_S9_ifPKiSB_iPKfiiiSD_SD_iiiii: ; @_ZN4vllm22paged_attention_kernelIthLi128ELi32ELi128ELNS_18Fp8KVCacheDataTypeE1ELb1ELi512EEEvPfS2_PT_PKS3_PKT0_S9_ifPKiSB_iPKfiiiSD_SD_iiiii
; %bb.0:
	s_waitcnt vmcnt(0) expcnt(0) lgkmcnt(0)
	buffer_store_dword v40, off, s[0:3], s32 offset:196 ; 4-byte Folded Spill
	buffer_store_dword v41, off, s[0:3], s32 offset:192 ; 4-byte Folded Spill
	;; [unrolled: 1-line block ×48, first 2 shown]
	s_mov_b32 s18, s13
	s_ashr_i32 s19, s13, 31
	buffer_store_dword v24, off, s[0:3], s32 offset:396 ; 4-byte Folded Spill
	buffer_store_dword v25, off, s[0:3], s32 offset:400 ; 4-byte Folded Spill
	s_lshl_b64 s[4:5], s[18:19], 2
	v_mov_b32_e32 v24, v0
	v_add_co_u32 v0, vcc_lo, v16, s4
	v_mov_b32_e32 v63, v22
	v_mov_b32_e32 v22, v1
	v_add_co_ci_u32_e64 v1, null, s5, v17, vcc_lo
	buffer_store_dword v13, off, s[0:3], s32 offset:404 ; 4-byte Folded Spill
	v_mov_b32_e32 v73, v27
	v_mov_b32_e32 v72, v26
	flat_load_dword v36, v[0:1]
	s_clause 0x1
	buffer_load_dword v0, off, s[0:3], s32 offset:4
	buffer_load_dword v1, off, s[0:3], s32
	v_mov_b32_e32 v60, v5
	v_mov_b32_e32 v61, v4
	;; [unrolled: 1-line block ×4, first 2 shown]
	s_lshl_b32 s7, s14, 9
	s_mov_b32 s19, exec_lo
	s_waitcnt vmcnt(2) lgkmcnt(0)
	v_cmpx_lt_i32_e64 s7, v36
	s_cbranch_execz .LBB310_2164
; %bb.1:
	v_sub_nc_u32_e32 v2, 0, v12
	s_clause 0x1
	s_load_dword s4, s[8:9], 0x10
	s_load_dword s5, s[8:9], 0x0
	s_mov_b32 s16, s15
	v_max_i32_e32 v2, v12, v2
	v_cvt_f32_u32_e32 v3, v2
	v_sub_nc_u32_e32 v4, 0, v2
	v_rcp_iflag_f32_e32 v3, v3
	s_waitcnt lgkmcnt(0)
	s_lshr_b32 s4, s4, 16
	s_cmp_lg_u32 s4, 0
	s_cselect_b32 s4, -1, 0
	v_mul_f32_e32 v3, 0x4f7ffffe, v3
	s_cmp_lg_u32 s4, 0
	s_addc_u32 s15, s5, 0
	s_mov_b32 s5, exec_lo
	v_cvt_u32_f32_e32 v3, v3
	s_abs_i32 s4, s15
	v_mul_lo_u32 v4, v4, v3
	v_mul_hi_u32 v4, v3, v4
	v_add_nc_u32_e32 v3, v3, v4
	v_mul_hi_u32 v3, s4, v3
	v_mul_lo_u32 v4, v3, v2
	v_add_nc_u32_e32 v5, 1, v3
	v_sub_nc_u32_e32 v4, s4, v4
	s_abs_i32 s4, s12
	v_sub_nc_u32_e32 v13, v4, v2
	v_cmp_ge_u32_e32 vcc_lo, v4, v2
	v_cndmask_b32_e32 v3, v3, v5, vcc_lo
	v_cndmask_b32_e32 v4, v4, v13, vcc_lo
	v_xor_b32_e32 v5, s15, v12
	v_add_nc_u32_e32 v13, 1, v3
	v_cmp_ge_u32_e32 vcc_lo, v4, v2
	v_ashrrev_i32_e32 v5, 31, v5
	v_cndmask_b32_e32 v2, v3, v13, vcc_lo
	v_xor_b32_e32 v2, v2, v5
	v_sub_nc_u32_e32 v3, v2, v5
	v_sub_nc_u32_e32 v2, 0, v3
	v_max_i32_e32 v2, v3, v2
	v_cvt_f32_u32_e32 v4, v2
	v_sub_nc_u32_e32 v5, 0, v2
	v_rcp_iflag_f32_e32 v4, v4
	v_mul_f32_e32 v4, 0x4f7ffffe, v4
	v_cvt_u32_f32_e32 v4, v4
	v_mul_lo_u32 v5, v5, v4
	v_mul_hi_u32 v5, v4, v5
	v_add_nc_u32_e32 v4, v4, v5
	v_mad_u64_u32 v[16:17], null, s4, v4, 0
	v_mov_b32_e32 v4, 0
	buffer_store_dword v4, off, s[0:3], s32 offset:408 ; 4-byte Folded Spill
	v_cmpx_ne_u64_e32 0, v[19:20]
	s_cbranch_execz .LBB310_3
; %bb.2:
	s_ashr_i32 s13, s12, 31
	s_lshl_b64 s[10:11], s[12:13], 2
	v_add_co_u32 v4, vcc_lo, v19, s10
	v_add_co_ci_u32_e64 v5, null, s11, v20, vcc_lo
	flat_load_dword v4, v[4:5]
	s_waitcnt vmcnt(0) lgkmcnt(0)
	buffer_store_dword v4, off, s[0:3], s32 offset:408 ; 4-byte Folded Spill
.LBB310_3:
	s_or_b32 exec_lo, exec_lo, s5
	v_and_b32_e32 v62, 0x3ff, v31
	v_ashrrev_i32_e32 v3, 31, v3
	s_ashr_i32 s5, s12, 31
	s_lshl_b32 s10, s12, 7
	s_mov_b32 s6, exec_lo
	v_cmpx_gt_u32_e32 16, v62
	s_cbranch_execz .LBB310_5
; %bb.4:
	v_mul_lo_u32 v4, v21, s18
	s_ashr_i32 s11, s10, 31
	v_lshlrev_b32_e32 v13, 4, v62
	s_lshl_b64 s[20:21], s[10:11], 1
	v_ashrrev_i32_e32 v5, 31, v4
	v_lshlrev_b64 v[4:5], 1, v[4:5]
	v_add_co_u32 v4, vcc_lo, v6, v4
	v_add_co_ci_u32_e64 v5, null, v7, v5, vcc_lo
	v_add_co_u32 v4, vcc_lo, v4, s20
	v_add_co_ci_u32_e64 v5, null, s21, v5, vcc_lo
	;; [unrolled: 2-line block ×3, first 2 shown]
	flat_load_dwordx4 v[4:7], v[4:5]
	s_waitcnt vmcnt(0) lgkmcnt(0)
	ds_write_b128 v13, v[4:7]
.LBB310_5:
	s_or_b32 exec_lo, exec_lo, s6
	s_waitcnt vmcnt(0)
	v_sub_nc_u32_e32 v4, 0, v1
	v_mul_lo_u32 v5, v17, v2
	v_add_nc_u32_e32 v7, 1, v17
	v_xor_b32_e32 v3, s5, v3
	v_max_i32_e32 v75, v1, v4
	v_sub_nc_u32_e32 v5, s4, v5
	v_cvt_f32_u32_e32 v4, v75
	s_mov_b32 s4, exec_lo
	v_sub_nc_u32_e32 v16, v5, v2
	v_rcp_iflag_f32_e32 v4, v4
	v_cmp_ge_u32_e32 vcc_lo, v5, v2
	v_cndmask_b32_e32 v7, v17, v7, vcc_lo
	v_cndmask_b32_e32 v5, v5, v16, vcc_lo
	v_mul_f32_e32 v4, 0x4f7ffffe, v4
	v_add_nc_u32_e32 v17, 1, v7
	v_cmp_ge_u32_e32 vcc_lo, v5, v2
	v_cvt_u32_f32_e32 v6, v4
	v_sub_nc_u32_e32 v4, 0, v75
	v_cndmask_b32_e32 v5, v7, v17, vcc_lo
	v_mul_lo_u32 v13, v4, v6
	v_add_nc_u32_e32 v4, -1, v36
	v_xor_b32_e32 v5, v5, v3
	v_mul_hi_u32 v16, v6, v13
	v_sub_nc_u32_e32 v13, 0, v4
	v_max_i32_e32 v2, v4, v13
	v_add_nc_u32_e32 v6, v6, v16
	v_mad_u64_u32 v[16:17], null, v2, v6, 0
	v_sub_nc_u32_e32 v16, v5, v3
                                        ; implicit-def: $vgpr3
	buffer_store_dword v6, off, s[0:3], s32 offset:208 ; 4-byte Folded Spill
	s_waitcnt lgkmcnt(0)
	s_waitcnt_vscnt null, 0x0
	s_barrier
	buffer_gl0_inv
	buffer_store_dword v3, off, s[0:3], s32 offset:200 ; 4-byte Folded Spill
	buffer_store_dword v4, off, s[0:3], s32 offset:204 ; 4-byte Folded Spill
	v_cmpx_gt_i32_e32 0, v0
	s_xor_b32 s4, exec_lo, s4
	s_cbranch_execz .LBB310_7
; %bb.6:
	v_mad_u64_u32 v[5:6], null, v28, v12, v[16:17]
                                        ; implicit-def: $vgpr28
	v_mul_lo_u32 v0, v5, v0
	v_sub_nc_u32_e32 v0, 1, v0
	buffer_store_dword v0, off, s[0:3], s32 offset:200 ; 4-byte Folded Spill
	buffer_store_dword v1, off, s[0:3], s32 offset:204 ; 4-byte Folded Spill
                                        ; implicit-def: $vgpr0
.LBB310_7:
	s_or_saveexec_b32 s4, s4
	v_ashrrev_i32_e32 v3, 31, v4
	v_ashrrev_i32_e32 v76, 31, v1
	s_xor_b32 exec_lo, exec_lo, s4
	s_cbranch_execz .LBB310_9
; %bb.8:
	v_mad_u64_u32 v[4:5], null, s15, v28, s[12:13]
	v_mad_u64_u32 v[0:1], null, v4, v0, 1
	buffer_store_dword v0, off, s[0:3], s32 offset:200 ; 4-byte Folded Spill
	buffer_store_dword v1, off, s[0:3], s32 offset:204 ; 4-byte Folded Spill
.LBB310_9:
	s_or_b32 exec_lo, exec_lo, s4
	v_mul_lo_u32 v0, v17, v75
	v_add_nc_u32_e32 v1, 31, v36
	v_add_nc_u32_e32 v4, 1, v17
	s_clause 0x1
	s_load_dword s22, s[8:9], 0x14
	s_load_dword s11, s[8:9], 0x8
	v_xor_b32_e32 v3, v3, v76
	v_lshrrev_b32_e32 v74, 5, v62
	v_ashrrev_i32_e32 v5, 31, v1
	v_mul_lo_u32 v12, v16, v23
	v_sub_nc_u32_e32 v2, v2, v0
	v_mul_lo_u32 v0, v18, s18
	s_lshl_b32 s13, s14, 4
	v_lshrrev_b32_e32 v5, 27, v5
	s_add_i32 s4, s13, 16
	v_sub_nc_u32_e32 v6, v2, v75
	v_cmp_ge_u32_e32 vcc_lo, v2, v75
	v_and_b32_e32 v7, 31, v62
	v_add_nc_u32_e32 v1, v1, v5
	v_add_nc_u32_e32 v77, s13, v74
	v_mov_b32_e32 v13, 0xff7fffff
	v_cndmask_b32_e32 v4, v17, v4, vcc_lo
	v_cndmask_b32_e32 v2, v2, v6, vcc_lo
	v_ashrrev_i32_e32 v16, 5, v1
	v_ashrrev_i32_e32 v1, 31, v0
	v_sub_nc_u32_e32 v17, 0, v30
	v_add_nc_u32_e32 v6, 1, v4
	v_cmp_ge_u32_e32 vcc_lo, v2, v75
	v_min_i32_e32 v79, s4, v16
	v_lshlrev_b64 v[18:19], 2, v[0:1]
	v_lshl_add_u32 v69, v74, 5, s7
	v_ashrrev_i32_e32 v27, 31, v12
	v_cndmask_b32_e32 v2, v4, v6, vcc_lo
	v_ashrrev_i32_e32 v78, 31, v77
	v_cmp_lt_i32_e64 s4, v77, v79
	v_lshlrev_b32_e32 v21, 2, v7
	v_xor_b32_e32 v2, v2, v3
	v_sub_nc_u32_e32 v2, v2, v3
	v_sub_nc_u32_e32 v0, v2, v29
	buffer_store_dword v0, off, s[0:3], s32 offset:212 ; 4-byte Folded Spill
	buffer_store_dword v7, off, s[0:3], s32 offset:392 ; 4-byte Folded Spill
	s_and_saveexec_b32 s23, s4
	s_cbranch_execz .LBB310_1041
; %bb.10:
	v_max_i32_e32 v7, v30, v17
	buffer_store_dword v16, off, s[0:3], s32 offset:508 ; 4-byte Folded Spill
	buffer_store_dword v26, off, s[0:3], s32 offset:492 ; 4-byte Folded Spill
	;; [unrolled: 1-line block ×18, first 2 shown]
	buffer_load_dword v6, off, s[0:3], s32 offset:392 ; 4-byte Folded Reload
	v_add_co_u32 v3, vcc_lo, v8, v12
	v_cvt_f32_u32_e32 v0, v7
	v_add_co_ci_u32_e64 v4, null, v9, v27, vcc_lo
	s_ashr_i32 s17, s16, 31
	s_getpc_b64 s[8:9]
	s_add_u32 s8, s8, llvm.amdgcn.dynlds.offset.table@rel32@lo+4
	s_addc_u32 s9, s9, llvm.amdgcn.dynlds.offset.table@rel32@hi+12
	v_rcp_iflag_f32_e32 v2, v0
	buffer_load_dword v0, off, s[0:3], s32 offset:408 ; 4-byte Folded Reload
	s_lshl_b64 s[20:21], s[16:17], 2
	buffer_store_dword v12, off, s[0:3], s32 offset:504 ; 4-byte Folded Spill
	s_add_u32 s8, s8, s20
	s_addc_u32 s9, s9, s21
	buffer_store_dword v27, off, s[0:3], s32 offset:516 ; 4-byte Folded Spill
	buffer_store_dword v74, off, s[0:3], s32 offset:448 ; 4-byte Folded Spill
	;; [unrolled: 1-line block ×4, first 2 shown]
	s_load_dword s17, s[8:9], 0x0
	v_mul_f32_e32 v2, 0x4f7ffffe, v2
	v_sub_nc_u32_e32 v7, 0, v7
	v_mov_b32_e32 v8, 0
	v_lshl_add_u32 v9, v74, 5, s7
	v_lshl_or_b32 v51, v74, 7, v21
	v_cvt_u32_f32_e32 v2, v2
	v_mov_b32_e32 v68, 0x80
	v_mov_b32_e32 v13, 0xff7fffff
	s_mov_b32 s20, -1
	s_mov_b32 s24, 0
	v_mul_lo_u32 v7, v7, v2
	s_mov_b32 s21, 0xffffff
	s_waitcnt vmcnt(1)
	v_lshlrev_b32_e32 v5, 4, v6
	v_sub_nc_u32_e32 v6, v6, v36
	v_add_co_u32 v3, s5, v3, v5
	v_add_co_ci_u32_e64 v4, null, 0, v4, s5
	s_waitcnt vmcnt(0)
	v_cmp_neq_f32_e32 vcc_lo, 0, v0
	v_lshlrev_b64 v[0:1], 2, v[77:78]
	buffer_store_dword v3, off, s[0:3], s32 offset:416 ; 4-byte Folded Spill
	buffer_store_dword v4, off, s[0:3], s32 offset:420 ; 4-byte Folded Spill
	v_mul_hi_u32 v3, v2, v7
	v_add_nc_u32_e32 v4, 1, v6
	v_add_co_u32 v0, s5, v18, v0
	buffer_store_dword v18, off, s[0:3], s32 offset:496 ; 4-byte Folded Spill
	buffer_store_dword v19, off, s[0:3], s32 offset:500 ; 4-byte Folded Spill
	;; [unrolled: 1-line block ×5, first 2 shown]
	v_add_co_ci_u32_e64 v1, null, v19, v1, s5
	v_add_co_u32 v93, s5, v14, v0
	v_add_nc_u32_e32 v0, v2, v3
	buffer_store_dword v0, off, s[0:3], s32 offset:296 ; 4-byte Folded Spill
	buffer_store_dword v77, off, s[0:3], s32 offset:452 ; 4-byte Folded Spill
	;; [unrolled: 1-line block ×3, first 2 shown]
	v_add_co_ci_u32_e64 v94, null, v15, v1, s5
	v_mov_b32_e32 v82, v77
	s_branch .LBB310_16
.LBB310_11:                             ;   in Loop: Header=BB310_16 Depth=1
	s_or_b32 exec_lo, exec_lo, s28
	v_lshlrev_b32_e32 v7, 8, v7
	v_lshl_add_u32 v32, v32, 10, 0x2000
	v_lshlrev_b32_e32 v31, 23, v31
	v_and_or_b32 v7, 0x8000, v7, v32
	v_lshl_or_b32 v64, v7, 16, v31
.LBB310_12:                             ;   in Loop: Header=BB310_16 Depth=1
	s_or_b32 exec_lo, exec_lo, s27
.LBB310_13:                             ;   in Loop: Header=BB310_16 Depth=1
	s_or_b32 exec_lo, exec_lo, s26
.LBB310_14:                             ;   in Loop: Header=BB310_16 Depth=1
	s_or_b32 exec_lo, exec_lo, s25
	v_or_b32_e32 v4, v5, v4
	v_or_b32_e32 v0, v1, v0
	v_fma_mixlo_f16 v5, v83, v5, 0 op_sel:[0,1,0] op_sel_hi:[0,1,0]
	v_or_b32_e32 v7, v111, v107
	v_fma_mixlo_f16 v31, v83, v111, 0 op_sel:[0,1,0] op_sel_hi:[0,1,0]
	v_fma_mixlo_f16 v4, v83, v4, 0 op_sel_hi:[0,1,0]
	v_fma_mixlo_f16 v0, v83, v0, 0 op_sel_hi:[0,1,0]
	buffer_store_dword v5, off, s[0:3], s32 offset:352 ; 4-byte Folded Spill
	v_fma_mixlo_f16 v5, v83, v37, 0 op_sel:[0,1,0] op_sel_hi:[0,1,0]
	v_fma_mixlo_f16 v7, v83, v7, 0 op_sel_hi:[0,1,0]
	buffer_store_dword v4, off, s[0:3], s32 offset:356 ; 4-byte Folded Spill
	v_or_b32_e32 v4, v37, v35
	buffer_store_dword v0, off, s[0:3], s32 offset:384 ; 4-byte Folded Spill
	v_or_b32_e32 v0, v81, v14
	buffer_store_dword v5, off, s[0:3], s32 offset:360 ; 4-byte Folded Spill
	v_fma_mixlo_f16 v5, v83, v53, 0 op_sel:[0,1,0] op_sel_hi:[0,1,0]
	v_fma_mixlo_f16 v4, v83, v4, 0 op_sel_hi:[0,1,0]
	buffer_store_dword v7, off, s[0:3], s32 offset:324 ; 4-byte Folded Spill
	v_or_b32_e32 v7, v54, v52
	v_fma_mixlo_f16 v52, v83, v18, 0 op_sel:[0,1,0] op_sel_hi:[0,1,0]
	v_fma_mixlo_f16 v35, v83, v102, 0 op_sel:[0,1,0] op_sel_hi:[0,1,0]
	buffer_store_dword v4, off, s[0:3], s32 offset:364 ; 4-byte Folded Spill
	v_or_b32_e32 v4, v53, v38
	v_fma_mixlo_f16 v53, v83, v0, 0 op_sel_hi:[0,1,0]
	v_or_b32_e32 v0, v44, v71
	buffer_store_dword v31, off, s[0:3], s32 offset:320 ; 4-byte Folded Spill
	v_fma_mixlo_f16 v31, v83, v54, 0 op_sel:[0,1,0] op_sel_hi:[0,1,0]
	v_fma_mixlo_f16 v4, v83, v4, 0 op_sel_hi:[0,1,0]
	v_fma_mixlo_f16 v37, v83, v103, 0 op_sel:[0,1,0] op_sel_hi:[0,1,0]
	v_fma_mixlo_f16 v0, v83, v0, 0 op_sel_hi:[0,1,0]
	v_fma_mixlo_f16 v14, v83, v104, 0 op_sel:[0,1,0] op_sel_hi:[0,1,0]
	buffer_store_dword v31, off, s[0:3], s32 offset:328 ; 4-byte Folded Spill
	buffer_store_dword v4, off, s[0:3], s32 offset:348 ; 4-byte Folded Spill
	v_or_b32_e32 v4, v84, v80
	buffer_store_dword v0, off, s[0:3], s32 offset:372 ; 4-byte Folded Spill
	v_fma_mixlo_f16 v0, v83, v44, 0 op_sel:[0,1,0] op_sel_hi:[0,1,0]
	v_fma_mixlo_f16 v31, v83, v115, 0 op_sel:[0,1,0] op_sel_hi:[0,1,0]
	;; [unrolled: 1-line block ×3, first 2 shown]
	v_fma_mixlo_f16 v4, v83, v4, 0 op_sel_hi:[0,1,0]
	v_fma_mixlo_f16 v7, v83, v7, 0 op_sel_hi:[0,1,0]
	buffer_store_dword v0, off, s[0:3], s32 offset:368 ; 4-byte Folded Spill
	v_or_b32_e32 v0, v24, v21
	buffer_store_dword v31, off, s[0:3], s32 offset:312 ; 4-byte Folded Spill
	buffer_store_dword v4, off, s[0:3], s32 offset:340 ; 4-byte Folded Spill
	v_fma_mixlo_f16 v4, v83, v84, 0 op_sel:[0,1,0] op_sel_hi:[0,1,0]
	v_fma_mixlo_f16 v31, v83, v85, 0 op_sel:[0,1,0] op_sel_hi:[0,1,0]
	v_fma_mixlo_f16 v71, v83, v0, 0 op_sel_hi:[0,1,0]
	v_or_b32_e32 v0, v13, v6
	v_fma_mixlo_f16 v24, v83, v48, 0 op_sel:[0,1,0] op_sel_hi:[0,1,0]
	buffer_store_dword v4, off, s[0:3], s32 offset:336 ; 4-byte Folded Spill
	v_or_b32_e32 v4, v18, v12
	buffer_store_dword v7, off, s[0:3], s32 offset:332 ; 4-byte Folded Spill
	v_fma_mixlo_f16 v18, v83, v0, 0 op_sel_hi:[0,1,0]
	v_or_b32_e32 v0, v102, v25
	v_or_b32_e32 v7, v115, v110
	v_fma_mixlo_f16 v110, v83, v127, 0 op_sel:[0,1,0] op_sel_hi:[0,1,0]
	buffer_store_dword v5, off, s[0:3], s32 offset:344 ; 4-byte Folded Spill
	v_fma_mixlo_f16 v5, v83, v123, 0 op_sel:[0,1,0] op_sel_hi:[0,1,0]
	v_fma_mixlo_f16 v0, v83, v0, 0 op_sel_hi:[0,1,0]
	v_fma_mixlo_f16 v4, v83, v4, 0 op_sel_hi:[0,1,0]
	v_fma_mixlo_f16 v7, v83, v7, 0 op_sel_hi:[0,1,0]
	v_fma_mixlo_f16 v1, v83, v1, 0 op_sel:[0,1,0] op_sel_hi:[0,1,0]
	v_fma_mixlo_f16 v54, v83, v81, 0 op_sel:[0,1,0] op_sel_hi:[0,1,0]
	buffer_store_dword v0, off, s[0:3], s32 offset:388 ; 4-byte Folded Spill
	v_or_b32_e32 v0, v103, v55
	v_fma_mixlo_f16 v103, v83, v50, 0 op_sel:[0,1,0] op_sel_hi:[0,1,0]
	buffer_store_dword v4, off, s[0:3], s32 offset:376 ; 4-byte Folded Spill
	v_fma_mixlo_f16 v4, v83, v109, 0 op_sel:[0,1,0] op_sel_hi:[0,1,0]
	buffer_store_dword v7, off, s[0:3], s32 offset:316 ; 4-byte Folded Spill
	v_fma_mixlo_f16 v55, v83, v0, 0 op_sel_hi:[0,1,0]
	v_or_b32_e32 v0, v100, v66
	v_fma_mixlo_f16 v66, v83, v100, 0 op_sel:[0,1,0] op_sel_hi:[0,1,0]
	v_or_b32_e32 v7, v120, v114
	buffer_store_dword v1, off, s[0:3], s32 offset:380 ; 4-byte Folded Spill
	v_fma_mixlo_f16 v81, v83, v13, 0 op_sel:[0,1,0] op_sel_hi:[0,1,0]
	v_fma_mixlo_f16 v102, v83, v0, 0 op_sel_hi:[0,1,0]
	v_or_b32_e32 v0, v50, v49
	v_fma_mixlo_f16 v7, v83, v7, 0 op_sel_hi:[0,1,0]
	v_fma_mixlo_f16 v13, v83, v19, 0 op_sel:[0,1,0] op_sel_hi:[0,1,0]
	v_fma_mixlo_f16 v49, v83, v41, 0 op_sel:[0,1,0] op_sel_hi:[0,1,0]
	v_fma_mixlo_f16 v25, v83, v2, 0 op_sel:[0,1,0] op_sel_hi:[0,1,0]
	v_fma_mixlo_f16 v38, v83, v0, 0 op_sel_hi:[0,1,0]
	v_or_b32_e32 v0, v119, v97
	v_fma_mixlo_f16 v97, v83, v119, 0 op_sel:[0,1,0] op_sel_hi:[0,1,0]
	buffer_store_dword v7, off, s[0:3], s32 offset:308 ; 4-byte Folded Spill
	v_fma_mixlo_f16 v7, v83, v120, 0 op_sel:[0,1,0] op_sel_hi:[0,1,0]
	v_fma_mixlo_f16 v120, v83, v92, 0 op_sel:[0,1,0] op_sel_hi:[0,1,0]
	v_fma_mixlo_f16 v100, v83, v0, 0 op_sel_hi:[0,1,0]
	v_or_b32_e32 v0, v41, v118
	v_fma_mixlo_f16 v41, v83, v30, 0 op_sel:[0,1,0] op_sel_hi:[0,1,0]
	buffer_store_dword v7, off, s[0:3], s32 offset:304 ; 4-byte Folded Spill
	v_and_b32_e32 v4, 0xffff, v4
	v_fma_mixlo_f16 v50, v83, v0, 0 op_sel_hi:[0,1,0]
	v_or_b32_e32 v0, v85, v87
	v_fma_mixlo_f16 v87, v83, v96, 0 op_sel:[0,1,0] op_sel_hi:[0,1,0]
	v_fma_mixlo_f16 v85, v83, v0, 0 op_sel_hi:[0,1,0]
	v_or_b32_e32 v0, v96, v29
	v_fma_mixlo_f16 v96, v83, v22, 0 op_sel:[0,1,0] op_sel_hi:[0,1,0]
	;; [unrolled: 3-line block ×6, first 2 shown]
	v_and_b32_e32 v20, 0xffff, v20
	v_fma_mixlo_f16 v107, v83, v0, 0 op_sel_hi:[0,1,0]
	v_or_b32_e32 v0, v48, v26
	v_and_b32_e32 v15, 0xffff, v15
	v_fma_mixlo_f16 v48, v83, v0, 0 op_sel_hi:[0,1,0]
	v_or_b32_e32 v0, v65, v67
	v_fma_mixlo_f16 v65, v83, v10, 0 op_sel:[0,1,0] op_sel_hi:[0,1,0]
	v_fma_mixlo_f16 v104, v83, v0, 0 op_sel_hi:[0,1,0]
	v_or_b32_e32 v0, v10, v23
	v_fma_mixlo_f16 v6, v83, v0, 0 op_sel_hi:[0,1,0]
	v_or_b32_e32 v0, v127, v112
	;; [unrolled: 2-line block ×5, first 2 shown]
	v_fma_mixlo_f16 v106, v83, v106, 0 op_sel:[0,1,0] op_sel_hi:[0,1,0]
	v_fma_mixlo_f16 v111, v83, v0, 0 op_sel_hi:[0,1,0]
	v_or_b32_e32 v0, v92, v27
	v_fma_mixlo_f16 v92, v83, v117, 0 op_sel:[0,1,0] op_sel_hi:[0,1,0]
	v_fma_mixlo_f16 v121, v83, v0, 0 op_sel_hi:[0,1,0]
	v_or_b32_e32 v0, v109, v105
	v_fma_mixlo_f16 v109, v83, v77, 0 op_sel:[0,1,0] op_sel_hi:[0,1,0]
	v_fma_mixlo_f16 v105, v83, v0, 0 op_sel_hi:[0,1,0]
	v_or_b32_e32 v0, v123, v108
	v_fma_mixlo_f16 v21, v83, v0, 0 op_sel_hi:[0,1,0]
	v_or_b32_e32 v0, v88, v78
	v_fma_mixlo_f16 v78, v83, v90, 0 op_sel:[0,1,0] op_sel_hi:[0,1,0]
	v_fma_mixlo_f16 v88, v83, v88, 0 op_sel:[0,1,0] op_sel_hi:[0,1,0]
	v_fma_mixlo_f16 v108, v83, v0, 0 op_sel_hi:[0,1,0]
	v_or_b32_e32 v0, v77, v76
	v_fma_mixlo_f16 v76, v83, v91, 0 op_sel:[0,1,0] op_sel_hi:[0,1,0]
	v_fma_mixlo_f16 v123, v83, v0, 0 op_sel_hi:[0,1,0]
	v_or_b32_e32 v0, v90, v79
	;; [unrolled: 3-line block ×3, first 2 shown]
	v_fma_mixlo_f16 v77, v83, v0, 0 op_sel_hi:[0,1,0]
	v_or_b32_e32 v0, v72, v62
	v_fma_mixlo_f16 v62, v83, v74, 0 op_sel:[0,1,0] op_sel_hi:[0,1,0]
	v_fma_mixlo_f16 v72, v83, v72, 0 op_sel:[0,1,0] op_sel_hi:[0,1,0]
	v_fma_mixlo_f16 v89, v83, v0, 0 op_sel_hi:[0,1,0]
	v_or_b32_e32 v0, v61, v60
	v_fma_mixlo_f16 v60, v83, v75, 0 op_sel:[0,1,0] op_sel_hi:[0,1,0]
	v_fma_mixlo_f16 v91, v83, v0, 0 op_sel_hi:[0,1,0]
	v_or_b32_e32 v0, v74, v63
	v_fma_mixlo_f16 v63, v83, v0, 0 op_sel_hi:[0,1,0]
	v_or_b32_e32 v0, v75, v73
	v_fma_mixlo_f16 v73, v83, v56, 0 op_sel:[0,1,0] op_sel_hi:[0,1,0]
	v_fma_mixlo_f16 v75, v83, v45, 0 op_sel:[0,1,0] op_sel_hi:[0,1,0]
	v_fma_mixlo_f16 v61, v83, v0, 0 op_sel_hi:[0,1,0]
	v_or_b32_e32 v0, v56, v46
	v_fma_mixlo_f16 v74, v83, v0, 0 op_sel_hi:[0,1,0]
	buffer_load_dword v0, off, s[0:3], s32 offset:272 ; 4-byte Folded Reload
	s_waitcnt vmcnt(0)
	v_or_b32_e32 v0, v45, v0
	v_fma_mixlo_f16 v45, v83, v59, 0 op_sel:[0,1,0] op_sel_hi:[0,1,0]
	v_fma_mixlo_f16 v122, v83, v0, 0 op_sel_hi:[0,1,0]
	v_or_b32_e32 v0, v58, v47
	v_fma_mixlo_f16 v47, v83, v58, 0 op_sel:[0,1,0] op_sel_hi:[0,1,0]
	v_fma_mixlo_f16 v58, v83, v40, 0 op_sel:[0,1,0] op_sel_hi:[0,1,0]
	v_fma_mixlo_f16 v56, v83, v0, 0 op_sel_hi:[0,1,0]
	v_or_b32_e32 v0, v59, v57
	v_fma_mixlo_f16 v46, v83, v0, 0 op_sel_hi:[0,1,0]
	buffer_load_dword v0, off, s[0:3], s32 offset:260 ; 4-byte Folded Reload
	s_waitcnt vmcnt(0)
	v_or_b32_e32 v0, v40, v0
	v_fma_mixlo_f16 v59, v83, v0, 0 op_sel_hi:[0,1,0]
	buffer_load_dword v0, off, s[0:3], s32 offset:256 ; 4-byte Folded Reload
	s_waitcnt vmcnt(0)
	v_or_b32_e32 v0, v117, v0
	v_fma_mixlo_f16 v117, v83, v125, 0 op_sel:[0,1,0] op_sel_hi:[0,1,0]
	v_fma_mixlo_f16 v84, v83, v0, 0 op_sel_hi:[0,1,0]
	buffer_load_dword v0, off, s[0:3], s32 offset:264 ; 4-byte Folded Reload
	s_waitcnt vmcnt(0)
	v_or_b32_e32 v0, v42, v0
	v_fma_mixlo_f16 v42, v83, v42, 0 op_sel:[0,1,0] op_sel_hi:[0,1,0]
	v_fma_mixlo_f16 v57, v83, v0, 0 op_sel_hi:[0,1,0]
	buffer_load_dword v0, off, s[0:3], s32 offset:268 ; 4-byte Folded Reload
	s_waitcnt vmcnt(0)
	v_or_b32_e32 v0, v125, v0
	v_fma_mixlo_f16 v40, v83, v0, 0 op_sel_hi:[0,1,0]
	s_clause 0x1
	buffer_load_dword v0, off, s[0:3], s32 offset:240
	buffer_load_dword v1, off, s[0:3], s32 offset:248
	s_waitcnt vmcnt(0)
	v_or_b32_e32 v0, v1, v0
	v_fma_mixlo_f16 v10, v83, v1, 0 op_sel:[0,1,0] op_sel_hi:[0,1,0]
	v_fma_mixlo_f16 v11, v83, v0, 0 op_sel_hi:[0,1,0]
	s_clause 0x1
	buffer_load_dword v0, off, s[0:3], s32 offset:232
	buffer_load_dword v1, off, s[0:3], s32 offset:236
	v_and_b32_e32 v10, 0xffff, v10
	v_and_b32_e32 v11, 0xffff, v11
	s_waitcnt vmcnt(0)
	v_or_b32_e32 v0, v1, v0
	v_fma_mixlo_f16 v7, v83, v1, 0 op_sel:[0,1,0] op_sel_hi:[0,1,0]
	v_fma_mixlo_f16 v67, v83, v0, 0 op_sel_hi:[0,1,0]
	buffer_load_dword v0, off, s[0:3], s32 offset:244 ; 4-byte Folded Reload
	v_and_b32_e32 v7, 0xffff, v7
	v_and_b32_e32 v29, 0xffff, v67
	s_waitcnt vmcnt(0)
	v_or_b32_e32 v0, v16, v0
	v_fma_mixlo_f16 v19, v83, v0, 0 op_sel_hi:[0,1,0]
	buffer_load_dword v0, off, s[0:3], s32 offset:252 ; 4-byte Folded Reload
	v_and_b32_e32 v19, 0xffff, v19
	s_waitcnt vmcnt(0)
	v_or_b32_e32 v0, v126, v0
	v_fma_mixlo_f16 v30, v83, v0, 0 op_sel_hi:[0,1,0]
	buffer_load_dword v0, off, s[0:3], s32 offset:216 ; 4-byte Folded Reload
	s_waitcnt vmcnt(0)
	v_or_b32_e32 v0, v39, v0
	v_fma_mixlo_f16 v39, v83, v39, 0 op_sel:[0,1,0] op_sel_hi:[0,1,0]
	v_fma_mixlo_f16 v126, v83, v0, 0 op_sel_hi:[0,1,0]
	v_or_b32_e32 v0, v124, v101
	v_fma_mixlo_f16 v101, v83, v124, 0 op_sel:[0,1,0] op_sel_hi:[0,1,0]
	v_fma_mixlo_f16 v112, v83, v0, 0 op_sel_hi:[0,1,0]
	s_clause 0x1
	buffer_load_dword v0, off, s[0:3], s32 offset:224
	buffer_load_dword v1, off, s[0:3], s32 offset:228
	s_waitcnt vmcnt(0)
	v_or_b32_e32 v0, v1, v0
	v_fma_mixlo_f16 v114, v83, v1, 0 op_sel:[0,1,0] op_sel_hi:[0,1,0]
	v_fma_mixlo_f16 v115, v83, v0, 0 op_sel_hi:[0,1,0]
	s_clause 0x1
	buffer_load_dword v0, off, s[0:3], s32 offset:220
	buffer_load_dword v1, off, s[0:3], s32 offset:276
	s_load_dword s25, s[8:9], 0x0
	buffer_load_dword v2, off, s[0:3], s32 offset:408 ; 4-byte Folded Reload
	s_waitcnt vmcnt(1)
	v_or_b32_e32 v0, v1, v0
	v_fma_mixlo_f16 v125, v83, v1, 0 op_sel:[0,1,0] op_sel_hi:[0,1,0]
	buffer_load_dword v1, off, s[0:3], s32 offset:424 ; 4-byte Folded Reload
	v_fma_mixlo_f16 v16, v83, v0, 0 op_sel_hi:[0,1,0]
	buffer_load_dword v0, off, s[0:3], s32 offset:392 ; 4-byte Folded Reload
	s_waitcnt vmcnt(1)
	v_add_nc_u32_e32 v1, v1, v9
	s_waitcnt vmcnt(0)
	v_add_nc_u32_e32 v0, v0, v9
	v_cvt_f32_i32_e32 v1, v1
	v_cmp_lt_i32_e64 s5, v0, v36
	v_mul_f32_e32 v1, v2, v1
	v_fma_mixlo_f16 v2, v83, v34, 0 op_sel:[0,1,0] op_sel_hi:[0,1,0]
	s_waitcnt lgkmcnt(0)
	v_add_nc_u32_e32 v0, s25, v51
	v_cndmask_b32_e32 v22, 0, v1, vcc_lo
	v_or_b32_e32 v1, v17, v98
	buffer_store_dword v2, off, s[0:3], s32 offset:224 ; 4-byte Folded Spill
	buffer_store_dword v0, off, s[0:3], s32 offset:216 ; 4-byte Folded Spill
	v_fma_mixlo_f16 v17, v83, v17, 0 op_sel:[0,1,0] op_sel_hi:[0,1,0]
	v_fma_mixlo_f16 v98, v83, v1, 0 op_sel_hi:[0,1,0]
	v_or_b32_e32 v1, v86, v33
	v_fma_mixlo_f16 v86, v83, v86, 0 op_sel:[0,1,0] op_sel_hi:[0,1,0]
	v_fma_mixlo_f16 v33, v83, v1, 0 op_sel_hi:[0,1,0]
	v_or_b32_e32 v1, v34, v99
	v_fma_mixlo_f16 v1, v83, v1, 0 op_sel_hi:[0,1,0]
	buffer_store_dword v1, off, s[0:3], s32 offset:228 ; 4-byte Folded Spill
	v_or_b32_e32 v1, v64, v43
	v_fma_mixlo_f16 v1, v83, v1, 0 op_sel_hi:[0,1,0]
	v_fma_mixlo_f16 v83, v83, v64, 0 op_sel:[0,1,0] op_sel_hi:[0,1,0]
	buffer_store_dword v1, off, s[0:3], s32 offset:220 ; 4-byte Folded Spill
	ds_read_b128 v[0:3], v8
	s_waitcnt lgkmcnt(0)
	v_lshrrev_b32_e32 v26, 16, v0
	v_and_b32_e32 v0, 0xffff, v0
	;;#ASMSTART
	v_cvt_f32_f16 v23, v0;
	;;#ASMEND
	v_and_b32_e32 v0, 0xffff, v112
	;;#ASMSTART
	v_cvt_f32_f16 v26, v26;
	;;#ASMEND
	;;#ASMSTART
	v_cvt_f32_f16 v64, v0;
	;;#ASMEND
	v_and_b32_e32 v0, 0xffff, v101
	;;#ASMSTART
	v_cvt_f32_f16 v70, v0;
	;;#ASMEND
	v_lshrrev_b32_e32 v0, 16, v1
	v_and_b32_e32 v1, 0xffff, v1
	;;#ASMSTART
	v_cvt_f32_f16 v124, v1;
	;;#ASMEND
	;;#ASMSTART
	v_cvt_f32_f16 v43, v0;
	;;#ASMEND
	v_and_b32_e32 v0, 0xffff, v126
	;;#ASMSTART
	v_cvt_f32_f16 v27, v0;
	;;#ASMEND
	v_and_b32_e32 v0, 0xffff, v39
	;;#ASMSTART
	v_cvt_f32_f16 v126, v0;
	;;#ASMEND
	v_lshrrev_b32_e32 v0, 16, v2
	v_and_b32_e32 v1, 0xffff, v2
	;;#ASMSTART
	v_cvt_f32_f16 v112, v1;
	;;#ASMEND
	;;#ASMSTART
	v_cvt_f32_f16 v101, v0;
	;;#ASMEND
	v_and_b32_e32 v0, 0xffff, v115
	;; [unrolled: 16-line block ×3, first 2 shown]
	;;#ASMSTART
	v_cvt_f32_f16 v16, v0;
	;;#ASMEND
	v_and_b32_e32 v0, 0xffff, v125
	;;#ASMSTART
	v_cvt_f32_f16 v34, v0;
	;;#ASMEND
	ds_read_b128 v[0:3], v8 offset:16
	s_waitcnt lgkmcnt(0)
	v_lshrrev_b32_e32 v28, 16, v0
	v_and_b32_e32 v0, 0xffff, v0
	;;#ASMSTART
	v_cvt_f32_f16 v0, v0;
	;;#ASMEND
	;;#ASMSTART
	v_cvt_f32_f16 v28, v28;
	;;#ASMEND
	;; [unrolled: 3-line block ×3, first 2 shown]
	v_mul_f32_e32 v0, v0, v29
	;;#ASMSTART
	v_cvt_f32_f16 v7, v7;
	;;#ASMEND
	v_mul_f32_e32 v7, v28, v7
	v_fmac_f32_e32 v0, v23, v64
	v_lshrrev_b32_e32 v23, 16, v1
	v_and_b32_e32 v1, 0xffff, v1
	;;#ASMSTART
	v_cvt_f32_f16 v1, v1;
	;;#ASMEND
	;;#ASMSTART
	v_cvt_f32_f16 v23, v23;
	;;#ASMEND
	;; [unrolled: 3-line block ×3, first 2 shown]
	v_mul_f32_e32 v11, v1, v11
	;;#ASMSTART
	v_cvt_f32_f16 v10, v10;
	;;#ASMEND
	v_and_b32_e32 v1, 0xffff, v2
	v_mul_f32_e32 v10, v23, v10
	v_lshrrev_b32_e32 v23, 16, v2
	;;#ASMSTART
	v_cvt_f32_f16 v1, v1;
	;;#ASMEND
	;;#ASMSTART
	v_cvt_f32_f16 v2, v23;
	;;#ASMEND
	;; [unrolled: 3-line block ×4, first 2 shown]
	v_mul_f32_e32 v19, v1, v19
	v_mul_f32_e32 v15, v2, v15
	v_lshrrev_b32_e32 v2, 16, v3
	v_and_b32_e32 v1, 0xffff, v3
	v_and_b32_e32 v3, 0xffff, v30
	v_fmac_f32_e32 v7, v26, v70
	v_fmac_f32_e32 v11, v124, v27
	;;#ASMSTART
	v_cvt_f32_f16 v1, v1;
	;;#ASMEND
	;;#ASMSTART
	v_cvt_f32_f16 v2, v2;
	;;#ASMEND
	;; [unrolled: 3-line block ×4, first 2 shown]
	ds_read_b128 v[26:29], v8 offset:32
	v_mul_f32_e32 v30, v1, v3
	v_fmac_f32_e32 v10, v43, v126
	v_mul_f32_e32 v20, v2, v20
	v_and_b32_e32 v3, 0xffff, v84
	v_fmac_f32_e32 v19, v112, v115
	v_fmac_f32_e32 v30, v99, v16
	v_and_b32_e32 v16, 0xffff, v92
	v_fmac_f32_e32 v15, v101, v114
	v_fmac_f32_e32 v20, v39, v34
	s_waitcnt lgkmcnt(0)
	v_lshrrev_b32_e32 v2, 16, v26
	v_and_b32_e32 v1, 0xffff, v26
	;;#ASMSTART
	v_cvt_f32_f16 v1, v1;
	;;#ASMEND
	;;#ASMSTART
	v_cvt_f32_f16 v2, v2;
	;;#ASMEND
	;;#ASMSTART
	v_cvt_f32_f16 v3, v3;
	;;#ASMEND
	;;#ASMSTART
	v_cvt_f32_f16 v16, v16;
	;;#ASMEND
	v_fmac_f32_e32 v0, v1, v3
	v_fmac_f32_e32 v7, v2, v16
	v_lshrrev_b32_e32 v2, 16, v27
	v_and_b32_e32 v1, 0xffff, v27
	v_and_b32_e32 v3, 0xffff, v59
	v_and_b32_e32 v16, 0xffff, v58
	;;#ASMSTART
	v_cvt_f32_f16 v1, v1;
	;;#ASMEND
	;;#ASMSTART
	v_cvt_f32_f16 v2, v2;
	;;#ASMEND
	;;#ASMSTART
	v_cvt_f32_f16 v3, v3;
	;;#ASMEND
	;;#ASMSTART
	v_cvt_f32_f16 v16, v16;
	;;#ASMEND
	v_fmac_f32_e32 v11, v1, v3
	v_fmac_f32_e32 v10, v2, v16
	v_lshrrev_b32_e32 v2, 16, v28
	v_and_b32_e32 v1, 0xffff, v28
	v_and_b32_e32 v3, 0xffff, v57
	v_and_b32_e32 v16, 0xffff, v42
	;;#ASMSTART
	v_cvt_f32_f16 v1, v1;
	;;#ASMEND
	;;#ASMSTART
	v_cvt_f32_f16 v2, v2;
	;;#ASMEND
	;;#ASMSTART
	v_cvt_f32_f16 v3, v3;
	;;#ASMEND
	;;#ASMSTART
	v_cvt_f32_f16 v16, v16;
	;;#ASMEND
	v_fmac_f32_e32 v19, v1, v3
	v_fmac_f32_e32 v15, v2, v16
	v_lshrrev_b32_e32 v2, 16, v29
	v_and_b32_e32 v1, 0xffff, v29
	v_and_b32_e32 v3, 0xffff, v40
	v_and_b32_e32 v16, 0xffff, v117
	;;#ASMSTART
	v_cvt_f32_f16 v1, v1;
	;;#ASMEND
	;;#ASMSTART
	v_cvt_f32_f16 v2, v2;
	;;#ASMEND
	;; [unrolled: 3-line block ×4, first 2 shown]
	ds_read_b128 v[26:29], v8 offset:48
	v_fmac_f32_e32 v30, v1, v3
	v_fmac_f32_e32 v20, v2, v16
	v_and_b32_e32 v3, 0xffff, v122
	v_and_b32_e32 v16, 0xffff, v75
	s_waitcnt lgkmcnt(0)
	v_lshrrev_b32_e32 v2, 16, v26
	v_and_b32_e32 v1, 0xffff, v26
	;;#ASMSTART
	v_cvt_f32_f16 v1, v1;
	;;#ASMEND
	;;#ASMSTART
	v_cvt_f32_f16 v2, v2;
	;;#ASMEND
	;;#ASMSTART
	v_cvt_f32_f16 v3, v3;
	;;#ASMEND
	;;#ASMSTART
	v_cvt_f32_f16 v16, v16;
	;;#ASMEND
	v_fmac_f32_e32 v0, v1, v3
	v_fmac_f32_e32 v7, v2, v16
	v_lshrrev_b32_e32 v2, 16, v27
	v_and_b32_e32 v1, 0xffff, v27
	v_and_b32_e32 v3, 0xffff, v74
	v_and_b32_e32 v16, 0xffff, v73
	;;#ASMSTART
	v_cvt_f32_f16 v1, v1;
	;;#ASMEND
	;;#ASMSTART
	v_cvt_f32_f16 v2, v2;
	;;#ASMEND
	;;#ASMSTART
	v_cvt_f32_f16 v3, v3;
	;;#ASMEND
	;;#ASMSTART
	v_cvt_f32_f16 v16, v16;
	;;#ASMEND
	v_fmac_f32_e32 v11, v1, v3
	v_fmac_f32_e32 v10, v2, v16
	v_lshrrev_b32_e32 v2, 16, v28
	v_and_b32_e32 v1, 0xffff, v28
	v_and_b32_e32 v3, 0xffff, v56
	;; [unrolled: 18-line block ×3, first 2 shown]
	v_and_b32_e32 v16, 0xffff, v45
	;;#ASMSTART
	v_cvt_f32_f16 v1, v1;
	;;#ASMEND
	;;#ASMSTART
	v_cvt_f32_f16 v2, v2;
	;;#ASMEND
	;; [unrolled: 3-line block ×4, first 2 shown]
	ds_read_b128 v[26:29], v8 offset:64
	v_fmac_f32_e32 v30, v1, v3
	v_fmac_f32_e32 v20, v2, v16
	v_and_b32_e32 v3, 0xffff, v91
	v_and_b32_e32 v16, 0xffff, v90
	s_waitcnt lgkmcnt(0)
	v_lshrrev_b32_e32 v2, 16, v26
	v_and_b32_e32 v1, 0xffff, v26
	;;#ASMSTART
	v_cvt_f32_f16 v1, v1;
	;;#ASMEND
	;;#ASMSTART
	v_cvt_f32_f16 v2, v2;
	;;#ASMEND
	;;#ASMSTART
	v_cvt_f32_f16 v3, v3;
	;;#ASMEND
	;;#ASMSTART
	v_cvt_f32_f16 v16, v16;
	;;#ASMEND
	v_fmac_f32_e32 v0, v1, v3
	v_fmac_f32_e32 v7, v2, v16
	v_lshrrev_b32_e32 v2, 16, v27
	v_and_b32_e32 v1, 0xffff, v27
	v_and_b32_e32 v3, 0xffff, v89
	v_and_b32_e32 v16, 0xffff, v72
	;;#ASMSTART
	v_cvt_f32_f16 v1, v1;
	;;#ASMEND
	;;#ASMSTART
	v_cvt_f32_f16 v2, v2;
	;;#ASMEND
	;;#ASMSTART
	v_cvt_f32_f16 v3, v3;
	;;#ASMEND
	;;#ASMSTART
	v_cvt_f32_f16 v16, v16;
	;;#ASMEND
	v_fmac_f32_e32 v11, v1, v3
	v_fmac_f32_e32 v10, v2, v16
	v_lshrrev_b32_e32 v2, 16, v28
	v_and_b32_e32 v1, 0xffff, v28
	v_and_b32_e32 v3, 0xffff, v63
	;; [unrolled: 18-line block ×3, first 2 shown]
	v_and_b32_e32 v16, 0xffff, v60
	;;#ASMSTART
	v_cvt_f32_f16 v1, v1;
	;;#ASMEND
	;;#ASMSTART
	v_cvt_f32_f16 v2, v2;
	;;#ASMEND
	;; [unrolled: 3-line block ×4, first 2 shown]
	ds_read_b128 v[26:29], v8 offset:80
	v_fmac_f32_e32 v30, v1, v3
	v_fmac_f32_e32 v20, v2, v16
	v_and_b32_e32 v3, 0xffff, v123
	v_and_b32_e32 v16, 0xffff, v109
	s_waitcnt lgkmcnt(0)
	v_lshrrev_b32_e32 v2, 16, v26
	v_and_b32_e32 v1, 0xffff, v26
	;;#ASMSTART
	v_cvt_f32_f16 v1, v1;
	;;#ASMEND
	;;#ASMSTART
	v_cvt_f32_f16 v2, v2;
	;;#ASMEND
	;;#ASMSTART
	v_cvt_f32_f16 v3, v3;
	;;#ASMEND
	;;#ASMSTART
	v_cvt_f32_f16 v16, v16;
	;;#ASMEND
	v_fmac_f32_e32 v0, v1, v3
	v_fmac_f32_e32 v7, v2, v16
	v_lshrrev_b32_e32 v2, 16, v27
	v_and_b32_e32 v1, 0xffff, v27
	v_and_b32_e32 v3, 0xffff, v108
	v_and_b32_e32 v16, 0xffff, v88
	;;#ASMSTART
	v_cvt_f32_f16 v1, v1;
	;;#ASMEND
	;;#ASMSTART
	v_cvt_f32_f16 v2, v2;
	;;#ASMEND
	;;#ASMSTART
	v_cvt_f32_f16 v3, v3;
	;;#ASMEND
	;;#ASMSTART
	v_cvt_f32_f16 v16, v16;
	;;#ASMEND
	v_fmac_f32_e32 v11, v1, v3
	v_fmac_f32_e32 v10, v2, v16
	v_lshrrev_b32_e32 v2, 16, v28
	v_and_b32_e32 v1, 0xffff, v28
	v_and_b32_e32 v3, 0xffff, v79
	;; [unrolled: 18-line block ×3, first 2 shown]
	v_and_b32_e32 v16, 0xffff, v76
	;;#ASMSTART
	v_cvt_f32_f16 v1, v1;
	;;#ASMEND
	;;#ASMSTART
	v_cvt_f32_f16 v2, v2;
	;;#ASMEND
	;; [unrolled: 3-line block ×4, first 2 shown]
	ds_read_b128 v[26:29], v8 offset:96
	v_fmac_f32_e32 v30, v1, v3
	v_fmac_f32_e32 v20, v2, v16
	v_and_b32_e32 v3, 0xffff, v121
	v_and_b32_e32 v16, 0xffff, v120
	s_waitcnt lgkmcnt(0)
	v_lshrrev_b32_e32 v2, 16, v26
	v_and_b32_e32 v1, 0xffff, v26
	;;#ASMSTART
	v_cvt_f32_f16 v1, v1;
	;;#ASMEND
	;;#ASMSTART
	v_cvt_f32_f16 v2, v2;
	;;#ASMEND
	;; [unrolled: 3-line block ×4, first 2 shown]
	v_fmac_f32_e32 v0, v1, v3
	v_fmac_f32_e32 v7, v2, v16
	v_lshrrev_b32_e32 v2, 16, v27
	v_and_b32_e32 v1, 0xffff, v27
	v_and_b32_e32 v3, 0xffff, v111
	;;#ASMSTART
	v_cvt_f32_f16 v1, v1;
	;;#ASMEND
	;;#ASMSTART
	v_cvt_f32_f16 v2, v2;
	;;#ASMEND
	;; [unrolled: 3-line block ×3, first 2 shown]
	v_and_b32_e32 v16, 0xffff, v106
	;;#ASMSTART
	v_cvt_f32_f16 v16, v16;
	;;#ASMEND
	v_fmac_f32_e32 v11, v1, v3
	v_fmac_f32_e32 v10, v2, v16
	v_lshrrev_b32_e32 v2, 16, v28
	v_and_b32_e32 v1, 0xffff, v28
	v_and_b32_e32 v3, 0xffff, v105
	;;#ASMSTART
	v_cvt_f32_f16 v1, v1;
	;;#ASMEND
	;;#ASMSTART
	v_cvt_f32_f16 v2, v2;
	;;#ASMEND
	;; [unrolled: 3-line block ×4, first 2 shown]
	v_fmac_f32_e32 v19, v1, v3
	v_fmac_f32_e32 v15, v2, v4
	v_lshrrev_b32_e32 v2, 16, v29
	v_and_b32_e32 v1, 0xffff, v29
	v_and_b32_e32 v3, 0xffff, v21
	;; [unrolled: 1-line block ×3, first 2 shown]
	;;#ASMSTART
	v_cvt_f32_f16 v1, v1;
	;;#ASMEND
	;;#ASMSTART
	v_cvt_f32_f16 v2, v2;
	;;#ASMEND
	;; [unrolled: 3-line block ×4, first 2 shown]
	v_fmac_f32_e32 v30, v1, v3
	v_fmac_f32_e32 v20, v2, v4
	ds_read_b128 v[1:4], v8 offset:112
	v_and_b32_e32 v16, 0xffff, v44
	v_and_b32_e32 v21, 0xffff, v110
	s_waitcnt lgkmcnt(0)
	v_lshrrev_b32_e32 v5, 16, v1
	v_and_b32_e32 v1, 0xffff, v1
	;;#ASMSTART
	v_cvt_f32_f16 v1, v1;
	;;#ASMEND
	;;#ASMSTART
	v_cvt_f32_f16 v5, v5;
	;;#ASMEND
	;; [unrolled: 3-line block ×4, first 2 shown]
	v_fmac_f32_e32 v0, v1, v16
	v_fmac_f32_e32 v7, v5, v21
	v_lshrrev_b32_e32 v5, 16, v2
	v_and_b32_e32 v1, 0xffff, v2
	;;#ASMSTART
	v_cvt_f32_f16 v1, v1;
	;;#ASMEND
	;;#ASMSTART
	v_cvt_f32_f16 v2, v5;
	;;#ASMEND
	v_and_b32_e32 v5, 0xffff, v6
	v_and_b32_e32 v6, 0xffff, v65
	;;#ASMSTART
	v_cvt_f32_f16 v5, v5;
	;;#ASMEND
	;;#ASMSTART
	v_cvt_f32_f16 v6, v6;
	;;#ASMEND
	v_fmac_f32_e32 v11, v1, v5
	v_fmac_f32_e32 v10, v2, v6
	v_lshrrev_b32_e32 v2, 16, v3
	v_and_b32_e32 v1, 0xffff, v3
	v_and_b32_e32 v3, 0xffff, v12
	;;#ASMSTART
	v_cvt_f32_f16 v1, v1;
	;;#ASMEND
	;;#ASMSTART
	v_cvt_f32_f16 v2, v2;
	;;#ASMEND
	;;#ASMSTART
	v_cvt_f32_f16 v3, v3;
	;;#ASMEND
	v_and_b32_e32 v5, 0xffff, v25
	;;#ASMSTART
	v_cvt_f32_f16 v5, v5;
	;;#ASMEND
	v_fmac_f32_e32 v19, v1, v3
	v_fmac_f32_e32 v15, v2, v5
	v_lshrrev_b32_e32 v2, 16, v4
	v_and_b32_e32 v1, 0xffff, v4
	v_and_b32_e32 v3, 0xffff, v127
	;; [unrolled: 1-line block ×3, first 2 shown]
	;;#ASMSTART
	v_cvt_f32_f16 v1, v1;
	;;#ASMEND
	;;#ASMSTART
	v_cvt_f32_f16 v2, v2;
	;;#ASMEND
	;;#ASMSTART
	v_cvt_f32_f16 v3, v3;
	;;#ASMEND
	;;#ASMSTART
	v_cvt_f32_f16 v4, v4;
	;;#ASMEND
	v_fmac_f32_e32 v30, v1, v3
	v_fmac_f32_e32 v20, v2, v4
	ds_read_b128 v[1:4], v8 offset:128
	v_and_b32_e32 v6, 0xffff, v107
	v_and_b32_e32 v12, 0xffff, v41
	s_waitcnt lgkmcnt(0)
	v_lshrrev_b32_e32 v5, 16, v1
	v_and_b32_e32 v1, 0xffff, v1
	;;#ASMSTART
	v_cvt_f32_f16 v1, v1;
	;;#ASMEND
	;;#ASMSTART
	v_cvt_f32_f16 v5, v5;
	;;#ASMEND
	;; [unrolled: 3-line block ×4, first 2 shown]
	v_fmac_f32_e32 v0, v1, v6
	v_fmac_f32_e32 v7, v5, v12
	v_lshrrev_b32_e32 v5, 16, v2
	v_and_b32_e32 v1, 0xffff, v2
	;;#ASMSTART
	v_cvt_f32_f16 v1, v1;
	;;#ASMEND
	;;#ASMSTART
	v_cvt_f32_f16 v2, v5;
	;;#ASMEND
	v_and_b32_e32 v5, 0xffff, v119
	v_and_b32_e32 v6, 0xffff, v96
	;;#ASMSTART
	v_cvt_f32_f16 v5, v5;
	;;#ASMEND
	;;#ASMSTART
	v_cvt_f32_f16 v6, v6;
	;;#ASMEND
	v_fmac_f32_e32 v11, v1, v5
	v_fmac_f32_e32 v10, v2, v6
	v_lshrrev_b32_e32 v2, 16, v3
	v_and_b32_e32 v1, 0xffff, v3
	v_and_b32_e32 v3, 0xffff, v48
	;;#ASMSTART
	v_cvt_f32_f16 v1, v1;
	;;#ASMEND
	;;#ASMSTART
	v_cvt_f32_f16 v2, v2;
	;;#ASMEND
	;; [unrolled: 3-line block ×3, first 2 shown]
	v_and_b32_e32 v5, 0xffff, v24
	;;#ASMSTART
	v_cvt_f32_f16 v5, v5;
	;;#ASMEND
	v_fmac_f32_e32 v19, v1, v3
	v_fmac_f32_e32 v15, v2, v5
	v_lshrrev_b32_e32 v2, 16, v4
	v_and_b32_e32 v1, 0xffff, v4
	v_and_b32_e32 v3, 0xffff, v104
	;; [unrolled: 1-line block ×3, first 2 shown]
	;;#ASMSTART
	v_cvt_f32_f16 v1, v1;
	;;#ASMEND
	;;#ASMSTART
	v_cvt_f32_f16 v2, v2;
	;;#ASMEND
	;; [unrolled: 3-line block ×4, first 2 shown]
	v_fmac_f32_e32 v30, v1, v3
	v_fmac_f32_e32 v20, v2, v4
	ds_read_b128 v[1:4], v8 offset:144
	v_and_b32_e32 v6, 0xffff, v118
	v_and_b32_e32 v12, 0xffff, v87
	s_waitcnt lgkmcnt(0)
	v_lshrrev_b32_e32 v5, 16, v1
	v_and_b32_e32 v1, 0xffff, v1
	;;#ASMSTART
	v_cvt_f32_f16 v1, v1;
	;;#ASMEND
	;;#ASMSTART
	v_cvt_f32_f16 v5, v5;
	;;#ASMEND
	;; [unrolled: 3-line block ×4, first 2 shown]
	v_fmac_f32_e32 v0, v1, v6
	v_fmac_f32_e32 v7, v5, v12
	v_lshrrev_b32_e32 v5, 16, v2
	v_and_b32_e32 v1, 0xffff, v2
	;;#ASMSTART
	v_cvt_f32_f16 v1, v1;
	;;#ASMEND
	;;#ASMSTART
	v_cvt_f32_f16 v2, v5;
	;;#ASMEND
	v_and_b32_e32 v5, 0xffff, v85
	v_and_b32_e32 v6, 0xffff, v31
	;;#ASMSTART
	v_cvt_f32_f16 v5, v5;
	;;#ASMEND
	;;#ASMSTART
	v_cvt_f32_f16 v6, v6;
	;;#ASMEND
	v_fmac_f32_e32 v11, v1, v5
	v_fmac_f32_e32 v10, v2, v6
	v_lshrrev_b32_e32 v2, 16, v3
	v_and_b32_e32 v1, 0xffff, v3
	v_and_b32_e32 v3, 0xffff, v32
	;;#ASMSTART
	v_cvt_f32_f16 v1, v1;
	;;#ASMEND
	;;#ASMSTART
	v_cvt_f32_f16 v2, v2;
	;;#ASMEND
	;; [unrolled: 3-line block ×3, first 2 shown]
	v_and_b32_e32 v5, 0xffff, v116
	;;#ASMSTART
	v_cvt_f32_f16 v5, v5;
	;;#ASMEND
	v_fmac_f32_e32 v19, v1, v3
	v_fmac_f32_e32 v15, v2, v5
	v_lshrrev_b32_e32 v2, 16, v4
	v_and_b32_e32 v1, 0xffff, v4
	v_and_b32_e32 v3, 0xffff, v113
	;; [unrolled: 1-line block ×3, first 2 shown]
	;;#ASMSTART
	v_cvt_f32_f16 v1, v1;
	;;#ASMEND
	;;#ASMSTART
	v_cvt_f32_f16 v2, v2;
	;;#ASMEND
	;; [unrolled: 3-line block ×4, first 2 shown]
	v_fmac_f32_e32 v30, v1, v3
	v_fmac_f32_e32 v20, v2, v4
	ds_read_b128 v[1:4], v8 offset:160
	v_and_b32_e32 v6, 0xffff, v38
	v_and_b32_e32 v12, 0xffff, v103
	s_waitcnt lgkmcnt(0)
	v_lshrrev_b32_e32 v5, 16, v1
	v_and_b32_e32 v1, 0xffff, v1
	;;#ASMSTART
	v_cvt_f32_f16 v1, v1;
	;;#ASMEND
	;;#ASMSTART
	v_cvt_f32_f16 v5, v5;
	;;#ASMEND
	;; [unrolled: 3-line block ×4, first 2 shown]
	v_fmac_f32_e32 v0, v1, v6
	v_fmac_f32_e32 v7, v5, v12
	v_lshrrev_b32_e32 v5, 16, v2
	v_and_b32_e32 v1, 0xffff, v2
	;;#ASMSTART
	v_cvt_f32_f16 v1, v1;
	;;#ASMEND
	;;#ASMSTART
	v_cvt_f32_f16 v2, v5;
	;;#ASMEND
	v_and_b32_e32 v5, 0xffff, v102
	v_and_b32_e32 v6, 0xffff, v66
	;;#ASMSTART
	v_cvt_f32_f16 v5, v5;
	;;#ASMEND
	;;#ASMSTART
	v_cvt_f32_f16 v6, v6;
	;;#ASMEND
	v_fmac_f32_e32 v11, v1, v5
	v_fmac_f32_e32 v10, v2, v6
	v_lshrrev_b32_e32 v2, 16, v3
	v_and_b32_e32 v1, 0xffff, v3
	v_and_b32_e32 v3, 0xffff, v100
	;;#ASMSTART
	v_cvt_f32_f16 v1, v1;
	;;#ASMEND
	;;#ASMSTART
	v_cvt_f32_f16 v2, v2;
	;;#ASMEND
	;; [unrolled: 3-line block ×3, first 2 shown]
	v_and_b32_e32 v5, 0xffff, v97
	;;#ASMSTART
	v_cvt_f32_f16 v5, v5;
	;;#ASMEND
	v_fmac_f32_e32 v19, v1, v3
	v_fmac_f32_e32 v15, v2, v5
	v_lshrrev_b32_e32 v2, 16, v4
	v_and_b32_e32 v1, 0xffff, v4
	v_and_b32_e32 v3, 0xffff, v50
	;; [unrolled: 1-line block ×3, first 2 shown]
	;;#ASMSTART
	v_cvt_f32_f16 v1, v1;
	;;#ASMEND
	;;#ASMSTART
	v_cvt_f32_f16 v2, v2;
	;;#ASMEND
	;; [unrolled: 3-line block ×4, first 2 shown]
	v_fmac_f32_e32 v30, v1, v3
	v_fmac_f32_e32 v20, v2, v4
	ds_read_b128 v[1:4], v8 offset:176
	v_and_b32_e32 v6, 0xffff, v18
	v_and_b32_e32 v12, 0xffff, v81
	s_waitcnt lgkmcnt(0)
	v_lshrrev_b32_e32 v5, 16, v1
	v_and_b32_e32 v1, 0xffff, v1
	;;#ASMSTART
	v_cvt_f32_f16 v1, v1;
	;;#ASMEND
	;;#ASMSTART
	v_cvt_f32_f16 v5, v5;
	;;#ASMEND
	;; [unrolled: 3-line block ×4, first 2 shown]
	v_fmac_f32_e32 v0, v1, v6
	v_fmac_f32_e32 v7, v5, v12
	v_lshrrev_b32_e32 v5, 16, v2
	v_and_b32_e32 v1, 0xffff, v2
	;;#ASMSTART
	v_cvt_f32_f16 v1, v1;
	;;#ASMEND
	;;#ASMSTART
	v_cvt_f32_f16 v2, v5;
	;;#ASMEND
	v_and_b32_e32 v5, 0xffff, v71
	v_and_b32_e32 v6, 0xffff, v80
	;;#ASMSTART
	v_cvt_f32_f16 v5, v5;
	;;#ASMEND
	;;#ASMSTART
	v_cvt_f32_f16 v6, v6;
	;;#ASMEND
	v_fmac_f32_e32 v11, v1, v5
	v_fmac_f32_e32 v10, v2, v6
	v_lshrrev_b32_e32 v2, 16, v3
	v_and_b32_e32 v1, 0xffff, v3
	;;#ASMSTART
	v_cvt_f32_f16 v1, v1;
	;;#ASMEND
	;;#ASMSTART
	v_cvt_f32_f16 v2, v2;
	;;#ASMEND
	buffer_load_dword v3, off, s[0:3], s32 offset:388 ; 4-byte Folded Reload
	v_and_b32_e32 v5, 0xffff, v35
	s_waitcnt vmcnt(0)
	v_and_b32_e32 v3, 0xffff, v3
	;;#ASMSTART
	v_cvt_f32_f16 v3, v3;
	;;#ASMEND
	;;#ASMSTART
	v_cvt_f32_f16 v5, v5;
	;;#ASMEND
	v_fmac_f32_e32 v19, v1, v3
	v_fmac_f32_e32 v15, v2, v5
	v_lshrrev_b32_e32 v2, 16, v4
	v_and_b32_e32 v1, 0xffff, v4
	v_and_b32_e32 v3, 0xffff, v55
	;; [unrolled: 1-line block ×3, first 2 shown]
	;;#ASMSTART
	v_cvt_f32_f16 v1, v1;
	;;#ASMEND
	;;#ASMSTART
	v_cvt_f32_f16 v2, v2;
	;;#ASMEND
	;; [unrolled: 3-line block ×4, first 2 shown]
	v_fmac_f32_e32 v30, v1, v3
	v_fmac_f32_e32 v20, v2, v4
	ds_read_b128 v[1:4], v8 offset:192
	s_waitcnt lgkmcnt(0)
	v_lshrrev_b32_e32 v5, 16, v1
	v_and_b32_e32 v1, 0xffff, v1
	;;#ASMSTART
	v_cvt_f32_f16 v1, v1;
	;;#ASMEND
	;;#ASMSTART
	v_cvt_f32_f16 v5, v5;
	;;#ASMEND
	buffer_load_dword v6, off, s[0:3], s32 offset:384 ; 4-byte Folded Reload
	s_waitcnt vmcnt(0)
	v_and_b32_e32 v6, 0xffff, v6
	;;#ASMSTART
	v_cvt_f32_f16 v6, v6;
	;;#ASMEND
	buffer_load_dword v12, off, s[0:3], s32 offset:380 ; 4-byte Folded Reload
	v_fmac_f32_e32 v0, v1, v6
	v_and_b32_e32 v1, 0xffff, v2
	v_and_b32_e32 v6, 0xffff, v52
	s_waitcnt vmcnt(0)
	v_and_b32_e32 v12, 0xffff, v12
	;;#ASMSTART
	v_cvt_f32_f16 v12, v12;
	;;#ASMEND
	v_fmac_f32_e32 v7, v5, v12
	v_lshrrev_b32_e32 v5, 16, v2
	;;#ASMSTART
	v_cvt_f32_f16 v1, v1;
	;;#ASMEND
	;;#ASMSTART
	v_cvt_f32_f16 v2, v5;
	;;#ASMEND
	buffer_load_dword v5, off, s[0:3], s32 offset:376 ; 4-byte Folded Reload
	s_waitcnt vmcnt(0)
	v_and_b32_e32 v5, 0xffff, v5
	;;#ASMSTART
	v_cvt_f32_f16 v5, v5;
	;;#ASMEND
	;;#ASMSTART
	v_cvt_f32_f16 v6, v6;
	;;#ASMEND
	v_fmac_f32_e32 v11, v1, v5
	v_fmac_f32_e32 v10, v2, v6
	v_lshrrev_b32_e32 v2, 16, v3
	v_and_b32_e32 v1, 0xffff, v3
	;;#ASMSTART
	v_cvt_f32_f16 v1, v1;
	;;#ASMEND
	;;#ASMSTART
	v_cvt_f32_f16 v2, v2;
	;;#ASMEND
	v_and_b32_e32 v3, 0xffff, v53
	v_and_b32_e32 v5, 0xffff, v54
	;;#ASMSTART
	v_cvt_f32_f16 v3, v3;
	;;#ASMEND
	;;#ASMSTART
	v_cvt_f32_f16 v5, v5;
	;;#ASMEND
	v_fmac_f32_e32 v19, v1, v3
	v_fmac_f32_e32 v15, v2, v5
	v_lshrrev_b32_e32 v2, 16, v4
	v_and_b32_e32 v1, 0xffff, v4
	;;#ASMSTART
	v_cvt_f32_f16 v1, v1;
	;;#ASMEND
	;;#ASMSTART
	v_cvt_f32_f16 v2, v2;
	;;#ASMEND
	buffer_load_dword v3, off, s[0:3], s32 offset:372 ; 4-byte Folded Reload
	s_waitcnt vmcnt(0)
	v_and_b32_e32 v3, 0xffff, v3
	;;#ASMSTART
	v_cvt_f32_f16 v3, v3;
	;;#ASMEND
	buffer_load_dword v4, off, s[0:3], s32 offset:368 ; 4-byte Folded Reload
	v_fmac_f32_e32 v30, v1, v3
	s_waitcnt vmcnt(0)
	v_and_b32_e32 v4, 0xffff, v4
	;;#ASMSTART
	v_cvt_f32_f16 v4, v4;
	;;#ASMEND
	v_fmac_f32_e32 v20, v2, v4
	ds_read_b128 v[1:4], v8 offset:208
	s_waitcnt lgkmcnt(0)
	v_lshrrev_b32_e32 v5, 16, v1
	v_and_b32_e32 v1, 0xffff, v1
	;;#ASMSTART
	v_cvt_f32_f16 v1, v1;
	;;#ASMEND
	;;#ASMSTART
	v_cvt_f32_f16 v5, v5;
	;;#ASMEND
	buffer_load_dword v6, off, s[0:3], s32 offset:364 ; 4-byte Folded Reload
	s_waitcnt vmcnt(0)
	v_and_b32_e32 v6, 0xffff, v6
	;;#ASMSTART
	v_cvt_f32_f16 v6, v6;
	;;#ASMEND
	buffer_load_dword v12, off, s[0:3], s32 offset:360 ; 4-byte Folded Reload
	v_fmac_f32_e32 v0, v1, v6
	v_and_b32_e32 v1, 0xffff, v2
	s_waitcnt vmcnt(0)
	v_and_b32_e32 v12, 0xffff, v12
	;;#ASMSTART
	v_cvt_f32_f16 v12, v12;
	;;#ASMEND
	v_fmac_f32_e32 v7, v5, v12
	v_lshrrev_b32_e32 v5, 16, v2
	;;#ASMSTART
	v_cvt_f32_f16 v1, v1;
	;;#ASMEND
	;;#ASMSTART
	v_cvt_f32_f16 v2, v5;
	;;#ASMEND
	buffer_load_dword v5, off, s[0:3], s32 offset:356 ; 4-byte Folded Reload
	s_waitcnt vmcnt(0)
	v_and_b32_e32 v5, 0xffff, v5
	;;#ASMSTART
	v_cvt_f32_f16 v5, v5;
	;;#ASMEND
	buffer_load_dword v6, off, s[0:3], s32 offset:352 ; 4-byte Folded Reload
	v_fmac_f32_e32 v11, v1, v5
	v_and_b32_e32 v1, 0xffff, v3
	s_waitcnt vmcnt(0)
	v_and_b32_e32 v6, 0xffff, v6
	;;#ASMSTART
	v_cvt_f32_f16 v6, v6;
	;;#ASMEND
	v_fmac_f32_e32 v10, v2, v6
	v_lshrrev_b32_e32 v2, 16, v3
	;; [unrolled: 22-line block ×3, first 2 shown]
	;;#ASMSTART
	v_cvt_f32_f16 v1, v1;
	;;#ASMEND
	;;#ASMSTART
	v_cvt_f32_f16 v2, v2;
	;;#ASMEND
	buffer_load_dword v3, off, s[0:3], s32 offset:340 ; 4-byte Folded Reload
	s_waitcnt vmcnt(0)
	v_and_b32_e32 v3, 0xffff, v3
	;;#ASMSTART
	v_cvt_f32_f16 v3, v3;
	;;#ASMEND
	buffer_load_dword v4, off, s[0:3], s32 offset:336 ; 4-byte Folded Reload
	v_fmac_f32_e32 v30, v1, v3
	s_waitcnt vmcnt(0)
	v_and_b32_e32 v4, 0xffff, v4
	;;#ASMSTART
	v_cvt_f32_f16 v4, v4;
	;;#ASMEND
	v_fmac_f32_e32 v20, v2, v4
	ds_read_b128 v[1:4], v8 offset:224
	s_waitcnt lgkmcnt(0)
	v_lshrrev_b32_e32 v5, 16, v1
	v_and_b32_e32 v1, 0xffff, v1
	;;#ASMSTART
	v_cvt_f32_f16 v1, v1;
	;;#ASMEND
	;;#ASMSTART
	v_cvt_f32_f16 v5, v5;
	;;#ASMEND
	buffer_load_dword v6, off, s[0:3], s32 offset:332 ; 4-byte Folded Reload
	s_waitcnt vmcnt(0)
	v_and_b32_e32 v6, 0xffff, v6
	;;#ASMSTART
	v_cvt_f32_f16 v6, v6;
	;;#ASMEND
	buffer_load_dword v12, off, s[0:3], s32 offset:328 ; 4-byte Folded Reload
	v_fmac_f32_e32 v0, v1, v6
	v_and_b32_e32 v1, 0xffff, v2
	s_waitcnt vmcnt(0)
	v_and_b32_e32 v12, 0xffff, v12
	;;#ASMSTART
	v_cvt_f32_f16 v12, v12;
	;;#ASMEND
	v_fmac_f32_e32 v7, v5, v12
	v_lshrrev_b32_e32 v5, 16, v2
	;;#ASMSTART
	v_cvt_f32_f16 v1, v1;
	;;#ASMEND
	;;#ASMSTART
	v_cvt_f32_f16 v2, v5;
	;;#ASMEND
	buffer_load_dword v5, off, s[0:3], s32 offset:324 ; 4-byte Folded Reload
	v_and_b32_e32 v12, 0xffff, v86
	s_waitcnt vmcnt(0)
	v_and_b32_e32 v5, 0xffff, v5
	;;#ASMSTART
	v_cvt_f32_f16 v5, v5;
	;;#ASMEND
	buffer_load_dword v6, off, s[0:3], s32 offset:320 ; 4-byte Folded Reload
	v_fmac_f32_e32 v11, v1, v5
	v_and_b32_e32 v1, 0xffff, v3
	s_waitcnt vmcnt(0)
	v_and_b32_e32 v6, 0xffff, v6
	;;#ASMSTART
	v_cvt_f32_f16 v6, v6;
	;;#ASMEND
	v_fmac_f32_e32 v10, v2, v6
	v_lshrrev_b32_e32 v2, 16, v3
	;;#ASMSTART
	v_cvt_f32_f16 v1, v1;
	;;#ASMEND
	;;#ASMSTART
	v_cvt_f32_f16 v2, v2;
	;;#ASMEND
	buffer_load_dword v3, off, s[0:3], s32 offset:316 ; 4-byte Folded Reload
	v_and_b32_e32 v6, 0xffff, v33
	s_waitcnt vmcnt(0)
	v_and_b32_e32 v3, 0xffff, v3
	;;#ASMSTART
	v_cvt_f32_f16 v3, v3;
	;;#ASMEND
	buffer_load_dword v5, off, s[0:3], s32 offset:312 ; 4-byte Folded Reload
	v_fmac_f32_e32 v19, v1, v3
	v_and_b32_e32 v1, 0xffff, v4
	s_waitcnt vmcnt(0)
	v_and_b32_e32 v5, 0xffff, v5
	;;#ASMSTART
	v_cvt_f32_f16 v5, v5;
	;;#ASMEND
	v_fmac_f32_e32 v15, v2, v5
	v_lshrrev_b32_e32 v2, 16, v4
	;;#ASMSTART
	v_cvt_f32_f16 v1, v1;
	;;#ASMEND
	;;#ASMSTART
	v_cvt_f32_f16 v2, v2;
	;;#ASMEND
	buffer_load_dword v3, off, s[0:3], s32 offset:308 ; 4-byte Folded Reload
	s_waitcnt vmcnt(0)
	v_and_b32_e32 v3, 0xffff, v3
	;;#ASMSTART
	v_cvt_f32_f16 v3, v3;
	;;#ASMEND
	buffer_load_dword v4, off, s[0:3], s32 offset:304 ; 4-byte Folded Reload
	v_fmac_f32_e32 v30, v1, v3
	s_waitcnt vmcnt(0)
	v_and_b32_e32 v4, 0xffff, v4
	;;#ASMSTART
	v_cvt_f32_f16 v4, v4;
	;;#ASMEND
	v_fmac_f32_e32 v20, v2, v4
	ds_read_b128 v[1:4], v8 offset:240
	s_waitcnt lgkmcnt(0)
	v_lshrrev_b32_e32 v5, 16, v1
	v_and_b32_e32 v1, 0xffff, v1
	;;#ASMSTART
	v_cvt_f32_f16 v1, v1;
	;;#ASMEND
	;;#ASMSTART
	v_cvt_f32_f16 v5, v5;
	;;#ASMEND
	;; [unrolled: 3-line block ×4, first 2 shown]
	v_fmac_f32_e32 v0, v1, v6
	v_fmac_f32_e32 v7, v5, v12
	v_lshrrev_b32_e32 v5, 16, v2
	v_and_b32_e32 v1, 0xffff, v2
	;;#ASMSTART
	v_cvt_f32_f16 v1, v1;
	;;#ASMEND
	;;#ASMSTART
	v_cvt_f32_f16 v2, v5;
	;;#ASMEND
	v_and_b32_e32 v5, 0xffff, v98
	v_and_b32_e32 v6, 0xffff, v17
	;;#ASMSTART
	v_cvt_f32_f16 v5, v5;
	;;#ASMEND
	;;#ASMSTART
	v_cvt_f32_f16 v6, v6;
	;;#ASMEND
	v_fmac_f32_e32 v11, v1, v5
	v_fmac_f32_e32 v10, v2, v6
	v_lshrrev_b32_e32 v2, 16, v3
	v_and_b32_e32 v1, 0xffff, v3
	;;#ASMSTART
	v_cvt_f32_f16 v1, v1;
	;;#ASMEND
	;;#ASMSTART
	v_cvt_f32_f16 v2, v2;
	;;#ASMEND
	buffer_load_dword v3, off, s[0:3], s32 offset:228 ; 4-byte Folded Reload
	v_add_f32_e32 v0, v0, v7
	v_add_f32_e32 v0, v0, v11
	;; [unrolled: 1-line block ×3, first 2 shown]
	s_waitcnt vmcnt(0)
	v_and_b32_e32 v3, 0xffff, v3
	;;#ASMSTART
	v_cvt_f32_f16 v3, v3;
	;;#ASMEND
	buffer_load_dword v5, off, s[0:3], s32 offset:224 ; 4-byte Folded Reload
	v_fmac_f32_e32 v19, v1, v3
	v_and_b32_e32 v1, 0xffff, v4
	v_add_f32_e32 v0, v0, v19
	s_waitcnt vmcnt(0)
	v_and_b32_e32 v5, 0xffff, v5
	;;#ASMSTART
	v_cvt_f32_f16 v5, v5;
	;;#ASMEND
	v_fmac_f32_e32 v15, v2, v5
	v_lshrrev_b32_e32 v2, 16, v4
	;;#ASMSTART
	v_cvt_f32_f16 v1, v1;
	;;#ASMEND
	;;#ASMSTART
	v_cvt_f32_f16 v2, v2;
	;;#ASMEND
	buffer_load_dword v3, off, s[0:3], s32 offset:220 ; 4-byte Folded Reload
	v_and_b32_e32 v4, 0xffff, v83
	v_add_f32_e32 v0, v15, v0
	s_waitcnt vmcnt(0)
	v_and_b32_e32 v3, 0xffff, v3
	;;#ASMSTART
	v_cvt_f32_f16 v3, v3;
	;;#ASMEND
	;;#ASMSTART
	v_cvt_f32_f16 v4, v4;
	;;#ASMEND
	v_fmac_f32_e32 v30, v1, v3
	buffer_load_dword v1, off, s[0:3], s32 offset:404 ; 4-byte Folded Reload
	v_fmac_f32_e32 v20, v2, v4
	buffer_load_dword v13, off, s[0:3], s32 offset:300 ; 4-byte Folded Reload
	v_add_f32_e32 v0, v0, v30
	v_add_f32_e32 v0, v20, v0
	s_waitcnt vmcnt(1)
	v_fmac_f32_e32 v22, v1, v0
	buffer_load_dword v1, off, s[0:3], s32 offset:216 ; 4-byte Folded Reload
	v_cndmask_b32_e64 v0, 0, v22, s5
	s_waitcnt vmcnt(0)
	ds_write_b32 v1, v0
	v_max_f32_e32 v0, v13, v13
	v_max_f32_e32 v0, v0, v22
	v_cndmask_b32_e64 v13, v13, v0, s5
.LBB310_15:                             ;   in Loop: Header=BB310_16 Depth=1
	s_or_b32 exec_lo, exec_lo, s6
	buffer_load_dword v0, off, s[0:3], s32 offset:288 ; 4-byte Folded Reload
	v_add_nc_u32_e32 v82, 4, v82
	v_add_co_u32 v93, s6, v93, 16
	v_add_co_ci_u32_e64 v94, null, 0, v94, s6
	v_add_nc_u32_e32 v9, 0x80, v9
	v_add_nc_u32_e32 v51, 0x200, v51
	s_waitcnt vmcnt(0)
	v_cmp_ge_i32_e64 s5, v82, v0
	s_or_b32 s24, s5, s24
	s_andn2_b32 exec_lo, exec_lo, s24
	s_cbranch_execz .LBB310_1040
.LBB310_16:                             ; =>This Inner Loop Header: Depth=1
	s_clause 0x2
	buffer_load_dword v1, off, s[0:3], s32 offset:208
	buffer_load_dword v4, off, s[0:3], s32 offset:280
	;; [unrolled: 1-line block ×3, first 2 shown]
	v_sub_nc_u32_e32 v0, 0, v9
	v_max_i32_e32 v0, v9, v0
	s_waitcnt vmcnt(2)
	v_mul_hi_u32 v1, v0, v1
	s_waitcnt vmcnt(1)
	v_mul_lo_u32 v2, v1, v4
	v_sub_nc_u32_e32 v0, v0, v2
	v_add_nc_u32_e32 v2, 1, v1
	v_sub_nc_u32_e32 v3, v0, v4
	v_cmp_ge_u32_e64 s5, v0, v4
	v_cndmask_b32_e64 v1, v1, v2, s5
	v_cndmask_b32_e64 v0, v0, v3, s5
	v_ashrrev_i32_e32 v2, 31, v9
	v_add_nc_u32_e32 v3, 1, v1
	v_cmp_ge_u32_e64 s5, v0, v4
	s_waitcnt vmcnt(0)
	v_xor_b32_e32 v2, v2, v5
	v_cndmask_b32_e64 v0, v1, v3, s5
	v_xor_b32_e32 v0, v0, v2
	v_sub_nc_u32_e32 v0, v0, v2
	s_clause 0x3
	buffer_load_dword v1, off, s[0:3], s32 offset:200
	buffer_load_dword v2, off, s[0:3], s32 offset:204
	;; [unrolled: 1-line block ×4, first 2 shown]
	s_waitcnt vmcnt(3)
	v_add_nc_u32_e32 v1, v0, v1
	s_waitcnt vmcnt(2)
	v_sub_nc_u32_e32 v2, 0, v1
	v_max_i32_e32 v2, v1, v2
	v_ashrrev_i32_e32 v1, 31, v1
	s_waitcnt vmcnt(1)
	v_mul_hi_u32 v3, v2, v3
	s_waitcnt vmcnt(0)
	v_mul_lo_u32 v3, v3, v4
	v_sub_nc_u32_e32 v2, v2, v3
	v_sub_nc_u32_e32 v3, v2, v4
	v_cmp_ge_u32_e64 s5, v2, v4
	v_cndmask_b32_e64 v2, v2, v3, s5
	v_sub_nc_u32_e32 v3, v2, v4
	v_cmp_ge_u32_e64 s5, v2, v4
	v_cndmask_b32_e64 v2, v2, v3, s5
	v_xor_b32_e32 v2, v2, v1
	v_sub_nc_u32_e32 v1, v2, v1
	v_cmp_ne_u32_e64 s5, 0, v1
	buffer_load_dword v1, off, s[0:3], s32 offset:212 ; 4-byte Folded Reload
	s_waitcnt vmcnt(0)
	v_cmp_le_i32_e64 s6, v0, v1
	s_and_b32 s5, s5, s6
	s_and_saveexec_b32 s6, s5
	s_xor_b32 s5, exec_lo, s6
	s_cbranch_execz .LBB310_18
; %bb.17:                               ;   in Loop: Header=BB310_16 Depth=1
	s_waitcnt lgkmcnt(0)
	v_add_nc_u32_e32 v0, s17, v51
	v_mov_b32_e32 v1, 0xff7fffff
	ds_write_b32 v0, v1
.LBB310_18:                             ;   in Loop: Header=BB310_16 Depth=1
	s_andn2_saveexec_b32 s6, s5
	s_cbranch_execz .LBB310_15
; %bb.19:                               ;   in Loop: Header=BB310_16 Depth=1
	buffer_store_dword v13, off, s[0:3], s32 offset:300 ; 4-byte Folded Spill
	flat_load_dword v0, v[93:94]
	s_clause 0x2
	buffer_load_dword v1, off, s[0:3], s32 offset:412
	buffer_load_dword v2, off, s[0:3], s32 offset:416
	;; [unrolled: 1-line block ×3, first 2 shown]
	v_mov_b32_e32 v124, 0
	v_mov_b32_e32 v101, 0
	s_waitcnt vmcnt(0) lgkmcnt(0)
	v_mad_i64_i32 v[31:32], null, v0, v1, v[2:3]
	flat_load_dwordx2 v[33:34], v[31:32]
	s_clause 0x1
	buffer_load_dword v0, off, s[0:3], s32 offset:396
	buffer_load_dword v1, off, s[0:3], s32 offset:400
	s_waitcnt vmcnt(2) lgkmcnt(0)
	v_cmp_ne_u16_sdwa s5, v33, v8 src0_sel:BYTE_0 src1_sel:DWORD
	s_waitcnt vmcnt(0)
	flat_load_dword v83, v[0:1]
	s_and_saveexec_b32 s25, s5
	s_cbranch_execz .LBB310_27
; %bb.20:                               ;   in Loop: Header=BB310_16 Depth=1
	v_cmp_ne_u16_sdwa s5, v33, v68 src0_sel:BYTE_0 src1_sel:DWORD
	v_mov_b32_e32 v101, 0x8000
	s_and_saveexec_b32 s26, s5
	s_cbranch_execz .LBB310_26
; %bb.21:                               ;   in Loop: Header=BB310_16 Depth=1
	v_and_b32_e32 v2, 0x7f, v33
	v_mov_b32_e32 v101, 0x7c01
	s_mov_b32 s27, exec_lo
	v_cmpx_ne_u32_e32 0x7f, v2
	s_cbranch_execz .LBB310_25
; %bb.22:                               ;   in Loop: Header=BB310_16 Depth=1
	v_and_b32_e32 v0, 7, v33
	v_lshrrev_b32_e32 v1, 3, v2
	s_mov_b32 s28, exec_lo
	v_cmpx_gt_u32_e32 8, v2
; %bb.23:                               ;   in Loop: Header=BB310_16 Depth=1
	v_ffbh_u32_e32 v0, v0
	v_min_u32_e32 v2, 32, v0
	v_subrev_nc_u32_e32 v0, 28, v2
	v_lshlrev_b64 v[0:1], v0, v[33:34]
	v_sub_nc_u32_e32 v1, 29, v2
	v_and_b32_e32 v0, 7, v0
; %bb.24:                               ;   in Loop: Header=BB310_16 Depth=1
	s_or_b32 exec_lo, exec_lo, s28
	v_lshlrev_b32_e32 v2, 8, v33
	v_lshl_add_u32 v1, v1, 10, 0x2000
	v_lshlrev_b32_e32 v0, 7, v0
	v_and_b32_e32 v2, 0x8000, v2
	v_and_b32_e32 v1, 0xfc00, v1
	v_or3_b32 v101, v2, v1, v0
.LBB310_25:                             ;   in Loop: Header=BB310_16 Depth=1
	s_or_b32 exec_lo, exec_lo, s27
.LBB310_26:                             ;   in Loop: Header=BB310_16 Depth=1
	s_or_b32 exec_lo, exec_lo, s26
.LBB310_27:                             ;   in Loop: Header=BB310_16 Depth=1
	s_or_b32 exec_lo, exec_lo, s25
	v_lshrrev_b16 v7, 8, v33
	s_mov_b32 s25, exec_lo
	v_cmpx_ne_u16_e32 0, v7
	s_cbranch_execz .LBB310_35
; %bb.28:                               ;   in Loop: Header=BB310_16 Depth=1
	v_bfrev_b32_e32 v124, 1
	s_mov_b32 s26, exec_lo
	v_cmpx_ne_u16_e32 0x80, v7
	s_cbranch_execz .LBB310_34
; %bb.29:                               ;   in Loop: Header=BB310_16 Depth=1
	v_mov_b32_e32 v0, 0x7f
	v_mov_b32_e32 v124, 0x7c010000
	s_mov_b32 s27, exec_lo
	v_and_b32_sdwa v2, v7, v0 dst_sel:DWORD dst_unused:UNUSED_PAD src0_sel:WORD_0 src1_sel:DWORD
	v_cmpx_ne_u32_e32 0x7f, v2
	s_cbranch_execz .LBB310_33
; %bb.30:                               ;   in Loop: Header=BB310_16 Depth=1
	v_mov_b32_e32 v0, 7
	v_lshrrev_b32_e32 v1, 3, v2
	s_mov_b32 s28, exec_lo
	v_and_b32_sdwa v0, v7, v0 dst_sel:DWORD dst_unused:UNUSED_PAD src0_sel:WORD_0 src1_sel:DWORD
	v_cmpx_gt_u32_e32 8, v2
; %bb.31:                               ;   in Loop: Header=BB310_16 Depth=1
	v_ffbh_u32_e32 v0, v0
	v_min_u32_e32 v2, 32, v0
	v_subrev_nc_u32_e32 v0, 28, v2
	v_lshlrev_b64 v[0:1], v0, v[7:8]
	v_sub_nc_u32_e32 v1, 29, v2
	v_and_b32_e32 v0, 7, v0
; %bb.32:                               ;   in Loop: Header=BB310_16 Depth=1
	s_or_b32 exec_lo, exec_lo, s28
	v_mov_b32_e32 v2, 8
	v_lshl_add_u32 v1, v1, 10, 0x2000
	v_lshlrev_b32_e32 v0, 23, v0
	v_lshlrev_b32_sdwa v2, v2, v7 dst_sel:DWORD dst_unused:UNUSED_PAD src0_sel:DWORD src1_sel:WORD_0
	v_and_or_b32 v1, 0x8000, v2, v1
	v_lshl_or_b32 v124, v1, 16, v0
.LBB310_33:                             ;   in Loop: Header=BB310_16 Depth=1
	s_or_b32 exec_lo, exec_lo, s27
.LBB310_34:                             ;   in Loop: Header=BB310_16 Depth=1
	s_or_b32 exec_lo, exec_lo, s26
.LBB310_35:                             ;   in Loop: Header=BB310_16 Depth=1
	s_or_b32 exec_lo, exec_lo, s25
	v_lshrrev_b32_e32 v7, 16, v33
	v_mov_b32_e32 v39, 0
	v_mov_b32_e32 v0, 0
	v_cmp_ne_u16_sdwa s5, v7, v8 src0_sel:BYTE_0 src1_sel:DWORD
	buffer_store_dword v0, off, s[0:3], s32 offset:216 ; 4-byte Folded Spill
	s_and_saveexec_b32 s25, s5
	s_cbranch_execz .LBB310_43
; %bb.36:                               ;   in Loop: Header=BB310_16 Depth=1
	v_cmp_ne_u16_sdwa s5, v7, v68 src0_sel:BYTE_0 src1_sel:DWORD
	v_mov_b32_e32 v0, 0x8000
	buffer_store_dword v0, off, s[0:3], s32 offset:216 ; 4-byte Folded Spill
	s_and_saveexec_b32 s26, s5
	s_cbranch_execz .LBB310_42
; %bb.37:                               ;   in Loop: Header=BB310_16 Depth=1
	v_bfe_u32 v2, v33, 16, 7
	v_mov_b32_e32 v0, 0x7c01
	s_mov_b32 s27, exec_lo
	buffer_store_dword v0, off, s[0:3], s32 offset:216 ; 4-byte Folded Spill
	v_cmpx_ne_u32_e32 0x7f, v2
	s_cbranch_execz .LBB310_41
; %bb.38:                               ;   in Loop: Header=BB310_16 Depth=1
	v_and_b32_e32 v0, 7, v7
	v_lshrrev_b32_e32 v1, 3, v2
	s_mov_b32 s28, exec_lo
	v_cmpx_gt_u32_e32 8, v2
; %bb.39:                               ;   in Loop: Header=BB310_16 Depth=1
	v_ffbh_u32_e32 v0, v0
	v_min_u32_e32 v2, 32, v0
	v_subrev_nc_u32_e32 v0, 28, v2
	v_lshlrev_b64 v[0:1], v0, v[7:8]
	v_sub_nc_u32_e32 v1, 29, v2
	v_and_b32_e32 v0, 7, v0
; %bb.40:                               ;   in Loop: Header=BB310_16 Depth=1
	s_or_b32 exec_lo, exec_lo, s28
	v_lshlrev_b32_e32 v2, 8, v7
	v_lshl_add_u32 v1, v1, 10, 0x2000
	v_lshlrev_b32_e32 v0, 7, v0
	v_and_b32_e32 v2, 0x8000, v2
	v_and_b32_e32 v1, 0xfc00, v1
	v_or3_b32 v0, v2, v1, v0
	buffer_store_dword v0, off, s[0:3], s32 offset:216 ; 4-byte Folded Spill
.LBB310_41:                             ;   in Loop: Header=BB310_16 Depth=1
	s_or_b32 exec_lo, exec_lo, s27
.LBB310_42:                             ;   in Loop: Header=BB310_16 Depth=1
	s_or_b32 exec_lo, exec_lo, s26
.LBB310_43:                             ;   in Loop: Header=BB310_16 Depth=1
	s_or_b32 exec_lo, exec_lo, s25
	s_mov_b32 s25, exec_lo
	v_cmpx_lt_u32_e32 0xffffff, v33
	s_cbranch_execz .LBB310_51
; %bb.44:                               ;   in Loop: Header=BB310_16 Depth=1
	v_lshrrev_b32_e32 v7, 24, v33
	v_bfrev_b32_e32 v39, 1
	s_mov_b32 s26, exec_lo
	v_cmpx_ne_u32_e32 0x80, v7
	s_cbranch_execz .LBB310_50
; %bb.45:                               ;   in Loop: Header=BB310_16 Depth=1
	v_and_b32_e32 v2, 0x7f, v7
	v_mov_b32_e32 v39, 0x7c010000
	s_mov_b32 s27, exec_lo
	v_cmpx_ne_u32_e32 0x7f, v2
	s_cbranch_execz .LBB310_49
; %bb.46:                               ;   in Loop: Header=BB310_16 Depth=1
	v_and_b32_e32 v0, 7, v7
	v_lshrrev_b32_e32 v1, 3, v2
	s_mov_b32 s28, exec_lo
	v_cmpx_gt_u32_e32 8, v2
; %bb.47:                               ;   in Loop: Header=BB310_16 Depth=1
	v_ffbh_u32_e32 v0, v0
	v_min_u32_e32 v2, 32, v0
	v_subrev_nc_u32_e32 v0, 28, v2
	v_lshlrev_b64 v[0:1], v0, v[7:8]
	v_sub_nc_u32_e32 v1, 29, v2
	v_and_b32_e32 v0, 7, v0
; %bb.48:                               ;   in Loop: Header=BB310_16 Depth=1
	s_or_b32 exec_lo, exec_lo, s28
	v_lshlrev_b32_e32 v2, 8, v7
	v_lshl_add_u32 v1, v1, 10, 0x2000
	v_lshlrev_b32_e32 v0, 23, v0
	v_and_or_b32 v1, 0x8000, v2, v1
	v_lshl_or_b32 v39, v1, 16, v0
.LBB310_49:                             ;   in Loop: Header=BB310_16 Depth=1
	s_or_b32 exec_lo, exec_lo, s27
.LBB310_50:                             ;   in Loop: Header=BB310_16 Depth=1
	s_or_b32 exec_lo, exec_lo, s26
.LBB310_51:                             ;   in Loop: Header=BB310_16 Depth=1
	s_or_b32 exec_lo, exec_lo, s25
	v_mov_b32_e32 v0, 0
	v_mov_b32_e32 v7, v34
	v_cmp_ne_u16_sdwa s5, v34, v8 src0_sel:BYTE_0 src1_sel:DWORD
	buffer_store_dword v0, off, s[0:3], s32 offset:220 ; 4-byte Folded Spill
	v_mov_b32_e32 v0, 0
	buffer_store_dword v0, off, s[0:3], s32 offset:224 ; 4-byte Folded Spill
	s_and_saveexec_b32 s25, s5
	s_cbranch_execz .LBB310_59
; %bb.52:                               ;   in Loop: Header=BB310_16 Depth=1
	v_cmp_ne_u16_sdwa s5, v34, v68 src0_sel:BYTE_0 src1_sel:DWORD
	v_mov_b32_e32 v0, 0x8000
	buffer_store_dword v0, off, s[0:3], s32 offset:224 ; 4-byte Folded Spill
	s_and_saveexec_b32 s26, s5
	s_cbranch_execz .LBB310_58
; %bb.53:                               ;   in Loop: Header=BB310_16 Depth=1
	v_and_b32_e32 v2, 0x7f, v34
	v_mov_b32_e32 v0, 0x7c01
	s_mov_b32 s27, exec_lo
	buffer_store_dword v0, off, s[0:3], s32 offset:224 ; 4-byte Folded Spill
	v_cmpx_ne_u32_e32 0x7f, v2
	s_cbranch_execz .LBB310_57
; %bb.54:                               ;   in Loop: Header=BB310_16 Depth=1
	v_and_b32_e32 v0, 7, v34
	v_lshrrev_b32_e32 v1, 3, v2
	s_mov_b32 s28, exec_lo
	v_cmpx_gt_u32_e32 8, v2
; %bb.55:                               ;   in Loop: Header=BB310_16 Depth=1
	v_ffbh_u32_e32 v0, v0
	v_min_u32_e32 v2, 32, v0
	v_subrev_nc_u32_e32 v0, 28, v2
	v_lshlrev_b64 v[0:1], v0, v[7:8]
	v_sub_nc_u32_e32 v1, 29, v2
	v_and_b32_e32 v0, 7, v0
; %bb.56:                               ;   in Loop: Header=BB310_16 Depth=1
	s_or_b32 exec_lo, exec_lo, s28
	v_lshlrev_b32_e32 v2, 8, v34
	v_lshl_add_u32 v1, v1, 10, 0x2000
	v_lshlrev_b32_e32 v0, 7, v0
	v_and_b32_e32 v2, 0x8000, v2
	v_and_b32_e32 v1, 0xfc00, v1
	v_or3_b32 v0, v2, v1, v0
	buffer_store_dword v0, off, s[0:3], s32 offset:224 ; 4-byte Folded Spill
.LBB310_57:                             ;   in Loop: Header=BB310_16 Depth=1
	s_or_b32 exec_lo, exec_lo, s27
.LBB310_58:                             ;   in Loop: Header=BB310_16 Depth=1
	s_or_b32 exec_lo, exec_lo, s26
.LBB310_59:                             ;   in Loop: Header=BB310_16 Depth=1
	s_or_b32 exec_lo, exec_lo, s25
	v_lshrrev_b16 v7, 8, v7
	v_mov_b32_e32 v0, 0
	s_mov_b32 s25, exec_lo
	buffer_store_dword v0, off, s[0:3], s32 offset:228 ; 4-byte Folded Spill
	v_cmpx_ne_u16_e32 0, v7
	s_cbranch_execz .LBB310_67
; %bb.60:                               ;   in Loop: Header=BB310_16 Depth=1
	v_bfrev_b32_e32 v0, 1
	s_mov_b32 s26, exec_lo
	buffer_store_dword v0, off, s[0:3], s32 offset:228 ; 4-byte Folded Spill
	v_cmpx_ne_u16_e32 0x80, v7
	s_cbranch_execz .LBB310_66
; %bb.61:                               ;   in Loop: Header=BB310_16 Depth=1
	v_mov_b32_e32 v0, 0x7f
	s_mov_b32 s27, exec_lo
	v_and_b32_sdwa v2, v7, v0 dst_sel:DWORD dst_unused:UNUSED_PAD src0_sel:WORD_0 src1_sel:DWORD
	v_mov_b32_e32 v0, 0x7c010000
	buffer_store_dword v0, off, s[0:3], s32 offset:228 ; 4-byte Folded Spill
	v_cmpx_ne_u32_e32 0x7f, v2
	s_cbranch_execz .LBB310_65
; %bb.62:                               ;   in Loop: Header=BB310_16 Depth=1
	v_mov_b32_e32 v0, 7
	v_lshrrev_b32_e32 v1, 3, v2
	s_mov_b32 s28, exec_lo
	v_and_b32_sdwa v0, v7, v0 dst_sel:DWORD dst_unused:UNUSED_PAD src0_sel:WORD_0 src1_sel:DWORD
	v_cmpx_gt_u32_e32 8, v2
; %bb.63:                               ;   in Loop: Header=BB310_16 Depth=1
	v_ffbh_u32_e32 v0, v0
	v_min_u32_e32 v2, 32, v0
	v_subrev_nc_u32_e32 v0, 28, v2
	v_lshlrev_b64 v[0:1], v0, v[7:8]
	v_sub_nc_u32_e32 v1, 29, v2
	v_and_b32_e32 v0, 7, v0
; %bb.64:                               ;   in Loop: Header=BB310_16 Depth=1
	s_or_b32 exec_lo, exec_lo, s28
	v_mov_b32_e32 v2, 8
	v_lshl_add_u32 v1, v1, 10, 0x2000
	v_lshlrev_b32_e32 v0, 23, v0
	v_lshlrev_b32_sdwa v2, v2, v7 dst_sel:DWORD dst_unused:UNUSED_PAD src0_sel:DWORD src1_sel:WORD_0
	v_and_or_b32 v1, 0x8000, v2, v1
	v_lshl_or_b32 v0, v1, 16, v0
	buffer_store_dword v0, off, s[0:3], s32 offset:228 ; 4-byte Folded Spill
.LBB310_65:                             ;   in Loop: Header=BB310_16 Depth=1
	s_or_b32 exec_lo, exec_lo, s27
.LBB310_66:                             ;   in Loop: Header=BB310_16 Depth=1
	s_or_b32 exec_lo, exec_lo, s26
.LBB310_67:                             ;   in Loop: Header=BB310_16 Depth=1
	s_or_b32 exec_lo, exec_lo, s25
	v_lshrrev_b32_e32 v7, 16, v34
	v_cmp_ne_u16_sdwa s5, v7, v8 src0_sel:BYTE_0 src1_sel:DWORD
	s_and_saveexec_b32 s25, s5
	s_cbranch_execz .LBB310_75
; %bb.68:                               ;   in Loop: Header=BB310_16 Depth=1
	v_cmp_ne_u16_sdwa s5, v7, v68 src0_sel:BYTE_0 src1_sel:DWORD
	v_mov_b32_e32 v0, 0x8000
	buffer_store_dword v0, off, s[0:3], s32 offset:220 ; 4-byte Folded Spill
	s_and_saveexec_b32 s26, s5
	s_cbranch_execz .LBB310_74
; %bb.69:                               ;   in Loop: Header=BB310_16 Depth=1
	v_bfe_u32 v2, v34, 16, 7
	v_mov_b32_e32 v0, 0x7c01
	s_mov_b32 s27, exec_lo
	buffer_store_dword v0, off, s[0:3], s32 offset:220 ; 4-byte Folded Spill
	v_cmpx_ne_u32_e32 0x7f, v2
	s_cbranch_execz .LBB310_73
; %bb.70:                               ;   in Loop: Header=BB310_16 Depth=1
	v_and_b32_e32 v0, 7, v7
	v_lshrrev_b32_e32 v1, 3, v2
	s_mov_b32 s28, exec_lo
	v_cmpx_gt_u32_e32 8, v2
; %bb.71:                               ;   in Loop: Header=BB310_16 Depth=1
	v_ffbh_u32_e32 v0, v0
	v_min_u32_e32 v2, 32, v0
	v_subrev_nc_u32_e32 v0, 28, v2
	v_lshlrev_b64 v[0:1], v0, v[7:8]
	v_sub_nc_u32_e32 v1, 29, v2
	v_and_b32_e32 v0, 7, v0
; %bb.72:                               ;   in Loop: Header=BB310_16 Depth=1
	s_or_b32 exec_lo, exec_lo, s28
	v_lshlrev_b32_e32 v2, 8, v7
	v_lshl_add_u32 v1, v1, 10, 0x2000
	v_lshlrev_b32_e32 v0, 7, v0
	v_and_b32_e32 v2, 0x8000, v2
	v_and_b32_e32 v1, 0xfc00, v1
	v_or3_b32 v0, v2, v1, v0
	buffer_store_dword v0, off, s[0:3], s32 offset:220 ; 4-byte Folded Spill
.LBB310_73:                             ;   in Loop: Header=BB310_16 Depth=1
	s_or_b32 exec_lo, exec_lo, s27
.LBB310_74:                             ;   in Loop: Header=BB310_16 Depth=1
	s_or_b32 exec_lo, exec_lo, s26
.LBB310_75:                             ;   in Loop: Header=BB310_16 Depth=1
	s_or_b32 exec_lo, exec_lo, s25
	v_mov_b32_e32 v0, 0
	s_mov_b32 s25, exec_lo
	buffer_store_dword v0, off, s[0:3], s32 offset:232 ; 4-byte Folded Spill
	v_mov_b32_e32 v0, 0
	buffer_store_dword v0, off, s[0:3], s32 offset:276 ; 4-byte Folded Spill
	v_cmpx_lt_u64_e64 s[20:21], v[33:34]
	s_cbranch_execz .LBB310_83
; %bb.76:                               ;   in Loop: Header=BB310_16 Depth=1
	v_lshrrev_b32_e32 v7, 24, v34
	v_bfrev_b32_e32 v0, 1
	s_mov_b32 s26, exec_lo
	v_cmpx_ne_u32_e32 0x80, v7
	s_cbranch_execz .LBB310_82
; %bb.77:                               ;   in Loop: Header=BB310_16 Depth=1
	v_and_b32_e32 v2, 0x7f, v7
	v_mov_b32_e32 v0, 0x7c010000
	s_mov_b32 s27, exec_lo
	v_cmpx_ne_u32_e32 0x7f, v2
	s_cbranch_execz .LBB310_81
; %bb.78:                               ;   in Loop: Header=BB310_16 Depth=1
	v_and_b32_e32 v0, 7, v7
	v_lshrrev_b32_e32 v1, 3, v2
	s_mov_b32 s28, exec_lo
	v_cmpx_gt_u32_e32 8, v2
; %bb.79:                               ;   in Loop: Header=BB310_16 Depth=1
	v_ffbh_u32_e32 v0, v0
	v_min_u32_e32 v2, 32, v0
	v_subrev_nc_u32_e32 v0, 28, v2
	v_lshlrev_b64 v[0:1], v0, v[7:8]
	v_sub_nc_u32_e32 v1, 29, v2
	v_and_b32_e32 v0, 7, v0
; %bb.80:                               ;   in Loop: Header=BB310_16 Depth=1
	s_or_b32 exec_lo, exec_lo, s28
	v_lshlrev_b32_e32 v2, 8, v7
	v_lshl_add_u32 v1, v1, 10, 0x2000
	v_lshlrev_b32_e32 v0, 23, v0
	v_and_or_b32 v1, 0x8000, v2, v1
	v_lshl_or_b32 v0, v1, 16, v0
.LBB310_81:                             ;   in Loop: Header=BB310_16 Depth=1
	s_or_b32 exec_lo, exec_lo, s27
.LBB310_82:                             ;   in Loop: Header=BB310_16 Depth=1
	s_or_b32 exec_lo, exec_lo, s26
	buffer_store_dword v0, off, s[0:3], s32 offset:276 ; 4-byte Folded Spill
.LBB310_83:                             ;   in Loop: Header=BB310_16 Depth=1
	s_or_b32 exec_lo, exec_lo, s25
	flat_load_dwordx2 v[33:34], v[31:32] offset:8
	s_waitcnt vmcnt(0) lgkmcnt(0)
	v_cmp_ne_u16_sdwa s5, v33, v8 src0_sel:BYTE_0 src1_sel:DWORD
	s_and_saveexec_b32 s25, s5
	s_cbranch_execz .LBB310_91
; %bb.84:                               ;   in Loop: Header=BB310_16 Depth=1
	v_cmp_ne_u16_sdwa s5, v33, v68 src0_sel:BYTE_0 src1_sel:DWORD
	v_mov_b32_e32 v0, 0x8000
	buffer_store_dword v0, off, s[0:3], s32 offset:232 ; 4-byte Folded Spill
	s_and_saveexec_b32 s26, s5
	s_cbranch_execz .LBB310_90
; %bb.85:                               ;   in Loop: Header=BB310_16 Depth=1
	v_and_b32_e32 v2, 0x7f, v33
	v_mov_b32_e32 v0, 0x7c01
	s_mov_b32 s27, exec_lo
	buffer_store_dword v0, off, s[0:3], s32 offset:232 ; 4-byte Folded Spill
	v_cmpx_ne_u32_e32 0x7f, v2
	s_cbranch_execz .LBB310_89
; %bb.86:                               ;   in Loop: Header=BB310_16 Depth=1
	v_and_b32_e32 v0, 7, v33
	v_lshrrev_b32_e32 v1, 3, v2
	s_mov_b32 s28, exec_lo
	v_cmpx_gt_u32_e32 8, v2
; %bb.87:                               ;   in Loop: Header=BB310_16 Depth=1
	v_ffbh_u32_e32 v0, v0
	v_min_u32_e32 v2, 32, v0
	v_subrev_nc_u32_e32 v0, 28, v2
	v_lshlrev_b64 v[0:1], v0, v[33:34]
	v_sub_nc_u32_e32 v1, 29, v2
	v_and_b32_e32 v0, 7, v0
; %bb.88:                               ;   in Loop: Header=BB310_16 Depth=1
	s_or_b32 exec_lo, exec_lo, s28
	v_lshlrev_b32_e32 v2, 8, v33
	v_lshl_add_u32 v1, v1, 10, 0x2000
	v_lshlrev_b32_e32 v0, 7, v0
	v_and_b32_e32 v2, 0x8000, v2
	v_and_b32_e32 v1, 0xfc00, v1
	v_or3_b32 v0, v2, v1, v0
	buffer_store_dword v0, off, s[0:3], s32 offset:232 ; 4-byte Folded Spill
.LBB310_89:                             ;   in Loop: Header=BB310_16 Depth=1
	s_or_b32 exec_lo, exec_lo, s27
.LBB310_90:                             ;   in Loop: Header=BB310_16 Depth=1
	s_or_b32 exec_lo, exec_lo, s26
.LBB310_91:                             ;   in Loop: Header=BB310_16 Depth=1
	s_or_b32 exec_lo, exec_lo, s25
	v_mov_b32_e32 v0, 0
	v_lshrrev_b16 v7, 8, v33
	s_mov_b32 s25, exec_lo
	buffer_store_dword v0, off, s[0:3], s32 offset:240 ; 4-byte Folded Spill
	v_mov_b32_e32 v0, 0
	buffer_store_dword v0, off, s[0:3], s32 offset:236 ; 4-byte Folded Spill
	v_cmpx_ne_u16_e32 0, v7
	s_cbranch_execz .LBB310_99
; %bb.92:                               ;   in Loop: Header=BB310_16 Depth=1
	v_bfrev_b32_e32 v0, 1
	s_mov_b32 s26, exec_lo
	buffer_store_dword v0, off, s[0:3], s32 offset:236 ; 4-byte Folded Spill
	v_cmpx_ne_u16_e32 0x80, v7
	s_cbranch_execz .LBB310_98
; %bb.93:                               ;   in Loop: Header=BB310_16 Depth=1
	v_mov_b32_e32 v0, 0x7f
	s_mov_b32 s27, exec_lo
	v_and_b32_sdwa v2, v7, v0 dst_sel:DWORD dst_unused:UNUSED_PAD src0_sel:WORD_0 src1_sel:DWORD
	v_mov_b32_e32 v0, 0x7c010000
	buffer_store_dword v0, off, s[0:3], s32 offset:236 ; 4-byte Folded Spill
	v_cmpx_ne_u32_e32 0x7f, v2
	s_cbranch_execz .LBB310_97
; %bb.94:                               ;   in Loop: Header=BB310_16 Depth=1
	v_mov_b32_e32 v0, 7
	v_lshrrev_b32_e32 v1, 3, v2
	s_mov_b32 s28, exec_lo
	v_and_b32_sdwa v0, v7, v0 dst_sel:DWORD dst_unused:UNUSED_PAD src0_sel:WORD_0 src1_sel:DWORD
	v_cmpx_gt_u32_e32 8, v2
; %bb.95:                               ;   in Loop: Header=BB310_16 Depth=1
	v_ffbh_u32_e32 v0, v0
	v_min_u32_e32 v2, 32, v0
	v_subrev_nc_u32_e32 v0, 28, v2
	v_lshlrev_b64 v[0:1], v0, v[7:8]
	v_sub_nc_u32_e32 v1, 29, v2
	v_and_b32_e32 v0, 7, v0
; %bb.96:                               ;   in Loop: Header=BB310_16 Depth=1
	s_or_b32 exec_lo, exec_lo, s28
	v_mov_b32_e32 v2, 8
	v_lshl_add_u32 v1, v1, 10, 0x2000
	v_lshlrev_b32_e32 v0, 23, v0
	v_lshlrev_b32_sdwa v2, v2, v7 dst_sel:DWORD dst_unused:UNUSED_PAD src0_sel:DWORD src1_sel:WORD_0
	v_and_or_b32 v1, 0x8000, v2, v1
	v_lshl_or_b32 v0, v1, 16, v0
	buffer_store_dword v0, off, s[0:3], s32 offset:236 ; 4-byte Folded Spill
.LBB310_97:                             ;   in Loop: Header=BB310_16 Depth=1
	s_or_b32 exec_lo, exec_lo, s27
.LBB310_98:                             ;   in Loop: Header=BB310_16 Depth=1
	s_or_b32 exec_lo, exec_lo, s26
.LBB310_99:                             ;   in Loop: Header=BB310_16 Depth=1
	s_or_b32 exec_lo, exec_lo, s25
	v_lshrrev_b32_e32 v7, 16, v33
	v_cmp_ne_u16_sdwa s5, v7, v8 src0_sel:BYTE_0 src1_sel:DWORD
	s_and_saveexec_b32 s25, s5
	s_cbranch_execz .LBB310_107
; %bb.100:                              ;   in Loop: Header=BB310_16 Depth=1
	v_cmp_ne_u16_sdwa s5, v7, v68 src0_sel:BYTE_0 src1_sel:DWORD
	v_mov_b32_e32 v0, 0x8000
	buffer_store_dword v0, off, s[0:3], s32 offset:240 ; 4-byte Folded Spill
	s_and_saveexec_b32 s26, s5
	s_cbranch_execz .LBB310_106
; %bb.101:                              ;   in Loop: Header=BB310_16 Depth=1
	v_bfe_u32 v2, v33, 16, 7
	v_mov_b32_e32 v0, 0x7c01
	s_mov_b32 s27, exec_lo
	buffer_store_dword v0, off, s[0:3], s32 offset:240 ; 4-byte Folded Spill
	v_cmpx_ne_u32_e32 0x7f, v2
	s_cbranch_execz .LBB310_105
; %bb.102:                              ;   in Loop: Header=BB310_16 Depth=1
	v_and_b32_e32 v0, 7, v7
	v_lshrrev_b32_e32 v1, 3, v2
	s_mov_b32 s28, exec_lo
	v_cmpx_gt_u32_e32 8, v2
; %bb.103:                              ;   in Loop: Header=BB310_16 Depth=1
	v_ffbh_u32_e32 v0, v0
	v_min_u32_e32 v2, 32, v0
	v_subrev_nc_u32_e32 v0, 28, v2
	v_lshlrev_b64 v[0:1], v0, v[7:8]
	v_sub_nc_u32_e32 v1, 29, v2
	v_and_b32_e32 v0, 7, v0
; %bb.104:                              ;   in Loop: Header=BB310_16 Depth=1
	s_or_b32 exec_lo, exec_lo, s28
	v_lshlrev_b32_e32 v2, 8, v7
	v_lshl_add_u32 v1, v1, 10, 0x2000
	v_lshlrev_b32_e32 v0, 7, v0
	v_and_b32_e32 v2, 0x8000, v2
	v_and_b32_e32 v1, 0xfc00, v1
	v_or3_b32 v0, v2, v1, v0
	buffer_store_dword v0, off, s[0:3], s32 offset:240 ; 4-byte Folded Spill
.LBB310_105:                            ;   in Loop: Header=BB310_16 Depth=1
	s_or_b32 exec_lo, exec_lo, s27
.LBB310_106:                            ;   in Loop: Header=BB310_16 Depth=1
	s_or_b32 exec_lo, exec_lo, s26
.LBB310_107:                            ;   in Loop: Header=BB310_16 Depth=1
	s_or_b32 exec_lo, exec_lo, s25
	v_mov_b32_e32 v0, 0
	s_mov_b32 s25, exec_lo
	buffer_store_dword v0, off, s[0:3], s32 offset:244 ; 4-byte Folded Spill
	v_mov_b32_e32 v0, 0
	buffer_store_dword v0, off, s[0:3], s32 offset:248 ; 4-byte Folded Spill
	v_cmpx_lt_u32_e32 0xffffff, v33
	s_cbranch_execz .LBB310_115
; %bb.108:                              ;   in Loop: Header=BB310_16 Depth=1
	v_lshrrev_b32_e32 v7, 24, v33
	v_bfrev_b32_e32 v0, 1
	s_mov_b32 s26, exec_lo
	buffer_store_dword v0, off, s[0:3], s32 offset:248 ; 4-byte Folded Spill
	v_cmpx_ne_u32_e32 0x80, v7
	s_cbranch_execz .LBB310_114
; %bb.109:                              ;   in Loop: Header=BB310_16 Depth=1
	v_and_b32_e32 v2, 0x7f, v7
	v_mov_b32_e32 v0, 0x7c010000
	s_mov_b32 s27, exec_lo
	buffer_store_dword v0, off, s[0:3], s32 offset:248 ; 4-byte Folded Spill
	v_cmpx_ne_u32_e32 0x7f, v2
	s_cbranch_execz .LBB310_113
; %bb.110:                              ;   in Loop: Header=BB310_16 Depth=1
	v_and_b32_e32 v0, 7, v7
	v_lshrrev_b32_e32 v1, 3, v2
	s_mov_b32 s28, exec_lo
	v_cmpx_gt_u32_e32 8, v2
; %bb.111:                              ;   in Loop: Header=BB310_16 Depth=1
	v_ffbh_u32_e32 v0, v0
	v_min_u32_e32 v2, 32, v0
	v_subrev_nc_u32_e32 v0, 28, v2
	v_lshlrev_b64 v[0:1], v0, v[7:8]
	v_sub_nc_u32_e32 v1, 29, v2
	v_and_b32_e32 v0, 7, v0
; %bb.112:                              ;   in Loop: Header=BB310_16 Depth=1
	s_or_b32 exec_lo, exec_lo, s28
	v_lshlrev_b32_e32 v2, 8, v7
	v_lshl_add_u32 v1, v1, 10, 0x2000
	v_lshlrev_b32_e32 v0, 23, v0
	v_and_or_b32 v1, 0x8000, v2, v1
	v_lshl_or_b32 v0, v1, 16, v0
	buffer_store_dword v0, off, s[0:3], s32 offset:248 ; 4-byte Folded Spill
.LBB310_113:                            ;   in Loop: Header=BB310_16 Depth=1
	s_or_b32 exec_lo, exec_lo, s27
.LBB310_114:                            ;   in Loop: Header=BB310_16 Depth=1
	s_or_b32 exec_lo, exec_lo, s26
.LBB310_115:                            ;   in Loop: Header=BB310_16 Depth=1
	s_or_b32 exec_lo, exec_lo, s25
	v_mov_b32_e32 v7, v34
	v_cmp_ne_u16_sdwa s5, v34, v8 src0_sel:BYTE_0 src1_sel:DWORD
	s_and_saveexec_b32 s25, s5
	s_cbranch_execz .LBB310_123
; %bb.116:                              ;   in Loop: Header=BB310_16 Depth=1
	v_cmp_ne_u16_sdwa s5, v34, v68 src0_sel:BYTE_0 src1_sel:DWORD
	v_mov_b32_e32 v0, 0x8000
	buffer_store_dword v0, off, s[0:3], s32 offset:244 ; 4-byte Folded Spill
	s_and_saveexec_b32 s26, s5
	s_cbranch_execz .LBB310_122
; %bb.117:                              ;   in Loop: Header=BB310_16 Depth=1
	v_and_b32_e32 v2, 0x7f, v34
	v_mov_b32_e32 v0, 0x7c01
	s_mov_b32 s27, exec_lo
	buffer_store_dword v0, off, s[0:3], s32 offset:244 ; 4-byte Folded Spill
	v_cmpx_ne_u32_e32 0x7f, v2
	s_cbranch_execz .LBB310_121
; %bb.118:                              ;   in Loop: Header=BB310_16 Depth=1
	v_and_b32_e32 v0, 7, v34
	v_lshrrev_b32_e32 v1, 3, v2
	s_mov_b32 s28, exec_lo
	v_cmpx_gt_u32_e32 8, v2
; %bb.119:                              ;   in Loop: Header=BB310_16 Depth=1
	v_ffbh_u32_e32 v0, v0
	v_min_u32_e32 v2, 32, v0
	v_subrev_nc_u32_e32 v0, 28, v2
	v_lshlrev_b64 v[0:1], v0, v[7:8]
	v_sub_nc_u32_e32 v1, 29, v2
	v_and_b32_e32 v0, 7, v0
; %bb.120:                              ;   in Loop: Header=BB310_16 Depth=1
	s_or_b32 exec_lo, exec_lo, s28
	v_lshlrev_b32_e32 v2, 8, v34
	v_lshl_add_u32 v1, v1, 10, 0x2000
	v_lshlrev_b32_e32 v0, 7, v0
	v_and_b32_e32 v2, 0x8000, v2
	v_and_b32_e32 v1, 0xfc00, v1
	v_or3_b32 v0, v2, v1, v0
	buffer_store_dword v0, off, s[0:3], s32 offset:244 ; 4-byte Folded Spill
.LBB310_121:                            ;   in Loop: Header=BB310_16 Depth=1
	s_or_b32 exec_lo, exec_lo, s27
.LBB310_122:                            ;   in Loop: Header=BB310_16 Depth=1
	s_or_b32 exec_lo, exec_lo, s26
.LBB310_123:                            ;   in Loop: Header=BB310_16 Depth=1
	s_or_b32 exec_lo, exec_lo, s25
	v_lshrrev_b16 v7, 8, v7
	v_mov_b32_e32 v0, 0
	v_mov_b32_e32 v16, 0
	s_mov_b32 s25, exec_lo
	buffer_store_dword v0, off, s[0:3], s32 offset:252 ; 4-byte Folded Spill
	v_cmpx_ne_u16_e32 0, v7
	s_cbranch_execz .LBB310_131
; %bb.124:                              ;   in Loop: Header=BB310_16 Depth=1
	v_bfrev_b32_e32 v16, 1
	s_mov_b32 s26, exec_lo
	v_cmpx_ne_u16_e32 0x80, v7
	s_cbranch_execz .LBB310_130
; %bb.125:                              ;   in Loop: Header=BB310_16 Depth=1
	v_mov_b32_e32 v0, 0x7f
	v_mov_b32_e32 v16, 0x7c010000
	s_mov_b32 s27, exec_lo
	v_and_b32_sdwa v2, v7, v0 dst_sel:DWORD dst_unused:UNUSED_PAD src0_sel:WORD_0 src1_sel:DWORD
	v_cmpx_ne_u32_e32 0x7f, v2
	s_cbranch_execz .LBB310_129
; %bb.126:                              ;   in Loop: Header=BB310_16 Depth=1
	v_mov_b32_e32 v0, 7
	v_lshrrev_b32_e32 v1, 3, v2
	s_mov_b32 s28, exec_lo
	v_and_b32_sdwa v0, v7, v0 dst_sel:DWORD dst_unused:UNUSED_PAD src0_sel:WORD_0 src1_sel:DWORD
	v_cmpx_gt_u32_e32 8, v2
; %bb.127:                              ;   in Loop: Header=BB310_16 Depth=1
	v_ffbh_u32_e32 v0, v0
	v_min_u32_e32 v2, 32, v0
	v_subrev_nc_u32_e32 v0, 28, v2
	v_lshlrev_b64 v[0:1], v0, v[7:8]
	v_sub_nc_u32_e32 v1, 29, v2
	v_and_b32_e32 v0, 7, v0
; %bb.128:                              ;   in Loop: Header=BB310_16 Depth=1
	s_or_b32 exec_lo, exec_lo, s28
	v_mov_b32_e32 v2, 8
	v_lshl_add_u32 v1, v1, 10, 0x2000
	v_lshlrev_b32_e32 v0, 23, v0
	v_lshlrev_b32_sdwa v2, v2, v7 dst_sel:DWORD dst_unused:UNUSED_PAD src0_sel:DWORD src1_sel:WORD_0
	v_and_or_b32 v1, 0x8000, v2, v1
	v_lshl_or_b32 v16, v1, 16, v0
.LBB310_129:                            ;   in Loop: Header=BB310_16 Depth=1
	s_or_b32 exec_lo, exec_lo, s27
.LBB310_130:                            ;   in Loop: Header=BB310_16 Depth=1
	s_or_b32 exec_lo, exec_lo, s26
.LBB310_131:                            ;   in Loop: Header=BB310_16 Depth=1
	s_or_b32 exec_lo, exec_lo, s25
	v_lshrrev_b32_e32 v7, 16, v34
	v_cmp_ne_u16_sdwa s5, v7, v8 src0_sel:BYTE_0 src1_sel:DWORD
	s_and_saveexec_b32 s25, s5
	s_cbranch_execz .LBB310_139
; %bb.132:                              ;   in Loop: Header=BB310_16 Depth=1
	v_cmp_ne_u16_sdwa s5, v7, v68 src0_sel:BYTE_0 src1_sel:DWORD
	v_mov_b32_e32 v0, 0x8000
	buffer_store_dword v0, off, s[0:3], s32 offset:252 ; 4-byte Folded Spill
	s_and_saveexec_b32 s26, s5
	s_cbranch_execz .LBB310_138
; %bb.133:                              ;   in Loop: Header=BB310_16 Depth=1
	v_bfe_u32 v2, v34, 16, 7
	v_mov_b32_e32 v0, 0x7c01
	s_mov_b32 s27, exec_lo
	buffer_store_dword v0, off, s[0:3], s32 offset:252 ; 4-byte Folded Spill
	v_cmpx_ne_u32_e32 0x7f, v2
	s_cbranch_execz .LBB310_137
; %bb.134:                              ;   in Loop: Header=BB310_16 Depth=1
	v_and_b32_e32 v0, 7, v7
	v_lshrrev_b32_e32 v1, 3, v2
	s_mov_b32 s28, exec_lo
	v_cmpx_gt_u32_e32 8, v2
; %bb.135:                              ;   in Loop: Header=BB310_16 Depth=1
	v_ffbh_u32_e32 v0, v0
	v_min_u32_e32 v2, 32, v0
	v_subrev_nc_u32_e32 v0, 28, v2
	v_lshlrev_b64 v[0:1], v0, v[7:8]
	v_sub_nc_u32_e32 v1, 29, v2
	v_and_b32_e32 v0, 7, v0
; %bb.136:                              ;   in Loop: Header=BB310_16 Depth=1
	s_or_b32 exec_lo, exec_lo, s28
	v_lshlrev_b32_e32 v2, 8, v7
	v_lshl_add_u32 v1, v1, 10, 0x2000
	v_lshlrev_b32_e32 v0, 7, v0
	v_and_b32_e32 v2, 0x8000, v2
	v_and_b32_e32 v1, 0xfc00, v1
	v_or3_b32 v0, v2, v1, v0
	buffer_store_dword v0, off, s[0:3], s32 offset:252 ; 4-byte Folded Spill
.LBB310_137:                            ;   in Loop: Header=BB310_16 Depth=1
	s_or_b32 exec_lo, exec_lo, s27
.LBB310_138:                            ;   in Loop: Header=BB310_16 Depth=1
	s_or_b32 exec_lo, exec_lo, s26
.LBB310_139:                            ;   in Loop: Header=BB310_16 Depth=1
	s_or_b32 exec_lo, exec_lo, s25
	v_mov_b32_e32 v0, 0
	v_mov_b32_e32 v126, 0
	s_mov_b32 s25, exec_lo
	buffer_store_dword v0, off, s[0:3], s32 offset:256 ; 4-byte Folded Spill
	v_cmpx_lt_u64_e64 s[20:21], v[33:34]
	s_cbranch_execz .LBB310_147
; %bb.140:                              ;   in Loop: Header=BB310_16 Depth=1
	v_lshrrev_b32_e32 v7, 24, v34
	v_bfrev_b32_e32 v126, 1
	s_mov_b32 s26, exec_lo
	v_cmpx_ne_u32_e32 0x80, v7
	s_cbranch_execz .LBB310_146
; %bb.141:                              ;   in Loop: Header=BB310_16 Depth=1
	v_and_b32_e32 v2, 0x7f, v7
	v_mov_b32_e32 v126, 0x7c010000
	s_mov_b32 s27, exec_lo
	v_cmpx_ne_u32_e32 0x7f, v2
	s_cbranch_execz .LBB310_145
; %bb.142:                              ;   in Loop: Header=BB310_16 Depth=1
	v_and_b32_e32 v0, 7, v7
	v_lshrrev_b32_e32 v1, 3, v2
	s_mov_b32 s28, exec_lo
	v_cmpx_gt_u32_e32 8, v2
; %bb.143:                              ;   in Loop: Header=BB310_16 Depth=1
	v_ffbh_u32_e32 v0, v0
	v_min_u32_e32 v2, 32, v0
	v_subrev_nc_u32_e32 v0, 28, v2
	v_lshlrev_b64 v[0:1], v0, v[7:8]
	v_sub_nc_u32_e32 v1, 29, v2
	v_and_b32_e32 v0, 7, v0
; %bb.144:                              ;   in Loop: Header=BB310_16 Depth=1
	s_or_b32 exec_lo, exec_lo, s28
	v_lshlrev_b32_e32 v2, 8, v7
	v_lshl_add_u32 v1, v1, 10, 0x2000
	v_lshlrev_b32_e32 v0, 23, v0
	v_and_or_b32 v1, 0x8000, v2, v1
	v_lshl_or_b32 v126, v1, 16, v0
.LBB310_145:                            ;   in Loop: Header=BB310_16 Depth=1
	s_or_b32 exec_lo, exec_lo, s27
.LBB310_146:                            ;   in Loop: Header=BB310_16 Depth=1
	s_or_b32 exec_lo, exec_lo, s26
.LBB310_147:                            ;   in Loop: Header=BB310_16 Depth=1
	s_or_b32 exec_lo, exec_lo, s25
	flat_load_dwordx2 v[33:34], v[31:32] offset:512
	s_waitcnt vmcnt(0) lgkmcnt(0)
	v_cmp_ne_u16_sdwa s5, v33, v8 src0_sel:BYTE_0 src1_sel:DWORD
	s_and_saveexec_b32 s25, s5
	s_cbranch_execz .LBB310_155
; %bb.148:                              ;   in Loop: Header=BB310_16 Depth=1
	v_cmp_ne_u16_sdwa s5, v33, v68 src0_sel:BYTE_0 src1_sel:DWORD
	v_mov_b32_e32 v0, 0x8000
	buffer_store_dword v0, off, s[0:3], s32 offset:256 ; 4-byte Folded Spill
	s_and_saveexec_b32 s26, s5
	s_cbranch_execz .LBB310_154
; %bb.149:                              ;   in Loop: Header=BB310_16 Depth=1
	v_and_b32_e32 v2, 0x7f, v33
	v_mov_b32_e32 v0, 0x7c01
	s_mov_b32 s27, exec_lo
	buffer_store_dword v0, off, s[0:3], s32 offset:256 ; 4-byte Folded Spill
	v_cmpx_ne_u32_e32 0x7f, v2
	s_cbranch_execz .LBB310_153
; %bb.150:                              ;   in Loop: Header=BB310_16 Depth=1
	v_and_b32_e32 v0, 7, v33
	v_lshrrev_b32_e32 v1, 3, v2
	s_mov_b32 s28, exec_lo
	v_cmpx_gt_u32_e32 8, v2
; %bb.151:                              ;   in Loop: Header=BB310_16 Depth=1
	v_ffbh_u32_e32 v0, v0
	v_min_u32_e32 v2, 32, v0
	v_subrev_nc_u32_e32 v0, 28, v2
	v_lshlrev_b64 v[0:1], v0, v[33:34]
	v_sub_nc_u32_e32 v1, 29, v2
	v_and_b32_e32 v0, 7, v0
; %bb.152:                              ;   in Loop: Header=BB310_16 Depth=1
	s_or_b32 exec_lo, exec_lo, s28
	v_lshlrev_b32_e32 v2, 8, v33
	v_lshl_add_u32 v1, v1, 10, 0x2000
	v_lshlrev_b32_e32 v0, 7, v0
	v_and_b32_e32 v2, 0x8000, v2
	v_and_b32_e32 v1, 0xfc00, v1
	v_or3_b32 v0, v2, v1, v0
	buffer_store_dword v0, off, s[0:3], s32 offset:256 ; 4-byte Folded Spill
.LBB310_153:                            ;   in Loop: Header=BB310_16 Depth=1
	s_or_b32 exec_lo, exec_lo, s27
.LBB310_154:                            ;   in Loop: Header=BB310_16 Depth=1
	s_or_b32 exec_lo, exec_lo, s26
.LBB310_155:                            ;   in Loop: Header=BB310_16 Depth=1
	s_or_b32 exec_lo, exec_lo, s25
	v_lshrrev_b16 v7, 8, v33
	v_mov_b32_e32 v0, 0
	v_mov_b32_e32 v117, 0
	s_mov_b32 s25, exec_lo
	buffer_store_dword v0, off, s[0:3], s32 offset:260 ; 4-byte Folded Spill
	v_cmpx_ne_u16_e32 0, v7
	s_cbranch_execz .LBB310_163
; %bb.156:                              ;   in Loop: Header=BB310_16 Depth=1
	v_bfrev_b32_e32 v117, 1
	s_mov_b32 s26, exec_lo
	v_cmpx_ne_u16_e32 0x80, v7
	s_cbranch_execz .LBB310_162
; %bb.157:                              ;   in Loop: Header=BB310_16 Depth=1
	v_mov_b32_e32 v0, 0x7f
	v_mov_b32_e32 v117, 0x7c010000
	s_mov_b32 s27, exec_lo
	v_and_b32_sdwa v2, v7, v0 dst_sel:DWORD dst_unused:UNUSED_PAD src0_sel:WORD_0 src1_sel:DWORD
	v_cmpx_ne_u32_e32 0x7f, v2
	s_cbranch_execz .LBB310_161
; %bb.158:                              ;   in Loop: Header=BB310_16 Depth=1
	v_mov_b32_e32 v0, 7
	v_lshrrev_b32_e32 v1, 3, v2
	s_mov_b32 s28, exec_lo
	v_and_b32_sdwa v0, v7, v0 dst_sel:DWORD dst_unused:UNUSED_PAD src0_sel:WORD_0 src1_sel:DWORD
	v_cmpx_gt_u32_e32 8, v2
; %bb.159:                              ;   in Loop: Header=BB310_16 Depth=1
	v_ffbh_u32_e32 v0, v0
	v_min_u32_e32 v2, 32, v0
	v_subrev_nc_u32_e32 v0, 28, v2
	v_lshlrev_b64 v[0:1], v0, v[7:8]
	v_sub_nc_u32_e32 v1, 29, v2
	v_and_b32_e32 v0, 7, v0
; %bb.160:                              ;   in Loop: Header=BB310_16 Depth=1
	s_or_b32 exec_lo, exec_lo, s28
	v_mov_b32_e32 v2, 8
	v_lshl_add_u32 v1, v1, 10, 0x2000
	v_lshlrev_b32_e32 v0, 23, v0
	v_lshlrev_b32_sdwa v2, v2, v7 dst_sel:DWORD dst_unused:UNUSED_PAD src0_sel:DWORD src1_sel:WORD_0
	v_and_or_b32 v1, 0x8000, v2, v1
	v_lshl_or_b32 v117, v1, 16, v0
.LBB310_161:                            ;   in Loop: Header=BB310_16 Depth=1
	s_or_b32 exec_lo, exec_lo, s27
.LBB310_162:                            ;   in Loop: Header=BB310_16 Depth=1
	s_or_b32 exec_lo, exec_lo, s26
.LBB310_163:                            ;   in Loop: Header=BB310_16 Depth=1
	s_or_b32 exec_lo, exec_lo, s25
	v_lshrrev_b32_e32 v7, 16, v33
	v_cmp_ne_u16_sdwa s5, v7, v8 src0_sel:BYTE_0 src1_sel:DWORD
	s_and_saveexec_b32 s25, s5
	s_cbranch_execz .LBB310_171
; %bb.164:                              ;   in Loop: Header=BB310_16 Depth=1
	v_cmp_ne_u16_sdwa s5, v7, v68 src0_sel:BYTE_0 src1_sel:DWORD
	v_mov_b32_e32 v0, 0x8000
	buffer_store_dword v0, off, s[0:3], s32 offset:260 ; 4-byte Folded Spill
	s_and_saveexec_b32 s26, s5
	s_cbranch_execz .LBB310_170
; %bb.165:                              ;   in Loop: Header=BB310_16 Depth=1
	v_bfe_u32 v2, v33, 16, 7
	v_mov_b32_e32 v0, 0x7c01
	s_mov_b32 s27, exec_lo
	buffer_store_dword v0, off, s[0:3], s32 offset:260 ; 4-byte Folded Spill
	v_cmpx_ne_u32_e32 0x7f, v2
	s_cbranch_execz .LBB310_169
; %bb.166:                              ;   in Loop: Header=BB310_16 Depth=1
	v_and_b32_e32 v0, 7, v7
	v_lshrrev_b32_e32 v1, 3, v2
	s_mov_b32 s28, exec_lo
	v_cmpx_gt_u32_e32 8, v2
; %bb.167:                              ;   in Loop: Header=BB310_16 Depth=1
	v_ffbh_u32_e32 v0, v0
	v_min_u32_e32 v2, 32, v0
	v_subrev_nc_u32_e32 v0, 28, v2
	v_lshlrev_b64 v[0:1], v0, v[7:8]
	v_sub_nc_u32_e32 v1, 29, v2
	v_and_b32_e32 v0, 7, v0
; %bb.168:                              ;   in Loop: Header=BB310_16 Depth=1
	s_or_b32 exec_lo, exec_lo, s28
	v_lshlrev_b32_e32 v2, 8, v7
	v_lshl_add_u32 v1, v1, 10, 0x2000
	v_lshlrev_b32_e32 v0, 7, v0
	v_and_b32_e32 v2, 0x8000, v2
	v_and_b32_e32 v1, 0xfc00, v1
	v_or3_b32 v0, v2, v1, v0
	buffer_store_dword v0, off, s[0:3], s32 offset:260 ; 4-byte Folded Spill
.LBB310_169:                            ;   in Loop: Header=BB310_16 Depth=1
	s_or_b32 exec_lo, exec_lo, s27
.LBB310_170:                            ;   in Loop: Header=BB310_16 Depth=1
	s_or_b32 exec_lo, exec_lo, s26
.LBB310_171:                            ;   in Loop: Header=BB310_16 Depth=1
	s_or_b32 exec_lo, exec_lo, s25
	v_mov_b32_e32 v0, 0
	v_mov_b32_e32 v40, 0
	s_mov_b32 s25, exec_lo
	buffer_store_dword v0, off, s[0:3], s32 offset:264 ; 4-byte Folded Spill
	v_cmpx_lt_u32_e32 0xffffff, v33
	s_cbranch_execz .LBB310_179
; %bb.172:                              ;   in Loop: Header=BB310_16 Depth=1
	v_lshrrev_b32_e32 v7, 24, v33
	v_bfrev_b32_e32 v40, 1
	s_mov_b32 s26, exec_lo
	v_cmpx_ne_u32_e32 0x80, v7
	s_cbranch_execz .LBB310_178
; %bb.173:                              ;   in Loop: Header=BB310_16 Depth=1
	v_and_b32_e32 v2, 0x7f, v7
	v_mov_b32_e32 v40, 0x7c010000
	s_mov_b32 s27, exec_lo
	v_cmpx_ne_u32_e32 0x7f, v2
	s_cbranch_execz .LBB310_177
; %bb.174:                              ;   in Loop: Header=BB310_16 Depth=1
	v_and_b32_e32 v0, 7, v7
	v_lshrrev_b32_e32 v1, 3, v2
	s_mov_b32 s28, exec_lo
	v_cmpx_gt_u32_e32 8, v2
; %bb.175:                              ;   in Loop: Header=BB310_16 Depth=1
	v_ffbh_u32_e32 v0, v0
	v_min_u32_e32 v2, 32, v0
	v_subrev_nc_u32_e32 v0, 28, v2
	v_lshlrev_b64 v[0:1], v0, v[7:8]
	v_sub_nc_u32_e32 v1, 29, v2
	v_and_b32_e32 v0, 7, v0
; %bb.176:                              ;   in Loop: Header=BB310_16 Depth=1
	s_or_b32 exec_lo, exec_lo, s28
	v_lshlrev_b32_e32 v2, 8, v7
	v_lshl_add_u32 v1, v1, 10, 0x2000
	v_lshlrev_b32_e32 v0, 23, v0
	v_and_or_b32 v1, 0x8000, v2, v1
	v_lshl_or_b32 v40, v1, 16, v0
.LBB310_177:                            ;   in Loop: Header=BB310_16 Depth=1
	s_or_b32 exec_lo, exec_lo, s27
.LBB310_178:                            ;   in Loop: Header=BB310_16 Depth=1
	s_or_b32 exec_lo, exec_lo, s26
.LBB310_179:                            ;   in Loop: Header=BB310_16 Depth=1
	s_or_b32 exec_lo, exec_lo, s25
	v_mov_b32_e32 v7, v34
	v_cmp_ne_u16_sdwa s5, v34, v8 src0_sel:BYTE_0 src1_sel:DWORD
	s_and_saveexec_b32 s25, s5
	s_cbranch_execz .LBB310_187
; %bb.180:                              ;   in Loop: Header=BB310_16 Depth=1
	v_cmp_ne_u16_sdwa s5, v34, v68 src0_sel:BYTE_0 src1_sel:DWORD
	v_mov_b32_e32 v0, 0x8000
	buffer_store_dword v0, off, s[0:3], s32 offset:264 ; 4-byte Folded Spill
	s_and_saveexec_b32 s26, s5
	s_cbranch_execz .LBB310_186
; %bb.181:                              ;   in Loop: Header=BB310_16 Depth=1
	v_and_b32_e32 v2, 0x7f, v34
	v_mov_b32_e32 v0, 0x7c01
	s_mov_b32 s27, exec_lo
	buffer_store_dword v0, off, s[0:3], s32 offset:264 ; 4-byte Folded Spill
	v_cmpx_ne_u32_e32 0x7f, v2
	s_cbranch_execz .LBB310_185
; %bb.182:                              ;   in Loop: Header=BB310_16 Depth=1
	v_and_b32_e32 v0, 7, v34
	v_lshrrev_b32_e32 v1, 3, v2
	s_mov_b32 s28, exec_lo
	v_cmpx_gt_u32_e32 8, v2
; %bb.183:                              ;   in Loop: Header=BB310_16 Depth=1
	v_ffbh_u32_e32 v0, v0
	v_min_u32_e32 v2, 32, v0
	v_subrev_nc_u32_e32 v0, 28, v2
	v_lshlrev_b64 v[0:1], v0, v[7:8]
	v_sub_nc_u32_e32 v1, 29, v2
	v_and_b32_e32 v0, 7, v0
; %bb.184:                              ;   in Loop: Header=BB310_16 Depth=1
	s_or_b32 exec_lo, exec_lo, s28
	v_lshlrev_b32_e32 v2, 8, v34
	v_lshl_add_u32 v1, v1, 10, 0x2000
	v_lshlrev_b32_e32 v0, 7, v0
	v_and_b32_e32 v2, 0x8000, v2
	v_and_b32_e32 v1, 0xfc00, v1
	v_or3_b32 v0, v2, v1, v0
	buffer_store_dword v0, off, s[0:3], s32 offset:264 ; 4-byte Folded Spill
.LBB310_185:                            ;   in Loop: Header=BB310_16 Depth=1
	s_or_b32 exec_lo, exec_lo, s27
.LBB310_186:                            ;   in Loop: Header=BB310_16 Depth=1
	s_or_b32 exec_lo, exec_lo, s26
.LBB310_187:                            ;   in Loop: Header=BB310_16 Depth=1
	s_or_b32 exec_lo, exec_lo, s25
	v_lshrrev_b16 v7, 8, v7
	v_mov_b32_e32 v0, 0
	v_mov_b32_e32 v42, 0
	s_mov_b32 s25, exec_lo
	buffer_store_dword v0, off, s[0:3], s32 offset:268 ; 4-byte Folded Spill
	v_cmpx_ne_u16_e32 0, v7
	s_cbranch_execz .LBB310_195
; %bb.188:                              ;   in Loop: Header=BB310_16 Depth=1
	v_bfrev_b32_e32 v42, 1
	s_mov_b32 s26, exec_lo
	v_cmpx_ne_u16_e32 0x80, v7
	s_cbranch_execz .LBB310_194
; %bb.189:                              ;   in Loop: Header=BB310_16 Depth=1
	v_mov_b32_e32 v0, 0x7f
	v_mov_b32_e32 v42, 0x7c010000
	s_mov_b32 s27, exec_lo
	v_and_b32_sdwa v2, v7, v0 dst_sel:DWORD dst_unused:UNUSED_PAD src0_sel:WORD_0 src1_sel:DWORD
	v_cmpx_ne_u32_e32 0x7f, v2
	s_cbranch_execz .LBB310_193
; %bb.190:                              ;   in Loop: Header=BB310_16 Depth=1
	v_mov_b32_e32 v0, 7
	v_lshrrev_b32_e32 v1, 3, v2
	s_mov_b32 s28, exec_lo
	v_and_b32_sdwa v0, v7, v0 dst_sel:DWORD dst_unused:UNUSED_PAD src0_sel:WORD_0 src1_sel:DWORD
	v_cmpx_gt_u32_e32 8, v2
; %bb.191:                              ;   in Loop: Header=BB310_16 Depth=1
	v_ffbh_u32_e32 v0, v0
	v_min_u32_e32 v2, 32, v0
	v_subrev_nc_u32_e32 v0, 28, v2
	v_lshlrev_b64 v[0:1], v0, v[7:8]
	v_sub_nc_u32_e32 v1, 29, v2
	v_and_b32_e32 v0, 7, v0
; %bb.192:                              ;   in Loop: Header=BB310_16 Depth=1
	s_or_b32 exec_lo, exec_lo, s28
	v_mov_b32_e32 v2, 8
	v_lshl_add_u32 v1, v1, 10, 0x2000
	v_lshlrev_b32_e32 v0, 23, v0
	v_lshlrev_b32_sdwa v2, v2, v7 dst_sel:DWORD dst_unused:UNUSED_PAD src0_sel:DWORD src1_sel:WORD_0
	v_and_or_b32 v1, 0x8000, v2, v1
	v_lshl_or_b32 v42, v1, 16, v0
.LBB310_193:                            ;   in Loop: Header=BB310_16 Depth=1
	s_or_b32 exec_lo, exec_lo, s27
.LBB310_194:                            ;   in Loop: Header=BB310_16 Depth=1
	s_or_b32 exec_lo, exec_lo, s26
.LBB310_195:                            ;   in Loop: Header=BB310_16 Depth=1
	s_or_b32 exec_lo, exec_lo, s25
	v_lshrrev_b32_e32 v7, 16, v34
	v_cmp_ne_u16_sdwa s5, v7, v8 src0_sel:BYTE_0 src1_sel:DWORD
	s_and_saveexec_b32 s25, s5
	s_cbranch_execz .LBB310_203
; %bb.196:                              ;   in Loop: Header=BB310_16 Depth=1
	v_cmp_ne_u16_sdwa s5, v7, v68 src0_sel:BYTE_0 src1_sel:DWORD
	v_mov_b32_e32 v0, 0x8000
	buffer_store_dword v0, off, s[0:3], s32 offset:268 ; 4-byte Folded Spill
	s_and_saveexec_b32 s26, s5
	s_cbranch_execz .LBB310_202
; %bb.197:                              ;   in Loop: Header=BB310_16 Depth=1
	v_bfe_u32 v2, v34, 16, 7
	v_mov_b32_e32 v0, 0x7c01
	s_mov_b32 s27, exec_lo
	buffer_store_dword v0, off, s[0:3], s32 offset:268 ; 4-byte Folded Spill
	v_cmpx_ne_u32_e32 0x7f, v2
	s_cbranch_execz .LBB310_201
; %bb.198:                              ;   in Loop: Header=BB310_16 Depth=1
	v_and_b32_e32 v0, 7, v7
	v_lshrrev_b32_e32 v1, 3, v2
	s_mov_b32 s28, exec_lo
	v_cmpx_gt_u32_e32 8, v2
; %bb.199:                              ;   in Loop: Header=BB310_16 Depth=1
	v_ffbh_u32_e32 v0, v0
	v_min_u32_e32 v2, 32, v0
	v_subrev_nc_u32_e32 v0, 28, v2
	v_lshlrev_b64 v[0:1], v0, v[7:8]
	v_sub_nc_u32_e32 v1, 29, v2
	v_and_b32_e32 v0, 7, v0
; %bb.200:                              ;   in Loop: Header=BB310_16 Depth=1
	s_or_b32 exec_lo, exec_lo, s28
	v_lshlrev_b32_e32 v2, 8, v7
	v_lshl_add_u32 v1, v1, 10, 0x2000
	v_lshlrev_b32_e32 v0, 7, v0
	v_and_b32_e32 v2, 0x8000, v2
	v_and_b32_e32 v1, 0xfc00, v1
	v_or3_b32 v0, v2, v1, v0
	buffer_store_dword v0, off, s[0:3], s32 offset:268 ; 4-byte Folded Spill
.LBB310_201:                            ;   in Loop: Header=BB310_16 Depth=1
	s_or_b32 exec_lo, exec_lo, s27
.LBB310_202:                            ;   in Loop: Header=BB310_16 Depth=1
	s_or_b32 exec_lo, exec_lo, s26
.LBB310_203:                            ;   in Loop: Header=BB310_16 Depth=1
	s_or_b32 exec_lo, exec_lo, s25
	v_mov_b32_e32 v0, 0
	v_mov_b32_e32 v125, 0
	s_mov_b32 s25, exec_lo
	buffer_store_dword v0, off, s[0:3], s32 offset:272 ; 4-byte Folded Spill
	v_cmpx_lt_u64_e64 s[20:21], v[33:34]
	s_cbranch_execz .LBB310_211
; %bb.204:                              ;   in Loop: Header=BB310_16 Depth=1
	v_lshrrev_b32_e32 v7, 24, v34
	v_bfrev_b32_e32 v125, 1
	s_mov_b32 s26, exec_lo
	v_cmpx_ne_u32_e32 0x80, v7
	s_cbranch_execz .LBB310_210
; %bb.205:                              ;   in Loop: Header=BB310_16 Depth=1
	v_and_b32_e32 v2, 0x7f, v7
	v_mov_b32_e32 v125, 0x7c010000
	s_mov_b32 s27, exec_lo
	v_cmpx_ne_u32_e32 0x7f, v2
	s_cbranch_execz .LBB310_209
; %bb.206:                              ;   in Loop: Header=BB310_16 Depth=1
	v_and_b32_e32 v0, 7, v7
	v_lshrrev_b32_e32 v1, 3, v2
	s_mov_b32 s28, exec_lo
	v_cmpx_gt_u32_e32 8, v2
; %bb.207:                              ;   in Loop: Header=BB310_16 Depth=1
	v_ffbh_u32_e32 v0, v0
	v_min_u32_e32 v2, 32, v0
	v_subrev_nc_u32_e32 v0, 28, v2
	v_lshlrev_b64 v[0:1], v0, v[7:8]
	v_sub_nc_u32_e32 v1, 29, v2
	v_and_b32_e32 v0, 7, v0
; %bb.208:                              ;   in Loop: Header=BB310_16 Depth=1
	s_or_b32 exec_lo, exec_lo, s28
	v_lshlrev_b32_e32 v2, 8, v7
	v_lshl_add_u32 v1, v1, 10, 0x2000
	v_lshlrev_b32_e32 v0, 23, v0
	v_and_or_b32 v1, 0x8000, v2, v1
	v_lshl_or_b32 v125, v1, 16, v0
.LBB310_209:                            ;   in Loop: Header=BB310_16 Depth=1
	s_or_b32 exec_lo, exec_lo, s27
.LBB310_210:                            ;   in Loop: Header=BB310_16 Depth=1
	s_or_b32 exec_lo, exec_lo, s26
.LBB310_211:                            ;   in Loop: Header=BB310_16 Depth=1
	s_or_b32 exec_lo, exec_lo, s25
	flat_load_dwordx2 v[33:34], v[31:32] offset:520
	s_waitcnt vmcnt(0) lgkmcnt(0)
	v_cmp_ne_u16_sdwa s5, v33, v8 src0_sel:BYTE_0 src1_sel:DWORD
	s_and_saveexec_b32 s25, s5
	s_cbranch_execz .LBB310_219
; %bb.212:                              ;   in Loop: Header=BB310_16 Depth=1
	v_cmp_ne_u16_sdwa s5, v33, v68 src0_sel:BYTE_0 src1_sel:DWORD
	v_mov_b32_e32 v0, 0x8000
	buffer_store_dword v0, off, s[0:3], s32 offset:272 ; 4-byte Folded Spill
	s_and_saveexec_b32 s26, s5
	s_cbranch_execz .LBB310_218
; %bb.213:                              ;   in Loop: Header=BB310_16 Depth=1
	v_and_b32_e32 v2, 0x7f, v33
	v_mov_b32_e32 v0, 0x7c01
	s_mov_b32 s27, exec_lo
	buffer_store_dword v0, off, s[0:3], s32 offset:272 ; 4-byte Folded Spill
	v_cmpx_ne_u32_e32 0x7f, v2
	s_cbranch_execz .LBB310_217
; %bb.214:                              ;   in Loop: Header=BB310_16 Depth=1
	v_and_b32_e32 v0, 7, v33
	v_lshrrev_b32_e32 v1, 3, v2
	s_mov_b32 s28, exec_lo
	v_cmpx_gt_u32_e32 8, v2
; %bb.215:                              ;   in Loop: Header=BB310_16 Depth=1
	v_ffbh_u32_e32 v0, v0
	v_min_u32_e32 v2, 32, v0
	v_subrev_nc_u32_e32 v0, 28, v2
	v_lshlrev_b64 v[0:1], v0, v[33:34]
	v_sub_nc_u32_e32 v1, 29, v2
	v_and_b32_e32 v0, 7, v0
; %bb.216:                              ;   in Loop: Header=BB310_16 Depth=1
	s_or_b32 exec_lo, exec_lo, s28
	v_lshlrev_b32_e32 v2, 8, v33
	v_lshl_add_u32 v1, v1, 10, 0x2000
	v_lshlrev_b32_e32 v0, 7, v0
	v_and_b32_e32 v2, 0x8000, v2
	v_and_b32_e32 v1, 0xfc00, v1
	v_or3_b32 v0, v2, v1, v0
	buffer_store_dword v0, off, s[0:3], s32 offset:272 ; 4-byte Folded Spill
.LBB310_217:                            ;   in Loop: Header=BB310_16 Depth=1
	s_or_b32 exec_lo, exec_lo, s27
.LBB310_218:                            ;   in Loop: Header=BB310_16 Depth=1
	s_or_b32 exec_lo, exec_lo, s26
.LBB310_219:                            ;   in Loop: Header=BB310_16 Depth=1
	s_or_b32 exec_lo, exec_lo, s25
	v_lshrrev_b16 v7, 8, v33
	v_mov_b32_e32 v46, 0
	v_mov_b32_e32 v45, 0
	s_mov_b32 s25, exec_lo
	v_cmpx_ne_u16_e32 0, v7
	s_cbranch_execz .LBB310_227
; %bb.220:                              ;   in Loop: Header=BB310_16 Depth=1
	v_bfrev_b32_e32 v45, 1
	s_mov_b32 s26, exec_lo
	v_cmpx_ne_u16_e32 0x80, v7
	s_cbranch_execz .LBB310_226
; %bb.221:                              ;   in Loop: Header=BB310_16 Depth=1
	v_mov_b32_e32 v0, 0x7f
	v_mov_b32_e32 v45, 0x7c010000
	s_mov_b32 s27, exec_lo
	v_and_b32_sdwa v2, v7, v0 dst_sel:DWORD dst_unused:UNUSED_PAD src0_sel:WORD_0 src1_sel:DWORD
	v_cmpx_ne_u32_e32 0x7f, v2
	s_cbranch_execz .LBB310_225
; %bb.222:                              ;   in Loop: Header=BB310_16 Depth=1
	v_mov_b32_e32 v0, 7
	v_lshrrev_b32_e32 v1, 3, v2
	s_mov_b32 s28, exec_lo
	v_and_b32_sdwa v0, v7, v0 dst_sel:DWORD dst_unused:UNUSED_PAD src0_sel:WORD_0 src1_sel:DWORD
	v_cmpx_gt_u32_e32 8, v2
; %bb.223:                              ;   in Loop: Header=BB310_16 Depth=1
	v_ffbh_u32_e32 v0, v0
	v_min_u32_e32 v2, 32, v0
	v_subrev_nc_u32_e32 v0, 28, v2
	v_lshlrev_b64 v[0:1], v0, v[7:8]
	v_sub_nc_u32_e32 v1, 29, v2
	v_and_b32_e32 v0, 7, v0
; %bb.224:                              ;   in Loop: Header=BB310_16 Depth=1
	s_or_b32 exec_lo, exec_lo, s28
	v_mov_b32_e32 v2, 8
	v_lshl_add_u32 v1, v1, 10, 0x2000
	v_lshlrev_b32_e32 v0, 23, v0
	v_lshlrev_b32_sdwa v2, v2, v7 dst_sel:DWORD dst_unused:UNUSED_PAD src0_sel:DWORD src1_sel:WORD_0
	v_and_or_b32 v1, 0x8000, v2, v1
	v_lshl_or_b32 v45, v1, 16, v0
.LBB310_225:                            ;   in Loop: Header=BB310_16 Depth=1
	s_or_b32 exec_lo, exec_lo, s27
.LBB310_226:                            ;   in Loop: Header=BB310_16 Depth=1
	s_or_b32 exec_lo, exec_lo, s26
.LBB310_227:                            ;   in Loop: Header=BB310_16 Depth=1
	s_or_b32 exec_lo, exec_lo, s25
	v_lshrrev_b32_e32 v7, 16, v33
	v_cmp_ne_u16_sdwa s5, v7, v8 src0_sel:BYTE_0 src1_sel:DWORD
	s_and_saveexec_b32 s25, s5
	s_cbranch_execz .LBB310_235
; %bb.228:                              ;   in Loop: Header=BB310_16 Depth=1
	v_cmp_ne_u16_sdwa s5, v7, v68 src0_sel:BYTE_0 src1_sel:DWORD
	v_mov_b32_e32 v46, 0x8000
	s_and_saveexec_b32 s26, s5
	s_cbranch_execz .LBB310_234
; %bb.229:                              ;   in Loop: Header=BB310_16 Depth=1
	v_bfe_u32 v2, v33, 16, 7
	v_mov_b32_e32 v46, 0x7c01
	s_mov_b32 s27, exec_lo
	v_cmpx_ne_u32_e32 0x7f, v2
	s_cbranch_execz .LBB310_233
; %bb.230:                              ;   in Loop: Header=BB310_16 Depth=1
	v_and_b32_e32 v0, 7, v7
	v_lshrrev_b32_e32 v1, 3, v2
	s_mov_b32 s28, exec_lo
	v_cmpx_gt_u32_e32 8, v2
; %bb.231:                              ;   in Loop: Header=BB310_16 Depth=1
	v_ffbh_u32_e32 v0, v0
	v_min_u32_e32 v2, 32, v0
	v_subrev_nc_u32_e32 v0, 28, v2
	v_lshlrev_b64 v[0:1], v0, v[7:8]
	v_sub_nc_u32_e32 v1, 29, v2
	v_and_b32_e32 v0, 7, v0
; %bb.232:                              ;   in Loop: Header=BB310_16 Depth=1
	s_or_b32 exec_lo, exec_lo, s28
	v_lshlrev_b32_e32 v2, 8, v7
	v_lshl_add_u32 v1, v1, 10, 0x2000
	v_lshlrev_b32_e32 v0, 7, v0
	v_and_b32_e32 v2, 0x8000, v2
	v_and_b32_e32 v1, 0xfc00, v1
	v_or3_b32 v46, v2, v1, v0
.LBB310_233:                            ;   in Loop: Header=BB310_16 Depth=1
	s_or_b32 exec_lo, exec_lo, s27
.LBB310_234:                            ;   in Loop: Header=BB310_16 Depth=1
	s_or_b32 exec_lo, exec_lo, s26
.LBB310_235:                            ;   in Loop: Header=BB310_16 Depth=1
	s_or_b32 exec_lo, exec_lo, s25
	v_mov_b32_e32 v47, 0
	v_mov_b32_e32 v56, 0
	s_mov_b32 s25, exec_lo
	v_cmpx_lt_u32_e32 0xffffff, v33
	s_cbranch_execz .LBB310_243
; %bb.236:                              ;   in Loop: Header=BB310_16 Depth=1
	v_lshrrev_b32_e32 v7, 24, v33
	v_bfrev_b32_e32 v56, 1
	s_mov_b32 s26, exec_lo
	v_cmpx_ne_u32_e32 0x80, v7
	s_cbranch_execz .LBB310_242
; %bb.237:                              ;   in Loop: Header=BB310_16 Depth=1
	v_and_b32_e32 v2, 0x7f, v7
	v_mov_b32_e32 v56, 0x7c010000
	s_mov_b32 s27, exec_lo
	v_cmpx_ne_u32_e32 0x7f, v2
	s_cbranch_execz .LBB310_241
; %bb.238:                              ;   in Loop: Header=BB310_16 Depth=1
	v_and_b32_e32 v0, 7, v7
	v_lshrrev_b32_e32 v1, 3, v2
	s_mov_b32 s28, exec_lo
	v_cmpx_gt_u32_e32 8, v2
; %bb.239:                              ;   in Loop: Header=BB310_16 Depth=1
	v_ffbh_u32_e32 v0, v0
	v_min_u32_e32 v2, 32, v0
	v_subrev_nc_u32_e32 v0, 28, v2
	v_lshlrev_b64 v[0:1], v0, v[7:8]
	v_sub_nc_u32_e32 v1, 29, v2
	v_and_b32_e32 v0, 7, v0
; %bb.240:                              ;   in Loop: Header=BB310_16 Depth=1
	s_or_b32 exec_lo, exec_lo, s28
	v_lshlrev_b32_e32 v2, 8, v7
	v_lshl_add_u32 v1, v1, 10, 0x2000
	v_lshlrev_b32_e32 v0, 23, v0
	v_and_or_b32 v1, 0x8000, v2, v1
	v_lshl_or_b32 v56, v1, 16, v0
.LBB310_241:                            ;   in Loop: Header=BB310_16 Depth=1
	s_or_b32 exec_lo, exec_lo, s27
.LBB310_242:                            ;   in Loop: Header=BB310_16 Depth=1
	s_or_b32 exec_lo, exec_lo, s26
.LBB310_243:                            ;   in Loop: Header=BB310_16 Depth=1
	s_or_b32 exec_lo, exec_lo, s25
	v_mov_b32_e32 v7, v34
	v_cmp_ne_u16_sdwa s5, v34, v8 src0_sel:BYTE_0 src1_sel:DWORD
	s_and_saveexec_b32 s25, s5
	s_cbranch_execz .LBB310_251
; %bb.244:                              ;   in Loop: Header=BB310_16 Depth=1
	v_cmp_ne_u16_sdwa s5, v34, v68 src0_sel:BYTE_0 src1_sel:DWORD
	v_mov_b32_e32 v47, 0x8000
	s_and_saveexec_b32 s26, s5
	s_cbranch_execz .LBB310_250
; %bb.245:                              ;   in Loop: Header=BB310_16 Depth=1
	v_and_b32_e32 v2, 0x7f, v34
	v_mov_b32_e32 v47, 0x7c01
	s_mov_b32 s27, exec_lo
	v_cmpx_ne_u32_e32 0x7f, v2
	s_cbranch_execz .LBB310_249
; %bb.246:                              ;   in Loop: Header=BB310_16 Depth=1
	v_and_b32_e32 v0, 7, v34
	v_lshrrev_b32_e32 v1, 3, v2
	s_mov_b32 s28, exec_lo
	v_cmpx_gt_u32_e32 8, v2
; %bb.247:                              ;   in Loop: Header=BB310_16 Depth=1
	v_ffbh_u32_e32 v0, v0
	v_min_u32_e32 v2, 32, v0
	v_subrev_nc_u32_e32 v0, 28, v2
	v_lshlrev_b64 v[0:1], v0, v[7:8]
	v_sub_nc_u32_e32 v1, 29, v2
	v_and_b32_e32 v0, 7, v0
; %bb.248:                              ;   in Loop: Header=BB310_16 Depth=1
	s_or_b32 exec_lo, exec_lo, s28
	v_lshlrev_b32_e32 v2, 8, v34
	v_lshl_add_u32 v1, v1, 10, 0x2000
	v_lshlrev_b32_e32 v0, 7, v0
	v_and_b32_e32 v2, 0x8000, v2
	v_and_b32_e32 v1, 0xfc00, v1
	v_or3_b32 v47, v2, v1, v0
.LBB310_249:                            ;   in Loop: Header=BB310_16 Depth=1
	s_or_b32 exec_lo, exec_lo, s27
.LBB310_250:                            ;   in Loop: Header=BB310_16 Depth=1
	s_or_b32 exec_lo, exec_lo, s26
.LBB310_251:                            ;   in Loop: Header=BB310_16 Depth=1
	s_or_b32 exec_lo, exec_lo, s25
	v_lshrrev_b16 v7, 8, v7
	v_mov_b32_e32 v57, 0
	v_mov_b32_e32 v58, 0
	s_mov_b32 s25, exec_lo
	v_cmpx_ne_u16_e32 0, v7
	s_cbranch_execz .LBB310_259
; %bb.252:                              ;   in Loop: Header=BB310_16 Depth=1
	v_bfrev_b32_e32 v58, 1
	s_mov_b32 s26, exec_lo
	v_cmpx_ne_u16_e32 0x80, v7
	s_cbranch_execz .LBB310_258
; %bb.253:                              ;   in Loop: Header=BB310_16 Depth=1
	v_mov_b32_e32 v0, 0x7f
	v_mov_b32_e32 v58, 0x7c010000
	s_mov_b32 s27, exec_lo
	v_and_b32_sdwa v2, v7, v0 dst_sel:DWORD dst_unused:UNUSED_PAD src0_sel:WORD_0 src1_sel:DWORD
	v_cmpx_ne_u32_e32 0x7f, v2
	s_cbranch_execz .LBB310_257
; %bb.254:                              ;   in Loop: Header=BB310_16 Depth=1
	v_mov_b32_e32 v0, 7
	v_lshrrev_b32_e32 v1, 3, v2
	s_mov_b32 s28, exec_lo
	v_and_b32_sdwa v0, v7, v0 dst_sel:DWORD dst_unused:UNUSED_PAD src0_sel:WORD_0 src1_sel:DWORD
	v_cmpx_gt_u32_e32 8, v2
; %bb.255:                              ;   in Loop: Header=BB310_16 Depth=1
	v_ffbh_u32_e32 v0, v0
	v_min_u32_e32 v2, 32, v0
	v_subrev_nc_u32_e32 v0, 28, v2
	v_lshlrev_b64 v[0:1], v0, v[7:8]
	v_sub_nc_u32_e32 v1, 29, v2
	v_and_b32_e32 v0, 7, v0
; %bb.256:                              ;   in Loop: Header=BB310_16 Depth=1
	s_or_b32 exec_lo, exec_lo, s28
	v_mov_b32_e32 v2, 8
	v_lshl_add_u32 v1, v1, 10, 0x2000
	v_lshlrev_b32_e32 v0, 23, v0
	v_lshlrev_b32_sdwa v2, v2, v7 dst_sel:DWORD dst_unused:UNUSED_PAD src0_sel:DWORD src1_sel:WORD_0
	v_and_or_b32 v1, 0x8000, v2, v1
	v_lshl_or_b32 v58, v1, 16, v0
.LBB310_257:                            ;   in Loop: Header=BB310_16 Depth=1
	s_or_b32 exec_lo, exec_lo, s27
.LBB310_258:                            ;   in Loop: Header=BB310_16 Depth=1
	s_or_b32 exec_lo, exec_lo, s26
.LBB310_259:                            ;   in Loop: Header=BB310_16 Depth=1
	s_or_b32 exec_lo, exec_lo, s25
	v_lshrrev_b32_e32 v7, 16, v34
	v_cmp_ne_u16_sdwa s5, v7, v8 src0_sel:BYTE_0 src1_sel:DWORD
	s_and_saveexec_b32 s25, s5
	s_cbranch_execz .LBB310_267
; %bb.260:                              ;   in Loop: Header=BB310_16 Depth=1
	v_cmp_ne_u16_sdwa s5, v7, v68 src0_sel:BYTE_0 src1_sel:DWORD
	v_mov_b32_e32 v57, 0x8000
	s_and_saveexec_b32 s26, s5
	s_cbranch_execz .LBB310_266
; %bb.261:                              ;   in Loop: Header=BB310_16 Depth=1
	v_bfe_u32 v2, v34, 16, 7
	v_mov_b32_e32 v57, 0x7c01
	s_mov_b32 s27, exec_lo
	v_cmpx_ne_u32_e32 0x7f, v2
	s_cbranch_execz .LBB310_265
; %bb.262:                              ;   in Loop: Header=BB310_16 Depth=1
	v_and_b32_e32 v0, 7, v7
	v_lshrrev_b32_e32 v1, 3, v2
	s_mov_b32 s28, exec_lo
	v_cmpx_gt_u32_e32 8, v2
; %bb.263:                              ;   in Loop: Header=BB310_16 Depth=1
	v_ffbh_u32_e32 v0, v0
	v_min_u32_e32 v2, 32, v0
	v_subrev_nc_u32_e32 v0, 28, v2
	v_lshlrev_b64 v[0:1], v0, v[7:8]
	v_sub_nc_u32_e32 v1, 29, v2
	v_and_b32_e32 v0, 7, v0
; %bb.264:                              ;   in Loop: Header=BB310_16 Depth=1
	s_or_b32 exec_lo, exec_lo, s28
	v_lshlrev_b32_e32 v2, 8, v7
	v_lshl_add_u32 v1, v1, 10, 0x2000
	v_lshlrev_b32_e32 v0, 7, v0
	v_and_b32_e32 v2, 0x8000, v2
	v_and_b32_e32 v1, 0xfc00, v1
	v_or3_b32 v57, v2, v1, v0
.LBB310_265:                            ;   in Loop: Header=BB310_16 Depth=1
	s_or_b32 exec_lo, exec_lo, s27
.LBB310_266:                            ;   in Loop: Header=BB310_16 Depth=1
	s_or_b32 exec_lo, exec_lo, s26
.LBB310_267:                            ;   in Loop: Header=BB310_16 Depth=1
	s_or_b32 exec_lo, exec_lo, s25
	v_mov_b32_e32 v60, 0
	v_mov_b32_e32 v59, 0
	s_mov_b32 s25, exec_lo
	v_cmpx_lt_u64_e64 s[20:21], v[33:34]
	s_cbranch_execz .LBB310_275
; %bb.268:                              ;   in Loop: Header=BB310_16 Depth=1
	v_lshrrev_b32_e32 v7, 24, v34
	v_bfrev_b32_e32 v59, 1
	s_mov_b32 s26, exec_lo
	v_cmpx_ne_u32_e32 0x80, v7
	s_cbranch_execz .LBB310_274
; %bb.269:                              ;   in Loop: Header=BB310_16 Depth=1
	v_and_b32_e32 v2, 0x7f, v7
	v_mov_b32_e32 v59, 0x7c010000
	s_mov_b32 s27, exec_lo
	v_cmpx_ne_u32_e32 0x7f, v2
	s_cbranch_execz .LBB310_273
; %bb.270:                              ;   in Loop: Header=BB310_16 Depth=1
	v_and_b32_e32 v0, 7, v7
	v_lshrrev_b32_e32 v1, 3, v2
	s_mov_b32 s28, exec_lo
	v_cmpx_gt_u32_e32 8, v2
; %bb.271:                              ;   in Loop: Header=BB310_16 Depth=1
	v_ffbh_u32_e32 v0, v0
	v_min_u32_e32 v2, 32, v0
	v_subrev_nc_u32_e32 v0, 28, v2
	v_lshlrev_b64 v[0:1], v0, v[7:8]
	v_sub_nc_u32_e32 v1, 29, v2
	v_and_b32_e32 v0, 7, v0
; %bb.272:                              ;   in Loop: Header=BB310_16 Depth=1
	s_or_b32 exec_lo, exec_lo, s28
	v_lshlrev_b32_e32 v2, 8, v7
	v_lshl_add_u32 v1, v1, 10, 0x2000
	v_lshlrev_b32_e32 v0, 23, v0
	v_and_or_b32 v1, 0x8000, v2, v1
	v_lshl_or_b32 v59, v1, 16, v0
.LBB310_273:                            ;   in Loop: Header=BB310_16 Depth=1
	s_or_b32 exec_lo, exec_lo, s27
.LBB310_274:                            ;   in Loop: Header=BB310_16 Depth=1
	s_or_b32 exec_lo, exec_lo, s26
.LBB310_275:                            ;   in Loop: Header=BB310_16 Depth=1
	s_or_b32 exec_lo, exec_lo, s25
	flat_load_dwordx2 v[33:34], v[31:32] offset:1024
	s_waitcnt vmcnt(0) lgkmcnt(0)
	v_cmp_ne_u16_sdwa s5, v33, v8 src0_sel:BYTE_0 src1_sel:DWORD
	s_and_saveexec_b32 s25, s5
	s_cbranch_execz .LBB310_283
; %bb.276:                              ;   in Loop: Header=BB310_16 Depth=1
	v_cmp_ne_u16_sdwa s5, v33, v68 src0_sel:BYTE_0 src1_sel:DWORD
	v_mov_b32_e32 v60, 0x8000
	s_and_saveexec_b32 s26, s5
	s_cbranch_execz .LBB310_282
; %bb.277:                              ;   in Loop: Header=BB310_16 Depth=1
	v_and_b32_e32 v2, 0x7f, v33
	v_mov_b32_e32 v60, 0x7c01
	s_mov_b32 s27, exec_lo
	v_cmpx_ne_u32_e32 0x7f, v2
	s_cbranch_execz .LBB310_281
; %bb.278:                              ;   in Loop: Header=BB310_16 Depth=1
	v_and_b32_e32 v0, 7, v33
	v_lshrrev_b32_e32 v1, 3, v2
	s_mov_b32 s28, exec_lo
	v_cmpx_gt_u32_e32 8, v2
; %bb.279:                              ;   in Loop: Header=BB310_16 Depth=1
	v_ffbh_u32_e32 v0, v0
	v_min_u32_e32 v2, 32, v0
	v_subrev_nc_u32_e32 v0, 28, v2
	v_lshlrev_b64 v[0:1], v0, v[33:34]
	v_sub_nc_u32_e32 v1, 29, v2
	v_and_b32_e32 v0, 7, v0
; %bb.280:                              ;   in Loop: Header=BB310_16 Depth=1
	s_or_b32 exec_lo, exec_lo, s28
	v_lshlrev_b32_e32 v2, 8, v33
	v_lshl_add_u32 v1, v1, 10, 0x2000
	v_lshlrev_b32_e32 v0, 7, v0
	v_and_b32_e32 v2, 0x8000, v2
	v_and_b32_e32 v1, 0xfc00, v1
	v_or3_b32 v60, v2, v1, v0
.LBB310_281:                            ;   in Loop: Header=BB310_16 Depth=1
	s_or_b32 exec_lo, exec_lo, s27
.LBB310_282:                            ;   in Loop: Header=BB310_16 Depth=1
	s_or_b32 exec_lo, exec_lo, s26
.LBB310_283:                            ;   in Loop: Header=BB310_16 Depth=1
	s_or_b32 exec_lo, exec_lo, s25
	v_lshrrev_b16 v7, 8, v33
	v_mov_b32_e32 v62, 0
	v_mov_b32_e32 v61, 0
	s_mov_b32 s25, exec_lo
	v_cmpx_ne_u16_e32 0, v7
	s_cbranch_execz .LBB310_291
; %bb.284:                              ;   in Loop: Header=BB310_16 Depth=1
	v_bfrev_b32_e32 v61, 1
	s_mov_b32 s26, exec_lo
	v_cmpx_ne_u16_e32 0x80, v7
	s_cbranch_execz .LBB310_290
; %bb.285:                              ;   in Loop: Header=BB310_16 Depth=1
	v_mov_b32_e32 v0, 0x7f
	v_mov_b32_e32 v61, 0x7c010000
	s_mov_b32 s27, exec_lo
	v_and_b32_sdwa v2, v7, v0 dst_sel:DWORD dst_unused:UNUSED_PAD src0_sel:WORD_0 src1_sel:DWORD
	v_cmpx_ne_u32_e32 0x7f, v2
	s_cbranch_execz .LBB310_289
; %bb.286:                              ;   in Loop: Header=BB310_16 Depth=1
	v_mov_b32_e32 v0, 7
	v_lshrrev_b32_e32 v1, 3, v2
	s_mov_b32 s28, exec_lo
	v_and_b32_sdwa v0, v7, v0 dst_sel:DWORD dst_unused:UNUSED_PAD src0_sel:WORD_0 src1_sel:DWORD
	v_cmpx_gt_u32_e32 8, v2
; %bb.287:                              ;   in Loop: Header=BB310_16 Depth=1
	v_ffbh_u32_e32 v0, v0
	v_min_u32_e32 v2, 32, v0
	v_subrev_nc_u32_e32 v0, 28, v2
	v_lshlrev_b64 v[0:1], v0, v[7:8]
	v_sub_nc_u32_e32 v1, 29, v2
	v_and_b32_e32 v0, 7, v0
; %bb.288:                              ;   in Loop: Header=BB310_16 Depth=1
	s_or_b32 exec_lo, exec_lo, s28
	v_mov_b32_e32 v2, 8
	v_lshl_add_u32 v1, v1, 10, 0x2000
	v_lshlrev_b32_e32 v0, 23, v0
	v_lshlrev_b32_sdwa v2, v2, v7 dst_sel:DWORD dst_unused:UNUSED_PAD src0_sel:DWORD src1_sel:WORD_0
	v_and_or_b32 v1, 0x8000, v2, v1
	v_lshl_or_b32 v61, v1, 16, v0
.LBB310_289:                            ;   in Loop: Header=BB310_16 Depth=1
	s_or_b32 exec_lo, exec_lo, s27
.LBB310_290:                            ;   in Loop: Header=BB310_16 Depth=1
	s_or_b32 exec_lo, exec_lo, s26
.LBB310_291:                            ;   in Loop: Header=BB310_16 Depth=1
	s_or_b32 exec_lo, exec_lo, s25
	v_lshrrev_b32_e32 v7, 16, v33
	v_cmp_ne_u16_sdwa s5, v7, v8 src0_sel:BYTE_0 src1_sel:DWORD
	s_and_saveexec_b32 s25, s5
	s_cbranch_execz .LBB310_299
; %bb.292:                              ;   in Loop: Header=BB310_16 Depth=1
	v_cmp_ne_u16_sdwa s5, v7, v68 src0_sel:BYTE_0 src1_sel:DWORD
	v_mov_b32_e32 v62, 0x8000
	s_and_saveexec_b32 s26, s5
	s_cbranch_execz .LBB310_298
; %bb.293:                              ;   in Loop: Header=BB310_16 Depth=1
	v_bfe_u32 v2, v33, 16, 7
	v_mov_b32_e32 v62, 0x7c01
	s_mov_b32 s27, exec_lo
	v_cmpx_ne_u32_e32 0x7f, v2
	s_cbranch_execz .LBB310_297
; %bb.294:                              ;   in Loop: Header=BB310_16 Depth=1
	v_and_b32_e32 v0, 7, v7
	v_lshrrev_b32_e32 v1, 3, v2
	s_mov_b32 s28, exec_lo
	v_cmpx_gt_u32_e32 8, v2
; %bb.295:                              ;   in Loop: Header=BB310_16 Depth=1
	v_ffbh_u32_e32 v0, v0
	v_min_u32_e32 v2, 32, v0
	v_subrev_nc_u32_e32 v0, 28, v2
	v_lshlrev_b64 v[0:1], v0, v[7:8]
	v_sub_nc_u32_e32 v1, 29, v2
	v_and_b32_e32 v0, 7, v0
; %bb.296:                              ;   in Loop: Header=BB310_16 Depth=1
	s_or_b32 exec_lo, exec_lo, s28
	v_lshlrev_b32_e32 v2, 8, v7
	v_lshl_add_u32 v1, v1, 10, 0x2000
	v_lshlrev_b32_e32 v0, 7, v0
	v_and_b32_e32 v2, 0x8000, v2
	v_and_b32_e32 v1, 0xfc00, v1
	v_or3_b32 v62, v2, v1, v0
.LBB310_297:                            ;   in Loop: Header=BB310_16 Depth=1
	s_or_b32 exec_lo, exec_lo, s27
.LBB310_298:                            ;   in Loop: Header=BB310_16 Depth=1
	s_or_b32 exec_lo, exec_lo, s26
.LBB310_299:                            ;   in Loop: Header=BB310_16 Depth=1
	s_or_b32 exec_lo, exec_lo, s25
	v_mov_b32_e32 v63, 0
	v_mov_b32_e32 v72, 0
	s_mov_b32 s25, exec_lo
	v_cmpx_lt_u32_e32 0xffffff, v33
	s_cbranch_execz .LBB310_307
; %bb.300:                              ;   in Loop: Header=BB310_16 Depth=1
	v_lshrrev_b32_e32 v7, 24, v33
	v_bfrev_b32_e32 v72, 1
	s_mov_b32 s26, exec_lo
	v_cmpx_ne_u32_e32 0x80, v7
	s_cbranch_execz .LBB310_306
; %bb.301:                              ;   in Loop: Header=BB310_16 Depth=1
	v_and_b32_e32 v2, 0x7f, v7
	v_mov_b32_e32 v72, 0x7c010000
	s_mov_b32 s27, exec_lo
	v_cmpx_ne_u32_e32 0x7f, v2
	s_cbranch_execz .LBB310_305
; %bb.302:                              ;   in Loop: Header=BB310_16 Depth=1
	v_and_b32_e32 v0, 7, v7
	v_lshrrev_b32_e32 v1, 3, v2
	s_mov_b32 s28, exec_lo
	v_cmpx_gt_u32_e32 8, v2
; %bb.303:                              ;   in Loop: Header=BB310_16 Depth=1
	v_ffbh_u32_e32 v0, v0
	v_min_u32_e32 v2, 32, v0
	v_subrev_nc_u32_e32 v0, 28, v2
	v_lshlrev_b64 v[0:1], v0, v[7:8]
	v_sub_nc_u32_e32 v1, 29, v2
	v_and_b32_e32 v0, 7, v0
; %bb.304:                              ;   in Loop: Header=BB310_16 Depth=1
	s_or_b32 exec_lo, exec_lo, s28
	v_lshlrev_b32_e32 v2, 8, v7
	v_lshl_add_u32 v1, v1, 10, 0x2000
	v_lshlrev_b32_e32 v0, 23, v0
	v_and_or_b32 v1, 0x8000, v2, v1
	v_lshl_or_b32 v72, v1, 16, v0
.LBB310_305:                            ;   in Loop: Header=BB310_16 Depth=1
	s_or_b32 exec_lo, exec_lo, s27
.LBB310_306:                            ;   in Loop: Header=BB310_16 Depth=1
	s_or_b32 exec_lo, exec_lo, s26
.LBB310_307:                            ;   in Loop: Header=BB310_16 Depth=1
	s_or_b32 exec_lo, exec_lo, s25
	v_mov_b32_e32 v7, v34
	v_cmp_ne_u16_sdwa s5, v34, v8 src0_sel:BYTE_0 src1_sel:DWORD
	s_and_saveexec_b32 s25, s5
	s_cbranch_execz .LBB310_315
; %bb.308:                              ;   in Loop: Header=BB310_16 Depth=1
	v_cmp_ne_u16_sdwa s5, v34, v68 src0_sel:BYTE_0 src1_sel:DWORD
	v_mov_b32_e32 v63, 0x8000
	s_and_saveexec_b32 s26, s5
	s_cbranch_execz .LBB310_314
; %bb.309:                              ;   in Loop: Header=BB310_16 Depth=1
	v_and_b32_e32 v2, 0x7f, v34
	v_mov_b32_e32 v63, 0x7c01
	s_mov_b32 s27, exec_lo
	v_cmpx_ne_u32_e32 0x7f, v2
	s_cbranch_execz .LBB310_313
; %bb.310:                              ;   in Loop: Header=BB310_16 Depth=1
	v_and_b32_e32 v0, 7, v34
	v_lshrrev_b32_e32 v1, 3, v2
	s_mov_b32 s28, exec_lo
	v_cmpx_gt_u32_e32 8, v2
; %bb.311:                              ;   in Loop: Header=BB310_16 Depth=1
	v_ffbh_u32_e32 v0, v0
	v_min_u32_e32 v2, 32, v0
	v_subrev_nc_u32_e32 v0, 28, v2
	v_lshlrev_b64 v[0:1], v0, v[7:8]
	v_sub_nc_u32_e32 v1, 29, v2
	v_and_b32_e32 v0, 7, v0
; %bb.312:                              ;   in Loop: Header=BB310_16 Depth=1
	s_or_b32 exec_lo, exec_lo, s28
	v_lshlrev_b32_e32 v2, 8, v34
	v_lshl_add_u32 v1, v1, 10, 0x2000
	v_lshlrev_b32_e32 v0, 7, v0
	v_and_b32_e32 v2, 0x8000, v2
	v_and_b32_e32 v1, 0xfc00, v1
	v_or3_b32 v63, v2, v1, v0
.LBB310_313:                            ;   in Loop: Header=BB310_16 Depth=1
	s_or_b32 exec_lo, exec_lo, s27
.LBB310_314:                            ;   in Loop: Header=BB310_16 Depth=1
	s_or_b32 exec_lo, exec_lo, s26
.LBB310_315:                            ;   in Loop: Header=BB310_16 Depth=1
	s_or_b32 exec_lo, exec_lo, s25
	v_lshrrev_b16 v7, 8, v7
	v_mov_b32_e32 v73, 0
	v_mov_b32_e32 v74, 0
	s_mov_b32 s25, exec_lo
	v_cmpx_ne_u16_e32 0, v7
	s_cbranch_execz .LBB310_323
; %bb.316:                              ;   in Loop: Header=BB310_16 Depth=1
	v_bfrev_b32_e32 v74, 1
	s_mov_b32 s26, exec_lo
	v_cmpx_ne_u16_e32 0x80, v7
	s_cbranch_execz .LBB310_322
; %bb.317:                              ;   in Loop: Header=BB310_16 Depth=1
	v_mov_b32_e32 v0, 0x7f
	v_mov_b32_e32 v74, 0x7c010000
	s_mov_b32 s27, exec_lo
	v_and_b32_sdwa v2, v7, v0 dst_sel:DWORD dst_unused:UNUSED_PAD src0_sel:WORD_0 src1_sel:DWORD
	v_cmpx_ne_u32_e32 0x7f, v2
	s_cbranch_execz .LBB310_321
; %bb.318:                              ;   in Loop: Header=BB310_16 Depth=1
	v_mov_b32_e32 v0, 7
	v_lshrrev_b32_e32 v1, 3, v2
	s_mov_b32 s28, exec_lo
	v_and_b32_sdwa v0, v7, v0 dst_sel:DWORD dst_unused:UNUSED_PAD src0_sel:WORD_0 src1_sel:DWORD
	v_cmpx_gt_u32_e32 8, v2
; %bb.319:                              ;   in Loop: Header=BB310_16 Depth=1
	v_ffbh_u32_e32 v0, v0
	v_min_u32_e32 v2, 32, v0
	v_subrev_nc_u32_e32 v0, 28, v2
	v_lshlrev_b64 v[0:1], v0, v[7:8]
	v_sub_nc_u32_e32 v1, 29, v2
	v_and_b32_e32 v0, 7, v0
; %bb.320:                              ;   in Loop: Header=BB310_16 Depth=1
	s_or_b32 exec_lo, exec_lo, s28
	v_mov_b32_e32 v2, 8
	v_lshl_add_u32 v1, v1, 10, 0x2000
	v_lshlrev_b32_e32 v0, 23, v0
	v_lshlrev_b32_sdwa v2, v2, v7 dst_sel:DWORD dst_unused:UNUSED_PAD src0_sel:DWORD src1_sel:WORD_0
	v_and_or_b32 v1, 0x8000, v2, v1
	v_lshl_or_b32 v74, v1, 16, v0
.LBB310_321:                            ;   in Loop: Header=BB310_16 Depth=1
	s_or_b32 exec_lo, exec_lo, s27
.LBB310_322:                            ;   in Loop: Header=BB310_16 Depth=1
	s_or_b32 exec_lo, exec_lo, s26
.LBB310_323:                            ;   in Loop: Header=BB310_16 Depth=1
	s_or_b32 exec_lo, exec_lo, s25
	v_lshrrev_b32_e32 v7, 16, v34
	v_cmp_ne_u16_sdwa s5, v7, v8 src0_sel:BYTE_0 src1_sel:DWORD
	s_and_saveexec_b32 s25, s5
	s_cbranch_execz .LBB310_331
; %bb.324:                              ;   in Loop: Header=BB310_16 Depth=1
	v_cmp_ne_u16_sdwa s5, v7, v68 src0_sel:BYTE_0 src1_sel:DWORD
	v_mov_b32_e32 v73, 0x8000
	s_and_saveexec_b32 s26, s5
	s_cbranch_execz .LBB310_330
; %bb.325:                              ;   in Loop: Header=BB310_16 Depth=1
	v_bfe_u32 v2, v34, 16, 7
	v_mov_b32_e32 v73, 0x7c01
	s_mov_b32 s27, exec_lo
	v_cmpx_ne_u32_e32 0x7f, v2
	s_cbranch_execz .LBB310_329
; %bb.326:                              ;   in Loop: Header=BB310_16 Depth=1
	v_and_b32_e32 v0, 7, v7
	v_lshrrev_b32_e32 v1, 3, v2
	s_mov_b32 s28, exec_lo
	v_cmpx_gt_u32_e32 8, v2
; %bb.327:                              ;   in Loop: Header=BB310_16 Depth=1
	v_ffbh_u32_e32 v0, v0
	v_min_u32_e32 v2, 32, v0
	v_subrev_nc_u32_e32 v0, 28, v2
	v_lshlrev_b64 v[0:1], v0, v[7:8]
	v_sub_nc_u32_e32 v1, 29, v2
	v_and_b32_e32 v0, 7, v0
; %bb.328:                              ;   in Loop: Header=BB310_16 Depth=1
	s_or_b32 exec_lo, exec_lo, s28
	v_lshlrev_b32_e32 v2, 8, v7
	v_lshl_add_u32 v1, v1, 10, 0x2000
	v_lshlrev_b32_e32 v0, 7, v0
	v_and_b32_e32 v2, 0x8000, v2
	v_and_b32_e32 v1, 0xfc00, v1
	v_or3_b32 v73, v2, v1, v0
.LBB310_329:                            ;   in Loop: Header=BB310_16 Depth=1
	s_or_b32 exec_lo, exec_lo, s27
.LBB310_330:                            ;   in Loop: Header=BB310_16 Depth=1
	s_or_b32 exec_lo, exec_lo, s26
.LBB310_331:                            ;   in Loop: Header=BB310_16 Depth=1
	s_or_b32 exec_lo, exec_lo, s25
	v_mov_b32_e32 v76, 0
	v_mov_b32_e32 v75, 0
	s_mov_b32 s25, exec_lo
	v_cmpx_lt_u64_e64 s[20:21], v[33:34]
	s_cbranch_execz .LBB310_339
; %bb.332:                              ;   in Loop: Header=BB310_16 Depth=1
	v_lshrrev_b32_e32 v7, 24, v34
	v_bfrev_b32_e32 v75, 1
	s_mov_b32 s26, exec_lo
	v_cmpx_ne_u32_e32 0x80, v7
	s_cbranch_execz .LBB310_338
; %bb.333:                              ;   in Loop: Header=BB310_16 Depth=1
	v_and_b32_e32 v2, 0x7f, v7
	v_mov_b32_e32 v75, 0x7c010000
	s_mov_b32 s27, exec_lo
	v_cmpx_ne_u32_e32 0x7f, v2
	s_cbranch_execz .LBB310_337
; %bb.334:                              ;   in Loop: Header=BB310_16 Depth=1
	v_and_b32_e32 v0, 7, v7
	v_lshrrev_b32_e32 v1, 3, v2
	s_mov_b32 s28, exec_lo
	v_cmpx_gt_u32_e32 8, v2
; %bb.335:                              ;   in Loop: Header=BB310_16 Depth=1
	v_ffbh_u32_e32 v0, v0
	v_min_u32_e32 v2, 32, v0
	v_subrev_nc_u32_e32 v0, 28, v2
	v_lshlrev_b64 v[0:1], v0, v[7:8]
	v_sub_nc_u32_e32 v1, 29, v2
	v_and_b32_e32 v0, 7, v0
; %bb.336:                              ;   in Loop: Header=BB310_16 Depth=1
	s_or_b32 exec_lo, exec_lo, s28
	v_lshlrev_b32_e32 v2, 8, v7
	v_lshl_add_u32 v1, v1, 10, 0x2000
	v_lshlrev_b32_e32 v0, 23, v0
	v_and_or_b32 v1, 0x8000, v2, v1
	v_lshl_or_b32 v75, v1, 16, v0
.LBB310_337:                            ;   in Loop: Header=BB310_16 Depth=1
	s_or_b32 exec_lo, exec_lo, s27
.LBB310_338:                            ;   in Loop: Header=BB310_16 Depth=1
	s_or_b32 exec_lo, exec_lo, s26
.LBB310_339:                            ;   in Loop: Header=BB310_16 Depth=1
	s_or_b32 exec_lo, exec_lo, s25
	flat_load_dwordx2 v[33:34], v[31:32] offset:1032
	s_waitcnt vmcnt(0) lgkmcnt(0)
	v_cmp_ne_u16_sdwa s5, v33, v8 src0_sel:BYTE_0 src1_sel:DWORD
	s_and_saveexec_b32 s25, s5
	s_cbranch_execz .LBB310_347
; %bb.340:                              ;   in Loop: Header=BB310_16 Depth=1
	v_cmp_ne_u16_sdwa s5, v33, v68 src0_sel:BYTE_0 src1_sel:DWORD
	v_mov_b32_e32 v76, 0x8000
	s_and_saveexec_b32 s26, s5
	s_cbranch_execz .LBB310_346
; %bb.341:                              ;   in Loop: Header=BB310_16 Depth=1
	v_and_b32_e32 v2, 0x7f, v33
	v_mov_b32_e32 v76, 0x7c01
	s_mov_b32 s27, exec_lo
	v_cmpx_ne_u32_e32 0x7f, v2
	s_cbranch_execz .LBB310_345
; %bb.342:                              ;   in Loop: Header=BB310_16 Depth=1
	v_and_b32_e32 v0, 7, v33
	v_lshrrev_b32_e32 v1, 3, v2
	s_mov_b32 s28, exec_lo
	v_cmpx_gt_u32_e32 8, v2
; %bb.343:                              ;   in Loop: Header=BB310_16 Depth=1
	v_ffbh_u32_e32 v0, v0
	v_min_u32_e32 v2, 32, v0
	v_subrev_nc_u32_e32 v0, 28, v2
	v_lshlrev_b64 v[0:1], v0, v[33:34]
	v_sub_nc_u32_e32 v1, 29, v2
	v_and_b32_e32 v0, 7, v0
; %bb.344:                              ;   in Loop: Header=BB310_16 Depth=1
	s_or_b32 exec_lo, exec_lo, s28
	v_lshlrev_b32_e32 v2, 8, v33
	v_lshl_add_u32 v1, v1, 10, 0x2000
	v_lshlrev_b32_e32 v0, 7, v0
	v_and_b32_e32 v2, 0x8000, v2
	v_and_b32_e32 v1, 0xfc00, v1
	v_or3_b32 v76, v2, v1, v0
.LBB310_345:                            ;   in Loop: Header=BB310_16 Depth=1
	s_or_b32 exec_lo, exec_lo, s27
.LBB310_346:                            ;   in Loop: Header=BB310_16 Depth=1
	s_or_b32 exec_lo, exec_lo, s26
.LBB310_347:                            ;   in Loop: Header=BB310_16 Depth=1
	s_or_b32 exec_lo, exec_lo, s25
	v_lshrrev_b16 v7, 8, v33
	v_mov_b32_e32 v78, 0
	v_mov_b32_e32 v77, 0
	s_mov_b32 s25, exec_lo
	v_cmpx_ne_u16_e32 0, v7
	s_cbranch_execz .LBB310_355
; %bb.348:                              ;   in Loop: Header=BB310_16 Depth=1
	v_bfrev_b32_e32 v77, 1
	s_mov_b32 s26, exec_lo
	v_cmpx_ne_u16_e32 0x80, v7
	s_cbranch_execz .LBB310_354
; %bb.349:                              ;   in Loop: Header=BB310_16 Depth=1
	v_mov_b32_e32 v0, 0x7f
	v_mov_b32_e32 v77, 0x7c010000
	s_mov_b32 s27, exec_lo
	v_and_b32_sdwa v2, v7, v0 dst_sel:DWORD dst_unused:UNUSED_PAD src0_sel:WORD_0 src1_sel:DWORD
	v_cmpx_ne_u32_e32 0x7f, v2
	s_cbranch_execz .LBB310_353
; %bb.350:                              ;   in Loop: Header=BB310_16 Depth=1
	v_mov_b32_e32 v0, 7
	v_lshrrev_b32_e32 v1, 3, v2
	s_mov_b32 s28, exec_lo
	v_and_b32_sdwa v0, v7, v0 dst_sel:DWORD dst_unused:UNUSED_PAD src0_sel:WORD_0 src1_sel:DWORD
	v_cmpx_gt_u32_e32 8, v2
; %bb.351:                              ;   in Loop: Header=BB310_16 Depth=1
	v_ffbh_u32_e32 v0, v0
	v_min_u32_e32 v2, 32, v0
	v_subrev_nc_u32_e32 v0, 28, v2
	v_lshlrev_b64 v[0:1], v0, v[7:8]
	v_sub_nc_u32_e32 v1, 29, v2
	v_and_b32_e32 v0, 7, v0
; %bb.352:                              ;   in Loop: Header=BB310_16 Depth=1
	s_or_b32 exec_lo, exec_lo, s28
	v_mov_b32_e32 v2, 8
	v_lshl_add_u32 v1, v1, 10, 0x2000
	v_lshlrev_b32_e32 v0, 23, v0
	v_lshlrev_b32_sdwa v2, v2, v7 dst_sel:DWORD dst_unused:UNUSED_PAD src0_sel:DWORD src1_sel:WORD_0
	v_and_or_b32 v1, 0x8000, v2, v1
	v_lshl_or_b32 v77, v1, 16, v0
.LBB310_353:                            ;   in Loop: Header=BB310_16 Depth=1
	s_or_b32 exec_lo, exec_lo, s27
.LBB310_354:                            ;   in Loop: Header=BB310_16 Depth=1
	s_or_b32 exec_lo, exec_lo, s26
.LBB310_355:                            ;   in Loop: Header=BB310_16 Depth=1
	s_or_b32 exec_lo, exec_lo, s25
	v_lshrrev_b32_e32 v7, 16, v33
	v_cmp_ne_u16_sdwa s5, v7, v8 src0_sel:BYTE_0 src1_sel:DWORD
	s_and_saveexec_b32 s25, s5
	s_cbranch_execz .LBB310_363
; %bb.356:                              ;   in Loop: Header=BB310_16 Depth=1
	v_cmp_ne_u16_sdwa s5, v7, v68 src0_sel:BYTE_0 src1_sel:DWORD
	v_mov_b32_e32 v78, 0x8000
	s_and_saveexec_b32 s26, s5
	s_cbranch_execz .LBB310_362
; %bb.357:                              ;   in Loop: Header=BB310_16 Depth=1
	v_bfe_u32 v2, v33, 16, 7
	v_mov_b32_e32 v78, 0x7c01
	s_mov_b32 s27, exec_lo
	v_cmpx_ne_u32_e32 0x7f, v2
	s_cbranch_execz .LBB310_361
; %bb.358:                              ;   in Loop: Header=BB310_16 Depth=1
	v_and_b32_e32 v0, 7, v7
	v_lshrrev_b32_e32 v1, 3, v2
	s_mov_b32 s28, exec_lo
	v_cmpx_gt_u32_e32 8, v2
; %bb.359:                              ;   in Loop: Header=BB310_16 Depth=1
	v_ffbh_u32_e32 v0, v0
	v_min_u32_e32 v2, 32, v0
	v_subrev_nc_u32_e32 v0, 28, v2
	v_lshlrev_b64 v[0:1], v0, v[7:8]
	v_sub_nc_u32_e32 v1, 29, v2
	v_and_b32_e32 v0, 7, v0
; %bb.360:                              ;   in Loop: Header=BB310_16 Depth=1
	s_or_b32 exec_lo, exec_lo, s28
	v_lshlrev_b32_e32 v2, 8, v7
	v_lshl_add_u32 v1, v1, 10, 0x2000
	v_lshlrev_b32_e32 v0, 7, v0
	v_and_b32_e32 v2, 0x8000, v2
	v_and_b32_e32 v1, 0xfc00, v1
	v_or3_b32 v78, v2, v1, v0
.LBB310_361:                            ;   in Loop: Header=BB310_16 Depth=1
	s_or_b32 exec_lo, exec_lo, s27
.LBB310_362:                            ;   in Loop: Header=BB310_16 Depth=1
	s_or_b32 exec_lo, exec_lo, s26
.LBB310_363:                            ;   in Loop: Header=BB310_16 Depth=1
	s_or_b32 exec_lo, exec_lo, s25
	v_mov_b32_e32 v79, 0
	v_mov_b32_e32 v88, 0
	s_mov_b32 s25, exec_lo
	v_cmpx_lt_u32_e32 0xffffff, v33
	s_cbranch_execz .LBB310_371
; %bb.364:                              ;   in Loop: Header=BB310_16 Depth=1
	v_lshrrev_b32_e32 v7, 24, v33
	v_bfrev_b32_e32 v88, 1
	s_mov_b32 s26, exec_lo
	v_cmpx_ne_u32_e32 0x80, v7
	s_cbranch_execz .LBB310_370
; %bb.365:                              ;   in Loop: Header=BB310_16 Depth=1
	v_and_b32_e32 v2, 0x7f, v7
	v_mov_b32_e32 v88, 0x7c010000
	s_mov_b32 s27, exec_lo
	v_cmpx_ne_u32_e32 0x7f, v2
	s_cbranch_execz .LBB310_369
; %bb.366:                              ;   in Loop: Header=BB310_16 Depth=1
	v_and_b32_e32 v0, 7, v7
	v_lshrrev_b32_e32 v1, 3, v2
	s_mov_b32 s28, exec_lo
	v_cmpx_gt_u32_e32 8, v2
; %bb.367:                              ;   in Loop: Header=BB310_16 Depth=1
	v_ffbh_u32_e32 v0, v0
	v_min_u32_e32 v2, 32, v0
	v_subrev_nc_u32_e32 v0, 28, v2
	v_lshlrev_b64 v[0:1], v0, v[7:8]
	v_sub_nc_u32_e32 v1, 29, v2
	v_and_b32_e32 v0, 7, v0
; %bb.368:                              ;   in Loop: Header=BB310_16 Depth=1
	s_or_b32 exec_lo, exec_lo, s28
	v_lshlrev_b32_e32 v2, 8, v7
	v_lshl_add_u32 v1, v1, 10, 0x2000
	v_lshlrev_b32_e32 v0, 23, v0
	v_and_or_b32 v1, 0x8000, v2, v1
	v_lshl_or_b32 v88, v1, 16, v0
.LBB310_369:                            ;   in Loop: Header=BB310_16 Depth=1
	s_or_b32 exec_lo, exec_lo, s27
.LBB310_370:                            ;   in Loop: Header=BB310_16 Depth=1
	s_or_b32 exec_lo, exec_lo, s26
.LBB310_371:                            ;   in Loop: Header=BB310_16 Depth=1
	s_or_b32 exec_lo, exec_lo, s25
	v_mov_b32_e32 v7, v34
	v_cmp_ne_u16_sdwa s5, v34, v8 src0_sel:BYTE_0 src1_sel:DWORD
	s_and_saveexec_b32 s25, s5
	s_cbranch_execz .LBB310_379
; %bb.372:                              ;   in Loop: Header=BB310_16 Depth=1
	v_cmp_ne_u16_sdwa s5, v34, v68 src0_sel:BYTE_0 src1_sel:DWORD
	v_mov_b32_e32 v79, 0x8000
	s_and_saveexec_b32 s26, s5
	s_cbranch_execz .LBB310_378
; %bb.373:                              ;   in Loop: Header=BB310_16 Depth=1
	v_and_b32_e32 v2, 0x7f, v34
	v_mov_b32_e32 v79, 0x7c01
	s_mov_b32 s27, exec_lo
	v_cmpx_ne_u32_e32 0x7f, v2
	s_cbranch_execz .LBB310_377
; %bb.374:                              ;   in Loop: Header=BB310_16 Depth=1
	v_and_b32_e32 v0, 7, v34
	v_lshrrev_b32_e32 v1, 3, v2
	s_mov_b32 s28, exec_lo
	v_cmpx_gt_u32_e32 8, v2
; %bb.375:                              ;   in Loop: Header=BB310_16 Depth=1
	v_ffbh_u32_e32 v0, v0
	v_min_u32_e32 v2, 32, v0
	v_subrev_nc_u32_e32 v0, 28, v2
	v_lshlrev_b64 v[0:1], v0, v[7:8]
	v_sub_nc_u32_e32 v1, 29, v2
	v_and_b32_e32 v0, 7, v0
; %bb.376:                              ;   in Loop: Header=BB310_16 Depth=1
	s_or_b32 exec_lo, exec_lo, s28
	v_lshlrev_b32_e32 v2, 8, v34
	v_lshl_add_u32 v1, v1, 10, 0x2000
	v_lshlrev_b32_e32 v0, 7, v0
	v_and_b32_e32 v2, 0x8000, v2
	v_and_b32_e32 v1, 0xfc00, v1
	v_or3_b32 v79, v2, v1, v0
.LBB310_377:                            ;   in Loop: Header=BB310_16 Depth=1
	s_or_b32 exec_lo, exec_lo, s27
.LBB310_378:                            ;   in Loop: Header=BB310_16 Depth=1
	s_or_b32 exec_lo, exec_lo, s26
.LBB310_379:                            ;   in Loop: Header=BB310_16 Depth=1
	s_or_b32 exec_lo, exec_lo, s25
	v_lshrrev_b16 v7, 8, v7
	v_mov_b32_e32 v89, 0
	v_mov_b32_e32 v90, 0
	s_mov_b32 s25, exec_lo
	v_cmpx_ne_u16_e32 0, v7
	s_cbranch_execz .LBB310_387
; %bb.380:                              ;   in Loop: Header=BB310_16 Depth=1
	v_bfrev_b32_e32 v90, 1
	s_mov_b32 s26, exec_lo
	v_cmpx_ne_u16_e32 0x80, v7
	s_cbranch_execz .LBB310_386
; %bb.381:                              ;   in Loop: Header=BB310_16 Depth=1
	v_mov_b32_e32 v0, 0x7f
	v_mov_b32_e32 v90, 0x7c010000
	s_mov_b32 s27, exec_lo
	v_and_b32_sdwa v2, v7, v0 dst_sel:DWORD dst_unused:UNUSED_PAD src0_sel:WORD_0 src1_sel:DWORD
	v_cmpx_ne_u32_e32 0x7f, v2
	s_cbranch_execz .LBB310_385
; %bb.382:                              ;   in Loop: Header=BB310_16 Depth=1
	v_mov_b32_e32 v0, 7
	v_lshrrev_b32_e32 v1, 3, v2
	s_mov_b32 s28, exec_lo
	v_and_b32_sdwa v0, v7, v0 dst_sel:DWORD dst_unused:UNUSED_PAD src0_sel:WORD_0 src1_sel:DWORD
	v_cmpx_gt_u32_e32 8, v2
; %bb.383:                              ;   in Loop: Header=BB310_16 Depth=1
	v_ffbh_u32_e32 v0, v0
	v_min_u32_e32 v2, 32, v0
	v_subrev_nc_u32_e32 v0, 28, v2
	v_lshlrev_b64 v[0:1], v0, v[7:8]
	v_sub_nc_u32_e32 v1, 29, v2
	v_and_b32_e32 v0, 7, v0
; %bb.384:                              ;   in Loop: Header=BB310_16 Depth=1
	s_or_b32 exec_lo, exec_lo, s28
	v_mov_b32_e32 v2, 8
	v_lshl_add_u32 v1, v1, 10, 0x2000
	v_lshlrev_b32_e32 v0, 23, v0
	v_lshlrev_b32_sdwa v2, v2, v7 dst_sel:DWORD dst_unused:UNUSED_PAD src0_sel:DWORD src1_sel:WORD_0
	v_and_or_b32 v1, 0x8000, v2, v1
	v_lshl_or_b32 v90, v1, 16, v0
.LBB310_385:                            ;   in Loop: Header=BB310_16 Depth=1
	s_or_b32 exec_lo, exec_lo, s27
.LBB310_386:                            ;   in Loop: Header=BB310_16 Depth=1
	s_or_b32 exec_lo, exec_lo, s26
.LBB310_387:                            ;   in Loop: Header=BB310_16 Depth=1
	s_or_b32 exec_lo, exec_lo, s25
	v_lshrrev_b32_e32 v7, 16, v34
	v_cmp_ne_u16_sdwa s5, v7, v8 src0_sel:BYTE_0 src1_sel:DWORD
	s_and_saveexec_b32 s25, s5
	s_cbranch_execz .LBB310_395
; %bb.388:                              ;   in Loop: Header=BB310_16 Depth=1
	v_cmp_ne_u16_sdwa s5, v7, v68 src0_sel:BYTE_0 src1_sel:DWORD
	v_mov_b32_e32 v89, 0x8000
	s_and_saveexec_b32 s26, s5
	s_cbranch_execz .LBB310_394
; %bb.389:                              ;   in Loop: Header=BB310_16 Depth=1
	v_bfe_u32 v2, v34, 16, 7
	v_mov_b32_e32 v89, 0x7c01
	s_mov_b32 s27, exec_lo
	v_cmpx_ne_u32_e32 0x7f, v2
	s_cbranch_execz .LBB310_393
; %bb.390:                              ;   in Loop: Header=BB310_16 Depth=1
	v_and_b32_e32 v0, 7, v7
	v_lshrrev_b32_e32 v1, 3, v2
	s_mov_b32 s28, exec_lo
	v_cmpx_gt_u32_e32 8, v2
; %bb.391:                              ;   in Loop: Header=BB310_16 Depth=1
	v_ffbh_u32_e32 v0, v0
	v_min_u32_e32 v2, 32, v0
	v_subrev_nc_u32_e32 v0, 28, v2
	v_lshlrev_b64 v[0:1], v0, v[7:8]
	v_sub_nc_u32_e32 v1, 29, v2
	v_and_b32_e32 v0, 7, v0
; %bb.392:                              ;   in Loop: Header=BB310_16 Depth=1
	s_or_b32 exec_lo, exec_lo, s28
	v_lshlrev_b32_e32 v2, 8, v7
	v_lshl_add_u32 v1, v1, 10, 0x2000
	v_lshlrev_b32_e32 v0, 7, v0
	v_and_b32_e32 v2, 0x8000, v2
	v_and_b32_e32 v1, 0xfc00, v1
	v_or3_b32 v89, v2, v1, v0
.LBB310_393:                            ;   in Loop: Header=BB310_16 Depth=1
	s_or_b32 exec_lo, exec_lo, s27
.LBB310_394:                            ;   in Loop: Header=BB310_16 Depth=1
	s_or_b32 exec_lo, exec_lo, s26
.LBB310_395:                            ;   in Loop: Header=BB310_16 Depth=1
	s_or_b32 exec_lo, exec_lo, s25
	v_mov_b32_e32 v27, 0
	v_mov_b32_e32 v91, 0
	s_mov_b32 s25, exec_lo
	v_cmpx_lt_u64_e64 s[20:21], v[33:34]
	s_cbranch_execz .LBB310_403
; %bb.396:                              ;   in Loop: Header=BB310_16 Depth=1
	v_lshrrev_b32_e32 v7, 24, v34
	v_bfrev_b32_e32 v91, 1
	s_mov_b32 s26, exec_lo
	v_cmpx_ne_u32_e32 0x80, v7
	s_cbranch_execz .LBB310_402
; %bb.397:                              ;   in Loop: Header=BB310_16 Depth=1
	v_and_b32_e32 v2, 0x7f, v7
	v_mov_b32_e32 v91, 0x7c010000
	s_mov_b32 s27, exec_lo
	v_cmpx_ne_u32_e32 0x7f, v2
	s_cbranch_execz .LBB310_401
; %bb.398:                              ;   in Loop: Header=BB310_16 Depth=1
	v_and_b32_e32 v0, 7, v7
	v_lshrrev_b32_e32 v1, 3, v2
	s_mov_b32 s28, exec_lo
	v_cmpx_gt_u32_e32 8, v2
; %bb.399:                              ;   in Loop: Header=BB310_16 Depth=1
	v_ffbh_u32_e32 v0, v0
	v_min_u32_e32 v2, 32, v0
	v_subrev_nc_u32_e32 v0, 28, v2
	v_lshlrev_b64 v[0:1], v0, v[7:8]
	v_sub_nc_u32_e32 v1, 29, v2
	v_and_b32_e32 v0, 7, v0
; %bb.400:                              ;   in Loop: Header=BB310_16 Depth=1
	s_or_b32 exec_lo, exec_lo, s28
	v_lshlrev_b32_e32 v2, 8, v7
	v_lshl_add_u32 v1, v1, 10, 0x2000
	v_lshlrev_b32_e32 v0, 23, v0
	v_and_or_b32 v1, 0x8000, v2, v1
	v_lshl_or_b32 v91, v1, 16, v0
.LBB310_401:                            ;   in Loop: Header=BB310_16 Depth=1
	s_or_b32 exec_lo, exec_lo, s27
.LBB310_402:                            ;   in Loop: Header=BB310_16 Depth=1
	s_or_b32 exec_lo, exec_lo, s26
.LBB310_403:                            ;   in Loop: Header=BB310_16 Depth=1
	s_or_b32 exec_lo, exec_lo, s25
	flat_load_dwordx2 v[33:34], v[31:32] offset:1536
	s_waitcnt vmcnt(0) lgkmcnt(0)
	v_cmp_ne_u16_sdwa s5, v33, v8 src0_sel:BYTE_0 src1_sel:DWORD
	s_and_saveexec_b32 s25, s5
	s_cbranch_execz .LBB310_411
; %bb.404:                              ;   in Loop: Header=BB310_16 Depth=1
	v_cmp_ne_u16_sdwa s5, v33, v68 src0_sel:BYTE_0 src1_sel:DWORD
	v_mov_b32_e32 v27, 0x8000
	s_and_saveexec_b32 s26, s5
	s_cbranch_execz .LBB310_410
; %bb.405:                              ;   in Loop: Header=BB310_16 Depth=1
	v_and_b32_e32 v2, 0x7f, v33
	v_mov_b32_e32 v27, 0x7c01
	s_mov_b32 s27, exec_lo
	v_cmpx_ne_u32_e32 0x7f, v2
	s_cbranch_execz .LBB310_409
; %bb.406:                              ;   in Loop: Header=BB310_16 Depth=1
	v_and_b32_e32 v0, 7, v33
	v_lshrrev_b32_e32 v1, 3, v2
	s_mov_b32 s28, exec_lo
	v_cmpx_gt_u32_e32 8, v2
; %bb.407:                              ;   in Loop: Header=BB310_16 Depth=1
	v_ffbh_u32_e32 v0, v0
	v_min_u32_e32 v2, 32, v0
	v_subrev_nc_u32_e32 v0, 28, v2
	v_lshlrev_b64 v[0:1], v0, v[33:34]
	v_sub_nc_u32_e32 v1, 29, v2
	v_and_b32_e32 v0, 7, v0
; %bb.408:                              ;   in Loop: Header=BB310_16 Depth=1
	s_or_b32 exec_lo, exec_lo, s28
	v_lshlrev_b32_e32 v2, 8, v33
	v_lshl_add_u32 v1, v1, 10, 0x2000
	v_lshlrev_b32_e32 v0, 7, v0
	v_and_b32_e32 v2, 0x8000, v2
	v_and_b32_e32 v1, 0xfc00, v1
	v_or3_b32 v27, v2, v1, v0
.LBB310_409:                            ;   in Loop: Header=BB310_16 Depth=1
	s_or_b32 exec_lo, exec_lo, s27
.LBB310_410:                            ;   in Loop: Header=BB310_16 Depth=1
	s_or_b32 exec_lo, exec_lo, s26
.LBB310_411:                            ;   in Loop: Header=BB310_16 Depth=1
	s_or_b32 exec_lo, exec_lo, s25
	v_lshrrev_b16 v7, 8, v33
	v_mov_b32_e32 v28, 0
	v_mov_b32_e32 v92, 0
	s_mov_b32 s25, exec_lo
	v_cmpx_ne_u16_e32 0, v7
	s_cbranch_execz .LBB310_419
; %bb.412:                              ;   in Loop: Header=BB310_16 Depth=1
	v_bfrev_b32_e32 v92, 1
	s_mov_b32 s26, exec_lo
	v_cmpx_ne_u16_e32 0x80, v7
	s_cbranch_execz .LBB310_418
; %bb.413:                              ;   in Loop: Header=BB310_16 Depth=1
	v_mov_b32_e32 v0, 0x7f
	v_mov_b32_e32 v92, 0x7c010000
	s_mov_b32 s27, exec_lo
	v_and_b32_sdwa v2, v7, v0 dst_sel:DWORD dst_unused:UNUSED_PAD src0_sel:WORD_0 src1_sel:DWORD
	v_cmpx_ne_u32_e32 0x7f, v2
	s_cbranch_execz .LBB310_417
; %bb.414:                              ;   in Loop: Header=BB310_16 Depth=1
	v_mov_b32_e32 v0, 7
	v_lshrrev_b32_e32 v1, 3, v2
	s_mov_b32 s28, exec_lo
	v_and_b32_sdwa v0, v7, v0 dst_sel:DWORD dst_unused:UNUSED_PAD src0_sel:WORD_0 src1_sel:DWORD
	v_cmpx_gt_u32_e32 8, v2
; %bb.415:                              ;   in Loop: Header=BB310_16 Depth=1
	v_ffbh_u32_e32 v0, v0
	v_min_u32_e32 v2, 32, v0
	v_subrev_nc_u32_e32 v0, 28, v2
	v_lshlrev_b64 v[0:1], v0, v[7:8]
	v_sub_nc_u32_e32 v1, 29, v2
	v_and_b32_e32 v0, 7, v0
; %bb.416:                              ;   in Loop: Header=BB310_16 Depth=1
	s_or_b32 exec_lo, exec_lo, s28
	v_mov_b32_e32 v2, 8
	v_lshl_add_u32 v1, v1, 10, 0x2000
	v_lshlrev_b32_e32 v0, 23, v0
	v_lshlrev_b32_sdwa v2, v2, v7 dst_sel:DWORD dst_unused:UNUSED_PAD src0_sel:DWORD src1_sel:WORD_0
	v_and_or_b32 v1, 0x8000, v2, v1
	v_lshl_or_b32 v92, v1, 16, v0
.LBB310_417:                            ;   in Loop: Header=BB310_16 Depth=1
	s_or_b32 exec_lo, exec_lo, s27
.LBB310_418:                            ;   in Loop: Header=BB310_16 Depth=1
	s_or_b32 exec_lo, exec_lo, s26
.LBB310_419:                            ;   in Loop: Header=BB310_16 Depth=1
	s_or_b32 exec_lo, exec_lo, s25
	v_lshrrev_b32_e32 v7, 16, v33
	v_cmp_ne_u16_sdwa s5, v7, v8 src0_sel:BYTE_0 src1_sel:DWORD
	s_and_saveexec_b32 s25, s5
	s_cbranch_execz .LBB310_427
; %bb.420:                              ;   in Loop: Header=BB310_16 Depth=1
	v_cmp_ne_u16_sdwa s5, v7, v68 src0_sel:BYTE_0 src1_sel:DWORD
	v_mov_b32_e32 v28, 0x8000
	s_and_saveexec_b32 s26, s5
	s_cbranch_execz .LBB310_426
; %bb.421:                              ;   in Loop: Header=BB310_16 Depth=1
	v_bfe_u32 v2, v33, 16, 7
	v_mov_b32_e32 v28, 0x7c01
	s_mov_b32 s27, exec_lo
	v_cmpx_ne_u32_e32 0x7f, v2
	s_cbranch_execz .LBB310_425
; %bb.422:                              ;   in Loop: Header=BB310_16 Depth=1
	v_and_b32_e32 v0, 7, v7
	v_lshrrev_b32_e32 v1, 3, v2
	s_mov_b32 s28, exec_lo
	v_cmpx_gt_u32_e32 8, v2
; %bb.423:                              ;   in Loop: Header=BB310_16 Depth=1
	v_ffbh_u32_e32 v0, v0
	v_min_u32_e32 v2, 32, v0
	v_subrev_nc_u32_e32 v0, 28, v2
	v_lshlrev_b64 v[0:1], v0, v[7:8]
	v_sub_nc_u32_e32 v1, 29, v2
	v_and_b32_e32 v0, 7, v0
; %bb.424:                              ;   in Loop: Header=BB310_16 Depth=1
	s_or_b32 exec_lo, exec_lo, s28
	v_lshlrev_b32_e32 v2, 8, v7
	v_lshl_add_u32 v1, v1, 10, 0x2000
	v_lshlrev_b32_e32 v0, 7, v0
	v_and_b32_e32 v2, 0x8000, v2
	v_and_b32_e32 v1, 0xfc00, v1
	v_or3_b32 v28, v2, v1, v0
.LBB310_425:                            ;   in Loop: Header=BB310_16 Depth=1
	s_or_b32 exec_lo, exec_lo, s27
.LBB310_426:                            ;   in Loop: Header=BB310_16 Depth=1
	s_or_b32 exec_lo, exec_lo, s26
.LBB310_427:                            ;   in Loop: Header=BB310_16 Depth=1
	s_or_b32 exec_lo, exec_lo, s25
	v_mov_b32_e32 v105, 0
	v_mov_b32_e32 v106, 0
	s_mov_b32 s25, exec_lo
	v_cmpx_lt_u32_e32 0xffffff, v33
	s_cbranch_execz .LBB310_435
; %bb.428:                              ;   in Loop: Header=BB310_16 Depth=1
	v_lshrrev_b32_e32 v7, 24, v33
	v_bfrev_b32_e32 v106, 1
	s_mov_b32 s26, exec_lo
	v_cmpx_ne_u32_e32 0x80, v7
	s_cbranch_execz .LBB310_434
; %bb.429:                              ;   in Loop: Header=BB310_16 Depth=1
	v_and_b32_e32 v2, 0x7f, v7
	v_mov_b32_e32 v106, 0x7c010000
	s_mov_b32 s27, exec_lo
	v_cmpx_ne_u32_e32 0x7f, v2
	s_cbranch_execz .LBB310_433
; %bb.430:                              ;   in Loop: Header=BB310_16 Depth=1
	v_and_b32_e32 v0, 7, v7
	v_lshrrev_b32_e32 v1, 3, v2
	s_mov_b32 s28, exec_lo
	v_cmpx_gt_u32_e32 8, v2
; %bb.431:                              ;   in Loop: Header=BB310_16 Depth=1
	v_ffbh_u32_e32 v0, v0
	v_min_u32_e32 v2, 32, v0
	v_subrev_nc_u32_e32 v0, 28, v2
	v_lshlrev_b64 v[0:1], v0, v[7:8]
	v_sub_nc_u32_e32 v1, 29, v2
	v_and_b32_e32 v0, 7, v0
; %bb.432:                              ;   in Loop: Header=BB310_16 Depth=1
	s_or_b32 exec_lo, exec_lo, s28
	v_lshlrev_b32_e32 v2, 8, v7
	v_lshl_add_u32 v1, v1, 10, 0x2000
	v_lshlrev_b32_e32 v0, 23, v0
	v_and_or_b32 v1, 0x8000, v2, v1
	v_lshl_or_b32 v106, v1, 16, v0
.LBB310_433:                            ;   in Loop: Header=BB310_16 Depth=1
	s_or_b32 exec_lo, exec_lo, s27
.LBB310_434:                            ;   in Loop: Header=BB310_16 Depth=1
	s_or_b32 exec_lo, exec_lo, s26
.LBB310_435:                            ;   in Loop: Header=BB310_16 Depth=1
	s_or_b32 exec_lo, exec_lo, s25
	v_mov_b32_e32 v7, v34
	v_cmp_ne_u16_sdwa s5, v34, v8 src0_sel:BYTE_0 src1_sel:DWORD
	s_and_saveexec_b32 s25, s5
	s_cbranch_execz .LBB310_443
; %bb.436:                              ;   in Loop: Header=BB310_16 Depth=1
	v_cmp_ne_u16_sdwa s5, v34, v68 src0_sel:BYTE_0 src1_sel:DWORD
	v_mov_b32_e32 v105, 0x8000
	s_and_saveexec_b32 s26, s5
	s_cbranch_execz .LBB310_442
; %bb.437:                              ;   in Loop: Header=BB310_16 Depth=1
	v_and_b32_e32 v2, 0x7f, v34
	v_mov_b32_e32 v105, 0x7c01
	s_mov_b32 s27, exec_lo
	v_cmpx_ne_u32_e32 0x7f, v2
	s_cbranch_execz .LBB310_441
; %bb.438:                              ;   in Loop: Header=BB310_16 Depth=1
	v_and_b32_e32 v0, 7, v34
	v_lshrrev_b32_e32 v1, 3, v2
	s_mov_b32 s28, exec_lo
	v_cmpx_gt_u32_e32 8, v2
; %bb.439:                              ;   in Loop: Header=BB310_16 Depth=1
	v_ffbh_u32_e32 v0, v0
	v_min_u32_e32 v2, 32, v0
	v_subrev_nc_u32_e32 v0, 28, v2
	v_lshlrev_b64 v[0:1], v0, v[7:8]
	v_sub_nc_u32_e32 v1, 29, v2
	v_and_b32_e32 v0, 7, v0
; %bb.440:                              ;   in Loop: Header=BB310_16 Depth=1
	s_or_b32 exec_lo, exec_lo, s28
	v_lshlrev_b32_e32 v2, 8, v34
	v_lshl_add_u32 v1, v1, 10, 0x2000
	v_lshlrev_b32_e32 v0, 7, v0
	v_and_b32_e32 v2, 0x8000, v2
	v_and_b32_e32 v1, 0xfc00, v1
	v_or3_b32 v105, v2, v1, v0
.LBB310_441:                            ;   in Loop: Header=BB310_16 Depth=1
	s_or_b32 exec_lo, exec_lo, s27
.LBB310_442:                            ;   in Loop: Header=BB310_16 Depth=1
	s_or_b32 exec_lo, exec_lo, s26
.LBB310_443:                            ;   in Loop: Header=BB310_16 Depth=1
	s_or_b32 exec_lo, exec_lo, s25
	v_lshrrev_b16 v7, 8, v7
	v_mov_b32_e32 v108, 0
	v_mov_b32_e32 v109, 0
	s_mov_b32 s25, exec_lo
	v_cmpx_ne_u16_e32 0, v7
	s_cbranch_execz .LBB310_451
; %bb.444:                              ;   in Loop: Header=BB310_16 Depth=1
	v_bfrev_b32_e32 v109, 1
	s_mov_b32 s26, exec_lo
	v_cmpx_ne_u16_e32 0x80, v7
	s_cbranch_execz .LBB310_450
; %bb.445:                              ;   in Loop: Header=BB310_16 Depth=1
	v_mov_b32_e32 v0, 0x7f
	v_mov_b32_e32 v109, 0x7c010000
	s_mov_b32 s27, exec_lo
	v_and_b32_sdwa v2, v7, v0 dst_sel:DWORD dst_unused:UNUSED_PAD src0_sel:WORD_0 src1_sel:DWORD
	v_cmpx_ne_u32_e32 0x7f, v2
	s_cbranch_execz .LBB310_449
; %bb.446:                              ;   in Loop: Header=BB310_16 Depth=1
	v_mov_b32_e32 v0, 7
	v_lshrrev_b32_e32 v1, 3, v2
	s_mov_b32 s28, exec_lo
	v_and_b32_sdwa v0, v7, v0 dst_sel:DWORD dst_unused:UNUSED_PAD src0_sel:WORD_0 src1_sel:DWORD
	v_cmpx_gt_u32_e32 8, v2
; %bb.447:                              ;   in Loop: Header=BB310_16 Depth=1
	v_ffbh_u32_e32 v0, v0
	v_min_u32_e32 v2, 32, v0
	v_subrev_nc_u32_e32 v0, 28, v2
	v_lshlrev_b64 v[0:1], v0, v[7:8]
	v_sub_nc_u32_e32 v1, 29, v2
	v_and_b32_e32 v0, 7, v0
; %bb.448:                              ;   in Loop: Header=BB310_16 Depth=1
	s_or_b32 exec_lo, exec_lo, s28
	v_mov_b32_e32 v2, 8
	v_lshl_add_u32 v1, v1, 10, 0x2000
	v_lshlrev_b32_e32 v0, 23, v0
	v_lshlrev_b32_sdwa v2, v2, v7 dst_sel:DWORD dst_unused:UNUSED_PAD src0_sel:DWORD src1_sel:WORD_0
	v_and_or_b32 v1, 0x8000, v2, v1
	v_lshl_or_b32 v109, v1, 16, v0
.LBB310_449:                            ;   in Loop: Header=BB310_16 Depth=1
	s_or_b32 exec_lo, exec_lo, s27
.LBB310_450:                            ;   in Loop: Header=BB310_16 Depth=1
	s_or_b32 exec_lo, exec_lo, s26
.LBB310_451:                            ;   in Loop: Header=BB310_16 Depth=1
	s_or_b32 exec_lo, exec_lo, s25
	v_lshrrev_b32_e32 v7, 16, v34
	v_cmp_ne_u16_sdwa s5, v7, v8 src0_sel:BYTE_0 src1_sel:DWORD
	s_and_saveexec_b32 s25, s5
	s_cbranch_execz .LBB310_459
; %bb.452:                              ;   in Loop: Header=BB310_16 Depth=1
	v_cmp_ne_u16_sdwa s5, v7, v68 src0_sel:BYTE_0 src1_sel:DWORD
	v_mov_b32_e32 v108, 0x8000
	s_and_saveexec_b32 s26, s5
	s_cbranch_execz .LBB310_458
; %bb.453:                              ;   in Loop: Header=BB310_16 Depth=1
	v_bfe_u32 v2, v34, 16, 7
	v_mov_b32_e32 v108, 0x7c01
	s_mov_b32 s27, exec_lo
	v_cmpx_ne_u32_e32 0x7f, v2
	s_cbranch_execz .LBB310_457
; %bb.454:                              ;   in Loop: Header=BB310_16 Depth=1
	v_and_b32_e32 v0, 7, v7
	v_lshrrev_b32_e32 v1, 3, v2
	s_mov_b32 s28, exec_lo
	v_cmpx_gt_u32_e32 8, v2
; %bb.455:                              ;   in Loop: Header=BB310_16 Depth=1
	v_ffbh_u32_e32 v0, v0
	v_min_u32_e32 v2, 32, v0
	v_subrev_nc_u32_e32 v0, 28, v2
	v_lshlrev_b64 v[0:1], v0, v[7:8]
	v_sub_nc_u32_e32 v1, 29, v2
	v_and_b32_e32 v0, 7, v0
; %bb.456:                              ;   in Loop: Header=BB310_16 Depth=1
	s_or_b32 exec_lo, exec_lo, s28
	v_lshlrev_b32_e32 v2, 8, v7
	v_lshl_add_u32 v1, v1, 10, 0x2000
	v_lshlrev_b32_e32 v0, 7, v0
	v_and_b32_e32 v2, 0x8000, v2
	v_and_b32_e32 v1, 0xfc00, v1
	v_or3_b32 v108, v2, v1, v0
.LBB310_457:                            ;   in Loop: Header=BB310_16 Depth=1
	s_or_b32 exec_lo, exec_lo, s27
.LBB310_458:                            ;   in Loop: Header=BB310_16 Depth=1
	s_or_b32 exec_lo, exec_lo, s26
.LBB310_459:                            ;   in Loop: Header=BB310_16 Depth=1
	s_or_b32 exec_lo, exec_lo, s25
	v_mov_b32_e32 v112, 0
	v_mov_b32_e32 v123, 0
	s_mov_b32 s25, exec_lo
	v_cmpx_lt_u64_e64 s[20:21], v[33:34]
	s_cbranch_execz .LBB310_467
; %bb.460:                              ;   in Loop: Header=BB310_16 Depth=1
	v_lshrrev_b32_e32 v7, 24, v34
	v_bfrev_b32_e32 v123, 1
	s_mov_b32 s26, exec_lo
	v_cmpx_ne_u32_e32 0x80, v7
	s_cbranch_execz .LBB310_466
; %bb.461:                              ;   in Loop: Header=BB310_16 Depth=1
	v_and_b32_e32 v2, 0x7f, v7
	v_mov_b32_e32 v123, 0x7c010000
	s_mov_b32 s27, exec_lo
	v_cmpx_ne_u32_e32 0x7f, v2
	s_cbranch_execz .LBB310_465
; %bb.462:                              ;   in Loop: Header=BB310_16 Depth=1
	v_and_b32_e32 v0, 7, v7
	v_lshrrev_b32_e32 v1, 3, v2
	s_mov_b32 s28, exec_lo
	v_cmpx_gt_u32_e32 8, v2
; %bb.463:                              ;   in Loop: Header=BB310_16 Depth=1
	v_ffbh_u32_e32 v0, v0
	v_min_u32_e32 v2, 32, v0
	v_subrev_nc_u32_e32 v0, 28, v2
	v_lshlrev_b64 v[0:1], v0, v[7:8]
	v_sub_nc_u32_e32 v1, 29, v2
	v_and_b32_e32 v0, 7, v0
; %bb.464:                              ;   in Loop: Header=BB310_16 Depth=1
	s_or_b32 exec_lo, exec_lo, s28
	v_lshlrev_b32_e32 v2, 8, v7
	v_lshl_add_u32 v1, v1, 10, 0x2000
	v_lshlrev_b32_e32 v0, 23, v0
	v_and_or_b32 v1, 0x8000, v2, v1
	v_lshl_or_b32 v123, v1, 16, v0
.LBB310_465:                            ;   in Loop: Header=BB310_16 Depth=1
	s_or_b32 exec_lo, exec_lo, s27
.LBB310_466:                            ;   in Loop: Header=BB310_16 Depth=1
	s_or_b32 exec_lo, exec_lo, s26
.LBB310_467:                            ;   in Loop: Header=BB310_16 Depth=1
	s_or_b32 exec_lo, exec_lo, s25
	flat_load_dwordx2 v[33:34], v[31:32] offset:1544
	s_waitcnt vmcnt(0) lgkmcnt(0)
	v_cmp_ne_u16_sdwa s5, v33, v8 src0_sel:BYTE_0 src1_sel:DWORD
	s_and_saveexec_b32 s25, s5
	s_cbranch_execz .LBB310_475
; %bb.468:                              ;   in Loop: Header=BB310_16 Depth=1
	v_cmp_ne_u16_sdwa s5, v33, v68 src0_sel:BYTE_0 src1_sel:DWORD
	v_mov_b32_e32 v112, 0x8000
	s_and_saveexec_b32 s26, s5
	s_cbranch_execz .LBB310_474
; %bb.469:                              ;   in Loop: Header=BB310_16 Depth=1
	v_and_b32_e32 v2, 0x7f, v33
	v_mov_b32_e32 v112, 0x7c01
	s_mov_b32 s27, exec_lo
	v_cmpx_ne_u32_e32 0x7f, v2
	s_cbranch_execz .LBB310_473
; %bb.470:                              ;   in Loop: Header=BB310_16 Depth=1
	v_and_b32_e32 v0, 7, v33
	v_lshrrev_b32_e32 v1, 3, v2
	s_mov_b32 s28, exec_lo
	v_cmpx_gt_u32_e32 8, v2
; %bb.471:                              ;   in Loop: Header=BB310_16 Depth=1
	v_ffbh_u32_e32 v0, v0
	v_min_u32_e32 v2, 32, v0
	v_subrev_nc_u32_e32 v0, 28, v2
	v_lshlrev_b64 v[0:1], v0, v[33:34]
	v_sub_nc_u32_e32 v1, 29, v2
	v_and_b32_e32 v0, 7, v0
; %bb.472:                              ;   in Loop: Header=BB310_16 Depth=1
	s_or_b32 exec_lo, exec_lo, s28
	v_lshlrev_b32_e32 v2, 8, v33
	v_lshl_add_u32 v1, v1, 10, 0x2000
	v_lshlrev_b32_e32 v0, 7, v0
	v_and_b32_e32 v2, 0x8000, v2
	v_and_b32_e32 v1, 0xfc00, v1
	v_or3_b32 v112, v2, v1, v0
.LBB310_473:                            ;   in Loop: Header=BB310_16 Depth=1
	s_or_b32 exec_lo, exec_lo, s27
.LBB310_474:                            ;   in Loop: Header=BB310_16 Depth=1
	s_or_b32 exec_lo, exec_lo, s26
.LBB310_475:                            ;   in Loop: Header=BB310_16 Depth=1
	s_or_b32 exec_lo, exec_lo, s25
	v_lshrrev_b16 v7, 8, v33
	v_mov_b32_e32 v23, 0
	v_mov_b32_e32 v127, 0
	s_mov_b32 s25, exec_lo
	v_cmpx_ne_u16_e32 0, v7
	s_cbranch_execz .LBB310_483
; %bb.476:                              ;   in Loop: Header=BB310_16 Depth=1
	v_bfrev_b32_e32 v127, 1
	s_mov_b32 s26, exec_lo
	v_cmpx_ne_u16_e32 0x80, v7
	s_cbranch_execz .LBB310_482
; %bb.477:                              ;   in Loop: Header=BB310_16 Depth=1
	v_mov_b32_e32 v0, 0x7f
	v_mov_b32_e32 v127, 0x7c010000
	s_mov_b32 s27, exec_lo
	v_and_b32_sdwa v2, v7, v0 dst_sel:DWORD dst_unused:UNUSED_PAD src0_sel:WORD_0 src1_sel:DWORD
	v_cmpx_ne_u32_e32 0x7f, v2
	s_cbranch_execz .LBB310_481
; %bb.478:                              ;   in Loop: Header=BB310_16 Depth=1
	v_mov_b32_e32 v0, 7
	v_lshrrev_b32_e32 v1, 3, v2
	s_mov_b32 s28, exec_lo
	v_and_b32_sdwa v0, v7, v0 dst_sel:DWORD dst_unused:UNUSED_PAD src0_sel:WORD_0 src1_sel:DWORD
	v_cmpx_gt_u32_e32 8, v2
; %bb.479:                              ;   in Loop: Header=BB310_16 Depth=1
	v_ffbh_u32_e32 v0, v0
	v_min_u32_e32 v2, 32, v0
	v_subrev_nc_u32_e32 v0, 28, v2
	v_lshlrev_b64 v[0:1], v0, v[7:8]
	v_sub_nc_u32_e32 v1, 29, v2
	v_and_b32_e32 v0, 7, v0
; %bb.480:                              ;   in Loop: Header=BB310_16 Depth=1
	s_or_b32 exec_lo, exec_lo, s28
	v_mov_b32_e32 v2, 8
	v_lshl_add_u32 v1, v1, 10, 0x2000
	v_lshlrev_b32_e32 v0, 23, v0
	v_lshlrev_b32_sdwa v2, v2, v7 dst_sel:DWORD dst_unused:UNUSED_PAD src0_sel:DWORD src1_sel:WORD_0
	v_and_or_b32 v1, 0x8000, v2, v1
	v_lshl_or_b32 v127, v1, 16, v0
.LBB310_481:                            ;   in Loop: Header=BB310_16 Depth=1
	s_or_b32 exec_lo, exec_lo, s27
.LBB310_482:                            ;   in Loop: Header=BB310_16 Depth=1
	s_or_b32 exec_lo, exec_lo, s26
.LBB310_483:                            ;   in Loop: Header=BB310_16 Depth=1
	s_or_b32 exec_lo, exec_lo, s25
	v_lshrrev_b32_e32 v7, 16, v33
	v_cmp_ne_u16_sdwa s5, v7, v8 src0_sel:BYTE_0 src1_sel:DWORD
	s_and_saveexec_b32 s25, s5
	s_cbranch_execz .LBB310_491
; %bb.484:                              ;   in Loop: Header=BB310_16 Depth=1
	v_cmp_ne_u16_sdwa s5, v7, v68 src0_sel:BYTE_0 src1_sel:DWORD
	v_mov_b32_e32 v23, 0x8000
	s_and_saveexec_b32 s26, s5
	s_cbranch_execz .LBB310_490
; %bb.485:                              ;   in Loop: Header=BB310_16 Depth=1
	v_bfe_u32 v2, v33, 16, 7
	v_mov_b32_e32 v23, 0x7c01
	s_mov_b32 s27, exec_lo
	v_cmpx_ne_u32_e32 0x7f, v2
	s_cbranch_execz .LBB310_489
; %bb.486:                              ;   in Loop: Header=BB310_16 Depth=1
	v_and_b32_e32 v0, 7, v7
	v_lshrrev_b32_e32 v1, 3, v2
	s_mov_b32 s28, exec_lo
	v_cmpx_gt_u32_e32 8, v2
; %bb.487:                              ;   in Loop: Header=BB310_16 Depth=1
	v_ffbh_u32_e32 v0, v0
	v_min_u32_e32 v2, 32, v0
	v_subrev_nc_u32_e32 v0, 28, v2
	v_lshlrev_b64 v[0:1], v0, v[7:8]
	v_sub_nc_u32_e32 v1, 29, v2
	v_and_b32_e32 v0, 7, v0
; %bb.488:                              ;   in Loop: Header=BB310_16 Depth=1
	s_or_b32 exec_lo, exec_lo, s28
	v_lshlrev_b32_e32 v2, 8, v7
	v_lshl_add_u32 v1, v1, 10, 0x2000
	v_lshlrev_b32_e32 v0, 7, v0
	v_and_b32_e32 v2, 0x8000, v2
	v_and_b32_e32 v1, 0xfc00, v1
	v_or3_b32 v23, v2, v1, v0
.LBB310_489:                            ;   in Loop: Header=BB310_16 Depth=1
	s_or_b32 exec_lo, exec_lo, s27
.LBB310_490:                            ;   in Loop: Header=BB310_16 Depth=1
	s_or_b32 exec_lo, exec_lo, s26
.LBB310_491:                            ;   in Loop: Header=BB310_16 Depth=1
	s_or_b32 exec_lo, exec_lo, s25
	v_mov_b32_e32 v11, 0
	v_mov_b32_e32 v10, 0
	s_mov_b32 s25, exec_lo
	v_cmpx_lt_u32_e32 0xffffff, v33
	s_cbranch_execz .LBB310_499
; %bb.492:                              ;   in Loop: Header=BB310_16 Depth=1
	v_lshrrev_b32_e32 v7, 24, v33
	v_bfrev_b32_e32 v10, 1
	s_mov_b32 s26, exec_lo
	v_cmpx_ne_u32_e32 0x80, v7
	s_cbranch_execz .LBB310_498
; %bb.493:                              ;   in Loop: Header=BB310_16 Depth=1
	v_and_b32_e32 v2, 0x7f, v7
	v_mov_b32_e32 v10, 0x7c010000
	s_mov_b32 s27, exec_lo
	v_cmpx_ne_u32_e32 0x7f, v2
	s_cbranch_execz .LBB310_497
; %bb.494:                              ;   in Loop: Header=BB310_16 Depth=1
	v_and_b32_e32 v0, 7, v7
	v_lshrrev_b32_e32 v1, 3, v2
	s_mov_b32 s28, exec_lo
	v_cmpx_gt_u32_e32 8, v2
; %bb.495:                              ;   in Loop: Header=BB310_16 Depth=1
	v_ffbh_u32_e32 v0, v0
	v_min_u32_e32 v2, 32, v0
	v_subrev_nc_u32_e32 v0, 28, v2
	v_lshlrev_b64 v[0:1], v0, v[7:8]
	v_sub_nc_u32_e32 v1, 29, v2
	v_and_b32_e32 v0, 7, v0
; %bb.496:                              ;   in Loop: Header=BB310_16 Depth=1
	s_or_b32 exec_lo, exec_lo, s28
	v_lshlrev_b32_e32 v2, 8, v7
	v_lshl_add_u32 v1, v1, 10, 0x2000
	v_lshlrev_b32_e32 v0, 23, v0
	v_and_or_b32 v1, 0x8000, v2, v1
	v_lshl_or_b32 v10, v1, 16, v0
.LBB310_497:                            ;   in Loop: Header=BB310_16 Depth=1
	s_or_b32 exec_lo, exec_lo, s27
.LBB310_498:                            ;   in Loop: Header=BB310_16 Depth=1
	s_or_b32 exec_lo, exec_lo, s26
.LBB310_499:                            ;   in Loop: Header=BB310_16 Depth=1
	s_or_b32 exec_lo, exec_lo, s25
	v_mov_b32_e32 v7, v34
	v_cmp_ne_u16_sdwa s5, v34, v8 src0_sel:BYTE_0 src1_sel:DWORD
	s_and_saveexec_b32 s25, s5
	s_cbranch_execz .LBB310_507
; %bb.500:                              ;   in Loop: Header=BB310_16 Depth=1
	v_cmp_ne_u16_sdwa s5, v34, v68 src0_sel:BYTE_0 src1_sel:DWORD
	v_mov_b32_e32 v11, 0x8000
	s_and_saveexec_b32 s26, s5
	s_cbranch_execz .LBB310_506
; %bb.501:                              ;   in Loop: Header=BB310_16 Depth=1
	v_and_b32_e32 v2, 0x7f, v34
	v_mov_b32_e32 v11, 0x7c01
	s_mov_b32 s27, exec_lo
	v_cmpx_ne_u32_e32 0x7f, v2
	s_cbranch_execz .LBB310_505
; %bb.502:                              ;   in Loop: Header=BB310_16 Depth=1
	v_and_b32_e32 v0, 7, v34
	v_lshrrev_b32_e32 v1, 3, v2
	s_mov_b32 s28, exec_lo
	v_cmpx_gt_u32_e32 8, v2
; %bb.503:                              ;   in Loop: Header=BB310_16 Depth=1
	v_ffbh_u32_e32 v0, v0
	v_min_u32_e32 v2, 32, v0
	v_subrev_nc_u32_e32 v0, 28, v2
	v_lshlrev_b64 v[0:1], v0, v[7:8]
	v_sub_nc_u32_e32 v1, 29, v2
	v_and_b32_e32 v0, 7, v0
; %bb.504:                              ;   in Loop: Header=BB310_16 Depth=1
	s_or_b32 exec_lo, exec_lo, s28
	v_lshlrev_b32_e32 v2, 8, v34
	v_lshl_add_u32 v1, v1, 10, 0x2000
	v_lshlrev_b32_e32 v0, 7, v0
	v_and_b32_e32 v2, 0x8000, v2
	v_and_b32_e32 v1, 0xfc00, v1
	v_or3_b32 v11, v2, v1, v0
.LBB310_505:                            ;   in Loop: Header=BB310_16 Depth=1
	s_or_b32 exec_lo, exec_lo, s27
.LBB310_506:                            ;   in Loop: Header=BB310_16 Depth=1
	s_or_b32 exec_lo, exec_lo, s26
.LBB310_507:                            ;   in Loop: Header=BB310_16 Depth=1
	s_or_b32 exec_lo, exec_lo, s25
	v_lshrrev_b16 v7, 8, v7
	v_mov_b32_e32 v3, 0
	v_mov_b32_e32 v2, 0
	s_mov_b32 s25, exec_lo
	v_cmpx_ne_u16_e32 0, v7
	s_cbranch_execz .LBB310_515
; %bb.508:                              ;   in Loop: Header=BB310_16 Depth=1
	v_bfrev_b32_e32 v2, 1
	s_mov_b32 s26, exec_lo
	v_cmpx_ne_u16_e32 0x80, v7
	s_cbranch_execz .LBB310_514
; %bb.509:                              ;   in Loop: Header=BB310_16 Depth=1
	v_mov_b32_e32 v0, 0x7f
	v_mov_b32_e32 v2, 0x7c010000
	s_mov_b32 s27, exec_lo
	v_and_b32_sdwa v4, v7, v0 dst_sel:DWORD dst_unused:UNUSED_PAD src0_sel:WORD_0 src1_sel:DWORD
	v_cmpx_ne_u32_e32 0x7f, v4
	s_cbranch_execz .LBB310_513
; %bb.510:                              ;   in Loop: Header=BB310_16 Depth=1
	v_mov_b32_e32 v0, 7
	v_lshrrev_b32_e32 v1, 3, v4
	s_mov_b32 s28, exec_lo
	v_and_b32_sdwa v0, v7, v0 dst_sel:DWORD dst_unused:UNUSED_PAD src0_sel:WORD_0 src1_sel:DWORD
	v_cmpx_gt_u32_e32 8, v4
; %bb.511:                              ;   in Loop: Header=BB310_16 Depth=1
	v_ffbh_u32_e32 v0, v0
	v_min_u32_e32 v2, 32, v0
	v_subrev_nc_u32_e32 v0, 28, v2
	v_lshlrev_b64 v[0:1], v0, v[7:8]
	v_sub_nc_u32_e32 v1, 29, v2
	v_and_b32_e32 v0, 7, v0
; %bb.512:                              ;   in Loop: Header=BB310_16 Depth=1
	s_or_b32 exec_lo, exec_lo, s28
	v_mov_b32_e32 v2, 8
	v_lshl_add_u32 v1, v1, 10, 0x2000
	v_lshlrev_b32_e32 v0, 23, v0
	v_lshlrev_b32_sdwa v2, v2, v7 dst_sel:DWORD dst_unused:UNUSED_PAD src0_sel:DWORD src1_sel:WORD_0
	v_and_or_b32 v1, 0x8000, v2, v1
	v_lshl_or_b32 v2, v1, 16, v0
.LBB310_513:                            ;   in Loop: Header=BB310_16 Depth=1
	s_or_b32 exec_lo, exec_lo, s27
.LBB310_514:                            ;   in Loop: Header=BB310_16 Depth=1
	s_or_b32 exec_lo, exec_lo, s26
.LBB310_515:                            ;   in Loop: Header=BB310_16 Depth=1
	s_or_b32 exec_lo, exec_lo, s25
	v_lshrrev_b32_e32 v7, 16, v34
	v_cmp_ne_u16_sdwa s5, v7, v8 src0_sel:BYTE_0 src1_sel:DWORD
	s_and_saveexec_b32 s25, s5
	s_cbranch_execz .LBB310_523
; %bb.516:                              ;   in Loop: Header=BB310_16 Depth=1
	v_cmp_ne_u16_sdwa s5, v7, v68 src0_sel:BYTE_0 src1_sel:DWORD
	v_mov_b32_e32 v3, 0x8000
	s_and_saveexec_b32 s26, s5
	s_cbranch_execz .LBB310_522
; %bb.517:                              ;   in Loop: Header=BB310_16 Depth=1
	v_bfe_u32 v4, v34, 16, 7
	v_mov_b32_e32 v3, 0x7c01
	s_mov_b32 s27, exec_lo
	v_cmpx_ne_u32_e32 0x7f, v4
	s_cbranch_execz .LBB310_521
; %bb.518:                              ;   in Loop: Header=BB310_16 Depth=1
	v_and_b32_e32 v0, 7, v7
	v_lshrrev_b32_e32 v1, 3, v4
	s_mov_b32 s28, exec_lo
	v_cmpx_gt_u32_e32 8, v4
; %bb.519:                              ;   in Loop: Header=BB310_16 Depth=1
	v_ffbh_u32_e32 v0, v0
	v_min_u32_e32 v3, 32, v0
	v_subrev_nc_u32_e32 v0, 28, v3
	v_lshlrev_b64 v[0:1], v0, v[7:8]
	v_sub_nc_u32_e32 v1, 29, v3
	v_and_b32_e32 v0, 7, v0
; %bb.520:                              ;   in Loop: Header=BB310_16 Depth=1
	s_or_b32 exec_lo, exec_lo, s28
	v_lshlrev_b32_e32 v3, 8, v7
	v_lshl_add_u32 v1, v1, 10, 0x2000
	v_lshlrev_b32_e32 v0, 7, v0
	v_and_b32_e32 v3, 0x8000, v3
	v_and_b32_e32 v1, 0xfc00, v1
	v_or3_b32 v3, v3, v1, v0
.LBB310_521:                            ;   in Loop: Header=BB310_16 Depth=1
	s_or_b32 exec_lo, exec_lo, s27
.LBB310_522:                            ;   in Loop: Header=BB310_16 Depth=1
	s_or_b32 exec_lo, exec_lo, s26
.LBB310_523:                            ;   in Loop: Header=BB310_16 Depth=1
	s_or_b32 exec_lo, exec_lo, s25
	v_mov_b32_e32 v15, 0
	v_mov_b32_e32 v19, 0
	s_mov_b32 s25, exec_lo
	v_cmpx_lt_u64_e64 s[20:21], v[33:34]
	s_cbranch_execz .LBB310_531
; %bb.524:                              ;   in Loop: Header=BB310_16 Depth=1
	v_lshrrev_b32_e32 v7, 24, v34
	v_bfrev_b32_e32 v19, 1
	s_mov_b32 s26, exec_lo
	v_cmpx_ne_u32_e32 0x80, v7
	s_cbranch_execz .LBB310_530
; %bb.525:                              ;   in Loop: Header=BB310_16 Depth=1
	v_and_b32_e32 v4, 0x7f, v7
	v_mov_b32_e32 v19, 0x7c010000
	s_mov_b32 s27, exec_lo
	v_cmpx_ne_u32_e32 0x7f, v4
	s_cbranch_execz .LBB310_529
; %bb.526:                              ;   in Loop: Header=BB310_16 Depth=1
	v_and_b32_e32 v0, 7, v7
	v_lshrrev_b32_e32 v1, 3, v4
	s_mov_b32 s28, exec_lo
	v_cmpx_gt_u32_e32 8, v4
; %bb.527:                              ;   in Loop: Header=BB310_16 Depth=1
	v_ffbh_u32_e32 v0, v0
	v_min_u32_e32 v4, 32, v0
	v_subrev_nc_u32_e32 v0, 28, v4
	v_lshlrev_b64 v[0:1], v0, v[7:8]
	v_sub_nc_u32_e32 v1, 29, v4
	v_and_b32_e32 v0, 7, v0
; %bb.528:                              ;   in Loop: Header=BB310_16 Depth=1
	s_or_b32 exec_lo, exec_lo, s28
	v_lshlrev_b32_e32 v4, 8, v7
	v_lshl_add_u32 v1, v1, 10, 0x2000
	v_lshlrev_b32_e32 v0, 23, v0
	v_and_or_b32 v1, 0x8000, v4, v1
	v_lshl_or_b32 v19, v1, 16, v0
.LBB310_529:                            ;   in Loop: Header=BB310_16 Depth=1
	s_or_b32 exec_lo, exec_lo, s27
.LBB310_530:                            ;   in Loop: Header=BB310_16 Depth=1
	s_or_b32 exec_lo, exec_lo, s26
.LBB310_531:                            ;   in Loop: Header=BB310_16 Depth=1
	s_or_b32 exec_lo, exec_lo, s25
	v_add_co_u32 v31, s5, 0x800, v31
	v_add_co_ci_u32_e64 v32, null, 0, v32, s5
	flat_load_dwordx2 v[33:34], v[31:32]
	s_waitcnt vmcnt(0) lgkmcnt(0)
	v_cmp_ne_u16_sdwa s5, v33, v8 src0_sel:BYTE_0 src1_sel:DWORD
	s_and_saveexec_b32 s25, s5
	s_cbranch_execz .LBB310_539
; %bb.532:                              ;   in Loop: Header=BB310_16 Depth=1
	v_cmp_ne_u16_sdwa s5, v33, v68 src0_sel:BYTE_0 src1_sel:DWORD
	v_mov_b32_e32 v15, 0x8000
	s_and_saveexec_b32 s26, s5
	s_cbranch_execz .LBB310_538
; %bb.533:                              ;   in Loop: Header=BB310_16 Depth=1
	v_and_b32_e32 v4, 0x7f, v33
	v_mov_b32_e32 v15, 0x7c01
	s_mov_b32 s27, exec_lo
	v_cmpx_ne_u32_e32 0x7f, v4
	s_cbranch_execz .LBB310_537
; %bb.534:                              ;   in Loop: Header=BB310_16 Depth=1
	v_and_b32_e32 v0, 7, v33
	v_lshrrev_b32_e32 v1, 3, v4
	s_mov_b32 s28, exec_lo
	v_cmpx_gt_u32_e32 8, v4
; %bb.535:                              ;   in Loop: Header=BB310_16 Depth=1
	v_ffbh_u32_e32 v0, v0
	v_min_u32_e32 v4, 32, v0
	v_subrev_nc_u32_e32 v0, 28, v4
	v_lshlrev_b64 v[0:1], v0, v[33:34]
	v_sub_nc_u32_e32 v1, 29, v4
	v_and_b32_e32 v0, 7, v0
; %bb.536:                              ;   in Loop: Header=BB310_16 Depth=1
	s_or_b32 exec_lo, exec_lo, s28
	v_lshlrev_b32_e32 v4, 8, v33
	v_lshl_add_u32 v1, v1, 10, 0x2000
	v_lshlrev_b32_e32 v0, 7, v0
	v_and_b32_e32 v4, 0x8000, v4
	v_and_b32_e32 v1, 0xfc00, v1
	v_or3_b32 v15, v4, v1, v0
.LBB310_537:                            ;   in Loop: Header=BB310_16 Depth=1
	s_or_b32 exec_lo, exec_lo, s27
.LBB310_538:                            ;   in Loop: Header=BB310_16 Depth=1
	s_or_b32 exec_lo, exec_lo, s26
.LBB310_539:                            ;   in Loop: Header=BB310_16 Depth=1
	s_or_b32 exec_lo, exec_lo, s25
	v_lshrrev_b16 v7, 8, v33
	v_mov_b32_e32 v20, 0
	v_mov_b32_e32 v30, 0
	s_mov_b32 s25, exec_lo
	v_cmpx_ne_u16_e32 0, v7
	s_cbranch_execz .LBB310_547
; %bb.540:                              ;   in Loop: Header=BB310_16 Depth=1
	v_bfrev_b32_e32 v30, 1
	s_mov_b32 s26, exec_lo
	v_cmpx_ne_u16_e32 0x80, v7
	s_cbranch_execz .LBB310_546
; %bb.541:                              ;   in Loop: Header=BB310_16 Depth=1
	v_mov_b32_e32 v0, 0x7f
	v_mov_b32_e32 v30, 0x7c010000
	s_mov_b32 s27, exec_lo
	v_and_b32_sdwa v4, v7, v0 dst_sel:DWORD dst_unused:UNUSED_PAD src0_sel:WORD_0 src1_sel:DWORD
	v_cmpx_ne_u32_e32 0x7f, v4
	s_cbranch_execz .LBB310_545
; %bb.542:                              ;   in Loop: Header=BB310_16 Depth=1
	v_mov_b32_e32 v0, 7
	v_lshrrev_b32_e32 v1, 3, v4
	s_mov_b32 s28, exec_lo
	v_and_b32_sdwa v0, v7, v0 dst_sel:DWORD dst_unused:UNUSED_PAD src0_sel:WORD_0 src1_sel:DWORD
	v_cmpx_gt_u32_e32 8, v4
; %bb.543:                              ;   in Loop: Header=BB310_16 Depth=1
	v_ffbh_u32_e32 v0, v0
	v_min_u32_e32 v4, 32, v0
	v_subrev_nc_u32_e32 v0, 28, v4
	v_lshlrev_b64 v[0:1], v0, v[7:8]
	v_sub_nc_u32_e32 v1, 29, v4
	v_and_b32_e32 v0, 7, v0
; %bb.544:                              ;   in Loop: Header=BB310_16 Depth=1
	s_or_b32 exec_lo, exec_lo, s28
	v_mov_b32_e32 v4, 8
	v_lshl_add_u32 v1, v1, 10, 0x2000
	v_lshlrev_b32_e32 v0, 23, v0
	v_lshlrev_b32_sdwa v4, v4, v7 dst_sel:DWORD dst_unused:UNUSED_PAD src0_sel:DWORD src1_sel:WORD_0
	v_and_or_b32 v1, 0x8000, v4, v1
	v_lshl_or_b32 v30, v1, 16, v0
.LBB310_545:                            ;   in Loop: Header=BB310_16 Depth=1
	s_or_b32 exec_lo, exec_lo, s27
.LBB310_546:                            ;   in Loop: Header=BB310_16 Depth=1
	s_or_b32 exec_lo, exec_lo, s26
.LBB310_547:                            ;   in Loop: Header=BB310_16 Depth=1
	s_or_b32 exec_lo, exec_lo, s25
	v_lshrrev_b32_e32 v7, 16, v33
	v_cmp_ne_u16_sdwa s5, v7, v8 src0_sel:BYTE_0 src1_sel:DWORD
	s_and_saveexec_b32 s25, s5
	s_cbranch_execz .LBB310_555
; %bb.548:                              ;   in Loop: Header=BB310_16 Depth=1
	v_cmp_ne_u16_sdwa s5, v7, v68 src0_sel:BYTE_0 src1_sel:DWORD
	v_mov_b32_e32 v20, 0x8000
	s_and_saveexec_b32 s26, s5
	s_cbranch_execz .LBB310_554
; %bb.549:                              ;   in Loop: Header=BB310_16 Depth=1
	v_bfe_u32 v4, v33, 16, 7
	v_mov_b32_e32 v20, 0x7c01
	s_mov_b32 s27, exec_lo
	v_cmpx_ne_u32_e32 0x7f, v4
	s_cbranch_execz .LBB310_553
; %bb.550:                              ;   in Loop: Header=BB310_16 Depth=1
	v_and_b32_e32 v0, 7, v7
	v_lshrrev_b32_e32 v1, 3, v4
	s_mov_b32 s28, exec_lo
	v_cmpx_gt_u32_e32 8, v4
; %bb.551:                              ;   in Loop: Header=BB310_16 Depth=1
	v_ffbh_u32_e32 v0, v0
	v_min_u32_e32 v4, 32, v0
	v_subrev_nc_u32_e32 v0, 28, v4
	v_lshlrev_b64 v[0:1], v0, v[7:8]
	v_sub_nc_u32_e32 v1, 29, v4
	v_and_b32_e32 v0, 7, v0
; %bb.552:                              ;   in Loop: Header=BB310_16 Depth=1
	s_or_b32 exec_lo, exec_lo, s28
	v_lshlrev_b32_e32 v4, 8, v7
	v_lshl_add_u32 v1, v1, 10, 0x2000
	v_lshlrev_b32_e32 v0, 7, v0
	v_and_b32_e32 v4, 0x8000, v4
	v_and_b32_e32 v1, 0xfc00, v1
	v_or3_b32 v20, v4, v1, v0
.LBB310_553:                            ;   in Loop: Header=BB310_16 Depth=1
	s_or_b32 exec_lo, exec_lo, s27
.LBB310_554:                            ;   in Loop: Header=BB310_16 Depth=1
	s_or_b32 exec_lo, exec_lo, s26
.LBB310_555:                            ;   in Loop: Header=BB310_16 Depth=1
	s_or_b32 exec_lo, exec_lo, s25
	v_mov_b32_e32 v26, 0
	v_mov_b32_e32 v22, 0
	s_mov_b32 s25, exec_lo
	v_cmpx_lt_u32_e32 0xffffff, v33
	s_cbranch_execz .LBB310_563
; %bb.556:                              ;   in Loop: Header=BB310_16 Depth=1
	v_lshrrev_b32_e32 v7, 24, v33
	v_bfrev_b32_e32 v22, 1
	s_mov_b32 s26, exec_lo
	v_cmpx_ne_u32_e32 0x80, v7
	s_cbranch_execz .LBB310_562
; %bb.557:                              ;   in Loop: Header=BB310_16 Depth=1
	v_and_b32_e32 v4, 0x7f, v7
	v_mov_b32_e32 v22, 0x7c010000
	s_mov_b32 s27, exec_lo
	v_cmpx_ne_u32_e32 0x7f, v4
	s_cbranch_execz .LBB310_561
; %bb.558:                              ;   in Loop: Header=BB310_16 Depth=1
	v_and_b32_e32 v0, 7, v7
	v_lshrrev_b32_e32 v1, 3, v4
	s_mov_b32 s28, exec_lo
	v_cmpx_gt_u32_e32 8, v4
; %bb.559:                              ;   in Loop: Header=BB310_16 Depth=1
	v_ffbh_u32_e32 v0, v0
	v_min_u32_e32 v4, 32, v0
	v_subrev_nc_u32_e32 v0, 28, v4
	v_lshlrev_b64 v[0:1], v0, v[7:8]
	v_sub_nc_u32_e32 v1, 29, v4
	v_and_b32_e32 v0, 7, v0
; %bb.560:                              ;   in Loop: Header=BB310_16 Depth=1
	s_or_b32 exec_lo, exec_lo, s28
	v_lshlrev_b32_e32 v4, 8, v7
	v_lshl_add_u32 v1, v1, 10, 0x2000
	v_lshlrev_b32_e32 v0, 23, v0
	v_and_or_b32 v1, 0x8000, v4, v1
	v_lshl_or_b32 v22, v1, 16, v0
.LBB310_561:                            ;   in Loop: Header=BB310_16 Depth=1
	s_or_b32 exec_lo, exec_lo, s27
.LBB310_562:                            ;   in Loop: Header=BB310_16 Depth=1
	s_or_b32 exec_lo, exec_lo, s26
.LBB310_563:                            ;   in Loop: Header=BB310_16 Depth=1
	s_or_b32 exec_lo, exec_lo, s25
	v_mov_b32_e32 v7, v34
	v_cmp_ne_u16_sdwa s5, v34, v8 src0_sel:BYTE_0 src1_sel:DWORD
	s_and_saveexec_b32 s25, s5
	s_cbranch_execz .LBB310_571
; %bb.564:                              ;   in Loop: Header=BB310_16 Depth=1
	v_cmp_ne_u16_sdwa s5, v34, v68 src0_sel:BYTE_0 src1_sel:DWORD
	v_mov_b32_e32 v26, 0x8000
	s_and_saveexec_b32 s26, s5
	s_cbranch_execz .LBB310_570
; %bb.565:                              ;   in Loop: Header=BB310_16 Depth=1
	v_and_b32_e32 v4, 0x7f, v34
	v_mov_b32_e32 v26, 0x7c01
	s_mov_b32 s27, exec_lo
	v_cmpx_ne_u32_e32 0x7f, v4
	s_cbranch_execz .LBB310_569
; %bb.566:                              ;   in Loop: Header=BB310_16 Depth=1
	v_and_b32_e32 v0, 7, v34
	v_lshrrev_b32_e32 v1, 3, v4
	s_mov_b32 s28, exec_lo
	v_cmpx_gt_u32_e32 8, v4
; %bb.567:                              ;   in Loop: Header=BB310_16 Depth=1
	v_ffbh_u32_e32 v0, v0
	v_min_u32_e32 v4, 32, v0
	v_subrev_nc_u32_e32 v0, 28, v4
	v_lshlrev_b64 v[0:1], v0, v[7:8]
	v_sub_nc_u32_e32 v1, 29, v4
	v_and_b32_e32 v0, 7, v0
; %bb.568:                              ;   in Loop: Header=BB310_16 Depth=1
	s_or_b32 exec_lo, exec_lo, s28
	v_lshlrev_b32_e32 v4, 8, v34
	v_lshl_add_u32 v1, v1, 10, 0x2000
	v_lshlrev_b32_e32 v0, 7, v0
	v_and_b32_e32 v4, 0x8000, v4
	v_and_b32_e32 v1, 0xfc00, v1
	v_or3_b32 v26, v4, v1, v0
.LBB310_569:                            ;   in Loop: Header=BB310_16 Depth=1
	s_or_b32 exec_lo, exec_lo, s27
.LBB310_570:                            ;   in Loop: Header=BB310_16 Depth=1
	s_or_b32 exec_lo, exec_lo, s26
.LBB310_571:                            ;   in Loop: Header=BB310_16 Depth=1
	s_or_b32 exec_lo, exec_lo, s25
	v_lshrrev_b16 v7, 8, v7
	v_mov_b32_e32 v67, 0
	v_mov_b32_e32 v48, 0
	s_mov_b32 s25, exec_lo
	v_cmpx_ne_u16_e32 0, v7
	s_cbranch_execz .LBB310_579
; %bb.572:                              ;   in Loop: Header=BB310_16 Depth=1
	v_bfrev_b32_e32 v48, 1
	s_mov_b32 s26, exec_lo
	v_cmpx_ne_u16_e32 0x80, v7
	s_cbranch_execz .LBB310_578
; %bb.573:                              ;   in Loop: Header=BB310_16 Depth=1
	v_mov_b32_e32 v0, 0x7f
	v_mov_b32_e32 v48, 0x7c010000
	s_mov_b32 s27, exec_lo
	v_and_b32_sdwa v4, v7, v0 dst_sel:DWORD dst_unused:UNUSED_PAD src0_sel:WORD_0 src1_sel:DWORD
	v_cmpx_ne_u32_e32 0x7f, v4
	s_cbranch_execz .LBB310_577
; %bb.574:                              ;   in Loop: Header=BB310_16 Depth=1
	v_mov_b32_e32 v0, 7
	v_lshrrev_b32_e32 v1, 3, v4
	s_mov_b32 s28, exec_lo
	v_and_b32_sdwa v0, v7, v0 dst_sel:DWORD dst_unused:UNUSED_PAD src0_sel:WORD_0 src1_sel:DWORD
	v_cmpx_gt_u32_e32 8, v4
; %bb.575:                              ;   in Loop: Header=BB310_16 Depth=1
	v_ffbh_u32_e32 v0, v0
	v_min_u32_e32 v4, 32, v0
	v_subrev_nc_u32_e32 v0, 28, v4
	v_lshlrev_b64 v[0:1], v0, v[7:8]
	v_sub_nc_u32_e32 v1, 29, v4
	v_and_b32_e32 v0, 7, v0
; %bb.576:                              ;   in Loop: Header=BB310_16 Depth=1
	s_or_b32 exec_lo, exec_lo, s28
	v_mov_b32_e32 v4, 8
	v_lshl_add_u32 v1, v1, 10, 0x2000
	v_lshlrev_b32_e32 v0, 23, v0
	v_lshlrev_b32_sdwa v4, v4, v7 dst_sel:DWORD dst_unused:UNUSED_PAD src0_sel:DWORD src1_sel:WORD_0
	v_and_or_b32 v1, 0x8000, v4, v1
	v_lshl_or_b32 v48, v1, 16, v0
.LBB310_577:                            ;   in Loop: Header=BB310_16 Depth=1
	s_or_b32 exec_lo, exec_lo, s27
.LBB310_578:                            ;   in Loop: Header=BB310_16 Depth=1
	s_or_b32 exec_lo, exec_lo, s26
.LBB310_579:                            ;   in Loop: Header=BB310_16 Depth=1
	s_or_b32 exec_lo, exec_lo, s25
	v_lshrrev_b32_e32 v7, 16, v34
	v_cmp_ne_u16_sdwa s5, v7, v8 src0_sel:BYTE_0 src1_sel:DWORD
	s_and_saveexec_b32 s25, s5
	s_cbranch_execz .LBB310_587
; %bb.580:                              ;   in Loop: Header=BB310_16 Depth=1
	v_cmp_ne_u16_sdwa s5, v7, v68 src0_sel:BYTE_0 src1_sel:DWORD
	v_mov_b32_e32 v67, 0x8000
	s_and_saveexec_b32 s26, s5
	s_cbranch_execz .LBB310_586
; %bb.581:                              ;   in Loop: Header=BB310_16 Depth=1
	v_bfe_u32 v4, v34, 16, 7
	v_mov_b32_e32 v67, 0x7c01
	s_mov_b32 s27, exec_lo
	v_cmpx_ne_u32_e32 0x7f, v4
	s_cbranch_execz .LBB310_585
; %bb.582:                              ;   in Loop: Header=BB310_16 Depth=1
	v_and_b32_e32 v0, 7, v7
	v_lshrrev_b32_e32 v1, 3, v4
	s_mov_b32 s28, exec_lo
	v_cmpx_gt_u32_e32 8, v4
; %bb.583:                              ;   in Loop: Header=BB310_16 Depth=1
	v_ffbh_u32_e32 v0, v0
	v_min_u32_e32 v4, 32, v0
	v_subrev_nc_u32_e32 v0, 28, v4
	v_lshlrev_b64 v[0:1], v0, v[7:8]
	v_sub_nc_u32_e32 v1, 29, v4
	v_and_b32_e32 v0, 7, v0
; %bb.584:                              ;   in Loop: Header=BB310_16 Depth=1
	s_or_b32 exec_lo, exec_lo, s28
	v_lshlrev_b32_e32 v4, 8, v7
	v_lshl_add_u32 v1, v1, 10, 0x2000
	v_lshlrev_b32_e32 v0, 7, v0
	v_and_b32_e32 v4, 0x8000, v4
	v_and_b32_e32 v1, 0xfc00, v1
	v_or3_b32 v67, v4, v1, v0
.LBB310_585:                            ;   in Loop: Header=BB310_16 Depth=1
	s_or_b32 exec_lo, exec_lo, s27
.LBB310_586:                            ;   in Loop: Header=BB310_16 Depth=1
	s_or_b32 exec_lo, exec_lo, s26
.LBB310_587:                            ;   in Loop: Header=BB310_16 Depth=1
	s_or_b32 exec_lo, exec_lo, s25
	v_mov_b32_e32 v29, 0
	v_mov_b32_e32 v65, 0
	s_mov_b32 s25, exec_lo
	v_cmpx_lt_u64_e64 s[20:21], v[33:34]
	s_cbranch_execz .LBB310_595
; %bb.588:                              ;   in Loop: Header=BB310_16 Depth=1
	v_lshrrev_b32_e32 v7, 24, v34
	v_bfrev_b32_e32 v65, 1
	s_mov_b32 s26, exec_lo
	v_cmpx_ne_u32_e32 0x80, v7
	s_cbranch_execz .LBB310_594
; %bb.589:                              ;   in Loop: Header=BB310_16 Depth=1
	v_and_b32_e32 v4, 0x7f, v7
	v_mov_b32_e32 v65, 0x7c010000
	s_mov_b32 s27, exec_lo
	v_cmpx_ne_u32_e32 0x7f, v4
	s_cbranch_execz .LBB310_593
; %bb.590:                              ;   in Loop: Header=BB310_16 Depth=1
	v_and_b32_e32 v0, 7, v7
	v_lshrrev_b32_e32 v1, 3, v4
	s_mov_b32 s28, exec_lo
	v_cmpx_gt_u32_e32 8, v4
; %bb.591:                              ;   in Loop: Header=BB310_16 Depth=1
	v_ffbh_u32_e32 v0, v0
	v_min_u32_e32 v4, 32, v0
	v_subrev_nc_u32_e32 v0, 28, v4
	v_lshlrev_b64 v[0:1], v0, v[7:8]
	v_sub_nc_u32_e32 v1, 29, v4
	v_and_b32_e32 v0, 7, v0
; %bb.592:                              ;   in Loop: Header=BB310_16 Depth=1
	s_or_b32 exec_lo, exec_lo, s28
	v_lshlrev_b32_e32 v4, 8, v7
	v_lshl_add_u32 v1, v1, 10, 0x2000
	v_lshlrev_b32_e32 v0, 23, v0
	v_and_or_b32 v1, 0x8000, v4, v1
	v_lshl_or_b32 v65, v1, 16, v0
.LBB310_593:                            ;   in Loop: Header=BB310_16 Depth=1
	s_or_b32 exec_lo, exec_lo, s27
.LBB310_594:                            ;   in Loop: Header=BB310_16 Depth=1
	s_or_b32 exec_lo, exec_lo, s26
.LBB310_595:                            ;   in Loop: Header=BB310_16 Depth=1
	s_or_b32 exec_lo, exec_lo, s25
	flat_load_dwordx2 v[33:34], v[31:32] offset:8
	s_waitcnt vmcnt(0) lgkmcnt(0)
	v_cmp_ne_u16_sdwa s5, v33, v8 src0_sel:BYTE_0 src1_sel:DWORD
	s_and_saveexec_b32 s25, s5
	s_cbranch_execz .LBB310_603
; %bb.596:                              ;   in Loop: Header=BB310_16 Depth=1
	v_cmp_ne_u16_sdwa s5, v33, v68 src0_sel:BYTE_0 src1_sel:DWORD
	v_mov_b32_e32 v29, 0x8000
	s_and_saveexec_b32 s26, s5
	s_cbranch_execz .LBB310_602
; %bb.597:                              ;   in Loop: Header=BB310_16 Depth=1
	v_and_b32_e32 v4, 0x7f, v33
	v_mov_b32_e32 v29, 0x7c01
	s_mov_b32 s27, exec_lo
	v_cmpx_ne_u32_e32 0x7f, v4
	s_cbranch_execz .LBB310_601
; %bb.598:                              ;   in Loop: Header=BB310_16 Depth=1
	v_and_b32_e32 v0, 7, v33
	v_lshrrev_b32_e32 v1, 3, v4
	s_mov_b32 s28, exec_lo
	v_cmpx_gt_u32_e32 8, v4
; %bb.599:                              ;   in Loop: Header=BB310_16 Depth=1
	v_ffbh_u32_e32 v0, v0
	v_min_u32_e32 v4, 32, v0
	v_subrev_nc_u32_e32 v0, 28, v4
	v_lshlrev_b64 v[0:1], v0, v[33:34]
	v_sub_nc_u32_e32 v1, 29, v4
	v_and_b32_e32 v0, 7, v0
; %bb.600:                              ;   in Loop: Header=BB310_16 Depth=1
	s_or_b32 exec_lo, exec_lo, s28
	v_lshlrev_b32_e32 v4, 8, v33
	v_lshl_add_u32 v1, v1, 10, 0x2000
	v_lshlrev_b32_e32 v0, 7, v0
	v_and_b32_e32 v4, 0x8000, v4
	v_and_b32_e32 v1, 0xfc00, v1
	v_or3_b32 v29, v4, v1, v0
.LBB310_601:                            ;   in Loop: Header=BB310_16 Depth=1
	s_or_b32 exec_lo, exec_lo, s27
.LBB310_602:                            ;   in Loop: Header=BB310_16 Depth=1
	s_or_b32 exec_lo, exec_lo, s26
.LBB310_603:                            ;   in Loop: Header=BB310_16 Depth=1
	s_or_b32 exec_lo, exec_lo, s25
	v_lshrrev_b16 v7, 8, v33
	v_mov_b32_e32 v87, 0
	v_mov_b32_e32 v96, 0
	s_mov_b32 s25, exec_lo
	v_cmpx_ne_u16_e32 0, v7
	s_cbranch_execz .LBB310_611
; %bb.604:                              ;   in Loop: Header=BB310_16 Depth=1
	v_bfrev_b32_e32 v96, 1
	s_mov_b32 s26, exec_lo
	v_cmpx_ne_u16_e32 0x80, v7
	s_cbranch_execz .LBB310_610
; %bb.605:                              ;   in Loop: Header=BB310_16 Depth=1
	v_mov_b32_e32 v0, 0x7f
	v_mov_b32_e32 v96, 0x7c010000
	s_mov_b32 s27, exec_lo
	v_and_b32_sdwa v4, v7, v0 dst_sel:DWORD dst_unused:UNUSED_PAD src0_sel:WORD_0 src1_sel:DWORD
	v_cmpx_ne_u32_e32 0x7f, v4
	s_cbranch_execz .LBB310_609
; %bb.606:                              ;   in Loop: Header=BB310_16 Depth=1
	v_mov_b32_e32 v0, 7
	v_lshrrev_b32_e32 v1, 3, v4
	s_mov_b32 s28, exec_lo
	v_and_b32_sdwa v0, v7, v0 dst_sel:DWORD dst_unused:UNUSED_PAD src0_sel:WORD_0 src1_sel:DWORD
	v_cmpx_gt_u32_e32 8, v4
; %bb.607:                              ;   in Loop: Header=BB310_16 Depth=1
	v_ffbh_u32_e32 v0, v0
	v_min_u32_e32 v4, 32, v0
	v_subrev_nc_u32_e32 v0, 28, v4
	v_lshlrev_b64 v[0:1], v0, v[7:8]
	v_sub_nc_u32_e32 v1, 29, v4
	v_and_b32_e32 v0, 7, v0
; %bb.608:                              ;   in Loop: Header=BB310_16 Depth=1
	s_or_b32 exec_lo, exec_lo, s28
	v_mov_b32_e32 v4, 8
	v_lshl_add_u32 v1, v1, 10, 0x2000
	v_lshlrev_b32_e32 v0, 23, v0
	v_lshlrev_b32_sdwa v4, v4, v7 dst_sel:DWORD dst_unused:UNUSED_PAD src0_sel:DWORD src1_sel:WORD_0
	v_and_or_b32 v1, 0x8000, v4, v1
	v_lshl_or_b32 v96, v1, 16, v0
.LBB310_609:                            ;   in Loop: Header=BB310_16 Depth=1
	s_or_b32 exec_lo, exec_lo, s27
.LBB310_610:                            ;   in Loop: Header=BB310_16 Depth=1
	s_or_b32 exec_lo, exec_lo, s26
.LBB310_611:                            ;   in Loop: Header=BB310_16 Depth=1
	s_or_b32 exec_lo, exec_lo, s25
	v_lshrrev_b32_e32 v7, 16, v33
	v_cmp_ne_u16_sdwa s5, v7, v8 src0_sel:BYTE_0 src1_sel:DWORD
	s_and_saveexec_b32 s25, s5
	s_cbranch_execz .LBB310_619
; %bb.612:                              ;   in Loop: Header=BB310_16 Depth=1
	v_cmp_ne_u16_sdwa s5, v7, v68 src0_sel:BYTE_0 src1_sel:DWORD
	v_mov_b32_e32 v87, 0x8000
	s_and_saveexec_b32 s26, s5
	s_cbranch_execz .LBB310_618
; %bb.613:                              ;   in Loop: Header=BB310_16 Depth=1
	v_bfe_u32 v4, v33, 16, 7
	v_mov_b32_e32 v87, 0x7c01
	s_mov_b32 s27, exec_lo
	v_cmpx_ne_u32_e32 0x7f, v4
	s_cbranch_execz .LBB310_617
; %bb.614:                              ;   in Loop: Header=BB310_16 Depth=1
	v_and_b32_e32 v0, 7, v7
	v_lshrrev_b32_e32 v1, 3, v4
	s_mov_b32 s28, exec_lo
	v_cmpx_gt_u32_e32 8, v4
; %bb.615:                              ;   in Loop: Header=BB310_16 Depth=1
	v_ffbh_u32_e32 v0, v0
	v_min_u32_e32 v4, 32, v0
	v_subrev_nc_u32_e32 v0, 28, v4
	v_lshlrev_b64 v[0:1], v0, v[7:8]
	v_sub_nc_u32_e32 v1, 29, v4
	v_and_b32_e32 v0, 7, v0
; %bb.616:                              ;   in Loop: Header=BB310_16 Depth=1
	s_or_b32 exec_lo, exec_lo, s28
	v_lshlrev_b32_e32 v4, 8, v7
	v_lshl_add_u32 v1, v1, 10, 0x2000
	v_lshlrev_b32_e32 v0, 7, v0
	v_and_b32_e32 v4, 0x8000, v4
	v_and_b32_e32 v1, 0xfc00, v1
	v_or3_b32 v87, v4, v1, v0
.LBB310_617:                            ;   in Loop: Header=BB310_16 Depth=1
	s_or_b32 exec_lo, exec_lo, s27
.LBB310_618:                            ;   in Loop: Header=BB310_16 Depth=1
	s_or_b32 exec_lo, exec_lo, s26
.LBB310_619:                            ;   in Loop: Header=BB310_16 Depth=1
	s_or_b32 exec_lo, exec_lo, s25
	v_mov_b32_e32 v113, 0
	v_mov_b32_e32 v85, 0
	s_mov_b32 s25, exec_lo
	v_cmpx_lt_u32_e32 0xffffff, v33
	s_cbranch_execz .LBB310_627
; %bb.620:                              ;   in Loop: Header=BB310_16 Depth=1
	v_lshrrev_b32_e32 v7, 24, v33
	v_bfrev_b32_e32 v85, 1
	s_mov_b32 s26, exec_lo
	v_cmpx_ne_u32_e32 0x80, v7
	s_cbranch_execz .LBB310_626
; %bb.621:                              ;   in Loop: Header=BB310_16 Depth=1
	v_and_b32_e32 v4, 0x7f, v7
	v_mov_b32_e32 v85, 0x7c010000
	s_mov_b32 s27, exec_lo
	v_cmpx_ne_u32_e32 0x7f, v4
	s_cbranch_execz .LBB310_625
; %bb.622:                              ;   in Loop: Header=BB310_16 Depth=1
	v_and_b32_e32 v0, 7, v7
	v_lshrrev_b32_e32 v1, 3, v4
	s_mov_b32 s28, exec_lo
	v_cmpx_gt_u32_e32 8, v4
; %bb.623:                              ;   in Loop: Header=BB310_16 Depth=1
	v_ffbh_u32_e32 v0, v0
	v_min_u32_e32 v4, 32, v0
	v_subrev_nc_u32_e32 v0, 28, v4
	v_lshlrev_b64 v[0:1], v0, v[7:8]
	v_sub_nc_u32_e32 v1, 29, v4
	v_and_b32_e32 v0, 7, v0
; %bb.624:                              ;   in Loop: Header=BB310_16 Depth=1
	s_or_b32 exec_lo, exec_lo, s28
	v_lshlrev_b32_e32 v4, 8, v7
	v_lshl_add_u32 v1, v1, 10, 0x2000
	v_lshlrev_b32_e32 v0, 23, v0
	v_and_or_b32 v1, 0x8000, v4, v1
	v_lshl_or_b32 v85, v1, 16, v0
.LBB310_625:                            ;   in Loop: Header=BB310_16 Depth=1
	s_or_b32 exec_lo, exec_lo, s27
.LBB310_626:                            ;   in Loop: Header=BB310_16 Depth=1
	s_or_b32 exec_lo, exec_lo, s26
.LBB310_627:                            ;   in Loop: Header=BB310_16 Depth=1
	s_or_b32 exec_lo, exec_lo, s25
	v_mov_b32_e32 v7, v34
	v_cmp_ne_u16_sdwa s5, v34, v8 src0_sel:BYTE_0 src1_sel:DWORD
	s_and_saveexec_b32 s25, s5
	s_cbranch_execz .LBB310_635
; %bb.628:                              ;   in Loop: Header=BB310_16 Depth=1
	v_cmp_ne_u16_sdwa s5, v34, v68 src0_sel:BYTE_0 src1_sel:DWORD
	v_mov_b32_e32 v113, 0x8000
	s_and_saveexec_b32 s26, s5
	s_cbranch_execz .LBB310_634
; %bb.629:                              ;   in Loop: Header=BB310_16 Depth=1
	v_and_b32_e32 v4, 0x7f, v34
	v_mov_b32_e32 v113, 0x7c01
	s_mov_b32 s27, exec_lo
	v_cmpx_ne_u32_e32 0x7f, v4
	s_cbranch_execz .LBB310_633
; %bb.630:                              ;   in Loop: Header=BB310_16 Depth=1
	v_and_b32_e32 v0, 7, v34
	v_lshrrev_b32_e32 v1, 3, v4
	s_mov_b32 s28, exec_lo
	v_cmpx_gt_u32_e32 8, v4
; %bb.631:                              ;   in Loop: Header=BB310_16 Depth=1
	v_ffbh_u32_e32 v0, v0
	v_min_u32_e32 v4, 32, v0
	v_subrev_nc_u32_e32 v0, 28, v4
	v_lshlrev_b64 v[0:1], v0, v[7:8]
	v_sub_nc_u32_e32 v1, 29, v4
	v_and_b32_e32 v0, 7, v0
; %bb.632:                              ;   in Loop: Header=BB310_16 Depth=1
	s_or_b32 exec_lo, exec_lo, s28
	v_lshlrev_b32_e32 v4, 8, v34
	v_lshl_add_u32 v1, v1, 10, 0x2000
	v_lshlrev_b32_e32 v0, 7, v0
	v_and_b32_e32 v4, 0x8000, v4
	v_and_b32_e32 v1, 0xfc00, v1
	v_or3_b32 v113, v4, v1, v0
.LBB310_633:                            ;   in Loop: Header=BB310_16 Depth=1
	s_or_b32 exec_lo, exec_lo, s27
.LBB310_634:                            ;   in Loop: Header=BB310_16 Depth=1
	s_or_b32 exec_lo, exec_lo, s26
.LBB310_635:                            ;   in Loop: Header=BB310_16 Depth=1
	s_or_b32 exec_lo, exec_lo, s25
	v_lshrrev_b16 v7, 8, v7
	v_mov_b32_e32 v95, 0
	v_mov_b32_e32 v116, 0
	s_mov_b32 s25, exec_lo
	v_cmpx_ne_u16_e32 0, v7
	s_cbranch_execz .LBB310_643
; %bb.636:                              ;   in Loop: Header=BB310_16 Depth=1
	v_bfrev_b32_e32 v116, 1
	s_mov_b32 s26, exec_lo
	v_cmpx_ne_u16_e32 0x80, v7
	s_cbranch_execz .LBB310_642
; %bb.637:                              ;   in Loop: Header=BB310_16 Depth=1
	v_mov_b32_e32 v0, 0x7f
	v_mov_b32_e32 v116, 0x7c010000
	s_mov_b32 s27, exec_lo
	v_and_b32_sdwa v4, v7, v0 dst_sel:DWORD dst_unused:UNUSED_PAD src0_sel:WORD_0 src1_sel:DWORD
	v_cmpx_ne_u32_e32 0x7f, v4
	s_cbranch_execz .LBB310_641
; %bb.638:                              ;   in Loop: Header=BB310_16 Depth=1
	v_mov_b32_e32 v0, 7
	v_lshrrev_b32_e32 v1, 3, v4
	s_mov_b32 s28, exec_lo
	v_and_b32_sdwa v0, v7, v0 dst_sel:DWORD dst_unused:UNUSED_PAD src0_sel:WORD_0 src1_sel:DWORD
	v_cmpx_gt_u32_e32 8, v4
; %bb.639:                              ;   in Loop: Header=BB310_16 Depth=1
	v_ffbh_u32_e32 v0, v0
	v_min_u32_e32 v4, 32, v0
	v_subrev_nc_u32_e32 v0, 28, v4
	v_lshlrev_b64 v[0:1], v0, v[7:8]
	v_sub_nc_u32_e32 v1, 29, v4
	v_and_b32_e32 v0, 7, v0
; %bb.640:                              ;   in Loop: Header=BB310_16 Depth=1
	s_or_b32 exec_lo, exec_lo, s28
	v_mov_b32_e32 v4, 8
	v_lshl_add_u32 v1, v1, 10, 0x2000
	v_lshlrev_b32_e32 v0, 23, v0
	v_lshlrev_b32_sdwa v4, v4, v7 dst_sel:DWORD dst_unused:UNUSED_PAD src0_sel:DWORD src1_sel:WORD_0
	v_and_or_b32 v1, 0x8000, v4, v1
	v_lshl_or_b32 v116, v1, 16, v0
.LBB310_641:                            ;   in Loop: Header=BB310_16 Depth=1
	s_or_b32 exec_lo, exec_lo, s27
.LBB310_642:                            ;   in Loop: Header=BB310_16 Depth=1
	s_or_b32 exec_lo, exec_lo, s26
.LBB310_643:                            ;   in Loop: Header=BB310_16 Depth=1
	s_or_b32 exec_lo, exec_lo, s25
	v_lshrrev_b32_e32 v7, 16, v34
	v_cmp_ne_u16_sdwa s5, v7, v8 src0_sel:BYTE_0 src1_sel:DWORD
	s_and_saveexec_b32 s25, s5
	s_cbranch_execz .LBB310_651
; %bb.644:                              ;   in Loop: Header=BB310_16 Depth=1
	v_cmp_ne_u16_sdwa s5, v7, v68 src0_sel:BYTE_0 src1_sel:DWORD
	v_mov_b32_e32 v95, 0x8000
	s_and_saveexec_b32 s26, s5
	s_cbranch_execz .LBB310_650
; %bb.645:                              ;   in Loop: Header=BB310_16 Depth=1
	v_bfe_u32 v4, v34, 16, 7
	v_mov_b32_e32 v95, 0x7c01
	s_mov_b32 s27, exec_lo
	v_cmpx_ne_u32_e32 0x7f, v4
	s_cbranch_execz .LBB310_649
; %bb.646:                              ;   in Loop: Header=BB310_16 Depth=1
	v_and_b32_e32 v0, 7, v7
	v_lshrrev_b32_e32 v1, 3, v4
	s_mov_b32 s28, exec_lo
	v_cmpx_gt_u32_e32 8, v4
; %bb.647:                              ;   in Loop: Header=BB310_16 Depth=1
	v_ffbh_u32_e32 v0, v0
	v_min_u32_e32 v4, 32, v0
	v_subrev_nc_u32_e32 v0, 28, v4
	v_lshlrev_b64 v[0:1], v0, v[7:8]
	v_sub_nc_u32_e32 v1, 29, v4
	v_and_b32_e32 v0, 7, v0
; %bb.648:                              ;   in Loop: Header=BB310_16 Depth=1
	s_or_b32 exec_lo, exec_lo, s28
	v_lshlrev_b32_e32 v4, 8, v7
	v_lshl_add_u32 v1, v1, 10, 0x2000
	v_lshlrev_b32_e32 v0, 7, v0
	v_and_b32_e32 v4, 0x8000, v4
	v_and_b32_e32 v1, 0xfc00, v1
	v_or3_b32 v95, v4, v1, v0
.LBB310_649:                            ;   in Loop: Header=BB310_16 Depth=1
	s_or_b32 exec_lo, exec_lo, s27
.LBB310_650:                            ;   in Loop: Header=BB310_16 Depth=1
	s_or_b32 exec_lo, exec_lo, s26
.LBB310_651:                            ;   in Loop: Header=BB310_16 Depth=1
	s_or_b32 exec_lo, exec_lo, s25
	v_mov_b32_e32 v49, 0
	v_mov_b32_e32 v104, 0
	s_mov_b32 s25, exec_lo
	v_cmpx_lt_u64_e64 s[20:21], v[33:34]
	s_cbranch_execz .LBB310_659
; %bb.652:                              ;   in Loop: Header=BB310_16 Depth=1
	v_lshrrev_b32_e32 v7, 24, v34
	v_bfrev_b32_e32 v104, 1
	s_mov_b32 s26, exec_lo
	v_cmpx_ne_u32_e32 0x80, v7
	s_cbranch_execz .LBB310_658
; %bb.653:                              ;   in Loop: Header=BB310_16 Depth=1
	v_and_b32_e32 v4, 0x7f, v7
	v_mov_b32_e32 v104, 0x7c010000
	s_mov_b32 s27, exec_lo
	v_cmpx_ne_u32_e32 0x7f, v4
	s_cbranch_execz .LBB310_657
; %bb.654:                              ;   in Loop: Header=BB310_16 Depth=1
	v_and_b32_e32 v0, 7, v7
	v_lshrrev_b32_e32 v1, 3, v4
	s_mov_b32 s28, exec_lo
	v_cmpx_gt_u32_e32 8, v4
; %bb.655:                              ;   in Loop: Header=BB310_16 Depth=1
	v_ffbh_u32_e32 v0, v0
	v_min_u32_e32 v4, 32, v0
	v_subrev_nc_u32_e32 v0, 28, v4
	v_lshlrev_b64 v[0:1], v0, v[7:8]
	v_sub_nc_u32_e32 v1, 29, v4
	v_and_b32_e32 v0, 7, v0
; %bb.656:                              ;   in Loop: Header=BB310_16 Depth=1
	s_or_b32 exec_lo, exec_lo, s28
	v_lshlrev_b32_e32 v4, 8, v7
	v_lshl_add_u32 v1, v1, 10, 0x2000
	v_lshlrev_b32_e32 v0, 23, v0
	v_and_or_b32 v1, 0x8000, v4, v1
	v_lshl_or_b32 v104, v1, 16, v0
.LBB310_657:                            ;   in Loop: Header=BB310_16 Depth=1
	s_or_b32 exec_lo, exec_lo, s27
.LBB310_658:                            ;   in Loop: Header=BB310_16 Depth=1
	s_or_b32 exec_lo, exec_lo, s26
.LBB310_659:                            ;   in Loop: Header=BB310_16 Depth=1
	s_or_b32 exec_lo, exec_lo, s25
	flat_load_dwordx2 v[33:34], v[31:32] offset:512
	s_waitcnt vmcnt(0) lgkmcnt(0)
	v_cmp_ne_u16_sdwa s5, v33, v8 src0_sel:BYTE_0 src1_sel:DWORD
	s_and_saveexec_b32 s25, s5
	s_cbranch_execz .LBB310_667
; %bb.660:                              ;   in Loop: Header=BB310_16 Depth=1
	v_cmp_ne_u16_sdwa s5, v33, v68 src0_sel:BYTE_0 src1_sel:DWORD
	v_mov_b32_e32 v49, 0x8000
	s_and_saveexec_b32 s26, s5
	s_cbranch_execz .LBB310_666
; %bb.661:                              ;   in Loop: Header=BB310_16 Depth=1
	v_and_b32_e32 v4, 0x7f, v33
	v_mov_b32_e32 v49, 0x7c01
	s_mov_b32 s27, exec_lo
	v_cmpx_ne_u32_e32 0x7f, v4
	s_cbranch_execz .LBB310_665
; %bb.662:                              ;   in Loop: Header=BB310_16 Depth=1
	v_and_b32_e32 v0, 7, v33
	v_lshrrev_b32_e32 v1, 3, v4
	s_mov_b32 s28, exec_lo
	v_cmpx_gt_u32_e32 8, v4
; %bb.663:                              ;   in Loop: Header=BB310_16 Depth=1
	v_ffbh_u32_e32 v0, v0
	v_min_u32_e32 v4, 32, v0
	v_subrev_nc_u32_e32 v0, 28, v4
	v_lshlrev_b64 v[0:1], v0, v[33:34]
	v_sub_nc_u32_e32 v1, 29, v4
	v_and_b32_e32 v0, 7, v0
; %bb.664:                              ;   in Loop: Header=BB310_16 Depth=1
	s_or_b32 exec_lo, exec_lo, s28
	v_lshlrev_b32_e32 v4, 8, v33
	v_lshl_add_u32 v1, v1, 10, 0x2000
	v_lshlrev_b32_e32 v0, 7, v0
	v_and_b32_e32 v4, 0x8000, v4
	v_and_b32_e32 v1, 0xfc00, v1
	v_or3_b32 v49, v4, v1, v0
.LBB310_665:                            ;   in Loop: Header=BB310_16 Depth=1
	s_or_b32 exec_lo, exec_lo, s27
.LBB310_666:                            ;   in Loop: Header=BB310_16 Depth=1
	s_or_b32 exec_lo, exec_lo, s26
.LBB310_667:                            ;   in Loop: Header=BB310_16 Depth=1
	s_or_b32 exec_lo, exec_lo, s25
	v_lshrrev_b16 v7, 8, v33
	v_mov_b32_e32 v66, 0
	v_mov_b32_e32 v50, 0
	s_mov_b32 s25, exec_lo
	v_cmpx_ne_u16_e32 0, v7
	s_cbranch_execz .LBB310_675
; %bb.668:                              ;   in Loop: Header=BB310_16 Depth=1
	v_bfrev_b32_e32 v50, 1
	s_mov_b32 s26, exec_lo
	v_cmpx_ne_u16_e32 0x80, v7
	s_cbranch_execz .LBB310_674
; %bb.669:                              ;   in Loop: Header=BB310_16 Depth=1
	v_mov_b32_e32 v0, 0x7f
	v_mov_b32_e32 v50, 0x7c010000
	s_mov_b32 s27, exec_lo
	v_and_b32_sdwa v4, v7, v0 dst_sel:DWORD dst_unused:UNUSED_PAD src0_sel:WORD_0 src1_sel:DWORD
	v_cmpx_ne_u32_e32 0x7f, v4
	s_cbranch_execz .LBB310_673
; %bb.670:                              ;   in Loop: Header=BB310_16 Depth=1
	v_mov_b32_e32 v0, 7
	v_lshrrev_b32_e32 v1, 3, v4
	s_mov_b32 s28, exec_lo
	v_and_b32_sdwa v0, v7, v0 dst_sel:DWORD dst_unused:UNUSED_PAD src0_sel:WORD_0 src1_sel:DWORD
	v_cmpx_gt_u32_e32 8, v4
; %bb.671:                              ;   in Loop: Header=BB310_16 Depth=1
	v_ffbh_u32_e32 v0, v0
	v_min_u32_e32 v4, 32, v0
	v_subrev_nc_u32_e32 v0, 28, v4
	v_lshlrev_b64 v[0:1], v0, v[7:8]
	v_sub_nc_u32_e32 v1, 29, v4
	v_and_b32_e32 v0, 7, v0
; %bb.672:                              ;   in Loop: Header=BB310_16 Depth=1
	s_or_b32 exec_lo, exec_lo, s28
	v_mov_b32_e32 v4, 8
	v_lshl_add_u32 v1, v1, 10, 0x2000
	v_lshlrev_b32_e32 v0, 23, v0
	v_lshlrev_b32_sdwa v4, v4, v7 dst_sel:DWORD dst_unused:UNUSED_PAD src0_sel:DWORD src1_sel:WORD_0
	v_and_or_b32 v1, 0x8000, v4, v1
	v_lshl_or_b32 v50, v1, 16, v0
.LBB310_673:                            ;   in Loop: Header=BB310_16 Depth=1
	s_or_b32 exec_lo, exec_lo, s27
.LBB310_674:                            ;   in Loop: Header=BB310_16 Depth=1
	s_or_b32 exec_lo, exec_lo, s26
.LBB310_675:                            ;   in Loop: Header=BB310_16 Depth=1
	s_or_b32 exec_lo, exec_lo, s25
	v_lshrrev_b32_e32 v7, 16, v33
	v_cmp_ne_u16_sdwa s5, v7, v8 src0_sel:BYTE_0 src1_sel:DWORD
	s_and_saveexec_b32 s25, s5
	s_cbranch_execz .LBB310_683
; %bb.676:                              ;   in Loop: Header=BB310_16 Depth=1
	v_cmp_ne_u16_sdwa s5, v7, v68 src0_sel:BYTE_0 src1_sel:DWORD
	v_mov_b32_e32 v66, 0x8000
	s_and_saveexec_b32 s26, s5
	s_cbranch_execz .LBB310_682
; %bb.677:                              ;   in Loop: Header=BB310_16 Depth=1
	v_bfe_u32 v4, v33, 16, 7
	v_mov_b32_e32 v66, 0x7c01
	s_mov_b32 s27, exec_lo
	v_cmpx_ne_u32_e32 0x7f, v4
	s_cbranch_execz .LBB310_681
; %bb.678:                              ;   in Loop: Header=BB310_16 Depth=1
	v_and_b32_e32 v0, 7, v7
	v_lshrrev_b32_e32 v1, 3, v4
	s_mov_b32 s28, exec_lo
	v_cmpx_gt_u32_e32 8, v4
; %bb.679:                              ;   in Loop: Header=BB310_16 Depth=1
	v_ffbh_u32_e32 v0, v0
	v_min_u32_e32 v4, 32, v0
	v_subrev_nc_u32_e32 v0, 28, v4
	v_lshlrev_b64 v[0:1], v0, v[7:8]
	v_sub_nc_u32_e32 v1, 29, v4
	v_and_b32_e32 v0, 7, v0
; %bb.680:                              ;   in Loop: Header=BB310_16 Depth=1
	s_or_b32 exec_lo, exec_lo, s28
	v_lshlrev_b32_e32 v4, 8, v7
	v_lshl_add_u32 v1, v1, 10, 0x2000
	v_lshlrev_b32_e32 v0, 7, v0
	v_and_b32_e32 v4, 0x8000, v4
	v_and_b32_e32 v1, 0xfc00, v1
	v_or3_b32 v66, v4, v1, v0
.LBB310_681:                            ;   in Loop: Header=BB310_16 Depth=1
	s_or_b32 exec_lo, exec_lo, s27
.LBB310_682:                            ;   in Loop: Header=BB310_16 Depth=1
	s_or_b32 exec_lo, exec_lo, s26
.LBB310_683:                            ;   in Loop: Header=BB310_16 Depth=1
	s_or_b32 exec_lo, exec_lo, s25
	v_mov_b32_e32 v97, 0
	v_mov_b32_e32 v100, 0
	s_mov_b32 s25, exec_lo
	v_cmpx_lt_u32_e32 0xffffff, v33
	s_cbranch_execz .LBB310_691
; %bb.684:                              ;   in Loop: Header=BB310_16 Depth=1
	v_lshrrev_b32_e32 v7, 24, v33
	v_bfrev_b32_e32 v100, 1
	s_mov_b32 s26, exec_lo
	v_cmpx_ne_u32_e32 0x80, v7
	s_cbranch_execz .LBB310_690
; %bb.685:                              ;   in Loop: Header=BB310_16 Depth=1
	v_and_b32_e32 v4, 0x7f, v7
	v_mov_b32_e32 v100, 0x7c010000
	s_mov_b32 s27, exec_lo
	v_cmpx_ne_u32_e32 0x7f, v4
	s_cbranch_execz .LBB310_689
; %bb.686:                              ;   in Loop: Header=BB310_16 Depth=1
	v_and_b32_e32 v0, 7, v7
	v_lshrrev_b32_e32 v1, 3, v4
	s_mov_b32 s28, exec_lo
	v_cmpx_gt_u32_e32 8, v4
; %bb.687:                              ;   in Loop: Header=BB310_16 Depth=1
	v_ffbh_u32_e32 v0, v0
	v_min_u32_e32 v4, 32, v0
	v_subrev_nc_u32_e32 v0, 28, v4
	v_lshlrev_b64 v[0:1], v0, v[7:8]
	v_sub_nc_u32_e32 v1, 29, v4
	v_and_b32_e32 v0, 7, v0
; %bb.688:                              ;   in Loop: Header=BB310_16 Depth=1
	s_or_b32 exec_lo, exec_lo, s28
	v_lshlrev_b32_e32 v4, 8, v7
	v_lshl_add_u32 v1, v1, 10, 0x2000
	v_lshlrev_b32_e32 v0, 23, v0
	v_and_or_b32 v1, 0x8000, v4, v1
	v_lshl_or_b32 v100, v1, 16, v0
.LBB310_689:                            ;   in Loop: Header=BB310_16 Depth=1
	s_or_b32 exec_lo, exec_lo, s27
.LBB310_690:                            ;   in Loop: Header=BB310_16 Depth=1
	s_or_b32 exec_lo, exec_lo, s26
.LBB310_691:                            ;   in Loop: Header=BB310_16 Depth=1
	s_or_b32 exec_lo, exec_lo, s25
	v_mov_b32_e32 v7, v34
	v_cmp_ne_u16_sdwa s5, v34, v8 src0_sel:BYTE_0 src1_sel:DWORD
	s_and_saveexec_b32 s25, s5
	s_cbranch_execz .LBB310_699
; %bb.692:                              ;   in Loop: Header=BB310_16 Depth=1
	v_cmp_ne_u16_sdwa s5, v34, v68 src0_sel:BYTE_0 src1_sel:DWORD
	v_mov_b32_e32 v97, 0x8000
	s_and_saveexec_b32 s26, s5
	s_cbranch_execz .LBB310_698
; %bb.693:                              ;   in Loop: Header=BB310_16 Depth=1
	v_and_b32_e32 v4, 0x7f, v34
	v_mov_b32_e32 v97, 0x7c01
	s_mov_b32 s27, exec_lo
	v_cmpx_ne_u32_e32 0x7f, v4
	s_cbranch_execz .LBB310_697
; %bb.694:                              ;   in Loop: Header=BB310_16 Depth=1
	v_and_b32_e32 v0, 7, v34
	v_lshrrev_b32_e32 v1, 3, v4
	s_mov_b32 s28, exec_lo
	v_cmpx_gt_u32_e32 8, v4
; %bb.695:                              ;   in Loop: Header=BB310_16 Depth=1
	v_ffbh_u32_e32 v0, v0
	v_min_u32_e32 v4, 32, v0
	v_subrev_nc_u32_e32 v0, 28, v4
	v_lshlrev_b64 v[0:1], v0, v[7:8]
	v_sub_nc_u32_e32 v1, 29, v4
	v_and_b32_e32 v0, 7, v0
; %bb.696:                              ;   in Loop: Header=BB310_16 Depth=1
	s_or_b32 exec_lo, exec_lo, s28
	v_lshlrev_b32_e32 v4, 8, v34
	v_lshl_add_u32 v1, v1, 10, 0x2000
	v_lshlrev_b32_e32 v0, 7, v0
	v_and_b32_e32 v4, 0x8000, v4
	v_and_b32_e32 v1, 0xfc00, v1
	v_or3_b32 v97, v4, v1, v0
.LBB310_697:                            ;   in Loop: Header=BB310_16 Depth=1
	s_or_b32 exec_lo, exec_lo, s27
.LBB310_698:                            ;   in Loop: Header=BB310_16 Depth=1
	s_or_b32 exec_lo, exec_lo, s26
.LBB310_699:                            ;   in Loop: Header=BB310_16 Depth=1
	s_or_b32 exec_lo, exec_lo, s25
	v_lshrrev_b16 v7, 8, v7
	v_mov_b32_e32 v118, 0
	v_mov_b32_e32 v119, 0
	s_mov_b32 s25, exec_lo
	v_cmpx_ne_u16_e32 0, v7
	s_cbranch_execz .LBB310_707
; %bb.700:                              ;   in Loop: Header=BB310_16 Depth=1
	v_bfrev_b32_e32 v119, 1
	s_mov_b32 s26, exec_lo
	v_cmpx_ne_u16_e32 0x80, v7
	s_cbranch_execz .LBB310_706
; %bb.701:                              ;   in Loop: Header=BB310_16 Depth=1
	v_mov_b32_e32 v0, 0x7f
	v_mov_b32_e32 v119, 0x7c010000
	s_mov_b32 s27, exec_lo
	v_and_b32_sdwa v4, v7, v0 dst_sel:DWORD dst_unused:UNUSED_PAD src0_sel:WORD_0 src1_sel:DWORD
	v_cmpx_ne_u32_e32 0x7f, v4
	s_cbranch_execz .LBB310_705
; %bb.702:                              ;   in Loop: Header=BB310_16 Depth=1
	v_mov_b32_e32 v0, 7
	v_lshrrev_b32_e32 v1, 3, v4
	s_mov_b32 s28, exec_lo
	v_and_b32_sdwa v0, v7, v0 dst_sel:DWORD dst_unused:UNUSED_PAD src0_sel:WORD_0 src1_sel:DWORD
	v_cmpx_gt_u32_e32 8, v4
; %bb.703:                              ;   in Loop: Header=BB310_16 Depth=1
	v_ffbh_u32_e32 v0, v0
	v_min_u32_e32 v4, 32, v0
	v_subrev_nc_u32_e32 v0, 28, v4
	v_lshlrev_b64 v[0:1], v0, v[7:8]
	v_sub_nc_u32_e32 v1, 29, v4
	v_and_b32_e32 v0, 7, v0
; %bb.704:                              ;   in Loop: Header=BB310_16 Depth=1
	s_or_b32 exec_lo, exec_lo, s28
	v_mov_b32_e32 v4, 8
	v_lshl_add_u32 v1, v1, 10, 0x2000
	v_lshlrev_b32_e32 v0, 23, v0
	v_lshlrev_b32_sdwa v4, v4, v7 dst_sel:DWORD dst_unused:UNUSED_PAD src0_sel:DWORD src1_sel:WORD_0
	v_and_or_b32 v1, 0x8000, v4, v1
	v_lshl_or_b32 v119, v1, 16, v0
.LBB310_705:                            ;   in Loop: Header=BB310_16 Depth=1
	s_or_b32 exec_lo, exec_lo, s27
.LBB310_706:                            ;   in Loop: Header=BB310_16 Depth=1
	s_or_b32 exec_lo, exec_lo, s26
.LBB310_707:                            ;   in Loop: Header=BB310_16 Depth=1
	s_or_b32 exec_lo, exec_lo, s25
	v_lshrrev_b32_e32 v7, 16, v34
	v_cmp_ne_u16_sdwa s5, v7, v8 src0_sel:BYTE_0 src1_sel:DWORD
	s_and_saveexec_b32 s25, s5
	s_cbranch_execz .LBB310_715
; %bb.708:                              ;   in Loop: Header=BB310_16 Depth=1
	v_cmp_ne_u16_sdwa s5, v7, v68 src0_sel:BYTE_0 src1_sel:DWORD
	v_mov_b32_e32 v118, 0x8000
	s_and_saveexec_b32 s26, s5
	s_cbranch_execz .LBB310_714
; %bb.709:                              ;   in Loop: Header=BB310_16 Depth=1
	v_bfe_u32 v4, v34, 16, 7
	v_mov_b32_e32 v118, 0x7c01
	s_mov_b32 s27, exec_lo
	v_cmpx_ne_u32_e32 0x7f, v4
	s_cbranch_execz .LBB310_713
; %bb.710:                              ;   in Loop: Header=BB310_16 Depth=1
	v_and_b32_e32 v0, 7, v7
	v_lshrrev_b32_e32 v1, 3, v4
	s_mov_b32 s28, exec_lo
	v_cmpx_gt_u32_e32 8, v4
; %bb.711:                              ;   in Loop: Header=BB310_16 Depth=1
	v_ffbh_u32_e32 v0, v0
	v_min_u32_e32 v4, 32, v0
	v_subrev_nc_u32_e32 v0, 28, v4
	v_lshlrev_b64 v[0:1], v0, v[7:8]
	v_sub_nc_u32_e32 v1, 29, v4
	v_and_b32_e32 v0, 7, v0
; %bb.712:                              ;   in Loop: Header=BB310_16 Depth=1
	s_or_b32 exec_lo, exec_lo, s28
	v_lshlrev_b32_e32 v4, 8, v7
	v_lshl_add_u32 v1, v1, 10, 0x2000
	v_lshlrev_b32_e32 v0, 7, v0
	v_and_b32_e32 v4, 0x8000, v4
	v_and_b32_e32 v1, 0xfc00, v1
	v_or3_b32 v118, v4, v1, v0
.LBB310_713:                            ;   in Loop: Header=BB310_16 Depth=1
	s_or_b32 exec_lo, exec_lo, s27
.LBB310_714:                            ;   in Loop: Header=BB310_16 Depth=1
	s_or_b32 exec_lo, exec_lo, s26
.LBB310_715:                            ;   in Loop: Header=BB310_16 Depth=1
	s_or_b32 exec_lo, exec_lo, s25
	v_mov_b32_e32 v6, 0
	v_mov_b32_e32 v41, 0
	s_mov_b32 s25, exec_lo
	v_cmpx_lt_u64_e64 s[20:21], v[33:34]
	s_cbranch_execz .LBB310_723
; %bb.716:                              ;   in Loop: Header=BB310_16 Depth=1
	v_lshrrev_b32_e32 v7, 24, v34
	v_bfrev_b32_e32 v41, 1
	s_mov_b32 s26, exec_lo
	v_cmpx_ne_u32_e32 0x80, v7
	s_cbranch_execz .LBB310_722
; %bb.717:                              ;   in Loop: Header=BB310_16 Depth=1
	v_and_b32_e32 v4, 0x7f, v7
	v_mov_b32_e32 v41, 0x7c010000
	s_mov_b32 s27, exec_lo
	v_cmpx_ne_u32_e32 0x7f, v4
	s_cbranch_execz .LBB310_721
; %bb.718:                              ;   in Loop: Header=BB310_16 Depth=1
	v_and_b32_e32 v0, 7, v7
	v_lshrrev_b32_e32 v1, 3, v4
	s_mov_b32 s28, exec_lo
	v_cmpx_gt_u32_e32 8, v4
; %bb.719:                              ;   in Loop: Header=BB310_16 Depth=1
	v_ffbh_u32_e32 v0, v0
	v_min_u32_e32 v4, 32, v0
	v_subrev_nc_u32_e32 v0, 28, v4
	v_lshlrev_b64 v[0:1], v0, v[7:8]
	v_sub_nc_u32_e32 v1, 29, v4
	v_and_b32_e32 v0, 7, v0
; %bb.720:                              ;   in Loop: Header=BB310_16 Depth=1
	s_or_b32 exec_lo, exec_lo, s28
	v_lshlrev_b32_e32 v4, 8, v7
	v_lshl_add_u32 v1, v1, 10, 0x2000
	v_lshlrev_b32_e32 v0, 23, v0
	v_and_or_b32 v1, 0x8000, v4, v1
	v_lshl_or_b32 v41, v1, 16, v0
.LBB310_721:                            ;   in Loop: Header=BB310_16 Depth=1
	s_or_b32 exec_lo, exec_lo, s27
.LBB310_722:                            ;   in Loop: Header=BB310_16 Depth=1
	s_or_b32 exec_lo, exec_lo, s26
.LBB310_723:                            ;   in Loop: Header=BB310_16 Depth=1
	s_or_b32 exec_lo, exec_lo, s25
	flat_load_dwordx2 v[33:34], v[31:32] offset:520
	s_waitcnt vmcnt(0) lgkmcnt(0)
	v_cmp_ne_u16_sdwa s5, v33, v8 src0_sel:BYTE_0 src1_sel:DWORD
	s_and_saveexec_b32 s25, s5
	s_cbranch_execz .LBB310_731
; %bb.724:                              ;   in Loop: Header=BB310_16 Depth=1
	v_cmp_ne_u16_sdwa s5, v33, v68 src0_sel:BYTE_0 src1_sel:DWORD
	v_mov_b32_e32 v6, 0x8000
	s_and_saveexec_b32 s26, s5
	s_cbranch_execz .LBB310_730
; %bb.725:                              ;   in Loop: Header=BB310_16 Depth=1
	v_and_b32_e32 v4, 0x7f, v33
	v_mov_b32_e32 v6, 0x7c01
	s_mov_b32 s27, exec_lo
	v_cmpx_ne_u32_e32 0x7f, v4
	s_cbranch_execz .LBB310_729
; %bb.726:                              ;   in Loop: Header=BB310_16 Depth=1
	v_and_b32_e32 v0, 7, v33
	v_lshrrev_b32_e32 v1, 3, v4
	s_mov_b32 s28, exec_lo
	v_cmpx_gt_u32_e32 8, v4
; %bb.727:                              ;   in Loop: Header=BB310_16 Depth=1
	v_ffbh_u32_e32 v0, v0
	v_min_u32_e32 v4, 32, v0
	v_subrev_nc_u32_e32 v0, 28, v4
	v_lshlrev_b64 v[0:1], v0, v[33:34]
	v_sub_nc_u32_e32 v1, 29, v4
	v_and_b32_e32 v0, 7, v0
; %bb.728:                              ;   in Loop: Header=BB310_16 Depth=1
	s_or_b32 exec_lo, exec_lo, s28
	v_lshlrev_b32_e32 v4, 8, v33
	v_lshl_add_u32 v1, v1, 10, 0x2000
	v_lshlrev_b32_e32 v0, 7, v0
	v_and_b32_e32 v4, 0x8000, v4
	v_and_b32_e32 v1, 0xfc00, v1
	v_or3_b32 v6, v4, v1, v0
.LBB310_729:                            ;   in Loop: Header=BB310_16 Depth=1
	s_or_b32 exec_lo, exec_lo, s27
.LBB310_730:                            ;   in Loop: Header=BB310_16 Depth=1
	s_or_b32 exec_lo, exec_lo, s26
.LBB310_731:                            ;   in Loop: Header=BB310_16 Depth=1
	s_or_b32 exec_lo, exec_lo, s25
	v_lshrrev_b16 v7, 8, v33
	v_mov_b32_e32 v21, 0
	v_mov_b32_e32 v13, 0
	s_mov_b32 s25, exec_lo
	v_cmpx_ne_u16_e32 0, v7
	s_cbranch_execz .LBB310_739
; %bb.732:                              ;   in Loop: Header=BB310_16 Depth=1
	v_bfrev_b32_e32 v13, 1
	s_mov_b32 s26, exec_lo
	v_cmpx_ne_u16_e32 0x80, v7
	s_cbranch_execz .LBB310_738
; %bb.733:                              ;   in Loop: Header=BB310_16 Depth=1
	v_mov_b32_e32 v0, 0x7f
	v_mov_b32_e32 v13, 0x7c010000
	s_mov_b32 s27, exec_lo
	v_and_b32_sdwa v4, v7, v0 dst_sel:DWORD dst_unused:UNUSED_PAD src0_sel:WORD_0 src1_sel:DWORD
	v_cmpx_ne_u32_e32 0x7f, v4
	s_cbranch_execz .LBB310_737
; %bb.734:                              ;   in Loop: Header=BB310_16 Depth=1
	v_mov_b32_e32 v0, 7
	v_lshrrev_b32_e32 v1, 3, v4
	s_mov_b32 s28, exec_lo
	v_and_b32_sdwa v0, v7, v0 dst_sel:DWORD dst_unused:UNUSED_PAD src0_sel:WORD_0 src1_sel:DWORD
	v_cmpx_gt_u32_e32 8, v4
; %bb.735:                              ;   in Loop: Header=BB310_16 Depth=1
	v_ffbh_u32_e32 v0, v0
	v_min_u32_e32 v4, 32, v0
	v_subrev_nc_u32_e32 v0, 28, v4
	v_lshlrev_b64 v[0:1], v0, v[7:8]
	v_sub_nc_u32_e32 v1, 29, v4
	v_and_b32_e32 v0, 7, v0
; %bb.736:                              ;   in Loop: Header=BB310_16 Depth=1
	s_or_b32 exec_lo, exec_lo, s28
	v_mov_b32_e32 v4, 8
	v_lshl_add_u32 v1, v1, 10, 0x2000
	v_lshlrev_b32_e32 v0, 23, v0
	v_lshlrev_b32_sdwa v4, v4, v7 dst_sel:DWORD dst_unused:UNUSED_PAD src0_sel:DWORD src1_sel:WORD_0
	v_and_or_b32 v1, 0x8000, v4, v1
	v_lshl_or_b32 v13, v1, 16, v0
.LBB310_737:                            ;   in Loop: Header=BB310_16 Depth=1
	s_or_b32 exec_lo, exec_lo, s27
.LBB310_738:                            ;   in Loop: Header=BB310_16 Depth=1
	s_or_b32 exec_lo, exec_lo, s26
.LBB310_739:                            ;   in Loop: Header=BB310_16 Depth=1
	s_or_b32 exec_lo, exec_lo, s25
	v_lshrrev_b32_e32 v7, 16, v33
	v_cmp_ne_u16_sdwa s5, v7, v8 src0_sel:BYTE_0 src1_sel:DWORD
	s_and_saveexec_b32 s25, s5
	s_cbranch_execz .LBB310_747
; %bb.740:                              ;   in Loop: Header=BB310_16 Depth=1
	v_cmp_ne_u16_sdwa s5, v7, v68 src0_sel:BYTE_0 src1_sel:DWORD
	v_mov_b32_e32 v21, 0x8000
	s_and_saveexec_b32 s26, s5
	s_cbranch_execz .LBB310_746
; %bb.741:                              ;   in Loop: Header=BB310_16 Depth=1
	v_bfe_u32 v4, v33, 16, 7
	v_mov_b32_e32 v21, 0x7c01
	s_mov_b32 s27, exec_lo
	v_cmpx_ne_u32_e32 0x7f, v4
	s_cbranch_execz .LBB310_745
; %bb.742:                              ;   in Loop: Header=BB310_16 Depth=1
	v_and_b32_e32 v0, 7, v7
	v_lshrrev_b32_e32 v1, 3, v4
	s_mov_b32 s28, exec_lo
	v_cmpx_gt_u32_e32 8, v4
; %bb.743:                              ;   in Loop: Header=BB310_16 Depth=1
	v_ffbh_u32_e32 v0, v0
	v_min_u32_e32 v4, 32, v0
	v_subrev_nc_u32_e32 v0, 28, v4
	v_lshlrev_b64 v[0:1], v0, v[7:8]
	v_sub_nc_u32_e32 v1, 29, v4
	v_and_b32_e32 v0, 7, v0
; %bb.744:                              ;   in Loop: Header=BB310_16 Depth=1
	s_or_b32 exec_lo, exec_lo, s28
	v_lshlrev_b32_e32 v4, 8, v7
	v_lshl_add_u32 v1, v1, 10, 0x2000
	v_lshlrev_b32_e32 v0, 7, v0
	v_and_b32_e32 v4, 0x8000, v4
	v_and_b32_e32 v1, 0xfc00, v1
	v_or3_b32 v21, v4, v1, v0
.LBB310_745:                            ;   in Loop: Header=BB310_16 Depth=1
	s_or_b32 exec_lo, exec_lo, s27
.LBB310_746:                            ;   in Loop: Header=BB310_16 Depth=1
	s_or_b32 exec_lo, exec_lo, s26
.LBB310_747:                            ;   in Loop: Header=BB310_16 Depth=1
	s_or_b32 exec_lo, exec_lo, s25
	v_mov_b32_e32 v25, 0
	v_mov_b32_e32 v24, 0
	s_mov_b32 s25, exec_lo
	v_cmpx_lt_u32_e32 0xffffff, v33
	s_cbranch_execz .LBB310_755
; %bb.748:                              ;   in Loop: Header=BB310_16 Depth=1
	v_lshrrev_b32_e32 v7, 24, v33
	v_bfrev_b32_e32 v24, 1
	s_mov_b32 s26, exec_lo
	v_cmpx_ne_u32_e32 0x80, v7
	s_cbranch_execz .LBB310_754
; %bb.749:                              ;   in Loop: Header=BB310_16 Depth=1
	v_and_b32_e32 v4, 0x7f, v7
	v_mov_b32_e32 v24, 0x7c010000
	s_mov_b32 s27, exec_lo
	v_cmpx_ne_u32_e32 0x7f, v4
	s_cbranch_execz .LBB310_753
; %bb.750:                              ;   in Loop: Header=BB310_16 Depth=1
	v_and_b32_e32 v0, 7, v7
	v_lshrrev_b32_e32 v1, 3, v4
	s_mov_b32 s28, exec_lo
	v_cmpx_gt_u32_e32 8, v4
; %bb.751:                              ;   in Loop: Header=BB310_16 Depth=1
	v_ffbh_u32_e32 v0, v0
	v_min_u32_e32 v4, 32, v0
	v_subrev_nc_u32_e32 v0, 28, v4
	v_lshlrev_b64 v[0:1], v0, v[7:8]
	v_sub_nc_u32_e32 v1, 29, v4
	v_and_b32_e32 v0, 7, v0
; %bb.752:                              ;   in Loop: Header=BB310_16 Depth=1
	s_or_b32 exec_lo, exec_lo, s28
	v_lshlrev_b32_e32 v4, 8, v7
	v_lshl_add_u32 v1, v1, 10, 0x2000
	v_lshlrev_b32_e32 v0, 23, v0
	v_and_or_b32 v1, 0x8000, v4, v1
	v_lshl_or_b32 v24, v1, 16, v0
.LBB310_753:                            ;   in Loop: Header=BB310_16 Depth=1
	s_or_b32 exec_lo, exec_lo, s27
.LBB310_754:                            ;   in Loop: Header=BB310_16 Depth=1
	s_or_b32 exec_lo, exec_lo, s26
.LBB310_755:                            ;   in Loop: Header=BB310_16 Depth=1
	s_or_b32 exec_lo, exec_lo, s25
	v_mov_b32_e32 v7, v34
	v_cmp_ne_u16_sdwa s5, v34, v8 src0_sel:BYTE_0 src1_sel:DWORD
	s_and_saveexec_b32 s25, s5
	s_cbranch_execz .LBB310_763
; %bb.756:                              ;   in Loop: Header=BB310_16 Depth=1
	v_cmp_ne_u16_sdwa s5, v34, v68 src0_sel:BYTE_0 src1_sel:DWORD
	v_mov_b32_e32 v25, 0x8000
	s_and_saveexec_b32 s26, s5
	s_cbranch_execz .LBB310_762
; %bb.757:                              ;   in Loop: Header=BB310_16 Depth=1
	v_and_b32_e32 v4, 0x7f, v34
	v_mov_b32_e32 v25, 0x7c01
	s_mov_b32 s27, exec_lo
	v_cmpx_ne_u32_e32 0x7f, v4
	s_cbranch_execz .LBB310_761
; %bb.758:                              ;   in Loop: Header=BB310_16 Depth=1
	v_and_b32_e32 v0, 7, v34
	v_lshrrev_b32_e32 v1, 3, v4
	s_mov_b32 s28, exec_lo
	v_cmpx_gt_u32_e32 8, v4
; %bb.759:                              ;   in Loop: Header=BB310_16 Depth=1
	v_ffbh_u32_e32 v0, v0
	v_min_u32_e32 v4, 32, v0
	v_subrev_nc_u32_e32 v0, 28, v4
	v_lshlrev_b64 v[0:1], v0, v[7:8]
	v_sub_nc_u32_e32 v1, 29, v4
	v_and_b32_e32 v0, 7, v0
; %bb.760:                              ;   in Loop: Header=BB310_16 Depth=1
	s_or_b32 exec_lo, exec_lo, s28
	v_lshlrev_b32_e32 v4, 8, v34
	v_lshl_add_u32 v1, v1, 10, 0x2000
	v_lshlrev_b32_e32 v0, 7, v0
	v_and_b32_e32 v4, 0x8000, v4
	v_and_b32_e32 v1, 0xfc00, v1
	v_or3_b32 v25, v4, v1, v0
.LBB310_761:                            ;   in Loop: Header=BB310_16 Depth=1
	s_or_b32 exec_lo, exec_lo, s27
.LBB310_762:                            ;   in Loop: Header=BB310_16 Depth=1
	s_or_b32 exec_lo, exec_lo, s26
.LBB310_763:                            ;   in Loop: Header=BB310_16 Depth=1
	s_or_b32 exec_lo, exec_lo, s25
	v_lshrrev_b16 v7, 8, v7
	v_mov_b32_e32 v55, 0
	v_mov_b32_e32 v102, 0
	s_mov_b32 s25, exec_lo
	v_cmpx_ne_u16_e32 0, v7
	s_cbranch_execz .LBB310_771
; %bb.764:                              ;   in Loop: Header=BB310_16 Depth=1
	v_bfrev_b32_e32 v102, 1
	s_mov_b32 s26, exec_lo
	v_cmpx_ne_u16_e32 0x80, v7
	s_cbranch_execz .LBB310_770
; %bb.765:                              ;   in Loop: Header=BB310_16 Depth=1
	v_mov_b32_e32 v0, 0x7f
	v_mov_b32_e32 v102, 0x7c010000
	s_mov_b32 s27, exec_lo
	v_and_b32_sdwa v4, v7, v0 dst_sel:DWORD dst_unused:UNUSED_PAD src0_sel:WORD_0 src1_sel:DWORD
	v_cmpx_ne_u32_e32 0x7f, v4
	s_cbranch_execz .LBB310_769
; %bb.766:                              ;   in Loop: Header=BB310_16 Depth=1
	v_mov_b32_e32 v0, 7
	v_lshrrev_b32_e32 v1, 3, v4
	s_mov_b32 s28, exec_lo
	v_and_b32_sdwa v0, v7, v0 dst_sel:DWORD dst_unused:UNUSED_PAD src0_sel:WORD_0 src1_sel:DWORD
	v_cmpx_gt_u32_e32 8, v4
; %bb.767:                              ;   in Loop: Header=BB310_16 Depth=1
	v_ffbh_u32_e32 v0, v0
	v_min_u32_e32 v4, 32, v0
	v_subrev_nc_u32_e32 v0, 28, v4
	v_lshlrev_b64 v[0:1], v0, v[7:8]
	v_sub_nc_u32_e32 v1, 29, v4
	v_and_b32_e32 v0, 7, v0
; %bb.768:                              ;   in Loop: Header=BB310_16 Depth=1
	s_or_b32 exec_lo, exec_lo, s28
	v_mov_b32_e32 v4, 8
	v_lshl_add_u32 v1, v1, 10, 0x2000
	v_lshlrev_b32_e32 v0, 23, v0
	v_lshlrev_b32_sdwa v4, v4, v7 dst_sel:DWORD dst_unused:UNUSED_PAD src0_sel:DWORD src1_sel:WORD_0
	v_and_or_b32 v1, 0x8000, v4, v1
	v_lshl_or_b32 v102, v1, 16, v0
.LBB310_769:                            ;   in Loop: Header=BB310_16 Depth=1
	s_or_b32 exec_lo, exec_lo, s27
.LBB310_770:                            ;   in Loop: Header=BB310_16 Depth=1
	s_or_b32 exec_lo, exec_lo, s26
.LBB310_771:                            ;   in Loop: Header=BB310_16 Depth=1
	s_or_b32 exec_lo, exec_lo, s25
	v_lshrrev_b32_e32 v7, 16, v34
	v_cmp_ne_u16_sdwa s5, v7, v8 src0_sel:BYTE_0 src1_sel:DWORD
	s_and_saveexec_b32 s25, s5
	s_cbranch_execz .LBB310_779
; %bb.772:                              ;   in Loop: Header=BB310_16 Depth=1
	v_cmp_ne_u16_sdwa s5, v7, v68 src0_sel:BYTE_0 src1_sel:DWORD
	v_mov_b32_e32 v55, 0x8000
	s_and_saveexec_b32 s26, s5
	s_cbranch_execz .LBB310_778
; %bb.773:                              ;   in Loop: Header=BB310_16 Depth=1
	v_bfe_u32 v4, v34, 16, 7
	v_mov_b32_e32 v55, 0x7c01
	s_mov_b32 s27, exec_lo
	v_cmpx_ne_u32_e32 0x7f, v4
	s_cbranch_execz .LBB310_777
; %bb.774:                              ;   in Loop: Header=BB310_16 Depth=1
	v_and_b32_e32 v0, 7, v7
	v_lshrrev_b32_e32 v1, 3, v4
	s_mov_b32 s28, exec_lo
	v_cmpx_gt_u32_e32 8, v4
; %bb.775:                              ;   in Loop: Header=BB310_16 Depth=1
	v_ffbh_u32_e32 v0, v0
	v_min_u32_e32 v4, 32, v0
	v_subrev_nc_u32_e32 v0, 28, v4
	v_lshlrev_b64 v[0:1], v0, v[7:8]
	v_sub_nc_u32_e32 v1, 29, v4
	v_and_b32_e32 v0, 7, v0
; %bb.776:                              ;   in Loop: Header=BB310_16 Depth=1
	s_or_b32 exec_lo, exec_lo, s28
	v_lshlrev_b32_e32 v4, 8, v7
	v_lshl_add_u32 v1, v1, 10, 0x2000
	v_lshlrev_b32_e32 v0, 7, v0
	v_and_b32_e32 v4, 0x8000, v4
	v_and_b32_e32 v1, 0xfc00, v1
	v_or3_b32 v55, v4, v1, v0
.LBB310_777:                            ;   in Loop: Header=BB310_16 Depth=1
	s_or_b32 exec_lo, exec_lo, s27
.LBB310_778:                            ;   in Loop: Header=BB310_16 Depth=1
	s_or_b32 exec_lo, exec_lo, s26
.LBB310_779:                            ;   in Loop: Header=BB310_16 Depth=1
	s_or_b32 exec_lo, exec_lo, s25
	v_mov_b32_e32 v0, 0
	v_mov_b32_e32 v103, 0
	s_mov_b32 s25, exec_lo
	v_cmpx_lt_u64_e64 s[20:21], v[33:34]
	s_cbranch_execz .LBB310_787
; %bb.780:                              ;   in Loop: Header=BB310_16 Depth=1
	v_lshrrev_b32_e32 v7, 24, v34
	v_bfrev_b32_e32 v103, 1
	s_mov_b32 s26, exec_lo
	v_cmpx_ne_u32_e32 0x80, v7
	s_cbranch_execz .LBB310_786
; %bb.781:                              ;   in Loop: Header=BB310_16 Depth=1
	v_and_b32_e32 v5, 0x7f, v7
	v_mov_b32_e32 v103, 0x7c010000
	s_mov_b32 s27, exec_lo
	v_cmpx_ne_u32_e32 0x7f, v5
	s_cbranch_execz .LBB310_785
; %bb.782:                              ;   in Loop: Header=BB310_16 Depth=1
	v_and_b32_e32 v1, 7, v7
	v_lshrrev_b32_e32 v4, 3, v5
	s_mov_b32 s28, exec_lo
	v_cmpx_gt_u32_e32 8, v5
; %bb.783:                              ;   in Loop: Header=BB310_16 Depth=1
	v_ffbh_u32_e32 v1, v1
	v_min_u32_e32 v1, 32, v1
	v_subrev_nc_u32_e32 v4, 28, v1
	v_lshlrev_b64 v[17:18], v4, v[7:8]
	v_sub_nc_u32_e32 v4, 29, v1
	v_and_b32_e32 v1, 7, v17
; %bb.784:                              ;   in Loop: Header=BB310_16 Depth=1
	s_or_b32 exec_lo, exec_lo, s28
	v_lshlrev_b32_e32 v5, 8, v7
	v_lshl_add_u32 v4, v4, 10, 0x2000
	v_lshlrev_b32_e32 v1, 23, v1
	v_and_or_b32 v4, 0x8000, v5, v4
	v_lshl_or_b32 v103, v4, 16, v1
.LBB310_785:                            ;   in Loop: Header=BB310_16 Depth=1
	s_or_b32 exec_lo, exec_lo, s27
.LBB310_786:                            ;   in Loop: Header=BB310_16 Depth=1
	s_or_b32 exec_lo, exec_lo, s26
.LBB310_787:                            ;   in Loop: Header=BB310_16 Depth=1
	s_or_b32 exec_lo, exec_lo, s25
	flat_load_dwordx2 v[33:34], v[31:32] offset:1024
	s_waitcnt vmcnt(0) lgkmcnt(0)
	v_cmp_ne_u16_sdwa s5, v33, v8 src0_sel:BYTE_0 src1_sel:DWORD
	s_and_saveexec_b32 s25, s5
	s_cbranch_execz .LBB310_795
; %bb.788:                              ;   in Loop: Header=BB310_16 Depth=1
	v_cmp_ne_u16_sdwa s5, v33, v68 src0_sel:BYTE_0 src1_sel:DWORD
	v_mov_b32_e32 v0, 0x8000
	s_and_saveexec_b32 s26, s5
	s_cbranch_execz .LBB310_794
; %bb.789:                              ;   in Loop: Header=BB310_16 Depth=1
	v_and_b32_e32 v4, 0x7f, v33
	v_mov_b32_e32 v0, 0x7c01
	s_mov_b32 s27, exec_lo
	v_cmpx_ne_u32_e32 0x7f, v4
	s_cbranch_execz .LBB310_793
; %bb.790:                              ;   in Loop: Header=BB310_16 Depth=1
	v_and_b32_e32 v0, 7, v33
	v_lshrrev_b32_e32 v1, 3, v4
	s_mov_b32 s28, exec_lo
	v_cmpx_gt_u32_e32 8, v4
; %bb.791:                              ;   in Loop: Header=BB310_16 Depth=1
	v_ffbh_u32_e32 v0, v0
	v_min_u32_e32 v4, 32, v0
	v_subrev_nc_u32_e32 v0, 28, v4
	v_lshlrev_b64 v[0:1], v0, v[33:34]
	v_sub_nc_u32_e32 v1, 29, v4
	v_and_b32_e32 v0, 7, v0
; %bb.792:                              ;   in Loop: Header=BB310_16 Depth=1
	s_or_b32 exec_lo, exec_lo, s28
	v_lshlrev_b32_e32 v4, 8, v33
	v_lshl_add_u32 v1, v1, 10, 0x2000
	v_lshlrev_b32_e32 v0, 7, v0
	v_and_b32_e32 v4, 0x8000, v4
	v_and_b32_e32 v1, 0xfc00, v1
	v_or3_b32 v0, v4, v1, v0
.LBB310_793:                            ;   in Loop: Header=BB310_16 Depth=1
	s_or_b32 exec_lo, exec_lo, s27
.LBB310_794:                            ;   in Loop: Header=BB310_16 Depth=1
	s_or_b32 exec_lo, exec_lo, s26
.LBB310_795:                            ;   in Loop: Header=BB310_16 Depth=1
	s_or_b32 exec_lo, exec_lo, s25
	v_lshrrev_b16 v7, 8, v33
	v_mov_b32_e32 v12, 0
	v_mov_b32_e32 v1, 0
	s_mov_b32 s25, exec_lo
	v_cmpx_ne_u16_e32 0, v7
	s_cbranch_execz .LBB310_803
; %bb.796:                              ;   in Loop: Header=BB310_16 Depth=1
	v_bfrev_b32_e32 v1, 1
	s_mov_b32 s26, exec_lo
	v_cmpx_ne_u16_e32 0x80, v7
	s_cbranch_execz .LBB310_802
; %bb.797:                              ;   in Loop: Header=BB310_16 Depth=1
	v_mov_b32_e32 v1, 0x7f
	s_mov_b32 s27, exec_lo
	v_and_b32_sdwa v5, v7, v1 dst_sel:DWORD dst_unused:UNUSED_PAD src0_sel:WORD_0 src1_sel:DWORD
	v_mov_b32_e32 v1, 0x7c010000
	v_cmpx_ne_u32_e32 0x7f, v5
	s_cbranch_execz .LBB310_801
; %bb.798:                              ;   in Loop: Header=BB310_16 Depth=1
	v_mov_b32_e32 v1, 7
	v_lshrrev_b32_e32 v4, 3, v5
	s_mov_b32 s28, exec_lo
	v_and_b32_sdwa v1, v7, v1 dst_sel:DWORD dst_unused:UNUSED_PAD src0_sel:WORD_0 src1_sel:DWORD
	v_cmpx_gt_u32_e32 8, v5
; %bb.799:                              ;   in Loop: Header=BB310_16 Depth=1
	v_ffbh_u32_e32 v1, v1
	v_min_u32_e32 v1, 32, v1
	v_subrev_nc_u32_e32 v4, 28, v1
	v_lshlrev_b64 v[17:18], v4, v[7:8]
	v_sub_nc_u32_e32 v4, 29, v1
	v_and_b32_e32 v1, 7, v17
; %bb.800:                              ;   in Loop: Header=BB310_16 Depth=1
	s_or_b32 exec_lo, exec_lo, s28
	v_mov_b32_e32 v5, 8
	v_lshl_add_u32 v4, v4, 10, 0x2000
	v_lshlrev_b32_e32 v1, 23, v1
	v_lshlrev_b32_sdwa v5, v5, v7 dst_sel:DWORD dst_unused:UNUSED_PAD src0_sel:DWORD src1_sel:WORD_0
	v_and_or_b32 v4, 0x8000, v5, v4
	v_lshl_or_b32 v1, v4, 16, v1
.LBB310_801:                            ;   in Loop: Header=BB310_16 Depth=1
	s_or_b32 exec_lo, exec_lo, s27
.LBB310_802:                            ;   in Loop: Header=BB310_16 Depth=1
	s_or_b32 exec_lo, exec_lo, s26
.LBB310_803:                            ;   in Loop: Header=BB310_16 Depth=1
	s_or_b32 exec_lo, exec_lo, s25
	v_lshrrev_b32_e32 v7, 16, v33
	v_cmp_ne_u16_sdwa s5, v7, v8 src0_sel:BYTE_0 src1_sel:DWORD
	s_and_saveexec_b32 s25, s5
	s_cbranch_execz .LBB310_811
; %bb.804:                              ;   in Loop: Header=BB310_16 Depth=1
	v_cmp_ne_u16_sdwa s5, v7, v68 src0_sel:BYTE_0 src1_sel:DWORD
	v_mov_b32_e32 v12, 0x8000
	s_and_saveexec_b32 s26, s5
	s_cbranch_execz .LBB310_810
; %bb.805:                              ;   in Loop: Header=BB310_16 Depth=1
	v_bfe_u32 v14, v33, 16, 7
	v_mov_b32_e32 v12, 0x7c01
	s_mov_b32 s27, exec_lo
	v_cmpx_ne_u32_e32 0x7f, v14
	s_cbranch_execz .LBB310_809
; %bb.806:                              ;   in Loop: Header=BB310_16 Depth=1
	v_and_b32_e32 v4, 7, v7
	v_lshrrev_b32_e32 v5, 3, v14
	s_mov_b32 s28, exec_lo
	v_cmpx_gt_u32_e32 8, v14
; %bb.807:                              ;   in Loop: Header=BB310_16 Depth=1
	v_ffbh_u32_e32 v4, v4
	v_min_u32_e32 v12, 32, v4
	v_subrev_nc_u32_e32 v4, 28, v12
	v_lshlrev_b64 v[4:5], v4, v[7:8]
	v_sub_nc_u32_e32 v5, 29, v12
	v_and_b32_e32 v4, 7, v4
; %bb.808:                              ;   in Loop: Header=BB310_16 Depth=1
	s_or_b32 exec_lo, exec_lo, s28
	v_lshlrev_b32_e32 v7, 8, v7
	v_lshl_add_u32 v5, v5, 10, 0x2000
	v_lshlrev_b32_e32 v4, 7, v4
	v_and_b32_e32 v7, 0x8000, v7
	v_and_b32_e32 v5, 0xfc00, v5
	v_or3_b32 v12, v7, v5, v4
.LBB310_809:                            ;   in Loop: Header=BB310_16 Depth=1
	s_or_b32 exec_lo, exec_lo, s27
.LBB310_810:                            ;   in Loop: Header=BB310_16 Depth=1
	s_or_b32 exec_lo, exec_lo, s26
.LBB310_811:                            ;   in Loop: Header=BB310_16 Depth=1
	s_or_b32 exec_lo, exec_lo, s25
	v_mov_b32_e32 v14, 0
	v_mov_b32_e32 v18, 0
	s_mov_b32 s25, exec_lo
	v_cmpx_lt_u32_e32 0xffffff, v33
	s_cbranch_execz .LBB310_819
; %bb.812:                              ;   in Loop: Header=BB310_16 Depth=1
	v_lshrrev_b32_e32 v7, 24, v33
	v_bfrev_b32_e32 v18, 1
	s_mov_b32 s26, exec_lo
	v_cmpx_ne_u32_e32 0x80, v7
	s_cbranch_execz .LBB310_818
; %bb.813:                              ;   in Loop: Header=BB310_16 Depth=1
	v_and_b32_e32 v17, 0x7f, v7
	v_mov_b32_e32 v18, 0x7c010000
	s_mov_b32 s27, exec_lo
	v_cmpx_ne_u32_e32 0x7f, v17
	s_cbranch_execz .LBB310_817
; %bb.814:                              ;   in Loop: Header=BB310_16 Depth=1
	v_and_b32_e32 v4, 7, v7
	v_lshrrev_b32_e32 v5, 3, v17
	s_mov_b32 s28, exec_lo
	v_cmpx_gt_u32_e32 8, v17
; %bb.815:                              ;   in Loop: Header=BB310_16 Depth=1
	v_ffbh_u32_e32 v4, v4
	v_min_u32_e32 v17, 32, v4
	v_subrev_nc_u32_e32 v4, 28, v17
	v_lshlrev_b64 v[4:5], v4, v[7:8]
	v_sub_nc_u32_e32 v5, 29, v17
	v_and_b32_e32 v4, 7, v4
; %bb.816:                              ;   in Loop: Header=BB310_16 Depth=1
	s_or_b32 exec_lo, exec_lo, s28
	v_lshlrev_b32_e32 v7, 8, v7
	v_lshl_add_u32 v5, v5, 10, 0x2000
	v_lshlrev_b32_e32 v4, 23, v4
	v_and_or_b32 v5, 0x8000, v7, v5
	v_lshl_or_b32 v18, v5, 16, v4
.LBB310_817:                            ;   in Loop: Header=BB310_16 Depth=1
	s_or_b32 exec_lo, exec_lo, s27
.LBB310_818:                            ;   in Loop: Header=BB310_16 Depth=1
	s_or_b32 exec_lo, exec_lo, s26
.LBB310_819:                            ;   in Loop: Header=BB310_16 Depth=1
	s_or_b32 exec_lo, exec_lo, s25
	v_mov_b32_e32 v7, v34
	v_cmp_ne_u16_sdwa s5, v34, v8 src0_sel:BYTE_0 src1_sel:DWORD
	s_and_saveexec_b32 s25, s5
	s_cbranch_execz .LBB310_827
; %bb.820:                              ;   in Loop: Header=BB310_16 Depth=1
	v_cmp_ne_u16_sdwa s5, v34, v68 src0_sel:BYTE_0 src1_sel:DWORD
	v_mov_b32_e32 v14, 0x8000
	s_and_saveexec_b32 s26, s5
	s_cbranch_execz .LBB310_826
; %bb.821:                              ;   in Loop: Header=BB310_16 Depth=1
	v_and_b32_e32 v17, 0x7f, v34
	v_mov_b32_e32 v14, 0x7c01
	s_mov_b32 s27, exec_lo
	v_cmpx_ne_u32_e32 0x7f, v17
	s_cbranch_execz .LBB310_825
; %bb.822:                              ;   in Loop: Header=BB310_16 Depth=1
	v_and_b32_e32 v4, 7, v34
	v_lshrrev_b32_e32 v5, 3, v17
	s_mov_b32 s28, exec_lo
	v_cmpx_gt_u32_e32 8, v17
; %bb.823:                              ;   in Loop: Header=BB310_16 Depth=1
	v_ffbh_u32_e32 v4, v4
	v_min_u32_e32 v14, 32, v4
	v_subrev_nc_u32_e32 v4, 28, v14
	v_lshlrev_b64 v[4:5], v4, v[7:8]
	v_sub_nc_u32_e32 v5, 29, v14
	v_and_b32_e32 v4, 7, v4
; %bb.824:                              ;   in Loop: Header=BB310_16 Depth=1
	s_or_b32 exec_lo, exec_lo, s28
	v_lshlrev_b32_e32 v14, 8, v34
	v_lshl_add_u32 v5, v5, 10, 0x2000
	v_lshlrev_b32_e32 v4, 7, v4
	v_and_b32_e32 v14, 0x8000, v14
	v_and_b32_e32 v5, 0xfc00, v5
	v_or3_b32 v14, v14, v5, v4
.LBB310_825:                            ;   in Loop: Header=BB310_16 Depth=1
	s_or_b32 exec_lo, exec_lo, s27
.LBB310_826:                            ;   in Loop: Header=BB310_16 Depth=1
	s_or_b32 exec_lo, exec_lo, s26
.LBB310_827:                            ;   in Loop: Header=BB310_16 Depth=1
	s_or_b32 exec_lo, exec_lo, s25
	v_lshrrev_b16 v7, 8, v7
	v_mov_b32_e32 v71, 0
	v_mov_b32_e32 v81, 0
	s_mov_b32 s25, exec_lo
	v_cmpx_ne_u16_e32 0, v7
	s_cbranch_execz .LBB310_835
; %bb.828:                              ;   in Loop: Header=BB310_16 Depth=1
	v_bfrev_b32_e32 v81, 1
	s_mov_b32 s26, exec_lo
	v_cmpx_ne_u16_e32 0x80, v7
	s_cbranch_execz .LBB310_834
; %bb.829:                              ;   in Loop: Header=BB310_16 Depth=1
	v_mov_b32_e32 v4, 0x7f
	v_mov_b32_e32 v81, 0x7c010000
	s_mov_b32 s27, exec_lo
	v_and_b32_sdwa v17, v7, v4 dst_sel:DWORD dst_unused:UNUSED_PAD src0_sel:WORD_0 src1_sel:DWORD
	v_cmpx_ne_u32_e32 0x7f, v17
	s_cbranch_execz .LBB310_833
; %bb.830:                              ;   in Loop: Header=BB310_16 Depth=1
	v_mov_b32_e32 v4, 7
	v_lshrrev_b32_e32 v5, 3, v17
	s_mov_b32 s28, exec_lo
	v_and_b32_sdwa v4, v7, v4 dst_sel:DWORD dst_unused:UNUSED_PAD src0_sel:WORD_0 src1_sel:DWORD
	v_cmpx_gt_u32_e32 8, v17
; %bb.831:                              ;   in Loop: Header=BB310_16 Depth=1
	v_ffbh_u32_e32 v4, v4
	v_min_u32_e32 v17, 32, v4
	v_subrev_nc_u32_e32 v4, 28, v17
	v_lshlrev_b64 v[4:5], v4, v[7:8]
	v_sub_nc_u32_e32 v5, 29, v17
	v_and_b32_e32 v4, 7, v4
; %bb.832:                              ;   in Loop: Header=BB310_16 Depth=1
	s_or_b32 exec_lo, exec_lo, s28
	v_mov_b32_e32 v17, 8
	v_lshl_add_u32 v5, v5, 10, 0x2000
	v_lshlrev_b32_e32 v4, 23, v4
	v_lshlrev_b32_sdwa v7, v17, v7 dst_sel:DWORD dst_unused:UNUSED_PAD src0_sel:DWORD src1_sel:WORD_0
	v_and_or_b32 v5, 0x8000, v7, v5
	v_lshl_or_b32 v81, v5, 16, v4
.LBB310_833:                            ;   in Loop: Header=BB310_16 Depth=1
	s_or_b32 exec_lo, exec_lo, s27
.LBB310_834:                            ;   in Loop: Header=BB310_16 Depth=1
	s_or_b32 exec_lo, exec_lo, s26
.LBB310_835:                            ;   in Loop: Header=BB310_16 Depth=1
	s_or_b32 exec_lo, exec_lo, s25
	v_lshrrev_b32_e32 v7, 16, v34
	v_cmp_ne_u16_sdwa s5, v7, v8 src0_sel:BYTE_0 src1_sel:DWORD
	s_and_saveexec_b32 s25, s5
	s_cbranch_execz .LBB310_843
; %bb.836:                              ;   in Loop: Header=BB310_16 Depth=1
	v_cmp_ne_u16_sdwa s5, v7, v68 src0_sel:BYTE_0 src1_sel:DWORD
	v_mov_b32_e32 v71, 0x8000
	s_and_saveexec_b32 s26, s5
	s_cbranch_execz .LBB310_842
; %bb.837:                              ;   in Loop: Header=BB310_16 Depth=1
	v_bfe_u32 v17, v34, 16, 7
	v_mov_b32_e32 v71, 0x7c01
	s_mov_b32 s27, exec_lo
	v_cmpx_ne_u32_e32 0x7f, v17
	s_cbranch_execz .LBB310_841
; %bb.838:                              ;   in Loop: Header=BB310_16 Depth=1
	v_and_b32_e32 v4, 7, v7
	v_lshrrev_b32_e32 v5, 3, v17
	s_mov_b32 s28, exec_lo
	v_cmpx_gt_u32_e32 8, v17
; %bb.839:                              ;   in Loop: Header=BB310_16 Depth=1
	v_ffbh_u32_e32 v4, v4
	v_min_u32_e32 v17, 32, v4
	v_subrev_nc_u32_e32 v4, 28, v17
	v_lshlrev_b64 v[4:5], v4, v[7:8]
	v_sub_nc_u32_e32 v5, 29, v17
	v_and_b32_e32 v4, 7, v4
; %bb.840:                              ;   in Loop: Header=BB310_16 Depth=1
	s_or_b32 exec_lo, exec_lo, s28
	v_lshlrev_b32_e32 v7, 8, v7
	v_lshl_add_u32 v5, v5, 10, 0x2000
	v_lshlrev_b32_e32 v4, 7, v4
	v_and_b32_e32 v7, 0x8000, v7
	v_and_b32_e32 v5, 0xfc00, v5
	v_or3_b32 v71, v7, v5, v4
.LBB310_841:                            ;   in Loop: Header=BB310_16 Depth=1
	s_or_b32 exec_lo, exec_lo, s27
.LBB310_842:                            ;   in Loop: Header=BB310_16 Depth=1
	s_or_b32 exec_lo, exec_lo, s26
.LBB310_843:                            ;   in Loop: Header=BB310_16 Depth=1
	s_or_b32 exec_lo, exec_lo, s25
	v_mov_b32_e32 v35, 0
	v_mov_b32_e32 v44, 0
	s_mov_b32 s25, exec_lo
	v_cmpx_lt_u64_e64 s[20:21], v[33:34]
	s_cbranch_execz .LBB310_851
; %bb.844:                              ;   in Loop: Header=BB310_16 Depth=1
	v_lshrrev_b32_e32 v7, 24, v34
	v_bfrev_b32_e32 v44, 1
	s_mov_b32 s26, exec_lo
	v_cmpx_ne_u32_e32 0x80, v7
	s_cbranch_execz .LBB310_850
; %bb.845:                              ;   in Loop: Header=BB310_16 Depth=1
	v_and_b32_e32 v17, 0x7f, v7
	v_mov_b32_e32 v44, 0x7c010000
	s_mov_b32 s27, exec_lo
	v_cmpx_ne_u32_e32 0x7f, v17
	s_cbranch_execz .LBB310_849
; %bb.846:                              ;   in Loop: Header=BB310_16 Depth=1
	v_and_b32_e32 v4, 7, v7
	v_lshrrev_b32_e32 v5, 3, v17
	s_mov_b32 s28, exec_lo
	v_cmpx_gt_u32_e32 8, v17
; %bb.847:                              ;   in Loop: Header=BB310_16 Depth=1
	v_ffbh_u32_e32 v4, v4
	v_min_u32_e32 v17, 32, v4
	v_subrev_nc_u32_e32 v4, 28, v17
	v_lshlrev_b64 v[4:5], v4, v[7:8]
	v_sub_nc_u32_e32 v5, 29, v17
	v_and_b32_e32 v4, 7, v4
; %bb.848:                              ;   in Loop: Header=BB310_16 Depth=1
	s_or_b32 exec_lo, exec_lo, s28
	v_lshlrev_b32_e32 v7, 8, v7
	v_lshl_add_u32 v5, v5, 10, 0x2000
	v_lshlrev_b32_e32 v4, 23, v4
	v_and_or_b32 v5, 0x8000, v7, v5
	v_lshl_or_b32 v44, v5, 16, v4
.LBB310_849:                            ;   in Loop: Header=BB310_16 Depth=1
	s_or_b32 exec_lo, exec_lo, s27
.LBB310_850:                            ;   in Loop: Header=BB310_16 Depth=1
	s_or_b32 exec_lo, exec_lo, s26
.LBB310_851:                            ;   in Loop: Header=BB310_16 Depth=1
	s_or_b32 exec_lo, exec_lo, s25
	flat_load_dwordx2 v[33:34], v[31:32] offset:1032
	s_waitcnt vmcnt(0) lgkmcnt(0)
	v_cmp_ne_u16_sdwa s5, v33, v8 src0_sel:BYTE_0 src1_sel:DWORD
	s_and_saveexec_b32 s25, s5
	s_cbranch_execz .LBB310_859
; %bb.852:                              ;   in Loop: Header=BB310_16 Depth=1
	v_cmp_ne_u16_sdwa s5, v33, v68 src0_sel:BYTE_0 src1_sel:DWORD
	v_mov_b32_e32 v35, 0x8000
	s_and_saveexec_b32 s26, s5
	s_cbranch_execz .LBB310_858
; %bb.853:                              ;   in Loop: Header=BB310_16 Depth=1
	v_and_b32_e32 v7, 0x7f, v33
	v_mov_b32_e32 v35, 0x7c01
	s_mov_b32 s27, exec_lo
	v_cmpx_ne_u32_e32 0x7f, v7
	s_cbranch_execz .LBB310_857
; %bb.854:                              ;   in Loop: Header=BB310_16 Depth=1
	v_and_b32_e32 v4, 7, v33
	v_lshrrev_b32_e32 v5, 3, v7
	s_mov_b32 s28, exec_lo
	v_cmpx_gt_u32_e32 8, v7
; %bb.855:                              ;   in Loop: Header=BB310_16 Depth=1
	v_ffbh_u32_e32 v4, v4
	v_min_u32_e32 v7, 32, v4
	v_subrev_nc_u32_e32 v4, 28, v7
	v_lshlrev_b64 v[4:5], v4, v[33:34]
	v_sub_nc_u32_e32 v5, 29, v7
	v_and_b32_e32 v4, 7, v4
; %bb.856:                              ;   in Loop: Header=BB310_16 Depth=1
	s_or_b32 exec_lo, exec_lo, s28
	v_lshlrev_b32_e32 v7, 8, v33
	v_lshl_add_u32 v5, v5, 10, 0x2000
	v_lshlrev_b32_e32 v4, 7, v4
	v_and_b32_e32 v7, 0x8000, v7
	v_and_b32_e32 v5, 0xfc00, v5
	v_or3_b32 v35, v7, v5, v4
.LBB310_857:                            ;   in Loop: Header=BB310_16 Depth=1
	s_or_b32 exec_lo, exec_lo, s27
.LBB310_858:                            ;   in Loop: Header=BB310_16 Depth=1
	s_or_b32 exec_lo, exec_lo, s26
.LBB310_859:                            ;   in Loop: Header=BB310_16 Depth=1
	s_or_b32 exec_lo, exec_lo, s25
	v_lshrrev_b16 v7, 8, v33
	v_mov_b32_e32 v4, 0
	v_mov_b32_e32 v37, 0
	s_mov_b32 s25, exec_lo
	v_cmpx_ne_u16_e32 0, v7
	s_cbranch_execz .LBB310_867
; %bb.860:                              ;   in Loop: Header=BB310_16 Depth=1
	v_bfrev_b32_e32 v37, 1
	s_mov_b32 s26, exec_lo
	v_cmpx_ne_u16_e32 0x80, v7
	s_cbranch_execz .LBB310_866
; %bb.861:                              ;   in Loop: Header=BB310_16 Depth=1
	v_mov_b32_e32 v5, 0x7f
	v_mov_b32_e32 v37, 0x7c010000
	s_mov_b32 s27, exec_lo
	v_and_b32_sdwa v38, v7, v5 dst_sel:DWORD dst_unused:UNUSED_PAD src0_sel:WORD_0 src1_sel:DWORD
	v_cmpx_ne_u32_e32 0x7f, v38
	s_cbranch_execz .LBB310_865
; %bb.862:                              ;   in Loop: Header=BB310_16 Depth=1
	v_mov_b32_e32 v5, 7
	v_lshrrev_b32_e32 v17, 3, v38
	s_mov_b32 s28, exec_lo
	v_and_b32_sdwa v5, v7, v5 dst_sel:DWORD dst_unused:UNUSED_PAD src0_sel:WORD_0 src1_sel:DWORD
	v_cmpx_gt_u32_e32 8, v38
; %bb.863:                              ;   in Loop: Header=BB310_16 Depth=1
	v_ffbh_u32_e32 v5, v5
	v_min_u32_e32 v5, 32, v5
	v_subrev_nc_u32_e32 v17, 28, v5
	v_lshlrev_b64 v[37:38], v17, v[7:8]
	v_sub_nc_u32_e32 v17, 29, v5
	v_and_b32_e32 v5, 7, v37
; %bb.864:                              ;   in Loop: Header=BB310_16 Depth=1
	s_or_b32 exec_lo, exec_lo, s28
	v_mov_b32_e32 v37, 8
	v_lshl_add_u32 v17, v17, 10, 0x2000
	v_lshlrev_b32_e32 v5, 23, v5
	v_lshlrev_b32_sdwa v7, v37, v7 dst_sel:DWORD dst_unused:UNUSED_PAD src0_sel:DWORD src1_sel:WORD_0
	v_and_or_b32 v7, 0x8000, v7, v17
	v_lshl_or_b32 v37, v7, 16, v5
.LBB310_865:                            ;   in Loop: Header=BB310_16 Depth=1
	s_or_b32 exec_lo, exec_lo, s27
.LBB310_866:                            ;   in Loop: Header=BB310_16 Depth=1
	s_or_b32 exec_lo, exec_lo, s26
.LBB310_867:                            ;   in Loop: Header=BB310_16 Depth=1
	s_or_b32 exec_lo, exec_lo, s25
	v_lshrrev_b32_e32 v7, 16, v33
	v_cmp_ne_u16_sdwa s5, v7, v8 src0_sel:BYTE_0 src1_sel:DWORD
	s_and_saveexec_b32 s25, s5
	s_cbranch_execz .LBB310_875
; %bb.868:                              ;   in Loop: Header=BB310_16 Depth=1
	v_cmp_ne_u16_sdwa s5, v7, v68 src0_sel:BYTE_0 src1_sel:DWORD
	v_mov_b32_e32 v4, 0x8000
	s_and_saveexec_b32 s26, s5
	s_cbranch_execz .LBB310_874
; %bb.869:                              ;   in Loop: Header=BB310_16 Depth=1
	v_bfe_u32 v17, v33, 16, 7
	v_mov_b32_e32 v4, 0x7c01
	s_mov_b32 s27, exec_lo
	v_cmpx_ne_u32_e32 0x7f, v17
	s_cbranch_execz .LBB310_873
; %bb.870:                              ;   in Loop: Header=BB310_16 Depth=1
	v_and_b32_e32 v4, 7, v7
	v_lshrrev_b32_e32 v5, 3, v17
	s_mov_b32 s28, exec_lo
	v_cmpx_gt_u32_e32 8, v17
; %bb.871:                              ;   in Loop: Header=BB310_16 Depth=1
	v_ffbh_u32_e32 v4, v4
	v_min_u32_e32 v17, 32, v4
	v_subrev_nc_u32_e32 v4, 28, v17
	v_lshlrev_b64 v[4:5], v4, v[7:8]
	v_sub_nc_u32_e32 v5, 29, v17
	v_and_b32_e32 v4, 7, v4
; %bb.872:                              ;   in Loop: Header=BB310_16 Depth=1
	s_or_b32 exec_lo, exec_lo, s28
	v_lshlrev_b32_e32 v7, 8, v7
	v_lshl_add_u32 v5, v5, 10, 0x2000
	v_lshlrev_b32_e32 v4, 7, v4
	v_and_b32_e32 v7, 0x8000, v7
	v_and_b32_e32 v5, 0xfc00, v5
	v_or3_b32 v4, v7, v5, v4
.LBB310_873:                            ;   in Loop: Header=BB310_16 Depth=1
	s_or_b32 exec_lo, exec_lo, s27
.LBB310_874:                            ;   in Loop: Header=BB310_16 Depth=1
	s_or_b32 exec_lo, exec_lo, s26
.LBB310_875:                            ;   in Loop: Header=BB310_16 Depth=1
	s_or_b32 exec_lo, exec_lo, s25
	v_mov_b32_e32 v38, 0
	v_mov_b32_e32 v5, 0
	s_mov_b32 s25, exec_lo
	v_cmpx_lt_u32_e32 0xffffff, v33
	s_cbranch_execz .LBB310_883
; %bb.876:                              ;   in Loop: Header=BB310_16 Depth=1
	v_lshrrev_b32_e32 v7, 24, v33
	v_bfrev_b32_e32 v5, 1
	s_mov_b32 s26, exec_lo
	v_cmpx_ne_u32_e32 0x80, v7
	s_cbranch_execz .LBB310_882
; %bb.877:                              ;   in Loop: Header=BB310_16 Depth=1
	v_and_b32_e32 v52, 0x7f, v7
	v_mov_b32_e32 v5, 0x7c010000
	s_mov_b32 s27, exec_lo
	v_cmpx_ne_u32_e32 0x7f, v52
	s_cbranch_execz .LBB310_881
; %bb.878:                              ;   in Loop: Header=BB310_16 Depth=1
	v_and_b32_e32 v5, 7, v7
	v_lshrrev_b32_e32 v17, 3, v52
	s_mov_b32 s28, exec_lo
	v_cmpx_gt_u32_e32 8, v52
; %bb.879:                              ;   in Loop: Header=BB310_16 Depth=1
	v_ffbh_u32_e32 v5, v5
	v_min_u32_e32 v5, 32, v5
	v_subrev_nc_u32_e32 v17, 28, v5
	v_lshlrev_b64 v[52:53], v17, v[7:8]
	v_sub_nc_u32_e32 v17, 29, v5
	v_and_b32_e32 v5, 7, v52
; %bb.880:                              ;   in Loop: Header=BB310_16 Depth=1
	s_or_b32 exec_lo, exec_lo, s28
	v_lshlrev_b32_e32 v7, 8, v7
	v_lshl_add_u32 v17, v17, 10, 0x2000
	v_lshlrev_b32_e32 v5, 23, v5
	v_and_or_b32 v7, 0x8000, v7, v17
	v_lshl_or_b32 v5, v7, 16, v5
.LBB310_881:                            ;   in Loop: Header=BB310_16 Depth=1
	s_or_b32 exec_lo, exec_lo, s27
.LBB310_882:                            ;   in Loop: Header=BB310_16 Depth=1
	s_or_b32 exec_lo, exec_lo, s26
.LBB310_883:                            ;   in Loop: Header=BB310_16 Depth=1
	s_or_b32 exec_lo, exec_lo, s25
	v_mov_b32_e32 v7, v34
	v_cmp_ne_u16_sdwa s5, v34, v8 src0_sel:BYTE_0 src1_sel:DWORD
	s_and_saveexec_b32 s25, s5
	s_cbranch_execz .LBB310_891
; %bb.884:                              ;   in Loop: Header=BB310_16 Depth=1
	v_cmp_ne_u16_sdwa s5, v34, v68 src0_sel:BYTE_0 src1_sel:DWORD
	v_mov_b32_e32 v38, 0x8000
	s_and_saveexec_b32 s26, s5
	s_cbranch_execz .LBB310_890
; %bb.885:                              ;   in Loop: Header=BB310_16 Depth=1
	v_and_b32_e32 v52, 0x7f, v34
	v_mov_b32_e32 v38, 0x7c01
	s_mov_b32 s27, exec_lo
	v_cmpx_ne_u32_e32 0x7f, v52
	s_cbranch_execz .LBB310_889
; %bb.886:                              ;   in Loop: Header=BB310_16 Depth=1
	v_and_b32_e32 v17, 7, v34
	v_lshrrev_b32_e32 v38, 3, v52
	s_mov_b32 s28, exec_lo
	v_cmpx_gt_u32_e32 8, v52
; %bb.887:                              ;   in Loop: Header=BB310_16 Depth=1
	v_ffbh_u32_e32 v17, v17
	v_min_u32_e32 v17, 32, v17
	v_subrev_nc_u32_e32 v38, 28, v17
	v_lshlrev_b64 v[52:53], v38, v[7:8]
	v_sub_nc_u32_e32 v38, 29, v17
	v_and_b32_e32 v17, 7, v52
; %bb.888:                              ;   in Loop: Header=BB310_16 Depth=1
	s_or_b32 exec_lo, exec_lo, s28
	v_lshlrev_b32_e32 v52, 8, v34
	v_lshl_add_u32 v38, v38, 10, 0x2000
	v_lshlrev_b32_e32 v17, 7, v17
	v_and_b32_e32 v52, 0x8000, v52
	v_and_b32_e32 v38, 0xfc00, v38
	v_or3_b32 v38, v52, v38, v17
.LBB310_889:                            ;   in Loop: Header=BB310_16 Depth=1
	s_or_b32 exec_lo, exec_lo, s27
.LBB310_890:                            ;   in Loop: Header=BB310_16 Depth=1
	s_or_b32 exec_lo, exec_lo, s26
.LBB310_891:                            ;   in Loop: Header=BB310_16 Depth=1
	s_or_b32 exec_lo, exec_lo, s25
	v_lshrrev_b16 v7, 8, v7
	v_mov_b32_e32 v80, 0
	v_mov_b32_e32 v53, 0
	s_mov_b32 s25, exec_lo
	v_cmpx_ne_u16_e32 0, v7
	s_cbranch_execz .LBB310_899
; %bb.892:                              ;   in Loop: Header=BB310_16 Depth=1
	v_bfrev_b32_e32 v53, 1
	s_mov_b32 s26, exec_lo
	v_cmpx_ne_u16_e32 0x80, v7
	s_cbranch_execz .LBB310_898
; %bb.893:                              ;   in Loop: Header=BB310_16 Depth=1
	v_mov_b32_e32 v17, 0x7f
	v_mov_b32_e32 v53, 0x7c010000
	s_mov_b32 s27, exec_lo
	v_and_b32_sdwa v54, v7, v17 dst_sel:DWORD dst_unused:UNUSED_PAD src0_sel:WORD_0 src1_sel:DWORD
	v_cmpx_ne_u32_e32 0x7f, v54
	s_cbranch_execz .LBB310_897
; %bb.894:                              ;   in Loop: Header=BB310_16 Depth=1
	v_mov_b32_e32 v17, 7
	v_lshrrev_b32_e32 v52, 3, v54
	s_mov_b32 s28, exec_lo
	v_and_b32_sdwa v17, v7, v17 dst_sel:DWORD dst_unused:UNUSED_PAD src0_sel:WORD_0 src1_sel:DWORD
	v_cmpx_gt_u32_e32 8, v54
; %bb.895:                              ;   in Loop: Header=BB310_16 Depth=1
	v_ffbh_u32_e32 v17, v17
	v_min_u32_e32 v17, 32, v17
	v_subrev_nc_u32_e32 v52, 28, v17
	v_lshlrev_b64 v[53:54], v52, v[7:8]
	v_sub_nc_u32_e32 v52, 29, v17
	v_and_b32_e32 v17, 7, v53
; %bb.896:                              ;   in Loop: Header=BB310_16 Depth=1
	s_or_b32 exec_lo, exec_lo, s28
	v_mov_b32_e32 v53, 8
	v_lshl_add_u32 v52, v52, 10, 0x2000
	v_lshlrev_b32_e32 v17, 23, v17
	v_lshlrev_b32_sdwa v7, v53, v7 dst_sel:DWORD dst_unused:UNUSED_PAD src0_sel:DWORD src1_sel:WORD_0
	v_and_or_b32 v7, 0x8000, v7, v52
	v_lshl_or_b32 v53, v7, 16, v17
.LBB310_897:                            ;   in Loop: Header=BB310_16 Depth=1
	s_or_b32 exec_lo, exec_lo, s27
.LBB310_898:                            ;   in Loop: Header=BB310_16 Depth=1
	s_or_b32 exec_lo, exec_lo, s26
.LBB310_899:                            ;   in Loop: Header=BB310_16 Depth=1
	s_or_b32 exec_lo, exec_lo, s25
	v_lshrrev_b32_e32 v7, 16, v34
	v_cmp_ne_u16_sdwa s5, v7, v8 src0_sel:BYTE_0 src1_sel:DWORD
	s_and_saveexec_b32 s25, s5
	s_cbranch_execz .LBB310_907
; %bb.900:                              ;   in Loop: Header=BB310_16 Depth=1
	v_cmp_ne_u16_sdwa s5, v7, v68 src0_sel:BYTE_0 src1_sel:DWORD
	v_mov_b32_e32 v80, 0x8000
	s_and_saveexec_b32 s26, s5
	s_cbranch_execz .LBB310_906
; %bb.901:                              ;   in Loop: Header=BB310_16 Depth=1
	v_bfe_u32 v54, v34, 16, 7
	v_mov_b32_e32 v80, 0x7c01
	s_mov_b32 s27, exec_lo
	v_cmpx_ne_u32_e32 0x7f, v54
	s_cbranch_execz .LBB310_905
; %bb.902:                              ;   in Loop: Header=BB310_16 Depth=1
	v_and_b32_e32 v17, 7, v7
	v_lshrrev_b32_e32 v52, 3, v54
	s_mov_b32 s28, exec_lo
	v_cmpx_gt_u32_e32 8, v54
; %bb.903:                              ;   in Loop: Header=BB310_16 Depth=1
	v_ffbh_u32_e32 v17, v17
	v_min_u32_e32 v17, 32, v17
	v_subrev_nc_u32_e32 v52, 28, v17
	v_lshlrev_b64 v[98:99], v52, v[7:8]
	v_sub_nc_u32_e32 v52, 29, v17
	v_and_b32_e32 v17, 7, v98
; %bb.904:                              ;   in Loop: Header=BB310_16 Depth=1
	s_or_b32 exec_lo, exec_lo, s28
	v_lshlrev_b32_e32 v7, 8, v7
	v_lshl_add_u32 v52, v52, 10, 0x2000
	v_lshlrev_b32_e32 v17, 7, v17
	v_and_b32_e32 v7, 0x8000, v7
	v_and_b32_e32 v52, 0xfc00, v52
	v_or3_b32 v80, v7, v52, v17
.LBB310_905:                            ;   in Loop: Header=BB310_16 Depth=1
	s_or_b32 exec_lo, exec_lo, s27
.LBB310_906:                            ;   in Loop: Header=BB310_16 Depth=1
	s_or_b32 exec_lo, exec_lo, s26
.LBB310_907:                            ;   in Loop: Header=BB310_16 Depth=1
	s_or_b32 exec_lo, exec_lo, s25
	v_mov_b32_e32 v52, 0
	v_mov_b32_e32 v84, 0
	s_mov_b32 s25, exec_lo
	v_cmpx_lt_u64_e64 s[20:21], v[33:34]
	s_cbranch_execz .LBB310_915
; %bb.908:                              ;   in Loop: Header=BB310_16 Depth=1
	v_lshrrev_b32_e32 v7, 24, v34
	v_bfrev_b32_e32 v84, 1
	s_mov_b32 s26, exec_lo
	v_cmpx_ne_u32_e32 0x80, v7
	s_cbranch_execz .LBB310_914
; %bb.909:                              ;   in Loop: Header=BB310_16 Depth=1
	v_and_b32_e32 v34, 0x7f, v7
	v_mov_b32_e32 v84, 0x7c010000
	s_mov_b32 s27, exec_lo
	v_cmpx_ne_u32_e32 0x7f, v34
	s_cbranch_execz .LBB310_913
; %bb.910:                              ;   in Loop: Header=BB310_16 Depth=1
	v_and_b32_e32 v17, 7, v7
	v_lshrrev_b32_e32 v33, 3, v34
	s_mov_b32 s28, exec_lo
	v_cmpx_gt_u32_e32 8, v34
; %bb.911:                              ;   in Loop: Header=BB310_16 Depth=1
	v_ffbh_u32_e32 v17, v17
	v_min_u32_e32 v17, 32, v17
	v_subrev_nc_u32_e32 v33, 28, v17
	v_lshlrev_b64 v[98:99], v33, v[7:8]
	v_sub_nc_u32_e32 v33, 29, v17
	v_and_b32_e32 v17, 7, v98
; %bb.912:                              ;   in Loop: Header=BB310_16 Depth=1
	s_or_b32 exec_lo, exec_lo, s28
	v_lshlrev_b32_e32 v7, 8, v7
	v_lshl_add_u32 v33, v33, 10, 0x2000
	v_lshlrev_b32_e32 v17, 23, v17
	v_and_or_b32 v7, 0x8000, v7, v33
	v_lshl_or_b32 v84, v7, 16, v17
.LBB310_913:                            ;   in Loop: Header=BB310_16 Depth=1
	s_or_b32 exec_lo, exec_lo, s27
.LBB310_914:                            ;   in Loop: Header=BB310_16 Depth=1
	s_or_b32 exec_lo, exec_lo, s26
.LBB310_915:                            ;   in Loop: Header=BB310_16 Depth=1
	s_or_b32 exec_lo, exec_lo, s25
	flat_load_dwordx2 v[33:34], v[31:32] offset:1536
	s_waitcnt vmcnt(0) lgkmcnt(0)
	v_cmp_ne_u16_sdwa s5, v33, v8 src0_sel:BYTE_0 src1_sel:DWORD
	s_and_saveexec_b32 s25, s5
	s_cbranch_execz .LBB310_923
; %bb.916:                              ;   in Loop: Header=BB310_16 Depth=1
	v_cmp_ne_u16_sdwa s5, v33, v68 src0_sel:BYTE_0 src1_sel:DWORD
	v_mov_b32_e32 v52, 0x8000
	s_and_saveexec_b32 s26, s5
	s_cbranch_execz .LBB310_922
; %bb.917:                              ;   in Loop: Header=BB310_16 Depth=1
	v_and_b32_e32 v54, 0x7f, v33
	v_mov_b32_e32 v52, 0x7c01
	s_mov_b32 s27, exec_lo
	v_cmpx_ne_u32_e32 0x7f, v54
	s_cbranch_execz .LBB310_921
; %bb.918:                              ;   in Loop: Header=BB310_16 Depth=1
	v_and_b32_e32 v7, 7, v33
	v_lshrrev_b32_e32 v17, 3, v54
	s_mov_b32 s28, exec_lo
	v_cmpx_gt_u32_e32 8, v54
; %bb.919:                              ;   in Loop: Header=BB310_16 Depth=1
	v_ffbh_u32_e32 v7, v7
	v_min_u32_e32 v7, 32, v7
	v_subrev_nc_u32_e32 v17, 28, v7
	v_lshlrev_b64 v[98:99], v17, v[33:34]
	v_sub_nc_u32_e32 v17, 29, v7
	v_and_b32_e32 v7, 7, v98
; %bb.920:                              ;   in Loop: Header=BB310_16 Depth=1
	s_or_b32 exec_lo, exec_lo, s28
	v_lshlrev_b32_e32 v52, 8, v33
	v_lshl_add_u32 v17, v17, 10, 0x2000
	v_lshlrev_b32_e32 v7, 7, v7
	v_and_b32_e32 v52, 0x8000, v52
	v_and_b32_e32 v17, 0xfc00, v17
	v_or3_b32 v52, v52, v17, v7
.LBB310_921:                            ;   in Loop: Header=BB310_16 Depth=1
	s_or_b32 exec_lo, exec_lo, s27
.LBB310_922:                            ;   in Loop: Header=BB310_16 Depth=1
	s_or_b32 exec_lo, exec_lo, s26
.LBB310_923:                            ;   in Loop: Header=BB310_16 Depth=1
	s_or_b32 exec_lo, exec_lo, s25
	v_lshrrev_b16 v7, 8, v33
	v_mov_b32_e32 v107, 0
	v_mov_b32_e32 v54, 0
	s_mov_b32 s25, exec_lo
	v_cmpx_ne_u16_e32 0, v7
	s_cbranch_execz .LBB310_931
; %bb.924:                              ;   in Loop: Header=BB310_16 Depth=1
	v_bfrev_b32_e32 v54, 1
	s_mov_b32 s26, exec_lo
	v_cmpx_ne_u16_e32 0x80, v7
	s_cbranch_execz .LBB310_930
; %bb.925:                              ;   in Loop: Header=BB310_16 Depth=1
	v_mov_b32_e32 v17, 0x7f
	v_mov_b32_e32 v54, 0x7c010000
	s_mov_b32 s27, exec_lo
	v_and_b32_sdwa v64, v7, v17 dst_sel:DWORD dst_unused:UNUSED_PAD src0_sel:WORD_0 src1_sel:DWORD
	v_cmpx_ne_u32_e32 0x7f, v64
	s_cbranch_execz .LBB310_929
; %bb.926:                              ;   in Loop: Header=BB310_16 Depth=1
	v_mov_b32_e32 v17, 7
	v_lshrrev_b32_e32 v54, 3, v64
	s_mov_b32 s28, exec_lo
	v_and_b32_sdwa v17, v7, v17 dst_sel:DWORD dst_unused:UNUSED_PAD src0_sel:WORD_0 src1_sel:DWORD
	v_cmpx_gt_u32_e32 8, v64
; %bb.927:                              ;   in Loop: Header=BB310_16 Depth=1
	v_ffbh_u32_e32 v17, v17
	v_min_u32_e32 v17, 32, v17
	v_subrev_nc_u32_e32 v54, 28, v17
	v_lshlrev_b64 v[98:99], v54, v[7:8]
	v_sub_nc_u32_e32 v54, 29, v17
	v_and_b32_e32 v17, 7, v98
; %bb.928:                              ;   in Loop: Header=BB310_16 Depth=1
	s_or_b32 exec_lo, exec_lo, s28
	v_mov_b32_e32 v64, 8
	v_lshl_add_u32 v54, v54, 10, 0x2000
	v_lshlrev_b32_e32 v17, 23, v17
	v_lshlrev_b32_sdwa v7, v64, v7 dst_sel:DWORD dst_unused:UNUSED_PAD src0_sel:DWORD src1_sel:WORD_0
	v_and_or_b32 v7, 0x8000, v7, v54
	v_lshl_or_b32 v54, v7, 16, v17
.LBB310_929:                            ;   in Loop: Header=BB310_16 Depth=1
	s_or_b32 exec_lo, exec_lo, s27
.LBB310_930:                            ;   in Loop: Header=BB310_16 Depth=1
	s_or_b32 exec_lo, exec_lo, s26
.LBB310_931:                            ;   in Loop: Header=BB310_16 Depth=1
	s_or_b32 exec_lo, exec_lo, s25
	v_lshrrev_b32_e32 v7, 16, v33
	v_cmp_ne_u16_sdwa s5, v7, v8 src0_sel:BYTE_0 src1_sel:DWORD
	s_and_saveexec_b32 s25, s5
	s_cbranch_execz .LBB310_939
; %bb.932:                              ;   in Loop: Header=BB310_16 Depth=1
	v_cmp_ne_u16_sdwa s5, v7, v68 src0_sel:BYTE_0 src1_sel:DWORD
	v_mov_b32_e32 v107, 0x8000
	s_and_saveexec_b32 s26, s5
	s_cbranch_execz .LBB310_938
; %bb.933:                              ;   in Loop: Header=BB310_16 Depth=1
	v_bfe_u32 v70, v33, 16, 7
	v_mov_b32_e32 v107, 0x7c01
	s_mov_b32 s27, exec_lo
	v_cmpx_ne_u32_e32 0x7f, v70
	s_cbranch_execz .LBB310_937
; %bb.934:                              ;   in Loop: Header=BB310_16 Depth=1
	v_and_b32_e32 v17, 7, v7
	v_lshrrev_b32_e32 v64, 3, v70
	s_mov_b32 s28, exec_lo
	v_cmpx_gt_u32_e32 8, v70
; %bb.935:                              ;   in Loop: Header=BB310_16 Depth=1
	v_ffbh_u32_e32 v17, v17
	v_min_u32_e32 v17, 32, v17
	v_subrev_nc_u32_e32 v64, 28, v17
	v_lshlrev_b64 v[98:99], v64, v[7:8]
	v_sub_nc_u32_e32 v64, 29, v17
	v_and_b32_e32 v17, 7, v98
; %bb.936:                              ;   in Loop: Header=BB310_16 Depth=1
	s_or_b32 exec_lo, exec_lo, s28
	v_lshlrev_b32_e32 v7, 8, v7
	v_lshl_add_u32 v64, v64, 10, 0x2000
	v_lshlrev_b32_e32 v17, 7, v17
	v_and_b32_e32 v7, 0x8000, v7
	v_and_b32_e32 v64, 0xfc00, v64
	v_or3_b32 v107, v7, v64, v17
.LBB310_937:                            ;   in Loop: Header=BB310_16 Depth=1
	s_or_b32 exec_lo, exec_lo, s27
.LBB310_938:                            ;   in Loop: Header=BB310_16 Depth=1
	s_or_b32 exec_lo, exec_lo, s26
.LBB310_939:                            ;   in Loop: Header=BB310_16 Depth=1
	s_or_b32 exec_lo, exec_lo, s25
	v_mov_b32_e32 v110, 0
	v_mov_b32_e32 v111, 0
	s_mov_b32 s25, exec_lo
	v_cmpx_lt_u32_e32 0xffffff, v33
	s_cbranch_execz .LBB310_947
; %bb.940:                              ;   in Loop: Header=BB310_16 Depth=1
	v_lshrrev_b32_e32 v7, 24, v33
	v_bfrev_b32_e32 v111, 1
	s_mov_b32 s26, exec_lo
	v_cmpx_ne_u32_e32 0x80, v7
	s_cbranch_execz .LBB310_946
; %bb.941:                              ;   in Loop: Header=BB310_16 Depth=1
	v_and_b32_e32 v70, 0x7f, v7
	v_mov_b32_e32 v111, 0x7c010000
	s_mov_b32 s27, exec_lo
	v_cmpx_ne_u32_e32 0x7f, v70
	s_cbranch_execz .LBB310_945
; %bb.942:                              ;   in Loop: Header=BB310_16 Depth=1
	v_and_b32_e32 v17, 7, v7
	v_lshrrev_b32_e32 v64, 3, v70
	s_mov_b32 s28, exec_lo
	v_cmpx_gt_u32_e32 8, v70
; %bb.943:                              ;   in Loop: Header=BB310_16 Depth=1
	v_ffbh_u32_e32 v17, v17
	v_min_u32_e32 v17, 32, v17
	v_subrev_nc_u32_e32 v64, 28, v17
	v_lshlrev_b64 v[98:99], v64, v[7:8]
	v_sub_nc_u32_e32 v64, 29, v17
	v_and_b32_e32 v17, 7, v98
; %bb.944:                              ;   in Loop: Header=BB310_16 Depth=1
	s_or_b32 exec_lo, exec_lo, s28
	v_lshlrev_b32_e32 v7, 8, v7
	v_lshl_add_u32 v64, v64, 10, 0x2000
	v_lshlrev_b32_e32 v17, 23, v17
	v_and_or_b32 v7, 0x8000, v7, v64
	v_lshl_or_b32 v111, v7, 16, v17
.LBB310_945:                            ;   in Loop: Header=BB310_16 Depth=1
	s_or_b32 exec_lo, exec_lo, s27
.LBB310_946:                            ;   in Loop: Header=BB310_16 Depth=1
	s_or_b32 exec_lo, exec_lo, s26
.LBB310_947:                            ;   in Loop: Header=BB310_16 Depth=1
	s_or_b32 exec_lo, exec_lo, s25
	v_mov_b32_e32 v7, v34
	v_cmp_ne_u16_sdwa s5, v34, v8 src0_sel:BYTE_0 src1_sel:DWORD
	s_and_saveexec_b32 s25, s5
	s_cbranch_execz .LBB310_955
; %bb.948:                              ;   in Loop: Header=BB310_16 Depth=1
	v_cmp_ne_u16_sdwa s5, v34, v68 src0_sel:BYTE_0 src1_sel:DWORD
	v_mov_b32_e32 v110, 0x8000
	s_and_saveexec_b32 s26, s5
	s_cbranch_execz .LBB310_954
; %bb.949:                              ;   in Loop: Header=BB310_16 Depth=1
	v_and_b32_e32 v70, 0x7f, v34
	v_mov_b32_e32 v110, 0x7c01
	s_mov_b32 s27, exec_lo
	v_cmpx_ne_u32_e32 0x7f, v70
	s_cbranch_execz .LBB310_953
; %bb.950:                              ;   in Loop: Header=BB310_16 Depth=1
	v_and_b32_e32 v17, 7, v34
	v_lshrrev_b32_e32 v64, 3, v70
	s_mov_b32 s28, exec_lo
	v_cmpx_gt_u32_e32 8, v70
; %bb.951:                              ;   in Loop: Header=BB310_16 Depth=1
	v_ffbh_u32_e32 v17, v17
	v_min_u32_e32 v17, 32, v17
	v_subrev_nc_u32_e32 v64, 28, v17
	v_lshlrev_b64 v[98:99], v64, v[7:8]
	v_sub_nc_u32_e32 v64, 29, v17
	v_and_b32_e32 v17, 7, v98
; %bb.952:                              ;   in Loop: Header=BB310_16 Depth=1
	s_or_b32 exec_lo, exec_lo, s28
	v_lshlrev_b32_e32 v70, 8, v34
	v_lshl_add_u32 v64, v64, 10, 0x2000
	v_lshlrev_b32_e32 v17, 7, v17
	v_and_b32_e32 v70, 0x8000, v70
	v_and_b32_e32 v64, 0xfc00, v64
	v_or3_b32 v110, v70, v64, v17
.LBB310_953:                            ;   in Loop: Header=BB310_16 Depth=1
	s_or_b32 exec_lo, exec_lo, s27
.LBB310_954:                            ;   in Loop: Header=BB310_16 Depth=1
	s_or_b32 exec_lo, exec_lo, s26
.LBB310_955:                            ;   in Loop: Header=BB310_16 Depth=1
	s_or_b32 exec_lo, exec_lo, s25
	v_lshrrev_b16 v7, 8, v7
	v_mov_b32_e32 v114, 0
	v_mov_b32_e32 v115, 0
	s_mov_b32 s25, exec_lo
	v_cmpx_ne_u16_e32 0, v7
	s_cbranch_execz .LBB310_963
; %bb.956:                              ;   in Loop: Header=BB310_16 Depth=1
	v_bfrev_b32_e32 v115, 1
	s_mov_b32 s26, exec_lo
	v_cmpx_ne_u16_e32 0x80, v7
	s_cbranch_execz .LBB310_962
; %bb.957:                              ;   in Loop: Header=BB310_16 Depth=1
	v_mov_b32_e32 v17, 0x7f
	v_mov_b32_e32 v115, 0x7c010000
	s_mov_b32 s27, exec_lo
	v_and_b32_sdwa v70, v7, v17 dst_sel:DWORD dst_unused:UNUSED_PAD src0_sel:WORD_0 src1_sel:DWORD
	v_cmpx_ne_u32_e32 0x7f, v70
	s_cbranch_execz .LBB310_961
; %bb.958:                              ;   in Loop: Header=BB310_16 Depth=1
	v_mov_b32_e32 v17, 7
	v_lshrrev_b32_e32 v64, 3, v70
	s_mov_b32 s28, exec_lo
	v_and_b32_sdwa v17, v7, v17 dst_sel:DWORD dst_unused:UNUSED_PAD src0_sel:WORD_0 src1_sel:DWORD
	v_cmpx_gt_u32_e32 8, v70
; %bb.959:                              ;   in Loop: Header=BB310_16 Depth=1
	v_ffbh_u32_e32 v17, v17
	v_min_u32_e32 v17, 32, v17
	v_subrev_nc_u32_e32 v64, 28, v17
	v_lshlrev_b64 v[98:99], v64, v[7:8]
	v_sub_nc_u32_e32 v64, 29, v17
	v_and_b32_e32 v17, 7, v98
; %bb.960:                              ;   in Loop: Header=BB310_16 Depth=1
	s_or_b32 exec_lo, exec_lo, s28
	v_mov_b32_e32 v70, 8
	v_lshl_add_u32 v64, v64, 10, 0x2000
	v_lshlrev_b32_e32 v17, 23, v17
	v_lshlrev_b32_sdwa v7, v70, v7 dst_sel:DWORD dst_unused:UNUSED_PAD src0_sel:DWORD src1_sel:WORD_0
	v_and_or_b32 v7, 0x8000, v7, v64
	v_lshl_or_b32 v115, v7, 16, v17
.LBB310_961:                            ;   in Loop: Header=BB310_16 Depth=1
	s_or_b32 exec_lo, exec_lo, s27
.LBB310_962:                            ;   in Loop: Header=BB310_16 Depth=1
	s_or_b32 exec_lo, exec_lo, s26
.LBB310_963:                            ;   in Loop: Header=BB310_16 Depth=1
	s_or_b32 exec_lo, exec_lo, s25
	v_lshrrev_b32_e32 v7, 16, v34
	v_cmp_ne_u16_sdwa s5, v7, v8 src0_sel:BYTE_0 src1_sel:DWORD
	s_and_saveexec_b32 s25, s5
	s_cbranch_execz .LBB310_971
; %bb.964:                              ;   in Loop: Header=BB310_16 Depth=1
	v_cmp_ne_u16_sdwa s5, v7, v68 src0_sel:BYTE_0 src1_sel:DWORD
	v_mov_b32_e32 v114, 0x8000
	s_and_saveexec_b32 s26, s5
	s_cbranch_execz .LBB310_970
; %bb.965:                              ;   in Loop: Header=BB310_16 Depth=1
	v_bfe_u32 v70, v34, 16, 7
	v_mov_b32_e32 v114, 0x7c01
	s_mov_b32 s27, exec_lo
	v_cmpx_ne_u32_e32 0x7f, v70
	s_cbranch_execz .LBB310_969
; %bb.966:                              ;   in Loop: Header=BB310_16 Depth=1
	v_and_b32_e32 v17, 7, v7
	v_lshrrev_b32_e32 v64, 3, v70
	s_mov_b32 s28, exec_lo
	v_cmpx_gt_u32_e32 8, v70
; %bb.967:                              ;   in Loop: Header=BB310_16 Depth=1
	v_ffbh_u32_e32 v17, v17
	v_min_u32_e32 v17, 32, v17
	v_subrev_nc_u32_e32 v64, 28, v17
	v_lshlrev_b64 v[98:99], v64, v[7:8]
	v_sub_nc_u32_e32 v64, 29, v17
	v_and_b32_e32 v17, 7, v98
; %bb.968:                              ;   in Loop: Header=BB310_16 Depth=1
	s_or_b32 exec_lo, exec_lo, s28
	v_lshlrev_b32_e32 v7, 8, v7
	v_lshl_add_u32 v64, v64, 10, 0x2000
	v_lshlrev_b32_e32 v17, 7, v17
	v_and_b32_e32 v7, 0x8000, v7
	v_and_b32_e32 v64, 0xfc00, v64
	v_or3_b32 v114, v7, v64, v17
.LBB310_969:                            ;   in Loop: Header=BB310_16 Depth=1
	s_or_b32 exec_lo, exec_lo, s27
.LBB310_970:                            ;   in Loop: Header=BB310_16 Depth=1
	s_or_b32 exec_lo, exec_lo, s26
.LBB310_971:                            ;   in Loop: Header=BB310_16 Depth=1
	s_or_b32 exec_lo, exec_lo, s25
	v_cmp_lt_u64_e64 s5, s[20:21], v[33:34]
	v_mov_b32_e32 v33, 0
	v_mov_b32_e32 v120, 0
	s_and_saveexec_b32 s25, s5
	s_cbranch_execz .LBB310_979
; %bb.972:                              ;   in Loop: Header=BB310_16 Depth=1
	v_lshrrev_b32_e32 v7, 24, v34
	v_bfrev_b32_e32 v120, 1
	s_mov_b32 s26, exec_lo
	v_cmpx_ne_u32_e32 0x80, v7
	s_cbranch_execz .LBB310_978
; %bb.973:                              ;   in Loop: Header=BB310_16 Depth=1
	v_and_b32_e32 v64, 0x7f, v7
	v_mov_b32_e32 v120, 0x7c010000
	s_mov_b32 s27, exec_lo
	v_cmpx_ne_u32_e32 0x7f, v64
	s_cbranch_execz .LBB310_977
; %bb.974:                              ;   in Loop: Header=BB310_16 Depth=1
	v_and_b32_e32 v17, 7, v7
	v_lshrrev_b32_e32 v34, 3, v64
	s_mov_b32 s28, exec_lo
	v_cmpx_gt_u32_e32 8, v64
; %bb.975:                              ;   in Loop: Header=BB310_16 Depth=1
	v_ffbh_u32_e32 v17, v17
	v_min_u32_e32 v17, 32, v17
	v_subrev_nc_u32_e32 v34, 28, v17
	v_lshlrev_b64 v[98:99], v34, v[7:8]
	v_sub_nc_u32_e32 v34, 29, v17
	v_and_b32_e32 v17, 7, v98
; %bb.976:                              ;   in Loop: Header=BB310_16 Depth=1
	s_or_b32 exec_lo, exec_lo, s28
	v_lshlrev_b32_e32 v7, 8, v7
	v_lshl_add_u32 v34, v34, 10, 0x2000
	v_lshlrev_b32_e32 v17, 23, v17
	v_and_or_b32 v7, 0x8000, v7, v34
	v_lshl_or_b32 v120, v7, 16, v17
.LBB310_977:                            ;   in Loop: Header=BB310_16 Depth=1
	s_or_b32 exec_lo, exec_lo, s27
.LBB310_978:                            ;   in Loop: Header=BB310_16 Depth=1
	s_or_b32 exec_lo, exec_lo, s26
.LBB310_979:                            ;   in Loop: Header=BB310_16 Depth=1
	s_or_b32 exec_lo, exec_lo, s25
	flat_load_dwordx2 v[31:32], v[31:32] offset:1544
	s_waitcnt vmcnt(0) lgkmcnt(0)
	v_cmp_ne_u16_sdwa s5, v31, v8 src0_sel:BYTE_0 src1_sel:DWORD
	s_and_saveexec_b32 s25, s5
	s_cbranch_execz .LBB310_987
; %bb.980:                              ;   in Loop: Header=BB310_16 Depth=1
	v_cmp_ne_u16_sdwa s5, v31, v68 src0_sel:BYTE_0 src1_sel:DWORD
	v_mov_b32_e32 v33, 0x8000
	s_and_saveexec_b32 s26, s5
	s_cbranch_execz .LBB310_986
; %bb.981:                              ;   in Loop: Header=BB310_16 Depth=1
	v_and_b32_e32 v34, 0x7f, v31
	v_mov_b32_e32 v33, 0x7c01
	s_mov_b32 s27, exec_lo
	v_cmpx_ne_u32_e32 0x7f, v34
	s_cbranch_execz .LBB310_985
; %bb.982:                              ;   in Loop: Header=BB310_16 Depth=1
	v_and_b32_e32 v7, 7, v31
	v_lshrrev_b32_e32 v17, 3, v34
	s_mov_b32 s28, exec_lo
	v_cmpx_gt_u32_e32 8, v34
; %bb.983:                              ;   in Loop: Header=BB310_16 Depth=1
	v_ffbh_u32_e32 v7, v7
	v_min_u32_e32 v7, 32, v7
	v_subrev_nc_u32_e32 v17, 28, v7
	v_lshlrev_b64 v[33:34], v17, v[31:32]
	v_sub_nc_u32_e32 v17, 29, v7
	v_and_b32_e32 v7, 7, v33
; %bb.984:                              ;   in Loop: Header=BB310_16 Depth=1
	s_or_b32 exec_lo, exec_lo, s28
	v_lshlrev_b32_e32 v33, 8, v31
	v_lshl_add_u32 v17, v17, 10, 0x2000
	v_lshlrev_b32_e32 v7, 7, v7
	v_and_b32_e32 v33, 0x8000, v33
	v_and_b32_e32 v17, 0xfc00, v17
	v_or3_b32 v33, v33, v17, v7
.LBB310_985:                            ;   in Loop: Header=BB310_16 Depth=1
	s_or_b32 exec_lo, exec_lo, s27
.LBB310_986:                            ;   in Loop: Header=BB310_16 Depth=1
	s_or_b32 exec_lo, exec_lo, s26
.LBB310_987:                            ;   in Loop: Header=BB310_16 Depth=1
	s_or_b32 exec_lo, exec_lo, s25
	v_lshrrev_b16 v7, 8, v31
	v_mov_b32_e32 v98, 0
	v_mov_b32_e32 v86, 0
	s_mov_b32 s25, exec_lo
	v_cmpx_ne_u16_e32 0, v7
	s_cbranch_execz .LBB310_995
; %bb.988:                              ;   in Loop: Header=BB310_16 Depth=1
	v_bfrev_b32_e32 v86, 1
	s_mov_b32 s26, exec_lo
	v_cmpx_ne_u16_e32 0x80, v7
	s_cbranch_execz .LBB310_994
; %bb.989:                              ;   in Loop: Header=BB310_16 Depth=1
	v_mov_b32_e32 v17, 0x7f
	v_mov_b32_e32 v86, 0x7c010000
	s_mov_b32 s27, exec_lo
	v_and_b32_sdwa v64, v7, v17 dst_sel:DWORD dst_unused:UNUSED_PAD src0_sel:WORD_0 src1_sel:DWORD
	v_cmpx_ne_u32_e32 0x7f, v64
	s_cbranch_execz .LBB310_993
; %bb.990:                              ;   in Loop: Header=BB310_16 Depth=1
	v_mov_b32_e32 v17, 7
	v_lshrrev_b32_e32 v34, 3, v64
	s_mov_b32 s28, exec_lo
	v_and_b32_sdwa v17, v7, v17 dst_sel:DWORD dst_unused:UNUSED_PAD src0_sel:WORD_0 src1_sel:DWORD
	v_cmpx_gt_u32_e32 8, v64
; %bb.991:                              ;   in Loop: Header=BB310_16 Depth=1
	v_ffbh_u32_e32 v17, v17
	v_min_u32_e32 v17, 32, v17
	v_subrev_nc_u32_e32 v34, 28, v17
	v_lshlrev_b64 v[121:122], v34, v[7:8]
	v_sub_nc_u32_e32 v34, 29, v17
	v_and_b32_e32 v17, 7, v121
; %bb.992:                              ;   in Loop: Header=BB310_16 Depth=1
	s_or_b32 exec_lo, exec_lo, s28
	v_mov_b32_e32 v64, 8
	v_lshl_add_u32 v34, v34, 10, 0x2000
	v_lshlrev_b32_e32 v17, 23, v17
	v_lshlrev_b32_sdwa v7, v64, v7 dst_sel:DWORD dst_unused:UNUSED_PAD src0_sel:DWORD src1_sel:WORD_0
	v_and_or_b32 v7, 0x8000, v7, v34
	v_lshl_or_b32 v86, v7, 16, v17
.LBB310_993:                            ;   in Loop: Header=BB310_16 Depth=1
	s_or_b32 exec_lo, exec_lo, s27
.LBB310_994:                            ;   in Loop: Header=BB310_16 Depth=1
	s_or_b32 exec_lo, exec_lo, s26
.LBB310_995:                            ;   in Loop: Header=BB310_16 Depth=1
	s_or_b32 exec_lo, exec_lo, s25
	v_lshrrev_b32_e32 v7, 16, v31
	v_cmp_ne_u16_sdwa s5, v7, v8 src0_sel:BYTE_0 src1_sel:DWORD
	s_and_saveexec_b32 s25, s5
	s_cbranch_execz .LBB310_1003
; %bb.996:                              ;   in Loop: Header=BB310_16 Depth=1
	v_cmp_ne_u16_sdwa s5, v7, v68 src0_sel:BYTE_0 src1_sel:DWORD
	v_mov_b32_e32 v98, 0x8000
	s_and_saveexec_b32 s26, s5
	s_cbranch_execz .LBB310_1002
; %bb.997:                              ;   in Loop: Header=BB310_16 Depth=1
	v_bfe_u32 v64, v31, 16, 7
	v_mov_b32_e32 v98, 0x7c01
	s_mov_b32 s27, exec_lo
	v_cmpx_ne_u32_e32 0x7f, v64
	s_cbranch_execz .LBB310_1001
; %bb.998:                              ;   in Loop: Header=BB310_16 Depth=1
	v_and_b32_e32 v17, 7, v7
	v_lshrrev_b32_e32 v34, 3, v64
	s_mov_b32 s28, exec_lo
	v_cmpx_gt_u32_e32 8, v64
; %bb.999:                              ;   in Loop: Header=BB310_16 Depth=1
	v_ffbh_u32_e32 v17, v17
	v_min_u32_e32 v17, 32, v17
	v_subrev_nc_u32_e32 v34, 28, v17
	v_lshlrev_b64 v[98:99], v34, v[7:8]
	v_sub_nc_u32_e32 v34, 29, v17
	v_and_b32_e32 v17, 7, v98
; %bb.1000:                             ;   in Loop: Header=BB310_16 Depth=1
	s_or_b32 exec_lo, exec_lo, s28
	v_lshlrev_b32_e32 v7, 8, v7
	v_lshl_add_u32 v34, v34, 10, 0x2000
	v_lshlrev_b32_e32 v17, 7, v17
	v_and_b32_e32 v7, 0x8000, v7
	v_and_b32_e32 v34, 0xfc00, v34
	v_or3_b32 v98, v7, v34, v17
.LBB310_1001:                           ;   in Loop: Header=BB310_16 Depth=1
	s_or_b32 exec_lo, exec_lo, s27
.LBB310_1002:                           ;   in Loop: Header=BB310_16 Depth=1
	s_or_b32 exec_lo, exec_lo, s26
.LBB310_1003:                           ;   in Loop: Header=BB310_16 Depth=1
	s_or_b32 exec_lo, exec_lo, s25
	v_mov_b32_e32 v99, 0
	v_mov_b32_e32 v17, 0
	s_mov_b32 s25, exec_lo
	v_cmpx_lt_u32_e32 0xffffff, v31
	s_cbranch_execz .LBB310_1011
; %bb.1004:                             ;   in Loop: Header=BB310_16 Depth=1
	v_lshrrev_b32_e32 v7, 24, v31
	v_bfrev_b32_e32 v17, 1
	s_mov_b32 s26, exec_lo
	v_cmpx_ne_u32_e32 0x80, v7
	s_cbranch_execz .LBB310_1010
; %bb.1005:                             ;   in Loop: Header=BB310_16 Depth=1
	v_and_b32_e32 v64, 0x7f, v7
	v_mov_b32_e32 v17, 0x7c010000
	s_mov_b32 s27, exec_lo
	v_cmpx_ne_u32_e32 0x7f, v64
	s_cbranch_execz .LBB310_1009
; %bb.1006:                             ;   in Loop: Header=BB310_16 Depth=1
	v_and_b32_e32 v17, 7, v7
	v_lshrrev_b32_e32 v34, 3, v64
	s_mov_b32 s28, exec_lo
	v_cmpx_gt_u32_e32 8, v64
; %bb.1007:                             ;   in Loop: Header=BB310_16 Depth=1
	v_ffbh_u32_e32 v17, v17
	v_min_u32_e32 v17, 32, v17
	v_subrev_nc_u32_e32 v34, 28, v17
	v_lshlrev_b64 v[121:122], v34, v[7:8]
	v_sub_nc_u32_e32 v34, 29, v17
	v_and_b32_e32 v17, 7, v121
; %bb.1008:                             ;   in Loop: Header=BB310_16 Depth=1
	s_or_b32 exec_lo, exec_lo, s28
	v_lshlrev_b32_e32 v7, 8, v7
	v_lshl_add_u32 v34, v34, 10, 0x2000
	v_lshlrev_b32_e32 v17, 23, v17
	v_and_or_b32 v7, 0x8000, v7, v34
	v_lshl_or_b32 v17, v7, 16, v17
.LBB310_1009:                           ;   in Loop: Header=BB310_16 Depth=1
	s_or_b32 exec_lo, exec_lo, s27
.LBB310_1010:                           ;   in Loop: Header=BB310_16 Depth=1
	s_or_b32 exec_lo, exec_lo, s26
.LBB310_1011:                           ;   in Loop: Header=BB310_16 Depth=1
	s_or_b32 exec_lo, exec_lo, s25
	v_mov_b32_e32 v7, v32
	v_cmp_ne_u16_sdwa s5, v32, v8 src0_sel:BYTE_0 src1_sel:DWORD
	s_and_saveexec_b32 s25, s5
	s_cbranch_execz .LBB310_1019
; %bb.1012:                             ;   in Loop: Header=BB310_16 Depth=1
	v_cmp_ne_u16_sdwa s5, v32, v68 src0_sel:BYTE_0 src1_sel:DWORD
	v_mov_b32_e32 v99, 0x8000
	s_and_saveexec_b32 s26, s5
	s_cbranch_execz .LBB310_1018
; %bb.1013:                             ;   in Loop: Header=BB310_16 Depth=1
	v_and_b32_e32 v70, 0x7f, v32
	v_mov_b32_e32 v99, 0x7c01
	s_mov_b32 s27, exec_lo
	v_cmpx_ne_u32_e32 0x7f, v70
	s_cbranch_execz .LBB310_1017
; %bb.1014:                             ;   in Loop: Header=BB310_16 Depth=1
	v_and_b32_e32 v34, 7, v32
	v_lshrrev_b32_e32 v64, 3, v70
	s_mov_b32 s28, exec_lo
	v_cmpx_gt_u32_e32 8, v70
; %bb.1015:                             ;   in Loop: Header=BB310_16 Depth=1
	v_ffbh_u32_e32 v34, v34
	v_min_u32_e32 v34, 32, v34
	v_subrev_nc_u32_e32 v64, 28, v34
	v_lshlrev_b64 v[121:122], v64, v[7:8]
	v_sub_nc_u32_e32 v64, 29, v34
	v_and_b32_e32 v34, 7, v121
; %bb.1016:                             ;   in Loop: Header=BB310_16 Depth=1
	s_or_b32 exec_lo, exec_lo, s28
	v_lshlrev_b32_e32 v70, 8, v32
	v_lshl_add_u32 v64, v64, 10, 0x2000
	v_lshlrev_b32_e32 v34, 7, v34
	v_and_b32_e32 v70, 0x8000, v70
	v_and_b32_e32 v64, 0xfc00, v64
	v_or3_b32 v99, v70, v64, v34
.LBB310_1017:                           ;   in Loop: Header=BB310_16 Depth=1
	s_or_b32 exec_lo, exec_lo, s27
.LBB310_1018:                           ;   in Loop: Header=BB310_16 Depth=1
	s_or_b32 exec_lo, exec_lo, s26
.LBB310_1019:                           ;   in Loop: Header=BB310_16 Depth=1
	s_or_b32 exec_lo, exec_lo, s25
	v_lshrrev_b16 v7, 8, v7
	v_mov_b32_e32 v43, 0
	v_mov_b32_e32 v34, 0
	s_mov_b32 s25, exec_lo
	v_cmpx_ne_u16_e32 0, v7
	s_cbranch_execz .LBB310_1027
; %bb.1020:                             ;   in Loop: Header=BB310_16 Depth=1
	v_bfrev_b32_e32 v34, 1
	s_mov_b32 s26, exec_lo
	v_cmpx_ne_u16_e32 0x80, v7
	s_cbranch_execz .LBB310_1026
; %bb.1021:                             ;   in Loop: Header=BB310_16 Depth=1
	v_mov_b32_e32 v34, 0x7f
	s_mov_b32 s27, exec_lo
	v_and_b32_sdwa v70, v7, v34 dst_sel:DWORD dst_unused:UNUSED_PAD src0_sel:WORD_0 src1_sel:DWORD
	v_mov_b32_e32 v34, 0x7c010000
	v_cmpx_ne_u32_e32 0x7f, v70
	s_cbranch_execz .LBB310_1025
; %bb.1022:                             ;   in Loop: Header=BB310_16 Depth=1
	v_mov_b32_e32 v34, 7
	v_lshrrev_b32_e32 v64, 3, v70
	s_mov_b32 s28, exec_lo
	v_and_b32_sdwa v34, v7, v34 dst_sel:DWORD dst_unused:UNUSED_PAD src0_sel:WORD_0 src1_sel:DWORD
	v_cmpx_gt_u32_e32 8, v70
; %bb.1023:                             ;   in Loop: Header=BB310_16 Depth=1
	v_ffbh_u32_e32 v34, v34
	v_min_u32_e32 v34, 32, v34
	v_subrev_nc_u32_e32 v64, 28, v34
	v_lshlrev_b64 v[121:122], v64, v[7:8]
	v_sub_nc_u32_e32 v64, 29, v34
	v_and_b32_e32 v34, 7, v121
; %bb.1024:                             ;   in Loop: Header=BB310_16 Depth=1
	s_or_b32 exec_lo, exec_lo, s28
	v_mov_b32_e32 v70, 8
	v_lshl_add_u32 v64, v64, 10, 0x2000
	v_lshlrev_b32_e32 v34, 23, v34
	v_lshlrev_b32_sdwa v7, v70, v7 dst_sel:DWORD dst_unused:UNUSED_PAD src0_sel:DWORD src1_sel:WORD_0
	v_and_or_b32 v7, 0x8000, v7, v64
	v_lshl_or_b32 v34, v7, 16, v34
.LBB310_1025:                           ;   in Loop: Header=BB310_16 Depth=1
	s_or_b32 exec_lo, exec_lo, s27
.LBB310_1026:                           ;   in Loop: Header=BB310_16 Depth=1
	s_or_b32 exec_lo, exec_lo, s26
.LBB310_1027:                           ;   in Loop: Header=BB310_16 Depth=1
	s_or_b32 exec_lo, exec_lo, s25
	v_lshrrev_b32_e32 v7, 16, v32
	v_cmp_ne_u16_sdwa s5, v7, v8 src0_sel:BYTE_0 src1_sel:DWORD
	s_and_saveexec_b32 s25, s5
	s_cbranch_execz .LBB310_1035
; %bb.1028:                             ;   in Loop: Header=BB310_16 Depth=1
	v_cmp_ne_u16_sdwa s5, v7, v68 src0_sel:BYTE_0 src1_sel:DWORD
	v_mov_b32_e32 v43, 0x8000
	s_and_saveexec_b32 s26, s5
	s_cbranch_execz .LBB310_1034
; %bb.1029:                             ;   in Loop: Header=BB310_16 Depth=1
	v_bfe_u32 v121, v32, 16, 7
	v_mov_b32_e32 v43, 0x7c01
	s_mov_b32 s27, exec_lo
	v_cmpx_ne_u32_e32 0x7f, v121
	s_cbranch_execz .LBB310_1033
; %bb.1030:                             ;   in Loop: Header=BB310_16 Depth=1
	v_and_b32_e32 v64, 7, v7
	v_lshrrev_b32_e32 v70, 3, v121
	s_mov_b32 s28, exec_lo
	v_cmpx_gt_u32_e32 8, v121
; %bb.1031:                             ;   in Loop: Header=BB310_16 Depth=1
	v_ffbh_u32_e32 v64, v64
	v_min_u32_e32 v64, 32, v64
	v_subrev_nc_u32_e32 v70, 28, v64
	v_lshlrev_b64 v[121:122], v70, v[7:8]
	v_sub_nc_u32_e32 v70, 29, v64
	v_and_b32_e32 v64, 7, v121
; %bb.1032:                             ;   in Loop: Header=BB310_16 Depth=1
	s_or_b32 exec_lo, exec_lo, s28
	v_lshlrev_b32_e32 v7, 8, v7
	v_lshl_add_u32 v70, v70, 10, 0x2000
	v_lshlrev_b32_e32 v64, 7, v64
	v_and_b32_e32 v7, 0x8000, v7
	v_and_b32_e32 v70, 0xfc00, v70
	v_or3_b32 v43, v7, v70, v64
.LBB310_1033:                           ;   in Loop: Header=BB310_16 Depth=1
	s_or_b32 exec_lo, exec_lo, s27
.LBB310_1034:                           ;   in Loop: Header=BB310_16 Depth=1
	s_or_b32 exec_lo, exec_lo, s26
.LBB310_1035:                           ;   in Loop: Header=BB310_16 Depth=1
	s_or_b32 exec_lo, exec_lo, s25
	v_mov_b32_e32 v64, 0
	s_mov_b32 s25, exec_lo
	v_cmpx_lt_u64_e64 s[20:21], v[31:32]
	s_cbranch_execz .LBB310_14
; %bb.1036:                             ;   in Loop: Header=BB310_16 Depth=1
	v_lshrrev_b32_e32 v7, 24, v32
	v_bfrev_b32_e32 v64, 1
	s_mov_b32 s26, exec_lo
	v_cmpx_ne_u32_e32 0x80, v7
	s_cbranch_execz .LBB310_13
; %bb.1037:                             ;   in Loop: Header=BB310_16 Depth=1
	v_and_b32_e32 v70, 0x7f, v7
	v_mov_b32_e32 v64, 0x7c010000
	s_mov_b32 s27, exec_lo
	v_cmpx_ne_u32_e32 0x7f, v70
	s_cbranch_execz .LBB310_12
; %bb.1038:                             ;   in Loop: Header=BB310_16 Depth=1
	v_and_b32_e32 v31, 7, v7
	v_lshrrev_b32_e32 v32, 3, v70
	s_mov_b32 s28, exec_lo
	v_cmpx_gt_u32_e32 8, v70
	s_cbranch_execz .LBB310_11
; %bb.1039:                             ;   in Loop: Header=BB310_16 Depth=1
	v_ffbh_u32_e32 v31, v31
	v_min_u32_e32 v64, 32, v31
	v_subrev_nc_u32_e32 v31, 28, v64
	v_lshlrev_b64 v[31:32], v31, v[7:8]
	v_sub_nc_u32_e32 v32, 29, v64
	v_and_b32_e32 v31, 7, v31
	s_branch .LBB310_11
.LBB310_1040:
	s_or_b32 exec_lo, exec_lo, s24
	s_clause 0x1b
	buffer_load_dword v60, off, s[0:3], s32 offset:428
	buffer_load_dword v61, off, s[0:3], s32 offset:432
	;; [unrolled: 1-line block ×28, first 2 shown]
.LBB310_1041:
	s_or_b32 exec_lo, exec_lo, s23
	v_mbcnt_lo_u32_b32 v0, -1, 0
	v_max_f32_e32 v4, v13, v13
	s_waitcnt lgkmcnt(0)
	s_lshr_b32 s8, s22, 16
	v_xor_b32_e32 v1, 16, v0
	v_xor_b32_e32 v3, 8, v0
	;; [unrolled: 1-line block ×3, first 2 shown]
	v_cmp_gt_i32_e32 vcc_lo, 32, v1
	v_cndmask_b32_e32 v1, v0, v1, vcc_lo
	v_cmp_gt_i32_e32 vcc_lo, 32, v3
	v_lshlrev_b32_e32 v2, 2, v1
	v_cndmask_b32_e32 v3, v0, v3, vcc_lo
	v_cmp_gt_i32_e32 vcc_lo, 32, v5
	ds_bpermute_b32 v1, v2, v13
	v_lshlrev_b32_e32 v3, 2, v3
	v_cndmask_b32_e32 v5, v0, v5, vcc_lo
	s_waitcnt lgkmcnt(0)
	v_max_f32_e32 v1, v1, v1
	v_max_f32_e32 v1, v4, v1
	ds_bpermute_b32 v4, v3, v1
	s_waitcnt lgkmcnt(0)
	v_max_f32_e32 v6, v4, v4
	v_lshlrev_b32_e32 v4, 2, v5
	v_max_f32_e32 v1, v1, v6
	v_xor_b32_e32 v6, 2, v0
	ds_bpermute_b32 v5, v4, v1
	v_cmp_gt_i32_e32 vcc_lo, 32, v6
	v_cndmask_b32_e32 v6, v0, v6, vcc_lo
	v_lshlrev_b32_e32 v20, 2, v6
	v_xor_b32_e32 v6, 1, v0
	v_cmp_gt_i32_e32 vcc_lo, 32, v6
	s_waitcnt lgkmcnt(0)
	v_max_f32_e32 v5, v5, v5
	v_cndmask_b32_e32 v6, v0, v6, vcc_lo
	v_max_f32_e32 v1, v1, v5
	v_lshlrev_b32_e32 v13, 2, v6
	ds_bpermute_b32 v5, v20, v1
	s_waitcnt lgkmcnt(0)
	v_max_f32_e32 v5, v5, v5
	v_max_f32_e32 v0, v1, v5
	buffer_load_dword v5, off, s[0:3], s32 offset:392 ; 4-byte Folded Reload
	ds_bpermute_b32 v1, v13, v0
	s_waitcnt vmcnt(0)
	v_cmp_eq_u32_e32 vcc_lo, 0, v5
	v_lshlrev_b32_e32 v5, 2, v74
	s_and_saveexec_b32 s5, vcc_lo
	s_cbranch_execz .LBB310_1043
; %bb.1042:
	s_waitcnt lgkmcnt(0)
	v_max_f32_e32 v1, v1, v1
	v_max_f32_e32 v0, v0, v0
	v_max_f32_e32 v0, v0, v1
	ds_write_b32 v5, v0 offset:256
.LBB310_1043:
	s_or_b32 exec_lo, exec_lo, s5
	buffer_load_dword v0, off, s[0:3], s32 offset:392 ; 4-byte Folded Reload
	s_waitcnt vmcnt(0) lgkmcnt(0)
	s_waitcnt_vscnt null, 0x0
	s_barrier
	buffer_gl0_inv
	v_cmp_gt_u32_e64 s5, 4, v0
	v_mov_b32_e32 v0, 0xff7fffff
	s_and_saveexec_b32 s6, s5
; %bb.1044:
	ds_read_b32 v0, v21 offset:256
; %bb.1045:
	s_or_b32 exec_lo, exec_lo, s6
	s_waitcnt lgkmcnt(0)
	ds_bpermute_b32 v1, v20, v0
	v_max_f32_e32 v0, v0, v0
	v_subrev_nc_u32_e32 v7, s13, v79
	v_mov_b32_e32 v6, 0
	s_waitcnt lgkmcnt(0)
	v_max_f32_e32 v1, v1, v1
	v_max_f32_e32 v0, v0, v1
	ds_bpermute_b32 v1, v13, v0
	s_waitcnt lgkmcnt(0)
	v_max_f32_e32 v1, v1, v1
	v_max_f32_e32 v0, v0, v1
	v_lshl_add_u32 v1, v7, 5, s7
	ds_bpermute_b32 v0, v6, v0
	v_min_i32_e32 v1, v1, v36
	v_subrev_nc_u32_e32 v1, s7, v1
	v_cmp_lt_i32_e64 s6, v62, v1
	s_and_saveexec_b32 s9, s6
	s_cbranch_execz .LBB310_1049
; %bb.1046:
	s_getpc_b64 s[20:21]
	s_add_u32 s20, s20, llvm.amdgcn.dynlds.offset.table@rel32@lo+4
	s_addc_u32 s21, s21, llvm.amdgcn.dynlds.offset.table@rel32@hi+12
	s_ashr_i32 s17, s16, 31
	v_mov_b32_e32 v6, 0
	s_lshl_b64 s[22:23], s[16:17], 2
	v_mov_b32_e32 v8, v62
	s_add_u32 s20, s20, s22
	s_addc_u32 s21, s21, s23
	s_mov_b32 s13, 0
	s_load_dword s7, s[20:21], 0x0
	s_waitcnt lgkmcnt(0)
	v_lshl_add_u32 v7, v62, 2, s7
	.p2align	6
.LBB310_1047:                           ; =>This Inner Loop Header: Depth=1
	ds_read_b32 v9, v7
	v_add_nc_u32_e32 v8, 0x80, v8
	v_cmp_ge_i32_e64 s7, v8, v1
	s_or_b32 s13, s7, s13
	s_waitcnt lgkmcnt(0)
	v_sub_f32_e32 v9, v9, v0
	v_mul_f32_e32 v9, 0x3fb8aa3b, v9
	v_exp_f32_e32 v9, v9
	ds_write_b32 v7, v9
	v_add_f32_e32 v6, v6, v9
	v_add_nc_u32_e32 v7, 0x200, v7
	s_andn2_b32 exec_lo, exec_lo, s13
	s_cbranch_execnz .LBB310_1047
; %bb.1048:
	s_or_b32 exec_lo, exec_lo, s13
.LBB310_1049:
	s_or_b32 exec_lo, exec_lo, s9
	ds_bpermute_b32 v2, v2, v6
	s_waitcnt lgkmcnt(0)
	v_add_f32_e32 v2, v6, v2
	ds_bpermute_b32 v3, v3, v2
	s_waitcnt lgkmcnt(0)
	v_add_f32_e32 v2, v2, v3
	;; [unrolled: 3-line block ×5, first 2 shown]
	s_and_saveexec_b32 s7, vcc_lo
; %bb.1050:
	ds_write_b32 v5, v2 offset:272
; %bb.1051:
	s_or_b32 exec_lo, exec_lo, s7
	s_waitcnt lgkmcnt(0)
	s_barrier
	buffer_gl0_inv
	s_and_saveexec_b32 s7, s5
; %bb.1052:
	ds_read_b32 v2, v21 offset:272
; %bb.1053:
	s_or_b32 exec_lo, exec_lo, s7
	s_waitcnt lgkmcnt(0)
	ds_bpermute_b32 v3, v20, v2
	s_waitcnt lgkmcnt(0)
	v_add_f32_e32 v2, v2, v3
	ds_bpermute_b32 v3, v13, v2
	s_waitcnt lgkmcnt(0)
	v_add_f32_e32 v2, v2, v3
	v_mov_b32_e32 v3, 0
	ds_bpermute_b32 v2, v3, v2
	s_and_saveexec_b32 s5, s6
	s_cbranch_execz .LBB310_1056
; %bb.1054:
	s_waitcnt lgkmcnt(0)
	v_add_f32_e32 v4, 0x358637bd, v2
	s_getpc_b64 s[6:7]
	s_add_u32 s6, s6, llvm.amdgcn.dynlds.offset.table@rel32@lo+4
	s_addc_u32 s7, s7, llvm.amdgcn.dynlds.offset.table@rel32@hi+12
	s_ashr_i32 s17, s16, 31
	s_lshl_b64 s[20:21], s[16:17], 2
	v_div_scale_f32 v3, null, v4, v4, 1.0
	v_div_scale_f32 v7, vcc_lo, 1.0, v4, 1.0
	s_add_u32 s6, s6, s20
	v_rcp_f32_e32 v5, v3
	s_addc_u32 s7, s7, s21
	s_load_dword s6, s[6:7], 0x0
	v_fma_f32 v6, -v3, v5, 1.0
	v_fmac_f32_e32 v5, v6, v5
	v_mul_f32_e32 v6, v7, v5
	v_fma_f32 v8, -v3, v6, v7
	v_fmac_f32_e32 v6, v8, v5
	v_fma_f32 v3, -v3, v6, v7
	v_div_fmas_f32 v5, v3, v5, v6
	s_waitcnt lgkmcnt(0)
	v_lshl_add_u32 v3, v62, 2, s6
	s_mov_b32 s6, 0
	v_div_fixup_f32 v4, v5, v4, 1.0
	v_mov_b32_e32 v5, v62
.LBB310_1055:                           ; =>This Inner Loop Header: Depth=1
	ds_read_b32 v6, v3
	v_add_nc_u32_e32 v5, 0x80, v5
	v_cmp_ge_i32_e32 vcc_lo, v5, v1
	s_or_b32 s6, vcc_lo, s6
	s_waitcnt lgkmcnt(0)
	v_mul_f32_e32 v6, v4, v6
	ds_write_b32 v3, v6
	v_add_nc_u32_e32 v3, 0x200, v3
	s_andn2_b32 exec_lo, exec_lo, s6
	s_cbranch_execnz .LBB310_1055
.LBB310_1056:
	s_or_b32 exec_lo, exec_lo, s5
	s_and_b32 s5, 0xffff, s8
	s_mov_b32 s8, exec_lo
	s_cmp_lg_u32 s5, 0
	s_waitcnt lgkmcnt(0)
	s_cselect_b32 s5, -1, 0
	s_barrier
	s_cmp_lg_u32 s5, 0
	buffer_gl0_inv
	s_addc_u32 s5, s11, 0
	s_mul_i32 s6, s5, s18
	s_mul_i32 s6, s6, s15
	v_cmpx_eq_u32_e32 0, v62
	s_cbranch_execz .LBB310_1058
; %bb.1057:
	s_ashr_i32 s7, s6, 31
	s_mul_i32 s12, s5, s12
	s_lshl_b64 s[20:21], s[6:7], 2
	s_ashr_i32 s13, s12, 31
	v_add_co_u32 v1, vcc_lo, v26, s20
	v_add_co_ci_u32_e64 v3, null, s21, v25, vcc_lo
	s_lshl_b64 s[12:13], s[12:13], 2
	s_ashr_i32 s15, s14, 31
	v_add_co_u32 v1, vcc_lo, v1, s12
	v_add_co_ci_u32_e64 v4, null, s13, v3, vcc_lo
	v_add_co_u32 v3, vcc_lo, v24, s20
	v_add_co_ci_u32_e64 v5, null, s21, v22, vcc_lo
	s_lshl_b64 s[20:21], s[14:15], 2
	v_add_co_u32 v6, vcc_lo, v3, s12
	v_add_co_ci_u32_e64 v7, null, s13, v5, vcc_lo
	v_add_co_u32 v3, vcc_lo, v1, s20
	v_add_co_ci_u32_e64 v4, null, s21, v4, vcc_lo
	;; [unrolled: 2-line block ×3, first 2 shown]
	flat_store_dword v[3:4], v0
	flat_store_dword v[5:6], v2
.LBB310_1058:
	s_or_b32 exec_lo, exec_lo, s8
	s_ashr_i32 s17, s16, 31
	s_getpc_b64 s[8:9]
	s_add_u32 s8, s8, llvm.amdgcn.dynlds.offset.table@rel32@lo+4
	s_addc_u32 s9, s9, llvm.amdgcn.dynlds.offset.table@rel32@hi+12
	s_lshl_b64 s[12:13], s[16:17], 2
	v_mov_b32_e32 v57, 0
	v_and_b32_e32 v21, 3, v62
	v_mov_b32_e32 v64, 0
	v_mov_b32_e32 v68, 0
	;; [unrolled: 1-line block ×15, first 2 shown]
	s_add_u32 s8, s8, s12
	s_addc_u32 s9, s9, s13
	s_and_saveexec_b32 s7, s4
	s_cbranch_execz .LBB310_2120
; %bb.1059:
	v_max_i32_e32 v30, v30, v17
	s_load_dword s4, s[8:9], 0x0
	v_lshlrev_b32_e32 v0, 3, v62
	v_lshlrev_b64 v[2:3], 2, v[77:78]
	v_lshlrev_b32_e32 v7, 5, v21
	v_cvt_f32_u32_e32 v1, v30
	v_sub_nc_u32_e32 v8, 0, v30
	v_add_co_u32 v4, vcc_lo, v10, v12
	v_and_b32_e32 v80, 24, v0
	v_rcp_iflag_f32_e32 v6, v1
	v_and_b32_e32 v0, 0xf8, v0
	v_add_co_ci_u32_e64 v5, null, v11, v27, vcc_lo
	v_lshl_or_b32 v9, v74, 7, v7
	v_add_co_u32 v7, vcc_lo, v18, v2
	v_add_co_ci_u32_e64 v10, null, v19, v3, vcc_lo
	v_add_co_u32 v2, vcc_lo, v4, v0
	v_mul_f32_e32 v6, 0x4f7ffffe, v6
	v_add_co_ci_u32_e64 v3, null, 0, v5, vcc_lo
	v_add_co_u32 v7, vcc_lo, v14, v7
	v_cvt_u32_f32_e32 v6, v6
	v_add_nc_u32_e32 v52, -1, v16
	v_mov_b32_e32 v1, 0
	v_mov_b32_e32 v17, 0x80
	;; [unrolled: 1-line block ×3, first 2 shown]
	v_mul_lo_u32 v8, v8, v6
	v_mov_b32_e32 v54, 7
	v_mov_b32_e32 v71, 8
	;; [unrolled: 1-line block ×7, first 2 shown]
	v_mul_hi_u32 v11, v6, v8
	v_mov_b32_e32 v32, 0
	v_mov_b32_e32 v33, 0
	;; [unrolled: 1-line block ×3, first 2 shown]
	v_add_co_ci_u32_e64 v8, null, v15, v10, vcc_lo
	s_waitcnt lgkmcnt(0)
	v_add_nc_u32_e32 v14, s4, v9
	v_mov_b32_e32 v55, 0
	v_add_nc_u32_e32 v15, v6, v11
	v_mov_b32_e32 v23, 0
	v_mov_b32_e32 v65, 0
	;; [unrolled: 1-line block ×7, first 2 shown]
	s_mov_b32 s12, -1
	s_mov_b32 s13, 0xffffff
	s_mov_b32 s11, 0
	s_branch .LBB310_1062
.LBB310_1060:                           ;   in Loop: Header=BB310_1062 Depth=1
	s_or_b32 exec_lo, exec_lo, s4
	v_add_f32_e32 v6, v6, v22
	v_add_f32_e32 v4, v4, v5
	;; [unrolled: 1-line block ×8, first 2 shown]
	;;#ASMSTART
	v_pk_mul_f16 v5, v85, v26;

	;;#ASMEND
	v_add_f32_e32 v18, v49, v50
	v_add_f32_e32 v27, v38, v48
	;; [unrolled: 1-line block ×3, first 2 shown]
	;;#ASMSTART
	v_pk_mul_f16 v6, v84, v10;

	;;#ASMEND
	;;#ASMSTART
	v_pk_mul_f16 v9, v83, v9;

	;;#ASMEND
	;; [unrolled: 4-line block ×3, first 2 shown]
	;;#ASMSTART
	v_pk_add_f16 v5, v5, v6;

	;;#ASMEND
	;;#ASMSTART
	v_pk_add_f16 v5, v5, v9;

	;;#ASMEND
	;; [unrolled: 4-line block ×3, first 2 shown]
	v_and_b32_e32 v9, 0xffff, v0
	v_lshrrev_b32_e32 v10, 16, v0
	;;#ASMSTART
	v_cvt_f32_f16 v9, v9;
	;;#ASMEND
	v_add_f32_e32 v35, v35, v37
	v_add_f32_e32 v25, v25, v11
	;; [unrolled: 1-line block ×10, first 2 shown]
	;;#ASMSTART
	v_cvt_f32_f16 v10, v10;
	;;#ASMEND
	v_add_f32_e32 v9, v9, v10
	v_add_f32_e32 v29, v29, v18
	;; [unrolled: 1-line block ×11, first 2 shown]
.LBB310_1061:                           ;   in Loop: Header=BB310_1062 Depth=1
	s_or_b32 exec_lo, exec_lo, s15
	v_add_nc_u32_e32 v77, 4, v77
	v_add_co_u32 v7, s4, v7, 16
	v_add_co_ci_u32_e64 v8, null, 0, v8, s4
	v_cmp_ge_i32_e32 vcc_lo, v77, v79
	v_add_nc_u32_e32 v69, 0x80, v69
	v_add_nc_u32_e32 v14, 0x200, v14
	s_or_b32 s11, vcc_lo, s11
	s_andn2_b32 exec_lo, exec_lo, s11
	s_cbranch_execz .LBB310_2119
.LBB310_1062:                           ; =>This Inner Loop Header: Depth=1
	buffer_load_dword v4, off, s[0:3], s32 offset:208 ; 4-byte Folded Reload
	v_sub_nc_u32_e32 v0, 0, v69
	v_max_i32_e32 v0, v69, v0
	s_waitcnt vmcnt(0)
	v_mul_hi_u32 v4, v0, v4
	v_mul_lo_u32 v5, v4, v75
	v_sub_nc_u32_e32 v0, v0, v5
	v_add_nc_u32_e32 v5, 1, v4
	v_sub_nc_u32_e32 v6, v0, v75
	v_cmp_ge_u32_e32 vcc_lo, v0, v75
	v_cndmask_b32_e32 v4, v4, v5, vcc_lo
	v_cndmask_b32_e32 v0, v0, v6, vcc_lo
	v_ashrrev_i32_e32 v5, 31, v69
	v_add_nc_u32_e32 v6, 1, v4
	v_cmp_ge_u32_e32 vcc_lo, v0, v75
	v_xor_b32_e32 v5, v5, v76
	v_cndmask_b32_e32 v0, v4, v6, vcc_lo
	v_xor_b32_e32 v0, v0, v5
	v_sub_nc_u32_e32 v0, v0, v5
	s_clause 0x1
	buffer_load_dword v4, off, s[0:3], s32 offset:200
	buffer_load_dword v5, off, s[0:3], s32 offset:204
	s_waitcnt vmcnt(1)
	v_add_nc_u32_e32 v4, v0, v4
	s_waitcnt vmcnt(0)
	v_sub_nc_u32_e32 v5, 0, v4
	v_max_i32_e32 v5, v4, v5
	v_ashrrev_i32_e32 v4, 31, v4
	v_mul_hi_u32 v6, v5, v15
	v_mul_lo_u32 v6, v6, v30
	v_sub_nc_u32_e32 v5, v5, v6
	v_sub_nc_u32_e32 v6, v5, v30
	v_cmp_ge_u32_e32 vcc_lo, v5, v30
	v_cndmask_b32_e32 v5, v5, v6, vcc_lo
	v_sub_nc_u32_e32 v6, v5, v30
	v_cmp_ge_u32_e32 vcc_lo, v5, v30
	v_cndmask_b32_e32 v5, v5, v6, vcc_lo
	v_xor_b32_e32 v5, v5, v4
	v_sub_nc_u32_e32 v4, v5, v4
	v_cmp_eq_u32_e32 vcc_lo, 0, v4
	buffer_load_dword v4, off, s[0:3], s32 offset:212 ; 4-byte Folded Reload
	s_waitcnt vmcnt(0)
	v_cmp_gt_i32_e64 s4, v0, v4
	s_or_b32 s4, vcc_lo, s4
	s_and_saveexec_b32 s15, s4
	s_cbranch_execz .LBB310_1061
; %bb.1063:                             ;   in Loop: Header=BB310_1062 Depth=1
	flat_load_dword v0, v[7:8]
	ds_read2_b64 v[48:51], v14 offset1:1
	ds_read2_b64 v[81:84], v14 offset0:2 offset1:3
	v_mov_b32_e32 v39, 0
	s_waitcnt lgkmcnt(1)
	;;#ASMSTART
	v_cvt_f16_f32 v4, v48;

	;;#ASMEND
	;;#ASMSTART
	v_cvt_f16_f32 v5, v49;

	;;#ASMEND
	;; [unrolled: 4-line block ×4, first 2 shown]
	s_waitcnt lgkmcnt(0)
	;;#ASMSTART
	v_cvt_f16_f32 v35, v81;

	;;#ASMEND
	;;#ASMSTART
	v_cvt_f16_f32 v16, v82;

	;;#ASMEND
	;; [unrolled: 4-line block ×4, first 2 shown]
	v_mov_b32_e32 v48, 0
	s_waitcnt vmcnt(0)
	v_mad_i64_i32 v[9:10], null, v0, v63, v[2:3]
	flat_load_dwordx2 v[11:12], v[9:10]
	flat_load_dword v38, v[72:73]
	s_waitcnt vmcnt(1) lgkmcnt(1)
	v_cmp_ne_u16_sdwa s16, v11, v1 src0_sel:BYTE_0 src1_sel:DWORD
	s_and_saveexec_b32 s4, s16
	s_cbranch_execz .LBB310_1071
; %bb.1064:                             ;   in Loop: Header=BB310_1062 Depth=1
	v_cmp_ne_u16_sdwa s17, v11, v17 src0_sel:BYTE_0 src1_sel:DWORD
	v_mov_b32_e32 v48, 0x8000
	s_and_saveexec_b32 s16, s17
	s_cbranch_execz .LBB310_1070
; %bb.1065:                             ;   in Loop: Header=BB310_1062 Depth=1
	v_and_b32_e32 v26, 0x7f, v11
	v_mov_b32_e32 v48, 0x7c01
	s_mov_b32 s17, exec_lo
	v_cmpx_ne_u32_e32 0x7f, v26
	s_cbranch_execz .LBB310_1069
; %bb.1066:                             ;   in Loop: Header=BB310_1062 Depth=1
	v_and_b32_e32 v0, 7, v11
	v_lshrrev_b32_e32 v18, 3, v26
	s_mov_b32 s18, exec_lo
	v_cmpx_gt_u32_e32 8, v26
; %bb.1067:                             ;   in Loop: Header=BB310_1062 Depth=1
	v_ffbh_u32_e32 v0, v0
	v_min_u32_e32 v0, 32, v0
	v_subrev_nc_u32_e32 v18, 28, v0
	v_lshlrev_b64 v[26:27], v18, v[11:12]
	v_sub_nc_u32_e32 v18, 29, v0
	v_and_b32_e32 v0, 7, v26
; %bb.1068:                             ;   in Loop: Header=BB310_1062 Depth=1
	s_or_b32 exec_lo, exec_lo, s18
	v_lshlrev_b32_e32 v26, 8, v11
	v_lshl_add_u32 v18, v18, 10, 0x2000
	v_lshlrev_b32_e32 v0, 7, v0
	v_and_b32_e32 v26, 0x8000, v26
	v_and_b32_e32 v18, 0xfc00, v18
	v_or3_b32 v48, v26, v18, v0
.LBB310_1069:                           ;   in Loop: Header=BB310_1062 Depth=1
	s_or_b32 exec_lo, exec_lo, s17
.LBB310_1070:                           ;   in Loop: Header=BB310_1062 Depth=1
	s_or_b32 exec_lo, exec_lo, s16
.LBB310_1071:                           ;   in Loop: Header=BB310_1062 Depth=1
	s_or_b32 exec_lo, exec_lo, s4
	v_lshrrev_b16 v0, 8, v11
	s_mov_b32 s4, exec_lo
	v_cmpx_ne_u16_e32 0, v0
	s_cbranch_execz .LBB310_1079
; %bb.1072:                             ;   in Loop: Header=BB310_1062 Depth=1
	v_bfrev_b32_e32 v39, 1
	s_mov_b32 s16, exec_lo
	v_cmpx_ne_u16_e32 0x80, v0
	s_cbranch_execz .LBB310_1078
; %bb.1073:                             ;   in Loop: Header=BB310_1062 Depth=1
	v_and_b32_sdwa v27, v0, v53 dst_sel:DWORD dst_unused:UNUSED_PAD src0_sel:WORD_0 src1_sel:DWORD
	v_mov_b32_e32 v39, 0x7c010000
	s_mov_b32 s17, exec_lo
	v_cmpx_ne_u32_e32 0x7f, v27
	s_cbranch_execz .LBB310_1077
; %bb.1074:                             ;   in Loop: Header=BB310_1062 Depth=1
	v_and_b32_sdwa v18, v0, v54 dst_sel:DWORD dst_unused:UNUSED_PAD src0_sel:WORD_0 src1_sel:DWORD
	v_lshrrev_b32_e32 v26, 3, v27
	s_mov_b32 s18, exec_lo
	v_cmpx_gt_u32_e32 8, v27
; %bb.1075:                             ;   in Loop: Header=BB310_1062 Depth=1
	v_ffbh_u32_e32 v18, v18
	v_min_u32_e32 v18, 32, v18
	v_subrev_nc_u32_e32 v26, 28, v18
	v_lshlrev_b64 v[49:50], v26, v[0:1]
	v_sub_nc_u32_e32 v26, 29, v18
	v_and_b32_e32 v18, 7, v49
; %bb.1076:                             ;   in Loop: Header=BB310_1062 Depth=1
	s_or_b32 exec_lo, exec_lo, s18
	v_lshlrev_b32_sdwa v0, v71, v0 dst_sel:DWORD dst_unused:UNUSED_PAD src0_sel:DWORD src1_sel:WORD_0
	v_lshl_add_u32 v26, v26, 10, 0x2000
	v_lshlrev_b32_e32 v18, 23, v18
	v_and_or_b32 v0, 0x8000, v0, v26
	v_lshl_or_b32 v39, v0, 16, v18
.LBB310_1077:                           ;   in Loop: Header=BB310_1062 Depth=1
	s_or_b32 exec_lo, exec_lo, s17
.LBB310_1078:                           ;   in Loop: Header=BB310_1062 Depth=1
	s_or_b32 exec_lo, exec_lo, s16
.LBB310_1079:                           ;   in Loop: Header=BB310_1062 Depth=1
	s_or_b32 exec_lo, exec_lo, s4
	v_lshrrev_b32_e32 v0, 16, v11
	v_mov_b32_e32 v49, 0
	v_mov_b32_e32 v18, 0
	v_cmp_ne_u16_sdwa s16, v0, v1 src0_sel:BYTE_0 src1_sel:DWORD
	s_and_saveexec_b32 s4, s16
	s_cbranch_execz .LBB310_1087
; %bb.1080:                             ;   in Loop: Header=BB310_1062 Depth=1
	v_cmp_ne_u16_sdwa s17, v0, v17 src0_sel:BYTE_0 src1_sel:DWORD
	v_mov_b32_e32 v18, 0x8000
	s_and_saveexec_b32 s16, s17
	s_cbranch_execz .LBB310_1086
; %bb.1081:                             ;   in Loop: Header=BB310_1062 Depth=1
	v_bfe_u32 v27, v11, 16, 7
	v_mov_b32_e32 v18, 0x7c01
	s_mov_b32 s17, exec_lo
	v_cmpx_ne_u32_e32 0x7f, v27
	s_cbranch_execz .LBB310_1085
; %bb.1082:                             ;   in Loop: Header=BB310_1062 Depth=1
	v_and_b32_e32 v18, 7, v0
	v_lshrrev_b32_e32 v26, 3, v27
	s_mov_b32 s18, exec_lo
	v_cmpx_gt_u32_e32 8, v27
; %bb.1083:                             ;   in Loop: Header=BB310_1062 Depth=1
	v_ffbh_u32_e32 v18, v18
	v_min_u32_e32 v18, 32, v18
	v_subrev_nc_u32_e32 v26, 28, v18
	v_lshlrev_b64 v[50:51], v26, v[0:1]
	v_sub_nc_u32_e32 v26, 29, v18
	v_and_b32_e32 v18, 7, v50
; %bb.1084:                             ;   in Loop: Header=BB310_1062 Depth=1
	s_or_b32 exec_lo, exec_lo, s18
	v_lshlrev_b32_e32 v0, 8, v0
	v_lshl_add_u32 v26, v26, 10, 0x2000
	v_lshlrev_b32_e32 v18, 7, v18
	v_and_b32_e32 v0, 0x8000, v0
	v_and_b32_e32 v26, 0xfc00, v26
	v_or3_b32 v18, v0, v26, v18
.LBB310_1085:                           ;   in Loop: Header=BB310_1062 Depth=1
	s_or_b32 exec_lo, exec_lo, s17
.LBB310_1086:                           ;   in Loop: Header=BB310_1062 Depth=1
	s_or_b32 exec_lo, exec_lo, s16
.LBB310_1087:                           ;   in Loop: Header=BB310_1062 Depth=1
	s_or_b32 exec_lo, exec_lo, s4
	s_mov_b32 s4, exec_lo
	v_cmpx_lt_u32_e32 0xffffff, v11
	s_cbranch_execz .LBB310_1095
; %bb.1088:                             ;   in Loop: Header=BB310_1062 Depth=1
	v_lshrrev_b32_e32 v0, 24, v11
	v_bfrev_b32_e32 v49, 1
	s_mov_b32 s16, exec_lo
	v_cmpx_ne_u32_e32 0x80, v0
	s_cbranch_execz .LBB310_1094
; %bb.1089:                             ;   in Loop: Header=BB310_1062 Depth=1
	v_and_b32_e32 v50, 0x7f, v0
	v_mov_b32_e32 v49, 0x7c010000
	s_mov_b32 s17, exec_lo
	v_cmpx_ne_u32_e32 0x7f, v50
	s_cbranch_execz .LBB310_1093
; %bb.1090:                             ;   in Loop: Header=BB310_1062 Depth=1
	v_and_b32_e32 v26, 7, v0
	v_lshrrev_b32_e32 v27, 3, v50
	s_mov_b32 s18, exec_lo
	v_cmpx_gt_u32_e32 8, v50
; %bb.1091:                             ;   in Loop: Header=BB310_1062 Depth=1
	v_ffbh_u32_e32 v26, v26
	v_min_u32_e32 v49, 32, v26
	v_subrev_nc_u32_e32 v26, 28, v49
	v_lshlrev_b64 v[26:27], v26, v[0:1]
	v_sub_nc_u32_e32 v27, 29, v49
	v_and_b32_e32 v26, 7, v26
; %bb.1092:                             ;   in Loop: Header=BB310_1062 Depth=1
	s_or_b32 exec_lo, exec_lo, s18
	v_lshlrev_b32_e32 v0, 8, v0
	v_lshl_add_u32 v27, v27, 10, 0x2000
	v_lshlrev_b32_e32 v26, 23, v26
	v_and_or_b32 v0, 0x8000, v0, v27
	v_lshl_or_b32 v49, v0, 16, v26
.LBB310_1093:                           ;   in Loop: Header=BB310_1062 Depth=1
	s_or_b32 exec_lo, exec_lo, s17
.LBB310_1094:                           ;   in Loop: Header=BB310_1062 Depth=1
	s_or_b32 exec_lo, exec_lo, s16
.LBB310_1095:                           ;   in Loop: Header=BB310_1062 Depth=1
	s_or_b32 exec_lo, exec_lo, s4
	v_mov_b32_e32 v0, v12
	v_cmp_ne_u16_sdwa s16, v12, v1 src0_sel:BYTE_0 src1_sel:DWORD
	v_mov_b32_e32 v27, 0
	v_mov_b32_e32 v26, 0
	s_and_saveexec_b32 s4, s16
	s_cbranch_execz .LBB310_1103
; %bb.1096:                             ;   in Loop: Header=BB310_1062 Depth=1
	v_cmp_ne_u16_sdwa s17, v12, v17 src0_sel:BYTE_0 src1_sel:DWORD
	v_mov_b32_e32 v26, 0x8000
	s_and_saveexec_b32 s16, s17
	s_cbranch_execz .LBB310_1102
; %bb.1097:                             ;   in Loop: Header=BB310_1062 Depth=1
	v_and_b32_e32 v51, 0x7f, v12
	v_mov_b32_e32 v26, 0x7c01
	s_mov_b32 s17, exec_lo
	v_cmpx_ne_u32_e32 0x7f, v51
	s_cbranch_execz .LBB310_1101
; %bb.1098:                             ;   in Loop: Header=BB310_1062 Depth=1
	v_and_b32_e32 v26, 7, v12
	v_lshrrev_b32_e32 v50, 3, v51
	s_mov_b32 s18, exec_lo
	v_cmpx_gt_u32_e32 8, v51
; %bb.1099:                             ;   in Loop: Header=BB310_1062 Depth=1
	v_ffbh_u32_e32 v26, v26
	v_min_u32_e32 v26, 32, v26
	v_subrev_nc_u32_e32 v50, 28, v26
	v_lshlrev_b64 v[81:82], v50, v[0:1]
	v_sub_nc_u32_e32 v50, 29, v26
	v_and_b32_e32 v26, 7, v81
; %bb.1100:                             ;   in Loop: Header=BB310_1062 Depth=1
	s_or_b32 exec_lo, exec_lo, s18
	v_lshlrev_b32_e32 v51, 8, v12
	v_lshl_add_u32 v50, v50, 10, 0x2000
	v_lshlrev_b32_e32 v26, 7, v26
	v_and_b32_e32 v51, 0x8000, v51
	v_and_b32_e32 v50, 0xfc00, v50
	v_or3_b32 v26, v51, v50, v26
.LBB310_1101:                           ;   in Loop: Header=BB310_1062 Depth=1
	s_or_b32 exec_lo, exec_lo, s17
.LBB310_1102:                           ;   in Loop: Header=BB310_1062 Depth=1
	s_or_b32 exec_lo, exec_lo, s16
.LBB310_1103:                           ;   in Loop: Header=BB310_1062 Depth=1
	s_or_b32 exec_lo, exec_lo, s4
	v_lshrrev_b16 v0, 8, v0
	v_mov_b32_e32 v50, 0
	s_mov_b32 s4, exec_lo
	v_cmpx_ne_u16_e32 0, v0
	s_cbranch_execz .LBB310_1111
; %bb.1104:                             ;   in Loop: Header=BB310_1062 Depth=1
	v_bfrev_b32_e32 v50, 1
	s_mov_b32 s16, exec_lo
	v_cmpx_ne_u16_e32 0x80, v0
	s_cbranch_execz .LBB310_1110
; %bb.1105:                             ;   in Loop: Header=BB310_1062 Depth=1
	v_and_b32_sdwa v70, v0, v53 dst_sel:DWORD dst_unused:UNUSED_PAD src0_sel:WORD_0 src1_sel:DWORD
	v_mov_b32_e32 v50, 0x7c010000
	s_mov_b32 s17, exec_lo
	v_cmpx_ne_u32_e32 0x7f, v70
	s_cbranch_execz .LBB310_1109
; %bb.1106:                             ;   in Loop: Header=BB310_1062 Depth=1
	v_and_b32_sdwa v50, v0, v54 dst_sel:DWORD dst_unused:UNUSED_PAD src0_sel:WORD_0 src1_sel:DWORD
	v_lshrrev_b32_e32 v51, 3, v70
	s_mov_b32 s18, exec_lo
	v_cmpx_gt_u32_e32 8, v70
; %bb.1107:                             ;   in Loop: Header=BB310_1062 Depth=1
	v_ffbh_u32_e32 v50, v50
	v_min_u32_e32 v70, 32, v50
	v_subrev_nc_u32_e32 v50, 28, v70
	v_lshlrev_b64 v[50:51], v50, v[0:1]
	v_sub_nc_u32_e32 v51, 29, v70
	v_and_b32_e32 v50, 7, v50
; %bb.1108:                             ;   in Loop: Header=BB310_1062 Depth=1
	s_or_b32 exec_lo, exec_lo, s18
	v_lshlrev_b32_sdwa v0, v71, v0 dst_sel:DWORD dst_unused:UNUSED_PAD src0_sel:DWORD src1_sel:WORD_0
	v_lshl_add_u32 v51, v51, 10, 0x2000
	v_lshlrev_b32_e32 v50, 23, v50
	v_and_or_b32 v0, 0x8000, v0, v51
	v_lshl_or_b32 v50, v0, 16, v50
.LBB310_1109:                           ;   in Loop: Header=BB310_1062 Depth=1
	s_or_b32 exec_lo, exec_lo, s17
.LBB310_1110:                           ;   in Loop: Header=BB310_1062 Depth=1
	s_or_b32 exec_lo, exec_lo, s16
.LBB310_1111:                           ;   in Loop: Header=BB310_1062 Depth=1
	s_or_b32 exec_lo, exec_lo, s4
	v_lshrrev_b32_e32 v0, 16, v12
	v_cmp_ne_u16_sdwa s16, v0, v1 src0_sel:BYTE_0 src1_sel:DWORD
	s_and_saveexec_b32 s4, s16
	s_cbranch_execz .LBB310_1119
; %bb.1112:                             ;   in Loop: Header=BB310_1062 Depth=1
	v_cmp_ne_u16_sdwa s17, v0, v17 src0_sel:BYTE_0 src1_sel:DWORD
	v_mov_b32_e32 v27, 0x8000
	s_and_saveexec_b32 s16, s17
	s_cbranch_execz .LBB310_1118
; %bb.1113:                             ;   in Loop: Header=BB310_1062 Depth=1
	v_bfe_u32 v70, v12, 16, 7
	v_mov_b32_e32 v27, 0x7c01
	s_mov_b32 s17, exec_lo
	v_cmpx_ne_u32_e32 0x7f, v70
	s_cbranch_execz .LBB310_1117
; %bb.1114:                             ;   in Loop: Header=BB310_1062 Depth=1
	v_and_b32_e32 v27, 7, v0
	v_lshrrev_b32_e32 v51, 3, v70
	s_mov_b32 s18, exec_lo
	v_cmpx_gt_u32_e32 8, v70
; %bb.1115:                             ;   in Loop: Header=BB310_1062 Depth=1
	v_ffbh_u32_e32 v27, v27
	v_min_u32_e32 v27, 32, v27
	v_subrev_nc_u32_e32 v51, 28, v27
	v_lshlrev_b64 v[81:82], v51, v[0:1]
	v_sub_nc_u32_e32 v51, 29, v27
	v_and_b32_e32 v27, 7, v81
; %bb.1116:                             ;   in Loop: Header=BB310_1062 Depth=1
	s_or_b32 exec_lo, exec_lo, s18
	v_lshlrev_b32_e32 v0, 8, v0
	v_lshl_add_u32 v51, v51, 10, 0x2000
	v_lshlrev_b32_e32 v27, 7, v27
	v_and_b32_e32 v0, 0x8000, v0
	v_and_b32_e32 v51, 0xfc00, v51
	v_or3_b32 v27, v0, v51, v27
.LBB310_1117:                           ;   in Loop: Header=BB310_1062 Depth=1
	s_or_b32 exec_lo, exec_lo, s17
.LBB310_1118:                           ;   in Loop: Header=BB310_1062 Depth=1
	s_or_b32 exec_lo, exec_lo, s16
.LBB310_1119:                           ;   in Loop: Header=BB310_1062 Depth=1
	s_or_b32 exec_lo, exec_lo, s4
	v_cmp_lt_u64_e32 vcc_lo, s[12:13], v[11:12]
	v_mov_b32_e32 v11, 0
	s_and_saveexec_b32 s4, vcc_lo
	s_cbranch_execz .LBB310_1127
; %bb.1120:                             ;   in Loop: Header=BB310_1062 Depth=1
	v_lshrrev_b32_e32 v0, 24, v12
	v_bfrev_b32_e32 v11, 1
	s_mov_b32 s16, exec_lo
	v_cmpx_ne_u32_e32 0x80, v0
	s_cbranch_execz .LBB310_1126
; %bb.1121:                             ;   in Loop: Header=BB310_1062 Depth=1
	v_and_b32_e32 v51, 0x7f, v0
	v_mov_b32_e32 v11, 0x7c010000
	s_mov_b32 s17, exec_lo
	v_cmpx_ne_u32_e32 0x7f, v51
	s_cbranch_execz .LBB310_1125
; %bb.1122:                             ;   in Loop: Header=BB310_1062 Depth=1
	v_and_b32_e32 v11, 7, v0
	v_lshrrev_b32_e32 v12, 3, v51
	s_mov_b32 s18, exec_lo
	v_cmpx_gt_u32_e32 8, v51
; %bb.1123:                             ;   in Loop: Header=BB310_1062 Depth=1
	v_ffbh_u32_e32 v11, v11
	v_min_u32_e32 v51, 32, v11
	v_subrev_nc_u32_e32 v11, 28, v51
	v_lshlrev_b64 v[11:12], v11, v[0:1]
	v_sub_nc_u32_e32 v12, 29, v51
	v_and_b32_e32 v11, 7, v11
; %bb.1124:                             ;   in Loop: Header=BB310_1062 Depth=1
	s_or_b32 exec_lo, exec_lo, s18
	v_lshlrev_b32_e32 v0, 8, v0
	v_lshl_add_u32 v12, v12, 10, 0x2000
	v_lshlrev_b32_e32 v11, 23, v11
	v_and_or_b32 v0, 0x8000, v0, v12
	v_lshl_or_b32 v11, v0, 16, v11
.LBB310_1125:                           ;   in Loop: Header=BB310_1062 Depth=1
	s_or_b32 exec_lo, exec_lo, s17
.LBB310_1126:                           ;   in Loop: Header=BB310_1062 Depth=1
	s_or_b32 exec_lo, exec_lo, s16
.LBB310_1127:                           ;   in Loop: Header=BB310_1062 Depth=1
	s_or_b32 exec_lo, exec_lo, s4
	v_or_b32_e32 v0, v49, v18
	v_or_b32_e32 v48, v39, v48
	s_waitcnt vmcnt(0) lgkmcnt(0)
	v_fma_mixlo_f16 v39, v38, v39, 0 op_sel:[0,1,0] op_sel_hi:[0,1,0]
	v_or_b32_e32 v26, v50, v26
	v_or_b32_e32 v27, v11, v27
	v_fma_mixlo_f16 v0, v38, v0, 0 op_sel_hi:[0,1,0]
	v_fma_mixlo_f16 v12, v38, v49, 0 op_sel:[0,1,0] op_sel_hi:[0,1,0]
	v_lshlrev_b32_e32 v51, 16, v39
	v_fma_mixlo_f16 v26, v38, v26, 0 op_sel_hi:[0,1,0]
	v_fma_mixlo_f16 v11, v38, v11, 0 op_sel:[0,1,0] op_sel_hi:[0,1,0]
	v_and_b32_e32 v39, 0xffff, v0
	v_fma_mixlo_f16 v0, v38, v48, 0 op_sel_hi:[0,1,0]
	v_fma_mixlo_f16 v48, v38, v50, 0 op_sel:[0,1,0] op_sel_hi:[0,1,0]
	v_fma_mixlo_f16 v38, v38, v27, 0 op_sel_hi:[0,1,0]
	v_add_nc_u32_e32 v18, v80, v69
	v_lshlrev_b32_e32 v12, 16, v12
	v_and_b32_e32 v70, 0xffff, v0
	v_lshlrev_b32_e32 v48, 16, v48
	v_and_b32_e32 v50, 0xffff, v26
	;; [unrolled: 2-line block ×3, first 2 shown]
	v_cmp_eq_u32_e32 vcc_lo, v52, v77
	v_or_b32_e32 v0, v12, v39
	v_or_b32_e32 v11, v51, v70
	;; [unrolled: 1-line block ×4, first 2 shown]
	v_add_nc_u32_e32 v100, 1, v18
	v_add_nc_u32_e32 v99, 2, v18
	;; [unrolled: 1-line block ×7, first 2 shown]
	s_and_saveexec_b32 s16, vcc_lo
	s_cbranch_execz .LBB310_1129
; %bb.1128:                             ;   in Loop: Header=BB310_1062 Depth=1
	v_cmp_lt_i32_e64 s4, v18, v36
	v_cndmask_b32_e64 v0, 0, v70, s4
	v_cmp_lt_i32_e64 s4, v100, v36
	v_cndmask_b32_e64 v11, 0, v51, s4
	v_cmp_lt_i32_e64 s4, v99, v36
	v_or_b32_e32 v11, v0, v11
	v_cndmask_b32_e64 v26, 0, v39, s4
	v_cmp_lt_i32_e64 s4, v98, v36
	v_cndmask_b32_e64 v12, 0, v12, s4
	v_cmp_lt_i32_e64 s4, v97, v36
	v_or_b32_e32 v0, v26, v12
	;; [unrolled: 5-line block ×3, first 2 shown]
	v_cndmask_b32_e64 v48, 0, v49, s4
	v_cmp_lt_i32_e64 s4, v86, v36
	v_cndmask_b32_e64 v27, 0, v27, s4
	v_or_b32_e32 v38, v48, v27
.LBB310_1129:                           ;   in Loop: Header=BB310_1062 Depth=1
	s_or_b32 exec_lo, exec_lo, s16
	v_and_b32_e32 v4, 0xffff, v4
	v_and_b32_e32 v12, 0xffff, v22
	;; [unrolled: 1-line block ×4, first 2 shown]
	v_lshl_or_b32 v85, v5, 16, v4
	v_lshl_or_b32 v84, v6, 16, v12
	;;#ASMSTART
	v_pk_mul_f16 v4, v85, v11;

	;;#ASMEND
	;;#ASMSTART
	v_pk_mul_f16 v0, v84, v0;

	;;#ASMEND
	v_lshl_or_b32 v83, v16, 16, v22
	v_lshl_or_b32 v82, v19, 16, v27
	;;#ASMSTART
	v_pk_mul_f16 v5, v83, v26;

	;;#ASMEND
	;;#ASMSTART
	v_pk_mul_f16 v6, v82, v38;

	;;#ASMEND
	;;#ASMSTART
	v_pk_add_f16 v0, v4, v0;

	;;#ASMEND
	;;#ASMSTART
	v_pk_add_f16 v0, v0, v5;
	;; [unrolled: 4-line block ×3, first 2 shown]

	;;#ASMEND
	v_and_b32_e32 v4, 0xffff, v0
	v_lshrrev_b32_e32 v0, 16, v0
	;;#ASMSTART
	v_cvt_f32_f16 v19, v4;
	;;#ASMEND
	;;#ASMSTART
	v_cvt_f32_f16 v81, v0;
	;;#ASMEND
	flat_load_dwordx2 v[11:12], v[9:10] offset:256
	flat_load_dword v4, v[72:73]
	v_mov_b32_e32 v5, 0
	v_mov_b32_e32 v6, 0
	s_waitcnt vmcnt(1) lgkmcnt(1)
	v_cmp_ne_u16_sdwa s4, v11, v1 src0_sel:BYTE_0 src1_sel:DWORD
	s_and_saveexec_b32 s16, s4
	s_cbranch_execz .LBB310_1137
; %bb.1130:                             ;   in Loop: Header=BB310_1062 Depth=1
	v_cmp_ne_u16_sdwa s4, v11, v17 src0_sel:BYTE_0 src1_sel:DWORD
	v_mov_b32_e32 v6, 0x8000
	s_and_saveexec_b32 s17, s4
	s_cbranch_execz .LBB310_1136
; %bb.1131:                             ;   in Loop: Header=BB310_1062 Depth=1
	v_and_b32_e32 v16, 0x7f, v11
	v_mov_b32_e32 v6, 0x7c01
	s_mov_b32 s18, exec_lo
	v_cmpx_ne_u32_e32 0x7f, v16
	s_cbranch_execz .LBB310_1135
; %bb.1132:                             ;   in Loop: Header=BB310_1062 Depth=1
	v_and_b32_e32 v0, 7, v11
	v_lshrrev_b32_e32 v6, 3, v16
	s_mov_b32 s20, exec_lo
	v_cmpx_gt_u32_e32 8, v16
; %bb.1133:                             ;   in Loop: Header=BB310_1062 Depth=1
	v_ffbh_u32_e32 v0, v0
	v_min_u32_e32 v0, 32, v0
	v_subrev_nc_u32_e32 v6, 28, v0
	v_lshlrev_b64 v[26:27], v6, v[11:12]
	v_sub_nc_u32_e32 v6, 29, v0
	v_and_b32_e32 v0, 7, v26
; %bb.1134:                             ;   in Loop: Header=BB310_1062 Depth=1
	s_or_b32 exec_lo, exec_lo, s20
	v_lshlrev_b32_e32 v16, 8, v11
	v_lshl_add_u32 v6, v6, 10, 0x2000
	v_lshlrev_b32_e32 v0, 7, v0
	v_and_b32_e32 v16, 0x8000, v16
	v_and_b32_e32 v6, 0xfc00, v6
	v_or3_b32 v6, v16, v6, v0
.LBB310_1135:                           ;   in Loop: Header=BB310_1062 Depth=1
	s_or_b32 exec_lo, exec_lo, s18
.LBB310_1136:                           ;   in Loop: Header=BB310_1062 Depth=1
	s_or_b32 exec_lo, exec_lo, s17
.LBB310_1137:                           ;   in Loop: Header=BB310_1062 Depth=1
	s_or_b32 exec_lo, exec_lo, s16
	v_lshrrev_b16 v0, 8, v11
	s_mov_b32 s16, exec_lo
	v_cmpx_ne_u16_e32 0, v0
	s_cbranch_execz .LBB310_1145
; %bb.1138:                             ;   in Loop: Header=BB310_1062 Depth=1
	v_bfrev_b32_e32 v5, 1
	s_mov_b32 s17, exec_lo
	v_cmpx_ne_u16_e32 0x80, v0
	s_cbranch_execz .LBB310_1144
; %bb.1139:                             ;   in Loop: Header=BB310_1062 Depth=1
	v_and_b32_sdwa v22, v0, v53 dst_sel:DWORD dst_unused:UNUSED_PAD src0_sel:WORD_0 src1_sel:DWORD
	v_mov_b32_e32 v5, 0x7c010000
	s_mov_b32 s18, exec_lo
	v_cmpx_ne_u32_e32 0x7f, v22
	s_cbranch_execz .LBB310_1143
; %bb.1140:                             ;   in Loop: Header=BB310_1062 Depth=1
	v_and_b32_sdwa v5, v0, v54 dst_sel:DWORD dst_unused:UNUSED_PAD src0_sel:WORD_0 src1_sel:DWORD
	v_lshrrev_b32_e32 v16, 3, v22
	s_mov_b32 s20, exec_lo
	v_cmpx_gt_u32_e32 8, v22
; %bb.1141:                             ;   in Loop: Header=BB310_1062 Depth=1
	v_ffbh_u32_e32 v5, v5
	v_min_u32_e32 v5, 32, v5
	v_subrev_nc_u32_e32 v16, 28, v5
	v_lshlrev_b64 v[26:27], v16, v[0:1]
	v_sub_nc_u32_e32 v16, 29, v5
	v_and_b32_e32 v5, 7, v26
; %bb.1142:                             ;   in Loop: Header=BB310_1062 Depth=1
	s_or_b32 exec_lo, exec_lo, s20
	v_lshlrev_b32_sdwa v0, v71, v0 dst_sel:DWORD dst_unused:UNUSED_PAD src0_sel:DWORD src1_sel:WORD_0
	v_lshl_add_u32 v16, v16, 10, 0x2000
	v_lshlrev_b32_e32 v5, 23, v5
	v_and_or_b32 v0, 0x8000, v0, v16
	v_lshl_or_b32 v5, v0, 16, v5
.LBB310_1143:                           ;   in Loop: Header=BB310_1062 Depth=1
	s_or_b32 exec_lo, exec_lo, s18
.LBB310_1144:                           ;   in Loop: Header=BB310_1062 Depth=1
	s_or_b32 exec_lo, exec_lo, s17
.LBB310_1145:                           ;   in Loop: Header=BB310_1062 Depth=1
	s_or_b32 exec_lo, exec_lo, s16
	v_lshrrev_b32_e32 v0, 16, v11
	v_mov_b32_e32 v16, 0
	v_mov_b32_e32 v22, 0
	v_cmp_ne_u16_sdwa s4, v0, v1 src0_sel:BYTE_0 src1_sel:DWORD
	s_and_saveexec_b32 s16, s4
	s_cbranch_execz .LBB310_1153
; %bb.1146:                             ;   in Loop: Header=BB310_1062 Depth=1
	v_cmp_ne_u16_sdwa s4, v0, v17 src0_sel:BYTE_0 src1_sel:DWORD
	v_mov_b32_e32 v22, 0x8000
	s_and_saveexec_b32 s17, s4
	s_cbranch_execz .LBB310_1152
; %bb.1147:                             ;   in Loop: Header=BB310_1062 Depth=1
	v_bfe_u32 v27, v11, 16, 7
	v_mov_b32_e32 v22, 0x7c01
	s_mov_b32 s18, exec_lo
	v_cmpx_ne_u32_e32 0x7f, v27
	s_cbranch_execz .LBB310_1151
; %bb.1148:                             ;   in Loop: Header=BB310_1062 Depth=1
	v_and_b32_e32 v22, 7, v0
	v_lshrrev_b32_e32 v26, 3, v27
	s_mov_b32 s20, exec_lo
	v_cmpx_gt_u32_e32 8, v27
; %bb.1149:                             ;   in Loop: Header=BB310_1062 Depth=1
	v_ffbh_u32_e32 v22, v22
	v_min_u32_e32 v22, 32, v22
	v_subrev_nc_u32_e32 v26, 28, v22
	v_lshlrev_b64 v[37:38], v26, v[0:1]
	v_sub_nc_u32_e32 v26, 29, v22
	v_and_b32_e32 v22, 7, v37
; %bb.1150:                             ;   in Loop: Header=BB310_1062 Depth=1
	s_or_b32 exec_lo, exec_lo, s20
	v_lshlrev_b32_e32 v0, 8, v0
	v_lshl_add_u32 v26, v26, 10, 0x2000
	v_lshlrev_b32_e32 v22, 7, v22
	v_and_b32_e32 v0, 0x8000, v0
	v_and_b32_e32 v26, 0xfc00, v26
	v_or3_b32 v22, v0, v26, v22
.LBB310_1151:                           ;   in Loop: Header=BB310_1062 Depth=1
	s_or_b32 exec_lo, exec_lo, s18
.LBB310_1152:                           ;   in Loop: Header=BB310_1062 Depth=1
	s_or_b32 exec_lo, exec_lo, s17
.LBB310_1153:                           ;   in Loop: Header=BB310_1062 Depth=1
	s_or_b32 exec_lo, exec_lo, s16
	s_mov_b32 s16, exec_lo
	v_cmpx_lt_u32_e32 0xffffff, v11
	s_cbranch_execz .LBB310_1161
; %bb.1154:                             ;   in Loop: Header=BB310_1062 Depth=1
	v_lshrrev_b32_e32 v0, 24, v11
	v_bfrev_b32_e32 v16, 1
	s_mov_b32 s17, exec_lo
	v_cmpx_ne_u32_e32 0x80, v0
	s_cbranch_execz .LBB310_1160
; %bb.1155:                             ;   in Loop: Header=BB310_1062 Depth=1
	v_and_b32_e32 v27, 0x7f, v0
	v_mov_b32_e32 v16, 0x7c010000
	s_mov_b32 s18, exec_lo
	v_cmpx_ne_u32_e32 0x7f, v27
	s_cbranch_execz .LBB310_1159
; %bb.1156:                             ;   in Loop: Header=BB310_1062 Depth=1
	v_and_b32_e32 v16, 7, v0
	v_lshrrev_b32_e32 v26, 3, v27
	s_mov_b32 s20, exec_lo
	v_cmpx_gt_u32_e32 8, v27
; %bb.1157:                             ;   in Loop: Header=BB310_1062 Depth=1
	v_ffbh_u32_e32 v16, v16
	v_min_u32_e32 v16, 32, v16
	v_subrev_nc_u32_e32 v26, 28, v16
	v_lshlrev_b64 v[37:38], v26, v[0:1]
	v_sub_nc_u32_e32 v26, 29, v16
	v_and_b32_e32 v16, 7, v37
; %bb.1158:                             ;   in Loop: Header=BB310_1062 Depth=1
	s_or_b32 exec_lo, exec_lo, s20
	v_lshlrev_b32_e32 v0, 8, v0
	v_lshl_add_u32 v26, v26, 10, 0x2000
	v_lshlrev_b32_e32 v16, 23, v16
	v_and_or_b32 v0, 0x8000, v0, v26
	v_lshl_or_b32 v16, v0, 16, v16
.LBB310_1159:                           ;   in Loop: Header=BB310_1062 Depth=1
	s_or_b32 exec_lo, exec_lo, s18
.LBB310_1160:                           ;   in Loop: Header=BB310_1062 Depth=1
	s_or_b32 exec_lo, exec_lo, s17
.LBB310_1161:                           ;   in Loop: Header=BB310_1062 Depth=1
	s_or_b32 exec_lo, exec_lo, s16
	v_mov_b32_e32 v0, v12
	v_cmp_ne_u16_sdwa s4, v12, v1 src0_sel:BYTE_0 src1_sel:DWORD
	v_mov_b32_e32 v26, 0
	v_mov_b32_e32 v27, 0
	s_and_saveexec_b32 s16, s4
	s_cbranch_execz .LBB310_1169
; %bb.1162:                             ;   in Loop: Header=BB310_1062 Depth=1
	v_cmp_ne_u16_sdwa s4, v12, v17 src0_sel:BYTE_0 src1_sel:DWORD
	v_mov_b32_e32 v27, 0x8000
	s_and_saveexec_b32 s17, s4
	s_cbranch_execz .LBB310_1168
; %bb.1163:                             ;   in Loop: Header=BB310_1062 Depth=1
	v_and_b32_e32 v37, 0x7f, v12
	v_mov_b32_e32 v27, 0x7c01
	s_mov_b32 s18, exec_lo
	v_cmpx_ne_u32_e32 0x7f, v37
	s_cbranch_execz .LBB310_1167
; %bb.1164:                             ;   in Loop: Header=BB310_1062 Depth=1
	v_and_b32_e32 v27, 7, v12
	v_lshrrev_b32_e32 v35, 3, v37
	s_mov_b32 s20, exec_lo
	v_cmpx_gt_u32_e32 8, v37
; %bb.1165:                             ;   in Loop: Header=BB310_1062 Depth=1
	v_ffbh_u32_e32 v27, v27
	v_min_u32_e32 v27, 32, v27
	v_subrev_nc_u32_e32 v35, 28, v27
	v_lshlrev_b64 v[37:38], v35, v[0:1]
	v_sub_nc_u32_e32 v35, 29, v27
	v_and_b32_e32 v27, 7, v37
; %bb.1166:                             ;   in Loop: Header=BB310_1062 Depth=1
	s_or_b32 exec_lo, exec_lo, s20
	v_lshlrev_b32_e32 v37, 8, v12
	v_lshl_add_u32 v35, v35, 10, 0x2000
	v_lshlrev_b32_e32 v27, 7, v27
	v_and_b32_e32 v37, 0x8000, v37
	v_and_b32_e32 v35, 0xfc00, v35
	v_or3_b32 v27, v37, v35, v27
.LBB310_1167:                           ;   in Loop: Header=BB310_1062 Depth=1
	s_or_b32 exec_lo, exec_lo, s18
.LBB310_1168:                           ;   in Loop: Header=BB310_1062 Depth=1
	s_or_b32 exec_lo, exec_lo, s17
.LBB310_1169:                           ;   in Loop: Header=BB310_1062 Depth=1
	s_or_b32 exec_lo, exec_lo, s16
	v_lshrrev_b16 v0, 8, v0
	v_mov_b32_e32 v35, 0
	s_mov_b32 s16, exec_lo
	v_cmpx_ne_u16_e32 0, v0
	s_cbranch_execz .LBB310_1177
; %bb.1170:                             ;   in Loop: Header=BB310_1062 Depth=1
	v_bfrev_b32_e32 v35, 1
	s_mov_b32 s17, exec_lo
	v_cmpx_ne_u16_e32 0x80, v0
	s_cbranch_execz .LBB310_1176
; %bb.1171:                             ;   in Loop: Header=BB310_1062 Depth=1
	v_and_b32_sdwa v38, v0, v53 dst_sel:DWORD dst_unused:UNUSED_PAD src0_sel:WORD_0 src1_sel:DWORD
	v_mov_b32_e32 v35, 0x7c010000
	s_mov_b32 s18, exec_lo
	v_cmpx_ne_u32_e32 0x7f, v38
	s_cbranch_execz .LBB310_1175
; %bb.1172:                             ;   in Loop: Header=BB310_1062 Depth=1
	v_and_b32_sdwa v35, v0, v54 dst_sel:DWORD dst_unused:UNUSED_PAD src0_sel:WORD_0 src1_sel:DWORD
	v_lshrrev_b32_e32 v37, 3, v38
	s_mov_b32 s20, exec_lo
	v_cmpx_gt_u32_e32 8, v38
; %bb.1173:                             ;   in Loop: Header=BB310_1062 Depth=1
	v_ffbh_u32_e32 v35, v35
	v_min_u32_e32 v35, 32, v35
	v_subrev_nc_u32_e32 v37, 28, v35
	v_lshlrev_b64 v[38:39], v37, v[0:1]
	v_sub_nc_u32_e32 v37, 29, v35
	v_and_b32_e32 v35, 7, v38
; %bb.1174:                             ;   in Loop: Header=BB310_1062 Depth=1
	s_or_b32 exec_lo, exec_lo, s20
	v_lshlrev_b32_sdwa v0, v71, v0 dst_sel:DWORD dst_unused:UNUSED_PAD src0_sel:DWORD src1_sel:WORD_0
	v_lshl_add_u32 v37, v37, 10, 0x2000
	v_lshlrev_b32_e32 v35, 23, v35
	v_and_or_b32 v0, 0x8000, v0, v37
	v_lshl_or_b32 v35, v0, 16, v35
.LBB310_1175:                           ;   in Loop: Header=BB310_1062 Depth=1
	s_or_b32 exec_lo, exec_lo, s18
.LBB310_1176:                           ;   in Loop: Header=BB310_1062 Depth=1
	s_or_b32 exec_lo, exec_lo, s17
.LBB310_1177:                           ;   in Loop: Header=BB310_1062 Depth=1
	s_or_b32 exec_lo, exec_lo, s16
	v_lshrrev_b32_e32 v0, 16, v12
	v_cmp_ne_u16_sdwa s4, v0, v1 src0_sel:BYTE_0 src1_sel:DWORD
	s_and_saveexec_b32 s16, s4
	s_cbranch_execz .LBB310_1185
; %bb.1178:                             ;   in Loop: Header=BB310_1062 Depth=1
	v_cmp_ne_u16_sdwa s4, v0, v17 src0_sel:BYTE_0 src1_sel:DWORD
	v_mov_b32_e32 v26, 0x8000
	s_and_saveexec_b32 s17, s4
	s_cbranch_execz .LBB310_1184
; %bb.1179:                             ;   in Loop: Header=BB310_1062 Depth=1
	v_bfe_u32 v38, v12, 16, 7
	v_mov_b32_e32 v26, 0x7c01
	s_mov_b32 s18, exec_lo
	v_cmpx_ne_u32_e32 0x7f, v38
	s_cbranch_execz .LBB310_1183
; %bb.1180:                             ;   in Loop: Header=BB310_1062 Depth=1
	v_and_b32_e32 v26, 7, v0
	v_lshrrev_b32_e32 v37, 3, v38
	s_mov_b32 s20, exec_lo
	v_cmpx_gt_u32_e32 8, v38
; %bb.1181:                             ;   in Loop: Header=BB310_1062 Depth=1
	v_ffbh_u32_e32 v26, v26
	v_min_u32_e32 v26, 32, v26
	v_subrev_nc_u32_e32 v37, 28, v26
	v_lshlrev_b64 v[38:39], v37, v[0:1]
	v_sub_nc_u32_e32 v37, 29, v26
	v_and_b32_e32 v26, 7, v38
; %bb.1182:                             ;   in Loop: Header=BB310_1062 Depth=1
	s_or_b32 exec_lo, exec_lo, s20
	v_lshlrev_b32_e32 v0, 8, v0
	v_lshl_add_u32 v37, v37, 10, 0x2000
	v_lshlrev_b32_e32 v26, 7, v26
	v_and_b32_e32 v0, 0x8000, v0
	v_and_b32_e32 v37, 0xfc00, v37
	v_or3_b32 v26, v0, v37, v26
.LBB310_1183:                           ;   in Loop: Header=BB310_1062 Depth=1
	s_or_b32 exec_lo, exec_lo, s18
.LBB310_1184:                           ;   in Loop: Header=BB310_1062 Depth=1
	s_or_b32 exec_lo, exec_lo, s17
.LBB310_1185:                           ;   in Loop: Header=BB310_1062 Depth=1
	s_or_b32 exec_lo, exec_lo, s16
	v_cmp_lt_u64_e64 s4, s[12:13], v[11:12]
	v_mov_b32_e32 v11, 0
	s_and_saveexec_b32 s16, s4
	s_cbranch_execz .LBB310_1193
; %bb.1186:                             ;   in Loop: Header=BB310_1062 Depth=1
	v_lshrrev_b32_e32 v0, 24, v12
	v_bfrev_b32_e32 v11, 1
	s_mov_b32 s17, exec_lo
	v_cmpx_ne_u32_e32 0x80, v0
	s_cbranch_execz .LBB310_1192
; %bb.1187:                             ;   in Loop: Header=BB310_1062 Depth=1
	v_and_b32_e32 v37, 0x7f, v0
	v_mov_b32_e32 v11, 0x7c010000
	s_mov_b32 s18, exec_lo
	v_cmpx_ne_u32_e32 0x7f, v37
	s_cbranch_execz .LBB310_1191
; %bb.1188:                             ;   in Loop: Header=BB310_1062 Depth=1
	v_and_b32_e32 v11, 7, v0
	v_lshrrev_b32_e32 v12, 3, v37
	s_mov_b32 s20, exec_lo
	v_cmpx_gt_u32_e32 8, v37
; %bb.1189:                             ;   in Loop: Header=BB310_1062 Depth=1
	v_ffbh_u32_e32 v11, v11
	v_min_u32_e32 v37, 32, v11
	v_subrev_nc_u32_e32 v11, 28, v37
	v_lshlrev_b64 v[11:12], v11, v[0:1]
	v_sub_nc_u32_e32 v12, 29, v37
	v_and_b32_e32 v11, 7, v11
; %bb.1190:                             ;   in Loop: Header=BB310_1062 Depth=1
	s_or_b32 exec_lo, exec_lo, s20
	v_lshlrev_b32_e32 v0, 8, v0
	v_lshl_add_u32 v12, v12, 10, 0x2000
	v_lshlrev_b32_e32 v11, 23, v11
	v_and_or_b32 v0, 0x8000, v0, v12
	v_lshl_or_b32 v11, v0, 16, v11
.LBB310_1191:                           ;   in Loop: Header=BB310_1062 Depth=1
	s_or_b32 exec_lo, exec_lo, s18
.LBB310_1192:                           ;   in Loop: Header=BB310_1062 Depth=1
	s_or_b32 exec_lo, exec_lo, s17
.LBB310_1193:                           ;   in Loop: Header=BB310_1062 Depth=1
	s_or_b32 exec_lo, exec_lo, s16
	v_or_b32_e32 v0, v16, v22
	s_waitcnt vmcnt(0) lgkmcnt(0)
	v_fma_mixlo_f16 v12, v4, v16, 0 op_sel:[0,1,0] op_sel_hi:[0,1,0]
	v_or_b32_e32 v6, v5, v6
	v_fma_mixlo_f16 v5, v4, v5, 0 op_sel:[0,1,0] op_sel_hi:[0,1,0]
	v_or_b32_e32 v16, v35, v27
	v_fma_mixlo_f16 v22, v4, v0, 0 op_sel_hi:[0,1,0]
	v_or_b32_e32 v26, v11, v26
	v_lshlrev_b32_e32 v0, 16, v12
	v_lshlrev_b32_e32 v12, 16, v5
	v_fma_mixlo_f16 v6, v4, v6, 0 op_sel_hi:[0,1,0]
	v_and_b32_e32 v5, 0xffff, v22
	v_fma_mixlo_f16 v22, v4, v35, 0 op_sel:[0,1,0] op_sel_hi:[0,1,0]
	v_fma_mixlo_f16 v16, v4, v16, 0 op_sel_hi:[0,1,0]
	v_fma_mixlo_f16 v11, v4, v11, 0 op_sel:[0,1,0] op_sel_hi:[0,1,0]
	v_fma_mixlo_f16 v26, v4, v26, 0 op_sel_hi:[0,1,0]
	v_and_b32_e32 v37, 0xffff, v6
	v_lshlrev_b32_e32 v6, 16, v22
	v_and_b32_e32 v22, 0xffff, v16
	v_lshlrev_b32_e32 v4, 16, v11
	v_and_b32_e32 v11, 0xffff, v26
	v_or_b32_e32 v16, v0, v5
	v_or_b32_e32 v35, v12, v37
	v_or_b32_e32 v27, v6, v22
	v_or_b32_e32 v26, v4, v11
	s_and_saveexec_b32 s16, vcc_lo
	s_cbranch_execz .LBB310_1195
; %bb.1194:                             ;   in Loop: Header=BB310_1062 Depth=1
	v_cmp_lt_i32_e64 s4, v18, v36
	v_cndmask_b32_e64 v16, 0, v37, s4
	v_cmp_lt_i32_e64 s4, v100, v36
	v_cndmask_b32_e64 v12, 0, v12, s4
	v_cmp_lt_i32_e64 s4, v99, v36
	v_or_b32_e32 v35, v16, v12
	v_cndmask_b32_e64 v5, 0, v5, s4
	v_cmp_lt_i32_e64 s4, v98, v36
	v_cndmask_b32_e64 v0, 0, v0, s4
	v_cmp_lt_i32_e64 s4, v97, v36
	v_or_b32_e32 v16, v5, v0
	;; [unrolled: 5-line block ×3, first 2 shown]
	v_cndmask_b32_e64 v11, 0, v11, s4
	v_cmp_lt_i32_e64 s4, v86, v36
	v_cndmask_b32_e64 v4, 0, v4, s4
	v_or_b32_e32 v26, v11, v4
.LBB310_1195:                           ;   in Loop: Header=BB310_1062 Depth=1
	s_or_b32 exec_lo, exec_lo, s16
	;;#ASMSTART
	v_pk_mul_f16 v0, v85, v35;

	;;#ASMEND
	;;#ASMSTART
	v_pk_mul_f16 v4, v84, v16;

	;;#ASMEND
	;; [unrolled: 4-line block ×4, first 2 shown]
	;;#ASMSTART
	v_pk_add_f16 v0, v0, v4;

	;;#ASMEND
	;;#ASMSTART
	v_pk_add_f16 v0, v0, v5;

	;;#ASMEND
	;; [unrolled: 4-line block ×3, first 2 shown]
	v_and_b32_e32 v4, 0xffff, v0
	v_lshrrev_b32_e32 v0, 16, v0
	;;#ASMSTART
	v_cvt_f32_f16 v39, v4;
	;;#ASMEND
	;;#ASMSTART
	v_cvt_f32_f16 v102, v0;
	;;#ASMEND
	flat_load_dwordx2 v[11:12], v[9:10] offset:512
	flat_load_dword v4, v[72:73]
	v_mov_b32_e32 v5, 0
	v_mov_b32_e32 v6, 0
	s_waitcnt vmcnt(1) lgkmcnt(1)
	v_cmp_ne_u16_sdwa s4, v11, v1 src0_sel:BYTE_0 src1_sel:DWORD
	s_and_saveexec_b32 s16, s4
	s_cbranch_execz .LBB310_1203
; %bb.1196:                             ;   in Loop: Header=BB310_1062 Depth=1
	v_cmp_ne_u16_sdwa s4, v11, v17 src0_sel:BYTE_0 src1_sel:DWORD
	v_mov_b32_e32 v6, 0x8000
	s_and_saveexec_b32 s17, s4
	s_cbranch_execz .LBB310_1202
; %bb.1197:                             ;   in Loop: Header=BB310_1062 Depth=1
	v_and_b32_e32 v16, 0x7f, v11
	v_mov_b32_e32 v6, 0x7c01
	s_mov_b32 s18, exec_lo
	v_cmpx_ne_u32_e32 0x7f, v16
	s_cbranch_execz .LBB310_1201
; %bb.1198:                             ;   in Loop: Header=BB310_1062 Depth=1
	v_and_b32_e32 v0, 7, v11
	v_lshrrev_b32_e32 v6, 3, v16
	s_mov_b32 s20, exec_lo
	v_cmpx_gt_u32_e32 8, v16
; %bb.1199:                             ;   in Loop: Header=BB310_1062 Depth=1
	v_ffbh_u32_e32 v0, v0
	v_min_u32_e32 v0, 32, v0
	v_subrev_nc_u32_e32 v6, 28, v0
	v_lshlrev_b64 v[26:27], v6, v[11:12]
	v_sub_nc_u32_e32 v6, 29, v0
	v_and_b32_e32 v0, 7, v26
; %bb.1200:                             ;   in Loop: Header=BB310_1062 Depth=1
	s_or_b32 exec_lo, exec_lo, s20
	v_lshlrev_b32_e32 v16, 8, v11
	v_lshl_add_u32 v6, v6, 10, 0x2000
	v_lshlrev_b32_e32 v0, 7, v0
	v_and_b32_e32 v16, 0x8000, v16
	v_and_b32_e32 v6, 0xfc00, v6
	v_or3_b32 v6, v16, v6, v0
.LBB310_1201:                           ;   in Loop: Header=BB310_1062 Depth=1
	s_or_b32 exec_lo, exec_lo, s18
.LBB310_1202:                           ;   in Loop: Header=BB310_1062 Depth=1
	s_or_b32 exec_lo, exec_lo, s17
.LBB310_1203:                           ;   in Loop: Header=BB310_1062 Depth=1
	s_or_b32 exec_lo, exec_lo, s16
	v_lshrrev_b16 v0, 8, v11
	s_mov_b32 s16, exec_lo
	v_cmpx_ne_u16_e32 0, v0
	s_cbranch_execz .LBB310_1211
; %bb.1204:                             ;   in Loop: Header=BB310_1062 Depth=1
	v_bfrev_b32_e32 v5, 1
	s_mov_b32 s17, exec_lo
	v_cmpx_ne_u16_e32 0x80, v0
	s_cbranch_execz .LBB310_1210
; %bb.1205:                             ;   in Loop: Header=BB310_1062 Depth=1
	v_and_b32_sdwa v22, v0, v53 dst_sel:DWORD dst_unused:UNUSED_PAD src0_sel:WORD_0 src1_sel:DWORD
	v_mov_b32_e32 v5, 0x7c010000
	s_mov_b32 s18, exec_lo
	v_cmpx_ne_u32_e32 0x7f, v22
	s_cbranch_execz .LBB310_1209
; %bb.1206:                             ;   in Loop: Header=BB310_1062 Depth=1
	v_and_b32_sdwa v5, v0, v54 dst_sel:DWORD dst_unused:UNUSED_PAD src0_sel:WORD_0 src1_sel:DWORD
	v_lshrrev_b32_e32 v16, 3, v22
	s_mov_b32 s20, exec_lo
	v_cmpx_gt_u32_e32 8, v22
; %bb.1207:                             ;   in Loop: Header=BB310_1062 Depth=1
	v_ffbh_u32_e32 v5, v5
	v_min_u32_e32 v5, 32, v5
	v_subrev_nc_u32_e32 v16, 28, v5
	v_lshlrev_b64 v[26:27], v16, v[0:1]
	v_sub_nc_u32_e32 v16, 29, v5
	v_and_b32_e32 v5, 7, v26
; %bb.1208:                             ;   in Loop: Header=BB310_1062 Depth=1
	s_or_b32 exec_lo, exec_lo, s20
	v_lshlrev_b32_sdwa v0, v71, v0 dst_sel:DWORD dst_unused:UNUSED_PAD src0_sel:DWORD src1_sel:WORD_0
	v_lshl_add_u32 v16, v16, 10, 0x2000
	v_lshlrev_b32_e32 v5, 23, v5
	v_and_or_b32 v0, 0x8000, v0, v16
	v_lshl_or_b32 v5, v0, 16, v5
.LBB310_1209:                           ;   in Loop: Header=BB310_1062 Depth=1
	s_or_b32 exec_lo, exec_lo, s18
.LBB310_1210:                           ;   in Loop: Header=BB310_1062 Depth=1
	s_or_b32 exec_lo, exec_lo, s17
.LBB310_1211:                           ;   in Loop: Header=BB310_1062 Depth=1
	s_or_b32 exec_lo, exec_lo, s16
	v_lshrrev_b32_e32 v0, 16, v11
	v_mov_b32_e32 v16, 0
	v_mov_b32_e32 v22, 0
	v_cmp_ne_u16_sdwa s4, v0, v1 src0_sel:BYTE_0 src1_sel:DWORD
	s_and_saveexec_b32 s16, s4
	s_cbranch_execz .LBB310_1219
; %bb.1212:                             ;   in Loop: Header=BB310_1062 Depth=1
	v_cmp_ne_u16_sdwa s4, v0, v17 src0_sel:BYTE_0 src1_sel:DWORD
	v_mov_b32_e32 v22, 0x8000
	s_and_saveexec_b32 s17, s4
	s_cbranch_execz .LBB310_1218
; %bb.1213:                             ;   in Loop: Header=BB310_1062 Depth=1
	v_bfe_u32 v27, v11, 16, 7
	v_mov_b32_e32 v22, 0x7c01
	s_mov_b32 s18, exec_lo
	v_cmpx_ne_u32_e32 0x7f, v27
	s_cbranch_execz .LBB310_1217
; %bb.1214:                             ;   in Loop: Header=BB310_1062 Depth=1
	v_and_b32_e32 v22, 7, v0
	v_lshrrev_b32_e32 v26, 3, v27
	s_mov_b32 s20, exec_lo
	v_cmpx_gt_u32_e32 8, v27
; %bb.1215:                             ;   in Loop: Header=BB310_1062 Depth=1
	v_ffbh_u32_e32 v22, v22
	v_min_u32_e32 v22, 32, v22
	v_subrev_nc_u32_e32 v26, 28, v22
	v_lshlrev_b64 v[37:38], v26, v[0:1]
	v_sub_nc_u32_e32 v26, 29, v22
	v_and_b32_e32 v22, 7, v37
; %bb.1216:                             ;   in Loop: Header=BB310_1062 Depth=1
	s_or_b32 exec_lo, exec_lo, s20
	v_lshlrev_b32_e32 v0, 8, v0
	v_lshl_add_u32 v26, v26, 10, 0x2000
	v_lshlrev_b32_e32 v22, 7, v22
	v_and_b32_e32 v0, 0x8000, v0
	v_and_b32_e32 v26, 0xfc00, v26
	v_or3_b32 v22, v0, v26, v22
.LBB310_1217:                           ;   in Loop: Header=BB310_1062 Depth=1
	s_or_b32 exec_lo, exec_lo, s18
.LBB310_1218:                           ;   in Loop: Header=BB310_1062 Depth=1
	s_or_b32 exec_lo, exec_lo, s17
.LBB310_1219:                           ;   in Loop: Header=BB310_1062 Depth=1
	s_or_b32 exec_lo, exec_lo, s16
	s_mov_b32 s16, exec_lo
	v_cmpx_lt_u32_e32 0xffffff, v11
	s_cbranch_execz .LBB310_1227
; %bb.1220:                             ;   in Loop: Header=BB310_1062 Depth=1
	v_lshrrev_b32_e32 v0, 24, v11
	v_bfrev_b32_e32 v16, 1
	s_mov_b32 s17, exec_lo
	v_cmpx_ne_u32_e32 0x80, v0
	s_cbranch_execz .LBB310_1226
; %bb.1221:                             ;   in Loop: Header=BB310_1062 Depth=1
	v_and_b32_e32 v27, 0x7f, v0
	v_mov_b32_e32 v16, 0x7c010000
	s_mov_b32 s18, exec_lo
	v_cmpx_ne_u32_e32 0x7f, v27
	s_cbranch_execz .LBB310_1225
; %bb.1222:                             ;   in Loop: Header=BB310_1062 Depth=1
	v_and_b32_e32 v16, 7, v0
	v_lshrrev_b32_e32 v26, 3, v27
	s_mov_b32 s20, exec_lo
	v_cmpx_gt_u32_e32 8, v27
; %bb.1223:                             ;   in Loop: Header=BB310_1062 Depth=1
	v_ffbh_u32_e32 v16, v16
	v_min_u32_e32 v16, 32, v16
	v_subrev_nc_u32_e32 v26, 28, v16
	v_lshlrev_b64 v[37:38], v26, v[0:1]
	v_sub_nc_u32_e32 v26, 29, v16
	v_and_b32_e32 v16, 7, v37
; %bb.1224:                             ;   in Loop: Header=BB310_1062 Depth=1
	s_or_b32 exec_lo, exec_lo, s20
	v_lshlrev_b32_e32 v0, 8, v0
	v_lshl_add_u32 v26, v26, 10, 0x2000
	v_lshlrev_b32_e32 v16, 23, v16
	v_and_or_b32 v0, 0x8000, v0, v26
	v_lshl_or_b32 v16, v0, 16, v16
.LBB310_1225:                           ;   in Loop: Header=BB310_1062 Depth=1
	s_or_b32 exec_lo, exec_lo, s18
.LBB310_1226:                           ;   in Loop: Header=BB310_1062 Depth=1
	s_or_b32 exec_lo, exec_lo, s17
.LBB310_1227:                           ;   in Loop: Header=BB310_1062 Depth=1
	s_or_b32 exec_lo, exec_lo, s16
	v_mov_b32_e32 v0, v12
	v_cmp_ne_u16_sdwa s4, v12, v1 src0_sel:BYTE_0 src1_sel:DWORD
	v_mov_b32_e32 v26, 0
	v_mov_b32_e32 v27, 0
	s_and_saveexec_b32 s16, s4
	s_cbranch_execz .LBB310_1235
; %bb.1228:                             ;   in Loop: Header=BB310_1062 Depth=1
	v_cmp_ne_u16_sdwa s4, v12, v17 src0_sel:BYTE_0 src1_sel:DWORD
	v_mov_b32_e32 v27, 0x8000
	s_and_saveexec_b32 s17, s4
	s_cbranch_execz .LBB310_1234
; %bb.1229:                             ;   in Loop: Header=BB310_1062 Depth=1
	v_and_b32_e32 v37, 0x7f, v12
	v_mov_b32_e32 v27, 0x7c01
	s_mov_b32 s18, exec_lo
	v_cmpx_ne_u32_e32 0x7f, v37
	s_cbranch_execz .LBB310_1233
; %bb.1230:                             ;   in Loop: Header=BB310_1062 Depth=1
	v_and_b32_e32 v27, 7, v12
	v_lshrrev_b32_e32 v35, 3, v37
	s_mov_b32 s20, exec_lo
	v_cmpx_gt_u32_e32 8, v37
; %bb.1231:                             ;   in Loop: Header=BB310_1062 Depth=1
	v_ffbh_u32_e32 v27, v27
	v_min_u32_e32 v27, 32, v27
	v_subrev_nc_u32_e32 v35, 28, v27
	v_lshlrev_b64 v[37:38], v35, v[0:1]
	v_sub_nc_u32_e32 v35, 29, v27
	v_and_b32_e32 v27, 7, v37
; %bb.1232:                             ;   in Loop: Header=BB310_1062 Depth=1
	s_or_b32 exec_lo, exec_lo, s20
	v_lshlrev_b32_e32 v37, 8, v12
	v_lshl_add_u32 v35, v35, 10, 0x2000
	v_lshlrev_b32_e32 v27, 7, v27
	v_and_b32_e32 v37, 0x8000, v37
	v_and_b32_e32 v35, 0xfc00, v35
	v_or3_b32 v27, v37, v35, v27
.LBB310_1233:                           ;   in Loop: Header=BB310_1062 Depth=1
	s_or_b32 exec_lo, exec_lo, s18
.LBB310_1234:                           ;   in Loop: Header=BB310_1062 Depth=1
	s_or_b32 exec_lo, exec_lo, s17
.LBB310_1235:                           ;   in Loop: Header=BB310_1062 Depth=1
	s_or_b32 exec_lo, exec_lo, s16
	v_lshrrev_b16 v0, 8, v0
	v_mov_b32_e32 v35, 0
	s_mov_b32 s16, exec_lo
	v_cmpx_ne_u16_e32 0, v0
	s_cbranch_execz .LBB310_1243
; %bb.1236:                             ;   in Loop: Header=BB310_1062 Depth=1
	v_bfrev_b32_e32 v35, 1
	s_mov_b32 s17, exec_lo
	v_cmpx_ne_u16_e32 0x80, v0
	s_cbranch_execz .LBB310_1242
; %bb.1237:                             ;   in Loop: Header=BB310_1062 Depth=1
	v_and_b32_sdwa v38, v0, v53 dst_sel:DWORD dst_unused:UNUSED_PAD src0_sel:WORD_0 src1_sel:DWORD
	v_mov_b32_e32 v35, 0x7c010000
	s_mov_b32 s18, exec_lo
	v_cmpx_ne_u32_e32 0x7f, v38
	s_cbranch_execz .LBB310_1241
; %bb.1238:                             ;   in Loop: Header=BB310_1062 Depth=1
	v_and_b32_sdwa v35, v0, v54 dst_sel:DWORD dst_unused:UNUSED_PAD src0_sel:WORD_0 src1_sel:DWORD
	v_lshrrev_b32_e32 v37, 3, v38
	s_mov_b32 s20, exec_lo
	v_cmpx_gt_u32_e32 8, v38
; %bb.1239:                             ;   in Loop: Header=BB310_1062 Depth=1
	v_ffbh_u32_e32 v35, v35
	v_min_u32_e32 v35, 32, v35
	v_subrev_nc_u32_e32 v37, 28, v35
	v_lshlrev_b64 v[48:49], v37, v[0:1]
	v_sub_nc_u32_e32 v37, 29, v35
	v_and_b32_e32 v35, 7, v48
; %bb.1240:                             ;   in Loop: Header=BB310_1062 Depth=1
	s_or_b32 exec_lo, exec_lo, s20
	v_lshlrev_b32_sdwa v0, v71, v0 dst_sel:DWORD dst_unused:UNUSED_PAD src0_sel:DWORD src1_sel:WORD_0
	v_lshl_add_u32 v37, v37, 10, 0x2000
	v_lshlrev_b32_e32 v35, 23, v35
	v_and_or_b32 v0, 0x8000, v0, v37
	v_lshl_or_b32 v35, v0, 16, v35
.LBB310_1241:                           ;   in Loop: Header=BB310_1062 Depth=1
	s_or_b32 exec_lo, exec_lo, s18
.LBB310_1242:                           ;   in Loop: Header=BB310_1062 Depth=1
	s_or_b32 exec_lo, exec_lo, s17
.LBB310_1243:                           ;   in Loop: Header=BB310_1062 Depth=1
	s_or_b32 exec_lo, exec_lo, s16
	v_lshrrev_b32_e32 v0, 16, v12
	v_cmp_ne_u16_sdwa s4, v0, v1 src0_sel:BYTE_0 src1_sel:DWORD
	s_and_saveexec_b32 s16, s4
	s_cbranch_execz .LBB310_1251
; %bb.1244:                             ;   in Loop: Header=BB310_1062 Depth=1
	v_cmp_ne_u16_sdwa s4, v0, v17 src0_sel:BYTE_0 src1_sel:DWORD
	v_mov_b32_e32 v26, 0x8000
	s_and_saveexec_b32 s17, s4
	s_cbranch_execz .LBB310_1250
; %bb.1245:                             ;   in Loop: Header=BB310_1062 Depth=1
	v_bfe_u32 v38, v12, 16, 7
	v_mov_b32_e32 v26, 0x7c01
	s_mov_b32 s18, exec_lo
	v_cmpx_ne_u32_e32 0x7f, v38
	s_cbranch_execz .LBB310_1249
; %bb.1246:                             ;   in Loop: Header=BB310_1062 Depth=1
	v_and_b32_e32 v26, 7, v0
	v_lshrrev_b32_e32 v37, 3, v38
	s_mov_b32 s20, exec_lo
	v_cmpx_gt_u32_e32 8, v38
; %bb.1247:                             ;   in Loop: Header=BB310_1062 Depth=1
	v_ffbh_u32_e32 v26, v26
	v_min_u32_e32 v26, 32, v26
	v_subrev_nc_u32_e32 v37, 28, v26
	v_lshlrev_b64 v[48:49], v37, v[0:1]
	v_sub_nc_u32_e32 v37, 29, v26
	v_and_b32_e32 v26, 7, v48
; %bb.1248:                             ;   in Loop: Header=BB310_1062 Depth=1
	s_or_b32 exec_lo, exec_lo, s20
	v_lshlrev_b32_e32 v0, 8, v0
	v_lshl_add_u32 v37, v37, 10, 0x2000
	v_lshlrev_b32_e32 v26, 7, v26
	v_and_b32_e32 v0, 0x8000, v0
	v_and_b32_e32 v37, 0xfc00, v37
	v_or3_b32 v26, v0, v37, v26
.LBB310_1249:                           ;   in Loop: Header=BB310_1062 Depth=1
	s_or_b32 exec_lo, exec_lo, s18
.LBB310_1250:                           ;   in Loop: Header=BB310_1062 Depth=1
	s_or_b32 exec_lo, exec_lo, s17
.LBB310_1251:                           ;   in Loop: Header=BB310_1062 Depth=1
	s_or_b32 exec_lo, exec_lo, s16
	v_cmp_lt_u64_e64 s4, s[12:13], v[11:12]
	v_mov_b32_e32 v11, 0
	s_and_saveexec_b32 s16, s4
	s_cbranch_execz .LBB310_1259
; %bb.1252:                             ;   in Loop: Header=BB310_1062 Depth=1
	v_lshrrev_b32_e32 v0, 24, v12
	v_bfrev_b32_e32 v11, 1
	s_mov_b32 s17, exec_lo
	v_cmpx_ne_u32_e32 0x80, v0
	s_cbranch_execz .LBB310_1258
; %bb.1253:                             ;   in Loop: Header=BB310_1062 Depth=1
	v_and_b32_e32 v37, 0x7f, v0
	v_mov_b32_e32 v11, 0x7c010000
	s_mov_b32 s18, exec_lo
	v_cmpx_ne_u32_e32 0x7f, v37
	s_cbranch_execz .LBB310_1257
; %bb.1254:                             ;   in Loop: Header=BB310_1062 Depth=1
	v_and_b32_e32 v11, 7, v0
	v_lshrrev_b32_e32 v12, 3, v37
	s_mov_b32 s20, exec_lo
	v_cmpx_gt_u32_e32 8, v37
; %bb.1255:                             ;   in Loop: Header=BB310_1062 Depth=1
	v_ffbh_u32_e32 v11, v11
	v_min_u32_e32 v37, 32, v11
	v_subrev_nc_u32_e32 v11, 28, v37
	v_lshlrev_b64 v[11:12], v11, v[0:1]
	v_sub_nc_u32_e32 v12, 29, v37
	v_and_b32_e32 v11, 7, v11
; %bb.1256:                             ;   in Loop: Header=BB310_1062 Depth=1
	s_or_b32 exec_lo, exec_lo, s20
	v_lshlrev_b32_e32 v0, 8, v0
	v_lshl_add_u32 v12, v12, 10, 0x2000
	v_lshlrev_b32_e32 v11, 23, v11
	v_and_or_b32 v0, 0x8000, v0, v12
	v_lshl_or_b32 v11, v0, 16, v11
.LBB310_1257:                           ;   in Loop: Header=BB310_1062 Depth=1
	s_or_b32 exec_lo, exec_lo, s18
.LBB310_1258:                           ;   in Loop: Header=BB310_1062 Depth=1
	s_or_b32 exec_lo, exec_lo, s17
.LBB310_1259:                           ;   in Loop: Header=BB310_1062 Depth=1
	s_or_b32 exec_lo, exec_lo, s16
	v_or_b32_e32 v0, v16, v22
	s_waitcnt vmcnt(0) lgkmcnt(0)
	v_fma_mixlo_f16 v12, v4, v16, 0 op_sel:[0,1,0] op_sel_hi:[0,1,0]
	v_or_b32_e32 v6, v5, v6
	v_fma_mixlo_f16 v5, v4, v5, 0 op_sel:[0,1,0] op_sel_hi:[0,1,0]
	v_or_b32_e32 v16, v35, v27
	v_fma_mixlo_f16 v22, v4, v0, 0 op_sel_hi:[0,1,0]
	v_or_b32_e32 v26, v11, v26
	v_lshlrev_b32_e32 v0, 16, v12
	v_lshlrev_b32_e32 v12, 16, v5
	v_fma_mixlo_f16 v6, v4, v6, 0 op_sel_hi:[0,1,0]
	v_and_b32_e32 v5, 0xffff, v22
	v_fma_mixlo_f16 v22, v4, v35, 0 op_sel:[0,1,0] op_sel_hi:[0,1,0]
	v_fma_mixlo_f16 v16, v4, v16, 0 op_sel_hi:[0,1,0]
	v_fma_mixlo_f16 v11, v4, v11, 0 op_sel:[0,1,0] op_sel_hi:[0,1,0]
	v_fma_mixlo_f16 v26, v4, v26, 0 op_sel_hi:[0,1,0]
	v_and_b32_e32 v37, 0xffff, v6
	v_lshlrev_b32_e32 v6, 16, v22
	v_and_b32_e32 v22, 0xffff, v16
	v_lshlrev_b32_e32 v4, 16, v11
	v_and_b32_e32 v11, 0xffff, v26
	v_or_b32_e32 v16, v0, v5
	v_or_b32_e32 v35, v12, v37
	;; [unrolled: 1-line block ×4, first 2 shown]
	s_and_saveexec_b32 s16, vcc_lo
	s_cbranch_execz .LBB310_1261
; %bb.1260:                             ;   in Loop: Header=BB310_1062 Depth=1
	v_cmp_lt_i32_e64 s4, v18, v36
	v_cndmask_b32_e64 v16, 0, v37, s4
	v_cmp_lt_i32_e64 s4, v100, v36
	v_cndmask_b32_e64 v12, 0, v12, s4
	v_cmp_lt_i32_e64 s4, v99, v36
	v_or_b32_e32 v35, v16, v12
	v_cndmask_b32_e64 v5, 0, v5, s4
	v_cmp_lt_i32_e64 s4, v98, v36
	v_cndmask_b32_e64 v0, 0, v0, s4
	v_cmp_lt_i32_e64 s4, v97, v36
	v_or_b32_e32 v16, v5, v0
	;; [unrolled: 5-line block ×3, first 2 shown]
	v_cndmask_b32_e64 v11, 0, v11, s4
	v_cmp_lt_i32_e64 s4, v86, v36
	v_cndmask_b32_e64 v4, 0, v4, s4
	v_or_b32_e32 v26, v11, v4
.LBB310_1261:                           ;   in Loop: Header=BB310_1062 Depth=1
	s_or_b32 exec_lo, exec_lo, s16
	;;#ASMSTART
	v_pk_mul_f16 v0, v85, v35;

	;;#ASMEND
	;;#ASMSTART
	v_pk_mul_f16 v4, v84, v16;

	;;#ASMEND
	;; [unrolled: 4-line block ×4, first 2 shown]
	;;#ASMSTART
	v_pk_add_f16 v0, v0, v4;

	;;#ASMEND
	;;#ASMSTART
	v_pk_add_f16 v0, v0, v5;

	;;#ASMEND
	;; [unrolled: 4-line block ×3, first 2 shown]
	v_and_b32_e32 v4, 0xffff, v0
	v_lshrrev_b32_e32 v0, 16, v0
	;;#ASMSTART
	v_cvt_f32_f16 v103, v4;
	;;#ASMEND
	;;#ASMSTART
	v_cvt_f32_f16 v101, v0;
	;;#ASMEND
	flat_load_dwordx2 v[11:12], v[9:10] offset:768
	flat_load_dword v4, v[72:73]
	v_mov_b32_e32 v5, 0
	v_mov_b32_e32 v6, 0
	s_waitcnt vmcnt(1) lgkmcnt(1)
	v_cmp_ne_u16_sdwa s4, v11, v1 src0_sel:BYTE_0 src1_sel:DWORD
	s_and_saveexec_b32 s16, s4
	s_cbranch_execz .LBB310_1269
; %bb.1262:                             ;   in Loop: Header=BB310_1062 Depth=1
	v_cmp_ne_u16_sdwa s4, v11, v17 src0_sel:BYTE_0 src1_sel:DWORD
	v_mov_b32_e32 v6, 0x8000
	s_and_saveexec_b32 s17, s4
	s_cbranch_execz .LBB310_1268
; %bb.1263:                             ;   in Loop: Header=BB310_1062 Depth=1
	v_and_b32_e32 v16, 0x7f, v11
	v_mov_b32_e32 v6, 0x7c01
	s_mov_b32 s18, exec_lo
	v_cmpx_ne_u32_e32 0x7f, v16
	s_cbranch_execz .LBB310_1267
; %bb.1264:                             ;   in Loop: Header=BB310_1062 Depth=1
	v_and_b32_e32 v0, 7, v11
	v_lshrrev_b32_e32 v6, 3, v16
	s_mov_b32 s20, exec_lo
	v_cmpx_gt_u32_e32 8, v16
; %bb.1265:                             ;   in Loop: Header=BB310_1062 Depth=1
	v_ffbh_u32_e32 v0, v0
	v_min_u32_e32 v0, 32, v0
	v_subrev_nc_u32_e32 v6, 28, v0
	v_lshlrev_b64 v[26:27], v6, v[11:12]
	v_sub_nc_u32_e32 v6, 29, v0
	v_and_b32_e32 v0, 7, v26
; %bb.1266:                             ;   in Loop: Header=BB310_1062 Depth=1
	s_or_b32 exec_lo, exec_lo, s20
	v_lshlrev_b32_e32 v16, 8, v11
	v_lshl_add_u32 v6, v6, 10, 0x2000
	v_lshlrev_b32_e32 v0, 7, v0
	v_and_b32_e32 v16, 0x8000, v16
	v_and_b32_e32 v6, 0xfc00, v6
	v_or3_b32 v6, v16, v6, v0
.LBB310_1267:                           ;   in Loop: Header=BB310_1062 Depth=1
	s_or_b32 exec_lo, exec_lo, s18
.LBB310_1268:                           ;   in Loop: Header=BB310_1062 Depth=1
	s_or_b32 exec_lo, exec_lo, s17
.LBB310_1269:                           ;   in Loop: Header=BB310_1062 Depth=1
	s_or_b32 exec_lo, exec_lo, s16
	v_lshrrev_b16 v0, 8, v11
	s_mov_b32 s16, exec_lo
	v_cmpx_ne_u16_e32 0, v0
	s_cbranch_execz .LBB310_1277
; %bb.1270:                             ;   in Loop: Header=BB310_1062 Depth=1
	v_bfrev_b32_e32 v5, 1
	s_mov_b32 s17, exec_lo
	v_cmpx_ne_u16_e32 0x80, v0
	s_cbranch_execz .LBB310_1276
; %bb.1271:                             ;   in Loop: Header=BB310_1062 Depth=1
	v_and_b32_sdwa v22, v0, v53 dst_sel:DWORD dst_unused:UNUSED_PAD src0_sel:WORD_0 src1_sel:DWORD
	v_mov_b32_e32 v5, 0x7c010000
	s_mov_b32 s18, exec_lo
	v_cmpx_ne_u32_e32 0x7f, v22
	s_cbranch_execz .LBB310_1275
; %bb.1272:                             ;   in Loop: Header=BB310_1062 Depth=1
	v_and_b32_sdwa v5, v0, v54 dst_sel:DWORD dst_unused:UNUSED_PAD src0_sel:WORD_0 src1_sel:DWORD
	v_lshrrev_b32_e32 v16, 3, v22
	s_mov_b32 s20, exec_lo
	v_cmpx_gt_u32_e32 8, v22
; %bb.1273:                             ;   in Loop: Header=BB310_1062 Depth=1
	v_ffbh_u32_e32 v5, v5
	v_min_u32_e32 v5, 32, v5
	v_subrev_nc_u32_e32 v16, 28, v5
	v_lshlrev_b64 v[26:27], v16, v[0:1]
	v_sub_nc_u32_e32 v16, 29, v5
	v_and_b32_e32 v5, 7, v26
; %bb.1274:                             ;   in Loop: Header=BB310_1062 Depth=1
	s_or_b32 exec_lo, exec_lo, s20
	v_lshlrev_b32_sdwa v0, v71, v0 dst_sel:DWORD dst_unused:UNUSED_PAD src0_sel:DWORD src1_sel:WORD_0
	v_lshl_add_u32 v16, v16, 10, 0x2000
	v_lshlrev_b32_e32 v5, 23, v5
	v_and_or_b32 v0, 0x8000, v0, v16
	v_lshl_or_b32 v5, v0, 16, v5
.LBB310_1275:                           ;   in Loop: Header=BB310_1062 Depth=1
	s_or_b32 exec_lo, exec_lo, s18
.LBB310_1276:                           ;   in Loop: Header=BB310_1062 Depth=1
	s_or_b32 exec_lo, exec_lo, s17
.LBB310_1277:                           ;   in Loop: Header=BB310_1062 Depth=1
	s_or_b32 exec_lo, exec_lo, s16
	v_lshrrev_b32_e32 v0, 16, v11
	v_mov_b32_e32 v16, 0
	v_mov_b32_e32 v22, 0
	v_cmp_ne_u16_sdwa s4, v0, v1 src0_sel:BYTE_0 src1_sel:DWORD
	s_and_saveexec_b32 s16, s4
	s_cbranch_execz .LBB310_1285
; %bb.1278:                             ;   in Loop: Header=BB310_1062 Depth=1
	v_cmp_ne_u16_sdwa s4, v0, v17 src0_sel:BYTE_0 src1_sel:DWORD
	v_mov_b32_e32 v22, 0x8000
	s_and_saveexec_b32 s17, s4
	s_cbranch_execz .LBB310_1284
; %bb.1279:                             ;   in Loop: Header=BB310_1062 Depth=1
	v_bfe_u32 v27, v11, 16, 7
	v_mov_b32_e32 v22, 0x7c01
	s_mov_b32 s18, exec_lo
	v_cmpx_ne_u32_e32 0x7f, v27
	s_cbranch_execz .LBB310_1283
; %bb.1280:                             ;   in Loop: Header=BB310_1062 Depth=1
	v_and_b32_e32 v22, 7, v0
	v_lshrrev_b32_e32 v26, 3, v27
	s_mov_b32 s20, exec_lo
	v_cmpx_gt_u32_e32 8, v27
; %bb.1281:                             ;   in Loop: Header=BB310_1062 Depth=1
	v_ffbh_u32_e32 v22, v22
	v_min_u32_e32 v22, 32, v22
	v_subrev_nc_u32_e32 v26, 28, v22
	v_lshlrev_b64 v[37:38], v26, v[0:1]
	v_sub_nc_u32_e32 v26, 29, v22
	v_and_b32_e32 v22, 7, v37
; %bb.1282:                             ;   in Loop: Header=BB310_1062 Depth=1
	s_or_b32 exec_lo, exec_lo, s20
	v_lshlrev_b32_e32 v0, 8, v0
	v_lshl_add_u32 v26, v26, 10, 0x2000
	v_lshlrev_b32_e32 v22, 7, v22
	v_and_b32_e32 v0, 0x8000, v0
	v_and_b32_e32 v26, 0xfc00, v26
	v_or3_b32 v22, v0, v26, v22
.LBB310_1283:                           ;   in Loop: Header=BB310_1062 Depth=1
	s_or_b32 exec_lo, exec_lo, s18
.LBB310_1284:                           ;   in Loop: Header=BB310_1062 Depth=1
	s_or_b32 exec_lo, exec_lo, s17
.LBB310_1285:                           ;   in Loop: Header=BB310_1062 Depth=1
	s_or_b32 exec_lo, exec_lo, s16
	s_mov_b32 s16, exec_lo
	v_cmpx_lt_u32_e32 0xffffff, v11
	s_cbranch_execz .LBB310_1293
; %bb.1286:                             ;   in Loop: Header=BB310_1062 Depth=1
	v_lshrrev_b32_e32 v0, 24, v11
	v_bfrev_b32_e32 v16, 1
	s_mov_b32 s17, exec_lo
	v_cmpx_ne_u32_e32 0x80, v0
	s_cbranch_execz .LBB310_1292
; %bb.1287:                             ;   in Loop: Header=BB310_1062 Depth=1
	v_and_b32_e32 v27, 0x7f, v0
	v_mov_b32_e32 v16, 0x7c010000
	s_mov_b32 s18, exec_lo
	v_cmpx_ne_u32_e32 0x7f, v27
	s_cbranch_execz .LBB310_1291
; %bb.1288:                             ;   in Loop: Header=BB310_1062 Depth=1
	v_and_b32_e32 v16, 7, v0
	v_lshrrev_b32_e32 v26, 3, v27
	s_mov_b32 s20, exec_lo
	v_cmpx_gt_u32_e32 8, v27
; %bb.1289:                             ;   in Loop: Header=BB310_1062 Depth=1
	v_ffbh_u32_e32 v16, v16
	v_min_u32_e32 v16, 32, v16
	v_subrev_nc_u32_e32 v26, 28, v16
	v_lshlrev_b64 v[37:38], v26, v[0:1]
	v_sub_nc_u32_e32 v26, 29, v16
	v_and_b32_e32 v16, 7, v37
; %bb.1290:                             ;   in Loop: Header=BB310_1062 Depth=1
	s_or_b32 exec_lo, exec_lo, s20
	v_lshlrev_b32_e32 v0, 8, v0
	v_lshl_add_u32 v26, v26, 10, 0x2000
	v_lshlrev_b32_e32 v16, 23, v16
	v_and_or_b32 v0, 0x8000, v0, v26
	v_lshl_or_b32 v16, v0, 16, v16
.LBB310_1291:                           ;   in Loop: Header=BB310_1062 Depth=1
	s_or_b32 exec_lo, exec_lo, s18
.LBB310_1292:                           ;   in Loop: Header=BB310_1062 Depth=1
	s_or_b32 exec_lo, exec_lo, s17
.LBB310_1293:                           ;   in Loop: Header=BB310_1062 Depth=1
	s_or_b32 exec_lo, exec_lo, s16
	v_mov_b32_e32 v0, v12
	v_cmp_ne_u16_sdwa s4, v12, v1 src0_sel:BYTE_0 src1_sel:DWORD
	v_mov_b32_e32 v26, 0
	v_mov_b32_e32 v27, 0
	s_and_saveexec_b32 s16, s4
	s_cbranch_execz .LBB310_1301
; %bb.1294:                             ;   in Loop: Header=BB310_1062 Depth=1
	v_cmp_ne_u16_sdwa s4, v12, v17 src0_sel:BYTE_0 src1_sel:DWORD
	v_mov_b32_e32 v27, 0x8000
	s_and_saveexec_b32 s17, s4
	s_cbranch_execz .LBB310_1300
; %bb.1295:                             ;   in Loop: Header=BB310_1062 Depth=1
	v_and_b32_e32 v37, 0x7f, v12
	v_mov_b32_e32 v27, 0x7c01
	s_mov_b32 s18, exec_lo
	v_cmpx_ne_u32_e32 0x7f, v37
	s_cbranch_execz .LBB310_1299
; %bb.1296:                             ;   in Loop: Header=BB310_1062 Depth=1
	v_and_b32_e32 v27, 7, v12
	v_lshrrev_b32_e32 v35, 3, v37
	s_mov_b32 s20, exec_lo
	v_cmpx_gt_u32_e32 8, v37
; %bb.1297:                             ;   in Loop: Header=BB310_1062 Depth=1
	v_ffbh_u32_e32 v27, v27
	v_min_u32_e32 v27, 32, v27
	v_subrev_nc_u32_e32 v35, 28, v27
	v_lshlrev_b64 v[37:38], v35, v[0:1]
	v_sub_nc_u32_e32 v35, 29, v27
	v_and_b32_e32 v27, 7, v37
; %bb.1298:                             ;   in Loop: Header=BB310_1062 Depth=1
	s_or_b32 exec_lo, exec_lo, s20
	v_lshlrev_b32_e32 v37, 8, v12
	v_lshl_add_u32 v35, v35, 10, 0x2000
	v_lshlrev_b32_e32 v27, 7, v27
	v_and_b32_e32 v37, 0x8000, v37
	v_and_b32_e32 v35, 0xfc00, v35
	v_or3_b32 v27, v37, v35, v27
.LBB310_1299:                           ;   in Loop: Header=BB310_1062 Depth=1
	s_or_b32 exec_lo, exec_lo, s18
.LBB310_1300:                           ;   in Loop: Header=BB310_1062 Depth=1
	s_or_b32 exec_lo, exec_lo, s17
.LBB310_1301:                           ;   in Loop: Header=BB310_1062 Depth=1
	s_or_b32 exec_lo, exec_lo, s16
	v_lshrrev_b16 v0, 8, v0
	v_mov_b32_e32 v35, 0
	s_mov_b32 s16, exec_lo
	v_cmpx_ne_u16_e32 0, v0
	s_cbranch_execz .LBB310_1309
; %bb.1302:                             ;   in Loop: Header=BB310_1062 Depth=1
	v_bfrev_b32_e32 v35, 1
	s_mov_b32 s17, exec_lo
	v_cmpx_ne_u16_e32 0x80, v0
	s_cbranch_execz .LBB310_1308
; %bb.1303:                             ;   in Loop: Header=BB310_1062 Depth=1
	v_and_b32_sdwa v38, v0, v53 dst_sel:DWORD dst_unused:UNUSED_PAD src0_sel:WORD_0 src1_sel:DWORD
	v_mov_b32_e32 v35, 0x7c010000
	s_mov_b32 s18, exec_lo
	v_cmpx_ne_u32_e32 0x7f, v38
	s_cbranch_execz .LBB310_1307
; %bb.1304:                             ;   in Loop: Header=BB310_1062 Depth=1
	v_and_b32_sdwa v35, v0, v54 dst_sel:DWORD dst_unused:UNUSED_PAD src0_sel:WORD_0 src1_sel:DWORD
	v_lshrrev_b32_e32 v37, 3, v38
	s_mov_b32 s20, exec_lo
	v_cmpx_gt_u32_e32 8, v38
; %bb.1305:                             ;   in Loop: Header=BB310_1062 Depth=1
	v_ffbh_u32_e32 v35, v35
	v_min_u32_e32 v35, 32, v35
	v_subrev_nc_u32_e32 v37, 28, v35
	v_lshlrev_b64 v[48:49], v37, v[0:1]
	v_sub_nc_u32_e32 v37, 29, v35
	v_and_b32_e32 v35, 7, v48
; %bb.1306:                             ;   in Loop: Header=BB310_1062 Depth=1
	s_or_b32 exec_lo, exec_lo, s20
	v_lshlrev_b32_sdwa v0, v71, v0 dst_sel:DWORD dst_unused:UNUSED_PAD src0_sel:DWORD src1_sel:WORD_0
	v_lshl_add_u32 v37, v37, 10, 0x2000
	v_lshlrev_b32_e32 v35, 23, v35
	v_and_or_b32 v0, 0x8000, v0, v37
	v_lshl_or_b32 v35, v0, 16, v35
.LBB310_1307:                           ;   in Loop: Header=BB310_1062 Depth=1
	s_or_b32 exec_lo, exec_lo, s18
.LBB310_1308:                           ;   in Loop: Header=BB310_1062 Depth=1
	s_or_b32 exec_lo, exec_lo, s17
.LBB310_1309:                           ;   in Loop: Header=BB310_1062 Depth=1
	s_or_b32 exec_lo, exec_lo, s16
	v_lshrrev_b32_e32 v0, 16, v12
	v_cmp_ne_u16_sdwa s4, v0, v1 src0_sel:BYTE_0 src1_sel:DWORD
	s_and_saveexec_b32 s16, s4
	s_cbranch_execz .LBB310_1317
; %bb.1310:                             ;   in Loop: Header=BB310_1062 Depth=1
	v_cmp_ne_u16_sdwa s4, v0, v17 src0_sel:BYTE_0 src1_sel:DWORD
	v_mov_b32_e32 v26, 0x8000
	s_and_saveexec_b32 s17, s4
	s_cbranch_execz .LBB310_1316
; %bb.1311:                             ;   in Loop: Header=BB310_1062 Depth=1
	v_bfe_u32 v38, v12, 16, 7
	v_mov_b32_e32 v26, 0x7c01
	s_mov_b32 s18, exec_lo
	v_cmpx_ne_u32_e32 0x7f, v38
	s_cbranch_execz .LBB310_1315
; %bb.1312:                             ;   in Loop: Header=BB310_1062 Depth=1
	v_and_b32_e32 v26, 7, v0
	v_lshrrev_b32_e32 v37, 3, v38
	s_mov_b32 s20, exec_lo
	v_cmpx_gt_u32_e32 8, v38
; %bb.1313:                             ;   in Loop: Header=BB310_1062 Depth=1
	v_ffbh_u32_e32 v26, v26
	v_min_u32_e32 v26, 32, v26
	v_subrev_nc_u32_e32 v37, 28, v26
	v_lshlrev_b64 v[48:49], v37, v[0:1]
	v_sub_nc_u32_e32 v37, 29, v26
	v_and_b32_e32 v26, 7, v48
; %bb.1314:                             ;   in Loop: Header=BB310_1062 Depth=1
	s_or_b32 exec_lo, exec_lo, s20
	v_lshlrev_b32_e32 v0, 8, v0
	v_lshl_add_u32 v37, v37, 10, 0x2000
	v_lshlrev_b32_e32 v26, 7, v26
	v_and_b32_e32 v0, 0x8000, v0
	v_and_b32_e32 v37, 0xfc00, v37
	v_or3_b32 v26, v0, v37, v26
.LBB310_1315:                           ;   in Loop: Header=BB310_1062 Depth=1
	s_or_b32 exec_lo, exec_lo, s18
.LBB310_1316:                           ;   in Loop: Header=BB310_1062 Depth=1
	s_or_b32 exec_lo, exec_lo, s17
.LBB310_1317:                           ;   in Loop: Header=BB310_1062 Depth=1
	s_or_b32 exec_lo, exec_lo, s16
	v_cmp_lt_u64_e64 s4, s[12:13], v[11:12]
	v_mov_b32_e32 v11, 0
	s_and_saveexec_b32 s16, s4
	s_cbranch_execz .LBB310_1325
; %bb.1318:                             ;   in Loop: Header=BB310_1062 Depth=1
	v_lshrrev_b32_e32 v0, 24, v12
	v_bfrev_b32_e32 v11, 1
	s_mov_b32 s17, exec_lo
	v_cmpx_ne_u32_e32 0x80, v0
	s_cbranch_execz .LBB310_1324
; %bb.1319:                             ;   in Loop: Header=BB310_1062 Depth=1
	v_and_b32_e32 v37, 0x7f, v0
	v_mov_b32_e32 v11, 0x7c010000
	s_mov_b32 s18, exec_lo
	v_cmpx_ne_u32_e32 0x7f, v37
	s_cbranch_execz .LBB310_1323
; %bb.1320:                             ;   in Loop: Header=BB310_1062 Depth=1
	v_and_b32_e32 v11, 7, v0
	v_lshrrev_b32_e32 v12, 3, v37
	s_mov_b32 s20, exec_lo
	v_cmpx_gt_u32_e32 8, v37
; %bb.1321:                             ;   in Loop: Header=BB310_1062 Depth=1
	v_ffbh_u32_e32 v11, v11
	v_min_u32_e32 v37, 32, v11
	v_subrev_nc_u32_e32 v11, 28, v37
	v_lshlrev_b64 v[11:12], v11, v[0:1]
	v_sub_nc_u32_e32 v12, 29, v37
	v_and_b32_e32 v11, 7, v11
; %bb.1322:                             ;   in Loop: Header=BB310_1062 Depth=1
	s_or_b32 exec_lo, exec_lo, s20
	v_lshlrev_b32_e32 v0, 8, v0
	v_lshl_add_u32 v12, v12, 10, 0x2000
	v_lshlrev_b32_e32 v11, 23, v11
	v_and_or_b32 v0, 0x8000, v0, v12
	v_lshl_or_b32 v11, v0, 16, v11
.LBB310_1323:                           ;   in Loop: Header=BB310_1062 Depth=1
	s_or_b32 exec_lo, exec_lo, s18
.LBB310_1324:                           ;   in Loop: Header=BB310_1062 Depth=1
	s_or_b32 exec_lo, exec_lo, s17
.LBB310_1325:                           ;   in Loop: Header=BB310_1062 Depth=1
	s_or_b32 exec_lo, exec_lo, s16
	v_or_b32_e32 v0, v16, v22
	s_waitcnt vmcnt(0) lgkmcnt(0)
	v_fma_mixlo_f16 v12, v4, v16, 0 op_sel:[0,1,0] op_sel_hi:[0,1,0]
	v_or_b32_e32 v6, v5, v6
	v_fma_mixlo_f16 v5, v4, v5, 0 op_sel:[0,1,0] op_sel_hi:[0,1,0]
	v_or_b32_e32 v16, v35, v27
	v_fma_mixlo_f16 v22, v4, v0, 0 op_sel_hi:[0,1,0]
	v_or_b32_e32 v26, v11, v26
	v_lshlrev_b32_e32 v0, 16, v12
	v_lshlrev_b32_e32 v12, 16, v5
	v_fma_mixlo_f16 v6, v4, v6, 0 op_sel_hi:[0,1,0]
	v_and_b32_e32 v5, 0xffff, v22
	v_fma_mixlo_f16 v22, v4, v35, 0 op_sel:[0,1,0] op_sel_hi:[0,1,0]
	v_fma_mixlo_f16 v16, v4, v16, 0 op_sel_hi:[0,1,0]
	v_fma_mixlo_f16 v11, v4, v11, 0 op_sel:[0,1,0] op_sel_hi:[0,1,0]
	v_fma_mixlo_f16 v26, v4, v26, 0 op_sel_hi:[0,1,0]
	v_and_b32_e32 v37, 0xffff, v6
	v_lshlrev_b32_e32 v6, 16, v22
	v_and_b32_e32 v22, 0xffff, v16
	v_lshlrev_b32_e32 v4, 16, v11
	v_and_b32_e32 v11, 0xffff, v26
	v_or_b32_e32 v16, v0, v5
	v_or_b32_e32 v35, v12, v37
	;; [unrolled: 1-line block ×4, first 2 shown]
	s_and_saveexec_b32 s16, vcc_lo
	s_cbranch_execz .LBB310_1327
; %bb.1326:                             ;   in Loop: Header=BB310_1062 Depth=1
	v_cmp_lt_i32_e64 s4, v18, v36
	v_cndmask_b32_e64 v16, 0, v37, s4
	v_cmp_lt_i32_e64 s4, v100, v36
	v_cndmask_b32_e64 v12, 0, v12, s4
	v_cmp_lt_i32_e64 s4, v99, v36
	v_or_b32_e32 v35, v16, v12
	v_cndmask_b32_e64 v5, 0, v5, s4
	v_cmp_lt_i32_e64 s4, v98, v36
	v_cndmask_b32_e64 v0, 0, v0, s4
	v_cmp_lt_i32_e64 s4, v97, v36
	v_or_b32_e32 v16, v5, v0
	;; [unrolled: 5-line block ×3, first 2 shown]
	v_cndmask_b32_e64 v11, 0, v11, s4
	v_cmp_lt_i32_e64 s4, v86, v36
	v_cndmask_b32_e64 v4, 0, v4, s4
	v_or_b32_e32 v26, v11, v4
.LBB310_1327:                           ;   in Loop: Header=BB310_1062 Depth=1
	s_or_b32 exec_lo, exec_lo, s16
	;;#ASMSTART
	v_pk_mul_f16 v0, v85, v35;

	;;#ASMEND
	;;#ASMSTART
	v_pk_mul_f16 v4, v84, v16;

	;;#ASMEND
	;; [unrolled: 4-line block ×4, first 2 shown]
	;;#ASMSTART
	v_pk_add_f16 v0, v0, v4;

	;;#ASMEND
	;;#ASMSTART
	v_pk_add_f16 v0, v0, v5;

	;;#ASMEND
	;; [unrolled: 4-line block ×3, first 2 shown]
	v_and_b32_e32 v4, 0xffff, v0
	v_lshrrev_b32_e32 v0, 16, v0
	;;#ASMSTART
	v_cvt_f32_f16 v113, v4;
	;;#ASMEND
	;;#ASMSTART
	v_cvt_f32_f16 v16, v0;
	;;#ASMEND
	flat_load_dwordx2 v[11:12], v[9:10] offset:1024
	flat_load_dword v4, v[72:73]
	v_mov_b32_e32 v5, 0
	v_mov_b32_e32 v6, 0
	s_waitcnt vmcnt(1) lgkmcnt(1)
	v_cmp_ne_u16_sdwa s4, v11, v1 src0_sel:BYTE_0 src1_sel:DWORD
	s_and_saveexec_b32 s16, s4
	s_cbranch_execz .LBB310_1335
; %bb.1328:                             ;   in Loop: Header=BB310_1062 Depth=1
	v_cmp_ne_u16_sdwa s4, v11, v17 src0_sel:BYTE_0 src1_sel:DWORD
	v_mov_b32_e32 v6, 0x8000
	s_and_saveexec_b32 s17, s4
	s_cbranch_execz .LBB310_1334
; %bb.1329:                             ;   in Loop: Header=BB310_1062 Depth=1
	v_and_b32_e32 v22, 0x7f, v11
	v_mov_b32_e32 v6, 0x7c01
	s_mov_b32 s18, exec_lo
	v_cmpx_ne_u32_e32 0x7f, v22
	s_cbranch_execz .LBB310_1333
; %bb.1330:                             ;   in Loop: Header=BB310_1062 Depth=1
	v_and_b32_e32 v0, 7, v11
	v_lshrrev_b32_e32 v6, 3, v22
	s_mov_b32 s20, exec_lo
	v_cmpx_gt_u32_e32 8, v22
; %bb.1331:                             ;   in Loop: Header=BB310_1062 Depth=1
	v_ffbh_u32_e32 v0, v0
	v_min_u32_e32 v0, 32, v0
	v_subrev_nc_u32_e32 v6, 28, v0
	v_lshlrev_b64 v[26:27], v6, v[11:12]
	v_sub_nc_u32_e32 v6, 29, v0
	v_and_b32_e32 v0, 7, v26
; %bb.1332:                             ;   in Loop: Header=BB310_1062 Depth=1
	s_or_b32 exec_lo, exec_lo, s20
	v_lshlrev_b32_e32 v22, 8, v11
	v_lshl_add_u32 v6, v6, 10, 0x2000
	v_lshlrev_b32_e32 v0, 7, v0
	v_and_b32_e32 v22, 0x8000, v22
	v_and_b32_e32 v6, 0xfc00, v6
	v_or3_b32 v6, v22, v6, v0
.LBB310_1333:                           ;   in Loop: Header=BB310_1062 Depth=1
	s_or_b32 exec_lo, exec_lo, s18
.LBB310_1334:                           ;   in Loop: Header=BB310_1062 Depth=1
	s_or_b32 exec_lo, exec_lo, s17
.LBB310_1335:                           ;   in Loop: Header=BB310_1062 Depth=1
	s_or_b32 exec_lo, exec_lo, s16
	v_lshrrev_b16 v0, 8, v11
	s_mov_b32 s16, exec_lo
	v_cmpx_ne_u16_e32 0, v0
	s_cbranch_execz .LBB310_1343
; %bb.1336:                             ;   in Loop: Header=BB310_1062 Depth=1
	v_bfrev_b32_e32 v5, 1
	s_mov_b32 s17, exec_lo
	v_cmpx_ne_u16_e32 0x80, v0
	s_cbranch_execz .LBB310_1342
; %bb.1337:                             ;   in Loop: Header=BB310_1062 Depth=1
	v_and_b32_sdwa v26, v0, v53 dst_sel:DWORD dst_unused:UNUSED_PAD src0_sel:WORD_0 src1_sel:DWORD
	v_mov_b32_e32 v5, 0x7c010000
	s_mov_b32 s18, exec_lo
	v_cmpx_ne_u32_e32 0x7f, v26
	s_cbranch_execz .LBB310_1341
; %bb.1338:                             ;   in Loop: Header=BB310_1062 Depth=1
	v_and_b32_sdwa v5, v0, v54 dst_sel:DWORD dst_unused:UNUSED_PAD src0_sel:WORD_0 src1_sel:DWORD
	v_lshrrev_b32_e32 v22, 3, v26
	s_mov_b32 s20, exec_lo
	v_cmpx_gt_u32_e32 8, v26
; %bb.1339:                             ;   in Loop: Header=BB310_1062 Depth=1
	v_ffbh_u32_e32 v5, v5
	v_min_u32_e32 v5, 32, v5
	v_subrev_nc_u32_e32 v22, 28, v5
	v_lshlrev_b64 v[26:27], v22, v[0:1]
	v_sub_nc_u32_e32 v22, 29, v5
	v_and_b32_e32 v5, 7, v26
; %bb.1340:                             ;   in Loop: Header=BB310_1062 Depth=1
	s_or_b32 exec_lo, exec_lo, s20
	v_lshlrev_b32_sdwa v0, v71, v0 dst_sel:DWORD dst_unused:UNUSED_PAD src0_sel:DWORD src1_sel:WORD_0
	v_lshl_add_u32 v22, v22, 10, 0x2000
	v_lshlrev_b32_e32 v5, 23, v5
	v_and_or_b32 v0, 0x8000, v0, v22
	v_lshl_or_b32 v5, v0, 16, v5
.LBB310_1341:                           ;   in Loop: Header=BB310_1062 Depth=1
	s_or_b32 exec_lo, exec_lo, s18
.LBB310_1342:                           ;   in Loop: Header=BB310_1062 Depth=1
	s_or_b32 exec_lo, exec_lo, s17
.LBB310_1343:                           ;   in Loop: Header=BB310_1062 Depth=1
	s_or_b32 exec_lo, exec_lo, s16
	v_lshrrev_b32_e32 v0, 16, v11
	v_mov_b32_e32 v22, 0
	v_mov_b32_e32 v35, 0
	v_cmp_ne_u16_sdwa s4, v0, v1 src0_sel:BYTE_0 src1_sel:DWORD
	s_and_saveexec_b32 s16, s4
	s_cbranch_execz .LBB310_1351
; %bb.1344:                             ;   in Loop: Header=BB310_1062 Depth=1
	v_cmp_ne_u16_sdwa s4, v0, v17 src0_sel:BYTE_0 src1_sel:DWORD
	v_mov_b32_e32 v35, 0x8000
	s_and_saveexec_b32 s17, s4
	s_cbranch_execz .LBB310_1350
; %bb.1345:                             ;   in Loop: Header=BB310_1062 Depth=1
	v_bfe_u32 v37, v11, 16, 7
	v_mov_b32_e32 v35, 0x7c01
	s_mov_b32 s18, exec_lo
	v_cmpx_ne_u32_e32 0x7f, v37
	s_cbranch_execz .LBB310_1349
; %bb.1346:                             ;   in Loop: Header=BB310_1062 Depth=1
	v_and_b32_e32 v26, 7, v0
	v_lshrrev_b32_e32 v27, 3, v37
	s_mov_b32 s20, exec_lo
	v_cmpx_gt_u32_e32 8, v37
; %bb.1347:                             ;   in Loop: Header=BB310_1062 Depth=1
	v_ffbh_u32_e32 v26, v26
	v_min_u32_e32 v35, 32, v26
	v_subrev_nc_u32_e32 v26, 28, v35
	v_lshlrev_b64 v[26:27], v26, v[0:1]
	v_sub_nc_u32_e32 v27, 29, v35
	v_and_b32_e32 v26, 7, v26
; %bb.1348:                             ;   in Loop: Header=BB310_1062 Depth=1
	s_or_b32 exec_lo, exec_lo, s20
	v_lshlrev_b32_e32 v0, 8, v0
	v_lshl_add_u32 v27, v27, 10, 0x2000
	v_lshlrev_b32_e32 v26, 7, v26
	v_and_b32_e32 v0, 0x8000, v0
	v_and_b32_e32 v27, 0xfc00, v27
	v_or3_b32 v35, v0, v27, v26
.LBB310_1349:                           ;   in Loop: Header=BB310_1062 Depth=1
	s_or_b32 exec_lo, exec_lo, s18
.LBB310_1350:                           ;   in Loop: Header=BB310_1062 Depth=1
	s_or_b32 exec_lo, exec_lo, s17
.LBB310_1351:                           ;   in Loop: Header=BB310_1062 Depth=1
	s_or_b32 exec_lo, exec_lo, s16
	s_mov_b32 s16, exec_lo
	v_cmpx_lt_u32_e32 0xffffff, v11
	s_cbranch_execz .LBB310_1359
; %bb.1352:                             ;   in Loop: Header=BB310_1062 Depth=1
	v_lshrrev_b32_e32 v0, 24, v11
	v_bfrev_b32_e32 v22, 1
	s_mov_b32 s17, exec_lo
	v_cmpx_ne_u32_e32 0x80, v0
	s_cbranch_execz .LBB310_1358
; %bb.1353:                             ;   in Loop: Header=BB310_1062 Depth=1
	v_and_b32_e32 v27, 0x7f, v0
	v_mov_b32_e32 v22, 0x7c010000
	s_mov_b32 s18, exec_lo
	v_cmpx_ne_u32_e32 0x7f, v27
	s_cbranch_execz .LBB310_1357
; %bb.1354:                             ;   in Loop: Header=BB310_1062 Depth=1
	v_and_b32_e32 v22, 7, v0
	v_lshrrev_b32_e32 v26, 3, v27
	s_mov_b32 s20, exec_lo
	v_cmpx_gt_u32_e32 8, v27
; %bb.1355:                             ;   in Loop: Header=BB310_1062 Depth=1
	v_ffbh_u32_e32 v22, v22
	v_min_u32_e32 v22, 32, v22
	v_subrev_nc_u32_e32 v26, 28, v22
	v_lshlrev_b64 v[37:38], v26, v[0:1]
	v_sub_nc_u32_e32 v26, 29, v22
	v_and_b32_e32 v22, 7, v37
; %bb.1356:                             ;   in Loop: Header=BB310_1062 Depth=1
	s_or_b32 exec_lo, exec_lo, s20
	v_lshlrev_b32_e32 v0, 8, v0
	v_lshl_add_u32 v26, v26, 10, 0x2000
	v_lshlrev_b32_e32 v22, 23, v22
	v_and_or_b32 v0, 0x8000, v0, v26
	v_lshl_or_b32 v22, v0, 16, v22
.LBB310_1357:                           ;   in Loop: Header=BB310_1062 Depth=1
	s_or_b32 exec_lo, exec_lo, s18
.LBB310_1358:                           ;   in Loop: Header=BB310_1062 Depth=1
	s_or_b32 exec_lo, exec_lo, s17
.LBB310_1359:                           ;   in Loop: Header=BB310_1062 Depth=1
	s_or_b32 exec_lo, exec_lo, s16
	v_mov_b32_e32 v0, v12
	v_cmp_ne_u16_sdwa s4, v12, v1 src0_sel:BYTE_0 src1_sel:DWORD
	v_mov_b32_e32 v26, 0
	v_mov_b32_e32 v27, 0
	s_and_saveexec_b32 s16, s4
	s_cbranch_execz .LBB310_1367
; %bb.1360:                             ;   in Loop: Header=BB310_1062 Depth=1
	v_cmp_ne_u16_sdwa s4, v12, v17 src0_sel:BYTE_0 src1_sel:DWORD
	v_mov_b32_e32 v27, 0x8000
	s_and_saveexec_b32 s17, s4
	s_cbranch_execz .LBB310_1366
; %bb.1361:                             ;   in Loop: Header=BB310_1062 Depth=1
	v_and_b32_e32 v38, 0x7f, v12
	v_mov_b32_e32 v27, 0x7c01
	s_mov_b32 s18, exec_lo
	v_cmpx_ne_u32_e32 0x7f, v38
	s_cbranch_execz .LBB310_1365
; %bb.1362:                             ;   in Loop: Header=BB310_1062 Depth=1
	v_and_b32_e32 v27, 7, v12
	v_lshrrev_b32_e32 v37, 3, v38
	s_mov_b32 s20, exec_lo
	v_cmpx_gt_u32_e32 8, v38
; %bb.1363:                             ;   in Loop: Header=BB310_1062 Depth=1
	v_ffbh_u32_e32 v27, v27
	v_min_u32_e32 v27, 32, v27
	v_subrev_nc_u32_e32 v37, 28, v27
	v_lshlrev_b64 v[48:49], v37, v[0:1]
	v_sub_nc_u32_e32 v37, 29, v27
	v_and_b32_e32 v27, 7, v48
; %bb.1364:                             ;   in Loop: Header=BB310_1062 Depth=1
	s_or_b32 exec_lo, exec_lo, s20
	v_lshlrev_b32_e32 v38, 8, v12
	v_lshl_add_u32 v37, v37, 10, 0x2000
	v_lshlrev_b32_e32 v27, 7, v27
	v_and_b32_e32 v38, 0x8000, v38
	v_and_b32_e32 v37, 0xfc00, v37
	v_or3_b32 v27, v38, v37, v27
.LBB310_1365:                           ;   in Loop: Header=BB310_1062 Depth=1
	s_or_b32 exec_lo, exec_lo, s18
.LBB310_1366:                           ;   in Loop: Header=BB310_1062 Depth=1
	s_or_b32 exec_lo, exec_lo, s17
.LBB310_1367:                           ;   in Loop: Header=BB310_1062 Depth=1
	s_or_b32 exec_lo, exec_lo, s16
	v_lshrrev_b16 v0, 8, v0
	v_mov_b32_e32 v37, 0
	s_mov_b32 s16, exec_lo
	v_cmpx_ne_u16_e32 0, v0
	s_cbranch_execz .LBB310_1375
; %bb.1368:                             ;   in Loop: Header=BB310_1062 Depth=1
	v_bfrev_b32_e32 v37, 1
	s_mov_b32 s17, exec_lo
	v_cmpx_ne_u16_e32 0x80, v0
	s_cbranch_execz .LBB310_1374
; %bb.1369:                             ;   in Loop: Header=BB310_1062 Depth=1
	v_and_b32_sdwa v48, v0, v53 dst_sel:DWORD dst_unused:UNUSED_PAD src0_sel:WORD_0 src1_sel:DWORD
	v_mov_b32_e32 v37, 0x7c010000
	s_mov_b32 s18, exec_lo
	v_cmpx_ne_u32_e32 0x7f, v48
	s_cbranch_execz .LBB310_1373
; %bb.1370:                             ;   in Loop: Header=BB310_1062 Depth=1
	v_and_b32_sdwa v37, v0, v54 dst_sel:DWORD dst_unused:UNUSED_PAD src0_sel:WORD_0 src1_sel:DWORD
	v_lshrrev_b32_e32 v38, 3, v48
	s_mov_b32 s20, exec_lo
	v_cmpx_gt_u32_e32 8, v48
; %bb.1371:                             ;   in Loop: Header=BB310_1062 Depth=1
	v_ffbh_u32_e32 v37, v37
	v_min_u32_e32 v48, 32, v37
	v_subrev_nc_u32_e32 v37, 28, v48
	v_lshlrev_b64 v[37:38], v37, v[0:1]
	v_sub_nc_u32_e32 v38, 29, v48
	v_and_b32_e32 v37, 7, v37
; %bb.1372:                             ;   in Loop: Header=BB310_1062 Depth=1
	s_or_b32 exec_lo, exec_lo, s20
	v_lshlrev_b32_sdwa v0, v71, v0 dst_sel:DWORD dst_unused:UNUSED_PAD src0_sel:DWORD src1_sel:WORD_0
	v_lshl_add_u32 v38, v38, 10, 0x2000
	v_lshlrev_b32_e32 v37, 23, v37
	v_and_or_b32 v0, 0x8000, v0, v38
	v_lshl_or_b32 v37, v0, 16, v37
.LBB310_1373:                           ;   in Loop: Header=BB310_1062 Depth=1
	s_or_b32 exec_lo, exec_lo, s18
.LBB310_1374:                           ;   in Loop: Header=BB310_1062 Depth=1
	s_or_b32 exec_lo, exec_lo, s17
.LBB310_1375:                           ;   in Loop: Header=BB310_1062 Depth=1
	s_or_b32 exec_lo, exec_lo, s16
	v_lshrrev_b32_e32 v0, 16, v12
	v_cmp_ne_u16_sdwa s4, v0, v1 src0_sel:BYTE_0 src1_sel:DWORD
	s_and_saveexec_b32 s16, s4
	s_cbranch_execz .LBB310_1383
; %bb.1376:                             ;   in Loop: Header=BB310_1062 Depth=1
	v_cmp_ne_u16_sdwa s4, v0, v17 src0_sel:BYTE_0 src1_sel:DWORD
	v_mov_b32_e32 v26, 0x8000
	s_and_saveexec_b32 s17, s4
	s_cbranch_execz .LBB310_1382
; %bb.1377:                             ;   in Loop: Header=BB310_1062 Depth=1
	v_bfe_u32 v48, v12, 16, 7
	v_mov_b32_e32 v26, 0x7c01
	s_mov_b32 s18, exec_lo
	v_cmpx_ne_u32_e32 0x7f, v48
	s_cbranch_execz .LBB310_1381
; %bb.1378:                             ;   in Loop: Header=BB310_1062 Depth=1
	v_and_b32_e32 v26, 7, v0
	v_lshrrev_b32_e32 v38, 3, v48
	s_mov_b32 s20, exec_lo
	v_cmpx_gt_u32_e32 8, v48
; %bb.1379:                             ;   in Loop: Header=BB310_1062 Depth=1
	v_ffbh_u32_e32 v26, v26
	v_min_u32_e32 v26, 32, v26
	v_subrev_nc_u32_e32 v38, 28, v26
	v_lshlrev_b64 v[48:49], v38, v[0:1]
	v_sub_nc_u32_e32 v38, 29, v26
	v_and_b32_e32 v26, 7, v48
; %bb.1380:                             ;   in Loop: Header=BB310_1062 Depth=1
	s_or_b32 exec_lo, exec_lo, s20
	v_lshlrev_b32_e32 v0, 8, v0
	v_lshl_add_u32 v38, v38, 10, 0x2000
	v_lshlrev_b32_e32 v26, 7, v26
	v_and_b32_e32 v0, 0x8000, v0
	v_and_b32_e32 v38, 0xfc00, v38
	v_or3_b32 v26, v0, v38, v26
.LBB310_1381:                           ;   in Loop: Header=BB310_1062 Depth=1
	s_or_b32 exec_lo, exec_lo, s18
.LBB310_1382:                           ;   in Loop: Header=BB310_1062 Depth=1
	s_or_b32 exec_lo, exec_lo, s17
.LBB310_1383:                           ;   in Loop: Header=BB310_1062 Depth=1
	s_or_b32 exec_lo, exec_lo, s16
	v_cmp_lt_u64_e64 s4, s[12:13], v[11:12]
	v_mov_b32_e32 v11, 0
	s_and_saveexec_b32 s16, s4
	s_cbranch_execz .LBB310_1391
; %bb.1384:                             ;   in Loop: Header=BB310_1062 Depth=1
	v_lshrrev_b32_e32 v0, 24, v12
	v_bfrev_b32_e32 v11, 1
	s_mov_b32 s17, exec_lo
	v_cmpx_ne_u32_e32 0x80, v0
	s_cbranch_execz .LBB310_1390
; %bb.1385:                             ;   in Loop: Header=BB310_1062 Depth=1
	v_and_b32_e32 v38, 0x7f, v0
	v_mov_b32_e32 v11, 0x7c010000
	s_mov_b32 s18, exec_lo
	v_cmpx_ne_u32_e32 0x7f, v38
	s_cbranch_execz .LBB310_1389
; %bb.1386:                             ;   in Loop: Header=BB310_1062 Depth=1
	v_and_b32_e32 v11, 7, v0
	v_lshrrev_b32_e32 v12, 3, v38
	s_mov_b32 s20, exec_lo
	v_cmpx_gt_u32_e32 8, v38
; %bb.1387:                             ;   in Loop: Header=BB310_1062 Depth=1
	v_ffbh_u32_e32 v11, v11
	v_min_u32_e32 v38, 32, v11
	v_subrev_nc_u32_e32 v11, 28, v38
	v_lshlrev_b64 v[11:12], v11, v[0:1]
	v_sub_nc_u32_e32 v12, 29, v38
	v_and_b32_e32 v11, 7, v11
; %bb.1388:                             ;   in Loop: Header=BB310_1062 Depth=1
	s_or_b32 exec_lo, exec_lo, s20
	v_lshlrev_b32_e32 v0, 8, v0
	v_lshl_add_u32 v12, v12, 10, 0x2000
	v_lshlrev_b32_e32 v11, 23, v11
	v_and_or_b32 v0, 0x8000, v0, v12
	v_lshl_or_b32 v11, v0, 16, v11
.LBB310_1389:                           ;   in Loop: Header=BB310_1062 Depth=1
	s_or_b32 exec_lo, exec_lo, s18
.LBB310_1390:                           ;   in Loop: Header=BB310_1062 Depth=1
	s_or_b32 exec_lo, exec_lo, s17
.LBB310_1391:                           ;   in Loop: Header=BB310_1062 Depth=1
	s_or_b32 exec_lo, exec_lo, s16
	v_or_b32_e32 v0, v22, v35
	s_waitcnt vmcnt(0) lgkmcnt(0)
	v_fma_mixlo_f16 v12, v4, v22, 0 op_sel:[0,1,0] op_sel_hi:[0,1,0]
	v_or_b32_e32 v6, v5, v6
	v_fma_mixlo_f16 v5, v4, v5, 0 op_sel:[0,1,0] op_sel_hi:[0,1,0]
	v_or_b32_e32 v22, v37, v27
	v_fma_mixlo_f16 v27, v4, v0, 0 op_sel_hi:[0,1,0]
	v_or_b32_e32 v26, v11, v26
	v_lshlrev_b32_e32 v0, 16, v12
	v_lshlrev_b32_e32 v12, 16, v5
	v_fma_mixlo_f16 v6, v4, v6, 0 op_sel_hi:[0,1,0]
	v_and_b32_e32 v5, 0xffff, v27
	v_fma_mixlo_f16 v27, v4, v37, 0 op_sel:[0,1,0] op_sel_hi:[0,1,0]
	v_fma_mixlo_f16 v22, v4, v22, 0 op_sel_hi:[0,1,0]
	v_fma_mixlo_f16 v11, v4, v11, 0 op_sel:[0,1,0] op_sel_hi:[0,1,0]
	v_fma_mixlo_f16 v35, v4, v26, 0 op_sel_hi:[0,1,0]
	v_and_b32_e32 v38, 0xffff, v6
	v_lshlrev_b32_e32 v6, 16, v27
	v_and_b32_e32 v26, 0xffff, v22
	v_lshlrev_b32_e32 v4, 16, v11
	v_and_b32_e32 v11, 0xffff, v35
	v_or_b32_e32 v22, v0, v5
	v_or_b32_e32 v37, v12, v38
	;; [unrolled: 1-line block ×4, first 2 shown]
	s_and_saveexec_b32 s16, vcc_lo
	s_cbranch_execz .LBB310_1393
; %bb.1392:                             ;   in Loop: Header=BB310_1062 Depth=1
	v_cmp_lt_i32_e64 s4, v18, v36
	v_cndmask_b32_e64 v22, 0, v38, s4
	v_cmp_lt_i32_e64 s4, v100, v36
	v_cndmask_b32_e64 v12, 0, v12, s4
	v_cmp_lt_i32_e64 s4, v99, v36
	v_or_b32_e32 v37, v22, v12
	v_cndmask_b32_e64 v5, 0, v5, s4
	v_cmp_lt_i32_e64 s4, v98, v36
	v_cndmask_b32_e64 v0, 0, v0, s4
	v_cmp_lt_i32_e64 s4, v97, v36
	v_or_b32_e32 v22, v5, v0
	;; [unrolled: 5-line block ×3, first 2 shown]
	v_cndmask_b32_e64 v11, 0, v11, s4
	v_cmp_lt_i32_e64 s4, v86, v36
	v_cndmask_b32_e64 v4, 0, v4, s4
	v_or_b32_e32 v27, v11, v4
.LBB310_1393:                           ;   in Loop: Header=BB310_1062 Depth=1
	s_or_b32 exec_lo, exec_lo, s16
	;;#ASMSTART
	v_pk_mul_f16 v0, v85, v37;

	;;#ASMEND
	;;#ASMSTART
	v_pk_mul_f16 v4, v84, v22;

	;;#ASMEND
	;; [unrolled: 4-line block ×4, first 2 shown]
	;;#ASMSTART
	v_pk_add_f16 v0, v0, v4;

	;;#ASMEND
	;;#ASMSTART
	v_pk_add_f16 v0, v0, v5;

	;;#ASMEND
	;; [unrolled: 4-line block ×3, first 2 shown]
	v_and_b32_e32 v4, 0xffff, v0
	v_lshrrev_b32_e32 v0, 16, v0
	;;#ASMSTART
	v_cvt_f32_f16 v115, v4;
	;;#ASMEND
	;;#ASMSTART
	v_cvt_f32_f16 v116, v0;
	;;#ASMEND
	flat_load_dwordx2 v[11:12], v[9:10] offset:1280
	flat_load_dword v4, v[72:73]
	v_mov_b32_e32 v5, 0
	v_mov_b32_e32 v6, 0
	s_waitcnt vmcnt(1) lgkmcnt(1)
	v_cmp_ne_u16_sdwa s4, v11, v1 src0_sel:BYTE_0 src1_sel:DWORD
	s_and_saveexec_b32 s16, s4
	s_cbranch_execz .LBB310_1401
; %bb.1394:                             ;   in Loop: Header=BB310_1062 Depth=1
	v_cmp_ne_u16_sdwa s4, v11, v17 src0_sel:BYTE_0 src1_sel:DWORD
	v_mov_b32_e32 v6, 0x8000
	s_and_saveexec_b32 s17, s4
	s_cbranch_execz .LBB310_1400
; %bb.1395:                             ;   in Loop: Header=BB310_1062 Depth=1
	v_and_b32_e32 v22, 0x7f, v11
	v_mov_b32_e32 v6, 0x7c01
	s_mov_b32 s18, exec_lo
	v_cmpx_ne_u32_e32 0x7f, v22
	s_cbranch_execz .LBB310_1399
; %bb.1396:                             ;   in Loop: Header=BB310_1062 Depth=1
	v_and_b32_e32 v0, 7, v11
	v_lshrrev_b32_e32 v6, 3, v22
	s_mov_b32 s20, exec_lo
	v_cmpx_gt_u32_e32 8, v22
; %bb.1397:                             ;   in Loop: Header=BB310_1062 Depth=1
	v_ffbh_u32_e32 v0, v0
	v_min_u32_e32 v0, 32, v0
	v_subrev_nc_u32_e32 v6, 28, v0
	v_lshlrev_b64 v[26:27], v6, v[11:12]
	v_sub_nc_u32_e32 v6, 29, v0
	v_and_b32_e32 v0, 7, v26
; %bb.1398:                             ;   in Loop: Header=BB310_1062 Depth=1
	s_or_b32 exec_lo, exec_lo, s20
	v_lshlrev_b32_e32 v22, 8, v11
	v_lshl_add_u32 v6, v6, 10, 0x2000
	v_lshlrev_b32_e32 v0, 7, v0
	v_and_b32_e32 v22, 0x8000, v22
	v_and_b32_e32 v6, 0xfc00, v6
	v_or3_b32 v6, v22, v6, v0
.LBB310_1399:                           ;   in Loop: Header=BB310_1062 Depth=1
	s_or_b32 exec_lo, exec_lo, s18
.LBB310_1400:                           ;   in Loop: Header=BB310_1062 Depth=1
	s_or_b32 exec_lo, exec_lo, s17
.LBB310_1401:                           ;   in Loop: Header=BB310_1062 Depth=1
	s_or_b32 exec_lo, exec_lo, s16
	v_lshrrev_b16 v0, 8, v11
	s_mov_b32 s16, exec_lo
	v_cmpx_ne_u16_e32 0, v0
	s_cbranch_execz .LBB310_1409
; %bb.1402:                             ;   in Loop: Header=BB310_1062 Depth=1
	v_bfrev_b32_e32 v5, 1
	s_mov_b32 s17, exec_lo
	v_cmpx_ne_u16_e32 0x80, v0
	s_cbranch_execz .LBB310_1408
; %bb.1403:                             ;   in Loop: Header=BB310_1062 Depth=1
	v_and_b32_sdwa v26, v0, v53 dst_sel:DWORD dst_unused:UNUSED_PAD src0_sel:WORD_0 src1_sel:DWORD
	v_mov_b32_e32 v5, 0x7c010000
	s_mov_b32 s18, exec_lo
	v_cmpx_ne_u32_e32 0x7f, v26
	s_cbranch_execz .LBB310_1407
; %bb.1404:                             ;   in Loop: Header=BB310_1062 Depth=1
	v_and_b32_sdwa v5, v0, v54 dst_sel:DWORD dst_unused:UNUSED_PAD src0_sel:WORD_0 src1_sel:DWORD
	v_lshrrev_b32_e32 v22, 3, v26
	s_mov_b32 s20, exec_lo
	v_cmpx_gt_u32_e32 8, v26
; %bb.1405:                             ;   in Loop: Header=BB310_1062 Depth=1
	v_ffbh_u32_e32 v5, v5
	v_min_u32_e32 v5, 32, v5
	v_subrev_nc_u32_e32 v22, 28, v5
	v_lshlrev_b64 v[26:27], v22, v[0:1]
	v_sub_nc_u32_e32 v22, 29, v5
	v_and_b32_e32 v5, 7, v26
; %bb.1406:                             ;   in Loop: Header=BB310_1062 Depth=1
	s_or_b32 exec_lo, exec_lo, s20
	v_lshlrev_b32_sdwa v0, v71, v0 dst_sel:DWORD dst_unused:UNUSED_PAD src0_sel:DWORD src1_sel:WORD_0
	v_lshl_add_u32 v22, v22, 10, 0x2000
	v_lshlrev_b32_e32 v5, 23, v5
	v_and_or_b32 v0, 0x8000, v0, v22
	v_lshl_or_b32 v5, v0, 16, v5
.LBB310_1407:                           ;   in Loop: Header=BB310_1062 Depth=1
	s_or_b32 exec_lo, exec_lo, s18
.LBB310_1408:                           ;   in Loop: Header=BB310_1062 Depth=1
	s_or_b32 exec_lo, exec_lo, s17
.LBB310_1409:                           ;   in Loop: Header=BB310_1062 Depth=1
	s_or_b32 exec_lo, exec_lo, s16
	v_lshrrev_b32_e32 v0, 16, v11
	v_mov_b32_e32 v22, 0
	v_mov_b32_e32 v35, 0
	v_cmp_ne_u16_sdwa s4, v0, v1 src0_sel:BYTE_0 src1_sel:DWORD
	s_and_saveexec_b32 s16, s4
	s_cbranch_execz .LBB310_1417
; %bb.1410:                             ;   in Loop: Header=BB310_1062 Depth=1
	v_cmp_ne_u16_sdwa s4, v0, v17 src0_sel:BYTE_0 src1_sel:DWORD
	v_mov_b32_e32 v35, 0x8000
	s_and_saveexec_b32 s17, s4
	s_cbranch_execz .LBB310_1416
; %bb.1411:                             ;   in Loop: Header=BB310_1062 Depth=1
	v_bfe_u32 v37, v11, 16, 7
	v_mov_b32_e32 v35, 0x7c01
	s_mov_b32 s18, exec_lo
	v_cmpx_ne_u32_e32 0x7f, v37
	s_cbranch_execz .LBB310_1415
; %bb.1412:                             ;   in Loop: Header=BB310_1062 Depth=1
	v_and_b32_e32 v26, 7, v0
	v_lshrrev_b32_e32 v27, 3, v37
	s_mov_b32 s20, exec_lo
	v_cmpx_gt_u32_e32 8, v37
; %bb.1413:                             ;   in Loop: Header=BB310_1062 Depth=1
	v_ffbh_u32_e32 v26, v26
	v_min_u32_e32 v35, 32, v26
	v_subrev_nc_u32_e32 v26, 28, v35
	v_lshlrev_b64 v[26:27], v26, v[0:1]
	v_sub_nc_u32_e32 v27, 29, v35
	v_and_b32_e32 v26, 7, v26
; %bb.1414:                             ;   in Loop: Header=BB310_1062 Depth=1
	s_or_b32 exec_lo, exec_lo, s20
	v_lshlrev_b32_e32 v0, 8, v0
	v_lshl_add_u32 v27, v27, 10, 0x2000
	v_lshlrev_b32_e32 v26, 7, v26
	v_and_b32_e32 v0, 0x8000, v0
	v_and_b32_e32 v27, 0xfc00, v27
	v_or3_b32 v35, v0, v27, v26
.LBB310_1415:                           ;   in Loop: Header=BB310_1062 Depth=1
	s_or_b32 exec_lo, exec_lo, s18
.LBB310_1416:                           ;   in Loop: Header=BB310_1062 Depth=1
	s_or_b32 exec_lo, exec_lo, s17
.LBB310_1417:                           ;   in Loop: Header=BB310_1062 Depth=1
	s_or_b32 exec_lo, exec_lo, s16
	s_mov_b32 s16, exec_lo
	v_cmpx_lt_u32_e32 0xffffff, v11
	s_cbranch_execz .LBB310_1425
; %bb.1418:                             ;   in Loop: Header=BB310_1062 Depth=1
	v_lshrrev_b32_e32 v0, 24, v11
	v_bfrev_b32_e32 v22, 1
	s_mov_b32 s17, exec_lo
	v_cmpx_ne_u32_e32 0x80, v0
	s_cbranch_execz .LBB310_1424
; %bb.1419:                             ;   in Loop: Header=BB310_1062 Depth=1
	v_and_b32_e32 v27, 0x7f, v0
	v_mov_b32_e32 v22, 0x7c010000
	s_mov_b32 s18, exec_lo
	v_cmpx_ne_u32_e32 0x7f, v27
	s_cbranch_execz .LBB310_1423
; %bb.1420:                             ;   in Loop: Header=BB310_1062 Depth=1
	v_and_b32_e32 v22, 7, v0
	v_lshrrev_b32_e32 v26, 3, v27
	s_mov_b32 s20, exec_lo
	v_cmpx_gt_u32_e32 8, v27
; %bb.1421:                             ;   in Loop: Header=BB310_1062 Depth=1
	v_ffbh_u32_e32 v22, v22
	v_min_u32_e32 v22, 32, v22
	v_subrev_nc_u32_e32 v26, 28, v22
	v_lshlrev_b64 v[37:38], v26, v[0:1]
	v_sub_nc_u32_e32 v26, 29, v22
	v_and_b32_e32 v22, 7, v37
; %bb.1422:                             ;   in Loop: Header=BB310_1062 Depth=1
	s_or_b32 exec_lo, exec_lo, s20
	v_lshlrev_b32_e32 v0, 8, v0
	v_lshl_add_u32 v26, v26, 10, 0x2000
	v_lshlrev_b32_e32 v22, 23, v22
	v_and_or_b32 v0, 0x8000, v0, v26
	v_lshl_or_b32 v22, v0, 16, v22
.LBB310_1423:                           ;   in Loop: Header=BB310_1062 Depth=1
	s_or_b32 exec_lo, exec_lo, s18
.LBB310_1424:                           ;   in Loop: Header=BB310_1062 Depth=1
	s_or_b32 exec_lo, exec_lo, s17
.LBB310_1425:                           ;   in Loop: Header=BB310_1062 Depth=1
	s_or_b32 exec_lo, exec_lo, s16
	v_mov_b32_e32 v0, v12
	v_cmp_ne_u16_sdwa s4, v12, v1 src0_sel:BYTE_0 src1_sel:DWORD
	v_mov_b32_e32 v26, 0
	v_mov_b32_e32 v27, 0
	s_and_saveexec_b32 s16, s4
	s_cbranch_execz .LBB310_1433
; %bb.1426:                             ;   in Loop: Header=BB310_1062 Depth=1
	v_cmp_ne_u16_sdwa s4, v12, v17 src0_sel:BYTE_0 src1_sel:DWORD
	v_mov_b32_e32 v27, 0x8000
	s_and_saveexec_b32 s17, s4
	s_cbranch_execz .LBB310_1432
; %bb.1427:                             ;   in Loop: Header=BB310_1062 Depth=1
	v_and_b32_e32 v38, 0x7f, v12
	v_mov_b32_e32 v27, 0x7c01
	s_mov_b32 s18, exec_lo
	v_cmpx_ne_u32_e32 0x7f, v38
	s_cbranch_execz .LBB310_1431
; %bb.1428:                             ;   in Loop: Header=BB310_1062 Depth=1
	v_and_b32_e32 v27, 7, v12
	v_lshrrev_b32_e32 v37, 3, v38
	s_mov_b32 s20, exec_lo
	v_cmpx_gt_u32_e32 8, v38
; %bb.1429:                             ;   in Loop: Header=BB310_1062 Depth=1
	v_ffbh_u32_e32 v27, v27
	v_min_u32_e32 v27, 32, v27
	v_subrev_nc_u32_e32 v37, 28, v27
	v_lshlrev_b64 v[48:49], v37, v[0:1]
	v_sub_nc_u32_e32 v37, 29, v27
	v_and_b32_e32 v27, 7, v48
; %bb.1430:                             ;   in Loop: Header=BB310_1062 Depth=1
	s_or_b32 exec_lo, exec_lo, s20
	v_lshlrev_b32_e32 v38, 8, v12
	v_lshl_add_u32 v37, v37, 10, 0x2000
	v_lshlrev_b32_e32 v27, 7, v27
	v_and_b32_e32 v38, 0x8000, v38
	v_and_b32_e32 v37, 0xfc00, v37
	v_or3_b32 v27, v38, v37, v27
.LBB310_1431:                           ;   in Loop: Header=BB310_1062 Depth=1
	s_or_b32 exec_lo, exec_lo, s18
.LBB310_1432:                           ;   in Loop: Header=BB310_1062 Depth=1
	s_or_b32 exec_lo, exec_lo, s17
.LBB310_1433:                           ;   in Loop: Header=BB310_1062 Depth=1
	s_or_b32 exec_lo, exec_lo, s16
	v_lshrrev_b16 v0, 8, v0
	v_mov_b32_e32 v37, 0
	s_mov_b32 s16, exec_lo
	v_cmpx_ne_u16_e32 0, v0
	s_cbranch_execz .LBB310_1441
; %bb.1434:                             ;   in Loop: Header=BB310_1062 Depth=1
	v_bfrev_b32_e32 v37, 1
	s_mov_b32 s17, exec_lo
	v_cmpx_ne_u16_e32 0x80, v0
	s_cbranch_execz .LBB310_1440
; %bb.1435:                             ;   in Loop: Header=BB310_1062 Depth=1
	v_and_b32_sdwa v48, v0, v53 dst_sel:DWORD dst_unused:UNUSED_PAD src0_sel:WORD_0 src1_sel:DWORD
	v_mov_b32_e32 v37, 0x7c010000
	s_mov_b32 s18, exec_lo
	v_cmpx_ne_u32_e32 0x7f, v48
	s_cbranch_execz .LBB310_1439
; %bb.1436:                             ;   in Loop: Header=BB310_1062 Depth=1
	v_and_b32_sdwa v37, v0, v54 dst_sel:DWORD dst_unused:UNUSED_PAD src0_sel:WORD_0 src1_sel:DWORD
	v_lshrrev_b32_e32 v38, 3, v48
	s_mov_b32 s20, exec_lo
	v_cmpx_gt_u32_e32 8, v48
; %bb.1437:                             ;   in Loop: Header=BB310_1062 Depth=1
	v_ffbh_u32_e32 v37, v37
	v_min_u32_e32 v48, 32, v37
	v_subrev_nc_u32_e32 v37, 28, v48
	v_lshlrev_b64 v[37:38], v37, v[0:1]
	v_sub_nc_u32_e32 v38, 29, v48
	v_and_b32_e32 v37, 7, v37
; %bb.1438:                             ;   in Loop: Header=BB310_1062 Depth=1
	s_or_b32 exec_lo, exec_lo, s20
	v_lshlrev_b32_sdwa v0, v71, v0 dst_sel:DWORD dst_unused:UNUSED_PAD src0_sel:DWORD src1_sel:WORD_0
	v_lshl_add_u32 v38, v38, 10, 0x2000
	v_lshlrev_b32_e32 v37, 23, v37
	v_and_or_b32 v0, 0x8000, v0, v38
	v_lshl_or_b32 v37, v0, 16, v37
.LBB310_1439:                           ;   in Loop: Header=BB310_1062 Depth=1
	s_or_b32 exec_lo, exec_lo, s18
.LBB310_1440:                           ;   in Loop: Header=BB310_1062 Depth=1
	s_or_b32 exec_lo, exec_lo, s17
.LBB310_1441:                           ;   in Loop: Header=BB310_1062 Depth=1
	s_or_b32 exec_lo, exec_lo, s16
	v_lshrrev_b32_e32 v0, 16, v12
	v_cmp_ne_u16_sdwa s4, v0, v1 src0_sel:BYTE_0 src1_sel:DWORD
	s_and_saveexec_b32 s16, s4
	s_cbranch_execz .LBB310_1449
; %bb.1442:                             ;   in Loop: Header=BB310_1062 Depth=1
	v_cmp_ne_u16_sdwa s4, v0, v17 src0_sel:BYTE_0 src1_sel:DWORD
	v_mov_b32_e32 v26, 0x8000
	s_and_saveexec_b32 s17, s4
	s_cbranch_execz .LBB310_1448
; %bb.1443:                             ;   in Loop: Header=BB310_1062 Depth=1
	v_bfe_u32 v48, v12, 16, 7
	v_mov_b32_e32 v26, 0x7c01
	s_mov_b32 s18, exec_lo
	v_cmpx_ne_u32_e32 0x7f, v48
	s_cbranch_execz .LBB310_1447
; %bb.1444:                             ;   in Loop: Header=BB310_1062 Depth=1
	v_and_b32_e32 v26, 7, v0
	v_lshrrev_b32_e32 v38, 3, v48
	s_mov_b32 s20, exec_lo
	v_cmpx_gt_u32_e32 8, v48
; %bb.1445:                             ;   in Loop: Header=BB310_1062 Depth=1
	v_ffbh_u32_e32 v26, v26
	v_min_u32_e32 v26, 32, v26
	v_subrev_nc_u32_e32 v38, 28, v26
	v_lshlrev_b64 v[48:49], v38, v[0:1]
	v_sub_nc_u32_e32 v38, 29, v26
	v_and_b32_e32 v26, 7, v48
; %bb.1446:                             ;   in Loop: Header=BB310_1062 Depth=1
	s_or_b32 exec_lo, exec_lo, s20
	v_lshlrev_b32_e32 v0, 8, v0
	v_lshl_add_u32 v38, v38, 10, 0x2000
	v_lshlrev_b32_e32 v26, 7, v26
	v_and_b32_e32 v0, 0x8000, v0
	v_and_b32_e32 v38, 0xfc00, v38
	v_or3_b32 v26, v0, v38, v26
.LBB310_1447:                           ;   in Loop: Header=BB310_1062 Depth=1
	s_or_b32 exec_lo, exec_lo, s18
.LBB310_1448:                           ;   in Loop: Header=BB310_1062 Depth=1
	s_or_b32 exec_lo, exec_lo, s17
.LBB310_1449:                           ;   in Loop: Header=BB310_1062 Depth=1
	s_or_b32 exec_lo, exec_lo, s16
	v_cmp_lt_u64_e64 s4, s[12:13], v[11:12]
	v_mov_b32_e32 v11, 0
	s_and_saveexec_b32 s16, s4
	s_cbranch_execz .LBB310_1457
; %bb.1450:                             ;   in Loop: Header=BB310_1062 Depth=1
	v_lshrrev_b32_e32 v0, 24, v12
	v_bfrev_b32_e32 v11, 1
	s_mov_b32 s17, exec_lo
	v_cmpx_ne_u32_e32 0x80, v0
	s_cbranch_execz .LBB310_1456
; %bb.1451:                             ;   in Loop: Header=BB310_1062 Depth=1
	v_and_b32_e32 v38, 0x7f, v0
	v_mov_b32_e32 v11, 0x7c010000
	s_mov_b32 s18, exec_lo
	v_cmpx_ne_u32_e32 0x7f, v38
	s_cbranch_execz .LBB310_1455
; %bb.1452:                             ;   in Loop: Header=BB310_1062 Depth=1
	v_and_b32_e32 v11, 7, v0
	v_lshrrev_b32_e32 v12, 3, v38
	s_mov_b32 s20, exec_lo
	v_cmpx_gt_u32_e32 8, v38
; %bb.1453:                             ;   in Loop: Header=BB310_1062 Depth=1
	v_ffbh_u32_e32 v11, v11
	v_min_u32_e32 v38, 32, v11
	v_subrev_nc_u32_e32 v11, 28, v38
	v_lshlrev_b64 v[11:12], v11, v[0:1]
	v_sub_nc_u32_e32 v12, 29, v38
	v_and_b32_e32 v11, 7, v11
; %bb.1454:                             ;   in Loop: Header=BB310_1062 Depth=1
	s_or_b32 exec_lo, exec_lo, s20
	v_lshlrev_b32_e32 v0, 8, v0
	v_lshl_add_u32 v12, v12, 10, 0x2000
	v_lshlrev_b32_e32 v11, 23, v11
	v_and_or_b32 v0, 0x8000, v0, v12
	v_lshl_or_b32 v11, v0, 16, v11
.LBB310_1455:                           ;   in Loop: Header=BB310_1062 Depth=1
	s_or_b32 exec_lo, exec_lo, s18
.LBB310_1456:                           ;   in Loop: Header=BB310_1062 Depth=1
	s_or_b32 exec_lo, exec_lo, s17
.LBB310_1457:                           ;   in Loop: Header=BB310_1062 Depth=1
	s_or_b32 exec_lo, exec_lo, s16
	v_or_b32_e32 v0, v22, v35
	s_waitcnt vmcnt(0) lgkmcnt(0)
	v_fma_mixlo_f16 v12, v4, v22, 0 op_sel:[0,1,0] op_sel_hi:[0,1,0]
	v_or_b32_e32 v6, v5, v6
	v_fma_mixlo_f16 v5, v4, v5, 0 op_sel:[0,1,0] op_sel_hi:[0,1,0]
	v_or_b32_e32 v22, v37, v27
	v_fma_mixlo_f16 v27, v4, v0, 0 op_sel_hi:[0,1,0]
	v_or_b32_e32 v26, v11, v26
	v_lshlrev_b32_e32 v0, 16, v12
	v_lshlrev_b32_e32 v12, 16, v5
	v_fma_mixlo_f16 v6, v4, v6, 0 op_sel_hi:[0,1,0]
	v_and_b32_e32 v5, 0xffff, v27
	v_fma_mixlo_f16 v27, v4, v37, 0 op_sel:[0,1,0] op_sel_hi:[0,1,0]
	v_fma_mixlo_f16 v22, v4, v22, 0 op_sel_hi:[0,1,0]
	v_fma_mixlo_f16 v11, v4, v11, 0 op_sel:[0,1,0] op_sel_hi:[0,1,0]
	v_fma_mixlo_f16 v35, v4, v26, 0 op_sel_hi:[0,1,0]
	v_and_b32_e32 v38, 0xffff, v6
	v_lshlrev_b32_e32 v6, 16, v27
	v_and_b32_e32 v26, 0xffff, v22
	v_lshlrev_b32_e32 v4, 16, v11
	v_and_b32_e32 v11, 0xffff, v35
	v_or_b32_e32 v22, v0, v5
	v_or_b32_e32 v37, v12, v38
	;; [unrolled: 1-line block ×4, first 2 shown]
	s_and_saveexec_b32 s16, vcc_lo
	s_cbranch_execz .LBB310_1459
; %bb.1458:                             ;   in Loop: Header=BB310_1062 Depth=1
	v_cmp_lt_i32_e64 s4, v18, v36
	v_cndmask_b32_e64 v22, 0, v38, s4
	v_cmp_lt_i32_e64 s4, v100, v36
	v_cndmask_b32_e64 v12, 0, v12, s4
	v_cmp_lt_i32_e64 s4, v99, v36
	v_or_b32_e32 v37, v22, v12
	v_cndmask_b32_e64 v5, 0, v5, s4
	v_cmp_lt_i32_e64 s4, v98, v36
	v_cndmask_b32_e64 v0, 0, v0, s4
	v_cmp_lt_i32_e64 s4, v97, v36
	v_or_b32_e32 v22, v5, v0
	v_cndmask_b32_e64 v26, 0, v26, s4
	v_cmp_lt_i32_e64 s4, v96, v36
	v_cndmask_b32_e64 v6, 0, v6, s4
	v_cmp_lt_i32_e64 s4, v87, v36
	v_or_b32_e32 v35, v26, v6
	v_cndmask_b32_e64 v11, 0, v11, s4
	v_cmp_lt_i32_e64 s4, v86, v36
	v_cndmask_b32_e64 v4, 0, v4, s4
	v_or_b32_e32 v27, v11, v4
.LBB310_1459:                           ;   in Loop: Header=BB310_1062 Depth=1
	s_or_b32 exec_lo, exec_lo, s16
	;;#ASMSTART
	v_pk_mul_f16 v0, v85, v37;

	;;#ASMEND
	;;#ASMSTART
	v_pk_mul_f16 v4, v84, v22;

	;;#ASMEND
	;; [unrolled: 4-line block ×4, first 2 shown]
	;;#ASMSTART
	v_pk_add_f16 v0, v0, v4;

	;;#ASMEND
	;;#ASMSTART
	v_pk_add_f16 v0, v0, v5;

	;;#ASMEND
	;; [unrolled: 4-line block ×3, first 2 shown]
	v_and_b32_e32 v4, 0xffff, v0
	v_lshrrev_b32_e32 v0, 16, v0
	;;#ASMSTART
	v_cvt_f32_f16 v117, v4;
	;;#ASMEND
	;;#ASMSTART
	v_cvt_f32_f16 v118, v0;
	;;#ASMEND
	flat_load_dwordx2 v[11:12], v[9:10] offset:1536
	flat_load_dword v4, v[72:73]
	v_mov_b32_e32 v5, 0
	v_mov_b32_e32 v6, 0
	s_waitcnt vmcnt(1) lgkmcnt(1)
	v_cmp_ne_u16_sdwa s4, v11, v1 src0_sel:BYTE_0 src1_sel:DWORD
	s_and_saveexec_b32 s16, s4
	s_cbranch_execz .LBB310_1467
; %bb.1460:                             ;   in Loop: Header=BB310_1062 Depth=1
	v_cmp_ne_u16_sdwa s4, v11, v17 src0_sel:BYTE_0 src1_sel:DWORD
	v_mov_b32_e32 v6, 0x8000
	s_and_saveexec_b32 s17, s4
	s_cbranch_execz .LBB310_1466
; %bb.1461:                             ;   in Loop: Header=BB310_1062 Depth=1
	v_and_b32_e32 v22, 0x7f, v11
	v_mov_b32_e32 v6, 0x7c01
	s_mov_b32 s18, exec_lo
	v_cmpx_ne_u32_e32 0x7f, v22
	s_cbranch_execz .LBB310_1465
; %bb.1462:                             ;   in Loop: Header=BB310_1062 Depth=1
	v_and_b32_e32 v0, 7, v11
	v_lshrrev_b32_e32 v6, 3, v22
	s_mov_b32 s20, exec_lo
	v_cmpx_gt_u32_e32 8, v22
; %bb.1463:                             ;   in Loop: Header=BB310_1062 Depth=1
	v_ffbh_u32_e32 v0, v0
	v_min_u32_e32 v0, 32, v0
	v_subrev_nc_u32_e32 v6, 28, v0
	v_lshlrev_b64 v[26:27], v6, v[11:12]
	v_sub_nc_u32_e32 v6, 29, v0
	v_and_b32_e32 v0, 7, v26
; %bb.1464:                             ;   in Loop: Header=BB310_1062 Depth=1
	s_or_b32 exec_lo, exec_lo, s20
	v_lshlrev_b32_e32 v22, 8, v11
	v_lshl_add_u32 v6, v6, 10, 0x2000
	v_lshlrev_b32_e32 v0, 7, v0
	v_and_b32_e32 v22, 0x8000, v22
	v_and_b32_e32 v6, 0xfc00, v6
	v_or3_b32 v6, v22, v6, v0
.LBB310_1465:                           ;   in Loop: Header=BB310_1062 Depth=1
	s_or_b32 exec_lo, exec_lo, s18
.LBB310_1466:                           ;   in Loop: Header=BB310_1062 Depth=1
	s_or_b32 exec_lo, exec_lo, s17
.LBB310_1467:                           ;   in Loop: Header=BB310_1062 Depth=1
	s_or_b32 exec_lo, exec_lo, s16
	v_lshrrev_b16 v0, 8, v11
	s_mov_b32 s16, exec_lo
	v_cmpx_ne_u16_e32 0, v0
	s_cbranch_execz .LBB310_1475
; %bb.1468:                             ;   in Loop: Header=BB310_1062 Depth=1
	v_bfrev_b32_e32 v5, 1
	s_mov_b32 s17, exec_lo
	v_cmpx_ne_u16_e32 0x80, v0
	s_cbranch_execz .LBB310_1474
; %bb.1469:                             ;   in Loop: Header=BB310_1062 Depth=1
	v_and_b32_sdwa v26, v0, v53 dst_sel:DWORD dst_unused:UNUSED_PAD src0_sel:WORD_0 src1_sel:DWORD
	v_mov_b32_e32 v5, 0x7c010000
	s_mov_b32 s18, exec_lo
	v_cmpx_ne_u32_e32 0x7f, v26
	s_cbranch_execz .LBB310_1473
; %bb.1470:                             ;   in Loop: Header=BB310_1062 Depth=1
	v_and_b32_sdwa v5, v0, v54 dst_sel:DWORD dst_unused:UNUSED_PAD src0_sel:WORD_0 src1_sel:DWORD
	v_lshrrev_b32_e32 v22, 3, v26
	s_mov_b32 s20, exec_lo
	v_cmpx_gt_u32_e32 8, v26
; %bb.1471:                             ;   in Loop: Header=BB310_1062 Depth=1
	v_ffbh_u32_e32 v5, v5
	v_min_u32_e32 v5, 32, v5
	v_subrev_nc_u32_e32 v22, 28, v5
	v_lshlrev_b64 v[26:27], v22, v[0:1]
	v_sub_nc_u32_e32 v22, 29, v5
	v_and_b32_e32 v5, 7, v26
; %bb.1472:                             ;   in Loop: Header=BB310_1062 Depth=1
	s_or_b32 exec_lo, exec_lo, s20
	v_lshlrev_b32_sdwa v0, v71, v0 dst_sel:DWORD dst_unused:UNUSED_PAD src0_sel:DWORD src1_sel:WORD_0
	v_lshl_add_u32 v22, v22, 10, 0x2000
	v_lshlrev_b32_e32 v5, 23, v5
	v_and_or_b32 v0, 0x8000, v0, v22
	v_lshl_or_b32 v5, v0, 16, v5
.LBB310_1473:                           ;   in Loop: Header=BB310_1062 Depth=1
	s_or_b32 exec_lo, exec_lo, s18
.LBB310_1474:                           ;   in Loop: Header=BB310_1062 Depth=1
	s_or_b32 exec_lo, exec_lo, s17
.LBB310_1475:                           ;   in Loop: Header=BB310_1062 Depth=1
	s_or_b32 exec_lo, exec_lo, s16
	v_lshrrev_b32_e32 v0, 16, v11
	v_mov_b32_e32 v22, 0
	v_mov_b32_e32 v35, 0
	v_cmp_ne_u16_sdwa s4, v0, v1 src0_sel:BYTE_0 src1_sel:DWORD
	s_and_saveexec_b32 s16, s4
	s_cbranch_execz .LBB310_1483
; %bb.1476:                             ;   in Loop: Header=BB310_1062 Depth=1
	v_cmp_ne_u16_sdwa s4, v0, v17 src0_sel:BYTE_0 src1_sel:DWORD
	v_mov_b32_e32 v35, 0x8000
	s_and_saveexec_b32 s17, s4
	s_cbranch_execz .LBB310_1482
; %bb.1477:                             ;   in Loop: Header=BB310_1062 Depth=1
	v_bfe_u32 v37, v11, 16, 7
	v_mov_b32_e32 v35, 0x7c01
	s_mov_b32 s18, exec_lo
	v_cmpx_ne_u32_e32 0x7f, v37
	s_cbranch_execz .LBB310_1481
; %bb.1478:                             ;   in Loop: Header=BB310_1062 Depth=1
	v_and_b32_e32 v26, 7, v0
	v_lshrrev_b32_e32 v27, 3, v37
	s_mov_b32 s20, exec_lo
	v_cmpx_gt_u32_e32 8, v37
; %bb.1479:                             ;   in Loop: Header=BB310_1062 Depth=1
	v_ffbh_u32_e32 v26, v26
	v_min_u32_e32 v35, 32, v26
	v_subrev_nc_u32_e32 v26, 28, v35
	v_lshlrev_b64 v[26:27], v26, v[0:1]
	v_sub_nc_u32_e32 v27, 29, v35
	v_and_b32_e32 v26, 7, v26
; %bb.1480:                             ;   in Loop: Header=BB310_1062 Depth=1
	s_or_b32 exec_lo, exec_lo, s20
	v_lshlrev_b32_e32 v0, 8, v0
	v_lshl_add_u32 v27, v27, 10, 0x2000
	v_lshlrev_b32_e32 v26, 7, v26
	v_and_b32_e32 v0, 0x8000, v0
	v_and_b32_e32 v27, 0xfc00, v27
	v_or3_b32 v35, v0, v27, v26
.LBB310_1481:                           ;   in Loop: Header=BB310_1062 Depth=1
	s_or_b32 exec_lo, exec_lo, s18
.LBB310_1482:                           ;   in Loop: Header=BB310_1062 Depth=1
	s_or_b32 exec_lo, exec_lo, s17
.LBB310_1483:                           ;   in Loop: Header=BB310_1062 Depth=1
	s_or_b32 exec_lo, exec_lo, s16
	s_mov_b32 s16, exec_lo
	v_cmpx_lt_u32_e32 0xffffff, v11
	s_cbranch_execz .LBB310_1491
; %bb.1484:                             ;   in Loop: Header=BB310_1062 Depth=1
	v_lshrrev_b32_e32 v0, 24, v11
	v_bfrev_b32_e32 v22, 1
	s_mov_b32 s17, exec_lo
	v_cmpx_ne_u32_e32 0x80, v0
	s_cbranch_execz .LBB310_1490
; %bb.1485:                             ;   in Loop: Header=BB310_1062 Depth=1
	v_and_b32_e32 v27, 0x7f, v0
	v_mov_b32_e32 v22, 0x7c010000
	s_mov_b32 s18, exec_lo
	v_cmpx_ne_u32_e32 0x7f, v27
	s_cbranch_execz .LBB310_1489
; %bb.1486:                             ;   in Loop: Header=BB310_1062 Depth=1
	v_and_b32_e32 v22, 7, v0
	v_lshrrev_b32_e32 v26, 3, v27
	s_mov_b32 s20, exec_lo
	v_cmpx_gt_u32_e32 8, v27
; %bb.1487:                             ;   in Loop: Header=BB310_1062 Depth=1
	v_ffbh_u32_e32 v22, v22
	v_min_u32_e32 v22, 32, v22
	v_subrev_nc_u32_e32 v26, 28, v22
	v_lshlrev_b64 v[37:38], v26, v[0:1]
	v_sub_nc_u32_e32 v26, 29, v22
	v_and_b32_e32 v22, 7, v37
; %bb.1488:                             ;   in Loop: Header=BB310_1062 Depth=1
	s_or_b32 exec_lo, exec_lo, s20
	v_lshlrev_b32_e32 v0, 8, v0
	v_lshl_add_u32 v26, v26, 10, 0x2000
	v_lshlrev_b32_e32 v22, 23, v22
	v_and_or_b32 v0, 0x8000, v0, v26
	v_lshl_or_b32 v22, v0, 16, v22
.LBB310_1489:                           ;   in Loop: Header=BB310_1062 Depth=1
	s_or_b32 exec_lo, exec_lo, s18
.LBB310_1490:                           ;   in Loop: Header=BB310_1062 Depth=1
	s_or_b32 exec_lo, exec_lo, s17
.LBB310_1491:                           ;   in Loop: Header=BB310_1062 Depth=1
	s_or_b32 exec_lo, exec_lo, s16
	v_mov_b32_e32 v0, v12
	v_cmp_ne_u16_sdwa s4, v12, v1 src0_sel:BYTE_0 src1_sel:DWORD
	v_mov_b32_e32 v26, 0
	v_mov_b32_e32 v27, 0
	s_and_saveexec_b32 s16, s4
	s_cbranch_execz .LBB310_1499
; %bb.1492:                             ;   in Loop: Header=BB310_1062 Depth=1
	v_cmp_ne_u16_sdwa s4, v12, v17 src0_sel:BYTE_0 src1_sel:DWORD
	v_mov_b32_e32 v27, 0x8000
	s_and_saveexec_b32 s17, s4
	s_cbranch_execz .LBB310_1498
; %bb.1493:                             ;   in Loop: Header=BB310_1062 Depth=1
	v_and_b32_e32 v38, 0x7f, v12
	v_mov_b32_e32 v27, 0x7c01
	s_mov_b32 s18, exec_lo
	v_cmpx_ne_u32_e32 0x7f, v38
	s_cbranch_execz .LBB310_1497
; %bb.1494:                             ;   in Loop: Header=BB310_1062 Depth=1
	v_and_b32_e32 v27, 7, v12
	v_lshrrev_b32_e32 v37, 3, v38
	s_mov_b32 s20, exec_lo
	v_cmpx_gt_u32_e32 8, v38
; %bb.1495:                             ;   in Loop: Header=BB310_1062 Depth=1
	v_ffbh_u32_e32 v27, v27
	v_min_u32_e32 v27, 32, v27
	v_subrev_nc_u32_e32 v37, 28, v27
	v_lshlrev_b64 v[48:49], v37, v[0:1]
	v_sub_nc_u32_e32 v37, 29, v27
	v_and_b32_e32 v27, 7, v48
; %bb.1496:                             ;   in Loop: Header=BB310_1062 Depth=1
	s_or_b32 exec_lo, exec_lo, s20
	v_lshlrev_b32_e32 v38, 8, v12
	v_lshl_add_u32 v37, v37, 10, 0x2000
	v_lshlrev_b32_e32 v27, 7, v27
	v_and_b32_e32 v38, 0x8000, v38
	v_and_b32_e32 v37, 0xfc00, v37
	v_or3_b32 v27, v38, v37, v27
.LBB310_1497:                           ;   in Loop: Header=BB310_1062 Depth=1
	s_or_b32 exec_lo, exec_lo, s18
.LBB310_1498:                           ;   in Loop: Header=BB310_1062 Depth=1
	s_or_b32 exec_lo, exec_lo, s17
.LBB310_1499:                           ;   in Loop: Header=BB310_1062 Depth=1
	s_or_b32 exec_lo, exec_lo, s16
	v_lshrrev_b16 v0, 8, v0
	v_mov_b32_e32 v37, 0
	s_mov_b32 s16, exec_lo
	v_cmpx_ne_u16_e32 0, v0
	s_cbranch_execz .LBB310_1507
; %bb.1500:                             ;   in Loop: Header=BB310_1062 Depth=1
	v_bfrev_b32_e32 v37, 1
	s_mov_b32 s17, exec_lo
	v_cmpx_ne_u16_e32 0x80, v0
	s_cbranch_execz .LBB310_1506
; %bb.1501:                             ;   in Loop: Header=BB310_1062 Depth=1
	v_and_b32_sdwa v48, v0, v53 dst_sel:DWORD dst_unused:UNUSED_PAD src0_sel:WORD_0 src1_sel:DWORD
	v_mov_b32_e32 v37, 0x7c010000
	s_mov_b32 s18, exec_lo
	v_cmpx_ne_u32_e32 0x7f, v48
	s_cbranch_execz .LBB310_1505
; %bb.1502:                             ;   in Loop: Header=BB310_1062 Depth=1
	v_and_b32_sdwa v37, v0, v54 dst_sel:DWORD dst_unused:UNUSED_PAD src0_sel:WORD_0 src1_sel:DWORD
	v_lshrrev_b32_e32 v38, 3, v48
	s_mov_b32 s20, exec_lo
	v_cmpx_gt_u32_e32 8, v48
; %bb.1503:                             ;   in Loop: Header=BB310_1062 Depth=1
	v_ffbh_u32_e32 v37, v37
	v_min_u32_e32 v48, 32, v37
	v_subrev_nc_u32_e32 v37, 28, v48
	v_lshlrev_b64 v[37:38], v37, v[0:1]
	v_sub_nc_u32_e32 v38, 29, v48
	v_and_b32_e32 v37, 7, v37
; %bb.1504:                             ;   in Loop: Header=BB310_1062 Depth=1
	s_or_b32 exec_lo, exec_lo, s20
	v_lshlrev_b32_sdwa v0, v71, v0 dst_sel:DWORD dst_unused:UNUSED_PAD src0_sel:DWORD src1_sel:WORD_0
	v_lshl_add_u32 v38, v38, 10, 0x2000
	v_lshlrev_b32_e32 v37, 23, v37
	v_and_or_b32 v0, 0x8000, v0, v38
	v_lshl_or_b32 v37, v0, 16, v37
.LBB310_1505:                           ;   in Loop: Header=BB310_1062 Depth=1
	s_or_b32 exec_lo, exec_lo, s18
.LBB310_1506:                           ;   in Loop: Header=BB310_1062 Depth=1
	s_or_b32 exec_lo, exec_lo, s17
.LBB310_1507:                           ;   in Loop: Header=BB310_1062 Depth=1
	s_or_b32 exec_lo, exec_lo, s16
	v_lshrrev_b32_e32 v0, 16, v12
	v_cmp_ne_u16_sdwa s4, v0, v1 src0_sel:BYTE_0 src1_sel:DWORD
	s_and_saveexec_b32 s16, s4
	s_cbranch_execz .LBB310_1515
; %bb.1508:                             ;   in Loop: Header=BB310_1062 Depth=1
	v_cmp_ne_u16_sdwa s4, v0, v17 src0_sel:BYTE_0 src1_sel:DWORD
	v_mov_b32_e32 v26, 0x8000
	s_and_saveexec_b32 s17, s4
	s_cbranch_execz .LBB310_1514
; %bb.1509:                             ;   in Loop: Header=BB310_1062 Depth=1
	v_bfe_u32 v48, v12, 16, 7
	v_mov_b32_e32 v26, 0x7c01
	s_mov_b32 s18, exec_lo
	v_cmpx_ne_u32_e32 0x7f, v48
	s_cbranch_execz .LBB310_1513
; %bb.1510:                             ;   in Loop: Header=BB310_1062 Depth=1
	v_and_b32_e32 v26, 7, v0
	v_lshrrev_b32_e32 v38, 3, v48
	s_mov_b32 s20, exec_lo
	v_cmpx_gt_u32_e32 8, v48
; %bb.1511:                             ;   in Loop: Header=BB310_1062 Depth=1
	v_ffbh_u32_e32 v26, v26
	v_min_u32_e32 v26, 32, v26
	v_subrev_nc_u32_e32 v38, 28, v26
	v_lshlrev_b64 v[48:49], v38, v[0:1]
	v_sub_nc_u32_e32 v38, 29, v26
	v_and_b32_e32 v26, 7, v48
; %bb.1512:                             ;   in Loop: Header=BB310_1062 Depth=1
	s_or_b32 exec_lo, exec_lo, s20
	v_lshlrev_b32_e32 v0, 8, v0
	v_lshl_add_u32 v38, v38, 10, 0x2000
	v_lshlrev_b32_e32 v26, 7, v26
	v_and_b32_e32 v0, 0x8000, v0
	v_and_b32_e32 v38, 0xfc00, v38
	v_or3_b32 v26, v0, v38, v26
.LBB310_1513:                           ;   in Loop: Header=BB310_1062 Depth=1
	s_or_b32 exec_lo, exec_lo, s18
.LBB310_1514:                           ;   in Loop: Header=BB310_1062 Depth=1
	s_or_b32 exec_lo, exec_lo, s17
.LBB310_1515:                           ;   in Loop: Header=BB310_1062 Depth=1
	s_or_b32 exec_lo, exec_lo, s16
	v_cmp_lt_u64_e64 s4, s[12:13], v[11:12]
	v_mov_b32_e32 v11, 0
	s_and_saveexec_b32 s16, s4
	s_cbranch_execz .LBB310_1523
; %bb.1516:                             ;   in Loop: Header=BB310_1062 Depth=1
	v_lshrrev_b32_e32 v0, 24, v12
	v_bfrev_b32_e32 v11, 1
	s_mov_b32 s17, exec_lo
	v_cmpx_ne_u32_e32 0x80, v0
	s_cbranch_execz .LBB310_1522
; %bb.1517:                             ;   in Loop: Header=BB310_1062 Depth=1
	v_and_b32_e32 v38, 0x7f, v0
	v_mov_b32_e32 v11, 0x7c010000
	s_mov_b32 s18, exec_lo
	v_cmpx_ne_u32_e32 0x7f, v38
	s_cbranch_execz .LBB310_1521
; %bb.1518:                             ;   in Loop: Header=BB310_1062 Depth=1
	v_and_b32_e32 v11, 7, v0
	v_lshrrev_b32_e32 v12, 3, v38
	s_mov_b32 s20, exec_lo
	v_cmpx_gt_u32_e32 8, v38
; %bb.1519:                             ;   in Loop: Header=BB310_1062 Depth=1
	v_ffbh_u32_e32 v11, v11
	v_min_u32_e32 v38, 32, v11
	v_subrev_nc_u32_e32 v11, 28, v38
	v_lshlrev_b64 v[11:12], v11, v[0:1]
	v_sub_nc_u32_e32 v12, 29, v38
	v_and_b32_e32 v11, 7, v11
; %bb.1520:                             ;   in Loop: Header=BB310_1062 Depth=1
	s_or_b32 exec_lo, exec_lo, s20
	v_lshlrev_b32_e32 v0, 8, v0
	v_lshl_add_u32 v12, v12, 10, 0x2000
	v_lshlrev_b32_e32 v11, 23, v11
	v_and_or_b32 v0, 0x8000, v0, v12
	v_lshl_or_b32 v11, v0, 16, v11
.LBB310_1521:                           ;   in Loop: Header=BB310_1062 Depth=1
	s_or_b32 exec_lo, exec_lo, s18
.LBB310_1522:                           ;   in Loop: Header=BB310_1062 Depth=1
	s_or_b32 exec_lo, exec_lo, s17
.LBB310_1523:                           ;   in Loop: Header=BB310_1062 Depth=1
	s_or_b32 exec_lo, exec_lo, s16
	v_or_b32_e32 v0, v22, v35
	s_waitcnt vmcnt(0) lgkmcnt(0)
	v_fma_mixlo_f16 v12, v4, v22, 0 op_sel:[0,1,0] op_sel_hi:[0,1,0]
	v_or_b32_e32 v6, v5, v6
	v_fma_mixlo_f16 v5, v4, v5, 0 op_sel:[0,1,0] op_sel_hi:[0,1,0]
	v_or_b32_e32 v22, v37, v27
	v_fma_mixlo_f16 v27, v4, v0, 0 op_sel_hi:[0,1,0]
	v_or_b32_e32 v26, v11, v26
	v_lshlrev_b32_e32 v0, 16, v12
	v_lshlrev_b32_e32 v12, 16, v5
	v_fma_mixlo_f16 v6, v4, v6, 0 op_sel_hi:[0,1,0]
	v_and_b32_e32 v5, 0xffff, v27
	v_fma_mixlo_f16 v27, v4, v37, 0 op_sel:[0,1,0] op_sel_hi:[0,1,0]
	v_fma_mixlo_f16 v22, v4, v22, 0 op_sel_hi:[0,1,0]
	v_fma_mixlo_f16 v11, v4, v11, 0 op_sel:[0,1,0] op_sel_hi:[0,1,0]
	v_fma_mixlo_f16 v35, v4, v26, 0 op_sel_hi:[0,1,0]
	v_and_b32_e32 v38, 0xffff, v6
	v_lshlrev_b32_e32 v6, 16, v27
	v_and_b32_e32 v26, 0xffff, v22
	v_lshlrev_b32_e32 v4, 16, v11
	v_and_b32_e32 v11, 0xffff, v35
	v_or_b32_e32 v22, v0, v5
	v_or_b32_e32 v37, v12, v38
	;; [unrolled: 1-line block ×4, first 2 shown]
	s_and_saveexec_b32 s16, vcc_lo
	s_cbranch_execz .LBB310_1525
; %bb.1524:                             ;   in Loop: Header=BB310_1062 Depth=1
	v_cmp_lt_i32_e64 s4, v18, v36
	v_cndmask_b32_e64 v22, 0, v38, s4
	v_cmp_lt_i32_e64 s4, v100, v36
	v_cndmask_b32_e64 v12, 0, v12, s4
	v_cmp_lt_i32_e64 s4, v99, v36
	v_or_b32_e32 v37, v22, v12
	v_cndmask_b32_e64 v5, 0, v5, s4
	v_cmp_lt_i32_e64 s4, v98, v36
	v_cndmask_b32_e64 v0, 0, v0, s4
	v_cmp_lt_i32_e64 s4, v97, v36
	v_or_b32_e32 v22, v5, v0
	;; [unrolled: 5-line block ×3, first 2 shown]
	v_cndmask_b32_e64 v11, 0, v11, s4
	v_cmp_lt_i32_e64 s4, v86, v36
	v_cndmask_b32_e64 v4, 0, v4, s4
	v_or_b32_e32 v27, v11, v4
.LBB310_1525:                           ;   in Loop: Header=BB310_1062 Depth=1
	s_or_b32 exec_lo, exec_lo, s16
	;;#ASMSTART
	v_pk_mul_f16 v0, v85, v37;

	;;#ASMEND
	;;#ASMSTART
	v_pk_mul_f16 v4, v84, v22;

	;;#ASMEND
	;;#ASMSTART
	v_pk_mul_f16 v5, v83, v35;

	;;#ASMEND
	;;#ASMSTART
	v_pk_mul_f16 v6, v82, v27;

	;;#ASMEND
	;;#ASMSTART
	v_pk_add_f16 v0, v0, v4;

	;;#ASMEND
	;;#ASMSTART
	v_pk_add_f16 v0, v0, v5;

	;;#ASMEND
	;; [unrolled: 4-line block ×3, first 2 shown]
	v_and_b32_e32 v4, 0xffff, v0
	v_lshrrev_b32_e32 v0, 16, v0
	;;#ASMSTART
	v_cvt_f32_f16 v119, v4;
	;;#ASMEND
	;;#ASMSTART
	v_cvt_f32_f16 v40, v0;
	;;#ASMEND
	flat_load_dwordx2 v[11:12], v[9:10] offset:1792
	flat_load_dword v4, v[72:73]
	v_mov_b32_e32 v5, 0
	v_mov_b32_e32 v6, 0
	s_waitcnt vmcnt(1) lgkmcnt(1)
	v_cmp_ne_u16_sdwa s4, v11, v1 src0_sel:BYTE_0 src1_sel:DWORD
	s_and_saveexec_b32 s16, s4
	s_cbranch_execz .LBB310_1533
; %bb.1526:                             ;   in Loop: Header=BB310_1062 Depth=1
	v_cmp_ne_u16_sdwa s4, v11, v17 src0_sel:BYTE_0 src1_sel:DWORD
	v_mov_b32_e32 v6, 0x8000
	s_and_saveexec_b32 s17, s4
	s_cbranch_execz .LBB310_1532
; %bb.1527:                             ;   in Loop: Header=BB310_1062 Depth=1
	v_and_b32_e32 v22, 0x7f, v11
	v_mov_b32_e32 v6, 0x7c01
	s_mov_b32 s18, exec_lo
	v_cmpx_ne_u32_e32 0x7f, v22
	s_cbranch_execz .LBB310_1531
; %bb.1528:                             ;   in Loop: Header=BB310_1062 Depth=1
	v_and_b32_e32 v0, 7, v11
	v_lshrrev_b32_e32 v6, 3, v22
	s_mov_b32 s20, exec_lo
	v_cmpx_gt_u32_e32 8, v22
; %bb.1529:                             ;   in Loop: Header=BB310_1062 Depth=1
	v_ffbh_u32_e32 v0, v0
	v_min_u32_e32 v0, 32, v0
	v_subrev_nc_u32_e32 v6, 28, v0
	v_lshlrev_b64 v[26:27], v6, v[11:12]
	v_sub_nc_u32_e32 v6, 29, v0
	v_and_b32_e32 v0, 7, v26
; %bb.1530:                             ;   in Loop: Header=BB310_1062 Depth=1
	s_or_b32 exec_lo, exec_lo, s20
	v_lshlrev_b32_e32 v22, 8, v11
	v_lshl_add_u32 v6, v6, 10, 0x2000
	v_lshlrev_b32_e32 v0, 7, v0
	v_and_b32_e32 v22, 0x8000, v22
	v_and_b32_e32 v6, 0xfc00, v6
	v_or3_b32 v6, v22, v6, v0
.LBB310_1531:                           ;   in Loop: Header=BB310_1062 Depth=1
	s_or_b32 exec_lo, exec_lo, s18
.LBB310_1532:                           ;   in Loop: Header=BB310_1062 Depth=1
	s_or_b32 exec_lo, exec_lo, s17
.LBB310_1533:                           ;   in Loop: Header=BB310_1062 Depth=1
	s_or_b32 exec_lo, exec_lo, s16
	v_lshrrev_b16 v0, 8, v11
	s_mov_b32 s16, exec_lo
	v_cmpx_ne_u16_e32 0, v0
	s_cbranch_execz .LBB310_1541
; %bb.1534:                             ;   in Loop: Header=BB310_1062 Depth=1
	v_bfrev_b32_e32 v5, 1
	s_mov_b32 s17, exec_lo
	v_cmpx_ne_u16_e32 0x80, v0
	s_cbranch_execz .LBB310_1540
; %bb.1535:                             ;   in Loop: Header=BB310_1062 Depth=1
	v_and_b32_sdwa v26, v0, v53 dst_sel:DWORD dst_unused:UNUSED_PAD src0_sel:WORD_0 src1_sel:DWORD
	v_mov_b32_e32 v5, 0x7c010000
	s_mov_b32 s18, exec_lo
	v_cmpx_ne_u32_e32 0x7f, v26
	s_cbranch_execz .LBB310_1539
; %bb.1536:                             ;   in Loop: Header=BB310_1062 Depth=1
	v_and_b32_sdwa v5, v0, v54 dst_sel:DWORD dst_unused:UNUSED_PAD src0_sel:WORD_0 src1_sel:DWORD
	v_lshrrev_b32_e32 v22, 3, v26
	s_mov_b32 s20, exec_lo
	v_cmpx_gt_u32_e32 8, v26
; %bb.1537:                             ;   in Loop: Header=BB310_1062 Depth=1
	v_ffbh_u32_e32 v5, v5
	v_min_u32_e32 v5, 32, v5
	v_subrev_nc_u32_e32 v22, 28, v5
	v_lshlrev_b64 v[26:27], v22, v[0:1]
	v_sub_nc_u32_e32 v22, 29, v5
	v_and_b32_e32 v5, 7, v26
; %bb.1538:                             ;   in Loop: Header=BB310_1062 Depth=1
	s_or_b32 exec_lo, exec_lo, s20
	v_lshlrev_b32_sdwa v0, v71, v0 dst_sel:DWORD dst_unused:UNUSED_PAD src0_sel:DWORD src1_sel:WORD_0
	v_lshl_add_u32 v22, v22, 10, 0x2000
	v_lshlrev_b32_e32 v5, 23, v5
	v_and_or_b32 v0, 0x8000, v0, v22
	v_lshl_or_b32 v5, v0, 16, v5
.LBB310_1539:                           ;   in Loop: Header=BB310_1062 Depth=1
	s_or_b32 exec_lo, exec_lo, s18
.LBB310_1540:                           ;   in Loop: Header=BB310_1062 Depth=1
	s_or_b32 exec_lo, exec_lo, s17
.LBB310_1541:                           ;   in Loop: Header=BB310_1062 Depth=1
	s_or_b32 exec_lo, exec_lo, s16
	v_lshrrev_b32_e32 v0, 16, v11
	v_mov_b32_e32 v22, 0
	v_mov_b32_e32 v35, 0
	v_cmp_ne_u16_sdwa s4, v0, v1 src0_sel:BYTE_0 src1_sel:DWORD
	s_and_saveexec_b32 s16, s4
	s_cbranch_execz .LBB310_1549
; %bb.1542:                             ;   in Loop: Header=BB310_1062 Depth=1
	v_cmp_ne_u16_sdwa s4, v0, v17 src0_sel:BYTE_0 src1_sel:DWORD
	v_mov_b32_e32 v35, 0x8000
	s_and_saveexec_b32 s17, s4
	s_cbranch_execz .LBB310_1548
; %bb.1543:                             ;   in Loop: Header=BB310_1062 Depth=1
	v_bfe_u32 v37, v11, 16, 7
	v_mov_b32_e32 v35, 0x7c01
	s_mov_b32 s18, exec_lo
	v_cmpx_ne_u32_e32 0x7f, v37
	s_cbranch_execz .LBB310_1547
; %bb.1544:                             ;   in Loop: Header=BB310_1062 Depth=1
	v_and_b32_e32 v26, 7, v0
	v_lshrrev_b32_e32 v27, 3, v37
	s_mov_b32 s20, exec_lo
	v_cmpx_gt_u32_e32 8, v37
; %bb.1545:                             ;   in Loop: Header=BB310_1062 Depth=1
	v_ffbh_u32_e32 v26, v26
	v_min_u32_e32 v35, 32, v26
	v_subrev_nc_u32_e32 v26, 28, v35
	v_lshlrev_b64 v[26:27], v26, v[0:1]
	v_sub_nc_u32_e32 v27, 29, v35
	v_and_b32_e32 v26, 7, v26
; %bb.1546:                             ;   in Loop: Header=BB310_1062 Depth=1
	s_or_b32 exec_lo, exec_lo, s20
	v_lshlrev_b32_e32 v0, 8, v0
	v_lshl_add_u32 v27, v27, 10, 0x2000
	v_lshlrev_b32_e32 v26, 7, v26
	v_and_b32_e32 v0, 0x8000, v0
	v_and_b32_e32 v27, 0xfc00, v27
	v_or3_b32 v35, v0, v27, v26
.LBB310_1547:                           ;   in Loop: Header=BB310_1062 Depth=1
	s_or_b32 exec_lo, exec_lo, s18
.LBB310_1548:                           ;   in Loop: Header=BB310_1062 Depth=1
	s_or_b32 exec_lo, exec_lo, s17
.LBB310_1549:                           ;   in Loop: Header=BB310_1062 Depth=1
	s_or_b32 exec_lo, exec_lo, s16
	s_mov_b32 s16, exec_lo
	v_cmpx_lt_u32_e32 0xffffff, v11
	s_cbranch_execz .LBB310_1557
; %bb.1550:                             ;   in Loop: Header=BB310_1062 Depth=1
	v_lshrrev_b32_e32 v0, 24, v11
	v_bfrev_b32_e32 v22, 1
	s_mov_b32 s17, exec_lo
	v_cmpx_ne_u32_e32 0x80, v0
	s_cbranch_execz .LBB310_1556
; %bb.1551:                             ;   in Loop: Header=BB310_1062 Depth=1
	v_and_b32_e32 v27, 0x7f, v0
	v_mov_b32_e32 v22, 0x7c010000
	s_mov_b32 s18, exec_lo
	v_cmpx_ne_u32_e32 0x7f, v27
	s_cbranch_execz .LBB310_1555
; %bb.1552:                             ;   in Loop: Header=BB310_1062 Depth=1
	v_and_b32_e32 v22, 7, v0
	v_lshrrev_b32_e32 v26, 3, v27
	s_mov_b32 s20, exec_lo
	v_cmpx_gt_u32_e32 8, v27
; %bb.1553:                             ;   in Loop: Header=BB310_1062 Depth=1
	v_ffbh_u32_e32 v22, v22
	v_min_u32_e32 v22, 32, v22
	v_subrev_nc_u32_e32 v26, 28, v22
	v_lshlrev_b64 v[37:38], v26, v[0:1]
	v_sub_nc_u32_e32 v26, 29, v22
	v_and_b32_e32 v22, 7, v37
; %bb.1554:                             ;   in Loop: Header=BB310_1062 Depth=1
	s_or_b32 exec_lo, exec_lo, s20
	v_lshlrev_b32_e32 v0, 8, v0
	v_lshl_add_u32 v26, v26, 10, 0x2000
	v_lshlrev_b32_e32 v22, 23, v22
	v_and_or_b32 v0, 0x8000, v0, v26
	v_lshl_or_b32 v22, v0, 16, v22
.LBB310_1555:                           ;   in Loop: Header=BB310_1062 Depth=1
	s_or_b32 exec_lo, exec_lo, s18
.LBB310_1556:                           ;   in Loop: Header=BB310_1062 Depth=1
	s_or_b32 exec_lo, exec_lo, s17
.LBB310_1557:                           ;   in Loop: Header=BB310_1062 Depth=1
	s_or_b32 exec_lo, exec_lo, s16
	v_mov_b32_e32 v0, v12
	v_cmp_ne_u16_sdwa s4, v12, v1 src0_sel:BYTE_0 src1_sel:DWORD
	v_mov_b32_e32 v26, 0
	v_mov_b32_e32 v27, 0
	s_and_saveexec_b32 s16, s4
	s_cbranch_execz .LBB310_1565
; %bb.1558:                             ;   in Loop: Header=BB310_1062 Depth=1
	v_cmp_ne_u16_sdwa s4, v12, v17 src0_sel:BYTE_0 src1_sel:DWORD
	v_mov_b32_e32 v27, 0x8000
	s_and_saveexec_b32 s17, s4
	s_cbranch_execz .LBB310_1564
; %bb.1559:                             ;   in Loop: Header=BB310_1062 Depth=1
	v_and_b32_e32 v38, 0x7f, v12
	v_mov_b32_e32 v27, 0x7c01
	s_mov_b32 s18, exec_lo
	v_cmpx_ne_u32_e32 0x7f, v38
	s_cbranch_execz .LBB310_1563
; %bb.1560:                             ;   in Loop: Header=BB310_1062 Depth=1
	v_and_b32_e32 v27, 7, v12
	v_lshrrev_b32_e32 v37, 3, v38
	s_mov_b32 s20, exec_lo
	v_cmpx_gt_u32_e32 8, v38
; %bb.1561:                             ;   in Loop: Header=BB310_1062 Depth=1
	v_ffbh_u32_e32 v27, v27
	v_min_u32_e32 v27, 32, v27
	v_subrev_nc_u32_e32 v37, 28, v27
	v_lshlrev_b64 v[48:49], v37, v[0:1]
	v_sub_nc_u32_e32 v37, 29, v27
	v_and_b32_e32 v27, 7, v48
; %bb.1562:                             ;   in Loop: Header=BB310_1062 Depth=1
	s_or_b32 exec_lo, exec_lo, s20
	v_lshlrev_b32_e32 v38, 8, v12
	v_lshl_add_u32 v37, v37, 10, 0x2000
	v_lshlrev_b32_e32 v27, 7, v27
	v_and_b32_e32 v38, 0x8000, v38
	v_and_b32_e32 v37, 0xfc00, v37
	v_or3_b32 v27, v38, v37, v27
.LBB310_1563:                           ;   in Loop: Header=BB310_1062 Depth=1
	s_or_b32 exec_lo, exec_lo, s18
.LBB310_1564:                           ;   in Loop: Header=BB310_1062 Depth=1
	s_or_b32 exec_lo, exec_lo, s17
.LBB310_1565:                           ;   in Loop: Header=BB310_1062 Depth=1
	s_or_b32 exec_lo, exec_lo, s16
	v_lshrrev_b16 v0, 8, v0
	v_mov_b32_e32 v37, 0
	s_mov_b32 s16, exec_lo
	v_cmpx_ne_u16_e32 0, v0
	s_cbranch_execz .LBB310_1573
; %bb.1566:                             ;   in Loop: Header=BB310_1062 Depth=1
	v_bfrev_b32_e32 v37, 1
	s_mov_b32 s17, exec_lo
	v_cmpx_ne_u16_e32 0x80, v0
	s_cbranch_execz .LBB310_1572
; %bb.1567:                             ;   in Loop: Header=BB310_1062 Depth=1
	v_and_b32_sdwa v48, v0, v53 dst_sel:DWORD dst_unused:UNUSED_PAD src0_sel:WORD_0 src1_sel:DWORD
	v_mov_b32_e32 v37, 0x7c010000
	s_mov_b32 s18, exec_lo
	v_cmpx_ne_u32_e32 0x7f, v48
	s_cbranch_execz .LBB310_1571
; %bb.1568:                             ;   in Loop: Header=BB310_1062 Depth=1
	v_and_b32_sdwa v37, v0, v54 dst_sel:DWORD dst_unused:UNUSED_PAD src0_sel:WORD_0 src1_sel:DWORD
	v_lshrrev_b32_e32 v38, 3, v48
	s_mov_b32 s20, exec_lo
	v_cmpx_gt_u32_e32 8, v48
; %bb.1569:                             ;   in Loop: Header=BB310_1062 Depth=1
	v_ffbh_u32_e32 v37, v37
	v_min_u32_e32 v48, 32, v37
	v_subrev_nc_u32_e32 v37, 28, v48
	v_lshlrev_b64 v[37:38], v37, v[0:1]
	v_sub_nc_u32_e32 v38, 29, v48
	v_and_b32_e32 v37, 7, v37
; %bb.1570:                             ;   in Loop: Header=BB310_1062 Depth=1
	s_or_b32 exec_lo, exec_lo, s20
	v_lshlrev_b32_sdwa v0, v71, v0 dst_sel:DWORD dst_unused:UNUSED_PAD src0_sel:DWORD src1_sel:WORD_0
	v_lshl_add_u32 v38, v38, 10, 0x2000
	v_lshlrev_b32_e32 v37, 23, v37
	v_and_or_b32 v0, 0x8000, v0, v38
	v_lshl_or_b32 v37, v0, 16, v37
.LBB310_1571:                           ;   in Loop: Header=BB310_1062 Depth=1
	s_or_b32 exec_lo, exec_lo, s18
.LBB310_1572:                           ;   in Loop: Header=BB310_1062 Depth=1
	s_or_b32 exec_lo, exec_lo, s17
.LBB310_1573:                           ;   in Loop: Header=BB310_1062 Depth=1
	s_or_b32 exec_lo, exec_lo, s16
	v_lshrrev_b32_e32 v0, 16, v12
	v_cmp_ne_u16_sdwa s4, v0, v1 src0_sel:BYTE_0 src1_sel:DWORD
	s_and_saveexec_b32 s16, s4
	s_cbranch_execz .LBB310_1581
; %bb.1574:                             ;   in Loop: Header=BB310_1062 Depth=1
	v_cmp_ne_u16_sdwa s4, v0, v17 src0_sel:BYTE_0 src1_sel:DWORD
	v_mov_b32_e32 v26, 0x8000
	s_and_saveexec_b32 s17, s4
	s_cbranch_execz .LBB310_1580
; %bb.1575:                             ;   in Loop: Header=BB310_1062 Depth=1
	v_bfe_u32 v48, v12, 16, 7
	v_mov_b32_e32 v26, 0x7c01
	s_mov_b32 s18, exec_lo
	v_cmpx_ne_u32_e32 0x7f, v48
	s_cbranch_execz .LBB310_1579
; %bb.1576:                             ;   in Loop: Header=BB310_1062 Depth=1
	v_and_b32_e32 v26, 7, v0
	v_lshrrev_b32_e32 v38, 3, v48
	s_mov_b32 s20, exec_lo
	v_cmpx_gt_u32_e32 8, v48
; %bb.1577:                             ;   in Loop: Header=BB310_1062 Depth=1
	v_ffbh_u32_e32 v26, v26
	v_min_u32_e32 v26, 32, v26
	v_subrev_nc_u32_e32 v38, 28, v26
	v_lshlrev_b64 v[48:49], v38, v[0:1]
	v_sub_nc_u32_e32 v38, 29, v26
	v_and_b32_e32 v26, 7, v48
; %bb.1578:                             ;   in Loop: Header=BB310_1062 Depth=1
	s_or_b32 exec_lo, exec_lo, s20
	v_lshlrev_b32_e32 v0, 8, v0
	v_lshl_add_u32 v38, v38, 10, 0x2000
	v_lshlrev_b32_e32 v26, 7, v26
	v_and_b32_e32 v0, 0x8000, v0
	v_and_b32_e32 v38, 0xfc00, v38
	v_or3_b32 v26, v0, v38, v26
.LBB310_1579:                           ;   in Loop: Header=BB310_1062 Depth=1
	s_or_b32 exec_lo, exec_lo, s18
.LBB310_1580:                           ;   in Loop: Header=BB310_1062 Depth=1
	s_or_b32 exec_lo, exec_lo, s17
.LBB310_1581:                           ;   in Loop: Header=BB310_1062 Depth=1
	s_or_b32 exec_lo, exec_lo, s16
	v_cmp_lt_u64_e64 s4, s[12:13], v[11:12]
	v_mov_b32_e32 v11, 0
	s_and_saveexec_b32 s16, s4
	s_cbranch_execz .LBB310_1589
; %bb.1582:                             ;   in Loop: Header=BB310_1062 Depth=1
	v_lshrrev_b32_e32 v0, 24, v12
	v_bfrev_b32_e32 v11, 1
	s_mov_b32 s17, exec_lo
	v_cmpx_ne_u32_e32 0x80, v0
	s_cbranch_execz .LBB310_1588
; %bb.1583:                             ;   in Loop: Header=BB310_1062 Depth=1
	v_and_b32_e32 v38, 0x7f, v0
	v_mov_b32_e32 v11, 0x7c010000
	s_mov_b32 s18, exec_lo
	v_cmpx_ne_u32_e32 0x7f, v38
	s_cbranch_execz .LBB310_1587
; %bb.1584:                             ;   in Loop: Header=BB310_1062 Depth=1
	v_and_b32_e32 v11, 7, v0
	v_lshrrev_b32_e32 v12, 3, v38
	s_mov_b32 s20, exec_lo
	v_cmpx_gt_u32_e32 8, v38
; %bb.1585:                             ;   in Loop: Header=BB310_1062 Depth=1
	v_ffbh_u32_e32 v11, v11
	v_min_u32_e32 v38, 32, v11
	v_subrev_nc_u32_e32 v11, 28, v38
	v_lshlrev_b64 v[11:12], v11, v[0:1]
	v_sub_nc_u32_e32 v12, 29, v38
	v_and_b32_e32 v11, 7, v11
; %bb.1586:                             ;   in Loop: Header=BB310_1062 Depth=1
	s_or_b32 exec_lo, exec_lo, s20
	v_lshlrev_b32_e32 v0, 8, v0
	v_lshl_add_u32 v12, v12, 10, 0x2000
	v_lshlrev_b32_e32 v11, 23, v11
	v_and_or_b32 v0, 0x8000, v0, v12
	v_lshl_or_b32 v11, v0, 16, v11
.LBB310_1587:                           ;   in Loop: Header=BB310_1062 Depth=1
	s_or_b32 exec_lo, exec_lo, s18
.LBB310_1588:                           ;   in Loop: Header=BB310_1062 Depth=1
	s_or_b32 exec_lo, exec_lo, s17
.LBB310_1589:                           ;   in Loop: Header=BB310_1062 Depth=1
	s_or_b32 exec_lo, exec_lo, s16
	v_or_b32_e32 v0, v22, v35
	s_waitcnt vmcnt(0) lgkmcnt(0)
	v_fma_mixlo_f16 v12, v4, v22, 0 op_sel:[0,1,0] op_sel_hi:[0,1,0]
	v_or_b32_e32 v6, v5, v6
	v_fma_mixlo_f16 v5, v4, v5, 0 op_sel:[0,1,0] op_sel_hi:[0,1,0]
	v_or_b32_e32 v22, v37, v27
	v_fma_mixlo_f16 v27, v4, v0, 0 op_sel_hi:[0,1,0]
	v_or_b32_e32 v26, v11, v26
	v_lshlrev_b32_e32 v0, 16, v12
	v_lshlrev_b32_e32 v12, 16, v5
	v_fma_mixlo_f16 v6, v4, v6, 0 op_sel_hi:[0,1,0]
	v_and_b32_e32 v5, 0xffff, v27
	v_fma_mixlo_f16 v27, v4, v37, 0 op_sel:[0,1,0] op_sel_hi:[0,1,0]
	v_fma_mixlo_f16 v22, v4, v22, 0 op_sel_hi:[0,1,0]
	v_fma_mixlo_f16 v11, v4, v11, 0 op_sel:[0,1,0] op_sel_hi:[0,1,0]
	v_fma_mixlo_f16 v35, v4, v26, 0 op_sel_hi:[0,1,0]
	v_and_b32_e32 v38, 0xffff, v6
	v_lshlrev_b32_e32 v6, 16, v27
	v_and_b32_e32 v26, 0xffff, v22
	v_lshlrev_b32_e32 v4, 16, v11
	v_and_b32_e32 v11, 0xffff, v35
	v_or_b32_e32 v22, v0, v5
	v_or_b32_e32 v37, v12, v38
	v_or_b32_e32 v35, v6, v26
	v_or_b32_e32 v27, v4, v11
	s_and_saveexec_b32 s16, vcc_lo
	s_cbranch_execz .LBB310_1591
; %bb.1590:                             ;   in Loop: Header=BB310_1062 Depth=1
	v_cmp_lt_i32_e64 s4, v18, v36
	v_cndmask_b32_e64 v22, 0, v38, s4
	v_cmp_lt_i32_e64 s4, v100, v36
	v_cndmask_b32_e64 v12, 0, v12, s4
	v_cmp_lt_i32_e64 s4, v99, v36
	v_or_b32_e32 v37, v22, v12
	v_cndmask_b32_e64 v5, 0, v5, s4
	v_cmp_lt_i32_e64 s4, v98, v36
	v_cndmask_b32_e64 v0, 0, v0, s4
	v_cmp_lt_i32_e64 s4, v97, v36
	v_or_b32_e32 v22, v5, v0
	;; [unrolled: 5-line block ×3, first 2 shown]
	v_cndmask_b32_e64 v11, 0, v11, s4
	v_cmp_lt_i32_e64 s4, v86, v36
	v_cndmask_b32_e64 v4, 0, v4, s4
	v_or_b32_e32 v27, v11, v4
.LBB310_1591:                           ;   in Loop: Header=BB310_1062 Depth=1
	s_or_b32 exec_lo, exec_lo, s16
	v_add_co_u32 v9, s4, 0x800, v9
	v_add_co_ci_u32_e64 v10, null, 0, v10, s4
	;;#ASMSTART
	v_pk_mul_f16 v0, v85, v37;

	;;#ASMEND
	;;#ASMSTART
	v_pk_mul_f16 v4, v84, v22;

	;;#ASMEND
	;; [unrolled: 4-line block ×4, first 2 shown]
	;;#ASMSTART
	v_pk_add_f16 v0, v0, v4;

	;;#ASMEND
	;;#ASMSTART
	v_pk_add_f16 v0, v0, v5;

	;;#ASMEND
	;; [unrolled: 4-line block ×3, first 2 shown]
	v_lshrrev_b32_e32 v4, 16, v0
	v_and_b32_e32 v0, 0xffff, v0
	;;#ASMSTART
	v_cvt_f32_f16 v41, v0;
	;;#ASMEND
	;;#ASMSTART
	v_cvt_f32_f16 v42, v4;
	;;#ASMEND
	flat_load_dwordx2 v[11:12], v[9:10]
	flat_load_dword v4, v[72:73]
	v_mov_b32_e32 v5, 0
	v_mov_b32_e32 v6, 0
	s_waitcnt vmcnt(1) lgkmcnt(1)
	v_cmp_ne_u16_sdwa s4, v11, v1 src0_sel:BYTE_0 src1_sel:DWORD
	s_and_saveexec_b32 s16, s4
	s_cbranch_execz .LBB310_1599
; %bb.1592:                             ;   in Loop: Header=BB310_1062 Depth=1
	v_cmp_ne_u16_sdwa s4, v11, v17 src0_sel:BYTE_0 src1_sel:DWORD
	v_mov_b32_e32 v6, 0x8000
	s_and_saveexec_b32 s17, s4
	s_cbranch_execz .LBB310_1598
; %bb.1593:                             ;   in Loop: Header=BB310_1062 Depth=1
	v_and_b32_e32 v22, 0x7f, v11
	v_mov_b32_e32 v6, 0x7c01
	s_mov_b32 s18, exec_lo
	v_cmpx_ne_u32_e32 0x7f, v22
	s_cbranch_execz .LBB310_1597
; %bb.1594:                             ;   in Loop: Header=BB310_1062 Depth=1
	v_and_b32_e32 v0, 7, v11
	v_lshrrev_b32_e32 v6, 3, v22
	s_mov_b32 s20, exec_lo
	v_cmpx_gt_u32_e32 8, v22
; %bb.1595:                             ;   in Loop: Header=BB310_1062 Depth=1
	v_ffbh_u32_e32 v0, v0
	v_min_u32_e32 v0, 32, v0
	v_subrev_nc_u32_e32 v6, 28, v0
	v_lshlrev_b64 v[26:27], v6, v[11:12]
	v_sub_nc_u32_e32 v6, 29, v0
	v_and_b32_e32 v0, 7, v26
; %bb.1596:                             ;   in Loop: Header=BB310_1062 Depth=1
	s_or_b32 exec_lo, exec_lo, s20
	v_lshlrev_b32_e32 v22, 8, v11
	v_lshl_add_u32 v6, v6, 10, 0x2000
	v_lshlrev_b32_e32 v0, 7, v0
	v_and_b32_e32 v22, 0x8000, v22
	v_and_b32_e32 v6, 0xfc00, v6
	v_or3_b32 v6, v22, v6, v0
.LBB310_1597:                           ;   in Loop: Header=BB310_1062 Depth=1
	s_or_b32 exec_lo, exec_lo, s18
.LBB310_1598:                           ;   in Loop: Header=BB310_1062 Depth=1
	s_or_b32 exec_lo, exec_lo, s17
.LBB310_1599:                           ;   in Loop: Header=BB310_1062 Depth=1
	s_or_b32 exec_lo, exec_lo, s16
	v_lshrrev_b16 v0, 8, v11
	s_mov_b32 s16, exec_lo
	v_cmpx_ne_u16_e32 0, v0
	s_cbranch_execz .LBB310_1607
; %bb.1600:                             ;   in Loop: Header=BB310_1062 Depth=1
	v_bfrev_b32_e32 v5, 1
	s_mov_b32 s17, exec_lo
	v_cmpx_ne_u16_e32 0x80, v0
	s_cbranch_execz .LBB310_1606
; %bb.1601:                             ;   in Loop: Header=BB310_1062 Depth=1
	v_and_b32_sdwa v26, v0, v53 dst_sel:DWORD dst_unused:UNUSED_PAD src0_sel:WORD_0 src1_sel:DWORD
	v_mov_b32_e32 v5, 0x7c010000
	s_mov_b32 s18, exec_lo
	v_cmpx_ne_u32_e32 0x7f, v26
	s_cbranch_execz .LBB310_1605
; %bb.1602:                             ;   in Loop: Header=BB310_1062 Depth=1
	v_and_b32_sdwa v5, v0, v54 dst_sel:DWORD dst_unused:UNUSED_PAD src0_sel:WORD_0 src1_sel:DWORD
	v_lshrrev_b32_e32 v22, 3, v26
	s_mov_b32 s20, exec_lo
	v_cmpx_gt_u32_e32 8, v26
; %bb.1603:                             ;   in Loop: Header=BB310_1062 Depth=1
	v_ffbh_u32_e32 v5, v5
	v_min_u32_e32 v5, 32, v5
	v_subrev_nc_u32_e32 v22, 28, v5
	v_lshlrev_b64 v[26:27], v22, v[0:1]
	v_sub_nc_u32_e32 v22, 29, v5
	v_and_b32_e32 v5, 7, v26
; %bb.1604:                             ;   in Loop: Header=BB310_1062 Depth=1
	s_or_b32 exec_lo, exec_lo, s20
	v_lshlrev_b32_sdwa v0, v71, v0 dst_sel:DWORD dst_unused:UNUSED_PAD src0_sel:DWORD src1_sel:WORD_0
	v_lshl_add_u32 v22, v22, 10, 0x2000
	v_lshlrev_b32_e32 v5, 23, v5
	v_and_or_b32 v0, 0x8000, v0, v22
	v_lshl_or_b32 v5, v0, 16, v5
.LBB310_1605:                           ;   in Loop: Header=BB310_1062 Depth=1
	s_or_b32 exec_lo, exec_lo, s18
.LBB310_1606:                           ;   in Loop: Header=BB310_1062 Depth=1
	s_or_b32 exec_lo, exec_lo, s17
.LBB310_1607:                           ;   in Loop: Header=BB310_1062 Depth=1
	s_or_b32 exec_lo, exec_lo, s16
	v_lshrrev_b32_e32 v0, 16, v11
	v_mov_b32_e32 v22, 0
	v_mov_b32_e32 v35, 0
	v_cmp_ne_u16_sdwa s4, v0, v1 src0_sel:BYTE_0 src1_sel:DWORD
	s_and_saveexec_b32 s16, s4
	s_cbranch_execz .LBB310_1615
; %bb.1608:                             ;   in Loop: Header=BB310_1062 Depth=1
	v_cmp_ne_u16_sdwa s4, v0, v17 src0_sel:BYTE_0 src1_sel:DWORD
	v_mov_b32_e32 v35, 0x8000
	s_and_saveexec_b32 s17, s4
	s_cbranch_execz .LBB310_1614
; %bb.1609:                             ;   in Loop: Header=BB310_1062 Depth=1
	v_bfe_u32 v37, v11, 16, 7
	v_mov_b32_e32 v35, 0x7c01
	s_mov_b32 s18, exec_lo
	v_cmpx_ne_u32_e32 0x7f, v37
	s_cbranch_execz .LBB310_1613
; %bb.1610:                             ;   in Loop: Header=BB310_1062 Depth=1
	v_and_b32_e32 v26, 7, v0
	v_lshrrev_b32_e32 v27, 3, v37
	s_mov_b32 s20, exec_lo
	v_cmpx_gt_u32_e32 8, v37
; %bb.1611:                             ;   in Loop: Header=BB310_1062 Depth=1
	v_ffbh_u32_e32 v26, v26
	v_min_u32_e32 v35, 32, v26
	v_subrev_nc_u32_e32 v26, 28, v35
	v_lshlrev_b64 v[26:27], v26, v[0:1]
	v_sub_nc_u32_e32 v27, 29, v35
	v_and_b32_e32 v26, 7, v26
; %bb.1612:                             ;   in Loop: Header=BB310_1062 Depth=1
	s_or_b32 exec_lo, exec_lo, s20
	v_lshlrev_b32_e32 v0, 8, v0
	v_lshl_add_u32 v27, v27, 10, 0x2000
	v_lshlrev_b32_e32 v26, 7, v26
	v_and_b32_e32 v0, 0x8000, v0
	v_and_b32_e32 v27, 0xfc00, v27
	v_or3_b32 v35, v0, v27, v26
.LBB310_1613:                           ;   in Loop: Header=BB310_1062 Depth=1
	s_or_b32 exec_lo, exec_lo, s18
.LBB310_1614:                           ;   in Loop: Header=BB310_1062 Depth=1
	s_or_b32 exec_lo, exec_lo, s17
.LBB310_1615:                           ;   in Loop: Header=BB310_1062 Depth=1
	s_or_b32 exec_lo, exec_lo, s16
	s_mov_b32 s16, exec_lo
	v_cmpx_lt_u32_e32 0xffffff, v11
	s_cbranch_execz .LBB310_1623
; %bb.1616:                             ;   in Loop: Header=BB310_1062 Depth=1
	v_lshrrev_b32_e32 v0, 24, v11
	v_bfrev_b32_e32 v22, 1
	s_mov_b32 s17, exec_lo
	v_cmpx_ne_u32_e32 0x80, v0
	s_cbranch_execz .LBB310_1622
; %bb.1617:                             ;   in Loop: Header=BB310_1062 Depth=1
	v_and_b32_e32 v27, 0x7f, v0
	v_mov_b32_e32 v22, 0x7c010000
	s_mov_b32 s18, exec_lo
	v_cmpx_ne_u32_e32 0x7f, v27
	s_cbranch_execz .LBB310_1621
; %bb.1618:                             ;   in Loop: Header=BB310_1062 Depth=1
	v_and_b32_e32 v22, 7, v0
	v_lshrrev_b32_e32 v26, 3, v27
	s_mov_b32 s20, exec_lo
	v_cmpx_gt_u32_e32 8, v27
; %bb.1619:                             ;   in Loop: Header=BB310_1062 Depth=1
	v_ffbh_u32_e32 v22, v22
	v_min_u32_e32 v22, 32, v22
	v_subrev_nc_u32_e32 v26, 28, v22
	v_lshlrev_b64 v[37:38], v26, v[0:1]
	v_sub_nc_u32_e32 v26, 29, v22
	v_and_b32_e32 v22, 7, v37
; %bb.1620:                             ;   in Loop: Header=BB310_1062 Depth=1
	s_or_b32 exec_lo, exec_lo, s20
	v_lshlrev_b32_e32 v0, 8, v0
	v_lshl_add_u32 v26, v26, 10, 0x2000
	v_lshlrev_b32_e32 v22, 23, v22
	v_and_or_b32 v0, 0x8000, v0, v26
	v_lshl_or_b32 v22, v0, 16, v22
.LBB310_1621:                           ;   in Loop: Header=BB310_1062 Depth=1
	s_or_b32 exec_lo, exec_lo, s18
.LBB310_1622:                           ;   in Loop: Header=BB310_1062 Depth=1
	s_or_b32 exec_lo, exec_lo, s17
.LBB310_1623:                           ;   in Loop: Header=BB310_1062 Depth=1
	s_or_b32 exec_lo, exec_lo, s16
	v_mov_b32_e32 v0, v12
	v_cmp_ne_u16_sdwa s4, v12, v1 src0_sel:BYTE_0 src1_sel:DWORD
	v_mov_b32_e32 v26, 0
	v_mov_b32_e32 v27, 0
	s_and_saveexec_b32 s16, s4
	s_cbranch_execz .LBB310_1631
; %bb.1624:                             ;   in Loop: Header=BB310_1062 Depth=1
	v_cmp_ne_u16_sdwa s4, v12, v17 src0_sel:BYTE_0 src1_sel:DWORD
	v_mov_b32_e32 v27, 0x8000
	s_and_saveexec_b32 s17, s4
	s_cbranch_execz .LBB310_1630
; %bb.1625:                             ;   in Loop: Header=BB310_1062 Depth=1
	v_and_b32_e32 v38, 0x7f, v12
	v_mov_b32_e32 v27, 0x7c01
	s_mov_b32 s18, exec_lo
	v_cmpx_ne_u32_e32 0x7f, v38
	s_cbranch_execz .LBB310_1629
; %bb.1626:                             ;   in Loop: Header=BB310_1062 Depth=1
	v_and_b32_e32 v27, 7, v12
	v_lshrrev_b32_e32 v37, 3, v38
	s_mov_b32 s20, exec_lo
	v_cmpx_gt_u32_e32 8, v38
; %bb.1627:                             ;   in Loop: Header=BB310_1062 Depth=1
	v_ffbh_u32_e32 v27, v27
	v_min_u32_e32 v27, 32, v27
	v_subrev_nc_u32_e32 v37, 28, v27
	v_lshlrev_b64 v[48:49], v37, v[0:1]
	v_sub_nc_u32_e32 v37, 29, v27
	v_and_b32_e32 v27, 7, v48
; %bb.1628:                             ;   in Loop: Header=BB310_1062 Depth=1
	s_or_b32 exec_lo, exec_lo, s20
	v_lshlrev_b32_e32 v38, 8, v12
	v_lshl_add_u32 v37, v37, 10, 0x2000
	v_lshlrev_b32_e32 v27, 7, v27
	v_and_b32_e32 v38, 0x8000, v38
	v_and_b32_e32 v37, 0xfc00, v37
	v_or3_b32 v27, v38, v37, v27
.LBB310_1629:                           ;   in Loop: Header=BB310_1062 Depth=1
	s_or_b32 exec_lo, exec_lo, s18
.LBB310_1630:                           ;   in Loop: Header=BB310_1062 Depth=1
	s_or_b32 exec_lo, exec_lo, s17
.LBB310_1631:                           ;   in Loop: Header=BB310_1062 Depth=1
	s_or_b32 exec_lo, exec_lo, s16
	v_lshrrev_b16 v0, 8, v0
	v_mov_b32_e32 v37, 0
	s_mov_b32 s16, exec_lo
	v_cmpx_ne_u16_e32 0, v0
	s_cbranch_execz .LBB310_1639
; %bb.1632:                             ;   in Loop: Header=BB310_1062 Depth=1
	v_bfrev_b32_e32 v37, 1
	s_mov_b32 s17, exec_lo
	v_cmpx_ne_u16_e32 0x80, v0
	s_cbranch_execz .LBB310_1638
; %bb.1633:                             ;   in Loop: Header=BB310_1062 Depth=1
	v_and_b32_sdwa v48, v0, v53 dst_sel:DWORD dst_unused:UNUSED_PAD src0_sel:WORD_0 src1_sel:DWORD
	v_mov_b32_e32 v37, 0x7c010000
	s_mov_b32 s18, exec_lo
	v_cmpx_ne_u32_e32 0x7f, v48
	s_cbranch_execz .LBB310_1637
; %bb.1634:                             ;   in Loop: Header=BB310_1062 Depth=1
	v_and_b32_sdwa v37, v0, v54 dst_sel:DWORD dst_unused:UNUSED_PAD src0_sel:WORD_0 src1_sel:DWORD
	v_lshrrev_b32_e32 v38, 3, v48
	s_mov_b32 s20, exec_lo
	v_cmpx_gt_u32_e32 8, v48
; %bb.1635:                             ;   in Loop: Header=BB310_1062 Depth=1
	v_ffbh_u32_e32 v37, v37
	v_min_u32_e32 v48, 32, v37
	v_subrev_nc_u32_e32 v37, 28, v48
	v_lshlrev_b64 v[37:38], v37, v[0:1]
	v_sub_nc_u32_e32 v38, 29, v48
	v_and_b32_e32 v37, 7, v37
; %bb.1636:                             ;   in Loop: Header=BB310_1062 Depth=1
	s_or_b32 exec_lo, exec_lo, s20
	v_lshlrev_b32_sdwa v0, v71, v0 dst_sel:DWORD dst_unused:UNUSED_PAD src0_sel:DWORD src1_sel:WORD_0
	v_lshl_add_u32 v38, v38, 10, 0x2000
	v_lshlrev_b32_e32 v37, 23, v37
	v_and_or_b32 v0, 0x8000, v0, v38
	v_lshl_or_b32 v37, v0, 16, v37
.LBB310_1637:                           ;   in Loop: Header=BB310_1062 Depth=1
	s_or_b32 exec_lo, exec_lo, s18
.LBB310_1638:                           ;   in Loop: Header=BB310_1062 Depth=1
	s_or_b32 exec_lo, exec_lo, s17
.LBB310_1639:                           ;   in Loop: Header=BB310_1062 Depth=1
	s_or_b32 exec_lo, exec_lo, s16
	v_lshrrev_b32_e32 v0, 16, v12
	v_cmp_ne_u16_sdwa s4, v0, v1 src0_sel:BYTE_0 src1_sel:DWORD
	s_and_saveexec_b32 s16, s4
	s_cbranch_execz .LBB310_1647
; %bb.1640:                             ;   in Loop: Header=BB310_1062 Depth=1
	v_cmp_ne_u16_sdwa s4, v0, v17 src0_sel:BYTE_0 src1_sel:DWORD
	v_mov_b32_e32 v26, 0x8000
	s_and_saveexec_b32 s17, s4
	s_cbranch_execz .LBB310_1646
; %bb.1641:                             ;   in Loop: Header=BB310_1062 Depth=1
	v_bfe_u32 v48, v12, 16, 7
	v_mov_b32_e32 v26, 0x7c01
	s_mov_b32 s18, exec_lo
	v_cmpx_ne_u32_e32 0x7f, v48
	s_cbranch_execz .LBB310_1645
; %bb.1642:                             ;   in Loop: Header=BB310_1062 Depth=1
	v_and_b32_e32 v26, 7, v0
	v_lshrrev_b32_e32 v38, 3, v48
	s_mov_b32 s20, exec_lo
	v_cmpx_gt_u32_e32 8, v48
; %bb.1643:                             ;   in Loop: Header=BB310_1062 Depth=1
	v_ffbh_u32_e32 v26, v26
	v_min_u32_e32 v26, 32, v26
	v_subrev_nc_u32_e32 v38, 28, v26
	v_lshlrev_b64 v[48:49], v38, v[0:1]
	v_sub_nc_u32_e32 v38, 29, v26
	v_and_b32_e32 v26, 7, v48
; %bb.1644:                             ;   in Loop: Header=BB310_1062 Depth=1
	s_or_b32 exec_lo, exec_lo, s20
	v_lshlrev_b32_e32 v0, 8, v0
	v_lshl_add_u32 v38, v38, 10, 0x2000
	v_lshlrev_b32_e32 v26, 7, v26
	v_and_b32_e32 v0, 0x8000, v0
	v_and_b32_e32 v38, 0xfc00, v38
	v_or3_b32 v26, v0, v38, v26
.LBB310_1645:                           ;   in Loop: Header=BB310_1062 Depth=1
	s_or_b32 exec_lo, exec_lo, s18
.LBB310_1646:                           ;   in Loop: Header=BB310_1062 Depth=1
	s_or_b32 exec_lo, exec_lo, s17
.LBB310_1647:                           ;   in Loop: Header=BB310_1062 Depth=1
	s_or_b32 exec_lo, exec_lo, s16
	v_cmp_lt_u64_e64 s4, s[12:13], v[11:12]
	v_mov_b32_e32 v11, 0
	s_and_saveexec_b32 s16, s4
	s_cbranch_execz .LBB310_1655
; %bb.1648:                             ;   in Loop: Header=BB310_1062 Depth=1
	v_lshrrev_b32_e32 v0, 24, v12
	v_bfrev_b32_e32 v11, 1
	s_mov_b32 s17, exec_lo
	v_cmpx_ne_u32_e32 0x80, v0
	s_cbranch_execz .LBB310_1654
; %bb.1649:                             ;   in Loop: Header=BB310_1062 Depth=1
	v_and_b32_e32 v38, 0x7f, v0
	v_mov_b32_e32 v11, 0x7c010000
	s_mov_b32 s18, exec_lo
	v_cmpx_ne_u32_e32 0x7f, v38
	s_cbranch_execz .LBB310_1653
; %bb.1650:                             ;   in Loop: Header=BB310_1062 Depth=1
	v_and_b32_e32 v11, 7, v0
	v_lshrrev_b32_e32 v12, 3, v38
	s_mov_b32 s20, exec_lo
	v_cmpx_gt_u32_e32 8, v38
; %bb.1651:                             ;   in Loop: Header=BB310_1062 Depth=1
	v_ffbh_u32_e32 v11, v11
	v_min_u32_e32 v38, 32, v11
	v_subrev_nc_u32_e32 v11, 28, v38
	v_lshlrev_b64 v[11:12], v11, v[0:1]
	v_sub_nc_u32_e32 v12, 29, v38
	v_and_b32_e32 v11, 7, v11
; %bb.1652:                             ;   in Loop: Header=BB310_1062 Depth=1
	s_or_b32 exec_lo, exec_lo, s20
	v_lshlrev_b32_e32 v0, 8, v0
	v_lshl_add_u32 v12, v12, 10, 0x2000
	v_lshlrev_b32_e32 v11, 23, v11
	v_and_or_b32 v0, 0x8000, v0, v12
	v_lshl_or_b32 v11, v0, 16, v11
.LBB310_1653:                           ;   in Loop: Header=BB310_1062 Depth=1
	s_or_b32 exec_lo, exec_lo, s18
.LBB310_1654:                           ;   in Loop: Header=BB310_1062 Depth=1
	s_or_b32 exec_lo, exec_lo, s17
.LBB310_1655:                           ;   in Loop: Header=BB310_1062 Depth=1
	s_or_b32 exec_lo, exec_lo, s16
	v_or_b32_e32 v0, v22, v35
	s_waitcnt vmcnt(0) lgkmcnt(0)
	v_fma_mixlo_f16 v12, v4, v22, 0 op_sel:[0,1,0] op_sel_hi:[0,1,0]
	v_or_b32_e32 v6, v5, v6
	v_fma_mixlo_f16 v5, v4, v5, 0 op_sel:[0,1,0] op_sel_hi:[0,1,0]
	v_or_b32_e32 v22, v37, v27
	v_fma_mixlo_f16 v27, v4, v0, 0 op_sel_hi:[0,1,0]
	v_or_b32_e32 v26, v11, v26
	v_lshlrev_b32_e32 v0, 16, v12
	v_lshlrev_b32_e32 v12, 16, v5
	v_fma_mixlo_f16 v6, v4, v6, 0 op_sel_hi:[0,1,0]
	v_and_b32_e32 v5, 0xffff, v27
	v_fma_mixlo_f16 v27, v4, v37, 0 op_sel:[0,1,0] op_sel_hi:[0,1,0]
	v_fma_mixlo_f16 v22, v4, v22, 0 op_sel_hi:[0,1,0]
	v_fma_mixlo_f16 v11, v4, v11, 0 op_sel:[0,1,0] op_sel_hi:[0,1,0]
	v_fma_mixlo_f16 v35, v4, v26, 0 op_sel_hi:[0,1,0]
	v_and_b32_e32 v38, 0xffff, v6
	v_lshlrev_b32_e32 v6, 16, v27
	v_and_b32_e32 v26, 0xffff, v22
	v_lshlrev_b32_e32 v4, 16, v11
	v_and_b32_e32 v11, 0xffff, v35
	v_or_b32_e32 v22, v0, v5
	v_or_b32_e32 v37, v12, v38
	;; [unrolled: 1-line block ×4, first 2 shown]
	s_and_saveexec_b32 s16, vcc_lo
	s_cbranch_execz .LBB310_1657
; %bb.1656:                             ;   in Loop: Header=BB310_1062 Depth=1
	v_cmp_lt_i32_e64 s4, v18, v36
	v_cndmask_b32_e64 v22, 0, v38, s4
	v_cmp_lt_i32_e64 s4, v100, v36
	v_cndmask_b32_e64 v12, 0, v12, s4
	v_cmp_lt_i32_e64 s4, v99, v36
	v_or_b32_e32 v37, v22, v12
	v_cndmask_b32_e64 v5, 0, v5, s4
	v_cmp_lt_i32_e64 s4, v98, v36
	v_cndmask_b32_e64 v0, 0, v0, s4
	v_cmp_lt_i32_e64 s4, v97, v36
	v_or_b32_e32 v22, v5, v0
	;; [unrolled: 5-line block ×3, first 2 shown]
	v_cndmask_b32_e64 v11, 0, v11, s4
	v_cmp_lt_i32_e64 s4, v86, v36
	v_cndmask_b32_e64 v4, 0, v4, s4
	v_or_b32_e32 v27, v11, v4
.LBB310_1657:                           ;   in Loop: Header=BB310_1062 Depth=1
	s_or_b32 exec_lo, exec_lo, s16
	;;#ASMSTART
	v_pk_mul_f16 v0, v85, v37;

	;;#ASMEND
	;;#ASMSTART
	v_pk_mul_f16 v4, v84, v22;

	;;#ASMEND
	;; [unrolled: 4-line block ×4, first 2 shown]
	;;#ASMSTART
	v_pk_add_f16 v0, v0, v4;

	;;#ASMEND
	;;#ASMSTART
	v_pk_add_f16 v0, v0, v5;

	;;#ASMEND
	;; [unrolled: 4-line block ×3, first 2 shown]
	v_and_b32_e32 v4, 0xffff, v0
	v_lshrrev_b32_e32 v0, 16, v0
	;;#ASMSTART
	v_cvt_f32_f16 v4, v4;
	;;#ASMEND
	;;#ASMSTART
	v_cvt_f32_f16 v5, v0;
	;;#ASMEND
	flat_load_dwordx2 v[11:12], v[9:10] offset:256
	flat_load_dword v6, v[72:73]
	v_mov_b32_e32 v22, 0
	v_mov_b32_e32 v35, 0
	s_waitcnt vmcnt(1) lgkmcnt(1)
	v_cmp_ne_u16_sdwa s4, v11, v1 src0_sel:BYTE_0 src1_sel:DWORD
	s_and_saveexec_b32 s16, s4
	s_cbranch_execz .LBB310_1665
; %bb.1658:                             ;   in Loop: Header=BB310_1062 Depth=1
	v_cmp_ne_u16_sdwa s4, v11, v17 src0_sel:BYTE_0 src1_sel:DWORD
	v_mov_b32_e32 v35, 0x8000
	s_and_saveexec_b32 s17, s4
	s_cbranch_execz .LBB310_1664
; %bb.1659:                             ;   in Loop: Header=BB310_1062 Depth=1
	v_and_b32_e32 v27, 0x7f, v11
	v_mov_b32_e32 v35, 0x7c01
	s_mov_b32 s18, exec_lo
	v_cmpx_ne_u32_e32 0x7f, v27
	s_cbranch_execz .LBB310_1663
; %bb.1660:                             ;   in Loop: Header=BB310_1062 Depth=1
	v_and_b32_e32 v0, 7, v11
	v_lshrrev_b32_e32 v26, 3, v27
	s_mov_b32 s20, exec_lo
	v_cmpx_gt_u32_e32 8, v27
; %bb.1661:                             ;   in Loop: Header=BB310_1062 Depth=1
	v_ffbh_u32_e32 v0, v0
	v_min_u32_e32 v0, 32, v0
	v_subrev_nc_u32_e32 v26, 28, v0
	v_lshlrev_b64 v[37:38], v26, v[11:12]
	v_sub_nc_u32_e32 v26, 29, v0
	v_and_b32_e32 v0, 7, v37
; %bb.1662:                             ;   in Loop: Header=BB310_1062 Depth=1
	s_or_b32 exec_lo, exec_lo, s20
	v_lshlrev_b32_e32 v27, 8, v11
	v_lshl_add_u32 v26, v26, 10, 0x2000
	v_lshlrev_b32_e32 v0, 7, v0
	v_and_b32_e32 v27, 0x8000, v27
	v_and_b32_e32 v26, 0xfc00, v26
	v_or3_b32 v35, v27, v26, v0
.LBB310_1663:                           ;   in Loop: Header=BB310_1062 Depth=1
	s_or_b32 exec_lo, exec_lo, s18
.LBB310_1664:                           ;   in Loop: Header=BB310_1062 Depth=1
	s_or_b32 exec_lo, exec_lo, s17
.LBB310_1665:                           ;   in Loop: Header=BB310_1062 Depth=1
	s_or_b32 exec_lo, exec_lo, s16
	v_lshrrev_b16 v0, 8, v11
	s_mov_b32 s16, exec_lo
	v_cmpx_ne_u16_e32 0, v0
	s_cbranch_execz .LBB310_1673
; %bb.1666:                             ;   in Loop: Header=BB310_1062 Depth=1
	v_bfrev_b32_e32 v22, 1
	s_mov_b32 s17, exec_lo
	v_cmpx_ne_u16_e32 0x80, v0
	s_cbranch_execz .LBB310_1672
; %bb.1667:                             ;   in Loop: Header=BB310_1062 Depth=1
	v_and_b32_sdwa v27, v0, v53 dst_sel:DWORD dst_unused:UNUSED_PAD src0_sel:WORD_0 src1_sel:DWORD
	v_mov_b32_e32 v22, 0x7c010000
	s_mov_b32 s18, exec_lo
	v_cmpx_ne_u32_e32 0x7f, v27
	s_cbranch_execz .LBB310_1671
; %bb.1668:                             ;   in Loop: Header=BB310_1062 Depth=1
	v_and_b32_sdwa v22, v0, v54 dst_sel:DWORD dst_unused:UNUSED_PAD src0_sel:WORD_0 src1_sel:DWORD
	v_lshrrev_b32_e32 v26, 3, v27
	s_mov_b32 s20, exec_lo
	v_cmpx_gt_u32_e32 8, v27
; %bb.1669:                             ;   in Loop: Header=BB310_1062 Depth=1
	v_ffbh_u32_e32 v22, v22
	v_min_u32_e32 v22, 32, v22
	v_subrev_nc_u32_e32 v26, 28, v22
	v_lshlrev_b64 v[37:38], v26, v[0:1]
	v_sub_nc_u32_e32 v26, 29, v22
	v_and_b32_e32 v22, 7, v37
; %bb.1670:                             ;   in Loop: Header=BB310_1062 Depth=1
	s_or_b32 exec_lo, exec_lo, s20
	v_lshlrev_b32_sdwa v0, v71, v0 dst_sel:DWORD dst_unused:UNUSED_PAD src0_sel:DWORD src1_sel:WORD_0
	v_lshl_add_u32 v26, v26, 10, 0x2000
	v_lshlrev_b32_e32 v22, 23, v22
	v_and_or_b32 v0, 0x8000, v0, v26
	v_lshl_or_b32 v22, v0, 16, v22
.LBB310_1671:                           ;   in Loop: Header=BB310_1062 Depth=1
	s_or_b32 exec_lo, exec_lo, s18
.LBB310_1672:                           ;   in Loop: Header=BB310_1062 Depth=1
	s_or_b32 exec_lo, exec_lo, s17
.LBB310_1673:                           ;   in Loop: Header=BB310_1062 Depth=1
	s_or_b32 exec_lo, exec_lo, s16
	v_lshrrev_b32_e32 v0, 16, v11
	v_mov_b32_e32 v37, 0
	v_mov_b32_e32 v38, 0
	v_cmp_ne_u16_sdwa s4, v0, v1 src0_sel:BYTE_0 src1_sel:DWORD
	s_and_saveexec_b32 s16, s4
	s_cbranch_execz .LBB310_1681
; %bb.1674:                             ;   in Loop: Header=BB310_1062 Depth=1
	v_cmp_ne_u16_sdwa s4, v0, v17 src0_sel:BYTE_0 src1_sel:DWORD
	v_mov_b32_e32 v38, 0x8000
	s_and_saveexec_b32 s17, s4
	s_cbranch_execz .LBB310_1680
; %bb.1675:                             ;   in Loop: Header=BB310_1062 Depth=1
	v_bfe_u32 v48, v11, 16, 7
	v_mov_b32_e32 v38, 0x7c01
	s_mov_b32 s18, exec_lo
	v_cmpx_ne_u32_e32 0x7f, v48
	s_cbranch_execz .LBB310_1679
; %bb.1676:                             ;   in Loop: Header=BB310_1062 Depth=1
	v_and_b32_e32 v26, 7, v0
	v_lshrrev_b32_e32 v27, 3, v48
	s_mov_b32 s20, exec_lo
	v_cmpx_gt_u32_e32 8, v48
; %bb.1677:                             ;   in Loop: Header=BB310_1062 Depth=1
	v_ffbh_u32_e32 v26, v26
	v_min_u32_e32 v38, 32, v26
	v_subrev_nc_u32_e32 v26, 28, v38
	v_lshlrev_b64 v[26:27], v26, v[0:1]
	v_sub_nc_u32_e32 v27, 29, v38
	v_and_b32_e32 v26, 7, v26
; %bb.1678:                             ;   in Loop: Header=BB310_1062 Depth=1
	s_or_b32 exec_lo, exec_lo, s20
	v_lshlrev_b32_e32 v0, 8, v0
	v_lshl_add_u32 v27, v27, 10, 0x2000
	v_lshlrev_b32_e32 v26, 7, v26
	v_and_b32_e32 v0, 0x8000, v0
	v_and_b32_e32 v27, 0xfc00, v27
	v_or3_b32 v38, v0, v27, v26
.LBB310_1679:                           ;   in Loop: Header=BB310_1062 Depth=1
	s_or_b32 exec_lo, exec_lo, s18
.LBB310_1680:                           ;   in Loop: Header=BB310_1062 Depth=1
	s_or_b32 exec_lo, exec_lo, s17
.LBB310_1681:                           ;   in Loop: Header=BB310_1062 Depth=1
	s_or_b32 exec_lo, exec_lo, s16
	s_mov_b32 s16, exec_lo
	v_cmpx_lt_u32_e32 0xffffff, v11
	s_cbranch_execz .LBB310_1689
; %bb.1682:                             ;   in Loop: Header=BB310_1062 Depth=1
	v_lshrrev_b32_e32 v0, 24, v11
	v_bfrev_b32_e32 v37, 1
	s_mov_b32 s17, exec_lo
	v_cmpx_ne_u32_e32 0x80, v0
	s_cbranch_execz .LBB310_1688
; %bb.1683:                             ;   in Loop: Header=BB310_1062 Depth=1
	v_and_b32_e32 v48, 0x7f, v0
	v_mov_b32_e32 v37, 0x7c010000
	s_mov_b32 s18, exec_lo
	v_cmpx_ne_u32_e32 0x7f, v48
	s_cbranch_execz .LBB310_1687
; %bb.1684:                             ;   in Loop: Header=BB310_1062 Depth=1
	v_and_b32_e32 v26, 7, v0
	v_lshrrev_b32_e32 v27, 3, v48
	s_mov_b32 s20, exec_lo
	v_cmpx_gt_u32_e32 8, v48
; %bb.1685:                             ;   in Loop: Header=BB310_1062 Depth=1
	v_ffbh_u32_e32 v26, v26
	v_min_u32_e32 v37, 32, v26
	v_subrev_nc_u32_e32 v26, 28, v37
	v_lshlrev_b64 v[26:27], v26, v[0:1]
	v_sub_nc_u32_e32 v27, 29, v37
	v_and_b32_e32 v26, 7, v26
; %bb.1686:                             ;   in Loop: Header=BB310_1062 Depth=1
	s_or_b32 exec_lo, exec_lo, s20
	v_lshlrev_b32_e32 v0, 8, v0
	v_lshl_add_u32 v27, v27, 10, 0x2000
	v_lshlrev_b32_e32 v26, 23, v26
	v_and_or_b32 v0, 0x8000, v0, v27
	v_lshl_or_b32 v37, v0, 16, v26
.LBB310_1687:                           ;   in Loop: Header=BB310_1062 Depth=1
	s_or_b32 exec_lo, exec_lo, s18
.LBB310_1688:                           ;   in Loop: Header=BB310_1062 Depth=1
	s_or_b32 exec_lo, exec_lo, s17
.LBB310_1689:                           ;   in Loop: Header=BB310_1062 Depth=1
	s_or_b32 exec_lo, exec_lo, s16
	v_mov_b32_e32 v0, v12
	v_cmp_ne_u16_sdwa s4, v12, v1 src0_sel:BYTE_0 src1_sel:DWORD
	v_mov_b32_e32 v26, 0
	v_mov_b32_e32 v27, 0
	s_and_saveexec_b32 s16, s4
	s_cbranch_execz .LBB310_1697
; %bb.1690:                             ;   in Loop: Header=BB310_1062 Depth=1
	v_cmp_ne_u16_sdwa s4, v12, v17 src0_sel:BYTE_0 src1_sel:DWORD
	v_mov_b32_e32 v27, 0x8000
	s_and_saveexec_b32 s17, s4
	s_cbranch_execz .LBB310_1696
; %bb.1691:                             ;   in Loop: Header=BB310_1062 Depth=1
	v_and_b32_e32 v49, 0x7f, v12
	v_mov_b32_e32 v27, 0x7c01
	s_mov_b32 s18, exec_lo
	v_cmpx_ne_u32_e32 0x7f, v49
	s_cbranch_execz .LBB310_1695
; %bb.1692:                             ;   in Loop: Header=BB310_1062 Depth=1
	v_and_b32_e32 v27, 7, v12
	v_lshrrev_b32_e32 v48, 3, v49
	s_mov_b32 s20, exec_lo
	v_cmpx_gt_u32_e32 8, v49
; %bb.1693:                             ;   in Loop: Header=BB310_1062 Depth=1
	v_ffbh_u32_e32 v27, v27
	v_min_u32_e32 v27, 32, v27
	v_subrev_nc_u32_e32 v48, 28, v27
	v_lshlrev_b64 v[49:50], v48, v[0:1]
	v_sub_nc_u32_e32 v48, 29, v27
	v_and_b32_e32 v27, 7, v49
; %bb.1694:                             ;   in Loop: Header=BB310_1062 Depth=1
	s_or_b32 exec_lo, exec_lo, s20
	v_lshlrev_b32_e32 v49, 8, v12
	v_lshl_add_u32 v48, v48, 10, 0x2000
	v_lshlrev_b32_e32 v27, 7, v27
	v_and_b32_e32 v49, 0x8000, v49
	v_and_b32_e32 v48, 0xfc00, v48
	v_or3_b32 v27, v49, v48, v27
.LBB310_1695:                           ;   in Loop: Header=BB310_1062 Depth=1
	s_or_b32 exec_lo, exec_lo, s18
.LBB310_1696:                           ;   in Loop: Header=BB310_1062 Depth=1
	s_or_b32 exec_lo, exec_lo, s17
.LBB310_1697:                           ;   in Loop: Header=BB310_1062 Depth=1
	s_or_b32 exec_lo, exec_lo, s16
	v_lshrrev_b16 v0, 8, v0
	v_mov_b32_e32 v48, 0
	s_mov_b32 s16, exec_lo
	v_cmpx_ne_u16_e32 0, v0
	s_cbranch_execz .LBB310_1705
; %bb.1698:                             ;   in Loop: Header=BB310_1062 Depth=1
	v_bfrev_b32_e32 v48, 1
	s_mov_b32 s17, exec_lo
	v_cmpx_ne_u16_e32 0x80, v0
	s_cbranch_execz .LBB310_1704
; %bb.1699:                             ;   in Loop: Header=BB310_1062 Depth=1
	v_and_b32_sdwa v50, v0, v53 dst_sel:DWORD dst_unused:UNUSED_PAD src0_sel:WORD_0 src1_sel:DWORD
	v_mov_b32_e32 v48, 0x7c010000
	s_mov_b32 s18, exec_lo
	v_cmpx_ne_u32_e32 0x7f, v50
	s_cbranch_execz .LBB310_1703
; %bb.1700:                             ;   in Loop: Header=BB310_1062 Depth=1
	v_and_b32_sdwa v48, v0, v54 dst_sel:DWORD dst_unused:UNUSED_PAD src0_sel:WORD_0 src1_sel:DWORD
	v_lshrrev_b32_e32 v49, 3, v50
	s_mov_b32 s20, exec_lo
	v_cmpx_gt_u32_e32 8, v50
; %bb.1701:                             ;   in Loop: Header=BB310_1062 Depth=1
	v_ffbh_u32_e32 v48, v48
	v_min_u32_e32 v50, 32, v48
	v_subrev_nc_u32_e32 v48, 28, v50
	v_lshlrev_b64 v[48:49], v48, v[0:1]
	v_sub_nc_u32_e32 v49, 29, v50
	v_and_b32_e32 v48, 7, v48
; %bb.1702:                             ;   in Loop: Header=BB310_1062 Depth=1
	s_or_b32 exec_lo, exec_lo, s20
	v_lshlrev_b32_sdwa v0, v71, v0 dst_sel:DWORD dst_unused:UNUSED_PAD src0_sel:DWORD src1_sel:WORD_0
	v_lshl_add_u32 v49, v49, 10, 0x2000
	v_lshlrev_b32_e32 v48, 23, v48
	v_and_or_b32 v0, 0x8000, v0, v49
	v_lshl_or_b32 v48, v0, 16, v48
.LBB310_1703:                           ;   in Loop: Header=BB310_1062 Depth=1
	s_or_b32 exec_lo, exec_lo, s18
.LBB310_1704:                           ;   in Loop: Header=BB310_1062 Depth=1
	s_or_b32 exec_lo, exec_lo, s17
.LBB310_1705:                           ;   in Loop: Header=BB310_1062 Depth=1
	s_or_b32 exec_lo, exec_lo, s16
	v_lshrrev_b32_e32 v0, 16, v12
	v_cmp_ne_u16_sdwa s4, v0, v1 src0_sel:BYTE_0 src1_sel:DWORD
	s_and_saveexec_b32 s16, s4
	s_cbranch_execz .LBB310_1713
; %bb.1706:                             ;   in Loop: Header=BB310_1062 Depth=1
	v_cmp_ne_u16_sdwa s4, v0, v17 src0_sel:BYTE_0 src1_sel:DWORD
	v_mov_b32_e32 v26, 0x8000
	s_and_saveexec_b32 s17, s4
	s_cbranch_execz .LBB310_1712
; %bb.1707:                             ;   in Loop: Header=BB310_1062 Depth=1
	v_bfe_u32 v50, v12, 16, 7
	v_mov_b32_e32 v26, 0x7c01
	s_mov_b32 s18, exec_lo
	v_cmpx_ne_u32_e32 0x7f, v50
	s_cbranch_execz .LBB310_1711
; %bb.1708:                             ;   in Loop: Header=BB310_1062 Depth=1
	v_and_b32_e32 v26, 7, v0
	v_lshrrev_b32_e32 v49, 3, v50
	s_mov_b32 s20, exec_lo
	v_cmpx_gt_u32_e32 8, v50
; %bb.1709:                             ;   in Loop: Header=BB310_1062 Depth=1
	v_ffbh_u32_e32 v26, v26
	v_min_u32_e32 v26, 32, v26
	v_subrev_nc_u32_e32 v49, 28, v26
	v_lshlrev_b64 v[50:51], v49, v[0:1]
	v_sub_nc_u32_e32 v49, 29, v26
	v_and_b32_e32 v26, 7, v50
; %bb.1710:                             ;   in Loop: Header=BB310_1062 Depth=1
	s_or_b32 exec_lo, exec_lo, s20
	v_lshlrev_b32_e32 v0, 8, v0
	v_lshl_add_u32 v49, v49, 10, 0x2000
	v_lshlrev_b32_e32 v26, 7, v26
	v_and_b32_e32 v0, 0x8000, v0
	v_and_b32_e32 v49, 0xfc00, v49
	v_or3_b32 v26, v0, v49, v26
.LBB310_1711:                           ;   in Loop: Header=BB310_1062 Depth=1
	s_or_b32 exec_lo, exec_lo, s18
.LBB310_1712:                           ;   in Loop: Header=BB310_1062 Depth=1
	s_or_b32 exec_lo, exec_lo, s17
.LBB310_1713:                           ;   in Loop: Header=BB310_1062 Depth=1
	s_or_b32 exec_lo, exec_lo, s16
	v_cmp_lt_u64_e64 s4, s[12:13], v[11:12]
	v_mov_b32_e32 v11, 0
	s_and_saveexec_b32 s16, s4
	s_cbranch_execz .LBB310_1721
; %bb.1714:                             ;   in Loop: Header=BB310_1062 Depth=1
	v_lshrrev_b32_e32 v0, 24, v12
	v_bfrev_b32_e32 v11, 1
	s_mov_b32 s17, exec_lo
	v_cmpx_ne_u32_e32 0x80, v0
	s_cbranch_execz .LBB310_1720
; %bb.1715:                             ;   in Loop: Header=BB310_1062 Depth=1
	v_and_b32_e32 v49, 0x7f, v0
	v_mov_b32_e32 v11, 0x7c010000
	s_mov_b32 s18, exec_lo
	v_cmpx_ne_u32_e32 0x7f, v49
	s_cbranch_execz .LBB310_1719
; %bb.1716:                             ;   in Loop: Header=BB310_1062 Depth=1
	v_and_b32_e32 v11, 7, v0
	v_lshrrev_b32_e32 v12, 3, v49
	s_mov_b32 s20, exec_lo
	v_cmpx_gt_u32_e32 8, v49
; %bb.1717:                             ;   in Loop: Header=BB310_1062 Depth=1
	v_ffbh_u32_e32 v11, v11
	v_min_u32_e32 v49, 32, v11
	v_subrev_nc_u32_e32 v11, 28, v49
	v_lshlrev_b64 v[11:12], v11, v[0:1]
	v_sub_nc_u32_e32 v12, 29, v49
	v_and_b32_e32 v11, 7, v11
; %bb.1718:                             ;   in Loop: Header=BB310_1062 Depth=1
	s_or_b32 exec_lo, exec_lo, s20
	v_lshlrev_b32_e32 v0, 8, v0
	v_lshl_add_u32 v12, v12, 10, 0x2000
	v_lshlrev_b32_e32 v11, 23, v11
	v_and_or_b32 v0, 0x8000, v0, v12
	v_lshl_or_b32 v11, v0, 16, v11
.LBB310_1719:                           ;   in Loop: Header=BB310_1062 Depth=1
	s_or_b32 exec_lo, exec_lo, s18
.LBB310_1720:                           ;   in Loop: Header=BB310_1062 Depth=1
	s_or_b32 exec_lo, exec_lo, s17
.LBB310_1721:                           ;   in Loop: Header=BB310_1062 Depth=1
	s_or_b32 exec_lo, exec_lo, s16
	v_or_b32_e32 v0, v37, v38
	s_waitcnt vmcnt(0) lgkmcnt(0)
	v_fma_mixlo_f16 v12, v6, v37, 0 op_sel:[0,1,0] op_sel_hi:[0,1,0]
	v_or_b32_e32 v35, v22, v35
	v_fma_mixlo_f16 v22, v6, v22, 0 op_sel:[0,1,0] op_sel_hi:[0,1,0]
	v_or_b32_e32 v27, v48, v27
	v_fma_mixlo_f16 v37, v6, v0, 0 op_sel_hi:[0,1,0]
	v_or_b32_e32 v38, v11, v26
	v_lshlrev_b32_e32 v0, 16, v12
	v_lshlrev_b32_e32 v26, 16, v22
	v_fma_mixlo_f16 v22, v6, v35, 0 op_sel_hi:[0,1,0]
	v_and_b32_e32 v12, 0xffff, v37
	v_fma_mixlo_f16 v35, v6, v48, 0 op_sel:[0,1,0] op_sel_hi:[0,1,0]
	v_fma_mixlo_f16 v27, v6, v27, 0 op_sel_hi:[0,1,0]
	v_fma_mixlo_f16 v37, v6, v11, 0 op_sel:[0,1,0] op_sel_hi:[0,1,0]
	v_fma_mixlo_f16 v38, v6, v38, 0 op_sel_hi:[0,1,0]
	v_and_b32_e32 v49, 0xffff, v22
	v_lshlrev_b32_e32 v11, 16, v35
	v_and_b32_e32 v35, 0xffff, v27
	v_lshlrev_b32_e32 v6, 16, v37
	v_and_b32_e32 v22, 0xffff, v38
	v_or_b32_e32 v27, v0, v12
	v_or_b32_e32 v48, v26, v49
	;; [unrolled: 1-line block ×4, first 2 shown]
	s_and_saveexec_b32 s16, vcc_lo
	s_cbranch_execz .LBB310_1723
; %bb.1722:                             ;   in Loop: Header=BB310_1062 Depth=1
	v_cmp_lt_i32_e64 s4, v18, v36
	v_cndmask_b32_e64 v27, 0, v49, s4
	v_cmp_lt_i32_e64 s4, v100, v36
	v_cndmask_b32_e64 v26, 0, v26, s4
	v_cmp_lt_i32_e64 s4, v99, v36
	v_or_b32_e32 v48, v27, v26
	v_cndmask_b32_e64 v12, 0, v12, s4
	v_cmp_lt_i32_e64 s4, v98, v36
	v_cndmask_b32_e64 v0, 0, v0, s4
	v_cmp_lt_i32_e64 s4, v97, v36
	v_or_b32_e32 v27, v12, v0
	;; [unrolled: 5-line block ×3, first 2 shown]
	v_cndmask_b32_e64 v22, 0, v22, s4
	v_cmp_lt_i32_e64 s4, v86, v36
	v_cndmask_b32_e64 v6, 0, v6, s4
	v_or_b32_e32 v37, v22, v6
.LBB310_1723:                           ;   in Loop: Header=BB310_1062 Depth=1
	s_or_b32 exec_lo, exec_lo, s16
	;;#ASMSTART
	v_pk_mul_f16 v0, v85, v48;

	;;#ASMEND
	;;#ASMSTART
	v_pk_mul_f16 v6, v84, v27;

	;;#ASMEND
	;; [unrolled: 4-line block ×4, first 2 shown]
	;;#ASMSTART
	v_pk_add_f16 v0, v0, v6;

	;;#ASMEND
	;;#ASMSTART
	v_pk_add_f16 v0, v0, v11;

	;;#ASMEND
	;; [unrolled: 4-line block ×3, first 2 shown]
	v_and_b32_e32 v6, 0xffff, v0
	v_lshrrev_b32_e32 v0, 16, v0
	;;#ASMSTART
	v_cvt_f32_f16 v6, v6;
	;;#ASMEND
	;;#ASMSTART
	v_cvt_f32_f16 v22, v0;
	;;#ASMEND
	flat_load_dwordx2 v[11:12], v[9:10] offset:512
	flat_load_dword v35, v[72:73]
	v_mov_b32_e32 v37, 0
	v_mov_b32_e32 v38, 0
	s_waitcnt vmcnt(1) lgkmcnt(1)
	v_cmp_ne_u16_sdwa s4, v11, v1 src0_sel:BYTE_0 src1_sel:DWORD
	s_and_saveexec_b32 s16, s4
	s_cbranch_execz .LBB310_1731
; %bb.1724:                             ;   in Loop: Header=BB310_1062 Depth=1
	v_cmp_ne_u16_sdwa s4, v11, v17 src0_sel:BYTE_0 src1_sel:DWORD
	v_mov_b32_e32 v38, 0x8000
	s_and_saveexec_b32 s17, s4
	s_cbranch_execz .LBB310_1730
; %bb.1725:                             ;   in Loop: Header=BB310_1062 Depth=1
	v_and_b32_e32 v27, 0x7f, v11
	v_mov_b32_e32 v38, 0x7c01
	s_mov_b32 s18, exec_lo
	v_cmpx_ne_u32_e32 0x7f, v27
	s_cbranch_execz .LBB310_1729
; %bb.1726:                             ;   in Loop: Header=BB310_1062 Depth=1
	v_and_b32_e32 v0, 7, v11
	v_lshrrev_b32_e32 v26, 3, v27
	s_mov_b32 s20, exec_lo
	v_cmpx_gt_u32_e32 8, v27
; %bb.1727:                             ;   in Loop: Header=BB310_1062 Depth=1
	v_ffbh_u32_e32 v0, v0
	v_min_u32_e32 v0, 32, v0
	v_subrev_nc_u32_e32 v26, 28, v0
	v_lshlrev_b64 v[48:49], v26, v[11:12]
	v_sub_nc_u32_e32 v26, 29, v0
	v_and_b32_e32 v0, 7, v48
; %bb.1728:                             ;   in Loop: Header=BB310_1062 Depth=1
	s_or_b32 exec_lo, exec_lo, s20
	v_lshlrev_b32_e32 v27, 8, v11
	v_lshl_add_u32 v26, v26, 10, 0x2000
	v_lshlrev_b32_e32 v0, 7, v0
	v_and_b32_e32 v27, 0x8000, v27
	v_and_b32_e32 v26, 0xfc00, v26
	v_or3_b32 v38, v27, v26, v0
.LBB310_1729:                           ;   in Loop: Header=BB310_1062 Depth=1
	s_or_b32 exec_lo, exec_lo, s18
.LBB310_1730:                           ;   in Loop: Header=BB310_1062 Depth=1
	s_or_b32 exec_lo, exec_lo, s17
.LBB310_1731:                           ;   in Loop: Header=BB310_1062 Depth=1
	s_or_b32 exec_lo, exec_lo, s16
	v_lshrrev_b16 v0, 8, v11
	s_mov_b32 s16, exec_lo
	v_cmpx_ne_u16_e32 0, v0
	s_cbranch_execz .LBB310_1739
; %bb.1732:                             ;   in Loop: Header=BB310_1062 Depth=1
	v_bfrev_b32_e32 v37, 1
	s_mov_b32 s17, exec_lo
	v_cmpx_ne_u16_e32 0x80, v0
	s_cbranch_execz .LBB310_1738
; %bb.1733:                             ;   in Loop: Header=BB310_1062 Depth=1
	v_and_b32_sdwa v48, v0, v53 dst_sel:DWORD dst_unused:UNUSED_PAD src0_sel:WORD_0 src1_sel:DWORD
	v_mov_b32_e32 v37, 0x7c010000
	s_mov_b32 s18, exec_lo
	v_cmpx_ne_u32_e32 0x7f, v48
	s_cbranch_execz .LBB310_1737
; %bb.1734:                             ;   in Loop: Header=BB310_1062 Depth=1
	v_and_b32_sdwa v26, v0, v54 dst_sel:DWORD dst_unused:UNUSED_PAD src0_sel:WORD_0 src1_sel:DWORD
	v_lshrrev_b32_e32 v27, 3, v48
	s_mov_b32 s20, exec_lo
	v_cmpx_gt_u32_e32 8, v48
; %bb.1735:                             ;   in Loop: Header=BB310_1062 Depth=1
	v_ffbh_u32_e32 v26, v26
	v_min_u32_e32 v37, 32, v26
	v_subrev_nc_u32_e32 v26, 28, v37
	v_lshlrev_b64 v[26:27], v26, v[0:1]
	v_sub_nc_u32_e32 v27, 29, v37
	v_and_b32_e32 v26, 7, v26
; %bb.1736:                             ;   in Loop: Header=BB310_1062 Depth=1
	s_or_b32 exec_lo, exec_lo, s20
	v_lshlrev_b32_sdwa v0, v71, v0 dst_sel:DWORD dst_unused:UNUSED_PAD src0_sel:DWORD src1_sel:WORD_0
	v_lshl_add_u32 v27, v27, 10, 0x2000
	v_lshlrev_b32_e32 v26, 23, v26
	v_and_or_b32 v0, 0x8000, v0, v27
	v_lshl_or_b32 v37, v0, 16, v26
.LBB310_1737:                           ;   in Loop: Header=BB310_1062 Depth=1
	s_or_b32 exec_lo, exec_lo, s18
.LBB310_1738:                           ;   in Loop: Header=BB310_1062 Depth=1
	s_or_b32 exec_lo, exec_lo, s17
.LBB310_1739:                           ;   in Loop: Header=BB310_1062 Depth=1
	s_or_b32 exec_lo, exec_lo, s16
	v_lshrrev_b32_e32 v0, 16, v11
	v_mov_b32_e32 v48, 0
	v_mov_b32_e32 v49, 0
	v_cmp_ne_u16_sdwa s4, v0, v1 src0_sel:BYTE_0 src1_sel:DWORD
	s_and_saveexec_b32 s16, s4
	s_cbranch_execz .LBB310_1747
; %bb.1740:                             ;   in Loop: Header=BB310_1062 Depth=1
	v_cmp_ne_u16_sdwa s4, v0, v17 src0_sel:BYTE_0 src1_sel:DWORD
	v_mov_b32_e32 v49, 0x8000
	s_and_saveexec_b32 s17, s4
	s_cbranch_execz .LBB310_1746
; %bb.1741:                             ;   in Loop: Header=BB310_1062 Depth=1
	v_bfe_u32 v50, v11, 16, 7
	v_mov_b32_e32 v49, 0x7c01
	s_mov_b32 s18, exec_lo
	v_cmpx_ne_u32_e32 0x7f, v50
	s_cbranch_execz .LBB310_1745
; %bb.1742:                             ;   in Loop: Header=BB310_1062 Depth=1
	v_and_b32_e32 v26, 7, v0
	v_lshrrev_b32_e32 v27, 3, v50
	s_mov_b32 s20, exec_lo
	v_cmpx_gt_u32_e32 8, v50
; %bb.1743:                             ;   in Loop: Header=BB310_1062 Depth=1
	v_ffbh_u32_e32 v26, v26
	v_min_u32_e32 v49, 32, v26
	v_subrev_nc_u32_e32 v26, 28, v49
	v_lshlrev_b64 v[26:27], v26, v[0:1]
	v_sub_nc_u32_e32 v27, 29, v49
	v_and_b32_e32 v26, 7, v26
; %bb.1744:                             ;   in Loop: Header=BB310_1062 Depth=1
	s_or_b32 exec_lo, exec_lo, s20
	v_lshlrev_b32_e32 v0, 8, v0
	v_lshl_add_u32 v27, v27, 10, 0x2000
	v_lshlrev_b32_e32 v26, 7, v26
	v_and_b32_e32 v0, 0x8000, v0
	v_and_b32_e32 v27, 0xfc00, v27
	v_or3_b32 v49, v0, v27, v26
.LBB310_1745:                           ;   in Loop: Header=BB310_1062 Depth=1
	s_or_b32 exec_lo, exec_lo, s18
.LBB310_1746:                           ;   in Loop: Header=BB310_1062 Depth=1
	s_or_b32 exec_lo, exec_lo, s17
.LBB310_1747:                           ;   in Loop: Header=BB310_1062 Depth=1
	s_or_b32 exec_lo, exec_lo, s16
	s_mov_b32 s16, exec_lo
	v_cmpx_lt_u32_e32 0xffffff, v11
	s_cbranch_execz .LBB310_1755
; %bb.1748:                             ;   in Loop: Header=BB310_1062 Depth=1
	v_lshrrev_b32_e32 v0, 24, v11
	v_bfrev_b32_e32 v48, 1
	s_mov_b32 s17, exec_lo
	v_cmpx_ne_u32_e32 0x80, v0
	s_cbranch_execz .LBB310_1754
; %bb.1749:                             ;   in Loop: Header=BB310_1062 Depth=1
	v_and_b32_e32 v50, 0x7f, v0
	v_mov_b32_e32 v48, 0x7c010000
	s_mov_b32 s18, exec_lo
	v_cmpx_ne_u32_e32 0x7f, v50
	s_cbranch_execz .LBB310_1753
; %bb.1750:                             ;   in Loop: Header=BB310_1062 Depth=1
	v_and_b32_e32 v26, 7, v0
	v_lshrrev_b32_e32 v27, 3, v50
	s_mov_b32 s20, exec_lo
	v_cmpx_gt_u32_e32 8, v50
; %bb.1751:                             ;   in Loop: Header=BB310_1062 Depth=1
	v_ffbh_u32_e32 v26, v26
	v_min_u32_e32 v48, 32, v26
	v_subrev_nc_u32_e32 v26, 28, v48
	v_lshlrev_b64 v[26:27], v26, v[0:1]
	v_sub_nc_u32_e32 v27, 29, v48
	v_and_b32_e32 v26, 7, v26
; %bb.1752:                             ;   in Loop: Header=BB310_1062 Depth=1
	s_or_b32 exec_lo, exec_lo, s20
	v_lshlrev_b32_e32 v0, 8, v0
	v_lshl_add_u32 v27, v27, 10, 0x2000
	v_lshlrev_b32_e32 v26, 23, v26
	v_and_or_b32 v0, 0x8000, v0, v27
	v_lshl_or_b32 v48, v0, 16, v26
.LBB310_1753:                           ;   in Loop: Header=BB310_1062 Depth=1
	s_or_b32 exec_lo, exec_lo, s18
.LBB310_1754:                           ;   in Loop: Header=BB310_1062 Depth=1
	s_or_b32 exec_lo, exec_lo, s17
.LBB310_1755:                           ;   in Loop: Header=BB310_1062 Depth=1
	s_or_b32 exec_lo, exec_lo, s16
	v_mov_b32_e32 v0, v12
	v_cmp_ne_u16_sdwa s4, v12, v1 src0_sel:BYTE_0 src1_sel:DWORD
	v_mov_b32_e32 v26, 0
	v_mov_b32_e32 v27, 0
	s_and_saveexec_b32 s16, s4
	s_cbranch_execz .LBB310_1763
; %bb.1756:                             ;   in Loop: Header=BB310_1062 Depth=1
	v_cmp_ne_u16_sdwa s4, v12, v17 src0_sel:BYTE_0 src1_sel:DWORD
	v_mov_b32_e32 v27, 0x8000
	s_and_saveexec_b32 s17, s4
	s_cbranch_execz .LBB310_1762
; %bb.1757:                             ;   in Loop: Header=BB310_1062 Depth=1
	v_and_b32_e32 v51, 0x7f, v12
	v_mov_b32_e32 v27, 0x7c01
	s_mov_b32 s18, exec_lo
	v_cmpx_ne_u32_e32 0x7f, v51
	s_cbranch_execz .LBB310_1761
; %bb.1758:                             ;   in Loop: Header=BB310_1062 Depth=1
	v_and_b32_e32 v27, 7, v12
	v_lshrrev_b32_e32 v50, 3, v51
	s_mov_b32 s20, exec_lo
	v_cmpx_gt_u32_e32 8, v51
; %bb.1759:                             ;   in Loop: Header=BB310_1062 Depth=1
	v_ffbh_u32_e32 v27, v27
	v_min_u32_e32 v27, 32, v27
	v_subrev_nc_u32_e32 v50, 28, v27
	v_lshlrev_b64 v[43:44], v50, v[0:1]
	v_sub_nc_u32_e32 v50, 29, v27
	v_and_b32_e32 v27, 7, v43
; %bb.1760:                             ;   in Loop: Header=BB310_1062 Depth=1
	s_or_b32 exec_lo, exec_lo, s20
	v_lshlrev_b32_e32 v51, 8, v12
	v_lshl_add_u32 v50, v50, 10, 0x2000
	v_lshlrev_b32_e32 v27, 7, v27
	v_and_b32_e32 v51, 0x8000, v51
	v_and_b32_e32 v50, 0xfc00, v50
	v_or3_b32 v27, v51, v50, v27
.LBB310_1761:                           ;   in Loop: Header=BB310_1062 Depth=1
	s_or_b32 exec_lo, exec_lo, s18
.LBB310_1762:                           ;   in Loop: Header=BB310_1062 Depth=1
	s_or_b32 exec_lo, exec_lo, s17
.LBB310_1763:                           ;   in Loop: Header=BB310_1062 Depth=1
	s_or_b32 exec_lo, exec_lo, s16
	v_lshrrev_b16 v0, 8, v0
	v_mov_b32_e32 v50, 0
	s_mov_b32 s16, exec_lo
	v_cmpx_ne_u16_e32 0, v0
	s_cbranch_execz .LBB310_1771
; %bb.1764:                             ;   in Loop: Header=BB310_1062 Depth=1
	v_bfrev_b32_e32 v50, 1
	s_mov_b32 s17, exec_lo
	v_cmpx_ne_u16_e32 0x80, v0
	s_cbranch_execz .LBB310_1770
; %bb.1765:                             ;   in Loop: Header=BB310_1062 Depth=1
	v_and_b32_sdwa v70, v0, v53 dst_sel:DWORD dst_unused:UNUSED_PAD src0_sel:WORD_0 src1_sel:DWORD
	v_mov_b32_e32 v50, 0x7c010000
	s_mov_b32 s18, exec_lo
	v_cmpx_ne_u32_e32 0x7f, v70
	s_cbranch_execz .LBB310_1769
; %bb.1766:                             ;   in Loop: Header=BB310_1062 Depth=1
	v_and_b32_sdwa v50, v0, v54 dst_sel:DWORD dst_unused:UNUSED_PAD src0_sel:WORD_0 src1_sel:DWORD
	v_lshrrev_b32_e32 v51, 3, v70
	s_mov_b32 s20, exec_lo
	v_cmpx_gt_u32_e32 8, v70
; %bb.1767:                             ;   in Loop: Header=BB310_1062 Depth=1
	v_ffbh_u32_e32 v50, v50
	v_min_u32_e32 v70, 32, v50
	v_subrev_nc_u32_e32 v50, 28, v70
	v_lshlrev_b64 v[50:51], v50, v[0:1]
	v_sub_nc_u32_e32 v51, 29, v70
	v_and_b32_e32 v50, 7, v50
; %bb.1768:                             ;   in Loop: Header=BB310_1062 Depth=1
	s_or_b32 exec_lo, exec_lo, s20
	v_lshlrev_b32_sdwa v0, v71, v0 dst_sel:DWORD dst_unused:UNUSED_PAD src0_sel:DWORD src1_sel:WORD_0
	v_lshl_add_u32 v51, v51, 10, 0x2000
	v_lshlrev_b32_e32 v50, 23, v50
	v_and_or_b32 v0, 0x8000, v0, v51
	v_lshl_or_b32 v50, v0, 16, v50
.LBB310_1769:                           ;   in Loop: Header=BB310_1062 Depth=1
	s_or_b32 exec_lo, exec_lo, s18
.LBB310_1770:                           ;   in Loop: Header=BB310_1062 Depth=1
	s_or_b32 exec_lo, exec_lo, s17
.LBB310_1771:                           ;   in Loop: Header=BB310_1062 Depth=1
	s_or_b32 exec_lo, exec_lo, s16
	v_lshrrev_b32_e32 v0, 16, v12
	v_cmp_ne_u16_sdwa s4, v0, v1 src0_sel:BYTE_0 src1_sel:DWORD
	s_and_saveexec_b32 s16, s4
	s_cbranch_execz .LBB310_1779
; %bb.1772:                             ;   in Loop: Header=BB310_1062 Depth=1
	v_cmp_ne_u16_sdwa s4, v0, v17 src0_sel:BYTE_0 src1_sel:DWORD
	v_mov_b32_e32 v26, 0x8000
	s_and_saveexec_b32 s17, s4
	s_cbranch_execz .LBB310_1778
; %bb.1773:                             ;   in Loop: Header=BB310_1062 Depth=1
	v_bfe_u32 v70, v12, 16, 7
	v_mov_b32_e32 v26, 0x7c01
	s_mov_b32 s18, exec_lo
	v_cmpx_ne_u32_e32 0x7f, v70
	s_cbranch_execz .LBB310_1777
; %bb.1774:                             ;   in Loop: Header=BB310_1062 Depth=1
	v_and_b32_e32 v26, 7, v0
	v_lshrrev_b32_e32 v51, 3, v70
	s_mov_b32 s20, exec_lo
	v_cmpx_gt_u32_e32 8, v70
; %bb.1775:                             ;   in Loop: Header=BB310_1062 Depth=1
	v_ffbh_u32_e32 v26, v26
	v_min_u32_e32 v26, 32, v26
	v_subrev_nc_u32_e32 v51, 28, v26
	v_lshlrev_b64 v[43:44], v51, v[0:1]
	v_sub_nc_u32_e32 v51, 29, v26
	v_and_b32_e32 v26, 7, v43
; %bb.1776:                             ;   in Loop: Header=BB310_1062 Depth=1
	s_or_b32 exec_lo, exec_lo, s20
	v_lshlrev_b32_e32 v0, 8, v0
	v_lshl_add_u32 v51, v51, 10, 0x2000
	v_lshlrev_b32_e32 v26, 7, v26
	v_and_b32_e32 v0, 0x8000, v0
	v_and_b32_e32 v51, 0xfc00, v51
	v_or3_b32 v26, v0, v51, v26
.LBB310_1777:                           ;   in Loop: Header=BB310_1062 Depth=1
	s_or_b32 exec_lo, exec_lo, s18
.LBB310_1778:                           ;   in Loop: Header=BB310_1062 Depth=1
	s_or_b32 exec_lo, exec_lo, s17
.LBB310_1779:                           ;   in Loop: Header=BB310_1062 Depth=1
	s_or_b32 exec_lo, exec_lo, s16
	v_cmp_lt_u64_e64 s4, s[12:13], v[11:12]
	v_mov_b32_e32 v11, 0
	s_and_saveexec_b32 s16, s4
	s_cbranch_execz .LBB310_1787
; %bb.1780:                             ;   in Loop: Header=BB310_1062 Depth=1
	v_lshrrev_b32_e32 v0, 24, v12
	v_bfrev_b32_e32 v11, 1
	s_mov_b32 s17, exec_lo
	v_cmpx_ne_u32_e32 0x80, v0
	s_cbranch_execz .LBB310_1786
; %bb.1781:                             ;   in Loop: Header=BB310_1062 Depth=1
	v_and_b32_e32 v51, 0x7f, v0
	v_mov_b32_e32 v11, 0x7c010000
	s_mov_b32 s18, exec_lo
	v_cmpx_ne_u32_e32 0x7f, v51
	s_cbranch_execz .LBB310_1785
; %bb.1782:                             ;   in Loop: Header=BB310_1062 Depth=1
	v_and_b32_e32 v11, 7, v0
	v_lshrrev_b32_e32 v12, 3, v51
	s_mov_b32 s20, exec_lo
	v_cmpx_gt_u32_e32 8, v51
; %bb.1783:                             ;   in Loop: Header=BB310_1062 Depth=1
	v_ffbh_u32_e32 v11, v11
	v_min_u32_e32 v51, 32, v11
	v_subrev_nc_u32_e32 v11, 28, v51
	v_lshlrev_b64 v[11:12], v11, v[0:1]
	v_sub_nc_u32_e32 v12, 29, v51
	v_and_b32_e32 v11, 7, v11
; %bb.1784:                             ;   in Loop: Header=BB310_1062 Depth=1
	s_or_b32 exec_lo, exec_lo, s20
	v_lshlrev_b32_e32 v0, 8, v0
	v_lshl_add_u32 v12, v12, 10, 0x2000
	v_lshlrev_b32_e32 v11, 23, v11
	v_and_or_b32 v0, 0x8000, v0, v12
	v_lshl_or_b32 v11, v0, 16, v11
.LBB310_1785:                           ;   in Loop: Header=BB310_1062 Depth=1
	s_or_b32 exec_lo, exec_lo, s18
.LBB310_1786:                           ;   in Loop: Header=BB310_1062 Depth=1
	s_or_b32 exec_lo, exec_lo, s17
.LBB310_1787:                           ;   in Loop: Header=BB310_1062 Depth=1
	s_or_b32 exec_lo, exec_lo, s16
	v_or_b32_e32 v0, v48, v49
	s_waitcnt vmcnt(0) lgkmcnt(0)
	v_fma_mixlo_f16 v12, v35, v48, 0 op_sel:[0,1,0] op_sel_hi:[0,1,0]
	v_or_b32_e32 v38, v37, v38
	v_or_b32_e32 v27, v50, v27
	;; [unrolled: 1-line block ×3, first 2 shown]
	v_fma_mixlo_f16 v48, v35, v0, 0 op_sel_hi:[0,1,0]
	v_fma_mixlo_f16 v37, v35, v37, 0 op_sel:[0,1,0] op_sel_hi:[0,1,0]
	v_lshlrev_b32_e32 v0, 16, v12
	v_fma_mixlo_f16 v38, v35, v38, 0 op_sel_hi:[0,1,0]
	v_fma_mixlo_f16 v27, v35, v27, 0 op_sel_hi:[0,1,0]
	v_and_b32_e32 v12, 0xffff, v48
	v_fma_mixlo_f16 v48, v35, v50, 0 op_sel:[0,1,0] op_sel_hi:[0,1,0]
	v_fma_mixlo_f16 v11, v35, v11, 0 op_sel:[0,1,0] op_sel_hi:[0,1,0]
	v_fma_mixlo_f16 v35, v35, v26, 0 op_sel_hi:[0,1,0]
	v_lshlrev_b32_e32 v37, 16, v37
	v_and_b32_e32 v51, 0xffff, v38
	v_lshlrev_b32_e32 v26, 16, v48
	v_and_b32_e32 v38, 0xffff, v27
	;; [unrolled: 2-line block ×3, first 2 shown]
	v_or_b32_e32 v35, v0, v12
	v_or_b32_e32 v50, v37, v51
	v_or_b32_e32 v49, v26, v38
	v_or_b32_e32 v48, v11, v27
	s_and_saveexec_b32 s16, vcc_lo
	s_cbranch_execz .LBB310_1789
; %bb.1788:                             ;   in Loop: Header=BB310_1062 Depth=1
	v_cmp_lt_i32_e64 s4, v18, v36
	v_cndmask_b32_e64 v35, 0, v51, s4
	v_cmp_lt_i32_e64 s4, v100, v36
	v_cndmask_b32_e64 v37, 0, v37, s4
	v_cmp_lt_i32_e64 s4, v99, v36
	v_or_b32_e32 v50, v35, v37
	v_cndmask_b32_e64 v12, 0, v12, s4
	v_cmp_lt_i32_e64 s4, v98, v36
	v_cndmask_b32_e64 v0, 0, v0, s4
	v_cmp_lt_i32_e64 s4, v97, v36
	v_or_b32_e32 v35, v12, v0
	v_cndmask_b32_e64 v38, 0, v38, s4
	v_cmp_lt_i32_e64 s4, v96, v36
	v_cndmask_b32_e64 v26, 0, v26, s4
	v_cmp_lt_i32_e64 s4, v87, v36
	v_or_b32_e32 v49, v38, v26
	v_cndmask_b32_e64 v27, 0, v27, s4
	v_cmp_lt_i32_e64 s4, v86, v36
	v_cndmask_b32_e64 v11, 0, v11, s4
	v_or_b32_e32 v48, v27, v11
.LBB310_1789:                           ;   in Loop: Header=BB310_1062 Depth=1
	s_or_b32 exec_lo, exec_lo, s16
	;;#ASMSTART
	v_pk_mul_f16 v0, v85, v50;

	;;#ASMEND
	;;#ASMSTART
	v_pk_mul_f16 v11, v84, v35;

	;;#ASMEND
	;; [unrolled: 4-line block ×4, first 2 shown]
	;;#ASMSTART
	v_pk_add_f16 v0, v0, v11;

	;;#ASMEND
	;;#ASMSTART
	v_pk_add_f16 v0, v0, v12;

	;;#ASMEND
	;; [unrolled: 4-line block ×3, first 2 shown]
	v_and_b32_e32 v11, 0xffff, v0
	v_lshrrev_b32_e32 v0, 16, v0
	;;#ASMSTART
	v_cvt_f32_f16 v35, v11;
	;;#ASMEND
	;;#ASMSTART
	v_cvt_f32_f16 v37, v0;
	;;#ASMEND
	flat_load_dwordx2 v[11:12], v[9:10] offset:768
	flat_load_dword v38, v[72:73]
	v_mov_b32_e32 v48, 0
	v_mov_b32_e32 v49, 0
	s_waitcnt vmcnt(1) lgkmcnt(1)
	v_cmp_ne_u16_sdwa s4, v11, v1 src0_sel:BYTE_0 src1_sel:DWORD
	s_and_saveexec_b32 s16, s4
	s_cbranch_execz .LBB310_1797
; %bb.1790:                             ;   in Loop: Header=BB310_1062 Depth=1
	v_cmp_ne_u16_sdwa s4, v11, v17 src0_sel:BYTE_0 src1_sel:DWORD
	v_mov_b32_e32 v49, 0x8000
	s_and_saveexec_b32 s17, s4
	s_cbranch_execz .LBB310_1796
; %bb.1791:                             ;   in Loop: Header=BB310_1062 Depth=1
	v_and_b32_e32 v27, 0x7f, v11
	v_mov_b32_e32 v49, 0x7c01
	s_mov_b32 s18, exec_lo
	v_cmpx_ne_u32_e32 0x7f, v27
	s_cbranch_execz .LBB310_1795
; %bb.1792:                             ;   in Loop: Header=BB310_1062 Depth=1
	v_and_b32_e32 v0, 7, v11
	v_lshrrev_b32_e32 v26, 3, v27
	s_mov_b32 s20, exec_lo
	v_cmpx_gt_u32_e32 8, v27
; %bb.1793:                             ;   in Loop: Header=BB310_1062 Depth=1
	v_ffbh_u32_e32 v0, v0
	v_min_u32_e32 v0, 32, v0
	v_subrev_nc_u32_e32 v26, 28, v0
	v_lshlrev_b64 v[49:50], v26, v[11:12]
	v_sub_nc_u32_e32 v26, 29, v0
	v_and_b32_e32 v0, 7, v49
; %bb.1794:                             ;   in Loop: Header=BB310_1062 Depth=1
	s_or_b32 exec_lo, exec_lo, s20
	v_lshlrev_b32_e32 v27, 8, v11
	v_lshl_add_u32 v26, v26, 10, 0x2000
	v_lshlrev_b32_e32 v0, 7, v0
	v_and_b32_e32 v27, 0x8000, v27
	v_and_b32_e32 v26, 0xfc00, v26
	v_or3_b32 v49, v27, v26, v0
.LBB310_1795:                           ;   in Loop: Header=BB310_1062 Depth=1
	s_or_b32 exec_lo, exec_lo, s18
.LBB310_1796:                           ;   in Loop: Header=BB310_1062 Depth=1
	s_or_b32 exec_lo, exec_lo, s17
.LBB310_1797:                           ;   in Loop: Header=BB310_1062 Depth=1
	s_or_b32 exec_lo, exec_lo, s16
	v_lshrrev_b16 v0, 8, v11
	s_mov_b32 s16, exec_lo
	v_cmpx_ne_u16_e32 0, v0
	s_cbranch_execz .LBB310_1805
; %bb.1798:                             ;   in Loop: Header=BB310_1062 Depth=1
	v_bfrev_b32_e32 v48, 1
	s_mov_b32 s17, exec_lo
	v_cmpx_ne_u16_e32 0x80, v0
	s_cbranch_execz .LBB310_1804
; %bb.1799:                             ;   in Loop: Header=BB310_1062 Depth=1
	v_and_b32_sdwa v50, v0, v53 dst_sel:DWORD dst_unused:UNUSED_PAD src0_sel:WORD_0 src1_sel:DWORD
	v_mov_b32_e32 v48, 0x7c010000
	s_mov_b32 s18, exec_lo
	v_cmpx_ne_u32_e32 0x7f, v50
	s_cbranch_execz .LBB310_1803
; %bb.1800:                             ;   in Loop: Header=BB310_1062 Depth=1
	v_and_b32_sdwa v26, v0, v54 dst_sel:DWORD dst_unused:UNUSED_PAD src0_sel:WORD_0 src1_sel:DWORD
	v_lshrrev_b32_e32 v27, 3, v50
	s_mov_b32 s20, exec_lo
	v_cmpx_gt_u32_e32 8, v50
; %bb.1801:                             ;   in Loop: Header=BB310_1062 Depth=1
	v_ffbh_u32_e32 v26, v26
	v_min_u32_e32 v48, 32, v26
	v_subrev_nc_u32_e32 v26, 28, v48
	v_lshlrev_b64 v[26:27], v26, v[0:1]
	v_sub_nc_u32_e32 v27, 29, v48
	v_and_b32_e32 v26, 7, v26
; %bb.1802:                             ;   in Loop: Header=BB310_1062 Depth=1
	s_or_b32 exec_lo, exec_lo, s20
	v_lshlrev_b32_sdwa v0, v71, v0 dst_sel:DWORD dst_unused:UNUSED_PAD src0_sel:DWORD src1_sel:WORD_0
	v_lshl_add_u32 v27, v27, 10, 0x2000
	v_lshlrev_b32_e32 v26, 23, v26
	v_and_or_b32 v0, 0x8000, v0, v27
	v_lshl_or_b32 v48, v0, 16, v26
.LBB310_1803:                           ;   in Loop: Header=BB310_1062 Depth=1
	s_or_b32 exec_lo, exec_lo, s18
.LBB310_1804:                           ;   in Loop: Header=BB310_1062 Depth=1
	s_or_b32 exec_lo, exec_lo, s17
.LBB310_1805:                           ;   in Loop: Header=BB310_1062 Depth=1
	s_or_b32 exec_lo, exec_lo, s16
	v_lshrrev_b32_e32 v0, 16, v11
	v_mov_b32_e32 v50, 0
	v_mov_b32_e32 v51, 0
	v_cmp_ne_u16_sdwa s4, v0, v1 src0_sel:BYTE_0 src1_sel:DWORD
	s_and_saveexec_b32 s16, s4
	s_cbranch_execz .LBB310_1813
; %bb.1806:                             ;   in Loop: Header=BB310_1062 Depth=1
	v_cmp_ne_u16_sdwa s4, v0, v17 src0_sel:BYTE_0 src1_sel:DWORD
	v_mov_b32_e32 v51, 0x8000
	s_and_saveexec_b32 s17, s4
	s_cbranch_execz .LBB310_1812
; %bb.1807:                             ;   in Loop: Header=BB310_1062 Depth=1
	v_bfe_u32 v70, v11, 16, 7
	v_mov_b32_e32 v51, 0x7c01
	s_mov_b32 s18, exec_lo
	v_cmpx_ne_u32_e32 0x7f, v70
	s_cbranch_execz .LBB310_1811
; %bb.1808:                             ;   in Loop: Header=BB310_1062 Depth=1
	v_and_b32_e32 v26, 7, v0
	v_lshrrev_b32_e32 v27, 3, v70
	s_mov_b32 s20, exec_lo
	v_cmpx_gt_u32_e32 8, v70
; %bb.1809:                             ;   in Loop: Header=BB310_1062 Depth=1
	v_ffbh_u32_e32 v26, v26
	v_min_u32_e32 v51, 32, v26
	v_subrev_nc_u32_e32 v26, 28, v51
	v_lshlrev_b64 v[26:27], v26, v[0:1]
	v_sub_nc_u32_e32 v27, 29, v51
	v_and_b32_e32 v26, 7, v26
; %bb.1810:                             ;   in Loop: Header=BB310_1062 Depth=1
	s_or_b32 exec_lo, exec_lo, s20
	v_lshlrev_b32_e32 v0, 8, v0
	v_lshl_add_u32 v27, v27, 10, 0x2000
	v_lshlrev_b32_e32 v26, 7, v26
	v_and_b32_e32 v0, 0x8000, v0
	v_and_b32_e32 v27, 0xfc00, v27
	v_or3_b32 v51, v0, v27, v26
.LBB310_1811:                           ;   in Loop: Header=BB310_1062 Depth=1
	s_or_b32 exec_lo, exec_lo, s18
.LBB310_1812:                           ;   in Loop: Header=BB310_1062 Depth=1
	s_or_b32 exec_lo, exec_lo, s17
.LBB310_1813:                           ;   in Loop: Header=BB310_1062 Depth=1
	s_or_b32 exec_lo, exec_lo, s16
	s_mov_b32 s16, exec_lo
	v_cmpx_lt_u32_e32 0xffffff, v11
	s_cbranch_execz .LBB310_1821
; %bb.1814:                             ;   in Loop: Header=BB310_1062 Depth=1
	v_lshrrev_b32_e32 v0, 24, v11
	v_bfrev_b32_e32 v50, 1
	s_mov_b32 s17, exec_lo
	v_cmpx_ne_u32_e32 0x80, v0
	s_cbranch_execz .LBB310_1820
; %bb.1815:                             ;   in Loop: Header=BB310_1062 Depth=1
	v_and_b32_e32 v70, 0x7f, v0
	v_mov_b32_e32 v50, 0x7c010000
	s_mov_b32 s18, exec_lo
	v_cmpx_ne_u32_e32 0x7f, v70
	s_cbranch_execz .LBB310_1819
; %bb.1816:                             ;   in Loop: Header=BB310_1062 Depth=1
	v_and_b32_e32 v26, 7, v0
	v_lshrrev_b32_e32 v27, 3, v70
	s_mov_b32 s20, exec_lo
	v_cmpx_gt_u32_e32 8, v70
; %bb.1817:                             ;   in Loop: Header=BB310_1062 Depth=1
	v_ffbh_u32_e32 v26, v26
	v_min_u32_e32 v50, 32, v26
	v_subrev_nc_u32_e32 v26, 28, v50
	v_lshlrev_b64 v[26:27], v26, v[0:1]
	v_sub_nc_u32_e32 v27, 29, v50
	v_and_b32_e32 v26, 7, v26
; %bb.1818:                             ;   in Loop: Header=BB310_1062 Depth=1
	s_or_b32 exec_lo, exec_lo, s20
	v_lshlrev_b32_e32 v0, 8, v0
	v_lshl_add_u32 v27, v27, 10, 0x2000
	v_lshlrev_b32_e32 v26, 23, v26
	v_and_or_b32 v0, 0x8000, v0, v27
	v_lshl_or_b32 v50, v0, 16, v26
.LBB310_1819:                           ;   in Loop: Header=BB310_1062 Depth=1
	s_or_b32 exec_lo, exec_lo, s18
.LBB310_1820:                           ;   in Loop: Header=BB310_1062 Depth=1
	s_or_b32 exec_lo, exec_lo, s17
.LBB310_1821:                           ;   in Loop: Header=BB310_1062 Depth=1
	s_or_b32 exec_lo, exec_lo, s16
	v_mov_b32_e32 v0, v12
	v_cmp_ne_u16_sdwa s4, v12, v1 src0_sel:BYTE_0 src1_sel:DWORD
	v_mov_b32_e32 v26, 0
	v_mov_b32_e32 v27, 0
	s_and_saveexec_b32 s16, s4
	s_cbranch_execz .LBB310_1829
; %bb.1822:                             ;   in Loop: Header=BB310_1062 Depth=1
	v_cmp_ne_u16_sdwa s4, v12, v17 src0_sel:BYTE_0 src1_sel:DWORD
	v_mov_b32_e32 v27, 0x8000
	s_and_saveexec_b32 s17, s4
	s_cbranch_execz .LBB310_1828
; %bb.1823:                             ;   in Loop: Header=BB310_1062 Depth=1
	v_and_b32_e32 v112, 0x7f, v12
	v_mov_b32_e32 v27, 0x7c01
	s_mov_b32 s18, exec_lo
	v_cmpx_ne_u32_e32 0x7f, v112
	s_cbranch_execz .LBB310_1827
; %bb.1824:                             ;   in Loop: Header=BB310_1062 Depth=1
	v_and_b32_e32 v27, 7, v12
	v_lshrrev_b32_e32 v70, 3, v112
	s_mov_b32 s20, exec_lo
	v_cmpx_gt_u32_e32 8, v112
; %bb.1825:                             ;   in Loop: Header=BB310_1062 Depth=1
	v_ffbh_u32_e32 v27, v27
	v_min_u32_e32 v27, 32, v27
	v_subrev_nc_u32_e32 v70, 28, v27
	v_lshlrev_b64 v[43:44], v70, v[0:1]
	v_sub_nc_u32_e32 v70, 29, v27
	v_and_b32_e32 v27, 7, v43
; %bb.1826:                             ;   in Loop: Header=BB310_1062 Depth=1
	s_or_b32 exec_lo, exec_lo, s20
	v_lshlrev_b32_e32 v112, 8, v12
	v_lshl_add_u32 v70, v70, 10, 0x2000
	v_lshlrev_b32_e32 v27, 7, v27
	v_and_b32_e32 v112, 0x8000, v112
	v_and_b32_e32 v70, 0xfc00, v70
	v_or3_b32 v27, v112, v70, v27
.LBB310_1827:                           ;   in Loop: Header=BB310_1062 Depth=1
	s_or_b32 exec_lo, exec_lo, s18
.LBB310_1828:                           ;   in Loop: Header=BB310_1062 Depth=1
	s_or_b32 exec_lo, exec_lo, s17
.LBB310_1829:                           ;   in Loop: Header=BB310_1062 Depth=1
	s_or_b32 exec_lo, exec_lo, s16
	v_lshrrev_b16 v0, 8, v0
	v_mov_b32_e32 v70, 0
	s_mov_b32 s16, exec_lo
	v_cmpx_ne_u16_e32 0, v0
	s_cbranch_execz .LBB310_1837
; %bb.1830:                             ;   in Loop: Header=BB310_1062 Depth=1
	v_bfrev_b32_e32 v70, 1
	s_mov_b32 s17, exec_lo
	v_cmpx_ne_u16_e32 0x80, v0
	s_cbranch_execz .LBB310_1836
; %bb.1831:                             ;   in Loop: Header=BB310_1062 Depth=1
	v_and_b32_sdwa v114, v0, v53 dst_sel:DWORD dst_unused:UNUSED_PAD src0_sel:WORD_0 src1_sel:DWORD
	v_mov_b32_e32 v70, 0x7c010000
	s_mov_b32 s18, exec_lo
	v_cmpx_ne_u32_e32 0x7f, v114
	s_cbranch_execz .LBB310_1835
; %bb.1832:                             ;   in Loop: Header=BB310_1062 Depth=1
	v_and_b32_sdwa v70, v0, v54 dst_sel:DWORD dst_unused:UNUSED_PAD src0_sel:WORD_0 src1_sel:DWORD
	v_lshrrev_b32_e32 v112, 3, v114
	s_mov_b32 s20, exec_lo
	v_cmpx_gt_u32_e32 8, v114
; %bb.1833:                             ;   in Loop: Header=BB310_1062 Depth=1
	v_ffbh_u32_e32 v70, v70
	v_min_u32_e32 v70, 32, v70
	v_subrev_nc_u32_e32 v112, 28, v70
	v_lshlrev_b64 v[43:44], v112, v[0:1]
	v_sub_nc_u32_e32 v112, 29, v70
	v_and_b32_e32 v70, 7, v43
; %bb.1834:                             ;   in Loop: Header=BB310_1062 Depth=1
	s_or_b32 exec_lo, exec_lo, s20
	v_lshlrev_b32_sdwa v0, v71, v0 dst_sel:DWORD dst_unused:UNUSED_PAD src0_sel:DWORD src1_sel:WORD_0
	v_lshl_add_u32 v112, v112, 10, 0x2000
	v_lshlrev_b32_e32 v70, 23, v70
	v_and_or_b32 v0, 0x8000, v0, v112
	v_lshl_or_b32 v70, v0, 16, v70
.LBB310_1835:                           ;   in Loop: Header=BB310_1062 Depth=1
	s_or_b32 exec_lo, exec_lo, s18
.LBB310_1836:                           ;   in Loop: Header=BB310_1062 Depth=1
	s_or_b32 exec_lo, exec_lo, s17
.LBB310_1837:                           ;   in Loop: Header=BB310_1062 Depth=1
	s_or_b32 exec_lo, exec_lo, s16
	v_lshrrev_b32_e32 v0, 16, v12
	v_cmp_ne_u16_sdwa s4, v0, v1 src0_sel:BYTE_0 src1_sel:DWORD
	s_and_saveexec_b32 s16, s4
	s_cbranch_execz .LBB310_1845
; %bb.1838:                             ;   in Loop: Header=BB310_1062 Depth=1
	v_cmp_ne_u16_sdwa s4, v0, v17 src0_sel:BYTE_0 src1_sel:DWORD
	v_mov_b32_e32 v26, 0x8000
	s_and_saveexec_b32 s17, s4
	s_cbranch_execz .LBB310_1844
; %bb.1839:                             ;   in Loop: Header=BB310_1062 Depth=1
	v_bfe_u32 v114, v12, 16, 7
	v_mov_b32_e32 v26, 0x7c01
	s_mov_b32 s18, exec_lo
	v_cmpx_ne_u32_e32 0x7f, v114
	s_cbranch_execz .LBB310_1843
; %bb.1840:                             ;   in Loop: Header=BB310_1062 Depth=1
	v_and_b32_e32 v26, 7, v0
	v_lshrrev_b32_e32 v112, 3, v114
	s_mov_b32 s20, exec_lo
	v_cmpx_gt_u32_e32 8, v114
; %bb.1841:                             ;   in Loop: Header=BB310_1062 Depth=1
	v_ffbh_u32_e32 v26, v26
	v_min_u32_e32 v26, 32, v26
	v_subrev_nc_u32_e32 v112, 28, v26
	v_lshlrev_b64 v[43:44], v112, v[0:1]
	v_sub_nc_u32_e32 v112, 29, v26
	v_and_b32_e32 v26, 7, v43
; %bb.1842:                             ;   in Loop: Header=BB310_1062 Depth=1
	s_or_b32 exec_lo, exec_lo, s20
	v_lshlrev_b32_e32 v0, 8, v0
	v_lshl_add_u32 v112, v112, 10, 0x2000
	v_lshlrev_b32_e32 v26, 7, v26
	v_and_b32_e32 v0, 0x8000, v0
	v_and_b32_e32 v112, 0xfc00, v112
	v_or3_b32 v26, v0, v112, v26
.LBB310_1843:                           ;   in Loop: Header=BB310_1062 Depth=1
	s_or_b32 exec_lo, exec_lo, s18
.LBB310_1844:                           ;   in Loop: Header=BB310_1062 Depth=1
	s_or_b32 exec_lo, exec_lo, s17
.LBB310_1845:                           ;   in Loop: Header=BB310_1062 Depth=1
	s_or_b32 exec_lo, exec_lo, s16
	v_cmp_lt_u64_e64 s4, s[12:13], v[11:12]
	v_mov_b32_e32 v11, 0
	s_and_saveexec_b32 s16, s4
	s_cbranch_execz .LBB310_1853
; %bb.1846:                             ;   in Loop: Header=BB310_1062 Depth=1
	v_lshrrev_b32_e32 v0, 24, v12
	v_bfrev_b32_e32 v11, 1
	s_mov_b32 s17, exec_lo
	v_cmpx_ne_u32_e32 0x80, v0
	s_cbranch_execz .LBB310_1852
; %bb.1847:                             ;   in Loop: Header=BB310_1062 Depth=1
	v_and_b32_e32 v112, 0x7f, v0
	v_mov_b32_e32 v11, 0x7c010000
	s_mov_b32 s18, exec_lo
	v_cmpx_ne_u32_e32 0x7f, v112
	s_cbranch_execz .LBB310_1851
; %bb.1848:                             ;   in Loop: Header=BB310_1062 Depth=1
	v_and_b32_e32 v11, 7, v0
	v_lshrrev_b32_e32 v12, 3, v112
	s_mov_b32 s20, exec_lo
	v_cmpx_gt_u32_e32 8, v112
; %bb.1849:                             ;   in Loop: Header=BB310_1062 Depth=1
	v_ffbh_u32_e32 v11, v11
	v_min_u32_e32 v112, 32, v11
	v_subrev_nc_u32_e32 v11, 28, v112
	v_lshlrev_b64 v[11:12], v11, v[0:1]
	v_sub_nc_u32_e32 v12, 29, v112
	v_and_b32_e32 v11, 7, v11
; %bb.1850:                             ;   in Loop: Header=BB310_1062 Depth=1
	s_or_b32 exec_lo, exec_lo, s20
	v_lshlrev_b32_e32 v0, 8, v0
	v_lshl_add_u32 v12, v12, 10, 0x2000
	v_lshlrev_b32_e32 v11, 23, v11
	v_and_or_b32 v0, 0x8000, v0, v12
	v_lshl_or_b32 v11, v0, 16, v11
.LBB310_1851:                           ;   in Loop: Header=BB310_1062 Depth=1
	s_or_b32 exec_lo, exec_lo, s18
.LBB310_1852:                           ;   in Loop: Header=BB310_1062 Depth=1
	s_or_b32 exec_lo, exec_lo, s17
.LBB310_1853:                           ;   in Loop: Header=BB310_1062 Depth=1
	s_or_b32 exec_lo, exec_lo, s16
	v_or_b32_e32 v0, v50, v51
	s_waitcnt vmcnt(0) lgkmcnt(0)
	v_fma_mixlo_f16 v12, v38, v50, 0 op_sel:[0,1,0] op_sel_hi:[0,1,0]
	v_or_b32_e32 v49, v48, v49
	v_or_b32_e32 v27, v70, v27
	;; [unrolled: 1-line block ×3, first 2 shown]
	v_fma_mixlo_f16 v50, v38, v0, 0 op_sel_hi:[0,1,0]
	v_fma_mixlo_f16 v48, v38, v48, 0 op_sel:[0,1,0] op_sel_hi:[0,1,0]
	v_lshlrev_b32_e32 v0, 16, v12
	v_fma_mixlo_f16 v49, v38, v49, 0 op_sel_hi:[0,1,0]
	v_fma_mixlo_f16 v27, v38, v27, 0 op_sel_hi:[0,1,0]
	v_and_b32_e32 v12, 0xffff, v50
	v_fma_mixlo_f16 v50, v38, v70, 0 op_sel:[0,1,0] op_sel_hi:[0,1,0]
	v_fma_mixlo_f16 v11, v38, v11, 0 op_sel:[0,1,0] op_sel_hi:[0,1,0]
	v_fma_mixlo_f16 v38, v38, v26, 0 op_sel_hi:[0,1,0]
	v_lshlrev_b32_e32 v48, 16, v48
	v_and_b32_e32 v112, 0xffff, v49
	v_lshlrev_b32_e32 v26, 16, v50
	v_and_b32_e32 v49, 0xffff, v27
	;; [unrolled: 2-line block ×3, first 2 shown]
	v_or_b32_e32 v38, v0, v12
	v_or_b32_e32 v70, v48, v112
	;; [unrolled: 1-line block ×4, first 2 shown]
	s_and_saveexec_b32 s16, vcc_lo
	s_cbranch_execz .LBB310_1855
; %bb.1854:                             ;   in Loop: Header=BB310_1062 Depth=1
	v_cmp_lt_i32_e64 s4, v18, v36
	v_cndmask_b32_e64 v38, 0, v112, s4
	v_cmp_lt_i32_e64 s4, v100, v36
	v_cndmask_b32_e64 v48, 0, v48, s4
	v_cmp_lt_i32_e64 s4, v99, v36
	v_or_b32_e32 v70, v38, v48
	v_cndmask_b32_e64 v12, 0, v12, s4
	v_cmp_lt_i32_e64 s4, v98, v36
	v_cndmask_b32_e64 v0, 0, v0, s4
	v_cmp_lt_i32_e64 s4, v97, v36
	v_or_b32_e32 v38, v12, v0
	;; [unrolled: 5-line block ×3, first 2 shown]
	v_cndmask_b32_e64 v27, 0, v27, s4
	v_cmp_lt_i32_e64 s4, v86, v36
	v_cndmask_b32_e64 v11, 0, v11, s4
	v_or_b32_e32 v50, v27, v11
.LBB310_1855:                           ;   in Loop: Header=BB310_1062 Depth=1
	s_or_b32 exec_lo, exec_lo, s16
	;;#ASMSTART
	v_pk_mul_f16 v0, v85, v70;

	;;#ASMEND
	;;#ASMSTART
	v_pk_mul_f16 v11, v84, v38;

	;;#ASMEND
	;;#ASMSTART
	v_pk_mul_f16 v12, v83, v51;

	;;#ASMEND
	;;#ASMSTART
	v_pk_mul_f16 v26, v82, v50;

	;;#ASMEND
	;;#ASMSTART
	v_pk_add_f16 v0, v0, v11;

	;;#ASMEND
	;;#ASMSTART
	v_pk_add_f16 v0, v0, v12;

	;;#ASMEND
	;; [unrolled: 4-line block ×3, first 2 shown]
	v_and_b32_e32 v11, 0xffff, v0
	v_lshrrev_b32_e32 v0, 16, v0
	;;#ASMSTART
	v_cvt_f32_f16 v38, v11;
	;;#ASMEND
	;;#ASMSTART
	v_cvt_f32_f16 v48, v0;
	;;#ASMEND
	flat_load_dwordx2 v[11:12], v[9:10] offset:1024
	flat_load_dword v49, v[72:73]
	v_mov_b32_e32 v50, 0
	v_mov_b32_e32 v51, 0
	s_waitcnt vmcnt(1) lgkmcnt(1)
	v_cmp_ne_u16_sdwa s4, v11, v1 src0_sel:BYTE_0 src1_sel:DWORD
	s_and_saveexec_b32 s16, s4
	s_cbranch_execz .LBB310_1863
; %bb.1856:                             ;   in Loop: Header=BB310_1062 Depth=1
	v_cmp_ne_u16_sdwa s4, v11, v17 src0_sel:BYTE_0 src1_sel:DWORD
	v_mov_b32_e32 v51, 0x8000
	s_and_saveexec_b32 s17, s4
	s_cbranch_execz .LBB310_1862
; %bb.1857:                             ;   in Loop: Header=BB310_1062 Depth=1
	v_and_b32_e32 v27, 0x7f, v11
	v_mov_b32_e32 v51, 0x7c01
	s_mov_b32 s18, exec_lo
	v_cmpx_ne_u32_e32 0x7f, v27
	s_cbranch_execz .LBB310_1861
; %bb.1858:                             ;   in Loop: Header=BB310_1062 Depth=1
	v_and_b32_e32 v0, 7, v11
	v_lshrrev_b32_e32 v26, 3, v27
	s_mov_b32 s20, exec_lo
	v_cmpx_gt_u32_e32 8, v27
; %bb.1859:                             ;   in Loop: Header=BB310_1062 Depth=1
	v_ffbh_u32_e32 v0, v0
	v_min_u32_e32 v0, 32, v0
	v_subrev_nc_u32_e32 v26, 28, v0
	v_lshlrev_b64 v[43:44], v26, v[11:12]
	v_sub_nc_u32_e32 v26, 29, v0
	v_and_b32_e32 v0, 7, v43
; %bb.1860:                             ;   in Loop: Header=BB310_1062 Depth=1
	s_or_b32 exec_lo, exec_lo, s20
	v_lshlrev_b32_e32 v27, 8, v11
	v_lshl_add_u32 v26, v26, 10, 0x2000
	v_lshlrev_b32_e32 v0, 7, v0
	v_and_b32_e32 v27, 0x8000, v27
	v_and_b32_e32 v26, 0xfc00, v26
	v_or3_b32 v51, v27, v26, v0
.LBB310_1861:                           ;   in Loop: Header=BB310_1062 Depth=1
	s_or_b32 exec_lo, exec_lo, s18
.LBB310_1862:                           ;   in Loop: Header=BB310_1062 Depth=1
	s_or_b32 exec_lo, exec_lo, s17
.LBB310_1863:                           ;   in Loop: Header=BB310_1062 Depth=1
	s_or_b32 exec_lo, exec_lo, s16
	v_lshrrev_b16 v0, 8, v11
	s_mov_b32 s16, exec_lo
	v_cmpx_ne_u16_e32 0, v0
	s_cbranch_execz .LBB310_1871
; %bb.1864:                             ;   in Loop: Header=BB310_1062 Depth=1
	v_bfrev_b32_e32 v50, 1
	s_mov_b32 s17, exec_lo
	v_cmpx_ne_u16_e32 0x80, v0
	s_cbranch_execz .LBB310_1870
; %bb.1865:                             ;   in Loop: Header=BB310_1062 Depth=1
	v_and_b32_sdwa v70, v0, v53 dst_sel:DWORD dst_unused:UNUSED_PAD src0_sel:WORD_0 src1_sel:DWORD
	v_mov_b32_e32 v50, 0x7c010000
	s_mov_b32 s18, exec_lo
	v_cmpx_ne_u32_e32 0x7f, v70
	s_cbranch_execz .LBB310_1869
; %bb.1866:                             ;   in Loop: Header=BB310_1062 Depth=1
	v_and_b32_sdwa v26, v0, v54 dst_sel:DWORD dst_unused:UNUSED_PAD src0_sel:WORD_0 src1_sel:DWORD
	v_lshrrev_b32_e32 v27, 3, v70
	s_mov_b32 s20, exec_lo
	v_cmpx_gt_u32_e32 8, v70
; %bb.1867:                             ;   in Loop: Header=BB310_1062 Depth=1
	v_ffbh_u32_e32 v26, v26
	v_min_u32_e32 v50, 32, v26
	v_subrev_nc_u32_e32 v26, 28, v50
	v_lshlrev_b64 v[26:27], v26, v[0:1]
	v_sub_nc_u32_e32 v27, 29, v50
	v_and_b32_e32 v26, 7, v26
; %bb.1868:                             ;   in Loop: Header=BB310_1062 Depth=1
	s_or_b32 exec_lo, exec_lo, s20
	v_lshlrev_b32_sdwa v0, v71, v0 dst_sel:DWORD dst_unused:UNUSED_PAD src0_sel:DWORD src1_sel:WORD_0
	v_lshl_add_u32 v27, v27, 10, 0x2000
	v_lshlrev_b32_e32 v26, 23, v26
	v_and_or_b32 v0, 0x8000, v0, v27
	v_lshl_or_b32 v50, v0, 16, v26
.LBB310_1869:                           ;   in Loop: Header=BB310_1062 Depth=1
	s_or_b32 exec_lo, exec_lo, s18
.LBB310_1870:                           ;   in Loop: Header=BB310_1062 Depth=1
	s_or_b32 exec_lo, exec_lo, s17
.LBB310_1871:                           ;   in Loop: Header=BB310_1062 Depth=1
	s_or_b32 exec_lo, exec_lo, s16
	v_lshrrev_b32_e32 v0, 16, v11
	v_mov_b32_e32 v112, 0
	v_mov_b32_e32 v114, 0
	v_cmp_ne_u16_sdwa s4, v0, v1 src0_sel:BYTE_0 src1_sel:DWORD
	s_and_saveexec_b32 s16, s4
	s_cbranch_execz .LBB310_1879
; %bb.1872:                             ;   in Loop: Header=BB310_1062 Depth=1
	v_cmp_ne_u16_sdwa s4, v0, v17 src0_sel:BYTE_0 src1_sel:DWORD
	v_mov_b32_e32 v114, 0x8000
	s_and_saveexec_b32 s17, s4
	s_cbranch_execz .LBB310_1878
; %bb.1873:                             ;   in Loop: Header=BB310_1062 Depth=1
	v_bfe_u32 v70, v11, 16, 7
	v_mov_b32_e32 v114, 0x7c01
	s_mov_b32 s18, exec_lo
	v_cmpx_ne_u32_e32 0x7f, v70
	s_cbranch_execz .LBB310_1877
; %bb.1874:                             ;   in Loop: Header=BB310_1062 Depth=1
	v_and_b32_e32 v26, 7, v0
	v_lshrrev_b32_e32 v27, 3, v70
	s_mov_b32 s20, exec_lo
	v_cmpx_gt_u32_e32 8, v70
; %bb.1875:                             ;   in Loop: Header=BB310_1062 Depth=1
	v_ffbh_u32_e32 v26, v26
	v_min_u32_e32 v70, 32, v26
	v_subrev_nc_u32_e32 v26, 28, v70
	v_lshlrev_b64 v[26:27], v26, v[0:1]
	v_sub_nc_u32_e32 v27, 29, v70
	v_and_b32_e32 v26, 7, v26
; %bb.1876:                             ;   in Loop: Header=BB310_1062 Depth=1
	s_or_b32 exec_lo, exec_lo, s20
	v_lshlrev_b32_e32 v0, 8, v0
	v_lshl_add_u32 v27, v27, 10, 0x2000
	v_lshlrev_b32_e32 v26, 7, v26
	v_and_b32_e32 v0, 0x8000, v0
	v_and_b32_e32 v27, 0xfc00, v27
	v_or3_b32 v114, v0, v27, v26
.LBB310_1877:                           ;   in Loop: Header=BB310_1062 Depth=1
	s_or_b32 exec_lo, exec_lo, s18
.LBB310_1878:                           ;   in Loop: Header=BB310_1062 Depth=1
	s_or_b32 exec_lo, exec_lo, s17
.LBB310_1879:                           ;   in Loop: Header=BB310_1062 Depth=1
	s_or_b32 exec_lo, exec_lo, s16
	s_mov_b32 s16, exec_lo
	v_cmpx_lt_u32_e32 0xffffff, v11
	s_cbranch_execz .LBB310_1887
; %bb.1880:                             ;   in Loop: Header=BB310_1062 Depth=1
	v_lshrrev_b32_e32 v0, 24, v11
	v_bfrev_b32_e32 v112, 1
	s_mov_b32 s17, exec_lo
	v_cmpx_ne_u32_e32 0x80, v0
	s_cbranch_execz .LBB310_1886
; %bb.1881:                             ;   in Loop: Header=BB310_1062 Depth=1
	v_and_b32_e32 v70, 0x7f, v0
	v_mov_b32_e32 v112, 0x7c010000
	s_mov_b32 s18, exec_lo
	v_cmpx_ne_u32_e32 0x7f, v70
	s_cbranch_execz .LBB310_1885
; %bb.1882:                             ;   in Loop: Header=BB310_1062 Depth=1
	v_and_b32_e32 v26, 7, v0
	v_lshrrev_b32_e32 v27, 3, v70
	s_mov_b32 s20, exec_lo
	v_cmpx_gt_u32_e32 8, v70
; %bb.1883:                             ;   in Loop: Header=BB310_1062 Depth=1
	v_ffbh_u32_e32 v26, v26
	v_min_u32_e32 v70, 32, v26
	v_subrev_nc_u32_e32 v26, 28, v70
	v_lshlrev_b64 v[26:27], v26, v[0:1]
	v_sub_nc_u32_e32 v27, 29, v70
	v_and_b32_e32 v26, 7, v26
; %bb.1884:                             ;   in Loop: Header=BB310_1062 Depth=1
	s_or_b32 exec_lo, exec_lo, s20
	v_lshlrev_b32_e32 v0, 8, v0
	v_lshl_add_u32 v27, v27, 10, 0x2000
	v_lshlrev_b32_e32 v26, 23, v26
	v_and_or_b32 v0, 0x8000, v0, v27
	v_lshl_or_b32 v112, v0, 16, v26
.LBB310_1885:                           ;   in Loop: Header=BB310_1062 Depth=1
	s_or_b32 exec_lo, exec_lo, s18
.LBB310_1886:                           ;   in Loop: Header=BB310_1062 Depth=1
	s_or_b32 exec_lo, exec_lo, s17
.LBB310_1887:                           ;   in Loop: Header=BB310_1062 Depth=1
	s_or_b32 exec_lo, exec_lo, s16
	v_mov_b32_e32 v0, v12
	v_cmp_ne_u16_sdwa s4, v12, v1 src0_sel:BYTE_0 src1_sel:DWORD
	v_mov_b32_e32 v26, 0
	v_mov_b32_e32 v27, 0
	s_and_saveexec_b32 s16, s4
	s_cbranch_execz .LBB310_1895
; %bb.1888:                             ;   in Loop: Header=BB310_1062 Depth=1
	v_cmp_ne_u16_sdwa s4, v12, v17 src0_sel:BYTE_0 src1_sel:DWORD
	v_mov_b32_e32 v27, 0x8000
	s_and_saveexec_b32 s17, s4
	s_cbranch_execz .LBB310_1894
; %bb.1889:                             ;   in Loop: Header=BB310_1062 Depth=1
	v_and_b32_e32 v43, 0x7f, v12
	v_mov_b32_e32 v27, 0x7c01
	s_mov_b32 s18, exec_lo
	v_cmpx_ne_u32_e32 0x7f, v43
	s_cbranch_execz .LBB310_1893
; %bb.1890:                             ;   in Loop: Header=BB310_1062 Depth=1
	v_and_b32_e32 v27, 7, v12
	v_lshrrev_b32_e32 v70, 3, v43
	s_mov_b32 s20, exec_lo
	v_cmpx_gt_u32_e32 8, v43
; %bb.1891:                             ;   in Loop: Header=BB310_1062 Depth=1
	v_ffbh_u32_e32 v27, v27
	v_min_u32_e32 v27, 32, v27
	v_subrev_nc_u32_e32 v70, 28, v27
	v_lshlrev_b64 v[43:44], v70, v[0:1]
	v_sub_nc_u32_e32 v70, 29, v27
	v_and_b32_e32 v27, 7, v43
; %bb.1892:                             ;   in Loop: Header=BB310_1062 Depth=1
	s_or_b32 exec_lo, exec_lo, s20
	v_lshlrev_b32_e32 v43, 8, v12
	v_lshl_add_u32 v70, v70, 10, 0x2000
	v_lshlrev_b32_e32 v27, 7, v27
	v_and_b32_e32 v43, 0x8000, v43
	v_and_b32_e32 v70, 0xfc00, v70
	v_or3_b32 v27, v43, v70, v27
.LBB310_1893:                           ;   in Loop: Header=BB310_1062 Depth=1
	s_or_b32 exec_lo, exec_lo, s18
.LBB310_1894:                           ;   in Loop: Header=BB310_1062 Depth=1
	s_or_b32 exec_lo, exec_lo, s17
.LBB310_1895:                           ;   in Loop: Header=BB310_1062 Depth=1
	s_or_b32 exec_lo, exec_lo, s16
	v_lshrrev_b16 v0, 8, v0
	v_mov_b32_e32 v70, 0
	s_mov_b32 s16, exec_lo
	v_cmpx_ne_u16_e32 0, v0
	s_cbranch_execz .LBB310_1903
; %bb.1896:                             ;   in Loop: Header=BB310_1062 Depth=1
	v_bfrev_b32_e32 v70, 1
	s_mov_b32 s17, exec_lo
	v_cmpx_ne_u16_e32 0x80, v0
	s_cbranch_execz .LBB310_1902
; %bb.1897:                             ;   in Loop: Header=BB310_1062 Depth=1
	v_and_b32_sdwa v44, v0, v53 dst_sel:DWORD dst_unused:UNUSED_PAD src0_sel:WORD_0 src1_sel:DWORD
	v_mov_b32_e32 v70, 0x7c010000
	s_mov_b32 s18, exec_lo
	v_cmpx_ne_u32_e32 0x7f, v44
	s_cbranch_execz .LBB310_1901
; %bb.1898:                             ;   in Loop: Header=BB310_1062 Depth=1
	v_and_b32_sdwa v70, v0, v54 dst_sel:DWORD dst_unused:UNUSED_PAD src0_sel:WORD_0 src1_sel:DWORD
	v_lshrrev_b32_e32 v43, 3, v44
	s_mov_b32 s20, exec_lo
	v_cmpx_gt_u32_e32 8, v44
; %bb.1899:                             ;   in Loop: Header=BB310_1062 Depth=1
	v_ffbh_u32_e32 v70, v70
	v_min_u32_e32 v70, 32, v70
	v_subrev_nc_u32_e32 v43, 28, v70
	v_lshlrev_b64 v[44:45], v43, v[0:1]
	v_sub_nc_u32_e32 v43, 29, v70
	v_and_b32_e32 v70, 7, v44
; %bb.1900:                             ;   in Loop: Header=BB310_1062 Depth=1
	s_or_b32 exec_lo, exec_lo, s20
	v_lshlrev_b32_sdwa v0, v71, v0 dst_sel:DWORD dst_unused:UNUSED_PAD src0_sel:DWORD src1_sel:WORD_0
	v_lshl_add_u32 v43, v43, 10, 0x2000
	v_lshlrev_b32_e32 v70, 23, v70
	v_and_or_b32 v0, 0x8000, v0, v43
	v_lshl_or_b32 v70, v0, 16, v70
.LBB310_1901:                           ;   in Loop: Header=BB310_1062 Depth=1
	s_or_b32 exec_lo, exec_lo, s18
.LBB310_1902:                           ;   in Loop: Header=BB310_1062 Depth=1
	s_or_b32 exec_lo, exec_lo, s17
.LBB310_1903:                           ;   in Loop: Header=BB310_1062 Depth=1
	s_or_b32 exec_lo, exec_lo, s16
	v_lshrrev_b32_e32 v0, 16, v12
	v_cmp_ne_u16_sdwa s4, v0, v1 src0_sel:BYTE_0 src1_sel:DWORD
	s_and_saveexec_b32 s16, s4
	s_cbranch_execz .LBB310_1911
; %bb.1904:                             ;   in Loop: Header=BB310_1062 Depth=1
	v_cmp_ne_u16_sdwa s4, v0, v17 src0_sel:BYTE_0 src1_sel:DWORD
	v_mov_b32_e32 v26, 0x8000
	s_and_saveexec_b32 s17, s4
	s_cbranch_execz .LBB310_1910
; %bb.1905:                             ;   in Loop: Header=BB310_1062 Depth=1
	v_bfe_u32 v44, v12, 16, 7
	v_mov_b32_e32 v26, 0x7c01
	s_mov_b32 s18, exec_lo
	v_cmpx_ne_u32_e32 0x7f, v44
	s_cbranch_execz .LBB310_1909
; %bb.1906:                             ;   in Loop: Header=BB310_1062 Depth=1
	v_and_b32_e32 v26, 7, v0
	v_lshrrev_b32_e32 v43, 3, v44
	s_mov_b32 s20, exec_lo
	v_cmpx_gt_u32_e32 8, v44
; %bb.1907:                             ;   in Loop: Header=BB310_1062 Depth=1
	v_ffbh_u32_e32 v26, v26
	v_min_u32_e32 v26, 32, v26
	v_subrev_nc_u32_e32 v43, 28, v26
	v_lshlrev_b64 v[44:45], v43, v[0:1]
	v_sub_nc_u32_e32 v43, 29, v26
	v_and_b32_e32 v26, 7, v44
; %bb.1908:                             ;   in Loop: Header=BB310_1062 Depth=1
	s_or_b32 exec_lo, exec_lo, s20
	v_lshlrev_b32_e32 v0, 8, v0
	v_lshl_add_u32 v43, v43, 10, 0x2000
	v_lshlrev_b32_e32 v26, 7, v26
	v_and_b32_e32 v0, 0x8000, v0
	v_and_b32_e32 v43, 0xfc00, v43
	v_or3_b32 v26, v0, v43, v26
.LBB310_1909:                           ;   in Loop: Header=BB310_1062 Depth=1
	s_or_b32 exec_lo, exec_lo, s18
.LBB310_1910:                           ;   in Loop: Header=BB310_1062 Depth=1
	s_or_b32 exec_lo, exec_lo, s17
.LBB310_1911:                           ;   in Loop: Header=BB310_1062 Depth=1
	s_or_b32 exec_lo, exec_lo, s16
	v_cmp_lt_u64_e64 s4, s[12:13], v[11:12]
	v_mov_b32_e32 v11, 0
	s_and_saveexec_b32 s16, s4
	s_cbranch_execz .LBB310_1919
; %bb.1912:                             ;   in Loop: Header=BB310_1062 Depth=1
	v_lshrrev_b32_e32 v0, 24, v12
	v_bfrev_b32_e32 v11, 1
	s_mov_b32 s17, exec_lo
	v_cmpx_ne_u32_e32 0x80, v0
	s_cbranch_execz .LBB310_1918
; %bb.1913:                             ;   in Loop: Header=BB310_1062 Depth=1
	v_and_b32_e32 v43, 0x7f, v0
	v_mov_b32_e32 v11, 0x7c010000
	s_mov_b32 s18, exec_lo
	v_cmpx_ne_u32_e32 0x7f, v43
	s_cbranch_execz .LBB310_1917
; %bb.1914:                             ;   in Loop: Header=BB310_1062 Depth=1
	v_and_b32_e32 v11, 7, v0
	v_lshrrev_b32_e32 v12, 3, v43
	s_mov_b32 s20, exec_lo
	v_cmpx_gt_u32_e32 8, v43
; %bb.1915:                             ;   in Loop: Header=BB310_1062 Depth=1
	v_ffbh_u32_e32 v11, v11
	v_min_u32_e32 v43, 32, v11
	v_subrev_nc_u32_e32 v11, 28, v43
	v_lshlrev_b64 v[11:12], v11, v[0:1]
	v_sub_nc_u32_e32 v12, 29, v43
	v_and_b32_e32 v11, 7, v11
; %bb.1916:                             ;   in Loop: Header=BB310_1062 Depth=1
	s_or_b32 exec_lo, exec_lo, s20
	v_lshlrev_b32_e32 v0, 8, v0
	v_lshl_add_u32 v12, v12, 10, 0x2000
	v_lshlrev_b32_e32 v11, 23, v11
	v_and_or_b32 v0, 0x8000, v0, v12
	v_lshl_or_b32 v11, v0, 16, v11
.LBB310_1917:                           ;   in Loop: Header=BB310_1062 Depth=1
	s_or_b32 exec_lo, exec_lo, s18
.LBB310_1918:                           ;   in Loop: Header=BB310_1062 Depth=1
	s_or_b32 exec_lo, exec_lo, s17
.LBB310_1919:                           ;   in Loop: Header=BB310_1062 Depth=1
	s_or_b32 exec_lo, exec_lo, s16
	v_or_b32_e32 v0, v112, v114
	v_or_b32_e32 v51, v50, v51
	;; [unrolled: 1-line block ×4, first 2 shown]
	s_waitcnt vmcnt(0) lgkmcnt(0)
	v_fma_mixlo_f16 v12, v49, v112, 0 op_sel:[0,1,0] op_sel_hi:[0,1,0]
	v_fma_mixlo_f16 v50, v49, v50, 0 op_sel:[0,1,0] op_sel_hi:[0,1,0]
	v_fma_mixlo_f16 v112, v49, v0, 0 op_sel_hi:[0,1,0]
	v_fma_mixlo_f16 v51, v49, v51, 0 op_sel_hi:[0,1,0]
	v_fma_mixlo_f16 v70, v49, v70, 0 op_sel:[0,1,0] op_sel_hi:[0,1,0]
	v_fma_mixlo_f16 v27, v49, v27, 0 op_sel_hi:[0,1,0]
	v_fma_mixlo_f16 v11, v49, v11, 0 op_sel:[0,1,0] op_sel_hi:[0,1,0]
	v_fma_mixlo_f16 v49, v49, v26, 0 op_sel_hi:[0,1,0]
	v_lshlrev_b32_e32 v0, 16, v12
	v_lshlrev_b32_e32 v50, 16, v50
	v_and_b32_e32 v12, 0xffff, v112
	v_and_b32_e32 v43, 0xffff, v51
	v_lshlrev_b32_e32 v26, 16, v70
	v_and_b32_e32 v51, 0xffff, v27
	v_lshlrev_b32_e32 v11, 16, v11
	v_and_b32_e32 v27, 0xffff, v49
	v_or_b32_e32 v49, v0, v12
	v_or_b32_e32 v114, v50, v43
	;; [unrolled: 1-line block ×4, first 2 shown]
	s_and_saveexec_b32 s16, vcc_lo
	s_cbranch_execz .LBB310_1921
; %bb.1920:                             ;   in Loop: Header=BB310_1062 Depth=1
	v_cmp_lt_i32_e64 s4, v18, v36
	v_cndmask_b32_e64 v49, 0, v43, s4
	v_cmp_lt_i32_e64 s4, v100, v36
	v_cndmask_b32_e64 v50, 0, v50, s4
	v_cmp_lt_i32_e64 s4, v99, v36
	v_or_b32_e32 v114, v49, v50
	v_cndmask_b32_e64 v12, 0, v12, s4
	v_cmp_lt_i32_e64 s4, v98, v36
	v_cndmask_b32_e64 v0, 0, v0, s4
	v_cmp_lt_i32_e64 s4, v97, v36
	v_or_b32_e32 v49, v12, v0
	;; [unrolled: 5-line block ×3, first 2 shown]
	v_cndmask_b32_e64 v27, 0, v27, s4
	v_cmp_lt_i32_e64 s4, v86, v36
	v_cndmask_b32_e64 v11, 0, v11, s4
	v_or_b32_e32 v70, v27, v11
.LBB310_1921:                           ;   in Loop: Header=BB310_1062 Depth=1
	s_or_b32 exec_lo, exec_lo, s16
	;;#ASMSTART
	v_pk_mul_f16 v0, v85, v114;

	;;#ASMEND
	;;#ASMSTART
	v_pk_mul_f16 v11, v84, v49;

	;;#ASMEND
	;; [unrolled: 4-line block ×4, first 2 shown]
	;;#ASMSTART
	v_pk_add_f16 v0, v0, v11;

	;;#ASMEND
	;;#ASMSTART
	v_pk_add_f16 v0, v0, v12;

	;;#ASMEND
	;; [unrolled: 4-line block ×3, first 2 shown]
	v_and_b32_e32 v11, 0xffff, v0
	v_lshrrev_b32_e32 v0, 16, v0
	;;#ASMSTART
	v_cvt_f32_f16 v49, v11;
	;;#ASMEND
	;;#ASMSTART
	v_cvt_f32_f16 v50, v0;
	;;#ASMEND
	flat_load_dwordx2 v[11:12], v[9:10] offset:1280
	flat_load_dword v51, v[72:73]
	v_mov_b32_e32 v112, 0
	v_mov_b32_e32 v114, 0
	s_waitcnt vmcnt(1) lgkmcnt(1)
	v_cmp_ne_u16_sdwa s4, v11, v1 src0_sel:BYTE_0 src1_sel:DWORD
	s_and_saveexec_b32 s16, s4
	s_cbranch_execz .LBB310_1929
; %bb.1922:                             ;   in Loop: Header=BB310_1062 Depth=1
	v_cmp_ne_u16_sdwa s4, v11, v17 src0_sel:BYTE_0 src1_sel:DWORD
	v_mov_b32_e32 v114, 0x8000
	s_and_saveexec_b32 s17, s4
	s_cbranch_execz .LBB310_1928
; %bb.1923:                             ;   in Loop: Header=BB310_1062 Depth=1
	v_and_b32_e32 v27, 0x7f, v11
	v_mov_b32_e32 v114, 0x7c01
	s_mov_b32 s18, exec_lo
	v_cmpx_ne_u32_e32 0x7f, v27
	s_cbranch_execz .LBB310_1927
; %bb.1924:                             ;   in Loop: Header=BB310_1062 Depth=1
	v_and_b32_e32 v0, 7, v11
	v_lshrrev_b32_e32 v26, 3, v27
	s_mov_b32 s20, exec_lo
	v_cmpx_gt_u32_e32 8, v27
; %bb.1925:                             ;   in Loop: Header=BB310_1062 Depth=1
	v_ffbh_u32_e32 v0, v0
	v_min_u32_e32 v0, 32, v0
	v_subrev_nc_u32_e32 v26, 28, v0
	v_lshlrev_b64 v[43:44], v26, v[11:12]
	v_sub_nc_u32_e32 v26, 29, v0
	v_and_b32_e32 v0, 7, v43
; %bb.1926:                             ;   in Loop: Header=BB310_1062 Depth=1
	s_or_b32 exec_lo, exec_lo, s20
	v_lshlrev_b32_e32 v27, 8, v11
	v_lshl_add_u32 v26, v26, 10, 0x2000
	v_lshlrev_b32_e32 v0, 7, v0
	v_and_b32_e32 v27, 0x8000, v27
	v_and_b32_e32 v26, 0xfc00, v26
	v_or3_b32 v114, v27, v26, v0
.LBB310_1927:                           ;   in Loop: Header=BB310_1062 Depth=1
	s_or_b32 exec_lo, exec_lo, s18
.LBB310_1928:                           ;   in Loop: Header=BB310_1062 Depth=1
	s_or_b32 exec_lo, exec_lo, s17
.LBB310_1929:                           ;   in Loop: Header=BB310_1062 Depth=1
	s_or_b32 exec_lo, exec_lo, s16
	v_lshrrev_b16 v0, 8, v11
	s_mov_b32 s16, exec_lo
	v_cmpx_ne_u16_e32 0, v0
	s_cbranch_execz .LBB310_1937
; %bb.1930:                             ;   in Loop: Header=BB310_1062 Depth=1
	v_bfrev_b32_e32 v112, 1
	s_mov_b32 s17, exec_lo
	v_cmpx_ne_u16_e32 0x80, v0
	s_cbranch_execz .LBB310_1936
; %bb.1931:                             ;   in Loop: Header=BB310_1062 Depth=1
	v_and_b32_sdwa v70, v0, v53 dst_sel:DWORD dst_unused:UNUSED_PAD src0_sel:WORD_0 src1_sel:DWORD
	v_mov_b32_e32 v112, 0x7c010000
	s_mov_b32 s18, exec_lo
	v_cmpx_ne_u32_e32 0x7f, v70
	s_cbranch_execz .LBB310_1935
; %bb.1932:                             ;   in Loop: Header=BB310_1062 Depth=1
	v_and_b32_sdwa v26, v0, v54 dst_sel:DWORD dst_unused:UNUSED_PAD src0_sel:WORD_0 src1_sel:DWORD
	v_lshrrev_b32_e32 v27, 3, v70
	s_mov_b32 s20, exec_lo
	v_cmpx_gt_u32_e32 8, v70
; %bb.1933:                             ;   in Loop: Header=BB310_1062 Depth=1
	v_ffbh_u32_e32 v26, v26
	v_min_u32_e32 v70, 32, v26
	v_subrev_nc_u32_e32 v26, 28, v70
	v_lshlrev_b64 v[26:27], v26, v[0:1]
	v_sub_nc_u32_e32 v27, 29, v70
	v_and_b32_e32 v26, 7, v26
; %bb.1934:                             ;   in Loop: Header=BB310_1062 Depth=1
	s_or_b32 exec_lo, exec_lo, s20
	v_lshlrev_b32_sdwa v0, v71, v0 dst_sel:DWORD dst_unused:UNUSED_PAD src0_sel:DWORD src1_sel:WORD_0
	v_lshl_add_u32 v27, v27, 10, 0x2000
	v_lshlrev_b32_e32 v26, 23, v26
	v_and_or_b32 v0, 0x8000, v0, v27
	v_lshl_or_b32 v112, v0, 16, v26
.LBB310_1935:                           ;   in Loop: Header=BB310_1062 Depth=1
	s_or_b32 exec_lo, exec_lo, s18
.LBB310_1936:                           ;   in Loop: Header=BB310_1062 Depth=1
	s_or_b32 exec_lo, exec_lo, s17
.LBB310_1937:                           ;   in Loop: Header=BB310_1062 Depth=1
	s_or_b32 exec_lo, exec_lo, s16
	v_lshrrev_b32_e32 v0, 16, v11
	v_mov_b32_e32 v43, 0
	v_mov_b32_e32 v44, 0
	v_cmp_ne_u16_sdwa s4, v0, v1 src0_sel:BYTE_0 src1_sel:DWORD
	s_and_saveexec_b32 s16, s4
	s_cbranch_execz .LBB310_1945
; %bb.1938:                             ;   in Loop: Header=BB310_1062 Depth=1
	v_cmp_ne_u16_sdwa s4, v0, v17 src0_sel:BYTE_0 src1_sel:DWORD
	v_mov_b32_e32 v44, 0x8000
	s_and_saveexec_b32 s17, s4
	s_cbranch_execz .LBB310_1944
; %bb.1939:                             ;   in Loop: Header=BB310_1062 Depth=1
	v_bfe_u32 v70, v11, 16, 7
	v_mov_b32_e32 v44, 0x7c01
	s_mov_b32 s18, exec_lo
	v_cmpx_ne_u32_e32 0x7f, v70
	s_cbranch_execz .LBB310_1943
; %bb.1940:                             ;   in Loop: Header=BB310_1062 Depth=1
	v_and_b32_e32 v26, 7, v0
	v_lshrrev_b32_e32 v27, 3, v70
	s_mov_b32 s20, exec_lo
	v_cmpx_gt_u32_e32 8, v70
; %bb.1941:                             ;   in Loop: Header=BB310_1062 Depth=1
	v_ffbh_u32_e32 v26, v26
	v_min_u32_e32 v70, 32, v26
	v_subrev_nc_u32_e32 v26, 28, v70
	v_lshlrev_b64 v[26:27], v26, v[0:1]
	v_sub_nc_u32_e32 v27, 29, v70
	v_and_b32_e32 v26, 7, v26
; %bb.1942:                             ;   in Loop: Header=BB310_1062 Depth=1
	s_or_b32 exec_lo, exec_lo, s20
	v_lshlrev_b32_e32 v0, 8, v0
	v_lshl_add_u32 v27, v27, 10, 0x2000
	v_lshlrev_b32_e32 v26, 7, v26
	v_and_b32_e32 v0, 0x8000, v0
	v_and_b32_e32 v27, 0xfc00, v27
	v_or3_b32 v44, v0, v27, v26
.LBB310_1943:                           ;   in Loop: Header=BB310_1062 Depth=1
	s_or_b32 exec_lo, exec_lo, s18
.LBB310_1944:                           ;   in Loop: Header=BB310_1062 Depth=1
	s_or_b32 exec_lo, exec_lo, s17
.LBB310_1945:                           ;   in Loop: Header=BB310_1062 Depth=1
	s_or_b32 exec_lo, exec_lo, s16
	s_mov_b32 s16, exec_lo
	v_cmpx_lt_u32_e32 0xffffff, v11
	s_cbranch_execz .LBB310_1953
; %bb.1946:                             ;   in Loop: Header=BB310_1062 Depth=1
	v_lshrrev_b32_e32 v0, 24, v11
	v_bfrev_b32_e32 v43, 1
	s_mov_b32 s17, exec_lo
	v_cmpx_ne_u32_e32 0x80, v0
	s_cbranch_execz .LBB310_1952
; %bb.1947:                             ;   in Loop: Header=BB310_1062 Depth=1
	v_and_b32_e32 v70, 0x7f, v0
	v_mov_b32_e32 v43, 0x7c010000
	s_mov_b32 s18, exec_lo
	v_cmpx_ne_u32_e32 0x7f, v70
	s_cbranch_execz .LBB310_1951
; %bb.1948:                             ;   in Loop: Header=BB310_1062 Depth=1
	v_and_b32_e32 v26, 7, v0
	v_lshrrev_b32_e32 v27, 3, v70
	s_mov_b32 s20, exec_lo
	v_cmpx_gt_u32_e32 8, v70
; %bb.1949:                             ;   in Loop: Header=BB310_1062 Depth=1
	v_ffbh_u32_e32 v26, v26
	v_min_u32_e32 v70, 32, v26
	v_subrev_nc_u32_e32 v26, 28, v70
	v_lshlrev_b64 v[26:27], v26, v[0:1]
	v_sub_nc_u32_e32 v27, 29, v70
	v_and_b32_e32 v26, 7, v26
; %bb.1950:                             ;   in Loop: Header=BB310_1062 Depth=1
	s_or_b32 exec_lo, exec_lo, s20
	v_lshlrev_b32_e32 v0, 8, v0
	v_lshl_add_u32 v27, v27, 10, 0x2000
	v_lshlrev_b32_e32 v26, 23, v26
	v_and_or_b32 v0, 0x8000, v0, v27
	v_lshl_or_b32 v43, v0, 16, v26
.LBB310_1951:                           ;   in Loop: Header=BB310_1062 Depth=1
	s_or_b32 exec_lo, exec_lo, s18
.LBB310_1952:                           ;   in Loop: Header=BB310_1062 Depth=1
	s_or_b32 exec_lo, exec_lo, s17
.LBB310_1953:                           ;   in Loop: Header=BB310_1062 Depth=1
	s_or_b32 exec_lo, exec_lo, s16
	v_mov_b32_e32 v0, v12
	v_cmp_ne_u16_sdwa s4, v12, v1 src0_sel:BYTE_0 src1_sel:DWORD
	v_mov_b32_e32 v26, 0
	v_mov_b32_e32 v27, 0
	s_and_saveexec_b32 s16, s4
	s_cbranch_execz .LBB310_1961
; %bb.1954:                             ;   in Loop: Header=BB310_1062 Depth=1
	v_cmp_ne_u16_sdwa s4, v12, v17 src0_sel:BYTE_0 src1_sel:DWORD
	v_mov_b32_e32 v27, 0x8000
	s_and_saveexec_b32 s17, s4
	s_cbranch_execz .LBB310_1960
; %bb.1955:                             ;   in Loop: Header=BB310_1062 Depth=1
	v_and_b32_e32 v45, 0x7f, v12
	v_mov_b32_e32 v27, 0x7c01
	s_mov_b32 s18, exec_lo
	v_cmpx_ne_u32_e32 0x7f, v45
	s_cbranch_execz .LBB310_1959
; %bb.1956:                             ;   in Loop: Header=BB310_1062 Depth=1
	v_and_b32_e32 v27, 7, v12
	v_lshrrev_b32_e32 v70, 3, v45
	s_mov_b32 s20, exec_lo
	v_cmpx_gt_u32_e32 8, v45
; %bb.1957:                             ;   in Loop: Header=BB310_1062 Depth=1
	v_ffbh_u32_e32 v27, v27
	v_min_u32_e32 v27, 32, v27
	v_subrev_nc_u32_e32 v70, 28, v27
	v_lshlrev_b64 v[45:46], v70, v[0:1]
	v_sub_nc_u32_e32 v70, 29, v27
	v_and_b32_e32 v27, 7, v45
; %bb.1958:                             ;   in Loop: Header=BB310_1062 Depth=1
	s_or_b32 exec_lo, exec_lo, s20
	v_lshlrev_b32_e32 v45, 8, v12
	v_lshl_add_u32 v70, v70, 10, 0x2000
	v_lshlrev_b32_e32 v27, 7, v27
	v_and_b32_e32 v45, 0x8000, v45
	v_and_b32_e32 v70, 0xfc00, v70
	v_or3_b32 v27, v45, v70, v27
.LBB310_1959:                           ;   in Loop: Header=BB310_1062 Depth=1
	s_or_b32 exec_lo, exec_lo, s18
.LBB310_1960:                           ;   in Loop: Header=BB310_1062 Depth=1
	s_or_b32 exec_lo, exec_lo, s17
.LBB310_1961:                           ;   in Loop: Header=BB310_1062 Depth=1
	s_or_b32 exec_lo, exec_lo, s16
	v_lshrrev_b16 v0, 8, v0
	v_mov_b32_e32 v70, 0
	s_mov_b32 s16, exec_lo
	v_cmpx_ne_u16_e32 0, v0
	s_cbranch_execz .LBB310_1969
; %bb.1962:                             ;   in Loop: Header=BB310_1062 Depth=1
	v_bfrev_b32_e32 v70, 1
	s_mov_b32 s17, exec_lo
	v_cmpx_ne_u16_e32 0x80, v0
	s_cbranch_execz .LBB310_1968
; %bb.1963:                             ;   in Loop: Header=BB310_1062 Depth=1
	v_and_b32_sdwa v46, v0, v53 dst_sel:DWORD dst_unused:UNUSED_PAD src0_sel:WORD_0 src1_sel:DWORD
	v_mov_b32_e32 v70, 0x7c010000
	s_mov_b32 s18, exec_lo
	v_cmpx_ne_u32_e32 0x7f, v46
	s_cbranch_execz .LBB310_1967
; %bb.1964:                             ;   in Loop: Header=BB310_1062 Depth=1
	v_and_b32_sdwa v70, v0, v54 dst_sel:DWORD dst_unused:UNUSED_PAD src0_sel:WORD_0 src1_sel:DWORD
	v_lshrrev_b32_e32 v45, 3, v46
	s_mov_b32 s20, exec_lo
	v_cmpx_gt_u32_e32 8, v46
; %bb.1965:                             ;   in Loop: Header=BB310_1062 Depth=1
	v_ffbh_u32_e32 v70, v70
	v_min_u32_e32 v70, 32, v70
	v_subrev_nc_u32_e32 v45, 28, v70
	v_lshlrev_b64 v[46:47], v45, v[0:1]
	v_sub_nc_u32_e32 v45, 29, v70
	v_and_b32_e32 v70, 7, v46
; %bb.1966:                             ;   in Loop: Header=BB310_1062 Depth=1
	s_or_b32 exec_lo, exec_lo, s20
	v_lshlrev_b32_sdwa v0, v71, v0 dst_sel:DWORD dst_unused:UNUSED_PAD src0_sel:DWORD src1_sel:WORD_0
	v_lshl_add_u32 v45, v45, 10, 0x2000
	v_lshlrev_b32_e32 v70, 23, v70
	v_and_or_b32 v0, 0x8000, v0, v45
	v_lshl_or_b32 v70, v0, 16, v70
.LBB310_1967:                           ;   in Loop: Header=BB310_1062 Depth=1
	s_or_b32 exec_lo, exec_lo, s18
.LBB310_1968:                           ;   in Loop: Header=BB310_1062 Depth=1
	s_or_b32 exec_lo, exec_lo, s17
.LBB310_1969:                           ;   in Loop: Header=BB310_1062 Depth=1
	s_or_b32 exec_lo, exec_lo, s16
	v_lshrrev_b32_e32 v0, 16, v12
	v_cmp_ne_u16_sdwa s4, v0, v1 src0_sel:BYTE_0 src1_sel:DWORD
	s_and_saveexec_b32 s16, s4
	s_cbranch_execz .LBB310_1977
; %bb.1970:                             ;   in Loop: Header=BB310_1062 Depth=1
	v_cmp_ne_u16_sdwa s4, v0, v17 src0_sel:BYTE_0 src1_sel:DWORD
	v_mov_b32_e32 v26, 0x8000
	s_and_saveexec_b32 s17, s4
	s_cbranch_execz .LBB310_1976
; %bb.1971:                             ;   in Loop: Header=BB310_1062 Depth=1
	v_bfe_u32 v46, v12, 16, 7
	v_mov_b32_e32 v26, 0x7c01
	s_mov_b32 s18, exec_lo
	v_cmpx_ne_u32_e32 0x7f, v46
	s_cbranch_execz .LBB310_1975
; %bb.1972:                             ;   in Loop: Header=BB310_1062 Depth=1
	v_and_b32_e32 v26, 7, v0
	v_lshrrev_b32_e32 v45, 3, v46
	s_mov_b32 s20, exec_lo
	v_cmpx_gt_u32_e32 8, v46
; %bb.1973:                             ;   in Loop: Header=BB310_1062 Depth=1
	v_ffbh_u32_e32 v26, v26
	v_min_u32_e32 v26, 32, v26
	v_subrev_nc_u32_e32 v45, 28, v26
	v_lshlrev_b64 v[46:47], v45, v[0:1]
	v_sub_nc_u32_e32 v45, 29, v26
	v_and_b32_e32 v26, 7, v46
; %bb.1974:                             ;   in Loop: Header=BB310_1062 Depth=1
	s_or_b32 exec_lo, exec_lo, s20
	v_lshlrev_b32_e32 v0, 8, v0
	v_lshl_add_u32 v45, v45, 10, 0x2000
	v_lshlrev_b32_e32 v26, 7, v26
	v_and_b32_e32 v0, 0x8000, v0
	v_and_b32_e32 v45, 0xfc00, v45
	v_or3_b32 v26, v0, v45, v26
.LBB310_1975:                           ;   in Loop: Header=BB310_1062 Depth=1
	s_or_b32 exec_lo, exec_lo, s18
.LBB310_1976:                           ;   in Loop: Header=BB310_1062 Depth=1
	s_or_b32 exec_lo, exec_lo, s17
.LBB310_1977:                           ;   in Loop: Header=BB310_1062 Depth=1
	s_or_b32 exec_lo, exec_lo, s16
	v_cmp_lt_u64_e64 s4, s[12:13], v[11:12]
	v_mov_b32_e32 v11, 0
	s_and_saveexec_b32 s16, s4
	s_cbranch_execz .LBB310_1985
; %bb.1978:                             ;   in Loop: Header=BB310_1062 Depth=1
	v_lshrrev_b32_e32 v0, 24, v12
	v_bfrev_b32_e32 v11, 1
	s_mov_b32 s17, exec_lo
	v_cmpx_ne_u32_e32 0x80, v0
	s_cbranch_execz .LBB310_1984
; %bb.1979:                             ;   in Loop: Header=BB310_1062 Depth=1
	v_and_b32_e32 v45, 0x7f, v0
	v_mov_b32_e32 v11, 0x7c010000
	s_mov_b32 s18, exec_lo
	v_cmpx_ne_u32_e32 0x7f, v45
	s_cbranch_execz .LBB310_1983
; %bb.1980:                             ;   in Loop: Header=BB310_1062 Depth=1
	v_and_b32_e32 v11, 7, v0
	v_lshrrev_b32_e32 v12, 3, v45
	s_mov_b32 s20, exec_lo
	v_cmpx_gt_u32_e32 8, v45
; %bb.1981:                             ;   in Loop: Header=BB310_1062 Depth=1
	v_ffbh_u32_e32 v11, v11
	v_min_u32_e32 v45, 32, v11
	v_subrev_nc_u32_e32 v11, 28, v45
	v_lshlrev_b64 v[11:12], v11, v[0:1]
	v_sub_nc_u32_e32 v12, 29, v45
	v_and_b32_e32 v11, 7, v11
; %bb.1982:                             ;   in Loop: Header=BB310_1062 Depth=1
	s_or_b32 exec_lo, exec_lo, s20
	v_lshlrev_b32_e32 v0, 8, v0
	v_lshl_add_u32 v12, v12, 10, 0x2000
	v_lshlrev_b32_e32 v11, 23, v11
	v_and_or_b32 v0, 0x8000, v0, v12
	v_lshl_or_b32 v11, v0, 16, v11
.LBB310_1983:                           ;   in Loop: Header=BB310_1062 Depth=1
	s_or_b32 exec_lo, exec_lo, s18
.LBB310_1984:                           ;   in Loop: Header=BB310_1062 Depth=1
	s_or_b32 exec_lo, exec_lo, s17
.LBB310_1985:                           ;   in Loop: Header=BB310_1062 Depth=1
	s_or_b32 exec_lo, exec_lo, s16
	v_or_b32_e32 v0, v43, v44
	v_or_b32_e32 v114, v112, v114
	;; [unrolled: 1-line block ×4, first 2 shown]
	s_waitcnt vmcnt(0) lgkmcnt(0)
	v_fma_mixlo_f16 v12, v51, v43, 0 op_sel:[0,1,0] op_sel_hi:[0,1,0]
	v_fma_mixlo_f16 v112, v51, v112, 0 op_sel:[0,1,0] op_sel_hi:[0,1,0]
	v_fma_mixlo_f16 v43, v51, v0, 0 op_sel_hi:[0,1,0]
	v_fma_mixlo_f16 v114, v51, v114, 0 op_sel_hi:[0,1,0]
	v_fma_mixlo_f16 v70, v51, v70, 0 op_sel:[0,1,0] op_sel_hi:[0,1,0]
	v_fma_mixlo_f16 v27, v51, v27, 0 op_sel_hi:[0,1,0]
	v_fma_mixlo_f16 v11, v51, v11, 0 op_sel:[0,1,0] op_sel_hi:[0,1,0]
	v_fma_mixlo_f16 v51, v51, v26, 0 op_sel_hi:[0,1,0]
	v_lshlrev_b32_e32 v0, 16, v12
	v_lshlrev_b32_e32 v112, 16, v112
	v_and_b32_e32 v12, 0xffff, v43
	v_and_b32_e32 v45, 0xffff, v114
	v_lshlrev_b32_e32 v26, 16, v70
	v_and_b32_e32 v70, 0xffff, v27
	v_lshlrev_b32_e32 v11, 16, v11
	v_and_b32_e32 v27, 0xffff, v51
	v_or_b32_e32 v51, v0, v12
	v_or_b32_e32 v44, v112, v45
	;; [unrolled: 1-line block ×4, first 2 shown]
	s_and_saveexec_b32 s16, vcc_lo
	s_cbranch_execz .LBB310_1987
; %bb.1986:                             ;   in Loop: Header=BB310_1062 Depth=1
	v_cmp_lt_i32_e64 s4, v18, v36
	v_cndmask_b32_e64 v51, 0, v45, s4
	v_cmp_lt_i32_e64 s4, v100, v36
	v_cndmask_b32_e64 v112, 0, v112, s4
	v_cmp_lt_i32_e64 s4, v99, v36
	v_or_b32_e32 v44, v51, v112
	v_cndmask_b32_e64 v12, 0, v12, s4
	v_cmp_lt_i32_e64 s4, v98, v36
	v_cndmask_b32_e64 v0, 0, v0, s4
	v_cmp_lt_i32_e64 s4, v97, v36
	v_or_b32_e32 v51, v12, v0
	;; [unrolled: 5-line block ×3, first 2 shown]
	v_cndmask_b32_e64 v27, 0, v27, s4
	v_cmp_lt_i32_e64 s4, v86, v36
	v_cndmask_b32_e64 v11, 0, v11, s4
	v_or_b32_e32 v114, v27, v11
.LBB310_1987:                           ;   in Loop: Header=BB310_1062 Depth=1
	s_or_b32 exec_lo, exec_lo, s16
	;;#ASMSTART
	v_pk_mul_f16 v0, v85, v44;

	;;#ASMEND
	;;#ASMSTART
	v_pk_mul_f16 v11, v84, v51;

	;;#ASMEND
	;; [unrolled: 4-line block ×4, first 2 shown]
	;;#ASMSTART
	v_pk_add_f16 v0, v0, v11;

	;;#ASMEND
	;;#ASMSTART
	v_pk_add_f16 v0, v0, v12;

	;;#ASMEND
	;; [unrolled: 4-line block ×3, first 2 shown]
	v_and_b32_e32 v11, 0xffff, v0
	v_lshrrev_b32_e32 v0, 16, v0
	;;#ASMSTART
	v_cvt_f32_f16 v51, v11;
	;;#ASMEND
	;;#ASMSTART
	v_cvt_f32_f16 v43, v0;
	;;#ASMEND
	flat_load_dwordx2 v[11:12], v[9:10] offset:1536
	flat_load_dword v112, v[72:73]
	v_mov_b32_e32 v114, 0
	v_mov_b32_e32 v44, 0
	s_waitcnt vmcnt(1) lgkmcnt(1)
	v_cmp_ne_u16_sdwa s4, v11, v1 src0_sel:BYTE_0 src1_sel:DWORD
	s_and_saveexec_b32 s16, s4
	s_cbranch_execz .LBB310_1995
; %bb.1988:                             ;   in Loop: Header=BB310_1062 Depth=1
	v_cmp_ne_u16_sdwa s4, v11, v17 src0_sel:BYTE_0 src1_sel:DWORD
	v_mov_b32_e32 v44, 0x8000
	s_and_saveexec_b32 s17, s4
	s_cbranch_execz .LBB310_1994
; %bb.1989:                             ;   in Loop: Header=BB310_1062 Depth=1
	v_and_b32_e32 v27, 0x7f, v11
	v_mov_b32_e32 v44, 0x7c01
	s_mov_b32 s18, exec_lo
	v_cmpx_ne_u32_e32 0x7f, v27
	s_cbranch_execz .LBB310_1993
; %bb.1990:                             ;   in Loop: Header=BB310_1062 Depth=1
	v_and_b32_e32 v0, 7, v11
	v_lshrrev_b32_e32 v26, 3, v27
	s_mov_b32 s20, exec_lo
	v_cmpx_gt_u32_e32 8, v27
; %bb.1991:                             ;   in Loop: Header=BB310_1062 Depth=1
	v_ffbh_u32_e32 v0, v0
	v_min_u32_e32 v0, 32, v0
	v_subrev_nc_u32_e32 v26, 28, v0
	v_lshlrev_b64 v[44:45], v26, v[11:12]
	v_sub_nc_u32_e32 v26, 29, v0
	v_and_b32_e32 v0, 7, v44
; %bb.1992:                             ;   in Loop: Header=BB310_1062 Depth=1
	s_or_b32 exec_lo, exec_lo, s20
	v_lshlrev_b32_e32 v27, 8, v11
	v_lshl_add_u32 v26, v26, 10, 0x2000
	v_lshlrev_b32_e32 v0, 7, v0
	v_and_b32_e32 v27, 0x8000, v27
	v_and_b32_e32 v26, 0xfc00, v26
	v_or3_b32 v44, v27, v26, v0
.LBB310_1993:                           ;   in Loop: Header=BB310_1062 Depth=1
	s_or_b32 exec_lo, exec_lo, s18
.LBB310_1994:                           ;   in Loop: Header=BB310_1062 Depth=1
	s_or_b32 exec_lo, exec_lo, s17
.LBB310_1995:                           ;   in Loop: Header=BB310_1062 Depth=1
	s_or_b32 exec_lo, exec_lo, s16
	v_lshrrev_b16 v0, 8, v11
	s_mov_b32 s16, exec_lo
	v_cmpx_ne_u16_e32 0, v0
	s_cbranch_execz .LBB310_2003
; %bb.1996:                             ;   in Loop: Header=BB310_1062 Depth=1
	v_bfrev_b32_e32 v114, 1
	s_mov_b32 s17, exec_lo
	v_cmpx_ne_u16_e32 0x80, v0
	s_cbranch_execz .LBB310_2002
; %bb.1997:                             ;   in Loop: Header=BB310_1062 Depth=1
	v_and_b32_sdwa v70, v0, v53 dst_sel:DWORD dst_unused:UNUSED_PAD src0_sel:WORD_0 src1_sel:DWORD
	v_mov_b32_e32 v114, 0x7c010000
	s_mov_b32 s18, exec_lo
	v_cmpx_ne_u32_e32 0x7f, v70
	s_cbranch_execz .LBB310_2001
; %bb.1998:                             ;   in Loop: Header=BB310_1062 Depth=1
	v_and_b32_sdwa v26, v0, v54 dst_sel:DWORD dst_unused:UNUSED_PAD src0_sel:WORD_0 src1_sel:DWORD
	v_lshrrev_b32_e32 v27, 3, v70
	s_mov_b32 s20, exec_lo
	v_cmpx_gt_u32_e32 8, v70
; %bb.1999:                             ;   in Loop: Header=BB310_1062 Depth=1
	v_ffbh_u32_e32 v26, v26
	v_min_u32_e32 v70, 32, v26
	v_subrev_nc_u32_e32 v26, 28, v70
	v_lshlrev_b64 v[26:27], v26, v[0:1]
	v_sub_nc_u32_e32 v27, 29, v70
	v_and_b32_e32 v26, 7, v26
; %bb.2000:                             ;   in Loop: Header=BB310_1062 Depth=1
	s_or_b32 exec_lo, exec_lo, s20
	v_lshlrev_b32_sdwa v0, v71, v0 dst_sel:DWORD dst_unused:UNUSED_PAD src0_sel:DWORD src1_sel:WORD_0
	v_lshl_add_u32 v27, v27, 10, 0x2000
	v_lshlrev_b32_e32 v26, 23, v26
	v_and_or_b32 v0, 0x8000, v0, v27
	v_lshl_or_b32 v114, v0, 16, v26
.LBB310_2001:                           ;   in Loop: Header=BB310_1062 Depth=1
	s_or_b32 exec_lo, exec_lo, s18
.LBB310_2002:                           ;   in Loop: Header=BB310_1062 Depth=1
	s_or_b32 exec_lo, exec_lo, s17
.LBB310_2003:                           ;   in Loop: Header=BB310_1062 Depth=1
	s_or_b32 exec_lo, exec_lo, s16
	v_lshrrev_b32_e32 v0, 16, v11
	v_mov_b32_e32 v45, 0
	v_mov_b32_e32 v46, 0
	v_cmp_ne_u16_sdwa s4, v0, v1 src0_sel:BYTE_0 src1_sel:DWORD
	s_and_saveexec_b32 s16, s4
	s_cbranch_execz .LBB310_2011
; %bb.2004:                             ;   in Loop: Header=BB310_1062 Depth=1
	v_cmp_ne_u16_sdwa s4, v0, v17 src0_sel:BYTE_0 src1_sel:DWORD
	v_mov_b32_e32 v46, 0x8000
	s_and_saveexec_b32 s17, s4
	s_cbranch_execz .LBB310_2010
; %bb.2005:                             ;   in Loop: Header=BB310_1062 Depth=1
	v_bfe_u32 v70, v11, 16, 7
	v_mov_b32_e32 v46, 0x7c01
	s_mov_b32 s18, exec_lo
	v_cmpx_ne_u32_e32 0x7f, v70
	s_cbranch_execz .LBB310_2009
; %bb.2006:                             ;   in Loop: Header=BB310_1062 Depth=1
	v_and_b32_e32 v26, 7, v0
	v_lshrrev_b32_e32 v27, 3, v70
	s_mov_b32 s20, exec_lo
	v_cmpx_gt_u32_e32 8, v70
; %bb.2007:                             ;   in Loop: Header=BB310_1062 Depth=1
	v_ffbh_u32_e32 v26, v26
	v_min_u32_e32 v70, 32, v26
	v_subrev_nc_u32_e32 v26, 28, v70
	v_lshlrev_b64 v[26:27], v26, v[0:1]
	v_sub_nc_u32_e32 v27, 29, v70
	v_and_b32_e32 v26, 7, v26
; %bb.2008:                             ;   in Loop: Header=BB310_1062 Depth=1
	s_or_b32 exec_lo, exec_lo, s20
	v_lshlrev_b32_e32 v0, 8, v0
	v_lshl_add_u32 v27, v27, 10, 0x2000
	v_lshlrev_b32_e32 v26, 7, v26
	v_and_b32_e32 v0, 0x8000, v0
	v_and_b32_e32 v27, 0xfc00, v27
	v_or3_b32 v46, v0, v27, v26
.LBB310_2009:                           ;   in Loop: Header=BB310_1062 Depth=1
	s_or_b32 exec_lo, exec_lo, s18
.LBB310_2010:                           ;   in Loop: Header=BB310_1062 Depth=1
	s_or_b32 exec_lo, exec_lo, s17
.LBB310_2011:                           ;   in Loop: Header=BB310_1062 Depth=1
	s_or_b32 exec_lo, exec_lo, s16
	s_mov_b32 s16, exec_lo
	v_cmpx_lt_u32_e32 0xffffff, v11
	s_cbranch_execz .LBB310_2019
; %bb.2012:                             ;   in Loop: Header=BB310_1062 Depth=1
	v_lshrrev_b32_e32 v0, 24, v11
	v_bfrev_b32_e32 v45, 1
	s_mov_b32 s17, exec_lo
	v_cmpx_ne_u32_e32 0x80, v0
	s_cbranch_execz .LBB310_2018
; %bb.2013:                             ;   in Loop: Header=BB310_1062 Depth=1
	v_and_b32_e32 v70, 0x7f, v0
	v_mov_b32_e32 v45, 0x7c010000
	s_mov_b32 s18, exec_lo
	v_cmpx_ne_u32_e32 0x7f, v70
	s_cbranch_execz .LBB310_2017
; %bb.2014:                             ;   in Loop: Header=BB310_1062 Depth=1
	v_and_b32_e32 v26, 7, v0
	v_lshrrev_b32_e32 v27, 3, v70
	s_mov_b32 s20, exec_lo
	v_cmpx_gt_u32_e32 8, v70
; %bb.2015:                             ;   in Loop: Header=BB310_1062 Depth=1
	v_ffbh_u32_e32 v26, v26
	v_min_u32_e32 v70, 32, v26
	v_subrev_nc_u32_e32 v26, 28, v70
	v_lshlrev_b64 v[26:27], v26, v[0:1]
	v_sub_nc_u32_e32 v27, 29, v70
	v_and_b32_e32 v26, 7, v26
; %bb.2016:                             ;   in Loop: Header=BB310_1062 Depth=1
	s_or_b32 exec_lo, exec_lo, s20
	v_lshlrev_b32_e32 v0, 8, v0
	v_lshl_add_u32 v27, v27, 10, 0x2000
	v_lshlrev_b32_e32 v26, 23, v26
	v_and_or_b32 v0, 0x8000, v0, v27
	v_lshl_or_b32 v45, v0, 16, v26
.LBB310_2017:                           ;   in Loop: Header=BB310_1062 Depth=1
	s_or_b32 exec_lo, exec_lo, s18
.LBB310_2018:                           ;   in Loop: Header=BB310_1062 Depth=1
	s_or_b32 exec_lo, exec_lo, s17
.LBB310_2019:                           ;   in Loop: Header=BB310_1062 Depth=1
	s_or_b32 exec_lo, exec_lo, s16
	v_mov_b32_e32 v0, v12
	v_cmp_ne_u16_sdwa s4, v12, v1 src0_sel:BYTE_0 src1_sel:DWORD
	v_mov_b32_e32 v26, 0
	v_mov_b32_e32 v27, 0
	s_and_saveexec_b32 s16, s4
	s_cbranch_execz .LBB310_2027
; %bb.2020:                             ;   in Loop: Header=BB310_1062 Depth=1
	v_cmp_ne_u16_sdwa s4, v12, v17 src0_sel:BYTE_0 src1_sel:DWORD
	v_mov_b32_e32 v27, 0x8000
	s_and_saveexec_b32 s17, s4
	s_cbranch_execz .LBB310_2026
; %bb.2021:                             ;   in Loop: Header=BB310_1062 Depth=1
	v_and_b32_e32 v47, 0x7f, v12
	v_mov_b32_e32 v27, 0x7c01
	s_mov_b32 s18, exec_lo
	v_cmpx_ne_u32_e32 0x7f, v47
	s_cbranch_execz .LBB310_2025
; %bb.2022:                             ;   in Loop: Header=BB310_1062 Depth=1
	v_and_b32_e32 v27, 7, v12
	v_lshrrev_b32_e32 v70, 3, v47
	s_mov_b32 s20, exec_lo
	v_cmpx_gt_u32_e32 8, v47
; %bb.2023:                             ;   in Loop: Header=BB310_1062 Depth=1
	v_ffbh_u32_e32 v27, v27
	v_min_u32_e32 v27, 32, v27
	v_subrev_nc_u32_e32 v70, 28, v27
	v_lshlrev_b64 v[58:59], v70, v[0:1]
	v_sub_nc_u32_e32 v70, 29, v27
	v_and_b32_e32 v27, 7, v58
; %bb.2024:                             ;   in Loop: Header=BB310_1062 Depth=1
	s_or_b32 exec_lo, exec_lo, s20
	v_lshlrev_b32_e32 v47, 8, v12
	v_lshl_add_u32 v70, v70, 10, 0x2000
	v_lshlrev_b32_e32 v27, 7, v27
	v_and_b32_e32 v47, 0x8000, v47
	v_and_b32_e32 v70, 0xfc00, v70
	v_or3_b32 v27, v47, v70, v27
.LBB310_2025:                           ;   in Loop: Header=BB310_1062 Depth=1
	s_or_b32 exec_lo, exec_lo, s18
.LBB310_2026:                           ;   in Loop: Header=BB310_1062 Depth=1
	s_or_b32 exec_lo, exec_lo, s17
.LBB310_2027:                           ;   in Loop: Header=BB310_1062 Depth=1
	s_or_b32 exec_lo, exec_lo, s16
	v_lshrrev_b16 v0, 8, v0
	v_mov_b32_e32 v70, 0
	s_mov_b32 s16, exec_lo
	v_cmpx_ne_u16_e32 0, v0
	s_cbranch_execz .LBB310_2035
; %bb.2028:                             ;   in Loop: Header=BB310_1062 Depth=1
	v_bfrev_b32_e32 v70, 1
	s_mov_b32 s17, exec_lo
	v_cmpx_ne_u16_e32 0x80, v0
	s_cbranch_execz .LBB310_2034
; %bb.2029:                             ;   in Loop: Header=BB310_1062 Depth=1
	v_and_b32_sdwa v56, v0, v53 dst_sel:DWORD dst_unused:UNUSED_PAD src0_sel:WORD_0 src1_sel:DWORD
	v_mov_b32_e32 v70, 0x7c010000
	s_mov_b32 s18, exec_lo
	v_cmpx_ne_u32_e32 0x7f, v56
	s_cbranch_execz .LBB310_2033
; %bb.2030:                             ;   in Loop: Header=BB310_1062 Depth=1
	v_and_b32_sdwa v70, v0, v54 dst_sel:DWORD dst_unused:UNUSED_PAD src0_sel:WORD_0 src1_sel:DWORD
	v_lshrrev_b32_e32 v47, 3, v56
	s_mov_b32 s20, exec_lo
	v_cmpx_gt_u32_e32 8, v56
; %bb.2031:                             ;   in Loop: Header=BB310_1062 Depth=1
	v_ffbh_u32_e32 v70, v70
	v_min_u32_e32 v70, 32, v70
	v_subrev_nc_u32_e32 v47, 28, v70
	v_lshlrev_b64 v[58:59], v47, v[0:1]
	v_sub_nc_u32_e32 v47, 29, v70
	v_and_b32_e32 v70, 7, v58
; %bb.2032:                             ;   in Loop: Header=BB310_1062 Depth=1
	s_or_b32 exec_lo, exec_lo, s20
	v_lshlrev_b32_sdwa v0, v71, v0 dst_sel:DWORD dst_unused:UNUSED_PAD src0_sel:DWORD src1_sel:WORD_0
	v_lshl_add_u32 v47, v47, 10, 0x2000
	v_lshlrev_b32_e32 v70, 23, v70
	v_and_or_b32 v0, 0x8000, v0, v47
	v_lshl_or_b32 v70, v0, 16, v70
.LBB310_2033:                           ;   in Loop: Header=BB310_1062 Depth=1
	s_or_b32 exec_lo, exec_lo, s18
.LBB310_2034:                           ;   in Loop: Header=BB310_1062 Depth=1
	s_or_b32 exec_lo, exec_lo, s17
.LBB310_2035:                           ;   in Loop: Header=BB310_1062 Depth=1
	s_or_b32 exec_lo, exec_lo, s16
	v_lshrrev_b32_e32 v0, 16, v12
	v_cmp_ne_u16_sdwa s4, v0, v1 src0_sel:BYTE_0 src1_sel:DWORD
	s_and_saveexec_b32 s16, s4
	s_cbranch_execz .LBB310_2043
; %bb.2036:                             ;   in Loop: Header=BB310_1062 Depth=1
	v_cmp_ne_u16_sdwa s4, v0, v17 src0_sel:BYTE_0 src1_sel:DWORD
	v_mov_b32_e32 v26, 0x8000
	s_and_saveexec_b32 s17, s4
	s_cbranch_execz .LBB310_2042
; %bb.2037:                             ;   in Loop: Header=BB310_1062 Depth=1
	v_bfe_u32 v56, v12, 16, 7
	v_mov_b32_e32 v26, 0x7c01
	s_mov_b32 s18, exec_lo
	v_cmpx_ne_u32_e32 0x7f, v56
	s_cbranch_execz .LBB310_2041
; %bb.2038:                             ;   in Loop: Header=BB310_1062 Depth=1
	v_and_b32_e32 v26, 7, v0
	v_lshrrev_b32_e32 v47, 3, v56
	s_mov_b32 s20, exec_lo
	v_cmpx_gt_u32_e32 8, v56
; %bb.2039:                             ;   in Loop: Header=BB310_1062 Depth=1
	v_ffbh_u32_e32 v26, v26
	v_min_u32_e32 v26, 32, v26
	v_subrev_nc_u32_e32 v47, 28, v26
	v_lshlrev_b64 v[58:59], v47, v[0:1]
	v_sub_nc_u32_e32 v47, 29, v26
	v_and_b32_e32 v26, 7, v58
; %bb.2040:                             ;   in Loop: Header=BB310_1062 Depth=1
	s_or_b32 exec_lo, exec_lo, s20
	v_lshlrev_b32_e32 v0, 8, v0
	v_lshl_add_u32 v47, v47, 10, 0x2000
	v_lshlrev_b32_e32 v26, 7, v26
	v_and_b32_e32 v0, 0x8000, v0
	v_and_b32_e32 v47, 0xfc00, v47
	v_or3_b32 v26, v0, v47, v26
.LBB310_2041:                           ;   in Loop: Header=BB310_1062 Depth=1
	s_or_b32 exec_lo, exec_lo, s18
.LBB310_2042:                           ;   in Loop: Header=BB310_1062 Depth=1
	s_or_b32 exec_lo, exec_lo, s17
.LBB310_2043:                           ;   in Loop: Header=BB310_1062 Depth=1
	s_or_b32 exec_lo, exec_lo, s16
	v_cmp_lt_u64_e64 s4, s[12:13], v[11:12]
	v_mov_b32_e32 v11, 0
	s_and_saveexec_b32 s16, s4
	s_cbranch_execz .LBB310_2051
; %bb.2044:                             ;   in Loop: Header=BB310_1062 Depth=1
	v_lshrrev_b32_e32 v0, 24, v12
	v_bfrev_b32_e32 v11, 1
	s_mov_b32 s17, exec_lo
	v_cmpx_ne_u32_e32 0x80, v0
	s_cbranch_execz .LBB310_2050
; %bb.2045:                             ;   in Loop: Header=BB310_1062 Depth=1
	v_and_b32_e32 v47, 0x7f, v0
	v_mov_b32_e32 v11, 0x7c010000
	s_mov_b32 s18, exec_lo
	v_cmpx_ne_u32_e32 0x7f, v47
	s_cbranch_execz .LBB310_2049
; %bb.2046:                             ;   in Loop: Header=BB310_1062 Depth=1
	v_and_b32_e32 v11, 7, v0
	v_lshrrev_b32_e32 v12, 3, v47
	s_mov_b32 s20, exec_lo
	v_cmpx_gt_u32_e32 8, v47
; %bb.2047:                             ;   in Loop: Header=BB310_1062 Depth=1
	v_ffbh_u32_e32 v11, v11
	v_min_u32_e32 v47, 32, v11
	v_subrev_nc_u32_e32 v11, 28, v47
	v_lshlrev_b64 v[11:12], v11, v[0:1]
	v_sub_nc_u32_e32 v12, 29, v47
	v_and_b32_e32 v11, 7, v11
; %bb.2048:                             ;   in Loop: Header=BB310_1062 Depth=1
	s_or_b32 exec_lo, exec_lo, s20
	v_lshlrev_b32_e32 v0, 8, v0
	v_lshl_add_u32 v12, v12, 10, 0x2000
	v_lshlrev_b32_e32 v11, 23, v11
	v_and_or_b32 v0, 0x8000, v0, v12
	v_lshl_or_b32 v11, v0, 16, v11
.LBB310_2049:                           ;   in Loop: Header=BB310_1062 Depth=1
	s_or_b32 exec_lo, exec_lo, s18
.LBB310_2050:                           ;   in Loop: Header=BB310_1062 Depth=1
	s_or_b32 exec_lo, exec_lo, s17
.LBB310_2051:                           ;   in Loop: Header=BB310_1062 Depth=1
	s_or_b32 exec_lo, exec_lo, s16
	v_or_b32_e32 v0, v45, v46
	s_waitcnt vmcnt(0) lgkmcnt(0)
	v_fma_mixlo_f16 v12, v112, v45, 0 op_sel:[0,1,0] op_sel_hi:[0,1,0]
	v_or_b32_e32 v44, v114, v44
	v_or_b32_e32 v27, v70, v27
	;; [unrolled: 1-line block ×3, first 2 shown]
	v_fma_mixlo_f16 v45, v112, v0, 0 op_sel_hi:[0,1,0]
	v_fma_mixlo_f16 v114, v112, v114, 0 op_sel:[0,1,0] op_sel_hi:[0,1,0]
	v_lshlrev_b32_e32 v0, 16, v12
	v_fma_mixlo_f16 v44, v112, v44, 0 op_sel_hi:[0,1,0]
	v_fma_mixlo_f16 v70, v112, v70, 0 op_sel:[0,1,0] op_sel_hi:[0,1,0]
	v_and_b32_e32 v12, 0xffff, v45
	v_fma_mixlo_f16 v27, v112, v27, 0 op_sel_hi:[0,1,0]
	v_fma_mixlo_f16 v11, v112, v11, 0 op_sel:[0,1,0] op_sel_hi:[0,1,0]
	v_fma_mixlo_f16 v45, v112, v26, 0 op_sel_hi:[0,1,0]
	v_lshlrev_b32_e32 v114, 16, v114
	v_and_b32_e32 v47, 0xffff, v44
	v_lshlrev_b32_e32 v26, 16, v70
	v_and_b32_e32 v112, 0xffff, v27
	;; [unrolled: 2-line block ×3, first 2 shown]
	v_or_b32_e32 v70, v0, v12
	v_or_b32_e32 v46, v114, v47
	;; [unrolled: 1-line block ×4, first 2 shown]
	s_and_saveexec_b32 s16, vcc_lo
	s_cbranch_execz .LBB310_2053
; %bb.2052:                             ;   in Loop: Header=BB310_1062 Depth=1
	v_cmp_lt_i32_e64 s4, v18, v36
	v_cndmask_b32_e64 v70, 0, v47, s4
	v_cmp_lt_i32_e64 s4, v100, v36
	v_cndmask_b32_e64 v114, 0, v114, s4
	v_cmp_lt_i32_e64 s4, v99, v36
	v_or_b32_e32 v46, v70, v114
	v_cndmask_b32_e64 v12, 0, v12, s4
	v_cmp_lt_i32_e64 s4, v98, v36
	v_cndmask_b32_e64 v0, 0, v0, s4
	v_cmp_lt_i32_e64 s4, v97, v36
	v_or_b32_e32 v70, v12, v0
	;; [unrolled: 5-line block ×3, first 2 shown]
	v_cndmask_b32_e64 v27, 0, v27, s4
	v_cmp_lt_i32_e64 s4, v86, v36
	v_cndmask_b32_e64 v11, 0, v11, s4
	v_or_b32_e32 v44, v27, v11
.LBB310_2053:                           ;   in Loop: Header=BB310_1062 Depth=1
	s_or_b32 exec_lo, exec_lo, s16
	;;#ASMSTART
	v_pk_mul_f16 v0, v85, v46;

	;;#ASMEND
	;;#ASMSTART
	v_pk_mul_f16 v11, v84, v70;

	;;#ASMEND
	;; [unrolled: 4-line block ×4, first 2 shown]
	;;#ASMSTART
	v_pk_add_f16 v0, v0, v11;

	;;#ASMEND
	;;#ASMSTART
	v_pk_add_f16 v0, v0, v12;

	;;#ASMEND
	;; [unrolled: 4-line block ×3, first 2 shown]
	v_and_b32_e32 v11, 0xffff, v0
	v_lshrrev_b32_e32 v0, 16, v0
	;;#ASMSTART
	v_cvt_f32_f16 v11, v11;
	;;#ASMEND
	;;#ASMSTART
	v_cvt_f32_f16 v12, v0;
	;;#ASMEND
	flat_load_dwordx2 v[9:10], v[9:10] offset:1792
	flat_load_dword v112, v[72:73]
	v_mov_b32_e32 v114, 0
	v_mov_b32_e32 v44, 0
	s_waitcnt vmcnt(1) lgkmcnt(1)
	v_cmp_ne_u16_sdwa s4, v9, v1 src0_sel:BYTE_0 src1_sel:DWORD
	s_and_saveexec_b32 s16, s4
	s_cbranch_execz .LBB310_2061
; %bb.2054:                             ;   in Loop: Header=BB310_1062 Depth=1
	v_cmp_ne_u16_sdwa s4, v9, v17 src0_sel:BYTE_0 src1_sel:DWORD
	v_mov_b32_e32 v44, 0x8000
	s_and_saveexec_b32 s17, s4
	s_cbranch_execz .LBB310_2060
; %bb.2055:                             ;   in Loop: Header=BB310_1062 Depth=1
	v_and_b32_e32 v27, 0x7f, v9
	v_mov_b32_e32 v44, 0x7c01
	s_mov_b32 s18, exec_lo
	v_cmpx_ne_u32_e32 0x7f, v27
	s_cbranch_execz .LBB310_2059
; %bb.2056:                             ;   in Loop: Header=BB310_1062 Depth=1
	v_and_b32_e32 v0, 7, v9
	v_lshrrev_b32_e32 v26, 3, v27
	s_mov_b32 s20, exec_lo
	v_cmpx_gt_u32_e32 8, v27
; %bb.2057:                             ;   in Loop: Header=BB310_1062 Depth=1
	v_ffbh_u32_e32 v0, v0
	v_min_u32_e32 v0, 32, v0
	v_subrev_nc_u32_e32 v26, 28, v0
	v_lshlrev_b64 v[44:45], v26, v[9:10]
	v_sub_nc_u32_e32 v26, 29, v0
	v_and_b32_e32 v0, 7, v44
; %bb.2058:                             ;   in Loop: Header=BB310_1062 Depth=1
	s_or_b32 exec_lo, exec_lo, s20
	v_lshlrev_b32_e32 v27, 8, v9
	v_lshl_add_u32 v26, v26, 10, 0x2000
	v_lshlrev_b32_e32 v0, 7, v0
	v_and_b32_e32 v27, 0x8000, v27
	v_and_b32_e32 v26, 0xfc00, v26
	v_or3_b32 v44, v27, v26, v0
.LBB310_2059:                           ;   in Loop: Header=BB310_1062 Depth=1
	s_or_b32 exec_lo, exec_lo, s18
.LBB310_2060:                           ;   in Loop: Header=BB310_1062 Depth=1
	s_or_b32 exec_lo, exec_lo, s17
.LBB310_2061:                           ;   in Loop: Header=BB310_1062 Depth=1
	s_or_b32 exec_lo, exec_lo, s16
	v_lshrrev_b16 v0, 8, v9
	s_mov_b32 s16, exec_lo
	v_cmpx_ne_u16_e32 0, v0
	s_cbranch_execz .LBB310_2069
; %bb.2062:                             ;   in Loop: Header=BB310_1062 Depth=1
	v_bfrev_b32_e32 v114, 1
	s_mov_b32 s17, exec_lo
	v_cmpx_ne_u16_e32 0x80, v0
	s_cbranch_execz .LBB310_2068
; %bb.2063:                             ;   in Loop: Header=BB310_1062 Depth=1
	v_and_b32_sdwa v70, v0, v53 dst_sel:DWORD dst_unused:UNUSED_PAD src0_sel:WORD_0 src1_sel:DWORD
	v_mov_b32_e32 v114, 0x7c010000
	s_mov_b32 s18, exec_lo
	v_cmpx_ne_u32_e32 0x7f, v70
	s_cbranch_execz .LBB310_2067
; %bb.2064:                             ;   in Loop: Header=BB310_1062 Depth=1
	v_and_b32_sdwa v26, v0, v54 dst_sel:DWORD dst_unused:UNUSED_PAD src0_sel:WORD_0 src1_sel:DWORD
	v_lshrrev_b32_e32 v27, 3, v70
	s_mov_b32 s20, exec_lo
	v_cmpx_gt_u32_e32 8, v70
; %bb.2065:                             ;   in Loop: Header=BB310_1062 Depth=1
	v_ffbh_u32_e32 v26, v26
	v_min_u32_e32 v70, 32, v26
	v_subrev_nc_u32_e32 v26, 28, v70
	v_lshlrev_b64 v[26:27], v26, v[0:1]
	v_sub_nc_u32_e32 v27, 29, v70
	v_and_b32_e32 v26, 7, v26
; %bb.2066:                             ;   in Loop: Header=BB310_1062 Depth=1
	s_or_b32 exec_lo, exec_lo, s20
	v_lshlrev_b32_sdwa v0, v71, v0 dst_sel:DWORD dst_unused:UNUSED_PAD src0_sel:DWORD src1_sel:WORD_0
	v_lshl_add_u32 v27, v27, 10, 0x2000
	v_lshlrev_b32_e32 v26, 23, v26
	v_and_or_b32 v0, 0x8000, v0, v27
	v_lshl_or_b32 v114, v0, 16, v26
.LBB310_2067:                           ;   in Loop: Header=BB310_1062 Depth=1
	s_or_b32 exec_lo, exec_lo, s18
.LBB310_2068:                           ;   in Loop: Header=BB310_1062 Depth=1
	s_or_b32 exec_lo, exec_lo, s17
.LBB310_2069:                           ;   in Loop: Header=BB310_1062 Depth=1
	s_or_b32 exec_lo, exec_lo, s16
	v_lshrrev_b32_e32 v0, 16, v9
	v_mov_b32_e32 v45, 0
	v_mov_b32_e32 v46, 0
	v_cmp_ne_u16_sdwa s4, v0, v1 src0_sel:BYTE_0 src1_sel:DWORD
	s_and_saveexec_b32 s16, s4
	s_cbranch_execz .LBB310_2077
; %bb.2070:                             ;   in Loop: Header=BB310_1062 Depth=1
	v_cmp_ne_u16_sdwa s4, v0, v17 src0_sel:BYTE_0 src1_sel:DWORD
	v_mov_b32_e32 v46, 0x8000
	s_and_saveexec_b32 s17, s4
	s_cbranch_execz .LBB310_2076
; %bb.2071:                             ;   in Loop: Header=BB310_1062 Depth=1
	v_bfe_u32 v70, v9, 16, 7
	v_mov_b32_e32 v46, 0x7c01
	s_mov_b32 s18, exec_lo
	v_cmpx_ne_u32_e32 0x7f, v70
	s_cbranch_execz .LBB310_2075
; %bb.2072:                             ;   in Loop: Header=BB310_1062 Depth=1
	v_and_b32_e32 v26, 7, v0
	v_lshrrev_b32_e32 v27, 3, v70
	s_mov_b32 s20, exec_lo
	v_cmpx_gt_u32_e32 8, v70
; %bb.2073:                             ;   in Loop: Header=BB310_1062 Depth=1
	v_ffbh_u32_e32 v26, v26
	v_min_u32_e32 v70, 32, v26
	v_subrev_nc_u32_e32 v26, 28, v70
	v_lshlrev_b64 v[26:27], v26, v[0:1]
	v_sub_nc_u32_e32 v27, 29, v70
	v_and_b32_e32 v26, 7, v26
; %bb.2074:                             ;   in Loop: Header=BB310_1062 Depth=1
	s_or_b32 exec_lo, exec_lo, s20
	v_lshlrev_b32_e32 v0, 8, v0
	v_lshl_add_u32 v27, v27, 10, 0x2000
	v_lshlrev_b32_e32 v26, 7, v26
	v_and_b32_e32 v0, 0x8000, v0
	v_and_b32_e32 v27, 0xfc00, v27
	v_or3_b32 v46, v0, v27, v26
.LBB310_2075:                           ;   in Loop: Header=BB310_1062 Depth=1
	s_or_b32 exec_lo, exec_lo, s18
.LBB310_2076:                           ;   in Loop: Header=BB310_1062 Depth=1
	s_or_b32 exec_lo, exec_lo, s17
.LBB310_2077:                           ;   in Loop: Header=BB310_1062 Depth=1
	s_or_b32 exec_lo, exec_lo, s16
	s_mov_b32 s16, exec_lo
	v_cmpx_lt_u32_e32 0xffffff, v9
	s_cbranch_execz .LBB310_2085
; %bb.2078:                             ;   in Loop: Header=BB310_1062 Depth=1
	v_lshrrev_b32_e32 v0, 24, v9
	v_bfrev_b32_e32 v45, 1
	s_mov_b32 s17, exec_lo
	v_cmpx_ne_u32_e32 0x80, v0
	s_cbranch_execz .LBB310_2084
; %bb.2079:                             ;   in Loop: Header=BB310_1062 Depth=1
	v_and_b32_e32 v70, 0x7f, v0
	v_mov_b32_e32 v45, 0x7c010000
	s_mov_b32 s18, exec_lo
	v_cmpx_ne_u32_e32 0x7f, v70
	s_cbranch_execz .LBB310_2083
; %bb.2080:                             ;   in Loop: Header=BB310_1062 Depth=1
	v_and_b32_e32 v26, 7, v0
	v_lshrrev_b32_e32 v27, 3, v70
	s_mov_b32 s20, exec_lo
	v_cmpx_gt_u32_e32 8, v70
; %bb.2081:                             ;   in Loop: Header=BB310_1062 Depth=1
	v_ffbh_u32_e32 v26, v26
	v_min_u32_e32 v70, 32, v26
	v_subrev_nc_u32_e32 v26, 28, v70
	v_lshlrev_b64 v[26:27], v26, v[0:1]
	v_sub_nc_u32_e32 v27, 29, v70
	v_and_b32_e32 v26, 7, v26
; %bb.2082:                             ;   in Loop: Header=BB310_1062 Depth=1
	s_or_b32 exec_lo, exec_lo, s20
	v_lshlrev_b32_e32 v0, 8, v0
	v_lshl_add_u32 v27, v27, 10, 0x2000
	v_lshlrev_b32_e32 v26, 23, v26
	v_and_or_b32 v0, 0x8000, v0, v27
	v_lshl_or_b32 v45, v0, 16, v26
.LBB310_2083:                           ;   in Loop: Header=BB310_1062 Depth=1
	s_or_b32 exec_lo, exec_lo, s18
.LBB310_2084:                           ;   in Loop: Header=BB310_1062 Depth=1
	s_or_b32 exec_lo, exec_lo, s17
.LBB310_2085:                           ;   in Loop: Header=BB310_1062 Depth=1
	s_or_b32 exec_lo, exec_lo, s16
	v_mov_b32_e32 v0, v10
	v_cmp_ne_u16_sdwa s4, v10, v1 src0_sel:BYTE_0 src1_sel:DWORD
	v_mov_b32_e32 v26, 0
	v_mov_b32_e32 v27, 0
	s_and_saveexec_b32 s16, s4
	s_cbranch_execz .LBB310_2093
; %bb.2086:                             ;   in Loop: Header=BB310_1062 Depth=1
	v_cmp_ne_u16_sdwa s4, v10, v17 src0_sel:BYTE_0 src1_sel:DWORD
	v_mov_b32_e32 v27, 0x8000
	s_and_saveexec_b32 s17, s4
	s_cbranch_execz .LBB310_2092
; %bb.2087:                             ;   in Loop: Header=BB310_1062 Depth=1
	v_and_b32_e32 v47, 0x7f, v10
	v_mov_b32_e32 v27, 0x7c01
	s_mov_b32 s18, exec_lo
	v_cmpx_ne_u32_e32 0x7f, v47
	s_cbranch_execz .LBB310_2091
; %bb.2088:                             ;   in Loop: Header=BB310_1062 Depth=1
	v_and_b32_e32 v27, 7, v10
	v_lshrrev_b32_e32 v70, 3, v47
	s_mov_b32 s20, exec_lo
	v_cmpx_gt_u32_e32 8, v47
; %bb.2089:                             ;   in Loop: Header=BB310_1062 Depth=1
	v_ffbh_u32_e32 v27, v27
	v_min_u32_e32 v27, 32, v27
	v_subrev_nc_u32_e32 v70, 28, v27
	v_lshlrev_b64 v[58:59], v70, v[0:1]
	v_sub_nc_u32_e32 v70, 29, v27
	v_and_b32_e32 v27, 7, v58
; %bb.2090:                             ;   in Loop: Header=BB310_1062 Depth=1
	s_or_b32 exec_lo, exec_lo, s20
	v_lshlrev_b32_e32 v47, 8, v10
	v_lshl_add_u32 v70, v70, 10, 0x2000
	v_lshlrev_b32_e32 v27, 7, v27
	v_and_b32_e32 v47, 0x8000, v47
	v_and_b32_e32 v70, 0xfc00, v70
	v_or3_b32 v27, v47, v70, v27
.LBB310_2091:                           ;   in Loop: Header=BB310_1062 Depth=1
	s_or_b32 exec_lo, exec_lo, s18
.LBB310_2092:                           ;   in Loop: Header=BB310_1062 Depth=1
	s_or_b32 exec_lo, exec_lo, s17
.LBB310_2093:                           ;   in Loop: Header=BB310_1062 Depth=1
	s_or_b32 exec_lo, exec_lo, s16
	v_lshrrev_b16 v0, 8, v0
	v_mov_b32_e32 v70, 0
	s_mov_b32 s16, exec_lo
	v_cmpx_ne_u16_e32 0, v0
	s_cbranch_execz .LBB310_2101
; %bb.2094:                             ;   in Loop: Header=BB310_1062 Depth=1
	v_bfrev_b32_e32 v70, 1
	s_mov_b32 s17, exec_lo
	v_cmpx_ne_u16_e32 0x80, v0
	s_cbranch_execz .LBB310_2100
; %bb.2095:                             ;   in Loop: Header=BB310_1062 Depth=1
	v_and_b32_sdwa v56, v0, v53 dst_sel:DWORD dst_unused:UNUSED_PAD src0_sel:WORD_0 src1_sel:DWORD
	v_mov_b32_e32 v70, 0x7c010000
	s_mov_b32 s18, exec_lo
	v_cmpx_ne_u32_e32 0x7f, v56
	s_cbranch_execz .LBB310_2099
; %bb.2096:                             ;   in Loop: Header=BB310_1062 Depth=1
	v_and_b32_sdwa v70, v0, v54 dst_sel:DWORD dst_unused:UNUSED_PAD src0_sel:WORD_0 src1_sel:DWORD
	v_lshrrev_b32_e32 v47, 3, v56
	s_mov_b32 s20, exec_lo
	v_cmpx_gt_u32_e32 8, v56
; %bb.2097:                             ;   in Loop: Header=BB310_1062 Depth=1
	v_ffbh_u32_e32 v70, v70
	v_min_u32_e32 v70, 32, v70
	v_subrev_nc_u32_e32 v47, 28, v70
	v_lshlrev_b64 v[58:59], v47, v[0:1]
	v_sub_nc_u32_e32 v47, 29, v70
	v_and_b32_e32 v70, 7, v58
; %bb.2098:                             ;   in Loop: Header=BB310_1062 Depth=1
	s_or_b32 exec_lo, exec_lo, s20
	v_lshlrev_b32_sdwa v0, v71, v0 dst_sel:DWORD dst_unused:UNUSED_PAD src0_sel:DWORD src1_sel:WORD_0
	v_lshl_add_u32 v47, v47, 10, 0x2000
	v_lshlrev_b32_e32 v70, 23, v70
	v_and_or_b32 v0, 0x8000, v0, v47
	v_lshl_or_b32 v70, v0, 16, v70
.LBB310_2099:                           ;   in Loop: Header=BB310_1062 Depth=1
	s_or_b32 exec_lo, exec_lo, s18
.LBB310_2100:                           ;   in Loop: Header=BB310_1062 Depth=1
	s_or_b32 exec_lo, exec_lo, s17
.LBB310_2101:                           ;   in Loop: Header=BB310_1062 Depth=1
	s_or_b32 exec_lo, exec_lo, s16
	v_lshrrev_b32_e32 v0, 16, v10
	v_cmp_ne_u16_sdwa s4, v0, v1 src0_sel:BYTE_0 src1_sel:DWORD
	s_and_saveexec_b32 s16, s4
	s_cbranch_execz .LBB310_2109
; %bb.2102:                             ;   in Loop: Header=BB310_1062 Depth=1
	v_cmp_ne_u16_sdwa s4, v0, v17 src0_sel:BYTE_0 src1_sel:DWORD
	v_mov_b32_e32 v26, 0x8000
	s_and_saveexec_b32 s17, s4
	s_cbranch_execz .LBB310_2108
; %bb.2103:                             ;   in Loop: Header=BB310_1062 Depth=1
	v_bfe_u32 v56, v10, 16, 7
	v_mov_b32_e32 v26, 0x7c01
	s_mov_b32 s18, exec_lo
	v_cmpx_ne_u32_e32 0x7f, v56
	s_cbranch_execz .LBB310_2107
; %bb.2104:                             ;   in Loop: Header=BB310_1062 Depth=1
	v_and_b32_e32 v26, 7, v0
	v_lshrrev_b32_e32 v47, 3, v56
	s_mov_b32 s20, exec_lo
	v_cmpx_gt_u32_e32 8, v56
; %bb.2105:                             ;   in Loop: Header=BB310_1062 Depth=1
	v_ffbh_u32_e32 v26, v26
	v_min_u32_e32 v26, 32, v26
	v_subrev_nc_u32_e32 v47, 28, v26
	v_lshlrev_b64 v[58:59], v47, v[0:1]
	v_sub_nc_u32_e32 v47, 29, v26
	v_and_b32_e32 v26, 7, v58
; %bb.2106:                             ;   in Loop: Header=BB310_1062 Depth=1
	s_or_b32 exec_lo, exec_lo, s20
	v_lshlrev_b32_e32 v0, 8, v0
	v_lshl_add_u32 v47, v47, 10, 0x2000
	v_lshlrev_b32_e32 v26, 7, v26
	v_and_b32_e32 v0, 0x8000, v0
	v_and_b32_e32 v47, 0xfc00, v47
	v_or3_b32 v26, v0, v47, v26
.LBB310_2107:                           ;   in Loop: Header=BB310_1062 Depth=1
	s_or_b32 exec_lo, exec_lo, s18
.LBB310_2108:                           ;   in Loop: Header=BB310_1062 Depth=1
	s_or_b32 exec_lo, exec_lo, s17
.LBB310_2109:                           ;   in Loop: Header=BB310_1062 Depth=1
	s_or_b32 exec_lo, exec_lo, s16
	v_cmp_lt_u64_e64 s4, s[12:13], v[9:10]
	v_mov_b32_e32 v9, 0
	s_and_saveexec_b32 s16, s4
	s_cbranch_execz .LBB310_2117
; %bb.2110:                             ;   in Loop: Header=BB310_1062 Depth=1
	v_lshrrev_b32_e32 v0, 24, v10
	v_bfrev_b32_e32 v9, 1
	s_mov_b32 s17, exec_lo
	v_cmpx_ne_u32_e32 0x80, v0
	s_cbranch_execz .LBB310_2116
; %bb.2111:                             ;   in Loop: Header=BB310_1062 Depth=1
	v_and_b32_e32 v47, 0x7f, v0
	v_mov_b32_e32 v9, 0x7c010000
	s_mov_b32 s18, exec_lo
	v_cmpx_ne_u32_e32 0x7f, v47
	s_cbranch_execz .LBB310_2115
; %bb.2112:                             ;   in Loop: Header=BB310_1062 Depth=1
	v_and_b32_e32 v9, 7, v0
	v_lshrrev_b32_e32 v10, 3, v47
	s_mov_b32 s20, exec_lo
	v_cmpx_gt_u32_e32 8, v47
; %bb.2113:                             ;   in Loop: Header=BB310_1062 Depth=1
	v_ffbh_u32_e32 v9, v9
	v_min_u32_e32 v47, 32, v9
	v_subrev_nc_u32_e32 v9, 28, v47
	v_lshlrev_b64 v[9:10], v9, v[0:1]
	v_sub_nc_u32_e32 v10, 29, v47
	v_and_b32_e32 v9, 7, v9
; %bb.2114:                             ;   in Loop: Header=BB310_1062 Depth=1
	s_or_b32 exec_lo, exec_lo, s20
	v_lshlrev_b32_e32 v0, 8, v0
	v_lshl_add_u32 v10, v10, 10, 0x2000
	v_lshlrev_b32_e32 v9, 23, v9
	v_and_or_b32 v0, 0x8000, v0, v10
	v_lshl_or_b32 v9, v0, 16, v9
.LBB310_2115:                           ;   in Loop: Header=BB310_1062 Depth=1
	s_or_b32 exec_lo, exec_lo, s18
.LBB310_2116:                           ;   in Loop: Header=BB310_1062 Depth=1
	s_or_b32 exec_lo, exec_lo, s17
.LBB310_2117:                           ;   in Loop: Header=BB310_1062 Depth=1
	s_or_b32 exec_lo, exec_lo, s16
	v_or_b32_e32 v0, v45, v46
	s_waitcnt vmcnt(0) lgkmcnt(0)
	v_fma_mixlo_f16 v10, v112, v45, 0 op_sel:[0,1,0] op_sel_hi:[0,1,0]
	v_or_b32_e32 v44, v114, v44
	v_fma_mixlo_f16 v114, v112, v114, 0 op_sel:[0,1,0] op_sel_hi:[0,1,0]
	v_or_b32_e32 v46, v70, v27
	v_fma_mixlo_f16 v0, v112, v0, 0 op_sel_hi:[0,1,0]
	v_or_b32_e32 v26, v9, v26
	v_lshlrev_b32_e32 v27, 16, v10
	v_lshlrev_b32_e32 v45, 16, v114
	v_fma_mixlo_f16 v10, v112, v44, 0 op_sel_hi:[0,1,0]
	v_and_b32_e32 v114, 0xffff, v0
	v_fma_mixlo_f16 v0, v112, v70, 0 op_sel:[0,1,0] op_sel_hi:[0,1,0]
	v_fma_mixlo_f16 v70, v112, v46, 0 op_sel_hi:[0,1,0]
	v_fma_mixlo_f16 v9, v112, v9, 0 op_sel:[0,1,0] op_sel_hi:[0,1,0]
	v_fma_mixlo_f16 v26, v112, v26, 0 op_sel_hi:[0,1,0]
	v_and_b32_e32 v47, 0xffff, v10
	v_lshlrev_b32_e32 v112, 16, v0
	v_and_b32_e32 v46, 0xffff, v70
	v_lshlrev_b32_e32 v70, 16, v9
	v_and_b32_e32 v44, 0xffff, v26
	v_or_b32_e32 v10, v27, v114
	v_or_b32_e32 v26, v45, v47
	;; [unrolled: 1-line block ×4, first 2 shown]
	s_and_saveexec_b32 s4, vcc_lo
	s_cbranch_execz .LBB310_1060
; %bb.2118:                             ;   in Loop: Header=BB310_1062 Depth=1
	v_cmp_lt_i32_e32 vcc_lo, v18, v36
	v_cndmask_b32_e32 v0, 0, v47, vcc_lo
	v_cmp_lt_i32_e32 vcc_lo, v100, v36
	v_cndmask_b32_e32 v9, 0, v45, vcc_lo
	v_cmp_lt_i32_e32 vcc_lo, v99, v36
	v_or_b32_e32 v26, v0, v9
	v_cndmask_b32_e32 v10, 0, v114, vcc_lo
	v_cmp_lt_i32_e32 vcc_lo, v98, v36
	v_cndmask_b32_e32 v18, 0, v27, vcc_lo
	v_cmp_lt_i32_e32 vcc_lo, v97, v36
	v_or_b32_e32 v10, v10, v18
	;; [unrolled: 5-line block ×3, first 2 shown]
	v_cndmask_b32_e32 v87, 0, v44, vcc_lo
	v_cmp_lt_i32_e32 vcc_lo, v86, v36
	v_cndmask_b32_e32 v70, 0, v70, vcc_lo
	v_or_b32_e32 v0, v87, v70
	s_branch .LBB310_1060
.LBB310_2119:
	s_or_b32 exec_lo, exec_lo, s11
.LBB310_2120:
	s_or_b32 exec_lo, exec_lo, s7
	ds_bpermute_b32 v1, v20, v64
	ds_bpermute_b32 v14, v20, v28
	s_waitcnt lgkmcnt(0)
	s_waitcnt_vscnt null, 0x0
	s_barrier
	buffer_gl0_inv
	ds_bpermute_b32 v0, v20, v57
	ds_bpermute_b32 v2, v20, v68
	;; [unrolled: 1-line block ×14, first 2 shown]
	s_load_dword s4, s[8:9], 0x0
	v_add_f32_e32 v1, v64, v1
	v_add_f32_e32 v28, v28, v14
	s_mov_b32 s7, exec_lo
	s_waitcnt lgkmcnt(0)
	v_add_f32_e32 v0, v57, v0
	ds_bpermute_b32 v18, v13, v1
	v_add_f32_e32 v2, v68, v2
	v_add_f32_e32 v3, v67, v3
	;; [unrolled: 1-line block ×4, first 2 shown]
	ds_bpermute_b32 v17, v13, v0
	v_add_f32_e32 v6, v23, v6
	v_add_f32_e32 v7, v55, v7
	;; [unrolled: 1-line block ×9, first 2 shown]
	ds_bpermute_b32 v19, v13, v2
	ds_bpermute_b32 v20, v13, v3
	;; [unrolled: 1-line block ×5, first 2 shown]
	s_waitcnt lgkmcnt(6)
	v_add_f32_e32 v14, v1, v18
	buffer_load_dword v18, off, s[0:3], s32 offset:392 ; 4-byte Folded Reload
	ds_bpermute_b32 v32, v13, v7
	ds_bpermute_b32 v33, v13, v23
	;; [unrolled: 1-line block ×9, first 2 shown]
	s_waitcnt lgkmcnt(14)
	v_add_f32_e32 v15, v0, v17
	s_waitcnt lgkmcnt(13)
	v_add_f32_e32 v13, v2, v19
	;; [unrolled: 2-line block ×6, first 2 shown]
	v_and_b32_e32 v19, 0x3c3, v62
	s_waitcnt lgkmcnt(8)
	v_add_f32_e32 v8, v7, v32
	s_waitcnt lgkmcnt(7)
	v_add_f32_e32 v7, v23, v33
	;; [unrolled: 2-line block ×9, first 2 shown]
	s_waitcnt vmcnt(0)
	v_and_b32_e32 v17, 28, v18
	v_lshrrev_b32_e32 v16, 2, v18
	v_lshlrev_b32_e32 v18, 9, v74
	v_add_nc_u32_e32 v17, s4, v17
	v_cmpx_eq_u32_e32 64, v19
	s_cbranch_execz .LBB310_2122
; %bb.2121:
	v_add_nc_u32_e32 v19, v17, v18
	v_add_nc_u32_e32 v20, 0xfffffc00, v19
	;; [unrolled: 1-line block ×7, first 2 shown]
	ds_write_b32 v20, v15
	ds_write_b32 v22, v14
	;; [unrolled: 1-line block ×6, first 2 shown]
	v_add_nc_u32_e32 v20, 0xfffffcc0, v19
	v_add_nc_u32_e32 v22, 0xfffffce0, v19
	;; [unrolled: 1-line block ×5, first 2 shown]
	ds_write_b32 v20, v9
	ds_write_b32 v22, v8
	;; [unrolled: 1-line block ×5, first 2 shown]
	v_add_nc_u32_e32 v20, 0xfffffd60, v19
	v_add_nc_u32_e32 v22, 0xfffffd80, v19
	v_add_nc_u32_e32 v23, 0xfffffda0, v19
	v_add_nc_u32_e32 v24, 0xfffffdc0, v19
	v_add_nc_u32_e32 v19, 0xfffffde0, v19
	ds_write_b32 v20, v4
	ds_write_b32 v22, v3
	;; [unrolled: 1-line block ×5, first 2 shown]
.LBB310_2122:
	s_or_b32 exec_lo, exec_lo, s7
	v_lshlrev_b32_e32 v16, 2, v16
	s_mov_b32 s7, exec_lo
	v_cmp_eq_u32_e32 vcc_lo, 0, v21
	s_waitcnt lgkmcnt(0)
	s_barrier
	v_add3_u32 v16, s4, v18, v16
	buffer_gl0_inv
	v_cmpx_gt_u32_e32 64, v62
	s_cbranch_execz .LBB310_2141
; %bb.2123:
	s_and_saveexec_b32 s4, vcc_lo
	s_cbranch_execnz .LBB310_2165
; %bb.2124:
	s_or_b32 exec_lo, exec_lo, s4
	s_and_saveexec_b32 s4, vcc_lo
	s_cbranch_execnz .LBB310_2166
.LBB310_2125:
	s_or_b32 exec_lo, exec_lo, s4
	s_and_saveexec_b32 s4, vcc_lo
	s_cbranch_execnz .LBB310_2167
.LBB310_2126:
	s_or_b32 exec_lo, exec_lo, s4
	s_and_saveexec_b32 s4, vcc_lo
	s_cbranch_execnz .LBB310_2168
.LBB310_2127:
	s_or_b32 exec_lo, exec_lo, s4
	s_and_saveexec_b32 s4, vcc_lo
	s_cbranch_execnz .LBB310_2169
.LBB310_2128:
	s_or_b32 exec_lo, exec_lo, s4
	s_and_saveexec_b32 s4, vcc_lo
	s_cbranch_execnz .LBB310_2170
.LBB310_2129:
	s_or_b32 exec_lo, exec_lo, s4
	s_and_saveexec_b32 s4, vcc_lo
	s_cbranch_execnz .LBB310_2171
.LBB310_2130:
	s_or_b32 exec_lo, exec_lo, s4
	s_and_saveexec_b32 s4, vcc_lo
	s_cbranch_execnz .LBB310_2172
.LBB310_2131:
	s_or_b32 exec_lo, exec_lo, s4
	s_and_saveexec_b32 s4, vcc_lo
	s_cbranch_execnz .LBB310_2173
.LBB310_2132:
	s_or_b32 exec_lo, exec_lo, s4
	s_and_saveexec_b32 s4, vcc_lo
	s_cbranch_execnz .LBB310_2174
.LBB310_2133:
	s_or_b32 exec_lo, exec_lo, s4
	s_and_saveexec_b32 s4, vcc_lo
	s_cbranch_execnz .LBB310_2175
.LBB310_2134:
	s_or_b32 exec_lo, exec_lo, s4
	s_and_saveexec_b32 s4, vcc_lo
	s_cbranch_execnz .LBB310_2176
.LBB310_2135:
	s_or_b32 exec_lo, exec_lo, s4
	s_and_saveexec_b32 s4, vcc_lo
	s_cbranch_execnz .LBB310_2177
.LBB310_2136:
	s_or_b32 exec_lo, exec_lo, s4
	s_and_saveexec_b32 s4, vcc_lo
	s_cbranch_execnz .LBB310_2178
.LBB310_2137:
	s_or_b32 exec_lo, exec_lo, s4
	s_and_saveexec_b32 s4, vcc_lo
	s_cbranch_execnz .LBB310_2179
.LBB310_2138:
	s_or_b32 exec_lo, exec_lo, s4
	s_and_saveexec_b32 s4, vcc_lo
	s_cbranch_execz .LBB310_2140
.LBB310_2139:
	ds_read_b32 v18, v16 offset:480
	s_waitcnt lgkmcnt(0)
	v_add_f32_e32 v2, v18, v2
.LBB310_2140:
	s_or_b32 exec_lo, exec_lo, s4
.LBB310_2141:
	s_or_b32 exec_lo, exec_lo, s7
	v_and_b32_e32 v18, 0x3e3, v62
	s_mov_b32 s7, exec_lo
	s_barrier
	buffer_gl0_inv
	v_cmpx_eq_u32_e32 32, v18
	s_cbranch_execz .LBB310_2143
; %bb.2142:
	ds_write2_b32 v17, v15, v14 offset1:8
	ds_write2_b32 v17, v13, v12 offset0:16 offset1:24
	ds_write2_b32 v17, v11, v10 offset0:32 offset1:40
	;; [unrolled: 1-line block ×7, first 2 shown]
.LBB310_2143:
	s_or_b32 exec_lo, exec_lo, s7
	s_mov_b32 s7, exec_lo
	s_waitcnt lgkmcnt(0)
	s_barrier
	buffer_gl0_inv
	v_cmpx_gt_u32_e32 32, v62
	s_cbranch_execz .LBB310_2162
; %bb.2144:
	s_and_saveexec_b32 s4, vcc_lo
	s_cbranch_execnz .LBB310_2180
; %bb.2145:
	s_or_b32 exec_lo, exec_lo, s4
	s_and_saveexec_b32 s4, vcc_lo
	s_cbranch_execnz .LBB310_2181
.LBB310_2146:
	s_or_b32 exec_lo, exec_lo, s4
	s_and_saveexec_b32 s4, vcc_lo
	s_cbranch_execnz .LBB310_2182
.LBB310_2147:
	s_or_b32 exec_lo, exec_lo, s4
	s_and_saveexec_b32 s4, vcc_lo
	s_cbranch_execnz .LBB310_2183
.LBB310_2148:
	s_or_b32 exec_lo, exec_lo, s4
	s_and_saveexec_b32 s4, vcc_lo
	s_cbranch_execnz .LBB310_2184
.LBB310_2149:
	s_or_b32 exec_lo, exec_lo, s4
	s_and_saveexec_b32 s4, vcc_lo
	s_cbranch_execnz .LBB310_2185
.LBB310_2150:
	s_or_b32 exec_lo, exec_lo, s4
	s_and_saveexec_b32 s4, vcc_lo
	s_cbranch_execnz .LBB310_2186
.LBB310_2151:
	s_or_b32 exec_lo, exec_lo, s4
	s_and_saveexec_b32 s4, vcc_lo
	s_cbranch_execnz .LBB310_2187
.LBB310_2152:
	s_or_b32 exec_lo, exec_lo, s4
	s_and_saveexec_b32 s4, vcc_lo
	s_cbranch_execnz .LBB310_2188
.LBB310_2153:
	s_or_b32 exec_lo, exec_lo, s4
	s_and_saveexec_b32 s4, vcc_lo
	s_cbranch_execnz .LBB310_2189
.LBB310_2154:
	s_or_b32 exec_lo, exec_lo, s4
	s_and_saveexec_b32 s4, vcc_lo
	s_cbranch_execnz .LBB310_2190
.LBB310_2155:
	s_or_b32 exec_lo, exec_lo, s4
	s_and_saveexec_b32 s4, vcc_lo
	s_cbranch_execnz .LBB310_2191
.LBB310_2156:
	s_or_b32 exec_lo, exec_lo, s4
	s_and_saveexec_b32 s4, vcc_lo
	s_cbranch_execnz .LBB310_2192
.LBB310_2157:
	s_or_b32 exec_lo, exec_lo, s4
	s_and_saveexec_b32 s4, vcc_lo
	s_cbranch_execnz .LBB310_2193
.LBB310_2158:
	s_or_b32 exec_lo, exec_lo, s4
	s_and_saveexec_b32 s4, vcc_lo
	s_cbranch_execnz .LBB310_2194
.LBB310_2159:
	s_or_b32 exec_lo, exec_lo, s4
	s_and_saveexec_b32 s4, vcc_lo
	s_cbranch_execz .LBB310_2161
.LBB310_2160:
	ds_read_b32 v16, v16 offset:480
	s_waitcnt lgkmcnt(0)
	v_add_f32_e32 v2, v16, v2
.LBB310_2161:
	s_or_b32 exec_lo, exec_lo, s4
.LBB310_2162:
	s_or_b32 exec_lo, exec_lo, s7
	v_cmp_eq_u32_e32 vcc_lo, 0, v18
	s_barrier
	buffer_gl0_inv
	s_and_b32 exec_lo, exec_lo, vcc_lo
	s_cbranch_execz .LBB310_2164
; %bb.2163:
	s_lshl_b32 s6, s6, 7
	s_mul_i32 s4, s10, s5
	s_ashr_i32 s7, s6, 31
	s_ashr_i32 s5, s4, 31
	s_lshl_b64 s[6:7], s[6:7], 1
	s_lshl_b64 s[4:5], s[4:5], 1
	v_add_co_u32 v16, vcc_lo, v61, s6
	v_add_co_ci_u32_e64 v17, null, s7, v60, vcc_lo
	s_lshl_b32 s6, s14, 7
	v_add_co_u32 v16, vcc_lo, v16, s4
	s_ashr_i32 s7, s6, 31
	v_add_co_ci_u32_e64 v17, null, s5, v17, vcc_lo
	s_lshl_b64 s[4:5], s[6:7], 1
	v_lshrrev_b32_e32 v18, 1, v62
	v_add_co_u32 v16, vcc_lo, v16, s4
	v_add_co_ci_u32_e64 v17, null, s5, v17, vcc_lo
	;;#ASMSTART
	v_cvt_f16_f32 v15, v15;

	;;#ASMEND
	v_add_co_u32 v16, vcc_lo, v16, v18
	v_add_co_ci_u32_e64 v17, null, 0, v17, vcc_lo
	flat_store_short v[16:17], v15
	;;#ASMSTART
	v_cvt_f16_f32 v14, v14;

	;;#ASMEND
	flat_store_short v[16:17], v14 offset:16
	;;#ASMSTART
	v_cvt_f16_f32 v13, v13;

	;;#ASMEND
	flat_store_short v[16:17], v13 offset:32
	;; [unrolled: 5-line block ×15, first 2 shown]
.LBB310_2164:
	s_or_b32 exec_lo, exec_lo, s19
	s_clause 0x2f
	buffer_load_dword v127, off, s[0:3], s32 offset:8
	buffer_load_dword v126, off, s[0:3], s32 offset:12
	;; [unrolled: 1-line block ×48, first 2 shown]
	s_waitcnt vmcnt(0) lgkmcnt(0)
	s_setpc_b64 s[30:31]
.LBB310_2165:
	ds_read_b32 v18, v16
	s_waitcnt lgkmcnt(0)
	v_add_f32_e32 v15, v18, v15
	s_or_b32 exec_lo, exec_lo, s4
	s_and_saveexec_b32 s4, vcc_lo
	s_cbranch_execz .LBB310_2125
.LBB310_2166:
	ds_read_b32 v18, v16 offset:32
	s_waitcnt lgkmcnt(0)
	v_add_f32_e32 v14, v18, v14
	s_or_b32 exec_lo, exec_lo, s4
	s_and_saveexec_b32 s4, vcc_lo
	s_cbranch_execz .LBB310_2126
.LBB310_2167:
	ds_read_b32 v18, v16 offset:64
	s_waitcnt lgkmcnt(0)
	v_add_f32_e32 v13, v18, v13
	s_or_b32 exec_lo, exec_lo, s4
	s_and_saveexec_b32 s4, vcc_lo
	s_cbranch_execz .LBB310_2127
.LBB310_2168:
	ds_read_b32 v18, v16 offset:96
	s_waitcnt lgkmcnt(0)
	v_add_f32_e32 v12, v18, v12
	s_or_b32 exec_lo, exec_lo, s4
	s_and_saveexec_b32 s4, vcc_lo
	s_cbranch_execz .LBB310_2128
.LBB310_2169:
	ds_read_b32 v18, v16 offset:128
	s_waitcnt lgkmcnt(0)
	v_add_f32_e32 v11, v18, v11
	s_or_b32 exec_lo, exec_lo, s4
	s_and_saveexec_b32 s4, vcc_lo
	s_cbranch_execz .LBB310_2129
.LBB310_2170:
	ds_read_b32 v18, v16 offset:160
	s_waitcnt lgkmcnt(0)
	v_add_f32_e32 v10, v18, v10
	s_or_b32 exec_lo, exec_lo, s4
	s_and_saveexec_b32 s4, vcc_lo
	s_cbranch_execz .LBB310_2130
.LBB310_2171:
	ds_read_b32 v18, v16 offset:192
	s_waitcnt lgkmcnt(0)
	v_add_f32_e32 v9, v18, v9
	s_or_b32 exec_lo, exec_lo, s4
	s_and_saveexec_b32 s4, vcc_lo
	s_cbranch_execz .LBB310_2131
.LBB310_2172:
	ds_read_b32 v18, v16 offset:224
	s_waitcnt lgkmcnt(0)
	v_add_f32_e32 v8, v18, v8
	s_or_b32 exec_lo, exec_lo, s4
	s_and_saveexec_b32 s4, vcc_lo
	s_cbranch_execz .LBB310_2132
.LBB310_2173:
	ds_read_b32 v18, v16 offset:256
	s_waitcnt lgkmcnt(0)
	v_add_f32_e32 v7, v18, v7
	s_or_b32 exec_lo, exec_lo, s4
	s_and_saveexec_b32 s4, vcc_lo
	s_cbranch_execz .LBB310_2133
.LBB310_2174:
	ds_read_b32 v18, v16 offset:288
	s_waitcnt lgkmcnt(0)
	v_add_f32_e32 v6, v18, v6
	s_or_b32 exec_lo, exec_lo, s4
	s_and_saveexec_b32 s4, vcc_lo
	s_cbranch_execz .LBB310_2134
.LBB310_2175:
	ds_read_b32 v18, v16 offset:320
	s_waitcnt lgkmcnt(0)
	v_add_f32_e32 v5, v18, v5
	s_or_b32 exec_lo, exec_lo, s4
	s_and_saveexec_b32 s4, vcc_lo
	s_cbranch_execz .LBB310_2135
.LBB310_2176:
	ds_read_b32 v18, v16 offset:352
	s_waitcnt lgkmcnt(0)
	v_add_f32_e32 v4, v18, v4
	s_or_b32 exec_lo, exec_lo, s4
	s_and_saveexec_b32 s4, vcc_lo
	s_cbranch_execz .LBB310_2136
.LBB310_2177:
	ds_read_b32 v18, v16 offset:384
	s_waitcnt lgkmcnt(0)
	v_add_f32_e32 v3, v18, v3
	s_or_b32 exec_lo, exec_lo, s4
	s_and_saveexec_b32 s4, vcc_lo
	s_cbranch_execz .LBB310_2137
.LBB310_2178:
	ds_read_b32 v18, v16 offset:416
	s_waitcnt lgkmcnt(0)
	v_add_f32_e32 v1, v18, v1
	s_or_b32 exec_lo, exec_lo, s4
	s_and_saveexec_b32 s4, vcc_lo
	s_cbranch_execz .LBB310_2138
.LBB310_2179:
	ds_read_b32 v18, v16 offset:448
	s_waitcnt lgkmcnt(0)
	v_add_f32_e32 v0, v18, v0
	s_or_b32 exec_lo, exec_lo, s4
	s_and_saveexec_b32 s4, vcc_lo
	s_cbranch_execnz .LBB310_2139
	s_branch .LBB310_2140
.LBB310_2180:
	ds_read_b32 v17, v16
	s_waitcnt lgkmcnt(0)
	v_add_f32_e32 v15, v17, v15
	s_or_b32 exec_lo, exec_lo, s4
	s_and_saveexec_b32 s4, vcc_lo
	s_cbranch_execz .LBB310_2146
.LBB310_2181:
	ds_read_b32 v17, v16 offset:32
	s_waitcnt lgkmcnt(0)
	v_add_f32_e32 v14, v17, v14
	s_or_b32 exec_lo, exec_lo, s4
	s_and_saveexec_b32 s4, vcc_lo
	s_cbranch_execz .LBB310_2147
.LBB310_2182:
	ds_read_b32 v17, v16 offset:64
	s_waitcnt lgkmcnt(0)
	v_add_f32_e32 v13, v17, v13
	s_or_b32 exec_lo, exec_lo, s4
	s_and_saveexec_b32 s4, vcc_lo
	s_cbranch_execz .LBB310_2148
.LBB310_2183:
	ds_read_b32 v17, v16 offset:96
	s_waitcnt lgkmcnt(0)
	v_add_f32_e32 v12, v17, v12
	s_or_b32 exec_lo, exec_lo, s4
	s_and_saveexec_b32 s4, vcc_lo
	s_cbranch_execz .LBB310_2149
.LBB310_2184:
	ds_read_b32 v17, v16 offset:128
	s_waitcnt lgkmcnt(0)
	v_add_f32_e32 v11, v17, v11
	s_or_b32 exec_lo, exec_lo, s4
	s_and_saveexec_b32 s4, vcc_lo
	s_cbranch_execz .LBB310_2150
.LBB310_2185:
	ds_read_b32 v17, v16 offset:160
	s_waitcnt lgkmcnt(0)
	v_add_f32_e32 v10, v17, v10
	s_or_b32 exec_lo, exec_lo, s4
	s_and_saveexec_b32 s4, vcc_lo
	s_cbranch_execz .LBB310_2151
.LBB310_2186:
	ds_read_b32 v17, v16 offset:192
	s_waitcnt lgkmcnt(0)
	v_add_f32_e32 v9, v17, v9
	s_or_b32 exec_lo, exec_lo, s4
	s_and_saveexec_b32 s4, vcc_lo
	s_cbranch_execz .LBB310_2152
.LBB310_2187:
	ds_read_b32 v17, v16 offset:224
	s_waitcnt lgkmcnt(0)
	v_add_f32_e32 v8, v17, v8
	s_or_b32 exec_lo, exec_lo, s4
	s_and_saveexec_b32 s4, vcc_lo
	s_cbranch_execz .LBB310_2153
.LBB310_2188:
	ds_read_b32 v17, v16 offset:256
	s_waitcnt lgkmcnt(0)
	v_add_f32_e32 v7, v17, v7
	s_or_b32 exec_lo, exec_lo, s4
	s_and_saveexec_b32 s4, vcc_lo
	s_cbranch_execz .LBB310_2154
.LBB310_2189:
	ds_read_b32 v17, v16 offset:288
	s_waitcnt lgkmcnt(0)
	v_add_f32_e32 v6, v17, v6
	s_or_b32 exec_lo, exec_lo, s4
	s_and_saveexec_b32 s4, vcc_lo
	s_cbranch_execz .LBB310_2155
.LBB310_2190:
	ds_read_b32 v17, v16 offset:320
	s_waitcnt lgkmcnt(0)
	v_add_f32_e32 v5, v17, v5
	s_or_b32 exec_lo, exec_lo, s4
	s_and_saveexec_b32 s4, vcc_lo
	s_cbranch_execz .LBB310_2156
.LBB310_2191:
	ds_read_b32 v17, v16 offset:352
	s_waitcnt lgkmcnt(0)
	v_add_f32_e32 v4, v17, v4
	s_or_b32 exec_lo, exec_lo, s4
	s_and_saveexec_b32 s4, vcc_lo
	s_cbranch_execz .LBB310_2157
.LBB310_2192:
	ds_read_b32 v17, v16 offset:384
	s_waitcnt lgkmcnt(0)
	v_add_f32_e32 v3, v17, v3
	s_or_b32 exec_lo, exec_lo, s4
	s_and_saveexec_b32 s4, vcc_lo
	s_cbranch_execz .LBB310_2158
.LBB310_2193:
	ds_read_b32 v17, v16 offset:416
	s_waitcnt lgkmcnt(0)
	v_add_f32_e32 v1, v17, v1
	s_or_b32 exec_lo, exec_lo, s4
	s_and_saveexec_b32 s4, vcc_lo
	s_cbranch_execz .LBB310_2159
.LBB310_2194:
	ds_read_b32 v17, v16 offset:448
	s_waitcnt lgkmcnt(0)
	v_add_f32_e32 v0, v17, v0
	s_or_b32 exec_lo, exec_lo, s4
	s_and_saveexec_b32 s4, vcc_lo
	s_cbranch_execnz .LBB310_2160
	s_branch .LBB310_2161
.Lfunc_end310:
	.size	_ZN4vllm22paged_attention_kernelIthLi128ELi32ELi128ELNS_18Fp8KVCacheDataTypeE1ELb1ELi512EEEvPfS2_PT_PKS3_PKT0_S9_ifPKiSB_iPKfiiiSD_SD_iiiii, .Lfunc_end310-_ZN4vllm22paged_attention_kernelIthLi128ELi32ELi128ELNS_18Fp8KVCacheDataTypeE1ELb1ELi512EEEvPfS2_PT_PKS3_PKT0_S9_ifPKiSB_iPKfiiiSD_SD_iiiii
                                        ; -- End function
	.set .L_ZN4vllm22paged_attention_kernelIthLi128ELi32ELi128ELNS_18Fp8KVCacheDataTypeE1ELb1ELi512EEEvPfS2_PT_PKS3_PKT0_S9_ifPKiSB_iPKfiiiSD_SD_iiiii.num_vgpr, 128
	.set .L_ZN4vllm22paged_attention_kernelIthLi128ELi32ELi128ELNS_18Fp8KVCacheDataTypeE1ELb1ELi512EEEvPfS2_PT_PKS3_PKT0_S9_ifPKiSB_iPKfiiiSD_SD_iiiii.num_agpr, 0
	.set .L_ZN4vllm22paged_attention_kernelIthLi128ELi32ELi128ELNS_18Fp8KVCacheDataTypeE1ELb1ELi512EEEvPfS2_PT_PKS3_PKT0_S9_ifPKiSB_iPKfiiiSD_SD_iiiii.numbered_sgpr, 33
	.set .L_ZN4vllm22paged_attention_kernelIthLi128ELi32ELi128ELNS_18Fp8KVCacheDataTypeE1ELb1ELi512EEEvPfS2_PT_PKS3_PKT0_S9_ifPKiSB_iPKfiiiSD_SD_iiiii.num_named_barrier, 0
	.set .L_ZN4vllm22paged_attention_kernelIthLi128ELi32ELi128ELNS_18Fp8KVCacheDataTypeE1ELb1ELi512EEEvPfS2_PT_PKS3_PKT0_S9_ifPKiSB_iPKfiiiSD_SD_iiiii.private_seg_size, 528
	.set .L_ZN4vllm22paged_attention_kernelIthLi128ELi32ELi128ELNS_18Fp8KVCacheDataTypeE1ELb1ELi512EEEvPfS2_PT_PKS3_PKT0_S9_ifPKiSB_iPKfiiiSD_SD_iiiii.uses_vcc, 1
	.set .L_ZN4vllm22paged_attention_kernelIthLi128ELi32ELi128ELNS_18Fp8KVCacheDataTypeE1ELb1ELi512EEEvPfS2_PT_PKS3_PKT0_S9_ifPKiSB_iPKfiiiSD_SD_iiiii.uses_flat_scratch, 0
	.set .L_ZN4vllm22paged_attention_kernelIthLi128ELi32ELi128ELNS_18Fp8KVCacheDataTypeE1ELb1ELi512EEEvPfS2_PT_PKS3_PKT0_S9_ifPKiSB_iPKfiiiSD_SD_iiiii.has_dyn_sized_stack, 0
	.set .L_ZN4vllm22paged_attention_kernelIthLi128ELi32ELi128ELNS_18Fp8KVCacheDataTypeE1ELb1ELi512EEEvPfS2_PT_PKS3_PKT0_S9_ifPKiSB_iPKfiiiSD_SD_iiiii.has_recursion, 0
	.set .L_ZN4vllm22paged_attention_kernelIthLi128ELi32ELi128ELNS_18Fp8KVCacheDataTypeE1ELb1ELi512EEEvPfS2_PT_PKS3_PKT0_S9_ifPKiSB_iPKfiiiSD_SD_iiiii.has_indirect_call, 0
	.section	.AMDGPU.csdata,"",@progbits
; Function info:
; codeLenInByte = 73884
; TotalNumSgprs: 35
; NumVgprs: 128
; ScratchSize: 528
; MemoryBound: 0
	.section	.text._ZN4vllm25paged_attention_v2_kernelIthLi128ELi32ELi128ELNS_18Fp8KVCacheDataTypeE1ELb1ELi512EEEvPfS2_PT_PKS3_PKT0_S9_ifPKiSB_iPKfiiiSD_SD_iiiii,"axG",@progbits,_ZN4vllm25paged_attention_v2_kernelIthLi128ELi32ELi128ELNS_18Fp8KVCacheDataTypeE1ELb1ELi512EEEvPfS2_PT_PKS3_PKT0_S9_ifPKiSB_iPKfiiiSD_SD_iiiii,comdat
	.protected	_ZN4vllm25paged_attention_v2_kernelIthLi128ELi32ELi128ELNS_18Fp8KVCacheDataTypeE1ELb1ELi512EEEvPfS2_PT_PKS3_PKT0_S9_ifPKiSB_iPKfiiiSD_SD_iiiii ; -- Begin function _ZN4vllm25paged_attention_v2_kernelIthLi128ELi32ELi128ELNS_18Fp8KVCacheDataTypeE1ELb1ELi512EEEvPfS2_PT_PKS3_PKT0_S9_ifPKiSB_iPKfiiiSD_SD_iiiii
	.globl	_ZN4vllm25paged_attention_v2_kernelIthLi128ELi32ELi128ELNS_18Fp8KVCacheDataTypeE1ELb1ELi512EEEvPfS2_PT_PKS3_PKT0_S9_ifPKiSB_iPKfiiiSD_SD_iiiii
	.p2align	8
	.type	_ZN4vllm25paged_attention_v2_kernelIthLi128ELi32ELi128ELNS_18Fp8KVCacheDataTypeE1ELb1ELi512EEEvPfS2_PT_PKS3_PKT0_S9_ifPKiSB_iPKfiiiSD_SD_iiiii,@function
_ZN4vllm25paged_attention_v2_kernelIthLi128ELi32ELi128ELNS_18Fp8KVCacheDataTypeE1ELb1ELi512EEEvPfS2_PT_PKS3_PKT0_S9_ifPKiSB_iPKfiiiSD_SD_iiiii: ; @_ZN4vllm25paged_attention_v2_kernelIthLi128ELi32ELi128ELNS_18Fp8KVCacheDataTypeE1ELb1ELi512EEEvPfS2_PT_PKS3_PKT0_S9_ifPKiSB_iPKfiiiSD_SD_iiiii
; %bb.0:
	s_mov_b32 s14, s8
	s_clause 0x7
	s_load_dwordx4 s[36:39], s[4:5], 0x78
	s_load_dword s8, s[4:5], 0x88
	s_load_dwordx8 s[40:47], s[4:5], 0x0
	s_load_dwordx8 s[24:31], s[4:5], 0x20
	s_load_dwordx2 s[10:11], s[4:5], 0x40
	s_load_dwordx2 s[34:35], s[4:5], 0x50
	s_load_dword s13, s[4:5], 0x48
	s_load_dwordx8 s[16:23], s[4:5], 0x58
	s_add_u32 s0, s0, s9
	s_mov_b32 s32, 0
	s_addc_u32 s1, s1, 0
	v_mov_b32_e32 v31, v0
	s_mov_b32 s12, s6
	s_mov_b32 s15, 39
	s_waitcnt lgkmcnt(0)
	v_mov_b32_e32 v1, s39
	v_mov_b32_e32 v2, s8
	;; [unrolled: 1-line block ×4, first 2 shown]
	buffer_store_dword v1, off, s[0:3], s32
	buffer_store_dword v2, off, s[0:3], s32 offset:4
	v_mov_b32_e32 v1, s41
	v_mov_b32_e32 v2, s42
	;; [unrolled: 1-line block ×29, first 2 shown]
	s_add_u32 s8, s4, 0x90
	s_addc_u32 s9, s5, 0
	s_getpc_b64 s[4:5]
	s_add_u32 s4, s4, _ZN4vllm22paged_attention_kernelIthLi128ELi32ELi128ELNS_18Fp8KVCacheDataTypeE1ELb1ELi512EEEvPfS2_PT_PKS3_PKT0_S9_ifPKiSB_iPKfiiiSD_SD_iiiii@rel32@lo+4
	s_addc_u32 s5, s5, _ZN4vllm22paged_attention_kernelIthLi128ELi32ELi128ELNS_18Fp8KVCacheDataTypeE1ELb1ELi512EEEvPfS2_PT_PKS3_PKT0_S9_ifPKiSB_iPKfiiiSD_SD_iiiii@rel32@hi+12
	s_mov_b32 s13, s7
	s_swappc_b64 s[30:31], s[4:5]
	s_endpgm
	.section	.rodata,"a",@progbits
	.p2align	6, 0x0
	.amdhsa_kernel _ZN4vllm25paged_attention_v2_kernelIthLi128ELi32ELi128ELNS_18Fp8KVCacheDataTypeE1ELb1ELi512EEEvPfS2_PT_PKS3_PKT0_S9_ifPKiSB_iPKfiiiSD_SD_iiiii
		.amdhsa_group_segment_fixed_size 288
		.amdhsa_private_segment_fixed_size 528
		.amdhsa_kernarg_size 400
		.amdhsa_user_sgpr_count 6
		.amdhsa_user_sgpr_private_segment_buffer 1
		.amdhsa_user_sgpr_dispatch_ptr 0
		.amdhsa_user_sgpr_queue_ptr 0
		.amdhsa_user_sgpr_kernarg_segment_ptr 1
		.amdhsa_user_sgpr_dispatch_id 0
		.amdhsa_user_sgpr_flat_scratch_init 0
		.amdhsa_user_sgpr_private_segment_size 0
		.amdhsa_wavefront_size32 1
		.amdhsa_uses_dynamic_stack 0
		.amdhsa_system_sgpr_private_segment_wavefront_offset 1
		.amdhsa_system_sgpr_workgroup_id_x 1
		.amdhsa_system_sgpr_workgroup_id_y 1
		.amdhsa_system_sgpr_workgroup_id_z 1
		.amdhsa_system_sgpr_workgroup_info 0
		.amdhsa_system_vgpr_workitem_id 0
		.amdhsa_next_free_vgpr 128
		.amdhsa_next_free_sgpr 48
		.amdhsa_reserve_vcc 1
		.amdhsa_reserve_flat_scratch 0
		.amdhsa_float_round_mode_32 0
		.amdhsa_float_round_mode_16_64 0
		.amdhsa_float_denorm_mode_32 3
		.amdhsa_float_denorm_mode_16_64 3
		.amdhsa_dx10_clamp 1
		.amdhsa_ieee_mode 1
		.amdhsa_fp16_overflow 0
		.amdhsa_workgroup_processor_mode 1
		.amdhsa_memory_ordered 1
		.amdhsa_forward_progress 1
		.amdhsa_shared_vgpr_count 0
		.amdhsa_exception_fp_ieee_invalid_op 0
		.amdhsa_exception_fp_denorm_src 0
		.amdhsa_exception_fp_ieee_div_zero 0
		.amdhsa_exception_fp_ieee_overflow 0
		.amdhsa_exception_fp_ieee_underflow 0
		.amdhsa_exception_fp_ieee_inexact 0
		.amdhsa_exception_int_div_zero 0
	.end_amdhsa_kernel
	.section	.text._ZN4vllm25paged_attention_v2_kernelIthLi128ELi32ELi128ELNS_18Fp8KVCacheDataTypeE1ELb1ELi512EEEvPfS2_PT_PKS3_PKT0_S9_ifPKiSB_iPKfiiiSD_SD_iiiii,"axG",@progbits,_ZN4vllm25paged_attention_v2_kernelIthLi128ELi32ELi128ELNS_18Fp8KVCacheDataTypeE1ELb1ELi512EEEvPfS2_PT_PKS3_PKT0_S9_ifPKiSB_iPKfiiiSD_SD_iiiii,comdat
.Lfunc_end311:
	.size	_ZN4vllm25paged_attention_v2_kernelIthLi128ELi32ELi128ELNS_18Fp8KVCacheDataTypeE1ELb1ELi512EEEvPfS2_PT_PKS3_PKT0_S9_ifPKiSB_iPKfiiiSD_SD_iiiii, .Lfunc_end311-_ZN4vllm25paged_attention_v2_kernelIthLi128ELi32ELi128ELNS_18Fp8KVCacheDataTypeE1ELb1ELi512EEEvPfS2_PT_PKS3_PKT0_S9_ifPKiSB_iPKfiiiSD_SD_iiiii
                                        ; -- End function
	.set _ZN4vllm25paged_attention_v2_kernelIthLi128ELi32ELi128ELNS_18Fp8KVCacheDataTypeE1ELb1ELi512EEEvPfS2_PT_PKS3_PKT0_S9_ifPKiSB_iPKfiiiSD_SD_iiiii.num_vgpr, max(32, .L_ZN4vllm22paged_attention_kernelIthLi128ELi32ELi128ELNS_18Fp8KVCacheDataTypeE1ELb1ELi512EEEvPfS2_PT_PKS3_PKT0_S9_ifPKiSB_iPKfiiiSD_SD_iiiii.num_vgpr)
	.set _ZN4vllm25paged_attention_v2_kernelIthLi128ELi32ELi128ELNS_18Fp8KVCacheDataTypeE1ELb1ELi512EEEvPfS2_PT_PKS3_PKT0_S9_ifPKiSB_iPKfiiiSD_SD_iiiii.num_agpr, max(0, .L_ZN4vllm22paged_attention_kernelIthLi128ELi32ELi128ELNS_18Fp8KVCacheDataTypeE1ELb1ELi512EEEvPfS2_PT_PKS3_PKT0_S9_ifPKiSB_iPKfiiiSD_SD_iiiii.num_agpr)
	.set _ZN4vllm25paged_attention_v2_kernelIthLi128ELi32ELi128ELNS_18Fp8KVCacheDataTypeE1ELb1ELi512EEEvPfS2_PT_PKS3_PKT0_S9_ifPKiSB_iPKfiiiSD_SD_iiiii.numbered_sgpr, max(48, .L_ZN4vllm22paged_attention_kernelIthLi128ELi32ELi128ELNS_18Fp8KVCacheDataTypeE1ELb1ELi512EEEvPfS2_PT_PKS3_PKT0_S9_ifPKiSB_iPKfiiiSD_SD_iiiii.numbered_sgpr)
	.set _ZN4vllm25paged_attention_v2_kernelIthLi128ELi32ELi128ELNS_18Fp8KVCacheDataTypeE1ELb1ELi512EEEvPfS2_PT_PKS3_PKT0_S9_ifPKiSB_iPKfiiiSD_SD_iiiii.num_named_barrier, max(0, .L_ZN4vllm22paged_attention_kernelIthLi128ELi32ELi128ELNS_18Fp8KVCacheDataTypeE1ELb1ELi512EEEvPfS2_PT_PKS3_PKT0_S9_ifPKiSB_iPKfiiiSD_SD_iiiii.num_named_barrier)
	.set _ZN4vllm25paged_attention_v2_kernelIthLi128ELi32ELi128ELNS_18Fp8KVCacheDataTypeE1ELb1ELi512EEEvPfS2_PT_PKS3_PKT0_S9_ifPKiSB_iPKfiiiSD_SD_iiiii.private_seg_size, 0+max(.L_ZN4vllm22paged_attention_kernelIthLi128ELi32ELi128ELNS_18Fp8KVCacheDataTypeE1ELb1ELi512EEEvPfS2_PT_PKS3_PKT0_S9_ifPKiSB_iPKfiiiSD_SD_iiiii.private_seg_size)
	.set _ZN4vllm25paged_attention_v2_kernelIthLi128ELi32ELi128ELNS_18Fp8KVCacheDataTypeE1ELb1ELi512EEEvPfS2_PT_PKS3_PKT0_S9_ifPKiSB_iPKfiiiSD_SD_iiiii.uses_vcc, or(1, .L_ZN4vllm22paged_attention_kernelIthLi128ELi32ELi128ELNS_18Fp8KVCacheDataTypeE1ELb1ELi512EEEvPfS2_PT_PKS3_PKT0_S9_ifPKiSB_iPKfiiiSD_SD_iiiii.uses_vcc)
	.set _ZN4vllm25paged_attention_v2_kernelIthLi128ELi32ELi128ELNS_18Fp8KVCacheDataTypeE1ELb1ELi512EEEvPfS2_PT_PKS3_PKT0_S9_ifPKiSB_iPKfiiiSD_SD_iiiii.uses_flat_scratch, or(0, .L_ZN4vllm22paged_attention_kernelIthLi128ELi32ELi128ELNS_18Fp8KVCacheDataTypeE1ELb1ELi512EEEvPfS2_PT_PKS3_PKT0_S9_ifPKiSB_iPKfiiiSD_SD_iiiii.uses_flat_scratch)
	.set _ZN4vllm25paged_attention_v2_kernelIthLi128ELi32ELi128ELNS_18Fp8KVCacheDataTypeE1ELb1ELi512EEEvPfS2_PT_PKS3_PKT0_S9_ifPKiSB_iPKfiiiSD_SD_iiiii.has_dyn_sized_stack, or(0, .L_ZN4vllm22paged_attention_kernelIthLi128ELi32ELi128ELNS_18Fp8KVCacheDataTypeE1ELb1ELi512EEEvPfS2_PT_PKS3_PKT0_S9_ifPKiSB_iPKfiiiSD_SD_iiiii.has_dyn_sized_stack)
	.set _ZN4vllm25paged_attention_v2_kernelIthLi128ELi32ELi128ELNS_18Fp8KVCacheDataTypeE1ELb1ELi512EEEvPfS2_PT_PKS3_PKT0_S9_ifPKiSB_iPKfiiiSD_SD_iiiii.has_recursion, or(0, .L_ZN4vllm22paged_attention_kernelIthLi128ELi32ELi128ELNS_18Fp8KVCacheDataTypeE1ELb1ELi512EEEvPfS2_PT_PKS3_PKT0_S9_ifPKiSB_iPKfiiiSD_SD_iiiii.has_recursion)
	.set _ZN4vllm25paged_attention_v2_kernelIthLi128ELi32ELi128ELNS_18Fp8KVCacheDataTypeE1ELb1ELi512EEEvPfS2_PT_PKS3_PKT0_S9_ifPKiSB_iPKfiiiSD_SD_iiiii.has_indirect_call, or(0, .L_ZN4vllm22paged_attention_kernelIthLi128ELi32ELi128ELNS_18Fp8KVCacheDataTypeE1ELb1ELi512EEEvPfS2_PT_PKS3_PKT0_S9_ifPKiSB_iPKfiiiSD_SD_iiiii.has_indirect_call)
	.section	.AMDGPU.csdata,"",@progbits
; Kernel info:
; codeLenInByte = 292
; TotalNumSgprs: 50
; NumVgprs: 128
; ScratchSize: 528
; MemoryBound: 0
; FloatMode: 240
; IeeeMode: 1
; LDSByteSize: 288 bytes/workgroup (compile time only)
; SGPRBlocks: 0
; VGPRBlocks: 15
; NumSGPRsForWavesPerEU: 50
; NumVGPRsForWavesPerEU: 128
; Occupancy: 8
; WaveLimiterHint : 1
; COMPUTE_PGM_RSRC2:SCRATCH_EN: 1
; COMPUTE_PGM_RSRC2:USER_SGPR: 6
; COMPUTE_PGM_RSRC2:TRAP_HANDLER: 0
; COMPUTE_PGM_RSRC2:TGID_X_EN: 1
; COMPUTE_PGM_RSRC2:TGID_Y_EN: 1
; COMPUTE_PGM_RSRC2:TGID_Z_EN: 1
; COMPUTE_PGM_RSRC2:TIDIG_COMP_CNT: 0
	.text
	.p2align	2                               ; -- Begin function _ZN4vllm22paged_attention_kernelIthLi192ELi32ELi128ELNS_18Fp8KVCacheDataTypeE1ELb1ELi512EEEvPfS2_PT_PKS3_PKT0_S9_ifPKiSB_iPKfiiiSD_SD_iiiii
	.type	_ZN4vllm22paged_attention_kernelIthLi192ELi32ELi128ELNS_18Fp8KVCacheDataTypeE1ELb1ELi512EEEvPfS2_PT_PKS3_PKT0_S9_ifPKiSB_iPKfiiiSD_SD_iiiii,@function
_ZN4vllm22paged_attention_kernelIthLi192ELi32ELi128ELNS_18Fp8KVCacheDataTypeE1ELb1ELi512EEEvPfS2_PT_PKS3_PKT0_S9_ifPKiSB_iPKfiiiSD_SD_iiiii: ; @_ZN4vllm22paged_attention_kernelIthLi192ELi32ELi128ELNS_18Fp8KVCacheDataTypeE1ELb1ELi512EEEvPfS2_PT_PKS3_PKT0_S9_ifPKiSB_iPKfiiiSD_SD_iiiii
; %bb.0:
	s_waitcnt vmcnt(0) expcnt(0) lgkmcnt(0)
	buffer_store_dword v40, off, s[0:3], s32 offset:196 ; 4-byte Folded Spill
	buffer_store_dword v41, off, s[0:3], s32 offset:192 ; 4-byte Folded Spill
	;; [unrolled: 1-line block ×48, first 2 shown]
	s_mov_b32 s18, s13
	s_ashr_i32 s19, s13, 31
	buffer_store_dword v30, off, s[0:3], s32 offset:916 ; 4-byte Folded Spill
	buffer_store_dword v24, off, s[0:3], s32 offset:884 ; 4-byte Folded Spill
	;; [unrolled: 1-line block ×3, first 2 shown]
	s_lshl_b64 s[4:5], s[18:19], 2
	buffer_store_dword v15, off, s[0:3], s32 offset:920 ; 4-byte Folded Spill
	buffer_store_dword v14, off, s[0:3], s32 offset:924 ; 4-byte Folded Spill
	;; [unrolled: 1-line block ×5, first 2 shown]
	v_mov_b32_e32 v15, v0
	v_add_co_u32 v0, vcc_lo, v16, s4
	v_mov_b32_e32 v14, v1
	v_add_co_ci_u32_e64 v1, null, s5, v17, vcc_lo
	v_mov_b32_e32 v109, v22
	v_mov_b32_e32 v106, v5
	;; [unrolled: 1-line block ×3, first 2 shown]
	flat_load_dword v36, v[0:1]
	s_clause 0x1
	buffer_load_dword v0, off, s[0:3], s32 offset:4
	buffer_load_dword v1, off, s[0:3], s32
	v_mov_b32_e32 v22, v3
	v_mov_b32_e32 v24, v2
	s_lshl_b32 s22, s14, 9
	s_mov_b32 s19, exec_lo
	s_waitcnt vmcnt(2) lgkmcnt(0)
	v_cmpx_lt_i32_e64 s22, v36
	s_cbranch_execz .LBB312_3220
; %bb.1:
	v_sub_nc_u32_e32 v2, 0, v12
	s_clause 0x1
	s_load_dword s4, s[8:9], 0x10
	s_load_dword s5, s[8:9], 0x0
	s_mov_b32 s16, s15
	v_max_i32_e32 v2, v12, v2
	v_cvt_f32_u32_e32 v3, v2
	v_sub_nc_u32_e32 v4, 0, v2
	v_rcp_iflag_f32_e32 v3, v3
	s_waitcnt lgkmcnt(0)
	s_lshr_b32 s4, s4, 16
	s_cmp_lg_u32 s4, 0
	s_cselect_b32 s4, -1, 0
	v_mul_f32_e32 v3, 0x4f7ffffe, v3
	s_cmp_lg_u32 s4, 0
	s_addc_u32 s15, s5, 0
	s_mov_b32 s5, exec_lo
	v_cvt_u32_f32_e32 v3, v3
	s_abs_i32 s4, s15
	v_mul_lo_u32 v4, v4, v3
	v_mul_hi_u32 v4, v3, v4
	v_add_nc_u32_e32 v3, v3, v4
	v_mul_hi_u32 v3, s4, v3
	v_mul_lo_u32 v4, v3, v2
	v_add_nc_u32_e32 v5, 1, v3
	v_sub_nc_u32_e32 v4, s4, v4
	s_abs_i32 s4, s12
	v_sub_nc_u32_e32 v10, v4, v2
	v_cmp_ge_u32_e32 vcc_lo, v4, v2
	v_cndmask_b32_e32 v3, v3, v5, vcc_lo
	v_cndmask_b32_e32 v4, v4, v10, vcc_lo
	v_xor_b32_e32 v5, s15, v12
	v_add_nc_u32_e32 v10, 1, v3
	v_cmp_ge_u32_e32 vcc_lo, v4, v2
	v_ashrrev_i32_e32 v5, 31, v5
	v_cndmask_b32_e32 v2, v3, v10, vcc_lo
	v_xor_b32_e32 v2, v2, v5
	v_sub_nc_u32_e32 v3, v2, v5
	v_sub_nc_u32_e32 v2, 0, v3
	v_max_i32_e32 v2, v3, v2
	v_cvt_f32_u32_e32 v4, v2
	v_sub_nc_u32_e32 v5, 0, v2
	v_rcp_iflag_f32_e32 v4, v4
	v_mul_f32_e32 v4, 0x4f7ffffe, v4
	v_cvt_u32_f32_e32 v4, v4
	v_mul_lo_u32 v5, v5, v4
	v_mul_hi_u32 v5, v4, v5
	v_add_nc_u32_e32 v4, v4, v5
	v_mad_u64_u32 v[16:17], null, s4, v4, 0
	v_mov_b32_e32 v4, 0
	buffer_store_dword v4, off, s[0:3], s32 offset:896 ; 4-byte Folded Spill
	v_cmpx_ne_u64_e32 0, v[19:20]
	s_cbranch_execz .LBB312_3
; %bb.2:
	s_ashr_i32 s13, s12, 31
	s_lshl_b64 s[6:7], s[12:13], 2
	v_add_co_u32 v4, vcc_lo, v19, s6
	v_add_co_ci_u32_e64 v5, null, s7, v20, vcc_lo
	flat_load_dword v4, v[4:5]
	s_waitcnt vmcnt(0) lgkmcnt(0)
	buffer_store_dword v4, off, s[0:3], s32 offset:896 ; 4-byte Folded Spill
.LBB312_3:
	s_or_b32 exec_lo, exec_lo, s5
	v_and_b32_e32 v108, 0x3ff, v31
	v_ashrrev_i32_e32 v3, 31, v3
	s_ashr_i32 s5, s12, 31
	s_mul_i32 s10, s12, 0xc0
	s_mov_b32 s6, exec_lo
	v_cmpx_gt_u32_e32 24, v108
	s_cbranch_execz .LBB312_5
; %bb.4:
	v_mul_lo_u32 v4, v21, s18
	s_ashr_i32 s11, s10, 31
	v_lshlrev_b32_e32 v10, 4, v108
	s_lshl_b64 s[20:21], s[10:11], 1
	v_ashrrev_i32_e32 v5, 31, v4
	v_lshlrev_b64 v[4:5], 1, v[4:5]
	v_add_co_u32 v4, vcc_lo, v6, v4
	v_add_co_ci_u32_e64 v5, null, v7, v5, vcc_lo
	v_add_co_u32 v4, vcc_lo, v4, s20
	v_add_co_ci_u32_e64 v5, null, s21, v5, vcc_lo
	;; [unrolled: 2-line block ×3, first 2 shown]
	flat_load_dwordx4 v[4:7], v[4:5]
	s_waitcnt vmcnt(0) lgkmcnt(0)
	ds_write_b128 v10, v[4:7]
.LBB312_5:
	s_or_b32 exec_lo, exec_lo, s6
	s_waitcnt vmcnt(0)
	v_sub_nc_u32_e32 v4, 0, v1
	v_mul_lo_u32 v5, v17, v2
	v_add_nc_u32_e32 v7, 1, v17
	v_xor_b32_e32 v3, s5, v3
	v_max_i32_e32 v111, v1, v4
	v_sub_nc_u32_e32 v5, s4, v5
	v_cvt_f32_u32_e32 v4, v111
	s_mov_b32 s4, exec_lo
	v_sub_nc_u32_e32 v10, v5, v2
	v_rcp_iflag_f32_e32 v4, v4
	v_cmp_ge_u32_e32 vcc_lo, v5, v2
	v_cndmask_b32_e32 v7, v17, v7, vcc_lo
	v_cndmask_b32_e32 v5, v5, v10, vcc_lo
	v_mul_f32_e32 v4, 0x4f7ffffe, v4
	v_add_nc_u32_e32 v10, 1, v7
	v_cmp_ge_u32_e32 vcc_lo, v5, v2
	v_cvt_u32_f32_e32 v6, v4
	v_sub_nc_u32_e32 v4, 0, v111
	v_cndmask_b32_e32 v5, v7, v10, vcc_lo
	v_mul_lo_u32 v11, v4, v6
	v_add_nc_u32_e32 v4, -1, v36
	v_xor_b32_e32 v5, v5, v3
	v_sub_nc_u32_e32 v13, 0, v4
	v_mul_hi_u32 v11, v6, v11
	v_max_i32_e32 v2, v4, v13
	v_add_nc_u32_e32 v6, v6, v11
	v_mad_u64_u32 v[16:17], null, v2, v6, 0
	v_sub_nc_u32_e32 v16, v5, v3
                                        ; implicit-def: $vgpr3
	buffer_store_dword v6, off, s[0:3], s32 offset:212 ; 4-byte Folded Spill
	s_waitcnt lgkmcnt(0)
	s_waitcnt_vscnt null, 0x0
	s_barrier
	buffer_gl0_inv
	buffer_store_dword v3, off, s[0:3], s32 offset:200 ; 4-byte Folded Spill
	buffer_store_dword v4, off, s[0:3], s32 offset:204 ; 4-byte Folded Spill
	v_cmpx_gt_i32_e32 0, v0
	s_xor_b32 s4, exec_lo, s4
	s_cbranch_execz .LBB312_7
; %bb.6:
	v_mad_u64_u32 v[5:6], null, v28, v12, v[16:17]
                                        ; implicit-def: $vgpr28
	v_mul_lo_u32 v0, v5, v0
	v_sub_nc_u32_e32 v0, 1, v0
	buffer_store_dword v0, off, s[0:3], s32 offset:200 ; 4-byte Folded Spill
	buffer_store_dword v1, off, s[0:3], s32 offset:204 ; 4-byte Folded Spill
                                        ; implicit-def: $vgpr0
.LBB312_7:
	s_or_saveexec_b32 s4, s4
	v_ashrrev_i32_e32 v3, 31, v4
	v_ashrrev_i32_e32 v120, 31, v1
	s_xor_b32 exec_lo, exec_lo, s4
	s_cbranch_execz .LBB312_9
; %bb.8:
	v_mad_u64_u32 v[4:5], null, s15, v28, s[12:13]
	v_mad_u64_u32 v[0:1], null, v4, v0, 1
	buffer_store_dword v0, off, s[0:3], s32 offset:200 ; 4-byte Folded Spill
	buffer_store_dword v1, off, s[0:3], s32 offset:204 ; 4-byte Folded Spill
.LBB312_9:
	s_or_b32 exec_lo, exec_lo, s4
	v_mul_lo_u32 v0, v17, v111
	v_xor_b32_e32 v3, v3, v120
	s_clause 0x1
	s_load_dword s13, s[8:9], 0x14
	s_load_dword s11, s[8:9], 0x8
	v_add_nc_u32_e32 v1, 31, v36
	v_mul_lo_u32 v11, v16, v23
	v_lshrrev_b32_e32 v110, 5, v108
	s_lshl_b32 s7, s14, 4
	v_mov_b32_e32 v13, 0xff7fffff
	v_sub_nc_u32_e32 v2, v2, v0
	v_add_nc_u32_e32 v0, 1, v17
	v_ashrrev_i32_e32 v4, 31, v1
	s_add_i32 s4, s7, 16
	v_add_nc_u32_e32 v121, s7, v110
	v_sub_nc_u32_e32 v5, v2, v111
	v_cmp_ge_u32_e32 vcc_lo, v2, v111
	v_lshrrev_b32_e32 v4, 27, v4
	v_cndmask_b32_e32 v6, v17, v0, vcc_lo
	v_cndmask_b32_e32 v2, v2, v5, vcc_lo
	v_mul_lo_u32 v0, v18, s18
	v_add_nc_u32_e32 v1, v1, v4
	v_and_b32_e32 v4, 31, v108
	v_add_nc_u32_e32 v5, 1, v6
	v_cmp_ge_u32_e32 vcc_lo, v2, v111
	v_ashrrev_i32_e32 v10, 5, v1
	v_lshlrev_b32_e32 v12, 2, v4
	v_ashrrev_i32_e32 v1, 31, v0
	v_cndmask_b32_e32 v2, v6, v5, vcc_lo
	v_min_i32_e32 v5, s4, v10
	v_lshlrev_b64 v[0:1], 2, v[0:1]
	v_xor_b32_e32 v2, v2, v3
	v_cmp_lt_i32_e64 s4, v121, v5
	v_sub_nc_u32_e32 v2, v2, v3
	buffer_load_dword v3, off, s[0:3], s32 offset:916 ; 4-byte Folded Reload
	s_waitcnt vmcnt(0)
	v_sub_nc_u32_e32 v3, 0, v3
	buffer_store_dword v3, off, s[0:3], s32 offset:948 ; 4-byte Folded Spill
	v_ashrrev_i32_e32 v3, 31, v11
	buffer_store_dword v3, off, s[0:3], s32 offset:936 ; 4-byte Folded Spill
	buffer_store_dword v0, off, s[0:3], s32 offset:940 ; 4-byte Folded Spill
	;; [unrolled: 1-line block ×4, first 2 shown]
	v_sub_nc_u32_e32 v0, v2, v29
	buffer_store_dword v0, off, s[0:3], s32 offset:216 ; 4-byte Folded Spill
	buffer_store_dword v4, off, s[0:3], s32 offset:880 ; 4-byte Folded Spill
	s_and_saveexec_b32 s23, s4
	s_cbranch_execz .LBB312_1553
; %bb.10:
	buffer_store_dword v10, off, s[0:3], s32 offset:992 ; 4-byte Folded Spill
	buffer_store_dword v24, off, s[0:3], s32 offset:988 ; 4-byte Folded Spill
	;; [unrolled: 1-line block ×11, first 2 shown]
	s_clause 0x1
	buffer_load_dword v0, off, s[0:3], s32 offset:916
	buffer_load_dword v1, off, s[0:3], s32 offset:948
	v_add_co_u32 v2, vcc_lo, v8, v11
	s_ashr_i32 s17, s16, 31
	s_getpc_b64 s[8:9]
	s_add_u32 s8, s8, llvm.amdgcn.dynlds.offset.table@rel32@lo+4
	s_addc_u32 s9, s9, llvm.amdgcn.dynlds.offset.table@rel32@hi+12
	s_lshl_b64 s[20:21], s[16:17], 2
	buffer_store_dword v11, off, s[0:3], s32 offset:996 ; 4-byte Folded Spill
	s_add_u32 s8, s8, s20
	s_addc_u32 s9, s9, s21
	buffer_store_dword v110, off, s[0:3], s32 offset:964 ; 4-byte Folded Spill
	buffer_store_dword v12, off, s[0:3], s32 offset:1000 ; 4-byte Folded Spill
	s_load_dword s17, s[8:9], 0x0
	v_ashrrev_i32_e32 v122, 31, v121
	v_mov_b32_e32 v10, v121
	v_lshl_add_u32 v66, v110, 5, s22
	v_mov_b32_e32 v68, 0x80
	v_mov_b32_e32 v13, 0xff7fffff
	;; [unrolled: 1-line block ×3, first 2 shown]
	v_lshl_or_b32 v122, v110, 7, v12
	v_mov_b32_e32 v82, v10
	s_mov_b32 s20, -1
	s_mov_b32 s24, 0
	s_mov_b32 s21, 0xffffff
	buffer_load_dword v5, off, s[0:3], s32 offset:896 ; 4-byte Folded Reload
	s_waitcnt vmcnt(1)
	v_max_i32_e32 v6, v0, v1
	buffer_load_dword v1, off, s[0:3], s32 offset:936 ; 4-byte Folded Reload
	buffer_store_dword v6, off, s[0:3], s32 offset:548 ; 4-byte Folded Spill
	v_cvt_f32_u32_e32 v0, v6
	v_rcp_iflag_f32_e32 v0, v0
	v_mul_f32_e32 v0, 0x4f7ffffe, v0
	s_waitcnt vmcnt(0)
	v_add_co_ci_u32_e64 v3, null, v9, v1, vcc_lo
	buffer_load_dword v1, off, s[0:3], s32 offset:880 ; 4-byte Folded Reload
	v_mov_b32_e32 v9, 0
	v_cmp_neq_f32_e32 vcc_lo, 0, v5
	s_waitcnt vmcnt(0)
	v_lshlrev_b32_e32 v4, 4, v1
	v_sub_nc_u32_e32 v5, v1, v36
	v_sub_nc_u32_e32 v1, 0, v6
	v_cvt_u32_f32_e32 v6, v0
	v_add_co_u32 v2, s5, v2, v4
	v_add_co_ci_u32_e64 v3, null, 0, v3, s5
	buffer_store_dword v2, off, s[0:3], s32 offset:904 ; 4-byte Folded Spill
	buffer_store_dword v3, off, s[0:3], s32 offset:908 ; 4-byte Folded Spill
	s_clause 0x1
	buffer_load_dword v3, off, s[0:3], s32 offset:940
	buffer_load_dword v4, off, s[0:3], s32 offset:944
	v_mul_lo_u32 v7, v1, v6
	v_lshlrev_b64 v[0:1], 2, v[10:11]
	v_mul_hi_u32 v2, v6, v7
	s_waitcnt vmcnt(1)
	v_add_co_u32 v0, s5, v3, v0
	v_add_nc_u32_e32 v3, 1, v5
	s_waitcnt vmcnt(0)
	v_add_co_ci_u32_e64 v1, null, v4, v1, s5
	buffer_store_dword v3, off, s[0:3], s32 offset:912 ; 4-byte Folded Spill
	buffer_load_dword v3, off, s[0:3], s32 offset:924 ; 4-byte Folded Reload
	s_waitcnt vmcnt(0)
	v_add_co_u32 v20, s5, v3, v0
	buffer_load_dword v0, off, s[0:3], s32 offset:920 ; 4-byte Folded Reload
	s_waitcnt vmcnt(0)
	v_add_co_ci_u32_e64 v21, null, v0, v1, s5
	v_add_nc_u32_e32 v0, v6, v2
	buffer_store_dword v0, off, s[0:3], s32 offset:552 ; 4-byte Folded Spill
	v_mov_b32_e32 v0, v10
	buffer_store_dword v0, off, s[0:3], s32 offset:968 ; 4-byte Folded Spill
	buffer_store_dword v1, off, s[0:3], s32 offset:972 ; 4-byte Folded Spill
	s_branch .LBB312_16
.LBB312_11:                             ;   in Loop: Header=BB312_16 Depth=1
	s_or_b32 exec_lo, exec_lo, s28
	v_lshlrev_b32_e32 v8, 8, v8
	v_lshl_add_u32 v13, v13, 10, 0x2000
	v_and_or_b32 v8, 0x8000, v8, v13
	v_lshlrev_b32_e32 v13, 23, v28
	v_lshl_or_b32 v28, v8, 16, v13
.LBB312_12:                             ;   in Loop: Header=BB312_16 Depth=1
	s_or_b32 exec_lo, exec_lo, s27
.LBB312_13:                             ;   in Loop: Header=BB312_16 Depth=1
	s_or_b32 exec_lo, exec_lo, s26
.LBB312_14:                             ;   in Loop: Header=BB312_16 Depth=1
	s_or_b32 exec_lo, exec_lo, s25
	v_or_b32_e32 v3, v104, v3
	v_or_b32_e32 v8, v93, v75
	v_fma_mixlo_f16 v13, v83, v93, 0 op_sel:[0,1,0] op_sel_hi:[0,1,0]
	v_fma_mixlo_f16 v29, v83, v123, 0 op_sel:[0,1,0] op_sel_hi:[0,1,0]
	v_or_b32_e32 v2, v1, v2
	v_fma_mixlo_f16 v3, v83, v3, 0 op_sel_hi:[0,1,0]
	v_fma_mixlo_f16 v8, v83, v8, 0 op_sel_hi:[0,1,0]
	buffer_store_dword v13, off, s[0:3], s32 offset:576 ; 4-byte Folded Spill
	v_fma_mixlo_f16 v13, v83, v24, 0 op_sel:[0,1,0] op_sel_hi:[0,1,0]
	v_fma_mixlo_f16 v1, v83, v1, 0 op_sel:[0,1,0] op_sel_hi:[0,1,0]
	buffer_store_dword v3, off, s[0:3], s32 offset:572 ; 4-byte Folded Spill
	v_or_b32_e32 v3, v15, v16
	buffer_store_dword v8, off, s[0:3], s32 offset:580 ; 4-byte Folded Spill
	v_or_b32_e32 v8, v24, v90
	buffer_store_dword v13, off, s[0:3], s32 offset:584 ; 4-byte Folded Spill
	v_fma_mixlo_f16 v3, v83, v3, 0 op_sel_hi:[0,1,0]
	v_fma_mixlo_f16 v8, v83, v8, 0 op_sel_hi:[0,1,0]
	buffer_store_dword v3, off, s[0:3], s32 offset:564 ; 4-byte Folded Spill
	v_fma_mixlo_f16 v3, v83, v15, 0 op_sel:[0,1,0] op_sel_hi:[0,1,0]
	buffer_store_dword v8, off, s[0:3], s32 offset:588 ; 4-byte Folded Spill
	v_fma_mixlo_f16 v8, v83, v104, 0 op_sel:[0,1,0] op_sel_hi:[0,1,0]
	buffer_store_dword v3, off, s[0:3], s32 offset:560 ; 4-byte Folded Spill
	v_or_b32_e32 v3, v96, v67
	buffer_store_dword v8, off, s[0:3], s32 offset:568 ; 4-byte Folded Spill
	v_fma_mixlo_f16 v8, v83, v96, 0 op_sel:[0,1,0] op_sel_hi:[0,1,0]
	v_fma_mixlo_f16 v3, v83, v3, 0 op_sel_hi:[0,1,0]
	buffer_store_dword v8, off, s[0:3], s32 offset:608 ; 4-byte Folded Spill
	v_fma_mixlo_f16 v8, v83, v17, 0 op_sel:[0,1,0] op_sel_hi:[0,1,0]
	buffer_store_dword v3, off, s[0:3], s32 offset:612 ; 4-byte Folded Spill
	v_or_b32_e32 v3, v17, v70
	buffer_store_dword v8, off, s[0:3], s32 offset:616 ; 4-byte Folded Spill
	v_fma_mixlo_f16 v8, v83, v25, 0 op_sel:[0,1,0] op_sel_hi:[0,1,0]
	v_fma_mixlo_f16 v3, v83, v3, 0 op_sel_hi:[0,1,0]
	;; [unrolled: 7-line block ×3, first 2 shown]
	buffer_store_dword v8, off, s[0:3], s32 offset:648 ; 4-byte Folded Spill
	buffer_store_dword v3, off, s[0:3], s32 offset:604 ; 4-byte Folded Spill
	v_or_b32_e32 v3, v88, v77
	v_fma_mixlo_f16 v8, v83, v12, 0 op_sel:[0,1,0] op_sel_hi:[0,1,0]
	v_fma_mixlo_f16 v3, v83, v3, 0 op_sel_hi:[0,1,0]
	buffer_store_dword v8, off, s[0:3], s32 offset:632 ; 4-byte Folded Spill
	buffer_store_dword v3, off, s[0:3], s32 offset:596 ; 4-byte Folded Spill
	v_fma_mixlo_f16 v3, v83, v88, 0 op_sel:[0,1,0] op_sel_hi:[0,1,0]
	buffer_store_dword v3, off, s[0:3], s32 offset:592 ; 4-byte Folded Spill
	v_or_b32_e32 v3, v55, v127
	v_fma_mixlo_f16 v3, v83, v3, 0 op_sel_hi:[0,1,0]
	buffer_store_dword v3, off, s[0:3], s32 offset:644 ; 4-byte Folded Spill
	v_or_b32_e32 v3, v126, v124
	v_fma_mixlo_f16 v126, v83, v37, 0 op_sel:[0,1,0] op_sel_hi:[0,1,0]
	v_fma_mixlo_f16 v124, v83, v5, 0 op_sel:[0,1,0] op_sel_hi:[0,1,0]
	v_fma_mixlo_f16 v3, v83, v3, 0 op_sel_hi:[0,1,0]
	buffer_store_dword v3, off, s[0:3], s32 offset:652 ; 4-byte Folded Spill
	v_or_b32_e32 v3, v12, v74
	v_fma_mixlo_f16 v3, v83, v3, 0 op_sel_hi:[0,1,0]
	buffer_store_dword v3, off, s[0:3], s32 offset:636 ; 4-byte Folded Spill
	v_or_b32_e32 v3, v0, v4
	v_fma_mixlo_f16 v0, v83, v0, 0 op_sel:[0,1,0] op_sel_hi:[0,1,0]
	v_fma_mixlo_f16 v3, v83, v3, 0 op_sel_hi:[0,1,0]
	buffer_store_dword v0, off, s[0:3], s32 offset:624 ; 4-byte Folded Spill
	v_or_b32_e32 v0, v56, v45
	buffer_store_dword v3, off, s[0:3], s32 offset:628 ; 4-byte Folded Spill
	v_fma_mixlo_f16 v3, v83, v56, 0 op_sel:[0,1,0] op_sel_hi:[0,1,0]
	v_fma_mixlo_f16 v0, v83, v0, 0 op_sel_hi:[0,1,0]
	buffer_store_dword v3, off, s[0:3], s32 offset:672 ; 4-byte Folded Spill
	buffer_store_dword v0, off, s[0:3], s32 offset:676 ; 4-byte Folded Spill
	v_or_b32_e32 v0, v43, v42
	v_fma_mixlo_f16 v3, v83, v43, 0 op_sel:[0,1,0] op_sel_hi:[0,1,0]
	v_fma_mixlo_f16 v0, v83, v0, 0 op_sel_hi:[0,1,0]
	buffer_store_dword v3, off, s[0:3], s32 offset:680 ; 4-byte Folded Spill
	v_fma_mixlo_f16 v3, v83, v59, 0 op_sel:[0,1,0] op_sel_hi:[0,1,0]
	buffer_store_dword v0, off, s[0:3], s32 offset:684 ; 4-byte Folded Spill
	v_or_b32_e32 v0, v59, v39
	buffer_store_dword v3, off, s[0:3], s32 offset:664 ; 4-byte Folded Spill
	v_fma_mixlo_f16 v3, v83, v105, 0 op_sel:[0,1,0] op_sel_hi:[0,1,0]
	v_fma_mixlo_f16 v0, v83, v0, 0 op_sel_hi:[0,1,0]
	buffer_store_dword v3, off, s[0:3], s32 offset:704 ; 4-byte Folded Spill
	v_fma_mixlo_f16 v3, v83, v94, 0 op_sel:[0,1,0] op_sel_hi:[0,1,0]
	buffer_store_dword v0, off, s[0:3], s32 offset:668 ; 4-byte Folded Spill
	v_or_b32_e32 v0, v79, v58
	buffer_store_dword v3, off, s[0:3], s32 offset:712 ; 4-byte Folded Spill
	v_fma_mixlo_f16 v3, v83, v121, 0 op_sel:[0,1,0] op_sel_hi:[0,1,0]
	v_fma_mixlo_f16 v0, v83, v0, 0 op_sel_hi:[0,1,0]
	buffer_store_dword v3, off, s[0:3], s32 offset:696 ; 4-byte Folded Spill
	v_fma_mixlo_f16 v3, v83, v63, 0 op_sel:[0,1,0] op_sel_hi:[0,1,0]
	buffer_store_dword v0, off, s[0:3], s32 offset:660 ; 4-byte Folded Spill
	v_fma_mixlo_f16 v0, v83, v79, 0 op_sel:[0,1,0] op_sel_hi:[0,1,0]
	;; [unrolled: 2-line block ×3, first 2 shown]
	buffer_store_dword v0, off, s[0:3], s32 offset:656 ; 4-byte Folded Spill
	v_or_b32_e32 v0, v105, v95
	v_fma_mixlo_f16 v105, v83, v23, 0 op_sel:[0,1,0] op_sel_hi:[0,1,0]
	buffer_store_dword v3, off, s[0:3], s32 offset:744 ; 4-byte Folded Spill
	v_fma_mixlo_f16 v3, v83, v89, 0 op_sel:[0,1,0] op_sel_hi:[0,1,0]
	v_fma_mixlo_f16 v0, v83, v0, 0 op_sel_hi:[0,1,0]
	buffer_store_dword v3, off, s[0:3], s32 offset:728 ; 4-byte Folded Spill
	buffer_store_dword v0, off, s[0:3], s32 offset:708 ; 4-byte Folded Spill
	v_or_b32_e32 v0, v94, v76
	v_fma_mixlo_f16 v3, v83, v102, 0 op_sel:[0,1,0] op_sel_hi:[0,1,0]
	v_fma_mixlo_f16 v94, v83, v14, 0 op_sel:[0,1,0] op_sel_hi:[0,1,0]
	v_fma_mixlo_f16 v0, v83, v0, 0 op_sel_hi:[0,1,0]
	buffer_store_dword v3, off, s[0:3], s32 offset:768 ; 4-byte Folded Spill
	v_fma_mixlo_f16 v3, v83, v65, 0 op_sel:[0,1,0] op_sel_hi:[0,1,0]
	buffer_store_dword v0, off, s[0:3], s32 offset:716 ; 4-byte Folded Spill
	v_or_b32_e32 v0, v121, v117
	buffer_store_dword v3, off, s[0:3], s32 offset:776 ; 4-byte Folded Spill
	v_fma_mixlo_f16 v3, v83, v114, 0 op_sel:[0,1,0] op_sel_hi:[0,1,0]
	v_fma_mixlo_f16 v0, v83, v0, 0 op_sel_hi:[0,1,0]
	buffer_store_dword v3, off, s[0:3], s32 offset:760 ; 4-byte Folded Spill
	v_fma_mixlo_f16 v3, v83, v46, 0 op_sel:[0,1,0] op_sel_hi:[0,1,0]
	buffer_store_dword v0, off, s[0:3], s32 offset:700 ; 4-byte Folded Spill
	v_or_b32_e32 v0, v40, v111
	v_fma_mixlo_f16 v111, v83, v22, 0 op_sel:[0,1,0] op_sel_hi:[0,1,0]
	buffer_store_dword v3, off, s[0:3], s32 offset:800 ; 4-byte Folded Spill
	v_fma_mixlo_f16 v3, v83, v98, 0 op_sel:[0,1,0] op_sel_hi:[0,1,0]
	v_fma_mixlo_f16 v0, v83, v0, 0 op_sel_hi:[0,1,0]
	buffer_store_dword v3, off, s[0:3], s32 offset:808 ; 4-byte Folded Spill
	v_fma_mixlo_f16 v3, v83, v92, 0 op_sel:[0,1,0] op_sel_hi:[0,1,0]
	buffer_store_dword v0, off, s[0:3], s32 offset:692 ; 4-byte Folded Spill
	v_fma_mixlo_f16 v0, v83, v40, 0 op_sel:[0,1,0] op_sel_hi:[0,1,0]
	;; [unrolled: 2-line block ×3, first 2 shown]
	buffer_store_dword v0, off, s[0:3], s32 offset:688 ; 4-byte Folded Spill
	v_or_b32_e32 v0, v63, v103
	v_fma_mixlo_f16 v103, v83, v35, 0 op_sel:[0,1,0] op_sel_hi:[0,1,0]
	buffer_store_dword v3, off, s[0:3], s32 offset:832 ; 4-byte Folded Spill
	v_fma_mixlo_f16 v3, v83, v99, 0 op_sel:[0,1,0] op_sel_hi:[0,1,0]
	v_fma_mixlo_f16 v0, v83, v0, 0 op_sel_hi:[0,1,0]
	buffer_store_dword v3, off, s[0:3], s32 offset:840 ; 4-byte Folded Spill
	buffer_store_dword v0, off, s[0:3], s32 offset:740 ; 4-byte Folded Spill
	v_or_b32_e32 v0, v50, v34
	v_fma_mixlo_f16 v3, v83, v112, 0 op_sel:[0,1,0] op_sel_hi:[0,1,0]
	v_fma_mixlo_f16 v0, v83, v0, 0 op_sel_hi:[0,1,0]
	buffer_store_dword v3, off, s[0:3], s32 offset:824 ; 4-byte Folded Spill
	v_fma_mixlo_f16 v3, v83, v119, 0 op_sel:[0,1,0] op_sel_hi:[0,1,0]
	buffer_store_dword v0, off, s[0:3], s32 offset:748 ; 4-byte Folded Spill
	v_or_b32_e32 v0, v89, v113
	buffer_store_dword v3, off, s[0:3], s32 offset:864 ; 4-byte Folded Spill
	v_fma_mixlo_f16 v3, v83, v100, 0 op_sel:[0,1,0] op_sel_hi:[0,1,0]
	v_fma_mixlo_f16 v113, v83, v11, 0 op_sel:[0,1,0] op_sel_hi:[0,1,0]
	;; [unrolled: 1-line block ×3, first 2 shown]
	v_fma_mixlo_f16 v0, v83, v0, 0 op_sel_hi:[0,1,0]
	buffer_store_dword v3, off, s[0:3], s32 offset:872 ; 4-byte Folded Spill
	v_fma_mixlo_f16 v3, v83, v84, 0 op_sel:[0,1,0] op_sel_hi:[0,1,0]
	buffer_store_dword v0, off, s[0:3], s32 offset:732 ; 4-byte Folded Spill
	v_or_b32_e32 v0, v73, v115
	buffer_store_dword v3, off, s[0:3], s32 offset:856 ; 4-byte Folded Spill
	v_fma_mixlo_f16 v3, v83, v6, 0 op_sel:[0,1,0] op_sel_hi:[0,1,0]
	v_fma_mixlo_f16 v0, v83, v0, 0 op_sel_hi:[0,1,0]
	buffer_store_dword v0, off, s[0:3], s32 offset:724 ; 4-byte Folded Spill
	v_fma_mixlo_f16 v0, v83, v73, 0 op_sel:[0,1,0] op_sel_hi:[0,1,0]
	v_fma_mixlo_f16 v73, v83, v87, 0 op_sel:[0,1,0] op_sel_hi:[0,1,0]
	buffer_store_dword v0, off, s[0:3], s32 offset:720 ; 4-byte Folded Spill
	v_or_b32_e32 v0, v102, v69
	v_fma_mixlo_f16 v0, v83, v0, 0 op_sel_hi:[0,1,0]
	buffer_store_dword v0, off, s[0:3], s32 offset:772 ; 4-byte Folded Spill
	v_or_b32_e32 v0, v65, v48
	v_fma_mixlo_f16 v48, v83, v78, 0 op_sel:[0,1,0] op_sel_hi:[0,1,0]
	v_fma_mixlo_f16 v65, v83, v64, 0 op_sel:[0,1,0] op_sel_hi:[0,1,0]
	v_fma_mixlo_f16 v0, v83, v0, 0 op_sel_hi:[0,1,0]
	buffer_store_dword v0, off, s[0:3], s32 offset:780 ; 4-byte Folded Spill
	v_or_b32_e32 v0, v114, v97
	v_fma_mixlo_f16 v0, v83, v0, 0 op_sel_hi:[0,1,0]
	buffer_store_dword v0, off, s[0:3], s32 offset:764 ; 4-byte Folded Spill
	v_or_b32_e32 v0, v62, v19
	v_fma_mixlo_f16 v0, v83, v0, 0 op_sel_hi:[0,1,0]
	buffer_store_dword v0, off, s[0:3], s32 offset:756 ; 4-byte Folded Spill
	v_fma_mixlo_f16 v0, v83, v62, 0 op_sel:[0,1,0] op_sel_hi:[0,1,0]
	buffer_store_dword v0, off, s[0:3], s32 offset:752 ; 4-byte Folded Spill
	v_or_b32_e32 v0, v46, v10
	v_fma_mixlo_f16 v46, v83, v53, 0 op_sel:[0,1,0] op_sel_hi:[0,1,0]
	v_fma_mixlo_f16 v0, v83, v0, 0 op_sel_hi:[0,1,0]
	buffer_store_dword v0, off, s[0:3], s32 offset:804 ; 4-byte Folded Spill
	v_or_b32_e32 v0, v98, v106
	v_fma_mixlo_f16 v98, v83, v47, 0 op_sel:[0,1,0] op_sel_hi:[0,1,0]
	v_fma_mixlo_f16 v0, v83, v0, 0 op_sel_hi:[0,1,0]
	buffer_store_dword v0, off, s[0:3], s32 offset:812 ; 4-byte Folded Spill
	v_or_b32_e32 v0, v92, v81
	v_fma_mixlo_f16 v0, v83, v0, 0 op_sel_hi:[0,1,0]
	buffer_store_dword v0, off, s[0:3], s32 offset:796 ; 4-byte Folded Spill
	v_or_b32_e32 v0, v108, v60
	v_fma_mixlo_f16 v60, v83, v107, 0 op_sel:[0,1,0] op_sel_hi:[0,1,0]
	v_fma_mixlo_f16 v0, v83, v0, 0 op_sel_hi:[0,1,0]
	buffer_store_dword v0, off, s[0:3], s32 offset:788 ; 4-byte Folded Spill
	v_fma_mixlo_f16 v0, v83, v108, 0 op_sel:[0,1,0] op_sel_hi:[0,1,0]
	buffer_store_dword v0, off, s[0:3], s32 offset:784 ; 4-byte Folded Spill
	v_or_b32_e32 v0, v30, v52
	v_fma_mixlo_f16 v0, v83, v0, 0 op_sel_hi:[0,1,0]
	buffer_store_dword v0, off, s[0:3], s32 offset:836 ; 4-byte Folded Spill
	v_or_b32_e32 v0, v99, v44
	v_fma_mixlo_f16 v0, v83, v0, 0 op_sel_hi:[0,1,0]
	;; [unrolled: 3-line block ×4, first 2 shown]
	buffer_store_dword v0, off, s[0:3], s32 offset:820 ; 4-byte Folded Spill
	v_fma_mixlo_f16 v0, v83, v33, 0 op_sel:[0,1,0] op_sel_hi:[0,1,0]
	v_fma_mixlo_f16 v33, v83, v91, 0 op_sel:[0,1,0] op_sel_hi:[0,1,0]
	buffer_store_dword v0, off, s[0:3], s32 offset:816 ; 4-byte Folded Spill
	v_or_b32_e32 v0, v119, v118
	v_fma_mixlo_f16 v0, v83, v0, 0 op_sel_hi:[0,1,0]
	buffer_store_dword v0, off, s[0:3], s32 offset:868 ; 4-byte Folded Spill
	v_or_b32_e32 v0, v100, v7
	v_fma_mixlo_f16 v100, v83, v80, 0 op_sel:[0,1,0] op_sel_hi:[0,1,0]
	v_fma_mixlo_f16 v0, v83, v0, 0 op_sel_hi:[0,1,0]
	buffer_store_dword v0, off, s[0:3], s32 offset:876 ; 4-byte Folded Spill
	v_or_b32_e32 v0, v84, v41
	v_fma_mixlo_f16 v84, v83, v18, 0 op_sel:[0,1,0] op_sel_hi:[0,1,0]
	v_fma_mixlo_f16 v0, v83, v0, 0 op_sel_hi:[0,1,0]
	buffer_store_dword v0, off, s[0:3], s32 offset:860 ; 4-byte Folded Spill
	v_or_b32_e32 v0, v57, v38
	v_fma_mixlo_f16 v0, v83, v0, 0 op_sel_hi:[0,1,0]
	buffer_store_dword v0, off, s[0:3], s32 offset:852 ; 4-byte Folded Spill
	v_fma_mixlo_f16 v0, v83, v57, 0 op_sel:[0,1,0] op_sel_hi:[0,1,0]
	buffer_store_dword v0, off, s[0:3], s32 offset:848 ; 4-byte Folded Spill
	buffer_load_dword v0, off, s[0:3], s32 offset:504 ; 4-byte Folded Reload
	s_waitcnt vmcnt(0)
	v_or_b32_e32 v0, v14, v0
	v_fma_mixlo_f16 v14, v83, v109, 0 op_sel:[0,1,0] op_sel_hi:[0,1,0]
	v_fma_mixlo_f16 v92, v83, v0, 0 op_sel_hi:[0,1,0]
	buffer_load_dword v0, off, s[0:3], s32 offset:500 ; 4-byte Folded Reload
	s_waitcnt vmcnt(0)
	v_or_b32_e32 v0, v51, v0
	v_fma_mixlo_f16 v79, v83, v0, 0 op_sel_hi:[0,1,0]
	v_or_b32_e32 v0, v23, v49
	v_fma_mixlo_f16 v95, v83, v0, 0 op_sel_hi:[0,1,0]
	;; [unrolled: 2-line block ×3, first 2 shown]
	v_fma_mixlo_f16 v0, v83, v85, 0 op_sel:[0,1,0] op_sel_hi:[0,1,0]
	buffer_store_dword v0, off, s[0:3], s32 offset:500 ; 4-byte Folded Spill
	buffer_load_dword v0, off, s[0:3], s32 offset:488 ; 4-byte Folded Reload
	s_waitcnt vmcnt(0)
	v_or_b32_e32 v0, v11, v0
	v_fma_mixlo_f16 v112, v83, v0, 0 op_sel_hi:[0,1,0]
	buffer_load_dword v0, off, s[0:3], s32 offset:484 ; 4-byte Folded Reload
	s_waitcnt vmcnt(0)
	v_or_b32_e32 v0, v35, v0
	v_fma_mixlo_f16 v35, v83, v110, 0 op_sel:[0,1,0] op_sel_hi:[0,1,0]
	v_fma_mixlo_f16 v102, v83, v0, 0 op_sel_hi:[0,1,0]
	buffer_load_dword v0, off, s[0:3], s32 offset:492 ; 4-byte Folded Reload
	s_waitcnt vmcnt(0)
	v_or_b32_e32 v0, v53, v0
	v_fma_mixlo_f16 v119, v83, v0, 0 op_sel_hi:[0,1,0]
	buffer_load_dword v0, off, s[0:3], s32 offset:496 ; 4-byte Folded Reload
	s_waitcnt vmcnt(0)
	v_or_b32_e32 v0, v107, v0
	v_fma_mixlo_f16 v57, v83, v0, 0 op_sel_hi:[0,1,0]
	buffer_load_dword v0, off, s[0:3], s32 offset:472 ; 4-byte Folded Reload
	buffer_store_dword v3, off, s[0:3], s32 offset:472 ; 4-byte Folded Spill
	s_waitcnt vmcnt(0)
	v_or_b32_e32 v0, v6, v0
	v_fma_mixlo_f16 v85, v83, v0, 0 op_sel_hi:[0,1,0]
	buffer_load_dword v0, off, s[0:3], s32 offset:468 ; 4-byte Folded Reload
	s_waitcnt vmcnt(0)
	v_or_b32_e32 v0, v22, v0
	v_fma_mixlo_f16 v62, v83, v0, 0 op_sel_hi:[0,1,0]
	buffer_load_dword v0, off, s[0:3], s32 offset:476 ; 4-byte Folded Reload
	;; [unrolled: 4-line block ×11, first 2 shown]
	s_waitcnt vmcnt(0)
	v_or_b32_e32 v0, v5, v0
	v_fma_mixlo_f16 v30, v83, v0, 0 op_sel_hi:[0,1,0]
	s_clause 0x1
	buffer_load_dword v0, off, s[0:3], s32 offset:416
	buffer_load_dword v3, off, s[0:3], s32 offset:424
	s_waitcnt vmcnt(0)
	v_or_b32_e32 v0, v3, v0
	v_fma_mixlo_f16 v37, v83, v3, 0 op_sel:[0,1,0] op_sel_hi:[0,1,0]
	v_fma_mixlo_f16 v55, v83, v0, 0 op_sel_hi:[0,1,0]
	s_clause 0x1
	buffer_load_dword v0, off, s[0:3], s32 offset:408
	buffer_load_dword v3, off, s[0:3], s32 offset:412
	s_waitcnt vmcnt(0)
	v_or_b32_e32 v0, v3, v0
	v_fma_mixlo_f16 v121, v83, v3, 0 op_sel:[0,1,0] op_sel_hi:[0,1,0]
	;; [unrolled: 7-line block ×13, first 2 shown]
	v_fma_mixlo_f16 v4, v83, v0, 0 op_sel_hi:[0,1,0]
	s_clause 0x1
	buffer_load_dword v0, off, s[0:3], s32 offset:324
	buffer_load_dword v3, off, s[0:3], s32 offset:328
	v_and_b32_e32 v4, 0xffff, v4
	s_waitcnt vmcnt(0)
	v_or_b32_e32 v0, v3, v0
	v_fma_mixlo_f16 v7, v83, v3, 0 op_sel:[0,1,0] op_sel_hi:[0,1,0]
	v_fma_mixlo_f16 v78, v83, v0, 0 op_sel_hi:[0,1,0]
	s_clause 0x1
	buffer_load_dword v0, off, s[0:3], s32 offset:336
	buffer_load_dword v3, off, s[0:3], s32 offset:348
	v_and_b32_e32 v7, 0xffff, v7
	s_waitcnt vmcnt(0)
	v_or_b32_e32 v0, v3, v0
	v_fma_mixlo_f16 v91, v83, v3, 0 op_sel:[0,1,0] op_sel_hi:[0,1,0]
	v_fma_mixlo_f16 v15, v83, v0, 0 op_sel_hi:[0,1,0]
	s_clause 0x1
	buffer_load_dword v0, off, s[0:3], s32 offset:344
	buffer_load_dword v3, off, s[0:3], s32 offset:524
	s_waitcnt vmcnt(0)
	v_or_b32_e32 v0, v3, v0
	v_fma_mixlo_f16 v61, v83, v3, 0 op_sel:[0,1,0] op_sel_hi:[0,1,0]
	v_fma_mixlo_f16 v75, v83, v0, 0 op_sel_hi:[0,1,0]
	s_clause 0x1
	buffer_load_dword v0, off, s[0:3], s32 offset:304
	buffer_load_dword v3, off, s[0:3], s32 offset:312
	;; [unrolled: 7-line block ×11, first 2 shown]
	v_and_b32_e32 v11, 0xffff, v11
	s_waitcnt vmcnt(0)
	v_or_b32_e32 v0, v3, v0
	v_fma_mixlo_f16 v6, v83, v3, 0 op_sel:[0,1,0] op_sel_hi:[0,1,0]
	v_fma_mixlo_f16 v10, v83, v0, 0 op_sel_hi:[0,1,0]
	s_clause 0x1
	buffer_load_dword v0, off, s[0:3], s32 offset:252
	buffer_load_dword v3, off, s[0:3], s32 offset:264
	v_and_b32_e32 v6, 0xffff, v6
	v_and_b32_e32 v10, 0xffff, v10
	s_waitcnt vmcnt(0)
	v_or_b32_e32 v0, v3, v0
	v_fma_mixlo_f16 v18, v83, v3, 0 op_sel:[0,1,0] op_sel_hi:[0,1,0]
	v_fma_mixlo_f16 v22, v83, v0, 0 op_sel_hi:[0,1,0]
	s_clause 0x1
	buffer_load_dword v0, off, s[0:3], s32 offset:260
	buffer_load_dword v3, off, s[0:3], s32 offset:512
	s_waitcnt vmcnt(0)
	v_or_b32_e32 v0, v3, v0
	v_fma_mixlo_f16 v24, v83, v3, 0 op_sel:[0,1,0] op_sel_hi:[0,1,0]
	buffer_load_dword v3, off, s[0:3], s32 offset:220 ; 4-byte Folded Reload
	v_fma_mixlo_f16 v25, v83, v0, 0 op_sel_hi:[0,1,0]
	buffer_load_dword v0, off, s[0:3], s32 offset:224 ; 4-byte Folded Reload
	s_waitcnt vmcnt(0)
	v_or_b32_e32 v0, v110, v0
	v_fma_mixlo_f16 v110, v83, v3, 0 op_sel:[0,1,0] op_sel_hi:[0,1,0]
	v_fma_mixlo_f16 v116, v83, v0, 0 op_sel_hi:[0,1,0]
	v_or_b32_e32 v0, v3, v101
	v_fma_mixlo_f16 v53, v83, v0, 0 op_sel_hi:[0,1,0]
	s_clause 0x1
	buffer_load_dword v0, off, s[0:3], s32 offset:232
	buffer_load_dword v3, off, s[0:3], s32 offset:236
	s_waitcnt vmcnt(0)
	v_or_b32_e32 v0, v3, v0
	v_fma_mixlo_f16 v87, v83, v3, 0 op_sel:[0,1,0] op_sel_hi:[0,1,0]
	v_fma_mixlo_f16 v125, v83, v0, 0 op_sel_hi:[0,1,0]
	s_clause 0x1
	buffer_load_dword v0, off, s[0:3], s32 offset:228
	buffer_load_dword v3, off, s[0:3], s32 offset:508
	s_load_dword s25, s[8:9], 0x0
	buffer_store_dword v1, off, s[0:3], s32 offset:228 ; 4-byte Folded Spill
	v_fma_mixlo_f16 v1, v83, v2, 0 op_sel_hi:[0,1,0]
	buffer_store_dword v14, off, s[0:3], s32 offset:236 ; 4-byte Folded Spill
	v_fma_mixlo_f16 v14, v83, v32, 0 op_sel:[0,1,0] op_sel_hi:[0,1,0]
	buffer_load_dword v12, off, s[0:3], s32 offset:896 ; 4-byte Folded Reload
	buffer_store_dword v1, off, s[0:3], s32 offset:232 ; 4-byte Folded Spill
	v_or_b32_e32 v1, v28, v120
	buffer_store_dword v14, off, s[0:3], s32 offset:244 ; 4-byte Folded Spill
	v_fma_mixlo_f16 v1, v83, v1, 0 op_sel_hi:[0,1,0]
	buffer_store_dword v1, off, s[0:3], s32 offset:224 ; 4-byte Folded Spill
	s_waitcnt vmcnt(1)
	v_or_b32_e32 v0, v3, v0
	v_fma_mixlo_f16 v52, v83, v3, 0 op_sel:[0,1,0] op_sel_hi:[0,1,0]
	buffer_load_dword v3, off, s[0:3], s32 offset:912 ; 4-byte Folded Reload
	v_fma_mixlo_f16 v80, v83, v0, 0 op_sel_hi:[0,1,0]
	buffer_load_dword v0, off, s[0:3], s32 offset:880 ; 4-byte Folded Reload
	s_waitcnt vmcnt(1)
	v_add_nc_u32_e32 v3, v3, v66
	s_waitcnt vmcnt(0)
	v_add_nc_u32_e32 v0, v0, v66
	v_cvt_f32_i32_e32 v3, v3
	v_cmp_lt_i32_e64 s5, v0, v36
	v_mul_f32_e32 v3, v12, v3
	s_waitcnt lgkmcnt(0)
	v_add_nc_u32_e32 v0, s25, v122
	v_cndmask_b32_e32 v12, 0, v3, vcc_lo
	v_or_b32_e32 v3, v109, v86
	buffer_store_dword v0, off, s[0:3], s32 offset:220 ; 4-byte Folded Spill
	v_fma_mixlo_f16 v3, v83, v3, 0 op_sel_hi:[0,1,0]
	buffer_store_dword v3, off, s[0:3], s32 offset:240 ; 4-byte Folded Spill
	v_or_b32_e32 v3, v32, v31
	v_fma_mixlo_f16 v3, v83, v3, 0 op_sel_hi:[0,1,0]
	v_fma_mixlo_f16 v83, v83, v28, 0 op_sel:[0,1,0] op_sel_hi:[0,1,0]
	buffer_store_dword v3, off, s[0:3], s32 offset:248 ; 4-byte Folded Spill
	ds_read_b128 v[0:3], v9
	s_waitcnt lgkmcnt(0)
	v_lshrrev_b32_e32 v28, 16, v0
	v_and_b32_e32 v0, 0xffff, v0
	;;#ASMSTART
	v_cvt_f32_f16 v14, v0;
	;;#ASMEND
	v_and_b32_e32 v0, 0xffff, v53
	;;#ASMSTART
	v_cvt_f32_f16 v51, v28;
	;;#ASMEND
	;;#ASMSTART
	v_cvt_f32_f16 v81, v0;
	;;#ASMEND
	v_and_b32_e32 v0, 0xffff, v110
	;;#ASMSTART
	v_cvt_f32_f16 v101, v0;
	;;#ASMEND
	v_lshrrev_b32_e32 v0, 16, v1
	v_and_b32_e32 v1, 0xffff, v1
	;;#ASMSTART
	v_cvt_f32_f16 v110, v1;
	;;#ASMEND
	;;#ASMSTART
	v_cvt_f32_f16 v109, v0;
	;;#ASMEND
	v_and_b32_e32 v0, 0xffff, v116
	;;#ASMSTART
	v_cvt_f32_f16 v116, v0;
	;;#ASMEND
	v_and_b32_e32 v0, 0xffff, v35
	;;#ASMSTART
	v_cvt_f32_f16 v120, v0;
	;;#ASMEND
	v_lshrrev_b32_e32 v0, 16, v2
	v_and_b32_e32 v1, 0xffff, v2
	;;#ASMSTART
	v_cvt_f32_f16 v35, v1;
	;;#ASMEND
	;;#ASMSTART
	v_cvt_f32_f16 v28, v0;
	;;#ASMEND
	v_and_b32_e32 v0, 0xffff, v125
	;;#ASMSTART
	v_cvt_f32_f16 v53, v0;
	;;#ASMEND
	v_and_b32_e32 v0, 0xffff, v87
	;;#ASMSTART
	v_cvt_f32_f16 v86, v0;
	;;#ASMEND
	v_lshrrev_b32_e32 v0, 16, v3
	v_and_b32_e32 v1, 0xffff, v3
	;;#ASMSTART
	v_cvt_f32_f16 v31, v1;
	;;#ASMEND
	;;#ASMSTART
	v_cvt_f32_f16 v87, v0;
	;;#ASMEND
	v_and_b32_e32 v0, 0xffff, v80
	;;#ASMSTART
	v_cvt_f32_f16 v80, v0;
	;;#ASMEND
	v_and_b32_e32 v0, 0xffff, v52
	;;#ASMSTART
	v_cvt_f32_f16 v32, v0;
	;;#ASMEND
	ds_read_b128 v[0:3], v9 offset:16
	s_waitcnt lgkmcnt(0)
	v_lshrrev_b32_e32 v52, 16, v0
	v_and_b32_e32 v0, 0xffff, v0
	;;#ASMSTART
	v_cvt_f32_f16 v0, v0;
	;;#ASMEND
	;;#ASMSTART
	v_cvt_f32_f16 v52, v52;
	;;#ASMEND
	;; [unrolled: 3-line block ×4, first 2 shown]
	v_mul_f32_e32 v6, v0, v10
	v_and_b32_e32 v0, 0xffff, v1
	;;#ASMSTART
	v_cvt_f32_f16 v0, v0;
	;;#ASMEND
	v_mul_f32_e32 v10, v52, v125
	v_fmac_f32_e32 v6, v14, v81
	v_lshrrev_b32_e32 v14, 16, v1
	;;#ASMSTART
	v_cvt_f32_f16 v1, v14;
	;;#ASMEND
	v_and_b32_e32 v14, 0xffff, v17
	;;#ASMSTART
	v_cvt_f32_f16 v14, v14;
	;;#ASMEND
	;;#ASMSTART
	v_cvt_f32_f16 v11, v11;
	;;#ASMEND
	v_mul_f32_e32 v17, v0, v14
	v_mul_f32_e32 v11, v1, v11
	v_lshrrev_b32_e32 v1, 16, v2
	v_and_b32_e32 v0, 0xffff, v2
	v_and_b32_e32 v2, 0xffff, v22
	;;#ASMSTART
	v_cvt_f32_f16 v0, v0;
	;;#ASMEND
	;;#ASMSTART
	v_cvt_f32_f16 v1, v1;
	;;#ASMEND
	;; [unrolled: 3-line block ×3, first 2 shown]
	v_and_b32_e32 v14, 0xffff, v18
	;;#ASMSTART
	v_cvt_f32_f16 v14, v14;
	;;#ASMEND
	v_mul_f32_e32 v22, v0, v2
	v_mul_f32_e32 v18, v1, v14
	v_lshrrev_b32_e32 v1, 16, v3
	v_and_b32_e32 v0, 0xffff, v3
	v_and_b32_e32 v2, 0xffff, v25
	;; [unrolled: 1-line block ×3, first 2 shown]
	;;#ASMSTART
	v_cvt_f32_f16 v0, v0;
	;;#ASMEND
	;;#ASMSTART
	v_cvt_f32_f16 v1, v1;
	;;#ASMEND
	;; [unrolled: 3-line block ×4, first 2 shown]
	v_mul_f32_e32 v25, v0, v2
	v_mul_f32_e32 v24, v1, v3
	ds_read_b128 v[0:3], v9 offset:32
	v_fmac_f32_e32 v10, v51, v101
	v_fmac_f32_e32 v17, v110, v116
	;; [unrolled: 1-line block ×6, first 2 shown]
	v_and_b32_e32 v28, 0xffff, v72
	v_and_b32_e32 v31, 0xffff, v47
	v_fmac_f32_e32 v24, v87, v32
	s_waitcnt lgkmcnt(0)
	v_lshrrev_b32_e32 v14, 16, v0
	v_and_b32_e32 v0, 0xffff, v0
	;;#ASMSTART
	v_cvt_f32_f16 v0, v0;
	;;#ASMEND
	;;#ASMSTART
	v_cvt_f32_f16 v14, v14;
	;;#ASMEND
	;;#ASMSTART
	v_cvt_f32_f16 v28, v28;
	;;#ASMEND
	;;#ASMSTART
	v_cvt_f32_f16 v31, v31;
	;;#ASMEND
	v_fmac_f32_e32 v6, v0, v28
	v_fmac_f32_e32 v10, v14, v31
	v_lshrrev_b32_e32 v14, 16, v1
	v_and_b32_e32 v0, 0xffff, v1
	;;#ASMSTART
	v_cvt_f32_f16 v0, v0;
	;;#ASMEND
	;;#ASMSTART
	v_cvt_f32_f16 v1, v14;
	;;#ASMEND
	v_and_b32_e32 v14, 0xffff, v44
	v_and_b32_e32 v28, 0xffff, v38
	;;#ASMSTART
	v_cvt_f32_f16 v14, v14;
	;;#ASMEND
	;;#ASMSTART
	v_cvt_f32_f16 v28, v28;
	;;#ASMEND
	v_fmac_f32_e32 v17, v0, v14
	v_fmac_f32_e32 v11, v1, v28
	v_lshrrev_b32_e32 v1, 16, v2
	v_and_b32_e32 v0, 0xffff, v2
	v_and_b32_e32 v2, 0xffff, v64
	;;#ASMSTART
	v_cvt_f32_f16 v0, v0;
	;;#ASMEND
	;;#ASMSTART
	v_cvt_f32_f16 v1, v1;
	;;#ASMEND
	;; [unrolled: 3-line block ×3, first 2 shown]
	v_and_b32_e32 v14, 0xffff, v41
	;;#ASMSTART
	v_cvt_f32_f16 v14, v14;
	;;#ASMEND
	v_fmac_f32_e32 v22, v0, v2
	v_fmac_f32_e32 v18, v1, v14
	v_lshrrev_b32_e32 v1, 16, v3
	v_and_b32_e32 v0, 0xffff, v3
	v_and_b32_e32 v2, 0xffff, v13
	;; [unrolled: 1-line block ×3, first 2 shown]
	;;#ASMSTART
	v_cvt_f32_f16 v0, v0;
	;;#ASMEND
	;;#ASMSTART
	v_cvt_f32_f16 v1, v1;
	;;#ASMEND
	;; [unrolled: 3-line block ×4, first 2 shown]
	v_fmac_f32_e32 v25, v0, v2
	v_fmac_f32_e32 v24, v1, v3
	ds_read_b128 v[0:3], v9 offset:48
	v_and_b32_e32 v14, 0xffff, v54
	v_and_b32_e32 v28, 0xffff, v96
	s_waitcnt lgkmcnt(0)
	v_lshrrev_b32_e32 v13, 16, v0
	v_and_b32_e32 v0, 0xffff, v0
	;;#ASMSTART
	v_cvt_f32_f16 v0, v0;
	;;#ASMEND
	;;#ASMSTART
	v_cvt_f32_f16 v13, v13;
	;;#ASMEND
	;; [unrolled: 3-line block ×4, first 2 shown]
	v_fmac_f32_e32 v6, v0, v14
	v_fmac_f32_e32 v10, v13, v28
	v_lshrrev_b32_e32 v13, 16, v1
	v_and_b32_e32 v0, 0xffff, v1
	;;#ASMSTART
	v_cvt_f32_f16 v0, v0;
	;;#ASMEND
	;;#ASMSTART
	v_cvt_f32_f16 v1, v13;
	;;#ASMEND
	v_and_b32_e32 v13, 0xffff, v16
	v_and_b32_e32 v14, 0xffff, v74
	;;#ASMSTART
	v_cvt_f32_f16 v13, v13;
	;;#ASMEND
	;;#ASMSTART
	v_cvt_f32_f16 v14, v14;
	;;#ASMEND
	v_fmac_f32_e32 v17, v0, v13
	v_fmac_f32_e32 v11, v1, v14
	v_lshrrev_b32_e32 v1, 16, v2
	v_and_b32_e32 v0, 0xffff, v2
	v_and_b32_e32 v2, 0xffff, v67
	;;#ASMSTART
	v_cvt_f32_f16 v0, v0;
	;;#ASMEND
	;;#ASMSTART
	v_cvt_f32_f16 v1, v1;
	;;#ASMEND
	;; [unrolled: 3-line block ×3, first 2 shown]
	v_and_b32_e32 v13, 0xffff, v71
	;;#ASMSTART
	v_cvt_f32_f16 v13, v13;
	;;#ASMEND
	v_fmac_f32_e32 v22, v0, v2
	v_fmac_f32_e32 v18, v1, v13
	v_lshrrev_b32_e32 v1, 16, v3
	v_and_b32_e32 v0, 0xffff, v3
	v_and_b32_e32 v2, 0xffff, v70
	;; [unrolled: 1-line block ×3, first 2 shown]
	;;#ASMSTART
	v_cvt_f32_f16 v0, v0;
	;;#ASMEND
	;;#ASMSTART
	v_cvt_f32_f16 v1, v1;
	;;#ASMEND
	;; [unrolled: 3-line block ×4, first 2 shown]
	v_fmac_f32_e32 v25, v0, v2
	v_fmac_f32_e32 v24, v1, v3
	ds_read_b128 v[0:3], v9 offset:64
	v_and_b32_e32 v13, 0xffff, v78
	s_waitcnt lgkmcnt(0)
	v_lshrrev_b32_e32 v5, 16, v0
	v_and_b32_e32 v0, 0xffff, v0
	;;#ASMSTART
	v_cvt_f32_f16 v0, v0;
	;;#ASMEND
	;;#ASMSTART
	v_cvt_f32_f16 v5, v5;
	;;#ASMEND
	;; [unrolled: 3-line block ×4, first 2 shown]
	v_fmac_f32_e32 v6, v0, v13
	v_fmac_f32_e32 v10, v5, v7
	v_lshrrev_b32_e32 v5, 16, v1
	v_and_b32_e32 v0, 0xffff, v1
	;;#ASMSTART
	v_cvt_f32_f16 v0, v0;
	;;#ASMEND
	;;#ASMSTART
	v_cvt_f32_f16 v1, v5;
	;;#ASMEND
	v_and_b32_e32 v5, 0xffff, v118
	;;#ASMSTART
	v_cvt_f32_f16 v4, v4;
	;;#ASMEND
	;;#ASMSTART
	v_cvt_f32_f16 v5, v5;
	;;#ASMEND
	v_fmac_f32_e32 v17, v0, v4
	v_fmac_f32_e32 v11, v1, v5
	v_lshrrev_b32_e32 v1, 16, v2
	v_and_b32_e32 v0, 0xffff, v2
	v_and_b32_e32 v2, 0xffff, v15
	;;#ASMSTART
	v_cvt_f32_f16 v0, v0;
	;;#ASMEND
	;;#ASMSTART
	v_cvt_f32_f16 v1, v1;
	;;#ASMEND
	;; [unrolled: 3-line block ×3, first 2 shown]
	v_and_b32_e32 v4, 0xffff, v91
	;;#ASMSTART
	v_cvt_f32_f16 v4, v4;
	;;#ASMEND
	v_fmac_f32_e32 v22, v0, v2
	v_fmac_f32_e32 v18, v1, v4
	v_lshrrev_b32_e32 v1, 16, v3
	v_and_b32_e32 v0, 0xffff, v3
	v_and_b32_e32 v2, 0xffff, v75
	;; [unrolled: 1-line block ×3, first 2 shown]
	;;#ASMSTART
	v_cvt_f32_f16 v0, v0;
	;;#ASMEND
	;;#ASMSTART
	v_cvt_f32_f16 v1, v1;
	;;#ASMEND
	;; [unrolled: 3-line block ×4, first 2 shown]
	v_fmac_f32_e32 v25, v0, v2
	v_fmac_f32_e32 v24, v1, v3
	ds_read_b128 v[0:3], v9 offset:80
	v_and_b32_e32 v5, 0xffff, v59
	v_and_b32_e32 v7, 0xffff, v58
	s_waitcnt lgkmcnt(0)
	v_lshrrev_b32_e32 v4, 16, v0
	v_and_b32_e32 v0, 0xffff, v0
	;;#ASMSTART
	v_cvt_f32_f16 v0, v0;
	;;#ASMEND
	;;#ASMSTART
	v_cvt_f32_f16 v4, v4;
	;;#ASMEND
	;; [unrolled: 3-line block ×4, first 2 shown]
	v_fmac_f32_e32 v6, v0, v5
	v_fmac_f32_e32 v10, v4, v7
	v_lshrrev_b32_e32 v4, 16, v1
	v_and_b32_e32 v0, 0xffff, v1
	;;#ASMSTART
	v_cvt_f32_f16 v0, v0;
	;;#ASMEND
	;;#ASMSTART
	v_cvt_f32_f16 v1, v4;
	;;#ASMEND
	v_and_b32_e32 v4, 0xffff, v56
	v_and_b32_e32 v5, 0xffff, v39
	;;#ASMSTART
	v_cvt_f32_f16 v4, v4;
	;;#ASMEND
	;;#ASMSTART
	v_cvt_f32_f16 v5, v5;
	;;#ASMEND
	v_fmac_f32_e32 v17, v0, v4
	v_fmac_f32_e32 v11, v1, v5
	v_lshrrev_b32_e32 v1, 16, v2
	v_and_b32_e32 v0, 0xffff, v2
	v_and_b32_e32 v2, 0xffff, v77
	;;#ASMSTART
	v_cvt_f32_f16 v0, v0;
	;;#ASMEND
	;;#ASMSTART
	v_cvt_f32_f16 v1, v1;
	;;#ASMEND
	;; [unrolled: 3-line block ×3, first 2 shown]
	v_and_b32_e32 v4, 0xffff, v107
	;;#ASMSTART
	v_cvt_f32_f16 v4, v4;
	;;#ASMEND
	v_fmac_f32_e32 v22, v0, v2
	v_fmac_f32_e32 v18, v1, v4
	v_lshrrev_b32_e32 v1, 16, v3
	v_and_b32_e32 v0, 0xffff, v3
	v_and_b32_e32 v2, 0xffff, v90
	;; [unrolled: 1-line block ×3, first 2 shown]
	;;#ASMSTART
	v_cvt_f32_f16 v0, v0;
	;;#ASMEND
	;;#ASMSTART
	v_cvt_f32_f16 v1, v1;
	;;#ASMEND
	;; [unrolled: 3-line block ×4, first 2 shown]
	v_fmac_f32_e32 v25, v0, v2
	v_fmac_f32_e32 v24, v1, v3
	ds_read_b128 v[0:3], v9 offset:96
	v_and_b32_e32 v5, 0xffff, v45
	v_and_b32_e32 v7, 0xffff, v43
	s_waitcnt lgkmcnt(0)
	v_lshrrev_b32_e32 v4, 16, v0
	v_and_b32_e32 v0, 0xffff, v0
	;;#ASMSTART
	v_cvt_f32_f16 v0, v0;
	;;#ASMEND
	;;#ASMSTART
	v_cvt_f32_f16 v4, v4;
	;;#ASMEND
	;; [unrolled: 3-line block ×4, first 2 shown]
	v_fmac_f32_e32 v6, v0, v5
	v_fmac_f32_e32 v10, v4, v7
	v_lshrrev_b32_e32 v4, 16, v1
	v_and_b32_e32 v0, 0xffff, v1
	;;#ASMSTART
	v_cvt_f32_f16 v0, v0;
	;;#ASMEND
	;;#ASMSTART
	v_cvt_f32_f16 v1, v4;
	;;#ASMEND
	v_and_b32_e32 v4, 0xffff, v42
	v_and_b32_e32 v5, 0xffff, v40
	;;#ASMSTART
	v_cvt_f32_f16 v4, v4;
	;;#ASMEND
	;;#ASMSTART
	v_cvt_f32_f16 v5, v5;
	;;#ASMEND
	v_fmac_f32_e32 v17, v0, v4
	v_fmac_f32_e32 v11, v1, v5
	v_lshrrev_b32_e32 v1, 16, v2
	v_and_b32_e32 v0, 0xffff, v2
	v_and_b32_e32 v2, 0xffff, v123
	;;#ASMSTART
	v_cvt_f32_f16 v0, v0;
	;;#ASMEND
	;;#ASMSTART
	v_cvt_f32_f16 v1, v1;
	;;#ASMEND
	;; [unrolled: 3-line block ×3, first 2 shown]
	v_and_b32_e32 v4, 0xffff, v106
	;;#ASMSTART
	v_cvt_f32_f16 v4, v4;
	;;#ASMEND
	v_fmac_f32_e32 v22, v0, v2
	v_fmac_f32_e32 v18, v1, v4
	v_lshrrev_b32_e32 v1, 16, v3
	v_and_b32_e32 v0, 0xffff, v3
	v_and_b32_e32 v2, 0xffff, v104
	v_and_b32_e32 v3, 0xffff, v93
	;;#ASMSTART
	v_cvt_f32_f16 v0, v0;
	;;#ASMEND
	;;#ASMSTART
	v_cvt_f32_f16 v1, v1;
	;;#ASMEND
	;; [unrolled: 3-line block ×4, first 2 shown]
	v_fmac_f32_e32 v25, v0, v2
	v_fmac_f32_e32 v24, v1, v3
	ds_read_b128 v[0:3], v9 offset:112
	v_and_b32_e32 v5, 0xffff, v117
	v_and_b32_e32 v7, 0xffff, v121
	s_waitcnt lgkmcnt(0)
	v_lshrrev_b32_e32 v4, 16, v0
	v_and_b32_e32 v0, 0xffff, v0
	;;#ASMSTART
	v_cvt_f32_f16 v0, v0;
	;;#ASMEND
	;;#ASMSTART
	v_cvt_f32_f16 v4, v4;
	;;#ASMEND
	;; [unrolled: 3-line block ×4, first 2 shown]
	v_fmac_f32_e32 v6, v0, v5
	v_fmac_f32_e32 v10, v4, v7
	v_lshrrev_b32_e32 v4, 16, v1
	v_and_b32_e32 v0, 0xffff, v1
	;;#ASMSTART
	v_cvt_f32_f16 v0, v0;
	;;#ASMEND
	;;#ASMSTART
	v_cvt_f32_f16 v1, v4;
	;;#ASMEND
	v_and_b32_e32 v4, 0xffff, v55
	v_and_b32_e32 v5, 0xffff, v37
	;;#ASMSTART
	v_cvt_f32_f16 v4, v4;
	;;#ASMEND
	;;#ASMSTART
	v_cvt_f32_f16 v5, v5;
	;;#ASMEND
	v_fmac_f32_e32 v17, v0, v4
	v_fmac_f32_e32 v11, v1, v5
	v_lshrrev_b32_e32 v1, 16, v2
	v_and_b32_e32 v0, 0xffff, v2
	v_and_b32_e32 v2, 0xffff, v114
	;;#ASMSTART
	v_cvt_f32_f16 v0, v0;
	;;#ASMEND
	;;#ASMSTART
	v_cvt_f32_f16 v1, v1;
	;;#ASMEND
	;; [unrolled: 3-line block ×3, first 2 shown]
	v_and_b32_e32 v4, 0xffff, v8
	;;#ASMSTART
	v_cvt_f32_f16 v4, v4;
	;;#ASMEND
	v_fmac_f32_e32 v22, v0, v2
	v_fmac_f32_e32 v18, v1, v4
	v_lshrrev_b32_e32 v1, 16, v3
	v_and_b32_e32 v0, 0xffff, v3
	v_and_b32_e32 v2, 0xffff, v19
	v_and_b32_e32 v3, 0xffff, v23
	;;#ASMSTART
	v_cvt_f32_f16 v0, v0;
	;;#ASMEND
	;;#ASMSTART
	v_cvt_f32_f16 v1, v1;
	;;#ASMEND
	;; [unrolled: 3-line block ×4, first 2 shown]
	v_fmac_f32_e32 v25, v0, v2
	v_fmac_f32_e32 v24, v1, v3
	ds_read_b128 v[0:3], v9 offset:128
	v_and_b32_e32 v5, 0xffff, v76
	v_and_b32_e32 v7, 0xffff, v73
	s_waitcnt lgkmcnt(0)
	v_lshrrev_b32_e32 v4, 16, v0
	v_and_b32_e32 v0, 0xffff, v0
	;;#ASMSTART
	v_cvt_f32_f16 v0, v0;
	;;#ASMEND
	;;#ASMSTART
	v_cvt_f32_f16 v4, v4;
	;;#ASMEND
	;; [unrolled: 3-line block ×4, first 2 shown]
	v_fmac_f32_e32 v6, v0, v5
	v_fmac_f32_e32 v10, v4, v7
	v_lshrrev_b32_e32 v4, 16, v1
	v_and_b32_e32 v0, 0xffff, v1
	;;#ASMSTART
	v_cvt_f32_f16 v0, v0;
	;;#ASMEND
	;;#ASMSTART
	v_cvt_f32_f16 v1, v4;
	;;#ASMEND
	v_and_b32_e32 v4, 0xffff, v115
	v_and_b32_e32 v5, 0xffff, v29
	;;#ASMSTART
	v_cvt_f32_f16 v4, v4;
	;;#ASMEND
	;;#ASMSTART
	v_cvt_f32_f16 v5, v5;
	;;#ASMEND
	v_fmac_f32_e32 v17, v0, v4
	v_fmac_f32_e32 v11, v1, v5
	v_lshrrev_b32_e32 v1, 16, v2
	v_and_b32_e32 v0, 0xffff, v2
	v_and_b32_e32 v2, 0xffff, v127
	;;#ASMSTART
	v_cvt_f32_f16 v0, v0;
	;;#ASMEND
	;;#ASMSTART
	v_cvt_f32_f16 v1, v1;
	;;#ASMEND
	;;#ASMSTART
	v_cvt_f32_f16 v2, v2;
	;;#ASMEND
	v_and_b32_e32 v4, 0xffff, v126
	;;#ASMSTART
	v_cvt_f32_f16 v4, v4;
	;;#ASMEND
	v_fmac_f32_e32 v22, v0, v2
	v_fmac_f32_e32 v18, v1, v4
	v_lshrrev_b32_e32 v1, 16, v3
	v_and_b32_e32 v0, 0xffff, v3
	v_and_b32_e32 v2, 0xffff, v30
	;; [unrolled: 1-line block ×3, first 2 shown]
	;;#ASMSTART
	v_cvt_f32_f16 v0, v0;
	;;#ASMEND
	;;#ASMSTART
	v_cvt_f32_f16 v1, v1;
	;;#ASMEND
	;; [unrolled: 3-line block ×4, first 2 shown]
	v_fmac_f32_e32 v25, v0, v2
	v_fmac_f32_e32 v24, v1, v3
	ds_read_b128 v[0:3], v9 offset:144
	v_and_b32_e32 v5, 0xffff, v63
	v_and_b32_e32 v7, 0xffff, v33
	s_waitcnt lgkmcnt(0)
	v_lshrrev_b32_e32 v4, 16, v0
	v_and_b32_e32 v0, 0xffff, v0
	;;#ASMSTART
	v_cvt_f32_f16 v0, v0;
	;;#ASMEND
	;;#ASMSTART
	v_cvt_f32_f16 v4, v4;
	;;#ASMEND
	;; [unrolled: 3-line block ×4, first 2 shown]
	v_fmac_f32_e32 v6, v0, v5
	v_fmac_f32_e32 v10, v4, v7
	v_lshrrev_b32_e32 v4, 16, v1
	v_and_b32_e32 v0, 0xffff, v1
	;;#ASMSTART
	v_cvt_f32_f16 v0, v0;
	;;#ASMEND
	;;#ASMSTART
	v_cvt_f32_f16 v1, v4;
	;;#ASMEND
	v_and_b32_e32 v4, 0xffff, v34
	v_and_b32_e32 v5, 0xffff, v48
	;;#ASMSTART
	v_cvt_f32_f16 v4, v4;
	;;#ASMEND
	;;#ASMSTART
	v_cvt_f32_f16 v5, v5;
	;;#ASMEND
	v_fmac_f32_e32 v17, v0, v4
	v_fmac_f32_e32 v11, v1, v5
	v_lshrrev_b32_e32 v1, 16, v2
	v_and_b32_e32 v0, 0xffff, v2
	v_and_b32_e32 v2, 0xffff, v50
	;;#ASMSTART
	v_cvt_f32_f16 v0, v0;
	;;#ASMEND
	;;#ASMSTART
	v_cvt_f32_f16 v1, v1;
	;;#ASMEND
	;;#ASMSTART
	v_cvt_f32_f16 v2, v2;
	;;#ASMEND
	v_and_b32_e32 v4, 0xffff, v65
	;;#ASMSTART
	v_cvt_f32_f16 v4, v4;
	;;#ASMEND
	v_fmac_f32_e32 v22, v0, v2
	v_fmac_f32_e32 v18, v1, v4
	v_lshrrev_b32_e32 v1, 16, v3
	v_and_b32_e32 v0, 0xffff, v3
	v_and_b32_e32 v2, 0xffff, v69
	;; [unrolled: 1-line block ×3, first 2 shown]
	;;#ASMSTART
	v_cvt_f32_f16 v0, v0;
	;;#ASMEND
	;;#ASMSTART
	v_cvt_f32_f16 v1, v1;
	;;#ASMEND
	;; [unrolled: 3-line block ×4, first 2 shown]
	v_fmac_f32_e32 v25, v0, v2
	v_fmac_f32_e32 v24, v1, v3
	ds_read_b128 v[0:3], v9 offset:160
	v_and_b32_e32 v5, 0xffff, v62
	v_and_b32_e32 v7, 0xffff, v111
	s_waitcnt lgkmcnt(0)
	v_lshrrev_b32_e32 v4, 16, v0
	v_and_b32_e32 v0, 0xffff, v0
	;;#ASMSTART
	v_cvt_f32_f16 v0, v0;
	;;#ASMEND
	;;#ASMSTART
	v_cvt_f32_f16 v4, v4;
	;;#ASMEND
	;; [unrolled: 3-line block ×4, first 2 shown]
	v_fmac_f32_e32 v6, v0, v5
	v_fmac_f32_e32 v10, v4, v7
	v_lshrrev_b32_e32 v4, 16, v1
	v_and_b32_e32 v0, 0xffff, v1
	;;#ASMSTART
	v_cvt_f32_f16 v0, v0;
	;;#ASMEND
	;;#ASMSTART
	v_cvt_f32_f16 v1, v4;
	;;#ASMEND
	v_and_b32_e32 v4, 0xffff, v85
	;;#ASMSTART
	v_cvt_f32_f16 v4, v4;
	;;#ASMEND
	buffer_load_dword v5, off, s[0:3], s32 offset:472 ; 4-byte Folded Reload
	v_fmac_f32_e32 v17, v0, v4
	v_and_b32_e32 v0, 0xffff, v2
	v_and_b32_e32 v4, 0xffff, v98
	;; [unrolled: 1-line block ×3, first 2 shown]
	s_waitcnt vmcnt(0)
	v_and_b32_e32 v5, 0xffff, v5
	;;#ASMSTART
	v_cvt_f32_f16 v5, v5;
	;;#ASMEND
	v_fmac_f32_e32 v11, v1, v5
	v_lshrrev_b32_e32 v1, 16, v2
	v_and_b32_e32 v2, 0xffff, v97
	;;#ASMSTART
	v_cvt_f32_f16 v0, v0;
	;;#ASMEND
	;;#ASMSTART
	v_cvt_f32_f16 v1, v1;
	;;#ASMEND
	;; [unrolled: 3-line block ×4, first 2 shown]
	v_fmac_f32_e32 v22, v0, v2
	v_fmac_f32_e32 v18, v1, v4
	v_lshrrev_b32_e32 v1, 16, v3
	v_and_b32_e32 v0, 0xffff, v3
	v_and_b32_e32 v2, 0xffff, v99
	;; [unrolled: 1-line block ×3, first 2 shown]
	;;#ASMSTART
	v_cvt_f32_f16 v0, v0;
	;;#ASMEND
	;;#ASMSTART
	v_cvt_f32_f16 v1, v1;
	;;#ASMEND
	;; [unrolled: 3-line block ×4, first 2 shown]
	v_fmac_f32_e32 v25, v0, v2
	v_fmac_f32_e32 v24, v1, v3
	ds_read_b128 v[0:3], v9 offset:176
	v_and_b32_e32 v5, 0xffff, v102
	s_waitcnt lgkmcnt(0)
	v_lshrrev_b32_e32 v4, 16, v0
	v_and_b32_e32 v0, 0xffff, v0
	;;#ASMSTART
	v_cvt_f32_f16 v0, v0;
	;;#ASMEND
	;;#ASMSTART
	v_cvt_f32_f16 v4, v4;
	;;#ASMEND
	;; [unrolled: 3-line block ×4, first 2 shown]
	v_fmac_f32_e32 v6, v0, v5
	v_fmac_f32_e32 v10, v4, v7
	v_lshrrev_b32_e32 v4, 16, v1
	v_and_b32_e32 v0, 0xffff, v1
	;;#ASMSTART
	v_cvt_f32_f16 v0, v0;
	;;#ASMEND
	;;#ASMSTART
	v_cvt_f32_f16 v1, v4;
	;;#ASMEND
	v_and_b32_e32 v4, 0xffff, v112
	v_and_b32_e32 v5, 0xffff, v113
	;;#ASMSTART
	v_cvt_f32_f16 v4, v4;
	;;#ASMEND
	;;#ASMSTART
	v_cvt_f32_f16 v5, v5;
	;;#ASMEND
	v_fmac_f32_e32 v17, v0, v4
	v_fmac_f32_e32 v11, v1, v5
	v_lshrrev_b32_e32 v1, 16, v2
	v_and_b32_e32 v0, 0xffff, v2
	v_and_b32_e32 v2, 0xffff, v119
	;;#ASMSTART
	v_cvt_f32_f16 v0, v0;
	;;#ASMEND
	;;#ASMSTART
	v_cvt_f32_f16 v1, v1;
	;;#ASMEND
	;; [unrolled: 3-line block ×3, first 2 shown]
	v_and_b32_e32 v4, 0xffff, v46
	;;#ASMSTART
	v_cvt_f32_f16 v4, v4;
	;;#ASMEND
	v_fmac_f32_e32 v22, v0, v2
	v_fmac_f32_e32 v18, v1, v4
	v_lshrrev_b32_e32 v1, 16, v3
	v_and_b32_e32 v0, 0xffff, v3
	v_and_b32_e32 v2, 0xffff, v57
	;; [unrolled: 1-line block ×3, first 2 shown]
	;;#ASMSTART
	v_cvt_f32_f16 v0, v0;
	;;#ASMEND
	;;#ASMSTART
	v_cvt_f32_f16 v1, v1;
	;;#ASMEND
	;; [unrolled: 3-line block ×4, first 2 shown]
	v_fmac_f32_e32 v25, v0, v2
	v_fmac_f32_e32 v24, v1, v3
	ds_read_b128 v[0:3], v9 offset:192
	v_and_b32_e32 v5, 0xffff, v79
	v_and_b32_e32 v7, 0xffff, v89
	s_waitcnt lgkmcnt(0)
	v_lshrrev_b32_e32 v4, 16, v0
	v_and_b32_e32 v0, 0xffff, v0
	;;#ASMSTART
	v_cvt_f32_f16 v0, v0;
	;;#ASMEND
	;;#ASMSTART
	v_cvt_f32_f16 v4, v4;
	;;#ASMEND
	;; [unrolled: 3-line block ×4, first 2 shown]
	v_fmac_f32_e32 v6, v0, v5
	v_fmac_f32_e32 v10, v4, v7
	v_lshrrev_b32_e32 v4, 16, v1
	v_and_b32_e32 v0, 0xffff, v1
	;;#ASMSTART
	v_cvt_f32_f16 v0, v0;
	;;#ASMEND
	;;#ASMSTART
	v_cvt_f32_f16 v1, v4;
	;;#ASMEND
	v_and_b32_e32 v4, 0xffff, v92
	v_and_b32_e32 v5, 0xffff, v94
	;;#ASMSTART
	v_cvt_f32_f16 v4, v4;
	;;#ASMEND
	;;#ASMSTART
	v_cvt_f32_f16 v5, v5;
	;;#ASMEND
	v_fmac_f32_e32 v17, v0, v4
	v_fmac_f32_e32 v11, v1, v5
	v_lshrrev_b32_e32 v1, 16, v2
	v_and_b32_e32 v0, 0xffff, v2
	v_and_b32_e32 v2, 0xffff, v95
	;;#ASMSTART
	v_cvt_f32_f16 v0, v0;
	;;#ASMEND
	;;#ASMSTART
	v_cvt_f32_f16 v1, v1;
	;;#ASMEND
	;; [unrolled: 3-line block ×3, first 2 shown]
	v_and_b32_e32 v4, 0xffff, v105
	;;#ASMSTART
	v_cvt_f32_f16 v4, v4;
	;;#ASMEND
	v_fmac_f32_e32 v22, v0, v2
	v_fmac_f32_e32 v18, v1, v4
	v_lshrrev_b32_e32 v1, 16, v3
	v_and_b32_e32 v0, 0xffff, v3
	v_and_b32_e32 v2, 0xffff, v108
	;;#ASMSTART
	v_cvt_f32_f16 v0, v0;
	;;#ASMEND
	;;#ASMSTART
	v_cvt_f32_f16 v1, v1;
	;;#ASMEND
	;;#ASMSTART
	v_cvt_f32_f16 v2, v2;
	;;#ASMEND
	buffer_load_dword v3, off, s[0:3], s32 offset:500 ; 4-byte Folded Reload
	v_fmac_f32_e32 v25, v0, v2
	s_waitcnt vmcnt(0)
	v_and_b32_e32 v3, 0xffff, v3
	;;#ASMSTART
	v_cvt_f32_f16 v3, v3;
	;;#ASMEND
	v_fmac_f32_e32 v24, v1, v3
	ds_read_b128 v[0:3], v9 offset:208
	s_waitcnt lgkmcnt(0)
	v_lshrrev_b32_e32 v4, 16, v0
	v_and_b32_e32 v0, 0xffff, v0
	;;#ASMSTART
	v_cvt_f32_f16 v0, v0;
	;;#ASMEND
	;;#ASMSTART
	v_cvt_f32_f16 v4, v4;
	;;#ASMEND
	buffer_load_dword v5, off, s[0:3], s32 offset:876 ; 4-byte Folded Reload
	s_waitcnt vmcnt(0)
	v_and_b32_e32 v5, 0xffff, v5
	;;#ASMSTART
	v_cvt_f32_f16 v5, v5;
	;;#ASMEND
	buffer_load_dword v7, off, s[0:3], s32 offset:872 ; 4-byte Folded Reload
	v_fmac_f32_e32 v6, v0, v5
	v_and_b32_e32 v0, 0xffff, v1
	s_waitcnt vmcnt(0)
	v_and_b32_e32 v7, 0xffff, v7
	;;#ASMSTART
	v_cvt_f32_f16 v7, v7;
	;;#ASMEND
	v_fmac_f32_e32 v10, v4, v7
	v_lshrrev_b32_e32 v4, 16, v1
	;;#ASMSTART
	v_cvt_f32_f16 v0, v0;
	;;#ASMEND
	;;#ASMSTART
	v_cvt_f32_f16 v1, v4;
	;;#ASMEND
	buffer_load_dword v4, off, s[0:3], s32 offset:868 ; 4-byte Folded Reload
	s_waitcnt vmcnt(0)
	v_and_b32_e32 v4, 0xffff, v4
	;;#ASMSTART
	v_cvt_f32_f16 v4, v4;
	;;#ASMEND
	buffer_load_dword v5, off, s[0:3], s32 offset:864 ; 4-byte Folded Reload
	v_fmac_f32_e32 v17, v0, v4
	v_and_b32_e32 v0, 0xffff, v2
	s_waitcnt vmcnt(0)
	v_and_b32_e32 v5, 0xffff, v5
	;;#ASMSTART
	v_cvt_f32_f16 v5, v5;
	;;#ASMEND
	v_fmac_f32_e32 v11, v1, v5
	v_lshrrev_b32_e32 v1, 16, v2
	;;#ASMSTART
	v_cvt_f32_f16 v0, v0;
	;;#ASMEND
	;;#ASMSTART
	v_cvt_f32_f16 v1, v1;
	;;#ASMEND
	buffer_load_dword v2, off, s[0:3], s32 offset:860 ; 4-byte Folded Reload
	s_waitcnt vmcnt(0)
	v_and_b32_e32 v2, 0xffff, v2
	;;#ASMSTART
	v_cvt_f32_f16 v2, v2;
	;;#ASMEND
	buffer_load_dword v4, off, s[0:3], s32 offset:856 ; 4-byte Folded Reload
	v_fmac_f32_e32 v22, v0, v2
	v_and_b32_e32 v0, 0xffff, v3
	s_waitcnt vmcnt(0)
	v_and_b32_e32 v4, 0xffff, v4
	;;#ASMSTART
	v_cvt_f32_f16 v4, v4;
	;;#ASMEND
	v_fmac_f32_e32 v18, v1, v4
	v_lshrrev_b32_e32 v1, 16, v3
	;;#ASMSTART
	v_cvt_f32_f16 v0, v0;
	;;#ASMEND
	;;#ASMSTART
	v_cvt_f32_f16 v1, v1;
	;;#ASMEND
	buffer_load_dword v2, off, s[0:3], s32 offset:852 ; 4-byte Folded Reload
	s_waitcnt vmcnt(0)
	v_and_b32_e32 v2, 0xffff, v2
	;;#ASMSTART
	v_cvt_f32_f16 v2, v2;
	;;#ASMEND
	buffer_load_dword v3, off, s[0:3], s32 offset:848 ; 4-byte Folded Reload
	v_fmac_f32_e32 v25, v0, v2
	s_waitcnt vmcnt(0)
	v_and_b32_e32 v3, 0xffff, v3
	;;#ASMSTART
	v_cvt_f32_f16 v3, v3;
	;;#ASMEND
	v_fmac_f32_e32 v24, v1, v3
	ds_read_b128 v[0:3], v9 offset:224
	s_waitcnt lgkmcnt(0)
	v_lshrrev_b32_e32 v4, 16, v0
	v_and_b32_e32 v0, 0xffff, v0
	;;#ASMSTART
	v_cvt_f32_f16 v0, v0;
	;;#ASMEND
	;;#ASMSTART
	v_cvt_f32_f16 v4, v4;
	;;#ASMEND
	buffer_load_dword v5, off, s[0:3], s32 offset:844 ; 4-byte Folded Reload
	s_waitcnt vmcnt(0)
	v_and_b32_e32 v5, 0xffff, v5
	;;#ASMSTART
	v_cvt_f32_f16 v5, v5;
	;;#ASMEND
	buffer_load_dword v7, off, s[0:3], s32 offset:840 ; 4-byte Folded Reload
	v_fmac_f32_e32 v6, v0, v5
	v_and_b32_e32 v0, 0xffff, v1
	s_waitcnt vmcnt(0)
	v_and_b32_e32 v7, 0xffff, v7
	;;#ASMSTART
	v_cvt_f32_f16 v7, v7;
	;;#ASMEND
	v_fmac_f32_e32 v10, v4, v7
	v_lshrrev_b32_e32 v4, 16, v1
	;;#ASMSTART
	v_cvt_f32_f16 v0, v0;
	;;#ASMEND
	;;#ASMSTART
	v_cvt_f32_f16 v1, v4;
	;;#ASMEND
	buffer_load_dword v4, off, s[0:3], s32 offset:836 ; 4-byte Folded Reload
	s_waitcnt vmcnt(0)
	v_and_b32_e32 v4, 0xffff, v4
	;;#ASMSTART
	v_cvt_f32_f16 v4, v4;
	;;#ASMEND
	buffer_load_dword v5, off, s[0:3], s32 offset:832 ; 4-byte Folded Reload
	v_fmac_f32_e32 v17, v0, v4
	v_and_b32_e32 v0, 0xffff, v2
	s_waitcnt vmcnt(0)
	v_and_b32_e32 v5, 0xffff, v5
	;;#ASMSTART
	v_cvt_f32_f16 v5, v5;
	;;#ASMEND
	v_fmac_f32_e32 v11, v1, v5
	v_lshrrev_b32_e32 v1, 16, v2
	;; [unrolled: 22-line block ×3, first 2 shown]
	;;#ASMSTART
	v_cvt_f32_f16 v0, v0;
	;;#ASMEND
	;;#ASMSTART
	v_cvt_f32_f16 v1, v1;
	;;#ASMEND
	buffer_load_dword v2, off, s[0:3], s32 offset:820 ; 4-byte Folded Reload
	s_waitcnt vmcnt(0)
	v_and_b32_e32 v2, 0xffff, v2
	;;#ASMSTART
	v_cvt_f32_f16 v2, v2;
	;;#ASMEND
	buffer_load_dword v3, off, s[0:3], s32 offset:816 ; 4-byte Folded Reload
	v_fmac_f32_e32 v25, v0, v2
	s_waitcnt vmcnt(0)
	v_and_b32_e32 v3, 0xffff, v3
	;;#ASMSTART
	v_cvt_f32_f16 v3, v3;
	;;#ASMEND
	v_fmac_f32_e32 v24, v1, v3
	ds_read_b128 v[0:3], v9 offset:240
	s_waitcnt lgkmcnt(0)
	v_lshrrev_b32_e32 v4, 16, v0
	v_and_b32_e32 v0, 0xffff, v0
	;;#ASMSTART
	v_cvt_f32_f16 v0, v0;
	;;#ASMEND
	;;#ASMSTART
	v_cvt_f32_f16 v4, v4;
	;;#ASMEND
	buffer_load_dword v5, off, s[0:3], s32 offset:812 ; 4-byte Folded Reload
	s_waitcnt vmcnt(0)
	v_and_b32_e32 v5, 0xffff, v5
	;;#ASMSTART
	v_cvt_f32_f16 v5, v5;
	;;#ASMEND
	buffer_load_dword v7, off, s[0:3], s32 offset:808 ; 4-byte Folded Reload
	v_fmac_f32_e32 v6, v0, v5
	v_and_b32_e32 v0, 0xffff, v1
	s_waitcnt vmcnt(0)
	v_and_b32_e32 v7, 0xffff, v7
	;;#ASMSTART
	v_cvt_f32_f16 v7, v7;
	;;#ASMEND
	v_fmac_f32_e32 v10, v4, v7
	v_lshrrev_b32_e32 v4, 16, v1
	;;#ASMSTART
	v_cvt_f32_f16 v0, v0;
	;;#ASMEND
	;;#ASMSTART
	v_cvt_f32_f16 v1, v4;
	;;#ASMEND
	buffer_load_dword v4, off, s[0:3], s32 offset:804 ; 4-byte Folded Reload
	s_waitcnt vmcnt(0)
	v_and_b32_e32 v4, 0xffff, v4
	;;#ASMSTART
	v_cvt_f32_f16 v4, v4;
	;;#ASMEND
	buffer_load_dword v5, off, s[0:3], s32 offset:800 ; 4-byte Folded Reload
	v_fmac_f32_e32 v17, v0, v4
	v_and_b32_e32 v0, 0xffff, v2
	s_waitcnt vmcnt(0)
	v_and_b32_e32 v5, 0xffff, v5
	;;#ASMSTART
	v_cvt_f32_f16 v5, v5;
	;;#ASMEND
	v_fmac_f32_e32 v11, v1, v5
	v_lshrrev_b32_e32 v1, 16, v2
	;; [unrolled: 22-line block ×3, first 2 shown]
	;;#ASMSTART
	v_cvt_f32_f16 v0, v0;
	;;#ASMEND
	;;#ASMSTART
	v_cvt_f32_f16 v1, v1;
	;;#ASMEND
	buffer_load_dword v2, off, s[0:3], s32 offset:788 ; 4-byte Folded Reload
	s_waitcnt vmcnt(0)
	v_and_b32_e32 v2, 0xffff, v2
	;;#ASMSTART
	v_cvt_f32_f16 v2, v2;
	;;#ASMEND
	buffer_load_dword v3, off, s[0:3], s32 offset:784 ; 4-byte Folded Reload
	v_fmac_f32_e32 v25, v0, v2
	s_waitcnt vmcnt(0)
	v_and_b32_e32 v3, 0xffff, v3
	;;#ASMSTART
	v_cvt_f32_f16 v3, v3;
	;;#ASMEND
	v_fmac_f32_e32 v24, v1, v3
	ds_read_b128 v[0:3], v9 offset:256
	s_waitcnt lgkmcnt(0)
	v_lshrrev_b32_e32 v4, 16, v0
	v_and_b32_e32 v0, 0xffff, v0
	;;#ASMSTART
	v_cvt_f32_f16 v0, v0;
	;;#ASMEND
	;;#ASMSTART
	v_cvt_f32_f16 v4, v4;
	;;#ASMEND
	buffer_load_dword v5, off, s[0:3], s32 offset:780 ; 4-byte Folded Reload
	s_waitcnt vmcnt(0)
	v_and_b32_e32 v5, 0xffff, v5
	;;#ASMSTART
	v_cvt_f32_f16 v5, v5;
	;;#ASMEND
	buffer_load_dword v7, off, s[0:3], s32 offset:776 ; 4-byte Folded Reload
	v_fmac_f32_e32 v6, v0, v5
	v_and_b32_e32 v0, 0xffff, v1
	s_waitcnt vmcnt(0)
	v_and_b32_e32 v7, 0xffff, v7
	;;#ASMSTART
	v_cvt_f32_f16 v7, v7;
	;;#ASMEND
	v_fmac_f32_e32 v10, v4, v7
	v_lshrrev_b32_e32 v4, 16, v1
	;;#ASMSTART
	v_cvt_f32_f16 v0, v0;
	;;#ASMEND
	;;#ASMSTART
	v_cvt_f32_f16 v1, v4;
	;;#ASMEND
	buffer_load_dword v4, off, s[0:3], s32 offset:772 ; 4-byte Folded Reload
	s_waitcnt vmcnt(0)
	v_and_b32_e32 v4, 0xffff, v4
	;;#ASMSTART
	v_cvt_f32_f16 v4, v4;
	;;#ASMEND
	buffer_load_dword v5, off, s[0:3], s32 offset:768 ; 4-byte Folded Reload
	v_fmac_f32_e32 v17, v0, v4
	v_and_b32_e32 v0, 0xffff, v2
	s_waitcnt vmcnt(0)
	v_and_b32_e32 v5, 0xffff, v5
	;;#ASMSTART
	v_cvt_f32_f16 v5, v5;
	;;#ASMEND
	v_fmac_f32_e32 v11, v1, v5
	v_lshrrev_b32_e32 v1, 16, v2
	;;#ASMSTART
	v_cvt_f32_f16 v0, v0;
	;;#ASMEND
	;;#ASMSTART
	v_cvt_f32_f16 v1, v1;
	;;#ASMEND
	buffer_load_dword v2, off, s[0:3], s32 offset:764 ; 4-byte Folded Reload
	s_waitcnt vmcnt(0)
	v_and_b32_e32 v2, 0xffff, v2
	;;#ASMSTART
	v_cvt_f32_f16 v2, v2;
	;;#ASMEND
	buffer_load_dword v4, off, s[0:3], s32 offset:760 ; 4-byte Folded Reload
	v_fmac_f32_e32 v22, v0, v2
	v_and_b32_e32 v0, 0xffff, v3
	s_waitcnt vmcnt(0)
	v_and_b32_e32 v4, 0xffff, v4
	;;#ASMSTART
	v_cvt_f32_f16 v4, v4;
	;;#ASMEND
	v_fmac_f32_e32 v18, v1, v4
	v_lshrrev_b32_e32 v1, 16, v3
	;;#ASMSTART
	v_cvt_f32_f16 v0, v0;
	;;#ASMEND
	;;#ASMSTART
	v_cvt_f32_f16 v1, v1;
	;;#ASMEND
	buffer_load_dword v2, off, s[0:3], s32 offset:756 ; 4-byte Folded Reload
	s_waitcnt vmcnt(0)
	v_and_b32_e32 v2, 0xffff, v2
	;;#ASMSTART
	v_cvt_f32_f16 v2, v2;
	;;#ASMEND
	buffer_load_dword v3, off, s[0:3], s32 offset:752 ; 4-byte Folded Reload
	v_fmac_f32_e32 v25, v0, v2
	s_waitcnt vmcnt(0)
	v_and_b32_e32 v3, 0xffff, v3
	;;#ASMSTART
	v_cvt_f32_f16 v3, v3;
	;;#ASMEND
	v_fmac_f32_e32 v24, v1, v3
	ds_read_b128 v[0:3], v9 offset:272
	s_waitcnt lgkmcnt(0)
	v_lshrrev_b32_e32 v4, 16, v0
	v_and_b32_e32 v0, 0xffff, v0
	;;#ASMSTART
	v_cvt_f32_f16 v0, v0;
	;;#ASMEND
	;;#ASMSTART
	v_cvt_f32_f16 v4, v4;
	;;#ASMEND
	buffer_load_dword v5, off, s[0:3], s32 offset:748 ; 4-byte Folded Reload
	s_waitcnt vmcnt(0)
	v_and_b32_e32 v5, 0xffff, v5
	;;#ASMSTART
	v_cvt_f32_f16 v5, v5;
	;;#ASMEND
	buffer_load_dword v7, off, s[0:3], s32 offset:744 ; 4-byte Folded Reload
	v_fmac_f32_e32 v6, v0, v5
	v_and_b32_e32 v0, 0xffff, v1
	s_waitcnt vmcnt(0)
	v_and_b32_e32 v7, 0xffff, v7
	;;#ASMSTART
	v_cvt_f32_f16 v7, v7;
	;;#ASMEND
	v_fmac_f32_e32 v10, v4, v7
	v_lshrrev_b32_e32 v4, 16, v1
	;;#ASMSTART
	v_cvt_f32_f16 v0, v0;
	;;#ASMEND
	;;#ASMSTART
	v_cvt_f32_f16 v1, v4;
	;;#ASMEND
	buffer_load_dword v4, off, s[0:3], s32 offset:740 ; 4-byte Folded Reload
	s_waitcnt vmcnt(0)
	v_and_b32_e32 v4, 0xffff, v4
	;;#ASMSTART
	v_cvt_f32_f16 v4, v4;
	;;#ASMEND
	buffer_load_dword v5, off, s[0:3], s32 offset:736 ; 4-byte Folded Reload
	v_fmac_f32_e32 v17, v0, v4
	v_and_b32_e32 v0, 0xffff, v2
	s_waitcnt vmcnt(0)
	v_and_b32_e32 v5, 0xffff, v5
	;;#ASMSTART
	v_cvt_f32_f16 v5, v5;
	;;#ASMEND
	v_fmac_f32_e32 v11, v1, v5
	v_lshrrev_b32_e32 v1, 16, v2
	;; [unrolled: 22-line block ×3, first 2 shown]
	;;#ASMSTART
	v_cvt_f32_f16 v0, v0;
	;;#ASMEND
	;;#ASMSTART
	v_cvt_f32_f16 v1, v1;
	;;#ASMEND
	buffer_load_dword v2, off, s[0:3], s32 offset:724 ; 4-byte Folded Reload
	s_waitcnt vmcnt(0)
	v_and_b32_e32 v2, 0xffff, v2
	;;#ASMSTART
	v_cvt_f32_f16 v2, v2;
	;;#ASMEND
	buffer_load_dword v3, off, s[0:3], s32 offset:720 ; 4-byte Folded Reload
	v_fmac_f32_e32 v25, v0, v2
	s_waitcnt vmcnt(0)
	v_and_b32_e32 v3, 0xffff, v3
	;;#ASMSTART
	v_cvt_f32_f16 v3, v3;
	;;#ASMEND
	v_fmac_f32_e32 v24, v1, v3
	ds_read_b128 v[0:3], v9 offset:288
	s_waitcnt lgkmcnt(0)
	v_lshrrev_b32_e32 v4, 16, v0
	v_and_b32_e32 v0, 0xffff, v0
	;;#ASMSTART
	v_cvt_f32_f16 v0, v0;
	;;#ASMEND
	;;#ASMSTART
	v_cvt_f32_f16 v4, v4;
	;;#ASMEND
	buffer_load_dword v5, off, s[0:3], s32 offset:716 ; 4-byte Folded Reload
	s_waitcnt vmcnt(0)
	v_and_b32_e32 v5, 0xffff, v5
	;;#ASMSTART
	v_cvt_f32_f16 v5, v5;
	;;#ASMEND
	buffer_load_dword v7, off, s[0:3], s32 offset:712 ; 4-byte Folded Reload
	v_fmac_f32_e32 v6, v0, v5
	v_and_b32_e32 v0, 0xffff, v1
	s_waitcnt vmcnt(0)
	v_and_b32_e32 v7, 0xffff, v7
	;;#ASMSTART
	v_cvt_f32_f16 v7, v7;
	;;#ASMEND
	v_fmac_f32_e32 v10, v4, v7
	v_lshrrev_b32_e32 v4, 16, v1
	;;#ASMSTART
	v_cvt_f32_f16 v0, v0;
	;;#ASMEND
	;;#ASMSTART
	v_cvt_f32_f16 v1, v4;
	;;#ASMEND
	buffer_load_dword v4, off, s[0:3], s32 offset:708 ; 4-byte Folded Reload
	s_waitcnt vmcnt(0)
	v_and_b32_e32 v4, 0xffff, v4
	;;#ASMSTART
	v_cvt_f32_f16 v4, v4;
	;;#ASMEND
	buffer_load_dword v5, off, s[0:3], s32 offset:704 ; 4-byte Folded Reload
	v_fmac_f32_e32 v17, v0, v4
	v_and_b32_e32 v0, 0xffff, v2
	s_waitcnt vmcnt(0)
	v_and_b32_e32 v5, 0xffff, v5
	;;#ASMSTART
	v_cvt_f32_f16 v5, v5;
	;;#ASMEND
	v_fmac_f32_e32 v11, v1, v5
	v_lshrrev_b32_e32 v1, 16, v2
	;; [unrolled: 22-line block ×3, first 2 shown]
	;;#ASMSTART
	v_cvt_f32_f16 v0, v0;
	;;#ASMEND
	;;#ASMSTART
	v_cvt_f32_f16 v1, v1;
	;;#ASMEND
	buffer_load_dword v2, off, s[0:3], s32 offset:692 ; 4-byte Folded Reload
	s_waitcnt vmcnt(0)
	v_and_b32_e32 v2, 0xffff, v2
	;;#ASMSTART
	v_cvt_f32_f16 v2, v2;
	;;#ASMEND
	buffer_load_dword v3, off, s[0:3], s32 offset:688 ; 4-byte Folded Reload
	v_fmac_f32_e32 v25, v0, v2
	s_waitcnt vmcnt(0)
	v_and_b32_e32 v3, 0xffff, v3
	;;#ASMSTART
	v_cvt_f32_f16 v3, v3;
	;;#ASMEND
	v_fmac_f32_e32 v24, v1, v3
	ds_read_b128 v[0:3], v9 offset:304
	s_waitcnt lgkmcnt(0)
	v_lshrrev_b32_e32 v4, 16, v0
	v_and_b32_e32 v0, 0xffff, v0
	;;#ASMSTART
	v_cvt_f32_f16 v0, v0;
	;;#ASMEND
	;;#ASMSTART
	v_cvt_f32_f16 v4, v4;
	;;#ASMEND
	buffer_load_dword v5, off, s[0:3], s32 offset:684 ; 4-byte Folded Reload
	s_waitcnt vmcnt(0)
	v_and_b32_e32 v5, 0xffff, v5
	;;#ASMSTART
	v_cvt_f32_f16 v5, v5;
	;;#ASMEND
	buffer_load_dword v7, off, s[0:3], s32 offset:680 ; 4-byte Folded Reload
	v_fmac_f32_e32 v6, v0, v5
	v_and_b32_e32 v0, 0xffff, v1
	s_waitcnt vmcnt(0)
	v_and_b32_e32 v7, 0xffff, v7
	;;#ASMSTART
	v_cvt_f32_f16 v7, v7;
	;;#ASMEND
	v_fmac_f32_e32 v10, v4, v7
	v_lshrrev_b32_e32 v4, 16, v1
	;;#ASMSTART
	v_cvt_f32_f16 v0, v0;
	;;#ASMEND
	;;#ASMSTART
	v_cvt_f32_f16 v1, v4;
	;;#ASMEND
	buffer_load_dword v4, off, s[0:3], s32 offset:676 ; 4-byte Folded Reload
	s_waitcnt vmcnt(0)
	v_and_b32_e32 v4, 0xffff, v4
	;;#ASMSTART
	v_cvt_f32_f16 v4, v4;
	;;#ASMEND
	buffer_load_dword v5, off, s[0:3], s32 offset:672 ; 4-byte Folded Reload
	v_fmac_f32_e32 v17, v0, v4
	v_and_b32_e32 v0, 0xffff, v2
	s_waitcnt vmcnt(0)
	v_and_b32_e32 v5, 0xffff, v5
	;;#ASMSTART
	v_cvt_f32_f16 v5, v5;
	;;#ASMEND
	v_fmac_f32_e32 v11, v1, v5
	v_lshrrev_b32_e32 v1, 16, v2
	;; [unrolled: 22-line block ×3, first 2 shown]
	;;#ASMSTART
	v_cvt_f32_f16 v0, v0;
	;;#ASMEND
	;;#ASMSTART
	v_cvt_f32_f16 v1, v1;
	;;#ASMEND
	buffer_load_dword v2, off, s[0:3], s32 offset:660 ; 4-byte Folded Reload
	s_waitcnt vmcnt(0)
	v_and_b32_e32 v2, 0xffff, v2
	;;#ASMSTART
	v_cvt_f32_f16 v2, v2;
	;;#ASMEND
	buffer_load_dword v3, off, s[0:3], s32 offset:656 ; 4-byte Folded Reload
	v_fmac_f32_e32 v25, v0, v2
	s_waitcnt vmcnt(0)
	v_and_b32_e32 v3, 0xffff, v3
	;;#ASMSTART
	v_cvt_f32_f16 v3, v3;
	;;#ASMEND
	v_fmac_f32_e32 v24, v1, v3
	ds_read_b128 v[0:3], v9 offset:320
	s_waitcnt lgkmcnt(0)
	v_lshrrev_b32_e32 v4, 16, v0
	v_and_b32_e32 v0, 0xffff, v0
	;;#ASMSTART
	v_cvt_f32_f16 v0, v0;
	;;#ASMEND
	;;#ASMSTART
	v_cvt_f32_f16 v4, v4;
	;;#ASMEND
	buffer_load_dword v5, off, s[0:3], s32 offset:652 ; 4-byte Folded Reload
	s_waitcnt vmcnt(0)
	v_and_b32_e32 v5, 0xffff, v5
	;;#ASMSTART
	v_cvt_f32_f16 v5, v5;
	;;#ASMEND
	buffer_load_dword v7, off, s[0:3], s32 offset:648 ; 4-byte Folded Reload
	v_fmac_f32_e32 v6, v0, v5
	v_and_b32_e32 v0, 0xffff, v1
	s_waitcnt vmcnt(0)
	v_and_b32_e32 v7, 0xffff, v7
	;;#ASMSTART
	v_cvt_f32_f16 v7, v7;
	;;#ASMEND
	v_fmac_f32_e32 v10, v4, v7
	v_lshrrev_b32_e32 v4, 16, v1
	;;#ASMSTART
	v_cvt_f32_f16 v0, v0;
	;;#ASMEND
	;;#ASMSTART
	v_cvt_f32_f16 v1, v4;
	;;#ASMEND
	buffer_load_dword v4, off, s[0:3], s32 offset:644 ; 4-byte Folded Reload
	s_waitcnt vmcnt(0)
	v_and_b32_e32 v4, 0xffff, v4
	;;#ASMSTART
	v_cvt_f32_f16 v4, v4;
	;;#ASMEND
	buffer_load_dword v5, off, s[0:3], s32 offset:640 ; 4-byte Folded Reload
	v_fmac_f32_e32 v17, v0, v4
	v_and_b32_e32 v0, 0xffff, v2
	s_waitcnt vmcnt(0)
	v_and_b32_e32 v5, 0xffff, v5
	;;#ASMSTART
	v_cvt_f32_f16 v5, v5;
	;;#ASMEND
	v_fmac_f32_e32 v11, v1, v5
	v_lshrrev_b32_e32 v1, 16, v2
	;;#ASMSTART
	v_cvt_f32_f16 v0, v0;
	;;#ASMEND
	;;#ASMSTART
	v_cvt_f32_f16 v1, v1;
	;;#ASMEND
	buffer_load_dword v2, off, s[0:3], s32 offset:636 ; 4-byte Folded Reload
	s_waitcnt vmcnt(0)
	v_and_b32_e32 v2, 0xffff, v2
	;;#ASMSTART
	v_cvt_f32_f16 v2, v2;
	;;#ASMEND
	buffer_load_dword v4, off, s[0:3], s32 offset:632 ; 4-byte Folded Reload
	v_fmac_f32_e32 v22, v0, v2
	v_and_b32_e32 v0, 0xffff, v3
	s_waitcnt vmcnt(0)
	v_and_b32_e32 v4, 0xffff, v4
	;;#ASMSTART
	v_cvt_f32_f16 v4, v4;
	;;#ASMEND
	v_fmac_f32_e32 v18, v1, v4
	v_lshrrev_b32_e32 v1, 16, v3
	;;#ASMSTART
	v_cvt_f32_f16 v0, v0;
	;;#ASMEND
	;;#ASMSTART
	v_cvt_f32_f16 v1, v1;
	;;#ASMEND
	buffer_load_dword v2, off, s[0:3], s32 offset:628 ; 4-byte Folded Reload
	s_waitcnt vmcnt(0)
	v_and_b32_e32 v2, 0xffff, v2
	;;#ASMSTART
	v_cvt_f32_f16 v2, v2;
	;;#ASMEND
	buffer_load_dword v3, off, s[0:3], s32 offset:624 ; 4-byte Folded Reload
	v_fmac_f32_e32 v25, v0, v2
	s_waitcnt vmcnt(0)
	v_and_b32_e32 v3, 0xffff, v3
	;;#ASMSTART
	v_cvt_f32_f16 v3, v3;
	;;#ASMEND
	v_fmac_f32_e32 v24, v1, v3
	ds_read_b128 v[0:3], v9 offset:336
	s_waitcnt lgkmcnt(0)
	v_lshrrev_b32_e32 v4, 16, v0
	v_and_b32_e32 v0, 0xffff, v0
	;;#ASMSTART
	v_cvt_f32_f16 v0, v0;
	;;#ASMEND
	;;#ASMSTART
	v_cvt_f32_f16 v4, v4;
	;;#ASMEND
	buffer_load_dword v5, off, s[0:3], s32 offset:620 ; 4-byte Folded Reload
	s_waitcnt vmcnt(0)
	v_and_b32_e32 v5, 0xffff, v5
	;;#ASMSTART
	v_cvt_f32_f16 v5, v5;
	;;#ASMEND
	buffer_load_dword v7, off, s[0:3], s32 offset:616 ; 4-byte Folded Reload
	v_fmac_f32_e32 v6, v0, v5
	v_and_b32_e32 v0, 0xffff, v1
	s_waitcnt vmcnt(0)
	v_and_b32_e32 v7, 0xffff, v7
	;;#ASMSTART
	v_cvt_f32_f16 v7, v7;
	;;#ASMEND
	v_fmac_f32_e32 v10, v4, v7
	v_lshrrev_b32_e32 v4, 16, v1
	;;#ASMSTART
	v_cvt_f32_f16 v0, v0;
	;;#ASMEND
	;;#ASMSTART
	v_cvt_f32_f16 v1, v4;
	;;#ASMEND
	buffer_load_dword v4, off, s[0:3], s32 offset:612 ; 4-byte Folded Reload
	s_waitcnt vmcnt(0)
	v_and_b32_e32 v4, 0xffff, v4
	;;#ASMSTART
	v_cvt_f32_f16 v4, v4;
	;;#ASMEND
	buffer_load_dword v5, off, s[0:3], s32 offset:608 ; 4-byte Folded Reload
	v_fmac_f32_e32 v17, v0, v4
	v_and_b32_e32 v0, 0xffff, v2
	s_waitcnt vmcnt(0)
	v_and_b32_e32 v5, 0xffff, v5
	;;#ASMSTART
	v_cvt_f32_f16 v5, v5;
	;;#ASMEND
	v_fmac_f32_e32 v11, v1, v5
	v_lshrrev_b32_e32 v1, 16, v2
	;;#ASMSTART
	v_cvt_f32_f16 v0, v0;
	;;#ASMEND
	;;#ASMSTART
	v_cvt_f32_f16 v1, v1;
	;;#ASMEND
	buffer_load_dword v2, off, s[0:3], s32 offset:604 ; 4-byte Folded Reload
	s_waitcnt vmcnt(0)
	v_and_b32_e32 v2, 0xffff, v2
	;;#ASMSTART
	v_cvt_f32_f16 v2, v2;
	;;#ASMEND
	buffer_load_dword v4, off, s[0:3], s32 offset:600 ; 4-byte Folded Reload
	v_fmac_f32_e32 v22, v0, v2
	v_and_b32_e32 v0, 0xffff, v3
	s_waitcnt vmcnt(0)
	v_and_b32_e32 v4, 0xffff, v4
	;;#ASMSTART
	v_cvt_f32_f16 v4, v4;
	;;#ASMEND
	v_fmac_f32_e32 v18, v1, v4
	v_lshrrev_b32_e32 v1, 16, v3
	;;#ASMSTART
	v_cvt_f32_f16 v0, v0;
	;;#ASMEND
	;;#ASMSTART
	v_cvt_f32_f16 v1, v1;
	;;#ASMEND
	buffer_load_dword v2, off, s[0:3], s32 offset:596 ; 4-byte Folded Reload
	s_waitcnt vmcnt(0)
	v_and_b32_e32 v2, 0xffff, v2
	;;#ASMSTART
	v_cvt_f32_f16 v2, v2;
	;;#ASMEND
	buffer_load_dword v3, off, s[0:3], s32 offset:592 ; 4-byte Folded Reload
	v_fmac_f32_e32 v25, v0, v2
	s_waitcnt vmcnt(0)
	v_and_b32_e32 v3, 0xffff, v3
	;;#ASMSTART
	v_cvt_f32_f16 v3, v3;
	;;#ASMEND
	v_fmac_f32_e32 v24, v1, v3
	ds_read_b128 v[0:3], v9 offset:352
	s_waitcnt lgkmcnt(0)
	v_lshrrev_b32_e32 v4, 16, v0
	v_and_b32_e32 v0, 0xffff, v0
	;;#ASMSTART
	v_cvt_f32_f16 v0, v0;
	;;#ASMEND
	;;#ASMSTART
	v_cvt_f32_f16 v4, v4;
	;;#ASMEND
	buffer_load_dword v5, off, s[0:3], s32 offset:588 ; 4-byte Folded Reload
	s_waitcnt vmcnt(0)
	v_and_b32_e32 v5, 0xffff, v5
	;;#ASMSTART
	v_cvt_f32_f16 v5, v5;
	;;#ASMEND
	buffer_load_dword v7, off, s[0:3], s32 offset:584 ; 4-byte Folded Reload
	v_fmac_f32_e32 v6, v0, v5
	v_and_b32_e32 v0, 0xffff, v1
	s_waitcnt vmcnt(0)
	v_and_b32_e32 v7, 0xffff, v7
	;;#ASMSTART
	v_cvt_f32_f16 v7, v7;
	;;#ASMEND
	v_fmac_f32_e32 v10, v4, v7
	v_lshrrev_b32_e32 v4, 16, v1
	;;#ASMSTART
	v_cvt_f32_f16 v0, v0;
	;;#ASMEND
	;;#ASMSTART
	v_cvt_f32_f16 v1, v4;
	;;#ASMEND
	buffer_load_dword v4, off, s[0:3], s32 offset:580 ; 4-byte Folded Reload
	s_waitcnt vmcnt(0)
	v_and_b32_e32 v4, 0xffff, v4
	;;#ASMSTART
	v_cvt_f32_f16 v4, v4;
	;;#ASMEND
	buffer_load_dword v5, off, s[0:3], s32 offset:576 ; 4-byte Folded Reload
	v_fmac_f32_e32 v17, v0, v4
	v_and_b32_e32 v0, 0xffff, v2
	s_waitcnt vmcnt(0)
	v_and_b32_e32 v5, 0xffff, v5
	;;#ASMSTART
	v_cvt_f32_f16 v5, v5;
	;;#ASMEND
	v_fmac_f32_e32 v11, v1, v5
	v_lshrrev_b32_e32 v1, 16, v2
	;; [unrolled: 22-line block ×3, first 2 shown]
	;;#ASMSTART
	v_cvt_f32_f16 v0, v0;
	;;#ASMEND
	;;#ASMSTART
	v_cvt_f32_f16 v1, v1;
	;;#ASMEND
	buffer_load_dword v2, off, s[0:3], s32 offset:564 ; 4-byte Folded Reload
	s_waitcnt vmcnt(0)
	v_and_b32_e32 v2, 0xffff, v2
	;;#ASMSTART
	v_cvt_f32_f16 v2, v2;
	;;#ASMEND
	buffer_load_dword v3, off, s[0:3], s32 offset:560 ; 4-byte Folded Reload
	v_fmac_f32_e32 v25, v0, v2
	s_waitcnt vmcnt(0)
	v_and_b32_e32 v3, 0xffff, v3
	;;#ASMSTART
	v_cvt_f32_f16 v3, v3;
	;;#ASMEND
	v_fmac_f32_e32 v24, v1, v3
	ds_read_b128 v[0:3], v9 offset:368
	s_waitcnt lgkmcnt(0)
	v_lshrrev_b32_e32 v4, 16, v0
	v_and_b32_e32 v0, 0xffff, v0
	;;#ASMSTART
	v_cvt_f32_f16 v0, v0;
	;;#ASMEND
	;;#ASMSTART
	v_cvt_f32_f16 v4, v4;
	;;#ASMEND
	buffer_load_dword v5, off, s[0:3], s32 offset:248 ; 4-byte Folded Reload
	s_waitcnt vmcnt(0)
	v_and_b32_e32 v5, 0xffff, v5
	;;#ASMSTART
	v_cvt_f32_f16 v5, v5;
	;;#ASMEND
	buffer_load_dword v7, off, s[0:3], s32 offset:244 ; 4-byte Folded Reload
	v_fmac_f32_e32 v6, v0, v5
	v_and_b32_e32 v0, 0xffff, v1
	s_waitcnt vmcnt(0)
	v_and_b32_e32 v7, 0xffff, v7
	;;#ASMSTART
	v_cvt_f32_f16 v7, v7;
	;;#ASMEND
	v_fmac_f32_e32 v10, v4, v7
	v_lshrrev_b32_e32 v4, 16, v1
	;;#ASMSTART
	v_cvt_f32_f16 v0, v0;
	;;#ASMEND
	;;#ASMSTART
	v_cvt_f32_f16 v1, v4;
	;;#ASMEND
	buffer_load_dword v4, off, s[0:3], s32 offset:240 ; 4-byte Folded Reload
	s_waitcnt vmcnt(0)
	v_and_b32_e32 v4, 0xffff, v4
	;;#ASMSTART
	v_cvt_f32_f16 v4, v4;
	;;#ASMEND
	buffer_load_dword v5, off, s[0:3], s32 offset:236 ; 4-byte Folded Reload
	v_fmac_f32_e32 v17, v0, v4
	v_and_b32_e32 v0, 0xffff, v2
	s_waitcnt vmcnt(0)
	v_and_b32_e32 v5, 0xffff, v5
	;;#ASMSTART
	v_cvt_f32_f16 v5, v5;
	;;#ASMEND
	v_fmac_f32_e32 v11, v1, v5
	v_lshrrev_b32_e32 v1, 16, v2
	;; [unrolled: 22-line block ×3, first 2 shown]
	;;#ASMSTART
	v_cvt_f32_f16 v0, v0;
	;;#ASMEND
	;;#ASMSTART
	v_cvt_f32_f16 v1, v1;
	;;#ASMEND
	buffer_load_dword v2, off, s[0:3], s32 offset:224 ; 4-byte Folded Reload
	v_and_b32_e32 v3, 0xffff, v83
	s_waitcnt vmcnt(0)
	v_and_b32_e32 v2, 0xffff, v2
	;;#ASMSTART
	v_cvt_f32_f16 v2, v2;
	;;#ASMEND
	;;#ASMSTART
	v_cvt_f32_f16 v3, v3;
	;;#ASMEND
	v_fmac_f32_e32 v24, v1, v3
	buffer_load_dword v1, off, s[0:3], s32 offset:892 ; 4-byte Folded Reload
	v_fmac_f32_e32 v25, v0, v2
	v_add_f32_e32 v0, v6, v10
	buffer_load_dword v13, off, s[0:3], s32 offset:556 ; 4-byte Folded Reload
	v_add_f32_e32 v0, v0, v17
	v_add_f32_e32 v0, v11, v0
	;; [unrolled: 1-line block ×6, first 2 shown]
	s_waitcnt vmcnt(1)
	v_fmac_f32_e32 v12, v1, v0
	buffer_load_dword v1, off, s[0:3], s32 offset:220 ; 4-byte Folded Reload
	v_cndmask_b32_e64 v0, 0, v12, s5
	s_waitcnt vmcnt(0)
	ds_write_b32 v1, v0
	v_max_f32_e32 v0, v13, v13
	v_max_f32_e32 v0, v0, v12
	v_cndmask_b32_e64 v13, v13, v0, s5
.LBB312_15:                             ;   in Loop: Header=BB312_16 Depth=1
	s_or_b32 exec_lo, exec_lo, s6
	buffer_load_dword v0, off, s[0:3], s32 offset:208 ; 4-byte Folded Reload
	v_add_nc_u32_e32 v82, 4, v82
	v_add_co_u32 v20, s6, v20, 16
	v_add_co_ci_u32_e64 v21, null, 0, v21, s6
	v_add_nc_u32_e32 v66, 0x80, v66
	v_add_nc_u32_e32 v122, 0x200, v122
	s_waitcnt vmcnt(0)
	v_cmp_ge_i32_e64 s5, v82, v0
	s_or_b32 s24, s5, s24
	s_andn2_b32 exec_lo, exec_lo, s24
	s_cbranch_execz .LBB312_1552
.LBB312_16:                             ; =>This Inner Loop Header: Depth=1
	s_clause 0x2
	buffer_load_dword v1, off, s[0:3], s32 offset:212
	buffer_load_dword v4, off, s[0:3], s32 offset:540
	buffer_load_dword v5, off, s[0:3], s32 offset:544
	v_sub_nc_u32_e32 v0, 0, v66
	v_max_i32_e32 v0, v66, v0
	s_waitcnt vmcnt(2)
	v_mul_hi_u32 v1, v0, v1
	s_waitcnt vmcnt(1)
	v_mul_lo_u32 v2, v1, v4
	v_sub_nc_u32_e32 v0, v0, v2
	v_add_nc_u32_e32 v2, 1, v1
	v_sub_nc_u32_e32 v3, v0, v4
	v_cmp_ge_u32_e64 s5, v0, v4
	v_cndmask_b32_e64 v1, v1, v2, s5
	v_cndmask_b32_e64 v0, v0, v3, s5
	v_ashrrev_i32_e32 v2, 31, v66
	v_add_nc_u32_e32 v3, 1, v1
	v_cmp_ge_u32_e64 s5, v0, v4
	s_waitcnt vmcnt(0)
	v_xor_b32_e32 v2, v2, v5
	v_cndmask_b32_e64 v0, v1, v3, s5
	v_xor_b32_e32 v0, v0, v2
	v_sub_nc_u32_e32 v0, v0, v2
	s_clause 0x3
	buffer_load_dword v1, off, s[0:3], s32 offset:200
	buffer_load_dword v2, off, s[0:3], s32 offset:204
	;; [unrolled: 1-line block ×4, first 2 shown]
	s_waitcnt vmcnt(3)
	v_add_nc_u32_e32 v1, v0, v1
	s_waitcnt vmcnt(2)
	v_sub_nc_u32_e32 v2, 0, v1
	v_max_i32_e32 v2, v1, v2
	v_ashrrev_i32_e32 v1, 31, v1
	s_waitcnt vmcnt(1)
	v_mul_hi_u32 v3, v2, v3
	s_waitcnt vmcnt(0)
	v_mul_lo_u32 v3, v3, v4
	v_sub_nc_u32_e32 v2, v2, v3
	v_sub_nc_u32_e32 v3, v2, v4
	v_cmp_ge_u32_e64 s5, v2, v4
	v_cndmask_b32_e64 v2, v2, v3, s5
	v_sub_nc_u32_e32 v3, v2, v4
	v_cmp_ge_u32_e64 s5, v2, v4
	v_cndmask_b32_e64 v2, v2, v3, s5
	v_xor_b32_e32 v2, v2, v1
	v_sub_nc_u32_e32 v1, v2, v1
	v_cmp_ne_u32_e64 s5, 0, v1
	buffer_load_dword v1, off, s[0:3], s32 offset:216 ; 4-byte Folded Reload
	s_waitcnt vmcnt(0)
	v_cmp_le_i32_e64 s6, v0, v1
	s_and_b32 s5, s5, s6
	s_and_saveexec_b32 s6, s5
	s_xor_b32 s5, exec_lo, s6
	s_cbranch_execz .LBB312_18
; %bb.17:                               ;   in Loop: Header=BB312_16 Depth=1
	s_waitcnt lgkmcnt(0)
	v_add_nc_u32_e32 v0, s17, v122
	v_mov_b32_e32 v1, 0xff7fffff
	ds_write_b32 v0, v1
.LBB312_18:                             ;   in Loop: Header=BB312_16 Depth=1
	s_andn2_saveexec_b32 s6, s5
	s_cbranch_execz .LBB312_15
; %bb.19:                               ;   in Loop: Header=BB312_16 Depth=1
	buffer_store_dword v13, off, s[0:3], s32 offset:556 ; 4-byte Folded Spill
	flat_load_dword v0, v[20:21]
	s_clause 0x2
	buffer_load_dword v1, off, s[0:3], s32 offset:900
	buffer_load_dword v2, off, s[0:3], s32 offset:904
	;; [unrolled: 1-line block ×3, first 2 shown]
	v_mov_b32_e32 v101, 0
	s_waitcnt vmcnt(0) lgkmcnt(0)
	v_mad_i64_i32 v[28:29], null, v0, v1, v[2:3]
	flat_load_dwordx2 v[31:32], v[28:29]
	s_clause 0x1
	buffer_load_dword v0, off, s[0:3], s32 offset:884
	buffer_load_dword v1, off, s[0:3], s32 offset:888
	s_waitcnt vmcnt(2) lgkmcnt(0)
	v_cmp_ne_u16_sdwa s5, v31, v9 src0_sel:BYTE_0 src1_sel:DWORD
	s_waitcnt vmcnt(0)
	flat_load_dword v83, v[0:1]
	v_mov_b32_e32 v0, 0
	buffer_store_dword v0, off, s[0:3], s32 offset:220 ; 4-byte Folded Spill
	s_and_saveexec_b32 s25, s5
	s_cbranch_execz .LBB312_27
; %bb.20:                               ;   in Loop: Header=BB312_16 Depth=1
	v_cmp_ne_u16_sdwa s5, v31, v68 src0_sel:BYTE_0 src1_sel:DWORD
	v_mov_b32_e32 v101, 0x8000
	s_and_saveexec_b32 s26, s5
	s_cbranch_execz .LBB312_26
; %bb.21:                               ;   in Loop: Header=BB312_16 Depth=1
	v_and_b32_e32 v2, 0x7f, v31
	v_mov_b32_e32 v101, 0x7c01
	s_mov_b32 s27, exec_lo
	v_cmpx_ne_u32_e32 0x7f, v2
	s_cbranch_execz .LBB312_25
; %bb.22:                               ;   in Loop: Header=BB312_16 Depth=1
	v_and_b32_e32 v0, 7, v31
	v_lshrrev_b32_e32 v1, 3, v2
	s_mov_b32 s28, exec_lo
	v_cmpx_gt_u32_e32 8, v2
; %bb.23:                               ;   in Loop: Header=BB312_16 Depth=1
	v_ffbh_u32_e32 v0, v0
	v_min_u32_e32 v2, 32, v0
	v_subrev_nc_u32_e32 v0, 28, v2
	v_lshlrev_b64 v[0:1], v0, v[31:32]
	v_sub_nc_u32_e32 v1, 29, v2
	v_and_b32_e32 v0, 7, v0
; %bb.24:                               ;   in Loop: Header=BB312_16 Depth=1
	s_or_b32 exec_lo, exec_lo, s28
	v_lshlrev_b32_e32 v2, 8, v31
	v_lshl_add_u32 v1, v1, 10, 0x2000
	v_lshlrev_b32_e32 v0, 7, v0
	v_and_b32_e32 v2, 0x8000, v2
	v_and_b32_e32 v1, 0xfc00, v1
	v_or3_b32 v101, v2, v1, v0
.LBB312_25:                             ;   in Loop: Header=BB312_16 Depth=1
	s_or_b32 exec_lo, exec_lo, s27
.LBB312_26:                             ;   in Loop: Header=BB312_16 Depth=1
	s_or_b32 exec_lo, exec_lo, s26
.LBB312_27:                             ;   in Loop: Header=BB312_16 Depth=1
	s_or_b32 exec_lo, exec_lo, s25
	v_lshrrev_b16 v8, 8, v31
	s_mov_b32 s25, exec_lo
	v_cmpx_ne_u16_e32 0, v8
	s_cbranch_execz .LBB312_35
; %bb.28:                               ;   in Loop: Header=BB312_16 Depth=1
	v_bfrev_b32_e32 v0, 1
	s_mov_b32 s26, exec_lo
	buffer_store_dword v0, off, s[0:3], s32 offset:220 ; 4-byte Folded Spill
	v_cmpx_ne_u16_e32 0x80, v8
	s_cbranch_execz .LBB312_34
; %bb.29:                               ;   in Loop: Header=BB312_16 Depth=1
	v_mov_b32_e32 v0, 0x7f
	s_mov_b32 s27, exec_lo
	v_and_b32_sdwa v2, v8, v0 dst_sel:DWORD dst_unused:UNUSED_PAD src0_sel:WORD_0 src1_sel:DWORD
	v_mov_b32_e32 v0, 0x7c010000
	buffer_store_dword v0, off, s[0:3], s32 offset:220 ; 4-byte Folded Spill
	v_cmpx_ne_u32_e32 0x7f, v2
	s_cbranch_execz .LBB312_33
; %bb.30:                               ;   in Loop: Header=BB312_16 Depth=1
	v_mov_b32_e32 v0, 7
	v_lshrrev_b32_e32 v1, 3, v2
	s_mov_b32 s28, exec_lo
	v_and_b32_sdwa v0, v8, v0 dst_sel:DWORD dst_unused:UNUSED_PAD src0_sel:WORD_0 src1_sel:DWORD
	v_cmpx_gt_u32_e32 8, v2
; %bb.31:                               ;   in Loop: Header=BB312_16 Depth=1
	v_ffbh_u32_e32 v0, v0
	v_min_u32_e32 v2, 32, v0
	v_subrev_nc_u32_e32 v0, 28, v2
	v_lshlrev_b64 v[0:1], v0, v[8:9]
	v_sub_nc_u32_e32 v1, 29, v2
	v_and_b32_e32 v0, 7, v0
; %bb.32:                               ;   in Loop: Header=BB312_16 Depth=1
	s_or_b32 exec_lo, exec_lo, s28
	v_mov_b32_e32 v2, 8
	v_lshl_add_u32 v1, v1, 10, 0x2000
	v_lshlrev_b32_e32 v0, 23, v0
	v_lshlrev_b32_sdwa v2, v2, v8 dst_sel:DWORD dst_unused:UNUSED_PAD src0_sel:DWORD src1_sel:WORD_0
	v_and_or_b32 v1, 0x8000, v2, v1
	v_lshl_or_b32 v0, v1, 16, v0
	buffer_store_dword v0, off, s[0:3], s32 offset:220 ; 4-byte Folded Spill
.LBB312_33:                             ;   in Loop: Header=BB312_16 Depth=1
	s_or_b32 exec_lo, exec_lo, s27
.LBB312_34:                             ;   in Loop: Header=BB312_16 Depth=1
	s_or_b32 exec_lo, exec_lo, s26
.LBB312_35:                             ;   in Loop: Header=BB312_16 Depth=1
	s_or_b32 exec_lo, exec_lo, s25
	v_lshrrev_b32_e32 v8, 16, v31
	v_mov_b32_e32 v72, 0
	v_mov_b32_e32 v0, 0
	v_cmp_ne_u16_sdwa s5, v8, v9 src0_sel:BYTE_0 src1_sel:DWORD
	buffer_store_dword v0, off, s[0:3], s32 offset:224 ; 4-byte Folded Spill
	s_and_saveexec_b32 s25, s5
	s_cbranch_execz .LBB312_43
; %bb.36:                               ;   in Loop: Header=BB312_16 Depth=1
	v_cmp_ne_u16_sdwa s5, v8, v68 src0_sel:BYTE_0 src1_sel:DWORD
	v_mov_b32_e32 v0, 0x8000
	buffer_store_dword v0, off, s[0:3], s32 offset:224 ; 4-byte Folded Spill
	s_and_saveexec_b32 s26, s5
	s_cbranch_execz .LBB312_42
; %bb.37:                               ;   in Loop: Header=BB312_16 Depth=1
	v_bfe_u32 v2, v31, 16, 7
	v_mov_b32_e32 v0, 0x7c01
	s_mov_b32 s27, exec_lo
	buffer_store_dword v0, off, s[0:3], s32 offset:224 ; 4-byte Folded Spill
	v_cmpx_ne_u32_e32 0x7f, v2
	s_cbranch_execz .LBB312_41
; %bb.38:                               ;   in Loop: Header=BB312_16 Depth=1
	v_and_b32_e32 v0, 7, v8
	v_lshrrev_b32_e32 v1, 3, v2
	s_mov_b32 s28, exec_lo
	v_cmpx_gt_u32_e32 8, v2
; %bb.39:                               ;   in Loop: Header=BB312_16 Depth=1
	v_ffbh_u32_e32 v0, v0
	v_min_u32_e32 v2, 32, v0
	v_subrev_nc_u32_e32 v0, 28, v2
	v_lshlrev_b64 v[0:1], v0, v[8:9]
	v_sub_nc_u32_e32 v1, 29, v2
	v_and_b32_e32 v0, 7, v0
; %bb.40:                               ;   in Loop: Header=BB312_16 Depth=1
	s_or_b32 exec_lo, exec_lo, s28
	v_lshlrev_b32_e32 v2, 8, v8
	v_lshl_add_u32 v1, v1, 10, 0x2000
	v_lshlrev_b32_e32 v0, 7, v0
	v_and_b32_e32 v2, 0x8000, v2
	v_and_b32_e32 v1, 0xfc00, v1
	v_or3_b32 v0, v2, v1, v0
	buffer_store_dword v0, off, s[0:3], s32 offset:224 ; 4-byte Folded Spill
.LBB312_41:                             ;   in Loop: Header=BB312_16 Depth=1
	s_or_b32 exec_lo, exec_lo, s27
.LBB312_42:                             ;   in Loop: Header=BB312_16 Depth=1
	s_or_b32 exec_lo, exec_lo, s26
.LBB312_43:                             ;   in Loop: Header=BB312_16 Depth=1
	s_or_b32 exec_lo, exec_lo, s25
	s_mov_b32 s25, exec_lo
	v_cmpx_lt_u32_e32 0xffffff, v31
	s_cbranch_execz .LBB312_51
; %bb.44:                               ;   in Loop: Header=BB312_16 Depth=1
	v_lshrrev_b32_e32 v8, 24, v31
	v_bfrev_b32_e32 v72, 1
	s_mov_b32 s26, exec_lo
	v_cmpx_ne_u32_e32 0x80, v8
	s_cbranch_execz .LBB312_50
; %bb.45:                               ;   in Loop: Header=BB312_16 Depth=1
	v_and_b32_e32 v2, 0x7f, v8
	v_mov_b32_e32 v72, 0x7c010000
	s_mov_b32 s27, exec_lo
	v_cmpx_ne_u32_e32 0x7f, v2
	s_cbranch_execz .LBB312_49
; %bb.46:                               ;   in Loop: Header=BB312_16 Depth=1
	v_and_b32_e32 v0, 7, v8
	v_lshrrev_b32_e32 v1, 3, v2
	s_mov_b32 s28, exec_lo
	v_cmpx_gt_u32_e32 8, v2
; %bb.47:                               ;   in Loop: Header=BB312_16 Depth=1
	v_ffbh_u32_e32 v0, v0
	v_min_u32_e32 v2, 32, v0
	v_subrev_nc_u32_e32 v0, 28, v2
	v_lshlrev_b64 v[0:1], v0, v[8:9]
	v_sub_nc_u32_e32 v1, 29, v2
	v_and_b32_e32 v0, 7, v0
; %bb.48:                               ;   in Loop: Header=BB312_16 Depth=1
	s_or_b32 exec_lo, exec_lo, s28
	v_lshlrev_b32_e32 v2, 8, v8
	v_lshl_add_u32 v1, v1, 10, 0x2000
	v_lshlrev_b32_e32 v0, 23, v0
	v_and_or_b32 v1, 0x8000, v2, v1
	v_lshl_or_b32 v72, v1, 16, v0
.LBB312_49:                             ;   in Loop: Header=BB312_16 Depth=1
	s_or_b32 exec_lo, exec_lo, s27
.LBB312_50:                             ;   in Loop: Header=BB312_16 Depth=1
	s_or_b32 exec_lo, exec_lo, s26
.LBB312_51:                             ;   in Loop: Header=BB312_16 Depth=1
	s_or_b32 exec_lo, exec_lo, s25
	v_mov_b32_e32 v0, 0
	v_mov_b32_e32 v8, v32
	v_cmp_ne_u16_sdwa s5, v32, v9 src0_sel:BYTE_0 src1_sel:DWORD
	buffer_store_dword v0, off, s[0:3], s32 offset:228 ; 4-byte Folded Spill
	v_mov_b32_e32 v0, 0
	buffer_store_dword v0, off, s[0:3], s32 offset:232 ; 4-byte Folded Spill
	s_and_saveexec_b32 s25, s5
	s_cbranch_execz .LBB312_59
; %bb.52:                               ;   in Loop: Header=BB312_16 Depth=1
	v_cmp_ne_u16_sdwa s5, v32, v68 src0_sel:BYTE_0 src1_sel:DWORD
	v_mov_b32_e32 v0, 0x8000
	buffer_store_dword v0, off, s[0:3], s32 offset:232 ; 4-byte Folded Spill
	s_and_saveexec_b32 s26, s5
	s_cbranch_execz .LBB312_58
; %bb.53:                               ;   in Loop: Header=BB312_16 Depth=1
	v_and_b32_e32 v2, 0x7f, v32
	v_mov_b32_e32 v0, 0x7c01
	s_mov_b32 s27, exec_lo
	buffer_store_dword v0, off, s[0:3], s32 offset:232 ; 4-byte Folded Spill
	v_cmpx_ne_u32_e32 0x7f, v2
	s_cbranch_execz .LBB312_57
; %bb.54:                               ;   in Loop: Header=BB312_16 Depth=1
	v_and_b32_e32 v0, 7, v32
	v_lshrrev_b32_e32 v1, 3, v2
	s_mov_b32 s28, exec_lo
	v_cmpx_gt_u32_e32 8, v2
; %bb.55:                               ;   in Loop: Header=BB312_16 Depth=1
	v_ffbh_u32_e32 v0, v0
	v_min_u32_e32 v2, 32, v0
	v_subrev_nc_u32_e32 v0, 28, v2
	v_lshlrev_b64 v[0:1], v0, v[8:9]
	v_sub_nc_u32_e32 v1, 29, v2
	v_and_b32_e32 v0, 7, v0
; %bb.56:                               ;   in Loop: Header=BB312_16 Depth=1
	s_or_b32 exec_lo, exec_lo, s28
	v_lshlrev_b32_e32 v2, 8, v32
	v_lshl_add_u32 v1, v1, 10, 0x2000
	v_lshlrev_b32_e32 v0, 7, v0
	v_and_b32_e32 v2, 0x8000, v2
	v_and_b32_e32 v1, 0xfc00, v1
	v_or3_b32 v0, v2, v1, v0
	buffer_store_dword v0, off, s[0:3], s32 offset:232 ; 4-byte Folded Spill
.LBB312_57:                             ;   in Loop: Header=BB312_16 Depth=1
	s_or_b32 exec_lo, exec_lo, s27
.LBB312_58:                             ;   in Loop: Header=BB312_16 Depth=1
	s_or_b32 exec_lo, exec_lo, s26
.LBB312_59:                             ;   in Loop: Header=BB312_16 Depth=1
	s_or_b32 exec_lo, exec_lo, s25
	v_lshrrev_b16 v8, 8, v8
	v_mov_b32_e32 v0, 0
	s_mov_b32 s25, exec_lo
	buffer_store_dword v0, off, s[0:3], s32 offset:236 ; 4-byte Folded Spill
	v_cmpx_ne_u16_e32 0, v8
	s_cbranch_execz .LBB312_67
; %bb.60:                               ;   in Loop: Header=BB312_16 Depth=1
	v_bfrev_b32_e32 v0, 1
	s_mov_b32 s26, exec_lo
	buffer_store_dword v0, off, s[0:3], s32 offset:236 ; 4-byte Folded Spill
	v_cmpx_ne_u16_e32 0x80, v8
	s_cbranch_execz .LBB312_66
; %bb.61:                               ;   in Loop: Header=BB312_16 Depth=1
	v_mov_b32_e32 v0, 0x7f
	s_mov_b32 s27, exec_lo
	v_and_b32_sdwa v2, v8, v0 dst_sel:DWORD dst_unused:UNUSED_PAD src0_sel:WORD_0 src1_sel:DWORD
	v_mov_b32_e32 v0, 0x7c010000
	buffer_store_dword v0, off, s[0:3], s32 offset:236 ; 4-byte Folded Spill
	v_cmpx_ne_u32_e32 0x7f, v2
	s_cbranch_execz .LBB312_65
; %bb.62:                               ;   in Loop: Header=BB312_16 Depth=1
	v_mov_b32_e32 v0, 7
	v_lshrrev_b32_e32 v1, 3, v2
	s_mov_b32 s28, exec_lo
	v_and_b32_sdwa v0, v8, v0 dst_sel:DWORD dst_unused:UNUSED_PAD src0_sel:WORD_0 src1_sel:DWORD
	v_cmpx_gt_u32_e32 8, v2
; %bb.63:                               ;   in Loop: Header=BB312_16 Depth=1
	v_ffbh_u32_e32 v0, v0
	v_min_u32_e32 v2, 32, v0
	v_subrev_nc_u32_e32 v0, 28, v2
	v_lshlrev_b64 v[0:1], v0, v[8:9]
	v_sub_nc_u32_e32 v1, 29, v2
	v_and_b32_e32 v0, 7, v0
; %bb.64:                               ;   in Loop: Header=BB312_16 Depth=1
	s_or_b32 exec_lo, exec_lo, s28
	v_mov_b32_e32 v2, 8
	v_lshl_add_u32 v1, v1, 10, 0x2000
	v_lshlrev_b32_e32 v0, 23, v0
	v_lshlrev_b32_sdwa v2, v2, v8 dst_sel:DWORD dst_unused:UNUSED_PAD src0_sel:DWORD src1_sel:WORD_0
	v_and_or_b32 v1, 0x8000, v2, v1
	v_lshl_or_b32 v0, v1, 16, v0
	buffer_store_dword v0, off, s[0:3], s32 offset:236 ; 4-byte Folded Spill
.LBB312_65:                             ;   in Loop: Header=BB312_16 Depth=1
	s_or_b32 exec_lo, exec_lo, s27
.LBB312_66:                             ;   in Loop: Header=BB312_16 Depth=1
	s_or_b32 exec_lo, exec_lo, s26
.LBB312_67:                             ;   in Loop: Header=BB312_16 Depth=1
	s_or_b32 exec_lo, exec_lo, s25
	v_lshrrev_b32_e32 v8, 16, v32
	v_cmp_ne_u16_sdwa s5, v8, v9 src0_sel:BYTE_0 src1_sel:DWORD
	s_and_saveexec_b32 s25, s5
	s_cbranch_execz .LBB312_75
; %bb.68:                               ;   in Loop: Header=BB312_16 Depth=1
	v_cmp_ne_u16_sdwa s5, v8, v68 src0_sel:BYTE_0 src1_sel:DWORD
	v_mov_b32_e32 v0, 0x8000
	buffer_store_dword v0, off, s[0:3], s32 offset:228 ; 4-byte Folded Spill
	s_and_saveexec_b32 s26, s5
	s_cbranch_execz .LBB312_74
; %bb.69:                               ;   in Loop: Header=BB312_16 Depth=1
	v_bfe_u32 v2, v32, 16, 7
	v_mov_b32_e32 v0, 0x7c01
	s_mov_b32 s27, exec_lo
	buffer_store_dword v0, off, s[0:3], s32 offset:228 ; 4-byte Folded Spill
	v_cmpx_ne_u32_e32 0x7f, v2
	s_cbranch_execz .LBB312_73
; %bb.70:                               ;   in Loop: Header=BB312_16 Depth=1
	v_and_b32_e32 v0, 7, v8
	v_lshrrev_b32_e32 v1, 3, v2
	s_mov_b32 s28, exec_lo
	v_cmpx_gt_u32_e32 8, v2
; %bb.71:                               ;   in Loop: Header=BB312_16 Depth=1
	v_ffbh_u32_e32 v0, v0
	v_min_u32_e32 v2, 32, v0
	v_subrev_nc_u32_e32 v0, 28, v2
	v_lshlrev_b64 v[0:1], v0, v[8:9]
	v_sub_nc_u32_e32 v1, 29, v2
	v_and_b32_e32 v0, 7, v0
; %bb.72:                               ;   in Loop: Header=BB312_16 Depth=1
	s_or_b32 exec_lo, exec_lo, s28
	v_lshlrev_b32_e32 v2, 8, v8
	v_lshl_add_u32 v1, v1, 10, 0x2000
	v_lshlrev_b32_e32 v0, 7, v0
	v_and_b32_e32 v2, 0x8000, v2
	v_and_b32_e32 v1, 0xfc00, v1
	v_or3_b32 v0, v2, v1, v0
	buffer_store_dword v0, off, s[0:3], s32 offset:228 ; 4-byte Folded Spill
.LBB312_73:                             ;   in Loop: Header=BB312_16 Depth=1
	s_or_b32 exec_lo, exec_lo, s27
.LBB312_74:                             ;   in Loop: Header=BB312_16 Depth=1
	s_or_b32 exec_lo, exec_lo, s26
.LBB312_75:                             ;   in Loop: Header=BB312_16 Depth=1
	s_or_b32 exec_lo, exec_lo, s25
	v_mov_b32_e32 v0, 0
	s_mov_b32 s25, exec_lo
	buffer_store_dword v0, off, s[0:3], s32 offset:240 ; 4-byte Folded Spill
	v_mov_b32_e32 v0, 0
	buffer_store_dword v0, off, s[0:3], s32 offset:508 ; 4-byte Folded Spill
	v_cmpx_lt_u64_e64 s[20:21], v[31:32]
	s_cbranch_execz .LBB312_83
; %bb.76:                               ;   in Loop: Header=BB312_16 Depth=1
	v_lshrrev_b32_e32 v8, 24, v32
	v_bfrev_b32_e32 v0, 1
	s_mov_b32 s26, exec_lo
	v_cmpx_ne_u32_e32 0x80, v8
	s_cbranch_execz .LBB312_82
; %bb.77:                               ;   in Loop: Header=BB312_16 Depth=1
	v_and_b32_e32 v2, 0x7f, v8
	v_mov_b32_e32 v0, 0x7c010000
	s_mov_b32 s27, exec_lo
	v_cmpx_ne_u32_e32 0x7f, v2
	s_cbranch_execz .LBB312_81
; %bb.78:                               ;   in Loop: Header=BB312_16 Depth=1
	v_and_b32_e32 v0, 7, v8
	v_lshrrev_b32_e32 v1, 3, v2
	s_mov_b32 s28, exec_lo
	v_cmpx_gt_u32_e32 8, v2
; %bb.79:                               ;   in Loop: Header=BB312_16 Depth=1
	v_ffbh_u32_e32 v0, v0
	v_min_u32_e32 v2, 32, v0
	v_subrev_nc_u32_e32 v0, 28, v2
	v_lshlrev_b64 v[0:1], v0, v[8:9]
	v_sub_nc_u32_e32 v1, 29, v2
	v_and_b32_e32 v0, 7, v0
; %bb.80:                               ;   in Loop: Header=BB312_16 Depth=1
	s_or_b32 exec_lo, exec_lo, s28
	v_lshlrev_b32_e32 v2, 8, v8
	v_lshl_add_u32 v1, v1, 10, 0x2000
	v_lshlrev_b32_e32 v0, 23, v0
	v_and_or_b32 v1, 0x8000, v2, v1
	v_lshl_or_b32 v0, v1, 16, v0
.LBB312_81:                             ;   in Loop: Header=BB312_16 Depth=1
	s_or_b32 exec_lo, exec_lo, s27
.LBB312_82:                             ;   in Loop: Header=BB312_16 Depth=1
	s_or_b32 exec_lo, exec_lo, s26
	buffer_store_dword v0, off, s[0:3], s32 offset:508 ; 4-byte Folded Spill
.LBB312_83:                             ;   in Loop: Header=BB312_16 Depth=1
	s_or_b32 exec_lo, exec_lo, s25
	flat_load_dwordx2 v[31:32], v[28:29] offset:8
	s_waitcnt vmcnt(0) lgkmcnt(0)
	v_cmp_ne_u16_sdwa s5, v31, v9 src0_sel:BYTE_0 src1_sel:DWORD
	s_and_saveexec_b32 s25, s5
	s_cbranch_execz .LBB312_91
; %bb.84:                               ;   in Loop: Header=BB312_16 Depth=1
	v_cmp_ne_u16_sdwa s5, v31, v68 src0_sel:BYTE_0 src1_sel:DWORD
	v_mov_b32_e32 v0, 0x8000
	buffer_store_dword v0, off, s[0:3], s32 offset:240 ; 4-byte Folded Spill
	s_and_saveexec_b32 s26, s5
	s_cbranch_execz .LBB312_90
; %bb.85:                               ;   in Loop: Header=BB312_16 Depth=1
	v_and_b32_e32 v2, 0x7f, v31
	v_mov_b32_e32 v0, 0x7c01
	s_mov_b32 s27, exec_lo
	buffer_store_dword v0, off, s[0:3], s32 offset:240 ; 4-byte Folded Spill
	v_cmpx_ne_u32_e32 0x7f, v2
	s_cbranch_execz .LBB312_89
; %bb.86:                               ;   in Loop: Header=BB312_16 Depth=1
	v_and_b32_e32 v0, 7, v31
	v_lshrrev_b32_e32 v1, 3, v2
	s_mov_b32 s28, exec_lo
	v_cmpx_gt_u32_e32 8, v2
; %bb.87:                               ;   in Loop: Header=BB312_16 Depth=1
	v_ffbh_u32_e32 v0, v0
	v_min_u32_e32 v2, 32, v0
	v_subrev_nc_u32_e32 v0, 28, v2
	v_lshlrev_b64 v[0:1], v0, v[31:32]
	v_sub_nc_u32_e32 v1, 29, v2
	v_and_b32_e32 v0, 7, v0
; %bb.88:                               ;   in Loop: Header=BB312_16 Depth=1
	s_or_b32 exec_lo, exec_lo, s28
	v_lshlrev_b32_e32 v2, 8, v31
	v_lshl_add_u32 v1, v1, 10, 0x2000
	v_lshlrev_b32_e32 v0, 7, v0
	v_and_b32_e32 v2, 0x8000, v2
	v_and_b32_e32 v1, 0xfc00, v1
	v_or3_b32 v0, v2, v1, v0
	buffer_store_dword v0, off, s[0:3], s32 offset:240 ; 4-byte Folded Spill
.LBB312_89:                             ;   in Loop: Header=BB312_16 Depth=1
	s_or_b32 exec_lo, exec_lo, s27
.LBB312_90:                             ;   in Loop: Header=BB312_16 Depth=1
	s_or_b32 exec_lo, exec_lo, s26
.LBB312_91:                             ;   in Loop: Header=BB312_16 Depth=1
	s_or_b32 exec_lo, exec_lo, s25
	v_mov_b32_e32 v0, 0
	v_lshrrev_b16 v8, 8, v31
	s_mov_b32 s25, exec_lo
	buffer_store_dword v0, off, s[0:3], s32 offset:248 ; 4-byte Folded Spill
	v_mov_b32_e32 v0, 0
	buffer_store_dword v0, off, s[0:3], s32 offset:244 ; 4-byte Folded Spill
	v_cmpx_ne_u16_e32 0, v8
	s_cbranch_execz .LBB312_99
; %bb.92:                               ;   in Loop: Header=BB312_16 Depth=1
	v_bfrev_b32_e32 v0, 1
	s_mov_b32 s26, exec_lo
	buffer_store_dword v0, off, s[0:3], s32 offset:244 ; 4-byte Folded Spill
	v_cmpx_ne_u16_e32 0x80, v8
	s_cbranch_execz .LBB312_98
; %bb.93:                               ;   in Loop: Header=BB312_16 Depth=1
	v_mov_b32_e32 v0, 0x7f
	s_mov_b32 s27, exec_lo
	v_and_b32_sdwa v2, v8, v0 dst_sel:DWORD dst_unused:UNUSED_PAD src0_sel:WORD_0 src1_sel:DWORD
	v_mov_b32_e32 v0, 0x7c010000
	buffer_store_dword v0, off, s[0:3], s32 offset:244 ; 4-byte Folded Spill
	v_cmpx_ne_u32_e32 0x7f, v2
	s_cbranch_execz .LBB312_97
; %bb.94:                               ;   in Loop: Header=BB312_16 Depth=1
	v_mov_b32_e32 v0, 7
	v_lshrrev_b32_e32 v1, 3, v2
	s_mov_b32 s28, exec_lo
	v_and_b32_sdwa v0, v8, v0 dst_sel:DWORD dst_unused:UNUSED_PAD src0_sel:WORD_0 src1_sel:DWORD
	v_cmpx_gt_u32_e32 8, v2
; %bb.95:                               ;   in Loop: Header=BB312_16 Depth=1
	v_ffbh_u32_e32 v0, v0
	v_min_u32_e32 v2, 32, v0
	v_subrev_nc_u32_e32 v0, 28, v2
	v_lshlrev_b64 v[0:1], v0, v[8:9]
	v_sub_nc_u32_e32 v1, 29, v2
	v_and_b32_e32 v0, 7, v0
; %bb.96:                               ;   in Loop: Header=BB312_16 Depth=1
	s_or_b32 exec_lo, exec_lo, s28
	v_mov_b32_e32 v2, 8
	v_lshl_add_u32 v1, v1, 10, 0x2000
	v_lshlrev_b32_e32 v0, 23, v0
	v_lshlrev_b32_sdwa v2, v2, v8 dst_sel:DWORD dst_unused:UNUSED_PAD src0_sel:DWORD src1_sel:WORD_0
	v_and_or_b32 v1, 0x8000, v2, v1
	v_lshl_or_b32 v0, v1, 16, v0
	buffer_store_dword v0, off, s[0:3], s32 offset:244 ; 4-byte Folded Spill
.LBB312_97:                             ;   in Loop: Header=BB312_16 Depth=1
	s_or_b32 exec_lo, exec_lo, s27
.LBB312_98:                             ;   in Loop: Header=BB312_16 Depth=1
	s_or_b32 exec_lo, exec_lo, s26
.LBB312_99:                             ;   in Loop: Header=BB312_16 Depth=1
	s_or_b32 exec_lo, exec_lo, s25
	v_lshrrev_b32_e32 v8, 16, v31
	v_cmp_ne_u16_sdwa s5, v8, v9 src0_sel:BYTE_0 src1_sel:DWORD
	s_and_saveexec_b32 s25, s5
	s_cbranch_execz .LBB312_107
; %bb.100:                              ;   in Loop: Header=BB312_16 Depth=1
	v_cmp_ne_u16_sdwa s5, v8, v68 src0_sel:BYTE_0 src1_sel:DWORD
	v_mov_b32_e32 v0, 0x8000
	buffer_store_dword v0, off, s[0:3], s32 offset:248 ; 4-byte Folded Spill
	s_and_saveexec_b32 s26, s5
	s_cbranch_execz .LBB312_106
; %bb.101:                              ;   in Loop: Header=BB312_16 Depth=1
	v_bfe_u32 v2, v31, 16, 7
	v_mov_b32_e32 v0, 0x7c01
	s_mov_b32 s27, exec_lo
	buffer_store_dword v0, off, s[0:3], s32 offset:248 ; 4-byte Folded Spill
	v_cmpx_ne_u32_e32 0x7f, v2
	s_cbranch_execz .LBB312_105
; %bb.102:                              ;   in Loop: Header=BB312_16 Depth=1
	v_and_b32_e32 v0, 7, v8
	v_lshrrev_b32_e32 v1, 3, v2
	s_mov_b32 s28, exec_lo
	v_cmpx_gt_u32_e32 8, v2
; %bb.103:                              ;   in Loop: Header=BB312_16 Depth=1
	v_ffbh_u32_e32 v0, v0
	v_min_u32_e32 v2, 32, v0
	v_subrev_nc_u32_e32 v0, 28, v2
	v_lshlrev_b64 v[0:1], v0, v[8:9]
	v_sub_nc_u32_e32 v1, 29, v2
	v_and_b32_e32 v0, 7, v0
; %bb.104:                              ;   in Loop: Header=BB312_16 Depth=1
	s_or_b32 exec_lo, exec_lo, s28
	v_lshlrev_b32_e32 v2, 8, v8
	v_lshl_add_u32 v1, v1, 10, 0x2000
	v_lshlrev_b32_e32 v0, 7, v0
	v_and_b32_e32 v2, 0x8000, v2
	v_and_b32_e32 v1, 0xfc00, v1
	v_or3_b32 v0, v2, v1, v0
	buffer_store_dword v0, off, s[0:3], s32 offset:248 ; 4-byte Folded Spill
.LBB312_105:                            ;   in Loop: Header=BB312_16 Depth=1
	s_or_b32 exec_lo, exec_lo, s27
.LBB312_106:                            ;   in Loop: Header=BB312_16 Depth=1
	s_or_b32 exec_lo, exec_lo, s26
.LBB312_107:                            ;   in Loop: Header=BB312_16 Depth=1
	s_or_b32 exec_lo, exec_lo, s25
	v_mov_b32_e32 v0, 0
	s_mov_b32 s25, exec_lo
	buffer_store_dword v0, off, s[0:3], s32 offset:252 ; 4-byte Folded Spill
	v_mov_b32_e32 v0, 0
	buffer_store_dword v0, off, s[0:3], s32 offset:256 ; 4-byte Folded Spill
	v_cmpx_lt_u32_e32 0xffffff, v31
	s_cbranch_execz .LBB312_115
; %bb.108:                              ;   in Loop: Header=BB312_16 Depth=1
	v_lshrrev_b32_e32 v8, 24, v31
	v_bfrev_b32_e32 v0, 1
	s_mov_b32 s26, exec_lo
	buffer_store_dword v0, off, s[0:3], s32 offset:256 ; 4-byte Folded Spill
	v_cmpx_ne_u32_e32 0x80, v8
	s_cbranch_execz .LBB312_114
; %bb.109:                              ;   in Loop: Header=BB312_16 Depth=1
	v_and_b32_e32 v2, 0x7f, v8
	v_mov_b32_e32 v0, 0x7c010000
	s_mov_b32 s27, exec_lo
	buffer_store_dword v0, off, s[0:3], s32 offset:256 ; 4-byte Folded Spill
	v_cmpx_ne_u32_e32 0x7f, v2
	s_cbranch_execz .LBB312_113
; %bb.110:                              ;   in Loop: Header=BB312_16 Depth=1
	v_and_b32_e32 v0, 7, v8
	v_lshrrev_b32_e32 v1, 3, v2
	s_mov_b32 s28, exec_lo
	v_cmpx_gt_u32_e32 8, v2
; %bb.111:                              ;   in Loop: Header=BB312_16 Depth=1
	v_ffbh_u32_e32 v0, v0
	v_min_u32_e32 v2, 32, v0
	v_subrev_nc_u32_e32 v0, 28, v2
	v_lshlrev_b64 v[0:1], v0, v[8:9]
	v_sub_nc_u32_e32 v1, 29, v2
	v_and_b32_e32 v0, 7, v0
; %bb.112:                              ;   in Loop: Header=BB312_16 Depth=1
	s_or_b32 exec_lo, exec_lo, s28
	v_lshlrev_b32_e32 v2, 8, v8
	v_lshl_add_u32 v1, v1, 10, 0x2000
	v_lshlrev_b32_e32 v0, 23, v0
	v_and_or_b32 v1, 0x8000, v2, v1
	v_lshl_or_b32 v0, v1, 16, v0
	buffer_store_dword v0, off, s[0:3], s32 offset:256 ; 4-byte Folded Spill
.LBB312_113:                            ;   in Loop: Header=BB312_16 Depth=1
	s_or_b32 exec_lo, exec_lo, s27
.LBB312_114:                            ;   in Loop: Header=BB312_16 Depth=1
	s_or_b32 exec_lo, exec_lo, s26
.LBB312_115:                            ;   in Loop: Header=BB312_16 Depth=1
	s_or_b32 exec_lo, exec_lo, s25
	v_mov_b32_e32 v8, v32
	v_cmp_ne_u16_sdwa s5, v32, v9 src0_sel:BYTE_0 src1_sel:DWORD
	s_and_saveexec_b32 s25, s5
	s_cbranch_execz .LBB312_123
; %bb.116:                              ;   in Loop: Header=BB312_16 Depth=1
	v_cmp_ne_u16_sdwa s5, v32, v68 src0_sel:BYTE_0 src1_sel:DWORD
	v_mov_b32_e32 v0, 0x8000
	buffer_store_dword v0, off, s[0:3], s32 offset:252 ; 4-byte Folded Spill
	s_and_saveexec_b32 s26, s5
	s_cbranch_execz .LBB312_122
; %bb.117:                              ;   in Loop: Header=BB312_16 Depth=1
	v_and_b32_e32 v2, 0x7f, v32
	v_mov_b32_e32 v0, 0x7c01
	s_mov_b32 s27, exec_lo
	buffer_store_dword v0, off, s[0:3], s32 offset:252 ; 4-byte Folded Spill
	v_cmpx_ne_u32_e32 0x7f, v2
	s_cbranch_execz .LBB312_121
; %bb.118:                              ;   in Loop: Header=BB312_16 Depth=1
	v_and_b32_e32 v0, 7, v32
	v_lshrrev_b32_e32 v1, 3, v2
	s_mov_b32 s28, exec_lo
	v_cmpx_gt_u32_e32 8, v2
; %bb.119:                              ;   in Loop: Header=BB312_16 Depth=1
	v_ffbh_u32_e32 v0, v0
	v_min_u32_e32 v2, 32, v0
	v_subrev_nc_u32_e32 v0, 28, v2
	v_lshlrev_b64 v[0:1], v0, v[8:9]
	v_sub_nc_u32_e32 v1, 29, v2
	v_and_b32_e32 v0, 7, v0
; %bb.120:                              ;   in Loop: Header=BB312_16 Depth=1
	s_or_b32 exec_lo, exec_lo, s28
	v_lshlrev_b32_e32 v2, 8, v32
	v_lshl_add_u32 v1, v1, 10, 0x2000
	v_lshlrev_b32_e32 v0, 7, v0
	v_and_b32_e32 v2, 0x8000, v2
	v_and_b32_e32 v1, 0xfc00, v1
	v_or3_b32 v0, v2, v1, v0
	buffer_store_dword v0, off, s[0:3], s32 offset:252 ; 4-byte Folded Spill
.LBB312_121:                            ;   in Loop: Header=BB312_16 Depth=1
	s_or_b32 exec_lo, exec_lo, s27
.LBB312_122:                            ;   in Loop: Header=BB312_16 Depth=1
	s_or_b32 exec_lo, exec_lo, s26
.LBB312_123:                            ;   in Loop: Header=BB312_16 Depth=1
	s_or_b32 exec_lo, exec_lo, s25
	v_mov_b32_e32 v0, 0
	v_lshrrev_b16 v8, 8, v8
	s_mov_b32 s25, exec_lo
	buffer_store_dword v0, off, s[0:3], s32 offset:260 ; 4-byte Folded Spill
	v_mov_b32_e32 v0, 0
	buffer_store_dword v0, off, s[0:3], s32 offset:264 ; 4-byte Folded Spill
	v_cmpx_ne_u16_e32 0, v8
	s_cbranch_execz .LBB312_131
; %bb.124:                              ;   in Loop: Header=BB312_16 Depth=1
	v_bfrev_b32_e32 v0, 1
	s_mov_b32 s26, exec_lo
	buffer_store_dword v0, off, s[0:3], s32 offset:264 ; 4-byte Folded Spill
	v_cmpx_ne_u16_e32 0x80, v8
	s_cbranch_execz .LBB312_130
; %bb.125:                              ;   in Loop: Header=BB312_16 Depth=1
	v_mov_b32_e32 v0, 0x7f
	s_mov_b32 s27, exec_lo
	v_and_b32_sdwa v2, v8, v0 dst_sel:DWORD dst_unused:UNUSED_PAD src0_sel:WORD_0 src1_sel:DWORD
	v_mov_b32_e32 v0, 0x7c010000
	buffer_store_dword v0, off, s[0:3], s32 offset:264 ; 4-byte Folded Spill
	v_cmpx_ne_u32_e32 0x7f, v2
	s_cbranch_execz .LBB312_129
; %bb.126:                              ;   in Loop: Header=BB312_16 Depth=1
	v_mov_b32_e32 v0, 7
	v_lshrrev_b32_e32 v1, 3, v2
	s_mov_b32 s28, exec_lo
	v_and_b32_sdwa v0, v8, v0 dst_sel:DWORD dst_unused:UNUSED_PAD src0_sel:WORD_0 src1_sel:DWORD
	v_cmpx_gt_u32_e32 8, v2
; %bb.127:                              ;   in Loop: Header=BB312_16 Depth=1
	v_ffbh_u32_e32 v0, v0
	v_min_u32_e32 v2, 32, v0
	v_subrev_nc_u32_e32 v0, 28, v2
	v_lshlrev_b64 v[0:1], v0, v[8:9]
	v_sub_nc_u32_e32 v1, 29, v2
	v_and_b32_e32 v0, 7, v0
; %bb.128:                              ;   in Loop: Header=BB312_16 Depth=1
	s_or_b32 exec_lo, exec_lo, s28
	v_mov_b32_e32 v2, 8
	v_lshl_add_u32 v1, v1, 10, 0x2000
	v_lshlrev_b32_e32 v0, 23, v0
	v_lshlrev_b32_sdwa v2, v2, v8 dst_sel:DWORD dst_unused:UNUSED_PAD src0_sel:DWORD src1_sel:WORD_0
	v_and_or_b32 v1, 0x8000, v2, v1
	v_lshl_or_b32 v0, v1, 16, v0
	buffer_store_dword v0, off, s[0:3], s32 offset:264 ; 4-byte Folded Spill
.LBB312_129:                            ;   in Loop: Header=BB312_16 Depth=1
	s_or_b32 exec_lo, exec_lo, s27
.LBB312_130:                            ;   in Loop: Header=BB312_16 Depth=1
	s_or_b32 exec_lo, exec_lo, s26
.LBB312_131:                            ;   in Loop: Header=BB312_16 Depth=1
	s_or_b32 exec_lo, exec_lo, s25
	v_lshrrev_b32_e32 v8, 16, v32
	v_cmp_ne_u16_sdwa s5, v8, v9 src0_sel:BYTE_0 src1_sel:DWORD
	s_and_saveexec_b32 s25, s5
	s_cbranch_execz .LBB312_139
; %bb.132:                              ;   in Loop: Header=BB312_16 Depth=1
	v_cmp_ne_u16_sdwa s5, v8, v68 src0_sel:BYTE_0 src1_sel:DWORD
	v_mov_b32_e32 v0, 0x8000
	buffer_store_dword v0, off, s[0:3], s32 offset:260 ; 4-byte Folded Spill
	s_and_saveexec_b32 s26, s5
	s_cbranch_execz .LBB312_138
; %bb.133:                              ;   in Loop: Header=BB312_16 Depth=1
	v_bfe_u32 v2, v32, 16, 7
	v_mov_b32_e32 v0, 0x7c01
	s_mov_b32 s27, exec_lo
	buffer_store_dword v0, off, s[0:3], s32 offset:260 ; 4-byte Folded Spill
	v_cmpx_ne_u32_e32 0x7f, v2
	s_cbranch_execz .LBB312_137
; %bb.134:                              ;   in Loop: Header=BB312_16 Depth=1
	v_and_b32_e32 v0, 7, v8
	v_lshrrev_b32_e32 v1, 3, v2
	s_mov_b32 s28, exec_lo
	v_cmpx_gt_u32_e32 8, v2
; %bb.135:                              ;   in Loop: Header=BB312_16 Depth=1
	v_ffbh_u32_e32 v0, v0
	v_min_u32_e32 v2, 32, v0
	v_subrev_nc_u32_e32 v0, 28, v2
	v_lshlrev_b64 v[0:1], v0, v[8:9]
	v_sub_nc_u32_e32 v1, 29, v2
	v_and_b32_e32 v0, 7, v0
; %bb.136:                              ;   in Loop: Header=BB312_16 Depth=1
	s_or_b32 exec_lo, exec_lo, s28
	v_lshlrev_b32_e32 v2, 8, v8
	v_lshl_add_u32 v1, v1, 10, 0x2000
	v_lshlrev_b32_e32 v0, 7, v0
	v_and_b32_e32 v2, 0x8000, v2
	v_and_b32_e32 v1, 0xfc00, v1
	v_or3_b32 v0, v2, v1, v0
	buffer_store_dword v0, off, s[0:3], s32 offset:260 ; 4-byte Folded Spill
.LBB312_137:                            ;   in Loop: Header=BB312_16 Depth=1
	s_or_b32 exec_lo, exec_lo, s27
.LBB312_138:                            ;   in Loop: Header=BB312_16 Depth=1
	s_or_b32 exec_lo, exec_lo, s26
.LBB312_139:                            ;   in Loop: Header=BB312_16 Depth=1
	s_or_b32 exec_lo, exec_lo, s25
	v_mov_b32_e32 v0, 0
	s_mov_b32 s25, exec_lo
	buffer_store_dword v0, off, s[0:3], s32 offset:268 ; 4-byte Folded Spill
	v_mov_b32_e32 v0, 0
	buffer_store_dword v0, off, s[0:3], s32 offset:512 ; 4-byte Folded Spill
	v_cmpx_lt_u64_e64 s[20:21], v[31:32]
	s_cbranch_execz .LBB312_147
; %bb.140:                              ;   in Loop: Header=BB312_16 Depth=1
	v_lshrrev_b32_e32 v8, 24, v32
	v_bfrev_b32_e32 v0, 1
	s_mov_b32 s26, exec_lo
	v_cmpx_ne_u32_e32 0x80, v8
	s_cbranch_execz .LBB312_146
; %bb.141:                              ;   in Loop: Header=BB312_16 Depth=1
	v_and_b32_e32 v2, 0x7f, v8
	v_mov_b32_e32 v0, 0x7c010000
	s_mov_b32 s27, exec_lo
	v_cmpx_ne_u32_e32 0x7f, v2
	s_cbranch_execz .LBB312_145
; %bb.142:                              ;   in Loop: Header=BB312_16 Depth=1
	v_and_b32_e32 v0, 7, v8
	v_lshrrev_b32_e32 v1, 3, v2
	s_mov_b32 s28, exec_lo
	v_cmpx_gt_u32_e32 8, v2
; %bb.143:                              ;   in Loop: Header=BB312_16 Depth=1
	v_ffbh_u32_e32 v0, v0
	v_min_u32_e32 v2, 32, v0
	v_subrev_nc_u32_e32 v0, 28, v2
	v_lshlrev_b64 v[0:1], v0, v[8:9]
	v_sub_nc_u32_e32 v1, 29, v2
	v_and_b32_e32 v0, 7, v0
; %bb.144:                              ;   in Loop: Header=BB312_16 Depth=1
	s_or_b32 exec_lo, exec_lo, s28
	v_lshlrev_b32_e32 v2, 8, v8
	v_lshl_add_u32 v1, v1, 10, 0x2000
	v_lshlrev_b32_e32 v0, 23, v0
	v_and_or_b32 v1, 0x8000, v2, v1
	v_lshl_or_b32 v0, v1, 16, v0
.LBB312_145:                            ;   in Loop: Header=BB312_16 Depth=1
	s_or_b32 exec_lo, exec_lo, s27
.LBB312_146:                            ;   in Loop: Header=BB312_16 Depth=1
	s_or_b32 exec_lo, exec_lo, s26
	buffer_store_dword v0, off, s[0:3], s32 offset:512 ; 4-byte Folded Spill
.LBB312_147:                            ;   in Loop: Header=BB312_16 Depth=1
	s_or_b32 exec_lo, exec_lo, s25
	flat_load_dwordx2 v[31:32], v[28:29] offset:512
	s_waitcnt vmcnt(0) lgkmcnt(0)
	v_cmp_ne_u16_sdwa s5, v31, v9 src0_sel:BYTE_0 src1_sel:DWORD
	s_and_saveexec_b32 s25, s5
	s_cbranch_execz .LBB312_155
; %bb.148:                              ;   in Loop: Header=BB312_16 Depth=1
	v_cmp_ne_u16_sdwa s5, v31, v68 src0_sel:BYTE_0 src1_sel:DWORD
	v_mov_b32_e32 v0, 0x8000
	buffer_store_dword v0, off, s[0:3], s32 offset:268 ; 4-byte Folded Spill
	s_and_saveexec_b32 s26, s5
	s_cbranch_execz .LBB312_154
; %bb.149:                              ;   in Loop: Header=BB312_16 Depth=1
	v_and_b32_e32 v2, 0x7f, v31
	v_mov_b32_e32 v0, 0x7c01
	s_mov_b32 s27, exec_lo
	buffer_store_dword v0, off, s[0:3], s32 offset:268 ; 4-byte Folded Spill
	v_cmpx_ne_u32_e32 0x7f, v2
	s_cbranch_execz .LBB312_153
; %bb.150:                              ;   in Loop: Header=BB312_16 Depth=1
	v_and_b32_e32 v0, 7, v31
	v_lshrrev_b32_e32 v1, 3, v2
	s_mov_b32 s28, exec_lo
	v_cmpx_gt_u32_e32 8, v2
; %bb.151:                              ;   in Loop: Header=BB312_16 Depth=1
	v_ffbh_u32_e32 v0, v0
	v_min_u32_e32 v2, 32, v0
	v_subrev_nc_u32_e32 v0, 28, v2
	v_lshlrev_b64 v[0:1], v0, v[31:32]
	v_sub_nc_u32_e32 v1, 29, v2
	v_and_b32_e32 v0, 7, v0
; %bb.152:                              ;   in Loop: Header=BB312_16 Depth=1
	s_or_b32 exec_lo, exec_lo, s28
	v_lshlrev_b32_e32 v2, 8, v31
	v_lshl_add_u32 v1, v1, 10, 0x2000
	v_lshlrev_b32_e32 v0, 7, v0
	v_and_b32_e32 v2, 0x8000, v2
	v_and_b32_e32 v1, 0xfc00, v1
	v_or3_b32 v0, v2, v1, v0
	buffer_store_dword v0, off, s[0:3], s32 offset:268 ; 4-byte Folded Spill
.LBB312_153:                            ;   in Loop: Header=BB312_16 Depth=1
	s_or_b32 exec_lo, exec_lo, s27
.LBB312_154:                            ;   in Loop: Header=BB312_16 Depth=1
	s_or_b32 exec_lo, exec_lo, s26
.LBB312_155:                            ;   in Loop: Header=BB312_16 Depth=1
	s_or_b32 exec_lo, exec_lo, s25
	v_mov_b32_e32 v0, 0
	v_lshrrev_b16 v8, 8, v31
	s_mov_b32 s25, exec_lo
	buffer_store_dword v0, off, s[0:3], s32 offset:276 ; 4-byte Folded Spill
	v_mov_b32_e32 v0, 0
	buffer_store_dword v0, off, s[0:3], s32 offset:272 ; 4-byte Folded Spill
	v_cmpx_ne_u16_e32 0, v8
	s_cbranch_execz .LBB312_163
; %bb.156:                              ;   in Loop: Header=BB312_16 Depth=1
	v_bfrev_b32_e32 v0, 1
	s_mov_b32 s26, exec_lo
	buffer_store_dword v0, off, s[0:3], s32 offset:272 ; 4-byte Folded Spill
	v_cmpx_ne_u16_e32 0x80, v8
	s_cbranch_execz .LBB312_162
; %bb.157:                              ;   in Loop: Header=BB312_16 Depth=1
	v_mov_b32_e32 v0, 0x7f
	s_mov_b32 s27, exec_lo
	v_and_b32_sdwa v2, v8, v0 dst_sel:DWORD dst_unused:UNUSED_PAD src0_sel:WORD_0 src1_sel:DWORD
	v_mov_b32_e32 v0, 0x7c010000
	buffer_store_dword v0, off, s[0:3], s32 offset:272 ; 4-byte Folded Spill
	v_cmpx_ne_u32_e32 0x7f, v2
	s_cbranch_execz .LBB312_161
; %bb.158:                              ;   in Loop: Header=BB312_16 Depth=1
	v_mov_b32_e32 v0, 7
	v_lshrrev_b32_e32 v1, 3, v2
	s_mov_b32 s28, exec_lo
	v_and_b32_sdwa v0, v8, v0 dst_sel:DWORD dst_unused:UNUSED_PAD src0_sel:WORD_0 src1_sel:DWORD
	v_cmpx_gt_u32_e32 8, v2
; %bb.159:                              ;   in Loop: Header=BB312_16 Depth=1
	v_ffbh_u32_e32 v0, v0
	v_min_u32_e32 v2, 32, v0
	v_subrev_nc_u32_e32 v0, 28, v2
	v_lshlrev_b64 v[0:1], v0, v[8:9]
	v_sub_nc_u32_e32 v1, 29, v2
	v_and_b32_e32 v0, 7, v0
; %bb.160:                              ;   in Loop: Header=BB312_16 Depth=1
	s_or_b32 exec_lo, exec_lo, s28
	v_mov_b32_e32 v2, 8
	v_lshl_add_u32 v1, v1, 10, 0x2000
	v_lshlrev_b32_e32 v0, 23, v0
	v_lshlrev_b32_sdwa v2, v2, v8 dst_sel:DWORD dst_unused:UNUSED_PAD src0_sel:DWORD src1_sel:WORD_0
	v_and_or_b32 v1, 0x8000, v2, v1
	v_lshl_or_b32 v0, v1, 16, v0
	buffer_store_dword v0, off, s[0:3], s32 offset:272 ; 4-byte Folded Spill
.LBB312_161:                            ;   in Loop: Header=BB312_16 Depth=1
	s_or_b32 exec_lo, exec_lo, s27
.LBB312_162:                            ;   in Loop: Header=BB312_16 Depth=1
	s_or_b32 exec_lo, exec_lo, s26
.LBB312_163:                            ;   in Loop: Header=BB312_16 Depth=1
	s_or_b32 exec_lo, exec_lo, s25
	v_lshrrev_b32_e32 v8, 16, v31
	v_cmp_ne_u16_sdwa s5, v8, v9 src0_sel:BYTE_0 src1_sel:DWORD
	s_and_saveexec_b32 s25, s5
	s_cbranch_execz .LBB312_171
; %bb.164:                              ;   in Loop: Header=BB312_16 Depth=1
	v_cmp_ne_u16_sdwa s5, v8, v68 src0_sel:BYTE_0 src1_sel:DWORD
	v_mov_b32_e32 v0, 0x8000
	buffer_store_dword v0, off, s[0:3], s32 offset:276 ; 4-byte Folded Spill
	s_and_saveexec_b32 s26, s5
	s_cbranch_execz .LBB312_170
; %bb.165:                              ;   in Loop: Header=BB312_16 Depth=1
	v_bfe_u32 v2, v31, 16, 7
	v_mov_b32_e32 v0, 0x7c01
	s_mov_b32 s27, exec_lo
	buffer_store_dword v0, off, s[0:3], s32 offset:276 ; 4-byte Folded Spill
	v_cmpx_ne_u32_e32 0x7f, v2
	s_cbranch_execz .LBB312_169
; %bb.166:                              ;   in Loop: Header=BB312_16 Depth=1
	v_and_b32_e32 v0, 7, v8
	v_lshrrev_b32_e32 v1, 3, v2
	s_mov_b32 s28, exec_lo
	v_cmpx_gt_u32_e32 8, v2
; %bb.167:                              ;   in Loop: Header=BB312_16 Depth=1
	v_ffbh_u32_e32 v0, v0
	v_min_u32_e32 v2, 32, v0
	v_subrev_nc_u32_e32 v0, 28, v2
	v_lshlrev_b64 v[0:1], v0, v[8:9]
	v_sub_nc_u32_e32 v1, 29, v2
	v_and_b32_e32 v0, 7, v0
; %bb.168:                              ;   in Loop: Header=BB312_16 Depth=1
	s_or_b32 exec_lo, exec_lo, s28
	v_lshlrev_b32_e32 v2, 8, v8
	v_lshl_add_u32 v1, v1, 10, 0x2000
	v_lshlrev_b32_e32 v0, 7, v0
	v_and_b32_e32 v2, 0x8000, v2
	v_and_b32_e32 v1, 0xfc00, v1
	v_or3_b32 v0, v2, v1, v0
	buffer_store_dword v0, off, s[0:3], s32 offset:276 ; 4-byte Folded Spill
.LBB312_169:                            ;   in Loop: Header=BB312_16 Depth=1
	s_or_b32 exec_lo, exec_lo, s27
.LBB312_170:                            ;   in Loop: Header=BB312_16 Depth=1
	s_or_b32 exec_lo, exec_lo, s26
.LBB312_171:                            ;   in Loop: Header=BB312_16 Depth=1
	s_or_b32 exec_lo, exec_lo, s25
	v_mov_b32_e32 v0, 0
	s_mov_b32 s25, exec_lo
	buffer_store_dword v0, off, s[0:3], s32 offset:280 ; 4-byte Folded Spill
	v_mov_b32_e32 v0, 0
	buffer_store_dword v0, off, s[0:3], s32 offset:284 ; 4-byte Folded Spill
	v_cmpx_lt_u32_e32 0xffffff, v31
	s_cbranch_execz .LBB312_179
; %bb.172:                              ;   in Loop: Header=BB312_16 Depth=1
	v_lshrrev_b32_e32 v8, 24, v31
	v_bfrev_b32_e32 v0, 1
	s_mov_b32 s26, exec_lo
	buffer_store_dword v0, off, s[0:3], s32 offset:284 ; 4-byte Folded Spill
	v_cmpx_ne_u32_e32 0x80, v8
	s_cbranch_execz .LBB312_178
; %bb.173:                              ;   in Loop: Header=BB312_16 Depth=1
	v_and_b32_e32 v2, 0x7f, v8
	v_mov_b32_e32 v0, 0x7c010000
	s_mov_b32 s27, exec_lo
	buffer_store_dword v0, off, s[0:3], s32 offset:284 ; 4-byte Folded Spill
	v_cmpx_ne_u32_e32 0x7f, v2
	s_cbranch_execz .LBB312_177
; %bb.174:                              ;   in Loop: Header=BB312_16 Depth=1
	v_and_b32_e32 v0, 7, v8
	v_lshrrev_b32_e32 v1, 3, v2
	s_mov_b32 s28, exec_lo
	v_cmpx_gt_u32_e32 8, v2
; %bb.175:                              ;   in Loop: Header=BB312_16 Depth=1
	v_ffbh_u32_e32 v0, v0
	v_min_u32_e32 v2, 32, v0
	v_subrev_nc_u32_e32 v0, 28, v2
	v_lshlrev_b64 v[0:1], v0, v[8:9]
	v_sub_nc_u32_e32 v1, 29, v2
	v_and_b32_e32 v0, 7, v0
; %bb.176:                              ;   in Loop: Header=BB312_16 Depth=1
	s_or_b32 exec_lo, exec_lo, s28
	v_lshlrev_b32_e32 v2, 8, v8
	v_lshl_add_u32 v1, v1, 10, 0x2000
	v_lshlrev_b32_e32 v0, 23, v0
	v_and_or_b32 v1, 0x8000, v2, v1
	v_lshl_or_b32 v0, v1, 16, v0
	buffer_store_dword v0, off, s[0:3], s32 offset:284 ; 4-byte Folded Spill
.LBB312_177:                            ;   in Loop: Header=BB312_16 Depth=1
	s_or_b32 exec_lo, exec_lo, s27
.LBB312_178:                            ;   in Loop: Header=BB312_16 Depth=1
	s_or_b32 exec_lo, exec_lo, s26
.LBB312_179:                            ;   in Loop: Header=BB312_16 Depth=1
	s_or_b32 exec_lo, exec_lo, s25
	v_mov_b32_e32 v8, v32
	v_cmp_ne_u16_sdwa s5, v32, v9 src0_sel:BYTE_0 src1_sel:DWORD
	s_and_saveexec_b32 s25, s5
	s_cbranch_execz .LBB312_187
; %bb.180:                              ;   in Loop: Header=BB312_16 Depth=1
	v_cmp_ne_u16_sdwa s5, v32, v68 src0_sel:BYTE_0 src1_sel:DWORD
	v_mov_b32_e32 v0, 0x8000
	buffer_store_dword v0, off, s[0:3], s32 offset:280 ; 4-byte Folded Spill
	s_and_saveexec_b32 s26, s5
	s_cbranch_execz .LBB312_186
; %bb.181:                              ;   in Loop: Header=BB312_16 Depth=1
	v_and_b32_e32 v2, 0x7f, v32
	v_mov_b32_e32 v0, 0x7c01
	s_mov_b32 s27, exec_lo
	buffer_store_dword v0, off, s[0:3], s32 offset:280 ; 4-byte Folded Spill
	v_cmpx_ne_u32_e32 0x7f, v2
	s_cbranch_execz .LBB312_185
; %bb.182:                              ;   in Loop: Header=BB312_16 Depth=1
	v_and_b32_e32 v0, 7, v32
	v_lshrrev_b32_e32 v1, 3, v2
	s_mov_b32 s28, exec_lo
	v_cmpx_gt_u32_e32 8, v2
; %bb.183:                              ;   in Loop: Header=BB312_16 Depth=1
	v_ffbh_u32_e32 v0, v0
	v_min_u32_e32 v2, 32, v0
	v_subrev_nc_u32_e32 v0, 28, v2
	v_lshlrev_b64 v[0:1], v0, v[8:9]
	v_sub_nc_u32_e32 v1, 29, v2
	v_and_b32_e32 v0, 7, v0
; %bb.184:                              ;   in Loop: Header=BB312_16 Depth=1
	s_or_b32 exec_lo, exec_lo, s28
	v_lshlrev_b32_e32 v2, 8, v32
	v_lshl_add_u32 v1, v1, 10, 0x2000
	v_lshlrev_b32_e32 v0, 7, v0
	v_and_b32_e32 v2, 0x8000, v2
	v_and_b32_e32 v1, 0xfc00, v1
	v_or3_b32 v0, v2, v1, v0
	buffer_store_dword v0, off, s[0:3], s32 offset:280 ; 4-byte Folded Spill
.LBB312_185:                            ;   in Loop: Header=BB312_16 Depth=1
	s_or_b32 exec_lo, exec_lo, s27
.LBB312_186:                            ;   in Loop: Header=BB312_16 Depth=1
	s_or_b32 exec_lo, exec_lo, s26
.LBB312_187:                            ;   in Loop: Header=BB312_16 Depth=1
	s_or_b32 exec_lo, exec_lo, s25
	v_mov_b32_e32 v0, 0
	v_lshrrev_b16 v8, 8, v8
	s_mov_b32 s25, exec_lo
	buffer_store_dword v0, off, s[0:3], s32 offset:288 ; 4-byte Folded Spill
	v_mov_b32_e32 v0, 0
	buffer_store_dword v0, off, s[0:3], s32 offset:292 ; 4-byte Folded Spill
	v_cmpx_ne_u16_e32 0, v8
	s_cbranch_execz .LBB312_195
; %bb.188:                              ;   in Loop: Header=BB312_16 Depth=1
	v_bfrev_b32_e32 v0, 1
	s_mov_b32 s26, exec_lo
	buffer_store_dword v0, off, s[0:3], s32 offset:292 ; 4-byte Folded Spill
	v_cmpx_ne_u16_e32 0x80, v8
	s_cbranch_execz .LBB312_194
; %bb.189:                              ;   in Loop: Header=BB312_16 Depth=1
	v_mov_b32_e32 v0, 0x7f
	s_mov_b32 s27, exec_lo
	v_and_b32_sdwa v2, v8, v0 dst_sel:DWORD dst_unused:UNUSED_PAD src0_sel:WORD_0 src1_sel:DWORD
	v_mov_b32_e32 v0, 0x7c010000
	buffer_store_dword v0, off, s[0:3], s32 offset:292 ; 4-byte Folded Spill
	v_cmpx_ne_u32_e32 0x7f, v2
	s_cbranch_execz .LBB312_193
; %bb.190:                              ;   in Loop: Header=BB312_16 Depth=1
	v_mov_b32_e32 v0, 7
	v_lshrrev_b32_e32 v1, 3, v2
	s_mov_b32 s28, exec_lo
	v_and_b32_sdwa v0, v8, v0 dst_sel:DWORD dst_unused:UNUSED_PAD src0_sel:WORD_0 src1_sel:DWORD
	v_cmpx_gt_u32_e32 8, v2
; %bb.191:                              ;   in Loop: Header=BB312_16 Depth=1
	v_ffbh_u32_e32 v0, v0
	v_min_u32_e32 v2, 32, v0
	v_subrev_nc_u32_e32 v0, 28, v2
	v_lshlrev_b64 v[0:1], v0, v[8:9]
	v_sub_nc_u32_e32 v1, 29, v2
	v_and_b32_e32 v0, 7, v0
; %bb.192:                              ;   in Loop: Header=BB312_16 Depth=1
	s_or_b32 exec_lo, exec_lo, s28
	v_mov_b32_e32 v2, 8
	v_lshl_add_u32 v1, v1, 10, 0x2000
	v_lshlrev_b32_e32 v0, 23, v0
	v_lshlrev_b32_sdwa v2, v2, v8 dst_sel:DWORD dst_unused:UNUSED_PAD src0_sel:DWORD src1_sel:WORD_0
	v_and_or_b32 v1, 0x8000, v2, v1
	v_lshl_or_b32 v0, v1, 16, v0
	buffer_store_dword v0, off, s[0:3], s32 offset:292 ; 4-byte Folded Spill
.LBB312_193:                            ;   in Loop: Header=BB312_16 Depth=1
	s_or_b32 exec_lo, exec_lo, s27
.LBB312_194:                            ;   in Loop: Header=BB312_16 Depth=1
	s_or_b32 exec_lo, exec_lo, s26
.LBB312_195:                            ;   in Loop: Header=BB312_16 Depth=1
	s_or_b32 exec_lo, exec_lo, s25
	v_lshrrev_b32_e32 v8, 16, v32
	v_cmp_ne_u16_sdwa s5, v8, v9 src0_sel:BYTE_0 src1_sel:DWORD
	s_and_saveexec_b32 s25, s5
	s_cbranch_execz .LBB312_203
; %bb.196:                              ;   in Loop: Header=BB312_16 Depth=1
	v_cmp_ne_u16_sdwa s5, v8, v68 src0_sel:BYTE_0 src1_sel:DWORD
	v_mov_b32_e32 v0, 0x8000
	buffer_store_dword v0, off, s[0:3], s32 offset:288 ; 4-byte Folded Spill
	s_and_saveexec_b32 s26, s5
	s_cbranch_execz .LBB312_202
; %bb.197:                              ;   in Loop: Header=BB312_16 Depth=1
	v_bfe_u32 v2, v32, 16, 7
	v_mov_b32_e32 v0, 0x7c01
	s_mov_b32 s27, exec_lo
	buffer_store_dword v0, off, s[0:3], s32 offset:288 ; 4-byte Folded Spill
	v_cmpx_ne_u32_e32 0x7f, v2
	s_cbranch_execz .LBB312_201
; %bb.198:                              ;   in Loop: Header=BB312_16 Depth=1
	v_and_b32_e32 v0, 7, v8
	v_lshrrev_b32_e32 v1, 3, v2
	s_mov_b32 s28, exec_lo
	v_cmpx_gt_u32_e32 8, v2
; %bb.199:                              ;   in Loop: Header=BB312_16 Depth=1
	v_ffbh_u32_e32 v0, v0
	v_min_u32_e32 v2, 32, v0
	v_subrev_nc_u32_e32 v0, 28, v2
	v_lshlrev_b64 v[0:1], v0, v[8:9]
	v_sub_nc_u32_e32 v1, 29, v2
	v_and_b32_e32 v0, 7, v0
; %bb.200:                              ;   in Loop: Header=BB312_16 Depth=1
	s_or_b32 exec_lo, exec_lo, s28
	v_lshlrev_b32_e32 v2, 8, v8
	v_lshl_add_u32 v1, v1, 10, 0x2000
	v_lshlrev_b32_e32 v0, 7, v0
	v_and_b32_e32 v2, 0x8000, v2
	v_and_b32_e32 v1, 0xfc00, v1
	v_or3_b32 v0, v2, v1, v0
	buffer_store_dword v0, off, s[0:3], s32 offset:288 ; 4-byte Folded Spill
.LBB312_201:                            ;   in Loop: Header=BB312_16 Depth=1
	s_or_b32 exec_lo, exec_lo, s27
.LBB312_202:                            ;   in Loop: Header=BB312_16 Depth=1
	s_or_b32 exec_lo, exec_lo, s26
.LBB312_203:                            ;   in Loop: Header=BB312_16 Depth=1
	s_or_b32 exec_lo, exec_lo, s25
	v_mov_b32_e32 v0, 0
	s_mov_b32 s25, exec_lo
	buffer_store_dword v0, off, s[0:3], s32 offset:296 ; 4-byte Folded Spill
	v_mov_b32_e32 v0, 0
	buffer_store_dword v0, off, s[0:3], s32 offset:516 ; 4-byte Folded Spill
	v_cmpx_lt_u64_e64 s[20:21], v[31:32]
	s_cbranch_execz .LBB312_211
; %bb.204:                              ;   in Loop: Header=BB312_16 Depth=1
	v_lshrrev_b32_e32 v8, 24, v32
	v_bfrev_b32_e32 v0, 1
	s_mov_b32 s26, exec_lo
	v_cmpx_ne_u32_e32 0x80, v8
	s_cbranch_execz .LBB312_210
; %bb.205:                              ;   in Loop: Header=BB312_16 Depth=1
	v_and_b32_e32 v2, 0x7f, v8
	v_mov_b32_e32 v0, 0x7c010000
	s_mov_b32 s27, exec_lo
	v_cmpx_ne_u32_e32 0x7f, v2
	s_cbranch_execz .LBB312_209
; %bb.206:                              ;   in Loop: Header=BB312_16 Depth=1
	v_and_b32_e32 v0, 7, v8
	v_lshrrev_b32_e32 v1, 3, v2
	s_mov_b32 s28, exec_lo
	v_cmpx_gt_u32_e32 8, v2
; %bb.207:                              ;   in Loop: Header=BB312_16 Depth=1
	v_ffbh_u32_e32 v0, v0
	v_min_u32_e32 v2, 32, v0
	v_subrev_nc_u32_e32 v0, 28, v2
	v_lshlrev_b64 v[0:1], v0, v[8:9]
	v_sub_nc_u32_e32 v1, 29, v2
	v_and_b32_e32 v0, 7, v0
; %bb.208:                              ;   in Loop: Header=BB312_16 Depth=1
	s_or_b32 exec_lo, exec_lo, s28
	v_lshlrev_b32_e32 v2, 8, v8
	v_lshl_add_u32 v1, v1, 10, 0x2000
	v_lshlrev_b32_e32 v0, 23, v0
	v_and_or_b32 v1, 0x8000, v2, v1
	v_lshl_or_b32 v0, v1, 16, v0
.LBB312_209:                            ;   in Loop: Header=BB312_16 Depth=1
	s_or_b32 exec_lo, exec_lo, s27
.LBB312_210:                            ;   in Loop: Header=BB312_16 Depth=1
	s_or_b32 exec_lo, exec_lo, s26
	buffer_store_dword v0, off, s[0:3], s32 offset:516 ; 4-byte Folded Spill
.LBB312_211:                            ;   in Loop: Header=BB312_16 Depth=1
	s_or_b32 exec_lo, exec_lo, s25
	flat_load_dwordx2 v[31:32], v[28:29] offset:520
	s_waitcnt vmcnt(0) lgkmcnt(0)
	v_cmp_ne_u16_sdwa s5, v31, v9 src0_sel:BYTE_0 src1_sel:DWORD
	s_and_saveexec_b32 s25, s5
	s_cbranch_execz .LBB312_219
; %bb.212:                              ;   in Loop: Header=BB312_16 Depth=1
	v_cmp_ne_u16_sdwa s5, v31, v68 src0_sel:BYTE_0 src1_sel:DWORD
	v_mov_b32_e32 v0, 0x8000
	buffer_store_dword v0, off, s[0:3], s32 offset:296 ; 4-byte Folded Spill
	s_and_saveexec_b32 s26, s5
	s_cbranch_execz .LBB312_218
; %bb.213:                              ;   in Loop: Header=BB312_16 Depth=1
	v_and_b32_e32 v2, 0x7f, v31
	v_mov_b32_e32 v0, 0x7c01
	s_mov_b32 s27, exec_lo
	buffer_store_dword v0, off, s[0:3], s32 offset:296 ; 4-byte Folded Spill
	v_cmpx_ne_u32_e32 0x7f, v2
	s_cbranch_execz .LBB312_217
; %bb.214:                              ;   in Loop: Header=BB312_16 Depth=1
	v_and_b32_e32 v0, 7, v31
	v_lshrrev_b32_e32 v1, 3, v2
	s_mov_b32 s28, exec_lo
	v_cmpx_gt_u32_e32 8, v2
; %bb.215:                              ;   in Loop: Header=BB312_16 Depth=1
	v_ffbh_u32_e32 v0, v0
	v_min_u32_e32 v2, 32, v0
	v_subrev_nc_u32_e32 v0, 28, v2
	v_lshlrev_b64 v[0:1], v0, v[31:32]
	v_sub_nc_u32_e32 v1, 29, v2
	v_and_b32_e32 v0, 7, v0
; %bb.216:                              ;   in Loop: Header=BB312_16 Depth=1
	s_or_b32 exec_lo, exec_lo, s28
	v_lshlrev_b32_e32 v2, 8, v31
	v_lshl_add_u32 v1, v1, 10, 0x2000
	v_lshlrev_b32_e32 v0, 7, v0
	v_and_b32_e32 v2, 0x8000, v2
	v_and_b32_e32 v1, 0xfc00, v1
	v_or3_b32 v0, v2, v1, v0
	buffer_store_dword v0, off, s[0:3], s32 offset:296 ; 4-byte Folded Spill
.LBB312_217:                            ;   in Loop: Header=BB312_16 Depth=1
	s_or_b32 exec_lo, exec_lo, s27
.LBB312_218:                            ;   in Loop: Header=BB312_16 Depth=1
	s_or_b32 exec_lo, exec_lo, s26
.LBB312_219:                            ;   in Loop: Header=BB312_16 Depth=1
	s_or_b32 exec_lo, exec_lo, s25
	v_mov_b32_e32 v0, 0
	v_lshrrev_b16 v8, 8, v31
	s_mov_b32 s25, exec_lo
	buffer_store_dword v0, off, s[0:3], s32 offset:304 ; 4-byte Folded Spill
	v_mov_b32_e32 v0, 0
	buffer_store_dword v0, off, s[0:3], s32 offset:300 ; 4-byte Folded Spill
	v_cmpx_ne_u16_e32 0, v8
	s_cbranch_execz .LBB312_227
; %bb.220:                              ;   in Loop: Header=BB312_16 Depth=1
	v_bfrev_b32_e32 v0, 1
	s_mov_b32 s26, exec_lo
	buffer_store_dword v0, off, s[0:3], s32 offset:300 ; 4-byte Folded Spill
	v_cmpx_ne_u16_e32 0x80, v8
	s_cbranch_execz .LBB312_226
; %bb.221:                              ;   in Loop: Header=BB312_16 Depth=1
	v_mov_b32_e32 v0, 0x7f
	s_mov_b32 s27, exec_lo
	v_and_b32_sdwa v2, v8, v0 dst_sel:DWORD dst_unused:UNUSED_PAD src0_sel:WORD_0 src1_sel:DWORD
	v_mov_b32_e32 v0, 0x7c010000
	buffer_store_dword v0, off, s[0:3], s32 offset:300 ; 4-byte Folded Spill
	v_cmpx_ne_u32_e32 0x7f, v2
	s_cbranch_execz .LBB312_225
; %bb.222:                              ;   in Loop: Header=BB312_16 Depth=1
	v_mov_b32_e32 v0, 7
	v_lshrrev_b32_e32 v1, 3, v2
	s_mov_b32 s28, exec_lo
	v_and_b32_sdwa v0, v8, v0 dst_sel:DWORD dst_unused:UNUSED_PAD src0_sel:WORD_0 src1_sel:DWORD
	v_cmpx_gt_u32_e32 8, v2
; %bb.223:                              ;   in Loop: Header=BB312_16 Depth=1
	v_ffbh_u32_e32 v0, v0
	v_min_u32_e32 v2, 32, v0
	v_subrev_nc_u32_e32 v0, 28, v2
	v_lshlrev_b64 v[0:1], v0, v[8:9]
	v_sub_nc_u32_e32 v1, 29, v2
	v_and_b32_e32 v0, 7, v0
; %bb.224:                              ;   in Loop: Header=BB312_16 Depth=1
	s_or_b32 exec_lo, exec_lo, s28
	v_mov_b32_e32 v2, 8
	v_lshl_add_u32 v1, v1, 10, 0x2000
	v_lshlrev_b32_e32 v0, 23, v0
	v_lshlrev_b32_sdwa v2, v2, v8 dst_sel:DWORD dst_unused:UNUSED_PAD src0_sel:DWORD src1_sel:WORD_0
	v_and_or_b32 v1, 0x8000, v2, v1
	v_lshl_or_b32 v0, v1, 16, v0
	buffer_store_dword v0, off, s[0:3], s32 offset:300 ; 4-byte Folded Spill
.LBB312_225:                            ;   in Loop: Header=BB312_16 Depth=1
	s_or_b32 exec_lo, exec_lo, s27
.LBB312_226:                            ;   in Loop: Header=BB312_16 Depth=1
	s_or_b32 exec_lo, exec_lo, s26
.LBB312_227:                            ;   in Loop: Header=BB312_16 Depth=1
	s_or_b32 exec_lo, exec_lo, s25
	v_lshrrev_b32_e32 v8, 16, v31
	v_cmp_ne_u16_sdwa s5, v8, v9 src0_sel:BYTE_0 src1_sel:DWORD
	s_and_saveexec_b32 s25, s5
	s_cbranch_execz .LBB312_235
; %bb.228:                              ;   in Loop: Header=BB312_16 Depth=1
	v_cmp_ne_u16_sdwa s5, v8, v68 src0_sel:BYTE_0 src1_sel:DWORD
	v_mov_b32_e32 v0, 0x8000
	buffer_store_dword v0, off, s[0:3], s32 offset:304 ; 4-byte Folded Spill
	s_and_saveexec_b32 s26, s5
	s_cbranch_execz .LBB312_234
; %bb.229:                              ;   in Loop: Header=BB312_16 Depth=1
	v_bfe_u32 v2, v31, 16, 7
	v_mov_b32_e32 v0, 0x7c01
	s_mov_b32 s27, exec_lo
	buffer_store_dword v0, off, s[0:3], s32 offset:304 ; 4-byte Folded Spill
	v_cmpx_ne_u32_e32 0x7f, v2
	s_cbranch_execz .LBB312_233
; %bb.230:                              ;   in Loop: Header=BB312_16 Depth=1
	v_and_b32_e32 v0, 7, v8
	v_lshrrev_b32_e32 v1, 3, v2
	s_mov_b32 s28, exec_lo
	v_cmpx_gt_u32_e32 8, v2
; %bb.231:                              ;   in Loop: Header=BB312_16 Depth=1
	v_ffbh_u32_e32 v0, v0
	v_min_u32_e32 v2, 32, v0
	v_subrev_nc_u32_e32 v0, 28, v2
	v_lshlrev_b64 v[0:1], v0, v[8:9]
	v_sub_nc_u32_e32 v1, 29, v2
	v_and_b32_e32 v0, 7, v0
; %bb.232:                              ;   in Loop: Header=BB312_16 Depth=1
	s_or_b32 exec_lo, exec_lo, s28
	v_lshlrev_b32_e32 v2, 8, v8
	v_lshl_add_u32 v1, v1, 10, 0x2000
	v_lshlrev_b32_e32 v0, 7, v0
	v_and_b32_e32 v2, 0x8000, v2
	v_and_b32_e32 v1, 0xfc00, v1
	v_or3_b32 v0, v2, v1, v0
	buffer_store_dword v0, off, s[0:3], s32 offset:304 ; 4-byte Folded Spill
.LBB312_233:                            ;   in Loop: Header=BB312_16 Depth=1
	s_or_b32 exec_lo, exec_lo, s27
.LBB312_234:                            ;   in Loop: Header=BB312_16 Depth=1
	s_or_b32 exec_lo, exec_lo, s26
.LBB312_235:                            ;   in Loop: Header=BB312_16 Depth=1
	s_or_b32 exec_lo, exec_lo, s25
	v_mov_b32_e32 v0, 0
	s_mov_b32 s25, exec_lo
	buffer_store_dword v0, off, s[0:3], s32 offset:308 ; 4-byte Folded Spill
	v_mov_b32_e32 v0, 0
	buffer_store_dword v0, off, s[0:3], s32 offset:312 ; 4-byte Folded Spill
	v_cmpx_lt_u32_e32 0xffffff, v31
	s_cbranch_execz .LBB312_243
; %bb.236:                              ;   in Loop: Header=BB312_16 Depth=1
	v_lshrrev_b32_e32 v8, 24, v31
	v_bfrev_b32_e32 v0, 1
	s_mov_b32 s26, exec_lo
	buffer_store_dword v0, off, s[0:3], s32 offset:312 ; 4-byte Folded Spill
	v_cmpx_ne_u32_e32 0x80, v8
	s_cbranch_execz .LBB312_242
; %bb.237:                              ;   in Loop: Header=BB312_16 Depth=1
	v_and_b32_e32 v2, 0x7f, v8
	v_mov_b32_e32 v0, 0x7c010000
	s_mov_b32 s27, exec_lo
	buffer_store_dword v0, off, s[0:3], s32 offset:312 ; 4-byte Folded Spill
	v_cmpx_ne_u32_e32 0x7f, v2
	s_cbranch_execz .LBB312_241
; %bb.238:                              ;   in Loop: Header=BB312_16 Depth=1
	v_and_b32_e32 v0, 7, v8
	v_lshrrev_b32_e32 v1, 3, v2
	s_mov_b32 s28, exec_lo
	v_cmpx_gt_u32_e32 8, v2
; %bb.239:                              ;   in Loop: Header=BB312_16 Depth=1
	v_ffbh_u32_e32 v0, v0
	v_min_u32_e32 v2, 32, v0
	v_subrev_nc_u32_e32 v0, 28, v2
	v_lshlrev_b64 v[0:1], v0, v[8:9]
	v_sub_nc_u32_e32 v1, 29, v2
	v_and_b32_e32 v0, 7, v0
; %bb.240:                              ;   in Loop: Header=BB312_16 Depth=1
	s_or_b32 exec_lo, exec_lo, s28
	v_lshlrev_b32_e32 v2, 8, v8
	v_lshl_add_u32 v1, v1, 10, 0x2000
	v_lshlrev_b32_e32 v0, 23, v0
	v_and_or_b32 v1, 0x8000, v2, v1
	v_lshl_or_b32 v0, v1, 16, v0
	buffer_store_dword v0, off, s[0:3], s32 offset:312 ; 4-byte Folded Spill
.LBB312_241:                            ;   in Loop: Header=BB312_16 Depth=1
	s_or_b32 exec_lo, exec_lo, s27
.LBB312_242:                            ;   in Loop: Header=BB312_16 Depth=1
	s_or_b32 exec_lo, exec_lo, s26
.LBB312_243:                            ;   in Loop: Header=BB312_16 Depth=1
	s_or_b32 exec_lo, exec_lo, s25
	v_mov_b32_e32 v8, v32
	v_cmp_ne_u16_sdwa s5, v32, v9 src0_sel:BYTE_0 src1_sel:DWORD
	s_and_saveexec_b32 s25, s5
	s_cbranch_execz .LBB312_251
; %bb.244:                              ;   in Loop: Header=BB312_16 Depth=1
	v_cmp_ne_u16_sdwa s5, v32, v68 src0_sel:BYTE_0 src1_sel:DWORD
	v_mov_b32_e32 v0, 0x8000
	buffer_store_dword v0, off, s[0:3], s32 offset:308 ; 4-byte Folded Spill
	s_and_saveexec_b32 s26, s5
	s_cbranch_execz .LBB312_250
; %bb.245:                              ;   in Loop: Header=BB312_16 Depth=1
	v_and_b32_e32 v2, 0x7f, v32
	v_mov_b32_e32 v0, 0x7c01
	s_mov_b32 s27, exec_lo
	buffer_store_dword v0, off, s[0:3], s32 offset:308 ; 4-byte Folded Spill
	v_cmpx_ne_u32_e32 0x7f, v2
	s_cbranch_execz .LBB312_249
; %bb.246:                              ;   in Loop: Header=BB312_16 Depth=1
	v_and_b32_e32 v0, 7, v32
	v_lshrrev_b32_e32 v1, 3, v2
	s_mov_b32 s28, exec_lo
	v_cmpx_gt_u32_e32 8, v2
; %bb.247:                              ;   in Loop: Header=BB312_16 Depth=1
	v_ffbh_u32_e32 v0, v0
	v_min_u32_e32 v2, 32, v0
	v_subrev_nc_u32_e32 v0, 28, v2
	v_lshlrev_b64 v[0:1], v0, v[8:9]
	v_sub_nc_u32_e32 v1, 29, v2
	v_and_b32_e32 v0, 7, v0
; %bb.248:                              ;   in Loop: Header=BB312_16 Depth=1
	s_or_b32 exec_lo, exec_lo, s28
	v_lshlrev_b32_e32 v2, 8, v32
	v_lshl_add_u32 v1, v1, 10, 0x2000
	v_lshlrev_b32_e32 v0, 7, v0
	v_and_b32_e32 v2, 0x8000, v2
	v_and_b32_e32 v1, 0xfc00, v1
	v_or3_b32 v0, v2, v1, v0
	buffer_store_dword v0, off, s[0:3], s32 offset:308 ; 4-byte Folded Spill
.LBB312_249:                            ;   in Loop: Header=BB312_16 Depth=1
	s_or_b32 exec_lo, exec_lo, s27
.LBB312_250:                            ;   in Loop: Header=BB312_16 Depth=1
	s_or_b32 exec_lo, exec_lo, s26
.LBB312_251:                            ;   in Loop: Header=BB312_16 Depth=1
	s_or_b32 exec_lo, exec_lo, s25
	v_mov_b32_e32 v0, 0
	v_lshrrev_b16 v8, 8, v8
	s_mov_b32 s25, exec_lo
	buffer_store_dword v0, off, s[0:3], s32 offset:316 ; 4-byte Folded Spill
	v_mov_b32_e32 v0, 0
	buffer_store_dword v0, off, s[0:3], s32 offset:320 ; 4-byte Folded Spill
	v_cmpx_ne_u16_e32 0, v8
	s_cbranch_execz .LBB312_259
; %bb.252:                              ;   in Loop: Header=BB312_16 Depth=1
	v_bfrev_b32_e32 v0, 1
	s_mov_b32 s26, exec_lo
	buffer_store_dword v0, off, s[0:3], s32 offset:320 ; 4-byte Folded Spill
	v_cmpx_ne_u16_e32 0x80, v8
	s_cbranch_execz .LBB312_258
; %bb.253:                              ;   in Loop: Header=BB312_16 Depth=1
	v_mov_b32_e32 v0, 0x7f
	s_mov_b32 s27, exec_lo
	v_and_b32_sdwa v2, v8, v0 dst_sel:DWORD dst_unused:UNUSED_PAD src0_sel:WORD_0 src1_sel:DWORD
	v_mov_b32_e32 v0, 0x7c010000
	buffer_store_dword v0, off, s[0:3], s32 offset:320 ; 4-byte Folded Spill
	v_cmpx_ne_u32_e32 0x7f, v2
	s_cbranch_execz .LBB312_257
; %bb.254:                              ;   in Loop: Header=BB312_16 Depth=1
	v_mov_b32_e32 v0, 7
	v_lshrrev_b32_e32 v1, 3, v2
	s_mov_b32 s28, exec_lo
	v_and_b32_sdwa v0, v8, v0 dst_sel:DWORD dst_unused:UNUSED_PAD src0_sel:WORD_0 src1_sel:DWORD
	v_cmpx_gt_u32_e32 8, v2
; %bb.255:                              ;   in Loop: Header=BB312_16 Depth=1
	v_ffbh_u32_e32 v0, v0
	v_min_u32_e32 v2, 32, v0
	v_subrev_nc_u32_e32 v0, 28, v2
	v_lshlrev_b64 v[0:1], v0, v[8:9]
	v_sub_nc_u32_e32 v1, 29, v2
	v_and_b32_e32 v0, 7, v0
; %bb.256:                              ;   in Loop: Header=BB312_16 Depth=1
	s_or_b32 exec_lo, exec_lo, s28
	v_mov_b32_e32 v2, 8
	v_lshl_add_u32 v1, v1, 10, 0x2000
	v_lshlrev_b32_e32 v0, 23, v0
	v_lshlrev_b32_sdwa v2, v2, v8 dst_sel:DWORD dst_unused:UNUSED_PAD src0_sel:DWORD src1_sel:WORD_0
	v_and_or_b32 v1, 0x8000, v2, v1
	v_lshl_or_b32 v0, v1, 16, v0
	buffer_store_dword v0, off, s[0:3], s32 offset:320 ; 4-byte Folded Spill
.LBB312_257:                            ;   in Loop: Header=BB312_16 Depth=1
	s_or_b32 exec_lo, exec_lo, s27
.LBB312_258:                            ;   in Loop: Header=BB312_16 Depth=1
	s_or_b32 exec_lo, exec_lo, s26
.LBB312_259:                            ;   in Loop: Header=BB312_16 Depth=1
	s_or_b32 exec_lo, exec_lo, s25
	v_lshrrev_b32_e32 v8, 16, v32
	v_cmp_ne_u16_sdwa s5, v8, v9 src0_sel:BYTE_0 src1_sel:DWORD
	s_and_saveexec_b32 s25, s5
	s_cbranch_execz .LBB312_267
; %bb.260:                              ;   in Loop: Header=BB312_16 Depth=1
	v_cmp_ne_u16_sdwa s5, v8, v68 src0_sel:BYTE_0 src1_sel:DWORD
	v_mov_b32_e32 v0, 0x8000
	buffer_store_dword v0, off, s[0:3], s32 offset:316 ; 4-byte Folded Spill
	s_and_saveexec_b32 s26, s5
	s_cbranch_execz .LBB312_266
; %bb.261:                              ;   in Loop: Header=BB312_16 Depth=1
	v_bfe_u32 v2, v32, 16, 7
	v_mov_b32_e32 v0, 0x7c01
	s_mov_b32 s27, exec_lo
	buffer_store_dword v0, off, s[0:3], s32 offset:316 ; 4-byte Folded Spill
	v_cmpx_ne_u32_e32 0x7f, v2
	s_cbranch_execz .LBB312_265
; %bb.262:                              ;   in Loop: Header=BB312_16 Depth=1
	v_and_b32_e32 v0, 7, v8
	v_lshrrev_b32_e32 v1, 3, v2
	s_mov_b32 s28, exec_lo
	v_cmpx_gt_u32_e32 8, v2
; %bb.263:                              ;   in Loop: Header=BB312_16 Depth=1
	v_ffbh_u32_e32 v0, v0
	v_min_u32_e32 v2, 32, v0
	v_subrev_nc_u32_e32 v0, 28, v2
	v_lshlrev_b64 v[0:1], v0, v[8:9]
	v_sub_nc_u32_e32 v1, 29, v2
	v_and_b32_e32 v0, 7, v0
; %bb.264:                              ;   in Loop: Header=BB312_16 Depth=1
	s_or_b32 exec_lo, exec_lo, s28
	v_lshlrev_b32_e32 v2, 8, v8
	v_lshl_add_u32 v1, v1, 10, 0x2000
	v_lshlrev_b32_e32 v0, 7, v0
	v_and_b32_e32 v2, 0x8000, v2
	v_and_b32_e32 v1, 0xfc00, v1
	v_or3_b32 v0, v2, v1, v0
	buffer_store_dword v0, off, s[0:3], s32 offset:316 ; 4-byte Folded Spill
.LBB312_265:                            ;   in Loop: Header=BB312_16 Depth=1
	s_or_b32 exec_lo, exec_lo, s27
.LBB312_266:                            ;   in Loop: Header=BB312_16 Depth=1
	s_or_b32 exec_lo, exec_lo, s26
.LBB312_267:                            ;   in Loop: Header=BB312_16 Depth=1
	s_or_b32 exec_lo, exec_lo, s25
	v_mov_b32_e32 v0, 0
	s_mov_b32 s25, exec_lo
	buffer_store_dword v0, off, s[0:3], s32 offset:324 ; 4-byte Folded Spill
	v_mov_b32_e32 v0, 0
	buffer_store_dword v0, off, s[0:3], s32 offset:520 ; 4-byte Folded Spill
	v_cmpx_lt_u64_e64 s[20:21], v[31:32]
	s_cbranch_execz .LBB312_275
; %bb.268:                              ;   in Loop: Header=BB312_16 Depth=1
	v_lshrrev_b32_e32 v8, 24, v32
	v_bfrev_b32_e32 v0, 1
	s_mov_b32 s26, exec_lo
	v_cmpx_ne_u32_e32 0x80, v8
	s_cbranch_execz .LBB312_274
; %bb.269:                              ;   in Loop: Header=BB312_16 Depth=1
	v_and_b32_e32 v2, 0x7f, v8
	v_mov_b32_e32 v0, 0x7c010000
	s_mov_b32 s27, exec_lo
	v_cmpx_ne_u32_e32 0x7f, v2
	s_cbranch_execz .LBB312_273
; %bb.270:                              ;   in Loop: Header=BB312_16 Depth=1
	v_and_b32_e32 v0, 7, v8
	v_lshrrev_b32_e32 v1, 3, v2
	s_mov_b32 s28, exec_lo
	v_cmpx_gt_u32_e32 8, v2
; %bb.271:                              ;   in Loop: Header=BB312_16 Depth=1
	v_ffbh_u32_e32 v0, v0
	v_min_u32_e32 v2, 32, v0
	v_subrev_nc_u32_e32 v0, 28, v2
	v_lshlrev_b64 v[0:1], v0, v[8:9]
	v_sub_nc_u32_e32 v1, 29, v2
	v_and_b32_e32 v0, 7, v0
; %bb.272:                              ;   in Loop: Header=BB312_16 Depth=1
	s_or_b32 exec_lo, exec_lo, s28
	v_lshlrev_b32_e32 v2, 8, v8
	v_lshl_add_u32 v1, v1, 10, 0x2000
	v_lshlrev_b32_e32 v0, 23, v0
	v_and_or_b32 v1, 0x8000, v2, v1
	v_lshl_or_b32 v0, v1, 16, v0
.LBB312_273:                            ;   in Loop: Header=BB312_16 Depth=1
	s_or_b32 exec_lo, exec_lo, s27
.LBB312_274:                            ;   in Loop: Header=BB312_16 Depth=1
	s_or_b32 exec_lo, exec_lo, s26
	buffer_store_dword v0, off, s[0:3], s32 offset:520 ; 4-byte Folded Spill
.LBB312_275:                            ;   in Loop: Header=BB312_16 Depth=1
	s_or_b32 exec_lo, exec_lo, s25
	flat_load_dwordx2 v[31:32], v[28:29] offset:1024
	s_waitcnt vmcnt(0) lgkmcnt(0)
	v_cmp_ne_u16_sdwa s5, v31, v9 src0_sel:BYTE_0 src1_sel:DWORD
	s_and_saveexec_b32 s25, s5
	s_cbranch_execz .LBB312_283
; %bb.276:                              ;   in Loop: Header=BB312_16 Depth=1
	v_cmp_ne_u16_sdwa s5, v31, v68 src0_sel:BYTE_0 src1_sel:DWORD
	v_mov_b32_e32 v0, 0x8000
	buffer_store_dword v0, off, s[0:3], s32 offset:324 ; 4-byte Folded Spill
	s_and_saveexec_b32 s26, s5
	s_cbranch_execz .LBB312_282
; %bb.277:                              ;   in Loop: Header=BB312_16 Depth=1
	v_and_b32_e32 v2, 0x7f, v31
	v_mov_b32_e32 v0, 0x7c01
	s_mov_b32 s27, exec_lo
	buffer_store_dword v0, off, s[0:3], s32 offset:324 ; 4-byte Folded Spill
	v_cmpx_ne_u32_e32 0x7f, v2
	s_cbranch_execz .LBB312_281
; %bb.278:                              ;   in Loop: Header=BB312_16 Depth=1
	v_and_b32_e32 v0, 7, v31
	v_lshrrev_b32_e32 v1, 3, v2
	s_mov_b32 s28, exec_lo
	v_cmpx_gt_u32_e32 8, v2
; %bb.279:                              ;   in Loop: Header=BB312_16 Depth=1
	v_ffbh_u32_e32 v0, v0
	v_min_u32_e32 v2, 32, v0
	v_subrev_nc_u32_e32 v0, 28, v2
	v_lshlrev_b64 v[0:1], v0, v[31:32]
	v_sub_nc_u32_e32 v1, 29, v2
	v_and_b32_e32 v0, 7, v0
; %bb.280:                              ;   in Loop: Header=BB312_16 Depth=1
	s_or_b32 exec_lo, exec_lo, s28
	v_lshlrev_b32_e32 v2, 8, v31
	v_lshl_add_u32 v1, v1, 10, 0x2000
	v_lshlrev_b32_e32 v0, 7, v0
	v_and_b32_e32 v2, 0x8000, v2
	v_and_b32_e32 v1, 0xfc00, v1
	v_or3_b32 v0, v2, v1, v0
	buffer_store_dword v0, off, s[0:3], s32 offset:324 ; 4-byte Folded Spill
.LBB312_281:                            ;   in Loop: Header=BB312_16 Depth=1
	s_or_b32 exec_lo, exec_lo, s27
.LBB312_282:                            ;   in Loop: Header=BB312_16 Depth=1
	s_or_b32 exec_lo, exec_lo, s26
.LBB312_283:                            ;   in Loop: Header=BB312_16 Depth=1
	s_or_b32 exec_lo, exec_lo, s25
	v_mov_b32_e32 v0, 0
	v_lshrrev_b16 v8, 8, v31
	s_mov_b32 s25, exec_lo
	buffer_store_dword v0, off, s[0:3], s32 offset:332 ; 4-byte Folded Spill
	v_mov_b32_e32 v0, 0
	buffer_store_dword v0, off, s[0:3], s32 offset:328 ; 4-byte Folded Spill
	v_cmpx_ne_u16_e32 0, v8
	s_cbranch_execz .LBB312_291
; %bb.284:                              ;   in Loop: Header=BB312_16 Depth=1
	v_bfrev_b32_e32 v0, 1
	s_mov_b32 s26, exec_lo
	buffer_store_dword v0, off, s[0:3], s32 offset:328 ; 4-byte Folded Spill
	v_cmpx_ne_u16_e32 0x80, v8
	s_cbranch_execz .LBB312_290
; %bb.285:                              ;   in Loop: Header=BB312_16 Depth=1
	v_mov_b32_e32 v0, 0x7f
	s_mov_b32 s27, exec_lo
	v_and_b32_sdwa v2, v8, v0 dst_sel:DWORD dst_unused:UNUSED_PAD src0_sel:WORD_0 src1_sel:DWORD
	v_mov_b32_e32 v0, 0x7c010000
	buffer_store_dword v0, off, s[0:3], s32 offset:328 ; 4-byte Folded Spill
	v_cmpx_ne_u32_e32 0x7f, v2
	s_cbranch_execz .LBB312_289
; %bb.286:                              ;   in Loop: Header=BB312_16 Depth=1
	v_mov_b32_e32 v0, 7
	v_lshrrev_b32_e32 v1, 3, v2
	s_mov_b32 s28, exec_lo
	v_and_b32_sdwa v0, v8, v0 dst_sel:DWORD dst_unused:UNUSED_PAD src0_sel:WORD_0 src1_sel:DWORD
	v_cmpx_gt_u32_e32 8, v2
; %bb.287:                              ;   in Loop: Header=BB312_16 Depth=1
	v_ffbh_u32_e32 v0, v0
	v_min_u32_e32 v2, 32, v0
	v_subrev_nc_u32_e32 v0, 28, v2
	v_lshlrev_b64 v[0:1], v0, v[8:9]
	v_sub_nc_u32_e32 v1, 29, v2
	v_and_b32_e32 v0, 7, v0
; %bb.288:                              ;   in Loop: Header=BB312_16 Depth=1
	s_or_b32 exec_lo, exec_lo, s28
	v_mov_b32_e32 v2, 8
	v_lshl_add_u32 v1, v1, 10, 0x2000
	v_lshlrev_b32_e32 v0, 23, v0
	v_lshlrev_b32_sdwa v2, v2, v8 dst_sel:DWORD dst_unused:UNUSED_PAD src0_sel:DWORD src1_sel:WORD_0
	v_and_or_b32 v1, 0x8000, v2, v1
	v_lshl_or_b32 v0, v1, 16, v0
	buffer_store_dword v0, off, s[0:3], s32 offset:328 ; 4-byte Folded Spill
.LBB312_289:                            ;   in Loop: Header=BB312_16 Depth=1
	s_or_b32 exec_lo, exec_lo, s27
.LBB312_290:                            ;   in Loop: Header=BB312_16 Depth=1
	s_or_b32 exec_lo, exec_lo, s26
.LBB312_291:                            ;   in Loop: Header=BB312_16 Depth=1
	s_or_b32 exec_lo, exec_lo, s25
	v_lshrrev_b32_e32 v8, 16, v31
	v_cmp_ne_u16_sdwa s5, v8, v9 src0_sel:BYTE_0 src1_sel:DWORD
	s_and_saveexec_b32 s25, s5
	s_cbranch_execz .LBB312_299
; %bb.292:                              ;   in Loop: Header=BB312_16 Depth=1
	v_cmp_ne_u16_sdwa s5, v8, v68 src0_sel:BYTE_0 src1_sel:DWORD
	v_mov_b32_e32 v0, 0x8000
	buffer_store_dword v0, off, s[0:3], s32 offset:332 ; 4-byte Folded Spill
	s_and_saveexec_b32 s26, s5
	s_cbranch_execz .LBB312_298
; %bb.293:                              ;   in Loop: Header=BB312_16 Depth=1
	v_bfe_u32 v2, v31, 16, 7
	v_mov_b32_e32 v0, 0x7c01
	s_mov_b32 s27, exec_lo
	buffer_store_dword v0, off, s[0:3], s32 offset:332 ; 4-byte Folded Spill
	v_cmpx_ne_u32_e32 0x7f, v2
	s_cbranch_execz .LBB312_297
; %bb.294:                              ;   in Loop: Header=BB312_16 Depth=1
	v_and_b32_e32 v0, 7, v8
	v_lshrrev_b32_e32 v1, 3, v2
	s_mov_b32 s28, exec_lo
	v_cmpx_gt_u32_e32 8, v2
; %bb.295:                              ;   in Loop: Header=BB312_16 Depth=1
	v_ffbh_u32_e32 v0, v0
	v_min_u32_e32 v2, 32, v0
	v_subrev_nc_u32_e32 v0, 28, v2
	v_lshlrev_b64 v[0:1], v0, v[8:9]
	v_sub_nc_u32_e32 v1, 29, v2
	v_and_b32_e32 v0, 7, v0
; %bb.296:                              ;   in Loop: Header=BB312_16 Depth=1
	s_or_b32 exec_lo, exec_lo, s28
	v_lshlrev_b32_e32 v2, 8, v8
	v_lshl_add_u32 v1, v1, 10, 0x2000
	v_lshlrev_b32_e32 v0, 7, v0
	v_and_b32_e32 v2, 0x8000, v2
	v_and_b32_e32 v1, 0xfc00, v1
	v_or3_b32 v0, v2, v1, v0
	buffer_store_dword v0, off, s[0:3], s32 offset:332 ; 4-byte Folded Spill
.LBB312_297:                            ;   in Loop: Header=BB312_16 Depth=1
	s_or_b32 exec_lo, exec_lo, s27
.LBB312_298:                            ;   in Loop: Header=BB312_16 Depth=1
	s_or_b32 exec_lo, exec_lo, s26
.LBB312_299:                            ;   in Loop: Header=BB312_16 Depth=1
	s_or_b32 exec_lo, exec_lo, s25
	v_mov_b32_e32 v0, 0
	s_mov_b32 s25, exec_lo
	buffer_store_dword v0, off, s[0:3], s32 offset:336 ; 4-byte Folded Spill
	v_mov_b32_e32 v0, 0
	buffer_store_dword v0, off, s[0:3], s32 offset:340 ; 4-byte Folded Spill
	v_cmpx_lt_u32_e32 0xffffff, v31
	s_cbranch_execz .LBB312_307
; %bb.300:                              ;   in Loop: Header=BB312_16 Depth=1
	v_lshrrev_b32_e32 v8, 24, v31
	v_bfrev_b32_e32 v0, 1
	s_mov_b32 s26, exec_lo
	buffer_store_dword v0, off, s[0:3], s32 offset:340 ; 4-byte Folded Spill
	v_cmpx_ne_u32_e32 0x80, v8
	s_cbranch_execz .LBB312_306
; %bb.301:                              ;   in Loop: Header=BB312_16 Depth=1
	v_and_b32_e32 v2, 0x7f, v8
	v_mov_b32_e32 v0, 0x7c010000
	s_mov_b32 s27, exec_lo
	buffer_store_dword v0, off, s[0:3], s32 offset:340 ; 4-byte Folded Spill
	v_cmpx_ne_u32_e32 0x7f, v2
	s_cbranch_execz .LBB312_305
; %bb.302:                              ;   in Loop: Header=BB312_16 Depth=1
	v_and_b32_e32 v0, 7, v8
	v_lshrrev_b32_e32 v1, 3, v2
	s_mov_b32 s28, exec_lo
	v_cmpx_gt_u32_e32 8, v2
; %bb.303:                              ;   in Loop: Header=BB312_16 Depth=1
	v_ffbh_u32_e32 v0, v0
	v_min_u32_e32 v2, 32, v0
	v_subrev_nc_u32_e32 v0, 28, v2
	v_lshlrev_b64 v[0:1], v0, v[8:9]
	v_sub_nc_u32_e32 v1, 29, v2
	v_and_b32_e32 v0, 7, v0
; %bb.304:                              ;   in Loop: Header=BB312_16 Depth=1
	s_or_b32 exec_lo, exec_lo, s28
	v_lshlrev_b32_e32 v2, 8, v8
	v_lshl_add_u32 v1, v1, 10, 0x2000
	v_lshlrev_b32_e32 v0, 23, v0
	v_and_or_b32 v1, 0x8000, v2, v1
	v_lshl_or_b32 v0, v1, 16, v0
	buffer_store_dword v0, off, s[0:3], s32 offset:340 ; 4-byte Folded Spill
.LBB312_305:                            ;   in Loop: Header=BB312_16 Depth=1
	s_or_b32 exec_lo, exec_lo, s27
.LBB312_306:                            ;   in Loop: Header=BB312_16 Depth=1
	s_or_b32 exec_lo, exec_lo, s26
.LBB312_307:                            ;   in Loop: Header=BB312_16 Depth=1
	s_or_b32 exec_lo, exec_lo, s25
	v_mov_b32_e32 v8, v32
	v_cmp_ne_u16_sdwa s5, v32, v9 src0_sel:BYTE_0 src1_sel:DWORD
	s_and_saveexec_b32 s25, s5
	s_cbranch_execz .LBB312_315
; %bb.308:                              ;   in Loop: Header=BB312_16 Depth=1
	v_cmp_ne_u16_sdwa s5, v32, v68 src0_sel:BYTE_0 src1_sel:DWORD
	v_mov_b32_e32 v0, 0x8000
	buffer_store_dword v0, off, s[0:3], s32 offset:336 ; 4-byte Folded Spill
	s_and_saveexec_b32 s26, s5
	s_cbranch_execz .LBB312_314
; %bb.309:                              ;   in Loop: Header=BB312_16 Depth=1
	v_and_b32_e32 v2, 0x7f, v32
	v_mov_b32_e32 v0, 0x7c01
	s_mov_b32 s27, exec_lo
	buffer_store_dword v0, off, s[0:3], s32 offset:336 ; 4-byte Folded Spill
	v_cmpx_ne_u32_e32 0x7f, v2
	s_cbranch_execz .LBB312_313
; %bb.310:                              ;   in Loop: Header=BB312_16 Depth=1
	v_and_b32_e32 v0, 7, v32
	v_lshrrev_b32_e32 v1, 3, v2
	s_mov_b32 s28, exec_lo
	v_cmpx_gt_u32_e32 8, v2
; %bb.311:                              ;   in Loop: Header=BB312_16 Depth=1
	v_ffbh_u32_e32 v0, v0
	v_min_u32_e32 v2, 32, v0
	v_subrev_nc_u32_e32 v0, 28, v2
	v_lshlrev_b64 v[0:1], v0, v[8:9]
	v_sub_nc_u32_e32 v1, 29, v2
	v_and_b32_e32 v0, 7, v0
; %bb.312:                              ;   in Loop: Header=BB312_16 Depth=1
	s_or_b32 exec_lo, exec_lo, s28
	v_lshlrev_b32_e32 v2, 8, v32
	v_lshl_add_u32 v1, v1, 10, 0x2000
	v_lshlrev_b32_e32 v0, 7, v0
	v_and_b32_e32 v2, 0x8000, v2
	v_and_b32_e32 v1, 0xfc00, v1
	v_or3_b32 v0, v2, v1, v0
	buffer_store_dword v0, off, s[0:3], s32 offset:336 ; 4-byte Folded Spill
.LBB312_313:                            ;   in Loop: Header=BB312_16 Depth=1
	s_or_b32 exec_lo, exec_lo, s27
.LBB312_314:                            ;   in Loop: Header=BB312_16 Depth=1
	s_or_b32 exec_lo, exec_lo, s26
.LBB312_315:                            ;   in Loop: Header=BB312_16 Depth=1
	s_or_b32 exec_lo, exec_lo, s25
	v_mov_b32_e32 v0, 0
	v_lshrrev_b16 v8, 8, v8
	s_mov_b32 s25, exec_lo
	buffer_store_dword v0, off, s[0:3], s32 offset:344 ; 4-byte Folded Spill
	v_mov_b32_e32 v0, 0
	buffer_store_dword v0, off, s[0:3], s32 offset:348 ; 4-byte Folded Spill
	v_cmpx_ne_u16_e32 0, v8
	s_cbranch_execz .LBB312_323
; %bb.316:                              ;   in Loop: Header=BB312_16 Depth=1
	v_bfrev_b32_e32 v0, 1
	s_mov_b32 s26, exec_lo
	buffer_store_dword v0, off, s[0:3], s32 offset:348 ; 4-byte Folded Spill
	v_cmpx_ne_u16_e32 0x80, v8
	s_cbranch_execz .LBB312_322
; %bb.317:                              ;   in Loop: Header=BB312_16 Depth=1
	v_mov_b32_e32 v0, 0x7f
	s_mov_b32 s27, exec_lo
	v_and_b32_sdwa v2, v8, v0 dst_sel:DWORD dst_unused:UNUSED_PAD src0_sel:WORD_0 src1_sel:DWORD
	v_mov_b32_e32 v0, 0x7c010000
	buffer_store_dword v0, off, s[0:3], s32 offset:348 ; 4-byte Folded Spill
	v_cmpx_ne_u32_e32 0x7f, v2
	s_cbranch_execz .LBB312_321
; %bb.318:                              ;   in Loop: Header=BB312_16 Depth=1
	v_mov_b32_e32 v0, 7
	v_lshrrev_b32_e32 v1, 3, v2
	s_mov_b32 s28, exec_lo
	v_and_b32_sdwa v0, v8, v0 dst_sel:DWORD dst_unused:UNUSED_PAD src0_sel:WORD_0 src1_sel:DWORD
	v_cmpx_gt_u32_e32 8, v2
; %bb.319:                              ;   in Loop: Header=BB312_16 Depth=1
	v_ffbh_u32_e32 v0, v0
	v_min_u32_e32 v2, 32, v0
	v_subrev_nc_u32_e32 v0, 28, v2
	v_lshlrev_b64 v[0:1], v0, v[8:9]
	v_sub_nc_u32_e32 v1, 29, v2
	v_and_b32_e32 v0, 7, v0
; %bb.320:                              ;   in Loop: Header=BB312_16 Depth=1
	s_or_b32 exec_lo, exec_lo, s28
	v_mov_b32_e32 v2, 8
	v_lshl_add_u32 v1, v1, 10, 0x2000
	v_lshlrev_b32_e32 v0, 23, v0
	v_lshlrev_b32_sdwa v2, v2, v8 dst_sel:DWORD dst_unused:UNUSED_PAD src0_sel:DWORD src1_sel:WORD_0
	v_and_or_b32 v1, 0x8000, v2, v1
	v_lshl_or_b32 v0, v1, 16, v0
	buffer_store_dword v0, off, s[0:3], s32 offset:348 ; 4-byte Folded Spill
.LBB312_321:                            ;   in Loop: Header=BB312_16 Depth=1
	s_or_b32 exec_lo, exec_lo, s27
.LBB312_322:                            ;   in Loop: Header=BB312_16 Depth=1
	s_or_b32 exec_lo, exec_lo, s26
.LBB312_323:                            ;   in Loop: Header=BB312_16 Depth=1
	s_or_b32 exec_lo, exec_lo, s25
	v_lshrrev_b32_e32 v8, 16, v32
	v_cmp_ne_u16_sdwa s5, v8, v9 src0_sel:BYTE_0 src1_sel:DWORD
	s_and_saveexec_b32 s25, s5
	s_cbranch_execz .LBB312_331
; %bb.324:                              ;   in Loop: Header=BB312_16 Depth=1
	v_cmp_ne_u16_sdwa s5, v8, v68 src0_sel:BYTE_0 src1_sel:DWORD
	v_mov_b32_e32 v0, 0x8000
	buffer_store_dword v0, off, s[0:3], s32 offset:344 ; 4-byte Folded Spill
	s_and_saveexec_b32 s26, s5
	s_cbranch_execz .LBB312_330
; %bb.325:                              ;   in Loop: Header=BB312_16 Depth=1
	v_bfe_u32 v2, v32, 16, 7
	v_mov_b32_e32 v0, 0x7c01
	s_mov_b32 s27, exec_lo
	buffer_store_dword v0, off, s[0:3], s32 offset:344 ; 4-byte Folded Spill
	v_cmpx_ne_u32_e32 0x7f, v2
	s_cbranch_execz .LBB312_329
; %bb.326:                              ;   in Loop: Header=BB312_16 Depth=1
	v_and_b32_e32 v0, 7, v8
	v_lshrrev_b32_e32 v1, 3, v2
	s_mov_b32 s28, exec_lo
	v_cmpx_gt_u32_e32 8, v2
; %bb.327:                              ;   in Loop: Header=BB312_16 Depth=1
	v_ffbh_u32_e32 v0, v0
	v_min_u32_e32 v2, 32, v0
	v_subrev_nc_u32_e32 v0, 28, v2
	v_lshlrev_b64 v[0:1], v0, v[8:9]
	v_sub_nc_u32_e32 v1, 29, v2
	v_and_b32_e32 v0, 7, v0
; %bb.328:                              ;   in Loop: Header=BB312_16 Depth=1
	s_or_b32 exec_lo, exec_lo, s28
	v_lshlrev_b32_e32 v2, 8, v8
	v_lshl_add_u32 v1, v1, 10, 0x2000
	v_lshlrev_b32_e32 v0, 7, v0
	v_and_b32_e32 v2, 0x8000, v2
	v_and_b32_e32 v1, 0xfc00, v1
	v_or3_b32 v0, v2, v1, v0
	buffer_store_dword v0, off, s[0:3], s32 offset:344 ; 4-byte Folded Spill
.LBB312_329:                            ;   in Loop: Header=BB312_16 Depth=1
	s_or_b32 exec_lo, exec_lo, s27
.LBB312_330:                            ;   in Loop: Header=BB312_16 Depth=1
	s_or_b32 exec_lo, exec_lo, s26
.LBB312_331:                            ;   in Loop: Header=BB312_16 Depth=1
	s_or_b32 exec_lo, exec_lo, s25
	v_mov_b32_e32 v0, 0
	s_mov_b32 s25, exec_lo
	buffer_store_dword v0, off, s[0:3], s32 offset:352 ; 4-byte Folded Spill
	v_mov_b32_e32 v0, 0
	buffer_store_dword v0, off, s[0:3], s32 offset:524 ; 4-byte Folded Spill
	v_cmpx_lt_u64_e64 s[20:21], v[31:32]
	s_cbranch_execz .LBB312_339
; %bb.332:                              ;   in Loop: Header=BB312_16 Depth=1
	v_lshrrev_b32_e32 v8, 24, v32
	v_bfrev_b32_e32 v0, 1
	s_mov_b32 s26, exec_lo
	v_cmpx_ne_u32_e32 0x80, v8
	s_cbranch_execz .LBB312_338
; %bb.333:                              ;   in Loop: Header=BB312_16 Depth=1
	v_and_b32_e32 v2, 0x7f, v8
	v_mov_b32_e32 v0, 0x7c010000
	s_mov_b32 s27, exec_lo
	v_cmpx_ne_u32_e32 0x7f, v2
	s_cbranch_execz .LBB312_337
; %bb.334:                              ;   in Loop: Header=BB312_16 Depth=1
	v_and_b32_e32 v0, 7, v8
	v_lshrrev_b32_e32 v1, 3, v2
	s_mov_b32 s28, exec_lo
	v_cmpx_gt_u32_e32 8, v2
; %bb.335:                              ;   in Loop: Header=BB312_16 Depth=1
	v_ffbh_u32_e32 v0, v0
	v_min_u32_e32 v2, 32, v0
	v_subrev_nc_u32_e32 v0, 28, v2
	v_lshlrev_b64 v[0:1], v0, v[8:9]
	v_sub_nc_u32_e32 v1, 29, v2
	v_and_b32_e32 v0, 7, v0
; %bb.336:                              ;   in Loop: Header=BB312_16 Depth=1
	s_or_b32 exec_lo, exec_lo, s28
	v_lshlrev_b32_e32 v2, 8, v8
	v_lshl_add_u32 v1, v1, 10, 0x2000
	v_lshlrev_b32_e32 v0, 23, v0
	v_and_or_b32 v1, 0x8000, v2, v1
	v_lshl_or_b32 v0, v1, 16, v0
.LBB312_337:                            ;   in Loop: Header=BB312_16 Depth=1
	s_or_b32 exec_lo, exec_lo, s27
.LBB312_338:                            ;   in Loop: Header=BB312_16 Depth=1
	s_or_b32 exec_lo, exec_lo, s26
	buffer_store_dword v0, off, s[0:3], s32 offset:524 ; 4-byte Folded Spill
.LBB312_339:                            ;   in Loop: Header=BB312_16 Depth=1
	s_or_b32 exec_lo, exec_lo, s25
	flat_load_dwordx2 v[31:32], v[28:29] offset:1032
	s_waitcnt vmcnt(0) lgkmcnt(0)
	v_cmp_ne_u16_sdwa s5, v31, v9 src0_sel:BYTE_0 src1_sel:DWORD
	s_and_saveexec_b32 s25, s5
	s_cbranch_execz .LBB312_347
; %bb.340:                              ;   in Loop: Header=BB312_16 Depth=1
	v_cmp_ne_u16_sdwa s5, v31, v68 src0_sel:BYTE_0 src1_sel:DWORD
	v_mov_b32_e32 v0, 0x8000
	buffer_store_dword v0, off, s[0:3], s32 offset:352 ; 4-byte Folded Spill
	s_and_saveexec_b32 s26, s5
	s_cbranch_execz .LBB312_346
; %bb.341:                              ;   in Loop: Header=BB312_16 Depth=1
	v_and_b32_e32 v2, 0x7f, v31
	v_mov_b32_e32 v0, 0x7c01
	s_mov_b32 s27, exec_lo
	buffer_store_dword v0, off, s[0:3], s32 offset:352 ; 4-byte Folded Spill
	v_cmpx_ne_u32_e32 0x7f, v2
	s_cbranch_execz .LBB312_345
; %bb.342:                              ;   in Loop: Header=BB312_16 Depth=1
	v_and_b32_e32 v0, 7, v31
	v_lshrrev_b32_e32 v1, 3, v2
	s_mov_b32 s28, exec_lo
	v_cmpx_gt_u32_e32 8, v2
; %bb.343:                              ;   in Loop: Header=BB312_16 Depth=1
	v_ffbh_u32_e32 v0, v0
	v_min_u32_e32 v2, 32, v0
	v_subrev_nc_u32_e32 v0, 28, v2
	v_lshlrev_b64 v[0:1], v0, v[31:32]
	v_sub_nc_u32_e32 v1, 29, v2
	v_and_b32_e32 v0, 7, v0
; %bb.344:                              ;   in Loop: Header=BB312_16 Depth=1
	s_or_b32 exec_lo, exec_lo, s28
	v_lshlrev_b32_e32 v2, 8, v31
	v_lshl_add_u32 v1, v1, 10, 0x2000
	v_lshlrev_b32_e32 v0, 7, v0
	v_and_b32_e32 v2, 0x8000, v2
	v_and_b32_e32 v1, 0xfc00, v1
	v_or3_b32 v0, v2, v1, v0
	buffer_store_dword v0, off, s[0:3], s32 offset:352 ; 4-byte Folded Spill
.LBB312_345:                            ;   in Loop: Header=BB312_16 Depth=1
	s_or_b32 exec_lo, exec_lo, s27
.LBB312_346:                            ;   in Loop: Header=BB312_16 Depth=1
	s_or_b32 exec_lo, exec_lo, s26
.LBB312_347:                            ;   in Loop: Header=BB312_16 Depth=1
	s_or_b32 exec_lo, exec_lo, s25
	v_mov_b32_e32 v0, 0
	v_lshrrev_b16 v8, 8, v31
	s_mov_b32 s25, exec_lo
	buffer_store_dword v0, off, s[0:3], s32 offset:360 ; 4-byte Folded Spill
	v_mov_b32_e32 v0, 0
	buffer_store_dword v0, off, s[0:3], s32 offset:356 ; 4-byte Folded Spill
	v_cmpx_ne_u16_e32 0, v8
	s_cbranch_execz .LBB312_355
; %bb.348:                              ;   in Loop: Header=BB312_16 Depth=1
	v_bfrev_b32_e32 v0, 1
	s_mov_b32 s26, exec_lo
	buffer_store_dword v0, off, s[0:3], s32 offset:356 ; 4-byte Folded Spill
	v_cmpx_ne_u16_e32 0x80, v8
	s_cbranch_execz .LBB312_354
; %bb.349:                              ;   in Loop: Header=BB312_16 Depth=1
	v_mov_b32_e32 v0, 0x7f
	s_mov_b32 s27, exec_lo
	v_and_b32_sdwa v2, v8, v0 dst_sel:DWORD dst_unused:UNUSED_PAD src0_sel:WORD_0 src1_sel:DWORD
	v_mov_b32_e32 v0, 0x7c010000
	buffer_store_dword v0, off, s[0:3], s32 offset:356 ; 4-byte Folded Spill
	v_cmpx_ne_u32_e32 0x7f, v2
	s_cbranch_execz .LBB312_353
; %bb.350:                              ;   in Loop: Header=BB312_16 Depth=1
	v_mov_b32_e32 v0, 7
	v_lshrrev_b32_e32 v1, 3, v2
	s_mov_b32 s28, exec_lo
	v_and_b32_sdwa v0, v8, v0 dst_sel:DWORD dst_unused:UNUSED_PAD src0_sel:WORD_0 src1_sel:DWORD
	v_cmpx_gt_u32_e32 8, v2
; %bb.351:                              ;   in Loop: Header=BB312_16 Depth=1
	v_ffbh_u32_e32 v0, v0
	v_min_u32_e32 v2, 32, v0
	v_subrev_nc_u32_e32 v0, 28, v2
	v_lshlrev_b64 v[0:1], v0, v[8:9]
	v_sub_nc_u32_e32 v1, 29, v2
	v_and_b32_e32 v0, 7, v0
; %bb.352:                              ;   in Loop: Header=BB312_16 Depth=1
	s_or_b32 exec_lo, exec_lo, s28
	v_mov_b32_e32 v2, 8
	v_lshl_add_u32 v1, v1, 10, 0x2000
	v_lshlrev_b32_e32 v0, 23, v0
	v_lshlrev_b32_sdwa v2, v2, v8 dst_sel:DWORD dst_unused:UNUSED_PAD src0_sel:DWORD src1_sel:WORD_0
	v_and_or_b32 v1, 0x8000, v2, v1
	v_lshl_or_b32 v0, v1, 16, v0
	buffer_store_dword v0, off, s[0:3], s32 offset:356 ; 4-byte Folded Spill
.LBB312_353:                            ;   in Loop: Header=BB312_16 Depth=1
	s_or_b32 exec_lo, exec_lo, s27
.LBB312_354:                            ;   in Loop: Header=BB312_16 Depth=1
	s_or_b32 exec_lo, exec_lo, s26
.LBB312_355:                            ;   in Loop: Header=BB312_16 Depth=1
	s_or_b32 exec_lo, exec_lo, s25
	v_lshrrev_b32_e32 v8, 16, v31
	v_cmp_ne_u16_sdwa s5, v8, v9 src0_sel:BYTE_0 src1_sel:DWORD
	s_and_saveexec_b32 s25, s5
	s_cbranch_execz .LBB312_363
; %bb.356:                              ;   in Loop: Header=BB312_16 Depth=1
	v_cmp_ne_u16_sdwa s5, v8, v68 src0_sel:BYTE_0 src1_sel:DWORD
	v_mov_b32_e32 v0, 0x8000
	buffer_store_dword v0, off, s[0:3], s32 offset:360 ; 4-byte Folded Spill
	s_and_saveexec_b32 s26, s5
	s_cbranch_execz .LBB312_362
; %bb.357:                              ;   in Loop: Header=BB312_16 Depth=1
	v_bfe_u32 v2, v31, 16, 7
	v_mov_b32_e32 v0, 0x7c01
	s_mov_b32 s27, exec_lo
	buffer_store_dword v0, off, s[0:3], s32 offset:360 ; 4-byte Folded Spill
	v_cmpx_ne_u32_e32 0x7f, v2
	s_cbranch_execz .LBB312_361
; %bb.358:                              ;   in Loop: Header=BB312_16 Depth=1
	v_and_b32_e32 v0, 7, v8
	v_lshrrev_b32_e32 v1, 3, v2
	s_mov_b32 s28, exec_lo
	v_cmpx_gt_u32_e32 8, v2
; %bb.359:                              ;   in Loop: Header=BB312_16 Depth=1
	v_ffbh_u32_e32 v0, v0
	v_min_u32_e32 v2, 32, v0
	v_subrev_nc_u32_e32 v0, 28, v2
	v_lshlrev_b64 v[0:1], v0, v[8:9]
	v_sub_nc_u32_e32 v1, 29, v2
	v_and_b32_e32 v0, 7, v0
; %bb.360:                              ;   in Loop: Header=BB312_16 Depth=1
	s_or_b32 exec_lo, exec_lo, s28
	v_lshlrev_b32_e32 v2, 8, v8
	v_lshl_add_u32 v1, v1, 10, 0x2000
	v_lshlrev_b32_e32 v0, 7, v0
	v_and_b32_e32 v2, 0x8000, v2
	v_and_b32_e32 v1, 0xfc00, v1
	v_or3_b32 v0, v2, v1, v0
	buffer_store_dword v0, off, s[0:3], s32 offset:360 ; 4-byte Folded Spill
.LBB312_361:                            ;   in Loop: Header=BB312_16 Depth=1
	s_or_b32 exec_lo, exec_lo, s27
.LBB312_362:                            ;   in Loop: Header=BB312_16 Depth=1
	s_or_b32 exec_lo, exec_lo, s26
.LBB312_363:                            ;   in Loop: Header=BB312_16 Depth=1
	s_or_b32 exec_lo, exec_lo, s25
	v_mov_b32_e32 v0, 0
	s_mov_b32 s25, exec_lo
	buffer_store_dword v0, off, s[0:3], s32 offset:364 ; 4-byte Folded Spill
	v_mov_b32_e32 v0, 0
	buffer_store_dword v0, off, s[0:3], s32 offset:368 ; 4-byte Folded Spill
	v_cmpx_lt_u32_e32 0xffffff, v31
	s_cbranch_execz .LBB312_371
; %bb.364:                              ;   in Loop: Header=BB312_16 Depth=1
	v_lshrrev_b32_e32 v8, 24, v31
	v_bfrev_b32_e32 v0, 1
	s_mov_b32 s26, exec_lo
	buffer_store_dword v0, off, s[0:3], s32 offset:368 ; 4-byte Folded Spill
	v_cmpx_ne_u32_e32 0x80, v8
	s_cbranch_execz .LBB312_370
; %bb.365:                              ;   in Loop: Header=BB312_16 Depth=1
	v_and_b32_e32 v2, 0x7f, v8
	v_mov_b32_e32 v0, 0x7c010000
	s_mov_b32 s27, exec_lo
	buffer_store_dword v0, off, s[0:3], s32 offset:368 ; 4-byte Folded Spill
	v_cmpx_ne_u32_e32 0x7f, v2
	s_cbranch_execz .LBB312_369
; %bb.366:                              ;   in Loop: Header=BB312_16 Depth=1
	v_and_b32_e32 v0, 7, v8
	v_lshrrev_b32_e32 v1, 3, v2
	s_mov_b32 s28, exec_lo
	v_cmpx_gt_u32_e32 8, v2
; %bb.367:                              ;   in Loop: Header=BB312_16 Depth=1
	v_ffbh_u32_e32 v0, v0
	v_min_u32_e32 v2, 32, v0
	v_subrev_nc_u32_e32 v0, 28, v2
	v_lshlrev_b64 v[0:1], v0, v[8:9]
	v_sub_nc_u32_e32 v1, 29, v2
	v_and_b32_e32 v0, 7, v0
; %bb.368:                              ;   in Loop: Header=BB312_16 Depth=1
	s_or_b32 exec_lo, exec_lo, s28
	v_lshlrev_b32_e32 v2, 8, v8
	v_lshl_add_u32 v1, v1, 10, 0x2000
	v_lshlrev_b32_e32 v0, 23, v0
	v_and_or_b32 v1, 0x8000, v2, v1
	v_lshl_or_b32 v0, v1, 16, v0
	buffer_store_dword v0, off, s[0:3], s32 offset:368 ; 4-byte Folded Spill
.LBB312_369:                            ;   in Loop: Header=BB312_16 Depth=1
	s_or_b32 exec_lo, exec_lo, s27
.LBB312_370:                            ;   in Loop: Header=BB312_16 Depth=1
	s_or_b32 exec_lo, exec_lo, s26
.LBB312_371:                            ;   in Loop: Header=BB312_16 Depth=1
	s_or_b32 exec_lo, exec_lo, s25
	v_mov_b32_e32 v8, v32
	v_cmp_ne_u16_sdwa s5, v32, v9 src0_sel:BYTE_0 src1_sel:DWORD
	s_and_saveexec_b32 s25, s5
	s_cbranch_execz .LBB312_379
; %bb.372:                              ;   in Loop: Header=BB312_16 Depth=1
	v_cmp_ne_u16_sdwa s5, v32, v68 src0_sel:BYTE_0 src1_sel:DWORD
	v_mov_b32_e32 v0, 0x8000
	buffer_store_dword v0, off, s[0:3], s32 offset:364 ; 4-byte Folded Spill
	s_and_saveexec_b32 s26, s5
	s_cbranch_execz .LBB312_378
; %bb.373:                              ;   in Loop: Header=BB312_16 Depth=1
	v_and_b32_e32 v2, 0x7f, v32
	v_mov_b32_e32 v0, 0x7c01
	s_mov_b32 s27, exec_lo
	buffer_store_dword v0, off, s[0:3], s32 offset:364 ; 4-byte Folded Spill
	v_cmpx_ne_u32_e32 0x7f, v2
	s_cbranch_execz .LBB312_377
; %bb.374:                              ;   in Loop: Header=BB312_16 Depth=1
	v_and_b32_e32 v0, 7, v32
	v_lshrrev_b32_e32 v1, 3, v2
	s_mov_b32 s28, exec_lo
	v_cmpx_gt_u32_e32 8, v2
; %bb.375:                              ;   in Loop: Header=BB312_16 Depth=1
	v_ffbh_u32_e32 v0, v0
	v_min_u32_e32 v2, 32, v0
	v_subrev_nc_u32_e32 v0, 28, v2
	v_lshlrev_b64 v[0:1], v0, v[8:9]
	v_sub_nc_u32_e32 v1, 29, v2
	v_and_b32_e32 v0, 7, v0
; %bb.376:                              ;   in Loop: Header=BB312_16 Depth=1
	s_or_b32 exec_lo, exec_lo, s28
	v_lshlrev_b32_e32 v2, 8, v32
	v_lshl_add_u32 v1, v1, 10, 0x2000
	v_lshlrev_b32_e32 v0, 7, v0
	v_and_b32_e32 v2, 0x8000, v2
	v_and_b32_e32 v1, 0xfc00, v1
	v_or3_b32 v0, v2, v1, v0
	buffer_store_dword v0, off, s[0:3], s32 offset:364 ; 4-byte Folded Spill
.LBB312_377:                            ;   in Loop: Header=BB312_16 Depth=1
	s_or_b32 exec_lo, exec_lo, s27
.LBB312_378:                            ;   in Loop: Header=BB312_16 Depth=1
	s_or_b32 exec_lo, exec_lo, s26
.LBB312_379:                            ;   in Loop: Header=BB312_16 Depth=1
	s_or_b32 exec_lo, exec_lo, s25
	v_mov_b32_e32 v0, 0
	v_lshrrev_b16 v8, 8, v8
	s_mov_b32 s25, exec_lo
	buffer_store_dword v0, off, s[0:3], s32 offset:372 ; 4-byte Folded Spill
	v_mov_b32_e32 v0, 0
	buffer_store_dword v0, off, s[0:3], s32 offset:376 ; 4-byte Folded Spill
	v_cmpx_ne_u16_e32 0, v8
	s_cbranch_execz .LBB312_387
; %bb.380:                              ;   in Loop: Header=BB312_16 Depth=1
	v_bfrev_b32_e32 v0, 1
	s_mov_b32 s26, exec_lo
	buffer_store_dword v0, off, s[0:3], s32 offset:376 ; 4-byte Folded Spill
	v_cmpx_ne_u16_e32 0x80, v8
	s_cbranch_execz .LBB312_386
; %bb.381:                              ;   in Loop: Header=BB312_16 Depth=1
	v_mov_b32_e32 v0, 0x7f
	s_mov_b32 s27, exec_lo
	v_and_b32_sdwa v2, v8, v0 dst_sel:DWORD dst_unused:UNUSED_PAD src0_sel:WORD_0 src1_sel:DWORD
	v_mov_b32_e32 v0, 0x7c010000
	buffer_store_dword v0, off, s[0:3], s32 offset:376 ; 4-byte Folded Spill
	v_cmpx_ne_u32_e32 0x7f, v2
	s_cbranch_execz .LBB312_385
; %bb.382:                              ;   in Loop: Header=BB312_16 Depth=1
	v_mov_b32_e32 v0, 7
	v_lshrrev_b32_e32 v1, 3, v2
	s_mov_b32 s28, exec_lo
	v_and_b32_sdwa v0, v8, v0 dst_sel:DWORD dst_unused:UNUSED_PAD src0_sel:WORD_0 src1_sel:DWORD
	v_cmpx_gt_u32_e32 8, v2
; %bb.383:                              ;   in Loop: Header=BB312_16 Depth=1
	v_ffbh_u32_e32 v0, v0
	v_min_u32_e32 v2, 32, v0
	v_subrev_nc_u32_e32 v0, 28, v2
	v_lshlrev_b64 v[0:1], v0, v[8:9]
	v_sub_nc_u32_e32 v1, 29, v2
	v_and_b32_e32 v0, 7, v0
; %bb.384:                              ;   in Loop: Header=BB312_16 Depth=1
	s_or_b32 exec_lo, exec_lo, s28
	v_mov_b32_e32 v2, 8
	v_lshl_add_u32 v1, v1, 10, 0x2000
	v_lshlrev_b32_e32 v0, 23, v0
	v_lshlrev_b32_sdwa v2, v2, v8 dst_sel:DWORD dst_unused:UNUSED_PAD src0_sel:DWORD src1_sel:WORD_0
	v_and_or_b32 v1, 0x8000, v2, v1
	v_lshl_or_b32 v0, v1, 16, v0
	buffer_store_dword v0, off, s[0:3], s32 offset:376 ; 4-byte Folded Spill
.LBB312_385:                            ;   in Loop: Header=BB312_16 Depth=1
	s_or_b32 exec_lo, exec_lo, s27
.LBB312_386:                            ;   in Loop: Header=BB312_16 Depth=1
	s_or_b32 exec_lo, exec_lo, s26
.LBB312_387:                            ;   in Loop: Header=BB312_16 Depth=1
	s_or_b32 exec_lo, exec_lo, s25
	v_lshrrev_b32_e32 v8, 16, v32
	v_cmp_ne_u16_sdwa s5, v8, v9 src0_sel:BYTE_0 src1_sel:DWORD
	s_and_saveexec_b32 s25, s5
	s_cbranch_execz .LBB312_395
; %bb.388:                              ;   in Loop: Header=BB312_16 Depth=1
	v_cmp_ne_u16_sdwa s5, v8, v68 src0_sel:BYTE_0 src1_sel:DWORD
	v_mov_b32_e32 v0, 0x8000
	buffer_store_dword v0, off, s[0:3], s32 offset:372 ; 4-byte Folded Spill
	s_and_saveexec_b32 s26, s5
	s_cbranch_execz .LBB312_394
; %bb.389:                              ;   in Loop: Header=BB312_16 Depth=1
	v_bfe_u32 v2, v32, 16, 7
	v_mov_b32_e32 v0, 0x7c01
	s_mov_b32 s27, exec_lo
	buffer_store_dword v0, off, s[0:3], s32 offset:372 ; 4-byte Folded Spill
	v_cmpx_ne_u32_e32 0x7f, v2
	s_cbranch_execz .LBB312_393
; %bb.390:                              ;   in Loop: Header=BB312_16 Depth=1
	v_and_b32_e32 v0, 7, v8
	v_lshrrev_b32_e32 v1, 3, v2
	s_mov_b32 s28, exec_lo
	v_cmpx_gt_u32_e32 8, v2
; %bb.391:                              ;   in Loop: Header=BB312_16 Depth=1
	v_ffbh_u32_e32 v0, v0
	v_min_u32_e32 v2, 32, v0
	v_subrev_nc_u32_e32 v0, 28, v2
	v_lshlrev_b64 v[0:1], v0, v[8:9]
	v_sub_nc_u32_e32 v1, 29, v2
	v_and_b32_e32 v0, 7, v0
; %bb.392:                              ;   in Loop: Header=BB312_16 Depth=1
	s_or_b32 exec_lo, exec_lo, s28
	v_lshlrev_b32_e32 v2, 8, v8
	v_lshl_add_u32 v1, v1, 10, 0x2000
	v_lshlrev_b32_e32 v0, 7, v0
	v_and_b32_e32 v2, 0x8000, v2
	v_and_b32_e32 v1, 0xfc00, v1
	v_or3_b32 v0, v2, v1, v0
	buffer_store_dword v0, off, s[0:3], s32 offset:372 ; 4-byte Folded Spill
.LBB312_393:                            ;   in Loop: Header=BB312_16 Depth=1
	s_or_b32 exec_lo, exec_lo, s27
.LBB312_394:                            ;   in Loop: Header=BB312_16 Depth=1
	s_or_b32 exec_lo, exec_lo, s26
.LBB312_395:                            ;   in Loop: Header=BB312_16 Depth=1
	s_or_b32 exec_lo, exec_lo, s25
	v_mov_b32_e32 v0, 0
	s_mov_b32 s25, exec_lo
	buffer_store_dword v0, off, s[0:3], s32 offset:380 ; 4-byte Folded Spill
	v_mov_b32_e32 v0, 0
	buffer_store_dword v0, off, s[0:3], s32 offset:528 ; 4-byte Folded Spill
	v_cmpx_lt_u64_e64 s[20:21], v[31:32]
	s_cbranch_execz .LBB312_403
; %bb.396:                              ;   in Loop: Header=BB312_16 Depth=1
	v_lshrrev_b32_e32 v8, 24, v32
	v_bfrev_b32_e32 v0, 1
	s_mov_b32 s26, exec_lo
	v_cmpx_ne_u32_e32 0x80, v8
	s_cbranch_execz .LBB312_402
; %bb.397:                              ;   in Loop: Header=BB312_16 Depth=1
	v_and_b32_e32 v2, 0x7f, v8
	v_mov_b32_e32 v0, 0x7c010000
	s_mov_b32 s27, exec_lo
	v_cmpx_ne_u32_e32 0x7f, v2
	s_cbranch_execz .LBB312_401
; %bb.398:                              ;   in Loop: Header=BB312_16 Depth=1
	v_and_b32_e32 v0, 7, v8
	v_lshrrev_b32_e32 v1, 3, v2
	s_mov_b32 s28, exec_lo
	v_cmpx_gt_u32_e32 8, v2
; %bb.399:                              ;   in Loop: Header=BB312_16 Depth=1
	v_ffbh_u32_e32 v0, v0
	v_min_u32_e32 v2, 32, v0
	v_subrev_nc_u32_e32 v0, 28, v2
	v_lshlrev_b64 v[0:1], v0, v[8:9]
	v_sub_nc_u32_e32 v1, 29, v2
	v_and_b32_e32 v0, 7, v0
; %bb.400:                              ;   in Loop: Header=BB312_16 Depth=1
	s_or_b32 exec_lo, exec_lo, s28
	v_lshlrev_b32_e32 v2, 8, v8
	v_lshl_add_u32 v1, v1, 10, 0x2000
	v_lshlrev_b32_e32 v0, 23, v0
	v_and_or_b32 v1, 0x8000, v2, v1
	v_lshl_or_b32 v0, v1, 16, v0
.LBB312_401:                            ;   in Loop: Header=BB312_16 Depth=1
	s_or_b32 exec_lo, exec_lo, s27
.LBB312_402:                            ;   in Loop: Header=BB312_16 Depth=1
	s_or_b32 exec_lo, exec_lo, s26
	buffer_store_dword v0, off, s[0:3], s32 offset:528 ; 4-byte Folded Spill
.LBB312_403:                            ;   in Loop: Header=BB312_16 Depth=1
	s_or_b32 exec_lo, exec_lo, s25
	flat_load_dwordx2 v[31:32], v[28:29] offset:1536
	s_waitcnt vmcnt(0) lgkmcnt(0)
	v_cmp_ne_u16_sdwa s5, v31, v9 src0_sel:BYTE_0 src1_sel:DWORD
	s_and_saveexec_b32 s25, s5
	s_cbranch_execz .LBB312_411
; %bb.404:                              ;   in Loop: Header=BB312_16 Depth=1
	v_cmp_ne_u16_sdwa s5, v31, v68 src0_sel:BYTE_0 src1_sel:DWORD
	v_mov_b32_e32 v0, 0x8000
	buffer_store_dword v0, off, s[0:3], s32 offset:380 ; 4-byte Folded Spill
	s_and_saveexec_b32 s26, s5
	s_cbranch_execz .LBB312_410
; %bb.405:                              ;   in Loop: Header=BB312_16 Depth=1
	v_and_b32_e32 v2, 0x7f, v31
	v_mov_b32_e32 v0, 0x7c01
	s_mov_b32 s27, exec_lo
	buffer_store_dword v0, off, s[0:3], s32 offset:380 ; 4-byte Folded Spill
	v_cmpx_ne_u32_e32 0x7f, v2
	s_cbranch_execz .LBB312_409
; %bb.406:                              ;   in Loop: Header=BB312_16 Depth=1
	v_and_b32_e32 v0, 7, v31
	v_lshrrev_b32_e32 v1, 3, v2
	s_mov_b32 s28, exec_lo
	v_cmpx_gt_u32_e32 8, v2
; %bb.407:                              ;   in Loop: Header=BB312_16 Depth=1
	v_ffbh_u32_e32 v0, v0
	v_min_u32_e32 v2, 32, v0
	v_subrev_nc_u32_e32 v0, 28, v2
	v_lshlrev_b64 v[0:1], v0, v[31:32]
	v_sub_nc_u32_e32 v1, 29, v2
	v_and_b32_e32 v0, 7, v0
; %bb.408:                              ;   in Loop: Header=BB312_16 Depth=1
	s_or_b32 exec_lo, exec_lo, s28
	v_lshlrev_b32_e32 v2, 8, v31
	v_lshl_add_u32 v1, v1, 10, 0x2000
	v_lshlrev_b32_e32 v0, 7, v0
	v_and_b32_e32 v2, 0x8000, v2
	v_and_b32_e32 v1, 0xfc00, v1
	v_or3_b32 v0, v2, v1, v0
	buffer_store_dword v0, off, s[0:3], s32 offset:380 ; 4-byte Folded Spill
.LBB312_409:                            ;   in Loop: Header=BB312_16 Depth=1
	s_or_b32 exec_lo, exec_lo, s27
.LBB312_410:                            ;   in Loop: Header=BB312_16 Depth=1
	s_or_b32 exec_lo, exec_lo, s26
.LBB312_411:                            ;   in Loop: Header=BB312_16 Depth=1
	s_or_b32 exec_lo, exec_lo, s25
	v_mov_b32_e32 v0, 0
	v_lshrrev_b16 v8, 8, v31
	s_mov_b32 s25, exec_lo
	buffer_store_dword v0, off, s[0:3], s32 offset:388 ; 4-byte Folded Spill
	v_mov_b32_e32 v0, 0
	buffer_store_dword v0, off, s[0:3], s32 offset:384 ; 4-byte Folded Spill
	v_cmpx_ne_u16_e32 0, v8
	s_cbranch_execz .LBB312_419
; %bb.412:                              ;   in Loop: Header=BB312_16 Depth=1
	v_bfrev_b32_e32 v0, 1
	s_mov_b32 s26, exec_lo
	buffer_store_dword v0, off, s[0:3], s32 offset:384 ; 4-byte Folded Spill
	v_cmpx_ne_u16_e32 0x80, v8
	s_cbranch_execz .LBB312_418
; %bb.413:                              ;   in Loop: Header=BB312_16 Depth=1
	v_mov_b32_e32 v0, 0x7f
	s_mov_b32 s27, exec_lo
	v_and_b32_sdwa v2, v8, v0 dst_sel:DWORD dst_unused:UNUSED_PAD src0_sel:WORD_0 src1_sel:DWORD
	v_mov_b32_e32 v0, 0x7c010000
	buffer_store_dword v0, off, s[0:3], s32 offset:384 ; 4-byte Folded Spill
	v_cmpx_ne_u32_e32 0x7f, v2
	s_cbranch_execz .LBB312_417
; %bb.414:                              ;   in Loop: Header=BB312_16 Depth=1
	v_mov_b32_e32 v0, 7
	v_lshrrev_b32_e32 v1, 3, v2
	s_mov_b32 s28, exec_lo
	v_and_b32_sdwa v0, v8, v0 dst_sel:DWORD dst_unused:UNUSED_PAD src0_sel:WORD_0 src1_sel:DWORD
	v_cmpx_gt_u32_e32 8, v2
; %bb.415:                              ;   in Loop: Header=BB312_16 Depth=1
	v_ffbh_u32_e32 v0, v0
	v_min_u32_e32 v2, 32, v0
	v_subrev_nc_u32_e32 v0, 28, v2
	v_lshlrev_b64 v[0:1], v0, v[8:9]
	v_sub_nc_u32_e32 v1, 29, v2
	v_and_b32_e32 v0, 7, v0
; %bb.416:                              ;   in Loop: Header=BB312_16 Depth=1
	s_or_b32 exec_lo, exec_lo, s28
	v_mov_b32_e32 v2, 8
	v_lshl_add_u32 v1, v1, 10, 0x2000
	v_lshlrev_b32_e32 v0, 23, v0
	v_lshlrev_b32_sdwa v2, v2, v8 dst_sel:DWORD dst_unused:UNUSED_PAD src0_sel:DWORD src1_sel:WORD_0
	v_and_or_b32 v1, 0x8000, v2, v1
	v_lshl_or_b32 v0, v1, 16, v0
	buffer_store_dword v0, off, s[0:3], s32 offset:384 ; 4-byte Folded Spill
.LBB312_417:                            ;   in Loop: Header=BB312_16 Depth=1
	s_or_b32 exec_lo, exec_lo, s27
.LBB312_418:                            ;   in Loop: Header=BB312_16 Depth=1
	s_or_b32 exec_lo, exec_lo, s26
.LBB312_419:                            ;   in Loop: Header=BB312_16 Depth=1
	s_or_b32 exec_lo, exec_lo, s25
	v_lshrrev_b32_e32 v8, 16, v31
	v_cmp_ne_u16_sdwa s5, v8, v9 src0_sel:BYTE_0 src1_sel:DWORD
	s_and_saveexec_b32 s25, s5
	s_cbranch_execz .LBB312_427
; %bb.420:                              ;   in Loop: Header=BB312_16 Depth=1
	v_cmp_ne_u16_sdwa s5, v8, v68 src0_sel:BYTE_0 src1_sel:DWORD
	v_mov_b32_e32 v0, 0x8000
	buffer_store_dword v0, off, s[0:3], s32 offset:388 ; 4-byte Folded Spill
	s_and_saveexec_b32 s26, s5
	s_cbranch_execz .LBB312_426
; %bb.421:                              ;   in Loop: Header=BB312_16 Depth=1
	v_bfe_u32 v2, v31, 16, 7
	v_mov_b32_e32 v0, 0x7c01
	s_mov_b32 s27, exec_lo
	buffer_store_dword v0, off, s[0:3], s32 offset:388 ; 4-byte Folded Spill
	v_cmpx_ne_u32_e32 0x7f, v2
	s_cbranch_execz .LBB312_425
; %bb.422:                              ;   in Loop: Header=BB312_16 Depth=1
	v_and_b32_e32 v0, 7, v8
	v_lshrrev_b32_e32 v1, 3, v2
	s_mov_b32 s28, exec_lo
	v_cmpx_gt_u32_e32 8, v2
; %bb.423:                              ;   in Loop: Header=BB312_16 Depth=1
	v_ffbh_u32_e32 v0, v0
	v_min_u32_e32 v2, 32, v0
	v_subrev_nc_u32_e32 v0, 28, v2
	v_lshlrev_b64 v[0:1], v0, v[8:9]
	v_sub_nc_u32_e32 v1, 29, v2
	v_and_b32_e32 v0, 7, v0
; %bb.424:                              ;   in Loop: Header=BB312_16 Depth=1
	s_or_b32 exec_lo, exec_lo, s28
	v_lshlrev_b32_e32 v2, 8, v8
	v_lshl_add_u32 v1, v1, 10, 0x2000
	v_lshlrev_b32_e32 v0, 7, v0
	v_and_b32_e32 v2, 0x8000, v2
	v_and_b32_e32 v1, 0xfc00, v1
	v_or3_b32 v0, v2, v1, v0
	buffer_store_dword v0, off, s[0:3], s32 offset:388 ; 4-byte Folded Spill
.LBB312_425:                            ;   in Loop: Header=BB312_16 Depth=1
	s_or_b32 exec_lo, exec_lo, s27
.LBB312_426:                            ;   in Loop: Header=BB312_16 Depth=1
	s_or_b32 exec_lo, exec_lo, s26
.LBB312_427:                            ;   in Loop: Header=BB312_16 Depth=1
	s_or_b32 exec_lo, exec_lo, s25
	v_mov_b32_e32 v0, 0
	s_mov_b32 s25, exec_lo
	buffer_store_dword v0, off, s[0:3], s32 offset:392 ; 4-byte Folded Spill
	v_mov_b32_e32 v0, 0
	buffer_store_dword v0, off, s[0:3], s32 offset:396 ; 4-byte Folded Spill
	v_cmpx_lt_u32_e32 0xffffff, v31
	s_cbranch_execz .LBB312_435
; %bb.428:                              ;   in Loop: Header=BB312_16 Depth=1
	v_lshrrev_b32_e32 v8, 24, v31
	v_bfrev_b32_e32 v0, 1
	s_mov_b32 s26, exec_lo
	buffer_store_dword v0, off, s[0:3], s32 offset:396 ; 4-byte Folded Spill
	v_cmpx_ne_u32_e32 0x80, v8
	s_cbranch_execz .LBB312_434
; %bb.429:                              ;   in Loop: Header=BB312_16 Depth=1
	v_and_b32_e32 v2, 0x7f, v8
	v_mov_b32_e32 v0, 0x7c010000
	s_mov_b32 s27, exec_lo
	buffer_store_dword v0, off, s[0:3], s32 offset:396 ; 4-byte Folded Spill
	v_cmpx_ne_u32_e32 0x7f, v2
	s_cbranch_execz .LBB312_433
; %bb.430:                              ;   in Loop: Header=BB312_16 Depth=1
	v_and_b32_e32 v0, 7, v8
	v_lshrrev_b32_e32 v1, 3, v2
	s_mov_b32 s28, exec_lo
	v_cmpx_gt_u32_e32 8, v2
; %bb.431:                              ;   in Loop: Header=BB312_16 Depth=1
	v_ffbh_u32_e32 v0, v0
	v_min_u32_e32 v2, 32, v0
	v_subrev_nc_u32_e32 v0, 28, v2
	v_lshlrev_b64 v[0:1], v0, v[8:9]
	v_sub_nc_u32_e32 v1, 29, v2
	v_and_b32_e32 v0, 7, v0
; %bb.432:                              ;   in Loop: Header=BB312_16 Depth=1
	s_or_b32 exec_lo, exec_lo, s28
	v_lshlrev_b32_e32 v2, 8, v8
	v_lshl_add_u32 v1, v1, 10, 0x2000
	v_lshlrev_b32_e32 v0, 23, v0
	v_and_or_b32 v1, 0x8000, v2, v1
	v_lshl_or_b32 v0, v1, 16, v0
	buffer_store_dword v0, off, s[0:3], s32 offset:396 ; 4-byte Folded Spill
.LBB312_433:                            ;   in Loop: Header=BB312_16 Depth=1
	s_or_b32 exec_lo, exec_lo, s27
.LBB312_434:                            ;   in Loop: Header=BB312_16 Depth=1
	s_or_b32 exec_lo, exec_lo, s26
.LBB312_435:                            ;   in Loop: Header=BB312_16 Depth=1
	s_or_b32 exec_lo, exec_lo, s25
	v_mov_b32_e32 v8, v32
	v_cmp_ne_u16_sdwa s5, v32, v9 src0_sel:BYTE_0 src1_sel:DWORD
	s_and_saveexec_b32 s25, s5
	s_cbranch_execz .LBB312_443
; %bb.436:                              ;   in Loop: Header=BB312_16 Depth=1
	v_cmp_ne_u16_sdwa s5, v32, v68 src0_sel:BYTE_0 src1_sel:DWORD
	v_mov_b32_e32 v0, 0x8000
	buffer_store_dword v0, off, s[0:3], s32 offset:392 ; 4-byte Folded Spill
	s_and_saveexec_b32 s26, s5
	s_cbranch_execz .LBB312_442
; %bb.437:                              ;   in Loop: Header=BB312_16 Depth=1
	v_and_b32_e32 v2, 0x7f, v32
	v_mov_b32_e32 v0, 0x7c01
	s_mov_b32 s27, exec_lo
	buffer_store_dword v0, off, s[0:3], s32 offset:392 ; 4-byte Folded Spill
	v_cmpx_ne_u32_e32 0x7f, v2
	s_cbranch_execz .LBB312_441
; %bb.438:                              ;   in Loop: Header=BB312_16 Depth=1
	v_and_b32_e32 v0, 7, v32
	v_lshrrev_b32_e32 v1, 3, v2
	s_mov_b32 s28, exec_lo
	v_cmpx_gt_u32_e32 8, v2
; %bb.439:                              ;   in Loop: Header=BB312_16 Depth=1
	v_ffbh_u32_e32 v0, v0
	v_min_u32_e32 v2, 32, v0
	v_subrev_nc_u32_e32 v0, 28, v2
	v_lshlrev_b64 v[0:1], v0, v[8:9]
	v_sub_nc_u32_e32 v1, 29, v2
	v_and_b32_e32 v0, 7, v0
; %bb.440:                              ;   in Loop: Header=BB312_16 Depth=1
	s_or_b32 exec_lo, exec_lo, s28
	v_lshlrev_b32_e32 v2, 8, v32
	v_lshl_add_u32 v1, v1, 10, 0x2000
	v_lshlrev_b32_e32 v0, 7, v0
	v_and_b32_e32 v2, 0x8000, v2
	v_and_b32_e32 v1, 0xfc00, v1
	v_or3_b32 v0, v2, v1, v0
	buffer_store_dword v0, off, s[0:3], s32 offset:392 ; 4-byte Folded Spill
.LBB312_441:                            ;   in Loop: Header=BB312_16 Depth=1
	s_or_b32 exec_lo, exec_lo, s27
.LBB312_442:                            ;   in Loop: Header=BB312_16 Depth=1
	s_or_b32 exec_lo, exec_lo, s26
.LBB312_443:                            ;   in Loop: Header=BB312_16 Depth=1
	s_or_b32 exec_lo, exec_lo, s25
	v_mov_b32_e32 v0, 0
	v_lshrrev_b16 v8, 8, v8
	s_mov_b32 s25, exec_lo
	buffer_store_dword v0, off, s[0:3], s32 offset:400 ; 4-byte Folded Spill
	v_mov_b32_e32 v0, 0
	buffer_store_dword v0, off, s[0:3], s32 offset:404 ; 4-byte Folded Spill
	v_cmpx_ne_u16_e32 0, v8
	s_cbranch_execz .LBB312_451
; %bb.444:                              ;   in Loop: Header=BB312_16 Depth=1
	v_bfrev_b32_e32 v0, 1
	s_mov_b32 s26, exec_lo
	buffer_store_dword v0, off, s[0:3], s32 offset:404 ; 4-byte Folded Spill
	v_cmpx_ne_u16_e32 0x80, v8
	s_cbranch_execz .LBB312_450
; %bb.445:                              ;   in Loop: Header=BB312_16 Depth=1
	v_mov_b32_e32 v0, 0x7f
	s_mov_b32 s27, exec_lo
	v_and_b32_sdwa v2, v8, v0 dst_sel:DWORD dst_unused:UNUSED_PAD src0_sel:WORD_0 src1_sel:DWORD
	v_mov_b32_e32 v0, 0x7c010000
	buffer_store_dword v0, off, s[0:3], s32 offset:404 ; 4-byte Folded Spill
	v_cmpx_ne_u32_e32 0x7f, v2
	s_cbranch_execz .LBB312_449
; %bb.446:                              ;   in Loop: Header=BB312_16 Depth=1
	v_mov_b32_e32 v0, 7
	v_lshrrev_b32_e32 v1, 3, v2
	s_mov_b32 s28, exec_lo
	v_and_b32_sdwa v0, v8, v0 dst_sel:DWORD dst_unused:UNUSED_PAD src0_sel:WORD_0 src1_sel:DWORD
	v_cmpx_gt_u32_e32 8, v2
; %bb.447:                              ;   in Loop: Header=BB312_16 Depth=1
	v_ffbh_u32_e32 v0, v0
	v_min_u32_e32 v2, 32, v0
	v_subrev_nc_u32_e32 v0, 28, v2
	v_lshlrev_b64 v[0:1], v0, v[8:9]
	v_sub_nc_u32_e32 v1, 29, v2
	v_and_b32_e32 v0, 7, v0
; %bb.448:                              ;   in Loop: Header=BB312_16 Depth=1
	s_or_b32 exec_lo, exec_lo, s28
	v_mov_b32_e32 v2, 8
	v_lshl_add_u32 v1, v1, 10, 0x2000
	v_lshlrev_b32_e32 v0, 23, v0
	v_lshlrev_b32_sdwa v2, v2, v8 dst_sel:DWORD dst_unused:UNUSED_PAD src0_sel:DWORD src1_sel:WORD_0
	v_and_or_b32 v1, 0x8000, v2, v1
	v_lshl_or_b32 v0, v1, 16, v0
	buffer_store_dword v0, off, s[0:3], s32 offset:404 ; 4-byte Folded Spill
.LBB312_449:                            ;   in Loop: Header=BB312_16 Depth=1
	s_or_b32 exec_lo, exec_lo, s27
.LBB312_450:                            ;   in Loop: Header=BB312_16 Depth=1
	s_or_b32 exec_lo, exec_lo, s26
.LBB312_451:                            ;   in Loop: Header=BB312_16 Depth=1
	s_or_b32 exec_lo, exec_lo, s25
	v_lshrrev_b32_e32 v8, 16, v32
	v_cmp_ne_u16_sdwa s5, v8, v9 src0_sel:BYTE_0 src1_sel:DWORD
	s_and_saveexec_b32 s25, s5
	s_cbranch_execz .LBB312_459
; %bb.452:                              ;   in Loop: Header=BB312_16 Depth=1
	v_cmp_ne_u16_sdwa s5, v8, v68 src0_sel:BYTE_0 src1_sel:DWORD
	v_mov_b32_e32 v0, 0x8000
	buffer_store_dword v0, off, s[0:3], s32 offset:400 ; 4-byte Folded Spill
	s_and_saveexec_b32 s26, s5
	s_cbranch_execz .LBB312_458
; %bb.453:                              ;   in Loop: Header=BB312_16 Depth=1
	v_bfe_u32 v2, v32, 16, 7
	v_mov_b32_e32 v0, 0x7c01
	s_mov_b32 s27, exec_lo
	buffer_store_dword v0, off, s[0:3], s32 offset:400 ; 4-byte Folded Spill
	v_cmpx_ne_u32_e32 0x7f, v2
	s_cbranch_execz .LBB312_457
; %bb.454:                              ;   in Loop: Header=BB312_16 Depth=1
	v_and_b32_e32 v0, 7, v8
	v_lshrrev_b32_e32 v1, 3, v2
	s_mov_b32 s28, exec_lo
	v_cmpx_gt_u32_e32 8, v2
; %bb.455:                              ;   in Loop: Header=BB312_16 Depth=1
	v_ffbh_u32_e32 v0, v0
	v_min_u32_e32 v2, 32, v0
	v_subrev_nc_u32_e32 v0, 28, v2
	v_lshlrev_b64 v[0:1], v0, v[8:9]
	v_sub_nc_u32_e32 v1, 29, v2
	v_and_b32_e32 v0, 7, v0
; %bb.456:                              ;   in Loop: Header=BB312_16 Depth=1
	s_or_b32 exec_lo, exec_lo, s28
	v_lshlrev_b32_e32 v2, 8, v8
	v_lshl_add_u32 v1, v1, 10, 0x2000
	v_lshlrev_b32_e32 v0, 7, v0
	v_and_b32_e32 v2, 0x8000, v2
	v_and_b32_e32 v1, 0xfc00, v1
	v_or3_b32 v0, v2, v1, v0
	buffer_store_dword v0, off, s[0:3], s32 offset:400 ; 4-byte Folded Spill
.LBB312_457:                            ;   in Loop: Header=BB312_16 Depth=1
	s_or_b32 exec_lo, exec_lo, s27
.LBB312_458:                            ;   in Loop: Header=BB312_16 Depth=1
	s_or_b32 exec_lo, exec_lo, s26
.LBB312_459:                            ;   in Loop: Header=BB312_16 Depth=1
	s_or_b32 exec_lo, exec_lo, s25
	v_mov_b32_e32 v0, 0
	s_mov_b32 s25, exec_lo
	buffer_store_dword v0, off, s[0:3], s32 offset:408 ; 4-byte Folded Spill
	v_mov_b32_e32 v0, 0
	buffer_store_dword v0, off, s[0:3], s32 offset:532 ; 4-byte Folded Spill
	v_cmpx_lt_u64_e64 s[20:21], v[31:32]
	s_cbranch_execz .LBB312_467
; %bb.460:                              ;   in Loop: Header=BB312_16 Depth=1
	v_lshrrev_b32_e32 v8, 24, v32
	v_bfrev_b32_e32 v0, 1
	s_mov_b32 s26, exec_lo
	v_cmpx_ne_u32_e32 0x80, v8
	s_cbranch_execz .LBB312_466
; %bb.461:                              ;   in Loop: Header=BB312_16 Depth=1
	v_and_b32_e32 v2, 0x7f, v8
	v_mov_b32_e32 v0, 0x7c010000
	s_mov_b32 s27, exec_lo
	v_cmpx_ne_u32_e32 0x7f, v2
	s_cbranch_execz .LBB312_465
; %bb.462:                              ;   in Loop: Header=BB312_16 Depth=1
	v_and_b32_e32 v0, 7, v8
	v_lshrrev_b32_e32 v1, 3, v2
	s_mov_b32 s28, exec_lo
	v_cmpx_gt_u32_e32 8, v2
; %bb.463:                              ;   in Loop: Header=BB312_16 Depth=1
	v_ffbh_u32_e32 v0, v0
	v_min_u32_e32 v2, 32, v0
	v_subrev_nc_u32_e32 v0, 28, v2
	v_lshlrev_b64 v[0:1], v0, v[8:9]
	v_sub_nc_u32_e32 v1, 29, v2
	v_and_b32_e32 v0, 7, v0
; %bb.464:                              ;   in Loop: Header=BB312_16 Depth=1
	s_or_b32 exec_lo, exec_lo, s28
	v_lshlrev_b32_e32 v2, 8, v8
	v_lshl_add_u32 v1, v1, 10, 0x2000
	v_lshlrev_b32_e32 v0, 23, v0
	v_and_or_b32 v1, 0x8000, v2, v1
	v_lshl_or_b32 v0, v1, 16, v0
.LBB312_465:                            ;   in Loop: Header=BB312_16 Depth=1
	s_or_b32 exec_lo, exec_lo, s27
.LBB312_466:                            ;   in Loop: Header=BB312_16 Depth=1
	s_or_b32 exec_lo, exec_lo, s26
	buffer_store_dword v0, off, s[0:3], s32 offset:532 ; 4-byte Folded Spill
.LBB312_467:                            ;   in Loop: Header=BB312_16 Depth=1
	s_or_b32 exec_lo, exec_lo, s25
	flat_load_dwordx2 v[31:32], v[28:29] offset:1544
	s_waitcnt vmcnt(0) lgkmcnt(0)
	v_cmp_ne_u16_sdwa s5, v31, v9 src0_sel:BYTE_0 src1_sel:DWORD
	s_and_saveexec_b32 s25, s5
	s_cbranch_execz .LBB312_475
; %bb.468:                              ;   in Loop: Header=BB312_16 Depth=1
	v_cmp_ne_u16_sdwa s5, v31, v68 src0_sel:BYTE_0 src1_sel:DWORD
	v_mov_b32_e32 v0, 0x8000
	buffer_store_dword v0, off, s[0:3], s32 offset:408 ; 4-byte Folded Spill
	s_and_saveexec_b32 s26, s5
	s_cbranch_execz .LBB312_474
; %bb.469:                              ;   in Loop: Header=BB312_16 Depth=1
	v_and_b32_e32 v2, 0x7f, v31
	v_mov_b32_e32 v0, 0x7c01
	s_mov_b32 s27, exec_lo
	buffer_store_dword v0, off, s[0:3], s32 offset:408 ; 4-byte Folded Spill
	v_cmpx_ne_u32_e32 0x7f, v2
	s_cbranch_execz .LBB312_473
; %bb.470:                              ;   in Loop: Header=BB312_16 Depth=1
	v_and_b32_e32 v0, 7, v31
	v_lshrrev_b32_e32 v1, 3, v2
	s_mov_b32 s28, exec_lo
	v_cmpx_gt_u32_e32 8, v2
; %bb.471:                              ;   in Loop: Header=BB312_16 Depth=1
	v_ffbh_u32_e32 v0, v0
	v_min_u32_e32 v2, 32, v0
	v_subrev_nc_u32_e32 v0, 28, v2
	v_lshlrev_b64 v[0:1], v0, v[31:32]
	v_sub_nc_u32_e32 v1, 29, v2
	v_and_b32_e32 v0, 7, v0
; %bb.472:                              ;   in Loop: Header=BB312_16 Depth=1
	s_or_b32 exec_lo, exec_lo, s28
	v_lshlrev_b32_e32 v2, 8, v31
	v_lshl_add_u32 v1, v1, 10, 0x2000
	v_lshlrev_b32_e32 v0, 7, v0
	v_and_b32_e32 v2, 0x8000, v2
	v_and_b32_e32 v1, 0xfc00, v1
	v_or3_b32 v0, v2, v1, v0
	buffer_store_dword v0, off, s[0:3], s32 offset:408 ; 4-byte Folded Spill
.LBB312_473:                            ;   in Loop: Header=BB312_16 Depth=1
	s_or_b32 exec_lo, exec_lo, s27
.LBB312_474:                            ;   in Loop: Header=BB312_16 Depth=1
	s_or_b32 exec_lo, exec_lo, s26
.LBB312_475:                            ;   in Loop: Header=BB312_16 Depth=1
	s_or_b32 exec_lo, exec_lo, s25
	v_mov_b32_e32 v0, 0
	v_lshrrev_b16 v8, 8, v31
	s_mov_b32 s25, exec_lo
	buffer_store_dword v0, off, s[0:3], s32 offset:416 ; 4-byte Folded Spill
	v_mov_b32_e32 v0, 0
	buffer_store_dword v0, off, s[0:3], s32 offset:412 ; 4-byte Folded Spill
	v_cmpx_ne_u16_e32 0, v8
	s_cbranch_execz .LBB312_483
; %bb.476:                              ;   in Loop: Header=BB312_16 Depth=1
	v_bfrev_b32_e32 v0, 1
	s_mov_b32 s26, exec_lo
	buffer_store_dword v0, off, s[0:3], s32 offset:412 ; 4-byte Folded Spill
	v_cmpx_ne_u16_e32 0x80, v8
	s_cbranch_execz .LBB312_482
; %bb.477:                              ;   in Loop: Header=BB312_16 Depth=1
	v_mov_b32_e32 v0, 0x7f
	s_mov_b32 s27, exec_lo
	v_and_b32_sdwa v2, v8, v0 dst_sel:DWORD dst_unused:UNUSED_PAD src0_sel:WORD_0 src1_sel:DWORD
	v_mov_b32_e32 v0, 0x7c010000
	buffer_store_dword v0, off, s[0:3], s32 offset:412 ; 4-byte Folded Spill
	v_cmpx_ne_u32_e32 0x7f, v2
	s_cbranch_execz .LBB312_481
; %bb.478:                              ;   in Loop: Header=BB312_16 Depth=1
	v_mov_b32_e32 v0, 7
	v_lshrrev_b32_e32 v1, 3, v2
	s_mov_b32 s28, exec_lo
	v_and_b32_sdwa v0, v8, v0 dst_sel:DWORD dst_unused:UNUSED_PAD src0_sel:WORD_0 src1_sel:DWORD
	v_cmpx_gt_u32_e32 8, v2
; %bb.479:                              ;   in Loop: Header=BB312_16 Depth=1
	v_ffbh_u32_e32 v0, v0
	v_min_u32_e32 v2, 32, v0
	v_subrev_nc_u32_e32 v0, 28, v2
	v_lshlrev_b64 v[0:1], v0, v[8:9]
	v_sub_nc_u32_e32 v1, 29, v2
	v_and_b32_e32 v0, 7, v0
; %bb.480:                              ;   in Loop: Header=BB312_16 Depth=1
	s_or_b32 exec_lo, exec_lo, s28
	v_mov_b32_e32 v2, 8
	v_lshl_add_u32 v1, v1, 10, 0x2000
	v_lshlrev_b32_e32 v0, 23, v0
	v_lshlrev_b32_sdwa v2, v2, v8 dst_sel:DWORD dst_unused:UNUSED_PAD src0_sel:DWORD src1_sel:WORD_0
	v_and_or_b32 v1, 0x8000, v2, v1
	v_lshl_or_b32 v0, v1, 16, v0
	buffer_store_dword v0, off, s[0:3], s32 offset:412 ; 4-byte Folded Spill
.LBB312_481:                            ;   in Loop: Header=BB312_16 Depth=1
	s_or_b32 exec_lo, exec_lo, s27
.LBB312_482:                            ;   in Loop: Header=BB312_16 Depth=1
	s_or_b32 exec_lo, exec_lo, s26
.LBB312_483:                            ;   in Loop: Header=BB312_16 Depth=1
	s_or_b32 exec_lo, exec_lo, s25
	v_lshrrev_b32_e32 v8, 16, v31
	v_cmp_ne_u16_sdwa s5, v8, v9 src0_sel:BYTE_0 src1_sel:DWORD
	s_and_saveexec_b32 s25, s5
	s_cbranch_execz .LBB312_491
; %bb.484:                              ;   in Loop: Header=BB312_16 Depth=1
	v_cmp_ne_u16_sdwa s5, v8, v68 src0_sel:BYTE_0 src1_sel:DWORD
	v_mov_b32_e32 v0, 0x8000
	buffer_store_dword v0, off, s[0:3], s32 offset:416 ; 4-byte Folded Spill
	s_and_saveexec_b32 s26, s5
	s_cbranch_execz .LBB312_490
; %bb.485:                              ;   in Loop: Header=BB312_16 Depth=1
	v_bfe_u32 v2, v31, 16, 7
	v_mov_b32_e32 v0, 0x7c01
	s_mov_b32 s27, exec_lo
	buffer_store_dword v0, off, s[0:3], s32 offset:416 ; 4-byte Folded Spill
	v_cmpx_ne_u32_e32 0x7f, v2
	s_cbranch_execz .LBB312_489
; %bb.486:                              ;   in Loop: Header=BB312_16 Depth=1
	v_and_b32_e32 v0, 7, v8
	v_lshrrev_b32_e32 v1, 3, v2
	s_mov_b32 s28, exec_lo
	v_cmpx_gt_u32_e32 8, v2
; %bb.487:                              ;   in Loop: Header=BB312_16 Depth=1
	v_ffbh_u32_e32 v0, v0
	v_min_u32_e32 v2, 32, v0
	v_subrev_nc_u32_e32 v0, 28, v2
	v_lshlrev_b64 v[0:1], v0, v[8:9]
	v_sub_nc_u32_e32 v1, 29, v2
	v_and_b32_e32 v0, 7, v0
; %bb.488:                              ;   in Loop: Header=BB312_16 Depth=1
	s_or_b32 exec_lo, exec_lo, s28
	v_lshlrev_b32_e32 v2, 8, v8
	v_lshl_add_u32 v1, v1, 10, 0x2000
	v_lshlrev_b32_e32 v0, 7, v0
	v_and_b32_e32 v2, 0x8000, v2
	v_and_b32_e32 v1, 0xfc00, v1
	v_or3_b32 v0, v2, v1, v0
	buffer_store_dword v0, off, s[0:3], s32 offset:416 ; 4-byte Folded Spill
.LBB312_489:                            ;   in Loop: Header=BB312_16 Depth=1
	s_or_b32 exec_lo, exec_lo, s27
.LBB312_490:                            ;   in Loop: Header=BB312_16 Depth=1
	s_or_b32 exec_lo, exec_lo, s26
.LBB312_491:                            ;   in Loop: Header=BB312_16 Depth=1
	s_or_b32 exec_lo, exec_lo, s25
	v_mov_b32_e32 v0, 0
	s_mov_b32 s25, exec_lo
	buffer_store_dword v0, off, s[0:3], s32 offset:420 ; 4-byte Folded Spill
	v_mov_b32_e32 v0, 0
	buffer_store_dword v0, off, s[0:3], s32 offset:424 ; 4-byte Folded Spill
	v_cmpx_lt_u32_e32 0xffffff, v31
	s_cbranch_execz .LBB312_499
; %bb.492:                              ;   in Loop: Header=BB312_16 Depth=1
	v_lshrrev_b32_e32 v8, 24, v31
	v_bfrev_b32_e32 v0, 1
	s_mov_b32 s26, exec_lo
	buffer_store_dword v0, off, s[0:3], s32 offset:424 ; 4-byte Folded Spill
	v_cmpx_ne_u32_e32 0x80, v8
	s_cbranch_execz .LBB312_498
; %bb.493:                              ;   in Loop: Header=BB312_16 Depth=1
	v_and_b32_e32 v2, 0x7f, v8
	v_mov_b32_e32 v0, 0x7c010000
	s_mov_b32 s27, exec_lo
	buffer_store_dword v0, off, s[0:3], s32 offset:424 ; 4-byte Folded Spill
	v_cmpx_ne_u32_e32 0x7f, v2
	s_cbranch_execz .LBB312_497
; %bb.494:                              ;   in Loop: Header=BB312_16 Depth=1
	v_and_b32_e32 v0, 7, v8
	v_lshrrev_b32_e32 v1, 3, v2
	s_mov_b32 s28, exec_lo
	v_cmpx_gt_u32_e32 8, v2
; %bb.495:                              ;   in Loop: Header=BB312_16 Depth=1
	v_ffbh_u32_e32 v0, v0
	v_min_u32_e32 v2, 32, v0
	v_subrev_nc_u32_e32 v0, 28, v2
	v_lshlrev_b64 v[0:1], v0, v[8:9]
	v_sub_nc_u32_e32 v1, 29, v2
	v_and_b32_e32 v0, 7, v0
; %bb.496:                              ;   in Loop: Header=BB312_16 Depth=1
	s_or_b32 exec_lo, exec_lo, s28
	v_lshlrev_b32_e32 v2, 8, v8
	v_lshl_add_u32 v1, v1, 10, 0x2000
	v_lshlrev_b32_e32 v0, 23, v0
	v_and_or_b32 v1, 0x8000, v2, v1
	v_lshl_or_b32 v0, v1, 16, v0
	buffer_store_dword v0, off, s[0:3], s32 offset:424 ; 4-byte Folded Spill
.LBB312_497:                            ;   in Loop: Header=BB312_16 Depth=1
	s_or_b32 exec_lo, exec_lo, s27
.LBB312_498:                            ;   in Loop: Header=BB312_16 Depth=1
	s_or_b32 exec_lo, exec_lo, s26
.LBB312_499:                            ;   in Loop: Header=BB312_16 Depth=1
	s_or_b32 exec_lo, exec_lo, s25
	v_mov_b32_e32 v8, v32
	v_cmp_ne_u16_sdwa s5, v32, v9 src0_sel:BYTE_0 src1_sel:DWORD
	s_and_saveexec_b32 s25, s5
	s_cbranch_execz .LBB312_507
; %bb.500:                              ;   in Loop: Header=BB312_16 Depth=1
	v_cmp_ne_u16_sdwa s5, v32, v68 src0_sel:BYTE_0 src1_sel:DWORD
	v_mov_b32_e32 v0, 0x8000
	buffer_store_dword v0, off, s[0:3], s32 offset:420 ; 4-byte Folded Spill
	s_and_saveexec_b32 s26, s5
	s_cbranch_execz .LBB312_506
; %bb.501:                              ;   in Loop: Header=BB312_16 Depth=1
	v_and_b32_e32 v2, 0x7f, v32
	v_mov_b32_e32 v0, 0x7c01
	s_mov_b32 s27, exec_lo
	buffer_store_dword v0, off, s[0:3], s32 offset:420 ; 4-byte Folded Spill
	v_cmpx_ne_u32_e32 0x7f, v2
	s_cbranch_execz .LBB312_505
; %bb.502:                              ;   in Loop: Header=BB312_16 Depth=1
	v_and_b32_e32 v0, 7, v32
	v_lshrrev_b32_e32 v1, 3, v2
	s_mov_b32 s28, exec_lo
	v_cmpx_gt_u32_e32 8, v2
; %bb.503:                              ;   in Loop: Header=BB312_16 Depth=1
	v_ffbh_u32_e32 v0, v0
	v_min_u32_e32 v2, 32, v0
	v_subrev_nc_u32_e32 v0, 28, v2
	v_lshlrev_b64 v[0:1], v0, v[8:9]
	v_sub_nc_u32_e32 v1, 29, v2
	v_and_b32_e32 v0, 7, v0
; %bb.504:                              ;   in Loop: Header=BB312_16 Depth=1
	s_or_b32 exec_lo, exec_lo, s28
	v_lshlrev_b32_e32 v2, 8, v32
	v_lshl_add_u32 v1, v1, 10, 0x2000
	v_lshlrev_b32_e32 v0, 7, v0
	v_and_b32_e32 v2, 0x8000, v2
	v_and_b32_e32 v1, 0xfc00, v1
	v_or3_b32 v0, v2, v1, v0
	buffer_store_dword v0, off, s[0:3], s32 offset:420 ; 4-byte Folded Spill
.LBB312_505:                            ;   in Loop: Header=BB312_16 Depth=1
	s_or_b32 exec_lo, exec_lo, s27
.LBB312_506:                            ;   in Loop: Header=BB312_16 Depth=1
	s_or_b32 exec_lo, exec_lo, s26
.LBB312_507:                            ;   in Loop: Header=BB312_16 Depth=1
	s_or_b32 exec_lo, exec_lo, s25
	v_mov_b32_e32 v0, 0
	v_lshrrev_b16 v8, 8, v8
	s_mov_b32 s25, exec_lo
	buffer_store_dword v0, off, s[0:3], s32 offset:428 ; 4-byte Folded Spill
	v_mov_b32_e32 v0, 0
	buffer_store_dword v0, off, s[0:3], s32 offset:432 ; 4-byte Folded Spill
	v_cmpx_ne_u16_e32 0, v8
	s_cbranch_execz .LBB312_515
; %bb.508:                              ;   in Loop: Header=BB312_16 Depth=1
	v_bfrev_b32_e32 v0, 1
	s_mov_b32 s26, exec_lo
	buffer_store_dword v0, off, s[0:3], s32 offset:432 ; 4-byte Folded Spill
	v_cmpx_ne_u16_e32 0x80, v8
	s_cbranch_execz .LBB312_514
; %bb.509:                              ;   in Loop: Header=BB312_16 Depth=1
	v_mov_b32_e32 v0, 0x7f
	s_mov_b32 s27, exec_lo
	v_and_b32_sdwa v2, v8, v0 dst_sel:DWORD dst_unused:UNUSED_PAD src0_sel:WORD_0 src1_sel:DWORD
	v_mov_b32_e32 v0, 0x7c010000
	buffer_store_dword v0, off, s[0:3], s32 offset:432 ; 4-byte Folded Spill
	v_cmpx_ne_u32_e32 0x7f, v2
	s_cbranch_execz .LBB312_513
; %bb.510:                              ;   in Loop: Header=BB312_16 Depth=1
	v_mov_b32_e32 v0, 7
	v_lshrrev_b32_e32 v1, 3, v2
	s_mov_b32 s28, exec_lo
	v_and_b32_sdwa v0, v8, v0 dst_sel:DWORD dst_unused:UNUSED_PAD src0_sel:WORD_0 src1_sel:DWORD
	v_cmpx_gt_u32_e32 8, v2
; %bb.511:                              ;   in Loop: Header=BB312_16 Depth=1
	v_ffbh_u32_e32 v0, v0
	v_min_u32_e32 v2, 32, v0
	v_subrev_nc_u32_e32 v0, 28, v2
	v_lshlrev_b64 v[0:1], v0, v[8:9]
	v_sub_nc_u32_e32 v1, 29, v2
	v_and_b32_e32 v0, 7, v0
; %bb.512:                              ;   in Loop: Header=BB312_16 Depth=1
	s_or_b32 exec_lo, exec_lo, s28
	v_mov_b32_e32 v2, 8
	v_lshl_add_u32 v1, v1, 10, 0x2000
	v_lshlrev_b32_e32 v0, 23, v0
	v_lshlrev_b32_sdwa v2, v2, v8 dst_sel:DWORD dst_unused:UNUSED_PAD src0_sel:DWORD src1_sel:WORD_0
	v_and_or_b32 v1, 0x8000, v2, v1
	v_lshl_or_b32 v0, v1, 16, v0
	buffer_store_dword v0, off, s[0:3], s32 offset:432 ; 4-byte Folded Spill
.LBB312_513:                            ;   in Loop: Header=BB312_16 Depth=1
	s_or_b32 exec_lo, exec_lo, s27
.LBB312_514:                            ;   in Loop: Header=BB312_16 Depth=1
	s_or_b32 exec_lo, exec_lo, s26
.LBB312_515:                            ;   in Loop: Header=BB312_16 Depth=1
	s_or_b32 exec_lo, exec_lo, s25
	v_lshrrev_b32_e32 v8, 16, v32
	v_cmp_ne_u16_sdwa s5, v8, v9 src0_sel:BYTE_0 src1_sel:DWORD
	s_and_saveexec_b32 s25, s5
	s_cbranch_execz .LBB312_523
; %bb.516:                              ;   in Loop: Header=BB312_16 Depth=1
	v_cmp_ne_u16_sdwa s5, v8, v68 src0_sel:BYTE_0 src1_sel:DWORD
	v_mov_b32_e32 v0, 0x8000
	buffer_store_dword v0, off, s[0:3], s32 offset:428 ; 4-byte Folded Spill
	s_and_saveexec_b32 s26, s5
	s_cbranch_execz .LBB312_522
; %bb.517:                              ;   in Loop: Header=BB312_16 Depth=1
	v_bfe_u32 v2, v32, 16, 7
	v_mov_b32_e32 v0, 0x7c01
	s_mov_b32 s27, exec_lo
	buffer_store_dword v0, off, s[0:3], s32 offset:428 ; 4-byte Folded Spill
	v_cmpx_ne_u32_e32 0x7f, v2
	s_cbranch_execz .LBB312_521
; %bb.518:                              ;   in Loop: Header=BB312_16 Depth=1
	v_and_b32_e32 v0, 7, v8
	v_lshrrev_b32_e32 v1, 3, v2
	s_mov_b32 s28, exec_lo
	v_cmpx_gt_u32_e32 8, v2
; %bb.519:                              ;   in Loop: Header=BB312_16 Depth=1
	v_ffbh_u32_e32 v0, v0
	v_min_u32_e32 v2, 32, v0
	v_subrev_nc_u32_e32 v0, 28, v2
	v_lshlrev_b64 v[0:1], v0, v[8:9]
	v_sub_nc_u32_e32 v1, 29, v2
	v_and_b32_e32 v0, 7, v0
; %bb.520:                              ;   in Loop: Header=BB312_16 Depth=1
	s_or_b32 exec_lo, exec_lo, s28
	v_lshlrev_b32_e32 v2, 8, v8
	v_lshl_add_u32 v1, v1, 10, 0x2000
	v_lshlrev_b32_e32 v0, 7, v0
	v_and_b32_e32 v2, 0x8000, v2
	v_and_b32_e32 v1, 0xfc00, v1
	v_or3_b32 v0, v2, v1, v0
	buffer_store_dword v0, off, s[0:3], s32 offset:428 ; 4-byte Folded Spill
.LBB312_521:                            ;   in Loop: Header=BB312_16 Depth=1
	s_or_b32 exec_lo, exec_lo, s27
.LBB312_522:                            ;   in Loop: Header=BB312_16 Depth=1
	s_or_b32 exec_lo, exec_lo, s26
.LBB312_523:                            ;   in Loop: Header=BB312_16 Depth=1
	s_or_b32 exec_lo, exec_lo, s25
	v_mov_b32_e32 v0, 0
	s_mov_b32 s25, exec_lo
	buffer_store_dword v0, off, s[0:3], s32 offset:436 ; 4-byte Folded Spill
	v_mov_b32_e32 v0, 0
	buffer_store_dword v0, off, s[0:3], s32 offset:536 ; 4-byte Folded Spill
	v_cmpx_lt_u64_e64 s[20:21], v[31:32]
	s_cbranch_execz .LBB312_531
; %bb.524:                              ;   in Loop: Header=BB312_16 Depth=1
	v_lshrrev_b32_e32 v8, 24, v32
	v_bfrev_b32_e32 v0, 1
	s_mov_b32 s26, exec_lo
	v_cmpx_ne_u32_e32 0x80, v8
	s_cbranch_execz .LBB312_530
; %bb.525:                              ;   in Loop: Header=BB312_16 Depth=1
	v_and_b32_e32 v2, 0x7f, v8
	v_mov_b32_e32 v0, 0x7c010000
	s_mov_b32 s27, exec_lo
	v_cmpx_ne_u32_e32 0x7f, v2
	s_cbranch_execz .LBB312_529
; %bb.526:                              ;   in Loop: Header=BB312_16 Depth=1
	v_and_b32_e32 v0, 7, v8
	v_lshrrev_b32_e32 v1, 3, v2
	s_mov_b32 s28, exec_lo
	v_cmpx_gt_u32_e32 8, v2
; %bb.527:                              ;   in Loop: Header=BB312_16 Depth=1
	v_ffbh_u32_e32 v0, v0
	v_min_u32_e32 v2, 32, v0
	v_subrev_nc_u32_e32 v0, 28, v2
	v_lshlrev_b64 v[0:1], v0, v[8:9]
	v_sub_nc_u32_e32 v1, 29, v2
	v_and_b32_e32 v0, 7, v0
; %bb.528:                              ;   in Loop: Header=BB312_16 Depth=1
	s_or_b32 exec_lo, exec_lo, s28
	v_lshlrev_b32_e32 v2, 8, v8
	v_lshl_add_u32 v1, v1, 10, 0x2000
	v_lshlrev_b32_e32 v0, 23, v0
	v_and_or_b32 v1, 0x8000, v2, v1
	v_lshl_or_b32 v0, v1, 16, v0
.LBB312_529:                            ;   in Loop: Header=BB312_16 Depth=1
	s_or_b32 exec_lo, exec_lo, s27
.LBB312_530:                            ;   in Loop: Header=BB312_16 Depth=1
	s_or_b32 exec_lo, exec_lo, s26
	buffer_store_dword v0, off, s[0:3], s32 offset:536 ; 4-byte Folded Spill
.LBB312_531:                            ;   in Loop: Header=BB312_16 Depth=1
	s_or_b32 exec_lo, exec_lo, s25
	v_add_co_u32 v31, s5, 0x800, v28
	v_add_co_ci_u32_e64 v32, null, 0, v29, s5
	flat_load_dwordx2 v[33:34], v[31:32]
	s_waitcnt vmcnt(0) lgkmcnt(0)
	v_cmp_ne_u16_sdwa s5, v33, v9 src0_sel:BYTE_0 src1_sel:DWORD
	s_and_saveexec_b32 s25, s5
	s_cbranch_execz .LBB312_539
; %bb.532:                              ;   in Loop: Header=BB312_16 Depth=1
	v_cmp_ne_u16_sdwa s5, v33, v68 src0_sel:BYTE_0 src1_sel:DWORD
	v_mov_b32_e32 v0, 0x8000
	buffer_store_dword v0, off, s[0:3], s32 offset:436 ; 4-byte Folded Spill
	s_and_saveexec_b32 s26, s5
	s_cbranch_execz .LBB312_538
; %bb.533:                              ;   in Loop: Header=BB312_16 Depth=1
	v_and_b32_e32 v2, 0x7f, v33
	v_mov_b32_e32 v0, 0x7c01
	s_mov_b32 s27, exec_lo
	buffer_store_dword v0, off, s[0:3], s32 offset:436 ; 4-byte Folded Spill
	v_cmpx_ne_u32_e32 0x7f, v2
	s_cbranch_execz .LBB312_537
; %bb.534:                              ;   in Loop: Header=BB312_16 Depth=1
	v_and_b32_e32 v0, 7, v33
	v_lshrrev_b32_e32 v1, 3, v2
	s_mov_b32 s28, exec_lo
	v_cmpx_gt_u32_e32 8, v2
; %bb.535:                              ;   in Loop: Header=BB312_16 Depth=1
	v_ffbh_u32_e32 v0, v0
	v_min_u32_e32 v2, 32, v0
	v_subrev_nc_u32_e32 v0, 28, v2
	v_lshlrev_b64 v[0:1], v0, v[33:34]
	v_sub_nc_u32_e32 v1, 29, v2
	v_and_b32_e32 v0, 7, v0
; %bb.536:                              ;   in Loop: Header=BB312_16 Depth=1
	s_or_b32 exec_lo, exec_lo, s28
	v_lshlrev_b32_e32 v2, 8, v33
	v_lshl_add_u32 v1, v1, 10, 0x2000
	v_lshlrev_b32_e32 v0, 7, v0
	v_and_b32_e32 v2, 0x8000, v2
	v_and_b32_e32 v1, 0xfc00, v1
	v_or3_b32 v0, v2, v1, v0
	buffer_store_dword v0, off, s[0:3], s32 offset:436 ; 4-byte Folded Spill
.LBB312_537:                            ;   in Loop: Header=BB312_16 Depth=1
	s_or_b32 exec_lo, exec_lo, s27
.LBB312_538:                            ;   in Loop: Header=BB312_16 Depth=1
	s_or_b32 exec_lo, exec_lo, s26
.LBB312_539:                            ;   in Loop: Header=BB312_16 Depth=1
	s_or_b32 exec_lo, exec_lo, s25
	v_lshrrev_b16 v8, 8, v33
	v_mov_b32_e32 v0, 0
	v_mov_b32_e32 v87, 0
	s_mov_b32 s25, exec_lo
	buffer_store_dword v0, off, s[0:3], s32 offset:440 ; 4-byte Folded Spill
	v_cmpx_ne_u16_e32 0, v8
	s_cbranch_execz .LBB312_547
; %bb.540:                              ;   in Loop: Header=BB312_16 Depth=1
	v_bfrev_b32_e32 v87, 1
	s_mov_b32 s26, exec_lo
	v_cmpx_ne_u16_e32 0x80, v8
	s_cbranch_execz .LBB312_546
; %bb.541:                              ;   in Loop: Header=BB312_16 Depth=1
	v_mov_b32_e32 v0, 0x7f
	v_mov_b32_e32 v87, 0x7c010000
	s_mov_b32 s27, exec_lo
	v_and_b32_sdwa v2, v8, v0 dst_sel:DWORD dst_unused:UNUSED_PAD src0_sel:WORD_0 src1_sel:DWORD
	v_cmpx_ne_u32_e32 0x7f, v2
	s_cbranch_execz .LBB312_545
; %bb.542:                              ;   in Loop: Header=BB312_16 Depth=1
	v_mov_b32_e32 v0, 7
	v_lshrrev_b32_e32 v1, 3, v2
	s_mov_b32 s28, exec_lo
	v_and_b32_sdwa v0, v8, v0 dst_sel:DWORD dst_unused:UNUSED_PAD src0_sel:WORD_0 src1_sel:DWORD
	v_cmpx_gt_u32_e32 8, v2
; %bb.543:                              ;   in Loop: Header=BB312_16 Depth=1
	v_ffbh_u32_e32 v0, v0
	v_min_u32_e32 v2, 32, v0
	v_subrev_nc_u32_e32 v0, 28, v2
	v_lshlrev_b64 v[0:1], v0, v[8:9]
	v_sub_nc_u32_e32 v1, 29, v2
	v_and_b32_e32 v0, 7, v0
; %bb.544:                              ;   in Loop: Header=BB312_16 Depth=1
	s_or_b32 exec_lo, exec_lo, s28
	v_mov_b32_e32 v2, 8
	v_lshl_add_u32 v1, v1, 10, 0x2000
	v_lshlrev_b32_e32 v0, 23, v0
	v_lshlrev_b32_sdwa v2, v2, v8 dst_sel:DWORD dst_unused:UNUSED_PAD src0_sel:DWORD src1_sel:WORD_0
	v_and_or_b32 v1, 0x8000, v2, v1
	v_lshl_or_b32 v87, v1, 16, v0
.LBB312_545:                            ;   in Loop: Header=BB312_16 Depth=1
	s_or_b32 exec_lo, exec_lo, s27
.LBB312_546:                            ;   in Loop: Header=BB312_16 Depth=1
	s_or_b32 exec_lo, exec_lo, s26
.LBB312_547:                            ;   in Loop: Header=BB312_16 Depth=1
	s_or_b32 exec_lo, exec_lo, s25
	v_lshrrev_b32_e32 v8, 16, v33
	v_cmp_ne_u16_sdwa s5, v8, v9 src0_sel:BYTE_0 src1_sel:DWORD
	s_and_saveexec_b32 s25, s5
	s_cbranch_execz .LBB312_555
; %bb.548:                              ;   in Loop: Header=BB312_16 Depth=1
	v_cmp_ne_u16_sdwa s5, v8, v68 src0_sel:BYTE_0 src1_sel:DWORD
	v_mov_b32_e32 v0, 0x8000
	buffer_store_dword v0, off, s[0:3], s32 offset:440 ; 4-byte Folded Spill
	s_and_saveexec_b32 s26, s5
	s_cbranch_execz .LBB312_554
; %bb.549:                              ;   in Loop: Header=BB312_16 Depth=1
	v_bfe_u32 v2, v33, 16, 7
	v_mov_b32_e32 v0, 0x7c01
	s_mov_b32 s27, exec_lo
	buffer_store_dword v0, off, s[0:3], s32 offset:440 ; 4-byte Folded Spill
	v_cmpx_ne_u32_e32 0x7f, v2
	s_cbranch_execz .LBB312_553
; %bb.550:                              ;   in Loop: Header=BB312_16 Depth=1
	v_and_b32_e32 v0, 7, v8
	v_lshrrev_b32_e32 v1, 3, v2
	s_mov_b32 s28, exec_lo
	v_cmpx_gt_u32_e32 8, v2
; %bb.551:                              ;   in Loop: Header=BB312_16 Depth=1
	v_ffbh_u32_e32 v0, v0
	v_min_u32_e32 v2, 32, v0
	v_subrev_nc_u32_e32 v0, 28, v2
	v_lshlrev_b64 v[0:1], v0, v[8:9]
	v_sub_nc_u32_e32 v1, 29, v2
	v_and_b32_e32 v0, 7, v0
; %bb.552:                              ;   in Loop: Header=BB312_16 Depth=1
	s_or_b32 exec_lo, exec_lo, s28
	v_lshlrev_b32_e32 v2, 8, v8
	v_lshl_add_u32 v1, v1, 10, 0x2000
	v_lshlrev_b32_e32 v0, 7, v0
	v_and_b32_e32 v2, 0x8000, v2
	v_and_b32_e32 v1, 0xfc00, v1
	v_or3_b32 v0, v2, v1, v0
	buffer_store_dword v0, off, s[0:3], s32 offset:440 ; 4-byte Folded Spill
.LBB312_553:                            ;   in Loop: Header=BB312_16 Depth=1
	s_or_b32 exec_lo, exec_lo, s27
.LBB312_554:                            ;   in Loop: Header=BB312_16 Depth=1
	s_or_b32 exec_lo, exec_lo, s26
.LBB312_555:                            ;   in Loop: Header=BB312_16 Depth=1
	s_or_b32 exec_lo, exec_lo, s25
	v_mov_b32_e32 v0, 0
	v_mov_b32_e32 v123, 0
	s_mov_b32 s25, exec_lo
	buffer_store_dword v0, off, s[0:3], s32 offset:444 ; 4-byte Folded Spill
	v_cmpx_lt_u32_e32 0xffffff, v33
	s_cbranch_execz .LBB312_563
; %bb.556:                              ;   in Loop: Header=BB312_16 Depth=1
	v_lshrrev_b32_e32 v8, 24, v33
	v_bfrev_b32_e32 v123, 1
	s_mov_b32 s26, exec_lo
	v_cmpx_ne_u32_e32 0x80, v8
	s_cbranch_execz .LBB312_562
; %bb.557:                              ;   in Loop: Header=BB312_16 Depth=1
	v_and_b32_e32 v2, 0x7f, v8
	v_mov_b32_e32 v123, 0x7c010000
	s_mov_b32 s27, exec_lo
	v_cmpx_ne_u32_e32 0x7f, v2
	s_cbranch_execz .LBB312_561
; %bb.558:                              ;   in Loop: Header=BB312_16 Depth=1
	v_and_b32_e32 v0, 7, v8
	v_lshrrev_b32_e32 v1, 3, v2
	s_mov_b32 s28, exec_lo
	v_cmpx_gt_u32_e32 8, v2
; %bb.559:                              ;   in Loop: Header=BB312_16 Depth=1
	v_ffbh_u32_e32 v0, v0
	v_min_u32_e32 v2, 32, v0
	v_subrev_nc_u32_e32 v0, 28, v2
	v_lshlrev_b64 v[0:1], v0, v[8:9]
	v_sub_nc_u32_e32 v1, 29, v2
	v_and_b32_e32 v0, 7, v0
; %bb.560:                              ;   in Loop: Header=BB312_16 Depth=1
	s_or_b32 exec_lo, exec_lo, s28
	v_lshlrev_b32_e32 v2, 8, v8
	v_lshl_add_u32 v1, v1, 10, 0x2000
	v_lshlrev_b32_e32 v0, 23, v0
	v_and_or_b32 v1, 0x8000, v2, v1
	v_lshl_or_b32 v123, v1, 16, v0
.LBB312_561:                            ;   in Loop: Header=BB312_16 Depth=1
	s_or_b32 exec_lo, exec_lo, s27
.LBB312_562:                            ;   in Loop: Header=BB312_16 Depth=1
	s_or_b32 exec_lo, exec_lo, s26
.LBB312_563:                            ;   in Loop: Header=BB312_16 Depth=1
	s_or_b32 exec_lo, exec_lo, s25
	v_mov_b32_e32 v8, v34
	v_cmp_ne_u16_sdwa s5, v34, v9 src0_sel:BYTE_0 src1_sel:DWORD
	s_and_saveexec_b32 s25, s5
	s_cbranch_execz .LBB312_571
; %bb.564:                              ;   in Loop: Header=BB312_16 Depth=1
	v_cmp_ne_u16_sdwa s5, v34, v68 src0_sel:BYTE_0 src1_sel:DWORD
	v_mov_b32_e32 v0, 0x8000
	buffer_store_dword v0, off, s[0:3], s32 offset:444 ; 4-byte Folded Spill
	s_and_saveexec_b32 s26, s5
	s_cbranch_execz .LBB312_570
; %bb.565:                              ;   in Loop: Header=BB312_16 Depth=1
	v_and_b32_e32 v2, 0x7f, v34
	v_mov_b32_e32 v0, 0x7c01
	s_mov_b32 s27, exec_lo
	buffer_store_dword v0, off, s[0:3], s32 offset:444 ; 4-byte Folded Spill
	v_cmpx_ne_u32_e32 0x7f, v2
	s_cbranch_execz .LBB312_569
; %bb.566:                              ;   in Loop: Header=BB312_16 Depth=1
	v_and_b32_e32 v0, 7, v34
	v_lshrrev_b32_e32 v1, 3, v2
	s_mov_b32 s28, exec_lo
	v_cmpx_gt_u32_e32 8, v2
; %bb.567:                              ;   in Loop: Header=BB312_16 Depth=1
	v_ffbh_u32_e32 v0, v0
	v_min_u32_e32 v2, 32, v0
	v_subrev_nc_u32_e32 v0, 28, v2
	v_lshlrev_b64 v[0:1], v0, v[8:9]
	v_sub_nc_u32_e32 v1, 29, v2
	v_and_b32_e32 v0, 7, v0
; %bb.568:                              ;   in Loop: Header=BB312_16 Depth=1
	s_or_b32 exec_lo, exec_lo, s28
	v_lshlrev_b32_e32 v2, 8, v34
	v_lshl_add_u32 v1, v1, 10, 0x2000
	v_lshlrev_b32_e32 v0, 7, v0
	v_and_b32_e32 v2, 0x8000, v2
	v_and_b32_e32 v1, 0xfc00, v1
	v_or3_b32 v0, v2, v1, v0
	buffer_store_dword v0, off, s[0:3], s32 offset:444 ; 4-byte Folded Spill
.LBB312_569:                            ;   in Loop: Header=BB312_16 Depth=1
	s_or_b32 exec_lo, exec_lo, s27
.LBB312_570:                            ;   in Loop: Header=BB312_16 Depth=1
	s_or_b32 exec_lo, exec_lo, s26
.LBB312_571:                            ;   in Loop: Header=BB312_16 Depth=1
	s_or_b32 exec_lo, exec_lo, s25
	v_lshrrev_b16 v8, 8, v8
	v_mov_b32_e32 v0, 0
	v_mov_b32_e32 v37, 0
	s_mov_b32 s25, exec_lo
	buffer_store_dword v0, off, s[0:3], s32 offset:448 ; 4-byte Folded Spill
	v_cmpx_ne_u16_e32 0, v8
	s_cbranch_execz .LBB312_579
; %bb.572:                              ;   in Loop: Header=BB312_16 Depth=1
	v_bfrev_b32_e32 v37, 1
	s_mov_b32 s26, exec_lo
	v_cmpx_ne_u16_e32 0x80, v8
	s_cbranch_execz .LBB312_578
; %bb.573:                              ;   in Loop: Header=BB312_16 Depth=1
	v_mov_b32_e32 v0, 0x7f
	v_mov_b32_e32 v37, 0x7c010000
	s_mov_b32 s27, exec_lo
	v_and_b32_sdwa v2, v8, v0 dst_sel:DWORD dst_unused:UNUSED_PAD src0_sel:WORD_0 src1_sel:DWORD
	v_cmpx_ne_u32_e32 0x7f, v2
	s_cbranch_execz .LBB312_577
; %bb.574:                              ;   in Loop: Header=BB312_16 Depth=1
	v_mov_b32_e32 v0, 7
	v_lshrrev_b32_e32 v1, 3, v2
	s_mov_b32 s28, exec_lo
	v_and_b32_sdwa v0, v8, v0 dst_sel:DWORD dst_unused:UNUSED_PAD src0_sel:WORD_0 src1_sel:DWORD
	v_cmpx_gt_u32_e32 8, v2
; %bb.575:                              ;   in Loop: Header=BB312_16 Depth=1
	v_ffbh_u32_e32 v0, v0
	v_min_u32_e32 v2, 32, v0
	v_subrev_nc_u32_e32 v0, 28, v2
	v_lshlrev_b64 v[0:1], v0, v[8:9]
	v_sub_nc_u32_e32 v1, 29, v2
	v_and_b32_e32 v0, 7, v0
; %bb.576:                              ;   in Loop: Header=BB312_16 Depth=1
	s_or_b32 exec_lo, exec_lo, s28
	v_mov_b32_e32 v2, 8
	v_lshl_add_u32 v1, v1, 10, 0x2000
	v_lshlrev_b32_e32 v0, 23, v0
	v_lshlrev_b32_sdwa v2, v2, v8 dst_sel:DWORD dst_unused:UNUSED_PAD src0_sel:DWORD src1_sel:WORD_0
	v_and_or_b32 v1, 0x8000, v2, v1
	v_lshl_or_b32 v37, v1, 16, v0
.LBB312_577:                            ;   in Loop: Header=BB312_16 Depth=1
	s_or_b32 exec_lo, exec_lo, s27
.LBB312_578:                            ;   in Loop: Header=BB312_16 Depth=1
	s_or_b32 exec_lo, exec_lo, s26
.LBB312_579:                            ;   in Loop: Header=BB312_16 Depth=1
	s_or_b32 exec_lo, exec_lo, s25
	v_lshrrev_b32_e32 v8, 16, v34
	v_cmp_ne_u16_sdwa s5, v8, v9 src0_sel:BYTE_0 src1_sel:DWORD
	s_and_saveexec_b32 s25, s5
	s_cbranch_execz .LBB312_587
; %bb.580:                              ;   in Loop: Header=BB312_16 Depth=1
	v_cmp_ne_u16_sdwa s5, v8, v68 src0_sel:BYTE_0 src1_sel:DWORD
	v_mov_b32_e32 v0, 0x8000
	buffer_store_dword v0, off, s[0:3], s32 offset:448 ; 4-byte Folded Spill
	s_and_saveexec_b32 s26, s5
	s_cbranch_execz .LBB312_586
; %bb.581:                              ;   in Loop: Header=BB312_16 Depth=1
	v_bfe_u32 v2, v34, 16, 7
	v_mov_b32_e32 v0, 0x7c01
	s_mov_b32 s27, exec_lo
	buffer_store_dword v0, off, s[0:3], s32 offset:448 ; 4-byte Folded Spill
	v_cmpx_ne_u32_e32 0x7f, v2
	s_cbranch_execz .LBB312_585
; %bb.582:                              ;   in Loop: Header=BB312_16 Depth=1
	v_and_b32_e32 v0, 7, v8
	v_lshrrev_b32_e32 v1, 3, v2
	s_mov_b32 s28, exec_lo
	v_cmpx_gt_u32_e32 8, v2
; %bb.583:                              ;   in Loop: Header=BB312_16 Depth=1
	v_ffbh_u32_e32 v0, v0
	v_min_u32_e32 v2, 32, v0
	v_subrev_nc_u32_e32 v0, 28, v2
	v_lshlrev_b64 v[0:1], v0, v[8:9]
	v_sub_nc_u32_e32 v1, 29, v2
	v_and_b32_e32 v0, 7, v0
; %bb.584:                              ;   in Loop: Header=BB312_16 Depth=1
	s_or_b32 exec_lo, exec_lo, s28
	v_lshlrev_b32_e32 v2, 8, v8
	v_lshl_add_u32 v1, v1, 10, 0x2000
	v_lshlrev_b32_e32 v0, 7, v0
	v_and_b32_e32 v2, 0x8000, v2
	v_and_b32_e32 v1, 0xfc00, v1
	v_or3_b32 v0, v2, v1, v0
	buffer_store_dword v0, off, s[0:3], s32 offset:448 ; 4-byte Folded Spill
.LBB312_585:                            ;   in Loop: Header=BB312_16 Depth=1
	s_or_b32 exec_lo, exec_lo, s27
.LBB312_586:                            ;   in Loop: Header=BB312_16 Depth=1
	s_or_b32 exec_lo, exec_lo, s26
.LBB312_587:                            ;   in Loop: Header=BB312_16 Depth=1
	s_or_b32 exec_lo, exec_lo, s25
	v_mov_b32_e32 v0, 0
	v_mov_b32_e32 v5, 0
	s_mov_b32 s25, exec_lo
	buffer_store_dword v0, off, s[0:3], s32 offset:452 ; 4-byte Folded Spill
	v_cmpx_lt_u64_e64 s[20:21], v[33:34]
	s_cbranch_execz .LBB312_595
; %bb.588:                              ;   in Loop: Header=BB312_16 Depth=1
	v_lshrrev_b32_e32 v8, 24, v34
	v_bfrev_b32_e32 v5, 1
	s_mov_b32 s26, exec_lo
	v_cmpx_ne_u32_e32 0x80, v8
	s_cbranch_execz .LBB312_594
; %bb.589:                              ;   in Loop: Header=BB312_16 Depth=1
	v_and_b32_e32 v2, 0x7f, v8
	v_mov_b32_e32 v5, 0x7c010000
	s_mov_b32 s27, exec_lo
	v_cmpx_ne_u32_e32 0x7f, v2
	s_cbranch_execz .LBB312_593
; %bb.590:                              ;   in Loop: Header=BB312_16 Depth=1
	v_and_b32_e32 v0, 7, v8
	v_lshrrev_b32_e32 v1, 3, v2
	s_mov_b32 s28, exec_lo
	v_cmpx_gt_u32_e32 8, v2
; %bb.591:                              ;   in Loop: Header=BB312_16 Depth=1
	v_ffbh_u32_e32 v0, v0
	v_min_u32_e32 v2, 32, v0
	v_subrev_nc_u32_e32 v0, 28, v2
	v_lshlrev_b64 v[0:1], v0, v[8:9]
	v_sub_nc_u32_e32 v1, 29, v2
	v_and_b32_e32 v0, 7, v0
; %bb.592:                              ;   in Loop: Header=BB312_16 Depth=1
	s_or_b32 exec_lo, exec_lo, s28
	v_lshlrev_b32_e32 v2, 8, v8
	v_lshl_add_u32 v1, v1, 10, 0x2000
	v_lshlrev_b32_e32 v0, 23, v0
	v_and_or_b32 v1, 0x8000, v2, v1
	v_lshl_or_b32 v5, v1, 16, v0
.LBB312_593:                            ;   in Loop: Header=BB312_16 Depth=1
	s_or_b32 exec_lo, exec_lo, s27
.LBB312_594:                            ;   in Loop: Header=BB312_16 Depth=1
	s_or_b32 exec_lo, exec_lo, s26
.LBB312_595:                            ;   in Loop: Header=BB312_16 Depth=1
	s_or_b32 exec_lo, exec_lo, s25
	flat_load_dwordx2 v[33:34], v[31:32] offset:8
	s_waitcnt vmcnt(0) lgkmcnt(0)
	v_cmp_ne_u16_sdwa s5, v33, v9 src0_sel:BYTE_0 src1_sel:DWORD
	s_and_saveexec_b32 s25, s5
	s_cbranch_execz .LBB312_603
; %bb.596:                              ;   in Loop: Header=BB312_16 Depth=1
	v_cmp_ne_u16_sdwa s5, v33, v68 src0_sel:BYTE_0 src1_sel:DWORD
	v_mov_b32_e32 v0, 0x8000
	buffer_store_dword v0, off, s[0:3], s32 offset:452 ; 4-byte Folded Spill
	s_and_saveexec_b32 s26, s5
	s_cbranch_execz .LBB312_602
; %bb.597:                              ;   in Loop: Header=BB312_16 Depth=1
	v_and_b32_e32 v2, 0x7f, v33
	v_mov_b32_e32 v0, 0x7c01
	s_mov_b32 s27, exec_lo
	buffer_store_dword v0, off, s[0:3], s32 offset:452 ; 4-byte Folded Spill
	v_cmpx_ne_u32_e32 0x7f, v2
	s_cbranch_execz .LBB312_601
; %bb.598:                              ;   in Loop: Header=BB312_16 Depth=1
	v_and_b32_e32 v0, 7, v33
	v_lshrrev_b32_e32 v1, 3, v2
	s_mov_b32 s28, exec_lo
	v_cmpx_gt_u32_e32 8, v2
; %bb.599:                              ;   in Loop: Header=BB312_16 Depth=1
	v_ffbh_u32_e32 v0, v0
	v_min_u32_e32 v2, 32, v0
	v_subrev_nc_u32_e32 v0, 28, v2
	v_lshlrev_b64 v[0:1], v0, v[33:34]
	v_sub_nc_u32_e32 v1, 29, v2
	v_and_b32_e32 v0, 7, v0
; %bb.600:                              ;   in Loop: Header=BB312_16 Depth=1
	s_or_b32 exec_lo, exec_lo, s28
	v_lshlrev_b32_e32 v2, 8, v33
	v_lshl_add_u32 v1, v1, 10, 0x2000
	v_lshlrev_b32_e32 v0, 7, v0
	v_and_b32_e32 v2, 0x8000, v2
	v_and_b32_e32 v1, 0xfc00, v1
	v_or3_b32 v0, v2, v1, v0
	buffer_store_dword v0, off, s[0:3], s32 offset:452 ; 4-byte Folded Spill
.LBB312_601:                            ;   in Loop: Header=BB312_16 Depth=1
	s_or_b32 exec_lo, exec_lo, s27
.LBB312_602:                            ;   in Loop: Header=BB312_16 Depth=1
	s_or_b32 exec_lo, exec_lo, s26
.LBB312_603:                            ;   in Loop: Header=BB312_16 Depth=1
	s_or_b32 exec_lo, exec_lo, s25
	v_lshrrev_b16 v8, 8, v33
	v_mov_b32_e32 v0, 0
	v_mov_b32_e32 v91, 0
	s_mov_b32 s25, exec_lo
	buffer_store_dword v0, off, s[0:3], s32 offset:456 ; 4-byte Folded Spill
	v_cmpx_ne_u16_e32 0, v8
	s_cbranch_execz .LBB312_611
; %bb.604:                              ;   in Loop: Header=BB312_16 Depth=1
	v_bfrev_b32_e32 v91, 1
	s_mov_b32 s26, exec_lo
	v_cmpx_ne_u16_e32 0x80, v8
	s_cbranch_execz .LBB312_610
; %bb.605:                              ;   in Loop: Header=BB312_16 Depth=1
	v_mov_b32_e32 v0, 0x7f
	v_mov_b32_e32 v91, 0x7c010000
	s_mov_b32 s27, exec_lo
	v_and_b32_sdwa v2, v8, v0 dst_sel:DWORD dst_unused:UNUSED_PAD src0_sel:WORD_0 src1_sel:DWORD
	v_cmpx_ne_u32_e32 0x7f, v2
	s_cbranch_execz .LBB312_609
; %bb.606:                              ;   in Loop: Header=BB312_16 Depth=1
	v_mov_b32_e32 v0, 7
	v_lshrrev_b32_e32 v1, 3, v2
	s_mov_b32 s28, exec_lo
	v_and_b32_sdwa v0, v8, v0 dst_sel:DWORD dst_unused:UNUSED_PAD src0_sel:WORD_0 src1_sel:DWORD
	v_cmpx_gt_u32_e32 8, v2
; %bb.607:                              ;   in Loop: Header=BB312_16 Depth=1
	v_ffbh_u32_e32 v0, v0
	v_min_u32_e32 v2, 32, v0
	v_subrev_nc_u32_e32 v0, 28, v2
	v_lshlrev_b64 v[0:1], v0, v[8:9]
	v_sub_nc_u32_e32 v1, 29, v2
	v_and_b32_e32 v0, 7, v0
; %bb.608:                              ;   in Loop: Header=BB312_16 Depth=1
	s_or_b32 exec_lo, exec_lo, s28
	v_mov_b32_e32 v2, 8
	v_lshl_add_u32 v1, v1, 10, 0x2000
	v_lshlrev_b32_e32 v0, 23, v0
	v_lshlrev_b32_sdwa v2, v2, v8 dst_sel:DWORD dst_unused:UNUSED_PAD src0_sel:DWORD src1_sel:WORD_0
	v_and_or_b32 v1, 0x8000, v2, v1
	v_lshl_or_b32 v91, v1, 16, v0
.LBB312_609:                            ;   in Loop: Header=BB312_16 Depth=1
	s_or_b32 exec_lo, exec_lo, s27
.LBB312_610:                            ;   in Loop: Header=BB312_16 Depth=1
	s_or_b32 exec_lo, exec_lo, s26
.LBB312_611:                            ;   in Loop: Header=BB312_16 Depth=1
	s_or_b32 exec_lo, exec_lo, s25
	v_lshrrev_b32_e32 v8, 16, v33
	v_cmp_ne_u16_sdwa s5, v8, v9 src0_sel:BYTE_0 src1_sel:DWORD
	s_and_saveexec_b32 s25, s5
	s_cbranch_execz .LBB312_619
; %bb.612:                              ;   in Loop: Header=BB312_16 Depth=1
	v_cmp_ne_u16_sdwa s5, v8, v68 src0_sel:BYTE_0 src1_sel:DWORD
	v_mov_b32_e32 v0, 0x8000
	buffer_store_dword v0, off, s[0:3], s32 offset:456 ; 4-byte Folded Spill
	s_and_saveexec_b32 s26, s5
	s_cbranch_execz .LBB312_618
; %bb.613:                              ;   in Loop: Header=BB312_16 Depth=1
	v_bfe_u32 v2, v33, 16, 7
	v_mov_b32_e32 v0, 0x7c01
	s_mov_b32 s27, exec_lo
	buffer_store_dword v0, off, s[0:3], s32 offset:456 ; 4-byte Folded Spill
	v_cmpx_ne_u32_e32 0x7f, v2
	s_cbranch_execz .LBB312_617
; %bb.614:                              ;   in Loop: Header=BB312_16 Depth=1
	v_and_b32_e32 v0, 7, v8
	v_lshrrev_b32_e32 v1, 3, v2
	s_mov_b32 s28, exec_lo
	v_cmpx_gt_u32_e32 8, v2
; %bb.615:                              ;   in Loop: Header=BB312_16 Depth=1
	v_ffbh_u32_e32 v0, v0
	v_min_u32_e32 v2, 32, v0
	v_subrev_nc_u32_e32 v0, 28, v2
	v_lshlrev_b64 v[0:1], v0, v[8:9]
	v_sub_nc_u32_e32 v1, 29, v2
	v_and_b32_e32 v0, 7, v0
; %bb.616:                              ;   in Loop: Header=BB312_16 Depth=1
	s_or_b32 exec_lo, exec_lo, s28
	v_lshlrev_b32_e32 v2, 8, v8
	v_lshl_add_u32 v1, v1, 10, 0x2000
	v_lshlrev_b32_e32 v0, 7, v0
	v_and_b32_e32 v2, 0x8000, v2
	v_and_b32_e32 v1, 0xfc00, v1
	v_or3_b32 v0, v2, v1, v0
	buffer_store_dword v0, off, s[0:3], s32 offset:456 ; 4-byte Folded Spill
.LBB312_617:                            ;   in Loop: Header=BB312_16 Depth=1
	s_or_b32 exec_lo, exec_lo, s27
.LBB312_618:                            ;   in Loop: Header=BB312_16 Depth=1
	s_or_b32 exec_lo, exec_lo, s26
.LBB312_619:                            ;   in Loop: Header=BB312_16 Depth=1
	s_or_b32 exec_lo, exec_lo, s25
	v_mov_b32_e32 v0, 0
	v_mov_b32_e32 v78, 0
	s_mov_b32 s25, exec_lo
	buffer_store_dword v0, off, s[0:3], s32 offset:460 ; 4-byte Folded Spill
	v_cmpx_lt_u32_e32 0xffffff, v33
	s_cbranch_execz .LBB312_627
; %bb.620:                              ;   in Loop: Header=BB312_16 Depth=1
	v_lshrrev_b32_e32 v8, 24, v33
	v_bfrev_b32_e32 v78, 1
	s_mov_b32 s26, exec_lo
	v_cmpx_ne_u32_e32 0x80, v8
	s_cbranch_execz .LBB312_626
; %bb.621:                              ;   in Loop: Header=BB312_16 Depth=1
	v_and_b32_e32 v2, 0x7f, v8
	v_mov_b32_e32 v78, 0x7c010000
	s_mov_b32 s27, exec_lo
	v_cmpx_ne_u32_e32 0x7f, v2
	s_cbranch_execz .LBB312_625
; %bb.622:                              ;   in Loop: Header=BB312_16 Depth=1
	v_and_b32_e32 v0, 7, v8
	v_lshrrev_b32_e32 v1, 3, v2
	s_mov_b32 s28, exec_lo
	v_cmpx_gt_u32_e32 8, v2
; %bb.623:                              ;   in Loop: Header=BB312_16 Depth=1
	v_ffbh_u32_e32 v0, v0
	v_min_u32_e32 v2, 32, v0
	v_subrev_nc_u32_e32 v0, 28, v2
	v_lshlrev_b64 v[0:1], v0, v[8:9]
	v_sub_nc_u32_e32 v1, 29, v2
	v_and_b32_e32 v0, 7, v0
; %bb.624:                              ;   in Loop: Header=BB312_16 Depth=1
	s_or_b32 exec_lo, exec_lo, s28
	v_lshlrev_b32_e32 v2, 8, v8
	v_lshl_add_u32 v1, v1, 10, 0x2000
	v_lshlrev_b32_e32 v0, 23, v0
	v_and_or_b32 v1, 0x8000, v2, v1
	v_lshl_or_b32 v78, v1, 16, v0
.LBB312_625:                            ;   in Loop: Header=BB312_16 Depth=1
	s_or_b32 exec_lo, exec_lo, s27
.LBB312_626:                            ;   in Loop: Header=BB312_16 Depth=1
	s_or_b32 exec_lo, exec_lo, s26
.LBB312_627:                            ;   in Loop: Header=BB312_16 Depth=1
	s_or_b32 exec_lo, exec_lo, s25
	v_mov_b32_e32 v8, v34
	v_cmp_ne_u16_sdwa s5, v34, v9 src0_sel:BYTE_0 src1_sel:DWORD
	s_and_saveexec_b32 s25, s5
	s_cbranch_execz .LBB312_635
; %bb.628:                              ;   in Loop: Header=BB312_16 Depth=1
	v_cmp_ne_u16_sdwa s5, v34, v68 src0_sel:BYTE_0 src1_sel:DWORD
	v_mov_b32_e32 v0, 0x8000
	buffer_store_dword v0, off, s[0:3], s32 offset:460 ; 4-byte Folded Spill
	s_and_saveexec_b32 s26, s5
	s_cbranch_execz .LBB312_634
; %bb.629:                              ;   in Loop: Header=BB312_16 Depth=1
	v_and_b32_e32 v2, 0x7f, v34
	v_mov_b32_e32 v0, 0x7c01
	s_mov_b32 s27, exec_lo
	buffer_store_dword v0, off, s[0:3], s32 offset:460 ; 4-byte Folded Spill
	v_cmpx_ne_u32_e32 0x7f, v2
	s_cbranch_execz .LBB312_633
; %bb.630:                              ;   in Loop: Header=BB312_16 Depth=1
	v_and_b32_e32 v0, 7, v34
	v_lshrrev_b32_e32 v1, 3, v2
	s_mov_b32 s28, exec_lo
	v_cmpx_gt_u32_e32 8, v2
; %bb.631:                              ;   in Loop: Header=BB312_16 Depth=1
	v_ffbh_u32_e32 v0, v0
	v_min_u32_e32 v2, 32, v0
	v_subrev_nc_u32_e32 v0, 28, v2
	v_lshlrev_b64 v[0:1], v0, v[8:9]
	v_sub_nc_u32_e32 v1, 29, v2
	v_and_b32_e32 v0, 7, v0
; %bb.632:                              ;   in Loop: Header=BB312_16 Depth=1
	s_or_b32 exec_lo, exec_lo, s28
	v_lshlrev_b32_e32 v2, 8, v34
	v_lshl_add_u32 v1, v1, 10, 0x2000
	v_lshlrev_b32_e32 v0, 7, v0
	v_and_b32_e32 v2, 0x8000, v2
	v_and_b32_e32 v1, 0xfc00, v1
	v_or3_b32 v0, v2, v1, v0
	buffer_store_dword v0, off, s[0:3], s32 offset:460 ; 4-byte Folded Spill
.LBB312_633:                            ;   in Loop: Header=BB312_16 Depth=1
	s_or_b32 exec_lo, exec_lo, s27
.LBB312_634:                            ;   in Loop: Header=BB312_16 Depth=1
	s_or_b32 exec_lo, exec_lo, s26
.LBB312_635:                            ;   in Loop: Header=BB312_16 Depth=1
	s_or_b32 exec_lo, exec_lo, s25
	v_lshrrev_b16 v8, 8, v8
	v_mov_b32_e32 v0, 0
	v_mov_b32_e32 v64, 0
	s_mov_b32 s25, exec_lo
	buffer_store_dword v0, off, s[0:3], s32 offset:464 ; 4-byte Folded Spill
	v_cmpx_ne_u16_e32 0, v8
	s_cbranch_execz .LBB312_643
; %bb.636:                              ;   in Loop: Header=BB312_16 Depth=1
	v_bfrev_b32_e32 v64, 1
	s_mov_b32 s26, exec_lo
	v_cmpx_ne_u16_e32 0x80, v8
	s_cbranch_execz .LBB312_642
; %bb.637:                              ;   in Loop: Header=BB312_16 Depth=1
	v_mov_b32_e32 v0, 0x7f
	v_mov_b32_e32 v64, 0x7c010000
	s_mov_b32 s27, exec_lo
	v_and_b32_sdwa v2, v8, v0 dst_sel:DWORD dst_unused:UNUSED_PAD src0_sel:WORD_0 src1_sel:DWORD
	v_cmpx_ne_u32_e32 0x7f, v2
	s_cbranch_execz .LBB312_641
; %bb.638:                              ;   in Loop: Header=BB312_16 Depth=1
	v_mov_b32_e32 v0, 7
	v_lshrrev_b32_e32 v1, 3, v2
	s_mov_b32 s28, exec_lo
	v_and_b32_sdwa v0, v8, v0 dst_sel:DWORD dst_unused:UNUSED_PAD src0_sel:WORD_0 src1_sel:DWORD
	v_cmpx_gt_u32_e32 8, v2
; %bb.639:                              ;   in Loop: Header=BB312_16 Depth=1
	v_ffbh_u32_e32 v0, v0
	v_min_u32_e32 v2, 32, v0
	v_subrev_nc_u32_e32 v0, 28, v2
	v_lshlrev_b64 v[0:1], v0, v[8:9]
	v_sub_nc_u32_e32 v1, 29, v2
	v_and_b32_e32 v0, 7, v0
; %bb.640:                              ;   in Loop: Header=BB312_16 Depth=1
	s_or_b32 exec_lo, exec_lo, s28
	v_mov_b32_e32 v2, 8
	v_lshl_add_u32 v1, v1, 10, 0x2000
	v_lshlrev_b32_e32 v0, 23, v0
	v_lshlrev_b32_sdwa v2, v2, v8 dst_sel:DWORD dst_unused:UNUSED_PAD src0_sel:DWORD src1_sel:WORD_0
	v_and_or_b32 v1, 0x8000, v2, v1
	v_lshl_or_b32 v64, v1, 16, v0
.LBB312_641:                            ;   in Loop: Header=BB312_16 Depth=1
	s_or_b32 exec_lo, exec_lo, s27
.LBB312_642:                            ;   in Loop: Header=BB312_16 Depth=1
	s_or_b32 exec_lo, exec_lo, s26
.LBB312_643:                            ;   in Loop: Header=BB312_16 Depth=1
	s_or_b32 exec_lo, exec_lo, s25
	v_lshrrev_b32_e32 v8, 16, v34
	v_cmp_ne_u16_sdwa s5, v8, v9 src0_sel:BYTE_0 src1_sel:DWORD
	s_and_saveexec_b32 s25, s5
	s_cbranch_execz .LBB312_651
; %bb.644:                              ;   in Loop: Header=BB312_16 Depth=1
	v_cmp_ne_u16_sdwa s5, v8, v68 src0_sel:BYTE_0 src1_sel:DWORD
	v_mov_b32_e32 v0, 0x8000
	buffer_store_dword v0, off, s[0:3], s32 offset:464 ; 4-byte Folded Spill
	s_and_saveexec_b32 s26, s5
	s_cbranch_execz .LBB312_650
; %bb.645:                              ;   in Loop: Header=BB312_16 Depth=1
	v_bfe_u32 v2, v34, 16, 7
	v_mov_b32_e32 v0, 0x7c01
	s_mov_b32 s27, exec_lo
	buffer_store_dword v0, off, s[0:3], s32 offset:464 ; 4-byte Folded Spill
	v_cmpx_ne_u32_e32 0x7f, v2
	s_cbranch_execz .LBB312_649
; %bb.646:                              ;   in Loop: Header=BB312_16 Depth=1
	v_and_b32_e32 v0, 7, v8
	v_lshrrev_b32_e32 v1, 3, v2
	s_mov_b32 s28, exec_lo
	v_cmpx_gt_u32_e32 8, v2
; %bb.647:                              ;   in Loop: Header=BB312_16 Depth=1
	v_ffbh_u32_e32 v0, v0
	v_min_u32_e32 v2, 32, v0
	v_subrev_nc_u32_e32 v0, 28, v2
	v_lshlrev_b64 v[0:1], v0, v[8:9]
	v_sub_nc_u32_e32 v1, 29, v2
	v_and_b32_e32 v0, 7, v0
; %bb.648:                              ;   in Loop: Header=BB312_16 Depth=1
	s_or_b32 exec_lo, exec_lo, s28
	v_lshlrev_b32_e32 v2, 8, v8
	v_lshl_add_u32 v1, v1, 10, 0x2000
	v_lshlrev_b32_e32 v0, 7, v0
	v_and_b32_e32 v2, 0x8000, v2
	v_and_b32_e32 v1, 0xfc00, v1
	v_or3_b32 v0, v2, v1, v0
	buffer_store_dword v0, off, s[0:3], s32 offset:464 ; 4-byte Folded Spill
.LBB312_649:                            ;   in Loop: Header=BB312_16 Depth=1
	s_or_b32 exec_lo, exec_lo, s27
.LBB312_650:                            ;   in Loop: Header=BB312_16 Depth=1
	s_or_b32 exec_lo, exec_lo, s26
.LBB312_651:                            ;   in Loop: Header=BB312_16 Depth=1
	s_or_b32 exec_lo, exec_lo, s25
	v_mov_b32_e32 v0, 0
	v_mov_b32_e32 v18, 0
	s_mov_b32 s25, exec_lo
	buffer_store_dword v0, off, s[0:3], s32 offset:468 ; 4-byte Folded Spill
	v_cmpx_lt_u64_e64 s[20:21], v[33:34]
	s_cbranch_execz .LBB312_659
; %bb.652:                              ;   in Loop: Header=BB312_16 Depth=1
	v_lshrrev_b32_e32 v8, 24, v34
	v_bfrev_b32_e32 v18, 1
	s_mov_b32 s26, exec_lo
	v_cmpx_ne_u32_e32 0x80, v8
	s_cbranch_execz .LBB312_658
; %bb.653:                              ;   in Loop: Header=BB312_16 Depth=1
	v_and_b32_e32 v2, 0x7f, v8
	v_mov_b32_e32 v18, 0x7c010000
	s_mov_b32 s27, exec_lo
	v_cmpx_ne_u32_e32 0x7f, v2
	s_cbranch_execz .LBB312_657
; %bb.654:                              ;   in Loop: Header=BB312_16 Depth=1
	v_and_b32_e32 v0, 7, v8
	v_lshrrev_b32_e32 v1, 3, v2
	s_mov_b32 s28, exec_lo
	v_cmpx_gt_u32_e32 8, v2
; %bb.655:                              ;   in Loop: Header=BB312_16 Depth=1
	v_ffbh_u32_e32 v0, v0
	v_min_u32_e32 v2, 32, v0
	v_subrev_nc_u32_e32 v0, 28, v2
	v_lshlrev_b64 v[0:1], v0, v[8:9]
	v_sub_nc_u32_e32 v1, 29, v2
	v_and_b32_e32 v0, 7, v0
; %bb.656:                              ;   in Loop: Header=BB312_16 Depth=1
	s_or_b32 exec_lo, exec_lo, s28
	v_lshlrev_b32_e32 v2, 8, v8
	v_lshl_add_u32 v1, v1, 10, 0x2000
	v_lshlrev_b32_e32 v0, 23, v0
	v_and_or_b32 v1, 0x8000, v2, v1
	v_lshl_or_b32 v18, v1, 16, v0
.LBB312_657:                            ;   in Loop: Header=BB312_16 Depth=1
	s_or_b32 exec_lo, exec_lo, s27
.LBB312_658:                            ;   in Loop: Header=BB312_16 Depth=1
	s_or_b32 exec_lo, exec_lo, s26
.LBB312_659:                            ;   in Loop: Header=BB312_16 Depth=1
	s_or_b32 exec_lo, exec_lo, s25
	flat_load_dwordx2 v[33:34], v[31:32] offset:512
	s_waitcnt vmcnt(0) lgkmcnt(0)
	v_cmp_ne_u16_sdwa s5, v33, v9 src0_sel:BYTE_0 src1_sel:DWORD
	s_and_saveexec_b32 s25, s5
	s_cbranch_execz .LBB312_667
; %bb.660:                              ;   in Loop: Header=BB312_16 Depth=1
	v_cmp_ne_u16_sdwa s5, v33, v68 src0_sel:BYTE_0 src1_sel:DWORD
	v_mov_b32_e32 v0, 0x8000
	buffer_store_dword v0, off, s[0:3], s32 offset:468 ; 4-byte Folded Spill
	s_and_saveexec_b32 s26, s5
	s_cbranch_execz .LBB312_666
; %bb.661:                              ;   in Loop: Header=BB312_16 Depth=1
	v_and_b32_e32 v2, 0x7f, v33
	v_mov_b32_e32 v0, 0x7c01
	s_mov_b32 s27, exec_lo
	buffer_store_dword v0, off, s[0:3], s32 offset:468 ; 4-byte Folded Spill
	v_cmpx_ne_u32_e32 0x7f, v2
	s_cbranch_execz .LBB312_665
; %bb.662:                              ;   in Loop: Header=BB312_16 Depth=1
	v_and_b32_e32 v0, 7, v33
	v_lshrrev_b32_e32 v1, 3, v2
	s_mov_b32 s28, exec_lo
	v_cmpx_gt_u32_e32 8, v2
; %bb.663:                              ;   in Loop: Header=BB312_16 Depth=1
	v_ffbh_u32_e32 v0, v0
	v_min_u32_e32 v2, 32, v0
	v_subrev_nc_u32_e32 v0, 28, v2
	v_lshlrev_b64 v[0:1], v0, v[33:34]
	v_sub_nc_u32_e32 v1, 29, v2
	v_and_b32_e32 v0, 7, v0
; %bb.664:                              ;   in Loop: Header=BB312_16 Depth=1
	s_or_b32 exec_lo, exec_lo, s28
	v_lshlrev_b32_e32 v2, 8, v33
	v_lshl_add_u32 v1, v1, 10, 0x2000
	v_lshlrev_b32_e32 v0, 7, v0
	v_and_b32_e32 v2, 0x8000, v2
	v_and_b32_e32 v1, 0xfc00, v1
	v_or3_b32 v0, v2, v1, v0
	buffer_store_dword v0, off, s[0:3], s32 offset:468 ; 4-byte Folded Spill
.LBB312_665:                            ;   in Loop: Header=BB312_16 Depth=1
	s_or_b32 exec_lo, exec_lo, s27
.LBB312_666:                            ;   in Loop: Header=BB312_16 Depth=1
	s_or_b32 exec_lo, exec_lo, s26
.LBB312_667:                            ;   in Loop: Header=BB312_16 Depth=1
	s_or_b32 exec_lo, exec_lo, s25
	v_lshrrev_b16 v8, 8, v33
	v_mov_b32_e32 v0, 0
	v_mov_b32_e32 v22, 0
	s_mov_b32 s25, exec_lo
	buffer_store_dword v0, off, s[0:3], s32 offset:472 ; 4-byte Folded Spill
	v_cmpx_ne_u16_e32 0, v8
	s_cbranch_execz .LBB312_675
; %bb.668:                              ;   in Loop: Header=BB312_16 Depth=1
	v_bfrev_b32_e32 v22, 1
	s_mov_b32 s26, exec_lo
	v_cmpx_ne_u16_e32 0x80, v8
	s_cbranch_execz .LBB312_674
; %bb.669:                              ;   in Loop: Header=BB312_16 Depth=1
	v_mov_b32_e32 v0, 0x7f
	v_mov_b32_e32 v22, 0x7c010000
	s_mov_b32 s27, exec_lo
	v_and_b32_sdwa v2, v8, v0 dst_sel:DWORD dst_unused:UNUSED_PAD src0_sel:WORD_0 src1_sel:DWORD
	v_cmpx_ne_u32_e32 0x7f, v2
	s_cbranch_execz .LBB312_673
; %bb.670:                              ;   in Loop: Header=BB312_16 Depth=1
	v_mov_b32_e32 v0, 7
	v_lshrrev_b32_e32 v1, 3, v2
	s_mov_b32 s28, exec_lo
	v_and_b32_sdwa v0, v8, v0 dst_sel:DWORD dst_unused:UNUSED_PAD src0_sel:WORD_0 src1_sel:DWORD
	v_cmpx_gt_u32_e32 8, v2
; %bb.671:                              ;   in Loop: Header=BB312_16 Depth=1
	v_ffbh_u32_e32 v0, v0
	v_min_u32_e32 v2, 32, v0
	v_subrev_nc_u32_e32 v0, 28, v2
	v_lshlrev_b64 v[0:1], v0, v[8:9]
	v_sub_nc_u32_e32 v1, 29, v2
	v_and_b32_e32 v0, 7, v0
; %bb.672:                              ;   in Loop: Header=BB312_16 Depth=1
	s_or_b32 exec_lo, exec_lo, s28
	v_mov_b32_e32 v2, 8
	v_lshl_add_u32 v1, v1, 10, 0x2000
	v_lshlrev_b32_e32 v0, 23, v0
	v_lshlrev_b32_sdwa v2, v2, v8 dst_sel:DWORD dst_unused:UNUSED_PAD src0_sel:DWORD src1_sel:WORD_0
	v_and_or_b32 v1, 0x8000, v2, v1
	v_lshl_or_b32 v22, v1, 16, v0
.LBB312_673:                            ;   in Loop: Header=BB312_16 Depth=1
	s_or_b32 exec_lo, exec_lo, s27
.LBB312_674:                            ;   in Loop: Header=BB312_16 Depth=1
	s_or_b32 exec_lo, exec_lo, s26
.LBB312_675:                            ;   in Loop: Header=BB312_16 Depth=1
	s_or_b32 exec_lo, exec_lo, s25
	v_lshrrev_b32_e32 v8, 16, v33
	v_cmp_ne_u16_sdwa s5, v8, v9 src0_sel:BYTE_0 src1_sel:DWORD
	s_and_saveexec_b32 s25, s5
	s_cbranch_execz .LBB312_683
; %bb.676:                              ;   in Loop: Header=BB312_16 Depth=1
	v_cmp_ne_u16_sdwa s5, v8, v68 src0_sel:BYTE_0 src1_sel:DWORD
	v_mov_b32_e32 v0, 0x8000
	buffer_store_dword v0, off, s[0:3], s32 offset:472 ; 4-byte Folded Spill
	s_and_saveexec_b32 s26, s5
	s_cbranch_execz .LBB312_682
; %bb.677:                              ;   in Loop: Header=BB312_16 Depth=1
	v_bfe_u32 v2, v33, 16, 7
	v_mov_b32_e32 v0, 0x7c01
	s_mov_b32 s27, exec_lo
	buffer_store_dword v0, off, s[0:3], s32 offset:472 ; 4-byte Folded Spill
	v_cmpx_ne_u32_e32 0x7f, v2
	s_cbranch_execz .LBB312_681
; %bb.678:                              ;   in Loop: Header=BB312_16 Depth=1
	v_and_b32_e32 v0, 7, v8
	v_lshrrev_b32_e32 v1, 3, v2
	s_mov_b32 s28, exec_lo
	v_cmpx_gt_u32_e32 8, v2
; %bb.679:                              ;   in Loop: Header=BB312_16 Depth=1
	v_ffbh_u32_e32 v0, v0
	v_min_u32_e32 v2, 32, v0
	v_subrev_nc_u32_e32 v0, 28, v2
	v_lshlrev_b64 v[0:1], v0, v[8:9]
	v_sub_nc_u32_e32 v1, 29, v2
	v_and_b32_e32 v0, 7, v0
; %bb.680:                              ;   in Loop: Header=BB312_16 Depth=1
	s_or_b32 exec_lo, exec_lo, s28
	v_lshlrev_b32_e32 v2, 8, v8
	v_lshl_add_u32 v1, v1, 10, 0x2000
	v_lshlrev_b32_e32 v0, 7, v0
	v_and_b32_e32 v2, 0x8000, v2
	v_and_b32_e32 v1, 0xfc00, v1
	v_or3_b32 v0, v2, v1, v0
	buffer_store_dword v0, off, s[0:3], s32 offset:472 ; 4-byte Folded Spill
.LBB312_681:                            ;   in Loop: Header=BB312_16 Depth=1
	s_or_b32 exec_lo, exec_lo, s27
.LBB312_682:                            ;   in Loop: Header=BB312_16 Depth=1
	s_or_b32 exec_lo, exec_lo, s26
.LBB312_683:                            ;   in Loop: Header=BB312_16 Depth=1
	s_or_b32 exec_lo, exec_lo, s25
	v_mov_b32_e32 v0, 0
	v_mov_b32_e32 v6, 0
	s_mov_b32 s25, exec_lo
	buffer_store_dword v0, off, s[0:3], s32 offset:476 ; 4-byte Folded Spill
	v_cmpx_lt_u32_e32 0xffffff, v33
	s_cbranch_execz .LBB312_691
; %bb.684:                              ;   in Loop: Header=BB312_16 Depth=1
	v_lshrrev_b32_e32 v8, 24, v33
	v_bfrev_b32_e32 v6, 1
	s_mov_b32 s26, exec_lo
	v_cmpx_ne_u32_e32 0x80, v8
	s_cbranch_execz .LBB312_690
; %bb.685:                              ;   in Loop: Header=BB312_16 Depth=1
	v_and_b32_e32 v2, 0x7f, v8
	v_mov_b32_e32 v6, 0x7c010000
	s_mov_b32 s27, exec_lo
	v_cmpx_ne_u32_e32 0x7f, v2
	s_cbranch_execz .LBB312_689
; %bb.686:                              ;   in Loop: Header=BB312_16 Depth=1
	v_and_b32_e32 v0, 7, v8
	v_lshrrev_b32_e32 v1, 3, v2
	s_mov_b32 s28, exec_lo
	v_cmpx_gt_u32_e32 8, v2
; %bb.687:                              ;   in Loop: Header=BB312_16 Depth=1
	v_ffbh_u32_e32 v0, v0
	v_min_u32_e32 v2, 32, v0
	v_subrev_nc_u32_e32 v0, 28, v2
	v_lshlrev_b64 v[0:1], v0, v[8:9]
	v_sub_nc_u32_e32 v1, 29, v2
	v_and_b32_e32 v0, 7, v0
; %bb.688:                              ;   in Loop: Header=BB312_16 Depth=1
	s_or_b32 exec_lo, exec_lo, s28
	v_lshlrev_b32_e32 v2, 8, v8
	v_lshl_add_u32 v1, v1, 10, 0x2000
	v_lshlrev_b32_e32 v0, 23, v0
	v_and_or_b32 v1, 0x8000, v2, v1
	v_lshl_or_b32 v6, v1, 16, v0
.LBB312_689:                            ;   in Loop: Header=BB312_16 Depth=1
	s_or_b32 exec_lo, exec_lo, s27
.LBB312_690:                            ;   in Loop: Header=BB312_16 Depth=1
	s_or_b32 exec_lo, exec_lo, s26
.LBB312_691:                            ;   in Loop: Header=BB312_16 Depth=1
	s_or_b32 exec_lo, exec_lo, s25
	v_mov_b32_e32 v8, v34
	v_cmp_ne_u16_sdwa s5, v34, v9 src0_sel:BYTE_0 src1_sel:DWORD
	s_and_saveexec_b32 s25, s5
	s_cbranch_execz .LBB312_699
; %bb.692:                              ;   in Loop: Header=BB312_16 Depth=1
	v_cmp_ne_u16_sdwa s5, v34, v68 src0_sel:BYTE_0 src1_sel:DWORD
	v_mov_b32_e32 v0, 0x8000
	buffer_store_dword v0, off, s[0:3], s32 offset:476 ; 4-byte Folded Spill
	s_and_saveexec_b32 s26, s5
	s_cbranch_execz .LBB312_698
; %bb.693:                              ;   in Loop: Header=BB312_16 Depth=1
	v_and_b32_e32 v2, 0x7f, v34
	v_mov_b32_e32 v0, 0x7c01
	s_mov_b32 s27, exec_lo
	buffer_store_dword v0, off, s[0:3], s32 offset:476 ; 4-byte Folded Spill
	v_cmpx_ne_u32_e32 0x7f, v2
	s_cbranch_execz .LBB312_697
; %bb.694:                              ;   in Loop: Header=BB312_16 Depth=1
	v_and_b32_e32 v0, 7, v34
	v_lshrrev_b32_e32 v1, 3, v2
	s_mov_b32 s28, exec_lo
	v_cmpx_gt_u32_e32 8, v2
; %bb.695:                              ;   in Loop: Header=BB312_16 Depth=1
	v_ffbh_u32_e32 v0, v0
	v_min_u32_e32 v2, 32, v0
	v_subrev_nc_u32_e32 v0, 28, v2
	v_lshlrev_b64 v[0:1], v0, v[8:9]
	v_sub_nc_u32_e32 v1, 29, v2
	v_and_b32_e32 v0, 7, v0
; %bb.696:                              ;   in Loop: Header=BB312_16 Depth=1
	s_or_b32 exec_lo, exec_lo, s28
	v_lshlrev_b32_e32 v2, 8, v34
	v_lshl_add_u32 v1, v1, 10, 0x2000
	v_lshlrev_b32_e32 v0, 7, v0
	v_and_b32_e32 v2, 0x8000, v2
	v_and_b32_e32 v1, 0xfc00, v1
	v_or3_b32 v0, v2, v1, v0
	buffer_store_dword v0, off, s[0:3], s32 offset:476 ; 4-byte Folded Spill
.LBB312_697:                            ;   in Loop: Header=BB312_16 Depth=1
	s_or_b32 exec_lo, exec_lo, s27
.LBB312_698:                            ;   in Loop: Header=BB312_16 Depth=1
	s_or_b32 exec_lo, exec_lo, s26
.LBB312_699:                            ;   in Loop: Header=BB312_16 Depth=1
	s_or_b32 exec_lo, exec_lo, s25
	v_lshrrev_b16 v8, 8, v8
	v_mov_b32_e32 v0, 0
	v_mov_b32_e32 v47, 0
	s_mov_b32 s25, exec_lo
	buffer_store_dword v0, off, s[0:3], s32 offset:480 ; 4-byte Folded Spill
	v_cmpx_ne_u16_e32 0, v8
	s_cbranch_execz .LBB312_707
; %bb.700:                              ;   in Loop: Header=BB312_16 Depth=1
	v_bfrev_b32_e32 v47, 1
	s_mov_b32 s26, exec_lo
	v_cmpx_ne_u16_e32 0x80, v8
	s_cbranch_execz .LBB312_706
; %bb.701:                              ;   in Loop: Header=BB312_16 Depth=1
	v_mov_b32_e32 v0, 0x7f
	v_mov_b32_e32 v47, 0x7c010000
	s_mov_b32 s27, exec_lo
	v_and_b32_sdwa v2, v8, v0 dst_sel:DWORD dst_unused:UNUSED_PAD src0_sel:WORD_0 src1_sel:DWORD
	v_cmpx_ne_u32_e32 0x7f, v2
	s_cbranch_execz .LBB312_705
; %bb.702:                              ;   in Loop: Header=BB312_16 Depth=1
	v_mov_b32_e32 v0, 7
	v_lshrrev_b32_e32 v1, 3, v2
	s_mov_b32 s28, exec_lo
	v_and_b32_sdwa v0, v8, v0 dst_sel:DWORD dst_unused:UNUSED_PAD src0_sel:WORD_0 src1_sel:DWORD
	v_cmpx_gt_u32_e32 8, v2
; %bb.703:                              ;   in Loop: Header=BB312_16 Depth=1
	v_ffbh_u32_e32 v0, v0
	v_min_u32_e32 v2, 32, v0
	v_subrev_nc_u32_e32 v0, 28, v2
	v_lshlrev_b64 v[0:1], v0, v[8:9]
	v_sub_nc_u32_e32 v1, 29, v2
	v_and_b32_e32 v0, 7, v0
; %bb.704:                              ;   in Loop: Header=BB312_16 Depth=1
	s_or_b32 exec_lo, exec_lo, s28
	v_mov_b32_e32 v2, 8
	v_lshl_add_u32 v1, v1, 10, 0x2000
	v_lshlrev_b32_e32 v0, 23, v0
	v_lshlrev_b32_sdwa v2, v2, v8 dst_sel:DWORD dst_unused:UNUSED_PAD src0_sel:DWORD src1_sel:WORD_0
	v_and_or_b32 v1, 0x8000, v2, v1
	v_lshl_or_b32 v47, v1, 16, v0
.LBB312_705:                            ;   in Loop: Header=BB312_16 Depth=1
	s_or_b32 exec_lo, exec_lo, s27
.LBB312_706:                            ;   in Loop: Header=BB312_16 Depth=1
	s_or_b32 exec_lo, exec_lo, s26
.LBB312_707:                            ;   in Loop: Header=BB312_16 Depth=1
	s_or_b32 exec_lo, exec_lo, s25
	v_lshrrev_b32_e32 v8, 16, v34
	v_cmp_ne_u16_sdwa s5, v8, v9 src0_sel:BYTE_0 src1_sel:DWORD
	s_and_saveexec_b32 s25, s5
	s_cbranch_execz .LBB312_715
; %bb.708:                              ;   in Loop: Header=BB312_16 Depth=1
	v_cmp_ne_u16_sdwa s5, v8, v68 src0_sel:BYTE_0 src1_sel:DWORD
	v_mov_b32_e32 v0, 0x8000
	buffer_store_dword v0, off, s[0:3], s32 offset:480 ; 4-byte Folded Spill
	s_and_saveexec_b32 s26, s5
	s_cbranch_execz .LBB312_714
; %bb.709:                              ;   in Loop: Header=BB312_16 Depth=1
	v_bfe_u32 v2, v34, 16, 7
	v_mov_b32_e32 v0, 0x7c01
	s_mov_b32 s27, exec_lo
	buffer_store_dword v0, off, s[0:3], s32 offset:480 ; 4-byte Folded Spill
	v_cmpx_ne_u32_e32 0x7f, v2
	s_cbranch_execz .LBB312_713
; %bb.710:                              ;   in Loop: Header=BB312_16 Depth=1
	v_and_b32_e32 v0, 7, v8
	v_lshrrev_b32_e32 v1, 3, v2
	s_mov_b32 s28, exec_lo
	v_cmpx_gt_u32_e32 8, v2
; %bb.711:                              ;   in Loop: Header=BB312_16 Depth=1
	v_ffbh_u32_e32 v0, v0
	v_min_u32_e32 v2, 32, v0
	v_subrev_nc_u32_e32 v0, 28, v2
	v_lshlrev_b64 v[0:1], v0, v[8:9]
	v_sub_nc_u32_e32 v1, 29, v2
	v_and_b32_e32 v0, 7, v0
; %bb.712:                              ;   in Loop: Header=BB312_16 Depth=1
	s_or_b32 exec_lo, exec_lo, s28
	v_lshlrev_b32_e32 v2, 8, v8
	v_lshl_add_u32 v1, v1, 10, 0x2000
	v_lshlrev_b32_e32 v0, 7, v0
	v_and_b32_e32 v2, 0x8000, v2
	v_and_b32_e32 v1, 0xfc00, v1
	v_or3_b32 v0, v2, v1, v0
	buffer_store_dword v0, off, s[0:3], s32 offset:480 ; 4-byte Folded Spill
.LBB312_713:                            ;   in Loop: Header=BB312_16 Depth=1
	s_or_b32 exec_lo, exec_lo, s27
.LBB312_714:                            ;   in Loop: Header=BB312_16 Depth=1
	s_or_b32 exec_lo, exec_lo, s26
.LBB312_715:                            ;   in Loop: Header=BB312_16 Depth=1
	s_or_b32 exec_lo, exec_lo, s25
	v_mov_b32_e32 v0, 0
	v_mov_b32_e32 v80, 0
	s_mov_b32 s25, exec_lo
	buffer_store_dword v0, off, s[0:3], s32 offset:484 ; 4-byte Folded Spill
	v_cmpx_lt_u64_e64 s[20:21], v[33:34]
	s_cbranch_execz .LBB312_723
; %bb.716:                              ;   in Loop: Header=BB312_16 Depth=1
	v_lshrrev_b32_e32 v8, 24, v34
	v_bfrev_b32_e32 v80, 1
	s_mov_b32 s26, exec_lo
	v_cmpx_ne_u32_e32 0x80, v8
	s_cbranch_execz .LBB312_722
; %bb.717:                              ;   in Loop: Header=BB312_16 Depth=1
	v_and_b32_e32 v2, 0x7f, v8
	v_mov_b32_e32 v80, 0x7c010000
	s_mov_b32 s27, exec_lo
	v_cmpx_ne_u32_e32 0x7f, v2
	s_cbranch_execz .LBB312_721
; %bb.718:                              ;   in Loop: Header=BB312_16 Depth=1
	v_and_b32_e32 v0, 7, v8
	v_lshrrev_b32_e32 v1, 3, v2
	s_mov_b32 s28, exec_lo
	v_cmpx_gt_u32_e32 8, v2
; %bb.719:                              ;   in Loop: Header=BB312_16 Depth=1
	v_ffbh_u32_e32 v0, v0
	v_min_u32_e32 v2, 32, v0
	v_subrev_nc_u32_e32 v0, 28, v2
	v_lshlrev_b64 v[0:1], v0, v[8:9]
	v_sub_nc_u32_e32 v1, 29, v2
	v_and_b32_e32 v0, 7, v0
; %bb.720:                              ;   in Loop: Header=BB312_16 Depth=1
	s_or_b32 exec_lo, exec_lo, s28
	v_lshlrev_b32_e32 v2, 8, v8
	v_lshl_add_u32 v1, v1, 10, 0x2000
	v_lshlrev_b32_e32 v0, 23, v0
	v_and_or_b32 v1, 0x8000, v2, v1
	v_lshl_or_b32 v80, v1, 16, v0
.LBB312_721:                            ;   in Loop: Header=BB312_16 Depth=1
	s_or_b32 exec_lo, exec_lo, s27
.LBB312_722:                            ;   in Loop: Header=BB312_16 Depth=1
	s_or_b32 exec_lo, exec_lo, s26
.LBB312_723:                            ;   in Loop: Header=BB312_16 Depth=1
	s_or_b32 exec_lo, exec_lo, s25
	flat_load_dwordx2 v[33:34], v[31:32] offset:520
	s_waitcnt vmcnt(0) lgkmcnt(0)
	v_cmp_ne_u16_sdwa s5, v33, v9 src0_sel:BYTE_0 src1_sel:DWORD
	s_and_saveexec_b32 s25, s5
	s_cbranch_execz .LBB312_731
; %bb.724:                              ;   in Loop: Header=BB312_16 Depth=1
	v_cmp_ne_u16_sdwa s5, v33, v68 src0_sel:BYTE_0 src1_sel:DWORD
	v_mov_b32_e32 v0, 0x8000
	buffer_store_dword v0, off, s[0:3], s32 offset:484 ; 4-byte Folded Spill
	s_and_saveexec_b32 s26, s5
	s_cbranch_execz .LBB312_730
; %bb.725:                              ;   in Loop: Header=BB312_16 Depth=1
	v_and_b32_e32 v2, 0x7f, v33
	v_mov_b32_e32 v0, 0x7c01
	s_mov_b32 s27, exec_lo
	buffer_store_dword v0, off, s[0:3], s32 offset:484 ; 4-byte Folded Spill
	v_cmpx_ne_u32_e32 0x7f, v2
	s_cbranch_execz .LBB312_729
; %bb.726:                              ;   in Loop: Header=BB312_16 Depth=1
	v_and_b32_e32 v0, 7, v33
	v_lshrrev_b32_e32 v1, 3, v2
	s_mov_b32 s28, exec_lo
	v_cmpx_gt_u32_e32 8, v2
; %bb.727:                              ;   in Loop: Header=BB312_16 Depth=1
	v_ffbh_u32_e32 v0, v0
	v_min_u32_e32 v2, 32, v0
	v_subrev_nc_u32_e32 v0, 28, v2
	v_lshlrev_b64 v[0:1], v0, v[33:34]
	v_sub_nc_u32_e32 v1, 29, v2
	v_and_b32_e32 v0, 7, v0
; %bb.728:                              ;   in Loop: Header=BB312_16 Depth=1
	s_or_b32 exec_lo, exec_lo, s28
	v_lshlrev_b32_e32 v2, 8, v33
	v_lshl_add_u32 v1, v1, 10, 0x2000
	v_lshlrev_b32_e32 v0, 7, v0
	v_and_b32_e32 v2, 0x8000, v2
	v_and_b32_e32 v1, 0xfc00, v1
	v_or3_b32 v0, v2, v1, v0
	buffer_store_dword v0, off, s[0:3], s32 offset:484 ; 4-byte Folded Spill
.LBB312_729:                            ;   in Loop: Header=BB312_16 Depth=1
	s_or_b32 exec_lo, exec_lo, s27
.LBB312_730:                            ;   in Loop: Header=BB312_16 Depth=1
	s_or_b32 exec_lo, exec_lo, s26
.LBB312_731:                            ;   in Loop: Header=BB312_16 Depth=1
	s_or_b32 exec_lo, exec_lo, s25
	v_lshrrev_b16 v8, 8, v33
	v_mov_b32_e32 v0, 0
	v_mov_b32_e32 v35, 0
	s_mov_b32 s25, exec_lo
	buffer_store_dword v0, off, s[0:3], s32 offset:488 ; 4-byte Folded Spill
	v_cmpx_ne_u16_e32 0, v8
	s_cbranch_execz .LBB312_739
; %bb.732:                              ;   in Loop: Header=BB312_16 Depth=1
	v_bfrev_b32_e32 v35, 1
	s_mov_b32 s26, exec_lo
	v_cmpx_ne_u16_e32 0x80, v8
	s_cbranch_execz .LBB312_738
; %bb.733:                              ;   in Loop: Header=BB312_16 Depth=1
	v_mov_b32_e32 v0, 0x7f
	v_mov_b32_e32 v35, 0x7c010000
	s_mov_b32 s27, exec_lo
	v_and_b32_sdwa v2, v8, v0 dst_sel:DWORD dst_unused:UNUSED_PAD src0_sel:WORD_0 src1_sel:DWORD
	v_cmpx_ne_u32_e32 0x7f, v2
	s_cbranch_execz .LBB312_737
; %bb.734:                              ;   in Loop: Header=BB312_16 Depth=1
	v_mov_b32_e32 v0, 7
	v_lshrrev_b32_e32 v1, 3, v2
	s_mov_b32 s28, exec_lo
	v_and_b32_sdwa v0, v8, v0 dst_sel:DWORD dst_unused:UNUSED_PAD src0_sel:WORD_0 src1_sel:DWORD
	v_cmpx_gt_u32_e32 8, v2
; %bb.735:                              ;   in Loop: Header=BB312_16 Depth=1
	v_ffbh_u32_e32 v0, v0
	v_min_u32_e32 v2, 32, v0
	v_subrev_nc_u32_e32 v0, 28, v2
	v_lshlrev_b64 v[0:1], v0, v[8:9]
	v_sub_nc_u32_e32 v1, 29, v2
	v_and_b32_e32 v0, 7, v0
; %bb.736:                              ;   in Loop: Header=BB312_16 Depth=1
	s_or_b32 exec_lo, exec_lo, s28
	v_mov_b32_e32 v2, 8
	v_lshl_add_u32 v1, v1, 10, 0x2000
	v_lshlrev_b32_e32 v0, 23, v0
	v_lshlrev_b32_sdwa v2, v2, v8 dst_sel:DWORD dst_unused:UNUSED_PAD src0_sel:DWORD src1_sel:WORD_0
	v_and_or_b32 v1, 0x8000, v2, v1
	v_lshl_or_b32 v35, v1, 16, v0
.LBB312_737:                            ;   in Loop: Header=BB312_16 Depth=1
	s_or_b32 exec_lo, exec_lo, s27
.LBB312_738:                            ;   in Loop: Header=BB312_16 Depth=1
	s_or_b32 exec_lo, exec_lo, s26
.LBB312_739:                            ;   in Loop: Header=BB312_16 Depth=1
	s_or_b32 exec_lo, exec_lo, s25
	v_lshrrev_b32_e32 v8, 16, v33
	v_cmp_ne_u16_sdwa s5, v8, v9 src0_sel:BYTE_0 src1_sel:DWORD
	s_and_saveexec_b32 s25, s5
	s_cbranch_execz .LBB312_747
; %bb.740:                              ;   in Loop: Header=BB312_16 Depth=1
	v_cmp_ne_u16_sdwa s5, v8, v68 src0_sel:BYTE_0 src1_sel:DWORD
	v_mov_b32_e32 v0, 0x8000
	buffer_store_dword v0, off, s[0:3], s32 offset:488 ; 4-byte Folded Spill
	s_and_saveexec_b32 s26, s5
	s_cbranch_execz .LBB312_746
; %bb.741:                              ;   in Loop: Header=BB312_16 Depth=1
	v_bfe_u32 v2, v33, 16, 7
	v_mov_b32_e32 v0, 0x7c01
	s_mov_b32 s27, exec_lo
	buffer_store_dword v0, off, s[0:3], s32 offset:488 ; 4-byte Folded Spill
	v_cmpx_ne_u32_e32 0x7f, v2
	s_cbranch_execz .LBB312_745
; %bb.742:                              ;   in Loop: Header=BB312_16 Depth=1
	v_and_b32_e32 v0, 7, v8
	v_lshrrev_b32_e32 v1, 3, v2
	s_mov_b32 s28, exec_lo
	v_cmpx_gt_u32_e32 8, v2
; %bb.743:                              ;   in Loop: Header=BB312_16 Depth=1
	v_ffbh_u32_e32 v0, v0
	v_min_u32_e32 v2, 32, v0
	v_subrev_nc_u32_e32 v0, 28, v2
	v_lshlrev_b64 v[0:1], v0, v[8:9]
	v_sub_nc_u32_e32 v1, 29, v2
	v_and_b32_e32 v0, 7, v0
; %bb.744:                              ;   in Loop: Header=BB312_16 Depth=1
	s_or_b32 exec_lo, exec_lo, s28
	v_lshlrev_b32_e32 v2, 8, v8
	v_lshl_add_u32 v1, v1, 10, 0x2000
	v_lshlrev_b32_e32 v0, 7, v0
	v_and_b32_e32 v2, 0x8000, v2
	v_and_b32_e32 v1, 0xfc00, v1
	v_or3_b32 v0, v2, v1, v0
	buffer_store_dword v0, off, s[0:3], s32 offset:488 ; 4-byte Folded Spill
.LBB312_745:                            ;   in Loop: Header=BB312_16 Depth=1
	s_or_b32 exec_lo, exec_lo, s27
.LBB312_746:                            ;   in Loop: Header=BB312_16 Depth=1
	s_or_b32 exec_lo, exec_lo, s26
.LBB312_747:                            ;   in Loop: Header=BB312_16 Depth=1
	s_or_b32 exec_lo, exec_lo, s25
	v_mov_b32_e32 v0, 0
	v_mov_b32_e32 v11, 0
	s_mov_b32 s25, exec_lo
	buffer_store_dword v0, off, s[0:3], s32 offset:492 ; 4-byte Folded Spill
	v_cmpx_lt_u32_e32 0xffffff, v33
	s_cbranch_execz .LBB312_755
; %bb.748:                              ;   in Loop: Header=BB312_16 Depth=1
	v_lshrrev_b32_e32 v8, 24, v33
	v_bfrev_b32_e32 v11, 1
	s_mov_b32 s26, exec_lo
	v_cmpx_ne_u32_e32 0x80, v8
	s_cbranch_execz .LBB312_754
; %bb.749:                              ;   in Loop: Header=BB312_16 Depth=1
	v_and_b32_e32 v2, 0x7f, v8
	v_mov_b32_e32 v11, 0x7c010000
	s_mov_b32 s27, exec_lo
	v_cmpx_ne_u32_e32 0x7f, v2
	s_cbranch_execz .LBB312_753
; %bb.750:                              ;   in Loop: Header=BB312_16 Depth=1
	v_and_b32_e32 v0, 7, v8
	v_lshrrev_b32_e32 v1, 3, v2
	s_mov_b32 s28, exec_lo
	v_cmpx_gt_u32_e32 8, v2
; %bb.751:                              ;   in Loop: Header=BB312_16 Depth=1
	v_ffbh_u32_e32 v0, v0
	v_min_u32_e32 v2, 32, v0
	v_subrev_nc_u32_e32 v0, 28, v2
	v_lshlrev_b64 v[0:1], v0, v[8:9]
	v_sub_nc_u32_e32 v1, 29, v2
	v_and_b32_e32 v0, 7, v0
; %bb.752:                              ;   in Loop: Header=BB312_16 Depth=1
	s_or_b32 exec_lo, exec_lo, s28
	v_lshlrev_b32_e32 v2, 8, v8
	v_lshl_add_u32 v1, v1, 10, 0x2000
	v_lshlrev_b32_e32 v0, 23, v0
	v_and_or_b32 v1, 0x8000, v2, v1
	v_lshl_or_b32 v11, v1, 16, v0
.LBB312_753:                            ;   in Loop: Header=BB312_16 Depth=1
	s_or_b32 exec_lo, exec_lo, s27
.LBB312_754:                            ;   in Loop: Header=BB312_16 Depth=1
	s_or_b32 exec_lo, exec_lo, s26
.LBB312_755:                            ;   in Loop: Header=BB312_16 Depth=1
	s_or_b32 exec_lo, exec_lo, s25
	v_mov_b32_e32 v8, v34
	v_cmp_ne_u16_sdwa s5, v34, v9 src0_sel:BYTE_0 src1_sel:DWORD
	s_and_saveexec_b32 s25, s5
	s_cbranch_execz .LBB312_763
; %bb.756:                              ;   in Loop: Header=BB312_16 Depth=1
	v_cmp_ne_u16_sdwa s5, v34, v68 src0_sel:BYTE_0 src1_sel:DWORD
	v_mov_b32_e32 v0, 0x8000
	buffer_store_dword v0, off, s[0:3], s32 offset:492 ; 4-byte Folded Spill
	s_and_saveexec_b32 s26, s5
	s_cbranch_execz .LBB312_762
; %bb.757:                              ;   in Loop: Header=BB312_16 Depth=1
	v_and_b32_e32 v2, 0x7f, v34
	v_mov_b32_e32 v0, 0x7c01
	s_mov_b32 s27, exec_lo
	buffer_store_dword v0, off, s[0:3], s32 offset:492 ; 4-byte Folded Spill
	v_cmpx_ne_u32_e32 0x7f, v2
	s_cbranch_execz .LBB312_761
; %bb.758:                              ;   in Loop: Header=BB312_16 Depth=1
	v_and_b32_e32 v0, 7, v34
	v_lshrrev_b32_e32 v1, 3, v2
	s_mov_b32 s28, exec_lo
	v_cmpx_gt_u32_e32 8, v2
; %bb.759:                              ;   in Loop: Header=BB312_16 Depth=1
	v_ffbh_u32_e32 v0, v0
	v_min_u32_e32 v2, 32, v0
	v_subrev_nc_u32_e32 v0, 28, v2
	v_lshlrev_b64 v[0:1], v0, v[8:9]
	v_sub_nc_u32_e32 v1, 29, v2
	v_and_b32_e32 v0, 7, v0
; %bb.760:                              ;   in Loop: Header=BB312_16 Depth=1
	s_or_b32 exec_lo, exec_lo, s28
	v_lshlrev_b32_e32 v2, 8, v34
	v_lshl_add_u32 v1, v1, 10, 0x2000
	v_lshlrev_b32_e32 v0, 7, v0
	v_and_b32_e32 v2, 0x8000, v2
	v_and_b32_e32 v1, 0xfc00, v1
	v_or3_b32 v0, v2, v1, v0
	buffer_store_dword v0, off, s[0:3], s32 offset:492 ; 4-byte Folded Spill
.LBB312_761:                            ;   in Loop: Header=BB312_16 Depth=1
	s_or_b32 exec_lo, exec_lo, s27
.LBB312_762:                            ;   in Loop: Header=BB312_16 Depth=1
	s_or_b32 exec_lo, exec_lo, s26
.LBB312_763:                            ;   in Loop: Header=BB312_16 Depth=1
	s_or_b32 exec_lo, exec_lo, s25
	v_lshrrev_b16 v8, 8, v8
	v_mov_b32_e32 v0, 0
	v_mov_b32_e32 v53, 0
	s_mov_b32 s25, exec_lo
	buffer_store_dword v0, off, s[0:3], s32 offset:496 ; 4-byte Folded Spill
	v_cmpx_ne_u16_e32 0, v8
	s_cbranch_execz .LBB312_771
; %bb.764:                              ;   in Loop: Header=BB312_16 Depth=1
	v_bfrev_b32_e32 v53, 1
	s_mov_b32 s26, exec_lo
	v_cmpx_ne_u16_e32 0x80, v8
	s_cbranch_execz .LBB312_770
; %bb.765:                              ;   in Loop: Header=BB312_16 Depth=1
	v_mov_b32_e32 v0, 0x7f
	v_mov_b32_e32 v53, 0x7c010000
	s_mov_b32 s27, exec_lo
	v_and_b32_sdwa v2, v8, v0 dst_sel:DWORD dst_unused:UNUSED_PAD src0_sel:WORD_0 src1_sel:DWORD
	v_cmpx_ne_u32_e32 0x7f, v2
	s_cbranch_execz .LBB312_769
; %bb.766:                              ;   in Loop: Header=BB312_16 Depth=1
	v_mov_b32_e32 v0, 7
	v_lshrrev_b32_e32 v1, 3, v2
	s_mov_b32 s28, exec_lo
	v_and_b32_sdwa v0, v8, v0 dst_sel:DWORD dst_unused:UNUSED_PAD src0_sel:WORD_0 src1_sel:DWORD
	v_cmpx_gt_u32_e32 8, v2
; %bb.767:                              ;   in Loop: Header=BB312_16 Depth=1
	v_ffbh_u32_e32 v0, v0
	v_min_u32_e32 v2, 32, v0
	v_subrev_nc_u32_e32 v0, 28, v2
	v_lshlrev_b64 v[0:1], v0, v[8:9]
	v_sub_nc_u32_e32 v1, 29, v2
	v_and_b32_e32 v0, 7, v0
; %bb.768:                              ;   in Loop: Header=BB312_16 Depth=1
	s_or_b32 exec_lo, exec_lo, s28
	v_mov_b32_e32 v2, 8
	v_lshl_add_u32 v1, v1, 10, 0x2000
	v_lshlrev_b32_e32 v0, 23, v0
	v_lshlrev_b32_sdwa v2, v2, v8 dst_sel:DWORD dst_unused:UNUSED_PAD src0_sel:DWORD src1_sel:WORD_0
	v_and_or_b32 v1, 0x8000, v2, v1
	v_lshl_or_b32 v53, v1, 16, v0
.LBB312_769:                            ;   in Loop: Header=BB312_16 Depth=1
	s_or_b32 exec_lo, exec_lo, s27
.LBB312_770:                            ;   in Loop: Header=BB312_16 Depth=1
	s_or_b32 exec_lo, exec_lo, s26
.LBB312_771:                            ;   in Loop: Header=BB312_16 Depth=1
	s_or_b32 exec_lo, exec_lo, s25
	v_lshrrev_b32_e32 v8, 16, v34
	v_cmp_ne_u16_sdwa s5, v8, v9 src0_sel:BYTE_0 src1_sel:DWORD
	s_and_saveexec_b32 s25, s5
	s_cbranch_execz .LBB312_779
; %bb.772:                              ;   in Loop: Header=BB312_16 Depth=1
	v_cmp_ne_u16_sdwa s5, v8, v68 src0_sel:BYTE_0 src1_sel:DWORD
	v_mov_b32_e32 v0, 0x8000
	buffer_store_dword v0, off, s[0:3], s32 offset:496 ; 4-byte Folded Spill
	s_and_saveexec_b32 s26, s5
	s_cbranch_execz .LBB312_778
; %bb.773:                              ;   in Loop: Header=BB312_16 Depth=1
	v_bfe_u32 v2, v34, 16, 7
	v_mov_b32_e32 v0, 0x7c01
	s_mov_b32 s27, exec_lo
	buffer_store_dword v0, off, s[0:3], s32 offset:496 ; 4-byte Folded Spill
	v_cmpx_ne_u32_e32 0x7f, v2
	s_cbranch_execz .LBB312_777
; %bb.774:                              ;   in Loop: Header=BB312_16 Depth=1
	v_and_b32_e32 v0, 7, v8
	v_lshrrev_b32_e32 v1, 3, v2
	s_mov_b32 s28, exec_lo
	v_cmpx_gt_u32_e32 8, v2
; %bb.775:                              ;   in Loop: Header=BB312_16 Depth=1
	v_ffbh_u32_e32 v0, v0
	v_min_u32_e32 v2, 32, v0
	v_subrev_nc_u32_e32 v0, 28, v2
	v_lshlrev_b64 v[0:1], v0, v[8:9]
	v_sub_nc_u32_e32 v1, 29, v2
	v_and_b32_e32 v0, 7, v0
; %bb.776:                              ;   in Loop: Header=BB312_16 Depth=1
	s_or_b32 exec_lo, exec_lo, s28
	v_lshlrev_b32_e32 v2, 8, v8
	v_lshl_add_u32 v1, v1, 10, 0x2000
	v_lshlrev_b32_e32 v0, 7, v0
	v_and_b32_e32 v2, 0x8000, v2
	v_and_b32_e32 v1, 0xfc00, v1
	v_or3_b32 v0, v2, v1, v0
	buffer_store_dword v0, off, s[0:3], s32 offset:496 ; 4-byte Folded Spill
.LBB312_777:                            ;   in Loop: Header=BB312_16 Depth=1
	s_or_b32 exec_lo, exec_lo, s27
.LBB312_778:                            ;   in Loop: Header=BB312_16 Depth=1
	s_or_b32 exec_lo, exec_lo, s26
.LBB312_779:                            ;   in Loop: Header=BB312_16 Depth=1
	s_or_b32 exec_lo, exec_lo, s25
	v_mov_b32_e32 v0, 0
	v_mov_b32_e32 v107, 0
	s_mov_b32 s25, exec_lo
	buffer_store_dword v0, off, s[0:3], s32 offset:500 ; 4-byte Folded Spill
	v_cmpx_lt_u64_e64 s[20:21], v[33:34]
	s_cbranch_execz .LBB312_787
; %bb.780:                              ;   in Loop: Header=BB312_16 Depth=1
	v_lshrrev_b32_e32 v8, 24, v34
	v_bfrev_b32_e32 v107, 1
	s_mov_b32 s26, exec_lo
	v_cmpx_ne_u32_e32 0x80, v8
	s_cbranch_execz .LBB312_786
; %bb.781:                              ;   in Loop: Header=BB312_16 Depth=1
	v_and_b32_e32 v2, 0x7f, v8
	v_mov_b32_e32 v107, 0x7c010000
	s_mov_b32 s27, exec_lo
	v_cmpx_ne_u32_e32 0x7f, v2
	s_cbranch_execz .LBB312_785
; %bb.782:                              ;   in Loop: Header=BB312_16 Depth=1
	v_and_b32_e32 v0, 7, v8
	v_lshrrev_b32_e32 v1, 3, v2
	s_mov_b32 s28, exec_lo
	v_cmpx_gt_u32_e32 8, v2
; %bb.783:                              ;   in Loop: Header=BB312_16 Depth=1
	v_ffbh_u32_e32 v0, v0
	v_min_u32_e32 v2, 32, v0
	v_subrev_nc_u32_e32 v0, 28, v2
	v_lshlrev_b64 v[0:1], v0, v[8:9]
	v_sub_nc_u32_e32 v1, 29, v2
	v_and_b32_e32 v0, 7, v0
; %bb.784:                              ;   in Loop: Header=BB312_16 Depth=1
	s_or_b32 exec_lo, exec_lo, s28
	v_lshlrev_b32_e32 v2, 8, v8
	v_lshl_add_u32 v1, v1, 10, 0x2000
	v_lshlrev_b32_e32 v0, 23, v0
	v_and_or_b32 v1, 0x8000, v2, v1
	v_lshl_or_b32 v107, v1, 16, v0
.LBB312_785:                            ;   in Loop: Header=BB312_16 Depth=1
	s_or_b32 exec_lo, exec_lo, s27
.LBB312_786:                            ;   in Loop: Header=BB312_16 Depth=1
	s_or_b32 exec_lo, exec_lo, s26
.LBB312_787:                            ;   in Loop: Header=BB312_16 Depth=1
	s_or_b32 exec_lo, exec_lo, s25
	flat_load_dwordx2 v[33:34], v[31:32] offset:1024
	s_waitcnt vmcnt(0) lgkmcnt(0)
	v_cmp_ne_u16_sdwa s5, v33, v9 src0_sel:BYTE_0 src1_sel:DWORD
	s_and_saveexec_b32 s25, s5
	s_cbranch_execz .LBB312_795
; %bb.788:                              ;   in Loop: Header=BB312_16 Depth=1
	v_cmp_ne_u16_sdwa s5, v33, v68 src0_sel:BYTE_0 src1_sel:DWORD
	v_mov_b32_e32 v0, 0x8000
	buffer_store_dword v0, off, s[0:3], s32 offset:500 ; 4-byte Folded Spill
	s_and_saveexec_b32 s26, s5
	s_cbranch_execz .LBB312_794
; %bb.789:                              ;   in Loop: Header=BB312_16 Depth=1
	v_and_b32_e32 v2, 0x7f, v33
	v_mov_b32_e32 v0, 0x7c01
	s_mov_b32 s27, exec_lo
	buffer_store_dword v0, off, s[0:3], s32 offset:500 ; 4-byte Folded Spill
	v_cmpx_ne_u32_e32 0x7f, v2
	s_cbranch_execz .LBB312_793
; %bb.790:                              ;   in Loop: Header=BB312_16 Depth=1
	v_and_b32_e32 v0, 7, v33
	v_lshrrev_b32_e32 v1, 3, v2
	s_mov_b32 s28, exec_lo
	v_cmpx_gt_u32_e32 8, v2
; %bb.791:                              ;   in Loop: Header=BB312_16 Depth=1
	v_ffbh_u32_e32 v0, v0
	v_min_u32_e32 v2, 32, v0
	v_subrev_nc_u32_e32 v0, 28, v2
	v_lshlrev_b64 v[0:1], v0, v[33:34]
	v_sub_nc_u32_e32 v1, 29, v2
	v_and_b32_e32 v0, 7, v0
; %bb.792:                              ;   in Loop: Header=BB312_16 Depth=1
	s_or_b32 exec_lo, exec_lo, s28
	v_lshlrev_b32_e32 v2, 8, v33
	v_lshl_add_u32 v1, v1, 10, 0x2000
	v_lshlrev_b32_e32 v0, 7, v0
	v_and_b32_e32 v2, 0x8000, v2
	v_and_b32_e32 v1, 0xfc00, v1
	v_or3_b32 v0, v2, v1, v0
	buffer_store_dword v0, off, s[0:3], s32 offset:500 ; 4-byte Folded Spill
.LBB312_793:                            ;   in Loop: Header=BB312_16 Depth=1
	s_or_b32 exec_lo, exec_lo, s27
.LBB312_794:                            ;   in Loop: Header=BB312_16 Depth=1
	s_or_b32 exec_lo, exec_lo, s26
.LBB312_795:                            ;   in Loop: Header=BB312_16 Depth=1
	s_or_b32 exec_lo, exec_lo, s25
	v_lshrrev_b16 v8, 8, v33
	v_mov_b32_e32 v0, 0
	v_mov_b32_e32 v51, 0
	s_mov_b32 s25, exec_lo
	buffer_store_dword v0, off, s[0:3], s32 offset:504 ; 4-byte Folded Spill
	v_cmpx_ne_u16_e32 0, v8
	s_cbranch_execz .LBB312_803
; %bb.796:                              ;   in Loop: Header=BB312_16 Depth=1
	v_bfrev_b32_e32 v51, 1
	s_mov_b32 s26, exec_lo
	v_cmpx_ne_u16_e32 0x80, v8
	s_cbranch_execz .LBB312_802
; %bb.797:                              ;   in Loop: Header=BB312_16 Depth=1
	v_mov_b32_e32 v0, 0x7f
	v_mov_b32_e32 v51, 0x7c010000
	s_mov_b32 s27, exec_lo
	v_and_b32_sdwa v2, v8, v0 dst_sel:DWORD dst_unused:UNUSED_PAD src0_sel:WORD_0 src1_sel:DWORD
	v_cmpx_ne_u32_e32 0x7f, v2
	s_cbranch_execz .LBB312_801
; %bb.798:                              ;   in Loop: Header=BB312_16 Depth=1
	v_mov_b32_e32 v0, 7
	v_lshrrev_b32_e32 v1, 3, v2
	s_mov_b32 s28, exec_lo
	v_and_b32_sdwa v0, v8, v0 dst_sel:DWORD dst_unused:UNUSED_PAD src0_sel:WORD_0 src1_sel:DWORD
	v_cmpx_gt_u32_e32 8, v2
; %bb.799:                              ;   in Loop: Header=BB312_16 Depth=1
	v_ffbh_u32_e32 v0, v0
	v_min_u32_e32 v2, 32, v0
	v_subrev_nc_u32_e32 v0, 28, v2
	v_lshlrev_b64 v[0:1], v0, v[8:9]
	v_sub_nc_u32_e32 v1, 29, v2
	v_and_b32_e32 v0, 7, v0
; %bb.800:                              ;   in Loop: Header=BB312_16 Depth=1
	s_or_b32 exec_lo, exec_lo, s28
	v_mov_b32_e32 v2, 8
	v_lshl_add_u32 v1, v1, 10, 0x2000
	v_lshlrev_b32_e32 v0, 23, v0
	v_lshlrev_b32_sdwa v2, v2, v8 dst_sel:DWORD dst_unused:UNUSED_PAD src0_sel:DWORD src1_sel:WORD_0
	v_and_or_b32 v1, 0x8000, v2, v1
	v_lshl_or_b32 v51, v1, 16, v0
.LBB312_801:                            ;   in Loop: Header=BB312_16 Depth=1
	s_or_b32 exec_lo, exec_lo, s27
.LBB312_802:                            ;   in Loop: Header=BB312_16 Depth=1
	s_or_b32 exec_lo, exec_lo, s26
.LBB312_803:                            ;   in Loop: Header=BB312_16 Depth=1
	s_or_b32 exec_lo, exec_lo, s25
	v_lshrrev_b32_e32 v8, 16, v33
	v_cmp_ne_u16_sdwa s5, v8, v9 src0_sel:BYTE_0 src1_sel:DWORD
	s_and_saveexec_b32 s25, s5
	s_cbranch_execz .LBB312_811
; %bb.804:                              ;   in Loop: Header=BB312_16 Depth=1
	v_cmp_ne_u16_sdwa s5, v8, v68 src0_sel:BYTE_0 src1_sel:DWORD
	v_mov_b32_e32 v0, 0x8000
	buffer_store_dword v0, off, s[0:3], s32 offset:504 ; 4-byte Folded Spill
	s_and_saveexec_b32 s26, s5
	s_cbranch_execz .LBB312_810
; %bb.805:                              ;   in Loop: Header=BB312_16 Depth=1
	v_bfe_u32 v2, v33, 16, 7
	v_mov_b32_e32 v0, 0x7c01
	s_mov_b32 s27, exec_lo
	buffer_store_dword v0, off, s[0:3], s32 offset:504 ; 4-byte Folded Spill
	v_cmpx_ne_u32_e32 0x7f, v2
	s_cbranch_execz .LBB312_809
; %bb.806:                              ;   in Loop: Header=BB312_16 Depth=1
	v_and_b32_e32 v0, 7, v8
	v_lshrrev_b32_e32 v1, 3, v2
	s_mov_b32 s28, exec_lo
	v_cmpx_gt_u32_e32 8, v2
; %bb.807:                              ;   in Loop: Header=BB312_16 Depth=1
	v_ffbh_u32_e32 v0, v0
	v_min_u32_e32 v2, 32, v0
	v_subrev_nc_u32_e32 v0, 28, v2
	v_lshlrev_b64 v[0:1], v0, v[8:9]
	v_sub_nc_u32_e32 v1, 29, v2
	v_and_b32_e32 v0, 7, v0
; %bb.808:                              ;   in Loop: Header=BB312_16 Depth=1
	s_or_b32 exec_lo, exec_lo, s28
	v_lshlrev_b32_e32 v2, 8, v8
	v_lshl_add_u32 v1, v1, 10, 0x2000
	v_lshlrev_b32_e32 v0, 7, v0
	v_and_b32_e32 v2, 0x8000, v2
	v_and_b32_e32 v1, 0xfc00, v1
	v_or3_b32 v0, v2, v1, v0
	buffer_store_dword v0, off, s[0:3], s32 offset:504 ; 4-byte Folded Spill
.LBB312_809:                            ;   in Loop: Header=BB312_16 Depth=1
	s_or_b32 exec_lo, exec_lo, s27
.LBB312_810:                            ;   in Loop: Header=BB312_16 Depth=1
	s_or_b32 exec_lo, exec_lo, s26
.LBB312_811:                            ;   in Loop: Header=BB312_16 Depth=1
	s_or_b32 exec_lo, exec_lo, s25
	v_mov_b32_e32 v49, 0
	v_mov_b32_e32 v14, 0
	s_mov_b32 s25, exec_lo
	v_cmpx_lt_u32_e32 0xffffff, v33
	s_cbranch_execz .LBB312_819
; %bb.812:                              ;   in Loop: Header=BB312_16 Depth=1
	v_lshrrev_b32_e32 v8, 24, v33
	v_bfrev_b32_e32 v14, 1
	s_mov_b32 s26, exec_lo
	v_cmpx_ne_u32_e32 0x80, v8
	s_cbranch_execz .LBB312_818
; %bb.813:                              ;   in Loop: Header=BB312_16 Depth=1
	v_and_b32_e32 v2, 0x7f, v8
	v_mov_b32_e32 v14, 0x7c010000
	s_mov_b32 s27, exec_lo
	v_cmpx_ne_u32_e32 0x7f, v2
	s_cbranch_execz .LBB312_817
; %bb.814:                              ;   in Loop: Header=BB312_16 Depth=1
	v_and_b32_e32 v0, 7, v8
	v_lshrrev_b32_e32 v1, 3, v2
	s_mov_b32 s28, exec_lo
	v_cmpx_gt_u32_e32 8, v2
; %bb.815:                              ;   in Loop: Header=BB312_16 Depth=1
	v_ffbh_u32_e32 v0, v0
	v_min_u32_e32 v2, 32, v0
	v_subrev_nc_u32_e32 v0, 28, v2
	v_lshlrev_b64 v[0:1], v0, v[8:9]
	v_sub_nc_u32_e32 v1, 29, v2
	v_and_b32_e32 v0, 7, v0
; %bb.816:                              ;   in Loop: Header=BB312_16 Depth=1
	s_or_b32 exec_lo, exec_lo, s28
	v_lshlrev_b32_e32 v2, 8, v8
	v_lshl_add_u32 v1, v1, 10, 0x2000
	v_lshlrev_b32_e32 v0, 23, v0
	v_and_or_b32 v1, 0x8000, v2, v1
	v_lshl_or_b32 v14, v1, 16, v0
.LBB312_817:                            ;   in Loop: Header=BB312_16 Depth=1
	s_or_b32 exec_lo, exec_lo, s27
.LBB312_818:                            ;   in Loop: Header=BB312_16 Depth=1
	s_or_b32 exec_lo, exec_lo, s26
.LBB312_819:                            ;   in Loop: Header=BB312_16 Depth=1
	s_or_b32 exec_lo, exec_lo, s25
	v_mov_b32_e32 v8, v34
	v_cmp_ne_u16_sdwa s5, v34, v9 src0_sel:BYTE_0 src1_sel:DWORD
	s_and_saveexec_b32 s25, s5
	s_cbranch_execz .LBB312_827
; %bb.820:                              ;   in Loop: Header=BB312_16 Depth=1
	v_cmp_ne_u16_sdwa s5, v34, v68 src0_sel:BYTE_0 src1_sel:DWORD
	v_mov_b32_e32 v49, 0x8000
	s_and_saveexec_b32 s26, s5
	s_cbranch_execz .LBB312_826
; %bb.821:                              ;   in Loop: Header=BB312_16 Depth=1
	v_and_b32_e32 v2, 0x7f, v34
	v_mov_b32_e32 v49, 0x7c01
	s_mov_b32 s27, exec_lo
	v_cmpx_ne_u32_e32 0x7f, v2
	s_cbranch_execz .LBB312_825
; %bb.822:                              ;   in Loop: Header=BB312_16 Depth=1
	v_and_b32_e32 v0, 7, v34
	v_lshrrev_b32_e32 v1, 3, v2
	s_mov_b32 s28, exec_lo
	v_cmpx_gt_u32_e32 8, v2
; %bb.823:                              ;   in Loop: Header=BB312_16 Depth=1
	v_ffbh_u32_e32 v0, v0
	v_min_u32_e32 v2, 32, v0
	v_subrev_nc_u32_e32 v0, 28, v2
	v_lshlrev_b64 v[0:1], v0, v[8:9]
	v_sub_nc_u32_e32 v1, 29, v2
	v_and_b32_e32 v0, 7, v0
; %bb.824:                              ;   in Loop: Header=BB312_16 Depth=1
	s_or_b32 exec_lo, exec_lo, s28
	v_lshlrev_b32_e32 v2, 8, v34
	v_lshl_add_u32 v1, v1, 10, 0x2000
	v_lshlrev_b32_e32 v0, 7, v0
	v_and_b32_e32 v2, 0x8000, v2
	v_and_b32_e32 v1, 0xfc00, v1
	v_or3_b32 v49, v2, v1, v0
.LBB312_825:                            ;   in Loop: Header=BB312_16 Depth=1
	s_or_b32 exec_lo, exec_lo, s27
.LBB312_826:                            ;   in Loop: Header=BB312_16 Depth=1
	s_or_b32 exec_lo, exec_lo, s26
.LBB312_827:                            ;   in Loop: Header=BB312_16 Depth=1
	s_or_b32 exec_lo, exec_lo, s25
	v_lshrrev_b16 v8, 8, v8
	v_mov_b32_e32 v54, 0
	v_mov_b32_e32 v23, 0
	s_mov_b32 s25, exec_lo
	v_cmpx_ne_u16_e32 0, v8
	s_cbranch_execz .LBB312_835
; %bb.828:                              ;   in Loop: Header=BB312_16 Depth=1
	v_bfrev_b32_e32 v23, 1
	s_mov_b32 s26, exec_lo
	v_cmpx_ne_u16_e32 0x80, v8
	s_cbranch_execz .LBB312_834
; %bb.829:                              ;   in Loop: Header=BB312_16 Depth=1
	v_mov_b32_e32 v0, 0x7f
	v_mov_b32_e32 v23, 0x7c010000
	s_mov_b32 s27, exec_lo
	v_and_b32_sdwa v2, v8, v0 dst_sel:DWORD dst_unused:UNUSED_PAD src0_sel:WORD_0 src1_sel:DWORD
	v_cmpx_ne_u32_e32 0x7f, v2
	s_cbranch_execz .LBB312_833
; %bb.830:                              ;   in Loop: Header=BB312_16 Depth=1
	v_mov_b32_e32 v0, 7
	v_lshrrev_b32_e32 v1, 3, v2
	s_mov_b32 s28, exec_lo
	v_and_b32_sdwa v0, v8, v0 dst_sel:DWORD dst_unused:UNUSED_PAD src0_sel:WORD_0 src1_sel:DWORD
	v_cmpx_gt_u32_e32 8, v2
; %bb.831:                              ;   in Loop: Header=BB312_16 Depth=1
	v_ffbh_u32_e32 v0, v0
	v_min_u32_e32 v2, 32, v0
	v_subrev_nc_u32_e32 v0, 28, v2
	v_lshlrev_b64 v[0:1], v0, v[8:9]
	v_sub_nc_u32_e32 v1, 29, v2
	v_and_b32_e32 v0, 7, v0
; %bb.832:                              ;   in Loop: Header=BB312_16 Depth=1
	s_or_b32 exec_lo, exec_lo, s28
	v_mov_b32_e32 v2, 8
	v_lshl_add_u32 v1, v1, 10, 0x2000
	v_lshlrev_b32_e32 v0, 23, v0
	v_lshlrev_b32_sdwa v2, v2, v8 dst_sel:DWORD dst_unused:UNUSED_PAD src0_sel:DWORD src1_sel:WORD_0
	v_and_or_b32 v1, 0x8000, v2, v1
	v_lshl_or_b32 v23, v1, 16, v0
.LBB312_833:                            ;   in Loop: Header=BB312_16 Depth=1
	s_or_b32 exec_lo, exec_lo, s27
.LBB312_834:                            ;   in Loop: Header=BB312_16 Depth=1
	s_or_b32 exec_lo, exec_lo, s26
.LBB312_835:                            ;   in Loop: Header=BB312_16 Depth=1
	s_or_b32 exec_lo, exec_lo, s25
	v_lshrrev_b32_e32 v8, 16, v34
	v_cmp_ne_u16_sdwa s5, v8, v9 src0_sel:BYTE_0 src1_sel:DWORD
	s_and_saveexec_b32 s25, s5
	s_cbranch_execz .LBB312_843
; %bb.836:                              ;   in Loop: Header=BB312_16 Depth=1
	v_cmp_ne_u16_sdwa s5, v8, v68 src0_sel:BYTE_0 src1_sel:DWORD
	v_mov_b32_e32 v54, 0x8000
	s_and_saveexec_b32 s26, s5
	s_cbranch_execz .LBB312_842
; %bb.837:                              ;   in Loop: Header=BB312_16 Depth=1
	v_bfe_u32 v2, v34, 16, 7
	v_mov_b32_e32 v54, 0x7c01
	s_mov_b32 s27, exec_lo
	v_cmpx_ne_u32_e32 0x7f, v2
	s_cbranch_execz .LBB312_841
; %bb.838:                              ;   in Loop: Header=BB312_16 Depth=1
	v_and_b32_e32 v0, 7, v8
	v_lshrrev_b32_e32 v1, 3, v2
	s_mov_b32 s28, exec_lo
	v_cmpx_gt_u32_e32 8, v2
; %bb.839:                              ;   in Loop: Header=BB312_16 Depth=1
	v_ffbh_u32_e32 v0, v0
	v_min_u32_e32 v2, 32, v0
	v_subrev_nc_u32_e32 v0, 28, v2
	v_lshlrev_b64 v[0:1], v0, v[8:9]
	v_sub_nc_u32_e32 v1, 29, v2
	v_and_b32_e32 v0, 7, v0
; %bb.840:                              ;   in Loop: Header=BB312_16 Depth=1
	s_or_b32 exec_lo, exec_lo, s28
	v_lshlrev_b32_e32 v2, 8, v8
	v_lshl_add_u32 v1, v1, 10, 0x2000
	v_lshlrev_b32_e32 v0, 7, v0
	v_and_b32_e32 v2, 0x8000, v2
	v_and_b32_e32 v1, 0xfc00, v1
	v_or3_b32 v54, v2, v1, v0
.LBB312_841:                            ;   in Loop: Header=BB312_16 Depth=1
	s_or_b32 exec_lo, exec_lo, s27
.LBB312_842:                            ;   in Loop: Header=BB312_16 Depth=1
	s_or_b32 exec_lo, exec_lo, s26
.LBB312_843:                            ;   in Loop: Header=BB312_16 Depth=1
	s_or_b32 exec_lo, exec_lo, s25
	v_mov_b32_e32 v7, 0
	v_mov_b32_e32 v85, 0
	s_mov_b32 s25, exec_lo
	v_cmpx_lt_u64_e64 s[20:21], v[33:34]
	s_cbranch_execz .LBB312_851
; %bb.844:                              ;   in Loop: Header=BB312_16 Depth=1
	v_lshrrev_b32_e32 v8, 24, v34
	v_bfrev_b32_e32 v85, 1
	s_mov_b32 s26, exec_lo
	v_cmpx_ne_u32_e32 0x80, v8
	s_cbranch_execz .LBB312_850
; %bb.845:                              ;   in Loop: Header=BB312_16 Depth=1
	v_and_b32_e32 v2, 0x7f, v8
	v_mov_b32_e32 v85, 0x7c010000
	s_mov_b32 s27, exec_lo
	v_cmpx_ne_u32_e32 0x7f, v2
	s_cbranch_execz .LBB312_849
; %bb.846:                              ;   in Loop: Header=BB312_16 Depth=1
	v_and_b32_e32 v0, 7, v8
	v_lshrrev_b32_e32 v1, 3, v2
	s_mov_b32 s28, exec_lo
	v_cmpx_gt_u32_e32 8, v2
; %bb.847:                              ;   in Loop: Header=BB312_16 Depth=1
	v_ffbh_u32_e32 v0, v0
	v_min_u32_e32 v2, 32, v0
	v_subrev_nc_u32_e32 v0, 28, v2
	v_lshlrev_b64 v[0:1], v0, v[8:9]
	v_sub_nc_u32_e32 v1, 29, v2
	v_and_b32_e32 v0, 7, v0
; %bb.848:                              ;   in Loop: Header=BB312_16 Depth=1
	s_or_b32 exec_lo, exec_lo, s28
	v_lshlrev_b32_e32 v2, 8, v8
	v_lshl_add_u32 v1, v1, 10, 0x2000
	v_lshlrev_b32_e32 v0, 23, v0
	v_and_or_b32 v1, 0x8000, v2, v1
	v_lshl_or_b32 v85, v1, 16, v0
.LBB312_849:                            ;   in Loop: Header=BB312_16 Depth=1
	s_or_b32 exec_lo, exec_lo, s27
.LBB312_850:                            ;   in Loop: Header=BB312_16 Depth=1
	s_or_b32 exec_lo, exec_lo, s26
.LBB312_851:                            ;   in Loop: Header=BB312_16 Depth=1
	s_or_b32 exec_lo, exec_lo, s25
	flat_load_dwordx2 v[33:34], v[31:32] offset:1032
	s_waitcnt vmcnt(0) lgkmcnt(0)
	v_cmp_ne_u16_sdwa s5, v33, v9 src0_sel:BYTE_0 src1_sel:DWORD
	s_and_saveexec_b32 s25, s5
	s_cbranch_execz .LBB312_859
; %bb.852:                              ;   in Loop: Header=BB312_16 Depth=1
	v_cmp_ne_u16_sdwa s5, v33, v68 src0_sel:BYTE_0 src1_sel:DWORD
	v_mov_b32_e32 v7, 0x8000
	s_and_saveexec_b32 s26, s5
	s_cbranch_execz .LBB312_858
; %bb.853:                              ;   in Loop: Header=BB312_16 Depth=1
	v_and_b32_e32 v2, 0x7f, v33
	v_mov_b32_e32 v7, 0x7c01
	s_mov_b32 s27, exec_lo
	v_cmpx_ne_u32_e32 0x7f, v2
	s_cbranch_execz .LBB312_857
; %bb.854:                              ;   in Loop: Header=BB312_16 Depth=1
	v_and_b32_e32 v0, 7, v33
	v_lshrrev_b32_e32 v1, 3, v2
	s_mov_b32 s28, exec_lo
	v_cmpx_gt_u32_e32 8, v2
; %bb.855:                              ;   in Loop: Header=BB312_16 Depth=1
	v_ffbh_u32_e32 v0, v0
	v_min_u32_e32 v2, 32, v0
	v_subrev_nc_u32_e32 v0, 28, v2
	v_lshlrev_b64 v[0:1], v0, v[33:34]
	v_sub_nc_u32_e32 v1, 29, v2
	v_and_b32_e32 v0, 7, v0
; %bb.856:                              ;   in Loop: Header=BB312_16 Depth=1
	s_or_b32 exec_lo, exec_lo, s28
	v_lshlrev_b32_e32 v2, 8, v33
	v_lshl_add_u32 v1, v1, 10, 0x2000
	v_lshlrev_b32_e32 v0, 7, v0
	v_and_b32_e32 v2, 0x8000, v2
	v_and_b32_e32 v1, 0xfc00, v1
	v_or3_b32 v7, v2, v1, v0
.LBB312_857:                            ;   in Loop: Header=BB312_16 Depth=1
	s_or_b32 exec_lo, exec_lo, s27
.LBB312_858:                            ;   in Loop: Header=BB312_16 Depth=1
	s_or_b32 exec_lo, exec_lo, s26
.LBB312_859:                            ;   in Loop: Header=BB312_16 Depth=1
	s_or_b32 exec_lo, exec_lo, s25
	v_lshrrev_b16 v8, 8, v33
	v_mov_b32_e32 v118, 0
	v_mov_b32_e32 v100, 0
	s_mov_b32 s25, exec_lo
	v_cmpx_ne_u16_e32 0, v8
	s_cbranch_execz .LBB312_867
; %bb.860:                              ;   in Loop: Header=BB312_16 Depth=1
	v_bfrev_b32_e32 v100, 1
	s_mov_b32 s26, exec_lo
	v_cmpx_ne_u16_e32 0x80, v8
	s_cbranch_execz .LBB312_866
; %bb.861:                              ;   in Loop: Header=BB312_16 Depth=1
	v_mov_b32_e32 v0, 0x7f
	v_mov_b32_e32 v100, 0x7c010000
	s_mov_b32 s27, exec_lo
	v_and_b32_sdwa v2, v8, v0 dst_sel:DWORD dst_unused:UNUSED_PAD src0_sel:WORD_0 src1_sel:DWORD
	v_cmpx_ne_u32_e32 0x7f, v2
	s_cbranch_execz .LBB312_865
; %bb.862:                              ;   in Loop: Header=BB312_16 Depth=1
	v_mov_b32_e32 v0, 7
	v_lshrrev_b32_e32 v1, 3, v2
	s_mov_b32 s28, exec_lo
	v_and_b32_sdwa v0, v8, v0 dst_sel:DWORD dst_unused:UNUSED_PAD src0_sel:WORD_0 src1_sel:DWORD
	v_cmpx_gt_u32_e32 8, v2
; %bb.863:                              ;   in Loop: Header=BB312_16 Depth=1
	v_ffbh_u32_e32 v0, v0
	v_min_u32_e32 v2, 32, v0
	v_subrev_nc_u32_e32 v0, 28, v2
	v_lshlrev_b64 v[0:1], v0, v[8:9]
	v_sub_nc_u32_e32 v1, 29, v2
	v_and_b32_e32 v0, 7, v0
; %bb.864:                              ;   in Loop: Header=BB312_16 Depth=1
	s_or_b32 exec_lo, exec_lo, s28
	v_mov_b32_e32 v2, 8
	v_lshl_add_u32 v1, v1, 10, 0x2000
	v_lshlrev_b32_e32 v0, 23, v0
	v_lshlrev_b32_sdwa v2, v2, v8 dst_sel:DWORD dst_unused:UNUSED_PAD src0_sel:DWORD src1_sel:WORD_0
	v_and_or_b32 v1, 0x8000, v2, v1
	v_lshl_or_b32 v100, v1, 16, v0
.LBB312_865:                            ;   in Loop: Header=BB312_16 Depth=1
	s_or_b32 exec_lo, exec_lo, s27
.LBB312_866:                            ;   in Loop: Header=BB312_16 Depth=1
	s_or_b32 exec_lo, exec_lo, s26
.LBB312_867:                            ;   in Loop: Header=BB312_16 Depth=1
	s_or_b32 exec_lo, exec_lo, s25
	v_lshrrev_b32_e32 v8, 16, v33
	v_cmp_ne_u16_sdwa s5, v8, v9 src0_sel:BYTE_0 src1_sel:DWORD
	s_and_saveexec_b32 s25, s5
	s_cbranch_execz .LBB312_875
; %bb.868:                              ;   in Loop: Header=BB312_16 Depth=1
	v_cmp_ne_u16_sdwa s5, v8, v68 src0_sel:BYTE_0 src1_sel:DWORD
	v_mov_b32_e32 v118, 0x8000
	s_and_saveexec_b32 s26, s5
	s_cbranch_execz .LBB312_874
; %bb.869:                              ;   in Loop: Header=BB312_16 Depth=1
	v_bfe_u32 v2, v33, 16, 7
	v_mov_b32_e32 v118, 0x7c01
	s_mov_b32 s27, exec_lo
	v_cmpx_ne_u32_e32 0x7f, v2
	s_cbranch_execz .LBB312_873
; %bb.870:                              ;   in Loop: Header=BB312_16 Depth=1
	v_and_b32_e32 v0, 7, v8
	v_lshrrev_b32_e32 v1, 3, v2
	s_mov_b32 s28, exec_lo
	v_cmpx_gt_u32_e32 8, v2
; %bb.871:                              ;   in Loop: Header=BB312_16 Depth=1
	v_ffbh_u32_e32 v0, v0
	v_min_u32_e32 v2, 32, v0
	v_subrev_nc_u32_e32 v0, 28, v2
	v_lshlrev_b64 v[0:1], v0, v[8:9]
	v_sub_nc_u32_e32 v1, 29, v2
	v_and_b32_e32 v0, 7, v0
; %bb.872:                              ;   in Loop: Header=BB312_16 Depth=1
	s_or_b32 exec_lo, exec_lo, s28
	v_lshlrev_b32_e32 v2, 8, v8
	v_lshl_add_u32 v1, v1, 10, 0x2000
	v_lshlrev_b32_e32 v0, 7, v0
	v_and_b32_e32 v2, 0x8000, v2
	v_and_b32_e32 v1, 0xfc00, v1
	v_or3_b32 v118, v2, v1, v0
.LBB312_873:                            ;   in Loop: Header=BB312_16 Depth=1
	s_or_b32 exec_lo, exec_lo, s27
.LBB312_874:                            ;   in Loop: Header=BB312_16 Depth=1
	s_or_b32 exec_lo, exec_lo, s26
.LBB312_875:                            ;   in Loop: Header=BB312_16 Depth=1
	s_or_b32 exec_lo, exec_lo, s25
	v_mov_b32_e32 v41, 0
	v_mov_b32_e32 v119, 0
	s_mov_b32 s25, exec_lo
	v_cmpx_lt_u32_e32 0xffffff, v33
	s_cbranch_execz .LBB312_883
; %bb.876:                              ;   in Loop: Header=BB312_16 Depth=1
	v_lshrrev_b32_e32 v8, 24, v33
	v_bfrev_b32_e32 v119, 1
	s_mov_b32 s26, exec_lo
	v_cmpx_ne_u32_e32 0x80, v8
	s_cbranch_execz .LBB312_882
; %bb.877:                              ;   in Loop: Header=BB312_16 Depth=1
	v_and_b32_e32 v2, 0x7f, v8
	v_mov_b32_e32 v119, 0x7c010000
	s_mov_b32 s27, exec_lo
	v_cmpx_ne_u32_e32 0x7f, v2
	s_cbranch_execz .LBB312_881
; %bb.878:                              ;   in Loop: Header=BB312_16 Depth=1
	v_and_b32_e32 v0, 7, v8
	v_lshrrev_b32_e32 v1, 3, v2
	s_mov_b32 s28, exec_lo
	v_cmpx_gt_u32_e32 8, v2
; %bb.879:                              ;   in Loop: Header=BB312_16 Depth=1
	v_ffbh_u32_e32 v0, v0
	v_min_u32_e32 v2, 32, v0
	v_subrev_nc_u32_e32 v0, 28, v2
	v_lshlrev_b64 v[0:1], v0, v[8:9]
	v_sub_nc_u32_e32 v1, 29, v2
	v_and_b32_e32 v0, 7, v0
; %bb.880:                              ;   in Loop: Header=BB312_16 Depth=1
	s_or_b32 exec_lo, exec_lo, s28
	v_lshlrev_b32_e32 v2, 8, v8
	v_lshl_add_u32 v1, v1, 10, 0x2000
	v_lshlrev_b32_e32 v0, 23, v0
	v_and_or_b32 v1, 0x8000, v2, v1
	v_lshl_or_b32 v119, v1, 16, v0
.LBB312_881:                            ;   in Loop: Header=BB312_16 Depth=1
	s_or_b32 exec_lo, exec_lo, s27
.LBB312_882:                            ;   in Loop: Header=BB312_16 Depth=1
	s_or_b32 exec_lo, exec_lo, s26
.LBB312_883:                            ;   in Loop: Header=BB312_16 Depth=1
	s_or_b32 exec_lo, exec_lo, s25
	v_mov_b32_e32 v8, v34
	v_cmp_ne_u16_sdwa s5, v34, v9 src0_sel:BYTE_0 src1_sel:DWORD
	s_and_saveexec_b32 s25, s5
	s_cbranch_execz .LBB312_891
; %bb.884:                              ;   in Loop: Header=BB312_16 Depth=1
	v_cmp_ne_u16_sdwa s5, v34, v68 src0_sel:BYTE_0 src1_sel:DWORD
	v_mov_b32_e32 v41, 0x8000
	s_and_saveexec_b32 s26, s5
	s_cbranch_execz .LBB312_890
; %bb.885:                              ;   in Loop: Header=BB312_16 Depth=1
	v_and_b32_e32 v2, 0x7f, v34
	v_mov_b32_e32 v41, 0x7c01
	s_mov_b32 s27, exec_lo
	v_cmpx_ne_u32_e32 0x7f, v2
	s_cbranch_execz .LBB312_889
; %bb.886:                              ;   in Loop: Header=BB312_16 Depth=1
	v_and_b32_e32 v0, 7, v34
	v_lshrrev_b32_e32 v1, 3, v2
	s_mov_b32 s28, exec_lo
	v_cmpx_gt_u32_e32 8, v2
; %bb.887:                              ;   in Loop: Header=BB312_16 Depth=1
	v_ffbh_u32_e32 v0, v0
	v_min_u32_e32 v2, 32, v0
	v_subrev_nc_u32_e32 v0, 28, v2
	v_lshlrev_b64 v[0:1], v0, v[8:9]
	v_sub_nc_u32_e32 v1, 29, v2
	v_and_b32_e32 v0, 7, v0
; %bb.888:                              ;   in Loop: Header=BB312_16 Depth=1
	s_or_b32 exec_lo, exec_lo, s28
	v_lshlrev_b32_e32 v2, 8, v34
	v_lshl_add_u32 v1, v1, 10, 0x2000
	v_lshlrev_b32_e32 v0, 7, v0
	v_and_b32_e32 v2, 0x8000, v2
	v_and_b32_e32 v1, 0xfc00, v1
	v_or3_b32 v41, v2, v1, v0
.LBB312_889:                            ;   in Loop: Header=BB312_16 Depth=1
	s_or_b32 exec_lo, exec_lo, s27
.LBB312_890:                            ;   in Loop: Header=BB312_16 Depth=1
	s_or_b32 exec_lo, exec_lo, s26
.LBB312_891:                            ;   in Loop: Header=BB312_16 Depth=1
	s_or_b32 exec_lo, exec_lo, s25
	v_lshrrev_b16 v8, 8, v8
	v_mov_b32_e32 v38, 0
	v_mov_b32_e32 v84, 0
	s_mov_b32 s25, exec_lo
	v_cmpx_ne_u16_e32 0, v8
	s_cbranch_execz .LBB312_899
; %bb.892:                              ;   in Loop: Header=BB312_16 Depth=1
	v_bfrev_b32_e32 v84, 1
	s_mov_b32 s26, exec_lo
	v_cmpx_ne_u16_e32 0x80, v8
	s_cbranch_execz .LBB312_898
; %bb.893:                              ;   in Loop: Header=BB312_16 Depth=1
	v_mov_b32_e32 v0, 0x7f
	v_mov_b32_e32 v84, 0x7c010000
	s_mov_b32 s27, exec_lo
	v_and_b32_sdwa v2, v8, v0 dst_sel:DWORD dst_unused:UNUSED_PAD src0_sel:WORD_0 src1_sel:DWORD
	v_cmpx_ne_u32_e32 0x7f, v2
	s_cbranch_execz .LBB312_897
; %bb.894:                              ;   in Loop: Header=BB312_16 Depth=1
	v_mov_b32_e32 v0, 7
	v_lshrrev_b32_e32 v1, 3, v2
	s_mov_b32 s28, exec_lo
	v_and_b32_sdwa v0, v8, v0 dst_sel:DWORD dst_unused:UNUSED_PAD src0_sel:WORD_0 src1_sel:DWORD
	v_cmpx_gt_u32_e32 8, v2
; %bb.895:                              ;   in Loop: Header=BB312_16 Depth=1
	v_ffbh_u32_e32 v0, v0
	v_min_u32_e32 v2, 32, v0
	v_subrev_nc_u32_e32 v0, 28, v2
	v_lshlrev_b64 v[0:1], v0, v[8:9]
	v_sub_nc_u32_e32 v1, 29, v2
	v_and_b32_e32 v0, 7, v0
; %bb.896:                              ;   in Loop: Header=BB312_16 Depth=1
	s_or_b32 exec_lo, exec_lo, s28
	v_mov_b32_e32 v2, 8
	v_lshl_add_u32 v1, v1, 10, 0x2000
	v_lshlrev_b32_e32 v0, 23, v0
	v_lshlrev_b32_sdwa v2, v2, v8 dst_sel:DWORD dst_unused:UNUSED_PAD src0_sel:DWORD src1_sel:WORD_0
	v_and_or_b32 v1, 0x8000, v2, v1
	v_lshl_or_b32 v84, v1, 16, v0
.LBB312_897:                            ;   in Loop: Header=BB312_16 Depth=1
	s_or_b32 exec_lo, exec_lo, s27
.LBB312_898:                            ;   in Loop: Header=BB312_16 Depth=1
	s_or_b32 exec_lo, exec_lo, s26
.LBB312_899:                            ;   in Loop: Header=BB312_16 Depth=1
	s_or_b32 exec_lo, exec_lo, s25
	v_lshrrev_b32_e32 v8, 16, v34
	v_cmp_ne_u16_sdwa s5, v8, v9 src0_sel:BYTE_0 src1_sel:DWORD
	s_and_saveexec_b32 s25, s5
	s_cbranch_execz .LBB312_907
; %bb.900:                              ;   in Loop: Header=BB312_16 Depth=1
	v_cmp_ne_u16_sdwa s5, v8, v68 src0_sel:BYTE_0 src1_sel:DWORD
	v_mov_b32_e32 v38, 0x8000
	s_and_saveexec_b32 s26, s5
	s_cbranch_execz .LBB312_906
; %bb.901:                              ;   in Loop: Header=BB312_16 Depth=1
	v_bfe_u32 v2, v34, 16, 7
	v_mov_b32_e32 v38, 0x7c01
	s_mov_b32 s27, exec_lo
	v_cmpx_ne_u32_e32 0x7f, v2
	s_cbranch_execz .LBB312_905
; %bb.902:                              ;   in Loop: Header=BB312_16 Depth=1
	v_and_b32_e32 v0, 7, v8
	v_lshrrev_b32_e32 v1, 3, v2
	s_mov_b32 s28, exec_lo
	v_cmpx_gt_u32_e32 8, v2
; %bb.903:                              ;   in Loop: Header=BB312_16 Depth=1
	v_ffbh_u32_e32 v0, v0
	v_min_u32_e32 v2, 32, v0
	v_subrev_nc_u32_e32 v0, 28, v2
	v_lshlrev_b64 v[0:1], v0, v[8:9]
	v_sub_nc_u32_e32 v1, 29, v2
	v_and_b32_e32 v0, 7, v0
; %bb.904:                              ;   in Loop: Header=BB312_16 Depth=1
	s_or_b32 exec_lo, exec_lo, s28
	v_lshlrev_b32_e32 v2, 8, v8
	v_lshl_add_u32 v1, v1, 10, 0x2000
	v_lshlrev_b32_e32 v0, 7, v0
	v_and_b32_e32 v2, 0x8000, v2
	v_and_b32_e32 v1, 0xfc00, v1
	v_or3_b32 v38, v2, v1, v0
.LBB312_905:                            ;   in Loop: Header=BB312_16 Depth=1
	s_or_b32 exec_lo, exec_lo, s27
.LBB312_906:                            ;   in Loop: Header=BB312_16 Depth=1
	s_or_b32 exec_lo, exec_lo, s26
.LBB312_907:                            ;   in Loop: Header=BB312_16 Depth=1
	s_or_b32 exec_lo, exec_lo, s25
	v_mov_b32_e32 v44, 0
	v_mov_b32_e32 v57, 0
	s_mov_b32 s25, exec_lo
	v_cmpx_lt_u64_e64 s[20:21], v[33:34]
	s_cbranch_execz .LBB312_915
; %bb.908:                              ;   in Loop: Header=BB312_16 Depth=1
	v_lshrrev_b32_e32 v8, 24, v34
	v_bfrev_b32_e32 v57, 1
	s_mov_b32 s26, exec_lo
	v_cmpx_ne_u32_e32 0x80, v8
	s_cbranch_execz .LBB312_914
; %bb.909:                              ;   in Loop: Header=BB312_16 Depth=1
	v_and_b32_e32 v2, 0x7f, v8
	v_mov_b32_e32 v57, 0x7c010000
	s_mov_b32 s27, exec_lo
	v_cmpx_ne_u32_e32 0x7f, v2
	s_cbranch_execz .LBB312_913
; %bb.910:                              ;   in Loop: Header=BB312_16 Depth=1
	v_and_b32_e32 v0, 7, v8
	v_lshrrev_b32_e32 v1, 3, v2
	s_mov_b32 s28, exec_lo
	v_cmpx_gt_u32_e32 8, v2
; %bb.911:                              ;   in Loop: Header=BB312_16 Depth=1
	v_ffbh_u32_e32 v0, v0
	v_min_u32_e32 v2, 32, v0
	v_subrev_nc_u32_e32 v0, 28, v2
	v_lshlrev_b64 v[0:1], v0, v[8:9]
	v_sub_nc_u32_e32 v1, 29, v2
	v_and_b32_e32 v0, 7, v0
; %bb.912:                              ;   in Loop: Header=BB312_16 Depth=1
	s_or_b32 exec_lo, exec_lo, s28
	v_lshlrev_b32_e32 v2, 8, v8
	v_lshl_add_u32 v1, v1, 10, 0x2000
	v_lshlrev_b32_e32 v0, 23, v0
	v_and_or_b32 v1, 0x8000, v2, v1
	v_lshl_or_b32 v57, v1, 16, v0
.LBB312_913:                            ;   in Loop: Header=BB312_16 Depth=1
	s_or_b32 exec_lo, exec_lo, s27
.LBB312_914:                            ;   in Loop: Header=BB312_16 Depth=1
	s_or_b32 exec_lo, exec_lo, s26
.LBB312_915:                            ;   in Loop: Header=BB312_16 Depth=1
	s_or_b32 exec_lo, exec_lo, s25
	flat_load_dwordx2 v[33:34], v[31:32] offset:1536
	s_waitcnt vmcnt(0) lgkmcnt(0)
	v_cmp_ne_u16_sdwa s5, v33, v9 src0_sel:BYTE_0 src1_sel:DWORD
	s_and_saveexec_b32 s25, s5
	s_cbranch_execz .LBB312_923
; %bb.916:                              ;   in Loop: Header=BB312_16 Depth=1
	v_cmp_ne_u16_sdwa s5, v33, v68 src0_sel:BYTE_0 src1_sel:DWORD
	v_mov_b32_e32 v44, 0x8000
	s_and_saveexec_b32 s26, s5
	s_cbranch_execz .LBB312_922
; %bb.917:                              ;   in Loop: Header=BB312_16 Depth=1
	v_and_b32_e32 v2, 0x7f, v33
	v_mov_b32_e32 v44, 0x7c01
	s_mov_b32 s27, exec_lo
	v_cmpx_ne_u32_e32 0x7f, v2
	s_cbranch_execz .LBB312_921
; %bb.918:                              ;   in Loop: Header=BB312_16 Depth=1
	v_and_b32_e32 v0, 7, v33
	v_lshrrev_b32_e32 v1, 3, v2
	s_mov_b32 s28, exec_lo
	v_cmpx_gt_u32_e32 8, v2
; %bb.919:                              ;   in Loop: Header=BB312_16 Depth=1
	v_ffbh_u32_e32 v0, v0
	v_min_u32_e32 v2, 32, v0
	v_subrev_nc_u32_e32 v0, 28, v2
	v_lshlrev_b64 v[0:1], v0, v[33:34]
	v_sub_nc_u32_e32 v1, 29, v2
	v_and_b32_e32 v0, 7, v0
; %bb.920:                              ;   in Loop: Header=BB312_16 Depth=1
	s_or_b32 exec_lo, exec_lo, s28
	v_lshlrev_b32_e32 v2, 8, v33
	v_lshl_add_u32 v1, v1, 10, 0x2000
	v_lshlrev_b32_e32 v0, 7, v0
	v_and_b32_e32 v2, 0x8000, v2
	v_and_b32_e32 v1, 0xfc00, v1
	v_or3_b32 v44, v2, v1, v0
.LBB312_921:                            ;   in Loop: Header=BB312_16 Depth=1
	s_or_b32 exec_lo, exec_lo, s27
.LBB312_922:                            ;   in Loop: Header=BB312_16 Depth=1
	s_or_b32 exec_lo, exec_lo, s26
.LBB312_923:                            ;   in Loop: Header=BB312_16 Depth=1
	s_or_b32 exec_lo, exec_lo, s25
	v_lshrrev_b16 v8, 8, v33
	v_mov_b32_e32 v52, 0
	v_mov_b32_e32 v99, 0
	s_mov_b32 s25, exec_lo
	v_cmpx_ne_u16_e32 0, v8
	s_cbranch_execz .LBB312_931
; %bb.924:                              ;   in Loop: Header=BB312_16 Depth=1
	v_bfrev_b32_e32 v99, 1
	s_mov_b32 s26, exec_lo
	v_cmpx_ne_u16_e32 0x80, v8
	s_cbranch_execz .LBB312_930
; %bb.925:                              ;   in Loop: Header=BB312_16 Depth=1
	v_mov_b32_e32 v0, 0x7f
	v_mov_b32_e32 v99, 0x7c010000
	s_mov_b32 s27, exec_lo
	v_and_b32_sdwa v2, v8, v0 dst_sel:DWORD dst_unused:UNUSED_PAD src0_sel:WORD_0 src1_sel:DWORD
	v_cmpx_ne_u32_e32 0x7f, v2
	s_cbranch_execz .LBB312_929
; %bb.926:                              ;   in Loop: Header=BB312_16 Depth=1
	v_mov_b32_e32 v0, 7
	v_lshrrev_b32_e32 v1, 3, v2
	s_mov_b32 s28, exec_lo
	v_and_b32_sdwa v0, v8, v0 dst_sel:DWORD dst_unused:UNUSED_PAD src0_sel:WORD_0 src1_sel:DWORD
	v_cmpx_gt_u32_e32 8, v2
; %bb.927:                              ;   in Loop: Header=BB312_16 Depth=1
	v_ffbh_u32_e32 v0, v0
	v_min_u32_e32 v2, 32, v0
	v_subrev_nc_u32_e32 v0, 28, v2
	v_lshlrev_b64 v[0:1], v0, v[8:9]
	v_sub_nc_u32_e32 v1, 29, v2
	v_and_b32_e32 v0, 7, v0
; %bb.928:                              ;   in Loop: Header=BB312_16 Depth=1
	s_or_b32 exec_lo, exec_lo, s28
	v_mov_b32_e32 v2, 8
	v_lshl_add_u32 v1, v1, 10, 0x2000
	v_lshlrev_b32_e32 v0, 23, v0
	v_lshlrev_b32_sdwa v2, v2, v8 dst_sel:DWORD dst_unused:UNUSED_PAD src0_sel:DWORD src1_sel:WORD_0
	v_and_or_b32 v1, 0x8000, v2, v1
	v_lshl_or_b32 v99, v1, 16, v0
.LBB312_929:                            ;   in Loop: Header=BB312_16 Depth=1
	s_or_b32 exec_lo, exec_lo, s27
.LBB312_930:                            ;   in Loop: Header=BB312_16 Depth=1
	s_or_b32 exec_lo, exec_lo, s26
.LBB312_931:                            ;   in Loop: Header=BB312_16 Depth=1
	s_or_b32 exec_lo, exec_lo, s25
	v_lshrrev_b32_e32 v8, 16, v33
	v_cmp_ne_u16_sdwa s5, v8, v9 src0_sel:BYTE_0 src1_sel:DWORD
	s_and_saveexec_b32 s25, s5
	s_cbranch_execz .LBB312_939
; %bb.932:                              ;   in Loop: Header=BB312_16 Depth=1
	v_cmp_ne_u16_sdwa s5, v8, v68 src0_sel:BYTE_0 src1_sel:DWORD
	v_mov_b32_e32 v52, 0x8000
	s_and_saveexec_b32 s26, s5
	s_cbranch_execz .LBB312_938
; %bb.933:                              ;   in Loop: Header=BB312_16 Depth=1
	v_bfe_u32 v2, v33, 16, 7
	v_mov_b32_e32 v52, 0x7c01
	s_mov_b32 s27, exec_lo
	v_cmpx_ne_u32_e32 0x7f, v2
	s_cbranch_execz .LBB312_937
; %bb.934:                              ;   in Loop: Header=BB312_16 Depth=1
	v_and_b32_e32 v0, 7, v8
	v_lshrrev_b32_e32 v1, 3, v2
	s_mov_b32 s28, exec_lo
	v_cmpx_gt_u32_e32 8, v2
; %bb.935:                              ;   in Loop: Header=BB312_16 Depth=1
	v_ffbh_u32_e32 v0, v0
	v_min_u32_e32 v2, 32, v0
	v_subrev_nc_u32_e32 v0, 28, v2
	v_lshlrev_b64 v[0:1], v0, v[8:9]
	v_sub_nc_u32_e32 v1, 29, v2
	v_and_b32_e32 v0, 7, v0
; %bb.936:                              ;   in Loop: Header=BB312_16 Depth=1
	s_or_b32 exec_lo, exec_lo, s28
	v_lshlrev_b32_e32 v2, 8, v8
	v_lshl_add_u32 v1, v1, 10, 0x2000
	v_lshlrev_b32_e32 v0, 7, v0
	v_and_b32_e32 v2, 0x8000, v2
	v_and_b32_e32 v1, 0xfc00, v1
	v_or3_b32 v52, v2, v1, v0
.LBB312_937:                            ;   in Loop: Header=BB312_16 Depth=1
	s_or_b32 exec_lo, exec_lo, s27
.LBB312_938:                            ;   in Loop: Header=BB312_16 Depth=1
	s_or_b32 exec_lo, exec_lo, s26
.LBB312_939:                            ;   in Loop: Header=BB312_16 Depth=1
	s_or_b32 exec_lo, exec_lo, s25
	v_mov_b32_e32 v125, 0
	v_mov_b32_e32 v30, 0
	s_mov_b32 s25, exec_lo
	v_cmpx_lt_u32_e32 0xffffff, v33
	s_cbranch_execz .LBB312_947
; %bb.940:                              ;   in Loop: Header=BB312_16 Depth=1
	v_lshrrev_b32_e32 v8, 24, v33
	v_bfrev_b32_e32 v30, 1
	s_mov_b32 s26, exec_lo
	v_cmpx_ne_u32_e32 0x80, v8
	s_cbranch_execz .LBB312_946
; %bb.941:                              ;   in Loop: Header=BB312_16 Depth=1
	v_and_b32_e32 v2, 0x7f, v8
	v_mov_b32_e32 v30, 0x7c010000
	s_mov_b32 s27, exec_lo
	v_cmpx_ne_u32_e32 0x7f, v2
	s_cbranch_execz .LBB312_945
; %bb.942:                              ;   in Loop: Header=BB312_16 Depth=1
	v_and_b32_e32 v0, 7, v8
	v_lshrrev_b32_e32 v1, 3, v2
	s_mov_b32 s28, exec_lo
	v_cmpx_gt_u32_e32 8, v2
; %bb.943:                              ;   in Loop: Header=BB312_16 Depth=1
	v_ffbh_u32_e32 v0, v0
	v_min_u32_e32 v2, 32, v0
	v_subrev_nc_u32_e32 v0, 28, v2
	v_lshlrev_b64 v[0:1], v0, v[8:9]
	v_sub_nc_u32_e32 v1, 29, v2
	v_and_b32_e32 v0, 7, v0
; %bb.944:                              ;   in Loop: Header=BB312_16 Depth=1
	s_or_b32 exec_lo, exec_lo, s28
	v_lshlrev_b32_e32 v2, 8, v8
	v_lshl_add_u32 v1, v1, 10, 0x2000
	v_lshlrev_b32_e32 v0, 23, v0
	v_and_or_b32 v1, 0x8000, v2, v1
	v_lshl_or_b32 v30, v1, 16, v0
.LBB312_945:                            ;   in Loop: Header=BB312_16 Depth=1
	s_or_b32 exec_lo, exec_lo, s27
.LBB312_946:                            ;   in Loop: Header=BB312_16 Depth=1
	s_or_b32 exec_lo, exec_lo, s26
.LBB312_947:                            ;   in Loop: Header=BB312_16 Depth=1
	s_or_b32 exec_lo, exec_lo, s25
	v_mov_b32_e32 v8, v34
	v_cmp_ne_u16_sdwa s5, v34, v9 src0_sel:BYTE_0 src1_sel:DWORD
	s_and_saveexec_b32 s25, s5
	s_cbranch_execz .LBB312_955
; %bb.948:                              ;   in Loop: Header=BB312_16 Depth=1
	v_cmp_ne_u16_sdwa s5, v34, v68 src0_sel:BYTE_0 src1_sel:DWORD
	v_mov_b32_e32 v125, 0x8000
	s_and_saveexec_b32 s26, s5
	s_cbranch_execz .LBB312_954
; %bb.949:                              ;   in Loop: Header=BB312_16 Depth=1
	v_and_b32_e32 v2, 0x7f, v34
	v_mov_b32_e32 v125, 0x7c01
	s_mov_b32 s27, exec_lo
	v_cmpx_ne_u32_e32 0x7f, v2
	s_cbranch_execz .LBB312_953
; %bb.950:                              ;   in Loop: Header=BB312_16 Depth=1
	v_and_b32_e32 v0, 7, v34
	v_lshrrev_b32_e32 v1, 3, v2
	s_mov_b32 s28, exec_lo
	v_cmpx_gt_u32_e32 8, v2
; %bb.951:                              ;   in Loop: Header=BB312_16 Depth=1
	v_ffbh_u32_e32 v0, v0
	v_min_u32_e32 v2, 32, v0
	v_subrev_nc_u32_e32 v0, 28, v2
	v_lshlrev_b64 v[0:1], v0, v[8:9]
	v_sub_nc_u32_e32 v1, 29, v2
	v_and_b32_e32 v0, 7, v0
; %bb.952:                              ;   in Loop: Header=BB312_16 Depth=1
	s_or_b32 exec_lo, exec_lo, s28
	v_lshlrev_b32_e32 v2, 8, v34
	v_lshl_add_u32 v1, v1, 10, 0x2000
	v_lshlrev_b32_e32 v0, 7, v0
	v_and_b32_e32 v2, 0x8000, v2
	v_and_b32_e32 v1, 0xfc00, v1
	v_or3_b32 v125, v2, v1, v0
.LBB312_953:                            ;   in Loop: Header=BB312_16 Depth=1
	s_or_b32 exec_lo, exec_lo, s27
.LBB312_954:                            ;   in Loop: Header=BB312_16 Depth=1
	s_or_b32 exec_lo, exec_lo, s26
.LBB312_955:                            ;   in Loop: Header=BB312_16 Depth=1
	s_or_b32 exec_lo, exec_lo, s25
	v_lshrrev_b16 v8, 8, v8
	v_mov_b32_e32 v116, 0
	v_mov_b32_e32 v112, 0
	s_mov_b32 s25, exec_lo
	v_cmpx_ne_u16_e32 0, v8
	s_cbranch_execz .LBB312_963
; %bb.956:                              ;   in Loop: Header=BB312_16 Depth=1
	v_bfrev_b32_e32 v112, 1
	s_mov_b32 s26, exec_lo
	v_cmpx_ne_u16_e32 0x80, v8
	s_cbranch_execz .LBB312_962
; %bb.957:                              ;   in Loop: Header=BB312_16 Depth=1
	v_mov_b32_e32 v0, 0x7f
	v_mov_b32_e32 v112, 0x7c010000
	s_mov_b32 s27, exec_lo
	v_and_b32_sdwa v2, v8, v0 dst_sel:DWORD dst_unused:UNUSED_PAD src0_sel:WORD_0 src1_sel:DWORD
	v_cmpx_ne_u32_e32 0x7f, v2
	s_cbranch_execz .LBB312_961
; %bb.958:                              ;   in Loop: Header=BB312_16 Depth=1
	v_mov_b32_e32 v0, 7
	v_lshrrev_b32_e32 v1, 3, v2
	s_mov_b32 s28, exec_lo
	v_and_b32_sdwa v0, v8, v0 dst_sel:DWORD dst_unused:UNUSED_PAD src0_sel:WORD_0 src1_sel:DWORD
	v_cmpx_gt_u32_e32 8, v2
; %bb.959:                              ;   in Loop: Header=BB312_16 Depth=1
	v_ffbh_u32_e32 v0, v0
	v_min_u32_e32 v2, 32, v0
	v_subrev_nc_u32_e32 v0, 28, v2
	v_lshlrev_b64 v[0:1], v0, v[8:9]
	v_sub_nc_u32_e32 v1, 29, v2
	v_and_b32_e32 v0, 7, v0
; %bb.960:                              ;   in Loop: Header=BB312_16 Depth=1
	s_or_b32 exec_lo, exec_lo, s28
	v_mov_b32_e32 v2, 8
	v_lshl_add_u32 v1, v1, 10, 0x2000
	v_lshlrev_b32_e32 v0, 23, v0
	v_lshlrev_b32_sdwa v2, v2, v8 dst_sel:DWORD dst_unused:UNUSED_PAD src0_sel:DWORD src1_sel:WORD_0
	v_and_or_b32 v1, 0x8000, v2, v1
	v_lshl_or_b32 v112, v1, 16, v0
.LBB312_961:                            ;   in Loop: Header=BB312_16 Depth=1
	s_or_b32 exec_lo, exec_lo, s27
.LBB312_962:                            ;   in Loop: Header=BB312_16 Depth=1
	s_or_b32 exec_lo, exec_lo, s26
.LBB312_963:                            ;   in Loop: Header=BB312_16 Depth=1
	s_or_b32 exec_lo, exec_lo, s25
	v_lshrrev_b32_e32 v8, 16, v34
	v_cmp_ne_u16_sdwa s5, v8, v9 src0_sel:BYTE_0 src1_sel:DWORD
	s_and_saveexec_b32 s25, s5
	s_cbranch_execz .LBB312_971
; %bb.964:                              ;   in Loop: Header=BB312_16 Depth=1
	v_cmp_ne_u16_sdwa s5, v8, v68 src0_sel:BYTE_0 src1_sel:DWORD
	v_mov_b32_e32 v116, 0x8000
	s_and_saveexec_b32 s26, s5
	s_cbranch_execz .LBB312_970
; %bb.965:                              ;   in Loop: Header=BB312_16 Depth=1
	v_bfe_u32 v2, v34, 16, 7
	v_mov_b32_e32 v116, 0x7c01
	s_mov_b32 s27, exec_lo
	v_cmpx_ne_u32_e32 0x7f, v2
	s_cbranch_execz .LBB312_969
; %bb.966:                              ;   in Loop: Header=BB312_16 Depth=1
	v_and_b32_e32 v0, 7, v8
	v_lshrrev_b32_e32 v1, 3, v2
	s_mov_b32 s28, exec_lo
	v_cmpx_gt_u32_e32 8, v2
; %bb.967:                              ;   in Loop: Header=BB312_16 Depth=1
	v_ffbh_u32_e32 v0, v0
	v_min_u32_e32 v2, 32, v0
	v_subrev_nc_u32_e32 v0, 28, v2
	v_lshlrev_b64 v[0:1], v0, v[8:9]
	v_sub_nc_u32_e32 v1, 29, v2
	v_and_b32_e32 v0, 7, v0
; %bb.968:                              ;   in Loop: Header=BB312_16 Depth=1
	s_or_b32 exec_lo, exec_lo, s28
	v_lshlrev_b32_e32 v2, 8, v8
	v_lshl_add_u32 v1, v1, 10, 0x2000
	v_lshlrev_b32_e32 v0, 7, v0
	v_and_b32_e32 v2, 0x8000, v2
	v_and_b32_e32 v1, 0xfc00, v1
	v_or3_b32 v116, v2, v1, v0
.LBB312_969:                            ;   in Loop: Header=BB312_16 Depth=1
	s_or_b32 exec_lo, exec_lo, s27
.LBB312_970:                            ;   in Loop: Header=BB312_16 Depth=1
	s_or_b32 exec_lo, exec_lo, s26
.LBB312_971:                            ;   in Loop: Header=BB312_16 Depth=1
	s_or_b32 exec_lo, exec_lo, s25
	v_cmp_lt_u64_e64 s5, s[20:21], v[33:34]
	v_mov_b32_e32 v106, 0
	v_mov_b32_e32 v33, 0
	s_and_saveexec_b32 s25, s5
	s_cbranch_execz .LBB312_979
; %bb.972:                              ;   in Loop: Header=BB312_16 Depth=1
	v_lshrrev_b32_e32 v8, 24, v34
	v_bfrev_b32_e32 v33, 1
	s_mov_b32 s26, exec_lo
	v_cmpx_ne_u32_e32 0x80, v8
	s_cbranch_execz .LBB312_978
; %bb.973:                              ;   in Loop: Header=BB312_16 Depth=1
	v_and_b32_e32 v2, 0x7f, v8
	v_mov_b32_e32 v33, 0x7c010000
	s_mov_b32 s27, exec_lo
	v_cmpx_ne_u32_e32 0x7f, v2
	s_cbranch_execz .LBB312_977
; %bb.974:                              ;   in Loop: Header=BB312_16 Depth=1
	v_and_b32_e32 v0, 7, v8
	v_lshrrev_b32_e32 v1, 3, v2
	s_mov_b32 s28, exec_lo
	v_cmpx_gt_u32_e32 8, v2
; %bb.975:                              ;   in Loop: Header=BB312_16 Depth=1
	v_ffbh_u32_e32 v0, v0
	v_min_u32_e32 v2, 32, v0
	v_subrev_nc_u32_e32 v0, 28, v2
	v_lshlrev_b64 v[0:1], v0, v[8:9]
	v_sub_nc_u32_e32 v1, 29, v2
	v_and_b32_e32 v0, 7, v0
; %bb.976:                              ;   in Loop: Header=BB312_16 Depth=1
	s_or_b32 exec_lo, exec_lo, s28
	v_lshlrev_b32_e32 v2, 8, v8
	v_lshl_add_u32 v1, v1, 10, 0x2000
	v_lshlrev_b32_e32 v0, 23, v0
	v_and_or_b32 v1, 0x8000, v2, v1
	v_lshl_or_b32 v33, v1, 16, v0
.LBB312_977:                            ;   in Loop: Header=BB312_16 Depth=1
	s_or_b32 exec_lo, exec_lo, s27
.LBB312_978:                            ;   in Loop: Header=BB312_16 Depth=1
	s_or_b32 exec_lo, exec_lo, s26
.LBB312_979:                            ;   in Loop: Header=BB312_16 Depth=1
	s_or_b32 exec_lo, exec_lo, s25
	flat_load_dwordx2 v[31:32], v[31:32] offset:1544
	s_waitcnt vmcnt(0) lgkmcnt(0)
	v_cmp_ne_u16_sdwa s5, v31, v9 src0_sel:BYTE_0 src1_sel:DWORD
	s_and_saveexec_b32 s25, s5
	s_cbranch_execz .LBB312_987
; %bb.980:                              ;   in Loop: Header=BB312_16 Depth=1
	v_cmp_ne_u16_sdwa s5, v31, v68 src0_sel:BYTE_0 src1_sel:DWORD
	v_mov_b32_e32 v106, 0x8000
	s_and_saveexec_b32 s26, s5
	s_cbranch_execz .LBB312_986
; %bb.981:                              ;   in Loop: Header=BB312_16 Depth=1
	v_and_b32_e32 v2, 0x7f, v31
	v_mov_b32_e32 v106, 0x7c01
	s_mov_b32 s27, exec_lo
	v_cmpx_ne_u32_e32 0x7f, v2
	s_cbranch_execz .LBB312_985
; %bb.982:                              ;   in Loop: Header=BB312_16 Depth=1
	v_and_b32_e32 v0, 7, v31
	v_lshrrev_b32_e32 v1, 3, v2
	s_mov_b32 s28, exec_lo
	v_cmpx_gt_u32_e32 8, v2
; %bb.983:                              ;   in Loop: Header=BB312_16 Depth=1
	v_ffbh_u32_e32 v0, v0
	v_min_u32_e32 v2, 32, v0
	v_subrev_nc_u32_e32 v0, 28, v2
	v_lshlrev_b64 v[0:1], v0, v[31:32]
	v_sub_nc_u32_e32 v1, 29, v2
	v_and_b32_e32 v0, 7, v0
; %bb.984:                              ;   in Loop: Header=BB312_16 Depth=1
	s_or_b32 exec_lo, exec_lo, s28
	v_lshlrev_b32_e32 v2, 8, v31
	v_lshl_add_u32 v1, v1, 10, 0x2000
	v_lshlrev_b32_e32 v0, 7, v0
	v_and_b32_e32 v2, 0x8000, v2
	v_and_b32_e32 v1, 0xfc00, v1
	v_or3_b32 v106, v2, v1, v0
.LBB312_985:                            ;   in Loop: Header=BB312_16 Depth=1
	s_or_b32 exec_lo, exec_lo, s27
.LBB312_986:                            ;   in Loop: Header=BB312_16 Depth=1
	s_or_b32 exec_lo, exec_lo, s26
.LBB312_987:                            ;   in Loop: Header=BB312_16 Depth=1
	s_or_b32 exec_lo, exec_lo, s25
	v_lshrrev_b16 v8, 8, v31
	v_mov_b32_e32 v10, 0
	v_mov_b32_e32 v98, 0
	s_mov_b32 s25, exec_lo
	v_cmpx_ne_u16_e32 0, v8
	s_cbranch_execz .LBB312_995
; %bb.988:                              ;   in Loop: Header=BB312_16 Depth=1
	v_bfrev_b32_e32 v98, 1
	s_mov_b32 s26, exec_lo
	v_cmpx_ne_u16_e32 0x80, v8
	s_cbranch_execz .LBB312_994
; %bb.989:                              ;   in Loop: Header=BB312_16 Depth=1
	v_mov_b32_e32 v0, 0x7f
	v_mov_b32_e32 v98, 0x7c010000
	s_mov_b32 s27, exec_lo
	v_and_b32_sdwa v2, v8, v0 dst_sel:DWORD dst_unused:UNUSED_PAD src0_sel:WORD_0 src1_sel:DWORD
	v_cmpx_ne_u32_e32 0x7f, v2
	s_cbranch_execz .LBB312_993
; %bb.990:                              ;   in Loop: Header=BB312_16 Depth=1
	v_mov_b32_e32 v0, 7
	v_lshrrev_b32_e32 v1, 3, v2
	s_mov_b32 s28, exec_lo
	v_and_b32_sdwa v0, v8, v0 dst_sel:DWORD dst_unused:UNUSED_PAD src0_sel:WORD_0 src1_sel:DWORD
	v_cmpx_gt_u32_e32 8, v2
; %bb.991:                              ;   in Loop: Header=BB312_16 Depth=1
	v_ffbh_u32_e32 v0, v0
	v_min_u32_e32 v2, 32, v0
	v_subrev_nc_u32_e32 v0, 28, v2
	v_lshlrev_b64 v[0:1], v0, v[8:9]
	v_sub_nc_u32_e32 v1, 29, v2
	v_and_b32_e32 v0, 7, v0
; %bb.992:                              ;   in Loop: Header=BB312_16 Depth=1
	s_or_b32 exec_lo, exec_lo, s28
	v_mov_b32_e32 v2, 8
	v_lshl_add_u32 v1, v1, 10, 0x2000
	v_lshlrev_b32_e32 v0, 23, v0
	v_lshlrev_b32_sdwa v2, v2, v8 dst_sel:DWORD dst_unused:UNUSED_PAD src0_sel:DWORD src1_sel:WORD_0
	v_and_or_b32 v1, 0x8000, v2, v1
	v_lshl_or_b32 v98, v1, 16, v0
.LBB312_993:                            ;   in Loop: Header=BB312_16 Depth=1
	s_or_b32 exec_lo, exec_lo, s27
.LBB312_994:                            ;   in Loop: Header=BB312_16 Depth=1
	s_or_b32 exec_lo, exec_lo, s26
.LBB312_995:                            ;   in Loop: Header=BB312_16 Depth=1
	s_or_b32 exec_lo, exec_lo, s25
	v_lshrrev_b32_e32 v8, 16, v31
	v_cmp_ne_u16_sdwa s5, v8, v9 src0_sel:BYTE_0 src1_sel:DWORD
	s_and_saveexec_b32 s25, s5
	s_cbranch_execz .LBB312_1003
; %bb.996:                              ;   in Loop: Header=BB312_16 Depth=1
	v_cmp_ne_u16_sdwa s5, v8, v68 src0_sel:BYTE_0 src1_sel:DWORD
	v_mov_b32_e32 v10, 0x8000
	s_and_saveexec_b32 s26, s5
	s_cbranch_execz .LBB312_1002
; %bb.997:                              ;   in Loop: Header=BB312_16 Depth=1
	v_bfe_u32 v2, v31, 16, 7
	v_mov_b32_e32 v10, 0x7c01
	s_mov_b32 s27, exec_lo
	v_cmpx_ne_u32_e32 0x7f, v2
	s_cbranch_execz .LBB312_1001
; %bb.998:                              ;   in Loop: Header=BB312_16 Depth=1
	v_and_b32_e32 v0, 7, v8
	v_lshrrev_b32_e32 v1, 3, v2
	s_mov_b32 s28, exec_lo
	v_cmpx_gt_u32_e32 8, v2
; %bb.999:                              ;   in Loop: Header=BB312_16 Depth=1
	v_ffbh_u32_e32 v0, v0
	v_min_u32_e32 v2, 32, v0
	v_subrev_nc_u32_e32 v0, 28, v2
	v_lshlrev_b64 v[0:1], v0, v[8:9]
	v_sub_nc_u32_e32 v1, 29, v2
	v_and_b32_e32 v0, 7, v0
; %bb.1000:                             ;   in Loop: Header=BB312_16 Depth=1
	s_or_b32 exec_lo, exec_lo, s28
	v_lshlrev_b32_e32 v2, 8, v8
	v_lshl_add_u32 v1, v1, 10, 0x2000
	v_lshlrev_b32_e32 v0, 7, v0
	v_and_b32_e32 v2, 0x8000, v2
	v_and_b32_e32 v1, 0xfc00, v1
	v_or3_b32 v10, v2, v1, v0
.LBB312_1001:                           ;   in Loop: Header=BB312_16 Depth=1
	s_or_b32 exec_lo, exec_lo, s27
.LBB312_1002:                           ;   in Loop: Header=BB312_16 Depth=1
	s_or_b32 exec_lo, exec_lo, s26
.LBB312_1003:                           ;   in Loop: Header=BB312_16 Depth=1
	s_or_b32 exec_lo, exec_lo, s25
	v_mov_b32_e32 v81, 0
	v_mov_b32_e32 v46, 0
	s_mov_b32 s25, exec_lo
	v_cmpx_lt_u32_e32 0xffffff, v31
	s_cbranch_execz .LBB312_1011
; %bb.1004:                             ;   in Loop: Header=BB312_16 Depth=1
	v_lshrrev_b32_e32 v8, 24, v31
	v_bfrev_b32_e32 v46, 1
	s_mov_b32 s26, exec_lo
	v_cmpx_ne_u32_e32 0x80, v8
	s_cbranch_execz .LBB312_1010
; %bb.1005:                             ;   in Loop: Header=BB312_16 Depth=1
	v_and_b32_e32 v2, 0x7f, v8
	v_mov_b32_e32 v46, 0x7c010000
	s_mov_b32 s27, exec_lo
	v_cmpx_ne_u32_e32 0x7f, v2
	s_cbranch_execz .LBB312_1009
; %bb.1006:                             ;   in Loop: Header=BB312_16 Depth=1
	v_and_b32_e32 v0, 7, v8
	v_lshrrev_b32_e32 v1, 3, v2
	s_mov_b32 s28, exec_lo
	v_cmpx_gt_u32_e32 8, v2
; %bb.1007:                             ;   in Loop: Header=BB312_16 Depth=1
	v_ffbh_u32_e32 v0, v0
	v_min_u32_e32 v2, 32, v0
	v_subrev_nc_u32_e32 v0, 28, v2
	v_lshlrev_b64 v[0:1], v0, v[8:9]
	v_sub_nc_u32_e32 v1, 29, v2
	v_and_b32_e32 v0, 7, v0
; %bb.1008:                             ;   in Loop: Header=BB312_16 Depth=1
	s_or_b32 exec_lo, exec_lo, s28
	v_lshlrev_b32_e32 v2, 8, v8
	v_lshl_add_u32 v1, v1, 10, 0x2000
	v_lshlrev_b32_e32 v0, 23, v0
	v_and_or_b32 v1, 0x8000, v2, v1
	v_lshl_or_b32 v46, v1, 16, v0
.LBB312_1009:                           ;   in Loop: Header=BB312_16 Depth=1
	s_or_b32 exec_lo, exec_lo, s27
.LBB312_1010:                           ;   in Loop: Header=BB312_16 Depth=1
	s_or_b32 exec_lo, exec_lo, s26
.LBB312_1011:                           ;   in Loop: Header=BB312_16 Depth=1
	s_or_b32 exec_lo, exec_lo, s25
	v_mov_b32_e32 v8, v32
	v_cmp_ne_u16_sdwa s5, v32, v9 src0_sel:BYTE_0 src1_sel:DWORD
	s_and_saveexec_b32 s25, s5
	s_cbranch_execz .LBB312_1019
; %bb.1012:                             ;   in Loop: Header=BB312_16 Depth=1
	v_cmp_ne_u16_sdwa s5, v32, v68 src0_sel:BYTE_0 src1_sel:DWORD
	v_mov_b32_e32 v81, 0x8000
	s_and_saveexec_b32 s26, s5
	s_cbranch_execz .LBB312_1018
; %bb.1013:                             ;   in Loop: Header=BB312_16 Depth=1
	v_and_b32_e32 v2, 0x7f, v32
	v_mov_b32_e32 v81, 0x7c01
	s_mov_b32 s27, exec_lo
	v_cmpx_ne_u32_e32 0x7f, v2
	s_cbranch_execz .LBB312_1017
; %bb.1014:                             ;   in Loop: Header=BB312_16 Depth=1
	v_and_b32_e32 v0, 7, v32
	v_lshrrev_b32_e32 v1, 3, v2
	s_mov_b32 s28, exec_lo
	v_cmpx_gt_u32_e32 8, v2
; %bb.1015:                             ;   in Loop: Header=BB312_16 Depth=1
	v_ffbh_u32_e32 v0, v0
	v_min_u32_e32 v2, 32, v0
	v_subrev_nc_u32_e32 v0, 28, v2
	v_lshlrev_b64 v[0:1], v0, v[8:9]
	v_sub_nc_u32_e32 v1, 29, v2
	v_and_b32_e32 v0, 7, v0
; %bb.1016:                             ;   in Loop: Header=BB312_16 Depth=1
	s_or_b32 exec_lo, exec_lo, s28
	v_lshlrev_b32_e32 v2, 8, v32
	v_lshl_add_u32 v1, v1, 10, 0x2000
	v_lshlrev_b32_e32 v0, 7, v0
	v_and_b32_e32 v2, 0x8000, v2
	v_and_b32_e32 v1, 0xfc00, v1
	v_or3_b32 v81, v2, v1, v0
.LBB312_1017:                           ;   in Loop: Header=BB312_16 Depth=1
	s_or_b32 exec_lo, exec_lo, s27
.LBB312_1018:                           ;   in Loop: Header=BB312_16 Depth=1
	s_or_b32 exec_lo, exec_lo, s26
.LBB312_1019:                           ;   in Loop: Header=BB312_16 Depth=1
	s_or_b32 exec_lo, exec_lo, s25
	v_lshrrev_b16 v8, 8, v8
	v_mov_b32_e32 v60, 0
	v_mov_b32_e32 v92, 0
	s_mov_b32 s25, exec_lo
	v_cmpx_ne_u16_e32 0, v8
	s_cbranch_execz .LBB312_1027
; %bb.1020:                             ;   in Loop: Header=BB312_16 Depth=1
	v_bfrev_b32_e32 v92, 1
	s_mov_b32 s26, exec_lo
	v_cmpx_ne_u16_e32 0x80, v8
	s_cbranch_execz .LBB312_1026
; %bb.1021:                             ;   in Loop: Header=BB312_16 Depth=1
	v_mov_b32_e32 v0, 0x7f
	v_mov_b32_e32 v92, 0x7c010000
	s_mov_b32 s27, exec_lo
	v_and_b32_sdwa v2, v8, v0 dst_sel:DWORD dst_unused:UNUSED_PAD src0_sel:WORD_0 src1_sel:DWORD
	v_cmpx_ne_u32_e32 0x7f, v2
	s_cbranch_execz .LBB312_1025
; %bb.1022:                             ;   in Loop: Header=BB312_16 Depth=1
	v_mov_b32_e32 v0, 7
	v_lshrrev_b32_e32 v1, 3, v2
	s_mov_b32 s28, exec_lo
	v_and_b32_sdwa v0, v8, v0 dst_sel:DWORD dst_unused:UNUSED_PAD src0_sel:WORD_0 src1_sel:DWORD
	v_cmpx_gt_u32_e32 8, v2
; %bb.1023:                             ;   in Loop: Header=BB312_16 Depth=1
	v_ffbh_u32_e32 v0, v0
	v_min_u32_e32 v2, 32, v0
	v_subrev_nc_u32_e32 v0, 28, v2
	v_lshlrev_b64 v[0:1], v0, v[8:9]
	v_sub_nc_u32_e32 v1, 29, v2
	v_and_b32_e32 v0, 7, v0
; %bb.1024:                             ;   in Loop: Header=BB312_16 Depth=1
	s_or_b32 exec_lo, exec_lo, s28
	v_mov_b32_e32 v2, 8
	v_lshl_add_u32 v1, v1, 10, 0x2000
	v_lshlrev_b32_e32 v0, 23, v0
	v_lshlrev_b32_sdwa v2, v2, v8 dst_sel:DWORD dst_unused:UNUSED_PAD src0_sel:DWORD src1_sel:WORD_0
	v_and_or_b32 v1, 0x8000, v2, v1
	v_lshl_or_b32 v92, v1, 16, v0
.LBB312_1025:                           ;   in Loop: Header=BB312_16 Depth=1
	s_or_b32 exec_lo, exec_lo, s27
.LBB312_1026:                           ;   in Loop: Header=BB312_16 Depth=1
	s_or_b32 exec_lo, exec_lo, s26
.LBB312_1027:                           ;   in Loop: Header=BB312_16 Depth=1
	s_or_b32 exec_lo, exec_lo, s25
	v_lshrrev_b32_e32 v8, 16, v32
	v_cmp_ne_u16_sdwa s5, v8, v9 src0_sel:BYTE_0 src1_sel:DWORD
	s_and_saveexec_b32 s25, s5
	s_cbranch_execz .LBB312_1035
; %bb.1028:                             ;   in Loop: Header=BB312_16 Depth=1
	v_cmp_ne_u16_sdwa s5, v8, v68 src0_sel:BYTE_0 src1_sel:DWORD
	v_mov_b32_e32 v60, 0x8000
	s_and_saveexec_b32 s26, s5
	s_cbranch_execz .LBB312_1034
; %bb.1029:                             ;   in Loop: Header=BB312_16 Depth=1
	v_bfe_u32 v2, v32, 16, 7
	v_mov_b32_e32 v60, 0x7c01
	s_mov_b32 s27, exec_lo
	v_cmpx_ne_u32_e32 0x7f, v2
	s_cbranch_execz .LBB312_1033
; %bb.1030:                             ;   in Loop: Header=BB312_16 Depth=1
	v_and_b32_e32 v0, 7, v8
	v_lshrrev_b32_e32 v1, 3, v2
	s_mov_b32 s28, exec_lo
	v_cmpx_gt_u32_e32 8, v2
; %bb.1031:                             ;   in Loop: Header=BB312_16 Depth=1
	v_ffbh_u32_e32 v0, v0
	v_min_u32_e32 v2, 32, v0
	v_subrev_nc_u32_e32 v0, 28, v2
	v_lshlrev_b64 v[0:1], v0, v[8:9]
	v_sub_nc_u32_e32 v1, 29, v2
	v_and_b32_e32 v0, 7, v0
; %bb.1032:                             ;   in Loop: Header=BB312_16 Depth=1
	s_or_b32 exec_lo, exec_lo, s28
	v_lshlrev_b32_e32 v2, 8, v8
	v_lshl_add_u32 v1, v1, 10, 0x2000
	v_lshlrev_b32_e32 v0, 7, v0
	v_and_b32_e32 v2, 0x8000, v2
	v_and_b32_e32 v1, 0xfc00, v1
	v_or3_b32 v60, v2, v1, v0
.LBB312_1033:                           ;   in Loop: Header=BB312_16 Depth=1
	s_or_b32 exec_lo, exec_lo, s27
.LBB312_1034:                           ;   in Loop: Header=BB312_16 Depth=1
	s_or_b32 exec_lo, exec_lo, s26
.LBB312_1035:                           ;   in Loop: Header=BB312_16 Depth=1
	s_or_b32 exec_lo, exec_lo, s25
	v_mov_b32_e32 v48, 0
	v_mov_b32_e32 v108, 0
	s_mov_b32 s25, exec_lo
	v_cmpx_lt_u64_e64 s[20:21], v[31:32]
	s_cbranch_execz .LBB312_1043
; %bb.1036:                             ;   in Loop: Header=BB312_16 Depth=1
	v_lshrrev_b32_e32 v8, 24, v32
	v_bfrev_b32_e32 v108, 1
	s_mov_b32 s26, exec_lo
	v_cmpx_ne_u32_e32 0x80, v8
	s_cbranch_execz .LBB312_1042
; %bb.1037:                             ;   in Loop: Header=BB312_16 Depth=1
	v_and_b32_e32 v2, 0x7f, v8
	v_mov_b32_e32 v108, 0x7c010000
	s_mov_b32 s27, exec_lo
	v_cmpx_ne_u32_e32 0x7f, v2
	s_cbranch_execz .LBB312_1041
; %bb.1038:                             ;   in Loop: Header=BB312_16 Depth=1
	v_and_b32_e32 v0, 7, v8
	v_lshrrev_b32_e32 v1, 3, v2
	s_mov_b32 s28, exec_lo
	v_cmpx_gt_u32_e32 8, v2
; %bb.1039:                             ;   in Loop: Header=BB312_16 Depth=1
	v_ffbh_u32_e32 v0, v0
	v_min_u32_e32 v2, 32, v0
	v_subrev_nc_u32_e32 v0, 28, v2
	v_lshlrev_b64 v[0:1], v0, v[8:9]
	v_sub_nc_u32_e32 v1, 29, v2
	v_and_b32_e32 v0, 7, v0
; %bb.1040:                             ;   in Loop: Header=BB312_16 Depth=1
	s_or_b32 exec_lo, exec_lo, s28
	v_lshlrev_b32_e32 v2, 8, v8
	v_lshl_add_u32 v1, v1, 10, 0x2000
	v_lshlrev_b32_e32 v0, 23, v0
	v_and_or_b32 v1, 0x8000, v2, v1
	v_lshl_or_b32 v108, v1, 16, v0
.LBB312_1041:                           ;   in Loop: Header=BB312_16 Depth=1
	s_or_b32 exec_lo, exec_lo, s27
.LBB312_1042:                           ;   in Loop: Header=BB312_16 Depth=1
	s_or_b32 exec_lo, exec_lo, s26
.LBB312_1043:                           ;   in Loop: Header=BB312_16 Depth=1
	s_or_b32 exec_lo, exec_lo, s25
	v_add_co_u32 v28, s5, 0x1000, v28
	v_add_co_ci_u32_e64 v29, null, 0, v29, s5
	flat_load_dwordx2 v[31:32], v[28:29]
	s_waitcnt vmcnt(0) lgkmcnt(0)
	v_cmp_ne_u16_sdwa s5, v31, v9 src0_sel:BYTE_0 src1_sel:DWORD
	s_and_saveexec_b32 s25, s5
	s_cbranch_execz .LBB312_1051
; %bb.1044:                             ;   in Loop: Header=BB312_16 Depth=1
	v_cmp_ne_u16_sdwa s5, v31, v68 src0_sel:BYTE_0 src1_sel:DWORD
	v_mov_b32_e32 v48, 0x8000
	s_and_saveexec_b32 s26, s5
	s_cbranch_execz .LBB312_1050
; %bb.1045:                             ;   in Loop: Header=BB312_16 Depth=1
	v_and_b32_e32 v2, 0x7f, v31
	v_mov_b32_e32 v48, 0x7c01
	s_mov_b32 s27, exec_lo
	v_cmpx_ne_u32_e32 0x7f, v2
	s_cbranch_execz .LBB312_1049
; %bb.1046:                             ;   in Loop: Header=BB312_16 Depth=1
	v_and_b32_e32 v0, 7, v31
	v_lshrrev_b32_e32 v1, 3, v2
	s_mov_b32 s28, exec_lo
	v_cmpx_gt_u32_e32 8, v2
; %bb.1047:                             ;   in Loop: Header=BB312_16 Depth=1
	v_ffbh_u32_e32 v0, v0
	v_min_u32_e32 v2, 32, v0
	v_subrev_nc_u32_e32 v0, 28, v2
	v_lshlrev_b64 v[0:1], v0, v[31:32]
	v_sub_nc_u32_e32 v1, 29, v2
	v_and_b32_e32 v0, 7, v0
; %bb.1048:                             ;   in Loop: Header=BB312_16 Depth=1
	s_or_b32 exec_lo, exec_lo, s28
	v_lshlrev_b32_e32 v2, 8, v31
	v_lshl_add_u32 v1, v1, 10, 0x2000
	v_lshlrev_b32_e32 v0, 7, v0
	v_and_b32_e32 v2, 0x8000, v2
	v_and_b32_e32 v1, 0xfc00, v1
	v_or3_b32 v48, v2, v1, v0
.LBB312_1049:                           ;   in Loop: Header=BB312_16 Depth=1
	s_or_b32 exec_lo, exec_lo, s27
.LBB312_1050:                           ;   in Loop: Header=BB312_16 Depth=1
	s_or_b32 exec_lo, exec_lo, s26
.LBB312_1051:                           ;   in Loop: Header=BB312_16 Depth=1
	s_or_b32 exec_lo, exec_lo, s25
	v_lshrrev_b16 v8, 8, v31
	v_mov_b32_e32 v69, 0
	v_mov_b32_e32 v65, 0
	s_mov_b32 s25, exec_lo
	v_cmpx_ne_u16_e32 0, v8
	s_cbranch_execz .LBB312_1059
; %bb.1052:                             ;   in Loop: Header=BB312_16 Depth=1
	v_bfrev_b32_e32 v65, 1
	s_mov_b32 s26, exec_lo
	v_cmpx_ne_u16_e32 0x80, v8
	s_cbranch_execz .LBB312_1058
; %bb.1053:                             ;   in Loop: Header=BB312_16 Depth=1
	v_mov_b32_e32 v0, 0x7f
	v_mov_b32_e32 v65, 0x7c010000
	s_mov_b32 s27, exec_lo
	v_and_b32_sdwa v2, v8, v0 dst_sel:DWORD dst_unused:UNUSED_PAD src0_sel:WORD_0 src1_sel:DWORD
	v_cmpx_ne_u32_e32 0x7f, v2
	s_cbranch_execz .LBB312_1057
; %bb.1054:                             ;   in Loop: Header=BB312_16 Depth=1
	v_mov_b32_e32 v0, 7
	v_lshrrev_b32_e32 v1, 3, v2
	s_mov_b32 s28, exec_lo
	v_and_b32_sdwa v0, v8, v0 dst_sel:DWORD dst_unused:UNUSED_PAD src0_sel:WORD_0 src1_sel:DWORD
	v_cmpx_gt_u32_e32 8, v2
; %bb.1055:                             ;   in Loop: Header=BB312_16 Depth=1
	v_ffbh_u32_e32 v0, v0
	v_min_u32_e32 v2, 32, v0
	v_subrev_nc_u32_e32 v0, 28, v2
	v_lshlrev_b64 v[0:1], v0, v[8:9]
	v_sub_nc_u32_e32 v1, 29, v2
	v_and_b32_e32 v0, 7, v0
; %bb.1056:                             ;   in Loop: Header=BB312_16 Depth=1
	s_or_b32 exec_lo, exec_lo, s28
	v_mov_b32_e32 v2, 8
	v_lshl_add_u32 v1, v1, 10, 0x2000
	v_lshlrev_b32_e32 v0, 23, v0
	v_lshlrev_b32_sdwa v2, v2, v8 dst_sel:DWORD dst_unused:UNUSED_PAD src0_sel:DWORD src1_sel:WORD_0
	v_and_or_b32 v1, 0x8000, v2, v1
	v_lshl_or_b32 v65, v1, 16, v0
.LBB312_1057:                           ;   in Loop: Header=BB312_16 Depth=1
	s_or_b32 exec_lo, exec_lo, s27
.LBB312_1058:                           ;   in Loop: Header=BB312_16 Depth=1
	s_or_b32 exec_lo, exec_lo, s26
.LBB312_1059:                           ;   in Loop: Header=BB312_16 Depth=1
	s_or_b32 exec_lo, exec_lo, s25
	v_lshrrev_b32_e32 v8, 16, v31
	v_cmp_ne_u16_sdwa s5, v8, v9 src0_sel:BYTE_0 src1_sel:DWORD
	s_and_saveexec_b32 s25, s5
	s_cbranch_execz .LBB312_1067
; %bb.1060:                             ;   in Loop: Header=BB312_16 Depth=1
	v_cmp_ne_u16_sdwa s5, v8, v68 src0_sel:BYTE_0 src1_sel:DWORD
	v_mov_b32_e32 v69, 0x8000
	s_and_saveexec_b32 s26, s5
	s_cbranch_execz .LBB312_1066
; %bb.1061:                             ;   in Loop: Header=BB312_16 Depth=1
	v_bfe_u32 v2, v31, 16, 7
	v_mov_b32_e32 v69, 0x7c01
	s_mov_b32 s27, exec_lo
	v_cmpx_ne_u32_e32 0x7f, v2
	s_cbranch_execz .LBB312_1065
; %bb.1062:                             ;   in Loop: Header=BB312_16 Depth=1
	v_and_b32_e32 v0, 7, v8
	v_lshrrev_b32_e32 v1, 3, v2
	s_mov_b32 s28, exec_lo
	v_cmpx_gt_u32_e32 8, v2
; %bb.1063:                             ;   in Loop: Header=BB312_16 Depth=1
	v_ffbh_u32_e32 v0, v0
	v_min_u32_e32 v2, 32, v0
	v_subrev_nc_u32_e32 v0, 28, v2
	v_lshlrev_b64 v[0:1], v0, v[8:9]
	v_sub_nc_u32_e32 v1, 29, v2
	v_and_b32_e32 v0, 7, v0
; %bb.1064:                             ;   in Loop: Header=BB312_16 Depth=1
	s_or_b32 exec_lo, exec_lo, s28
	v_lshlrev_b32_e32 v2, 8, v8
	v_lshl_add_u32 v1, v1, 10, 0x2000
	v_lshlrev_b32_e32 v0, 7, v0
	v_and_b32_e32 v2, 0x8000, v2
	v_and_b32_e32 v1, 0xfc00, v1
	v_or3_b32 v69, v2, v1, v0
.LBB312_1065:                           ;   in Loop: Header=BB312_16 Depth=1
	s_or_b32 exec_lo, exec_lo, s27
.LBB312_1066:                           ;   in Loop: Header=BB312_16 Depth=1
	s_or_b32 exec_lo, exec_lo, s26
.LBB312_1067:                           ;   in Loop: Header=BB312_16 Depth=1
	s_or_b32 exec_lo, exec_lo, s25
	v_mov_b32_e32 v97, 0
	v_mov_b32_e32 v102, 0
	s_mov_b32 s25, exec_lo
	v_cmpx_lt_u32_e32 0xffffff, v31
	s_cbranch_execz .LBB312_1075
; %bb.1068:                             ;   in Loop: Header=BB312_16 Depth=1
	v_lshrrev_b32_e32 v8, 24, v31
	v_bfrev_b32_e32 v102, 1
	s_mov_b32 s26, exec_lo
	v_cmpx_ne_u32_e32 0x80, v8
	s_cbranch_execz .LBB312_1074
; %bb.1069:                             ;   in Loop: Header=BB312_16 Depth=1
	v_and_b32_e32 v2, 0x7f, v8
	v_mov_b32_e32 v102, 0x7c010000
	s_mov_b32 s27, exec_lo
	v_cmpx_ne_u32_e32 0x7f, v2
	s_cbranch_execz .LBB312_1073
; %bb.1070:                             ;   in Loop: Header=BB312_16 Depth=1
	v_and_b32_e32 v0, 7, v8
	v_lshrrev_b32_e32 v1, 3, v2
	s_mov_b32 s28, exec_lo
	v_cmpx_gt_u32_e32 8, v2
; %bb.1071:                             ;   in Loop: Header=BB312_16 Depth=1
	v_ffbh_u32_e32 v0, v0
	v_min_u32_e32 v2, 32, v0
	v_subrev_nc_u32_e32 v0, 28, v2
	v_lshlrev_b64 v[0:1], v0, v[8:9]
	v_sub_nc_u32_e32 v1, 29, v2
	v_and_b32_e32 v0, 7, v0
; %bb.1072:                             ;   in Loop: Header=BB312_16 Depth=1
	s_or_b32 exec_lo, exec_lo, s28
	v_lshlrev_b32_e32 v2, 8, v8
	v_lshl_add_u32 v1, v1, 10, 0x2000
	v_lshlrev_b32_e32 v0, 23, v0
	v_and_or_b32 v1, 0x8000, v2, v1
	v_lshl_or_b32 v102, v1, 16, v0
.LBB312_1073:                           ;   in Loop: Header=BB312_16 Depth=1
	s_or_b32 exec_lo, exec_lo, s27
.LBB312_1074:                           ;   in Loop: Header=BB312_16 Depth=1
	s_or_b32 exec_lo, exec_lo, s26
.LBB312_1075:                           ;   in Loop: Header=BB312_16 Depth=1
	s_or_b32 exec_lo, exec_lo, s25
	v_mov_b32_e32 v8, v32
	v_cmp_ne_u16_sdwa s5, v32, v9 src0_sel:BYTE_0 src1_sel:DWORD
	s_and_saveexec_b32 s25, s5
	s_cbranch_execz .LBB312_1083
; %bb.1076:                             ;   in Loop: Header=BB312_16 Depth=1
	v_cmp_ne_u16_sdwa s5, v32, v68 src0_sel:BYTE_0 src1_sel:DWORD
	v_mov_b32_e32 v97, 0x8000
	s_and_saveexec_b32 s26, s5
	s_cbranch_execz .LBB312_1082
; %bb.1077:                             ;   in Loop: Header=BB312_16 Depth=1
	v_and_b32_e32 v2, 0x7f, v32
	v_mov_b32_e32 v97, 0x7c01
	s_mov_b32 s27, exec_lo
	v_cmpx_ne_u32_e32 0x7f, v2
	s_cbranch_execz .LBB312_1081
; %bb.1078:                             ;   in Loop: Header=BB312_16 Depth=1
	v_and_b32_e32 v0, 7, v32
	v_lshrrev_b32_e32 v1, 3, v2
	s_mov_b32 s28, exec_lo
	v_cmpx_gt_u32_e32 8, v2
; %bb.1079:                             ;   in Loop: Header=BB312_16 Depth=1
	v_ffbh_u32_e32 v0, v0
	v_min_u32_e32 v2, 32, v0
	v_subrev_nc_u32_e32 v0, 28, v2
	v_lshlrev_b64 v[0:1], v0, v[8:9]
	v_sub_nc_u32_e32 v1, 29, v2
	v_and_b32_e32 v0, 7, v0
; %bb.1080:                             ;   in Loop: Header=BB312_16 Depth=1
	s_or_b32 exec_lo, exec_lo, s28
	v_lshlrev_b32_e32 v2, 8, v32
	v_lshl_add_u32 v1, v1, 10, 0x2000
	v_lshlrev_b32_e32 v0, 7, v0
	v_and_b32_e32 v2, 0x8000, v2
	v_and_b32_e32 v1, 0xfc00, v1
	v_or3_b32 v97, v2, v1, v0
.LBB312_1081:                           ;   in Loop: Header=BB312_16 Depth=1
	s_or_b32 exec_lo, exec_lo, s27
.LBB312_1082:                           ;   in Loop: Header=BB312_16 Depth=1
	s_or_b32 exec_lo, exec_lo, s26
.LBB312_1083:                           ;   in Loop: Header=BB312_16 Depth=1
	s_or_b32 exec_lo, exec_lo, s25
	v_lshrrev_b16 v8, 8, v8
	v_mov_b32_e32 v19, 0
	v_mov_b32_e32 v114, 0
	s_mov_b32 s25, exec_lo
	v_cmpx_ne_u16_e32 0, v8
	s_cbranch_execz .LBB312_1091
; %bb.1084:                             ;   in Loop: Header=BB312_16 Depth=1
	v_bfrev_b32_e32 v114, 1
	s_mov_b32 s26, exec_lo
	v_cmpx_ne_u16_e32 0x80, v8
	s_cbranch_execz .LBB312_1090
; %bb.1085:                             ;   in Loop: Header=BB312_16 Depth=1
	v_mov_b32_e32 v0, 0x7f
	v_mov_b32_e32 v114, 0x7c010000
	s_mov_b32 s27, exec_lo
	v_and_b32_sdwa v2, v8, v0 dst_sel:DWORD dst_unused:UNUSED_PAD src0_sel:WORD_0 src1_sel:DWORD
	v_cmpx_ne_u32_e32 0x7f, v2
	s_cbranch_execz .LBB312_1089
; %bb.1086:                             ;   in Loop: Header=BB312_16 Depth=1
	v_mov_b32_e32 v0, 7
	v_lshrrev_b32_e32 v1, 3, v2
	s_mov_b32 s28, exec_lo
	v_and_b32_sdwa v0, v8, v0 dst_sel:DWORD dst_unused:UNUSED_PAD src0_sel:WORD_0 src1_sel:DWORD
	v_cmpx_gt_u32_e32 8, v2
; %bb.1087:                             ;   in Loop: Header=BB312_16 Depth=1
	v_ffbh_u32_e32 v0, v0
	v_min_u32_e32 v2, 32, v0
	v_subrev_nc_u32_e32 v0, 28, v2
	v_lshlrev_b64 v[0:1], v0, v[8:9]
	v_sub_nc_u32_e32 v1, 29, v2
	v_and_b32_e32 v0, 7, v0
; %bb.1088:                             ;   in Loop: Header=BB312_16 Depth=1
	s_or_b32 exec_lo, exec_lo, s28
	v_mov_b32_e32 v2, 8
	v_lshl_add_u32 v1, v1, 10, 0x2000
	v_lshlrev_b32_e32 v0, 23, v0
	v_lshlrev_b32_sdwa v2, v2, v8 dst_sel:DWORD dst_unused:UNUSED_PAD src0_sel:DWORD src1_sel:WORD_0
	v_and_or_b32 v1, 0x8000, v2, v1
	v_lshl_or_b32 v114, v1, 16, v0
.LBB312_1089:                           ;   in Loop: Header=BB312_16 Depth=1
	s_or_b32 exec_lo, exec_lo, s27
.LBB312_1090:                           ;   in Loop: Header=BB312_16 Depth=1
	s_or_b32 exec_lo, exec_lo, s26
.LBB312_1091:                           ;   in Loop: Header=BB312_16 Depth=1
	s_or_b32 exec_lo, exec_lo, s25
	v_lshrrev_b32_e32 v8, 16, v32
	v_cmp_ne_u16_sdwa s5, v8, v9 src0_sel:BYTE_0 src1_sel:DWORD
	s_and_saveexec_b32 s25, s5
	s_cbranch_execz .LBB312_1099
; %bb.1092:                             ;   in Loop: Header=BB312_16 Depth=1
	v_cmp_ne_u16_sdwa s5, v8, v68 src0_sel:BYTE_0 src1_sel:DWORD
	v_mov_b32_e32 v19, 0x8000
	s_and_saveexec_b32 s26, s5
	s_cbranch_execz .LBB312_1098
; %bb.1093:                             ;   in Loop: Header=BB312_16 Depth=1
	v_bfe_u32 v2, v32, 16, 7
	v_mov_b32_e32 v19, 0x7c01
	s_mov_b32 s27, exec_lo
	v_cmpx_ne_u32_e32 0x7f, v2
	s_cbranch_execz .LBB312_1097
; %bb.1094:                             ;   in Loop: Header=BB312_16 Depth=1
	v_and_b32_e32 v0, 7, v8
	v_lshrrev_b32_e32 v1, 3, v2
	s_mov_b32 s28, exec_lo
	v_cmpx_gt_u32_e32 8, v2
; %bb.1095:                             ;   in Loop: Header=BB312_16 Depth=1
	v_ffbh_u32_e32 v0, v0
	v_min_u32_e32 v2, 32, v0
	v_subrev_nc_u32_e32 v0, 28, v2
	v_lshlrev_b64 v[0:1], v0, v[8:9]
	v_sub_nc_u32_e32 v1, 29, v2
	v_and_b32_e32 v0, 7, v0
; %bb.1096:                             ;   in Loop: Header=BB312_16 Depth=1
	s_or_b32 exec_lo, exec_lo, s28
	v_lshlrev_b32_e32 v2, 8, v8
	v_lshl_add_u32 v1, v1, 10, 0x2000
	v_lshlrev_b32_e32 v0, 7, v0
	v_and_b32_e32 v2, 0x8000, v2
	v_and_b32_e32 v1, 0xfc00, v1
	v_or3_b32 v19, v2, v1, v0
.LBB312_1097:                           ;   in Loop: Header=BB312_16 Depth=1
	s_or_b32 exec_lo, exec_lo, s27
.LBB312_1098:                           ;   in Loop: Header=BB312_16 Depth=1
	s_or_b32 exec_lo, exec_lo, s26
.LBB312_1099:                           ;   in Loop: Header=BB312_16 Depth=1
	s_or_b32 exec_lo, exec_lo, s25
	v_mov_b32_e32 v34, 0
	v_mov_b32_e32 v62, 0
	s_mov_b32 s25, exec_lo
	v_cmpx_lt_u64_e64 s[20:21], v[31:32]
	s_cbranch_execz .LBB312_1107
; %bb.1100:                             ;   in Loop: Header=BB312_16 Depth=1
	v_lshrrev_b32_e32 v8, 24, v32
	v_bfrev_b32_e32 v62, 1
	s_mov_b32 s26, exec_lo
	v_cmpx_ne_u32_e32 0x80, v8
	s_cbranch_execz .LBB312_1106
; %bb.1101:                             ;   in Loop: Header=BB312_16 Depth=1
	v_and_b32_e32 v2, 0x7f, v8
	v_mov_b32_e32 v62, 0x7c010000
	s_mov_b32 s27, exec_lo
	v_cmpx_ne_u32_e32 0x7f, v2
	s_cbranch_execz .LBB312_1105
; %bb.1102:                             ;   in Loop: Header=BB312_16 Depth=1
	v_and_b32_e32 v0, 7, v8
	v_lshrrev_b32_e32 v1, 3, v2
	s_mov_b32 s28, exec_lo
	v_cmpx_gt_u32_e32 8, v2
; %bb.1103:                             ;   in Loop: Header=BB312_16 Depth=1
	v_ffbh_u32_e32 v0, v0
	v_min_u32_e32 v2, 32, v0
	v_subrev_nc_u32_e32 v0, 28, v2
	v_lshlrev_b64 v[0:1], v0, v[8:9]
	v_sub_nc_u32_e32 v1, 29, v2
	v_and_b32_e32 v0, 7, v0
; %bb.1104:                             ;   in Loop: Header=BB312_16 Depth=1
	s_or_b32 exec_lo, exec_lo, s28
	v_lshlrev_b32_e32 v2, 8, v8
	v_lshl_add_u32 v1, v1, 10, 0x2000
	v_lshlrev_b32_e32 v0, 23, v0
	v_and_or_b32 v1, 0x8000, v2, v1
	v_lshl_or_b32 v62, v1, 16, v0
.LBB312_1105:                           ;   in Loop: Header=BB312_16 Depth=1
	s_or_b32 exec_lo, exec_lo, s27
.LBB312_1106:                           ;   in Loop: Header=BB312_16 Depth=1
	s_or_b32 exec_lo, exec_lo, s26
.LBB312_1107:                           ;   in Loop: Header=BB312_16 Depth=1
	s_or_b32 exec_lo, exec_lo, s25
	flat_load_dwordx2 v[31:32], v[28:29] offset:8
	s_waitcnt vmcnt(0) lgkmcnt(0)
	v_cmp_ne_u16_sdwa s5, v31, v9 src0_sel:BYTE_0 src1_sel:DWORD
	s_and_saveexec_b32 s25, s5
	s_cbranch_execz .LBB312_1115
; %bb.1108:                             ;   in Loop: Header=BB312_16 Depth=1
	v_cmp_ne_u16_sdwa s5, v31, v68 src0_sel:BYTE_0 src1_sel:DWORD
	v_mov_b32_e32 v34, 0x8000
	s_and_saveexec_b32 s26, s5
	s_cbranch_execz .LBB312_1114
; %bb.1109:                             ;   in Loop: Header=BB312_16 Depth=1
	v_and_b32_e32 v2, 0x7f, v31
	v_mov_b32_e32 v34, 0x7c01
	s_mov_b32 s27, exec_lo
	v_cmpx_ne_u32_e32 0x7f, v2
	s_cbranch_execz .LBB312_1113
; %bb.1110:                             ;   in Loop: Header=BB312_16 Depth=1
	v_and_b32_e32 v0, 7, v31
	v_lshrrev_b32_e32 v1, 3, v2
	s_mov_b32 s28, exec_lo
	v_cmpx_gt_u32_e32 8, v2
; %bb.1111:                             ;   in Loop: Header=BB312_16 Depth=1
	v_ffbh_u32_e32 v0, v0
	v_min_u32_e32 v2, 32, v0
	v_subrev_nc_u32_e32 v0, 28, v2
	v_lshlrev_b64 v[0:1], v0, v[31:32]
	v_sub_nc_u32_e32 v1, 29, v2
	v_and_b32_e32 v0, 7, v0
; %bb.1112:                             ;   in Loop: Header=BB312_16 Depth=1
	s_or_b32 exec_lo, exec_lo, s28
	v_lshlrev_b32_e32 v2, 8, v31
	v_lshl_add_u32 v1, v1, 10, 0x2000
	v_lshlrev_b32_e32 v0, 7, v0
	v_and_b32_e32 v2, 0x8000, v2
	v_and_b32_e32 v1, 0xfc00, v1
	v_or3_b32 v34, v2, v1, v0
.LBB312_1113:                           ;   in Loop: Header=BB312_16 Depth=1
	s_or_b32 exec_lo, exec_lo, s27
.LBB312_1114:                           ;   in Loop: Header=BB312_16 Depth=1
	s_or_b32 exec_lo, exec_lo, s26
.LBB312_1115:                           ;   in Loop: Header=BB312_16 Depth=1
	s_or_b32 exec_lo, exec_lo, s25
	v_lshrrev_b16 v8, 8, v31
	v_mov_b32_e32 v103, 0
	v_mov_b32_e32 v50, 0
	s_mov_b32 s25, exec_lo
	v_cmpx_ne_u16_e32 0, v8
	s_cbranch_execz .LBB312_1123
; %bb.1116:                             ;   in Loop: Header=BB312_16 Depth=1
	v_bfrev_b32_e32 v50, 1
	s_mov_b32 s26, exec_lo
	v_cmpx_ne_u16_e32 0x80, v8
	s_cbranch_execz .LBB312_1122
; %bb.1117:                             ;   in Loop: Header=BB312_16 Depth=1
	v_mov_b32_e32 v0, 0x7f
	v_mov_b32_e32 v50, 0x7c010000
	s_mov_b32 s27, exec_lo
	v_and_b32_sdwa v2, v8, v0 dst_sel:DWORD dst_unused:UNUSED_PAD src0_sel:WORD_0 src1_sel:DWORD
	v_cmpx_ne_u32_e32 0x7f, v2
	s_cbranch_execz .LBB312_1121
; %bb.1118:                             ;   in Loop: Header=BB312_16 Depth=1
	v_mov_b32_e32 v0, 7
	v_lshrrev_b32_e32 v1, 3, v2
	s_mov_b32 s28, exec_lo
	v_and_b32_sdwa v0, v8, v0 dst_sel:DWORD dst_unused:UNUSED_PAD src0_sel:WORD_0 src1_sel:DWORD
	v_cmpx_gt_u32_e32 8, v2
; %bb.1119:                             ;   in Loop: Header=BB312_16 Depth=1
	v_ffbh_u32_e32 v0, v0
	v_min_u32_e32 v2, 32, v0
	v_subrev_nc_u32_e32 v0, 28, v2
	v_lshlrev_b64 v[0:1], v0, v[8:9]
	v_sub_nc_u32_e32 v1, 29, v2
	v_and_b32_e32 v0, 7, v0
; %bb.1120:                             ;   in Loop: Header=BB312_16 Depth=1
	s_or_b32 exec_lo, exec_lo, s28
	v_mov_b32_e32 v2, 8
	v_lshl_add_u32 v1, v1, 10, 0x2000
	v_lshlrev_b32_e32 v0, 23, v0
	v_lshlrev_b32_sdwa v2, v2, v8 dst_sel:DWORD dst_unused:UNUSED_PAD src0_sel:DWORD src1_sel:WORD_0
	v_and_or_b32 v1, 0x8000, v2, v1
	v_lshl_or_b32 v50, v1, 16, v0
.LBB312_1121:                           ;   in Loop: Header=BB312_16 Depth=1
	s_or_b32 exec_lo, exec_lo, s27
.LBB312_1122:                           ;   in Loop: Header=BB312_16 Depth=1
	s_or_b32 exec_lo, exec_lo, s26
.LBB312_1123:                           ;   in Loop: Header=BB312_16 Depth=1
	s_or_b32 exec_lo, exec_lo, s25
	v_lshrrev_b32_e32 v8, 16, v31
	v_cmp_ne_u16_sdwa s5, v8, v9 src0_sel:BYTE_0 src1_sel:DWORD
	s_and_saveexec_b32 s25, s5
	s_cbranch_execz .LBB312_1131
; %bb.1124:                             ;   in Loop: Header=BB312_16 Depth=1
	v_cmp_ne_u16_sdwa s5, v8, v68 src0_sel:BYTE_0 src1_sel:DWORD
	v_mov_b32_e32 v103, 0x8000
	s_and_saveexec_b32 s26, s5
	s_cbranch_execz .LBB312_1130
; %bb.1125:                             ;   in Loop: Header=BB312_16 Depth=1
	v_bfe_u32 v2, v31, 16, 7
	v_mov_b32_e32 v103, 0x7c01
	s_mov_b32 s27, exec_lo
	v_cmpx_ne_u32_e32 0x7f, v2
	s_cbranch_execz .LBB312_1129
; %bb.1126:                             ;   in Loop: Header=BB312_16 Depth=1
	v_and_b32_e32 v0, 7, v8
	v_lshrrev_b32_e32 v1, 3, v2
	s_mov_b32 s28, exec_lo
	v_cmpx_gt_u32_e32 8, v2
; %bb.1127:                             ;   in Loop: Header=BB312_16 Depth=1
	v_ffbh_u32_e32 v0, v0
	v_min_u32_e32 v2, 32, v0
	v_subrev_nc_u32_e32 v0, 28, v2
	v_lshlrev_b64 v[0:1], v0, v[8:9]
	v_sub_nc_u32_e32 v1, 29, v2
	v_and_b32_e32 v0, 7, v0
; %bb.1128:                             ;   in Loop: Header=BB312_16 Depth=1
	s_or_b32 exec_lo, exec_lo, s28
	v_lshlrev_b32_e32 v2, 8, v8
	v_lshl_add_u32 v1, v1, 10, 0x2000
	v_lshlrev_b32_e32 v0, 7, v0
	v_and_b32_e32 v2, 0x8000, v2
	v_and_b32_e32 v1, 0xfc00, v1
	v_or3_b32 v103, v2, v1, v0
.LBB312_1129:                           ;   in Loop: Header=BB312_16 Depth=1
	s_or_b32 exec_lo, exec_lo, s27
.LBB312_1130:                           ;   in Loop: Header=BB312_16 Depth=1
	s_or_b32 exec_lo, exec_lo, s26
.LBB312_1131:                           ;   in Loop: Header=BB312_16 Depth=1
	s_or_b32 exec_lo, exec_lo, s25
	v_mov_b32_e32 v113, 0
	v_mov_b32_e32 v63, 0
	s_mov_b32 s25, exec_lo
	v_cmpx_lt_u32_e32 0xffffff, v31
	s_cbranch_execz .LBB312_1139
; %bb.1132:                             ;   in Loop: Header=BB312_16 Depth=1
	v_lshrrev_b32_e32 v8, 24, v31
	v_bfrev_b32_e32 v63, 1
	s_mov_b32 s26, exec_lo
	v_cmpx_ne_u32_e32 0x80, v8
	s_cbranch_execz .LBB312_1138
; %bb.1133:                             ;   in Loop: Header=BB312_16 Depth=1
	v_and_b32_e32 v2, 0x7f, v8
	v_mov_b32_e32 v63, 0x7c010000
	s_mov_b32 s27, exec_lo
	v_cmpx_ne_u32_e32 0x7f, v2
	s_cbranch_execz .LBB312_1137
; %bb.1134:                             ;   in Loop: Header=BB312_16 Depth=1
	v_and_b32_e32 v0, 7, v8
	v_lshrrev_b32_e32 v1, 3, v2
	s_mov_b32 s28, exec_lo
	v_cmpx_gt_u32_e32 8, v2
; %bb.1135:                             ;   in Loop: Header=BB312_16 Depth=1
	v_ffbh_u32_e32 v0, v0
	v_min_u32_e32 v2, 32, v0
	v_subrev_nc_u32_e32 v0, 28, v2
	v_lshlrev_b64 v[0:1], v0, v[8:9]
	v_sub_nc_u32_e32 v1, 29, v2
	v_and_b32_e32 v0, 7, v0
; %bb.1136:                             ;   in Loop: Header=BB312_16 Depth=1
	s_or_b32 exec_lo, exec_lo, s28
	v_lshlrev_b32_e32 v2, 8, v8
	v_lshl_add_u32 v1, v1, 10, 0x2000
	v_lshlrev_b32_e32 v0, 23, v0
	v_and_or_b32 v1, 0x8000, v2, v1
	v_lshl_or_b32 v63, v1, 16, v0
.LBB312_1137:                           ;   in Loop: Header=BB312_16 Depth=1
	s_or_b32 exec_lo, exec_lo, s27
.LBB312_1138:                           ;   in Loop: Header=BB312_16 Depth=1
	s_or_b32 exec_lo, exec_lo, s26
.LBB312_1139:                           ;   in Loop: Header=BB312_16 Depth=1
	s_or_b32 exec_lo, exec_lo, s25
	v_mov_b32_e32 v8, v32
	v_cmp_ne_u16_sdwa s5, v32, v9 src0_sel:BYTE_0 src1_sel:DWORD
	s_and_saveexec_b32 s25, s5
	s_cbranch_execz .LBB312_1147
; %bb.1140:                             ;   in Loop: Header=BB312_16 Depth=1
	v_cmp_ne_u16_sdwa s5, v32, v68 src0_sel:BYTE_0 src1_sel:DWORD
	v_mov_b32_e32 v113, 0x8000
	s_and_saveexec_b32 s26, s5
	s_cbranch_execz .LBB312_1146
; %bb.1141:                             ;   in Loop: Header=BB312_16 Depth=1
	v_and_b32_e32 v2, 0x7f, v32
	v_mov_b32_e32 v113, 0x7c01
	s_mov_b32 s27, exec_lo
	v_cmpx_ne_u32_e32 0x7f, v2
	s_cbranch_execz .LBB312_1145
; %bb.1142:                             ;   in Loop: Header=BB312_16 Depth=1
	v_and_b32_e32 v0, 7, v32
	v_lshrrev_b32_e32 v1, 3, v2
	s_mov_b32 s28, exec_lo
	v_cmpx_gt_u32_e32 8, v2
; %bb.1143:                             ;   in Loop: Header=BB312_16 Depth=1
	v_ffbh_u32_e32 v0, v0
	v_min_u32_e32 v2, 32, v0
	v_subrev_nc_u32_e32 v0, 28, v2
	v_lshlrev_b64 v[0:1], v0, v[8:9]
	v_sub_nc_u32_e32 v1, 29, v2
	v_and_b32_e32 v0, 7, v0
; %bb.1144:                             ;   in Loop: Header=BB312_16 Depth=1
	s_or_b32 exec_lo, exec_lo, s28
	v_lshlrev_b32_e32 v2, 8, v32
	v_lshl_add_u32 v1, v1, 10, 0x2000
	v_lshlrev_b32_e32 v0, 7, v0
	v_and_b32_e32 v2, 0x8000, v2
	v_and_b32_e32 v1, 0xfc00, v1
	v_or3_b32 v113, v2, v1, v0
.LBB312_1145:                           ;   in Loop: Header=BB312_16 Depth=1
	s_or_b32 exec_lo, exec_lo, s27
.LBB312_1146:                           ;   in Loop: Header=BB312_16 Depth=1
	s_or_b32 exec_lo, exec_lo, s26
.LBB312_1147:                           ;   in Loop: Header=BB312_16 Depth=1
	s_or_b32 exec_lo, exec_lo, s25
	v_lshrrev_b16 v8, 8, v8
	v_mov_b32_e32 v115, 0
	v_mov_b32_e32 v89, 0
	s_mov_b32 s25, exec_lo
	v_cmpx_ne_u16_e32 0, v8
	s_cbranch_execz .LBB312_1155
; %bb.1148:                             ;   in Loop: Header=BB312_16 Depth=1
	v_bfrev_b32_e32 v89, 1
	s_mov_b32 s26, exec_lo
	v_cmpx_ne_u16_e32 0x80, v8
	s_cbranch_execz .LBB312_1154
; %bb.1149:                             ;   in Loop: Header=BB312_16 Depth=1
	v_mov_b32_e32 v0, 0x7f
	v_mov_b32_e32 v89, 0x7c010000
	s_mov_b32 s27, exec_lo
	v_and_b32_sdwa v2, v8, v0 dst_sel:DWORD dst_unused:UNUSED_PAD src0_sel:WORD_0 src1_sel:DWORD
	v_cmpx_ne_u32_e32 0x7f, v2
	s_cbranch_execz .LBB312_1153
; %bb.1150:                             ;   in Loop: Header=BB312_16 Depth=1
	v_mov_b32_e32 v0, 7
	v_lshrrev_b32_e32 v1, 3, v2
	s_mov_b32 s28, exec_lo
	v_and_b32_sdwa v0, v8, v0 dst_sel:DWORD dst_unused:UNUSED_PAD src0_sel:WORD_0 src1_sel:DWORD
	v_cmpx_gt_u32_e32 8, v2
; %bb.1151:                             ;   in Loop: Header=BB312_16 Depth=1
	v_ffbh_u32_e32 v0, v0
	v_min_u32_e32 v2, 32, v0
	v_subrev_nc_u32_e32 v0, 28, v2
	v_lshlrev_b64 v[0:1], v0, v[8:9]
	v_sub_nc_u32_e32 v1, 29, v2
	v_and_b32_e32 v0, 7, v0
; %bb.1152:                             ;   in Loop: Header=BB312_16 Depth=1
	s_or_b32 exec_lo, exec_lo, s28
	v_mov_b32_e32 v2, 8
	v_lshl_add_u32 v1, v1, 10, 0x2000
	v_lshlrev_b32_e32 v0, 23, v0
	v_lshlrev_b32_sdwa v2, v2, v8 dst_sel:DWORD dst_unused:UNUSED_PAD src0_sel:DWORD src1_sel:WORD_0
	v_and_or_b32 v1, 0x8000, v2, v1
	v_lshl_or_b32 v89, v1, 16, v0
.LBB312_1153:                           ;   in Loop: Header=BB312_16 Depth=1
	s_or_b32 exec_lo, exec_lo, s27
.LBB312_1154:                           ;   in Loop: Header=BB312_16 Depth=1
	s_or_b32 exec_lo, exec_lo, s26
.LBB312_1155:                           ;   in Loop: Header=BB312_16 Depth=1
	s_or_b32 exec_lo, exec_lo, s25
	v_lshrrev_b32_e32 v8, 16, v32
	v_cmp_ne_u16_sdwa s5, v8, v9 src0_sel:BYTE_0 src1_sel:DWORD
	s_and_saveexec_b32 s25, s5
	s_cbranch_execz .LBB312_1163
; %bb.1156:                             ;   in Loop: Header=BB312_16 Depth=1
	v_cmp_ne_u16_sdwa s5, v8, v68 src0_sel:BYTE_0 src1_sel:DWORD
	v_mov_b32_e32 v115, 0x8000
	s_and_saveexec_b32 s26, s5
	s_cbranch_execz .LBB312_1162
; %bb.1157:                             ;   in Loop: Header=BB312_16 Depth=1
	v_bfe_u32 v2, v32, 16, 7
	v_mov_b32_e32 v115, 0x7c01
	s_mov_b32 s27, exec_lo
	v_cmpx_ne_u32_e32 0x7f, v2
	s_cbranch_execz .LBB312_1161
; %bb.1158:                             ;   in Loop: Header=BB312_16 Depth=1
	v_and_b32_e32 v0, 7, v8
	v_lshrrev_b32_e32 v1, 3, v2
	s_mov_b32 s28, exec_lo
	v_cmpx_gt_u32_e32 8, v2
; %bb.1159:                             ;   in Loop: Header=BB312_16 Depth=1
	v_ffbh_u32_e32 v0, v0
	v_min_u32_e32 v2, 32, v0
	v_subrev_nc_u32_e32 v0, 28, v2
	v_lshlrev_b64 v[0:1], v0, v[8:9]
	v_sub_nc_u32_e32 v1, 29, v2
	v_and_b32_e32 v0, 7, v0
; %bb.1160:                             ;   in Loop: Header=BB312_16 Depth=1
	s_or_b32 exec_lo, exec_lo, s28
	v_lshlrev_b32_e32 v2, 8, v8
	v_lshl_add_u32 v1, v1, 10, 0x2000
	v_lshlrev_b32_e32 v0, 7, v0
	v_and_b32_e32 v2, 0x8000, v2
	v_and_b32_e32 v1, 0xfc00, v1
	v_or3_b32 v115, v2, v1, v0
.LBB312_1161:                           ;   in Loop: Header=BB312_16 Depth=1
	s_or_b32 exec_lo, exec_lo, s27
.LBB312_1162:                           ;   in Loop: Header=BB312_16 Depth=1
	s_or_b32 exec_lo, exec_lo, s26
.LBB312_1163:                           ;   in Loop: Header=BB312_16 Depth=1
	s_or_b32 exec_lo, exec_lo, s25
	v_mov_b32_e32 v76, 0
	v_mov_b32_e32 v73, 0
	s_mov_b32 s25, exec_lo
	v_cmpx_lt_u64_e64 s[20:21], v[31:32]
	s_cbranch_execz .LBB312_1171
; %bb.1164:                             ;   in Loop: Header=BB312_16 Depth=1
	v_lshrrev_b32_e32 v8, 24, v32
	v_bfrev_b32_e32 v73, 1
	s_mov_b32 s26, exec_lo
	v_cmpx_ne_u32_e32 0x80, v8
	s_cbranch_execz .LBB312_1170
; %bb.1165:                             ;   in Loop: Header=BB312_16 Depth=1
	v_and_b32_e32 v2, 0x7f, v8
	v_mov_b32_e32 v73, 0x7c010000
	s_mov_b32 s27, exec_lo
	v_cmpx_ne_u32_e32 0x7f, v2
	s_cbranch_execz .LBB312_1169
; %bb.1166:                             ;   in Loop: Header=BB312_16 Depth=1
	v_and_b32_e32 v0, 7, v8
	v_lshrrev_b32_e32 v1, 3, v2
	s_mov_b32 s28, exec_lo
	v_cmpx_gt_u32_e32 8, v2
; %bb.1167:                             ;   in Loop: Header=BB312_16 Depth=1
	v_ffbh_u32_e32 v0, v0
	v_min_u32_e32 v2, 32, v0
	v_subrev_nc_u32_e32 v0, 28, v2
	v_lshlrev_b64 v[0:1], v0, v[8:9]
	v_sub_nc_u32_e32 v1, 29, v2
	v_and_b32_e32 v0, 7, v0
; %bb.1168:                             ;   in Loop: Header=BB312_16 Depth=1
	s_or_b32 exec_lo, exec_lo, s28
	v_lshlrev_b32_e32 v2, 8, v8
	v_lshl_add_u32 v1, v1, 10, 0x2000
	v_lshlrev_b32_e32 v0, 23, v0
	v_and_or_b32 v1, 0x8000, v2, v1
	v_lshl_or_b32 v73, v1, 16, v0
.LBB312_1169:                           ;   in Loop: Header=BB312_16 Depth=1
	s_or_b32 exec_lo, exec_lo, s27
.LBB312_1170:                           ;   in Loop: Header=BB312_16 Depth=1
	s_or_b32 exec_lo, exec_lo, s26
.LBB312_1171:                           ;   in Loop: Header=BB312_16 Depth=1
	s_or_b32 exec_lo, exec_lo, s25
	flat_load_dwordx2 v[31:32], v[28:29] offset:512
	s_waitcnt vmcnt(0) lgkmcnt(0)
	v_cmp_ne_u16_sdwa s5, v31, v9 src0_sel:BYTE_0 src1_sel:DWORD
	s_and_saveexec_b32 s25, s5
	s_cbranch_execz .LBB312_1179
; %bb.1172:                             ;   in Loop: Header=BB312_16 Depth=1
	v_cmp_ne_u16_sdwa s5, v31, v68 src0_sel:BYTE_0 src1_sel:DWORD
	v_mov_b32_e32 v76, 0x8000
	s_and_saveexec_b32 s26, s5
	s_cbranch_execz .LBB312_1178
; %bb.1173:                             ;   in Loop: Header=BB312_16 Depth=1
	v_and_b32_e32 v2, 0x7f, v31
	v_mov_b32_e32 v76, 0x7c01
	s_mov_b32 s27, exec_lo
	v_cmpx_ne_u32_e32 0x7f, v2
	s_cbranch_execz .LBB312_1177
; %bb.1174:                             ;   in Loop: Header=BB312_16 Depth=1
	v_and_b32_e32 v0, 7, v31
	v_lshrrev_b32_e32 v1, 3, v2
	s_mov_b32 s28, exec_lo
	v_cmpx_gt_u32_e32 8, v2
; %bb.1175:                             ;   in Loop: Header=BB312_16 Depth=1
	v_ffbh_u32_e32 v0, v0
	v_min_u32_e32 v2, 32, v0
	v_subrev_nc_u32_e32 v0, 28, v2
	v_lshlrev_b64 v[0:1], v0, v[31:32]
	v_sub_nc_u32_e32 v1, 29, v2
	v_and_b32_e32 v0, 7, v0
; %bb.1176:                             ;   in Loop: Header=BB312_16 Depth=1
	s_or_b32 exec_lo, exec_lo, s28
	v_lshlrev_b32_e32 v2, 8, v31
	v_lshl_add_u32 v1, v1, 10, 0x2000
	v_lshlrev_b32_e32 v0, 7, v0
	v_and_b32_e32 v2, 0x8000, v2
	v_and_b32_e32 v1, 0xfc00, v1
	v_or3_b32 v76, v2, v1, v0
.LBB312_1177:                           ;   in Loop: Header=BB312_16 Depth=1
	s_or_b32 exec_lo, exec_lo, s27
.LBB312_1178:                           ;   in Loop: Header=BB312_16 Depth=1
	s_or_b32 exec_lo, exec_lo, s26
.LBB312_1179:                           ;   in Loop: Header=BB312_16 Depth=1
	s_or_b32 exec_lo, exec_lo, s25
	v_lshrrev_b16 v8, 8, v31
	v_mov_b32_e32 v95, 0
	v_mov_b32_e32 v94, 0
	s_mov_b32 s25, exec_lo
	v_cmpx_ne_u16_e32 0, v8
	s_cbranch_execz .LBB312_1187
; %bb.1180:                             ;   in Loop: Header=BB312_16 Depth=1
	v_bfrev_b32_e32 v94, 1
	s_mov_b32 s26, exec_lo
	v_cmpx_ne_u16_e32 0x80, v8
	s_cbranch_execz .LBB312_1186
; %bb.1181:                             ;   in Loop: Header=BB312_16 Depth=1
	v_mov_b32_e32 v0, 0x7f
	v_mov_b32_e32 v94, 0x7c010000
	s_mov_b32 s27, exec_lo
	v_and_b32_sdwa v2, v8, v0 dst_sel:DWORD dst_unused:UNUSED_PAD src0_sel:WORD_0 src1_sel:DWORD
	v_cmpx_ne_u32_e32 0x7f, v2
	s_cbranch_execz .LBB312_1185
; %bb.1182:                             ;   in Loop: Header=BB312_16 Depth=1
	v_mov_b32_e32 v0, 7
	v_lshrrev_b32_e32 v1, 3, v2
	s_mov_b32 s28, exec_lo
	v_and_b32_sdwa v0, v8, v0 dst_sel:DWORD dst_unused:UNUSED_PAD src0_sel:WORD_0 src1_sel:DWORD
	v_cmpx_gt_u32_e32 8, v2
; %bb.1183:                             ;   in Loop: Header=BB312_16 Depth=1
	v_ffbh_u32_e32 v0, v0
	v_min_u32_e32 v2, 32, v0
	v_subrev_nc_u32_e32 v0, 28, v2
	v_lshlrev_b64 v[0:1], v0, v[8:9]
	v_sub_nc_u32_e32 v1, 29, v2
	v_and_b32_e32 v0, 7, v0
; %bb.1184:                             ;   in Loop: Header=BB312_16 Depth=1
	s_or_b32 exec_lo, exec_lo, s28
	v_mov_b32_e32 v2, 8
	v_lshl_add_u32 v1, v1, 10, 0x2000
	v_lshlrev_b32_e32 v0, 23, v0
	v_lshlrev_b32_sdwa v2, v2, v8 dst_sel:DWORD dst_unused:UNUSED_PAD src0_sel:DWORD src1_sel:WORD_0
	v_and_or_b32 v1, 0x8000, v2, v1
	v_lshl_or_b32 v94, v1, 16, v0
.LBB312_1185:                           ;   in Loop: Header=BB312_16 Depth=1
	s_or_b32 exec_lo, exec_lo, s27
.LBB312_1186:                           ;   in Loop: Header=BB312_16 Depth=1
	s_or_b32 exec_lo, exec_lo, s26
.LBB312_1187:                           ;   in Loop: Header=BB312_16 Depth=1
	s_or_b32 exec_lo, exec_lo, s25
	v_lshrrev_b32_e32 v8, 16, v31
	v_cmp_ne_u16_sdwa s5, v8, v9 src0_sel:BYTE_0 src1_sel:DWORD
	s_and_saveexec_b32 s25, s5
	s_cbranch_execz .LBB312_1195
; %bb.1188:                             ;   in Loop: Header=BB312_16 Depth=1
	v_cmp_ne_u16_sdwa s5, v8, v68 src0_sel:BYTE_0 src1_sel:DWORD
	v_mov_b32_e32 v95, 0x8000
	s_and_saveexec_b32 s26, s5
	s_cbranch_execz .LBB312_1194
; %bb.1189:                             ;   in Loop: Header=BB312_16 Depth=1
	v_bfe_u32 v2, v31, 16, 7
	v_mov_b32_e32 v95, 0x7c01
	s_mov_b32 s27, exec_lo
	v_cmpx_ne_u32_e32 0x7f, v2
	s_cbranch_execz .LBB312_1193
; %bb.1190:                             ;   in Loop: Header=BB312_16 Depth=1
	v_and_b32_e32 v0, 7, v8
	v_lshrrev_b32_e32 v1, 3, v2
	s_mov_b32 s28, exec_lo
	v_cmpx_gt_u32_e32 8, v2
; %bb.1191:                             ;   in Loop: Header=BB312_16 Depth=1
	v_ffbh_u32_e32 v0, v0
	v_min_u32_e32 v2, 32, v0
	v_subrev_nc_u32_e32 v0, 28, v2
	v_lshlrev_b64 v[0:1], v0, v[8:9]
	v_sub_nc_u32_e32 v1, 29, v2
	v_and_b32_e32 v0, 7, v0
; %bb.1192:                             ;   in Loop: Header=BB312_16 Depth=1
	s_or_b32 exec_lo, exec_lo, s28
	v_lshlrev_b32_e32 v2, 8, v8
	v_lshl_add_u32 v1, v1, 10, 0x2000
	v_lshlrev_b32_e32 v0, 7, v0
	v_and_b32_e32 v2, 0x8000, v2
	v_and_b32_e32 v1, 0xfc00, v1
	v_or3_b32 v95, v2, v1, v0
.LBB312_1193:                           ;   in Loop: Header=BB312_16 Depth=1
	s_or_b32 exec_lo, exec_lo, s27
.LBB312_1194:                           ;   in Loop: Header=BB312_16 Depth=1
	s_or_b32 exec_lo, exec_lo, s26
.LBB312_1195:                           ;   in Loop: Header=BB312_16 Depth=1
	s_or_b32 exec_lo, exec_lo, s25
	v_mov_b32_e32 v117, 0
	v_mov_b32_e32 v105, 0
	s_mov_b32 s25, exec_lo
	v_cmpx_lt_u32_e32 0xffffff, v31
	s_cbranch_execz .LBB312_1203
; %bb.1196:                             ;   in Loop: Header=BB312_16 Depth=1
	v_lshrrev_b32_e32 v8, 24, v31
	v_bfrev_b32_e32 v105, 1
	s_mov_b32 s26, exec_lo
	v_cmpx_ne_u32_e32 0x80, v8
	s_cbranch_execz .LBB312_1202
; %bb.1197:                             ;   in Loop: Header=BB312_16 Depth=1
	v_and_b32_e32 v2, 0x7f, v8
	v_mov_b32_e32 v105, 0x7c010000
	s_mov_b32 s27, exec_lo
	v_cmpx_ne_u32_e32 0x7f, v2
	s_cbranch_execz .LBB312_1201
; %bb.1198:                             ;   in Loop: Header=BB312_16 Depth=1
	v_and_b32_e32 v0, 7, v8
	v_lshrrev_b32_e32 v1, 3, v2
	s_mov_b32 s28, exec_lo
	v_cmpx_gt_u32_e32 8, v2
; %bb.1199:                             ;   in Loop: Header=BB312_16 Depth=1
	v_ffbh_u32_e32 v0, v0
	v_min_u32_e32 v2, 32, v0
	v_subrev_nc_u32_e32 v0, 28, v2
	v_lshlrev_b64 v[0:1], v0, v[8:9]
	v_sub_nc_u32_e32 v1, 29, v2
	v_and_b32_e32 v0, 7, v0
; %bb.1200:                             ;   in Loop: Header=BB312_16 Depth=1
	s_or_b32 exec_lo, exec_lo, s28
	v_lshlrev_b32_e32 v2, 8, v8
	v_lshl_add_u32 v1, v1, 10, 0x2000
	v_lshlrev_b32_e32 v0, 23, v0
	v_and_or_b32 v1, 0x8000, v2, v1
	v_lshl_or_b32 v105, v1, 16, v0
.LBB312_1201:                           ;   in Loop: Header=BB312_16 Depth=1
	s_or_b32 exec_lo, exec_lo, s27
.LBB312_1202:                           ;   in Loop: Header=BB312_16 Depth=1
	s_or_b32 exec_lo, exec_lo, s26
.LBB312_1203:                           ;   in Loop: Header=BB312_16 Depth=1
	s_or_b32 exec_lo, exec_lo, s25
	v_mov_b32_e32 v8, v32
	v_cmp_ne_u16_sdwa s5, v32, v9 src0_sel:BYTE_0 src1_sel:DWORD
	s_and_saveexec_b32 s25, s5
	s_cbranch_execz .LBB312_1211
; %bb.1204:                             ;   in Loop: Header=BB312_16 Depth=1
	v_cmp_ne_u16_sdwa s5, v32, v68 src0_sel:BYTE_0 src1_sel:DWORD
	v_mov_b32_e32 v117, 0x8000
	s_and_saveexec_b32 s26, s5
	s_cbranch_execz .LBB312_1210
; %bb.1205:                             ;   in Loop: Header=BB312_16 Depth=1
	v_and_b32_e32 v2, 0x7f, v32
	v_mov_b32_e32 v117, 0x7c01
	s_mov_b32 s27, exec_lo
	v_cmpx_ne_u32_e32 0x7f, v2
	s_cbranch_execz .LBB312_1209
; %bb.1206:                             ;   in Loop: Header=BB312_16 Depth=1
	v_and_b32_e32 v0, 7, v32
	v_lshrrev_b32_e32 v1, 3, v2
	s_mov_b32 s28, exec_lo
	v_cmpx_gt_u32_e32 8, v2
; %bb.1207:                             ;   in Loop: Header=BB312_16 Depth=1
	v_ffbh_u32_e32 v0, v0
	v_min_u32_e32 v2, 32, v0
	v_subrev_nc_u32_e32 v0, 28, v2
	v_lshlrev_b64 v[0:1], v0, v[8:9]
	v_sub_nc_u32_e32 v1, 29, v2
	v_and_b32_e32 v0, 7, v0
; %bb.1208:                             ;   in Loop: Header=BB312_16 Depth=1
	s_or_b32 exec_lo, exec_lo, s28
	v_lshlrev_b32_e32 v2, 8, v32
	v_lshl_add_u32 v1, v1, 10, 0x2000
	v_lshlrev_b32_e32 v0, 7, v0
	v_and_b32_e32 v2, 0x8000, v2
	v_and_b32_e32 v1, 0xfc00, v1
	v_or3_b32 v117, v2, v1, v0
.LBB312_1209:                           ;   in Loop: Header=BB312_16 Depth=1
	s_or_b32 exec_lo, exec_lo, s27
.LBB312_1210:                           ;   in Loop: Header=BB312_16 Depth=1
	s_or_b32 exec_lo, exec_lo, s26
.LBB312_1211:                           ;   in Loop: Header=BB312_16 Depth=1
	s_or_b32 exec_lo, exec_lo, s25
	v_lshrrev_b16 v8, 8, v8
	v_mov_b32_e32 v111, 0
	v_mov_b32_e32 v121, 0
	s_mov_b32 s25, exec_lo
	v_cmpx_ne_u16_e32 0, v8
	s_cbranch_execz .LBB312_1219
; %bb.1212:                             ;   in Loop: Header=BB312_16 Depth=1
	v_bfrev_b32_e32 v121, 1
	s_mov_b32 s26, exec_lo
	v_cmpx_ne_u16_e32 0x80, v8
	s_cbranch_execz .LBB312_1218
; %bb.1213:                             ;   in Loop: Header=BB312_16 Depth=1
	v_mov_b32_e32 v0, 0x7f
	v_mov_b32_e32 v121, 0x7c010000
	s_mov_b32 s27, exec_lo
	v_and_b32_sdwa v2, v8, v0 dst_sel:DWORD dst_unused:UNUSED_PAD src0_sel:WORD_0 src1_sel:DWORD
	v_cmpx_ne_u32_e32 0x7f, v2
	s_cbranch_execz .LBB312_1217
; %bb.1214:                             ;   in Loop: Header=BB312_16 Depth=1
	v_mov_b32_e32 v0, 7
	v_lshrrev_b32_e32 v1, 3, v2
	s_mov_b32 s28, exec_lo
	v_and_b32_sdwa v0, v8, v0 dst_sel:DWORD dst_unused:UNUSED_PAD src0_sel:WORD_0 src1_sel:DWORD
	v_cmpx_gt_u32_e32 8, v2
; %bb.1215:                             ;   in Loop: Header=BB312_16 Depth=1
	v_ffbh_u32_e32 v0, v0
	v_min_u32_e32 v2, 32, v0
	v_subrev_nc_u32_e32 v0, 28, v2
	v_lshlrev_b64 v[0:1], v0, v[8:9]
	v_sub_nc_u32_e32 v1, 29, v2
	v_and_b32_e32 v0, 7, v0
; %bb.1216:                             ;   in Loop: Header=BB312_16 Depth=1
	s_or_b32 exec_lo, exec_lo, s28
	v_mov_b32_e32 v2, 8
	v_lshl_add_u32 v1, v1, 10, 0x2000
	v_lshlrev_b32_e32 v0, 23, v0
	v_lshlrev_b32_sdwa v2, v2, v8 dst_sel:DWORD dst_unused:UNUSED_PAD src0_sel:DWORD src1_sel:WORD_0
	v_and_or_b32 v1, 0x8000, v2, v1
	v_lshl_or_b32 v121, v1, 16, v0
.LBB312_1217:                           ;   in Loop: Header=BB312_16 Depth=1
	s_or_b32 exec_lo, exec_lo, s27
.LBB312_1218:                           ;   in Loop: Header=BB312_16 Depth=1
	s_or_b32 exec_lo, exec_lo, s26
.LBB312_1219:                           ;   in Loop: Header=BB312_16 Depth=1
	s_or_b32 exec_lo, exec_lo, s25
	v_lshrrev_b32_e32 v8, 16, v32
	v_cmp_ne_u16_sdwa s5, v8, v9 src0_sel:BYTE_0 src1_sel:DWORD
	s_and_saveexec_b32 s25, s5
	s_cbranch_execz .LBB312_1227
; %bb.1220:                             ;   in Loop: Header=BB312_16 Depth=1
	v_cmp_ne_u16_sdwa s5, v8, v68 src0_sel:BYTE_0 src1_sel:DWORD
	v_mov_b32_e32 v111, 0x8000
	s_and_saveexec_b32 s26, s5
	s_cbranch_execz .LBB312_1226
; %bb.1221:                             ;   in Loop: Header=BB312_16 Depth=1
	v_bfe_u32 v2, v32, 16, 7
	v_mov_b32_e32 v111, 0x7c01
	s_mov_b32 s27, exec_lo
	v_cmpx_ne_u32_e32 0x7f, v2
	s_cbranch_execz .LBB312_1225
; %bb.1222:                             ;   in Loop: Header=BB312_16 Depth=1
	v_and_b32_e32 v0, 7, v8
	v_lshrrev_b32_e32 v1, 3, v2
	s_mov_b32 s28, exec_lo
	v_cmpx_gt_u32_e32 8, v2
; %bb.1223:                             ;   in Loop: Header=BB312_16 Depth=1
	v_ffbh_u32_e32 v0, v0
	v_min_u32_e32 v2, 32, v0
	v_subrev_nc_u32_e32 v0, 28, v2
	v_lshlrev_b64 v[0:1], v0, v[8:9]
	v_sub_nc_u32_e32 v1, 29, v2
	v_and_b32_e32 v0, 7, v0
; %bb.1224:                             ;   in Loop: Header=BB312_16 Depth=1
	s_or_b32 exec_lo, exec_lo, s28
	v_lshlrev_b32_e32 v2, 8, v8
	v_lshl_add_u32 v1, v1, 10, 0x2000
	v_lshlrev_b32_e32 v0, 7, v0
	v_and_b32_e32 v2, 0x8000, v2
	v_and_b32_e32 v1, 0xfc00, v1
	v_or3_b32 v111, v2, v1, v0
.LBB312_1225:                           ;   in Loop: Header=BB312_16 Depth=1
	s_or_b32 exec_lo, exec_lo, s27
.LBB312_1226:                           ;   in Loop: Header=BB312_16 Depth=1
	s_or_b32 exec_lo, exec_lo, s26
.LBB312_1227:                           ;   in Loop: Header=BB312_16 Depth=1
	s_or_b32 exec_lo, exec_lo, s25
	v_mov_b32_e32 v42, 0
	v_mov_b32_e32 v40, 0
	s_mov_b32 s25, exec_lo
	v_cmpx_lt_u64_e64 s[20:21], v[31:32]
	s_cbranch_execz .LBB312_1235
; %bb.1228:                             ;   in Loop: Header=BB312_16 Depth=1
	v_lshrrev_b32_e32 v8, 24, v32
	v_bfrev_b32_e32 v40, 1
	s_mov_b32 s26, exec_lo
	v_cmpx_ne_u32_e32 0x80, v8
	s_cbranch_execz .LBB312_1234
; %bb.1229:                             ;   in Loop: Header=BB312_16 Depth=1
	v_and_b32_e32 v2, 0x7f, v8
	v_mov_b32_e32 v40, 0x7c010000
	s_mov_b32 s27, exec_lo
	v_cmpx_ne_u32_e32 0x7f, v2
	s_cbranch_execz .LBB312_1233
; %bb.1230:                             ;   in Loop: Header=BB312_16 Depth=1
	v_and_b32_e32 v0, 7, v8
	v_lshrrev_b32_e32 v1, 3, v2
	s_mov_b32 s28, exec_lo
	v_cmpx_gt_u32_e32 8, v2
; %bb.1231:                             ;   in Loop: Header=BB312_16 Depth=1
	v_ffbh_u32_e32 v0, v0
	v_min_u32_e32 v2, 32, v0
	v_subrev_nc_u32_e32 v0, 28, v2
	v_lshlrev_b64 v[0:1], v0, v[8:9]
	v_sub_nc_u32_e32 v1, 29, v2
	v_and_b32_e32 v0, 7, v0
; %bb.1232:                             ;   in Loop: Header=BB312_16 Depth=1
	s_or_b32 exec_lo, exec_lo, s28
	v_lshlrev_b32_e32 v2, 8, v8
	v_lshl_add_u32 v1, v1, 10, 0x2000
	v_lshlrev_b32_e32 v0, 23, v0
	v_and_or_b32 v1, 0x8000, v2, v1
	v_lshl_or_b32 v40, v1, 16, v0
.LBB312_1233:                           ;   in Loop: Header=BB312_16 Depth=1
	s_or_b32 exec_lo, exec_lo, s27
.LBB312_1234:                           ;   in Loop: Header=BB312_16 Depth=1
	s_or_b32 exec_lo, exec_lo, s26
.LBB312_1235:                           ;   in Loop: Header=BB312_16 Depth=1
	s_or_b32 exec_lo, exec_lo, s25
	flat_load_dwordx2 v[31:32], v[28:29] offset:520
	s_waitcnt vmcnt(0) lgkmcnt(0)
	v_cmp_ne_u16_sdwa s5, v31, v9 src0_sel:BYTE_0 src1_sel:DWORD
	s_and_saveexec_b32 s25, s5
	s_cbranch_execz .LBB312_1243
; %bb.1236:                             ;   in Loop: Header=BB312_16 Depth=1
	v_cmp_ne_u16_sdwa s5, v31, v68 src0_sel:BYTE_0 src1_sel:DWORD
	v_mov_b32_e32 v42, 0x8000
	s_and_saveexec_b32 s26, s5
	s_cbranch_execz .LBB312_1242
; %bb.1237:                             ;   in Loop: Header=BB312_16 Depth=1
	v_and_b32_e32 v2, 0x7f, v31
	v_mov_b32_e32 v42, 0x7c01
	s_mov_b32 s27, exec_lo
	v_cmpx_ne_u32_e32 0x7f, v2
	s_cbranch_execz .LBB312_1241
; %bb.1238:                             ;   in Loop: Header=BB312_16 Depth=1
	v_and_b32_e32 v0, 7, v31
	v_lshrrev_b32_e32 v1, 3, v2
	s_mov_b32 s28, exec_lo
	v_cmpx_gt_u32_e32 8, v2
; %bb.1239:                             ;   in Loop: Header=BB312_16 Depth=1
	v_ffbh_u32_e32 v0, v0
	v_min_u32_e32 v2, 32, v0
	v_subrev_nc_u32_e32 v0, 28, v2
	v_lshlrev_b64 v[0:1], v0, v[31:32]
	v_sub_nc_u32_e32 v1, 29, v2
	v_and_b32_e32 v0, 7, v0
; %bb.1240:                             ;   in Loop: Header=BB312_16 Depth=1
	s_or_b32 exec_lo, exec_lo, s28
	v_lshlrev_b32_e32 v2, 8, v31
	v_lshl_add_u32 v1, v1, 10, 0x2000
	v_lshlrev_b32_e32 v0, 7, v0
	v_and_b32_e32 v2, 0x8000, v2
	v_and_b32_e32 v1, 0xfc00, v1
	v_or3_b32 v42, v2, v1, v0
.LBB312_1241:                           ;   in Loop: Header=BB312_16 Depth=1
	s_or_b32 exec_lo, exec_lo, s27
.LBB312_1242:                           ;   in Loop: Header=BB312_16 Depth=1
	s_or_b32 exec_lo, exec_lo, s26
.LBB312_1243:                           ;   in Loop: Header=BB312_16 Depth=1
	s_or_b32 exec_lo, exec_lo, s25
	v_lshrrev_b16 v8, 8, v31
	v_mov_b32_e32 v45, 0
	v_mov_b32_e32 v43, 0
	s_mov_b32 s25, exec_lo
	v_cmpx_ne_u16_e32 0, v8
	s_cbranch_execz .LBB312_1251
; %bb.1244:                             ;   in Loop: Header=BB312_16 Depth=1
	v_bfrev_b32_e32 v43, 1
	s_mov_b32 s26, exec_lo
	v_cmpx_ne_u16_e32 0x80, v8
	s_cbranch_execz .LBB312_1250
; %bb.1245:                             ;   in Loop: Header=BB312_16 Depth=1
	v_mov_b32_e32 v0, 0x7f
	v_mov_b32_e32 v43, 0x7c010000
	s_mov_b32 s27, exec_lo
	v_and_b32_sdwa v2, v8, v0 dst_sel:DWORD dst_unused:UNUSED_PAD src0_sel:WORD_0 src1_sel:DWORD
	v_cmpx_ne_u32_e32 0x7f, v2
	s_cbranch_execz .LBB312_1249
; %bb.1246:                             ;   in Loop: Header=BB312_16 Depth=1
	v_mov_b32_e32 v0, 7
	v_lshrrev_b32_e32 v1, 3, v2
	s_mov_b32 s28, exec_lo
	v_and_b32_sdwa v0, v8, v0 dst_sel:DWORD dst_unused:UNUSED_PAD src0_sel:WORD_0 src1_sel:DWORD
	v_cmpx_gt_u32_e32 8, v2
; %bb.1247:                             ;   in Loop: Header=BB312_16 Depth=1
	v_ffbh_u32_e32 v0, v0
	v_min_u32_e32 v2, 32, v0
	v_subrev_nc_u32_e32 v0, 28, v2
	v_lshlrev_b64 v[0:1], v0, v[8:9]
	v_sub_nc_u32_e32 v1, 29, v2
	v_and_b32_e32 v0, 7, v0
; %bb.1248:                             ;   in Loop: Header=BB312_16 Depth=1
	s_or_b32 exec_lo, exec_lo, s28
	v_mov_b32_e32 v2, 8
	v_lshl_add_u32 v1, v1, 10, 0x2000
	v_lshlrev_b32_e32 v0, 23, v0
	v_lshlrev_b32_sdwa v2, v2, v8 dst_sel:DWORD dst_unused:UNUSED_PAD src0_sel:DWORD src1_sel:WORD_0
	v_and_or_b32 v1, 0x8000, v2, v1
	v_lshl_or_b32 v43, v1, 16, v0
.LBB312_1249:                           ;   in Loop: Header=BB312_16 Depth=1
	s_or_b32 exec_lo, exec_lo, s27
.LBB312_1250:                           ;   in Loop: Header=BB312_16 Depth=1
	s_or_b32 exec_lo, exec_lo, s26
.LBB312_1251:                           ;   in Loop: Header=BB312_16 Depth=1
	s_or_b32 exec_lo, exec_lo, s25
	v_lshrrev_b32_e32 v8, 16, v31
	v_cmp_ne_u16_sdwa s5, v8, v9 src0_sel:BYTE_0 src1_sel:DWORD
	s_and_saveexec_b32 s25, s5
	s_cbranch_execz .LBB312_1259
; %bb.1252:                             ;   in Loop: Header=BB312_16 Depth=1
	v_cmp_ne_u16_sdwa s5, v8, v68 src0_sel:BYTE_0 src1_sel:DWORD
	v_mov_b32_e32 v45, 0x8000
	s_and_saveexec_b32 s26, s5
	s_cbranch_execz .LBB312_1258
; %bb.1253:                             ;   in Loop: Header=BB312_16 Depth=1
	v_bfe_u32 v2, v31, 16, 7
	v_mov_b32_e32 v45, 0x7c01
	s_mov_b32 s27, exec_lo
	v_cmpx_ne_u32_e32 0x7f, v2
	s_cbranch_execz .LBB312_1257
; %bb.1254:                             ;   in Loop: Header=BB312_16 Depth=1
	v_and_b32_e32 v0, 7, v8
	v_lshrrev_b32_e32 v1, 3, v2
	s_mov_b32 s28, exec_lo
	v_cmpx_gt_u32_e32 8, v2
; %bb.1255:                             ;   in Loop: Header=BB312_16 Depth=1
	v_ffbh_u32_e32 v0, v0
	v_min_u32_e32 v2, 32, v0
	v_subrev_nc_u32_e32 v0, 28, v2
	v_lshlrev_b64 v[0:1], v0, v[8:9]
	v_sub_nc_u32_e32 v1, 29, v2
	v_and_b32_e32 v0, 7, v0
; %bb.1256:                             ;   in Loop: Header=BB312_16 Depth=1
	s_or_b32 exec_lo, exec_lo, s28
	v_lshlrev_b32_e32 v2, 8, v8
	v_lshl_add_u32 v1, v1, 10, 0x2000
	v_lshlrev_b32_e32 v0, 7, v0
	v_and_b32_e32 v2, 0x8000, v2
	v_and_b32_e32 v1, 0xfc00, v1
	v_or3_b32 v45, v2, v1, v0
.LBB312_1257:                           ;   in Loop: Header=BB312_16 Depth=1
	s_or_b32 exec_lo, exec_lo, s27
.LBB312_1258:                           ;   in Loop: Header=BB312_16 Depth=1
	s_or_b32 exec_lo, exec_lo, s26
.LBB312_1259:                           ;   in Loop: Header=BB312_16 Depth=1
	s_or_b32 exec_lo, exec_lo, s25
	v_mov_b32_e32 v39, 0
	v_mov_b32_e32 v56, 0
	s_mov_b32 s25, exec_lo
	v_cmpx_lt_u32_e32 0xffffff, v31
	s_cbranch_execz .LBB312_1267
; %bb.1260:                             ;   in Loop: Header=BB312_16 Depth=1
	v_lshrrev_b32_e32 v8, 24, v31
	v_bfrev_b32_e32 v56, 1
	s_mov_b32 s26, exec_lo
	v_cmpx_ne_u32_e32 0x80, v8
	s_cbranch_execz .LBB312_1266
; %bb.1261:                             ;   in Loop: Header=BB312_16 Depth=1
	v_and_b32_e32 v2, 0x7f, v8
	v_mov_b32_e32 v56, 0x7c010000
	s_mov_b32 s27, exec_lo
	v_cmpx_ne_u32_e32 0x7f, v2
	s_cbranch_execz .LBB312_1265
; %bb.1262:                             ;   in Loop: Header=BB312_16 Depth=1
	v_and_b32_e32 v0, 7, v8
	v_lshrrev_b32_e32 v1, 3, v2
	s_mov_b32 s28, exec_lo
	v_cmpx_gt_u32_e32 8, v2
; %bb.1263:                             ;   in Loop: Header=BB312_16 Depth=1
	v_ffbh_u32_e32 v0, v0
	v_min_u32_e32 v2, 32, v0
	v_subrev_nc_u32_e32 v0, 28, v2
	v_lshlrev_b64 v[0:1], v0, v[8:9]
	v_sub_nc_u32_e32 v1, 29, v2
	v_and_b32_e32 v0, 7, v0
; %bb.1264:                             ;   in Loop: Header=BB312_16 Depth=1
	s_or_b32 exec_lo, exec_lo, s28
	v_lshlrev_b32_e32 v2, 8, v8
	v_lshl_add_u32 v1, v1, 10, 0x2000
	v_lshlrev_b32_e32 v0, 23, v0
	v_and_or_b32 v1, 0x8000, v2, v1
	v_lshl_or_b32 v56, v1, 16, v0
.LBB312_1265:                           ;   in Loop: Header=BB312_16 Depth=1
	s_or_b32 exec_lo, exec_lo, s27
.LBB312_1266:                           ;   in Loop: Header=BB312_16 Depth=1
	s_or_b32 exec_lo, exec_lo, s26
.LBB312_1267:                           ;   in Loop: Header=BB312_16 Depth=1
	s_or_b32 exec_lo, exec_lo, s25
	v_mov_b32_e32 v8, v32
	v_cmp_ne_u16_sdwa s5, v32, v9 src0_sel:BYTE_0 src1_sel:DWORD
	s_and_saveexec_b32 s25, s5
	s_cbranch_execz .LBB312_1275
; %bb.1268:                             ;   in Loop: Header=BB312_16 Depth=1
	v_cmp_ne_u16_sdwa s5, v32, v68 src0_sel:BYTE_0 src1_sel:DWORD
	v_mov_b32_e32 v39, 0x8000
	s_and_saveexec_b32 s26, s5
	s_cbranch_execz .LBB312_1274
; %bb.1269:                             ;   in Loop: Header=BB312_16 Depth=1
	v_and_b32_e32 v2, 0x7f, v32
	v_mov_b32_e32 v39, 0x7c01
	s_mov_b32 s27, exec_lo
	v_cmpx_ne_u32_e32 0x7f, v2
	s_cbranch_execz .LBB312_1273
; %bb.1270:                             ;   in Loop: Header=BB312_16 Depth=1
	v_and_b32_e32 v0, 7, v32
	v_lshrrev_b32_e32 v1, 3, v2
	s_mov_b32 s28, exec_lo
	v_cmpx_gt_u32_e32 8, v2
; %bb.1271:                             ;   in Loop: Header=BB312_16 Depth=1
	v_ffbh_u32_e32 v0, v0
	v_min_u32_e32 v2, 32, v0
	v_subrev_nc_u32_e32 v0, 28, v2
	v_lshlrev_b64 v[0:1], v0, v[8:9]
	v_sub_nc_u32_e32 v1, 29, v2
	v_and_b32_e32 v0, 7, v0
; %bb.1272:                             ;   in Loop: Header=BB312_16 Depth=1
	s_or_b32 exec_lo, exec_lo, s28
	v_lshlrev_b32_e32 v2, 8, v32
	v_lshl_add_u32 v1, v1, 10, 0x2000
	v_lshlrev_b32_e32 v0, 7, v0
	v_and_b32_e32 v2, 0x8000, v2
	v_and_b32_e32 v1, 0xfc00, v1
	v_or3_b32 v39, v2, v1, v0
.LBB312_1273:                           ;   in Loop: Header=BB312_16 Depth=1
	s_or_b32 exec_lo, exec_lo, s27
.LBB312_1274:                           ;   in Loop: Header=BB312_16 Depth=1
	s_or_b32 exec_lo, exec_lo, s26
.LBB312_1275:                           ;   in Loop: Header=BB312_16 Depth=1
	s_or_b32 exec_lo, exec_lo, s25
	v_lshrrev_b16 v8, 8, v8
	v_mov_b32_e32 v58, 0
	v_mov_b32_e32 v59, 0
	s_mov_b32 s25, exec_lo
	v_cmpx_ne_u16_e32 0, v8
	s_cbranch_execz .LBB312_1283
; %bb.1276:                             ;   in Loop: Header=BB312_16 Depth=1
	v_bfrev_b32_e32 v59, 1
	s_mov_b32 s26, exec_lo
	v_cmpx_ne_u16_e32 0x80, v8
	s_cbranch_execz .LBB312_1282
; %bb.1277:                             ;   in Loop: Header=BB312_16 Depth=1
	v_mov_b32_e32 v0, 0x7f
	v_mov_b32_e32 v59, 0x7c010000
	s_mov_b32 s27, exec_lo
	v_and_b32_sdwa v2, v8, v0 dst_sel:DWORD dst_unused:UNUSED_PAD src0_sel:WORD_0 src1_sel:DWORD
	v_cmpx_ne_u32_e32 0x7f, v2
	s_cbranch_execz .LBB312_1281
; %bb.1278:                             ;   in Loop: Header=BB312_16 Depth=1
	v_mov_b32_e32 v0, 7
	v_lshrrev_b32_e32 v1, 3, v2
	s_mov_b32 s28, exec_lo
	v_and_b32_sdwa v0, v8, v0 dst_sel:DWORD dst_unused:UNUSED_PAD src0_sel:WORD_0 src1_sel:DWORD
	v_cmpx_gt_u32_e32 8, v2
; %bb.1279:                             ;   in Loop: Header=BB312_16 Depth=1
	v_ffbh_u32_e32 v0, v0
	v_min_u32_e32 v2, 32, v0
	v_subrev_nc_u32_e32 v0, 28, v2
	v_lshlrev_b64 v[0:1], v0, v[8:9]
	v_sub_nc_u32_e32 v1, 29, v2
	v_and_b32_e32 v0, 7, v0
; %bb.1280:                             ;   in Loop: Header=BB312_16 Depth=1
	s_or_b32 exec_lo, exec_lo, s28
	v_mov_b32_e32 v2, 8
	v_lshl_add_u32 v1, v1, 10, 0x2000
	v_lshlrev_b32_e32 v0, 23, v0
	v_lshlrev_b32_sdwa v2, v2, v8 dst_sel:DWORD dst_unused:UNUSED_PAD src0_sel:DWORD src1_sel:WORD_0
	v_and_or_b32 v1, 0x8000, v2, v1
	v_lshl_or_b32 v59, v1, 16, v0
.LBB312_1281:                           ;   in Loop: Header=BB312_16 Depth=1
	s_or_b32 exec_lo, exec_lo, s27
.LBB312_1282:                           ;   in Loop: Header=BB312_16 Depth=1
	s_or_b32 exec_lo, exec_lo, s26
.LBB312_1283:                           ;   in Loop: Header=BB312_16 Depth=1
	s_or_b32 exec_lo, exec_lo, s25
	v_lshrrev_b32_e32 v8, 16, v32
	v_cmp_ne_u16_sdwa s5, v8, v9 src0_sel:BYTE_0 src1_sel:DWORD
	s_and_saveexec_b32 s25, s5
	s_cbranch_execz .LBB312_1291
; %bb.1284:                             ;   in Loop: Header=BB312_16 Depth=1
	v_cmp_ne_u16_sdwa s5, v8, v68 src0_sel:BYTE_0 src1_sel:DWORD
	v_mov_b32_e32 v58, 0x8000
	s_and_saveexec_b32 s26, s5
	s_cbranch_execz .LBB312_1290
; %bb.1285:                             ;   in Loop: Header=BB312_16 Depth=1
	v_bfe_u32 v2, v32, 16, 7
	v_mov_b32_e32 v58, 0x7c01
	s_mov_b32 s27, exec_lo
	v_cmpx_ne_u32_e32 0x7f, v2
	s_cbranch_execz .LBB312_1289
; %bb.1286:                             ;   in Loop: Header=BB312_16 Depth=1
	v_and_b32_e32 v0, 7, v8
	v_lshrrev_b32_e32 v1, 3, v2
	s_mov_b32 s28, exec_lo
	v_cmpx_gt_u32_e32 8, v2
; %bb.1287:                             ;   in Loop: Header=BB312_16 Depth=1
	v_ffbh_u32_e32 v0, v0
	v_min_u32_e32 v2, 32, v0
	v_subrev_nc_u32_e32 v0, 28, v2
	v_lshlrev_b64 v[0:1], v0, v[8:9]
	v_sub_nc_u32_e32 v1, 29, v2
	v_and_b32_e32 v0, 7, v0
; %bb.1288:                             ;   in Loop: Header=BB312_16 Depth=1
	s_or_b32 exec_lo, exec_lo, s28
	v_lshlrev_b32_e32 v2, 8, v8
	v_lshl_add_u32 v1, v1, 10, 0x2000
	v_lshlrev_b32_e32 v0, 7, v0
	v_and_b32_e32 v2, 0x8000, v2
	v_and_b32_e32 v1, 0xfc00, v1
	v_or3_b32 v58, v2, v1, v0
.LBB312_1289:                           ;   in Loop: Header=BB312_16 Depth=1
	s_or_b32 exec_lo, exec_lo, s27
.LBB312_1290:                           ;   in Loop: Header=BB312_16 Depth=1
	s_or_b32 exec_lo, exec_lo, s26
.LBB312_1291:                           ;   in Loop: Header=BB312_16 Depth=1
	s_or_b32 exec_lo, exec_lo, s25
	v_mov_b32_e32 v124, 0
	v_mov_b32_e32 v79, 0
	s_mov_b32 s25, exec_lo
	v_cmpx_lt_u64_e64 s[20:21], v[31:32]
	s_cbranch_execz .LBB312_1299
; %bb.1292:                             ;   in Loop: Header=BB312_16 Depth=1
	v_lshrrev_b32_e32 v8, 24, v32
	v_bfrev_b32_e32 v79, 1
	s_mov_b32 s26, exec_lo
	v_cmpx_ne_u32_e32 0x80, v8
	s_cbranch_execz .LBB312_1298
; %bb.1293:                             ;   in Loop: Header=BB312_16 Depth=1
	v_and_b32_e32 v2, 0x7f, v8
	v_mov_b32_e32 v79, 0x7c010000
	s_mov_b32 s27, exec_lo
	v_cmpx_ne_u32_e32 0x7f, v2
	s_cbranch_execz .LBB312_1297
; %bb.1294:                             ;   in Loop: Header=BB312_16 Depth=1
	v_and_b32_e32 v0, 7, v8
	v_lshrrev_b32_e32 v1, 3, v2
	s_mov_b32 s28, exec_lo
	v_cmpx_gt_u32_e32 8, v2
; %bb.1295:                             ;   in Loop: Header=BB312_16 Depth=1
	v_ffbh_u32_e32 v0, v0
	v_min_u32_e32 v2, 32, v0
	v_subrev_nc_u32_e32 v0, 28, v2
	v_lshlrev_b64 v[0:1], v0, v[8:9]
	v_sub_nc_u32_e32 v1, 29, v2
	v_and_b32_e32 v0, 7, v0
; %bb.1296:                             ;   in Loop: Header=BB312_16 Depth=1
	s_or_b32 exec_lo, exec_lo, s28
	v_lshlrev_b32_e32 v2, 8, v8
	v_lshl_add_u32 v1, v1, 10, 0x2000
	v_lshlrev_b32_e32 v0, 23, v0
	v_and_or_b32 v1, 0x8000, v2, v1
	v_lshl_or_b32 v79, v1, 16, v0
.LBB312_1297:                           ;   in Loop: Header=BB312_16 Depth=1
	s_or_b32 exec_lo, exec_lo, s27
.LBB312_1298:                           ;   in Loop: Header=BB312_16 Depth=1
	s_or_b32 exec_lo, exec_lo, s26
.LBB312_1299:                           ;   in Loop: Header=BB312_16 Depth=1
	s_or_b32 exec_lo, exec_lo, s25
	flat_load_dwordx2 v[31:32], v[28:29] offset:1024
	s_waitcnt vmcnt(0) lgkmcnt(0)
	v_cmp_ne_u16_sdwa s5, v31, v9 src0_sel:BYTE_0 src1_sel:DWORD
	s_and_saveexec_b32 s25, s5
	s_cbranch_execz .LBB312_1307
; %bb.1300:                             ;   in Loop: Header=BB312_16 Depth=1
	v_cmp_ne_u16_sdwa s5, v31, v68 src0_sel:BYTE_0 src1_sel:DWORD
	v_mov_b32_e32 v124, 0x8000
	s_and_saveexec_b32 s26, s5
	s_cbranch_execz .LBB312_1306
; %bb.1301:                             ;   in Loop: Header=BB312_16 Depth=1
	v_and_b32_e32 v2, 0x7f, v31
	v_mov_b32_e32 v124, 0x7c01
	s_mov_b32 s27, exec_lo
	v_cmpx_ne_u32_e32 0x7f, v2
	s_cbranch_execz .LBB312_1305
; %bb.1302:                             ;   in Loop: Header=BB312_16 Depth=1
	v_and_b32_e32 v0, 7, v31
	v_lshrrev_b32_e32 v1, 3, v2
	s_mov_b32 s28, exec_lo
	v_cmpx_gt_u32_e32 8, v2
; %bb.1303:                             ;   in Loop: Header=BB312_16 Depth=1
	v_ffbh_u32_e32 v0, v0
	v_min_u32_e32 v2, 32, v0
	v_subrev_nc_u32_e32 v0, 28, v2
	v_lshlrev_b64 v[0:1], v0, v[31:32]
	v_sub_nc_u32_e32 v1, 29, v2
	v_and_b32_e32 v0, 7, v0
; %bb.1304:                             ;   in Loop: Header=BB312_16 Depth=1
	s_or_b32 exec_lo, exec_lo, s28
	v_lshlrev_b32_e32 v2, 8, v31
	v_lshl_add_u32 v1, v1, 10, 0x2000
	v_lshlrev_b32_e32 v0, 7, v0
	v_and_b32_e32 v2, 0x8000, v2
	v_and_b32_e32 v1, 0xfc00, v1
	v_or3_b32 v124, v2, v1, v0
.LBB312_1305:                           ;   in Loop: Header=BB312_16 Depth=1
	s_or_b32 exec_lo, exec_lo, s27
.LBB312_1306:                           ;   in Loop: Header=BB312_16 Depth=1
	s_or_b32 exec_lo, exec_lo, s26
.LBB312_1307:                           ;   in Loop: Header=BB312_16 Depth=1
	s_or_b32 exec_lo, exec_lo, s25
	v_lshrrev_b16 v8, 8, v31
	v_mov_b32_e32 v127, 0
	v_mov_b32_e32 v126, 0
	s_mov_b32 s25, exec_lo
	v_cmpx_ne_u16_e32 0, v8
	s_cbranch_execz .LBB312_1315
; %bb.1308:                             ;   in Loop: Header=BB312_16 Depth=1
	v_bfrev_b32_e32 v126, 1
	s_mov_b32 s26, exec_lo
	v_cmpx_ne_u16_e32 0x80, v8
	s_cbranch_execz .LBB312_1314
; %bb.1309:                             ;   in Loop: Header=BB312_16 Depth=1
	v_mov_b32_e32 v0, 0x7f
	v_mov_b32_e32 v126, 0x7c010000
	s_mov_b32 s27, exec_lo
	v_and_b32_sdwa v2, v8, v0 dst_sel:DWORD dst_unused:UNUSED_PAD src0_sel:WORD_0 src1_sel:DWORD
	v_cmpx_ne_u32_e32 0x7f, v2
	s_cbranch_execz .LBB312_1313
; %bb.1310:                             ;   in Loop: Header=BB312_16 Depth=1
	v_mov_b32_e32 v0, 7
	v_lshrrev_b32_e32 v1, 3, v2
	s_mov_b32 s28, exec_lo
	v_and_b32_sdwa v0, v8, v0 dst_sel:DWORD dst_unused:UNUSED_PAD src0_sel:WORD_0 src1_sel:DWORD
	v_cmpx_gt_u32_e32 8, v2
; %bb.1311:                             ;   in Loop: Header=BB312_16 Depth=1
	v_ffbh_u32_e32 v0, v0
	v_min_u32_e32 v2, 32, v0
	v_subrev_nc_u32_e32 v0, 28, v2
	v_lshlrev_b64 v[0:1], v0, v[8:9]
	v_sub_nc_u32_e32 v1, 29, v2
	v_and_b32_e32 v0, 7, v0
; %bb.1312:                             ;   in Loop: Header=BB312_16 Depth=1
	s_or_b32 exec_lo, exec_lo, s28
	v_mov_b32_e32 v2, 8
	v_lshl_add_u32 v1, v1, 10, 0x2000
	v_lshlrev_b32_e32 v0, 23, v0
	v_lshlrev_b32_sdwa v2, v2, v8 dst_sel:DWORD dst_unused:UNUSED_PAD src0_sel:DWORD src1_sel:WORD_0
	v_and_or_b32 v1, 0x8000, v2, v1
	v_lshl_or_b32 v126, v1, 16, v0
.LBB312_1313:                           ;   in Loop: Header=BB312_16 Depth=1
	s_or_b32 exec_lo, exec_lo, s27
.LBB312_1314:                           ;   in Loop: Header=BB312_16 Depth=1
	s_or_b32 exec_lo, exec_lo, s26
.LBB312_1315:                           ;   in Loop: Header=BB312_16 Depth=1
	s_or_b32 exec_lo, exec_lo, s25
	v_lshrrev_b32_e32 v8, 16, v31
	v_cmp_ne_u16_sdwa s5, v8, v9 src0_sel:BYTE_0 src1_sel:DWORD
	s_and_saveexec_b32 s25, s5
	s_cbranch_execz .LBB312_1323
; %bb.1316:                             ;   in Loop: Header=BB312_16 Depth=1
	v_cmp_ne_u16_sdwa s5, v8, v68 src0_sel:BYTE_0 src1_sel:DWORD
	v_mov_b32_e32 v127, 0x8000
	s_and_saveexec_b32 s26, s5
	s_cbranch_execz .LBB312_1322
; %bb.1317:                             ;   in Loop: Header=BB312_16 Depth=1
	v_bfe_u32 v2, v31, 16, 7
	v_mov_b32_e32 v127, 0x7c01
	s_mov_b32 s27, exec_lo
	v_cmpx_ne_u32_e32 0x7f, v2
	s_cbranch_execz .LBB312_1321
; %bb.1318:                             ;   in Loop: Header=BB312_16 Depth=1
	v_and_b32_e32 v0, 7, v8
	v_lshrrev_b32_e32 v1, 3, v2
	s_mov_b32 s28, exec_lo
	v_cmpx_gt_u32_e32 8, v2
; %bb.1319:                             ;   in Loop: Header=BB312_16 Depth=1
	v_ffbh_u32_e32 v0, v0
	v_min_u32_e32 v2, 32, v0
	v_subrev_nc_u32_e32 v0, 28, v2
	v_lshlrev_b64 v[0:1], v0, v[8:9]
	v_sub_nc_u32_e32 v1, 29, v2
	v_and_b32_e32 v0, 7, v0
; %bb.1320:                             ;   in Loop: Header=BB312_16 Depth=1
	s_or_b32 exec_lo, exec_lo, s28
	v_lshlrev_b32_e32 v2, 8, v8
	v_lshl_add_u32 v1, v1, 10, 0x2000
	v_lshlrev_b32_e32 v0, 7, v0
	v_and_b32_e32 v2, 0x8000, v2
	v_and_b32_e32 v1, 0xfc00, v1
	v_or3_b32 v127, v2, v1, v0
.LBB312_1321:                           ;   in Loop: Header=BB312_16 Depth=1
	s_or_b32 exec_lo, exec_lo, s27
.LBB312_1322:                           ;   in Loop: Header=BB312_16 Depth=1
	s_or_b32 exec_lo, exec_lo, s26
.LBB312_1323:                           ;   in Loop: Header=BB312_16 Depth=1
	s_or_b32 exec_lo, exec_lo, s25
	v_mov_b32_e32 v74, 0
	v_mov_b32_e32 v55, 0
	s_mov_b32 s25, exec_lo
	v_cmpx_lt_u32_e32 0xffffff, v31
	s_cbranch_execz .LBB312_1331
; %bb.1324:                             ;   in Loop: Header=BB312_16 Depth=1
	v_lshrrev_b32_e32 v8, 24, v31
	v_bfrev_b32_e32 v55, 1
	s_mov_b32 s26, exec_lo
	v_cmpx_ne_u32_e32 0x80, v8
	s_cbranch_execz .LBB312_1330
; %bb.1325:                             ;   in Loop: Header=BB312_16 Depth=1
	v_and_b32_e32 v2, 0x7f, v8
	v_mov_b32_e32 v55, 0x7c010000
	s_mov_b32 s27, exec_lo
	v_cmpx_ne_u32_e32 0x7f, v2
	s_cbranch_execz .LBB312_1329
; %bb.1326:                             ;   in Loop: Header=BB312_16 Depth=1
	v_and_b32_e32 v0, 7, v8
	v_lshrrev_b32_e32 v1, 3, v2
	s_mov_b32 s28, exec_lo
	v_cmpx_gt_u32_e32 8, v2
; %bb.1327:                             ;   in Loop: Header=BB312_16 Depth=1
	v_ffbh_u32_e32 v0, v0
	v_min_u32_e32 v2, 32, v0
	v_subrev_nc_u32_e32 v0, 28, v2
	v_lshlrev_b64 v[0:1], v0, v[8:9]
	v_sub_nc_u32_e32 v1, 29, v2
	v_and_b32_e32 v0, 7, v0
; %bb.1328:                             ;   in Loop: Header=BB312_16 Depth=1
	s_or_b32 exec_lo, exec_lo, s28
	v_lshlrev_b32_e32 v2, 8, v8
	v_lshl_add_u32 v1, v1, 10, 0x2000
	v_lshlrev_b32_e32 v0, 23, v0
	v_and_or_b32 v1, 0x8000, v2, v1
	v_lshl_or_b32 v55, v1, 16, v0
.LBB312_1329:                           ;   in Loop: Header=BB312_16 Depth=1
	s_or_b32 exec_lo, exec_lo, s27
.LBB312_1330:                           ;   in Loop: Header=BB312_16 Depth=1
	s_or_b32 exec_lo, exec_lo, s26
.LBB312_1331:                           ;   in Loop: Header=BB312_16 Depth=1
	s_or_b32 exec_lo, exec_lo, s25
	v_mov_b32_e32 v8, v32
	v_cmp_ne_u16_sdwa s5, v32, v9 src0_sel:BYTE_0 src1_sel:DWORD
	s_and_saveexec_b32 s25, s5
	s_cbranch_execz .LBB312_1339
; %bb.1332:                             ;   in Loop: Header=BB312_16 Depth=1
	v_cmp_ne_u16_sdwa s5, v32, v68 src0_sel:BYTE_0 src1_sel:DWORD
	v_mov_b32_e32 v74, 0x8000
	s_and_saveexec_b32 s26, s5
	s_cbranch_execz .LBB312_1338
; %bb.1333:                             ;   in Loop: Header=BB312_16 Depth=1
	v_and_b32_e32 v2, 0x7f, v32
	v_mov_b32_e32 v74, 0x7c01
	s_mov_b32 s27, exec_lo
	v_cmpx_ne_u32_e32 0x7f, v2
	s_cbranch_execz .LBB312_1337
; %bb.1334:                             ;   in Loop: Header=BB312_16 Depth=1
	v_and_b32_e32 v0, 7, v32
	v_lshrrev_b32_e32 v1, 3, v2
	s_mov_b32 s28, exec_lo
	v_cmpx_gt_u32_e32 8, v2
; %bb.1335:                             ;   in Loop: Header=BB312_16 Depth=1
	v_ffbh_u32_e32 v0, v0
	v_min_u32_e32 v2, 32, v0
	v_subrev_nc_u32_e32 v0, 28, v2
	v_lshlrev_b64 v[0:1], v0, v[8:9]
	v_sub_nc_u32_e32 v1, 29, v2
	v_and_b32_e32 v0, 7, v0
; %bb.1336:                             ;   in Loop: Header=BB312_16 Depth=1
	s_or_b32 exec_lo, exec_lo, s28
	v_lshlrev_b32_e32 v2, 8, v32
	v_lshl_add_u32 v1, v1, 10, 0x2000
	v_lshlrev_b32_e32 v0, 7, v0
	v_and_b32_e32 v2, 0x8000, v2
	v_and_b32_e32 v1, 0xfc00, v1
	v_or3_b32 v74, v2, v1, v0
.LBB312_1337:                           ;   in Loop: Header=BB312_16 Depth=1
	s_or_b32 exec_lo, exec_lo, s27
.LBB312_1338:                           ;   in Loop: Header=BB312_16 Depth=1
	s_or_b32 exec_lo, exec_lo, s26
.LBB312_1339:                           ;   in Loop: Header=BB312_16 Depth=1
	s_or_b32 exec_lo, exec_lo, s25
	v_lshrrev_b16 v8, 8, v8
	v_mov_b32_e32 v4, 0
	v_mov_b32_e32 v12, 0
	s_mov_b32 s25, exec_lo
	v_cmpx_ne_u16_e32 0, v8
	s_cbranch_execz .LBB312_1347
; %bb.1340:                             ;   in Loop: Header=BB312_16 Depth=1
	v_bfrev_b32_e32 v12, 1
	s_mov_b32 s26, exec_lo
	v_cmpx_ne_u16_e32 0x80, v8
	s_cbranch_execz .LBB312_1346
; %bb.1341:                             ;   in Loop: Header=BB312_16 Depth=1
	v_mov_b32_e32 v0, 0x7f
	v_mov_b32_e32 v12, 0x7c010000
	s_mov_b32 s27, exec_lo
	v_and_b32_sdwa v2, v8, v0 dst_sel:DWORD dst_unused:UNUSED_PAD src0_sel:WORD_0 src1_sel:DWORD
	v_cmpx_ne_u32_e32 0x7f, v2
	s_cbranch_execz .LBB312_1345
; %bb.1342:                             ;   in Loop: Header=BB312_16 Depth=1
	v_mov_b32_e32 v0, 7
	v_lshrrev_b32_e32 v1, 3, v2
	s_mov_b32 s28, exec_lo
	v_and_b32_sdwa v0, v8, v0 dst_sel:DWORD dst_unused:UNUSED_PAD src0_sel:WORD_0 src1_sel:DWORD
	v_cmpx_gt_u32_e32 8, v2
; %bb.1343:                             ;   in Loop: Header=BB312_16 Depth=1
	v_ffbh_u32_e32 v0, v0
	v_min_u32_e32 v2, 32, v0
	v_subrev_nc_u32_e32 v0, 28, v2
	v_lshlrev_b64 v[0:1], v0, v[8:9]
	v_sub_nc_u32_e32 v1, 29, v2
	v_and_b32_e32 v0, 7, v0
; %bb.1344:                             ;   in Loop: Header=BB312_16 Depth=1
	s_or_b32 exec_lo, exec_lo, s28
	v_mov_b32_e32 v2, 8
	v_lshl_add_u32 v1, v1, 10, 0x2000
	v_lshlrev_b32_e32 v0, 23, v0
	v_lshlrev_b32_sdwa v2, v2, v8 dst_sel:DWORD dst_unused:UNUSED_PAD src0_sel:DWORD src1_sel:WORD_0
	v_and_or_b32 v1, 0x8000, v2, v1
	v_lshl_or_b32 v12, v1, 16, v0
.LBB312_1345:                           ;   in Loop: Header=BB312_16 Depth=1
	s_or_b32 exec_lo, exec_lo, s27
.LBB312_1346:                           ;   in Loop: Header=BB312_16 Depth=1
	s_or_b32 exec_lo, exec_lo, s26
.LBB312_1347:                           ;   in Loop: Header=BB312_16 Depth=1
	s_or_b32 exec_lo, exec_lo, s25
	v_lshrrev_b32_e32 v8, 16, v32
	v_cmp_ne_u16_sdwa s5, v8, v9 src0_sel:BYTE_0 src1_sel:DWORD
	s_and_saveexec_b32 s25, s5
	s_cbranch_execz .LBB312_1355
; %bb.1348:                             ;   in Loop: Header=BB312_16 Depth=1
	v_cmp_ne_u16_sdwa s5, v8, v68 src0_sel:BYTE_0 src1_sel:DWORD
	v_mov_b32_e32 v4, 0x8000
	s_and_saveexec_b32 s26, s5
	s_cbranch_execz .LBB312_1354
; %bb.1349:                             ;   in Loop: Header=BB312_16 Depth=1
	v_bfe_u32 v2, v32, 16, 7
	v_mov_b32_e32 v4, 0x7c01
	s_mov_b32 s27, exec_lo
	v_cmpx_ne_u32_e32 0x7f, v2
	s_cbranch_execz .LBB312_1353
; %bb.1350:                             ;   in Loop: Header=BB312_16 Depth=1
	v_and_b32_e32 v0, 7, v8
	v_lshrrev_b32_e32 v1, 3, v2
	s_mov_b32 s28, exec_lo
	v_cmpx_gt_u32_e32 8, v2
; %bb.1351:                             ;   in Loop: Header=BB312_16 Depth=1
	v_ffbh_u32_e32 v0, v0
	v_min_u32_e32 v2, 32, v0
	v_subrev_nc_u32_e32 v0, 28, v2
	v_lshlrev_b64 v[0:1], v0, v[8:9]
	v_sub_nc_u32_e32 v1, 29, v2
	v_and_b32_e32 v0, 7, v0
; %bb.1352:                             ;   in Loop: Header=BB312_16 Depth=1
	s_or_b32 exec_lo, exec_lo, s28
	v_lshlrev_b32_e32 v2, 8, v8
	v_lshl_add_u32 v1, v1, 10, 0x2000
	v_lshlrev_b32_e32 v0, 7, v0
	v_and_b32_e32 v2, 0x8000, v2
	v_and_b32_e32 v1, 0xfc00, v1
	v_or3_b32 v4, v2, v1, v0
.LBB312_1353:                           ;   in Loop: Header=BB312_16 Depth=1
	s_or_b32 exec_lo, exec_lo, s27
.LBB312_1354:                           ;   in Loop: Header=BB312_16 Depth=1
	s_or_b32 exec_lo, exec_lo, s26
.LBB312_1355:                           ;   in Loop: Header=BB312_16 Depth=1
	s_or_b32 exec_lo, exec_lo, s25
	v_mov_b32_e32 v70, 0
	v_mov_b32_e32 v0, 0
	s_mov_b32 s25, exec_lo
	v_cmpx_lt_u64_e64 s[20:21], v[31:32]
	s_cbranch_execz .LBB312_1363
; %bb.1356:                             ;   in Loop: Header=BB312_16 Depth=1
	v_lshrrev_b32_e32 v8, 24, v32
	v_bfrev_b32_e32 v0, 1
	s_mov_b32 s26, exec_lo
	v_cmpx_ne_u32_e32 0x80, v8
	s_cbranch_execz .LBB312_1362
; %bb.1357:                             ;   in Loop: Header=BB312_16 Depth=1
	v_and_b32_e32 v2, 0x7f, v8
	v_mov_b32_e32 v0, 0x7c010000
	s_mov_b32 s27, exec_lo
	v_cmpx_ne_u32_e32 0x7f, v2
	s_cbranch_execz .LBB312_1361
; %bb.1358:                             ;   in Loop: Header=BB312_16 Depth=1
	v_and_b32_e32 v0, 7, v8
	v_lshrrev_b32_e32 v1, 3, v2
	s_mov_b32 s28, exec_lo
	v_cmpx_gt_u32_e32 8, v2
; %bb.1359:                             ;   in Loop: Header=BB312_16 Depth=1
	v_ffbh_u32_e32 v0, v0
	v_min_u32_e32 v2, 32, v0
	v_subrev_nc_u32_e32 v0, 28, v2
	v_lshlrev_b64 v[0:1], v0, v[8:9]
	v_sub_nc_u32_e32 v1, 29, v2
	v_and_b32_e32 v0, 7, v0
; %bb.1360:                             ;   in Loop: Header=BB312_16 Depth=1
	s_or_b32 exec_lo, exec_lo, s28
	v_lshlrev_b32_e32 v2, 8, v8
	v_lshl_add_u32 v1, v1, 10, 0x2000
	v_lshlrev_b32_e32 v0, 23, v0
	v_and_or_b32 v1, 0x8000, v2, v1
	v_lshl_or_b32 v0, v1, 16, v0
.LBB312_1361:                           ;   in Loop: Header=BB312_16 Depth=1
	s_or_b32 exec_lo, exec_lo, s27
.LBB312_1362:                           ;   in Loop: Header=BB312_16 Depth=1
	s_or_b32 exec_lo, exec_lo, s26
.LBB312_1363:                           ;   in Loop: Header=BB312_16 Depth=1
	s_or_b32 exec_lo, exec_lo, s25
	flat_load_dwordx2 v[31:32], v[28:29] offset:1032
	s_waitcnt vmcnt(0) lgkmcnt(0)
	v_cmp_ne_u16_sdwa s5, v31, v9 src0_sel:BYTE_0 src1_sel:DWORD
	s_and_saveexec_b32 s25, s5
	s_cbranch_execz .LBB312_1371
; %bb.1364:                             ;   in Loop: Header=BB312_16 Depth=1
	v_cmp_ne_u16_sdwa s5, v31, v68 src0_sel:BYTE_0 src1_sel:DWORD
	v_mov_b32_e32 v70, 0x8000
	s_and_saveexec_b32 s26, s5
	s_cbranch_execz .LBB312_1370
; %bb.1365:                             ;   in Loop: Header=BB312_16 Depth=1
	v_and_b32_e32 v3, 0x7f, v31
	v_mov_b32_e32 v70, 0x7c01
	s_mov_b32 s27, exec_lo
	v_cmpx_ne_u32_e32 0x7f, v3
	s_cbranch_execz .LBB312_1369
; %bb.1366:                             ;   in Loop: Header=BB312_16 Depth=1
	v_and_b32_e32 v1, 7, v31
	v_lshrrev_b32_e32 v2, 3, v3
	s_mov_b32 s28, exec_lo
	v_cmpx_gt_u32_e32 8, v3
; %bb.1367:                             ;   in Loop: Header=BB312_16 Depth=1
	v_ffbh_u32_e32 v1, v1
	v_min_u32_e32 v3, 32, v1
	v_subrev_nc_u32_e32 v1, 28, v3
	v_lshlrev_b64 v[1:2], v1, v[31:32]
	v_sub_nc_u32_e32 v2, 29, v3
	v_and_b32_e32 v1, 7, v1
; %bb.1368:                             ;   in Loop: Header=BB312_16 Depth=1
	s_or_b32 exec_lo, exec_lo, s28
	v_lshlrev_b32_e32 v3, 8, v31
	v_lshl_add_u32 v2, v2, 10, 0x2000
	v_lshlrev_b32_e32 v1, 7, v1
	v_and_b32_e32 v3, 0x8000, v3
	v_and_b32_e32 v2, 0xfc00, v2
	v_or3_b32 v70, v3, v2, v1
.LBB312_1369:                           ;   in Loop: Header=BB312_16 Depth=1
	s_or_b32 exec_lo, exec_lo, s27
.LBB312_1370:                           ;   in Loop: Header=BB312_16 Depth=1
	s_or_b32 exec_lo, exec_lo, s26
.LBB312_1371:                           ;   in Loop: Header=BB312_16 Depth=1
	s_or_b32 exec_lo, exec_lo, s25
	v_lshrrev_b16 v8, 8, v31
	v_mov_b32_e32 v67, 0
	v_mov_b32_e32 v17, 0
	s_mov_b32 s25, exec_lo
	v_cmpx_ne_u16_e32 0, v8
	s_cbranch_execz .LBB312_1379
; %bb.1372:                             ;   in Loop: Header=BB312_16 Depth=1
	v_bfrev_b32_e32 v17, 1
	s_mov_b32 s26, exec_lo
	v_cmpx_ne_u16_e32 0x80, v8
	s_cbranch_execz .LBB312_1378
; %bb.1373:                             ;   in Loop: Header=BB312_16 Depth=1
	v_mov_b32_e32 v1, 0x7f
	v_mov_b32_e32 v17, 0x7c010000
	s_mov_b32 s27, exec_lo
	v_and_b32_sdwa v3, v8, v1 dst_sel:DWORD dst_unused:UNUSED_PAD src0_sel:WORD_0 src1_sel:DWORD
	v_cmpx_ne_u32_e32 0x7f, v3
	s_cbranch_execz .LBB312_1377
; %bb.1374:                             ;   in Loop: Header=BB312_16 Depth=1
	v_mov_b32_e32 v1, 7
	v_lshrrev_b32_e32 v2, 3, v3
	s_mov_b32 s28, exec_lo
	v_and_b32_sdwa v1, v8, v1 dst_sel:DWORD dst_unused:UNUSED_PAD src0_sel:WORD_0 src1_sel:DWORD
	v_cmpx_gt_u32_e32 8, v3
; %bb.1375:                             ;   in Loop: Header=BB312_16 Depth=1
	v_ffbh_u32_e32 v1, v1
	v_min_u32_e32 v3, 32, v1
	v_subrev_nc_u32_e32 v1, 28, v3
	v_lshlrev_b64 v[1:2], v1, v[8:9]
	v_sub_nc_u32_e32 v2, 29, v3
	v_and_b32_e32 v1, 7, v1
; %bb.1376:                             ;   in Loop: Header=BB312_16 Depth=1
	s_or_b32 exec_lo, exec_lo, s28
	v_mov_b32_e32 v3, 8
	v_lshl_add_u32 v2, v2, 10, 0x2000
	v_lshlrev_b32_e32 v1, 23, v1
	v_lshlrev_b32_sdwa v3, v3, v8 dst_sel:DWORD dst_unused:UNUSED_PAD src0_sel:DWORD src1_sel:WORD_0
	v_and_or_b32 v2, 0x8000, v3, v2
	v_lshl_or_b32 v17, v2, 16, v1
.LBB312_1377:                           ;   in Loop: Header=BB312_16 Depth=1
	s_or_b32 exec_lo, exec_lo, s27
.LBB312_1378:                           ;   in Loop: Header=BB312_16 Depth=1
	s_or_b32 exec_lo, exec_lo, s26
.LBB312_1379:                           ;   in Loop: Header=BB312_16 Depth=1
	s_or_b32 exec_lo, exec_lo, s25
	v_lshrrev_b32_e32 v8, 16, v31
	v_cmp_ne_u16_sdwa s5, v8, v9 src0_sel:BYTE_0 src1_sel:DWORD
	s_and_saveexec_b32 s25, s5
	s_cbranch_execz .LBB312_1387
; %bb.1380:                             ;   in Loop: Header=BB312_16 Depth=1
	v_cmp_ne_u16_sdwa s5, v8, v68 src0_sel:BYTE_0 src1_sel:DWORD
	v_mov_b32_e32 v67, 0x8000
	s_and_saveexec_b32 s26, s5
	s_cbranch_execz .LBB312_1386
; %bb.1381:                             ;   in Loop: Header=BB312_16 Depth=1
	v_bfe_u32 v3, v31, 16, 7
	v_mov_b32_e32 v67, 0x7c01
	s_mov_b32 s27, exec_lo
	v_cmpx_ne_u32_e32 0x7f, v3
	s_cbranch_execz .LBB312_1385
; %bb.1382:                             ;   in Loop: Header=BB312_16 Depth=1
	v_and_b32_e32 v1, 7, v8
	v_lshrrev_b32_e32 v2, 3, v3
	s_mov_b32 s28, exec_lo
	v_cmpx_gt_u32_e32 8, v3
; %bb.1383:                             ;   in Loop: Header=BB312_16 Depth=1
	v_ffbh_u32_e32 v1, v1
	v_min_u32_e32 v3, 32, v1
	v_subrev_nc_u32_e32 v1, 28, v3
	v_lshlrev_b64 v[1:2], v1, v[8:9]
	v_sub_nc_u32_e32 v2, 29, v3
	v_and_b32_e32 v1, 7, v1
; %bb.1384:                             ;   in Loop: Header=BB312_16 Depth=1
	s_or_b32 exec_lo, exec_lo, s28
	v_lshlrev_b32_e32 v3, 8, v8
	v_lshl_add_u32 v2, v2, 10, 0x2000
	v_lshlrev_b32_e32 v1, 7, v1
	v_and_b32_e32 v3, 0x8000, v3
	v_and_b32_e32 v2, 0xfc00, v2
	v_or3_b32 v67, v3, v2, v1
.LBB312_1385:                           ;   in Loop: Header=BB312_16 Depth=1
	s_or_b32 exec_lo, exec_lo, s27
.LBB312_1386:                           ;   in Loop: Header=BB312_16 Depth=1
	s_or_b32 exec_lo, exec_lo, s26
.LBB312_1387:                           ;   in Loop: Header=BB312_16 Depth=1
	s_or_b32 exec_lo, exec_lo, s25
	v_mov_b32_e32 v61, 0
	v_mov_b32_e32 v96, 0
	s_mov_b32 s25, exec_lo
	v_cmpx_lt_u32_e32 0xffffff, v31
	s_cbranch_execz .LBB312_1395
; %bb.1388:                             ;   in Loop: Header=BB312_16 Depth=1
	v_lshrrev_b32_e32 v8, 24, v31
	v_bfrev_b32_e32 v96, 1
	s_mov_b32 s26, exec_lo
	v_cmpx_ne_u32_e32 0x80, v8
	s_cbranch_execz .LBB312_1394
; %bb.1389:                             ;   in Loop: Header=BB312_16 Depth=1
	v_and_b32_e32 v3, 0x7f, v8
	v_mov_b32_e32 v96, 0x7c010000
	s_mov_b32 s27, exec_lo
	v_cmpx_ne_u32_e32 0x7f, v3
	s_cbranch_execz .LBB312_1393
; %bb.1390:                             ;   in Loop: Header=BB312_16 Depth=1
	v_and_b32_e32 v1, 7, v8
	v_lshrrev_b32_e32 v2, 3, v3
	s_mov_b32 s28, exec_lo
	v_cmpx_gt_u32_e32 8, v3
; %bb.1391:                             ;   in Loop: Header=BB312_16 Depth=1
	v_ffbh_u32_e32 v1, v1
	v_min_u32_e32 v3, 32, v1
	v_subrev_nc_u32_e32 v1, 28, v3
	v_lshlrev_b64 v[1:2], v1, v[8:9]
	v_sub_nc_u32_e32 v2, 29, v3
	v_and_b32_e32 v1, 7, v1
; %bb.1392:                             ;   in Loop: Header=BB312_16 Depth=1
	s_or_b32 exec_lo, exec_lo, s28
	v_lshlrev_b32_e32 v3, 8, v8
	v_lshl_add_u32 v2, v2, 10, 0x2000
	v_lshlrev_b32_e32 v1, 23, v1
	v_and_or_b32 v2, 0x8000, v3, v2
	v_lshl_or_b32 v96, v2, 16, v1
.LBB312_1393:                           ;   in Loop: Header=BB312_16 Depth=1
	s_or_b32 exec_lo, exec_lo, s27
.LBB312_1394:                           ;   in Loop: Header=BB312_16 Depth=1
	s_or_b32 exec_lo, exec_lo, s26
.LBB312_1395:                           ;   in Loop: Header=BB312_16 Depth=1
	s_or_b32 exec_lo, exec_lo, s25
	v_mov_b32_e32 v8, v32
	v_cmp_ne_u16_sdwa s5, v32, v9 src0_sel:BYTE_0 src1_sel:DWORD
	s_and_saveexec_b32 s25, s5
	s_cbranch_execz .LBB312_1403
; %bb.1396:                             ;   in Loop: Header=BB312_16 Depth=1
	v_cmp_ne_u16_sdwa s5, v32, v68 src0_sel:BYTE_0 src1_sel:DWORD
	v_mov_b32_e32 v61, 0x8000
	s_and_saveexec_b32 s26, s5
	s_cbranch_execz .LBB312_1402
; %bb.1397:                             ;   in Loop: Header=BB312_16 Depth=1
	v_and_b32_e32 v3, 0x7f, v32
	v_mov_b32_e32 v61, 0x7c01
	s_mov_b32 s27, exec_lo
	v_cmpx_ne_u32_e32 0x7f, v3
	s_cbranch_execz .LBB312_1401
; %bb.1398:                             ;   in Loop: Header=BB312_16 Depth=1
	v_and_b32_e32 v1, 7, v32
	v_lshrrev_b32_e32 v2, 3, v3
	s_mov_b32 s28, exec_lo
	v_cmpx_gt_u32_e32 8, v3
; %bb.1399:                             ;   in Loop: Header=BB312_16 Depth=1
	v_ffbh_u32_e32 v1, v1
	v_min_u32_e32 v3, 32, v1
	v_subrev_nc_u32_e32 v1, 28, v3
	v_lshlrev_b64 v[1:2], v1, v[8:9]
	v_sub_nc_u32_e32 v2, 29, v3
	v_and_b32_e32 v1, 7, v1
; %bb.1400:                             ;   in Loop: Header=BB312_16 Depth=1
	s_or_b32 exec_lo, exec_lo, s28
	v_lshlrev_b32_e32 v3, 8, v32
	v_lshl_add_u32 v2, v2, 10, 0x2000
	v_lshlrev_b32_e32 v1, 7, v1
	v_and_b32_e32 v3, 0x8000, v3
	v_and_b32_e32 v2, 0xfc00, v2
	v_or3_b32 v61, v3, v2, v1
.LBB312_1401:                           ;   in Loop: Header=BB312_16 Depth=1
	s_or_b32 exec_lo, exec_lo, s27
.LBB312_1402:                           ;   in Loop: Header=BB312_16 Depth=1
	s_or_b32 exec_lo, exec_lo, s26
.LBB312_1403:                           ;   in Loop: Header=BB312_16 Depth=1
	s_or_b32 exec_lo, exec_lo, s25
	v_lshrrev_b16 v8, 8, v8
	v_mov_b32_e32 v77, 0
	v_mov_b32_e32 v25, 0
	s_mov_b32 s25, exec_lo
	v_cmpx_ne_u16_e32 0, v8
	s_cbranch_execz .LBB312_1411
; %bb.1404:                             ;   in Loop: Header=BB312_16 Depth=1
	v_bfrev_b32_e32 v25, 1
	s_mov_b32 s26, exec_lo
	v_cmpx_ne_u16_e32 0x80, v8
	s_cbranch_execz .LBB312_1410
; %bb.1405:                             ;   in Loop: Header=BB312_16 Depth=1
	v_mov_b32_e32 v1, 0x7f
	v_mov_b32_e32 v25, 0x7c010000
	s_mov_b32 s27, exec_lo
	v_and_b32_sdwa v3, v8, v1 dst_sel:DWORD dst_unused:UNUSED_PAD src0_sel:WORD_0 src1_sel:DWORD
	v_cmpx_ne_u32_e32 0x7f, v3
	s_cbranch_execz .LBB312_1409
; %bb.1406:                             ;   in Loop: Header=BB312_16 Depth=1
	v_mov_b32_e32 v1, 7
	v_lshrrev_b32_e32 v2, 3, v3
	s_mov_b32 s28, exec_lo
	v_and_b32_sdwa v1, v8, v1 dst_sel:DWORD dst_unused:UNUSED_PAD src0_sel:WORD_0 src1_sel:DWORD
	v_cmpx_gt_u32_e32 8, v3
; %bb.1407:                             ;   in Loop: Header=BB312_16 Depth=1
	v_ffbh_u32_e32 v1, v1
	v_min_u32_e32 v3, 32, v1
	v_subrev_nc_u32_e32 v1, 28, v3
	v_lshlrev_b64 v[1:2], v1, v[8:9]
	v_sub_nc_u32_e32 v2, 29, v3
	v_and_b32_e32 v1, 7, v1
; %bb.1408:                             ;   in Loop: Header=BB312_16 Depth=1
	s_or_b32 exec_lo, exec_lo, s28
	v_mov_b32_e32 v3, 8
	v_lshl_add_u32 v2, v2, 10, 0x2000
	v_lshlrev_b32_e32 v1, 23, v1
	v_lshlrev_b32_sdwa v3, v3, v8 dst_sel:DWORD dst_unused:UNUSED_PAD src0_sel:DWORD src1_sel:WORD_0
	v_and_or_b32 v2, 0x8000, v3, v2
	v_lshl_or_b32 v25, v2, 16, v1
.LBB312_1409:                           ;   in Loop: Header=BB312_16 Depth=1
	s_or_b32 exec_lo, exec_lo, s27
.LBB312_1410:                           ;   in Loop: Header=BB312_16 Depth=1
	s_or_b32 exec_lo, exec_lo, s26
.LBB312_1411:                           ;   in Loop: Header=BB312_16 Depth=1
	s_or_b32 exec_lo, exec_lo, s25
	v_lshrrev_b32_e32 v8, 16, v32
	v_cmp_ne_u16_sdwa s5, v8, v9 src0_sel:BYTE_0 src1_sel:DWORD
	s_and_saveexec_b32 s25, s5
	s_cbranch_execz .LBB312_1419
; %bb.1412:                             ;   in Loop: Header=BB312_16 Depth=1
	v_cmp_ne_u16_sdwa s5, v8, v68 src0_sel:BYTE_0 src1_sel:DWORD
	v_mov_b32_e32 v77, 0x8000
	s_and_saveexec_b32 s26, s5
	s_cbranch_execz .LBB312_1418
; %bb.1413:                             ;   in Loop: Header=BB312_16 Depth=1
	v_bfe_u32 v3, v32, 16, 7
	v_mov_b32_e32 v77, 0x7c01
	s_mov_b32 s27, exec_lo
	v_cmpx_ne_u32_e32 0x7f, v3
	s_cbranch_execz .LBB312_1417
; %bb.1414:                             ;   in Loop: Header=BB312_16 Depth=1
	v_and_b32_e32 v1, 7, v8
	v_lshrrev_b32_e32 v2, 3, v3
	s_mov_b32 s28, exec_lo
	v_cmpx_gt_u32_e32 8, v3
; %bb.1415:                             ;   in Loop: Header=BB312_16 Depth=1
	v_ffbh_u32_e32 v1, v1
	v_min_u32_e32 v3, 32, v1
	v_subrev_nc_u32_e32 v1, 28, v3
	v_lshlrev_b64 v[1:2], v1, v[8:9]
	v_sub_nc_u32_e32 v2, 29, v3
	v_and_b32_e32 v1, 7, v1
; %bb.1416:                             ;   in Loop: Header=BB312_16 Depth=1
	s_or_b32 exec_lo, exec_lo, s28
	v_lshlrev_b32_e32 v3, 8, v8
	v_lshl_add_u32 v2, v2, 10, 0x2000
	v_lshlrev_b32_e32 v1, 7, v1
	v_and_b32_e32 v3, 0x8000, v3
	v_and_b32_e32 v2, 0xfc00, v2
	v_or3_b32 v77, v3, v2, v1
.LBB312_1417:                           ;   in Loop: Header=BB312_16 Depth=1
	s_or_b32 exec_lo, exec_lo, s27
.LBB312_1418:                           ;   in Loop: Header=BB312_16 Depth=1
	s_or_b32 exec_lo, exec_lo, s26
.LBB312_1419:                           ;   in Loop: Header=BB312_16 Depth=1
	s_or_b32 exec_lo, exec_lo, s25
	v_mov_b32_e32 v90, 0
	v_mov_b32_e32 v88, 0
	s_mov_b32 s25, exec_lo
	v_cmpx_lt_u64_e64 s[20:21], v[31:32]
	s_cbranch_execz .LBB312_1427
; %bb.1420:                             ;   in Loop: Header=BB312_16 Depth=1
	v_lshrrev_b32_e32 v8, 24, v32
	v_bfrev_b32_e32 v88, 1
	s_mov_b32 s26, exec_lo
	v_cmpx_ne_u32_e32 0x80, v8
	s_cbranch_execz .LBB312_1426
; %bb.1421:                             ;   in Loop: Header=BB312_16 Depth=1
	v_and_b32_e32 v3, 0x7f, v8
	v_mov_b32_e32 v88, 0x7c010000
	s_mov_b32 s27, exec_lo
	v_cmpx_ne_u32_e32 0x7f, v3
	s_cbranch_execz .LBB312_1425
; %bb.1422:                             ;   in Loop: Header=BB312_16 Depth=1
	v_and_b32_e32 v1, 7, v8
	v_lshrrev_b32_e32 v2, 3, v3
	s_mov_b32 s28, exec_lo
	v_cmpx_gt_u32_e32 8, v3
; %bb.1423:                             ;   in Loop: Header=BB312_16 Depth=1
	v_ffbh_u32_e32 v1, v1
	v_min_u32_e32 v3, 32, v1
	v_subrev_nc_u32_e32 v1, 28, v3
	v_lshlrev_b64 v[1:2], v1, v[8:9]
	v_sub_nc_u32_e32 v2, 29, v3
	v_and_b32_e32 v1, 7, v1
; %bb.1424:                             ;   in Loop: Header=BB312_16 Depth=1
	s_or_b32 exec_lo, exec_lo, s28
	v_lshlrev_b32_e32 v3, 8, v8
	v_lshl_add_u32 v2, v2, 10, 0x2000
	v_lshlrev_b32_e32 v1, 23, v1
	v_and_or_b32 v2, 0x8000, v3, v2
	v_lshl_or_b32 v88, v2, 16, v1
.LBB312_1425:                           ;   in Loop: Header=BB312_16 Depth=1
	s_or_b32 exec_lo, exec_lo, s27
.LBB312_1426:                           ;   in Loop: Header=BB312_16 Depth=1
	s_or_b32 exec_lo, exec_lo, s26
.LBB312_1427:                           ;   in Loop: Header=BB312_16 Depth=1
	s_or_b32 exec_lo, exec_lo, s25
	flat_load_dwordx2 v[31:32], v[28:29] offset:1536
	s_waitcnt vmcnt(0) lgkmcnt(0)
	v_cmp_ne_u16_sdwa s5, v31, v9 src0_sel:BYTE_0 src1_sel:DWORD
	s_and_saveexec_b32 s25, s5
	s_cbranch_execz .LBB312_1435
; %bb.1428:                             ;   in Loop: Header=BB312_16 Depth=1
	v_cmp_ne_u16_sdwa s5, v31, v68 src0_sel:BYTE_0 src1_sel:DWORD
	v_mov_b32_e32 v90, 0x8000
	s_and_saveexec_b32 s26, s5
	s_cbranch_execz .LBB312_1434
; %bb.1429:                             ;   in Loop: Header=BB312_16 Depth=1
	v_and_b32_e32 v3, 0x7f, v31
	v_mov_b32_e32 v90, 0x7c01
	s_mov_b32 s27, exec_lo
	v_cmpx_ne_u32_e32 0x7f, v3
	s_cbranch_execz .LBB312_1433
; %bb.1430:                             ;   in Loop: Header=BB312_16 Depth=1
	v_and_b32_e32 v1, 7, v31
	v_lshrrev_b32_e32 v2, 3, v3
	s_mov_b32 s28, exec_lo
	v_cmpx_gt_u32_e32 8, v3
; %bb.1431:                             ;   in Loop: Header=BB312_16 Depth=1
	v_ffbh_u32_e32 v1, v1
	v_min_u32_e32 v3, 32, v1
	v_subrev_nc_u32_e32 v1, 28, v3
	v_lshlrev_b64 v[1:2], v1, v[31:32]
	v_sub_nc_u32_e32 v2, 29, v3
	v_and_b32_e32 v1, 7, v1
; %bb.1432:                             ;   in Loop: Header=BB312_16 Depth=1
	s_or_b32 exec_lo, exec_lo, s28
	v_lshlrev_b32_e32 v3, 8, v31
	v_lshl_add_u32 v2, v2, 10, 0x2000
	v_lshlrev_b32_e32 v1, 7, v1
	v_and_b32_e32 v3, 0x8000, v3
	v_and_b32_e32 v2, 0xfc00, v2
	v_or3_b32 v90, v3, v2, v1
.LBB312_1433:                           ;   in Loop: Header=BB312_16 Depth=1
	s_or_b32 exec_lo, exec_lo, s27
.LBB312_1434:                           ;   in Loop: Header=BB312_16 Depth=1
	s_or_b32 exec_lo, exec_lo, s26
.LBB312_1435:                           ;   in Loop: Header=BB312_16 Depth=1
	s_or_b32 exec_lo, exec_lo, s25
	v_lshrrev_b16 v8, 8, v31
	v_mov_b32_e32 v75, 0
	v_mov_b32_e32 v24, 0
	s_mov_b32 s25, exec_lo
	v_cmpx_ne_u16_e32 0, v8
	s_cbranch_execz .LBB312_1443
; %bb.1436:                             ;   in Loop: Header=BB312_16 Depth=1
	v_bfrev_b32_e32 v24, 1
	s_mov_b32 s26, exec_lo
	v_cmpx_ne_u16_e32 0x80, v8
	s_cbranch_execz .LBB312_1442
; %bb.1437:                             ;   in Loop: Header=BB312_16 Depth=1
	v_mov_b32_e32 v1, 0x7f
	v_mov_b32_e32 v24, 0x7c010000
	s_mov_b32 s27, exec_lo
	v_and_b32_sdwa v3, v8, v1 dst_sel:DWORD dst_unused:UNUSED_PAD src0_sel:WORD_0 src1_sel:DWORD
	v_cmpx_ne_u32_e32 0x7f, v3
	s_cbranch_execz .LBB312_1441
; %bb.1438:                             ;   in Loop: Header=BB312_16 Depth=1
	v_mov_b32_e32 v1, 7
	v_lshrrev_b32_e32 v2, 3, v3
	s_mov_b32 s28, exec_lo
	v_and_b32_sdwa v1, v8, v1 dst_sel:DWORD dst_unused:UNUSED_PAD src0_sel:WORD_0 src1_sel:DWORD
	v_cmpx_gt_u32_e32 8, v3
; %bb.1439:                             ;   in Loop: Header=BB312_16 Depth=1
	v_ffbh_u32_e32 v1, v1
	v_min_u32_e32 v3, 32, v1
	v_subrev_nc_u32_e32 v1, 28, v3
	v_lshlrev_b64 v[1:2], v1, v[8:9]
	v_sub_nc_u32_e32 v2, 29, v3
	v_and_b32_e32 v1, 7, v1
; %bb.1440:                             ;   in Loop: Header=BB312_16 Depth=1
	s_or_b32 exec_lo, exec_lo, s28
	v_mov_b32_e32 v3, 8
	v_lshl_add_u32 v2, v2, 10, 0x2000
	v_lshlrev_b32_e32 v1, 23, v1
	v_lshlrev_b32_sdwa v3, v3, v8 dst_sel:DWORD dst_unused:UNUSED_PAD src0_sel:DWORD src1_sel:WORD_0
	v_and_or_b32 v2, 0x8000, v3, v2
	v_lshl_or_b32 v24, v2, 16, v1
.LBB312_1441:                           ;   in Loop: Header=BB312_16 Depth=1
	s_or_b32 exec_lo, exec_lo, s27
.LBB312_1442:                           ;   in Loop: Header=BB312_16 Depth=1
	s_or_b32 exec_lo, exec_lo, s26
.LBB312_1443:                           ;   in Loop: Header=BB312_16 Depth=1
	s_or_b32 exec_lo, exec_lo, s25
	v_lshrrev_b32_e32 v8, 16, v31
	v_cmp_ne_u16_sdwa s5, v8, v9 src0_sel:BYTE_0 src1_sel:DWORD
	s_and_saveexec_b32 s25, s5
	s_cbranch_execz .LBB312_1451
; %bb.1444:                             ;   in Loop: Header=BB312_16 Depth=1
	v_cmp_ne_u16_sdwa s5, v8, v68 src0_sel:BYTE_0 src1_sel:DWORD
	v_mov_b32_e32 v75, 0x8000
	s_and_saveexec_b32 s26, s5
	s_cbranch_execz .LBB312_1450
; %bb.1445:                             ;   in Loop: Header=BB312_16 Depth=1
	v_bfe_u32 v3, v31, 16, 7
	v_mov_b32_e32 v75, 0x7c01
	s_mov_b32 s27, exec_lo
	v_cmpx_ne_u32_e32 0x7f, v3
	s_cbranch_execz .LBB312_1449
; %bb.1446:                             ;   in Loop: Header=BB312_16 Depth=1
	v_and_b32_e32 v1, 7, v8
	v_lshrrev_b32_e32 v2, 3, v3
	s_mov_b32 s28, exec_lo
	v_cmpx_gt_u32_e32 8, v3
; %bb.1447:                             ;   in Loop: Header=BB312_16 Depth=1
	v_ffbh_u32_e32 v1, v1
	v_min_u32_e32 v3, 32, v1
	v_subrev_nc_u32_e32 v1, 28, v3
	v_lshlrev_b64 v[1:2], v1, v[8:9]
	v_sub_nc_u32_e32 v2, 29, v3
	v_and_b32_e32 v1, 7, v1
; %bb.1448:                             ;   in Loop: Header=BB312_16 Depth=1
	s_or_b32 exec_lo, exec_lo, s28
	v_lshlrev_b32_e32 v3, 8, v8
	v_lshl_add_u32 v2, v2, 10, 0x2000
	v_lshlrev_b32_e32 v1, 7, v1
	v_and_b32_e32 v3, 0x8000, v3
	v_and_b32_e32 v2, 0xfc00, v2
	v_or3_b32 v75, v3, v2, v1
.LBB312_1449:                           ;   in Loop: Header=BB312_16 Depth=1
	s_or_b32 exec_lo, exec_lo, s27
.LBB312_1450:                           ;   in Loop: Header=BB312_16 Depth=1
	s_or_b32 exec_lo, exec_lo, s26
.LBB312_1451:                           ;   in Loop: Header=BB312_16 Depth=1
	s_or_b32 exec_lo, exec_lo, s25
	v_mov_b32_e32 v3, 0
	v_mov_b32_e32 v93, 0
	s_mov_b32 s25, exec_lo
	v_cmpx_lt_u32_e32 0xffffff, v31
	s_cbranch_execz .LBB312_1459
; %bb.1452:                             ;   in Loop: Header=BB312_16 Depth=1
	v_lshrrev_b32_e32 v8, 24, v31
	v_bfrev_b32_e32 v93, 1
	s_mov_b32 s26, exec_lo
	v_cmpx_ne_u32_e32 0x80, v8
	s_cbranch_execz .LBB312_1458
; %bb.1453:                             ;   in Loop: Header=BB312_16 Depth=1
	v_and_b32_e32 v13, 0x7f, v8
	v_mov_b32_e32 v93, 0x7c010000
	s_mov_b32 s27, exec_lo
	v_cmpx_ne_u32_e32 0x7f, v13
	s_cbranch_execz .LBB312_1457
; %bb.1454:                             ;   in Loop: Header=BB312_16 Depth=1
	v_and_b32_e32 v1, 7, v8
	v_lshrrev_b32_e32 v2, 3, v13
	s_mov_b32 s28, exec_lo
	v_cmpx_gt_u32_e32 8, v13
; %bb.1455:                             ;   in Loop: Header=BB312_16 Depth=1
	v_ffbh_u32_e32 v1, v1
	v_min_u32_e32 v13, 32, v1
	v_subrev_nc_u32_e32 v1, 28, v13
	v_lshlrev_b64 v[1:2], v1, v[8:9]
	v_sub_nc_u32_e32 v2, 29, v13
	v_and_b32_e32 v1, 7, v1
; %bb.1456:                             ;   in Loop: Header=BB312_16 Depth=1
	s_or_b32 exec_lo, exec_lo, s28
	v_lshlrev_b32_e32 v8, 8, v8
	v_lshl_add_u32 v2, v2, 10, 0x2000
	v_lshlrev_b32_e32 v1, 23, v1
	v_and_or_b32 v2, 0x8000, v8, v2
	v_lshl_or_b32 v93, v2, 16, v1
.LBB312_1457:                           ;   in Loop: Header=BB312_16 Depth=1
	s_or_b32 exec_lo, exec_lo, s27
.LBB312_1458:                           ;   in Loop: Header=BB312_16 Depth=1
	s_or_b32 exec_lo, exec_lo, s26
.LBB312_1459:                           ;   in Loop: Header=BB312_16 Depth=1
	s_or_b32 exec_lo, exec_lo, s25
	v_mov_b32_e32 v8, v32
	v_cmp_ne_u16_sdwa s5, v32, v9 src0_sel:BYTE_0 src1_sel:DWORD
	s_and_saveexec_b32 s25, s5
	s_cbranch_execz .LBB312_1467
; %bb.1460:                             ;   in Loop: Header=BB312_16 Depth=1
	v_cmp_ne_u16_sdwa s5, v32, v68 src0_sel:BYTE_0 src1_sel:DWORD
	v_mov_b32_e32 v3, 0x8000
	s_and_saveexec_b32 s26, s5
	s_cbranch_execz .LBB312_1466
; %bb.1461:                             ;   in Loop: Header=BB312_16 Depth=1
	v_and_b32_e32 v13, 0x7f, v32
	v_mov_b32_e32 v3, 0x7c01
	s_mov_b32 s27, exec_lo
	v_cmpx_ne_u32_e32 0x7f, v13
	s_cbranch_execz .LBB312_1465
; %bb.1462:                             ;   in Loop: Header=BB312_16 Depth=1
	v_and_b32_e32 v1, 7, v32
	v_lshrrev_b32_e32 v2, 3, v13
	s_mov_b32 s28, exec_lo
	v_cmpx_gt_u32_e32 8, v13
; %bb.1463:                             ;   in Loop: Header=BB312_16 Depth=1
	v_ffbh_u32_e32 v1, v1
	v_min_u32_e32 v3, 32, v1
	v_subrev_nc_u32_e32 v1, 28, v3
	v_lshlrev_b64 v[1:2], v1, v[8:9]
	v_sub_nc_u32_e32 v2, 29, v3
	v_and_b32_e32 v1, 7, v1
; %bb.1464:                             ;   in Loop: Header=BB312_16 Depth=1
	s_or_b32 exec_lo, exec_lo, s28
	v_lshlrev_b32_e32 v3, 8, v32
	v_lshl_add_u32 v2, v2, 10, 0x2000
	v_lshlrev_b32_e32 v1, 7, v1
	v_and_b32_e32 v3, 0x8000, v3
	v_and_b32_e32 v2, 0xfc00, v2
	v_or3_b32 v3, v3, v2, v1
.LBB312_1465:                           ;   in Loop: Header=BB312_16 Depth=1
	s_or_b32 exec_lo, exec_lo, s27
.LBB312_1466:                           ;   in Loop: Header=BB312_16 Depth=1
	s_or_b32 exec_lo, exec_lo, s26
.LBB312_1467:                           ;   in Loop: Header=BB312_16 Depth=1
	s_or_b32 exec_lo, exec_lo, s25
	v_lshrrev_b16 v8, 8, v8
	v_mov_b32_e32 v16, 0
	v_mov_b32_e32 v104, 0
	s_mov_b32 s25, exec_lo
	v_cmpx_ne_u16_e32 0, v8
	s_cbranch_execz .LBB312_1475
; %bb.1468:                             ;   in Loop: Header=BB312_16 Depth=1
	v_bfrev_b32_e32 v104, 1
	s_mov_b32 s26, exec_lo
	v_cmpx_ne_u16_e32 0x80, v8
	s_cbranch_execz .LBB312_1474
; %bb.1469:                             ;   in Loop: Header=BB312_16 Depth=1
	v_mov_b32_e32 v1, 0x7f
	v_mov_b32_e32 v104, 0x7c010000
	s_mov_b32 s27, exec_lo
	v_and_b32_sdwa v13, v8, v1 dst_sel:DWORD dst_unused:UNUSED_PAD src0_sel:WORD_0 src1_sel:DWORD
	v_cmpx_ne_u32_e32 0x7f, v13
	s_cbranch_execz .LBB312_1473
; %bb.1470:                             ;   in Loop: Header=BB312_16 Depth=1
	v_mov_b32_e32 v1, 7
	v_lshrrev_b32_e32 v2, 3, v13
	s_mov_b32 s28, exec_lo
	v_and_b32_sdwa v1, v8, v1 dst_sel:DWORD dst_unused:UNUSED_PAD src0_sel:WORD_0 src1_sel:DWORD
	v_cmpx_gt_u32_e32 8, v13
; %bb.1471:                             ;   in Loop: Header=BB312_16 Depth=1
	v_ffbh_u32_e32 v1, v1
	v_min_u32_e32 v13, 32, v1
	v_subrev_nc_u32_e32 v1, 28, v13
	v_lshlrev_b64 v[1:2], v1, v[8:9]
	v_sub_nc_u32_e32 v2, 29, v13
	v_and_b32_e32 v1, 7, v1
; %bb.1472:                             ;   in Loop: Header=BB312_16 Depth=1
	s_or_b32 exec_lo, exec_lo, s28
	v_mov_b32_e32 v13, 8
	v_lshl_add_u32 v2, v2, 10, 0x2000
	v_lshlrev_b32_e32 v1, 23, v1
	v_lshlrev_b32_sdwa v8, v13, v8 dst_sel:DWORD dst_unused:UNUSED_PAD src0_sel:DWORD src1_sel:WORD_0
	v_and_or_b32 v2, 0x8000, v8, v2
	v_lshl_or_b32 v104, v2, 16, v1
.LBB312_1473:                           ;   in Loop: Header=BB312_16 Depth=1
	s_or_b32 exec_lo, exec_lo, s27
.LBB312_1474:                           ;   in Loop: Header=BB312_16 Depth=1
	s_or_b32 exec_lo, exec_lo, s26
.LBB312_1475:                           ;   in Loop: Header=BB312_16 Depth=1
	s_or_b32 exec_lo, exec_lo, s25
	v_lshrrev_b32_e32 v8, 16, v32
	v_cmp_ne_u16_sdwa s5, v8, v9 src0_sel:BYTE_0 src1_sel:DWORD
	s_and_saveexec_b32 s25, s5
	s_cbranch_execz .LBB312_1483
; %bb.1476:                             ;   in Loop: Header=BB312_16 Depth=1
	v_cmp_ne_u16_sdwa s5, v8, v68 src0_sel:BYTE_0 src1_sel:DWORD
	v_mov_b32_e32 v16, 0x8000
	s_and_saveexec_b32 s26, s5
	s_cbranch_execz .LBB312_1482
; %bb.1477:                             ;   in Loop: Header=BB312_16 Depth=1
	v_bfe_u32 v13, v32, 16, 7
	v_mov_b32_e32 v16, 0x7c01
	s_mov_b32 s27, exec_lo
	v_cmpx_ne_u32_e32 0x7f, v13
	s_cbranch_execz .LBB312_1481
; %bb.1478:                             ;   in Loop: Header=BB312_16 Depth=1
	v_and_b32_e32 v1, 7, v8
	v_lshrrev_b32_e32 v2, 3, v13
	s_mov_b32 s28, exec_lo
	v_cmpx_gt_u32_e32 8, v13
; %bb.1479:                             ;   in Loop: Header=BB312_16 Depth=1
	v_ffbh_u32_e32 v1, v1
	v_min_u32_e32 v13, 32, v1
	v_subrev_nc_u32_e32 v1, 28, v13
	v_lshlrev_b64 v[1:2], v1, v[8:9]
	v_sub_nc_u32_e32 v2, 29, v13
	v_and_b32_e32 v1, 7, v1
; %bb.1480:                             ;   in Loop: Header=BB312_16 Depth=1
	s_or_b32 exec_lo, exec_lo, s28
	v_lshlrev_b32_e32 v8, 8, v8
	v_lshl_add_u32 v2, v2, 10, 0x2000
	v_lshlrev_b32_e32 v1, 7, v1
	v_and_b32_e32 v8, 0x8000, v8
	v_and_b32_e32 v2, 0xfc00, v2
	v_or3_b32 v16, v8, v2, v1
.LBB312_1481:                           ;   in Loop: Header=BB312_16 Depth=1
	s_or_b32 exec_lo, exec_lo, s27
.LBB312_1482:                           ;   in Loop: Header=BB312_16 Depth=1
	s_or_b32 exec_lo, exec_lo, s26
.LBB312_1483:                           ;   in Loop: Header=BB312_16 Depth=1
	s_or_b32 exec_lo, exec_lo, s25
	v_cmp_lt_u64_e64 s5, s[20:21], v[31:32]
	v_mov_b32_e32 v31, 0
	v_mov_b32_e32 v15, 0
	s_and_saveexec_b32 s25, s5
	s_cbranch_execz .LBB312_1491
; %bb.1484:                             ;   in Loop: Header=BB312_16 Depth=1
	v_lshrrev_b32_e32 v8, 24, v32
	v_bfrev_b32_e32 v15, 1
	s_mov_b32 s26, exec_lo
	v_cmpx_ne_u32_e32 0x80, v8
	s_cbranch_execz .LBB312_1490
; %bb.1485:                             ;   in Loop: Header=BB312_16 Depth=1
	v_and_b32_e32 v13, 0x7f, v8
	v_mov_b32_e32 v15, 0x7c010000
	s_mov_b32 s27, exec_lo
	v_cmpx_ne_u32_e32 0x7f, v13
	s_cbranch_execz .LBB312_1489
; %bb.1486:                             ;   in Loop: Header=BB312_16 Depth=1
	v_and_b32_e32 v1, 7, v8
	v_lshrrev_b32_e32 v2, 3, v13
	s_mov_b32 s28, exec_lo
	v_cmpx_gt_u32_e32 8, v13
; %bb.1487:                             ;   in Loop: Header=BB312_16 Depth=1
	v_ffbh_u32_e32 v1, v1
	v_min_u32_e32 v13, 32, v1
	v_subrev_nc_u32_e32 v1, 28, v13
	v_lshlrev_b64 v[1:2], v1, v[8:9]
	v_sub_nc_u32_e32 v2, 29, v13
	v_and_b32_e32 v1, 7, v1
; %bb.1488:                             ;   in Loop: Header=BB312_16 Depth=1
	s_or_b32 exec_lo, exec_lo, s28
	v_lshlrev_b32_e32 v8, 8, v8
	v_lshl_add_u32 v2, v2, 10, 0x2000
	v_lshlrev_b32_e32 v1, 23, v1
	v_and_or_b32 v2, 0x8000, v8, v2
	v_lshl_or_b32 v15, v2, 16, v1
.LBB312_1489:                           ;   in Loop: Header=BB312_16 Depth=1
	s_or_b32 exec_lo, exec_lo, s27
.LBB312_1490:                           ;   in Loop: Header=BB312_16 Depth=1
	s_or_b32 exec_lo, exec_lo, s26
.LBB312_1491:                           ;   in Loop: Header=BB312_16 Depth=1
	s_or_b32 exec_lo, exec_lo, s25
	flat_load_dwordx2 v[28:29], v[28:29] offset:1544
	s_waitcnt vmcnt(0) lgkmcnt(0)
	v_cmp_ne_u16_sdwa s5, v28, v9 src0_sel:BYTE_0 src1_sel:DWORD
	s_and_saveexec_b32 s25, s5
	s_cbranch_execz .LBB312_1499
; %bb.1492:                             ;   in Loop: Header=BB312_16 Depth=1
	v_cmp_ne_u16_sdwa s5, v28, v68 src0_sel:BYTE_0 src1_sel:DWORD
	v_mov_b32_e32 v31, 0x8000
	s_and_saveexec_b32 s26, s5
	s_cbranch_execz .LBB312_1498
; %bb.1493:                             ;   in Loop: Header=BB312_16 Depth=1
	v_and_b32_e32 v8, 0x7f, v28
	v_mov_b32_e32 v31, 0x7c01
	s_mov_b32 s27, exec_lo
	v_cmpx_ne_u32_e32 0x7f, v8
	s_cbranch_execz .LBB312_1497
; %bb.1494:                             ;   in Loop: Header=BB312_16 Depth=1
	v_and_b32_e32 v1, 7, v28
	v_lshrrev_b32_e32 v2, 3, v8
	s_mov_b32 s28, exec_lo
	v_cmpx_gt_u32_e32 8, v8
; %bb.1495:                             ;   in Loop: Header=BB312_16 Depth=1
	v_ffbh_u32_e32 v1, v1
	v_min_u32_e32 v8, 32, v1
	v_subrev_nc_u32_e32 v1, 28, v8
	v_lshlrev_b64 v[1:2], v1, v[28:29]
	v_sub_nc_u32_e32 v2, 29, v8
	v_and_b32_e32 v1, 7, v1
; %bb.1496:                             ;   in Loop: Header=BB312_16 Depth=1
	s_or_b32 exec_lo, exec_lo, s28
	v_lshlrev_b32_e32 v8, 8, v28
	v_lshl_add_u32 v2, v2, 10, 0x2000
	v_lshlrev_b32_e32 v1, 7, v1
	v_and_b32_e32 v8, 0x8000, v8
	v_and_b32_e32 v2, 0xfc00, v2
	v_or3_b32 v31, v8, v2, v1
.LBB312_1497:                           ;   in Loop: Header=BB312_16 Depth=1
	s_or_b32 exec_lo, exec_lo, s27
.LBB312_1498:                           ;   in Loop: Header=BB312_16 Depth=1
	s_or_b32 exec_lo, exec_lo, s26
.LBB312_1499:                           ;   in Loop: Header=BB312_16 Depth=1
	s_or_b32 exec_lo, exec_lo, s25
	v_lshrrev_b16 v8, 8, v28
	v_mov_b32_e32 v86, 0
	v_mov_b32_e32 v32, 0
	s_mov_b32 s25, exec_lo
	v_cmpx_ne_u16_e32 0, v8
	s_cbranch_execz .LBB312_1507
; %bb.1500:                             ;   in Loop: Header=BB312_16 Depth=1
	v_bfrev_b32_e32 v32, 1
	s_mov_b32 s26, exec_lo
	v_cmpx_ne_u16_e32 0x80, v8
	s_cbranch_execz .LBB312_1506
; %bb.1501:                             ;   in Loop: Header=BB312_16 Depth=1
	v_mov_b32_e32 v1, 0x7f
	v_mov_b32_e32 v32, 0x7c010000
	s_mov_b32 s27, exec_lo
	v_and_b32_sdwa v13, v8, v1 dst_sel:DWORD dst_unused:UNUSED_PAD src0_sel:WORD_0 src1_sel:DWORD
	v_cmpx_ne_u32_e32 0x7f, v13
	s_cbranch_execz .LBB312_1505
; %bb.1502:                             ;   in Loop: Header=BB312_16 Depth=1
	v_mov_b32_e32 v1, 7
	v_lshrrev_b32_e32 v2, 3, v13
	s_mov_b32 s28, exec_lo
	v_and_b32_sdwa v1, v8, v1 dst_sel:DWORD dst_unused:UNUSED_PAD src0_sel:WORD_0 src1_sel:DWORD
	v_cmpx_gt_u32_e32 8, v13
; %bb.1503:                             ;   in Loop: Header=BB312_16 Depth=1
	v_ffbh_u32_e32 v1, v1
	v_min_u32_e32 v13, 32, v1
	v_subrev_nc_u32_e32 v1, 28, v13
	v_lshlrev_b64 v[1:2], v1, v[8:9]
	v_sub_nc_u32_e32 v2, 29, v13
	v_and_b32_e32 v1, 7, v1
; %bb.1504:                             ;   in Loop: Header=BB312_16 Depth=1
	s_or_b32 exec_lo, exec_lo, s28
	v_mov_b32_e32 v13, 8
	v_lshl_add_u32 v2, v2, 10, 0x2000
	v_lshlrev_b32_e32 v1, 23, v1
	v_lshlrev_b32_sdwa v8, v13, v8 dst_sel:DWORD dst_unused:UNUSED_PAD src0_sel:DWORD src1_sel:WORD_0
	v_and_or_b32 v2, 0x8000, v8, v2
	v_lshl_or_b32 v32, v2, 16, v1
.LBB312_1505:                           ;   in Loop: Header=BB312_16 Depth=1
	s_or_b32 exec_lo, exec_lo, s27
.LBB312_1506:                           ;   in Loop: Header=BB312_16 Depth=1
	s_or_b32 exec_lo, exec_lo, s26
.LBB312_1507:                           ;   in Loop: Header=BB312_16 Depth=1
	s_or_b32 exec_lo, exec_lo, s25
	v_lshrrev_b32_e32 v8, 16, v28
	v_cmp_ne_u16_sdwa s5, v8, v9 src0_sel:BYTE_0 src1_sel:DWORD
	s_and_saveexec_b32 s25, s5
	s_cbranch_execz .LBB312_1515
; %bb.1508:                             ;   in Loop: Header=BB312_16 Depth=1
	v_cmp_ne_u16_sdwa s5, v8, v68 src0_sel:BYTE_0 src1_sel:DWORD
	v_mov_b32_e32 v86, 0x8000
	s_and_saveexec_b32 s26, s5
	s_cbranch_execz .LBB312_1514
; %bb.1509:                             ;   in Loop: Header=BB312_16 Depth=1
	v_bfe_u32 v13, v28, 16, 7
	v_mov_b32_e32 v86, 0x7c01
	s_mov_b32 s27, exec_lo
	v_cmpx_ne_u32_e32 0x7f, v13
	s_cbranch_execz .LBB312_1513
; %bb.1510:                             ;   in Loop: Header=BB312_16 Depth=1
	v_and_b32_e32 v1, 7, v8
	v_lshrrev_b32_e32 v2, 3, v13
	s_mov_b32 s28, exec_lo
	v_cmpx_gt_u32_e32 8, v13
; %bb.1511:                             ;   in Loop: Header=BB312_16 Depth=1
	v_ffbh_u32_e32 v1, v1
	v_min_u32_e32 v13, 32, v1
	v_subrev_nc_u32_e32 v1, 28, v13
	v_lshlrev_b64 v[1:2], v1, v[8:9]
	v_sub_nc_u32_e32 v2, 29, v13
	v_and_b32_e32 v1, 7, v1
; %bb.1512:                             ;   in Loop: Header=BB312_16 Depth=1
	s_or_b32 exec_lo, exec_lo, s28
	v_lshlrev_b32_e32 v8, 8, v8
	v_lshl_add_u32 v2, v2, 10, 0x2000
	v_lshlrev_b32_e32 v1, 7, v1
	v_and_b32_e32 v8, 0x8000, v8
	v_and_b32_e32 v2, 0xfc00, v2
	v_or3_b32 v86, v8, v2, v1
.LBB312_1513:                           ;   in Loop: Header=BB312_16 Depth=1
	s_or_b32 exec_lo, exec_lo, s27
.LBB312_1514:                           ;   in Loop: Header=BB312_16 Depth=1
	s_or_b32 exec_lo, exec_lo, s26
.LBB312_1515:                           ;   in Loop: Header=BB312_16 Depth=1
	s_or_b32 exec_lo, exec_lo, s25
	v_mov_b32_e32 v2, 0
	v_mov_b32_e32 v109, 0
	s_mov_b32 s25, exec_lo
	v_cmpx_lt_u32_e32 0xffffff, v28
	s_cbranch_execz .LBB312_1523
; %bb.1516:                             ;   in Loop: Header=BB312_16 Depth=1
	v_lshrrev_b32_e32 v8, 24, v28
	v_bfrev_b32_e32 v109, 1
	s_mov_b32 s26, exec_lo
	v_cmpx_ne_u32_e32 0x80, v8
	s_cbranch_execz .LBB312_1522
; %bb.1517:                             ;   in Loop: Header=BB312_16 Depth=1
	v_and_b32_e32 v120, 0x7f, v8
	v_mov_b32_e32 v109, 0x7c010000
	s_mov_b32 s27, exec_lo
	v_cmpx_ne_u32_e32 0x7f, v120
	s_cbranch_execz .LBB312_1521
; %bb.1518:                             ;   in Loop: Header=BB312_16 Depth=1
	v_and_b32_e32 v1, 7, v8
	v_lshrrev_b32_e32 v13, 3, v120
	s_mov_b32 s28, exec_lo
	v_cmpx_gt_u32_e32 8, v120
; %bb.1519:                             ;   in Loop: Header=BB312_16 Depth=1
	v_ffbh_u32_e32 v1, v1
	v_min_u32_e32 v1, 32, v1
	v_subrev_nc_u32_e32 v13, 28, v1
	v_lshlrev_b64 v[109:110], v13, v[8:9]
	v_sub_nc_u32_e32 v13, 29, v1
	v_and_b32_e32 v1, 7, v109
; %bb.1520:                             ;   in Loop: Header=BB312_16 Depth=1
	s_or_b32 exec_lo, exec_lo, s28
	v_lshlrev_b32_e32 v8, 8, v8
	v_lshl_add_u32 v13, v13, 10, 0x2000
	v_lshlrev_b32_e32 v1, 23, v1
	v_and_or_b32 v8, 0x8000, v8, v13
	v_lshl_or_b32 v109, v8, 16, v1
.LBB312_1521:                           ;   in Loop: Header=BB312_16 Depth=1
	s_or_b32 exec_lo, exec_lo, s27
.LBB312_1522:                           ;   in Loop: Header=BB312_16 Depth=1
	s_or_b32 exec_lo, exec_lo, s26
.LBB312_1523:                           ;   in Loop: Header=BB312_16 Depth=1
	s_or_b32 exec_lo, exec_lo, s25
	v_mov_b32_e32 v8, v29
	v_cmp_ne_u16_sdwa s5, v29, v9 src0_sel:BYTE_0 src1_sel:DWORD
	s_and_saveexec_b32 s25, s5
	s_cbranch_execz .LBB312_1531
; %bb.1524:                             ;   in Loop: Header=BB312_16 Depth=1
	v_cmp_ne_u16_sdwa s5, v29, v68 src0_sel:BYTE_0 src1_sel:DWORD
	v_mov_b32_e32 v2, 0x8000
	s_and_saveexec_b32 s26, s5
	s_cbranch_execz .LBB312_1530
; %bb.1525:                             ;   in Loop: Header=BB312_16 Depth=1
	v_and_b32_e32 v13, 0x7f, v29
	v_mov_b32_e32 v2, 0x7c01
	s_mov_b32 s27, exec_lo
	v_cmpx_ne_u32_e32 0x7f, v13
	s_cbranch_execz .LBB312_1529
; %bb.1526:                             ;   in Loop: Header=BB312_16 Depth=1
	v_and_b32_e32 v1, 7, v29
	v_lshrrev_b32_e32 v2, 3, v13
	s_mov_b32 s28, exec_lo
	v_cmpx_gt_u32_e32 8, v13
; %bb.1527:                             ;   in Loop: Header=BB312_16 Depth=1
	v_ffbh_u32_e32 v1, v1
	v_min_u32_e32 v13, 32, v1
	v_subrev_nc_u32_e32 v1, 28, v13
	v_lshlrev_b64 v[1:2], v1, v[8:9]
	v_sub_nc_u32_e32 v2, 29, v13
	v_and_b32_e32 v1, 7, v1
; %bb.1528:                             ;   in Loop: Header=BB312_16 Depth=1
	s_or_b32 exec_lo, exec_lo, s28
	v_lshlrev_b32_e32 v13, 8, v29
	v_lshl_add_u32 v2, v2, 10, 0x2000
	v_lshlrev_b32_e32 v1, 7, v1
	v_and_b32_e32 v13, 0x8000, v13
	v_and_b32_e32 v2, 0xfc00, v2
	v_or3_b32 v2, v13, v2, v1
.LBB312_1529:                           ;   in Loop: Header=BB312_16 Depth=1
	s_or_b32 exec_lo, exec_lo, s27
.LBB312_1530:                           ;   in Loop: Header=BB312_16 Depth=1
	s_or_b32 exec_lo, exec_lo, s26
.LBB312_1531:                           ;   in Loop: Header=BB312_16 Depth=1
	s_or_b32 exec_lo, exec_lo, s25
	v_lshrrev_b16 v8, 8, v8
	v_mov_b32_e32 v120, 0
	v_mov_b32_e32 v1, 0
	s_mov_b32 s25, exec_lo
	v_cmpx_ne_u16_e32 0, v8
	s_cbranch_execz .LBB312_1539
; %bb.1532:                             ;   in Loop: Header=BB312_16 Depth=1
	v_bfrev_b32_e32 v1, 1
	s_mov_b32 s26, exec_lo
	v_cmpx_ne_u16_e32 0x80, v8
	s_cbranch_execz .LBB312_1538
; %bb.1533:                             ;   in Loop: Header=BB312_16 Depth=1
	v_mov_b32_e32 v1, 0x7f
	v_mov_b32_e32 v110, v101
	s_mov_b32 s27, exec_lo
	v_and_b32_sdwa v101, v8, v1 dst_sel:DWORD dst_unused:UNUSED_PAD src0_sel:WORD_0 src1_sel:DWORD
	v_mov_b32_e32 v1, 0x7c010000
	v_cmpx_ne_u32_e32 0x7f, v101
	s_cbranch_execz .LBB312_1537
; %bb.1534:                             ;   in Loop: Header=BB312_16 Depth=1
	v_mov_b32_e32 v1, 7
	v_lshrrev_b32_e32 v13, 3, v101
	s_mov_b32 s28, exec_lo
	v_and_b32_sdwa v1, v8, v1 dst_sel:DWORD dst_unused:UNUSED_PAD src0_sel:WORD_0 src1_sel:DWORD
	v_cmpx_gt_u32_e32 8, v101
	s_cbranch_execz .LBB312_1536
; %bb.1535:                             ;   in Loop: Header=BB312_16 Depth=1
	v_ffbh_u32_e32 v1, v1
	v_mov_b32_e32 v101, v72
	v_min_u32_e32 v1, 32, v1
	v_subrev_nc_u32_e32 v13, 28, v1
	v_lshlrev_b64 v[71:72], v13, v[8:9]
	v_mov_b32_e32 v72, v101
	v_sub_nc_u32_e32 v13, 29, v1
	v_and_b32_e32 v1, 7, v71
.LBB312_1536:                           ;   in Loop: Header=BB312_16 Depth=1
	s_or_b32 exec_lo, exec_lo, s28
	v_mov_b32_e32 v71, 8
	v_lshl_add_u32 v13, v13, 10, 0x2000
	v_lshlrev_b32_e32 v1, 23, v1
	v_lshlrev_b32_sdwa v8, v71, v8 dst_sel:DWORD dst_unused:UNUSED_PAD src0_sel:DWORD src1_sel:WORD_0
	v_and_or_b32 v8, 0x8000, v8, v13
	v_lshl_or_b32 v1, v8, 16, v1
.LBB312_1537:                           ;   in Loop: Header=BB312_16 Depth=1
	s_or_b32 exec_lo, exec_lo, s27
	v_mov_b32_e32 v101, v110
.LBB312_1538:                           ;   in Loop: Header=BB312_16 Depth=1
	s_or_b32 exec_lo, exec_lo, s26
.LBB312_1539:                           ;   in Loop: Header=BB312_16 Depth=1
	s_or_b32 exec_lo, exec_lo, s25
	v_lshrrev_b32_e32 v8, 16, v29
	v_cmp_ne_u16_sdwa s5, v8, v9 src0_sel:BYTE_0 src1_sel:DWORD
	s_and_saveexec_b32 s25, s5
	s_cbranch_execz .LBB312_1547
; %bb.1540:                             ;   in Loop: Header=BB312_16 Depth=1
	v_cmp_ne_u16_sdwa s5, v8, v68 src0_sel:BYTE_0 src1_sel:DWORD
	v_mov_b32_e32 v120, 0x8000
	s_and_saveexec_b32 s26, s5
	s_cbranch_execz .LBB312_1546
; %bb.1541:                             ;   in Loop: Header=BB312_16 Depth=1
	v_mov_b32_e32 v110, v101
	v_bfe_u32 v101, v29, 16, 7
	v_mov_b32_e32 v120, 0x7c01
	s_mov_b32 s27, exec_lo
	v_cmpx_ne_u32_e32 0x7f, v101
	s_cbranch_execz .LBB312_1545
; %bb.1542:                             ;   in Loop: Header=BB312_16 Depth=1
	v_and_b32_e32 v120, 7, v8
	v_lshrrev_b32_e32 v13, 3, v101
	s_mov_b32 s28, exec_lo
	v_cmpx_gt_u32_e32 8, v101
	s_cbranch_execz .LBB312_1544
; %bb.1543:                             ;   in Loop: Header=BB312_16 Depth=1
	v_ffbh_u32_e32 v13, v120
	v_mov_b32_e32 v101, v72
	v_min_u32_e32 v13, 32, v13
	v_subrev_nc_u32_e32 v71, 28, v13
	v_sub_nc_u32_e32 v13, 29, v13
	v_lshlrev_b64 v[71:72], v71, v[8:9]
	v_mov_b32_e32 v72, v101
	v_and_b32_e32 v120, 7, v71
.LBB312_1544:                           ;   in Loop: Header=BB312_16 Depth=1
	s_or_b32 exec_lo, exec_lo, s28
	v_lshlrev_b32_e32 v8, 8, v8
	v_lshl_add_u32 v13, v13, 10, 0x2000
	v_lshlrev_b32_e32 v71, 7, v120
	v_and_b32_e32 v8, 0x8000, v8
	v_and_b32_e32 v13, 0xfc00, v13
	v_or3_b32 v120, v8, v13, v71
.LBB312_1545:                           ;   in Loop: Header=BB312_16 Depth=1
	s_or_b32 exec_lo, exec_lo, s27
	v_mov_b32_e32 v101, v110
.LBB312_1546:                           ;   in Loop: Header=BB312_16 Depth=1
	s_or_b32 exec_lo, exec_lo, s26
.LBB312_1547:                           ;   in Loop: Header=BB312_16 Depth=1
	s_or_b32 exec_lo, exec_lo, s25
	v_cmp_lt_u64_e64 s5, s[20:21], v[28:29]
	v_mov_b32_e32 v110, v72
	v_mov_b32_e32 v28, 0
	s_and_saveexec_b32 s25, s5
	s_cbranch_execz .LBB312_14
; %bb.1548:                             ;   in Loop: Header=BB312_16 Depth=1
	v_lshrrev_b32_e32 v8, 24, v29
	v_bfrev_b32_e32 v28, 1
	s_mov_b32 s26, exec_lo
	v_cmpx_ne_u32_e32 0x80, v8
	s_cbranch_execz .LBB312_13
; %bb.1549:                             ;   in Loop: Header=BB312_16 Depth=1
	v_and_b32_e32 v29, 0x7f, v8
	v_mov_b32_e32 v28, 0x7c010000
	s_mov_b32 s27, exec_lo
	v_cmpx_ne_u32_e32 0x7f, v29
	s_cbranch_execz .LBB312_12
; %bb.1550:                             ;   in Loop: Header=BB312_16 Depth=1
	v_and_b32_e32 v28, 7, v8
	v_lshrrev_b32_e32 v13, 3, v29
	s_mov_b32 s28, exec_lo
	v_cmpx_gt_u32_e32 8, v29
	s_cbranch_execz .LBB312_11
; %bb.1551:                             ;   in Loop: Header=BB312_16 Depth=1
	v_ffbh_u32_e32 v13, v28
	v_min_u32_e32 v13, 32, v13
	v_subrev_nc_u32_e32 v28, 28, v13
	v_sub_nc_u32_e32 v13, 29, v13
	v_lshlrev_b64 v[28:29], v28, v[8:9]
	v_and_b32_e32 v28, 7, v28
	s_branch .LBB312_11
.LBB312_1552:
	s_or_b32 exec_lo, exec_lo, s24
	s_clause 0xf
	buffer_load_dword v106, off, s[0:3], s32 offset:952
	buffer_load_dword v107, off, s[0:3], s32 offset:956
	;; [unrolled: 1-line block ×16, first 2 shown]
.LBB312_1553:
	s_or_b32 exec_lo, exec_lo, s23
	v_mbcnt_lo_u32_b32 v0, -1, 0
	v_max_f32_e32 v4, v13, v13
	s_waitcnt lgkmcnt(0)
	s_lshr_b32 s8, s13, 16
	v_xor_b32_e32 v1, 16, v0
	v_xor_b32_e32 v3, 8, v0
	;; [unrolled: 1-line block ×3, first 2 shown]
	v_cmp_gt_i32_e32 vcc_lo, 32, v1
	v_cndmask_b32_e32 v1, v0, v1, vcc_lo
	v_cmp_gt_i32_e32 vcc_lo, 32, v3
	v_lshlrev_b32_e32 v2, 2, v1
	v_cndmask_b32_e32 v3, v0, v3, vcc_lo
	v_cmp_gt_i32_e32 vcc_lo, 32, v5
	ds_bpermute_b32 v1, v2, v13
	v_lshlrev_b32_e32 v3, 2, v3
	v_cndmask_b32_e32 v5, v0, v5, vcc_lo
	s_waitcnt lgkmcnt(0)
	v_max_f32_e32 v1, v1, v1
	v_max_f32_e32 v1, v4, v1
	ds_bpermute_b32 v4, v3, v1
	s_waitcnt lgkmcnt(0)
	v_max_f32_e32 v6, v4, v4
	v_lshlrev_b32_e32 v4, 2, v5
	v_max_f32_e32 v1, v1, v6
	v_xor_b32_e32 v6, 2, v0
	ds_bpermute_b32 v5, v4, v1
	v_cmp_gt_i32_e32 vcc_lo, 32, v6
	v_cndmask_b32_e32 v6, v0, v6, vcc_lo
	v_lshlrev_b32_e32 v19, 2, v6
	v_xor_b32_e32 v6, 1, v0
	v_cmp_gt_i32_e32 vcc_lo, 32, v6
	s_waitcnt lgkmcnt(0)
	v_max_f32_e32 v5, v5, v5
	v_cndmask_b32_e32 v6, v0, v6, vcc_lo
	v_max_f32_e32 v1, v1, v5
	v_lshlrev_b32_e32 v18, 2, v6
	ds_bpermute_b32 v5, v19, v1
	s_waitcnt lgkmcnt(0)
	v_max_f32_e32 v5, v5, v5
	v_max_f32_e32 v0, v1, v5
	buffer_load_dword v5, off, s[0:3], s32 offset:880 ; 4-byte Folded Reload
	ds_bpermute_b32 v1, v18, v0
	s_waitcnt vmcnt(0)
	v_cmp_eq_u32_e32 vcc_lo, 0, v5
	v_lshlrev_b32_e32 v5, 2, v110
	s_and_saveexec_b32 s5, vcc_lo
	s_cbranch_execz .LBB312_1555
; %bb.1554:
	s_waitcnt lgkmcnt(0)
	v_max_f32_e32 v1, v1, v1
	v_max_f32_e32 v0, v0, v0
	v_max_f32_e32 v0, v0, v1
	ds_write_b32 v5, v0 offset:384
.LBB312_1555:
	s_or_b32 exec_lo, exec_lo, s5
	buffer_load_dword v0, off, s[0:3], s32 offset:880 ; 4-byte Folded Reload
	s_waitcnt vmcnt(0) lgkmcnt(0)
	s_waitcnt_vscnt null, 0x0
	s_barrier
	buffer_gl0_inv
	v_cmp_gt_u32_e64 s5, 4, v0
	v_mov_b32_e32 v0, 0xff7fffff
	s_and_saveexec_b32 s6, s5
; %bb.1556:
	ds_read_b32 v0, v12 offset:384
; %bb.1557:
	s_or_b32 exec_lo, exec_lo, s6
	buffer_load_dword v6, off, s[0:3], s32 offset:208 ; 4-byte Folded Reload
	s_waitcnt lgkmcnt(0)
	ds_bpermute_b32 v1, v19, v0
	v_max_f32_e32 v0, v0, v0
	s_waitcnt lgkmcnt(0)
	v_max_f32_e32 v1, v1, v1
	v_max_f32_e32 v0, v0, v1
	ds_bpermute_b32 v1, v18, v0
	s_waitcnt lgkmcnt(0)
	v_max_f32_e32 v1, v1, v1
	v_max_f32_e32 v0, v0, v1
	s_waitcnt vmcnt(0)
	v_subrev_nc_u32_e32 v7, s7, v6
	v_mov_b32_e32 v6, 0
	v_lshl_add_u32 v1, v7, 5, s22
	ds_bpermute_b32 v0, v6, v0
	v_min_i32_e32 v1, v1, v36
	v_subrev_nc_u32_e32 v1, s22, v1
	v_cmp_lt_i32_e64 s6, v108, v1
	s_and_saveexec_b32 s9, s6
	s_cbranch_execz .LBB312_1561
; %bb.1558:
	s_getpc_b64 s[20:21]
	s_add_u32 s20, s20, llvm.amdgcn.dynlds.offset.table@rel32@lo+4
	s_addc_u32 s21, s21, llvm.amdgcn.dynlds.offset.table@rel32@hi+12
	s_ashr_i32 s17, s16, 31
	v_mov_b32_e32 v6, 0
	s_lshl_b64 s[24:25], s[16:17], 2
	v_mov_b32_e32 v8, v108
	s_add_u32 s20, s20, s24
	s_addc_u32 s21, s21, s25
	s_mov_b32 s13, 0
	s_load_dword s7, s[20:21], 0x0
	s_waitcnt lgkmcnt(0)
	v_lshl_add_u32 v7, v108, 2, s7
	.p2align	6
.LBB312_1559:                           ; =>This Inner Loop Header: Depth=1
	ds_read_b32 v9, v7
	v_add_nc_u32_e32 v8, 0x80, v8
	v_cmp_ge_i32_e64 s7, v8, v1
	s_or_b32 s13, s7, s13
	s_waitcnt lgkmcnt(0)
	v_sub_f32_e32 v9, v9, v0
	v_mul_f32_e32 v9, 0x3fb8aa3b, v9
	v_exp_f32_e32 v9, v9
	ds_write_b32 v7, v9
	v_add_f32_e32 v6, v6, v9
	v_add_nc_u32_e32 v7, 0x200, v7
	s_andn2_b32 exec_lo, exec_lo, s13
	s_cbranch_execnz .LBB312_1559
; %bb.1560:
	s_or_b32 exec_lo, exec_lo, s13
.LBB312_1561:
	s_or_b32 exec_lo, exec_lo, s9
	ds_bpermute_b32 v2, v2, v6
	s_waitcnt lgkmcnt(0)
	v_add_f32_e32 v2, v6, v2
	ds_bpermute_b32 v3, v3, v2
	s_waitcnt lgkmcnt(0)
	v_add_f32_e32 v2, v2, v3
	;; [unrolled: 3-line block ×5, first 2 shown]
	s_and_saveexec_b32 s7, vcc_lo
; %bb.1562:
	ds_write_b32 v5, v2 offset:400
; %bb.1563:
	s_or_b32 exec_lo, exec_lo, s7
	s_waitcnt lgkmcnt(0)
	s_barrier
	buffer_gl0_inv
	s_and_saveexec_b32 s7, s5
; %bb.1564:
	ds_read_b32 v2, v12 offset:400
; %bb.1565:
	s_or_b32 exec_lo, exec_lo, s7
	s_waitcnt lgkmcnt(0)
	ds_bpermute_b32 v3, v19, v2
	s_waitcnt lgkmcnt(0)
	v_add_f32_e32 v2, v2, v3
	ds_bpermute_b32 v3, v18, v2
	s_waitcnt lgkmcnt(0)
	v_add_f32_e32 v2, v2, v3
	v_mov_b32_e32 v3, 0
	ds_bpermute_b32 v2, v3, v2
	s_and_saveexec_b32 s5, s6
	s_cbranch_execz .LBB312_1568
; %bb.1566:
	s_waitcnt lgkmcnt(0)
	v_add_f32_e32 v4, 0x358637bd, v2
	s_getpc_b64 s[6:7]
	s_add_u32 s6, s6, llvm.amdgcn.dynlds.offset.table@rel32@lo+4
	s_addc_u32 s7, s7, llvm.amdgcn.dynlds.offset.table@rel32@hi+12
	s_ashr_i32 s17, s16, 31
	s_lshl_b64 s[20:21], s[16:17], 2
	v_div_scale_f32 v3, null, v4, v4, 1.0
	v_div_scale_f32 v7, vcc_lo, 1.0, v4, 1.0
	s_add_u32 s6, s6, s20
	v_rcp_f32_e32 v5, v3
	s_addc_u32 s7, s7, s21
	s_load_dword s6, s[6:7], 0x0
	v_fma_f32 v6, -v3, v5, 1.0
	v_fmac_f32_e32 v5, v6, v5
	v_mul_f32_e32 v6, v7, v5
	v_fma_f32 v8, -v3, v6, v7
	v_fmac_f32_e32 v6, v8, v5
	v_fma_f32 v3, -v3, v6, v7
	v_div_fmas_f32 v5, v3, v5, v6
	s_waitcnt lgkmcnt(0)
	v_lshl_add_u32 v3, v108, 2, s6
	s_mov_b32 s6, 0
	v_div_fixup_f32 v4, v5, v4, 1.0
	v_mov_b32_e32 v5, v108
.LBB312_1567:                           ; =>This Inner Loop Header: Depth=1
	ds_read_b32 v6, v3
	v_add_nc_u32_e32 v5, 0x80, v5
	v_cmp_ge_i32_e32 vcc_lo, v5, v1
	s_or_b32 s6, vcc_lo, s6
	s_waitcnt lgkmcnt(0)
	v_mul_f32_e32 v6, v4, v6
	ds_write_b32 v3, v6
	v_add_nc_u32_e32 v3, 0x200, v3
	s_andn2_b32 exec_lo, exec_lo, s6
	s_cbranch_execnz .LBB312_1567
.LBB312_1568:
	s_or_b32 exec_lo, exec_lo, s5
	s_and_b32 s5, 0xffff, s8
	s_mov_b32 s8, exec_lo
	s_cmp_lg_u32 s5, 0
	s_waitcnt lgkmcnt(0)
	s_cselect_b32 s5, -1, 0
	s_barrier
	s_cmp_lg_u32 s5, 0
	buffer_gl0_inv
	s_addc_u32 s5, s11, 0
	s_mul_i32 s6, s5, s18
	s_mul_i32 s6, s6, s15
	v_cmpx_eq_u32_e32 0, v108
	s_cbranch_execz .LBB312_1570
; %bb.1569:
	s_ashr_i32 s7, s6, 31
	s_mul_i32 s12, s5, s12
	s_lshl_b64 s[20:21], s[6:7], 2
	s_ashr_i32 s13, s12, 31
	v_add_co_u32 v1, vcc_lo, v24, s20
	v_add_co_ci_u32_e64 v3, null, s21, v22, vcc_lo
	s_lshl_b64 s[12:13], s[12:13], 2
	s_ashr_i32 s15, s14, 31
	v_add_co_u32 v1, vcc_lo, v1, s12
	v_add_co_ci_u32_e64 v4, null, s13, v3, vcc_lo
	v_add_co_u32 v3, vcc_lo, v15, s20
	v_add_co_ci_u32_e64 v5, null, s21, v14, vcc_lo
	s_lshl_b64 s[20:21], s[14:15], 2
	v_add_co_u32 v6, vcc_lo, v3, s12
	v_add_co_ci_u32_e64 v7, null, s13, v5, vcc_lo
	v_add_co_u32 v3, vcc_lo, v1, s20
	v_add_co_ci_u32_e64 v4, null, s21, v4, vcc_lo
	;; [unrolled: 2-line block ×3, first 2 shown]
	flat_store_dword v[3:4], v0
	flat_store_dword v[5:6], v2
.LBB312_1570:
	s_or_b32 exec_lo, exec_lo, s8
	s_ashr_i32 s17, s16, 31
	s_getpc_b64 s[8:9]
	s_add_u32 s8, s8, llvm.amdgcn.dynlds.offset.table@rel32@lo+4
	s_addc_u32 s9, s9, llvm.amdgcn.dynlds.offset.table@rel32@hi+12
	s_lshl_b64 s[12:13], s[16:17], 2
	v_mov_b32_e32 v83, 0
	v_mov_b32_e32 v82, 0
	;; [unrolled: 1-line block ×24, first 2 shown]
	s_add_u32 s8, s8, s12
	s_addc_u32 s9, s9, s13
	s_and_saveexec_b32 s7, s4
	s_cbranch_execz .LBB312_3160
; %bb.1571:
	s_clause 0x1
	buffer_load_dword v0, off, s[0:3], s32 offset:916
	buffer_load_dword v1, off, s[0:3], s32 offset:948
	s_load_dword s4, s[8:9], 0x0
	v_add_nc_u32_e32 v16, -1, v10
	v_mov_b32_e32 v17, 0x80
	v_mov_b32_e32 v51, 0x7f
	;; [unrolled: 1-line block ×26, first 2 shown]
	s_lshl_b32 s11, s22, 2
	s_mov_b32 s12, -1
	s_waitcnt lgkmcnt(0)
	s_sub_i32 s11, s4, s11
	s_mov_b32 s13, 0xffffff
	s_mov_b32 s15, 0
	s_waitcnt vmcnt(0)
	v_max_i32_e32 v30, v0, v1
	s_clause 0x2
	buffer_load_dword v1, off, s[0:3], s32 offset:924
	buffer_load_dword v2, off, s[0:3], s32 offset:940
	;; [unrolled: 1-line block ×3, first 2 shown]
	v_cvt_f32_u32_e32 v0, v30
	v_sub_nc_u32_e32 v5, 0, v30
	v_rcp_iflag_f32_e32 v0, v0
	v_mul_f32_e32 v0, 0x4f7ffffe, v0
	v_cvt_u32_f32_e32 v0, v0
	v_mul_lo_u32 v5, v5, v0
	v_mul_hi_u32 v5, v0, v5
	v_add_nc_u32_e32 v85, v0, v5
	s_waitcnt vmcnt(1)
	v_add_co_u32 v14, vcc_lo, v1, v2
	buffer_load_dword v1, off, s[0:3], s32 offset:920 ; 4-byte Folded Reload
	v_lshlrev_b32_e32 v2, 3, v108
	v_and_b32_e32 v6, 0xf8, v2
	v_and_b32_e32 v84, 24, v2
	s_waitcnt vmcnt(0)
	v_add_co_ci_u32_e64 v76, null, v1, v3, vcc_lo
	buffer_load_dword v1, off, s[0:3], s32 offset:932 ; 4-byte Folded Reload
	s_waitcnt vmcnt(0)
	v_add_co_u32 v3, vcc_lo, v1, v11
	s_clause 0x1
	buffer_load_dword v1, off, s[0:3], s32 offset:928
	buffer_load_dword v4, off, s[0:3], s32 offset:936
	s_waitcnt vmcnt(0)
	v_add_co_ci_u32_e64 v4, null, v1, v4, vcc_lo
	v_add_co_u32 v77, vcc_lo, v3, v6
	v_mov_b32_e32 v1, 0
	v_add_co_ci_u32_e64 v78, null, 0, v4, vcc_lo
	v_mov_b32_e32 v3, 0
	v_mov_b32_e32 v4, 0
	s_branch .LBB312_1574
.LBB312_1572:                           ;   in Loop: Header=BB312_1574 Depth=1
	s_or_b32 exec_lo, exec_lo, s4
	v_add_f32_e32 v7, v63, v7
	v_add_f32_e32 v10, v10, v11
	;; [unrolled: 1-line block ×21, first 2 shown]
	;;#ASMSTART
	v_pk_mul_f16 v5, v100, v79;

	;;#ASMEND
	v_add_f32_e32 v69, v69, v6
	v_add_f32_e32 v3, v3, v7
	;;#ASMSTART
	v_pk_mul_f16 v6, v99, v9;

	;;#ASMEND
	;;#ASMSTART
	v_pk_mul_f16 v7, v98, v8;

	;;#ASMEND
	;; [unrolled: 4-line block ×3, first 2 shown]
	;;#ASMSTART
	v_pk_add_f16 v5, v5, v6;

	;;#ASMEND
	;;#ASMSTART
	v_pk_add_f16 v5, v5, v7;

	;;#ASMEND
	;; [unrolled: 4-line block ×3, first 2 shown]
	v_and_b32_e32 v7, 0xffff, v0
	v_lshrrev_b32_e32 v8, 16, v0
	;;#ASMSTART
	v_cvt_f32_f16 v7, v7;
	;;#ASMEND
	v_add_f32_e32 v70, v70, v71
	v_add_f32_e32 v71, v61, v75
	;; [unrolled: 1-line block ×13, first 2 shown]
	;;#ASMSTART
	v_cvt_f32_f16 v8, v8;
	;;#ASMEND
	v_add_f32_e32 v7, v7, v8
	v_add_f32_e32 v25, v25, v70
	v_add_f32_e32 v28, v28, v71
	v_add_f32_e32 v32, v32, v11
	v_add_f32_e32 v33, v33, v48
	v_add_f32_e32 v34, v34, v12
	v_add_f32_e32 v4, v4, v10
	v_add_f32_e32 v80, v80, v2
	v_add_f32_e32 v81, v81, v0
	v_add_f32_e32 v82, v82, v5
	v_add_f32_e32 v83, v83, v6
	v_add_f32_e32 v20, v20, v7
.LBB312_1573:                           ;   in Loop: Header=BB312_1574 Depth=1
	s_or_b32 exec_lo, exec_lo, s16
	buffer_load_dword v0, off, s[0:3], s32 offset:208 ; 4-byte Folded Reload
	v_add_nc_u32_e32 v121, 4, v121
	s_waitcnt vmcnt(0)
	v_cmp_ge_i32_e32 vcc_lo, v121, v0
	s_or_b32 s15, vcc_lo, s15
	s_andn2_b32 exec_lo, exec_lo, s15
	s_cbranch_execz .LBB312_3159
.LBB312_1574:                           ; =>This Inner Loop Header: Depth=1
	buffer_load_dword v5, off, s[0:3], s32 offset:212 ; 4-byte Folded Reload
	v_lshlrev_b32_e32 v0, 5, v121
	v_sub_nc_u32_e32 v2, 0, v0
	v_max_i32_e32 v2, v0, v2
	s_waitcnt vmcnt(0)
	v_mul_hi_u32 v5, v2, v5
	v_mul_lo_u32 v6, v5, v111
	v_sub_nc_u32_e32 v2, v2, v6
	v_add_nc_u32_e32 v6, 1, v5
	v_sub_nc_u32_e32 v7, v2, v111
	v_cmp_ge_u32_e32 vcc_lo, v2, v111
	v_cndmask_b32_e32 v5, v5, v6, vcc_lo
	v_cndmask_b32_e32 v2, v2, v7, vcc_lo
	v_ashrrev_i32_e32 v6, 31, v0
	v_add_nc_u32_e32 v7, 1, v5
	v_cmp_ge_u32_e32 vcc_lo, v2, v111
	v_xor_b32_e32 v6, v6, v120
	v_cndmask_b32_e32 v2, v5, v7, vcc_lo
	v_xor_b32_e32 v2, v2, v6
	v_sub_nc_u32_e32 v2, v2, v6
	s_clause 0x1
	buffer_load_dword v5, off, s[0:3], s32 offset:200
	buffer_load_dword v6, off, s[0:3], s32 offset:204
	s_waitcnt vmcnt(1)
	v_add_nc_u32_e32 v5, v2, v5
	s_waitcnt vmcnt(0)
	v_sub_nc_u32_e32 v6, 0, v5
	v_max_i32_e32 v6, v5, v6
	v_ashrrev_i32_e32 v5, 31, v5
	v_mul_hi_u32 v7, v6, v85
	v_mul_lo_u32 v7, v7, v30
	v_sub_nc_u32_e32 v6, v6, v7
	v_sub_nc_u32_e32 v7, v6, v30
	v_cmp_ge_u32_e32 vcc_lo, v6, v30
	v_cndmask_b32_e32 v6, v6, v7, vcc_lo
	v_sub_nc_u32_e32 v7, v6, v30
	v_cmp_ge_u32_e32 vcc_lo, v6, v30
	v_cndmask_b32_e32 v6, v6, v7, vcc_lo
	v_xor_b32_e32 v6, v6, v5
	v_sub_nc_u32_e32 v5, v6, v5
	v_cmp_eq_u32_e32 vcc_lo, 0, v5
	buffer_load_dword v5, off, s[0:3], s32 offset:216 ; 4-byte Folded Reload
	s_waitcnt vmcnt(0)
	v_cmp_gt_i32_e64 s4, v2, v5
	s_or_b32 s4, vcc_lo, s4
	s_and_saveexec_b32 s16, s4
	s_cbranch_execz .LBB312_1573
; %bb.1575:                             ;   in Loop: Header=BB312_1574 Depth=1
	v_ashrrev_i32_e32 v122, 31, v121
	v_or_b32_e32 v86, v0, v84
	v_mov_b32_e32 v35, 0
	v_mov_b32_e32 v37, 0
	v_lshlrev_b64 v[5:6], 2, v[121:122]
	v_lshl_add_u32 v0, v86, 2, s11
	v_add_co_u32 v5, vcc_lo, v14, v5
	v_add_co_ci_u32_e64 v6, null, v76, v6, vcc_lo
	flat_load_dword v5, v[5:6]
	ds_read2_b64 v[9:12], v0 offset1:1
	ds_read2_b64 v[96:99], v0 offset0:2 offset1:3
	s_waitcnt lgkmcnt(1)
	;;#ASMSTART
	v_cvt_f16_f32 v2, v9;

	;;#ASMEND
	s_waitcnt vmcnt(0)
	v_mad_i64_i32 v[8:9], null, v5, v109, v[77:78]
	;;#ASMSTART
	v_cvt_f16_f32 v5, v10;

	;;#ASMEND
	;;#ASMSTART
	v_cvt_f16_f32 v13, v11;

	;;#ASMEND
	;; [unrolled: 4-line block ×3, first 2 shown]
	s_waitcnt lgkmcnt(0)
	;;#ASMSTART
	v_cvt_f16_f32 v15, v96;

	;;#ASMEND
	;;#ASMSTART
	v_cvt_f16_f32 v7, v97;

	;;#ASMEND
	;; [unrolled: 4-line block ×4, first 2 shown]
	flat_load_dwordx2 v[10:11], v[8:9]
	flat_load_dword v23, v[26:27]
	s_waitcnt vmcnt(1) lgkmcnt(1)
	v_cmp_ne_u16_sdwa s17, v10, v1 src0_sel:BYTE_0 src1_sel:DWORD
	s_and_saveexec_b32 s4, s17
	s_cbranch_execz .LBB312_1583
; %bb.1576:                             ;   in Loop: Header=BB312_1574 Depth=1
	v_cmp_ne_u16_sdwa s18, v10, v17 src0_sel:BYTE_0 src1_sel:DWORD
	v_mov_b32_e32 v37, 0x8000
	s_and_saveexec_b32 s17, s18
	s_cbranch_execz .LBB312_1582
; %bb.1577:                             ;   in Loop: Header=BB312_1574 Depth=1
	v_and_b32_e32 v38, 0x7f, v10
	v_mov_b32_e32 v37, 0x7c01
	s_mov_b32 s18, exec_lo
	v_cmpx_ne_u32_e32 0x7f, v38
	s_cbranch_execz .LBB312_1581
; %bb.1578:                             ;   in Loop: Header=BB312_1574 Depth=1
	v_and_b32_e32 v0, 7, v10
	v_lshrrev_b32_e32 v37, 3, v38
	s_mov_b32 s20, exec_lo
	v_cmpx_gt_u32_e32 8, v38
; %bb.1579:                             ;   in Loop: Header=BB312_1574 Depth=1
	v_ffbh_u32_e32 v0, v0
	v_min_u32_e32 v0, 32, v0
	v_subrev_nc_u32_e32 v37, 28, v0
	v_lshlrev_b64 v[38:39], v37, v[10:11]
	v_sub_nc_u32_e32 v37, 29, v0
	v_and_b32_e32 v0, 7, v38
; %bb.1580:                             ;   in Loop: Header=BB312_1574 Depth=1
	s_or_b32 exec_lo, exec_lo, s20
	v_lshlrev_b32_e32 v38, 8, v10
	v_lshl_add_u32 v37, v37, 10, 0x2000
	v_lshlrev_b32_e32 v0, 7, v0
	v_and_b32_e32 v38, 0x8000, v38
	v_and_b32_e32 v37, 0xfc00, v37
	v_or3_b32 v37, v38, v37, v0
.LBB312_1581:                           ;   in Loop: Header=BB312_1574 Depth=1
	s_or_b32 exec_lo, exec_lo, s18
.LBB312_1582:                           ;   in Loop: Header=BB312_1574 Depth=1
	s_or_b32 exec_lo, exec_lo, s17
.LBB312_1583:                           ;   in Loop: Header=BB312_1574 Depth=1
	s_or_b32 exec_lo, exec_lo, s4
	v_lshrrev_b16 v0, 8, v10
	s_mov_b32 s4, exec_lo
	v_cmpx_ne_u16_e32 0, v0
	s_cbranch_execz .LBB312_1591
; %bb.1584:                             ;   in Loop: Header=BB312_1574 Depth=1
	v_bfrev_b32_e32 v35, 1
	s_mov_b32 s17, exec_lo
	v_cmpx_ne_u16_e32 0x80, v0
	s_cbranch_execz .LBB312_1590
; %bb.1585:                             ;   in Loop: Header=BB312_1574 Depth=1
	v_and_b32_sdwa v39, v0, v51 dst_sel:DWORD dst_unused:UNUSED_PAD src0_sel:WORD_0 src1_sel:DWORD
	v_mov_b32_e32 v35, 0x7c010000
	s_mov_b32 s18, exec_lo
	v_cmpx_ne_u32_e32 0x7f, v39
	s_cbranch_execz .LBB312_1589
; %bb.1586:                             ;   in Loop: Header=BB312_1574 Depth=1
	v_and_b32_sdwa v35, v0, v52 dst_sel:DWORD dst_unused:UNUSED_PAD src0_sel:WORD_0 src1_sel:DWORD
	v_lshrrev_b32_e32 v38, 3, v39
	s_mov_b32 s20, exec_lo
	v_cmpx_gt_u32_e32 8, v39
; %bb.1587:                             ;   in Loop: Header=BB312_1574 Depth=1
	v_ffbh_u32_e32 v35, v35
	v_min_u32_e32 v35, 32, v35
	v_subrev_nc_u32_e32 v38, 28, v35
	v_lshlrev_b64 v[48:49], v38, v[0:1]
	v_sub_nc_u32_e32 v38, 29, v35
	v_and_b32_e32 v35, 7, v48
; %bb.1588:                             ;   in Loop: Header=BB312_1574 Depth=1
	s_or_b32 exec_lo, exec_lo, s20
	v_lshlrev_b32_sdwa v0, v53, v0 dst_sel:DWORD dst_unused:UNUSED_PAD src0_sel:DWORD src1_sel:WORD_0
	v_lshl_add_u32 v38, v38, 10, 0x2000
	v_lshlrev_b32_e32 v35, 23, v35
	v_and_or_b32 v0, 0x8000, v0, v38
	v_lshl_or_b32 v35, v0, 16, v35
.LBB312_1589:                           ;   in Loop: Header=BB312_1574 Depth=1
	s_or_b32 exec_lo, exec_lo, s18
.LBB312_1590:                           ;   in Loop: Header=BB312_1574 Depth=1
	s_or_b32 exec_lo, exec_lo, s17
.LBB312_1591:                           ;   in Loop: Header=BB312_1574 Depth=1
	s_or_b32 exec_lo, exec_lo, s4
	v_lshrrev_b32_e32 v0, 16, v10
	v_mov_b32_e32 v38, 0
	v_mov_b32_e32 v39, 0
	v_cmp_ne_u16_sdwa s17, v0, v1 src0_sel:BYTE_0 src1_sel:DWORD
	s_and_saveexec_b32 s4, s17
	s_cbranch_execz .LBB312_1599
; %bb.1592:                             ;   in Loop: Header=BB312_1574 Depth=1
	v_cmp_ne_u16_sdwa s18, v0, v17 src0_sel:BYTE_0 src1_sel:DWORD
	v_mov_b32_e32 v39, 0x8000
	s_and_saveexec_b32 s17, s18
	s_cbranch_execz .LBB312_1598
; %bb.1593:                             ;   in Loop: Header=BB312_1574 Depth=1
	v_bfe_u32 v49, v10, 16, 7
	v_mov_b32_e32 v39, 0x7c01
	s_mov_b32 s18, exec_lo
	v_cmpx_ne_u32_e32 0x7f, v49
	s_cbranch_execz .LBB312_1597
; %bb.1594:                             ;   in Loop: Header=BB312_1574 Depth=1
	v_and_b32_e32 v39, 7, v0
	v_lshrrev_b32_e32 v48, 3, v49
	s_mov_b32 s20, exec_lo
	v_cmpx_gt_u32_e32 8, v49
; %bb.1595:                             ;   in Loop: Header=BB312_1574 Depth=1
	v_ffbh_u32_e32 v39, v39
	v_min_u32_e32 v39, 32, v39
	v_subrev_nc_u32_e32 v48, 28, v39
	v_lshlrev_b64 v[49:50], v48, v[0:1]
	v_sub_nc_u32_e32 v48, 29, v39
	v_and_b32_e32 v39, 7, v49
; %bb.1596:                             ;   in Loop: Header=BB312_1574 Depth=1
	s_or_b32 exec_lo, exec_lo, s20
	v_lshlrev_b32_e32 v0, 8, v0
	v_lshl_add_u32 v48, v48, 10, 0x2000
	v_lshlrev_b32_e32 v39, 7, v39
	v_and_b32_e32 v0, 0x8000, v0
	v_and_b32_e32 v48, 0xfc00, v48
	v_or3_b32 v39, v0, v48, v39
.LBB312_1597:                           ;   in Loop: Header=BB312_1574 Depth=1
	s_or_b32 exec_lo, exec_lo, s18
.LBB312_1598:                           ;   in Loop: Header=BB312_1574 Depth=1
	s_or_b32 exec_lo, exec_lo, s17
.LBB312_1599:                           ;   in Loop: Header=BB312_1574 Depth=1
	s_or_b32 exec_lo, exec_lo, s4
	s_mov_b32 s4, exec_lo
	v_cmpx_lt_u32_e32 0xffffff, v10
	s_cbranch_execz .LBB312_1607
; %bb.1600:                             ;   in Loop: Header=BB312_1574 Depth=1
	v_lshrrev_b32_e32 v0, 24, v10
	v_bfrev_b32_e32 v38, 1
	s_mov_b32 s17, exec_lo
	v_cmpx_ne_u32_e32 0x80, v0
	s_cbranch_execz .LBB312_1606
; %bb.1601:                             ;   in Loop: Header=BB312_1574 Depth=1
	v_and_b32_e32 v49, 0x7f, v0
	v_mov_b32_e32 v38, 0x7c010000
	s_mov_b32 s18, exec_lo
	v_cmpx_ne_u32_e32 0x7f, v49
	s_cbranch_execz .LBB312_1605
; %bb.1602:                             ;   in Loop: Header=BB312_1574 Depth=1
	v_and_b32_e32 v38, 7, v0
	v_lshrrev_b32_e32 v48, 3, v49
	s_mov_b32 s20, exec_lo
	v_cmpx_gt_u32_e32 8, v49
; %bb.1603:                             ;   in Loop: Header=BB312_1574 Depth=1
	v_ffbh_u32_e32 v38, v38
	v_min_u32_e32 v38, 32, v38
	v_subrev_nc_u32_e32 v48, 28, v38
	v_lshlrev_b64 v[49:50], v48, v[0:1]
	v_sub_nc_u32_e32 v48, 29, v38
	v_and_b32_e32 v38, 7, v49
; %bb.1604:                             ;   in Loop: Header=BB312_1574 Depth=1
	s_or_b32 exec_lo, exec_lo, s20
	v_lshlrev_b32_e32 v0, 8, v0
	v_lshl_add_u32 v48, v48, 10, 0x2000
	v_lshlrev_b32_e32 v38, 23, v38
	v_and_or_b32 v0, 0x8000, v0, v48
	v_lshl_or_b32 v38, v0, 16, v38
.LBB312_1605:                           ;   in Loop: Header=BB312_1574 Depth=1
	s_or_b32 exec_lo, exec_lo, s18
.LBB312_1606:                           ;   in Loop: Header=BB312_1574 Depth=1
	s_or_b32 exec_lo, exec_lo, s17
.LBB312_1607:                           ;   in Loop: Header=BB312_1574 Depth=1
	s_or_b32 exec_lo, exec_lo, s4
	v_mov_b32_e32 v0, v11
	v_cmp_ne_u16_sdwa s17, v11, v1 src0_sel:BYTE_0 src1_sel:DWORD
	v_mov_b32_e32 v48, 0
	v_mov_b32_e32 v49, 0
	s_and_saveexec_b32 s4, s17
	s_cbranch_execz .LBB312_1615
; %bb.1608:                             ;   in Loop: Header=BB312_1574 Depth=1
	v_cmp_ne_u16_sdwa s18, v11, v17 src0_sel:BYTE_0 src1_sel:DWORD
	v_mov_b32_e32 v49, 0x8000
	s_and_saveexec_b32 s17, s18
	s_cbranch_execz .LBB312_1614
; %bb.1609:                             ;   in Loop: Header=BB312_1574 Depth=1
	v_and_b32_e32 v70, 0x7f, v11
	v_mov_b32_e32 v49, 0x7c01
	s_mov_b32 s18, exec_lo
	v_cmpx_ne_u32_e32 0x7f, v70
	s_cbranch_execz .LBB312_1613
; %bb.1610:                             ;   in Loop: Header=BB312_1574 Depth=1
	v_and_b32_e32 v49, 7, v11
	v_lshrrev_b32_e32 v50, 3, v70
	s_mov_b32 s20, exec_lo
	v_cmpx_gt_u32_e32 8, v70
; %bb.1611:                             ;   in Loop: Header=BB312_1574 Depth=1
	v_ffbh_u32_e32 v49, v49
	v_min_u32_e32 v70, 32, v49
	v_subrev_nc_u32_e32 v49, 28, v70
	v_lshlrev_b64 v[49:50], v49, v[0:1]
	v_sub_nc_u32_e32 v50, 29, v70
	v_and_b32_e32 v49, 7, v49
; %bb.1612:                             ;   in Loop: Header=BB312_1574 Depth=1
	s_or_b32 exec_lo, exec_lo, s20
	v_lshlrev_b32_e32 v70, 8, v11
	v_lshl_add_u32 v50, v50, 10, 0x2000
	v_lshlrev_b32_e32 v49, 7, v49
	v_and_b32_e32 v70, 0x8000, v70
	v_and_b32_e32 v50, 0xfc00, v50
	v_or3_b32 v49, v70, v50, v49
.LBB312_1613:                           ;   in Loop: Header=BB312_1574 Depth=1
	s_or_b32 exec_lo, exec_lo, s18
.LBB312_1614:                           ;   in Loop: Header=BB312_1574 Depth=1
	s_or_b32 exec_lo, exec_lo, s17
.LBB312_1615:                           ;   in Loop: Header=BB312_1574 Depth=1
	s_or_b32 exec_lo, exec_lo, s4
	v_lshrrev_b16 v0, 8, v0
	v_mov_b32_e32 v50, 0
	s_mov_b32 s4, exec_lo
	v_cmpx_ne_u16_e32 0, v0
	s_cbranch_execz .LBB312_1623
; %bb.1616:                             ;   in Loop: Header=BB312_1574 Depth=1
	v_bfrev_b32_e32 v50, 1
	s_mov_b32 s17, exec_lo
	v_cmpx_ne_u16_e32 0x80, v0
	s_cbranch_execz .LBB312_1622
; %bb.1617:                             ;   in Loop: Header=BB312_1574 Depth=1
	v_and_b32_sdwa v71, v0, v51 dst_sel:DWORD dst_unused:UNUSED_PAD src0_sel:WORD_0 src1_sel:DWORD
	v_mov_b32_e32 v50, 0x7c010000
	s_mov_b32 s18, exec_lo
	v_cmpx_ne_u32_e32 0x7f, v71
	s_cbranch_execz .LBB312_1621
; %bb.1618:                             ;   in Loop: Header=BB312_1574 Depth=1
	v_and_b32_sdwa v50, v0, v52 dst_sel:DWORD dst_unused:UNUSED_PAD src0_sel:WORD_0 src1_sel:DWORD
	v_lshrrev_b32_e32 v70, 3, v71
	s_mov_b32 s20, exec_lo
	v_cmpx_gt_u32_e32 8, v71
; %bb.1619:                             ;   in Loop: Header=BB312_1574 Depth=1
	v_ffbh_u32_e32 v50, v50
	v_min_u32_e32 v50, 32, v50
	v_subrev_nc_u32_e32 v70, 28, v50
	v_lshlrev_b64 v[96:97], v70, v[0:1]
	v_sub_nc_u32_e32 v70, 29, v50
	v_and_b32_e32 v50, 7, v96
; %bb.1620:                             ;   in Loop: Header=BB312_1574 Depth=1
	s_or_b32 exec_lo, exec_lo, s20
	v_lshlrev_b32_sdwa v0, v53, v0 dst_sel:DWORD dst_unused:UNUSED_PAD src0_sel:DWORD src1_sel:WORD_0
	v_lshl_add_u32 v70, v70, 10, 0x2000
	v_lshlrev_b32_e32 v50, 23, v50
	v_and_or_b32 v0, 0x8000, v0, v70
	v_lshl_or_b32 v50, v0, 16, v50
.LBB312_1621:                           ;   in Loop: Header=BB312_1574 Depth=1
	s_or_b32 exec_lo, exec_lo, s18
.LBB312_1622:                           ;   in Loop: Header=BB312_1574 Depth=1
	s_or_b32 exec_lo, exec_lo, s17
.LBB312_1623:                           ;   in Loop: Header=BB312_1574 Depth=1
	s_or_b32 exec_lo, exec_lo, s4
	v_lshrrev_b32_e32 v0, 16, v11
	v_cmp_ne_u16_sdwa s17, v0, v1 src0_sel:BYTE_0 src1_sel:DWORD
	s_and_saveexec_b32 s4, s17
	s_cbranch_execz .LBB312_1631
; %bb.1624:                             ;   in Loop: Header=BB312_1574 Depth=1
	v_cmp_ne_u16_sdwa s18, v0, v17 src0_sel:BYTE_0 src1_sel:DWORD
	v_mov_b32_e32 v48, 0x8000
	s_and_saveexec_b32 s17, s18
	s_cbranch_execz .LBB312_1630
; %bb.1625:                             ;   in Loop: Header=BB312_1574 Depth=1
	v_bfe_u32 v71, v11, 16, 7
	v_mov_b32_e32 v48, 0x7c01
	s_mov_b32 s18, exec_lo
	v_cmpx_ne_u32_e32 0x7f, v71
	s_cbranch_execz .LBB312_1629
; %bb.1626:                             ;   in Loop: Header=BB312_1574 Depth=1
	v_and_b32_e32 v48, 7, v0
	v_lshrrev_b32_e32 v70, 3, v71
	s_mov_b32 s20, exec_lo
	v_cmpx_gt_u32_e32 8, v71
; %bb.1627:                             ;   in Loop: Header=BB312_1574 Depth=1
	v_ffbh_u32_e32 v48, v48
	v_min_u32_e32 v48, 32, v48
	v_subrev_nc_u32_e32 v70, 28, v48
	v_lshlrev_b64 v[96:97], v70, v[0:1]
	v_sub_nc_u32_e32 v70, 29, v48
	v_and_b32_e32 v48, 7, v96
; %bb.1628:                             ;   in Loop: Header=BB312_1574 Depth=1
	s_or_b32 exec_lo, exec_lo, s20
	v_lshlrev_b32_e32 v0, 8, v0
	v_lshl_add_u32 v70, v70, 10, 0x2000
	v_lshlrev_b32_e32 v48, 7, v48
	v_and_b32_e32 v0, 0x8000, v0
	v_and_b32_e32 v70, 0xfc00, v70
	v_or3_b32 v48, v0, v70, v48
.LBB312_1629:                           ;   in Loop: Header=BB312_1574 Depth=1
	s_or_b32 exec_lo, exec_lo, s18
.LBB312_1630:                           ;   in Loop: Header=BB312_1574 Depth=1
	s_or_b32 exec_lo, exec_lo, s17
.LBB312_1631:                           ;   in Loop: Header=BB312_1574 Depth=1
	s_or_b32 exec_lo, exec_lo, s4
	v_cmp_lt_u64_e32 vcc_lo, s[12:13], v[10:11]
	v_mov_b32_e32 v10, 0
	s_and_saveexec_b32 s4, vcc_lo
	s_cbranch_execz .LBB312_1639
; %bb.1632:                             ;   in Loop: Header=BB312_1574 Depth=1
	v_lshrrev_b32_e32 v0, 24, v11
	v_bfrev_b32_e32 v10, 1
	s_mov_b32 s17, exec_lo
	v_cmpx_ne_u32_e32 0x80, v0
	s_cbranch_execz .LBB312_1638
; %bb.1633:                             ;   in Loop: Header=BB312_1574 Depth=1
	v_and_b32_e32 v70, 0x7f, v0
	v_mov_b32_e32 v10, 0x7c010000
	s_mov_b32 s18, exec_lo
	v_cmpx_ne_u32_e32 0x7f, v70
	s_cbranch_execz .LBB312_1637
; %bb.1634:                             ;   in Loop: Header=BB312_1574 Depth=1
	v_and_b32_e32 v10, 7, v0
	v_lshrrev_b32_e32 v11, 3, v70
	s_mov_b32 s20, exec_lo
	v_cmpx_gt_u32_e32 8, v70
; %bb.1635:                             ;   in Loop: Header=BB312_1574 Depth=1
	v_ffbh_u32_e32 v10, v10
	v_min_u32_e32 v70, 32, v10
	v_subrev_nc_u32_e32 v10, 28, v70
	v_lshlrev_b64 v[10:11], v10, v[0:1]
	v_sub_nc_u32_e32 v11, 29, v70
	v_and_b32_e32 v10, 7, v10
; %bb.1636:                             ;   in Loop: Header=BB312_1574 Depth=1
	s_or_b32 exec_lo, exec_lo, s20
	v_lshlrev_b32_e32 v0, 8, v0
	v_lshl_add_u32 v11, v11, 10, 0x2000
	v_lshlrev_b32_e32 v10, 23, v10
	v_and_or_b32 v0, 0x8000, v0, v11
	v_lshl_or_b32 v10, v0, 16, v10
.LBB312_1637:                           ;   in Loop: Header=BB312_1574 Depth=1
	s_or_b32 exec_lo, exec_lo, s18
.LBB312_1638:                           ;   in Loop: Header=BB312_1574 Depth=1
	s_or_b32 exec_lo, exec_lo, s17
.LBB312_1639:                           ;   in Loop: Header=BB312_1574 Depth=1
	s_or_b32 exec_lo, exec_lo, s4
	v_or_b32_e32 v0, v38, v39
	v_or_b32_e32 v37, v35, v37
	s_waitcnt vmcnt(0) lgkmcnt(0)
	v_fma_mixlo_f16 v35, v23, v35, 0 op_sel:[0,1,0] op_sel_hi:[0,1,0]
	v_or_b32_e32 v39, v50, v49
	v_or_b32_e32 v48, v10, v48
	v_fma_mixlo_f16 v0, v23, v0, 0 op_sel_hi:[0,1,0]
	v_fma_mixlo_f16 v11, v23, v38, 0 op_sel:[0,1,0] op_sel_hi:[0,1,0]
	v_lshlrev_b32_e32 v49, 16, v35
	v_fma_mixlo_f16 v35, v23, v37, 0 op_sel_hi:[0,1,0]
	v_fma_mixlo_f16 v37, v23, v39, 0 op_sel_hi:[0,1,0]
	v_and_b32_e32 v38, 0xffff, v0
	v_fma_mixlo_f16 v0, v23, v50, 0 op_sel:[0,1,0] op_sel_hi:[0,1,0]
	v_fma_mixlo_f16 v10, v23, v10, 0 op_sel:[0,1,0] op_sel_hi:[0,1,0]
	v_fma_mixlo_f16 v23, v23, v48, 0 op_sel_hi:[0,1,0]
	v_lshlrev_b32_e32 v11, 16, v11
	v_and_b32_e32 v70, 0xffff, v35
	v_lshlrev_b32_e32 v39, 16, v0
	v_and_b32_e32 v50, 0xffff, v37
	;; [unrolled: 2-line block ×3, first 2 shown]
	v_cmp_eq_u32_e32 vcc_lo, v121, v16
	v_or_b32_e32 v0, v11, v38
	v_or_b32_e32 v10, v49, v70
	;; [unrolled: 1-line block ×11, first 2 shown]
	s_and_saveexec_b32 s17, vcc_lo
	s_cbranch_execz .LBB312_1641
; %bb.1640:                             ;   in Loop: Header=BB312_1574 Depth=1
	v_cmp_lt_i32_e64 s4, v86, v36
	v_cndmask_b32_e64 v0, 0, v70, s4
	v_cmp_lt_i32_e64 s4, v115, v36
	v_cndmask_b32_e64 v10, 0, v49, s4
	v_cmp_lt_i32_e64 s4, v114, v36
	v_or_b32_e32 v10, v0, v10
	v_cndmask_b32_e64 v23, 0, v38, s4
	v_cmp_lt_i32_e64 s4, v113, v36
	v_cndmask_b32_e64 v11, 0, v11, s4
	v_cmp_lt_i32_e64 s4, v112, v36
	v_or_b32_e32 v0, v23, v11
	;; [unrolled: 5-line block ×3, first 2 shown]
	v_cndmask_b32_e64 v39, 0, v48, s4
	v_cmp_lt_i32_e64 s4, v101, v36
	v_cndmask_b32_e64 v35, 0, v35, s4
	v_or_b32_e32 v37, v39, v35
.LBB312_1641:                           ;   in Loop: Header=BB312_1574 Depth=1
	s_or_b32 exec_lo, exec_lo, s17
	v_and_b32_e32 v2, 0xffff, v2
	v_and_b32_e32 v11, 0xffff, v13
	;; [unrolled: 1-line block ×4, first 2 shown]
	v_lshl_or_b32 v100, v5, 16, v2
	v_lshl_or_b32 v99, v6, 16, v11
	;;#ASMSTART
	v_pk_mul_f16 v2, v100, v10;

	;;#ASMEND
	;;#ASMSTART
	v_pk_mul_f16 v0, v99, v0;

	;;#ASMEND
	v_lshl_or_b32 v98, v7, 16, v13
	v_lshl_or_b32 v97, v12, 16, v15
	;;#ASMSTART
	v_pk_mul_f16 v5, v98, v23;

	;;#ASMEND
	;;#ASMSTART
	v_pk_mul_f16 v6, v97, v37;

	;;#ASMEND
	;;#ASMSTART
	v_pk_add_f16 v0, v2, v0;

	;;#ASMEND
	;;#ASMSTART
	v_pk_add_f16 v0, v0, v5;
	;; [unrolled: 4-line block ×3, first 2 shown]

	;;#ASMEND
	v_and_b32_e32 v2, 0xffff, v0
	v_lshrrev_b32_e32 v0, 16, v0
	;;#ASMSTART
	v_cvt_f32_f16 v87, v2;
	;;#ASMEND
	;;#ASMSTART
	v_cvt_f32_f16 v96, v0;
	;;#ASMEND
	flat_load_dwordx2 v[10:11], v[8:9] offset:256
	flat_load_dword v2, v[26:27]
	v_mov_b32_e32 v5, 0
	v_mov_b32_e32 v6, 0
	s_waitcnt vmcnt(1) lgkmcnt(1)
	v_cmp_ne_u16_sdwa s4, v10, v1 src0_sel:BYTE_0 src1_sel:DWORD
	s_and_saveexec_b32 s17, s4
	s_cbranch_execz .LBB312_1649
; %bb.1642:                             ;   in Loop: Header=BB312_1574 Depth=1
	v_cmp_ne_u16_sdwa s4, v10, v17 src0_sel:BYTE_0 src1_sel:DWORD
	v_mov_b32_e32 v6, 0x8000
	s_and_saveexec_b32 s18, s4
	s_cbranch_execz .LBB312_1648
; %bb.1643:                             ;   in Loop: Header=BB312_1574 Depth=1
	v_and_b32_e32 v7, 0x7f, v10
	v_mov_b32_e32 v6, 0x7c01
	s_mov_b32 s20, exec_lo
	v_cmpx_ne_u32_e32 0x7f, v7
	s_cbranch_execz .LBB312_1647
; %bb.1644:                             ;   in Loop: Header=BB312_1574 Depth=1
	v_and_b32_e32 v0, 7, v10
	v_lshrrev_b32_e32 v6, 3, v7
	s_mov_b32 s21, exec_lo
	v_cmpx_gt_u32_e32 8, v7
; %bb.1645:                             ;   in Loop: Header=BB312_1574 Depth=1
	v_ffbh_u32_e32 v0, v0
	v_min_u32_e32 v0, 32, v0
	v_subrev_nc_u32_e32 v6, 28, v0
	v_lshlrev_b64 v[12:13], v6, v[10:11]
	v_sub_nc_u32_e32 v6, 29, v0
	v_and_b32_e32 v0, 7, v12
; %bb.1646:                             ;   in Loop: Header=BB312_1574 Depth=1
	s_or_b32 exec_lo, exec_lo, s21
	v_lshlrev_b32_e32 v7, 8, v10
	v_lshl_add_u32 v6, v6, 10, 0x2000
	v_lshlrev_b32_e32 v0, 7, v0
	v_and_b32_e32 v7, 0x8000, v7
	v_and_b32_e32 v6, 0xfc00, v6
	v_or3_b32 v6, v7, v6, v0
.LBB312_1647:                           ;   in Loop: Header=BB312_1574 Depth=1
	s_or_b32 exec_lo, exec_lo, s20
.LBB312_1648:                           ;   in Loop: Header=BB312_1574 Depth=1
	s_or_b32 exec_lo, exec_lo, s18
.LBB312_1649:                           ;   in Loop: Header=BB312_1574 Depth=1
	s_or_b32 exec_lo, exec_lo, s17
	v_lshrrev_b16 v0, 8, v10
	s_mov_b32 s17, exec_lo
	v_cmpx_ne_u16_e32 0, v0
	s_cbranch_execz .LBB312_1657
; %bb.1650:                             ;   in Loop: Header=BB312_1574 Depth=1
	v_bfrev_b32_e32 v5, 1
	s_mov_b32 s18, exec_lo
	v_cmpx_ne_u16_e32 0x80, v0
	s_cbranch_execz .LBB312_1656
; %bb.1651:                             ;   in Loop: Header=BB312_1574 Depth=1
	v_and_b32_sdwa v12, v0, v51 dst_sel:DWORD dst_unused:UNUSED_PAD src0_sel:WORD_0 src1_sel:DWORD
	v_mov_b32_e32 v5, 0x7c010000
	s_mov_b32 s20, exec_lo
	v_cmpx_ne_u32_e32 0x7f, v12
	s_cbranch_execz .LBB312_1655
; %bb.1652:                             ;   in Loop: Header=BB312_1574 Depth=1
	v_and_b32_sdwa v5, v0, v52 dst_sel:DWORD dst_unused:UNUSED_PAD src0_sel:WORD_0 src1_sel:DWORD
	v_lshrrev_b32_e32 v7, 3, v12
	s_mov_b32 s21, exec_lo
	v_cmpx_gt_u32_e32 8, v12
; %bb.1653:                             ;   in Loop: Header=BB312_1574 Depth=1
	v_ffbh_u32_e32 v5, v5
	v_min_u32_e32 v5, 32, v5
	v_subrev_nc_u32_e32 v7, 28, v5
	v_lshlrev_b64 v[12:13], v7, v[0:1]
	v_sub_nc_u32_e32 v7, 29, v5
	v_and_b32_e32 v5, 7, v12
; %bb.1654:                             ;   in Loop: Header=BB312_1574 Depth=1
	s_or_b32 exec_lo, exec_lo, s21
	v_lshlrev_b32_sdwa v0, v53, v0 dst_sel:DWORD dst_unused:UNUSED_PAD src0_sel:DWORD src1_sel:WORD_0
	v_lshl_add_u32 v7, v7, 10, 0x2000
	v_lshlrev_b32_e32 v5, 23, v5
	v_and_or_b32 v0, 0x8000, v0, v7
	v_lshl_or_b32 v5, v0, 16, v5
.LBB312_1655:                           ;   in Loop: Header=BB312_1574 Depth=1
	s_or_b32 exec_lo, exec_lo, s20
.LBB312_1656:                           ;   in Loop: Header=BB312_1574 Depth=1
	s_or_b32 exec_lo, exec_lo, s18
.LBB312_1657:                           ;   in Loop: Header=BB312_1574 Depth=1
	s_or_b32 exec_lo, exec_lo, s17
	v_lshrrev_b32_e32 v0, 16, v10
	v_mov_b32_e32 v7, 0
	v_mov_b32_e32 v12, 0
	v_cmp_ne_u16_sdwa s4, v0, v1 src0_sel:BYTE_0 src1_sel:DWORD
	s_and_saveexec_b32 s17, s4
	s_cbranch_execz .LBB312_1665
; %bb.1658:                             ;   in Loop: Header=BB312_1574 Depth=1
	v_cmp_ne_u16_sdwa s4, v0, v17 src0_sel:BYTE_0 src1_sel:DWORD
	v_mov_b32_e32 v12, 0x8000
	s_and_saveexec_b32 s18, s4
	s_cbranch_execz .LBB312_1664
; %bb.1659:                             ;   in Loop: Header=BB312_1574 Depth=1
	v_bfe_u32 v15, v10, 16, 7
	v_mov_b32_e32 v12, 0x7c01
	s_mov_b32 s20, exec_lo
	v_cmpx_ne_u32_e32 0x7f, v15
	s_cbranch_execz .LBB312_1663
; %bb.1660:                             ;   in Loop: Header=BB312_1574 Depth=1
	v_and_b32_e32 v12, 7, v0
	v_lshrrev_b32_e32 v13, 3, v15
	s_mov_b32 s21, exec_lo
	v_cmpx_gt_u32_e32 8, v15
; %bb.1661:                             ;   in Loop: Header=BB312_1574 Depth=1
	v_ffbh_u32_e32 v12, v12
	v_min_u32_e32 v15, 32, v12
	v_subrev_nc_u32_e32 v12, 28, v15
	v_lshlrev_b64 v[12:13], v12, v[0:1]
	v_sub_nc_u32_e32 v13, 29, v15
	v_and_b32_e32 v12, 7, v12
; %bb.1662:                             ;   in Loop: Header=BB312_1574 Depth=1
	s_or_b32 exec_lo, exec_lo, s21
	v_lshlrev_b32_e32 v0, 8, v0
	v_lshl_add_u32 v13, v13, 10, 0x2000
	v_lshlrev_b32_e32 v12, 7, v12
	v_and_b32_e32 v0, 0x8000, v0
	v_and_b32_e32 v13, 0xfc00, v13
	v_or3_b32 v12, v0, v13, v12
.LBB312_1663:                           ;   in Loop: Header=BB312_1574 Depth=1
	s_or_b32 exec_lo, exec_lo, s20
.LBB312_1664:                           ;   in Loop: Header=BB312_1574 Depth=1
	s_or_b32 exec_lo, exec_lo, s18
.LBB312_1665:                           ;   in Loop: Header=BB312_1574 Depth=1
	s_or_b32 exec_lo, exec_lo, s17
	s_mov_b32 s17, exec_lo
	v_cmpx_lt_u32_e32 0xffffff, v10
	s_cbranch_execz .LBB312_1673
; %bb.1666:                             ;   in Loop: Header=BB312_1574 Depth=1
	v_lshrrev_b32_e32 v0, 24, v10
	v_bfrev_b32_e32 v7, 1
	s_mov_b32 s18, exec_lo
	v_cmpx_ne_u32_e32 0x80, v0
	s_cbranch_execz .LBB312_1672
; %bb.1667:                             ;   in Loop: Header=BB312_1574 Depth=1
	v_and_b32_e32 v15, 0x7f, v0
	v_mov_b32_e32 v7, 0x7c010000
	s_mov_b32 s20, exec_lo
	v_cmpx_ne_u32_e32 0x7f, v15
	s_cbranch_execz .LBB312_1671
; %bb.1668:                             ;   in Loop: Header=BB312_1574 Depth=1
	v_and_b32_e32 v7, 7, v0
	v_lshrrev_b32_e32 v13, 3, v15
	s_mov_b32 s21, exec_lo
	v_cmpx_gt_u32_e32 8, v15
; %bb.1669:                             ;   in Loop: Header=BB312_1574 Depth=1
	v_ffbh_u32_e32 v7, v7
	v_min_u32_e32 v7, 32, v7
	v_subrev_nc_u32_e32 v13, 28, v7
	v_lshlrev_b64 v[22:23], v13, v[0:1]
	v_sub_nc_u32_e32 v13, 29, v7
	v_and_b32_e32 v7, 7, v22
; %bb.1670:                             ;   in Loop: Header=BB312_1574 Depth=1
	s_or_b32 exec_lo, exec_lo, s21
	v_lshlrev_b32_e32 v0, 8, v0
	v_lshl_add_u32 v13, v13, 10, 0x2000
	v_lshlrev_b32_e32 v7, 23, v7
	v_and_or_b32 v0, 0x8000, v0, v13
	v_lshl_or_b32 v7, v0, 16, v7
.LBB312_1671:                           ;   in Loop: Header=BB312_1574 Depth=1
	s_or_b32 exec_lo, exec_lo, s20
.LBB312_1672:                           ;   in Loop: Header=BB312_1574 Depth=1
	s_or_b32 exec_lo, exec_lo, s18
.LBB312_1673:                           ;   in Loop: Header=BB312_1574 Depth=1
	s_or_b32 exec_lo, exec_lo, s17
	v_mov_b32_e32 v0, v11
	v_cmp_ne_u16_sdwa s4, v11, v1 src0_sel:BYTE_0 src1_sel:DWORD
	v_mov_b32_e32 v13, 0
	v_mov_b32_e32 v15, 0
	s_and_saveexec_b32 s17, s4
	s_cbranch_execz .LBB312_1681
; %bb.1674:                             ;   in Loop: Header=BB312_1574 Depth=1
	v_cmp_ne_u16_sdwa s4, v11, v17 src0_sel:BYTE_0 src1_sel:DWORD
	v_mov_b32_e32 v15, 0x8000
	s_and_saveexec_b32 s18, s4
	s_cbranch_execz .LBB312_1680
; %bb.1675:                             ;   in Loop: Header=BB312_1574 Depth=1
	v_and_b32_e32 v23, 0x7f, v11
	v_mov_b32_e32 v15, 0x7c01
	s_mov_b32 s20, exec_lo
	v_cmpx_ne_u32_e32 0x7f, v23
	s_cbranch_execz .LBB312_1679
; %bb.1676:                             ;   in Loop: Header=BB312_1574 Depth=1
	v_and_b32_e32 v15, 7, v11
	v_lshrrev_b32_e32 v22, 3, v23
	s_mov_b32 s21, exec_lo
	v_cmpx_gt_u32_e32 8, v23
; %bb.1677:                             ;   in Loop: Header=BB312_1574 Depth=1
	v_ffbh_u32_e32 v15, v15
	v_min_u32_e32 v15, 32, v15
	v_subrev_nc_u32_e32 v22, 28, v15
	v_lshlrev_b64 v[37:38], v22, v[0:1]
	v_sub_nc_u32_e32 v22, 29, v15
	v_and_b32_e32 v15, 7, v37
; %bb.1678:                             ;   in Loop: Header=BB312_1574 Depth=1
	s_or_b32 exec_lo, exec_lo, s21
	v_lshlrev_b32_e32 v23, 8, v11
	v_lshl_add_u32 v22, v22, 10, 0x2000
	v_lshlrev_b32_e32 v15, 7, v15
	v_and_b32_e32 v23, 0x8000, v23
	v_and_b32_e32 v22, 0xfc00, v22
	v_or3_b32 v15, v23, v22, v15
.LBB312_1679:                           ;   in Loop: Header=BB312_1574 Depth=1
	s_or_b32 exec_lo, exec_lo, s20
.LBB312_1680:                           ;   in Loop: Header=BB312_1574 Depth=1
	s_or_b32 exec_lo, exec_lo, s18
.LBB312_1681:                           ;   in Loop: Header=BB312_1574 Depth=1
	s_or_b32 exec_lo, exec_lo, s17
	v_lshrrev_b16 v0, 8, v0
	v_mov_b32_e32 v22, 0
	s_mov_b32 s17, exec_lo
	v_cmpx_ne_u16_e32 0, v0
	s_cbranch_execz .LBB312_1689
; %bb.1682:                             ;   in Loop: Header=BB312_1574 Depth=1
	v_bfrev_b32_e32 v22, 1
	s_mov_b32 s18, exec_lo
	v_cmpx_ne_u16_e32 0x80, v0
	s_cbranch_execz .LBB312_1688
; %bb.1683:                             ;   in Loop: Header=BB312_1574 Depth=1
	v_and_b32_sdwa v35, v0, v51 dst_sel:DWORD dst_unused:UNUSED_PAD src0_sel:WORD_0 src1_sel:DWORD
	v_mov_b32_e32 v22, 0x7c010000
	s_mov_b32 s20, exec_lo
	v_cmpx_ne_u32_e32 0x7f, v35
	s_cbranch_execz .LBB312_1687
; %bb.1684:                             ;   in Loop: Header=BB312_1574 Depth=1
	v_and_b32_sdwa v22, v0, v52 dst_sel:DWORD dst_unused:UNUSED_PAD src0_sel:WORD_0 src1_sel:DWORD
	v_lshrrev_b32_e32 v23, 3, v35
	s_mov_b32 s21, exec_lo
	v_cmpx_gt_u32_e32 8, v35
; %bb.1685:                             ;   in Loop: Header=BB312_1574 Depth=1
	v_ffbh_u32_e32 v22, v22
	v_min_u32_e32 v35, 32, v22
	v_subrev_nc_u32_e32 v22, 28, v35
	v_lshlrev_b64 v[22:23], v22, v[0:1]
	v_sub_nc_u32_e32 v23, 29, v35
	v_and_b32_e32 v22, 7, v22
; %bb.1686:                             ;   in Loop: Header=BB312_1574 Depth=1
	s_or_b32 exec_lo, exec_lo, s21
	v_lshlrev_b32_sdwa v0, v53, v0 dst_sel:DWORD dst_unused:UNUSED_PAD src0_sel:DWORD src1_sel:WORD_0
	v_lshl_add_u32 v23, v23, 10, 0x2000
	v_lshlrev_b32_e32 v22, 23, v22
	v_and_or_b32 v0, 0x8000, v0, v23
	v_lshl_or_b32 v22, v0, 16, v22
.LBB312_1687:                           ;   in Loop: Header=BB312_1574 Depth=1
	s_or_b32 exec_lo, exec_lo, s20
.LBB312_1688:                           ;   in Loop: Header=BB312_1574 Depth=1
	s_or_b32 exec_lo, exec_lo, s18
.LBB312_1689:                           ;   in Loop: Header=BB312_1574 Depth=1
	s_or_b32 exec_lo, exec_lo, s17
	v_lshrrev_b32_e32 v0, 16, v11
	v_cmp_ne_u16_sdwa s4, v0, v1 src0_sel:BYTE_0 src1_sel:DWORD
	s_and_saveexec_b32 s17, s4
	s_cbranch_execz .LBB312_1697
; %bb.1690:                             ;   in Loop: Header=BB312_1574 Depth=1
	v_cmp_ne_u16_sdwa s4, v0, v17 src0_sel:BYTE_0 src1_sel:DWORD
	v_mov_b32_e32 v13, 0x8000
	s_and_saveexec_b32 s18, s4
	s_cbranch_execz .LBB312_1696
; %bb.1691:                             ;   in Loop: Header=BB312_1574 Depth=1
	v_bfe_u32 v35, v11, 16, 7
	v_mov_b32_e32 v13, 0x7c01
	s_mov_b32 s20, exec_lo
	v_cmpx_ne_u32_e32 0x7f, v35
	s_cbranch_execz .LBB312_1695
; %bb.1692:                             ;   in Loop: Header=BB312_1574 Depth=1
	v_and_b32_e32 v13, 7, v0
	v_lshrrev_b32_e32 v23, 3, v35
	s_mov_b32 s21, exec_lo
	v_cmpx_gt_u32_e32 8, v35
; %bb.1693:                             ;   in Loop: Header=BB312_1574 Depth=1
	v_ffbh_u32_e32 v13, v13
	v_min_u32_e32 v13, 32, v13
	v_subrev_nc_u32_e32 v23, 28, v13
	v_lshlrev_b64 v[37:38], v23, v[0:1]
	v_sub_nc_u32_e32 v23, 29, v13
	v_and_b32_e32 v13, 7, v37
; %bb.1694:                             ;   in Loop: Header=BB312_1574 Depth=1
	s_or_b32 exec_lo, exec_lo, s21
	v_lshlrev_b32_e32 v0, 8, v0
	v_lshl_add_u32 v23, v23, 10, 0x2000
	v_lshlrev_b32_e32 v13, 7, v13
	v_and_b32_e32 v0, 0x8000, v0
	v_and_b32_e32 v23, 0xfc00, v23
	v_or3_b32 v13, v0, v23, v13
.LBB312_1695:                           ;   in Loop: Header=BB312_1574 Depth=1
	s_or_b32 exec_lo, exec_lo, s20
.LBB312_1696:                           ;   in Loop: Header=BB312_1574 Depth=1
	s_or_b32 exec_lo, exec_lo, s18
.LBB312_1697:                           ;   in Loop: Header=BB312_1574 Depth=1
	s_or_b32 exec_lo, exec_lo, s17
	v_cmp_lt_u64_e64 s4, s[12:13], v[10:11]
	v_mov_b32_e32 v10, 0
	s_and_saveexec_b32 s17, s4
	s_cbranch_execz .LBB312_1705
; %bb.1698:                             ;   in Loop: Header=BB312_1574 Depth=1
	v_lshrrev_b32_e32 v0, 24, v11
	v_bfrev_b32_e32 v10, 1
	s_mov_b32 s18, exec_lo
	v_cmpx_ne_u32_e32 0x80, v0
	s_cbranch_execz .LBB312_1704
; %bb.1699:                             ;   in Loop: Header=BB312_1574 Depth=1
	v_and_b32_e32 v23, 0x7f, v0
	v_mov_b32_e32 v10, 0x7c010000
	s_mov_b32 s20, exec_lo
	v_cmpx_ne_u32_e32 0x7f, v23
	s_cbranch_execz .LBB312_1703
; %bb.1700:                             ;   in Loop: Header=BB312_1574 Depth=1
	v_and_b32_e32 v10, 7, v0
	v_lshrrev_b32_e32 v11, 3, v23
	s_mov_b32 s21, exec_lo
	v_cmpx_gt_u32_e32 8, v23
; %bb.1701:                             ;   in Loop: Header=BB312_1574 Depth=1
	v_ffbh_u32_e32 v10, v10
	v_min_u32_e32 v23, 32, v10
	v_subrev_nc_u32_e32 v10, 28, v23
	v_lshlrev_b64 v[10:11], v10, v[0:1]
	v_sub_nc_u32_e32 v11, 29, v23
	v_and_b32_e32 v10, 7, v10
; %bb.1702:                             ;   in Loop: Header=BB312_1574 Depth=1
	s_or_b32 exec_lo, exec_lo, s21
	v_lshlrev_b32_e32 v0, 8, v0
	v_lshl_add_u32 v11, v11, 10, 0x2000
	v_lshlrev_b32_e32 v10, 23, v10
	v_and_or_b32 v0, 0x8000, v0, v11
	v_lshl_or_b32 v10, v0, 16, v10
.LBB312_1703:                           ;   in Loop: Header=BB312_1574 Depth=1
	s_or_b32 exec_lo, exec_lo, s20
.LBB312_1704:                           ;   in Loop: Header=BB312_1574 Depth=1
	s_or_b32 exec_lo, exec_lo, s18
.LBB312_1705:                           ;   in Loop: Header=BB312_1574 Depth=1
	s_or_b32 exec_lo, exec_lo, s17
	v_or_b32_e32 v0, v7, v12
	s_waitcnt vmcnt(0) lgkmcnt(0)
	v_fma_mixlo_f16 v7, v2, v7, 0 op_sel:[0,1,0] op_sel_hi:[0,1,0]
	v_or_b32_e32 v6, v5, v6
	v_or_b32_e32 v12, v22, v15
	;; [unrolled: 1-line block ×3, first 2 shown]
	v_fma_mixlo_f16 v5, v2, v5, 0 op_sel:[0,1,0] op_sel_hi:[0,1,0]
	v_fma_mixlo_f16 v15, v2, v0, 0 op_sel_hi:[0,1,0]
	v_lshlrev_b32_e32 v0, 16, v7
	v_fma_mixlo_f16 v6, v2, v6, 0 op_sel_hi:[0,1,0]
	v_fma_mixlo_f16 v7, v2, v22, 0 op_sel:[0,1,0] op_sel_hi:[0,1,0]
	v_fma_mixlo_f16 v12, v2, v12, 0 op_sel_hi:[0,1,0]
	v_fma_mixlo_f16 v10, v2, v10, 0 op_sel:[0,1,0] op_sel_hi:[0,1,0]
	v_fma_mixlo_f16 v13, v2, v13, 0 op_sel_hi:[0,1,0]
	v_lshlrev_b32_e32 v11, 16, v5
	v_and_b32_e32 v5, 0xffff, v15
	v_and_b32_e32 v23, 0xffff, v6
	v_lshlrev_b32_e32 v6, 16, v7
	v_and_b32_e32 v12, 0xffff, v12
	v_lshlrev_b32_e32 v2, 16, v10
	v_and_b32_e32 v7, 0xffff, v13
	v_or_b32_e32 v10, v0, v5
	v_or_b32_e32 v22, v11, v23
	;; [unrolled: 1-line block ×4, first 2 shown]
	s_and_saveexec_b32 s17, vcc_lo
	s_cbranch_execz .LBB312_1707
; %bb.1706:                             ;   in Loop: Header=BB312_1574 Depth=1
	v_cmp_lt_i32_e64 s4, v86, v36
	v_cndmask_b32_e64 v10, 0, v23, s4
	v_cmp_lt_i32_e64 s4, v115, v36
	v_cndmask_b32_e64 v11, 0, v11, s4
	v_cmp_lt_i32_e64 s4, v114, v36
	v_or_b32_e32 v22, v10, v11
	v_cndmask_b32_e64 v5, 0, v5, s4
	v_cmp_lt_i32_e64 s4, v113, v36
	v_cndmask_b32_e64 v0, 0, v0, s4
	v_cmp_lt_i32_e64 s4, v112, v36
	v_or_b32_e32 v10, v5, v0
	;; [unrolled: 5-line block ×3, first 2 shown]
	v_cndmask_b32_e64 v7, 0, v7, s4
	v_cmp_lt_i32_e64 s4, v101, v36
	v_cndmask_b32_e64 v2, 0, v2, s4
	v_or_b32_e32 v13, v7, v2
.LBB312_1707:                           ;   in Loop: Header=BB312_1574 Depth=1
	s_or_b32 exec_lo, exec_lo, s17
	;;#ASMSTART
	v_pk_mul_f16 v0, v100, v22;

	;;#ASMEND
	;;#ASMSTART
	v_pk_mul_f16 v2, v99, v10;

	;;#ASMEND
	;; [unrolled: 4-line block ×4, first 2 shown]
	;;#ASMSTART
	v_pk_add_f16 v0, v0, v2;

	;;#ASMEND
	;;#ASMSTART
	v_pk_add_f16 v0, v0, v5;

	;;#ASMEND
	;;#ASMSTART
	v_pk_add_f16 v0, v0, v6;

	;;#ASMEND
	v_and_b32_e32 v2, 0xffff, v0
	v_lshrrev_b32_e32 v0, 16, v0
	;;#ASMSTART
	v_cvt_f32_f16 v116, v2;
	;;#ASMEND
	;;#ASMSTART
	v_cvt_f32_f16 v117, v0;
	;;#ASMEND
	flat_load_dwordx2 v[10:11], v[8:9] offset:512
	flat_load_dword v2, v[26:27]
	v_mov_b32_e32 v5, 0
	v_mov_b32_e32 v6, 0
	s_waitcnt vmcnt(1) lgkmcnt(1)
	v_cmp_ne_u16_sdwa s4, v10, v1 src0_sel:BYTE_0 src1_sel:DWORD
	s_and_saveexec_b32 s17, s4
	s_cbranch_execz .LBB312_1715
; %bb.1708:                             ;   in Loop: Header=BB312_1574 Depth=1
	v_cmp_ne_u16_sdwa s4, v10, v17 src0_sel:BYTE_0 src1_sel:DWORD
	v_mov_b32_e32 v6, 0x8000
	s_and_saveexec_b32 s18, s4
	s_cbranch_execz .LBB312_1714
; %bb.1709:                             ;   in Loop: Header=BB312_1574 Depth=1
	v_and_b32_e32 v7, 0x7f, v10
	v_mov_b32_e32 v6, 0x7c01
	s_mov_b32 s20, exec_lo
	v_cmpx_ne_u32_e32 0x7f, v7
	s_cbranch_execz .LBB312_1713
; %bb.1710:                             ;   in Loop: Header=BB312_1574 Depth=1
	v_and_b32_e32 v0, 7, v10
	v_lshrrev_b32_e32 v6, 3, v7
	s_mov_b32 s21, exec_lo
	v_cmpx_gt_u32_e32 8, v7
; %bb.1711:                             ;   in Loop: Header=BB312_1574 Depth=1
	v_ffbh_u32_e32 v0, v0
	v_min_u32_e32 v0, 32, v0
	v_subrev_nc_u32_e32 v6, 28, v0
	v_lshlrev_b64 v[12:13], v6, v[10:11]
	v_sub_nc_u32_e32 v6, 29, v0
	v_and_b32_e32 v0, 7, v12
; %bb.1712:                             ;   in Loop: Header=BB312_1574 Depth=1
	s_or_b32 exec_lo, exec_lo, s21
	v_lshlrev_b32_e32 v7, 8, v10
	v_lshl_add_u32 v6, v6, 10, 0x2000
	v_lshlrev_b32_e32 v0, 7, v0
	v_and_b32_e32 v7, 0x8000, v7
	v_and_b32_e32 v6, 0xfc00, v6
	v_or3_b32 v6, v7, v6, v0
.LBB312_1713:                           ;   in Loop: Header=BB312_1574 Depth=1
	s_or_b32 exec_lo, exec_lo, s20
.LBB312_1714:                           ;   in Loop: Header=BB312_1574 Depth=1
	s_or_b32 exec_lo, exec_lo, s18
.LBB312_1715:                           ;   in Loop: Header=BB312_1574 Depth=1
	s_or_b32 exec_lo, exec_lo, s17
	v_lshrrev_b16 v0, 8, v10
	s_mov_b32 s17, exec_lo
	v_cmpx_ne_u16_e32 0, v0
	s_cbranch_execz .LBB312_1723
; %bb.1716:                             ;   in Loop: Header=BB312_1574 Depth=1
	v_bfrev_b32_e32 v5, 1
	s_mov_b32 s18, exec_lo
	v_cmpx_ne_u16_e32 0x80, v0
	s_cbranch_execz .LBB312_1722
; %bb.1717:                             ;   in Loop: Header=BB312_1574 Depth=1
	v_and_b32_sdwa v12, v0, v51 dst_sel:DWORD dst_unused:UNUSED_PAD src0_sel:WORD_0 src1_sel:DWORD
	v_mov_b32_e32 v5, 0x7c010000
	s_mov_b32 s20, exec_lo
	v_cmpx_ne_u32_e32 0x7f, v12
	s_cbranch_execz .LBB312_1721
; %bb.1718:                             ;   in Loop: Header=BB312_1574 Depth=1
	v_and_b32_sdwa v5, v0, v52 dst_sel:DWORD dst_unused:UNUSED_PAD src0_sel:WORD_0 src1_sel:DWORD
	v_lshrrev_b32_e32 v7, 3, v12
	s_mov_b32 s21, exec_lo
	v_cmpx_gt_u32_e32 8, v12
; %bb.1719:                             ;   in Loop: Header=BB312_1574 Depth=1
	v_ffbh_u32_e32 v5, v5
	v_min_u32_e32 v5, 32, v5
	v_subrev_nc_u32_e32 v7, 28, v5
	v_lshlrev_b64 v[12:13], v7, v[0:1]
	v_sub_nc_u32_e32 v7, 29, v5
	v_and_b32_e32 v5, 7, v12
; %bb.1720:                             ;   in Loop: Header=BB312_1574 Depth=1
	s_or_b32 exec_lo, exec_lo, s21
	v_lshlrev_b32_sdwa v0, v53, v0 dst_sel:DWORD dst_unused:UNUSED_PAD src0_sel:DWORD src1_sel:WORD_0
	v_lshl_add_u32 v7, v7, 10, 0x2000
	v_lshlrev_b32_e32 v5, 23, v5
	v_and_or_b32 v0, 0x8000, v0, v7
	v_lshl_or_b32 v5, v0, 16, v5
.LBB312_1721:                           ;   in Loop: Header=BB312_1574 Depth=1
	s_or_b32 exec_lo, exec_lo, s20
.LBB312_1722:                           ;   in Loop: Header=BB312_1574 Depth=1
	s_or_b32 exec_lo, exec_lo, s18
.LBB312_1723:                           ;   in Loop: Header=BB312_1574 Depth=1
	s_or_b32 exec_lo, exec_lo, s17
	v_lshrrev_b32_e32 v0, 16, v10
	v_mov_b32_e32 v7, 0
	v_mov_b32_e32 v12, 0
	v_cmp_ne_u16_sdwa s4, v0, v1 src0_sel:BYTE_0 src1_sel:DWORD
	s_and_saveexec_b32 s17, s4
	s_cbranch_execz .LBB312_1731
; %bb.1724:                             ;   in Loop: Header=BB312_1574 Depth=1
	v_cmp_ne_u16_sdwa s4, v0, v17 src0_sel:BYTE_0 src1_sel:DWORD
	v_mov_b32_e32 v12, 0x8000
	s_and_saveexec_b32 s18, s4
	s_cbranch_execz .LBB312_1730
; %bb.1725:                             ;   in Loop: Header=BB312_1574 Depth=1
	v_bfe_u32 v15, v10, 16, 7
	v_mov_b32_e32 v12, 0x7c01
	s_mov_b32 s20, exec_lo
	v_cmpx_ne_u32_e32 0x7f, v15
	s_cbranch_execz .LBB312_1729
; %bb.1726:                             ;   in Loop: Header=BB312_1574 Depth=1
	v_and_b32_e32 v12, 7, v0
	v_lshrrev_b32_e32 v13, 3, v15
	s_mov_b32 s21, exec_lo
	v_cmpx_gt_u32_e32 8, v15
; %bb.1727:                             ;   in Loop: Header=BB312_1574 Depth=1
	v_ffbh_u32_e32 v12, v12
	v_min_u32_e32 v15, 32, v12
	v_subrev_nc_u32_e32 v12, 28, v15
	v_lshlrev_b64 v[12:13], v12, v[0:1]
	v_sub_nc_u32_e32 v13, 29, v15
	v_and_b32_e32 v12, 7, v12
; %bb.1728:                             ;   in Loop: Header=BB312_1574 Depth=1
	s_or_b32 exec_lo, exec_lo, s21
	v_lshlrev_b32_e32 v0, 8, v0
	v_lshl_add_u32 v13, v13, 10, 0x2000
	v_lshlrev_b32_e32 v12, 7, v12
	v_and_b32_e32 v0, 0x8000, v0
	v_and_b32_e32 v13, 0xfc00, v13
	v_or3_b32 v12, v0, v13, v12
.LBB312_1729:                           ;   in Loop: Header=BB312_1574 Depth=1
	s_or_b32 exec_lo, exec_lo, s20
.LBB312_1730:                           ;   in Loop: Header=BB312_1574 Depth=1
	s_or_b32 exec_lo, exec_lo, s18
.LBB312_1731:                           ;   in Loop: Header=BB312_1574 Depth=1
	s_or_b32 exec_lo, exec_lo, s17
	s_mov_b32 s17, exec_lo
	v_cmpx_lt_u32_e32 0xffffff, v10
	s_cbranch_execz .LBB312_1739
; %bb.1732:                             ;   in Loop: Header=BB312_1574 Depth=1
	v_lshrrev_b32_e32 v0, 24, v10
	v_bfrev_b32_e32 v7, 1
	s_mov_b32 s18, exec_lo
	v_cmpx_ne_u32_e32 0x80, v0
	s_cbranch_execz .LBB312_1738
; %bb.1733:                             ;   in Loop: Header=BB312_1574 Depth=1
	v_and_b32_e32 v15, 0x7f, v0
	v_mov_b32_e32 v7, 0x7c010000
	s_mov_b32 s20, exec_lo
	v_cmpx_ne_u32_e32 0x7f, v15
	s_cbranch_execz .LBB312_1737
; %bb.1734:                             ;   in Loop: Header=BB312_1574 Depth=1
	v_and_b32_e32 v7, 7, v0
	v_lshrrev_b32_e32 v13, 3, v15
	s_mov_b32 s21, exec_lo
	v_cmpx_gt_u32_e32 8, v15
; %bb.1735:                             ;   in Loop: Header=BB312_1574 Depth=1
	v_ffbh_u32_e32 v7, v7
	v_min_u32_e32 v7, 32, v7
	v_subrev_nc_u32_e32 v13, 28, v7
	v_lshlrev_b64 v[22:23], v13, v[0:1]
	v_sub_nc_u32_e32 v13, 29, v7
	v_and_b32_e32 v7, 7, v22
; %bb.1736:                             ;   in Loop: Header=BB312_1574 Depth=1
	s_or_b32 exec_lo, exec_lo, s21
	v_lshlrev_b32_e32 v0, 8, v0
	v_lshl_add_u32 v13, v13, 10, 0x2000
	v_lshlrev_b32_e32 v7, 23, v7
	v_and_or_b32 v0, 0x8000, v0, v13
	v_lshl_or_b32 v7, v0, 16, v7
.LBB312_1737:                           ;   in Loop: Header=BB312_1574 Depth=1
	s_or_b32 exec_lo, exec_lo, s20
.LBB312_1738:                           ;   in Loop: Header=BB312_1574 Depth=1
	s_or_b32 exec_lo, exec_lo, s18
.LBB312_1739:                           ;   in Loop: Header=BB312_1574 Depth=1
	s_or_b32 exec_lo, exec_lo, s17
	v_mov_b32_e32 v0, v11
	v_cmp_ne_u16_sdwa s4, v11, v1 src0_sel:BYTE_0 src1_sel:DWORD
	v_mov_b32_e32 v13, 0
	v_mov_b32_e32 v15, 0
	s_and_saveexec_b32 s17, s4
	s_cbranch_execz .LBB312_1747
; %bb.1740:                             ;   in Loop: Header=BB312_1574 Depth=1
	v_cmp_ne_u16_sdwa s4, v11, v17 src0_sel:BYTE_0 src1_sel:DWORD
	v_mov_b32_e32 v15, 0x8000
	s_and_saveexec_b32 s18, s4
	s_cbranch_execz .LBB312_1746
; %bb.1741:                             ;   in Loop: Header=BB312_1574 Depth=1
	v_and_b32_e32 v23, 0x7f, v11
	v_mov_b32_e32 v15, 0x7c01
	s_mov_b32 s20, exec_lo
	v_cmpx_ne_u32_e32 0x7f, v23
	s_cbranch_execz .LBB312_1745
; %bb.1742:                             ;   in Loop: Header=BB312_1574 Depth=1
	v_and_b32_e32 v15, 7, v11
	v_lshrrev_b32_e32 v22, 3, v23
	s_mov_b32 s21, exec_lo
	v_cmpx_gt_u32_e32 8, v23
; %bb.1743:                             ;   in Loop: Header=BB312_1574 Depth=1
	v_ffbh_u32_e32 v15, v15
	v_min_u32_e32 v15, 32, v15
	v_subrev_nc_u32_e32 v22, 28, v15
	v_lshlrev_b64 v[37:38], v22, v[0:1]
	v_sub_nc_u32_e32 v22, 29, v15
	v_and_b32_e32 v15, 7, v37
; %bb.1744:                             ;   in Loop: Header=BB312_1574 Depth=1
	s_or_b32 exec_lo, exec_lo, s21
	v_lshlrev_b32_e32 v23, 8, v11
	v_lshl_add_u32 v22, v22, 10, 0x2000
	v_lshlrev_b32_e32 v15, 7, v15
	v_and_b32_e32 v23, 0x8000, v23
	v_and_b32_e32 v22, 0xfc00, v22
	v_or3_b32 v15, v23, v22, v15
.LBB312_1745:                           ;   in Loop: Header=BB312_1574 Depth=1
	s_or_b32 exec_lo, exec_lo, s20
.LBB312_1746:                           ;   in Loop: Header=BB312_1574 Depth=1
	s_or_b32 exec_lo, exec_lo, s18
.LBB312_1747:                           ;   in Loop: Header=BB312_1574 Depth=1
	s_or_b32 exec_lo, exec_lo, s17
	v_lshrrev_b16 v0, 8, v0
	v_mov_b32_e32 v22, 0
	s_mov_b32 s17, exec_lo
	v_cmpx_ne_u16_e32 0, v0
	s_cbranch_execz .LBB312_1755
; %bb.1748:                             ;   in Loop: Header=BB312_1574 Depth=1
	v_bfrev_b32_e32 v22, 1
	s_mov_b32 s18, exec_lo
	v_cmpx_ne_u16_e32 0x80, v0
	s_cbranch_execz .LBB312_1754
; %bb.1749:                             ;   in Loop: Header=BB312_1574 Depth=1
	v_and_b32_sdwa v35, v0, v51 dst_sel:DWORD dst_unused:UNUSED_PAD src0_sel:WORD_0 src1_sel:DWORD
	v_mov_b32_e32 v22, 0x7c010000
	s_mov_b32 s20, exec_lo
	v_cmpx_ne_u32_e32 0x7f, v35
	s_cbranch_execz .LBB312_1753
; %bb.1750:                             ;   in Loop: Header=BB312_1574 Depth=1
	v_and_b32_sdwa v22, v0, v52 dst_sel:DWORD dst_unused:UNUSED_PAD src0_sel:WORD_0 src1_sel:DWORD
	v_lshrrev_b32_e32 v23, 3, v35
	s_mov_b32 s21, exec_lo
	v_cmpx_gt_u32_e32 8, v35
; %bb.1751:                             ;   in Loop: Header=BB312_1574 Depth=1
	v_ffbh_u32_e32 v22, v22
	v_min_u32_e32 v35, 32, v22
	v_subrev_nc_u32_e32 v22, 28, v35
	v_lshlrev_b64 v[22:23], v22, v[0:1]
	v_sub_nc_u32_e32 v23, 29, v35
	v_and_b32_e32 v22, 7, v22
; %bb.1752:                             ;   in Loop: Header=BB312_1574 Depth=1
	s_or_b32 exec_lo, exec_lo, s21
	v_lshlrev_b32_sdwa v0, v53, v0 dst_sel:DWORD dst_unused:UNUSED_PAD src0_sel:DWORD src1_sel:WORD_0
	v_lshl_add_u32 v23, v23, 10, 0x2000
	v_lshlrev_b32_e32 v22, 23, v22
	v_and_or_b32 v0, 0x8000, v0, v23
	v_lshl_or_b32 v22, v0, 16, v22
.LBB312_1753:                           ;   in Loop: Header=BB312_1574 Depth=1
	s_or_b32 exec_lo, exec_lo, s20
.LBB312_1754:                           ;   in Loop: Header=BB312_1574 Depth=1
	s_or_b32 exec_lo, exec_lo, s18
.LBB312_1755:                           ;   in Loop: Header=BB312_1574 Depth=1
	s_or_b32 exec_lo, exec_lo, s17
	v_lshrrev_b32_e32 v0, 16, v11
	v_cmp_ne_u16_sdwa s4, v0, v1 src0_sel:BYTE_0 src1_sel:DWORD
	s_and_saveexec_b32 s17, s4
	s_cbranch_execz .LBB312_1763
; %bb.1756:                             ;   in Loop: Header=BB312_1574 Depth=1
	v_cmp_ne_u16_sdwa s4, v0, v17 src0_sel:BYTE_0 src1_sel:DWORD
	v_mov_b32_e32 v13, 0x8000
	s_and_saveexec_b32 s18, s4
	s_cbranch_execz .LBB312_1762
; %bb.1757:                             ;   in Loop: Header=BB312_1574 Depth=1
	v_bfe_u32 v35, v11, 16, 7
	v_mov_b32_e32 v13, 0x7c01
	s_mov_b32 s20, exec_lo
	v_cmpx_ne_u32_e32 0x7f, v35
	s_cbranch_execz .LBB312_1761
; %bb.1758:                             ;   in Loop: Header=BB312_1574 Depth=1
	v_and_b32_e32 v13, 7, v0
	v_lshrrev_b32_e32 v23, 3, v35
	s_mov_b32 s21, exec_lo
	v_cmpx_gt_u32_e32 8, v35
; %bb.1759:                             ;   in Loop: Header=BB312_1574 Depth=1
	v_ffbh_u32_e32 v13, v13
	v_min_u32_e32 v13, 32, v13
	v_subrev_nc_u32_e32 v23, 28, v13
	v_lshlrev_b64 v[37:38], v23, v[0:1]
	v_sub_nc_u32_e32 v23, 29, v13
	v_and_b32_e32 v13, 7, v37
; %bb.1760:                             ;   in Loop: Header=BB312_1574 Depth=1
	s_or_b32 exec_lo, exec_lo, s21
	v_lshlrev_b32_e32 v0, 8, v0
	v_lshl_add_u32 v23, v23, 10, 0x2000
	v_lshlrev_b32_e32 v13, 7, v13
	v_and_b32_e32 v0, 0x8000, v0
	v_and_b32_e32 v23, 0xfc00, v23
	v_or3_b32 v13, v0, v23, v13
.LBB312_1761:                           ;   in Loop: Header=BB312_1574 Depth=1
	s_or_b32 exec_lo, exec_lo, s20
.LBB312_1762:                           ;   in Loop: Header=BB312_1574 Depth=1
	s_or_b32 exec_lo, exec_lo, s18
.LBB312_1763:                           ;   in Loop: Header=BB312_1574 Depth=1
	s_or_b32 exec_lo, exec_lo, s17
	v_cmp_lt_u64_e64 s4, s[12:13], v[10:11]
	v_mov_b32_e32 v10, 0
	s_and_saveexec_b32 s17, s4
	s_cbranch_execz .LBB312_1771
; %bb.1764:                             ;   in Loop: Header=BB312_1574 Depth=1
	v_lshrrev_b32_e32 v0, 24, v11
	v_bfrev_b32_e32 v10, 1
	s_mov_b32 s18, exec_lo
	v_cmpx_ne_u32_e32 0x80, v0
	s_cbranch_execz .LBB312_1770
; %bb.1765:                             ;   in Loop: Header=BB312_1574 Depth=1
	v_and_b32_e32 v23, 0x7f, v0
	v_mov_b32_e32 v10, 0x7c010000
	s_mov_b32 s20, exec_lo
	v_cmpx_ne_u32_e32 0x7f, v23
	s_cbranch_execz .LBB312_1769
; %bb.1766:                             ;   in Loop: Header=BB312_1574 Depth=1
	v_and_b32_e32 v10, 7, v0
	v_lshrrev_b32_e32 v11, 3, v23
	s_mov_b32 s21, exec_lo
	v_cmpx_gt_u32_e32 8, v23
; %bb.1767:                             ;   in Loop: Header=BB312_1574 Depth=1
	v_ffbh_u32_e32 v10, v10
	v_min_u32_e32 v23, 32, v10
	v_subrev_nc_u32_e32 v10, 28, v23
	v_lshlrev_b64 v[10:11], v10, v[0:1]
	v_sub_nc_u32_e32 v11, 29, v23
	v_and_b32_e32 v10, 7, v10
; %bb.1768:                             ;   in Loop: Header=BB312_1574 Depth=1
	s_or_b32 exec_lo, exec_lo, s21
	v_lshlrev_b32_e32 v0, 8, v0
	v_lshl_add_u32 v11, v11, 10, 0x2000
	v_lshlrev_b32_e32 v10, 23, v10
	v_and_or_b32 v0, 0x8000, v0, v11
	v_lshl_or_b32 v10, v0, 16, v10
.LBB312_1769:                           ;   in Loop: Header=BB312_1574 Depth=1
	s_or_b32 exec_lo, exec_lo, s20
.LBB312_1770:                           ;   in Loop: Header=BB312_1574 Depth=1
	s_or_b32 exec_lo, exec_lo, s18
.LBB312_1771:                           ;   in Loop: Header=BB312_1574 Depth=1
	s_or_b32 exec_lo, exec_lo, s17
	v_or_b32_e32 v0, v7, v12
	s_waitcnt vmcnt(0) lgkmcnt(0)
	v_fma_mixlo_f16 v7, v2, v7, 0 op_sel:[0,1,0] op_sel_hi:[0,1,0]
	v_or_b32_e32 v6, v5, v6
	v_or_b32_e32 v12, v22, v15
	;; [unrolled: 1-line block ×3, first 2 shown]
	v_fma_mixlo_f16 v5, v2, v5, 0 op_sel:[0,1,0] op_sel_hi:[0,1,0]
	v_fma_mixlo_f16 v15, v2, v0, 0 op_sel_hi:[0,1,0]
	v_lshlrev_b32_e32 v0, 16, v7
	v_fma_mixlo_f16 v6, v2, v6, 0 op_sel_hi:[0,1,0]
	v_fma_mixlo_f16 v7, v2, v22, 0 op_sel:[0,1,0] op_sel_hi:[0,1,0]
	v_fma_mixlo_f16 v12, v2, v12, 0 op_sel_hi:[0,1,0]
	v_fma_mixlo_f16 v10, v2, v10, 0 op_sel:[0,1,0] op_sel_hi:[0,1,0]
	v_fma_mixlo_f16 v13, v2, v13, 0 op_sel_hi:[0,1,0]
	v_lshlrev_b32_e32 v11, 16, v5
	v_and_b32_e32 v5, 0xffff, v15
	v_and_b32_e32 v23, 0xffff, v6
	v_lshlrev_b32_e32 v6, 16, v7
	v_and_b32_e32 v12, 0xffff, v12
	v_lshlrev_b32_e32 v2, 16, v10
	v_and_b32_e32 v7, 0xffff, v13
	v_or_b32_e32 v10, v0, v5
	v_or_b32_e32 v22, v11, v23
	;; [unrolled: 1-line block ×4, first 2 shown]
	s_and_saveexec_b32 s17, vcc_lo
	s_cbranch_execz .LBB312_1773
; %bb.1772:                             ;   in Loop: Header=BB312_1574 Depth=1
	v_cmp_lt_i32_e64 s4, v86, v36
	v_cndmask_b32_e64 v10, 0, v23, s4
	v_cmp_lt_i32_e64 s4, v115, v36
	v_cndmask_b32_e64 v11, 0, v11, s4
	v_cmp_lt_i32_e64 s4, v114, v36
	v_or_b32_e32 v22, v10, v11
	v_cndmask_b32_e64 v5, 0, v5, s4
	v_cmp_lt_i32_e64 s4, v113, v36
	v_cndmask_b32_e64 v0, 0, v0, s4
	v_cmp_lt_i32_e64 s4, v112, v36
	v_or_b32_e32 v10, v5, v0
	;; [unrolled: 5-line block ×3, first 2 shown]
	v_cndmask_b32_e64 v7, 0, v7, s4
	v_cmp_lt_i32_e64 s4, v101, v36
	v_cndmask_b32_e64 v2, 0, v2, s4
	v_or_b32_e32 v13, v7, v2
.LBB312_1773:                           ;   in Loop: Header=BB312_1574 Depth=1
	s_or_b32 exec_lo, exec_lo, s17
	;;#ASMSTART
	v_pk_mul_f16 v0, v100, v22;

	;;#ASMEND
	;;#ASMSTART
	v_pk_mul_f16 v2, v99, v10;

	;;#ASMEND
	;; [unrolled: 4-line block ×4, first 2 shown]
	;;#ASMSTART
	v_pk_add_f16 v0, v0, v2;

	;;#ASMEND
	;;#ASMSTART
	v_pk_add_f16 v0, v0, v5;

	;;#ASMEND
	;; [unrolled: 4-line block ×3, first 2 shown]
	v_and_b32_e32 v2, 0xffff, v0
	v_lshrrev_b32_e32 v0, 16, v0
	;;#ASMSTART
	v_cvt_f32_f16 v15, v2;
	;;#ASMEND
	;;#ASMSTART
	v_cvt_f32_f16 v119, v0;
	;;#ASMEND
	flat_load_dwordx2 v[10:11], v[8:9] offset:768
	flat_load_dword v2, v[26:27]
	v_mov_b32_e32 v5, 0
	v_mov_b32_e32 v6, 0
	s_waitcnt vmcnt(1) lgkmcnt(1)
	v_cmp_ne_u16_sdwa s4, v10, v1 src0_sel:BYTE_0 src1_sel:DWORD
	s_and_saveexec_b32 s17, s4
	s_cbranch_execz .LBB312_1781
; %bb.1774:                             ;   in Loop: Header=BB312_1574 Depth=1
	v_cmp_ne_u16_sdwa s4, v10, v17 src0_sel:BYTE_0 src1_sel:DWORD
	v_mov_b32_e32 v6, 0x8000
	s_and_saveexec_b32 s18, s4
	s_cbranch_execz .LBB312_1780
; %bb.1775:                             ;   in Loop: Header=BB312_1574 Depth=1
	v_and_b32_e32 v7, 0x7f, v10
	v_mov_b32_e32 v6, 0x7c01
	s_mov_b32 s20, exec_lo
	v_cmpx_ne_u32_e32 0x7f, v7
	s_cbranch_execz .LBB312_1779
; %bb.1776:                             ;   in Loop: Header=BB312_1574 Depth=1
	v_and_b32_e32 v0, 7, v10
	v_lshrrev_b32_e32 v6, 3, v7
	s_mov_b32 s21, exec_lo
	v_cmpx_gt_u32_e32 8, v7
; %bb.1777:                             ;   in Loop: Header=BB312_1574 Depth=1
	v_ffbh_u32_e32 v0, v0
	v_min_u32_e32 v0, 32, v0
	v_subrev_nc_u32_e32 v6, 28, v0
	v_lshlrev_b64 v[12:13], v6, v[10:11]
	v_sub_nc_u32_e32 v6, 29, v0
	v_and_b32_e32 v0, 7, v12
; %bb.1778:                             ;   in Loop: Header=BB312_1574 Depth=1
	s_or_b32 exec_lo, exec_lo, s21
	v_lshlrev_b32_e32 v7, 8, v10
	v_lshl_add_u32 v6, v6, 10, 0x2000
	v_lshlrev_b32_e32 v0, 7, v0
	v_and_b32_e32 v7, 0x8000, v7
	v_and_b32_e32 v6, 0xfc00, v6
	v_or3_b32 v6, v7, v6, v0
.LBB312_1779:                           ;   in Loop: Header=BB312_1574 Depth=1
	s_or_b32 exec_lo, exec_lo, s20
.LBB312_1780:                           ;   in Loop: Header=BB312_1574 Depth=1
	s_or_b32 exec_lo, exec_lo, s18
.LBB312_1781:                           ;   in Loop: Header=BB312_1574 Depth=1
	s_or_b32 exec_lo, exec_lo, s17
	v_lshrrev_b16 v0, 8, v10
	s_mov_b32 s17, exec_lo
	v_cmpx_ne_u16_e32 0, v0
	s_cbranch_execz .LBB312_1789
; %bb.1782:                             ;   in Loop: Header=BB312_1574 Depth=1
	v_bfrev_b32_e32 v5, 1
	s_mov_b32 s18, exec_lo
	v_cmpx_ne_u16_e32 0x80, v0
	s_cbranch_execz .LBB312_1788
; %bb.1783:                             ;   in Loop: Header=BB312_1574 Depth=1
	v_and_b32_sdwa v12, v0, v51 dst_sel:DWORD dst_unused:UNUSED_PAD src0_sel:WORD_0 src1_sel:DWORD
	v_mov_b32_e32 v5, 0x7c010000
	s_mov_b32 s20, exec_lo
	v_cmpx_ne_u32_e32 0x7f, v12
	s_cbranch_execz .LBB312_1787
; %bb.1784:                             ;   in Loop: Header=BB312_1574 Depth=1
	v_and_b32_sdwa v5, v0, v52 dst_sel:DWORD dst_unused:UNUSED_PAD src0_sel:WORD_0 src1_sel:DWORD
	v_lshrrev_b32_e32 v7, 3, v12
	s_mov_b32 s21, exec_lo
	v_cmpx_gt_u32_e32 8, v12
; %bb.1785:                             ;   in Loop: Header=BB312_1574 Depth=1
	v_ffbh_u32_e32 v5, v5
	v_min_u32_e32 v5, 32, v5
	v_subrev_nc_u32_e32 v7, 28, v5
	v_lshlrev_b64 v[12:13], v7, v[0:1]
	v_sub_nc_u32_e32 v7, 29, v5
	v_and_b32_e32 v5, 7, v12
; %bb.1786:                             ;   in Loop: Header=BB312_1574 Depth=1
	s_or_b32 exec_lo, exec_lo, s21
	v_lshlrev_b32_sdwa v0, v53, v0 dst_sel:DWORD dst_unused:UNUSED_PAD src0_sel:DWORD src1_sel:WORD_0
	v_lshl_add_u32 v7, v7, 10, 0x2000
	v_lshlrev_b32_e32 v5, 23, v5
	v_and_or_b32 v0, 0x8000, v0, v7
	v_lshl_or_b32 v5, v0, 16, v5
.LBB312_1787:                           ;   in Loop: Header=BB312_1574 Depth=1
	s_or_b32 exec_lo, exec_lo, s20
.LBB312_1788:                           ;   in Loop: Header=BB312_1574 Depth=1
	s_or_b32 exec_lo, exec_lo, s18
.LBB312_1789:                           ;   in Loop: Header=BB312_1574 Depth=1
	s_or_b32 exec_lo, exec_lo, s17
	v_lshrrev_b32_e32 v0, 16, v10
	v_mov_b32_e32 v7, 0
	v_mov_b32_e32 v12, 0
	v_cmp_ne_u16_sdwa s4, v0, v1 src0_sel:BYTE_0 src1_sel:DWORD
	s_and_saveexec_b32 s17, s4
	s_cbranch_execz .LBB312_1797
; %bb.1790:                             ;   in Loop: Header=BB312_1574 Depth=1
	v_cmp_ne_u16_sdwa s4, v0, v17 src0_sel:BYTE_0 src1_sel:DWORD
	v_mov_b32_e32 v12, 0x8000
	s_and_saveexec_b32 s18, s4
	s_cbranch_execz .LBB312_1796
; %bb.1791:                             ;   in Loop: Header=BB312_1574 Depth=1
	v_bfe_u32 v22, v10, 16, 7
	v_mov_b32_e32 v12, 0x7c01
	s_mov_b32 s20, exec_lo
	v_cmpx_ne_u32_e32 0x7f, v22
	s_cbranch_execz .LBB312_1795
; %bb.1792:                             ;   in Loop: Header=BB312_1574 Depth=1
	v_and_b32_e32 v12, 7, v0
	v_lshrrev_b32_e32 v13, 3, v22
	s_mov_b32 s21, exec_lo
	v_cmpx_gt_u32_e32 8, v22
; %bb.1793:                             ;   in Loop: Header=BB312_1574 Depth=1
	v_ffbh_u32_e32 v12, v12
	v_min_u32_e32 v22, 32, v12
	v_subrev_nc_u32_e32 v12, 28, v22
	v_lshlrev_b64 v[12:13], v12, v[0:1]
	v_sub_nc_u32_e32 v13, 29, v22
	v_and_b32_e32 v12, 7, v12
; %bb.1794:                             ;   in Loop: Header=BB312_1574 Depth=1
	s_or_b32 exec_lo, exec_lo, s21
	v_lshlrev_b32_e32 v0, 8, v0
	v_lshl_add_u32 v13, v13, 10, 0x2000
	v_lshlrev_b32_e32 v12, 7, v12
	v_and_b32_e32 v0, 0x8000, v0
	v_and_b32_e32 v13, 0xfc00, v13
	v_or3_b32 v12, v0, v13, v12
.LBB312_1795:                           ;   in Loop: Header=BB312_1574 Depth=1
	s_or_b32 exec_lo, exec_lo, s20
.LBB312_1796:                           ;   in Loop: Header=BB312_1574 Depth=1
	s_or_b32 exec_lo, exec_lo, s18
.LBB312_1797:                           ;   in Loop: Header=BB312_1574 Depth=1
	s_or_b32 exec_lo, exec_lo, s17
	s_mov_b32 s17, exec_lo
	v_cmpx_lt_u32_e32 0xffffff, v10
	s_cbranch_execz .LBB312_1805
; %bb.1798:                             ;   in Loop: Header=BB312_1574 Depth=1
	v_lshrrev_b32_e32 v0, 24, v10
	v_bfrev_b32_e32 v7, 1
	s_mov_b32 s18, exec_lo
	v_cmpx_ne_u32_e32 0x80, v0
	s_cbranch_execz .LBB312_1804
; %bb.1799:                             ;   in Loop: Header=BB312_1574 Depth=1
	v_and_b32_e32 v22, 0x7f, v0
	v_mov_b32_e32 v7, 0x7c010000
	s_mov_b32 s20, exec_lo
	v_cmpx_ne_u32_e32 0x7f, v22
	s_cbranch_execz .LBB312_1803
; %bb.1800:                             ;   in Loop: Header=BB312_1574 Depth=1
	v_and_b32_e32 v7, 7, v0
	v_lshrrev_b32_e32 v13, 3, v22
	s_mov_b32 s21, exec_lo
	v_cmpx_gt_u32_e32 8, v22
; %bb.1801:                             ;   in Loop: Header=BB312_1574 Depth=1
	v_ffbh_u32_e32 v7, v7
	v_min_u32_e32 v7, 32, v7
	v_subrev_nc_u32_e32 v13, 28, v7
	v_lshlrev_b64 v[22:23], v13, v[0:1]
	v_sub_nc_u32_e32 v13, 29, v7
	v_and_b32_e32 v7, 7, v22
; %bb.1802:                             ;   in Loop: Header=BB312_1574 Depth=1
	s_or_b32 exec_lo, exec_lo, s21
	v_lshlrev_b32_e32 v0, 8, v0
	v_lshl_add_u32 v13, v13, 10, 0x2000
	v_lshlrev_b32_e32 v7, 23, v7
	v_and_or_b32 v0, 0x8000, v0, v13
	v_lshl_or_b32 v7, v0, 16, v7
.LBB312_1803:                           ;   in Loop: Header=BB312_1574 Depth=1
	s_or_b32 exec_lo, exec_lo, s20
.LBB312_1804:                           ;   in Loop: Header=BB312_1574 Depth=1
	s_or_b32 exec_lo, exec_lo, s18
.LBB312_1805:                           ;   in Loop: Header=BB312_1574 Depth=1
	s_or_b32 exec_lo, exec_lo, s17
	v_mov_b32_e32 v0, v11
	v_cmp_ne_u16_sdwa s4, v11, v1 src0_sel:BYTE_0 src1_sel:DWORD
	v_mov_b32_e32 v13, 0
	v_mov_b32_e32 v22, 0
	s_and_saveexec_b32 s17, s4
	s_cbranch_execz .LBB312_1813
; %bb.1806:                             ;   in Loop: Header=BB312_1574 Depth=1
	v_cmp_ne_u16_sdwa s4, v11, v17 src0_sel:BYTE_0 src1_sel:DWORD
	v_mov_b32_e32 v22, 0x8000
	s_and_saveexec_b32 s18, s4
	s_cbranch_execz .LBB312_1812
; %bb.1807:                             ;   in Loop: Header=BB312_1574 Depth=1
	v_and_b32_e32 v35, 0x7f, v11
	v_mov_b32_e32 v22, 0x7c01
	s_mov_b32 s20, exec_lo
	v_cmpx_ne_u32_e32 0x7f, v35
	s_cbranch_execz .LBB312_1811
; %bb.1808:                             ;   in Loop: Header=BB312_1574 Depth=1
	v_and_b32_e32 v22, 7, v11
	v_lshrrev_b32_e32 v23, 3, v35
	s_mov_b32 s21, exec_lo
	v_cmpx_gt_u32_e32 8, v35
; %bb.1809:                             ;   in Loop: Header=BB312_1574 Depth=1
	v_ffbh_u32_e32 v22, v22
	v_min_u32_e32 v35, 32, v22
	v_subrev_nc_u32_e32 v22, 28, v35
	v_lshlrev_b64 v[22:23], v22, v[0:1]
	v_sub_nc_u32_e32 v23, 29, v35
	v_and_b32_e32 v22, 7, v22
; %bb.1810:                             ;   in Loop: Header=BB312_1574 Depth=1
	s_or_b32 exec_lo, exec_lo, s21
	v_lshlrev_b32_e32 v35, 8, v11
	v_lshl_add_u32 v23, v23, 10, 0x2000
	v_lshlrev_b32_e32 v22, 7, v22
	v_and_b32_e32 v35, 0x8000, v35
	v_and_b32_e32 v23, 0xfc00, v23
	v_or3_b32 v22, v35, v23, v22
.LBB312_1811:                           ;   in Loop: Header=BB312_1574 Depth=1
	s_or_b32 exec_lo, exec_lo, s20
.LBB312_1812:                           ;   in Loop: Header=BB312_1574 Depth=1
	s_or_b32 exec_lo, exec_lo, s18
.LBB312_1813:                           ;   in Loop: Header=BB312_1574 Depth=1
	s_or_b32 exec_lo, exec_lo, s17
	v_lshrrev_b16 v0, 8, v0
	v_mov_b32_e32 v23, 0
	s_mov_b32 s17, exec_lo
	v_cmpx_ne_u16_e32 0, v0
	s_cbranch_execz .LBB312_1821
; %bb.1814:                             ;   in Loop: Header=BB312_1574 Depth=1
	v_bfrev_b32_e32 v23, 1
	s_mov_b32 s18, exec_lo
	v_cmpx_ne_u16_e32 0x80, v0
	s_cbranch_execz .LBB312_1820
; %bb.1815:                             ;   in Loop: Header=BB312_1574 Depth=1
	v_and_b32_sdwa v37, v0, v51 dst_sel:DWORD dst_unused:UNUSED_PAD src0_sel:WORD_0 src1_sel:DWORD
	v_mov_b32_e32 v23, 0x7c010000
	s_mov_b32 s20, exec_lo
	v_cmpx_ne_u32_e32 0x7f, v37
	s_cbranch_execz .LBB312_1819
; %bb.1816:                             ;   in Loop: Header=BB312_1574 Depth=1
	v_and_b32_sdwa v23, v0, v52 dst_sel:DWORD dst_unused:UNUSED_PAD src0_sel:WORD_0 src1_sel:DWORD
	v_lshrrev_b32_e32 v35, 3, v37
	s_mov_b32 s21, exec_lo
	v_cmpx_gt_u32_e32 8, v37
; %bb.1817:                             ;   in Loop: Header=BB312_1574 Depth=1
	v_ffbh_u32_e32 v23, v23
	v_min_u32_e32 v23, 32, v23
	v_subrev_nc_u32_e32 v35, 28, v23
	v_lshlrev_b64 v[37:38], v35, v[0:1]
	v_sub_nc_u32_e32 v35, 29, v23
	v_and_b32_e32 v23, 7, v37
; %bb.1818:                             ;   in Loop: Header=BB312_1574 Depth=1
	s_or_b32 exec_lo, exec_lo, s21
	v_lshlrev_b32_sdwa v0, v53, v0 dst_sel:DWORD dst_unused:UNUSED_PAD src0_sel:DWORD src1_sel:WORD_0
	v_lshl_add_u32 v35, v35, 10, 0x2000
	v_lshlrev_b32_e32 v23, 23, v23
	v_and_or_b32 v0, 0x8000, v0, v35
	v_lshl_or_b32 v23, v0, 16, v23
.LBB312_1819:                           ;   in Loop: Header=BB312_1574 Depth=1
	s_or_b32 exec_lo, exec_lo, s20
.LBB312_1820:                           ;   in Loop: Header=BB312_1574 Depth=1
	s_or_b32 exec_lo, exec_lo, s18
.LBB312_1821:                           ;   in Loop: Header=BB312_1574 Depth=1
	s_or_b32 exec_lo, exec_lo, s17
	v_lshrrev_b32_e32 v0, 16, v11
	v_cmp_ne_u16_sdwa s4, v0, v1 src0_sel:BYTE_0 src1_sel:DWORD
	s_and_saveexec_b32 s17, s4
	s_cbranch_execz .LBB312_1829
; %bb.1822:                             ;   in Loop: Header=BB312_1574 Depth=1
	v_cmp_ne_u16_sdwa s4, v0, v17 src0_sel:BYTE_0 src1_sel:DWORD
	v_mov_b32_e32 v13, 0x8000
	s_and_saveexec_b32 s18, s4
	s_cbranch_execz .LBB312_1828
; %bb.1823:                             ;   in Loop: Header=BB312_1574 Depth=1
	v_bfe_u32 v37, v11, 16, 7
	v_mov_b32_e32 v13, 0x7c01
	s_mov_b32 s20, exec_lo
	v_cmpx_ne_u32_e32 0x7f, v37
	s_cbranch_execz .LBB312_1827
; %bb.1824:                             ;   in Loop: Header=BB312_1574 Depth=1
	v_and_b32_e32 v13, 7, v0
	v_lshrrev_b32_e32 v35, 3, v37
	s_mov_b32 s21, exec_lo
	v_cmpx_gt_u32_e32 8, v37
; %bb.1825:                             ;   in Loop: Header=BB312_1574 Depth=1
	v_ffbh_u32_e32 v13, v13
	v_min_u32_e32 v13, 32, v13
	v_subrev_nc_u32_e32 v35, 28, v13
	v_lshlrev_b64 v[37:38], v35, v[0:1]
	v_sub_nc_u32_e32 v35, 29, v13
	v_and_b32_e32 v13, 7, v37
; %bb.1826:                             ;   in Loop: Header=BB312_1574 Depth=1
	s_or_b32 exec_lo, exec_lo, s21
	v_lshlrev_b32_e32 v0, 8, v0
	v_lshl_add_u32 v35, v35, 10, 0x2000
	v_lshlrev_b32_e32 v13, 7, v13
	v_and_b32_e32 v0, 0x8000, v0
	v_and_b32_e32 v35, 0xfc00, v35
	v_or3_b32 v13, v0, v35, v13
.LBB312_1827:                           ;   in Loop: Header=BB312_1574 Depth=1
	s_or_b32 exec_lo, exec_lo, s20
.LBB312_1828:                           ;   in Loop: Header=BB312_1574 Depth=1
	s_or_b32 exec_lo, exec_lo, s18
.LBB312_1829:                           ;   in Loop: Header=BB312_1574 Depth=1
	s_or_b32 exec_lo, exec_lo, s17
	v_cmp_lt_u64_e64 s4, s[12:13], v[10:11]
	v_mov_b32_e32 v10, 0
	s_and_saveexec_b32 s17, s4
	s_cbranch_execz .LBB312_1837
; %bb.1830:                             ;   in Loop: Header=BB312_1574 Depth=1
	v_lshrrev_b32_e32 v0, 24, v11
	v_bfrev_b32_e32 v10, 1
	s_mov_b32 s18, exec_lo
	v_cmpx_ne_u32_e32 0x80, v0
	s_cbranch_execz .LBB312_1836
; %bb.1831:                             ;   in Loop: Header=BB312_1574 Depth=1
	v_and_b32_e32 v35, 0x7f, v0
	v_mov_b32_e32 v10, 0x7c010000
	s_mov_b32 s20, exec_lo
	v_cmpx_ne_u32_e32 0x7f, v35
	s_cbranch_execz .LBB312_1835
; %bb.1832:                             ;   in Loop: Header=BB312_1574 Depth=1
	v_and_b32_e32 v10, 7, v0
	v_lshrrev_b32_e32 v11, 3, v35
	s_mov_b32 s21, exec_lo
	v_cmpx_gt_u32_e32 8, v35
; %bb.1833:                             ;   in Loop: Header=BB312_1574 Depth=1
	v_ffbh_u32_e32 v10, v10
	v_min_u32_e32 v35, 32, v10
	v_subrev_nc_u32_e32 v10, 28, v35
	v_lshlrev_b64 v[10:11], v10, v[0:1]
	v_sub_nc_u32_e32 v11, 29, v35
	v_and_b32_e32 v10, 7, v10
; %bb.1834:                             ;   in Loop: Header=BB312_1574 Depth=1
	s_or_b32 exec_lo, exec_lo, s21
	v_lshlrev_b32_e32 v0, 8, v0
	v_lshl_add_u32 v11, v11, 10, 0x2000
	v_lshlrev_b32_e32 v10, 23, v10
	v_and_or_b32 v0, 0x8000, v0, v11
	v_lshl_or_b32 v10, v0, 16, v10
.LBB312_1835:                           ;   in Loop: Header=BB312_1574 Depth=1
	s_or_b32 exec_lo, exec_lo, s20
.LBB312_1836:                           ;   in Loop: Header=BB312_1574 Depth=1
	s_or_b32 exec_lo, exec_lo, s18
.LBB312_1837:                           ;   in Loop: Header=BB312_1574 Depth=1
	s_or_b32 exec_lo, exec_lo, s17
	v_or_b32_e32 v0, v7, v12
	s_waitcnt vmcnt(0) lgkmcnt(0)
	v_fma_mixlo_f16 v7, v2, v7, 0 op_sel:[0,1,0] op_sel_hi:[0,1,0]
	v_or_b32_e32 v6, v5, v6
	v_or_b32_e32 v12, v23, v22
	;; [unrolled: 1-line block ×3, first 2 shown]
	v_fma_mixlo_f16 v5, v2, v5, 0 op_sel:[0,1,0] op_sel_hi:[0,1,0]
	v_fma_mixlo_f16 v22, v2, v0, 0 op_sel_hi:[0,1,0]
	v_lshlrev_b32_e32 v0, 16, v7
	v_fma_mixlo_f16 v6, v2, v6, 0 op_sel_hi:[0,1,0]
	v_fma_mixlo_f16 v7, v2, v23, 0 op_sel:[0,1,0] op_sel_hi:[0,1,0]
	v_fma_mixlo_f16 v12, v2, v12, 0 op_sel_hi:[0,1,0]
	v_fma_mixlo_f16 v10, v2, v10, 0 op_sel:[0,1,0] op_sel_hi:[0,1,0]
	v_fma_mixlo_f16 v13, v2, v13, 0 op_sel_hi:[0,1,0]
	v_lshlrev_b32_e32 v11, 16, v5
	v_and_b32_e32 v5, 0xffff, v22
	v_and_b32_e32 v35, 0xffff, v6
	v_lshlrev_b32_e32 v6, 16, v7
	v_and_b32_e32 v12, 0xffff, v12
	v_lshlrev_b32_e32 v2, 16, v10
	v_and_b32_e32 v7, 0xffff, v13
	v_or_b32_e32 v10, v0, v5
	v_or_b32_e32 v23, v11, v35
	;; [unrolled: 1-line block ×4, first 2 shown]
	s_and_saveexec_b32 s17, vcc_lo
	s_cbranch_execz .LBB312_1839
; %bb.1838:                             ;   in Loop: Header=BB312_1574 Depth=1
	v_cmp_lt_i32_e64 s4, v86, v36
	v_cndmask_b32_e64 v10, 0, v35, s4
	v_cmp_lt_i32_e64 s4, v115, v36
	v_cndmask_b32_e64 v11, 0, v11, s4
	v_cmp_lt_i32_e64 s4, v114, v36
	v_or_b32_e32 v23, v10, v11
	v_cndmask_b32_e64 v5, 0, v5, s4
	v_cmp_lt_i32_e64 s4, v113, v36
	v_cndmask_b32_e64 v0, 0, v0, s4
	v_cmp_lt_i32_e64 s4, v112, v36
	v_or_b32_e32 v10, v5, v0
	;; [unrolled: 5-line block ×3, first 2 shown]
	v_cndmask_b32_e64 v7, 0, v7, s4
	v_cmp_lt_i32_e64 s4, v101, v36
	v_cndmask_b32_e64 v2, 0, v2, s4
	v_or_b32_e32 v13, v7, v2
.LBB312_1839:                           ;   in Loop: Header=BB312_1574 Depth=1
	s_or_b32 exec_lo, exec_lo, s17
	;;#ASMSTART
	v_pk_mul_f16 v0, v100, v23;

	;;#ASMEND
	;;#ASMSTART
	v_pk_mul_f16 v2, v99, v10;

	;;#ASMEND
	;; [unrolled: 4-line block ×4, first 2 shown]
	;;#ASMSTART
	v_pk_add_f16 v0, v0, v2;

	;;#ASMEND
	;;#ASMSTART
	v_pk_add_f16 v0, v0, v5;

	;;#ASMEND
	;; [unrolled: 4-line block ×3, first 2 shown]
	v_and_b32_e32 v2, 0xffff, v0
	v_lshrrev_b32_e32 v0, 16, v0
	;;#ASMSTART
	v_cvt_f32_f16 v40, v2;
	;;#ASMEND
	;;#ASMSTART
	v_cvt_f32_f16 v41, v0;
	;;#ASMEND
	flat_load_dwordx2 v[10:11], v[8:9] offset:1024
	flat_load_dword v2, v[26:27]
	v_mov_b32_e32 v5, 0
	v_mov_b32_e32 v6, 0
	s_waitcnt vmcnt(1) lgkmcnt(1)
	v_cmp_ne_u16_sdwa s4, v10, v1 src0_sel:BYTE_0 src1_sel:DWORD
	s_and_saveexec_b32 s17, s4
	s_cbranch_execz .LBB312_1847
; %bb.1840:                             ;   in Loop: Header=BB312_1574 Depth=1
	v_cmp_ne_u16_sdwa s4, v10, v17 src0_sel:BYTE_0 src1_sel:DWORD
	v_mov_b32_e32 v6, 0x8000
	s_and_saveexec_b32 s18, s4
	s_cbranch_execz .LBB312_1846
; %bb.1841:                             ;   in Loop: Header=BB312_1574 Depth=1
	v_and_b32_e32 v7, 0x7f, v10
	v_mov_b32_e32 v6, 0x7c01
	s_mov_b32 s20, exec_lo
	v_cmpx_ne_u32_e32 0x7f, v7
	s_cbranch_execz .LBB312_1845
; %bb.1842:                             ;   in Loop: Header=BB312_1574 Depth=1
	v_and_b32_e32 v0, 7, v10
	v_lshrrev_b32_e32 v6, 3, v7
	s_mov_b32 s21, exec_lo
	v_cmpx_gt_u32_e32 8, v7
; %bb.1843:                             ;   in Loop: Header=BB312_1574 Depth=1
	v_ffbh_u32_e32 v0, v0
	v_min_u32_e32 v0, 32, v0
	v_subrev_nc_u32_e32 v6, 28, v0
	v_lshlrev_b64 v[12:13], v6, v[10:11]
	v_sub_nc_u32_e32 v6, 29, v0
	v_and_b32_e32 v0, 7, v12
; %bb.1844:                             ;   in Loop: Header=BB312_1574 Depth=1
	s_or_b32 exec_lo, exec_lo, s21
	v_lshlrev_b32_e32 v7, 8, v10
	v_lshl_add_u32 v6, v6, 10, 0x2000
	v_lshlrev_b32_e32 v0, 7, v0
	v_and_b32_e32 v7, 0x8000, v7
	v_and_b32_e32 v6, 0xfc00, v6
	v_or3_b32 v6, v7, v6, v0
.LBB312_1845:                           ;   in Loop: Header=BB312_1574 Depth=1
	s_or_b32 exec_lo, exec_lo, s20
.LBB312_1846:                           ;   in Loop: Header=BB312_1574 Depth=1
	s_or_b32 exec_lo, exec_lo, s18
.LBB312_1847:                           ;   in Loop: Header=BB312_1574 Depth=1
	s_or_b32 exec_lo, exec_lo, s17
	v_lshrrev_b16 v0, 8, v10
	s_mov_b32 s17, exec_lo
	v_cmpx_ne_u16_e32 0, v0
	s_cbranch_execz .LBB312_1855
; %bb.1848:                             ;   in Loop: Header=BB312_1574 Depth=1
	v_bfrev_b32_e32 v5, 1
	s_mov_b32 s18, exec_lo
	v_cmpx_ne_u16_e32 0x80, v0
	s_cbranch_execz .LBB312_1854
; %bb.1849:                             ;   in Loop: Header=BB312_1574 Depth=1
	v_and_b32_sdwa v12, v0, v51 dst_sel:DWORD dst_unused:UNUSED_PAD src0_sel:WORD_0 src1_sel:DWORD
	v_mov_b32_e32 v5, 0x7c010000
	s_mov_b32 s20, exec_lo
	v_cmpx_ne_u32_e32 0x7f, v12
	s_cbranch_execz .LBB312_1853
; %bb.1850:                             ;   in Loop: Header=BB312_1574 Depth=1
	v_and_b32_sdwa v5, v0, v52 dst_sel:DWORD dst_unused:UNUSED_PAD src0_sel:WORD_0 src1_sel:DWORD
	v_lshrrev_b32_e32 v7, 3, v12
	s_mov_b32 s21, exec_lo
	v_cmpx_gt_u32_e32 8, v12
; %bb.1851:                             ;   in Loop: Header=BB312_1574 Depth=1
	v_ffbh_u32_e32 v5, v5
	v_min_u32_e32 v5, 32, v5
	v_subrev_nc_u32_e32 v7, 28, v5
	v_lshlrev_b64 v[12:13], v7, v[0:1]
	v_sub_nc_u32_e32 v7, 29, v5
	v_and_b32_e32 v5, 7, v12
; %bb.1852:                             ;   in Loop: Header=BB312_1574 Depth=1
	s_or_b32 exec_lo, exec_lo, s21
	v_lshlrev_b32_sdwa v0, v53, v0 dst_sel:DWORD dst_unused:UNUSED_PAD src0_sel:DWORD src1_sel:WORD_0
	v_lshl_add_u32 v7, v7, 10, 0x2000
	v_lshlrev_b32_e32 v5, 23, v5
	v_and_or_b32 v0, 0x8000, v0, v7
	v_lshl_or_b32 v5, v0, 16, v5
.LBB312_1853:                           ;   in Loop: Header=BB312_1574 Depth=1
	s_or_b32 exec_lo, exec_lo, s20
.LBB312_1854:                           ;   in Loop: Header=BB312_1574 Depth=1
	s_or_b32 exec_lo, exec_lo, s18
.LBB312_1855:                           ;   in Loop: Header=BB312_1574 Depth=1
	s_or_b32 exec_lo, exec_lo, s17
	v_lshrrev_b32_e32 v0, 16, v10
	v_mov_b32_e32 v7, 0
	v_mov_b32_e32 v12, 0
	v_cmp_ne_u16_sdwa s4, v0, v1 src0_sel:BYTE_0 src1_sel:DWORD
	s_and_saveexec_b32 s17, s4
	s_cbranch_execz .LBB312_1863
; %bb.1856:                             ;   in Loop: Header=BB312_1574 Depth=1
	v_cmp_ne_u16_sdwa s4, v0, v17 src0_sel:BYTE_0 src1_sel:DWORD
	v_mov_b32_e32 v12, 0x8000
	s_and_saveexec_b32 s18, s4
	s_cbranch_execz .LBB312_1862
; %bb.1857:                             ;   in Loop: Header=BB312_1574 Depth=1
	v_bfe_u32 v22, v10, 16, 7
	v_mov_b32_e32 v12, 0x7c01
	s_mov_b32 s20, exec_lo
	v_cmpx_ne_u32_e32 0x7f, v22
	s_cbranch_execz .LBB312_1861
; %bb.1858:                             ;   in Loop: Header=BB312_1574 Depth=1
	v_and_b32_e32 v12, 7, v0
	v_lshrrev_b32_e32 v13, 3, v22
	s_mov_b32 s21, exec_lo
	v_cmpx_gt_u32_e32 8, v22
; %bb.1859:                             ;   in Loop: Header=BB312_1574 Depth=1
	v_ffbh_u32_e32 v12, v12
	v_min_u32_e32 v22, 32, v12
	v_subrev_nc_u32_e32 v12, 28, v22
	v_lshlrev_b64 v[12:13], v12, v[0:1]
	v_sub_nc_u32_e32 v13, 29, v22
	v_and_b32_e32 v12, 7, v12
; %bb.1860:                             ;   in Loop: Header=BB312_1574 Depth=1
	s_or_b32 exec_lo, exec_lo, s21
	v_lshlrev_b32_e32 v0, 8, v0
	v_lshl_add_u32 v13, v13, 10, 0x2000
	v_lshlrev_b32_e32 v12, 7, v12
	v_and_b32_e32 v0, 0x8000, v0
	v_and_b32_e32 v13, 0xfc00, v13
	v_or3_b32 v12, v0, v13, v12
.LBB312_1861:                           ;   in Loop: Header=BB312_1574 Depth=1
	s_or_b32 exec_lo, exec_lo, s20
.LBB312_1862:                           ;   in Loop: Header=BB312_1574 Depth=1
	s_or_b32 exec_lo, exec_lo, s18
.LBB312_1863:                           ;   in Loop: Header=BB312_1574 Depth=1
	s_or_b32 exec_lo, exec_lo, s17
	s_mov_b32 s17, exec_lo
	v_cmpx_lt_u32_e32 0xffffff, v10
	s_cbranch_execz .LBB312_1871
; %bb.1864:                             ;   in Loop: Header=BB312_1574 Depth=1
	v_lshrrev_b32_e32 v0, 24, v10
	v_bfrev_b32_e32 v7, 1
	s_mov_b32 s18, exec_lo
	v_cmpx_ne_u32_e32 0x80, v0
	s_cbranch_execz .LBB312_1870
; %bb.1865:                             ;   in Loop: Header=BB312_1574 Depth=1
	v_and_b32_e32 v22, 0x7f, v0
	v_mov_b32_e32 v7, 0x7c010000
	s_mov_b32 s20, exec_lo
	v_cmpx_ne_u32_e32 0x7f, v22
	s_cbranch_execz .LBB312_1869
; %bb.1866:                             ;   in Loop: Header=BB312_1574 Depth=1
	v_and_b32_e32 v7, 7, v0
	v_lshrrev_b32_e32 v13, 3, v22
	s_mov_b32 s21, exec_lo
	v_cmpx_gt_u32_e32 8, v22
; %bb.1867:                             ;   in Loop: Header=BB312_1574 Depth=1
	v_ffbh_u32_e32 v7, v7
	v_min_u32_e32 v7, 32, v7
	v_subrev_nc_u32_e32 v13, 28, v7
	v_lshlrev_b64 v[22:23], v13, v[0:1]
	v_sub_nc_u32_e32 v13, 29, v7
	v_and_b32_e32 v7, 7, v22
; %bb.1868:                             ;   in Loop: Header=BB312_1574 Depth=1
	s_or_b32 exec_lo, exec_lo, s21
	v_lshlrev_b32_e32 v0, 8, v0
	v_lshl_add_u32 v13, v13, 10, 0x2000
	v_lshlrev_b32_e32 v7, 23, v7
	v_and_or_b32 v0, 0x8000, v0, v13
	v_lshl_or_b32 v7, v0, 16, v7
.LBB312_1869:                           ;   in Loop: Header=BB312_1574 Depth=1
	s_or_b32 exec_lo, exec_lo, s20
.LBB312_1870:                           ;   in Loop: Header=BB312_1574 Depth=1
	s_or_b32 exec_lo, exec_lo, s18
.LBB312_1871:                           ;   in Loop: Header=BB312_1574 Depth=1
	s_or_b32 exec_lo, exec_lo, s17
	v_mov_b32_e32 v0, v11
	v_cmp_ne_u16_sdwa s4, v11, v1 src0_sel:BYTE_0 src1_sel:DWORD
	v_mov_b32_e32 v13, 0
	v_mov_b32_e32 v22, 0
	s_and_saveexec_b32 s17, s4
	s_cbranch_execz .LBB312_1879
; %bb.1872:                             ;   in Loop: Header=BB312_1574 Depth=1
	v_cmp_ne_u16_sdwa s4, v11, v17 src0_sel:BYTE_0 src1_sel:DWORD
	v_mov_b32_e32 v22, 0x8000
	s_and_saveexec_b32 s18, s4
	s_cbranch_execz .LBB312_1878
; %bb.1873:                             ;   in Loop: Header=BB312_1574 Depth=1
	v_and_b32_e32 v35, 0x7f, v11
	v_mov_b32_e32 v22, 0x7c01
	s_mov_b32 s20, exec_lo
	v_cmpx_ne_u32_e32 0x7f, v35
	s_cbranch_execz .LBB312_1877
; %bb.1874:                             ;   in Loop: Header=BB312_1574 Depth=1
	v_and_b32_e32 v22, 7, v11
	v_lshrrev_b32_e32 v23, 3, v35
	s_mov_b32 s21, exec_lo
	v_cmpx_gt_u32_e32 8, v35
; %bb.1875:                             ;   in Loop: Header=BB312_1574 Depth=1
	v_ffbh_u32_e32 v22, v22
	v_min_u32_e32 v35, 32, v22
	v_subrev_nc_u32_e32 v22, 28, v35
	v_lshlrev_b64 v[22:23], v22, v[0:1]
	v_sub_nc_u32_e32 v23, 29, v35
	v_and_b32_e32 v22, 7, v22
; %bb.1876:                             ;   in Loop: Header=BB312_1574 Depth=1
	s_or_b32 exec_lo, exec_lo, s21
	v_lshlrev_b32_e32 v35, 8, v11
	v_lshl_add_u32 v23, v23, 10, 0x2000
	v_lshlrev_b32_e32 v22, 7, v22
	v_and_b32_e32 v35, 0x8000, v35
	v_and_b32_e32 v23, 0xfc00, v23
	v_or3_b32 v22, v35, v23, v22
.LBB312_1877:                           ;   in Loop: Header=BB312_1574 Depth=1
	s_or_b32 exec_lo, exec_lo, s20
.LBB312_1878:                           ;   in Loop: Header=BB312_1574 Depth=1
	s_or_b32 exec_lo, exec_lo, s18
.LBB312_1879:                           ;   in Loop: Header=BB312_1574 Depth=1
	s_or_b32 exec_lo, exec_lo, s17
	v_lshrrev_b16 v0, 8, v0
	v_mov_b32_e32 v23, 0
	s_mov_b32 s17, exec_lo
	v_cmpx_ne_u16_e32 0, v0
	s_cbranch_execz .LBB312_1887
; %bb.1880:                             ;   in Loop: Header=BB312_1574 Depth=1
	v_bfrev_b32_e32 v23, 1
	s_mov_b32 s18, exec_lo
	v_cmpx_ne_u16_e32 0x80, v0
	s_cbranch_execz .LBB312_1886
; %bb.1881:                             ;   in Loop: Header=BB312_1574 Depth=1
	v_and_b32_sdwa v37, v0, v51 dst_sel:DWORD dst_unused:UNUSED_PAD src0_sel:WORD_0 src1_sel:DWORD
	v_mov_b32_e32 v23, 0x7c010000
	s_mov_b32 s20, exec_lo
	v_cmpx_ne_u32_e32 0x7f, v37
	s_cbranch_execz .LBB312_1885
; %bb.1882:                             ;   in Loop: Header=BB312_1574 Depth=1
	v_and_b32_sdwa v23, v0, v52 dst_sel:DWORD dst_unused:UNUSED_PAD src0_sel:WORD_0 src1_sel:DWORD
	v_lshrrev_b32_e32 v35, 3, v37
	s_mov_b32 s21, exec_lo
	v_cmpx_gt_u32_e32 8, v37
; %bb.1883:                             ;   in Loop: Header=BB312_1574 Depth=1
	v_ffbh_u32_e32 v23, v23
	v_min_u32_e32 v23, 32, v23
	v_subrev_nc_u32_e32 v35, 28, v23
	v_lshlrev_b64 v[37:38], v35, v[0:1]
	v_sub_nc_u32_e32 v35, 29, v23
	v_and_b32_e32 v23, 7, v37
; %bb.1884:                             ;   in Loop: Header=BB312_1574 Depth=1
	s_or_b32 exec_lo, exec_lo, s21
	v_lshlrev_b32_sdwa v0, v53, v0 dst_sel:DWORD dst_unused:UNUSED_PAD src0_sel:DWORD src1_sel:WORD_0
	v_lshl_add_u32 v35, v35, 10, 0x2000
	v_lshlrev_b32_e32 v23, 23, v23
	v_and_or_b32 v0, 0x8000, v0, v35
	v_lshl_or_b32 v23, v0, 16, v23
.LBB312_1885:                           ;   in Loop: Header=BB312_1574 Depth=1
	s_or_b32 exec_lo, exec_lo, s20
.LBB312_1886:                           ;   in Loop: Header=BB312_1574 Depth=1
	s_or_b32 exec_lo, exec_lo, s18
.LBB312_1887:                           ;   in Loop: Header=BB312_1574 Depth=1
	s_or_b32 exec_lo, exec_lo, s17
	v_lshrrev_b32_e32 v0, 16, v11
	v_cmp_ne_u16_sdwa s4, v0, v1 src0_sel:BYTE_0 src1_sel:DWORD
	s_and_saveexec_b32 s17, s4
	s_cbranch_execz .LBB312_1895
; %bb.1888:                             ;   in Loop: Header=BB312_1574 Depth=1
	v_cmp_ne_u16_sdwa s4, v0, v17 src0_sel:BYTE_0 src1_sel:DWORD
	v_mov_b32_e32 v13, 0x8000
	s_and_saveexec_b32 s18, s4
	s_cbranch_execz .LBB312_1894
; %bb.1889:                             ;   in Loop: Header=BB312_1574 Depth=1
	v_bfe_u32 v37, v11, 16, 7
	v_mov_b32_e32 v13, 0x7c01
	s_mov_b32 s20, exec_lo
	v_cmpx_ne_u32_e32 0x7f, v37
	s_cbranch_execz .LBB312_1893
; %bb.1890:                             ;   in Loop: Header=BB312_1574 Depth=1
	v_and_b32_e32 v13, 7, v0
	v_lshrrev_b32_e32 v35, 3, v37
	s_mov_b32 s21, exec_lo
	v_cmpx_gt_u32_e32 8, v37
; %bb.1891:                             ;   in Loop: Header=BB312_1574 Depth=1
	v_ffbh_u32_e32 v13, v13
	v_min_u32_e32 v13, 32, v13
	v_subrev_nc_u32_e32 v35, 28, v13
	v_lshlrev_b64 v[37:38], v35, v[0:1]
	v_sub_nc_u32_e32 v35, 29, v13
	v_and_b32_e32 v13, 7, v37
; %bb.1892:                             ;   in Loop: Header=BB312_1574 Depth=1
	s_or_b32 exec_lo, exec_lo, s21
	v_lshlrev_b32_e32 v0, 8, v0
	v_lshl_add_u32 v35, v35, 10, 0x2000
	v_lshlrev_b32_e32 v13, 7, v13
	v_and_b32_e32 v0, 0x8000, v0
	v_and_b32_e32 v35, 0xfc00, v35
	v_or3_b32 v13, v0, v35, v13
.LBB312_1893:                           ;   in Loop: Header=BB312_1574 Depth=1
	s_or_b32 exec_lo, exec_lo, s20
.LBB312_1894:                           ;   in Loop: Header=BB312_1574 Depth=1
	s_or_b32 exec_lo, exec_lo, s18
.LBB312_1895:                           ;   in Loop: Header=BB312_1574 Depth=1
	s_or_b32 exec_lo, exec_lo, s17
	v_cmp_lt_u64_e64 s4, s[12:13], v[10:11]
	v_mov_b32_e32 v10, 0
	s_and_saveexec_b32 s17, s4
	s_cbranch_execz .LBB312_1903
; %bb.1896:                             ;   in Loop: Header=BB312_1574 Depth=1
	v_lshrrev_b32_e32 v0, 24, v11
	v_bfrev_b32_e32 v10, 1
	s_mov_b32 s18, exec_lo
	v_cmpx_ne_u32_e32 0x80, v0
	s_cbranch_execz .LBB312_1902
; %bb.1897:                             ;   in Loop: Header=BB312_1574 Depth=1
	v_and_b32_e32 v35, 0x7f, v0
	v_mov_b32_e32 v10, 0x7c010000
	s_mov_b32 s20, exec_lo
	v_cmpx_ne_u32_e32 0x7f, v35
	s_cbranch_execz .LBB312_1901
; %bb.1898:                             ;   in Loop: Header=BB312_1574 Depth=1
	v_and_b32_e32 v10, 7, v0
	v_lshrrev_b32_e32 v11, 3, v35
	s_mov_b32 s21, exec_lo
	v_cmpx_gt_u32_e32 8, v35
; %bb.1899:                             ;   in Loop: Header=BB312_1574 Depth=1
	v_ffbh_u32_e32 v10, v10
	v_min_u32_e32 v35, 32, v10
	v_subrev_nc_u32_e32 v10, 28, v35
	v_lshlrev_b64 v[10:11], v10, v[0:1]
	v_sub_nc_u32_e32 v11, 29, v35
	v_and_b32_e32 v10, 7, v10
; %bb.1900:                             ;   in Loop: Header=BB312_1574 Depth=1
	s_or_b32 exec_lo, exec_lo, s21
	v_lshlrev_b32_e32 v0, 8, v0
	v_lshl_add_u32 v11, v11, 10, 0x2000
	v_lshlrev_b32_e32 v10, 23, v10
	v_and_or_b32 v0, 0x8000, v0, v11
	v_lshl_or_b32 v10, v0, 16, v10
.LBB312_1901:                           ;   in Loop: Header=BB312_1574 Depth=1
	s_or_b32 exec_lo, exec_lo, s20
.LBB312_1902:                           ;   in Loop: Header=BB312_1574 Depth=1
	s_or_b32 exec_lo, exec_lo, s18
.LBB312_1903:                           ;   in Loop: Header=BB312_1574 Depth=1
	s_or_b32 exec_lo, exec_lo, s17
	v_or_b32_e32 v0, v7, v12
	s_waitcnt vmcnt(0) lgkmcnt(0)
	v_fma_mixlo_f16 v7, v2, v7, 0 op_sel:[0,1,0] op_sel_hi:[0,1,0]
	v_or_b32_e32 v6, v5, v6
	v_or_b32_e32 v12, v23, v22
	;; [unrolled: 1-line block ×3, first 2 shown]
	v_fma_mixlo_f16 v5, v2, v5, 0 op_sel:[0,1,0] op_sel_hi:[0,1,0]
	v_fma_mixlo_f16 v22, v2, v0, 0 op_sel_hi:[0,1,0]
	v_lshlrev_b32_e32 v0, 16, v7
	v_fma_mixlo_f16 v6, v2, v6, 0 op_sel_hi:[0,1,0]
	v_fma_mixlo_f16 v7, v2, v23, 0 op_sel:[0,1,0] op_sel_hi:[0,1,0]
	v_fma_mixlo_f16 v12, v2, v12, 0 op_sel_hi:[0,1,0]
	v_fma_mixlo_f16 v10, v2, v10, 0 op_sel:[0,1,0] op_sel_hi:[0,1,0]
	v_fma_mixlo_f16 v13, v2, v13, 0 op_sel_hi:[0,1,0]
	v_lshlrev_b32_e32 v11, 16, v5
	v_and_b32_e32 v5, 0xffff, v22
	v_and_b32_e32 v35, 0xffff, v6
	v_lshlrev_b32_e32 v6, 16, v7
	v_and_b32_e32 v12, 0xffff, v12
	v_lshlrev_b32_e32 v2, 16, v10
	v_and_b32_e32 v7, 0xffff, v13
	v_or_b32_e32 v10, v0, v5
	v_or_b32_e32 v23, v11, v35
	;; [unrolled: 1-line block ×4, first 2 shown]
	s_and_saveexec_b32 s17, vcc_lo
	s_cbranch_execz .LBB312_1905
; %bb.1904:                             ;   in Loop: Header=BB312_1574 Depth=1
	v_cmp_lt_i32_e64 s4, v86, v36
	v_cndmask_b32_e64 v10, 0, v35, s4
	v_cmp_lt_i32_e64 s4, v115, v36
	v_cndmask_b32_e64 v11, 0, v11, s4
	v_cmp_lt_i32_e64 s4, v114, v36
	v_or_b32_e32 v23, v10, v11
	v_cndmask_b32_e64 v5, 0, v5, s4
	v_cmp_lt_i32_e64 s4, v113, v36
	v_cndmask_b32_e64 v0, 0, v0, s4
	v_cmp_lt_i32_e64 s4, v112, v36
	v_or_b32_e32 v10, v5, v0
	;; [unrolled: 5-line block ×3, first 2 shown]
	v_cndmask_b32_e64 v7, 0, v7, s4
	v_cmp_lt_i32_e64 s4, v101, v36
	v_cndmask_b32_e64 v2, 0, v2, s4
	v_or_b32_e32 v13, v7, v2
.LBB312_1905:                           ;   in Loop: Header=BB312_1574 Depth=1
	s_or_b32 exec_lo, exec_lo, s17
	;;#ASMSTART
	v_pk_mul_f16 v0, v100, v23;

	;;#ASMEND
	;;#ASMSTART
	v_pk_mul_f16 v2, v99, v10;

	;;#ASMEND
	;; [unrolled: 4-line block ×4, first 2 shown]
	;;#ASMSTART
	v_pk_add_f16 v0, v0, v2;

	;;#ASMEND
	;;#ASMSTART
	v_pk_add_f16 v0, v0, v5;

	;;#ASMEND
	;; [unrolled: 4-line block ×3, first 2 shown]
	v_and_b32_e32 v2, 0xffff, v0
	v_lshrrev_b32_e32 v0, 16, v0
	;;#ASMSTART
	v_cvt_f32_f16 v42, v2;
	;;#ASMEND
	;;#ASMSTART
	v_cvt_f32_f16 v43, v0;
	;;#ASMEND
	flat_load_dwordx2 v[10:11], v[8:9] offset:1280
	flat_load_dword v2, v[26:27]
	v_mov_b32_e32 v5, 0
	v_mov_b32_e32 v6, 0
	s_waitcnt vmcnt(1) lgkmcnt(1)
	v_cmp_ne_u16_sdwa s4, v10, v1 src0_sel:BYTE_0 src1_sel:DWORD
	s_and_saveexec_b32 s17, s4
	s_cbranch_execz .LBB312_1913
; %bb.1906:                             ;   in Loop: Header=BB312_1574 Depth=1
	v_cmp_ne_u16_sdwa s4, v10, v17 src0_sel:BYTE_0 src1_sel:DWORD
	v_mov_b32_e32 v6, 0x8000
	s_and_saveexec_b32 s18, s4
	s_cbranch_execz .LBB312_1912
; %bb.1907:                             ;   in Loop: Header=BB312_1574 Depth=1
	v_and_b32_e32 v7, 0x7f, v10
	v_mov_b32_e32 v6, 0x7c01
	s_mov_b32 s20, exec_lo
	v_cmpx_ne_u32_e32 0x7f, v7
	s_cbranch_execz .LBB312_1911
; %bb.1908:                             ;   in Loop: Header=BB312_1574 Depth=1
	v_and_b32_e32 v0, 7, v10
	v_lshrrev_b32_e32 v6, 3, v7
	s_mov_b32 s21, exec_lo
	v_cmpx_gt_u32_e32 8, v7
; %bb.1909:                             ;   in Loop: Header=BB312_1574 Depth=1
	v_ffbh_u32_e32 v0, v0
	v_min_u32_e32 v0, 32, v0
	v_subrev_nc_u32_e32 v6, 28, v0
	v_lshlrev_b64 v[12:13], v6, v[10:11]
	v_sub_nc_u32_e32 v6, 29, v0
	v_and_b32_e32 v0, 7, v12
; %bb.1910:                             ;   in Loop: Header=BB312_1574 Depth=1
	s_or_b32 exec_lo, exec_lo, s21
	v_lshlrev_b32_e32 v7, 8, v10
	v_lshl_add_u32 v6, v6, 10, 0x2000
	v_lshlrev_b32_e32 v0, 7, v0
	v_and_b32_e32 v7, 0x8000, v7
	v_and_b32_e32 v6, 0xfc00, v6
	v_or3_b32 v6, v7, v6, v0
.LBB312_1911:                           ;   in Loop: Header=BB312_1574 Depth=1
	s_or_b32 exec_lo, exec_lo, s20
.LBB312_1912:                           ;   in Loop: Header=BB312_1574 Depth=1
	s_or_b32 exec_lo, exec_lo, s18
.LBB312_1913:                           ;   in Loop: Header=BB312_1574 Depth=1
	s_or_b32 exec_lo, exec_lo, s17
	v_lshrrev_b16 v0, 8, v10
	s_mov_b32 s17, exec_lo
	v_cmpx_ne_u16_e32 0, v0
	s_cbranch_execz .LBB312_1921
; %bb.1914:                             ;   in Loop: Header=BB312_1574 Depth=1
	v_bfrev_b32_e32 v5, 1
	s_mov_b32 s18, exec_lo
	v_cmpx_ne_u16_e32 0x80, v0
	s_cbranch_execz .LBB312_1920
; %bb.1915:                             ;   in Loop: Header=BB312_1574 Depth=1
	v_and_b32_sdwa v12, v0, v51 dst_sel:DWORD dst_unused:UNUSED_PAD src0_sel:WORD_0 src1_sel:DWORD
	v_mov_b32_e32 v5, 0x7c010000
	s_mov_b32 s20, exec_lo
	v_cmpx_ne_u32_e32 0x7f, v12
	s_cbranch_execz .LBB312_1919
; %bb.1916:                             ;   in Loop: Header=BB312_1574 Depth=1
	v_and_b32_sdwa v5, v0, v52 dst_sel:DWORD dst_unused:UNUSED_PAD src0_sel:WORD_0 src1_sel:DWORD
	v_lshrrev_b32_e32 v7, 3, v12
	s_mov_b32 s21, exec_lo
	v_cmpx_gt_u32_e32 8, v12
; %bb.1917:                             ;   in Loop: Header=BB312_1574 Depth=1
	v_ffbh_u32_e32 v5, v5
	v_min_u32_e32 v5, 32, v5
	v_subrev_nc_u32_e32 v7, 28, v5
	v_lshlrev_b64 v[12:13], v7, v[0:1]
	v_sub_nc_u32_e32 v7, 29, v5
	v_and_b32_e32 v5, 7, v12
; %bb.1918:                             ;   in Loop: Header=BB312_1574 Depth=1
	s_or_b32 exec_lo, exec_lo, s21
	v_lshlrev_b32_sdwa v0, v53, v0 dst_sel:DWORD dst_unused:UNUSED_PAD src0_sel:DWORD src1_sel:WORD_0
	v_lshl_add_u32 v7, v7, 10, 0x2000
	v_lshlrev_b32_e32 v5, 23, v5
	v_and_or_b32 v0, 0x8000, v0, v7
	v_lshl_or_b32 v5, v0, 16, v5
.LBB312_1919:                           ;   in Loop: Header=BB312_1574 Depth=1
	s_or_b32 exec_lo, exec_lo, s20
.LBB312_1920:                           ;   in Loop: Header=BB312_1574 Depth=1
	s_or_b32 exec_lo, exec_lo, s18
.LBB312_1921:                           ;   in Loop: Header=BB312_1574 Depth=1
	s_or_b32 exec_lo, exec_lo, s17
	v_lshrrev_b32_e32 v0, 16, v10
	v_mov_b32_e32 v7, 0
	v_mov_b32_e32 v12, 0
	v_cmp_ne_u16_sdwa s4, v0, v1 src0_sel:BYTE_0 src1_sel:DWORD
	s_and_saveexec_b32 s17, s4
	s_cbranch_execz .LBB312_1929
; %bb.1922:                             ;   in Loop: Header=BB312_1574 Depth=1
	v_cmp_ne_u16_sdwa s4, v0, v17 src0_sel:BYTE_0 src1_sel:DWORD
	v_mov_b32_e32 v12, 0x8000
	s_and_saveexec_b32 s18, s4
	s_cbranch_execz .LBB312_1928
; %bb.1923:                             ;   in Loop: Header=BB312_1574 Depth=1
	v_bfe_u32 v22, v10, 16, 7
	v_mov_b32_e32 v12, 0x7c01
	s_mov_b32 s20, exec_lo
	v_cmpx_ne_u32_e32 0x7f, v22
	s_cbranch_execz .LBB312_1927
; %bb.1924:                             ;   in Loop: Header=BB312_1574 Depth=1
	v_and_b32_e32 v12, 7, v0
	v_lshrrev_b32_e32 v13, 3, v22
	s_mov_b32 s21, exec_lo
	v_cmpx_gt_u32_e32 8, v22
; %bb.1925:                             ;   in Loop: Header=BB312_1574 Depth=1
	v_ffbh_u32_e32 v12, v12
	v_min_u32_e32 v22, 32, v12
	v_subrev_nc_u32_e32 v12, 28, v22
	v_lshlrev_b64 v[12:13], v12, v[0:1]
	v_sub_nc_u32_e32 v13, 29, v22
	v_and_b32_e32 v12, 7, v12
; %bb.1926:                             ;   in Loop: Header=BB312_1574 Depth=1
	s_or_b32 exec_lo, exec_lo, s21
	v_lshlrev_b32_e32 v0, 8, v0
	v_lshl_add_u32 v13, v13, 10, 0x2000
	v_lshlrev_b32_e32 v12, 7, v12
	v_and_b32_e32 v0, 0x8000, v0
	v_and_b32_e32 v13, 0xfc00, v13
	v_or3_b32 v12, v0, v13, v12
.LBB312_1927:                           ;   in Loop: Header=BB312_1574 Depth=1
	s_or_b32 exec_lo, exec_lo, s20
.LBB312_1928:                           ;   in Loop: Header=BB312_1574 Depth=1
	s_or_b32 exec_lo, exec_lo, s18
.LBB312_1929:                           ;   in Loop: Header=BB312_1574 Depth=1
	s_or_b32 exec_lo, exec_lo, s17
	s_mov_b32 s17, exec_lo
	v_cmpx_lt_u32_e32 0xffffff, v10
	s_cbranch_execz .LBB312_1937
; %bb.1930:                             ;   in Loop: Header=BB312_1574 Depth=1
	v_lshrrev_b32_e32 v0, 24, v10
	v_bfrev_b32_e32 v7, 1
	s_mov_b32 s18, exec_lo
	v_cmpx_ne_u32_e32 0x80, v0
	s_cbranch_execz .LBB312_1936
; %bb.1931:                             ;   in Loop: Header=BB312_1574 Depth=1
	v_and_b32_e32 v22, 0x7f, v0
	v_mov_b32_e32 v7, 0x7c010000
	s_mov_b32 s20, exec_lo
	v_cmpx_ne_u32_e32 0x7f, v22
	s_cbranch_execz .LBB312_1935
; %bb.1932:                             ;   in Loop: Header=BB312_1574 Depth=1
	v_and_b32_e32 v7, 7, v0
	v_lshrrev_b32_e32 v13, 3, v22
	s_mov_b32 s21, exec_lo
	v_cmpx_gt_u32_e32 8, v22
; %bb.1933:                             ;   in Loop: Header=BB312_1574 Depth=1
	v_ffbh_u32_e32 v7, v7
	v_min_u32_e32 v7, 32, v7
	v_subrev_nc_u32_e32 v13, 28, v7
	v_lshlrev_b64 v[22:23], v13, v[0:1]
	v_sub_nc_u32_e32 v13, 29, v7
	v_and_b32_e32 v7, 7, v22
; %bb.1934:                             ;   in Loop: Header=BB312_1574 Depth=1
	s_or_b32 exec_lo, exec_lo, s21
	v_lshlrev_b32_e32 v0, 8, v0
	v_lshl_add_u32 v13, v13, 10, 0x2000
	v_lshlrev_b32_e32 v7, 23, v7
	v_and_or_b32 v0, 0x8000, v0, v13
	v_lshl_or_b32 v7, v0, 16, v7
.LBB312_1935:                           ;   in Loop: Header=BB312_1574 Depth=1
	s_or_b32 exec_lo, exec_lo, s20
.LBB312_1936:                           ;   in Loop: Header=BB312_1574 Depth=1
	s_or_b32 exec_lo, exec_lo, s18
.LBB312_1937:                           ;   in Loop: Header=BB312_1574 Depth=1
	s_or_b32 exec_lo, exec_lo, s17
	v_mov_b32_e32 v0, v11
	v_cmp_ne_u16_sdwa s4, v11, v1 src0_sel:BYTE_0 src1_sel:DWORD
	v_mov_b32_e32 v13, 0
	v_mov_b32_e32 v22, 0
	s_and_saveexec_b32 s17, s4
	s_cbranch_execz .LBB312_1945
; %bb.1938:                             ;   in Loop: Header=BB312_1574 Depth=1
	v_cmp_ne_u16_sdwa s4, v11, v17 src0_sel:BYTE_0 src1_sel:DWORD
	v_mov_b32_e32 v22, 0x8000
	s_and_saveexec_b32 s18, s4
	s_cbranch_execz .LBB312_1944
; %bb.1939:                             ;   in Loop: Header=BB312_1574 Depth=1
	v_and_b32_e32 v35, 0x7f, v11
	v_mov_b32_e32 v22, 0x7c01
	s_mov_b32 s20, exec_lo
	v_cmpx_ne_u32_e32 0x7f, v35
	s_cbranch_execz .LBB312_1943
; %bb.1940:                             ;   in Loop: Header=BB312_1574 Depth=1
	v_and_b32_e32 v22, 7, v11
	v_lshrrev_b32_e32 v23, 3, v35
	s_mov_b32 s21, exec_lo
	v_cmpx_gt_u32_e32 8, v35
; %bb.1941:                             ;   in Loop: Header=BB312_1574 Depth=1
	v_ffbh_u32_e32 v22, v22
	v_min_u32_e32 v35, 32, v22
	v_subrev_nc_u32_e32 v22, 28, v35
	v_lshlrev_b64 v[22:23], v22, v[0:1]
	v_sub_nc_u32_e32 v23, 29, v35
	v_and_b32_e32 v22, 7, v22
; %bb.1942:                             ;   in Loop: Header=BB312_1574 Depth=1
	s_or_b32 exec_lo, exec_lo, s21
	v_lshlrev_b32_e32 v35, 8, v11
	v_lshl_add_u32 v23, v23, 10, 0x2000
	v_lshlrev_b32_e32 v22, 7, v22
	v_and_b32_e32 v35, 0x8000, v35
	v_and_b32_e32 v23, 0xfc00, v23
	v_or3_b32 v22, v35, v23, v22
.LBB312_1943:                           ;   in Loop: Header=BB312_1574 Depth=1
	s_or_b32 exec_lo, exec_lo, s20
.LBB312_1944:                           ;   in Loop: Header=BB312_1574 Depth=1
	s_or_b32 exec_lo, exec_lo, s18
.LBB312_1945:                           ;   in Loop: Header=BB312_1574 Depth=1
	s_or_b32 exec_lo, exec_lo, s17
	v_lshrrev_b16 v0, 8, v0
	v_mov_b32_e32 v23, 0
	s_mov_b32 s17, exec_lo
	v_cmpx_ne_u16_e32 0, v0
	s_cbranch_execz .LBB312_1953
; %bb.1946:                             ;   in Loop: Header=BB312_1574 Depth=1
	v_bfrev_b32_e32 v23, 1
	s_mov_b32 s18, exec_lo
	v_cmpx_ne_u16_e32 0x80, v0
	s_cbranch_execz .LBB312_1952
; %bb.1947:                             ;   in Loop: Header=BB312_1574 Depth=1
	v_and_b32_sdwa v37, v0, v51 dst_sel:DWORD dst_unused:UNUSED_PAD src0_sel:WORD_0 src1_sel:DWORD
	v_mov_b32_e32 v23, 0x7c010000
	s_mov_b32 s20, exec_lo
	v_cmpx_ne_u32_e32 0x7f, v37
	s_cbranch_execz .LBB312_1951
; %bb.1948:                             ;   in Loop: Header=BB312_1574 Depth=1
	v_and_b32_sdwa v23, v0, v52 dst_sel:DWORD dst_unused:UNUSED_PAD src0_sel:WORD_0 src1_sel:DWORD
	v_lshrrev_b32_e32 v35, 3, v37
	s_mov_b32 s21, exec_lo
	v_cmpx_gt_u32_e32 8, v37
; %bb.1949:                             ;   in Loop: Header=BB312_1574 Depth=1
	v_ffbh_u32_e32 v23, v23
	v_min_u32_e32 v23, 32, v23
	v_subrev_nc_u32_e32 v35, 28, v23
	v_lshlrev_b64 v[37:38], v35, v[0:1]
	v_sub_nc_u32_e32 v35, 29, v23
	v_and_b32_e32 v23, 7, v37
; %bb.1950:                             ;   in Loop: Header=BB312_1574 Depth=1
	s_or_b32 exec_lo, exec_lo, s21
	v_lshlrev_b32_sdwa v0, v53, v0 dst_sel:DWORD dst_unused:UNUSED_PAD src0_sel:DWORD src1_sel:WORD_0
	v_lshl_add_u32 v35, v35, 10, 0x2000
	v_lshlrev_b32_e32 v23, 23, v23
	v_and_or_b32 v0, 0x8000, v0, v35
	v_lshl_or_b32 v23, v0, 16, v23
.LBB312_1951:                           ;   in Loop: Header=BB312_1574 Depth=1
	s_or_b32 exec_lo, exec_lo, s20
.LBB312_1952:                           ;   in Loop: Header=BB312_1574 Depth=1
	s_or_b32 exec_lo, exec_lo, s18
.LBB312_1953:                           ;   in Loop: Header=BB312_1574 Depth=1
	s_or_b32 exec_lo, exec_lo, s17
	v_lshrrev_b32_e32 v0, 16, v11
	v_cmp_ne_u16_sdwa s4, v0, v1 src0_sel:BYTE_0 src1_sel:DWORD
	s_and_saveexec_b32 s17, s4
	s_cbranch_execz .LBB312_1961
; %bb.1954:                             ;   in Loop: Header=BB312_1574 Depth=1
	v_cmp_ne_u16_sdwa s4, v0, v17 src0_sel:BYTE_0 src1_sel:DWORD
	v_mov_b32_e32 v13, 0x8000
	s_and_saveexec_b32 s18, s4
	s_cbranch_execz .LBB312_1960
; %bb.1955:                             ;   in Loop: Header=BB312_1574 Depth=1
	v_bfe_u32 v37, v11, 16, 7
	v_mov_b32_e32 v13, 0x7c01
	s_mov_b32 s20, exec_lo
	v_cmpx_ne_u32_e32 0x7f, v37
	s_cbranch_execz .LBB312_1959
; %bb.1956:                             ;   in Loop: Header=BB312_1574 Depth=1
	v_and_b32_e32 v13, 7, v0
	v_lshrrev_b32_e32 v35, 3, v37
	s_mov_b32 s21, exec_lo
	v_cmpx_gt_u32_e32 8, v37
; %bb.1957:                             ;   in Loop: Header=BB312_1574 Depth=1
	v_ffbh_u32_e32 v13, v13
	v_min_u32_e32 v13, 32, v13
	v_subrev_nc_u32_e32 v35, 28, v13
	v_lshlrev_b64 v[37:38], v35, v[0:1]
	v_sub_nc_u32_e32 v35, 29, v13
	v_and_b32_e32 v13, 7, v37
; %bb.1958:                             ;   in Loop: Header=BB312_1574 Depth=1
	s_or_b32 exec_lo, exec_lo, s21
	v_lshlrev_b32_e32 v0, 8, v0
	v_lshl_add_u32 v35, v35, 10, 0x2000
	v_lshlrev_b32_e32 v13, 7, v13
	v_and_b32_e32 v0, 0x8000, v0
	v_and_b32_e32 v35, 0xfc00, v35
	v_or3_b32 v13, v0, v35, v13
.LBB312_1959:                           ;   in Loop: Header=BB312_1574 Depth=1
	s_or_b32 exec_lo, exec_lo, s20
.LBB312_1960:                           ;   in Loop: Header=BB312_1574 Depth=1
	s_or_b32 exec_lo, exec_lo, s18
.LBB312_1961:                           ;   in Loop: Header=BB312_1574 Depth=1
	s_or_b32 exec_lo, exec_lo, s17
	v_cmp_lt_u64_e64 s4, s[12:13], v[10:11]
	v_mov_b32_e32 v10, 0
	s_and_saveexec_b32 s17, s4
	s_cbranch_execz .LBB312_1969
; %bb.1962:                             ;   in Loop: Header=BB312_1574 Depth=1
	v_lshrrev_b32_e32 v0, 24, v11
	v_bfrev_b32_e32 v10, 1
	s_mov_b32 s18, exec_lo
	v_cmpx_ne_u32_e32 0x80, v0
	s_cbranch_execz .LBB312_1968
; %bb.1963:                             ;   in Loop: Header=BB312_1574 Depth=1
	v_and_b32_e32 v35, 0x7f, v0
	v_mov_b32_e32 v10, 0x7c010000
	s_mov_b32 s20, exec_lo
	v_cmpx_ne_u32_e32 0x7f, v35
	s_cbranch_execz .LBB312_1967
; %bb.1964:                             ;   in Loop: Header=BB312_1574 Depth=1
	v_and_b32_e32 v10, 7, v0
	v_lshrrev_b32_e32 v11, 3, v35
	s_mov_b32 s21, exec_lo
	v_cmpx_gt_u32_e32 8, v35
; %bb.1965:                             ;   in Loop: Header=BB312_1574 Depth=1
	v_ffbh_u32_e32 v10, v10
	v_min_u32_e32 v35, 32, v10
	v_subrev_nc_u32_e32 v10, 28, v35
	v_lshlrev_b64 v[10:11], v10, v[0:1]
	v_sub_nc_u32_e32 v11, 29, v35
	v_and_b32_e32 v10, 7, v10
; %bb.1966:                             ;   in Loop: Header=BB312_1574 Depth=1
	s_or_b32 exec_lo, exec_lo, s21
	v_lshlrev_b32_e32 v0, 8, v0
	v_lshl_add_u32 v11, v11, 10, 0x2000
	v_lshlrev_b32_e32 v10, 23, v10
	v_and_or_b32 v0, 0x8000, v0, v11
	v_lshl_or_b32 v10, v0, 16, v10
.LBB312_1967:                           ;   in Loop: Header=BB312_1574 Depth=1
	s_or_b32 exec_lo, exec_lo, s20
.LBB312_1968:                           ;   in Loop: Header=BB312_1574 Depth=1
	s_or_b32 exec_lo, exec_lo, s18
.LBB312_1969:                           ;   in Loop: Header=BB312_1574 Depth=1
	s_or_b32 exec_lo, exec_lo, s17
	v_or_b32_e32 v0, v7, v12
	s_waitcnt vmcnt(0) lgkmcnt(0)
	v_fma_mixlo_f16 v7, v2, v7, 0 op_sel:[0,1,0] op_sel_hi:[0,1,0]
	v_or_b32_e32 v6, v5, v6
	v_or_b32_e32 v12, v23, v22
	;; [unrolled: 1-line block ×3, first 2 shown]
	v_fma_mixlo_f16 v5, v2, v5, 0 op_sel:[0,1,0] op_sel_hi:[0,1,0]
	v_fma_mixlo_f16 v22, v2, v0, 0 op_sel_hi:[0,1,0]
	v_lshlrev_b32_e32 v0, 16, v7
	v_fma_mixlo_f16 v6, v2, v6, 0 op_sel_hi:[0,1,0]
	v_fma_mixlo_f16 v7, v2, v23, 0 op_sel:[0,1,0] op_sel_hi:[0,1,0]
	v_fma_mixlo_f16 v12, v2, v12, 0 op_sel_hi:[0,1,0]
	v_fma_mixlo_f16 v10, v2, v10, 0 op_sel:[0,1,0] op_sel_hi:[0,1,0]
	v_fma_mixlo_f16 v13, v2, v13, 0 op_sel_hi:[0,1,0]
	v_lshlrev_b32_e32 v11, 16, v5
	v_and_b32_e32 v5, 0xffff, v22
	v_and_b32_e32 v35, 0xffff, v6
	v_lshlrev_b32_e32 v6, 16, v7
	v_and_b32_e32 v12, 0xffff, v12
	v_lshlrev_b32_e32 v2, 16, v10
	v_and_b32_e32 v7, 0xffff, v13
	v_or_b32_e32 v10, v0, v5
	v_or_b32_e32 v23, v11, v35
	;; [unrolled: 1-line block ×4, first 2 shown]
	s_and_saveexec_b32 s17, vcc_lo
	s_cbranch_execz .LBB312_1971
; %bb.1970:                             ;   in Loop: Header=BB312_1574 Depth=1
	v_cmp_lt_i32_e64 s4, v86, v36
	v_cndmask_b32_e64 v10, 0, v35, s4
	v_cmp_lt_i32_e64 s4, v115, v36
	v_cndmask_b32_e64 v11, 0, v11, s4
	v_cmp_lt_i32_e64 s4, v114, v36
	v_or_b32_e32 v23, v10, v11
	v_cndmask_b32_e64 v5, 0, v5, s4
	v_cmp_lt_i32_e64 s4, v113, v36
	v_cndmask_b32_e64 v0, 0, v0, s4
	v_cmp_lt_i32_e64 s4, v112, v36
	v_or_b32_e32 v10, v5, v0
	;; [unrolled: 5-line block ×3, first 2 shown]
	v_cndmask_b32_e64 v7, 0, v7, s4
	v_cmp_lt_i32_e64 s4, v101, v36
	v_cndmask_b32_e64 v2, 0, v2, s4
	v_or_b32_e32 v13, v7, v2
.LBB312_1971:                           ;   in Loop: Header=BB312_1574 Depth=1
	s_or_b32 exec_lo, exec_lo, s17
	;;#ASMSTART
	v_pk_mul_f16 v0, v100, v23;

	;;#ASMEND
	;;#ASMSTART
	v_pk_mul_f16 v2, v99, v10;

	;;#ASMEND
	;; [unrolled: 4-line block ×4, first 2 shown]
	;;#ASMSTART
	v_pk_add_f16 v0, v0, v2;

	;;#ASMEND
	;;#ASMSTART
	v_pk_add_f16 v0, v0, v5;

	;;#ASMEND
	;; [unrolled: 4-line block ×3, first 2 shown]
	v_and_b32_e32 v2, 0xffff, v0
	v_lshrrev_b32_e32 v0, 16, v0
	;;#ASMSTART
	v_cvt_f32_f16 v44, v2;
	;;#ASMEND
	;;#ASMSTART
	v_cvt_f32_f16 v45, v0;
	;;#ASMEND
	flat_load_dwordx2 v[10:11], v[8:9] offset:1536
	flat_load_dword v2, v[26:27]
	v_mov_b32_e32 v5, 0
	v_mov_b32_e32 v6, 0
	s_waitcnt vmcnt(1) lgkmcnt(1)
	v_cmp_ne_u16_sdwa s4, v10, v1 src0_sel:BYTE_0 src1_sel:DWORD
	s_and_saveexec_b32 s17, s4
	s_cbranch_execz .LBB312_1979
; %bb.1972:                             ;   in Loop: Header=BB312_1574 Depth=1
	v_cmp_ne_u16_sdwa s4, v10, v17 src0_sel:BYTE_0 src1_sel:DWORD
	v_mov_b32_e32 v6, 0x8000
	s_and_saveexec_b32 s18, s4
	s_cbranch_execz .LBB312_1978
; %bb.1973:                             ;   in Loop: Header=BB312_1574 Depth=1
	v_and_b32_e32 v7, 0x7f, v10
	v_mov_b32_e32 v6, 0x7c01
	s_mov_b32 s20, exec_lo
	v_cmpx_ne_u32_e32 0x7f, v7
	s_cbranch_execz .LBB312_1977
; %bb.1974:                             ;   in Loop: Header=BB312_1574 Depth=1
	v_and_b32_e32 v0, 7, v10
	v_lshrrev_b32_e32 v6, 3, v7
	s_mov_b32 s21, exec_lo
	v_cmpx_gt_u32_e32 8, v7
; %bb.1975:                             ;   in Loop: Header=BB312_1574 Depth=1
	v_ffbh_u32_e32 v0, v0
	v_min_u32_e32 v0, 32, v0
	v_subrev_nc_u32_e32 v6, 28, v0
	v_lshlrev_b64 v[12:13], v6, v[10:11]
	v_sub_nc_u32_e32 v6, 29, v0
	v_and_b32_e32 v0, 7, v12
; %bb.1976:                             ;   in Loop: Header=BB312_1574 Depth=1
	s_or_b32 exec_lo, exec_lo, s21
	v_lshlrev_b32_e32 v7, 8, v10
	v_lshl_add_u32 v6, v6, 10, 0x2000
	v_lshlrev_b32_e32 v0, 7, v0
	v_and_b32_e32 v7, 0x8000, v7
	v_and_b32_e32 v6, 0xfc00, v6
	v_or3_b32 v6, v7, v6, v0
.LBB312_1977:                           ;   in Loop: Header=BB312_1574 Depth=1
	s_or_b32 exec_lo, exec_lo, s20
.LBB312_1978:                           ;   in Loop: Header=BB312_1574 Depth=1
	s_or_b32 exec_lo, exec_lo, s18
.LBB312_1979:                           ;   in Loop: Header=BB312_1574 Depth=1
	s_or_b32 exec_lo, exec_lo, s17
	v_lshrrev_b16 v0, 8, v10
	s_mov_b32 s17, exec_lo
	v_cmpx_ne_u16_e32 0, v0
	s_cbranch_execz .LBB312_1987
; %bb.1980:                             ;   in Loop: Header=BB312_1574 Depth=1
	v_bfrev_b32_e32 v5, 1
	s_mov_b32 s18, exec_lo
	v_cmpx_ne_u16_e32 0x80, v0
	s_cbranch_execz .LBB312_1986
; %bb.1981:                             ;   in Loop: Header=BB312_1574 Depth=1
	v_and_b32_sdwa v12, v0, v51 dst_sel:DWORD dst_unused:UNUSED_PAD src0_sel:WORD_0 src1_sel:DWORD
	v_mov_b32_e32 v5, 0x7c010000
	s_mov_b32 s20, exec_lo
	v_cmpx_ne_u32_e32 0x7f, v12
	s_cbranch_execz .LBB312_1985
; %bb.1982:                             ;   in Loop: Header=BB312_1574 Depth=1
	v_and_b32_sdwa v5, v0, v52 dst_sel:DWORD dst_unused:UNUSED_PAD src0_sel:WORD_0 src1_sel:DWORD
	v_lshrrev_b32_e32 v7, 3, v12
	s_mov_b32 s21, exec_lo
	v_cmpx_gt_u32_e32 8, v12
; %bb.1983:                             ;   in Loop: Header=BB312_1574 Depth=1
	v_ffbh_u32_e32 v5, v5
	v_min_u32_e32 v5, 32, v5
	v_subrev_nc_u32_e32 v7, 28, v5
	v_lshlrev_b64 v[12:13], v7, v[0:1]
	v_sub_nc_u32_e32 v7, 29, v5
	v_and_b32_e32 v5, 7, v12
; %bb.1984:                             ;   in Loop: Header=BB312_1574 Depth=1
	s_or_b32 exec_lo, exec_lo, s21
	v_lshlrev_b32_sdwa v0, v53, v0 dst_sel:DWORD dst_unused:UNUSED_PAD src0_sel:DWORD src1_sel:WORD_0
	v_lshl_add_u32 v7, v7, 10, 0x2000
	v_lshlrev_b32_e32 v5, 23, v5
	v_and_or_b32 v0, 0x8000, v0, v7
	v_lshl_or_b32 v5, v0, 16, v5
.LBB312_1985:                           ;   in Loop: Header=BB312_1574 Depth=1
	s_or_b32 exec_lo, exec_lo, s20
.LBB312_1986:                           ;   in Loop: Header=BB312_1574 Depth=1
	s_or_b32 exec_lo, exec_lo, s18
.LBB312_1987:                           ;   in Loop: Header=BB312_1574 Depth=1
	s_or_b32 exec_lo, exec_lo, s17
	v_lshrrev_b32_e32 v0, 16, v10
	v_mov_b32_e32 v7, 0
	v_mov_b32_e32 v12, 0
	v_cmp_ne_u16_sdwa s4, v0, v1 src0_sel:BYTE_0 src1_sel:DWORD
	s_and_saveexec_b32 s17, s4
	s_cbranch_execz .LBB312_1995
; %bb.1988:                             ;   in Loop: Header=BB312_1574 Depth=1
	v_cmp_ne_u16_sdwa s4, v0, v17 src0_sel:BYTE_0 src1_sel:DWORD
	v_mov_b32_e32 v12, 0x8000
	s_and_saveexec_b32 s18, s4
	s_cbranch_execz .LBB312_1994
; %bb.1989:                             ;   in Loop: Header=BB312_1574 Depth=1
	v_bfe_u32 v22, v10, 16, 7
	v_mov_b32_e32 v12, 0x7c01
	s_mov_b32 s20, exec_lo
	v_cmpx_ne_u32_e32 0x7f, v22
	s_cbranch_execz .LBB312_1993
; %bb.1990:                             ;   in Loop: Header=BB312_1574 Depth=1
	v_and_b32_e32 v12, 7, v0
	v_lshrrev_b32_e32 v13, 3, v22
	s_mov_b32 s21, exec_lo
	v_cmpx_gt_u32_e32 8, v22
; %bb.1991:                             ;   in Loop: Header=BB312_1574 Depth=1
	v_ffbh_u32_e32 v12, v12
	v_min_u32_e32 v22, 32, v12
	v_subrev_nc_u32_e32 v12, 28, v22
	v_lshlrev_b64 v[12:13], v12, v[0:1]
	v_sub_nc_u32_e32 v13, 29, v22
	v_and_b32_e32 v12, 7, v12
; %bb.1992:                             ;   in Loop: Header=BB312_1574 Depth=1
	s_or_b32 exec_lo, exec_lo, s21
	v_lshlrev_b32_e32 v0, 8, v0
	v_lshl_add_u32 v13, v13, 10, 0x2000
	v_lshlrev_b32_e32 v12, 7, v12
	v_and_b32_e32 v0, 0x8000, v0
	v_and_b32_e32 v13, 0xfc00, v13
	v_or3_b32 v12, v0, v13, v12
.LBB312_1993:                           ;   in Loop: Header=BB312_1574 Depth=1
	s_or_b32 exec_lo, exec_lo, s20
.LBB312_1994:                           ;   in Loop: Header=BB312_1574 Depth=1
	s_or_b32 exec_lo, exec_lo, s18
.LBB312_1995:                           ;   in Loop: Header=BB312_1574 Depth=1
	s_or_b32 exec_lo, exec_lo, s17
	s_mov_b32 s17, exec_lo
	v_cmpx_lt_u32_e32 0xffffff, v10
	s_cbranch_execz .LBB312_2003
; %bb.1996:                             ;   in Loop: Header=BB312_1574 Depth=1
	v_lshrrev_b32_e32 v0, 24, v10
	v_bfrev_b32_e32 v7, 1
	s_mov_b32 s18, exec_lo
	v_cmpx_ne_u32_e32 0x80, v0
	s_cbranch_execz .LBB312_2002
; %bb.1997:                             ;   in Loop: Header=BB312_1574 Depth=1
	v_and_b32_e32 v22, 0x7f, v0
	v_mov_b32_e32 v7, 0x7c010000
	s_mov_b32 s20, exec_lo
	v_cmpx_ne_u32_e32 0x7f, v22
	s_cbranch_execz .LBB312_2001
; %bb.1998:                             ;   in Loop: Header=BB312_1574 Depth=1
	v_and_b32_e32 v7, 7, v0
	v_lshrrev_b32_e32 v13, 3, v22
	s_mov_b32 s21, exec_lo
	v_cmpx_gt_u32_e32 8, v22
; %bb.1999:                             ;   in Loop: Header=BB312_1574 Depth=1
	v_ffbh_u32_e32 v7, v7
	v_min_u32_e32 v7, 32, v7
	v_subrev_nc_u32_e32 v13, 28, v7
	v_lshlrev_b64 v[22:23], v13, v[0:1]
	v_sub_nc_u32_e32 v13, 29, v7
	v_and_b32_e32 v7, 7, v22
; %bb.2000:                             ;   in Loop: Header=BB312_1574 Depth=1
	s_or_b32 exec_lo, exec_lo, s21
	v_lshlrev_b32_e32 v0, 8, v0
	v_lshl_add_u32 v13, v13, 10, 0x2000
	v_lshlrev_b32_e32 v7, 23, v7
	v_and_or_b32 v0, 0x8000, v0, v13
	v_lshl_or_b32 v7, v0, 16, v7
.LBB312_2001:                           ;   in Loop: Header=BB312_1574 Depth=1
	s_or_b32 exec_lo, exec_lo, s20
.LBB312_2002:                           ;   in Loop: Header=BB312_1574 Depth=1
	s_or_b32 exec_lo, exec_lo, s18
.LBB312_2003:                           ;   in Loop: Header=BB312_1574 Depth=1
	s_or_b32 exec_lo, exec_lo, s17
	v_mov_b32_e32 v0, v11
	v_cmp_ne_u16_sdwa s4, v11, v1 src0_sel:BYTE_0 src1_sel:DWORD
	v_mov_b32_e32 v13, 0
	v_mov_b32_e32 v22, 0
	s_and_saveexec_b32 s17, s4
	s_cbranch_execz .LBB312_2011
; %bb.2004:                             ;   in Loop: Header=BB312_1574 Depth=1
	v_cmp_ne_u16_sdwa s4, v11, v17 src0_sel:BYTE_0 src1_sel:DWORD
	v_mov_b32_e32 v22, 0x8000
	s_and_saveexec_b32 s18, s4
	s_cbranch_execz .LBB312_2010
; %bb.2005:                             ;   in Loop: Header=BB312_1574 Depth=1
	v_and_b32_e32 v35, 0x7f, v11
	v_mov_b32_e32 v22, 0x7c01
	s_mov_b32 s20, exec_lo
	v_cmpx_ne_u32_e32 0x7f, v35
	s_cbranch_execz .LBB312_2009
; %bb.2006:                             ;   in Loop: Header=BB312_1574 Depth=1
	v_and_b32_e32 v22, 7, v11
	v_lshrrev_b32_e32 v23, 3, v35
	s_mov_b32 s21, exec_lo
	v_cmpx_gt_u32_e32 8, v35
; %bb.2007:                             ;   in Loop: Header=BB312_1574 Depth=1
	v_ffbh_u32_e32 v22, v22
	v_min_u32_e32 v35, 32, v22
	v_subrev_nc_u32_e32 v22, 28, v35
	v_lshlrev_b64 v[22:23], v22, v[0:1]
	v_sub_nc_u32_e32 v23, 29, v35
	v_and_b32_e32 v22, 7, v22
; %bb.2008:                             ;   in Loop: Header=BB312_1574 Depth=1
	s_or_b32 exec_lo, exec_lo, s21
	v_lshlrev_b32_e32 v35, 8, v11
	v_lshl_add_u32 v23, v23, 10, 0x2000
	v_lshlrev_b32_e32 v22, 7, v22
	v_and_b32_e32 v35, 0x8000, v35
	v_and_b32_e32 v23, 0xfc00, v23
	v_or3_b32 v22, v35, v23, v22
.LBB312_2009:                           ;   in Loop: Header=BB312_1574 Depth=1
	s_or_b32 exec_lo, exec_lo, s20
.LBB312_2010:                           ;   in Loop: Header=BB312_1574 Depth=1
	s_or_b32 exec_lo, exec_lo, s18
.LBB312_2011:                           ;   in Loop: Header=BB312_1574 Depth=1
	s_or_b32 exec_lo, exec_lo, s17
	v_lshrrev_b16 v0, 8, v0
	v_mov_b32_e32 v23, 0
	s_mov_b32 s17, exec_lo
	v_cmpx_ne_u16_e32 0, v0
	s_cbranch_execz .LBB312_2019
; %bb.2012:                             ;   in Loop: Header=BB312_1574 Depth=1
	v_bfrev_b32_e32 v23, 1
	s_mov_b32 s18, exec_lo
	v_cmpx_ne_u16_e32 0x80, v0
	s_cbranch_execz .LBB312_2018
; %bb.2013:                             ;   in Loop: Header=BB312_1574 Depth=1
	v_and_b32_sdwa v37, v0, v51 dst_sel:DWORD dst_unused:UNUSED_PAD src0_sel:WORD_0 src1_sel:DWORD
	v_mov_b32_e32 v23, 0x7c010000
	s_mov_b32 s20, exec_lo
	v_cmpx_ne_u32_e32 0x7f, v37
	s_cbranch_execz .LBB312_2017
; %bb.2014:                             ;   in Loop: Header=BB312_1574 Depth=1
	v_and_b32_sdwa v23, v0, v52 dst_sel:DWORD dst_unused:UNUSED_PAD src0_sel:WORD_0 src1_sel:DWORD
	v_lshrrev_b32_e32 v35, 3, v37
	s_mov_b32 s21, exec_lo
	v_cmpx_gt_u32_e32 8, v37
; %bb.2015:                             ;   in Loop: Header=BB312_1574 Depth=1
	v_ffbh_u32_e32 v23, v23
	v_min_u32_e32 v23, 32, v23
	v_subrev_nc_u32_e32 v35, 28, v23
	v_lshlrev_b64 v[37:38], v35, v[0:1]
	v_sub_nc_u32_e32 v35, 29, v23
	v_and_b32_e32 v23, 7, v37
; %bb.2016:                             ;   in Loop: Header=BB312_1574 Depth=1
	s_or_b32 exec_lo, exec_lo, s21
	v_lshlrev_b32_sdwa v0, v53, v0 dst_sel:DWORD dst_unused:UNUSED_PAD src0_sel:DWORD src1_sel:WORD_0
	v_lshl_add_u32 v35, v35, 10, 0x2000
	v_lshlrev_b32_e32 v23, 23, v23
	v_and_or_b32 v0, 0x8000, v0, v35
	v_lshl_or_b32 v23, v0, 16, v23
.LBB312_2017:                           ;   in Loop: Header=BB312_1574 Depth=1
	s_or_b32 exec_lo, exec_lo, s20
.LBB312_2018:                           ;   in Loop: Header=BB312_1574 Depth=1
	s_or_b32 exec_lo, exec_lo, s18
.LBB312_2019:                           ;   in Loop: Header=BB312_1574 Depth=1
	s_or_b32 exec_lo, exec_lo, s17
	v_lshrrev_b32_e32 v0, 16, v11
	v_cmp_ne_u16_sdwa s4, v0, v1 src0_sel:BYTE_0 src1_sel:DWORD
	s_and_saveexec_b32 s17, s4
	s_cbranch_execz .LBB312_2027
; %bb.2020:                             ;   in Loop: Header=BB312_1574 Depth=1
	v_cmp_ne_u16_sdwa s4, v0, v17 src0_sel:BYTE_0 src1_sel:DWORD
	v_mov_b32_e32 v13, 0x8000
	s_and_saveexec_b32 s18, s4
	s_cbranch_execz .LBB312_2026
; %bb.2021:                             ;   in Loop: Header=BB312_1574 Depth=1
	v_bfe_u32 v37, v11, 16, 7
	v_mov_b32_e32 v13, 0x7c01
	s_mov_b32 s20, exec_lo
	v_cmpx_ne_u32_e32 0x7f, v37
	s_cbranch_execz .LBB312_2025
; %bb.2022:                             ;   in Loop: Header=BB312_1574 Depth=1
	v_and_b32_e32 v13, 7, v0
	v_lshrrev_b32_e32 v35, 3, v37
	s_mov_b32 s21, exec_lo
	v_cmpx_gt_u32_e32 8, v37
; %bb.2023:                             ;   in Loop: Header=BB312_1574 Depth=1
	v_ffbh_u32_e32 v13, v13
	v_min_u32_e32 v13, 32, v13
	v_subrev_nc_u32_e32 v35, 28, v13
	v_lshlrev_b64 v[37:38], v35, v[0:1]
	v_sub_nc_u32_e32 v35, 29, v13
	v_and_b32_e32 v13, 7, v37
; %bb.2024:                             ;   in Loop: Header=BB312_1574 Depth=1
	s_or_b32 exec_lo, exec_lo, s21
	v_lshlrev_b32_e32 v0, 8, v0
	v_lshl_add_u32 v35, v35, 10, 0x2000
	v_lshlrev_b32_e32 v13, 7, v13
	v_and_b32_e32 v0, 0x8000, v0
	v_and_b32_e32 v35, 0xfc00, v35
	v_or3_b32 v13, v0, v35, v13
.LBB312_2025:                           ;   in Loop: Header=BB312_1574 Depth=1
	s_or_b32 exec_lo, exec_lo, s20
.LBB312_2026:                           ;   in Loop: Header=BB312_1574 Depth=1
	s_or_b32 exec_lo, exec_lo, s18
.LBB312_2027:                           ;   in Loop: Header=BB312_1574 Depth=1
	s_or_b32 exec_lo, exec_lo, s17
	v_cmp_lt_u64_e64 s4, s[12:13], v[10:11]
	v_mov_b32_e32 v10, 0
	s_and_saveexec_b32 s17, s4
	s_cbranch_execz .LBB312_2035
; %bb.2028:                             ;   in Loop: Header=BB312_1574 Depth=1
	v_lshrrev_b32_e32 v0, 24, v11
	v_bfrev_b32_e32 v10, 1
	s_mov_b32 s18, exec_lo
	v_cmpx_ne_u32_e32 0x80, v0
	s_cbranch_execz .LBB312_2034
; %bb.2029:                             ;   in Loop: Header=BB312_1574 Depth=1
	v_and_b32_e32 v35, 0x7f, v0
	v_mov_b32_e32 v10, 0x7c010000
	s_mov_b32 s20, exec_lo
	v_cmpx_ne_u32_e32 0x7f, v35
	s_cbranch_execz .LBB312_2033
; %bb.2030:                             ;   in Loop: Header=BB312_1574 Depth=1
	v_and_b32_e32 v10, 7, v0
	v_lshrrev_b32_e32 v11, 3, v35
	s_mov_b32 s21, exec_lo
	v_cmpx_gt_u32_e32 8, v35
; %bb.2031:                             ;   in Loop: Header=BB312_1574 Depth=1
	v_ffbh_u32_e32 v10, v10
	v_min_u32_e32 v35, 32, v10
	v_subrev_nc_u32_e32 v10, 28, v35
	v_lshlrev_b64 v[10:11], v10, v[0:1]
	v_sub_nc_u32_e32 v11, 29, v35
	v_and_b32_e32 v10, 7, v10
; %bb.2032:                             ;   in Loop: Header=BB312_1574 Depth=1
	s_or_b32 exec_lo, exec_lo, s21
	v_lshlrev_b32_e32 v0, 8, v0
	v_lshl_add_u32 v11, v11, 10, 0x2000
	v_lshlrev_b32_e32 v10, 23, v10
	v_and_or_b32 v0, 0x8000, v0, v11
	v_lshl_or_b32 v10, v0, 16, v10
.LBB312_2033:                           ;   in Loop: Header=BB312_1574 Depth=1
	s_or_b32 exec_lo, exec_lo, s20
.LBB312_2034:                           ;   in Loop: Header=BB312_1574 Depth=1
	s_or_b32 exec_lo, exec_lo, s18
.LBB312_2035:                           ;   in Loop: Header=BB312_1574 Depth=1
	s_or_b32 exec_lo, exec_lo, s17
	v_or_b32_e32 v0, v7, v12
	s_waitcnt vmcnt(0) lgkmcnt(0)
	v_fma_mixlo_f16 v7, v2, v7, 0 op_sel:[0,1,0] op_sel_hi:[0,1,0]
	v_or_b32_e32 v6, v5, v6
	v_or_b32_e32 v12, v23, v22
	;; [unrolled: 1-line block ×3, first 2 shown]
	v_fma_mixlo_f16 v5, v2, v5, 0 op_sel:[0,1,0] op_sel_hi:[0,1,0]
	v_fma_mixlo_f16 v22, v2, v0, 0 op_sel_hi:[0,1,0]
	v_lshlrev_b32_e32 v0, 16, v7
	v_fma_mixlo_f16 v6, v2, v6, 0 op_sel_hi:[0,1,0]
	v_fma_mixlo_f16 v7, v2, v23, 0 op_sel:[0,1,0] op_sel_hi:[0,1,0]
	v_fma_mixlo_f16 v12, v2, v12, 0 op_sel_hi:[0,1,0]
	v_fma_mixlo_f16 v10, v2, v10, 0 op_sel:[0,1,0] op_sel_hi:[0,1,0]
	v_fma_mixlo_f16 v13, v2, v13, 0 op_sel_hi:[0,1,0]
	v_lshlrev_b32_e32 v11, 16, v5
	v_and_b32_e32 v5, 0xffff, v22
	v_and_b32_e32 v35, 0xffff, v6
	v_lshlrev_b32_e32 v6, 16, v7
	v_and_b32_e32 v12, 0xffff, v12
	v_lshlrev_b32_e32 v2, 16, v10
	v_and_b32_e32 v7, 0xffff, v13
	v_or_b32_e32 v10, v0, v5
	v_or_b32_e32 v23, v11, v35
	;; [unrolled: 1-line block ×4, first 2 shown]
	s_and_saveexec_b32 s17, vcc_lo
	s_cbranch_execz .LBB312_2037
; %bb.2036:                             ;   in Loop: Header=BB312_1574 Depth=1
	v_cmp_lt_i32_e64 s4, v86, v36
	v_cndmask_b32_e64 v10, 0, v35, s4
	v_cmp_lt_i32_e64 s4, v115, v36
	v_cndmask_b32_e64 v11, 0, v11, s4
	v_cmp_lt_i32_e64 s4, v114, v36
	v_or_b32_e32 v23, v10, v11
	v_cndmask_b32_e64 v5, 0, v5, s4
	v_cmp_lt_i32_e64 s4, v113, v36
	v_cndmask_b32_e64 v0, 0, v0, s4
	v_cmp_lt_i32_e64 s4, v112, v36
	v_or_b32_e32 v10, v5, v0
	;; [unrolled: 5-line block ×3, first 2 shown]
	v_cndmask_b32_e64 v7, 0, v7, s4
	v_cmp_lt_i32_e64 s4, v101, v36
	v_cndmask_b32_e64 v2, 0, v2, s4
	v_or_b32_e32 v13, v7, v2
.LBB312_2037:                           ;   in Loop: Header=BB312_1574 Depth=1
	s_or_b32 exec_lo, exec_lo, s17
	;;#ASMSTART
	v_pk_mul_f16 v0, v100, v23;

	;;#ASMEND
	;;#ASMSTART
	v_pk_mul_f16 v2, v99, v10;

	;;#ASMEND
	;; [unrolled: 4-line block ×4, first 2 shown]
	;;#ASMSTART
	v_pk_add_f16 v0, v0, v2;

	;;#ASMEND
	;;#ASMSTART
	v_pk_add_f16 v0, v0, v5;

	;;#ASMEND
	;; [unrolled: 4-line block ×3, first 2 shown]
	v_and_b32_e32 v2, 0xffff, v0
	v_lshrrev_b32_e32 v0, 16, v0
	;;#ASMSTART
	v_cvt_f32_f16 v46, v2;
	;;#ASMEND
	;;#ASMSTART
	v_cvt_f32_f16 v47, v0;
	;;#ASMEND
	flat_load_dwordx2 v[10:11], v[8:9] offset:1792
	flat_load_dword v2, v[26:27]
	v_mov_b32_e32 v5, 0
	v_mov_b32_e32 v6, 0
	s_waitcnt vmcnt(1) lgkmcnt(1)
	v_cmp_ne_u16_sdwa s4, v10, v1 src0_sel:BYTE_0 src1_sel:DWORD
	s_and_saveexec_b32 s17, s4
	s_cbranch_execz .LBB312_2045
; %bb.2038:                             ;   in Loop: Header=BB312_1574 Depth=1
	v_cmp_ne_u16_sdwa s4, v10, v17 src0_sel:BYTE_0 src1_sel:DWORD
	v_mov_b32_e32 v6, 0x8000
	s_and_saveexec_b32 s18, s4
	s_cbranch_execz .LBB312_2044
; %bb.2039:                             ;   in Loop: Header=BB312_1574 Depth=1
	v_and_b32_e32 v7, 0x7f, v10
	v_mov_b32_e32 v6, 0x7c01
	s_mov_b32 s20, exec_lo
	v_cmpx_ne_u32_e32 0x7f, v7
	s_cbranch_execz .LBB312_2043
; %bb.2040:                             ;   in Loop: Header=BB312_1574 Depth=1
	v_and_b32_e32 v0, 7, v10
	v_lshrrev_b32_e32 v6, 3, v7
	s_mov_b32 s21, exec_lo
	v_cmpx_gt_u32_e32 8, v7
; %bb.2041:                             ;   in Loop: Header=BB312_1574 Depth=1
	v_ffbh_u32_e32 v0, v0
	v_min_u32_e32 v0, 32, v0
	v_subrev_nc_u32_e32 v6, 28, v0
	v_lshlrev_b64 v[12:13], v6, v[10:11]
	v_sub_nc_u32_e32 v6, 29, v0
	v_and_b32_e32 v0, 7, v12
; %bb.2042:                             ;   in Loop: Header=BB312_1574 Depth=1
	s_or_b32 exec_lo, exec_lo, s21
	v_lshlrev_b32_e32 v7, 8, v10
	v_lshl_add_u32 v6, v6, 10, 0x2000
	v_lshlrev_b32_e32 v0, 7, v0
	v_and_b32_e32 v7, 0x8000, v7
	v_and_b32_e32 v6, 0xfc00, v6
	v_or3_b32 v6, v7, v6, v0
.LBB312_2043:                           ;   in Loop: Header=BB312_1574 Depth=1
	s_or_b32 exec_lo, exec_lo, s20
.LBB312_2044:                           ;   in Loop: Header=BB312_1574 Depth=1
	s_or_b32 exec_lo, exec_lo, s18
.LBB312_2045:                           ;   in Loop: Header=BB312_1574 Depth=1
	s_or_b32 exec_lo, exec_lo, s17
	v_lshrrev_b16 v0, 8, v10
	s_mov_b32 s17, exec_lo
	v_cmpx_ne_u16_e32 0, v0
	s_cbranch_execz .LBB312_2053
; %bb.2046:                             ;   in Loop: Header=BB312_1574 Depth=1
	v_bfrev_b32_e32 v5, 1
	s_mov_b32 s18, exec_lo
	v_cmpx_ne_u16_e32 0x80, v0
	s_cbranch_execz .LBB312_2052
; %bb.2047:                             ;   in Loop: Header=BB312_1574 Depth=1
	v_and_b32_sdwa v12, v0, v51 dst_sel:DWORD dst_unused:UNUSED_PAD src0_sel:WORD_0 src1_sel:DWORD
	v_mov_b32_e32 v5, 0x7c010000
	s_mov_b32 s20, exec_lo
	v_cmpx_ne_u32_e32 0x7f, v12
	s_cbranch_execz .LBB312_2051
; %bb.2048:                             ;   in Loop: Header=BB312_1574 Depth=1
	v_and_b32_sdwa v5, v0, v52 dst_sel:DWORD dst_unused:UNUSED_PAD src0_sel:WORD_0 src1_sel:DWORD
	v_lshrrev_b32_e32 v7, 3, v12
	s_mov_b32 s21, exec_lo
	v_cmpx_gt_u32_e32 8, v12
; %bb.2049:                             ;   in Loop: Header=BB312_1574 Depth=1
	v_ffbh_u32_e32 v5, v5
	v_min_u32_e32 v5, 32, v5
	v_subrev_nc_u32_e32 v7, 28, v5
	v_lshlrev_b64 v[12:13], v7, v[0:1]
	v_sub_nc_u32_e32 v7, 29, v5
	v_and_b32_e32 v5, 7, v12
; %bb.2050:                             ;   in Loop: Header=BB312_1574 Depth=1
	s_or_b32 exec_lo, exec_lo, s21
	v_lshlrev_b32_sdwa v0, v53, v0 dst_sel:DWORD dst_unused:UNUSED_PAD src0_sel:DWORD src1_sel:WORD_0
	v_lshl_add_u32 v7, v7, 10, 0x2000
	v_lshlrev_b32_e32 v5, 23, v5
	v_and_or_b32 v0, 0x8000, v0, v7
	v_lshl_or_b32 v5, v0, 16, v5
.LBB312_2051:                           ;   in Loop: Header=BB312_1574 Depth=1
	s_or_b32 exec_lo, exec_lo, s20
.LBB312_2052:                           ;   in Loop: Header=BB312_1574 Depth=1
	s_or_b32 exec_lo, exec_lo, s18
.LBB312_2053:                           ;   in Loop: Header=BB312_1574 Depth=1
	s_or_b32 exec_lo, exec_lo, s17
	v_lshrrev_b32_e32 v0, 16, v10
	v_mov_b32_e32 v7, 0
	v_mov_b32_e32 v12, 0
	v_cmp_ne_u16_sdwa s4, v0, v1 src0_sel:BYTE_0 src1_sel:DWORD
	s_and_saveexec_b32 s17, s4
	s_cbranch_execz .LBB312_2061
; %bb.2054:                             ;   in Loop: Header=BB312_1574 Depth=1
	v_cmp_ne_u16_sdwa s4, v0, v17 src0_sel:BYTE_0 src1_sel:DWORD
	v_mov_b32_e32 v12, 0x8000
	s_and_saveexec_b32 s18, s4
	s_cbranch_execz .LBB312_2060
; %bb.2055:                             ;   in Loop: Header=BB312_1574 Depth=1
	v_bfe_u32 v22, v10, 16, 7
	v_mov_b32_e32 v12, 0x7c01
	s_mov_b32 s20, exec_lo
	v_cmpx_ne_u32_e32 0x7f, v22
	s_cbranch_execz .LBB312_2059
; %bb.2056:                             ;   in Loop: Header=BB312_1574 Depth=1
	v_and_b32_e32 v12, 7, v0
	v_lshrrev_b32_e32 v13, 3, v22
	s_mov_b32 s21, exec_lo
	v_cmpx_gt_u32_e32 8, v22
; %bb.2057:                             ;   in Loop: Header=BB312_1574 Depth=1
	v_ffbh_u32_e32 v12, v12
	v_min_u32_e32 v22, 32, v12
	v_subrev_nc_u32_e32 v12, 28, v22
	v_lshlrev_b64 v[12:13], v12, v[0:1]
	v_sub_nc_u32_e32 v13, 29, v22
	v_and_b32_e32 v12, 7, v12
; %bb.2058:                             ;   in Loop: Header=BB312_1574 Depth=1
	s_or_b32 exec_lo, exec_lo, s21
	v_lshlrev_b32_e32 v0, 8, v0
	v_lshl_add_u32 v13, v13, 10, 0x2000
	v_lshlrev_b32_e32 v12, 7, v12
	v_and_b32_e32 v0, 0x8000, v0
	v_and_b32_e32 v13, 0xfc00, v13
	v_or3_b32 v12, v0, v13, v12
.LBB312_2059:                           ;   in Loop: Header=BB312_1574 Depth=1
	s_or_b32 exec_lo, exec_lo, s20
.LBB312_2060:                           ;   in Loop: Header=BB312_1574 Depth=1
	s_or_b32 exec_lo, exec_lo, s18
.LBB312_2061:                           ;   in Loop: Header=BB312_1574 Depth=1
	s_or_b32 exec_lo, exec_lo, s17
	s_mov_b32 s17, exec_lo
	v_cmpx_lt_u32_e32 0xffffff, v10
	s_cbranch_execz .LBB312_2069
; %bb.2062:                             ;   in Loop: Header=BB312_1574 Depth=1
	v_lshrrev_b32_e32 v0, 24, v10
	v_bfrev_b32_e32 v7, 1
	s_mov_b32 s18, exec_lo
	v_cmpx_ne_u32_e32 0x80, v0
	s_cbranch_execz .LBB312_2068
; %bb.2063:                             ;   in Loop: Header=BB312_1574 Depth=1
	v_and_b32_e32 v22, 0x7f, v0
	v_mov_b32_e32 v7, 0x7c010000
	s_mov_b32 s20, exec_lo
	v_cmpx_ne_u32_e32 0x7f, v22
	s_cbranch_execz .LBB312_2067
; %bb.2064:                             ;   in Loop: Header=BB312_1574 Depth=1
	v_and_b32_e32 v7, 7, v0
	v_lshrrev_b32_e32 v13, 3, v22
	s_mov_b32 s21, exec_lo
	v_cmpx_gt_u32_e32 8, v22
; %bb.2065:                             ;   in Loop: Header=BB312_1574 Depth=1
	v_ffbh_u32_e32 v7, v7
	v_min_u32_e32 v7, 32, v7
	v_subrev_nc_u32_e32 v13, 28, v7
	v_lshlrev_b64 v[22:23], v13, v[0:1]
	v_sub_nc_u32_e32 v13, 29, v7
	v_and_b32_e32 v7, 7, v22
; %bb.2066:                             ;   in Loop: Header=BB312_1574 Depth=1
	s_or_b32 exec_lo, exec_lo, s21
	v_lshlrev_b32_e32 v0, 8, v0
	v_lshl_add_u32 v13, v13, 10, 0x2000
	v_lshlrev_b32_e32 v7, 23, v7
	v_and_or_b32 v0, 0x8000, v0, v13
	v_lshl_or_b32 v7, v0, 16, v7
.LBB312_2067:                           ;   in Loop: Header=BB312_1574 Depth=1
	s_or_b32 exec_lo, exec_lo, s20
.LBB312_2068:                           ;   in Loop: Header=BB312_1574 Depth=1
	s_or_b32 exec_lo, exec_lo, s18
.LBB312_2069:                           ;   in Loop: Header=BB312_1574 Depth=1
	s_or_b32 exec_lo, exec_lo, s17
	v_mov_b32_e32 v0, v11
	v_cmp_ne_u16_sdwa s4, v11, v1 src0_sel:BYTE_0 src1_sel:DWORD
	v_mov_b32_e32 v13, 0
	v_mov_b32_e32 v22, 0
	s_and_saveexec_b32 s17, s4
	s_cbranch_execz .LBB312_2077
; %bb.2070:                             ;   in Loop: Header=BB312_1574 Depth=1
	v_cmp_ne_u16_sdwa s4, v11, v17 src0_sel:BYTE_0 src1_sel:DWORD
	v_mov_b32_e32 v22, 0x8000
	s_and_saveexec_b32 s18, s4
	s_cbranch_execz .LBB312_2076
; %bb.2071:                             ;   in Loop: Header=BB312_1574 Depth=1
	v_and_b32_e32 v35, 0x7f, v11
	v_mov_b32_e32 v22, 0x7c01
	s_mov_b32 s20, exec_lo
	v_cmpx_ne_u32_e32 0x7f, v35
	s_cbranch_execz .LBB312_2075
; %bb.2072:                             ;   in Loop: Header=BB312_1574 Depth=1
	v_and_b32_e32 v22, 7, v11
	v_lshrrev_b32_e32 v23, 3, v35
	s_mov_b32 s21, exec_lo
	v_cmpx_gt_u32_e32 8, v35
; %bb.2073:                             ;   in Loop: Header=BB312_1574 Depth=1
	v_ffbh_u32_e32 v22, v22
	v_min_u32_e32 v35, 32, v22
	v_subrev_nc_u32_e32 v22, 28, v35
	v_lshlrev_b64 v[22:23], v22, v[0:1]
	v_sub_nc_u32_e32 v23, 29, v35
	v_and_b32_e32 v22, 7, v22
; %bb.2074:                             ;   in Loop: Header=BB312_1574 Depth=1
	s_or_b32 exec_lo, exec_lo, s21
	v_lshlrev_b32_e32 v35, 8, v11
	v_lshl_add_u32 v23, v23, 10, 0x2000
	v_lshlrev_b32_e32 v22, 7, v22
	v_and_b32_e32 v35, 0x8000, v35
	v_and_b32_e32 v23, 0xfc00, v23
	v_or3_b32 v22, v35, v23, v22
.LBB312_2075:                           ;   in Loop: Header=BB312_1574 Depth=1
	s_or_b32 exec_lo, exec_lo, s20
.LBB312_2076:                           ;   in Loop: Header=BB312_1574 Depth=1
	s_or_b32 exec_lo, exec_lo, s18
.LBB312_2077:                           ;   in Loop: Header=BB312_1574 Depth=1
	s_or_b32 exec_lo, exec_lo, s17
	v_lshrrev_b16 v0, 8, v0
	v_mov_b32_e32 v23, 0
	s_mov_b32 s17, exec_lo
	v_cmpx_ne_u16_e32 0, v0
	s_cbranch_execz .LBB312_2085
; %bb.2078:                             ;   in Loop: Header=BB312_1574 Depth=1
	v_bfrev_b32_e32 v23, 1
	s_mov_b32 s18, exec_lo
	v_cmpx_ne_u16_e32 0x80, v0
	s_cbranch_execz .LBB312_2084
; %bb.2079:                             ;   in Loop: Header=BB312_1574 Depth=1
	v_and_b32_sdwa v37, v0, v51 dst_sel:DWORD dst_unused:UNUSED_PAD src0_sel:WORD_0 src1_sel:DWORD
	v_mov_b32_e32 v23, 0x7c010000
	s_mov_b32 s20, exec_lo
	v_cmpx_ne_u32_e32 0x7f, v37
	s_cbranch_execz .LBB312_2083
; %bb.2080:                             ;   in Loop: Header=BB312_1574 Depth=1
	v_and_b32_sdwa v23, v0, v52 dst_sel:DWORD dst_unused:UNUSED_PAD src0_sel:WORD_0 src1_sel:DWORD
	v_lshrrev_b32_e32 v35, 3, v37
	s_mov_b32 s21, exec_lo
	v_cmpx_gt_u32_e32 8, v37
; %bb.2081:                             ;   in Loop: Header=BB312_1574 Depth=1
	v_ffbh_u32_e32 v23, v23
	v_min_u32_e32 v23, 32, v23
	v_subrev_nc_u32_e32 v35, 28, v23
	v_lshlrev_b64 v[37:38], v35, v[0:1]
	v_sub_nc_u32_e32 v35, 29, v23
	v_and_b32_e32 v23, 7, v37
; %bb.2082:                             ;   in Loop: Header=BB312_1574 Depth=1
	s_or_b32 exec_lo, exec_lo, s21
	v_lshlrev_b32_sdwa v0, v53, v0 dst_sel:DWORD dst_unused:UNUSED_PAD src0_sel:DWORD src1_sel:WORD_0
	v_lshl_add_u32 v35, v35, 10, 0x2000
	v_lshlrev_b32_e32 v23, 23, v23
	v_and_or_b32 v0, 0x8000, v0, v35
	v_lshl_or_b32 v23, v0, 16, v23
.LBB312_2083:                           ;   in Loop: Header=BB312_1574 Depth=1
	s_or_b32 exec_lo, exec_lo, s20
.LBB312_2084:                           ;   in Loop: Header=BB312_1574 Depth=1
	s_or_b32 exec_lo, exec_lo, s18
.LBB312_2085:                           ;   in Loop: Header=BB312_1574 Depth=1
	s_or_b32 exec_lo, exec_lo, s17
	v_lshrrev_b32_e32 v0, 16, v11
	v_cmp_ne_u16_sdwa s4, v0, v1 src0_sel:BYTE_0 src1_sel:DWORD
	s_and_saveexec_b32 s17, s4
	s_cbranch_execz .LBB312_2093
; %bb.2086:                             ;   in Loop: Header=BB312_1574 Depth=1
	v_cmp_ne_u16_sdwa s4, v0, v17 src0_sel:BYTE_0 src1_sel:DWORD
	v_mov_b32_e32 v13, 0x8000
	s_and_saveexec_b32 s18, s4
	s_cbranch_execz .LBB312_2092
; %bb.2087:                             ;   in Loop: Header=BB312_1574 Depth=1
	v_bfe_u32 v37, v11, 16, 7
	v_mov_b32_e32 v13, 0x7c01
	s_mov_b32 s20, exec_lo
	v_cmpx_ne_u32_e32 0x7f, v37
	s_cbranch_execz .LBB312_2091
; %bb.2088:                             ;   in Loop: Header=BB312_1574 Depth=1
	v_and_b32_e32 v13, 7, v0
	v_lshrrev_b32_e32 v35, 3, v37
	s_mov_b32 s21, exec_lo
	v_cmpx_gt_u32_e32 8, v37
; %bb.2089:                             ;   in Loop: Header=BB312_1574 Depth=1
	v_ffbh_u32_e32 v13, v13
	v_min_u32_e32 v13, 32, v13
	v_subrev_nc_u32_e32 v35, 28, v13
	v_lshlrev_b64 v[37:38], v35, v[0:1]
	v_sub_nc_u32_e32 v35, 29, v13
	v_and_b32_e32 v13, 7, v37
; %bb.2090:                             ;   in Loop: Header=BB312_1574 Depth=1
	s_or_b32 exec_lo, exec_lo, s21
	v_lshlrev_b32_e32 v0, 8, v0
	v_lshl_add_u32 v35, v35, 10, 0x2000
	v_lshlrev_b32_e32 v13, 7, v13
	v_and_b32_e32 v0, 0x8000, v0
	v_and_b32_e32 v35, 0xfc00, v35
	v_or3_b32 v13, v0, v35, v13
.LBB312_2091:                           ;   in Loop: Header=BB312_1574 Depth=1
	s_or_b32 exec_lo, exec_lo, s20
.LBB312_2092:                           ;   in Loop: Header=BB312_1574 Depth=1
	s_or_b32 exec_lo, exec_lo, s18
.LBB312_2093:                           ;   in Loop: Header=BB312_1574 Depth=1
	s_or_b32 exec_lo, exec_lo, s17
	v_cmp_lt_u64_e64 s4, s[12:13], v[10:11]
	v_mov_b32_e32 v10, 0
	s_and_saveexec_b32 s17, s4
	s_cbranch_execz .LBB312_2101
; %bb.2094:                             ;   in Loop: Header=BB312_1574 Depth=1
	v_lshrrev_b32_e32 v0, 24, v11
	v_bfrev_b32_e32 v10, 1
	s_mov_b32 s18, exec_lo
	v_cmpx_ne_u32_e32 0x80, v0
	s_cbranch_execz .LBB312_2100
; %bb.2095:                             ;   in Loop: Header=BB312_1574 Depth=1
	v_and_b32_e32 v35, 0x7f, v0
	v_mov_b32_e32 v10, 0x7c010000
	s_mov_b32 s20, exec_lo
	v_cmpx_ne_u32_e32 0x7f, v35
	s_cbranch_execz .LBB312_2099
; %bb.2096:                             ;   in Loop: Header=BB312_1574 Depth=1
	v_and_b32_e32 v10, 7, v0
	v_lshrrev_b32_e32 v11, 3, v35
	s_mov_b32 s21, exec_lo
	v_cmpx_gt_u32_e32 8, v35
; %bb.2097:                             ;   in Loop: Header=BB312_1574 Depth=1
	v_ffbh_u32_e32 v10, v10
	v_min_u32_e32 v35, 32, v10
	v_subrev_nc_u32_e32 v10, 28, v35
	v_lshlrev_b64 v[10:11], v10, v[0:1]
	v_sub_nc_u32_e32 v11, 29, v35
	v_and_b32_e32 v10, 7, v10
; %bb.2098:                             ;   in Loop: Header=BB312_1574 Depth=1
	s_or_b32 exec_lo, exec_lo, s21
	v_lshlrev_b32_e32 v0, 8, v0
	v_lshl_add_u32 v11, v11, 10, 0x2000
	v_lshlrev_b32_e32 v10, 23, v10
	v_and_or_b32 v0, 0x8000, v0, v11
	v_lshl_or_b32 v10, v0, 16, v10
.LBB312_2099:                           ;   in Loop: Header=BB312_1574 Depth=1
	s_or_b32 exec_lo, exec_lo, s20
.LBB312_2100:                           ;   in Loop: Header=BB312_1574 Depth=1
	s_or_b32 exec_lo, exec_lo, s18
.LBB312_2101:                           ;   in Loop: Header=BB312_1574 Depth=1
	s_or_b32 exec_lo, exec_lo, s17
	v_or_b32_e32 v0, v7, v12
	s_waitcnt vmcnt(0) lgkmcnt(0)
	v_fma_mixlo_f16 v7, v2, v7, 0 op_sel:[0,1,0] op_sel_hi:[0,1,0]
	v_or_b32_e32 v6, v5, v6
	v_or_b32_e32 v12, v23, v22
	;; [unrolled: 1-line block ×3, first 2 shown]
	v_fma_mixlo_f16 v5, v2, v5, 0 op_sel:[0,1,0] op_sel_hi:[0,1,0]
	v_fma_mixlo_f16 v22, v2, v0, 0 op_sel_hi:[0,1,0]
	v_lshlrev_b32_e32 v0, 16, v7
	v_fma_mixlo_f16 v6, v2, v6, 0 op_sel_hi:[0,1,0]
	v_fma_mixlo_f16 v7, v2, v23, 0 op_sel:[0,1,0] op_sel_hi:[0,1,0]
	v_fma_mixlo_f16 v12, v2, v12, 0 op_sel_hi:[0,1,0]
	v_fma_mixlo_f16 v10, v2, v10, 0 op_sel:[0,1,0] op_sel_hi:[0,1,0]
	v_fma_mixlo_f16 v13, v2, v13, 0 op_sel_hi:[0,1,0]
	v_lshlrev_b32_e32 v11, 16, v5
	v_and_b32_e32 v5, 0xffff, v22
	v_and_b32_e32 v35, 0xffff, v6
	v_lshlrev_b32_e32 v6, 16, v7
	v_and_b32_e32 v12, 0xffff, v12
	v_lshlrev_b32_e32 v2, 16, v10
	v_and_b32_e32 v7, 0xffff, v13
	v_or_b32_e32 v10, v0, v5
	v_or_b32_e32 v23, v11, v35
	;; [unrolled: 1-line block ×4, first 2 shown]
	s_and_saveexec_b32 s17, vcc_lo
	s_cbranch_execz .LBB312_2103
; %bb.2102:                             ;   in Loop: Header=BB312_1574 Depth=1
	v_cmp_lt_i32_e64 s4, v86, v36
	v_cndmask_b32_e64 v10, 0, v35, s4
	v_cmp_lt_i32_e64 s4, v115, v36
	v_cndmask_b32_e64 v11, 0, v11, s4
	v_cmp_lt_i32_e64 s4, v114, v36
	v_or_b32_e32 v23, v10, v11
	v_cndmask_b32_e64 v5, 0, v5, s4
	v_cmp_lt_i32_e64 s4, v113, v36
	v_cndmask_b32_e64 v0, 0, v0, s4
	v_cmp_lt_i32_e64 s4, v112, v36
	v_or_b32_e32 v10, v5, v0
	;; [unrolled: 5-line block ×3, first 2 shown]
	v_cndmask_b32_e64 v7, 0, v7, s4
	v_cmp_lt_i32_e64 s4, v101, v36
	v_cndmask_b32_e64 v2, 0, v2, s4
	v_or_b32_e32 v13, v7, v2
.LBB312_2103:                           ;   in Loop: Header=BB312_1574 Depth=1
	s_or_b32 exec_lo, exec_lo, s17
	;;#ASMSTART
	v_pk_mul_f16 v0, v100, v23;

	;;#ASMEND
	;;#ASMSTART
	v_pk_mul_f16 v2, v99, v10;

	;;#ASMEND
	v_add_co_u32 v10, s4, 0x800, v8
	v_add_co_ci_u32_e64 v11, null, 0, v9, s4
	;;#ASMSTART
	v_pk_mul_f16 v5, v98, v22;

	;;#ASMEND
	;;#ASMSTART
	v_pk_mul_f16 v6, v97, v13;

	;;#ASMEND
	;;#ASMSTART
	v_pk_add_f16 v0, v0, v2;

	;;#ASMEND
	;;#ASMSTART
	v_pk_add_f16 v0, v0, v5;
	;; [unrolled: 4-line block ×3, first 2 shown]

	;;#ASMEND
	v_lshrrev_b32_e32 v2, 16, v0
	v_and_b32_e32 v0, 0xffff, v0
	;;#ASMSTART
	v_cvt_f32_f16 v39, v0;
	;;#ASMEND
	;;#ASMSTART
	v_cvt_f32_f16 v57, v2;
	;;#ASMEND
	flat_load_dwordx2 v[12:13], v[10:11]
	flat_load_dword v2, v[26:27]
	v_mov_b32_e32 v5, 0
	v_mov_b32_e32 v6, 0
	s_waitcnt vmcnt(1) lgkmcnt(1)
	v_cmp_ne_u16_sdwa s4, v12, v1 src0_sel:BYTE_0 src1_sel:DWORD
	s_and_saveexec_b32 s17, s4
	s_cbranch_execz .LBB312_2111
; %bb.2104:                             ;   in Loop: Header=BB312_1574 Depth=1
	v_cmp_ne_u16_sdwa s4, v12, v17 src0_sel:BYTE_0 src1_sel:DWORD
	v_mov_b32_e32 v6, 0x8000
	s_and_saveexec_b32 s18, s4
	s_cbranch_execz .LBB312_2110
; %bb.2105:                             ;   in Loop: Header=BB312_1574 Depth=1
	v_and_b32_e32 v7, 0x7f, v12
	v_mov_b32_e32 v6, 0x7c01
	s_mov_b32 s20, exec_lo
	v_cmpx_ne_u32_e32 0x7f, v7
	s_cbranch_execz .LBB312_2109
; %bb.2106:                             ;   in Loop: Header=BB312_1574 Depth=1
	v_and_b32_e32 v0, 7, v12
	v_lshrrev_b32_e32 v6, 3, v7
	s_mov_b32 s21, exec_lo
	v_cmpx_gt_u32_e32 8, v7
; %bb.2107:                             ;   in Loop: Header=BB312_1574 Depth=1
	v_ffbh_u32_e32 v0, v0
	v_min_u32_e32 v0, 32, v0
	v_subrev_nc_u32_e32 v6, 28, v0
	v_lshlrev_b64 v[22:23], v6, v[12:13]
	v_sub_nc_u32_e32 v6, 29, v0
	v_and_b32_e32 v0, 7, v22
; %bb.2108:                             ;   in Loop: Header=BB312_1574 Depth=1
	s_or_b32 exec_lo, exec_lo, s21
	v_lshlrev_b32_e32 v7, 8, v12
	v_lshl_add_u32 v6, v6, 10, 0x2000
	v_lshlrev_b32_e32 v0, 7, v0
	v_and_b32_e32 v7, 0x8000, v7
	v_and_b32_e32 v6, 0xfc00, v6
	v_or3_b32 v6, v7, v6, v0
.LBB312_2109:                           ;   in Loop: Header=BB312_1574 Depth=1
	s_or_b32 exec_lo, exec_lo, s20
.LBB312_2110:                           ;   in Loop: Header=BB312_1574 Depth=1
	s_or_b32 exec_lo, exec_lo, s18
.LBB312_2111:                           ;   in Loop: Header=BB312_1574 Depth=1
	s_or_b32 exec_lo, exec_lo, s17
	v_lshrrev_b16 v0, 8, v12
	s_mov_b32 s17, exec_lo
	v_cmpx_ne_u16_e32 0, v0
	s_cbranch_execz .LBB312_2119
; %bb.2112:                             ;   in Loop: Header=BB312_1574 Depth=1
	v_bfrev_b32_e32 v5, 1
	s_mov_b32 s18, exec_lo
	v_cmpx_ne_u16_e32 0x80, v0
	s_cbranch_execz .LBB312_2118
; %bb.2113:                             ;   in Loop: Header=BB312_1574 Depth=1
	v_and_b32_sdwa v22, v0, v51 dst_sel:DWORD dst_unused:UNUSED_PAD src0_sel:WORD_0 src1_sel:DWORD
	v_mov_b32_e32 v5, 0x7c010000
	s_mov_b32 s20, exec_lo
	v_cmpx_ne_u32_e32 0x7f, v22
	s_cbranch_execz .LBB312_2117
; %bb.2114:                             ;   in Loop: Header=BB312_1574 Depth=1
	v_and_b32_sdwa v5, v0, v52 dst_sel:DWORD dst_unused:UNUSED_PAD src0_sel:WORD_0 src1_sel:DWORD
	v_lshrrev_b32_e32 v7, 3, v22
	s_mov_b32 s21, exec_lo
	v_cmpx_gt_u32_e32 8, v22
; %bb.2115:                             ;   in Loop: Header=BB312_1574 Depth=1
	v_ffbh_u32_e32 v5, v5
	v_min_u32_e32 v5, 32, v5
	v_subrev_nc_u32_e32 v7, 28, v5
	v_lshlrev_b64 v[22:23], v7, v[0:1]
	v_sub_nc_u32_e32 v7, 29, v5
	v_and_b32_e32 v5, 7, v22
; %bb.2116:                             ;   in Loop: Header=BB312_1574 Depth=1
	s_or_b32 exec_lo, exec_lo, s21
	v_lshlrev_b32_sdwa v0, v53, v0 dst_sel:DWORD dst_unused:UNUSED_PAD src0_sel:DWORD src1_sel:WORD_0
	v_lshl_add_u32 v7, v7, 10, 0x2000
	v_lshlrev_b32_e32 v5, 23, v5
	v_and_or_b32 v0, 0x8000, v0, v7
	v_lshl_or_b32 v5, v0, 16, v5
.LBB312_2117:                           ;   in Loop: Header=BB312_1574 Depth=1
	s_or_b32 exec_lo, exec_lo, s20
.LBB312_2118:                           ;   in Loop: Header=BB312_1574 Depth=1
	s_or_b32 exec_lo, exec_lo, s18
.LBB312_2119:                           ;   in Loop: Header=BB312_1574 Depth=1
	s_or_b32 exec_lo, exec_lo, s17
	v_lshrrev_b32_e32 v0, 16, v12
	v_mov_b32_e32 v7, 0
	v_mov_b32_e32 v22, 0
	v_cmp_ne_u16_sdwa s4, v0, v1 src0_sel:BYTE_0 src1_sel:DWORD
	s_and_saveexec_b32 s17, s4
	s_cbranch_execz .LBB312_2127
; %bb.2120:                             ;   in Loop: Header=BB312_1574 Depth=1
	v_cmp_ne_u16_sdwa s4, v0, v17 src0_sel:BYTE_0 src1_sel:DWORD
	v_mov_b32_e32 v22, 0x8000
	s_and_saveexec_b32 s18, s4
	s_cbranch_execz .LBB312_2126
; %bb.2121:                             ;   in Loop: Header=BB312_1574 Depth=1
	v_bfe_u32 v35, v12, 16, 7
	v_mov_b32_e32 v22, 0x7c01
	s_mov_b32 s20, exec_lo
	v_cmpx_ne_u32_e32 0x7f, v35
	s_cbranch_execz .LBB312_2125
; %bb.2122:                             ;   in Loop: Header=BB312_1574 Depth=1
	v_and_b32_e32 v22, 7, v0
	v_lshrrev_b32_e32 v23, 3, v35
	s_mov_b32 s21, exec_lo
	v_cmpx_gt_u32_e32 8, v35
; %bb.2123:                             ;   in Loop: Header=BB312_1574 Depth=1
	v_ffbh_u32_e32 v22, v22
	v_min_u32_e32 v35, 32, v22
	v_subrev_nc_u32_e32 v22, 28, v35
	v_lshlrev_b64 v[22:23], v22, v[0:1]
	v_sub_nc_u32_e32 v23, 29, v35
	v_and_b32_e32 v22, 7, v22
; %bb.2124:                             ;   in Loop: Header=BB312_1574 Depth=1
	s_or_b32 exec_lo, exec_lo, s21
	v_lshlrev_b32_e32 v0, 8, v0
	v_lshl_add_u32 v23, v23, 10, 0x2000
	v_lshlrev_b32_e32 v22, 7, v22
	v_and_b32_e32 v0, 0x8000, v0
	v_and_b32_e32 v23, 0xfc00, v23
	v_or3_b32 v22, v0, v23, v22
.LBB312_2125:                           ;   in Loop: Header=BB312_1574 Depth=1
	s_or_b32 exec_lo, exec_lo, s20
.LBB312_2126:                           ;   in Loop: Header=BB312_1574 Depth=1
	s_or_b32 exec_lo, exec_lo, s18
.LBB312_2127:                           ;   in Loop: Header=BB312_1574 Depth=1
	s_or_b32 exec_lo, exec_lo, s17
	s_mov_b32 s17, exec_lo
	v_cmpx_lt_u32_e32 0xffffff, v12
	s_cbranch_execz .LBB312_2135
; %bb.2128:                             ;   in Loop: Header=BB312_1574 Depth=1
	v_lshrrev_b32_e32 v0, 24, v12
	v_bfrev_b32_e32 v7, 1
	s_mov_b32 s18, exec_lo
	v_cmpx_ne_u32_e32 0x80, v0
	s_cbranch_execz .LBB312_2134
; %bb.2129:                             ;   in Loop: Header=BB312_1574 Depth=1
	v_and_b32_e32 v35, 0x7f, v0
	v_mov_b32_e32 v7, 0x7c010000
	s_mov_b32 s20, exec_lo
	v_cmpx_ne_u32_e32 0x7f, v35
	s_cbranch_execz .LBB312_2133
; %bb.2130:                             ;   in Loop: Header=BB312_1574 Depth=1
	v_and_b32_e32 v7, 7, v0
	v_lshrrev_b32_e32 v23, 3, v35
	s_mov_b32 s21, exec_lo
	v_cmpx_gt_u32_e32 8, v35
; %bb.2131:                             ;   in Loop: Header=BB312_1574 Depth=1
	v_ffbh_u32_e32 v7, v7
	v_min_u32_e32 v7, 32, v7
	v_subrev_nc_u32_e32 v23, 28, v7
	v_lshlrev_b64 v[37:38], v23, v[0:1]
	v_sub_nc_u32_e32 v23, 29, v7
	v_and_b32_e32 v7, 7, v37
; %bb.2132:                             ;   in Loop: Header=BB312_1574 Depth=1
	s_or_b32 exec_lo, exec_lo, s21
	v_lshlrev_b32_e32 v0, 8, v0
	v_lshl_add_u32 v23, v23, 10, 0x2000
	v_lshlrev_b32_e32 v7, 23, v7
	v_and_or_b32 v0, 0x8000, v0, v23
	v_lshl_or_b32 v7, v0, 16, v7
.LBB312_2133:                           ;   in Loop: Header=BB312_1574 Depth=1
	s_or_b32 exec_lo, exec_lo, s20
.LBB312_2134:                           ;   in Loop: Header=BB312_1574 Depth=1
	s_or_b32 exec_lo, exec_lo, s18
.LBB312_2135:                           ;   in Loop: Header=BB312_1574 Depth=1
	s_or_b32 exec_lo, exec_lo, s17
	v_mov_b32_e32 v0, v13
	v_cmp_ne_u16_sdwa s4, v13, v1 src0_sel:BYTE_0 src1_sel:DWORD
	v_mov_b32_e32 v23, 0
	v_mov_b32_e32 v35, 0
	s_and_saveexec_b32 s17, s4
	s_cbranch_execz .LBB312_2143
; %bb.2136:                             ;   in Loop: Header=BB312_1574 Depth=1
	v_cmp_ne_u16_sdwa s4, v13, v17 src0_sel:BYTE_0 src1_sel:DWORD
	v_mov_b32_e32 v35, 0x8000
	s_and_saveexec_b32 s18, s4
	s_cbranch_execz .LBB312_2142
; %bb.2137:                             ;   in Loop: Header=BB312_1574 Depth=1
	v_and_b32_e32 v38, 0x7f, v13
	v_mov_b32_e32 v35, 0x7c01
	s_mov_b32 s20, exec_lo
	v_cmpx_ne_u32_e32 0x7f, v38
	s_cbranch_execz .LBB312_2141
; %bb.2138:                             ;   in Loop: Header=BB312_1574 Depth=1
	v_and_b32_e32 v35, 7, v13
	v_lshrrev_b32_e32 v37, 3, v38
	s_mov_b32 s21, exec_lo
	v_cmpx_gt_u32_e32 8, v38
; %bb.2139:                             ;   in Loop: Header=BB312_1574 Depth=1
	v_ffbh_u32_e32 v35, v35
	v_min_u32_e32 v35, 32, v35
	v_subrev_nc_u32_e32 v37, 28, v35
	v_lshlrev_b64 v[48:49], v37, v[0:1]
	v_sub_nc_u32_e32 v37, 29, v35
	v_and_b32_e32 v35, 7, v48
; %bb.2140:                             ;   in Loop: Header=BB312_1574 Depth=1
	s_or_b32 exec_lo, exec_lo, s21
	v_lshlrev_b32_e32 v38, 8, v13
	v_lshl_add_u32 v37, v37, 10, 0x2000
	v_lshlrev_b32_e32 v35, 7, v35
	v_and_b32_e32 v38, 0x8000, v38
	v_and_b32_e32 v37, 0xfc00, v37
	v_or3_b32 v35, v38, v37, v35
.LBB312_2141:                           ;   in Loop: Header=BB312_1574 Depth=1
	s_or_b32 exec_lo, exec_lo, s20
.LBB312_2142:                           ;   in Loop: Header=BB312_1574 Depth=1
	s_or_b32 exec_lo, exec_lo, s18
.LBB312_2143:                           ;   in Loop: Header=BB312_1574 Depth=1
	s_or_b32 exec_lo, exec_lo, s17
	v_lshrrev_b16 v0, 8, v0
	v_mov_b32_e32 v37, 0
	s_mov_b32 s17, exec_lo
	v_cmpx_ne_u16_e32 0, v0
	s_cbranch_execz .LBB312_2151
; %bb.2144:                             ;   in Loop: Header=BB312_1574 Depth=1
	v_bfrev_b32_e32 v37, 1
	s_mov_b32 s18, exec_lo
	v_cmpx_ne_u16_e32 0x80, v0
	s_cbranch_execz .LBB312_2150
; %bb.2145:                             ;   in Loop: Header=BB312_1574 Depth=1
	v_and_b32_sdwa v48, v0, v51 dst_sel:DWORD dst_unused:UNUSED_PAD src0_sel:WORD_0 src1_sel:DWORD
	v_mov_b32_e32 v37, 0x7c010000
	s_mov_b32 s20, exec_lo
	v_cmpx_ne_u32_e32 0x7f, v48
	s_cbranch_execz .LBB312_2149
; %bb.2146:                             ;   in Loop: Header=BB312_1574 Depth=1
	v_and_b32_sdwa v37, v0, v52 dst_sel:DWORD dst_unused:UNUSED_PAD src0_sel:WORD_0 src1_sel:DWORD
	v_lshrrev_b32_e32 v38, 3, v48
	s_mov_b32 s21, exec_lo
	v_cmpx_gt_u32_e32 8, v48
; %bb.2147:                             ;   in Loop: Header=BB312_1574 Depth=1
	v_ffbh_u32_e32 v37, v37
	v_min_u32_e32 v48, 32, v37
	v_subrev_nc_u32_e32 v37, 28, v48
	v_lshlrev_b64 v[37:38], v37, v[0:1]
	v_sub_nc_u32_e32 v38, 29, v48
	v_and_b32_e32 v37, 7, v37
; %bb.2148:                             ;   in Loop: Header=BB312_1574 Depth=1
	s_or_b32 exec_lo, exec_lo, s21
	v_lshlrev_b32_sdwa v0, v53, v0 dst_sel:DWORD dst_unused:UNUSED_PAD src0_sel:DWORD src1_sel:WORD_0
	v_lshl_add_u32 v38, v38, 10, 0x2000
	v_lshlrev_b32_e32 v37, 23, v37
	v_and_or_b32 v0, 0x8000, v0, v38
	v_lshl_or_b32 v37, v0, 16, v37
.LBB312_2149:                           ;   in Loop: Header=BB312_1574 Depth=1
	s_or_b32 exec_lo, exec_lo, s20
.LBB312_2150:                           ;   in Loop: Header=BB312_1574 Depth=1
	s_or_b32 exec_lo, exec_lo, s18
.LBB312_2151:                           ;   in Loop: Header=BB312_1574 Depth=1
	s_or_b32 exec_lo, exec_lo, s17
	v_lshrrev_b32_e32 v0, 16, v13
	v_cmp_ne_u16_sdwa s4, v0, v1 src0_sel:BYTE_0 src1_sel:DWORD
	s_and_saveexec_b32 s17, s4
	s_cbranch_execz .LBB312_2159
; %bb.2152:                             ;   in Loop: Header=BB312_1574 Depth=1
	v_cmp_ne_u16_sdwa s4, v0, v17 src0_sel:BYTE_0 src1_sel:DWORD
	v_mov_b32_e32 v23, 0x8000
	s_and_saveexec_b32 s18, s4
	s_cbranch_execz .LBB312_2158
; %bb.2153:                             ;   in Loop: Header=BB312_1574 Depth=1
	v_bfe_u32 v48, v13, 16, 7
	v_mov_b32_e32 v23, 0x7c01
	s_mov_b32 s20, exec_lo
	v_cmpx_ne_u32_e32 0x7f, v48
	s_cbranch_execz .LBB312_2157
; %bb.2154:                             ;   in Loop: Header=BB312_1574 Depth=1
	v_and_b32_e32 v23, 7, v0
	v_lshrrev_b32_e32 v38, 3, v48
	s_mov_b32 s21, exec_lo
	v_cmpx_gt_u32_e32 8, v48
; %bb.2155:                             ;   in Loop: Header=BB312_1574 Depth=1
	v_ffbh_u32_e32 v23, v23
	v_min_u32_e32 v23, 32, v23
	v_subrev_nc_u32_e32 v38, 28, v23
	v_lshlrev_b64 v[48:49], v38, v[0:1]
	v_sub_nc_u32_e32 v38, 29, v23
	v_and_b32_e32 v23, 7, v48
; %bb.2156:                             ;   in Loop: Header=BB312_1574 Depth=1
	s_or_b32 exec_lo, exec_lo, s21
	v_lshlrev_b32_e32 v0, 8, v0
	v_lshl_add_u32 v38, v38, 10, 0x2000
	v_lshlrev_b32_e32 v23, 7, v23
	v_and_b32_e32 v0, 0x8000, v0
	v_and_b32_e32 v38, 0xfc00, v38
	v_or3_b32 v23, v0, v38, v23
.LBB312_2157:                           ;   in Loop: Header=BB312_1574 Depth=1
	s_or_b32 exec_lo, exec_lo, s20
.LBB312_2158:                           ;   in Loop: Header=BB312_1574 Depth=1
	s_or_b32 exec_lo, exec_lo, s18
.LBB312_2159:                           ;   in Loop: Header=BB312_1574 Depth=1
	s_or_b32 exec_lo, exec_lo, s17
	v_cmp_lt_u64_e64 s4, s[12:13], v[12:13]
	v_mov_b32_e32 v12, 0
	s_and_saveexec_b32 s17, s4
	s_cbranch_execz .LBB312_2167
; %bb.2160:                             ;   in Loop: Header=BB312_1574 Depth=1
	v_lshrrev_b32_e32 v0, 24, v13
	v_bfrev_b32_e32 v12, 1
	s_mov_b32 s18, exec_lo
	v_cmpx_ne_u32_e32 0x80, v0
	s_cbranch_execz .LBB312_2166
; %bb.2161:                             ;   in Loop: Header=BB312_1574 Depth=1
	v_and_b32_e32 v38, 0x7f, v0
	v_mov_b32_e32 v12, 0x7c010000
	s_mov_b32 s20, exec_lo
	v_cmpx_ne_u32_e32 0x7f, v38
	s_cbranch_execz .LBB312_2165
; %bb.2162:                             ;   in Loop: Header=BB312_1574 Depth=1
	v_and_b32_e32 v12, 7, v0
	v_lshrrev_b32_e32 v13, 3, v38
	s_mov_b32 s21, exec_lo
	v_cmpx_gt_u32_e32 8, v38
; %bb.2163:                             ;   in Loop: Header=BB312_1574 Depth=1
	v_ffbh_u32_e32 v12, v12
	v_min_u32_e32 v38, 32, v12
	v_subrev_nc_u32_e32 v12, 28, v38
	v_lshlrev_b64 v[12:13], v12, v[0:1]
	v_sub_nc_u32_e32 v13, 29, v38
	v_and_b32_e32 v12, 7, v12
; %bb.2164:                             ;   in Loop: Header=BB312_1574 Depth=1
	s_or_b32 exec_lo, exec_lo, s21
	v_lshlrev_b32_e32 v0, 8, v0
	v_lshl_add_u32 v13, v13, 10, 0x2000
	v_lshlrev_b32_e32 v12, 23, v12
	v_and_or_b32 v0, 0x8000, v0, v13
	v_lshl_or_b32 v12, v0, 16, v12
.LBB312_2165:                           ;   in Loop: Header=BB312_1574 Depth=1
	s_or_b32 exec_lo, exec_lo, s20
.LBB312_2166:                           ;   in Loop: Header=BB312_1574 Depth=1
	s_or_b32 exec_lo, exec_lo, s18
.LBB312_2167:                           ;   in Loop: Header=BB312_1574 Depth=1
	s_or_b32 exec_lo, exec_lo, s17
	v_or_b32_e32 v0, v7, v22
	s_waitcnt vmcnt(0) lgkmcnt(0)
	v_fma_mixlo_f16 v7, v2, v7, 0 op_sel:[0,1,0] op_sel_hi:[0,1,0]
	v_or_b32_e32 v6, v5, v6
	v_or_b32_e32 v22, v37, v35
	;; [unrolled: 1-line block ×3, first 2 shown]
	v_fma_mixlo_f16 v5, v2, v5, 0 op_sel:[0,1,0] op_sel_hi:[0,1,0]
	v_fma_mixlo_f16 v35, v2, v0, 0 op_sel_hi:[0,1,0]
	v_lshlrev_b32_e32 v0, 16, v7
	v_fma_mixlo_f16 v6, v2, v6, 0 op_sel_hi:[0,1,0]
	v_fma_mixlo_f16 v7, v2, v37, 0 op_sel:[0,1,0] op_sel_hi:[0,1,0]
	v_fma_mixlo_f16 v22, v2, v22, 0 op_sel_hi:[0,1,0]
	v_fma_mixlo_f16 v12, v2, v12, 0 op_sel:[0,1,0] op_sel_hi:[0,1,0]
	v_fma_mixlo_f16 v23, v2, v23, 0 op_sel_hi:[0,1,0]
	v_lshlrev_b32_e32 v13, 16, v5
	v_and_b32_e32 v5, 0xffff, v35
	v_and_b32_e32 v38, 0xffff, v6
	v_lshlrev_b32_e32 v6, 16, v7
	v_and_b32_e32 v22, 0xffff, v22
	v_lshlrev_b32_e32 v2, 16, v12
	v_and_b32_e32 v7, 0xffff, v23
	v_or_b32_e32 v12, v0, v5
	v_or_b32_e32 v37, v13, v38
	;; [unrolled: 1-line block ×4, first 2 shown]
	s_and_saveexec_b32 s17, vcc_lo
	s_cbranch_execz .LBB312_2169
; %bb.2168:                             ;   in Loop: Header=BB312_1574 Depth=1
	v_cmp_lt_i32_e64 s4, v86, v36
	v_cndmask_b32_e64 v12, 0, v38, s4
	v_cmp_lt_i32_e64 s4, v115, v36
	v_cndmask_b32_e64 v13, 0, v13, s4
	v_cmp_lt_i32_e64 s4, v114, v36
	v_or_b32_e32 v37, v12, v13
	v_cndmask_b32_e64 v5, 0, v5, s4
	v_cmp_lt_i32_e64 s4, v113, v36
	v_cndmask_b32_e64 v0, 0, v0, s4
	v_cmp_lt_i32_e64 s4, v112, v36
	v_or_b32_e32 v12, v5, v0
	;; [unrolled: 5-line block ×3, first 2 shown]
	v_cndmask_b32_e64 v7, 0, v7, s4
	v_cmp_lt_i32_e64 s4, v101, v36
	v_cndmask_b32_e64 v2, 0, v2, s4
	v_or_b32_e32 v23, v7, v2
.LBB312_2169:                           ;   in Loop: Header=BB312_1574 Depth=1
	s_or_b32 exec_lo, exec_lo, s17
	;;#ASMSTART
	v_pk_mul_f16 v0, v100, v37;

	;;#ASMEND
	;;#ASMSTART
	v_pk_mul_f16 v2, v99, v12;

	;;#ASMEND
	;; [unrolled: 4-line block ×4, first 2 shown]
	;;#ASMSTART
	v_pk_add_f16 v0, v0, v2;

	;;#ASMEND
	;;#ASMSTART
	v_pk_add_f16 v0, v0, v5;

	;;#ASMEND
	;; [unrolled: 4-line block ×3, first 2 shown]
	v_and_b32_e32 v2, 0xffff, v0
	v_lshrrev_b32_e32 v0, 16, v0
	;;#ASMSTART
	v_cvt_f32_f16 v56, v2;
	;;#ASMEND
	;;#ASMSTART
	v_cvt_f32_f16 v58, v0;
	;;#ASMEND
	flat_load_dwordx2 v[12:13], v[10:11] offset:256
	flat_load_dword v2, v[26:27]
	v_mov_b32_e32 v5, 0
	v_mov_b32_e32 v6, 0
	s_waitcnt vmcnt(1) lgkmcnt(1)
	v_cmp_ne_u16_sdwa s4, v12, v1 src0_sel:BYTE_0 src1_sel:DWORD
	s_and_saveexec_b32 s17, s4
	s_cbranch_execz .LBB312_2177
; %bb.2170:                             ;   in Loop: Header=BB312_1574 Depth=1
	v_cmp_ne_u16_sdwa s4, v12, v17 src0_sel:BYTE_0 src1_sel:DWORD
	v_mov_b32_e32 v6, 0x8000
	s_and_saveexec_b32 s18, s4
	s_cbranch_execz .LBB312_2176
; %bb.2171:                             ;   in Loop: Header=BB312_1574 Depth=1
	v_and_b32_e32 v7, 0x7f, v12
	v_mov_b32_e32 v6, 0x7c01
	s_mov_b32 s20, exec_lo
	v_cmpx_ne_u32_e32 0x7f, v7
	s_cbranch_execz .LBB312_2175
; %bb.2172:                             ;   in Loop: Header=BB312_1574 Depth=1
	v_and_b32_e32 v0, 7, v12
	v_lshrrev_b32_e32 v6, 3, v7
	s_mov_b32 s21, exec_lo
	v_cmpx_gt_u32_e32 8, v7
; %bb.2173:                             ;   in Loop: Header=BB312_1574 Depth=1
	v_ffbh_u32_e32 v0, v0
	v_min_u32_e32 v0, 32, v0
	v_subrev_nc_u32_e32 v6, 28, v0
	v_lshlrev_b64 v[22:23], v6, v[12:13]
	v_sub_nc_u32_e32 v6, 29, v0
	v_and_b32_e32 v0, 7, v22
; %bb.2174:                             ;   in Loop: Header=BB312_1574 Depth=1
	s_or_b32 exec_lo, exec_lo, s21
	v_lshlrev_b32_e32 v7, 8, v12
	v_lshl_add_u32 v6, v6, 10, 0x2000
	v_lshlrev_b32_e32 v0, 7, v0
	v_and_b32_e32 v7, 0x8000, v7
	v_and_b32_e32 v6, 0xfc00, v6
	v_or3_b32 v6, v7, v6, v0
.LBB312_2175:                           ;   in Loop: Header=BB312_1574 Depth=1
	s_or_b32 exec_lo, exec_lo, s20
.LBB312_2176:                           ;   in Loop: Header=BB312_1574 Depth=1
	s_or_b32 exec_lo, exec_lo, s18
.LBB312_2177:                           ;   in Loop: Header=BB312_1574 Depth=1
	s_or_b32 exec_lo, exec_lo, s17
	v_lshrrev_b16 v0, 8, v12
	s_mov_b32 s17, exec_lo
	v_cmpx_ne_u16_e32 0, v0
	s_cbranch_execz .LBB312_2185
; %bb.2178:                             ;   in Loop: Header=BB312_1574 Depth=1
	v_bfrev_b32_e32 v5, 1
	s_mov_b32 s18, exec_lo
	v_cmpx_ne_u16_e32 0x80, v0
	s_cbranch_execz .LBB312_2184
; %bb.2179:                             ;   in Loop: Header=BB312_1574 Depth=1
	v_and_b32_sdwa v22, v0, v51 dst_sel:DWORD dst_unused:UNUSED_PAD src0_sel:WORD_0 src1_sel:DWORD
	v_mov_b32_e32 v5, 0x7c010000
	s_mov_b32 s20, exec_lo
	v_cmpx_ne_u32_e32 0x7f, v22
	s_cbranch_execz .LBB312_2183
; %bb.2180:                             ;   in Loop: Header=BB312_1574 Depth=1
	v_and_b32_sdwa v5, v0, v52 dst_sel:DWORD dst_unused:UNUSED_PAD src0_sel:WORD_0 src1_sel:DWORD
	v_lshrrev_b32_e32 v7, 3, v22
	s_mov_b32 s21, exec_lo
	v_cmpx_gt_u32_e32 8, v22
; %bb.2181:                             ;   in Loop: Header=BB312_1574 Depth=1
	v_ffbh_u32_e32 v5, v5
	v_min_u32_e32 v5, 32, v5
	v_subrev_nc_u32_e32 v7, 28, v5
	v_lshlrev_b64 v[22:23], v7, v[0:1]
	v_sub_nc_u32_e32 v7, 29, v5
	v_and_b32_e32 v5, 7, v22
; %bb.2182:                             ;   in Loop: Header=BB312_1574 Depth=1
	s_or_b32 exec_lo, exec_lo, s21
	v_lshlrev_b32_sdwa v0, v53, v0 dst_sel:DWORD dst_unused:UNUSED_PAD src0_sel:DWORD src1_sel:WORD_0
	v_lshl_add_u32 v7, v7, 10, 0x2000
	v_lshlrev_b32_e32 v5, 23, v5
	v_and_or_b32 v0, 0x8000, v0, v7
	v_lshl_or_b32 v5, v0, 16, v5
.LBB312_2183:                           ;   in Loop: Header=BB312_1574 Depth=1
	s_or_b32 exec_lo, exec_lo, s20
.LBB312_2184:                           ;   in Loop: Header=BB312_1574 Depth=1
	s_or_b32 exec_lo, exec_lo, s18
.LBB312_2185:                           ;   in Loop: Header=BB312_1574 Depth=1
	s_or_b32 exec_lo, exec_lo, s17
	v_lshrrev_b32_e32 v0, 16, v12
	v_mov_b32_e32 v7, 0
	v_mov_b32_e32 v22, 0
	v_cmp_ne_u16_sdwa s4, v0, v1 src0_sel:BYTE_0 src1_sel:DWORD
	s_and_saveexec_b32 s17, s4
	s_cbranch_execz .LBB312_2193
; %bb.2186:                             ;   in Loop: Header=BB312_1574 Depth=1
	v_cmp_ne_u16_sdwa s4, v0, v17 src0_sel:BYTE_0 src1_sel:DWORD
	v_mov_b32_e32 v22, 0x8000
	s_and_saveexec_b32 s18, s4
	s_cbranch_execz .LBB312_2192
; %bb.2187:                             ;   in Loop: Header=BB312_1574 Depth=1
	v_bfe_u32 v35, v12, 16, 7
	v_mov_b32_e32 v22, 0x7c01
	s_mov_b32 s20, exec_lo
	v_cmpx_ne_u32_e32 0x7f, v35
	s_cbranch_execz .LBB312_2191
; %bb.2188:                             ;   in Loop: Header=BB312_1574 Depth=1
	v_and_b32_e32 v22, 7, v0
	v_lshrrev_b32_e32 v23, 3, v35
	s_mov_b32 s21, exec_lo
	v_cmpx_gt_u32_e32 8, v35
; %bb.2189:                             ;   in Loop: Header=BB312_1574 Depth=1
	v_ffbh_u32_e32 v22, v22
	v_min_u32_e32 v35, 32, v22
	v_subrev_nc_u32_e32 v22, 28, v35
	v_lshlrev_b64 v[22:23], v22, v[0:1]
	v_sub_nc_u32_e32 v23, 29, v35
	v_and_b32_e32 v22, 7, v22
; %bb.2190:                             ;   in Loop: Header=BB312_1574 Depth=1
	s_or_b32 exec_lo, exec_lo, s21
	v_lshlrev_b32_e32 v0, 8, v0
	v_lshl_add_u32 v23, v23, 10, 0x2000
	v_lshlrev_b32_e32 v22, 7, v22
	v_and_b32_e32 v0, 0x8000, v0
	v_and_b32_e32 v23, 0xfc00, v23
	v_or3_b32 v22, v0, v23, v22
.LBB312_2191:                           ;   in Loop: Header=BB312_1574 Depth=1
	s_or_b32 exec_lo, exec_lo, s20
.LBB312_2192:                           ;   in Loop: Header=BB312_1574 Depth=1
	s_or_b32 exec_lo, exec_lo, s18
.LBB312_2193:                           ;   in Loop: Header=BB312_1574 Depth=1
	s_or_b32 exec_lo, exec_lo, s17
	s_mov_b32 s17, exec_lo
	v_cmpx_lt_u32_e32 0xffffff, v12
	s_cbranch_execz .LBB312_2201
; %bb.2194:                             ;   in Loop: Header=BB312_1574 Depth=1
	v_lshrrev_b32_e32 v0, 24, v12
	v_bfrev_b32_e32 v7, 1
	s_mov_b32 s18, exec_lo
	v_cmpx_ne_u32_e32 0x80, v0
	s_cbranch_execz .LBB312_2200
; %bb.2195:                             ;   in Loop: Header=BB312_1574 Depth=1
	v_and_b32_e32 v35, 0x7f, v0
	v_mov_b32_e32 v7, 0x7c010000
	s_mov_b32 s20, exec_lo
	v_cmpx_ne_u32_e32 0x7f, v35
	s_cbranch_execz .LBB312_2199
; %bb.2196:                             ;   in Loop: Header=BB312_1574 Depth=1
	v_and_b32_e32 v7, 7, v0
	v_lshrrev_b32_e32 v23, 3, v35
	s_mov_b32 s21, exec_lo
	v_cmpx_gt_u32_e32 8, v35
; %bb.2197:                             ;   in Loop: Header=BB312_1574 Depth=1
	v_ffbh_u32_e32 v7, v7
	v_min_u32_e32 v7, 32, v7
	v_subrev_nc_u32_e32 v23, 28, v7
	v_lshlrev_b64 v[37:38], v23, v[0:1]
	v_sub_nc_u32_e32 v23, 29, v7
	v_and_b32_e32 v7, 7, v37
; %bb.2198:                             ;   in Loop: Header=BB312_1574 Depth=1
	s_or_b32 exec_lo, exec_lo, s21
	v_lshlrev_b32_e32 v0, 8, v0
	v_lshl_add_u32 v23, v23, 10, 0x2000
	v_lshlrev_b32_e32 v7, 23, v7
	v_and_or_b32 v0, 0x8000, v0, v23
	v_lshl_or_b32 v7, v0, 16, v7
.LBB312_2199:                           ;   in Loop: Header=BB312_1574 Depth=1
	s_or_b32 exec_lo, exec_lo, s20
.LBB312_2200:                           ;   in Loop: Header=BB312_1574 Depth=1
	s_or_b32 exec_lo, exec_lo, s18
.LBB312_2201:                           ;   in Loop: Header=BB312_1574 Depth=1
	s_or_b32 exec_lo, exec_lo, s17
	v_mov_b32_e32 v0, v13
	v_cmp_ne_u16_sdwa s4, v13, v1 src0_sel:BYTE_0 src1_sel:DWORD
	v_mov_b32_e32 v23, 0
	v_mov_b32_e32 v35, 0
	s_and_saveexec_b32 s17, s4
	s_cbranch_execz .LBB312_2209
; %bb.2202:                             ;   in Loop: Header=BB312_1574 Depth=1
	v_cmp_ne_u16_sdwa s4, v13, v17 src0_sel:BYTE_0 src1_sel:DWORD
	v_mov_b32_e32 v35, 0x8000
	s_and_saveexec_b32 s18, s4
	s_cbranch_execz .LBB312_2208
; %bb.2203:                             ;   in Loop: Header=BB312_1574 Depth=1
	v_and_b32_e32 v38, 0x7f, v13
	v_mov_b32_e32 v35, 0x7c01
	s_mov_b32 s20, exec_lo
	v_cmpx_ne_u32_e32 0x7f, v38
	s_cbranch_execz .LBB312_2207
; %bb.2204:                             ;   in Loop: Header=BB312_1574 Depth=1
	v_and_b32_e32 v35, 7, v13
	v_lshrrev_b32_e32 v37, 3, v38
	s_mov_b32 s21, exec_lo
	v_cmpx_gt_u32_e32 8, v38
; %bb.2205:                             ;   in Loop: Header=BB312_1574 Depth=1
	v_ffbh_u32_e32 v35, v35
	v_min_u32_e32 v35, 32, v35
	v_subrev_nc_u32_e32 v37, 28, v35
	v_lshlrev_b64 v[48:49], v37, v[0:1]
	v_sub_nc_u32_e32 v37, 29, v35
	v_and_b32_e32 v35, 7, v48
; %bb.2206:                             ;   in Loop: Header=BB312_1574 Depth=1
	s_or_b32 exec_lo, exec_lo, s21
	v_lshlrev_b32_e32 v38, 8, v13
	v_lshl_add_u32 v37, v37, 10, 0x2000
	v_lshlrev_b32_e32 v35, 7, v35
	v_and_b32_e32 v38, 0x8000, v38
	v_and_b32_e32 v37, 0xfc00, v37
	v_or3_b32 v35, v38, v37, v35
.LBB312_2207:                           ;   in Loop: Header=BB312_1574 Depth=1
	s_or_b32 exec_lo, exec_lo, s20
.LBB312_2208:                           ;   in Loop: Header=BB312_1574 Depth=1
	s_or_b32 exec_lo, exec_lo, s18
.LBB312_2209:                           ;   in Loop: Header=BB312_1574 Depth=1
	s_or_b32 exec_lo, exec_lo, s17
	v_lshrrev_b16 v0, 8, v0
	v_mov_b32_e32 v37, 0
	s_mov_b32 s17, exec_lo
	v_cmpx_ne_u16_e32 0, v0
	s_cbranch_execz .LBB312_2217
; %bb.2210:                             ;   in Loop: Header=BB312_1574 Depth=1
	v_bfrev_b32_e32 v37, 1
	s_mov_b32 s18, exec_lo
	v_cmpx_ne_u16_e32 0x80, v0
	s_cbranch_execz .LBB312_2216
; %bb.2211:                             ;   in Loop: Header=BB312_1574 Depth=1
	v_and_b32_sdwa v48, v0, v51 dst_sel:DWORD dst_unused:UNUSED_PAD src0_sel:WORD_0 src1_sel:DWORD
	v_mov_b32_e32 v37, 0x7c010000
	s_mov_b32 s20, exec_lo
	v_cmpx_ne_u32_e32 0x7f, v48
	s_cbranch_execz .LBB312_2215
; %bb.2212:                             ;   in Loop: Header=BB312_1574 Depth=1
	v_and_b32_sdwa v37, v0, v52 dst_sel:DWORD dst_unused:UNUSED_PAD src0_sel:WORD_0 src1_sel:DWORD
	v_lshrrev_b32_e32 v38, 3, v48
	s_mov_b32 s21, exec_lo
	v_cmpx_gt_u32_e32 8, v48
; %bb.2213:                             ;   in Loop: Header=BB312_1574 Depth=1
	v_ffbh_u32_e32 v37, v37
	v_min_u32_e32 v48, 32, v37
	v_subrev_nc_u32_e32 v37, 28, v48
	v_lshlrev_b64 v[37:38], v37, v[0:1]
	v_sub_nc_u32_e32 v38, 29, v48
	v_and_b32_e32 v37, 7, v37
; %bb.2214:                             ;   in Loop: Header=BB312_1574 Depth=1
	s_or_b32 exec_lo, exec_lo, s21
	v_lshlrev_b32_sdwa v0, v53, v0 dst_sel:DWORD dst_unused:UNUSED_PAD src0_sel:DWORD src1_sel:WORD_0
	v_lshl_add_u32 v38, v38, 10, 0x2000
	v_lshlrev_b32_e32 v37, 23, v37
	v_and_or_b32 v0, 0x8000, v0, v38
	v_lshl_or_b32 v37, v0, 16, v37
.LBB312_2215:                           ;   in Loop: Header=BB312_1574 Depth=1
	s_or_b32 exec_lo, exec_lo, s20
.LBB312_2216:                           ;   in Loop: Header=BB312_1574 Depth=1
	s_or_b32 exec_lo, exec_lo, s18
.LBB312_2217:                           ;   in Loop: Header=BB312_1574 Depth=1
	s_or_b32 exec_lo, exec_lo, s17
	v_lshrrev_b32_e32 v0, 16, v13
	v_cmp_ne_u16_sdwa s4, v0, v1 src0_sel:BYTE_0 src1_sel:DWORD
	s_and_saveexec_b32 s17, s4
	s_cbranch_execz .LBB312_2225
; %bb.2218:                             ;   in Loop: Header=BB312_1574 Depth=1
	v_cmp_ne_u16_sdwa s4, v0, v17 src0_sel:BYTE_0 src1_sel:DWORD
	v_mov_b32_e32 v23, 0x8000
	s_and_saveexec_b32 s18, s4
	s_cbranch_execz .LBB312_2224
; %bb.2219:                             ;   in Loop: Header=BB312_1574 Depth=1
	v_bfe_u32 v48, v13, 16, 7
	v_mov_b32_e32 v23, 0x7c01
	s_mov_b32 s20, exec_lo
	v_cmpx_ne_u32_e32 0x7f, v48
	s_cbranch_execz .LBB312_2223
; %bb.2220:                             ;   in Loop: Header=BB312_1574 Depth=1
	v_and_b32_e32 v23, 7, v0
	v_lshrrev_b32_e32 v38, 3, v48
	s_mov_b32 s21, exec_lo
	v_cmpx_gt_u32_e32 8, v48
; %bb.2221:                             ;   in Loop: Header=BB312_1574 Depth=1
	v_ffbh_u32_e32 v23, v23
	v_min_u32_e32 v23, 32, v23
	v_subrev_nc_u32_e32 v38, 28, v23
	v_lshlrev_b64 v[48:49], v38, v[0:1]
	v_sub_nc_u32_e32 v38, 29, v23
	v_and_b32_e32 v23, 7, v48
; %bb.2222:                             ;   in Loop: Header=BB312_1574 Depth=1
	s_or_b32 exec_lo, exec_lo, s21
	v_lshlrev_b32_e32 v0, 8, v0
	v_lshl_add_u32 v38, v38, 10, 0x2000
	v_lshlrev_b32_e32 v23, 7, v23
	v_and_b32_e32 v0, 0x8000, v0
	v_and_b32_e32 v38, 0xfc00, v38
	v_or3_b32 v23, v0, v38, v23
.LBB312_2223:                           ;   in Loop: Header=BB312_1574 Depth=1
	s_or_b32 exec_lo, exec_lo, s20
.LBB312_2224:                           ;   in Loop: Header=BB312_1574 Depth=1
	s_or_b32 exec_lo, exec_lo, s18
.LBB312_2225:                           ;   in Loop: Header=BB312_1574 Depth=1
	s_or_b32 exec_lo, exec_lo, s17
	v_cmp_lt_u64_e64 s4, s[12:13], v[12:13]
	v_mov_b32_e32 v12, 0
	s_and_saveexec_b32 s17, s4
	s_cbranch_execz .LBB312_2233
; %bb.2226:                             ;   in Loop: Header=BB312_1574 Depth=1
	v_lshrrev_b32_e32 v0, 24, v13
	v_bfrev_b32_e32 v12, 1
	s_mov_b32 s18, exec_lo
	v_cmpx_ne_u32_e32 0x80, v0
	s_cbranch_execz .LBB312_2232
; %bb.2227:                             ;   in Loop: Header=BB312_1574 Depth=1
	v_and_b32_e32 v38, 0x7f, v0
	v_mov_b32_e32 v12, 0x7c010000
	s_mov_b32 s20, exec_lo
	v_cmpx_ne_u32_e32 0x7f, v38
	s_cbranch_execz .LBB312_2231
; %bb.2228:                             ;   in Loop: Header=BB312_1574 Depth=1
	v_and_b32_e32 v12, 7, v0
	v_lshrrev_b32_e32 v13, 3, v38
	s_mov_b32 s21, exec_lo
	v_cmpx_gt_u32_e32 8, v38
; %bb.2229:                             ;   in Loop: Header=BB312_1574 Depth=1
	v_ffbh_u32_e32 v12, v12
	v_min_u32_e32 v38, 32, v12
	v_subrev_nc_u32_e32 v12, 28, v38
	v_lshlrev_b64 v[12:13], v12, v[0:1]
	v_sub_nc_u32_e32 v13, 29, v38
	v_and_b32_e32 v12, 7, v12
; %bb.2230:                             ;   in Loop: Header=BB312_1574 Depth=1
	s_or_b32 exec_lo, exec_lo, s21
	v_lshlrev_b32_e32 v0, 8, v0
	v_lshl_add_u32 v13, v13, 10, 0x2000
	v_lshlrev_b32_e32 v12, 23, v12
	v_and_or_b32 v0, 0x8000, v0, v13
	v_lshl_or_b32 v12, v0, 16, v12
.LBB312_2231:                           ;   in Loop: Header=BB312_1574 Depth=1
	s_or_b32 exec_lo, exec_lo, s20
.LBB312_2232:                           ;   in Loop: Header=BB312_1574 Depth=1
	s_or_b32 exec_lo, exec_lo, s18
.LBB312_2233:                           ;   in Loop: Header=BB312_1574 Depth=1
	s_or_b32 exec_lo, exec_lo, s17
	v_or_b32_e32 v0, v7, v22
	s_waitcnt vmcnt(0) lgkmcnt(0)
	v_fma_mixlo_f16 v7, v2, v7, 0 op_sel:[0,1,0] op_sel_hi:[0,1,0]
	v_or_b32_e32 v6, v5, v6
	v_or_b32_e32 v22, v37, v35
	;; [unrolled: 1-line block ×3, first 2 shown]
	v_fma_mixlo_f16 v5, v2, v5, 0 op_sel:[0,1,0] op_sel_hi:[0,1,0]
	v_fma_mixlo_f16 v35, v2, v0, 0 op_sel_hi:[0,1,0]
	v_lshlrev_b32_e32 v0, 16, v7
	v_fma_mixlo_f16 v6, v2, v6, 0 op_sel_hi:[0,1,0]
	v_fma_mixlo_f16 v7, v2, v37, 0 op_sel:[0,1,0] op_sel_hi:[0,1,0]
	v_fma_mixlo_f16 v22, v2, v22, 0 op_sel_hi:[0,1,0]
	v_fma_mixlo_f16 v12, v2, v12, 0 op_sel:[0,1,0] op_sel_hi:[0,1,0]
	v_fma_mixlo_f16 v23, v2, v23, 0 op_sel_hi:[0,1,0]
	v_lshlrev_b32_e32 v13, 16, v5
	v_and_b32_e32 v5, 0xffff, v35
	v_and_b32_e32 v38, 0xffff, v6
	v_lshlrev_b32_e32 v6, 16, v7
	v_and_b32_e32 v22, 0xffff, v22
	v_lshlrev_b32_e32 v2, 16, v12
	v_and_b32_e32 v7, 0xffff, v23
	v_or_b32_e32 v12, v0, v5
	v_or_b32_e32 v37, v13, v38
	;; [unrolled: 1-line block ×4, first 2 shown]
	s_and_saveexec_b32 s17, vcc_lo
	s_cbranch_execz .LBB312_2235
; %bb.2234:                             ;   in Loop: Header=BB312_1574 Depth=1
	v_cmp_lt_i32_e64 s4, v86, v36
	v_cndmask_b32_e64 v12, 0, v38, s4
	v_cmp_lt_i32_e64 s4, v115, v36
	v_cndmask_b32_e64 v13, 0, v13, s4
	v_cmp_lt_i32_e64 s4, v114, v36
	v_or_b32_e32 v37, v12, v13
	v_cndmask_b32_e64 v5, 0, v5, s4
	v_cmp_lt_i32_e64 s4, v113, v36
	v_cndmask_b32_e64 v0, 0, v0, s4
	v_cmp_lt_i32_e64 s4, v112, v36
	v_or_b32_e32 v12, v5, v0
	;; [unrolled: 5-line block ×3, first 2 shown]
	v_cndmask_b32_e64 v7, 0, v7, s4
	v_cmp_lt_i32_e64 s4, v101, v36
	v_cndmask_b32_e64 v2, 0, v2, s4
	v_or_b32_e32 v23, v7, v2
.LBB312_2235:                           ;   in Loop: Header=BB312_1574 Depth=1
	s_or_b32 exec_lo, exec_lo, s17
	;;#ASMSTART
	v_pk_mul_f16 v0, v100, v37;

	;;#ASMEND
	;;#ASMSTART
	v_pk_mul_f16 v2, v99, v12;

	;;#ASMEND
	;;#ASMSTART
	v_pk_mul_f16 v5, v98, v35;

	;;#ASMEND
	;;#ASMSTART
	v_pk_mul_f16 v6, v97, v23;

	;;#ASMEND
	;;#ASMSTART
	v_pk_add_f16 v0, v0, v2;

	;;#ASMEND
	;;#ASMSTART
	v_pk_add_f16 v0, v0, v5;

	;;#ASMEND
	;; [unrolled: 4-line block ×3, first 2 shown]
	v_and_b32_e32 v2, 0xffff, v0
	v_lshrrev_b32_e32 v0, 16, v0
	;;#ASMSTART
	v_cvt_f32_f16 v60, v2;
	;;#ASMEND
	;;#ASMSTART
	v_cvt_f32_f16 v59, v0;
	;;#ASMEND
	flat_load_dwordx2 v[12:13], v[10:11] offset:512
	flat_load_dword v2, v[26:27]
	v_mov_b32_e32 v5, 0
	v_mov_b32_e32 v6, 0
	s_waitcnt vmcnt(1) lgkmcnt(1)
	v_cmp_ne_u16_sdwa s4, v12, v1 src0_sel:BYTE_0 src1_sel:DWORD
	s_and_saveexec_b32 s17, s4
	s_cbranch_execz .LBB312_2243
; %bb.2236:                             ;   in Loop: Header=BB312_1574 Depth=1
	v_cmp_ne_u16_sdwa s4, v12, v17 src0_sel:BYTE_0 src1_sel:DWORD
	v_mov_b32_e32 v6, 0x8000
	s_and_saveexec_b32 s18, s4
	s_cbranch_execz .LBB312_2242
; %bb.2237:                             ;   in Loop: Header=BB312_1574 Depth=1
	v_and_b32_e32 v7, 0x7f, v12
	v_mov_b32_e32 v6, 0x7c01
	s_mov_b32 s20, exec_lo
	v_cmpx_ne_u32_e32 0x7f, v7
	s_cbranch_execz .LBB312_2241
; %bb.2238:                             ;   in Loop: Header=BB312_1574 Depth=1
	v_and_b32_e32 v0, 7, v12
	v_lshrrev_b32_e32 v6, 3, v7
	s_mov_b32 s21, exec_lo
	v_cmpx_gt_u32_e32 8, v7
; %bb.2239:                             ;   in Loop: Header=BB312_1574 Depth=1
	v_ffbh_u32_e32 v0, v0
	v_min_u32_e32 v0, 32, v0
	v_subrev_nc_u32_e32 v6, 28, v0
	v_lshlrev_b64 v[22:23], v6, v[12:13]
	v_sub_nc_u32_e32 v6, 29, v0
	v_and_b32_e32 v0, 7, v22
; %bb.2240:                             ;   in Loop: Header=BB312_1574 Depth=1
	s_or_b32 exec_lo, exec_lo, s21
	v_lshlrev_b32_e32 v7, 8, v12
	v_lshl_add_u32 v6, v6, 10, 0x2000
	v_lshlrev_b32_e32 v0, 7, v0
	v_and_b32_e32 v7, 0x8000, v7
	v_and_b32_e32 v6, 0xfc00, v6
	v_or3_b32 v6, v7, v6, v0
.LBB312_2241:                           ;   in Loop: Header=BB312_1574 Depth=1
	s_or_b32 exec_lo, exec_lo, s20
.LBB312_2242:                           ;   in Loop: Header=BB312_1574 Depth=1
	s_or_b32 exec_lo, exec_lo, s18
.LBB312_2243:                           ;   in Loop: Header=BB312_1574 Depth=1
	s_or_b32 exec_lo, exec_lo, s17
	v_lshrrev_b16 v0, 8, v12
	s_mov_b32 s17, exec_lo
	v_cmpx_ne_u16_e32 0, v0
	s_cbranch_execz .LBB312_2251
; %bb.2244:                             ;   in Loop: Header=BB312_1574 Depth=1
	v_bfrev_b32_e32 v5, 1
	s_mov_b32 s18, exec_lo
	v_cmpx_ne_u16_e32 0x80, v0
	s_cbranch_execz .LBB312_2250
; %bb.2245:                             ;   in Loop: Header=BB312_1574 Depth=1
	v_and_b32_sdwa v22, v0, v51 dst_sel:DWORD dst_unused:UNUSED_PAD src0_sel:WORD_0 src1_sel:DWORD
	v_mov_b32_e32 v5, 0x7c010000
	s_mov_b32 s20, exec_lo
	v_cmpx_ne_u32_e32 0x7f, v22
	s_cbranch_execz .LBB312_2249
; %bb.2246:                             ;   in Loop: Header=BB312_1574 Depth=1
	v_and_b32_sdwa v5, v0, v52 dst_sel:DWORD dst_unused:UNUSED_PAD src0_sel:WORD_0 src1_sel:DWORD
	v_lshrrev_b32_e32 v7, 3, v22
	s_mov_b32 s21, exec_lo
	v_cmpx_gt_u32_e32 8, v22
; %bb.2247:                             ;   in Loop: Header=BB312_1574 Depth=1
	v_ffbh_u32_e32 v5, v5
	v_min_u32_e32 v5, 32, v5
	v_subrev_nc_u32_e32 v7, 28, v5
	v_lshlrev_b64 v[22:23], v7, v[0:1]
	v_sub_nc_u32_e32 v7, 29, v5
	v_and_b32_e32 v5, 7, v22
; %bb.2248:                             ;   in Loop: Header=BB312_1574 Depth=1
	s_or_b32 exec_lo, exec_lo, s21
	v_lshlrev_b32_sdwa v0, v53, v0 dst_sel:DWORD dst_unused:UNUSED_PAD src0_sel:DWORD src1_sel:WORD_0
	v_lshl_add_u32 v7, v7, 10, 0x2000
	v_lshlrev_b32_e32 v5, 23, v5
	v_and_or_b32 v0, 0x8000, v0, v7
	v_lshl_or_b32 v5, v0, 16, v5
.LBB312_2249:                           ;   in Loop: Header=BB312_1574 Depth=1
	s_or_b32 exec_lo, exec_lo, s20
.LBB312_2250:                           ;   in Loop: Header=BB312_1574 Depth=1
	s_or_b32 exec_lo, exec_lo, s18
.LBB312_2251:                           ;   in Loop: Header=BB312_1574 Depth=1
	s_or_b32 exec_lo, exec_lo, s17
	v_lshrrev_b32_e32 v0, 16, v12
	v_mov_b32_e32 v7, 0
	v_mov_b32_e32 v22, 0
	v_cmp_ne_u16_sdwa s4, v0, v1 src0_sel:BYTE_0 src1_sel:DWORD
	s_and_saveexec_b32 s17, s4
	s_cbranch_execz .LBB312_2259
; %bb.2252:                             ;   in Loop: Header=BB312_1574 Depth=1
	v_cmp_ne_u16_sdwa s4, v0, v17 src0_sel:BYTE_0 src1_sel:DWORD
	v_mov_b32_e32 v22, 0x8000
	s_and_saveexec_b32 s18, s4
	s_cbranch_execz .LBB312_2258
; %bb.2253:                             ;   in Loop: Header=BB312_1574 Depth=1
	v_bfe_u32 v35, v12, 16, 7
	v_mov_b32_e32 v22, 0x7c01
	s_mov_b32 s20, exec_lo
	v_cmpx_ne_u32_e32 0x7f, v35
	s_cbranch_execz .LBB312_2257
; %bb.2254:                             ;   in Loop: Header=BB312_1574 Depth=1
	v_and_b32_e32 v22, 7, v0
	v_lshrrev_b32_e32 v23, 3, v35
	s_mov_b32 s21, exec_lo
	v_cmpx_gt_u32_e32 8, v35
; %bb.2255:                             ;   in Loop: Header=BB312_1574 Depth=1
	v_ffbh_u32_e32 v22, v22
	v_min_u32_e32 v35, 32, v22
	v_subrev_nc_u32_e32 v22, 28, v35
	v_lshlrev_b64 v[22:23], v22, v[0:1]
	v_sub_nc_u32_e32 v23, 29, v35
	v_and_b32_e32 v22, 7, v22
; %bb.2256:                             ;   in Loop: Header=BB312_1574 Depth=1
	s_or_b32 exec_lo, exec_lo, s21
	v_lshlrev_b32_e32 v0, 8, v0
	v_lshl_add_u32 v23, v23, 10, 0x2000
	v_lshlrev_b32_e32 v22, 7, v22
	v_and_b32_e32 v0, 0x8000, v0
	v_and_b32_e32 v23, 0xfc00, v23
	v_or3_b32 v22, v0, v23, v22
.LBB312_2257:                           ;   in Loop: Header=BB312_1574 Depth=1
	s_or_b32 exec_lo, exec_lo, s20
.LBB312_2258:                           ;   in Loop: Header=BB312_1574 Depth=1
	s_or_b32 exec_lo, exec_lo, s18
.LBB312_2259:                           ;   in Loop: Header=BB312_1574 Depth=1
	s_or_b32 exec_lo, exec_lo, s17
	s_mov_b32 s17, exec_lo
	v_cmpx_lt_u32_e32 0xffffff, v12
	s_cbranch_execz .LBB312_2267
; %bb.2260:                             ;   in Loop: Header=BB312_1574 Depth=1
	v_lshrrev_b32_e32 v0, 24, v12
	v_bfrev_b32_e32 v7, 1
	s_mov_b32 s18, exec_lo
	v_cmpx_ne_u32_e32 0x80, v0
	s_cbranch_execz .LBB312_2266
; %bb.2261:                             ;   in Loop: Header=BB312_1574 Depth=1
	v_and_b32_e32 v35, 0x7f, v0
	v_mov_b32_e32 v7, 0x7c010000
	s_mov_b32 s20, exec_lo
	v_cmpx_ne_u32_e32 0x7f, v35
	s_cbranch_execz .LBB312_2265
; %bb.2262:                             ;   in Loop: Header=BB312_1574 Depth=1
	v_and_b32_e32 v7, 7, v0
	v_lshrrev_b32_e32 v23, 3, v35
	s_mov_b32 s21, exec_lo
	v_cmpx_gt_u32_e32 8, v35
; %bb.2263:                             ;   in Loop: Header=BB312_1574 Depth=1
	v_ffbh_u32_e32 v7, v7
	v_min_u32_e32 v7, 32, v7
	v_subrev_nc_u32_e32 v23, 28, v7
	v_lshlrev_b64 v[37:38], v23, v[0:1]
	v_sub_nc_u32_e32 v23, 29, v7
	v_and_b32_e32 v7, 7, v37
; %bb.2264:                             ;   in Loop: Header=BB312_1574 Depth=1
	s_or_b32 exec_lo, exec_lo, s21
	v_lshlrev_b32_e32 v0, 8, v0
	v_lshl_add_u32 v23, v23, 10, 0x2000
	v_lshlrev_b32_e32 v7, 23, v7
	v_and_or_b32 v0, 0x8000, v0, v23
	v_lshl_or_b32 v7, v0, 16, v7
.LBB312_2265:                           ;   in Loop: Header=BB312_1574 Depth=1
	s_or_b32 exec_lo, exec_lo, s20
.LBB312_2266:                           ;   in Loop: Header=BB312_1574 Depth=1
	s_or_b32 exec_lo, exec_lo, s18
.LBB312_2267:                           ;   in Loop: Header=BB312_1574 Depth=1
	s_or_b32 exec_lo, exec_lo, s17
	v_mov_b32_e32 v0, v13
	v_cmp_ne_u16_sdwa s4, v13, v1 src0_sel:BYTE_0 src1_sel:DWORD
	v_mov_b32_e32 v23, 0
	v_mov_b32_e32 v35, 0
	s_and_saveexec_b32 s17, s4
	s_cbranch_execz .LBB312_2275
; %bb.2268:                             ;   in Loop: Header=BB312_1574 Depth=1
	v_cmp_ne_u16_sdwa s4, v13, v17 src0_sel:BYTE_0 src1_sel:DWORD
	v_mov_b32_e32 v35, 0x8000
	s_and_saveexec_b32 s18, s4
	s_cbranch_execz .LBB312_2274
; %bb.2269:                             ;   in Loop: Header=BB312_1574 Depth=1
	v_and_b32_e32 v38, 0x7f, v13
	v_mov_b32_e32 v35, 0x7c01
	s_mov_b32 s20, exec_lo
	v_cmpx_ne_u32_e32 0x7f, v38
	s_cbranch_execz .LBB312_2273
; %bb.2270:                             ;   in Loop: Header=BB312_1574 Depth=1
	v_and_b32_e32 v35, 7, v13
	v_lshrrev_b32_e32 v37, 3, v38
	s_mov_b32 s21, exec_lo
	v_cmpx_gt_u32_e32 8, v38
; %bb.2271:                             ;   in Loop: Header=BB312_1574 Depth=1
	v_ffbh_u32_e32 v35, v35
	v_min_u32_e32 v35, 32, v35
	v_subrev_nc_u32_e32 v37, 28, v35
	v_lshlrev_b64 v[48:49], v37, v[0:1]
	v_sub_nc_u32_e32 v37, 29, v35
	v_and_b32_e32 v35, 7, v48
; %bb.2272:                             ;   in Loop: Header=BB312_1574 Depth=1
	s_or_b32 exec_lo, exec_lo, s21
	v_lshlrev_b32_e32 v38, 8, v13
	v_lshl_add_u32 v37, v37, 10, 0x2000
	v_lshlrev_b32_e32 v35, 7, v35
	v_and_b32_e32 v38, 0x8000, v38
	v_and_b32_e32 v37, 0xfc00, v37
	v_or3_b32 v35, v38, v37, v35
.LBB312_2273:                           ;   in Loop: Header=BB312_1574 Depth=1
	s_or_b32 exec_lo, exec_lo, s20
.LBB312_2274:                           ;   in Loop: Header=BB312_1574 Depth=1
	s_or_b32 exec_lo, exec_lo, s18
.LBB312_2275:                           ;   in Loop: Header=BB312_1574 Depth=1
	s_or_b32 exec_lo, exec_lo, s17
	v_lshrrev_b16 v0, 8, v0
	v_mov_b32_e32 v37, 0
	s_mov_b32 s17, exec_lo
	v_cmpx_ne_u16_e32 0, v0
	s_cbranch_execz .LBB312_2283
; %bb.2276:                             ;   in Loop: Header=BB312_1574 Depth=1
	v_bfrev_b32_e32 v37, 1
	s_mov_b32 s18, exec_lo
	v_cmpx_ne_u16_e32 0x80, v0
	s_cbranch_execz .LBB312_2282
; %bb.2277:                             ;   in Loop: Header=BB312_1574 Depth=1
	v_and_b32_sdwa v48, v0, v51 dst_sel:DWORD dst_unused:UNUSED_PAD src0_sel:WORD_0 src1_sel:DWORD
	v_mov_b32_e32 v37, 0x7c010000
	s_mov_b32 s20, exec_lo
	v_cmpx_ne_u32_e32 0x7f, v48
	s_cbranch_execz .LBB312_2281
; %bb.2278:                             ;   in Loop: Header=BB312_1574 Depth=1
	v_and_b32_sdwa v37, v0, v52 dst_sel:DWORD dst_unused:UNUSED_PAD src0_sel:WORD_0 src1_sel:DWORD
	v_lshrrev_b32_e32 v38, 3, v48
	s_mov_b32 s21, exec_lo
	v_cmpx_gt_u32_e32 8, v48
; %bb.2279:                             ;   in Loop: Header=BB312_1574 Depth=1
	v_ffbh_u32_e32 v37, v37
	v_min_u32_e32 v48, 32, v37
	v_subrev_nc_u32_e32 v37, 28, v48
	v_lshlrev_b64 v[37:38], v37, v[0:1]
	v_sub_nc_u32_e32 v38, 29, v48
	v_and_b32_e32 v37, 7, v37
; %bb.2280:                             ;   in Loop: Header=BB312_1574 Depth=1
	s_or_b32 exec_lo, exec_lo, s21
	v_lshlrev_b32_sdwa v0, v53, v0 dst_sel:DWORD dst_unused:UNUSED_PAD src0_sel:DWORD src1_sel:WORD_0
	v_lshl_add_u32 v38, v38, 10, 0x2000
	v_lshlrev_b32_e32 v37, 23, v37
	v_and_or_b32 v0, 0x8000, v0, v38
	v_lshl_or_b32 v37, v0, 16, v37
.LBB312_2281:                           ;   in Loop: Header=BB312_1574 Depth=1
	s_or_b32 exec_lo, exec_lo, s20
.LBB312_2282:                           ;   in Loop: Header=BB312_1574 Depth=1
	s_or_b32 exec_lo, exec_lo, s18
.LBB312_2283:                           ;   in Loop: Header=BB312_1574 Depth=1
	s_or_b32 exec_lo, exec_lo, s17
	v_lshrrev_b32_e32 v0, 16, v13
	v_cmp_ne_u16_sdwa s4, v0, v1 src0_sel:BYTE_0 src1_sel:DWORD
	s_and_saveexec_b32 s17, s4
	s_cbranch_execz .LBB312_2291
; %bb.2284:                             ;   in Loop: Header=BB312_1574 Depth=1
	v_cmp_ne_u16_sdwa s4, v0, v17 src0_sel:BYTE_0 src1_sel:DWORD
	v_mov_b32_e32 v23, 0x8000
	s_and_saveexec_b32 s18, s4
	s_cbranch_execz .LBB312_2290
; %bb.2285:                             ;   in Loop: Header=BB312_1574 Depth=1
	v_bfe_u32 v48, v13, 16, 7
	v_mov_b32_e32 v23, 0x7c01
	s_mov_b32 s20, exec_lo
	v_cmpx_ne_u32_e32 0x7f, v48
	s_cbranch_execz .LBB312_2289
; %bb.2286:                             ;   in Loop: Header=BB312_1574 Depth=1
	v_and_b32_e32 v23, 7, v0
	v_lshrrev_b32_e32 v38, 3, v48
	s_mov_b32 s21, exec_lo
	v_cmpx_gt_u32_e32 8, v48
; %bb.2287:                             ;   in Loop: Header=BB312_1574 Depth=1
	v_ffbh_u32_e32 v23, v23
	v_min_u32_e32 v23, 32, v23
	v_subrev_nc_u32_e32 v38, 28, v23
	v_lshlrev_b64 v[48:49], v38, v[0:1]
	v_sub_nc_u32_e32 v38, 29, v23
	v_and_b32_e32 v23, 7, v48
; %bb.2288:                             ;   in Loop: Header=BB312_1574 Depth=1
	s_or_b32 exec_lo, exec_lo, s21
	v_lshlrev_b32_e32 v0, 8, v0
	v_lshl_add_u32 v38, v38, 10, 0x2000
	v_lshlrev_b32_e32 v23, 7, v23
	v_and_b32_e32 v0, 0x8000, v0
	v_and_b32_e32 v38, 0xfc00, v38
	v_or3_b32 v23, v0, v38, v23
.LBB312_2289:                           ;   in Loop: Header=BB312_1574 Depth=1
	s_or_b32 exec_lo, exec_lo, s20
.LBB312_2290:                           ;   in Loop: Header=BB312_1574 Depth=1
	s_or_b32 exec_lo, exec_lo, s18
.LBB312_2291:                           ;   in Loop: Header=BB312_1574 Depth=1
	s_or_b32 exec_lo, exec_lo, s17
	v_cmp_lt_u64_e64 s4, s[12:13], v[12:13]
	v_mov_b32_e32 v12, 0
	s_and_saveexec_b32 s17, s4
	s_cbranch_execz .LBB312_2299
; %bb.2292:                             ;   in Loop: Header=BB312_1574 Depth=1
	v_lshrrev_b32_e32 v0, 24, v13
	v_bfrev_b32_e32 v12, 1
	s_mov_b32 s18, exec_lo
	v_cmpx_ne_u32_e32 0x80, v0
	s_cbranch_execz .LBB312_2298
; %bb.2293:                             ;   in Loop: Header=BB312_1574 Depth=1
	v_and_b32_e32 v38, 0x7f, v0
	v_mov_b32_e32 v12, 0x7c010000
	s_mov_b32 s20, exec_lo
	v_cmpx_ne_u32_e32 0x7f, v38
	s_cbranch_execz .LBB312_2297
; %bb.2294:                             ;   in Loop: Header=BB312_1574 Depth=1
	v_and_b32_e32 v12, 7, v0
	v_lshrrev_b32_e32 v13, 3, v38
	s_mov_b32 s21, exec_lo
	v_cmpx_gt_u32_e32 8, v38
; %bb.2295:                             ;   in Loop: Header=BB312_1574 Depth=1
	v_ffbh_u32_e32 v12, v12
	v_min_u32_e32 v38, 32, v12
	v_subrev_nc_u32_e32 v12, 28, v38
	v_lshlrev_b64 v[12:13], v12, v[0:1]
	v_sub_nc_u32_e32 v13, 29, v38
	v_and_b32_e32 v12, 7, v12
; %bb.2296:                             ;   in Loop: Header=BB312_1574 Depth=1
	s_or_b32 exec_lo, exec_lo, s21
	v_lshlrev_b32_e32 v0, 8, v0
	v_lshl_add_u32 v13, v13, 10, 0x2000
	v_lshlrev_b32_e32 v12, 23, v12
	v_and_or_b32 v0, 0x8000, v0, v13
	v_lshl_or_b32 v12, v0, 16, v12
.LBB312_2297:                           ;   in Loop: Header=BB312_1574 Depth=1
	s_or_b32 exec_lo, exec_lo, s20
.LBB312_2298:                           ;   in Loop: Header=BB312_1574 Depth=1
	s_or_b32 exec_lo, exec_lo, s18
.LBB312_2299:                           ;   in Loop: Header=BB312_1574 Depth=1
	s_or_b32 exec_lo, exec_lo, s17
	v_or_b32_e32 v0, v7, v22
	s_waitcnt vmcnt(0) lgkmcnt(0)
	v_fma_mixlo_f16 v7, v2, v7, 0 op_sel:[0,1,0] op_sel_hi:[0,1,0]
	v_or_b32_e32 v6, v5, v6
	v_or_b32_e32 v22, v37, v35
	;; [unrolled: 1-line block ×3, first 2 shown]
	v_fma_mixlo_f16 v5, v2, v5, 0 op_sel:[0,1,0] op_sel_hi:[0,1,0]
	v_fma_mixlo_f16 v35, v2, v0, 0 op_sel_hi:[0,1,0]
	v_lshlrev_b32_e32 v0, 16, v7
	v_fma_mixlo_f16 v6, v2, v6, 0 op_sel_hi:[0,1,0]
	v_fma_mixlo_f16 v7, v2, v37, 0 op_sel:[0,1,0] op_sel_hi:[0,1,0]
	v_fma_mixlo_f16 v22, v2, v22, 0 op_sel_hi:[0,1,0]
	v_fma_mixlo_f16 v12, v2, v12, 0 op_sel:[0,1,0] op_sel_hi:[0,1,0]
	v_fma_mixlo_f16 v23, v2, v23, 0 op_sel_hi:[0,1,0]
	v_lshlrev_b32_e32 v13, 16, v5
	v_and_b32_e32 v5, 0xffff, v35
	v_and_b32_e32 v38, 0xffff, v6
	v_lshlrev_b32_e32 v6, 16, v7
	v_and_b32_e32 v22, 0xffff, v22
	v_lshlrev_b32_e32 v2, 16, v12
	v_and_b32_e32 v7, 0xffff, v23
	v_or_b32_e32 v12, v0, v5
	v_or_b32_e32 v37, v13, v38
	;; [unrolled: 1-line block ×4, first 2 shown]
	s_and_saveexec_b32 s17, vcc_lo
	s_cbranch_execz .LBB312_2301
; %bb.2300:                             ;   in Loop: Header=BB312_1574 Depth=1
	v_cmp_lt_i32_e64 s4, v86, v36
	v_cndmask_b32_e64 v12, 0, v38, s4
	v_cmp_lt_i32_e64 s4, v115, v36
	v_cndmask_b32_e64 v13, 0, v13, s4
	v_cmp_lt_i32_e64 s4, v114, v36
	v_or_b32_e32 v37, v12, v13
	v_cndmask_b32_e64 v5, 0, v5, s4
	v_cmp_lt_i32_e64 s4, v113, v36
	v_cndmask_b32_e64 v0, 0, v0, s4
	v_cmp_lt_i32_e64 s4, v112, v36
	v_or_b32_e32 v12, v5, v0
	;; [unrolled: 5-line block ×3, first 2 shown]
	v_cndmask_b32_e64 v7, 0, v7, s4
	v_cmp_lt_i32_e64 s4, v101, v36
	v_cndmask_b32_e64 v2, 0, v2, s4
	v_or_b32_e32 v23, v7, v2
.LBB312_2301:                           ;   in Loop: Header=BB312_1574 Depth=1
	s_or_b32 exec_lo, exec_lo, s17
	;;#ASMSTART
	v_pk_mul_f16 v0, v100, v37;

	;;#ASMEND
	;;#ASMSTART
	v_pk_mul_f16 v2, v99, v12;

	;;#ASMEND
	;; [unrolled: 4-line block ×4, first 2 shown]
	;;#ASMSTART
	v_pk_add_f16 v0, v0, v2;

	;;#ASMEND
	;;#ASMSTART
	v_pk_add_f16 v0, v0, v5;

	;;#ASMEND
	;; [unrolled: 4-line block ×3, first 2 shown]
	v_and_b32_e32 v2, 0xffff, v0
	v_lshrrev_b32_e32 v0, 16, v0
	;;#ASMSTART
	v_cvt_f32_f16 v2, v2;
	;;#ASMEND
	;;#ASMSTART
	v_cvt_f32_f16 v5, v0;
	;;#ASMEND
	flat_load_dwordx2 v[12:13], v[10:11] offset:768
	flat_load_dword v6, v[26:27]
	v_mov_b32_e32 v7, 0
	v_mov_b32_e32 v22, 0
	s_waitcnt vmcnt(1) lgkmcnt(1)
	v_cmp_ne_u16_sdwa s4, v12, v1 src0_sel:BYTE_0 src1_sel:DWORD
	s_and_saveexec_b32 s17, s4
	s_cbranch_execz .LBB312_2309
; %bb.2302:                             ;   in Loop: Header=BB312_1574 Depth=1
	v_cmp_ne_u16_sdwa s4, v12, v17 src0_sel:BYTE_0 src1_sel:DWORD
	v_mov_b32_e32 v22, 0x8000
	s_and_saveexec_b32 s18, s4
	s_cbranch_execz .LBB312_2308
; %bb.2303:                             ;   in Loop: Header=BB312_1574 Depth=1
	v_and_b32_e32 v23, 0x7f, v12
	v_mov_b32_e32 v22, 0x7c01
	s_mov_b32 s20, exec_lo
	v_cmpx_ne_u32_e32 0x7f, v23
	s_cbranch_execz .LBB312_2307
; %bb.2304:                             ;   in Loop: Header=BB312_1574 Depth=1
	v_and_b32_e32 v0, 7, v12
	v_lshrrev_b32_e32 v22, 3, v23
	s_mov_b32 s21, exec_lo
	v_cmpx_gt_u32_e32 8, v23
; %bb.2305:                             ;   in Loop: Header=BB312_1574 Depth=1
	v_ffbh_u32_e32 v0, v0
	v_min_u32_e32 v0, 32, v0
	v_subrev_nc_u32_e32 v22, 28, v0
	v_lshlrev_b64 v[37:38], v22, v[12:13]
	v_sub_nc_u32_e32 v22, 29, v0
	v_and_b32_e32 v0, 7, v37
; %bb.2306:                             ;   in Loop: Header=BB312_1574 Depth=1
	s_or_b32 exec_lo, exec_lo, s21
	v_lshlrev_b32_e32 v23, 8, v12
	v_lshl_add_u32 v22, v22, 10, 0x2000
	v_lshlrev_b32_e32 v0, 7, v0
	v_and_b32_e32 v23, 0x8000, v23
	v_and_b32_e32 v22, 0xfc00, v22
	v_or3_b32 v22, v23, v22, v0
.LBB312_2307:                           ;   in Loop: Header=BB312_1574 Depth=1
	s_or_b32 exec_lo, exec_lo, s20
.LBB312_2308:                           ;   in Loop: Header=BB312_1574 Depth=1
	s_or_b32 exec_lo, exec_lo, s18
.LBB312_2309:                           ;   in Loop: Header=BB312_1574 Depth=1
	s_or_b32 exec_lo, exec_lo, s17
	v_lshrrev_b16 v0, 8, v12
	s_mov_b32 s17, exec_lo
	v_cmpx_ne_u16_e32 0, v0
	s_cbranch_execz .LBB312_2317
; %bb.2310:                             ;   in Loop: Header=BB312_1574 Depth=1
	v_bfrev_b32_e32 v7, 1
	s_mov_b32 s18, exec_lo
	v_cmpx_ne_u16_e32 0x80, v0
	s_cbranch_execz .LBB312_2316
; %bb.2311:                             ;   in Loop: Header=BB312_1574 Depth=1
	v_and_b32_sdwa v35, v0, v51 dst_sel:DWORD dst_unused:UNUSED_PAD src0_sel:WORD_0 src1_sel:DWORD
	v_mov_b32_e32 v7, 0x7c010000
	s_mov_b32 s20, exec_lo
	v_cmpx_ne_u32_e32 0x7f, v35
	s_cbranch_execz .LBB312_2315
; %bb.2312:                             ;   in Loop: Header=BB312_1574 Depth=1
	v_and_b32_sdwa v7, v0, v52 dst_sel:DWORD dst_unused:UNUSED_PAD src0_sel:WORD_0 src1_sel:DWORD
	v_lshrrev_b32_e32 v23, 3, v35
	s_mov_b32 s21, exec_lo
	v_cmpx_gt_u32_e32 8, v35
; %bb.2313:                             ;   in Loop: Header=BB312_1574 Depth=1
	v_ffbh_u32_e32 v7, v7
	v_min_u32_e32 v7, 32, v7
	v_subrev_nc_u32_e32 v23, 28, v7
	v_lshlrev_b64 v[37:38], v23, v[0:1]
	v_sub_nc_u32_e32 v23, 29, v7
	v_and_b32_e32 v7, 7, v37
; %bb.2314:                             ;   in Loop: Header=BB312_1574 Depth=1
	s_or_b32 exec_lo, exec_lo, s21
	v_lshlrev_b32_sdwa v0, v53, v0 dst_sel:DWORD dst_unused:UNUSED_PAD src0_sel:DWORD src1_sel:WORD_0
	v_lshl_add_u32 v23, v23, 10, 0x2000
	v_lshlrev_b32_e32 v7, 23, v7
	v_and_or_b32 v0, 0x8000, v0, v23
	v_lshl_or_b32 v7, v0, 16, v7
.LBB312_2315:                           ;   in Loop: Header=BB312_1574 Depth=1
	s_or_b32 exec_lo, exec_lo, s20
.LBB312_2316:                           ;   in Loop: Header=BB312_1574 Depth=1
	s_or_b32 exec_lo, exec_lo, s18
.LBB312_2317:                           ;   in Loop: Header=BB312_1574 Depth=1
	s_or_b32 exec_lo, exec_lo, s17
	v_lshrrev_b32_e32 v0, 16, v12
	v_mov_b32_e32 v23, 0
	v_mov_b32_e32 v35, 0
	v_cmp_ne_u16_sdwa s4, v0, v1 src0_sel:BYTE_0 src1_sel:DWORD
	s_and_saveexec_b32 s17, s4
	s_cbranch_execz .LBB312_2325
; %bb.2318:                             ;   in Loop: Header=BB312_1574 Depth=1
	v_cmp_ne_u16_sdwa s4, v0, v17 src0_sel:BYTE_0 src1_sel:DWORD
	v_mov_b32_e32 v35, 0x8000
	s_and_saveexec_b32 s18, s4
	s_cbranch_execz .LBB312_2324
; %bb.2319:                             ;   in Loop: Header=BB312_1574 Depth=1
	v_bfe_u32 v38, v12, 16, 7
	v_mov_b32_e32 v35, 0x7c01
	s_mov_b32 s20, exec_lo
	v_cmpx_ne_u32_e32 0x7f, v38
	s_cbranch_execz .LBB312_2323
; %bb.2320:                             ;   in Loop: Header=BB312_1574 Depth=1
	v_and_b32_e32 v35, 7, v0
	v_lshrrev_b32_e32 v37, 3, v38
	s_mov_b32 s21, exec_lo
	v_cmpx_gt_u32_e32 8, v38
; %bb.2321:                             ;   in Loop: Header=BB312_1574 Depth=1
	v_ffbh_u32_e32 v35, v35
	v_min_u32_e32 v35, 32, v35
	v_subrev_nc_u32_e32 v37, 28, v35
	v_lshlrev_b64 v[48:49], v37, v[0:1]
	v_sub_nc_u32_e32 v37, 29, v35
	v_and_b32_e32 v35, 7, v48
; %bb.2322:                             ;   in Loop: Header=BB312_1574 Depth=1
	s_or_b32 exec_lo, exec_lo, s21
	v_lshlrev_b32_e32 v0, 8, v0
	v_lshl_add_u32 v37, v37, 10, 0x2000
	v_lshlrev_b32_e32 v35, 7, v35
	v_and_b32_e32 v0, 0x8000, v0
	v_and_b32_e32 v37, 0xfc00, v37
	v_or3_b32 v35, v0, v37, v35
.LBB312_2323:                           ;   in Loop: Header=BB312_1574 Depth=1
	s_or_b32 exec_lo, exec_lo, s20
.LBB312_2324:                           ;   in Loop: Header=BB312_1574 Depth=1
	s_or_b32 exec_lo, exec_lo, s18
.LBB312_2325:                           ;   in Loop: Header=BB312_1574 Depth=1
	s_or_b32 exec_lo, exec_lo, s17
	s_mov_b32 s17, exec_lo
	v_cmpx_lt_u32_e32 0xffffff, v12
	s_cbranch_execz .LBB312_2333
; %bb.2326:                             ;   in Loop: Header=BB312_1574 Depth=1
	v_lshrrev_b32_e32 v0, 24, v12
	v_bfrev_b32_e32 v23, 1
	s_mov_b32 s18, exec_lo
	v_cmpx_ne_u32_e32 0x80, v0
	s_cbranch_execz .LBB312_2332
; %bb.2327:                             ;   in Loop: Header=BB312_1574 Depth=1
	v_and_b32_e32 v38, 0x7f, v0
	v_mov_b32_e32 v23, 0x7c010000
	s_mov_b32 s20, exec_lo
	v_cmpx_ne_u32_e32 0x7f, v38
	s_cbranch_execz .LBB312_2331
; %bb.2328:                             ;   in Loop: Header=BB312_1574 Depth=1
	v_and_b32_e32 v23, 7, v0
	v_lshrrev_b32_e32 v37, 3, v38
	s_mov_b32 s21, exec_lo
	v_cmpx_gt_u32_e32 8, v38
; %bb.2329:                             ;   in Loop: Header=BB312_1574 Depth=1
	v_ffbh_u32_e32 v23, v23
	v_min_u32_e32 v23, 32, v23
	v_subrev_nc_u32_e32 v37, 28, v23
	v_lshlrev_b64 v[48:49], v37, v[0:1]
	v_sub_nc_u32_e32 v37, 29, v23
	v_and_b32_e32 v23, 7, v48
; %bb.2330:                             ;   in Loop: Header=BB312_1574 Depth=1
	s_or_b32 exec_lo, exec_lo, s21
	v_lshlrev_b32_e32 v0, 8, v0
	v_lshl_add_u32 v37, v37, 10, 0x2000
	v_lshlrev_b32_e32 v23, 23, v23
	v_and_or_b32 v0, 0x8000, v0, v37
	v_lshl_or_b32 v23, v0, 16, v23
.LBB312_2331:                           ;   in Loop: Header=BB312_1574 Depth=1
	s_or_b32 exec_lo, exec_lo, s20
.LBB312_2332:                           ;   in Loop: Header=BB312_1574 Depth=1
	s_or_b32 exec_lo, exec_lo, s18
.LBB312_2333:                           ;   in Loop: Header=BB312_1574 Depth=1
	s_or_b32 exec_lo, exec_lo, s17
	v_mov_b32_e32 v0, v13
	v_cmp_ne_u16_sdwa s4, v13, v1 src0_sel:BYTE_0 src1_sel:DWORD
	v_mov_b32_e32 v37, 0
	v_mov_b32_e32 v38, 0
	s_and_saveexec_b32 s17, s4
	s_cbranch_execz .LBB312_2341
; %bb.2334:                             ;   in Loop: Header=BB312_1574 Depth=1
	v_cmp_ne_u16_sdwa s4, v13, v17 src0_sel:BYTE_0 src1_sel:DWORD
	v_mov_b32_e32 v38, 0x8000
	s_and_saveexec_b32 s18, s4
	s_cbranch_execz .LBB312_2340
; %bb.2335:                             ;   in Loop: Header=BB312_1574 Depth=1
	v_and_b32_e32 v49, 0x7f, v13
	v_mov_b32_e32 v38, 0x7c01
	s_mov_b32 s20, exec_lo
	v_cmpx_ne_u32_e32 0x7f, v49
	s_cbranch_execz .LBB312_2339
; %bb.2336:                             ;   in Loop: Header=BB312_1574 Depth=1
	v_and_b32_e32 v38, 7, v13
	v_lshrrev_b32_e32 v48, 3, v49
	s_mov_b32 s21, exec_lo
	v_cmpx_gt_u32_e32 8, v49
; %bb.2337:                             ;   in Loop: Header=BB312_1574 Depth=1
	v_ffbh_u32_e32 v38, v38
	v_min_u32_e32 v38, 32, v38
	v_subrev_nc_u32_e32 v48, 28, v38
	v_lshlrev_b64 v[49:50], v48, v[0:1]
	v_sub_nc_u32_e32 v48, 29, v38
	v_and_b32_e32 v38, 7, v49
; %bb.2338:                             ;   in Loop: Header=BB312_1574 Depth=1
	s_or_b32 exec_lo, exec_lo, s21
	v_lshlrev_b32_e32 v49, 8, v13
	v_lshl_add_u32 v48, v48, 10, 0x2000
	v_lshlrev_b32_e32 v38, 7, v38
	v_and_b32_e32 v49, 0x8000, v49
	v_and_b32_e32 v48, 0xfc00, v48
	v_or3_b32 v38, v49, v48, v38
.LBB312_2339:                           ;   in Loop: Header=BB312_1574 Depth=1
	s_or_b32 exec_lo, exec_lo, s20
.LBB312_2340:                           ;   in Loop: Header=BB312_1574 Depth=1
	s_or_b32 exec_lo, exec_lo, s18
.LBB312_2341:                           ;   in Loop: Header=BB312_1574 Depth=1
	s_or_b32 exec_lo, exec_lo, s17
	v_lshrrev_b16 v0, 8, v0
	v_mov_b32_e32 v48, 0
	s_mov_b32 s17, exec_lo
	v_cmpx_ne_u16_e32 0, v0
	s_cbranch_execz .LBB312_2349
; %bb.2342:                             ;   in Loop: Header=BB312_1574 Depth=1
	v_bfrev_b32_e32 v48, 1
	s_mov_b32 s18, exec_lo
	v_cmpx_ne_u16_e32 0x80, v0
	s_cbranch_execz .LBB312_2348
; %bb.2343:                             ;   in Loop: Header=BB312_1574 Depth=1
	v_and_b32_sdwa v50, v0, v51 dst_sel:DWORD dst_unused:UNUSED_PAD src0_sel:WORD_0 src1_sel:DWORD
	v_mov_b32_e32 v48, 0x7c010000
	s_mov_b32 s20, exec_lo
	v_cmpx_ne_u32_e32 0x7f, v50
	s_cbranch_execz .LBB312_2347
; %bb.2344:                             ;   in Loop: Header=BB312_1574 Depth=1
	v_and_b32_sdwa v48, v0, v52 dst_sel:DWORD dst_unused:UNUSED_PAD src0_sel:WORD_0 src1_sel:DWORD
	v_lshrrev_b32_e32 v49, 3, v50
	s_mov_b32 s21, exec_lo
	v_cmpx_gt_u32_e32 8, v50
; %bb.2345:                             ;   in Loop: Header=BB312_1574 Depth=1
	v_ffbh_u32_e32 v48, v48
	v_min_u32_e32 v50, 32, v48
	v_subrev_nc_u32_e32 v48, 28, v50
	v_lshlrev_b64 v[48:49], v48, v[0:1]
	v_sub_nc_u32_e32 v49, 29, v50
	v_and_b32_e32 v48, 7, v48
; %bb.2346:                             ;   in Loop: Header=BB312_1574 Depth=1
	s_or_b32 exec_lo, exec_lo, s21
	v_lshlrev_b32_sdwa v0, v53, v0 dst_sel:DWORD dst_unused:UNUSED_PAD src0_sel:DWORD src1_sel:WORD_0
	v_lshl_add_u32 v49, v49, 10, 0x2000
	v_lshlrev_b32_e32 v48, 23, v48
	v_and_or_b32 v0, 0x8000, v0, v49
	v_lshl_or_b32 v48, v0, 16, v48
.LBB312_2347:                           ;   in Loop: Header=BB312_1574 Depth=1
	s_or_b32 exec_lo, exec_lo, s20
.LBB312_2348:                           ;   in Loop: Header=BB312_1574 Depth=1
	s_or_b32 exec_lo, exec_lo, s18
.LBB312_2349:                           ;   in Loop: Header=BB312_1574 Depth=1
	s_or_b32 exec_lo, exec_lo, s17
	v_lshrrev_b32_e32 v0, 16, v13
	v_cmp_ne_u16_sdwa s4, v0, v1 src0_sel:BYTE_0 src1_sel:DWORD
	s_and_saveexec_b32 s17, s4
	s_cbranch_execz .LBB312_2357
; %bb.2350:                             ;   in Loop: Header=BB312_1574 Depth=1
	v_cmp_ne_u16_sdwa s4, v0, v17 src0_sel:BYTE_0 src1_sel:DWORD
	v_mov_b32_e32 v37, 0x8000
	s_and_saveexec_b32 s18, s4
	s_cbranch_execz .LBB312_2356
; %bb.2351:                             ;   in Loop: Header=BB312_1574 Depth=1
	v_bfe_u32 v50, v13, 16, 7
	v_mov_b32_e32 v37, 0x7c01
	s_mov_b32 s20, exec_lo
	v_cmpx_ne_u32_e32 0x7f, v50
	s_cbranch_execz .LBB312_2355
; %bb.2352:                             ;   in Loop: Header=BB312_1574 Depth=1
	v_and_b32_e32 v37, 7, v0
	v_lshrrev_b32_e32 v49, 3, v50
	s_mov_b32 s21, exec_lo
	v_cmpx_gt_u32_e32 8, v50
; %bb.2353:                             ;   in Loop: Header=BB312_1574 Depth=1
	v_ffbh_u32_e32 v37, v37
	v_min_u32_e32 v37, 32, v37
	v_subrev_nc_u32_e32 v49, 28, v37
	v_lshlrev_b64 v[70:71], v49, v[0:1]
	v_sub_nc_u32_e32 v49, 29, v37
	v_and_b32_e32 v37, 7, v70
; %bb.2354:                             ;   in Loop: Header=BB312_1574 Depth=1
	s_or_b32 exec_lo, exec_lo, s21
	v_lshlrev_b32_e32 v0, 8, v0
	v_lshl_add_u32 v49, v49, 10, 0x2000
	v_lshlrev_b32_e32 v37, 7, v37
	v_and_b32_e32 v0, 0x8000, v0
	v_and_b32_e32 v49, 0xfc00, v49
	v_or3_b32 v37, v0, v49, v37
.LBB312_2355:                           ;   in Loop: Header=BB312_1574 Depth=1
	s_or_b32 exec_lo, exec_lo, s20
.LBB312_2356:                           ;   in Loop: Header=BB312_1574 Depth=1
	s_or_b32 exec_lo, exec_lo, s18
.LBB312_2357:                           ;   in Loop: Header=BB312_1574 Depth=1
	s_or_b32 exec_lo, exec_lo, s17
	v_cmp_lt_u64_e64 s4, s[12:13], v[12:13]
	v_mov_b32_e32 v12, 0
	s_and_saveexec_b32 s17, s4
	s_cbranch_execz .LBB312_2365
; %bb.2358:                             ;   in Loop: Header=BB312_1574 Depth=1
	v_lshrrev_b32_e32 v0, 24, v13
	v_bfrev_b32_e32 v12, 1
	s_mov_b32 s18, exec_lo
	v_cmpx_ne_u32_e32 0x80, v0
	s_cbranch_execz .LBB312_2364
; %bb.2359:                             ;   in Loop: Header=BB312_1574 Depth=1
	v_and_b32_e32 v49, 0x7f, v0
	v_mov_b32_e32 v12, 0x7c010000
	s_mov_b32 s20, exec_lo
	v_cmpx_ne_u32_e32 0x7f, v49
	s_cbranch_execz .LBB312_2363
; %bb.2360:                             ;   in Loop: Header=BB312_1574 Depth=1
	v_and_b32_e32 v12, 7, v0
	v_lshrrev_b32_e32 v13, 3, v49
	s_mov_b32 s21, exec_lo
	v_cmpx_gt_u32_e32 8, v49
; %bb.2361:                             ;   in Loop: Header=BB312_1574 Depth=1
	v_ffbh_u32_e32 v12, v12
	v_min_u32_e32 v49, 32, v12
	v_subrev_nc_u32_e32 v12, 28, v49
	v_lshlrev_b64 v[12:13], v12, v[0:1]
	v_sub_nc_u32_e32 v13, 29, v49
	v_and_b32_e32 v12, 7, v12
; %bb.2362:                             ;   in Loop: Header=BB312_1574 Depth=1
	s_or_b32 exec_lo, exec_lo, s21
	v_lshlrev_b32_e32 v0, 8, v0
	v_lshl_add_u32 v13, v13, 10, 0x2000
	v_lshlrev_b32_e32 v12, 23, v12
	v_and_or_b32 v0, 0x8000, v0, v13
	v_lshl_or_b32 v12, v0, 16, v12
.LBB312_2363:                           ;   in Loop: Header=BB312_1574 Depth=1
	s_or_b32 exec_lo, exec_lo, s20
.LBB312_2364:                           ;   in Loop: Header=BB312_1574 Depth=1
	s_or_b32 exec_lo, exec_lo, s18
.LBB312_2365:                           ;   in Loop: Header=BB312_1574 Depth=1
	s_or_b32 exec_lo, exec_lo, s17
	v_or_b32_e32 v0, v23, v35
	s_waitcnt vmcnt(0) lgkmcnt(0)
	v_fma_mixlo_f16 v13, v6, v23, 0 op_sel:[0,1,0] op_sel_hi:[0,1,0]
	v_or_b32_e32 v23, v7, v22
	v_fma_mixlo_f16 v7, v6, v7, 0 op_sel:[0,1,0] op_sel_hi:[0,1,0]
	v_or_b32_e32 v35, v48, v38
	v_fma_mixlo_f16 v38, v6, v0, 0 op_sel_hi:[0,1,0]
	v_or_b32_e32 v37, v12, v37
	v_lshlrev_b32_e32 v0, 16, v13
	v_lshlrev_b32_e32 v22, 16, v7
	v_fma_mixlo_f16 v13, v6, v23, 0 op_sel_hi:[0,1,0]
	v_and_b32_e32 v7, 0xffff, v38
	v_fma_mixlo_f16 v23, v6, v48, 0 op_sel:[0,1,0] op_sel_hi:[0,1,0]
	v_fma_mixlo_f16 v35, v6, v35, 0 op_sel_hi:[0,1,0]
	v_fma_mixlo_f16 v38, v6, v12, 0 op_sel:[0,1,0] op_sel_hi:[0,1,0]
	v_fma_mixlo_f16 v37, v6, v37, 0 op_sel_hi:[0,1,0]
	v_and_b32_e32 v49, 0xffff, v13
	v_lshlrev_b32_e32 v12, 16, v23
	v_and_b32_e32 v35, 0xffff, v35
	v_lshlrev_b32_e32 v6, 16, v38
	v_and_b32_e32 v13, 0xffff, v37
	v_or_b32_e32 v23, v0, v7
	v_or_b32_e32 v48, v22, v49
	;; [unrolled: 1-line block ×4, first 2 shown]
	s_and_saveexec_b32 s17, vcc_lo
	s_cbranch_execz .LBB312_2367
; %bb.2366:                             ;   in Loop: Header=BB312_1574 Depth=1
	v_cmp_lt_i32_e64 s4, v86, v36
	v_cndmask_b32_e64 v23, 0, v49, s4
	v_cmp_lt_i32_e64 s4, v115, v36
	v_cndmask_b32_e64 v22, 0, v22, s4
	v_cmp_lt_i32_e64 s4, v114, v36
	v_or_b32_e32 v48, v23, v22
	v_cndmask_b32_e64 v7, 0, v7, s4
	v_cmp_lt_i32_e64 s4, v113, v36
	v_cndmask_b32_e64 v0, 0, v0, s4
	v_cmp_lt_i32_e64 s4, v112, v36
	v_or_b32_e32 v23, v7, v0
	;; [unrolled: 5-line block ×3, first 2 shown]
	v_cndmask_b32_e64 v13, 0, v13, s4
	v_cmp_lt_i32_e64 s4, v101, v36
	v_cndmask_b32_e64 v6, 0, v6, s4
	v_or_b32_e32 v37, v13, v6
.LBB312_2367:                           ;   in Loop: Header=BB312_1574 Depth=1
	s_or_b32 exec_lo, exec_lo, s17
	;;#ASMSTART
	v_pk_mul_f16 v0, v100, v48;

	;;#ASMEND
	;;#ASMSTART
	v_pk_mul_f16 v6, v99, v23;

	;;#ASMEND
	;; [unrolled: 4-line block ×4, first 2 shown]
	;;#ASMSTART
	v_pk_add_f16 v0, v0, v6;

	;;#ASMEND
	;;#ASMSTART
	v_pk_add_f16 v0, v0, v7;

	;;#ASMEND
	;; [unrolled: 4-line block ×3, first 2 shown]
	v_and_b32_e32 v6, 0xffff, v0
	v_lshrrev_b32_e32 v0, 16, v0
	;;#ASMSTART
	v_cvt_f32_f16 v22, v6;
	;;#ASMEND
	;;#ASMSTART
	v_cvt_f32_f16 v35, v0;
	;;#ASMEND
	flat_load_dwordx2 v[12:13], v[10:11] offset:1024
	flat_load_dword v6, v[26:27]
	v_mov_b32_e32 v7, 0
	v_mov_b32_e32 v23, 0
	s_waitcnt vmcnt(1) lgkmcnt(1)
	v_cmp_ne_u16_sdwa s4, v12, v1 src0_sel:BYTE_0 src1_sel:DWORD
	s_and_saveexec_b32 s17, s4
	s_cbranch_execz .LBB312_2375
; %bb.2368:                             ;   in Loop: Header=BB312_1574 Depth=1
	v_cmp_ne_u16_sdwa s4, v12, v17 src0_sel:BYTE_0 src1_sel:DWORD
	v_mov_b32_e32 v23, 0x8000
	s_and_saveexec_b32 s18, s4
	s_cbranch_execz .LBB312_2374
; %bb.2369:                             ;   in Loop: Header=BB312_1574 Depth=1
	v_and_b32_e32 v37, 0x7f, v12
	v_mov_b32_e32 v23, 0x7c01
	s_mov_b32 s20, exec_lo
	v_cmpx_ne_u32_e32 0x7f, v37
	s_cbranch_execz .LBB312_2373
; %bb.2370:                             ;   in Loop: Header=BB312_1574 Depth=1
	v_and_b32_e32 v0, 7, v12
	v_lshrrev_b32_e32 v23, 3, v37
	s_mov_b32 s21, exec_lo
	v_cmpx_gt_u32_e32 8, v37
; %bb.2371:                             ;   in Loop: Header=BB312_1574 Depth=1
	v_ffbh_u32_e32 v0, v0
	v_min_u32_e32 v0, 32, v0
	v_subrev_nc_u32_e32 v23, 28, v0
	v_lshlrev_b64 v[37:38], v23, v[12:13]
	v_sub_nc_u32_e32 v23, 29, v0
	v_and_b32_e32 v0, 7, v37
; %bb.2372:                             ;   in Loop: Header=BB312_1574 Depth=1
	s_or_b32 exec_lo, exec_lo, s21
	v_lshlrev_b32_e32 v37, 8, v12
	v_lshl_add_u32 v23, v23, 10, 0x2000
	v_lshlrev_b32_e32 v0, 7, v0
	v_and_b32_e32 v37, 0x8000, v37
	v_and_b32_e32 v23, 0xfc00, v23
	v_or3_b32 v23, v37, v23, v0
.LBB312_2373:                           ;   in Loop: Header=BB312_1574 Depth=1
	s_or_b32 exec_lo, exec_lo, s20
.LBB312_2374:                           ;   in Loop: Header=BB312_1574 Depth=1
	s_or_b32 exec_lo, exec_lo, s18
.LBB312_2375:                           ;   in Loop: Header=BB312_1574 Depth=1
	s_or_b32 exec_lo, exec_lo, s17
	v_lshrrev_b16 v0, 8, v12
	s_mov_b32 s17, exec_lo
	v_cmpx_ne_u16_e32 0, v0
	s_cbranch_execz .LBB312_2383
; %bb.2376:                             ;   in Loop: Header=BB312_1574 Depth=1
	v_bfrev_b32_e32 v7, 1
	s_mov_b32 s18, exec_lo
	v_cmpx_ne_u16_e32 0x80, v0
	s_cbranch_execz .LBB312_2382
; %bb.2377:                             ;   in Loop: Header=BB312_1574 Depth=1
	v_and_b32_sdwa v38, v0, v51 dst_sel:DWORD dst_unused:UNUSED_PAD src0_sel:WORD_0 src1_sel:DWORD
	v_mov_b32_e32 v7, 0x7c010000
	s_mov_b32 s20, exec_lo
	v_cmpx_ne_u32_e32 0x7f, v38
	s_cbranch_execz .LBB312_2381
; %bb.2378:                             ;   in Loop: Header=BB312_1574 Depth=1
	v_and_b32_sdwa v7, v0, v52 dst_sel:DWORD dst_unused:UNUSED_PAD src0_sel:WORD_0 src1_sel:DWORD
	v_lshrrev_b32_e32 v37, 3, v38
	s_mov_b32 s21, exec_lo
	v_cmpx_gt_u32_e32 8, v38
; %bb.2379:                             ;   in Loop: Header=BB312_1574 Depth=1
	v_ffbh_u32_e32 v7, v7
	v_min_u32_e32 v7, 32, v7
	v_subrev_nc_u32_e32 v37, 28, v7
	v_lshlrev_b64 v[48:49], v37, v[0:1]
	v_sub_nc_u32_e32 v37, 29, v7
	v_and_b32_e32 v7, 7, v48
; %bb.2380:                             ;   in Loop: Header=BB312_1574 Depth=1
	s_or_b32 exec_lo, exec_lo, s21
	v_lshlrev_b32_sdwa v0, v53, v0 dst_sel:DWORD dst_unused:UNUSED_PAD src0_sel:DWORD src1_sel:WORD_0
	v_lshl_add_u32 v37, v37, 10, 0x2000
	v_lshlrev_b32_e32 v7, 23, v7
	v_and_or_b32 v0, 0x8000, v0, v37
	v_lshl_or_b32 v7, v0, 16, v7
.LBB312_2381:                           ;   in Loop: Header=BB312_1574 Depth=1
	s_or_b32 exec_lo, exec_lo, s20
.LBB312_2382:                           ;   in Loop: Header=BB312_1574 Depth=1
	s_or_b32 exec_lo, exec_lo, s18
.LBB312_2383:                           ;   in Loop: Header=BB312_1574 Depth=1
	s_or_b32 exec_lo, exec_lo, s17
	v_lshrrev_b32_e32 v0, 16, v12
	v_mov_b32_e32 v37, 0
	v_mov_b32_e32 v38, 0
	v_cmp_ne_u16_sdwa s4, v0, v1 src0_sel:BYTE_0 src1_sel:DWORD
	s_and_saveexec_b32 s17, s4
	s_cbranch_execz .LBB312_2391
; %bb.2384:                             ;   in Loop: Header=BB312_1574 Depth=1
	v_cmp_ne_u16_sdwa s4, v0, v17 src0_sel:BYTE_0 src1_sel:DWORD
	v_mov_b32_e32 v38, 0x8000
	s_and_saveexec_b32 s18, s4
	s_cbranch_execz .LBB312_2390
; %bb.2385:                             ;   in Loop: Header=BB312_1574 Depth=1
	v_bfe_u32 v49, v12, 16, 7
	v_mov_b32_e32 v38, 0x7c01
	s_mov_b32 s20, exec_lo
	v_cmpx_ne_u32_e32 0x7f, v49
	s_cbranch_execz .LBB312_2389
; %bb.2386:                             ;   in Loop: Header=BB312_1574 Depth=1
	v_and_b32_e32 v38, 7, v0
	v_lshrrev_b32_e32 v48, 3, v49
	s_mov_b32 s21, exec_lo
	v_cmpx_gt_u32_e32 8, v49
; %bb.2387:                             ;   in Loop: Header=BB312_1574 Depth=1
	v_ffbh_u32_e32 v38, v38
	v_min_u32_e32 v38, 32, v38
	v_subrev_nc_u32_e32 v48, 28, v38
	v_lshlrev_b64 v[49:50], v48, v[0:1]
	v_sub_nc_u32_e32 v48, 29, v38
	v_and_b32_e32 v38, 7, v49
; %bb.2388:                             ;   in Loop: Header=BB312_1574 Depth=1
	s_or_b32 exec_lo, exec_lo, s21
	v_lshlrev_b32_e32 v0, 8, v0
	v_lshl_add_u32 v48, v48, 10, 0x2000
	v_lshlrev_b32_e32 v38, 7, v38
	v_and_b32_e32 v0, 0x8000, v0
	v_and_b32_e32 v48, 0xfc00, v48
	v_or3_b32 v38, v0, v48, v38
.LBB312_2389:                           ;   in Loop: Header=BB312_1574 Depth=1
	s_or_b32 exec_lo, exec_lo, s20
.LBB312_2390:                           ;   in Loop: Header=BB312_1574 Depth=1
	s_or_b32 exec_lo, exec_lo, s18
.LBB312_2391:                           ;   in Loop: Header=BB312_1574 Depth=1
	s_or_b32 exec_lo, exec_lo, s17
	s_mov_b32 s17, exec_lo
	v_cmpx_lt_u32_e32 0xffffff, v12
	s_cbranch_execz .LBB312_2399
; %bb.2392:                             ;   in Loop: Header=BB312_1574 Depth=1
	v_lshrrev_b32_e32 v0, 24, v12
	v_bfrev_b32_e32 v37, 1
	s_mov_b32 s18, exec_lo
	v_cmpx_ne_u32_e32 0x80, v0
	s_cbranch_execz .LBB312_2398
; %bb.2393:                             ;   in Loop: Header=BB312_1574 Depth=1
	v_and_b32_e32 v49, 0x7f, v0
	v_mov_b32_e32 v37, 0x7c010000
	s_mov_b32 s20, exec_lo
	v_cmpx_ne_u32_e32 0x7f, v49
	s_cbranch_execz .LBB312_2397
; %bb.2394:                             ;   in Loop: Header=BB312_1574 Depth=1
	v_and_b32_e32 v37, 7, v0
	v_lshrrev_b32_e32 v48, 3, v49
	s_mov_b32 s21, exec_lo
	v_cmpx_gt_u32_e32 8, v49
; %bb.2395:                             ;   in Loop: Header=BB312_1574 Depth=1
	v_ffbh_u32_e32 v37, v37
	v_min_u32_e32 v37, 32, v37
	v_subrev_nc_u32_e32 v48, 28, v37
	v_lshlrev_b64 v[49:50], v48, v[0:1]
	v_sub_nc_u32_e32 v48, 29, v37
	v_and_b32_e32 v37, 7, v49
; %bb.2396:                             ;   in Loop: Header=BB312_1574 Depth=1
	s_or_b32 exec_lo, exec_lo, s21
	v_lshlrev_b32_e32 v0, 8, v0
	v_lshl_add_u32 v48, v48, 10, 0x2000
	v_lshlrev_b32_e32 v37, 23, v37
	v_and_or_b32 v0, 0x8000, v0, v48
	v_lshl_or_b32 v37, v0, 16, v37
.LBB312_2397:                           ;   in Loop: Header=BB312_1574 Depth=1
	s_or_b32 exec_lo, exec_lo, s20
.LBB312_2398:                           ;   in Loop: Header=BB312_1574 Depth=1
	s_or_b32 exec_lo, exec_lo, s18
.LBB312_2399:                           ;   in Loop: Header=BB312_1574 Depth=1
	s_or_b32 exec_lo, exec_lo, s17
	v_mov_b32_e32 v0, v13
	v_cmp_ne_u16_sdwa s4, v13, v1 src0_sel:BYTE_0 src1_sel:DWORD
	v_mov_b32_e32 v48, 0
	v_mov_b32_e32 v49, 0
	s_and_saveexec_b32 s17, s4
	s_cbranch_execz .LBB312_2407
; %bb.2400:                             ;   in Loop: Header=BB312_1574 Depth=1
	v_cmp_ne_u16_sdwa s4, v13, v17 src0_sel:BYTE_0 src1_sel:DWORD
	v_mov_b32_e32 v49, 0x8000
	s_and_saveexec_b32 s18, s4
	s_cbranch_execz .LBB312_2406
; %bb.2401:                             ;   in Loop: Header=BB312_1574 Depth=1
	v_and_b32_e32 v70, 0x7f, v13
	v_mov_b32_e32 v49, 0x7c01
	s_mov_b32 s20, exec_lo
	v_cmpx_ne_u32_e32 0x7f, v70
	s_cbranch_execz .LBB312_2405
; %bb.2402:                             ;   in Loop: Header=BB312_1574 Depth=1
	v_and_b32_e32 v49, 7, v13
	v_lshrrev_b32_e32 v50, 3, v70
	s_mov_b32 s21, exec_lo
	v_cmpx_gt_u32_e32 8, v70
; %bb.2403:                             ;   in Loop: Header=BB312_1574 Depth=1
	v_ffbh_u32_e32 v49, v49
	v_min_u32_e32 v70, 32, v49
	v_subrev_nc_u32_e32 v49, 28, v70
	v_lshlrev_b64 v[49:50], v49, v[0:1]
	v_sub_nc_u32_e32 v50, 29, v70
	v_and_b32_e32 v49, 7, v49
; %bb.2404:                             ;   in Loop: Header=BB312_1574 Depth=1
	s_or_b32 exec_lo, exec_lo, s21
	v_lshlrev_b32_e32 v70, 8, v13
	v_lshl_add_u32 v50, v50, 10, 0x2000
	v_lshlrev_b32_e32 v49, 7, v49
	v_and_b32_e32 v70, 0x8000, v70
	v_and_b32_e32 v50, 0xfc00, v50
	v_or3_b32 v49, v70, v50, v49
.LBB312_2405:                           ;   in Loop: Header=BB312_1574 Depth=1
	s_or_b32 exec_lo, exec_lo, s20
.LBB312_2406:                           ;   in Loop: Header=BB312_1574 Depth=1
	s_or_b32 exec_lo, exec_lo, s18
.LBB312_2407:                           ;   in Loop: Header=BB312_1574 Depth=1
	s_or_b32 exec_lo, exec_lo, s17
	v_lshrrev_b16 v0, 8, v0
	v_mov_b32_e32 v50, 0
	s_mov_b32 s17, exec_lo
	v_cmpx_ne_u16_e32 0, v0
	s_cbranch_execz .LBB312_2415
; %bb.2408:                             ;   in Loop: Header=BB312_1574 Depth=1
	v_bfrev_b32_e32 v50, 1
	s_mov_b32 s18, exec_lo
	v_cmpx_ne_u16_e32 0x80, v0
	s_cbranch_execz .LBB312_2414
; %bb.2409:                             ;   in Loop: Header=BB312_1574 Depth=1
	v_and_b32_sdwa v71, v0, v51 dst_sel:DWORD dst_unused:UNUSED_PAD src0_sel:WORD_0 src1_sel:DWORD
	v_mov_b32_e32 v50, 0x7c010000
	s_mov_b32 s20, exec_lo
	v_cmpx_ne_u32_e32 0x7f, v71
	s_cbranch_execz .LBB312_2413
; %bb.2410:                             ;   in Loop: Header=BB312_1574 Depth=1
	v_and_b32_sdwa v50, v0, v52 dst_sel:DWORD dst_unused:UNUSED_PAD src0_sel:WORD_0 src1_sel:DWORD
	v_lshrrev_b32_e32 v70, 3, v71
	s_mov_b32 s21, exec_lo
	v_cmpx_gt_u32_e32 8, v71
; %bb.2411:                             ;   in Loop: Header=BB312_1574 Depth=1
	v_ffbh_u32_e32 v50, v50
	v_min_u32_e32 v50, 32, v50
	v_subrev_nc_u32_e32 v70, 28, v50
	v_lshlrev_b64 v[61:62], v70, v[0:1]
	v_sub_nc_u32_e32 v70, 29, v50
	v_and_b32_e32 v50, 7, v61
; %bb.2412:                             ;   in Loop: Header=BB312_1574 Depth=1
	s_or_b32 exec_lo, exec_lo, s21
	v_lshlrev_b32_sdwa v0, v53, v0 dst_sel:DWORD dst_unused:UNUSED_PAD src0_sel:DWORD src1_sel:WORD_0
	v_lshl_add_u32 v70, v70, 10, 0x2000
	v_lshlrev_b32_e32 v50, 23, v50
	v_and_or_b32 v0, 0x8000, v0, v70
	v_lshl_or_b32 v50, v0, 16, v50
.LBB312_2413:                           ;   in Loop: Header=BB312_1574 Depth=1
	s_or_b32 exec_lo, exec_lo, s20
.LBB312_2414:                           ;   in Loop: Header=BB312_1574 Depth=1
	s_or_b32 exec_lo, exec_lo, s18
.LBB312_2415:                           ;   in Loop: Header=BB312_1574 Depth=1
	s_or_b32 exec_lo, exec_lo, s17
	v_lshrrev_b32_e32 v0, 16, v13
	v_cmp_ne_u16_sdwa s4, v0, v1 src0_sel:BYTE_0 src1_sel:DWORD
	s_and_saveexec_b32 s17, s4
	s_cbranch_execz .LBB312_2423
; %bb.2416:                             ;   in Loop: Header=BB312_1574 Depth=1
	v_cmp_ne_u16_sdwa s4, v0, v17 src0_sel:BYTE_0 src1_sel:DWORD
	v_mov_b32_e32 v48, 0x8000
	s_and_saveexec_b32 s18, s4
	s_cbranch_execz .LBB312_2422
; %bb.2417:                             ;   in Loop: Header=BB312_1574 Depth=1
	v_bfe_u32 v71, v13, 16, 7
	v_mov_b32_e32 v48, 0x7c01
	s_mov_b32 s20, exec_lo
	v_cmpx_ne_u32_e32 0x7f, v71
	s_cbranch_execz .LBB312_2421
; %bb.2418:                             ;   in Loop: Header=BB312_1574 Depth=1
	v_and_b32_e32 v48, 7, v0
	v_lshrrev_b32_e32 v70, 3, v71
	s_mov_b32 s21, exec_lo
	v_cmpx_gt_u32_e32 8, v71
; %bb.2419:                             ;   in Loop: Header=BB312_1574 Depth=1
	v_ffbh_u32_e32 v48, v48
	v_min_u32_e32 v48, 32, v48
	v_subrev_nc_u32_e32 v70, 28, v48
	v_lshlrev_b64 v[61:62], v70, v[0:1]
	v_sub_nc_u32_e32 v70, 29, v48
	v_and_b32_e32 v48, 7, v61
; %bb.2420:                             ;   in Loop: Header=BB312_1574 Depth=1
	s_or_b32 exec_lo, exec_lo, s21
	v_lshlrev_b32_e32 v0, 8, v0
	v_lshl_add_u32 v70, v70, 10, 0x2000
	v_lshlrev_b32_e32 v48, 7, v48
	v_and_b32_e32 v0, 0x8000, v0
	v_and_b32_e32 v70, 0xfc00, v70
	v_or3_b32 v48, v0, v70, v48
.LBB312_2421:                           ;   in Loop: Header=BB312_1574 Depth=1
	s_or_b32 exec_lo, exec_lo, s20
.LBB312_2422:                           ;   in Loop: Header=BB312_1574 Depth=1
	s_or_b32 exec_lo, exec_lo, s18
.LBB312_2423:                           ;   in Loop: Header=BB312_1574 Depth=1
	s_or_b32 exec_lo, exec_lo, s17
	v_cmp_lt_u64_e64 s4, s[12:13], v[12:13]
	v_mov_b32_e32 v12, 0
	s_and_saveexec_b32 s17, s4
	s_cbranch_execz .LBB312_2431
; %bb.2424:                             ;   in Loop: Header=BB312_1574 Depth=1
	v_lshrrev_b32_e32 v0, 24, v13
	v_bfrev_b32_e32 v12, 1
	s_mov_b32 s18, exec_lo
	v_cmpx_ne_u32_e32 0x80, v0
	s_cbranch_execz .LBB312_2430
; %bb.2425:                             ;   in Loop: Header=BB312_1574 Depth=1
	v_and_b32_e32 v70, 0x7f, v0
	v_mov_b32_e32 v12, 0x7c010000
	s_mov_b32 s20, exec_lo
	v_cmpx_ne_u32_e32 0x7f, v70
	s_cbranch_execz .LBB312_2429
; %bb.2426:                             ;   in Loop: Header=BB312_1574 Depth=1
	v_and_b32_e32 v12, 7, v0
	v_lshrrev_b32_e32 v13, 3, v70
	s_mov_b32 s21, exec_lo
	v_cmpx_gt_u32_e32 8, v70
; %bb.2427:                             ;   in Loop: Header=BB312_1574 Depth=1
	v_ffbh_u32_e32 v12, v12
	v_min_u32_e32 v70, 32, v12
	v_subrev_nc_u32_e32 v12, 28, v70
	v_lshlrev_b64 v[12:13], v12, v[0:1]
	v_sub_nc_u32_e32 v13, 29, v70
	v_and_b32_e32 v12, 7, v12
; %bb.2428:                             ;   in Loop: Header=BB312_1574 Depth=1
	s_or_b32 exec_lo, exec_lo, s21
	v_lshlrev_b32_e32 v0, 8, v0
	v_lshl_add_u32 v13, v13, 10, 0x2000
	v_lshlrev_b32_e32 v12, 23, v12
	v_and_or_b32 v0, 0x8000, v0, v13
	v_lshl_or_b32 v12, v0, 16, v12
.LBB312_2429:                           ;   in Loop: Header=BB312_1574 Depth=1
	s_or_b32 exec_lo, exec_lo, s20
.LBB312_2430:                           ;   in Loop: Header=BB312_1574 Depth=1
	s_or_b32 exec_lo, exec_lo, s18
.LBB312_2431:                           ;   in Loop: Header=BB312_1574 Depth=1
	s_or_b32 exec_lo, exec_lo, s17
	v_or_b32_e32 v0, v37, v38
	s_waitcnt vmcnt(0) lgkmcnt(0)
	v_fma_mixlo_f16 v13, v6, v37, 0 op_sel:[0,1,0] op_sel_hi:[0,1,0]
	v_or_b32_e32 v37, v7, v23
	v_fma_mixlo_f16 v7, v6, v7, 0 op_sel:[0,1,0] op_sel_hi:[0,1,0]
	v_or_b32_e32 v38, v50, v49
	v_fma_mixlo_f16 v49, v6, v0, 0 op_sel_hi:[0,1,0]
	v_or_b32_e32 v48, v12, v48
	v_lshlrev_b32_e32 v0, 16, v13
	v_lshlrev_b32_e32 v23, 16, v7
	v_fma_mixlo_f16 v13, v6, v37, 0 op_sel_hi:[0,1,0]
	v_and_b32_e32 v7, 0xffff, v49
	v_fma_mixlo_f16 v37, v6, v50, 0 op_sel:[0,1,0] op_sel_hi:[0,1,0]
	v_fma_mixlo_f16 v38, v6, v38, 0 op_sel_hi:[0,1,0]
	v_fma_mixlo_f16 v49, v6, v12, 0 op_sel:[0,1,0] op_sel_hi:[0,1,0]
	v_fma_mixlo_f16 v48, v6, v48, 0 op_sel_hi:[0,1,0]
	v_and_b32_e32 v70, 0xffff, v13
	v_lshlrev_b32_e32 v12, 16, v37
	v_and_b32_e32 v38, 0xffff, v38
	v_lshlrev_b32_e32 v6, 16, v49
	v_and_b32_e32 v13, 0xffff, v48
	v_or_b32_e32 v37, v0, v7
	v_or_b32_e32 v50, v23, v70
	;; [unrolled: 1-line block ×4, first 2 shown]
	s_and_saveexec_b32 s17, vcc_lo
	s_cbranch_execz .LBB312_2433
; %bb.2432:                             ;   in Loop: Header=BB312_1574 Depth=1
	v_cmp_lt_i32_e64 s4, v86, v36
	v_cndmask_b32_e64 v37, 0, v70, s4
	v_cmp_lt_i32_e64 s4, v115, v36
	v_cndmask_b32_e64 v23, 0, v23, s4
	v_cmp_lt_i32_e64 s4, v114, v36
	v_or_b32_e32 v50, v37, v23
	v_cndmask_b32_e64 v7, 0, v7, s4
	v_cmp_lt_i32_e64 s4, v113, v36
	v_cndmask_b32_e64 v0, 0, v0, s4
	v_cmp_lt_i32_e64 s4, v112, v36
	v_or_b32_e32 v37, v7, v0
	;; [unrolled: 5-line block ×3, first 2 shown]
	v_cndmask_b32_e64 v13, 0, v13, s4
	v_cmp_lt_i32_e64 s4, v101, v36
	v_cndmask_b32_e64 v6, 0, v6, s4
	v_or_b32_e32 v48, v13, v6
.LBB312_2433:                           ;   in Loop: Header=BB312_1574 Depth=1
	s_or_b32 exec_lo, exec_lo, s17
	;;#ASMSTART
	v_pk_mul_f16 v0, v100, v50;

	;;#ASMEND
	;;#ASMSTART
	v_pk_mul_f16 v6, v99, v37;

	;;#ASMEND
	;;#ASMSTART
	v_pk_mul_f16 v7, v98, v49;

	;;#ASMEND
	;;#ASMSTART
	v_pk_mul_f16 v12, v97, v48;

	;;#ASMEND
	;;#ASMSTART
	v_pk_add_f16 v0, v0, v6;

	;;#ASMEND
	;;#ASMSTART
	v_pk_add_f16 v0, v0, v7;

	;;#ASMEND
	;; [unrolled: 4-line block ×3, first 2 shown]
	v_and_b32_e32 v6, 0xffff, v0
	v_lshrrev_b32_e32 v0, 16, v0
	;;#ASMSTART
	v_cvt_f32_f16 v6, v6;
	;;#ASMEND
	;;#ASMSTART
	v_cvt_f32_f16 v23, v0;
	;;#ASMEND
	flat_load_dwordx2 v[12:13], v[10:11] offset:1280
	flat_load_dword v7, v[26:27]
	v_mov_b32_e32 v37, 0
	v_mov_b32_e32 v38, 0
	s_waitcnt vmcnt(1) lgkmcnt(1)
	v_cmp_ne_u16_sdwa s4, v12, v1 src0_sel:BYTE_0 src1_sel:DWORD
	s_and_saveexec_b32 s17, s4
	s_cbranch_execz .LBB312_2441
; %bb.2434:                             ;   in Loop: Header=BB312_1574 Depth=1
	v_cmp_ne_u16_sdwa s4, v12, v17 src0_sel:BYTE_0 src1_sel:DWORD
	v_mov_b32_e32 v38, 0x8000
	s_and_saveexec_b32 s18, s4
	s_cbranch_execz .LBB312_2440
; %bb.2435:                             ;   in Loop: Header=BB312_1574 Depth=1
	v_and_b32_e32 v48, 0x7f, v12
	v_mov_b32_e32 v38, 0x7c01
	s_mov_b32 s20, exec_lo
	v_cmpx_ne_u32_e32 0x7f, v48
	s_cbranch_execz .LBB312_2439
; %bb.2436:                             ;   in Loop: Header=BB312_1574 Depth=1
	v_and_b32_e32 v0, 7, v12
	v_lshrrev_b32_e32 v38, 3, v48
	s_mov_b32 s21, exec_lo
	v_cmpx_gt_u32_e32 8, v48
; %bb.2437:                             ;   in Loop: Header=BB312_1574 Depth=1
	v_ffbh_u32_e32 v0, v0
	v_min_u32_e32 v0, 32, v0
	v_subrev_nc_u32_e32 v38, 28, v0
	v_lshlrev_b64 v[48:49], v38, v[12:13]
	v_sub_nc_u32_e32 v38, 29, v0
	v_and_b32_e32 v0, 7, v48
; %bb.2438:                             ;   in Loop: Header=BB312_1574 Depth=1
	s_or_b32 exec_lo, exec_lo, s21
	v_lshlrev_b32_e32 v48, 8, v12
	v_lshl_add_u32 v38, v38, 10, 0x2000
	v_lshlrev_b32_e32 v0, 7, v0
	v_and_b32_e32 v48, 0x8000, v48
	v_and_b32_e32 v38, 0xfc00, v38
	v_or3_b32 v38, v48, v38, v0
.LBB312_2439:                           ;   in Loop: Header=BB312_1574 Depth=1
	s_or_b32 exec_lo, exec_lo, s20
.LBB312_2440:                           ;   in Loop: Header=BB312_1574 Depth=1
	s_or_b32 exec_lo, exec_lo, s18
.LBB312_2441:                           ;   in Loop: Header=BB312_1574 Depth=1
	s_or_b32 exec_lo, exec_lo, s17
	v_lshrrev_b16 v0, 8, v12
	s_mov_b32 s17, exec_lo
	v_cmpx_ne_u16_e32 0, v0
	s_cbranch_execz .LBB312_2449
; %bb.2442:                             ;   in Loop: Header=BB312_1574 Depth=1
	v_bfrev_b32_e32 v37, 1
	s_mov_b32 s18, exec_lo
	v_cmpx_ne_u16_e32 0x80, v0
	s_cbranch_execz .LBB312_2448
; %bb.2443:                             ;   in Loop: Header=BB312_1574 Depth=1
	v_and_b32_sdwa v49, v0, v51 dst_sel:DWORD dst_unused:UNUSED_PAD src0_sel:WORD_0 src1_sel:DWORD
	v_mov_b32_e32 v37, 0x7c010000
	s_mov_b32 s20, exec_lo
	v_cmpx_ne_u32_e32 0x7f, v49
	s_cbranch_execz .LBB312_2447
; %bb.2444:                             ;   in Loop: Header=BB312_1574 Depth=1
	v_and_b32_sdwa v37, v0, v52 dst_sel:DWORD dst_unused:UNUSED_PAD src0_sel:WORD_0 src1_sel:DWORD
	v_lshrrev_b32_e32 v48, 3, v49
	s_mov_b32 s21, exec_lo
	v_cmpx_gt_u32_e32 8, v49
; %bb.2445:                             ;   in Loop: Header=BB312_1574 Depth=1
	v_ffbh_u32_e32 v37, v37
	v_min_u32_e32 v37, 32, v37
	v_subrev_nc_u32_e32 v48, 28, v37
	v_lshlrev_b64 v[49:50], v48, v[0:1]
	v_sub_nc_u32_e32 v48, 29, v37
	v_and_b32_e32 v37, 7, v49
; %bb.2446:                             ;   in Loop: Header=BB312_1574 Depth=1
	s_or_b32 exec_lo, exec_lo, s21
	v_lshlrev_b32_sdwa v0, v53, v0 dst_sel:DWORD dst_unused:UNUSED_PAD src0_sel:DWORD src1_sel:WORD_0
	v_lshl_add_u32 v48, v48, 10, 0x2000
	v_lshlrev_b32_e32 v37, 23, v37
	v_and_or_b32 v0, 0x8000, v0, v48
	v_lshl_or_b32 v37, v0, 16, v37
.LBB312_2447:                           ;   in Loop: Header=BB312_1574 Depth=1
	s_or_b32 exec_lo, exec_lo, s20
.LBB312_2448:                           ;   in Loop: Header=BB312_1574 Depth=1
	s_or_b32 exec_lo, exec_lo, s18
.LBB312_2449:                           ;   in Loop: Header=BB312_1574 Depth=1
	s_or_b32 exec_lo, exec_lo, s17
	v_lshrrev_b32_e32 v0, 16, v12
	v_mov_b32_e32 v48, 0
	v_mov_b32_e32 v49, 0
	v_cmp_ne_u16_sdwa s4, v0, v1 src0_sel:BYTE_0 src1_sel:DWORD
	s_and_saveexec_b32 s17, s4
	s_cbranch_execz .LBB312_2457
; %bb.2450:                             ;   in Loop: Header=BB312_1574 Depth=1
	v_cmp_ne_u16_sdwa s4, v0, v17 src0_sel:BYTE_0 src1_sel:DWORD
	v_mov_b32_e32 v49, 0x8000
	s_and_saveexec_b32 s18, s4
	s_cbranch_execz .LBB312_2456
; %bb.2451:                             ;   in Loop: Header=BB312_1574 Depth=1
	v_bfe_u32 v70, v12, 16, 7
	v_mov_b32_e32 v49, 0x7c01
	s_mov_b32 s20, exec_lo
	v_cmpx_ne_u32_e32 0x7f, v70
	s_cbranch_execz .LBB312_2455
; %bb.2452:                             ;   in Loop: Header=BB312_1574 Depth=1
	v_and_b32_e32 v49, 7, v0
	v_lshrrev_b32_e32 v50, 3, v70
	s_mov_b32 s21, exec_lo
	v_cmpx_gt_u32_e32 8, v70
; %bb.2453:                             ;   in Loop: Header=BB312_1574 Depth=1
	v_ffbh_u32_e32 v49, v49
	v_min_u32_e32 v70, 32, v49
	v_subrev_nc_u32_e32 v49, 28, v70
	v_lshlrev_b64 v[49:50], v49, v[0:1]
	v_sub_nc_u32_e32 v50, 29, v70
	v_and_b32_e32 v49, 7, v49
; %bb.2454:                             ;   in Loop: Header=BB312_1574 Depth=1
	s_or_b32 exec_lo, exec_lo, s21
	v_lshlrev_b32_e32 v0, 8, v0
	v_lshl_add_u32 v50, v50, 10, 0x2000
	v_lshlrev_b32_e32 v49, 7, v49
	v_and_b32_e32 v0, 0x8000, v0
	v_and_b32_e32 v50, 0xfc00, v50
	v_or3_b32 v49, v0, v50, v49
.LBB312_2455:                           ;   in Loop: Header=BB312_1574 Depth=1
	s_or_b32 exec_lo, exec_lo, s20
.LBB312_2456:                           ;   in Loop: Header=BB312_1574 Depth=1
	s_or_b32 exec_lo, exec_lo, s18
.LBB312_2457:                           ;   in Loop: Header=BB312_1574 Depth=1
	s_or_b32 exec_lo, exec_lo, s17
	s_mov_b32 s17, exec_lo
	v_cmpx_lt_u32_e32 0xffffff, v12
	s_cbranch_execz .LBB312_2465
; %bb.2458:                             ;   in Loop: Header=BB312_1574 Depth=1
	v_lshrrev_b32_e32 v0, 24, v12
	v_bfrev_b32_e32 v48, 1
	s_mov_b32 s18, exec_lo
	v_cmpx_ne_u32_e32 0x80, v0
	s_cbranch_execz .LBB312_2464
; %bb.2459:                             ;   in Loop: Header=BB312_1574 Depth=1
	v_and_b32_e32 v70, 0x7f, v0
	v_mov_b32_e32 v48, 0x7c010000
	s_mov_b32 s20, exec_lo
	v_cmpx_ne_u32_e32 0x7f, v70
	s_cbranch_execz .LBB312_2463
; %bb.2460:                             ;   in Loop: Header=BB312_1574 Depth=1
	v_and_b32_e32 v48, 7, v0
	v_lshrrev_b32_e32 v50, 3, v70
	s_mov_b32 s21, exec_lo
	v_cmpx_gt_u32_e32 8, v70
; %bb.2461:                             ;   in Loop: Header=BB312_1574 Depth=1
	v_ffbh_u32_e32 v48, v48
	v_min_u32_e32 v48, 32, v48
	v_subrev_nc_u32_e32 v50, 28, v48
	v_lshlrev_b64 v[70:71], v50, v[0:1]
	v_sub_nc_u32_e32 v50, 29, v48
	v_and_b32_e32 v48, 7, v70
; %bb.2462:                             ;   in Loop: Header=BB312_1574 Depth=1
	s_or_b32 exec_lo, exec_lo, s21
	v_lshlrev_b32_e32 v0, 8, v0
	v_lshl_add_u32 v50, v50, 10, 0x2000
	v_lshlrev_b32_e32 v48, 23, v48
	v_and_or_b32 v0, 0x8000, v0, v50
	v_lshl_or_b32 v48, v0, 16, v48
.LBB312_2463:                           ;   in Loop: Header=BB312_1574 Depth=1
	s_or_b32 exec_lo, exec_lo, s20
.LBB312_2464:                           ;   in Loop: Header=BB312_1574 Depth=1
	s_or_b32 exec_lo, exec_lo, s18
.LBB312_2465:                           ;   in Loop: Header=BB312_1574 Depth=1
	s_or_b32 exec_lo, exec_lo, s17
	v_mov_b32_e32 v0, v13
	v_cmp_ne_u16_sdwa s4, v13, v1 src0_sel:BYTE_0 src1_sel:DWORD
	v_mov_b32_e32 v50, 0
	v_mov_b32_e32 v70, 0
	s_and_saveexec_b32 s17, s4
	s_cbranch_execz .LBB312_2473
; %bb.2466:                             ;   in Loop: Header=BB312_1574 Depth=1
	v_cmp_ne_u16_sdwa s4, v13, v17 src0_sel:BYTE_0 src1_sel:DWORD
	v_mov_b32_e32 v70, 0x8000
	s_and_saveexec_b32 s18, s4
	s_cbranch_execz .LBB312_2472
; %bb.2467:                             ;   in Loop: Header=BB312_1574 Depth=1
	v_and_b32_e32 v118, 0x7f, v13
	v_mov_b32_e32 v70, 0x7c01
	s_mov_b32 s20, exec_lo
	v_cmpx_ne_u32_e32 0x7f, v118
	s_cbranch_execz .LBB312_2471
; %bb.2468:                             ;   in Loop: Header=BB312_1574 Depth=1
	v_and_b32_e32 v70, 7, v13
	v_lshrrev_b32_e32 v71, 3, v118
	s_mov_b32 s21, exec_lo
	v_cmpx_gt_u32_e32 8, v118
; %bb.2469:                             ;   in Loop: Header=BB312_1574 Depth=1
	v_ffbh_u32_e32 v70, v70
	v_min_u32_e32 v118, 32, v70
	v_subrev_nc_u32_e32 v70, 28, v118
	v_lshlrev_b64 v[70:71], v70, v[0:1]
	v_sub_nc_u32_e32 v71, 29, v118
	v_and_b32_e32 v70, 7, v70
; %bb.2470:                             ;   in Loop: Header=BB312_1574 Depth=1
	s_or_b32 exec_lo, exec_lo, s21
	v_lshlrev_b32_e32 v118, 8, v13
	v_lshl_add_u32 v71, v71, 10, 0x2000
	v_lshlrev_b32_e32 v70, 7, v70
	v_and_b32_e32 v118, 0x8000, v118
	v_and_b32_e32 v71, 0xfc00, v71
	v_or3_b32 v70, v118, v71, v70
.LBB312_2471:                           ;   in Loop: Header=BB312_1574 Depth=1
	s_or_b32 exec_lo, exec_lo, s20
.LBB312_2472:                           ;   in Loop: Header=BB312_1574 Depth=1
	s_or_b32 exec_lo, exec_lo, s18
.LBB312_2473:                           ;   in Loop: Header=BB312_1574 Depth=1
	s_or_b32 exec_lo, exec_lo, s17
	v_lshrrev_b16 v0, 8, v0
	v_mov_b32_e32 v71, 0
	s_mov_b32 s17, exec_lo
	v_cmpx_ne_u16_e32 0, v0
	s_cbranch_execz .LBB312_2481
; %bb.2474:                             ;   in Loop: Header=BB312_1574 Depth=1
	v_bfrev_b32_e32 v71, 1
	s_mov_b32 s18, exec_lo
	v_cmpx_ne_u16_e32 0x80, v0
	s_cbranch_execz .LBB312_2480
; %bb.2475:                             ;   in Loop: Header=BB312_1574 Depth=1
	v_and_b32_sdwa v61, v0, v51 dst_sel:DWORD dst_unused:UNUSED_PAD src0_sel:WORD_0 src1_sel:DWORD
	v_mov_b32_e32 v71, 0x7c010000
	s_mov_b32 s20, exec_lo
	v_cmpx_ne_u32_e32 0x7f, v61
	s_cbranch_execz .LBB312_2479
; %bb.2476:                             ;   in Loop: Header=BB312_1574 Depth=1
	v_and_b32_sdwa v71, v0, v52 dst_sel:DWORD dst_unused:UNUSED_PAD src0_sel:WORD_0 src1_sel:DWORD
	v_lshrrev_b32_e32 v118, 3, v61
	s_mov_b32 s21, exec_lo
	v_cmpx_gt_u32_e32 8, v61
; %bb.2477:                             ;   in Loop: Header=BB312_1574 Depth=1
	v_ffbh_u32_e32 v71, v71
	v_min_u32_e32 v71, 32, v71
	v_subrev_nc_u32_e32 v118, 28, v71
	v_lshlrev_b64 v[61:62], v118, v[0:1]
	v_sub_nc_u32_e32 v118, 29, v71
	v_and_b32_e32 v71, 7, v61
; %bb.2478:                             ;   in Loop: Header=BB312_1574 Depth=1
	s_or_b32 exec_lo, exec_lo, s21
	v_lshlrev_b32_sdwa v0, v53, v0 dst_sel:DWORD dst_unused:UNUSED_PAD src0_sel:DWORD src1_sel:WORD_0
	v_lshl_add_u32 v118, v118, 10, 0x2000
	v_lshlrev_b32_e32 v71, 23, v71
	v_and_or_b32 v0, 0x8000, v0, v118
	v_lshl_or_b32 v71, v0, 16, v71
.LBB312_2479:                           ;   in Loop: Header=BB312_1574 Depth=1
	s_or_b32 exec_lo, exec_lo, s20
.LBB312_2480:                           ;   in Loop: Header=BB312_1574 Depth=1
	s_or_b32 exec_lo, exec_lo, s18
.LBB312_2481:                           ;   in Loop: Header=BB312_1574 Depth=1
	s_or_b32 exec_lo, exec_lo, s17
	v_lshrrev_b32_e32 v0, 16, v13
	v_cmp_ne_u16_sdwa s4, v0, v1 src0_sel:BYTE_0 src1_sel:DWORD
	s_and_saveexec_b32 s17, s4
	s_cbranch_execz .LBB312_2489
; %bb.2482:                             ;   in Loop: Header=BB312_1574 Depth=1
	v_cmp_ne_u16_sdwa s4, v0, v17 src0_sel:BYTE_0 src1_sel:DWORD
	v_mov_b32_e32 v50, 0x8000
	s_and_saveexec_b32 s18, s4
	s_cbranch_execz .LBB312_2488
; %bb.2483:                             ;   in Loop: Header=BB312_1574 Depth=1
	v_bfe_u32 v61, v13, 16, 7
	v_mov_b32_e32 v50, 0x7c01
	s_mov_b32 s20, exec_lo
	v_cmpx_ne_u32_e32 0x7f, v61
	s_cbranch_execz .LBB312_2487
; %bb.2484:                             ;   in Loop: Header=BB312_1574 Depth=1
	v_and_b32_e32 v50, 7, v0
	v_lshrrev_b32_e32 v118, 3, v61
	s_mov_b32 s21, exec_lo
	v_cmpx_gt_u32_e32 8, v61
; %bb.2485:                             ;   in Loop: Header=BB312_1574 Depth=1
	v_ffbh_u32_e32 v50, v50
	v_min_u32_e32 v50, 32, v50
	v_subrev_nc_u32_e32 v118, 28, v50
	v_lshlrev_b64 v[61:62], v118, v[0:1]
	v_sub_nc_u32_e32 v118, 29, v50
	v_and_b32_e32 v50, 7, v61
; %bb.2486:                             ;   in Loop: Header=BB312_1574 Depth=1
	s_or_b32 exec_lo, exec_lo, s21
	v_lshlrev_b32_e32 v0, 8, v0
	v_lshl_add_u32 v118, v118, 10, 0x2000
	v_lshlrev_b32_e32 v50, 7, v50
	v_and_b32_e32 v0, 0x8000, v0
	v_and_b32_e32 v118, 0xfc00, v118
	v_or3_b32 v50, v0, v118, v50
.LBB312_2487:                           ;   in Loop: Header=BB312_1574 Depth=1
	s_or_b32 exec_lo, exec_lo, s20
.LBB312_2488:                           ;   in Loop: Header=BB312_1574 Depth=1
	s_or_b32 exec_lo, exec_lo, s18
.LBB312_2489:                           ;   in Loop: Header=BB312_1574 Depth=1
	s_or_b32 exec_lo, exec_lo, s17
	v_cmp_lt_u64_e64 s4, s[12:13], v[12:13]
	v_mov_b32_e32 v12, 0
	s_and_saveexec_b32 s17, s4
	s_cbranch_execz .LBB312_2497
; %bb.2490:                             ;   in Loop: Header=BB312_1574 Depth=1
	v_lshrrev_b32_e32 v0, 24, v13
	v_bfrev_b32_e32 v12, 1
	s_mov_b32 s18, exec_lo
	v_cmpx_ne_u32_e32 0x80, v0
	s_cbranch_execz .LBB312_2496
; %bb.2491:                             ;   in Loop: Header=BB312_1574 Depth=1
	v_and_b32_e32 v118, 0x7f, v0
	v_mov_b32_e32 v12, 0x7c010000
	s_mov_b32 s20, exec_lo
	v_cmpx_ne_u32_e32 0x7f, v118
	s_cbranch_execz .LBB312_2495
; %bb.2492:                             ;   in Loop: Header=BB312_1574 Depth=1
	v_and_b32_e32 v12, 7, v0
	v_lshrrev_b32_e32 v13, 3, v118
	s_mov_b32 s21, exec_lo
	v_cmpx_gt_u32_e32 8, v118
; %bb.2493:                             ;   in Loop: Header=BB312_1574 Depth=1
	v_ffbh_u32_e32 v12, v12
	v_min_u32_e32 v118, 32, v12
	v_subrev_nc_u32_e32 v12, 28, v118
	v_lshlrev_b64 v[12:13], v12, v[0:1]
	v_sub_nc_u32_e32 v13, 29, v118
	v_and_b32_e32 v12, 7, v12
; %bb.2494:                             ;   in Loop: Header=BB312_1574 Depth=1
	s_or_b32 exec_lo, exec_lo, s21
	v_lshlrev_b32_e32 v0, 8, v0
	v_lshl_add_u32 v13, v13, 10, 0x2000
	v_lshlrev_b32_e32 v12, 23, v12
	v_and_or_b32 v0, 0x8000, v0, v13
	v_lshl_or_b32 v12, v0, 16, v12
.LBB312_2495:                           ;   in Loop: Header=BB312_1574 Depth=1
	s_or_b32 exec_lo, exec_lo, s20
.LBB312_2496:                           ;   in Loop: Header=BB312_1574 Depth=1
	s_or_b32 exec_lo, exec_lo, s18
.LBB312_2497:                           ;   in Loop: Header=BB312_1574 Depth=1
	s_or_b32 exec_lo, exec_lo, s17
	v_or_b32_e32 v0, v48, v49
	s_waitcnt vmcnt(0) lgkmcnt(0)
	v_fma_mixlo_f16 v13, v7, v48, 0 op_sel:[0,1,0] op_sel_hi:[0,1,0]
	v_or_b32_e32 v48, v37, v38
	v_fma_mixlo_f16 v37, v7, v37, 0 op_sel:[0,1,0] op_sel_hi:[0,1,0]
	v_or_b32_e32 v49, v71, v70
	v_fma_mixlo_f16 v70, v7, v0, 0 op_sel_hi:[0,1,0]
	v_or_b32_e32 v50, v12, v50
	v_lshlrev_b32_e32 v0, 16, v13
	v_lshlrev_b32_e32 v38, 16, v37
	v_fma_mixlo_f16 v37, v7, v48, 0 op_sel_hi:[0,1,0]
	v_and_b32_e32 v13, 0xffff, v70
	v_fma_mixlo_f16 v48, v7, v71, 0 op_sel:[0,1,0] op_sel_hi:[0,1,0]
	v_fma_mixlo_f16 v49, v7, v49, 0 op_sel_hi:[0,1,0]
	v_fma_mixlo_f16 v70, v7, v12, 0 op_sel:[0,1,0] op_sel_hi:[0,1,0]
	v_fma_mixlo_f16 v50, v7, v50, 0 op_sel_hi:[0,1,0]
	v_and_b32_e32 v118, 0xffff, v37
	v_lshlrev_b32_e32 v12, 16, v48
	v_and_b32_e32 v49, 0xffff, v49
	v_lshlrev_b32_e32 v7, 16, v70
	v_and_b32_e32 v37, 0xffff, v50
	v_or_b32_e32 v48, v0, v13
	v_or_b32_e32 v71, v38, v118
	;; [unrolled: 1-line block ×4, first 2 shown]
	s_and_saveexec_b32 s17, vcc_lo
	s_cbranch_execz .LBB312_2499
; %bb.2498:                             ;   in Loop: Header=BB312_1574 Depth=1
	v_cmp_lt_i32_e64 s4, v86, v36
	v_cndmask_b32_e64 v48, 0, v118, s4
	v_cmp_lt_i32_e64 s4, v115, v36
	v_cndmask_b32_e64 v38, 0, v38, s4
	v_cmp_lt_i32_e64 s4, v114, v36
	v_or_b32_e32 v71, v48, v38
	v_cndmask_b32_e64 v13, 0, v13, s4
	v_cmp_lt_i32_e64 s4, v113, v36
	v_cndmask_b32_e64 v0, 0, v0, s4
	v_cmp_lt_i32_e64 s4, v112, v36
	v_or_b32_e32 v48, v13, v0
	;; [unrolled: 5-line block ×3, first 2 shown]
	v_cndmask_b32_e64 v37, 0, v37, s4
	v_cmp_lt_i32_e64 s4, v101, v36
	v_cndmask_b32_e64 v7, 0, v7, s4
	v_or_b32_e32 v50, v37, v7
.LBB312_2499:                           ;   in Loop: Header=BB312_1574 Depth=1
	s_or_b32 exec_lo, exec_lo, s17
	;;#ASMSTART
	v_pk_mul_f16 v0, v100, v71;

	;;#ASMEND
	;;#ASMSTART
	v_pk_mul_f16 v7, v99, v48;

	;;#ASMEND
	;; [unrolled: 4-line block ×4, first 2 shown]
	;;#ASMSTART
	v_pk_add_f16 v0, v0, v7;

	;;#ASMEND
	;;#ASMSTART
	v_pk_add_f16 v0, v0, v12;

	;;#ASMEND
	;; [unrolled: 4-line block ×3, first 2 shown]
	v_and_b32_e32 v7, 0xffff, v0
	v_lshrrev_b32_e32 v0, 16, v0
	;;#ASMSTART
	v_cvt_f32_f16 v37, v7;
	;;#ASMEND
	;;#ASMSTART
	v_cvt_f32_f16 v38, v0;
	;;#ASMEND
	flat_load_dwordx2 v[12:13], v[10:11] offset:1536
	flat_load_dword v7, v[26:27]
	v_mov_b32_e32 v48, 0
	v_mov_b32_e32 v49, 0
	s_waitcnt vmcnt(1) lgkmcnt(1)
	v_cmp_ne_u16_sdwa s4, v12, v1 src0_sel:BYTE_0 src1_sel:DWORD
	s_and_saveexec_b32 s17, s4
	s_cbranch_execz .LBB312_2507
; %bb.2500:                             ;   in Loop: Header=BB312_1574 Depth=1
	v_cmp_ne_u16_sdwa s4, v12, v17 src0_sel:BYTE_0 src1_sel:DWORD
	v_mov_b32_e32 v49, 0x8000
	s_and_saveexec_b32 s18, s4
	s_cbranch_execz .LBB312_2506
; %bb.2501:                             ;   in Loop: Header=BB312_1574 Depth=1
	v_and_b32_e32 v50, 0x7f, v12
	v_mov_b32_e32 v49, 0x7c01
	s_mov_b32 s20, exec_lo
	v_cmpx_ne_u32_e32 0x7f, v50
	s_cbranch_execz .LBB312_2505
; %bb.2502:                             ;   in Loop: Header=BB312_1574 Depth=1
	v_and_b32_e32 v0, 7, v12
	v_lshrrev_b32_e32 v49, 3, v50
	s_mov_b32 s21, exec_lo
	v_cmpx_gt_u32_e32 8, v50
; %bb.2503:                             ;   in Loop: Header=BB312_1574 Depth=1
	v_ffbh_u32_e32 v0, v0
	v_min_u32_e32 v0, 32, v0
	v_subrev_nc_u32_e32 v49, 28, v0
	v_lshlrev_b64 v[70:71], v49, v[12:13]
	v_sub_nc_u32_e32 v49, 29, v0
	v_and_b32_e32 v0, 7, v70
; %bb.2504:                             ;   in Loop: Header=BB312_1574 Depth=1
	s_or_b32 exec_lo, exec_lo, s21
	v_lshlrev_b32_e32 v50, 8, v12
	v_lshl_add_u32 v49, v49, 10, 0x2000
	v_lshlrev_b32_e32 v0, 7, v0
	v_and_b32_e32 v50, 0x8000, v50
	v_and_b32_e32 v49, 0xfc00, v49
	v_or3_b32 v49, v50, v49, v0
.LBB312_2505:                           ;   in Loop: Header=BB312_1574 Depth=1
	s_or_b32 exec_lo, exec_lo, s20
.LBB312_2506:                           ;   in Loop: Header=BB312_1574 Depth=1
	s_or_b32 exec_lo, exec_lo, s18
.LBB312_2507:                           ;   in Loop: Header=BB312_1574 Depth=1
	s_or_b32 exec_lo, exec_lo, s17
	v_lshrrev_b16 v0, 8, v12
	s_mov_b32 s17, exec_lo
	v_cmpx_ne_u16_e32 0, v0
	s_cbranch_execz .LBB312_2515
; %bb.2508:                             ;   in Loop: Header=BB312_1574 Depth=1
	v_bfrev_b32_e32 v48, 1
	s_mov_b32 s18, exec_lo
	v_cmpx_ne_u16_e32 0x80, v0
	s_cbranch_execz .LBB312_2514
; %bb.2509:                             ;   in Loop: Header=BB312_1574 Depth=1
	v_and_b32_sdwa v70, v0, v51 dst_sel:DWORD dst_unused:UNUSED_PAD src0_sel:WORD_0 src1_sel:DWORD
	v_mov_b32_e32 v48, 0x7c010000
	s_mov_b32 s20, exec_lo
	v_cmpx_ne_u32_e32 0x7f, v70
	s_cbranch_execz .LBB312_2513
; %bb.2510:                             ;   in Loop: Header=BB312_1574 Depth=1
	v_and_b32_sdwa v48, v0, v52 dst_sel:DWORD dst_unused:UNUSED_PAD src0_sel:WORD_0 src1_sel:DWORD
	v_lshrrev_b32_e32 v50, 3, v70
	s_mov_b32 s21, exec_lo
	v_cmpx_gt_u32_e32 8, v70
; %bb.2511:                             ;   in Loop: Header=BB312_1574 Depth=1
	v_ffbh_u32_e32 v48, v48
	v_min_u32_e32 v48, 32, v48
	v_subrev_nc_u32_e32 v50, 28, v48
	v_lshlrev_b64 v[70:71], v50, v[0:1]
	v_sub_nc_u32_e32 v50, 29, v48
	v_and_b32_e32 v48, 7, v70
; %bb.2512:                             ;   in Loop: Header=BB312_1574 Depth=1
	s_or_b32 exec_lo, exec_lo, s21
	v_lshlrev_b32_sdwa v0, v53, v0 dst_sel:DWORD dst_unused:UNUSED_PAD src0_sel:DWORD src1_sel:WORD_0
	v_lshl_add_u32 v50, v50, 10, 0x2000
	v_lshlrev_b32_e32 v48, 23, v48
	v_and_or_b32 v0, 0x8000, v0, v50
	v_lshl_or_b32 v48, v0, 16, v48
.LBB312_2513:                           ;   in Loop: Header=BB312_1574 Depth=1
	s_or_b32 exec_lo, exec_lo, s20
.LBB312_2514:                           ;   in Loop: Header=BB312_1574 Depth=1
	s_or_b32 exec_lo, exec_lo, s18
.LBB312_2515:                           ;   in Loop: Header=BB312_1574 Depth=1
	s_or_b32 exec_lo, exec_lo, s17
	v_lshrrev_b32_e32 v0, 16, v12
	v_mov_b32_e32 v50, 0
	v_mov_b32_e32 v70, 0
	v_cmp_ne_u16_sdwa s4, v0, v1 src0_sel:BYTE_0 src1_sel:DWORD
	s_and_saveexec_b32 s17, s4
	s_cbranch_execz .LBB312_2523
; %bb.2516:                             ;   in Loop: Header=BB312_1574 Depth=1
	v_cmp_ne_u16_sdwa s4, v0, v17 src0_sel:BYTE_0 src1_sel:DWORD
	v_mov_b32_e32 v70, 0x8000
	s_and_saveexec_b32 s18, s4
	s_cbranch_execz .LBB312_2522
; %bb.2517:                             ;   in Loop: Header=BB312_1574 Depth=1
	v_bfe_u32 v118, v12, 16, 7
	v_mov_b32_e32 v70, 0x7c01
	s_mov_b32 s20, exec_lo
	v_cmpx_ne_u32_e32 0x7f, v118
	s_cbranch_execz .LBB312_2521
; %bb.2518:                             ;   in Loop: Header=BB312_1574 Depth=1
	v_and_b32_e32 v70, 7, v0
	v_lshrrev_b32_e32 v71, 3, v118
	s_mov_b32 s21, exec_lo
	v_cmpx_gt_u32_e32 8, v118
; %bb.2519:                             ;   in Loop: Header=BB312_1574 Depth=1
	v_ffbh_u32_e32 v70, v70
	v_min_u32_e32 v118, 32, v70
	v_subrev_nc_u32_e32 v70, 28, v118
	v_lshlrev_b64 v[70:71], v70, v[0:1]
	v_sub_nc_u32_e32 v71, 29, v118
	v_and_b32_e32 v70, 7, v70
; %bb.2520:                             ;   in Loop: Header=BB312_1574 Depth=1
	s_or_b32 exec_lo, exec_lo, s21
	v_lshlrev_b32_e32 v0, 8, v0
	v_lshl_add_u32 v71, v71, 10, 0x2000
	v_lshlrev_b32_e32 v70, 7, v70
	v_and_b32_e32 v0, 0x8000, v0
	v_and_b32_e32 v71, 0xfc00, v71
	v_or3_b32 v70, v0, v71, v70
.LBB312_2521:                           ;   in Loop: Header=BB312_1574 Depth=1
	s_or_b32 exec_lo, exec_lo, s20
.LBB312_2522:                           ;   in Loop: Header=BB312_1574 Depth=1
	s_or_b32 exec_lo, exec_lo, s18
.LBB312_2523:                           ;   in Loop: Header=BB312_1574 Depth=1
	s_or_b32 exec_lo, exec_lo, s17
	s_mov_b32 s17, exec_lo
	v_cmpx_lt_u32_e32 0xffffff, v12
	s_cbranch_execz .LBB312_2531
; %bb.2524:                             ;   in Loop: Header=BB312_1574 Depth=1
	v_lshrrev_b32_e32 v0, 24, v12
	v_bfrev_b32_e32 v50, 1
	s_mov_b32 s18, exec_lo
	v_cmpx_ne_u32_e32 0x80, v0
	s_cbranch_execz .LBB312_2530
; %bb.2525:                             ;   in Loop: Header=BB312_1574 Depth=1
	v_and_b32_e32 v118, 0x7f, v0
	v_mov_b32_e32 v50, 0x7c010000
	s_mov_b32 s20, exec_lo
	v_cmpx_ne_u32_e32 0x7f, v118
	s_cbranch_execz .LBB312_2529
; %bb.2526:                             ;   in Loop: Header=BB312_1574 Depth=1
	v_and_b32_e32 v50, 7, v0
	v_lshrrev_b32_e32 v71, 3, v118
	s_mov_b32 s21, exec_lo
	v_cmpx_gt_u32_e32 8, v118
; %bb.2527:                             ;   in Loop: Header=BB312_1574 Depth=1
	v_ffbh_u32_e32 v50, v50
	v_min_u32_e32 v50, 32, v50
	v_subrev_nc_u32_e32 v71, 28, v50
	v_lshlrev_b64 v[61:62], v71, v[0:1]
	v_sub_nc_u32_e32 v71, 29, v50
	v_and_b32_e32 v50, 7, v61
; %bb.2528:                             ;   in Loop: Header=BB312_1574 Depth=1
	s_or_b32 exec_lo, exec_lo, s21
	v_lshlrev_b32_e32 v0, 8, v0
	v_lshl_add_u32 v71, v71, 10, 0x2000
	v_lshlrev_b32_e32 v50, 23, v50
	v_and_or_b32 v0, 0x8000, v0, v71
	v_lshl_or_b32 v50, v0, 16, v50
.LBB312_2529:                           ;   in Loop: Header=BB312_1574 Depth=1
	s_or_b32 exec_lo, exec_lo, s20
.LBB312_2530:                           ;   in Loop: Header=BB312_1574 Depth=1
	s_or_b32 exec_lo, exec_lo, s18
.LBB312_2531:                           ;   in Loop: Header=BB312_1574 Depth=1
	s_or_b32 exec_lo, exec_lo, s17
	v_mov_b32_e32 v0, v13
	v_cmp_ne_u16_sdwa s4, v13, v1 src0_sel:BYTE_0 src1_sel:DWORD
	v_mov_b32_e32 v71, 0
	v_mov_b32_e32 v118, 0
	s_and_saveexec_b32 s17, s4
	s_cbranch_execz .LBB312_2539
; %bb.2532:                             ;   in Loop: Header=BB312_1574 Depth=1
	v_cmp_ne_u16_sdwa s4, v13, v17 src0_sel:BYTE_0 src1_sel:DWORD
	v_mov_b32_e32 v118, 0x8000
	s_and_saveexec_b32 s18, s4
	s_cbranch_execz .LBB312_2538
; %bb.2533:                             ;   in Loop: Header=BB312_1574 Depth=1
	v_and_b32_e32 v62, 0x7f, v13
	v_mov_b32_e32 v118, 0x7c01
	s_mov_b32 s20, exec_lo
	v_cmpx_ne_u32_e32 0x7f, v62
	s_cbranch_execz .LBB312_2537
; %bb.2534:                             ;   in Loop: Header=BB312_1574 Depth=1
	v_and_b32_e32 v118, 7, v13
	v_lshrrev_b32_e32 v61, 3, v62
	s_mov_b32 s21, exec_lo
	v_cmpx_gt_u32_e32 8, v62
; %bb.2535:                             ;   in Loop: Header=BB312_1574 Depth=1
	v_ffbh_u32_e32 v118, v118
	v_min_u32_e32 v118, 32, v118
	v_subrev_nc_u32_e32 v61, 28, v118
	v_lshlrev_b64 v[62:63], v61, v[0:1]
	v_sub_nc_u32_e32 v61, 29, v118
	v_and_b32_e32 v118, 7, v62
; %bb.2536:                             ;   in Loop: Header=BB312_1574 Depth=1
	s_or_b32 exec_lo, exec_lo, s21
	v_lshlrev_b32_e32 v62, 8, v13
	v_lshl_add_u32 v61, v61, 10, 0x2000
	v_lshlrev_b32_e32 v118, 7, v118
	v_and_b32_e32 v62, 0x8000, v62
	v_and_b32_e32 v61, 0xfc00, v61
	v_or3_b32 v118, v62, v61, v118
.LBB312_2537:                           ;   in Loop: Header=BB312_1574 Depth=1
	s_or_b32 exec_lo, exec_lo, s20
.LBB312_2538:                           ;   in Loop: Header=BB312_1574 Depth=1
	s_or_b32 exec_lo, exec_lo, s18
.LBB312_2539:                           ;   in Loop: Header=BB312_1574 Depth=1
	s_or_b32 exec_lo, exec_lo, s17
	v_lshrrev_b16 v0, 8, v0
	v_mov_b32_e32 v61, 0
	s_mov_b32 s17, exec_lo
	v_cmpx_ne_u16_e32 0, v0
	s_cbranch_execz .LBB312_2547
; %bb.2540:                             ;   in Loop: Header=BB312_1574 Depth=1
	v_bfrev_b32_e32 v61, 1
	s_mov_b32 s18, exec_lo
	v_cmpx_ne_u16_e32 0x80, v0
	s_cbranch_execz .LBB312_2546
; %bb.2541:                             ;   in Loop: Header=BB312_1574 Depth=1
	v_and_b32_sdwa v63, v0, v51 dst_sel:DWORD dst_unused:UNUSED_PAD src0_sel:WORD_0 src1_sel:DWORD
	v_mov_b32_e32 v61, 0x7c010000
	s_mov_b32 s20, exec_lo
	v_cmpx_ne_u32_e32 0x7f, v63
	s_cbranch_execz .LBB312_2545
; %bb.2542:                             ;   in Loop: Header=BB312_1574 Depth=1
	v_and_b32_sdwa v61, v0, v52 dst_sel:DWORD dst_unused:UNUSED_PAD src0_sel:WORD_0 src1_sel:DWORD
	v_lshrrev_b32_e32 v62, 3, v63
	s_mov_b32 s21, exec_lo
	v_cmpx_gt_u32_e32 8, v63
; %bb.2543:                             ;   in Loop: Header=BB312_1574 Depth=1
	v_ffbh_u32_e32 v61, v61
	v_min_u32_e32 v63, 32, v61
	v_subrev_nc_u32_e32 v61, 28, v63
	v_lshlrev_b64 v[61:62], v61, v[0:1]
	v_sub_nc_u32_e32 v62, 29, v63
	v_and_b32_e32 v61, 7, v61
; %bb.2544:                             ;   in Loop: Header=BB312_1574 Depth=1
	s_or_b32 exec_lo, exec_lo, s21
	v_lshlrev_b32_sdwa v0, v53, v0 dst_sel:DWORD dst_unused:UNUSED_PAD src0_sel:DWORD src1_sel:WORD_0
	v_lshl_add_u32 v62, v62, 10, 0x2000
	v_lshlrev_b32_e32 v61, 23, v61
	v_and_or_b32 v0, 0x8000, v0, v62
	v_lshl_or_b32 v61, v0, 16, v61
.LBB312_2545:                           ;   in Loop: Header=BB312_1574 Depth=1
	s_or_b32 exec_lo, exec_lo, s20
.LBB312_2546:                           ;   in Loop: Header=BB312_1574 Depth=1
	s_or_b32 exec_lo, exec_lo, s18
.LBB312_2547:                           ;   in Loop: Header=BB312_1574 Depth=1
	s_or_b32 exec_lo, exec_lo, s17
	v_lshrrev_b32_e32 v0, 16, v13
	v_cmp_ne_u16_sdwa s4, v0, v1 src0_sel:BYTE_0 src1_sel:DWORD
	s_and_saveexec_b32 s17, s4
	s_cbranch_execz .LBB312_2555
; %bb.2548:                             ;   in Loop: Header=BB312_1574 Depth=1
	v_cmp_ne_u16_sdwa s4, v0, v17 src0_sel:BYTE_0 src1_sel:DWORD
	v_mov_b32_e32 v71, 0x8000
	s_and_saveexec_b32 s18, s4
	s_cbranch_execz .LBB312_2554
; %bb.2549:                             ;   in Loop: Header=BB312_1574 Depth=1
	v_bfe_u32 v63, v13, 16, 7
	v_mov_b32_e32 v71, 0x7c01
	s_mov_b32 s20, exec_lo
	v_cmpx_ne_u32_e32 0x7f, v63
	s_cbranch_execz .LBB312_2553
; %bb.2550:                             ;   in Loop: Header=BB312_1574 Depth=1
	v_and_b32_e32 v71, 7, v0
	v_lshrrev_b32_e32 v62, 3, v63
	s_mov_b32 s21, exec_lo
	v_cmpx_gt_u32_e32 8, v63
; %bb.2551:                             ;   in Loop: Header=BB312_1574 Depth=1
	v_ffbh_u32_e32 v71, v71
	v_min_u32_e32 v62, 32, v71
	v_subrev_nc_u32_e32 v71, 28, v62
	v_sub_nc_u32_e32 v62, 29, v62
	v_lshlrev_b64 v[71:72], v71, v[0:1]
	v_and_b32_e32 v71, 7, v71
; %bb.2552:                             ;   in Loop: Header=BB312_1574 Depth=1
	s_or_b32 exec_lo, exec_lo, s21
	v_lshlrev_b32_e32 v0, 8, v0
	v_lshl_add_u32 v62, v62, 10, 0x2000
	v_lshlrev_b32_e32 v71, 7, v71
	v_and_b32_e32 v0, 0x8000, v0
	v_and_b32_e32 v62, 0xfc00, v62
	v_or3_b32 v71, v0, v62, v71
.LBB312_2553:                           ;   in Loop: Header=BB312_1574 Depth=1
	s_or_b32 exec_lo, exec_lo, s20
.LBB312_2554:                           ;   in Loop: Header=BB312_1574 Depth=1
	s_or_b32 exec_lo, exec_lo, s18
.LBB312_2555:                           ;   in Loop: Header=BB312_1574 Depth=1
	s_or_b32 exec_lo, exec_lo, s17
	v_cmp_lt_u64_e64 s4, s[12:13], v[12:13]
	v_mov_b32_e32 v12, 0
	s_and_saveexec_b32 s17, s4
	s_cbranch_execz .LBB312_2563
; %bb.2556:                             ;   in Loop: Header=BB312_1574 Depth=1
	v_lshrrev_b32_e32 v0, 24, v13
	v_bfrev_b32_e32 v12, 1
	s_mov_b32 s18, exec_lo
	v_cmpx_ne_u32_e32 0x80, v0
	s_cbranch_execz .LBB312_2562
; %bb.2557:                             ;   in Loop: Header=BB312_1574 Depth=1
	v_and_b32_e32 v62, 0x7f, v0
	v_mov_b32_e32 v12, 0x7c010000
	s_mov_b32 s20, exec_lo
	v_cmpx_ne_u32_e32 0x7f, v62
	s_cbranch_execz .LBB312_2561
; %bb.2558:                             ;   in Loop: Header=BB312_1574 Depth=1
	v_and_b32_e32 v12, 7, v0
	v_lshrrev_b32_e32 v13, 3, v62
	s_mov_b32 s21, exec_lo
	v_cmpx_gt_u32_e32 8, v62
; %bb.2559:                             ;   in Loop: Header=BB312_1574 Depth=1
	v_ffbh_u32_e32 v12, v12
	v_min_u32_e32 v62, 32, v12
	v_subrev_nc_u32_e32 v12, 28, v62
	v_lshlrev_b64 v[12:13], v12, v[0:1]
	v_sub_nc_u32_e32 v13, 29, v62
	v_and_b32_e32 v12, 7, v12
; %bb.2560:                             ;   in Loop: Header=BB312_1574 Depth=1
	s_or_b32 exec_lo, exec_lo, s21
	v_lshlrev_b32_e32 v0, 8, v0
	v_lshl_add_u32 v13, v13, 10, 0x2000
	v_lshlrev_b32_e32 v12, 23, v12
	v_and_or_b32 v0, 0x8000, v0, v13
	v_lshl_or_b32 v12, v0, 16, v12
.LBB312_2561:                           ;   in Loop: Header=BB312_1574 Depth=1
	s_or_b32 exec_lo, exec_lo, s20
.LBB312_2562:                           ;   in Loop: Header=BB312_1574 Depth=1
	s_or_b32 exec_lo, exec_lo, s18
.LBB312_2563:                           ;   in Loop: Header=BB312_1574 Depth=1
	s_or_b32 exec_lo, exec_lo, s17
	v_or_b32_e32 v0, v50, v70
	s_waitcnt vmcnt(0) lgkmcnt(0)
	v_fma_mixlo_f16 v13, v7, v50, 0 op_sel:[0,1,0] op_sel_hi:[0,1,0]
	v_or_b32_e32 v50, v48, v49
	v_fma_mixlo_f16 v48, v7, v48, 0 op_sel:[0,1,0] op_sel_hi:[0,1,0]
	v_or_b32_e32 v70, v61, v118
	v_fma_mixlo_f16 v118, v7, v0, 0 op_sel_hi:[0,1,0]
	v_or_b32_e32 v71, v12, v71
	v_lshlrev_b32_e32 v0, 16, v13
	v_lshlrev_b32_e32 v49, 16, v48
	v_fma_mixlo_f16 v48, v7, v50, 0 op_sel_hi:[0,1,0]
	v_and_b32_e32 v13, 0xffff, v118
	v_fma_mixlo_f16 v50, v7, v61, 0 op_sel:[0,1,0] op_sel_hi:[0,1,0]
	v_fma_mixlo_f16 v70, v7, v70, 0 op_sel_hi:[0,1,0]
	v_fma_mixlo_f16 v118, v7, v12, 0 op_sel:[0,1,0] op_sel_hi:[0,1,0]
	v_fma_mixlo_f16 v71, v7, v71, 0 op_sel_hi:[0,1,0]
	v_and_b32_e32 v62, 0xffff, v48
	v_lshlrev_b32_e32 v12, 16, v50
	v_and_b32_e32 v70, 0xffff, v70
	v_lshlrev_b32_e32 v7, 16, v118
	v_and_b32_e32 v48, 0xffff, v71
	v_or_b32_e32 v50, v0, v13
	v_or_b32_e32 v61, v49, v62
	;; [unrolled: 1-line block ×4, first 2 shown]
	s_and_saveexec_b32 s17, vcc_lo
	s_cbranch_execz .LBB312_2565
; %bb.2564:                             ;   in Loop: Header=BB312_1574 Depth=1
	v_cmp_lt_i32_e64 s4, v86, v36
	v_cndmask_b32_e64 v50, 0, v62, s4
	v_cmp_lt_i32_e64 s4, v115, v36
	v_cndmask_b32_e64 v49, 0, v49, s4
	v_cmp_lt_i32_e64 s4, v114, v36
	v_or_b32_e32 v61, v50, v49
	v_cndmask_b32_e64 v13, 0, v13, s4
	v_cmp_lt_i32_e64 s4, v113, v36
	v_cndmask_b32_e64 v0, 0, v0, s4
	v_cmp_lt_i32_e64 s4, v112, v36
	v_or_b32_e32 v50, v13, v0
	;; [unrolled: 5-line block ×3, first 2 shown]
	v_cndmask_b32_e64 v48, 0, v48, s4
	v_cmp_lt_i32_e64 s4, v101, v36
	v_cndmask_b32_e64 v7, 0, v7, s4
	v_or_b32_e32 v71, v48, v7
.LBB312_2565:                           ;   in Loop: Header=BB312_1574 Depth=1
	s_or_b32 exec_lo, exec_lo, s17
	;;#ASMSTART
	v_pk_mul_f16 v0, v100, v61;

	;;#ASMEND
	;;#ASMSTART
	v_pk_mul_f16 v7, v99, v50;

	;;#ASMEND
	;; [unrolled: 4-line block ×4, first 2 shown]
	;;#ASMSTART
	v_pk_add_f16 v0, v0, v7;

	;;#ASMEND
	;;#ASMSTART
	v_pk_add_f16 v0, v0, v12;

	;;#ASMEND
	;; [unrolled: 4-line block ×3, first 2 shown]
	v_and_b32_e32 v7, 0xffff, v0
	v_lshrrev_b32_e32 v0, 16, v0
	;;#ASMSTART
	v_cvt_f32_f16 v12, v7;
	;;#ASMEND
	;;#ASMSTART
	v_cvt_f32_f16 v13, v0;
	;;#ASMEND
	flat_load_dwordx2 v[10:11], v[10:11] offset:1792
	flat_load_dword v7, v[26:27]
	v_mov_b32_e32 v48, 0
	v_mov_b32_e32 v49, 0
	s_waitcnt vmcnt(1) lgkmcnt(1)
	v_cmp_ne_u16_sdwa s4, v10, v1 src0_sel:BYTE_0 src1_sel:DWORD
	s_and_saveexec_b32 s17, s4
	s_cbranch_execz .LBB312_2573
; %bb.2566:                             ;   in Loop: Header=BB312_1574 Depth=1
	v_cmp_ne_u16_sdwa s4, v10, v17 src0_sel:BYTE_0 src1_sel:DWORD
	v_mov_b32_e32 v49, 0x8000
	s_and_saveexec_b32 s18, s4
	s_cbranch_execz .LBB312_2572
; %bb.2567:                             ;   in Loop: Header=BB312_1574 Depth=1
	v_and_b32_e32 v50, 0x7f, v10
	v_mov_b32_e32 v49, 0x7c01
	s_mov_b32 s20, exec_lo
	v_cmpx_ne_u32_e32 0x7f, v50
	s_cbranch_execz .LBB312_2571
; %bb.2568:                             ;   in Loop: Header=BB312_1574 Depth=1
	v_and_b32_e32 v0, 7, v10
	v_lshrrev_b32_e32 v49, 3, v50
	s_mov_b32 s21, exec_lo
	v_cmpx_gt_u32_e32 8, v50
; %bb.2569:                             ;   in Loop: Header=BB312_1574 Depth=1
	v_ffbh_u32_e32 v0, v0
	v_min_u32_e32 v0, 32, v0
	v_subrev_nc_u32_e32 v49, 28, v0
	v_lshlrev_b64 v[70:71], v49, v[10:11]
	v_sub_nc_u32_e32 v49, 29, v0
	v_and_b32_e32 v0, 7, v70
; %bb.2570:                             ;   in Loop: Header=BB312_1574 Depth=1
	s_or_b32 exec_lo, exec_lo, s21
	v_lshlrev_b32_e32 v50, 8, v10
	v_lshl_add_u32 v49, v49, 10, 0x2000
	v_lshlrev_b32_e32 v0, 7, v0
	v_and_b32_e32 v50, 0x8000, v50
	v_and_b32_e32 v49, 0xfc00, v49
	v_or3_b32 v49, v50, v49, v0
.LBB312_2571:                           ;   in Loop: Header=BB312_1574 Depth=1
	s_or_b32 exec_lo, exec_lo, s20
.LBB312_2572:                           ;   in Loop: Header=BB312_1574 Depth=1
	s_or_b32 exec_lo, exec_lo, s18
.LBB312_2573:                           ;   in Loop: Header=BB312_1574 Depth=1
	s_or_b32 exec_lo, exec_lo, s17
	v_lshrrev_b16 v0, 8, v10
	s_mov_b32 s17, exec_lo
	v_cmpx_ne_u16_e32 0, v0
	s_cbranch_execz .LBB312_2581
; %bb.2574:                             ;   in Loop: Header=BB312_1574 Depth=1
	v_bfrev_b32_e32 v48, 1
	s_mov_b32 s18, exec_lo
	v_cmpx_ne_u16_e32 0x80, v0
	s_cbranch_execz .LBB312_2580
; %bb.2575:                             ;   in Loop: Header=BB312_1574 Depth=1
	v_and_b32_sdwa v70, v0, v51 dst_sel:DWORD dst_unused:UNUSED_PAD src0_sel:WORD_0 src1_sel:DWORD
	v_mov_b32_e32 v48, 0x7c010000
	s_mov_b32 s20, exec_lo
	v_cmpx_ne_u32_e32 0x7f, v70
	s_cbranch_execz .LBB312_2579
; %bb.2576:                             ;   in Loop: Header=BB312_1574 Depth=1
	v_and_b32_sdwa v48, v0, v52 dst_sel:DWORD dst_unused:UNUSED_PAD src0_sel:WORD_0 src1_sel:DWORD
	v_lshrrev_b32_e32 v50, 3, v70
	s_mov_b32 s21, exec_lo
	v_cmpx_gt_u32_e32 8, v70
; %bb.2577:                             ;   in Loop: Header=BB312_1574 Depth=1
	v_ffbh_u32_e32 v48, v48
	v_min_u32_e32 v48, 32, v48
	v_subrev_nc_u32_e32 v50, 28, v48
	v_lshlrev_b64 v[70:71], v50, v[0:1]
	v_sub_nc_u32_e32 v50, 29, v48
	v_and_b32_e32 v48, 7, v70
; %bb.2578:                             ;   in Loop: Header=BB312_1574 Depth=1
	s_or_b32 exec_lo, exec_lo, s21
	v_lshlrev_b32_sdwa v0, v53, v0 dst_sel:DWORD dst_unused:UNUSED_PAD src0_sel:DWORD src1_sel:WORD_0
	v_lshl_add_u32 v50, v50, 10, 0x2000
	v_lshlrev_b32_e32 v48, 23, v48
	v_and_or_b32 v0, 0x8000, v0, v50
	v_lshl_or_b32 v48, v0, 16, v48
.LBB312_2579:                           ;   in Loop: Header=BB312_1574 Depth=1
	s_or_b32 exec_lo, exec_lo, s20
.LBB312_2580:                           ;   in Loop: Header=BB312_1574 Depth=1
	s_or_b32 exec_lo, exec_lo, s18
.LBB312_2581:                           ;   in Loop: Header=BB312_1574 Depth=1
	s_or_b32 exec_lo, exec_lo, s17
	v_lshrrev_b32_e32 v0, 16, v10
	v_mov_b32_e32 v50, 0
	v_mov_b32_e32 v70, 0
	v_cmp_ne_u16_sdwa s4, v0, v1 src0_sel:BYTE_0 src1_sel:DWORD
	s_and_saveexec_b32 s17, s4
	s_cbranch_execz .LBB312_2589
; %bb.2582:                             ;   in Loop: Header=BB312_1574 Depth=1
	v_cmp_ne_u16_sdwa s4, v0, v17 src0_sel:BYTE_0 src1_sel:DWORD
	v_mov_b32_e32 v70, 0x8000
	s_and_saveexec_b32 s18, s4
	s_cbranch_execz .LBB312_2588
; %bb.2583:                             ;   in Loop: Header=BB312_1574 Depth=1
	v_bfe_u32 v118, v10, 16, 7
	v_mov_b32_e32 v70, 0x7c01
	s_mov_b32 s20, exec_lo
	v_cmpx_ne_u32_e32 0x7f, v118
	s_cbranch_execz .LBB312_2587
; %bb.2584:                             ;   in Loop: Header=BB312_1574 Depth=1
	v_and_b32_e32 v70, 7, v0
	v_lshrrev_b32_e32 v71, 3, v118
	s_mov_b32 s21, exec_lo
	v_cmpx_gt_u32_e32 8, v118
; %bb.2585:                             ;   in Loop: Header=BB312_1574 Depth=1
	v_ffbh_u32_e32 v70, v70
	v_min_u32_e32 v118, 32, v70
	v_subrev_nc_u32_e32 v70, 28, v118
	v_lshlrev_b64 v[70:71], v70, v[0:1]
	v_sub_nc_u32_e32 v71, 29, v118
	v_and_b32_e32 v70, 7, v70
; %bb.2586:                             ;   in Loop: Header=BB312_1574 Depth=1
	s_or_b32 exec_lo, exec_lo, s21
	v_lshlrev_b32_e32 v0, 8, v0
	v_lshl_add_u32 v71, v71, 10, 0x2000
	v_lshlrev_b32_e32 v70, 7, v70
	v_and_b32_e32 v0, 0x8000, v0
	v_and_b32_e32 v71, 0xfc00, v71
	v_or3_b32 v70, v0, v71, v70
.LBB312_2587:                           ;   in Loop: Header=BB312_1574 Depth=1
	s_or_b32 exec_lo, exec_lo, s20
.LBB312_2588:                           ;   in Loop: Header=BB312_1574 Depth=1
	s_or_b32 exec_lo, exec_lo, s18
.LBB312_2589:                           ;   in Loop: Header=BB312_1574 Depth=1
	s_or_b32 exec_lo, exec_lo, s17
	s_mov_b32 s17, exec_lo
	v_cmpx_lt_u32_e32 0xffffff, v10
	s_cbranch_execz .LBB312_2597
; %bb.2590:                             ;   in Loop: Header=BB312_1574 Depth=1
	v_lshrrev_b32_e32 v0, 24, v10
	v_bfrev_b32_e32 v50, 1
	s_mov_b32 s18, exec_lo
	v_cmpx_ne_u32_e32 0x80, v0
	s_cbranch_execz .LBB312_2596
; %bb.2591:                             ;   in Loop: Header=BB312_1574 Depth=1
	v_and_b32_e32 v118, 0x7f, v0
	v_mov_b32_e32 v50, 0x7c010000
	s_mov_b32 s20, exec_lo
	v_cmpx_ne_u32_e32 0x7f, v118
	s_cbranch_execz .LBB312_2595
; %bb.2592:                             ;   in Loop: Header=BB312_1574 Depth=1
	v_and_b32_e32 v50, 7, v0
	v_lshrrev_b32_e32 v71, 3, v118
	s_mov_b32 s21, exec_lo
	v_cmpx_gt_u32_e32 8, v118
; %bb.2593:                             ;   in Loop: Header=BB312_1574 Depth=1
	v_ffbh_u32_e32 v50, v50
	v_min_u32_e32 v50, 32, v50
	v_subrev_nc_u32_e32 v71, 28, v50
	v_lshlrev_b64 v[61:62], v71, v[0:1]
	v_sub_nc_u32_e32 v71, 29, v50
	v_and_b32_e32 v50, 7, v61
; %bb.2594:                             ;   in Loop: Header=BB312_1574 Depth=1
	s_or_b32 exec_lo, exec_lo, s21
	v_lshlrev_b32_e32 v0, 8, v0
	v_lshl_add_u32 v71, v71, 10, 0x2000
	v_lshlrev_b32_e32 v50, 23, v50
	v_and_or_b32 v0, 0x8000, v0, v71
	v_lshl_or_b32 v50, v0, 16, v50
.LBB312_2595:                           ;   in Loop: Header=BB312_1574 Depth=1
	s_or_b32 exec_lo, exec_lo, s20
.LBB312_2596:                           ;   in Loop: Header=BB312_1574 Depth=1
	s_or_b32 exec_lo, exec_lo, s18
.LBB312_2597:                           ;   in Loop: Header=BB312_1574 Depth=1
	s_or_b32 exec_lo, exec_lo, s17
	v_mov_b32_e32 v0, v11
	v_cmp_ne_u16_sdwa s4, v11, v1 src0_sel:BYTE_0 src1_sel:DWORD
	v_mov_b32_e32 v71, 0
	v_mov_b32_e32 v118, 0
	s_and_saveexec_b32 s17, s4
	s_cbranch_execz .LBB312_2605
; %bb.2598:                             ;   in Loop: Header=BB312_1574 Depth=1
	v_cmp_ne_u16_sdwa s4, v11, v17 src0_sel:BYTE_0 src1_sel:DWORD
	v_mov_b32_e32 v118, 0x8000
	s_and_saveexec_b32 s18, s4
	s_cbranch_execz .LBB312_2604
; %bb.2599:                             ;   in Loop: Header=BB312_1574 Depth=1
	v_and_b32_e32 v62, 0x7f, v11
	v_mov_b32_e32 v118, 0x7c01
	s_mov_b32 s20, exec_lo
	v_cmpx_ne_u32_e32 0x7f, v62
	s_cbranch_execz .LBB312_2603
; %bb.2600:                             ;   in Loop: Header=BB312_1574 Depth=1
	v_and_b32_e32 v118, 7, v11
	v_lshrrev_b32_e32 v61, 3, v62
	s_mov_b32 s21, exec_lo
	v_cmpx_gt_u32_e32 8, v62
; %bb.2601:                             ;   in Loop: Header=BB312_1574 Depth=1
	v_ffbh_u32_e32 v118, v118
	v_min_u32_e32 v118, 32, v118
	v_subrev_nc_u32_e32 v61, 28, v118
	v_lshlrev_b64 v[62:63], v61, v[0:1]
	v_sub_nc_u32_e32 v61, 29, v118
	v_and_b32_e32 v118, 7, v62
; %bb.2602:                             ;   in Loop: Header=BB312_1574 Depth=1
	s_or_b32 exec_lo, exec_lo, s21
	v_lshlrev_b32_e32 v62, 8, v11
	v_lshl_add_u32 v61, v61, 10, 0x2000
	v_lshlrev_b32_e32 v118, 7, v118
	v_and_b32_e32 v62, 0x8000, v62
	v_and_b32_e32 v61, 0xfc00, v61
	v_or3_b32 v118, v62, v61, v118
.LBB312_2603:                           ;   in Loop: Header=BB312_1574 Depth=1
	s_or_b32 exec_lo, exec_lo, s20
.LBB312_2604:                           ;   in Loop: Header=BB312_1574 Depth=1
	s_or_b32 exec_lo, exec_lo, s18
.LBB312_2605:                           ;   in Loop: Header=BB312_1574 Depth=1
	s_or_b32 exec_lo, exec_lo, s17
	v_lshrrev_b16 v0, 8, v0
	v_mov_b32_e32 v61, 0
	s_mov_b32 s17, exec_lo
	v_cmpx_ne_u16_e32 0, v0
	s_cbranch_execz .LBB312_2613
; %bb.2606:                             ;   in Loop: Header=BB312_1574 Depth=1
	v_bfrev_b32_e32 v61, 1
	s_mov_b32 s18, exec_lo
	v_cmpx_ne_u16_e32 0x80, v0
	s_cbranch_execz .LBB312_2612
; %bb.2607:                             ;   in Loop: Header=BB312_1574 Depth=1
	v_and_b32_sdwa v63, v0, v51 dst_sel:DWORD dst_unused:UNUSED_PAD src0_sel:WORD_0 src1_sel:DWORD
	v_mov_b32_e32 v61, 0x7c010000
	s_mov_b32 s20, exec_lo
	v_cmpx_ne_u32_e32 0x7f, v63
	s_cbranch_execz .LBB312_2611
; %bb.2608:                             ;   in Loop: Header=BB312_1574 Depth=1
	v_and_b32_sdwa v61, v0, v52 dst_sel:DWORD dst_unused:UNUSED_PAD src0_sel:WORD_0 src1_sel:DWORD
	v_lshrrev_b32_e32 v62, 3, v63
	s_mov_b32 s21, exec_lo
	v_cmpx_gt_u32_e32 8, v63
; %bb.2609:                             ;   in Loop: Header=BB312_1574 Depth=1
	v_ffbh_u32_e32 v61, v61
	v_min_u32_e32 v63, 32, v61
	v_subrev_nc_u32_e32 v61, 28, v63
	v_lshlrev_b64 v[61:62], v61, v[0:1]
	v_sub_nc_u32_e32 v62, 29, v63
	v_and_b32_e32 v61, 7, v61
; %bb.2610:                             ;   in Loop: Header=BB312_1574 Depth=1
	s_or_b32 exec_lo, exec_lo, s21
	v_lshlrev_b32_sdwa v0, v53, v0 dst_sel:DWORD dst_unused:UNUSED_PAD src0_sel:DWORD src1_sel:WORD_0
	v_lshl_add_u32 v62, v62, 10, 0x2000
	v_lshlrev_b32_e32 v61, 23, v61
	v_and_or_b32 v0, 0x8000, v0, v62
	v_lshl_or_b32 v61, v0, 16, v61
.LBB312_2611:                           ;   in Loop: Header=BB312_1574 Depth=1
	s_or_b32 exec_lo, exec_lo, s20
.LBB312_2612:                           ;   in Loop: Header=BB312_1574 Depth=1
	s_or_b32 exec_lo, exec_lo, s18
.LBB312_2613:                           ;   in Loop: Header=BB312_1574 Depth=1
	s_or_b32 exec_lo, exec_lo, s17
	v_lshrrev_b32_e32 v0, 16, v11
	v_cmp_ne_u16_sdwa s4, v0, v1 src0_sel:BYTE_0 src1_sel:DWORD
	s_and_saveexec_b32 s17, s4
	s_cbranch_execz .LBB312_2621
; %bb.2614:                             ;   in Loop: Header=BB312_1574 Depth=1
	v_cmp_ne_u16_sdwa s4, v0, v17 src0_sel:BYTE_0 src1_sel:DWORD
	v_mov_b32_e32 v71, 0x8000
	s_and_saveexec_b32 s18, s4
	s_cbranch_execz .LBB312_2620
; %bb.2615:                             ;   in Loop: Header=BB312_1574 Depth=1
	v_bfe_u32 v63, v11, 16, 7
	v_mov_b32_e32 v71, 0x7c01
	s_mov_b32 s20, exec_lo
	v_cmpx_ne_u32_e32 0x7f, v63
	s_cbranch_execz .LBB312_2619
; %bb.2616:                             ;   in Loop: Header=BB312_1574 Depth=1
	v_and_b32_e32 v71, 7, v0
	v_lshrrev_b32_e32 v62, 3, v63
	s_mov_b32 s21, exec_lo
	v_cmpx_gt_u32_e32 8, v63
; %bb.2617:                             ;   in Loop: Header=BB312_1574 Depth=1
	v_ffbh_u32_e32 v71, v71
	v_min_u32_e32 v62, 32, v71
	v_subrev_nc_u32_e32 v71, 28, v62
	v_sub_nc_u32_e32 v62, 29, v62
	v_lshlrev_b64 v[71:72], v71, v[0:1]
	v_and_b32_e32 v71, 7, v71
; %bb.2618:                             ;   in Loop: Header=BB312_1574 Depth=1
	s_or_b32 exec_lo, exec_lo, s21
	v_lshlrev_b32_e32 v0, 8, v0
	v_lshl_add_u32 v62, v62, 10, 0x2000
	v_lshlrev_b32_e32 v71, 7, v71
	v_and_b32_e32 v0, 0x8000, v0
	v_and_b32_e32 v62, 0xfc00, v62
	v_or3_b32 v71, v0, v62, v71
.LBB312_2619:                           ;   in Loop: Header=BB312_1574 Depth=1
	s_or_b32 exec_lo, exec_lo, s20
.LBB312_2620:                           ;   in Loop: Header=BB312_1574 Depth=1
	s_or_b32 exec_lo, exec_lo, s18
.LBB312_2621:                           ;   in Loop: Header=BB312_1574 Depth=1
	s_or_b32 exec_lo, exec_lo, s17
	v_cmp_lt_u64_e64 s4, s[12:13], v[10:11]
	v_mov_b32_e32 v10, 0
	s_and_saveexec_b32 s17, s4
	s_cbranch_execz .LBB312_2629
; %bb.2622:                             ;   in Loop: Header=BB312_1574 Depth=1
	v_lshrrev_b32_e32 v0, 24, v11
	v_bfrev_b32_e32 v10, 1
	s_mov_b32 s18, exec_lo
	v_cmpx_ne_u32_e32 0x80, v0
	s_cbranch_execz .LBB312_2628
; %bb.2623:                             ;   in Loop: Header=BB312_1574 Depth=1
	v_and_b32_e32 v62, 0x7f, v0
	v_mov_b32_e32 v10, 0x7c010000
	s_mov_b32 s20, exec_lo
	v_cmpx_ne_u32_e32 0x7f, v62
	s_cbranch_execz .LBB312_2627
; %bb.2624:                             ;   in Loop: Header=BB312_1574 Depth=1
	v_and_b32_e32 v10, 7, v0
	v_lshrrev_b32_e32 v11, 3, v62
	s_mov_b32 s21, exec_lo
	v_cmpx_gt_u32_e32 8, v62
; %bb.2625:                             ;   in Loop: Header=BB312_1574 Depth=1
	v_ffbh_u32_e32 v10, v10
	v_min_u32_e32 v62, 32, v10
	v_subrev_nc_u32_e32 v10, 28, v62
	v_lshlrev_b64 v[10:11], v10, v[0:1]
	v_sub_nc_u32_e32 v11, 29, v62
	v_and_b32_e32 v10, 7, v10
; %bb.2626:                             ;   in Loop: Header=BB312_1574 Depth=1
	s_or_b32 exec_lo, exec_lo, s21
	v_lshlrev_b32_e32 v0, 8, v0
	v_lshl_add_u32 v11, v11, 10, 0x2000
	v_lshlrev_b32_e32 v10, 23, v10
	v_and_or_b32 v0, 0x8000, v0, v11
	v_lshl_or_b32 v10, v0, 16, v10
.LBB312_2627:                           ;   in Loop: Header=BB312_1574 Depth=1
	s_or_b32 exec_lo, exec_lo, s20
.LBB312_2628:                           ;   in Loop: Header=BB312_1574 Depth=1
	s_or_b32 exec_lo, exec_lo, s18
.LBB312_2629:                           ;   in Loop: Header=BB312_1574 Depth=1
	s_or_b32 exec_lo, exec_lo, s17
	v_or_b32_e32 v0, v50, v70
	s_waitcnt vmcnt(0) lgkmcnt(0)
	v_fma_mixlo_f16 v11, v7, v50, 0 op_sel:[0,1,0] op_sel_hi:[0,1,0]
	v_or_b32_e32 v50, v48, v49
	v_fma_mixlo_f16 v48, v7, v48, 0 op_sel:[0,1,0] op_sel_hi:[0,1,0]
	v_or_b32_e32 v70, v61, v118
	v_fma_mixlo_f16 v118, v7, v0, 0 op_sel_hi:[0,1,0]
	v_or_b32_e32 v71, v10, v71
	v_lshlrev_b32_e32 v0, 16, v11
	v_lshlrev_b32_e32 v49, 16, v48
	v_fma_mixlo_f16 v48, v7, v50, 0 op_sel_hi:[0,1,0]
	v_and_b32_e32 v11, 0xffff, v118
	v_fma_mixlo_f16 v50, v7, v61, 0 op_sel:[0,1,0] op_sel_hi:[0,1,0]
	v_fma_mixlo_f16 v70, v7, v70, 0 op_sel_hi:[0,1,0]
	v_fma_mixlo_f16 v118, v7, v10, 0 op_sel:[0,1,0] op_sel_hi:[0,1,0]
	v_fma_mixlo_f16 v71, v7, v71, 0 op_sel_hi:[0,1,0]
	v_and_b32_e32 v62, 0xffff, v48
	v_lshlrev_b32_e32 v10, 16, v50
	v_and_b32_e32 v70, 0xffff, v70
	v_lshlrev_b32_e32 v7, 16, v118
	v_and_b32_e32 v48, 0xffff, v71
	v_or_b32_e32 v50, v0, v11
	v_or_b32_e32 v61, v49, v62
	;; [unrolled: 1-line block ×4, first 2 shown]
	s_and_saveexec_b32 s17, vcc_lo
	s_cbranch_execz .LBB312_2631
; %bb.2630:                             ;   in Loop: Header=BB312_1574 Depth=1
	v_cmp_lt_i32_e64 s4, v86, v36
	v_cndmask_b32_e64 v50, 0, v62, s4
	v_cmp_lt_i32_e64 s4, v115, v36
	v_cndmask_b32_e64 v49, 0, v49, s4
	v_cmp_lt_i32_e64 s4, v114, v36
	v_or_b32_e32 v61, v50, v49
	v_cndmask_b32_e64 v11, 0, v11, s4
	v_cmp_lt_i32_e64 s4, v113, v36
	v_cndmask_b32_e64 v0, 0, v0, s4
	v_cmp_lt_i32_e64 s4, v112, v36
	v_or_b32_e32 v50, v11, v0
	;; [unrolled: 5-line block ×3, first 2 shown]
	v_cndmask_b32_e64 v48, 0, v48, s4
	v_cmp_lt_i32_e64 s4, v101, v36
	v_cndmask_b32_e64 v7, 0, v7, s4
	v_or_b32_e32 v71, v48, v7
.LBB312_2631:                           ;   in Loop: Header=BB312_1574 Depth=1
	s_or_b32 exec_lo, exec_lo, s17
	v_add_co_u32 v8, s4, 0x1000, v8
	v_add_co_ci_u32_e64 v9, null, 0, v9, s4
	;;#ASMSTART
	v_pk_mul_f16 v0, v100, v61;

	;;#ASMEND
	;;#ASMSTART
	v_pk_mul_f16 v7, v99, v50;

	;;#ASMEND
	;;#ASMSTART
	v_pk_mul_f16 v10, v98, v118;

	;;#ASMEND
	;;#ASMSTART
	v_pk_mul_f16 v11, v97, v71;

	;;#ASMEND
	;;#ASMSTART
	v_pk_add_f16 v0, v0, v7;

	;;#ASMEND
	;;#ASMSTART
	v_pk_add_f16 v0, v0, v10;

	;;#ASMEND
	;; [unrolled: 4-line block ×3, first 2 shown]
	v_lshrrev_b32_e32 v7, 16, v0
	v_and_b32_e32 v0, 0xffff, v0
	;;#ASMSTART
	v_cvt_f32_f16 v48, v0;
	;;#ASMEND
	;;#ASMSTART
	v_cvt_f32_f16 v49, v7;
	;;#ASMEND
	flat_load_dwordx2 v[10:11], v[8:9]
	flat_load_dword v7, v[26:27]
	v_mov_b32_e32 v50, 0
	v_mov_b32_e32 v70, 0
	s_waitcnt vmcnt(1) lgkmcnt(1)
	v_cmp_ne_u16_sdwa s4, v10, v1 src0_sel:BYTE_0 src1_sel:DWORD
	s_and_saveexec_b32 s17, s4
	s_cbranch_execz .LBB312_2639
; %bb.2632:                             ;   in Loop: Header=BB312_1574 Depth=1
	v_cmp_ne_u16_sdwa s4, v10, v17 src0_sel:BYTE_0 src1_sel:DWORD
	v_mov_b32_e32 v70, 0x8000
	s_and_saveexec_b32 s18, s4
	s_cbranch_execz .LBB312_2638
; %bb.2633:                             ;   in Loop: Header=BB312_1574 Depth=1
	v_and_b32_e32 v71, 0x7f, v10
	v_mov_b32_e32 v70, 0x7c01
	s_mov_b32 s20, exec_lo
	v_cmpx_ne_u32_e32 0x7f, v71
	s_cbranch_execz .LBB312_2637
; %bb.2634:                             ;   in Loop: Header=BB312_1574 Depth=1
	v_and_b32_e32 v0, 7, v10
	v_lshrrev_b32_e32 v70, 3, v71
	s_mov_b32 s21, exec_lo
	v_cmpx_gt_u32_e32 8, v71
; %bb.2635:                             ;   in Loop: Header=BB312_1574 Depth=1
	v_ffbh_u32_e32 v0, v0
	v_min_u32_e32 v0, 32, v0
	v_subrev_nc_u32_e32 v70, 28, v0
	v_lshlrev_b64 v[61:62], v70, v[10:11]
	v_sub_nc_u32_e32 v70, 29, v0
	v_and_b32_e32 v0, 7, v61
; %bb.2636:                             ;   in Loop: Header=BB312_1574 Depth=1
	s_or_b32 exec_lo, exec_lo, s21
	v_lshlrev_b32_e32 v71, 8, v10
	v_lshl_add_u32 v70, v70, 10, 0x2000
	v_lshlrev_b32_e32 v0, 7, v0
	v_and_b32_e32 v71, 0x8000, v71
	v_and_b32_e32 v70, 0xfc00, v70
	v_or3_b32 v70, v71, v70, v0
.LBB312_2637:                           ;   in Loop: Header=BB312_1574 Depth=1
	s_or_b32 exec_lo, exec_lo, s20
.LBB312_2638:                           ;   in Loop: Header=BB312_1574 Depth=1
	s_or_b32 exec_lo, exec_lo, s18
.LBB312_2639:                           ;   in Loop: Header=BB312_1574 Depth=1
	s_or_b32 exec_lo, exec_lo, s17
	v_lshrrev_b16 v0, 8, v10
	s_mov_b32 s17, exec_lo
	v_cmpx_ne_u16_e32 0, v0
	s_cbranch_execz .LBB312_2647
; %bb.2640:                             ;   in Loop: Header=BB312_1574 Depth=1
	v_bfrev_b32_e32 v50, 1
	s_mov_b32 s18, exec_lo
	v_cmpx_ne_u16_e32 0x80, v0
	s_cbranch_execz .LBB312_2646
; %bb.2641:                             ;   in Loop: Header=BB312_1574 Depth=1
	v_and_b32_sdwa v118, v0, v51 dst_sel:DWORD dst_unused:UNUSED_PAD src0_sel:WORD_0 src1_sel:DWORD
	v_mov_b32_e32 v50, 0x7c010000
	s_mov_b32 s20, exec_lo
	v_cmpx_ne_u32_e32 0x7f, v118
	s_cbranch_execz .LBB312_2645
; %bb.2642:                             ;   in Loop: Header=BB312_1574 Depth=1
	v_and_b32_sdwa v50, v0, v52 dst_sel:DWORD dst_unused:UNUSED_PAD src0_sel:WORD_0 src1_sel:DWORD
	v_lshrrev_b32_e32 v71, 3, v118
	s_mov_b32 s21, exec_lo
	v_cmpx_gt_u32_e32 8, v118
; %bb.2643:                             ;   in Loop: Header=BB312_1574 Depth=1
	v_ffbh_u32_e32 v50, v50
	v_min_u32_e32 v50, 32, v50
	v_subrev_nc_u32_e32 v71, 28, v50
	v_lshlrev_b64 v[61:62], v71, v[0:1]
	v_sub_nc_u32_e32 v71, 29, v50
	v_and_b32_e32 v50, 7, v61
; %bb.2644:                             ;   in Loop: Header=BB312_1574 Depth=1
	s_or_b32 exec_lo, exec_lo, s21
	v_lshlrev_b32_sdwa v0, v53, v0 dst_sel:DWORD dst_unused:UNUSED_PAD src0_sel:DWORD src1_sel:WORD_0
	v_lshl_add_u32 v71, v71, 10, 0x2000
	v_lshlrev_b32_e32 v50, 23, v50
	v_and_or_b32 v0, 0x8000, v0, v71
	v_lshl_or_b32 v50, v0, 16, v50
.LBB312_2645:                           ;   in Loop: Header=BB312_1574 Depth=1
	s_or_b32 exec_lo, exec_lo, s20
.LBB312_2646:                           ;   in Loop: Header=BB312_1574 Depth=1
	s_or_b32 exec_lo, exec_lo, s18
.LBB312_2647:                           ;   in Loop: Header=BB312_1574 Depth=1
	s_or_b32 exec_lo, exec_lo, s17
	v_lshrrev_b32_e32 v0, 16, v10
	v_mov_b32_e32 v71, 0
	v_mov_b32_e32 v118, 0
	v_cmp_ne_u16_sdwa s4, v0, v1 src0_sel:BYTE_0 src1_sel:DWORD
	s_and_saveexec_b32 s17, s4
	s_cbranch_execz .LBB312_2655
; %bb.2648:                             ;   in Loop: Header=BB312_1574 Depth=1
	v_cmp_ne_u16_sdwa s4, v0, v17 src0_sel:BYTE_0 src1_sel:DWORD
	v_mov_b32_e32 v118, 0x8000
	s_and_saveexec_b32 s18, s4
	s_cbranch_execz .LBB312_2654
; %bb.2649:                             ;   in Loop: Header=BB312_1574 Depth=1
	v_bfe_u32 v62, v10, 16, 7
	v_mov_b32_e32 v118, 0x7c01
	s_mov_b32 s20, exec_lo
	v_cmpx_ne_u32_e32 0x7f, v62
	s_cbranch_execz .LBB312_2653
; %bb.2650:                             ;   in Loop: Header=BB312_1574 Depth=1
	v_and_b32_e32 v118, 7, v0
	v_lshrrev_b32_e32 v61, 3, v62
	s_mov_b32 s21, exec_lo
	v_cmpx_gt_u32_e32 8, v62
; %bb.2651:                             ;   in Loop: Header=BB312_1574 Depth=1
	v_ffbh_u32_e32 v118, v118
	v_min_u32_e32 v118, 32, v118
	v_subrev_nc_u32_e32 v61, 28, v118
	v_lshlrev_b64 v[62:63], v61, v[0:1]
	v_sub_nc_u32_e32 v61, 29, v118
	v_and_b32_e32 v118, 7, v62
; %bb.2652:                             ;   in Loop: Header=BB312_1574 Depth=1
	s_or_b32 exec_lo, exec_lo, s21
	v_lshlrev_b32_e32 v0, 8, v0
	v_lshl_add_u32 v61, v61, 10, 0x2000
	v_lshlrev_b32_e32 v118, 7, v118
	v_and_b32_e32 v0, 0x8000, v0
	v_and_b32_e32 v61, 0xfc00, v61
	v_or3_b32 v118, v0, v61, v118
.LBB312_2653:                           ;   in Loop: Header=BB312_1574 Depth=1
	s_or_b32 exec_lo, exec_lo, s20
.LBB312_2654:                           ;   in Loop: Header=BB312_1574 Depth=1
	s_or_b32 exec_lo, exec_lo, s18
.LBB312_2655:                           ;   in Loop: Header=BB312_1574 Depth=1
	s_or_b32 exec_lo, exec_lo, s17
	s_mov_b32 s17, exec_lo
	v_cmpx_lt_u32_e32 0xffffff, v10
	s_cbranch_execz .LBB312_2663
; %bb.2656:                             ;   in Loop: Header=BB312_1574 Depth=1
	v_lshrrev_b32_e32 v0, 24, v10
	v_bfrev_b32_e32 v71, 1
	s_mov_b32 s18, exec_lo
	v_cmpx_ne_u32_e32 0x80, v0
	s_cbranch_execz .LBB312_2662
; %bb.2657:                             ;   in Loop: Header=BB312_1574 Depth=1
	v_and_b32_e32 v62, 0x7f, v0
	v_mov_b32_e32 v71, 0x7c010000
	s_mov_b32 s20, exec_lo
	v_cmpx_ne_u32_e32 0x7f, v62
	s_cbranch_execz .LBB312_2661
; %bb.2658:                             ;   in Loop: Header=BB312_1574 Depth=1
	v_and_b32_e32 v71, 7, v0
	v_lshrrev_b32_e32 v61, 3, v62
	s_mov_b32 s21, exec_lo
	v_cmpx_gt_u32_e32 8, v62
; %bb.2659:                             ;   in Loop: Header=BB312_1574 Depth=1
	v_ffbh_u32_e32 v71, v71
	v_min_u32_e32 v71, 32, v71
	v_subrev_nc_u32_e32 v61, 28, v71
	v_lshlrev_b64 v[62:63], v61, v[0:1]
	v_sub_nc_u32_e32 v61, 29, v71
	v_and_b32_e32 v71, 7, v62
; %bb.2660:                             ;   in Loop: Header=BB312_1574 Depth=1
	s_or_b32 exec_lo, exec_lo, s21
	v_lshlrev_b32_e32 v0, 8, v0
	v_lshl_add_u32 v61, v61, 10, 0x2000
	v_lshlrev_b32_e32 v71, 23, v71
	v_and_or_b32 v0, 0x8000, v0, v61
	v_lshl_or_b32 v71, v0, 16, v71
.LBB312_2661:                           ;   in Loop: Header=BB312_1574 Depth=1
	s_or_b32 exec_lo, exec_lo, s20
.LBB312_2662:                           ;   in Loop: Header=BB312_1574 Depth=1
	s_or_b32 exec_lo, exec_lo, s18
.LBB312_2663:                           ;   in Loop: Header=BB312_1574 Depth=1
	s_or_b32 exec_lo, exec_lo, s17
	v_mov_b32_e32 v0, v11
	v_cmp_ne_u16_sdwa s4, v11, v1 src0_sel:BYTE_0 src1_sel:DWORD
	v_mov_b32_e32 v61, 0
	v_mov_b32_e32 v62, 0
	s_and_saveexec_b32 s17, s4
	s_cbranch_execz .LBB312_2671
; %bb.2664:                             ;   in Loop: Header=BB312_1574 Depth=1
	v_cmp_ne_u16_sdwa s4, v11, v17 src0_sel:BYTE_0 src1_sel:DWORD
	v_mov_b32_e32 v62, 0x8000
	s_and_saveexec_b32 s18, s4
	s_cbranch_execz .LBB312_2670
; %bb.2665:                             ;   in Loop: Header=BB312_1574 Depth=1
	v_and_b32_e32 v72, 0x7f, v11
	v_mov_b32_e32 v62, 0x7c01
	s_mov_b32 s20, exec_lo
	v_cmpx_ne_u32_e32 0x7f, v72
	s_cbranch_execz .LBB312_2669
; %bb.2666:                             ;   in Loop: Header=BB312_1574 Depth=1
	v_and_b32_e32 v62, 7, v11
	v_lshrrev_b32_e32 v63, 3, v72
	s_mov_b32 s21, exec_lo
	v_cmpx_gt_u32_e32 8, v72
; %bb.2667:                             ;   in Loop: Header=BB312_1574 Depth=1
	v_ffbh_u32_e32 v62, v62
	v_min_u32_e32 v72, 32, v62
	v_subrev_nc_u32_e32 v62, 28, v72
	v_lshlrev_b64 v[62:63], v62, v[0:1]
	v_sub_nc_u32_e32 v63, 29, v72
	v_and_b32_e32 v62, 7, v62
; %bb.2668:                             ;   in Loop: Header=BB312_1574 Depth=1
	s_or_b32 exec_lo, exec_lo, s21
	v_lshlrev_b32_e32 v72, 8, v11
	v_lshl_add_u32 v63, v63, 10, 0x2000
	v_lshlrev_b32_e32 v62, 7, v62
	v_and_b32_e32 v72, 0x8000, v72
	v_and_b32_e32 v63, 0xfc00, v63
	v_or3_b32 v62, v72, v63, v62
.LBB312_2669:                           ;   in Loop: Header=BB312_1574 Depth=1
	s_or_b32 exec_lo, exec_lo, s20
.LBB312_2670:                           ;   in Loop: Header=BB312_1574 Depth=1
	s_or_b32 exec_lo, exec_lo, s18
.LBB312_2671:                           ;   in Loop: Header=BB312_1574 Depth=1
	s_or_b32 exec_lo, exec_lo, s17
	v_lshrrev_b16 v0, 8, v0
	v_mov_b32_e32 v63, 0
	s_mov_b32 s17, exec_lo
	v_cmpx_ne_u16_e32 0, v0
	s_cbranch_execz .LBB312_2679
; %bb.2672:                             ;   in Loop: Header=BB312_1574 Depth=1
	v_bfrev_b32_e32 v63, 1
	s_mov_b32 s18, exec_lo
	v_cmpx_ne_u16_e32 0x80, v0
	s_cbranch_execz .LBB312_2678
; %bb.2673:                             ;   in Loop: Header=BB312_1574 Depth=1
	v_and_b32_sdwa v73, v0, v51 dst_sel:DWORD dst_unused:UNUSED_PAD src0_sel:WORD_0 src1_sel:DWORD
	v_mov_b32_e32 v63, 0x7c010000
	s_mov_b32 s20, exec_lo
	v_cmpx_ne_u32_e32 0x7f, v73
	s_cbranch_execz .LBB312_2677
; %bb.2674:                             ;   in Loop: Header=BB312_1574 Depth=1
	v_and_b32_sdwa v63, v0, v52 dst_sel:DWORD dst_unused:UNUSED_PAD src0_sel:WORD_0 src1_sel:DWORD
	v_lshrrev_b32_e32 v72, 3, v73
	s_mov_b32 s21, exec_lo
	v_cmpx_gt_u32_e32 8, v73
; %bb.2675:                             ;   in Loop: Header=BB312_1574 Depth=1
	v_ffbh_u32_e32 v63, v63
	v_min_u32_e32 v63, 32, v63
	v_subrev_nc_u32_e32 v72, 28, v63
	v_lshlrev_b64 v[73:74], v72, v[0:1]
	v_sub_nc_u32_e32 v72, 29, v63
	v_and_b32_e32 v63, 7, v73
; %bb.2676:                             ;   in Loop: Header=BB312_1574 Depth=1
	s_or_b32 exec_lo, exec_lo, s21
	v_lshlrev_b32_sdwa v0, v53, v0 dst_sel:DWORD dst_unused:UNUSED_PAD src0_sel:DWORD src1_sel:WORD_0
	v_lshl_add_u32 v72, v72, 10, 0x2000
	v_lshlrev_b32_e32 v63, 23, v63
	v_and_or_b32 v0, 0x8000, v0, v72
	v_lshl_or_b32 v63, v0, 16, v63
.LBB312_2677:                           ;   in Loop: Header=BB312_1574 Depth=1
	s_or_b32 exec_lo, exec_lo, s20
.LBB312_2678:                           ;   in Loop: Header=BB312_1574 Depth=1
	s_or_b32 exec_lo, exec_lo, s18
.LBB312_2679:                           ;   in Loop: Header=BB312_1574 Depth=1
	s_or_b32 exec_lo, exec_lo, s17
	v_lshrrev_b32_e32 v0, 16, v11
	v_cmp_ne_u16_sdwa s4, v0, v1 src0_sel:BYTE_0 src1_sel:DWORD
	s_and_saveexec_b32 s17, s4
	s_cbranch_execz .LBB312_2687
; %bb.2680:                             ;   in Loop: Header=BB312_1574 Depth=1
	v_cmp_ne_u16_sdwa s4, v0, v17 src0_sel:BYTE_0 src1_sel:DWORD
	v_mov_b32_e32 v61, 0x8000
	s_and_saveexec_b32 s18, s4
	s_cbranch_execz .LBB312_2686
; %bb.2681:                             ;   in Loop: Header=BB312_1574 Depth=1
	v_bfe_u32 v73, v11, 16, 7
	v_mov_b32_e32 v61, 0x7c01
	s_mov_b32 s20, exec_lo
	v_cmpx_ne_u32_e32 0x7f, v73
	s_cbranch_execz .LBB312_2685
; %bb.2682:                             ;   in Loop: Header=BB312_1574 Depth=1
	v_and_b32_e32 v61, 7, v0
	v_lshrrev_b32_e32 v72, 3, v73
	s_mov_b32 s21, exec_lo
	v_cmpx_gt_u32_e32 8, v73
; %bb.2683:                             ;   in Loop: Header=BB312_1574 Depth=1
	v_ffbh_u32_e32 v61, v61
	v_min_u32_e32 v61, 32, v61
	v_subrev_nc_u32_e32 v72, 28, v61
	v_lshlrev_b64 v[73:74], v72, v[0:1]
	v_sub_nc_u32_e32 v72, 29, v61
	v_and_b32_e32 v61, 7, v73
; %bb.2684:                             ;   in Loop: Header=BB312_1574 Depth=1
	s_or_b32 exec_lo, exec_lo, s21
	v_lshlrev_b32_e32 v0, 8, v0
	v_lshl_add_u32 v72, v72, 10, 0x2000
	v_lshlrev_b32_e32 v61, 7, v61
	v_and_b32_e32 v0, 0x8000, v0
	v_and_b32_e32 v72, 0xfc00, v72
	v_or3_b32 v61, v0, v72, v61
.LBB312_2685:                           ;   in Loop: Header=BB312_1574 Depth=1
	s_or_b32 exec_lo, exec_lo, s20
.LBB312_2686:                           ;   in Loop: Header=BB312_1574 Depth=1
	s_or_b32 exec_lo, exec_lo, s18
.LBB312_2687:                           ;   in Loop: Header=BB312_1574 Depth=1
	s_or_b32 exec_lo, exec_lo, s17
	v_cmp_lt_u64_e64 s4, s[12:13], v[10:11]
	v_mov_b32_e32 v10, 0
	s_and_saveexec_b32 s17, s4
	s_cbranch_execz .LBB312_2695
; %bb.2688:                             ;   in Loop: Header=BB312_1574 Depth=1
	v_lshrrev_b32_e32 v0, 24, v11
	v_bfrev_b32_e32 v10, 1
	s_mov_b32 s18, exec_lo
	v_cmpx_ne_u32_e32 0x80, v0
	s_cbranch_execz .LBB312_2694
; %bb.2689:                             ;   in Loop: Header=BB312_1574 Depth=1
	v_and_b32_e32 v72, 0x7f, v0
	v_mov_b32_e32 v10, 0x7c010000
	s_mov_b32 s20, exec_lo
	v_cmpx_ne_u32_e32 0x7f, v72
	s_cbranch_execz .LBB312_2693
; %bb.2690:                             ;   in Loop: Header=BB312_1574 Depth=1
	v_and_b32_e32 v10, 7, v0
	v_lshrrev_b32_e32 v11, 3, v72
	s_mov_b32 s21, exec_lo
	v_cmpx_gt_u32_e32 8, v72
; %bb.2691:                             ;   in Loop: Header=BB312_1574 Depth=1
	v_ffbh_u32_e32 v10, v10
	v_min_u32_e32 v72, 32, v10
	v_subrev_nc_u32_e32 v10, 28, v72
	v_lshlrev_b64 v[10:11], v10, v[0:1]
	v_sub_nc_u32_e32 v11, 29, v72
	v_and_b32_e32 v10, 7, v10
; %bb.2692:                             ;   in Loop: Header=BB312_1574 Depth=1
	s_or_b32 exec_lo, exec_lo, s21
	v_lshlrev_b32_e32 v0, 8, v0
	v_lshl_add_u32 v11, v11, 10, 0x2000
	v_lshlrev_b32_e32 v10, 23, v10
	v_and_or_b32 v0, 0x8000, v0, v11
	v_lshl_or_b32 v10, v0, 16, v10
.LBB312_2693:                           ;   in Loop: Header=BB312_1574 Depth=1
	s_or_b32 exec_lo, exec_lo, s20
.LBB312_2694:                           ;   in Loop: Header=BB312_1574 Depth=1
	s_or_b32 exec_lo, exec_lo, s18
.LBB312_2695:                           ;   in Loop: Header=BB312_1574 Depth=1
	s_or_b32 exec_lo, exec_lo, s17
	v_or_b32_e32 v0, v71, v118
	s_waitcnt vmcnt(0) lgkmcnt(0)
	v_fma_mixlo_f16 v11, v7, v71, 0 op_sel:[0,1,0] op_sel_hi:[0,1,0]
	v_or_b32_e32 v71, v50, v70
	v_fma_mixlo_f16 v50, v7, v50, 0 op_sel:[0,1,0] op_sel_hi:[0,1,0]
	v_or_b32_e32 v118, v63, v62
	v_fma_mixlo_f16 v62, v7, v0, 0 op_sel_hi:[0,1,0]
	v_or_b32_e32 v61, v10, v61
	v_lshlrev_b32_e32 v0, 16, v11
	v_lshlrev_b32_e32 v70, 16, v50
	v_fma_mixlo_f16 v50, v7, v71, 0 op_sel_hi:[0,1,0]
	v_and_b32_e32 v11, 0xffff, v62
	v_fma_mixlo_f16 v71, v7, v63, 0 op_sel:[0,1,0] op_sel_hi:[0,1,0]
	v_fma_mixlo_f16 v118, v7, v118, 0 op_sel_hi:[0,1,0]
	v_fma_mixlo_f16 v62, v7, v10, 0 op_sel:[0,1,0] op_sel_hi:[0,1,0]
	v_fma_mixlo_f16 v61, v7, v61, 0 op_sel_hi:[0,1,0]
	v_and_b32_e32 v72, 0xffff, v50
	v_lshlrev_b32_e32 v10, 16, v71
	v_and_b32_e32 v118, 0xffff, v118
	v_lshlrev_b32_e32 v7, 16, v62
	v_and_b32_e32 v50, 0xffff, v61
	v_or_b32_e32 v71, v0, v11
	v_or_b32_e32 v63, v70, v72
	;; [unrolled: 1-line block ×4, first 2 shown]
	s_and_saveexec_b32 s17, vcc_lo
	s_cbranch_execz .LBB312_2697
; %bb.2696:                             ;   in Loop: Header=BB312_1574 Depth=1
	v_cmp_lt_i32_e64 s4, v86, v36
	v_cndmask_b32_e64 v71, 0, v72, s4
	v_cmp_lt_i32_e64 s4, v115, v36
	v_cndmask_b32_e64 v70, 0, v70, s4
	v_cmp_lt_i32_e64 s4, v114, v36
	v_or_b32_e32 v63, v71, v70
	v_cndmask_b32_e64 v11, 0, v11, s4
	v_cmp_lt_i32_e64 s4, v113, v36
	v_cndmask_b32_e64 v0, 0, v0, s4
	v_cmp_lt_i32_e64 s4, v112, v36
	v_or_b32_e32 v71, v11, v0
	;; [unrolled: 5-line block ×3, first 2 shown]
	v_cndmask_b32_e64 v50, 0, v50, s4
	v_cmp_lt_i32_e64 s4, v101, v36
	v_cndmask_b32_e64 v7, 0, v7, s4
	v_or_b32_e32 v61, v50, v7
.LBB312_2697:                           ;   in Loop: Header=BB312_1574 Depth=1
	s_or_b32 exec_lo, exec_lo, s17
	;;#ASMSTART
	v_pk_mul_f16 v0, v100, v63;

	;;#ASMEND
	;;#ASMSTART
	v_pk_mul_f16 v7, v99, v71;

	;;#ASMEND
	;; [unrolled: 4-line block ×4, first 2 shown]
	;;#ASMSTART
	v_pk_add_f16 v0, v0, v7;

	;;#ASMEND
	;;#ASMSTART
	v_pk_add_f16 v0, v0, v10;

	;;#ASMEND
	;; [unrolled: 4-line block ×3, first 2 shown]
	v_and_b32_e32 v7, 0xffff, v0
	v_lshrrev_b32_e32 v0, 16, v0
	;;#ASMSTART
	v_cvt_f32_f16 v50, v7;
	;;#ASMEND
	;;#ASMSTART
	v_cvt_f32_f16 v62, v0;
	;;#ASMEND
	flat_load_dwordx2 v[10:11], v[8:9] offset:256
	flat_load_dword v7, v[26:27]
	v_mov_b32_e32 v70, 0
	v_mov_b32_e32 v71, 0
	s_waitcnt vmcnt(1) lgkmcnt(1)
	v_cmp_ne_u16_sdwa s4, v10, v1 src0_sel:BYTE_0 src1_sel:DWORD
	s_and_saveexec_b32 s17, s4
	s_cbranch_execz .LBB312_2705
; %bb.2698:                             ;   in Loop: Header=BB312_1574 Depth=1
	v_cmp_ne_u16_sdwa s4, v10, v17 src0_sel:BYTE_0 src1_sel:DWORD
	v_mov_b32_e32 v71, 0x8000
	s_and_saveexec_b32 s18, s4
	s_cbranch_execz .LBB312_2704
; %bb.2699:                             ;   in Loop: Header=BB312_1574 Depth=1
	v_and_b32_e32 v118, 0x7f, v10
	v_mov_b32_e32 v71, 0x7c01
	s_mov_b32 s20, exec_lo
	v_cmpx_ne_u32_e32 0x7f, v118
	s_cbranch_execz .LBB312_2703
; %bb.2700:                             ;   in Loop: Header=BB312_1574 Depth=1
	v_and_b32_e32 v0, 7, v10
	v_lshrrev_b32_e32 v71, 3, v118
	s_mov_b32 s21, exec_lo
	v_cmpx_gt_u32_e32 8, v118
; %bb.2701:                             ;   in Loop: Header=BB312_1574 Depth=1
	v_ffbh_u32_e32 v0, v0
	v_min_u32_e32 v0, 32, v0
	v_subrev_nc_u32_e32 v71, 28, v0
	v_lshlrev_b64 v[72:73], v71, v[10:11]
	v_sub_nc_u32_e32 v71, 29, v0
	v_and_b32_e32 v0, 7, v72
; %bb.2702:                             ;   in Loop: Header=BB312_1574 Depth=1
	s_or_b32 exec_lo, exec_lo, s21
	v_lshlrev_b32_e32 v118, 8, v10
	v_lshl_add_u32 v71, v71, 10, 0x2000
	v_lshlrev_b32_e32 v0, 7, v0
	v_and_b32_e32 v118, 0x8000, v118
	v_and_b32_e32 v71, 0xfc00, v71
	v_or3_b32 v71, v118, v71, v0
.LBB312_2703:                           ;   in Loop: Header=BB312_1574 Depth=1
	s_or_b32 exec_lo, exec_lo, s20
.LBB312_2704:                           ;   in Loop: Header=BB312_1574 Depth=1
	s_or_b32 exec_lo, exec_lo, s18
.LBB312_2705:                           ;   in Loop: Header=BB312_1574 Depth=1
	s_or_b32 exec_lo, exec_lo, s17
	v_lshrrev_b16 v0, 8, v10
	s_mov_b32 s17, exec_lo
	v_cmpx_ne_u16_e32 0, v0
	s_cbranch_execz .LBB312_2713
; %bb.2706:                             ;   in Loop: Header=BB312_1574 Depth=1
	v_bfrev_b32_e32 v70, 1
	s_mov_b32 s18, exec_lo
	v_cmpx_ne_u16_e32 0x80, v0
	s_cbranch_execz .LBB312_2712
; %bb.2707:                             ;   in Loop: Header=BB312_1574 Depth=1
	v_and_b32_sdwa v61, v0, v51 dst_sel:DWORD dst_unused:UNUSED_PAD src0_sel:WORD_0 src1_sel:DWORD
	v_mov_b32_e32 v70, 0x7c010000
	s_mov_b32 s20, exec_lo
	v_cmpx_ne_u32_e32 0x7f, v61
	s_cbranch_execz .LBB312_2711
; %bb.2708:                             ;   in Loop: Header=BB312_1574 Depth=1
	v_and_b32_sdwa v70, v0, v52 dst_sel:DWORD dst_unused:UNUSED_PAD src0_sel:WORD_0 src1_sel:DWORD
	v_lshrrev_b32_e32 v118, 3, v61
	s_mov_b32 s21, exec_lo
	v_cmpx_gt_u32_e32 8, v61
; %bb.2709:                             ;   in Loop: Header=BB312_1574 Depth=1
	v_ffbh_u32_e32 v70, v70
	v_min_u32_e32 v70, 32, v70
	v_subrev_nc_u32_e32 v118, 28, v70
	v_lshlrev_b64 v[72:73], v118, v[0:1]
	v_sub_nc_u32_e32 v118, 29, v70
	v_and_b32_e32 v70, 7, v72
; %bb.2710:                             ;   in Loop: Header=BB312_1574 Depth=1
	s_or_b32 exec_lo, exec_lo, s21
	v_lshlrev_b32_sdwa v0, v53, v0 dst_sel:DWORD dst_unused:UNUSED_PAD src0_sel:DWORD src1_sel:WORD_0
	v_lshl_add_u32 v118, v118, 10, 0x2000
	v_lshlrev_b32_e32 v70, 23, v70
	v_and_or_b32 v0, 0x8000, v0, v118
	v_lshl_or_b32 v70, v0, 16, v70
.LBB312_2711:                           ;   in Loop: Header=BB312_1574 Depth=1
	s_or_b32 exec_lo, exec_lo, s20
.LBB312_2712:                           ;   in Loop: Header=BB312_1574 Depth=1
	s_or_b32 exec_lo, exec_lo, s18
.LBB312_2713:                           ;   in Loop: Header=BB312_1574 Depth=1
	s_or_b32 exec_lo, exec_lo, s17
	v_lshrrev_b32_e32 v0, 16, v10
	v_mov_b32_e32 v118, 0
	v_mov_b32_e32 v61, 0
	v_cmp_ne_u16_sdwa s4, v0, v1 src0_sel:BYTE_0 src1_sel:DWORD
	s_and_saveexec_b32 s17, s4
	s_cbranch_execz .LBB312_2721
; %bb.2714:                             ;   in Loop: Header=BB312_1574 Depth=1
	v_cmp_ne_u16_sdwa s4, v0, v17 src0_sel:BYTE_0 src1_sel:DWORD
	v_mov_b32_e32 v61, 0x8000
	s_and_saveexec_b32 s18, s4
	s_cbranch_execz .LBB312_2720
; %bb.2715:                             ;   in Loop: Header=BB312_1574 Depth=1
	v_bfe_u32 v72, v10, 16, 7
	v_mov_b32_e32 v61, 0x7c01
	s_mov_b32 s20, exec_lo
	v_cmpx_ne_u32_e32 0x7f, v72
	s_cbranch_execz .LBB312_2719
; %bb.2716:                             ;   in Loop: Header=BB312_1574 Depth=1
	v_and_b32_e32 v61, 7, v0
	v_lshrrev_b32_e32 v63, 3, v72
	s_mov_b32 s21, exec_lo
	v_cmpx_gt_u32_e32 8, v72
; %bb.2717:                             ;   in Loop: Header=BB312_1574 Depth=1
	v_ffbh_u32_e32 v61, v61
	v_min_u32_e32 v61, 32, v61
	v_subrev_nc_u32_e32 v63, 28, v61
	v_lshlrev_b64 v[72:73], v63, v[0:1]
	v_sub_nc_u32_e32 v63, 29, v61
	v_and_b32_e32 v61, 7, v72
; %bb.2718:                             ;   in Loop: Header=BB312_1574 Depth=1
	s_or_b32 exec_lo, exec_lo, s21
	v_lshlrev_b32_e32 v0, 8, v0
	v_lshl_add_u32 v63, v63, 10, 0x2000
	v_lshlrev_b32_e32 v61, 7, v61
	v_and_b32_e32 v0, 0x8000, v0
	v_and_b32_e32 v63, 0xfc00, v63
	v_or3_b32 v61, v0, v63, v61
.LBB312_2719:                           ;   in Loop: Header=BB312_1574 Depth=1
	s_or_b32 exec_lo, exec_lo, s20
.LBB312_2720:                           ;   in Loop: Header=BB312_1574 Depth=1
	s_or_b32 exec_lo, exec_lo, s18
.LBB312_2721:                           ;   in Loop: Header=BB312_1574 Depth=1
	s_or_b32 exec_lo, exec_lo, s17
	s_mov_b32 s17, exec_lo
	v_cmpx_lt_u32_e32 0xffffff, v10
	s_cbranch_execz .LBB312_2729
; %bb.2722:                             ;   in Loop: Header=BB312_1574 Depth=1
	v_lshrrev_b32_e32 v0, 24, v10
	v_bfrev_b32_e32 v118, 1
	s_mov_b32 s18, exec_lo
	v_cmpx_ne_u32_e32 0x80, v0
	s_cbranch_execz .LBB312_2728
; %bb.2723:                             ;   in Loop: Header=BB312_1574 Depth=1
	v_and_b32_e32 v72, 0x7f, v0
	v_mov_b32_e32 v118, 0x7c010000
	s_mov_b32 s20, exec_lo
	v_cmpx_ne_u32_e32 0x7f, v72
	s_cbranch_execz .LBB312_2727
; %bb.2724:                             ;   in Loop: Header=BB312_1574 Depth=1
	v_and_b32_e32 v118, 7, v0
	v_lshrrev_b32_e32 v63, 3, v72
	s_mov_b32 s21, exec_lo
	v_cmpx_gt_u32_e32 8, v72
; %bb.2725:                             ;   in Loop: Header=BB312_1574 Depth=1
	v_ffbh_u32_e32 v118, v118
	v_min_u32_e32 v118, 32, v118
	v_subrev_nc_u32_e32 v63, 28, v118
	v_lshlrev_b64 v[72:73], v63, v[0:1]
	v_sub_nc_u32_e32 v63, 29, v118
	v_and_b32_e32 v118, 7, v72
; %bb.2726:                             ;   in Loop: Header=BB312_1574 Depth=1
	s_or_b32 exec_lo, exec_lo, s21
	v_lshlrev_b32_e32 v0, 8, v0
	v_lshl_add_u32 v63, v63, 10, 0x2000
	v_lshlrev_b32_e32 v118, 23, v118
	v_and_or_b32 v0, 0x8000, v0, v63
	v_lshl_or_b32 v118, v0, 16, v118
.LBB312_2727:                           ;   in Loop: Header=BB312_1574 Depth=1
	s_or_b32 exec_lo, exec_lo, s20
.LBB312_2728:                           ;   in Loop: Header=BB312_1574 Depth=1
	s_or_b32 exec_lo, exec_lo, s18
.LBB312_2729:                           ;   in Loop: Header=BB312_1574 Depth=1
	s_or_b32 exec_lo, exec_lo, s17
	v_mov_b32_e32 v0, v11
	v_cmp_ne_u16_sdwa s4, v11, v1 src0_sel:BYTE_0 src1_sel:DWORD
	v_mov_b32_e32 v63, 0
	v_mov_b32_e32 v72, 0
	s_and_saveexec_b32 s17, s4
	s_cbranch_execz .LBB312_2737
; %bb.2730:                             ;   in Loop: Header=BB312_1574 Depth=1
	v_cmp_ne_u16_sdwa s4, v11, v17 src0_sel:BYTE_0 src1_sel:DWORD
	v_mov_b32_e32 v72, 0x8000
	s_and_saveexec_b32 s18, s4
	s_cbranch_execz .LBB312_2736
; %bb.2731:                             ;   in Loop: Header=BB312_1574 Depth=1
	v_and_b32_e32 v74, 0x7f, v11
	v_mov_b32_e32 v72, 0x7c01
	s_mov_b32 s20, exec_lo
	v_cmpx_ne_u32_e32 0x7f, v74
	s_cbranch_execz .LBB312_2735
; %bb.2732:                             ;   in Loop: Header=BB312_1574 Depth=1
	v_and_b32_e32 v72, 7, v11
	v_lshrrev_b32_e32 v73, 3, v74
	s_mov_b32 s21, exec_lo
	v_cmpx_gt_u32_e32 8, v74
; %bb.2733:                             ;   in Loop: Header=BB312_1574 Depth=1
	v_ffbh_u32_e32 v72, v72
	v_min_u32_e32 v74, 32, v72
	v_subrev_nc_u32_e32 v72, 28, v74
	v_lshlrev_b64 v[72:73], v72, v[0:1]
	v_sub_nc_u32_e32 v73, 29, v74
	v_and_b32_e32 v72, 7, v72
; %bb.2734:                             ;   in Loop: Header=BB312_1574 Depth=1
	s_or_b32 exec_lo, exec_lo, s21
	v_lshlrev_b32_e32 v74, 8, v11
	v_lshl_add_u32 v73, v73, 10, 0x2000
	v_lshlrev_b32_e32 v72, 7, v72
	v_and_b32_e32 v74, 0x8000, v74
	v_and_b32_e32 v73, 0xfc00, v73
	v_or3_b32 v72, v74, v73, v72
.LBB312_2735:                           ;   in Loop: Header=BB312_1574 Depth=1
	s_or_b32 exec_lo, exec_lo, s20
.LBB312_2736:                           ;   in Loop: Header=BB312_1574 Depth=1
	s_or_b32 exec_lo, exec_lo, s18
.LBB312_2737:                           ;   in Loop: Header=BB312_1574 Depth=1
	s_or_b32 exec_lo, exec_lo, s17
	v_lshrrev_b16 v0, 8, v0
	v_mov_b32_e32 v73, 0
	s_mov_b32 s17, exec_lo
	v_cmpx_ne_u16_e32 0, v0
	s_cbranch_execz .LBB312_2745
; %bb.2738:                             ;   in Loop: Header=BB312_1574 Depth=1
	v_bfrev_b32_e32 v73, 1
	s_mov_b32 s18, exec_lo
	v_cmpx_ne_u16_e32 0x80, v0
	s_cbranch_execz .LBB312_2744
; %bb.2739:                             ;   in Loop: Header=BB312_1574 Depth=1
	v_and_b32_sdwa v75, v0, v51 dst_sel:DWORD dst_unused:UNUSED_PAD src0_sel:WORD_0 src1_sel:DWORD
	v_mov_b32_e32 v73, 0x7c010000
	s_mov_b32 s20, exec_lo
	v_cmpx_ne_u32_e32 0x7f, v75
	s_cbranch_execz .LBB312_2743
; %bb.2740:                             ;   in Loop: Header=BB312_1574 Depth=1
	v_and_b32_sdwa v73, v0, v52 dst_sel:DWORD dst_unused:UNUSED_PAD src0_sel:WORD_0 src1_sel:DWORD
	v_lshrrev_b32_e32 v74, 3, v75
	s_mov_b32 s21, exec_lo
	v_cmpx_gt_u32_e32 8, v75
; %bb.2741:                             ;   in Loop: Header=BB312_1574 Depth=1
	v_ffbh_u32_e32 v73, v73
	v_min_u32_e32 v75, 32, v73
	v_subrev_nc_u32_e32 v73, 28, v75
	v_lshlrev_b64 v[73:74], v73, v[0:1]
	v_sub_nc_u32_e32 v74, 29, v75
	v_and_b32_e32 v73, 7, v73
; %bb.2742:                             ;   in Loop: Header=BB312_1574 Depth=1
	s_or_b32 exec_lo, exec_lo, s21
	v_lshlrev_b32_sdwa v0, v53, v0 dst_sel:DWORD dst_unused:UNUSED_PAD src0_sel:DWORD src1_sel:WORD_0
	v_lshl_add_u32 v74, v74, 10, 0x2000
	v_lshlrev_b32_e32 v73, 23, v73
	v_and_or_b32 v0, 0x8000, v0, v74
	v_lshl_or_b32 v73, v0, 16, v73
.LBB312_2743:                           ;   in Loop: Header=BB312_1574 Depth=1
	s_or_b32 exec_lo, exec_lo, s20
.LBB312_2744:                           ;   in Loop: Header=BB312_1574 Depth=1
	s_or_b32 exec_lo, exec_lo, s18
.LBB312_2745:                           ;   in Loop: Header=BB312_1574 Depth=1
	s_or_b32 exec_lo, exec_lo, s17
	v_lshrrev_b32_e32 v0, 16, v11
	v_cmp_ne_u16_sdwa s4, v0, v1 src0_sel:BYTE_0 src1_sel:DWORD
	s_and_saveexec_b32 s17, s4
	s_cbranch_execz .LBB312_2753
; %bb.2746:                             ;   in Loop: Header=BB312_1574 Depth=1
	v_cmp_ne_u16_sdwa s4, v0, v17 src0_sel:BYTE_0 src1_sel:DWORD
	v_mov_b32_e32 v63, 0x8000
	s_and_saveexec_b32 s18, s4
	s_cbranch_execz .LBB312_2752
; %bb.2747:                             ;   in Loop: Header=BB312_1574 Depth=1
	v_bfe_u32 v75, v11, 16, 7
	v_mov_b32_e32 v63, 0x7c01
	s_mov_b32 s20, exec_lo
	v_cmpx_ne_u32_e32 0x7f, v75
	s_cbranch_execz .LBB312_2751
; %bb.2748:                             ;   in Loop: Header=BB312_1574 Depth=1
	v_and_b32_e32 v63, 7, v0
	v_lshrrev_b32_e32 v74, 3, v75
	s_mov_b32 s21, exec_lo
	v_cmpx_gt_u32_e32 8, v75
; %bb.2749:                             ;   in Loop: Header=BB312_1574 Depth=1
	v_ffbh_u32_e32 v63, v63
	v_min_u32_e32 v63, 32, v63
	v_subrev_nc_u32_e32 v74, 28, v63
	v_lshlrev_b64 v[88:89], v74, v[0:1]
	v_sub_nc_u32_e32 v74, 29, v63
	v_and_b32_e32 v63, 7, v88
; %bb.2750:                             ;   in Loop: Header=BB312_1574 Depth=1
	s_or_b32 exec_lo, exec_lo, s21
	v_lshlrev_b32_e32 v0, 8, v0
	v_lshl_add_u32 v74, v74, 10, 0x2000
	v_lshlrev_b32_e32 v63, 7, v63
	v_and_b32_e32 v0, 0x8000, v0
	v_and_b32_e32 v74, 0xfc00, v74
	v_or3_b32 v63, v0, v74, v63
.LBB312_2751:                           ;   in Loop: Header=BB312_1574 Depth=1
	s_or_b32 exec_lo, exec_lo, s20
.LBB312_2752:                           ;   in Loop: Header=BB312_1574 Depth=1
	s_or_b32 exec_lo, exec_lo, s18
.LBB312_2753:                           ;   in Loop: Header=BB312_1574 Depth=1
	s_or_b32 exec_lo, exec_lo, s17
	v_cmp_lt_u64_e64 s4, s[12:13], v[10:11]
	v_mov_b32_e32 v10, 0
	s_and_saveexec_b32 s17, s4
	s_cbranch_execz .LBB312_2761
; %bb.2754:                             ;   in Loop: Header=BB312_1574 Depth=1
	v_lshrrev_b32_e32 v0, 24, v11
	v_bfrev_b32_e32 v10, 1
	s_mov_b32 s18, exec_lo
	v_cmpx_ne_u32_e32 0x80, v0
	s_cbranch_execz .LBB312_2760
; %bb.2755:                             ;   in Loop: Header=BB312_1574 Depth=1
	v_and_b32_e32 v74, 0x7f, v0
	v_mov_b32_e32 v10, 0x7c010000
	s_mov_b32 s20, exec_lo
	v_cmpx_ne_u32_e32 0x7f, v74
	s_cbranch_execz .LBB312_2759
; %bb.2756:                             ;   in Loop: Header=BB312_1574 Depth=1
	v_and_b32_e32 v10, 7, v0
	v_lshrrev_b32_e32 v11, 3, v74
	s_mov_b32 s21, exec_lo
	v_cmpx_gt_u32_e32 8, v74
; %bb.2757:                             ;   in Loop: Header=BB312_1574 Depth=1
	v_ffbh_u32_e32 v10, v10
	v_min_u32_e32 v74, 32, v10
	v_subrev_nc_u32_e32 v10, 28, v74
	v_lshlrev_b64 v[10:11], v10, v[0:1]
	v_sub_nc_u32_e32 v11, 29, v74
	v_and_b32_e32 v10, 7, v10
; %bb.2758:                             ;   in Loop: Header=BB312_1574 Depth=1
	s_or_b32 exec_lo, exec_lo, s21
	v_lshlrev_b32_e32 v0, 8, v0
	v_lshl_add_u32 v11, v11, 10, 0x2000
	v_lshlrev_b32_e32 v10, 23, v10
	v_and_or_b32 v0, 0x8000, v0, v11
	v_lshl_or_b32 v10, v0, 16, v10
.LBB312_2759:                           ;   in Loop: Header=BB312_1574 Depth=1
	s_or_b32 exec_lo, exec_lo, s20
.LBB312_2760:                           ;   in Loop: Header=BB312_1574 Depth=1
	s_or_b32 exec_lo, exec_lo, s18
.LBB312_2761:                           ;   in Loop: Header=BB312_1574 Depth=1
	s_or_b32 exec_lo, exec_lo, s17
	v_or_b32_e32 v0, v118, v61
	s_waitcnt vmcnt(0) lgkmcnt(0)
	v_fma_mixlo_f16 v11, v7, v118, 0 op_sel:[0,1,0] op_sel_hi:[0,1,0]
	v_or_b32_e32 v118, v70, v71
	v_fma_mixlo_f16 v70, v7, v70, 0 op_sel:[0,1,0] op_sel_hi:[0,1,0]
	v_or_b32_e32 v61, v73, v72
	v_fma_mixlo_f16 v72, v7, v0, 0 op_sel_hi:[0,1,0]
	v_or_b32_e32 v63, v10, v63
	v_lshlrev_b32_e32 v0, 16, v11
	v_lshlrev_b32_e32 v71, 16, v70
	v_fma_mixlo_f16 v70, v7, v118, 0 op_sel_hi:[0,1,0]
	v_and_b32_e32 v11, 0xffff, v72
	v_fma_mixlo_f16 v118, v7, v73, 0 op_sel:[0,1,0] op_sel_hi:[0,1,0]
	v_fma_mixlo_f16 v61, v7, v61, 0 op_sel_hi:[0,1,0]
	v_fma_mixlo_f16 v72, v7, v10, 0 op_sel:[0,1,0] op_sel_hi:[0,1,0]
	v_fma_mixlo_f16 v63, v7, v63, 0 op_sel_hi:[0,1,0]
	v_and_b32_e32 v74, 0xffff, v70
	v_lshlrev_b32_e32 v10, 16, v118
	v_and_b32_e32 v61, 0xffff, v61
	v_lshlrev_b32_e32 v7, 16, v72
	v_and_b32_e32 v70, 0xffff, v63
	v_or_b32_e32 v118, v0, v11
	v_or_b32_e32 v73, v71, v74
	;; [unrolled: 1-line block ×4, first 2 shown]
	s_and_saveexec_b32 s17, vcc_lo
	s_cbranch_execz .LBB312_2763
; %bb.2762:                             ;   in Loop: Header=BB312_1574 Depth=1
	v_cmp_lt_i32_e64 s4, v86, v36
	v_cndmask_b32_e64 v118, 0, v74, s4
	v_cmp_lt_i32_e64 s4, v115, v36
	v_cndmask_b32_e64 v71, 0, v71, s4
	v_cmp_lt_i32_e64 s4, v114, v36
	v_or_b32_e32 v73, v118, v71
	v_cndmask_b32_e64 v11, 0, v11, s4
	v_cmp_lt_i32_e64 s4, v113, v36
	v_cndmask_b32_e64 v0, 0, v0, s4
	v_cmp_lt_i32_e64 s4, v112, v36
	v_or_b32_e32 v118, v11, v0
	;; [unrolled: 5-line block ×3, first 2 shown]
	v_cndmask_b32_e64 v70, 0, v70, s4
	v_cmp_lt_i32_e64 s4, v101, v36
	v_cndmask_b32_e64 v7, 0, v7, s4
	v_or_b32_e32 v63, v70, v7
.LBB312_2763:                           ;   in Loop: Header=BB312_1574 Depth=1
	s_or_b32 exec_lo, exec_lo, s17
	;;#ASMSTART
	v_pk_mul_f16 v0, v100, v73;

	;;#ASMEND
	;;#ASMSTART
	v_pk_mul_f16 v7, v99, v118;

	;;#ASMEND
	;; [unrolled: 4-line block ×4, first 2 shown]
	;;#ASMSTART
	v_pk_add_f16 v0, v0, v7;

	;;#ASMEND
	;;#ASMSTART
	v_pk_add_f16 v0, v0, v10;

	;;#ASMEND
	;; [unrolled: 4-line block ×3, first 2 shown]
	v_and_b32_e32 v7, 0xffff, v0
	v_lshrrev_b32_e32 v0, 16, v0
	;;#ASMSTART
	v_cvt_f32_f16 v63, v7;
	;;#ASMEND
	;;#ASMSTART
	v_cvt_f32_f16 v7, v0;
	;;#ASMEND
	flat_load_dwordx2 v[10:11], v[8:9] offset:512
	flat_load_dword v70, v[26:27]
	v_mov_b32_e32 v71, 0
	v_mov_b32_e32 v118, 0
	s_waitcnt vmcnt(1) lgkmcnt(1)
	v_cmp_ne_u16_sdwa s4, v10, v1 src0_sel:BYTE_0 src1_sel:DWORD
	s_and_saveexec_b32 s17, s4
	s_cbranch_execz .LBB312_2771
; %bb.2764:                             ;   in Loop: Header=BB312_1574 Depth=1
	v_cmp_ne_u16_sdwa s4, v10, v17 src0_sel:BYTE_0 src1_sel:DWORD
	v_mov_b32_e32 v118, 0x8000
	s_and_saveexec_b32 s18, s4
	s_cbranch_execz .LBB312_2770
; %bb.2765:                             ;   in Loop: Header=BB312_1574 Depth=1
	v_and_b32_e32 v61, 0x7f, v10
	v_mov_b32_e32 v118, 0x7c01
	s_mov_b32 s20, exec_lo
	v_cmpx_ne_u32_e32 0x7f, v61
	s_cbranch_execz .LBB312_2769
; %bb.2766:                             ;   in Loop: Header=BB312_1574 Depth=1
	v_and_b32_e32 v0, 7, v10
	v_lshrrev_b32_e32 v118, 3, v61
	s_mov_b32 s21, exec_lo
	v_cmpx_gt_u32_e32 8, v61
; %bb.2767:                             ;   in Loop: Header=BB312_1574 Depth=1
	v_ffbh_u32_e32 v0, v0
	v_min_u32_e32 v0, 32, v0
	v_subrev_nc_u32_e32 v118, 28, v0
	v_lshlrev_b64 v[72:73], v118, v[10:11]
	v_sub_nc_u32_e32 v118, 29, v0
	v_and_b32_e32 v0, 7, v72
; %bb.2768:                             ;   in Loop: Header=BB312_1574 Depth=1
	s_or_b32 exec_lo, exec_lo, s21
	v_lshlrev_b32_e32 v61, 8, v10
	v_lshl_add_u32 v118, v118, 10, 0x2000
	v_lshlrev_b32_e32 v0, 7, v0
	v_and_b32_e32 v61, 0x8000, v61
	v_and_b32_e32 v118, 0xfc00, v118
	v_or3_b32 v118, v61, v118, v0
.LBB312_2769:                           ;   in Loop: Header=BB312_1574 Depth=1
	s_or_b32 exec_lo, exec_lo, s20
.LBB312_2770:                           ;   in Loop: Header=BB312_1574 Depth=1
	s_or_b32 exec_lo, exec_lo, s18
.LBB312_2771:                           ;   in Loop: Header=BB312_1574 Depth=1
	s_or_b32 exec_lo, exec_lo, s17
	v_lshrrev_b16 v0, 8, v10
	s_mov_b32 s17, exec_lo
	v_cmpx_ne_u16_e32 0, v0
	s_cbranch_execz .LBB312_2779
; %bb.2772:                             ;   in Loop: Header=BB312_1574 Depth=1
	v_bfrev_b32_e32 v71, 1
	s_mov_b32 s18, exec_lo
	v_cmpx_ne_u16_e32 0x80, v0
	s_cbranch_execz .LBB312_2778
; %bb.2773:                             ;   in Loop: Header=BB312_1574 Depth=1
	v_and_b32_sdwa v72, v0, v51 dst_sel:DWORD dst_unused:UNUSED_PAD src0_sel:WORD_0 src1_sel:DWORD
	v_mov_b32_e32 v71, 0x7c010000
	s_mov_b32 s20, exec_lo
	v_cmpx_ne_u32_e32 0x7f, v72
	s_cbranch_execz .LBB312_2777
; %bb.2774:                             ;   in Loop: Header=BB312_1574 Depth=1
	v_and_b32_sdwa v71, v0, v52 dst_sel:DWORD dst_unused:UNUSED_PAD src0_sel:WORD_0 src1_sel:DWORD
	v_lshrrev_b32_e32 v61, 3, v72
	s_mov_b32 s21, exec_lo
	v_cmpx_gt_u32_e32 8, v72
; %bb.2775:                             ;   in Loop: Header=BB312_1574 Depth=1
	v_ffbh_u32_e32 v71, v71
	v_min_u32_e32 v61, 32, v71
	v_subrev_nc_u32_e32 v71, 28, v61
	v_sub_nc_u32_e32 v61, 29, v61
	v_lshlrev_b64 v[71:72], v71, v[0:1]
	v_and_b32_e32 v71, 7, v71
; %bb.2776:                             ;   in Loop: Header=BB312_1574 Depth=1
	s_or_b32 exec_lo, exec_lo, s21
	v_lshlrev_b32_sdwa v0, v53, v0 dst_sel:DWORD dst_unused:UNUSED_PAD src0_sel:DWORD src1_sel:WORD_0
	v_lshl_add_u32 v61, v61, 10, 0x2000
	v_lshlrev_b32_e32 v71, 23, v71
	v_and_or_b32 v0, 0x8000, v0, v61
	v_lshl_or_b32 v71, v0, 16, v71
.LBB312_2777:                           ;   in Loop: Header=BB312_1574 Depth=1
	s_or_b32 exec_lo, exec_lo, s20
.LBB312_2778:                           ;   in Loop: Header=BB312_1574 Depth=1
	s_or_b32 exec_lo, exec_lo, s18
.LBB312_2779:                           ;   in Loop: Header=BB312_1574 Depth=1
	s_or_b32 exec_lo, exec_lo, s17
	v_lshrrev_b32_e32 v0, 16, v10
	v_mov_b32_e32 v61, 0
	v_mov_b32_e32 v72, 0
	v_cmp_ne_u16_sdwa s4, v0, v1 src0_sel:BYTE_0 src1_sel:DWORD
	s_and_saveexec_b32 s17, s4
	s_cbranch_execz .LBB312_2787
; %bb.2780:                             ;   in Loop: Header=BB312_1574 Depth=1
	v_cmp_ne_u16_sdwa s4, v0, v17 src0_sel:BYTE_0 src1_sel:DWORD
	v_mov_b32_e32 v72, 0x8000
	s_and_saveexec_b32 s18, s4
	s_cbranch_execz .LBB312_2786
; %bb.2781:                             ;   in Loop: Header=BB312_1574 Depth=1
	v_bfe_u32 v74, v10, 16, 7
	v_mov_b32_e32 v72, 0x7c01
	s_mov_b32 s20, exec_lo
	v_cmpx_ne_u32_e32 0x7f, v74
	s_cbranch_execz .LBB312_2785
; %bb.2782:                             ;   in Loop: Header=BB312_1574 Depth=1
	v_and_b32_e32 v72, 7, v0
	v_lshrrev_b32_e32 v73, 3, v74
	s_mov_b32 s21, exec_lo
	v_cmpx_gt_u32_e32 8, v74
; %bb.2783:                             ;   in Loop: Header=BB312_1574 Depth=1
	v_ffbh_u32_e32 v72, v72
	v_min_u32_e32 v74, 32, v72
	v_subrev_nc_u32_e32 v72, 28, v74
	v_lshlrev_b64 v[72:73], v72, v[0:1]
	v_sub_nc_u32_e32 v73, 29, v74
	v_and_b32_e32 v72, 7, v72
; %bb.2784:                             ;   in Loop: Header=BB312_1574 Depth=1
	s_or_b32 exec_lo, exec_lo, s21
	v_lshlrev_b32_e32 v0, 8, v0
	v_lshl_add_u32 v73, v73, 10, 0x2000
	v_lshlrev_b32_e32 v72, 7, v72
	v_and_b32_e32 v0, 0x8000, v0
	v_and_b32_e32 v73, 0xfc00, v73
	v_or3_b32 v72, v0, v73, v72
.LBB312_2785:                           ;   in Loop: Header=BB312_1574 Depth=1
	s_or_b32 exec_lo, exec_lo, s20
.LBB312_2786:                           ;   in Loop: Header=BB312_1574 Depth=1
	s_or_b32 exec_lo, exec_lo, s18
.LBB312_2787:                           ;   in Loop: Header=BB312_1574 Depth=1
	s_or_b32 exec_lo, exec_lo, s17
	s_mov_b32 s17, exec_lo
	v_cmpx_lt_u32_e32 0xffffff, v10
	s_cbranch_execz .LBB312_2795
; %bb.2788:                             ;   in Loop: Header=BB312_1574 Depth=1
	v_lshrrev_b32_e32 v0, 24, v10
	v_bfrev_b32_e32 v61, 1
	s_mov_b32 s18, exec_lo
	v_cmpx_ne_u32_e32 0x80, v0
	s_cbranch_execz .LBB312_2794
; %bb.2789:                             ;   in Loop: Header=BB312_1574 Depth=1
	v_and_b32_e32 v74, 0x7f, v0
	v_mov_b32_e32 v61, 0x7c010000
	s_mov_b32 s20, exec_lo
	v_cmpx_ne_u32_e32 0x7f, v74
	s_cbranch_execz .LBB312_2793
; %bb.2790:                             ;   in Loop: Header=BB312_1574 Depth=1
	v_and_b32_e32 v61, 7, v0
	v_lshrrev_b32_e32 v73, 3, v74
	s_mov_b32 s21, exec_lo
	v_cmpx_gt_u32_e32 8, v74
; %bb.2791:                             ;   in Loop: Header=BB312_1574 Depth=1
	v_ffbh_u32_e32 v61, v61
	v_min_u32_e32 v61, 32, v61
	v_subrev_nc_u32_e32 v73, 28, v61
	v_lshlrev_b64 v[74:75], v73, v[0:1]
	v_sub_nc_u32_e32 v73, 29, v61
	v_and_b32_e32 v61, 7, v74
; %bb.2792:                             ;   in Loop: Header=BB312_1574 Depth=1
	s_or_b32 exec_lo, exec_lo, s21
	v_lshlrev_b32_e32 v0, 8, v0
	v_lshl_add_u32 v73, v73, 10, 0x2000
	v_lshlrev_b32_e32 v61, 23, v61
	v_and_or_b32 v0, 0x8000, v0, v73
	v_lshl_or_b32 v61, v0, 16, v61
.LBB312_2793:                           ;   in Loop: Header=BB312_1574 Depth=1
	s_or_b32 exec_lo, exec_lo, s20
.LBB312_2794:                           ;   in Loop: Header=BB312_1574 Depth=1
	s_or_b32 exec_lo, exec_lo, s18
.LBB312_2795:                           ;   in Loop: Header=BB312_1574 Depth=1
	s_or_b32 exec_lo, exec_lo, s17
	v_mov_b32_e32 v0, v11
	v_cmp_ne_u16_sdwa s4, v11, v1 src0_sel:BYTE_0 src1_sel:DWORD
	v_mov_b32_e32 v73, 0
	v_mov_b32_e32 v74, 0
	s_and_saveexec_b32 s17, s4
	s_cbranch_execz .LBB312_2803
; %bb.2796:                             ;   in Loop: Header=BB312_1574 Depth=1
	v_cmp_ne_u16_sdwa s4, v11, v17 src0_sel:BYTE_0 src1_sel:DWORD
	v_mov_b32_e32 v74, 0x8000
	s_and_saveexec_b32 s18, s4
	s_cbranch_execz .LBB312_2802
; %bb.2797:                             ;   in Loop: Header=BB312_1574 Depth=1
	v_and_b32_e32 v79, 0x7f, v11
	v_mov_b32_e32 v74, 0x7c01
	s_mov_b32 s20, exec_lo
	v_cmpx_ne_u32_e32 0x7f, v79
	s_cbranch_execz .LBB312_2801
; %bb.2798:                             ;   in Loop: Header=BB312_1574 Depth=1
	v_and_b32_e32 v74, 7, v11
	v_lshrrev_b32_e32 v75, 3, v79
	s_mov_b32 s21, exec_lo
	v_cmpx_gt_u32_e32 8, v79
; %bb.2799:                             ;   in Loop: Header=BB312_1574 Depth=1
	v_ffbh_u32_e32 v74, v74
	v_min_u32_e32 v79, 32, v74
	v_subrev_nc_u32_e32 v74, 28, v79
	v_lshlrev_b64 v[74:75], v74, v[0:1]
	v_sub_nc_u32_e32 v75, 29, v79
	v_and_b32_e32 v74, 7, v74
; %bb.2800:                             ;   in Loop: Header=BB312_1574 Depth=1
	s_or_b32 exec_lo, exec_lo, s21
	v_lshlrev_b32_e32 v79, 8, v11
	v_lshl_add_u32 v75, v75, 10, 0x2000
	v_lshlrev_b32_e32 v74, 7, v74
	v_and_b32_e32 v79, 0x8000, v79
	v_and_b32_e32 v75, 0xfc00, v75
	v_or3_b32 v74, v79, v75, v74
.LBB312_2801:                           ;   in Loop: Header=BB312_1574 Depth=1
	s_or_b32 exec_lo, exec_lo, s20
.LBB312_2802:                           ;   in Loop: Header=BB312_1574 Depth=1
	s_or_b32 exec_lo, exec_lo, s18
.LBB312_2803:                           ;   in Loop: Header=BB312_1574 Depth=1
	s_or_b32 exec_lo, exec_lo, s17
	v_lshrrev_b16 v0, 8, v0
	v_mov_b32_e32 v75, 0
	s_mov_b32 s17, exec_lo
	v_cmpx_ne_u16_e32 0, v0
	s_cbranch_execz .LBB312_2811
; %bb.2804:                             ;   in Loop: Header=BB312_1574 Depth=1
	v_bfrev_b32_e32 v75, 1
	s_mov_b32 s18, exec_lo
	v_cmpx_ne_u16_e32 0x80, v0
	s_cbranch_execz .LBB312_2810
; %bb.2805:                             ;   in Loop: Header=BB312_1574 Depth=1
	v_and_b32_sdwa v88, v0, v51 dst_sel:DWORD dst_unused:UNUSED_PAD src0_sel:WORD_0 src1_sel:DWORD
	v_mov_b32_e32 v75, 0x7c010000
	s_mov_b32 s20, exec_lo
	v_cmpx_ne_u32_e32 0x7f, v88
	s_cbranch_execz .LBB312_2809
; %bb.2806:                             ;   in Loop: Header=BB312_1574 Depth=1
	v_and_b32_sdwa v75, v0, v52 dst_sel:DWORD dst_unused:UNUSED_PAD src0_sel:WORD_0 src1_sel:DWORD
	v_lshrrev_b32_e32 v79, 3, v88
	s_mov_b32 s21, exec_lo
	v_cmpx_gt_u32_e32 8, v88
; %bb.2807:                             ;   in Loop: Header=BB312_1574 Depth=1
	v_ffbh_u32_e32 v75, v75
	v_min_u32_e32 v75, 32, v75
	v_subrev_nc_u32_e32 v79, 28, v75
	v_lshlrev_b64 v[88:89], v79, v[0:1]
	v_sub_nc_u32_e32 v79, 29, v75
	v_and_b32_e32 v75, 7, v88
; %bb.2808:                             ;   in Loop: Header=BB312_1574 Depth=1
	s_or_b32 exec_lo, exec_lo, s21
	v_lshlrev_b32_sdwa v0, v53, v0 dst_sel:DWORD dst_unused:UNUSED_PAD src0_sel:DWORD src1_sel:WORD_0
	v_lshl_add_u32 v79, v79, 10, 0x2000
	v_lshlrev_b32_e32 v75, 23, v75
	v_and_or_b32 v0, 0x8000, v0, v79
	v_lshl_or_b32 v75, v0, 16, v75
.LBB312_2809:                           ;   in Loop: Header=BB312_1574 Depth=1
	s_or_b32 exec_lo, exec_lo, s20
.LBB312_2810:                           ;   in Loop: Header=BB312_1574 Depth=1
	s_or_b32 exec_lo, exec_lo, s18
.LBB312_2811:                           ;   in Loop: Header=BB312_1574 Depth=1
	s_or_b32 exec_lo, exec_lo, s17
	v_lshrrev_b32_e32 v0, 16, v11
	v_cmp_ne_u16_sdwa s4, v0, v1 src0_sel:BYTE_0 src1_sel:DWORD
	s_and_saveexec_b32 s17, s4
	s_cbranch_execz .LBB312_2819
; %bb.2812:                             ;   in Loop: Header=BB312_1574 Depth=1
	v_cmp_ne_u16_sdwa s4, v0, v17 src0_sel:BYTE_0 src1_sel:DWORD
	v_mov_b32_e32 v73, 0x8000
	s_and_saveexec_b32 s18, s4
	s_cbranch_execz .LBB312_2818
; %bb.2813:                             ;   in Loop: Header=BB312_1574 Depth=1
	v_bfe_u32 v88, v11, 16, 7
	v_mov_b32_e32 v73, 0x7c01
	s_mov_b32 s20, exec_lo
	v_cmpx_ne_u32_e32 0x7f, v88
	s_cbranch_execz .LBB312_2817
; %bb.2814:                             ;   in Loop: Header=BB312_1574 Depth=1
	v_and_b32_e32 v73, 7, v0
	v_lshrrev_b32_e32 v79, 3, v88
	s_mov_b32 s21, exec_lo
	v_cmpx_gt_u32_e32 8, v88
; %bb.2815:                             ;   in Loop: Header=BB312_1574 Depth=1
	v_ffbh_u32_e32 v73, v73
	v_min_u32_e32 v73, 32, v73
	v_subrev_nc_u32_e32 v79, 28, v73
	v_lshlrev_b64 v[88:89], v79, v[0:1]
	v_sub_nc_u32_e32 v79, 29, v73
	v_and_b32_e32 v73, 7, v88
; %bb.2816:                             ;   in Loop: Header=BB312_1574 Depth=1
	s_or_b32 exec_lo, exec_lo, s21
	v_lshlrev_b32_e32 v0, 8, v0
	v_lshl_add_u32 v79, v79, 10, 0x2000
	v_lshlrev_b32_e32 v73, 7, v73
	v_and_b32_e32 v0, 0x8000, v0
	v_and_b32_e32 v79, 0xfc00, v79
	v_or3_b32 v73, v0, v79, v73
.LBB312_2817:                           ;   in Loop: Header=BB312_1574 Depth=1
	s_or_b32 exec_lo, exec_lo, s20
.LBB312_2818:                           ;   in Loop: Header=BB312_1574 Depth=1
	s_or_b32 exec_lo, exec_lo, s18
.LBB312_2819:                           ;   in Loop: Header=BB312_1574 Depth=1
	s_or_b32 exec_lo, exec_lo, s17
	v_cmp_lt_u64_e64 s4, s[12:13], v[10:11]
	v_mov_b32_e32 v10, 0
	s_and_saveexec_b32 s17, s4
	s_cbranch_execz .LBB312_2827
; %bb.2820:                             ;   in Loop: Header=BB312_1574 Depth=1
	v_lshrrev_b32_e32 v0, 24, v11
	v_bfrev_b32_e32 v10, 1
	s_mov_b32 s18, exec_lo
	v_cmpx_ne_u32_e32 0x80, v0
	s_cbranch_execz .LBB312_2826
; %bb.2821:                             ;   in Loop: Header=BB312_1574 Depth=1
	v_and_b32_e32 v79, 0x7f, v0
	v_mov_b32_e32 v10, 0x7c010000
	s_mov_b32 s20, exec_lo
	v_cmpx_ne_u32_e32 0x7f, v79
	s_cbranch_execz .LBB312_2825
; %bb.2822:                             ;   in Loop: Header=BB312_1574 Depth=1
	v_and_b32_e32 v10, 7, v0
	v_lshrrev_b32_e32 v11, 3, v79
	s_mov_b32 s21, exec_lo
	v_cmpx_gt_u32_e32 8, v79
; %bb.2823:                             ;   in Loop: Header=BB312_1574 Depth=1
	v_ffbh_u32_e32 v10, v10
	v_min_u32_e32 v79, 32, v10
	v_subrev_nc_u32_e32 v10, 28, v79
	v_lshlrev_b64 v[10:11], v10, v[0:1]
	v_sub_nc_u32_e32 v11, 29, v79
	v_and_b32_e32 v10, 7, v10
; %bb.2824:                             ;   in Loop: Header=BB312_1574 Depth=1
	s_or_b32 exec_lo, exec_lo, s21
	v_lshlrev_b32_e32 v0, 8, v0
	v_lshl_add_u32 v11, v11, 10, 0x2000
	v_lshlrev_b32_e32 v10, 23, v10
	v_and_or_b32 v0, 0x8000, v0, v11
	v_lshl_or_b32 v10, v0, 16, v10
.LBB312_2825:                           ;   in Loop: Header=BB312_1574 Depth=1
	s_or_b32 exec_lo, exec_lo, s20
.LBB312_2826:                           ;   in Loop: Header=BB312_1574 Depth=1
	s_or_b32 exec_lo, exec_lo, s18
.LBB312_2827:                           ;   in Loop: Header=BB312_1574 Depth=1
	s_or_b32 exec_lo, exec_lo, s17
	v_or_b32_e32 v0, v61, v72
	s_waitcnt vmcnt(0) lgkmcnt(0)
	v_fma_mixlo_f16 v11, v70, v61, 0 op_sel:[0,1,0] op_sel_hi:[0,1,0]
	v_or_b32_e32 v61, v71, v118
	v_fma_mixlo_f16 v71, v70, v71, 0 op_sel:[0,1,0] op_sel_hi:[0,1,0]
	v_or_b32_e32 v72, v75, v74
	v_or_b32_e32 v73, v10, v73
	v_fma_mixlo_f16 v74, v70, v0, 0 op_sel_hi:[0,1,0]
	v_fma_mixlo_f16 v10, v70, v10, 0 op_sel:[0,1,0] op_sel_hi:[0,1,0]
	v_lshlrev_b32_e32 v118, 16, v71
	v_fma_mixlo_f16 v71, v70, v61, 0 op_sel_hi:[0,1,0]
	v_fma_mixlo_f16 v61, v70, v75, 0 op_sel:[0,1,0] op_sel_hi:[0,1,0]
	v_fma_mixlo_f16 v72, v70, v72, 0 op_sel_hi:[0,1,0]
	v_fma_mixlo_f16 v73, v70, v73, 0 op_sel_hi:[0,1,0]
	v_lshlrev_b32_e32 v0, 16, v11
	v_and_b32_e32 v11, 0xffff, v74
	v_and_b32_e32 v79, 0xffff, v71
	v_lshlrev_b32_e32 v70, 16, v61
	v_and_b32_e32 v72, 0xffff, v72
	v_lshlrev_b32_e32 v10, 16, v10
	v_and_b32_e32 v71, 0xffff, v73
	v_or_b32_e32 v61, v0, v11
	v_or_b32_e32 v75, v118, v79
	;; [unrolled: 1-line block ×4, first 2 shown]
	s_and_saveexec_b32 s17, vcc_lo
	s_cbranch_execz .LBB312_2829
; %bb.2828:                             ;   in Loop: Header=BB312_1574 Depth=1
	v_cmp_lt_i32_e64 s4, v86, v36
	v_cndmask_b32_e64 v61, 0, v79, s4
	v_cmp_lt_i32_e64 s4, v115, v36
	v_cndmask_b32_e64 v118, 0, v118, s4
	v_cmp_lt_i32_e64 s4, v114, v36
	v_or_b32_e32 v75, v61, v118
	v_cndmask_b32_e64 v11, 0, v11, s4
	v_cmp_lt_i32_e64 s4, v113, v36
	v_cndmask_b32_e64 v0, 0, v0, s4
	v_cmp_lt_i32_e64 s4, v112, v36
	v_or_b32_e32 v61, v11, v0
	;; [unrolled: 5-line block ×3, first 2 shown]
	v_cndmask_b32_e64 v71, 0, v71, s4
	v_cmp_lt_i32_e64 s4, v101, v36
	v_cndmask_b32_e64 v10, 0, v10, s4
	v_or_b32_e32 v73, v71, v10
.LBB312_2829:                           ;   in Loop: Header=BB312_1574 Depth=1
	s_or_b32 exec_lo, exec_lo, s17
	;;#ASMSTART
	v_pk_mul_f16 v0, v100, v75;

	;;#ASMEND
	;;#ASMSTART
	v_pk_mul_f16 v10, v99, v61;

	;;#ASMEND
	;; [unrolled: 4-line block ×4, first 2 shown]
	;;#ASMSTART
	v_pk_add_f16 v0, v0, v10;

	;;#ASMEND
	;;#ASMSTART
	v_pk_add_f16 v0, v0, v11;

	;;#ASMEND
	;; [unrolled: 4-line block ×3, first 2 shown]
	v_and_b32_e32 v10, 0xffff, v0
	v_lshrrev_b32_e32 v0, 16, v0
	;;#ASMSTART
	v_cvt_f32_f16 v73, v10;
	;;#ASMEND
	;;#ASMSTART
	v_cvt_f32_f16 v74, v0;
	;;#ASMEND
	flat_load_dwordx2 v[10:11], v[8:9] offset:768
	flat_load_dword v70, v[26:27]
	v_mov_b32_e32 v71, 0
	v_mov_b32_e32 v118, 0
	s_waitcnt vmcnt(1) lgkmcnt(1)
	v_cmp_ne_u16_sdwa s4, v10, v1 src0_sel:BYTE_0 src1_sel:DWORD
	s_and_saveexec_b32 s17, s4
	s_cbranch_execz .LBB312_2837
; %bb.2830:                             ;   in Loop: Header=BB312_1574 Depth=1
	v_cmp_ne_u16_sdwa s4, v10, v17 src0_sel:BYTE_0 src1_sel:DWORD
	v_mov_b32_e32 v118, 0x8000
	s_and_saveexec_b32 s18, s4
	s_cbranch_execz .LBB312_2836
; %bb.2831:                             ;   in Loop: Header=BB312_1574 Depth=1
	v_and_b32_e32 v61, 0x7f, v10
	v_mov_b32_e32 v118, 0x7c01
	s_mov_b32 s20, exec_lo
	v_cmpx_ne_u32_e32 0x7f, v61
	s_cbranch_execz .LBB312_2835
; %bb.2832:                             ;   in Loop: Header=BB312_1574 Depth=1
	v_and_b32_e32 v0, 7, v10
	v_lshrrev_b32_e32 v118, 3, v61
	s_mov_b32 s21, exec_lo
	v_cmpx_gt_u32_e32 8, v61
; %bb.2833:                             ;   in Loop: Header=BB312_1574 Depth=1
	v_ffbh_u32_e32 v0, v0
	v_min_u32_e32 v0, 32, v0
	v_subrev_nc_u32_e32 v118, 28, v0
	v_lshlrev_b64 v[88:89], v118, v[10:11]
	v_sub_nc_u32_e32 v118, 29, v0
	v_and_b32_e32 v0, 7, v88
; %bb.2834:                             ;   in Loop: Header=BB312_1574 Depth=1
	s_or_b32 exec_lo, exec_lo, s21
	v_lshlrev_b32_e32 v61, 8, v10
	v_lshl_add_u32 v118, v118, 10, 0x2000
	v_lshlrev_b32_e32 v0, 7, v0
	v_and_b32_e32 v61, 0x8000, v61
	v_and_b32_e32 v118, 0xfc00, v118
	v_or3_b32 v118, v61, v118, v0
.LBB312_2835:                           ;   in Loop: Header=BB312_1574 Depth=1
	s_or_b32 exec_lo, exec_lo, s20
.LBB312_2836:                           ;   in Loop: Header=BB312_1574 Depth=1
	s_or_b32 exec_lo, exec_lo, s18
.LBB312_2837:                           ;   in Loop: Header=BB312_1574 Depth=1
	s_or_b32 exec_lo, exec_lo, s17
	v_lshrrev_b16 v0, 8, v10
	s_mov_b32 s17, exec_lo
	v_cmpx_ne_u16_e32 0, v0
	s_cbranch_execz .LBB312_2845
; %bb.2838:                             ;   in Loop: Header=BB312_1574 Depth=1
	v_bfrev_b32_e32 v71, 1
	s_mov_b32 s18, exec_lo
	v_cmpx_ne_u16_e32 0x80, v0
	s_cbranch_execz .LBB312_2844
; %bb.2839:                             ;   in Loop: Header=BB312_1574 Depth=1
	v_and_b32_sdwa v72, v0, v51 dst_sel:DWORD dst_unused:UNUSED_PAD src0_sel:WORD_0 src1_sel:DWORD
	v_mov_b32_e32 v71, 0x7c010000
	s_mov_b32 s20, exec_lo
	v_cmpx_ne_u32_e32 0x7f, v72
	s_cbranch_execz .LBB312_2843
; %bb.2840:                             ;   in Loop: Header=BB312_1574 Depth=1
	v_and_b32_sdwa v71, v0, v52 dst_sel:DWORD dst_unused:UNUSED_PAD src0_sel:WORD_0 src1_sel:DWORD
	v_lshrrev_b32_e32 v61, 3, v72
	s_mov_b32 s21, exec_lo
	v_cmpx_gt_u32_e32 8, v72
; %bb.2841:                             ;   in Loop: Header=BB312_1574 Depth=1
	v_ffbh_u32_e32 v71, v71
	v_min_u32_e32 v61, 32, v71
	v_subrev_nc_u32_e32 v71, 28, v61
	v_sub_nc_u32_e32 v61, 29, v61
	v_lshlrev_b64 v[71:72], v71, v[0:1]
	v_and_b32_e32 v71, 7, v71
; %bb.2842:                             ;   in Loop: Header=BB312_1574 Depth=1
	s_or_b32 exec_lo, exec_lo, s21
	v_lshlrev_b32_sdwa v0, v53, v0 dst_sel:DWORD dst_unused:UNUSED_PAD src0_sel:DWORD src1_sel:WORD_0
	v_lshl_add_u32 v61, v61, 10, 0x2000
	v_lshlrev_b32_e32 v71, 23, v71
	v_and_or_b32 v0, 0x8000, v0, v61
	v_lshl_or_b32 v71, v0, 16, v71
.LBB312_2843:                           ;   in Loop: Header=BB312_1574 Depth=1
	s_or_b32 exec_lo, exec_lo, s20
.LBB312_2844:                           ;   in Loop: Header=BB312_1574 Depth=1
	s_or_b32 exec_lo, exec_lo, s18
.LBB312_2845:                           ;   in Loop: Header=BB312_1574 Depth=1
	s_or_b32 exec_lo, exec_lo, s17
	v_lshrrev_b32_e32 v0, 16, v10
	v_mov_b32_e32 v61, 0
	v_mov_b32_e32 v72, 0
	v_cmp_ne_u16_sdwa s4, v0, v1 src0_sel:BYTE_0 src1_sel:DWORD
	s_and_saveexec_b32 s17, s4
	s_cbranch_execz .LBB312_2853
; %bb.2846:                             ;   in Loop: Header=BB312_1574 Depth=1
	v_cmp_ne_u16_sdwa s4, v0, v17 src0_sel:BYTE_0 src1_sel:DWORD
	v_mov_b32_e32 v72, 0x8000
	s_and_saveexec_b32 s18, s4
	s_cbranch_execz .LBB312_2852
; %bb.2847:                             ;   in Loop: Header=BB312_1574 Depth=1
	v_bfe_u32 v79, v10, 16, 7
	v_mov_b32_e32 v72, 0x7c01
	s_mov_b32 s20, exec_lo
	v_cmpx_ne_u32_e32 0x7f, v79
	s_cbranch_execz .LBB312_2851
; %bb.2848:                             ;   in Loop: Header=BB312_1574 Depth=1
	v_and_b32_e32 v72, 7, v0
	v_lshrrev_b32_e32 v75, 3, v79
	s_mov_b32 s21, exec_lo
	v_cmpx_gt_u32_e32 8, v79
; %bb.2849:                             ;   in Loop: Header=BB312_1574 Depth=1
	v_ffbh_u32_e32 v72, v72
	v_min_u32_e32 v72, 32, v72
	v_subrev_nc_u32_e32 v75, 28, v72
	v_lshlrev_b64 v[88:89], v75, v[0:1]
	v_sub_nc_u32_e32 v75, 29, v72
	v_and_b32_e32 v72, 7, v88
; %bb.2850:                             ;   in Loop: Header=BB312_1574 Depth=1
	s_or_b32 exec_lo, exec_lo, s21
	v_lshlrev_b32_e32 v0, 8, v0
	v_lshl_add_u32 v75, v75, 10, 0x2000
	v_lshlrev_b32_e32 v72, 7, v72
	v_and_b32_e32 v0, 0x8000, v0
	v_and_b32_e32 v75, 0xfc00, v75
	v_or3_b32 v72, v0, v75, v72
.LBB312_2851:                           ;   in Loop: Header=BB312_1574 Depth=1
	s_or_b32 exec_lo, exec_lo, s20
.LBB312_2852:                           ;   in Loop: Header=BB312_1574 Depth=1
	s_or_b32 exec_lo, exec_lo, s18
.LBB312_2853:                           ;   in Loop: Header=BB312_1574 Depth=1
	s_or_b32 exec_lo, exec_lo, s17
	s_mov_b32 s17, exec_lo
	v_cmpx_lt_u32_e32 0xffffff, v10
	s_cbranch_execz .LBB312_2861
; %bb.2854:                             ;   in Loop: Header=BB312_1574 Depth=1
	v_lshrrev_b32_e32 v0, 24, v10
	v_bfrev_b32_e32 v61, 1
	s_mov_b32 s18, exec_lo
	v_cmpx_ne_u32_e32 0x80, v0
	s_cbranch_execz .LBB312_2860
; %bb.2855:                             ;   in Loop: Header=BB312_1574 Depth=1
	v_and_b32_e32 v79, 0x7f, v0
	v_mov_b32_e32 v61, 0x7c010000
	s_mov_b32 s20, exec_lo
	v_cmpx_ne_u32_e32 0x7f, v79
	s_cbranch_execz .LBB312_2859
; %bb.2856:                             ;   in Loop: Header=BB312_1574 Depth=1
	v_and_b32_e32 v61, 7, v0
	v_lshrrev_b32_e32 v75, 3, v79
	s_mov_b32 s21, exec_lo
	v_cmpx_gt_u32_e32 8, v79
; %bb.2857:                             ;   in Loop: Header=BB312_1574 Depth=1
	v_ffbh_u32_e32 v61, v61
	v_min_u32_e32 v61, 32, v61
	v_subrev_nc_u32_e32 v75, 28, v61
	v_lshlrev_b64 v[88:89], v75, v[0:1]
	v_sub_nc_u32_e32 v75, 29, v61
	v_and_b32_e32 v61, 7, v88
; %bb.2858:                             ;   in Loop: Header=BB312_1574 Depth=1
	s_or_b32 exec_lo, exec_lo, s21
	v_lshlrev_b32_e32 v0, 8, v0
	v_lshl_add_u32 v75, v75, 10, 0x2000
	v_lshlrev_b32_e32 v61, 23, v61
	v_and_or_b32 v0, 0x8000, v0, v75
	v_lshl_or_b32 v61, v0, 16, v61
.LBB312_2859:                           ;   in Loop: Header=BB312_1574 Depth=1
	s_or_b32 exec_lo, exec_lo, s20
.LBB312_2860:                           ;   in Loop: Header=BB312_1574 Depth=1
	s_or_b32 exec_lo, exec_lo, s18
.LBB312_2861:                           ;   in Loop: Header=BB312_1574 Depth=1
	s_or_b32 exec_lo, exec_lo, s17
	v_mov_b32_e32 v0, v11
	v_cmp_ne_u16_sdwa s4, v11, v1 src0_sel:BYTE_0 src1_sel:DWORD
	v_mov_b32_e32 v75, 0
	v_mov_b32_e32 v79, 0
	s_and_saveexec_b32 s17, s4
	s_cbranch_execz .LBB312_2869
; %bb.2862:                             ;   in Loop: Header=BB312_1574 Depth=1
	v_cmp_ne_u16_sdwa s4, v11, v17 src0_sel:BYTE_0 src1_sel:DWORD
	v_mov_b32_e32 v79, 0x8000
	s_and_saveexec_b32 s18, s4
	s_cbranch_execz .LBB312_2868
; %bb.2863:                             ;   in Loop: Header=BB312_1574 Depth=1
	v_and_b32_e32 v89, 0x7f, v11
	v_mov_b32_e32 v79, 0x7c01
	s_mov_b32 s20, exec_lo
	v_cmpx_ne_u32_e32 0x7f, v89
	s_cbranch_execz .LBB312_2867
; %bb.2864:                             ;   in Loop: Header=BB312_1574 Depth=1
	v_and_b32_e32 v79, 7, v11
	v_lshrrev_b32_e32 v88, 3, v89
	s_mov_b32 s21, exec_lo
	v_cmpx_gt_u32_e32 8, v89
; %bb.2865:                             ;   in Loop: Header=BB312_1574 Depth=1
	v_ffbh_u32_e32 v79, v79
	v_min_u32_e32 v79, 32, v79
	v_subrev_nc_u32_e32 v88, 28, v79
	v_lshlrev_b64 v[89:90], v88, v[0:1]
	v_sub_nc_u32_e32 v88, 29, v79
	v_and_b32_e32 v79, 7, v89
; %bb.2866:                             ;   in Loop: Header=BB312_1574 Depth=1
	s_or_b32 exec_lo, exec_lo, s21
	v_lshlrev_b32_e32 v89, 8, v11
	v_lshl_add_u32 v88, v88, 10, 0x2000
	v_lshlrev_b32_e32 v79, 7, v79
	v_and_b32_e32 v89, 0x8000, v89
	v_and_b32_e32 v88, 0xfc00, v88
	v_or3_b32 v79, v89, v88, v79
.LBB312_2867:                           ;   in Loop: Header=BB312_1574 Depth=1
	s_or_b32 exec_lo, exec_lo, s20
.LBB312_2868:                           ;   in Loop: Header=BB312_1574 Depth=1
	s_or_b32 exec_lo, exec_lo, s18
.LBB312_2869:                           ;   in Loop: Header=BB312_1574 Depth=1
	s_or_b32 exec_lo, exec_lo, s17
	v_lshrrev_b16 v0, 8, v0
	v_mov_b32_e32 v88, 0
	s_mov_b32 s17, exec_lo
	v_cmpx_ne_u16_e32 0, v0
	s_cbranch_execz .LBB312_2877
; %bb.2870:                             ;   in Loop: Header=BB312_1574 Depth=1
	v_bfrev_b32_e32 v88, 1
	s_mov_b32 s18, exec_lo
	v_cmpx_ne_u16_e32 0x80, v0
	s_cbranch_execz .LBB312_2876
; %bb.2871:                             ;   in Loop: Header=BB312_1574 Depth=1
	v_and_b32_sdwa v90, v0, v51 dst_sel:DWORD dst_unused:UNUSED_PAD src0_sel:WORD_0 src1_sel:DWORD
	v_mov_b32_e32 v88, 0x7c010000
	s_mov_b32 s20, exec_lo
	v_cmpx_ne_u32_e32 0x7f, v90
	s_cbranch_execz .LBB312_2875
; %bb.2872:                             ;   in Loop: Header=BB312_1574 Depth=1
	v_and_b32_sdwa v88, v0, v52 dst_sel:DWORD dst_unused:UNUSED_PAD src0_sel:WORD_0 src1_sel:DWORD
	v_lshrrev_b32_e32 v89, 3, v90
	s_mov_b32 s21, exec_lo
	v_cmpx_gt_u32_e32 8, v90
; %bb.2873:                             ;   in Loop: Header=BB312_1574 Depth=1
	v_ffbh_u32_e32 v88, v88
	v_min_u32_e32 v90, 32, v88
	v_subrev_nc_u32_e32 v88, 28, v90
	v_lshlrev_b64 v[88:89], v88, v[0:1]
	v_sub_nc_u32_e32 v89, 29, v90
	v_and_b32_e32 v88, 7, v88
; %bb.2874:                             ;   in Loop: Header=BB312_1574 Depth=1
	s_or_b32 exec_lo, exec_lo, s21
	v_lshlrev_b32_sdwa v0, v53, v0 dst_sel:DWORD dst_unused:UNUSED_PAD src0_sel:DWORD src1_sel:WORD_0
	v_lshl_add_u32 v89, v89, 10, 0x2000
	v_lshlrev_b32_e32 v88, 23, v88
	v_and_or_b32 v0, 0x8000, v0, v89
	v_lshl_or_b32 v88, v0, 16, v88
.LBB312_2875:                           ;   in Loop: Header=BB312_1574 Depth=1
	s_or_b32 exec_lo, exec_lo, s20
.LBB312_2876:                           ;   in Loop: Header=BB312_1574 Depth=1
	s_or_b32 exec_lo, exec_lo, s18
.LBB312_2877:                           ;   in Loop: Header=BB312_1574 Depth=1
	s_or_b32 exec_lo, exec_lo, s17
	v_lshrrev_b32_e32 v0, 16, v11
	v_cmp_ne_u16_sdwa s4, v0, v1 src0_sel:BYTE_0 src1_sel:DWORD
	s_and_saveexec_b32 s17, s4
	s_cbranch_execz .LBB312_2885
; %bb.2878:                             ;   in Loop: Header=BB312_1574 Depth=1
	v_cmp_ne_u16_sdwa s4, v0, v17 src0_sel:BYTE_0 src1_sel:DWORD
	v_mov_b32_e32 v75, 0x8000
	s_and_saveexec_b32 s18, s4
	s_cbranch_execz .LBB312_2884
; %bb.2879:                             ;   in Loop: Header=BB312_1574 Depth=1
	v_bfe_u32 v90, v11, 16, 7
	v_mov_b32_e32 v75, 0x7c01
	s_mov_b32 s20, exec_lo
	v_cmpx_ne_u32_e32 0x7f, v90
	s_cbranch_execz .LBB312_2883
; %bb.2880:                             ;   in Loop: Header=BB312_1574 Depth=1
	v_and_b32_e32 v75, 7, v0
	v_lshrrev_b32_e32 v89, 3, v90
	s_mov_b32 s21, exec_lo
	v_cmpx_gt_u32_e32 8, v90
; %bb.2881:                             ;   in Loop: Header=BB312_1574 Depth=1
	v_ffbh_u32_e32 v75, v75
	v_min_u32_e32 v75, 32, v75
	v_subrev_nc_u32_e32 v89, 28, v75
	v_lshlrev_b64 v[90:91], v89, v[0:1]
	v_sub_nc_u32_e32 v89, 29, v75
	v_and_b32_e32 v75, 7, v90
; %bb.2882:                             ;   in Loop: Header=BB312_1574 Depth=1
	s_or_b32 exec_lo, exec_lo, s21
	v_lshlrev_b32_e32 v0, 8, v0
	v_lshl_add_u32 v89, v89, 10, 0x2000
	v_lshlrev_b32_e32 v75, 7, v75
	v_and_b32_e32 v0, 0x8000, v0
	v_and_b32_e32 v89, 0xfc00, v89
	v_or3_b32 v75, v0, v89, v75
.LBB312_2883:                           ;   in Loop: Header=BB312_1574 Depth=1
	s_or_b32 exec_lo, exec_lo, s20
.LBB312_2884:                           ;   in Loop: Header=BB312_1574 Depth=1
	s_or_b32 exec_lo, exec_lo, s18
.LBB312_2885:                           ;   in Loop: Header=BB312_1574 Depth=1
	s_or_b32 exec_lo, exec_lo, s17
	v_cmp_lt_u64_e64 s4, s[12:13], v[10:11]
	v_mov_b32_e32 v10, 0
	s_and_saveexec_b32 s17, s4
	s_cbranch_execz .LBB312_2893
; %bb.2886:                             ;   in Loop: Header=BB312_1574 Depth=1
	v_lshrrev_b32_e32 v0, 24, v11
	v_bfrev_b32_e32 v10, 1
	s_mov_b32 s18, exec_lo
	v_cmpx_ne_u32_e32 0x80, v0
	s_cbranch_execz .LBB312_2892
; %bb.2887:                             ;   in Loop: Header=BB312_1574 Depth=1
	v_and_b32_e32 v89, 0x7f, v0
	v_mov_b32_e32 v10, 0x7c010000
	s_mov_b32 s20, exec_lo
	v_cmpx_ne_u32_e32 0x7f, v89
	s_cbranch_execz .LBB312_2891
; %bb.2888:                             ;   in Loop: Header=BB312_1574 Depth=1
	v_and_b32_e32 v10, 7, v0
	v_lshrrev_b32_e32 v11, 3, v89
	s_mov_b32 s21, exec_lo
	v_cmpx_gt_u32_e32 8, v89
; %bb.2889:                             ;   in Loop: Header=BB312_1574 Depth=1
	v_ffbh_u32_e32 v10, v10
	v_min_u32_e32 v89, 32, v10
	v_subrev_nc_u32_e32 v10, 28, v89
	v_lshlrev_b64 v[10:11], v10, v[0:1]
	v_sub_nc_u32_e32 v11, 29, v89
	v_and_b32_e32 v10, 7, v10
; %bb.2890:                             ;   in Loop: Header=BB312_1574 Depth=1
	s_or_b32 exec_lo, exec_lo, s21
	v_lshlrev_b32_e32 v0, 8, v0
	v_lshl_add_u32 v11, v11, 10, 0x2000
	v_lshlrev_b32_e32 v10, 23, v10
	v_and_or_b32 v0, 0x8000, v0, v11
	v_lshl_or_b32 v10, v0, 16, v10
.LBB312_2891:                           ;   in Loop: Header=BB312_1574 Depth=1
	s_or_b32 exec_lo, exec_lo, s20
.LBB312_2892:                           ;   in Loop: Header=BB312_1574 Depth=1
	s_or_b32 exec_lo, exec_lo, s18
.LBB312_2893:                           ;   in Loop: Header=BB312_1574 Depth=1
	s_or_b32 exec_lo, exec_lo, s17
	v_or_b32_e32 v0, v61, v72
	s_waitcnt vmcnt(0) lgkmcnt(0)
	v_fma_mixlo_f16 v11, v70, v61, 0 op_sel:[0,1,0] op_sel_hi:[0,1,0]
	v_or_b32_e32 v61, v71, v118
	v_fma_mixlo_f16 v71, v70, v71, 0 op_sel:[0,1,0] op_sel_hi:[0,1,0]
	v_or_b32_e32 v72, v88, v79
	v_or_b32_e32 v75, v10, v75
	v_fma_mixlo_f16 v79, v70, v0, 0 op_sel_hi:[0,1,0]
	v_fma_mixlo_f16 v10, v70, v10, 0 op_sel:[0,1,0] op_sel_hi:[0,1,0]
	v_lshlrev_b32_e32 v118, 16, v71
	v_fma_mixlo_f16 v71, v70, v61, 0 op_sel_hi:[0,1,0]
	v_fma_mixlo_f16 v61, v70, v88, 0 op_sel:[0,1,0] op_sel_hi:[0,1,0]
	v_fma_mixlo_f16 v72, v70, v72, 0 op_sel_hi:[0,1,0]
	v_fma_mixlo_f16 v75, v70, v75, 0 op_sel_hi:[0,1,0]
	v_lshlrev_b32_e32 v0, 16, v11
	v_and_b32_e32 v11, 0xffff, v79
	v_and_b32_e32 v89, 0xffff, v71
	v_lshlrev_b32_e32 v70, 16, v61
	v_and_b32_e32 v72, 0xffff, v72
	v_lshlrev_b32_e32 v10, 16, v10
	v_and_b32_e32 v71, 0xffff, v75
	v_or_b32_e32 v61, v0, v11
	v_or_b32_e32 v88, v118, v89
	;; [unrolled: 1-line block ×4, first 2 shown]
	s_and_saveexec_b32 s17, vcc_lo
	s_cbranch_execz .LBB312_2895
; %bb.2894:                             ;   in Loop: Header=BB312_1574 Depth=1
	v_cmp_lt_i32_e64 s4, v86, v36
	v_cndmask_b32_e64 v61, 0, v89, s4
	v_cmp_lt_i32_e64 s4, v115, v36
	v_cndmask_b32_e64 v118, 0, v118, s4
	v_cmp_lt_i32_e64 s4, v114, v36
	v_or_b32_e32 v88, v61, v118
	v_cndmask_b32_e64 v11, 0, v11, s4
	v_cmp_lt_i32_e64 s4, v113, v36
	v_cndmask_b32_e64 v0, 0, v0, s4
	v_cmp_lt_i32_e64 s4, v112, v36
	v_or_b32_e32 v61, v11, v0
	;; [unrolled: 5-line block ×3, first 2 shown]
	v_cndmask_b32_e64 v71, 0, v71, s4
	v_cmp_lt_i32_e64 s4, v101, v36
	v_cndmask_b32_e64 v10, 0, v10, s4
	v_or_b32_e32 v75, v71, v10
.LBB312_2895:                           ;   in Loop: Header=BB312_1574 Depth=1
	s_or_b32 exec_lo, exec_lo, s17
	;;#ASMSTART
	v_pk_mul_f16 v0, v100, v88;

	;;#ASMEND
	;;#ASMSTART
	v_pk_mul_f16 v10, v99, v61;

	;;#ASMEND
	;;#ASMSTART
	v_pk_mul_f16 v11, v98, v79;

	;;#ASMEND
	;;#ASMSTART
	v_pk_mul_f16 v70, v97, v75;

	;;#ASMEND
	;;#ASMSTART
	v_pk_add_f16 v0, v0, v10;

	;;#ASMEND
	;;#ASMSTART
	v_pk_add_f16 v0, v0, v11;

	;;#ASMEND
	;; [unrolled: 4-line block ×3, first 2 shown]
	v_and_b32_e32 v10, 0xffff, v0
	v_lshrrev_b32_e32 v0, 16, v0
	;;#ASMSTART
	v_cvt_f32_f16 v61, v10;
	;;#ASMEND
	;;#ASMSTART
	v_cvt_f32_f16 v75, v0;
	;;#ASMEND
	flat_load_dwordx2 v[10:11], v[8:9] offset:1024
	flat_load_dword v70, v[26:27]
	v_mov_b32_e32 v71, 0
	v_mov_b32_e32 v118, 0
	s_waitcnt vmcnt(1) lgkmcnt(1)
	v_cmp_ne_u16_sdwa s4, v10, v1 src0_sel:BYTE_0 src1_sel:DWORD
	s_and_saveexec_b32 s17, s4
	s_cbranch_execz .LBB312_2903
; %bb.2896:                             ;   in Loop: Header=BB312_1574 Depth=1
	v_cmp_ne_u16_sdwa s4, v10, v17 src0_sel:BYTE_0 src1_sel:DWORD
	v_mov_b32_e32 v118, 0x8000
	s_and_saveexec_b32 s18, s4
	s_cbranch_execz .LBB312_2902
; %bb.2897:                             ;   in Loop: Header=BB312_1574 Depth=1
	v_and_b32_e32 v72, 0x7f, v10
	v_mov_b32_e32 v118, 0x7c01
	s_mov_b32 s20, exec_lo
	v_cmpx_ne_u32_e32 0x7f, v72
	s_cbranch_execz .LBB312_2901
; %bb.2898:                             ;   in Loop: Header=BB312_1574 Depth=1
	v_and_b32_e32 v0, 7, v10
	v_lshrrev_b32_e32 v118, 3, v72
	s_mov_b32 s21, exec_lo
	v_cmpx_gt_u32_e32 8, v72
; %bb.2899:                             ;   in Loop: Header=BB312_1574 Depth=1
	v_ffbh_u32_e32 v0, v0
	v_min_u32_e32 v0, 32, v0
	v_subrev_nc_u32_e32 v118, 28, v0
	v_lshlrev_b64 v[88:89], v118, v[10:11]
	v_sub_nc_u32_e32 v118, 29, v0
	v_and_b32_e32 v0, 7, v88
; %bb.2900:                             ;   in Loop: Header=BB312_1574 Depth=1
	s_or_b32 exec_lo, exec_lo, s21
	v_lshlrev_b32_e32 v72, 8, v10
	v_lshl_add_u32 v118, v118, 10, 0x2000
	v_lshlrev_b32_e32 v0, 7, v0
	v_and_b32_e32 v72, 0x8000, v72
	v_and_b32_e32 v118, 0xfc00, v118
	v_or3_b32 v118, v72, v118, v0
.LBB312_2901:                           ;   in Loop: Header=BB312_1574 Depth=1
	s_or_b32 exec_lo, exec_lo, s20
.LBB312_2902:                           ;   in Loop: Header=BB312_1574 Depth=1
	s_or_b32 exec_lo, exec_lo, s18
.LBB312_2903:                           ;   in Loop: Header=BB312_1574 Depth=1
	s_or_b32 exec_lo, exec_lo, s17
	v_lshrrev_b16 v0, 8, v10
	s_mov_b32 s17, exec_lo
	v_cmpx_ne_u16_e32 0, v0
	s_cbranch_execz .LBB312_2911
; %bb.2904:                             ;   in Loop: Header=BB312_1574 Depth=1
	v_bfrev_b32_e32 v71, 1
	s_mov_b32 s18, exec_lo
	v_cmpx_ne_u16_e32 0x80, v0
	s_cbranch_execz .LBB312_2910
; %bb.2905:                             ;   in Loop: Header=BB312_1574 Depth=1
	v_and_b32_sdwa v79, v0, v51 dst_sel:DWORD dst_unused:UNUSED_PAD src0_sel:WORD_0 src1_sel:DWORD
	v_mov_b32_e32 v71, 0x7c010000
	s_mov_b32 s20, exec_lo
	v_cmpx_ne_u32_e32 0x7f, v79
	s_cbranch_execz .LBB312_2909
; %bb.2906:                             ;   in Loop: Header=BB312_1574 Depth=1
	v_and_b32_sdwa v71, v0, v52 dst_sel:DWORD dst_unused:UNUSED_PAD src0_sel:WORD_0 src1_sel:DWORD
	v_lshrrev_b32_e32 v72, 3, v79
	s_mov_b32 s21, exec_lo
	v_cmpx_gt_u32_e32 8, v79
; %bb.2907:                             ;   in Loop: Header=BB312_1574 Depth=1
	v_ffbh_u32_e32 v71, v71
	v_min_u32_e32 v79, 32, v71
	v_subrev_nc_u32_e32 v71, 28, v79
	v_lshlrev_b64 v[71:72], v71, v[0:1]
	v_sub_nc_u32_e32 v72, 29, v79
	v_and_b32_e32 v71, 7, v71
; %bb.2908:                             ;   in Loop: Header=BB312_1574 Depth=1
	s_or_b32 exec_lo, exec_lo, s21
	v_lshlrev_b32_sdwa v0, v53, v0 dst_sel:DWORD dst_unused:UNUSED_PAD src0_sel:DWORD src1_sel:WORD_0
	v_lshl_add_u32 v72, v72, 10, 0x2000
	v_lshlrev_b32_e32 v71, 23, v71
	v_and_or_b32 v0, 0x8000, v0, v72
	v_lshl_or_b32 v71, v0, 16, v71
.LBB312_2909:                           ;   in Loop: Header=BB312_1574 Depth=1
	s_or_b32 exec_lo, exec_lo, s20
.LBB312_2910:                           ;   in Loop: Header=BB312_1574 Depth=1
	s_or_b32 exec_lo, exec_lo, s18
.LBB312_2911:                           ;   in Loop: Header=BB312_1574 Depth=1
	s_or_b32 exec_lo, exec_lo, s17
	v_lshrrev_b32_e32 v0, 16, v10
	v_mov_b32_e32 v72, 0
	v_mov_b32_e32 v79, 0
	v_cmp_ne_u16_sdwa s4, v0, v1 src0_sel:BYTE_0 src1_sel:DWORD
	s_and_saveexec_b32 s17, s4
	s_cbranch_execz .LBB312_2919
; %bb.2912:                             ;   in Loop: Header=BB312_1574 Depth=1
	v_cmp_ne_u16_sdwa s4, v0, v17 src0_sel:BYTE_0 src1_sel:DWORD
	v_mov_b32_e32 v79, 0x8000
	s_and_saveexec_b32 s18, s4
	s_cbranch_execz .LBB312_2918
; %bb.2913:                             ;   in Loop: Header=BB312_1574 Depth=1
	v_bfe_u32 v89, v10, 16, 7
	v_mov_b32_e32 v79, 0x7c01
	s_mov_b32 s20, exec_lo
	v_cmpx_ne_u32_e32 0x7f, v89
	s_cbranch_execz .LBB312_2917
; %bb.2914:                             ;   in Loop: Header=BB312_1574 Depth=1
	v_and_b32_e32 v79, 7, v0
	v_lshrrev_b32_e32 v88, 3, v89
	s_mov_b32 s21, exec_lo
	v_cmpx_gt_u32_e32 8, v89
; %bb.2915:                             ;   in Loop: Header=BB312_1574 Depth=1
	v_ffbh_u32_e32 v79, v79
	v_min_u32_e32 v79, 32, v79
	v_subrev_nc_u32_e32 v88, 28, v79
	v_lshlrev_b64 v[89:90], v88, v[0:1]
	v_sub_nc_u32_e32 v88, 29, v79
	v_and_b32_e32 v79, 7, v89
; %bb.2916:                             ;   in Loop: Header=BB312_1574 Depth=1
	s_or_b32 exec_lo, exec_lo, s21
	v_lshlrev_b32_e32 v0, 8, v0
	v_lshl_add_u32 v88, v88, 10, 0x2000
	v_lshlrev_b32_e32 v79, 7, v79
	v_and_b32_e32 v0, 0x8000, v0
	v_and_b32_e32 v88, 0xfc00, v88
	v_or3_b32 v79, v0, v88, v79
.LBB312_2917:                           ;   in Loop: Header=BB312_1574 Depth=1
	s_or_b32 exec_lo, exec_lo, s20
.LBB312_2918:                           ;   in Loop: Header=BB312_1574 Depth=1
	s_or_b32 exec_lo, exec_lo, s18
.LBB312_2919:                           ;   in Loop: Header=BB312_1574 Depth=1
	s_or_b32 exec_lo, exec_lo, s17
	s_mov_b32 s17, exec_lo
	v_cmpx_lt_u32_e32 0xffffff, v10
	s_cbranch_execz .LBB312_2927
; %bb.2920:                             ;   in Loop: Header=BB312_1574 Depth=1
	v_lshrrev_b32_e32 v0, 24, v10
	v_bfrev_b32_e32 v72, 1
	s_mov_b32 s18, exec_lo
	v_cmpx_ne_u32_e32 0x80, v0
	s_cbranch_execz .LBB312_2926
; %bb.2921:                             ;   in Loop: Header=BB312_1574 Depth=1
	v_and_b32_e32 v89, 0x7f, v0
	v_mov_b32_e32 v72, 0x7c010000
	s_mov_b32 s20, exec_lo
	v_cmpx_ne_u32_e32 0x7f, v89
	s_cbranch_execz .LBB312_2925
; %bb.2922:                             ;   in Loop: Header=BB312_1574 Depth=1
	v_and_b32_e32 v72, 7, v0
	v_lshrrev_b32_e32 v88, 3, v89
	s_mov_b32 s21, exec_lo
	v_cmpx_gt_u32_e32 8, v89
; %bb.2923:                             ;   in Loop: Header=BB312_1574 Depth=1
	v_ffbh_u32_e32 v72, v72
	v_min_u32_e32 v72, 32, v72
	v_subrev_nc_u32_e32 v88, 28, v72
	v_lshlrev_b64 v[89:90], v88, v[0:1]
	v_sub_nc_u32_e32 v88, 29, v72
	v_and_b32_e32 v72, 7, v89
; %bb.2924:                             ;   in Loop: Header=BB312_1574 Depth=1
	s_or_b32 exec_lo, exec_lo, s21
	v_lshlrev_b32_e32 v0, 8, v0
	v_lshl_add_u32 v88, v88, 10, 0x2000
	v_lshlrev_b32_e32 v72, 23, v72
	v_and_or_b32 v0, 0x8000, v0, v88
	v_lshl_or_b32 v72, v0, 16, v72
.LBB312_2925:                           ;   in Loop: Header=BB312_1574 Depth=1
	s_or_b32 exec_lo, exec_lo, s20
.LBB312_2926:                           ;   in Loop: Header=BB312_1574 Depth=1
	s_or_b32 exec_lo, exec_lo, s18
.LBB312_2927:                           ;   in Loop: Header=BB312_1574 Depth=1
	s_or_b32 exec_lo, exec_lo, s17
	v_mov_b32_e32 v0, v11
	v_cmp_ne_u16_sdwa s4, v11, v1 src0_sel:BYTE_0 src1_sel:DWORD
	v_mov_b32_e32 v88, 0
	v_mov_b32_e32 v89, 0
	s_and_saveexec_b32 s17, s4
	s_cbranch_execz .LBB312_2935
; %bb.2928:                             ;   in Loop: Header=BB312_1574 Depth=1
	v_cmp_ne_u16_sdwa s4, v11, v17 src0_sel:BYTE_0 src1_sel:DWORD
	v_mov_b32_e32 v89, 0x8000
	s_and_saveexec_b32 s18, s4
	s_cbranch_execz .LBB312_2934
; %bb.2929:                             ;   in Loop: Header=BB312_1574 Depth=1
	v_and_b32_e32 v91, 0x7f, v11
	v_mov_b32_e32 v89, 0x7c01
	s_mov_b32 s20, exec_lo
	v_cmpx_ne_u32_e32 0x7f, v91
	s_cbranch_execz .LBB312_2933
; %bb.2930:                             ;   in Loop: Header=BB312_1574 Depth=1
	v_and_b32_e32 v89, 7, v11
	v_lshrrev_b32_e32 v90, 3, v91
	s_mov_b32 s21, exec_lo
	v_cmpx_gt_u32_e32 8, v91
; %bb.2931:                             ;   in Loop: Header=BB312_1574 Depth=1
	v_ffbh_u32_e32 v89, v89
	v_min_u32_e32 v91, 32, v89
	v_subrev_nc_u32_e32 v89, 28, v91
	v_lshlrev_b64 v[89:90], v89, v[0:1]
	v_sub_nc_u32_e32 v90, 29, v91
	v_and_b32_e32 v89, 7, v89
; %bb.2932:                             ;   in Loop: Header=BB312_1574 Depth=1
	s_or_b32 exec_lo, exec_lo, s21
	v_lshlrev_b32_e32 v91, 8, v11
	v_lshl_add_u32 v90, v90, 10, 0x2000
	v_lshlrev_b32_e32 v89, 7, v89
	v_and_b32_e32 v91, 0x8000, v91
	v_and_b32_e32 v90, 0xfc00, v90
	v_or3_b32 v89, v91, v90, v89
.LBB312_2933:                           ;   in Loop: Header=BB312_1574 Depth=1
	s_or_b32 exec_lo, exec_lo, s20
.LBB312_2934:                           ;   in Loop: Header=BB312_1574 Depth=1
	s_or_b32 exec_lo, exec_lo, s18
.LBB312_2935:                           ;   in Loop: Header=BB312_1574 Depth=1
	s_or_b32 exec_lo, exec_lo, s17
	v_lshrrev_b16 v0, 8, v0
	v_mov_b32_e32 v90, 0
	s_mov_b32 s17, exec_lo
	v_cmpx_ne_u16_e32 0, v0
	s_cbranch_execz .LBB312_2943
; %bb.2936:                             ;   in Loop: Header=BB312_1574 Depth=1
	v_bfrev_b32_e32 v90, 1
	s_mov_b32 s18, exec_lo
	v_cmpx_ne_u16_e32 0x80, v0
	s_cbranch_execz .LBB312_2942
; %bb.2937:                             ;   in Loop: Header=BB312_1574 Depth=1
	v_and_b32_sdwa v92, v0, v51 dst_sel:DWORD dst_unused:UNUSED_PAD src0_sel:WORD_0 src1_sel:DWORD
	v_mov_b32_e32 v90, 0x7c010000
	s_mov_b32 s20, exec_lo
	v_cmpx_ne_u32_e32 0x7f, v92
	s_cbranch_execz .LBB312_2941
; %bb.2938:                             ;   in Loop: Header=BB312_1574 Depth=1
	v_and_b32_sdwa v90, v0, v52 dst_sel:DWORD dst_unused:UNUSED_PAD src0_sel:WORD_0 src1_sel:DWORD
	v_lshrrev_b32_e32 v91, 3, v92
	s_mov_b32 s21, exec_lo
	v_cmpx_gt_u32_e32 8, v92
; %bb.2939:                             ;   in Loop: Header=BB312_1574 Depth=1
	v_ffbh_u32_e32 v90, v90
	v_min_u32_e32 v92, 32, v90
	v_subrev_nc_u32_e32 v90, 28, v92
	v_lshlrev_b64 v[90:91], v90, v[0:1]
	v_sub_nc_u32_e32 v91, 29, v92
	v_and_b32_e32 v90, 7, v90
; %bb.2940:                             ;   in Loop: Header=BB312_1574 Depth=1
	s_or_b32 exec_lo, exec_lo, s21
	v_lshlrev_b32_sdwa v0, v53, v0 dst_sel:DWORD dst_unused:UNUSED_PAD src0_sel:DWORD src1_sel:WORD_0
	v_lshl_add_u32 v91, v91, 10, 0x2000
	v_lshlrev_b32_e32 v90, 23, v90
	v_and_or_b32 v0, 0x8000, v0, v91
	v_lshl_or_b32 v90, v0, 16, v90
.LBB312_2941:                           ;   in Loop: Header=BB312_1574 Depth=1
	s_or_b32 exec_lo, exec_lo, s20
.LBB312_2942:                           ;   in Loop: Header=BB312_1574 Depth=1
	s_or_b32 exec_lo, exec_lo, s18
.LBB312_2943:                           ;   in Loop: Header=BB312_1574 Depth=1
	s_or_b32 exec_lo, exec_lo, s17
	v_lshrrev_b32_e32 v0, 16, v11
	v_cmp_ne_u16_sdwa s4, v0, v1 src0_sel:BYTE_0 src1_sel:DWORD
	s_and_saveexec_b32 s17, s4
	s_cbranch_execz .LBB312_2951
; %bb.2944:                             ;   in Loop: Header=BB312_1574 Depth=1
	v_cmp_ne_u16_sdwa s4, v0, v17 src0_sel:BYTE_0 src1_sel:DWORD
	v_mov_b32_e32 v88, 0x8000
	s_and_saveexec_b32 s18, s4
	s_cbranch_execz .LBB312_2950
; %bb.2945:                             ;   in Loop: Header=BB312_1574 Depth=1
	v_bfe_u32 v92, v11, 16, 7
	v_mov_b32_e32 v88, 0x7c01
	s_mov_b32 s20, exec_lo
	v_cmpx_ne_u32_e32 0x7f, v92
	s_cbranch_execz .LBB312_2949
; %bb.2946:                             ;   in Loop: Header=BB312_1574 Depth=1
	v_and_b32_e32 v88, 7, v0
	v_lshrrev_b32_e32 v91, 3, v92
	s_mov_b32 s21, exec_lo
	v_cmpx_gt_u32_e32 8, v92
; %bb.2947:                             ;   in Loop: Header=BB312_1574 Depth=1
	v_ffbh_u32_e32 v88, v88
	v_min_u32_e32 v88, 32, v88
	v_subrev_nc_u32_e32 v91, 28, v88
	v_lshlrev_b64 v[92:93], v91, v[0:1]
	v_sub_nc_u32_e32 v91, 29, v88
	v_and_b32_e32 v88, 7, v92
; %bb.2948:                             ;   in Loop: Header=BB312_1574 Depth=1
	s_or_b32 exec_lo, exec_lo, s21
	v_lshlrev_b32_e32 v0, 8, v0
	v_lshl_add_u32 v91, v91, 10, 0x2000
	v_lshlrev_b32_e32 v88, 7, v88
	v_and_b32_e32 v0, 0x8000, v0
	v_and_b32_e32 v91, 0xfc00, v91
	v_or3_b32 v88, v0, v91, v88
.LBB312_2949:                           ;   in Loop: Header=BB312_1574 Depth=1
	s_or_b32 exec_lo, exec_lo, s20
.LBB312_2950:                           ;   in Loop: Header=BB312_1574 Depth=1
	s_or_b32 exec_lo, exec_lo, s18
.LBB312_2951:                           ;   in Loop: Header=BB312_1574 Depth=1
	s_or_b32 exec_lo, exec_lo, s17
	v_cmp_lt_u64_e64 s4, s[12:13], v[10:11]
	v_mov_b32_e32 v10, 0
	s_and_saveexec_b32 s17, s4
	s_cbranch_execz .LBB312_2959
; %bb.2952:                             ;   in Loop: Header=BB312_1574 Depth=1
	v_lshrrev_b32_e32 v0, 24, v11
	v_bfrev_b32_e32 v10, 1
	s_mov_b32 s18, exec_lo
	v_cmpx_ne_u32_e32 0x80, v0
	s_cbranch_execz .LBB312_2958
; %bb.2953:                             ;   in Loop: Header=BB312_1574 Depth=1
	v_and_b32_e32 v91, 0x7f, v0
	v_mov_b32_e32 v10, 0x7c010000
	s_mov_b32 s20, exec_lo
	v_cmpx_ne_u32_e32 0x7f, v91
	s_cbranch_execz .LBB312_2957
; %bb.2954:                             ;   in Loop: Header=BB312_1574 Depth=1
	v_and_b32_e32 v10, 7, v0
	v_lshrrev_b32_e32 v11, 3, v91
	s_mov_b32 s21, exec_lo
	v_cmpx_gt_u32_e32 8, v91
; %bb.2955:                             ;   in Loop: Header=BB312_1574 Depth=1
	v_ffbh_u32_e32 v10, v10
	v_min_u32_e32 v91, 32, v10
	v_subrev_nc_u32_e32 v10, 28, v91
	v_lshlrev_b64 v[10:11], v10, v[0:1]
	v_sub_nc_u32_e32 v11, 29, v91
	v_and_b32_e32 v10, 7, v10
; %bb.2956:                             ;   in Loop: Header=BB312_1574 Depth=1
	s_or_b32 exec_lo, exec_lo, s21
	v_lshlrev_b32_e32 v0, 8, v0
	v_lshl_add_u32 v11, v11, 10, 0x2000
	v_lshlrev_b32_e32 v10, 23, v10
	v_and_or_b32 v0, 0x8000, v0, v11
	v_lshl_or_b32 v10, v0, 16, v10
.LBB312_2957:                           ;   in Loop: Header=BB312_1574 Depth=1
	s_or_b32 exec_lo, exec_lo, s20
.LBB312_2958:                           ;   in Loop: Header=BB312_1574 Depth=1
	s_or_b32 exec_lo, exec_lo, s18
.LBB312_2959:                           ;   in Loop: Header=BB312_1574 Depth=1
	s_or_b32 exec_lo, exec_lo, s17
	v_or_b32_e32 v0, v72, v79
	s_waitcnt vmcnt(0) lgkmcnt(0)
	v_fma_mixlo_f16 v11, v70, v72, 0 op_sel:[0,1,0] op_sel_hi:[0,1,0]
	v_or_b32_e32 v72, v71, v118
	v_fma_mixlo_f16 v71, v70, v71, 0 op_sel:[0,1,0] op_sel_hi:[0,1,0]
	v_or_b32_e32 v79, v90, v89
	v_or_b32_e32 v88, v10, v88
	v_fma_mixlo_f16 v89, v70, v0, 0 op_sel_hi:[0,1,0]
	v_fma_mixlo_f16 v10, v70, v10, 0 op_sel:[0,1,0] op_sel_hi:[0,1,0]
	v_lshlrev_b32_e32 v118, 16, v71
	v_fma_mixlo_f16 v71, v70, v72, 0 op_sel_hi:[0,1,0]
	v_fma_mixlo_f16 v72, v70, v90, 0 op_sel:[0,1,0] op_sel_hi:[0,1,0]
	v_fma_mixlo_f16 v79, v70, v79, 0 op_sel_hi:[0,1,0]
	v_fma_mixlo_f16 v88, v70, v88, 0 op_sel_hi:[0,1,0]
	v_lshlrev_b32_e32 v0, 16, v11
	v_and_b32_e32 v11, 0xffff, v89
	v_and_b32_e32 v91, 0xffff, v71
	v_lshlrev_b32_e32 v70, 16, v72
	v_and_b32_e32 v79, 0xffff, v79
	v_lshlrev_b32_e32 v10, 16, v10
	v_and_b32_e32 v71, 0xffff, v88
	v_or_b32_e32 v72, v0, v11
	v_or_b32_e32 v90, v118, v91
	;; [unrolled: 1-line block ×4, first 2 shown]
	s_and_saveexec_b32 s17, vcc_lo
	s_cbranch_execz .LBB312_2961
; %bb.2960:                             ;   in Loop: Header=BB312_1574 Depth=1
	v_cmp_lt_i32_e64 s4, v86, v36
	v_cndmask_b32_e64 v72, 0, v91, s4
	v_cmp_lt_i32_e64 s4, v115, v36
	v_cndmask_b32_e64 v118, 0, v118, s4
	v_cmp_lt_i32_e64 s4, v114, v36
	v_or_b32_e32 v90, v72, v118
	v_cndmask_b32_e64 v11, 0, v11, s4
	v_cmp_lt_i32_e64 s4, v113, v36
	v_cndmask_b32_e64 v0, 0, v0, s4
	v_cmp_lt_i32_e64 s4, v112, v36
	v_or_b32_e32 v72, v11, v0
	;; [unrolled: 5-line block ×3, first 2 shown]
	v_cndmask_b32_e64 v71, 0, v71, s4
	v_cmp_lt_i32_e64 s4, v101, v36
	v_cndmask_b32_e64 v10, 0, v10, s4
	v_or_b32_e32 v88, v71, v10
.LBB312_2961:                           ;   in Loop: Header=BB312_1574 Depth=1
	s_or_b32 exec_lo, exec_lo, s17
	;;#ASMSTART
	v_pk_mul_f16 v0, v100, v90;

	;;#ASMEND
	;;#ASMSTART
	v_pk_mul_f16 v10, v99, v72;

	;;#ASMEND
	;; [unrolled: 4-line block ×4, first 2 shown]
	;;#ASMSTART
	v_pk_add_f16 v0, v0, v10;

	;;#ASMEND
	;;#ASMSTART
	v_pk_add_f16 v0, v0, v11;

	;;#ASMEND
	;; [unrolled: 4-line block ×3, first 2 shown]
	v_and_b32_e32 v10, 0xffff, v0
	v_lshrrev_b32_e32 v0, 16, v0
	;;#ASMSTART
	v_cvt_f32_f16 v70, v10;
	;;#ASMEND
	;;#ASMSTART
	v_cvt_f32_f16 v71, v0;
	;;#ASMEND
	flat_load_dwordx2 v[10:11], v[8:9] offset:1280
	flat_load_dword v118, v[26:27]
	v_mov_b32_e32 v72, 0
	v_mov_b32_e32 v79, 0
	s_waitcnt vmcnt(1) lgkmcnt(1)
	v_cmp_ne_u16_sdwa s4, v10, v1 src0_sel:BYTE_0 src1_sel:DWORD
	s_and_saveexec_b32 s17, s4
	s_cbranch_execz .LBB312_2969
; %bb.2962:                             ;   in Loop: Header=BB312_1574 Depth=1
	v_cmp_ne_u16_sdwa s4, v10, v17 src0_sel:BYTE_0 src1_sel:DWORD
	v_mov_b32_e32 v79, 0x8000
	s_and_saveexec_b32 s18, s4
	s_cbranch_execz .LBB312_2968
; %bb.2963:                             ;   in Loop: Header=BB312_1574 Depth=1
	v_and_b32_e32 v88, 0x7f, v10
	v_mov_b32_e32 v79, 0x7c01
	s_mov_b32 s20, exec_lo
	v_cmpx_ne_u32_e32 0x7f, v88
	s_cbranch_execz .LBB312_2967
; %bb.2964:                             ;   in Loop: Header=BB312_1574 Depth=1
	v_and_b32_e32 v0, 7, v10
	v_lshrrev_b32_e32 v79, 3, v88
	s_mov_b32 s21, exec_lo
	v_cmpx_gt_u32_e32 8, v88
; %bb.2965:                             ;   in Loop: Header=BB312_1574 Depth=1
	v_ffbh_u32_e32 v0, v0
	v_min_u32_e32 v0, 32, v0
	v_subrev_nc_u32_e32 v79, 28, v0
	v_lshlrev_b64 v[88:89], v79, v[10:11]
	v_sub_nc_u32_e32 v79, 29, v0
	v_and_b32_e32 v0, 7, v88
; %bb.2966:                             ;   in Loop: Header=BB312_1574 Depth=1
	s_or_b32 exec_lo, exec_lo, s21
	v_lshlrev_b32_e32 v88, 8, v10
	v_lshl_add_u32 v79, v79, 10, 0x2000
	v_lshlrev_b32_e32 v0, 7, v0
	v_and_b32_e32 v88, 0x8000, v88
	v_and_b32_e32 v79, 0xfc00, v79
	v_or3_b32 v79, v88, v79, v0
.LBB312_2967:                           ;   in Loop: Header=BB312_1574 Depth=1
	s_or_b32 exec_lo, exec_lo, s20
.LBB312_2968:                           ;   in Loop: Header=BB312_1574 Depth=1
	s_or_b32 exec_lo, exec_lo, s18
.LBB312_2969:                           ;   in Loop: Header=BB312_1574 Depth=1
	s_or_b32 exec_lo, exec_lo, s17
	v_lshrrev_b16 v0, 8, v10
	s_mov_b32 s17, exec_lo
	v_cmpx_ne_u16_e32 0, v0
	s_cbranch_execz .LBB312_2977
; %bb.2970:                             ;   in Loop: Header=BB312_1574 Depth=1
	v_bfrev_b32_e32 v72, 1
	s_mov_b32 s18, exec_lo
	v_cmpx_ne_u16_e32 0x80, v0
	s_cbranch_execz .LBB312_2976
; %bb.2971:                             ;   in Loop: Header=BB312_1574 Depth=1
	v_and_b32_sdwa v89, v0, v51 dst_sel:DWORD dst_unused:UNUSED_PAD src0_sel:WORD_0 src1_sel:DWORD
	v_mov_b32_e32 v72, 0x7c010000
	s_mov_b32 s20, exec_lo
	v_cmpx_ne_u32_e32 0x7f, v89
	s_cbranch_execz .LBB312_2975
; %bb.2972:                             ;   in Loop: Header=BB312_1574 Depth=1
	v_and_b32_sdwa v72, v0, v52 dst_sel:DWORD dst_unused:UNUSED_PAD src0_sel:WORD_0 src1_sel:DWORD
	v_lshrrev_b32_e32 v88, 3, v89
	s_mov_b32 s21, exec_lo
	v_cmpx_gt_u32_e32 8, v89
; %bb.2973:                             ;   in Loop: Header=BB312_1574 Depth=1
	v_ffbh_u32_e32 v72, v72
	v_min_u32_e32 v72, 32, v72
	v_subrev_nc_u32_e32 v88, 28, v72
	v_lshlrev_b64 v[89:90], v88, v[0:1]
	v_sub_nc_u32_e32 v88, 29, v72
	v_and_b32_e32 v72, 7, v89
; %bb.2974:                             ;   in Loop: Header=BB312_1574 Depth=1
	s_or_b32 exec_lo, exec_lo, s21
	v_lshlrev_b32_sdwa v0, v53, v0 dst_sel:DWORD dst_unused:UNUSED_PAD src0_sel:DWORD src1_sel:WORD_0
	v_lshl_add_u32 v88, v88, 10, 0x2000
	v_lshlrev_b32_e32 v72, 23, v72
	v_and_or_b32 v0, 0x8000, v0, v88
	v_lshl_or_b32 v72, v0, 16, v72
.LBB312_2975:                           ;   in Loop: Header=BB312_1574 Depth=1
	s_or_b32 exec_lo, exec_lo, s20
.LBB312_2976:                           ;   in Loop: Header=BB312_1574 Depth=1
	s_or_b32 exec_lo, exec_lo, s18
.LBB312_2977:                           ;   in Loop: Header=BB312_1574 Depth=1
	s_or_b32 exec_lo, exec_lo, s17
	v_lshrrev_b32_e32 v0, 16, v10
	v_mov_b32_e32 v88, 0
	v_mov_b32_e32 v89, 0
	v_cmp_ne_u16_sdwa s4, v0, v1 src0_sel:BYTE_0 src1_sel:DWORD
	s_and_saveexec_b32 s17, s4
	s_cbranch_execz .LBB312_2985
; %bb.2978:                             ;   in Loop: Header=BB312_1574 Depth=1
	v_cmp_ne_u16_sdwa s4, v0, v17 src0_sel:BYTE_0 src1_sel:DWORD
	v_mov_b32_e32 v89, 0x8000
	s_and_saveexec_b32 s18, s4
	s_cbranch_execz .LBB312_2984
; %bb.2979:                             ;   in Loop: Header=BB312_1574 Depth=1
	v_bfe_u32 v91, v10, 16, 7
	v_mov_b32_e32 v89, 0x7c01
	s_mov_b32 s20, exec_lo
	v_cmpx_ne_u32_e32 0x7f, v91
	s_cbranch_execz .LBB312_2983
; %bb.2980:                             ;   in Loop: Header=BB312_1574 Depth=1
	v_and_b32_e32 v89, 7, v0
	v_lshrrev_b32_e32 v90, 3, v91
	s_mov_b32 s21, exec_lo
	v_cmpx_gt_u32_e32 8, v91
; %bb.2981:                             ;   in Loop: Header=BB312_1574 Depth=1
	v_ffbh_u32_e32 v89, v89
	v_min_u32_e32 v91, 32, v89
	v_subrev_nc_u32_e32 v89, 28, v91
	v_lshlrev_b64 v[89:90], v89, v[0:1]
	v_sub_nc_u32_e32 v90, 29, v91
	v_and_b32_e32 v89, 7, v89
; %bb.2982:                             ;   in Loop: Header=BB312_1574 Depth=1
	s_or_b32 exec_lo, exec_lo, s21
	v_lshlrev_b32_e32 v0, 8, v0
	v_lshl_add_u32 v90, v90, 10, 0x2000
	v_lshlrev_b32_e32 v89, 7, v89
	v_and_b32_e32 v0, 0x8000, v0
	v_and_b32_e32 v90, 0xfc00, v90
	v_or3_b32 v89, v0, v90, v89
.LBB312_2983:                           ;   in Loop: Header=BB312_1574 Depth=1
	s_or_b32 exec_lo, exec_lo, s20
.LBB312_2984:                           ;   in Loop: Header=BB312_1574 Depth=1
	s_or_b32 exec_lo, exec_lo, s18
.LBB312_2985:                           ;   in Loop: Header=BB312_1574 Depth=1
	s_or_b32 exec_lo, exec_lo, s17
	s_mov_b32 s17, exec_lo
	v_cmpx_lt_u32_e32 0xffffff, v10
	s_cbranch_execz .LBB312_2993
; %bb.2986:                             ;   in Loop: Header=BB312_1574 Depth=1
	v_lshrrev_b32_e32 v0, 24, v10
	v_bfrev_b32_e32 v88, 1
	s_mov_b32 s18, exec_lo
	v_cmpx_ne_u32_e32 0x80, v0
	s_cbranch_execz .LBB312_2992
; %bb.2987:                             ;   in Loop: Header=BB312_1574 Depth=1
	v_and_b32_e32 v91, 0x7f, v0
	v_mov_b32_e32 v88, 0x7c010000
	s_mov_b32 s20, exec_lo
	v_cmpx_ne_u32_e32 0x7f, v91
	s_cbranch_execz .LBB312_2991
; %bb.2988:                             ;   in Loop: Header=BB312_1574 Depth=1
	v_and_b32_e32 v88, 7, v0
	v_lshrrev_b32_e32 v90, 3, v91
	s_mov_b32 s21, exec_lo
	v_cmpx_gt_u32_e32 8, v91
; %bb.2989:                             ;   in Loop: Header=BB312_1574 Depth=1
	v_ffbh_u32_e32 v88, v88
	v_min_u32_e32 v88, 32, v88
	v_subrev_nc_u32_e32 v90, 28, v88
	v_lshlrev_b64 v[91:92], v90, v[0:1]
	v_sub_nc_u32_e32 v90, 29, v88
	v_and_b32_e32 v88, 7, v91
; %bb.2990:                             ;   in Loop: Header=BB312_1574 Depth=1
	s_or_b32 exec_lo, exec_lo, s21
	v_lshlrev_b32_e32 v0, 8, v0
	v_lshl_add_u32 v90, v90, 10, 0x2000
	v_lshlrev_b32_e32 v88, 23, v88
	v_and_or_b32 v0, 0x8000, v0, v90
	v_lshl_or_b32 v88, v0, 16, v88
.LBB312_2991:                           ;   in Loop: Header=BB312_1574 Depth=1
	s_or_b32 exec_lo, exec_lo, s20
.LBB312_2992:                           ;   in Loop: Header=BB312_1574 Depth=1
	s_or_b32 exec_lo, exec_lo, s18
.LBB312_2993:                           ;   in Loop: Header=BB312_1574 Depth=1
	s_or_b32 exec_lo, exec_lo, s17
	v_mov_b32_e32 v0, v11
	v_cmp_ne_u16_sdwa s4, v11, v1 src0_sel:BYTE_0 src1_sel:DWORD
	v_mov_b32_e32 v90, 0
	v_mov_b32_e32 v91, 0
	s_and_saveexec_b32 s17, s4
	s_cbranch_execz .LBB312_3001
; %bb.2994:                             ;   in Loop: Header=BB312_1574 Depth=1
	v_cmp_ne_u16_sdwa s4, v11, v17 src0_sel:BYTE_0 src1_sel:DWORD
	v_mov_b32_e32 v91, 0x8000
	s_and_saveexec_b32 s18, s4
	s_cbranch_execz .LBB312_3000
; %bb.2995:                             ;   in Loop: Header=BB312_1574 Depth=1
	v_and_b32_e32 v93, 0x7f, v11
	v_mov_b32_e32 v91, 0x7c01
	s_mov_b32 s20, exec_lo
	v_cmpx_ne_u32_e32 0x7f, v93
	s_cbranch_execz .LBB312_2999
; %bb.2996:                             ;   in Loop: Header=BB312_1574 Depth=1
	v_and_b32_e32 v91, 7, v11
	v_lshrrev_b32_e32 v92, 3, v93
	s_mov_b32 s21, exec_lo
	v_cmpx_gt_u32_e32 8, v93
; %bb.2997:                             ;   in Loop: Header=BB312_1574 Depth=1
	v_ffbh_u32_e32 v91, v91
	v_min_u32_e32 v93, 32, v91
	v_subrev_nc_u32_e32 v91, 28, v93
	v_lshlrev_b64 v[91:92], v91, v[0:1]
	v_sub_nc_u32_e32 v92, 29, v93
	v_and_b32_e32 v91, 7, v91
; %bb.2998:                             ;   in Loop: Header=BB312_1574 Depth=1
	s_or_b32 exec_lo, exec_lo, s21
	v_lshlrev_b32_e32 v93, 8, v11
	v_lshl_add_u32 v92, v92, 10, 0x2000
	v_lshlrev_b32_e32 v91, 7, v91
	v_and_b32_e32 v93, 0x8000, v93
	v_and_b32_e32 v92, 0xfc00, v92
	v_or3_b32 v91, v93, v92, v91
.LBB312_2999:                           ;   in Loop: Header=BB312_1574 Depth=1
	s_or_b32 exec_lo, exec_lo, s20
.LBB312_3000:                           ;   in Loop: Header=BB312_1574 Depth=1
	s_or_b32 exec_lo, exec_lo, s18
.LBB312_3001:                           ;   in Loop: Header=BB312_1574 Depth=1
	s_or_b32 exec_lo, exec_lo, s17
	v_lshrrev_b16 v0, 8, v0
	v_mov_b32_e32 v92, 0
	s_mov_b32 s17, exec_lo
	v_cmpx_ne_u16_e32 0, v0
	s_cbranch_execz .LBB312_3009
; %bb.3002:                             ;   in Loop: Header=BB312_1574 Depth=1
	v_bfrev_b32_e32 v92, 1
	s_mov_b32 s18, exec_lo
	v_cmpx_ne_u16_e32 0x80, v0
	s_cbranch_execz .LBB312_3008
; %bb.3003:                             ;   in Loop: Header=BB312_1574 Depth=1
	v_and_b32_sdwa v94, v0, v51 dst_sel:DWORD dst_unused:UNUSED_PAD src0_sel:WORD_0 src1_sel:DWORD
	v_mov_b32_e32 v92, 0x7c010000
	s_mov_b32 s20, exec_lo
	v_cmpx_ne_u32_e32 0x7f, v94
	s_cbranch_execz .LBB312_3007
; %bb.3004:                             ;   in Loop: Header=BB312_1574 Depth=1
	v_and_b32_sdwa v92, v0, v52 dst_sel:DWORD dst_unused:UNUSED_PAD src0_sel:WORD_0 src1_sel:DWORD
	v_lshrrev_b32_e32 v93, 3, v94
	s_mov_b32 s21, exec_lo
	v_cmpx_gt_u32_e32 8, v94
; %bb.3005:                             ;   in Loop: Header=BB312_1574 Depth=1
	v_ffbh_u32_e32 v92, v92
	v_min_u32_e32 v94, 32, v92
	v_subrev_nc_u32_e32 v92, 28, v94
	v_lshlrev_b64 v[92:93], v92, v[0:1]
	v_sub_nc_u32_e32 v93, 29, v94
	v_and_b32_e32 v92, 7, v92
; %bb.3006:                             ;   in Loop: Header=BB312_1574 Depth=1
	s_or_b32 exec_lo, exec_lo, s21
	v_lshlrev_b32_sdwa v0, v53, v0 dst_sel:DWORD dst_unused:UNUSED_PAD src0_sel:DWORD src1_sel:WORD_0
	v_lshl_add_u32 v93, v93, 10, 0x2000
	v_lshlrev_b32_e32 v92, 23, v92
	v_and_or_b32 v0, 0x8000, v0, v93
	v_lshl_or_b32 v92, v0, 16, v92
.LBB312_3007:                           ;   in Loop: Header=BB312_1574 Depth=1
	s_or_b32 exec_lo, exec_lo, s20
.LBB312_3008:                           ;   in Loop: Header=BB312_1574 Depth=1
	s_or_b32 exec_lo, exec_lo, s18
.LBB312_3009:                           ;   in Loop: Header=BB312_1574 Depth=1
	s_or_b32 exec_lo, exec_lo, s17
	v_lshrrev_b32_e32 v0, 16, v11
	v_cmp_ne_u16_sdwa s4, v0, v1 src0_sel:BYTE_0 src1_sel:DWORD
	s_and_saveexec_b32 s17, s4
	s_cbranch_execz .LBB312_3017
; %bb.3010:                             ;   in Loop: Header=BB312_1574 Depth=1
	v_cmp_ne_u16_sdwa s4, v0, v17 src0_sel:BYTE_0 src1_sel:DWORD
	v_mov_b32_e32 v90, 0x8000
	s_and_saveexec_b32 s18, s4
	s_cbranch_execz .LBB312_3016
; %bb.3011:                             ;   in Loop: Header=BB312_1574 Depth=1
	v_bfe_u32 v94, v11, 16, 7
	v_mov_b32_e32 v90, 0x7c01
	s_mov_b32 s20, exec_lo
	v_cmpx_ne_u32_e32 0x7f, v94
	s_cbranch_execz .LBB312_3015
; %bb.3012:                             ;   in Loop: Header=BB312_1574 Depth=1
	v_and_b32_e32 v90, 7, v0
	v_lshrrev_b32_e32 v93, 3, v94
	s_mov_b32 s21, exec_lo
	v_cmpx_gt_u32_e32 8, v94
; %bb.3013:                             ;   in Loop: Header=BB312_1574 Depth=1
	v_ffbh_u32_e32 v90, v90
	v_min_u32_e32 v90, 32, v90
	v_subrev_nc_u32_e32 v93, 28, v90
	v_lshlrev_b64 v[94:95], v93, v[0:1]
	v_sub_nc_u32_e32 v93, 29, v90
	v_and_b32_e32 v90, 7, v94
; %bb.3014:                             ;   in Loop: Header=BB312_1574 Depth=1
	s_or_b32 exec_lo, exec_lo, s21
	v_lshlrev_b32_e32 v0, 8, v0
	v_lshl_add_u32 v93, v93, 10, 0x2000
	v_lshlrev_b32_e32 v90, 7, v90
	v_and_b32_e32 v0, 0x8000, v0
	v_and_b32_e32 v93, 0xfc00, v93
	v_or3_b32 v90, v0, v93, v90
.LBB312_3015:                           ;   in Loop: Header=BB312_1574 Depth=1
	s_or_b32 exec_lo, exec_lo, s20
.LBB312_3016:                           ;   in Loop: Header=BB312_1574 Depth=1
	s_or_b32 exec_lo, exec_lo, s18
.LBB312_3017:                           ;   in Loop: Header=BB312_1574 Depth=1
	s_or_b32 exec_lo, exec_lo, s17
	v_cmp_lt_u64_e64 s4, s[12:13], v[10:11]
	v_mov_b32_e32 v10, 0
	s_and_saveexec_b32 s17, s4
	s_cbranch_execz .LBB312_3025
; %bb.3018:                             ;   in Loop: Header=BB312_1574 Depth=1
	v_lshrrev_b32_e32 v0, 24, v11
	v_bfrev_b32_e32 v10, 1
	s_mov_b32 s18, exec_lo
	v_cmpx_ne_u32_e32 0x80, v0
	s_cbranch_execz .LBB312_3024
; %bb.3019:                             ;   in Loop: Header=BB312_1574 Depth=1
	v_and_b32_e32 v93, 0x7f, v0
	v_mov_b32_e32 v10, 0x7c010000
	s_mov_b32 s20, exec_lo
	v_cmpx_ne_u32_e32 0x7f, v93
	s_cbranch_execz .LBB312_3023
; %bb.3020:                             ;   in Loop: Header=BB312_1574 Depth=1
	v_and_b32_e32 v10, 7, v0
	v_lshrrev_b32_e32 v11, 3, v93
	s_mov_b32 s21, exec_lo
	v_cmpx_gt_u32_e32 8, v93
; %bb.3021:                             ;   in Loop: Header=BB312_1574 Depth=1
	v_ffbh_u32_e32 v10, v10
	v_min_u32_e32 v93, 32, v10
	v_subrev_nc_u32_e32 v10, 28, v93
	v_lshlrev_b64 v[10:11], v10, v[0:1]
	v_sub_nc_u32_e32 v11, 29, v93
	v_and_b32_e32 v10, 7, v10
; %bb.3022:                             ;   in Loop: Header=BB312_1574 Depth=1
	s_or_b32 exec_lo, exec_lo, s21
	v_lshlrev_b32_e32 v0, 8, v0
	v_lshl_add_u32 v11, v11, 10, 0x2000
	v_lshlrev_b32_e32 v10, 23, v10
	v_and_or_b32 v0, 0x8000, v0, v11
	v_lshl_or_b32 v10, v0, 16, v10
.LBB312_3023:                           ;   in Loop: Header=BB312_1574 Depth=1
	s_or_b32 exec_lo, exec_lo, s20
.LBB312_3024:                           ;   in Loop: Header=BB312_1574 Depth=1
	s_or_b32 exec_lo, exec_lo, s18
.LBB312_3025:                           ;   in Loop: Header=BB312_1574 Depth=1
	s_or_b32 exec_lo, exec_lo, s17
	v_or_b32_e32 v0, v88, v89
	s_waitcnt vmcnt(0) lgkmcnt(0)
	v_fma_mixlo_f16 v11, v118, v88, 0 op_sel:[0,1,0] op_sel_hi:[0,1,0]
	v_or_b32_e32 v88, v72, v79
	v_fma_mixlo_f16 v72, v118, v72, 0 op_sel:[0,1,0] op_sel_hi:[0,1,0]
	v_or_b32_e32 v89, v92, v91
	v_or_b32_e32 v90, v10, v90
	v_fma_mixlo_f16 v91, v118, v0, 0 op_sel_hi:[0,1,0]
	v_fma_mixlo_f16 v10, v118, v10, 0 op_sel:[0,1,0] op_sel_hi:[0,1,0]
	v_lshlrev_b32_e32 v79, 16, v72
	v_fma_mixlo_f16 v72, v118, v88, 0 op_sel_hi:[0,1,0]
	v_fma_mixlo_f16 v88, v118, v92, 0 op_sel:[0,1,0] op_sel_hi:[0,1,0]
	v_fma_mixlo_f16 v89, v118, v89, 0 op_sel_hi:[0,1,0]
	v_fma_mixlo_f16 v90, v118, v90, 0 op_sel_hi:[0,1,0]
	v_lshlrev_b32_e32 v0, 16, v11
	v_and_b32_e32 v11, 0xffff, v91
	v_and_b32_e32 v93, 0xffff, v72
	v_lshlrev_b32_e32 v118, 16, v88
	v_and_b32_e32 v89, 0xffff, v89
	v_lshlrev_b32_e32 v10, 16, v10
	v_and_b32_e32 v72, 0xffff, v90
	v_or_b32_e32 v88, v0, v11
	v_or_b32_e32 v92, v79, v93
	;; [unrolled: 1-line block ×4, first 2 shown]
	s_and_saveexec_b32 s17, vcc_lo
	s_cbranch_execz .LBB312_3027
; %bb.3026:                             ;   in Loop: Header=BB312_1574 Depth=1
	v_cmp_lt_i32_e64 s4, v86, v36
	v_cndmask_b32_e64 v88, 0, v93, s4
	v_cmp_lt_i32_e64 s4, v115, v36
	v_cndmask_b32_e64 v79, 0, v79, s4
	v_cmp_lt_i32_e64 s4, v114, v36
	v_or_b32_e32 v92, v88, v79
	v_cndmask_b32_e64 v11, 0, v11, s4
	v_cmp_lt_i32_e64 s4, v113, v36
	v_cndmask_b32_e64 v0, 0, v0, s4
	v_cmp_lt_i32_e64 s4, v112, v36
	v_or_b32_e32 v88, v11, v0
	;; [unrolled: 5-line block ×3, first 2 shown]
	v_cndmask_b32_e64 v72, 0, v72, s4
	v_cmp_lt_i32_e64 s4, v101, v36
	v_cndmask_b32_e64 v10, 0, v10, s4
	v_or_b32_e32 v90, v72, v10
.LBB312_3027:                           ;   in Loop: Header=BB312_1574 Depth=1
	s_or_b32 exec_lo, exec_lo, s17
	;;#ASMSTART
	v_pk_mul_f16 v0, v100, v92;

	;;#ASMEND
	;;#ASMSTART
	v_pk_mul_f16 v10, v99, v88;

	;;#ASMEND
	;;#ASMSTART
	v_pk_mul_f16 v11, v98, v91;

	;;#ASMEND
	;;#ASMSTART
	v_pk_mul_f16 v118, v97, v90;

	;;#ASMEND
	;;#ASMSTART
	v_pk_add_f16 v0, v0, v10;

	;;#ASMEND
	;;#ASMSTART
	v_pk_add_f16 v0, v0, v11;

	;;#ASMEND
	;; [unrolled: 4-line block ×3, first 2 shown]
	v_and_b32_e32 v10, 0xffff, v0
	v_lshrrev_b32_e32 v0, 16, v0
	;;#ASMSTART
	v_cvt_f32_f16 v118, v10;
	;;#ASMEND
	;;#ASMSTART
	v_cvt_f32_f16 v72, v0;
	;;#ASMEND
	flat_load_dwordx2 v[10:11], v[8:9] offset:1536
	flat_load_dword v79, v[26:27]
	v_mov_b32_e32 v88, 0
	v_mov_b32_e32 v89, 0
	s_waitcnt vmcnt(1) lgkmcnt(1)
	v_cmp_ne_u16_sdwa s4, v10, v1 src0_sel:BYTE_0 src1_sel:DWORD
	s_and_saveexec_b32 s17, s4
	s_cbranch_execz .LBB312_3035
; %bb.3028:                             ;   in Loop: Header=BB312_1574 Depth=1
	v_cmp_ne_u16_sdwa s4, v10, v17 src0_sel:BYTE_0 src1_sel:DWORD
	v_mov_b32_e32 v89, 0x8000
	s_and_saveexec_b32 s18, s4
	s_cbranch_execz .LBB312_3034
; %bb.3029:                             ;   in Loop: Header=BB312_1574 Depth=1
	v_and_b32_e32 v90, 0x7f, v10
	v_mov_b32_e32 v89, 0x7c01
	s_mov_b32 s20, exec_lo
	v_cmpx_ne_u32_e32 0x7f, v90
	s_cbranch_execz .LBB312_3033
; %bb.3030:                             ;   in Loop: Header=BB312_1574 Depth=1
	v_and_b32_e32 v0, 7, v10
	v_lshrrev_b32_e32 v89, 3, v90
	s_mov_b32 s21, exec_lo
	v_cmpx_gt_u32_e32 8, v90
; %bb.3031:                             ;   in Loop: Header=BB312_1574 Depth=1
	v_ffbh_u32_e32 v0, v0
	v_min_u32_e32 v0, 32, v0
	v_subrev_nc_u32_e32 v89, 28, v0
	v_lshlrev_b64 v[90:91], v89, v[10:11]
	v_sub_nc_u32_e32 v89, 29, v0
	v_and_b32_e32 v0, 7, v90
; %bb.3032:                             ;   in Loop: Header=BB312_1574 Depth=1
	s_or_b32 exec_lo, exec_lo, s21
	v_lshlrev_b32_e32 v90, 8, v10
	v_lshl_add_u32 v89, v89, 10, 0x2000
	v_lshlrev_b32_e32 v0, 7, v0
	v_and_b32_e32 v90, 0x8000, v90
	v_and_b32_e32 v89, 0xfc00, v89
	v_or3_b32 v89, v90, v89, v0
.LBB312_3033:                           ;   in Loop: Header=BB312_1574 Depth=1
	s_or_b32 exec_lo, exec_lo, s20
.LBB312_3034:                           ;   in Loop: Header=BB312_1574 Depth=1
	s_or_b32 exec_lo, exec_lo, s18
.LBB312_3035:                           ;   in Loop: Header=BB312_1574 Depth=1
	s_or_b32 exec_lo, exec_lo, s17
	v_lshrrev_b16 v0, 8, v10
	s_mov_b32 s17, exec_lo
	v_cmpx_ne_u16_e32 0, v0
	s_cbranch_execz .LBB312_3043
; %bb.3036:                             ;   in Loop: Header=BB312_1574 Depth=1
	v_bfrev_b32_e32 v88, 1
	s_mov_b32 s18, exec_lo
	v_cmpx_ne_u16_e32 0x80, v0
	s_cbranch_execz .LBB312_3042
; %bb.3037:                             ;   in Loop: Header=BB312_1574 Depth=1
	v_and_b32_sdwa v91, v0, v51 dst_sel:DWORD dst_unused:UNUSED_PAD src0_sel:WORD_0 src1_sel:DWORD
	v_mov_b32_e32 v88, 0x7c010000
	s_mov_b32 s20, exec_lo
	v_cmpx_ne_u32_e32 0x7f, v91
	s_cbranch_execz .LBB312_3041
; %bb.3038:                             ;   in Loop: Header=BB312_1574 Depth=1
	v_and_b32_sdwa v88, v0, v52 dst_sel:DWORD dst_unused:UNUSED_PAD src0_sel:WORD_0 src1_sel:DWORD
	v_lshrrev_b32_e32 v90, 3, v91
	s_mov_b32 s21, exec_lo
	v_cmpx_gt_u32_e32 8, v91
; %bb.3039:                             ;   in Loop: Header=BB312_1574 Depth=1
	v_ffbh_u32_e32 v88, v88
	v_min_u32_e32 v88, 32, v88
	v_subrev_nc_u32_e32 v90, 28, v88
	v_lshlrev_b64 v[91:92], v90, v[0:1]
	v_sub_nc_u32_e32 v90, 29, v88
	v_and_b32_e32 v88, 7, v91
; %bb.3040:                             ;   in Loop: Header=BB312_1574 Depth=1
	s_or_b32 exec_lo, exec_lo, s21
	v_lshlrev_b32_sdwa v0, v53, v0 dst_sel:DWORD dst_unused:UNUSED_PAD src0_sel:DWORD src1_sel:WORD_0
	v_lshl_add_u32 v90, v90, 10, 0x2000
	v_lshlrev_b32_e32 v88, 23, v88
	v_and_or_b32 v0, 0x8000, v0, v90
	v_lshl_or_b32 v88, v0, 16, v88
.LBB312_3041:                           ;   in Loop: Header=BB312_1574 Depth=1
	s_or_b32 exec_lo, exec_lo, s20
.LBB312_3042:                           ;   in Loop: Header=BB312_1574 Depth=1
	s_or_b32 exec_lo, exec_lo, s18
.LBB312_3043:                           ;   in Loop: Header=BB312_1574 Depth=1
	s_or_b32 exec_lo, exec_lo, s17
	v_lshrrev_b32_e32 v0, 16, v10
	v_mov_b32_e32 v90, 0
	v_mov_b32_e32 v91, 0
	v_cmp_ne_u16_sdwa s4, v0, v1 src0_sel:BYTE_0 src1_sel:DWORD
	s_and_saveexec_b32 s17, s4
	s_cbranch_execz .LBB312_3051
; %bb.3044:                             ;   in Loop: Header=BB312_1574 Depth=1
	v_cmp_ne_u16_sdwa s4, v0, v17 src0_sel:BYTE_0 src1_sel:DWORD
	v_mov_b32_e32 v91, 0x8000
	s_and_saveexec_b32 s18, s4
	s_cbranch_execz .LBB312_3050
; %bb.3045:                             ;   in Loop: Header=BB312_1574 Depth=1
	v_bfe_u32 v93, v10, 16, 7
	v_mov_b32_e32 v91, 0x7c01
	s_mov_b32 s20, exec_lo
	v_cmpx_ne_u32_e32 0x7f, v93
	s_cbranch_execz .LBB312_3049
; %bb.3046:                             ;   in Loop: Header=BB312_1574 Depth=1
	v_and_b32_e32 v91, 7, v0
	v_lshrrev_b32_e32 v92, 3, v93
	s_mov_b32 s21, exec_lo
	v_cmpx_gt_u32_e32 8, v93
; %bb.3047:                             ;   in Loop: Header=BB312_1574 Depth=1
	v_ffbh_u32_e32 v91, v91
	v_min_u32_e32 v93, 32, v91
	v_subrev_nc_u32_e32 v91, 28, v93
	v_lshlrev_b64 v[91:92], v91, v[0:1]
	v_sub_nc_u32_e32 v92, 29, v93
	v_and_b32_e32 v91, 7, v91
; %bb.3048:                             ;   in Loop: Header=BB312_1574 Depth=1
	s_or_b32 exec_lo, exec_lo, s21
	v_lshlrev_b32_e32 v0, 8, v0
	v_lshl_add_u32 v92, v92, 10, 0x2000
	v_lshlrev_b32_e32 v91, 7, v91
	v_and_b32_e32 v0, 0x8000, v0
	v_and_b32_e32 v92, 0xfc00, v92
	v_or3_b32 v91, v0, v92, v91
.LBB312_3049:                           ;   in Loop: Header=BB312_1574 Depth=1
	s_or_b32 exec_lo, exec_lo, s20
.LBB312_3050:                           ;   in Loop: Header=BB312_1574 Depth=1
	s_or_b32 exec_lo, exec_lo, s18
.LBB312_3051:                           ;   in Loop: Header=BB312_1574 Depth=1
	s_or_b32 exec_lo, exec_lo, s17
	s_mov_b32 s17, exec_lo
	v_cmpx_lt_u32_e32 0xffffff, v10
	s_cbranch_execz .LBB312_3059
; %bb.3052:                             ;   in Loop: Header=BB312_1574 Depth=1
	v_lshrrev_b32_e32 v0, 24, v10
	v_bfrev_b32_e32 v90, 1
	s_mov_b32 s18, exec_lo
	v_cmpx_ne_u32_e32 0x80, v0
	s_cbranch_execz .LBB312_3058
; %bb.3053:                             ;   in Loop: Header=BB312_1574 Depth=1
	v_and_b32_e32 v93, 0x7f, v0
	v_mov_b32_e32 v90, 0x7c010000
	s_mov_b32 s20, exec_lo
	v_cmpx_ne_u32_e32 0x7f, v93
	s_cbranch_execz .LBB312_3057
; %bb.3054:                             ;   in Loop: Header=BB312_1574 Depth=1
	v_and_b32_e32 v90, 7, v0
	v_lshrrev_b32_e32 v92, 3, v93
	s_mov_b32 s21, exec_lo
	v_cmpx_gt_u32_e32 8, v93
; %bb.3055:                             ;   in Loop: Header=BB312_1574 Depth=1
	v_ffbh_u32_e32 v90, v90
	v_min_u32_e32 v90, 32, v90
	v_subrev_nc_u32_e32 v92, 28, v90
	v_lshlrev_b64 v[93:94], v92, v[0:1]
	v_sub_nc_u32_e32 v92, 29, v90
	v_and_b32_e32 v90, 7, v93
; %bb.3056:                             ;   in Loop: Header=BB312_1574 Depth=1
	s_or_b32 exec_lo, exec_lo, s21
	v_lshlrev_b32_e32 v0, 8, v0
	v_lshl_add_u32 v92, v92, 10, 0x2000
	v_lshlrev_b32_e32 v90, 23, v90
	v_and_or_b32 v0, 0x8000, v0, v92
	v_lshl_or_b32 v90, v0, 16, v90
.LBB312_3057:                           ;   in Loop: Header=BB312_1574 Depth=1
	s_or_b32 exec_lo, exec_lo, s20
.LBB312_3058:                           ;   in Loop: Header=BB312_1574 Depth=1
	s_or_b32 exec_lo, exec_lo, s18
.LBB312_3059:                           ;   in Loop: Header=BB312_1574 Depth=1
	s_or_b32 exec_lo, exec_lo, s17
	v_mov_b32_e32 v0, v11
	v_cmp_ne_u16_sdwa s4, v11, v1 src0_sel:BYTE_0 src1_sel:DWORD
	v_mov_b32_e32 v92, 0
	v_mov_b32_e32 v93, 0
	s_and_saveexec_b32 s17, s4
	s_cbranch_execz .LBB312_3067
; %bb.3060:                             ;   in Loop: Header=BB312_1574 Depth=1
	v_cmp_ne_u16_sdwa s4, v11, v17 src0_sel:BYTE_0 src1_sel:DWORD
	v_mov_b32_e32 v93, 0x8000
	s_and_saveexec_b32 s18, s4
	s_cbranch_execz .LBB312_3066
; %bb.3061:                             ;   in Loop: Header=BB312_1574 Depth=1
	v_and_b32_e32 v95, 0x7f, v11
	v_mov_b32_e32 v93, 0x7c01
	s_mov_b32 s20, exec_lo
	v_cmpx_ne_u32_e32 0x7f, v95
	s_cbranch_execz .LBB312_3065
; %bb.3062:                             ;   in Loop: Header=BB312_1574 Depth=1
	v_and_b32_e32 v93, 7, v11
	v_lshrrev_b32_e32 v94, 3, v95
	s_mov_b32 s21, exec_lo
	v_cmpx_gt_u32_e32 8, v95
; %bb.3063:                             ;   in Loop: Header=BB312_1574 Depth=1
	v_ffbh_u32_e32 v93, v93
	v_min_u32_e32 v95, 32, v93
	v_subrev_nc_u32_e32 v93, 28, v95
	v_lshlrev_b64 v[93:94], v93, v[0:1]
	v_sub_nc_u32_e32 v94, 29, v95
	v_and_b32_e32 v93, 7, v93
; %bb.3064:                             ;   in Loop: Header=BB312_1574 Depth=1
	s_or_b32 exec_lo, exec_lo, s21
	v_lshlrev_b32_e32 v95, 8, v11
	v_lshl_add_u32 v94, v94, 10, 0x2000
	v_lshlrev_b32_e32 v93, 7, v93
	v_and_b32_e32 v95, 0x8000, v95
	v_and_b32_e32 v94, 0xfc00, v94
	v_or3_b32 v93, v95, v94, v93
.LBB312_3065:                           ;   in Loop: Header=BB312_1574 Depth=1
	s_or_b32 exec_lo, exec_lo, s20
.LBB312_3066:                           ;   in Loop: Header=BB312_1574 Depth=1
	s_or_b32 exec_lo, exec_lo, s18
.LBB312_3067:                           ;   in Loop: Header=BB312_1574 Depth=1
	s_or_b32 exec_lo, exec_lo, s17
	v_lshrrev_b16 v0, 8, v0
	v_mov_b32_e32 v94, 0
	s_mov_b32 s17, exec_lo
	v_cmpx_ne_u16_e32 0, v0
	s_cbranch_execz .LBB312_3075
; %bb.3068:                             ;   in Loop: Header=BB312_1574 Depth=1
	v_bfrev_b32_e32 v94, 1
	s_mov_b32 s18, exec_lo
	v_cmpx_ne_u16_e32 0x80, v0
	s_cbranch_execz .LBB312_3074
; %bb.3069:                             ;   in Loop: Header=BB312_1574 Depth=1
	v_and_b32_sdwa v104, v0, v51 dst_sel:DWORD dst_unused:UNUSED_PAD src0_sel:WORD_0 src1_sel:DWORD
	v_mov_b32_e32 v94, 0x7c010000
	s_mov_b32 s20, exec_lo
	v_cmpx_ne_u32_e32 0x7f, v104
	s_cbranch_execz .LBB312_3073
; %bb.3070:                             ;   in Loop: Header=BB312_1574 Depth=1
	v_and_b32_sdwa v94, v0, v52 dst_sel:DWORD dst_unused:UNUSED_PAD src0_sel:WORD_0 src1_sel:DWORD
	v_lshrrev_b32_e32 v95, 3, v104
	s_mov_b32 s21, exec_lo
	v_cmpx_gt_u32_e32 8, v104
; %bb.3071:                             ;   in Loop: Header=BB312_1574 Depth=1
	v_ffbh_u32_e32 v94, v94
	v_min_u32_e32 v104, 32, v94
	v_subrev_nc_u32_e32 v94, 28, v104
	v_lshlrev_b64 v[94:95], v94, v[0:1]
	v_sub_nc_u32_e32 v95, 29, v104
	v_and_b32_e32 v94, 7, v94
; %bb.3072:                             ;   in Loop: Header=BB312_1574 Depth=1
	s_or_b32 exec_lo, exec_lo, s21
	v_lshlrev_b32_sdwa v0, v53, v0 dst_sel:DWORD dst_unused:UNUSED_PAD src0_sel:DWORD src1_sel:WORD_0
	v_lshl_add_u32 v95, v95, 10, 0x2000
	v_lshlrev_b32_e32 v94, 23, v94
	v_and_or_b32 v0, 0x8000, v0, v95
	v_lshl_or_b32 v94, v0, 16, v94
.LBB312_3073:                           ;   in Loop: Header=BB312_1574 Depth=1
	s_or_b32 exec_lo, exec_lo, s20
.LBB312_3074:                           ;   in Loop: Header=BB312_1574 Depth=1
	s_or_b32 exec_lo, exec_lo, s18
.LBB312_3075:                           ;   in Loop: Header=BB312_1574 Depth=1
	s_or_b32 exec_lo, exec_lo, s17
	v_lshrrev_b32_e32 v0, 16, v11
	v_cmp_ne_u16_sdwa s4, v0, v1 src0_sel:BYTE_0 src1_sel:DWORD
	s_and_saveexec_b32 s17, s4
	s_cbranch_execz .LBB312_3083
; %bb.3076:                             ;   in Loop: Header=BB312_1574 Depth=1
	v_cmp_ne_u16_sdwa s4, v0, v17 src0_sel:BYTE_0 src1_sel:DWORD
	v_mov_b32_e32 v92, 0x8000
	s_and_saveexec_b32 s18, s4
	s_cbranch_execz .LBB312_3082
; %bb.3077:                             ;   in Loop: Header=BB312_1574 Depth=1
	v_bfe_u32 v104, v11, 16, 7
	v_mov_b32_e32 v92, 0x7c01
	s_mov_b32 s20, exec_lo
	v_cmpx_ne_u32_e32 0x7f, v104
	s_cbranch_execz .LBB312_3081
; %bb.3078:                             ;   in Loop: Header=BB312_1574 Depth=1
	v_and_b32_e32 v92, 7, v0
	v_lshrrev_b32_e32 v95, 3, v104
	s_mov_b32 s21, exec_lo
	v_cmpx_gt_u32_e32 8, v104
; %bb.3079:                             ;   in Loop: Header=BB312_1574 Depth=1
	v_ffbh_u32_e32 v92, v92
	v_min_u32_e32 v92, 32, v92
	v_subrev_nc_u32_e32 v95, 28, v92
	v_lshlrev_b64 v[104:105], v95, v[0:1]
	v_sub_nc_u32_e32 v95, 29, v92
	v_and_b32_e32 v92, 7, v104
; %bb.3080:                             ;   in Loop: Header=BB312_1574 Depth=1
	s_or_b32 exec_lo, exec_lo, s21
	v_lshlrev_b32_e32 v0, 8, v0
	v_lshl_add_u32 v95, v95, 10, 0x2000
	v_lshlrev_b32_e32 v92, 7, v92
	v_and_b32_e32 v0, 0x8000, v0
	v_and_b32_e32 v95, 0xfc00, v95
	v_or3_b32 v92, v0, v95, v92
.LBB312_3081:                           ;   in Loop: Header=BB312_1574 Depth=1
	s_or_b32 exec_lo, exec_lo, s20
.LBB312_3082:                           ;   in Loop: Header=BB312_1574 Depth=1
	s_or_b32 exec_lo, exec_lo, s18
.LBB312_3083:                           ;   in Loop: Header=BB312_1574 Depth=1
	s_or_b32 exec_lo, exec_lo, s17
	v_cmp_lt_u64_e64 s4, s[12:13], v[10:11]
	v_mov_b32_e32 v10, 0
	s_and_saveexec_b32 s17, s4
	s_cbranch_execz .LBB312_3091
; %bb.3084:                             ;   in Loop: Header=BB312_1574 Depth=1
	v_lshrrev_b32_e32 v0, 24, v11
	v_bfrev_b32_e32 v10, 1
	s_mov_b32 s18, exec_lo
	v_cmpx_ne_u32_e32 0x80, v0
	s_cbranch_execz .LBB312_3090
; %bb.3085:                             ;   in Loop: Header=BB312_1574 Depth=1
	v_and_b32_e32 v95, 0x7f, v0
	v_mov_b32_e32 v10, 0x7c010000
	s_mov_b32 s20, exec_lo
	v_cmpx_ne_u32_e32 0x7f, v95
	s_cbranch_execz .LBB312_3089
; %bb.3086:                             ;   in Loop: Header=BB312_1574 Depth=1
	v_and_b32_e32 v10, 7, v0
	v_lshrrev_b32_e32 v11, 3, v95
	s_mov_b32 s21, exec_lo
	v_cmpx_gt_u32_e32 8, v95
; %bb.3087:                             ;   in Loop: Header=BB312_1574 Depth=1
	v_ffbh_u32_e32 v10, v10
	v_min_u32_e32 v95, 32, v10
	v_subrev_nc_u32_e32 v10, 28, v95
	v_lshlrev_b64 v[10:11], v10, v[0:1]
	v_sub_nc_u32_e32 v11, 29, v95
	v_and_b32_e32 v10, 7, v10
; %bb.3088:                             ;   in Loop: Header=BB312_1574 Depth=1
	s_or_b32 exec_lo, exec_lo, s21
	v_lshlrev_b32_e32 v0, 8, v0
	v_lshl_add_u32 v11, v11, 10, 0x2000
	v_lshlrev_b32_e32 v10, 23, v10
	v_and_or_b32 v0, 0x8000, v0, v11
	v_lshl_or_b32 v10, v0, 16, v10
.LBB312_3089:                           ;   in Loop: Header=BB312_1574 Depth=1
	s_or_b32 exec_lo, exec_lo, s20
.LBB312_3090:                           ;   in Loop: Header=BB312_1574 Depth=1
	s_or_b32 exec_lo, exec_lo, s18
.LBB312_3091:                           ;   in Loop: Header=BB312_1574 Depth=1
	s_or_b32 exec_lo, exec_lo, s17
	v_or_b32_e32 v0, v90, v91
	s_waitcnt vmcnt(0) lgkmcnt(0)
	v_fma_mixlo_f16 v11, v79, v90, 0 op_sel:[0,1,0] op_sel_hi:[0,1,0]
	v_or_b32_e32 v90, v88, v89
	v_fma_mixlo_f16 v88, v79, v88, 0 op_sel:[0,1,0] op_sel_hi:[0,1,0]
	v_or_b32_e32 v91, v94, v93
	v_or_b32_e32 v92, v10, v92
	v_fma_mixlo_f16 v93, v79, v0, 0 op_sel_hi:[0,1,0]
	v_fma_mixlo_f16 v10, v79, v10, 0 op_sel:[0,1,0] op_sel_hi:[0,1,0]
	v_lshlrev_b32_e32 v89, 16, v88
	v_fma_mixlo_f16 v88, v79, v90, 0 op_sel_hi:[0,1,0]
	v_fma_mixlo_f16 v90, v79, v94, 0 op_sel:[0,1,0] op_sel_hi:[0,1,0]
	v_fma_mixlo_f16 v91, v79, v91, 0 op_sel_hi:[0,1,0]
	v_fma_mixlo_f16 v92, v79, v92, 0 op_sel_hi:[0,1,0]
	v_lshlrev_b32_e32 v0, 16, v11
	v_and_b32_e32 v11, 0xffff, v93
	v_and_b32_e32 v95, 0xffff, v88
	v_lshlrev_b32_e32 v79, 16, v90
	v_and_b32_e32 v91, 0xffff, v91
	v_lshlrev_b32_e32 v10, 16, v10
	v_and_b32_e32 v88, 0xffff, v92
	v_or_b32_e32 v90, v0, v11
	v_or_b32_e32 v94, v89, v95
	;; [unrolled: 1-line block ×4, first 2 shown]
	s_and_saveexec_b32 s17, vcc_lo
	s_cbranch_execz .LBB312_3093
; %bb.3092:                             ;   in Loop: Header=BB312_1574 Depth=1
	v_cmp_lt_i32_e64 s4, v86, v36
	v_cndmask_b32_e64 v90, 0, v95, s4
	v_cmp_lt_i32_e64 s4, v115, v36
	v_cndmask_b32_e64 v89, 0, v89, s4
	v_cmp_lt_i32_e64 s4, v114, v36
	v_or_b32_e32 v94, v90, v89
	v_cndmask_b32_e64 v11, 0, v11, s4
	v_cmp_lt_i32_e64 s4, v113, v36
	v_cndmask_b32_e64 v0, 0, v0, s4
	v_cmp_lt_i32_e64 s4, v112, v36
	v_or_b32_e32 v90, v11, v0
	;; [unrolled: 5-line block ×3, first 2 shown]
	v_cndmask_b32_e64 v88, 0, v88, s4
	v_cmp_lt_i32_e64 s4, v101, v36
	v_cndmask_b32_e64 v10, 0, v10, s4
	v_or_b32_e32 v92, v88, v10
.LBB312_3093:                           ;   in Loop: Header=BB312_1574 Depth=1
	s_or_b32 exec_lo, exec_lo, s17
	;;#ASMSTART
	v_pk_mul_f16 v0, v100, v94;

	;;#ASMEND
	;;#ASMSTART
	v_pk_mul_f16 v10, v99, v90;

	;;#ASMEND
	;; [unrolled: 4-line block ×4, first 2 shown]
	;;#ASMSTART
	v_pk_add_f16 v0, v0, v10;

	;;#ASMEND
	;;#ASMSTART
	v_pk_add_f16 v0, v0, v11;

	;;#ASMEND
	;; [unrolled: 4-line block ×3, first 2 shown]
	v_and_b32_e32 v10, 0xffff, v0
	v_lshrrev_b32_e32 v0, 16, v0
	;;#ASMSTART
	v_cvt_f32_f16 v10, v10;
	;;#ASMEND
	;;#ASMSTART
	v_cvt_f32_f16 v11, v0;
	;;#ASMEND
	flat_load_dwordx2 v[8:9], v[8:9] offset:1792
	flat_load_dword v79, v[26:27]
	v_mov_b32_e32 v88, 0
	v_mov_b32_e32 v89, 0
	s_waitcnt vmcnt(1) lgkmcnt(1)
	v_cmp_ne_u16_sdwa s4, v8, v1 src0_sel:BYTE_0 src1_sel:DWORD
	s_and_saveexec_b32 s17, s4
	s_cbranch_execz .LBB312_3101
; %bb.3094:                             ;   in Loop: Header=BB312_1574 Depth=1
	v_cmp_ne_u16_sdwa s4, v8, v17 src0_sel:BYTE_0 src1_sel:DWORD
	v_mov_b32_e32 v89, 0x8000
	s_and_saveexec_b32 s18, s4
	s_cbranch_execz .LBB312_3100
; %bb.3095:                             ;   in Loop: Header=BB312_1574 Depth=1
	v_and_b32_e32 v90, 0x7f, v8
	v_mov_b32_e32 v89, 0x7c01
	s_mov_b32 s20, exec_lo
	v_cmpx_ne_u32_e32 0x7f, v90
	s_cbranch_execz .LBB312_3099
; %bb.3096:                             ;   in Loop: Header=BB312_1574 Depth=1
	v_and_b32_e32 v0, 7, v8
	v_lshrrev_b32_e32 v89, 3, v90
	s_mov_b32 s21, exec_lo
	v_cmpx_gt_u32_e32 8, v90
; %bb.3097:                             ;   in Loop: Header=BB312_1574 Depth=1
	v_ffbh_u32_e32 v0, v0
	v_min_u32_e32 v0, 32, v0
	v_subrev_nc_u32_e32 v89, 28, v0
	v_lshlrev_b64 v[90:91], v89, v[8:9]
	v_sub_nc_u32_e32 v89, 29, v0
	v_and_b32_e32 v0, 7, v90
; %bb.3098:                             ;   in Loop: Header=BB312_1574 Depth=1
	s_or_b32 exec_lo, exec_lo, s21
	v_lshlrev_b32_e32 v90, 8, v8
	v_lshl_add_u32 v89, v89, 10, 0x2000
	v_lshlrev_b32_e32 v0, 7, v0
	v_and_b32_e32 v90, 0x8000, v90
	v_and_b32_e32 v89, 0xfc00, v89
	v_or3_b32 v89, v90, v89, v0
.LBB312_3099:                           ;   in Loop: Header=BB312_1574 Depth=1
	s_or_b32 exec_lo, exec_lo, s20
.LBB312_3100:                           ;   in Loop: Header=BB312_1574 Depth=1
	s_or_b32 exec_lo, exec_lo, s18
.LBB312_3101:                           ;   in Loop: Header=BB312_1574 Depth=1
	s_or_b32 exec_lo, exec_lo, s17
	v_lshrrev_b16 v0, 8, v8
	s_mov_b32 s17, exec_lo
	v_cmpx_ne_u16_e32 0, v0
	s_cbranch_execz .LBB312_3109
; %bb.3102:                             ;   in Loop: Header=BB312_1574 Depth=1
	v_bfrev_b32_e32 v88, 1
	s_mov_b32 s18, exec_lo
	v_cmpx_ne_u16_e32 0x80, v0
	s_cbranch_execz .LBB312_3108
; %bb.3103:                             ;   in Loop: Header=BB312_1574 Depth=1
	v_and_b32_sdwa v91, v0, v51 dst_sel:DWORD dst_unused:UNUSED_PAD src0_sel:WORD_0 src1_sel:DWORD
	v_mov_b32_e32 v88, 0x7c010000
	s_mov_b32 s20, exec_lo
	v_cmpx_ne_u32_e32 0x7f, v91
	s_cbranch_execz .LBB312_3107
; %bb.3104:                             ;   in Loop: Header=BB312_1574 Depth=1
	v_and_b32_sdwa v88, v0, v52 dst_sel:DWORD dst_unused:UNUSED_PAD src0_sel:WORD_0 src1_sel:DWORD
	v_lshrrev_b32_e32 v90, 3, v91
	s_mov_b32 s21, exec_lo
	v_cmpx_gt_u32_e32 8, v91
; %bb.3105:                             ;   in Loop: Header=BB312_1574 Depth=1
	v_ffbh_u32_e32 v88, v88
	v_min_u32_e32 v88, 32, v88
	v_subrev_nc_u32_e32 v90, 28, v88
	v_lshlrev_b64 v[91:92], v90, v[0:1]
	v_sub_nc_u32_e32 v90, 29, v88
	v_and_b32_e32 v88, 7, v91
; %bb.3106:                             ;   in Loop: Header=BB312_1574 Depth=1
	s_or_b32 exec_lo, exec_lo, s21
	v_lshlrev_b32_sdwa v0, v53, v0 dst_sel:DWORD dst_unused:UNUSED_PAD src0_sel:DWORD src1_sel:WORD_0
	v_lshl_add_u32 v90, v90, 10, 0x2000
	v_lshlrev_b32_e32 v88, 23, v88
	v_and_or_b32 v0, 0x8000, v0, v90
	v_lshl_or_b32 v88, v0, 16, v88
.LBB312_3107:                           ;   in Loop: Header=BB312_1574 Depth=1
	s_or_b32 exec_lo, exec_lo, s20
.LBB312_3108:                           ;   in Loop: Header=BB312_1574 Depth=1
	s_or_b32 exec_lo, exec_lo, s18
.LBB312_3109:                           ;   in Loop: Header=BB312_1574 Depth=1
	s_or_b32 exec_lo, exec_lo, s17
	v_lshrrev_b32_e32 v0, 16, v8
	v_mov_b32_e32 v90, 0
	v_mov_b32_e32 v91, 0
	v_cmp_ne_u16_sdwa s4, v0, v1 src0_sel:BYTE_0 src1_sel:DWORD
	s_and_saveexec_b32 s17, s4
	s_cbranch_execz .LBB312_3117
; %bb.3110:                             ;   in Loop: Header=BB312_1574 Depth=1
	v_cmp_ne_u16_sdwa s4, v0, v17 src0_sel:BYTE_0 src1_sel:DWORD
	v_mov_b32_e32 v91, 0x8000
	s_and_saveexec_b32 s18, s4
	s_cbranch_execz .LBB312_3116
; %bb.3111:                             ;   in Loop: Header=BB312_1574 Depth=1
	v_bfe_u32 v93, v8, 16, 7
	v_mov_b32_e32 v91, 0x7c01
	s_mov_b32 s20, exec_lo
	v_cmpx_ne_u32_e32 0x7f, v93
	s_cbranch_execz .LBB312_3115
; %bb.3112:                             ;   in Loop: Header=BB312_1574 Depth=1
	v_and_b32_e32 v91, 7, v0
	v_lshrrev_b32_e32 v92, 3, v93
	s_mov_b32 s21, exec_lo
	v_cmpx_gt_u32_e32 8, v93
; %bb.3113:                             ;   in Loop: Header=BB312_1574 Depth=1
	v_ffbh_u32_e32 v91, v91
	v_min_u32_e32 v93, 32, v91
	v_subrev_nc_u32_e32 v91, 28, v93
	v_lshlrev_b64 v[91:92], v91, v[0:1]
	v_sub_nc_u32_e32 v92, 29, v93
	v_and_b32_e32 v91, 7, v91
; %bb.3114:                             ;   in Loop: Header=BB312_1574 Depth=1
	s_or_b32 exec_lo, exec_lo, s21
	v_lshlrev_b32_e32 v0, 8, v0
	v_lshl_add_u32 v92, v92, 10, 0x2000
	v_lshlrev_b32_e32 v91, 7, v91
	v_and_b32_e32 v0, 0x8000, v0
	v_and_b32_e32 v92, 0xfc00, v92
	v_or3_b32 v91, v0, v92, v91
.LBB312_3115:                           ;   in Loop: Header=BB312_1574 Depth=1
	s_or_b32 exec_lo, exec_lo, s20
.LBB312_3116:                           ;   in Loop: Header=BB312_1574 Depth=1
	s_or_b32 exec_lo, exec_lo, s18
.LBB312_3117:                           ;   in Loop: Header=BB312_1574 Depth=1
	s_or_b32 exec_lo, exec_lo, s17
	s_mov_b32 s17, exec_lo
	v_cmpx_lt_u32_e32 0xffffff, v8
	s_cbranch_execz .LBB312_3125
; %bb.3118:                             ;   in Loop: Header=BB312_1574 Depth=1
	v_lshrrev_b32_e32 v0, 24, v8
	v_bfrev_b32_e32 v90, 1
	s_mov_b32 s18, exec_lo
	v_cmpx_ne_u32_e32 0x80, v0
	s_cbranch_execz .LBB312_3124
; %bb.3119:                             ;   in Loop: Header=BB312_1574 Depth=1
	v_and_b32_e32 v93, 0x7f, v0
	v_mov_b32_e32 v90, 0x7c010000
	s_mov_b32 s20, exec_lo
	v_cmpx_ne_u32_e32 0x7f, v93
	s_cbranch_execz .LBB312_3123
; %bb.3120:                             ;   in Loop: Header=BB312_1574 Depth=1
	v_and_b32_e32 v90, 7, v0
	v_lshrrev_b32_e32 v92, 3, v93
	s_mov_b32 s21, exec_lo
	v_cmpx_gt_u32_e32 8, v93
; %bb.3121:                             ;   in Loop: Header=BB312_1574 Depth=1
	v_ffbh_u32_e32 v90, v90
	v_min_u32_e32 v90, 32, v90
	v_subrev_nc_u32_e32 v92, 28, v90
	v_lshlrev_b64 v[93:94], v92, v[0:1]
	v_sub_nc_u32_e32 v92, 29, v90
	v_and_b32_e32 v90, 7, v93
; %bb.3122:                             ;   in Loop: Header=BB312_1574 Depth=1
	s_or_b32 exec_lo, exec_lo, s21
	v_lshlrev_b32_e32 v0, 8, v0
	v_lshl_add_u32 v92, v92, 10, 0x2000
	v_lshlrev_b32_e32 v90, 23, v90
	v_and_or_b32 v0, 0x8000, v0, v92
	v_lshl_or_b32 v90, v0, 16, v90
.LBB312_3123:                           ;   in Loop: Header=BB312_1574 Depth=1
	s_or_b32 exec_lo, exec_lo, s20
.LBB312_3124:                           ;   in Loop: Header=BB312_1574 Depth=1
	s_or_b32 exec_lo, exec_lo, s18
.LBB312_3125:                           ;   in Loop: Header=BB312_1574 Depth=1
	s_or_b32 exec_lo, exec_lo, s17
	v_mov_b32_e32 v0, v9
	v_cmp_ne_u16_sdwa s4, v9, v1 src0_sel:BYTE_0 src1_sel:DWORD
	v_mov_b32_e32 v92, 0
	v_mov_b32_e32 v93, 0
	s_and_saveexec_b32 s17, s4
	s_cbranch_execz .LBB312_3133
; %bb.3126:                             ;   in Loop: Header=BB312_1574 Depth=1
	v_cmp_ne_u16_sdwa s4, v9, v17 src0_sel:BYTE_0 src1_sel:DWORD
	v_mov_b32_e32 v93, 0x8000
	s_and_saveexec_b32 s18, s4
	s_cbranch_execz .LBB312_3132
; %bb.3127:                             ;   in Loop: Header=BB312_1574 Depth=1
	v_and_b32_e32 v95, 0x7f, v9
	v_mov_b32_e32 v93, 0x7c01
	s_mov_b32 s20, exec_lo
	v_cmpx_ne_u32_e32 0x7f, v95
	s_cbranch_execz .LBB312_3131
; %bb.3128:                             ;   in Loop: Header=BB312_1574 Depth=1
	v_and_b32_e32 v93, 7, v9
	v_lshrrev_b32_e32 v94, 3, v95
	s_mov_b32 s21, exec_lo
	v_cmpx_gt_u32_e32 8, v95
; %bb.3129:                             ;   in Loop: Header=BB312_1574 Depth=1
	v_ffbh_u32_e32 v93, v93
	v_min_u32_e32 v95, 32, v93
	v_subrev_nc_u32_e32 v93, 28, v95
	v_lshlrev_b64 v[93:94], v93, v[0:1]
	v_sub_nc_u32_e32 v94, 29, v95
	v_and_b32_e32 v93, 7, v93
; %bb.3130:                             ;   in Loop: Header=BB312_1574 Depth=1
	s_or_b32 exec_lo, exec_lo, s21
	v_lshlrev_b32_e32 v95, 8, v9
	v_lshl_add_u32 v94, v94, 10, 0x2000
	v_lshlrev_b32_e32 v93, 7, v93
	v_and_b32_e32 v95, 0x8000, v95
	v_and_b32_e32 v94, 0xfc00, v94
	v_or3_b32 v93, v95, v94, v93
.LBB312_3131:                           ;   in Loop: Header=BB312_1574 Depth=1
	s_or_b32 exec_lo, exec_lo, s20
.LBB312_3132:                           ;   in Loop: Header=BB312_1574 Depth=1
	s_or_b32 exec_lo, exec_lo, s18
.LBB312_3133:                           ;   in Loop: Header=BB312_1574 Depth=1
	s_or_b32 exec_lo, exec_lo, s17
	v_lshrrev_b16 v0, 8, v0
	v_mov_b32_e32 v94, 0
	s_mov_b32 s17, exec_lo
	v_cmpx_ne_u16_e32 0, v0
	s_cbranch_execz .LBB312_3141
; %bb.3134:                             ;   in Loop: Header=BB312_1574 Depth=1
	v_bfrev_b32_e32 v94, 1
	s_mov_b32 s18, exec_lo
	v_cmpx_ne_u16_e32 0x80, v0
	s_cbranch_execz .LBB312_3140
; %bb.3135:                             ;   in Loop: Header=BB312_1574 Depth=1
	v_and_b32_sdwa v104, v0, v51 dst_sel:DWORD dst_unused:UNUSED_PAD src0_sel:WORD_0 src1_sel:DWORD
	v_mov_b32_e32 v94, 0x7c010000
	s_mov_b32 s20, exec_lo
	v_cmpx_ne_u32_e32 0x7f, v104
	s_cbranch_execz .LBB312_3139
; %bb.3136:                             ;   in Loop: Header=BB312_1574 Depth=1
	v_and_b32_sdwa v94, v0, v52 dst_sel:DWORD dst_unused:UNUSED_PAD src0_sel:WORD_0 src1_sel:DWORD
	v_lshrrev_b32_e32 v95, 3, v104
	s_mov_b32 s21, exec_lo
	v_cmpx_gt_u32_e32 8, v104
; %bb.3137:                             ;   in Loop: Header=BB312_1574 Depth=1
	v_ffbh_u32_e32 v94, v94
	v_min_u32_e32 v104, 32, v94
	v_subrev_nc_u32_e32 v94, 28, v104
	v_lshlrev_b64 v[94:95], v94, v[0:1]
	v_sub_nc_u32_e32 v95, 29, v104
	v_and_b32_e32 v94, 7, v94
; %bb.3138:                             ;   in Loop: Header=BB312_1574 Depth=1
	s_or_b32 exec_lo, exec_lo, s21
	v_lshlrev_b32_sdwa v0, v53, v0 dst_sel:DWORD dst_unused:UNUSED_PAD src0_sel:DWORD src1_sel:WORD_0
	v_lshl_add_u32 v95, v95, 10, 0x2000
	v_lshlrev_b32_e32 v94, 23, v94
	v_and_or_b32 v0, 0x8000, v0, v95
	v_lshl_or_b32 v94, v0, 16, v94
.LBB312_3139:                           ;   in Loop: Header=BB312_1574 Depth=1
	s_or_b32 exec_lo, exec_lo, s20
.LBB312_3140:                           ;   in Loop: Header=BB312_1574 Depth=1
	s_or_b32 exec_lo, exec_lo, s18
.LBB312_3141:                           ;   in Loop: Header=BB312_1574 Depth=1
	s_or_b32 exec_lo, exec_lo, s17
	v_lshrrev_b32_e32 v0, 16, v9
	v_cmp_ne_u16_sdwa s4, v0, v1 src0_sel:BYTE_0 src1_sel:DWORD
	s_and_saveexec_b32 s17, s4
	s_cbranch_execz .LBB312_3149
; %bb.3142:                             ;   in Loop: Header=BB312_1574 Depth=1
	v_cmp_ne_u16_sdwa s4, v0, v17 src0_sel:BYTE_0 src1_sel:DWORD
	v_mov_b32_e32 v92, 0x8000
	s_and_saveexec_b32 s18, s4
	s_cbranch_execz .LBB312_3148
; %bb.3143:                             ;   in Loop: Header=BB312_1574 Depth=1
	v_bfe_u32 v104, v9, 16, 7
	v_mov_b32_e32 v92, 0x7c01
	s_mov_b32 s20, exec_lo
	v_cmpx_ne_u32_e32 0x7f, v104
	s_cbranch_execz .LBB312_3147
; %bb.3144:                             ;   in Loop: Header=BB312_1574 Depth=1
	v_and_b32_e32 v92, 7, v0
	v_lshrrev_b32_e32 v95, 3, v104
	s_mov_b32 s21, exec_lo
	v_cmpx_gt_u32_e32 8, v104
; %bb.3145:                             ;   in Loop: Header=BB312_1574 Depth=1
	v_ffbh_u32_e32 v92, v92
	v_min_u32_e32 v92, 32, v92
	v_subrev_nc_u32_e32 v95, 28, v92
	v_lshlrev_b64 v[104:105], v95, v[0:1]
	v_sub_nc_u32_e32 v95, 29, v92
	v_and_b32_e32 v92, 7, v104
; %bb.3146:                             ;   in Loop: Header=BB312_1574 Depth=1
	s_or_b32 exec_lo, exec_lo, s21
	v_lshlrev_b32_e32 v0, 8, v0
	v_lshl_add_u32 v95, v95, 10, 0x2000
	v_lshlrev_b32_e32 v92, 7, v92
	v_and_b32_e32 v0, 0x8000, v0
	v_and_b32_e32 v95, 0xfc00, v95
	v_or3_b32 v92, v0, v95, v92
.LBB312_3147:                           ;   in Loop: Header=BB312_1574 Depth=1
	s_or_b32 exec_lo, exec_lo, s20
.LBB312_3148:                           ;   in Loop: Header=BB312_1574 Depth=1
	s_or_b32 exec_lo, exec_lo, s18
.LBB312_3149:                           ;   in Loop: Header=BB312_1574 Depth=1
	s_or_b32 exec_lo, exec_lo, s17
	v_cmp_lt_u64_e64 s4, s[12:13], v[8:9]
	v_mov_b32_e32 v8, 0
	s_and_saveexec_b32 s17, s4
	s_cbranch_execz .LBB312_3157
; %bb.3150:                             ;   in Loop: Header=BB312_1574 Depth=1
	v_lshrrev_b32_e32 v0, 24, v9
	v_bfrev_b32_e32 v8, 1
	s_mov_b32 s18, exec_lo
	v_cmpx_ne_u32_e32 0x80, v0
	s_cbranch_execz .LBB312_3156
; %bb.3151:                             ;   in Loop: Header=BB312_1574 Depth=1
	v_and_b32_e32 v95, 0x7f, v0
	v_mov_b32_e32 v8, 0x7c010000
	s_mov_b32 s20, exec_lo
	v_cmpx_ne_u32_e32 0x7f, v95
	s_cbranch_execz .LBB312_3155
; %bb.3152:                             ;   in Loop: Header=BB312_1574 Depth=1
	v_and_b32_e32 v8, 7, v0
	v_lshrrev_b32_e32 v9, 3, v95
	s_mov_b32 s21, exec_lo
	v_cmpx_gt_u32_e32 8, v95
; %bb.3153:                             ;   in Loop: Header=BB312_1574 Depth=1
	v_ffbh_u32_e32 v8, v8
	v_min_u32_e32 v95, 32, v8
	v_subrev_nc_u32_e32 v8, 28, v95
	v_lshlrev_b64 v[8:9], v8, v[0:1]
	v_sub_nc_u32_e32 v9, 29, v95
	v_and_b32_e32 v8, 7, v8
; %bb.3154:                             ;   in Loop: Header=BB312_1574 Depth=1
	s_or_b32 exec_lo, exec_lo, s21
	v_lshlrev_b32_e32 v0, 8, v0
	v_lshl_add_u32 v9, v9, 10, 0x2000
	v_lshlrev_b32_e32 v8, 23, v8
	v_and_or_b32 v0, 0x8000, v0, v9
	v_lshl_or_b32 v8, v0, 16, v8
.LBB312_3155:                           ;   in Loop: Header=BB312_1574 Depth=1
	s_or_b32 exec_lo, exec_lo, s20
.LBB312_3156:                           ;   in Loop: Header=BB312_1574 Depth=1
	s_or_b32 exec_lo, exec_lo, s18
.LBB312_3157:                           ;   in Loop: Header=BB312_1574 Depth=1
	s_or_b32 exec_lo, exec_lo, s17
	v_or_b32_e32 v0, v90, v91
	s_waitcnt vmcnt(0) lgkmcnt(0)
	v_fma_mixlo_f16 v9, v79, v90, 0 op_sel:[0,1,0] op_sel_hi:[0,1,0]
	v_or_b32_e32 v89, v88, v89
	v_fma_mixlo_f16 v90, v79, v88, 0 op_sel:[0,1,0] op_sel_hi:[0,1,0]
	v_or_b32_e32 v91, v94, v93
	v_fma_mixlo_f16 v0, v79, v0, 0 op_sel_hi:[0,1,0]
	v_or_b32_e32 v92, v8, v92
	v_lshlrev_b32_e32 v88, 16, v9
	v_lshlrev_b32_e32 v93, 16, v90
	v_fma_mixlo_f16 v9, v79, v89, 0 op_sel_hi:[0,1,0]
	v_and_b32_e32 v90, 0xffff, v0
	v_fma_mixlo_f16 v0, v79, v94, 0 op_sel:[0,1,0] op_sel_hi:[0,1,0]
	v_fma_mixlo_f16 v89, v79, v91, 0 op_sel_hi:[0,1,0]
	v_fma_mixlo_f16 v8, v79, v8, 0 op_sel:[0,1,0] op_sel_hi:[0,1,0]
	v_fma_mixlo_f16 v79, v79, v92, 0 op_sel_hi:[0,1,0]
	v_and_b32_e32 v95, 0xffff, v9
	v_lshlrev_b32_e32 v91, 16, v0
	v_and_b32_e32 v94, 0xffff, v89
	v_lshlrev_b32_e32 v89, 16, v8
	v_and_b32_e32 v92, 0xffff, v79
	v_or_b32_e32 v9, v88, v90
	v_or_b32_e32 v79, v93, v95
	;; [unrolled: 1-line block ×4, first 2 shown]
	s_and_saveexec_b32 s4, vcc_lo
	s_cbranch_execz .LBB312_1572
; %bb.3158:                             ;   in Loop: Header=BB312_1574 Depth=1
	v_cmp_lt_i32_e32 vcc_lo, v86, v36
	v_cndmask_b32_e32 v0, 0, v95, vcc_lo
	v_cmp_lt_i32_e32 vcc_lo, v115, v36
	v_cndmask_b32_e32 v8, 0, v93, vcc_lo
	v_cmp_lt_i32_e32 vcc_lo, v114, v36
	v_or_b32_e32 v79, v0, v8
	v_cndmask_b32_e32 v9, 0, v90, vcc_lo
	v_cmp_lt_i32_e32 vcc_lo, v113, v36
	v_cndmask_b32_e32 v86, 0, v88, vcc_lo
	v_cmp_lt_i32_e32 vcc_lo, v112, v36
	v_or_b32_e32 v9, v9, v86
	;; [unrolled: 5-line block ×3, first 2 shown]
	v_cndmask_b32_e32 v102, 0, v92, vcc_lo
	v_cmp_lt_i32_e32 vcc_lo, v101, v36
	v_cndmask_b32_e32 v101, 0, v89, vcc_lo
	v_or_b32_e32 v0, v102, v101
	s_branch .LBB312_1572
.LBB312_3159:
	s_or_b32 exec_lo, exec_lo, s15
.LBB312_3160:
	s_or_b32 exec_lo, exec_lo, s7
	ds_bpermute_b32 v0, v19, v83
	ds_bpermute_b32 v6, v19, v4
	;; [unrolled: 1-line block ×19, first 2 shown]
	s_waitcnt lgkmcnt(0)
	s_waitcnt_vscnt null, 0x0
	v_add_f32_e32 v0, v83, v0
	v_add_f32_e32 v13, v4, v6
	;; [unrolled: 1-line block ×5, first 2 shown]
	ds_bpermute_b32 v3, v18, v0
	ds_bpermute_b32 v16, v18, v13
	v_add_f32_e32 v2, v81, v2
	v_add_f32_e32 v12, v80, v5
	ds_bpermute_b32 v23, v18, v9
	ds_bpermute_b32 v4, v18, v1
	;; [unrolled: 1-line block ×5, first 2 shown]
	s_barrier
	s_waitcnt lgkmcnt(0)
	buffer_gl0_inv
	v_add_f32_e32 v8, v69, v8
	v_add_f32_e32 v11, v66, v11
	;; [unrolled: 1-line block ×5, first 2 shown]
	ds_bpermute_b32 v22, v18, v8
	v_add_f32_e32 v32, v32, v38
	v_add_f32_e32 v31, v31, v39
	;; [unrolled: 1-line block ×5, first 2 shown]
	ds_bpermute_b32 v16, v19, v24
	v_add_f32_e32 v13, v54, v35
	v_add_f32_e32 v0, v9, v23
	;; [unrolled: 1-line block ×7, first 2 shown]
	ds_bpermute_b32 v14, v19, v28
	ds_bpermute_b32 v15, v19, v25
	;; [unrolled: 1-line block ×5, first 2 shown]
	v_add_f32_e32 v12, v55, v30
	s_waitcnt lgkmcnt(6)
	v_add_f32_e32 v1, v8, v22
	v_add_f32_e32 v8, v65, v26
	ds_bpermute_b32 v22, v18, v11
	ds_bpermute_b32 v49, v18, v10
	ds_bpermute_b32 v30, v18, v12
	ds_bpermute_b32 v35, v18, v13
	s_waitcnt lgkmcnt(9)
	v_add_f32_e32 v24, v24, v16
	ds_bpermute_b32 v26, v18, v8
	ds_bpermute_b32 v36, v18, v34
	;; [unrolled: 1-line block ×7, first 2 shown]
	s_waitcnt lgkmcnt(15)
	v_add_f32_e32 v28, v28, v14
	s_waitcnt lgkmcnt(14)
	v_add_f32_e32 v25, v25, v15
	;; [unrolled: 2-line block ×5, first 2 shown]
	ds_bpermute_b32 v52, v18, v28
	ds_bpermute_b32 v53, v18, v25
	;; [unrolled: 1-line block ×4, first 2 shown]
	s_load_dword s4, s[8:9], 0x0
	s_waitcnt lgkmcnt(0)
	v_add_f32_e32 v22, v11, v22
	v_add_f32_e32 v23, v10, v49
	;; [unrolled: 1-line block ×8, first 2 shown]
	buffer_load_dword v24, off, s[0:3], s32 offset:880 ; 4-byte Folded Reload
	v_add_f32_e32 v15, v32, v38
	v_add_f32_e32 v14, v31, v39
	;; [unrolled: 1-line block ×3, first 2 shown]
	v_and_b32_e32 v27, 0x3c3, v108
	v_mul_u32_u24_e32 v26, 0x300, v110
	s_mov_b32 s7, exec_lo
	v_add_f32_e32 v12, v28, v52
	v_add_f32_e32 v11, v25, v53
	;; [unrolled: 1-line block ×4, first 2 shown]
	s_waitcnt vmcnt(0)
	v_and_b32_e32 v25, 28, v24
	v_lshrrev_b32_e32 v24, 2, v24
	v_add_nc_u32_e32 v25, s4, v25
	v_cmpx_eq_u32_e32 64, v27
	s_cbranch_execz .LBB312_3162
; %bb.3161:
	v_add_nc_u32_e32 v27, v25, v26
	v_add_nc_u32_e32 v28, 0xfffffa00, v27
	;; [unrolled: 1-line block ×7, first 2 shown]
	ds_write_b32 v28, v7
	ds_write_b32 v29, v6
	;; [unrolled: 1-line block ×4, first 2 shown]
	v_add_nc_u32_e32 v28, 0xfffffac0, v27
	v_add_nc_u32_e32 v29, 0xfffffae0, v27
	v_add_nc_u32_e32 v30, 0xfffffb00, v27
	ds_write_b32 v32, v3
	ds_write_b32 v33, v2
	ds_write_b32 v28, v1
	ds_write_b32 v29, v0
	ds_write_b32 v30, v23
	v_add_nc_u32_e32 v28, 0xfffffb20, v27
	v_add_nc_u32_e32 v29, 0xfffffb40, v27
	v_add_nc_u32_e32 v30, 0xfffffb60, v27
	v_add_nc_u32_e32 v31, 0xfffffb80, v27
	v_add_nc_u32_e32 v32, 0xfffffba0, v27
	ds_write_b32 v28, v22
	ds_write_b32 v29, v21
	ds_write_b32 v30, v20
	ds_write_b32 v31, v19
	ds_write_b32 v32, v18
	v_add_nc_u32_e32 v28, 0xfffffbc0, v27
	v_add_nc_u32_e32 v29, 0xfffffbe0, v27
	;; [unrolled: 10-line block ×3, first 2 shown]
	v_add_nc_u32_e32 v30, 0xfffffca0, v27
	v_add_nc_u32_e32 v31, 0xfffffcc0, v27
	;; [unrolled: 1-line block ×3, first 2 shown]
	ds_write_b32 v28, v12
	ds_write_b32 v29, v11
	;; [unrolled: 1-line block ×5, first 2 shown]
.LBB312_3162:
	s_or_b32 exec_lo, exec_lo, s7
	v_lshlrev_b32_e32 v24, 2, v24
	v_and_b32_e32 v27, 3, v108
	s_mov_b32 s7, exec_lo
	s_waitcnt lgkmcnt(0)
	s_barrier
	v_add3_u32 v24, s4, v26, v24
	v_cmp_eq_u32_e32 vcc_lo, 0, v27
	buffer_gl0_inv
	v_cmpx_gt_u32_e32 64, v108
	s_cbranch_execz .LBB312_3189
; %bb.3163:
	s_and_saveexec_b32 s4, vcc_lo
	s_cbranch_execnz .LBB312_3221
; %bb.3164:
	s_or_b32 exec_lo, exec_lo, s4
	s_and_saveexec_b32 s4, vcc_lo
	s_cbranch_execnz .LBB312_3222
.LBB312_3165:
	s_or_b32 exec_lo, exec_lo, s4
	s_and_saveexec_b32 s4, vcc_lo
	s_cbranch_execnz .LBB312_3223
.LBB312_3166:
	s_or_b32 exec_lo, exec_lo, s4
	s_and_saveexec_b32 s4, vcc_lo
	s_cbranch_execnz .LBB312_3224
.LBB312_3167:
	s_or_b32 exec_lo, exec_lo, s4
	s_and_saveexec_b32 s4, vcc_lo
	s_cbranch_execnz .LBB312_3225
.LBB312_3168:
	s_or_b32 exec_lo, exec_lo, s4
	s_and_saveexec_b32 s4, vcc_lo
	s_cbranch_execnz .LBB312_3226
.LBB312_3169:
	s_or_b32 exec_lo, exec_lo, s4
	s_and_saveexec_b32 s4, vcc_lo
	s_cbranch_execnz .LBB312_3227
.LBB312_3170:
	s_or_b32 exec_lo, exec_lo, s4
	s_and_saveexec_b32 s4, vcc_lo
	s_cbranch_execnz .LBB312_3228
.LBB312_3171:
	s_or_b32 exec_lo, exec_lo, s4
	s_and_saveexec_b32 s4, vcc_lo
	s_cbranch_execnz .LBB312_3229
.LBB312_3172:
	s_or_b32 exec_lo, exec_lo, s4
	s_and_saveexec_b32 s4, vcc_lo
	s_cbranch_execnz .LBB312_3230
.LBB312_3173:
	s_or_b32 exec_lo, exec_lo, s4
	s_and_saveexec_b32 s4, vcc_lo
	s_cbranch_execnz .LBB312_3231
.LBB312_3174:
	s_or_b32 exec_lo, exec_lo, s4
	s_and_saveexec_b32 s4, vcc_lo
	s_cbranch_execnz .LBB312_3232
.LBB312_3175:
	s_or_b32 exec_lo, exec_lo, s4
	s_and_saveexec_b32 s4, vcc_lo
	s_cbranch_execnz .LBB312_3233
.LBB312_3176:
	s_or_b32 exec_lo, exec_lo, s4
	s_and_saveexec_b32 s4, vcc_lo
	s_cbranch_execnz .LBB312_3234
.LBB312_3177:
	s_or_b32 exec_lo, exec_lo, s4
	s_and_saveexec_b32 s4, vcc_lo
	s_cbranch_execnz .LBB312_3235
.LBB312_3178:
	s_or_b32 exec_lo, exec_lo, s4
	s_and_saveexec_b32 s4, vcc_lo
	s_cbranch_execnz .LBB312_3236
.LBB312_3179:
	s_or_b32 exec_lo, exec_lo, s4
	s_and_saveexec_b32 s4, vcc_lo
	s_cbranch_execnz .LBB312_3237
.LBB312_3180:
	s_or_b32 exec_lo, exec_lo, s4
	s_and_saveexec_b32 s4, vcc_lo
	s_cbranch_execnz .LBB312_3238
.LBB312_3181:
	s_or_b32 exec_lo, exec_lo, s4
	s_and_saveexec_b32 s4, vcc_lo
	s_cbranch_execnz .LBB312_3239
.LBB312_3182:
	s_or_b32 exec_lo, exec_lo, s4
	s_and_saveexec_b32 s4, vcc_lo
	s_cbranch_execnz .LBB312_3240
.LBB312_3183:
	s_or_b32 exec_lo, exec_lo, s4
	s_and_saveexec_b32 s4, vcc_lo
	s_cbranch_execnz .LBB312_3241
.LBB312_3184:
	s_or_b32 exec_lo, exec_lo, s4
	s_and_saveexec_b32 s4, vcc_lo
	s_cbranch_execnz .LBB312_3242
.LBB312_3185:
	s_or_b32 exec_lo, exec_lo, s4
	s_and_saveexec_b32 s4, vcc_lo
	s_cbranch_execnz .LBB312_3243
.LBB312_3186:
	s_or_b32 exec_lo, exec_lo, s4
	s_and_saveexec_b32 s4, vcc_lo
	s_cbranch_execz .LBB312_3188
.LBB312_3187:
	ds_read_b32 v26, v24 offset:736
	s_waitcnt lgkmcnt(0)
	v_add_f32_e32 v10, v26, v10
.LBB312_3188:
	s_or_b32 exec_lo, exec_lo, s4
.LBB312_3189:
	s_or_b32 exec_lo, exec_lo, s7
	v_and_b32_e32 v26, 0x3e3, v108
	s_mov_b32 s7, exec_lo
	s_barrier
	buffer_gl0_inv
	v_cmpx_eq_u32_e32 32, v26
	s_cbranch_execz .LBB312_3191
; %bb.3190:
	ds_write2_b32 v25, v7, v6 offset1:8
	ds_write2_b32 v25, v5, v4 offset0:16 offset1:24
	ds_write2_b32 v25, v3, v2 offset0:32 offset1:40
	;; [unrolled: 1-line block ×11, first 2 shown]
.LBB312_3191:
	s_or_b32 exec_lo, exec_lo, s7
	s_mov_b32 s7, exec_lo
	s_waitcnt lgkmcnt(0)
	s_barrier
	buffer_gl0_inv
	v_cmpx_gt_u32_e32 32, v108
	s_cbranch_execz .LBB312_3218
; %bb.3192:
	s_and_saveexec_b32 s4, vcc_lo
	s_cbranch_execnz .LBB312_3244
; %bb.3193:
	s_or_b32 exec_lo, exec_lo, s4
	s_and_saveexec_b32 s4, vcc_lo
	s_cbranch_execnz .LBB312_3245
.LBB312_3194:
	s_or_b32 exec_lo, exec_lo, s4
	s_and_saveexec_b32 s4, vcc_lo
	s_cbranch_execnz .LBB312_3246
.LBB312_3195:
	s_or_b32 exec_lo, exec_lo, s4
	s_and_saveexec_b32 s4, vcc_lo
	s_cbranch_execnz .LBB312_3247
.LBB312_3196:
	s_or_b32 exec_lo, exec_lo, s4
	s_and_saveexec_b32 s4, vcc_lo
	s_cbranch_execnz .LBB312_3248
.LBB312_3197:
	s_or_b32 exec_lo, exec_lo, s4
	s_and_saveexec_b32 s4, vcc_lo
	s_cbranch_execnz .LBB312_3249
.LBB312_3198:
	s_or_b32 exec_lo, exec_lo, s4
	s_and_saveexec_b32 s4, vcc_lo
	s_cbranch_execnz .LBB312_3250
.LBB312_3199:
	s_or_b32 exec_lo, exec_lo, s4
	s_and_saveexec_b32 s4, vcc_lo
	s_cbranch_execnz .LBB312_3251
.LBB312_3200:
	s_or_b32 exec_lo, exec_lo, s4
	s_and_saveexec_b32 s4, vcc_lo
	s_cbranch_execnz .LBB312_3252
.LBB312_3201:
	s_or_b32 exec_lo, exec_lo, s4
	s_and_saveexec_b32 s4, vcc_lo
	s_cbranch_execnz .LBB312_3253
.LBB312_3202:
	s_or_b32 exec_lo, exec_lo, s4
	s_and_saveexec_b32 s4, vcc_lo
	s_cbranch_execnz .LBB312_3254
.LBB312_3203:
	s_or_b32 exec_lo, exec_lo, s4
	s_and_saveexec_b32 s4, vcc_lo
	s_cbranch_execnz .LBB312_3255
.LBB312_3204:
	s_or_b32 exec_lo, exec_lo, s4
	s_and_saveexec_b32 s4, vcc_lo
	s_cbranch_execnz .LBB312_3256
.LBB312_3205:
	s_or_b32 exec_lo, exec_lo, s4
	s_and_saveexec_b32 s4, vcc_lo
	s_cbranch_execnz .LBB312_3257
.LBB312_3206:
	s_or_b32 exec_lo, exec_lo, s4
	s_and_saveexec_b32 s4, vcc_lo
	s_cbranch_execnz .LBB312_3258
.LBB312_3207:
	s_or_b32 exec_lo, exec_lo, s4
	s_and_saveexec_b32 s4, vcc_lo
	s_cbranch_execnz .LBB312_3259
.LBB312_3208:
	s_or_b32 exec_lo, exec_lo, s4
	s_and_saveexec_b32 s4, vcc_lo
	s_cbranch_execnz .LBB312_3260
.LBB312_3209:
	s_or_b32 exec_lo, exec_lo, s4
	s_and_saveexec_b32 s4, vcc_lo
	s_cbranch_execnz .LBB312_3261
.LBB312_3210:
	s_or_b32 exec_lo, exec_lo, s4
	s_and_saveexec_b32 s4, vcc_lo
	s_cbranch_execnz .LBB312_3262
.LBB312_3211:
	s_or_b32 exec_lo, exec_lo, s4
	s_and_saveexec_b32 s4, vcc_lo
	s_cbranch_execnz .LBB312_3263
.LBB312_3212:
	s_or_b32 exec_lo, exec_lo, s4
	s_and_saveexec_b32 s4, vcc_lo
	s_cbranch_execnz .LBB312_3264
.LBB312_3213:
	s_or_b32 exec_lo, exec_lo, s4
	s_and_saveexec_b32 s4, vcc_lo
	s_cbranch_execnz .LBB312_3265
.LBB312_3214:
	s_or_b32 exec_lo, exec_lo, s4
	s_and_saveexec_b32 s4, vcc_lo
	s_cbranch_execnz .LBB312_3266
.LBB312_3215:
	s_or_b32 exec_lo, exec_lo, s4
	s_and_saveexec_b32 s4, vcc_lo
	s_cbranch_execz .LBB312_3217
.LBB312_3216:
	ds_read_b32 v24, v24 offset:736
	s_waitcnt lgkmcnt(0)
	v_add_f32_e32 v10, v24, v10
.LBB312_3217:
	s_or_b32 exec_lo, exec_lo, s4
.LBB312_3218:
	s_or_b32 exec_lo, exec_lo, s7
	v_cmp_eq_u32_e32 vcc_lo, 0, v26
	s_barrier
	buffer_gl0_inv
	s_and_b32 exec_lo, exec_lo, vcc_lo
	s_cbranch_execz .LBB312_3220
; %bb.3219:
	s_mulk_i32 s6, 0xc0
	s_mul_i32 s4, s10, s5
	s_ashr_i32 s7, s6, 31
	s_ashr_i32 s5, s4, 31
	s_lshl_b64 s[6:7], s[6:7], 1
	s_lshl_b64 s[4:5], s[4:5], 1
	v_add_co_u32 v24, vcc_lo, v107, s6
	v_add_co_ci_u32_e64 v25, null, s7, v106, vcc_lo
	s_mul_i32 s6, s14, 0xc0
	v_add_co_u32 v24, vcc_lo, v24, s4
	s_ashr_i32 s7, s6, 31
	v_add_co_ci_u32_e64 v25, null, s5, v25, vcc_lo
	s_lshl_b64 s[4:5], s[6:7], 1
	v_lshrrev_b32_e32 v26, 1, v108
	v_add_co_u32 v24, vcc_lo, v24, s4
	v_add_co_ci_u32_e64 v25, null, s5, v25, vcc_lo
	;;#ASMSTART
	v_cvt_f16_f32 v7, v7;

	;;#ASMEND
	v_add_co_u32 v24, vcc_lo, v24, v26
	v_add_co_ci_u32_e64 v25, null, 0, v25, vcc_lo
	flat_store_short v[24:25], v7
	;;#ASMSTART
	v_cvt_f16_f32 v6, v6;

	;;#ASMEND
	flat_store_short v[24:25], v6 offset:16
	;;#ASMSTART
	v_cvt_f16_f32 v5, v5;

	;;#ASMEND
	flat_store_short v[24:25], v5 offset:32
	;; [unrolled: 5-line block ×23, first 2 shown]
.LBB312_3220:
	s_or_b32 exec_lo, exec_lo, s19
	s_clause 0x2f
	buffer_load_dword v127, off, s[0:3], s32 offset:8
	buffer_load_dword v126, off, s[0:3], s32 offset:12
	;; [unrolled: 1-line block ×48, first 2 shown]
	s_waitcnt vmcnt(0) lgkmcnt(0)
	s_setpc_b64 s[30:31]
.LBB312_3221:
	ds_read_b32 v26, v24
	s_waitcnt lgkmcnt(0)
	v_add_f32_e32 v7, v26, v7
	s_or_b32 exec_lo, exec_lo, s4
	s_and_saveexec_b32 s4, vcc_lo
	s_cbranch_execz .LBB312_3165
.LBB312_3222:
	ds_read_b32 v26, v24 offset:32
	s_waitcnt lgkmcnt(0)
	v_add_f32_e32 v6, v26, v6
	s_or_b32 exec_lo, exec_lo, s4
	s_and_saveexec_b32 s4, vcc_lo
	s_cbranch_execz .LBB312_3166
.LBB312_3223:
	ds_read_b32 v26, v24 offset:64
	s_waitcnt lgkmcnt(0)
	v_add_f32_e32 v5, v26, v5
	s_or_b32 exec_lo, exec_lo, s4
	s_and_saveexec_b32 s4, vcc_lo
	s_cbranch_execz .LBB312_3167
.LBB312_3224:
	ds_read_b32 v26, v24 offset:96
	s_waitcnt lgkmcnt(0)
	v_add_f32_e32 v4, v26, v4
	s_or_b32 exec_lo, exec_lo, s4
	s_and_saveexec_b32 s4, vcc_lo
	s_cbranch_execz .LBB312_3168
.LBB312_3225:
	ds_read_b32 v26, v24 offset:128
	s_waitcnt lgkmcnt(0)
	v_add_f32_e32 v3, v26, v3
	s_or_b32 exec_lo, exec_lo, s4
	s_and_saveexec_b32 s4, vcc_lo
	s_cbranch_execz .LBB312_3169
.LBB312_3226:
	ds_read_b32 v26, v24 offset:160
	s_waitcnt lgkmcnt(0)
	v_add_f32_e32 v2, v26, v2
	s_or_b32 exec_lo, exec_lo, s4
	s_and_saveexec_b32 s4, vcc_lo
	s_cbranch_execz .LBB312_3170
.LBB312_3227:
	ds_read_b32 v26, v24 offset:192
	s_waitcnt lgkmcnt(0)
	v_add_f32_e32 v1, v26, v1
	s_or_b32 exec_lo, exec_lo, s4
	s_and_saveexec_b32 s4, vcc_lo
	s_cbranch_execz .LBB312_3171
.LBB312_3228:
	ds_read_b32 v26, v24 offset:224
	s_waitcnt lgkmcnt(0)
	v_add_f32_e32 v0, v26, v0
	s_or_b32 exec_lo, exec_lo, s4
	s_and_saveexec_b32 s4, vcc_lo
	s_cbranch_execz .LBB312_3172
.LBB312_3229:
	ds_read_b32 v26, v24 offset:256
	s_waitcnt lgkmcnt(0)
	v_add_f32_e32 v23, v26, v23
	s_or_b32 exec_lo, exec_lo, s4
	s_and_saveexec_b32 s4, vcc_lo
	s_cbranch_execz .LBB312_3173
.LBB312_3230:
	ds_read_b32 v26, v24 offset:288
	s_waitcnt lgkmcnt(0)
	v_add_f32_e32 v22, v26, v22
	s_or_b32 exec_lo, exec_lo, s4
	s_and_saveexec_b32 s4, vcc_lo
	s_cbranch_execz .LBB312_3174
.LBB312_3231:
	ds_read_b32 v26, v24 offset:320
	s_waitcnt lgkmcnt(0)
	v_add_f32_e32 v21, v26, v21
	s_or_b32 exec_lo, exec_lo, s4
	s_and_saveexec_b32 s4, vcc_lo
	s_cbranch_execz .LBB312_3175
.LBB312_3232:
	ds_read_b32 v26, v24 offset:352
	s_waitcnt lgkmcnt(0)
	v_add_f32_e32 v20, v26, v20
	s_or_b32 exec_lo, exec_lo, s4
	s_and_saveexec_b32 s4, vcc_lo
	s_cbranch_execz .LBB312_3176
.LBB312_3233:
	ds_read_b32 v26, v24 offset:384
	s_waitcnt lgkmcnt(0)
	v_add_f32_e32 v19, v26, v19
	s_or_b32 exec_lo, exec_lo, s4
	s_and_saveexec_b32 s4, vcc_lo
	s_cbranch_execz .LBB312_3177
.LBB312_3234:
	ds_read_b32 v26, v24 offset:416
	s_waitcnt lgkmcnt(0)
	v_add_f32_e32 v18, v26, v18
	s_or_b32 exec_lo, exec_lo, s4
	s_and_saveexec_b32 s4, vcc_lo
	s_cbranch_execz .LBB312_3178
.LBB312_3235:
	ds_read_b32 v26, v24 offset:448
	s_waitcnt lgkmcnt(0)
	v_add_f32_e32 v17, v26, v17
	s_or_b32 exec_lo, exec_lo, s4
	s_and_saveexec_b32 s4, vcc_lo
	s_cbranch_execz .LBB312_3179
.LBB312_3236:
	ds_read_b32 v26, v24 offset:480
	s_waitcnt lgkmcnt(0)
	v_add_f32_e32 v16, v26, v16
	s_or_b32 exec_lo, exec_lo, s4
	s_and_saveexec_b32 s4, vcc_lo
	s_cbranch_execz .LBB312_3180
.LBB312_3237:
	ds_read_b32 v26, v24 offset:512
	s_waitcnt lgkmcnt(0)
	v_add_f32_e32 v15, v26, v15
	s_or_b32 exec_lo, exec_lo, s4
	s_and_saveexec_b32 s4, vcc_lo
	s_cbranch_execz .LBB312_3181
.LBB312_3238:
	ds_read_b32 v26, v24 offset:544
	s_waitcnt lgkmcnt(0)
	v_add_f32_e32 v14, v26, v14
	s_or_b32 exec_lo, exec_lo, s4
	s_and_saveexec_b32 s4, vcc_lo
	s_cbranch_execz .LBB312_3182
.LBB312_3239:
	ds_read_b32 v26, v24 offset:576
	s_waitcnt lgkmcnt(0)
	v_add_f32_e32 v13, v26, v13
	s_or_b32 exec_lo, exec_lo, s4
	s_and_saveexec_b32 s4, vcc_lo
	s_cbranch_execz .LBB312_3183
.LBB312_3240:
	ds_read_b32 v26, v24 offset:608
	s_waitcnt lgkmcnt(0)
	v_add_f32_e32 v12, v26, v12
	s_or_b32 exec_lo, exec_lo, s4
	s_and_saveexec_b32 s4, vcc_lo
	s_cbranch_execz .LBB312_3184
.LBB312_3241:
	ds_read_b32 v26, v24 offset:640
	s_waitcnt lgkmcnt(0)
	v_add_f32_e32 v11, v26, v11
	s_or_b32 exec_lo, exec_lo, s4
	s_and_saveexec_b32 s4, vcc_lo
	s_cbranch_execz .LBB312_3185
.LBB312_3242:
	ds_read_b32 v26, v24 offset:672
	s_waitcnt lgkmcnt(0)
	v_add_f32_e32 v9, v26, v9
	s_or_b32 exec_lo, exec_lo, s4
	s_and_saveexec_b32 s4, vcc_lo
	s_cbranch_execz .LBB312_3186
.LBB312_3243:
	ds_read_b32 v26, v24 offset:704
	s_waitcnt lgkmcnt(0)
	v_add_f32_e32 v8, v26, v8
	s_or_b32 exec_lo, exec_lo, s4
	s_and_saveexec_b32 s4, vcc_lo
	s_cbranch_execnz .LBB312_3187
	s_branch .LBB312_3188
.LBB312_3244:
	ds_read_b32 v25, v24
	s_waitcnt lgkmcnt(0)
	v_add_f32_e32 v7, v25, v7
	s_or_b32 exec_lo, exec_lo, s4
	s_and_saveexec_b32 s4, vcc_lo
	s_cbranch_execz .LBB312_3194
.LBB312_3245:
	ds_read_b32 v25, v24 offset:32
	s_waitcnt lgkmcnt(0)
	v_add_f32_e32 v6, v25, v6
	s_or_b32 exec_lo, exec_lo, s4
	s_and_saveexec_b32 s4, vcc_lo
	s_cbranch_execz .LBB312_3195
.LBB312_3246:
	ds_read_b32 v25, v24 offset:64
	s_waitcnt lgkmcnt(0)
	v_add_f32_e32 v5, v25, v5
	s_or_b32 exec_lo, exec_lo, s4
	s_and_saveexec_b32 s4, vcc_lo
	s_cbranch_execz .LBB312_3196
.LBB312_3247:
	ds_read_b32 v25, v24 offset:96
	s_waitcnt lgkmcnt(0)
	v_add_f32_e32 v4, v25, v4
	s_or_b32 exec_lo, exec_lo, s4
	s_and_saveexec_b32 s4, vcc_lo
	s_cbranch_execz .LBB312_3197
.LBB312_3248:
	ds_read_b32 v25, v24 offset:128
	s_waitcnt lgkmcnt(0)
	v_add_f32_e32 v3, v25, v3
	s_or_b32 exec_lo, exec_lo, s4
	s_and_saveexec_b32 s4, vcc_lo
	s_cbranch_execz .LBB312_3198
.LBB312_3249:
	ds_read_b32 v25, v24 offset:160
	s_waitcnt lgkmcnt(0)
	v_add_f32_e32 v2, v25, v2
	s_or_b32 exec_lo, exec_lo, s4
	s_and_saveexec_b32 s4, vcc_lo
	s_cbranch_execz .LBB312_3199
.LBB312_3250:
	ds_read_b32 v25, v24 offset:192
	s_waitcnt lgkmcnt(0)
	v_add_f32_e32 v1, v25, v1
	s_or_b32 exec_lo, exec_lo, s4
	s_and_saveexec_b32 s4, vcc_lo
	s_cbranch_execz .LBB312_3200
.LBB312_3251:
	ds_read_b32 v25, v24 offset:224
	s_waitcnt lgkmcnt(0)
	v_add_f32_e32 v0, v25, v0
	s_or_b32 exec_lo, exec_lo, s4
	s_and_saveexec_b32 s4, vcc_lo
	s_cbranch_execz .LBB312_3201
.LBB312_3252:
	ds_read_b32 v25, v24 offset:256
	s_waitcnt lgkmcnt(0)
	v_add_f32_e32 v23, v25, v23
	s_or_b32 exec_lo, exec_lo, s4
	s_and_saveexec_b32 s4, vcc_lo
	s_cbranch_execz .LBB312_3202
.LBB312_3253:
	ds_read_b32 v25, v24 offset:288
	s_waitcnt lgkmcnt(0)
	v_add_f32_e32 v22, v25, v22
	s_or_b32 exec_lo, exec_lo, s4
	s_and_saveexec_b32 s4, vcc_lo
	s_cbranch_execz .LBB312_3203
.LBB312_3254:
	ds_read_b32 v25, v24 offset:320
	s_waitcnt lgkmcnt(0)
	v_add_f32_e32 v21, v25, v21
	s_or_b32 exec_lo, exec_lo, s4
	s_and_saveexec_b32 s4, vcc_lo
	s_cbranch_execz .LBB312_3204
.LBB312_3255:
	ds_read_b32 v25, v24 offset:352
	s_waitcnt lgkmcnt(0)
	v_add_f32_e32 v20, v25, v20
	s_or_b32 exec_lo, exec_lo, s4
	s_and_saveexec_b32 s4, vcc_lo
	s_cbranch_execz .LBB312_3205
.LBB312_3256:
	ds_read_b32 v25, v24 offset:384
	s_waitcnt lgkmcnt(0)
	v_add_f32_e32 v19, v25, v19
	s_or_b32 exec_lo, exec_lo, s4
	s_and_saveexec_b32 s4, vcc_lo
	s_cbranch_execz .LBB312_3206
.LBB312_3257:
	ds_read_b32 v25, v24 offset:416
	s_waitcnt lgkmcnt(0)
	v_add_f32_e32 v18, v25, v18
	s_or_b32 exec_lo, exec_lo, s4
	s_and_saveexec_b32 s4, vcc_lo
	s_cbranch_execz .LBB312_3207
.LBB312_3258:
	ds_read_b32 v25, v24 offset:448
	s_waitcnt lgkmcnt(0)
	v_add_f32_e32 v17, v25, v17
	s_or_b32 exec_lo, exec_lo, s4
	s_and_saveexec_b32 s4, vcc_lo
	s_cbranch_execz .LBB312_3208
.LBB312_3259:
	ds_read_b32 v25, v24 offset:480
	s_waitcnt lgkmcnt(0)
	v_add_f32_e32 v16, v25, v16
	s_or_b32 exec_lo, exec_lo, s4
	s_and_saveexec_b32 s4, vcc_lo
	s_cbranch_execz .LBB312_3209
.LBB312_3260:
	ds_read_b32 v25, v24 offset:512
	s_waitcnt lgkmcnt(0)
	v_add_f32_e32 v15, v25, v15
	s_or_b32 exec_lo, exec_lo, s4
	s_and_saveexec_b32 s4, vcc_lo
	s_cbranch_execz .LBB312_3210
.LBB312_3261:
	ds_read_b32 v25, v24 offset:544
	s_waitcnt lgkmcnt(0)
	v_add_f32_e32 v14, v25, v14
	s_or_b32 exec_lo, exec_lo, s4
	s_and_saveexec_b32 s4, vcc_lo
	s_cbranch_execz .LBB312_3211
.LBB312_3262:
	ds_read_b32 v25, v24 offset:576
	s_waitcnt lgkmcnt(0)
	v_add_f32_e32 v13, v25, v13
	s_or_b32 exec_lo, exec_lo, s4
	s_and_saveexec_b32 s4, vcc_lo
	s_cbranch_execz .LBB312_3212
.LBB312_3263:
	ds_read_b32 v25, v24 offset:608
	s_waitcnt lgkmcnt(0)
	v_add_f32_e32 v12, v25, v12
	s_or_b32 exec_lo, exec_lo, s4
	s_and_saveexec_b32 s4, vcc_lo
	s_cbranch_execz .LBB312_3213
.LBB312_3264:
	ds_read_b32 v25, v24 offset:640
	s_waitcnt lgkmcnt(0)
	v_add_f32_e32 v11, v25, v11
	s_or_b32 exec_lo, exec_lo, s4
	s_and_saveexec_b32 s4, vcc_lo
	s_cbranch_execz .LBB312_3214
.LBB312_3265:
	ds_read_b32 v25, v24 offset:672
	s_waitcnt lgkmcnt(0)
	v_add_f32_e32 v9, v25, v9
	s_or_b32 exec_lo, exec_lo, s4
	s_and_saveexec_b32 s4, vcc_lo
	s_cbranch_execz .LBB312_3215
.LBB312_3266:
	ds_read_b32 v25, v24 offset:704
	s_waitcnt lgkmcnt(0)
	v_add_f32_e32 v8, v25, v8
	s_or_b32 exec_lo, exec_lo, s4
	s_and_saveexec_b32 s4, vcc_lo
	s_cbranch_execnz .LBB312_3216
	s_branch .LBB312_3217
.Lfunc_end312:
	.size	_ZN4vllm22paged_attention_kernelIthLi192ELi32ELi128ELNS_18Fp8KVCacheDataTypeE1ELb1ELi512EEEvPfS2_PT_PKS3_PKT0_S9_ifPKiSB_iPKfiiiSD_SD_iiiii, .Lfunc_end312-_ZN4vllm22paged_attention_kernelIthLi192ELi32ELi128ELNS_18Fp8KVCacheDataTypeE1ELb1ELi512EEEvPfS2_PT_PKS3_PKT0_S9_ifPKiSB_iPKfiiiSD_SD_iiiii
                                        ; -- End function
	.set .L_ZN4vllm22paged_attention_kernelIthLi192ELi32ELi128ELNS_18Fp8KVCacheDataTypeE1ELb1ELi512EEEvPfS2_PT_PKS3_PKT0_S9_ifPKiSB_iPKfiiiSD_SD_iiiii.num_vgpr, 128
	.set .L_ZN4vllm22paged_attention_kernelIthLi192ELi32ELi128ELNS_18Fp8KVCacheDataTypeE1ELb1ELi512EEEvPfS2_PT_PKS3_PKT0_S9_ifPKiSB_iPKfiiiSD_SD_iiiii.num_agpr, 0
	.set .L_ZN4vllm22paged_attention_kernelIthLi192ELi32ELi128ELNS_18Fp8KVCacheDataTypeE1ELb1ELi512EEEvPfS2_PT_PKS3_PKT0_S9_ifPKiSB_iPKfiiiSD_SD_iiiii.numbered_sgpr, 33
	.set .L_ZN4vllm22paged_attention_kernelIthLi192ELi32ELi128ELNS_18Fp8KVCacheDataTypeE1ELb1ELi512EEEvPfS2_PT_PKS3_PKT0_S9_ifPKiSB_iPKfiiiSD_SD_iiiii.num_named_barrier, 0
	.set .L_ZN4vllm22paged_attention_kernelIthLi192ELi32ELi128ELNS_18Fp8KVCacheDataTypeE1ELb1ELi512EEEvPfS2_PT_PKS3_PKT0_S9_ifPKiSB_iPKfiiiSD_SD_iiiii.private_seg_size, 1008
	.set .L_ZN4vllm22paged_attention_kernelIthLi192ELi32ELi128ELNS_18Fp8KVCacheDataTypeE1ELb1ELi512EEEvPfS2_PT_PKS3_PKT0_S9_ifPKiSB_iPKfiiiSD_SD_iiiii.uses_vcc, 1
	.set .L_ZN4vllm22paged_attention_kernelIthLi192ELi32ELi128ELNS_18Fp8KVCacheDataTypeE1ELb1ELi512EEEvPfS2_PT_PKS3_PKT0_S9_ifPKiSB_iPKfiiiSD_SD_iiiii.uses_flat_scratch, 0
	.set .L_ZN4vllm22paged_attention_kernelIthLi192ELi32ELi128ELNS_18Fp8KVCacheDataTypeE1ELb1ELi512EEEvPfS2_PT_PKS3_PKT0_S9_ifPKiSB_iPKfiiiSD_SD_iiiii.has_dyn_sized_stack, 0
	.set .L_ZN4vllm22paged_attention_kernelIthLi192ELi32ELi128ELNS_18Fp8KVCacheDataTypeE1ELb1ELi512EEEvPfS2_PT_PKS3_PKT0_S9_ifPKiSB_iPKfiiiSD_SD_iiiii.has_recursion, 0
	.set .L_ZN4vllm22paged_attention_kernelIthLi192ELi32ELi128ELNS_18Fp8KVCacheDataTypeE1ELb1ELi512EEEvPfS2_PT_PKS3_PKT0_S9_ifPKiSB_iPKfiiiSD_SD_iiiii.has_indirect_call, 0
	.section	.AMDGPU.csdata,"",@progbits
; Function info:
; codeLenInByte = 111540
; TotalNumSgprs: 35
; NumVgprs: 128
; ScratchSize: 1008
; MemoryBound: 0
	.section	.text._ZN4vllm25paged_attention_v2_kernelIthLi192ELi32ELi128ELNS_18Fp8KVCacheDataTypeE1ELb1ELi512EEEvPfS2_PT_PKS3_PKT0_S9_ifPKiSB_iPKfiiiSD_SD_iiiii,"axG",@progbits,_ZN4vllm25paged_attention_v2_kernelIthLi192ELi32ELi128ELNS_18Fp8KVCacheDataTypeE1ELb1ELi512EEEvPfS2_PT_PKS3_PKT0_S9_ifPKiSB_iPKfiiiSD_SD_iiiii,comdat
	.protected	_ZN4vllm25paged_attention_v2_kernelIthLi192ELi32ELi128ELNS_18Fp8KVCacheDataTypeE1ELb1ELi512EEEvPfS2_PT_PKS3_PKT0_S9_ifPKiSB_iPKfiiiSD_SD_iiiii ; -- Begin function _ZN4vllm25paged_attention_v2_kernelIthLi192ELi32ELi128ELNS_18Fp8KVCacheDataTypeE1ELb1ELi512EEEvPfS2_PT_PKS3_PKT0_S9_ifPKiSB_iPKfiiiSD_SD_iiiii
	.globl	_ZN4vllm25paged_attention_v2_kernelIthLi192ELi32ELi128ELNS_18Fp8KVCacheDataTypeE1ELb1ELi512EEEvPfS2_PT_PKS3_PKT0_S9_ifPKiSB_iPKfiiiSD_SD_iiiii
	.p2align	8
	.type	_ZN4vllm25paged_attention_v2_kernelIthLi192ELi32ELi128ELNS_18Fp8KVCacheDataTypeE1ELb1ELi512EEEvPfS2_PT_PKS3_PKT0_S9_ifPKiSB_iPKfiiiSD_SD_iiiii,@function
_ZN4vllm25paged_attention_v2_kernelIthLi192ELi32ELi128ELNS_18Fp8KVCacheDataTypeE1ELb1ELi512EEEvPfS2_PT_PKS3_PKT0_S9_ifPKiSB_iPKfiiiSD_SD_iiiii: ; @_ZN4vllm25paged_attention_v2_kernelIthLi192ELi32ELi128ELNS_18Fp8KVCacheDataTypeE1ELb1ELi512EEEvPfS2_PT_PKS3_PKT0_S9_ifPKiSB_iPKfiiiSD_SD_iiiii
; %bb.0:
	s_mov_b32 s14, s8
	s_clause 0x7
	s_load_dwordx4 s[36:39], s[4:5], 0x78
	s_load_dword s8, s[4:5], 0x88
	s_load_dwordx8 s[40:47], s[4:5], 0x0
	s_load_dwordx8 s[24:31], s[4:5], 0x20
	s_load_dwordx2 s[10:11], s[4:5], 0x40
	s_load_dwordx2 s[34:35], s[4:5], 0x50
	s_load_dword s13, s[4:5], 0x48
	s_load_dwordx8 s[16:23], s[4:5], 0x58
	s_add_u32 s0, s0, s9
	s_mov_b32 s32, 0
	s_addc_u32 s1, s1, 0
	v_mov_b32_e32 v31, v0
	s_mov_b32 s12, s6
	s_mov_b32 s15, 43
	s_waitcnt lgkmcnt(0)
	v_mov_b32_e32 v1, s39
	v_mov_b32_e32 v2, s8
	;; [unrolled: 1-line block ×4, first 2 shown]
	buffer_store_dword v1, off, s[0:3], s32
	buffer_store_dword v2, off, s[0:3], s32 offset:4
	v_mov_b32_e32 v1, s41
	v_mov_b32_e32 v2, s42
	;; [unrolled: 1-line block ×29, first 2 shown]
	s_add_u32 s8, s4, 0x90
	s_addc_u32 s9, s5, 0
	s_getpc_b64 s[4:5]
	s_add_u32 s4, s4, _ZN4vllm22paged_attention_kernelIthLi192ELi32ELi128ELNS_18Fp8KVCacheDataTypeE1ELb1ELi512EEEvPfS2_PT_PKS3_PKT0_S9_ifPKiSB_iPKfiiiSD_SD_iiiii@rel32@lo+4
	s_addc_u32 s5, s5, _ZN4vllm22paged_attention_kernelIthLi192ELi32ELi128ELNS_18Fp8KVCacheDataTypeE1ELb1ELi512EEEvPfS2_PT_PKS3_PKT0_S9_ifPKiSB_iPKfiiiSD_SD_iiiii@rel32@hi+12
	s_mov_b32 s13, s7
	s_swappc_b64 s[30:31], s[4:5]
	s_endpgm
	.section	.rodata,"a",@progbits
	.p2align	6, 0x0
	.amdhsa_kernel _ZN4vllm25paged_attention_v2_kernelIthLi192ELi32ELi128ELNS_18Fp8KVCacheDataTypeE1ELb1ELi512EEEvPfS2_PT_PKS3_PKT0_S9_ifPKiSB_iPKfiiiSD_SD_iiiii
		.amdhsa_group_segment_fixed_size 416
		.amdhsa_private_segment_fixed_size 1008
		.amdhsa_kernarg_size 400
		.amdhsa_user_sgpr_count 6
		.amdhsa_user_sgpr_private_segment_buffer 1
		.amdhsa_user_sgpr_dispatch_ptr 0
		.amdhsa_user_sgpr_queue_ptr 0
		.amdhsa_user_sgpr_kernarg_segment_ptr 1
		.amdhsa_user_sgpr_dispatch_id 0
		.amdhsa_user_sgpr_flat_scratch_init 0
		.amdhsa_user_sgpr_private_segment_size 0
		.amdhsa_wavefront_size32 1
		.amdhsa_uses_dynamic_stack 0
		.amdhsa_system_sgpr_private_segment_wavefront_offset 1
		.amdhsa_system_sgpr_workgroup_id_x 1
		.amdhsa_system_sgpr_workgroup_id_y 1
		.amdhsa_system_sgpr_workgroup_id_z 1
		.amdhsa_system_sgpr_workgroup_info 0
		.amdhsa_system_vgpr_workitem_id 0
		.amdhsa_next_free_vgpr 128
		.amdhsa_next_free_sgpr 48
		.amdhsa_reserve_vcc 1
		.amdhsa_reserve_flat_scratch 0
		.amdhsa_float_round_mode_32 0
		.amdhsa_float_round_mode_16_64 0
		.amdhsa_float_denorm_mode_32 3
		.amdhsa_float_denorm_mode_16_64 3
		.amdhsa_dx10_clamp 1
		.amdhsa_ieee_mode 1
		.amdhsa_fp16_overflow 0
		.amdhsa_workgroup_processor_mode 1
		.amdhsa_memory_ordered 1
		.amdhsa_forward_progress 1
		.amdhsa_shared_vgpr_count 0
		.amdhsa_exception_fp_ieee_invalid_op 0
		.amdhsa_exception_fp_denorm_src 0
		.amdhsa_exception_fp_ieee_div_zero 0
		.amdhsa_exception_fp_ieee_overflow 0
		.amdhsa_exception_fp_ieee_underflow 0
		.amdhsa_exception_fp_ieee_inexact 0
		.amdhsa_exception_int_div_zero 0
	.end_amdhsa_kernel
	.section	.text._ZN4vllm25paged_attention_v2_kernelIthLi192ELi32ELi128ELNS_18Fp8KVCacheDataTypeE1ELb1ELi512EEEvPfS2_PT_PKS3_PKT0_S9_ifPKiSB_iPKfiiiSD_SD_iiiii,"axG",@progbits,_ZN4vllm25paged_attention_v2_kernelIthLi192ELi32ELi128ELNS_18Fp8KVCacheDataTypeE1ELb1ELi512EEEvPfS2_PT_PKS3_PKT0_S9_ifPKiSB_iPKfiiiSD_SD_iiiii,comdat
.Lfunc_end313:
	.size	_ZN4vllm25paged_attention_v2_kernelIthLi192ELi32ELi128ELNS_18Fp8KVCacheDataTypeE1ELb1ELi512EEEvPfS2_PT_PKS3_PKT0_S9_ifPKiSB_iPKfiiiSD_SD_iiiii, .Lfunc_end313-_ZN4vllm25paged_attention_v2_kernelIthLi192ELi32ELi128ELNS_18Fp8KVCacheDataTypeE1ELb1ELi512EEEvPfS2_PT_PKS3_PKT0_S9_ifPKiSB_iPKfiiiSD_SD_iiiii
                                        ; -- End function
	.set _ZN4vllm25paged_attention_v2_kernelIthLi192ELi32ELi128ELNS_18Fp8KVCacheDataTypeE1ELb1ELi512EEEvPfS2_PT_PKS3_PKT0_S9_ifPKiSB_iPKfiiiSD_SD_iiiii.num_vgpr, max(32, .L_ZN4vllm22paged_attention_kernelIthLi192ELi32ELi128ELNS_18Fp8KVCacheDataTypeE1ELb1ELi512EEEvPfS2_PT_PKS3_PKT0_S9_ifPKiSB_iPKfiiiSD_SD_iiiii.num_vgpr)
	.set _ZN4vllm25paged_attention_v2_kernelIthLi192ELi32ELi128ELNS_18Fp8KVCacheDataTypeE1ELb1ELi512EEEvPfS2_PT_PKS3_PKT0_S9_ifPKiSB_iPKfiiiSD_SD_iiiii.num_agpr, max(0, .L_ZN4vllm22paged_attention_kernelIthLi192ELi32ELi128ELNS_18Fp8KVCacheDataTypeE1ELb1ELi512EEEvPfS2_PT_PKS3_PKT0_S9_ifPKiSB_iPKfiiiSD_SD_iiiii.num_agpr)
	.set _ZN4vllm25paged_attention_v2_kernelIthLi192ELi32ELi128ELNS_18Fp8KVCacheDataTypeE1ELb1ELi512EEEvPfS2_PT_PKS3_PKT0_S9_ifPKiSB_iPKfiiiSD_SD_iiiii.numbered_sgpr, max(48, .L_ZN4vllm22paged_attention_kernelIthLi192ELi32ELi128ELNS_18Fp8KVCacheDataTypeE1ELb1ELi512EEEvPfS2_PT_PKS3_PKT0_S9_ifPKiSB_iPKfiiiSD_SD_iiiii.numbered_sgpr)
	.set _ZN4vllm25paged_attention_v2_kernelIthLi192ELi32ELi128ELNS_18Fp8KVCacheDataTypeE1ELb1ELi512EEEvPfS2_PT_PKS3_PKT0_S9_ifPKiSB_iPKfiiiSD_SD_iiiii.num_named_barrier, max(0, .L_ZN4vllm22paged_attention_kernelIthLi192ELi32ELi128ELNS_18Fp8KVCacheDataTypeE1ELb1ELi512EEEvPfS2_PT_PKS3_PKT0_S9_ifPKiSB_iPKfiiiSD_SD_iiiii.num_named_barrier)
	.set _ZN4vllm25paged_attention_v2_kernelIthLi192ELi32ELi128ELNS_18Fp8KVCacheDataTypeE1ELb1ELi512EEEvPfS2_PT_PKS3_PKT0_S9_ifPKiSB_iPKfiiiSD_SD_iiiii.private_seg_size, 0+max(.L_ZN4vllm22paged_attention_kernelIthLi192ELi32ELi128ELNS_18Fp8KVCacheDataTypeE1ELb1ELi512EEEvPfS2_PT_PKS3_PKT0_S9_ifPKiSB_iPKfiiiSD_SD_iiiii.private_seg_size)
	.set _ZN4vllm25paged_attention_v2_kernelIthLi192ELi32ELi128ELNS_18Fp8KVCacheDataTypeE1ELb1ELi512EEEvPfS2_PT_PKS3_PKT0_S9_ifPKiSB_iPKfiiiSD_SD_iiiii.uses_vcc, or(1, .L_ZN4vllm22paged_attention_kernelIthLi192ELi32ELi128ELNS_18Fp8KVCacheDataTypeE1ELb1ELi512EEEvPfS2_PT_PKS3_PKT0_S9_ifPKiSB_iPKfiiiSD_SD_iiiii.uses_vcc)
	.set _ZN4vllm25paged_attention_v2_kernelIthLi192ELi32ELi128ELNS_18Fp8KVCacheDataTypeE1ELb1ELi512EEEvPfS2_PT_PKS3_PKT0_S9_ifPKiSB_iPKfiiiSD_SD_iiiii.uses_flat_scratch, or(0, .L_ZN4vllm22paged_attention_kernelIthLi192ELi32ELi128ELNS_18Fp8KVCacheDataTypeE1ELb1ELi512EEEvPfS2_PT_PKS3_PKT0_S9_ifPKiSB_iPKfiiiSD_SD_iiiii.uses_flat_scratch)
	.set _ZN4vllm25paged_attention_v2_kernelIthLi192ELi32ELi128ELNS_18Fp8KVCacheDataTypeE1ELb1ELi512EEEvPfS2_PT_PKS3_PKT0_S9_ifPKiSB_iPKfiiiSD_SD_iiiii.has_dyn_sized_stack, or(0, .L_ZN4vllm22paged_attention_kernelIthLi192ELi32ELi128ELNS_18Fp8KVCacheDataTypeE1ELb1ELi512EEEvPfS2_PT_PKS3_PKT0_S9_ifPKiSB_iPKfiiiSD_SD_iiiii.has_dyn_sized_stack)
	.set _ZN4vllm25paged_attention_v2_kernelIthLi192ELi32ELi128ELNS_18Fp8KVCacheDataTypeE1ELb1ELi512EEEvPfS2_PT_PKS3_PKT0_S9_ifPKiSB_iPKfiiiSD_SD_iiiii.has_recursion, or(0, .L_ZN4vllm22paged_attention_kernelIthLi192ELi32ELi128ELNS_18Fp8KVCacheDataTypeE1ELb1ELi512EEEvPfS2_PT_PKS3_PKT0_S9_ifPKiSB_iPKfiiiSD_SD_iiiii.has_recursion)
	.set _ZN4vllm25paged_attention_v2_kernelIthLi192ELi32ELi128ELNS_18Fp8KVCacheDataTypeE1ELb1ELi512EEEvPfS2_PT_PKS3_PKT0_S9_ifPKiSB_iPKfiiiSD_SD_iiiii.has_indirect_call, or(0, .L_ZN4vllm22paged_attention_kernelIthLi192ELi32ELi128ELNS_18Fp8KVCacheDataTypeE1ELb1ELi512EEEvPfS2_PT_PKS3_PKT0_S9_ifPKiSB_iPKfiiiSD_SD_iiiii.has_indirect_call)
	.section	.AMDGPU.csdata,"",@progbits
; Kernel info:
; codeLenInByte = 292
; TotalNumSgprs: 50
; NumVgprs: 128
; ScratchSize: 1008
; MemoryBound: 0
; FloatMode: 240
; IeeeMode: 1
; LDSByteSize: 416 bytes/workgroup (compile time only)
; SGPRBlocks: 0
; VGPRBlocks: 15
; NumSGPRsForWavesPerEU: 50
; NumVGPRsForWavesPerEU: 128
; Occupancy: 8
; WaveLimiterHint : 1
; COMPUTE_PGM_RSRC2:SCRATCH_EN: 1
; COMPUTE_PGM_RSRC2:USER_SGPR: 6
; COMPUTE_PGM_RSRC2:TRAP_HANDLER: 0
; COMPUTE_PGM_RSRC2:TGID_X_EN: 1
; COMPUTE_PGM_RSRC2:TGID_Y_EN: 1
; COMPUTE_PGM_RSRC2:TGID_Z_EN: 1
; COMPUTE_PGM_RSRC2:TIDIG_COMP_CNT: 0
	.text
	.p2align	2                               ; -- Begin function _ZN4vllm22paged_attention_kernelIthLi256ELi32ELi128ELNS_18Fp8KVCacheDataTypeE1ELb1ELi512EEEvPfS2_PT_PKS3_PKT0_S9_ifPKiSB_iPKfiiiSD_SD_iiiii
	.type	_ZN4vllm22paged_attention_kernelIthLi256ELi32ELi128ELNS_18Fp8KVCacheDataTypeE1ELb1ELi512EEEvPfS2_PT_PKS3_PKT0_S9_ifPKiSB_iPKfiiiSD_SD_iiiii,@function
_ZN4vllm22paged_attention_kernelIthLi256ELi32ELi128ELNS_18Fp8KVCacheDataTypeE1ELb1ELi512EEEvPfS2_PT_PKS3_PKT0_S9_ifPKiSB_iPKfiiiSD_SD_iiiii: ; @_ZN4vllm22paged_attention_kernelIthLi256ELi32ELi128ELNS_18Fp8KVCacheDataTypeE1ELb1ELi512EEEvPfS2_PT_PKS3_PKT0_S9_ifPKiSB_iPKfiiiSD_SD_iiiii
; %bb.0:
	s_waitcnt vmcnt(0) expcnt(0) lgkmcnt(0)
	buffer_store_dword v40, off, s[0:3], s32 offset:196 ; 4-byte Folded Spill
	buffer_store_dword v41, off, s[0:3], s32 offset:192 ; 4-byte Folded Spill
	;; [unrolled: 1-line block ×48, first 2 shown]
	s_mov_b32 s18, s13
	s_ashr_i32 s19, s13, 31
	buffer_store_dword v24, off, s[0:3], s32 offset:1268 ; 4-byte Folded Spill
	buffer_store_dword v25, off, s[0:3], s32 offset:1272 ; 4-byte Folded Spill
	;; [unrolled: 1-line block ×4, first 2 shown]
	s_lshl_b64 s[4:5], s[18:19], 2
	v_mov_b32_e32 v25, v0
	v_add_co_u32 v0, vcc_lo, v16, s4
	v_mov_b32_e32 v24, v1
	v_add_co_ci_u32_e64 v1, null, s5, v17, vcc_lo
	buffer_store_dword v5, off, s[0:3], s32 offset:1304 ; 4-byte Folded Spill
	buffer_store_dword v4, off, s[0:3], s32 offset:1308 ; 4-byte Folded Spill
	v_mov_b32_e32 v33, v2
	v_mov_b32_e32 v22, v10
	flat_load_dword v2, v[0:1]
	s_clause 0x1
	buffer_load_dword v0, off, s[0:3], s32 offset:4
	buffer_load_dword v1, off, s[0:3], s32
	v_mov_b32_e32 v32, v3
	s_lshl_b32 s7, s14, 9
	s_mov_b32 s24, exec_lo
	s_waitcnt vmcnt(2) lgkmcnt(0)
	buffer_store_dword v2, off, s[0:3], s32 offset:752 ; 4-byte Folded Spill
	v_cmpx_lt_i32_e64 s7, v2
	s_cbranch_execnz .LBB314_1
; %bb.4211:
	s_getpc_b64 s[30:31]
.Lpost_getpc2:
	s_add_u32 s30, s30, (.LBB314_4210-.Lpost_getpc2)&4294967295
	s_addc_u32 s31, s31, (.LBB314_4210-.Lpost_getpc2)>>32
	s_setpc_b64 s[30:31]
.LBB314_1:
	v_sub_nc_u32_e32 v2, 0, v12
	s_clause 0x1
	s_load_dword s4, s[8:9], 0x10
	s_load_dword s5, s[8:9], 0x0
	s_mov_b32 s10, s15
	v_max_i32_e32 v2, v12, v2
	v_cvt_f32_u32_e32 v3, v2
	v_sub_nc_u32_e32 v4, 0, v2
	v_rcp_iflag_f32_e32 v3, v3
	s_waitcnt lgkmcnt(0)
	s_lshr_b32 s4, s4, 16
	s_cmp_lg_u32 s4, 0
	s_cselect_b32 s4, -1, 0
	v_mul_f32_e32 v3, 0x4f7ffffe, v3
	s_cmp_lg_u32 s4, 0
	s_addc_u32 s15, s5, 0
	s_mov_b32 s5, exec_lo
	v_cvt_u32_f32_e32 v3, v3
	s_abs_i32 s4, s15
	v_mul_lo_u32 v4, v4, v3
	v_mul_hi_u32 v4, v3, v4
	v_add_nc_u32_e32 v3, v3, v4
	v_mul_hi_u32 v3, s4, v3
	v_mul_lo_u32 v4, v3, v2
	v_add_nc_u32_e32 v5, 1, v3
	v_sub_nc_u32_e32 v4, s4, v4
	s_abs_i32 s4, s12
	v_sub_nc_u32_e32 v10, v4, v2
	v_cmp_ge_u32_e32 vcc_lo, v4, v2
	v_cndmask_b32_e32 v3, v3, v5, vcc_lo
	v_cndmask_b32_e32 v4, v4, v10, vcc_lo
	v_xor_b32_e32 v5, s15, v12
	v_add_nc_u32_e32 v10, 1, v3
	v_cmp_ge_u32_e32 vcc_lo, v4, v2
	v_ashrrev_i32_e32 v5, 31, v5
	v_cndmask_b32_e32 v2, v3, v10, vcc_lo
	v_xor_b32_e32 v2, v2, v5
	v_sub_nc_u32_e32 v3, v2, v5
	v_sub_nc_u32_e32 v2, 0, v3
	v_max_i32_e32 v2, v3, v2
	v_cvt_f32_u32_e32 v4, v2
	v_sub_nc_u32_e32 v5, 0, v2
	v_rcp_iflag_f32_e32 v4, v4
	v_mul_f32_e32 v4, 0x4f7ffffe, v4
	v_cvt_u32_f32_e32 v4, v4
	v_mul_lo_u32 v5, v5, v4
	v_mul_hi_u32 v5, v4, v5
	v_add_nc_u32_e32 v4, v4, v5
	v_mad_u64_u32 v[16:17], null, s4, v4, 0
	v_mov_b32_e32 v4, 0
	buffer_store_dword v4, off, s[0:3], s32 offset:1280 ; 4-byte Folded Spill
	v_cmpx_ne_u64_e32 0, v[19:20]
	s_cbranch_execz .LBB314_3
; %bb.2:
	s_ashr_i32 s13, s12, 31
	s_lshl_b64 s[16:17], s[12:13], 2
	v_add_co_u32 v4, vcc_lo, v19, s16
	v_add_co_ci_u32_e64 v5, null, s17, v20, vcc_lo
	flat_load_dword v4, v[4:5]
	s_waitcnt vmcnt(0) lgkmcnt(0)
	buffer_store_dword v4, off, s[0:3], s32 offset:1280 ; 4-byte Folded Spill
.LBB314_3:
	s_or_b32 exec_lo, exec_lo, s5
	v_and_b32_e32 v4, 0x3ff, v31
	v_ashrrev_i32_e32 v3, 31, v3
	s_ashr_i32 s5, s12, 31
	s_lshl_b32 s16, s12, 8
	s_mov_b32 s6, exec_lo
	buffer_store_dword v4, off, s[0:3], s32 offset:1284 ; 4-byte Folded Spill
	v_cmpx_gt_u32_e32 32, v4
	s_cbranch_execz .LBB314_5
; %bb.4:
	buffer_load_dword v10, off, s[0:3], s32 offset:1284 ; 4-byte Folded Reload
	v_mul_lo_u32 v4, v21, s18
	s_ashr_i32 s17, s16, 31
	s_lshl_b64 s[20:21], s[16:17], 1
	v_ashrrev_i32_e32 v5, 31, v4
	v_lshlrev_b64 v[4:5], 1, v[4:5]
	v_add_co_u32 v4, vcc_lo, v6, v4
	v_add_co_ci_u32_e64 v5, null, v7, v5, vcc_lo
	v_add_co_u32 v4, vcc_lo, v4, s20
	v_add_co_ci_u32_e64 v5, null, s21, v5, vcc_lo
	s_waitcnt vmcnt(0)
	v_lshlrev_b32_e32 v10, 4, v10
	v_add_co_u32 v4, vcc_lo, v4, v10
	v_add_co_ci_u32_e64 v5, null, 0, v5, vcc_lo
	flat_load_dwordx4 v[4:7], v[4:5]
	s_waitcnt vmcnt(0) lgkmcnt(0)
	ds_write_b128 v10, v[4:7]
.LBB314_5:
	s_or_b32 exec_lo, exec_lo, s6
	s_waitcnt vmcnt(0)
	v_sub_nc_u32_e32 v4, 0, v1
	v_mul_lo_u32 v5, v17, v2
	v_xor_b32_e32 v3, s5, v3
	v_max_i32_e32 v7, v1, v4
	v_sub_nc_u32_e32 v5, s4, v5
	v_cvt_f32_u32_e32 v4, v7
	buffer_store_dword v7, off, s[0:3], s32 offset:208 ; 4-byte Folded Spill
	s_mov_b32 s4, exec_lo
	v_sub_nc_u32_e32 v10, v5, v2
	v_rcp_iflag_f32_e32 v4, v4
	v_cmp_ge_u32_e32 vcc_lo, v5, v2
	v_cndmask_b32_e32 v5, v5, v10, vcc_lo
	v_mul_f32_e32 v4, 0x4f7ffffe, v4
	v_cvt_u32_f32_e32 v6, v4
	v_sub_nc_u32_e32 v4, 0, v7
	v_add_nc_u32_e32 v7, 1, v17
	v_mul_lo_u32 v13, v4, v6
	buffer_load_dword v4, off, s[0:3], s32 offset:752 ; 4-byte Folded Reload
	v_cndmask_b32_e32 v7, v17, v7, vcc_lo
	v_cmp_ge_u32_e32 vcc_lo, v5, v2
	v_add_nc_u32_e32 v10, 1, v7
	v_mul_hi_u32 v16, v6, v13
	v_cndmask_b32_e32 v5, v7, v10, vcc_lo
	v_add_nc_u32_e32 v6, v6, v16
	v_xor_b32_e32 v5, v5, v3
	buffer_store_dword v6, off, s[0:3], s32 offset:228 ; 4-byte Folded Spill
	s_waitcnt vmcnt(0) lgkmcnt(0)
	s_waitcnt_vscnt null, 0x0
	s_barrier
	buffer_gl0_inv
	v_add_nc_u32_e32 v4, -1, v4
	v_sub_nc_u32_e32 v13, 0, v4
	v_max_i32_e32 v2, v4, v13
	v_mad_u64_u32 v[16:17], null, v2, v6, 0
	v_sub_nc_u32_e32 v16, v5, v3
                                        ; implicit-def: $vgpr3
	buffer_store_dword v3, off, s[0:3], s32 offset:212 ; 4-byte Folded Spill
	buffer_store_dword v4, off, s[0:3], s32 offset:216 ; 4-byte Folded Spill
	v_cmpx_gt_i32_e32 0, v0
	s_xor_b32 s4, exec_lo, s4
	s_cbranch_execz .LBB314_7
; %bb.6:
	v_mad_u64_u32 v[5:6], null, v28, v12, v[16:17]
                                        ; implicit-def: $vgpr28
	v_mul_lo_u32 v0, v5, v0
	v_sub_nc_u32_e32 v0, 1, v0
	buffer_store_dword v0, off, s[0:3], s32 offset:212 ; 4-byte Folded Spill
	buffer_store_dword v1, off, s[0:3], s32 offset:216 ; 4-byte Folded Spill
                                        ; implicit-def: $vgpr0
.LBB314_7:
	s_or_saveexec_b32 s4, s4
	v_ashrrev_i32_e32 v3, 31, v4
	v_ashrrev_i32_e32 v1, 31, v1
	buffer_store_dword v1, off, s[0:3], s32 offset:220 ; 4-byte Folded Spill
	s_xor_b32 exec_lo, exec_lo, s4
	s_cbranch_execz .LBB314_9
; %bb.8:
	v_mad_u64_u32 v[4:5], null, s15, v28, s[12:13]
	v_mad_u64_u32 v[0:1], null, v4, v0, 1
	buffer_store_dword v0, off, s[0:3], s32 offset:212 ; 4-byte Folded Spill
	buffer_store_dword v1, off, s[0:3], s32 offset:216 ; 4-byte Folded Spill
.LBB314_9:
	s_or_b32 exec_lo, exec_lo, s4
	buffer_load_dword v12, off, s[0:3], s32 offset:208 ; 4-byte Folded Reload
	s_clause 0x1
	s_load_dword s19, s[8:9], 0x14
	s_load_dword s13, s[8:9], 0x8
	s_clause 0x2
	buffer_load_dword v1, off, s[0:3], s32 offset:752
	buffer_load_dword v7, off, s[0:3], s32 offset:1284
	;; [unrolled: 1-line block ×3, first 2 shown]
	v_add_nc_u32_e32 v4, 1, v17
	s_lshl_b32 s17, s14, 4
	v_mov_b32_e32 v19, 0xff7fffff
	s_add_i32 s4, s17, 16
	s_waitcnt vmcnt(3)
	v_mul_lo_u32 v0, v17, v12
	s_waitcnt vmcnt(2)
	v_add_nc_u32_e32 v1, 31, v1
	s_waitcnt vmcnt(1)
	v_lshrrev_b32_e32 v10, 5, v7
	s_waitcnt vmcnt(0)
	v_xor_b32_e32 v3, v3, v5
	v_and_b32_e32 v7, 31, v7
	v_ashrrev_i32_e32 v5, 31, v1
	v_sub_nc_u32_e32 v2, v2, v0
	v_mul_lo_u32 v0, v18, s18
	buffer_store_dword v10, off, s[0:3], s32 offset:1300 ; 4-byte Folded Spill
	v_lshlrev_b32_e32 v18, 2, v7
	v_lshrrev_b32_e32 v5, 27, v5
	v_sub_nc_u32_e32 v6, v2, v12
	v_cmp_ge_u32_e32 vcc_lo, v2, v12
	v_add_nc_u32_e32 v1, v1, v5
	v_cndmask_b32_e32 v4, v17, v4, vcc_lo
	v_cndmask_b32_e32 v2, v2, v6, vcc_lo
	v_ashrrev_i32_e32 v13, 5, v1
	v_ashrrev_i32_e32 v1, 31, v0
	v_add_nc_u32_e32 v6, 1, v4
	v_cmp_ge_u32_e32 vcc_lo, v2, v12
	v_mul_lo_u32 v12, v16, v23
	v_sub_nc_u32_e32 v16, 0, v30
	v_lshlrev_b64 v[0:1], 2, v[0:1]
	v_cndmask_b32_e32 v2, v4, v6, vcc_lo
	v_add_nc_u32_e32 v4, s17, v10
	v_min_i32_e32 v6, s4, v13
	v_lshl_add_u32 v10, v10, 5, s7
	v_ashrrev_i32_e32 v17, 31, v12
	v_xor_b32_e32 v2, v2, v3
	v_ashrrev_i32_e32 v5, 31, v4
	buffer_store_dword v0, off, s[0:3], s32 offset:1312 ; 4-byte Folded Spill
	buffer_store_dword v1, off, s[0:3], s32 offset:1316 ; 4-byte Folded Spill
	;; [unrolled: 1-line block ×5, first 2 shown]
	v_sub_nc_u32_e32 v2, v2, v3
	v_sub_nc_u32_e32 v0, v2, v29
	buffer_store_dword v0, off, s[0:3], s32 offset:232 ; 4-byte Folded Spill
	buffer_store_dword v7, off, s[0:3], s32 offset:1264 ; 4-byte Folded Spill
	v_cmp_lt_i32_e64 s4, v4, v6
	s_and_saveexec_b32 s22, s4
	s_cbranch_execz .LBB314_2065
; %bb.10:
	buffer_store_dword v13, off, s[0:3], s32 offset:1364 ; 4-byte Folded Spill
	buffer_store_dword v33, off, s[0:3], s32 offset:1356 ; 4-byte Folded Spill
	;; [unrolled: 1-line block ×10, first 2 shown]
	v_max_i32_e32 v11, v30, v16
	v_add_co_u32 v3, vcc_lo, v8, v12
	buffer_store_dword v12, off, s[0:3], s32 offset:1360 ; 4-byte Folded Spill
	buffer_store_dword v17, off, s[0:3], s32 offset:1372 ; 4-byte Folded Spill
	v_cvt_f32_u32_e32 v0, v11
	v_add_co_ci_u32_e64 v4, null, v9, v17, vcc_lo
	buffer_load_dword v7, off, s[0:3], s32 offset:1264 ; 4-byte Folded Reload
	s_ashr_i32 s11, s10, 31
	v_rcp_iflag_f32_e32 v2, v0
	s_clause 0x3
	buffer_load_dword v0, off, s[0:3], s32 offset:1280
	buffer_load_dword v9, off, s[0:3], s32 offset:200
	;; [unrolled: 1-line block ×4, first 2 shown]
	s_getpc_b64 s[8:9]
	s_add_u32 s8, s8, llvm.amdgcn.dynlds.offset.table@rel32@lo+4
	s_addc_u32 s9, s9, llvm.amdgcn.dynlds.offset.table@rel32@hi+12
	s_lshl_b64 s[20:21], s[10:11], 2
	buffer_store_dword v18, off, s[0:3], s32 offset:1376 ; 4-byte Folded Spill
	s_add_u32 s8, s8, s20
	s_addc_u32 s9, s9, s21
	buffer_store_dword v11, off, s[0:3], s32 offset:820 ; 4-byte Folded Spill
	s_load_dword s11, s[8:9], 0x0
	v_mul_f32_e32 v2, 0x4f7ffffe, v2
	v_mov_b32_e32 v8, 0
	v_mov_b32_e32 v70, 0x80
	;; [unrolled: 1-line block ×3, first 2 shown]
	s_mov_b32 s20, -1
	v_cvt_u32_f32_e32 v2, v2
	s_mov_b32 s23, 0
	s_mov_b32 s21, 0xffffff
	s_waitcnt vmcnt(4)
	v_lshlrev_b32_e32 v5, 4, v7
	s_waitcnt vmcnt(3)
	v_cmp_neq_f32_e32 vcc_lo, 0, v0
	s_waitcnt vmcnt(1)
	v_lshlrev_b64 v[0:1], 2, v[9:10]
	s_waitcnt vmcnt(0)
	v_lshl_add_u32 v45, v6, 5, s7
	v_lshl_or_b32 v17, v6, 7, v18
	buffer_load_dword v6, off, s[0:3], s32 offset:752 ; 4-byte Folded Reload
	v_add_co_u32 v3, s5, v3, v5
	v_add_co_ci_u32_e64 v4, null, 0, v4, s5
	buffer_store_dword v3, off, s[0:3], s32 offset:1288 ; 4-byte Folded Spill
	buffer_store_dword v4, off, s[0:3], s32 offset:1292 ; 4-byte Folded Spill
	s_clause 0x1
	buffer_load_dword v4, off, s[0:3], s32 offset:1312
	buffer_load_dword v5, off, s[0:3], s32 offset:1316
	s_waitcnt vmcnt(2)
	v_sub_nc_u32_e32 v6, v7, v6
	v_sub_nc_u32_e32 v7, 0, v11
	v_mul_lo_u32 v7, v7, v2
	s_waitcnt vmcnt(1)
	v_add_co_u32 v0, s5, v4, v0
	s_waitcnt vmcnt(0)
	v_add_co_ci_u32_e64 v1, null, v5, v1, s5
	v_add_nc_u32_e32 v4, 1, v6
	v_add_co_u32 v28, s5, v14, v0
	v_mul_hi_u32 v3, v2, v7
	v_add_co_ci_u32_e64 v29, null, v15, v1, s5
	v_mov_b32_e32 v1, v9
	buffer_store_dword v4, off, s[0:3], s32 offset:1296 ; 4-byte Folded Spill
	buffer_store_dword v14, off, s[0:3], s32 offset:1328 ; 4-byte Folded Spill
	;; [unrolled: 1-line block ×3, first 2 shown]
	v_add_nc_u32_e32 v0, v2, v3
	buffer_store_dword v0, off, s[0:3], s32 offset:824 ; 4-byte Folded Spill
	s_branch .LBB314_16
.LBB314_11:                             ;   in Loop: Header=BB314_16 Depth=1
	s_or_b32 exec_lo, exec_lo, s28
	v_lshlrev_b32_e32 v7, 8, v7
	v_lshl_add_u32 v24, v32, 10, 0x2000
	v_and_or_b32 v7, 0x8000, v7, v24
	v_lshlrev_b32_e32 v24, 23, v31
	v_lshl_or_b32 v31, v7, 16, v24
.LBB314_12:                             ;   in Loop: Header=BB314_16 Depth=1
	s_or_b32 exec_lo, exec_lo, s27
.LBB314_13:                             ;   in Loop: Header=BB314_16 Depth=1
	s_or_b32 exec_lo, exec_lo, s26
.LBB314_14:                             ;   in Loop: Header=BB314_16 Depth=1
	s_or_b32 exec_lo, exec_lo, s25
	v_or_b32_e32 v4, v91, v4
	v_or_b32_e32 v7, v65, v126
	v_fma_mixlo_f16 v24, v85, v65, 0 op_sel:[0,1,0] op_sel_hi:[0,1,0]
	v_fma_mixlo_f16 v4, v85, v4, 0 op_sel_hi:[0,1,0]
	v_fma_mixlo_f16 v7, v85, v7, 0 op_sel_hi:[0,1,0]
	buffer_store_dword v24, off, s[0:3], s32 offset:852 ; 4-byte Folded Spill
	buffer_store_dword v4, off, s[0:3], s32 offset:952 ; 4-byte Folded Spill
	v_or_b32_e32 v4, v2, v86
	v_fma_mixlo_f16 v2, v85, v2, 0 op_sel:[0,1,0] op_sel_hi:[0,1,0]
	buffer_store_dword v7, off, s[0:3], s32 offset:856 ; 4-byte Folded Spill
	v_or_b32_e32 v7, v12, v62
	v_fma_mixlo_f16 v12, v85, v12, 0 op_sel:[0,1,0] op_sel_hi:[0,1,0]
	buffer_store_dword v2, off, s[0:3], s32 offset:956 ; 4-byte Folded Spill
	v_fma_mixlo_f16 v2, v85, v4, 0 op_sel_hi:[0,1,0]
	v_fma_mixlo_f16 v7, v85, v7, 0 op_sel_hi:[0,1,0]
	buffer_store_dword v12, off, s[0:3], s32 offset:860 ; 4-byte Folded Spill
	v_fma_mixlo_f16 v12, v85, v73, 0 op_sel:[0,1,0] op_sel_hi:[0,1,0]
	v_fma_mixlo_f16 v4, v85, v69, 0 op_sel:[0,1,0] op_sel_hi:[0,1,0]
	buffer_store_dword v2, off, s[0:3], s32 offset:960 ; 4-byte Folded Spill
	v_or_b32_e32 v2, v69, v39
	buffer_store_dword v7, off, s[0:3], s32 offset:864 ; 4-byte Folded Spill
	v_or_b32_e32 v7, v73, v113
	buffer_store_dword v12, off, s[0:3], s32 offset:844 ; 4-byte Folded Spill
	v_fma_mixlo_f16 v12, v85, v59, 0 op_sel:[0,1,0] op_sel_hi:[0,1,0]
	v_fma_mixlo_f16 v2, v85, v2, 0 op_sel_hi:[0,1,0]
	buffer_store_dword v4, off, s[0:3], s32 offset:940 ; 4-byte Folded Spill
	v_fma_mixlo_f16 v7, v85, v7, 0 op_sel_hi:[0,1,0]
	v_fma_mixlo_f16 v4, v85, v11, 0 op_sel:[0,1,0] op_sel_hi:[0,1,0]
	buffer_store_dword v12, off, s[0:3], s32 offset:884 ; 4-byte Folded Spill
	buffer_store_dword v2, off, s[0:3], s32 offset:944 ; 4-byte Folded Spill
	v_or_b32_e32 v2, v75, v72
	buffer_store_dword v7, off, s[0:3], s32 offset:848 ; 4-byte Folded Spill
	v_or_b32_e32 v7, v83, v118
	v_fma_mixlo_f16 v12, v85, v112, 0 op_sel:[0,1,0] op_sel_hi:[0,1,0]
	buffer_store_dword v4, off, s[0:3], s32 offset:980 ; 4-byte Folded Spill
	v_fma_mixlo_f16 v2, v85, v2, 0 op_sel_hi:[0,1,0]
	v_fma_mixlo_f16 v4, v85, v80, 0 op_sel:[0,1,0] op_sel_hi:[0,1,0]
	v_fma_mixlo_f16 v7, v85, v7, 0 op_sel_hi:[0,1,0]
	buffer_store_dword v12, off, s[0:3], s32 offset:892 ; 4-byte Folded Spill
	v_fma_mixlo_f16 v12, v85, v56, 0 op_sel:[0,1,0] op_sel_hi:[0,1,0]
	buffer_store_dword v2, off, s[0:3], s32 offset:936 ; 4-byte Folded Spill
	v_fma_mixlo_f16 v2, v85, v75, 0 op_sel:[0,1,0] op_sel_hi:[0,1,0]
	;; [unrolled: 2-line block ×4, first 2 shown]
	buffer_store_dword v2, off, s[0:3], s32 offset:932 ; 4-byte Folded Spill
	v_or_b32_e32 v2, v11, v18
	buffer_store_dword v7, off, s[0:3], s32 offset:836 ; 4-byte Folded Spill
	v_or_b32_e32 v7, v59, v84
	buffer_store_dword v12, off, s[0:3], s32 offset:916 ; 4-byte Folded Spill
	v_fma_mixlo_f16 v12, v85, v105, 0 op_sel:[0,1,0] op_sel_hi:[0,1,0]
	v_fma_mixlo_f16 v2, v85, v2, 0 op_sel_hi:[0,1,0]
	buffer_store_dword v4, off, s[0:3], s32 offset:988 ; 4-byte Folded Spill
	v_fma_mixlo_f16 v7, v85, v7, 0 op_sel_hi:[0,1,0]
	buffer_store_dword v12, off, s[0:3], s32 offset:924 ; 4-byte Folded Spill
	buffer_store_dword v2, off, s[0:3], s32 offset:984 ; 4-byte Folded Spill
	v_or_b32_e32 v2, v80, v48
	buffer_store_dword v7, off, s[0:3], s32 offset:888 ; 4-byte Folded Spill
	v_or_b32_e32 v7, v112, v89
	v_fma_mixlo_f16 v12, v85, v50, 0 op_sel:[0,1,0] op_sel_hi:[0,1,0]
	v_fma_mixlo_f16 v2, v85, v2, 0 op_sel_hi:[0,1,0]
	v_fma_mixlo_f16 v7, v85, v7, 0 op_sel_hi:[0,1,0]
	buffer_store_dword v12, off, s[0:3], s32 offset:908 ; 4-byte Folded Spill
	buffer_store_dword v2, off, s[0:3], s32 offset:992 ; 4-byte Folded Spill
	v_or_b32_e32 v2, v1, v78
	v_fma_mixlo_f16 v1, v85, v1, 0 op_sel:[0,1,0] op_sel_hi:[0,1,0]
	buffer_store_dword v7, off, s[0:3], s32 offset:896 ; 4-byte Folded Spill
	v_or_b32_e32 v7, v56, v116
	buffer_store_dword v1, off, s[0:3], s32 offset:972 ; 4-byte Folded Spill
	v_fma_mixlo_f16 v1, v85, v2, 0 op_sel_hi:[0,1,0]
	v_fma_mixlo_f16 v7, v85, v7, 0 op_sel_hi:[0,1,0]
	buffer_store_dword v1, off, s[0:3], s32 offset:976 ; 4-byte Folded Spill
	v_or_b32_e32 v1, v0, v38
	v_fma_mixlo_f16 v0, v85, v0, 0 op_sel:[0,1,0] op_sel_hi:[0,1,0]
	buffer_store_dword v7, off, s[0:3], s32 offset:880 ; 4-byte Folded Spill
	v_or_b32_e32 v7, v17, v57
	v_fma_mixlo_f16 v1, v85, v1, 0 op_sel_hi:[0,1,0]
	buffer_store_dword v0, off, s[0:3], s32 offset:964 ; 4-byte Folded Spill
	v_or_b32_e32 v0, v46, v88
	v_fma_mixlo_f16 v7, v85, v7, 0 op_sel_hi:[0,1,0]
	buffer_store_dword v1, off, s[0:3], s32 offset:968 ; 4-byte Folded Spill
	v_fma_mixlo_f16 v1, v85, v46, 0 op_sel:[0,1,0] op_sel_hi:[0,1,0]
	v_fma_mixlo_f16 v0, v85, v0, 0 op_sel_hi:[0,1,0]
	buffer_store_dword v7, off, s[0:3], s32 offset:872 ; 4-byte Folded Spill
	v_fma_mixlo_f16 v7, v85, v17, 0 op_sel:[0,1,0] op_sel_hi:[0,1,0]
	buffer_store_dword v1, off, s[0:3], s32 offset:1012 ; 4-byte Folded Spill
	buffer_store_dword v0, off, s[0:3], s32 offset:1016 ; 4-byte Folded Spill
	v_or_b32_e32 v0, v99, v127
	v_fma_mixlo_f16 v1, v85, v99, 0 op_sel:[0,1,0] op_sel_hi:[0,1,0]
	buffer_store_dword v7, off, s[0:3], s32 offset:868 ; 4-byte Folded Spill
	v_or_b32_e32 v7, v64, v101
	v_fma_mixlo_f16 v0, v85, v0, 0 op_sel_hi:[0,1,0]
	buffer_store_dword v1, off, s[0:3], s32 offset:1020 ; 4-byte Folded Spill
	v_fma_mixlo_f16 v1, v85, v96, 0 op_sel:[0,1,0] op_sel_hi:[0,1,0]
	v_fma_mixlo_f16 v7, v85, v7, 0 op_sel_hi:[0,1,0]
	buffer_store_dword v0, off, s[0:3], s32 offset:1024 ; 4-byte Folded Spill
	v_or_b32_e32 v0, v96, v43
	buffer_store_dword v1, off, s[0:3], s32 offset:1004 ; 4-byte Folded Spill
	v_fma_mixlo_f16 v1, v85, v124, 0 op_sel:[0,1,0] op_sel_hi:[0,1,0]
	buffer_store_dword v7, off, s[0:3], s32 offset:920 ; 4-byte Folded Spill
	v_or_b32_e32 v7, v105, v23
	v_fma_mixlo_f16 v0, v85, v0, 0 op_sel_hi:[0,1,0]
	buffer_store_dword v1, off, s[0:3], s32 offset:1044 ; 4-byte Folded Spill
	v_fma_mixlo_f16 v1, v85, v115, 0 op_sel:[0,1,0] op_sel_hi:[0,1,0]
	v_fma_mixlo_f16 v7, v85, v7, 0 op_sel_hi:[0,1,0]
	buffer_store_dword v0, off, s[0:3], s32 offset:1008 ; 4-byte Folded Spill
	v_or_b32_e32 v0, v30, v66
	buffer_store_dword v1, off, s[0:3], s32 offset:1052 ; 4-byte Folded Spill
	v_fma_mixlo_f16 v1, v85, v97, 0 op_sel:[0,1,0] op_sel_hi:[0,1,0]
	buffer_store_dword v7, off, s[0:3], s32 offset:928 ; 4-byte Folded Spill
	v_fma_mixlo_f16 v0, v85, v0, 0 op_sel_hi:[0,1,0]
	v_or_b32_e32 v7, v50, v119
	buffer_store_dword v1, off, s[0:3], s32 offset:1036 ; 4-byte Folded Spill
	v_fma_mixlo_f16 v1, v85, v108, 0 op_sel:[0,1,0] op_sel_hi:[0,1,0]
	buffer_store_dword v0, off, s[0:3], s32 offset:1000 ; 4-byte Folded Spill
	v_fma_mixlo_f16 v0, v85, v30, 0 op_sel:[0,1,0] op_sel_hi:[0,1,0]
	v_fma_mixlo_f16 v7, v85, v7, 0 op_sel_hi:[0,1,0]
	buffer_store_dword v1, off, s[0:3], s32 offset:1076 ; 4-byte Folded Spill
	v_fma_mixlo_f16 v1, v85, v36, 0 op_sel:[0,1,0] op_sel_hi:[0,1,0]
	buffer_store_dword v0, off, s[0:3], s32 offset:996 ; 4-byte Folded Spill
	v_or_b32_e32 v0, v124, v122
	buffer_store_dword v7, off, s[0:3], s32 offset:912 ; 4-byte Folded Spill
	v_or_b32_e32 v7, v41, v67
	buffer_store_dword v1, off, s[0:3], s32 offset:1084 ; 4-byte Folded Spill
	v_fma_mixlo_f16 v1, v85, v109, 0 op_sel:[0,1,0] op_sel_hi:[0,1,0]
	v_fma_mixlo_f16 v0, v85, v0, 0 op_sel_hi:[0,1,0]
	v_fma_mixlo_f16 v7, v85, v7, 0 op_sel_hi:[0,1,0]
	buffer_store_dword v1, off, s[0:3], s32 offset:1068 ; 4-byte Folded Spill
	buffer_store_dword v0, off, s[0:3], s32 offset:1048 ; 4-byte Folded Spill
	v_or_b32_e32 v0, v115, v111
	v_fma_mixlo_f16 v1, v85, v93, 0 op_sel:[0,1,0] op_sel_hi:[0,1,0]
	buffer_store_dword v7, off, s[0:3], s32 offset:904 ; 4-byte Folded Spill
	v_fma_mixlo_f16 v7, v85, v41, 0 op_sel:[0,1,0] op_sel_hi:[0,1,0]
	v_fma_mixlo_f16 v0, v85, v0, 0 op_sel_hi:[0,1,0]
	buffer_store_dword v1, off, s[0:3], s32 offset:1108 ; 4-byte Folded Spill
	v_fma_mixlo_f16 v1, v85, v90, 0 op_sel:[0,1,0] op_sel_hi:[0,1,0]
	buffer_store_dword v7, off, s[0:3], s32 offset:900 ; 4-byte Folded Spill
	v_fma_mixlo_f16 v7, v85, v91, 0 op_sel:[0,1,0] op_sel_hi:[0,1,0]
	buffer_store_dword v0, off, s[0:3], s32 offset:1056 ; 4-byte Folded Spill
	v_or_b32_e32 v0, v97, v16
	buffer_store_dword v1, off, s[0:3], s32 offset:1116 ; 4-byte Folded Spill
	v_fma_mixlo_f16 v1, v85, v95, 0 op_sel:[0,1,0] op_sel_hi:[0,1,0]
	buffer_store_dword v7, off, s[0:3], s32 offset:948 ; 4-byte Folded Spill
	v_fma_mixlo_f16 v0, v85, v0, 0 op_sel_hi:[0,1,0]
	buffer_store_dword v1, off, s[0:3], s32 offset:1100 ; 4-byte Folded Spill
	v_fma_mixlo_f16 v1, v85, v79, 0 op_sel:[0,1,0] op_sel_hi:[0,1,0]
	buffer_store_dword v0, off, s[0:3], s32 offset:1040 ; 4-byte Folded Spill
	v_or_b32_e32 v0, v125, v49
	buffer_store_dword v1, off, s[0:3], s32 offset:1140 ; 4-byte Folded Spill
	v_fma_mixlo_f16 v1, v85, v74, 0 op_sel:[0,1,0] op_sel_hi:[0,1,0]
	v_fma_mixlo_f16 v0, v85, v0, 0 op_sel_hi:[0,1,0]
	buffer_store_dword v1, off, s[0:3], s32 offset:1148 ; 4-byte Folded Spill
	v_fma_mixlo_f16 v1, v85, v104, 0 op_sel:[0,1,0] op_sel_hi:[0,1,0]
	buffer_store_dword v0, off, s[0:3], s32 offset:1032 ; 4-byte Folded Spill
	v_fma_mixlo_f16 v0, v85, v125, 0 op_sel:[0,1,0] op_sel_hi:[0,1,0]
	;; [unrolled: 2-line block ×3, first 2 shown]
	buffer_store_dword v0, off, s[0:3], s32 offset:1028 ; 4-byte Folded Spill
	v_or_b32_e32 v0, v108, v106
	buffer_store_dword v1, off, s[0:3], s32 offset:1168 ; 4-byte Folded Spill
	v_fma_mixlo_f16 v1, v85, v10, 0 op_sel:[0,1,0] op_sel_hi:[0,1,0]
	v_fma_mixlo_f16 v0, v85, v0, 0 op_sel_hi:[0,1,0]
	buffer_store_dword v1, off, s[0:3], s32 offset:1176 ; 4-byte Folded Spill
	buffer_store_dword v0, off, s[0:3], s32 offset:1080 ; 4-byte Folded Spill
	v_or_b32_e32 v0, v36, v40
	v_fma_mixlo_f16 v1, v85, v58, 0 op_sel:[0,1,0] op_sel_hi:[0,1,0]
	v_fma_mixlo_f16 v0, v85, v0, 0 op_sel_hi:[0,1,0]
	buffer_store_dword v1, off, s[0:3], s32 offset:1160 ; 4-byte Folded Spill
	v_fma_mixlo_f16 v1, v85, v102, 0 op_sel:[0,1,0] op_sel_hi:[0,1,0]
	buffer_store_dword v0, off, s[0:3], s32 offset:1088 ; 4-byte Folded Spill
	v_or_b32_e32 v0, v109, v53
	buffer_store_dword v1, off, s[0:3], s32 offset:1188 ; 4-byte Folded Spill
	v_fma_mixlo_f16 v1, v85, v92, 0 op_sel:[0,1,0] op_sel_hi:[0,1,0]
	v_fma_mixlo_f16 v0, v85, v0, 0 op_sel_hi:[0,1,0]
	buffer_store_dword v1, off, s[0:3], s32 offset:1196 ; 4-byte Folded Spill
	v_fma_mixlo_f16 v1, v85, v44, 0 op_sel:[0,1,0] op_sel_hi:[0,1,0]
	buffer_store_dword v0, off, s[0:3], s32 offset:1072 ; 4-byte Folded Spill
	v_or_b32_e32 v0, v81, v71
	v_fma_mixlo_f16 v0, v85, v0, 0 op_sel_hi:[0,1,0]
	buffer_store_dword v0, off, s[0:3], s32 offset:1064 ; 4-byte Folded Spill
	v_fma_mixlo_f16 v0, v85, v81, 0 op_sel:[0,1,0] op_sel_hi:[0,1,0]
	buffer_store_dword v0, off, s[0:3], s32 offset:1060 ; 4-byte Folded Spill
	v_or_b32_e32 v0, v93, v42
	v_fma_mixlo_f16 v0, v85, v0, 0 op_sel_hi:[0,1,0]
	buffer_store_dword v0, off, s[0:3], s32 offset:1112 ; 4-byte Folded Spill
	v_or_b32_e32 v0, v90, v94
	v_fma_mixlo_f16 v0, v85, v0, 0 op_sel_hi:[0,1,0]
	buffer_store_dword v0, off, s[0:3], s32 offset:1120 ; 4-byte Folded Spill
	v_or_b32_e32 v0, v95, v5
	v_fma_mixlo_f16 v5, v85, v54, 0 op_sel:[0,1,0] op_sel_hi:[0,1,0]
	v_fma_mixlo_f16 v0, v85, v0, 0 op_sel_hi:[0,1,0]
	buffer_store_dword v0, off, s[0:3], s32 offset:1104 ; 4-byte Folded Spill
	v_or_b32_e32 v0, v35, v121
	v_fma_mixlo_f16 v0, v85, v0, 0 op_sel_hi:[0,1,0]
	buffer_store_dword v0, off, s[0:3], s32 offset:1096 ; 4-byte Folded Spill
	v_fma_mixlo_f16 v0, v85, v35, 0 op_sel:[0,1,0] op_sel_hi:[0,1,0]
	buffer_store_dword v0, off, s[0:3], s32 offset:1092 ; 4-byte Folded Spill
	v_or_b32_e32 v0, v79, v123
	v_fma_mixlo_f16 v0, v85, v0, 0 op_sel_hi:[0,1,0]
	buffer_store_dword v0, off, s[0:3], s32 offset:1144 ; 4-byte Folded Spill
	v_or_b32_e32 v0, v74, v120
	v_fma_mixlo_f16 v0, v85, v0, 0 op_sel_hi:[0,1,0]
	;; [unrolled: 3-line block ×4, first 2 shown]
	buffer_store_dword v0, off, s[0:3], s32 offset:1128 ; 4-byte Folded Spill
	v_fma_mixlo_f16 v0, v85, v22, 0 op_sel:[0,1,0] op_sel_hi:[0,1,0]
	buffer_store_dword v0, off, s[0:3], s32 offset:1124 ; 4-byte Folded Spill
	v_or_b32_e32 v0, v103, v100
	v_fma_mixlo_f16 v0, v85, v0, 0 op_sel_hi:[0,1,0]
	buffer_store_dword v0, off, s[0:3], s32 offset:1172 ; 4-byte Folded Spill
	buffer_load_dword v0, off, s[0:3], s32 offset:748 ; 4-byte Folded Reload
	s_waitcnt vmcnt(0)
	v_or_b32_e32 v0, v10, v0
	v_fma_mixlo_f16 v0, v85, v0, 0 op_sel_hi:[0,1,0]
	buffer_store_dword v0, off, s[0:3], s32 offset:1180 ; 4-byte Folded Spill
	v_or_b32_e32 v0, v58, v87
	v_fma_mixlo_f16 v0, v85, v0, 0 op_sel_hi:[0,1,0]
	buffer_store_dword v0, off, s[0:3], s32 offset:1164 ; 4-byte Folded Spill
	;; [unrolled: 3-line block ×3, first 2 shown]
	v_fma_mixlo_f16 v0, v85, v47, 0 op_sel:[0,1,0] op_sel_hi:[0,1,0]
	buffer_store_dword v0, off, s[0:3], s32 offset:748 ; 4-byte Folded Spill
	buffer_load_dword v0, off, s[0:3], s32 offset:736 ; 4-byte Folded Reload
	s_waitcnt vmcnt(0)
	v_or_b32_e32 v0, v102, v0
	v_fma_mixlo_f16 v0, v85, v0, 0 op_sel_hi:[0,1,0]
	buffer_store_dword v0, off, s[0:3], s32 offset:1192 ; 4-byte Folded Spill
	buffer_load_dword v0, off, s[0:3], s32 offset:732 ; 4-byte Folded Reload
	s_waitcnt vmcnt(0)
	v_or_b32_e32 v0, v92, v0
	v_fma_mixlo_f16 v0, v85, v0, 0 op_sel_hi:[0,1,0]
	buffer_store_dword v0, off, s[0:3], s32 offset:1200 ; 4-byte Folded Spill
	buffer_load_dword v0, off, s[0:3], s32 offset:740 ; 4-byte Folded Reload
	buffer_store_dword v1, off, s[0:3], s32 offset:740 ; 4-byte Folded Spill
	v_fma_mixlo_f16 v1, v85, v20, 0 op_sel:[0,1,0] op_sel_hi:[0,1,0]
	buffer_store_dword v1, off, s[0:3], s32 offset:1204 ; 4-byte Folded Spill
	v_fma_mixlo_f16 v1, v85, v15, 0 op_sel:[0,1,0] op_sel_hi:[0,1,0]
	buffer_store_dword v1, off, s[0:3], s32 offset:1212 ; 4-byte Folded Spill
	v_fma_mixlo_f16 v1, v85, v51, 0 op_sel:[0,1,0] op_sel_hi:[0,1,0]
	s_waitcnt vmcnt(0)
	v_or_b32_e32 v0, v44, v0
	v_fma_mixlo_f16 v0, v85, v0, 0 op_sel_hi:[0,1,0]
	buffer_store_dword v0, off, s[0:3], s32 offset:1184 ; 4-byte Folded Spill
	buffer_load_dword v0, off, s[0:3], s32 offset:744 ; 4-byte Folded Reload
	s_waitcnt vmcnt(0)
	v_or_b32_e32 v0, v6, v0
	v_fma_mixlo_f16 v0, v85, v0, 0 op_sel_hi:[0,1,0]
	buffer_store_dword v0, off, s[0:3], s32 offset:736 ; 4-byte Folded Spill
	v_fma_mixlo_f16 v0, v85, v6, 0 op_sel:[0,1,0] op_sel_hi:[0,1,0]
	buffer_store_dword v0, off, s[0:3], s32 offset:732 ; 4-byte Folded Spill
	buffer_load_dword v0, off, s[0:3], s32 offset:720 ; 4-byte Folded Reload
	s_waitcnt vmcnt(0)
	v_or_b32_e32 v0, v20, v0
	v_fma_mixlo_f16 v0, v85, v0, 0 op_sel_hi:[0,1,0]
	buffer_store_dword v0, off, s[0:3], s32 offset:1208 ; 4-byte Folded Spill
	buffer_load_dword v0, off, s[0:3], s32 offset:716 ; 4-byte Folded Reload
	s_waitcnt vmcnt(0)
	v_or_b32_e32 v0, v15, v0
	v_fma_mixlo_f16 v0, v85, v0, 0 op_sel_hi:[0,1,0]
	buffer_store_dword v0, off, s[0:3], s32 offset:1216 ; 4-byte Folded Spill
	buffer_load_dword v0, off, s[0:3], s32 offset:724 ; 4-byte Folded Reload
	buffer_store_dword v1, off, s[0:3], s32 offset:724 ; 4-byte Folded Spill
	v_fma_mixlo_f16 v1, v85, v76, 0 op_sel:[0,1,0] op_sel_hi:[0,1,0]
	buffer_store_dword v1, off, s[0:3], s32 offset:1220 ; 4-byte Folded Spill
	v_fma_mixlo_f16 v1, v85, v60, 0 op_sel:[0,1,0] op_sel_hi:[0,1,0]
	buffer_store_dword v1, off, s[0:3], s32 offset:1228 ; 4-byte Folded Spill
	v_fma_mixlo_f16 v1, v85, v117, 0 op_sel:[0,1,0] op_sel_hi:[0,1,0]
	s_waitcnt vmcnt(0)
	v_or_b32_e32 v0, v51, v0
	v_fma_mixlo_f16 v0, v85, v0, 0 op_sel_hi:[0,1,0]
	buffer_store_dword v0, off, s[0:3], s32 offset:744 ; 4-byte Folded Spill
	buffer_load_dword v0, off, s[0:3], s32 offset:728 ; 4-byte Folded Reload
	s_waitcnt vmcnt(0)
	v_or_b32_e32 v0, v52, v0
	v_fma_mixlo_f16 v0, v85, v0, 0 op_sel_hi:[0,1,0]
	buffer_store_dword v0, off, s[0:3], s32 offset:720 ; 4-byte Folded Spill
	;; [unrolled: 28-line block ×3, first 2 shown]
	v_fma_mixlo_f16 v0, v85, v77, 0 op_sel:[0,1,0] op_sel_hi:[0,1,0]
	buffer_store_dword v0, off, s[0:3], s32 offset:700 ; 4-byte Folded Spill
	buffer_load_dword v0, off, s[0:3], s32 offset:688 ; 4-byte Folded Reload
	s_waitcnt vmcnt(0)
	v_or_b32_e32 v0, v98, v0
	v_fma_mixlo_f16 v0, v85, v0, 0 op_sel_hi:[0,1,0]
	buffer_store_dword v0, off, s[0:3], s32 offset:1240 ; 4-byte Folded Spill
	buffer_load_dword v0, off, s[0:3], s32 offset:684 ; 4-byte Folded Reload
	s_waitcnt vmcnt(0)
	v_or_b32_e32 v0, v37, v0
	v_fma_mixlo_f16 v0, v85, v0, 0 op_sel_hi:[0,1,0]
	buffer_store_dword v0, off, s[0:3], s32 offset:1248 ; 4-byte Folded Spill
	buffer_load_dword v0, off, s[0:3], s32 offset:692 ; 4-byte Folded Reload
	buffer_store_dword v1, off, s[0:3], s32 offset:692 ; 4-byte Folded Spill
	s_waitcnt vmcnt(0)
	v_or_b32_e32 v0, v107, v0
	v_fma_mixlo_f16 v0, v85, v0, 0 op_sel_hi:[0,1,0]
	buffer_store_dword v0, off, s[0:3], s32 offset:712 ; 4-byte Folded Spill
	buffer_load_dword v0, off, s[0:3], s32 offset:696 ; 4-byte Folded Reload
	s_waitcnt vmcnt(0)
	v_or_b32_e32 v0, v63, v0
	v_fma_mixlo_f16 v0, v85, v0, 0 op_sel_hi:[0,1,0]
	buffer_store_dword v0, off, s[0:3], s32 offset:688 ; 4-byte Folded Spill
	v_fma_mixlo_f16 v0, v85, v63, 0 op_sel:[0,1,0] op_sel_hi:[0,1,0]
	buffer_store_dword v0, off, s[0:3], s32 offset:684 ; 4-byte Folded Spill
	s_clause 0x1
	buffer_load_dword v0, off, s[0:3], s32 offset:664
	buffer_load_dword v1, off, s[0:3], s32 offset:672
	s_waitcnt vmcnt(0)
	v_or_b32_e32 v0, v1, v0
	v_fma_mixlo_f16 v1, v85, v1, 0 op_sel:[0,1,0] op_sel_hi:[0,1,0]
	v_fma_mixlo_f16 v0, v85, v0, 0 op_sel_hi:[0,1,0]
	buffer_store_dword v1, off, s[0:3], s32 offset:672 ; 4-byte Folded Spill
	buffer_store_dword v0, off, s[0:3], s32 offset:696 ; 4-byte Folded Spill
	s_clause 0x1
	buffer_load_dword v0, off, s[0:3], s32 offset:656
	buffer_load_dword v1, off, s[0:3], s32 offset:660
	s_waitcnt vmcnt(0)
	v_or_b32_e32 v0, v1, v0
	v_fma_mixlo_f16 v1, v85, v1, 0 op_sel:[0,1,0] op_sel_hi:[0,1,0]
	v_fma_mixlo_f16 v0, v85, v0, 0 op_sel_hi:[0,1,0]
	buffer_store_dword v1, off, s[0:3], s32 offset:1252 ; 4-byte Folded Spill
	;; [unrolled: 9-line block ×3, first 2 shown]
	buffer_store_dword v0, off, s[0:3], s32 offset:668 ; 4-byte Folded Spill
	buffer_load_dword v0, off, s[0:3], s32 offset:676 ; 4-byte Folded Reload
	s_waitcnt vmcnt(0)
	v_or_b32_e32 v0, v3, v0
	v_fma_mixlo_f16 v0, v85, v0, 0 op_sel_hi:[0,1,0]
	buffer_store_dword v0, off, s[0:3], s32 offset:660 ; 4-byte Folded Spill
	v_fma_mixlo_f16 v0, v85, v3, 0 op_sel:[0,1,0] op_sel_hi:[0,1,0]
	buffer_store_dword v0, off, s[0:3], s32 offset:656 ; 4-byte Folded Spill
	s_clause 0x1
	buffer_load_dword v0, off, s[0:3], s32 offset:636
	buffer_load_dword v1, off, s[0:3], s32 offset:644
	s_waitcnt vmcnt(0)
	v_or_b32_e32 v0, v1, v0
	v_fma_mixlo_f16 v1, v85, v1, 0 op_sel:[0,1,0] op_sel_hi:[0,1,0]
	v_fma_mixlo_f16 v0, v85, v0, 0 op_sel_hi:[0,1,0]
	buffer_store_dword v1, off, s[0:3], s32 offset:644 ; 4-byte Folded Spill
	buffer_store_dword v0, off, s[0:3], s32 offset:676 ; 4-byte Folded Spill
	s_clause 0x1
	buffer_load_dword v0, off, s[0:3], s32 offset:628
	buffer_load_dword v1, off, s[0:3], s32 offset:632
	s_waitcnt vmcnt(0)
	v_or_b32_e32 v0, v1, v0
	v_fma_mixlo_f16 v1, v85, v1, 0 op_sel:[0,1,0] op_sel_hi:[0,1,0]
	v_fma_mixlo_f16 v0, v85, v0, 0 op_sel_hi:[0,1,0]
	buffer_store_dword v1, off, s[0:3], s32 offset:680 ; 4-byte Folded Spill
	;; [unrolled: 9-line block ×3, first 2 shown]
	buffer_store_dword v0, off, s[0:3], s32 offset:640 ; 4-byte Folded Spill
	s_clause 0x1
	buffer_load_dword v0, off, s[0:3], s32 offset:648
	buffer_load_dword v1, off, s[0:3], s32 offset:812
	s_waitcnt vmcnt(0)
	v_or_b32_e32 v0, v1, v0
	v_fma_mixlo_f16 v0, v85, v0, 0 op_sel_hi:[0,1,0]
	buffer_store_dword v0, off, s[0:3], s32 offset:632 ; 4-byte Folded Spill
	v_fma_mixlo_f16 v0, v85, v1, 0 op_sel:[0,1,0] op_sel_hi:[0,1,0]
	buffer_store_dword v0, off, s[0:3], s32 offset:628 ; 4-byte Folded Spill
	s_clause 0x1
	buffer_load_dword v0, off, s[0:3], s32 offset:608
	buffer_load_dword v1, off, s[0:3], s32 offset:616
	s_waitcnt vmcnt(0)
	v_or_b32_e32 v0, v1, v0
	v_fma_mixlo_f16 v1, v85, v1, 0 op_sel:[0,1,0] op_sel_hi:[0,1,0]
	v_fma_mixlo_f16 v0, v85, v0, 0 op_sel_hi:[0,1,0]
	buffer_store_dword v1, off, s[0:3], s32 offset:616 ; 4-byte Folded Spill
	buffer_store_dword v0, off, s[0:3], s32 offset:648 ; 4-byte Folded Spill
	s_clause 0x1
	buffer_load_dword v0, off, s[0:3], s32 offset:600
	buffer_load_dword v1, off, s[0:3], s32 offset:604
	s_waitcnt vmcnt(0)
	v_or_b32_e32 v0, v1, v0
	v_fma_mixlo_f16 v1, v85, v1, 0 op_sel:[0,1,0] op_sel_hi:[0,1,0]
	v_fma_mixlo_f16 v122, v85, v0, 0 op_sel_hi:[0,1,0]
	buffer_store_dword v1, off, s[0:3], s32 offset:652 ; 4-byte Folded Spill
	s_clause 0x1
	buffer_load_dword v0, off, s[0:3], s32 offset:612
	buffer_load_dword v1, off, s[0:3], s32 offset:624
	s_waitcnt vmcnt(0)
	v_or_b32_e32 v0, v1, v0
	v_fma_mixlo_f16 v1, v85, v1, 0 op_sel:[0,1,0] op_sel_hi:[0,1,0]
	v_fma_mixlo_f16 v0, v85, v0, 0 op_sel_hi:[0,1,0]
	buffer_store_dword v1, off, s[0:3], s32 offset:608 ; 4-byte Folded Spill
	buffer_store_dword v0, off, s[0:3], s32 offset:612 ; 4-byte Folded Spill
	s_clause 0x1
	buffer_load_dword v0, off, s[0:3], s32 offset:620
	buffer_load_dword v1, off, s[0:3], s32 offset:808
	s_waitcnt vmcnt(0)
	v_or_b32_e32 v0, v1, v0
	v_fma_mixlo_f16 v0, v85, v0, 0 op_sel_hi:[0,1,0]
	buffer_store_dword v0, off, s[0:3], s32 offset:604 ; 4-byte Folded Spill
	v_fma_mixlo_f16 v0, v85, v1, 0 op_sel:[0,1,0] op_sel_hi:[0,1,0]
	buffer_store_dword v0, off, s[0:3], s32 offset:600 ; 4-byte Folded Spill
	s_clause 0x1
	buffer_load_dword v0, off, s[0:3], s32 offset:580
	buffer_load_dword v1, off, s[0:3], s32 offset:588
	s_waitcnt vmcnt(0)
	v_or_b32_e32 v0, v1, v0
	v_fma_mixlo_f16 v47, v85, v1, 0 op_sel:[0,1,0] op_sel_hi:[0,1,0]
	v_fma_mixlo_f16 v46, v85, v0, 0 op_sel_hi:[0,1,0]
	s_clause 0x1
	buffer_load_dword v0, off, s[0:3], s32 offset:572
	buffer_load_dword v1, off, s[0:3], s32 offset:576
	s_waitcnt vmcnt(0)
	v_or_b32_e32 v0, v1, v0
	v_fma_mixlo_f16 v43, v85, v1, 0 op_sel:[0,1,0] op_sel_hi:[0,1,0]
	v_fma_mixlo_f16 v0, v85, v0, 0 op_sel_hi:[0,1,0]
	buffer_store_dword v0, off, s[0:3], s32 offset:572 ; 4-byte Folded Spill
	s_clause 0x1
	buffer_load_dword v0, off, s[0:3], s32 offset:584
	buffer_load_dword v1, off, s[0:3], s32 offset:596
	s_waitcnt vmcnt(0)
	v_or_b32_e32 v0, v1, v0
	v_fma_mixlo_f16 v74, v85, v1, 0 op_sel:[0,1,0] op_sel_hi:[0,1,0]
	v_fma_mixlo_f16 v58, v85, v0, 0 op_sel_hi:[0,1,0]
	s_clause 0x1
	buffer_load_dword v0, off, s[0:3], s32 offset:592
	buffer_load_dword v1, off, s[0:3], s32 offset:804
	s_waitcnt vmcnt(0)
	v_or_b32_e32 v0, v1, v0
	v_fma_mixlo_f16 v104, v85, v1, 0 op_sel:[0,1,0] op_sel_hi:[0,1,0]
	v_fma_mixlo_f16 v79, v85, v0, 0 op_sel_hi:[0,1,0]
	;; [unrolled: 7-line block ×3, first 2 shown]
	buffer_store_dword v1, off, s[0:3], s32 offset:552 ; 4-byte Folded Spill
	buffer_store_dword v0, off, s[0:3], s32 offset:560 ; 4-byte Folded Spill
	s_clause 0x1
	buffer_load_dword v0, off, s[0:3], s32 offset:544
	buffer_load_dword v1, off, s[0:3], s32 offset:548
	s_waitcnt vmcnt(0)
	v_or_b32_e32 v0, v1, v0
	v_fma_mixlo_f16 v106, v85, v1, 0 op_sel:[0,1,0] op_sel_hi:[0,1,0]
	v_fma_mixlo_f16 v108, v85, v0, 0 op_sel_hi:[0,1,0]
	s_clause 0x1
	buffer_load_dword v0, off, s[0:3], s32 offset:556
	buffer_load_dword v1, off, s[0:3], s32 offset:568
	s_waitcnt vmcnt(0)
	v_or_b32_e32 v0, v1, v0
	v_fma_mixlo_f16 v103, v85, v1, 0 op_sel:[0,1,0] op_sel_hi:[0,1,0]
	v_fma_mixlo_f16 v81, v85, v0, 0 op_sel_hi:[0,1,0]
	;; [unrolled: 7-line block ×27, first 2 shown]
	s_clause 0x1
	buffer_load_dword v0, off, s[0:3], s32 offset:356
	buffer_load_dword v1, off, s[0:3], s32 offset:364
	s_waitcnt vmcnt(0)
	v_or_b32_e32 v0, v1, v0
	v_fma_mixlo_f16 v107, v85, v1, 0 op_sel:[0,1,0] op_sel_hi:[0,1,0]
	buffer_load_dword v1, off, s[0:3], s32 offset:352 ; 4-byte Folded Reload
	v_fma_mixlo_f16 v11, v85, v0, 0 op_sel_hi:[0,1,0]
	s_waitcnt vmcnt(0)
	v_or_b32_e32 v0, v1, v82
	v_fma_mixlo_f16 v87, v85, v1, 0 op_sel:[0,1,0] op_sel_hi:[0,1,0]
	v_fma_mixlo_f16 v91, v85, v0, 0 op_sel_hi:[0,1,0]
	s_clause 0x1
	buffer_load_dword v0, off, s[0:3], s32 offset:360
	buffer_load_dword v1, off, s[0:3], s32 offset:372
	s_waitcnt vmcnt(0)
	v_or_b32_e32 v0, v1, v0
	v_fma_mixlo_f16 v68, v85, v1, 0 op_sel:[0,1,0] op_sel_hi:[0,1,0]
	v_fma_mixlo_f16 v61, v85, v0, 0 op_sel_hi:[0,1,0]
	s_clause 0x1
	buffer_load_dword v0, off, s[0:3], s32 offset:368
	buffer_load_dword v1, off, s[0:3], s32 offset:772
	;; [unrolled: 7-line block ×13, first 2 shown]
	v_and_b32_e32 v9, 0xffff, v9
	s_waitcnt vmcnt(0)
	v_or_b32_e32 v0, v1, v0
	v_fma_mixlo_f16 v20, v85, v1, 0 op_sel:[0,1,0] op_sel_hi:[0,1,0]
	v_fma_mixlo_f16 v6, v85, v0, 0 op_sel_hi:[0,1,0]
	s_clause 0x1
	buffer_load_dword v0, off, s[0:3], s32 offset:288
	buffer_load_dword v1, off, s[0:3], s32 offset:760
	s_waitcnt vmcnt(0)
	v_or_b32_e32 v0, v1, v0
	v_fma_mixlo_f16 v22, v85, v1, 0 op_sel:[0,1,0] op_sel_hi:[0,1,0]
	v_fma_mixlo_f16 v84, v85, v0, 0 op_sel_hi:[0,1,0]
	s_clause 0x1
	buffer_load_dword v1, off, s[0:3], s32 offset:248
	buffer_load_dword v0, off, s[0:3], s32 offset:252
	s_waitcnt vmcnt(1)
	v_fma_mixlo_f16 v51, v85, v1, 0 op_sel:[0,1,0] op_sel_hi:[0,1,0]
	s_waitcnt vmcnt(0)
	v_or_b32_e32 v0, v1, v0
	v_fma_mixlo_f16 v117, v85, v0, 0 op_sel_hi:[0,1,0]
	buffer_load_dword v0, off, s[0:3], s32 offset:244 ; 4-byte Folded Reload
	s_waitcnt vmcnt(0)
	v_or_b32_e32 v0, v54, v0
	v_fma_mixlo_f16 v52, v85, v0, 0 op_sel_hi:[0,1,0]
	s_clause 0x1
	buffer_load_dword v0, off, s[0:3], s32 offset:260
	buffer_load_dword v1, off, s[0:3], s32 offset:264
	s_waitcnt vmcnt(0)
	v_or_b32_e32 v0, v1, v0
	v_fma_mixlo_f16 v42, v85, v1, 0 op_sel:[0,1,0] op_sel_hi:[0,1,0]
	v_fma_mixlo_f16 v4, v85, v0, 0 op_sel_hi:[0,1,0]
	s_clause 0x1
	buffer_load_dword v0, off, s[0:3], s32 offset:256
	buffer_load_dword v1, off, s[0:3], s32 offset:756
	s_load_dword s25, s[8:9], 0x0
	s_clause 0x1
	buffer_load_dword v2, off, s[0:3], s32 offset:1280
	buffer_load_dword v17, off, s[0:3], s32 offset:832
	s_waitcnt vmcnt(2)
	v_or_b32_e32 v0, v1, v0
	v_fma_mixlo_f16 v114, v85, v1, 0 op_sel:[0,1,0] op_sel_hi:[0,1,0]
	buffer_load_dword v1, off, s[0:3], s32 offset:1296 ; 4-byte Folded Reload
	v_fma_mixlo_f16 v94, v85, v0, 0 op_sel_hi:[0,1,0]
	buffer_load_dword v0, off, s[0:3], s32 offset:1264 ; 4-byte Folded Reload
	s_waitcnt vmcnt(1)
	v_add_nc_u32_e32 v1, v1, v45
	s_waitcnt vmcnt(0)
	v_add_nc_u32_e32 v0, v0, v45
	v_cvt_f32_i32_e32 v1, v1
	v_mul_f32_e32 v1, v2, v1
	v_fma_mixlo_f16 v2, v85, v34, 0 op_sel:[0,1,0] op_sel_hi:[0,1,0]
	v_cndmask_b32_e32 v54, 0, v1, vcc_lo
	v_or_b32_e32 v1, v34, v19
	buffer_store_dword v2, off, s[0:3], s32 offset:260 ; 4-byte Folded Spill
	v_fma_mixlo_f16 v2, v85, v13, 0 op_sel:[0,1,0] op_sel_hi:[0,1,0]
	v_fma_mixlo_f16 v1, v85, v1, 0 op_sel_hi:[0,1,0]
	buffer_store_dword v2, off, s[0:3], s32 offset:268 ; 4-byte Folded Spill
	v_fma_mixlo_f16 v2, v85, v55, 0 op_sel:[0,1,0] op_sel_hi:[0,1,0]
	buffer_store_dword v1, off, s[0:3], s32 offset:264 ; 4-byte Folded Spill
	v_or_b32_e32 v1, v13, v21
	buffer_store_dword v2, off, s[0:3], s32 offset:252 ; 4-byte Folded Spill
	v_fma_mixlo_f16 v1, v85, v1, 0 op_sel_hi:[0,1,0]
	buffer_store_dword v1, off, s[0:3], s32 offset:272 ; 4-byte Folded Spill
	v_or_b32_e32 v1, v55, v14
	v_fma_mixlo_f16 v1, v85, v1, 0 op_sel_hi:[0,1,0]
	buffer_store_dword v1, off, s[0:3], s32 offset:256 ; 4-byte Folded Spill
	v_or_b32_e32 v1, v31, v33
	v_fma_mixlo_f16 v1, v85, v1, 0 op_sel_hi:[0,1,0]
	v_fma_mixlo_f16 v85, v85, v31, 0 op_sel:[0,1,0] op_sel_hi:[0,1,0]
	buffer_store_dword v1, off, s[0:3], s32 offset:248 ; 4-byte Folded Spill
	buffer_load_dword v1, off, s[0:3], s32 offset:752 ; 4-byte Folded Reload
	s_waitcnt vmcnt(0)
	v_cmp_lt_i32_e64 s5, v0, v1
	s_waitcnt lgkmcnt(0)
	v_add_nc_u32_e32 v0, s25, v17
	buffer_store_dword v0, off, s[0:3], s32 offset:244 ; 4-byte Folded Spill
	ds_read_b128 v[0:3], v8
	s_waitcnt lgkmcnt(0)
	v_lshrrev_b32_e32 v13, 16, v0
	v_and_b32_e32 v0, 0xffff, v0
	;;#ASMSTART
	v_cvt_f32_f16 v14, v0;
	;;#ASMEND
	v_and_b32_e32 v0, 0xffff, v52
	;;#ASMSTART
	v_cvt_f32_f16 v121, v13;
	;;#ASMEND
	;;#ASMSTART
	v_cvt_f32_f16 v102, v0;
	;;#ASMEND
	v_and_b32_e32 v0, 0xffff, v5
	;;#ASMSTART
	v_cvt_f32_f16 v44, v0;
	;;#ASMEND
	v_lshrrev_b32_e32 v0, 16, v1
	v_and_b32_e32 v1, 0xffff, v1
	;;#ASMSTART
	v_cvt_f32_f16 v5, v1;
	;;#ASMEND
	;;#ASMSTART
	v_cvt_f32_f16 v52, v0;
	;;#ASMEND
	v_and_b32_e32 v0, 0xffff, v117
	;;#ASMSTART
	v_cvt_f32_f16 v92, v0;
	;;#ASMEND
	v_and_b32_e32 v0, 0xffff, v51
	;;#ASMSTART
	v_cvt_f32_f16 v117, v0;
	;;#ASMEND
	v_lshrrev_b32_e32 v0, 16, v2
	v_and_b32_e32 v1, 0xffff, v2
	;;#ASMSTART
	v_cvt_f32_f16 v19, v1;
	;;#ASMEND
	;;#ASMSTART
	v_cvt_f32_f16 v55, v0;
	;;#ASMEND
	v_and_b32_e32 v0, 0xffff, v4
	;; [unrolled: 16-line block ×3, first 2 shown]
	;;#ASMSTART
	v_cvt_f32_f16 v33, v0;
	;;#ASMEND
	v_and_b32_e32 v0, 0xffff, v114
	;;#ASMSTART
	v_cvt_f32_f16 v34, v0;
	;;#ASMEND
	ds_read_b128 v[0:3], v8 offset:16
	v_and_b32_e32 v13, 0xffff, v77
	s_waitcnt lgkmcnt(0)
	v_lshrrev_b32_e32 v4, 16, v0
	v_and_b32_e32 v0, 0xffff, v0
	;;#ASMSTART
	v_cvt_f32_f16 v0, v0;
	;;#ASMEND
	;;#ASMSTART
	v_cvt_f32_f16 v4, v4;
	;;#ASMEND
	;; [unrolled: 3-line block ×3, first 2 shown]
	v_mul_f32_e32 v13, v0, v13
	;;#ASMSTART
	v_cvt_f32_f16 v9, v9;
	;;#ASMEND
	v_and_b32_e32 v0, 0xffff, v1
	;;#ASMSTART
	v_cvt_f32_f16 v0, v0;
	;;#ASMEND
	v_fmac_f32_e32 v13, v14, v102
	v_mul_f32_e32 v14, v4, v9
	v_lshrrev_b32_e32 v4, 16, v1
	;;#ASMSTART
	v_cvt_f32_f16 v1, v4;
	;;#ASMEND
	v_and_b32_e32 v4, 0xffff, v18
	v_and_b32_e32 v9, 0xffff, v15
	;;#ASMSTART
	v_cvt_f32_f16 v4, v4;
	;;#ASMEND
	;;#ASMSTART
	v_cvt_f32_f16 v9, v9;
	;;#ASMEND
	v_mul_f32_e32 v18, v0, v4
	v_mul_f32_e32 v15, v1, v9
	v_lshrrev_b32_e32 v1, 16, v2
	v_and_b32_e32 v0, 0xffff, v2
	v_and_b32_e32 v2, 0xffff, v6
	;;#ASMSTART
	v_cvt_f32_f16 v0, v0;
	;;#ASMEND
	;;#ASMSTART
	v_cvt_f32_f16 v1, v1;
	;;#ASMEND
	;; [unrolled: 3-line block ×3, first 2 shown]
	v_and_b32_e32 v4, 0xffff, v20
	v_mul_f32_e32 v20, v0, v2
	;;#ASMSTART
	v_cvt_f32_f16 v4, v4;
	;;#ASMEND
	v_and_b32_e32 v0, 0xffff, v3
	v_and_b32_e32 v2, 0xffff, v84
	;;#ASMSTART
	v_cvt_f32_f16 v0, v0;
	;;#ASMEND
	v_fmac_f32_e32 v20, v19, v51
	v_mul_f32_e32 v19, v1, v4
	v_lshrrev_b32_e32 v1, 16, v3
	;;#ASMSTART
	v_cvt_f32_f16 v1, v1;
	;;#ASMEND
	;;#ASMSTART
	v_cvt_f32_f16 v2, v2;
	;;#ASMEND
	v_and_b32_e32 v3, 0xffff, v22
	v_mul_f32_e32 v22, v0, v2
	;;#ASMSTART
	v_cvt_f32_f16 v3, v3;
	;;#ASMEND
	v_fmac_f32_e32 v14, v121, v44
	v_fmac_f32_e32 v18, v5, v92
	;; [unrolled: 1-line block ×4, first 2 shown]
	v_mul_f32_e32 v21, v1, v3
	ds_read_b128 v[0:3], v8 offset:32
	v_fmac_f32_e32 v19, v55, v42
	v_and_b32_e32 v5, 0xffff, v119
	v_and_b32_e32 v9, 0xffff, v76
	v_fmac_f32_e32 v21, v31, v34
	v_and_b32_e32 v6, 0xffff, v88
	s_waitcnt lgkmcnt(0)
	v_lshrrev_b32_e32 v4, 16, v0
	v_and_b32_e32 v0, 0xffff, v0
	;;#ASMSTART
	v_cvt_f32_f16 v0, v0;
	;;#ASMEND
	;;#ASMSTART
	v_cvt_f32_f16 v4, v4;
	;;#ASMEND
	;; [unrolled: 3-line block ×4, first 2 shown]
	v_fmac_f32_e32 v13, v0, v5
	v_fmac_f32_e32 v14, v4, v9
	v_lshrrev_b32_e32 v4, 16, v1
	v_and_b32_e32 v0, 0xffff, v1
	;;#ASMSTART
	v_cvt_f32_f16 v0, v0;
	;;#ASMEND
	;;#ASMSTART
	v_cvt_f32_f16 v1, v4;
	;;#ASMEND
	v_and_b32_e32 v4, 0xffff, v123
	v_and_b32_e32 v5, 0xffff, v60
	;;#ASMSTART
	v_cvt_f32_f16 v4, v4;
	;;#ASMEND
	;;#ASMSTART
	v_cvt_f32_f16 v5, v5;
	;;#ASMEND
	v_fmac_f32_e32 v18, v0, v4
	v_fmac_f32_e32 v15, v1, v5
	v_lshrrev_b32_e32 v1, 16, v2
	v_and_b32_e32 v0, 0xffff, v2
	v_and_b32_e32 v2, 0xffff, v120
	;;#ASMSTART
	v_cvt_f32_f16 v0, v0;
	;;#ASMEND
	;;#ASMSTART
	v_cvt_f32_f16 v1, v1;
	;;#ASMEND
	;; [unrolled: 3-line block ×3, first 2 shown]
	v_and_b32_e32 v4, 0xffff, v63
	;;#ASMSTART
	v_cvt_f32_f16 v4, v4;
	;;#ASMEND
	v_fmac_f32_e32 v20, v0, v2
	v_fmac_f32_e32 v19, v1, v4
	v_lshrrev_b32_e32 v1, 16, v3
	v_and_b32_e32 v0, 0xffff, v3
	v_and_b32_e32 v2, 0xffff, v110
	;; [unrolled: 1-line block ×3, first 2 shown]
	;;#ASMSTART
	v_cvt_f32_f16 v0, v0;
	;;#ASMEND
	;;#ASMSTART
	v_cvt_f32_f16 v1, v1;
	;;#ASMEND
	;;#ASMSTART
	v_cvt_f32_f16 v2, v2;
	;;#ASMEND
	;;#ASMSTART
	v_cvt_f32_f16 v3, v3;
	;;#ASMEND
	v_fmac_f32_e32 v22, v0, v2
	v_fmac_f32_e32 v21, v1, v3
	ds_read_b128 v[0:3], v8 offset:48
	v_and_b32_e32 v5, 0xffff, v105
	v_and_b32_e32 v9, 0xffff, v98
	s_waitcnt lgkmcnt(0)
	v_lshrrev_b32_e32 v4, 16, v0
	v_and_b32_e32 v0, 0xffff, v0
	;;#ASMSTART
	v_cvt_f32_f16 v0, v0;
	;;#ASMEND
	;;#ASMSTART
	v_cvt_f32_f16 v4, v4;
	;;#ASMEND
	;; [unrolled: 3-line block ×4, first 2 shown]
	v_fmac_f32_e32 v13, v0, v5
	v_fmac_f32_e32 v14, v4, v9
	v_lshrrev_b32_e32 v4, 16, v1
	v_and_b32_e32 v0, 0xffff, v1
	;;#ASMSTART
	v_cvt_f32_f16 v0, v0;
	;;#ASMEND
	;;#ASMSTART
	v_cvt_f32_f16 v1, v4;
	;;#ASMEND
	v_and_b32_e32 v4, 0xffff, v24
	v_and_b32_e32 v5, 0xffff, v101
	;;#ASMSTART
	v_cvt_f32_f16 v4, v4;
	;;#ASMEND
	;;#ASMSTART
	v_cvt_f32_f16 v5, v5;
	;;#ASMEND
	v_fmac_f32_e32 v18, v0, v4
	v_fmac_f32_e32 v15, v1, v5
	v_lshrrev_b32_e32 v1, 16, v2
	v_and_b32_e32 v0, 0xffff, v2
	v_and_b32_e32 v2, 0xffff, v37
	;;#ASMSTART
	v_cvt_f32_f16 v0, v0;
	;;#ASMEND
	;;#ASMSTART
	v_cvt_f32_f16 v1, v1;
	;;#ASMEND
	;; [unrolled: 3-line block ×3, first 2 shown]
	v_and_b32_e32 v4, 0xffff, v100
	;;#ASMSTART
	v_cvt_f32_f16 v4, v4;
	;;#ASMEND
	v_fmac_f32_e32 v20, v0, v2
	v_fmac_f32_e32 v19, v1, v4
	v_lshrrev_b32_e32 v1, 16, v3
	v_and_b32_e32 v0, 0xffff, v3
	v_and_b32_e32 v2, 0xffff, v12
	;; [unrolled: 1-line block ×3, first 2 shown]
	;;#ASMSTART
	v_cvt_f32_f16 v0, v0;
	;;#ASMEND
	;;#ASMSTART
	v_cvt_f32_f16 v1, v1;
	;;#ASMEND
	;; [unrolled: 3-line block ×4, first 2 shown]
	v_fmac_f32_e32 v22, v0, v2
	v_fmac_f32_e32 v21, v1, v3
	ds_read_b128 v[0:3], v8 offset:64
	v_and_b32_e32 v5, 0xffff, v91
	v_and_b32_e32 v9, 0xffff, v87
	s_waitcnt lgkmcnt(0)
	v_lshrrev_b32_e32 v4, 16, v0
	v_and_b32_e32 v0, 0xffff, v0
	;;#ASMSTART
	v_cvt_f32_f16 v0, v0;
	;;#ASMEND
	;;#ASMSTART
	v_cvt_f32_f16 v4, v4;
	;;#ASMEND
	;; [unrolled: 3-line block ×4, first 2 shown]
	v_fmac_f32_e32 v13, v0, v5
	v_fmac_f32_e32 v14, v4, v9
	v_lshrrev_b32_e32 v4, 16, v1
	v_and_b32_e32 v0, 0xffff, v1
	;;#ASMSTART
	v_cvt_f32_f16 v0, v0;
	;;#ASMEND
	;;#ASMSTART
	v_cvt_f32_f16 v1, v4;
	;;#ASMEND
	v_and_b32_e32 v4, 0xffff, v11
	v_and_b32_e32 v5, 0xffff, v107
	;;#ASMSTART
	v_cvt_f32_f16 v4, v4;
	;;#ASMEND
	;;#ASMSTART
	v_cvt_f32_f16 v5, v5;
	;;#ASMEND
	v_fmac_f32_e32 v18, v0, v4
	v_fmac_f32_e32 v15, v1, v5
	v_lshrrev_b32_e32 v1, 16, v2
	v_and_b32_e32 v0, 0xffff, v2
	v_and_b32_e32 v2, 0xffff, v61
	;;#ASMSTART
	v_cvt_f32_f16 v0, v0;
	;;#ASMEND
	;;#ASMSTART
	v_cvt_f32_f16 v1, v1;
	;;#ASMEND
	;; [unrolled: 3-line block ×3, first 2 shown]
	v_and_b32_e32 v4, 0xffff, v68
	;;#ASMSTART
	v_cvt_f32_f16 v4, v4;
	;;#ASMEND
	v_fmac_f32_e32 v20, v0, v2
	v_fmac_f32_e32 v19, v1, v4
	v_lshrrev_b32_e32 v1, 16, v3
	v_and_b32_e32 v0, 0xffff, v3
	v_and_b32_e32 v2, 0xffff, v83
	;; [unrolled: 1-line block ×3, first 2 shown]
	;;#ASMSTART
	v_cvt_f32_f16 v0, v0;
	;;#ASMEND
	;;#ASMSTART
	v_cvt_f32_f16 v1, v1;
	;;#ASMEND
	;;#ASMSTART
	v_cvt_f32_f16 v2, v2;
	;;#ASMEND
	;;#ASMSTART
	v_cvt_f32_f16 v3, v3;
	;;#ASMEND
	v_fmac_f32_e32 v22, v0, v2
	v_fmac_f32_e32 v21, v1, v3
	ds_read_b128 v[0:3], v8 offset:80
	v_and_b32_e32 v5, 0xffff, v118
	v_and_b32_e32 v9, 0xffff, v112
	s_waitcnt lgkmcnt(0)
	v_lshrrev_b32_e32 v4, 16, v0
	v_and_b32_e32 v0, 0xffff, v0
	;;#ASMSTART
	v_cvt_f32_f16 v0, v0;
	;;#ASMEND
	;;#ASMSTART
	v_cvt_f32_f16 v4, v4;
	;;#ASMEND
	;; [unrolled: 3-line block ×4, first 2 shown]
	v_fmac_f32_e32 v13, v0, v5
	v_fmac_f32_e32 v14, v4, v9
	v_lshrrev_b32_e32 v4, 16, v1
	v_and_b32_e32 v0, 0xffff, v1
	;;#ASMSTART
	v_cvt_f32_f16 v0, v0;
	;;#ASMEND
	;;#ASMSTART
	v_cvt_f32_f16 v1, v4;
	;;#ASMEND
	v_and_b32_e32 v4, 0xffff, v41
	v_and_b32_e32 v5, 0xffff, v62
	;;#ASMSTART
	v_cvt_f32_f16 v4, v4;
	;;#ASMEND
	;;#ASMSTART
	v_cvt_f32_f16 v5, v5;
	;;#ASMEND
	v_fmac_f32_e32 v18, v0, v4
	v_fmac_f32_e32 v15, v1, v5
	v_lshrrev_b32_e32 v1, 16, v2
	v_and_b32_e32 v0, 0xffff, v2
	v_and_b32_e32 v2, 0xffff, v65
	;;#ASMSTART
	v_cvt_f32_f16 v0, v0;
	;;#ASMEND
	;;#ASMSTART
	v_cvt_f32_f16 v1, v1;
	;;#ASMEND
	;; [unrolled: 3-line block ×3, first 2 shown]
	v_and_b32_e32 v4, 0xffff, v113
	;;#ASMSTART
	v_cvt_f32_f16 v4, v4;
	;;#ASMEND
	v_fmac_f32_e32 v20, v0, v2
	v_fmac_f32_e32 v19, v1, v4
	v_lshrrev_b32_e32 v1, 16, v3
	v_and_b32_e32 v0, 0xffff, v3
	v_and_b32_e32 v2, 0xffff, v56
	;; [unrolled: 1-line block ×3, first 2 shown]
	;;#ASMSTART
	v_cvt_f32_f16 v0, v0;
	;;#ASMEND
	;;#ASMSTART
	v_cvt_f32_f16 v1, v1;
	;;#ASMEND
	;; [unrolled: 3-line block ×4, first 2 shown]
	v_fmac_f32_e32 v22, v0, v2
	v_fmac_f32_e32 v21, v1, v3
	ds_read_b128 v[0:3], v8 offset:96
	v_and_b32_e32 v5, 0xffff, v16
	v_and_b32_e32 v9, 0xffff, v23
	s_waitcnt lgkmcnt(0)
	v_lshrrev_b32_e32 v4, 16, v0
	v_and_b32_e32 v0, 0xffff, v0
	;;#ASMSTART
	v_cvt_f32_f16 v0, v0;
	;;#ASMEND
	;;#ASMSTART
	v_cvt_f32_f16 v4, v4;
	;;#ASMEND
	;; [unrolled: 3-line block ×4, first 2 shown]
	v_fmac_f32_e32 v13, v0, v5
	v_fmac_f32_e32 v14, v4, v9
	v_lshrrev_b32_e32 v4, 16, v1
	v_and_b32_e32 v0, 0xffff, v1
	;;#ASMSTART
	v_cvt_f32_f16 v0, v0;
	;;#ASMEND
	;;#ASMSTART
	v_cvt_f32_f16 v1, v4;
	;;#ASMEND
	v_and_b32_e32 v4, 0xffff, v64
	v_and_b32_e32 v5, 0xffff, v69
	;;#ASMSTART
	v_cvt_f32_f16 v4, v4;
	;;#ASMEND
	;;#ASMSTART
	v_cvt_f32_f16 v5, v5;
	;;#ASMEND
	v_fmac_f32_e32 v18, v0, v4
	v_fmac_f32_e32 v15, v1, v5
	v_lshrrev_b32_e32 v1, 16, v2
	v_and_b32_e32 v0, 0xffff, v2
	v_and_b32_e32 v2, 0xffff, v80
	;;#ASMSTART
	v_cvt_f32_f16 v0, v0;
	;;#ASMEND
	;;#ASMSTART
	v_cvt_f32_f16 v1, v1;
	;;#ASMEND
	;; [unrolled: 3-line block ×3, first 2 shown]
	v_and_b32_e32 v4, 0xffff, v50
	;;#ASMSTART
	v_cvt_f32_f16 v4, v4;
	;;#ASMEND
	v_fmac_f32_e32 v20, v0, v2
	v_fmac_f32_e32 v19, v1, v4
	v_lshrrev_b32_e32 v1, 16, v3
	v_and_b32_e32 v0, 0xffff, v3
	v_and_b32_e32 v2, 0xffff, v67
	;; [unrolled: 1-line block ×3, first 2 shown]
	;;#ASMSTART
	v_cvt_f32_f16 v0, v0;
	;;#ASMEND
	;;#ASMSTART
	v_cvt_f32_f16 v1, v1;
	;;#ASMEND
	;; [unrolled: 3-line block ×4, first 2 shown]
	v_fmac_f32_e32 v22, v0, v2
	v_fmac_f32_e32 v21, v1, v3
	ds_read_b128 v[0:3], v8 offset:112
	v_and_b32_e32 v5, 0xffff, v116
	v_and_b32_e32 v9, 0xffff, v59
	s_waitcnt lgkmcnt(0)
	v_lshrrev_b32_e32 v4, 16, v0
	v_and_b32_e32 v0, 0xffff, v0
	;;#ASMSTART
	v_cvt_f32_f16 v0, v0;
	;;#ASMEND
	;;#ASMSTART
	v_cvt_f32_f16 v4, v4;
	;;#ASMEND
	;;#ASMSTART
	v_cvt_f32_f16 v5, v5;
	;;#ASMEND
	;;#ASMSTART
	v_cvt_f32_f16 v9, v9;
	;;#ASMEND
	v_fmac_f32_e32 v13, v0, v5
	v_fmac_f32_e32 v14, v4, v9
	v_lshrrev_b32_e32 v4, 16, v1
	v_and_b32_e32 v0, 0xffff, v1
	;;#ASMSTART
	v_cvt_f32_f16 v0, v0;
	;;#ASMEND
	;;#ASMSTART
	v_cvt_f32_f16 v1, v4;
	;;#ASMEND
	v_and_b32_e32 v4, 0xffff, v66
	v_and_b32_e32 v5, 0xffff, v89
	;;#ASMSTART
	v_cvt_f32_f16 v4, v4;
	;;#ASMEND
	;;#ASMSTART
	v_cvt_f32_f16 v5, v5;
	;;#ASMEND
	v_fmac_f32_e32 v18, v0, v4
	v_fmac_f32_e32 v15, v1, v5
	v_lshrrev_b32_e32 v1, 16, v2
	v_and_b32_e32 v0, 0xffff, v2
	v_and_b32_e32 v2, 0xffff, v86
	;;#ASMSTART
	v_cvt_f32_f16 v0, v0;
	;;#ASMEND
	;;#ASMSTART
	v_cvt_f32_f16 v1, v1;
	;;#ASMEND
	;; [unrolled: 3-line block ×3, first 2 shown]
	v_and_b32_e32 v4, 0xffff, v7
	;;#ASMSTART
	v_cvt_f32_f16 v4, v4;
	;;#ASMEND
	v_fmac_f32_e32 v20, v0, v2
	v_fmac_f32_e32 v19, v1, v4
	v_lshrrev_b32_e32 v1, 16, v3
	v_and_b32_e32 v0, 0xffff, v3
	v_and_b32_e32 v2, 0xffff, v99
	;; [unrolled: 1-line block ×3, first 2 shown]
	;;#ASMSTART
	v_cvt_f32_f16 v0, v0;
	;;#ASMEND
	;;#ASMSTART
	v_cvt_f32_f16 v1, v1;
	;;#ASMEND
	;; [unrolled: 3-line block ×4, first 2 shown]
	v_fmac_f32_e32 v22, v0, v2
	v_fmac_f32_e32 v21, v1, v3
	ds_read_b128 v[0:3], v8 offset:128
	v_and_b32_e32 v5, 0xffff, v38
	s_waitcnt lgkmcnt(0)
	v_lshrrev_b32_e32 v4, 16, v0
	v_and_b32_e32 v0, 0xffff, v0
	;;#ASMSTART
	v_cvt_f32_f16 v0, v0;
	;;#ASMEND
	;;#ASMSTART
	v_cvt_f32_f16 v4, v4;
	;;#ASMEND
	;; [unrolled: 3-line block ×4, first 2 shown]
	v_fmac_f32_e32 v13, v0, v5
	v_fmac_f32_e32 v14, v4, v6
	v_lshrrev_b32_e32 v4, 16, v1
	v_and_b32_e32 v0, 0xffff, v1
	;;#ASMSTART
	v_cvt_f32_f16 v0, v0;
	;;#ASMEND
	;;#ASMSTART
	v_cvt_f32_f16 v1, v4;
	;;#ASMEND
	v_and_b32_e32 v4, 0xffff, v78
	v_and_b32_e32 v5, 0xffff, v75
	;;#ASMSTART
	v_cvt_f32_f16 v4, v4;
	;;#ASMEND
	;;#ASMSTART
	v_cvt_f32_f16 v5, v5;
	;;#ASMEND
	v_fmac_f32_e32 v18, v0, v4
	v_fmac_f32_e32 v15, v1, v5
	v_lshrrev_b32_e32 v1, 16, v2
	v_and_b32_e32 v0, 0xffff, v2
	v_and_b32_e32 v2, 0xffff, v48
	;;#ASMSTART
	v_cvt_f32_f16 v0, v0;
	;;#ASMEND
	;;#ASMSTART
	v_cvt_f32_f16 v1, v1;
	;;#ASMEND
	;; [unrolled: 3-line block ×3, first 2 shown]
	v_and_b32_e32 v4, 0xffff, v72
	;;#ASMSTART
	v_cvt_f32_f16 v4, v4;
	;;#ASMEND
	v_fmac_f32_e32 v20, v0, v2
	v_fmac_f32_e32 v19, v1, v4
	v_lshrrev_b32_e32 v1, 16, v3
	v_and_b32_e32 v0, 0xffff, v3
	v_and_b32_e32 v2, 0xffff, v97
	;; [unrolled: 1-line block ×3, first 2 shown]
	;;#ASMSTART
	v_cvt_f32_f16 v0, v0;
	;;#ASMEND
	;;#ASMSTART
	v_cvt_f32_f16 v1, v1;
	;;#ASMEND
	;; [unrolled: 3-line block ×4, first 2 shown]
	v_fmac_f32_e32 v22, v0, v2
	v_fmac_f32_e32 v21, v1, v3
	ds_read_b128 v[0:3], v8 offset:144
	v_and_b32_e32 v5, 0xffff, v49
	v_and_b32_e32 v6, 0xffff, v127
	s_waitcnt lgkmcnt(0)
	v_lshrrev_b32_e32 v4, 16, v0
	v_and_b32_e32 v0, 0xffff, v0
	;;#ASMSTART
	v_cvt_f32_f16 v0, v0;
	;;#ASMEND
	;;#ASMSTART
	v_cvt_f32_f16 v4, v4;
	;;#ASMEND
	;; [unrolled: 3-line block ×4, first 2 shown]
	v_fmac_f32_e32 v13, v0, v5
	v_fmac_f32_e32 v14, v4, v6
	v_lshrrev_b32_e32 v4, 16, v1
	v_and_b32_e32 v0, 0xffff, v1
	;;#ASMSTART
	v_cvt_f32_f16 v0, v0;
	;;#ASMEND
	;;#ASMSTART
	v_cvt_f32_f16 v1, v4;
	;;#ASMEND
	v_and_b32_e32 v4, 0xffff, v95
	v_and_b32_e32 v5, 0xffff, v125
	;;#ASMSTART
	v_cvt_f32_f16 v4, v4;
	;;#ASMEND
	;;#ASMSTART
	v_cvt_f32_f16 v5, v5;
	;;#ASMEND
	v_fmac_f32_e32 v18, v0, v4
	v_fmac_f32_e32 v15, v1, v5
	v_lshrrev_b32_e32 v1, 16, v2
	v_and_b32_e32 v0, 0xffff, v2
	v_and_b32_e32 v2, 0xffff, v124
	;;#ASMSTART
	v_cvt_f32_f16 v0, v0;
	;;#ASMEND
	;;#ASMSTART
	v_cvt_f32_f16 v1, v1;
	;;#ASMEND
	;; [unrolled: 3-line block ×3, first 2 shown]
	v_and_b32_e32 v4, 0xffff, v93
	;;#ASMSTART
	v_cvt_f32_f16 v4, v4;
	;;#ASMEND
	v_fmac_f32_e32 v20, v0, v2
	v_fmac_f32_e32 v19, v1, v4
	v_lshrrev_b32_e32 v1, 16, v3
	v_and_b32_e32 v0, 0xffff, v3
	v_and_b32_e32 v2, 0xffff, v39
	;; [unrolled: 1-line block ×3, first 2 shown]
	;;#ASMSTART
	v_cvt_f32_f16 v0, v0;
	;;#ASMEND
	;;#ASMSTART
	v_cvt_f32_f16 v1, v1;
	;;#ASMEND
	;; [unrolled: 3-line block ×4, first 2 shown]
	v_fmac_f32_e32 v22, v0, v2
	v_fmac_f32_e32 v21, v1, v3
	ds_read_b128 v[0:3], v8 offset:160
	v_and_b32_e32 v5, 0xffff, v32
	v_and_b32_e32 v6, 0xffff, v111
	s_waitcnt lgkmcnt(0)
	v_lshrrev_b32_e32 v4, 16, v0
	v_and_b32_e32 v0, 0xffff, v0
	;;#ASMSTART
	v_cvt_f32_f16 v0, v0;
	;;#ASMEND
	;;#ASMSTART
	v_cvt_f32_f16 v4, v4;
	;;#ASMEND
	;; [unrolled: 3-line block ×4, first 2 shown]
	v_fmac_f32_e32 v13, v0, v5
	v_fmac_f32_e32 v14, v4, v6
	v_lshrrev_b32_e32 v4, 16, v1
	v_and_b32_e32 v0, 0xffff, v1
	;;#ASMSTART
	v_cvt_f32_f16 v0, v0;
	;;#ASMEND
	;;#ASMSTART
	v_cvt_f32_f16 v1, v4;
	;;#ASMEND
	v_and_b32_e32 v4, 0xffff, v71
	v_and_b32_e32 v5, 0xffff, v35
	;;#ASMSTART
	v_cvt_f32_f16 v4, v4;
	;;#ASMEND
	;;#ASMSTART
	v_cvt_f32_f16 v5, v5;
	;;#ASMEND
	v_fmac_f32_e32 v18, v0, v4
	v_fmac_f32_e32 v15, v1, v5
	v_lshrrev_b32_e32 v1, 16, v2
	v_and_b32_e32 v0, 0xffff, v2
	v_and_b32_e32 v2, 0xffff, v109
	;;#ASMSTART
	v_cvt_f32_f16 v0, v0;
	;;#ASMEND
	;;#ASMSTART
	v_cvt_f32_f16 v1, v1;
	;;#ASMEND
	;; [unrolled: 3-line block ×3, first 2 shown]
	v_and_b32_e32 v4, 0xffff, v90
	;;#ASMSTART
	v_cvt_f32_f16 v4, v4;
	;;#ASMEND
	v_fmac_f32_e32 v20, v0, v2
	v_fmac_f32_e32 v19, v1, v4
	v_lshrrev_b32_e32 v1, 16, v3
	v_and_b32_e32 v0, 0xffff, v3
	v_and_b32_e32 v2, 0xffff, v36
	;; [unrolled: 1-line block ×3, first 2 shown]
	;;#ASMSTART
	v_cvt_f32_f16 v0, v0;
	;;#ASMEND
	;;#ASMSTART
	v_cvt_f32_f16 v1, v1;
	;;#ASMEND
	;;#ASMSTART
	v_cvt_f32_f16 v2, v2;
	;;#ASMEND
	;;#ASMSTART
	v_cvt_f32_f16 v3, v3;
	;;#ASMEND
	v_fmac_f32_e32 v22, v0, v2
	v_fmac_f32_e32 v21, v1, v3
	ds_read_b128 v[0:3], v8 offset:176
	v_and_b32_e32 v5, 0xffff, v108
	v_and_b32_e32 v6, 0xffff, v106
	s_waitcnt lgkmcnt(0)
	v_lshrrev_b32_e32 v4, 16, v0
	v_and_b32_e32 v0, 0xffff, v0
	;;#ASMSTART
	v_cvt_f32_f16 v0, v0;
	;;#ASMEND
	;;#ASMSTART
	v_cvt_f32_f16 v4, v4;
	;;#ASMEND
	;; [unrolled: 3-line block ×4, first 2 shown]
	v_fmac_f32_e32 v13, v0, v5
	v_fmac_f32_e32 v14, v4, v6
	v_lshrrev_b32_e32 v4, 16, v1
	v_and_b32_e32 v0, 0xffff, v1
	;;#ASMSTART
	v_cvt_f32_f16 v0, v0;
	;;#ASMEND
	;;#ASMSTART
	v_cvt_f32_f16 v1, v4;
	;;#ASMEND
	buffer_load_dword v4, off, s[0:3], s32 offset:560 ; 4-byte Folded Reload
	v_and_b32_e32 v6, 0xffff, v43
	s_waitcnt vmcnt(0)
	v_and_b32_e32 v4, 0xffff, v4
	;;#ASMSTART
	v_cvt_f32_f16 v4, v4;
	;;#ASMEND
	buffer_load_dword v5, off, s[0:3], s32 offset:552 ; 4-byte Folded Reload
	v_fmac_f32_e32 v18, v0, v4
	v_and_b32_e32 v0, 0xffff, v2
	v_and_b32_e32 v4, 0xffff, v103
	s_waitcnt vmcnt(0)
	v_and_b32_e32 v5, 0xffff, v5
	;;#ASMSTART
	v_cvt_f32_f16 v5, v5;
	;;#ASMEND
	v_fmac_f32_e32 v15, v1, v5
	v_lshrrev_b32_e32 v1, 16, v2
	v_and_b32_e32 v2, 0xffff, v81
	;;#ASMSTART
	v_cvt_f32_f16 v0, v0;
	;;#ASMEND
	;;#ASMSTART
	v_cvt_f32_f16 v1, v1;
	;;#ASMEND
	;; [unrolled: 3-line block ×4, first 2 shown]
	v_fmac_f32_e32 v20, v0, v2
	v_fmac_f32_e32 v19, v1, v4
	v_lshrrev_b32_e32 v1, 16, v3
	v_and_b32_e32 v0, 0xffff, v3
	v_and_b32_e32 v2, 0xffff, v115
	;; [unrolled: 1-line block ×3, first 2 shown]
	;;#ASMSTART
	v_cvt_f32_f16 v0, v0;
	;;#ASMEND
	;;#ASMSTART
	v_cvt_f32_f16 v1, v1;
	;;#ASMEND
	;;#ASMSTART
	v_cvt_f32_f16 v2, v2;
	;;#ASMEND
	;;#ASMSTART
	v_cvt_f32_f16 v3, v3;
	;;#ASMEND
	v_fmac_f32_e32 v22, v0, v2
	v_fmac_f32_e32 v21, v1, v3
	ds_read_b128 v[0:3], v8 offset:192
	s_waitcnt lgkmcnt(0)
	v_lshrrev_b32_e32 v4, 16, v0
	v_and_b32_e32 v0, 0xffff, v0
	;;#ASMSTART
	v_cvt_f32_f16 v0, v0;
	;;#ASMEND
	;;#ASMSTART
	v_cvt_f32_f16 v4, v4;
	;;#ASMEND
	buffer_load_dword v5, off, s[0:3], s32 offset:572 ; 4-byte Folded Reload
	s_waitcnt vmcnt(0)
	v_and_b32_e32 v5, 0xffff, v5
	;;#ASMSTART
	v_cvt_f32_f16 v5, v5;
	;;#ASMEND
	;;#ASMSTART
	v_cvt_f32_f16 v6, v6;
	;;#ASMEND
	v_fmac_f32_e32 v13, v0, v5
	v_fmac_f32_e32 v14, v4, v6
	v_lshrrev_b32_e32 v4, 16, v1
	v_and_b32_e32 v0, 0xffff, v1
	;;#ASMSTART
	v_cvt_f32_f16 v0, v0;
	;;#ASMEND
	;;#ASMSTART
	v_cvt_f32_f16 v1, v4;
	;;#ASMEND
	v_and_b32_e32 v4, 0xffff, v46
	v_and_b32_e32 v5, 0xffff, v47
	;;#ASMSTART
	v_cvt_f32_f16 v4, v4;
	;;#ASMEND
	;;#ASMSTART
	v_cvt_f32_f16 v5, v5;
	;;#ASMEND
	v_fmac_f32_e32 v18, v0, v4
	v_fmac_f32_e32 v15, v1, v5
	v_lshrrev_b32_e32 v1, 16, v2
	v_and_b32_e32 v0, 0xffff, v2
	v_and_b32_e32 v2, 0xffff, v58
	;;#ASMSTART
	v_cvt_f32_f16 v0, v0;
	;;#ASMEND
	;;#ASMSTART
	v_cvt_f32_f16 v1, v1;
	;;#ASMEND
	;; [unrolled: 3-line block ×3, first 2 shown]
	v_and_b32_e32 v4, 0xffff, v74
	;;#ASMSTART
	v_cvt_f32_f16 v4, v4;
	;;#ASMEND
	v_fmac_f32_e32 v20, v0, v2
	v_fmac_f32_e32 v19, v1, v4
	v_lshrrev_b32_e32 v1, 16, v3
	v_and_b32_e32 v0, 0xffff, v3
	v_and_b32_e32 v2, 0xffff, v79
	;; [unrolled: 1-line block ×3, first 2 shown]
	;;#ASMSTART
	v_cvt_f32_f16 v0, v0;
	;;#ASMEND
	;;#ASMSTART
	v_cvt_f32_f16 v1, v1;
	;;#ASMEND
	;; [unrolled: 3-line block ×4, first 2 shown]
	v_fmac_f32_e32 v22, v0, v2
	v_fmac_f32_e32 v21, v1, v3
	ds_read_b128 v[0:3], v8 offset:208
	v_and_b32_e32 v5, 0xffff, v122
	s_waitcnt lgkmcnt(0)
	v_lshrrev_b32_e32 v4, 16, v0
	v_and_b32_e32 v0, 0xffff, v0
	;;#ASMSTART
	v_cvt_f32_f16 v0, v0;
	;;#ASMEND
	;;#ASMSTART
	v_cvt_f32_f16 v4, v4;
	;;#ASMEND
	;; [unrolled: 3-line block ×3, first 2 shown]
	buffer_load_dword v6, off, s[0:3], s32 offset:652 ; 4-byte Folded Reload
	v_fmac_f32_e32 v13, v0, v5
	v_and_b32_e32 v0, 0xffff, v1
	s_waitcnt vmcnt(0)
	v_and_b32_e32 v6, 0xffff, v6
	;;#ASMSTART
	v_cvt_f32_f16 v6, v6;
	;;#ASMEND
	v_fmac_f32_e32 v14, v4, v6
	v_lshrrev_b32_e32 v4, 16, v1
	;;#ASMSTART
	v_cvt_f32_f16 v0, v0;
	;;#ASMEND
	;;#ASMSTART
	v_cvt_f32_f16 v1, v4;
	;;#ASMEND
	buffer_load_dword v4, off, s[0:3], s32 offset:648 ; 4-byte Folded Reload
	s_waitcnt vmcnt(0)
	v_and_b32_e32 v4, 0xffff, v4
	;;#ASMSTART
	v_cvt_f32_f16 v4, v4;
	;;#ASMEND
	buffer_load_dword v5, off, s[0:3], s32 offset:616 ; 4-byte Folded Reload
	v_fmac_f32_e32 v18, v0, v4
	v_and_b32_e32 v0, 0xffff, v2
	s_waitcnt vmcnt(0)
	v_and_b32_e32 v5, 0xffff, v5
	;;#ASMSTART
	v_cvt_f32_f16 v5, v5;
	;;#ASMEND
	v_fmac_f32_e32 v15, v1, v5
	v_lshrrev_b32_e32 v1, 16, v2
	;;#ASMSTART
	v_cvt_f32_f16 v0, v0;
	;;#ASMEND
	;;#ASMSTART
	v_cvt_f32_f16 v1, v1;
	;;#ASMEND
	buffer_load_dword v2, off, s[0:3], s32 offset:612 ; 4-byte Folded Reload
	s_waitcnt vmcnt(0)
	v_and_b32_e32 v2, 0xffff, v2
	;;#ASMSTART
	v_cvt_f32_f16 v2, v2;
	;;#ASMEND
	;; [unrolled: 22-line block ×3, first 2 shown]
	buffer_load_dword v3, off, s[0:3], s32 offset:600 ; 4-byte Folded Reload
	v_fmac_f32_e32 v22, v0, v2
	s_waitcnt vmcnt(0)
	v_and_b32_e32 v3, 0xffff, v3
	;;#ASMSTART
	v_cvt_f32_f16 v3, v3;
	;;#ASMEND
	v_fmac_f32_e32 v21, v1, v3
	ds_read_b128 v[0:3], v8 offset:224
	s_waitcnt lgkmcnt(0)
	v_lshrrev_b32_e32 v4, 16, v0
	v_and_b32_e32 v0, 0xffff, v0
	;;#ASMSTART
	v_cvt_f32_f16 v0, v0;
	;;#ASMEND
	;;#ASMSTART
	v_cvt_f32_f16 v4, v4;
	;;#ASMEND
	buffer_load_dword v5, off, s[0:3], s32 offset:1260 ; 4-byte Folded Reload
	s_waitcnt vmcnt(0)
	v_and_b32_e32 v5, 0xffff, v5
	;;#ASMSTART
	v_cvt_f32_f16 v5, v5;
	;;#ASMEND
	buffer_load_dword v6, off, s[0:3], s32 offset:680 ; 4-byte Folded Reload
	v_fmac_f32_e32 v13, v0, v5
	v_and_b32_e32 v0, 0xffff, v1
	s_waitcnt vmcnt(0)
	v_and_b32_e32 v6, 0xffff, v6
	;;#ASMSTART
	v_cvt_f32_f16 v6, v6;
	;;#ASMEND
	v_fmac_f32_e32 v14, v4, v6
	v_lshrrev_b32_e32 v4, 16, v1
	;;#ASMSTART
	v_cvt_f32_f16 v0, v0;
	;;#ASMEND
	;;#ASMSTART
	v_cvt_f32_f16 v1, v4;
	;;#ASMEND
	buffer_load_dword v4, off, s[0:3], s32 offset:676 ; 4-byte Folded Reload
	s_waitcnt vmcnt(0)
	v_and_b32_e32 v4, 0xffff, v4
	;;#ASMSTART
	v_cvt_f32_f16 v4, v4;
	;;#ASMEND
	buffer_load_dword v5, off, s[0:3], s32 offset:644 ; 4-byte Folded Reload
	v_fmac_f32_e32 v18, v0, v4
	v_and_b32_e32 v0, 0xffff, v2
	s_waitcnt vmcnt(0)
	v_and_b32_e32 v5, 0xffff, v5
	;;#ASMSTART
	v_cvt_f32_f16 v5, v5;
	;;#ASMEND
	v_fmac_f32_e32 v15, v1, v5
	v_lshrrev_b32_e32 v1, 16, v2
	;; [unrolled: 22-line block ×3, first 2 shown]
	;;#ASMSTART
	v_cvt_f32_f16 v0, v0;
	;;#ASMEND
	;;#ASMSTART
	v_cvt_f32_f16 v1, v1;
	;;#ASMEND
	buffer_load_dword v2, off, s[0:3], s32 offset:632 ; 4-byte Folded Reload
	s_waitcnt vmcnt(0)
	v_and_b32_e32 v2, 0xffff, v2
	;;#ASMSTART
	v_cvt_f32_f16 v2, v2;
	;;#ASMEND
	buffer_load_dword v3, off, s[0:3], s32 offset:628 ; 4-byte Folded Reload
	v_fmac_f32_e32 v22, v0, v2
	s_waitcnt vmcnt(0)
	v_and_b32_e32 v3, 0xffff, v3
	;;#ASMSTART
	v_cvt_f32_f16 v3, v3;
	;;#ASMEND
	v_fmac_f32_e32 v21, v1, v3
	ds_read_b128 v[0:3], v8 offset:240
	s_waitcnt lgkmcnt(0)
	v_lshrrev_b32_e32 v4, 16, v0
	v_and_b32_e32 v0, 0xffff, v0
	;;#ASMSTART
	v_cvt_f32_f16 v0, v0;
	;;#ASMEND
	;;#ASMSTART
	v_cvt_f32_f16 v4, v4;
	;;#ASMEND
	buffer_load_dword v5, off, s[0:3], s32 offset:1256 ; 4-byte Folded Reload
	s_waitcnt vmcnt(0)
	v_and_b32_e32 v5, 0xffff, v5
	;;#ASMSTART
	v_cvt_f32_f16 v5, v5;
	;;#ASMEND
	buffer_load_dword v6, off, s[0:3], s32 offset:1252 ; 4-byte Folded Reload
	v_fmac_f32_e32 v13, v0, v5
	v_and_b32_e32 v0, 0xffff, v1
	s_waitcnt vmcnt(0)
	v_and_b32_e32 v6, 0xffff, v6
	;;#ASMSTART
	v_cvt_f32_f16 v6, v6;
	;;#ASMEND
	v_fmac_f32_e32 v14, v4, v6
	v_lshrrev_b32_e32 v4, 16, v1
	;;#ASMSTART
	v_cvt_f32_f16 v0, v0;
	;;#ASMEND
	;;#ASMSTART
	v_cvt_f32_f16 v1, v4;
	;;#ASMEND
	buffer_load_dword v4, off, s[0:3], s32 offset:696 ; 4-byte Folded Reload
	s_waitcnt vmcnt(0)
	v_and_b32_e32 v4, 0xffff, v4
	;;#ASMSTART
	v_cvt_f32_f16 v4, v4;
	;;#ASMEND
	buffer_load_dword v5, off, s[0:3], s32 offset:672 ; 4-byte Folded Reload
	v_fmac_f32_e32 v18, v0, v4
	v_and_b32_e32 v0, 0xffff, v2
	s_waitcnt vmcnt(0)
	v_and_b32_e32 v5, 0xffff, v5
	;;#ASMSTART
	v_cvt_f32_f16 v5, v5;
	;;#ASMEND
	v_fmac_f32_e32 v15, v1, v5
	v_lshrrev_b32_e32 v1, 16, v2
	;; [unrolled: 22-line block ×3, first 2 shown]
	;;#ASMSTART
	v_cvt_f32_f16 v0, v0;
	;;#ASMEND
	;;#ASMSTART
	v_cvt_f32_f16 v1, v1;
	;;#ASMEND
	buffer_load_dword v2, off, s[0:3], s32 offset:660 ; 4-byte Folded Reload
	s_waitcnt vmcnt(0)
	v_and_b32_e32 v2, 0xffff, v2
	;;#ASMSTART
	v_cvt_f32_f16 v2, v2;
	;;#ASMEND
	buffer_load_dword v3, off, s[0:3], s32 offset:656 ; 4-byte Folded Reload
	v_fmac_f32_e32 v22, v0, v2
	s_waitcnt vmcnt(0)
	v_and_b32_e32 v3, 0xffff, v3
	;;#ASMSTART
	v_cvt_f32_f16 v3, v3;
	;;#ASMEND
	v_fmac_f32_e32 v21, v1, v3
	ds_read_b128 v[0:3], v8 offset:256
	s_waitcnt lgkmcnt(0)
	v_lshrrev_b32_e32 v4, 16, v0
	v_and_b32_e32 v0, 0xffff, v0
	;;#ASMSTART
	v_cvt_f32_f16 v0, v0;
	;;#ASMEND
	;;#ASMSTART
	v_cvt_f32_f16 v4, v4;
	;;#ASMEND
	buffer_load_dword v5, off, s[0:3], s32 offset:1248 ; 4-byte Folded Reload
	s_waitcnt vmcnt(0)
	v_and_b32_e32 v5, 0xffff, v5
	;;#ASMSTART
	v_cvt_f32_f16 v5, v5;
	;;#ASMEND
	buffer_load_dword v6, off, s[0:3], s32 offset:1244 ; 4-byte Folded Reload
	v_fmac_f32_e32 v13, v0, v5
	v_and_b32_e32 v0, 0xffff, v1
	s_waitcnt vmcnt(0)
	v_and_b32_e32 v6, 0xffff, v6
	;;#ASMSTART
	v_cvt_f32_f16 v6, v6;
	;;#ASMEND
	v_fmac_f32_e32 v14, v4, v6
	v_lshrrev_b32_e32 v4, 16, v1
	;;#ASMSTART
	v_cvt_f32_f16 v0, v0;
	;;#ASMEND
	;;#ASMSTART
	v_cvt_f32_f16 v1, v4;
	;;#ASMEND
	buffer_load_dword v4, off, s[0:3], s32 offset:1240 ; 4-byte Folded Reload
	s_waitcnt vmcnt(0)
	v_and_b32_e32 v4, 0xffff, v4
	;;#ASMSTART
	v_cvt_f32_f16 v4, v4;
	;;#ASMEND
	buffer_load_dword v5, off, s[0:3], s32 offset:1236 ; 4-byte Folded Reload
	v_fmac_f32_e32 v18, v0, v4
	v_and_b32_e32 v0, 0xffff, v2
	s_waitcnt vmcnt(0)
	v_and_b32_e32 v5, 0xffff, v5
	;;#ASMSTART
	v_cvt_f32_f16 v5, v5;
	;;#ASMEND
	v_fmac_f32_e32 v15, v1, v5
	v_lshrrev_b32_e32 v1, 16, v2
	;;#ASMSTART
	v_cvt_f32_f16 v0, v0;
	;;#ASMEND
	;;#ASMSTART
	v_cvt_f32_f16 v1, v1;
	;;#ASMEND
	buffer_load_dword v2, off, s[0:3], s32 offset:712 ; 4-byte Folded Reload
	s_waitcnt vmcnt(0)
	v_and_b32_e32 v2, 0xffff, v2
	;;#ASMSTART
	v_cvt_f32_f16 v2, v2;
	;;#ASMEND
	buffer_load_dword v4, off, s[0:3], s32 offset:692 ; 4-byte Folded Reload
	v_fmac_f32_e32 v20, v0, v2
	v_and_b32_e32 v0, 0xffff, v3
	s_waitcnt vmcnt(0)
	v_and_b32_e32 v4, 0xffff, v4
	;;#ASMSTART
	v_cvt_f32_f16 v4, v4;
	;;#ASMEND
	v_fmac_f32_e32 v19, v1, v4
	v_lshrrev_b32_e32 v1, 16, v3
	;;#ASMSTART
	v_cvt_f32_f16 v0, v0;
	;;#ASMEND
	;;#ASMSTART
	v_cvt_f32_f16 v1, v1;
	;;#ASMEND
	buffer_load_dword v2, off, s[0:3], s32 offset:688 ; 4-byte Folded Reload
	s_waitcnt vmcnt(0)
	v_and_b32_e32 v2, 0xffff, v2
	;;#ASMSTART
	v_cvt_f32_f16 v2, v2;
	;;#ASMEND
	buffer_load_dword v3, off, s[0:3], s32 offset:684 ; 4-byte Folded Reload
	v_fmac_f32_e32 v22, v0, v2
	s_waitcnt vmcnt(0)
	v_and_b32_e32 v3, 0xffff, v3
	;;#ASMSTART
	v_cvt_f32_f16 v3, v3;
	;;#ASMEND
	v_fmac_f32_e32 v21, v1, v3
	ds_read_b128 v[0:3], v8 offset:272
	s_waitcnt lgkmcnt(0)
	v_lshrrev_b32_e32 v4, 16, v0
	v_and_b32_e32 v0, 0xffff, v0
	;;#ASMSTART
	v_cvt_f32_f16 v0, v0;
	;;#ASMEND
	;;#ASMSTART
	v_cvt_f32_f16 v4, v4;
	;;#ASMEND
	buffer_load_dword v5, off, s[0:3], s32 offset:1232 ; 4-byte Folded Reload
	s_waitcnt vmcnt(0)
	v_and_b32_e32 v5, 0xffff, v5
	;;#ASMSTART
	v_cvt_f32_f16 v5, v5;
	;;#ASMEND
	buffer_load_dword v6, off, s[0:3], s32 offset:1228 ; 4-byte Folded Reload
	v_fmac_f32_e32 v13, v0, v5
	v_and_b32_e32 v0, 0xffff, v1
	s_waitcnt vmcnt(0)
	v_and_b32_e32 v6, 0xffff, v6
	;;#ASMSTART
	v_cvt_f32_f16 v6, v6;
	;;#ASMEND
	v_fmac_f32_e32 v14, v4, v6
	v_lshrrev_b32_e32 v4, 16, v1
	;;#ASMSTART
	v_cvt_f32_f16 v0, v0;
	;;#ASMEND
	;;#ASMSTART
	v_cvt_f32_f16 v1, v4;
	;;#ASMEND
	buffer_load_dword v4, off, s[0:3], s32 offset:1224 ; 4-byte Folded Reload
	s_waitcnt vmcnt(0)
	v_and_b32_e32 v4, 0xffff, v4
	;;#ASMSTART
	v_cvt_f32_f16 v4, v4;
	;;#ASMEND
	buffer_load_dword v5, off, s[0:3], s32 offset:1220 ; 4-byte Folded Reload
	v_fmac_f32_e32 v18, v0, v4
	v_and_b32_e32 v0, 0xffff, v2
	s_waitcnt vmcnt(0)
	v_and_b32_e32 v5, 0xffff, v5
	;;#ASMSTART
	v_cvt_f32_f16 v5, v5;
	;;#ASMEND
	v_fmac_f32_e32 v15, v1, v5
	v_lshrrev_b32_e32 v1, 16, v2
	;; [unrolled: 22-line block ×3, first 2 shown]
	;;#ASMSTART
	v_cvt_f32_f16 v0, v0;
	;;#ASMEND
	;;#ASMSTART
	v_cvt_f32_f16 v1, v1;
	;;#ASMEND
	buffer_load_dword v2, off, s[0:3], s32 offset:704 ; 4-byte Folded Reload
	s_waitcnt vmcnt(0)
	v_and_b32_e32 v2, 0xffff, v2
	;;#ASMSTART
	v_cvt_f32_f16 v2, v2;
	;;#ASMEND
	buffer_load_dword v3, off, s[0:3], s32 offset:700 ; 4-byte Folded Reload
	v_fmac_f32_e32 v22, v0, v2
	s_waitcnt vmcnt(0)
	v_and_b32_e32 v3, 0xffff, v3
	;;#ASMSTART
	v_cvt_f32_f16 v3, v3;
	;;#ASMEND
	v_fmac_f32_e32 v21, v1, v3
	ds_read_b128 v[0:3], v8 offset:288
	s_waitcnt lgkmcnt(0)
	v_lshrrev_b32_e32 v4, 16, v0
	v_and_b32_e32 v0, 0xffff, v0
	;;#ASMSTART
	v_cvt_f32_f16 v0, v0;
	;;#ASMEND
	;;#ASMSTART
	v_cvt_f32_f16 v4, v4;
	;;#ASMEND
	buffer_load_dword v5, off, s[0:3], s32 offset:1216 ; 4-byte Folded Reload
	s_waitcnt vmcnt(0)
	v_and_b32_e32 v5, 0xffff, v5
	;;#ASMSTART
	v_cvt_f32_f16 v5, v5;
	;;#ASMEND
	buffer_load_dword v6, off, s[0:3], s32 offset:1212 ; 4-byte Folded Reload
	v_fmac_f32_e32 v13, v0, v5
	v_and_b32_e32 v0, 0xffff, v1
	s_waitcnt vmcnt(0)
	v_and_b32_e32 v6, 0xffff, v6
	;;#ASMSTART
	v_cvt_f32_f16 v6, v6;
	;;#ASMEND
	v_fmac_f32_e32 v14, v4, v6
	v_lshrrev_b32_e32 v4, 16, v1
	;;#ASMSTART
	v_cvt_f32_f16 v0, v0;
	;;#ASMEND
	;;#ASMSTART
	v_cvt_f32_f16 v1, v4;
	;;#ASMEND
	buffer_load_dword v4, off, s[0:3], s32 offset:1208 ; 4-byte Folded Reload
	s_waitcnt vmcnt(0)
	v_and_b32_e32 v4, 0xffff, v4
	;;#ASMSTART
	v_cvt_f32_f16 v4, v4;
	;;#ASMEND
	buffer_load_dword v5, off, s[0:3], s32 offset:1204 ; 4-byte Folded Reload
	v_fmac_f32_e32 v18, v0, v4
	v_and_b32_e32 v0, 0xffff, v2
	s_waitcnt vmcnt(0)
	v_and_b32_e32 v5, 0xffff, v5
	;;#ASMSTART
	v_cvt_f32_f16 v5, v5;
	;;#ASMEND
	v_fmac_f32_e32 v15, v1, v5
	v_lshrrev_b32_e32 v1, 16, v2
	;; [unrolled: 22-line block ×3, first 2 shown]
	;;#ASMSTART
	v_cvt_f32_f16 v0, v0;
	;;#ASMEND
	;;#ASMSTART
	v_cvt_f32_f16 v2, v1;
	;;#ASMEND
	buffer_load_dword v1, off, s[0:3], s32 offset:720 ; 4-byte Folded Reload
	s_waitcnt vmcnt(0)
	v_and_b32_e32 v1, 0xffff, v1
	;;#ASMSTART
	v_cvt_f32_f16 v1, v1;
	;;#ASMEND
	buffer_load_dword v3, off, s[0:3], s32 offset:716 ; 4-byte Folded Reload
	v_fmac_f32_e32 v22, v0, v1
	s_waitcnt vmcnt(0)
	v_and_b32_e32 v3, 0xffff, v3
	;;#ASMSTART
	v_cvt_f32_f16 v3, v3;
	;;#ASMEND
	v_fmac_f32_e32 v21, v2, v3
	ds_read_b128 v[0:3], v8 offset:304
	s_waitcnt lgkmcnt(0)
	v_lshrrev_b32_e32 v4, 16, v0
	v_and_b32_e32 v0, 0xffff, v0
	;;#ASMSTART
	v_cvt_f32_f16 v0, v0;
	;;#ASMEND
	;;#ASMSTART
	v_cvt_f32_f16 v4, v4;
	;;#ASMEND
	buffer_load_dword v5, off, s[0:3], s32 offset:1200 ; 4-byte Folded Reload
	s_waitcnt vmcnt(0)
	v_and_b32_e32 v5, 0xffff, v5
	;;#ASMSTART
	v_cvt_f32_f16 v5, v5;
	;;#ASMEND
	buffer_load_dword v6, off, s[0:3], s32 offset:1196 ; 4-byte Folded Reload
	v_fmac_f32_e32 v13, v0, v5
	v_and_b32_e32 v0, 0xffff, v1
	s_waitcnt vmcnt(0)
	v_and_b32_e32 v6, 0xffff, v6
	;;#ASMSTART
	v_cvt_f32_f16 v6, v6;
	;;#ASMEND
	v_fmac_f32_e32 v14, v4, v6
	v_lshrrev_b32_e32 v4, 16, v1
	;;#ASMSTART
	v_cvt_f32_f16 v0, v0;
	;;#ASMEND
	;;#ASMSTART
	v_cvt_f32_f16 v1, v4;
	;;#ASMEND
	buffer_load_dword v4, off, s[0:3], s32 offset:1192 ; 4-byte Folded Reload
	s_waitcnt vmcnt(0)
	v_and_b32_e32 v4, 0xffff, v4
	;;#ASMSTART
	v_cvt_f32_f16 v4, v4;
	;;#ASMEND
	buffer_load_dword v5, off, s[0:3], s32 offset:1188 ; 4-byte Folded Reload
	v_fmac_f32_e32 v18, v0, v4
	v_and_b32_e32 v0, 0xffff, v2
	s_waitcnt vmcnt(0)
	v_and_b32_e32 v5, 0xffff, v5
	;;#ASMSTART
	v_cvt_f32_f16 v5, v5;
	;;#ASMEND
	v_fmac_f32_e32 v15, v1, v5
	v_lshrrev_b32_e32 v1, 16, v2
	;; [unrolled: 22-line block ×3, first 2 shown]
	;;#ASMSTART
	v_cvt_f32_f16 v0, v0;
	;;#ASMEND
	;;#ASMSTART
	v_cvt_f32_f16 v1, v1;
	;;#ASMEND
	buffer_load_dword v2, off, s[0:3], s32 offset:736 ; 4-byte Folded Reload
	s_waitcnt vmcnt(0)
	v_and_b32_e32 v2, 0xffff, v2
	;;#ASMSTART
	v_cvt_f32_f16 v2, v2;
	;;#ASMEND
	buffer_load_dword v3, off, s[0:3], s32 offset:732 ; 4-byte Folded Reload
	v_fmac_f32_e32 v22, v0, v2
	s_waitcnt vmcnt(0)
	v_and_b32_e32 v3, 0xffff, v3
	;;#ASMSTART
	v_cvt_f32_f16 v3, v3;
	;;#ASMEND
	v_fmac_f32_e32 v21, v1, v3
	ds_read_b128 v[0:3], v8 offset:320
	s_waitcnt lgkmcnt(0)
	v_lshrrev_b32_e32 v4, 16, v0
	v_and_b32_e32 v0, 0xffff, v0
	;;#ASMSTART
	v_cvt_f32_f16 v0, v0;
	;;#ASMEND
	;;#ASMSTART
	v_cvt_f32_f16 v4, v4;
	;;#ASMEND
	buffer_load_dword v5, off, s[0:3], s32 offset:1180 ; 4-byte Folded Reload
	s_waitcnt vmcnt(0)
	v_and_b32_e32 v5, 0xffff, v5
	;;#ASMSTART
	v_cvt_f32_f16 v5, v5;
	;;#ASMEND
	buffer_load_dword v6, off, s[0:3], s32 offset:1176 ; 4-byte Folded Reload
	v_fmac_f32_e32 v13, v0, v5
	v_and_b32_e32 v0, 0xffff, v1
	s_waitcnt vmcnt(0)
	v_and_b32_e32 v6, 0xffff, v6
	;;#ASMSTART
	v_cvt_f32_f16 v6, v6;
	;;#ASMEND
	v_fmac_f32_e32 v14, v4, v6
	v_lshrrev_b32_e32 v4, 16, v1
	;;#ASMSTART
	v_cvt_f32_f16 v0, v0;
	;;#ASMEND
	;;#ASMSTART
	v_cvt_f32_f16 v1, v4;
	;;#ASMEND
	buffer_load_dword v4, off, s[0:3], s32 offset:1172 ; 4-byte Folded Reload
	s_waitcnt vmcnt(0)
	v_and_b32_e32 v4, 0xffff, v4
	;;#ASMSTART
	v_cvt_f32_f16 v4, v4;
	;;#ASMEND
	buffer_load_dword v5, off, s[0:3], s32 offset:1168 ; 4-byte Folded Reload
	v_fmac_f32_e32 v18, v0, v4
	v_and_b32_e32 v0, 0xffff, v2
	s_waitcnt vmcnt(0)
	v_and_b32_e32 v5, 0xffff, v5
	;;#ASMSTART
	v_cvt_f32_f16 v5, v5;
	;;#ASMEND
	v_fmac_f32_e32 v15, v1, v5
	v_lshrrev_b32_e32 v1, 16, v2
	;;#ASMSTART
	v_cvt_f32_f16 v0, v0;
	;;#ASMEND
	;;#ASMSTART
	v_cvt_f32_f16 v1, v1;
	;;#ASMEND
	buffer_load_dword v2, off, s[0:3], s32 offset:1164 ; 4-byte Folded Reload
	s_waitcnt vmcnt(0)
	v_and_b32_e32 v2, 0xffff, v2
	;;#ASMSTART
	v_cvt_f32_f16 v2, v2;
	;;#ASMEND
	buffer_load_dword v4, off, s[0:3], s32 offset:1160 ; 4-byte Folded Reload
	v_fmac_f32_e32 v20, v0, v2
	v_and_b32_e32 v0, 0xffff, v3
	s_waitcnt vmcnt(0)
	v_and_b32_e32 v4, 0xffff, v4
	;;#ASMSTART
	v_cvt_f32_f16 v4, v4;
	;;#ASMEND
	v_fmac_f32_e32 v19, v1, v4
	v_lshrrev_b32_e32 v1, 16, v3
	;;#ASMSTART
	v_cvt_f32_f16 v0, v0;
	;;#ASMEND
	;;#ASMSTART
	v_cvt_f32_f16 v1, v1;
	;;#ASMEND
	buffer_load_dword v2, off, s[0:3], s32 offset:1156 ; 4-byte Folded Reload
	s_waitcnt vmcnt(0)
	v_and_b32_e32 v2, 0xffff, v2
	;;#ASMSTART
	v_cvt_f32_f16 v2, v2;
	;;#ASMEND
	buffer_load_dword v3, off, s[0:3], s32 offset:748 ; 4-byte Folded Reload
	v_fmac_f32_e32 v22, v0, v2
	s_waitcnt vmcnt(0)
	v_and_b32_e32 v3, 0xffff, v3
	;;#ASMSTART
	v_cvt_f32_f16 v3, v3;
	;;#ASMEND
	v_fmac_f32_e32 v21, v1, v3
	ds_read_b128 v[0:3], v8 offset:336
	s_waitcnt lgkmcnt(0)
	v_lshrrev_b32_e32 v4, 16, v0
	v_and_b32_e32 v0, 0xffff, v0
	;;#ASMSTART
	v_cvt_f32_f16 v0, v0;
	;;#ASMEND
	;;#ASMSTART
	v_cvt_f32_f16 v4, v4;
	;;#ASMEND
	buffer_load_dword v5, off, s[0:3], s32 offset:1152 ; 4-byte Folded Reload
	s_waitcnt vmcnt(0)
	v_and_b32_e32 v5, 0xffff, v5
	;;#ASMSTART
	v_cvt_f32_f16 v5, v5;
	;;#ASMEND
	buffer_load_dword v6, off, s[0:3], s32 offset:1148 ; 4-byte Folded Reload
	v_fmac_f32_e32 v13, v0, v5
	v_and_b32_e32 v0, 0xffff, v1
	s_waitcnt vmcnt(0)
	v_and_b32_e32 v6, 0xffff, v6
	;;#ASMSTART
	v_cvt_f32_f16 v6, v6;
	;;#ASMEND
	v_fmac_f32_e32 v14, v4, v6
	v_lshrrev_b32_e32 v4, 16, v1
	;;#ASMSTART
	v_cvt_f32_f16 v0, v0;
	;;#ASMEND
	;;#ASMSTART
	v_cvt_f32_f16 v1, v4;
	;;#ASMEND
	buffer_load_dword v4, off, s[0:3], s32 offset:1144 ; 4-byte Folded Reload
	s_waitcnt vmcnt(0)
	v_and_b32_e32 v4, 0xffff, v4
	;;#ASMSTART
	v_cvt_f32_f16 v4, v4;
	;;#ASMEND
	buffer_load_dword v5, off, s[0:3], s32 offset:1140 ; 4-byte Folded Reload
	v_fmac_f32_e32 v18, v0, v4
	v_and_b32_e32 v0, 0xffff, v2
	s_waitcnt vmcnt(0)
	v_and_b32_e32 v5, 0xffff, v5
	;;#ASMSTART
	v_cvt_f32_f16 v5, v5;
	;;#ASMEND
	v_fmac_f32_e32 v15, v1, v5
	v_lshrrev_b32_e32 v1, 16, v2
	;; [unrolled: 22-line block ×3, first 2 shown]
	;;#ASMSTART
	v_cvt_f32_f16 v0, v0;
	;;#ASMEND
	;;#ASMSTART
	v_cvt_f32_f16 v1, v1;
	;;#ASMEND
	buffer_load_dword v2, off, s[0:3], s32 offset:1128 ; 4-byte Folded Reload
	s_waitcnt vmcnt(0)
	v_and_b32_e32 v2, 0xffff, v2
	;;#ASMSTART
	v_cvt_f32_f16 v2, v2;
	;;#ASMEND
	buffer_load_dword v3, off, s[0:3], s32 offset:1124 ; 4-byte Folded Reload
	v_fmac_f32_e32 v22, v0, v2
	s_waitcnt vmcnt(0)
	v_and_b32_e32 v3, 0xffff, v3
	;;#ASMSTART
	v_cvt_f32_f16 v3, v3;
	;;#ASMEND
	v_fmac_f32_e32 v21, v1, v3
	ds_read_b128 v[0:3], v8 offset:352
	s_waitcnt lgkmcnt(0)
	v_lshrrev_b32_e32 v4, 16, v0
	v_and_b32_e32 v0, 0xffff, v0
	;;#ASMSTART
	v_cvt_f32_f16 v0, v0;
	;;#ASMEND
	;;#ASMSTART
	v_cvt_f32_f16 v4, v4;
	;;#ASMEND
	buffer_load_dword v5, off, s[0:3], s32 offset:1120 ; 4-byte Folded Reload
	s_waitcnt vmcnt(0)
	v_and_b32_e32 v5, 0xffff, v5
	;;#ASMSTART
	v_cvt_f32_f16 v5, v5;
	;;#ASMEND
	buffer_load_dword v6, off, s[0:3], s32 offset:1116 ; 4-byte Folded Reload
	v_fmac_f32_e32 v13, v0, v5
	v_and_b32_e32 v0, 0xffff, v1
	s_waitcnt vmcnt(0)
	v_and_b32_e32 v6, 0xffff, v6
	;;#ASMSTART
	v_cvt_f32_f16 v6, v6;
	;;#ASMEND
	v_fmac_f32_e32 v14, v4, v6
	v_lshrrev_b32_e32 v4, 16, v1
	;;#ASMSTART
	v_cvt_f32_f16 v0, v0;
	;;#ASMEND
	;;#ASMSTART
	v_cvt_f32_f16 v1, v4;
	;;#ASMEND
	buffer_load_dword v4, off, s[0:3], s32 offset:1112 ; 4-byte Folded Reload
	s_waitcnt vmcnt(0)
	v_and_b32_e32 v4, 0xffff, v4
	;;#ASMSTART
	v_cvt_f32_f16 v4, v4;
	;;#ASMEND
	buffer_load_dword v5, off, s[0:3], s32 offset:1108 ; 4-byte Folded Reload
	v_fmac_f32_e32 v18, v0, v4
	v_and_b32_e32 v0, 0xffff, v2
	s_waitcnt vmcnt(0)
	v_and_b32_e32 v5, 0xffff, v5
	;;#ASMSTART
	v_cvt_f32_f16 v5, v5;
	;;#ASMEND
	v_fmac_f32_e32 v15, v1, v5
	v_lshrrev_b32_e32 v1, 16, v2
	;; [unrolled: 22-line block ×3, first 2 shown]
	;;#ASMSTART
	v_cvt_f32_f16 v0, v0;
	;;#ASMEND
	;;#ASMSTART
	v_cvt_f32_f16 v1, v1;
	;;#ASMEND
	buffer_load_dword v2, off, s[0:3], s32 offset:1096 ; 4-byte Folded Reload
	s_waitcnt vmcnt(0)
	v_and_b32_e32 v2, 0xffff, v2
	;;#ASMSTART
	v_cvt_f32_f16 v2, v2;
	;;#ASMEND
	buffer_load_dword v3, off, s[0:3], s32 offset:1092 ; 4-byte Folded Reload
	v_fmac_f32_e32 v22, v0, v2
	s_waitcnt vmcnt(0)
	v_and_b32_e32 v3, 0xffff, v3
	;;#ASMSTART
	v_cvt_f32_f16 v3, v3;
	;;#ASMEND
	v_fmac_f32_e32 v21, v1, v3
	ds_read_b128 v[0:3], v8 offset:368
	s_waitcnt lgkmcnt(0)
	v_lshrrev_b32_e32 v4, 16, v0
	v_and_b32_e32 v0, 0xffff, v0
	;;#ASMSTART
	v_cvt_f32_f16 v0, v0;
	;;#ASMEND
	;;#ASMSTART
	v_cvt_f32_f16 v4, v4;
	;;#ASMEND
	buffer_load_dword v5, off, s[0:3], s32 offset:1088 ; 4-byte Folded Reload
	s_waitcnt vmcnt(0)
	v_and_b32_e32 v5, 0xffff, v5
	;;#ASMSTART
	v_cvt_f32_f16 v5, v5;
	;;#ASMEND
	buffer_load_dword v6, off, s[0:3], s32 offset:1084 ; 4-byte Folded Reload
	v_fmac_f32_e32 v13, v0, v5
	v_and_b32_e32 v0, 0xffff, v1
	s_waitcnt vmcnt(0)
	v_and_b32_e32 v6, 0xffff, v6
	;;#ASMSTART
	v_cvt_f32_f16 v6, v6;
	;;#ASMEND
	v_fmac_f32_e32 v14, v4, v6
	v_lshrrev_b32_e32 v4, 16, v1
	;;#ASMSTART
	v_cvt_f32_f16 v0, v0;
	;;#ASMEND
	;;#ASMSTART
	v_cvt_f32_f16 v1, v4;
	;;#ASMEND
	buffer_load_dword v4, off, s[0:3], s32 offset:1080 ; 4-byte Folded Reload
	s_waitcnt vmcnt(0)
	v_and_b32_e32 v4, 0xffff, v4
	;;#ASMSTART
	v_cvt_f32_f16 v4, v4;
	;;#ASMEND
	buffer_load_dword v5, off, s[0:3], s32 offset:1076 ; 4-byte Folded Reload
	v_fmac_f32_e32 v18, v0, v4
	v_and_b32_e32 v0, 0xffff, v2
	s_waitcnt vmcnt(0)
	v_and_b32_e32 v5, 0xffff, v5
	;;#ASMSTART
	v_cvt_f32_f16 v5, v5;
	;;#ASMEND
	v_fmac_f32_e32 v15, v1, v5
	v_lshrrev_b32_e32 v1, 16, v2
	;; [unrolled: 22-line block ×3, first 2 shown]
	;;#ASMSTART
	v_cvt_f32_f16 v0, v0;
	;;#ASMEND
	;;#ASMSTART
	v_cvt_f32_f16 v1, v1;
	;;#ASMEND
	buffer_load_dword v2, off, s[0:3], s32 offset:1064 ; 4-byte Folded Reload
	s_waitcnt vmcnt(0)
	v_and_b32_e32 v2, 0xffff, v2
	;;#ASMSTART
	v_cvt_f32_f16 v2, v2;
	;;#ASMEND
	buffer_load_dword v3, off, s[0:3], s32 offset:1060 ; 4-byte Folded Reload
	v_fmac_f32_e32 v22, v0, v2
	s_waitcnt vmcnt(0)
	v_and_b32_e32 v3, 0xffff, v3
	;;#ASMSTART
	v_cvt_f32_f16 v3, v3;
	;;#ASMEND
	v_fmac_f32_e32 v21, v1, v3
	ds_read_b128 v[0:3], v8 offset:384
	s_waitcnt lgkmcnt(0)
	v_lshrrev_b32_e32 v4, 16, v0
	v_and_b32_e32 v0, 0xffff, v0
	;;#ASMSTART
	v_cvt_f32_f16 v0, v0;
	;;#ASMEND
	;;#ASMSTART
	v_cvt_f32_f16 v4, v4;
	;;#ASMEND
	buffer_load_dword v5, off, s[0:3], s32 offset:1056 ; 4-byte Folded Reload
	s_waitcnt vmcnt(0)
	v_and_b32_e32 v5, 0xffff, v5
	;;#ASMSTART
	v_cvt_f32_f16 v5, v5;
	;;#ASMEND
	buffer_load_dword v6, off, s[0:3], s32 offset:1052 ; 4-byte Folded Reload
	v_fmac_f32_e32 v13, v0, v5
	v_and_b32_e32 v0, 0xffff, v1
	s_waitcnt vmcnt(0)
	v_and_b32_e32 v6, 0xffff, v6
	;;#ASMSTART
	v_cvt_f32_f16 v6, v6;
	;;#ASMEND
	v_fmac_f32_e32 v14, v4, v6
	v_lshrrev_b32_e32 v4, 16, v1
	;;#ASMSTART
	v_cvt_f32_f16 v0, v0;
	;;#ASMEND
	;;#ASMSTART
	v_cvt_f32_f16 v1, v4;
	;;#ASMEND
	buffer_load_dword v4, off, s[0:3], s32 offset:1048 ; 4-byte Folded Reload
	s_waitcnt vmcnt(0)
	v_and_b32_e32 v4, 0xffff, v4
	;;#ASMSTART
	v_cvt_f32_f16 v4, v4;
	;;#ASMEND
	buffer_load_dword v5, off, s[0:3], s32 offset:1044 ; 4-byte Folded Reload
	v_fmac_f32_e32 v18, v0, v4
	v_and_b32_e32 v0, 0xffff, v2
	s_waitcnt vmcnt(0)
	v_and_b32_e32 v5, 0xffff, v5
	;;#ASMSTART
	v_cvt_f32_f16 v5, v5;
	;;#ASMEND
	v_fmac_f32_e32 v15, v1, v5
	v_lshrrev_b32_e32 v1, 16, v2
	;;#ASMSTART
	v_cvt_f32_f16 v0, v0;
	;;#ASMEND
	;;#ASMSTART
	v_cvt_f32_f16 v1, v1;
	;;#ASMEND
	buffer_load_dword v2, off, s[0:3], s32 offset:1040 ; 4-byte Folded Reload
	s_waitcnt vmcnt(0)
	v_and_b32_e32 v2, 0xffff, v2
	;;#ASMSTART
	v_cvt_f32_f16 v2, v2;
	;;#ASMEND
	buffer_load_dword v4, off, s[0:3], s32 offset:1036 ; 4-byte Folded Reload
	v_fmac_f32_e32 v20, v0, v2
	v_lshrrev_b32_e32 v0, 16, v3
	s_waitcnt vmcnt(0)
	v_and_b32_e32 v4, 0xffff, v4
	;;#ASMSTART
	v_cvt_f32_f16 v4, v4;
	;;#ASMEND
	v_fmac_f32_e32 v19, v1, v4
	v_and_b32_e32 v1, 0xffff, v3
	;;#ASMSTART
	v_cvt_f32_f16 v2, v1;
	;;#ASMEND
	;;#ASMSTART
	v_cvt_f32_f16 v0, v0;
	;;#ASMEND
	buffer_load_dword v1, off, s[0:3], s32 offset:1032 ; 4-byte Folded Reload
	s_waitcnt vmcnt(0)
	v_and_b32_e32 v1, 0xffff, v1
	;;#ASMSTART
	v_cvt_f32_f16 v1, v1;
	;;#ASMEND
	buffer_load_dword v3, off, s[0:3], s32 offset:1028 ; 4-byte Folded Reload
	v_fmac_f32_e32 v22, v2, v1
	s_waitcnt vmcnt(0)
	v_and_b32_e32 v3, 0xffff, v3
	;;#ASMSTART
	v_cvt_f32_f16 v3, v3;
	;;#ASMEND
	v_fmac_f32_e32 v21, v0, v3
	ds_read_b128 v[0:3], v8 offset:400
	s_waitcnt lgkmcnt(0)
	v_lshrrev_b32_e32 v4, 16, v0
	v_and_b32_e32 v0, 0xffff, v0
	;;#ASMSTART
	v_cvt_f32_f16 v0, v0;
	;;#ASMEND
	;;#ASMSTART
	v_cvt_f32_f16 v4, v4;
	;;#ASMEND
	buffer_load_dword v5, off, s[0:3], s32 offset:1024 ; 4-byte Folded Reload
	s_waitcnt vmcnt(0)
	v_and_b32_e32 v5, 0xffff, v5
	;;#ASMSTART
	v_cvt_f32_f16 v5, v5;
	;;#ASMEND
	buffer_load_dword v6, off, s[0:3], s32 offset:1020 ; 4-byte Folded Reload
	v_fmac_f32_e32 v13, v0, v5
	v_and_b32_e32 v0, 0xffff, v1
	s_waitcnt vmcnt(0)
	v_and_b32_e32 v6, 0xffff, v6
	;;#ASMSTART
	v_cvt_f32_f16 v6, v6;
	;;#ASMEND
	v_fmac_f32_e32 v14, v4, v6
	v_lshrrev_b32_e32 v4, 16, v1
	;;#ASMSTART
	v_cvt_f32_f16 v0, v0;
	;;#ASMEND
	;;#ASMSTART
	v_cvt_f32_f16 v1, v4;
	;;#ASMEND
	buffer_load_dword v4, off, s[0:3], s32 offset:1016 ; 4-byte Folded Reload
	s_waitcnt vmcnt(0)
	v_and_b32_e32 v4, 0xffff, v4
	;;#ASMSTART
	v_cvt_f32_f16 v4, v4;
	;;#ASMEND
	buffer_load_dword v5, off, s[0:3], s32 offset:1012 ; 4-byte Folded Reload
	v_fmac_f32_e32 v18, v0, v4
	v_and_b32_e32 v0, 0xffff, v2
	s_waitcnt vmcnt(0)
	v_and_b32_e32 v5, 0xffff, v5
	;;#ASMSTART
	v_cvt_f32_f16 v5, v5;
	;;#ASMEND
	v_fmac_f32_e32 v15, v1, v5
	v_lshrrev_b32_e32 v1, 16, v2
	;; [unrolled: 22-line block ×3, first 2 shown]
	;;#ASMSTART
	v_cvt_f32_f16 v0, v0;
	;;#ASMEND
	;;#ASMSTART
	v_cvt_f32_f16 v1, v1;
	;;#ASMEND
	buffer_load_dword v2, off, s[0:3], s32 offset:1000 ; 4-byte Folded Reload
	s_waitcnt vmcnt(0)
	v_and_b32_e32 v2, 0xffff, v2
	;;#ASMSTART
	v_cvt_f32_f16 v2, v2;
	;;#ASMEND
	buffer_load_dword v3, off, s[0:3], s32 offset:996 ; 4-byte Folded Reload
	v_fmac_f32_e32 v22, v0, v2
	s_waitcnt vmcnt(0)
	v_and_b32_e32 v3, 0xffff, v3
	;;#ASMSTART
	v_cvt_f32_f16 v3, v3;
	;;#ASMEND
	v_fmac_f32_e32 v21, v1, v3
	ds_read_b128 v[0:3], v8 offset:416
	s_waitcnt lgkmcnt(0)
	v_lshrrev_b32_e32 v4, 16, v0
	v_and_b32_e32 v0, 0xffff, v0
	;;#ASMSTART
	v_cvt_f32_f16 v0, v0;
	;;#ASMEND
	;;#ASMSTART
	v_cvt_f32_f16 v4, v4;
	;;#ASMEND
	buffer_load_dword v5, off, s[0:3], s32 offset:992 ; 4-byte Folded Reload
	s_waitcnt vmcnt(0)
	v_and_b32_e32 v5, 0xffff, v5
	;;#ASMSTART
	v_cvt_f32_f16 v5, v5;
	;;#ASMEND
	buffer_load_dword v6, off, s[0:3], s32 offset:988 ; 4-byte Folded Reload
	v_fmac_f32_e32 v13, v0, v5
	v_and_b32_e32 v0, 0xffff, v1
	s_waitcnt vmcnt(0)
	v_and_b32_e32 v6, 0xffff, v6
	;;#ASMSTART
	v_cvt_f32_f16 v6, v6;
	;;#ASMEND
	v_fmac_f32_e32 v14, v4, v6
	v_lshrrev_b32_e32 v4, 16, v1
	;;#ASMSTART
	v_cvt_f32_f16 v0, v0;
	;;#ASMEND
	;;#ASMSTART
	v_cvt_f32_f16 v1, v4;
	;;#ASMEND
	buffer_load_dword v4, off, s[0:3], s32 offset:984 ; 4-byte Folded Reload
	s_waitcnt vmcnt(0)
	v_and_b32_e32 v4, 0xffff, v4
	;;#ASMSTART
	v_cvt_f32_f16 v4, v4;
	;;#ASMEND
	buffer_load_dword v5, off, s[0:3], s32 offset:980 ; 4-byte Folded Reload
	v_fmac_f32_e32 v18, v0, v4
	v_and_b32_e32 v0, 0xffff, v2
	s_waitcnt vmcnt(0)
	v_and_b32_e32 v5, 0xffff, v5
	;;#ASMSTART
	v_cvt_f32_f16 v5, v5;
	;;#ASMEND
	v_fmac_f32_e32 v15, v1, v5
	v_lshrrev_b32_e32 v1, 16, v2
	;;#ASMSTART
	v_cvt_f32_f16 v0, v0;
	;;#ASMEND
	;;#ASMSTART
	v_cvt_f32_f16 v1, v1;
	;;#ASMEND
	buffer_load_dword v2, off, s[0:3], s32 offset:976 ; 4-byte Folded Reload
	s_waitcnt vmcnt(0)
	v_and_b32_e32 v2, 0xffff, v2
	;;#ASMSTART
	v_cvt_f32_f16 v2, v2;
	;;#ASMEND
	buffer_load_dword v4, off, s[0:3], s32 offset:972 ; 4-byte Folded Reload
	v_fmac_f32_e32 v20, v0, v2
	v_and_b32_e32 v0, 0xffff, v3
	s_waitcnt vmcnt(0)
	v_and_b32_e32 v4, 0xffff, v4
	;;#ASMSTART
	v_cvt_f32_f16 v4, v4;
	;;#ASMEND
	v_fmac_f32_e32 v19, v1, v4
	v_lshrrev_b32_e32 v1, 16, v3
	;;#ASMSTART
	v_cvt_f32_f16 v0, v0;
	;;#ASMEND
	;;#ASMSTART
	v_cvt_f32_f16 v1, v1;
	;;#ASMEND
	buffer_load_dword v2, off, s[0:3], s32 offset:968 ; 4-byte Folded Reload
	s_waitcnt vmcnt(0)
	v_and_b32_e32 v2, 0xffff, v2
	;;#ASMSTART
	v_cvt_f32_f16 v2, v2;
	;;#ASMEND
	buffer_load_dword v3, off, s[0:3], s32 offset:964 ; 4-byte Folded Reload
	v_fmac_f32_e32 v22, v0, v2
	s_waitcnt vmcnt(0)
	v_and_b32_e32 v3, 0xffff, v3
	;;#ASMSTART
	v_cvt_f32_f16 v3, v3;
	;;#ASMEND
	v_fmac_f32_e32 v21, v1, v3
	ds_read_b128 v[0:3], v8 offset:432
	s_waitcnt lgkmcnt(0)
	v_lshrrev_b32_e32 v4, 16, v0
	v_and_b32_e32 v0, 0xffff, v0
	;;#ASMSTART
	v_cvt_f32_f16 v0, v0;
	;;#ASMEND
	;;#ASMSTART
	v_cvt_f32_f16 v4, v4;
	;;#ASMEND
	buffer_load_dword v5, off, s[0:3], s32 offset:960 ; 4-byte Folded Reload
	s_waitcnt vmcnt(0)
	v_and_b32_e32 v5, 0xffff, v5
	;;#ASMSTART
	v_cvt_f32_f16 v5, v5;
	;;#ASMEND
	buffer_load_dword v6, off, s[0:3], s32 offset:956 ; 4-byte Folded Reload
	v_fmac_f32_e32 v13, v0, v5
	v_and_b32_e32 v0, 0xffff, v1
	s_waitcnt vmcnt(0)
	v_and_b32_e32 v6, 0xffff, v6
	;;#ASMSTART
	v_cvt_f32_f16 v6, v6;
	;;#ASMEND
	v_fmac_f32_e32 v14, v4, v6
	v_lshrrev_b32_e32 v4, 16, v1
	;;#ASMSTART
	v_cvt_f32_f16 v0, v0;
	;;#ASMEND
	;;#ASMSTART
	v_cvt_f32_f16 v1, v4;
	;;#ASMEND
	buffer_load_dword v4, off, s[0:3], s32 offset:952 ; 4-byte Folded Reload
	s_waitcnt vmcnt(0)
	v_and_b32_e32 v4, 0xffff, v4
	;;#ASMSTART
	v_cvt_f32_f16 v4, v4;
	;;#ASMEND
	buffer_load_dword v5, off, s[0:3], s32 offset:948 ; 4-byte Folded Reload
	v_fmac_f32_e32 v18, v0, v4
	v_and_b32_e32 v0, 0xffff, v2
	s_waitcnt vmcnt(0)
	v_and_b32_e32 v5, 0xffff, v5
	;;#ASMSTART
	v_cvt_f32_f16 v5, v5;
	;;#ASMEND
	v_fmac_f32_e32 v15, v1, v5
	v_lshrrev_b32_e32 v1, 16, v2
	;; [unrolled: 22-line block ×3, first 2 shown]
	;;#ASMSTART
	v_cvt_f32_f16 v0, v0;
	;;#ASMEND
	;;#ASMSTART
	v_cvt_f32_f16 v1, v1;
	;;#ASMEND
	buffer_load_dword v2, off, s[0:3], s32 offset:936 ; 4-byte Folded Reload
	s_waitcnt vmcnt(0)
	v_and_b32_e32 v2, 0xffff, v2
	;;#ASMSTART
	v_cvt_f32_f16 v2, v2;
	;;#ASMEND
	buffer_load_dword v3, off, s[0:3], s32 offset:932 ; 4-byte Folded Reload
	v_fmac_f32_e32 v22, v0, v2
	s_waitcnt vmcnt(0)
	v_and_b32_e32 v3, 0xffff, v3
	;;#ASMSTART
	v_cvt_f32_f16 v3, v3;
	;;#ASMEND
	v_fmac_f32_e32 v21, v1, v3
	ds_read_b128 v[0:3], v8 offset:448
	s_waitcnt lgkmcnt(0)
	v_lshrrev_b32_e32 v4, 16, v0
	v_and_b32_e32 v0, 0xffff, v0
	;;#ASMSTART
	v_cvt_f32_f16 v0, v0;
	;;#ASMEND
	;;#ASMSTART
	v_cvt_f32_f16 v4, v4;
	;;#ASMEND
	buffer_load_dword v5, off, s[0:3], s32 offset:928 ; 4-byte Folded Reload
	s_waitcnt vmcnt(0)
	v_and_b32_e32 v5, 0xffff, v5
	;;#ASMSTART
	v_cvt_f32_f16 v5, v5;
	;;#ASMEND
	buffer_load_dword v6, off, s[0:3], s32 offset:924 ; 4-byte Folded Reload
	v_fmac_f32_e32 v13, v0, v5
	v_and_b32_e32 v0, 0xffff, v1
	s_waitcnt vmcnt(0)
	v_and_b32_e32 v6, 0xffff, v6
	;;#ASMSTART
	v_cvt_f32_f16 v6, v6;
	;;#ASMEND
	v_fmac_f32_e32 v14, v4, v6
	v_lshrrev_b32_e32 v4, 16, v1
	;;#ASMSTART
	v_cvt_f32_f16 v0, v0;
	;;#ASMEND
	;;#ASMSTART
	v_cvt_f32_f16 v1, v4;
	;;#ASMEND
	buffer_load_dword v4, off, s[0:3], s32 offset:920 ; 4-byte Folded Reload
	s_waitcnt vmcnt(0)
	v_and_b32_e32 v4, 0xffff, v4
	;;#ASMSTART
	v_cvt_f32_f16 v4, v4;
	;;#ASMEND
	buffer_load_dword v5, off, s[0:3], s32 offset:916 ; 4-byte Folded Reload
	v_fmac_f32_e32 v18, v0, v4
	v_and_b32_e32 v0, 0xffff, v2
	s_waitcnt vmcnt(0)
	v_and_b32_e32 v5, 0xffff, v5
	;;#ASMSTART
	v_cvt_f32_f16 v5, v5;
	;;#ASMEND
	v_fmac_f32_e32 v15, v1, v5
	v_lshrrev_b32_e32 v1, 16, v2
	;;#ASMSTART
	v_cvt_f32_f16 v0, v0;
	;;#ASMEND
	;;#ASMSTART
	v_cvt_f32_f16 v1, v1;
	;;#ASMEND
	buffer_load_dword v2, off, s[0:3], s32 offset:912 ; 4-byte Folded Reload
	s_waitcnt vmcnt(0)
	v_and_b32_e32 v2, 0xffff, v2
	;;#ASMSTART
	v_cvt_f32_f16 v2, v2;
	;;#ASMEND
	buffer_load_dword v4, off, s[0:3], s32 offset:908 ; 4-byte Folded Reload
	v_fmac_f32_e32 v20, v0, v2
	v_and_b32_e32 v0, 0xffff, v3
	s_waitcnt vmcnt(0)
	v_and_b32_e32 v4, 0xffff, v4
	;;#ASMSTART
	v_cvt_f32_f16 v4, v4;
	;;#ASMEND
	v_fmac_f32_e32 v19, v1, v4
	v_lshrrev_b32_e32 v1, 16, v3
	;;#ASMSTART
	v_cvt_f32_f16 v0, v0;
	;;#ASMEND
	;;#ASMSTART
	v_cvt_f32_f16 v1, v1;
	;;#ASMEND
	buffer_load_dword v2, off, s[0:3], s32 offset:904 ; 4-byte Folded Reload
	s_waitcnt vmcnt(0)
	v_and_b32_e32 v2, 0xffff, v2
	;;#ASMSTART
	v_cvt_f32_f16 v2, v2;
	;;#ASMEND
	buffer_load_dword v3, off, s[0:3], s32 offset:900 ; 4-byte Folded Reload
	v_fmac_f32_e32 v22, v0, v2
	s_waitcnt vmcnt(0)
	v_and_b32_e32 v3, 0xffff, v3
	;;#ASMSTART
	v_cvt_f32_f16 v3, v3;
	;;#ASMEND
	v_fmac_f32_e32 v21, v1, v3
	ds_read_b128 v[0:3], v8 offset:464
	s_waitcnt lgkmcnt(0)
	v_lshrrev_b32_e32 v4, 16, v0
	v_and_b32_e32 v0, 0xffff, v0
	;;#ASMSTART
	v_cvt_f32_f16 v0, v0;
	;;#ASMEND
	;;#ASMSTART
	v_cvt_f32_f16 v4, v4;
	;;#ASMEND
	buffer_load_dword v5, off, s[0:3], s32 offset:896 ; 4-byte Folded Reload
	s_waitcnt vmcnt(0)
	v_and_b32_e32 v5, 0xffff, v5
	;;#ASMSTART
	v_cvt_f32_f16 v5, v5;
	;;#ASMEND
	buffer_load_dword v6, off, s[0:3], s32 offset:892 ; 4-byte Folded Reload
	v_fmac_f32_e32 v13, v0, v5
	v_and_b32_e32 v0, 0xffff, v1
	s_waitcnt vmcnt(0)
	v_and_b32_e32 v6, 0xffff, v6
	;;#ASMSTART
	v_cvt_f32_f16 v6, v6;
	;;#ASMEND
	v_fmac_f32_e32 v14, v4, v6
	v_lshrrev_b32_e32 v4, 16, v1
	;;#ASMSTART
	v_cvt_f32_f16 v0, v0;
	;;#ASMEND
	;;#ASMSTART
	v_cvt_f32_f16 v1, v4;
	;;#ASMEND
	buffer_load_dword v4, off, s[0:3], s32 offset:888 ; 4-byte Folded Reload
	s_waitcnt vmcnt(0)
	v_and_b32_e32 v4, 0xffff, v4
	;;#ASMSTART
	v_cvt_f32_f16 v4, v4;
	;;#ASMEND
	buffer_load_dword v5, off, s[0:3], s32 offset:884 ; 4-byte Folded Reload
	v_fmac_f32_e32 v18, v0, v4
	v_and_b32_e32 v0, 0xffff, v2
	s_waitcnt vmcnt(0)
	v_and_b32_e32 v5, 0xffff, v5
	;;#ASMSTART
	v_cvt_f32_f16 v5, v5;
	;;#ASMEND
	v_fmac_f32_e32 v15, v1, v5
	v_lshrrev_b32_e32 v1, 16, v2
	;; [unrolled: 22-line block ×3, first 2 shown]
	;;#ASMSTART
	v_cvt_f32_f16 v0, v0;
	;;#ASMEND
	;;#ASMSTART
	v_cvt_f32_f16 v1, v1;
	;;#ASMEND
	buffer_load_dword v2, off, s[0:3], s32 offset:872 ; 4-byte Folded Reload
	s_waitcnt vmcnt(0)
	v_and_b32_e32 v2, 0xffff, v2
	;;#ASMSTART
	v_cvt_f32_f16 v2, v2;
	;;#ASMEND
	buffer_load_dword v3, off, s[0:3], s32 offset:868 ; 4-byte Folded Reload
	v_fmac_f32_e32 v22, v0, v2
	s_waitcnt vmcnt(0)
	v_and_b32_e32 v3, 0xffff, v3
	;;#ASMSTART
	v_cvt_f32_f16 v3, v3;
	;;#ASMEND
	v_fmac_f32_e32 v21, v1, v3
	ds_read_b128 v[0:3], v8 offset:480
	s_waitcnt lgkmcnt(0)
	v_lshrrev_b32_e32 v4, 16, v0
	v_and_b32_e32 v0, 0xffff, v0
	;;#ASMSTART
	v_cvt_f32_f16 v0, v0;
	;;#ASMEND
	;;#ASMSTART
	v_cvt_f32_f16 v4, v4;
	;;#ASMEND
	buffer_load_dword v5, off, s[0:3], s32 offset:864 ; 4-byte Folded Reload
	s_waitcnt vmcnt(0)
	v_and_b32_e32 v5, 0xffff, v5
	;;#ASMSTART
	v_cvt_f32_f16 v5, v5;
	;;#ASMEND
	buffer_load_dword v6, off, s[0:3], s32 offset:860 ; 4-byte Folded Reload
	v_fmac_f32_e32 v13, v0, v5
	v_and_b32_e32 v0, 0xffff, v1
	s_waitcnt vmcnt(0)
	v_and_b32_e32 v6, 0xffff, v6
	;;#ASMSTART
	v_cvt_f32_f16 v6, v6;
	;;#ASMEND
	v_fmac_f32_e32 v14, v4, v6
	v_lshrrev_b32_e32 v4, 16, v1
	;;#ASMSTART
	v_cvt_f32_f16 v0, v0;
	;;#ASMEND
	;;#ASMSTART
	v_cvt_f32_f16 v1, v4;
	;;#ASMEND
	buffer_load_dword v4, off, s[0:3], s32 offset:856 ; 4-byte Folded Reload
	s_waitcnt vmcnt(0)
	v_and_b32_e32 v4, 0xffff, v4
	;;#ASMSTART
	v_cvt_f32_f16 v4, v4;
	;;#ASMEND
	buffer_load_dword v5, off, s[0:3], s32 offset:852 ; 4-byte Folded Reload
	v_fmac_f32_e32 v18, v0, v4
	v_and_b32_e32 v0, 0xffff, v2
	s_waitcnt vmcnt(0)
	v_and_b32_e32 v5, 0xffff, v5
	;;#ASMSTART
	v_cvt_f32_f16 v5, v5;
	;;#ASMEND
	v_fmac_f32_e32 v15, v1, v5
	v_lshrrev_b32_e32 v1, 16, v2
	;; [unrolled: 22-line block ×3, first 2 shown]
	;;#ASMSTART
	v_cvt_f32_f16 v0, v0;
	;;#ASMEND
	;;#ASMSTART
	v_cvt_f32_f16 v1, v1;
	;;#ASMEND
	buffer_load_dword v2, off, s[0:3], s32 offset:840 ; 4-byte Folded Reload
	s_waitcnt vmcnt(0)
	v_and_b32_e32 v2, 0xffff, v2
	;;#ASMSTART
	v_cvt_f32_f16 v2, v2;
	;;#ASMEND
	buffer_load_dword v3, off, s[0:3], s32 offset:836 ; 4-byte Folded Reload
	v_fmac_f32_e32 v22, v0, v2
	s_waitcnt vmcnt(0)
	v_and_b32_e32 v3, 0xffff, v3
	;;#ASMSTART
	v_cvt_f32_f16 v3, v3;
	;;#ASMEND
	v_fmac_f32_e32 v21, v1, v3
	ds_read_b128 v[0:3], v8 offset:496
	s_waitcnt lgkmcnt(0)
	v_lshrrev_b32_e32 v4, 16, v0
	v_and_b32_e32 v0, 0xffff, v0
	;;#ASMSTART
	v_cvt_f32_f16 v0, v0;
	;;#ASMEND
	;;#ASMSTART
	v_cvt_f32_f16 v4, v4;
	;;#ASMEND
	buffer_load_dword v5, off, s[0:3], s32 offset:272 ; 4-byte Folded Reload
	s_waitcnt vmcnt(0)
	v_and_b32_e32 v5, 0xffff, v5
	;;#ASMSTART
	v_cvt_f32_f16 v5, v5;
	;;#ASMEND
	buffer_load_dword v6, off, s[0:3], s32 offset:268 ; 4-byte Folded Reload
	v_fmac_f32_e32 v13, v0, v5
	v_and_b32_e32 v0, 0xffff, v1
	s_waitcnt vmcnt(0)
	v_and_b32_e32 v6, 0xffff, v6
	;;#ASMSTART
	v_cvt_f32_f16 v6, v6;
	;;#ASMEND
	v_fmac_f32_e32 v14, v4, v6
	v_lshrrev_b32_e32 v4, 16, v1
	;;#ASMSTART
	v_cvt_f32_f16 v0, v0;
	;;#ASMEND
	;;#ASMSTART
	v_cvt_f32_f16 v1, v4;
	;;#ASMEND
	buffer_load_dword v4, off, s[0:3], s32 offset:264 ; 4-byte Folded Reload
	s_waitcnt vmcnt(0)
	v_and_b32_e32 v4, 0xffff, v4
	;;#ASMSTART
	v_cvt_f32_f16 v4, v4;
	;;#ASMEND
	buffer_load_dword v5, off, s[0:3], s32 offset:260 ; 4-byte Folded Reload
	v_fmac_f32_e32 v18, v0, v4
	v_and_b32_e32 v0, 0xffff, v2
	s_waitcnt vmcnt(0)
	v_and_b32_e32 v5, 0xffff, v5
	;;#ASMSTART
	v_cvt_f32_f16 v5, v5;
	;;#ASMEND
	v_fmac_f32_e32 v15, v1, v5
	v_lshrrev_b32_e32 v1, 16, v2
	;; [unrolled: 22-line block ×3, first 2 shown]
	;;#ASMSTART
	v_cvt_f32_f16 v0, v0;
	;;#ASMEND
	;;#ASMSTART
	v_cvt_f32_f16 v1, v1;
	;;#ASMEND
	buffer_load_dword v2, off, s[0:3], s32 offset:248 ; 4-byte Folded Reload
	v_and_b32_e32 v3, 0xffff, v85
	s_waitcnt vmcnt(0)
	v_and_b32_e32 v2, 0xffff, v2
	;;#ASMSTART
	v_cvt_f32_f16 v2, v2;
	;;#ASMEND
	;;#ASMSTART
	v_cvt_f32_f16 v3, v3;
	;;#ASMEND
	v_fmac_f32_e32 v21, v1, v3
	buffer_load_dword v1, off, s[0:3], s32 offset:1276 ; 4-byte Folded Reload
	v_fmac_f32_e32 v22, v0, v2
	v_add_f32_e32 v0, v13, v14
	v_add_f32_e32 v0, v0, v18
	;; [unrolled: 1-line block ×5, first 2 shown]
	buffer_load_dword v19, off, s[0:3], s32 offset:828 ; 4-byte Folded Reload
	v_add_f32_e32 v0, v0, v22
	v_add_f32_e32 v0, v21, v0
	s_waitcnt vmcnt(1)
	v_fmac_f32_e32 v54, v1, v0
	buffer_load_dword v1, off, s[0:3], s32 offset:244 ; 4-byte Folded Reload
	v_cndmask_b32_e64 v0, 0, v54, s5
	s_waitcnt vmcnt(0)
	ds_write_b32 v1, v0
	v_max_f32_e32 v0, v19, v19
	v_max_f32_e32 v0, v0, v54
	v_cndmask_b32_e64 v19, v19, v0, s5
.LBB314_15:                             ;   in Loop: Header=BB314_16 Depth=1
	s_or_b32 exec_lo, exec_lo, s6
	s_clause 0x1
	buffer_load_dword v1, off, s[0:3], s32 offset:236
	buffer_load_dword v0, off, s[0:3], s32 offset:224
	v_add_co_u32 v28, s6, v28, 16
	v_add_co_ci_u32_e64 v29, null, 0, v29, s6
	v_add_nc_u32_e32 v45, 0x80, v45
	v_add_nc_u32_e32 v17, 0x200, v17
	s_waitcnt vmcnt(1)
	v_add_nc_u32_e32 v1, 4, v1
	s_waitcnt vmcnt(0)
	v_cmp_ge_i32_e64 s5, v1, v0
	s_or_b32 s23, s5, s23
	s_andn2_b32 exec_lo, exec_lo, s23
	s_cbranch_execz .LBB314_2064
.LBB314_16:                             ; =>This Inner Loop Header: Depth=1
	buffer_store_dword v1, off, s[0:3], s32 offset:236 ; 4-byte Folded Spill
	s_clause 0x2
	buffer_load_dword v1, off, s[0:3], s32 offset:228
	buffer_load_dword v4, off, s[0:3], s32 offset:208
	;; [unrolled: 1-line block ×3, first 2 shown]
	v_sub_nc_u32_e32 v0, 0, v45
	v_max_i32_e32 v0, v45, v0
	s_waitcnt vmcnt(2)
	v_mul_hi_u32 v1, v0, v1
	s_waitcnt vmcnt(1)
	v_mul_lo_u32 v2, v1, v4
	v_sub_nc_u32_e32 v0, v0, v2
	v_add_nc_u32_e32 v2, 1, v1
	v_sub_nc_u32_e32 v3, v0, v4
	v_cmp_ge_u32_e64 s5, v0, v4
	v_cndmask_b32_e64 v1, v1, v2, s5
	v_cndmask_b32_e64 v0, v0, v3, s5
	v_ashrrev_i32_e32 v2, 31, v45
	v_add_nc_u32_e32 v3, 1, v1
	v_cmp_ge_u32_e64 s5, v0, v4
	s_waitcnt vmcnt(0)
	v_xor_b32_e32 v2, v2, v5
	v_cndmask_b32_e64 v0, v1, v3, s5
	v_xor_b32_e32 v0, v0, v2
	v_sub_nc_u32_e32 v0, v0, v2
	s_clause 0x3
	buffer_load_dword v1, off, s[0:3], s32 offset:212
	buffer_load_dword v2, off, s[0:3], s32 offset:216
	;; [unrolled: 1-line block ×4, first 2 shown]
	s_waitcnt vmcnt(3)
	v_add_nc_u32_e32 v1, v0, v1
	s_waitcnt vmcnt(2)
	v_sub_nc_u32_e32 v2, 0, v1
	v_max_i32_e32 v2, v1, v2
	v_ashrrev_i32_e32 v1, 31, v1
	s_waitcnt vmcnt(1)
	v_mul_hi_u32 v3, v2, v3
	s_waitcnt vmcnt(0)
	v_mul_lo_u32 v3, v3, v4
	v_sub_nc_u32_e32 v2, v2, v3
	v_sub_nc_u32_e32 v3, v2, v4
	v_cmp_ge_u32_e64 s5, v2, v4
	v_cndmask_b32_e64 v2, v2, v3, s5
	v_sub_nc_u32_e32 v3, v2, v4
	v_cmp_ge_u32_e64 s5, v2, v4
	v_cndmask_b32_e64 v2, v2, v3, s5
	v_xor_b32_e32 v2, v2, v1
	v_sub_nc_u32_e32 v1, v2, v1
	v_cmp_ne_u32_e64 s5, 0, v1
	buffer_load_dword v1, off, s[0:3], s32 offset:232 ; 4-byte Folded Reload
	s_waitcnt vmcnt(0)
	v_cmp_le_i32_e64 s6, v0, v1
	s_and_b32 s5, s5, s6
	s_and_saveexec_b32 s6, s5
	s_xor_b32 s5, exec_lo, s6
	s_cbranch_execz .LBB314_18
; %bb.17:                               ;   in Loop: Header=BB314_16 Depth=1
	s_waitcnt lgkmcnt(0)
	v_add_nc_u32_e32 v0, s11, v17
	v_mov_b32_e32 v1, 0xff7fffff
	ds_write_b32 v0, v1
.LBB314_18:                             ;   in Loop: Header=BB314_16 Depth=1
	s_andn2_saveexec_b32 s6, s5
	s_cbranch_execz .LBB314_15
; %bb.19:                               ;   in Loop: Header=BB314_16 Depth=1
	buffer_store_dword v17, off, s[0:3], s32 offset:832 ; 4-byte Folded Spill
	buffer_store_dword v19, off, s[0:3], s32 offset:828 ; 4-byte Folded Spill
	flat_load_dword v0, v[28:29]
	s_clause 0x2
	buffer_load_dword v1, off, s[0:3], s32 offset:816
	buffer_load_dword v2, off, s[0:3], s32 offset:1288
	;; [unrolled: 1-line block ×3, first 2 shown]
	v_mov_b32_e32 v54, 0
	s_waitcnt vmcnt(0) lgkmcnt(0)
	v_mad_i64_i32 v[31:32], null, v0, v1, v[2:3]
	flat_load_dwordx2 v[33:34], v[31:32]
	s_clause 0x1
	buffer_load_dword v0, off, s[0:3], s32 offset:1268
	buffer_load_dword v1, off, s[0:3], s32 offset:1272
	s_waitcnt vmcnt(2) lgkmcnt(0)
	v_cmp_ne_u16_sdwa s5, v33, v8 src0_sel:BYTE_0 src1_sel:DWORD
	s_waitcnt vmcnt(0)
	flat_load_dword v85, v[0:1]
	v_mov_b32_e32 v0, 0
	buffer_store_dword v0, off, s[0:3], s32 offset:244 ; 4-byte Folded Spill
	s_and_saveexec_b32 s25, s5
	s_cbranch_execz .LBB314_27
; %bb.20:                               ;   in Loop: Header=BB314_16 Depth=1
	v_cmp_ne_u16_sdwa s5, v33, v70 src0_sel:BYTE_0 src1_sel:DWORD
	v_mov_b32_e32 v0, 0x8000
	buffer_store_dword v0, off, s[0:3], s32 offset:244 ; 4-byte Folded Spill
	s_and_saveexec_b32 s26, s5
	s_cbranch_execz .LBB314_26
; %bb.21:                               ;   in Loop: Header=BB314_16 Depth=1
	v_and_b32_e32 v2, 0x7f, v33
	v_mov_b32_e32 v0, 0x7c01
	s_mov_b32 s27, exec_lo
	buffer_store_dword v0, off, s[0:3], s32 offset:244 ; 4-byte Folded Spill
	v_cmpx_ne_u32_e32 0x7f, v2
	s_cbranch_execz .LBB314_25
; %bb.22:                               ;   in Loop: Header=BB314_16 Depth=1
	v_and_b32_e32 v0, 7, v33
	v_lshrrev_b32_e32 v1, 3, v2
	s_mov_b32 s28, exec_lo
	v_cmpx_gt_u32_e32 8, v2
; %bb.23:                               ;   in Loop: Header=BB314_16 Depth=1
	v_ffbh_u32_e32 v0, v0
	v_min_u32_e32 v2, 32, v0
	v_subrev_nc_u32_e32 v0, 28, v2
	v_lshlrev_b64 v[0:1], v0, v[33:34]
	v_sub_nc_u32_e32 v1, 29, v2
	v_and_b32_e32 v0, 7, v0
; %bb.24:                               ;   in Loop: Header=BB314_16 Depth=1
	s_or_b32 exec_lo, exec_lo, s28
	v_lshlrev_b32_e32 v2, 8, v33
	v_lshl_add_u32 v1, v1, 10, 0x2000
	v_lshlrev_b32_e32 v0, 7, v0
	v_and_b32_e32 v2, 0x8000, v2
	v_and_b32_e32 v1, 0xfc00, v1
	v_or3_b32 v0, v2, v1, v0
	buffer_store_dword v0, off, s[0:3], s32 offset:244 ; 4-byte Folded Spill
.LBB314_25:                             ;   in Loop: Header=BB314_16 Depth=1
	s_or_b32 exec_lo, exec_lo, s27
.LBB314_26:                             ;   in Loop: Header=BB314_16 Depth=1
	s_or_b32 exec_lo, exec_lo, s26
.LBB314_27:                             ;   in Loop: Header=BB314_16 Depth=1
	s_or_b32 exec_lo, exec_lo, s25
	v_lshrrev_b16 v7, 8, v33
	s_mov_b32 s25, exec_lo
	v_cmpx_ne_u16_e32 0, v7
	s_cbranch_execz .LBB314_35
; %bb.28:                               ;   in Loop: Header=BB314_16 Depth=1
	v_bfrev_b32_e32 v54, 1
	s_mov_b32 s26, exec_lo
	v_cmpx_ne_u16_e32 0x80, v7
	s_cbranch_execz .LBB314_34
; %bb.29:                               ;   in Loop: Header=BB314_16 Depth=1
	v_mov_b32_e32 v0, 0x7f
	v_mov_b32_e32 v54, 0x7c010000
	s_mov_b32 s27, exec_lo
	v_and_b32_sdwa v2, v7, v0 dst_sel:DWORD dst_unused:UNUSED_PAD src0_sel:WORD_0 src1_sel:DWORD
	v_cmpx_ne_u32_e32 0x7f, v2
	s_cbranch_execz .LBB314_33
; %bb.30:                               ;   in Loop: Header=BB314_16 Depth=1
	v_mov_b32_e32 v0, 7
	v_lshrrev_b32_e32 v1, 3, v2
	s_mov_b32 s28, exec_lo
	v_and_b32_sdwa v0, v7, v0 dst_sel:DWORD dst_unused:UNUSED_PAD src0_sel:WORD_0 src1_sel:DWORD
	v_cmpx_gt_u32_e32 8, v2
; %bb.31:                               ;   in Loop: Header=BB314_16 Depth=1
	v_ffbh_u32_e32 v0, v0
	v_min_u32_e32 v2, 32, v0
	v_subrev_nc_u32_e32 v0, 28, v2
	v_lshlrev_b64 v[0:1], v0, v[7:8]
	v_sub_nc_u32_e32 v1, 29, v2
	v_and_b32_e32 v0, 7, v0
; %bb.32:                               ;   in Loop: Header=BB314_16 Depth=1
	s_or_b32 exec_lo, exec_lo, s28
	v_mov_b32_e32 v2, 8
	v_lshl_add_u32 v1, v1, 10, 0x2000
	v_lshlrev_b32_e32 v0, 23, v0
	v_lshlrev_b32_sdwa v2, v2, v7 dst_sel:DWORD dst_unused:UNUSED_PAD src0_sel:DWORD src1_sel:WORD_0
	v_and_or_b32 v1, 0x8000, v2, v1
	v_lshl_or_b32 v54, v1, 16, v0
.LBB314_33:                             ;   in Loop: Header=BB314_16 Depth=1
	s_or_b32 exec_lo, exec_lo, s27
.LBB314_34:                             ;   in Loop: Header=BB314_16 Depth=1
	s_or_b32 exec_lo, exec_lo, s26
.LBB314_35:                             ;   in Loop: Header=BB314_16 Depth=1
	s_or_b32 exec_lo, exec_lo, s25
	v_lshrrev_b32_e32 v7, 16, v33
	v_mov_b32_e32 v0, 0
	v_cmp_ne_u16_sdwa s5, v7, v8 src0_sel:BYTE_0 src1_sel:DWORD
	buffer_store_dword v0, off, s[0:3], s32 offset:248 ; 4-byte Folded Spill
	v_mov_b32_e32 v0, 0
	buffer_store_dword v0, off, s[0:3], s32 offset:252 ; 4-byte Folded Spill
	s_and_saveexec_b32 s25, s5
	s_cbranch_execz .LBB314_43
; %bb.36:                               ;   in Loop: Header=BB314_16 Depth=1
	v_cmp_ne_u16_sdwa s5, v7, v70 src0_sel:BYTE_0 src1_sel:DWORD
	v_mov_b32_e32 v0, 0x8000
	buffer_store_dword v0, off, s[0:3], s32 offset:252 ; 4-byte Folded Spill
	s_and_saveexec_b32 s26, s5
	s_cbranch_execz .LBB314_42
; %bb.37:                               ;   in Loop: Header=BB314_16 Depth=1
	v_bfe_u32 v2, v33, 16, 7
	v_mov_b32_e32 v0, 0x7c01
	s_mov_b32 s27, exec_lo
	buffer_store_dword v0, off, s[0:3], s32 offset:252 ; 4-byte Folded Spill
	v_cmpx_ne_u32_e32 0x7f, v2
	s_cbranch_execz .LBB314_41
; %bb.38:                               ;   in Loop: Header=BB314_16 Depth=1
	v_and_b32_e32 v0, 7, v7
	v_lshrrev_b32_e32 v1, 3, v2
	s_mov_b32 s28, exec_lo
	v_cmpx_gt_u32_e32 8, v2
; %bb.39:                               ;   in Loop: Header=BB314_16 Depth=1
	v_ffbh_u32_e32 v0, v0
	v_min_u32_e32 v2, 32, v0
	v_subrev_nc_u32_e32 v0, 28, v2
	v_lshlrev_b64 v[0:1], v0, v[7:8]
	v_sub_nc_u32_e32 v1, 29, v2
	v_and_b32_e32 v0, 7, v0
; %bb.40:                               ;   in Loop: Header=BB314_16 Depth=1
	s_or_b32 exec_lo, exec_lo, s28
	v_lshlrev_b32_e32 v2, 8, v7
	v_lshl_add_u32 v1, v1, 10, 0x2000
	v_lshlrev_b32_e32 v0, 7, v0
	v_and_b32_e32 v2, 0x8000, v2
	v_and_b32_e32 v1, 0xfc00, v1
	v_or3_b32 v0, v2, v1, v0
	buffer_store_dword v0, off, s[0:3], s32 offset:252 ; 4-byte Folded Spill
.LBB314_41:                             ;   in Loop: Header=BB314_16 Depth=1
	s_or_b32 exec_lo, exec_lo, s27
.LBB314_42:                             ;   in Loop: Header=BB314_16 Depth=1
	s_or_b32 exec_lo, exec_lo, s26
.LBB314_43:                             ;   in Loop: Header=BB314_16 Depth=1
	s_or_b32 exec_lo, exec_lo, s25
	s_mov_b32 s25, exec_lo
	v_cmpx_lt_u32_e32 0xffffff, v33
	s_cbranch_execz .LBB314_51
; %bb.44:                               ;   in Loop: Header=BB314_16 Depth=1
	v_lshrrev_b32_e32 v7, 24, v33
	v_bfrev_b32_e32 v0, 1
	s_mov_b32 s26, exec_lo
	buffer_store_dword v0, off, s[0:3], s32 offset:248 ; 4-byte Folded Spill
	v_cmpx_ne_u32_e32 0x80, v7
	s_cbranch_execz .LBB314_50
; %bb.45:                               ;   in Loop: Header=BB314_16 Depth=1
	v_and_b32_e32 v2, 0x7f, v7
	v_mov_b32_e32 v0, 0x7c010000
	s_mov_b32 s27, exec_lo
	buffer_store_dword v0, off, s[0:3], s32 offset:248 ; 4-byte Folded Spill
	v_cmpx_ne_u32_e32 0x7f, v2
	s_cbranch_execz .LBB314_49
; %bb.46:                               ;   in Loop: Header=BB314_16 Depth=1
	v_and_b32_e32 v0, 7, v7
	v_lshrrev_b32_e32 v1, 3, v2
	s_mov_b32 s28, exec_lo
	v_cmpx_gt_u32_e32 8, v2
; %bb.47:                               ;   in Loop: Header=BB314_16 Depth=1
	v_ffbh_u32_e32 v0, v0
	v_min_u32_e32 v2, 32, v0
	v_subrev_nc_u32_e32 v0, 28, v2
	v_lshlrev_b64 v[0:1], v0, v[7:8]
	v_sub_nc_u32_e32 v1, 29, v2
	v_and_b32_e32 v0, 7, v0
; %bb.48:                               ;   in Loop: Header=BB314_16 Depth=1
	s_or_b32 exec_lo, exec_lo, s28
	v_lshlrev_b32_e32 v2, 8, v7
	v_lshl_add_u32 v1, v1, 10, 0x2000
	v_lshlrev_b32_e32 v0, 23, v0
	v_and_or_b32 v1, 0x8000, v2, v1
	v_lshl_or_b32 v0, v1, 16, v0
	buffer_store_dword v0, off, s[0:3], s32 offset:248 ; 4-byte Folded Spill
.LBB314_49:                             ;   in Loop: Header=BB314_16 Depth=1
	s_or_b32 exec_lo, exec_lo, s27
.LBB314_50:                             ;   in Loop: Header=BB314_16 Depth=1
	s_or_b32 exec_lo, exec_lo, s26
.LBB314_51:                             ;   in Loop: Header=BB314_16 Depth=1
	s_or_b32 exec_lo, exec_lo, s25
	v_mov_b32_e32 v0, 0
	v_mov_b32_e32 v7, v34
	v_cmp_ne_u16_sdwa s5, v34, v8 src0_sel:BYTE_0 src1_sel:DWORD
	buffer_store_dword v0, off, s[0:3], s32 offset:256 ; 4-byte Folded Spill
	v_mov_b32_e32 v0, 0
	buffer_store_dword v0, off, s[0:3], s32 offset:260 ; 4-byte Folded Spill
	s_and_saveexec_b32 s25, s5
	s_cbranch_execz .LBB314_59
; %bb.52:                               ;   in Loop: Header=BB314_16 Depth=1
	v_cmp_ne_u16_sdwa s5, v34, v70 src0_sel:BYTE_0 src1_sel:DWORD
	v_mov_b32_e32 v0, 0x8000
	buffer_store_dword v0, off, s[0:3], s32 offset:260 ; 4-byte Folded Spill
	s_and_saveexec_b32 s26, s5
	s_cbranch_execz .LBB314_58
; %bb.53:                               ;   in Loop: Header=BB314_16 Depth=1
	v_and_b32_e32 v2, 0x7f, v34
	v_mov_b32_e32 v0, 0x7c01
	s_mov_b32 s27, exec_lo
	buffer_store_dword v0, off, s[0:3], s32 offset:260 ; 4-byte Folded Spill
	v_cmpx_ne_u32_e32 0x7f, v2
	s_cbranch_execz .LBB314_57
; %bb.54:                               ;   in Loop: Header=BB314_16 Depth=1
	v_and_b32_e32 v0, 7, v34
	v_lshrrev_b32_e32 v1, 3, v2
	s_mov_b32 s28, exec_lo
	v_cmpx_gt_u32_e32 8, v2
; %bb.55:                               ;   in Loop: Header=BB314_16 Depth=1
	v_ffbh_u32_e32 v0, v0
	v_min_u32_e32 v2, 32, v0
	v_subrev_nc_u32_e32 v0, 28, v2
	v_lshlrev_b64 v[0:1], v0, v[7:8]
	v_sub_nc_u32_e32 v1, 29, v2
	v_and_b32_e32 v0, 7, v0
; %bb.56:                               ;   in Loop: Header=BB314_16 Depth=1
	s_or_b32 exec_lo, exec_lo, s28
	v_lshlrev_b32_e32 v2, 8, v34
	v_lshl_add_u32 v1, v1, 10, 0x2000
	v_lshlrev_b32_e32 v0, 7, v0
	v_and_b32_e32 v2, 0x8000, v2
	v_and_b32_e32 v1, 0xfc00, v1
	v_or3_b32 v0, v2, v1, v0
	buffer_store_dword v0, off, s[0:3], s32 offset:260 ; 4-byte Folded Spill
.LBB314_57:                             ;   in Loop: Header=BB314_16 Depth=1
	s_or_b32 exec_lo, exec_lo, s27
.LBB314_58:                             ;   in Loop: Header=BB314_16 Depth=1
	s_or_b32 exec_lo, exec_lo, s26
.LBB314_59:                             ;   in Loop: Header=BB314_16 Depth=1
	s_or_b32 exec_lo, exec_lo, s25
	v_lshrrev_b16 v7, 8, v7
	v_mov_b32_e32 v0, 0
	s_mov_b32 s25, exec_lo
	buffer_store_dword v0, off, s[0:3], s32 offset:264 ; 4-byte Folded Spill
	v_cmpx_ne_u16_e32 0, v7
	s_cbranch_execz .LBB314_67
; %bb.60:                               ;   in Loop: Header=BB314_16 Depth=1
	v_bfrev_b32_e32 v0, 1
	s_mov_b32 s26, exec_lo
	buffer_store_dword v0, off, s[0:3], s32 offset:264 ; 4-byte Folded Spill
	v_cmpx_ne_u16_e32 0x80, v7
	s_cbranch_execz .LBB314_66
; %bb.61:                               ;   in Loop: Header=BB314_16 Depth=1
	v_mov_b32_e32 v0, 0x7f
	s_mov_b32 s27, exec_lo
	v_and_b32_sdwa v2, v7, v0 dst_sel:DWORD dst_unused:UNUSED_PAD src0_sel:WORD_0 src1_sel:DWORD
	v_mov_b32_e32 v0, 0x7c010000
	buffer_store_dword v0, off, s[0:3], s32 offset:264 ; 4-byte Folded Spill
	v_cmpx_ne_u32_e32 0x7f, v2
	s_cbranch_execz .LBB314_65
; %bb.62:                               ;   in Loop: Header=BB314_16 Depth=1
	v_mov_b32_e32 v0, 7
	v_lshrrev_b32_e32 v1, 3, v2
	s_mov_b32 s28, exec_lo
	v_and_b32_sdwa v0, v7, v0 dst_sel:DWORD dst_unused:UNUSED_PAD src0_sel:WORD_0 src1_sel:DWORD
	v_cmpx_gt_u32_e32 8, v2
; %bb.63:                               ;   in Loop: Header=BB314_16 Depth=1
	v_ffbh_u32_e32 v0, v0
	v_min_u32_e32 v2, 32, v0
	v_subrev_nc_u32_e32 v0, 28, v2
	v_lshlrev_b64 v[0:1], v0, v[7:8]
	v_sub_nc_u32_e32 v1, 29, v2
	v_and_b32_e32 v0, 7, v0
; %bb.64:                               ;   in Loop: Header=BB314_16 Depth=1
	s_or_b32 exec_lo, exec_lo, s28
	v_mov_b32_e32 v2, 8
	v_lshl_add_u32 v1, v1, 10, 0x2000
	v_lshlrev_b32_e32 v0, 23, v0
	v_lshlrev_b32_sdwa v2, v2, v7 dst_sel:DWORD dst_unused:UNUSED_PAD src0_sel:DWORD src1_sel:WORD_0
	v_and_or_b32 v1, 0x8000, v2, v1
	v_lshl_or_b32 v0, v1, 16, v0
	buffer_store_dword v0, off, s[0:3], s32 offset:264 ; 4-byte Folded Spill
.LBB314_65:                             ;   in Loop: Header=BB314_16 Depth=1
	s_or_b32 exec_lo, exec_lo, s27
.LBB314_66:                             ;   in Loop: Header=BB314_16 Depth=1
	s_or_b32 exec_lo, exec_lo, s26
.LBB314_67:                             ;   in Loop: Header=BB314_16 Depth=1
	s_or_b32 exec_lo, exec_lo, s25
	v_lshrrev_b32_e32 v7, 16, v34
	v_cmp_ne_u16_sdwa s5, v7, v8 src0_sel:BYTE_0 src1_sel:DWORD
	s_and_saveexec_b32 s25, s5
	s_cbranch_execz .LBB314_75
; %bb.68:                               ;   in Loop: Header=BB314_16 Depth=1
	v_cmp_ne_u16_sdwa s5, v7, v70 src0_sel:BYTE_0 src1_sel:DWORD
	v_mov_b32_e32 v0, 0x8000
	buffer_store_dword v0, off, s[0:3], s32 offset:256 ; 4-byte Folded Spill
	s_and_saveexec_b32 s26, s5
	s_cbranch_execz .LBB314_74
; %bb.69:                               ;   in Loop: Header=BB314_16 Depth=1
	v_bfe_u32 v2, v34, 16, 7
	v_mov_b32_e32 v0, 0x7c01
	s_mov_b32 s27, exec_lo
	buffer_store_dword v0, off, s[0:3], s32 offset:256 ; 4-byte Folded Spill
	v_cmpx_ne_u32_e32 0x7f, v2
	s_cbranch_execz .LBB314_73
; %bb.70:                               ;   in Loop: Header=BB314_16 Depth=1
	v_and_b32_e32 v0, 7, v7
	v_lshrrev_b32_e32 v1, 3, v2
	s_mov_b32 s28, exec_lo
	v_cmpx_gt_u32_e32 8, v2
; %bb.71:                               ;   in Loop: Header=BB314_16 Depth=1
	v_ffbh_u32_e32 v0, v0
	v_min_u32_e32 v2, 32, v0
	v_subrev_nc_u32_e32 v0, 28, v2
	v_lshlrev_b64 v[0:1], v0, v[7:8]
	v_sub_nc_u32_e32 v1, 29, v2
	v_and_b32_e32 v0, 7, v0
; %bb.72:                               ;   in Loop: Header=BB314_16 Depth=1
	s_or_b32 exec_lo, exec_lo, s28
	v_lshlrev_b32_e32 v2, 8, v7
	v_lshl_add_u32 v1, v1, 10, 0x2000
	v_lshlrev_b32_e32 v0, 7, v0
	v_and_b32_e32 v2, 0x8000, v2
	v_and_b32_e32 v1, 0xfc00, v1
	v_or3_b32 v0, v2, v1, v0
	buffer_store_dword v0, off, s[0:3], s32 offset:256 ; 4-byte Folded Spill
.LBB314_73:                             ;   in Loop: Header=BB314_16 Depth=1
	s_or_b32 exec_lo, exec_lo, s27
.LBB314_74:                             ;   in Loop: Header=BB314_16 Depth=1
	s_or_b32 exec_lo, exec_lo, s26
.LBB314_75:                             ;   in Loop: Header=BB314_16 Depth=1
	s_or_b32 exec_lo, exec_lo, s25
	v_mov_b32_e32 v0, 0
	s_mov_b32 s25, exec_lo
	buffer_store_dword v0, off, s[0:3], s32 offset:268 ; 4-byte Folded Spill
	v_mov_b32_e32 v0, 0
	buffer_store_dword v0, off, s[0:3], s32 offset:756 ; 4-byte Folded Spill
	v_cmpx_lt_u64_e64 s[20:21], v[33:34]
	s_cbranch_execz .LBB314_83
; %bb.76:                               ;   in Loop: Header=BB314_16 Depth=1
	v_lshrrev_b32_e32 v7, 24, v34
	v_bfrev_b32_e32 v0, 1
	s_mov_b32 s26, exec_lo
	v_cmpx_ne_u32_e32 0x80, v7
	s_cbranch_execz .LBB314_82
; %bb.77:                               ;   in Loop: Header=BB314_16 Depth=1
	v_and_b32_e32 v2, 0x7f, v7
	v_mov_b32_e32 v0, 0x7c010000
	s_mov_b32 s27, exec_lo
	v_cmpx_ne_u32_e32 0x7f, v2
	s_cbranch_execz .LBB314_81
; %bb.78:                               ;   in Loop: Header=BB314_16 Depth=1
	v_and_b32_e32 v0, 7, v7
	v_lshrrev_b32_e32 v1, 3, v2
	s_mov_b32 s28, exec_lo
	v_cmpx_gt_u32_e32 8, v2
; %bb.79:                               ;   in Loop: Header=BB314_16 Depth=1
	v_ffbh_u32_e32 v0, v0
	v_min_u32_e32 v2, 32, v0
	v_subrev_nc_u32_e32 v0, 28, v2
	v_lshlrev_b64 v[0:1], v0, v[7:8]
	v_sub_nc_u32_e32 v1, 29, v2
	v_and_b32_e32 v0, 7, v0
; %bb.80:                               ;   in Loop: Header=BB314_16 Depth=1
	s_or_b32 exec_lo, exec_lo, s28
	v_lshlrev_b32_e32 v2, 8, v7
	v_lshl_add_u32 v1, v1, 10, 0x2000
	v_lshlrev_b32_e32 v0, 23, v0
	v_and_or_b32 v1, 0x8000, v2, v1
	v_lshl_or_b32 v0, v1, 16, v0
.LBB314_81:                             ;   in Loop: Header=BB314_16 Depth=1
	s_or_b32 exec_lo, exec_lo, s27
.LBB314_82:                             ;   in Loop: Header=BB314_16 Depth=1
	s_or_b32 exec_lo, exec_lo, s26
	buffer_store_dword v0, off, s[0:3], s32 offset:756 ; 4-byte Folded Spill
.LBB314_83:                             ;   in Loop: Header=BB314_16 Depth=1
	s_or_b32 exec_lo, exec_lo, s25
	flat_load_dwordx2 v[33:34], v[31:32] offset:8
	s_waitcnt vmcnt(0) lgkmcnt(0)
	v_cmp_ne_u16_sdwa s5, v33, v8 src0_sel:BYTE_0 src1_sel:DWORD
	s_and_saveexec_b32 s25, s5
	s_cbranch_execz .LBB314_91
; %bb.84:                               ;   in Loop: Header=BB314_16 Depth=1
	v_cmp_ne_u16_sdwa s5, v33, v70 src0_sel:BYTE_0 src1_sel:DWORD
	v_mov_b32_e32 v0, 0x8000
	buffer_store_dword v0, off, s[0:3], s32 offset:268 ; 4-byte Folded Spill
	s_and_saveexec_b32 s26, s5
	s_cbranch_execz .LBB314_90
; %bb.85:                               ;   in Loop: Header=BB314_16 Depth=1
	v_and_b32_e32 v2, 0x7f, v33
	v_mov_b32_e32 v0, 0x7c01
	s_mov_b32 s27, exec_lo
	buffer_store_dword v0, off, s[0:3], s32 offset:268 ; 4-byte Folded Spill
	v_cmpx_ne_u32_e32 0x7f, v2
	s_cbranch_execz .LBB314_89
; %bb.86:                               ;   in Loop: Header=BB314_16 Depth=1
	v_and_b32_e32 v0, 7, v33
	v_lshrrev_b32_e32 v1, 3, v2
	s_mov_b32 s28, exec_lo
	v_cmpx_gt_u32_e32 8, v2
; %bb.87:                               ;   in Loop: Header=BB314_16 Depth=1
	v_ffbh_u32_e32 v0, v0
	v_min_u32_e32 v2, 32, v0
	v_subrev_nc_u32_e32 v0, 28, v2
	v_lshlrev_b64 v[0:1], v0, v[33:34]
	v_sub_nc_u32_e32 v1, 29, v2
	v_and_b32_e32 v0, 7, v0
; %bb.88:                               ;   in Loop: Header=BB314_16 Depth=1
	s_or_b32 exec_lo, exec_lo, s28
	v_lshlrev_b32_e32 v2, 8, v33
	v_lshl_add_u32 v1, v1, 10, 0x2000
	v_lshlrev_b32_e32 v0, 7, v0
	v_and_b32_e32 v2, 0x8000, v2
	v_and_b32_e32 v1, 0xfc00, v1
	v_or3_b32 v0, v2, v1, v0
	buffer_store_dword v0, off, s[0:3], s32 offset:268 ; 4-byte Folded Spill
.LBB314_89:                             ;   in Loop: Header=BB314_16 Depth=1
	s_or_b32 exec_lo, exec_lo, s27
.LBB314_90:                             ;   in Loop: Header=BB314_16 Depth=1
	s_or_b32 exec_lo, exec_lo, s26
.LBB314_91:                             ;   in Loop: Header=BB314_16 Depth=1
	s_or_b32 exec_lo, exec_lo, s25
	v_mov_b32_e32 v0, 0
	v_lshrrev_b16 v7, 8, v33
	s_mov_b32 s25, exec_lo
	buffer_store_dword v0, off, s[0:3], s32 offset:276 ; 4-byte Folded Spill
	v_mov_b32_e32 v0, 0
	buffer_store_dword v0, off, s[0:3], s32 offset:272 ; 4-byte Folded Spill
	v_cmpx_ne_u16_e32 0, v7
	s_cbranch_execz .LBB314_99
; %bb.92:                               ;   in Loop: Header=BB314_16 Depth=1
	v_bfrev_b32_e32 v0, 1
	s_mov_b32 s26, exec_lo
	buffer_store_dword v0, off, s[0:3], s32 offset:272 ; 4-byte Folded Spill
	v_cmpx_ne_u16_e32 0x80, v7
	s_cbranch_execz .LBB314_98
; %bb.93:                               ;   in Loop: Header=BB314_16 Depth=1
	v_mov_b32_e32 v0, 0x7f
	s_mov_b32 s27, exec_lo
	v_and_b32_sdwa v2, v7, v0 dst_sel:DWORD dst_unused:UNUSED_PAD src0_sel:WORD_0 src1_sel:DWORD
	v_mov_b32_e32 v0, 0x7c010000
	buffer_store_dword v0, off, s[0:3], s32 offset:272 ; 4-byte Folded Spill
	v_cmpx_ne_u32_e32 0x7f, v2
	s_cbranch_execz .LBB314_97
; %bb.94:                               ;   in Loop: Header=BB314_16 Depth=1
	v_mov_b32_e32 v0, 7
	v_lshrrev_b32_e32 v1, 3, v2
	s_mov_b32 s28, exec_lo
	v_and_b32_sdwa v0, v7, v0 dst_sel:DWORD dst_unused:UNUSED_PAD src0_sel:WORD_0 src1_sel:DWORD
	v_cmpx_gt_u32_e32 8, v2
; %bb.95:                               ;   in Loop: Header=BB314_16 Depth=1
	v_ffbh_u32_e32 v0, v0
	v_min_u32_e32 v2, 32, v0
	v_subrev_nc_u32_e32 v0, 28, v2
	v_lshlrev_b64 v[0:1], v0, v[7:8]
	v_sub_nc_u32_e32 v1, 29, v2
	v_and_b32_e32 v0, 7, v0
; %bb.96:                               ;   in Loop: Header=BB314_16 Depth=1
	s_or_b32 exec_lo, exec_lo, s28
	v_mov_b32_e32 v2, 8
	v_lshl_add_u32 v1, v1, 10, 0x2000
	v_lshlrev_b32_e32 v0, 23, v0
	v_lshlrev_b32_sdwa v2, v2, v7 dst_sel:DWORD dst_unused:UNUSED_PAD src0_sel:DWORD src1_sel:WORD_0
	v_and_or_b32 v1, 0x8000, v2, v1
	v_lshl_or_b32 v0, v1, 16, v0
	buffer_store_dword v0, off, s[0:3], s32 offset:272 ; 4-byte Folded Spill
.LBB314_97:                             ;   in Loop: Header=BB314_16 Depth=1
	s_or_b32 exec_lo, exec_lo, s27
.LBB314_98:                             ;   in Loop: Header=BB314_16 Depth=1
	s_or_b32 exec_lo, exec_lo, s26
.LBB314_99:                             ;   in Loop: Header=BB314_16 Depth=1
	s_or_b32 exec_lo, exec_lo, s25
	v_lshrrev_b32_e32 v7, 16, v33
	v_cmp_ne_u16_sdwa s5, v7, v8 src0_sel:BYTE_0 src1_sel:DWORD
	s_and_saveexec_b32 s25, s5
	s_cbranch_execz .LBB314_107
; %bb.100:                              ;   in Loop: Header=BB314_16 Depth=1
	v_cmp_ne_u16_sdwa s5, v7, v70 src0_sel:BYTE_0 src1_sel:DWORD
	v_mov_b32_e32 v0, 0x8000
	buffer_store_dword v0, off, s[0:3], s32 offset:276 ; 4-byte Folded Spill
	s_and_saveexec_b32 s26, s5
	s_cbranch_execz .LBB314_106
; %bb.101:                              ;   in Loop: Header=BB314_16 Depth=1
	v_bfe_u32 v2, v33, 16, 7
	v_mov_b32_e32 v0, 0x7c01
	s_mov_b32 s27, exec_lo
	buffer_store_dword v0, off, s[0:3], s32 offset:276 ; 4-byte Folded Spill
	v_cmpx_ne_u32_e32 0x7f, v2
	s_cbranch_execz .LBB314_105
; %bb.102:                              ;   in Loop: Header=BB314_16 Depth=1
	v_and_b32_e32 v0, 7, v7
	v_lshrrev_b32_e32 v1, 3, v2
	s_mov_b32 s28, exec_lo
	v_cmpx_gt_u32_e32 8, v2
; %bb.103:                              ;   in Loop: Header=BB314_16 Depth=1
	v_ffbh_u32_e32 v0, v0
	v_min_u32_e32 v2, 32, v0
	v_subrev_nc_u32_e32 v0, 28, v2
	v_lshlrev_b64 v[0:1], v0, v[7:8]
	v_sub_nc_u32_e32 v1, 29, v2
	v_and_b32_e32 v0, 7, v0
; %bb.104:                              ;   in Loop: Header=BB314_16 Depth=1
	s_or_b32 exec_lo, exec_lo, s28
	v_lshlrev_b32_e32 v2, 8, v7
	v_lshl_add_u32 v1, v1, 10, 0x2000
	v_lshlrev_b32_e32 v0, 7, v0
	v_and_b32_e32 v2, 0x8000, v2
	v_and_b32_e32 v1, 0xfc00, v1
	v_or3_b32 v0, v2, v1, v0
	buffer_store_dword v0, off, s[0:3], s32 offset:276 ; 4-byte Folded Spill
.LBB314_105:                            ;   in Loop: Header=BB314_16 Depth=1
	s_or_b32 exec_lo, exec_lo, s27
.LBB314_106:                            ;   in Loop: Header=BB314_16 Depth=1
	s_or_b32 exec_lo, exec_lo, s26
.LBB314_107:                            ;   in Loop: Header=BB314_16 Depth=1
	s_or_b32 exec_lo, exec_lo, s25
	v_mov_b32_e32 v0, 0
	s_mov_b32 s25, exec_lo
	buffer_store_dword v0, off, s[0:3], s32 offset:280 ; 4-byte Folded Spill
	v_mov_b32_e32 v0, 0
	buffer_store_dword v0, off, s[0:3], s32 offset:284 ; 4-byte Folded Spill
	v_cmpx_lt_u32_e32 0xffffff, v33
	s_cbranch_execz .LBB314_115
; %bb.108:                              ;   in Loop: Header=BB314_16 Depth=1
	v_lshrrev_b32_e32 v7, 24, v33
	v_bfrev_b32_e32 v0, 1
	s_mov_b32 s26, exec_lo
	buffer_store_dword v0, off, s[0:3], s32 offset:284 ; 4-byte Folded Spill
	v_cmpx_ne_u32_e32 0x80, v7
	s_cbranch_execz .LBB314_114
; %bb.109:                              ;   in Loop: Header=BB314_16 Depth=1
	v_and_b32_e32 v2, 0x7f, v7
	v_mov_b32_e32 v0, 0x7c010000
	s_mov_b32 s27, exec_lo
	buffer_store_dword v0, off, s[0:3], s32 offset:284 ; 4-byte Folded Spill
	v_cmpx_ne_u32_e32 0x7f, v2
	s_cbranch_execz .LBB314_113
; %bb.110:                              ;   in Loop: Header=BB314_16 Depth=1
	v_and_b32_e32 v0, 7, v7
	v_lshrrev_b32_e32 v1, 3, v2
	s_mov_b32 s28, exec_lo
	v_cmpx_gt_u32_e32 8, v2
; %bb.111:                              ;   in Loop: Header=BB314_16 Depth=1
	v_ffbh_u32_e32 v0, v0
	v_min_u32_e32 v2, 32, v0
	v_subrev_nc_u32_e32 v0, 28, v2
	v_lshlrev_b64 v[0:1], v0, v[7:8]
	v_sub_nc_u32_e32 v1, 29, v2
	v_and_b32_e32 v0, 7, v0
; %bb.112:                              ;   in Loop: Header=BB314_16 Depth=1
	s_or_b32 exec_lo, exec_lo, s28
	v_lshlrev_b32_e32 v2, 8, v7
	v_lshl_add_u32 v1, v1, 10, 0x2000
	v_lshlrev_b32_e32 v0, 23, v0
	v_and_or_b32 v1, 0x8000, v2, v1
	v_lshl_or_b32 v0, v1, 16, v0
	buffer_store_dword v0, off, s[0:3], s32 offset:284 ; 4-byte Folded Spill
.LBB314_113:                            ;   in Loop: Header=BB314_16 Depth=1
	s_or_b32 exec_lo, exec_lo, s27
.LBB314_114:                            ;   in Loop: Header=BB314_16 Depth=1
	s_or_b32 exec_lo, exec_lo, s26
.LBB314_115:                            ;   in Loop: Header=BB314_16 Depth=1
	s_or_b32 exec_lo, exec_lo, s25
	v_mov_b32_e32 v7, v34
	v_cmp_ne_u16_sdwa s5, v34, v8 src0_sel:BYTE_0 src1_sel:DWORD
	s_and_saveexec_b32 s25, s5
	s_cbranch_execz .LBB314_123
; %bb.116:                              ;   in Loop: Header=BB314_16 Depth=1
	v_cmp_ne_u16_sdwa s5, v34, v70 src0_sel:BYTE_0 src1_sel:DWORD
	v_mov_b32_e32 v0, 0x8000
	buffer_store_dword v0, off, s[0:3], s32 offset:280 ; 4-byte Folded Spill
	s_and_saveexec_b32 s26, s5
	s_cbranch_execz .LBB314_122
; %bb.117:                              ;   in Loop: Header=BB314_16 Depth=1
	v_and_b32_e32 v2, 0x7f, v34
	v_mov_b32_e32 v0, 0x7c01
	s_mov_b32 s27, exec_lo
	buffer_store_dword v0, off, s[0:3], s32 offset:280 ; 4-byte Folded Spill
	v_cmpx_ne_u32_e32 0x7f, v2
	s_cbranch_execz .LBB314_121
; %bb.118:                              ;   in Loop: Header=BB314_16 Depth=1
	v_and_b32_e32 v0, 7, v34
	v_lshrrev_b32_e32 v1, 3, v2
	s_mov_b32 s28, exec_lo
	v_cmpx_gt_u32_e32 8, v2
; %bb.119:                              ;   in Loop: Header=BB314_16 Depth=1
	v_ffbh_u32_e32 v0, v0
	v_min_u32_e32 v2, 32, v0
	v_subrev_nc_u32_e32 v0, 28, v2
	v_lshlrev_b64 v[0:1], v0, v[7:8]
	v_sub_nc_u32_e32 v1, 29, v2
	v_and_b32_e32 v0, 7, v0
; %bb.120:                              ;   in Loop: Header=BB314_16 Depth=1
	s_or_b32 exec_lo, exec_lo, s28
	v_lshlrev_b32_e32 v2, 8, v34
	v_lshl_add_u32 v1, v1, 10, 0x2000
	v_lshlrev_b32_e32 v0, 7, v0
	v_and_b32_e32 v2, 0x8000, v2
	v_and_b32_e32 v1, 0xfc00, v1
	v_or3_b32 v0, v2, v1, v0
	buffer_store_dword v0, off, s[0:3], s32 offset:280 ; 4-byte Folded Spill
.LBB314_121:                            ;   in Loop: Header=BB314_16 Depth=1
	s_or_b32 exec_lo, exec_lo, s27
.LBB314_122:                            ;   in Loop: Header=BB314_16 Depth=1
	s_or_b32 exec_lo, exec_lo, s26
.LBB314_123:                            ;   in Loop: Header=BB314_16 Depth=1
	s_or_b32 exec_lo, exec_lo, s25
	v_mov_b32_e32 v0, 0
	v_lshrrev_b16 v7, 8, v7
	s_mov_b32 s25, exec_lo
	buffer_store_dword v0, off, s[0:3], s32 offset:288 ; 4-byte Folded Spill
	v_mov_b32_e32 v0, 0
	buffer_store_dword v0, off, s[0:3], s32 offset:292 ; 4-byte Folded Spill
	v_cmpx_ne_u16_e32 0, v7
	s_cbranch_execz .LBB314_131
; %bb.124:                              ;   in Loop: Header=BB314_16 Depth=1
	v_bfrev_b32_e32 v0, 1
	s_mov_b32 s26, exec_lo
	buffer_store_dword v0, off, s[0:3], s32 offset:292 ; 4-byte Folded Spill
	v_cmpx_ne_u16_e32 0x80, v7
	s_cbranch_execz .LBB314_130
; %bb.125:                              ;   in Loop: Header=BB314_16 Depth=1
	v_mov_b32_e32 v0, 0x7f
	s_mov_b32 s27, exec_lo
	v_and_b32_sdwa v2, v7, v0 dst_sel:DWORD dst_unused:UNUSED_PAD src0_sel:WORD_0 src1_sel:DWORD
	v_mov_b32_e32 v0, 0x7c010000
	buffer_store_dword v0, off, s[0:3], s32 offset:292 ; 4-byte Folded Spill
	v_cmpx_ne_u32_e32 0x7f, v2
	s_cbranch_execz .LBB314_129
; %bb.126:                              ;   in Loop: Header=BB314_16 Depth=1
	v_mov_b32_e32 v0, 7
	v_lshrrev_b32_e32 v1, 3, v2
	s_mov_b32 s28, exec_lo
	v_and_b32_sdwa v0, v7, v0 dst_sel:DWORD dst_unused:UNUSED_PAD src0_sel:WORD_0 src1_sel:DWORD
	v_cmpx_gt_u32_e32 8, v2
; %bb.127:                              ;   in Loop: Header=BB314_16 Depth=1
	v_ffbh_u32_e32 v0, v0
	v_min_u32_e32 v2, 32, v0
	v_subrev_nc_u32_e32 v0, 28, v2
	v_lshlrev_b64 v[0:1], v0, v[7:8]
	v_sub_nc_u32_e32 v1, 29, v2
	v_and_b32_e32 v0, 7, v0
; %bb.128:                              ;   in Loop: Header=BB314_16 Depth=1
	s_or_b32 exec_lo, exec_lo, s28
	v_mov_b32_e32 v2, 8
	v_lshl_add_u32 v1, v1, 10, 0x2000
	v_lshlrev_b32_e32 v0, 23, v0
	v_lshlrev_b32_sdwa v2, v2, v7 dst_sel:DWORD dst_unused:UNUSED_PAD src0_sel:DWORD src1_sel:WORD_0
	v_and_or_b32 v1, 0x8000, v2, v1
	v_lshl_or_b32 v0, v1, 16, v0
	buffer_store_dword v0, off, s[0:3], s32 offset:292 ; 4-byte Folded Spill
.LBB314_129:                            ;   in Loop: Header=BB314_16 Depth=1
	s_or_b32 exec_lo, exec_lo, s27
.LBB314_130:                            ;   in Loop: Header=BB314_16 Depth=1
	s_or_b32 exec_lo, exec_lo, s26
.LBB314_131:                            ;   in Loop: Header=BB314_16 Depth=1
	s_or_b32 exec_lo, exec_lo, s25
	v_lshrrev_b32_e32 v7, 16, v34
	v_cmp_ne_u16_sdwa s5, v7, v8 src0_sel:BYTE_0 src1_sel:DWORD
	s_and_saveexec_b32 s25, s5
	s_cbranch_execz .LBB314_139
; %bb.132:                              ;   in Loop: Header=BB314_16 Depth=1
	v_cmp_ne_u16_sdwa s5, v7, v70 src0_sel:BYTE_0 src1_sel:DWORD
	v_mov_b32_e32 v0, 0x8000
	buffer_store_dword v0, off, s[0:3], s32 offset:288 ; 4-byte Folded Spill
	s_and_saveexec_b32 s26, s5
	s_cbranch_execz .LBB314_138
; %bb.133:                              ;   in Loop: Header=BB314_16 Depth=1
	v_bfe_u32 v2, v34, 16, 7
	v_mov_b32_e32 v0, 0x7c01
	s_mov_b32 s27, exec_lo
	buffer_store_dword v0, off, s[0:3], s32 offset:288 ; 4-byte Folded Spill
	v_cmpx_ne_u32_e32 0x7f, v2
	s_cbranch_execz .LBB314_137
; %bb.134:                              ;   in Loop: Header=BB314_16 Depth=1
	v_and_b32_e32 v0, 7, v7
	v_lshrrev_b32_e32 v1, 3, v2
	s_mov_b32 s28, exec_lo
	v_cmpx_gt_u32_e32 8, v2
; %bb.135:                              ;   in Loop: Header=BB314_16 Depth=1
	v_ffbh_u32_e32 v0, v0
	v_min_u32_e32 v2, 32, v0
	v_subrev_nc_u32_e32 v0, 28, v2
	v_lshlrev_b64 v[0:1], v0, v[7:8]
	v_sub_nc_u32_e32 v1, 29, v2
	v_and_b32_e32 v0, 7, v0
; %bb.136:                              ;   in Loop: Header=BB314_16 Depth=1
	s_or_b32 exec_lo, exec_lo, s28
	v_lshlrev_b32_e32 v2, 8, v7
	v_lshl_add_u32 v1, v1, 10, 0x2000
	v_lshlrev_b32_e32 v0, 7, v0
	v_and_b32_e32 v2, 0x8000, v2
	v_and_b32_e32 v1, 0xfc00, v1
	v_or3_b32 v0, v2, v1, v0
	buffer_store_dword v0, off, s[0:3], s32 offset:288 ; 4-byte Folded Spill
.LBB314_137:                            ;   in Loop: Header=BB314_16 Depth=1
	s_or_b32 exec_lo, exec_lo, s27
.LBB314_138:                            ;   in Loop: Header=BB314_16 Depth=1
	s_or_b32 exec_lo, exec_lo, s26
.LBB314_139:                            ;   in Loop: Header=BB314_16 Depth=1
	s_or_b32 exec_lo, exec_lo, s25
	v_mov_b32_e32 v0, 0
	s_mov_b32 s25, exec_lo
	buffer_store_dword v0, off, s[0:3], s32 offset:296 ; 4-byte Folded Spill
	v_mov_b32_e32 v0, 0
	buffer_store_dword v0, off, s[0:3], s32 offset:760 ; 4-byte Folded Spill
	v_cmpx_lt_u64_e64 s[20:21], v[33:34]
	s_cbranch_execz .LBB314_147
; %bb.140:                              ;   in Loop: Header=BB314_16 Depth=1
	v_lshrrev_b32_e32 v7, 24, v34
	v_bfrev_b32_e32 v0, 1
	s_mov_b32 s26, exec_lo
	v_cmpx_ne_u32_e32 0x80, v7
	s_cbranch_execz .LBB314_146
; %bb.141:                              ;   in Loop: Header=BB314_16 Depth=1
	v_and_b32_e32 v2, 0x7f, v7
	v_mov_b32_e32 v0, 0x7c010000
	s_mov_b32 s27, exec_lo
	v_cmpx_ne_u32_e32 0x7f, v2
	s_cbranch_execz .LBB314_145
; %bb.142:                              ;   in Loop: Header=BB314_16 Depth=1
	v_and_b32_e32 v0, 7, v7
	v_lshrrev_b32_e32 v1, 3, v2
	s_mov_b32 s28, exec_lo
	v_cmpx_gt_u32_e32 8, v2
; %bb.143:                              ;   in Loop: Header=BB314_16 Depth=1
	v_ffbh_u32_e32 v0, v0
	v_min_u32_e32 v2, 32, v0
	v_subrev_nc_u32_e32 v0, 28, v2
	v_lshlrev_b64 v[0:1], v0, v[7:8]
	v_sub_nc_u32_e32 v1, 29, v2
	v_and_b32_e32 v0, 7, v0
; %bb.144:                              ;   in Loop: Header=BB314_16 Depth=1
	s_or_b32 exec_lo, exec_lo, s28
	v_lshlrev_b32_e32 v2, 8, v7
	v_lshl_add_u32 v1, v1, 10, 0x2000
	v_lshlrev_b32_e32 v0, 23, v0
	v_and_or_b32 v1, 0x8000, v2, v1
	v_lshl_or_b32 v0, v1, 16, v0
.LBB314_145:                            ;   in Loop: Header=BB314_16 Depth=1
	s_or_b32 exec_lo, exec_lo, s27
.LBB314_146:                            ;   in Loop: Header=BB314_16 Depth=1
	s_or_b32 exec_lo, exec_lo, s26
	buffer_store_dword v0, off, s[0:3], s32 offset:760 ; 4-byte Folded Spill
.LBB314_147:                            ;   in Loop: Header=BB314_16 Depth=1
	s_or_b32 exec_lo, exec_lo, s25
	flat_load_dwordx2 v[33:34], v[31:32] offset:512
	s_waitcnt vmcnt(0) lgkmcnt(0)
	v_cmp_ne_u16_sdwa s5, v33, v8 src0_sel:BYTE_0 src1_sel:DWORD
	s_and_saveexec_b32 s25, s5
	s_cbranch_execz .LBB314_155
; %bb.148:                              ;   in Loop: Header=BB314_16 Depth=1
	v_cmp_ne_u16_sdwa s5, v33, v70 src0_sel:BYTE_0 src1_sel:DWORD
	v_mov_b32_e32 v0, 0x8000
	buffer_store_dword v0, off, s[0:3], s32 offset:296 ; 4-byte Folded Spill
	s_and_saveexec_b32 s26, s5
	s_cbranch_execz .LBB314_154
; %bb.149:                              ;   in Loop: Header=BB314_16 Depth=1
	v_and_b32_e32 v2, 0x7f, v33
	v_mov_b32_e32 v0, 0x7c01
	s_mov_b32 s27, exec_lo
	buffer_store_dword v0, off, s[0:3], s32 offset:296 ; 4-byte Folded Spill
	v_cmpx_ne_u32_e32 0x7f, v2
	s_cbranch_execz .LBB314_153
; %bb.150:                              ;   in Loop: Header=BB314_16 Depth=1
	v_and_b32_e32 v0, 7, v33
	v_lshrrev_b32_e32 v1, 3, v2
	s_mov_b32 s28, exec_lo
	v_cmpx_gt_u32_e32 8, v2
; %bb.151:                              ;   in Loop: Header=BB314_16 Depth=1
	v_ffbh_u32_e32 v0, v0
	v_min_u32_e32 v2, 32, v0
	v_subrev_nc_u32_e32 v0, 28, v2
	v_lshlrev_b64 v[0:1], v0, v[33:34]
	v_sub_nc_u32_e32 v1, 29, v2
	v_and_b32_e32 v0, 7, v0
; %bb.152:                              ;   in Loop: Header=BB314_16 Depth=1
	s_or_b32 exec_lo, exec_lo, s28
	v_lshlrev_b32_e32 v2, 8, v33
	v_lshl_add_u32 v1, v1, 10, 0x2000
	v_lshlrev_b32_e32 v0, 7, v0
	v_and_b32_e32 v2, 0x8000, v2
	v_and_b32_e32 v1, 0xfc00, v1
	v_or3_b32 v0, v2, v1, v0
	buffer_store_dword v0, off, s[0:3], s32 offset:296 ; 4-byte Folded Spill
.LBB314_153:                            ;   in Loop: Header=BB314_16 Depth=1
	s_or_b32 exec_lo, exec_lo, s27
.LBB314_154:                            ;   in Loop: Header=BB314_16 Depth=1
	s_or_b32 exec_lo, exec_lo, s26
.LBB314_155:                            ;   in Loop: Header=BB314_16 Depth=1
	s_or_b32 exec_lo, exec_lo, s25
	v_mov_b32_e32 v0, 0
	v_lshrrev_b16 v7, 8, v33
	s_mov_b32 s25, exec_lo
	buffer_store_dword v0, off, s[0:3], s32 offset:304 ; 4-byte Folded Spill
	v_mov_b32_e32 v0, 0
	buffer_store_dword v0, off, s[0:3], s32 offset:300 ; 4-byte Folded Spill
	v_cmpx_ne_u16_e32 0, v7
	s_cbranch_execz .LBB314_163
; %bb.156:                              ;   in Loop: Header=BB314_16 Depth=1
	v_bfrev_b32_e32 v0, 1
	s_mov_b32 s26, exec_lo
	buffer_store_dword v0, off, s[0:3], s32 offset:300 ; 4-byte Folded Spill
	v_cmpx_ne_u16_e32 0x80, v7
	s_cbranch_execz .LBB314_162
; %bb.157:                              ;   in Loop: Header=BB314_16 Depth=1
	v_mov_b32_e32 v0, 0x7f
	s_mov_b32 s27, exec_lo
	v_and_b32_sdwa v2, v7, v0 dst_sel:DWORD dst_unused:UNUSED_PAD src0_sel:WORD_0 src1_sel:DWORD
	v_mov_b32_e32 v0, 0x7c010000
	buffer_store_dword v0, off, s[0:3], s32 offset:300 ; 4-byte Folded Spill
	v_cmpx_ne_u32_e32 0x7f, v2
	s_cbranch_execz .LBB314_161
; %bb.158:                              ;   in Loop: Header=BB314_16 Depth=1
	v_mov_b32_e32 v0, 7
	v_lshrrev_b32_e32 v1, 3, v2
	s_mov_b32 s28, exec_lo
	v_and_b32_sdwa v0, v7, v0 dst_sel:DWORD dst_unused:UNUSED_PAD src0_sel:WORD_0 src1_sel:DWORD
	v_cmpx_gt_u32_e32 8, v2
; %bb.159:                              ;   in Loop: Header=BB314_16 Depth=1
	v_ffbh_u32_e32 v0, v0
	v_min_u32_e32 v2, 32, v0
	v_subrev_nc_u32_e32 v0, 28, v2
	v_lshlrev_b64 v[0:1], v0, v[7:8]
	v_sub_nc_u32_e32 v1, 29, v2
	v_and_b32_e32 v0, 7, v0
; %bb.160:                              ;   in Loop: Header=BB314_16 Depth=1
	s_or_b32 exec_lo, exec_lo, s28
	v_mov_b32_e32 v2, 8
	v_lshl_add_u32 v1, v1, 10, 0x2000
	v_lshlrev_b32_e32 v0, 23, v0
	v_lshlrev_b32_sdwa v2, v2, v7 dst_sel:DWORD dst_unused:UNUSED_PAD src0_sel:DWORD src1_sel:WORD_0
	v_and_or_b32 v1, 0x8000, v2, v1
	v_lshl_or_b32 v0, v1, 16, v0
	buffer_store_dword v0, off, s[0:3], s32 offset:300 ; 4-byte Folded Spill
.LBB314_161:                            ;   in Loop: Header=BB314_16 Depth=1
	s_or_b32 exec_lo, exec_lo, s27
.LBB314_162:                            ;   in Loop: Header=BB314_16 Depth=1
	s_or_b32 exec_lo, exec_lo, s26
.LBB314_163:                            ;   in Loop: Header=BB314_16 Depth=1
	s_or_b32 exec_lo, exec_lo, s25
	v_lshrrev_b32_e32 v7, 16, v33
	v_cmp_ne_u16_sdwa s5, v7, v8 src0_sel:BYTE_0 src1_sel:DWORD
	s_and_saveexec_b32 s25, s5
	s_cbranch_execz .LBB314_171
; %bb.164:                              ;   in Loop: Header=BB314_16 Depth=1
	v_cmp_ne_u16_sdwa s5, v7, v70 src0_sel:BYTE_0 src1_sel:DWORD
	v_mov_b32_e32 v0, 0x8000
	buffer_store_dword v0, off, s[0:3], s32 offset:304 ; 4-byte Folded Spill
	s_and_saveexec_b32 s26, s5
	s_cbranch_execz .LBB314_170
; %bb.165:                              ;   in Loop: Header=BB314_16 Depth=1
	v_bfe_u32 v2, v33, 16, 7
	v_mov_b32_e32 v0, 0x7c01
	s_mov_b32 s27, exec_lo
	buffer_store_dword v0, off, s[0:3], s32 offset:304 ; 4-byte Folded Spill
	v_cmpx_ne_u32_e32 0x7f, v2
	s_cbranch_execz .LBB314_169
; %bb.166:                              ;   in Loop: Header=BB314_16 Depth=1
	v_and_b32_e32 v0, 7, v7
	v_lshrrev_b32_e32 v1, 3, v2
	s_mov_b32 s28, exec_lo
	v_cmpx_gt_u32_e32 8, v2
; %bb.167:                              ;   in Loop: Header=BB314_16 Depth=1
	v_ffbh_u32_e32 v0, v0
	v_min_u32_e32 v2, 32, v0
	v_subrev_nc_u32_e32 v0, 28, v2
	v_lshlrev_b64 v[0:1], v0, v[7:8]
	v_sub_nc_u32_e32 v1, 29, v2
	v_and_b32_e32 v0, 7, v0
; %bb.168:                              ;   in Loop: Header=BB314_16 Depth=1
	s_or_b32 exec_lo, exec_lo, s28
	v_lshlrev_b32_e32 v2, 8, v7
	v_lshl_add_u32 v1, v1, 10, 0x2000
	v_lshlrev_b32_e32 v0, 7, v0
	v_and_b32_e32 v2, 0x8000, v2
	v_and_b32_e32 v1, 0xfc00, v1
	v_or3_b32 v0, v2, v1, v0
	buffer_store_dword v0, off, s[0:3], s32 offset:304 ; 4-byte Folded Spill
.LBB314_169:                            ;   in Loop: Header=BB314_16 Depth=1
	s_or_b32 exec_lo, exec_lo, s27
.LBB314_170:                            ;   in Loop: Header=BB314_16 Depth=1
	s_or_b32 exec_lo, exec_lo, s26
.LBB314_171:                            ;   in Loop: Header=BB314_16 Depth=1
	s_or_b32 exec_lo, exec_lo, s25
	v_mov_b32_e32 v0, 0
	s_mov_b32 s25, exec_lo
	buffer_store_dword v0, off, s[0:3], s32 offset:308 ; 4-byte Folded Spill
	v_mov_b32_e32 v0, 0
	buffer_store_dword v0, off, s[0:3], s32 offset:312 ; 4-byte Folded Spill
	v_cmpx_lt_u32_e32 0xffffff, v33
	s_cbranch_execz .LBB314_179
; %bb.172:                              ;   in Loop: Header=BB314_16 Depth=1
	v_lshrrev_b32_e32 v7, 24, v33
	v_bfrev_b32_e32 v0, 1
	s_mov_b32 s26, exec_lo
	buffer_store_dword v0, off, s[0:3], s32 offset:312 ; 4-byte Folded Spill
	v_cmpx_ne_u32_e32 0x80, v7
	s_cbranch_execz .LBB314_178
; %bb.173:                              ;   in Loop: Header=BB314_16 Depth=1
	v_and_b32_e32 v2, 0x7f, v7
	v_mov_b32_e32 v0, 0x7c010000
	s_mov_b32 s27, exec_lo
	buffer_store_dword v0, off, s[0:3], s32 offset:312 ; 4-byte Folded Spill
	v_cmpx_ne_u32_e32 0x7f, v2
	s_cbranch_execz .LBB314_177
; %bb.174:                              ;   in Loop: Header=BB314_16 Depth=1
	v_and_b32_e32 v0, 7, v7
	v_lshrrev_b32_e32 v1, 3, v2
	s_mov_b32 s28, exec_lo
	v_cmpx_gt_u32_e32 8, v2
; %bb.175:                              ;   in Loop: Header=BB314_16 Depth=1
	v_ffbh_u32_e32 v0, v0
	v_min_u32_e32 v2, 32, v0
	v_subrev_nc_u32_e32 v0, 28, v2
	v_lshlrev_b64 v[0:1], v0, v[7:8]
	v_sub_nc_u32_e32 v1, 29, v2
	v_and_b32_e32 v0, 7, v0
; %bb.176:                              ;   in Loop: Header=BB314_16 Depth=1
	s_or_b32 exec_lo, exec_lo, s28
	v_lshlrev_b32_e32 v2, 8, v7
	v_lshl_add_u32 v1, v1, 10, 0x2000
	v_lshlrev_b32_e32 v0, 23, v0
	v_and_or_b32 v1, 0x8000, v2, v1
	v_lshl_or_b32 v0, v1, 16, v0
	buffer_store_dword v0, off, s[0:3], s32 offset:312 ; 4-byte Folded Spill
.LBB314_177:                            ;   in Loop: Header=BB314_16 Depth=1
	s_or_b32 exec_lo, exec_lo, s27
.LBB314_178:                            ;   in Loop: Header=BB314_16 Depth=1
	s_or_b32 exec_lo, exec_lo, s26
.LBB314_179:                            ;   in Loop: Header=BB314_16 Depth=1
	s_or_b32 exec_lo, exec_lo, s25
	v_mov_b32_e32 v7, v34
	v_cmp_ne_u16_sdwa s5, v34, v8 src0_sel:BYTE_0 src1_sel:DWORD
	s_and_saveexec_b32 s25, s5
	s_cbranch_execz .LBB314_187
; %bb.180:                              ;   in Loop: Header=BB314_16 Depth=1
	v_cmp_ne_u16_sdwa s5, v34, v70 src0_sel:BYTE_0 src1_sel:DWORD
	v_mov_b32_e32 v0, 0x8000
	buffer_store_dword v0, off, s[0:3], s32 offset:308 ; 4-byte Folded Spill
	s_and_saveexec_b32 s26, s5
	s_cbranch_execz .LBB314_186
; %bb.181:                              ;   in Loop: Header=BB314_16 Depth=1
	v_and_b32_e32 v2, 0x7f, v34
	v_mov_b32_e32 v0, 0x7c01
	s_mov_b32 s27, exec_lo
	buffer_store_dword v0, off, s[0:3], s32 offset:308 ; 4-byte Folded Spill
	v_cmpx_ne_u32_e32 0x7f, v2
	s_cbranch_execz .LBB314_185
; %bb.182:                              ;   in Loop: Header=BB314_16 Depth=1
	v_and_b32_e32 v0, 7, v34
	v_lshrrev_b32_e32 v1, 3, v2
	s_mov_b32 s28, exec_lo
	v_cmpx_gt_u32_e32 8, v2
; %bb.183:                              ;   in Loop: Header=BB314_16 Depth=1
	v_ffbh_u32_e32 v0, v0
	v_min_u32_e32 v2, 32, v0
	v_subrev_nc_u32_e32 v0, 28, v2
	v_lshlrev_b64 v[0:1], v0, v[7:8]
	v_sub_nc_u32_e32 v1, 29, v2
	v_and_b32_e32 v0, 7, v0
; %bb.184:                              ;   in Loop: Header=BB314_16 Depth=1
	s_or_b32 exec_lo, exec_lo, s28
	v_lshlrev_b32_e32 v2, 8, v34
	v_lshl_add_u32 v1, v1, 10, 0x2000
	v_lshlrev_b32_e32 v0, 7, v0
	v_and_b32_e32 v2, 0x8000, v2
	v_and_b32_e32 v1, 0xfc00, v1
	v_or3_b32 v0, v2, v1, v0
	buffer_store_dword v0, off, s[0:3], s32 offset:308 ; 4-byte Folded Spill
.LBB314_185:                            ;   in Loop: Header=BB314_16 Depth=1
	s_or_b32 exec_lo, exec_lo, s27
.LBB314_186:                            ;   in Loop: Header=BB314_16 Depth=1
	s_or_b32 exec_lo, exec_lo, s26
.LBB314_187:                            ;   in Loop: Header=BB314_16 Depth=1
	s_or_b32 exec_lo, exec_lo, s25
	v_mov_b32_e32 v0, 0
	v_lshrrev_b16 v7, 8, v7
	s_mov_b32 s25, exec_lo
	buffer_store_dword v0, off, s[0:3], s32 offset:316 ; 4-byte Folded Spill
	v_mov_b32_e32 v0, 0
	buffer_store_dword v0, off, s[0:3], s32 offset:320 ; 4-byte Folded Spill
	v_cmpx_ne_u16_e32 0, v7
	s_cbranch_execz .LBB314_195
; %bb.188:                              ;   in Loop: Header=BB314_16 Depth=1
	v_bfrev_b32_e32 v0, 1
	s_mov_b32 s26, exec_lo
	buffer_store_dword v0, off, s[0:3], s32 offset:320 ; 4-byte Folded Spill
	v_cmpx_ne_u16_e32 0x80, v7
	s_cbranch_execz .LBB314_194
; %bb.189:                              ;   in Loop: Header=BB314_16 Depth=1
	v_mov_b32_e32 v0, 0x7f
	s_mov_b32 s27, exec_lo
	v_and_b32_sdwa v2, v7, v0 dst_sel:DWORD dst_unused:UNUSED_PAD src0_sel:WORD_0 src1_sel:DWORD
	v_mov_b32_e32 v0, 0x7c010000
	buffer_store_dword v0, off, s[0:3], s32 offset:320 ; 4-byte Folded Spill
	v_cmpx_ne_u32_e32 0x7f, v2
	s_cbranch_execz .LBB314_193
; %bb.190:                              ;   in Loop: Header=BB314_16 Depth=1
	v_mov_b32_e32 v0, 7
	v_lshrrev_b32_e32 v1, 3, v2
	s_mov_b32 s28, exec_lo
	v_and_b32_sdwa v0, v7, v0 dst_sel:DWORD dst_unused:UNUSED_PAD src0_sel:WORD_0 src1_sel:DWORD
	v_cmpx_gt_u32_e32 8, v2
; %bb.191:                              ;   in Loop: Header=BB314_16 Depth=1
	v_ffbh_u32_e32 v0, v0
	v_min_u32_e32 v2, 32, v0
	v_subrev_nc_u32_e32 v0, 28, v2
	v_lshlrev_b64 v[0:1], v0, v[7:8]
	v_sub_nc_u32_e32 v1, 29, v2
	v_and_b32_e32 v0, 7, v0
; %bb.192:                              ;   in Loop: Header=BB314_16 Depth=1
	s_or_b32 exec_lo, exec_lo, s28
	v_mov_b32_e32 v2, 8
	v_lshl_add_u32 v1, v1, 10, 0x2000
	v_lshlrev_b32_e32 v0, 23, v0
	v_lshlrev_b32_sdwa v2, v2, v7 dst_sel:DWORD dst_unused:UNUSED_PAD src0_sel:DWORD src1_sel:WORD_0
	v_and_or_b32 v1, 0x8000, v2, v1
	v_lshl_or_b32 v0, v1, 16, v0
	buffer_store_dword v0, off, s[0:3], s32 offset:320 ; 4-byte Folded Spill
.LBB314_193:                            ;   in Loop: Header=BB314_16 Depth=1
	s_or_b32 exec_lo, exec_lo, s27
.LBB314_194:                            ;   in Loop: Header=BB314_16 Depth=1
	s_or_b32 exec_lo, exec_lo, s26
.LBB314_195:                            ;   in Loop: Header=BB314_16 Depth=1
	s_or_b32 exec_lo, exec_lo, s25
	v_lshrrev_b32_e32 v7, 16, v34
	v_cmp_ne_u16_sdwa s5, v7, v8 src0_sel:BYTE_0 src1_sel:DWORD
	s_and_saveexec_b32 s25, s5
	s_cbranch_execz .LBB314_203
; %bb.196:                              ;   in Loop: Header=BB314_16 Depth=1
	v_cmp_ne_u16_sdwa s5, v7, v70 src0_sel:BYTE_0 src1_sel:DWORD
	v_mov_b32_e32 v0, 0x8000
	buffer_store_dword v0, off, s[0:3], s32 offset:316 ; 4-byte Folded Spill
	s_and_saveexec_b32 s26, s5
	s_cbranch_execz .LBB314_202
; %bb.197:                              ;   in Loop: Header=BB314_16 Depth=1
	v_bfe_u32 v2, v34, 16, 7
	v_mov_b32_e32 v0, 0x7c01
	s_mov_b32 s27, exec_lo
	buffer_store_dword v0, off, s[0:3], s32 offset:316 ; 4-byte Folded Spill
	v_cmpx_ne_u32_e32 0x7f, v2
	s_cbranch_execz .LBB314_201
; %bb.198:                              ;   in Loop: Header=BB314_16 Depth=1
	v_and_b32_e32 v0, 7, v7
	v_lshrrev_b32_e32 v1, 3, v2
	s_mov_b32 s28, exec_lo
	v_cmpx_gt_u32_e32 8, v2
; %bb.199:                              ;   in Loop: Header=BB314_16 Depth=1
	v_ffbh_u32_e32 v0, v0
	v_min_u32_e32 v2, 32, v0
	v_subrev_nc_u32_e32 v0, 28, v2
	v_lshlrev_b64 v[0:1], v0, v[7:8]
	v_sub_nc_u32_e32 v1, 29, v2
	v_and_b32_e32 v0, 7, v0
; %bb.200:                              ;   in Loop: Header=BB314_16 Depth=1
	s_or_b32 exec_lo, exec_lo, s28
	v_lshlrev_b32_e32 v2, 8, v7
	v_lshl_add_u32 v1, v1, 10, 0x2000
	v_lshlrev_b32_e32 v0, 7, v0
	v_and_b32_e32 v2, 0x8000, v2
	v_and_b32_e32 v1, 0xfc00, v1
	v_or3_b32 v0, v2, v1, v0
	buffer_store_dword v0, off, s[0:3], s32 offset:316 ; 4-byte Folded Spill
.LBB314_201:                            ;   in Loop: Header=BB314_16 Depth=1
	s_or_b32 exec_lo, exec_lo, s27
.LBB314_202:                            ;   in Loop: Header=BB314_16 Depth=1
	s_or_b32 exec_lo, exec_lo, s26
.LBB314_203:                            ;   in Loop: Header=BB314_16 Depth=1
	s_or_b32 exec_lo, exec_lo, s25
	v_mov_b32_e32 v0, 0
	s_mov_b32 s25, exec_lo
	buffer_store_dword v0, off, s[0:3], s32 offset:324 ; 4-byte Folded Spill
	v_mov_b32_e32 v0, 0
	buffer_store_dword v0, off, s[0:3], s32 offset:764 ; 4-byte Folded Spill
	v_cmpx_lt_u64_e64 s[20:21], v[33:34]
	s_cbranch_execz .LBB314_211
; %bb.204:                              ;   in Loop: Header=BB314_16 Depth=1
	v_lshrrev_b32_e32 v7, 24, v34
	v_bfrev_b32_e32 v0, 1
	s_mov_b32 s26, exec_lo
	v_cmpx_ne_u32_e32 0x80, v7
	s_cbranch_execz .LBB314_210
; %bb.205:                              ;   in Loop: Header=BB314_16 Depth=1
	v_and_b32_e32 v2, 0x7f, v7
	v_mov_b32_e32 v0, 0x7c010000
	s_mov_b32 s27, exec_lo
	v_cmpx_ne_u32_e32 0x7f, v2
	s_cbranch_execz .LBB314_209
; %bb.206:                              ;   in Loop: Header=BB314_16 Depth=1
	v_and_b32_e32 v0, 7, v7
	v_lshrrev_b32_e32 v1, 3, v2
	s_mov_b32 s28, exec_lo
	v_cmpx_gt_u32_e32 8, v2
; %bb.207:                              ;   in Loop: Header=BB314_16 Depth=1
	v_ffbh_u32_e32 v0, v0
	v_min_u32_e32 v2, 32, v0
	v_subrev_nc_u32_e32 v0, 28, v2
	v_lshlrev_b64 v[0:1], v0, v[7:8]
	v_sub_nc_u32_e32 v1, 29, v2
	v_and_b32_e32 v0, 7, v0
; %bb.208:                              ;   in Loop: Header=BB314_16 Depth=1
	s_or_b32 exec_lo, exec_lo, s28
	v_lshlrev_b32_e32 v2, 8, v7
	v_lshl_add_u32 v1, v1, 10, 0x2000
	v_lshlrev_b32_e32 v0, 23, v0
	v_and_or_b32 v1, 0x8000, v2, v1
	v_lshl_or_b32 v0, v1, 16, v0
.LBB314_209:                            ;   in Loop: Header=BB314_16 Depth=1
	s_or_b32 exec_lo, exec_lo, s27
.LBB314_210:                            ;   in Loop: Header=BB314_16 Depth=1
	s_or_b32 exec_lo, exec_lo, s26
	buffer_store_dword v0, off, s[0:3], s32 offset:764 ; 4-byte Folded Spill
.LBB314_211:                            ;   in Loop: Header=BB314_16 Depth=1
	s_or_b32 exec_lo, exec_lo, s25
	flat_load_dwordx2 v[33:34], v[31:32] offset:520
	s_waitcnt vmcnt(0) lgkmcnt(0)
	v_cmp_ne_u16_sdwa s5, v33, v8 src0_sel:BYTE_0 src1_sel:DWORD
	s_and_saveexec_b32 s25, s5
	s_cbranch_execz .LBB314_219
; %bb.212:                              ;   in Loop: Header=BB314_16 Depth=1
	v_cmp_ne_u16_sdwa s5, v33, v70 src0_sel:BYTE_0 src1_sel:DWORD
	v_mov_b32_e32 v0, 0x8000
	buffer_store_dword v0, off, s[0:3], s32 offset:324 ; 4-byte Folded Spill
	s_and_saveexec_b32 s26, s5
	s_cbranch_execz .LBB314_218
; %bb.213:                              ;   in Loop: Header=BB314_16 Depth=1
	v_and_b32_e32 v2, 0x7f, v33
	v_mov_b32_e32 v0, 0x7c01
	s_mov_b32 s27, exec_lo
	buffer_store_dword v0, off, s[0:3], s32 offset:324 ; 4-byte Folded Spill
	v_cmpx_ne_u32_e32 0x7f, v2
	s_cbranch_execz .LBB314_217
; %bb.214:                              ;   in Loop: Header=BB314_16 Depth=1
	v_and_b32_e32 v0, 7, v33
	v_lshrrev_b32_e32 v1, 3, v2
	s_mov_b32 s28, exec_lo
	v_cmpx_gt_u32_e32 8, v2
; %bb.215:                              ;   in Loop: Header=BB314_16 Depth=1
	v_ffbh_u32_e32 v0, v0
	v_min_u32_e32 v2, 32, v0
	v_subrev_nc_u32_e32 v0, 28, v2
	v_lshlrev_b64 v[0:1], v0, v[33:34]
	v_sub_nc_u32_e32 v1, 29, v2
	v_and_b32_e32 v0, 7, v0
; %bb.216:                              ;   in Loop: Header=BB314_16 Depth=1
	s_or_b32 exec_lo, exec_lo, s28
	v_lshlrev_b32_e32 v2, 8, v33
	v_lshl_add_u32 v1, v1, 10, 0x2000
	v_lshlrev_b32_e32 v0, 7, v0
	v_and_b32_e32 v2, 0x8000, v2
	v_and_b32_e32 v1, 0xfc00, v1
	v_or3_b32 v0, v2, v1, v0
	buffer_store_dword v0, off, s[0:3], s32 offset:324 ; 4-byte Folded Spill
.LBB314_217:                            ;   in Loop: Header=BB314_16 Depth=1
	s_or_b32 exec_lo, exec_lo, s27
.LBB314_218:                            ;   in Loop: Header=BB314_16 Depth=1
	s_or_b32 exec_lo, exec_lo, s26
.LBB314_219:                            ;   in Loop: Header=BB314_16 Depth=1
	s_or_b32 exec_lo, exec_lo, s25
	v_mov_b32_e32 v0, 0
	v_lshrrev_b16 v7, 8, v33
	s_mov_b32 s25, exec_lo
	buffer_store_dword v0, off, s[0:3], s32 offset:332 ; 4-byte Folded Spill
	v_mov_b32_e32 v0, 0
	buffer_store_dword v0, off, s[0:3], s32 offset:328 ; 4-byte Folded Spill
	v_cmpx_ne_u16_e32 0, v7
	s_cbranch_execz .LBB314_227
; %bb.220:                              ;   in Loop: Header=BB314_16 Depth=1
	v_bfrev_b32_e32 v0, 1
	s_mov_b32 s26, exec_lo
	buffer_store_dword v0, off, s[0:3], s32 offset:328 ; 4-byte Folded Spill
	v_cmpx_ne_u16_e32 0x80, v7
	s_cbranch_execz .LBB314_226
; %bb.221:                              ;   in Loop: Header=BB314_16 Depth=1
	v_mov_b32_e32 v0, 0x7f
	s_mov_b32 s27, exec_lo
	v_and_b32_sdwa v2, v7, v0 dst_sel:DWORD dst_unused:UNUSED_PAD src0_sel:WORD_0 src1_sel:DWORD
	v_mov_b32_e32 v0, 0x7c010000
	buffer_store_dword v0, off, s[0:3], s32 offset:328 ; 4-byte Folded Spill
	v_cmpx_ne_u32_e32 0x7f, v2
	s_cbranch_execz .LBB314_225
; %bb.222:                              ;   in Loop: Header=BB314_16 Depth=1
	v_mov_b32_e32 v0, 7
	v_lshrrev_b32_e32 v1, 3, v2
	s_mov_b32 s28, exec_lo
	v_and_b32_sdwa v0, v7, v0 dst_sel:DWORD dst_unused:UNUSED_PAD src0_sel:WORD_0 src1_sel:DWORD
	v_cmpx_gt_u32_e32 8, v2
; %bb.223:                              ;   in Loop: Header=BB314_16 Depth=1
	v_ffbh_u32_e32 v0, v0
	v_min_u32_e32 v2, 32, v0
	v_subrev_nc_u32_e32 v0, 28, v2
	v_lshlrev_b64 v[0:1], v0, v[7:8]
	v_sub_nc_u32_e32 v1, 29, v2
	v_and_b32_e32 v0, 7, v0
; %bb.224:                              ;   in Loop: Header=BB314_16 Depth=1
	s_or_b32 exec_lo, exec_lo, s28
	v_mov_b32_e32 v2, 8
	v_lshl_add_u32 v1, v1, 10, 0x2000
	v_lshlrev_b32_e32 v0, 23, v0
	v_lshlrev_b32_sdwa v2, v2, v7 dst_sel:DWORD dst_unused:UNUSED_PAD src0_sel:DWORD src1_sel:WORD_0
	v_and_or_b32 v1, 0x8000, v2, v1
	v_lshl_or_b32 v0, v1, 16, v0
	buffer_store_dword v0, off, s[0:3], s32 offset:328 ; 4-byte Folded Spill
.LBB314_225:                            ;   in Loop: Header=BB314_16 Depth=1
	s_or_b32 exec_lo, exec_lo, s27
.LBB314_226:                            ;   in Loop: Header=BB314_16 Depth=1
	s_or_b32 exec_lo, exec_lo, s26
.LBB314_227:                            ;   in Loop: Header=BB314_16 Depth=1
	s_or_b32 exec_lo, exec_lo, s25
	v_lshrrev_b32_e32 v7, 16, v33
	v_cmp_ne_u16_sdwa s5, v7, v8 src0_sel:BYTE_0 src1_sel:DWORD
	s_and_saveexec_b32 s25, s5
	s_cbranch_execz .LBB314_235
; %bb.228:                              ;   in Loop: Header=BB314_16 Depth=1
	v_cmp_ne_u16_sdwa s5, v7, v70 src0_sel:BYTE_0 src1_sel:DWORD
	v_mov_b32_e32 v0, 0x8000
	buffer_store_dword v0, off, s[0:3], s32 offset:332 ; 4-byte Folded Spill
	s_and_saveexec_b32 s26, s5
	s_cbranch_execz .LBB314_234
; %bb.229:                              ;   in Loop: Header=BB314_16 Depth=1
	v_bfe_u32 v2, v33, 16, 7
	v_mov_b32_e32 v0, 0x7c01
	s_mov_b32 s27, exec_lo
	buffer_store_dword v0, off, s[0:3], s32 offset:332 ; 4-byte Folded Spill
	v_cmpx_ne_u32_e32 0x7f, v2
	s_cbranch_execz .LBB314_233
; %bb.230:                              ;   in Loop: Header=BB314_16 Depth=1
	v_and_b32_e32 v0, 7, v7
	v_lshrrev_b32_e32 v1, 3, v2
	s_mov_b32 s28, exec_lo
	v_cmpx_gt_u32_e32 8, v2
; %bb.231:                              ;   in Loop: Header=BB314_16 Depth=1
	v_ffbh_u32_e32 v0, v0
	v_min_u32_e32 v2, 32, v0
	v_subrev_nc_u32_e32 v0, 28, v2
	v_lshlrev_b64 v[0:1], v0, v[7:8]
	v_sub_nc_u32_e32 v1, 29, v2
	v_and_b32_e32 v0, 7, v0
; %bb.232:                              ;   in Loop: Header=BB314_16 Depth=1
	s_or_b32 exec_lo, exec_lo, s28
	v_lshlrev_b32_e32 v2, 8, v7
	v_lshl_add_u32 v1, v1, 10, 0x2000
	v_lshlrev_b32_e32 v0, 7, v0
	v_and_b32_e32 v2, 0x8000, v2
	v_and_b32_e32 v1, 0xfc00, v1
	v_or3_b32 v0, v2, v1, v0
	buffer_store_dword v0, off, s[0:3], s32 offset:332 ; 4-byte Folded Spill
.LBB314_233:                            ;   in Loop: Header=BB314_16 Depth=1
	s_or_b32 exec_lo, exec_lo, s27
.LBB314_234:                            ;   in Loop: Header=BB314_16 Depth=1
	s_or_b32 exec_lo, exec_lo, s26
.LBB314_235:                            ;   in Loop: Header=BB314_16 Depth=1
	s_or_b32 exec_lo, exec_lo, s25
	v_mov_b32_e32 v0, 0
	s_mov_b32 s25, exec_lo
	buffer_store_dword v0, off, s[0:3], s32 offset:336 ; 4-byte Folded Spill
	v_mov_b32_e32 v0, 0
	buffer_store_dword v0, off, s[0:3], s32 offset:340 ; 4-byte Folded Spill
	v_cmpx_lt_u32_e32 0xffffff, v33
	s_cbranch_execz .LBB314_243
; %bb.236:                              ;   in Loop: Header=BB314_16 Depth=1
	v_lshrrev_b32_e32 v7, 24, v33
	v_bfrev_b32_e32 v0, 1
	s_mov_b32 s26, exec_lo
	buffer_store_dword v0, off, s[0:3], s32 offset:340 ; 4-byte Folded Spill
	v_cmpx_ne_u32_e32 0x80, v7
	s_cbranch_execz .LBB314_242
; %bb.237:                              ;   in Loop: Header=BB314_16 Depth=1
	v_and_b32_e32 v2, 0x7f, v7
	v_mov_b32_e32 v0, 0x7c010000
	s_mov_b32 s27, exec_lo
	buffer_store_dword v0, off, s[0:3], s32 offset:340 ; 4-byte Folded Spill
	v_cmpx_ne_u32_e32 0x7f, v2
	s_cbranch_execz .LBB314_241
; %bb.238:                              ;   in Loop: Header=BB314_16 Depth=1
	v_and_b32_e32 v0, 7, v7
	v_lshrrev_b32_e32 v1, 3, v2
	s_mov_b32 s28, exec_lo
	v_cmpx_gt_u32_e32 8, v2
; %bb.239:                              ;   in Loop: Header=BB314_16 Depth=1
	v_ffbh_u32_e32 v0, v0
	v_min_u32_e32 v2, 32, v0
	v_subrev_nc_u32_e32 v0, 28, v2
	v_lshlrev_b64 v[0:1], v0, v[7:8]
	v_sub_nc_u32_e32 v1, 29, v2
	v_and_b32_e32 v0, 7, v0
; %bb.240:                              ;   in Loop: Header=BB314_16 Depth=1
	s_or_b32 exec_lo, exec_lo, s28
	v_lshlrev_b32_e32 v2, 8, v7
	v_lshl_add_u32 v1, v1, 10, 0x2000
	v_lshlrev_b32_e32 v0, 23, v0
	v_and_or_b32 v1, 0x8000, v2, v1
	v_lshl_or_b32 v0, v1, 16, v0
	buffer_store_dword v0, off, s[0:3], s32 offset:340 ; 4-byte Folded Spill
.LBB314_241:                            ;   in Loop: Header=BB314_16 Depth=1
	s_or_b32 exec_lo, exec_lo, s27
.LBB314_242:                            ;   in Loop: Header=BB314_16 Depth=1
	s_or_b32 exec_lo, exec_lo, s26
.LBB314_243:                            ;   in Loop: Header=BB314_16 Depth=1
	s_or_b32 exec_lo, exec_lo, s25
	v_mov_b32_e32 v7, v34
	v_cmp_ne_u16_sdwa s5, v34, v8 src0_sel:BYTE_0 src1_sel:DWORD
	s_and_saveexec_b32 s25, s5
	s_cbranch_execz .LBB314_251
; %bb.244:                              ;   in Loop: Header=BB314_16 Depth=1
	v_cmp_ne_u16_sdwa s5, v34, v70 src0_sel:BYTE_0 src1_sel:DWORD
	v_mov_b32_e32 v0, 0x8000
	buffer_store_dword v0, off, s[0:3], s32 offset:336 ; 4-byte Folded Spill
	s_and_saveexec_b32 s26, s5
	s_cbranch_execz .LBB314_250
; %bb.245:                              ;   in Loop: Header=BB314_16 Depth=1
	v_and_b32_e32 v2, 0x7f, v34
	v_mov_b32_e32 v0, 0x7c01
	s_mov_b32 s27, exec_lo
	buffer_store_dword v0, off, s[0:3], s32 offset:336 ; 4-byte Folded Spill
	v_cmpx_ne_u32_e32 0x7f, v2
	s_cbranch_execz .LBB314_249
; %bb.246:                              ;   in Loop: Header=BB314_16 Depth=1
	v_and_b32_e32 v0, 7, v34
	v_lshrrev_b32_e32 v1, 3, v2
	s_mov_b32 s28, exec_lo
	v_cmpx_gt_u32_e32 8, v2
; %bb.247:                              ;   in Loop: Header=BB314_16 Depth=1
	v_ffbh_u32_e32 v0, v0
	v_min_u32_e32 v2, 32, v0
	v_subrev_nc_u32_e32 v0, 28, v2
	v_lshlrev_b64 v[0:1], v0, v[7:8]
	v_sub_nc_u32_e32 v1, 29, v2
	v_and_b32_e32 v0, 7, v0
; %bb.248:                              ;   in Loop: Header=BB314_16 Depth=1
	s_or_b32 exec_lo, exec_lo, s28
	v_lshlrev_b32_e32 v2, 8, v34
	v_lshl_add_u32 v1, v1, 10, 0x2000
	v_lshlrev_b32_e32 v0, 7, v0
	v_and_b32_e32 v2, 0x8000, v2
	v_and_b32_e32 v1, 0xfc00, v1
	v_or3_b32 v0, v2, v1, v0
	buffer_store_dword v0, off, s[0:3], s32 offset:336 ; 4-byte Folded Spill
.LBB314_249:                            ;   in Loop: Header=BB314_16 Depth=1
	s_or_b32 exec_lo, exec_lo, s27
.LBB314_250:                            ;   in Loop: Header=BB314_16 Depth=1
	s_or_b32 exec_lo, exec_lo, s26
.LBB314_251:                            ;   in Loop: Header=BB314_16 Depth=1
	s_or_b32 exec_lo, exec_lo, s25
	v_mov_b32_e32 v0, 0
	v_lshrrev_b16 v7, 8, v7
	s_mov_b32 s25, exec_lo
	buffer_store_dword v0, off, s[0:3], s32 offset:344 ; 4-byte Folded Spill
	v_mov_b32_e32 v0, 0
	buffer_store_dword v0, off, s[0:3], s32 offset:348 ; 4-byte Folded Spill
	v_cmpx_ne_u16_e32 0, v7
	s_cbranch_execz .LBB314_259
; %bb.252:                              ;   in Loop: Header=BB314_16 Depth=1
	v_bfrev_b32_e32 v0, 1
	s_mov_b32 s26, exec_lo
	buffer_store_dword v0, off, s[0:3], s32 offset:348 ; 4-byte Folded Spill
	v_cmpx_ne_u16_e32 0x80, v7
	s_cbranch_execz .LBB314_258
; %bb.253:                              ;   in Loop: Header=BB314_16 Depth=1
	v_mov_b32_e32 v0, 0x7f
	s_mov_b32 s27, exec_lo
	v_and_b32_sdwa v2, v7, v0 dst_sel:DWORD dst_unused:UNUSED_PAD src0_sel:WORD_0 src1_sel:DWORD
	v_mov_b32_e32 v0, 0x7c010000
	buffer_store_dword v0, off, s[0:3], s32 offset:348 ; 4-byte Folded Spill
	v_cmpx_ne_u32_e32 0x7f, v2
	s_cbranch_execz .LBB314_257
; %bb.254:                              ;   in Loop: Header=BB314_16 Depth=1
	v_mov_b32_e32 v0, 7
	v_lshrrev_b32_e32 v1, 3, v2
	s_mov_b32 s28, exec_lo
	v_and_b32_sdwa v0, v7, v0 dst_sel:DWORD dst_unused:UNUSED_PAD src0_sel:WORD_0 src1_sel:DWORD
	v_cmpx_gt_u32_e32 8, v2
; %bb.255:                              ;   in Loop: Header=BB314_16 Depth=1
	v_ffbh_u32_e32 v0, v0
	v_min_u32_e32 v2, 32, v0
	v_subrev_nc_u32_e32 v0, 28, v2
	v_lshlrev_b64 v[0:1], v0, v[7:8]
	v_sub_nc_u32_e32 v1, 29, v2
	v_and_b32_e32 v0, 7, v0
; %bb.256:                              ;   in Loop: Header=BB314_16 Depth=1
	s_or_b32 exec_lo, exec_lo, s28
	v_mov_b32_e32 v2, 8
	v_lshl_add_u32 v1, v1, 10, 0x2000
	v_lshlrev_b32_e32 v0, 23, v0
	v_lshlrev_b32_sdwa v2, v2, v7 dst_sel:DWORD dst_unused:UNUSED_PAD src0_sel:DWORD src1_sel:WORD_0
	v_and_or_b32 v1, 0x8000, v2, v1
	v_lshl_or_b32 v0, v1, 16, v0
	buffer_store_dword v0, off, s[0:3], s32 offset:348 ; 4-byte Folded Spill
.LBB314_257:                            ;   in Loop: Header=BB314_16 Depth=1
	s_or_b32 exec_lo, exec_lo, s27
.LBB314_258:                            ;   in Loop: Header=BB314_16 Depth=1
	s_or_b32 exec_lo, exec_lo, s26
.LBB314_259:                            ;   in Loop: Header=BB314_16 Depth=1
	s_or_b32 exec_lo, exec_lo, s25
	v_lshrrev_b32_e32 v7, 16, v34
	v_cmp_ne_u16_sdwa s5, v7, v8 src0_sel:BYTE_0 src1_sel:DWORD
	s_and_saveexec_b32 s25, s5
	s_cbranch_execz .LBB314_267
; %bb.260:                              ;   in Loop: Header=BB314_16 Depth=1
	v_cmp_ne_u16_sdwa s5, v7, v70 src0_sel:BYTE_0 src1_sel:DWORD
	v_mov_b32_e32 v0, 0x8000
	buffer_store_dword v0, off, s[0:3], s32 offset:344 ; 4-byte Folded Spill
	s_and_saveexec_b32 s26, s5
	s_cbranch_execz .LBB314_266
; %bb.261:                              ;   in Loop: Header=BB314_16 Depth=1
	v_bfe_u32 v2, v34, 16, 7
	v_mov_b32_e32 v0, 0x7c01
	s_mov_b32 s27, exec_lo
	buffer_store_dword v0, off, s[0:3], s32 offset:344 ; 4-byte Folded Spill
	v_cmpx_ne_u32_e32 0x7f, v2
	s_cbranch_execz .LBB314_265
; %bb.262:                              ;   in Loop: Header=BB314_16 Depth=1
	v_and_b32_e32 v0, 7, v7
	v_lshrrev_b32_e32 v1, 3, v2
	s_mov_b32 s28, exec_lo
	v_cmpx_gt_u32_e32 8, v2
; %bb.263:                              ;   in Loop: Header=BB314_16 Depth=1
	v_ffbh_u32_e32 v0, v0
	v_min_u32_e32 v2, 32, v0
	v_subrev_nc_u32_e32 v0, 28, v2
	v_lshlrev_b64 v[0:1], v0, v[7:8]
	v_sub_nc_u32_e32 v1, 29, v2
	v_and_b32_e32 v0, 7, v0
; %bb.264:                              ;   in Loop: Header=BB314_16 Depth=1
	s_or_b32 exec_lo, exec_lo, s28
	v_lshlrev_b32_e32 v2, 8, v7
	v_lshl_add_u32 v1, v1, 10, 0x2000
	v_lshlrev_b32_e32 v0, 7, v0
	v_and_b32_e32 v2, 0x8000, v2
	v_and_b32_e32 v1, 0xfc00, v1
	v_or3_b32 v0, v2, v1, v0
	buffer_store_dword v0, off, s[0:3], s32 offset:344 ; 4-byte Folded Spill
.LBB314_265:                            ;   in Loop: Header=BB314_16 Depth=1
	s_or_b32 exec_lo, exec_lo, s27
.LBB314_266:                            ;   in Loop: Header=BB314_16 Depth=1
	s_or_b32 exec_lo, exec_lo, s26
.LBB314_267:                            ;   in Loop: Header=BB314_16 Depth=1
	s_or_b32 exec_lo, exec_lo, s25
	v_mov_b32_e32 v82, 0
	v_mov_b32_e32 v0, 0
	s_mov_b32 s25, exec_lo
	buffer_store_dword v0, off, s[0:3], s32 offset:768 ; 4-byte Folded Spill
	v_cmpx_lt_u64_e64 s[20:21], v[33:34]
	s_cbranch_execz .LBB314_275
; %bb.268:                              ;   in Loop: Header=BB314_16 Depth=1
	v_lshrrev_b32_e32 v7, 24, v34
	v_bfrev_b32_e32 v0, 1
	s_mov_b32 s26, exec_lo
	v_cmpx_ne_u32_e32 0x80, v7
	s_cbranch_execz .LBB314_274
; %bb.269:                              ;   in Loop: Header=BB314_16 Depth=1
	v_and_b32_e32 v2, 0x7f, v7
	v_mov_b32_e32 v0, 0x7c010000
	s_mov_b32 s27, exec_lo
	v_cmpx_ne_u32_e32 0x7f, v2
	s_cbranch_execz .LBB314_273
; %bb.270:                              ;   in Loop: Header=BB314_16 Depth=1
	v_and_b32_e32 v0, 7, v7
	v_lshrrev_b32_e32 v1, 3, v2
	s_mov_b32 s28, exec_lo
	v_cmpx_gt_u32_e32 8, v2
; %bb.271:                              ;   in Loop: Header=BB314_16 Depth=1
	v_ffbh_u32_e32 v0, v0
	v_min_u32_e32 v2, 32, v0
	v_subrev_nc_u32_e32 v0, 28, v2
	v_lshlrev_b64 v[0:1], v0, v[7:8]
	v_sub_nc_u32_e32 v1, 29, v2
	v_and_b32_e32 v0, 7, v0
; %bb.272:                              ;   in Loop: Header=BB314_16 Depth=1
	s_or_b32 exec_lo, exec_lo, s28
	v_lshlrev_b32_e32 v2, 8, v7
	v_lshl_add_u32 v1, v1, 10, 0x2000
	v_lshlrev_b32_e32 v0, 23, v0
	v_and_or_b32 v1, 0x8000, v2, v1
	v_lshl_or_b32 v0, v1, 16, v0
.LBB314_273:                            ;   in Loop: Header=BB314_16 Depth=1
	s_or_b32 exec_lo, exec_lo, s27
.LBB314_274:                            ;   in Loop: Header=BB314_16 Depth=1
	s_or_b32 exec_lo, exec_lo, s26
	buffer_store_dword v0, off, s[0:3], s32 offset:768 ; 4-byte Folded Spill
.LBB314_275:                            ;   in Loop: Header=BB314_16 Depth=1
	s_or_b32 exec_lo, exec_lo, s25
	flat_load_dwordx2 v[33:34], v[31:32] offset:1024
	s_waitcnt vmcnt(0) lgkmcnt(0)
	v_cmp_ne_u16_sdwa s5, v33, v8 src0_sel:BYTE_0 src1_sel:DWORD
	s_and_saveexec_b32 s25, s5
	s_cbranch_execz .LBB314_283
; %bb.276:                              ;   in Loop: Header=BB314_16 Depth=1
	v_cmp_ne_u16_sdwa s5, v33, v70 src0_sel:BYTE_0 src1_sel:DWORD
	v_mov_b32_e32 v82, 0x8000
	s_and_saveexec_b32 s26, s5
	s_cbranch_execz .LBB314_282
; %bb.277:                              ;   in Loop: Header=BB314_16 Depth=1
	v_and_b32_e32 v2, 0x7f, v33
	v_mov_b32_e32 v82, 0x7c01
	s_mov_b32 s27, exec_lo
	v_cmpx_ne_u32_e32 0x7f, v2
	s_cbranch_execz .LBB314_281
; %bb.278:                              ;   in Loop: Header=BB314_16 Depth=1
	v_and_b32_e32 v0, 7, v33
	v_lshrrev_b32_e32 v1, 3, v2
	s_mov_b32 s28, exec_lo
	v_cmpx_gt_u32_e32 8, v2
; %bb.279:                              ;   in Loop: Header=BB314_16 Depth=1
	v_ffbh_u32_e32 v0, v0
	v_min_u32_e32 v2, 32, v0
	v_subrev_nc_u32_e32 v0, 28, v2
	v_lshlrev_b64 v[0:1], v0, v[33:34]
	v_sub_nc_u32_e32 v1, 29, v2
	v_and_b32_e32 v0, 7, v0
; %bb.280:                              ;   in Loop: Header=BB314_16 Depth=1
	s_or_b32 exec_lo, exec_lo, s28
	v_lshlrev_b32_e32 v2, 8, v33
	v_lshl_add_u32 v1, v1, 10, 0x2000
	v_lshlrev_b32_e32 v0, 7, v0
	v_and_b32_e32 v2, 0x8000, v2
	v_and_b32_e32 v1, 0xfc00, v1
	v_or3_b32 v82, v2, v1, v0
.LBB314_281:                            ;   in Loop: Header=BB314_16 Depth=1
	s_or_b32 exec_lo, exec_lo, s27
.LBB314_282:                            ;   in Loop: Header=BB314_16 Depth=1
	s_or_b32 exec_lo, exec_lo, s26
.LBB314_283:                            ;   in Loop: Header=BB314_16 Depth=1
	s_or_b32 exec_lo, exec_lo, s25
	v_mov_b32_e32 v0, 0
	v_lshrrev_b16 v7, 8, v33
	s_mov_b32 s25, exec_lo
	buffer_store_dword v0, off, s[0:3], s32 offset:356 ; 4-byte Folded Spill
	v_mov_b32_e32 v0, 0
	buffer_store_dword v0, off, s[0:3], s32 offset:352 ; 4-byte Folded Spill
	v_cmpx_ne_u16_e32 0, v7
	s_cbranch_execz .LBB314_291
; %bb.284:                              ;   in Loop: Header=BB314_16 Depth=1
	v_bfrev_b32_e32 v0, 1
	s_mov_b32 s26, exec_lo
	buffer_store_dword v0, off, s[0:3], s32 offset:352 ; 4-byte Folded Spill
	v_cmpx_ne_u16_e32 0x80, v7
	s_cbranch_execz .LBB314_290
; %bb.285:                              ;   in Loop: Header=BB314_16 Depth=1
	v_mov_b32_e32 v0, 0x7f
	s_mov_b32 s27, exec_lo
	v_and_b32_sdwa v2, v7, v0 dst_sel:DWORD dst_unused:UNUSED_PAD src0_sel:WORD_0 src1_sel:DWORD
	v_mov_b32_e32 v0, 0x7c010000
	buffer_store_dword v0, off, s[0:3], s32 offset:352 ; 4-byte Folded Spill
	v_cmpx_ne_u32_e32 0x7f, v2
	s_cbranch_execz .LBB314_289
; %bb.286:                              ;   in Loop: Header=BB314_16 Depth=1
	v_mov_b32_e32 v0, 7
	v_lshrrev_b32_e32 v1, 3, v2
	s_mov_b32 s28, exec_lo
	v_and_b32_sdwa v0, v7, v0 dst_sel:DWORD dst_unused:UNUSED_PAD src0_sel:WORD_0 src1_sel:DWORD
	v_cmpx_gt_u32_e32 8, v2
; %bb.287:                              ;   in Loop: Header=BB314_16 Depth=1
	v_ffbh_u32_e32 v0, v0
	v_min_u32_e32 v2, 32, v0
	v_subrev_nc_u32_e32 v0, 28, v2
	v_lshlrev_b64 v[0:1], v0, v[7:8]
	v_sub_nc_u32_e32 v1, 29, v2
	v_and_b32_e32 v0, 7, v0
; %bb.288:                              ;   in Loop: Header=BB314_16 Depth=1
	s_or_b32 exec_lo, exec_lo, s28
	v_mov_b32_e32 v2, 8
	v_lshl_add_u32 v1, v1, 10, 0x2000
	v_lshlrev_b32_e32 v0, 23, v0
	v_lshlrev_b32_sdwa v2, v2, v7 dst_sel:DWORD dst_unused:UNUSED_PAD src0_sel:DWORD src1_sel:WORD_0
	v_and_or_b32 v1, 0x8000, v2, v1
	v_lshl_or_b32 v0, v1, 16, v0
	buffer_store_dword v0, off, s[0:3], s32 offset:352 ; 4-byte Folded Spill
.LBB314_289:                            ;   in Loop: Header=BB314_16 Depth=1
	s_or_b32 exec_lo, exec_lo, s27
.LBB314_290:                            ;   in Loop: Header=BB314_16 Depth=1
	s_or_b32 exec_lo, exec_lo, s26
.LBB314_291:                            ;   in Loop: Header=BB314_16 Depth=1
	s_or_b32 exec_lo, exec_lo, s25
	v_lshrrev_b32_e32 v7, 16, v33
	v_cmp_ne_u16_sdwa s5, v7, v8 src0_sel:BYTE_0 src1_sel:DWORD
	s_and_saveexec_b32 s25, s5
	s_cbranch_execz .LBB314_299
; %bb.292:                              ;   in Loop: Header=BB314_16 Depth=1
	v_cmp_ne_u16_sdwa s5, v7, v70 src0_sel:BYTE_0 src1_sel:DWORD
	v_mov_b32_e32 v0, 0x8000
	buffer_store_dword v0, off, s[0:3], s32 offset:356 ; 4-byte Folded Spill
	s_and_saveexec_b32 s26, s5
	s_cbranch_execz .LBB314_298
; %bb.293:                              ;   in Loop: Header=BB314_16 Depth=1
	v_bfe_u32 v2, v33, 16, 7
	v_mov_b32_e32 v0, 0x7c01
	s_mov_b32 s27, exec_lo
	buffer_store_dword v0, off, s[0:3], s32 offset:356 ; 4-byte Folded Spill
	v_cmpx_ne_u32_e32 0x7f, v2
	s_cbranch_execz .LBB314_297
; %bb.294:                              ;   in Loop: Header=BB314_16 Depth=1
	v_and_b32_e32 v0, 7, v7
	v_lshrrev_b32_e32 v1, 3, v2
	s_mov_b32 s28, exec_lo
	v_cmpx_gt_u32_e32 8, v2
; %bb.295:                              ;   in Loop: Header=BB314_16 Depth=1
	v_ffbh_u32_e32 v0, v0
	v_min_u32_e32 v2, 32, v0
	v_subrev_nc_u32_e32 v0, 28, v2
	v_lshlrev_b64 v[0:1], v0, v[7:8]
	v_sub_nc_u32_e32 v1, 29, v2
	v_and_b32_e32 v0, 7, v0
; %bb.296:                              ;   in Loop: Header=BB314_16 Depth=1
	s_or_b32 exec_lo, exec_lo, s28
	v_lshlrev_b32_e32 v2, 8, v7
	v_lshl_add_u32 v1, v1, 10, 0x2000
	v_lshlrev_b32_e32 v0, 7, v0
	v_and_b32_e32 v2, 0x8000, v2
	v_and_b32_e32 v1, 0xfc00, v1
	v_or3_b32 v0, v2, v1, v0
	buffer_store_dword v0, off, s[0:3], s32 offset:356 ; 4-byte Folded Spill
.LBB314_297:                            ;   in Loop: Header=BB314_16 Depth=1
	s_or_b32 exec_lo, exec_lo, s27
.LBB314_298:                            ;   in Loop: Header=BB314_16 Depth=1
	s_or_b32 exec_lo, exec_lo, s26
.LBB314_299:                            ;   in Loop: Header=BB314_16 Depth=1
	s_or_b32 exec_lo, exec_lo, s25
	v_mov_b32_e32 v0, 0
	s_mov_b32 s25, exec_lo
	buffer_store_dword v0, off, s[0:3], s32 offset:360 ; 4-byte Folded Spill
	v_mov_b32_e32 v0, 0
	buffer_store_dword v0, off, s[0:3], s32 offset:364 ; 4-byte Folded Spill
	v_cmpx_lt_u32_e32 0xffffff, v33
	s_cbranch_execz .LBB314_307
; %bb.300:                              ;   in Loop: Header=BB314_16 Depth=1
	v_lshrrev_b32_e32 v7, 24, v33
	v_bfrev_b32_e32 v0, 1
	s_mov_b32 s26, exec_lo
	buffer_store_dword v0, off, s[0:3], s32 offset:364 ; 4-byte Folded Spill
	v_cmpx_ne_u32_e32 0x80, v7
	s_cbranch_execz .LBB314_306
; %bb.301:                              ;   in Loop: Header=BB314_16 Depth=1
	v_and_b32_e32 v2, 0x7f, v7
	v_mov_b32_e32 v0, 0x7c010000
	s_mov_b32 s27, exec_lo
	buffer_store_dword v0, off, s[0:3], s32 offset:364 ; 4-byte Folded Spill
	v_cmpx_ne_u32_e32 0x7f, v2
	s_cbranch_execz .LBB314_305
; %bb.302:                              ;   in Loop: Header=BB314_16 Depth=1
	v_and_b32_e32 v0, 7, v7
	v_lshrrev_b32_e32 v1, 3, v2
	s_mov_b32 s28, exec_lo
	v_cmpx_gt_u32_e32 8, v2
; %bb.303:                              ;   in Loop: Header=BB314_16 Depth=1
	v_ffbh_u32_e32 v0, v0
	v_min_u32_e32 v2, 32, v0
	v_subrev_nc_u32_e32 v0, 28, v2
	v_lshlrev_b64 v[0:1], v0, v[7:8]
	v_sub_nc_u32_e32 v1, 29, v2
	v_and_b32_e32 v0, 7, v0
; %bb.304:                              ;   in Loop: Header=BB314_16 Depth=1
	s_or_b32 exec_lo, exec_lo, s28
	v_lshlrev_b32_e32 v2, 8, v7
	v_lshl_add_u32 v1, v1, 10, 0x2000
	v_lshlrev_b32_e32 v0, 23, v0
	v_and_or_b32 v1, 0x8000, v2, v1
	v_lshl_or_b32 v0, v1, 16, v0
	buffer_store_dword v0, off, s[0:3], s32 offset:364 ; 4-byte Folded Spill
.LBB314_305:                            ;   in Loop: Header=BB314_16 Depth=1
	s_or_b32 exec_lo, exec_lo, s27
.LBB314_306:                            ;   in Loop: Header=BB314_16 Depth=1
	s_or_b32 exec_lo, exec_lo, s26
.LBB314_307:                            ;   in Loop: Header=BB314_16 Depth=1
	s_or_b32 exec_lo, exec_lo, s25
	v_mov_b32_e32 v7, v34
	v_cmp_ne_u16_sdwa s5, v34, v8 src0_sel:BYTE_0 src1_sel:DWORD
	s_and_saveexec_b32 s25, s5
	s_cbranch_execz .LBB314_315
; %bb.308:                              ;   in Loop: Header=BB314_16 Depth=1
	v_cmp_ne_u16_sdwa s5, v34, v70 src0_sel:BYTE_0 src1_sel:DWORD
	v_mov_b32_e32 v0, 0x8000
	buffer_store_dword v0, off, s[0:3], s32 offset:360 ; 4-byte Folded Spill
	s_and_saveexec_b32 s26, s5
	s_cbranch_execz .LBB314_314
; %bb.309:                              ;   in Loop: Header=BB314_16 Depth=1
	v_and_b32_e32 v2, 0x7f, v34
	v_mov_b32_e32 v0, 0x7c01
	s_mov_b32 s27, exec_lo
	buffer_store_dword v0, off, s[0:3], s32 offset:360 ; 4-byte Folded Spill
	v_cmpx_ne_u32_e32 0x7f, v2
	s_cbranch_execz .LBB314_313
; %bb.310:                              ;   in Loop: Header=BB314_16 Depth=1
	v_and_b32_e32 v0, 7, v34
	v_lshrrev_b32_e32 v1, 3, v2
	s_mov_b32 s28, exec_lo
	v_cmpx_gt_u32_e32 8, v2
; %bb.311:                              ;   in Loop: Header=BB314_16 Depth=1
	v_ffbh_u32_e32 v0, v0
	v_min_u32_e32 v2, 32, v0
	v_subrev_nc_u32_e32 v0, 28, v2
	v_lshlrev_b64 v[0:1], v0, v[7:8]
	v_sub_nc_u32_e32 v1, 29, v2
	v_and_b32_e32 v0, 7, v0
; %bb.312:                              ;   in Loop: Header=BB314_16 Depth=1
	s_or_b32 exec_lo, exec_lo, s28
	v_lshlrev_b32_e32 v2, 8, v34
	v_lshl_add_u32 v1, v1, 10, 0x2000
	v_lshlrev_b32_e32 v0, 7, v0
	v_and_b32_e32 v2, 0x8000, v2
	v_and_b32_e32 v1, 0xfc00, v1
	v_or3_b32 v0, v2, v1, v0
	buffer_store_dword v0, off, s[0:3], s32 offset:360 ; 4-byte Folded Spill
.LBB314_313:                            ;   in Loop: Header=BB314_16 Depth=1
	s_or_b32 exec_lo, exec_lo, s27
.LBB314_314:                            ;   in Loop: Header=BB314_16 Depth=1
	s_or_b32 exec_lo, exec_lo, s26
.LBB314_315:                            ;   in Loop: Header=BB314_16 Depth=1
	s_or_b32 exec_lo, exec_lo, s25
	v_mov_b32_e32 v0, 0
	v_lshrrev_b16 v7, 8, v7
	s_mov_b32 s25, exec_lo
	buffer_store_dword v0, off, s[0:3], s32 offset:368 ; 4-byte Folded Spill
	v_mov_b32_e32 v0, 0
	buffer_store_dword v0, off, s[0:3], s32 offset:372 ; 4-byte Folded Spill
	v_cmpx_ne_u16_e32 0, v7
	s_cbranch_execz .LBB314_323
; %bb.316:                              ;   in Loop: Header=BB314_16 Depth=1
	v_bfrev_b32_e32 v0, 1
	s_mov_b32 s26, exec_lo
	buffer_store_dword v0, off, s[0:3], s32 offset:372 ; 4-byte Folded Spill
	v_cmpx_ne_u16_e32 0x80, v7
	s_cbranch_execz .LBB314_322
; %bb.317:                              ;   in Loop: Header=BB314_16 Depth=1
	v_mov_b32_e32 v0, 0x7f
	s_mov_b32 s27, exec_lo
	v_and_b32_sdwa v2, v7, v0 dst_sel:DWORD dst_unused:UNUSED_PAD src0_sel:WORD_0 src1_sel:DWORD
	v_mov_b32_e32 v0, 0x7c010000
	buffer_store_dword v0, off, s[0:3], s32 offset:372 ; 4-byte Folded Spill
	v_cmpx_ne_u32_e32 0x7f, v2
	s_cbranch_execz .LBB314_321
; %bb.318:                              ;   in Loop: Header=BB314_16 Depth=1
	v_mov_b32_e32 v0, 7
	v_lshrrev_b32_e32 v1, 3, v2
	s_mov_b32 s28, exec_lo
	v_and_b32_sdwa v0, v7, v0 dst_sel:DWORD dst_unused:UNUSED_PAD src0_sel:WORD_0 src1_sel:DWORD
	v_cmpx_gt_u32_e32 8, v2
; %bb.319:                              ;   in Loop: Header=BB314_16 Depth=1
	v_ffbh_u32_e32 v0, v0
	v_min_u32_e32 v2, 32, v0
	v_subrev_nc_u32_e32 v0, 28, v2
	v_lshlrev_b64 v[0:1], v0, v[7:8]
	v_sub_nc_u32_e32 v1, 29, v2
	v_and_b32_e32 v0, 7, v0
; %bb.320:                              ;   in Loop: Header=BB314_16 Depth=1
	s_or_b32 exec_lo, exec_lo, s28
	v_mov_b32_e32 v2, 8
	v_lshl_add_u32 v1, v1, 10, 0x2000
	v_lshlrev_b32_e32 v0, 23, v0
	v_lshlrev_b32_sdwa v2, v2, v7 dst_sel:DWORD dst_unused:UNUSED_PAD src0_sel:DWORD src1_sel:WORD_0
	v_and_or_b32 v1, 0x8000, v2, v1
	v_lshl_or_b32 v0, v1, 16, v0
	buffer_store_dword v0, off, s[0:3], s32 offset:372 ; 4-byte Folded Spill
.LBB314_321:                            ;   in Loop: Header=BB314_16 Depth=1
	s_or_b32 exec_lo, exec_lo, s27
.LBB314_322:                            ;   in Loop: Header=BB314_16 Depth=1
	s_or_b32 exec_lo, exec_lo, s26
.LBB314_323:                            ;   in Loop: Header=BB314_16 Depth=1
	s_or_b32 exec_lo, exec_lo, s25
	v_lshrrev_b32_e32 v7, 16, v34
	v_cmp_ne_u16_sdwa s5, v7, v8 src0_sel:BYTE_0 src1_sel:DWORD
	s_and_saveexec_b32 s25, s5
	s_cbranch_execz .LBB314_331
; %bb.324:                              ;   in Loop: Header=BB314_16 Depth=1
	v_cmp_ne_u16_sdwa s5, v7, v70 src0_sel:BYTE_0 src1_sel:DWORD
	v_mov_b32_e32 v0, 0x8000
	buffer_store_dword v0, off, s[0:3], s32 offset:368 ; 4-byte Folded Spill
	s_and_saveexec_b32 s26, s5
	s_cbranch_execz .LBB314_330
; %bb.325:                              ;   in Loop: Header=BB314_16 Depth=1
	v_bfe_u32 v2, v34, 16, 7
	v_mov_b32_e32 v0, 0x7c01
	s_mov_b32 s27, exec_lo
	buffer_store_dword v0, off, s[0:3], s32 offset:368 ; 4-byte Folded Spill
	v_cmpx_ne_u32_e32 0x7f, v2
	s_cbranch_execz .LBB314_329
; %bb.326:                              ;   in Loop: Header=BB314_16 Depth=1
	v_and_b32_e32 v0, 7, v7
	v_lshrrev_b32_e32 v1, 3, v2
	s_mov_b32 s28, exec_lo
	v_cmpx_gt_u32_e32 8, v2
; %bb.327:                              ;   in Loop: Header=BB314_16 Depth=1
	v_ffbh_u32_e32 v0, v0
	v_min_u32_e32 v2, 32, v0
	v_subrev_nc_u32_e32 v0, 28, v2
	v_lshlrev_b64 v[0:1], v0, v[7:8]
	v_sub_nc_u32_e32 v1, 29, v2
	v_and_b32_e32 v0, 7, v0
; %bb.328:                              ;   in Loop: Header=BB314_16 Depth=1
	s_or_b32 exec_lo, exec_lo, s28
	v_lshlrev_b32_e32 v2, 8, v7
	v_lshl_add_u32 v1, v1, 10, 0x2000
	v_lshlrev_b32_e32 v0, 7, v0
	v_and_b32_e32 v2, 0x8000, v2
	v_and_b32_e32 v1, 0xfc00, v1
	v_or3_b32 v0, v2, v1, v0
	buffer_store_dword v0, off, s[0:3], s32 offset:368 ; 4-byte Folded Spill
.LBB314_329:                            ;   in Loop: Header=BB314_16 Depth=1
	s_or_b32 exec_lo, exec_lo, s27
.LBB314_330:                            ;   in Loop: Header=BB314_16 Depth=1
	s_or_b32 exec_lo, exec_lo, s26
.LBB314_331:                            ;   in Loop: Header=BB314_16 Depth=1
	s_or_b32 exec_lo, exec_lo, s25
	v_mov_b32_e32 v0, 0
	s_mov_b32 s25, exec_lo
	buffer_store_dword v0, off, s[0:3], s32 offset:376 ; 4-byte Folded Spill
	v_mov_b32_e32 v0, 0
	buffer_store_dword v0, off, s[0:3], s32 offset:772 ; 4-byte Folded Spill
	v_cmpx_lt_u64_e64 s[20:21], v[33:34]
	s_cbranch_execz .LBB314_339
; %bb.332:                              ;   in Loop: Header=BB314_16 Depth=1
	v_lshrrev_b32_e32 v7, 24, v34
	v_bfrev_b32_e32 v0, 1
	s_mov_b32 s26, exec_lo
	v_cmpx_ne_u32_e32 0x80, v7
	s_cbranch_execz .LBB314_338
; %bb.333:                              ;   in Loop: Header=BB314_16 Depth=1
	v_and_b32_e32 v2, 0x7f, v7
	v_mov_b32_e32 v0, 0x7c010000
	s_mov_b32 s27, exec_lo
	v_cmpx_ne_u32_e32 0x7f, v2
	s_cbranch_execz .LBB314_337
; %bb.334:                              ;   in Loop: Header=BB314_16 Depth=1
	v_and_b32_e32 v0, 7, v7
	v_lshrrev_b32_e32 v1, 3, v2
	s_mov_b32 s28, exec_lo
	v_cmpx_gt_u32_e32 8, v2
; %bb.335:                              ;   in Loop: Header=BB314_16 Depth=1
	v_ffbh_u32_e32 v0, v0
	v_min_u32_e32 v2, 32, v0
	v_subrev_nc_u32_e32 v0, 28, v2
	v_lshlrev_b64 v[0:1], v0, v[7:8]
	v_sub_nc_u32_e32 v1, 29, v2
	v_and_b32_e32 v0, 7, v0
; %bb.336:                              ;   in Loop: Header=BB314_16 Depth=1
	s_or_b32 exec_lo, exec_lo, s28
	v_lshlrev_b32_e32 v2, 8, v7
	v_lshl_add_u32 v1, v1, 10, 0x2000
	v_lshlrev_b32_e32 v0, 23, v0
	v_and_or_b32 v1, 0x8000, v2, v1
	v_lshl_or_b32 v0, v1, 16, v0
.LBB314_337:                            ;   in Loop: Header=BB314_16 Depth=1
	s_or_b32 exec_lo, exec_lo, s27
.LBB314_338:                            ;   in Loop: Header=BB314_16 Depth=1
	s_or_b32 exec_lo, exec_lo, s26
	buffer_store_dword v0, off, s[0:3], s32 offset:772 ; 4-byte Folded Spill
.LBB314_339:                            ;   in Loop: Header=BB314_16 Depth=1
	s_or_b32 exec_lo, exec_lo, s25
	flat_load_dwordx2 v[33:34], v[31:32] offset:1032
	s_waitcnt vmcnt(0) lgkmcnt(0)
	v_cmp_ne_u16_sdwa s5, v33, v8 src0_sel:BYTE_0 src1_sel:DWORD
	s_and_saveexec_b32 s25, s5
	s_cbranch_execz .LBB314_347
; %bb.340:                              ;   in Loop: Header=BB314_16 Depth=1
	v_cmp_ne_u16_sdwa s5, v33, v70 src0_sel:BYTE_0 src1_sel:DWORD
	v_mov_b32_e32 v0, 0x8000
	buffer_store_dword v0, off, s[0:3], s32 offset:376 ; 4-byte Folded Spill
	s_and_saveexec_b32 s26, s5
	s_cbranch_execz .LBB314_346
; %bb.341:                              ;   in Loop: Header=BB314_16 Depth=1
	v_and_b32_e32 v2, 0x7f, v33
	v_mov_b32_e32 v0, 0x7c01
	s_mov_b32 s27, exec_lo
	buffer_store_dword v0, off, s[0:3], s32 offset:376 ; 4-byte Folded Spill
	v_cmpx_ne_u32_e32 0x7f, v2
	s_cbranch_execz .LBB314_345
; %bb.342:                              ;   in Loop: Header=BB314_16 Depth=1
	v_and_b32_e32 v0, 7, v33
	v_lshrrev_b32_e32 v1, 3, v2
	s_mov_b32 s28, exec_lo
	v_cmpx_gt_u32_e32 8, v2
; %bb.343:                              ;   in Loop: Header=BB314_16 Depth=1
	v_ffbh_u32_e32 v0, v0
	v_min_u32_e32 v2, 32, v0
	v_subrev_nc_u32_e32 v0, 28, v2
	v_lshlrev_b64 v[0:1], v0, v[33:34]
	v_sub_nc_u32_e32 v1, 29, v2
	v_and_b32_e32 v0, 7, v0
; %bb.344:                              ;   in Loop: Header=BB314_16 Depth=1
	s_or_b32 exec_lo, exec_lo, s28
	v_lshlrev_b32_e32 v2, 8, v33
	v_lshl_add_u32 v1, v1, 10, 0x2000
	v_lshlrev_b32_e32 v0, 7, v0
	v_and_b32_e32 v2, 0x8000, v2
	v_and_b32_e32 v1, 0xfc00, v1
	v_or3_b32 v0, v2, v1, v0
	buffer_store_dword v0, off, s[0:3], s32 offset:376 ; 4-byte Folded Spill
.LBB314_345:                            ;   in Loop: Header=BB314_16 Depth=1
	s_or_b32 exec_lo, exec_lo, s27
.LBB314_346:                            ;   in Loop: Header=BB314_16 Depth=1
	s_or_b32 exec_lo, exec_lo, s26
.LBB314_347:                            ;   in Loop: Header=BB314_16 Depth=1
	s_or_b32 exec_lo, exec_lo, s25
	v_mov_b32_e32 v0, 0
	v_lshrrev_b16 v7, 8, v33
	s_mov_b32 s25, exec_lo
	buffer_store_dword v0, off, s[0:3], s32 offset:384 ; 4-byte Folded Spill
	v_mov_b32_e32 v0, 0
	buffer_store_dword v0, off, s[0:3], s32 offset:380 ; 4-byte Folded Spill
	v_cmpx_ne_u16_e32 0, v7
	s_cbranch_execz .LBB314_355
; %bb.348:                              ;   in Loop: Header=BB314_16 Depth=1
	v_bfrev_b32_e32 v0, 1
	s_mov_b32 s26, exec_lo
	buffer_store_dword v0, off, s[0:3], s32 offset:380 ; 4-byte Folded Spill
	v_cmpx_ne_u16_e32 0x80, v7
	s_cbranch_execz .LBB314_354
; %bb.349:                              ;   in Loop: Header=BB314_16 Depth=1
	v_mov_b32_e32 v0, 0x7f
	s_mov_b32 s27, exec_lo
	v_and_b32_sdwa v2, v7, v0 dst_sel:DWORD dst_unused:UNUSED_PAD src0_sel:WORD_0 src1_sel:DWORD
	v_mov_b32_e32 v0, 0x7c010000
	buffer_store_dword v0, off, s[0:3], s32 offset:380 ; 4-byte Folded Spill
	v_cmpx_ne_u32_e32 0x7f, v2
	s_cbranch_execz .LBB314_353
; %bb.350:                              ;   in Loop: Header=BB314_16 Depth=1
	v_mov_b32_e32 v0, 7
	v_lshrrev_b32_e32 v1, 3, v2
	s_mov_b32 s28, exec_lo
	v_and_b32_sdwa v0, v7, v0 dst_sel:DWORD dst_unused:UNUSED_PAD src0_sel:WORD_0 src1_sel:DWORD
	v_cmpx_gt_u32_e32 8, v2
; %bb.351:                              ;   in Loop: Header=BB314_16 Depth=1
	v_ffbh_u32_e32 v0, v0
	v_min_u32_e32 v2, 32, v0
	v_subrev_nc_u32_e32 v0, 28, v2
	v_lshlrev_b64 v[0:1], v0, v[7:8]
	v_sub_nc_u32_e32 v1, 29, v2
	v_and_b32_e32 v0, 7, v0
; %bb.352:                              ;   in Loop: Header=BB314_16 Depth=1
	s_or_b32 exec_lo, exec_lo, s28
	v_mov_b32_e32 v2, 8
	v_lshl_add_u32 v1, v1, 10, 0x2000
	v_lshlrev_b32_e32 v0, 23, v0
	v_lshlrev_b32_sdwa v2, v2, v7 dst_sel:DWORD dst_unused:UNUSED_PAD src0_sel:DWORD src1_sel:WORD_0
	v_and_or_b32 v1, 0x8000, v2, v1
	v_lshl_or_b32 v0, v1, 16, v0
	buffer_store_dword v0, off, s[0:3], s32 offset:380 ; 4-byte Folded Spill
.LBB314_353:                            ;   in Loop: Header=BB314_16 Depth=1
	s_or_b32 exec_lo, exec_lo, s27
.LBB314_354:                            ;   in Loop: Header=BB314_16 Depth=1
	s_or_b32 exec_lo, exec_lo, s26
.LBB314_355:                            ;   in Loop: Header=BB314_16 Depth=1
	s_or_b32 exec_lo, exec_lo, s25
	v_lshrrev_b32_e32 v7, 16, v33
	v_cmp_ne_u16_sdwa s5, v7, v8 src0_sel:BYTE_0 src1_sel:DWORD
	s_and_saveexec_b32 s25, s5
	s_cbranch_execz .LBB314_363
; %bb.356:                              ;   in Loop: Header=BB314_16 Depth=1
	v_cmp_ne_u16_sdwa s5, v7, v70 src0_sel:BYTE_0 src1_sel:DWORD
	v_mov_b32_e32 v0, 0x8000
	buffer_store_dword v0, off, s[0:3], s32 offset:384 ; 4-byte Folded Spill
	s_and_saveexec_b32 s26, s5
	s_cbranch_execz .LBB314_362
; %bb.357:                              ;   in Loop: Header=BB314_16 Depth=1
	v_bfe_u32 v2, v33, 16, 7
	v_mov_b32_e32 v0, 0x7c01
	s_mov_b32 s27, exec_lo
	buffer_store_dword v0, off, s[0:3], s32 offset:384 ; 4-byte Folded Spill
	v_cmpx_ne_u32_e32 0x7f, v2
	s_cbranch_execz .LBB314_361
; %bb.358:                              ;   in Loop: Header=BB314_16 Depth=1
	v_and_b32_e32 v0, 7, v7
	v_lshrrev_b32_e32 v1, 3, v2
	s_mov_b32 s28, exec_lo
	v_cmpx_gt_u32_e32 8, v2
; %bb.359:                              ;   in Loop: Header=BB314_16 Depth=1
	v_ffbh_u32_e32 v0, v0
	v_min_u32_e32 v2, 32, v0
	v_subrev_nc_u32_e32 v0, 28, v2
	v_lshlrev_b64 v[0:1], v0, v[7:8]
	v_sub_nc_u32_e32 v1, 29, v2
	v_and_b32_e32 v0, 7, v0
; %bb.360:                              ;   in Loop: Header=BB314_16 Depth=1
	s_or_b32 exec_lo, exec_lo, s28
	v_lshlrev_b32_e32 v2, 8, v7
	v_lshl_add_u32 v1, v1, 10, 0x2000
	v_lshlrev_b32_e32 v0, 7, v0
	v_and_b32_e32 v2, 0x8000, v2
	v_and_b32_e32 v1, 0xfc00, v1
	v_or3_b32 v0, v2, v1, v0
	buffer_store_dword v0, off, s[0:3], s32 offset:384 ; 4-byte Folded Spill
.LBB314_361:                            ;   in Loop: Header=BB314_16 Depth=1
	s_or_b32 exec_lo, exec_lo, s27
.LBB314_362:                            ;   in Loop: Header=BB314_16 Depth=1
	s_or_b32 exec_lo, exec_lo, s26
.LBB314_363:                            ;   in Loop: Header=BB314_16 Depth=1
	s_or_b32 exec_lo, exec_lo, s25
	v_mov_b32_e32 v0, 0
	s_mov_b32 s25, exec_lo
	buffer_store_dword v0, off, s[0:3], s32 offset:388 ; 4-byte Folded Spill
	v_mov_b32_e32 v0, 0
	buffer_store_dword v0, off, s[0:3], s32 offset:392 ; 4-byte Folded Spill
	v_cmpx_lt_u32_e32 0xffffff, v33
	s_cbranch_execz .LBB314_371
; %bb.364:                              ;   in Loop: Header=BB314_16 Depth=1
	v_lshrrev_b32_e32 v7, 24, v33
	v_bfrev_b32_e32 v0, 1
	s_mov_b32 s26, exec_lo
	buffer_store_dword v0, off, s[0:3], s32 offset:392 ; 4-byte Folded Spill
	v_cmpx_ne_u32_e32 0x80, v7
	s_cbranch_execz .LBB314_370
; %bb.365:                              ;   in Loop: Header=BB314_16 Depth=1
	v_and_b32_e32 v2, 0x7f, v7
	v_mov_b32_e32 v0, 0x7c010000
	s_mov_b32 s27, exec_lo
	buffer_store_dword v0, off, s[0:3], s32 offset:392 ; 4-byte Folded Spill
	v_cmpx_ne_u32_e32 0x7f, v2
	s_cbranch_execz .LBB314_369
; %bb.366:                              ;   in Loop: Header=BB314_16 Depth=1
	v_and_b32_e32 v0, 7, v7
	v_lshrrev_b32_e32 v1, 3, v2
	s_mov_b32 s28, exec_lo
	v_cmpx_gt_u32_e32 8, v2
; %bb.367:                              ;   in Loop: Header=BB314_16 Depth=1
	v_ffbh_u32_e32 v0, v0
	v_min_u32_e32 v2, 32, v0
	v_subrev_nc_u32_e32 v0, 28, v2
	v_lshlrev_b64 v[0:1], v0, v[7:8]
	v_sub_nc_u32_e32 v1, 29, v2
	v_and_b32_e32 v0, 7, v0
; %bb.368:                              ;   in Loop: Header=BB314_16 Depth=1
	s_or_b32 exec_lo, exec_lo, s28
	v_lshlrev_b32_e32 v2, 8, v7
	v_lshl_add_u32 v1, v1, 10, 0x2000
	v_lshlrev_b32_e32 v0, 23, v0
	v_and_or_b32 v1, 0x8000, v2, v1
	v_lshl_or_b32 v0, v1, 16, v0
	buffer_store_dword v0, off, s[0:3], s32 offset:392 ; 4-byte Folded Spill
.LBB314_369:                            ;   in Loop: Header=BB314_16 Depth=1
	s_or_b32 exec_lo, exec_lo, s27
.LBB314_370:                            ;   in Loop: Header=BB314_16 Depth=1
	s_or_b32 exec_lo, exec_lo, s26
.LBB314_371:                            ;   in Loop: Header=BB314_16 Depth=1
	s_or_b32 exec_lo, exec_lo, s25
	v_mov_b32_e32 v7, v34
	v_cmp_ne_u16_sdwa s5, v34, v8 src0_sel:BYTE_0 src1_sel:DWORD
	s_and_saveexec_b32 s25, s5
	s_cbranch_execz .LBB314_379
; %bb.372:                              ;   in Loop: Header=BB314_16 Depth=1
	v_cmp_ne_u16_sdwa s5, v34, v70 src0_sel:BYTE_0 src1_sel:DWORD
	v_mov_b32_e32 v0, 0x8000
	buffer_store_dword v0, off, s[0:3], s32 offset:388 ; 4-byte Folded Spill
	s_and_saveexec_b32 s26, s5
	s_cbranch_execz .LBB314_378
; %bb.373:                              ;   in Loop: Header=BB314_16 Depth=1
	v_and_b32_e32 v2, 0x7f, v34
	v_mov_b32_e32 v0, 0x7c01
	s_mov_b32 s27, exec_lo
	buffer_store_dword v0, off, s[0:3], s32 offset:388 ; 4-byte Folded Spill
	v_cmpx_ne_u32_e32 0x7f, v2
	s_cbranch_execz .LBB314_377
; %bb.374:                              ;   in Loop: Header=BB314_16 Depth=1
	v_and_b32_e32 v0, 7, v34
	v_lshrrev_b32_e32 v1, 3, v2
	s_mov_b32 s28, exec_lo
	v_cmpx_gt_u32_e32 8, v2
; %bb.375:                              ;   in Loop: Header=BB314_16 Depth=1
	v_ffbh_u32_e32 v0, v0
	v_min_u32_e32 v2, 32, v0
	v_subrev_nc_u32_e32 v0, 28, v2
	v_lshlrev_b64 v[0:1], v0, v[7:8]
	v_sub_nc_u32_e32 v1, 29, v2
	v_and_b32_e32 v0, 7, v0
; %bb.376:                              ;   in Loop: Header=BB314_16 Depth=1
	s_or_b32 exec_lo, exec_lo, s28
	v_lshlrev_b32_e32 v2, 8, v34
	v_lshl_add_u32 v1, v1, 10, 0x2000
	v_lshlrev_b32_e32 v0, 7, v0
	v_and_b32_e32 v2, 0x8000, v2
	v_and_b32_e32 v1, 0xfc00, v1
	v_or3_b32 v0, v2, v1, v0
	buffer_store_dword v0, off, s[0:3], s32 offset:388 ; 4-byte Folded Spill
.LBB314_377:                            ;   in Loop: Header=BB314_16 Depth=1
	s_or_b32 exec_lo, exec_lo, s27
.LBB314_378:                            ;   in Loop: Header=BB314_16 Depth=1
	s_or_b32 exec_lo, exec_lo, s26
.LBB314_379:                            ;   in Loop: Header=BB314_16 Depth=1
	s_or_b32 exec_lo, exec_lo, s25
	v_mov_b32_e32 v0, 0
	v_lshrrev_b16 v7, 8, v7
	s_mov_b32 s25, exec_lo
	buffer_store_dword v0, off, s[0:3], s32 offset:396 ; 4-byte Folded Spill
	v_mov_b32_e32 v0, 0
	buffer_store_dword v0, off, s[0:3], s32 offset:400 ; 4-byte Folded Spill
	v_cmpx_ne_u16_e32 0, v7
	s_cbranch_execz .LBB314_387
; %bb.380:                              ;   in Loop: Header=BB314_16 Depth=1
	v_bfrev_b32_e32 v0, 1
	s_mov_b32 s26, exec_lo
	buffer_store_dword v0, off, s[0:3], s32 offset:400 ; 4-byte Folded Spill
	v_cmpx_ne_u16_e32 0x80, v7
	s_cbranch_execz .LBB314_386
; %bb.381:                              ;   in Loop: Header=BB314_16 Depth=1
	v_mov_b32_e32 v0, 0x7f
	s_mov_b32 s27, exec_lo
	v_and_b32_sdwa v2, v7, v0 dst_sel:DWORD dst_unused:UNUSED_PAD src0_sel:WORD_0 src1_sel:DWORD
	v_mov_b32_e32 v0, 0x7c010000
	buffer_store_dword v0, off, s[0:3], s32 offset:400 ; 4-byte Folded Spill
	v_cmpx_ne_u32_e32 0x7f, v2
	s_cbranch_execz .LBB314_385
; %bb.382:                              ;   in Loop: Header=BB314_16 Depth=1
	v_mov_b32_e32 v0, 7
	v_lshrrev_b32_e32 v1, 3, v2
	s_mov_b32 s28, exec_lo
	v_and_b32_sdwa v0, v7, v0 dst_sel:DWORD dst_unused:UNUSED_PAD src0_sel:WORD_0 src1_sel:DWORD
	v_cmpx_gt_u32_e32 8, v2
; %bb.383:                              ;   in Loop: Header=BB314_16 Depth=1
	v_ffbh_u32_e32 v0, v0
	v_min_u32_e32 v2, 32, v0
	v_subrev_nc_u32_e32 v0, 28, v2
	v_lshlrev_b64 v[0:1], v0, v[7:8]
	v_sub_nc_u32_e32 v1, 29, v2
	v_and_b32_e32 v0, 7, v0
; %bb.384:                              ;   in Loop: Header=BB314_16 Depth=1
	s_or_b32 exec_lo, exec_lo, s28
	v_mov_b32_e32 v2, 8
	v_lshl_add_u32 v1, v1, 10, 0x2000
	v_lshlrev_b32_e32 v0, 23, v0
	v_lshlrev_b32_sdwa v2, v2, v7 dst_sel:DWORD dst_unused:UNUSED_PAD src0_sel:DWORD src1_sel:WORD_0
	v_and_or_b32 v1, 0x8000, v2, v1
	v_lshl_or_b32 v0, v1, 16, v0
	buffer_store_dword v0, off, s[0:3], s32 offset:400 ; 4-byte Folded Spill
.LBB314_385:                            ;   in Loop: Header=BB314_16 Depth=1
	s_or_b32 exec_lo, exec_lo, s27
.LBB314_386:                            ;   in Loop: Header=BB314_16 Depth=1
	s_or_b32 exec_lo, exec_lo, s26
.LBB314_387:                            ;   in Loop: Header=BB314_16 Depth=1
	s_or_b32 exec_lo, exec_lo, s25
	v_lshrrev_b32_e32 v7, 16, v34
	v_cmp_ne_u16_sdwa s5, v7, v8 src0_sel:BYTE_0 src1_sel:DWORD
	s_and_saveexec_b32 s25, s5
	s_cbranch_execz .LBB314_395
; %bb.388:                              ;   in Loop: Header=BB314_16 Depth=1
	v_cmp_ne_u16_sdwa s5, v7, v70 src0_sel:BYTE_0 src1_sel:DWORD
	v_mov_b32_e32 v0, 0x8000
	buffer_store_dword v0, off, s[0:3], s32 offset:396 ; 4-byte Folded Spill
	s_and_saveexec_b32 s26, s5
	s_cbranch_execz .LBB314_394
; %bb.389:                              ;   in Loop: Header=BB314_16 Depth=1
	v_bfe_u32 v2, v34, 16, 7
	v_mov_b32_e32 v0, 0x7c01
	s_mov_b32 s27, exec_lo
	buffer_store_dword v0, off, s[0:3], s32 offset:396 ; 4-byte Folded Spill
	v_cmpx_ne_u32_e32 0x7f, v2
	s_cbranch_execz .LBB314_393
; %bb.390:                              ;   in Loop: Header=BB314_16 Depth=1
	v_and_b32_e32 v0, 7, v7
	v_lshrrev_b32_e32 v1, 3, v2
	s_mov_b32 s28, exec_lo
	v_cmpx_gt_u32_e32 8, v2
; %bb.391:                              ;   in Loop: Header=BB314_16 Depth=1
	v_ffbh_u32_e32 v0, v0
	v_min_u32_e32 v2, 32, v0
	v_subrev_nc_u32_e32 v0, 28, v2
	v_lshlrev_b64 v[0:1], v0, v[7:8]
	v_sub_nc_u32_e32 v1, 29, v2
	v_and_b32_e32 v0, 7, v0
; %bb.392:                              ;   in Loop: Header=BB314_16 Depth=1
	s_or_b32 exec_lo, exec_lo, s28
	v_lshlrev_b32_e32 v2, 8, v7
	v_lshl_add_u32 v1, v1, 10, 0x2000
	v_lshlrev_b32_e32 v0, 7, v0
	v_and_b32_e32 v2, 0x8000, v2
	v_and_b32_e32 v1, 0xfc00, v1
	v_or3_b32 v0, v2, v1, v0
	buffer_store_dword v0, off, s[0:3], s32 offset:396 ; 4-byte Folded Spill
.LBB314_393:                            ;   in Loop: Header=BB314_16 Depth=1
	s_or_b32 exec_lo, exec_lo, s27
.LBB314_394:                            ;   in Loop: Header=BB314_16 Depth=1
	s_or_b32 exec_lo, exec_lo, s26
.LBB314_395:                            ;   in Loop: Header=BB314_16 Depth=1
	s_or_b32 exec_lo, exec_lo, s25
	v_mov_b32_e32 v0, 0
	s_mov_b32 s25, exec_lo
	buffer_store_dword v0, off, s[0:3], s32 offset:404 ; 4-byte Folded Spill
	v_mov_b32_e32 v0, 0
	buffer_store_dword v0, off, s[0:3], s32 offset:776 ; 4-byte Folded Spill
	v_cmpx_lt_u64_e64 s[20:21], v[33:34]
	s_cbranch_execz .LBB314_403
; %bb.396:                              ;   in Loop: Header=BB314_16 Depth=1
	v_lshrrev_b32_e32 v7, 24, v34
	v_bfrev_b32_e32 v0, 1
	s_mov_b32 s26, exec_lo
	v_cmpx_ne_u32_e32 0x80, v7
	s_cbranch_execz .LBB314_402
; %bb.397:                              ;   in Loop: Header=BB314_16 Depth=1
	v_and_b32_e32 v2, 0x7f, v7
	v_mov_b32_e32 v0, 0x7c010000
	s_mov_b32 s27, exec_lo
	v_cmpx_ne_u32_e32 0x7f, v2
	s_cbranch_execz .LBB314_401
; %bb.398:                              ;   in Loop: Header=BB314_16 Depth=1
	v_and_b32_e32 v0, 7, v7
	v_lshrrev_b32_e32 v1, 3, v2
	s_mov_b32 s28, exec_lo
	v_cmpx_gt_u32_e32 8, v2
; %bb.399:                              ;   in Loop: Header=BB314_16 Depth=1
	v_ffbh_u32_e32 v0, v0
	v_min_u32_e32 v2, 32, v0
	v_subrev_nc_u32_e32 v0, 28, v2
	v_lshlrev_b64 v[0:1], v0, v[7:8]
	v_sub_nc_u32_e32 v1, 29, v2
	v_and_b32_e32 v0, 7, v0
; %bb.400:                              ;   in Loop: Header=BB314_16 Depth=1
	s_or_b32 exec_lo, exec_lo, s28
	v_lshlrev_b32_e32 v2, 8, v7
	v_lshl_add_u32 v1, v1, 10, 0x2000
	v_lshlrev_b32_e32 v0, 23, v0
	v_and_or_b32 v1, 0x8000, v2, v1
	v_lshl_or_b32 v0, v1, 16, v0
.LBB314_401:                            ;   in Loop: Header=BB314_16 Depth=1
	s_or_b32 exec_lo, exec_lo, s27
.LBB314_402:                            ;   in Loop: Header=BB314_16 Depth=1
	s_or_b32 exec_lo, exec_lo, s26
	buffer_store_dword v0, off, s[0:3], s32 offset:776 ; 4-byte Folded Spill
.LBB314_403:                            ;   in Loop: Header=BB314_16 Depth=1
	s_or_b32 exec_lo, exec_lo, s25
	flat_load_dwordx2 v[33:34], v[31:32] offset:1536
	s_waitcnt vmcnt(0) lgkmcnt(0)
	v_cmp_ne_u16_sdwa s5, v33, v8 src0_sel:BYTE_0 src1_sel:DWORD
	s_and_saveexec_b32 s25, s5
	s_cbranch_execz .LBB314_411
; %bb.404:                              ;   in Loop: Header=BB314_16 Depth=1
	v_cmp_ne_u16_sdwa s5, v33, v70 src0_sel:BYTE_0 src1_sel:DWORD
	v_mov_b32_e32 v0, 0x8000
	buffer_store_dword v0, off, s[0:3], s32 offset:404 ; 4-byte Folded Spill
	s_and_saveexec_b32 s26, s5
	s_cbranch_execz .LBB314_410
; %bb.405:                              ;   in Loop: Header=BB314_16 Depth=1
	v_and_b32_e32 v2, 0x7f, v33
	v_mov_b32_e32 v0, 0x7c01
	s_mov_b32 s27, exec_lo
	buffer_store_dword v0, off, s[0:3], s32 offset:404 ; 4-byte Folded Spill
	v_cmpx_ne_u32_e32 0x7f, v2
	s_cbranch_execz .LBB314_409
; %bb.406:                              ;   in Loop: Header=BB314_16 Depth=1
	v_and_b32_e32 v0, 7, v33
	v_lshrrev_b32_e32 v1, 3, v2
	s_mov_b32 s28, exec_lo
	v_cmpx_gt_u32_e32 8, v2
; %bb.407:                              ;   in Loop: Header=BB314_16 Depth=1
	v_ffbh_u32_e32 v0, v0
	v_min_u32_e32 v2, 32, v0
	v_subrev_nc_u32_e32 v0, 28, v2
	v_lshlrev_b64 v[0:1], v0, v[33:34]
	v_sub_nc_u32_e32 v1, 29, v2
	v_and_b32_e32 v0, 7, v0
; %bb.408:                              ;   in Loop: Header=BB314_16 Depth=1
	s_or_b32 exec_lo, exec_lo, s28
	v_lshlrev_b32_e32 v2, 8, v33
	v_lshl_add_u32 v1, v1, 10, 0x2000
	v_lshlrev_b32_e32 v0, 7, v0
	v_and_b32_e32 v2, 0x8000, v2
	v_and_b32_e32 v1, 0xfc00, v1
	v_or3_b32 v0, v2, v1, v0
	buffer_store_dword v0, off, s[0:3], s32 offset:404 ; 4-byte Folded Spill
.LBB314_409:                            ;   in Loop: Header=BB314_16 Depth=1
	s_or_b32 exec_lo, exec_lo, s27
.LBB314_410:                            ;   in Loop: Header=BB314_16 Depth=1
	s_or_b32 exec_lo, exec_lo, s26
.LBB314_411:                            ;   in Loop: Header=BB314_16 Depth=1
	s_or_b32 exec_lo, exec_lo, s25
	v_mov_b32_e32 v0, 0
	v_lshrrev_b16 v7, 8, v33
	s_mov_b32 s25, exec_lo
	buffer_store_dword v0, off, s[0:3], s32 offset:412 ; 4-byte Folded Spill
	v_mov_b32_e32 v0, 0
	buffer_store_dword v0, off, s[0:3], s32 offset:408 ; 4-byte Folded Spill
	v_cmpx_ne_u16_e32 0, v7
	s_cbranch_execz .LBB314_419
; %bb.412:                              ;   in Loop: Header=BB314_16 Depth=1
	v_bfrev_b32_e32 v0, 1
	s_mov_b32 s26, exec_lo
	buffer_store_dword v0, off, s[0:3], s32 offset:408 ; 4-byte Folded Spill
	v_cmpx_ne_u16_e32 0x80, v7
	s_cbranch_execz .LBB314_418
; %bb.413:                              ;   in Loop: Header=BB314_16 Depth=1
	v_mov_b32_e32 v0, 0x7f
	s_mov_b32 s27, exec_lo
	v_and_b32_sdwa v2, v7, v0 dst_sel:DWORD dst_unused:UNUSED_PAD src0_sel:WORD_0 src1_sel:DWORD
	v_mov_b32_e32 v0, 0x7c010000
	buffer_store_dword v0, off, s[0:3], s32 offset:408 ; 4-byte Folded Spill
	v_cmpx_ne_u32_e32 0x7f, v2
	s_cbranch_execz .LBB314_417
; %bb.414:                              ;   in Loop: Header=BB314_16 Depth=1
	v_mov_b32_e32 v0, 7
	v_lshrrev_b32_e32 v1, 3, v2
	s_mov_b32 s28, exec_lo
	v_and_b32_sdwa v0, v7, v0 dst_sel:DWORD dst_unused:UNUSED_PAD src0_sel:WORD_0 src1_sel:DWORD
	v_cmpx_gt_u32_e32 8, v2
; %bb.415:                              ;   in Loop: Header=BB314_16 Depth=1
	v_ffbh_u32_e32 v0, v0
	v_min_u32_e32 v2, 32, v0
	v_subrev_nc_u32_e32 v0, 28, v2
	v_lshlrev_b64 v[0:1], v0, v[7:8]
	v_sub_nc_u32_e32 v1, 29, v2
	v_and_b32_e32 v0, 7, v0
; %bb.416:                              ;   in Loop: Header=BB314_16 Depth=1
	s_or_b32 exec_lo, exec_lo, s28
	v_mov_b32_e32 v2, 8
	v_lshl_add_u32 v1, v1, 10, 0x2000
	v_lshlrev_b32_e32 v0, 23, v0
	v_lshlrev_b32_sdwa v2, v2, v7 dst_sel:DWORD dst_unused:UNUSED_PAD src0_sel:DWORD src1_sel:WORD_0
	v_and_or_b32 v1, 0x8000, v2, v1
	v_lshl_or_b32 v0, v1, 16, v0
	buffer_store_dword v0, off, s[0:3], s32 offset:408 ; 4-byte Folded Spill
.LBB314_417:                            ;   in Loop: Header=BB314_16 Depth=1
	s_or_b32 exec_lo, exec_lo, s27
.LBB314_418:                            ;   in Loop: Header=BB314_16 Depth=1
	s_or_b32 exec_lo, exec_lo, s26
.LBB314_419:                            ;   in Loop: Header=BB314_16 Depth=1
	s_or_b32 exec_lo, exec_lo, s25
	v_lshrrev_b32_e32 v7, 16, v33
	v_cmp_ne_u16_sdwa s5, v7, v8 src0_sel:BYTE_0 src1_sel:DWORD
	s_and_saveexec_b32 s25, s5
	s_cbranch_execz .LBB314_427
; %bb.420:                              ;   in Loop: Header=BB314_16 Depth=1
	v_cmp_ne_u16_sdwa s5, v7, v70 src0_sel:BYTE_0 src1_sel:DWORD
	v_mov_b32_e32 v0, 0x8000
	buffer_store_dword v0, off, s[0:3], s32 offset:412 ; 4-byte Folded Spill
	s_and_saveexec_b32 s26, s5
	s_cbranch_execz .LBB314_426
; %bb.421:                              ;   in Loop: Header=BB314_16 Depth=1
	v_bfe_u32 v2, v33, 16, 7
	v_mov_b32_e32 v0, 0x7c01
	s_mov_b32 s27, exec_lo
	buffer_store_dword v0, off, s[0:3], s32 offset:412 ; 4-byte Folded Spill
	v_cmpx_ne_u32_e32 0x7f, v2
	s_cbranch_execz .LBB314_425
; %bb.422:                              ;   in Loop: Header=BB314_16 Depth=1
	v_and_b32_e32 v0, 7, v7
	v_lshrrev_b32_e32 v1, 3, v2
	s_mov_b32 s28, exec_lo
	v_cmpx_gt_u32_e32 8, v2
; %bb.423:                              ;   in Loop: Header=BB314_16 Depth=1
	v_ffbh_u32_e32 v0, v0
	v_min_u32_e32 v2, 32, v0
	v_subrev_nc_u32_e32 v0, 28, v2
	v_lshlrev_b64 v[0:1], v0, v[7:8]
	v_sub_nc_u32_e32 v1, 29, v2
	v_and_b32_e32 v0, 7, v0
; %bb.424:                              ;   in Loop: Header=BB314_16 Depth=1
	s_or_b32 exec_lo, exec_lo, s28
	v_lshlrev_b32_e32 v2, 8, v7
	v_lshl_add_u32 v1, v1, 10, 0x2000
	v_lshlrev_b32_e32 v0, 7, v0
	v_and_b32_e32 v2, 0x8000, v2
	v_and_b32_e32 v1, 0xfc00, v1
	v_or3_b32 v0, v2, v1, v0
	buffer_store_dword v0, off, s[0:3], s32 offset:412 ; 4-byte Folded Spill
.LBB314_425:                            ;   in Loop: Header=BB314_16 Depth=1
	s_or_b32 exec_lo, exec_lo, s27
.LBB314_426:                            ;   in Loop: Header=BB314_16 Depth=1
	s_or_b32 exec_lo, exec_lo, s26
.LBB314_427:                            ;   in Loop: Header=BB314_16 Depth=1
	s_or_b32 exec_lo, exec_lo, s25
	v_mov_b32_e32 v0, 0
	s_mov_b32 s25, exec_lo
	buffer_store_dword v0, off, s[0:3], s32 offset:416 ; 4-byte Folded Spill
	v_mov_b32_e32 v0, 0
	buffer_store_dword v0, off, s[0:3], s32 offset:420 ; 4-byte Folded Spill
	v_cmpx_lt_u32_e32 0xffffff, v33
	s_cbranch_execz .LBB314_435
; %bb.428:                              ;   in Loop: Header=BB314_16 Depth=1
	v_lshrrev_b32_e32 v7, 24, v33
	v_bfrev_b32_e32 v0, 1
	s_mov_b32 s26, exec_lo
	buffer_store_dword v0, off, s[0:3], s32 offset:420 ; 4-byte Folded Spill
	v_cmpx_ne_u32_e32 0x80, v7
	s_cbranch_execz .LBB314_434
; %bb.429:                              ;   in Loop: Header=BB314_16 Depth=1
	v_and_b32_e32 v2, 0x7f, v7
	v_mov_b32_e32 v0, 0x7c010000
	s_mov_b32 s27, exec_lo
	buffer_store_dword v0, off, s[0:3], s32 offset:420 ; 4-byte Folded Spill
	v_cmpx_ne_u32_e32 0x7f, v2
	s_cbranch_execz .LBB314_433
; %bb.430:                              ;   in Loop: Header=BB314_16 Depth=1
	v_and_b32_e32 v0, 7, v7
	v_lshrrev_b32_e32 v1, 3, v2
	s_mov_b32 s28, exec_lo
	v_cmpx_gt_u32_e32 8, v2
; %bb.431:                              ;   in Loop: Header=BB314_16 Depth=1
	v_ffbh_u32_e32 v0, v0
	v_min_u32_e32 v2, 32, v0
	v_subrev_nc_u32_e32 v0, 28, v2
	v_lshlrev_b64 v[0:1], v0, v[7:8]
	v_sub_nc_u32_e32 v1, 29, v2
	v_and_b32_e32 v0, 7, v0
; %bb.432:                              ;   in Loop: Header=BB314_16 Depth=1
	s_or_b32 exec_lo, exec_lo, s28
	v_lshlrev_b32_e32 v2, 8, v7
	v_lshl_add_u32 v1, v1, 10, 0x2000
	v_lshlrev_b32_e32 v0, 23, v0
	v_and_or_b32 v1, 0x8000, v2, v1
	v_lshl_or_b32 v0, v1, 16, v0
	buffer_store_dword v0, off, s[0:3], s32 offset:420 ; 4-byte Folded Spill
.LBB314_433:                            ;   in Loop: Header=BB314_16 Depth=1
	s_or_b32 exec_lo, exec_lo, s27
.LBB314_434:                            ;   in Loop: Header=BB314_16 Depth=1
	s_or_b32 exec_lo, exec_lo, s26
.LBB314_435:                            ;   in Loop: Header=BB314_16 Depth=1
	s_or_b32 exec_lo, exec_lo, s25
	v_mov_b32_e32 v7, v34
	v_cmp_ne_u16_sdwa s5, v34, v8 src0_sel:BYTE_0 src1_sel:DWORD
	s_and_saveexec_b32 s25, s5
	s_cbranch_execz .LBB314_443
; %bb.436:                              ;   in Loop: Header=BB314_16 Depth=1
	v_cmp_ne_u16_sdwa s5, v34, v70 src0_sel:BYTE_0 src1_sel:DWORD
	v_mov_b32_e32 v0, 0x8000
	buffer_store_dword v0, off, s[0:3], s32 offset:416 ; 4-byte Folded Spill
	s_and_saveexec_b32 s26, s5
	s_cbranch_execz .LBB314_442
; %bb.437:                              ;   in Loop: Header=BB314_16 Depth=1
	v_and_b32_e32 v2, 0x7f, v34
	v_mov_b32_e32 v0, 0x7c01
	s_mov_b32 s27, exec_lo
	buffer_store_dword v0, off, s[0:3], s32 offset:416 ; 4-byte Folded Spill
	v_cmpx_ne_u32_e32 0x7f, v2
	s_cbranch_execz .LBB314_441
; %bb.438:                              ;   in Loop: Header=BB314_16 Depth=1
	v_and_b32_e32 v0, 7, v34
	v_lshrrev_b32_e32 v1, 3, v2
	s_mov_b32 s28, exec_lo
	v_cmpx_gt_u32_e32 8, v2
; %bb.439:                              ;   in Loop: Header=BB314_16 Depth=1
	v_ffbh_u32_e32 v0, v0
	v_min_u32_e32 v2, 32, v0
	v_subrev_nc_u32_e32 v0, 28, v2
	v_lshlrev_b64 v[0:1], v0, v[7:8]
	v_sub_nc_u32_e32 v1, 29, v2
	v_and_b32_e32 v0, 7, v0
; %bb.440:                              ;   in Loop: Header=BB314_16 Depth=1
	s_or_b32 exec_lo, exec_lo, s28
	v_lshlrev_b32_e32 v2, 8, v34
	v_lshl_add_u32 v1, v1, 10, 0x2000
	v_lshlrev_b32_e32 v0, 7, v0
	v_and_b32_e32 v2, 0x8000, v2
	v_and_b32_e32 v1, 0xfc00, v1
	v_or3_b32 v0, v2, v1, v0
	buffer_store_dword v0, off, s[0:3], s32 offset:416 ; 4-byte Folded Spill
.LBB314_441:                            ;   in Loop: Header=BB314_16 Depth=1
	s_or_b32 exec_lo, exec_lo, s27
.LBB314_442:                            ;   in Loop: Header=BB314_16 Depth=1
	s_or_b32 exec_lo, exec_lo, s26
.LBB314_443:                            ;   in Loop: Header=BB314_16 Depth=1
	s_or_b32 exec_lo, exec_lo, s25
	v_mov_b32_e32 v0, 0
	v_lshrrev_b16 v7, 8, v7
	s_mov_b32 s25, exec_lo
	buffer_store_dword v0, off, s[0:3], s32 offset:424 ; 4-byte Folded Spill
	v_mov_b32_e32 v0, 0
	buffer_store_dword v0, off, s[0:3], s32 offset:428 ; 4-byte Folded Spill
	v_cmpx_ne_u16_e32 0, v7
	s_cbranch_execz .LBB314_451
; %bb.444:                              ;   in Loop: Header=BB314_16 Depth=1
	v_bfrev_b32_e32 v0, 1
	s_mov_b32 s26, exec_lo
	buffer_store_dword v0, off, s[0:3], s32 offset:428 ; 4-byte Folded Spill
	v_cmpx_ne_u16_e32 0x80, v7
	s_cbranch_execz .LBB314_450
; %bb.445:                              ;   in Loop: Header=BB314_16 Depth=1
	v_mov_b32_e32 v0, 0x7f
	s_mov_b32 s27, exec_lo
	v_and_b32_sdwa v2, v7, v0 dst_sel:DWORD dst_unused:UNUSED_PAD src0_sel:WORD_0 src1_sel:DWORD
	v_mov_b32_e32 v0, 0x7c010000
	buffer_store_dword v0, off, s[0:3], s32 offset:428 ; 4-byte Folded Spill
	v_cmpx_ne_u32_e32 0x7f, v2
	s_cbranch_execz .LBB314_449
; %bb.446:                              ;   in Loop: Header=BB314_16 Depth=1
	v_mov_b32_e32 v0, 7
	v_lshrrev_b32_e32 v1, 3, v2
	s_mov_b32 s28, exec_lo
	v_and_b32_sdwa v0, v7, v0 dst_sel:DWORD dst_unused:UNUSED_PAD src0_sel:WORD_0 src1_sel:DWORD
	v_cmpx_gt_u32_e32 8, v2
; %bb.447:                              ;   in Loop: Header=BB314_16 Depth=1
	v_ffbh_u32_e32 v0, v0
	v_min_u32_e32 v2, 32, v0
	v_subrev_nc_u32_e32 v0, 28, v2
	v_lshlrev_b64 v[0:1], v0, v[7:8]
	v_sub_nc_u32_e32 v1, 29, v2
	v_and_b32_e32 v0, 7, v0
; %bb.448:                              ;   in Loop: Header=BB314_16 Depth=1
	s_or_b32 exec_lo, exec_lo, s28
	v_mov_b32_e32 v2, 8
	v_lshl_add_u32 v1, v1, 10, 0x2000
	v_lshlrev_b32_e32 v0, 23, v0
	v_lshlrev_b32_sdwa v2, v2, v7 dst_sel:DWORD dst_unused:UNUSED_PAD src0_sel:DWORD src1_sel:WORD_0
	v_and_or_b32 v1, 0x8000, v2, v1
	v_lshl_or_b32 v0, v1, 16, v0
	buffer_store_dword v0, off, s[0:3], s32 offset:428 ; 4-byte Folded Spill
.LBB314_449:                            ;   in Loop: Header=BB314_16 Depth=1
	s_or_b32 exec_lo, exec_lo, s27
.LBB314_450:                            ;   in Loop: Header=BB314_16 Depth=1
	s_or_b32 exec_lo, exec_lo, s26
.LBB314_451:                            ;   in Loop: Header=BB314_16 Depth=1
	s_or_b32 exec_lo, exec_lo, s25
	v_lshrrev_b32_e32 v7, 16, v34
	v_cmp_ne_u16_sdwa s5, v7, v8 src0_sel:BYTE_0 src1_sel:DWORD
	s_and_saveexec_b32 s25, s5
	s_cbranch_execz .LBB314_459
; %bb.452:                              ;   in Loop: Header=BB314_16 Depth=1
	v_cmp_ne_u16_sdwa s5, v7, v70 src0_sel:BYTE_0 src1_sel:DWORD
	v_mov_b32_e32 v0, 0x8000
	buffer_store_dword v0, off, s[0:3], s32 offset:424 ; 4-byte Folded Spill
	s_and_saveexec_b32 s26, s5
	s_cbranch_execz .LBB314_458
; %bb.453:                              ;   in Loop: Header=BB314_16 Depth=1
	v_bfe_u32 v2, v34, 16, 7
	v_mov_b32_e32 v0, 0x7c01
	s_mov_b32 s27, exec_lo
	buffer_store_dword v0, off, s[0:3], s32 offset:424 ; 4-byte Folded Spill
	v_cmpx_ne_u32_e32 0x7f, v2
	s_cbranch_execz .LBB314_457
; %bb.454:                              ;   in Loop: Header=BB314_16 Depth=1
	v_and_b32_e32 v0, 7, v7
	v_lshrrev_b32_e32 v1, 3, v2
	s_mov_b32 s28, exec_lo
	v_cmpx_gt_u32_e32 8, v2
; %bb.455:                              ;   in Loop: Header=BB314_16 Depth=1
	v_ffbh_u32_e32 v0, v0
	v_min_u32_e32 v2, 32, v0
	v_subrev_nc_u32_e32 v0, 28, v2
	v_lshlrev_b64 v[0:1], v0, v[7:8]
	v_sub_nc_u32_e32 v1, 29, v2
	v_and_b32_e32 v0, 7, v0
; %bb.456:                              ;   in Loop: Header=BB314_16 Depth=1
	s_or_b32 exec_lo, exec_lo, s28
	v_lshlrev_b32_e32 v2, 8, v7
	v_lshl_add_u32 v1, v1, 10, 0x2000
	v_lshlrev_b32_e32 v0, 7, v0
	v_and_b32_e32 v2, 0x8000, v2
	v_and_b32_e32 v1, 0xfc00, v1
	v_or3_b32 v0, v2, v1, v0
	buffer_store_dword v0, off, s[0:3], s32 offset:424 ; 4-byte Folded Spill
.LBB314_457:                            ;   in Loop: Header=BB314_16 Depth=1
	s_or_b32 exec_lo, exec_lo, s27
.LBB314_458:                            ;   in Loop: Header=BB314_16 Depth=1
	s_or_b32 exec_lo, exec_lo, s26
.LBB314_459:                            ;   in Loop: Header=BB314_16 Depth=1
	s_or_b32 exec_lo, exec_lo, s25
	v_mov_b32_e32 v0, 0
	s_mov_b32 s25, exec_lo
	buffer_store_dword v0, off, s[0:3], s32 offset:432 ; 4-byte Folded Spill
	v_mov_b32_e32 v0, 0
	buffer_store_dword v0, off, s[0:3], s32 offset:780 ; 4-byte Folded Spill
	v_cmpx_lt_u64_e64 s[20:21], v[33:34]
	s_cbranch_execz .LBB314_467
; %bb.460:                              ;   in Loop: Header=BB314_16 Depth=1
	v_lshrrev_b32_e32 v7, 24, v34
	v_bfrev_b32_e32 v0, 1
	s_mov_b32 s26, exec_lo
	v_cmpx_ne_u32_e32 0x80, v7
	s_cbranch_execz .LBB314_466
; %bb.461:                              ;   in Loop: Header=BB314_16 Depth=1
	v_and_b32_e32 v2, 0x7f, v7
	v_mov_b32_e32 v0, 0x7c010000
	s_mov_b32 s27, exec_lo
	v_cmpx_ne_u32_e32 0x7f, v2
	s_cbranch_execz .LBB314_465
; %bb.462:                              ;   in Loop: Header=BB314_16 Depth=1
	v_and_b32_e32 v0, 7, v7
	v_lshrrev_b32_e32 v1, 3, v2
	s_mov_b32 s28, exec_lo
	v_cmpx_gt_u32_e32 8, v2
; %bb.463:                              ;   in Loop: Header=BB314_16 Depth=1
	v_ffbh_u32_e32 v0, v0
	v_min_u32_e32 v2, 32, v0
	v_subrev_nc_u32_e32 v0, 28, v2
	v_lshlrev_b64 v[0:1], v0, v[7:8]
	v_sub_nc_u32_e32 v1, 29, v2
	v_and_b32_e32 v0, 7, v0
; %bb.464:                              ;   in Loop: Header=BB314_16 Depth=1
	s_or_b32 exec_lo, exec_lo, s28
	v_lshlrev_b32_e32 v2, 8, v7
	v_lshl_add_u32 v1, v1, 10, 0x2000
	v_lshlrev_b32_e32 v0, 23, v0
	v_and_or_b32 v1, 0x8000, v2, v1
	v_lshl_or_b32 v0, v1, 16, v0
.LBB314_465:                            ;   in Loop: Header=BB314_16 Depth=1
	s_or_b32 exec_lo, exec_lo, s27
.LBB314_466:                            ;   in Loop: Header=BB314_16 Depth=1
	s_or_b32 exec_lo, exec_lo, s26
	buffer_store_dword v0, off, s[0:3], s32 offset:780 ; 4-byte Folded Spill
.LBB314_467:                            ;   in Loop: Header=BB314_16 Depth=1
	s_or_b32 exec_lo, exec_lo, s25
	flat_load_dwordx2 v[33:34], v[31:32] offset:1544
	s_waitcnt vmcnt(0) lgkmcnt(0)
	v_cmp_ne_u16_sdwa s5, v33, v8 src0_sel:BYTE_0 src1_sel:DWORD
	s_and_saveexec_b32 s25, s5
	s_cbranch_execz .LBB314_475
; %bb.468:                              ;   in Loop: Header=BB314_16 Depth=1
	v_cmp_ne_u16_sdwa s5, v33, v70 src0_sel:BYTE_0 src1_sel:DWORD
	v_mov_b32_e32 v0, 0x8000
	buffer_store_dword v0, off, s[0:3], s32 offset:432 ; 4-byte Folded Spill
	s_and_saveexec_b32 s26, s5
	s_cbranch_execz .LBB314_474
; %bb.469:                              ;   in Loop: Header=BB314_16 Depth=1
	v_and_b32_e32 v2, 0x7f, v33
	v_mov_b32_e32 v0, 0x7c01
	s_mov_b32 s27, exec_lo
	buffer_store_dword v0, off, s[0:3], s32 offset:432 ; 4-byte Folded Spill
	v_cmpx_ne_u32_e32 0x7f, v2
	s_cbranch_execz .LBB314_473
; %bb.470:                              ;   in Loop: Header=BB314_16 Depth=1
	v_and_b32_e32 v0, 7, v33
	v_lshrrev_b32_e32 v1, 3, v2
	s_mov_b32 s28, exec_lo
	v_cmpx_gt_u32_e32 8, v2
; %bb.471:                              ;   in Loop: Header=BB314_16 Depth=1
	v_ffbh_u32_e32 v0, v0
	v_min_u32_e32 v2, 32, v0
	v_subrev_nc_u32_e32 v0, 28, v2
	v_lshlrev_b64 v[0:1], v0, v[33:34]
	v_sub_nc_u32_e32 v1, 29, v2
	v_and_b32_e32 v0, 7, v0
; %bb.472:                              ;   in Loop: Header=BB314_16 Depth=1
	s_or_b32 exec_lo, exec_lo, s28
	v_lshlrev_b32_e32 v2, 8, v33
	v_lshl_add_u32 v1, v1, 10, 0x2000
	v_lshlrev_b32_e32 v0, 7, v0
	v_and_b32_e32 v2, 0x8000, v2
	v_and_b32_e32 v1, 0xfc00, v1
	v_or3_b32 v0, v2, v1, v0
	buffer_store_dword v0, off, s[0:3], s32 offset:432 ; 4-byte Folded Spill
.LBB314_473:                            ;   in Loop: Header=BB314_16 Depth=1
	s_or_b32 exec_lo, exec_lo, s27
.LBB314_474:                            ;   in Loop: Header=BB314_16 Depth=1
	s_or_b32 exec_lo, exec_lo, s26
.LBB314_475:                            ;   in Loop: Header=BB314_16 Depth=1
	s_or_b32 exec_lo, exec_lo, s25
	v_mov_b32_e32 v0, 0
	v_lshrrev_b16 v7, 8, v33
	s_mov_b32 s25, exec_lo
	buffer_store_dword v0, off, s[0:3], s32 offset:440 ; 4-byte Folded Spill
	v_mov_b32_e32 v0, 0
	buffer_store_dword v0, off, s[0:3], s32 offset:436 ; 4-byte Folded Spill
	v_cmpx_ne_u16_e32 0, v7
	s_cbranch_execz .LBB314_483
; %bb.476:                              ;   in Loop: Header=BB314_16 Depth=1
	v_bfrev_b32_e32 v0, 1
	s_mov_b32 s26, exec_lo
	buffer_store_dword v0, off, s[0:3], s32 offset:436 ; 4-byte Folded Spill
	v_cmpx_ne_u16_e32 0x80, v7
	s_cbranch_execz .LBB314_482
; %bb.477:                              ;   in Loop: Header=BB314_16 Depth=1
	v_mov_b32_e32 v0, 0x7f
	s_mov_b32 s27, exec_lo
	v_and_b32_sdwa v2, v7, v0 dst_sel:DWORD dst_unused:UNUSED_PAD src0_sel:WORD_0 src1_sel:DWORD
	v_mov_b32_e32 v0, 0x7c010000
	buffer_store_dword v0, off, s[0:3], s32 offset:436 ; 4-byte Folded Spill
	v_cmpx_ne_u32_e32 0x7f, v2
	s_cbranch_execz .LBB314_481
; %bb.478:                              ;   in Loop: Header=BB314_16 Depth=1
	v_mov_b32_e32 v0, 7
	v_lshrrev_b32_e32 v1, 3, v2
	s_mov_b32 s28, exec_lo
	v_and_b32_sdwa v0, v7, v0 dst_sel:DWORD dst_unused:UNUSED_PAD src0_sel:WORD_0 src1_sel:DWORD
	v_cmpx_gt_u32_e32 8, v2
; %bb.479:                              ;   in Loop: Header=BB314_16 Depth=1
	v_ffbh_u32_e32 v0, v0
	v_min_u32_e32 v2, 32, v0
	v_subrev_nc_u32_e32 v0, 28, v2
	v_lshlrev_b64 v[0:1], v0, v[7:8]
	v_sub_nc_u32_e32 v1, 29, v2
	v_and_b32_e32 v0, 7, v0
; %bb.480:                              ;   in Loop: Header=BB314_16 Depth=1
	s_or_b32 exec_lo, exec_lo, s28
	v_mov_b32_e32 v2, 8
	v_lshl_add_u32 v1, v1, 10, 0x2000
	v_lshlrev_b32_e32 v0, 23, v0
	v_lshlrev_b32_sdwa v2, v2, v7 dst_sel:DWORD dst_unused:UNUSED_PAD src0_sel:DWORD src1_sel:WORD_0
	v_and_or_b32 v1, 0x8000, v2, v1
	v_lshl_or_b32 v0, v1, 16, v0
	buffer_store_dword v0, off, s[0:3], s32 offset:436 ; 4-byte Folded Spill
.LBB314_481:                            ;   in Loop: Header=BB314_16 Depth=1
	s_or_b32 exec_lo, exec_lo, s27
.LBB314_482:                            ;   in Loop: Header=BB314_16 Depth=1
	s_or_b32 exec_lo, exec_lo, s26
.LBB314_483:                            ;   in Loop: Header=BB314_16 Depth=1
	s_or_b32 exec_lo, exec_lo, s25
	v_lshrrev_b32_e32 v7, 16, v33
	v_cmp_ne_u16_sdwa s5, v7, v8 src0_sel:BYTE_0 src1_sel:DWORD
	s_and_saveexec_b32 s25, s5
	s_cbranch_execz .LBB314_491
; %bb.484:                              ;   in Loop: Header=BB314_16 Depth=1
	v_cmp_ne_u16_sdwa s5, v7, v70 src0_sel:BYTE_0 src1_sel:DWORD
	v_mov_b32_e32 v0, 0x8000
	buffer_store_dword v0, off, s[0:3], s32 offset:440 ; 4-byte Folded Spill
	s_and_saveexec_b32 s26, s5
	s_cbranch_execz .LBB314_490
; %bb.485:                              ;   in Loop: Header=BB314_16 Depth=1
	v_bfe_u32 v2, v33, 16, 7
	v_mov_b32_e32 v0, 0x7c01
	s_mov_b32 s27, exec_lo
	buffer_store_dword v0, off, s[0:3], s32 offset:440 ; 4-byte Folded Spill
	v_cmpx_ne_u32_e32 0x7f, v2
	s_cbranch_execz .LBB314_489
; %bb.486:                              ;   in Loop: Header=BB314_16 Depth=1
	v_and_b32_e32 v0, 7, v7
	v_lshrrev_b32_e32 v1, 3, v2
	s_mov_b32 s28, exec_lo
	v_cmpx_gt_u32_e32 8, v2
; %bb.487:                              ;   in Loop: Header=BB314_16 Depth=1
	v_ffbh_u32_e32 v0, v0
	v_min_u32_e32 v2, 32, v0
	v_subrev_nc_u32_e32 v0, 28, v2
	v_lshlrev_b64 v[0:1], v0, v[7:8]
	v_sub_nc_u32_e32 v1, 29, v2
	v_and_b32_e32 v0, 7, v0
; %bb.488:                              ;   in Loop: Header=BB314_16 Depth=1
	s_or_b32 exec_lo, exec_lo, s28
	v_lshlrev_b32_e32 v2, 8, v7
	v_lshl_add_u32 v1, v1, 10, 0x2000
	v_lshlrev_b32_e32 v0, 7, v0
	v_and_b32_e32 v2, 0x8000, v2
	v_and_b32_e32 v1, 0xfc00, v1
	v_or3_b32 v0, v2, v1, v0
	buffer_store_dword v0, off, s[0:3], s32 offset:440 ; 4-byte Folded Spill
.LBB314_489:                            ;   in Loop: Header=BB314_16 Depth=1
	s_or_b32 exec_lo, exec_lo, s27
.LBB314_490:                            ;   in Loop: Header=BB314_16 Depth=1
	s_or_b32 exec_lo, exec_lo, s26
.LBB314_491:                            ;   in Loop: Header=BB314_16 Depth=1
	s_or_b32 exec_lo, exec_lo, s25
	v_mov_b32_e32 v0, 0
	s_mov_b32 s25, exec_lo
	buffer_store_dword v0, off, s[0:3], s32 offset:444 ; 4-byte Folded Spill
	v_mov_b32_e32 v0, 0
	buffer_store_dword v0, off, s[0:3], s32 offset:448 ; 4-byte Folded Spill
	v_cmpx_lt_u32_e32 0xffffff, v33
	s_cbranch_execz .LBB314_499
; %bb.492:                              ;   in Loop: Header=BB314_16 Depth=1
	v_lshrrev_b32_e32 v7, 24, v33
	v_bfrev_b32_e32 v0, 1
	s_mov_b32 s26, exec_lo
	buffer_store_dword v0, off, s[0:3], s32 offset:448 ; 4-byte Folded Spill
	v_cmpx_ne_u32_e32 0x80, v7
	s_cbranch_execz .LBB314_498
; %bb.493:                              ;   in Loop: Header=BB314_16 Depth=1
	v_and_b32_e32 v2, 0x7f, v7
	v_mov_b32_e32 v0, 0x7c010000
	s_mov_b32 s27, exec_lo
	buffer_store_dword v0, off, s[0:3], s32 offset:448 ; 4-byte Folded Spill
	v_cmpx_ne_u32_e32 0x7f, v2
	s_cbranch_execz .LBB314_497
; %bb.494:                              ;   in Loop: Header=BB314_16 Depth=1
	v_and_b32_e32 v0, 7, v7
	v_lshrrev_b32_e32 v1, 3, v2
	s_mov_b32 s28, exec_lo
	v_cmpx_gt_u32_e32 8, v2
; %bb.495:                              ;   in Loop: Header=BB314_16 Depth=1
	v_ffbh_u32_e32 v0, v0
	v_min_u32_e32 v2, 32, v0
	v_subrev_nc_u32_e32 v0, 28, v2
	v_lshlrev_b64 v[0:1], v0, v[7:8]
	v_sub_nc_u32_e32 v1, 29, v2
	v_and_b32_e32 v0, 7, v0
; %bb.496:                              ;   in Loop: Header=BB314_16 Depth=1
	s_or_b32 exec_lo, exec_lo, s28
	v_lshlrev_b32_e32 v2, 8, v7
	v_lshl_add_u32 v1, v1, 10, 0x2000
	v_lshlrev_b32_e32 v0, 23, v0
	v_and_or_b32 v1, 0x8000, v2, v1
	v_lshl_or_b32 v0, v1, 16, v0
	buffer_store_dword v0, off, s[0:3], s32 offset:448 ; 4-byte Folded Spill
.LBB314_497:                            ;   in Loop: Header=BB314_16 Depth=1
	s_or_b32 exec_lo, exec_lo, s27
.LBB314_498:                            ;   in Loop: Header=BB314_16 Depth=1
	s_or_b32 exec_lo, exec_lo, s26
.LBB314_499:                            ;   in Loop: Header=BB314_16 Depth=1
	s_or_b32 exec_lo, exec_lo, s25
	v_mov_b32_e32 v7, v34
	v_cmp_ne_u16_sdwa s5, v34, v8 src0_sel:BYTE_0 src1_sel:DWORD
	s_and_saveexec_b32 s25, s5
	s_cbranch_execz .LBB314_507
; %bb.500:                              ;   in Loop: Header=BB314_16 Depth=1
	v_cmp_ne_u16_sdwa s5, v34, v70 src0_sel:BYTE_0 src1_sel:DWORD
	v_mov_b32_e32 v0, 0x8000
	buffer_store_dword v0, off, s[0:3], s32 offset:444 ; 4-byte Folded Spill
	s_and_saveexec_b32 s26, s5
	s_cbranch_execz .LBB314_506
; %bb.501:                              ;   in Loop: Header=BB314_16 Depth=1
	v_and_b32_e32 v2, 0x7f, v34
	v_mov_b32_e32 v0, 0x7c01
	s_mov_b32 s27, exec_lo
	buffer_store_dword v0, off, s[0:3], s32 offset:444 ; 4-byte Folded Spill
	v_cmpx_ne_u32_e32 0x7f, v2
	s_cbranch_execz .LBB314_505
; %bb.502:                              ;   in Loop: Header=BB314_16 Depth=1
	v_and_b32_e32 v0, 7, v34
	v_lshrrev_b32_e32 v1, 3, v2
	s_mov_b32 s28, exec_lo
	v_cmpx_gt_u32_e32 8, v2
; %bb.503:                              ;   in Loop: Header=BB314_16 Depth=1
	v_ffbh_u32_e32 v0, v0
	v_min_u32_e32 v2, 32, v0
	v_subrev_nc_u32_e32 v0, 28, v2
	v_lshlrev_b64 v[0:1], v0, v[7:8]
	v_sub_nc_u32_e32 v1, 29, v2
	v_and_b32_e32 v0, 7, v0
; %bb.504:                              ;   in Loop: Header=BB314_16 Depth=1
	s_or_b32 exec_lo, exec_lo, s28
	v_lshlrev_b32_e32 v2, 8, v34
	v_lshl_add_u32 v1, v1, 10, 0x2000
	v_lshlrev_b32_e32 v0, 7, v0
	v_and_b32_e32 v2, 0x8000, v2
	v_and_b32_e32 v1, 0xfc00, v1
	v_or3_b32 v0, v2, v1, v0
	buffer_store_dword v0, off, s[0:3], s32 offset:444 ; 4-byte Folded Spill
.LBB314_505:                            ;   in Loop: Header=BB314_16 Depth=1
	s_or_b32 exec_lo, exec_lo, s27
.LBB314_506:                            ;   in Loop: Header=BB314_16 Depth=1
	s_or_b32 exec_lo, exec_lo, s26
.LBB314_507:                            ;   in Loop: Header=BB314_16 Depth=1
	s_or_b32 exec_lo, exec_lo, s25
	v_mov_b32_e32 v0, 0
	v_lshrrev_b16 v7, 8, v7
	s_mov_b32 s25, exec_lo
	buffer_store_dword v0, off, s[0:3], s32 offset:452 ; 4-byte Folded Spill
	v_mov_b32_e32 v0, 0
	buffer_store_dword v0, off, s[0:3], s32 offset:456 ; 4-byte Folded Spill
	v_cmpx_ne_u16_e32 0, v7
	s_cbranch_execz .LBB314_515
; %bb.508:                              ;   in Loop: Header=BB314_16 Depth=1
	v_bfrev_b32_e32 v0, 1
	s_mov_b32 s26, exec_lo
	buffer_store_dword v0, off, s[0:3], s32 offset:456 ; 4-byte Folded Spill
	v_cmpx_ne_u16_e32 0x80, v7
	s_cbranch_execz .LBB314_514
; %bb.509:                              ;   in Loop: Header=BB314_16 Depth=1
	v_mov_b32_e32 v0, 0x7f
	s_mov_b32 s27, exec_lo
	v_and_b32_sdwa v2, v7, v0 dst_sel:DWORD dst_unused:UNUSED_PAD src0_sel:WORD_0 src1_sel:DWORD
	v_mov_b32_e32 v0, 0x7c010000
	buffer_store_dword v0, off, s[0:3], s32 offset:456 ; 4-byte Folded Spill
	v_cmpx_ne_u32_e32 0x7f, v2
	s_cbranch_execz .LBB314_513
; %bb.510:                              ;   in Loop: Header=BB314_16 Depth=1
	v_mov_b32_e32 v0, 7
	v_lshrrev_b32_e32 v1, 3, v2
	s_mov_b32 s28, exec_lo
	v_and_b32_sdwa v0, v7, v0 dst_sel:DWORD dst_unused:UNUSED_PAD src0_sel:WORD_0 src1_sel:DWORD
	v_cmpx_gt_u32_e32 8, v2
; %bb.511:                              ;   in Loop: Header=BB314_16 Depth=1
	v_ffbh_u32_e32 v0, v0
	v_min_u32_e32 v2, 32, v0
	v_subrev_nc_u32_e32 v0, 28, v2
	v_lshlrev_b64 v[0:1], v0, v[7:8]
	v_sub_nc_u32_e32 v1, 29, v2
	v_and_b32_e32 v0, 7, v0
; %bb.512:                              ;   in Loop: Header=BB314_16 Depth=1
	s_or_b32 exec_lo, exec_lo, s28
	v_mov_b32_e32 v2, 8
	v_lshl_add_u32 v1, v1, 10, 0x2000
	v_lshlrev_b32_e32 v0, 23, v0
	v_lshlrev_b32_sdwa v2, v2, v7 dst_sel:DWORD dst_unused:UNUSED_PAD src0_sel:DWORD src1_sel:WORD_0
	v_and_or_b32 v1, 0x8000, v2, v1
	v_lshl_or_b32 v0, v1, 16, v0
	buffer_store_dword v0, off, s[0:3], s32 offset:456 ; 4-byte Folded Spill
.LBB314_513:                            ;   in Loop: Header=BB314_16 Depth=1
	s_or_b32 exec_lo, exec_lo, s27
.LBB314_514:                            ;   in Loop: Header=BB314_16 Depth=1
	s_or_b32 exec_lo, exec_lo, s26
.LBB314_515:                            ;   in Loop: Header=BB314_16 Depth=1
	s_or_b32 exec_lo, exec_lo, s25
	v_lshrrev_b32_e32 v7, 16, v34
	v_cmp_ne_u16_sdwa s5, v7, v8 src0_sel:BYTE_0 src1_sel:DWORD
	s_and_saveexec_b32 s25, s5
	s_cbranch_execz .LBB314_523
; %bb.516:                              ;   in Loop: Header=BB314_16 Depth=1
	v_cmp_ne_u16_sdwa s5, v7, v70 src0_sel:BYTE_0 src1_sel:DWORD
	v_mov_b32_e32 v0, 0x8000
	buffer_store_dword v0, off, s[0:3], s32 offset:452 ; 4-byte Folded Spill
	s_and_saveexec_b32 s26, s5
	s_cbranch_execz .LBB314_522
; %bb.517:                              ;   in Loop: Header=BB314_16 Depth=1
	v_bfe_u32 v2, v34, 16, 7
	v_mov_b32_e32 v0, 0x7c01
	s_mov_b32 s27, exec_lo
	buffer_store_dword v0, off, s[0:3], s32 offset:452 ; 4-byte Folded Spill
	v_cmpx_ne_u32_e32 0x7f, v2
	s_cbranch_execz .LBB314_521
; %bb.518:                              ;   in Loop: Header=BB314_16 Depth=1
	v_and_b32_e32 v0, 7, v7
	v_lshrrev_b32_e32 v1, 3, v2
	s_mov_b32 s28, exec_lo
	v_cmpx_gt_u32_e32 8, v2
; %bb.519:                              ;   in Loop: Header=BB314_16 Depth=1
	v_ffbh_u32_e32 v0, v0
	v_min_u32_e32 v2, 32, v0
	v_subrev_nc_u32_e32 v0, 28, v2
	v_lshlrev_b64 v[0:1], v0, v[7:8]
	v_sub_nc_u32_e32 v1, 29, v2
	v_and_b32_e32 v0, 7, v0
; %bb.520:                              ;   in Loop: Header=BB314_16 Depth=1
	s_or_b32 exec_lo, exec_lo, s28
	v_lshlrev_b32_e32 v2, 8, v7
	v_lshl_add_u32 v1, v1, 10, 0x2000
	v_lshlrev_b32_e32 v0, 7, v0
	v_and_b32_e32 v2, 0x8000, v2
	v_and_b32_e32 v1, 0xfc00, v1
	v_or3_b32 v0, v2, v1, v0
	buffer_store_dword v0, off, s[0:3], s32 offset:452 ; 4-byte Folded Spill
.LBB314_521:                            ;   in Loop: Header=BB314_16 Depth=1
	s_or_b32 exec_lo, exec_lo, s27
.LBB314_522:                            ;   in Loop: Header=BB314_16 Depth=1
	s_or_b32 exec_lo, exec_lo, s26
.LBB314_523:                            ;   in Loop: Header=BB314_16 Depth=1
	s_or_b32 exec_lo, exec_lo, s25
	v_mov_b32_e32 v0, 0
	s_mov_b32 s25, exec_lo
	buffer_store_dword v0, off, s[0:3], s32 offset:460 ; 4-byte Folded Spill
	v_mov_b32_e32 v0, 0
	buffer_store_dword v0, off, s[0:3], s32 offset:784 ; 4-byte Folded Spill
	v_cmpx_lt_u64_e64 s[20:21], v[33:34]
	s_cbranch_execz .LBB314_531
; %bb.524:                              ;   in Loop: Header=BB314_16 Depth=1
	v_lshrrev_b32_e32 v7, 24, v34
	v_bfrev_b32_e32 v0, 1
	s_mov_b32 s26, exec_lo
	v_cmpx_ne_u32_e32 0x80, v7
	s_cbranch_execz .LBB314_530
; %bb.525:                              ;   in Loop: Header=BB314_16 Depth=1
	v_and_b32_e32 v2, 0x7f, v7
	v_mov_b32_e32 v0, 0x7c010000
	s_mov_b32 s27, exec_lo
	v_cmpx_ne_u32_e32 0x7f, v2
	s_cbranch_execz .LBB314_529
; %bb.526:                              ;   in Loop: Header=BB314_16 Depth=1
	v_and_b32_e32 v0, 7, v7
	v_lshrrev_b32_e32 v1, 3, v2
	s_mov_b32 s28, exec_lo
	v_cmpx_gt_u32_e32 8, v2
; %bb.527:                              ;   in Loop: Header=BB314_16 Depth=1
	v_ffbh_u32_e32 v0, v0
	v_min_u32_e32 v2, 32, v0
	v_subrev_nc_u32_e32 v0, 28, v2
	v_lshlrev_b64 v[0:1], v0, v[7:8]
	v_sub_nc_u32_e32 v1, 29, v2
	v_and_b32_e32 v0, 7, v0
; %bb.528:                              ;   in Loop: Header=BB314_16 Depth=1
	s_or_b32 exec_lo, exec_lo, s28
	v_lshlrev_b32_e32 v2, 8, v7
	v_lshl_add_u32 v1, v1, 10, 0x2000
	v_lshlrev_b32_e32 v0, 23, v0
	v_and_or_b32 v1, 0x8000, v2, v1
	v_lshl_or_b32 v0, v1, 16, v0
.LBB314_529:                            ;   in Loop: Header=BB314_16 Depth=1
	s_or_b32 exec_lo, exec_lo, s27
.LBB314_530:                            ;   in Loop: Header=BB314_16 Depth=1
	s_or_b32 exec_lo, exec_lo, s26
	buffer_store_dword v0, off, s[0:3], s32 offset:784 ; 4-byte Folded Spill
.LBB314_531:                            ;   in Loop: Header=BB314_16 Depth=1
	s_or_b32 exec_lo, exec_lo, s25
	v_add_co_u32 v33, s5, 0x800, v31
	v_add_co_ci_u32_e64 v34, null, 0, v32, s5
	flat_load_dwordx2 v[35:36], v[33:34]
	s_waitcnt vmcnt(0) lgkmcnt(0)
	v_cmp_ne_u16_sdwa s5, v35, v8 src0_sel:BYTE_0 src1_sel:DWORD
	s_and_saveexec_b32 s25, s5
	s_cbranch_execz .LBB314_539
; %bb.532:                              ;   in Loop: Header=BB314_16 Depth=1
	v_cmp_ne_u16_sdwa s5, v35, v70 src0_sel:BYTE_0 src1_sel:DWORD
	v_mov_b32_e32 v0, 0x8000
	buffer_store_dword v0, off, s[0:3], s32 offset:460 ; 4-byte Folded Spill
	s_and_saveexec_b32 s26, s5
	s_cbranch_execz .LBB314_538
; %bb.533:                              ;   in Loop: Header=BB314_16 Depth=1
	v_and_b32_e32 v2, 0x7f, v35
	v_mov_b32_e32 v0, 0x7c01
	s_mov_b32 s27, exec_lo
	buffer_store_dword v0, off, s[0:3], s32 offset:460 ; 4-byte Folded Spill
	v_cmpx_ne_u32_e32 0x7f, v2
	s_cbranch_execz .LBB314_537
; %bb.534:                              ;   in Loop: Header=BB314_16 Depth=1
	v_and_b32_e32 v0, 7, v35
	v_lshrrev_b32_e32 v1, 3, v2
	s_mov_b32 s28, exec_lo
	v_cmpx_gt_u32_e32 8, v2
; %bb.535:                              ;   in Loop: Header=BB314_16 Depth=1
	v_ffbh_u32_e32 v0, v0
	v_min_u32_e32 v2, 32, v0
	v_subrev_nc_u32_e32 v0, 28, v2
	v_lshlrev_b64 v[0:1], v0, v[35:36]
	v_sub_nc_u32_e32 v1, 29, v2
	v_and_b32_e32 v0, 7, v0
; %bb.536:                              ;   in Loop: Header=BB314_16 Depth=1
	s_or_b32 exec_lo, exec_lo, s28
	v_lshlrev_b32_e32 v2, 8, v35
	v_lshl_add_u32 v1, v1, 10, 0x2000
	v_lshlrev_b32_e32 v0, 7, v0
	v_and_b32_e32 v2, 0x8000, v2
	v_and_b32_e32 v1, 0xfc00, v1
	v_or3_b32 v0, v2, v1, v0
	buffer_store_dword v0, off, s[0:3], s32 offset:460 ; 4-byte Folded Spill
.LBB314_537:                            ;   in Loop: Header=BB314_16 Depth=1
	s_or_b32 exec_lo, exec_lo, s27
.LBB314_538:                            ;   in Loop: Header=BB314_16 Depth=1
	s_or_b32 exec_lo, exec_lo, s26
.LBB314_539:                            ;   in Loop: Header=BB314_16 Depth=1
	s_or_b32 exec_lo, exec_lo, s25
	v_mov_b32_e32 v0, 0
	v_lshrrev_b16 v7, 8, v35
	s_mov_b32 s25, exec_lo
	buffer_store_dword v0, off, s[0:3], s32 offset:468 ; 4-byte Folded Spill
	v_mov_b32_e32 v0, 0
	buffer_store_dword v0, off, s[0:3], s32 offset:464 ; 4-byte Folded Spill
	v_cmpx_ne_u16_e32 0, v7
	s_cbranch_execz .LBB314_547
; %bb.540:                              ;   in Loop: Header=BB314_16 Depth=1
	v_bfrev_b32_e32 v0, 1
	s_mov_b32 s26, exec_lo
	buffer_store_dword v0, off, s[0:3], s32 offset:464 ; 4-byte Folded Spill
	v_cmpx_ne_u16_e32 0x80, v7
	s_cbranch_execz .LBB314_546
; %bb.541:                              ;   in Loop: Header=BB314_16 Depth=1
	v_mov_b32_e32 v0, 0x7f
	s_mov_b32 s27, exec_lo
	v_and_b32_sdwa v2, v7, v0 dst_sel:DWORD dst_unused:UNUSED_PAD src0_sel:WORD_0 src1_sel:DWORD
	v_mov_b32_e32 v0, 0x7c010000
	buffer_store_dword v0, off, s[0:3], s32 offset:464 ; 4-byte Folded Spill
	v_cmpx_ne_u32_e32 0x7f, v2
	s_cbranch_execz .LBB314_545
; %bb.542:                              ;   in Loop: Header=BB314_16 Depth=1
	v_mov_b32_e32 v0, 7
	v_lshrrev_b32_e32 v1, 3, v2
	s_mov_b32 s28, exec_lo
	v_and_b32_sdwa v0, v7, v0 dst_sel:DWORD dst_unused:UNUSED_PAD src0_sel:WORD_0 src1_sel:DWORD
	v_cmpx_gt_u32_e32 8, v2
; %bb.543:                              ;   in Loop: Header=BB314_16 Depth=1
	v_ffbh_u32_e32 v0, v0
	v_min_u32_e32 v2, 32, v0
	v_subrev_nc_u32_e32 v0, 28, v2
	v_lshlrev_b64 v[0:1], v0, v[7:8]
	v_sub_nc_u32_e32 v1, 29, v2
	v_and_b32_e32 v0, 7, v0
; %bb.544:                              ;   in Loop: Header=BB314_16 Depth=1
	s_or_b32 exec_lo, exec_lo, s28
	v_mov_b32_e32 v2, 8
	v_lshl_add_u32 v1, v1, 10, 0x2000
	v_lshlrev_b32_e32 v0, 23, v0
	v_lshlrev_b32_sdwa v2, v2, v7 dst_sel:DWORD dst_unused:UNUSED_PAD src0_sel:DWORD src1_sel:WORD_0
	v_and_or_b32 v1, 0x8000, v2, v1
	v_lshl_or_b32 v0, v1, 16, v0
	buffer_store_dword v0, off, s[0:3], s32 offset:464 ; 4-byte Folded Spill
.LBB314_545:                            ;   in Loop: Header=BB314_16 Depth=1
	s_or_b32 exec_lo, exec_lo, s27
.LBB314_546:                            ;   in Loop: Header=BB314_16 Depth=1
	s_or_b32 exec_lo, exec_lo, s26
.LBB314_547:                            ;   in Loop: Header=BB314_16 Depth=1
	s_or_b32 exec_lo, exec_lo, s25
	v_lshrrev_b32_e32 v7, 16, v35
	v_cmp_ne_u16_sdwa s5, v7, v8 src0_sel:BYTE_0 src1_sel:DWORD
	s_and_saveexec_b32 s25, s5
	s_cbranch_execz .LBB314_555
; %bb.548:                              ;   in Loop: Header=BB314_16 Depth=1
	v_cmp_ne_u16_sdwa s5, v7, v70 src0_sel:BYTE_0 src1_sel:DWORD
	v_mov_b32_e32 v0, 0x8000
	buffer_store_dword v0, off, s[0:3], s32 offset:468 ; 4-byte Folded Spill
	s_and_saveexec_b32 s26, s5
	s_cbranch_execz .LBB314_554
; %bb.549:                              ;   in Loop: Header=BB314_16 Depth=1
	v_bfe_u32 v2, v35, 16, 7
	v_mov_b32_e32 v0, 0x7c01
	s_mov_b32 s27, exec_lo
	buffer_store_dword v0, off, s[0:3], s32 offset:468 ; 4-byte Folded Spill
	v_cmpx_ne_u32_e32 0x7f, v2
	s_cbranch_execz .LBB314_553
; %bb.550:                              ;   in Loop: Header=BB314_16 Depth=1
	v_and_b32_e32 v0, 7, v7
	v_lshrrev_b32_e32 v1, 3, v2
	s_mov_b32 s28, exec_lo
	v_cmpx_gt_u32_e32 8, v2
; %bb.551:                              ;   in Loop: Header=BB314_16 Depth=1
	v_ffbh_u32_e32 v0, v0
	v_min_u32_e32 v2, 32, v0
	v_subrev_nc_u32_e32 v0, 28, v2
	v_lshlrev_b64 v[0:1], v0, v[7:8]
	v_sub_nc_u32_e32 v1, 29, v2
	v_and_b32_e32 v0, 7, v0
; %bb.552:                              ;   in Loop: Header=BB314_16 Depth=1
	s_or_b32 exec_lo, exec_lo, s28
	v_lshlrev_b32_e32 v2, 8, v7
	v_lshl_add_u32 v1, v1, 10, 0x2000
	v_lshlrev_b32_e32 v0, 7, v0
	v_and_b32_e32 v2, 0x8000, v2
	v_and_b32_e32 v1, 0xfc00, v1
	v_or3_b32 v0, v2, v1, v0
	buffer_store_dword v0, off, s[0:3], s32 offset:468 ; 4-byte Folded Spill
.LBB314_553:                            ;   in Loop: Header=BB314_16 Depth=1
	s_or_b32 exec_lo, exec_lo, s27
.LBB314_554:                            ;   in Loop: Header=BB314_16 Depth=1
	s_or_b32 exec_lo, exec_lo, s26
.LBB314_555:                            ;   in Loop: Header=BB314_16 Depth=1
	s_or_b32 exec_lo, exec_lo, s25
	v_mov_b32_e32 v0, 0
	s_mov_b32 s25, exec_lo
	buffer_store_dword v0, off, s[0:3], s32 offset:472 ; 4-byte Folded Spill
	v_mov_b32_e32 v0, 0
	buffer_store_dword v0, off, s[0:3], s32 offset:476 ; 4-byte Folded Spill
	v_cmpx_lt_u32_e32 0xffffff, v35
	s_cbranch_execz .LBB314_563
; %bb.556:                              ;   in Loop: Header=BB314_16 Depth=1
	v_lshrrev_b32_e32 v7, 24, v35
	v_bfrev_b32_e32 v0, 1
	s_mov_b32 s26, exec_lo
	buffer_store_dword v0, off, s[0:3], s32 offset:476 ; 4-byte Folded Spill
	v_cmpx_ne_u32_e32 0x80, v7
	s_cbranch_execz .LBB314_562
; %bb.557:                              ;   in Loop: Header=BB314_16 Depth=1
	v_and_b32_e32 v2, 0x7f, v7
	v_mov_b32_e32 v0, 0x7c010000
	s_mov_b32 s27, exec_lo
	buffer_store_dword v0, off, s[0:3], s32 offset:476 ; 4-byte Folded Spill
	v_cmpx_ne_u32_e32 0x7f, v2
	s_cbranch_execz .LBB314_561
; %bb.558:                              ;   in Loop: Header=BB314_16 Depth=1
	v_and_b32_e32 v0, 7, v7
	v_lshrrev_b32_e32 v1, 3, v2
	s_mov_b32 s28, exec_lo
	v_cmpx_gt_u32_e32 8, v2
; %bb.559:                              ;   in Loop: Header=BB314_16 Depth=1
	v_ffbh_u32_e32 v0, v0
	v_min_u32_e32 v2, 32, v0
	v_subrev_nc_u32_e32 v0, 28, v2
	v_lshlrev_b64 v[0:1], v0, v[7:8]
	v_sub_nc_u32_e32 v1, 29, v2
	v_and_b32_e32 v0, 7, v0
; %bb.560:                              ;   in Loop: Header=BB314_16 Depth=1
	s_or_b32 exec_lo, exec_lo, s28
	v_lshlrev_b32_e32 v2, 8, v7
	v_lshl_add_u32 v1, v1, 10, 0x2000
	v_lshlrev_b32_e32 v0, 23, v0
	v_and_or_b32 v1, 0x8000, v2, v1
	v_lshl_or_b32 v0, v1, 16, v0
	buffer_store_dword v0, off, s[0:3], s32 offset:476 ; 4-byte Folded Spill
.LBB314_561:                            ;   in Loop: Header=BB314_16 Depth=1
	s_or_b32 exec_lo, exec_lo, s27
.LBB314_562:                            ;   in Loop: Header=BB314_16 Depth=1
	s_or_b32 exec_lo, exec_lo, s26
.LBB314_563:                            ;   in Loop: Header=BB314_16 Depth=1
	s_or_b32 exec_lo, exec_lo, s25
	v_mov_b32_e32 v7, v36
	v_cmp_ne_u16_sdwa s5, v36, v8 src0_sel:BYTE_0 src1_sel:DWORD
	s_and_saveexec_b32 s25, s5
	s_cbranch_execz .LBB314_571
; %bb.564:                              ;   in Loop: Header=BB314_16 Depth=1
	v_cmp_ne_u16_sdwa s5, v36, v70 src0_sel:BYTE_0 src1_sel:DWORD
	v_mov_b32_e32 v0, 0x8000
	buffer_store_dword v0, off, s[0:3], s32 offset:472 ; 4-byte Folded Spill
	s_and_saveexec_b32 s26, s5
	s_cbranch_execz .LBB314_570
; %bb.565:                              ;   in Loop: Header=BB314_16 Depth=1
	v_and_b32_e32 v2, 0x7f, v36
	v_mov_b32_e32 v0, 0x7c01
	s_mov_b32 s27, exec_lo
	buffer_store_dword v0, off, s[0:3], s32 offset:472 ; 4-byte Folded Spill
	v_cmpx_ne_u32_e32 0x7f, v2
	s_cbranch_execz .LBB314_569
; %bb.566:                              ;   in Loop: Header=BB314_16 Depth=1
	v_and_b32_e32 v0, 7, v36
	v_lshrrev_b32_e32 v1, 3, v2
	s_mov_b32 s28, exec_lo
	v_cmpx_gt_u32_e32 8, v2
; %bb.567:                              ;   in Loop: Header=BB314_16 Depth=1
	v_ffbh_u32_e32 v0, v0
	v_min_u32_e32 v2, 32, v0
	v_subrev_nc_u32_e32 v0, 28, v2
	v_lshlrev_b64 v[0:1], v0, v[7:8]
	v_sub_nc_u32_e32 v1, 29, v2
	v_and_b32_e32 v0, 7, v0
; %bb.568:                              ;   in Loop: Header=BB314_16 Depth=1
	s_or_b32 exec_lo, exec_lo, s28
	v_lshlrev_b32_e32 v2, 8, v36
	v_lshl_add_u32 v1, v1, 10, 0x2000
	v_lshlrev_b32_e32 v0, 7, v0
	v_and_b32_e32 v2, 0x8000, v2
	v_and_b32_e32 v1, 0xfc00, v1
	v_or3_b32 v0, v2, v1, v0
	buffer_store_dword v0, off, s[0:3], s32 offset:472 ; 4-byte Folded Spill
.LBB314_569:                            ;   in Loop: Header=BB314_16 Depth=1
	s_or_b32 exec_lo, exec_lo, s27
.LBB314_570:                            ;   in Loop: Header=BB314_16 Depth=1
	s_or_b32 exec_lo, exec_lo, s26
.LBB314_571:                            ;   in Loop: Header=BB314_16 Depth=1
	s_or_b32 exec_lo, exec_lo, s25
	v_mov_b32_e32 v0, 0
	v_lshrrev_b16 v7, 8, v7
	s_mov_b32 s25, exec_lo
	buffer_store_dword v0, off, s[0:3], s32 offset:480 ; 4-byte Folded Spill
	v_mov_b32_e32 v0, 0
	buffer_store_dword v0, off, s[0:3], s32 offset:484 ; 4-byte Folded Spill
	v_cmpx_ne_u16_e32 0, v7
	s_cbranch_execz .LBB314_579
; %bb.572:                              ;   in Loop: Header=BB314_16 Depth=1
	v_bfrev_b32_e32 v0, 1
	s_mov_b32 s26, exec_lo
	buffer_store_dword v0, off, s[0:3], s32 offset:484 ; 4-byte Folded Spill
	v_cmpx_ne_u16_e32 0x80, v7
	s_cbranch_execz .LBB314_578
; %bb.573:                              ;   in Loop: Header=BB314_16 Depth=1
	v_mov_b32_e32 v0, 0x7f
	s_mov_b32 s27, exec_lo
	v_and_b32_sdwa v2, v7, v0 dst_sel:DWORD dst_unused:UNUSED_PAD src0_sel:WORD_0 src1_sel:DWORD
	v_mov_b32_e32 v0, 0x7c010000
	buffer_store_dword v0, off, s[0:3], s32 offset:484 ; 4-byte Folded Spill
	v_cmpx_ne_u32_e32 0x7f, v2
	s_cbranch_execz .LBB314_577
; %bb.574:                              ;   in Loop: Header=BB314_16 Depth=1
	v_mov_b32_e32 v0, 7
	v_lshrrev_b32_e32 v1, 3, v2
	s_mov_b32 s28, exec_lo
	v_and_b32_sdwa v0, v7, v0 dst_sel:DWORD dst_unused:UNUSED_PAD src0_sel:WORD_0 src1_sel:DWORD
	v_cmpx_gt_u32_e32 8, v2
; %bb.575:                              ;   in Loop: Header=BB314_16 Depth=1
	v_ffbh_u32_e32 v0, v0
	v_min_u32_e32 v2, 32, v0
	v_subrev_nc_u32_e32 v0, 28, v2
	v_lshlrev_b64 v[0:1], v0, v[7:8]
	v_sub_nc_u32_e32 v1, 29, v2
	v_and_b32_e32 v0, 7, v0
; %bb.576:                              ;   in Loop: Header=BB314_16 Depth=1
	s_or_b32 exec_lo, exec_lo, s28
	v_mov_b32_e32 v2, 8
	v_lshl_add_u32 v1, v1, 10, 0x2000
	v_lshlrev_b32_e32 v0, 23, v0
	v_lshlrev_b32_sdwa v2, v2, v7 dst_sel:DWORD dst_unused:UNUSED_PAD src0_sel:DWORD src1_sel:WORD_0
	v_and_or_b32 v1, 0x8000, v2, v1
	v_lshl_or_b32 v0, v1, 16, v0
	buffer_store_dword v0, off, s[0:3], s32 offset:484 ; 4-byte Folded Spill
.LBB314_577:                            ;   in Loop: Header=BB314_16 Depth=1
	s_or_b32 exec_lo, exec_lo, s27
.LBB314_578:                            ;   in Loop: Header=BB314_16 Depth=1
	s_or_b32 exec_lo, exec_lo, s26
.LBB314_579:                            ;   in Loop: Header=BB314_16 Depth=1
	s_or_b32 exec_lo, exec_lo, s25
	v_lshrrev_b32_e32 v7, 16, v36
	v_cmp_ne_u16_sdwa s5, v7, v8 src0_sel:BYTE_0 src1_sel:DWORD
	s_and_saveexec_b32 s25, s5
	s_cbranch_execz .LBB314_587
; %bb.580:                              ;   in Loop: Header=BB314_16 Depth=1
	v_cmp_ne_u16_sdwa s5, v7, v70 src0_sel:BYTE_0 src1_sel:DWORD
	v_mov_b32_e32 v0, 0x8000
	buffer_store_dword v0, off, s[0:3], s32 offset:480 ; 4-byte Folded Spill
	s_and_saveexec_b32 s26, s5
	s_cbranch_execz .LBB314_586
; %bb.581:                              ;   in Loop: Header=BB314_16 Depth=1
	v_bfe_u32 v2, v36, 16, 7
	v_mov_b32_e32 v0, 0x7c01
	s_mov_b32 s27, exec_lo
	buffer_store_dword v0, off, s[0:3], s32 offset:480 ; 4-byte Folded Spill
	v_cmpx_ne_u32_e32 0x7f, v2
	s_cbranch_execz .LBB314_585
; %bb.582:                              ;   in Loop: Header=BB314_16 Depth=1
	v_and_b32_e32 v0, 7, v7
	v_lshrrev_b32_e32 v1, 3, v2
	s_mov_b32 s28, exec_lo
	v_cmpx_gt_u32_e32 8, v2
; %bb.583:                              ;   in Loop: Header=BB314_16 Depth=1
	v_ffbh_u32_e32 v0, v0
	v_min_u32_e32 v2, 32, v0
	v_subrev_nc_u32_e32 v0, 28, v2
	v_lshlrev_b64 v[0:1], v0, v[7:8]
	v_sub_nc_u32_e32 v1, 29, v2
	v_and_b32_e32 v0, 7, v0
; %bb.584:                              ;   in Loop: Header=BB314_16 Depth=1
	s_or_b32 exec_lo, exec_lo, s28
	v_lshlrev_b32_e32 v2, 8, v7
	v_lshl_add_u32 v1, v1, 10, 0x2000
	v_lshlrev_b32_e32 v0, 7, v0
	v_and_b32_e32 v2, 0x8000, v2
	v_and_b32_e32 v1, 0xfc00, v1
	v_or3_b32 v0, v2, v1, v0
	buffer_store_dword v0, off, s[0:3], s32 offset:480 ; 4-byte Folded Spill
.LBB314_585:                            ;   in Loop: Header=BB314_16 Depth=1
	s_or_b32 exec_lo, exec_lo, s27
.LBB314_586:                            ;   in Loop: Header=BB314_16 Depth=1
	s_or_b32 exec_lo, exec_lo, s26
.LBB314_587:                            ;   in Loop: Header=BB314_16 Depth=1
	s_or_b32 exec_lo, exec_lo, s25
	v_mov_b32_e32 v0, 0
	s_mov_b32 s25, exec_lo
	buffer_store_dword v0, off, s[0:3], s32 offset:488 ; 4-byte Folded Spill
	v_mov_b32_e32 v0, 0
	buffer_store_dword v0, off, s[0:3], s32 offset:788 ; 4-byte Folded Spill
	v_cmpx_lt_u64_e64 s[20:21], v[35:36]
	s_cbranch_execz .LBB314_595
; %bb.588:                              ;   in Loop: Header=BB314_16 Depth=1
	v_lshrrev_b32_e32 v7, 24, v36
	v_bfrev_b32_e32 v0, 1
	s_mov_b32 s26, exec_lo
	v_cmpx_ne_u32_e32 0x80, v7
	s_cbranch_execz .LBB314_594
; %bb.589:                              ;   in Loop: Header=BB314_16 Depth=1
	v_and_b32_e32 v2, 0x7f, v7
	v_mov_b32_e32 v0, 0x7c010000
	s_mov_b32 s27, exec_lo
	v_cmpx_ne_u32_e32 0x7f, v2
	s_cbranch_execz .LBB314_593
; %bb.590:                              ;   in Loop: Header=BB314_16 Depth=1
	v_and_b32_e32 v0, 7, v7
	v_lshrrev_b32_e32 v1, 3, v2
	s_mov_b32 s28, exec_lo
	v_cmpx_gt_u32_e32 8, v2
; %bb.591:                              ;   in Loop: Header=BB314_16 Depth=1
	v_ffbh_u32_e32 v0, v0
	v_min_u32_e32 v2, 32, v0
	v_subrev_nc_u32_e32 v0, 28, v2
	v_lshlrev_b64 v[0:1], v0, v[7:8]
	v_sub_nc_u32_e32 v1, 29, v2
	v_and_b32_e32 v0, 7, v0
; %bb.592:                              ;   in Loop: Header=BB314_16 Depth=1
	s_or_b32 exec_lo, exec_lo, s28
	v_lshlrev_b32_e32 v2, 8, v7
	v_lshl_add_u32 v1, v1, 10, 0x2000
	v_lshlrev_b32_e32 v0, 23, v0
	v_and_or_b32 v1, 0x8000, v2, v1
	v_lshl_or_b32 v0, v1, 16, v0
.LBB314_593:                            ;   in Loop: Header=BB314_16 Depth=1
	s_or_b32 exec_lo, exec_lo, s27
.LBB314_594:                            ;   in Loop: Header=BB314_16 Depth=1
	s_or_b32 exec_lo, exec_lo, s26
	buffer_store_dword v0, off, s[0:3], s32 offset:788 ; 4-byte Folded Spill
.LBB314_595:                            ;   in Loop: Header=BB314_16 Depth=1
	s_or_b32 exec_lo, exec_lo, s25
	flat_load_dwordx2 v[35:36], v[33:34] offset:8
	s_waitcnt vmcnt(0) lgkmcnt(0)
	v_cmp_ne_u16_sdwa s5, v35, v8 src0_sel:BYTE_0 src1_sel:DWORD
	s_and_saveexec_b32 s25, s5
	s_cbranch_execz .LBB314_603
; %bb.596:                              ;   in Loop: Header=BB314_16 Depth=1
	v_cmp_ne_u16_sdwa s5, v35, v70 src0_sel:BYTE_0 src1_sel:DWORD
	v_mov_b32_e32 v0, 0x8000
	buffer_store_dword v0, off, s[0:3], s32 offset:488 ; 4-byte Folded Spill
	s_and_saveexec_b32 s26, s5
	s_cbranch_execz .LBB314_602
; %bb.597:                              ;   in Loop: Header=BB314_16 Depth=1
	v_and_b32_e32 v2, 0x7f, v35
	v_mov_b32_e32 v0, 0x7c01
	s_mov_b32 s27, exec_lo
	buffer_store_dword v0, off, s[0:3], s32 offset:488 ; 4-byte Folded Spill
	v_cmpx_ne_u32_e32 0x7f, v2
	s_cbranch_execz .LBB314_601
; %bb.598:                              ;   in Loop: Header=BB314_16 Depth=1
	v_and_b32_e32 v0, 7, v35
	v_lshrrev_b32_e32 v1, 3, v2
	s_mov_b32 s28, exec_lo
	v_cmpx_gt_u32_e32 8, v2
; %bb.599:                              ;   in Loop: Header=BB314_16 Depth=1
	v_ffbh_u32_e32 v0, v0
	v_min_u32_e32 v2, 32, v0
	v_subrev_nc_u32_e32 v0, 28, v2
	v_lshlrev_b64 v[0:1], v0, v[35:36]
	v_sub_nc_u32_e32 v1, 29, v2
	v_and_b32_e32 v0, 7, v0
; %bb.600:                              ;   in Loop: Header=BB314_16 Depth=1
	s_or_b32 exec_lo, exec_lo, s28
	v_lshlrev_b32_e32 v2, 8, v35
	v_lshl_add_u32 v1, v1, 10, 0x2000
	v_lshlrev_b32_e32 v0, 7, v0
	v_and_b32_e32 v2, 0x8000, v2
	v_and_b32_e32 v1, 0xfc00, v1
	v_or3_b32 v0, v2, v1, v0
	buffer_store_dword v0, off, s[0:3], s32 offset:488 ; 4-byte Folded Spill
.LBB314_601:                            ;   in Loop: Header=BB314_16 Depth=1
	s_or_b32 exec_lo, exec_lo, s27
.LBB314_602:                            ;   in Loop: Header=BB314_16 Depth=1
	s_or_b32 exec_lo, exec_lo, s26
.LBB314_603:                            ;   in Loop: Header=BB314_16 Depth=1
	s_or_b32 exec_lo, exec_lo, s25
	v_mov_b32_e32 v0, 0
	v_lshrrev_b16 v7, 8, v35
	s_mov_b32 s25, exec_lo
	buffer_store_dword v0, off, s[0:3], s32 offset:496 ; 4-byte Folded Spill
	v_mov_b32_e32 v0, 0
	buffer_store_dword v0, off, s[0:3], s32 offset:492 ; 4-byte Folded Spill
	v_cmpx_ne_u16_e32 0, v7
	s_cbranch_execz .LBB314_611
; %bb.604:                              ;   in Loop: Header=BB314_16 Depth=1
	v_bfrev_b32_e32 v0, 1
	s_mov_b32 s26, exec_lo
	buffer_store_dword v0, off, s[0:3], s32 offset:492 ; 4-byte Folded Spill
	v_cmpx_ne_u16_e32 0x80, v7
	s_cbranch_execz .LBB314_610
; %bb.605:                              ;   in Loop: Header=BB314_16 Depth=1
	v_mov_b32_e32 v0, 0x7f
	s_mov_b32 s27, exec_lo
	v_and_b32_sdwa v2, v7, v0 dst_sel:DWORD dst_unused:UNUSED_PAD src0_sel:WORD_0 src1_sel:DWORD
	v_mov_b32_e32 v0, 0x7c010000
	buffer_store_dword v0, off, s[0:3], s32 offset:492 ; 4-byte Folded Spill
	v_cmpx_ne_u32_e32 0x7f, v2
	s_cbranch_execz .LBB314_609
; %bb.606:                              ;   in Loop: Header=BB314_16 Depth=1
	v_mov_b32_e32 v0, 7
	v_lshrrev_b32_e32 v1, 3, v2
	s_mov_b32 s28, exec_lo
	v_and_b32_sdwa v0, v7, v0 dst_sel:DWORD dst_unused:UNUSED_PAD src0_sel:WORD_0 src1_sel:DWORD
	v_cmpx_gt_u32_e32 8, v2
; %bb.607:                              ;   in Loop: Header=BB314_16 Depth=1
	v_ffbh_u32_e32 v0, v0
	v_min_u32_e32 v2, 32, v0
	v_subrev_nc_u32_e32 v0, 28, v2
	v_lshlrev_b64 v[0:1], v0, v[7:8]
	v_sub_nc_u32_e32 v1, 29, v2
	v_and_b32_e32 v0, 7, v0
; %bb.608:                              ;   in Loop: Header=BB314_16 Depth=1
	s_or_b32 exec_lo, exec_lo, s28
	v_mov_b32_e32 v2, 8
	v_lshl_add_u32 v1, v1, 10, 0x2000
	v_lshlrev_b32_e32 v0, 23, v0
	v_lshlrev_b32_sdwa v2, v2, v7 dst_sel:DWORD dst_unused:UNUSED_PAD src0_sel:DWORD src1_sel:WORD_0
	v_and_or_b32 v1, 0x8000, v2, v1
	v_lshl_or_b32 v0, v1, 16, v0
	buffer_store_dword v0, off, s[0:3], s32 offset:492 ; 4-byte Folded Spill
.LBB314_609:                            ;   in Loop: Header=BB314_16 Depth=1
	s_or_b32 exec_lo, exec_lo, s27
.LBB314_610:                            ;   in Loop: Header=BB314_16 Depth=1
	s_or_b32 exec_lo, exec_lo, s26
.LBB314_611:                            ;   in Loop: Header=BB314_16 Depth=1
	s_or_b32 exec_lo, exec_lo, s25
	v_lshrrev_b32_e32 v7, 16, v35
	v_cmp_ne_u16_sdwa s5, v7, v8 src0_sel:BYTE_0 src1_sel:DWORD
	s_and_saveexec_b32 s25, s5
	s_cbranch_execz .LBB314_619
; %bb.612:                              ;   in Loop: Header=BB314_16 Depth=1
	v_cmp_ne_u16_sdwa s5, v7, v70 src0_sel:BYTE_0 src1_sel:DWORD
	v_mov_b32_e32 v0, 0x8000
	buffer_store_dword v0, off, s[0:3], s32 offset:496 ; 4-byte Folded Spill
	s_and_saveexec_b32 s26, s5
	s_cbranch_execz .LBB314_618
; %bb.613:                              ;   in Loop: Header=BB314_16 Depth=1
	v_bfe_u32 v2, v35, 16, 7
	v_mov_b32_e32 v0, 0x7c01
	s_mov_b32 s27, exec_lo
	buffer_store_dword v0, off, s[0:3], s32 offset:496 ; 4-byte Folded Spill
	v_cmpx_ne_u32_e32 0x7f, v2
	s_cbranch_execz .LBB314_617
; %bb.614:                              ;   in Loop: Header=BB314_16 Depth=1
	v_and_b32_e32 v0, 7, v7
	v_lshrrev_b32_e32 v1, 3, v2
	s_mov_b32 s28, exec_lo
	v_cmpx_gt_u32_e32 8, v2
; %bb.615:                              ;   in Loop: Header=BB314_16 Depth=1
	v_ffbh_u32_e32 v0, v0
	v_min_u32_e32 v2, 32, v0
	v_subrev_nc_u32_e32 v0, 28, v2
	v_lshlrev_b64 v[0:1], v0, v[7:8]
	v_sub_nc_u32_e32 v1, 29, v2
	v_and_b32_e32 v0, 7, v0
; %bb.616:                              ;   in Loop: Header=BB314_16 Depth=1
	s_or_b32 exec_lo, exec_lo, s28
	v_lshlrev_b32_e32 v2, 8, v7
	v_lshl_add_u32 v1, v1, 10, 0x2000
	v_lshlrev_b32_e32 v0, 7, v0
	v_and_b32_e32 v2, 0x8000, v2
	v_and_b32_e32 v1, 0xfc00, v1
	v_or3_b32 v0, v2, v1, v0
	buffer_store_dword v0, off, s[0:3], s32 offset:496 ; 4-byte Folded Spill
.LBB314_617:                            ;   in Loop: Header=BB314_16 Depth=1
	s_or_b32 exec_lo, exec_lo, s27
.LBB314_618:                            ;   in Loop: Header=BB314_16 Depth=1
	s_or_b32 exec_lo, exec_lo, s26
.LBB314_619:                            ;   in Loop: Header=BB314_16 Depth=1
	s_or_b32 exec_lo, exec_lo, s25
	v_mov_b32_e32 v0, 0
	s_mov_b32 s25, exec_lo
	buffer_store_dword v0, off, s[0:3], s32 offset:500 ; 4-byte Folded Spill
	v_mov_b32_e32 v0, 0
	buffer_store_dword v0, off, s[0:3], s32 offset:504 ; 4-byte Folded Spill
	v_cmpx_lt_u32_e32 0xffffff, v35
	s_cbranch_execz .LBB314_627
; %bb.620:                              ;   in Loop: Header=BB314_16 Depth=1
	v_lshrrev_b32_e32 v7, 24, v35
	v_bfrev_b32_e32 v0, 1
	s_mov_b32 s26, exec_lo
	buffer_store_dword v0, off, s[0:3], s32 offset:504 ; 4-byte Folded Spill
	v_cmpx_ne_u32_e32 0x80, v7
	s_cbranch_execz .LBB314_626
; %bb.621:                              ;   in Loop: Header=BB314_16 Depth=1
	v_and_b32_e32 v2, 0x7f, v7
	v_mov_b32_e32 v0, 0x7c010000
	s_mov_b32 s27, exec_lo
	buffer_store_dword v0, off, s[0:3], s32 offset:504 ; 4-byte Folded Spill
	v_cmpx_ne_u32_e32 0x7f, v2
	s_cbranch_execz .LBB314_625
; %bb.622:                              ;   in Loop: Header=BB314_16 Depth=1
	v_and_b32_e32 v0, 7, v7
	v_lshrrev_b32_e32 v1, 3, v2
	s_mov_b32 s28, exec_lo
	v_cmpx_gt_u32_e32 8, v2
; %bb.623:                              ;   in Loop: Header=BB314_16 Depth=1
	v_ffbh_u32_e32 v0, v0
	v_min_u32_e32 v2, 32, v0
	v_subrev_nc_u32_e32 v0, 28, v2
	v_lshlrev_b64 v[0:1], v0, v[7:8]
	v_sub_nc_u32_e32 v1, 29, v2
	v_and_b32_e32 v0, 7, v0
; %bb.624:                              ;   in Loop: Header=BB314_16 Depth=1
	s_or_b32 exec_lo, exec_lo, s28
	v_lshlrev_b32_e32 v2, 8, v7
	v_lshl_add_u32 v1, v1, 10, 0x2000
	v_lshlrev_b32_e32 v0, 23, v0
	v_and_or_b32 v1, 0x8000, v2, v1
	v_lshl_or_b32 v0, v1, 16, v0
	buffer_store_dword v0, off, s[0:3], s32 offset:504 ; 4-byte Folded Spill
.LBB314_625:                            ;   in Loop: Header=BB314_16 Depth=1
	s_or_b32 exec_lo, exec_lo, s27
.LBB314_626:                            ;   in Loop: Header=BB314_16 Depth=1
	s_or_b32 exec_lo, exec_lo, s26
.LBB314_627:                            ;   in Loop: Header=BB314_16 Depth=1
	s_or_b32 exec_lo, exec_lo, s25
	v_mov_b32_e32 v7, v36
	v_cmp_ne_u16_sdwa s5, v36, v8 src0_sel:BYTE_0 src1_sel:DWORD
	s_and_saveexec_b32 s25, s5
	s_cbranch_execz .LBB314_635
; %bb.628:                              ;   in Loop: Header=BB314_16 Depth=1
	v_cmp_ne_u16_sdwa s5, v36, v70 src0_sel:BYTE_0 src1_sel:DWORD
	v_mov_b32_e32 v0, 0x8000
	buffer_store_dword v0, off, s[0:3], s32 offset:500 ; 4-byte Folded Spill
	s_and_saveexec_b32 s26, s5
	s_cbranch_execz .LBB314_634
; %bb.629:                              ;   in Loop: Header=BB314_16 Depth=1
	v_and_b32_e32 v2, 0x7f, v36
	v_mov_b32_e32 v0, 0x7c01
	s_mov_b32 s27, exec_lo
	buffer_store_dword v0, off, s[0:3], s32 offset:500 ; 4-byte Folded Spill
	v_cmpx_ne_u32_e32 0x7f, v2
	s_cbranch_execz .LBB314_633
; %bb.630:                              ;   in Loop: Header=BB314_16 Depth=1
	v_and_b32_e32 v0, 7, v36
	v_lshrrev_b32_e32 v1, 3, v2
	s_mov_b32 s28, exec_lo
	v_cmpx_gt_u32_e32 8, v2
; %bb.631:                              ;   in Loop: Header=BB314_16 Depth=1
	v_ffbh_u32_e32 v0, v0
	v_min_u32_e32 v2, 32, v0
	v_subrev_nc_u32_e32 v0, 28, v2
	v_lshlrev_b64 v[0:1], v0, v[7:8]
	v_sub_nc_u32_e32 v1, 29, v2
	v_and_b32_e32 v0, 7, v0
; %bb.632:                              ;   in Loop: Header=BB314_16 Depth=1
	s_or_b32 exec_lo, exec_lo, s28
	v_lshlrev_b32_e32 v2, 8, v36
	v_lshl_add_u32 v1, v1, 10, 0x2000
	v_lshlrev_b32_e32 v0, 7, v0
	v_and_b32_e32 v2, 0x8000, v2
	v_and_b32_e32 v1, 0xfc00, v1
	v_or3_b32 v0, v2, v1, v0
	buffer_store_dword v0, off, s[0:3], s32 offset:500 ; 4-byte Folded Spill
.LBB314_633:                            ;   in Loop: Header=BB314_16 Depth=1
	s_or_b32 exec_lo, exec_lo, s27
.LBB314_634:                            ;   in Loop: Header=BB314_16 Depth=1
	s_or_b32 exec_lo, exec_lo, s26
.LBB314_635:                            ;   in Loop: Header=BB314_16 Depth=1
	s_or_b32 exec_lo, exec_lo, s25
	v_mov_b32_e32 v0, 0
	v_lshrrev_b16 v7, 8, v7
	s_mov_b32 s25, exec_lo
	buffer_store_dword v0, off, s[0:3], s32 offset:508 ; 4-byte Folded Spill
	v_mov_b32_e32 v0, 0
	buffer_store_dword v0, off, s[0:3], s32 offset:512 ; 4-byte Folded Spill
	v_cmpx_ne_u16_e32 0, v7
	s_cbranch_execz .LBB314_643
; %bb.636:                              ;   in Loop: Header=BB314_16 Depth=1
	v_bfrev_b32_e32 v0, 1
	s_mov_b32 s26, exec_lo
	buffer_store_dword v0, off, s[0:3], s32 offset:512 ; 4-byte Folded Spill
	v_cmpx_ne_u16_e32 0x80, v7
	s_cbranch_execz .LBB314_642
; %bb.637:                              ;   in Loop: Header=BB314_16 Depth=1
	v_mov_b32_e32 v0, 0x7f
	s_mov_b32 s27, exec_lo
	v_and_b32_sdwa v2, v7, v0 dst_sel:DWORD dst_unused:UNUSED_PAD src0_sel:WORD_0 src1_sel:DWORD
	v_mov_b32_e32 v0, 0x7c010000
	buffer_store_dword v0, off, s[0:3], s32 offset:512 ; 4-byte Folded Spill
	v_cmpx_ne_u32_e32 0x7f, v2
	s_cbranch_execz .LBB314_641
; %bb.638:                              ;   in Loop: Header=BB314_16 Depth=1
	v_mov_b32_e32 v0, 7
	v_lshrrev_b32_e32 v1, 3, v2
	s_mov_b32 s28, exec_lo
	v_and_b32_sdwa v0, v7, v0 dst_sel:DWORD dst_unused:UNUSED_PAD src0_sel:WORD_0 src1_sel:DWORD
	v_cmpx_gt_u32_e32 8, v2
; %bb.639:                              ;   in Loop: Header=BB314_16 Depth=1
	v_ffbh_u32_e32 v0, v0
	v_min_u32_e32 v2, 32, v0
	v_subrev_nc_u32_e32 v0, 28, v2
	v_lshlrev_b64 v[0:1], v0, v[7:8]
	v_sub_nc_u32_e32 v1, 29, v2
	v_and_b32_e32 v0, 7, v0
; %bb.640:                              ;   in Loop: Header=BB314_16 Depth=1
	s_or_b32 exec_lo, exec_lo, s28
	v_mov_b32_e32 v2, 8
	v_lshl_add_u32 v1, v1, 10, 0x2000
	v_lshlrev_b32_e32 v0, 23, v0
	v_lshlrev_b32_sdwa v2, v2, v7 dst_sel:DWORD dst_unused:UNUSED_PAD src0_sel:DWORD src1_sel:WORD_0
	v_and_or_b32 v1, 0x8000, v2, v1
	v_lshl_or_b32 v0, v1, 16, v0
	buffer_store_dword v0, off, s[0:3], s32 offset:512 ; 4-byte Folded Spill
.LBB314_641:                            ;   in Loop: Header=BB314_16 Depth=1
	s_or_b32 exec_lo, exec_lo, s27
.LBB314_642:                            ;   in Loop: Header=BB314_16 Depth=1
	s_or_b32 exec_lo, exec_lo, s26
.LBB314_643:                            ;   in Loop: Header=BB314_16 Depth=1
	s_or_b32 exec_lo, exec_lo, s25
	v_lshrrev_b32_e32 v7, 16, v36
	v_cmp_ne_u16_sdwa s5, v7, v8 src0_sel:BYTE_0 src1_sel:DWORD
	s_and_saveexec_b32 s25, s5
	s_cbranch_execz .LBB314_651
; %bb.644:                              ;   in Loop: Header=BB314_16 Depth=1
	v_cmp_ne_u16_sdwa s5, v7, v70 src0_sel:BYTE_0 src1_sel:DWORD
	v_mov_b32_e32 v0, 0x8000
	buffer_store_dword v0, off, s[0:3], s32 offset:508 ; 4-byte Folded Spill
	s_and_saveexec_b32 s26, s5
	s_cbranch_execz .LBB314_650
; %bb.645:                              ;   in Loop: Header=BB314_16 Depth=1
	v_bfe_u32 v2, v36, 16, 7
	v_mov_b32_e32 v0, 0x7c01
	s_mov_b32 s27, exec_lo
	buffer_store_dword v0, off, s[0:3], s32 offset:508 ; 4-byte Folded Spill
	v_cmpx_ne_u32_e32 0x7f, v2
	s_cbranch_execz .LBB314_649
; %bb.646:                              ;   in Loop: Header=BB314_16 Depth=1
	v_and_b32_e32 v0, 7, v7
	v_lshrrev_b32_e32 v1, 3, v2
	s_mov_b32 s28, exec_lo
	v_cmpx_gt_u32_e32 8, v2
; %bb.647:                              ;   in Loop: Header=BB314_16 Depth=1
	v_ffbh_u32_e32 v0, v0
	v_min_u32_e32 v2, 32, v0
	v_subrev_nc_u32_e32 v0, 28, v2
	v_lshlrev_b64 v[0:1], v0, v[7:8]
	v_sub_nc_u32_e32 v1, 29, v2
	v_and_b32_e32 v0, 7, v0
; %bb.648:                              ;   in Loop: Header=BB314_16 Depth=1
	s_or_b32 exec_lo, exec_lo, s28
	v_lshlrev_b32_e32 v2, 8, v7
	v_lshl_add_u32 v1, v1, 10, 0x2000
	v_lshlrev_b32_e32 v0, 7, v0
	v_and_b32_e32 v2, 0x8000, v2
	v_and_b32_e32 v1, 0xfc00, v1
	v_or3_b32 v0, v2, v1, v0
	buffer_store_dword v0, off, s[0:3], s32 offset:508 ; 4-byte Folded Spill
.LBB314_649:                            ;   in Loop: Header=BB314_16 Depth=1
	s_or_b32 exec_lo, exec_lo, s27
.LBB314_650:                            ;   in Loop: Header=BB314_16 Depth=1
	s_or_b32 exec_lo, exec_lo, s26
.LBB314_651:                            ;   in Loop: Header=BB314_16 Depth=1
	s_or_b32 exec_lo, exec_lo, s25
	v_mov_b32_e32 v0, 0
	s_mov_b32 s25, exec_lo
	buffer_store_dword v0, off, s[0:3], s32 offset:516 ; 4-byte Folded Spill
	v_mov_b32_e32 v0, 0
	buffer_store_dword v0, off, s[0:3], s32 offset:792 ; 4-byte Folded Spill
	v_cmpx_lt_u64_e64 s[20:21], v[35:36]
	s_cbranch_execz .LBB314_659
; %bb.652:                              ;   in Loop: Header=BB314_16 Depth=1
	v_lshrrev_b32_e32 v7, 24, v36
	v_bfrev_b32_e32 v0, 1
	s_mov_b32 s26, exec_lo
	v_cmpx_ne_u32_e32 0x80, v7
	s_cbranch_execz .LBB314_658
; %bb.653:                              ;   in Loop: Header=BB314_16 Depth=1
	v_and_b32_e32 v2, 0x7f, v7
	v_mov_b32_e32 v0, 0x7c010000
	s_mov_b32 s27, exec_lo
	v_cmpx_ne_u32_e32 0x7f, v2
	s_cbranch_execz .LBB314_657
; %bb.654:                              ;   in Loop: Header=BB314_16 Depth=1
	v_and_b32_e32 v0, 7, v7
	v_lshrrev_b32_e32 v1, 3, v2
	s_mov_b32 s28, exec_lo
	v_cmpx_gt_u32_e32 8, v2
; %bb.655:                              ;   in Loop: Header=BB314_16 Depth=1
	v_ffbh_u32_e32 v0, v0
	v_min_u32_e32 v2, 32, v0
	v_subrev_nc_u32_e32 v0, 28, v2
	v_lshlrev_b64 v[0:1], v0, v[7:8]
	v_sub_nc_u32_e32 v1, 29, v2
	v_and_b32_e32 v0, 7, v0
; %bb.656:                              ;   in Loop: Header=BB314_16 Depth=1
	s_or_b32 exec_lo, exec_lo, s28
	v_lshlrev_b32_e32 v2, 8, v7
	v_lshl_add_u32 v1, v1, 10, 0x2000
	v_lshlrev_b32_e32 v0, 23, v0
	v_and_or_b32 v1, 0x8000, v2, v1
	v_lshl_or_b32 v0, v1, 16, v0
.LBB314_657:                            ;   in Loop: Header=BB314_16 Depth=1
	s_or_b32 exec_lo, exec_lo, s27
.LBB314_658:                            ;   in Loop: Header=BB314_16 Depth=1
	s_or_b32 exec_lo, exec_lo, s26
	buffer_store_dword v0, off, s[0:3], s32 offset:792 ; 4-byte Folded Spill
.LBB314_659:                            ;   in Loop: Header=BB314_16 Depth=1
	s_or_b32 exec_lo, exec_lo, s25
	flat_load_dwordx2 v[35:36], v[33:34] offset:512
	s_waitcnt vmcnt(0) lgkmcnt(0)
	v_cmp_ne_u16_sdwa s5, v35, v8 src0_sel:BYTE_0 src1_sel:DWORD
	s_and_saveexec_b32 s25, s5
	s_cbranch_execz .LBB314_667
; %bb.660:                              ;   in Loop: Header=BB314_16 Depth=1
	v_cmp_ne_u16_sdwa s5, v35, v70 src0_sel:BYTE_0 src1_sel:DWORD
	v_mov_b32_e32 v0, 0x8000
	buffer_store_dword v0, off, s[0:3], s32 offset:516 ; 4-byte Folded Spill
	s_and_saveexec_b32 s26, s5
	s_cbranch_execz .LBB314_666
; %bb.661:                              ;   in Loop: Header=BB314_16 Depth=1
	v_and_b32_e32 v2, 0x7f, v35
	v_mov_b32_e32 v0, 0x7c01
	s_mov_b32 s27, exec_lo
	buffer_store_dword v0, off, s[0:3], s32 offset:516 ; 4-byte Folded Spill
	v_cmpx_ne_u32_e32 0x7f, v2
	s_cbranch_execz .LBB314_665
; %bb.662:                              ;   in Loop: Header=BB314_16 Depth=1
	v_and_b32_e32 v0, 7, v35
	v_lshrrev_b32_e32 v1, 3, v2
	s_mov_b32 s28, exec_lo
	v_cmpx_gt_u32_e32 8, v2
; %bb.663:                              ;   in Loop: Header=BB314_16 Depth=1
	v_ffbh_u32_e32 v0, v0
	v_min_u32_e32 v2, 32, v0
	v_subrev_nc_u32_e32 v0, 28, v2
	v_lshlrev_b64 v[0:1], v0, v[35:36]
	v_sub_nc_u32_e32 v1, 29, v2
	v_and_b32_e32 v0, 7, v0
; %bb.664:                              ;   in Loop: Header=BB314_16 Depth=1
	s_or_b32 exec_lo, exec_lo, s28
	v_lshlrev_b32_e32 v2, 8, v35
	v_lshl_add_u32 v1, v1, 10, 0x2000
	v_lshlrev_b32_e32 v0, 7, v0
	v_and_b32_e32 v2, 0x8000, v2
	v_and_b32_e32 v1, 0xfc00, v1
	v_or3_b32 v0, v2, v1, v0
	buffer_store_dword v0, off, s[0:3], s32 offset:516 ; 4-byte Folded Spill
.LBB314_665:                            ;   in Loop: Header=BB314_16 Depth=1
	s_or_b32 exec_lo, exec_lo, s27
.LBB314_666:                            ;   in Loop: Header=BB314_16 Depth=1
	s_or_b32 exec_lo, exec_lo, s26
.LBB314_667:                            ;   in Loop: Header=BB314_16 Depth=1
	s_or_b32 exec_lo, exec_lo, s25
	v_mov_b32_e32 v0, 0
	v_lshrrev_b16 v7, 8, v35
	s_mov_b32 s25, exec_lo
	buffer_store_dword v0, off, s[0:3], s32 offset:524 ; 4-byte Folded Spill
	v_mov_b32_e32 v0, 0
	buffer_store_dword v0, off, s[0:3], s32 offset:520 ; 4-byte Folded Spill
	v_cmpx_ne_u16_e32 0, v7
	s_cbranch_execz .LBB314_675
; %bb.668:                              ;   in Loop: Header=BB314_16 Depth=1
	v_bfrev_b32_e32 v0, 1
	s_mov_b32 s26, exec_lo
	buffer_store_dword v0, off, s[0:3], s32 offset:520 ; 4-byte Folded Spill
	v_cmpx_ne_u16_e32 0x80, v7
	s_cbranch_execz .LBB314_674
; %bb.669:                              ;   in Loop: Header=BB314_16 Depth=1
	v_mov_b32_e32 v0, 0x7f
	s_mov_b32 s27, exec_lo
	v_and_b32_sdwa v2, v7, v0 dst_sel:DWORD dst_unused:UNUSED_PAD src0_sel:WORD_0 src1_sel:DWORD
	v_mov_b32_e32 v0, 0x7c010000
	buffer_store_dword v0, off, s[0:3], s32 offset:520 ; 4-byte Folded Spill
	v_cmpx_ne_u32_e32 0x7f, v2
	s_cbranch_execz .LBB314_673
; %bb.670:                              ;   in Loop: Header=BB314_16 Depth=1
	v_mov_b32_e32 v0, 7
	v_lshrrev_b32_e32 v1, 3, v2
	s_mov_b32 s28, exec_lo
	v_and_b32_sdwa v0, v7, v0 dst_sel:DWORD dst_unused:UNUSED_PAD src0_sel:WORD_0 src1_sel:DWORD
	v_cmpx_gt_u32_e32 8, v2
; %bb.671:                              ;   in Loop: Header=BB314_16 Depth=1
	v_ffbh_u32_e32 v0, v0
	v_min_u32_e32 v2, 32, v0
	v_subrev_nc_u32_e32 v0, 28, v2
	v_lshlrev_b64 v[0:1], v0, v[7:8]
	v_sub_nc_u32_e32 v1, 29, v2
	v_and_b32_e32 v0, 7, v0
; %bb.672:                              ;   in Loop: Header=BB314_16 Depth=1
	s_or_b32 exec_lo, exec_lo, s28
	v_mov_b32_e32 v2, 8
	v_lshl_add_u32 v1, v1, 10, 0x2000
	v_lshlrev_b32_e32 v0, 23, v0
	v_lshlrev_b32_sdwa v2, v2, v7 dst_sel:DWORD dst_unused:UNUSED_PAD src0_sel:DWORD src1_sel:WORD_0
	v_and_or_b32 v1, 0x8000, v2, v1
	v_lshl_or_b32 v0, v1, 16, v0
	buffer_store_dword v0, off, s[0:3], s32 offset:520 ; 4-byte Folded Spill
.LBB314_673:                            ;   in Loop: Header=BB314_16 Depth=1
	s_or_b32 exec_lo, exec_lo, s27
.LBB314_674:                            ;   in Loop: Header=BB314_16 Depth=1
	s_or_b32 exec_lo, exec_lo, s26
.LBB314_675:                            ;   in Loop: Header=BB314_16 Depth=1
	s_or_b32 exec_lo, exec_lo, s25
	v_lshrrev_b32_e32 v7, 16, v35
	v_cmp_ne_u16_sdwa s5, v7, v8 src0_sel:BYTE_0 src1_sel:DWORD
	s_and_saveexec_b32 s25, s5
	s_cbranch_execz .LBB314_683
; %bb.676:                              ;   in Loop: Header=BB314_16 Depth=1
	v_cmp_ne_u16_sdwa s5, v7, v70 src0_sel:BYTE_0 src1_sel:DWORD
	v_mov_b32_e32 v0, 0x8000
	buffer_store_dword v0, off, s[0:3], s32 offset:524 ; 4-byte Folded Spill
	s_and_saveexec_b32 s26, s5
	s_cbranch_execz .LBB314_682
; %bb.677:                              ;   in Loop: Header=BB314_16 Depth=1
	v_bfe_u32 v2, v35, 16, 7
	v_mov_b32_e32 v0, 0x7c01
	s_mov_b32 s27, exec_lo
	buffer_store_dword v0, off, s[0:3], s32 offset:524 ; 4-byte Folded Spill
	v_cmpx_ne_u32_e32 0x7f, v2
	s_cbranch_execz .LBB314_681
; %bb.678:                              ;   in Loop: Header=BB314_16 Depth=1
	v_and_b32_e32 v0, 7, v7
	v_lshrrev_b32_e32 v1, 3, v2
	s_mov_b32 s28, exec_lo
	v_cmpx_gt_u32_e32 8, v2
; %bb.679:                              ;   in Loop: Header=BB314_16 Depth=1
	v_ffbh_u32_e32 v0, v0
	v_min_u32_e32 v2, 32, v0
	v_subrev_nc_u32_e32 v0, 28, v2
	v_lshlrev_b64 v[0:1], v0, v[7:8]
	v_sub_nc_u32_e32 v1, 29, v2
	v_and_b32_e32 v0, 7, v0
; %bb.680:                              ;   in Loop: Header=BB314_16 Depth=1
	s_or_b32 exec_lo, exec_lo, s28
	v_lshlrev_b32_e32 v2, 8, v7
	v_lshl_add_u32 v1, v1, 10, 0x2000
	v_lshlrev_b32_e32 v0, 7, v0
	v_and_b32_e32 v2, 0x8000, v2
	v_and_b32_e32 v1, 0xfc00, v1
	v_or3_b32 v0, v2, v1, v0
	buffer_store_dword v0, off, s[0:3], s32 offset:524 ; 4-byte Folded Spill
.LBB314_681:                            ;   in Loop: Header=BB314_16 Depth=1
	s_or_b32 exec_lo, exec_lo, s27
.LBB314_682:                            ;   in Loop: Header=BB314_16 Depth=1
	s_or_b32 exec_lo, exec_lo, s26
.LBB314_683:                            ;   in Loop: Header=BB314_16 Depth=1
	s_or_b32 exec_lo, exec_lo, s25
	v_mov_b32_e32 v0, 0
	s_mov_b32 s25, exec_lo
	buffer_store_dword v0, off, s[0:3], s32 offset:528 ; 4-byte Folded Spill
	v_mov_b32_e32 v0, 0
	buffer_store_dword v0, off, s[0:3], s32 offset:532 ; 4-byte Folded Spill
	v_cmpx_lt_u32_e32 0xffffff, v35
	s_cbranch_execz .LBB314_691
; %bb.684:                              ;   in Loop: Header=BB314_16 Depth=1
	v_lshrrev_b32_e32 v7, 24, v35
	v_bfrev_b32_e32 v0, 1
	s_mov_b32 s26, exec_lo
	buffer_store_dword v0, off, s[0:3], s32 offset:532 ; 4-byte Folded Spill
	v_cmpx_ne_u32_e32 0x80, v7
	s_cbranch_execz .LBB314_690
; %bb.685:                              ;   in Loop: Header=BB314_16 Depth=1
	v_and_b32_e32 v2, 0x7f, v7
	v_mov_b32_e32 v0, 0x7c010000
	s_mov_b32 s27, exec_lo
	buffer_store_dword v0, off, s[0:3], s32 offset:532 ; 4-byte Folded Spill
	v_cmpx_ne_u32_e32 0x7f, v2
	s_cbranch_execz .LBB314_689
; %bb.686:                              ;   in Loop: Header=BB314_16 Depth=1
	v_and_b32_e32 v0, 7, v7
	v_lshrrev_b32_e32 v1, 3, v2
	s_mov_b32 s28, exec_lo
	v_cmpx_gt_u32_e32 8, v2
; %bb.687:                              ;   in Loop: Header=BB314_16 Depth=1
	v_ffbh_u32_e32 v0, v0
	v_min_u32_e32 v2, 32, v0
	v_subrev_nc_u32_e32 v0, 28, v2
	v_lshlrev_b64 v[0:1], v0, v[7:8]
	v_sub_nc_u32_e32 v1, 29, v2
	v_and_b32_e32 v0, 7, v0
; %bb.688:                              ;   in Loop: Header=BB314_16 Depth=1
	s_or_b32 exec_lo, exec_lo, s28
	v_lshlrev_b32_e32 v2, 8, v7
	v_lshl_add_u32 v1, v1, 10, 0x2000
	v_lshlrev_b32_e32 v0, 23, v0
	v_and_or_b32 v1, 0x8000, v2, v1
	v_lshl_or_b32 v0, v1, 16, v0
	buffer_store_dword v0, off, s[0:3], s32 offset:532 ; 4-byte Folded Spill
.LBB314_689:                            ;   in Loop: Header=BB314_16 Depth=1
	s_or_b32 exec_lo, exec_lo, s27
.LBB314_690:                            ;   in Loop: Header=BB314_16 Depth=1
	s_or_b32 exec_lo, exec_lo, s26
.LBB314_691:                            ;   in Loop: Header=BB314_16 Depth=1
	s_or_b32 exec_lo, exec_lo, s25
	v_mov_b32_e32 v7, v36
	v_cmp_ne_u16_sdwa s5, v36, v8 src0_sel:BYTE_0 src1_sel:DWORD
	s_and_saveexec_b32 s25, s5
	s_cbranch_execz .LBB314_699
; %bb.692:                              ;   in Loop: Header=BB314_16 Depth=1
	v_cmp_ne_u16_sdwa s5, v36, v70 src0_sel:BYTE_0 src1_sel:DWORD
	v_mov_b32_e32 v0, 0x8000
	buffer_store_dword v0, off, s[0:3], s32 offset:528 ; 4-byte Folded Spill
	s_and_saveexec_b32 s26, s5
	s_cbranch_execz .LBB314_698
; %bb.693:                              ;   in Loop: Header=BB314_16 Depth=1
	v_and_b32_e32 v2, 0x7f, v36
	v_mov_b32_e32 v0, 0x7c01
	s_mov_b32 s27, exec_lo
	buffer_store_dword v0, off, s[0:3], s32 offset:528 ; 4-byte Folded Spill
	v_cmpx_ne_u32_e32 0x7f, v2
	s_cbranch_execz .LBB314_697
; %bb.694:                              ;   in Loop: Header=BB314_16 Depth=1
	v_and_b32_e32 v0, 7, v36
	v_lshrrev_b32_e32 v1, 3, v2
	s_mov_b32 s28, exec_lo
	v_cmpx_gt_u32_e32 8, v2
; %bb.695:                              ;   in Loop: Header=BB314_16 Depth=1
	v_ffbh_u32_e32 v0, v0
	v_min_u32_e32 v2, 32, v0
	v_subrev_nc_u32_e32 v0, 28, v2
	v_lshlrev_b64 v[0:1], v0, v[7:8]
	v_sub_nc_u32_e32 v1, 29, v2
	v_and_b32_e32 v0, 7, v0
; %bb.696:                              ;   in Loop: Header=BB314_16 Depth=1
	s_or_b32 exec_lo, exec_lo, s28
	v_lshlrev_b32_e32 v2, 8, v36
	v_lshl_add_u32 v1, v1, 10, 0x2000
	v_lshlrev_b32_e32 v0, 7, v0
	v_and_b32_e32 v2, 0x8000, v2
	v_and_b32_e32 v1, 0xfc00, v1
	v_or3_b32 v0, v2, v1, v0
	buffer_store_dword v0, off, s[0:3], s32 offset:528 ; 4-byte Folded Spill
.LBB314_697:                            ;   in Loop: Header=BB314_16 Depth=1
	s_or_b32 exec_lo, exec_lo, s27
.LBB314_698:                            ;   in Loop: Header=BB314_16 Depth=1
	s_or_b32 exec_lo, exec_lo, s26
.LBB314_699:                            ;   in Loop: Header=BB314_16 Depth=1
	s_or_b32 exec_lo, exec_lo, s25
	v_mov_b32_e32 v0, 0
	v_lshrrev_b16 v7, 8, v7
	s_mov_b32 s25, exec_lo
	buffer_store_dword v0, off, s[0:3], s32 offset:536 ; 4-byte Folded Spill
	v_mov_b32_e32 v0, 0
	buffer_store_dword v0, off, s[0:3], s32 offset:540 ; 4-byte Folded Spill
	v_cmpx_ne_u16_e32 0, v7
	s_cbranch_execz .LBB314_707
; %bb.700:                              ;   in Loop: Header=BB314_16 Depth=1
	v_bfrev_b32_e32 v0, 1
	s_mov_b32 s26, exec_lo
	buffer_store_dword v0, off, s[0:3], s32 offset:540 ; 4-byte Folded Spill
	v_cmpx_ne_u16_e32 0x80, v7
	s_cbranch_execz .LBB314_706
; %bb.701:                              ;   in Loop: Header=BB314_16 Depth=1
	v_mov_b32_e32 v0, 0x7f
	s_mov_b32 s27, exec_lo
	v_and_b32_sdwa v2, v7, v0 dst_sel:DWORD dst_unused:UNUSED_PAD src0_sel:WORD_0 src1_sel:DWORD
	v_mov_b32_e32 v0, 0x7c010000
	buffer_store_dword v0, off, s[0:3], s32 offset:540 ; 4-byte Folded Spill
	v_cmpx_ne_u32_e32 0x7f, v2
	s_cbranch_execz .LBB314_705
; %bb.702:                              ;   in Loop: Header=BB314_16 Depth=1
	v_mov_b32_e32 v0, 7
	v_lshrrev_b32_e32 v1, 3, v2
	s_mov_b32 s28, exec_lo
	v_and_b32_sdwa v0, v7, v0 dst_sel:DWORD dst_unused:UNUSED_PAD src0_sel:WORD_0 src1_sel:DWORD
	v_cmpx_gt_u32_e32 8, v2
; %bb.703:                              ;   in Loop: Header=BB314_16 Depth=1
	v_ffbh_u32_e32 v0, v0
	v_min_u32_e32 v2, 32, v0
	v_subrev_nc_u32_e32 v0, 28, v2
	v_lshlrev_b64 v[0:1], v0, v[7:8]
	v_sub_nc_u32_e32 v1, 29, v2
	v_and_b32_e32 v0, 7, v0
; %bb.704:                              ;   in Loop: Header=BB314_16 Depth=1
	s_or_b32 exec_lo, exec_lo, s28
	v_mov_b32_e32 v2, 8
	v_lshl_add_u32 v1, v1, 10, 0x2000
	v_lshlrev_b32_e32 v0, 23, v0
	v_lshlrev_b32_sdwa v2, v2, v7 dst_sel:DWORD dst_unused:UNUSED_PAD src0_sel:DWORD src1_sel:WORD_0
	v_and_or_b32 v1, 0x8000, v2, v1
	v_lshl_or_b32 v0, v1, 16, v0
	buffer_store_dword v0, off, s[0:3], s32 offset:540 ; 4-byte Folded Spill
.LBB314_705:                            ;   in Loop: Header=BB314_16 Depth=1
	s_or_b32 exec_lo, exec_lo, s27
.LBB314_706:                            ;   in Loop: Header=BB314_16 Depth=1
	s_or_b32 exec_lo, exec_lo, s26
.LBB314_707:                            ;   in Loop: Header=BB314_16 Depth=1
	s_or_b32 exec_lo, exec_lo, s25
	v_lshrrev_b32_e32 v7, 16, v36
	v_cmp_ne_u16_sdwa s5, v7, v8 src0_sel:BYTE_0 src1_sel:DWORD
	s_and_saveexec_b32 s25, s5
	s_cbranch_execz .LBB314_715
; %bb.708:                              ;   in Loop: Header=BB314_16 Depth=1
	v_cmp_ne_u16_sdwa s5, v7, v70 src0_sel:BYTE_0 src1_sel:DWORD
	v_mov_b32_e32 v0, 0x8000
	buffer_store_dword v0, off, s[0:3], s32 offset:536 ; 4-byte Folded Spill
	s_and_saveexec_b32 s26, s5
	s_cbranch_execz .LBB314_714
; %bb.709:                              ;   in Loop: Header=BB314_16 Depth=1
	v_bfe_u32 v2, v36, 16, 7
	v_mov_b32_e32 v0, 0x7c01
	s_mov_b32 s27, exec_lo
	buffer_store_dword v0, off, s[0:3], s32 offset:536 ; 4-byte Folded Spill
	v_cmpx_ne_u32_e32 0x7f, v2
	s_cbranch_execz .LBB314_713
; %bb.710:                              ;   in Loop: Header=BB314_16 Depth=1
	v_and_b32_e32 v0, 7, v7
	v_lshrrev_b32_e32 v1, 3, v2
	s_mov_b32 s28, exec_lo
	v_cmpx_gt_u32_e32 8, v2
; %bb.711:                              ;   in Loop: Header=BB314_16 Depth=1
	v_ffbh_u32_e32 v0, v0
	v_min_u32_e32 v2, 32, v0
	v_subrev_nc_u32_e32 v0, 28, v2
	v_lshlrev_b64 v[0:1], v0, v[7:8]
	v_sub_nc_u32_e32 v1, 29, v2
	v_and_b32_e32 v0, 7, v0
; %bb.712:                              ;   in Loop: Header=BB314_16 Depth=1
	s_or_b32 exec_lo, exec_lo, s28
	v_lshlrev_b32_e32 v2, 8, v7
	v_lshl_add_u32 v1, v1, 10, 0x2000
	v_lshlrev_b32_e32 v0, 7, v0
	v_and_b32_e32 v2, 0x8000, v2
	v_and_b32_e32 v1, 0xfc00, v1
	v_or3_b32 v0, v2, v1, v0
	buffer_store_dword v0, off, s[0:3], s32 offset:536 ; 4-byte Folded Spill
.LBB314_713:                            ;   in Loop: Header=BB314_16 Depth=1
	s_or_b32 exec_lo, exec_lo, s27
.LBB314_714:                            ;   in Loop: Header=BB314_16 Depth=1
	s_or_b32 exec_lo, exec_lo, s26
.LBB314_715:                            ;   in Loop: Header=BB314_16 Depth=1
	s_or_b32 exec_lo, exec_lo, s25
	v_mov_b32_e32 v0, 0
	s_mov_b32 s25, exec_lo
	buffer_store_dword v0, off, s[0:3], s32 offset:544 ; 4-byte Folded Spill
	v_mov_b32_e32 v0, 0
	buffer_store_dword v0, off, s[0:3], s32 offset:796 ; 4-byte Folded Spill
	v_cmpx_lt_u64_e64 s[20:21], v[35:36]
	s_cbranch_execz .LBB314_723
; %bb.716:                              ;   in Loop: Header=BB314_16 Depth=1
	v_lshrrev_b32_e32 v7, 24, v36
	v_bfrev_b32_e32 v0, 1
	s_mov_b32 s26, exec_lo
	v_cmpx_ne_u32_e32 0x80, v7
	s_cbranch_execz .LBB314_722
; %bb.717:                              ;   in Loop: Header=BB314_16 Depth=1
	v_and_b32_e32 v2, 0x7f, v7
	v_mov_b32_e32 v0, 0x7c010000
	s_mov_b32 s27, exec_lo
	v_cmpx_ne_u32_e32 0x7f, v2
	s_cbranch_execz .LBB314_721
; %bb.718:                              ;   in Loop: Header=BB314_16 Depth=1
	v_and_b32_e32 v0, 7, v7
	v_lshrrev_b32_e32 v1, 3, v2
	s_mov_b32 s28, exec_lo
	v_cmpx_gt_u32_e32 8, v2
; %bb.719:                              ;   in Loop: Header=BB314_16 Depth=1
	v_ffbh_u32_e32 v0, v0
	v_min_u32_e32 v2, 32, v0
	v_subrev_nc_u32_e32 v0, 28, v2
	v_lshlrev_b64 v[0:1], v0, v[7:8]
	v_sub_nc_u32_e32 v1, 29, v2
	v_and_b32_e32 v0, 7, v0
; %bb.720:                              ;   in Loop: Header=BB314_16 Depth=1
	s_or_b32 exec_lo, exec_lo, s28
	v_lshlrev_b32_e32 v2, 8, v7
	v_lshl_add_u32 v1, v1, 10, 0x2000
	v_lshlrev_b32_e32 v0, 23, v0
	v_and_or_b32 v1, 0x8000, v2, v1
	v_lshl_or_b32 v0, v1, 16, v0
.LBB314_721:                            ;   in Loop: Header=BB314_16 Depth=1
	s_or_b32 exec_lo, exec_lo, s27
.LBB314_722:                            ;   in Loop: Header=BB314_16 Depth=1
	s_or_b32 exec_lo, exec_lo, s26
	buffer_store_dword v0, off, s[0:3], s32 offset:796 ; 4-byte Folded Spill
.LBB314_723:                            ;   in Loop: Header=BB314_16 Depth=1
	s_or_b32 exec_lo, exec_lo, s25
	flat_load_dwordx2 v[35:36], v[33:34] offset:520
	s_waitcnt vmcnt(0) lgkmcnt(0)
	v_cmp_ne_u16_sdwa s5, v35, v8 src0_sel:BYTE_0 src1_sel:DWORD
	s_and_saveexec_b32 s25, s5
	s_cbranch_execz .LBB314_731
; %bb.724:                              ;   in Loop: Header=BB314_16 Depth=1
	v_cmp_ne_u16_sdwa s5, v35, v70 src0_sel:BYTE_0 src1_sel:DWORD
	v_mov_b32_e32 v0, 0x8000
	buffer_store_dword v0, off, s[0:3], s32 offset:544 ; 4-byte Folded Spill
	s_and_saveexec_b32 s26, s5
	s_cbranch_execz .LBB314_730
; %bb.725:                              ;   in Loop: Header=BB314_16 Depth=1
	v_and_b32_e32 v2, 0x7f, v35
	v_mov_b32_e32 v0, 0x7c01
	s_mov_b32 s27, exec_lo
	buffer_store_dword v0, off, s[0:3], s32 offset:544 ; 4-byte Folded Spill
	v_cmpx_ne_u32_e32 0x7f, v2
	s_cbranch_execz .LBB314_729
; %bb.726:                              ;   in Loop: Header=BB314_16 Depth=1
	v_and_b32_e32 v0, 7, v35
	v_lshrrev_b32_e32 v1, 3, v2
	s_mov_b32 s28, exec_lo
	v_cmpx_gt_u32_e32 8, v2
; %bb.727:                              ;   in Loop: Header=BB314_16 Depth=1
	v_ffbh_u32_e32 v0, v0
	v_min_u32_e32 v2, 32, v0
	v_subrev_nc_u32_e32 v0, 28, v2
	v_lshlrev_b64 v[0:1], v0, v[35:36]
	v_sub_nc_u32_e32 v1, 29, v2
	v_and_b32_e32 v0, 7, v0
; %bb.728:                              ;   in Loop: Header=BB314_16 Depth=1
	s_or_b32 exec_lo, exec_lo, s28
	v_lshlrev_b32_e32 v2, 8, v35
	v_lshl_add_u32 v1, v1, 10, 0x2000
	v_lshlrev_b32_e32 v0, 7, v0
	v_and_b32_e32 v2, 0x8000, v2
	v_and_b32_e32 v1, 0xfc00, v1
	v_or3_b32 v0, v2, v1, v0
	buffer_store_dword v0, off, s[0:3], s32 offset:544 ; 4-byte Folded Spill
.LBB314_729:                            ;   in Loop: Header=BB314_16 Depth=1
	s_or_b32 exec_lo, exec_lo, s27
.LBB314_730:                            ;   in Loop: Header=BB314_16 Depth=1
	s_or_b32 exec_lo, exec_lo, s26
.LBB314_731:                            ;   in Loop: Header=BB314_16 Depth=1
	s_or_b32 exec_lo, exec_lo, s25
	v_mov_b32_e32 v0, 0
	v_lshrrev_b16 v7, 8, v35
	s_mov_b32 s25, exec_lo
	buffer_store_dword v0, off, s[0:3], s32 offset:552 ; 4-byte Folded Spill
	v_mov_b32_e32 v0, 0
	buffer_store_dword v0, off, s[0:3], s32 offset:548 ; 4-byte Folded Spill
	v_cmpx_ne_u16_e32 0, v7
	s_cbranch_execz .LBB314_739
; %bb.732:                              ;   in Loop: Header=BB314_16 Depth=1
	v_bfrev_b32_e32 v0, 1
	s_mov_b32 s26, exec_lo
	buffer_store_dword v0, off, s[0:3], s32 offset:548 ; 4-byte Folded Spill
	v_cmpx_ne_u16_e32 0x80, v7
	s_cbranch_execz .LBB314_738
; %bb.733:                              ;   in Loop: Header=BB314_16 Depth=1
	v_mov_b32_e32 v0, 0x7f
	s_mov_b32 s27, exec_lo
	v_and_b32_sdwa v2, v7, v0 dst_sel:DWORD dst_unused:UNUSED_PAD src0_sel:WORD_0 src1_sel:DWORD
	v_mov_b32_e32 v0, 0x7c010000
	buffer_store_dword v0, off, s[0:3], s32 offset:548 ; 4-byte Folded Spill
	v_cmpx_ne_u32_e32 0x7f, v2
	s_cbranch_execz .LBB314_737
; %bb.734:                              ;   in Loop: Header=BB314_16 Depth=1
	v_mov_b32_e32 v0, 7
	v_lshrrev_b32_e32 v1, 3, v2
	s_mov_b32 s28, exec_lo
	v_and_b32_sdwa v0, v7, v0 dst_sel:DWORD dst_unused:UNUSED_PAD src0_sel:WORD_0 src1_sel:DWORD
	v_cmpx_gt_u32_e32 8, v2
; %bb.735:                              ;   in Loop: Header=BB314_16 Depth=1
	v_ffbh_u32_e32 v0, v0
	v_min_u32_e32 v2, 32, v0
	v_subrev_nc_u32_e32 v0, 28, v2
	v_lshlrev_b64 v[0:1], v0, v[7:8]
	v_sub_nc_u32_e32 v1, 29, v2
	v_and_b32_e32 v0, 7, v0
; %bb.736:                              ;   in Loop: Header=BB314_16 Depth=1
	s_or_b32 exec_lo, exec_lo, s28
	v_mov_b32_e32 v2, 8
	v_lshl_add_u32 v1, v1, 10, 0x2000
	v_lshlrev_b32_e32 v0, 23, v0
	v_lshlrev_b32_sdwa v2, v2, v7 dst_sel:DWORD dst_unused:UNUSED_PAD src0_sel:DWORD src1_sel:WORD_0
	v_and_or_b32 v1, 0x8000, v2, v1
	v_lshl_or_b32 v0, v1, 16, v0
	buffer_store_dword v0, off, s[0:3], s32 offset:548 ; 4-byte Folded Spill
.LBB314_737:                            ;   in Loop: Header=BB314_16 Depth=1
	s_or_b32 exec_lo, exec_lo, s27
.LBB314_738:                            ;   in Loop: Header=BB314_16 Depth=1
	s_or_b32 exec_lo, exec_lo, s26
.LBB314_739:                            ;   in Loop: Header=BB314_16 Depth=1
	s_or_b32 exec_lo, exec_lo, s25
	v_lshrrev_b32_e32 v7, 16, v35
	v_cmp_ne_u16_sdwa s5, v7, v8 src0_sel:BYTE_0 src1_sel:DWORD
	s_and_saveexec_b32 s25, s5
	s_cbranch_execz .LBB314_747
; %bb.740:                              ;   in Loop: Header=BB314_16 Depth=1
	v_cmp_ne_u16_sdwa s5, v7, v70 src0_sel:BYTE_0 src1_sel:DWORD
	v_mov_b32_e32 v0, 0x8000
	buffer_store_dword v0, off, s[0:3], s32 offset:552 ; 4-byte Folded Spill
	s_and_saveexec_b32 s26, s5
	s_cbranch_execz .LBB314_746
; %bb.741:                              ;   in Loop: Header=BB314_16 Depth=1
	v_bfe_u32 v2, v35, 16, 7
	v_mov_b32_e32 v0, 0x7c01
	s_mov_b32 s27, exec_lo
	buffer_store_dword v0, off, s[0:3], s32 offset:552 ; 4-byte Folded Spill
	v_cmpx_ne_u32_e32 0x7f, v2
	s_cbranch_execz .LBB314_745
; %bb.742:                              ;   in Loop: Header=BB314_16 Depth=1
	v_and_b32_e32 v0, 7, v7
	v_lshrrev_b32_e32 v1, 3, v2
	s_mov_b32 s28, exec_lo
	v_cmpx_gt_u32_e32 8, v2
; %bb.743:                              ;   in Loop: Header=BB314_16 Depth=1
	v_ffbh_u32_e32 v0, v0
	v_min_u32_e32 v2, 32, v0
	v_subrev_nc_u32_e32 v0, 28, v2
	v_lshlrev_b64 v[0:1], v0, v[7:8]
	v_sub_nc_u32_e32 v1, 29, v2
	v_and_b32_e32 v0, 7, v0
; %bb.744:                              ;   in Loop: Header=BB314_16 Depth=1
	s_or_b32 exec_lo, exec_lo, s28
	v_lshlrev_b32_e32 v2, 8, v7
	v_lshl_add_u32 v1, v1, 10, 0x2000
	v_lshlrev_b32_e32 v0, 7, v0
	v_and_b32_e32 v2, 0x8000, v2
	v_and_b32_e32 v1, 0xfc00, v1
	v_or3_b32 v0, v2, v1, v0
	buffer_store_dword v0, off, s[0:3], s32 offset:552 ; 4-byte Folded Spill
.LBB314_745:                            ;   in Loop: Header=BB314_16 Depth=1
	s_or_b32 exec_lo, exec_lo, s27
.LBB314_746:                            ;   in Loop: Header=BB314_16 Depth=1
	s_or_b32 exec_lo, exec_lo, s26
.LBB314_747:                            ;   in Loop: Header=BB314_16 Depth=1
	s_or_b32 exec_lo, exec_lo, s25
	v_mov_b32_e32 v0, 0
	s_mov_b32 s25, exec_lo
	buffer_store_dword v0, off, s[0:3], s32 offset:556 ; 4-byte Folded Spill
	v_mov_b32_e32 v0, 0
	buffer_store_dword v0, off, s[0:3], s32 offset:560 ; 4-byte Folded Spill
	v_cmpx_lt_u32_e32 0xffffff, v35
	s_cbranch_execz .LBB314_755
; %bb.748:                              ;   in Loop: Header=BB314_16 Depth=1
	v_lshrrev_b32_e32 v7, 24, v35
	v_bfrev_b32_e32 v0, 1
	s_mov_b32 s26, exec_lo
	buffer_store_dword v0, off, s[0:3], s32 offset:560 ; 4-byte Folded Spill
	v_cmpx_ne_u32_e32 0x80, v7
	s_cbranch_execz .LBB314_754
; %bb.749:                              ;   in Loop: Header=BB314_16 Depth=1
	v_and_b32_e32 v2, 0x7f, v7
	v_mov_b32_e32 v0, 0x7c010000
	s_mov_b32 s27, exec_lo
	buffer_store_dword v0, off, s[0:3], s32 offset:560 ; 4-byte Folded Spill
	v_cmpx_ne_u32_e32 0x7f, v2
	s_cbranch_execz .LBB314_753
; %bb.750:                              ;   in Loop: Header=BB314_16 Depth=1
	v_and_b32_e32 v0, 7, v7
	v_lshrrev_b32_e32 v1, 3, v2
	s_mov_b32 s28, exec_lo
	v_cmpx_gt_u32_e32 8, v2
; %bb.751:                              ;   in Loop: Header=BB314_16 Depth=1
	v_ffbh_u32_e32 v0, v0
	v_min_u32_e32 v2, 32, v0
	v_subrev_nc_u32_e32 v0, 28, v2
	v_lshlrev_b64 v[0:1], v0, v[7:8]
	v_sub_nc_u32_e32 v1, 29, v2
	v_and_b32_e32 v0, 7, v0
; %bb.752:                              ;   in Loop: Header=BB314_16 Depth=1
	s_or_b32 exec_lo, exec_lo, s28
	v_lshlrev_b32_e32 v2, 8, v7
	v_lshl_add_u32 v1, v1, 10, 0x2000
	v_lshlrev_b32_e32 v0, 23, v0
	v_and_or_b32 v1, 0x8000, v2, v1
	v_lshl_or_b32 v0, v1, 16, v0
	buffer_store_dword v0, off, s[0:3], s32 offset:560 ; 4-byte Folded Spill
.LBB314_753:                            ;   in Loop: Header=BB314_16 Depth=1
	s_or_b32 exec_lo, exec_lo, s27
.LBB314_754:                            ;   in Loop: Header=BB314_16 Depth=1
	s_or_b32 exec_lo, exec_lo, s26
.LBB314_755:                            ;   in Loop: Header=BB314_16 Depth=1
	s_or_b32 exec_lo, exec_lo, s25
	v_mov_b32_e32 v7, v36
	v_cmp_ne_u16_sdwa s5, v36, v8 src0_sel:BYTE_0 src1_sel:DWORD
	s_and_saveexec_b32 s25, s5
	s_cbranch_execz .LBB314_763
; %bb.756:                              ;   in Loop: Header=BB314_16 Depth=1
	v_cmp_ne_u16_sdwa s5, v36, v70 src0_sel:BYTE_0 src1_sel:DWORD
	v_mov_b32_e32 v0, 0x8000
	buffer_store_dword v0, off, s[0:3], s32 offset:556 ; 4-byte Folded Spill
	s_and_saveexec_b32 s26, s5
	s_cbranch_execz .LBB314_762
; %bb.757:                              ;   in Loop: Header=BB314_16 Depth=1
	v_and_b32_e32 v2, 0x7f, v36
	v_mov_b32_e32 v0, 0x7c01
	s_mov_b32 s27, exec_lo
	buffer_store_dword v0, off, s[0:3], s32 offset:556 ; 4-byte Folded Spill
	v_cmpx_ne_u32_e32 0x7f, v2
	s_cbranch_execz .LBB314_761
; %bb.758:                              ;   in Loop: Header=BB314_16 Depth=1
	v_and_b32_e32 v0, 7, v36
	v_lshrrev_b32_e32 v1, 3, v2
	s_mov_b32 s28, exec_lo
	v_cmpx_gt_u32_e32 8, v2
; %bb.759:                              ;   in Loop: Header=BB314_16 Depth=1
	v_ffbh_u32_e32 v0, v0
	v_min_u32_e32 v2, 32, v0
	v_subrev_nc_u32_e32 v0, 28, v2
	v_lshlrev_b64 v[0:1], v0, v[7:8]
	v_sub_nc_u32_e32 v1, 29, v2
	v_and_b32_e32 v0, 7, v0
; %bb.760:                              ;   in Loop: Header=BB314_16 Depth=1
	s_or_b32 exec_lo, exec_lo, s28
	v_lshlrev_b32_e32 v2, 8, v36
	v_lshl_add_u32 v1, v1, 10, 0x2000
	v_lshlrev_b32_e32 v0, 7, v0
	v_and_b32_e32 v2, 0x8000, v2
	v_and_b32_e32 v1, 0xfc00, v1
	v_or3_b32 v0, v2, v1, v0
	buffer_store_dword v0, off, s[0:3], s32 offset:556 ; 4-byte Folded Spill
.LBB314_761:                            ;   in Loop: Header=BB314_16 Depth=1
	s_or_b32 exec_lo, exec_lo, s27
.LBB314_762:                            ;   in Loop: Header=BB314_16 Depth=1
	s_or_b32 exec_lo, exec_lo, s26
.LBB314_763:                            ;   in Loop: Header=BB314_16 Depth=1
	s_or_b32 exec_lo, exec_lo, s25
	v_mov_b32_e32 v0, 0
	v_lshrrev_b16 v7, 8, v7
	s_mov_b32 s25, exec_lo
	buffer_store_dword v0, off, s[0:3], s32 offset:564 ; 4-byte Folded Spill
	v_mov_b32_e32 v0, 0
	buffer_store_dword v0, off, s[0:3], s32 offset:568 ; 4-byte Folded Spill
	v_cmpx_ne_u16_e32 0, v7
	s_cbranch_execz .LBB314_771
; %bb.764:                              ;   in Loop: Header=BB314_16 Depth=1
	v_bfrev_b32_e32 v0, 1
	s_mov_b32 s26, exec_lo
	buffer_store_dword v0, off, s[0:3], s32 offset:568 ; 4-byte Folded Spill
	v_cmpx_ne_u16_e32 0x80, v7
	s_cbranch_execz .LBB314_770
; %bb.765:                              ;   in Loop: Header=BB314_16 Depth=1
	v_mov_b32_e32 v0, 0x7f
	s_mov_b32 s27, exec_lo
	v_and_b32_sdwa v2, v7, v0 dst_sel:DWORD dst_unused:UNUSED_PAD src0_sel:WORD_0 src1_sel:DWORD
	v_mov_b32_e32 v0, 0x7c010000
	buffer_store_dword v0, off, s[0:3], s32 offset:568 ; 4-byte Folded Spill
	v_cmpx_ne_u32_e32 0x7f, v2
	s_cbranch_execz .LBB314_769
; %bb.766:                              ;   in Loop: Header=BB314_16 Depth=1
	v_mov_b32_e32 v0, 7
	v_lshrrev_b32_e32 v1, 3, v2
	s_mov_b32 s28, exec_lo
	v_and_b32_sdwa v0, v7, v0 dst_sel:DWORD dst_unused:UNUSED_PAD src0_sel:WORD_0 src1_sel:DWORD
	v_cmpx_gt_u32_e32 8, v2
; %bb.767:                              ;   in Loop: Header=BB314_16 Depth=1
	v_ffbh_u32_e32 v0, v0
	v_min_u32_e32 v2, 32, v0
	v_subrev_nc_u32_e32 v0, 28, v2
	v_lshlrev_b64 v[0:1], v0, v[7:8]
	v_sub_nc_u32_e32 v1, 29, v2
	v_and_b32_e32 v0, 7, v0
; %bb.768:                              ;   in Loop: Header=BB314_16 Depth=1
	s_or_b32 exec_lo, exec_lo, s28
	v_mov_b32_e32 v2, 8
	v_lshl_add_u32 v1, v1, 10, 0x2000
	v_lshlrev_b32_e32 v0, 23, v0
	v_lshlrev_b32_sdwa v2, v2, v7 dst_sel:DWORD dst_unused:UNUSED_PAD src0_sel:DWORD src1_sel:WORD_0
	v_and_or_b32 v1, 0x8000, v2, v1
	v_lshl_or_b32 v0, v1, 16, v0
	buffer_store_dword v0, off, s[0:3], s32 offset:568 ; 4-byte Folded Spill
.LBB314_769:                            ;   in Loop: Header=BB314_16 Depth=1
	s_or_b32 exec_lo, exec_lo, s27
.LBB314_770:                            ;   in Loop: Header=BB314_16 Depth=1
	s_or_b32 exec_lo, exec_lo, s26
.LBB314_771:                            ;   in Loop: Header=BB314_16 Depth=1
	s_or_b32 exec_lo, exec_lo, s25
	v_lshrrev_b32_e32 v7, 16, v36
	v_cmp_ne_u16_sdwa s5, v7, v8 src0_sel:BYTE_0 src1_sel:DWORD
	s_and_saveexec_b32 s25, s5
	s_cbranch_execz .LBB314_779
; %bb.772:                              ;   in Loop: Header=BB314_16 Depth=1
	v_cmp_ne_u16_sdwa s5, v7, v70 src0_sel:BYTE_0 src1_sel:DWORD
	v_mov_b32_e32 v0, 0x8000
	buffer_store_dword v0, off, s[0:3], s32 offset:564 ; 4-byte Folded Spill
	s_and_saveexec_b32 s26, s5
	s_cbranch_execz .LBB314_778
; %bb.773:                              ;   in Loop: Header=BB314_16 Depth=1
	v_bfe_u32 v2, v36, 16, 7
	v_mov_b32_e32 v0, 0x7c01
	s_mov_b32 s27, exec_lo
	buffer_store_dword v0, off, s[0:3], s32 offset:564 ; 4-byte Folded Spill
	v_cmpx_ne_u32_e32 0x7f, v2
	s_cbranch_execz .LBB314_777
; %bb.774:                              ;   in Loop: Header=BB314_16 Depth=1
	v_and_b32_e32 v0, 7, v7
	v_lshrrev_b32_e32 v1, 3, v2
	s_mov_b32 s28, exec_lo
	v_cmpx_gt_u32_e32 8, v2
; %bb.775:                              ;   in Loop: Header=BB314_16 Depth=1
	v_ffbh_u32_e32 v0, v0
	v_min_u32_e32 v2, 32, v0
	v_subrev_nc_u32_e32 v0, 28, v2
	v_lshlrev_b64 v[0:1], v0, v[7:8]
	v_sub_nc_u32_e32 v1, 29, v2
	v_and_b32_e32 v0, 7, v0
; %bb.776:                              ;   in Loop: Header=BB314_16 Depth=1
	s_or_b32 exec_lo, exec_lo, s28
	v_lshlrev_b32_e32 v2, 8, v7
	v_lshl_add_u32 v1, v1, 10, 0x2000
	v_lshlrev_b32_e32 v0, 7, v0
	v_and_b32_e32 v2, 0x8000, v2
	v_and_b32_e32 v1, 0xfc00, v1
	v_or3_b32 v0, v2, v1, v0
	buffer_store_dword v0, off, s[0:3], s32 offset:564 ; 4-byte Folded Spill
.LBB314_777:                            ;   in Loop: Header=BB314_16 Depth=1
	s_or_b32 exec_lo, exec_lo, s27
.LBB314_778:                            ;   in Loop: Header=BB314_16 Depth=1
	s_or_b32 exec_lo, exec_lo, s26
.LBB314_779:                            ;   in Loop: Header=BB314_16 Depth=1
	s_or_b32 exec_lo, exec_lo, s25
	v_mov_b32_e32 v0, 0
	s_mov_b32 s25, exec_lo
	buffer_store_dword v0, off, s[0:3], s32 offset:572 ; 4-byte Folded Spill
	v_mov_b32_e32 v0, 0
	buffer_store_dword v0, off, s[0:3], s32 offset:800 ; 4-byte Folded Spill
	v_cmpx_lt_u64_e64 s[20:21], v[35:36]
	s_cbranch_execz .LBB314_787
; %bb.780:                              ;   in Loop: Header=BB314_16 Depth=1
	v_lshrrev_b32_e32 v7, 24, v36
	v_bfrev_b32_e32 v0, 1
	s_mov_b32 s26, exec_lo
	v_cmpx_ne_u32_e32 0x80, v7
	s_cbranch_execz .LBB314_786
; %bb.781:                              ;   in Loop: Header=BB314_16 Depth=1
	v_and_b32_e32 v2, 0x7f, v7
	v_mov_b32_e32 v0, 0x7c010000
	s_mov_b32 s27, exec_lo
	v_cmpx_ne_u32_e32 0x7f, v2
	s_cbranch_execz .LBB314_785
; %bb.782:                              ;   in Loop: Header=BB314_16 Depth=1
	v_and_b32_e32 v0, 7, v7
	v_lshrrev_b32_e32 v1, 3, v2
	s_mov_b32 s28, exec_lo
	v_cmpx_gt_u32_e32 8, v2
; %bb.783:                              ;   in Loop: Header=BB314_16 Depth=1
	v_ffbh_u32_e32 v0, v0
	v_min_u32_e32 v2, 32, v0
	v_subrev_nc_u32_e32 v0, 28, v2
	v_lshlrev_b64 v[0:1], v0, v[7:8]
	v_sub_nc_u32_e32 v1, 29, v2
	v_and_b32_e32 v0, 7, v0
; %bb.784:                              ;   in Loop: Header=BB314_16 Depth=1
	s_or_b32 exec_lo, exec_lo, s28
	v_lshlrev_b32_e32 v2, 8, v7
	v_lshl_add_u32 v1, v1, 10, 0x2000
	v_lshlrev_b32_e32 v0, 23, v0
	v_and_or_b32 v1, 0x8000, v2, v1
	v_lshl_or_b32 v0, v1, 16, v0
.LBB314_785:                            ;   in Loop: Header=BB314_16 Depth=1
	s_or_b32 exec_lo, exec_lo, s27
.LBB314_786:                            ;   in Loop: Header=BB314_16 Depth=1
	s_or_b32 exec_lo, exec_lo, s26
	buffer_store_dword v0, off, s[0:3], s32 offset:800 ; 4-byte Folded Spill
.LBB314_787:                            ;   in Loop: Header=BB314_16 Depth=1
	s_or_b32 exec_lo, exec_lo, s25
	flat_load_dwordx2 v[35:36], v[33:34] offset:1024
	s_waitcnt vmcnt(0) lgkmcnt(0)
	v_cmp_ne_u16_sdwa s5, v35, v8 src0_sel:BYTE_0 src1_sel:DWORD
	s_and_saveexec_b32 s25, s5
	s_cbranch_execz .LBB314_795
; %bb.788:                              ;   in Loop: Header=BB314_16 Depth=1
	v_cmp_ne_u16_sdwa s5, v35, v70 src0_sel:BYTE_0 src1_sel:DWORD
	v_mov_b32_e32 v0, 0x8000
	buffer_store_dword v0, off, s[0:3], s32 offset:572 ; 4-byte Folded Spill
	s_and_saveexec_b32 s26, s5
	s_cbranch_execz .LBB314_794
; %bb.789:                              ;   in Loop: Header=BB314_16 Depth=1
	v_and_b32_e32 v2, 0x7f, v35
	v_mov_b32_e32 v0, 0x7c01
	s_mov_b32 s27, exec_lo
	buffer_store_dword v0, off, s[0:3], s32 offset:572 ; 4-byte Folded Spill
	v_cmpx_ne_u32_e32 0x7f, v2
	s_cbranch_execz .LBB314_793
; %bb.790:                              ;   in Loop: Header=BB314_16 Depth=1
	v_and_b32_e32 v0, 7, v35
	v_lshrrev_b32_e32 v1, 3, v2
	s_mov_b32 s28, exec_lo
	v_cmpx_gt_u32_e32 8, v2
; %bb.791:                              ;   in Loop: Header=BB314_16 Depth=1
	v_ffbh_u32_e32 v0, v0
	v_min_u32_e32 v2, 32, v0
	v_subrev_nc_u32_e32 v0, 28, v2
	v_lshlrev_b64 v[0:1], v0, v[35:36]
	v_sub_nc_u32_e32 v1, 29, v2
	v_and_b32_e32 v0, 7, v0
; %bb.792:                              ;   in Loop: Header=BB314_16 Depth=1
	s_or_b32 exec_lo, exec_lo, s28
	v_lshlrev_b32_e32 v2, 8, v35
	v_lshl_add_u32 v1, v1, 10, 0x2000
	v_lshlrev_b32_e32 v0, 7, v0
	v_and_b32_e32 v2, 0x8000, v2
	v_and_b32_e32 v1, 0xfc00, v1
	v_or3_b32 v0, v2, v1, v0
	buffer_store_dword v0, off, s[0:3], s32 offset:572 ; 4-byte Folded Spill
.LBB314_793:                            ;   in Loop: Header=BB314_16 Depth=1
	s_or_b32 exec_lo, exec_lo, s27
.LBB314_794:                            ;   in Loop: Header=BB314_16 Depth=1
	s_or_b32 exec_lo, exec_lo, s26
.LBB314_795:                            ;   in Loop: Header=BB314_16 Depth=1
	s_or_b32 exec_lo, exec_lo, s25
	v_mov_b32_e32 v0, 0
	v_lshrrev_b16 v7, 8, v35
	s_mov_b32 s25, exec_lo
	buffer_store_dword v0, off, s[0:3], s32 offset:580 ; 4-byte Folded Spill
	v_mov_b32_e32 v0, 0
	buffer_store_dword v0, off, s[0:3], s32 offset:576 ; 4-byte Folded Spill
	v_cmpx_ne_u16_e32 0, v7
	s_cbranch_execz .LBB314_803
; %bb.796:                              ;   in Loop: Header=BB314_16 Depth=1
	v_bfrev_b32_e32 v0, 1
	s_mov_b32 s26, exec_lo
	buffer_store_dword v0, off, s[0:3], s32 offset:576 ; 4-byte Folded Spill
	v_cmpx_ne_u16_e32 0x80, v7
	s_cbranch_execz .LBB314_802
; %bb.797:                              ;   in Loop: Header=BB314_16 Depth=1
	v_mov_b32_e32 v0, 0x7f
	s_mov_b32 s27, exec_lo
	v_and_b32_sdwa v2, v7, v0 dst_sel:DWORD dst_unused:UNUSED_PAD src0_sel:WORD_0 src1_sel:DWORD
	v_mov_b32_e32 v0, 0x7c010000
	buffer_store_dword v0, off, s[0:3], s32 offset:576 ; 4-byte Folded Spill
	v_cmpx_ne_u32_e32 0x7f, v2
	s_cbranch_execz .LBB314_801
; %bb.798:                              ;   in Loop: Header=BB314_16 Depth=1
	v_mov_b32_e32 v0, 7
	v_lshrrev_b32_e32 v1, 3, v2
	s_mov_b32 s28, exec_lo
	v_and_b32_sdwa v0, v7, v0 dst_sel:DWORD dst_unused:UNUSED_PAD src0_sel:WORD_0 src1_sel:DWORD
	v_cmpx_gt_u32_e32 8, v2
; %bb.799:                              ;   in Loop: Header=BB314_16 Depth=1
	v_ffbh_u32_e32 v0, v0
	v_min_u32_e32 v2, 32, v0
	v_subrev_nc_u32_e32 v0, 28, v2
	v_lshlrev_b64 v[0:1], v0, v[7:8]
	v_sub_nc_u32_e32 v1, 29, v2
	v_and_b32_e32 v0, 7, v0
; %bb.800:                              ;   in Loop: Header=BB314_16 Depth=1
	s_or_b32 exec_lo, exec_lo, s28
	v_mov_b32_e32 v2, 8
	v_lshl_add_u32 v1, v1, 10, 0x2000
	v_lshlrev_b32_e32 v0, 23, v0
	v_lshlrev_b32_sdwa v2, v2, v7 dst_sel:DWORD dst_unused:UNUSED_PAD src0_sel:DWORD src1_sel:WORD_0
	v_and_or_b32 v1, 0x8000, v2, v1
	v_lshl_or_b32 v0, v1, 16, v0
	buffer_store_dword v0, off, s[0:3], s32 offset:576 ; 4-byte Folded Spill
.LBB314_801:                            ;   in Loop: Header=BB314_16 Depth=1
	s_or_b32 exec_lo, exec_lo, s27
.LBB314_802:                            ;   in Loop: Header=BB314_16 Depth=1
	s_or_b32 exec_lo, exec_lo, s26
.LBB314_803:                            ;   in Loop: Header=BB314_16 Depth=1
	s_or_b32 exec_lo, exec_lo, s25
	v_lshrrev_b32_e32 v7, 16, v35
	v_cmp_ne_u16_sdwa s5, v7, v8 src0_sel:BYTE_0 src1_sel:DWORD
	s_and_saveexec_b32 s25, s5
	s_cbranch_execz .LBB314_811
; %bb.804:                              ;   in Loop: Header=BB314_16 Depth=1
	v_cmp_ne_u16_sdwa s5, v7, v70 src0_sel:BYTE_0 src1_sel:DWORD
	v_mov_b32_e32 v0, 0x8000
	buffer_store_dword v0, off, s[0:3], s32 offset:580 ; 4-byte Folded Spill
	s_and_saveexec_b32 s26, s5
	s_cbranch_execz .LBB314_810
; %bb.805:                              ;   in Loop: Header=BB314_16 Depth=1
	v_bfe_u32 v2, v35, 16, 7
	v_mov_b32_e32 v0, 0x7c01
	s_mov_b32 s27, exec_lo
	buffer_store_dword v0, off, s[0:3], s32 offset:580 ; 4-byte Folded Spill
	v_cmpx_ne_u32_e32 0x7f, v2
	s_cbranch_execz .LBB314_809
; %bb.806:                              ;   in Loop: Header=BB314_16 Depth=1
	v_and_b32_e32 v0, 7, v7
	v_lshrrev_b32_e32 v1, 3, v2
	s_mov_b32 s28, exec_lo
	v_cmpx_gt_u32_e32 8, v2
; %bb.807:                              ;   in Loop: Header=BB314_16 Depth=1
	v_ffbh_u32_e32 v0, v0
	v_min_u32_e32 v2, 32, v0
	v_subrev_nc_u32_e32 v0, 28, v2
	v_lshlrev_b64 v[0:1], v0, v[7:8]
	v_sub_nc_u32_e32 v1, 29, v2
	v_and_b32_e32 v0, 7, v0
; %bb.808:                              ;   in Loop: Header=BB314_16 Depth=1
	s_or_b32 exec_lo, exec_lo, s28
	v_lshlrev_b32_e32 v2, 8, v7
	v_lshl_add_u32 v1, v1, 10, 0x2000
	v_lshlrev_b32_e32 v0, 7, v0
	v_and_b32_e32 v2, 0x8000, v2
	v_and_b32_e32 v1, 0xfc00, v1
	v_or3_b32 v0, v2, v1, v0
	buffer_store_dword v0, off, s[0:3], s32 offset:580 ; 4-byte Folded Spill
.LBB314_809:                            ;   in Loop: Header=BB314_16 Depth=1
	s_or_b32 exec_lo, exec_lo, s27
.LBB314_810:                            ;   in Loop: Header=BB314_16 Depth=1
	s_or_b32 exec_lo, exec_lo, s26
.LBB314_811:                            ;   in Loop: Header=BB314_16 Depth=1
	s_or_b32 exec_lo, exec_lo, s25
	v_mov_b32_e32 v0, 0
	s_mov_b32 s25, exec_lo
	buffer_store_dword v0, off, s[0:3], s32 offset:584 ; 4-byte Folded Spill
	v_mov_b32_e32 v0, 0
	buffer_store_dword v0, off, s[0:3], s32 offset:588 ; 4-byte Folded Spill
	v_cmpx_lt_u32_e32 0xffffff, v35
	s_cbranch_execz .LBB314_819
; %bb.812:                              ;   in Loop: Header=BB314_16 Depth=1
	v_lshrrev_b32_e32 v7, 24, v35
	v_bfrev_b32_e32 v0, 1
	s_mov_b32 s26, exec_lo
	buffer_store_dword v0, off, s[0:3], s32 offset:588 ; 4-byte Folded Spill
	v_cmpx_ne_u32_e32 0x80, v7
	s_cbranch_execz .LBB314_818
; %bb.813:                              ;   in Loop: Header=BB314_16 Depth=1
	v_and_b32_e32 v2, 0x7f, v7
	v_mov_b32_e32 v0, 0x7c010000
	s_mov_b32 s27, exec_lo
	buffer_store_dword v0, off, s[0:3], s32 offset:588 ; 4-byte Folded Spill
	v_cmpx_ne_u32_e32 0x7f, v2
	s_cbranch_execz .LBB314_817
; %bb.814:                              ;   in Loop: Header=BB314_16 Depth=1
	v_and_b32_e32 v0, 7, v7
	v_lshrrev_b32_e32 v1, 3, v2
	s_mov_b32 s28, exec_lo
	v_cmpx_gt_u32_e32 8, v2
; %bb.815:                              ;   in Loop: Header=BB314_16 Depth=1
	v_ffbh_u32_e32 v0, v0
	v_min_u32_e32 v2, 32, v0
	v_subrev_nc_u32_e32 v0, 28, v2
	v_lshlrev_b64 v[0:1], v0, v[7:8]
	v_sub_nc_u32_e32 v1, 29, v2
	v_and_b32_e32 v0, 7, v0
; %bb.816:                              ;   in Loop: Header=BB314_16 Depth=1
	s_or_b32 exec_lo, exec_lo, s28
	v_lshlrev_b32_e32 v2, 8, v7
	v_lshl_add_u32 v1, v1, 10, 0x2000
	v_lshlrev_b32_e32 v0, 23, v0
	v_and_or_b32 v1, 0x8000, v2, v1
	v_lshl_or_b32 v0, v1, 16, v0
	buffer_store_dword v0, off, s[0:3], s32 offset:588 ; 4-byte Folded Spill
.LBB314_817:                            ;   in Loop: Header=BB314_16 Depth=1
	s_or_b32 exec_lo, exec_lo, s27
.LBB314_818:                            ;   in Loop: Header=BB314_16 Depth=1
	s_or_b32 exec_lo, exec_lo, s26
.LBB314_819:                            ;   in Loop: Header=BB314_16 Depth=1
	s_or_b32 exec_lo, exec_lo, s25
	v_mov_b32_e32 v7, v36
	v_cmp_ne_u16_sdwa s5, v36, v8 src0_sel:BYTE_0 src1_sel:DWORD
	s_and_saveexec_b32 s25, s5
	s_cbranch_execz .LBB314_827
; %bb.820:                              ;   in Loop: Header=BB314_16 Depth=1
	v_cmp_ne_u16_sdwa s5, v36, v70 src0_sel:BYTE_0 src1_sel:DWORD
	v_mov_b32_e32 v0, 0x8000
	buffer_store_dword v0, off, s[0:3], s32 offset:584 ; 4-byte Folded Spill
	s_and_saveexec_b32 s26, s5
	s_cbranch_execz .LBB314_826
; %bb.821:                              ;   in Loop: Header=BB314_16 Depth=1
	v_and_b32_e32 v2, 0x7f, v36
	v_mov_b32_e32 v0, 0x7c01
	s_mov_b32 s27, exec_lo
	buffer_store_dword v0, off, s[0:3], s32 offset:584 ; 4-byte Folded Spill
	v_cmpx_ne_u32_e32 0x7f, v2
	s_cbranch_execz .LBB314_825
; %bb.822:                              ;   in Loop: Header=BB314_16 Depth=1
	v_and_b32_e32 v0, 7, v36
	v_lshrrev_b32_e32 v1, 3, v2
	s_mov_b32 s28, exec_lo
	v_cmpx_gt_u32_e32 8, v2
; %bb.823:                              ;   in Loop: Header=BB314_16 Depth=1
	v_ffbh_u32_e32 v0, v0
	v_min_u32_e32 v2, 32, v0
	v_subrev_nc_u32_e32 v0, 28, v2
	v_lshlrev_b64 v[0:1], v0, v[7:8]
	v_sub_nc_u32_e32 v1, 29, v2
	v_and_b32_e32 v0, 7, v0
; %bb.824:                              ;   in Loop: Header=BB314_16 Depth=1
	s_or_b32 exec_lo, exec_lo, s28
	v_lshlrev_b32_e32 v2, 8, v36
	v_lshl_add_u32 v1, v1, 10, 0x2000
	v_lshlrev_b32_e32 v0, 7, v0
	v_and_b32_e32 v2, 0x8000, v2
	v_and_b32_e32 v1, 0xfc00, v1
	v_or3_b32 v0, v2, v1, v0
	buffer_store_dword v0, off, s[0:3], s32 offset:584 ; 4-byte Folded Spill
.LBB314_825:                            ;   in Loop: Header=BB314_16 Depth=1
	s_or_b32 exec_lo, exec_lo, s27
.LBB314_826:                            ;   in Loop: Header=BB314_16 Depth=1
	s_or_b32 exec_lo, exec_lo, s26
.LBB314_827:                            ;   in Loop: Header=BB314_16 Depth=1
	s_or_b32 exec_lo, exec_lo, s25
	v_mov_b32_e32 v0, 0
	v_lshrrev_b16 v7, 8, v7
	s_mov_b32 s25, exec_lo
	buffer_store_dword v0, off, s[0:3], s32 offset:592 ; 4-byte Folded Spill
	v_mov_b32_e32 v0, 0
	buffer_store_dword v0, off, s[0:3], s32 offset:596 ; 4-byte Folded Spill
	v_cmpx_ne_u16_e32 0, v7
	s_cbranch_execz .LBB314_835
; %bb.828:                              ;   in Loop: Header=BB314_16 Depth=1
	v_bfrev_b32_e32 v0, 1
	s_mov_b32 s26, exec_lo
	buffer_store_dword v0, off, s[0:3], s32 offset:596 ; 4-byte Folded Spill
	v_cmpx_ne_u16_e32 0x80, v7
	s_cbranch_execz .LBB314_834
; %bb.829:                              ;   in Loop: Header=BB314_16 Depth=1
	v_mov_b32_e32 v0, 0x7f
	s_mov_b32 s27, exec_lo
	v_and_b32_sdwa v2, v7, v0 dst_sel:DWORD dst_unused:UNUSED_PAD src0_sel:WORD_0 src1_sel:DWORD
	v_mov_b32_e32 v0, 0x7c010000
	buffer_store_dword v0, off, s[0:3], s32 offset:596 ; 4-byte Folded Spill
	v_cmpx_ne_u32_e32 0x7f, v2
	s_cbranch_execz .LBB314_833
; %bb.830:                              ;   in Loop: Header=BB314_16 Depth=1
	v_mov_b32_e32 v0, 7
	v_lshrrev_b32_e32 v1, 3, v2
	s_mov_b32 s28, exec_lo
	v_and_b32_sdwa v0, v7, v0 dst_sel:DWORD dst_unused:UNUSED_PAD src0_sel:WORD_0 src1_sel:DWORD
	v_cmpx_gt_u32_e32 8, v2
; %bb.831:                              ;   in Loop: Header=BB314_16 Depth=1
	v_ffbh_u32_e32 v0, v0
	v_min_u32_e32 v2, 32, v0
	v_subrev_nc_u32_e32 v0, 28, v2
	v_lshlrev_b64 v[0:1], v0, v[7:8]
	v_sub_nc_u32_e32 v1, 29, v2
	v_and_b32_e32 v0, 7, v0
; %bb.832:                              ;   in Loop: Header=BB314_16 Depth=1
	s_or_b32 exec_lo, exec_lo, s28
	v_mov_b32_e32 v2, 8
	v_lshl_add_u32 v1, v1, 10, 0x2000
	v_lshlrev_b32_e32 v0, 23, v0
	v_lshlrev_b32_sdwa v2, v2, v7 dst_sel:DWORD dst_unused:UNUSED_PAD src0_sel:DWORD src1_sel:WORD_0
	v_and_or_b32 v1, 0x8000, v2, v1
	v_lshl_or_b32 v0, v1, 16, v0
	buffer_store_dword v0, off, s[0:3], s32 offset:596 ; 4-byte Folded Spill
.LBB314_833:                            ;   in Loop: Header=BB314_16 Depth=1
	s_or_b32 exec_lo, exec_lo, s27
.LBB314_834:                            ;   in Loop: Header=BB314_16 Depth=1
	s_or_b32 exec_lo, exec_lo, s26
.LBB314_835:                            ;   in Loop: Header=BB314_16 Depth=1
	s_or_b32 exec_lo, exec_lo, s25
	v_lshrrev_b32_e32 v7, 16, v36
	v_cmp_ne_u16_sdwa s5, v7, v8 src0_sel:BYTE_0 src1_sel:DWORD
	s_and_saveexec_b32 s25, s5
	s_cbranch_execz .LBB314_843
; %bb.836:                              ;   in Loop: Header=BB314_16 Depth=1
	v_cmp_ne_u16_sdwa s5, v7, v70 src0_sel:BYTE_0 src1_sel:DWORD
	v_mov_b32_e32 v0, 0x8000
	buffer_store_dword v0, off, s[0:3], s32 offset:592 ; 4-byte Folded Spill
	s_and_saveexec_b32 s26, s5
	s_cbranch_execz .LBB314_842
; %bb.837:                              ;   in Loop: Header=BB314_16 Depth=1
	v_bfe_u32 v2, v36, 16, 7
	v_mov_b32_e32 v0, 0x7c01
	s_mov_b32 s27, exec_lo
	buffer_store_dword v0, off, s[0:3], s32 offset:592 ; 4-byte Folded Spill
	v_cmpx_ne_u32_e32 0x7f, v2
	s_cbranch_execz .LBB314_841
; %bb.838:                              ;   in Loop: Header=BB314_16 Depth=1
	v_and_b32_e32 v0, 7, v7
	v_lshrrev_b32_e32 v1, 3, v2
	s_mov_b32 s28, exec_lo
	v_cmpx_gt_u32_e32 8, v2
; %bb.839:                              ;   in Loop: Header=BB314_16 Depth=1
	v_ffbh_u32_e32 v0, v0
	v_min_u32_e32 v2, 32, v0
	v_subrev_nc_u32_e32 v0, 28, v2
	v_lshlrev_b64 v[0:1], v0, v[7:8]
	v_sub_nc_u32_e32 v1, 29, v2
	v_and_b32_e32 v0, 7, v0
; %bb.840:                              ;   in Loop: Header=BB314_16 Depth=1
	s_or_b32 exec_lo, exec_lo, s28
	v_lshlrev_b32_e32 v2, 8, v7
	v_lshl_add_u32 v1, v1, 10, 0x2000
	v_lshlrev_b32_e32 v0, 7, v0
	v_and_b32_e32 v2, 0x8000, v2
	v_and_b32_e32 v1, 0xfc00, v1
	v_or3_b32 v0, v2, v1, v0
	buffer_store_dword v0, off, s[0:3], s32 offset:592 ; 4-byte Folded Spill
.LBB314_841:                            ;   in Loop: Header=BB314_16 Depth=1
	s_or_b32 exec_lo, exec_lo, s27
.LBB314_842:                            ;   in Loop: Header=BB314_16 Depth=1
	s_or_b32 exec_lo, exec_lo, s26
.LBB314_843:                            ;   in Loop: Header=BB314_16 Depth=1
	s_or_b32 exec_lo, exec_lo, s25
	v_mov_b32_e32 v0, 0
	s_mov_b32 s25, exec_lo
	buffer_store_dword v0, off, s[0:3], s32 offset:600 ; 4-byte Folded Spill
	v_mov_b32_e32 v0, 0
	buffer_store_dword v0, off, s[0:3], s32 offset:804 ; 4-byte Folded Spill
	v_cmpx_lt_u64_e64 s[20:21], v[35:36]
	s_cbranch_execz .LBB314_851
; %bb.844:                              ;   in Loop: Header=BB314_16 Depth=1
	v_lshrrev_b32_e32 v7, 24, v36
	v_bfrev_b32_e32 v0, 1
	s_mov_b32 s26, exec_lo
	v_cmpx_ne_u32_e32 0x80, v7
	s_cbranch_execz .LBB314_850
; %bb.845:                              ;   in Loop: Header=BB314_16 Depth=1
	v_and_b32_e32 v2, 0x7f, v7
	v_mov_b32_e32 v0, 0x7c010000
	s_mov_b32 s27, exec_lo
	v_cmpx_ne_u32_e32 0x7f, v2
	s_cbranch_execz .LBB314_849
; %bb.846:                              ;   in Loop: Header=BB314_16 Depth=1
	v_and_b32_e32 v0, 7, v7
	v_lshrrev_b32_e32 v1, 3, v2
	s_mov_b32 s28, exec_lo
	v_cmpx_gt_u32_e32 8, v2
; %bb.847:                              ;   in Loop: Header=BB314_16 Depth=1
	v_ffbh_u32_e32 v0, v0
	v_min_u32_e32 v2, 32, v0
	v_subrev_nc_u32_e32 v0, 28, v2
	v_lshlrev_b64 v[0:1], v0, v[7:8]
	v_sub_nc_u32_e32 v1, 29, v2
	v_and_b32_e32 v0, 7, v0
; %bb.848:                              ;   in Loop: Header=BB314_16 Depth=1
	s_or_b32 exec_lo, exec_lo, s28
	v_lshlrev_b32_e32 v2, 8, v7
	v_lshl_add_u32 v1, v1, 10, 0x2000
	v_lshlrev_b32_e32 v0, 23, v0
	v_and_or_b32 v1, 0x8000, v2, v1
	v_lshl_or_b32 v0, v1, 16, v0
.LBB314_849:                            ;   in Loop: Header=BB314_16 Depth=1
	s_or_b32 exec_lo, exec_lo, s27
.LBB314_850:                            ;   in Loop: Header=BB314_16 Depth=1
	s_or_b32 exec_lo, exec_lo, s26
	buffer_store_dword v0, off, s[0:3], s32 offset:804 ; 4-byte Folded Spill
.LBB314_851:                            ;   in Loop: Header=BB314_16 Depth=1
	s_or_b32 exec_lo, exec_lo, s25
	flat_load_dwordx2 v[35:36], v[33:34] offset:1032
	s_waitcnt vmcnt(0) lgkmcnt(0)
	v_cmp_ne_u16_sdwa s5, v35, v8 src0_sel:BYTE_0 src1_sel:DWORD
	s_and_saveexec_b32 s25, s5
	s_cbranch_execz .LBB314_859
; %bb.852:                              ;   in Loop: Header=BB314_16 Depth=1
	v_cmp_ne_u16_sdwa s5, v35, v70 src0_sel:BYTE_0 src1_sel:DWORD
	v_mov_b32_e32 v0, 0x8000
	buffer_store_dword v0, off, s[0:3], s32 offset:600 ; 4-byte Folded Spill
	s_and_saveexec_b32 s26, s5
	s_cbranch_execz .LBB314_858
; %bb.853:                              ;   in Loop: Header=BB314_16 Depth=1
	v_and_b32_e32 v2, 0x7f, v35
	v_mov_b32_e32 v0, 0x7c01
	s_mov_b32 s27, exec_lo
	buffer_store_dword v0, off, s[0:3], s32 offset:600 ; 4-byte Folded Spill
	v_cmpx_ne_u32_e32 0x7f, v2
	s_cbranch_execz .LBB314_857
; %bb.854:                              ;   in Loop: Header=BB314_16 Depth=1
	v_and_b32_e32 v0, 7, v35
	v_lshrrev_b32_e32 v1, 3, v2
	s_mov_b32 s28, exec_lo
	v_cmpx_gt_u32_e32 8, v2
; %bb.855:                              ;   in Loop: Header=BB314_16 Depth=1
	v_ffbh_u32_e32 v0, v0
	v_min_u32_e32 v2, 32, v0
	v_subrev_nc_u32_e32 v0, 28, v2
	v_lshlrev_b64 v[0:1], v0, v[35:36]
	v_sub_nc_u32_e32 v1, 29, v2
	v_and_b32_e32 v0, 7, v0
; %bb.856:                              ;   in Loop: Header=BB314_16 Depth=1
	s_or_b32 exec_lo, exec_lo, s28
	v_lshlrev_b32_e32 v2, 8, v35
	v_lshl_add_u32 v1, v1, 10, 0x2000
	v_lshlrev_b32_e32 v0, 7, v0
	v_and_b32_e32 v2, 0x8000, v2
	v_and_b32_e32 v1, 0xfc00, v1
	v_or3_b32 v0, v2, v1, v0
	buffer_store_dword v0, off, s[0:3], s32 offset:600 ; 4-byte Folded Spill
.LBB314_857:                            ;   in Loop: Header=BB314_16 Depth=1
	s_or_b32 exec_lo, exec_lo, s27
.LBB314_858:                            ;   in Loop: Header=BB314_16 Depth=1
	s_or_b32 exec_lo, exec_lo, s26
.LBB314_859:                            ;   in Loop: Header=BB314_16 Depth=1
	s_or_b32 exec_lo, exec_lo, s25
	v_mov_b32_e32 v0, 0
	v_lshrrev_b16 v7, 8, v35
	s_mov_b32 s25, exec_lo
	buffer_store_dword v0, off, s[0:3], s32 offset:608 ; 4-byte Folded Spill
	v_mov_b32_e32 v0, 0
	buffer_store_dword v0, off, s[0:3], s32 offset:604 ; 4-byte Folded Spill
	v_cmpx_ne_u16_e32 0, v7
	s_cbranch_execz .LBB314_867
; %bb.860:                              ;   in Loop: Header=BB314_16 Depth=1
	v_bfrev_b32_e32 v0, 1
	s_mov_b32 s26, exec_lo
	buffer_store_dword v0, off, s[0:3], s32 offset:604 ; 4-byte Folded Spill
	v_cmpx_ne_u16_e32 0x80, v7
	s_cbranch_execz .LBB314_866
; %bb.861:                              ;   in Loop: Header=BB314_16 Depth=1
	v_mov_b32_e32 v0, 0x7f
	s_mov_b32 s27, exec_lo
	v_and_b32_sdwa v2, v7, v0 dst_sel:DWORD dst_unused:UNUSED_PAD src0_sel:WORD_0 src1_sel:DWORD
	v_mov_b32_e32 v0, 0x7c010000
	buffer_store_dword v0, off, s[0:3], s32 offset:604 ; 4-byte Folded Spill
	v_cmpx_ne_u32_e32 0x7f, v2
	s_cbranch_execz .LBB314_865
; %bb.862:                              ;   in Loop: Header=BB314_16 Depth=1
	v_mov_b32_e32 v0, 7
	v_lshrrev_b32_e32 v1, 3, v2
	s_mov_b32 s28, exec_lo
	v_and_b32_sdwa v0, v7, v0 dst_sel:DWORD dst_unused:UNUSED_PAD src0_sel:WORD_0 src1_sel:DWORD
	v_cmpx_gt_u32_e32 8, v2
; %bb.863:                              ;   in Loop: Header=BB314_16 Depth=1
	v_ffbh_u32_e32 v0, v0
	v_min_u32_e32 v2, 32, v0
	v_subrev_nc_u32_e32 v0, 28, v2
	v_lshlrev_b64 v[0:1], v0, v[7:8]
	v_sub_nc_u32_e32 v1, 29, v2
	v_and_b32_e32 v0, 7, v0
; %bb.864:                              ;   in Loop: Header=BB314_16 Depth=1
	s_or_b32 exec_lo, exec_lo, s28
	v_mov_b32_e32 v2, 8
	v_lshl_add_u32 v1, v1, 10, 0x2000
	v_lshlrev_b32_e32 v0, 23, v0
	v_lshlrev_b32_sdwa v2, v2, v7 dst_sel:DWORD dst_unused:UNUSED_PAD src0_sel:DWORD src1_sel:WORD_0
	v_and_or_b32 v1, 0x8000, v2, v1
	v_lshl_or_b32 v0, v1, 16, v0
	buffer_store_dword v0, off, s[0:3], s32 offset:604 ; 4-byte Folded Spill
.LBB314_865:                            ;   in Loop: Header=BB314_16 Depth=1
	s_or_b32 exec_lo, exec_lo, s27
.LBB314_866:                            ;   in Loop: Header=BB314_16 Depth=1
	s_or_b32 exec_lo, exec_lo, s26
.LBB314_867:                            ;   in Loop: Header=BB314_16 Depth=1
	s_or_b32 exec_lo, exec_lo, s25
	v_lshrrev_b32_e32 v7, 16, v35
	v_cmp_ne_u16_sdwa s5, v7, v8 src0_sel:BYTE_0 src1_sel:DWORD
	s_and_saveexec_b32 s25, s5
	s_cbranch_execz .LBB314_875
; %bb.868:                              ;   in Loop: Header=BB314_16 Depth=1
	v_cmp_ne_u16_sdwa s5, v7, v70 src0_sel:BYTE_0 src1_sel:DWORD
	v_mov_b32_e32 v0, 0x8000
	buffer_store_dword v0, off, s[0:3], s32 offset:608 ; 4-byte Folded Spill
	s_and_saveexec_b32 s26, s5
	s_cbranch_execz .LBB314_874
; %bb.869:                              ;   in Loop: Header=BB314_16 Depth=1
	v_bfe_u32 v2, v35, 16, 7
	v_mov_b32_e32 v0, 0x7c01
	s_mov_b32 s27, exec_lo
	buffer_store_dword v0, off, s[0:3], s32 offset:608 ; 4-byte Folded Spill
	v_cmpx_ne_u32_e32 0x7f, v2
	s_cbranch_execz .LBB314_873
; %bb.870:                              ;   in Loop: Header=BB314_16 Depth=1
	v_and_b32_e32 v0, 7, v7
	v_lshrrev_b32_e32 v1, 3, v2
	s_mov_b32 s28, exec_lo
	v_cmpx_gt_u32_e32 8, v2
; %bb.871:                              ;   in Loop: Header=BB314_16 Depth=1
	v_ffbh_u32_e32 v0, v0
	v_min_u32_e32 v2, 32, v0
	v_subrev_nc_u32_e32 v0, 28, v2
	v_lshlrev_b64 v[0:1], v0, v[7:8]
	v_sub_nc_u32_e32 v1, 29, v2
	v_and_b32_e32 v0, 7, v0
; %bb.872:                              ;   in Loop: Header=BB314_16 Depth=1
	s_or_b32 exec_lo, exec_lo, s28
	v_lshlrev_b32_e32 v2, 8, v7
	v_lshl_add_u32 v1, v1, 10, 0x2000
	v_lshlrev_b32_e32 v0, 7, v0
	v_and_b32_e32 v2, 0x8000, v2
	v_and_b32_e32 v1, 0xfc00, v1
	v_or3_b32 v0, v2, v1, v0
	buffer_store_dword v0, off, s[0:3], s32 offset:608 ; 4-byte Folded Spill
.LBB314_873:                            ;   in Loop: Header=BB314_16 Depth=1
	s_or_b32 exec_lo, exec_lo, s27
.LBB314_874:                            ;   in Loop: Header=BB314_16 Depth=1
	s_or_b32 exec_lo, exec_lo, s26
.LBB314_875:                            ;   in Loop: Header=BB314_16 Depth=1
	s_or_b32 exec_lo, exec_lo, s25
	v_mov_b32_e32 v0, 0
	s_mov_b32 s25, exec_lo
	buffer_store_dword v0, off, s[0:3], s32 offset:612 ; 4-byte Folded Spill
	v_mov_b32_e32 v0, 0
	buffer_store_dword v0, off, s[0:3], s32 offset:616 ; 4-byte Folded Spill
	v_cmpx_lt_u32_e32 0xffffff, v35
	s_cbranch_execz .LBB314_883
; %bb.876:                              ;   in Loop: Header=BB314_16 Depth=1
	v_lshrrev_b32_e32 v7, 24, v35
	v_bfrev_b32_e32 v0, 1
	s_mov_b32 s26, exec_lo
	buffer_store_dword v0, off, s[0:3], s32 offset:616 ; 4-byte Folded Spill
	v_cmpx_ne_u32_e32 0x80, v7
	s_cbranch_execz .LBB314_882
; %bb.877:                              ;   in Loop: Header=BB314_16 Depth=1
	v_and_b32_e32 v2, 0x7f, v7
	v_mov_b32_e32 v0, 0x7c010000
	s_mov_b32 s27, exec_lo
	buffer_store_dword v0, off, s[0:3], s32 offset:616 ; 4-byte Folded Spill
	v_cmpx_ne_u32_e32 0x7f, v2
	s_cbranch_execz .LBB314_881
; %bb.878:                              ;   in Loop: Header=BB314_16 Depth=1
	v_and_b32_e32 v0, 7, v7
	v_lshrrev_b32_e32 v1, 3, v2
	s_mov_b32 s28, exec_lo
	v_cmpx_gt_u32_e32 8, v2
; %bb.879:                              ;   in Loop: Header=BB314_16 Depth=1
	v_ffbh_u32_e32 v0, v0
	v_min_u32_e32 v2, 32, v0
	v_subrev_nc_u32_e32 v0, 28, v2
	v_lshlrev_b64 v[0:1], v0, v[7:8]
	v_sub_nc_u32_e32 v1, 29, v2
	v_and_b32_e32 v0, 7, v0
; %bb.880:                              ;   in Loop: Header=BB314_16 Depth=1
	s_or_b32 exec_lo, exec_lo, s28
	v_lshlrev_b32_e32 v2, 8, v7
	v_lshl_add_u32 v1, v1, 10, 0x2000
	v_lshlrev_b32_e32 v0, 23, v0
	v_and_or_b32 v1, 0x8000, v2, v1
	v_lshl_or_b32 v0, v1, 16, v0
	buffer_store_dword v0, off, s[0:3], s32 offset:616 ; 4-byte Folded Spill
.LBB314_881:                            ;   in Loop: Header=BB314_16 Depth=1
	s_or_b32 exec_lo, exec_lo, s27
.LBB314_882:                            ;   in Loop: Header=BB314_16 Depth=1
	s_or_b32 exec_lo, exec_lo, s26
.LBB314_883:                            ;   in Loop: Header=BB314_16 Depth=1
	s_or_b32 exec_lo, exec_lo, s25
	v_mov_b32_e32 v7, v36
	v_cmp_ne_u16_sdwa s5, v36, v8 src0_sel:BYTE_0 src1_sel:DWORD
	s_and_saveexec_b32 s25, s5
	s_cbranch_execz .LBB314_891
; %bb.884:                              ;   in Loop: Header=BB314_16 Depth=1
	v_cmp_ne_u16_sdwa s5, v36, v70 src0_sel:BYTE_0 src1_sel:DWORD
	v_mov_b32_e32 v0, 0x8000
	buffer_store_dword v0, off, s[0:3], s32 offset:612 ; 4-byte Folded Spill
	s_and_saveexec_b32 s26, s5
	s_cbranch_execz .LBB314_890
; %bb.885:                              ;   in Loop: Header=BB314_16 Depth=1
	v_and_b32_e32 v2, 0x7f, v36
	v_mov_b32_e32 v0, 0x7c01
	s_mov_b32 s27, exec_lo
	buffer_store_dword v0, off, s[0:3], s32 offset:612 ; 4-byte Folded Spill
	v_cmpx_ne_u32_e32 0x7f, v2
	s_cbranch_execz .LBB314_889
; %bb.886:                              ;   in Loop: Header=BB314_16 Depth=1
	v_and_b32_e32 v0, 7, v36
	v_lshrrev_b32_e32 v1, 3, v2
	s_mov_b32 s28, exec_lo
	v_cmpx_gt_u32_e32 8, v2
; %bb.887:                              ;   in Loop: Header=BB314_16 Depth=1
	v_ffbh_u32_e32 v0, v0
	v_min_u32_e32 v2, 32, v0
	v_subrev_nc_u32_e32 v0, 28, v2
	v_lshlrev_b64 v[0:1], v0, v[7:8]
	v_sub_nc_u32_e32 v1, 29, v2
	v_and_b32_e32 v0, 7, v0
; %bb.888:                              ;   in Loop: Header=BB314_16 Depth=1
	s_or_b32 exec_lo, exec_lo, s28
	v_lshlrev_b32_e32 v2, 8, v36
	v_lshl_add_u32 v1, v1, 10, 0x2000
	v_lshlrev_b32_e32 v0, 7, v0
	v_and_b32_e32 v2, 0x8000, v2
	v_and_b32_e32 v1, 0xfc00, v1
	v_or3_b32 v0, v2, v1, v0
	buffer_store_dword v0, off, s[0:3], s32 offset:612 ; 4-byte Folded Spill
.LBB314_889:                            ;   in Loop: Header=BB314_16 Depth=1
	s_or_b32 exec_lo, exec_lo, s27
.LBB314_890:                            ;   in Loop: Header=BB314_16 Depth=1
	s_or_b32 exec_lo, exec_lo, s26
.LBB314_891:                            ;   in Loop: Header=BB314_16 Depth=1
	s_or_b32 exec_lo, exec_lo, s25
	v_mov_b32_e32 v0, 0
	v_lshrrev_b16 v7, 8, v7
	s_mov_b32 s25, exec_lo
	buffer_store_dword v0, off, s[0:3], s32 offset:620 ; 4-byte Folded Spill
	v_mov_b32_e32 v0, 0
	buffer_store_dword v0, off, s[0:3], s32 offset:624 ; 4-byte Folded Spill
	v_cmpx_ne_u16_e32 0, v7
	s_cbranch_execz .LBB314_899
; %bb.892:                              ;   in Loop: Header=BB314_16 Depth=1
	v_bfrev_b32_e32 v0, 1
	s_mov_b32 s26, exec_lo
	buffer_store_dword v0, off, s[0:3], s32 offset:624 ; 4-byte Folded Spill
	v_cmpx_ne_u16_e32 0x80, v7
	s_cbranch_execz .LBB314_898
; %bb.893:                              ;   in Loop: Header=BB314_16 Depth=1
	v_mov_b32_e32 v0, 0x7f
	s_mov_b32 s27, exec_lo
	v_and_b32_sdwa v2, v7, v0 dst_sel:DWORD dst_unused:UNUSED_PAD src0_sel:WORD_0 src1_sel:DWORD
	v_mov_b32_e32 v0, 0x7c010000
	buffer_store_dword v0, off, s[0:3], s32 offset:624 ; 4-byte Folded Spill
	v_cmpx_ne_u32_e32 0x7f, v2
	s_cbranch_execz .LBB314_897
; %bb.894:                              ;   in Loop: Header=BB314_16 Depth=1
	v_mov_b32_e32 v0, 7
	v_lshrrev_b32_e32 v1, 3, v2
	s_mov_b32 s28, exec_lo
	v_and_b32_sdwa v0, v7, v0 dst_sel:DWORD dst_unused:UNUSED_PAD src0_sel:WORD_0 src1_sel:DWORD
	v_cmpx_gt_u32_e32 8, v2
; %bb.895:                              ;   in Loop: Header=BB314_16 Depth=1
	v_ffbh_u32_e32 v0, v0
	v_min_u32_e32 v2, 32, v0
	v_subrev_nc_u32_e32 v0, 28, v2
	v_lshlrev_b64 v[0:1], v0, v[7:8]
	v_sub_nc_u32_e32 v1, 29, v2
	v_and_b32_e32 v0, 7, v0
; %bb.896:                              ;   in Loop: Header=BB314_16 Depth=1
	s_or_b32 exec_lo, exec_lo, s28
	v_mov_b32_e32 v2, 8
	v_lshl_add_u32 v1, v1, 10, 0x2000
	v_lshlrev_b32_e32 v0, 23, v0
	v_lshlrev_b32_sdwa v2, v2, v7 dst_sel:DWORD dst_unused:UNUSED_PAD src0_sel:DWORD src1_sel:WORD_0
	v_and_or_b32 v1, 0x8000, v2, v1
	v_lshl_or_b32 v0, v1, 16, v0
	buffer_store_dword v0, off, s[0:3], s32 offset:624 ; 4-byte Folded Spill
.LBB314_897:                            ;   in Loop: Header=BB314_16 Depth=1
	s_or_b32 exec_lo, exec_lo, s27
.LBB314_898:                            ;   in Loop: Header=BB314_16 Depth=1
	s_or_b32 exec_lo, exec_lo, s26
.LBB314_899:                            ;   in Loop: Header=BB314_16 Depth=1
	s_or_b32 exec_lo, exec_lo, s25
	v_lshrrev_b32_e32 v7, 16, v36
	v_cmp_ne_u16_sdwa s5, v7, v8 src0_sel:BYTE_0 src1_sel:DWORD
	s_and_saveexec_b32 s25, s5
	s_cbranch_execz .LBB314_907
; %bb.900:                              ;   in Loop: Header=BB314_16 Depth=1
	v_cmp_ne_u16_sdwa s5, v7, v70 src0_sel:BYTE_0 src1_sel:DWORD
	v_mov_b32_e32 v0, 0x8000
	buffer_store_dword v0, off, s[0:3], s32 offset:620 ; 4-byte Folded Spill
	s_and_saveexec_b32 s26, s5
	s_cbranch_execz .LBB314_906
; %bb.901:                              ;   in Loop: Header=BB314_16 Depth=1
	v_bfe_u32 v2, v36, 16, 7
	v_mov_b32_e32 v0, 0x7c01
	s_mov_b32 s27, exec_lo
	buffer_store_dword v0, off, s[0:3], s32 offset:620 ; 4-byte Folded Spill
	v_cmpx_ne_u32_e32 0x7f, v2
	s_cbranch_execz .LBB314_905
; %bb.902:                              ;   in Loop: Header=BB314_16 Depth=1
	v_and_b32_e32 v0, 7, v7
	v_lshrrev_b32_e32 v1, 3, v2
	s_mov_b32 s28, exec_lo
	v_cmpx_gt_u32_e32 8, v2
; %bb.903:                              ;   in Loop: Header=BB314_16 Depth=1
	v_ffbh_u32_e32 v0, v0
	v_min_u32_e32 v2, 32, v0
	v_subrev_nc_u32_e32 v0, 28, v2
	v_lshlrev_b64 v[0:1], v0, v[7:8]
	v_sub_nc_u32_e32 v1, 29, v2
	v_and_b32_e32 v0, 7, v0
; %bb.904:                              ;   in Loop: Header=BB314_16 Depth=1
	s_or_b32 exec_lo, exec_lo, s28
	v_lshlrev_b32_e32 v2, 8, v7
	v_lshl_add_u32 v1, v1, 10, 0x2000
	v_lshlrev_b32_e32 v0, 7, v0
	v_and_b32_e32 v2, 0x8000, v2
	v_and_b32_e32 v1, 0xfc00, v1
	v_or3_b32 v0, v2, v1, v0
	buffer_store_dword v0, off, s[0:3], s32 offset:620 ; 4-byte Folded Spill
.LBB314_905:                            ;   in Loop: Header=BB314_16 Depth=1
	s_or_b32 exec_lo, exec_lo, s27
.LBB314_906:                            ;   in Loop: Header=BB314_16 Depth=1
	s_or_b32 exec_lo, exec_lo, s26
.LBB314_907:                            ;   in Loop: Header=BB314_16 Depth=1
	s_or_b32 exec_lo, exec_lo, s25
	v_mov_b32_e32 v0, 0
	s_mov_b32 s25, exec_lo
	buffer_store_dword v0, off, s[0:3], s32 offset:628 ; 4-byte Folded Spill
	v_mov_b32_e32 v0, 0
	buffer_store_dword v0, off, s[0:3], s32 offset:808 ; 4-byte Folded Spill
	v_cmpx_lt_u64_e64 s[20:21], v[35:36]
	s_cbranch_execz .LBB314_915
; %bb.908:                              ;   in Loop: Header=BB314_16 Depth=1
	v_lshrrev_b32_e32 v7, 24, v36
	v_bfrev_b32_e32 v0, 1
	s_mov_b32 s26, exec_lo
	v_cmpx_ne_u32_e32 0x80, v7
	s_cbranch_execz .LBB314_914
; %bb.909:                              ;   in Loop: Header=BB314_16 Depth=1
	v_and_b32_e32 v2, 0x7f, v7
	v_mov_b32_e32 v0, 0x7c010000
	s_mov_b32 s27, exec_lo
	v_cmpx_ne_u32_e32 0x7f, v2
	s_cbranch_execz .LBB314_913
; %bb.910:                              ;   in Loop: Header=BB314_16 Depth=1
	v_and_b32_e32 v0, 7, v7
	v_lshrrev_b32_e32 v1, 3, v2
	s_mov_b32 s28, exec_lo
	v_cmpx_gt_u32_e32 8, v2
; %bb.911:                              ;   in Loop: Header=BB314_16 Depth=1
	v_ffbh_u32_e32 v0, v0
	v_min_u32_e32 v2, 32, v0
	v_subrev_nc_u32_e32 v0, 28, v2
	v_lshlrev_b64 v[0:1], v0, v[7:8]
	v_sub_nc_u32_e32 v1, 29, v2
	v_and_b32_e32 v0, 7, v0
; %bb.912:                              ;   in Loop: Header=BB314_16 Depth=1
	s_or_b32 exec_lo, exec_lo, s28
	v_lshlrev_b32_e32 v2, 8, v7
	v_lshl_add_u32 v1, v1, 10, 0x2000
	v_lshlrev_b32_e32 v0, 23, v0
	v_and_or_b32 v1, 0x8000, v2, v1
	v_lshl_or_b32 v0, v1, 16, v0
.LBB314_913:                            ;   in Loop: Header=BB314_16 Depth=1
	s_or_b32 exec_lo, exec_lo, s27
.LBB314_914:                            ;   in Loop: Header=BB314_16 Depth=1
	s_or_b32 exec_lo, exec_lo, s26
	buffer_store_dword v0, off, s[0:3], s32 offset:808 ; 4-byte Folded Spill
.LBB314_915:                            ;   in Loop: Header=BB314_16 Depth=1
	s_or_b32 exec_lo, exec_lo, s25
	flat_load_dwordx2 v[35:36], v[33:34] offset:1536
	s_waitcnt vmcnt(0) lgkmcnt(0)
	v_cmp_ne_u16_sdwa s5, v35, v8 src0_sel:BYTE_0 src1_sel:DWORD
	s_and_saveexec_b32 s25, s5
	s_cbranch_execz .LBB314_923
; %bb.916:                              ;   in Loop: Header=BB314_16 Depth=1
	v_cmp_ne_u16_sdwa s5, v35, v70 src0_sel:BYTE_0 src1_sel:DWORD
	v_mov_b32_e32 v0, 0x8000
	buffer_store_dword v0, off, s[0:3], s32 offset:628 ; 4-byte Folded Spill
	s_and_saveexec_b32 s26, s5
	s_cbranch_execz .LBB314_922
; %bb.917:                              ;   in Loop: Header=BB314_16 Depth=1
	v_and_b32_e32 v2, 0x7f, v35
	v_mov_b32_e32 v0, 0x7c01
	s_mov_b32 s27, exec_lo
	buffer_store_dword v0, off, s[0:3], s32 offset:628 ; 4-byte Folded Spill
	v_cmpx_ne_u32_e32 0x7f, v2
	s_cbranch_execz .LBB314_921
; %bb.918:                              ;   in Loop: Header=BB314_16 Depth=1
	v_and_b32_e32 v0, 7, v35
	v_lshrrev_b32_e32 v1, 3, v2
	s_mov_b32 s28, exec_lo
	v_cmpx_gt_u32_e32 8, v2
; %bb.919:                              ;   in Loop: Header=BB314_16 Depth=1
	v_ffbh_u32_e32 v0, v0
	v_min_u32_e32 v2, 32, v0
	v_subrev_nc_u32_e32 v0, 28, v2
	v_lshlrev_b64 v[0:1], v0, v[35:36]
	v_sub_nc_u32_e32 v1, 29, v2
	v_and_b32_e32 v0, 7, v0
; %bb.920:                              ;   in Loop: Header=BB314_16 Depth=1
	s_or_b32 exec_lo, exec_lo, s28
	v_lshlrev_b32_e32 v2, 8, v35
	v_lshl_add_u32 v1, v1, 10, 0x2000
	v_lshlrev_b32_e32 v0, 7, v0
	v_and_b32_e32 v2, 0x8000, v2
	v_and_b32_e32 v1, 0xfc00, v1
	v_or3_b32 v0, v2, v1, v0
	buffer_store_dword v0, off, s[0:3], s32 offset:628 ; 4-byte Folded Spill
.LBB314_921:                            ;   in Loop: Header=BB314_16 Depth=1
	s_or_b32 exec_lo, exec_lo, s27
.LBB314_922:                            ;   in Loop: Header=BB314_16 Depth=1
	s_or_b32 exec_lo, exec_lo, s26
.LBB314_923:                            ;   in Loop: Header=BB314_16 Depth=1
	s_or_b32 exec_lo, exec_lo, s25
	v_mov_b32_e32 v0, 0
	v_lshrrev_b16 v7, 8, v35
	s_mov_b32 s25, exec_lo
	buffer_store_dword v0, off, s[0:3], s32 offset:636 ; 4-byte Folded Spill
	v_mov_b32_e32 v0, 0
	buffer_store_dword v0, off, s[0:3], s32 offset:632 ; 4-byte Folded Spill
	v_cmpx_ne_u16_e32 0, v7
	s_cbranch_execz .LBB314_931
; %bb.924:                              ;   in Loop: Header=BB314_16 Depth=1
	v_bfrev_b32_e32 v0, 1
	s_mov_b32 s26, exec_lo
	buffer_store_dword v0, off, s[0:3], s32 offset:632 ; 4-byte Folded Spill
	v_cmpx_ne_u16_e32 0x80, v7
	s_cbranch_execz .LBB314_930
; %bb.925:                              ;   in Loop: Header=BB314_16 Depth=1
	v_mov_b32_e32 v0, 0x7f
	s_mov_b32 s27, exec_lo
	v_and_b32_sdwa v2, v7, v0 dst_sel:DWORD dst_unused:UNUSED_PAD src0_sel:WORD_0 src1_sel:DWORD
	v_mov_b32_e32 v0, 0x7c010000
	buffer_store_dword v0, off, s[0:3], s32 offset:632 ; 4-byte Folded Spill
	v_cmpx_ne_u32_e32 0x7f, v2
	s_cbranch_execz .LBB314_929
; %bb.926:                              ;   in Loop: Header=BB314_16 Depth=1
	v_mov_b32_e32 v0, 7
	v_lshrrev_b32_e32 v1, 3, v2
	s_mov_b32 s28, exec_lo
	v_and_b32_sdwa v0, v7, v0 dst_sel:DWORD dst_unused:UNUSED_PAD src0_sel:WORD_0 src1_sel:DWORD
	v_cmpx_gt_u32_e32 8, v2
; %bb.927:                              ;   in Loop: Header=BB314_16 Depth=1
	v_ffbh_u32_e32 v0, v0
	v_min_u32_e32 v2, 32, v0
	v_subrev_nc_u32_e32 v0, 28, v2
	v_lshlrev_b64 v[0:1], v0, v[7:8]
	v_sub_nc_u32_e32 v1, 29, v2
	v_and_b32_e32 v0, 7, v0
; %bb.928:                              ;   in Loop: Header=BB314_16 Depth=1
	s_or_b32 exec_lo, exec_lo, s28
	v_mov_b32_e32 v2, 8
	v_lshl_add_u32 v1, v1, 10, 0x2000
	v_lshlrev_b32_e32 v0, 23, v0
	v_lshlrev_b32_sdwa v2, v2, v7 dst_sel:DWORD dst_unused:UNUSED_PAD src0_sel:DWORD src1_sel:WORD_0
	v_and_or_b32 v1, 0x8000, v2, v1
	v_lshl_or_b32 v0, v1, 16, v0
	buffer_store_dword v0, off, s[0:3], s32 offset:632 ; 4-byte Folded Spill
.LBB314_929:                            ;   in Loop: Header=BB314_16 Depth=1
	s_or_b32 exec_lo, exec_lo, s27
.LBB314_930:                            ;   in Loop: Header=BB314_16 Depth=1
	s_or_b32 exec_lo, exec_lo, s26
.LBB314_931:                            ;   in Loop: Header=BB314_16 Depth=1
	s_or_b32 exec_lo, exec_lo, s25
	v_lshrrev_b32_e32 v7, 16, v35
	v_cmp_ne_u16_sdwa s5, v7, v8 src0_sel:BYTE_0 src1_sel:DWORD
	s_and_saveexec_b32 s25, s5
	s_cbranch_execz .LBB314_939
; %bb.932:                              ;   in Loop: Header=BB314_16 Depth=1
	v_cmp_ne_u16_sdwa s5, v7, v70 src0_sel:BYTE_0 src1_sel:DWORD
	v_mov_b32_e32 v0, 0x8000
	buffer_store_dword v0, off, s[0:3], s32 offset:636 ; 4-byte Folded Spill
	s_and_saveexec_b32 s26, s5
	s_cbranch_execz .LBB314_938
; %bb.933:                              ;   in Loop: Header=BB314_16 Depth=1
	v_bfe_u32 v2, v35, 16, 7
	v_mov_b32_e32 v0, 0x7c01
	s_mov_b32 s27, exec_lo
	buffer_store_dword v0, off, s[0:3], s32 offset:636 ; 4-byte Folded Spill
	v_cmpx_ne_u32_e32 0x7f, v2
	s_cbranch_execz .LBB314_937
; %bb.934:                              ;   in Loop: Header=BB314_16 Depth=1
	v_and_b32_e32 v0, 7, v7
	v_lshrrev_b32_e32 v1, 3, v2
	s_mov_b32 s28, exec_lo
	v_cmpx_gt_u32_e32 8, v2
; %bb.935:                              ;   in Loop: Header=BB314_16 Depth=1
	v_ffbh_u32_e32 v0, v0
	v_min_u32_e32 v2, 32, v0
	v_subrev_nc_u32_e32 v0, 28, v2
	v_lshlrev_b64 v[0:1], v0, v[7:8]
	v_sub_nc_u32_e32 v1, 29, v2
	v_and_b32_e32 v0, 7, v0
; %bb.936:                              ;   in Loop: Header=BB314_16 Depth=1
	s_or_b32 exec_lo, exec_lo, s28
	v_lshlrev_b32_e32 v2, 8, v7
	v_lshl_add_u32 v1, v1, 10, 0x2000
	v_lshlrev_b32_e32 v0, 7, v0
	v_and_b32_e32 v2, 0x8000, v2
	v_and_b32_e32 v1, 0xfc00, v1
	v_or3_b32 v0, v2, v1, v0
	buffer_store_dword v0, off, s[0:3], s32 offset:636 ; 4-byte Folded Spill
.LBB314_937:                            ;   in Loop: Header=BB314_16 Depth=1
	s_or_b32 exec_lo, exec_lo, s27
.LBB314_938:                            ;   in Loop: Header=BB314_16 Depth=1
	s_or_b32 exec_lo, exec_lo, s26
.LBB314_939:                            ;   in Loop: Header=BB314_16 Depth=1
	s_or_b32 exec_lo, exec_lo, s25
	v_mov_b32_e32 v0, 0
	s_mov_b32 s25, exec_lo
	buffer_store_dword v0, off, s[0:3], s32 offset:640 ; 4-byte Folded Spill
	v_mov_b32_e32 v0, 0
	buffer_store_dword v0, off, s[0:3], s32 offset:644 ; 4-byte Folded Spill
	v_cmpx_lt_u32_e32 0xffffff, v35
	s_cbranch_execz .LBB314_947
; %bb.940:                              ;   in Loop: Header=BB314_16 Depth=1
	v_lshrrev_b32_e32 v7, 24, v35
	v_bfrev_b32_e32 v0, 1
	s_mov_b32 s26, exec_lo
	buffer_store_dword v0, off, s[0:3], s32 offset:644 ; 4-byte Folded Spill
	v_cmpx_ne_u32_e32 0x80, v7
	s_cbranch_execz .LBB314_946
; %bb.941:                              ;   in Loop: Header=BB314_16 Depth=1
	v_and_b32_e32 v2, 0x7f, v7
	v_mov_b32_e32 v0, 0x7c010000
	s_mov_b32 s27, exec_lo
	buffer_store_dword v0, off, s[0:3], s32 offset:644 ; 4-byte Folded Spill
	v_cmpx_ne_u32_e32 0x7f, v2
	s_cbranch_execz .LBB314_945
; %bb.942:                              ;   in Loop: Header=BB314_16 Depth=1
	v_and_b32_e32 v0, 7, v7
	v_lshrrev_b32_e32 v1, 3, v2
	s_mov_b32 s28, exec_lo
	v_cmpx_gt_u32_e32 8, v2
; %bb.943:                              ;   in Loop: Header=BB314_16 Depth=1
	v_ffbh_u32_e32 v0, v0
	v_min_u32_e32 v2, 32, v0
	v_subrev_nc_u32_e32 v0, 28, v2
	v_lshlrev_b64 v[0:1], v0, v[7:8]
	v_sub_nc_u32_e32 v1, 29, v2
	v_and_b32_e32 v0, 7, v0
; %bb.944:                              ;   in Loop: Header=BB314_16 Depth=1
	s_or_b32 exec_lo, exec_lo, s28
	v_lshlrev_b32_e32 v2, 8, v7
	v_lshl_add_u32 v1, v1, 10, 0x2000
	v_lshlrev_b32_e32 v0, 23, v0
	v_and_or_b32 v1, 0x8000, v2, v1
	v_lshl_or_b32 v0, v1, 16, v0
	buffer_store_dword v0, off, s[0:3], s32 offset:644 ; 4-byte Folded Spill
.LBB314_945:                            ;   in Loop: Header=BB314_16 Depth=1
	s_or_b32 exec_lo, exec_lo, s27
.LBB314_946:                            ;   in Loop: Header=BB314_16 Depth=1
	s_or_b32 exec_lo, exec_lo, s26
.LBB314_947:                            ;   in Loop: Header=BB314_16 Depth=1
	s_or_b32 exec_lo, exec_lo, s25
	v_mov_b32_e32 v7, v36
	v_cmp_ne_u16_sdwa s5, v36, v8 src0_sel:BYTE_0 src1_sel:DWORD
	s_and_saveexec_b32 s25, s5
	s_cbranch_execz .LBB314_955
; %bb.948:                              ;   in Loop: Header=BB314_16 Depth=1
	v_cmp_ne_u16_sdwa s5, v36, v70 src0_sel:BYTE_0 src1_sel:DWORD
	v_mov_b32_e32 v0, 0x8000
	buffer_store_dword v0, off, s[0:3], s32 offset:640 ; 4-byte Folded Spill
	s_and_saveexec_b32 s26, s5
	s_cbranch_execz .LBB314_954
; %bb.949:                              ;   in Loop: Header=BB314_16 Depth=1
	v_and_b32_e32 v2, 0x7f, v36
	v_mov_b32_e32 v0, 0x7c01
	s_mov_b32 s27, exec_lo
	buffer_store_dword v0, off, s[0:3], s32 offset:640 ; 4-byte Folded Spill
	v_cmpx_ne_u32_e32 0x7f, v2
	s_cbranch_execz .LBB314_953
; %bb.950:                              ;   in Loop: Header=BB314_16 Depth=1
	v_and_b32_e32 v0, 7, v36
	v_lshrrev_b32_e32 v1, 3, v2
	s_mov_b32 s28, exec_lo
	v_cmpx_gt_u32_e32 8, v2
; %bb.951:                              ;   in Loop: Header=BB314_16 Depth=1
	v_ffbh_u32_e32 v0, v0
	v_min_u32_e32 v2, 32, v0
	v_subrev_nc_u32_e32 v0, 28, v2
	v_lshlrev_b64 v[0:1], v0, v[7:8]
	v_sub_nc_u32_e32 v1, 29, v2
	v_and_b32_e32 v0, 7, v0
; %bb.952:                              ;   in Loop: Header=BB314_16 Depth=1
	s_or_b32 exec_lo, exec_lo, s28
	v_lshlrev_b32_e32 v2, 8, v36
	v_lshl_add_u32 v1, v1, 10, 0x2000
	v_lshlrev_b32_e32 v0, 7, v0
	v_and_b32_e32 v2, 0x8000, v2
	v_and_b32_e32 v1, 0xfc00, v1
	v_or3_b32 v0, v2, v1, v0
	buffer_store_dword v0, off, s[0:3], s32 offset:640 ; 4-byte Folded Spill
.LBB314_953:                            ;   in Loop: Header=BB314_16 Depth=1
	s_or_b32 exec_lo, exec_lo, s27
.LBB314_954:                            ;   in Loop: Header=BB314_16 Depth=1
	s_or_b32 exec_lo, exec_lo, s26
.LBB314_955:                            ;   in Loop: Header=BB314_16 Depth=1
	s_or_b32 exec_lo, exec_lo, s25
	v_mov_b32_e32 v0, 0
	v_lshrrev_b16 v7, 8, v7
	s_mov_b32 s25, exec_lo
	buffer_store_dword v0, off, s[0:3], s32 offset:648 ; 4-byte Folded Spill
	v_mov_b32_e32 v0, 0
	buffer_store_dword v0, off, s[0:3], s32 offset:652 ; 4-byte Folded Spill
	v_cmpx_ne_u16_e32 0, v7
	s_cbranch_execz .LBB314_963
; %bb.956:                              ;   in Loop: Header=BB314_16 Depth=1
	v_bfrev_b32_e32 v0, 1
	s_mov_b32 s26, exec_lo
	buffer_store_dword v0, off, s[0:3], s32 offset:652 ; 4-byte Folded Spill
	v_cmpx_ne_u16_e32 0x80, v7
	s_cbranch_execz .LBB314_962
; %bb.957:                              ;   in Loop: Header=BB314_16 Depth=1
	v_mov_b32_e32 v0, 0x7f
	s_mov_b32 s27, exec_lo
	v_and_b32_sdwa v2, v7, v0 dst_sel:DWORD dst_unused:UNUSED_PAD src0_sel:WORD_0 src1_sel:DWORD
	v_mov_b32_e32 v0, 0x7c010000
	buffer_store_dword v0, off, s[0:3], s32 offset:652 ; 4-byte Folded Spill
	v_cmpx_ne_u32_e32 0x7f, v2
	s_cbranch_execz .LBB314_961
; %bb.958:                              ;   in Loop: Header=BB314_16 Depth=1
	v_mov_b32_e32 v0, 7
	v_lshrrev_b32_e32 v1, 3, v2
	s_mov_b32 s28, exec_lo
	v_and_b32_sdwa v0, v7, v0 dst_sel:DWORD dst_unused:UNUSED_PAD src0_sel:WORD_0 src1_sel:DWORD
	v_cmpx_gt_u32_e32 8, v2
; %bb.959:                              ;   in Loop: Header=BB314_16 Depth=1
	v_ffbh_u32_e32 v0, v0
	v_min_u32_e32 v2, 32, v0
	v_subrev_nc_u32_e32 v0, 28, v2
	v_lshlrev_b64 v[0:1], v0, v[7:8]
	v_sub_nc_u32_e32 v1, 29, v2
	v_and_b32_e32 v0, 7, v0
; %bb.960:                              ;   in Loop: Header=BB314_16 Depth=1
	s_or_b32 exec_lo, exec_lo, s28
	v_mov_b32_e32 v2, 8
	v_lshl_add_u32 v1, v1, 10, 0x2000
	v_lshlrev_b32_e32 v0, 23, v0
	v_lshlrev_b32_sdwa v2, v2, v7 dst_sel:DWORD dst_unused:UNUSED_PAD src0_sel:DWORD src1_sel:WORD_0
	v_and_or_b32 v1, 0x8000, v2, v1
	v_lshl_or_b32 v0, v1, 16, v0
	buffer_store_dword v0, off, s[0:3], s32 offset:652 ; 4-byte Folded Spill
.LBB314_961:                            ;   in Loop: Header=BB314_16 Depth=1
	s_or_b32 exec_lo, exec_lo, s27
.LBB314_962:                            ;   in Loop: Header=BB314_16 Depth=1
	s_or_b32 exec_lo, exec_lo, s26
.LBB314_963:                            ;   in Loop: Header=BB314_16 Depth=1
	s_or_b32 exec_lo, exec_lo, s25
	v_lshrrev_b32_e32 v7, 16, v36
	v_cmp_ne_u16_sdwa s5, v7, v8 src0_sel:BYTE_0 src1_sel:DWORD
	s_and_saveexec_b32 s25, s5
	s_cbranch_execz .LBB314_971
; %bb.964:                              ;   in Loop: Header=BB314_16 Depth=1
	v_cmp_ne_u16_sdwa s5, v7, v70 src0_sel:BYTE_0 src1_sel:DWORD
	v_mov_b32_e32 v0, 0x8000
	buffer_store_dword v0, off, s[0:3], s32 offset:648 ; 4-byte Folded Spill
	s_and_saveexec_b32 s26, s5
	s_cbranch_execz .LBB314_970
; %bb.965:                              ;   in Loop: Header=BB314_16 Depth=1
	v_bfe_u32 v2, v36, 16, 7
	v_mov_b32_e32 v0, 0x7c01
	s_mov_b32 s27, exec_lo
	buffer_store_dword v0, off, s[0:3], s32 offset:648 ; 4-byte Folded Spill
	v_cmpx_ne_u32_e32 0x7f, v2
	s_cbranch_execz .LBB314_969
; %bb.966:                              ;   in Loop: Header=BB314_16 Depth=1
	v_and_b32_e32 v0, 7, v7
	v_lshrrev_b32_e32 v1, 3, v2
	s_mov_b32 s28, exec_lo
	v_cmpx_gt_u32_e32 8, v2
; %bb.967:                              ;   in Loop: Header=BB314_16 Depth=1
	v_ffbh_u32_e32 v0, v0
	v_min_u32_e32 v2, 32, v0
	v_subrev_nc_u32_e32 v0, 28, v2
	v_lshlrev_b64 v[0:1], v0, v[7:8]
	v_sub_nc_u32_e32 v1, 29, v2
	v_and_b32_e32 v0, 7, v0
; %bb.968:                              ;   in Loop: Header=BB314_16 Depth=1
	s_or_b32 exec_lo, exec_lo, s28
	v_lshlrev_b32_e32 v2, 8, v7
	v_lshl_add_u32 v1, v1, 10, 0x2000
	v_lshlrev_b32_e32 v0, 7, v0
	v_and_b32_e32 v2, 0x8000, v2
	v_and_b32_e32 v1, 0xfc00, v1
	v_or3_b32 v0, v2, v1, v0
	buffer_store_dword v0, off, s[0:3], s32 offset:648 ; 4-byte Folded Spill
.LBB314_969:                            ;   in Loop: Header=BB314_16 Depth=1
	s_or_b32 exec_lo, exec_lo, s27
.LBB314_970:                            ;   in Loop: Header=BB314_16 Depth=1
	s_or_b32 exec_lo, exec_lo, s26
.LBB314_971:                            ;   in Loop: Header=BB314_16 Depth=1
	s_or_b32 exec_lo, exec_lo, s25
	v_mov_b32_e32 v0, 0
	s_mov_b32 s25, exec_lo
	buffer_store_dword v0, off, s[0:3], s32 offset:656 ; 4-byte Folded Spill
	v_mov_b32_e32 v0, 0
	buffer_store_dword v0, off, s[0:3], s32 offset:812 ; 4-byte Folded Spill
	v_cmpx_lt_u64_e64 s[20:21], v[35:36]
	s_cbranch_execz .LBB314_979
; %bb.972:                              ;   in Loop: Header=BB314_16 Depth=1
	v_lshrrev_b32_e32 v7, 24, v36
	v_bfrev_b32_e32 v0, 1
	s_mov_b32 s26, exec_lo
	v_cmpx_ne_u32_e32 0x80, v7
	s_cbranch_execz .LBB314_978
; %bb.973:                              ;   in Loop: Header=BB314_16 Depth=1
	v_and_b32_e32 v2, 0x7f, v7
	v_mov_b32_e32 v0, 0x7c010000
	s_mov_b32 s27, exec_lo
	v_cmpx_ne_u32_e32 0x7f, v2
	s_cbranch_execz .LBB314_977
; %bb.974:                              ;   in Loop: Header=BB314_16 Depth=1
	v_and_b32_e32 v0, 7, v7
	v_lshrrev_b32_e32 v1, 3, v2
	s_mov_b32 s28, exec_lo
	v_cmpx_gt_u32_e32 8, v2
; %bb.975:                              ;   in Loop: Header=BB314_16 Depth=1
	v_ffbh_u32_e32 v0, v0
	v_min_u32_e32 v2, 32, v0
	v_subrev_nc_u32_e32 v0, 28, v2
	v_lshlrev_b64 v[0:1], v0, v[7:8]
	v_sub_nc_u32_e32 v1, 29, v2
	v_and_b32_e32 v0, 7, v0
; %bb.976:                              ;   in Loop: Header=BB314_16 Depth=1
	s_or_b32 exec_lo, exec_lo, s28
	v_lshlrev_b32_e32 v2, 8, v7
	v_lshl_add_u32 v1, v1, 10, 0x2000
	v_lshlrev_b32_e32 v0, 23, v0
	v_and_or_b32 v1, 0x8000, v2, v1
	v_lshl_or_b32 v0, v1, 16, v0
.LBB314_977:                            ;   in Loop: Header=BB314_16 Depth=1
	s_or_b32 exec_lo, exec_lo, s27
.LBB314_978:                            ;   in Loop: Header=BB314_16 Depth=1
	s_or_b32 exec_lo, exec_lo, s26
	buffer_store_dword v0, off, s[0:3], s32 offset:812 ; 4-byte Folded Spill
.LBB314_979:                            ;   in Loop: Header=BB314_16 Depth=1
	s_or_b32 exec_lo, exec_lo, s25
	flat_load_dwordx2 v[33:34], v[33:34] offset:1544
	s_waitcnt vmcnt(0) lgkmcnt(0)
	v_cmp_ne_u16_sdwa s5, v33, v8 src0_sel:BYTE_0 src1_sel:DWORD
	s_and_saveexec_b32 s25, s5
	s_cbranch_execz .LBB314_987
; %bb.980:                              ;   in Loop: Header=BB314_16 Depth=1
	v_cmp_ne_u16_sdwa s5, v33, v70 src0_sel:BYTE_0 src1_sel:DWORD
	v_mov_b32_e32 v0, 0x8000
	buffer_store_dword v0, off, s[0:3], s32 offset:656 ; 4-byte Folded Spill
	s_and_saveexec_b32 s26, s5
	s_cbranch_execz .LBB314_986
; %bb.981:                              ;   in Loop: Header=BB314_16 Depth=1
	v_and_b32_e32 v2, 0x7f, v33
	v_mov_b32_e32 v0, 0x7c01
	s_mov_b32 s27, exec_lo
	buffer_store_dword v0, off, s[0:3], s32 offset:656 ; 4-byte Folded Spill
	v_cmpx_ne_u32_e32 0x7f, v2
	s_cbranch_execz .LBB314_985
; %bb.982:                              ;   in Loop: Header=BB314_16 Depth=1
	v_and_b32_e32 v0, 7, v33
	v_lshrrev_b32_e32 v1, 3, v2
	s_mov_b32 s28, exec_lo
	v_cmpx_gt_u32_e32 8, v2
; %bb.983:                              ;   in Loop: Header=BB314_16 Depth=1
	v_ffbh_u32_e32 v0, v0
	v_min_u32_e32 v2, 32, v0
	v_subrev_nc_u32_e32 v0, 28, v2
	v_lshlrev_b64 v[0:1], v0, v[33:34]
	v_sub_nc_u32_e32 v1, 29, v2
	v_and_b32_e32 v0, 7, v0
; %bb.984:                              ;   in Loop: Header=BB314_16 Depth=1
	s_or_b32 exec_lo, exec_lo, s28
	v_lshlrev_b32_e32 v2, 8, v33
	v_lshl_add_u32 v1, v1, 10, 0x2000
	v_lshlrev_b32_e32 v0, 7, v0
	v_and_b32_e32 v2, 0x8000, v2
	v_and_b32_e32 v1, 0xfc00, v1
	v_or3_b32 v0, v2, v1, v0
	buffer_store_dword v0, off, s[0:3], s32 offset:656 ; 4-byte Folded Spill
.LBB314_985:                            ;   in Loop: Header=BB314_16 Depth=1
	s_or_b32 exec_lo, exec_lo, s27
.LBB314_986:                            ;   in Loop: Header=BB314_16 Depth=1
	s_or_b32 exec_lo, exec_lo, s26
.LBB314_987:                            ;   in Loop: Header=BB314_16 Depth=1
	s_or_b32 exec_lo, exec_lo, s25
	v_mov_b32_e32 v0, 0
	v_lshrrev_b16 v7, 8, v33
	s_mov_b32 s25, exec_lo
	buffer_store_dword v0, off, s[0:3], s32 offset:664 ; 4-byte Folded Spill
	v_mov_b32_e32 v0, 0
	buffer_store_dword v0, off, s[0:3], s32 offset:660 ; 4-byte Folded Spill
	v_cmpx_ne_u16_e32 0, v7
	s_cbranch_execz .LBB314_995
; %bb.988:                              ;   in Loop: Header=BB314_16 Depth=1
	v_bfrev_b32_e32 v0, 1
	s_mov_b32 s26, exec_lo
	buffer_store_dword v0, off, s[0:3], s32 offset:660 ; 4-byte Folded Spill
	v_cmpx_ne_u16_e32 0x80, v7
	s_cbranch_execz .LBB314_994
; %bb.989:                              ;   in Loop: Header=BB314_16 Depth=1
	v_mov_b32_e32 v0, 0x7f
	s_mov_b32 s27, exec_lo
	v_and_b32_sdwa v2, v7, v0 dst_sel:DWORD dst_unused:UNUSED_PAD src0_sel:WORD_0 src1_sel:DWORD
	v_mov_b32_e32 v0, 0x7c010000
	buffer_store_dword v0, off, s[0:3], s32 offset:660 ; 4-byte Folded Spill
	v_cmpx_ne_u32_e32 0x7f, v2
	s_cbranch_execz .LBB314_993
; %bb.990:                              ;   in Loop: Header=BB314_16 Depth=1
	v_mov_b32_e32 v0, 7
	v_lshrrev_b32_e32 v1, 3, v2
	s_mov_b32 s28, exec_lo
	v_and_b32_sdwa v0, v7, v0 dst_sel:DWORD dst_unused:UNUSED_PAD src0_sel:WORD_0 src1_sel:DWORD
	v_cmpx_gt_u32_e32 8, v2
; %bb.991:                              ;   in Loop: Header=BB314_16 Depth=1
	v_ffbh_u32_e32 v0, v0
	v_min_u32_e32 v2, 32, v0
	v_subrev_nc_u32_e32 v0, 28, v2
	v_lshlrev_b64 v[0:1], v0, v[7:8]
	v_sub_nc_u32_e32 v1, 29, v2
	v_and_b32_e32 v0, 7, v0
; %bb.992:                              ;   in Loop: Header=BB314_16 Depth=1
	s_or_b32 exec_lo, exec_lo, s28
	v_mov_b32_e32 v2, 8
	v_lshl_add_u32 v1, v1, 10, 0x2000
	v_lshlrev_b32_e32 v0, 23, v0
	v_lshlrev_b32_sdwa v2, v2, v7 dst_sel:DWORD dst_unused:UNUSED_PAD src0_sel:DWORD src1_sel:WORD_0
	v_and_or_b32 v1, 0x8000, v2, v1
	v_lshl_or_b32 v0, v1, 16, v0
	buffer_store_dword v0, off, s[0:3], s32 offset:660 ; 4-byte Folded Spill
.LBB314_993:                            ;   in Loop: Header=BB314_16 Depth=1
	s_or_b32 exec_lo, exec_lo, s27
.LBB314_994:                            ;   in Loop: Header=BB314_16 Depth=1
	s_or_b32 exec_lo, exec_lo, s26
.LBB314_995:                            ;   in Loop: Header=BB314_16 Depth=1
	s_or_b32 exec_lo, exec_lo, s25
	v_lshrrev_b32_e32 v7, 16, v33
	v_cmp_ne_u16_sdwa s5, v7, v8 src0_sel:BYTE_0 src1_sel:DWORD
	s_and_saveexec_b32 s25, s5
	s_cbranch_execz .LBB314_1003
; %bb.996:                              ;   in Loop: Header=BB314_16 Depth=1
	v_cmp_ne_u16_sdwa s5, v7, v70 src0_sel:BYTE_0 src1_sel:DWORD
	v_mov_b32_e32 v0, 0x8000
	buffer_store_dword v0, off, s[0:3], s32 offset:664 ; 4-byte Folded Spill
	s_and_saveexec_b32 s26, s5
	s_cbranch_execz .LBB314_1002
; %bb.997:                              ;   in Loop: Header=BB314_16 Depth=1
	v_bfe_u32 v2, v33, 16, 7
	v_mov_b32_e32 v0, 0x7c01
	s_mov_b32 s27, exec_lo
	buffer_store_dword v0, off, s[0:3], s32 offset:664 ; 4-byte Folded Spill
	v_cmpx_ne_u32_e32 0x7f, v2
	s_cbranch_execz .LBB314_1001
; %bb.998:                              ;   in Loop: Header=BB314_16 Depth=1
	v_and_b32_e32 v0, 7, v7
	v_lshrrev_b32_e32 v1, 3, v2
	s_mov_b32 s28, exec_lo
	v_cmpx_gt_u32_e32 8, v2
; %bb.999:                              ;   in Loop: Header=BB314_16 Depth=1
	v_ffbh_u32_e32 v0, v0
	v_min_u32_e32 v2, 32, v0
	v_subrev_nc_u32_e32 v0, 28, v2
	v_lshlrev_b64 v[0:1], v0, v[7:8]
	v_sub_nc_u32_e32 v1, 29, v2
	v_and_b32_e32 v0, 7, v0
; %bb.1000:                             ;   in Loop: Header=BB314_16 Depth=1
	s_or_b32 exec_lo, exec_lo, s28
	v_lshlrev_b32_e32 v2, 8, v7
	v_lshl_add_u32 v1, v1, 10, 0x2000
	v_lshlrev_b32_e32 v0, 7, v0
	v_and_b32_e32 v2, 0x8000, v2
	v_and_b32_e32 v1, 0xfc00, v1
	v_or3_b32 v0, v2, v1, v0
	buffer_store_dword v0, off, s[0:3], s32 offset:664 ; 4-byte Folded Spill
.LBB314_1001:                           ;   in Loop: Header=BB314_16 Depth=1
	s_or_b32 exec_lo, exec_lo, s27
.LBB314_1002:                           ;   in Loop: Header=BB314_16 Depth=1
	s_or_b32 exec_lo, exec_lo, s26
.LBB314_1003:                           ;   in Loop: Header=BB314_16 Depth=1
	s_or_b32 exec_lo, exec_lo, s25
	v_mov_b32_e32 v0, 0
	s_mov_b32 s25, exec_lo
	buffer_store_dword v0, off, s[0:3], s32 offset:668 ; 4-byte Folded Spill
	v_mov_b32_e32 v0, 0
	buffer_store_dword v0, off, s[0:3], s32 offset:672 ; 4-byte Folded Spill
	v_cmpx_lt_u32_e32 0xffffff, v33
	s_cbranch_execz .LBB314_1011
; %bb.1004:                             ;   in Loop: Header=BB314_16 Depth=1
	v_lshrrev_b32_e32 v7, 24, v33
	v_bfrev_b32_e32 v0, 1
	s_mov_b32 s26, exec_lo
	buffer_store_dword v0, off, s[0:3], s32 offset:672 ; 4-byte Folded Spill
	v_cmpx_ne_u32_e32 0x80, v7
	s_cbranch_execz .LBB314_1010
; %bb.1005:                             ;   in Loop: Header=BB314_16 Depth=1
	v_and_b32_e32 v2, 0x7f, v7
	v_mov_b32_e32 v0, 0x7c010000
	s_mov_b32 s27, exec_lo
	buffer_store_dword v0, off, s[0:3], s32 offset:672 ; 4-byte Folded Spill
	v_cmpx_ne_u32_e32 0x7f, v2
	s_cbranch_execz .LBB314_1009
; %bb.1006:                             ;   in Loop: Header=BB314_16 Depth=1
	v_and_b32_e32 v0, 7, v7
	v_lshrrev_b32_e32 v1, 3, v2
	s_mov_b32 s28, exec_lo
	v_cmpx_gt_u32_e32 8, v2
; %bb.1007:                             ;   in Loop: Header=BB314_16 Depth=1
	v_ffbh_u32_e32 v0, v0
	v_min_u32_e32 v2, 32, v0
	v_subrev_nc_u32_e32 v0, 28, v2
	v_lshlrev_b64 v[0:1], v0, v[7:8]
	v_sub_nc_u32_e32 v1, 29, v2
	v_and_b32_e32 v0, 7, v0
; %bb.1008:                             ;   in Loop: Header=BB314_16 Depth=1
	s_or_b32 exec_lo, exec_lo, s28
	v_lshlrev_b32_e32 v2, 8, v7
	v_lshl_add_u32 v1, v1, 10, 0x2000
	v_lshlrev_b32_e32 v0, 23, v0
	v_and_or_b32 v1, 0x8000, v2, v1
	v_lshl_or_b32 v0, v1, 16, v0
	buffer_store_dword v0, off, s[0:3], s32 offset:672 ; 4-byte Folded Spill
.LBB314_1009:                           ;   in Loop: Header=BB314_16 Depth=1
	s_or_b32 exec_lo, exec_lo, s27
.LBB314_1010:                           ;   in Loop: Header=BB314_16 Depth=1
	s_or_b32 exec_lo, exec_lo, s26
.LBB314_1011:                           ;   in Loop: Header=BB314_16 Depth=1
	s_or_b32 exec_lo, exec_lo, s25
	v_mov_b32_e32 v7, v34
	v_cmp_ne_u16_sdwa s5, v34, v8 src0_sel:BYTE_0 src1_sel:DWORD
	s_and_saveexec_b32 s25, s5
	s_cbranch_execz .LBB314_1019
; %bb.1012:                             ;   in Loop: Header=BB314_16 Depth=1
	v_cmp_ne_u16_sdwa s5, v34, v70 src0_sel:BYTE_0 src1_sel:DWORD
	v_mov_b32_e32 v0, 0x8000
	buffer_store_dword v0, off, s[0:3], s32 offset:668 ; 4-byte Folded Spill
	s_and_saveexec_b32 s26, s5
	s_cbranch_execz .LBB314_1018
; %bb.1013:                             ;   in Loop: Header=BB314_16 Depth=1
	v_and_b32_e32 v2, 0x7f, v34
	v_mov_b32_e32 v0, 0x7c01
	s_mov_b32 s27, exec_lo
	buffer_store_dword v0, off, s[0:3], s32 offset:668 ; 4-byte Folded Spill
	v_cmpx_ne_u32_e32 0x7f, v2
	s_cbranch_execz .LBB314_1017
; %bb.1014:                             ;   in Loop: Header=BB314_16 Depth=1
	v_and_b32_e32 v0, 7, v34
	v_lshrrev_b32_e32 v1, 3, v2
	s_mov_b32 s28, exec_lo
	v_cmpx_gt_u32_e32 8, v2
; %bb.1015:                             ;   in Loop: Header=BB314_16 Depth=1
	v_ffbh_u32_e32 v0, v0
	v_min_u32_e32 v2, 32, v0
	v_subrev_nc_u32_e32 v0, 28, v2
	v_lshlrev_b64 v[0:1], v0, v[7:8]
	v_sub_nc_u32_e32 v1, 29, v2
	v_and_b32_e32 v0, 7, v0
; %bb.1016:                             ;   in Loop: Header=BB314_16 Depth=1
	s_or_b32 exec_lo, exec_lo, s28
	v_lshlrev_b32_e32 v2, 8, v34
	v_lshl_add_u32 v1, v1, 10, 0x2000
	v_lshlrev_b32_e32 v0, 7, v0
	v_and_b32_e32 v2, 0x8000, v2
	v_and_b32_e32 v1, 0xfc00, v1
	v_or3_b32 v0, v2, v1, v0
	buffer_store_dword v0, off, s[0:3], s32 offset:668 ; 4-byte Folded Spill
.LBB314_1017:                           ;   in Loop: Header=BB314_16 Depth=1
	s_or_b32 exec_lo, exec_lo, s27
.LBB314_1018:                           ;   in Loop: Header=BB314_16 Depth=1
	s_or_b32 exec_lo, exec_lo, s26
.LBB314_1019:                           ;   in Loop: Header=BB314_16 Depth=1
	s_or_b32 exec_lo, exec_lo, s25
	v_mov_b32_e32 v0, 0
	v_lshrrev_b16 v7, 8, v7
	s_mov_b32 s25, exec_lo
	buffer_store_dword v0, off, s[0:3], s32 offset:676 ; 4-byte Folded Spill
	v_mov_b32_e32 v0, 0
	buffer_store_dword v0, off, s[0:3], s32 offset:680 ; 4-byte Folded Spill
	v_cmpx_ne_u16_e32 0, v7
	s_cbranch_execz .LBB314_1027
; %bb.1020:                             ;   in Loop: Header=BB314_16 Depth=1
	v_bfrev_b32_e32 v0, 1
	s_mov_b32 s26, exec_lo
	buffer_store_dword v0, off, s[0:3], s32 offset:680 ; 4-byte Folded Spill
	v_cmpx_ne_u16_e32 0x80, v7
	s_cbranch_execz .LBB314_1026
; %bb.1021:                             ;   in Loop: Header=BB314_16 Depth=1
	v_mov_b32_e32 v0, 0x7f
	s_mov_b32 s27, exec_lo
	v_and_b32_sdwa v2, v7, v0 dst_sel:DWORD dst_unused:UNUSED_PAD src0_sel:WORD_0 src1_sel:DWORD
	v_mov_b32_e32 v0, 0x7c010000
	buffer_store_dword v0, off, s[0:3], s32 offset:680 ; 4-byte Folded Spill
	v_cmpx_ne_u32_e32 0x7f, v2
	s_cbranch_execz .LBB314_1025
; %bb.1022:                             ;   in Loop: Header=BB314_16 Depth=1
	v_mov_b32_e32 v0, 7
	v_lshrrev_b32_e32 v1, 3, v2
	s_mov_b32 s28, exec_lo
	v_and_b32_sdwa v0, v7, v0 dst_sel:DWORD dst_unused:UNUSED_PAD src0_sel:WORD_0 src1_sel:DWORD
	v_cmpx_gt_u32_e32 8, v2
; %bb.1023:                             ;   in Loop: Header=BB314_16 Depth=1
	v_ffbh_u32_e32 v0, v0
	v_min_u32_e32 v2, 32, v0
	v_subrev_nc_u32_e32 v0, 28, v2
	v_lshlrev_b64 v[0:1], v0, v[7:8]
	v_sub_nc_u32_e32 v1, 29, v2
	v_and_b32_e32 v0, 7, v0
; %bb.1024:                             ;   in Loop: Header=BB314_16 Depth=1
	s_or_b32 exec_lo, exec_lo, s28
	v_mov_b32_e32 v2, 8
	v_lshl_add_u32 v1, v1, 10, 0x2000
	v_lshlrev_b32_e32 v0, 23, v0
	v_lshlrev_b32_sdwa v2, v2, v7 dst_sel:DWORD dst_unused:UNUSED_PAD src0_sel:DWORD src1_sel:WORD_0
	v_and_or_b32 v1, 0x8000, v2, v1
	v_lshl_or_b32 v0, v1, 16, v0
	buffer_store_dword v0, off, s[0:3], s32 offset:680 ; 4-byte Folded Spill
.LBB314_1025:                           ;   in Loop: Header=BB314_16 Depth=1
	s_or_b32 exec_lo, exec_lo, s27
.LBB314_1026:                           ;   in Loop: Header=BB314_16 Depth=1
	s_or_b32 exec_lo, exec_lo, s26
.LBB314_1027:                           ;   in Loop: Header=BB314_16 Depth=1
	s_or_b32 exec_lo, exec_lo, s25
	v_lshrrev_b32_e32 v7, 16, v34
	v_cmp_ne_u16_sdwa s5, v7, v8 src0_sel:BYTE_0 src1_sel:DWORD
	s_and_saveexec_b32 s25, s5
	s_cbranch_execz .LBB314_1035
; %bb.1028:                             ;   in Loop: Header=BB314_16 Depth=1
	v_cmp_ne_u16_sdwa s5, v7, v70 src0_sel:BYTE_0 src1_sel:DWORD
	v_mov_b32_e32 v0, 0x8000
	buffer_store_dword v0, off, s[0:3], s32 offset:676 ; 4-byte Folded Spill
	s_and_saveexec_b32 s26, s5
	s_cbranch_execz .LBB314_1034
; %bb.1029:                             ;   in Loop: Header=BB314_16 Depth=1
	v_bfe_u32 v2, v34, 16, 7
	v_mov_b32_e32 v0, 0x7c01
	s_mov_b32 s27, exec_lo
	buffer_store_dword v0, off, s[0:3], s32 offset:676 ; 4-byte Folded Spill
	v_cmpx_ne_u32_e32 0x7f, v2
	s_cbranch_execz .LBB314_1033
; %bb.1030:                             ;   in Loop: Header=BB314_16 Depth=1
	v_and_b32_e32 v0, 7, v7
	v_lshrrev_b32_e32 v1, 3, v2
	s_mov_b32 s28, exec_lo
	v_cmpx_gt_u32_e32 8, v2
; %bb.1031:                             ;   in Loop: Header=BB314_16 Depth=1
	v_ffbh_u32_e32 v0, v0
	v_min_u32_e32 v2, 32, v0
	v_subrev_nc_u32_e32 v0, 28, v2
	v_lshlrev_b64 v[0:1], v0, v[7:8]
	v_sub_nc_u32_e32 v1, 29, v2
	v_and_b32_e32 v0, 7, v0
; %bb.1032:                             ;   in Loop: Header=BB314_16 Depth=1
	s_or_b32 exec_lo, exec_lo, s28
	v_lshlrev_b32_e32 v2, 8, v7
	v_lshl_add_u32 v1, v1, 10, 0x2000
	v_lshlrev_b32_e32 v0, 7, v0
	v_and_b32_e32 v2, 0x8000, v2
	v_and_b32_e32 v1, 0xfc00, v1
	v_or3_b32 v0, v2, v1, v0
	buffer_store_dword v0, off, s[0:3], s32 offset:676 ; 4-byte Folded Spill
.LBB314_1033:                           ;   in Loop: Header=BB314_16 Depth=1
	s_or_b32 exec_lo, exec_lo, s27
.LBB314_1034:                           ;   in Loop: Header=BB314_16 Depth=1
	s_or_b32 exec_lo, exec_lo, s26
.LBB314_1035:                           ;   in Loop: Header=BB314_16 Depth=1
	s_or_b32 exec_lo, exec_lo, s25
	v_mov_b32_e32 v0, 0
	v_mov_b32_e32 v3, 0
	s_mov_b32 s25, exec_lo
	buffer_store_dword v0, off, s[0:3], s32 offset:684 ; 4-byte Folded Spill
	v_cmpx_lt_u64_e64 s[20:21], v[33:34]
	s_cbranch_execz .LBB314_1043
; %bb.1036:                             ;   in Loop: Header=BB314_16 Depth=1
	v_lshrrev_b32_e32 v7, 24, v34
	v_bfrev_b32_e32 v3, 1
	s_mov_b32 s26, exec_lo
	v_cmpx_ne_u32_e32 0x80, v7
	s_cbranch_execz .LBB314_1042
; %bb.1037:                             ;   in Loop: Header=BB314_16 Depth=1
	v_and_b32_e32 v2, 0x7f, v7
	v_mov_b32_e32 v3, 0x7c010000
	s_mov_b32 s27, exec_lo
	v_cmpx_ne_u32_e32 0x7f, v2
	s_cbranch_execz .LBB314_1041
; %bb.1038:                             ;   in Loop: Header=BB314_16 Depth=1
	v_and_b32_e32 v0, 7, v7
	v_lshrrev_b32_e32 v1, 3, v2
	s_mov_b32 s28, exec_lo
	v_cmpx_gt_u32_e32 8, v2
; %bb.1039:                             ;   in Loop: Header=BB314_16 Depth=1
	v_ffbh_u32_e32 v0, v0
	v_min_u32_e32 v2, 32, v0
	v_subrev_nc_u32_e32 v0, 28, v2
	v_lshlrev_b64 v[0:1], v0, v[7:8]
	v_sub_nc_u32_e32 v1, 29, v2
	v_and_b32_e32 v0, 7, v0
; %bb.1040:                             ;   in Loop: Header=BB314_16 Depth=1
	s_or_b32 exec_lo, exec_lo, s28
	v_lshlrev_b32_e32 v2, 8, v7
	v_lshl_add_u32 v1, v1, 10, 0x2000
	v_lshlrev_b32_e32 v0, 23, v0
	v_and_or_b32 v1, 0x8000, v2, v1
	v_lshl_or_b32 v3, v1, 16, v0
.LBB314_1041:                           ;   in Loop: Header=BB314_16 Depth=1
	s_or_b32 exec_lo, exec_lo, s27
.LBB314_1042:                           ;   in Loop: Header=BB314_16 Depth=1
	s_or_b32 exec_lo, exec_lo, s26
.LBB314_1043:                           ;   in Loop: Header=BB314_16 Depth=1
	s_or_b32 exec_lo, exec_lo, s25
	v_add_co_u32 v33, s5, 0x1000, v31
	v_add_co_ci_u32_e64 v34, null, 0, v32, s5
	flat_load_dwordx2 v[35:36], v[33:34]
	s_waitcnt vmcnt(0) lgkmcnt(0)
	v_cmp_ne_u16_sdwa s5, v35, v8 src0_sel:BYTE_0 src1_sel:DWORD
	s_and_saveexec_b32 s25, s5
	s_cbranch_execz .LBB314_1051
; %bb.1044:                             ;   in Loop: Header=BB314_16 Depth=1
	v_cmp_ne_u16_sdwa s5, v35, v70 src0_sel:BYTE_0 src1_sel:DWORD
	v_mov_b32_e32 v0, 0x8000
	buffer_store_dword v0, off, s[0:3], s32 offset:684 ; 4-byte Folded Spill
	s_and_saveexec_b32 s26, s5
	s_cbranch_execz .LBB314_1050
; %bb.1045:                             ;   in Loop: Header=BB314_16 Depth=1
	v_and_b32_e32 v2, 0x7f, v35
	v_mov_b32_e32 v0, 0x7c01
	s_mov_b32 s27, exec_lo
	buffer_store_dword v0, off, s[0:3], s32 offset:684 ; 4-byte Folded Spill
	v_cmpx_ne_u32_e32 0x7f, v2
	s_cbranch_execz .LBB314_1049
; %bb.1046:                             ;   in Loop: Header=BB314_16 Depth=1
	v_and_b32_e32 v0, 7, v35
	v_lshrrev_b32_e32 v1, 3, v2
	s_mov_b32 s28, exec_lo
	v_cmpx_gt_u32_e32 8, v2
; %bb.1047:                             ;   in Loop: Header=BB314_16 Depth=1
	v_ffbh_u32_e32 v0, v0
	v_min_u32_e32 v2, 32, v0
	v_subrev_nc_u32_e32 v0, 28, v2
	v_lshlrev_b64 v[0:1], v0, v[35:36]
	v_sub_nc_u32_e32 v1, 29, v2
	v_and_b32_e32 v0, 7, v0
; %bb.1048:                             ;   in Loop: Header=BB314_16 Depth=1
	s_or_b32 exec_lo, exec_lo, s28
	v_lshlrev_b32_e32 v2, 8, v35
	v_lshl_add_u32 v1, v1, 10, 0x2000
	v_lshlrev_b32_e32 v0, 7, v0
	v_and_b32_e32 v2, 0x8000, v2
	v_and_b32_e32 v1, 0xfc00, v1
	v_or3_b32 v0, v2, v1, v0
	buffer_store_dword v0, off, s[0:3], s32 offset:684 ; 4-byte Folded Spill
.LBB314_1049:                           ;   in Loop: Header=BB314_16 Depth=1
	s_or_b32 exec_lo, exec_lo, s27
.LBB314_1050:                           ;   in Loop: Header=BB314_16 Depth=1
	s_or_b32 exec_lo, exec_lo, s26
.LBB314_1051:                           ;   in Loop: Header=BB314_16 Depth=1
	s_or_b32 exec_lo, exec_lo, s25
	v_lshrrev_b16 v7, 8, v35
	v_mov_b32_e32 v0, 0
	v_mov_b32_e32 v37, 0
	s_mov_b32 s25, exec_lo
	buffer_store_dword v0, off, s[0:3], s32 offset:688 ; 4-byte Folded Spill
	v_cmpx_ne_u16_e32 0, v7
	s_cbranch_execz .LBB314_1059
; %bb.1052:                             ;   in Loop: Header=BB314_16 Depth=1
	v_bfrev_b32_e32 v37, 1
	s_mov_b32 s26, exec_lo
	v_cmpx_ne_u16_e32 0x80, v7
	s_cbranch_execz .LBB314_1058
; %bb.1053:                             ;   in Loop: Header=BB314_16 Depth=1
	v_mov_b32_e32 v0, 0x7f
	v_mov_b32_e32 v37, 0x7c010000
	s_mov_b32 s27, exec_lo
	v_and_b32_sdwa v2, v7, v0 dst_sel:DWORD dst_unused:UNUSED_PAD src0_sel:WORD_0 src1_sel:DWORD
	v_cmpx_ne_u32_e32 0x7f, v2
	s_cbranch_execz .LBB314_1057
; %bb.1054:                             ;   in Loop: Header=BB314_16 Depth=1
	v_mov_b32_e32 v0, 7
	v_lshrrev_b32_e32 v1, 3, v2
	s_mov_b32 s28, exec_lo
	v_and_b32_sdwa v0, v7, v0 dst_sel:DWORD dst_unused:UNUSED_PAD src0_sel:WORD_0 src1_sel:DWORD
	v_cmpx_gt_u32_e32 8, v2
; %bb.1055:                             ;   in Loop: Header=BB314_16 Depth=1
	v_ffbh_u32_e32 v0, v0
	v_min_u32_e32 v2, 32, v0
	v_subrev_nc_u32_e32 v0, 28, v2
	v_lshlrev_b64 v[0:1], v0, v[7:8]
	v_sub_nc_u32_e32 v1, 29, v2
	v_and_b32_e32 v0, 7, v0
; %bb.1056:                             ;   in Loop: Header=BB314_16 Depth=1
	s_or_b32 exec_lo, exec_lo, s28
	v_mov_b32_e32 v2, 8
	v_lshl_add_u32 v1, v1, 10, 0x2000
	v_lshlrev_b32_e32 v0, 23, v0
	v_lshlrev_b32_sdwa v2, v2, v7 dst_sel:DWORD dst_unused:UNUSED_PAD src0_sel:DWORD src1_sel:WORD_0
	v_and_or_b32 v1, 0x8000, v2, v1
	v_lshl_or_b32 v37, v1, 16, v0
.LBB314_1057:                           ;   in Loop: Header=BB314_16 Depth=1
	s_or_b32 exec_lo, exec_lo, s27
.LBB314_1058:                           ;   in Loop: Header=BB314_16 Depth=1
	s_or_b32 exec_lo, exec_lo, s26
.LBB314_1059:                           ;   in Loop: Header=BB314_16 Depth=1
	s_or_b32 exec_lo, exec_lo, s25
	v_lshrrev_b32_e32 v7, 16, v35
	v_cmp_ne_u16_sdwa s5, v7, v8 src0_sel:BYTE_0 src1_sel:DWORD
	s_and_saveexec_b32 s25, s5
	s_cbranch_execz .LBB314_1067
; %bb.1060:                             ;   in Loop: Header=BB314_16 Depth=1
	v_cmp_ne_u16_sdwa s5, v7, v70 src0_sel:BYTE_0 src1_sel:DWORD
	v_mov_b32_e32 v0, 0x8000
	buffer_store_dword v0, off, s[0:3], s32 offset:688 ; 4-byte Folded Spill
	s_and_saveexec_b32 s26, s5
	s_cbranch_execz .LBB314_1066
; %bb.1061:                             ;   in Loop: Header=BB314_16 Depth=1
	v_bfe_u32 v2, v35, 16, 7
	v_mov_b32_e32 v0, 0x7c01
	s_mov_b32 s27, exec_lo
	buffer_store_dword v0, off, s[0:3], s32 offset:688 ; 4-byte Folded Spill
	v_cmpx_ne_u32_e32 0x7f, v2
	s_cbranch_execz .LBB314_1065
; %bb.1062:                             ;   in Loop: Header=BB314_16 Depth=1
	v_and_b32_e32 v0, 7, v7
	v_lshrrev_b32_e32 v1, 3, v2
	s_mov_b32 s28, exec_lo
	v_cmpx_gt_u32_e32 8, v2
; %bb.1063:                             ;   in Loop: Header=BB314_16 Depth=1
	v_ffbh_u32_e32 v0, v0
	v_min_u32_e32 v2, 32, v0
	v_subrev_nc_u32_e32 v0, 28, v2
	v_lshlrev_b64 v[0:1], v0, v[7:8]
	v_sub_nc_u32_e32 v1, 29, v2
	v_and_b32_e32 v0, 7, v0
; %bb.1064:                             ;   in Loop: Header=BB314_16 Depth=1
	s_or_b32 exec_lo, exec_lo, s28
	v_lshlrev_b32_e32 v2, 8, v7
	v_lshl_add_u32 v1, v1, 10, 0x2000
	v_lshlrev_b32_e32 v0, 7, v0
	v_and_b32_e32 v2, 0x8000, v2
	v_and_b32_e32 v1, 0xfc00, v1
	v_or3_b32 v0, v2, v1, v0
	buffer_store_dword v0, off, s[0:3], s32 offset:688 ; 4-byte Folded Spill
.LBB314_1065:                           ;   in Loop: Header=BB314_16 Depth=1
	s_or_b32 exec_lo, exec_lo, s27
.LBB314_1066:                           ;   in Loop: Header=BB314_16 Depth=1
	s_or_b32 exec_lo, exec_lo, s26
.LBB314_1067:                           ;   in Loop: Header=BB314_16 Depth=1
	s_or_b32 exec_lo, exec_lo, s25
	v_mov_b32_e32 v0, 0
	v_mov_b32_e32 v98, 0
	s_mov_b32 s25, exec_lo
	buffer_store_dword v0, off, s[0:3], s32 offset:692 ; 4-byte Folded Spill
	v_cmpx_lt_u32_e32 0xffffff, v35
	s_cbranch_execz .LBB314_1075
; %bb.1068:                             ;   in Loop: Header=BB314_16 Depth=1
	v_lshrrev_b32_e32 v7, 24, v35
	v_bfrev_b32_e32 v98, 1
	s_mov_b32 s26, exec_lo
	v_cmpx_ne_u32_e32 0x80, v7
	s_cbranch_execz .LBB314_1074
; %bb.1069:                             ;   in Loop: Header=BB314_16 Depth=1
	v_and_b32_e32 v2, 0x7f, v7
	v_mov_b32_e32 v98, 0x7c010000
	s_mov_b32 s27, exec_lo
	v_cmpx_ne_u32_e32 0x7f, v2
	s_cbranch_execz .LBB314_1073
; %bb.1070:                             ;   in Loop: Header=BB314_16 Depth=1
	v_and_b32_e32 v0, 7, v7
	v_lshrrev_b32_e32 v1, 3, v2
	s_mov_b32 s28, exec_lo
	v_cmpx_gt_u32_e32 8, v2
; %bb.1071:                             ;   in Loop: Header=BB314_16 Depth=1
	v_ffbh_u32_e32 v0, v0
	v_min_u32_e32 v2, 32, v0
	v_subrev_nc_u32_e32 v0, 28, v2
	v_lshlrev_b64 v[0:1], v0, v[7:8]
	v_sub_nc_u32_e32 v1, 29, v2
	v_and_b32_e32 v0, 7, v0
; %bb.1072:                             ;   in Loop: Header=BB314_16 Depth=1
	s_or_b32 exec_lo, exec_lo, s28
	v_lshlrev_b32_e32 v2, 8, v7
	v_lshl_add_u32 v1, v1, 10, 0x2000
	v_lshlrev_b32_e32 v0, 23, v0
	v_and_or_b32 v1, 0x8000, v2, v1
	v_lshl_or_b32 v98, v1, 16, v0
.LBB314_1073:                           ;   in Loop: Header=BB314_16 Depth=1
	s_or_b32 exec_lo, exec_lo, s27
.LBB314_1074:                           ;   in Loop: Header=BB314_16 Depth=1
	s_or_b32 exec_lo, exec_lo, s26
.LBB314_1075:                           ;   in Loop: Header=BB314_16 Depth=1
	s_or_b32 exec_lo, exec_lo, s25
	v_mov_b32_e32 v7, v36
	v_cmp_ne_u16_sdwa s5, v36, v8 src0_sel:BYTE_0 src1_sel:DWORD
	s_and_saveexec_b32 s25, s5
	s_cbranch_execz .LBB314_1083
; %bb.1076:                             ;   in Loop: Header=BB314_16 Depth=1
	v_cmp_ne_u16_sdwa s5, v36, v70 src0_sel:BYTE_0 src1_sel:DWORD
	v_mov_b32_e32 v0, 0x8000
	buffer_store_dword v0, off, s[0:3], s32 offset:692 ; 4-byte Folded Spill
	s_and_saveexec_b32 s26, s5
	s_cbranch_execz .LBB314_1082
; %bb.1077:                             ;   in Loop: Header=BB314_16 Depth=1
	v_and_b32_e32 v2, 0x7f, v36
	v_mov_b32_e32 v0, 0x7c01
	s_mov_b32 s27, exec_lo
	buffer_store_dword v0, off, s[0:3], s32 offset:692 ; 4-byte Folded Spill
	v_cmpx_ne_u32_e32 0x7f, v2
	s_cbranch_execz .LBB314_1081
; %bb.1078:                             ;   in Loop: Header=BB314_16 Depth=1
	v_and_b32_e32 v0, 7, v36
	v_lshrrev_b32_e32 v1, 3, v2
	s_mov_b32 s28, exec_lo
	v_cmpx_gt_u32_e32 8, v2
; %bb.1079:                             ;   in Loop: Header=BB314_16 Depth=1
	v_ffbh_u32_e32 v0, v0
	v_min_u32_e32 v2, 32, v0
	v_subrev_nc_u32_e32 v0, 28, v2
	v_lshlrev_b64 v[0:1], v0, v[7:8]
	v_sub_nc_u32_e32 v1, 29, v2
	v_and_b32_e32 v0, 7, v0
; %bb.1080:                             ;   in Loop: Header=BB314_16 Depth=1
	s_or_b32 exec_lo, exec_lo, s28
	v_lshlrev_b32_e32 v2, 8, v36
	v_lshl_add_u32 v1, v1, 10, 0x2000
	v_lshlrev_b32_e32 v0, 7, v0
	v_and_b32_e32 v2, 0x8000, v2
	v_and_b32_e32 v1, 0xfc00, v1
	v_or3_b32 v0, v2, v1, v0
	buffer_store_dword v0, off, s[0:3], s32 offset:692 ; 4-byte Folded Spill
.LBB314_1081:                           ;   in Loop: Header=BB314_16 Depth=1
	s_or_b32 exec_lo, exec_lo, s27
.LBB314_1082:                           ;   in Loop: Header=BB314_16 Depth=1
	s_or_b32 exec_lo, exec_lo, s26
.LBB314_1083:                           ;   in Loop: Header=BB314_16 Depth=1
	s_or_b32 exec_lo, exec_lo, s25
	v_lshrrev_b16 v7, 8, v7
	v_mov_b32_e32 v0, 0
	v_mov_b32_e32 v107, 0
	s_mov_b32 s25, exec_lo
	buffer_store_dword v0, off, s[0:3], s32 offset:696 ; 4-byte Folded Spill
	v_cmpx_ne_u16_e32 0, v7
	s_cbranch_execz .LBB314_1091
; %bb.1084:                             ;   in Loop: Header=BB314_16 Depth=1
	v_bfrev_b32_e32 v107, 1
	s_mov_b32 s26, exec_lo
	v_cmpx_ne_u16_e32 0x80, v7
	s_cbranch_execz .LBB314_1090
; %bb.1085:                             ;   in Loop: Header=BB314_16 Depth=1
	v_mov_b32_e32 v0, 0x7f
	v_mov_b32_e32 v107, 0x7c010000
	s_mov_b32 s27, exec_lo
	v_and_b32_sdwa v2, v7, v0 dst_sel:DWORD dst_unused:UNUSED_PAD src0_sel:WORD_0 src1_sel:DWORD
	v_cmpx_ne_u32_e32 0x7f, v2
	s_cbranch_execz .LBB314_1089
; %bb.1086:                             ;   in Loop: Header=BB314_16 Depth=1
	v_mov_b32_e32 v0, 7
	v_lshrrev_b32_e32 v1, 3, v2
	s_mov_b32 s28, exec_lo
	v_and_b32_sdwa v0, v7, v0 dst_sel:DWORD dst_unused:UNUSED_PAD src0_sel:WORD_0 src1_sel:DWORD
	v_cmpx_gt_u32_e32 8, v2
; %bb.1087:                             ;   in Loop: Header=BB314_16 Depth=1
	v_ffbh_u32_e32 v0, v0
	v_min_u32_e32 v2, 32, v0
	v_subrev_nc_u32_e32 v0, 28, v2
	v_lshlrev_b64 v[0:1], v0, v[7:8]
	v_sub_nc_u32_e32 v1, 29, v2
	v_and_b32_e32 v0, 7, v0
; %bb.1088:                             ;   in Loop: Header=BB314_16 Depth=1
	s_or_b32 exec_lo, exec_lo, s28
	v_mov_b32_e32 v2, 8
	v_lshl_add_u32 v1, v1, 10, 0x2000
	v_lshlrev_b32_e32 v0, 23, v0
	v_lshlrev_b32_sdwa v2, v2, v7 dst_sel:DWORD dst_unused:UNUSED_PAD src0_sel:DWORD src1_sel:WORD_0
	v_and_or_b32 v1, 0x8000, v2, v1
	v_lshl_or_b32 v107, v1, 16, v0
.LBB314_1089:                           ;   in Loop: Header=BB314_16 Depth=1
	s_or_b32 exec_lo, exec_lo, s27
.LBB314_1090:                           ;   in Loop: Header=BB314_16 Depth=1
	s_or_b32 exec_lo, exec_lo, s26
.LBB314_1091:                           ;   in Loop: Header=BB314_16 Depth=1
	s_or_b32 exec_lo, exec_lo, s25
	v_lshrrev_b32_e32 v7, 16, v36
	v_cmp_ne_u16_sdwa s5, v7, v8 src0_sel:BYTE_0 src1_sel:DWORD
	s_and_saveexec_b32 s25, s5
	s_cbranch_execz .LBB314_1099
; %bb.1092:                             ;   in Loop: Header=BB314_16 Depth=1
	v_cmp_ne_u16_sdwa s5, v7, v70 src0_sel:BYTE_0 src1_sel:DWORD
	v_mov_b32_e32 v0, 0x8000
	buffer_store_dword v0, off, s[0:3], s32 offset:696 ; 4-byte Folded Spill
	s_and_saveexec_b32 s26, s5
	s_cbranch_execz .LBB314_1098
; %bb.1093:                             ;   in Loop: Header=BB314_16 Depth=1
	v_bfe_u32 v2, v36, 16, 7
	v_mov_b32_e32 v0, 0x7c01
	s_mov_b32 s27, exec_lo
	buffer_store_dword v0, off, s[0:3], s32 offset:696 ; 4-byte Folded Spill
	v_cmpx_ne_u32_e32 0x7f, v2
	s_cbranch_execz .LBB314_1097
; %bb.1094:                             ;   in Loop: Header=BB314_16 Depth=1
	v_and_b32_e32 v0, 7, v7
	v_lshrrev_b32_e32 v1, 3, v2
	s_mov_b32 s28, exec_lo
	v_cmpx_gt_u32_e32 8, v2
; %bb.1095:                             ;   in Loop: Header=BB314_16 Depth=1
	v_ffbh_u32_e32 v0, v0
	v_min_u32_e32 v2, 32, v0
	v_subrev_nc_u32_e32 v0, 28, v2
	v_lshlrev_b64 v[0:1], v0, v[7:8]
	v_sub_nc_u32_e32 v1, 29, v2
	v_and_b32_e32 v0, 7, v0
; %bb.1096:                             ;   in Loop: Header=BB314_16 Depth=1
	s_or_b32 exec_lo, exec_lo, s28
	v_lshlrev_b32_e32 v2, 8, v7
	v_lshl_add_u32 v1, v1, 10, 0x2000
	v_lshlrev_b32_e32 v0, 7, v0
	v_and_b32_e32 v2, 0x8000, v2
	v_and_b32_e32 v1, 0xfc00, v1
	v_or3_b32 v0, v2, v1, v0
	buffer_store_dword v0, off, s[0:3], s32 offset:696 ; 4-byte Folded Spill
.LBB314_1097:                           ;   in Loop: Header=BB314_16 Depth=1
	s_or_b32 exec_lo, exec_lo, s27
.LBB314_1098:                           ;   in Loop: Header=BB314_16 Depth=1
	s_or_b32 exec_lo, exec_lo, s26
.LBB314_1099:                           ;   in Loop: Header=BB314_16 Depth=1
	s_or_b32 exec_lo, exec_lo, s25
	v_mov_b32_e32 v0, 0
	v_mov_b32_e32 v63, 0
	s_mov_b32 s25, exec_lo
	buffer_store_dword v0, off, s[0:3], s32 offset:700 ; 4-byte Folded Spill
	v_cmpx_lt_u64_e64 s[20:21], v[35:36]
	s_cbranch_execz .LBB314_1107
; %bb.1100:                             ;   in Loop: Header=BB314_16 Depth=1
	v_lshrrev_b32_e32 v7, 24, v36
	v_bfrev_b32_e32 v63, 1
	s_mov_b32 s26, exec_lo
	v_cmpx_ne_u32_e32 0x80, v7
	s_cbranch_execz .LBB314_1106
; %bb.1101:                             ;   in Loop: Header=BB314_16 Depth=1
	v_and_b32_e32 v2, 0x7f, v7
	v_mov_b32_e32 v63, 0x7c010000
	s_mov_b32 s27, exec_lo
	v_cmpx_ne_u32_e32 0x7f, v2
	s_cbranch_execz .LBB314_1105
; %bb.1102:                             ;   in Loop: Header=BB314_16 Depth=1
	v_and_b32_e32 v0, 7, v7
	v_lshrrev_b32_e32 v1, 3, v2
	s_mov_b32 s28, exec_lo
	v_cmpx_gt_u32_e32 8, v2
; %bb.1103:                             ;   in Loop: Header=BB314_16 Depth=1
	v_ffbh_u32_e32 v0, v0
	v_min_u32_e32 v2, 32, v0
	v_subrev_nc_u32_e32 v0, 28, v2
	v_lshlrev_b64 v[0:1], v0, v[7:8]
	v_sub_nc_u32_e32 v1, 29, v2
	v_and_b32_e32 v0, 7, v0
; %bb.1104:                             ;   in Loop: Header=BB314_16 Depth=1
	s_or_b32 exec_lo, exec_lo, s28
	v_lshlrev_b32_e32 v2, 8, v7
	v_lshl_add_u32 v1, v1, 10, 0x2000
	v_lshlrev_b32_e32 v0, 23, v0
	v_and_or_b32 v1, 0x8000, v2, v1
	v_lshl_or_b32 v63, v1, 16, v0
.LBB314_1105:                           ;   in Loop: Header=BB314_16 Depth=1
	s_or_b32 exec_lo, exec_lo, s27
.LBB314_1106:                           ;   in Loop: Header=BB314_16 Depth=1
	s_or_b32 exec_lo, exec_lo, s26
.LBB314_1107:                           ;   in Loop: Header=BB314_16 Depth=1
	s_or_b32 exec_lo, exec_lo, s25
	flat_load_dwordx2 v[35:36], v[33:34] offset:8
	s_waitcnt vmcnt(0) lgkmcnt(0)
	v_cmp_ne_u16_sdwa s5, v35, v8 src0_sel:BYTE_0 src1_sel:DWORD
	s_and_saveexec_b32 s25, s5
	s_cbranch_execz .LBB314_1115
; %bb.1108:                             ;   in Loop: Header=BB314_16 Depth=1
	v_cmp_ne_u16_sdwa s5, v35, v70 src0_sel:BYTE_0 src1_sel:DWORD
	v_mov_b32_e32 v0, 0x8000
	buffer_store_dword v0, off, s[0:3], s32 offset:700 ; 4-byte Folded Spill
	s_and_saveexec_b32 s26, s5
	s_cbranch_execz .LBB314_1114
; %bb.1109:                             ;   in Loop: Header=BB314_16 Depth=1
	v_and_b32_e32 v2, 0x7f, v35
	v_mov_b32_e32 v0, 0x7c01
	s_mov_b32 s27, exec_lo
	buffer_store_dword v0, off, s[0:3], s32 offset:700 ; 4-byte Folded Spill
	v_cmpx_ne_u32_e32 0x7f, v2
	s_cbranch_execz .LBB314_1113
; %bb.1110:                             ;   in Loop: Header=BB314_16 Depth=1
	v_and_b32_e32 v0, 7, v35
	v_lshrrev_b32_e32 v1, 3, v2
	s_mov_b32 s28, exec_lo
	v_cmpx_gt_u32_e32 8, v2
; %bb.1111:                             ;   in Loop: Header=BB314_16 Depth=1
	v_ffbh_u32_e32 v0, v0
	v_min_u32_e32 v2, 32, v0
	v_subrev_nc_u32_e32 v0, 28, v2
	v_lshlrev_b64 v[0:1], v0, v[35:36]
	v_sub_nc_u32_e32 v1, 29, v2
	v_and_b32_e32 v0, 7, v0
; %bb.1112:                             ;   in Loop: Header=BB314_16 Depth=1
	s_or_b32 exec_lo, exec_lo, s28
	v_lshlrev_b32_e32 v2, 8, v35
	v_lshl_add_u32 v1, v1, 10, 0x2000
	v_lshlrev_b32_e32 v0, 7, v0
	v_and_b32_e32 v2, 0x8000, v2
	v_and_b32_e32 v1, 0xfc00, v1
	v_or3_b32 v0, v2, v1, v0
	buffer_store_dword v0, off, s[0:3], s32 offset:700 ; 4-byte Folded Spill
.LBB314_1113:                           ;   in Loop: Header=BB314_16 Depth=1
	s_or_b32 exec_lo, exec_lo, s27
.LBB314_1114:                           ;   in Loop: Header=BB314_16 Depth=1
	s_or_b32 exec_lo, exec_lo, s26
.LBB314_1115:                           ;   in Loop: Header=BB314_16 Depth=1
	s_or_b32 exec_lo, exec_lo, s25
	v_lshrrev_b16 v7, 8, v35
	v_mov_b32_e32 v0, 0
	v_mov_b32_e32 v60, 0
	s_mov_b32 s25, exec_lo
	buffer_store_dword v0, off, s[0:3], s32 offset:704 ; 4-byte Folded Spill
	v_cmpx_ne_u16_e32 0, v7
	s_cbranch_execz .LBB314_1123
; %bb.1116:                             ;   in Loop: Header=BB314_16 Depth=1
	v_bfrev_b32_e32 v60, 1
	s_mov_b32 s26, exec_lo
	v_cmpx_ne_u16_e32 0x80, v7
	s_cbranch_execz .LBB314_1122
; %bb.1117:                             ;   in Loop: Header=BB314_16 Depth=1
	v_mov_b32_e32 v0, 0x7f
	v_mov_b32_e32 v60, 0x7c010000
	s_mov_b32 s27, exec_lo
	v_and_b32_sdwa v2, v7, v0 dst_sel:DWORD dst_unused:UNUSED_PAD src0_sel:WORD_0 src1_sel:DWORD
	v_cmpx_ne_u32_e32 0x7f, v2
	s_cbranch_execz .LBB314_1121
; %bb.1118:                             ;   in Loop: Header=BB314_16 Depth=1
	v_mov_b32_e32 v0, 7
	v_lshrrev_b32_e32 v1, 3, v2
	s_mov_b32 s28, exec_lo
	v_and_b32_sdwa v0, v7, v0 dst_sel:DWORD dst_unused:UNUSED_PAD src0_sel:WORD_0 src1_sel:DWORD
	v_cmpx_gt_u32_e32 8, v2
; %bb.1119:                             ;   in Loop: Header=BB314_16 Depth=1
	v_ffbh_u32_e32 v0, v0
	v_min_u32_e32 v2, 32, v0
	v_subrev_nc_u32_e32 v0, 28, v2
	v_lshlrev_b64 v[0:1], v0, v[7:8]
	v_sub_nc_u32_e32 v1, 29, v2
	v_and_b32_e32 v0, 7, v0
; %bb.1120:                             ;   in Loop: Header=BB314_16 Depth=1
	s_or_b32 exec_lo, exec_lo, s28
	v_mov_b32_e32 v2, 8
	v_lshl_add_u32 v1, v1, 10, 0x2000
	v_lshlrev_b32_e32 v0, 23, v0
	v_lshlrev_b32_sdwa v2, v2, v7 dst_sel:DWORD dst_unused:UNUSED_PAD src0_sel:DWORD src1_sel:WORD_0
	v_and_or_b32 v1, 0x8000, v2, v1
	v_lshl_or_b32 v60, v1, 16, v0
.LBB314_1121:                           ;   in Loop: Header=BB314_16 Depth=1
	s_or_b32 exec_lo, exec_lo, s27
.LBB314_1122:                           ;   in Loop: Header=BB314_16 Depth=1
	s_or_b32 exec_lo, exec_lo, s26
.LBB314_1123:                           ;   in Loop: Header=BB314_16 Depth=1
	s_or_b32 exec_lo, exec_lo, s25
	v_lshrrev_b32_e32 v7, 16, v35
	v_cmp_ne_u16_sdwa s5, v7, v8 src0_sel:BYTE_0 src1_sel:DWORD
	s_and_saveexec_b32 s25, s5
	s_cbranch_execz .LBB314_1131
; %bb.1124:                             ;   in Loop: Header=BB314_16 Depth=1
	v_cmp_ne_u16_sdwa s5, v7, v70 src0_sel:BYTE_0 src1_sel:DWORD
	v_mov_b32_e32 v0, 0x8000
	buffer_store_dword v0, off, s[0:3], s32 offset:704 ; 4-byte Folded Spill
	s_and_saveexec_b32 s26, s5
	s_cbranch_execz .LBB314_1130
; %bb.1125:                             ;   in Loop: Header=BB314_16 Depth=1
	v_bfe_u32 v2, v35, 16, 7
	v_mov_b32_e32 v0, 0x7c01
	s_mov_b32 s27, exec_lo
	buffer_store_dword v0, off, s[0:3], s32 offset:704 ; 4-byte Folded Spill
	v_cmpx_ne_u32_e32 0x7f, v2
	s_cbranch_execz .LBB314_1129
; %bb.1126:                             ;   in Loop: Header=BB314_16 Depth=1
	v_and_b32_e32 v0, 7, v7
	v_lshrrev_b32_e32 v1, 3, v2
	s_mov_b32 s28, exec_lo
	v_cmpx_gt_u32_e32 8, v2
; %bb.1127:                             ;   in Loop: Header=BB314_16 Depth=1
	v_ffbh_u32_e32 v0, v0
	v_min_u32_e32 v2, 32, v0
	v_subrev_nc_u32_e32 v0, 28, v2
	v_lshlrev_b64 v[0:1], v0, v[7:8]
	v_sub_nc_u32_e32 v1, 29, v2
	v_and_b32_e32 v0, 7, v0
; %bb.1128:                             ;   in Loop: Header=BB314_16 Depth=1
	s_or_b32 exec_lo, exec_lo, s28
	v_lshlrev_b32_e32 v2, 8, v7
	v_lshl_add_u32 v1, v1, 10, 0x2000
	v_lshlrev_b32_e32 v0, 7, v0
	v_and_b32_e32 v2, 0x8000, v2
	v_and_b32_e32 v1, 0xfc00, v1
	v_or3_b32 v0, v2, v1, v0
	buffer_store_dword v0, off, s[0:3], s32 offset:704 ; 4-byte Folded Spill
.LBB314_1129:                           ;   in Loop: Header=BB314_16 Depth=1
	s_or_b32 exec_lo, exec_lo, s27
.LBB314_1130:                           ;   in Loop: Header=BB314_16 Depth=1
	s_or_b32 exec_lo, exec_lo, s26
.LBB314_1131:                           ;   in Loop: Header=BB314_16 Depth=1
	s_or_b32 exec_lo, exec_lo, s25
	v_mov_b32_e32 v0, 0
	v_mov_b32_e32 v76, 0
	s_mov_b32 s25, exec_lo
	buffer_store_dword v0, off, s[0:3], s32 offset:708 ; 4-byte Folded Spill
	v_cmpx_lt_u32_e32 0xffffff, v35
	s_cbranch_execz .LBB314_1139
; %bb.1132:                             ;   in Loop: Header=BB314_16 Depth=1
	v_lshrrev_b32_e32 v7, 24, v35
	v_bfrev_b32_e32 v76, 1
	s_mov_b32 s26, exec_lo
	v_cmpx_ne_u32_e32 0x80, v7
	s_cbranch_execz .LBB314_1138
; %bb.1133:                             ;   in Loop: Header=BB314_16 Depth=1
	v_and_b32_e32 v2, 0x7f, v7
	v_mov_b32_e32 v76, 0x7c010000
	s_mov_b32 s27, exec_lo
	v_cmpx_ne_u32_e32 0x7f, v2
	s_cbranch_execz .LBB314_1137
; %bb.1134:                             ;   in Loop: Header=BB314_16 Depth=1
	v_and_b32_e32 v0, 7, v7
	v_lshrrev_b32_e32 v1, 3, v2
	s_mov_b32 s28, exec_lo
	v_cmpx_gt_u32_e32 8, v2
; %bb.1135:                             ;   in Loop: Header=BB314_16 Depth=1
	v_ffbh_u32_e32 v0, v0
	v_min_u32_e32 v2, 32, v0
	v_subrev_nc_u32_e32 v0, 28, v2
	v_lshlrev_b64 v[0:1], v0, v[7:8]
	v_sub_nc_u32_e32 v1, 29, v2
	v_and_b32_e32 v0, 7, v0
; %bb.1136:                             ;   in Loop: Header=BB314_16 Depth=1
	s_or_b32 exec_lo, exec_lo, s28
	v_lshlrev_b32_e32 v2, 8, v7
	v_lshl_add_u32 v1, v1, 10, 0x2000
	v_lshlrev_b32_e32 v0, 23, v0
	v_and_or_b32 v1, 0x8000, v2, v1
	v_lshl_or_b32 v76, v1, 16, v0
.LBB314_1137:                           ;   in Loop: Header=BB314_16 Depth=1
	s_or_b32 exec_lo, exec_lo, s27
.LBB314_1138:                           ;   in Loop: Header=BB314_16 Depth=1
	s_or_b32 exec_lo, exec_lo, s26
.LBB314_1139:                           ;   in Loop: Header=BB314_16 Depth=1
	s_or_b32 exec_lo, exec_lo, s25
	v_mov_b32_e32 v7, v36
	v_cmp_ne_u16_sdwa s5, v36, v8 src0_sel:BYTE_0 src1_sel:DWORD
	s_and_saveexec_b32 s25, s5
	s_cbranch_execz .LBB314_1147
; %bb.1140:                             ;   in Loop: Header=BB314_16 Depth=1
	v_cmp_ne_u16_sdwa s5, v36, v70 src0_sel:BYTE_0 src1_sel:DWORD
	v_mov_b32_e32 v0, 0x8000
	buffer_store_dword v0, off, s[0:3], s32 offset:708 ; 4-byte Folded Spill
	s_and_saveexec_b32 s26, s5
	s_cbranch_execz .LBB314_1146
; %bb.1141:                             ;   in Loop: Header=BB314_16 Depth=1
	v_and_b32_e32 v2, 0x7f, v36
	v_mov_b32_e32 v0, 0x7c01
	s_mov_b32 s27, exec_lo
	buffer_store_dword v0, off, s[0:3], s32 offset:708 ; 4-byte Folded Spill
	v_cmpx_ne_u32_e32 0x7f, v2
	s_cbranch_execz .LBB314_1145
; %bb.1142:                             ;   in Loop: Header=BB314_16 Depth=1
	v_and_b32_e32 v0, 7, v36
	v_lshrrev_b32_e32 v1, 3, v2
	s_mov_b32 s28, exec_lo
	v_cmpx_gt_u32_e32 8, v2
; %bb.1143:                             ;   in Loop: Header=BB314_16 Depth=1
	v_ffbh_u32_e32 v0, v0
	v_min_u32_e32 v2, 32, v0
	v_subrev_nc_u32_e32 v0, 28, v2
	v_lshlrev_b64 v[0:1], v0, v[7:8]
	v_sub_nc_u32_e32 v1, 29, v2
	v_and_b32_e32 v0, 7, v0
; %bb.1144:                             ;   in Loop: Header=BB314_16 Depth=1
	s_or_b32 exec_lo, exec_lo, s28
	v_lshlrev_b32_e32 v2, 8, v36
	v_lshl_add_u32 v1, v1, 10, 0x2000
	v_lshlrev_b32_e32 v0, 7, v0
	v_and_b32_e32 v2, 0x8000, v2
	v_and_b32_e32 v1, 0xfc00, v1
	v_or3_b32 v0, v2, v1, v0
	buffer_store_dword v0, off, s[0:3], s32 offset:708 ; 4-byte Folded Spill
.LBB314_1145:                           ;   in Loop: Header=BB314_16 Depth=1
	s_or_b32 exec_lo, exec_lo, s27
.LBB314_1146:                           ;   in Loop: Header=BB314_16 Depth=1
	s_or_b32 exec_lo, exec_lo, s26
.LBB314_1147:                           ;   in Loop: Header=BB314_16 Depth=1
	s_or_b32 exec_lo, exec_lo, s25
	v_lshrrev_b16 v7, 8, v7
	v_mov_b32_e32 v0, 0
	v_mov_b32_e32 v117, 0
	s_mov_b32 s25, exec_lo
	buffer_store_dword v0, off, s[0:3], s32 offset:712 ; 4-byte Folded Spill
	v_cmpx_ne_u16_e32 0, v7
	s_cbranch_execz .LBB314_1155
; %bb.1148:                             ;   in Loop: Header=BB314_16 Depth=1
	v_bfrev_b32_e32 v117, 1
	s_mov_b32 s26, exec_lo
	v_cmpx_ne_u16_e32 0x80, v7
	s_cbranch_execz .LBB314_1154
; %bb.1149:                             ;   in Loop: Header=BB314_16 Depth=1
	v_mov_b32_e32 v0, 0x7f
	v_mov_b32_e32 v117, 0x7c010000
	s_mov_b32 s27, exec_lo
	v_and_b32_sdwa v2, v7, v0 dst_sel:DWORD dst_unused:UNUSED_PAD src0_sel:WORD_0 src1_sel:DWORD
	v_cmpx_ne_u32_e32 0x7f, v2
	s_cbranch_execz .LBB314_1153
; %bb.1150:                             ;   in Loop: Header=BB314_16 Depth=1
	v_mov_b32_e32 v0, 7
	v_lshrrev_b32_e32 v1, 3, v2
	s_mov_b32 s28, exec_lo
	v_and_b32_sdwa v0, v7, v0 dst_sel:DWORD dst_unused:UNUSED_PAD src0_sel:WORD_0 src1_sel:DWORD
	v_cmpx_gt_u32_e32 8, v2
; %bb.1151:                             ;   in Loop: Header=BB314_16 Depth=1
	v_ffbh_u32_e32 v0, v0
	v_min_u32_e32 v2, 32, v0
	v_subrev_nc_u32_e32 v0, 28, v2
	v_lshlrev_b64 v[0:1], v0, v[7:8]
	v_sub_nc_u32_e32 v1, 29, v2
	v_and_b32_e32 v0, 7, v0
; %bb.1152:                             ;   in Loop: Header=BB314_16 Depth=1
	s_or_b32 exec_lo, exec_lo, s28
	v_mov_b32_e32 v2, 8
	v_lshl_add_u32 v1, v1, 10, 0x2000
	v_lshlrev_b32_e32 v0, 23, v0
	v_lshlrev_b32_sdwa v2, v2, v7 dst_sel:DWORD dst_unused:UNUSED_PAD src0_sel:DWORD src1_sel:WORD_0
	v_and_or_b32 v1, 0x8000, v2, v1
	v_lshl_or_b32 v117, v1, 16, v0
.LBB314_1153:                           ;   in Loop: Header=BB314_16 Depth=1
	s_or_b32 exec_lo, exec_lo, s27
.LBB314_1154:                           ;   in Loop: Header=BB314_16 Depth=1
	s_or_b32 exec_lo, exec_lo, s26
.LBB314_1155:                           ;   in Loop: Header=BB314_16 Depth=1
	s_or_b32 exec_lo, exec_lo, s25
	v_lshrrev_b32_e32 v7, 16, v36
	v_cmp_ne_u16_sdwa s5, v7, v8 src0_sel:BYTE_0 src1_sel:DWORD
	s_and_saveexec_b32 s25, s5
	s_cbranch_execz .LBB314_1163
; %bb.1156:                             ;   in Loop: Header=BB314_16 Depth=1
	v_cmp_ne_u16_sdwa s5, v7, v70 src0_sel:BYTE_0 src1_sel:DWORD
	v_mov_b32_e32 v0, 0x8000
	buffer_store_dword v0, off, s[0:3], s32 offset:712 ; 4-byte Folded Spill
	s_and_saveexec_b32 s26, s5
	s_cbranch_execz .LBB314_1162
; %bb.1157:                             ;   in Loop: Header=BB314_16 Depth=1
	v_bfe_u32 v2, v36, 16, 7
	v_mov_b32_e32 v0, 0x7c01
	s_mov_b32 s27, exec_lo
	buffer_store_dword v0, off, s[0:3], s32 offset:712 ; 4-byte Folded Spill
	v_cmpx_ne_u32_e32 0x7f, v2
	s_cbranch_execz .LBB314_1161
; %bb.1158:                             ;   in Loop: Header=BB314_16 Depth=1
	v_and_b32_e32 v0, 7, v7
	v_lshrrev_b32_e32 v1, 3, v2
	s_mov_b32 s28, exec_lo
	v_cmpx_gt_u32_e32 8, v2
; %bb.1159:                             ;   in Loop: Header=BB314_16 Depth=1
	v_ffbh_u32_e32 v0, v0
	v_min_u32_e32 v2, 32, v0
	v_subrev_nc_u32_e32 v0, 28, v2
	v_lshlrev_b64 v[0:1], v0, v[7:8]
	v_sub_nc_u32_e32 v1, 29, v2
	v_and_b32_e32 v0, 7, v0
; %bb.1160:                             ;   in Loop: Header=BB314_16 Depth=1
	s_or_b32 exec_lo, exec_lo, s28
	v_lshlrev_b32_e32 v2, 8, v7
	v_lshl_add_u32 v1, v1, 10, 0x2000
	v_lshlrev_b32_e32 v0, 7, v0
	v_and_b32_e32 v2, 0x8000, v2
	v_and_b32_e32 v1, 0xfc00, v1
	v_or3_b32 v0, v2, v1, v0
	buffer_store_dword v0, off, s[0:3], s32 offset:712 ; 4-byte Folded Spill
.LBB314_1161:                           ;   in Loop: Header=BB314_16 Depth=1
	s_or_b32 exec_lo, exec_lo, s27
.LBB314_1162:                           ;   in Loop: Header=BB314_16 Depth=1
	s_or_b32 exec_lo, exec_lo, s26
.LBB314_1163:                           ;   in Loop: Header=BB314_16 Depth=1
	s_or_b32 exec_lo, exec_lo, s25
	v_mov_b32_e32 v0, 0
	v_mov_b32_e32 v77, 0
	s_mov_b32 s25, exec_lo
	buffer_store_dword v0, off, s[0:3], s32 offset:716 ; 4-byte Folded Spill
	v_cmpx_lt_u64_e64 s[20:21], v[35:36]
	s_cbranch_execz .LBB314_1171
; %bb.1164:                             ;   in Loop: Header=BB314_16 Depth=1
	v_lshrrev_b32_e32 v7, 24, v36
	v_bfrev_b32_e32 v77, 1
	s_mov_b32 s26, exec_lo
	v_cmpx_ne_u32_e32 0x80, v7
	s_cbranch_execz .LBB314_1170
; %bb.1165:                             ;   in Loop: Header=BB314_16 Depth=1
	v_and_b32_e32 v2, 0x7f, v7
	v_mov_b32_e32 v77, 0x7c010000
	s_mov_b32 s27, exec_lo
	v_cmpx_ne_u32_e32 0x7f, v2
	s_cbranch_execz .LBB314_1169
; %bb.1166:                             ;   in Loop: Header=BB314_16 Depth=1
	v_and_b32_e32 v0, 7, v7
	v_lshrrev_b32_e32 v1, 3, v2
	s_mov_b32 s28, exec_lo
	v_cmpx_gt_u32_e32 8, v2
; %bb.1167:                             ;   in Loop: Header=BB314_16 Depth=1
	v_ffbh_u32_e32 v0, v0
	v_min_u32_e32 v2, 32, v0
	v_subrev_nc_u32_e32 v0, 28, v2
	v_lshlrev_b64 v[0:1], v0, v[7:8]
	v_sub_nc_u32_e32 v1, 29, v2
	v_and_b32_e32 v0, 7, v0
; %bb.1168:                             ;   in Loop: Header=BB314_16 Depth=1
	s_or_b32 exec_lo, exec_lo, s28
	v_lshlrev_b32_e32 v2, 8, v7
	v_lshl_add_u32 v1, v1, 10, 0x2000
	v_lshlrev_b32_e32 v0, 23, v0
	v_and_or_b32 v1, 0x8000, v2, v1
	v_lshl_or_b32 v77, v1, 16, v0
.LBB314_1169:                           ;   in Loop: Header=BB314_16 Depth=1
	s_or_b32 exec_lo, exec_lo, s27
.LBB314_1170:                           ;   in Loop: Header=BB314_16 Depth=1
	s_or_b32 exec_lo, exec_lo, s26
.LBB314_1171:                           ;   in Loop: Header=BB314_16 Depth=1
	s_or_b32 exec_lo, exec_lo, s25
	flat_load_dwordx2 v[35:36], v[33:34] offset:512
	s_waitcnt vmcnt(0) lgkmcnt(0)
	v_cmp_ne_u16_sdwa s5, v35, v8 src0_sel:BYTE_0 src1_sel:DWORD
	s_and_saveexec_b32 s25, s5
	s_cbranch_execz .LBB314_1179
; %bb.1172:                             ;   in Loop: Header=BB314_16 Depth=1
	v_cmp_ne_u16_sdwa s5, v35, v70 src0_sel:BYTE_0 src1_sel:DWORD
	v_mov_b32_e32 v0, 0x8000
	buffer_store_dword v0, off, s[0:3], s32 offset:716 ; 4-byte Folded Spill
	s_and_saveexec_b32 s26, s5
	s_cbranch_execz .LBB314_1178
; %bb.1173:                             ;   in Loop: Header=BB314_16 Depth=1
	v_and_b32_e32 v2, 0x7f, v35
	v_mov_b32_e32 v0, 0x7c01
	s_mov_b32 s27, exec_lo
	buffer_store_dword v0, off, s[0:3], s32 offset:716 ; 4-byte Folded Spill
	v_cmpx_ne_u32_e32 0x7f, v2
	s_cbranch_execz .LBB314_1177
; %bb.1174:                             ;   in Loop: Header=BB314_16 Depth=1
	v_and_b32_e32 v0, 7, v35
	v_lshrrev_b32_e32 v1, 3, v2
	s_mov_b32 s28, exec_lo
	v_cmpx_gt_u32_e32 8, v2
; %bb.1175:                             ;   in Loop: Header=BB314_16 Depth=1
	v_ffbh_u32_e32 v0, v0
	v_min_u32_e32 v2, 32, v0
	v_subrev_nc_u32_e32 v0, 28, v2
	v_lshlrev_b64 v[0:1], v0, v[35:36]
	v_sub_nc_u32_e32 v1, 29, v2
	v_and_b32_e32 v0, 7, v0
; %bb.1176:                             ;   in Loop: Header=BB314_16 Depth=1
	s_or_b32 exec_lo, exec_lo, s28
	v_lshlrev_b32_e32 v2, 8, v35
	v_lshl_add_u32 v1, v1, 10, 0x2000
	v_lshlrev_b32_e32 v0, 7, v0
	v_and_b32_e32 v2, 0x8000, v2
	v_and_b32_e32 v1, 0xfc00, v1
	v_or3_b32 v0, v2, v1, v0
	buffer_store_dword v0, off, s[0:3], s32 offset:716 ; 4-byte Folded Spill
.LBB314_1177:                           ;   in Loop: Header=BB314_16 Depth=1
	s_or_b32 exec_lo, exec_lo, s27
.LBB314_1178:                           ;   in Loop: Header=BB314_16 Depth=1
	s_or_b32 exec_lo, exec_lo, s26
.LBB314_1179:                           ;   in Loop: Header=BB314_16 Depth=1
	s_or_b32 exec_lo, exec_lo, s25
	v_lshrrev_b16 v7, 8, v35
	v_mov_b32_e32 v0, 0
	v_mov_b32_e32 v15, 0
	s_mov_b32 s25, exec_lo
	buffer_store_dword v0, off, s[0:3], s32 offset:720 ; 4-byte Folded Spill
	v_cmpx_ne_u16_e32 0, v7
	s_cbranch_execz .LBB314_1187
; %bb.1180:                             ;   in Loop: Header=BB314_16 Depth=1
	v_bfrev_b32_e32 v15, 1
	s_mov_b32 s26, exec_lo
	v_cmpx_ne_u16_e32 0x80, v7
	s_cbranch_execz .LBB314_1186
; %bb.1181:                             ;   in Loop: Header=BB314_16 Depth=1
	v_mov_b32_e32 v0, 0x7f
	v_mov_b32_e32 v15, 0x7c010000
	s_mov_b32 s27, exec_lo
	v_and_b32_sdwa v2, v7, v0 dst_sel:DWORD dst_unused:UNUSED_PAD src0_sel:WORD_0 src1_sel:DWORD
	v_cmpx_ne_u32_e32 0x7f, v2
	s_cbranch_execz .LBB314_1185
; %bb.1182:                             ;   in Loop: Header=BB314_16 Depth=1
	v_mov_b32_e32 v0, 7
	v_lshrrev_b32_e32 v1, 3, v2
	s_mov_b32 s28, exec_lo
	v_and_b32_sdwa v0, v7, v0 dst_sel:DWORD dst_unused:UNUSED_PAD src0_sel:WORD_0 src1_sel:DWORD
	v_cmpx_gt_u32_e32 8, v2
; %bb.1183:                             ;   in Loop: Header=BB314_16 Depth=1
	v_ffbh_u32_e32 v0, v0
	v_min_u32_e32 v2, 32, v0
	v_subrev_nc_u32_e32 v0, 28, v2
	v_lshlrev_b64 v[0:1], v0, v[7:8]
	v_sub_nc_u32_e32 v1, 29, v2
	v_and_b32_e32 v0, 7, v0
; %bb.1184:                             ;   in Loop: Header=BB314_16 Depth=1
	s_or_b32 exec_lo, exec_lo, s28
	v_mov_b32_e32 v2, 8
	v_lshl_add_u32 v1, v1, 10, 0x2000
	v_lshlrev_b32_e32 v0, 23, v0
	v_lshlrev_b32_sdwa v2, v2, v7 dst_sel:DWORD dst_unused:UNUSED_PAD src0_sel:DWORD src1_sel:WORD_0
	v_and_or_b32 v1, 0x8000, v2, v1
	v_lshl_or_b32 v15, v1, 16, v0
.LBB314_1185:                           ;   in Loop: Header=BB314_16 Depth=1
	s_or_b32 exec_lo, exec_lo, s27
.LBB314_1186:                           ;   in Loop: Header=BB314_16 Depth=1
	s_or_b32 exec_lo, exec_lo, s26
.LBB314_1187:                           ;   in Loop: Header=BB314_16 Depth=1
	s_or_b32 exec_lo, exec_lo, s25
	v_lshrrev_b32_e32 v7, 16, v35
	v_cmp_ne_u16_sdwa s5, v7, v8 src0_sel:BYTE_0 src1_sel:DWORD
	s_and_saveexec_b32 s25, s5
	s_cbranch_execz .LBB314_1195
; %bb.1188:                             ;   in Loop: Header=BB314_16 Depth=1
	v_cmp_ne_u16_sdwa s5, v7, v70 src0_sel:BYTE_0 src1_sel:DWORD
	v_mov_b32_e32 v0, 0x8000
	buffer_store_dword v0, off, s[0:3], s32 offset:720 ; 4-byte Folded Spill
	s_and_saveexec_b32 s26, s5
	s_cbranch_execz .LBB314_1194
; %bb.1189:                             ;   in Loop: Header=BB314_16 Depth=1
	v_bfe_u32 v2, v35, 16, 7
	v_mov_b32_e32 v0, 0x7c01
	s_mov_b32 s27, exec_lo
	buffer_store_dword v0, off, s[0:3], s32 offset:720 ; 4-byte Folded Spill
	v_cmpx_ne_u32_e32 0x7f, v2
	s_cbranch_execz .LBB314_1193
; %bb.1190:                             ;   in Loop: Header=BB314_16 Depth=1
	v_and_b32_e32 v0, 7, v7
	v_lshrrev_b32_e32 v1, 3, v2
	s_mov_b32 s28, exec_lo
	v_cmpx_gt_u32_e32 8, v2
; %bb.1191:                             ;   in Loop: Header=BB314_16 Depth=1
	v_ffbh_u32_e32 v0, v0
	v_min_u32_e32 v2, 32, v0
	v_subrev_nc_u32_e32 v0, 28, v2
	v_lshlrev_b64 v[0:1], v0, v[7:8]
	v_sub_nc_u32_e32 v1, 29, v2
	v_and_b32_e32 v0, 7, v0
; %bb.1192:                             ;   in Loop: Header=BB314_16 Depth=1
	s_or_b32 exec_lo, exec_lo, s28
	v_lshlrev_b32_e32 v2, 8, v7
	v_lshl_add_u32 v1, v1, 10, 0x2000
	v_lshlrev_b32_e32 v0, 7, v0
	v_and_b32_e32 v2, 0x8000, v2
	v_and_b32_e32 v1, 0xfc00, v1
	v_or3_b32 v0, v2, v1, v0
	buffer_store_dword v0, off, s[0:3], s32 offset:720 ; 4-byte Folded Spill
.LBB314_1193:                           ;   in Loop: Header=BB314_16 Depth=1
	s_or_b32 exec_lo, exec_lo, s27
.LBB314_1194:                           ;   in Loop: Header=BB314_16 Depth=1
	s_or_b32 exec_lo, exec_lo, s26
.LBB314_1195:                           ;   in Loop: Header=BB314_16 Depth=1
	s_or_b32 exec_lo, exec_lo, s25
	v_mov_b32_e32 v0, 0
	v_mov_b32_e32 v20, 0
	s_mov_b32 s25, exec_lo
	buffer_store_dword v0, off, s[0:3], s32 offset:724 ; 4-byte Folded Spill
	v_cmpx_lt_u32_e32 0xffffff, v35
	s_cbranch_execz .LBB314_1203
; %bb.1196:                             ;   in Loop: Header=BB314_16 Depth=1
	v_lshrrev_b32_e32 v7, 24, v35
	v_bfrev_b32_e32 v20, 1
	s_mov_b32 s26, exec_lo
	v_cmpx_ne_u32_e32 0x80, v7
	s_cbranch_execz .LBB314_1202
; %bb.1197:                             ;   in Loop: Header=BB314_16 Depth=1
	v_and_b32_e32 v2, 0x7f, v7
	v_mov_b32_e32 v20, 0x7c010000
	s_mov_b32 s27, exec_lo
	v_cmpx_ne_u32_e32 0x7f, v2
	s_cbranch_execz .LBB314_1201
; %bb.1198:                             ;   in Loop: Header=BB314_16 Depth=1
	v_and_b32_e32 v0, 7, v7
	v_lshrrev_b32_e32 v1, 3, v2
	s_mov_b32 s28, exec_lo
	v_cmpx_gt_u32_e32 8, v2
; %bb.1199:                             ;   in Loop: Header=BB314_16 Depth=1
	v_ffbh_u32_e32 v0, v0
	v_min_u32_e32 v2, 32, v0
	v_subrev_nc_u32_e32 v0, 28, v2
	v_lshlrev_b64 v[0:1], v0, v[7:8]
	v_sub_nc_u32_e32 v1, 29, v2
	v_and_b32_e32 v0, 7, v0
; %bb.1200:                             ;   in Loop: Header=BB314_16 Depth=1
	s_or_b32 exec_lo, exec_lo, s28
	v_lshlrev_b32_e32 v2, 8, v7
	v_lshl_add_u32 v1, v1, 10, 0x2000
	v_lshlrev_b32_e32 v0, 23, v0
	v_and_or_b32 v1, 0x8000, v2, v1
	v_lshl_or_b32 v20, v1, 16, v0
.LBB314_1201:                           ;   in Loop: Header=BB314_16 Depth=1
	s_or_b32 exec_lo, exec_lo, s27
.LBB314_1202:                           ;   in Loop: Header=BB314_16 Depth=1
	s_or_b32 exec_lo, exec_lo, s26
.LBB314_1203:                           ;   in Loop: Header=BB314_16 Depth=1
	s_or_b32 exec_lo, exec_lo, s25
	v_mov_b32_e32 v7, v36
	v_cmp_ne_u16_sdwa s5, v36, v8 src0_sel:BYTE_0 src1_sel:DWORD
	s_and_saveexec_b32 s25, s5
	s_cbranch_execz .LBB314_1211
; %bb.1204:                             ;   in Loop: Header=BB314_16 Depth=1
	v_cmp_ne_u16_sdwa s5, v36, v70 src0_sel:BYTE_0 src1_sel:DWORD
	v_mov_b32_e32 v0, 0x8000
	buffer_store_dword v0, off, s[0:3], s32 offset:724 ; 4-byte Folded Spill
	s_and_saveexec_b32 s26, s5
	s_cbranch_execz .LBB314_1210
; %bb.1205:                             ;   in Loop: Header=BB314_16 Depth=1
	v_and_b32_e32 v2, 0x7f, v36
	v_mov_b32_e32 v0, 0x7c01
	s_mov_b32 s27, exec_lo
	buffer_store_dword v0, off, s[0:3], s32 offset:724 ; 4-byte Folded Spill
	v_cmpx_ne_u32_e32 0x7f, v2
	s_cbranch_execz .LBB314_1209
; %bb.1206:                             ;   in Loop: Header=BB314_16 Depth=1
	v_and_b32_e32 v0, 7, v36
	v_lshrrev_b32_e32 v1, 3, v2
	s_mov_b32 s28, exec_lo
	v_cmpx_gt_u32_e32 8, v2
; %bb.1207:                             ;   in Loop: Header=BB314_16 Depth=1
	v_ffbh_u32_e32 v0, v0
	v_min_u32_e32 v2, 32, v0
	v_subrev_nc_u32_e32 v0, 28, v2
	v_lshlrev_b64 v[0:1], v0, v[7:8]
	v_sub_nc_u32_e32 v1, 29, v2
	v_and_b32_e32 v0, 7, v0
; %bb.1208:                             ;   in Loop: Header=BB314_16 Depth=1
	s_or_b32 exec_lo, exec_lo, s28
	v_lshlrev_b32_e32 v2, 8, v36
	v_lshl_add_u32 v1, v1, 10, 0x2000
	v_lshlrev_b32_e32 v0, 7, v0
	v_and_b32_e32 v2, 0x8000, v2
	v_and_b32_e32 v1, 0xfc00, v1
	v_or3_b32 v0, v2, v1, v0
	buffer_store_dword v0, off, s[0:3], s32 offset:724 ; 4-byte Folded Spill
.LBB314_1209:                           ;   in Loop: Header=BB314_16 Depth=1
	s_or_b32 exec_lo, exec_lo, s27
.LBB314_1210:                           ;   in Loop: Header=BB314_16 Depth=1
	s_or_b32 exec_lo, exec_lo, s26
.LBB314_1211:                           ;   in Loop: Header=BB314_16 Depth=1
	s_or_b32 exec_lo, exec_lo, s25
	v_lshrrev_b16 v7, 8, v7
	v_mov_b32_e32 v0, 0
	v_mov_b32_e32 v51, 0
	s_mov_b32 s25, exec_lo
	buffer_store_dword v0, off, s[0:3], s32 offset:728 ; 4-byte Folded Spill
	v_cmpx_ne_u16_e32 0, v7
	s_cbranch_execz .LBB314_1219
; %bb.1212:                             ;   in Loop: Header=BB314_16 Depth=1
	v_bfrev_b32_e32 v51, 1
	s_mov_b32 s26, exec_lo
	v_cmpx_ne_u16_e32 0x80, v7
	s_cbranch_execz .LBB314_1218
; %bb.1213:                             ;   in Loop: Header=BB314_16 Depth=1
	v_mov_b32_e32 v0, 0x7f
	v_mov_b32_e32 v51, 0x7c010000
	s_mov_b32 s27, exec_lo
	v_and_b32_sdwa v2, v7, v0 dst_sel:DWORD dst_unused:UNUSED_PAD src0_sel:WORD_0 src1_sel:DWORD
	v_cmpx_ne_u32_e32 0x7f, v2
	s_cbranch_execz .LBB314_1217
; %bb.1214:                             ;   in Loop: Header=BB314_16 Depth=1
	v_mov_b32_e32 v0, 7
	v_lshrrev_b32_e32 v1, 3, v2
	s_mov_b32 s28, exec_lo
	v_and_b32_sdwa v0, v7, v0 dst_sel:DWORD dst_unused:UNUSED_PAD src0_sel:WORD_0 src1_sel:DWORD
	v_cmpx_gt_u32_e32 8, v2
; %bb.1215:                             ;   in Loop: Header=BB314_16 Depth=1
	v_ffbh_u32_e32 v0, v0
	v_min_u32_e32 v2, 32, v0
	v_subrev_nc_u32_e32 v0, 28, v2
	v_lshlrev_b64 v[0:1], v0, v[7:8]
	v_sub_nc_u32_e32 v1, 29, v2
	v_and_b32_e32 v0, 7, v0
; %bb.1216:                             ;   in Loop: Header=BB314_16 Depth=1
	s_or_b32 exec_lo, exec_lo, s28
	v_mov_b32_e32 v2, 8
	v_lshl_add_u32 v1, v1, 10, 0x2000
	v_lshlrev_b32_e32 v0, 23, v0
	v_lshlrev_b32_sdwa v2, v2, v7 dst_sel:DWORD dst_unused:UNUSED_PAD src0_sel:DWORD src1_sel:WORD_0
	v_and_or_b32 v1, 0x8000, v2, v1
	v_lshl_or_b32 v51, v1, 16, v0
.LBB314_1217:                           ;   in Loop: Header=BB314_16 Depth=1
	s_or_b32 exec_lo, exec_lo, s27
.LBB314_1218:                           ;   in Loop: Header=BB314_16 Depth=1
	s_or_b32 exec_lo, exec_lo, s26
.LBB314_1219:                           ;   in Loop: Header=BB314_16 Depth=1
	s_or_b32 exec_lo, exec_lo, s25
	v_lshrrev_b32_e32 v7, 16, v36
	v_cmp_ne_u16_sdwa s5, v7, v8 src0_sel:BYTE_0 src1_sel:DWORD
	s_and_saveexec_b32 s25, s5
	s_cbranch_execz .LBB314_1227
; %bb.1220:                             ;   in Loop: Header=BB314_16 Depth=1
	v_cmp_ne_u16_sdwa s5, v7, v70 src0_sel:BYTE_0 src1_sel:DWORD
	v_mov_b32_e32 v0, 0x8000
	buffer_store_dword v0, off, s[0:3], s32 offset:728 ; 4-byte Folded Spill
	s_and_saveexec_b32 s26, s5
	s_cbranch_execz .LBB314_1226
; %bb.1221:                             ;   in Loop: Header=BB314_16 Depth=1
	v_bfe_u32 v2, v36, 16, 7
	v_mov_b32_e32 v0, 0x7c01
	s_mov_b32 s27, exec_lo
	buffer_store_dword v0, off, s[0:3], s32 offset:728 ; 4-byte Folded Spill
	v_cmpx_ne_u32_e32 0x7f, v2
	s_cbranch_execz .LBB314_1225
; %bb.1222:                             ;   in Loop: Header=BB314_16 Depth=1
	v_and_b32_e32 v0, 7, v7
	v_lshrrev_b32_e32 v1, 3, v2
	s_mov_b32 s28, exec_lo
	v_cmpx_gt_u32_e32 8, v2
; %bb.1223:                             ;   in Loop: Header=BB314_16 Depth=1
	v_ffbh_u32_e32 v0, v0
	v_min_u32_e32 v2, 32, v0
	v_subrev_nc_u32_e32 v0, 28, v2
	v_lshlrev_b64 v[0:1], v0, v[7:8]
	v_sub_nc_u32_e32 v1, 29, v2
	v_and_b32_e32 v0, 7, v0
; %bb.1224:                             ;   in Loop: Header=BB314_16 Depth=1
	s_or_b32 exec_lo, exec_lo, s28
	v_lshlrev_b32_e32 v2, 8, v7
	v_lshl_add_u32 v1, v1, 10, 0x2000
	v_lshlrev_b32_e32 v0, 7, v0
	v_and_b32_e32 v2, 0x8000, v2
	v_and_b32_e32 v1, 0xfc00, v1
	v_or3_b32 v0, v2, v1, v0
	buffer_store_dword v0, off, s[0:3], s32 offset:728 ; 4-byte Folded Spill
.LBB314_1225:                           ;   in Loop: Header=BB314_16 Depth=1
	s_or_b32 exec_lo, exec_lo, s27
.LBB314_1226:                           ;   in Loop: Header=BB314_16 Depth=1
	s_or_b32 exec_lo, exec_lo, s26
.LBB314_1227:                           ;   in Loop: Header=BB314_16 Depth=1
	s_or_b32 exec_lo, exec_lo, s25
	v_mov_b32_e32 v0, 0
	v_mov_b32_e32 v52, 0
	s_mov_b32 s25, exec_lo
	buffer_store_dword v0, off, s[0:3], s32 offset:732 ; 4-byte Folded Spill
	v_cmpx_lt_u64_e64 s[20:21], v[35:36]
	s_cbranch_execz .LBB314_1235
; %bb.1228:                             ;   in Loop: Header=BB314_16 Depth=1
	v_lshrrev_b32_e32 v7, 24, v36
	v_bfrev_b32_e32 v52, 1
	s_mov_b32 s26, exec_lo
	v_cmpx_ne_u32_e32 0x80, v7
	s_cbranch_execz .LBB314_1234
; %bb.1229:                             ;   in Loop: Header=BB314_16 Depth=1
	v_and_b32_e32 v2, 0x7f, v7
	v_mov_b32_e32 v52, 0x7c010000
	s_mov_b32 s27, exec_lo
	v_cmpx_ne_u32_e32 0x7f, v2
	s_cbranch_execz .LBB314_1233
; %bb.1230:                             ;   in Loop: Header=BB314_16 Depth=1
	v_and_b32_e32 v0, 7, v7
	v_lshrrev_b32_e32 v1, 3, v2
	s_mov_b32 s28, exec_lo
	v_cmpx_gt_u32_e32 8, v2
; %bb.1231:                             ;   in Loop: Header=BB314_16 Depth=1
	v_ffbh_u32_e32 v0, v0
	v_min_u32_e32 v2, 32, v0
	v_subrev_nc_u32_e32 v0, 28, v2
	v_lshlrev_b64 v[0:1], v0, v[7:8]
	v_sub_nc_u32_e32 v1, 29, v2
	v_and_b32_e32 v0, 7, v0
; %bb.1232:                             ;   in Loop: Header=BB314_16 Depth=1
	s_or_b32 exec_lo, exec_lo, s28
	v_lshlrev_b32_e32 v2, 8, v7
	v_lshl_add_u32 v1, v1, 10, 0x2000
	v_lshlrev_b32_e32 v0, 23, v0
	v_and_or_b32 v1, 0x8000, v2, v1
	v_lshl_or_b32 v52, v1, 16, v0
.LBB314_1233:                           ;   in Loop: Header=BB314_16 Depth=1
	s_or_b32 exec_lo, exec_lo, s27
.LBB314_1234:                           ;   in Loop: Header=BB314_16 Depth=1
	s_or_b32 exec_lo, exec_lo, s26
.LBB314_1235:                           ;   in Loop: Header=BB314_16 Depth=1
	s_or_b32 exec_lo, exec_lo, s25
	flat_load_dwordx2 v[35:36], v[33:34] offset:520
	s_waitcnt vmcnt(0) lgkmcnt(0)
	v_cmp_ne_u16_sdwa s5, v35, v8 src0_sel:BYTE_0 src1_sel:DWORD
	s_and_saveexec_b32 s25, s5
	s_cbranch_execz .LBB314_1243
; %bb.1236:                             ;   in Loop: Header=BB314_16 Depth=1
	v_cmp_ne_u16_sdwa s5, v35, v70 src0_sel:BYTE_0 src1_sel:DWORD
	v_mov_b32_e32 v0, 0x8000
	buffer_store_dword v0, off, s[0:3], s32 offset:732 ; 4-byte Folded Spill
	s_and_saveexec_b32 s26, s5
	s_cbranch_execz .LBB314_1242
; %bb.1237:                             ;   in Loop: Header=BB314_16 Depth=1
	v_and_b32_e32 v2, 0x7f, v35
	v_mov_b32_e32 v0, 0x7c01
	s_mov_b32 s27, exec_lo
	buffer_store_dword v0, off, s[0:3], s32 offset:732 ; 4-byte Folded Spill
	v_cmpx_ne_u32_e32 0x7f, v2
	s_cbranch_execz .LBB314_1241
; %bb.1238:                             ;   in Loop: Header=BB314_16 Depth=1
	v_and_b32_e32 v0, 7, v35
	v_lshrrev_b32_e32 v1, 3, v2
	s_mov_b32 s28, exec_lo
	v_cmpx_gt_u32_e32 8, v2
; %bb.1239:                             ;   in Loop: Header=BB314_16 Depth=1
	v_ffbh_u32_e32 v0, v0
	v_min_u32_e32 v2, 32, v0
	v_subrev_nc_u32_e32 v0, 28, v2
	v_lshlrev_b64 v[0:1], v0, v[35:36]
	v_sub_nc_u32_e32 v1, 29, v2
	v_and_b32_e32 v0, 7, v0
; %bb.1240:                             ;   in Loop: Header=BB314_16 Depth=1
	s_or_b32 exec_lo, exec_lo, s28
	v_lshlrev_b32_e32 v2, 8, v35
	v_lshl_add_u32 v1, v1, 10, 0x2000
	v_lshlrev_b32_e32 v0, 7, v0
	v_and_b32_e32 v2, 0x8000, v2
	v_and_b32_e32 v1, 0xfc00, v1
	v_or3_b32 v0, v2, v1, v0
	buffer_store_dword v0, off, s[0:3], s32 offset:732 ; 4-byte Folded Spill
.LBB314_1241:                           ;   in Loop: Header=BB314_16 Depth=1
	s_or_b32 exec_lo, exec_lo, s27
.LBB314_1242:                           ;   in Loop: Header=BB314_16 Depth=1
	s_or_b32 exec_lo, exec_lo, s26
.LBB314_1243:                           ;   in Loop: Header=BB314_16 Depth=1
	s_or_b32 exec_lo, exec_lo, s25
	v_lshrrev_b16 v7, 8, v35
	v_mov_b32_e32 v0, 0
	v_mov_b32_e32 v92, 0
	s_mov_b32 s25, exec_lo
	buffer_store_dword v0, off, s[0:3], s32 offset:736 ; 4-byte Folded Spill
	v_cmpx_ne_u16_e32 0, v7
	s_cbranch_execz .LBB314_1251
; %bb.1244:                             ;   in Loop: Header=BB314_16 Depth=1
	v_bfrev_b32_e32 v92, 1
	s_mov_b32 s26, exec_lo
	v_cmpx_ne_u16_e32 0x80, v7
	s_cbranch_execz .LBB314_1250
; %bb.1245:                             ;   in Loop: Header=BB314_16 Depth=1
	v_mov_b32_e32 v0, 0x7f
	v_mov_b32_e32 v92, 0x7c010000
	s_mov_b32 s27, exec_lo
	v_and_b32_sdwa v2, v7, v0 dst_sel:DWORD dst_unused:UNUSED_PAD src0_sel:WORD_0 src1_sel:DWORD
	v_cmpx_ne_u32_e32 0x7f, v2
	s_cbranch_execz .LBB314_1249
; %bb.1246:                             ;   in Loop: Header=BB314_16 Depth=1
	v_mov_b32_e32 v0, 7
	v_lshrrev_b32_e32 v1, 3, v2
	s_mov_b32 s28, exec_lo
	v_and_b32_sdwa v0, v7, v0 dst_sel:DWORD dst_unused:UNUSED_PAD src0_sel:WORD_0 src1_sel:DWORD
	v_cmpx_gt_u32_e32 8, v2
; %bb.1247:                             ;   in Loop: Header=BB314_16 Depth=1
	v_ffbh_u32_e32 v0, v0
	v_min_u32_e32 v2, 32, v0
	v_subrev_nc_u32_e32 v0, 28, v2
	v_lshlrev_b64 v[0:1], v0, v[7:8]
	v_sub_nc_u32_e32 v1, 29, v2
	v_and_b32_e32 v0, 7, v0
; %bb.1248:                             ;   in Loop: Header=BB314_16 Depth=1
	s_or_b32 exec_lo, exec_lo, s28
	v_mov_b32_e32 v2, 8
	v_lshl_add_u32 v1, v1, 10, 0x2000
	v_lshlrev_b32_e32 v0, 23, v0
	v_lshlrev_b32_sdwa v2, v2, v7 dst_sel:DWORD dst_unused:UNUSED_PAD src0_sel:DWORD src1_sel:WORD_0
	v_and_or_b32 v1, 0x8000, v2, v1
	v_lshl_or_b32 v92, v1, 16, v0
.LBB314_1249:                           ;   in Loop: Header=BB314_16 Depth=1
	s_or_b32 exec_lo, exec_lo, s27
.LBB314_1250:                           ;   in Loop: Header=BB314_16 Depth=1
	s_or_b32 exec_lo, exec_lo, s26
.LBB314_1251:                           ;   in Loop: Header=BB314_16 Depth=1
	s_or_b32 exec_lo, exec_lo, s25
	v_lshrrev_b32_e32 v7, 16, v35
	v_cmp_ne_u16_sdwa s5, v7, v8 src0_sel:BYTE_0 src1_sel:DWORD
	s_and_saveexec_b32 s25, s5
	s_cbranch_execz .LBB314_1259
; %bb.1252:                             ;   in Loop: Header=BB314_16 Depth=1
	v_cmp_ne_u16_sdwa s5, v7, v70 src0_sel:BYTE_0 src1_sel:DWORD
	v_mov_b32_e32 v0, 0x8000
	buffer_store_dword v0, off, s[0:3], s32 offset:736 ; 4-byte Folded Spill
	s_and_saveexec_b32 s26, s5
	s_cbranch_execz .LBB314_1258
; %bb.1253:                             ;   in Loop: Header=BB314_16 Depth=1
	v_bfe_u32 v2, v35, 16, 7
	v_mov_b32_e32 v0, 0x7c01
	s_mov_b32 s27, exec_lo
	buffer_store_dword v0, off, s[0:3], s32 offset:736 ; 4-byte Folded Spill
	v_cmpx_ne_u32_e32 0x7f, v2
	s_cbranch_execz .LBB314_1257
; %bb.1254:                             ;   in Loop: Header=BB314_16 Depth=1
	v_and_b32_e32 v0, 7, v7
	v_lshrrev_b32_e32 v1, 3, v2
	s_mov_b32 s28, exec_lo
	v_cmpx_gt_u32_e32 8, v2
; %bb.1255:                             ;   in Loop: Header=BB314_16 Depth=1
	v_ffbh_u32_e32 v0, v0
	v_min_u32_e32 v2, 32, v0
	v_subrev_nc_u32_e32 v0, 28, v2
	v_lshlrev_b64 v[0:1], v0, v[7:8]
	v_sub_nc_u32_e32 v1, 29, v2
	v_and_b32_e32 v0, 7, v0
; %bb.1256:                             ;   in Loop: Header=BB314_16 Depth=1
	s_or_b32 exec_lo, exec_lo, s28
	v_lshlrev_b32_e32 v2, 8, v7
	v_lshl_add_u32 v1, v1, 10, 0x2000
	v_lshlrev_b32_e32 v0, 7, v0
	v_and_b32_e32 v2, 0x8000, v2
	v_and_b32_e32 v1, 0xfc00, v1
	v_or3_b32 v0, v2, v1, v0
	buffer_store_dword v0, off, s[0:3], s32 offset:736 ; 4-byte Folded Spill
.LBB314_1257:                           ;   in Loop: Header=BB314_16 Depth=1
	s_or_b32 exec_lo, exec_lo, s27
.LBB314_1258:                           ;   in Loop: Header=BB314_16 Depth=1
	s_or_b32 exec_lo, exec_lo, s26
.LBB314_1259:                           ;   in Loop: Header=BB314_16 Depth=1
	s_or_b32 exec_lo, exec_lo, s25
	v_mov_b32_e32 v0, 0
	v_mov_b32_e32 v102, 0
	s_mov_b32 s25, exec_lo
	buffer_store_dword v0, off, s[0:3], s32 offset:740 ; 4-byte Folded Spill
	v_cmpx_lt_u32_e32 0xffffff, v35
	s_cbranch_execz .LBB314_1267
; %bb.1260:                             ;   in Loop: Header=BB314_16 Depth=1
	v_lshrrev_b32_e32 v7, 24, v35
	v_bfrev_b32_e32 v102, 1
	s_mov_b32 s26, exec_lo
	v_cmpx_ne_u32_e32 0x80, v7
	s_cbranch_execz .LBB314_1266
; %bb.1261:                             ;   in Loop: Header=BB314_16 Depth=1
	v_and_b32_e32 v2, 0x7f, v7
	v_mov_b32_e32 v102, 0x7c010000
	s_mov_b32 s27, exec_lo
	v_cmpx_ne_u32_e32 0x7f, v2
	s_cbranch_execz .LBB314_1265
; %bb.1262:                             ;   in Loop: Header=BB314_16 Depth=1
	v_and_b32_e32 v0, 7, v7
	v_lshrrev_b32_e32 v1, 3, v2
	s_mov_b32 s28, exec_lo
	v_cmpx_gt_u32_e32 8, v2
; %bb.1263:                             ;   in Loop: Header=BB314_16 Depth=1
	v_ffbh_u32_e32 v0, v0
	v_min_u32_e32 v2, 32, v0
	v_subrev_nc_u32_e32 v0, 28, v2
	v_lshlrev_b64 v[0:1], v0, v[7:8]
	v_sub_nc_u32_e32 v1, 29, v2
	v_and_b32_e32 v0, 7, v0
; %bb.1264:                             ;   in Loop: Header=BB314_16 Depth=1
	s_or_b32 exec_lo, exec_lo, s28
	v_lshlrev_b32_e32 v2, 8, v7
	v_lshl_add_u32 v1, v1, 10, 0x2000
	v_lshlrev_b32_e32 v0, 23, v0
	v_and_or_b32 v1, 0x8000, v2, v1
	v_lshl_or_b32 v102, v1, 16, v0
.LBB314_1265:                           ;   in Loop: Header=BB314_16 Depth=1
	s_or_b32 exec_lo, exec_lo, s27
.LBB314_1266:                           ;   in Loop: Header=BB314_16 Depth=1
	s_or_b32 exec_lo, exec_lo, s26
.LBB314_1267:                           ;   in Loop: Header=BB314_16 Depth=1
	s_or_b32 exec_lo, exec_lo, s25
	v_mov_b32_e32 v7, v36
	v_cmp_ne_u16_sdwa s5, v36, v8 src0_sel:BYTE_0 src1_sel:DWORD
	s_and_saveexec_b32 s25, s5
	s_cbranch_execz .LBB314_1275
; %bb.1268:                             ;   in Loop: Header=BB314_16 Depth=1
	v_cmp_ne_u16_sdwa s5, v36, v70 src0_sel:BYTE_0 src1_sel:DWORD
	v_mov_b32_e32 v0, 0x8000
	buffer_store_dword v0, off, s[0:3], s32 offset:740 ; 4-byte Folded Spill
	s_and_saveexec_b32 s26, s5
	s_cbranch_execz .LBB314_1274
; %bb.1269:                             ;   in Loop: Header=BB314_16 Depth=1
	v_and_b32_e32 v2, 0x7f, v36
	v_mov_b32_e32 v0, 0x7c01
	s_mov_b32 s27, exec_lo
	buffer_store_dword v0, off, s[0:3], s32 offset:740 ; 4-byte Folded Spill
	v_cmpx_ne_u32_e32 0x7f, v2
	s_cbranch_execz .LBB314_1273
; %bb.1270:                             ;   in Loop: Header=BB314_16 Depth=1
	v_and_b32_e32 v0, 7, v36
	v_lshrrev_b32_e32 v1, 3, v2
	s_mov_b32 s28, exec_lo
	v_cmpx_gt_u32_e32 8, v2
; %bb.1271:                             ;   in Loop: Header=BB314_16 Depth=1
	v_ffbh_u32_e32 v0, v0
	v_min_u32_e32 v2, 32, v0
	v_subrev_nc_u32_e32 v0, 28, v2
	v_lshlrev_b64 v[0:1], v0, v[7:8]
	v_sub_nc_u32_e32 v1, 29, v2
	v_and_b32_e32 v0, 7, v0
; %bb.1272:                             ;   in Loop: Header=BB314_16 Depth=1
	s_or_b32 exec_lo, exec_lo, s28
	v_lshlrev_b32_e32 v2, 8, v36
	v_lshl_add_u32 v1, v1, 10, 0x2000
	v_lshlrev_b32_e32 v0, 7, v0
	v_and_b32_e32 v2, 0x8000, v2
	v_and_b32_e32 v1, 0xfc00, v1
	v_or3_b32 v0, v2, v1, v0
	buffer_store_dword v0, off, s[0:3], s32 offset:740 ; 4-byte Folded Spill
.LBB314_1273:                           ;   in Loop: Header=BB314_16 Depth=1
	s_or_b32 exec_lo, exec_lo, s27
.LBB314_1274:                           ;   in Loop: Header=BB314_16 Depth=1
	s_or_b32 exec_lo, exec_lo, s26
.LBB314_1275:                           ;   in Loop: Header=BB314_16 Depth=1
	s_or_b32 exec_lo, exec_lo, s25
	v_lshrrev_b16 v7, 8, v7
	v_mov_b32_e32 v0, 0
	v_mov_b32_e32 v44, 0
	s_mov_b32 s25, exec_lo
	buffer_store_dword v0, off, s[0:3], s32 offset:744 ; 4-byte Folded Spill
	v_cmpx_ne_u16_e32 0, v7
	s_cbranch_execz .LBB314_1283
; %bb.1276:                             ;   in Loop: Header=BB314_16 Depth=1
	v_bfrev_b32_e32 v44, 1
	s_mov_b32 s26, exec_lo
	v_cmpx_ne_u16_e32 0x80, v7
	s_cbranch_execz .LBB314_1282
; %bb.1277:                             ;   in Loop: Header=BB314_16 Depth=1
	v_mov_b32_e32 v0, 0x7f
	v_mov_b32_e32 v44, 0x7c010000
	s_mov_b32 s27, exec_lo
	v_and_b32_sdwa v2, v7, v0 dst_sel:DWORD dst_unused:UNUSED_PAD src0_sel:WORD_0 src1_sel:DWORD
	v_cmpx_ne_u32_e32 0x7f, v2
	s_cbranch_execz .LBB314_1281
; %bb.1278:                             ;   in Loop: Header=BB314_16 Depth=1
	v_mov_b32_e32 v0, 7
	v_lshrrev_b32_e32 v1, 3, v2
	s_mov_b32 s28, exec_lo
	v_and_b32_sdwa v0, v7, v0 dst_sel:DWORD dst_unused:UNUSED_PAD src0_sel:WORD_0 src1_sel:DWORD
	v_cmpx_gt_u32_e32 8, v2
; %bb.1279:                             ;   in Loop: Header=BB314_16 Depth=1
	v_ffbh_u32_e32 v0, v0
	v_min_u32_e32 v2, 32, v0
	v_subrev_nc_u32_e32 v0, 28, v2
	v_lshlrev_b64 v[0:1], v0, v[7:8]
	v_sub_nc_u32_e32 v1, 29, v2
	v_and_b32_e32 v0, 7, v0
; %bb.1280:                             ;   in Loop: Header=BB314_16 Depth=1
	s_or_b32 exec_lo, exec_lo, s28
	v_mov_b32_e32 v2, 8
	v_lshl_add_u32 v1, v1, 10, 0x2000
	v_lshlrev_b32_e32 v0, 23, v0
	v_lshlrev_b32_sdwa v2, v2, v7 dst_sel:DWORD dst_unused:UNUSED_PAD src0_sel:DWORD src1_sel:WORD_0
	v_and_or_b32 v1, 0x8000, v2, v1
	v_lshl_or_b32 v44, v1, 16, v0
.LBB314_1281:                           ;   in Loop: Header=BB314_16 Depth=1
	s_or_b32 exec_lo, exec_lo, s27
.LBB314_1282:                           ;   in Loop: Header=BB314_16 Depth=1
	s_or_b32 exec_lo, exec_lo, s26
.LBB314_1283:                           ;   in Loop: Header=BB314_16 Depth=1
	s_or_b32 exec_lo, exec_lo, s25
	v_lshrrev_b32_e32 v7, 16, v36
	v_cmp_ne_u16_sdwa s5, v7, v8 src0_sel:BYTE_0 src1_sel:DWORD
	s_and_saveexec_b32 s25, s5
	s_cbranch_execz .LBB314_1291
; %bb.1284:                             ;   in Loop: Header=BB314_16 Depth=1
	v_cmp_ne_u16_sdwa s5, v7, v70 src0_sel:BYTE_0 src1_sel:DWORD
	v_mov_b32_e32 v0, 0x8000
	buffer_store_dword v0, off, s[0:3], s32 offset:744 ; 4-byte Folded Spill
	s_and_saveexec_b32 s26, s5
	s_cbranch_execz .LBB314_1290
; %bb.1285:                             ;   in Loop: Header=BB314_16 Depth=1
	v_bfe_u32 v2, v36, 16, 7
	v_mov_b32_e32 v0, 0x7c01
	s_mov_b32 s27, exec_lo
	buffer_store_dword v0, off, s[0:3], s32 offset:744 ; 4-byte Folded Spill
	v_cmpx_ne_u32_e32 0x7f, v2
	s_cbranch_execz .LBB314_1289
; %bb.1286:                             ;   in Loop: Header=BB314_16 Depth=1
	v_and_b32_e32 v0, 7, v7
	v_lshrrev_b32_e32 v1, 3, v2
	s_mov_b32 s28, exec_lo
	v_cmpx_gt_u32_e32 8, v2
; %bb.1287:                             ;   in Loop: Header=BB314_16 Depth=1
	v_ffbh_u32_e32 v0, v0
	v_min_u32_e32 v2, 32, v0
	v_subrev_nc_u32_e32 v0, 28, v2
	v_lshlrev_b64 v[0:1], v0, v[7:8]
	v_sub_nc_u32_e32 v1, 29, v2
	v_and_b32_e32 v0, 7, v0
; %bb.1288:                             ;   in Loop: Header=BB314_16 Depth=1
	s_or_b32 exec_lo, exec_lo, s28
	v_lshlrev_b32_e32 v2, 8, v7
	v_lshl_add_u32 v1, v1, 10, 0x2000
	v_lshlrev_b32_e32 v0, 7, v0
	v_and_b32_e32 v2, 0x8000, v2
	v_and_b32_e32 v1, 0xfc00, v1
	v_or3_b32 v0, v2, v1, v0
	buffer_store_dword v0, off, s[0:3], s32 offset:744 ; 4-byte Folded Spill
.LBB314_1289:                           ;   in Loop: Header=BB314_16 Depth=1
	s_or_b32 exec_lo, exec_lo, s27
.LBB314_1290:                           ;   in Loop: Header=BB314_16 Depth=1
	s_or_b32 exec_lo, exec_lo, s26
.LBB314_1291:                           ;   in Loop: Header=BB314_16 Depth=1
	s_or_b32 exec_lo, exec_lo, s25
	v_mov_b32_e32 v0, 0
	v_mov_b32_e32 v6, 0
	s_mov_b32 s25, exec_lo
	buffer_store_dword v0, off, s[0:3], s32 offset:748 ; 4-byte Folded Spill
	v_cmpx_lt_u64_e64 s[20:21], v[35:36]
	s_cbranch_execz .LBB314_1299
; %bb.1292:                             ;   in Loop: Header=BB314_16 Depth=1
	v_lshrrev_b32_e32 v7, 24, v36
	v_bfrev_b32_e32 v6, 1
	s_mov_b32 s26, exec_lo
	v_cmpx_ne_u32_e32 0x80, v7
	s_cbranch_execz .LBB314_1298
; %bb.1293:                             ;   in Loop: Header=BB314_16 Depth=1
	v_and_b32_e32 v2, 0x7f, v7
	v_mov_b32_e32 v6, 0x7c010000
	s_mov_b32 s27, exec_lo
	v_cmpx_ne_u32_e32 0x7f, v2
	s_cbranch_execz .LBB314_1297
; %bb.1294:                             ;   in Loop: Header=BB314_16 Depth=1
	v_and_b32_e32 v0, 7, v7
	v_lshrrev_b32_e32 v1, 3, v2
	s_mov_b32 s28, exec_lo
	v_cmpx_gt_u32_e32 8, v2
; %bb.1295:                             ;   in Loop: Header=BB314_16 Depth=1
	v_ffbh_u32_e32 v0, v0
	v_min_u32_e32 v2, 32, v0
	v_subrev_nc_u32_e32 v0, 28, v2
	v_lshlrev_b64 v[0:1], v0, v[7:8]
	v_sub_nc_u32_e32 v1, 29, v2
	v_and_b32_e32 v0, 7, v0
; %bb.1296:                             ;   in Loop: Header=BB314_16 Depth=1
	s_or_b32 exec_lo, exec_lo, s28
	v_lshlrev_b32_e32 v2, 8, v7
	v_lshl_add_u32 v1, v1, 10, 0x2000
	v_lshlrev_b32_e32 v0, 23, v0
	v_and_or_b32 v1, 0x8000, v2, v1
	v_lshl_or_b32 v6, v1, 16, v0
.LBB314_1297:                           ;   in Loop: Header=BB314_16 Depth=1
	s_or_b32 exec_lo, exec_lo, s27
.LBB314_1298:                           ;   in Loop: Header=BB314_16 Depth=1
	s_or_b32 exec_lo, exec_lo, s26
.LBB314_1299:                           ;   in Loop: Header=BB314_16 Depth=1
	s_or_b32 exec_lo, exec_lo, s25
	flat_load_dwordx2 v[35:36], v[33:34] offset:1024
	s_waitcnt vmcnt(0) lgkmcnt(0)
	v_cmp_ne_u16_sdwa s5, v35, v8 src0_sel:BYTE_0 src1_sel:DWORD
	s_and_saveexec_b32 s25, s5
	s_cbranch_execz .LBB314_1307
; %bb.1300:                             ;   in Loop: Header=BB314_16 Depth=1
	v_cmp_ne_u16_sdwa s5, v35, v70 src0_sel:BYTE_0 src1_sel:DWORD
	v_mov_b32_e32 v0, 0x8000
	buffer_store_dword v0, off, s[0:3], s32 offset:748 ; 4-byte Folded Spill
	s_and_saveexec_b32 s26, s5
	s_cbranch_execz .LBB314_1306
; %bb.1301:                             ;   in Loop: Header=BB314_16 Depth=1
	v_and_b32_e32 v2, 0x7f, v35
	v_mov_b32_e32 v0, 0x7c01
	s_mov_b32 s27, exec_lo
	buffer_store_dword v0, off, s[0:3], s32 offset:748 ; 4-byte Folded Spill
	v_cmpx_ne_u32_e32 0x7f, v2
	s_cbranch_execz .LBB314_1305
; %bb.1302:                             ;   in Loop: Header=BB314_16 Depth=1
	v_and_b32_e32 v0, 7, v35
	v_lshrrev_b32_e32 v1, 3, v2
	s_mov_b32 s28, exec_lo
	v_cmpx_gt_u32_e32 8, v2
; %bb.1303:                             ;   in Loop: Header=BB314_16 Depth=1
	v_ffbh_u32_e32 v0, v0
	v_min_u32_e32 v2, 32, v0
	v_subrev_nc_u32_e32 v0, 28, v2
	v_lshlrev_b64 v[0:1], v0, v[35:36]
	v_sub_nc_u32_e32 v1, 29, v2
	v_and_b32_e32 v0, 7, v0
; %bb.1304:                             ;   in Loop: Header=BB314_16 Depth=1
	s_or_b32 exec_lo, exec_lo, s28
	v_lshlrev_b32_e32 v2, 8, v35
	v_lshl_add_u32 v1, v1, 10, 0x2000
	v_lshlrev_b32_e32 v0, 7, v0
	v_and_b32_e32 v2, 0x8000, v2
	v_and_b32_e32 v1, 0xfc00, v1
	v_or3_b32 v0, v2, v1, v0
	buffer_store_dword v0, off, s[0:3], s32 offset:748 ; 4-byte Folded Spill
.LBB314_1305:                           ;   in Loop: Header=BB314_16 Depth=1
	s_or_b32 exec_lo, exec_lo, s27
.LBB314_1306:                           ;   in Loop: Header=BB314_16 Depth=1
	s_or_b32 exec_lo, exec_lo, s26
.LBB314_1307:                           ;   in Loop: Header=BB314_16 Depth=1
	s_or_b32 exec_lo, exec_lo, s25
	v_lshrrev_b16 v7, 8, v35
	v_mov_b32_e32 v100, 0
	v_mov_b32_e32 v10, 0
	s_mov_b32 s25, exec_lo
	v_cmpx_ne_u16_e32 0, v7
	s_cbranch_execz .LBB314_1315
; %bb.1308:                             ;   in Loop: Header=BB314_16 Depth=1
	v_bfrev_b32_e32 v10, 1
	s_mov_b32 s26, exec_lo
	v_cmpx_ne_u16_e32 0x80, v7
	s_cbranch_execz .LBB314_1314
; %bb.1309:                             ;   in Loop: Header=BB314_16 Depth=1
	v_mov_b32_e32 v0, 0x7f
	v_mov_b32_e32 v10, 0x7c010000
	s_mov_b32 s27, exec_lo
	v_and_b32_sdwa v2, v7, v0 dst_sel:DWORD dst_unused:UNUSED_PAD src0_sel:WORD_0 src1_sel:DWORD
	v_cmpx_ne_u32_e32 0x7f, v2
	s_cbranch_execz .LBB314_1313
; %bb.1310:                             ;   in Loop: Header=BB314_16 Depth=1
	v_mov_b32_e32 v0, 7
	v_lshrrev_b32_e32 v1, 3, v2
	s_mov_b32 s28, exec_lo
	v_and_b32_sdwa v0, v7, v0 dst_sel:DWORD dst_unused:UNUSED_PAD src0_sel:WORD_0 src1_sel:DWORD
	v_cmpx_gt_u32_e32 8, v2
; %bb.1311:                             ;   in Loop: Header=BB314_16 Depth=1
	v_ffbh_u32_e32 v0, v0
	v_min_u32_e32 v2, 32, v0
	v_subrev_nc_u32_e32 v0, 28, v2
	v_lshlrev_b64 v[0:1], v0, v[7:8]
	v_sub_nc_u32_e32 v1, 29, v2
	v_and_b32_e32 v0, 7, v0
; %bb.1312:                             ;   in Loop: Header=BB314_16 Depth=1
	s_or_b32 exec_lo, exec_lo, s28
	v_mov_b32_e32 v2, 8
	v_lshl_add_u32 v1, v1, 10, 0x2000
	v_lshlrev_b32_e32 v0, 23, v0
	v_lshlrev_b32_sdwa v2, v2, v7 dst_sel:DWORD dst_unused:UNUSED_PAD src0_sel:DWORD src1_sel:WORD_0
	v_and_or_b32 v1, 0x8000, v2, v1
	v_lshl_or_b32 v10, v1, 16, v0
.LBB314_1313:                           ;   in Loop: Header=BB314_16 Depth=1
	s_or_b32 exec_lo, exec_lo, s27
.LBB314_1314:                           ;   in Loop: Header=BB314_16 Depth=1
	s_or_b32 exec_lo, exec_lo, s26
.LBB314_1315:                           ;   in Loop: Header=BB314_16 Depth=1
	s_or_b32 exec_lo, exec_lo, s25
	v_lshrrev_b32_e32 v7, 16, v35
	v_cmp_ne_u16_sdwa s5, v7, v8 src0_sel:BYTE_0 src1_sel:DWORD
	s_and_saveexec_b32 s25, s5
	s_cbranch_execz .LBB314_1323
; %bb.1316:                             ;   in Loop: Header=BB314_16 Depth=1
	v_cmp_ne_u16_sdwa s5, v7, v70 src0_sel:BYTE_0 src1_sel:DWORD
	v_mov_b32_e32 v100, 0x8000
	s_and_saveexec_b32 s26, s5
	s_cbranch_execz .LBB314_1322
; %bb.1317:                             ;   in Loop: Header=BB314_16 Depth=1
	v_bfe_u32 v2, v35, 16, 7
	v_mov_b32_e32 v100, 0x7c01
	s_mov_b32 s27, exec_lo
	v_cmpx_ne_u32_e32 0x7f, v2
	s_cbranch_execz .LBB314_1321
; %bb.1318:                             ;   in Loop: Header=BB314_16 Depth=1
	v_and_b32_e32 v0, 7, v7
	v_lshrrev_b32_e32 v1, 3, v2
	s_mov_b32 s28, exec_lo
	v_cmpx_gt_u32_e32 8, v2
; %bb.1319:                             ;   in Loop: Header=BB314_16 Depth=1
	v_ffbh_u32_e32 v0, v0
	v_min_u32_e32 v2, 32, v0
	v_subrev_nc_u32_e32 v0, 28, v2
	v_lshlrev_b64 v[0:1], v0, v[7:8]
	v_sub_nc_u32_e32 v1, 29, v2
	v_and_b32_e32 v0, 7, v0
; %bb.1320:                             ;   in Loop: Header=BB314_16 Depth=1
	s_or_b32 exec_lo, exec_lo, s28
	v_lshlrev_b32_e32 v2, 8, v7
	v_lshl_add_u32 v1, v1, 10, 0x2000
	v_lshlrev_b32_e32 v0, 7, v0
	v_and_b32_e32 v2, 0x8000, v2
	v_and_b32_e32 v1, 0xfc00, v1
	v_or3_b32 v100, v2, v1, v0
.LBB314_1321:                           ;   in Loop: Header=BB314_16 Depth=1
	s_or_b32 exec_lo, exec_lo, s27
.LBB314_1322:                           ;   in Loop: Header=BB314_16 Depth=1
	s_or_b32 exec_lo, exec_lo, s26
.LBB314_1323:                           ;   in Loop: Header=BB314_16 Depth=1
	s_or_b32 exec_lo, exec_lo, s25
	v_mov_b32_e32 v87, 0
	v_mov_b32_e32 v103, 0
	s_mov_b32 s25, exec_lo
	v_cmpx_lt_u32_e32 0xffffff, v35
	s_cbranch_execz .LBB314_1331
; %bb.1324:                             ;   in Loop: Header=BB314_16 Depth=1
	v_lshrrev_b32_e32 v7, 24, v35
	v_bfrev_b32_e32 v103, 1
	s_mov_b32 s26, exec_lo
	v_cmpx_ne_u32_e32 0x80, v7
	s_cbranch_execz .LBB314_1330
; %bb.1325:                             ;   in Loop: Header=BB314_16 Depth=1
	v_and_b32_e32 v2, 0x7f, v7
	v_mov_b32_e32 v103, 0x7c010000
	s_mov_b32 s27, exec_lo
	v_cmpx_ne_u32_e32 0x7f, v2
	s_cbranch_execz .LBB314_1329
; %bb.1326:                             ;   in Loop: Header=BB314_16 Depth=1
	v_and_b32_e32 v0, 7, v7
	v_lshrrev_b32_e32 v1, 3, v2
	s_mov_b32 s28, exec_lo
	v_cmpx_gt_u32_e32 8, v2
; %bb.1327:                             ;   in Loop: Header=BB314_16 Depth=1
	v_ffbh_u32_e32 v0, v0
	v_min_u32_e32 v2, 32, v0
	v_subrev_nc_u32_e32 v0, 28, v2
	v_lshlrev_b64 v[0:1], v0, v[7:8]
	v_sub_nc_u32_e32 v1, 29, v2
	v_and_b32_e32 v0, 7, v0
; %bb.1328:                             ;   in Loop: Header=BB314_16 Depth=1
	s_or_b32 exec_lo, exec_lo, s28
	v_lshlrev_b32_e32 v2, 8, v7
	v_lshl_add_u32 v1, v1, 10, 0x2000
	v_lshlrev_b32_e32 v0, 23, v0
	v_and_or_b32 v1, 0x8000, v2, v1
	v_lshl_or_b32 v103, v1, 16, v0
.LBB314_1329:                           ;   in Loop: Header=BB314_16 Depth=1
	s_or_b32 exec_lo, exec_lo, s27
.LBB314_1330:                           ;   in Loop: Header=BB314_16 Depth=1
	s_or_b32 exec_lo, exec_lo, s26
.LBB314_1331:                           ;   in Loop: Header=BB314_16 Depth=1
	s_or_b32 exec_lo, exec_lo, s25
	v_mov_b32_e32 v7, v36
	v_cmp_ne_u16_sdwa s5, v36, v8 src0_sel:BYTE_0 src1_sel:DWORD
	s_and_saveexec_b32 s25, s5
	s_cbranch_execz .LBB314_1339
; %bb.1332:                             ;   in Loop: Header=BB314_16 Depth=1
	v_cmp_ne_u16_sdwa s5, v36, v70 src0_sel:BYTE_0 src1_sel:DWORD
	v_mov_b32_e32 v87, 0x8000
	s_and_saveexec_b32 s26, s5
	s_cbranch_execz .LBB314_1338
; %bb.1333:                             ;   in Loop: Header=BB314_16 Depth=1
	v_and_b32_e32 v2, 0x7f, v36
	v_mov_b32_e32 v87, 0x7c01
	s_mov_b32 s27, exec_lo
	v_cmpx_ne_u32_e32 0x7f, v2
	s_cbranch_execz .LBB314_1337
; %bb.1334:                             ;   in Loop: Header=BB314_16 Depth=1
	v_and_b32_e32 v0, 7, v36
	v_lshrrev_b32_e32 v1, 3, v2
	s_mov_b32 s28, exec_lo
	v_cmpx_gt_u32_e32 8, v2
; %bb.1335:                             ;   in Loop: Header=BB314_16 Depth=1
	v_ffbh_u32_e32 v0, v0
	v_min_u32_e32 v2, 32, v0
	v_subrev_nc_u32_e32 v0, 28, v2
	v_lshlrev_b64 v[0:1], v0, v[7:8]
	v_sub_nc_u32_e32 v1, 29, v2
	v_and_b32_e32 v0, 7, v0
; %bb.1336:                             ;   in Loop: Header=BB314_16 Depth=1
	s_or_b32 exec_lo, exec_lo, s28
	v_lshlrev_b32_e32 v2, 8, v36
	v_lshl_add_u32 v1, v1, 10, 0x2000
	v_lshlrev_b32_e32 v0, 7, v0
	v_and_b32_e32 v2, 0x8000, v2
	v_and_b32_e32 v1, 0xfc00, v1
	v_or3_b32 v87, v2, v1, v0
.LBB314_1337:                           ;   in Loop: Header=BB314_16 Depth=1
	s_or_b32 exec_lo, exec_lo, s27
.LBB314_1338:                           ;   in Loop: Header=BB314_16 Depth=1
	s_or_b32 exec_lo, exec_lo, s26
.LBB314_1339:                           ;   in Loop: Header=BB314_16 Depth=1
	s_or_b32 exec_lo, exec_lo, s25
	v_lshrrev_b16 v7, 8, v7
	v_mov_b32_e32 v110, 0
	v_mov_b32_e32 v58, 0
	s_mov_b32 s25, exec_lo
	v_cmpx_ne_u16_e32 0, v7
	s_cbranch_execz .LBB314_1347
; %bb.1340:                             ;   in Loop: Header=BB314_16 Depth=1
	v_bfrev_b32_e32 v58, 1
	s_mov_b32 s26, exec_lo
	v_cmpx_ne_u16_e32 0x80, v7
	s_cbranch_execz .LBB314_1346
; %bb.1341:                             ;   in Loop: Header=BB314_16 Depth=1
	v_mov_b32_e32 v0, 0x7f
	v_mov_b32_e32 v58, 0x7c010000
	s_mov_b32 s27, exec_lo
	v_and_b32_sdwa v2, v7, v0 dst_sel:DWORD dst_unused:UNUSED_PAD src0_sel:WORD_0 src1_sel:DWORD
	v_cmpx_ne_u32_e32 0x7f, v2
	s_cbranch_execz .LBB314_1345
; %bb.1342:                             ;   in Loop: Header=BB314_16 Depth=1
	v_mov_b32_e32 v0, 7
	v_lshrrev_b32_e32 v1, 3, v2
	s_mov_b32 s28, exec_lo
	v_and_b32_sdwa v0, v7, v0 dst_sel:DWORD dst_unused:UNUSED_PAD src0_sel:WORD_0 src1_sel:DWORD
	v_cmpx_gt_u32_e32 8, v2
; %bb.1343:                             ;   in Loop: Header=BB314_16 Depth=1
	v_ffbh_u32_e32 v0, v0
	v_min_u32_e32 v2, 32, v0
	v_subrev_nc_u32_e32 v0, 28, v2
	v_lshlrev_b64 v[0:1], v0, v[7:8]
	v_sub_nc_u32_e32 v1, 29, v2
	v_and_b32_e32 v0, 7, v0
; %bb.1344:                             ;   in Loop: Header=BB314_16 Depth=1
	s_or_b32 exec_lo, exec_lo, s28
	v_mov_b32_e32 v2, 8
	v_lshl_add_u32 v1, v1, 10, 0x2000
	v_lshlrev_b32_e32 v0, 23, v0
	v_lshlrev_b32_sdwa v2, v2, v7 dst_sel:DWORD dst_unused:UNUSED_PAD src0_sel:DWORD src1_sel:WORD_0
	v_and_or_b32 v1, 0x8000, v2, v1
	v_lshl_or_b32 v58, v1, 16, v0
.LBB314_1345:                           ;   in Loop: Header=BB314_16 Depth=1
	s_or_b32 exec_lo, exec_lo, s27
.LBB314_1346:                           ;   in Loop: Header=BB314_16 Depth=1
	s_or_b32 exec_lo, exec_lo, s26
.LBB314_1347:                           ;   in Loop: Header=BB314_16 Depth=1
	s_or_b32 exec_lo, exec_lo, s25
	v_lshrrev_b32_e32 v7, 16, v36
	v_cmp_ne_u16_sdwa s5, v7, v8 src0_sel:BYTE_0 src1_sel:DWORD
	s_and_saveexec_b32 s25, s5
	s_cbranch_execz .LBB314_1355
; %bb.1348:                             ;   in Loop: Header=BB314_16 Depth=1
	v_cmp_ne_u16_sdwa s5, v7, v70 src0_sel:BYTE_0 src1_sel:DWORD
	v_mov_b32_e32 v110, 0x8000
	s_and_saveexec_b32 s26, s5
	s_cbranch_execz .LBB314_1354
; %bb.1349:                             ;   in Loop: Header=BB314_16 Depth=1
	v_bfe_u32 v2, v36, 16, 7
	v_mov_b32_e32 v110, 0x7c01
	s_mov_b32 s27, exec_lo
	v_cmpx_ne_u32_e32 0x7f, v2
	s_cbranch_execz .LBB314_1353
; %bb.1350:                             ;   in Loop: Header=BB314_16 Depth=1
	v_and_b32_e32 v0, 7, v7
	v_lshrrev_b32_e32 v1, 3, v2
	s_mov_b32 s28, exec_lo
	v_cmpx_gt_u32_e32 8, v2
; %bb.1351:                             ;   in Loop: Header=BB314_16 Depth=1
	v_ffbh_u32_e32 v0, v0
	v_min_u32_e32 v2, 32, v0
	v_subrev_nc_u32_e32 v0, 28, v2
	v_lshlrev_b64 v[0:1], v0, v[7:8]
	v_sub_nc_u32_e32 v1, 29, v2
	v_and_b32_e32 v0, 7, v0
; %bb.1352:                             ;   in Loop: Header=BB314_16 Depth=1
	s_or_b32 exec_lo, exec_lo, s28
	v_lshlrev_b32_e32 v2, 8, v7
	v_lshl_add_u32 v1, v1, 10, 0x2000
	v_lshlrev_b32_e32 v0, 7, v0
	v_and_b32_e32 v2, 0x8000, v2
	v_and_b32_e32 v1, 0xfc00, v1
	v_or3_b32 v110, v2, v1, v0
.LBB314_1353:                           ;   in Loop: Header=BB314_16 Depth=1
	s_or_b32 exec_lo, exec_lo, s27
.LBB314_1354:                           ;   in Loop: Header=BB314_16 Depth=1
	s_or_b32 exec_lo, exec_lo, s26
.LBB314_1355:                           ;   in Loop: Header=BB314_16 Depth=1
	s_or_b32 exec_lo, exec_lo, s25
	v_mov_b32_e32 v120, 0
	v_mov_b32_e32 v47, 0
	s_mov_b32 s25, exec_lo
	v_cmpx_lt_u64_e64 s[20:21], v[35:36]
	s_cbranch_execz .LBB314_1363
; %bb.1356:                             ;   in Loop: Header=BB314_16 Depth=1
	v_lshrrev_b32_e32 v7, 24, v36
	v_bfrev_b32_e32 v47, 1
	s_mov_b32 s26, exec_lo
	v_cmpx_ne_u32_e32 0x80, v7
	s_cbranch_execz .LBB314_1362
; %bb.1357:                             ;   in Loop: Header=BB314_16 Depth=1
	v_and_b32_e32 v2, 0x7f, v7
	v_mov_b32_e32 v47, 0x7c010000
	s_mov_b32 s27, exec_lo
	v_cmpx_ne_u32_e32 0x7f, v2
	s_cbranch_execz .LBB314_1361
; %bb.1358:                             ;   in Loop: Header=BB314_16 Depth=1
	v_and_b32_e32 v0, 7, v7
	v_lshrrev_b32_e32 v1, 3, v2
	s_mov_b32 s28, exec_lo
	v_cmpx_gt_u32_e32 8, v2
; %bb.1359:                             ;   in Loop: Header=BB314_16 Depth=1
	v_ffbh_u32_e32 v0, v0
	v_min_u32_e32 v2, 32, v0
	v_subrev_nc_u32_e32 v0, 28, v2
	v_lshlrev_b64 v[0:1], v0, v[7:8]
	v_sub_nc_u32_e32 v1, 29, v2
	v_and_b32_e32 v0, 7, v0
; %bb.1360:                             ;   in Loop: Header=BB314_16 Depth=1
	s_or_b32 exec_lo, exec_lo, s28
	v_lshlrev_b32_e32 v2, 8, v7
	v_lshl_add_u32 v1, v1, 10, 0x2000
	v_lshlrev_b32_e32 v0, 23, v0
	v_and_or_b32 v1, 0x8000, v2, v1
	v_lshl_or_b32 v47, v1, 16, v0
.LBB314_1361:                           ;   in Loop: Header=BB314_16 Depth=1
	s_or_b32 exec_lo, exec_lo, s27
.LBB314_1362:                           ;   in Loop: Header=BB314_16 Depth=1
	s_or_b32 exec_lo, exec_lo, s26
.LBB314_1363:                           ;   in Loop: Header=BB314_16 Depth=1
	s_or_b32 exec_lo, exec_lo, s25
	flat_load_dwordx2 v[35:36], v[33:34] offset:1032
	s_waitcnt vmcnt(0) lgkmcnt(0)
	v_cmp_ne_u16_sdwa s5, v35, v8 src0_sel:BYTE_0 src1_sel:DWORD
	s_and_saveexec_b32 s25, s5
	s_cbranch_execz .LBB314_1371
; %bb.1364:                             ;   in Loop: Header=BB314_16 Depth=1
	v_cmp_ne_u16_sdwa s5, v35, v70 src0_sel:BYTE_0 src1_sel:DWORD
	v_mov_b32_e32 v120, 0x8000
	s_and_saveexec_b32 s26, s5
	s_cbranch_execz .LBB314_1370
; %bb.1365:                             ;   in Loop: Header=BB314_16 Depth=1
	v_and_b32_e32 v2, 0x7f, v35
	v_mov_b32_e32 v120, 0x7c01
	s_mov_b32 s27, exec_lo
	v_cmpx_ne_u32_e32 0x7f, v2
	s_cbranch_execz .LBB314_1369
; %bb.1366:                             ;   in Loop: Header=BB314_16 Depth=1
	v_and_b32_e32 v0, 7, v35
	v_lshrrev_b32_e32 v1, 3, v2
	s_mov_b32 s28, exec_lo
	v_cmpx_gt_u32_e32 8, v2
; %bb.1367:                             ;   in Loop: Header=BB314_16 Depth=1
	v_ffbh_u32_e32 v0, v0
	v_min_u32_e32 v2, 32, v0
	v_subrev_nc_u32_e32 v0, 28, v2
	v_lshlrev_b64 v[0:1], v0, v[35:36]
	v_sub_nc_u32_e32 v1, 29, v2
	v_and_b32_e32 v0, 7, v0
; %bb.1368:                             ;   in Loop: Header=BB314_16 Depth=1
	s_or_b32 exec_lo, exec_lo, s28
	v_lshlrev_b32_e32 v2, 8, v35
	v_lshl_add_u32 v1, v1, 10, 0x2000
	v_lshlrev_b32_e32 v0, 7, v0
	v_and_b32_e32 v2, 0x8000, v2
	v_and_b32_e32 v1, 0xfc00, v1
	v_or3_b32 v120, v2, v1, v0
.LBB314_1369:                           ;   in Loop: Header=BB314_16 Depth=1
	s_or_b32 exec_lo, exec_lo, s27
.LBB314_1370:                           ;   in Loop: Header=BB314_16 Depth=1
	s_or_b32 exec_lo, exec_lo, s26
.LBB314_1371:                           ;   in Loop: Header=BB314_16 Depth=1
	s_or_b32 exec_lo, exec_lo, s25
	v_lshrrev_b16 v7, 8, v35
	v_mov_b32_e32 v123, 0
	v_mov_b32_e32 v74, 0
	s_mov_b32 s25, exec_lo
	v_cmpx_ne_u16_e32 0, v7
	s_cbranch_execz .LBB314_1379
; %bb.1372:                             ;   in Loop: Header=BB314_16 Depth=1
	v_bfrev_b32_e32 v74, 1
	s_mov_b32 s26, exec_lo
	v_cmpx_ne_u16_e32 0x80, v7
	s_cbranch_execz .LBB314_1378
; %bb.1373:                             ;   in Loop: Header=BB314_16 Depth=1
	v_mov_b32_e32 v0, 0x7f
	v_mov_b32_e32 v74, 0x7c010000
	s_mov_b32 s27, exec_lo
	v_and_b32_sdwa v2, v7, v0 dst_sel:DWORD dst_unused:UNUSED_PAD src0_sel:WORD_0 src1_sel:DWORD
	v_cmpx_ne_u32_e32 0x7f, v2
	s_cbranch_execz .LBB314_1377
; %bb.1374:                             ;   in Loop: Header=BB314_16 Depth=1
	v_mov_b32_e32 v0, 7
	v_lshrrev_b32_e32 v1, 3, v2
	s_mov_b32 s28, exec_lo
	v_and_b32_sdwa v0, v7, v0 dst_sel:DWORD dst_unused:UNUSED_PAD src0_sel:WORD_0 src1_sel:DWORD
	v_cmpx_gt_u32_e32 8, v2
; %bb.1375:                             ;   in Loop: Header=BB314_16 Depth=1
	v_ffbh_u32_e32 v0, v0
	v_min_u32_e32 v2, 32, v0
	v_subrev_nc_u32_e32 v0, 28, v2
	v_lshlrev_b64 v[0:1], v0, v[7:8]
	v_sub_nc_u32_e32 v1, 29, v2
	v_and_b32_e32 v0, 7, v0
; %bb.1376:                             ;   in Loop: Header=BB314_16 Depth=1
	s_or_b32 exec_lo, exec_lo, s28
	v_mov_b32_e32 v2, 8
	v_lshl_add_u32 v1, v1, 10, 0x2000
	v_lshlrev_b32_e32 v0, 23, v0
	v_lshlrev_b32_sdwa v2, v2, v7 dst_sel:DWORD dst_unused:UNUSED_PAD src0_sel:DWORD src1_sel:WORD_0
	v_and_or_b32 v1, 0x8000, v2, v1
	v_lshl_or_b32 v74, v1, 16, v0
.LBB314_1377:                           ;   in Loop: Header=BB314_16 Depth=1
	s_or_b32 exec_lo, exec_lo, s27
.LBB314_1378:                           ;   in Loop: Header=BB314_16 Depth=1
	s_or_b32 exec_lo, exec_lo, s26
.LBB314_1379:                           ;   in Loop: Header=BB314_16 Depth=1
	s_or_b32 exec_lo, exec_lo, s25
	v_lshrrev_b32_e32 v7, 16, v35
	v_cmp_ne_u16_sdwa s5, v7, v8 src0_sel:BYTE_0 src1_sel:DWORD
	s_and_saveexec_b32 s25, s5
	s_cbranch_execz .LBB314_1387
; %bb.1380:                             ;   in Loop: Header=BB314_16 Depth=1
	v_cmp_ne_u16_sdwa s5, v7, v70 src0_sel:BYTE_0 src1_sel:DWORD
	v_mov_b32_e32 v123, 0x8000
	s_and_saveexec_b32 s26, s5
	s_cbranch_execz .LBB314_1386
; %bb.1381:                             ;   in Loop: Header=BB314_16 Depth=1
	v_bfe_u32 v2, v35, 16, 7
	v_mov_b32_e32 v123, 0x7c01
	s_mov_b32 s27, exec_lo
	v_cmpx_ne_u32_e32 0x7f, v2
	s_cbranch_execz .LBB314_1385
; %bb.1382:                             ;   in Loop: Header=BB314_16 Depth=1
	v_and_b32_e32 v0, 7, v7
	v_lshrrev_b32_e32 v1, 3, v2
	s_mov_b32 s28, exec_lo
	v_cmpx_gt_u32_e32 8, v2
; %bb.1383:                             ;   in Loop: Header=BB314_16 Depth=1
	v_ffbh_u32_e32 v0, v0
	v_min_u32_e32 v2, 32, v0
	v_subrev_nc_u32_e32 v0, 28, v2
	v_lshlrev_b64 v[0:1], v0, v[7:8]
	v_sub_nc_u32_e32 v1, 29, v2
	v_and_b32_e32 v0, 7, v0
; %bb.1384:                             ;   in Loop: Header=BB314_16 Depth=1
	s_or_b32 exec_lo, exec_lo, s28
	v_lshlrev_b32_e32 v2, 8, v7
	v_lshl_add_u32 v1, v1, 10, 0x2000
	v_lshlrev_b32_e32 v0, 7, v0
	v_and_b32_e32 v2, 0x8000, v2
	v_and_b32_e32 v1, 0xfc00, v1
	v_or3_b32 v123, v2, v1, v0
.LBB314_1385:                           ;   in Loop: Header=BB314_16 Depth=1
	s_or_b32 exec_lo, exec_lo, s27
.LBB314_1386:                           ;   in Loop: Header=BB314_16 Depth=1
	s_or_b32 exec_lo, exec_lo, s26
.LBB314_1387:                           ;   in Loop: Header=BB314_16 Depth=1
	s_or_b32 exec_lo, exec_lo, s25
	v_mov_b32_e32 v9, 0
	v_mov_b32_e32 v79, 0
	s_mov_b32 s25, exec_lo
	v_cmpx_lt_u32_e32 0xffffff, v35
	s_cbranch_execz .LBB314_1395
; %bb.1388:                             ;   in Loop: Header=BB314_16 Depth=1
	v_lshrrev_b32_e32 v7, 24, v35
	v_bfrev_b32_e32 v79, 1
	s_mov_b32 s26, exec_lo
	v_cmpx_ne_u32_e32 0x80, v7
	s_cbranch_execz .LBB314_1394
; %bb.1389:                             ;   in Loop: Header=BB314_16 Depth=1
	v_and_b32_e32 v2, 0x7f, v7
	v_mov_b32_e32 v79, 0x7c010000
	s_mov_b32 s27, exec_lo
	v_cmpx_ne_u32_e32 0x7f, v2
	s_cbranch_execz .LBB314_1393
; %bb.1390:                             ;   in Loop: Header=BB314_16 Depth=1
	v_and_b32_e32 v0, 7, v7
	v_lshrrev_b32_e32 v1, 3, v2
	s_mov_b32 s28, exec_lo
	v_cmpx_gt_u32_e32 8, v2
; %bb.1391:                             ;   in Loop: Header=BB314_16 Depth=1
	v_ffbh_u32_e32 v0, v0
	v_min_u32_e32 v2, 32, v0
	v_subrev_nc_u32_e32 v0, 28, v2
	v_lshlrev_b64 v[0:1], v0, v[7:8]
	v_sub_nc_u32_e32 v1, 29, v2
	v_and_b32_e32 v0, 7, v0
; %bb.1392:                             ;   in Loop: Header=BB314_16 Depth=1
	s_or_b32 exec_lo, exec_lo, s28
	v_lshlrev_b32_e32 v2, 8, v7
	v_lshl_add_u32 v1, v1, 10, 0x2000
	v_lshlrev_b32_e32 v0, 23, v0
	v_and_or_b32 v1, 0x8000, v2, v1
	v_lshl_or_b32 v79, v1, 16, v0
.LBB314_1393:                           ;   in Loop: Header=BB314_16 Depth=1
	s_or_b32 exec_lo, exec_lo, s27
.LBB314_1394:                           ;   in Loop: Header=BB314_16 Depth=1
	s_or_b32 exec_lo, exec_lo, s26
.LBB314_1395:                           ;   in Loop: Header=BB314_16 Depth=1
	s_or_b32 exec_lo, exec_lo, s25
	v_mov_b32_e32 v7, v36
	v_cmp_ne_u16_sdwa s5, v36, v8 src0_sel:BYTE_0 src1_sel:DWORD
	s_and_saveexec_b32 s25, s5
	s_cbranch_execz .LBB314_1403
; %bb.1396:                             ;   in Loop: Header=BB314_16 Depth=1
	v_cmp_ne_u16_sdwa s5, v36, v70 src0_sel:BYTE_0 src1_sel:DWORD
	v_mov_b32_e32 v9, 0x8000
	s_and_saveexec_b32 s26, s5
	s_cbranch_execz .LBB314_1402
; %bb.1397:                             ;   in Loop: Header=BB314_16 Depth=1
	v_and_b32_e32 v2, 0x7f, v36
	v_mov_b32_e32 v9, 0x7c01
	s_mov_b32 s27, exec_lo
	v_cmpx_ne_u32_e32 0x7f, v2
	s_cbranch_execz .LBB314_1401
; %bb.1398:                             ;   in Loop: Header=BB314_16 Depth=1
	v_and_b32_e32 v0, 7, v36
	v_lshrrev_b32_e32 v1, 3, v2
	s_mov_b32 s28, exec_lo
	v_cmpx_gt_u32_e32 8, v2
; %bb.1399:                             ;   in Loop: Header=BB314_16 Depth=1
	v_ffbh_u32_e32 v0, v0
	v_min_u32_e32 v2, 32, v0
	v_subrev_nc_u32_e32 v0, 28, v2
	v_lshlrev_b64 v[0:1], v0, v[7:8]
	v_sub_nc_u32_e32 v1, 29, v2
	v_and_b32_e32 v0, 7, v0
; %bb.1400:                             ;   in Loop: Header=BB314_16 Depth=1
	s_or_b32 exec_lo, exec_lo, s28
	v_lshlrev_b32_e32 v2, 8, v36
	v_lshl_add_u32 v1, v1, 10, 0x2000
	v_lshlrev_b32_e32 v0, 7, v0
	v_and_b32_e32 v2, 0x8000, v2
	v_and_b32_e32 v1, 0xfc00, v1
	v_or3_b32 v9, v2, v1, v0
.LBB314_1401:                           ;   in Loop: Header=BB314_16 Depth=1
	s_or_b32 exec_lo, exec_lo, s27
.LBB314_1402:                           ;   in Loop: Header=BB314_16 Depth=1
	s_or_b32 exec_lo, exec_lo, s26
.LBB314_1403:                           ;   in Loop: Header=BB314_16 Depth=1
	s_or_b32 exec_lo, exec_lo, s25
	v_lshrrev_b16 v7, 8, v7
	v_mov_b32_e32 v114, 0
	v_mov_b32_e32 v104, 0
	s_mov_b32 s25, exec_lo
	v_cmpx_ne_u16_e32 0, v7
	s_cbranch_execz .LBB314_1411
; %bb.1404:                             ;   in Loop: Header=BB314_16 Depth=1
	v_bfrev_b32_e32 v104, 1
	s_mov_b32 s26, exec_lo
	v_cmpx_ne_u16_e32 0x80, v7
	s_cbranch_execz .LBB314_1410
; %bb.1405:                             ;   in Loop: Header=BB314_16 Depth=1
	v_mov_b32_e32 v0, 0x7f
	v_mov_b32_e32 v104, 0x7c010000
	s_mov_b32 s27, exec_lo
	v_and_b32_sdwa v2, v7, v0 dst_sel:DWORD dst_unused:UNUSED_PAD src0_sel:WORD_0 src1_sel:DWORD
	v_cmpx_ne_u32_e32 0x7f, v2
	s_cbranch_execz .LBB314_1409
; %bb.1406:                             ;   in Loop: Header=BB314_16 Depth=1
	v_mov_b32_e32 v0, 7
	v_lshrrev_b32_e32 v1, 3, v2
	s_mov_b32 s28, exec_lo
	v_and_b32_sdwa v0, v7, v0 dst_sel:DWORD dst_unused:UNUSED_PAD src0_sel:WORD_0 src1_sel:DWORD
	v_cmpx_gt_u32_e32 8, v2
; %bb.1407:                             ;   in Loop: Header=BB314_16 Depth=1
	v_ffbh_u32_e32 v0, v0
	v_min_u32_e32 v2, 32, v0
	v_subrev_nc_u32_e32 v0, 28, v2
	v_lshlrev_b64 v[0:1], v0, v[7:8]
	v_sub_nc_u32_e32 v1, 29, v2
	v_and_b32_e32 v0, 7, v0
; %bb.1408:                             ;   in Loop: Header=BB314_16 Depth=1
	s_or_b32 exec_lo, exec_lo, s28
	v_mov_b32_e32 v2, 8
	v_lshl_add_u32 v1, v1, 10, 0x2000
	v_lshlrev_b32_e32 v0, 23, v0
	v_lshlrev_b32_sdwa v2, v2, v7 dst_sel:DWORD dst_unused:UNUSED_PAD src0_sel:DWORD src1_sel:WORD_0
	v_and_or_b32 v1, 0x8000, v2, v1
	v_lshl_or_b32 v104, v1, 16, v0
.LBB314_1409:                           ;   in Loop: Header=BB314_16 Depth=1
	s_or_b32 exec_lo, exec_lo, s27
.LBB314_1410:                           ;   in Loop: Header=BB314_16 Depth=1
	s_or_b32 exec_lo, exec_lo, s26
.LBB314_1411:                           ;   in Loop: Header=BB314_16 Depth=1
	s_or_b32 exec_lo, exec_lo, s25
	v_lshrrev_b32_e32 v7, 16, v36
	v_cmp_ne_u16_sdwa s5, v7, v8 src0_sel:BYTE_0 src1_sel:DWORD
	s_and_saveexec_b32 s25, s5
	s_cbranch_execz .LBB314_1419
; %bb.1412:                             ;   in Loop: Header=BB314_16 Depth=1
	v_cmp_ne_u16_sdwa s5, v7, v70 src0_sel:BYTE_0 src1_sel:DWORD
	v_mov_b32_e32 v114, 0x8000
	s_and_saveexec_b32 s26, s5
	s_cbranch_execz .LBB314_1418
; %bb.1413:                             ;   in Loop: Header=BB314_16 Depth=1
	v_bfe_u32 v2, v36, 16, 7
	v_mov_b32_e32 v114, 0x7c01
	s_mov_b32 s27, exec_lo
	v_cmpx_ne_u32_e32 0x7f, v2
	s_cbranch_execz .LBB314_1417
; %bb.1414:                             ;   in Loop: Header=BB314_16 Depth=1
	v_and_b32_e32 v0, 7, v7
	v_lshrrev_b32_e32 v1, 3, v2
	s_mov_b32 s28, exec_lo
	v_cmpx_gt_u32_e32 8, v2
; %bb.1415:                             ;   in Loop: Header=BB314_16 Depth=1
	v_ffbh_u32_e32 v0, v0
	v_min_u32_e32 v2, 32, v0
	v_subrev_nc_u32_e32 v0, 28, v2
	v_lshlrev_b64 v[0:1], v0, v[7:8]
	v_sub_nc_u32_e32 v1, 29, v2
	v_and_b32_e32 v0, 7, v0
; %bb.1416:                             ;   in Loop: Header=BB314_16 Depth=1
	s_or_b32 exec_lo, exec_lo, s28
	v_lshlrev_b32_e32 v2, 8, v7
	v_lshl_add_u32 v1, v1, 10, 0x2000
	v_lshlrev_b32_e32 v0, 7, v0
	v_and_b32_e32 v2, 0x8000, v2
	v_and_b32_e32 v1, 0xfc00, v1
	v_or3_b32 v114, v2, v1, v0
.LBB314_1417:                           ;   in Loop: Header=BB314_16 Depth=1
	s_or_b32 exec_lo, exec_lo, s27
.LBB314_1418:                           ;   in Loop: Header=BB314_16 Depth=1
	s_or_b32 exec_lo, exec_lo, s26
.LBB314_1419:                           ;   in Loop: Header=BB314_16 Depth=1
	s_or_b32 exec_lo, exec_lo, s25
	v_mov_b32_e32 v94, 0
	v_mov_b32_e32 v22, 0
	s_mov_b32 s25, exec_lo
	v_cmpx_lt_u64_e64 s[20:21], v[35:36]
	s_cbranch_execz .LBB314_1427
; %bb.1420:                             ;   in Loop: Header=BB314_16 Depth=1
	v_lshrrev_b32_e32 v7, 24, v36
	v_bfrev_b32_e32 v22, 1
	s_mov_b32 s26, exec_lo
	v_cmpx_ne_u32_e32 0x80, v7
	s_cbranch_execz .LBB314_1426
; %bb.1421:                             ;   in Loop: Header=BB314_16 Depth=1
	v_and_b32_e32 v2, 0x7f, v7
	v_mov_b32_e32 v22, 0x7c010000
	s_mov_b32 s27, exec_lo
	v_cmpx_ne_u32_e32 0x7f, v2
	s_cbranch_execz .LBB314_1425
; %bb.1422:                             ;   in Loop: Header=BB314_16 Depth=1
	v_and_b32_e32 v0, 7, v7
	v_lshrrev_b32_e32 v1, 3, v2
	s_mov_b32 s28, exec_lo
	v_cmpx_gt_u32_e32 8, v2
; %bb.1423:                             ;   in Loop: Header=BB314_16 Depth=1
	v_ffbh_u32_e32 v0, v0
	v_min_u32_e32 v2, 32, v0
	v_subrev_nc_u32_e32 v0, 28, v2
	v_lshlrev_b64 v[0:1], v0, v[7:8]
	v_sub_nc_u32_e32 v1, 29, v2
	v_and_b32_e32 v0, 7, v0
; %bb.1424:                             ;   in Loop: Header=BB314_16 Depth=1
	s_or_b32 exec_lo, exec_lo, s28
	v_lshlrev_b32_e32 v2, 8, v7
	v_lshl_add_u32 v1, v1, 10, 0x2000
	v_lshlrev_b32_e32 v0, 23, v0
	v_and_or_b32 v1, 0x8000, v2, v1
	v_lshl_or_b32 v22, v1, 16, v0
.LBB314_1425:                           ;   in Loop: Header=BB314_16 Depth=1
	s_or_b32 exec_lo, exec_lo, s27
.LBB314_1426:                           ;   in Loop: Header=BB314_16 Depth=1
	s_or_b32 exec_lo, exec_lo, s26
.LBB314_1427:                           ;   in Loop: Header=BB314_16 Depth=1
	s_or_b32 exec_lo, exec_lo, s25
	flat_load_dwordx2 v[35:36], v[33:34] offset:1536
	s_waitcnt vmcnt(0) lgkmcnt(0)
	v_cmp_ne_u16_sdwa s5, v35, v8 src0_sel:BYTE_0 src1_sel:DWORD
	s_and_saveexec_b32 s25, s5
	s_cbranch_execz .LBB314_1435
; %bb.1428:                             ;   in Loop: Header=BB314_16 Depth=1
	v_cmp_ne_u16_sdwa s5, v35, v70 src0_sel:BYTE_0 src1_sel:DWORD
	v_mov_b32_e32 v94, 0x8000
	s_and_saveexec_b32 s26, s5
	s_cbranch_execz .LBB314_1434
; %bb.1429:                             ;   in Loop: Header=BB314_16 Depth=1
	v_and_b32_e32 v2, 0x7f, v35
	v_mov_b32_e32 v94, 0x7c01
	s_mov_b32 s27, exec_lo
	v_cmpx_ne_u32_e32 0x7f, v2
	s_cbranch_execz .LBB314_1433
; %bb.1430:                             ;   in Loop: Header=BB314_16 Depth=1
	v_and_b32_e32 v0, 7, v35
	v_lshrrev_b32_e32 v1, 3, v2
	s_mov_b32 s28, exec_lo
	v_cmpx_gt_u32_e32 8, v2
; %bb.1431:                             ;   in Loop: Header=BB314_16 Depth=1
	v_ffbh_u32_e32 v0, v0
	v_min_u32_e32 v2, 32, v0
	v_subrev_nc_u32_e32 v0, 28, v2
	v_lshlrev_b64 v[0:1], v0, v[35:36]
	v_sub_nc_u32_e32 v1, 29, v2
	v_and_b32_e32 v0, 7, v0
; %bb.1432:                             ;   in Loop: Header=BB314_16 Depth=1
	s_or_b32 exec_lo, exec_lo, s28
	v_lshlrev_b32_e32 v2, 8, v35
	v_lshl_add_u32 v1, v1, 10, 0x2000
	v_lshlrev_b32_e32 v0, 7, v0
	v_and_b32_e32 v2, 0x8000, v2
	v_and_b32_e32 v1, 0xfc00, v1
	v_or3_b32 v94, v2, v1, v0
.LBB314_1433:                           ;   in Loop: Header=BB314_16 Depth=1
	s_or_b32 exec_lo, exec_lo, s27
.LBB314_1434:                           ;   in Loop: Header=BB314_16 Depth=1
	s_or_b32 exec_lo, exec_lo, s26
.LBB314_1435:                           ;   in Loop: Header=BB314_16 Depth=1
	s_or_b32 exec_lo, exec_lo, s25
	v_lshrrev_b16 v7, 8, v35
	v_mov_b32_e32 v42, 0
	v_mov_b32_e32 v90, 0
	s_mov_b32 s25, exec_lo
	v_cmpx_ne_u16_e32 0, v7
	s_cbranch_execz .LBB314_1443
; %bb.1436:                             ;   in Loop: Header=BB314_16 Depth=1
	v_bfrev_b32_e32 v90, 1
	s_mov_b32 s26, exec_lo
	v_cmpx_ne_u16_e32 0x80, v7
	s_cbranch_execz .LBB314_1442
; %bb.1437:                             ;   in Loop: Header=BB314_16 Depth=1
	v_mov_b32_e32 v0, 0x7f
	v_mov_b32_e32 v90, 0x7c010000
	s_mov_b32 s27, exec_lo
	v_and_b32_sdwa v2, v7, v0 dst_sel:DWORD dst_unused:UNUSED_PAD src0_sel:WORD_0 src1_sel:DWORD
	v_cmpx_ne_u32_e32 0x7f, v2
	s_cbranch_execz .LBB314_1441
; %bb.1438:                             ;   in Loop: Header=BB314_16 Depth=1
	v_mov_b32_e32 v0, 7
	v_lshrrev_b32_e32 v1, 3, v2
	s_mov_b32 s28, exec_lo
	v_and_b32_sdwa v0, v7, v0 dst_sel:DWORD dst_unused:UNUSED_PAD src0_sel:WORD_0 src1_sel:DWORD
	v_cmpx_gt_u32_e32 8, v2
; %bb.1439:                             ;   in Loop: Header=BB314_16 Depth=1
	v_ffbh_u32_e32 v0, v0
	v_min_u32_e32 v2, 32, v0
	v_subrev_nc_u32_e32 v0, 28, v2
	v_lshlrev_b64 v[0:1], v0, v[7:8]
	v_sub_nc_u32_e32 v1, 29, v2
	v_and_b32_e32 v0, 7, v0
; %bb.1440:                             ;   in Loop: Header=BB314_16 Depth=1
	s_or_b32 exec_lo, exec_lo, s28
	v_mov_b32_e32 v2, 8
	v_lshl_add_u32 v1, v1, 10, 0x2000
	v_lshlrev_b32_e32 v0, 23, v0
	v_lshlrev_b32_sdwa v2, v2, v7 dst_sel:DWORD dst_unused:UNUSED_PAD src0_sel:DWORD src1_sel:WORD_0
	v_and_or_b32 v1, 0x8000, v2, v1
	v_lshl_or_b32 v90, v1, 16, v0
.LBB314_1441:                           ;   in Loop: Header=BB314_16 Depth=1
	s_or_b32 exec_lo, exec_lo, s27
.LBB314_1442:                           ;   in Loop: Header=BB314_16 Depth=1
	s_or_b32 exec_lo, exec_lo, s26
.LBB314_1443:                           ;   in Loop: Header=BB314_16 Depth=1
	s_or_b32 exec_lo, exec_lo, s25
	v_lshrrev_b32_e32 v7, 16, v35
	v_cmp_ne_u16_sdwa s5, v7, v8 src0_sel:BYTE_0 src1_sel:DWORD
	s_and_saveexec_b32 s25, s5
	s_cbranch_execz .LBB314_1451
; %bb.1444:                             ;   in Loop: Header=BB314_16 Depth=1
	v_cmp_ne_u16_sdwa s5, v7, v70 src0_sel:BYTE_0 src1_sel:DWORD
	v_mov_b32_e32 v42, 0x8000
	s_and_saveexec_b32 s26, s5
	s_cbranch_execz .LBB314_1450
; %bb.1445:                             ;   in Loop: Header=BB314_16 Depth=1
	v_bfe_u32 v2, v35, 16, 7
	v_mov_b32_e32 v42, 0x7c01
	s_mov_b32 s27, exec_lo
	v_cmpx_ne_u32_e32 0x7f, v2
	s_cbranch_execz .LBB314_1449
; %bb.1446:                             ;   in Loop: Header=BB314_16 Depth=1
	v_and_b32_e32 v0, 7, v7
	v_lshrrev_b32_e32 v1, 3, v2
	s_mov_b32 s28, exec_lo
	v_cmpx_gt_u32_e32 8, v2
; %bb.1447:                             ;   in Loop: Header=BB314_16 Depth=1
	v_ffbh_u32_e32 v0, v0
	v_min_u32_e32 v2, 32, v0
	v_subrev_nc_u32_e32 v0, 28, v2
	v_lshlrev_b64 v[0:1], v0, v[7:8]
	v_sub_nc_u32_e32 v1, 29, v2
	v_and_b32_e32 v0, 7, v0
; %bb.1448:                             ;   in Loop: Header=BB314_16 Depth=1
	s_or_b32 exec_lo, exec_lo, s28
	v_lshlrev_b32_e32 v2, 8, v7
	v_lshl_add_u32 v1, v1, 10, 0x2000
	v_lshlrev_b32_e32 v0, 7, v0
	v_and_b32_e32 v2, 0x8000, v2
	v_and_b32_e32 v1, 0xfc00, v1
	v_or3_b32 v42, v2, v1, v0
.LBB314_1449:                           ;   in Loop: Header=BB314_16 Depth=1
	s_or_b32 exec_lo, exec_lo, s27
.LBB314_1450:                           ;   in Loop: Header=BB314_16 Depth=1
	s_or_b32 exec_lo, exec_lo, s26
.LBB314_1451:                           ;   in Loop: Header=BB314_16 Depth=1
	s_or_b32 exec_lo, exec_lo, s25
	v_mov_b32_e32 v5, 0
	v_mov_b32_e32 v93, 0
	s_mov_b32 s25, exec_lo
	v_cmpx_lt_u32_e32 0xffffff, v35
	s_cbranch_execz .LBB314_1459
; %bb.1452:                             ;   in Loop: Header=BB314_16 Depth=1
	v_lshrrev_b32_e32 v7, 24, v35
	v_bfrev_b32_e32 v93, 1
	s_mov_b32 s26, exec_lo
	v_cmpx_ne_u32_e32 0x80, v7
	s_cbranch_execz .LBB314_1458
; %bb.1453:                             ;   in Loop: Header=BB314_16 Depth=1
	v_and_b32_e32 v2, 0x7f, v7
	v_mov_b32_e32 v93, 0x7c010000
	s_mov_b32 s27, exec_lo
	v_cmpx_ne_u32_e32 0x7f, v2
	s_cbranch_execz .LBB314_1457
; %bb.1454:                             ;   in Loop: Header=BB314_16 Depth=1
	v_and_b32_e32 v0, 7, v7
	v_lshrrev_b32_e32 v1, 3, v2
	s_mov_b32 s28, exec_lo
	v_cmpx_gt_u32_e32 8, v2
; %bb.1455:                             ;   in Loop: Header=BB314_16 Depth=1
	v_ffbh_u32_e32 v0, v0
	v_min_u32_e32 v2, 32, v0
	v_subrev_nc_u32_e32 v0, 28, v2
	v_lshlrev_b64 v[0:1], v0, v[7:8]
	v_sub_nc_u32_e32 v1, 29, v2
	v_and_b32_e32 v0, 7, v0
; %bb.1456:                             ;   in Loop: Header=BB314_16 Depth=1
	s_or_b32 exec_lo, exec_lo, s28
	v_lshlrev_b32_e32 v2, 8, v7
	v_lshl_add_u32 v1, v1, 10, 0x2000
	v_lshlrev_b32_e32 v0, 23, v0
	v_and_or_b32 v1, 0x8000, v2, v1
	v_lshl_or_b32 v93, v1, 16, v0
.LBB314_1457:                           ;   in Loop: Header=BB314_16 Depth=1
	s_or_b32 exec_lo, exec_lo, s27
.LBB314_1458:                           ;   in Loop: Header=BB314_16 Depth=1
	s_or_b32 exec_lo, exec_lo, s26
.LBB314_1459:                           ;   in Loop: Header=BB314_16 Depth=1
	s_or_b32 exec_lo, exec_lo, s25
	v_mov_b32_e32 v7, v36
	v_cmp_ne_u16_sdwa s5, v36, v8 src0_sel:BYTE_0 src1_sel:DWORD
	s_and_saveexec_b32 s25, s5
	s_cbranch_execz .LBB314_1467
; %bb.1460:                             ;   in Loop: Header=BB314_16 Depth=1
	v_cmp_ne_u16_sdwa s5, v36, v70 src0_sel:BYTE_0 src1_sel:DWORD
	v_mov_b32_e32 v5, 0x8000
	s_and_saveexec_b32 s26, s5
	s_cbranch_execz .LBB314_1466
; %bb.1461:                             ;   in Loop: Header=BB314_16 Depth=1
	v_and_b32_e32 v2, 0x7f, v36
	v_mov_b32_e32 v5, 0x7c01
	s_mov_b32 s27, exec_lo
	v_cmpx_ne_u32_e32 0x7f, v2
	s_cbranch_execz .LBB314_1465
; %bb.1462:                             ;   in Loop: Header=BB314_16 Depth=1
	v_and_b32_e32 v0, 7, v36
	v_lshrrev_b32_e32 v1, 3, v2
	s_mov_b32 s28, exec_lo
	v_cmpx_gt_u32_e32 8, v2
; %bb.1463:                             ;   in Loop: Header=BB314_16 Depth=1
	v_ffbh_u32_e32 v0, v0
	v_min_u32_e32 v2, 32, v0
	v_subrev_nc_u32_e32 v0, 28, v2
	v_lshlrev_b64 v[0:1], v0, v[7:8]
	v_sub_nc_u32_e32 v1, 29, v2
	v_and_b32_e32 v0, 7, v0
; %bb.1464:                             ;   in Loop: Header=BB314_16 Depth=1
	s_or_b32 exec_lo, exec_lo, s28
	v_lshlrev_b32_e32 v2, 8, v36
	v_lshl_add_u32 v1, v1, 10, 0x2000
	v_lshlrev_b32_e32 v0, 7, v0
	v_and_b32_e32 v2, 0x8000, v2
	v_and_b32_e32 v1, 0xfc00, v1
	v_or3_b32 v5, v2, v1, v0
.LBB314_1465:                           ;   in Loop: Header=BB314_16 Depth=1
	s_or_b32 exec_lo, exec_lo, s27
.LBB314_1466:                           ;   in Loop: Header=BB314_16 Depth=1
	s_or_b32 exec_lo, exec_lo, s26
.LBB314_1467:                           ;   in Loop: Header=BB314_16 Depth=1
	s_or_b32 exec_lo, exec_lo, s25
	v_lshrrev_b16 v7, 8, v7
	v_mov_b32_e32 v121, 0
	v_mov_b32_e32 v95, 0
	s_mov_b32 s25, exec_lo
	v_cmpx_ne_u16_e32 0, v7
	s_cbranch_execz .LBB314_1475
; %bb.1468:                             ;   in Loop: Header=BB314_16 Depth=1
	v_bfrev_b32_e32 v95, 1
	s_mov_b32 s26, exec_lo
	v_cmpx_ne_u16_e32 0x80, v7
	s_cbranch_execz .LBB314_1474
; %bb.1469:                             ;   in Loop: Header=BB314_16 Depth=1
	v_mov_b32_e32 v0, 0x7f
	v_mov_b32_e32 v95, 0x7c010000
	s_mov_b32 s27, exec_lo
	v_and_b32_sdwa v2, v7, v0 dst_sel:DWORD dst_unused:UNUSED_PAD src0_sel:WORD_0 src1_sel:DWORD
	v_cmpx_ne_u32_e32 0x7f, v2
	s_cbranch_execz .LBB314_1473
; %bb.1470:                             ;   in Loop: Header=BB314_16 Depth=1
	v_mov_b32_e32 v0, 7
	v_lshrrev_b32_e32 v1, 3, v2
	s_mov_b32 s28, exec_lo
	v_and_b32_sdwa v0, v7, v0 dst_sel:DWORD dst_unused:UNUSED_PAD src0_sel:WORD_0 src1_sel:DWORD
	v_cmpx_gt_u32_e32 8, v2
; %bb.1471:                             ;   in Loop: Header=BB314_16 Depth=1
	v_ffbh_u32_e32 v0, v0
	v_min_u32_e32 v2, 32, v0
	v_subrev_nc_u32_e32 v0, 28, v2
	v_lshlrev_b64 v[0:1], v0, v[7:8]
	v_sub_nc_u32_e32 v1, 29, v2
	v_and_b32_e32 v0, 7, v0
; %bb.1472:                             ;   in Loop: Header=BB314_16 Depth=1
	s_or_b32 exec_lo, exec_lo, s28
	v_mov_b32_e32 v2, 8
	v_lshl_add_u32 v1, v1, 10, 0x2000
	v_lshlrev_b32_e32 v0, 23, v0
	v_lshlrev_b32_sdwa v2, v2, v7 dst_sel:DWORD dst_unused:UNUSED_PAD src0_sel:DWORD src1_sel:WORD_0
	v_and_or_b32 v1, 0x8000, v2, v1
	v_lshl_or_b32 v95, v1, 16, v0
.LBB314_1473:                           ;   in Loop: Header=BB314_16 Depth=1
	s_or_b32 exec_lo, exec_lo, s27
.LBB314_1474:                           ;   in Loop: Header=BB314_16 Depth=1
	s_or_b32 exec_lo, exec_lo, s26
.LBB314_1475:                           ;   in Loop: Header=BB314_16 Depth=1
	s_or_b32 exec_lo, exec_lo, s25
	v_lshrrev_b32_e32 v7, 16, v36
	v_cmp_ne_u16_sdwa s5, v7, v8 src0_sel:BYTE_0 src1_sel:DWORD
	s_and_saveexec_b32 s25, s5
	s_cbranch_execz .LBB314_1483
; %bb.1476:                             ;   in Loop: Header=BB314_16 Depth=1
	v_cmp_ne_u16_sdwa s5, v7, v70 src0_sel:BYTE_0 src1_sel:DWORD
	v_mov_b32_e32 v121, 0x8000
	s_and_saveexec_b32 s26, s5
	s_cbranch_execz .LBB314_1482
; %bb.1477:                             ;   in Loop: Header=BB314_16 Depth=1
	v_bfe_u32 v2, v36, 16, 7
	v_mov_b32_e32 v121, 0x7c01
	s_mov_b32 s27, exec_lo
	v_cmpx_ne_u32_e32 0x7f, v2
	s_cbranch_execz .LBB314_1481
; %bb.1478:                             ;   in Loop: Header=BB314_16 Depth=1
	v_and_b32_e32 v0, 7, v7
	v_lshrrev_b32_e32 v1, 3, v2
	s_mov_b32 s28, exec_lo
	v_cmpx_gt_u32_e32 8, v2
; %bb.1479:                             ;   in Loop: Header=BB314_16 Depth=1
	v_ffbh_u32_e32 v0, v0
	v_min_u32_e32 v2, 32, v0
	v_subrev_nc_u32_e32 v0, 28, v2
	v_lshlrev_b64 v[0:1], v0, v[7:8]
	v_sub_nc_u32_e32 v1, 29, v2
	v_and_b32_e32 v0, 7, v0
; %bb.1480:                             ;   in Loop: Header=BB314_16 Depth=1
	s_or_b32 exec_lo, exec_lo, s28
	v_lshlrev_b32_e32 v2, 8, v7
	v_lshl_add_u32 v1, v1, 10, 0x2000
	v_lshlrev_b32_e32 v0, 7, v0
	v_and_b32_e32 v2, 0x8000, v2
	v_and_b32_e32 v1, 0xfc00, v1
	v_or3_b32 v121, v2, v1, v0
.LBB314_1481:                           ;   in Loop: Header=BB314_16 Depth=1
	s_or_b32 exec_lo, exec_lo, s27
.LBB314_1482:                           ;   in Loop: Header=BB314_16 Depth=1
	s_or_b32 exec_lo, exec_lo, s26
.LBB314_1483:                           ;   in Loop: Header=BB314_16 Depth=1
	s_or_b32 exec_lo, exec_lo, s25
	v_cmp_lt_u64_e64 s5, s[20:21], v[35:36]
	v_mov_b32_e32 v40, 0
	v_mov_b32_e32 v35, 0
	s_and_saveexec_b32 s25, s5
	s_cbranch_execz .LBB314_1491
; %bb.1484:                             ;   in Loop: Header=BB314_16 Depth=1
	v_lshrrev_b32_e32 v7, 24, v36
	v_bfrev_b32_e32 v35, 1
	s_mov_b32 s26, exec_lo
	v_cmpx_ne_u32_e32 0x80, v7
	s_cbranch_execz .LBB314_1490
; %bb.1485:                             ;   in Loop: Header=BB314_16 Depth=1
	v_and_b32_e32 v2, 0x7f, v7
	v_mov_b32_e32 v35, 0x7c010000
	s_mov_b32 s27, exec_lo
	v_cmpx_ne_u32_e32 0x7f, v2
	s_cbranch_execz .LBB314_1489
; %bb.1486:                             ;   in Loop: Header=BB314_16 Depth=1
	v_and_b32_e32 v0, 7, v7
	v_lshrrev_b32_e32 v1, 3, v2
	s_mov_b32 s28, exec_lo
	v_cmpx_gt_u32_e32 8, v2
; %bb.1487:                             ;   in Loop: Header=BB314_16 Depth=1
	v_ffbh_u32_e32 v0, v0
	v_min_u32_e32 v2, 32, v0
	v_subrev_nc_u32_e32 v0, 28, v2
	v_lshlrev_b64 v[0:1], v0, v[7:8]
	v_sub_nc_u32_e32 v1, 29, v2
	v_and_b32_e32 v0, 7, v0
; %bb.1488:                             ;   in Loop: Header=BB314_16 Depth=1
	s_or_b32 exec_lo, exec_lo, s28
	v_lshlrev_b32_e32 v2, 8, v7
	v_lshl_add_u32 v1, v1, 10, 0x2000
	v_lshlrev_b32_e32 v0, 23, v0
	v_and_or_b32 v1, 0x8000, v2, v1
	v_lshl_or_b32 v35, v1, 16, v0
.LBB314_1489:                           ;   in Loop: Header=BB314_16 Depth=1
	s_or_b32 exec_lo, exec_lo, s27
.LBB314_1490:                           ;   in Loop: Header=BB314_16 Depth=1
	s_or_b32 exec_lo, exec_lo, s26
.LBB314_1491:                           ;   in Loop: Header=BB314_16 Depth=1
	s_or_b32 exec_lo, exec_lo, s25
	flat_load_dwordx2 v[33:34], v[33:34] offset:1544
	s_waitcnt vmcnt(0) lgkmcnt(0)
	v_cmp_ne_u16_sdwa s5, v33, v8 src0_sel:BYTE_0 src1_sel:DWORD
	s_and_saveexec_b32 s25, s5
	s_cbranch_execz .LBB314_1499
; %bb.1492:                             ;   in Loop: Header=BB314_16 Depth=1
	v_cmp_ne_u16_sdwa s5, v33, v70 src0_sel:BYTE_0 src1_sel:DWORD
	v_mov_b32_e32 v40, 0x8000
	s_and_saveexec_b32 s26, s5
	s_cbranch_execz .LBB314_1498
; %bb.1493:                             ;   in Loop: Header=BB314_16 Depth=1
	v_and_b32_e32 v2, 0x7f, v33
	v_mov_b32_e32 v40, 0x7c01
	s_mov_b32 s27, exec_lo
	v_cmpx_ne_u32_e32 0x7f, v2
	s_cbranch_execz .LBB314_1497
; %bb.1494:                             ;   in Loop: Header=BB314_16 Depth=1
	v_and_b32_e32 v0, 7, v33
	v_lshrrev_b32_e32 v1, 3, v2
	s_mov_b32 s28, exec_lo
	v_cmpx_gt_u32_e32 8, v2
; %bb.1495:                             ;   in Loop: Header=BB314_16 Depth=1
	v_ffbh_u32_e32 v0, v0
	v_min_u32_e32 v2, 32, v0
	v_subrev_nc_u32_e32 v0, 28, v2
	v_lshlrev_b64 v[0:1], v0, v[33:34]
	v_sub_nc_u32_e32 v1, 29, v2
	v_and_b32_e32 v0, 7, v0
; %bb.1496:                             ;   in Loop: Header=BB314_16 Depth=1
	s_or_b32 exec_lo, exec_lo, s28
	v_lshlrev_b32_e32 v2, 8, v33
	v_lshl_add_u32 v1, v1, 10, 0x2000
	v_lshlrev_b32_e32 v0, 7, v0
	v_and_b32_e32 v2, 0x8000, v2
	v_and_b32_e32 v1, 0xfc00, v1
	v_or3_b32 v40, v2, v1, v0
.LBB314_1497:                           ;   in Loop: Header=BB314_16 Depth=1
	s_or_b32 exec_lo, exec_lo, s27
.LBB314_1498:                           ;   in Loop: Header=BB314_16 Depth=1
	s_or_b32 exec_lo, exec_lo, s26
.LBB314_1499:                           ;   in Loop: Header=BB314_16 Depth=1
	s_or_b32 exec_lo, exec_lo, s25
	v_lshrrev_b16 v7, 8, v33
	v_mov_b32_e32 v106, 0
	v_mov_b32_e32 v36, 0
	s_mov_b32 s25, exec_lo
	v_cmpx_ne_u16_e32 0, v7
	s_cbranch_execz .LBB314_1507
; %bb.1500:                             ;   in Loop: Header=BB314_16 Depth=1
	v_bfrev_b32_e32 v36, 1
	s_mov_b32 s26, exec_lo
	v_cmpx_ne_u16_e32 0x80, v7
	s_cbranch_execz .LBB314_1506
; %bb.1501:                             ;   in Loop: Header=BB314_16 Depth=1
	v_mov_b32_e32 v0, 0x7f
	v_mov_b32_e32 v36, 0x7c010000
	s_mov_b32 s27, exec_lo
	v_and_b32_sdwa v2, v7, v0 dst_sel:DWORD dst_unused:UNUSED_PAD src0_sel:WORD_0 src1_sel:DWORD
	v_cmpx_ne_u32_e32 0x7f, v2
	s_cbranch_execz .LBB314_1505
; %bb.1502:                             ;   in Loop: Header=BB314_16 Depth=1
	v_mov_b32_e32 v0, 7
	v_lshrrev_b32_e32 v1, 3, v2
	s_mov_b32 s28, exec_lo
	v_and_b32_sdwa v0, v7, v0 dst_sel:DWORD dst_unused:UNUSED_PAD src0_sel:WORD_0 src1_sel:DWORD
	v_cmpx_gt_u32_e32 8, v2
; %bb.1503:                             ;   in Loop: Header=BB314_16 Depth=1
	v_ffbh_u32_e32 v0, v0
	v_min_u32_e32 v2, 32, v0
	v_subrev_nc_u32_e32 v0, 28, v2
	v_lshlrev_b64 v[0:1], v0, v[7:8]
	v_sub_nc_u32_e32 v1, 29, v2
	v_and_b32_e32 v0, 7, v0
; %bb.1504:                             ;   in Loop: Header=BB314_16 Depth=1
	s_or_b32 exec_lo, exec_lo, s28
	v_mov_b32_e32 v2, 8
	v_lshl_add_u32 v1, v1, 10, 0x2000
	v_lshlrev_b32_e32 v0, 23, v0
	v_lshlrev_b32_sdwa v2, v2, v7 dst_sel:DWORD dst_unused:UNUSED_PAD src0_sel:DWORD src1_sel:WORD_0
	v_and_or_b32 v1, 0x8000, v2, v1
	v_lshl_or_b32 v36, v1, 16, v0
.LBB314_1505:                           ;   in Loop: Header=BB314_16 Depth=1
	s_or_b32 exec_lo, exec_lo, s27
.LBB314_1506:                           ;   in Loop: Header=BB314_16 Depth=1
	s_or_b32 exec_lo, exec_lo, s26
.LBB314_1507:                           ;   in Loop: Header=BB314_16 Depth=1
	s_or_b32 exec_lo, exec_lo, s25
	v_lshrrev_b32_e32 v7, 16, v33
	v_cmp_ne_u16_sdwa s5, v7, v8 src0_sel:BYTE_0 src1_sel:DWORD
	s_and_saveexec_b32 s25, s5
	s_cbranch_execz .LBB314_1515
; %bb.1508:                             ;   in Loop: Header=BB314_16 Depth=1
	v_cmp_ne_u16_sdwa s5, v7, v70 src0_sel:BYTE_0 src1_sel:DWORD
	v_mov_b32_e32 v106, 0x8000
	s_and_saveexec_b32 s26, s5
	s_cbranch_execz .LBB314_1514
; %bb.1509:                             ;   in Loop: Header=BB314_16 Depth=1
	v_bfe_u32 v2, v33, 16, 7
	v_mov_b32_e32 v106, 0x7c01
	s_mov_b32 s27, exec_lo
	v_cmpx_ne_u32_e32 0x7f, v2
	s_cbranch_execz .LBB314_1513
; %bb.1510:                             ;   in Loop: Header=BB314_16 Depth=1
	v_and_b32_e32 v0, 7, v7
	v_lshrrev_b32_e32 v1, 3, v2
	s_mov_b32 s28, exec_lo
	v_cmpx_gt_u32_e32 8, v2
; %bb.1511:                             ;   in Loop: Header=BB314_16 Depth=1
	v_ffbh_u32_e32 v0, v0
	v_min_u32_e32 v2, 32, v0
	v_subrev_nc_u32_e32 v0, 28, v2
	v_lshlrev_b64 v[0:1], v0, v[7:8]
	v_sub_nc_u32_e32 v1, 29, v2
	v_and_b32_e32 v0, 7, v0
; %bb.1512:                             ;   in Loop: Header=BB314_16 Depth=1
	s_or_b32 exec_lo, exec_lo, s28
	v_lshlrev_b32_e32 v2, 8, v7
	v_lshl_add_u32 v1, v1, 10, 0x2000
	v_lshlrev_b32_e32 v0, 7, v0
	v_and_b32_e32 v2, 0x8000, v2
	v_and_b32_e32 v1, 0xfc00, v1
	v_or3_b32 v106, v2, v1, v0
.LBB314_1513:                           ;   in Loop: Header=BB314_16 Depth=1
	s_or_b32 exec_lo, exec_lo, s27
.LBB314_1514:                           ;   in Loop: Header=BB314_16 Depth=1
	s_or_b32 exec_lo, exec_lo, s26
.LBB314_1515:                           ;   in Loop: Header=BB314_16 Depth=1
	s_or_b32 exec_lo, exec_lo, s25
	v_mov_b32_e32 v53, 0
	v_mov_b32_e32 v108, 0
	s_mov_b32 s25, exec_lo
	v_cmpx_lt_u32_e32 0xffffff, v33
	s_cbranch_execz .LBB314_1523
; %bb.1516:                             ;   in Loop: Header=BB314_16 Depth=1
	v_lshrrev_b32_e32 v7, 24, v33
	v_bfrev_b32_e32 v108, 1
	s_mov_b32 s26, exec_lo
	v_cmpx_ne_u32_e32 0x80, v7
	s_cbranch_execz .LBB314_1522
; %bb.1517:                             ;   in Loop: Header=BB314_16 Depth=1
	v_and_b32_e32 v2, 0x7f, v7
	v_mov_b32_e32 v108, 0x7c010000
	s_mov_b32 s27, exec_lo
	v_cmpx_ne_u32_e32 0x7f, v2
	s_cbranch_execz .LBB314_1521
; %bb.1518:                             ;   in Loop: Header=BB314_16 Depth=1
	v_and_b32_e32 v0, 7, v7
	v_lshrrev_b32_e32 v1, 3, v2
	s_mov_b32 s28, exec_lo
	v_cmpx_gt_u32_e32 8, v2
; %bb.1519:                             ;   in Loop: Header=BB314_16 Depth=1
	v_ffbh_u32_e32 v0, v0
	v_min_u32_e32 v2, 32, v0
	v_subrev_nc_u32_e32 v0, 28, v2
	v_lshlrev_b64 v[0:1], v0, v[7:8]
	v_sub_nc_u32_e32 v1, 29, v2
	v_and_b32_e32 v0, 7, v0
; %bb.1520:                             ;   in Loop: Header=BB314_16 Depth=1
	s_or_b32 exec_lo, exec_lo, s28
	v_lshlrev_b32_e32 v2, 8, v7
	v_lshl_add_u32 v1, v1, 10, 0x2000
	v_lshlrev_b32_e32 v0, 23, v0
	v_and_or_b32 v1, 0x8000, v2, v1
	v_lshl_or_b32 v108, v1, 16, v0
.LBB314_1521:                           ;   in Loop: Header=BB314_16 Depth=1
	s_or_b32 exec_lo, exec_lo, s27
.LBB314_1522:                           ;   in Loop: Header=BB314_16 Depth=1
	s_or_b32 exec_lo, exec_lo, s26
.LBB314_1523:                           ;   in Loop: Header=BB314_16 Depth=1
	s_or_b32 exec_lo, exec_lo, s25
	v_mov_b32_e32 v7, v34
	v_cmp_ne_u16_sdwa s5, v34, v8 src0_sel:BYTE_0 src1_sel:DWORD
	s_and_saveexec_b32 s25, s5
	s_cbranch_execz .LBB314_1531
; %bb.1524:                             ;   in Loop: Header=BB314_16 Depth=1
	v_cmp_ne_u16_sdwa s5, v34, v70 src0_sel:BYTE_0 src1_sel:DWORD
	v_mov_b32_e32 v53, 0x8000
	s_and_saveexec_b32 s26, s5
	s_cbranch_execz .LBB314_1530
; %bb.1525:                             ;   in Loop: Header=BB314_16 Depth=1
	v_and_b32_e32 v2, 0x7f, v34
	v_mov_b32_e32 v53, 0x7c01
	s_mov_b32 s27, exec_lo
	v_cmpx_ne_u32_e32 0x7f, v2
	s_cbranch_execz .LBB314_1529
; %bb.1526:                             ;   in Loop: Header=BB314_16 Depth=1
	v_and_b32_e32 v0, 7, v34
	v_lshrrev_b32_e32 v1, 3, v2
	s_mov_b32 s28, exec_lo
	v_cmpx_gt_u32_e32 8, v2
; %bb.1527:                             ;   in Loop: Header=BB314_16 Depth=1
	v_ffbh_u32_e32 v0, v0
	v_min_u32_e32 v2, 32, v0
	v_subrev_nc_u32_e32 v0, 28, v2
	v_lshlrev_b64 v[0:1], v0, v[7:8]
	v_sub_nc_u32_e32 v1, 29, v2
	v_and_b32_e32 v0, 7, v0
; %bb.1528:                             ;   in Loop: Header=BB314_16 Depth=1
	s_or_b32 exec_lo, exec_lo, s28
	v_lshlrev_b32_e32 v2, 8, v34
	v_lshl_add_u32 v1, v1, 10, 0x2000
	v_lshlrev_b32_e32 v0, 7, v0
	v_and_b32_e32 v2, 0x8000, v2
	v_and_b32_e32 v1, 0xfc00, v1
	v_or3_b32 v53, v2, v1, v0
.LBB314_1529:                           ;   in Loop: Header=BB314_16 Depth=1
	s_or_b32 exec_lo, exec_lo, s27
.LBB314_1530:                           ;   in Loop: Header=BB314_16 Depth=1
	s_or_b32 exec_lo, exec_lo, s26
.LBB314_1531:                           ;   in Loop: Header=BB314_16 Depth=1
	s_or_b32 exec_lo, exec_lo, s25
	v_lshrrev_b16 v7, 8, v7
	v_mov_b32_e32 v71, 0
	v_mov_b32_e32 v109, 0
	s_mov_b32 s25, exec_lo
	v_cmpx_ne_u16_e32 0, v7
	s_cbranch_execz .LBB314_1539
; %bb.1532:                             ;   in Loop: Header=BB314_16 Depth=1
	v_bfrev_b32_e32 v109, 1
	s_mov_b32 s26, exec_lo
	v_cmpx_ne_u16_e32 0x80, v7
	s_cbranch_execz .LBB314_1538
; %bb.1533:                             ;   in Loop: Header=BB314_16 Depth=1
	v_mov_b32_e32 v0, 0x7f
	v_mov_b32_e32 v109, 0x7c010000
	s_mov_b32 s27, exec_lo
	v_and_b32_sdwa v2, v7, v0 dst_sel:DWORD dst_unused:UNUSED_PAD src0_sel:WORD_0 src1_sel:DWORD
	v_cmpx_ne_u32_e32 0x7f, v2
	s_cbranch_execz .LBB314_1537
; %bb.1534:                             ;   in Loop: Header=BB314_16 Depth=1
	v_mov_b32_e32 v0, 7
	v_lshrrev_b32_e32 v1, 3, v2
	s_mov_b32 s28, exec_lo
	v_and_b32_sdwa v0, v7, v0 dst_sel:DWORD dst_unused:UNUSED_PAD src0_sel:WORD_0 src1_sel:DWORD
	v_cmpx_gt_u32_e32 8, v2
; %bb.1535:                             ;   in Loop: Header=BB314_16 Depth=1
	v_ffbh_u32_e32 v0, v0
	v_min_u32_e32 v2, 32, v0
	v_subrev_nc_u32_e32 v0, 28, v2
	v_lshlrev_b64 v[0:1], v0, v[7:8]
	v_sub_nc_u32_e32 v1, 29, v2
	v_and_b32_e32 v0, 7, v0
; %bb.1536:                             ;   in Loop: Header=BB314_16 Depth=1
	s_or_b32 exec_lo, exec_lo, s28
	v_mov_b32_e32 v2, 8
	v_lshl_add_u32 v1, v1, 10, 0x2000
	v_lshlrev_b32_e32 v0, 23, v0
	v_lshlrev_b32_sdwa v2, v2, v7 dst_sel:DWORD dst_unused:UNUSED_PAD src0_sel:DWORD src1_sel:WORD_0
	v_and_or_b32 v1, 0x8000, v2, v1
	v_lshl_or_b32 v109, v1, 16, v0
.LBB314_1537:                           ;   in Loop: Header=BB314_16 Depth=1
	s_or_b32 exec_lo, exec_lo, s27
.LBB314_1538:                           ;   in Loop: Header=BB314_16 Depth=1
	s_or_b32 exec_lo, exec_lo, s26
.LBB314_1539:                           ;   in Loop: Header=BB314_16 Depth=1
	s_or_b32 exec_lo, exec_lo, s25
	v_lshrrev_b32_e32 v7, 16, v34
	v_cmp_ne_u16_sdwa s5, v7, v8 src0_sel:BYTE_0 src1_sel:DWORD
	s_and_saveexec_b32 s25, s5
	s_cbranch_execz .LBB314_1547
; %bb.1540:                             ;   in Loop: Header=BB314_16 Depth=1
	v_cmp_ne_u16_sdwa s5, v7, v70 src0_sel:BYTE_0 src1_sel:DWORD
	v_mov_b32_e32 v71, 0x8000
	s_and_saveexec_b32 s26, s5
	s_cbranch_execz .LBB314_1546
; %bb.1541:                             ;   in Loop: Header=BB314_16 Depth=1
	v_bfe_u32 v2, v34, 16, 7
	v_mov_b32_e32 v71, 0x7c01
	s_mov_b32 s27, exec_lo
	v_cmpx_ne_u32_e32 0x7f, v2
	s_cbranch_execz .LBB314_1545
; %bb.1542:                             ;   in Loop: Header=BB314_16 Depth=1
	v_and_b32_e32 v0, 7, v7
	v_lshrrev_b32_e32 v1, 3, v2
	s_mov_b32 s28, exec_lo
	v_cmpx_gt_u32_e32 8, v2
; %bb.1543:                             ;   in Loop: Header=BB314_16 Depth=1
	v_ffbh_u32_e32 v0, v0
	v_min_u32_e32 v2, 32, v0
	v_subrev_nc_u32_e32 v0, 28, v2
	v_lshlrev_b64 v[0:1], v0, v[7:8]
	v_sub_nc_u32_e32 v1, 29, v2
	v_and_b32_e32 v0, 7, v0
; %bb.1544:                             ;   in Loop: Header=BB314_16 Depth=1
	s_or_b32 exec_lo, exec_lo, s28
	v_lshlrev_b32_e32 v2, 8, v7
	v_lshl_add_u32 v1, v1, 10, 0x2000
	v_lshlrev_b32_e32 v0, 7, v0
	v_and_b32_e32 v2, 0x8000, v2
	v_and_b32_e32 v1, 0xfc00, v1
	v_or3_b32 v71, v2, v1, v0
.LBB314_1545:                           ;   in Loop: Header=BB314_16 Depth=1
	s_or_b32 exec_lo, exec_lo, s27
.LBB314_1546:                           ;   in Loop: Header=BB314_16 Depth=1
	s_or_b32 exec_lo, exec_lo, s26
.LBB314_1547:                           ;   in Loop: Header=BB314_16 Depth=1
	s_or_b32 exec_lo, exec_lo, s25
	v_mov_b32_e32 v111, 0
	v_mov_b32_e32 v81, 0
	s_mov_b32 s25, exec_lo
	v_cmpx_lt_u64_e64 s[20:21], v[33:34]
	s_cbranch_execz .LBB314_1555
; %bb.1548:                             ;   in Loop: Header=BB314_16 Depth=1
	v_lshrrev_b32_e32 v7, 24, v34
	v_bfrev_b32_e32 v81, 1
	s_mov_b32 s26, exec_lo
	v_cmpx_ne_u32_e32 0x80, v7
	s_cbranch_execz .LBB314_1554
; %bb.1549:                             ;   in Loop: Header=BB314_16 Depth=1
	v_and_b32_e32 v2, 0x7f, v7
	v_mov_b32_e32 v81, 0x7c010000
	s_mov_b32 s27, exec_lo
	v_cmpx_ne_u32_e32 0x7f, v2
	s_cbranch_execz .LBB314_1553
; %bb.1550:                             ;   in Loop: Header=BB314_16 Depth=1
	v_and_b32_e32 v0, 7, v7
	v_lshrrev_b32_e32 v1, 3, v2
	s_mov_b32 s28, exec_lo
	v_cmpx_gt_u32_e32 8, v2
; %bb.1551:                             ;   in Loop: Header=BB314_16 Depth=1
	v_ffbh_u32_e32 v0, v0
	v_min_u32_e32 v2, 32, v0
	v_subrev_nc_u32_e32 v0, 28, v2
	v_lshlrev_b64 v[0:1], v0, v[7:8]
	v_sub_nc_u32_e32 v1, 29, v2
	v_and_b32_e32 v0, 7, v0
; %bb.1552:                             ;   in Loop: Header=BB314_16 Depth=1
	s_or_b32 exec_lo, exec_lo, s28
	v_lshlrev_b32_e32 v2, 8, v7
	v_lshl_add_u32 v1, v1, 10, 0x2000
	v_lshlrev_b32_e32 v0, 23, v0
	v_and_or_b32 v1, 0x8000, v2, v1
	v_lshl_or_b32 v81, v1, 16, v0
.LBB314_1553:                           ;   in Loop: Header=BB314_16 Depth=1
	s_or_b32 exec_lo, exec_lo, s27
.LBB314_1554:                           ;   in Loop: Header=BB314_16 Depth=1
	s_or_b32 exec_lo, exec_lo, s26
.LBB314_1555:                           ;   in Loop: Header=BB314_16 Depth=1
	s_or_b32 exec_lo, exec_lo, s25
	v_add_co_u32 v31, s5, 0x1800, v31
	v_add_co_ci_u32_e64 v32, null, 0, v32, s5
	flat_load_dwordx2 v[33:34], v[31:32]
	s_waitcnt vmcnt(0) lgkmcnt(0)
	v_cmp_ne_u16_sdwa s5, v33, v8 src0_sel:BYTE_0 src1_sel:DWORD
	s_and_saveexec_b32 s25, s5
	s_cbranch_execz .LBB314_1563
; %bb.1556:                             ;   in Loop: Header=BB314_16 Depth=1
	v_cmp_ne_u16_sdwa s5, v33, v70 src0_sel:BYTE_0 src1_sel:DWORD
	v_mov_b32_e32 v111, 0x8000
	s_and_saveexec_b32 s26, s5
	s_cbranch_execz .LBB314_1562
; %bb.1557:                             ;   in Loop: Header=BB314_16 Depth=1
	v_and_b32_e32 v2, 0x7f, v33
	v_mov_b32_e32 v111, 0x7c01
	s_mov_b32 s27, exec_lo
	v_cmpx_ne_u32_e32 0x7f, v2
	s_cbranch_execz .LBB314_1561
; %bb.1558:                             ;   in Loop: Header=BB314_16 Depth=1
	v_and_b32_e32 v0, 7, v33
	v_lshrrev_b32_e32 v1, 3, v2
	s_mov_b32 s28, exec_lo
	v_cmpx_gt_u32_e32 8, v2
; %bb.1559:                             ;   in Loop: Header=BB314_16 Depth=1
	v_ffbh_u32_e32 v0, v0
	v_min_u32_e32 v2, 32, v0
	v_subrev_nc_u32_e32 v0, 28, v2
	v_lshlrev_b64 v[0:1], v0, v[33:34]
	v_sub_nc_u32_e32 v1, 29, v2
	v_and_b32_e32 v0, 7, v0
; %bb.1560:                             ;   in Loop: Header=BB314_16 Depth=1
	s_or_b32 exec_lo, exec_lo, s28
	v_lshlrev_b32_e32 v2, 8, v33
	v_lshl_add_u32 v1, v1, 10, 0x2000
	v_lshlrev_b32_e32 v0, 7, v0
	v_and_b32_e32 v2, 0x8000, v2
	v_and_b32_e32 v1, 0xfc00, v1
	v_or3_b32 v111, v2, v1, v0
.LBB314_1561:                           ;   in Loop: Header=BB314_16 Depth=1
	s_or_b32 exec_lo, exec_lo, s27
.LBB314_1562:                           ;   in Loop: Header=BB314_16 Depth=1
	s_or_b32 exec_lo, exec_lo, s26
.LBB314_1563:                           ;   in Loop: Header=BB314_16 Depth=1
	s_or_b32 exec_lo, exec_lo, s25
	v_lshrrev_b16 v7, 8, v33
	v_mov_b32_e32 v122, 0
	v_mov_b32_e32 v115, 0
	s_mov_b32 s25, exec_lo
	v_cmpx_ne_u16_e32 0, v7
	s_cbranch_execz .LBB314_1571
; %bb.1564:                             ;   in Loop: Header=BB314_16 Depth=1
	v_bfrev_b32_e32 v115, 1
	s_mov_b32 s26, exec_lo
	v_cmpx_ne_u16_e32 0x80, v7
	s_cbranch_execz .LBB314_1570
; %bb.1565:                             ;   in Loop: Header=BB314_16 Depth=1
	v_mov_b32_e32 v0, 0x7f
	v_mov_b32_e32 v115, 0x7c010000
	s_mov_b32 s27, exec_lo
	v_and_b32_sdwa v2, v7, v0 dst_sel:DWORD dst_unused:UNUSED_PAD src0_sel:WORD_0 src1_sel:DWORD
	v_cmpx_ne_u32_e32 0x7f, v2
	s_cbranch_execz .LBB314_1569
; %bb.1566:                             ;   in Loop: Header=BB314_16 Depth=1
	v_mov_b32_e32 v0, 7
	v_lshrrev_b32_e32 v1, 3, v2
	s_mov_b32 s28, exec_lo
	v_and_b32_sdwa v0, v7, v0 dst_sel:DWORD dst_unused:UNUSED_PAD src0_sel:WORD_0 src1_sel:DWORD
	v_cmpx_gt_u32_e32 8, v2
; %bb.1567:                             ;   in Loop: Header=BB314_16 Depth=1
	v_ffbh_u32_e32 v0, v0
	v_min_u32_e32 v2, 32, v0
	v_subrev_nc_u32_e32 v0, 28, v2
	v_lshlrev_b64 v[0:1], v0, v[7:8]
	v_sub_nc_u32_e32 v1, 29, v2
	v_and_b32_e32 v0, 7, v0
; %bb.1568:                             ;   in Loop: Header=BB314_16 Depth=1
	s_or_b32 exec_lo, exec_lo, s28
	v_mov_b32_e32 v2, 8
	v_lshl_add_u32 v1, v1, 10, 0x2000
	v_lshlrev_b32_e32 v0, 23, v0
	v_lshlrev_b32_sdwa v2, v2, v7 dst_sel:DWORD dst_unused:UNUSED_PAD src0_sel:DWORD src1_sel:WORD_0
	v_and_or_b32 v1, 0x8000, v2, v1
	v_lshl_or_b32 v115, v1, 16, v0
.LBB314_1569:                           ;   in Loop: Header=BB314_16 Depth=1
	s_or_b32 exec_lo, exec_lo, s27
.LBB314_1570:                           ;   in Loop: Header=BB314_16 Depth=1
	s_or_b32 exec_lo, exec_lo, s26
.LBB314_1571:                           ;   in Loop: Header=BB314_16 Depth=1
	s_or_b32 exec_lo, exec_lo, s25
	v_lshrrev_b32_e32 v7, 16, v33
	v_cmp_ne_u16_sdwa s5, v7, v8 src0_sel:BYTE_0 src1_sel:DWORD
	s_and_saveexec_b32 s25, s5
	s_cbranch_execz .LBB314_1579
; %bb.1572:                             ;   in Loop: Header=BB314_16 Depth=1
	v_cmp_ne_u16_sdwa s5, v7, v70 src0_sel:BYTE_0 src1_sel:DWORD
	v_mov_b32_e32 v122, 0x8000
	s_and_saveexec_b32 s26, s5
	s_cbranch_execz .LBB314_1578
; %bb.1573:                             ;   in Loop: Header=BB314_16 Depth=1
	v_bfe_u32 v2, v33, 16, 7
	v_mov_b32_e32 v122, 0x7c01
	s_mov_b32 s27, exec_lo
	v_cmpx_ne_u32_e32 0x7f, v2
	s_cbranch_execz .LBB314_1577
; %bb.1574:                             ;   in Loop: Header=BB314_16 Depth=1
	v_and_b32_e32 v0, 7, v7
	v_lshrrev_b32_e32 v1, 3, v2
	s_mov_b32 s28, exec_lo
	v_cmpx_gt_u32_e32 8, v2
; %bb.1575:                             ;   in Loop: Header=BB314_16 Depth=1
	v_ffbh_u32_e32 v0, v0
	v_min_u32_e32 v2, 32, v0
	v_subrev_nc_u32_e32 v0, 28, v2
	v_lshlrev_b64 v[0:1], v0, v[7:8]
	v_sub_nc_u32_e32 v1, 29, v2
	v_and_b32_e32 v0, 7, v0
; %bb.1576:                             ;   in Loop: Header=BB314_16 Depth=1
	s_or_b32 exec_lo, exec_lo, s28
	v_lshlrev_b32_e32 v2, 8, v7
	v_lshl_add_u32 v1, v1, 10, 0x2000
	v_lshlrev_b32_e32 v0, 7, v0
	v_and_b32_e32 v2, 0x8000, v2
	v_and_b32_e32 v1, 0xfc00, v1
	v_or3_b32 v122, v2, v1, v0
.LBB314_1577:                           ;   in Loop: Header=BB314_16 Depth=1
	s_or_b32 exec_lo, exec_lo, s27
.LBB314_1578:                           ;   in Loop: Header=BB314_16 Depth=1
	s_or_b32 exec_lo, exec_lo, s26
.LBB314_1579:                           ;   in Loop: Header=BB314_16 Depth=1
	s_or_b32 exec_lo, exec_lo, s25
	v_mov_b32_e32 v16, 0
	v_mov_b32_e32 v124, 0
	s_mov_b32 s25, exec_lo
	v_cmpx_lt_u32_e32 0xffffff, v33
	s_cbranch_execz .LBB314_1587
; %bb.1580:                             ;   in Loop: Header=BB314_16 Depth=1
	v_lshrrev_b32_e32 v7, 24, v33
	v_bfrev_b32_e32 v124, 1
	s_mov_b32 s26, exec_lo
	v_cmpx_ne_u32_e32 0x80, v7
	s_cbranch_execz .LBB314_1586
; %bb.1581:                             ;   in Loop: Header=BB314_16 Depth=1
	v_and_b32_e32 v2, 0x7f, v7
	v_mov_b32_e32 v124, 0x7c010000
	s_mov_b32 s27, exec_lo
	v_cmpx_ne_u32_e32 0x7f, v2
	s_cbranch_execz .LBB314_1585
; %bb.1582:                             ;   in Loop: Header=BB314_16 Depth=1
	v_and_b32_e32 v0, 7, v7
	v_lshrrev_b32_e32 v1, 3, v2
	s_mov_b32 s28, exec_lo
	v_cmpx_gt_u32_e32 8, v2
; %bb.1583:                             ;   in Loop: Header=BB314_16 Depth=1
	v_ffbh_u32_e32 v0, v0
	v_min_u32_e32 v2, 32, v0
	v_subrev_nc_u32_e32 v0, 28, v2
	v_lshlrev_b64 v[0:1], v0, v[7:8]
	v_sub_nc_u32_e32 v1, 29, v2
	v_and_b32_e32 v0, 7, v0
; %bb.1584:                             ;   in Loop: Header=BB314_16 Depth=1
	s_or_b32 exec_lo, exec_lo, s28
	v_lshlrev_b32_e32 v2, 8, v7
	v_lshl_add_u32 v1, v1, 10, 0x2000
	v_lshlrev_b32_e32 v0, 23, v0
	v_and_or_b32 v1, 0x8000, v2, v1
	v_lshl_or_b32 v124, v1, 16, v0
.LBB314_1585:                           ;   in Loop: Header=BB314_16 Depth=1
	s_or_b32 exec_lo, exec_lo, s27
.LBB314_1586:                           ;   in Loop: Header=BB314_16 Depth=1
	s_or_b32 exec_lo, exec_lo, s26
.LBB314_1587:                           ;   in Loop: Header=BB314_16 Depth=1
	s_or_b32 exec_lo, exec_lo, s25
	v_mov_b32_e32 v7, v34
	v_cmp_ne_u16_sdwa s5, v34, v8 src0_sel:BYTE_0 src1_sel:DWORD
	s_and_saveexec_b32 s25, s5
	s_cbranch_execz .LBB314_1595
; %bb.1588:                             ;   in Loop: Header=BB314_16 Depth=1
	v_cmp_ne_u16_sdwa s5, v34, v70 src0_sel:BYTE_0 src1_sel:DWORD
	v_mov_b32_e32 v16, 0x8000
	s_and_saveexec_b32 s26, s5
	s_cbranch_execz .LBB314_1594
; %bb.1589:                             ;   in Loop: Header=BB314_16 Depth=1
	v_and_b32_e32 v2, 0x7f, v34
	v_mov_b32_e32 v16, 0x7c01
	s_mov_b32 s27, exec_lo
	v_cmpx_ne_u32_e32 0x7f, v2
	s_cbranch_execz .LBB314_1593
; %bb.1590:                             ;   in Loop: Header=BB314_16 Depth=1
	v_and_b32_e32 v0, 7, v34
	v_lshrrev_b32_e32 v1, 3, v2
	s_mov_b32 s28, exec_lo
	v_cmpx_gt_u32_e32 8, v2
; %bb.1591:                             ;   in Loop: Header=BB314_16 Depth=1
	v_ffbh_u32_e32 v0, v0
	v_min_u32_e32 v2, 32, v0
	v_subrev_nc_u32_e32 v0, 28, v2
	v_lshlrev_b64 v[0:1], v0, v[7:8]
	v_sub_nc_u32_e32 v1, 29, v2
	v_and_b32_e32 v0, 7, v0
; %bb.1592:                             ;   in Loop: Header=BB314_16 Depth=1
	s_or_b32 exec_lo, exec_lo, s28
	v_lshlrev_b32_e32 v2, 8, v34
	v_lshl_add_u32 v1, v1, 10, 0x2000
	v_lshlrev_b32_e32 v0, 7, v0
	v_and_b32_e32 v2, 0x8000, v2
	v_and_b32_e32 v1, 0xfc00, v1
	v_or3_b32 v16, v2, v1, v0
.LBB314_1593:                           ;   in Loop: Header=BB314_16 Depth=1
	s_or_b32 exec_lo, exec_lo, s27
.LBB314_1594:                           ;   in Loop: Header=BB314_16 Depth=1
	s_or_b32 exec_lo, exec_lo, s26
.LBB314_1595:                           ;   in Loop: Header=BB314_16 Depth=1
	s_or_b32 exec_lo, exec_lo, s25
	v_lshrrev_b16 v7, 8, v7
	v_mov_b32_e32 v49, 0
	v_mov_b32_e32 v97, 0
	s_mov_b32 s25, exec_lo
	v_cmpx_ne_u16_e32 0, v7
	s_cbranch_execz .LBB314_1603
; %bb.1596:                             ;   in Loop: Header=BB314_16 Depth=1
	v_bfrev_b32_e32 v97, 1
	s_mov_b32 s26, exec_lo
	v_cmpx_ne_u16_e32 0x80, v7
	s_cbranch_execz .LBB314_1602
; %bb.1597:                             ;   in Loop: Header=BB314_16 Depth=1
	v_mov_b32_e32 v0, 0x7f
	v_mov_b32_e32 v97, 0x7c010000
	s_mov_b32 s27, exec_lo
	v_and_b32_sdwa v2, v7, v0 dst_sel:DWORD dst_unused:UNUSED_PAD src0_sel:WORD_0 src1_sel:DWORD
	v_cmpx_ne_u32_e32 0x7f, v2
	s_cbranch_execz .LBB314_1601
; %bb.1598:                             ;   in Loop: Header=BB314_16 Depth=1
	v_mov_b32_e32 v0, 7
	v_lshrrev_b32_e32 v1, 3, v2
	s_mov_b32 s28, exec_lo
	v_and_b32_sdwa v0, v7, v0 dst_sel:DWORD dst_unused:UNUSED_PAD src0_sel:WORD_0 src1_sel:DWORD
	v_cmpx_gt_u32_e32 8, v2
; %bb.1599:                             ;   in Loop: Header=BB314_16 Depth=1
	v_ffbh_u32_e32 v0, v0
	v_min_u32_e32 v2, 32, v0
	v_subrev_nc_u32_e32 v0, 28, v2
	v_lshlrev_b64 v[0:1], v0, v[7:8]
	v_sub_nc_u32_e32 v1, 29, v2
	v_and_b32_e32 v0, 7, v0
; %bb.1600:                             ;   in Loop: Header=BB314_16 Depth=1
	s_or_b32 exec_lo, exec_lo, s28
	v_mov_b32_e32 v2, 8
	v_lshl_add_u32 v1, v1, 10, 0x2000
	v_lshlrev_b32_e32 v0, 23, v0
	v_lshlrev_b32_sdwa v2, v2, v7 dst_sel:DWORD dst_unused:UNUSED_PAD src0_sel:DWORD src1_sel:WORD_0
	v_and_or_b32 v1, 0x8000, v2, v1
	v_lshl_or_b32 v97, v1, 16, v0
.LBB314_1601:                           ;   in Loop: Header=BB314_16 Depth=1
	s_or_b32 exec_lo, exec_lo, s27
.LBB314_1602:                           ;   in Loop: Header=BB314_16 Depth=1
	s_or_b32 exec_lo, exec_lo, s26
.LBB314_1603:                           ;   in Loop: Header=BB314_16 Depth=1
	s_or_b32 exec_lo, exec_lo, s25
	v_lshrrev_b32_e32 v7, 16, v34
	v_cmp_ne_u16_sdwa s5, v7, v8 src0_sel:BYTE_0 src1_sel:DWORD
	s_and_saveexec_b32 s25, s5
	s_cbranch_execz .LBB314_1611
; %bb.1604:                             ;   in Loop: Header=BB314_16 Depth=1
	v_cmp_ne_u16_sdwa s5, v7, v70 src0_sel:BYTE_0 src1_sel:DWORD
	v_mov_b32_e32 v49, 0x8000
	s_and_saveexec_b32 s26, s5
	s_cbranch_execz .LBB314_1610
; %bb.1605:                             ;   in Loop: Header=BB314_16 Depth=1
	v_bfe_u32 v2, v34, 16, 7
	v_mov_b32_e32 v49, 0x7c01
	s_mov_b32 s27, exec_lo
	v_cmpx_ne_u32_e32 0x7f, v2
	s_cbranch_execz .LBB314_1609
; %bb.1606:                             ;   in Loop: Header=BB314_16 Depth=1
	v_and_b32_e32 v0, 7, v7
	v_lshrrev_b32_e32 v1, 3, v2
	s_mov_b32 s28, exec_lo
	v_cmpx_gt_u32_e32 8, v2
; %bb.1607:                             ;   in Loop: Header=BB314_16 Depth=1
	v_ffbh_u32_e32 v0, v0
	v_min_u32_e32 v2, 32, v0
	v_subrev_nc_u32_e32 v0, 28, v2
	v_lshlrev_b64 v[0:1], v0, v[7:8]
	v_sub_nc_u32_e32 v1, 29, v2
	v_and_b32_e32 v0, 7, v0
; %bb.1608:                             ;   in Loop: Header=BB314_16 Depth=1
	s_or_b32 exec_lo, exec_lo, s28
	v_lshlrev_b32_e32 v2, 8, v7
	v_lshl_add_u32 v1, v1, 10, 0x2000
	v_lshlrev_b32_e32 v0, 7, v0
	v_and_b32_e32 v2, 0x8000, v2
	v_and_b32_e32 v1, 0xfc00, v1
	v_or3_b32 v49, v2, v1, v0
.LBB314_1609:                           ;   in Loop: Header=BB314_16 Depth=1
	s_or_b32 exec_lo, exec_lo, s27
.LBB314_1610:                           ;   in Loop: Header=BB314_16 Depth=1
	s_or_b32 exec_lo, exec_lo, s26
.LBB314_1611:                           ;   in Loop: Header=BB314_16 Depth=1
	s_or_b32 exec_lo, exec_lo, s25
	v_mov_b32_e32 v127, 0
	v_mov_b32_e32 v125, 0
	s_mov_b32 s25, exec_lo
	v_cmpx_lt_u64_e64 s[20:21], v[33:34]
	s_cbranch_execz .LBB314_1619
; %bb.1612:                             ;   in Loop: Header=BB314_16 Depth=1
	v_lshrrev_b32_e32 v7, 24, v34
	v_bfrev_b32_e32 v125, 1
	s_mov_b32 s26, exec_lo
	v_cmpx_ne_u32_e32 0x80, v7
	s_cbranch_execz .LBB314_1618
; %bb.1613:                             ;   in Loop: Header=BB314_16 Depth=1
	v_and_b32_e32 v2, 0x7f, v7
	v_mov_b32_e32 v125, 0x7c010000
	s_mov_b32 s27, exec_lo
	v_cmpx_ne_u32_e32 0x7f, v2
	s_cbranch_execz .LBB314_1617
; %bb.1614:                             ;   in Loop: Header=BB314_16 Depth=1
	v_and_b32_e32 v0, 7, v7
	v_lshrrev_b32_e32 v1, 3, v2
	s_mov_b32 s28, exec_lo
	v_cmpx_gt_u32_e32 8, v2
; %bb.1615:                             ;   in Loop: Header=BB314_16 Depth=1
	v_ffbh_u32_e32 v0, v0
	v_min_u32_e32 v2, 32, v0
	v_subrev_nc_u32_e32 v0, 28, v2
	v_lshlrev_b64 v[0:1], v0, v[7:8]
	v_sub_nc_u32_e32 v1, 29, v2
	v_and_b32_e32 v0, 7, v0
; %bb.1616:                             ;   in Loop: Header=BB314_16 Depth=1
	s_or_b32 exec_lo, exec_lo, s28
	v_lshlrev_b32_e32 v2, 8, v7
	v_lshl_add_u32 v1, v1, 10, 0x2000
	v_lshlrev_b32_e32 v0, 23, v0
	v_and_or_b32 v1, 0x8000, v2, v1
	v_lshl_or_b32 v125, v1, 16, v0
.LBB314_1617:                           ;   in Loop: Header=BB314_16 Depth=1
	s_or_b32 exec_lo, exec_lo, s27
.LBB314_1618:                           ;   in Loop: Header=BB314_16 Depth=1
	s_or_b32 exec_lo, exec_lo, s26
.LBB314_1619:                           ;   in Loop: Header=BB314_16 Depth=1
	s_or_b32 exec_lo, exec_lo, s25
	flat_load_dwordx2 v[33:34], v[31:32] offset:8
	s_waitcnt vmcnt(0) lgkmcnt(0)
	v_cmp_ne_u16_sdwa s5, v33, v8 src0_sel:BYTE_0 src1_sel:DWORD
	s_and_saveexec_b32 s25, s5
	s_cbranch_execz .LBB314_1627
; %bb.1620:                             ;   in Loop: Header=BB314_16 Depth=1
	v_cmp_ne_u16_sdwa s5, v33, v70 src0_sel:BYTE_0 src1_sel:DWORD
	v_mov_b32_e32 v127, 0x8000
	s_and_saveexec_b32 s26, s5
	s_cbranch_execz .LBB314_1626
; %bb.1621:                             ;   in Loop: Header=BB314_16 Depth=1
	v_and_b32_e32 v2, 0x7f, v33
	v_mov_b32_e32 v127, 0x7c01
	s_mov_b32 s27, exec_lo
	v_cmpx_ne_u32_e32 0x7f, v2
	s_cbranch_execz .LBB314_1625
; %bb.1622:                             ;   in Loop: Header=BB314_16 Depth=1
	v_and_b32_e32 v0, 7, v33
	v_lshrrev_b32_e32 v1, 3, v2
	s_mov_b32 s28, exec_lo
	v_cmpx_gt_u32_e32 8, v2
; %bb.1623:                             ;   in Loop: Header=BB314_16 Depth=1
	v_ffbh_u32_e32 v0, v0
	v_min_u32_e32 v2, 32, v0
	v_subrev_nc_u32_e32 v0, 28, v2
	v_lshlrev_b64 v[0:1], v0, v[33:34]
	v_sub_nc_u32_e32 v1, 29, v2
	v_and_b32_e32 v0, 7, v0
; %bb.1624:                             ;   in Loop: Header=BB314_16 Depth=1
	s_or_b32 exec_lo, exec_lo, s28
	v_lshlrev_b32_e32 v2, 8, v33
	v_lshl_add_u32 v1, v1, 10, 0x2000
	v_lshlrev_b32_e32 v0, 7, v0
	v_and_b32_e32 v2, 0x8000, v2
	v_and_b32_e32 v1, 0xfc00, v1
	v_or3_b32 v127, v2, v1, v0
.LBB314_1625:                           ;   in Loop: Header=BB314_16 Depth=1
	s_or_b32 exec_lo, exec_lo, s27
.LBB314_1626:                           ;   in Loop: Header=BB314_16 Depth=1
	s_or_b32 exec_lo, exec_lo, s26
.LBB314_1627:                           ;   in Loop: Header=BB314_16 Depth=1
	s_or_b32 exec_lo, exec_lo, s25
	v_lshrrev_b16 v7, 8, v33
	v_mov_b32_e32 v88, 0
	v_mov_b32_e32 v99, 0
	s_mov_b32 s25, exec_lo
	v_cmpx_ne_u16_e32 0, v7
	s_cbranch_execz .LBB314_1635
; %bb.1628:                             ;   in Loop: Header=BB314_16 Depth=1
	v_bfrev_b32_e32 v99, 1
	s_mov_b32 s26, exec_lo
	v_cmpx_ne_u16_e32 0x80, v7
	s_cbranch_execz .LBB314_1634
; %bb.1629:                             ;   in Loop: Header=BB314_16 Depth=1
	v_mov_b32_e32 v0, 0x7f
	v_mov_b32_e32 v99, 0x7c010000
	s_mov_b32 s27, exec_lo
	v_and_b32_sdwa v2, v7, v0 dst_sel:DWORD dst_unused:UNUSED_PAD src0_sel:WORD_0 src1_sel:DWORD
	v_cmpx_ne_u32_e32 0x7f, v2
	s_cbranch_execz .LBB314_1633
; %bb.1630:                             ;   in Loop: Header=BB314_16 Depth=1
	v_mov_b32_e32 v0, 7
	v_lshrrev_b32_e32 v1, 3, v2
	s_mov_b32 s28, exec_lo
	v_and_b32_sdwa v0, v7, v0 dst_sel:DWORD dst_unused:UNUSED_PAD src0_sel:WORD_0 src1_sel:DWORD
	v_cmpx_gt_u32_e32 8, v2
; %bb.1631:                             ;   in Loop: Header=BB314_16 Depth=1
	v_ffbh_u32_e32 v0, v0
	v_min_u32_e32 v2, 32, v0
	v_subrev_nc_u32_e32 v0, 28, v2
	v_lshlrev_b64 v[0:1], v0, v[7:8]
	v_sub_nc_u32_e32 v1, 29, v2
	v_and_b32_e32 v0, 7, v0
; %bb.1632:                             ;   in Loop: Header=BB314_16 Depth=1
	s_or_b32 exec_lo, exec_lo, s28
	v_mov_b32_e32 v2, 8
	v_lshl_add_u32 v1, v1, 10, 0x2000
	v_lshlrev_b32_e32 v0, 23, v0
	v_lshlrev_b32_sdwa v2, v2, v7 dst_sel:DWORD dst_unused:UNUSED_PAD src0_sel:DWORD src1_sel:WORD_0
	v_and_or_b32 v1, 0x8000, v2, v1
	v_lshl_or_b32 v99, v1, 16, v0
.LBB314_1633:                           ;   in Loop: Header=BB314_16 Depth=1
	s_or_b32 exec_lo, exec_lo, s27
.LBB314_1634:                           ;   in Loop: Header=BB314_16 Depth=1
	s_or_b32 exec_lo, exec_lo, s26
.LBB314_1635:                           ;   in Loop: Header=BB314_16 Depth=1
	s_or_b32 exec_lo, exec_lo, s25
	v_lshrrev_b32_e32 v7, 16, v33
	v_cmp_ne_u16_sdwa s5, v7, v8 src0_sel:BYTE_0 src1_sel:DWORD
	s_and_saveexec_b32 s25, s5
	s_cbranch_execz .LBB314_1643
; %bb.1636:                             ;   in Loop: Header=BB314_16 Depth=1
	v_cmp_ne_u16_sdwa s5, v7, v70 src0_sel:BYTE_0 src1_sel:DWORD
	v_mov_b32_e32 v88, 0x8000
	s_and_saveexec_b32 s26, s5
	s_cbranch_execz .LBB314_1642
; %bb.1637:                             ;   in Loop: Header=BB314_16 Depth=1
	v_bfe_u32 v2, v33, 16, 7
	v_mov_b32_e32 v88, 0x7c01
	s_mov_b32 s27, exec_lo
	v_cmpx_ne_u32_e32 0x7f, v2
	s_cbranch_execz .LBB314_1641
; %bb.1638:                             ;   in Loop: Header=BB314_16 Depth=1
	v_and_b32_e32 v0, 7, v7
	v_lshrrev_b32_e32 v1, 3, v2
	s_mov_b32 s28, exec_lo
	v_cmpx_gt_u32_e32 8, v2
; %bb.1639:                             ;   in Loop: Header=BB314_16 Depth=1
	v_ffbh_u32_e32 v0, v0
	v_min_u32_e32 v2, 32, v0
	v_subrev_nc_u32_e32 v0, 28, v2
	v_lshlrev_b64 v[0:1], v0, v[7:8]
	v_sub_nc_u32_e32 v1, 29, v2
	v_and_b32_e32 v0, 7, v0
; %bb.1640:                             ;   in Loop: Header=BB314_16 Depth=1
	s_or_b32 exec_lo, exec_lo, s28
	v_lshlrev_b32_e32 v2, 8, v7
	v_lshl_add_u32 v1, v1, 10, 0x2000
	v_lshlrev_b32_e32 v0, 7, v0
	v_and_b32_e32 v2, 0x8000, v2
	v_and_b32_e32 v1, 0xfc00, v1
	v_or3_b32 v88, v2, v1, v0
.LBB314_1641:                           ;   in Loop: Header=BB314_16 Depth=1
	s_or_b32 exec_lo, exec_lo, s27
.LBB314_1642:                           ;   in Loop: Header=BB314_16 Depth=1
	s_or_b32 exec_lo, exec_lo, s26
.LBB314_1643:                           ;   in Loop: Header=BB314_16 Depth=1
	s_or_b32 exec_lo, exec_lo, s25
	v_mov_b32_e32 v43, 0
	v_mov_b32_e32 v46, 0
	s_mov_b32 s25, exec_lo
	v_cmpx_lt_u32_e32 0xffffff, v33
	s_cbranch_execz .LBB314_1651
; %bb.1644:                             ;   in Loop: Header=BB314_16 Depth=1
	v_lshrrev_b32_e32 v7, 24, v33
	v_bfrev_b32_e32 v46, 1
	s_mov_b32 s26, exec_lo
	v_cmpx_ne_u32_e32 0x80, v7
	s_cbranch_execz .LBB314_1650
; %bb.1645:                             ;   in Loop: Header=BB314_16 Depth=1
	v_and_b32_e32 v2, 0x7f, v7
	v_mov_b32_e32 v46, 0x7c010000
	s_mov_b32 s27, exec_lo
	v_cmpx_ne_u32_e32 0x7f, v2
	s_cbranch_execz .LBB314_1649
; %bb.1646:                             ;   in Loop: Header=BB314_16 Depth=1
	v_and_b32_e32 v0, 7, v7
	v_lshrrev_b32_e32 v1, 3, v2
	s_mov_b32 s28, exec_lo
	v_cmpx_gt_u32_e32 8, v2
; %bb.1647:                             ;   in Loop: Header=BB314_16 Depth=1
	v_ffbh_u32_e32 v0, v0
	v_min_u32_e32 v2, 32, v0
	v_subrev_nc_u32_e32 v0, 28, v2
	v_lshlrev_b64 v[0:1], v0, v[7:8]
	v_sub_nc_u32_e32 v1, 29, v2
	v_and_b32_e32 v0, 7, v0
; %bb.1648:                             ;   in Loop: Header=BB314_16 Depth=1
	s_or_b32 exec_lo, exec_lo, s28
	v_lshlrev_b32_e32 v2, 8, v7
	v_lshl_add_u32 v1, v1, 10, 0x2000
	v_lshlrev_b32_e32 v0, 23, v0
	v_and_or_b32 v1, 0x8000, v2, v1
	v_lshl_or_b32 v46, v1, 16, v0
.LBB314_1649:                           ;   in Loop: Header=BB314_16 Depth=1
	s_or_b32 exec_lo, exec_lo, s27
.LBB314_1650:                           ;   in Loop: Header=BB314_16 Depth=1
	s_or_b32 exec_lo, exec_lo, s26
.LBB314_1651:                           ;   in Loop: Header=BB314_16 Depth=1
	s_or_b32 exec_lo, exec_lo, s25
	v_mov_b32_e32 v7, v34
	v_cmp_ne_u16_sdwa s5, v34, v8 src0_sel:BYTE_0 src1_sel:DWORD
	s_and_saveexec_b32 s25, s5
	s_cbranch_execz .LBB314_1659
; %bb.1652:                             ;   in Loop: Header=BB314_16 Depth=1
	v_cmp_ne_u16_sdwa s5, v34, v70 src0_sel:BYTE_0 src1_sel:DWORD
	v_mov_b32_e32 v43, 0x8000
	s_and_saveexec_b32 s26, s5
	s_cbranch_execz .LBB314_1658
; %bb.1653:                             ;   in Loop: Header=BB314_16 Depth=1
	v_and_b32_e32 v2, 0x7f, v34
	v_mov_b32_e32 v43, 0x7c01
	s_mov_b32 s27, exec_lo
	v_cmpx_ne_u32_e32 0x7f, v2
	s_cbranch_execz .LBB314_1657
; %bb.1654:                             ;   in Loop: Header=BB314_16 Depth=1
	v_and_b32_e32 v0, 7, v34
	v_lshrrev_b32_e32 v1, 3, v2
	s_mov_b32 s28, exec_lo
	v_cmpx_gt_u32_e32 8, v2
; %bb.1655:                             ;   in Loop: Header=BB314_16 Depth=1
	v_ffbh_u32_e32 v0, v0
	v_min_u32_e32 v2, 32, v0
	v_subrev_nc_u32_e32 v0, 28, v2
	v_lshlrev_b64 v[0:1], v0, v[7:8]
	v_sub_nc_u32_e32 v1, 29, v2
	v_and_b32_e32 v0, 7, v0
; %bb.1656:                             ;   in Loop: Header=BB314_16 Depth=1
	s_or_b32 exec_lo, exec_lo, s28
	v_lshlrev_b32_e32 v2, 8, v34
	v_lshl_add_u32 v1, v1, 10, 0x2000
	v_lshlrev_b32_e32 v0, 7, v0
	v_and_b32_e32 v2, 0x8000, v2
	v_and_b32_e32 v1, 0xfc00, v1
	v_or3_b32 v43, v2, v1, v0
.LBB314_1657:                           ;   in Loop: Header=BB314_16 Depth=1
	s_or_b32 exec_lo, exec_lo, s27
.LBB314_1658:                           ;   in Loop: Header=BB314_16 Depth=1
	s_or_b32 exec_lo, exec_lo, s26
.LBB314_1659:                           ;   in Loop: Header=BB314_16 Depth=1
	s_or_b32 exec_lo, exec_lo, s25
	v_lshrrev_b16 v7, 8, v7
	v_mov_b32_e32 v66, 0
	v_mov_b32_e32 v96, 0
	s_mov_b32 s25, exec_lo
	v_cmpx_ne_u16_e32 0, v7
	s_cbranch_execz .LBB314_1667
; %bb.1660:                             ;   in Loop: Header=BB314_16 Depth=1
	v_bfrev_b32_e32 v96, 1
	s_mov_b32 s26, exec_lo
	v_cmpx_ne_u16_e32 0x80, v7
	s_cbranch_execz .LBB314_1666
; %bb.1661:                             ;   in Loop: Header=BB314_16 Depth=1
	v_mov_b32_e32 v0, 0x7f
	v_mov_b32_e32 v96, 0x7c010000
	s_mov_b32 s27, exec_lo
	v_and_b32_sdwa v2, v7, v0 dst_sel:DWORD dst_unused:UNUSED_PAD src0_sel:WORD_0 src1_sel:DWORD
	v_cmpx_ne_u32_e32 0x7f, v2
	s_cbranch_execz .LBB314_1665
; %bb.1662:                             ;   in Loop: Header=BB314_16 Depth=1
	v_mov_b32_e32 v0, 7
	v_lshrrev_b32_e32 v1, 3, v2
	s_mov_b32 s28, exec_lo
	v_and_b32_sdwa v0, v7, v0 dst_sel:DWORD dst_unused:UNUSED_PAD src0_sel:WORD_0 src1_sel:DWORD
	v_cmpx_gt_u32_e32 8, v2
; %bb.1663:                             ;   in Loop: Header=BB314_16 Depth=1
	v_ffbh_u32_e32 v0, v0
	v_min_u32_e32 v2, 32, v0
	v_subrev_nc_u32_e32 v0, 28, v2
	v_lshlrev_b64 v[0:1], v0, v[7:8]
	v_sub_nc_u32_e32 v1, 29, v2
	v_and_b32_e32 v0, 7, v0
; %bb.1664:                             ;   in Loop: Header=BB314_16 Depth=1
	s_or_b32 exec_lo, exec_lo, s28
	v_mov_b32_e32 v2, 8
	v_lshl_add_u32 v1, v1, 10, 0x2000
	v_lshlrev_b32_e32 v0, 23, v0
	v_lshlrev_b32_sdwa v2, v2, v7 dst_sel:DWORD dst_unused:UNUSED_PAD src0_sel:DWORD src1_sel:WORD_0
	v_and_or_b32 v1, 0x8000, v2, v1
	v_lshl_or_b32 v96, v1, 16, v0
.LBB314_1665:                           ;   in Loop: Header=BB314_16 Depth=1
	s_or_b32 exec_lo, exec_lo, s27
.LBB314_1666:                           ;   in Loop: Header=BB314_16 Depth=1
	s_or_b32 exec_lo, exec_lo, s26
.LBB314_1667:                           ;   in Loop: Header=BB314_16 Depth=1
	s_or_b32 exec_lo, exec_lo, s25
	v_lshrrev_b32_e32 v7, 16, v34
	v_cmp_ne_u16_sdwa s5, v7, v8 src0_sel:BYTE_0 src1_sel:DWORD
	s_and_saveexec_b32 s25, s5
	s_cbranch_execz .LBB314_1675
; %bb.1668:                             ;   in Loop: Header=BB314_16 Depth=1
	v_cmp_ne_u16_sdwa s5, v7, v70 src0_sel:BYTE_0 src1_sel:DWORD
	v_mov_b32_e32 v66, 0x8000
	s_and_saveexec_b32 s26, s5
	s_cbranch_execz .LBB314_1674
; %bb.1669:                             ;   in Loop: Header=BB314_16 Depth=1
	v_bfe_u32 v2, v34, 16, 7
	v_mov_b32_e32 v66, 0x7c01
	s_mov_b32 s27, exec_lo
	v_cmpx_ne_u32_e32 0x7f, v2
	s_cbranch_execz .LBB314_1673
; %bb.1670:                             ;   in Loop: Header=BB314_16 Depth=1
	v_and_b32_e32 v0, 7, v7
	v_lshrrev_b32_e32 v1, 3, v2
	s_mov_b32 s28, exec_lo
	v_cmpx_gt_u32_e32 8, v2
; %bb.1671:                             ;   in Loop: Header=BB314_16 Depth=1
	v_ffbh_u32_e32 v0, v0
	v_min_u32_e32 v2, 32, v0
	v_subrev_nc_u32_e32 v0, 28, v2
	v_lshlrev_b64 v[0:1], v0, v[7:8]
	v_sub_nc_u32_e32 v1, 29, v2
	v_and_b32_e32 v0, 7, v0
; %bb.1672:                             ;   in Loop: Header=BB314_16 Depth=1
	s_or_b32 exec_lo, exec_lo, s28
	v_lshlrev_b32_e32 v2, 8, v7
	v_lshl_add_u32 v1, v1, 10, 0x2000
	v_lshlrev_b32_e32 v0, 7, v0
	v_and_b32_e32 v2, 0x8000, v2
	v_and_b32_e32 v1, 0xfc00, v1
	v_or3_b32 v66, v2, v1, v0
.LBB314_1673:                           ;   in Loop: Header=BB314_16 Depth=1
	s_or_b32 exec_lo, exec_lo, s27
.LBB314_1674:                           ;   in Loop: Header=BB314_16 Depth=1
	s_or_b32 exec_lo, exec_lo, s26
.LBB314_1675:                           ;   in Loop: Header=BB314_16 Depth=1
	s_or_b32 exec_lo, exec_lo, s25
	v_mov_b32_e32 v48, 0
	v_mov_b32_e32 v30, 0
	s_mov_b32 s25, exec_lo
	v_cmpx_lt_u64_e64 s[20:21], v[33:34]
	s_cbranch_execz .LBB314_1683
; %bb.1676:                             ;   in Loop: Header=BB314_16 Depth=1
	v_lshrrev_b32_e32 v7, 24, v34
	v_bfrev_b32_e32 v30, 1
	s_mov_b32 s26, exec_lo
	v_cmpx_ne_u32_e32 0x80, v7
	s_cbranch_execz .LBB314_1682
; %bb.1677:                             ;   in Loop: Header=BB314_16 Depth=1
	v_and_b32_e32 v2, 0x7f, v7
	v_mov_b32_e32 v30, 0x7c010000
	s_mov_b32 s27, exec_lo
	v_cmpx_ne_u32_e32 0x7f, v2
	s_cbranch_execz .LBB314_1681
; %bb.1678:                             ;   in Loop: Header=BB314_16 Depth=1
	v_and_b32_e32 v0, 7, v7
	v_lshrrev_b32_e32 v1, 3, v2
	s_mov_b32 s28, exec_lo
	v_cmpx_gt_u32_e32 8, v2
; %bb.1679:                             ;   in Loop: Header=BB314_16 Depth=1
	v_ffbh_u32_e32 v0, v0
	v_min_u32_e32 v2, 32, v0
	v_subrev_nc_u32_e32 v0, 28, v2
	v_lshlrev_b64 v[0:1], v0, v[7:8]
	v_sub_nc_u32_e32 v1, 29, v2
	v_and_b32_e32 v0, 7, v0
; %bb.1680:                             ;   in Loop: Header=BB314_16 Depth=1
	s_or_b32 exec_lo, exec_lo, s28
	v_lshlrev_b32_e32 v2, 8, v7
	v_lshl_add_u32 v1, v1, 10, 0x2000
	v_lshlrev_b32_e32 v0, 23, v0
	v_and_or_b32 v1, 0x8000, v2, v1
	v_lshl_or_b32 v30, v1, 16, v0
.LBB314_1681:                           ;   in Loop: Header=BB314_16 Depth=1
	s_or_b32 exec_lo, exec_lo, s27
.LBB314_1682:                           ;   in Loop: Header=BB314_16 Depth=1
	s_or_b32 exec_lo, exec_lo, s26
.LBB314_1683:                           ;   in Loop: Header=BB314_16 Depth=1
	s_or_b32 exec_lo, exec_lo, s25
	flat_load_dwordx2 v[33:34], v[31:32] offset:512
	s_waitcnt vmcnt(0) lgkmcnt(0)
	v_cmp_ne_u16_sdwa s5, v33, v8 src0_sel:BYTE_0 src1_sel:DWORD
	s_and_saveexec_b32 s25, s5
	s_cbranch_execz .LBB314_1691
; %bb.1684:                             ;   in Loop: Header=BB314_16 Depth=1
	v_cmp_ne_u16_sdwa s5, v33, v70 src0_sel:BYTE_0 src1_sel:DWORD
	v_mov_b32_e32 v48, 0x8000
	s_and_saveexec_b32 s26, s5
	s_cbranch_execz .LBB314_1690
; %bb.1685:                             ;   in Loop: Header=BB314_16 Depth=1
	v_and_b32_e32 v2, 0x7f, v33
	v_mov_b32_e32 v48, 0x7c01
	s_mov_b32 s27, exec_lo
	v_cmpx_ne_u32_e32 0x7f, v2
	s_cbranch_execz .LBB314_1689
; %bb.1686:                             ;   in Loop: Header=BB314_16 Depth=1
	v_and_b32_e32 v0, 7, v33
	v_lshrrev_b32_e32 v1, 3, v2
	s_mov_b32 s28, exec_lo
	v_cmpx_gt_u32_e32 8, v2
; %bb.1687:                             ;   in Loop: Header=BB314_16 Depth=1
	v_ffbh_u32_e32 v0, v0
	v_min_u32_e32 v2, 32, v0
	v_subrev_nc_u32_e32 v0, 28, v2
	v_lshlrev_b64 v[0:1], v0, v[33:34]
	v_sub_nc_u32_e32 v1, 29, v2
	v_and_b32_e32 v0, 7, v0
; %bb.1688:                             ;   in Loop: Header=BB314_16 Depth=1
	s_or_b32 exec_lo, exec_lo, s28
	v_lshlrev_b32_e32 v2, 8, v33
	v_lshl_add_u32 v1, v1, 10, 0x2000
	v_lshlrev_b32_e32 v0, 7, v0
	v_and_b32_e32 v2, 0x8000, v2
	v_and_b32_e32 v1, 0xfc00, v1
	v_or3_b32 v48, v2, v1, v0
.LBB314_1689:                           ;   in Loop: Header=BB314_16 Depth=1
	s_or_b32 exec_lo, exec_lo, s27
.LBB314_1690:                           ;   in Loop: Header=BB314_16 Depth=1
	s_or_b32 exec_lo, exec_lo, s26
.LBB314_1691:                           ;   in Loop: Header=BB314_16 Depth=1
	s_or_b32 exec_lo, exec_lo, s25
	v_lshrrev_b16 v7, 8, v33
	v_mov_b32_e32 v18, 0
	v_mov_b32_e32 v80, 0
	s_mov_b32 s25, exec_lo
	v_cmpx_ne_u16_e32 0, v7
	s_cbranch_execz .LBB314_1699
; %bb.1692:                             ;   in Loop: Header=BB314_16 Depth=1
	v_bfrev_b32_e32 v80, 1
	s_mov_b32 s26, exec_lo
	v_cmpx_ne_u16_e32 0x80, v7
	s_cbranch_execz .LBB314_1698
; %bb.1693:                             ;   in Loop: Header=BB314_16 Depth=1
	v_mov_b32_e32 v0, 0x7f
	v_mov_b32_e32 v80, 0x7c010000
	s_mov_b32 s27, exec_lo
	v_and_b32_sdwa v2, v7, v0 dst_sel:DWORD dst_unused:UNUSED_PAD src0_sel:WORD_0 src1_sel:DWORD
	v_cmpx_ne_u32_e32 0x7f, v2
	s_cbranch_execz .LBB314_1697
; %bb.1694:                             ;   in Loop: Header=BB314_16 Depth=1
	v_mov_b32_e32 v0, 7
	v_lshrrev_b32_e32 v1, 3, v2
	s_mov_b32 s28, exec_lo
	v_and_b32_sdwa v0, v7, v0 dst_sel:DWORD dst_unused:UNUSED_PAD src0_sel:WORD_0 src1_sel:DWORD
	v_cmpx_gt_u32_e32 8, v2
; %bb.1695:                             ;   in Loop: Header=BB314_16 Depth=1
	v_ffbh_u32_e32 v0, v0
	v_min_u32_e32 v2, 32, v0
	v_subrev_nc_u32_e32 v0, 28, v2
	v_lshlrev_b64 v[0:1], v0, v[7:8]
	v_sub_nc_u32_e32 v1, 29, v2
	v_and_b32_e32 v0, 7, v0
; %bb.1696:                             ;   in Loop: Header=BB314_16 Depth=1
	s_or_b32 exec_lo, exec_lo, s28
	v_mov_b32_e32 v2, 8
	v_lshl_add_u32 v1, v1, 10, 0x2000
	v_lshlrev_b32_e32 v0, 23, v0
	v_lshlrev_b32_sdwa v2, v2, v7 dst_sel:DWORD dst_unused:UNUSED_PAD src0_sel:DWORD src1_sel:WORD_0
	v_and_or_b32 v1, 0x8000, v2, v1
	v_lshl_or_b32 v80, v1, 16, v0
.LBB314_1697:                           ;   in Loop: Header=BB314_16 Depth=1
	s_or_b32 exec_lo, exec_lo, s27
.LBB314_1698:                           ;   in Loop: Header=BB314_16 Depth=1
	s_or_b32 exec_lo, exec_lo, s26
.LBB314_1699:                           ;   in Loop: Header=BB314_16 Depth=1
	s_or_b32 exec_lo, exec_lo, s25
	v_lshrrev_b32_e32 v7, 16, v33
	v_cmp_ne_u16_sdwa s5, v7, v8 src0_sel:BYTE_0 src1_sel:DWORD
	s_and_saveexec_b32 s25, s5
	s_cbranch_execz .LBB314_1707
; %bb.1700:                             ;   in Loop: Header=BB314_16 Depth=1
	v_cmp_ne_u16_sdwa s5, v7, v70 src0_sel:BYTE_0 src1_sel:DWORD
	v_mov_b32_e32 v18, 0x8000
	s_and_saveexec_b32 s26, s5
	s_cbranch_execz .LBB314_1706
; %bb.1701:                             ;   in Loop: Header=BB314_16 Depth=1
	v_bfe_u32 v2, v33, 16, 7
	v_mov_b32_e32 v18, 0x7c01
	s_mov_b32 s27, exec_lo
	v_cmpx_ne_u32_e32 0x7f, v2
	s_cbranch_execz .LBB314_1705
; %bb.1702:                             ;   in Loop: Header=BB314_16 Depth=1
	v_and_b32_e32 v0, 7, v7
	v_lshrrev_b32_e32 v1, 3, v2
	s_mov_b32 s28, exec_lo
	v_cmpx_gt_u32_e32 8, v2
; %bb.1703:                             ;   in Loop: Header=BB314_16 Depth=1
	v_ffbh_u32_e32 v0, v0
	v_min_u32_e32 v2, 32, v0
	v_subrev_nc_u32_e32 v0, 28, v2
	v_lshlrev_b64 v[0:1], v0, v[7:8]
	v_sub_nc_u32_e32 v1, 29, v2
	v_and_b32_e32 v0, 7, v0
; %bb.1704:                             ;   in Loop: Header=BB314_16 Depth=1
	s_or_b32 exec_lo, exec_lo, s28
	v_lshlrev_b32_e32 v2, 8, v7
	v_lshl_add_u32 v1, v1, 10, 0x2000
	v_lshlrev_b32_e32 v0, 7, v0
	v_and_b32_e32 v2, 0x8000, v2
	v_and_b32_e32 v1, 0xfc00, v1
	v_or3_b32 v18, v2, v1, v0
.LBB314_1705:                           ;   in Loop: Header=BB314_16 Depth=1
	s_or_b32 exec_lo, exec_lo, s27
.LBB314_1706:                           ;   in Loop: Header=BB314_16 Depth=1
	s_or_b32 exec_lo, exec_lo, s26
.LBB314_1707:                           ;   in Loop: Header=BB314_16 Depth=1
	s_or_b32 exec_lo, exec_lo, s25
	v_mov_b32_e32 v78, 0
	v_mov_b32_e32 v11, 0
	s_mov_b32 s25, exec_lo
	v_cmpx_lt_u32_e32 0xffffff, v33
	s_cbranch_execz .LBB314_1715
; %bb.1708:                             ;   in Loop: Header=BB314_16 Depth=1
	v_lshrrev_b32_e32 v7, 24, v33
	v_bfrev_b32_e32 v11, 1
	s_mov_b32 s26, exec_lo
	v_cmpx_ne_u32_e32 0x80, v7
	s_cbranch_execz .LBB314_1714
; %bb.1709:                             ;   in Loop: Header=BB314_16 Depth=1
	v_and_b32_e32 v2, 0x7f, v7
	v_mov_b32_e32 v11, 0x7c010000
	s_mov_b32 s27, exec_lo
	v_cmpx_ne_u32_e32 0x7f, v2
	s_cbranch_execz .LBB314_1713
; %bb.1710:                             ;   in Loop: Header=BB314_16 Depth=1
	v_and_b32_e32 v0, 7, v7
	v_lshrrev_b32_e32 v1, 3, v2
	s_mov_b32 s28, exec_lo
	v_cmpx_gt_u32_e32 8, v2
; %bb.1711:                             ;   in Loop: Header=BB314_16 Depth=1
	v_ffbh_u32_e32 v0, v0
	v_min_u32_e32 v2, 32, v0
	v_subrev_nc_u32_e32 v0, 28, v2
	v_lshlrev_b64 v[0:1], v0, v[7:8]
	v_sub_nc_u32_e32 v1, 29, v2
	v_and_b32_e32 v0, 7, v0
; %bb.1712:                             ;   in Loop: Header=BB314_16 Depth=1
	s_or_b32 exec_lo, exec_lo, s28
	v_lshlrev_b32_e32 v2, 8, v7
	v_lshl_add_u32 v1, v1, 10, 0x2000
	v_lshlrev_b32_e32 v0, 23, v0
	v_and_or_b32 v1, 0x8000, v2, v1
	v_lshl_or_b32 v11, v1, 16, v0
.LBB314_1713:                           ;   in Loop: Header=BB314_16 Depth=1
	s_or_b32 exec_lo, exec_lo, s27
.LBB314_1714:                           ;   in Loop: Header=BB314_16 Depth=1
	s_or_b32 exec_lo, exec_lo, s26
.LBB314_1715:                           ;   in Loop: Header=BB314_16 Depth=1
	s_or_b32 exec_lo, exec_lo, s25
	v_mov_b32_e32 v7, v34
	v_cmp_ne_u16_sdwa s5, v34, v8 src0_sel:BYTE_0 src1_sel:DWORD
	s_and_saveexec_b32 s25, s5
	s_cbranch_execz .LBB314_1723
; %bb.1716:                             ;   in Loop: Header=BB314_16 Depth=1
	v_cmp_ne_u16_sdwa s5, v34, v70 src0_sel:BYTE_0 src1_sel:DWORD
	v_mov_b32_e32 v78, 0x8000
	s_and_saveexec_b32 s26, s5
	s_cbranch_execz .LBB314_1722
; %bb.1717:                             ;   in Loop: Header=BB314_16 Depth=1
	v_and_b32_e32 v2, 0x7f, v34
	v_mov_b32_e32 v78, 0x7c01
	s_mov_b32 s27, exec_lo
	v_cmpx_ne_u32_e32 0x7f, v2
	s_cbranch_execz .LBB314_1721
; %bb.1718:                             ;   in Loop: Header=BB314_16 Depth=1
	v_and_b32_e32 v0, 7, v34
	v_lshrrev_b32_e32 v1, 3, v2
	s_mov_b32 s28, exec_lo
	v_cmpx_gt_u32_e32 8, v2
; %bb.1719:                             ;   in Loop: Header=BB314_16 Depth=1
	v_ffbh_u32_e32 v0, v0
	v_min_u32_e32 v2, 32, v0
	v_subrev_nc_u32_e32 v0, 28, v2
	v_lshlrev_b64 v[0:1], v0, v[7:8]
	v_sub_nc_u32_e32 v1, 29, v2
	v_and_b32_e32 v0, 7, v0
; %bb.1720:                             ;   in Loop: Header=BB314_16 Depth=1
	s_or_b32 exec_lo, exec_lo, s28
	v_lshlrev_b32_e32 v2, 8, v34
	v_lshl_add_u32 v1, v1, 10, 0x2000
	v_lshlrev_b32_e32 v0, 7, v0
	v_and_b32_e32 v2, 0x8000, v2
	v_and_b32_e32 v1, 0xfc00, v1
	v_or3_b32 v78, v2, v1, v0
.LBB314_1721:                           ;   in Loop: Header=BB314_16 Depth=1
	s_or_b32 exec_lo, exec_lo, s27
.LBB314_1722:                           ;   in Loop: Header=BB314_16 Depth=1
	s_or_b32 exec_lo, exec_lo, s26
.LBB314_1723:                           ;   in Loop: Header=BB314_16 Depth=1
	s_or_b32 exec_lo, exec_lo, s25
	v_lshrrev_b16 v7, 8, v7
	v_mov_b32_e32 v38, 0
	v_mov_b32_e32 v1, 0
	s_mov_b32 s25, exec_lo
	v_cmpx_ne_u16_e32 0, v7
	s_cbranch_execz .LBB314_1731
; %bb.1724:                             ;   in Loop: Header=BB314_16 Depth=1
	v_bfrev_b32_e32 v1, 1
	s_mov_b32 s26, exec_lo
	v_cmpx_ne_u16_e32 0x80, v7
	s_cbranch_execz .LBB314_1730
; %bb.1725:                             ;   in Loop: Header=BB314_16 Depth=1
	v_mov_b32_e32 v0, 0x7f
	v_mov_b32_e32 v1, 0x7c010000
	s_mov_b32 s27, exec_lo
	v_and_b32_sdwa v2, v7, v0 dst_sel:DWORD dst_unused:UNUSED_PAD src0_sel:WORD_0 src1_sel:DWORD
	v_cmpx_ne_u32_e32 0x7f, v2
	s_cbranch_execz .LBB314_1729
; %bb.1726:                             ;   in Loop: Header=BB314_16 Depth=1
	v_mov_b32_e32 v0, 7
	v_lshrrev_b32_e32 v1, 3, v2
	s_mov_b32 s28, exec_lo
	v_and_b32_sdwa v0, v7, v0 dst_sel:DWORD dst_unused:UNUSED_PAD src0_sel:WORD_0 src1_sel:DWORD
	v_cmpx_gt_u32_e32 8, v2
; %bb.1727:                             ;   in Loop: Header=BB314_16 Depth=1
	v_ffbh_u32_e32 v0, v0
	v_min_u32_e32 v2, 32, v0
	v_subrev_nc_u32_e32 v0, 28, v2
	v_lshlrev_b64 v[0:1], v0, v[7:8]
	v_sub_nc_u32_e32 v1, 29, v2
	v_and_b32_e32 v0, 7, v0
; %bb.1728:                             ;   in Loop: Header=BB314_16 Depth=1
	s_or_b32 exec_lo, exec_lo, s28
	v_mov_b32_e32 v2, 8
	v_lshl_add_u32 v1, v1, 10, 0x2000
	v_lshlrev_b32_e32 v0, 23, v0
	v_lshlrev_b32_sdwa v2, v2, v7 dst_sel:DWORD dst_unused:UNUSED_PAD src0_sel:DWORD src1_sel:WORD_0
	v_and_or_b32 v1, 0x8000, v2, v1
	v_lshl_or_b32 v1, v1, 16, v0
.LBB314_1729:                           ;   in Loop: Header=BB314_16 Depth=1
	s_or_b32 exec_lo, exec_lo, s27
.LBB314_1730:                           ;   in Loop: Header=BB314_16 Depth=1
	s_or_b32 exec_lo, exec_lo, s26
.LBB314_1731:                           ;   in Loop: Header=BB314_16 Depth=1
	s_or_b32 exec_lo, exec_lo, s25
	v_lshrrev_b32_e32 v7, 16, v34
	v_cmp_ne_u16_sdwa s5, v7, v8 src0_sel:BYTE_0 src1_sel:DWORD
	s_and_saveexec_b32 s25, s5
	s_cbranch_execz .LBB314_1739
; %bb.1732:                             ;   in Loop: Header=BB314_16 Depth=1
	v_cmp_ne_u16_sdwa s5, v7, v70 src0_sel:BYTE_0 src1_sel:DWORD
	v_mov_b32_e32 v38, 0x8000
	s_and_saveexec_b32 s26, s5
	s_cbranch_execz .LBB314_1738
; %bb.1733:                             ;   in Loop: Header=BB314_16 Depth=1
	v_bfe_u32 v4, v34, 16, 7
	v_mov_b32_e32 v38, 0x7c01
	s_mov_b32 s27, exec_lo
	v_cmpx_ne_u32_e32 0x7f, v4
	s_cbranch_execz .LBB314_1737
; %bb.1734:                             ;   in Loop: Header=BB314_16 Depth=1
	v_and_b32_e32 v0, 7, v7
	v_lshrrev_b32_e32 v2, 3, v4
	s_mov_b32 s28, exec_lo
	v_cmpx_gt_u32_e32 8, v4
; %bb.1735:                             ;   in Loop: Header=BB314_16 Depth=1
	v_ffbh_u32_e32 v0, v0
	v_min_u32_e32 v0, 32, v0
	v_subrev_nc_u32_e32 v2, 28, v0
	v_lshlrev_b64 v[12:13], v2, v[7:8]
	v_sub_nc_u32_e32 v2, 29, v0
	v_and_b32_e32 v0, 7, v12
; %bb.1736:                             ;   in Loop: Header=BB314_16 Depth=1
	s_or_b32 exec_lo, exec_lo, s28
	v_lshlrev_b32_e32 v4, 8, v7
	v_lshl_add_u32 v2, v2, 10, 0x2000
	v_lshlrev_b32_e32 v0, 7, v0
	v_and_b32_e32 v4, 0x8000, v4
	v_and_b32_e32 v2, 0xfc00, v2
	v_or3_b32 v38, v4, v2, v0
.LBB314_1737:                           ;   in Loop: Header=BB314_16 Depth=1
	s_or_b32 exec_lo, exec_lo, s27
.LBB314_1738:                           ;   in Loop: Header=BB314_16 Depth=1
	s_or_b32 exec_lo, exec_lo, s26
.LBB314_1739:                           ;   in Loop: Header=BB314_16 Depth=1
	s_or_b32 exec_lo, exec_lo, s25
	v_mov_b32_e32 v86, 0
	v_mov_b32_e32 v0, 0
	s_mov_b32 s25, exec_lo
	v_cmpx_lt_u64_e64 s[20:21], v[33:34]
	s_cbranch_execz .LBB314_1747
; %bb.1740:                             ;   in Loop: Header=BB314_16 Depth=1
	v_lshrrev_b32_e32 v7, 24, v34
	v_bfrev_b32_e32 v0, 1
	s_mov_b32 s26, exec_lo
	v_cmpx_ne_u32_e32 0x80, v7
	s_cbranch_execz .LBB314_1746
; %bb.1741:                             ;   in Loop: Header=BB314_16 Depth=1
	v_and_b32_e32 v4, 0x7f, v7
	v_mov_b32_e32 v0, 0x7c010000
	s_mov_b32 s27, exec_lo
	v_cmpx_ne_u32_e32 0x7f, v4
	s_cbranch_execz .LBB314_1745
; %bb.1742:                             ;   in Loop: Header=BB314_16 Depth=1
	v_and_b32_e32 v0, 7, v7
	v_lshrrev_b32_e32 v2, 3, v4
	s_mov_b32 s28, exec_lo
	v_cmpx_gt_u32_e32 8, v4
; %bb.1743:                             ;   in Loop: Header=BB314_16 Depth=1
	v_ffbh_u32_e32 v0, v0
	v_min_u32_e32 v0, 32, v0
	v_subrev_nc_u32_e32 v2, 28, v0
	v_lshlrev_b64 v[12:13], v2, v[7:8]
	v_sub_nc_u32_e32 v2, 29, v0
	v_and_b32_e32 v0, 7, v12
; %bb.1744:                             ;   in Loop: Header=BB314_16 Depth=1
	s_or_b32 exec_lo, exec_lo, s28
	v_lshlrev_b32_e32 v4, 8, v7
	v_lshl_add_u32 v2, v2, 10, 0x2000
	v_lshlrev_b32_e32 v0, 23, v0
	v_and_or_b32 v2, 0x8000, v4, v2
	v_lshl_or_b32 v0, v2, 16, v0
.LBB314_1745:                           ;   in Loop: Header=BB314_16 Depth=1
	s_or_b32 exec_lo, exec_lo, s27
.LBB314_1746:                           ;   in Loop: Header=BB314_16 Depth=1
	s_or_b32 exec_lo, exec_lo, s26
.LBB314_1747:                           ;   in Loop: Header=BB314_16 Depth=1
	s_or_b32 exec_lo, exec_lo, s25
	flat_load_dwordx2 v[33:34], v[31:32] offset:520
	s_waitcnt vmcnt(0) lgkmcnt(0)
	v_cmp_ne_u16_sdwa s5, v33, v8 src0_sel:BYTE_0 src1_sel:DWORD
	s_and_saveexec_b32 s25, s5
	s_cbranch_execz .LBB314_1755
; %bb.1748:                             ;   in Loop: Header=BB314_16 Depth=1
	v_cmp_ne_u16_sdwa s5, v33, v70 src0_sel:BYTE_0 src1_sel:DWORD
	v_mov_b32_e32 v86, 0x8000
	s_and_saveexec_b32 s26, s5
	s_cbranch_execz .LBB314_1754
; %bb.1749:                             ;   in Loop: Header=BB314_16 Depth=1
	v_and_b32_e32 v7, 0x7f, v33
	v_mov_b32_e32 v86, 0x7c01
	s_mov_b32 s27, exec_lo
	v_cmpx_ne_u32_e32 0x7f, v7
	s_cbranch_execz .LBB314_1753
; %bb.1750:                             ;   in Loop: Header=BB314_16 Depth=1
	v_and_b32_e32 v2, 7, v33
	v_lshrrev_b32_e32 v4, 3, v7
	s_mov_b32 s28, exec_lo
	v_cmpx_gt_u32_e32 8, v7
; %bb.1751:                             ;   in Loop: Header=BB314_16 Depth=1
	v_ffbh_u32_e32 v2, v2
	v_min_u32_e32 v2, 32, v2
	v_subrev_nc_u32_e32 v4, 28, v2
	v_lshlrev_b64 v[12:13], v4, v[33:34]
	v_sub_nc_u32_e32 v4, 29, v2
	v_and_b32_e32 v2, 7, v12
; %bb.1752:                             ;   in Loop: Header=BB314_16 Depth=1
	s_or_b32 exec_lo, exec_lo, s28
	v_lshlrev_b32_e32 v7, 8, v33
	v_lshl_add_u32 v4, v4, 10, 0x2000
	v_lshlrev_b32_e32 v2, 7, v2
	v_and_b32_e32 v7, 0x8000, v7
	v_and_b32_e32 v4, 0xfc00, v4
	v_or3_b32 v86, v7, v4, v2
.LBB314_1753:                           ;   in Loop: Header=BB314_16 Depth=1
	s_or_b32 exec_lo, exec_lo, s27
.LBB314_1754:                           ;   in Loop: Header=BB314_16 Depth=1
	s_or_b32 exec_lo, exec_lo, s26
.LBB314_1755:                           ;   in Loop: Header=BB314_16 Depth=1
	s_or_b32 exec_lo, exec_lo, s25
	v_lshrrev_b16 v7, 8, v33
	v_mov_b32_e32 v4, 0
	v_mov_b32_e32 v2, 0
	s_mov_b32 s25, exec_lo
	v_cmpx_ne_u16_e32 0, v7
	s_cbranch_execz .LBB314_1763
; %bb.1756:                             ;   in Loop: Header=BB314_16 Depth=1
	v_bfrev_b32_e32 v2, 1
	s_mov_b32 s26, exec_lo
	v_cmpx_ne_u16_e32 0x80, v7
	s_cbranch_execz .LBB314_1762
; %bb.1757:                             ;   in Loop: Header=BB314_16 Depth=1
	v_mov_b32_e32 v2, 0x7f
	s_mov_b32 s27, exec_lo
	v_and_b32_sdwa v13, v7, v2 dst_sel:DWORD dst_unused:UNUSED_PAD src0_sel:WORD_0 src1_sel:DWORD
	v_mov_b32_e32 v2, 0x7c010000
	v_cmpx_ne_u32_e32 0x7f, v13
	s_cbranch_execz .LBB314_1761
; %bb.1758:                             ;   in Loop: Header=BB314_16 Depth=1
	v_mov_b32_e32 v2, 7
	v_lshrrev_b32_e32 v12, 3, v13
	s_mov_b32 s28, exec_lo
	v_and_b32_sdwa v2, v7, v2 dst_sel:DWORD dst_unused:UNUSED_PAD src0_sel:WORD_0 src1_sel:DWORD
	v_cmpx_gt_u32_e32 8, v13
; %bb.1759:                             ;   in Loop: Header=BB314_16 Depth=1
	v_ffbh_u32_e32 v2, v2
	v_min_u32_e32 v2, 32, v2
	v_subrev_nc_u32_e32 v12, 28, v2
	v_lshlrev_b64 v[13:14], v12, v[7:8]
	v_sub_nc_u32_e32 v12, 29, v2
	v_and_b32_e32 v2, 7, v13
; %bb.1760:                             ;   in Loop: Header=BB314_16 Depth=1
	s_or_b32 exec_lo, exec_lo, s28
	v_mov_b32_e32 v13, 8
	v_lshl_add_u32 v12, v12, 10, 0x2000
	v_lshlrev_b32_e32 v2, 23, v2
	v_lshlrev_b32_sdwa v7, v13, v7 dst_sel:DWORD dst_unused:UNUSED_PAD src0_sel:DWORD src1_sel:WORD_0
	v_and_or_b32 v7, 0x8000, v7, v12
	v_lshl_or_b32 v2, v7, 16, v2
.LBB314_1761:                           ;   in Loop: Header=BB314_16 Depth=1
	s_or_b32 exec_lo, exec_lo, s27
.LBB314_1762:                           ;   in Loop: Header=BB314_16 Depth=1
	s_or_b32 exec_lo, exec_lo, s26
.LBB314_1763:                           ;   in Loop: Header=BB314_16 Depth=1
	s_or_b32 exec_lo, exec_lo, s25
	v_lshrrev_b32_e32 v7, 16, v33
	v_cmp_ne_u16_sdwa s5, v7, v8 src0_sel:BYTE_0 src1_sel:DWORD
	s_and_saveexec_b32 s25, s5
	s_cbranch_execz .LBB314_1771
; %bb.1764:                             ;   in Loop: Header=BB314_16 Depth=1
	v_cmp_ne_u16_sdwa s5, v7, v70 src0_sel:BYTE_0 src1_sel:DWORD
	v_mov_b32_e32 v4, 0x8000
	s_and_saveexec_b32 s26, s5
	s_cbranch_execz .LBB314_1770
; %bb.1765:                             ;   in Loop: Header=BB314_16 Depth=1
	v_bfe_u32 v13, v33, 16, 7
	v_mov_b32_e32 v4, 0x7c01
	s_mov_b32 s27, exec_lo
	v_cmpx_ne_u32_e32 0x7f, v13
	s_cbranch_execz .LBB314_1769
; %bb.1766:                             ;   in Loop: Header=BB314_16 Depth=1
	v_and_b32_e32 v4, 7, v7
	v_lshrrev_b32_e32 v12, 3, v13
	s_mov_b32 s28, exec_lo
	v_cmpx_gt_u32_e32 8, v13
; %bb.1767:                             ;   in Loop: Header=BB314_16 Depth=1
	v_ffbh_u32_e32 v4, v4
	v_min_u32_e32 v4, 32, v4
	v_subrev_nc_u32_e32 v12, 28, v4
	v_lshlrev_b64 v[13:14], v12, v[7:8]
	v_sub_nc_u32_e32 v12, 29, v4
	v_and_b32_e32 v4, 7, v13
; %bb.1768:                             ;   in Loop: Header=BB314_16 Depth=1
	s_or_b32 exec_lo, exec_lo, s28
	v_lshlrev_b32_e32 v7, 8, v7
	v_lshl_add_u32 v12, v12, 10, 0x2000
	v_lshlrev_b32_e32 v4, 7, v4
	v_and_b32_e32 v7, 0x8000, v7
	v_and_b32_e32 v12, 0xfc00, v12
	v_or3_b32 v4, v7, v12, v4
.LBB314_1769:                           ;   in Loop: Header=BB314_16 Depth=1
	s_or_b32 exec_lo, exec_lo, s27
.LBB314_1770:                           ;   in Loop: Header=BB314_16 Depth=1
	s_or_b32 exec_lo, exec_lo, s26
.LBB314_1771:                           ;   in Loop: Header=BB314_16 Depth=1
	s_or_b32 exec_lo, exec_lo, s25
	v_mov_b32_e32 v39, 0
	v_mov_b32_e32 v91, 0
	s_mov_b32 s25, exec_lo
	v_cmpx_lt_u32_e32 0xffffff, v33
	s_cbranch_execz .LBB314_1779
; %bb.1772:                             ;   in Loop: Header=BB314_16 Depth=1
	v_lshrrev_b32_e32 v7, 24, v33
	v_bfrev_b32_e32 v91, 1
	s_mov_b32 s26, exec_lo
	v_cmpx_ne_u32_e32 0x80, v7
	s_cbranch_execz .LBB314_1778
; %bb.1773:                             ;   in Loop: Header=BB314_16 Depth=1
	v_and_b32_e32 v14, 0x7f, v7
	v_mov_b32_e32 v91, 0x7c010000
	s_mov_b32 s27, exec_lo
	v_cmpx_ne_u32_e32 0x7f, v14
	s_cbranch_execz .LBB314_1777
; %bb.1774:                             ;   in Loop: Header=BB314_16 Depth=1
	v_and_b32_e32 v12, 7, v7
	v_lshrrev_b32_e32 v13, 3, v14
	s_mov_b32 s28, exec_lo
	v_cmpx_gt_u32_e32 8, v14
; %bb.1775:                             ;   in Loop: Header=BB314_16 Depth=1
	v_ffbh_u32_e32 v12, v12
	v_min_u32_e32 v14, 32, v12
	v_subrev_nc_u32_e32 v12, 28, v14
	v_lshlrev_b64 v[12:13], v12, v[7:8]
	v_sub_nc_u32_e32 v13, 29, v14
	v_and_b32_e32 v12, 7, v12
; %bb.1776:                             ;   in Loop: Header=BB314_16 Depth=1
	s_or_b32 exec_lo, exec_lo, s28
	v_lshlrev_b32_e32 v7, 8, v7
	v_lshl_add_u32 v13, v13, 10, 0x2000
	v_lshlrev_b32_e32 v12, 23, v12
	v_and_or_b32 v7, 0x8000, v7, v13
	v_lshl_or_b32 v91, v7, 16, v12
.LBB314_1777:                           ;   in Loop: Header=BB314_16 Depth=1
	s_or_b32 exec_lo, exec_lo, s27
.LBB314_1778:                           ;   in Loop: Header=BB314_16 Depth=1
	s_or_b32 exec_lo, exec_lo, s26
.LBB314_1779:                           ;   in Loop: Header=BB314_16 Depth=1
	s_or_b32 exec_lo, exec_lo, s25
	v_mov_b32_e32 v7, v34
	v_cmp_ne_u16_sdwa s5, v34, v8 src0_sel:BYTE_0 src1_sel:DWORD
	s_and_saveexec_b32 s25, s5
	s_cbranch_execz .LBB314_1787
; %bb.1780:                             ;   in Loop: Header=BB314_16 Depth=1
	v_cmp_ne_u16_sdwa s5, v34, v70 src0_sel:BYTE_0 src1_sel:DWORD
	v_mov_b32_e32 v39, 0x8000
	s_and_saveexec_b32 s26, s5
	s_cbranch_execz .LBB314_1786
; %bb.1781:                             ;   in Loop: Header=BB314_16 Depth=1
	v_and_b32_e32 v14, 0x7f, v34
	v_mov_b32_e32 v39, 0x7c01
	s_mov_b32 s27, exec_lo
	v_cmpx_ne_u32_e32 0x7f, v14
	s_cbranch_execz .LBB314_1785
; %bb.1782:                             ;   in Loop: Header=BB314_16 Depth=1
	v_and_b32_e32 v12, 7, v34
	v_lshrrev_b32_e32 v13, 3, v14
	s_mov_b32 s28, exec_lo
	v_cmpx_gt_u32_e32 8, v14
; %bb.1783:                             ;   in Loop: Header=BB314_16 Depth=1
	v_ffbh_u32_e32 v12, v12
	v_min_u32_e32 v14, 32, v12
	v_subrev_nc_u32_e32 v12, 28, v14
	v_lshlrev_b64 v[12:13], v12, v[7:8]
	v_sub_nc_u32_e32 v13, 29, v14
	v_and_b32_e32 v12, 7, v12
; %bb.1784:                             ;   in Loop: Header=BB314_16 Depth=1
	s_or_b32 exec_lo, exec_lo, s28
	v_lshlrev_b32_e32 v14, 8, v34
	v_lshl_add_u32 v13, v13, 10, 0x2000
	v_lshlrev_b32_e32 v12, 7, v12
	v_and_b32_e32 v14, 0x8000, v14
	v_and_b32_e32 v13, 0xfc00, v13
	v_or3_b32 v39, v14, v13, v12
.LBB314_1785:                           ;   in Loop: Header=BB314_16 Depth=1
	s_or_b32 exec_lo, exec_lo, s27
.LBB314_1786:                           ;   in Loop: Header=BB314_16 Depth=1
	s_or_b32 exec_lo, exec_lo, s26
.LBB314_1787:                           ;   in Loop: Header=BB314_16 Depth=1
	s_or_b32 exec_lo, exec_lo, s25
	v_lshrrev_b16 v7, 8, v7
	v_mov_b32_e32 v72, 0
	v_mov_b32_e32 v69, 0
	s_mov_b32 s25, exec_lo
	v_cmpx_ne_u16_e32 0, v7
	s_cbranch_execz .LBB314_1795
; %bb.1788:                             ;   in Loop: Header=BB314_16 Depth=1
	v_bfrev_b32_e32 v69, 1
	s_mov_b32 s26, exec_lo
	v_cmpx_ne_u16_e32 0x80, v7
	s_cbranch_execz .LBB314_1794
; %bb.1789:                             ;   in Loop: Header=BB314_16 Depth=1
	v_mov_b32_e32 v12, 0x7f
	v_mov_b32_e32 v69, 0x7c010000
	s_mov_b32 s27, exec_lo
	v_and_b32_sdwa v14, v7, v12 dst_sel:DWORD dst_unused:UNUSED_PAD src0_sel:WORD_0 src1_sel:DWORD
	v_cmpx_ne_u32_e32 0x7f, v14
	s_cbranch_execz .LBB314_1793
; %bb.1790:                             ;   in Loop: Header=BB314_16 Depth=1
	v_mov_b32_e32 v12, 7
	v_lshrrev_b32_e32 v13, 3, v14
	s_mov_b32 s28, exec_lo
	v_and_b32_sdwa v12, v7, v12 dst_sel:DWORD dst_unused:UNUSED_PAD src0_sel:WORD_0 src1_sel:DWORD
	v_cmpx_gt_u32_e32 8, v14
; %bb.1791:                             ;   in Loop: Header=BB314_16 Depth=1
	v_ffbh_u32_e32 v12, v12
	v_min_u32_e32 v14, 32, v12
	v_subrev_nc_u32_e32 v12, 28, v14
	v_lshlrev_b64 v[12:13], v12, v[7:8]
	v_sub_nc_u32_e32 v13, 29, v14
	v_and_b32_e32 v12, 7, v12
; %bb.1792:                             ;   in Loop: Header=BB314_16 Depth=1
	s_or_b32 exec_lo, exec_lo, s28
	v_mov_b32_e32 v14, 8
	v_lshl_add_u32 v13, v13, 10, 0x2000
	v_lshlrev_b32_e32 v12, 23, v12
	v_lshlrev_b32_sdwa v7, v14, v7 dst_sel:DWORD dst_unused:UNUSED_PAD src0_sel:DWORD src1_sel:WORD_0
	v_and_or_b32 v7, 0x8000, v7, v13
	v_lshl_or_b32 v69, v7, 16, v12
.LBB314_1793:                           ;   in Loop: Header=BB314_16 Depth=1
	s_or_b32 exec_lo, exec_lo, s27
.LBB314_1794:                           ;   in Loop: Header=BB314_16 Depth=1
	s_or_b32 exec_lo, exec_lo, s26
.LBB314_1795:                           ;   in Loop: Header=BB314_16 Depth=1
	s_or_b32 exec_lo, exec_lo, s25
	v_lshrrev_b32_e32 v7, 16, v34
	v_cmp_ne_u16_sdwa s5, v7, v8 src0_sel:BYTE_0 src1_sel:DWORD
	s_and_saveexec_b32 s25, s5
	s_cbranch_execz .LBB314_1803
; %bb.1796:                             ;   in Loop: Header=BB314_16 Depth=1
	v_cmp_ne_u16_sdwa s5, v7, v70 src0_sel:BYTE_0 src1_sel:DWORD
	v_mov_b32_e32 v72, 0x8000
	s_and_saveexec_b32 s26, s5
	s_cbranch_execz .LBB314_1802
; %bb.1797:                             ;   in Loop: Header=BB314_16 Depth=1
	v_bfe_u32 v14, v34, 16, 7
	v_mov_b32_e32 v72, 0x7c01
	s_mov_b32 s27, exec_lo
	v_cmpx_ne_u32_e32 0x7f, v14
	s_cbranch_execz .LBB314_1801
; %bb.1798:                             ;   in Loop: Header=BB314_16 Depth=1
	v_and_b32_e32 v12, 7, v7
	v_lshrrev_b32_e32 v13, 3, v14
	s_mov_b32 s28, exec_lo
	v_cmpx_gt_u32_e32 8, v14
; %bb.1799:                             ;   in Loop: Header=BB314_16 Depth=1
	v_ffbh_u32_e32 v12, v12
	v_min_u32_e32 v14, 32, v12
	v_subrev_nc_u32_e32 v12, 28, v14
	v_lshlrev_b64 v[12:13], v12, v[7:8]
	v_sub_nc_u32_e32 v13, 29, v14
	v_and_b32_e32 v12, 7, v12
; %bb.1800:                             ;   in Loop: Header=BB314_16 Depth=1
	s_or_b32 exec_lo, exec_lo, s28
	v_lshlrev_b32_e32 v7, 8, v7
	v_lshl_add_u32 v13, v13, 10, 0x2000
	v_lshlrev_b32_e32 v12, 7, v12
	v_and_b32_e32 v7, 0x8000, v7
	v_and_b32_e32 v13, 0xfc00, v13
	v_or3_b32 v72, v7, v13, v12
.LBB314_1801:                           ;   in Loop: Header=BB314_16 Depth=1
	s_or_b32 exec_lo, exec_lo, s27
.LBB314_1802:                           ;   in Loop: Header=BB314_16 Depth=1
	s_or_b32 exec_lo, exec_lo, s26
.LBB314_1803:                           ;   in Loop: Header=BB314_16 Depth=1
	s_or_b32 exec_lo, exec_lo, s25
	v_mov_b32_e32 v23, 0
	v_mov_b32_e32 v75, 0
	s_mov_b32 s25, exec_lo
	v_cmpx_lt_u64_e64 s[20:21], v[33:34]
	s_cbranch_execz .LBB314_1811
; %bb.1804:                             ;   in Loop: Header=BB314_16 Depth=1
	v_lshrrev_b32_e32 v7, 24, v34
	v_bfrev_b32_e32 v75, 1
	s_mov_b32 s26, exec_lo
	v_cmpx_ne_u32_e32 0x80, v7
	s_cbranch_execz .LBB314_1810
; %bb.1805:                             ;   in Loop: Header=BB314_16 Depth=1
	v_and_b32_e32 v14, 0x7f, v7
	v_mov_b32_e32 v75, 0x7c010000
	s_mov_b32 s27, exec_lo
	v_cmpx_ne_u32_e32 0x7f, v14
	s_cbranch_execz .LBB314_1809
; %bb.1806:                             ;   in Loop: Header=BB314_16 Depth=1
	v_and_b32_e32 v12, 7, v7
	v_lshrrev_b32_e32 v13, 3, v14
	s_mov_b32 s28, exec_lo
	v_cmpx_gt_u32_e32 8, v14
; %bb.1807:                             ;   in Loop: Header=BB314_16 Depth=1
	v_ffbh_u32_e32 v12, v12
	v_min_u32_e32 v14, 32, v12
	v_subrev_nc_u32_e32 v12, 28, v14
	v_lshlrev_b64 v[12:13], v12, v[7:8]
	v_sub_nc_u32_e32 v13, 29, v14
	v_and_b32_e32 v12, 7, v12
; %bb.1808:                             ;   in Loop: Header=BB314_16 Depth=1
	s_or_b32 exec_lo, exec_lo, s28
	v_lshlrev_b32_e32 v7, 8, v7
	v_lshl_add_u32 v13, v13, 10, 0x2000
	v_lshlrev_b32_e32 v12, 23, v12
	v_and_or_b32 v7, 0x8000, v7, v13
	v_lshl_or_b32 v75, v7, 16, v12
.LBB314_1809:                           ;   in Loop: Header=BB314_16 Depth=1
	s_or_b32 exec_lo, exec_lo, s27
.LBB314_1810:                           ;   in Loop: Header=BB314_16 Depth=1
	s_or_b32 exec_lo, exec_lo, s26
.LBB314_1811:                           ;   in Loop: Header=BB314_16 Depth=1
	s_or_b32 exec_lo, exec_lo, s25
	flat_load_dwordx2 v[33:34], v[31:32] offset:1024
	s_waitcnt vmcnt(0) lgkmcnt(0)
	v_cmp_ne_u16_sdwa s5, v33, v8 src0_sel:BYTE_0 src1_sel:DWORD
	s_and_saveexec_b32 s25, s5
	s_cbranch_execz .LBB314_1819
; %bb.1812:                             ;   in Loop: Header=BB314_16 Depth=1
	v_cmp_ne_u16_sdwa s5, v33, v70 src0_sel:BYTE_0 src1_sel:DWORD
	v_mov_b32_e32 v23, 0x8000
	s_and_saveexec_b32 s26, s5
	s_cbranch_execz .LBB314_1818
; %bb.1813:                             ;   in Loop: Header=BB314_16 Depth=1
	v_and_b32_e32 v13, 0x7f, v33
	v_mov_b32_e32 v23, 0x7c01
	s_mov_b32 s27, exec_lo
	v_cmpx_ne_u32_e32 0x7f, v13
	s_cbranch_execz .LBB314_1817
; %bb.1814:                             ;   in Loop: Header=BB314_16 Depth=1
	v_and_b32_e32 v7, 7, v33
	v_lshrrev_b32_e32 v12, 3, v13
	s_mov_b32 s28, exec_lo
	v_cmpx_gt_u32_e32 8, v13
; %bb.1815:                             ;   in Loop: Header=BB314_16 Depth=1
	v_ffbh_u32_e32 v7, v7
	v_min_u32_e32 v7, 32, v7
	v_subrev_nc_u32_e32 v12, 28, v7
	v_lshlrev_b64 v[13:14], v12, v[33:34]
	v_sub_nc_u32_e32 v12, 29, v7
	v_and_b32_e32 v7, 7, v13
; %bb.1816:                             ;   in Loop: Header=BB314_16 Depth=1
	s_or_b32 exec_lo, exec_lo, s28
	v_lshlrev_b32_e32 v13, 8, v33
	v_lshl_add_u32 v12, v12, 10, 0x2000
	v_lshlrev_b32_e32 v7, 7, v7
	v_and_b32_e32 v13, 0x8000, v13
	v_and_b32_e32 v12, 0xfc00, v12
	v_or3_b32 v23, v13, v12, v7
.LBB314_1817:                           ;   in Loop: Header=BB314_16 Depth=1
	s_or_b32 exec_lo, exec_lo, s27
.LBB314_1818:                           ;   in Loop: Header=BB314_16 Depth=1
	s_or_b32 exec_lo, exec_lo, s26
.LBB314_1819:                           ;   in Loop: Header=BB314_16 Depth=1
	s_or_b32 exec_lo, exec_lo, s25
	v_lshrrev_b16 v7, 8, v33
	v_mov_b32_e32 v101, 0
	v_mov_b32_e32 v105, 0
	s_mov_b32 s25, exec_lo
	v_cmpx_ne_u16_e32 0, v7
	s_cbranch_execz .LBB314_1827
; %bb.1820:                             ;   in Loop: Header=BB314_16 Depth=1
	v_bfrev_b32_e32 v105, 1
	s_mov_b32 s26, exec_lo
	v_cmpx_ne_u16_e32 0x80, v7
	s_cbranch_execz .LBB314_1826
; %bb.1821:                             ;   in Loop: Header=BB314_16 Depth=1
	v_mov_b32_e32 v12, 0x7f
	v_mov_b32_e32 v105, 0x7c010000
	s_mov_b32 s27, exec_lo
	v_and_b32_sdwa v14, v7, v12 dst_sel:DWORD dst_unused:UNUSED_PAD src0_sel:WORD_0 src1_sel:DWORD
	v_cmpx_ne_u32_e32 0x7f, v14
	s_cbranch_execz .LBB314_1825
; %bb.1822:                             ;   in Loop: Header=BB314_16 Depth=1
	v_mov_b32_e32 v12, 7
	v_lshrrev_b32_e32 v13, 3, v14
	s_mov_b32 s28, exec_lo
	v_and_b32_sdwa v12, v7, v12 dst_sel:DWORD dst_unused:UNUSED_PAD src0_sel:WORD_0 src1_sel:DWORD
	v_cmpx_gt_u32_e32 8, v14
; %bb.1823:                             ;   in Loop: Header=BB314_16 Depth=1
	v_ffbh_u32_e32 v12, v12
	v_min_u32_e32 v14, 32, v12
	v_subrev_nc_u32_e32 v12, 28, v14
	v_lshlrev_b64 v[12:13], v12, v[7:8]
	v_sub_nc_u32_e32 v13, 29, v14
	v_and_b32_e32 v12, 7, v12
; %bb.1824:                             ;   in Loop: Header=BB314_16 Depth=1
	s_or_b32 exec_lo, exec_lo, s28
	v_mov_b32_e32 v14, 8
	v_lshl_add_u32 v13, v13, 10, 0x2000
	v_lshlrev_b32_e32 v12, 23, v12
	v_lshlrev_b32_sdwa v7, v14, v7 dst_sel:DWORD dst_unused:UNUSED_PAD src0_sel:DWORD src1_sel:WORD_0
	v_and_or_b32 v7, 0x8000, v7, v13
	v_lshl_or_b32 v105, v7, 16, v12
.LBB314_1825:                           ;   in Loop: Header=BB314_16 Depth=1
	s_or_b32 exec_lo, exec_lo, s27
.LBB314_1826:                           ;   in Loop: Header=BB314_16 Depth=1
	s_or_b32 exec_lo, exec_lo, s26
.LBB314_1827:                           ;   in Loop: Header=BB314_16 Depth=1
	s_or_b32 exec_lo, exec_lo, s25
	v_lshrrev_b32_e32 v7, 16, v33
	v_cmp_ne_u16_sdwa s5, v7, v8 src0_sel:BYTE_0 src1_sel:DWORD
	s_and_saveexec_b32 s25, s5
	s_cbranch_execz .LBB314_1835
; %bb.1828:                             ;   in Loop: Header=BB314_16 Depth=1
	v_cmp_ne_u16_sdwa s5, v7, v70 src0_sel:BYTE_0 src1_sel:DWORD
	v_mov_b32_e32 v101, 0x8000
	s_and_saveexec_b32 s26, s5
	s_cbranch_execz .LBB314_1834
; %bb.1829:                             ;   in Loop: Header=BB314_16 Depth=1
	v_bfe_u32 v14, v33, 16, 7
	v_mov_b32_e32 v101, 0x7c01
	s_mov_b32 s27, exec_lo
	v_cmpx_ne_u32_e32 0x7f, v14
	s_cbranch_execz .LBB314_1833
; %bb.1830:                             ;   in Loop: Header=BB314_16 Depth=1
	v_and_b32_e32 v12, 7, v7
	v_lshrrev_b32_e32 v13, 3, v14
	s_mov_b32 s28, exec_lo
	v_cmpx_gt_u32_e32 8, v14
; %bb.1831:                             ;   in Loop: Header=BB314_16 Depth=1
	v_ffbh_u32_e32 v12, v12
	v_min_u32_e32 v14, 32, v12
	v_subrev_nc_u32_e32 v12, 28, v14
	v_lshlrev_b64 v[12:13], v12, v[7:8]
	v_sub_nc_u32_e32 v13, 29, v14
	v_and_b32_e32 v12, 7, v12
; %bb.1832:                             ;   in Loop: Header=BB314_16 Depth=1
	s_or_b32 exec_lo, exec_lo, s28
	v_lshlrev_b32_e32 v7, 8, v7
	v_lshl_add_u32 v13, v13, 10, 0x2000
	v_lshlrev_b32_e32 v12, 7, v12
	v_and_b32_e32 v7, 0x8000, v7
	v_and_b32_e32 v13, 0xfc00, v13
	v_or3_b32 v101, v7, v13, v12
.LBB314_1833:                           ;   in Loop: Header=BB314_16 Depth=1
	s_or_b32 exec_lo, exec_lo, s27
.LBB314_1834:                           ;   in Loop: Header=BB314_16 Depth=1
	s_or_b32 exec_lo, exec_lo, s26
.LBB314_1835:                           ;   in Loop: Header=BB314_16 Depth=1
	s_or_b32 exec_lo, exec_lo, s25
	v_mov_b32_e32 v119, 0
	v_mov_b32_e32 v64, 0
	s_mov_b32 s25, exec_lo
	v_cmpx_lt_u32_e32 0xffffff, v33
	s_cbranch_execz .LBB314_1843
; %bb.1836:                             ;   in Loop: Header=BB314_16 Depth=1
	v_lshrrev_b32_e32 v7, 24, v33
	v_bfrev_b32_e32 v64, 1
	s_mov_b32 s26, exec_lo
	v_cmpx_ne_u32_e32 0x80, v7
	s_cbranch_execz .LBB314_1842
; %bb.1837:                             ;   in Loop: Header=BB314_16 Depth=1
	v_and_b32_e32 v14, 0x7f, v7
	v_mov_b32_e32 v64, 0x7c010000
	s_mov_b32 s27, exec_lo
	v_cmpx_ne_u32_e32 0x7f, v14
	s_cbranch_execz .LBB314_1841
; %bb.1838:                             ;   in Loop: Header=BB314_16 Depth=1
	v_and_b32_e32 v12, 7, v7
	v_lshrrev_b32_e32 v13, 3, v14
	s_mov_b32 s28, exec_lo
	v_cmpx_gt_u32_e32 8, v14
; %bb.1839:                             ;   in Loop: Header=BB314_16 Depth=1
	v_ffbh_u32_e32 v12, v12
	v_min_u32_e32 v14, 32, v12
	v_subrev_nc_u32_e32 v12, 28, v14
	v_lshlrev_b64 v[12:13], v12, v[7:8]
	v_sub_nc_u32_e32 v13, 29, v14
	v_and_b32_e32 v12, 7, v12
; %bb.1840:                             ;   in Loop: Header=BB314_16 Depth=1
	s_or_b32 exec_lo, exec_lo, s28
	v_lshlrev_b32_e32 v7, 8, v7
	v_lshl_add_u32 v13, v13, 10, 0x2000
	v_lshlrev_b32_e32 v12, 23, v12
	v_and_or_b32 v7, 0x8000, v7, v13
	v_lshl_or_b32 v64, v7, 16, v12
.LBB314_1841:                           ;   in Loop: Header=BB314_16 Depth=1
	s_or_b32 exec_lo, exec_lo, s27
.LBB314_1842:                           ;   in Loop: Header=BB314_16 Depth=1
	s_or_b32 exec_lo, exec_lo, s26
.LBB314_1843:                           ;   in Loop: Header=BB314_16 Depth=1
	s_or_b32 exec_lo, exec_lo, s25
	v_mov_b32_e32 v7, v34
	v_cmp_ne_u16_sdwa s5, v34, v8 src0_sel:BYTE_0 src1_sel:DWORD
	s_and_saveexec_b32 s25, s5
	s_cbranch_execz .LBB314_1851
; %bb.1844:                             ;   in Loop: Header=BB314_16 Depth=1
	v_cmp_ne_u16_sdwa s5, v34, v70 src0_sel:BYTE_0 src1_sel:DWORD
	v_mov_b32_e32 v119, 0x8000
	s_and_saveexec_b32 s26, s5
	s_cbranch_execz .LBB314_1850
; %bb.1845:                             ;   in Loop: Header=BB314_16 Depth=1
	v_and_b32_e32 v14, 0x7f, v34
	v_mov_b32_e32 v119, 0x7c01
	s_mov_b32 s27, exec_lo
	v_cmpx_ne_u32_e32 0x7f, v14
	s_cbranch_execz .LBB314_1849
; %bb.1846:                             ;   in Loop: Header=BB314_16 Depth=1
	v_and_b32_e32 v12, 7, v34
	v_lshrrev_b32_e32 v13, 3, v14
	s_mov_b32 s28, exec_lo
	v_cmpx_gt_u32_e32 8, v14
; %bb.1847:                             ;   in Loop: Header=BB314_16 Depth=1
	v_ffbh_u32_e32 v12, v12
	v_min_u32_e32 v14, 32, v12
	v_subrev_nc_u32_e32 v12, 28, v14
	v_lshlrev_b64 v[12:13], v12, v[7:8]
	v_sub_nc_u32_e32 v13, 29, v14
	v_and_b32_e32 v12, 7, v12
; %bb.1848:                             ;   in Loop: Header=BB314_16 Depth=1
	s_or_b32 exec_lo, exec_lo, s28
	v_lshlrev_b32_e32 v14, 8, v34
	v_lshl_add_u32 v13, v13, 10, 0x2000
	v_lshlrev_b32_e32 v12, 7, v12
	v_and_b32_e32 v14, 0x8000, v14
	v_and_b32_e32 v13, 0xfc00, v13
	v_or3_b32 v119, v14, v13, v12
.LBB314_1849:                           ;   in Loop: Header=BB314_16 Depth=1
	s_or_b32 exec_lo, exec_lo, s27
.LBB314_1850:                           ;   in Loop: Header=BB314_16 Depth=1
	s_or_b32 exec_lo, exec_lo, s26
.LBB314_1851:                           ;   in Loop: Header=BB314_16 Depth=1
	s_or_b32 exec_lo, exec_lo, s25
	v_lshrrev_b16 v7, 8, v7
	v_mov_b32_e32 v67, 0
	v_mov_b32_e32 v50, 0
	s_mov_b32 s25, exec_lo
	v_cmpx_ne_u16_e32 0, v7
	s_cbranch_execz .LBB314_1859
; %bb.1852:                             ;   in Loop: Header=BB314_16 Depth=1
	v_bfrev_b32_e32 v50, 1
	s_mov_b32 s26, exec_lo
	v_cmpx_ne_u16_e32 0x80, v7
	s_cbranch_execz .LBB314_1858
; %bb.1853:                             ;   in Loop: Header=BB314_16 Depth=1
	v_mov_b32_e32 v12, 0x7f
	v_mov_b32_e32 v50, 0x7c010000
	s_mov_b32 s27, exec_lo
	v_and_b32_sdwa v14, v7, v12 dst_sel:DWORD dst_unused:UNUSED_PAD src0_sel:WORD_0 src1_sel:DWORD
	v_cmpx_ne_u32_e32 0x7f, v14
	s_cbranch_execz .LBB314_1857
; %bb.1854:                             ;   in Loop: Header=BB314_16 Depth=1
	v_mov_b32_e32 v12, 7
	v_lshrrev_b32_e32 v13, 3, v14
	s_mov_b32 s28, exec_lo
	v_and_b32_sdwa v12, v7, v12 dst_sel:DWORD dst_unused:UNUSED_PAD src0_sel:WORD_0 src1_sel:DWORD
	v_cmpx_gt_u32_e32 8, v14
; %bb.1855:                             ;   in Loop: Header=BB314_16 Depth=1
	v_ffbh_u32_e32 v12, v12
	v_min_u32_e32 v14, 32, v12
	v_subrev_nc_u32_e32 v12, 28, v14
	v_lshlrev_b64 v[12:13], v12, v[7:8]
	v_sub_nc_u32_e32 v13, 29, v14
	v_and_b32_e32 v12, 7, v12
; %bb.1856:                             ;   in Loop: Header=BB314_16 Depth=1
	s_or_b32 exec_lo, exec_lo, s28
	v_mov_b32_e32 v14, 8
	v_lshl_add_u32 v13, v13, 10, 0x2000
	v_lshlrev_b32_e32 v12, 23, v12
	v_lshlrev_b32_sdwa v7, v14, v7 dst_sel:DWORD dst_unused:UNUSED_PAD src0_sel:DWORD src1_sel:WORD_0
	v_and_or_b32 v7, 0x8000, v7, v13
	v_lshl_or_b32 v50, v7, 16, v12
.LBB314_1857:                           ;   in Loop: Header=BB314_16 Depth=1
	s_or_b32 exec_lo, exec_lo, s27
.LBB314_1858:                           ;   in Loop: Header=BB314_16 Depth=1
	s_or_b32 exec_lo, exec_lo, s26
.LBB314_1859:                           ;   in Loop: Header=BB314_16 Depth=1
	s_or_b32 exec_lo, exec_lo, s25
	v_lshrrev_b32_e32 v7, 16, v34
	v_cmp_ne_u16_sdwa s5, v7, v8 src0_sel:BYTE_0 src1_sel:DWORD
	s_and_saveexec_b32 s25, s5
	s_cbranch_execz .LBB314_1867
; %bb.1860:                             ;   in Loop: Header=BB314_16 Depth=1
	v_cmp_ne_u16_sdwa s5, v7, v70 src0_sel:BYTE_0 src1_sel:DWORD
	v_mov_b32_e32 v67, 0x8000
	s_and_saveexec_b32 s26, s5
	s_cbranch_execz .LBB314_1866
; %bb.1861:                             ;   in Loop: Header=BB314_16 Depth=1
	v_bfe_u32 v14, v34, 16, 7
	v_mov_b32_e32 v67, 0x7c01
	s_mov_b32 s27, exec_lo
	v_cmpx_ne_u32_e32 0x7f, v14
	s_cbranch_execz .LBB314_1865
; %bb.1862:                             ;   in Loop: Header=BB314_16 Depth=1
	v_and_b32_e32 v12, 7, v7
	v_lshrrev_b32_e32 v13, 3, v14
	s_mov_b32 s28, exec_lo
	v_cmpx_gt_u32_e32 8, v14
; %bb.1863:                             ;   in Loop: Header=BB314_16 Depth=1
	v_ffbh_u32_e32 v12, v12
	v_min_u32_e32 v14, 32, v12
	v_subrev_nc_u32_e32 v12, 28, v14
	v_lshlrev_b64 v[12:13], v12, v[7:8]
	v_sub_nc_u32_e32 v13, 29, v14
	v_and_b32_e32 v12, 7, v12
; %bb.1864:                             ;   in Loop: Header=BB314_16 Depth=1
	s_or_b32 exec_lo, exec_lo, s28
	v_lshlrev_b32_e32 v7, 8, v7
	v_lshl_add_u32 v13, v13, 10, 0x2000
	v_lshlrev_b32_e32 v12, 7, v12
	v_and_b32_e32 v7, 0x8000, v7
	v_and_b32_e32 v13, 0xfc00, v13
	v_or3_b32 v67, v7, v13, v12
.LBB314_1865:                           ;   in Loop: Header=BB314_16 Depth=1
	s_or_b32 exec_lo, exec_lo, s27
.LBB314_1866:                           ;   in Loop: Header=BB314_16 Depth=1
	s_or_b32 exec_lo, exec_lo, s26
.LBB314_1867:                           ;   in Loop: Header=BB314_16 Depth=1
	s_or_b32 exec_lo, exec_lo, s25
	v_mov_b32_e32 v89, 0
	v_mov_b32_e32 v41, 0
	s_mov_b32 s25, exec_lo
	v_cmpx_lt_u64_e64 s[20:21], v[33:34]
	s_cbranch_execz .LBB314_1875
; %bb.1868:                             ;   in Loop: Header=BB314_16 Depth=1
	v_lshrrev_b32_e32 v7, 24, v34
	v_bfrev_b32_e32 v41, 1
	s_mov_b32 s26, exec_lo
	v_cmpx_ne_u32_e32 0x80, v7
	s_cbranch_execz .LBB314_1874
; %bb.1869:                             ;   in Loop: Header=BB314_16 Depth=1
	v_and_b32_e32 v14, 0x7f, v7
	v_mov_b32_e32 v41, 0x7c010000
	s_mov_b32 s27, exec_lo
	v_cmpx_ne_u32_e32 0x7f, v14
	s_cbranch_execz .LBB314_1873
; %bb.1870:                             ;   in Loop: Header=BB314_16 Depth=1
	v_and_b32_e32 v12, 7, v7
	v_lshrrev_b32_e32 v13, 3, v14
	s_mov_b32 s28, exec_lo
	v_cmpx_gt_u32_e32 8, v14
; %bb.1871:                             ;   in Loop: Header=BB314_16 Depth=1
	v_ffbh_u32_e32 v12, v12
	v_min_u32_e32 v14, 32, v12
	v_subrev_nc_u32_e32 v12, 28, v14
	v_lshlrev_b64 v[12:13], v12, v[7:8]
	v_sub_nc_u32_e32 v13, 29, v14
	v_and_b32_e32 v12, 7, v12
; %bb.1872:                             ;   in Loop: Header=BB314_16 Depth=1
	s_or_b32 exec_lo, exec_lo, s28
	v_lshlrev_b32_e32 v7, 8, v7
	v_lshl_add_u32 v13, v13, 10, 0x2000
	v_lshlrev_b32_e32 v12, 23, v12
	v_and_or_b32 v7, 0x8000, v7, v13
	v_lshl_or_b32 v41, v7, 16, v12
.LBB314_1873:                           ;   in Loop: Header=BB314_16 Depth=1
	s_or_b32 exec_lo, exec_lo, s27
.LBB314_1874:                           ;   in Loop: Header=BB314_16 Depth=1
	s_or_b32 exec_lo, exec_lo, s26
.LBB314_1875:                           ;   in Loop: Header=BB314_16 Depth=1
	s_or_b32 exec_lo, exec_lo, s25
	flat_load_dwordx2 v[33:34], v[31:32] offset:1032
	s_waitcnt vmcnt(0) lgkmcnt(0)
	v_cmp_ne_u16_sdwa s5, v33, v8 src0_sel:BYTE_0 src1_sel:DWORD
	s_and_saveexec_b32 s25, s5
	s_cbranch_execz .LBB314_1883
; %bb.1876:                             ;   in Loop: Header=BB314_16 Depth=1
	v_cmp_ne_u16_sdwa s5, v33, v70 src0_sel:BYTE_0 src1_sel:DWORD
	v_mov_b32_e32 v89, 0x8000
	s_and_saveexec_b32 s26, s5
	s_cbranch_execz .LBB314_1882
; %bb.1877:                             ;   in Loop: Header=BB314_16 Depth=1
	v_and_b32_e32 v13, 0x7f, v33
	v_mov_b32_e32 v89, 0x7c01
	s_mov_b32 s27, exec_lo
	v_cmpx_ne_u32_e32 0x7f, v13
	s_cbranch_execz .LBB314_1881
; %bb.1878:                             ;   in Loop: Header=BB314_16 Depth=1
	v_and_b32_e32 v7, 7, v33
	v_lshrrev_b32_e32 v12, 3, v13
	s_mov_b32 s28, exec_lo
	v_cmpx_gt_u32_e32 8, v13
; %bb.1879:                             ;   in Loop: Header=BB314_16 Depth=1
	v_ffbh_u32_e32 v7, v7
	v_min_u32_e32 v7, 32, v7
	v_subrev_nc_u32_e32 v12, 28, v7
	v_lshlrev_b64 v[13:14], v12, v[33:34]
	v_sub_nc_u32_e32 v12, 29, v7
	v_and_b32_e32 v7, 7, v13
; %bb.1880:                             ;   in Loop: Header=BB314_16 Depth=1
	s_or_b32 exec_lo, exec_lo, s28
	v_lshlrev_b32_e32 v13, 8, v33
	v_lshl_add_u32 v12, v12, 10, 0x2000
	v_lshlrev_b32_e32 v7, 7, v7
	v_and_b32_e32 v13, 0x8000, v13
	v_and_b32_e32 v12, 0xfc00, v12
	v_or3_b32 v89, v13, v12, v7
.LBB314_1881:                           ;   in Loop: Header=BB314_16 Depth=1
	s_or_b32 exec_lo, exec_lo, s27
.LBB314_1882:                           ;   in Loop: Header=BB314_16 Depth=1
	s_or_b32 exec_lo, exec_lo, s26
.LBB314_1883:                           ;   in Loop: Header=BB314_16 Depth=1
	s_or_b32 exec_lo, exec_lo, s25
	v_lshrrev_b16 v7, 8, v33
	v_mov_b32_e32 v84, 0
	v_mov_b32_e32 v112, 0
	s_mov_b32 s25, exec_lo
	v_cmpx_ne_u16_e32 0, v7
	s_cbranch_execz .LBB314_1891
; %bb.1884:                             ;   in Loop: Header=BB314_16 Depth=1
	v_bfrev_b32_e32 v112, 1
	s_mov_b32 s26, exec_lo
	v_cmpx_ne_u16_e32 0x80, v7
	s_cbranch_execz .LBB314_1890
; %bb.1885:                             ;   in Loop: Header=BB314_16 Depth=1
	v_mov_b32_e32 v12, 0x7f
	v_mov_b32_e32 v112, 0x7c010000
	s_mov_b32 s27, exec_lo
	v_and_b32_sdwa v14, v7, v12 dst_sel:DWORD dst_unused:UNUSED_PAD src0_sel:WORD_0 src1_sel:DWORD
	v_cmpx_ne_u32_e32 0x7f, v14
	s_cbranch_execz .LBB314_1889
; %bb.1886:                             ;   in Loop: Header=BB314_16 Depth=1
	v_mov_b32_e32 v12, 7
	v_lshrrev_b32_e32 v13, 3, v14
	s_mov_b32 s28, exec_lo
	v_and_b32_sdwa v12, v7, v12 dst_sel:DWORD dst_unused:UNUSED_PAD src0_sel:WORD_0 src1_sel:DWORD
	v_cmpx_gt_u32_e32 8, v14
; %bb.1887:                             ;   in Loop: Header=BB314_16 Depth=1
	v_ffbh_u32_e32 v12, v12
	v_min_u32_e32 v14, 32, v12
	v_subrev_nc_u32_e32 v12, 28, v14
	v_lshlrev_b64 v[12:13], v12, v[7:8]
	v_sub_nc_u32_e32 v13, 29, v14
	v_and_b32_e32 v12, 7, v12
; %bb.1888:                             ;   in Loop: Header=BB314_16 Depth=1
	s_or_b32 exec_lo, exec_lo, s28
	v_mov_b32_e32 v14, 8
	v_lshl_add_u32 v13, v13, 10, 0x2000
	v_lshlrev_b32_e32 v12, 23, v12
	v_lshlrev_b32_sdwa v7, v14, v7 dst_sel:DWORD dst_unused:UNUSED_PAD src0_sel:DWORD src1_sel:WORD_0
	v_and_or_b32 v7, 0x8000, v7, v13
	v_lshl_or_b32 v112, v7, 16, v12
.LBB314_1889:                           ;   in Loop: Header=BB314_16 Depth=1
	s_or_b32 exec_lo, exec_lo, s27
.LBB314_1890:                           ;   in Loop: Header=BB314_16 Depth=1
	s_or_b32 exec_lo, exec_lo, s26
.LBB314_1891:                           ;   in Loop: Header=BB314_16 Depth=1
	s_or_b32 exec_lo, exec_lo, s25
	v_lshrrev_b32_e32 v7, 16, v33
	v_cmp_ne_u16_sdwa s5, v7, v8 src0_sel:BYTE_0 src1_sel:DWORD
	s_and_saveexec_b32 s25, s5
	s_cbranch_execz .LBB314_1899
; %bb.1892:                             ;   in Loop: Header=BB314_16 Depth=1
	v_cmp_ne_u16_sdwa s5, v7, v70 src0_sel:BYTE_0 src1_sel:DWORD
	v_mov_b32_e32 v84, 0x8000
	s_and_saveexec_b32 s26, s5
	s_cbranch_execz .LBB314_1898
; %bb.1893:                             ;   in Loop: Header=BB314_16 Depth=1
	v_bfe_u32 v14, v33, 16, 7
	v_mov_b32_e32 v84, 0x7c01
	s_mov_b32 s27, exec_lo
	v_cmpx_ne_u32_e32 0x7f, v14
	s_cbranch_execz .LBB314_1897
; %bb.1894:                             ;   in Loop: Header=BB314_16 Depth=1
	v_and_b32_e32 v12, 7, v7
	v_lshrrev_b32_e32 v13, 3, v14
	s_mov_b32 s28, exec_lo
	v_cmpx_gt_u32_e32 8, v14
; %bb.1895:                             ;   in Loop: Header=BB314_16 Depth=1
	v_ffbh_u32_e32 v12, v12
	v_min_u32_e32 v14, 32, v12
	v_subrev_nc_u32_e32 v12, 28, v14
	v_lshlrev_b64 v[12:13], v12, v[7:8]
	v_sub_nc_u32_e32 v13, 29, v14
	v_and_b32_e32 v12, 7, v12
; %bb.1896:                             ;   in Loop: Header=BB314_16 Depth=1
	s_or_b32 exec_lo, exec_lo, s28
	v_lshlrev_b32_e32 v7, 8, v7
	v_lshl_add_u32 v13, v13, 10, 0x2000
	v_lshlrev_b32_e32 v12, 7, v12
	v_and_b32_e32 v7, 0x8000, v7
	v_and_b32_e32 v13, 0xfc00, v13
	v_or3_b32 v84, v7, v13, v12
.LBB314_1897:                           ;   in Loop: Header=BB314_16 Depth=1
	s_or_b32 exec_lo, exec_lo, s27
.LBB314_1898:                           ;   in Loop: Header=BB314_16 Depth=1
	s_or_b32 exec_lo, exec_lo, s26
.LBB314_1899:                           ;   in Loop: Header=BB314_16 Depth=1
	s_or_b32 exec_lo, exec_lo, s25
	v_mov_b32_e32 v116, 0
	v_mov_b32_e32 v59, 0
	s_mov_b32 s25, exec_lo
	v_cmpx_lt_u32_e32 0xffffff, v33
	s_cbranch_execz .LBB314_1907
; %bb.1900:                             ;   in Loop: Header=BB314_16 Depth=1
	v_lshrrev_b32_e32 v7, 24, v33
	v_bfrev_b32_e32 v59, 1
	s_mov_b32 s26, exec_lo
	v_cmpx_ne_u32_e32 0x80, v7
	s_cbranch_execz .LBB314_1906
; %bb.1901:                             ;   in Loop: Header=BB314_16 Depth=1
	v_and_b32_e32 v14, 0x7f, v7
	v_mov_b32_e32 v59, 0x7c010000
	s_mov_b32 s27, exec_lo
	v_cmpx_ne_u32_e32 0x7f, v14
	s_cbranch_execz .LBB314_1905
; %bb.1902:                             ;   in Loop: Header=BB314_16 Depth=1
	v_and_b32_e32 v12, 7, v7
	v_lshrrev_b32_e32 v13, 3, v14
	s_mov_b32 s28, exec_lo
	v_cmpx_gt_u32_e32 8, v14
; %bb.1903:                             ;   in Loop: Header=BB314_16 Depth=1
	v_ffbh_u32_e32 v12, v12
	v_min_u32_e32 v14, 32, v12
	v_subrev_nc_u32_e32 v12, 28, v14
	v_lshlrev_b64 v[12:13], v12, v[7:8]
	v_sub_nc_u32_e32 v13, 29, v14
	v_and_b32_e32 v12, 7, v12
; %bb.1904:                             ;   in Loop: Header=BB314_16 Depth=1
	s_or_b32 exec_lo, exec_lo, s28
	v_lshlrev_b32_e32 v7, 8, v7
	v_lshl_add_u32 v13, v13, 10, 0x2000
	v_lshlrev_b32_e32 v12, 23, v12
	v_and_or_b32 v7, 0x8000, v7, v13
	v_lshl_or_b32 v59, v7, 16, v12
.LBB314_1905:                           ;   in Loop: Header=BB314_16 Depth=1
	s_or_b32 exec_lo, exec_lo, s27
.LBB314_1906:                           ;   in Loop: Header=BB314_16 Depth=1
	s_or_b32 exec_lo, exec_lo, s26
.LBB314_1907:                           ;   in Loop: Header=BB314_16 Depth=1
	s_or_b32 exec_lo, exec_lo, s25
	v_mov_b32_e32 v7, v34
	v_cmp_ne_u16_sdwa s5, v34, v8 src0_sel:BYTE_0 src1_sel:DWORD
	s_and_saveexec_b32 s25, s5
	s_cbranch_execz .LBB314_1915
; %bb.1908:                             ;   in Loop: Header=BB314_16 Depth=1
	v_cmp_ne_u16_sdwa s5, v34, v70 src0_sel:BYTE_0 src1_sel:DWORD
	v_mov_b32_e32 v116, 0x8000
	s_and_saveexec_b32 s26, s5
	s_cbranch_execz .LBB314_1914
; %bb.1909:                             ;   in Loop: Header=BB314_16 Depth=1
	v_and_b32_e32 v14, 0x7f, v34
	v_mov_b32_e32 v116, 0x7c01
	s_mov_b32 s27, exec_lo
	v_cmpx_ne_u32_e32 0x7f, v14
	s_cbranch_execz .LBB314_1913
; %bb.1910:                             ;   in Loop: Header=BB314_16 Depth=1
	v_and_b32_e32 v12, 7, v34
	v_lshrrev_b32_e32 v13, 3, v14
	s_mov_b32 s28, exec_lo
	v_cmpx_gt_u32_e32 8, v14
; %bb.1911:                             ;   in Loop: Header=BB314_16 Depth=1
	v_ffbh_u32_e32 v12, v12
	v_min_u32_e32 v14, 32, v12
	v_subrev_nc_u32_e32 v12, 28, v14
	v_lshlrev_b64 v[12:13], v12, v[7:8]
	v_sub_nc_u32_e32 v13, 29, v14
	v_and_b32_e32 v12, 7, v12
; %bb.1912:                             ;   in Loop: Header=BB314_16 Depth=1
	s_or_b32 exec_lo, exec_lo, s28
	v_lshlrev_b32_e32 v14, 8, v34
	v_lshl_add_u32 v13, v13, 10, 0x2000
	v_lshlrev_b32_e32 v12, 7, v12
	v_and_b32_e32 v14, 0x8000, v14
	v_and_b32_e32 v13, 0xfc00, v13
	v_or3_b32 v116, v14, v13, v12
.LBB314_1913:                           ;   in Loop: Header=BB314_16 Depth=1
	s_or_b32 exec_lo, exec_lo, s27
.LBB314_1914:                           ;   in Loop: Header=BB314_16 Depth=1
	s_or_b32 exec_lo, exec_lo, s26
.LBB314_1915:                           ;   in Loop: Header=BB314_16 Depth=1
	s_or_b32 exec_lo, exec_lo, s25
	v_lshrrev_b16 v7, 8, v7
	v_mov_b32_e32 v57, 0
	v_mov_b32_e32 v56, 0
	s_mov_b32 s25, exec_lo
	v_cmpx_ne_u16_e32 0, v7
	s_cbranch_execz .LBB314_1923
; %bb.1916:                             ;   in Loop: Header=BB314_16 Depth=1
	v_bfrev_b32_e32 v56, 1
	s_mov_b32 s26, exec_lo
	v_cmpx_ne_u16_e32 0x80, v7
	s_cbranch_execz .LBB314_1922
; %bb.1917:                             ;   in Loop: Header=BB314_16 Depth=1
	v_mov_b32_e32 v12, 0x7f
	v_mov_b32_e32 v56, 0x7c010000
	s_mov_b32 s27, exec_lo
	v_and_b32_sdwa v14, v7, v12 dst_sel:DWORD dst_unused:UNUSED_PAD src0_sel:WORD_0 src1_sel:DWORD
	v_cmpx_ne_u32_e32 0x7f, v14
	s_cbranch_execz .LBB314_1921
; %bb.1918:                             ;   in Loop: Header=BB314_16 Depth=1
	v_mov_b32_e32 v12, 7
	v_lshrrev_b32_e32 v13, 3, v14
	s_mov_b32 s28, exec_lo
	v_and_b32_sdwa v12, v7, v12 dst_sel:DWORD dst_unused:UNUSED_PAD src0_sel:WORD_0 src1_sel:DWORD
	v_cmpx_gt_u32_e32 8, v14
; %bb.1919:                             ;   in Loop: Header=BB314_16 Depth=1
	v_ffbh_u32_e32 v12, v12
	v_min_u32_e32 v14, 32, v12
	v_subrev_nc_u32_e32 v12, 28, v14
	v_lshlrev_b64 v[12:13], v12, v[7:8]
	v_sub_nc_u32_e32 v13, 29, v14
	v_and_b32_e32 v12, 7, v12
; %bb.1920:                             ;   in Loop: Header=BB314_16 Depth=1
	s_or_b32 exec_lo, exec_lo, s28
	v_mov_b32_e32 v14, 8
	v_lshl_add_u32 v13, v13, 10, 0x2000
	v_lshlrev_b32_e32 v12, 23, v12
	v_lshlrev_b32_sdwa v7, v14, v7 dst_sel:DWORD dst_unused:UNUSED_PAD src0_sel:DWORD src1_sel:WORD_0
	v_and_or_b32 v7, 0x8000, v7, v13
	v_lshl_or_b32 v56, v7, 16, v12
.LBB314_1921:                           ;   in Loop: Header=BB314_16 Depth=1
	s_or_b32 exec_lo, exec_lo, s27
.LBB314_1922:                           ;   in Loop: Header=BB314_16 Depth=1
	s_or_b32 exec_lo, exec_lo, s26
.LBB314_1923:                           ;   in Loop: Header=BB314_16 Depth=1
	s_or_b32 exec_lo, exec_lo, s25
	v_lshrrev_b32_e32 v7, 16, v34
	v_cmp_ne_u16_sdwa s5, v7, v8 src0_sel:BYTE_0 src1_sel:DWORD
	s_and_saveexec_b32 s25, s5
	s_cbranch_execz .LBB314_1931
; %bb.1924:                             ;   in Loop: Header=BB314_16 Depth=1
	v_cmp_ne_u16_sdwa s5, v7, v70 src0_sel:BYTE_0 src1_sel:DWORD
	v_mov_b32_e32 v57, 0x8000
	s_and_saveexec_b32 s26, s5
	s_cbranch_execz .LBB314_1930
; %bb.1925:                             ;   in Loop: Header=BB314_16 Depth=1
	v_bfe_u32 v14, v34, 16, 7
	v_mov_b32_e32 v57, 0x7c01
	s_mov_b32 s27, exec_lo
	v_cmpx_ne_u32_e32 0x7f, v14
	s_cbranch_execz .LBB314_1929
; %bb.1926:                             ;   in Loop: Header=BB314_16 Depth=1
	v_and_b32_e32 v12, 7, v7
	v_lshrrev_b32_e32 v13, 3, v14
	s_mov_b32 s28, exec_lo
	v_cmpx_gt_u32_e32 8, v14
; %bb.1927:                             ;   in Loop: Header=BB314_16 Depth=1
	v_ffbh_u32_e32 v12, v12
	v_min_u32_e32 v14, 32, v12
	v_subrev_nc_u32_e32 v12, 28, v14
	v_lshlrev_b64 v[12:13], v12, v[7:8]
	v_sub_nc_u32_e32 v13, 29, v14
	v_and_b32_e32 v12, 7, v12
; %bb.1928:                             ;   in Loop: Header=BB314_16 Depth=1
	s_or_b32 exec_lo, exec_lo, s28
	v_lshlrev_b32_e32 v7, 8, v7
	v_lshl_add_u32 v13, v13, 10, 0x2000
	v_lshlrev_b32_e32 v12, 7, v12
	v_and_b32_e32 v7, 0x8000, v7
	v_and_b32_e32 v13, 0xfc00, v13
	v_or3_b32 v57, v7, v13, v12
.LBB314_1929:                           ;   in Loop: Header=BB314_16 Depth=1
	s_or_b32 exec_lo, exec_lo, s27
.LBB314_1930:                           ;   in Loop: Header=BB314_16 Depth=1
	s_or_b32 exec_lo, exec_lo, s26
.LBB314_1931:                           ;   in Loop: Header=BB314_16 Depth=1
	s_or_b32 exec_lo, exec_lo, s25
	v_mov_b32_e32 v62, 0
	v_mov_b32_e32 v17, 0
	s_mov_b32 s25, exec_lo
	v_cmpx_lt_u64_e64 s[20:21], v[33:34]
	s_cbranch_execz .LBB314_1939
; %bb.1932:                             ;   in Loop: Header=BB314_16 Depth=1
	v_lshrrev_b32_e32 v7, 24, v34
	v_bfrev_b32_e32 v17, 1
	s_mov_b32 s26, exec_lo
	v_cmpx_ne_u32_e32 0x80, v7
	s_cbranch_execz .LBB314_1938
; %bb.1933:                             ;   in Loop: Header=BB314_16 Depth=1
	v_and_b32_e32 v14, 0x7f, v7
	v_mov_b32_e32 v17, 0x7c010000
	s_mov_b32 s27, exec_lo
	v_cmpx_ne_u32_e32 0x7f, v14
	s_cbranch_execz .LBB314_1937
; %bb.1934:                             ;   in Loop: Header=BB314_16 Depth=1
	v_and_b32_e32 v12, 7, v7
	v_lshrrev_b32_e32 v13, 3, v14
	s_mov_b32 s28, exec_lo
	v_cmpx_gt_u32_e32 8, v14
; %bb.1935:                             ;   in Loop: Header=BB314_16 Depth=1
	v_ffbh_u32_e32 v12, v12
	v_min_u32_e32 v14, 32, v12
	v_subrev_nc_u32_e32 v12, 28, v14
	v_lshlrev_b64 v[12:13], v12, v[7:8]
	v_sub_nc_u32_e32 v13, 29, v14
	v_and_b32_e32 v12, 7, v12
; %bb.1936:                             ;   in Loop: Header=BB314_16 Depth=1
	s_or_b32 exec_lo, exec_lo, s28
	v_lshlrev_b32_e32 v7, 8, v7
	v_lshl_add_u32 v13, v13, 10, 0x2000
	v_lshlrev_b32_e32 v12, 23, v12
	v_and_or_b32 v7, 0x8000, v7, v13
	v_lshl_or_b32 v17, v7, 16, v12
.LBB314_1937:                           ;   in Loop: Header=BB314_16 Depth=1
	s_or_b32 exec_lo, exec_lo, s27
.LBB314_1938:                           ;   in Loop: Header=BB314_16 Depth=1
	s_or_b32 exec_lo, exec_lo, s26
.LBB314_1939:                           ;   in Loop: Header=BB314_16 Depth=1
	s_or_b32 exec_lo, exec_lo, s25
	flat_load_dwordx2 v[33:34], v[31:32] offset:1536
	s_waitcnt vmcnt(0) lgkmcnt(0)
	v_cmp_ne_u16_sdwa s5, v33, v8 src0_sel:BYTE_0 src1_sel:DWORD
	s_and_saveexec_b32 s25, s5
	s_cbranch_execz .LBB314_1947
; %bb.1940:                             ;   in Loop: Header=BB314_16 Depth=1
	v_cmp_ne_u16_sdwa s5, v33, v70 src0_sel:BYTE_0 src1_sel:DWORD
	v_mov_b32_e32 v62, 0x8000
	s_and_saveexec_b32 s26, s5
	s_cbranch_execz .LBB314_1946
; %bb.1941:                             ;   in Loop: Header=BB314_16 Depth=1
	v_and_b32_e32 v13, 0x7f, v33
	v_mov_b32_e32 v62, 0x7c01
	s_mov_b32 s27, exec_lo
	v_cmpx_ne_u32_e32 0x7f, v13
	s_cbranch_execz .LBB314_1945
; %bb.1942:                             ;   in Loop: Header=BB314_16 Depth=1
	v_and_b32_e32 v7, 7, v33
	v_lshrrev_b32_e32 v12, 3, v13
	s_mov_b32 s28, exec_lo
	v_cmpx_gt_u32_e32 8, v13
; %bb.1943:                             ;   in Loop: Header=BB314_16 Depth=1
	v_ffbh_u32_e32 v7, v7
	v_min_u32_e32 v7, 32, v7
	v_subrev_nc_u32_e32 v12, 28, v7
	v_lshlrev_b64 v[13:14], v12, v[33:34]
	v_sub_nc_u32_e32 v12, 29, v7
	v_and_b32_e32 v7, 7, v13
; %bb.1944:                             ;   in Loop: Header=BB314_16 Depth=1
	s_or_b32 exec_lo, exec_lo, s28
	v_lshlrev_b32_e32 v13, 8, v33
	v_lshl_add_u32 v12, v12, 10, 0x2000
	v_lshlrev_b32_e32 v7, 7, v7
	v_and_b32_e32 v13, 0x8000, v13
	v_and_b32_e32 v12, 0xfc00, v12
	v_or3_b32 v62, v13, v12, v7
.LBB314_1945:                           ;   in Loop: Header=BB314_16 Depth=1
	s_or_b32 exec_lo, exec_lo, s27
.LBB314_1946:                           ;   in Loop: Header=BB314_16 Depth=1
	s_or_b32 exec_lo, exec_lo, s26
.LBB314_1947:                           ;   in Loop: Header=BB314_16 Depth=1
	s_or_b32 exec_lo, exec_lo, s25
	v_lshrrev_b16 v7, 8, v33
	v_mov_b32_e32 v126, 0
	v_mov_b32_e32 v12, 0
	s_mov_b32 s25, exec_lo
	v_cmpx_ne_u16_e32 0, v7
	s_cbranch_execz .LBB314_1955
; %bb.1948:                             ;   in Loop: Header=BB314_16 Depth=1
	v_bfrev_b32_e32 v12, 1
	s_mov_b32 s26, exec_lo
	v_cmpx_ne_u16_e32 0x80, v7
	s_cbranch_execz .LBB314_1954
; %bb.1949:                             ;   in Loop: Header=BB314_16 Depth=1
	v_mov_b32_e32 v12, 0x7f
	s_mov_b32 s27, exec_lo
	v_and_b32_sdwa v14, v7, v12 dst_sel:DWORD dst_unused:UNUSED_PAD src0_sel:WORD_0 src1_sel:DWORD
	v_mov_b32_e32 v12, 0x7c010000
	v_cmpx_ne_u32_e32 0x7f, v14
	s_cbranch_execz .LBB314_1953
; %bb.1950:                             ;   in Loop: Header=BB314_16 Depth=1
	v_mov_b32_e32 v12, 7
	v_lshrrev_b32_e32 v13, 3, v14
	s_mov_b32 s28, exec_lo
	v_and_b32_sdwa v12, v7, v12 dst_sel:DWORD dst_unused:UNUSED_PAD src0_sel:WORD_0 src1_sel:DWORD
	v_cmpx_gt_u32_e32 8, v14
; %bb.1951:                             ;   in Loop: Header=BB314_16 Depth=1
	v_ffbh_u32_e32 v12, v12
	v_min_u32_e32 v14, 32, v12
	v_subrev_nc_u32_e32 v12, 28, v14
	v_lshlrev_b64 v[12:13], v12, v[7:8]
	v_sub_nc_u32_e32 v13, 29, v14
	v_and_b32_e32 v12, 7, v12
; %bb.1952:                             ;   in Loop: Header=BB314_16 Depth=1
	s_or_b32 exec_lo, exec_lo, s28
	v_mov_b32_e32 v14, 8
	v_lshl_add_u32 v13, v13, 10, 0x2000
	v_lshlrev_b32_e32 v12, 23, v12
	v_lshlrev_b32_sdwa v7, v14, v7 dst_sel:DWORD dst_unused:UNUSED_PAD src0_sel:DWORD src1_sel:WORD_0
	v_and_or_b32 v7, 0x8000, v7, v13
	v_lshl_or_b32 v12, v7, 16, v12
.LBB314_1953:                           ;   in Loop: Header=BB314_16 Depth=1
	s_or_b32 exec_lo, exec_lo, s27
.LBB314_1954:                           ;   in Loop: Header=BB314_16 Depth=1
	s_or_b32 exec_lo, exec_lo, s26
.LBB314_1955:                           ;   in Loop: Header=BB314_16 Depth=1
	s_or_b32 exec_lo, exec_lo, s25
	v_lshrrev_b32_e32 v7, 16, v33
	v_cmp_ne_u16_sdwa s5, v7, v8 src0_sel:BYTE_0 src1_sel:DWORD
	s_and_saveexec_b32 s25, s5
	s_cbranch_execz .LBB314_1963
; %bb.1956:                             ;   in Loop: Header=BB314_16 Depth=1
	v_cmp_ne_u16_sdwa s5, v7, v70 src0_sel:BYTE_0 src1_sel:DWORD
	v_mov_b32_e32 v126, 0x8000
	s_and_saveexec_b32 s26, s5
	s_cbranch_execz .LBB314_1962
; %bb.1957:                             ;   in Loop: Header=BB314_16 Depth=1
	v_bfe_u32 v19, v33, 16, 7
	v_mov_b32_e32 v126, 0x7c01
	s_mov_b32 s27, exec_lo
	v_cmpx_ne_u32_e32 0x7f, v19
	s_cbranch_execz .LBB314_1961
; %bb.1958:                             ;   in Loop: Header=BB314_16 Depth=1
	v_and_b32_e32 v13, 7, v7
	v_lshrrev_b32_e32 v14, 3, v19
	s_mov_b32 s28, exec_lo
	v_cmpx_gt_u32_e32 8, v19
; %bb.1959:                             ;   in Loop: Header=BB314_16 Depth=1
	v_ffbh_u32_e32 v13, v13
	v_min_u32_e32 v19, 32, v13
	v_subrev_nc_u32_e32 v13, 28, v19
	v_lshlrev_b64 v[13:14], v13, v[7:8]
	v_sub_nc_u32_e32 v14, 29, v19
	v_and_b32_e32 v13, 7, v13
; %bb.1960:                             ;   in Loop: Header=BB314_16 Depth=1
	s_or_b32 exec_lo, exec_lo, s28
	v_lshlrev_b32_e32 v7, 8, v7
	v_lshl_add_u32 v14, v14, 10, 0x2000
	v_lshlrev_b32_e32 v13, 7, v13
	v_and_b32_e32 v7, 0x8000, v7
	v_and_b32_e32 v14, 0xfc00, v14
	v_or3_b32 v126, v7, v14, v13
.LBB314_1961:                           ;   in Loop: Header=BB314_16 Depth=1
	s_or_b32 exec_lo, exec_lo, s27
.LBB314_1962:                           ;   in Loop: Header=BB314_16 Depth=1
	s_or_b32 exec_lo, exec_lo, s26
.LBB314_1963:                           ;   in Loop: Header=BB314_16 Depth=1
	s_or_b32 exec_lo, exec_lo, s25
	v_mov_b32_e32 v113, 0
	v_mov_b32_e32 v65, 0
	s_mov_b32 s25, exec_lo
	v_cmpx_lt_u32_e32 0xffffff, v33
	s_cbranch_execz .LBB314_1971
; %bb.1964:                             ;   in Loop: Header=BB314_16 Depth=1
	v_lshrrev_b32_e32 v7, 24, v33
	v_bfrev_b32_e32 v65, 1
	s_mov_b32 s26, exec_lo
	v_cmpx_ne_u32_e32 0x80, v7
	s_cbranch_execz .LBB314_1970
; %bb.1965:                             ;   in Loop: Header=BB314_16 Depth=1
	v_and_b32_e32 v19, 0x7f, v7
	v_mov_b32_e32 v65, 0x7c010000
	s_mov_b32 s27, exec_lo
	v_cmpx_ne_u32_e32 0x7f, v19
	s_cbranch_execz .LBB314_1969
; %bb.1966:                             ;   in Loop: Header=BB314_16 Depth=1
	v_and_b32_e32 v13, 7, v7
	v_lshrrev_b32_e32 v14, 3, v19
	s_mov_b32 s28, exec_lo
	v_cmpx_gt_u32_e32 8, v19
; %bb.1967:                             ;   in Loop: Header=BB314_16 Depth=1
	v_ffbh_u32_e32 v13, v13
	v_min_u32_e32 v19, 32, v13
	v_subrev_nc_u32_e32 v13, 28, v19
	v_lshlrev_b64 v[13:14], v13, v[7:8]
	v_sub_nc_u32_e32 v14, 29, v19
	v_and_b32_e32 v13, 7, v13
; %bb.1968:                             ;   in Loop: Header=BB314_16 Depth=1
	s_or_b32 exec_lo, exec_lo, s28
	v_lshlrev_b32_e32 v7, 8, v7
	v_lshl_add_u32 v14, v14, 10, 0x2000
	v_lshlrev_b32_e32 v13, 23, v13
	v_and_or_b32 v7, 0x8000, v7, v14
	v_lshl_or_b32 v65, v7, 16, v13
.LBB314_1969:                           ;   in Loop: Header=BB314_16 Depth=1
	s_or_b32 exec_lo, exec_lo, s27
.LBB314_1970:                           ;   in Loop: Header=BB314_16 Depth=1
	s_or_b32 exec_lo, exec_lo, s26
.LBB314_1971:                           ;   in Loop: Header=BB314_16 Depth=1
	s_or_b32 exec_lo, exec_lo, s25
	v_mov_b32_e32 v7, v34
	v_cmp_ne_u16_sdwa s5, v34, v8 src0_sel:BYTE_0 src1_sel:DWORD
	s_and_saveexec_b32 s25, s5
	s_cbranch_execz .LBB314_1979
; %bb.1972:                             ;   in Loop: Header=BB314_16 Depth=1
	v_cmp_ne_u16_sdwa s5, v34, v70 src0_sel:BYTE_0 src1_sel:DWORD
	v_mov_b32_e32 v113, 0x8000
	s_and_saveexec_b32 s26, s5
	s_cbranch_execz .LBB314_1978
; %bb.1973:                             ;   in Loop: Header=BB314_16 Depth=1
	v_and_b32_e32 v19, 0x7f, v34
	v_mov_b32_e32 v113, 0x7c01
	s_mov_b32 s27, exec_lo
	v_cmpx_ne_u32_e32 0x7f, v19
	s_cbranch_execz .LBB314_1977
; %bb.1974:                             ;   in Loop: Header=BB314_16 Depth=1
	v_and_b32_e32 v13, 7, v34
	v_lshrrev_b32_e32 v14, 3, v19
	s_mov_b32 s28, exec_lo
	v_cmpx_gt_u32_e32 8, v19
; %bb.1975:                             ;   in Loop: Header=BB314_16 Depth=1
	v_ffbh_u32_e32 v13, v13
	v_min_u32_e32 v19, 32, v13
	v_subrev_nc_u32_e32 v13, 28, v19
	v_lshlrev_b64 v[13:14], v13, v[7:8]
	v_sub_nc_u32_e32 v14, 29, v19
	v_and_b32_e32 v13, 7, v13
; %bb.1976:                             ;   in Loop: Header=BB314_16 Depth=1
	s_or_b32 exec_lo, exec_lo, s28
	v_lshlrev_b32_e32 v19, 8, v34
	v_lshl_add_u32 v14, v14, 10, 0x2000
	v_lshlrev_b32_e32 v13, 7, v13
	v_and_b32_e32 v19, 0x8000, v19
	v_and_b32_e32 v14, 0xfc00, v14
	v_or3_b32 v113, v19, v14, v13
.LBB314_1977:                           ;   in Loop: Header=BB314_16 Depth=1
	s_or_b32 exec_lo, exec_lo, s27
.LBB314_1978:                           ;   in Loop: Header=BB314_16 Depth=1
	s_or_b32 exec_lo, exec_lo, s26
.LBB314_1979:                           ;   in Loop: Header=BB314_16 Depth=1
	s_or_b32 exec_lo, exec_lo, s25
	v_lshrrev_b16 v7, 8, v7
	v_mov_b32_e32 v118, 0
	v_mov_b32_e32 v73, 0
	s_mov_b32 s25, exec_lo
	v_cmpx_ne_u16_e32 0, v7
	s_cbranch_execz .LBB314_1987
; %bb.1980:                             ;   in Loop: Header=BB314_16 Depth=1
	v_bfrev_b32_e32 v73, 1
	s_mov_b32 s26, exec_lo
	v_cmpx_ne_u16_e32 0x80, v7
	s_cbranch_execz .LBB314_1986
; %bb.1981:                             ;   in Loop: Header=BB314_16 Depth=1
	v_mov_b32_e32 v13, 0x7f
	v_mov_b32_e32 v73, 0x7c010000
	s_mov_b32 s27, exec_lo
	v_and_b32_sdwa v19, v7, v13 dst_sel:DWORD dst_unused:UNUSED_PAD src0_sel:WORD_0 src1_sel:DWORD
	v_cmpx_ne_u32_e32 0x7f, v19
	s_cbranch_execz .LBB314_1985
; %bb.1982:                             ;   in Loop: Header=BB314_16 Depth=1
	v_mov_b32_e32 v13, 7
	v_lshrrev_b32_e32 v14, 3, v19
	s_mov_b32 s28, exec_lo
	v_and_b32_sdwa v13, v7, v13 dst_sel:DWORD dst_unused:UNUSED_PAD src0_sel:WORD_0 src1_sel:DWORD
	v_cmpx_gt_u32_e32 8, v19
; %bb.1983:                             ;   in Loop: Header=BB314_16 Depth=1
	v_ffbh_u32_e32 v13, v13
	v_min_u32_e32 v19, 32, v13
	v_subrev_nc_u32_e32 v13, 28, v19
	v_lshlrev_b64 v[13:14], v13, v[7:8]
	v_sub_nc_u32_e32 v14, 29, v19
	v_and_b32_e32 v13, 7, v13
; %bb.1984:                             ;   in Loop: Header=BB314_16 Depth=1
	s_or_b32 exec_lo, exec_lo, s28
	v_mov_b32_e32 v19, 8
	v_lshl_add_u32 v14, v14, 10, 0x2000
	v_lshlrev_b32_e32 v13, 23, v13
	v_lshlrev_b32_sdwa v7, v19, v7 dst_sel:DWORD dst_unused:UNUSED_PAD src0_sel:DWORD src1_sel:WORD_0
	v_and_or_b32 v7, 0x8000, v7, v14
	v_lshl_or_b32 v73, v7, 16, v13
.LBB314_1985:                           ;   in Loop: Header=BB314_16 Depth=1
	s_or_b32 exec_lo, exec_lo, s27
.LBB314_1986:                           ;   in Loop: Header=BB314_16 Depth=1
	s_or_b32 exec_lo, exec_lo, s26
.LBB314_1987:                           ;   in Loop: Header=BB314_16 Depth=1
	s_or_b32 exec_lo, exec_lo, s25
	v_lshrrev_b32_e32 v7, 16, v34
	v_cmp_ne_u16_sdwa s5, v7, v8 src0_sel:BYTE_0 src1_sel:DWORD
	s_and_saveexec_b32 s25, s5
	s_cbranch_execz .LBB314_1995
; %bb.1988:                             ;   in Loop: Header=BB314_16 Depth=1
	v_cmp_ne_u16_sdwa s5, v7, v70 src0_sel:BYTE_0 src1_sel:DWORD
	v_mov_b32_e32 v118, 0x8000
	s_and_saveexec_b32 s26, s5
	s_cbranch_execz .LBB314_1994
; %bb.1989:                             ;   in Loop: Header=BB314_16 Depth=1
	v_bfe_u32 v19, v34, 16, 7
	v_mov_b32_e32 v118, 0x7c01
	s_mov_b32 s27, exec_lo
	v_cmpx_ne_u32_e32 0x7f, v19
	s_cbranch_execz .LBB314_1993
; %bb.1990:                             ;   in Loop: Header=BB314_16 Depth=1
	v_and_b32_e32 v13, 7, v7
	v_lshrrev_b32_e32 v14, 3, v19
	s_mov_b32 s28, exec_lo
	v_cmpx_gt_u32_e32 8, v19
; %bb.1991:                             ;   in Loop: Header=BB314_16 Depth=1
	v_ffbh_u32_e32 v13, v13
	v_min_u32_e32 v19, 32, v13
	v_subrev_nc_u32_e32 v13, 28, v19
	v_lshlrev_b64 v[13:14], v13, v[7:8]
	v_sub_nc_u32_e32 v14, 29, v19
	v_and_b32_e32 v13, 7, v13
; %bb.1992:                             ;   in Loop: Header=BB314_16 Depth=1
	s_or_b32 exec_lo, exec_lo, s28
	v_lshlrev_b32_e32 v7, 8, v7
	v_lshl_add_u32 v14, v14, 10, 0x2000
	v_lshlrev_b32_e32 v13, 7, v13
	v_and_b32_e32 v7, 0x8000, v7
	v_and_b32_e32 v14, 0xfc00, v14
	v_or3_b32 v118, v7, v14, v13
.LBB314_1993:                           ;   in Loop: Header=BB314_16 Depth=1
	s_or_b32 exec_lo, exec_lo, s27
.LBB314_1994:                           ;   in Loop: Header=BB314_16 Depth=1
	s_or_b32 exec_lo, exec_lo, s26
.LBB314_1995:                           ;   in Loop: Header=BB314_16 Depth=1
	s_or_b32 exec_lo, exec_lo, s25
	v_mov_b32_e32 v21, 0
	v_mov_b32_e32 v83, 0
	s_mov_b32 s25, exec_lo
	v_cmpx_lt_u64_e64 s[20:21], v[33:34]
	s_cbranch_execz .LBB314_2003
; %bb.1996:                             ;   in Loop: Header=BB314_16 Depth=1
	v_lshrrev_b32_e32 v7, 24, v34
	v_bfrev_b32_e32 v83, 1
	s_mov_b32 s26, exec_lo
	v_cmpx_ne_u32_e32 0x80, v7
	s_cbranch_execz .LBB314_2002
; %bb.1997:                             ;   in Loop: Header=BB314_16 Depth=1
	v_and_b32_e32 v19, 0x7f, v7
	v_mov_b32_e32 v83, 0x7c010000
	s_mov_b32 s27, exec_lo
	v_cmpx_ne_u32_e32 0x7f, v19
	s_cbranch_execz .LBB314_2001
; %bb.1998:                             ;   in Loop: Header=BB314_16 Depth=1
	v_and_b32_e32 v13, 7, v7
	v_lshrrev_b32_e32 v14, 3, v19
	s_mov_b32 s28, exec_lo
	v_cmpx_gt_u32_e32 8, v19
; %bb.1999:                             ;   in Loop: Header=BB314_16 Depth=1
	v_ffbh_u32_e32 v13, v13
	v_min_u32_e32 v19, 32, v13
	v_subrev_nc_u32_e32 v13, 28, v19
	v_lshlrev_b64 v[13:14], v13, v[7:8]
	v_sub_nc_u32_e32 v14, 29, v19
	v_and_b32_e32 v13, 7, v13
; %bb.2000:                             ;   in Loop: Header=BB314_16 Depth=1
	s_or_b32 exec_lo, exec_lo, s28
	v_lshlrev_b32_e32 v7, 8, v7
	v_lshl_add_u32 v14, v14, 10, 0x2000
	v_lshlrev_b32_e32 v13, 23, v13
	v_and_or_b32 v7, 0x8000, v7, v14
	v_lshl_or_b32 v83, v7, 16, v13
.LBB314_2001:                           ;   in Loop: Header=BB314_16 Depth=1
	s_or_b32 exec_lo, exec_lo, s27
.LBB314_2002:                           ;   in Loop: Header=BB314_16 Depth=1
	s_or_b32 exec_lo, exec_lo, s26
.LBB314_2003:                           ;   in Loop: Header=BB314_16 Depth=1
	s_or_b32 exec_lo, exec_lo, s25
	flat_load_dwordx2 v[31:32], v[31:32] offset:1544
	s_waitcnt vmcnt(0) lgkmcnt(0)
	v_cmp_ne_u16_sdwa s5, v31, v8 src0_sel:BYTE_0 src1_sel:DWORD
	s_and_saveexec_b32 s25, s5
	s_cbranch_execz .LBB314_2011
; %bb.2004:                             ;   in Loop: Header=BB314_16 Depth=1
	v_cmp_ne_u16_sdwa s5, v31, v70 src0_sel:BYTE_0 src1_sel:DWORD
	v_mov_b32_e32 v21, 0x8000
	s_and_saveexec_b32 s26, s5
	s_cbranch_execz .LBB314_2010
; %bb.2005:                             ;   in Loop: Header=BB314_16 Depth=1
	v_and_b32_e32 v14, 0x7f, v31
	v_mov_b32_e32 v21, 0x7c01
	s_mov_b32 s27, exec_lo
	v_cmpx_ne_u32_e32 0x7f, v14
	s_cbranch_execz .LBB314_2009
; %bb.2006:                             ;   in Loop: Header=BB314_16 Depth=1
	v_and_b32_e32 v7, 7, v31
	v_lshrrev_b32_e32 v13, 3, v14
	s_mov_b32 s28, exec_lo
	v_cmpx_gt_u32_e32 8, v14
; %bb.2007:                             ;   in Loop: Header=BB314_16 Depth=1
	v_ffbh_u32_e32 v7, v7
	v_min_u32_e32 v7, 32, v7
	v_subrev_nc_u32_e32 v13, 28, v7
	v_lshlrev_b64 v[33:34], v13, v[31:32]
	v_sub_nc_u32_e32 v13, 29, v7
	v_and_b32_e32 v7, 7, v33
; %bb.2008:                             ;   in Loop: Header=BB314_16 Depth=1
	s_or_b32 exec_lo, exec_lo, s28
	v_lshlrev_b32_e32 v14, 8, v31
	v_lshl_add_u32 v13, v13, 10, 0x2000
	v_lshlrev_b32_e32 v7, 7, v7
	v_and_b32_e32 v14, 0x8000, v14
	v_and_b32_e32 v13, 0xfc00, v13
	v_or3_b32 v21, v14, v13, v7
.LBB314_2009:                           ;   in Loop: Header=BB314_16 Depth=1
	s_or_b32 exec_lo, exec_lo, s27
.LBB314_2010:                           ;   in Loop: Header=BB314_16 Depth=1
	s_or_b32 exec_lo, exec_lo, s26
.LBB314_2011:                           ;   in Loop: Header=BB314_16 Depth=1
	s_or_b32 exec_lo, exec_lo, s25
	v_lshrrev_b16 v7, 8, v31
	v_mov_b32_e32 v19, 0
	v_mov_b32_e32 v13, 0
	s_mov_b32 s25, exec_lo
	v_cmpx_ne_u16_e32 0, v7
	s_cbranch_execz .LBB314_2019
; %bb.2012:                             ;   in Loop: Header=BB314_16 Depth=1
	v_bfrev_b32_e32 v13, 1
	s_mov_b32 s26, exec_lo
	v_cmpx_ne_u16_e32 0x80, v7
	s_cbranch_execz .LBB314_2018
; %bb.2013:                             ;   in Loop: Header=BB314_16 Depth=1
	v_mov_b32_e32 v13, 0x7f
	s_mov_b32 s27, exec_lo
	v_and_b32_sdwa v33, v7, v13 dst_sel:DWORD dst_unused:UNUSED_PAD src0_sel:WORD_0 src1_sel:DWORD
	v_mov_b32_e32 v13, 0x7c010000
	v_cmpx_ne_u32_e32 0x7f, v33
	s_cbranch_execz .LBB314_2017
; %bb.2014:                             ;   in Loop: Header=BB314_16 Depth=1
	v_mov_b32_e32 v13, 7
	v_lshrrev_b32_e32 v14, 3, v33
	s_mov_b32 s28, exec_lo
	v_and_b32_sdwa v13, v7, v13 dst_sel:DWORD dst_unused:UNUSED_PAD src0_sel:WORD_0 src1_sel:DWORD
	v_cmpx_gt_u32_e32 8, v33
; %bb.2015:                             ;   in Loop: Header=BB314_16 Depth=1
	v_ffbh_u32_e32 v13, v13
	v_min_u32_e32 v24, 32, v13
	v_subrev_nc_u32_e32 v13, 28, v24
	v_lshlrev_b64 v[13:14], v13, v[7:8]
	v_sub_nc_u32_e32 v14, 29, v24
	v_and_b32_e32 v13, 7, v13
; %bb.2016:                             ;   in Loop: Header=BB314_16 Depth=1
	s_or_b32 exec_lo, exec_lo, s28
	v_mov_b32_e32 v24, 8
	v_lshl_add_u32 v14, v14, 10, 0x2000
	v_lshlrev_b32_e32 v13, 23, v13
	v_lshlrev_b32_sdwa v7, v24, v7 dst_sel:DWORD dst_unused:UNUSED_PAD src0_sel:DWORD src1_sel:WORD_0
	v_and_or_b32 v7, 0x8000, v7, v14
	v_lshl_or_b32 v13, v7, 16, v13
.LBB314_2017:                           ;   in Loop: Header=BB314_16 Depth=1
	s_or_b32 exec_lo, exec_lo, s27
.LBB314_2018:                           ;   in Loop: Header=BB314_16 Depth=1
	s_or_b32 exec_lo, exec_lo, s26
.LBB314_2019:                           ;   in Loop: Header=BB314_16 Depth=1
	s_or_b32 exec_lo, exec_lo, s25
	v_lshrrev_b32_e32 v7, 16, v31
	v_cmp_ne_u16_sdwa s5, v7, v8 src0_sel:BYTE_0 src1_sel:DWORD
	s_and_saveexec_b32 s25, s5
	s_cbranch_execz .LBB314_2027
; %bb.2020:                             ;   in Loop: Header=BB314_16 Depth=1
	v_cmp_ne_u16_sdwa s5, v7, v70 src0_sel:BYTE_0 src1_sel:DWORD
	v_mov_b32_e32 v19, 0x8000
	s_and_saveexec_b32 s26, s5
	s_cbranch_execz .LBB314_2026
; %bb.2021:                             ;   in Loop: Header=BB314_16 Depth=1
	v_bfe_u32 v33, v31, 16, 7
	v_mov_b32_e32 v19, 0x7c01
	s_mov_b32 s27, exec_lo
	v_cmpx_ne_u32_e32 0x7f, v33
	s_cbranch_execz .LBB314_2025
; %bb.2022:                             ;   in Loop: Header=BB314_16 Depth=1
	v_and_b32_e32 v14, 7, v7
	v_lshrrev_b32_e32 v19, 3, v33
	s_mov_b32 s28, exec_lo
	v_cmpx_gt_u32_e32 8, v33
; %bb.2023:                             ;   in Loop: Header=BB314_16 Depth=1
	v_ffbh_u32_e32 v14, v14
	v_min_u32_e32 v14, 32, v14
	v_subrev_nc_u32_e32 v19, 28, v14
	v_lshlrev_b64 v[33:34], v19, v[7:8]
	v_sub_nc_u32_e32 v19, 29, v14
	v_and_b32_e32 v14, 7, v33
; %bb.2024:                             ;   in Loop: Header=BB314_16 Depth=1
	s_or_b32 exec_lo, exec_lo, s28
	v_lshlrev_b32_e32 v7, 8, v7
	v_lshl_add_u32 v19, v19, 10, 0x2000
	v_lshlrev_b32_e32 v14, 7, v14
	v_and_b32_e32 v7, 0x8000, v7
	v_and_b32_e32 v19, 0xfc00, v19
	v_or3_b32 v19, v7, v19, v14
.LBB314_2025:                           ;   in Loop: Header=BB314_16 Depth=1
	s_or_b32 exec_lo, exec_lo, s27
.LBB314_2026:                           ;   in Loop: Header=BB314_16 Depth=1
	s_or_b32 exec_lo, exec_lo, s26
.LBB314_2027:                           ;   in Loop: Header=BB314_16 Depth=1
	s_or_b32 exec_lo, exec_lo, s25
	v_mov_b32_e32 v14, 0
	v_mov_b32_e32 v34, 0
	s_mov_b32 s25, exec_lo
	v_cmpx_lt_u32_e32 0xffffff, v31
	s_cbranch_execz .LBB314_2035
; %bb.2028:                             ;   in Loop: Header=BB314_16 Depth=1
	v_lshrrev_b32_e32 v7, 24, v31
	v_bfrev_b32_e32 v34, 1
	s_mov_b32 s26, exec_lo
	v_cmpx_ne_u32_e32 0x80, v7
	s_cbranch_execz .LBB314_2034
; %bb.2029:                             ;   in Loop: Header=BB314_16 Depth=1
	v_and_b32_e32 v55, 0x7f, v7
	v_mov_b32_e32 v34, 0x7c010000
	s_mov_b32 s27, exec_lo
	v_cmpx_ne_u32_e32 0x7f, v55
	s_cbranch_execz .LBB314_2033
; %bb.2030:                             ;   in Loop: Header=BB314_16 Depth=1
	v_and_b32_e32 v33, 7, v7
	v_lshrrev_b32_e32 v34, 3, v55
	s_mov_b32 s28, exec_lo
	v_cmpx_gt_u32_e32 8, v55
; %bb.2031:                             ;   in Loop: Header=BB314_16 Depth=1
	v_ffbh_u32_e32 v24, v33
	v_min_u32_e32 v24, 32, v24
	v_subrev_nc_u32_e32 v25, 28, v24
	v_lshlrev_b64 v[33:34], v25, v[7:8]
	v_sub_nc_u32_e32 v34, 29, v24
	v_and_b32_e32 v33, 7, v33
; %bb.2032:                             ;   in Loop: Header=BB314_16 Depth=1
	s_or_b32 exec_lo, exec_lo, s28
	v_lshlrev_b32_e32 v7, 8, v7
	v_lshl_add_u32 v24, v34, 10, 0x2000
	v_and_or_b32 v7, 0x8000, v7, v24
	v_lshlrev_b32_e32 v24, 23, v33
	v_lshl_or_b32 v34, v7, 16, v24
.LBB314_2033:                           ;   in Loop: Header=BB314_16 Depth=1
	s_or_b32 exec_lo, exec_lo, s27
.LBB314_2034:                           ;   in Loop: Header=BB314_16 Depth=1
	s_or_b32 exec_lo, exec_lo, s26
.LBB314_2035:                           ;   in Loop: Header=BB314_16 Depth=1
	s_or_b32 exec_lo, exec_lo, s25
	v_mov_b32_e32 v7, v32
	v_cmp_ne_u16_sdwa s5, v32, v8 src0_sel:BYTE_0 src1_sel:DWORD
	s_and_saveexec_b32 s25, s5
	s_cbranch_execz .LBB314_2043
; %bb.2036:                             ;   in Loop: Header=BB314_16 Depth=1
	v_cmp_ne_u16_sdwa s5, v32, v70 src0_sel:BYTE_0 src1_sel:DWORD
	v_mov_b32_e32 v14, 0x8000
	s_and_saveexec_b32 s26, s5
	s_cbranch_execz .LBB314_2042
; %bb.2037:                             ;   in Loop: Header=BB314_16 Depth=1
	v_and_b32_e32 v55, 0x7f, v32
	v_mov_b32_e32 v14, 0x7c01
	s_mov_b32 s27, exec_lo
	v_cmpx_ne_u32_e32 0x7f, v55
	s_cbranch_execz .LBB314_2041
; %bb.2038:                             ;   in Loop: Header=BB314_16 Depth=1
	v_and_b32_e32 v14, 7, v32
	v_lshrrev_b32_e32 v33, 3, v55
	s_mov_b32 s28, exec_lo
	v_cmpx_gt_u32_e32 8, v55
	s_cbranch_execz .LBB314_2040
; %bb.2039:                             ;   in Loop: Header=BB314_16 Depth=1
	v_ffbh_u32_e32 v14, v14
	v_mov_b32_e32 v25, v54
	v_min_u32_e32 v14, 32, v14
	v_subrev_nc_u32_e32 v24, 28, v14
	v_sub_nc_u32_e32 v33, 29, v14
	v_lshlrev_b64 v[54:55], v24, v[7:8]
	v_and_b32_e32 v14, 7, v54
	v_mov_b32_e32 v54, v25
.LBB314_2040:                           ;   in Loop: Header=BB314_16 Depth=1
	s_or_b32 exec_lo, exec_lo, s28
	v_lshlrev_b32_e32 v24, 8, v32
	v_lshl_add_u32 v25, v33, 10, 0x2000
	v_lshlrev_b32_e32 v14, 7, v14
	v_and_b32_e32 v24, 0x8000, v24
	v_and_b32_e32 v25, 0xfc00, v25
	v_or3_b32 v14, v24, v25, v14
.LBB314_2041:                           ;   in Loop: Header=BB314_16 Depth=1
	s_or_b32 exec_lo, exec_lo, s27
.LBB314_2042:                           ;   in Loop: Header=BB314_16 Depth=1
	s_or_b32 exec_lo, exec_lo, s26
.LBB314_2043:                           ;   in Loop: Header=BB314_16 Depth=1
	s_or_b32 exec_lo, exec_lo, s25
	v_lshrrev_b16 v7, 8, v7
	v_mov_b32_e32 v33, 0
	v_mov_b32_e32 v55, 0
	s_mov_b32 s25, exec_lo
	v_cmpx_ne_u16_e32 0, v7
	s_cbranch_execz .LBB314_2051
; %bb.2044:                             ;   in Loop: Header=BB314_16 Depth=1
	v_bfrev_b32_e32 v55, 1
	s_mov_b32 s26, exec_lo
	v_cmpx_ne_u16_e32 0x80, v7
	s_cbranch_execz .LBB314_2050
; %bb.2045:                             ;   in Loop: Header=BB314_16 Depth=1
	v_mov_b32_e32 v24, 0x7f
	v_mov_b32_e32 v55, 0x7c010000
	s_mov_b32 s27, exec_lo
	v_and_b32_sdwa v61, v7, v24 dst_sel:DWORD dst_unused:UNUSED_PAD src0_sel:WORD_0 src1_sel:DWORD
	v_cmpx_ne_u32_e32 0x7f, v61
	s_cbranch_execz .LBB314_2049
; %bb.2046:                             ;   in Loop: Header=BB314_16 Depth=1
	v_mov_b32_e32 v24, 7
	v_lshrrev_b32_e32 v68, 3, v61
	s_mov_b32 s28, exec_lo
	v_and_b32_sdwa v55, v7, v24 dst_sel:DWORD dst_unused:UNUSED_PAD src0_sel:WORD_0 src1_sel:DWORD
	v_cmpx_gt_u32_e32 8, v61
	s_cbranch_execz .LBB314_2048
; %bb.2047:                             ;   in Loop: Header=BB314_16 Depth=1
	v_ffbh_u32_e32 v24, v55
	v_mov_b32_e32 v61, v54
	v_min_u32_e32 v24, 32, v24
	v_subrev_nc_u32_e32 v25, 28, v24
	v_sub_nc_u32_e32 v68, 29, v24
	v_lshlrev_b64 v[54:55], v25, v[7:8]
	v_and_b32_e32 v55, 7, v54
	v_mov_b32_e32 v54, v61
.LBB314_2048:                           ;   in Loop: Header=BB314_16 Depth=1
	s_or_b32 exec_lo, exec_lo, s28
	v_mov_b32_e32 v24, 8
	v_lshlrev_b32_sdwa v7, v24, v7 dst_sel:DWORD dst_unused:UNUSED_PAD src0_sel:DWORD src1_sel:WORD_0
	v_lshl_add_u32 v24, v68, 10, 0x2000
	v_and_or_b32 v7, 0x8000, v7, v24
	v_lshlrev_b32_e32 v24, 23, v55
	v_lshl_or_b32 v55, v7, 16, v24
.LBB314_2049:                           ;   in Loop: Header=BB314_16 Depth=1
	s_or_b32 exec_lo, exec_lo, s27
.LBB314_2050:                           ;   in Loop: Header=BB314_16 Depth=1
	s_or_b32 exec_lo, exec_lo, s26
.LBB314_2051:                           ;   in Loop: Header=BB314_16 Depth=1
	s_or_b32 exec_lo, exec_lo, s25
	v_lshrrev_b32_e32 v7, 16, v32
	v_cmp_ne_u16_sdwa s5, v7, v8 src0_sel:BYTE_0 src1_sel:DWORD
	s_and_saveexec_b32 s25, s5
	s_cbranch_execz .LBB314_2059
; %bb.2052:                             ;   in Loop: Header=BB314_16 Depth=1
	v_cmp_ne_u16_sdwa s5, v7, v70 src0_sel:BYTE_0 src1_sel:DWORD
	v_mov_b32_e32 v33, 0x8000
	s_and_saveexec_b32 s26, s5
	s_cbranch_execz .LBB314_2058
; %bb.2053:                             ;   in Loop: Header=BB314_16 Depth=1
	v_bfe_u32 v61, v32, 16, 7
	v_mov_b32_e32 v33, 0x7c01
	s_mov_b32 s27, exec_lo
	v_cmpx_ne_u32_e32 0x7f, v61
	s_cbranch_execz .LBB314_2057
; %bb.2054:                             ;   in Loop: Header=BB314_16 Depth=1
	v_and_b32_e32 v33, 7, v7
	v_lshrrev_b32_e32 v68, 3, v61
	s_mov_b32 s28, exec_lo
	v_cmpx_gt_u32_e32 8, v61
; %bb.2055:                             ;   in Loop: Header=BB314_16 Depth=1
	v_ffbh_u32_e32 v24, v33
	v_min_u32_e32 v33, 32, v24
	v_subrev_nc_u32_e32 v24, 28, v33
	v_sub_nc_u32_e32 v68, 29, v33
	v_lshlrev_b64 v[24:25], v24, v[7:8]
	v_and_b32_e32 v33, 7, v24
; %bb.2056:                             ;   in Loop: Header=BB314_16 Depth=1
	s_or_b32 exec_lo, exec_lo, s28
	v_lshlrev_b32_e32 v7, 8, v7
	v_lshl_add_u32 v24, v68, 10, 0x2000
	v_lshlrev_b32_e32 v25, 7, v33
	v_and_b32_e32 v7, 0x8000, v7
	v_and_b32_e32 v24, 0xfc00, v24
	v_or3_b32 v33, v7, v24, v25
.LBB314_2057:                           ;   in Loop: Header=BB314_16 Depth=1
	s_or_b32 exec_lo, exec_lo, s27
.LBB314_2058:                           ;   in Loop: Header=BB314_16 Depth=1
	s_or_b32 exec_lo, exec_lo, s26
.LBB314_2059:                           ;   in Loop: Header=BB314_16 Depth=1
	s_or_b32 exec_lo, exec_lo, s25
	v_cmp_lt_u64_e64 s5, s[20:21], v[31:32]
	v_mov_b32_e32 v31, 0
	s_and_saveexec_b32 s25, s5
	s_cbranch_execz .LBB314_14
; %bb.2060:                             ;   in Loop: Header=BB314_16 Depth=1
	v_lshrrev_b32_e32 v7, 24, v32
	v_bfrev_b32_e32 v31, 1
	s_mov_b32 s26, exec_lo
	v_cmpx_ne_u32_e32 0x80, v7
	s_cbranch_execz .LBB314_13
; %bb.2061:                             ;   in Loop: Header=BB314_16 Depth=1
	v_and_b32_e32 v68, 0x7f, v7
	v_mov_b32_e32 v31, 0x7c010000
	s_mov_b32 s27, exec_lo
	v_cmpx_ne_u32_e32 0x7f, v68
	s_cbranch_execz .LBB314_12
; %bb.2062:                             ;   in Loop: Header=BB314_16 Depth=1
	v_and_b32_e32 v31, 7, v7
	v_lshrrev_b32_e32 v32, 3, v68
	s_mov_b32 s28, exec_lo
	v_cmpx_gt_u32_e32 8, v68
	s_cbranch_execz .LBB314_11
; %bb.2063:                             ;   in Loop: Header=BB314_16 Depth=1
	v_ffbh_u32_e32 v24, v31
	v_min_u32_e32 v31, 32, v24
	v_subrev_nc_u32_e32 v24, 28, v31
	v_sub_nc_u32_e32 v32, 29, v31
	v_lshlrev_b64 v[24:25], v24, v[7:8]
	v_and_b32_e32 v31, 7, v24
	s_branch .LBB314_11
.LBB314_2064:
	s_or_b32 exec_lo, exec_lo, s23
	s_clause 0xe
	buffer_load_dword v10, off, s[0:3], s32 offset:1320
	buffer_load_dword v15, off, s[0:3], s32 offset:1324
	;; [unrolled: 1-line block ×15, first 2 shown]
.LBB314_2065:
	s_or_b32 exec_lo, exec_lo, s22
	v_mbcnt_lo_u32_b32 v0, -1, 0
	v_max_f32_e32 v4, v19, v19
	s_waitcnt lgkmcnt(0)
	s_lshr_b32 s8, s19, 16
	v_xor_b32_e32 v1, 16, v0
	v_xor_b32_e32 v3, 8, v0
	;; [unrolled: 1-line block ×3, first 2 shown]
	v_cmp_gt_i32_e32 vcc_lo, 32, v1
	v_cndmask_b32_e32 v1, v0, v1, vcc_lo
	v_cmp_gt_i32_e32 vcc_lo, 32, v3
	v_lshlrev_b32_e32 v2, 2, v1
	v_cndmask_b32_e32 v3, v0, v3, vcc_lo
	v_cmp_gt_i32_e32 vcc_lo, 32, v5
	ds_bpermute_b32 v1, v2, v19
	v_lshlrev_b32_e32 v3, 2, v3
	v_cndmask_b32_e32 v5, v0, v5, vcc_lo
	s_waitcnt lgkmcnt(0)
	v_max_f32_e32 v1, v1, v1
	v_max_f32_e32 v1, v4, v1
	ds_bpermute_b32 v4, v3, v1
	s_waitcnt lgkmcnt(0)
	v_max_f32_e32 v6, v4, v4
	v_lshlrev_b32_e32 v4, 2, v5
	v_max_f32_e32 v1, v1, v6
	v_xor_b32_e32 v6, 2, v0
	ds_bpermute_b32 v5, v4, v1
	v_cmp_gt_i32_e32 vcc_lo, 32, v6
	v_cndmask_b32_e32 v6, v0, v6, vcc_lo
	v_lshlrev_b32_e32 v21, 2, v6
	v_xor_b32_e32 v6, 1, v0
	v_cmp_gt_i32_e32 vcc_lo, 32, v6
	s_waitcnt lgkmcnt(0)
	v_max_f32_e32 v5, v5, v5
	v_cndmask_b32_e32 v6, v0, v6, vcc_lo
	v_max_f32_e32 v1, v1, v5
	v_lshlrev_b32_e32 v20, 2, v6
	ds_bpermute_b32 v5, v21, v1
	s_waitcnt lgkmcnt(0)
	v_max_f32_e32 v5, v5, v5
	v_max_f32_e32 v0, v1, v5
	buffer_load_dword v5, off, s[0:3], s32 offset:1264 ; 4-byte Folded Reload
	ds_bpermute_b32 v1, v20, v0
	s_waitcnt vmcnt(0)
	v_cmp_eq_u32_e32 vcc_lo, 0, v5
	buffer_load_dword v5, off, s[0:3], s32 offset:1300 ; 4-byte Folded Reload
	s_waitcnt vmcnt(0)
	v_lshlrev_b32_e32 v5, 2, v5
	s_and_saveexec_b32 s5, vcc_lo
	s_cbranch_execz .LBB314_2067
; %bb.2066:
	s_waitcnt lgkmcnt(0)
	v_max_f32_e32 v1, v1, v1
	v_max_f32_e32 v0, v0, v0
	;; [unrolled: 1-line block ×3, first 2 shown]
	ds_write_b32 v5, v0 offset:512
.LBB314_2067:
	s_or_b32 exec_lo, exec_lo, s5
	buffer_load_dword v0, off, s[0:3], s32 offset:1264 ; 4-byte Folded Reload
	s_waitcnt vmcnt(0) lgkmcnt(0)
	s_waitcnt_vscnt null, 0x0
	s_barrier
	buffer_gl0_inv
	v_cmp_gt_u32_e64 s5, 4, v0
	v_mov_b32_e32 v0, 0xff7fffff
	s_and_saveexec_b32 s6, s5
; %bb.2068:
	ds_read_b32 v0, v18 offset:512
; %bb.2069:
	s_or_b32 exec_lo, exec_lo, s6
	buffer_load_dword v6, off, s[0:3], s32 offset:224 ; 4-byte Folded Reload
	s_waitcnt lgkmcnt(0)
	ds_bpermute_b32 v1, v21, v0
	v_max_f32_e32 v0, v0, v0
	s_waitcnt lgkmcnt(0)
	v_max_f32_e32 v1, v1, v1
	v_max_f32_e32 v0, v0, v1
	ds_bpermute_b32 v1, v20, v0
	s_waitcnt lgkmcnt(0)
	v_max_f32_e32 v1, v1, v1
	v_max_f32_e32 v0, v0, v1
	s_waitcnt vmcnt(0)
	v_subrev_nc_u32_e32 v7, s17, v6
	v_mov_b32_e32 v6, 0
	v_lshl_add_u32 v1, v7, 5, s7
	buffer_load_dword v7, off, s[0:3], s32 offset:752 ; 4-byte Folded Reload
	ds_bpermute_b32 v0, v6, v0
	s_waitcnt vmcnt(0)
	v_min_i32_e32 v1, v1, v7
	buffer_load_dword v7, off, s[0:3], s32 offset:1284 ; 4-byte Folded Reload
	v_subrev_nc_u32_e32 v1, s7, v1
	s_waitcnt vmcnt(0)
	v_cmp_lt_i32_e64 s6, v7, v1
	s_and_saveexec_b32 s9, s6
	s_cbranch_execz .LBB314_2073
; %bb.2070:
	buffer_load_dword v8, off, s[0:3], s32 offset:1284 ; 4-byte Folded Reload
	s_getpc_b64 s[20:21]
	s_add_u32 s20, s20, llvm.amdgcn.dynlds.offset.table@rel32@lo+4
	s_addc_u32 s21, s21, llvm.amdgcn.dynlds.offset.table@rel32@hi+12
	s_ashr_i32 s11, s10, 31
	v_mov_b32_e32 v6, 0
	s_lshl_b64 s[22:23], s[10:11], 2
	s_mov_b32 s11, 0
	s_add_u32 s20, s20, s22
	s_addc_u32 s21, s21, s23
	s_load_dword s7, s[20:21], 0x0
	s_waitcnt vmcnt(0) lgkmcnt(0)
	v_lshl_add_u32 v7, v8, 2, s7
	.p2align	6
.LBB314_2071:                           ; =>This Inner Loop Header: Depth=1
	ds_read_b32 v9, v7
	v_add_nc_u32_e32 v8, 0x80, v8
	v_cmp_ge_i32_e64 s7, v8, v1
	s_or_b32 s11, s7, s11
	s_waitcnt lgkmcnt(0)
	v_sub_f32_e32 v9, v9, v0
	v_mul_f32_e32 v9, 0x3fb8aa3b, v9
	v_exp_f32_e32 v9, v9
	ds_write_b32 v7, v9
	v_add_f32_e32 v6, v6, v9
	v_add_nc_u32_e32 v7, 0x200, v7
	s_andn2_b32 exec_lo, exec_lo, s11
	s_cbranch_execnz .LBB314_2071
; %bb.2072:
	s_or_b32 exec_lo, exec_lo, s11
.LBB314_2073:
	s_or_b32 exec_lo, exec_lo, s9
	ds_bpermute_b32 v2, v2, v6
	s_waitcnt lgkmcnt(0)
	v_add_f32_e32 v2, v6, v2
	ds_bpermute_b32 v3, v3, v2
	s_waitcnt lgkmcnt(0)
	v_add_f32_e32 v2, v2, v3
	;; [unrolled: 3-line block ×5, first 2 shown]
	s_and_saveexec_b32 s7, vcc_lo
; %bb.2074:
	ds_write_b32 v5, v2 offset:528
; %bb.2075:
	s_or_b32 exec_lo, exec_lo, s7
	s_waitcnt lgkmcnt(0)
	s_barrier
	buffer_gl0_inv
	s_and_saveexec_b32 s7, s5
; %bb.2076:
	ds_read_b32 v2, v18 offset:528
; %bb.2077:
	s_or_b32 exec_lo, exec_lo, s7
	s_waitcnt lgkmcnt(0)
	ds_bpermute_b32 v3, v21, v2
	s_waitcnt lgkmcnt(0)
	v_add_f32_e32 v2, v2, v3
	ds_bpermute_b32 v3, v20, v2
	s_waitcnt lgkmcnt(0)
	v_add_f32_e32 v2, v2, v3
	v_mov_b32_e32 v3, 0
	ds_bpermute_b32 v2, v3, v2
	s_and_saveexec_b32 s5, s6
	s_cbranch_execz .LBB314_2080
; %bb.2078:
	s_waitcnt lgkmcnt(0)
	v_add_f32_e32 v4, 0x358637bd, v2
	s_getpc_b64 s[6:7]
	s_add_u32 s6, s6, llvm.amdgcn.dynlds.offset.table@rel32@lo+4
	s_addc_u32 s7, s7, llvm.amdgcn.dynlds.offset.table@rel32@hi+12
	s_ashr_i32 s11, s10, 31
	s_lshl_b64 s[20:21], s[10:11], 2
	v_div_scale_f32 v3, null, v4, v4, 1.0
	v_div_scale_f32 v7, vcc_lo, 1.0, v4, 1.0
	s_add_u32 s6, s6, s20
	v_rcp_f32_e32 v5, v3
	s_addc_u32 s7, s7, s21
	s_load_dword s6, s[6:7], 0x0
	v_fma_f32 v6, -v3, v5, 1.0
	v_fmac_f32_e32 v5, v6, v5
	v_mul_f32_e32 v6, v7, v5
	v_fma_f32 v8, -v3, v6, v7
	v_fmac_f32_e32 v6, v8, v5
	v_fma_f32 v3, -v3, v6, v7
	v_div_fmas_f32 v5, v3, v5, v6
	buffer_load_dword v6, off, s[0:3], s32 offset:1284 ; 4-byte Folded Reload
	v_div_fixup_f32 v4, v5, v4, 1.0
	s_waitcnt vmcnt(0) lgkmcnt(0)
	v_lshl_add_u32 v3, v6, 2, s6
	v_mov_b32_e32 v5, v6
	s_mov_b32 s6, 0
.LBB314_2079:                           ; =>This Inner Loop Header: Depth=1
	ds_read_b32 v6, v3
	v_add_nc_u32_e32 v5, 0x80, v5
	v_cmp_ge_i32_e32 vcc_lo, v5, v1
	s_or_b32 s6, vcc_lo, s6
	s_waitcnt lgkmcnt(0)
	v_mul_f32_e32 v6, v4, v6
	ds_write_b32 v3, v6
	v_add_nc_u32_e32 v3, 0x200, v3
	s_andn2_b32 exec_lo, exec_lo, s6
	s_cbranch_execnz .LBB314_2079
.LBB314_2080:
	s_or_b32 exec_lo, exec_lo, s5
	s_waitcnt lgkmcnt(0)
	buffer_load_dword v1, off, s[0:3], s32 offset:1284 ; 4-byte Folded Reload
	s_and_b32 s5, 0xffff, s8
	s_barrier
	s_cmp_lg_u32 s5, 0
	s_waitcnt vmcnt(0)
	buffer_gl0_inv
	s_cselect_b32 s5, -1, 0
	s_cmp_lg_u32 s5, 0
	s_addc_u32 s13, s13, 0
	s_mul_i32 s5, s13, s18
	s_mul_i32 s18, s5, s15
	s_mov_b32 s5, exec_lo
	v_cmpx_eq_u32_e32 0, v1
	s_cbranch_execz .LBB314_2082
; %bb.2081:
	s_ashr_i32 s19, s18, 31
	s_mul_i32 s6, s13, s12
	s_lshl_b64 s[8:9], s[18:19], 2
	s_ashr_i32 s7, s6, 31
	v_add_co_u32 v1, vcc_lo, v33, s8
	v_add_co_ci_u32_e64 v3, null, s9, v32, vcc_lo
	s_lshl_b64 s[6:7], s[6:7], 2
	s_ashr_i32 s15, s14, 31
	v_add_co_u32 v1, vcc_lo, v1, s6
	v_add_co_ci_u32_e64 v4, null, s7, v3, vcc_lo
	v_add_co_u32 v3, vcc_lo, v25, s8
	v_add_co_ci_u32_e64 v5, null, s9, v24, vcc_lo
	s_lshl_b64 s[8:9], s[14:15], 2
	v_add_co_u32 v6, vcc_lo, v3, s6
	v_add_co_ci_u32_e64 v7, null, s7, v5, vcc_lo
	v_add_co_u32 v3, vcc_lo, v1, s8
	v_add_co_ci_u32_e64 v4, null, s9, v4, vcc_lo
	v_add_co_u32 v5, vcc_lo, v6, s8
	v_add_co_ci_u32_e64 v6, null, s9, v7, vcc_lo
	flat_store_dword v[3:4], v0
	flat_store_dword v[5:6], v2
.LBB314_2082:
	s_or_b32 exec_lo, exec_lo, s5
	s_ashr_i32 s11, s10, 31
	s_getpc_b64 s[6:7]
	s_add_u32 s6, s6, llvm.amdgcn.dynlds.offset.table@rel32@lo+4
	s_addc_u32 s7, s7, llvm.amdgcn.dynlds.offset.table@rel32@hi+12
	s_lshl_b64 s[8:9], s[10:11], 2
	v_mov_b32_e32 v102, 0
	v_mov_b32_e32 v101, 0
	;; [unrolled: 1-line block ×32, first 2 shown]
	s_add_u32 s20, s6, s8
	s_addc_u32 s21, s7, s9
	s_and_saveexec_b32 s15, s4
	s_cbranch_execz .LBB314_4200
; %bb.2083:
	buffer_load_dword v7, off, s[0:3], s32 offset:1284 ; 4-byte Folded Reload
	v_max_i32_e32 v30, v30, v16
	s_load_dword s4, s[20:21], 0x0
	v_mov_b32_e32 v3, 0
	v_mov_b32_e32 v55, 0x80
	;; [unrolled: 1-line block ×3, first 2 shown]
	v_cvt_f32_u32_e32 v0, v30
	v_sub_nc_u32_e32 v8, 0, v30
	v_mov_b32_e32 v103, 7
	v_mov_b32_e32 v112, 8
	;; [unrolled: 1-line block ×3, first 2 shown]
	v_rcp_iflag_f32_e32 v6, v0
	v_add_co_u32 v0, vcc_lo, v22, v12
	v_add_co_ci_u32_e64 v1, null, v11, v17, vcc_lo
	v_mov_b32_e32 v25, 0
	buffer_store_dword v0, off, s[0:3], s32 offset:236 ; 4-byte Folded Spill
	buffer_store_dword v1, off, s[0:3], s32 offset:240 ; 4-byte Folded Spill
	v_add_nc_u32_e32 v0, -1, v13
	v_mul_f32_e32 v6, 0x4f7ffffe, v6
	v_mov_b32_e32 v28, 0
	v_mov_b32_e32 v29, 0
	;; [unrolled: 1-line block ×3, first 2 shown]
	buffer_store_dword v0, off, s[0:3], s32 offset:244 ; 4-byte Folded Spill
	s_clause 0x1
	buffer_load_dword v4, off, s[0:3], s32 offset:200
	buffer_load_dword v5, off, s[0:3], s32 offset:204
	v_cvt_u32_f32_e32 v6, v6
	v_mov_b32_e32 v32, 0
	v_mov_b32_e32 v33, 0
	;; [unrolled: 1-line block ×4, first 2 shown]
	v_mul_lo_u32 v8, v8, v6
	v_mov_b32_e32 v36, 0
	v_mov_b32_e32 v65, 0
	;; [unrolled: 1-line block ×7, first 2 shown]
	v_mul_hi_u32 v9, v6, v8
	v_mov_b32_e32 v71, 0
	v_mov_b32_e32 v50, 0
	;; [unrolled: 1-line block ×7, first 2 shown]
	v_add_nc_u32_e32 v19, v6, v9
	v_mov_b32_e32 v99, 0
	v_mov_b32_e32 v87, 0
	;; [unrolled: 1-line block ×8, first 2 shown]
	s_mov_b32 s22, -1
	s_mov_b32 s23, 0xffffff
	s_mov_b32 s17, 0
	s_waitcnt vmcnt(2)
	v_lshlrev_b32_e32 v2, 3, v7
	v_and_b32_e32 v7, 3, v7
	v_and_b32_e32 v0, 24, v2
	buffer_store_dword v0, off, s[0:3], s32 offset:248 ; 4-byte Folded Spill
	v_and_b32_e32 v0, 0xf8, v2
	buffer_store_dword v0, off, s[0:3], s32 offset:252 ; 4-byte Folded Spill
	v_or_b32_e32 v0, 0x1f00, v2
	v_lshlrev_b32_e32 v2, 5, v7
	buffer_store_dword v0, off, s[0:3], s32 offset:256 ; 4-byte Folded Spill
	s_clause 0x2
	buffer_load_dword v0, off, s[0:3], s32 offset:1312
	buffer_load_dword v1, off, s[0:3], s32 offset:1316
	;; [unrolled: 1-line block ×3, first 2 shown]
	s_waitcnt vmcnt(3)
	v_lshlrev_b64 v[4:5], 2, v[4:5]
	s_waitcnt vmcnt(2)
	v_add_co_u32 v4, vcc_lo, v0, v4
	s_waitcnt vmcnt(1)
	v_add_co_ci_u32_e64 v5, null, v1, v5, vcc_lo
	s_waitcnt vmcnt(0)
	v_lshl_or_b32 v2, v7, 7, v2
	v_add_co_u32 v7, vcc_lo, v14, v4
	v_add_co_ci_u32_e64 v8, null, v15, v5, vcc_lo
	s_waitcnt lgkmcnt(0)
	v_add_nc_u32_e32 v15, s4, v2
	v_mov_b32_e32 v4, 0
	s_branch .LBB314_2086
.LBB314_2084:                           ;   in Loop: Header=BB314_2086 Depth=1
	s_or_b32 exec_lo, exec_lo, s12
	v_add_f32_e32 v11, v11, v12
	v_add_f32_e32 v12, v13, v14
	;; [unrolled: 1-line block ×39, first 2 shown]
	;;#ASMSTART
	v_pk_mul_f16 v6, v41, v54;

	;;#ASMEND
	;;#ASMSTART
	v_pk_mul_f16 v10, v40, v10;

	;;#ASMEND
	;; [unrolled: 4-line block ×4, first 2 shown]
	;;#ASMSTART
	v_pk_add_f16 v6, v6, v10;

	;;#ASMEND
	;;#ASMSTART
	v_pk_add_f16 v6, v6, v9;

	;;#ASMEND
	;; [unrolled: 4-line block ×3, first 2 shown]
	v_and_b32_e32 v10, 0xffff, v2
	v_add_f32_e32 v23, v23, v11
	v_lshrrev_b32_e32 v11, 16, v2
	;;#ASMSTART
	v_cvt_f32_f16 v10, v10;
	;;#ASMEND
	v_add_f32_e32 v80, v106, v107
	v_add_f32_e32 v17, v90, v91
	;; [unrolled: 1-line block ×13, first 2 shown]
	;;#ASMSTART
	v_cvt_f32_f16 v11, v11;
	;;#ASMEND
	v_add_f32_e32 v10, v10, v11
	v_add_f32_e32 v34, v34, v80
	v_add_f32_e32 v57, v57, v17
	v_add_f32_e32 v71, v71, v14
	v_add_f32_e32 v4, v4, v12
	v_add_f32_e32 v98, v98, v13
	v_add_f32_e32 v96, v96, v5
	v_add_f32_e32 v100, v100, v2
	v_add_f32_e32 v101, v101, v6
	v_add_f32_e32 v102, v102, v9
	v_add_f32_e32 v24, v24, v10
.LBB314_2085:                           ;   in Loop: Header=BB314_2086 Depth=1
	s_or_b32 exec_lo, exec_lo, s19
	s_clause 0x1
	buffer_load_dword v5, off, s[0:3], s32 offset:200
	buffer_load_dword v6, off, s[0:3], s32 offset:204
	v_mov_b32_e32 v10, v0
	v_add_co_u32 v7, s4, v7, 16
	v_add_co_ci_u32_e64 v8, null, 0, v8, s4
	v_add_nc_u32_e32 v10, 0x80, v10
	v_add_nc_u32_e32 v15, 0x200, v15
	s_waitcnt vmcnt(1)
	v_add_nc_u32_e32 v5, 4, v5
	v_mov_b32_e32 v2, v5
	buffer_store_dword v2, off, s[0:3], s32 offset:200 ; 4-byte Folded Spill
	buffer_store_dword v3, off, s[0:3], s32 offset:204 ; 4-byte Folded Spill
	buffer_load_dword v1, off, s[0:3], s32 offset:224 ; 4-byte Folded Reload
	s_waitcnt vmcnt(0)
	v_cmp_ge_i32_e32 vcc_lo, v5, v1
	s_or_b32 s17, vcc_lo, s17
	s_andn2_b32 exec_lo, exec_lo, s17
	s_cbranch_execz .LBB314_4199
.LBB314_2086:                           ; =>This Inner Loop Header: Depth=1
	s_clause 0x1
	buffer_load_dword v5, off, s[0:3], s32 offset:228
	buffer_load_dword v11, off, s[0:3], s32 offset:220
	v_sub_nc_u32_e32 v2, 0, v10
	v_mov_b32_e32 v1, v10
	v_max_i32_e32 v2, v10, v2
	buffer_load_dword v10, off, s[0:3], s32 offset:208 ; 4-byte Folded Reload
	v_mov_b32_e32 v0, v1
	s_waitcnt vmcnt(2)
	v_mul_hi_u32 v5, v2, v5
	s_waitcnt vmcnt(0)
	v_mul_lo_u32 v6, v5, v10
	v_sub_nc_u32_e32 v2, v2, v6
	v_add_nc_u32_e32 v6, 1, v5
	v_sub_nc_u32_e32 v9, v2, v10
	v_cmp_ge_u32_e32 vcc_lo, v2, v10
	v_cndmask_b32_e32 v5, v5, v6, vcc_lo
	v_cndmask_b32_e32 v2, v2, v9, vcc_lo
	v_ashrrev_i32_e32 v6, 31, v1
	v_add_nc_u32_e32 v9, 1, v5
	v_cmp_ge_u32_e32 vcc_lo, v2, v10
	v_xor_b32_e32 v6, v6, v11
	v_cndmask_b32_e32 v2, v5, v9, vcc_lo
	v_xor_b32_e32 v2, v2, v6
	v_sub_nc_u32_e32 v2, v2, v6
	s_clause 0x2
	buffer_load_dword v5, off, s[0:3], s32 offset:212
	buffer_load_dword v6, off, s[0:3], s32 offset:216
	;; [unrolled: 1-line block ×3, first 2 shown]
	s_waitcnt vmcnt(2)
	v_add_nc_u32_e32 v5, v2, v5
	s_waitcnt vmcnt(0)
	v_cmp_gt_i32_e64 s4, v2, v1
	v_sub_nc_u32_e32 v6, 0, v5
	v_max_i32_e32 v6, v5, v6
	v_ashrrev_i32_e32 v5, 31, v5
	v_mul_hi_u32 v9, v6, v19
	v_mul_lo_u32 v9, v9, v30
	v_sub_nc_u32_e32 v6, v6, v9
	v_sub_nc_u32_e32 v9, v6, v30
	v_cmp_ge_u32_e32 vcc_lo, v6, v30
	v_cndmask_b32_e32 v6, v6, v9, vcc_lo
	v_sub_nc_u32_e32 v9, v6, v30
	v_cmp_ge_u32_e32 vcc_lo, v6, v30
	v_cndmask_b32_e32 v6, v6, v9, vcc_lo
	v_xor_b32_e32 v6, v6, v5
	v_sub_nc_u32_e32 v5, v6, v5
	v_cmp_eq_u32_e32 vcc_lo, 0, v5
	s_or_b32 s4, vcc_lo, s4
	s_and_saveexec_b32 s19, s4
	s_cbranch_execz .LBB314_2085
; %bb.2087:                             ;   in Loop: Header=BB314_2086 Depth=1
	flat_load_dword v2, v[7:8]
	ds_read2_b64 v[11:14], v15 offset1:1
	ds_read2_b64 v[51:54], v15 offset0:2 offset1:3
	s_clause 0x2
	buffer_load_dword v5, off, s[0:3], s32 offset:816
	buffer_load_dword v9, off, s[0:3], s32 offset:236
	;; [unrolled: 1-line block ×3, first 2 shown]
	v_mov_b32_e32 v48, 0
	v_mov_b32_e32 v49, 0
	s_waitcnt lgkmcnt(1)
	;;#ASMSTART
	v_cvt_f16_f32 v18, v11;

	;;#ASMEND
	s_waitcnt vmcnt(0)
	v_mad_i64_i32 v[9:10], null, v2, v5, v[9:10]
	;;#ASMSTART
	v_cvt_f16_f32 v5, v12;

	;;#ASMEND
	;;#ASMSTART
	v_cvt_f16_f32 v22, v13;

	;;#ASMEND
	;; [unrolled: 4-line block ×3, first 2 shown]
	buffer_load_dword v1, off, s[0:3], s32 offset:252 ; 4-byte Folded Reload
	s_waitcnt lgkmcnt(0)
	;;#ASMSTART
	v_cvt_f16_f32 v37, v51;

	;;#ASMEND
	;;#ASMSTART
	v_cvt_f16_f32 v16, v52;

	;;#ASMEND
	;; [unrolled: 4-line block ×4, first 2 shown]
	s_waitcnt vmcnt(0)
	v_add_co_u32 v11, vcc_lo, v9, v1
	v_add_co_ci_u32_e64 v12, null, 0, v10, vcc_lo
	flat_load_dwordx2 v[13:14], v[11:12]
	flat_load_dword v39, v[26:27]
	s_waitcnt vmcnt(1) lgkmcnt(1)
	v_cmp_ne_u16_sdwa s5, v13, v3 src0_sel:BYTE_0 src1_sel:DWORD
	s_and_saveexec_b32 s4, s5
	s_cbranch_execz .LBB314_2095
; %bb.2088:                             ;   in Loop: Header=BB314_2086 Depth=1
	v_cmp_ne_u16_sdwa s6, v13, v55 src0_sel:BYTE_0 src1_sel:DWORD
	v_mov_b32_e32 v49, 0x8000
	s_and_saveexec_b32 s5, s6
	s_cbranch_execz .LBB314_2094
; %bb.2089:                             ;   in Loop: Header=BB314_2086 Depth=1
	v_and_b32_e32 v51, 0x7f, v13
	v_mov_b32_e32 v49, 0x7c01
	s_mov_b32 s6, exec_lo
	v_cmpx_ne_u32_e32 0x7f, v51
	s_cbranch_execz .LBB314_2093
; %bb.2090:                             ;   in Loop: Header=BB314_2086 Depth=1
	v_and_b32_e32 v2, 7, v13
	v_lshrrev_b32_e32 v49, 3, v51
	s_mov_b32 s7, exec_lo
	v_cmpx_gt_u32_e32 8, v51
; %bb.2091:                             ;   in Loop: Header=BB314_2086 Depth=1
	v_ffbh_u32_e32 v2, v2
	v_min_u32_e32 v2, 32, v2
	v_subrev_nc_u32_e32 v49, 28, v2
	v_lshlrev_b64 v[51:52], v49, v[13:14]
	v_sub_nc_u32_e32 v49, 29, v2
	v_and_b32_e32 v2, 7, v51
; %bb.2092:                             ;   in Loop: Header=BB314_2086 Depth=1
	s_or_b32 exec_lo, exec_lo, s7
	v_lshlrev_b32_e32 v51, 8, v13
	v_lshl_add_u32 v49, v49, 10, 0x2000
	v_lshlrev_b32_e32 v2, 7, v2
	v_and_b32_e32 v51, 0x8000, v51
	v_and_b32_e32 v49, 0xfc00, v49
	v_or3_b32 v49, v51, v49, v2
.LBB314_2093:                           ;   in Loop: Header=BB314_2086 Depth=1
	s_or_b32 exec_lo, exec_lo, s6
.LBB314_2094:                           ;   in Loop: Header=BB314_2086 Depth=1
	s_or_b32 exec_lo, exec_lo, s5
.LBB314_2095:                           ;   in Loop: Header=BB314_2086 Depth=1
	s_or_b32 exec_lo, exec_lo, s4
	v_lshrrev_b16 v2, 8, v13
	s_mov_b32 s4, exec_lo
	v_cmpx_ne_u16_e32 0, v2
	s_cbranch_execz .LBB314_2103
; %bb.2096:                             ;   in Loop: Header=BB314_2086 Depth=1
	v_bfrev_b32_e32 v48, 1
	s_mov_b32 s5, exec_lo
	v_cmpx_ne_u16_e32 0x80, v2
	s_cbranch_execz .LBB314_2102
; %bb.2097:                             ;   in Loop: Header=BB314_2086 Depth=1
	v_and_b32_sdwa v52, v2, v64 dst_sel:DWORD dst_unused:UNUSED_PAD src0_sel:WORD_0 src1_sel:DWORD
	v_mov_b32_e32 v48, 0x7c010000
	s_mov_b32 s6, exec_lo
	v_cmpx_ne_u32_e32 0x7f, v52
	s_cbranch_execz .LBB314_2101
; %bb.2098:                             ;   in Loop: Header=BB314_2086 Depth=1
	v_and_b32_sdwa v48, v2, v103 dst_sel:DWORD dst_unused:UNUSED_PAD src0_sel:WORD_0 src1_sel:DWORD
	v_lshrrev_b32_e32 v51, 3, v52
	s_mov_b32 s7, exec_lo
	v_cmpx_gt_u32_e32 8, v52
; %bb.2099:                             ;   in Loop: Header=BB314_2086 Depth=1
	v_ffbh_u32_e32 v48, v48
	v_min_u32_e32 v48, 32, v48
	v_subrev_nc_u32_e32 v51, 28, v48
	v_lshlrev_b64 v[52:53], v51, v[2:3]
	v_sub_nc_u32_e32 v51, 29, v48
	v_and_b32_e32 v48, 7, v52
; %bb.2100:                             ;   in Loop: Header=BB314_2086 Depth=1
	s_or_b32 exec_lo, exec_lo, s7
	v_lshlrev_b32_sdwa v2, v112, v2 dst_sel:DWORD dst_unused:UNUSED_PAD src0_sel:DWORD src1_sel:WORD_0
	v_lshl_add_u32 v51, v51, 10, 0x2000
	v_lshlrev_b32_e32 v48, 23, v48
	v_and_or_b32 v2, 0x8000, v2, v51
	v_lshl_or_b32 v48, v2, 16, v48
.LBB314_2101:                           ;   in Loop: Header=BB314_2086 Depth=1
	s_or_b32 exec_lo, exec_lo, s6
.LBB314_2102:                           ;   in Loop: Header=BB314_2086 Depth=1
	s_or_b32 exec_lo, exec_lo, s5
.LBB314_2103:                           ;   in Loop: Header=BB314_2086 Depth=1
	s_or_b32 exec_lo, exec_lo, s4
	v_lshrrev_b32_e32 v2, 16, v13
	v_mov_b32_e32 v51, 0
	v_mov_b32_e32 v52, 0
	v_cmp_ne_u16_sdwa s5, v2, v3 src0_sel:BYTE_0 src1_sel:DWORD
	s_and_saveexec_b32 s4, s5
	s_cbranch_execz .LBB314_2111
; %bb.2104:                             ;   in Loop: Header=BB314_2086 Depth=1
	v_cmp_ne_u16_sdwa s6, v2, v55 src0_sel:BYTE_0 src1_sel:DWORD
	v_mov_b32_e32 v52, 0x8000
	s_and_saveexec_b32 s5, s6
	s_cbranch_execz .LBB314_2110
; %bb.2105:                             ;   in Loop: Header=BB314_2086 Depth=1
	v_bfe_u32 v54, v13, 16, 7
	v_mov_b32_e32 v52, 0x7c01
	s_mov_b32 s6, exec_lo
	v_cmpx_ne_u32_e32 0x7f, v54
	s_cbranch_execz .LBB314_2109
; %bb.2106:                             ;   in Loop: Header=BB314_2086 Depth=1
	v_and_b32_e32 v52, 7, v2
	v_lshrrev_b32_e32 v53, 3, v54
	s_mov_b32 s7, exec_lo
	v_cmpx_gt_u32_e32 8, v54
; %bb.2107:                             ;   in Loop: Header=BB314_2086 Depth=1
	v_ffbh_u32_e32 v52, v52
	v_min_u32_e32 v54, 32, v52
	v_subrev_nc_u32_e32 v52, 28, v54
	v_lshlrev_b64 v[52:53], v52, v[2:3]
	v_sub_nc_u32_e32 v53, 29, v54
	v_and_b32_e32 v52, 7, v52
; %bb.2108:                             ;   in Loop: Header=BB314_2086 Depth=1
	s_or_b32 exec_lo, exec_lo, s7
	v_lshlrev_b32_e32 v2, 8, v2
	v_lshl_add_u32 v53, v53, 10, 0x2000
	v_lshlrev_b32_e32 v52, 7, v52
	v_and_b32_e32 v2, 0x8000, v2
	v_and_b32_e32 v53, 0xfc00, v53
	v_or3_b32 v52, v2, v53, v52
.LBB314_2109:                           ;   in Loop: Header=BB314_2086 Depth=1
	s_or_b32 exec_lo, exec_lo, s6
.LBB314_2110:                           ;   in Loop: Header=BB314_2086 Depth=1
	s_or_b32 exec_lo, exec_lo, s5
.LBB314_2111:                           ;   in Loop: Header=BB314_2086 Depth=1
	s_or_b32 exec_lo, exec_lo, s4
	s_mov_b32 s4, exec_lo
	v_cmpx_lt_u32_e32 0xffffff, v13
	s_cbranch_execz .LBB314_2119
; %bb.2112:                             ;   in Loop: Header=BB314_2086 Depth=1
	v_lshrrev_b32_e32 v2, 24, v13
	v_bfrev_b32_e32 v51, 1
	s_mov_b32 s5, exec_lo
	v_cmpx_ne_u32_e32 0x80, v2
	s_cbranch_execz .LBB314_2118
; %bb.2113:                             ;   in Loop: Header=BB314_2086 Depth=1
	v_and_b32_e32 v54, 0x7f, v2
	v_mov_b32_e32 v51, 0x7c010000
	s_mov_b32 s6, exec_lo
	v_cmpx_ne_u32_e32 0x7f, v54
	s_cbranch_execz .LBB314_2117
; %bb.2114:                             ;   in Loop: Header=BB314_2086 Depth=1
	v_and_b32_e32 v51, 7, v2
	v_lshrrev_b32_e32 v53, 3, v54
	s_mov_b32 s7, exec_lo
	v_cmpx_gt_u32_e32 8, v54
; %bb.2115:                             ;   in Loop: Header=BB314_2086 Depth=1
	v_ffbh_u32_e32 v51, v51
	v_min_u32_e32 v51, 32, v51
	v_subrev_nc_u32_e32 v53, 28, v51
	v_lshlrev_b64 v[66:67], v53, v[2:3]
	v_sub_nc_u32_e32 v53, 29, v51
	v_and_b32_e32 v51, 7, v66
; %bb.2116:                             ;   in Loop: Header=BB314_2086 Depth=1
	s_or_b32 exec_lo, exec_lo, s7
	v_lshlrev_b32_e32 v2, 8, v2
	v_lshl_add_u32 v53, v53, 10, 0x2000
	v_lshlrev_b32_e32 v51, 23, v51
	v_and_or_b32 v2, 0x8000, v2, v53
	v_lshl_or_b32 v51, v2, 16, v51
.LBB314_2117:                           ;   in Loop: Header=BB314_2086 Depth=1
	s_or_b32 exec_lo, exec_lo, s6
.LBB314_2118:                           ;   in Loop: Header=BB314_2086 Depth=1
	s_or_b32 exec_lo, exec_lo, s5
.LBB314_2119:                           ;   in Loop: Header=BB314_2086 Depth=1
	s_or_b32 exec_lo, exec_lo, s4
	v_mov_b32_e32 v2, v14
	v_cmp_ne_u16_sdwa s5, v14, v3 src0_sel:BYTE_0 src1_sel:DWORD
	v_mov_b32_e32 v53, 0
	v_mov_b32_e32 v66, 0
	s_and_saveexec_b32 s4, s5
	s_cbranch_execz .LBB314_2127
; %bb.2120:                             ;   in Loop: Header=BB314_2086 Depth=1
	v_cmp_ne_u16_sdwa s6, v14, v55 src0_sel:BYTE_0 src1_sel:DWORD
	v_mov_b32_e32 v66, 0x8000
	s_and_saveexec_b32 s5, s6
	s_cbranch_execz .LBB314_2126
; %bb.2121:                             ;   in Loop: Header=BB314_2086 Depth=1
	v_and_b32_e32 v67, 0x7f, v14
	v_mov_b32_e32 v66, 0x7c01
	s_mov_b32 s6, exec_lo
	v_cmpx_ne_u32_e32 0x7f, v67
	s_cbranch_execz .LBB314_2125
; %bb.2122:                             ;   in Loop: Header=BB314_2086 Depth=1
	v_and_b32_e32 v54, 7, v14
	v_lshrrev_b32_e32 v66, 3, v67
	s_mov_b32 s7, exec_lo
	v_cmpx_gt_u32_e32 8, v67
; %bb.2123:                             ;   in Loop: Header=BB314_2086 Depth=1
	v_ffbh_u32_e32 v54, v54
	v_min_u32_e32 v54, 32, v54
	v_subrev_nc_u32_e32 v66, 28, v54
	v_lshlrev_b64 v[113:114], v66, v[2:3]
	v_sub_nc_u32_e32 v66, 29, v54
	v_and_b32_e32 v54, 7, v113
; %bb.2124:                             ;   in Loop: Header=BB314_2086 Depth=1
	s_or_b32 exec_lo, exec_lo, s7
	v_lshlrev_b32_e32 v67, 8, v14
	v_lshl_add_u32 v66, v66, 10, 0x2000
	v_lshlrev_b32_e32 v54, 7, v54
	v_and_b32_e32 v67, 0x8000, v67
	v_and_b32_e32 v66, 0xfc00, v66
	v_or3_b32 v66, v67, v66, v54
.LBB314_2125:                           ;   in Loop: Header=BB314_2086 Depth=1
	s_or_b32 exec_lo, exec_lo, s6
.LBB314_2126:                           ;   in Loop: Header=BB314_2086 Depth=1
	s_or_b32 exec_lo, exec_lo, s5
.LBB314_2127:                           ;   in Loop: Header=BB314_2086 Depth=1
	s_or_b32 exec_lo, exec_lo, s4
	v_lshrrev_b16 v2, 8, v2
	v_mov_b32_e32 v67, 0
	s_mov_b32 s4, exec_lo
	v_cmpx_ne_u16_e32 0, v2
	s_cbranch_execz .LBB314_2135
; %bb.2128:                             ;   in Loop: Header=BB314_2086 Depth=1
	v_bfrev_b32_e32 v67, 1
	s_mov_b32 s5, exec_lo
	v_cmpx_ne_u16_e32 0x80, v2
	s_cbranch_execz .LBB314_2134
; %bb.2129:                             ;   in Loop: Header=BB314_2086 Depth=1
	v_and_b32_sdwa v80, v2, v64 dst_sel:DWORD dst_unused:UNUSED_PAD src0_sel:WORD_0 src1_sel:DWORD
	v_mov_b32_e32 v67, 0x7c010000
	s_mov_b32 s6, exec_lo
	v_cmpx_ne_u32_e32 0x7f, v80
	s_cbranch_execz .LBB314_2133
; %bb.2130:                             ;   in Loop: Header=BB314_2086 Depth=1
	v_and_b32_sdwa v54, v2, v103 dst_sel:DWORD dst_unused:UNUSED_PAD src0_sel:WORD_0 src1_sel:DWORD
	v_lshrrev_b32_e32 v67, 3, v80
	s_mov_b32 s7, exec_lo
	v_cmpx_gt_u32_e32 8, v80
; %bb.2131:                             ;   in Loop: Header=BB314_2086 Depth=1
	v_ffbh_u32_e32 v54, v54
	v_min_u32_e32 v54, 32, v54
	v_subrev_nc_u32_e32 v67, 28, v54
	v_lshlrev_b64 v[113:114], v67, v[2:3]
	v_sub_nc_u32_e32 v67, 29, v54
	v_and_b32_e32 v54, 7, v113
; %bb.2132:                             ;   in Loop: Header=BB314_2086 Depth=1
	s_or_b32 exec_lo, exec_lo, s7
	v_lshlrev_b32_sdwa v2, v112, v2 dst_sel:DWORD dst_unused:UNUSED_PAD src0_sel:DWORD src1_sel:WORD_0
	v_lshl_add_u32 v67, v67, 10, 0x2000
	v_lshlrev_b32_e32 v54, 23, v54
	v_and_or_b32 v2, 0x8000, v2, v67
	v_lshl_or_b32 v67, v2, 16, v54
.LBB314_2133:                           ;   in Loop: Header=BB314_2086 Depth=1
	s_or_b32 exec_lo, exec_lo, s6
.LBB314_2134:                           ;   in Loop: Header=BB314_2086 Depth=1
	s_or_b32 exec_lo, exec_lo, s5
.LBB314_2135:                           ;   in Loop: Header=BB314_2086 Depth=1
	s_or_b32 exec_lo, exec_lo, s4
	v_lshrrev_b32_e32 v2, 16, v14
	v_cmp_ne_u16_sdwa s5, v2, v3 src0_sel:BYTE_0 src1_sel:DWORD
	s_and_saveexec_b32 s4, s5
	s_cbranch_execz .LBB314_2143
; %bb.2136:                             ;   in Loop: Header=BB314_2086 Depth=1
	v_cmp_ne_u16_sdwa s6, v2, v55 src0_sel:BYTE_0 src1_sel:DWORD
	v_mov_b32_e32 v53, 0x8000
	s_and_saveexec_b32 s5, s6
	s_cbranch_execz .LBB314_2142
; %bb.2137:                             ;   in Loop: Header=BB314_2086 Depth=1
	v_bfe_u32 v80, v14, 16, 7
	v_mov_b32_e32 v53, 0x7c01
	s_mov_b32 s6, exec_lo
	v_cmpx_ne_u32_e32 0x7f, v80
	s_cbranch_execz .LBB314_2141
; %bb.2138:                             ;   in Loop: Header=BB314_2086 Depth=1
	v_and_b32_e32 v53, 7, v2
	v_lshrrev_b32_e32 v54, 3, v80
	s_mov_b32 s7, exec_lo
	v_cmpx_gt_u32_e32 8, v80
; %bb.2139:                             ;   in Loop: Header=BB314_2086 Depth=1
	v_ffbh_u32_e32 v53, v53
	v_min_u32_e32 v80, 32, v53
	v_subrev_nc_u32_e32 v53, 28, v80
	v_lshlrev_b64 v[53:54], v53, v[2:3]
	v_sub_nc_u32_e32 v54, 29, v80
	v_and_b32_e32 v53, 7, v53
; %bb.2140:                             ;   in Loop: Header=BB314_2086 Depth=1
	s_or_b32 exec_lo, exec_lo, s7
	v_lshlrev_b32_e32 v2, 8, v2
	v_lshl_add_u32 v54, v54, 10, 0x2000
	v_lshlrev_b32_e32 v53, 7, v53
	v_and_b32_e32 v2, 0x8000, v2
	v_and_b32_e32 v54, 0xfc00, v54
	v_or3_b32 v53, v2, v54, v53
.LBB314_2141:                           ;   in Loop: Header=BB314_2086 Depth=1
	s_or_b32 exec_lo, exec_lo, s6
.LBB314_2142:                           ;   in Loop: Header=BB314_2086 Depth=1
	s_or_b32 exec_lo, exec_lo, s5
.LBB314_2143:                           ;   in Loop: Header=BB314_2086 Depth=1
	s_or_b32 exec_lo, exec_lo, s4
	v_cmp_lt_u64_e32 vcc_lo, s[22:23], v[13:14]
	v_mov_b32_e32 v13, 0
	s_and_saveexec_b32 s4, vcc_lo
	s_cbranch_execz .LBB314_2151
; %bb.2144:                             ;   in Loop: Header=BB314_2086 Depth=1
	v_lshrrev_b32_e32 v2, 24, v14
	v_bfrev_b32_e32 v13, 1
	s_mov_b32 s5, exec_lo
	v_cmpx_ne_u32_e32 0x80, v2
	s_cbranch_execz .LBB314_2150
; %bb.2145:                             ;   in Loop: Header=BB314_2086 Depth=1
	v_and_b32_e32 v54, 0x7f, v2
	v_mov_b32_e32 v13, 0x7c010000
	s_mov_b32 s6, exec_lo
	v_cmpx_ne_u32_e32 0x7f, v54
	s_cbranch_execz .LBB314_2149
; %bb.2146:                             ;   in Loop: Header=BB314_2086 Depth=1
	v_and_b32_e32 v13, 7, v2
	v_lshrrev_b32_e32 v14, 3, v54
	s_mov_b32 s7, exec_lo
	v_cmpx_gt_u32_e32 8, v54
; %bb.2147:                             ;   in Loop: Header=BB314_2086 Depth=1
	v_ffbh_u32_e32 v13, v13
	v_min_u32_e32 v54, 32, v13
	v_subrev_nc_u32_e32 v13, 28, v54
	v_lshlrev_b64 v[13:14], v13, v[2:3]
	v_sub_nc_u32_e32 v14, 29, v54
	v_and_b32_e32 v13, 7, v13
; %bb.2148:                             ;   in Loop: Header=BB314_2086 Depth=1
	s_or_b32 exec_lo, exec_lo, s7
	v_lshlrev_b32_e32 v2, 8, v2
	v_lshl_add_u32 v14, v14, 10, 0x2000
	v_lshlrev_b32_e32 v13, 23, v13
	v_and_or_b32 v2, 0x8000, v2, v14
	v_lshl_or_b32 v13, v2, 16, v13
.LBB314_2149:                           ;   in Loop: Header=BB314_2086 Depth=1
	s_or_b32 exec_lo, exec_lo, s6
.LBB314_2150:                           ;   in Loop: Header=BB314_2086 Depth=1
	s_or_b32 exec_lo, exec_lo, s5
.LBB314_2151:                           ;   in Loop: Header=BB314_2086 Depth=1
	s_or_b32 exec_lo, exec_lo, s4
	buffer_load_dword v1, off, s[0:3], s32 offset:248 ; 4-byte Folded Reload
	v_or_b32_e32 v52, v51, v52
	s_waitcnt vmcnt(1) lgkmcnt(0)
	v_fma_mixlo_f16 v51, v39, v51, 0 op_sel:[0,1,0] op_sel_hi:[0,1,0]
	s_waitcnt vmcnt(0)
	v_add_nc_u32_e32 v2, v1, v0
	s_clause 0x2
	buffer_load_dword v113, off, s[0:3], s32 offset:200
	buffer_load_dword v114, off, s[0:3], s32 offset:204
	;; [unrolled: 1-line block ×3, first 2 shown]
	v_add_nc_u32_e32 v14, 1, v2
	v_add_nc_u32_e32 v80, 3, v2
	;; [unrolled: 1-line block ×5, first 2 shown]
	s_waitcnt vmcnt(0)
	v_cmp_eq_u32_e64 s4, v1, v113
	buffer_load_dword v113, off, s[0:3], s32 offset:752 ; 4-byte Folded Reload
	s_waitcnt vmcnt(0)
	v_cmp_lt_i32_e64 s7, v14, v113
	v_add_nc_u32_e32 v14, 6, v2
	v_cmp_lt_i32_e32 vcc_lo, v2, v113
	v_cmp_lt_i32_e64 s6, v80, v113
	v_add_nc_u32_e32 v80, 7, v2
	v_lshlrev_b32_e32 v2, 16, v51
	v_cmp_lt_i32_e64 s10, v14, v113
	v_fma_mixlo_f16 v14, v39, v52, 0 op_sel_hi:[0,1,0]
	v_fma_mixlo_f16 v52, v39, v48, 0 op_sel:[0,1,0] op_sel_hi:[0,1,0]
	v_or_b32_e32 v48, v48, v49
	v_or_b32_e32 v49, v67, v66
	v_cmp_lt_i32_e64 s5, v54, v113
	v_and_b32_e32 v14, 0xffff, v14
	v_lshlrev_b32_e32 v51, 16, v52
	v_or_b32_e32 v52, v13, v53
	v_fma_mixlo_f16 v48, v39, v48, 0 op_sel_hi:[0,1,0]
	v_fma_mixlo_f16 v53, v39, v67, 0 op_sel:[0,1,0] op_sel_hi:[0,1,0]
	v_fma_mixlo_f16 v49, v39, v49, 0 op_sel_hi:[0,1,0]
	v_fma_mixlo_f16 v13, v39, v13, 0 op_sel:[0,1,0] op_sel_hi:[0,1,0]
	v_fma_mixlo_f16 v39, v39, v52, 0 op_sel_hi:[0,1,0]
	v_and_b32_e32 v67, 0xffff, v48
	v_lshlrev_b32_e32 v53, 16, v53
	v_and_b32_e32 v66, 0xffff, v49
	v_lshlrev_b32_e32 v52, 16, v13
	v_and_b32_e32 v54, 0xffff, v39
	v_cmp_lt_i32_e64 s8, v86, v113
	v_cmp_lt_i32_e64 s9, v97, v113
	;; [unrolled: 1-line block ×3, first 2 shown]
	v_or_b32_e32 v13, v2, v14
	v_or_b32_e32 v39, v51, v67
	;; [unrolled: 1-line block ×4, first 2 shown]
	s_and_saveexec_b32 s12, s4
	s_cbranch_execz .LBB314_2153
; %bb.2152:                             ;   in Loop: Header=BB314_2086 Depth=1
	v_cndmask_b32_e32 v13, 0, v67, vcc_lo
	v_cndmask_b32_e64 v39, 0, v51, s7
	v_cndmask_b32_e64 v14, 0, v14, s5
	;; [unrolled: 1-line block ×7, first 2 shown]
	v_or_b32_e32 v39, v13, v39
	v_or_b32_e32 v13, v14, v2
	;; [unrolled: 1-line block ×4, first 2 shown]
.LBB314_2153:                           ;   in Loop: Header=BB314_2086 Depth=1
	s_or_b32 exec_lo, exec_lo, s12
	v_and_b32_e32 v2, 0xffff, v18
	v_and_b32_e32 v14, 0xffff, v22
	;; [unrolled: 1-line block ×4, first 2 shown]
	v_lshl_or_b32 v41, v5, 16, v2
	;;#ASMSTART
	v_pk_mul_f16 v2, v41, v39;

	;;#ASMEND
	v_lshl_or_b32 v40, v6, 16, v14
	v_lshl_or_b32 v119, v16, 16, v18
	;; [unrolled: 1-line block ×3, first 2 shown]
	;;#ASMSTART
	v_pk_mul_f16 v5, v40, v13;

	;;#ASMEND
	;;#ASMSTART
	v_pk_mul_f16 v6, v119, v48;

	;;#ASMEND
	;; [unrolled: 4-line block ×3, first 2 shown]
	;;#ASMSTART
	v_pk_add_f16 v2, v2, v5;

	;;#ASMEND
	;;#ASMSTART
	v_pk_add_f16 v2, v2, v6;

	;;#ASMEND
	;; [unrolled: 4-line block ×3, first 2 shown]
	v_and_b32_e32 v5, 0xffff, v2
	v_lshrrev_b32_e32 v2, 16, v2
	;;#ASMSTART
	v_cvt_f32_f16 v59, v5;
	;;#ASMEND
	;;#ASMSTART
	v_cvt_f32_f16 v117, v2;
	;;#ASMEND
	flat_load_dwordx2 v[13:14], v[11:12] offset:256
	flat_load_dword v5, v[26:27]
	v_mov_b32_e32 v6, 0
	v_mov_b32_e32 v16, 0
	s_waitcnt vmcnt(1) lgkmcnt(1)
	v_cmp_ne_u16_sdwa s12, v13, v3 src0_sel:BYTE_0 src1_sel:DWORD
	s_and_saveexec_b32 s25, s12
	s_cbranch_execz .LBB314_2161
; %bb.2154:                             ;   in Loop: Header=BB314_2086 Depth=1
	v_cmp_ne_u16_sdwa s12, v13, v55 src0_sel:BYTE_0 src1_sel:DWORD
	v_mov_b32_e32 v16, 0x8000
	s_and_saveexec_b32 s26, s12
	s_cbranch_execz .LBB314_2160
; %bb.2155:                             ;   in Loop: Header=BB314_2086 Depth=1
	v_and_b32_e32 v17, 0x7f, v13
	v_mov_b32_e32 v16, 0x7c01
	s_mov_b32 s27, exec_lo
	v_cmpx_ne_u32_e32 0x7f, v17
	s_cbranch_execz .LBB314_2159
; %bb.2156:                             ;   in Loop: Header=BB314_2086 Depth=1
	v_and_b32_e32 v2, 7, v13
	v_lshrrev_b32_e32 v16, 3, v17
	s_mov_b32 s28, exec_lo
	v_cmpx_gt_u32_e32 8, v17
; %bb.2157:                             ;   in Loop: Header=BB314_2086 Depth=1
	v_ffbh_u32_e32 v2, v2
	v_min_u32_e32 v2, 32, v2
	v_subrev_nc_u32_e32 v16, 28, v2
	v_lshlrev_b64 v[17:18], v16, v[13:14]
	v_sub_nc_u32_e32 v16, 29, v2
	v_and_b32_e32 v2, 7, v17
; %bb.2158:                             ;   in Loop: Header=BB314_2086 Depth=1
	s_or_b32 exec_lo, exec_lo, s28
	v_lshlrev_b32_e32 v17, 8, v13
	v_lshl_add_u32 v16, v16, 10, 0x2000
	v_lshlrev_b32_e32 v2, 7, v2
	v_and_b32_e32 v17, 0x8000, v17
	v_and_b32_e32 v16, 0xfc00, v16
	v_or3_b32 v16, v17, v16, v2
.LBB314_2159:                           ;   in Loop: Header=BB314_2086 Depth=1
	s_or_b32 exec_lo, exec_lo, s27
.LBB314_2160:                           ;   in Loop: Header=BB314_2086 Depth=1
	s_or_b32 exec_lo, exec_lo, s26
.LBB314_2161:                           ;   in Loop: Header=BB314_2086 Depth=1
	s_or_b32 exec_lo, exec_lo, s25
	v_lshrrev_b16 v2, 8, v13
	s_mov_b32 s25, exec_lo
	v_cmpx_ne_u16_e32 0, v2
	s_cbranch_execz .LBB314_2169
; %bb.2162:                             ;   in Loop: Header=BB314_2086 Depth=1
	v_bfrev_b32_e32 v6, 1
	s_mov_b32 s26, exec_lo
	v_cmpx_ne_u16_e32 0x80, v2
	s_cbranch_execz .LBB314_2168
; %bb.2163:                             ;   in Loop: Header=BB314_2086 Depth=1
	v_and_b32_sdwa v18, v2, v64 dst_sel:DWORD dst_unused:UNUSED_PAD src0_sel:WORD_0 src1_sel:DWORD
	v_mov_b32_e32 v6, 0x7c010000
	s_mov_b32 s27, exec_lo
	v_cmpx_ne_u32_e32 0x7f, v18
	s_cbranch_execz .LBB314_2167
; %bb.2164:                             ;   in Loop: Header=BB314_2086 Depth=1
	v_and_b32_sdwa v6, v2, v103 dst_sel:DWORD dst_unused:UNUSED_PAD src0_sel:WORD_0 src1_sel:DWORD
	v_lshrrev_b32_e32 v17, 3, v18
	s_mov_b32 s28, exec_lo
	v_cmpx_gt_u32_e32 8, v18
; %bb.2165:                             ;   in Loop: Header=BB314_2086 Depth=1
	v_ffbh_u32_e32 v6, v6
	v_min_u32_e32 v6, 32, v6
	v_subrev_nc_u32_e32 v17, 28, v6
	v_lshlrev_b64 v[37:38], v17, v[2:3]
	v_sub_nc_u32_e32 v17, 29, v6
	v_and_b32_e32 v6, 7, v37
; %bb.2166:                             ;   in Loop: Header=BB314_2086 Depth=1
	s_or_b32 exec_lo, exec_lo, s28
	v_lshlrev_b32_sdwa v2, v112, v2 dst_sel:DWORD dst_unused:UNUSED_PAD src0_sel:DWORD src1_sel:WORD_0
	v_lshl_add_u32 v17, v17, 10, 0x2000
	v_lshlrev_b32_e32 v6, 23, v6
	v_and_or_b32 v2, 0x8000, v2, v17
	v_lshl_or_b32 v6, v2, 16, v6
.LBB314_2167:                           ;   in Loop: Header=BB314_2086 Depth=1
	s_or_b32 exec_lo, exec_lo, s27
.LBB314_2168:                           ;   in Loop: Header=BB314_2086 Depth=1
	s_or_b32 exec_lo, exec_lo, s26
.LBB314_2169:                           ;   in Loop: Header=BB314_2086 Depth=1
	s_or_b32 exec_lo, exec_lo, s25
	v_lshrrev_b32_e32 v2, 16, v13
	v_mov_b32_e32 v17, 0
	v_mov_b32_e32 v18, 0
	v_cmp_ne_u16_sdwa s12, v2, v3 src0_sel:BYTE_0 src1_sel:DWORD
	s_and_saveexec_b32 s25, s12
	s_cbranch_execz .LBB314_2177
; %bb.2170:                             ;   in Loop: Header=BB314_2086 Depth=1
	v_cmp_ne_u16_sdwa s12, v2, v55 src0_sel:BYTE_0 src1_sel:DWORD
	v_mov_b32_e32 v18, 0x8000
	s_and_saveexec_b32 s26, s12
	s_cbranch_execz .LBB314_2176
; %bb.2171:                             ;   in Loop: Header=BB314_2086 Depth=1
	v_bfe_u32 v37, v13, 16, 7
	v_mov_b32_e32 v18, 0x7c01
	s_mov_b32 s27, exec_lo
	v_cmpx_ne_u32_e32 0x7f, v37
	s_cbranch_execz .LBB314_2175
; %bb.2172:                             ;   in Loop: Header=BB314_2086 Depth=1
	v_and_b32_e32 v18, 7, v2
	v_lshrrev_b32_e32 v22, 3, v37
	s_mov_b32 s28, exec_lo
	v_cmpx_gt_u32_e32 8, v37
; %bb.2173:                             ;   in Loop: Header=BB314_2086 Depth=1
	v_ffbh_u32_e32 v18, v18
	v_min_u32_e32 v18, 32, v18
	v_subrev_nc_u32_e32 v22, 28, v18
	v_lshlrev_b64 v[37:38], v22, v[2:3]
	v_sub_nc_u32_e32 v22, 29, v18
	v_and_b32_e32 v18, 7, v37
; %bb.2174:                             ;   in Loop: Header=BB314_2086 Depth=1
	s_or_b32 exec_lo, exec_lo, s28
	v_lshlrev_b32_e32 v2, 8, v2
	v_lshl_add_u32 v22, v22, 10, 0x2000
	v_lshlrev_b32_e32 v18, 7, v18
	v_and_b32_e32 v2, 0x8000, v2
	v_and_b32_e32 v22, 0xfc00, v22
	v_or3_b32 v18, v2, v22, v18
.LBB314_2175:                           ;   in Loop: Header=BB314_2086 Depth=1
	s_or_b32 exec_lo, exec_lo, s27
.LBB314_2176:                           ;   in Loop: Header=BB314_2086 Depth=1
	s_or_b32 exec_lo, exec_lo, s26
.LBB314_2177:                           ;   in Loop: Header=BB314_2086 Depth=1
	s_or_b32 exec_lo, exec_lo, s25
	s_mov_b32 s25, exec_lo
	v_cmpx_lt_u32_e32 0xffffff, v13
	s_cbranch_execz .LBB314_2185
; %bb.2178:                             ;   in Loop: Header=BB314_2086 Depth=1
	v_lshrrev_b32_e32 v2, 24, v13
	v_bfrev_b32_e32 v17, 1
	s_mov_b32 s26, exec_lo
	v_cmpx_ne_u32_e32 0x80, v2
	s_cbranch_execz .LBB314_2184
; %bb.2179:                             ;   in Loop: Header=BB314_2086 Depth=1
	v_and_b32_e32 v37, 0x7f, v2
	v_mov_b32_e32 v17, 0x7c010000
	s_mov_b32 s27, exec_lo
	v_cmpx_ne_u32_e32 0x7f, v37
	s_cbranch_execz .LBB314_2183
; %bb.2180:                             ;   in Loop: Header=BB314_2086 Depth=1
	v_and_b32_e32 v17, 7, v2
	v_lshrrev_b32_e32 v22, 3, v37
	s_mov_b32 s28, exec_lo
	v_cmpx_gt_u32_e32 8, v37
; %bb.2181:                             ;   in Loop: Header=BB314_2086 Depth=1
	v_ffbh_u32_e32 v17, v17
	v_min_u32_e32 v17, 32, v17
	v_subrev_nc_u32_e32 v22, 28, v17
	v_lshlrev_b64 v[37:38], v22, v[2:3]
	v_sub_nc_u32_e32 v22, 29, v17
	v_and_b32_e32 v17, 7, v37
; %bb.2182:                             ;   in Loop: Header=BB314_2086 Depth=1
	s_or_b32 exec_lo, exec_lo, s28
	v_lshlrev_b32_e32 v2, 8, v2
	v_lshl_add_u32 v22, v22, 10, 0x2000
	v_lshlrev_b32_e32 v17, 23, v17
	v_and_or_b32 v2, 0x8000, v2, v22
	v_lshl_or_b32 v17, v2, 16, v17
.LBB314_2183:                           ;   in Loop: Header=BB314_2086 Depth=1
	s_or_b32 exec_lo, exec_lo, s27
.LBB314_2184:                           ;   in Loop: Header=BB314_2086 Depth=1
	s_or_b32 exec_lo, exec_lo, s26
.LBB314_2185:                           ;   in Loop: Header=BB314_2086 Depth=1
	s_or_b32 exec_lo, exec_lo, s25
	v_mov_b32_e32 v2, v14
	v_cmp_ne_u16_sdwa s12, v14, v3 src0_sel:BYTE_0 src1_sel:DWORD
	v_mov_b32_e32 v22, 0
	v_mov_b32_e32 v37, 0
	s_and_saveexec_b32 s25, s12
	s_cbranch_execz .LBB314_2193
; %bb.2186:                             ;   in Loop: Header=BB314_2086 Depth=1
	v_cmp_ne_u16_sdwa s12, v14, v55 src0_sel:BYTE_0 src1_sel:DWORD
	v_mov_b32_e32 v37, 0x8000
	s_and_saveexec_b32 s26, s12
	s_cbranch_execz .LBB314_2192
; %bb.2187:                             ;   in Loop: Header=BB314_2086 Depth=1
	v_and_b32_e32 v39, 0x7f, v14
	v_mov_b32_e32 v37, 0x7c01
	s_mov_b32 s27, exec_lo
	v_cmpx_ne_u32_e32 0x7f, v39
	s_cbranch_execz .LBB314_2191
; %bb.2188:                             ;   in Loop: Header=BB314_2086 Depth=1
	v_and_b32_e32 v37, 7, v14
	v_lshrrev_b32_e32 v38, 3, v39
	s_mov_b32 s28, exec_lo
	v_cmpx_gt_u32_e32 8, v39
; %bb.2189:                             ;   in Loop: Header=BB314_2086 Depth=1
	v_ffbh_u32_e32 v37, v37
	v_min_u32_e32 v39, 32, v37
	v_subrev_nc_u32_e32 v37, 28, v39
	v_lshlrev_b64 v[37:38], v37, v[2:3]
	v_sub_nc_u32_e32 v38, 29, v39
	v_and_b32_e32 v37, 7, v37
; %bb.2190:                             ;   in Loop: Header=BB314_2086 Depth=1
	s_or_b32 exec_lo, exec_lo, s28
	v_lshlrev_b32_e32 v39, 8, v14
	v_lshl_add_u32 v38, v38, 10, 0x2000
	v_lshlrev_b32_e32 v37, 7, v37
	v_and_b32_e32 v39, 0x8000, v39
	v_and_b32_e32 v38, 0xfc00, v38
	v_or3_b32 v37, v39, v38, v37
.LBB314_2191:                           ;   in Loop: Header=BB314_2086 Depth=1
	s_or_b32 exec_lo, exec_lo, s27
.LBB314_2192:                           ;   in Loop: Header=BB314_2086 Depth=1
	s_or_b32 exec_lo, exec_lo, s26
.LBB314_2193:                           ;   in Loop: Header=BB314_2086 Depth=1
	s_or_b32 exec_lo, exec_lo, s25
	v_lshrrev_b16 v2, 8, v2
	v_mov_b32_e32 v38, 0
	s_mov_b32 s25, exec_lo
	v_cmpx_ne_u16_e32 0, v2
	s_cbranch_execz .LBB314_2201
; %bb.2194:                             ;   in Loop: Header=BB314_2086 Depth=1
	v_bfrev_b32_e32 v38, 1
	s_mov_b32 s26, exec_lo
	v_cmpx_ne_u16_e32 0x80, v2
	s_cbranch_execz .LBB314_2200
; %bb.2195:                             ;   in Loop: Header=BB314_2086 Depth=1
	v_and_b32_sdwa v48, v2, v64 dst_sel:DWORD dst_unused:UNUSED_PAD src0_sel:WORD_0 src1_sel:DWORD
	v_mov_b32_e32 v38, 0x7c010000
	s_mov_b32 s27, exec_lo
	v_cmpx_ne_u32_e32 0x7f, v48
	s_cbranch_execz .LBB314_2199
; %bb.2196:                             ;   in Loop: Header=BB314_2086 Depth=1
	v_and_b32_sdwa v38, v2, v103 dst_sel:DWORD dst_unused:UNUSED_PAD src0_sel:WORD_0 src1_sel:DWORD
	v_lshrrev_b32_e32 v39, 3, v48
	s_mov_b32 s28, exec_lo
	v_cmpx_gt_u32_e32 8, v48
; %bb.2197:                             ;   in Loop: Header=BB314_2086 Depth=1
	v_ffbh_u32_e32 v38, v38
	v_min_u32_e32 v48, 32, v38
	v_subrev_nc_u32_e32 v38, 28, v48
	v_lshlrev_b64 v[38:39], v38, v[2:3]
	v_sub_nc_u32_e32 v39, 29, v48
	v_and_b32_e32 v38, 7, v38
; %bb.2198:                             ;   in Loop: Header=BB314_2086 Depth=1
	s_or_b32 exec_lo, exec_lo, s28
	v_lshlrev_b32_sdwa v2, v112, v2 dst_sel:DWORD dst_unused:UNUSED_PAD src0_sel:DWORD src1_sel:WORD_0
	v_lshl_add_u32 v39, v39, 10, 0x2000
	v_lshlrev_b32_e32 v38, 23, v38
	v_and_or_b32 v2, 0x8000, v2, v39
	v_lshl_or_b32 v38, v2, 16, v38
.LBB314_2199:                           ;   in Loop: Header=BB314_2086 Depth=1
	s_or_b32 exec_lo, exec_lo, s27
.LBB314_2200:                           ;   in Loop: Header=BB314_2086 Depth=1
	s_or_b32 exec_lo, exec_lo, s26
.LBB314_2201:                           ;   in Loop: Header=BB314_2086 Depth=1
	s_or_b32 exec_lo, exec_lo, s25
	v_lshrrev_b32_e32 v2, 16, v14
	v_cmp_ne_u16_sdwa s12, v2, v3 src0_sel:BYTE_0 src1_sel:DWORD
	s_and_saveexec_b32 s25, s12
	s_cbranch_execz .LBB314_2209
; %bb.2202:                             ;   in Loop: Header=BB314_2086 Depth=1
	v_cmp_ne_u16_sdwa s12, v2, v55 src0_sel:BYTE_0 src1_sel:DWORD
	v_mov_b32_e32 v22, 0x8000
	s_and_saveexec_b32 s26, s12
	s_cbranch_execz .LBB314_2208
; %bb.2203:                             ;   in Loop: Header=BB314_2086 Depth=1
	v_bfe_u32 v48, v14, 16, 7
	v_mov_b32_e32 v22, 0x7c01
	s_mov_b32 s27, exec_lo
	v_cmpx_ne_u32_e32 0x7f, v48
	s_cbranch_execz .LBB314_2207
; %bb.2204:                             ;   in Loop: Header=BB314_2086 Depth=1
	v_and_b32_e32 v22, 7, v2
	v_lshrrev_b32_e32 v39, 3, v48
	s_mov_b32 s28, exec_lo
	v_cmpx_gt_u32_e32 8, v48
; %bb.2205:                             ;   in Loop: Header=BB314_2086 Depth=1
	v_ffbh_u32_e32 v22, v22
	v_min_u32_e32 v22, 32, v22
	v_subrev_nc_u32_e32 v39, 28, v22
	v_lshlrev_b64 v[48:49], v39, v[2:3]
	v_sub_nc_u32_e32 v39, 29, v22
	v_and_b32_e32 v22, 7, v48
; %bb.2206:                             ;   in Loop: Header=BB314_2086 Depth=1
	s_or_b32 exec_lo, exec_lo, s28
	v_lshlrev_b32_e32 v2, 8, v2
	v_lshl_add_u32 v39, v39, 10, 0x2000
	v_lshlrev_b32_e32 v22, 7, v22
	v_and_b32_e32 v2, 0x8000, v2
	v_and_b32_e32 v39, 0xfc00, v39
	v_or3_b32 v22, v2, v39, v22
.LBB314_2207:                           ;   in Loop: Header=BB314_2086 Depth=1
	s_or_b32 exec_lo, exec_lo, s27
.LBB314_2208:                           ;   in Loop: Header=BB314_2086 Depth=1
	s_or_b32 exec_lo, exec_lo, s26
.LBB314_2209:                           ;   in Loop: Header=BB314_2086 Depth=1
	s_or_b32 exec_lo, exec_lo, s25
	v_cmp_lt_u64_e64 s12, s[22:23], v[13:14]
	v_mov_b32_e32 v13, 0
	s_and_saveexec_b32 s25, s12
	s_cbranch_execz .LBB314_2217
; %bb.2210:                             ;   in Loop: Header=BB314_2086 Depth=1
	v_lshrrev_b32_e32 v2, 24, v14
	v_bfrev_b32_e32 v13, 1
	s_mov_b32 s26, exec_lo
	v_cmpx_ne_u32_e32 0x80, v2
	s_cbranch_execz .LBB314_2216
; %bb.2211:                             ;   in Loop: Header=BB314_2086 Depth=1
	v_and_b32_e32 v39, 0x7f, v2
	v_mov_b32_e32 v13, 0x7c010000
	s_mov_b32 s27, exec_lo
	v_cmpx_ne_u32_e32 0x7f, v39
	s_cbranch_execz .LBB314_2215
; %bb.2212:                             ;   in Loop: Header=BB314_2086 Depth=1
	v_and_b32_e32 v13, 7, v2
	v_lshrrev_b32_e32 v14, 3, v39
	s_mov_b32 s28, exec_lo
	v_cmpx_gt_u32_e32 8, v39
; %bb.2213:                             ;   in Loop: Header=BB314_2086 Depth=1
	v_ffbh_u32_e32 v13, v13
	v_min_u32_e32 v39, 32, v13
	v_subrev_nc_u32_e32 v13, 28, v39
	v_lshlrev_b64 v[13:14], v13, v[2:3]
	v_sub_nc_u32_e32 v14, 29, v39
	v_and_b32_e32 v13, 7, v13
; %bb.2214:                             ;   in Loop: Header=BB314_2086 Depth=1
	s_or_b32 exec_lo, exec_lo, s28
	v_lshlrev_b32_e32 v2, 8, v2
	v_lshl_add_u32 v14, v14, 10, 0x2000
	v_lshlrev_b32_e32 v13, 23, v13
	v_and_or_b32 v2, 0x8000, v2, v14
	v_lshl_or_b32 v13, v2, 16, v13
.LBB314_2215:                           ;   in Loop: Header=BB314_2086 Depth=1
	s_or_b32 exec_lo, exec_lo, s27
.LBB314_2216:                           ;   in Loop: Header=BB314_2086 Depth=1
	s_or_b32 exec_lo, exec_lo, s26
.LBB314_2217:                           ;   in Loop: Header=BB314_2086 Depth=1
	s_or_b32 exec_lo, exec_lo, s25
	v_or_b32_e32 v2, v17, v18
	s_waitcnt vmcnt(0) lgkmcnt(0)
	v_fma_mixlo_f16 v14, v5, v17, 0 op_sel:[0,1,0] op_sel_hi:[0,1,0]
	v_or_b32_e32 v16, v6, v16
	v_fma_mixlo_f16 v6, v5, v6, 0 op_sel:[0,1,0] op_sel_hi:[0,1,0]
	v_or_b32_e32 v17, v38, v37
	v_fma_mixlo_f16 v18, v5, v2, 0 op_sel_hi:[0,1,0]
	v_or_b32_e32 v22, v13, v22
	v_lshlrev_b32_e32 v2, 16, v14
	v_lshlrev_b32_e32 v14, 16, v6
	v_fma_mixlo_f16 v16, v5, v16, 0 op_sel_hi:[0,1,0]
	v_and_b32_e32 v6, 0xffff, v18
	v_fma_mixlo_f16 v18, v5, v38, 0 op_sel:[0,1,0] op_sel_hi:[0,1,0]
	v_fma_mixlo_f16 v17, v5, v17, 0 op_sel_hi:[0,1,0]
	v_fma_mixlo_f16 v13, v5, v13, 0 op_sel:[0,1,0] op_sel_hi:[0,1,0]
	v_fma_mixlo_f16 v5, v5, v22, 0 op_sel_hi:[0,1,0]
	v_and_b32_e32 v39, 0xffff, v16
	v_lshlrev_b32_e32 v22, 16, v18
	v_and_b32_e32 v38, 0xffff, v17
	v_lshlrev_b32_e32 v18, 16, v13
	v_and_b32_e32 v37, 0xffff, v5
	v_or_b32_e32 v5, v2, v6
	v_or_b32_e32 v17, v14, v39
	;; [unrolled: 1-line block ×4, first 2 shown]
	s_and_saveexec_b32 s12, s4
	s_cbranch_execz .LBB314_2219
; %bb.2218:                             ;   in Loop: Header=BB314_2086 Depth=1
	v_cndmask_b32_e32 v5, 0, v39, vcc_lo
	v_cndmask_b32_e64 v13, 0, v14, s7
	v_cndmask_b32_e64 v6, 0, v6, s5
	;; [unrolled: 1-line block ×7, first 2 shown]
	v_or_b32_e32 v17, v5, v13
	v_or_b32_e32 v5, v6, v2
	;; [unrolled: 1-line block ×4, first 2 shown]
.LBB314_2219:                           ;   in Loop: Header=BB314_2086 Depth=1
	s_or_b32 exec_lo, exec_lo, s12
	;;#ASMSTART
	v_pk_mul_f16 v2, v41, v17;

	;;#ASMEND
	;;#ASMSTART
	v_pk_mul_f16 v5, v40, v5;

	;;#ASMEND
	;; [unrolled: 4-line block ×4, first 2 shown]
	;;#ASMSTART
	v_pk_add_f16 v2, v2, v5;

	;;#ASMEND
	;;#ASMSTART
	v_pk_add_f16 v2, v2, v6;

	;;#ASMEND
	;; [unrolled: 4-line block ×3, first 2 shown]
	v_and_b32_e32 v5, 0xffff, v2
	v_lshrrev_b32_e32 v2, 16, v2
	;;#ASMSTART
	v_cvt_f32_f16 v42, v5;
	;;#ASMEND
	;;#ASMSTART
	v_cvt_f32_f16 v43, v2;
	;;#ASMEND
	flat_load_dwordx2 v[13:14], v[11:12] offset:512
	flat_load_dword v5, v[26:27]
	v_mov_b32_e32 v6, 0
	v_mov_b32_e32 v16, 0
	s_waitcnt vmcnt(1) lgkmcnt(1)
	v_cmp_ne_u16_sdwa s12, v13, v3 src0_sel:BYTE_0 src1_sel:DWORD
	s_and_saveexec_b32 s25, s12
	s_cbranch_execz .LBB314_2227
; %bb.2220:                             ;   in Loop: Header=BB314_2086 Depth=1
	v_cmp_ne_u16_sdwa s12, v13, v55 src0_sel:BYTE_0 src1_sel:DWORD
	v_mov_b32_e32 v16, 0x8000
	s_and_saveexec_b32 s26, s12
	s_cbranch_execz .LBB314_2226
; %bb.2221:                             ;   in Loop: Header=BB314_2086 Depth=1
	v_and_b32_e32 v17, 0x7f, v13
	v_mov_b32_e32 v16, 0x7c01
	s_mov_b32 s27, exec_lo
	v_cmpx_ne_u32_e32 0x7f, v17
	s_cbranch_execz .LBB314_2225
; %bb.2222:                             ;   in Loop: Header=BB314_2086 Depth=1
	v_and_b32_e32 v2, 7, v13
	v_lshrrev_b32_e32 v16, 3, v17
	s_mov_b32 s28, exec_lo
	v_cmpx_gt_u32_e32 8, v17
; %bb.2223:                             ;   in Loop: Header=BB314_2086 Depth=1
	v_ffbh_u32_e32 v2, v2
	v_min_u32_e32 v2, 32, v2
	v_subrev_nc_u32_e32 v16, 28, v2
	v_lshlrev_b64 v[17:18], v16, v[13:14]
	v_sub_nc_u32_e32 v16, 29, v2
	v_and_b32_e32 v2, 7, v17
; %bb.2224:                             ;   in Loop: Header=BB314_2086 Depth=1
	s_or_b32 exec_lo, exec_lo, s28
	v_lshlrev_b32_e32 v17, 8, v13
	v_lshl_add_u32 v16, v16, 10, 0x2000
	v_lshlrev_b32_e32 v2, 7, v2
	v_and_b32_e32 v17, 0x8000, v17
	v_and_b32_e32 v16, 0xfc00, v16
	v_or3_b32 v16, v17, v16, v2
.LBB314_2225:                           ;   in Loop: Header=BB314_2086 Depth=1
	s_or_b32 exec_lo, exec_lo, s27
.LBB314_2226:                           ;   in Loop: Header=BB314_2086 Depth=1
	s_or_b32 exec_lo, exec_lo, s26
.LBB314_2227:                           ;   in Loop: Header=BB314_2086 Depth=1
	s_or_b32 exec_lo, exec_lo, s25
	v_lshrrev_b16 v2, 8, v13
	s_mov_b32 s25, exec_lo
	v_cmpx_ne_u16_e32 0, v2
	s_cbranch_execz .LBB314_2235
; %bb.2228:                             ;   in Loop: Header=BB314_2086 Depth=1
	v_bfrev_b32_e32 v6, 1
	s_mov_b32 s26, exec_lo
	v_cmpx_ne_u16_e32 0x80, v2
	s_cbranch_execz .LBB314_2234
; %bb.2229:                             ;   in Loop: Header=BB314_2086 Depth=1
	v_and_b32_sdwa v18, v2, v64 dst_sel:DWORD dst_unused:UNUSED_PAD src0_sel:WORD_0 src1_sel:DWORD
	v_mov_b32_e32 v6, 0x7c010000
	s_mov_b32 s27, exec_lo
	v_cmpx_ne_u32_e32 0x7f, v18
	s_cbranch_execz .LBB314_2233
; %bb.2230:                             ;   in Loop: Header=BB314_2086 Depth=1
	v_and_b32_sdwa v6, v2, v103 dst_sel:DWORD dst_unused:UNUSED_PAD src0_sel:WORD_0 src1_sel:DWORD
	v_lshrrev_b32_e32 v17, 3, v18
	s_mov_b32 s28, exec_lo
	v_cmpx_gt_u32_e32 8, v18
; %bb.2231:                             ;   in Loop: Header=BB314_2086 Depth=1
	v_ffbh_u32_e32 v6, v6
	v_min_u32_e32 v6, 32, v6
	v_subrev_nc_u32_e32 v17, 28, v6
	v_lshlrev_b64 v[37:38], v17, v[2:3]
	v_sub_nc_u32_e32 v17, 29, v6
	v_and_b32_e32 v6, 7, v37
; %bb.2232:                             ;   in Loop: Header=BB314_2086 Depth=1
	s_or_b32 exec_lo, exec_lo, s28
	v_lshlrev_b32_sdwa v2, v112, v2 dst_sel:DWORD dst_unused:UNUSED_PAD src0_sel:DWORD src1_sel:WORD_0
	v_lshl_add_u32 v17, v17, 10, 0x2000
	v_lshlrev_b32_e32 v6, 23, v6
	v_and_or_b32 v2, 0x8000, v2, v17
	v_lshl_or_b32 v6, v2, 16, v6
.LBB314_2233:                           ;   in Loop: Header=BB314_2086 Depth=1
	s_or_b32 exec_lo, exec_lo, s27
.LBB314_2234:                           ;   in Loop: Header=BB314_2086 Depth=1
	s_or_b32 exec_lo, exec_lo, s26
.LBB314_2235:                           ;   in Loop: Header=BB314_2086 Depth=1
	s_or_b32 exec_lo, exec_lo, s25
	v_lshrrev_b32_e32 v2, 16, v13
	v_mov_b32_e32 v17, 0
	v_mov_b32_e32 v18, 0
	v_cmp_ne_u16_sdwa s12, v2, v3 src0_sel:BYTE_0 src1_sel:DWORD
	s_and_saveexec_b32 s25, s12
	s_cbranch_execz .LBB314_2243
; %bb.2236:                             ;   in Loop: Header=BB314_2086 Depth=1
	v_cmp_ne_u16_sdwa s12, v2, v55 src0_sel:BYTE_0 src1_sel:DWORD
	v_mov_b32_e32 v18, 0x8000
	s_and_saveexec_b32 s26, s12
	s_cbranch_execz .LBB314_2242
; %bb.2237:                             ;   in Loop: Header=BB314_2086 Depth=1
	v_bfe_u32 v37, v13, 16, 7
	v_mov_b32_e32 v18, 0x7c01
	s_mov_b32 s27, exec_lo
	v_cmpx_ne_u32_e32 0x7f, v37
	s_cbranch_execz .LBB314_2241
; %bb.2238:                             ;   in Loop: Header=BB314_2086 Depth=1
	v_and_b32_e32 v18, 7, v2
	v_lshrrev_b32_e32 v22, 3, v37
	s_mov_b32 s28, exec_lo
	v_cmpx_gt_u32_e32 8, v37
; %bb.2239:                             ;   in Loop: Header=BB314_2086 Depth=1
	v_ffbh_u32_e32 v18, v18
	v_min_u32_e32 v18, 32, v18
	v_subrev_nc_u32_e32 v22, 28, v18
	v_lshlrev_b64 v[37:38], v22, v[2:3]
	v_sub_nc_u32_e32 v22, 29, v18
	v_and_b32_e32 v18, 7, v37
; %bb.2240:                             ;   in Loop: Header=BB314_2086 Depth=1
	s_or_b32 exec_lo, exec_lo, s28
	v_lshlrev_b32_e32 v2, 8, v2
	v_lshl_add_u32 v22, v22, 10, 0x2000
	v_lshlrev_b32_e32 v18, 7, v18
	v_and_b32_e32 v2, 0x8000, v2
	v_and_b32_e32 v22, 0xfc00, v22
	v_or3_b32 v18, v2, v22, v18
.LBB314_2241:                           ;   in Loop: Header=BB314_2086 Depth=1
	s_or_b32 exec_lo, exec_lo, s27
.LBB314_2242:                           ;   in Loop: Header=BB314_2086 Depth=1
	s_or_b32 exec_lo, exec_lo, s26
.LBB314_2243:                           ;   in Loop: Header=BB314_2086 Depth=1
	s_or_b32 exec_lo, exec_lo, s25
	s_mov_b32 s25, exec_lo
	v_cmpx_lt_u32_e32 0xffffff, v13
	s_cbranch_execz .LBB314_2251
; %bb.2244:                             ;   in Loop: Header=BB314_2086 Depth=1
	v_lshrrev_b32_e32 v2, 24, v13
	v_bfrev_b32_e32 v17, 1
	s_mov_b32 s26, exec_lo
	v_cmpx_ne_u32_e32 0x80, v2
	s_cbranch_execz .LBB314_2250
; %bb.2245:                             ;   in Loop: Header=BB314_2086 Depth=1
	v_and_b32_e32 v37, 0x7f, v2
	v_mov_b32_e32 v17, 0x7c010000
	s_mov_b32 s27, exec_lo
	v_cmpx_ne_u32_e32 0x7f, v37
	s_cbranch_execz .LBB314_2249
; %bb.2246:                             ;   in Loop: Header=BB314_2086 Depth=1
	v_and_b32_e32 v17, 7, v2
	v_lshrrev_b32_e32 v22, 3, v37
	s_mov_b32 s28, exec_lo
	v_cmpx_gt_u32_e32 8, v37
; %bb.2247:                             ;   in Loop: Header=BB314_2086 Depth=1
	v_ffbh_u32_e32 v17, v17
	v_min_u32_e32 v17, 32, v17
	v_subrev_nc_u32_e32 v22, 28, v17
	v_lshlrev_b64 v[37:38], v22, v[2:3]
	v_sub_nc_u32_e32 v22, 29, v17
	v_and_b32_e32 v17, 7, v37
; %bb.2248:                             ;   in Loop: Header=BB314_2086 Depth=1
	s_or_b32 exec_lo, exec_lo, s28
	v_lshlrev_b32_e32 v2, 8, v2
	v_lshl_add_u32 v22, v22, 10, 0x2000
	v_lshlrev_b32_e32 v17, 23, v17
	v_and_or_b32 v2, 0x8000, v2, v22
	v_lshl_or_b32 v17, v2, 16, v17
.LBB314_2249:                           ;   in Loop: Header=BB314_2086 Depth=1
	s_or_b32 exec_lo, exec_lo, s27
.LBB314_2250:                           ;   in Loop: Header=BB314_2086 Depth=1
	s_or_b32 exec_lo, exec_lo, s26
.LBB314_2251:                           ;   in Loop: Header=BB314_2086 Depth=1
	s_or_b32 exec_lo, exec_lo, s25
	v_mov_b32_e32 v2, v14
	v_cmp_ne_u16_sdwa s12, v14, v3 src0_sel:BYTE_0 src1_sel:DWORD
	v_mov_b32_e32 v22, 0
	v_mov_b32_e32 v37, 0
	s_and_saveexec_b32 s25, s12
	s_cbranch_execz .LBB314_2259
; %bb.2252:                             ;   in Loop: Header=BB314_2086 Depth=1
	v_cmp_ne_u16_sdwa s12, v14, v55 src0_sel:BYTE_0 src1_sel:DWORD
	v_mov_b32_e32 v37, 0x8000
	s_and_saveexec_b32 s26, s12
	s_cbranch_execz .LBB314_2258
; %bb.2253:                             ;   in Loop: Header=BB314_2086 Depth=1
	v_and_b32_e32 v39, 0x7f, v14
	v_mov_b32_e32 v37, 0x7c01
	s_mov_b32 s27, exec_lo
	v_cmpx_ne_u32_e32 0x7f, v39
	s_cbranch_execz .LBB314_2257
; %bb.2254:                             ;   in Loop: Header=BB314_2086 Depth=1
	v_and_b32_e32 v37, 7, v14
	v_lshrrev_b32_e32 v38, 3, v39
	s_mov_b32 s28, exec_lo
	v_cmpx_gt_u32_e32 8, v39
; %bb.2255:                             ;   in Loop: Header=BB314_2086 Depth=1
	v_ffbh_u32_e32 v37, v37
	v_min_u32_e32 v39, 32, v37
	v_subrev_nc_u32_e32 v37, 28, v39
	v_lshlrev_b64 v[37:38], v37, v[2:3]
	v_sub_nc_u32_e32 v38, 29, v39
	v_and_b32_e32 v37, 7, v37
; %bb.2256:                             ;   in Loop: Header=BB314_2086 Depth=1
	s_or_b32 exec_lo, exec_lo, s28
	v_lshlrev_b32_e32 v39, 8, v14
	v_lshl_add_u32 v38, v38, 10, 0x2000
	v_lshlrev_b32_e32 v37, 7, v37
	v_and_b32_e32 v39, 0x8000, v39
	v_and_b32_e32 v38, 0xfc00, v38
	v_or3_b32 v37, v39, v38, v37
.LBB314_2257:                           ;   in Loop: Header=BB314_2086 Depth=1
	s_or_b32 exec_lo, exec_lo, s27
.LBB314_2258:                           ;   in Loop: Header=BB314_2086 Depth=1
	s_or_b32 exec_lo, exec_lo, s26
.LBB314_2259:                           ;   in Loop: Header=BB314_2086 Depth=1
	s_or_b32 exec_lo, exec_lo, s25
	v_lshrrev_b16 v2, 8, v2
	v_mov_b32_e32 v38, 0
	s_mov_b32 s25, exec_lo
	v_cmpx_ne_u16_e32 0, v2
	s_cbranch_execz .LBB314_2267
; %bb.2260:                             ;   in Loop: Header=BB314_2086 Depth=1
	v_bfrev_b32_e32 v38, 1
	s_mov_b32 s26, exec_lo
	v_cmpx_ne_u16_e32 0x80, v2
	s_cbranch_execz .LBB314_2266
; %bb.2261:                             ;   in Loop: Header=BB314_2086 Depth=1
	v_and_b32_sdwa v48, v2, v64 dst_sel:DWORD dst_unused:UNUSED_PAD src0_sel:WORD_0 src1_sel:DWORD
	v_mov_b32_e32 v38, 0x7c010000
	s_mov_b32 s27, exec_lo
	v_cmpx_ne_u32_e32 0x7f, v48
	s_cbranch_execz .LBB314_2265
; %bb.2262:                             ;   in Loop: Header=BB314_2086 Depth=1
	v_and_b32_sdwa v38, v2, v103 dst_sel:DWORD dst_unused:UNUSED_PAD src0_sel:WORD_0 src1_sel:DWORD
	v_lshrrev_b32_e32 v39, 3, v48
	s_mov_b32 s28, exec_lo
	v_cmpx_gt_u32_e32 8, v48
; %bb.2263:                             ;   in Loop: Header=BB314_2086 Depth=1
	v_ffbh_u32_e32 v38, v38
	v_min_u32_e32 v48, 32, v38
	v_subrev_nc_u32_e32 v38, 28, v48
	v_lshlrev_b64 v[38:39], v38, v[2:3]
	v_sub_nc_u32_e32 v39, 29, v48
	v_and_b32_e32 v38, 7, v38
; %bb.2264:                             ;   in Loop: Header=BB314_2086 Depth=1
	s_or_b32 exec_lo, exec_lo, s28
	v_lshlrev_b32_sdwa v2, v112, v2 dst_sel:DWORD dst_unused:UNUSED_PAD src0_sel:DWORD src1_sel:WORD_0
	v_lshl_add_u32 v39, v39, 10, 0x2000
	v_lshlrev_b32_e32 v38, 23, v38
	v_and_or_b32 v2, 0x8000, v2, v39
	v_lshl_or_b32 v38, v2, 16, v38
.LBB314_2265:                           ;   in Loop: Header=BB314_2086 Depth=1
	s_or_b32 exec_lo, exec_lo, s27
.LBB314_2266:                           ;   in Loop: Header=BB314_2086 Depth=1
	s_or_b32 exec_lo, exec_lo, s26
.LBB314_2267:                           ;   in Loop: Header=BB314_2086 Depth=1
	s_or_b32 exec_lo, exec_lo, s25
	v_lshrrev_b32_e32 v2, 16, v14
	v_cmp_ne_u16_sdwa s12, v2, v3 src0_sel:BYTE_0 src1_sel:DWORD
	s_and_saveexec_b32 s25, s12
	s_cbranch_execz .LBB314_2275
; %bb.2268:                             ;   in Loop: Header=BB314_2086 Depth=1
	v_cmp_ne_u16_sdwa s12, v2, v55 src0_sel:BYTE_0 src1_sel:DWORD
	v_mov_b32_e32 v22, 0x8000
	s_and_saveexec_b32 s26, s12
	s_cbranch_execz .LBB314_2274
; %bb.2269:                             ;   in Loop: Header=BB314_2086 Depth=1
	v_bfe_u32 v48, v14, 16, 7
	v_mov_b32_e32 v22, 0x7c01
	s_mov_b32 s27, exec_lo
	v_cmpx_ne_u32_e32 0x7f, v48
	s_cbranch_execz .LBB314_2273
; %bb.2270:                             ;   in Loop: Header=BB314_2086 Depth=1
	v_and_b32_e32 v22, 7, v2
	v_lshrrev_b32_e32 v39, 3, v48
	s_mov_b32 s28, exec_lo
	v_cmpx_gt_u32_e32 8, v48
; %bb.2271:                             ;   in Loop: Header=BB314_2086 Depth=1
	v_ffbh_u32_e32 v22, v22
	v_min_u32_e32 v22, 32, v22
	v_subrev_nc_u32_e32 v39, 28, v22
	v_lshlrev_b64 v[48:49], v39, v[2:3]
	v_sub_nc_u32_e32 v39, 29, v22
	v_and_b32_e32 v22, 7, v48
; %bb.2272:                             ;   in Loop: Header=BB314_2086 Depth=1
	s_or_b32 exec_lo, exec_lo, s28
	v_lshlrev_b32_e32 v2, 8, v2
	v_lshl_add_u32 v39, v39, 10, 0x2000
	v_lshlrev_b32_e32 v22, 7, v22
	v_and_b32_e32 v2, 0x8000, v2
	v_and_b32_e32 v39, 0xfc00, v39
	v_or3_b32 v22, v2, v39, v22
.LBB314_2273:                           ;   in Loop: Header=BB314_2086 Depth=1
	s_or_b32 exec_lo, exec_lo, s27
.LBB314_2274:                           ;   in Loop: Header=BB314_2086 Depth=1
	s_or_b32 exec_lo, exec_lo, s26
.LBB314_2275:                           ;   in Loop: Header=BB314_2086 Depth=1
	s_or_b32 exec_lo, exec_lo, s25
	v_cmp_lt_u64_e64 s12, s[22:23], v[13:14]
	v_mov_b32_e32 v13, 0
	s_and_saveexec_b32 s25, s12
	s_cbranch_execz .LBB314_2283
; %bb.2276:                             ;   in Loop: Header=BB314_2086 Depth=1
	v_lshrrev_b32_e32 v2, 24, v14
	v_bfrev_b32_e32 v13, 1
	s_mov_b32 s26, exec_lo
	v_cmpx_ne_u32_e32 0x80, v2
	s_cbranch_execz .LBB314_2282
; %bb.2277:                             ;   in Loop: Header=BB314_2086 Depth=1
	v_and_b32_e32 v39, 0x7f, v2
	v_mov_b32_e32 v13, 0x7c010000
	s_mov_b32 s27, exec_lo
	v_cmpx_ne_u32_e32 0x7f, v39
	s_cbranch_execz .LBB314_2281
; %bb.2278:                             ;   in Loop: Header=BB314_2086 Depth=1
	v_and_b32_e32 v13, 7, v2
	v_lshrrev_b32_e32 v14, 3, v39
	s_mov_b32 s28, exec_lo
	v_cmpx_gt_u32_e32 8, v39
; %bb.2279:                             ;   in Loop: Header=BB314_2086 Depth=1
	v_ffbh_u32_e32 v13, v13
	v_min_u32_e32 v39, 32, v13
	v_subrev_nc_u32_e32 v13, 28, v39
	v_lshlrev_b64 v[13:14], v13, v[2:3]
	v_sub_nc_u32_e32 v14, 29, v39
	v_and_b32_e32 v13, 7, v13
; %bb.2280:                             ;   in Loop: Header=BB314_2086 Depth=1
	s_or_b32 exec_lo, exec_lo, s28
	v_lshlrev_b32_e32 v2, 8, v2
	v_lshl_add_u32 v14, v14, 10, 0x2000
	v_lshlrev_b32_e32 v13, 23, v13
	v_and_or_b32 v2, 0x8000, v2, v14
	v_lshl_or_b32 v13, v2, 16, v13
.LBB314_2281:                           ;   in Loop: Header=BB314_2086 Depth=1
	s_or_b32 exec_lo, exec_lo, s27
.LBB314_2282:                           ;   in Loop: Header=BB314_2086 Depth=1
	s_or_b32 exec_lo, exec_lo, s26
.LBB314_2283:                           ;   in Loop: Header=BB314_2086 Depth=1
	s_or_b32 exec_lo, exec_lo, s25
	v_or_b32_e32 v2, v17, v18
	s_waitcnt vmcnt(0) lgkmcnt(0)
	v_fma_mixlo_f16 v14, v5, v17, 0 op_sel:[0,1,0] op_sel_hi:[0,1,0]
	v_or_b32_e32 v16, v6, v16
	v_fma_mixlo_f16 v6, v5, v6, 0 op_sel:[0,1,0] op_sel_hi:[0,1,0]
	v_or_b32_e32 v17, v38, v37
	v_fma_mixlo_f16 v18, v5, v2, 0 op_sel_hi:[0,1,0]
	v_or_b32_e32 v22, v13, v22
	v_lshlrev_b32_e32 v2, 16, v14
	v_lshlrev_b32_e32 v14, 16, v6
	v_fma_mixlo_f16 v16, v5, v16, 0 op_sel_hi:[0,1,0]
	v_and_b32_e32 v6, 0xffff, v18
	v_fma_mixlo_f16 v18, v5, v38, 0 op_sel:[0,1,0] op_sel_hi:[0,1,0]
	v_fma_mixlo_f16 v17, v5, v17, 0 op_sel_hi:[0,1,0]
	v_fma_mixlo_f16 v13, v5, v13, 0 op_sel:[0,1,0] op_sel_hi:[0,1,0]
	v_fma_mixlo_f16 v5, v5, v22, 0 op_sel_hi:[0,1,0]
	v_and_b32_e32 v39, 0xffff, v16
	v_lshlrev_b32_e32 v22, 16, v18
	v_and_b32_e32 v38, 0xffff, v17
	v_lshlrev_b32_e32 v18, 16, v13
	v_and_b32_e32 v37, 0xffff, v5
	v_or_b32_e32 v5, v2, v6
	v_or_b32_e32 v17, v14, v39
	;; [unrolled: 1-line block ×4, first 2 shown]
	s_and_saveexec_b32 s12, s4
	s_cbranch_execz .LBB314_2285
; %bb.2284:                             ;   in Loop: Header=BB314_2086 Depth=1
	v_cndmask_b32_e32 v5, 0, v39, vcc_lo
	v_cndmask_b32_e64 v13, 0, v14, s7
	v_cndmask_b32_e64 v6, 0, v6, s5
	;; [unrolled: 1-line block ×7, first 2 shown]
	v_or_b32_e32 v17, v5, v13
	v_or_b32_e32 v5, v6, v2
	;; [unrolled: 1-line block ×4, first 2 shown]
.LBB314_2285:                           ;   in Loop: Header=BB314_2086 Depth=1
	s_or_b32 exec_lo, exec_lo, s12
	;;#ASMSTART
	v_pk_mul_f16 v2, v41, v17;

	;;#ASMEND
	;;#ASMSTART
	v_pk_mul_f16 v5, v40, v5;

	;;#ASMEND
	;; [unrolled: 4-line block ×4, first 2 shown]
	;;#ASMSTART
	v_pk_add_f16 v2, v2, v5;

	;;#ASMEND
	;;#ASMSTART
	v_pk_add_f16 v2, v2, v6;

	;;#ASMEND
	;; [unrolled: 4-line block ×3, first 2 shown]
	v_and_b32_e32 v5, 0xffff, v2
	v_lshrrev_b32_e32 v2, 16, v2
	;;#ASMSTART
	v_cvt_f32_f16 v44, v5;
	;;#ASMEND
	;;#ASMSTART
	v_cvt_f32_f16 v45, v2;
	;;#ASMEND
	flat_load_dwordx2 v[13:14], v[11:12] offset:768
	flat_load_dword v5, v[26:27]
	v_mov_b32_e32 v6, 0
	v_mov_b32_e32 v16, 0
	s_waitcnt vmcnt(1) lgkmcnt(1)
	v_cmp_ne_u16_sdwa s12, v13, v3 src0_sel:BYTE_0 src1_sel:DWORD
	s_and_saveexec_b32 s25, s12
	s_cbranch_execz .LBB314_2293
; %bb.2286:                             ;   in Loop: Header=BB314_2086 Depth=1
	v_cmp_ne_u16_sdwa s12, v13, v55 src0_sel:BYTE_0 src1_sel:DWORD
	v_mov_b32_e32 v16, 0x8000
	s_and_saveexec_b32 s26, s12
	s_cbranch_execz .LBB314_2292
; %bb.2287:                             ;   in Loop: Header=BB314_2086 Depth=1
	v_and_b32_e32 v17, 0x7f, v13
	v_mov_b32_e32 v16, 0x7c01
	s_mov_b32 s27, exec_lo
	v_cmpx_ne_u32_e32 0x7f, v17
	s_cbranch_execz .LBB314_2291
; %bb.2288:                             ;   in Loop: Header=BB314_2086 Depth=1
	v_and_b32_e32 v2, 7, v13
	v_lshrrev_b32_e32 v16, 3, v17
	s_mov_b32 s28, exec_lo
	v_cmpx_gt_u32_e32 8, v17
; %bb.2289:                             ;   in Loop: Header=BB314_2086 Depth=1
	v_ffbh_u32_e32 v2, v2
	v_min_u32_e32 v2, 32, v2
	v_subrev_nc_u32_e32 v16, 28, v2
	v_lshlrev_b64 v[17:18], v16, v[13:14]
	v_sub_nc_u32_e32 v16, 29, v2
	v_and_b32_e32 v2, 7, v17
; %bb.2290:                             ;   in Loop: Header=BB314_2086 Depth=1
	s_or_b32 exec_lo, exec_lo, s28
	v_lshlrev_b32_e32 v17, 8, v13
	v_lshl_add_u32 v16, v16, 10, 0x2000
	v_lshlrev_b32_e32 v2, 7, v2
	v_and_b32_e32 v17, 0x8000, v17
	v_and_b32_e32 v16, 0xfc00, v16
	v_or3_b32 v16, v17, v16, v2
.LBB314_2291:                           ;   in Loop: Header=BB314_2086 Depth=1
	s_or_b32 exec_lo, exec_lo, s27
.LBB314_2292:                           ;   in Loop: Header=BB314_2086 Depth=1
	s_or_b32 exec_lo, exec_lo, s26
.LBB314_2293:                           ;   in Loop: Header=BB314_2086 Depth=1
	s_or_b32 exec_lo, exec_lo, s25
	v_lshrrev_b16 v2, 8, v13
	s_mov_b32 s25, exec_lo
	v_cmpx_ne_u16_e32 0, v2
	s_cbranch_execz .LBB314_2301
; %bb.2294:                             ;   in Loop: Header=BB314_2086 Depth=1
	v_bfrev_b32_e32 v6, 1
	s_mov_b32 s26, exec_lo
	v_cmpx_ne_u16_e32 0x80, v2
	s_cbranch_execz .LBB314_2300
; %bb.2295:                             ;   in Loop: Header=BB314_2086 Depth=1
	v_and_b32_sdwa v18, v2, v64 dst_sel:DWORD dst_unused:UNUSED_PAD src0_sel:WORD_0 src1_sel:DWORD
	v_mov_b32_e32 v6, 0x7c010000
	s_mov_b32 s27, exec_lo
	v_cmpx_ne_u32_e32 0x7f, v18
	s_cbranch_execz .LBB314_2299
; %bb.2296:                             ;   in Loop: Header=BB314_2086 Depth=1
	v_and_b32_sdwa v6, v2, v103 dst_sel:DWORD dst_unused:UNUSED_PAD src0_sel:WORD_0 src1_sel:DWORD
	v_lshrrev_b32_e32 v17, 3, v18
	s_mov_b32 s28, exec_lo
	v_cmpx_gt_u32_e32 8, v18
; %bb.2297:                             ;   in Loop: Header=BB314_2086 Depth=1
	v_ffbh_u32_e32 v6, v6
	v_min_u32_e32 v6, 32, v6
	v_subrev_nc_u32_e32 v17, 28, v6
	v_lshlrev_b64 v[37:38], v17, v[2:3]
	v_sub_nc_u32_e32 v17, 29, v6
	v_and_b32_e32 v6, 7, v37
; %bb.2298:                             ;   in Loop: Header=BB314_2086 Depth=1
	s_or_b32 exec_lo, exec_lo, s28
	v_lshlrev_b32_sdwa v2, v112, v2 dst_sel:DWORD dst_unused:UNUSED_PAD src0_sel:DWORD src1_sel:WORD_0
	v_lshl_add_u32 v17, v17, 10, 0x2000
	v_lshlrev_b32_e32 v6, 23, v6
	v_and_or_b32 v2, 0x8000, v2, v17
	v_lshl_or_b32 v6, v2, 16, v6
.LBB314_2299:                           ;   in Loop: Header=BB314_2086 Depth=1
	s_or_b32 exec_lo, exec_lo, s27
.LBB314_2300:                           ;   in Loop: Header=BB314_2086 Depth=1
	s_or_b32 exec_lo, exec_lo, s26
.LBB314_2301:                           ;   in Loop: Header=BB314_2086 Depth=1
	s_or_b32 exec_lo, exec_lo, s25
	v_lshrrev_b32_e32 v2, 16, v13
	v_mov_b32_e32 v17, 0
	v_mov_b32_e32 v18, 0
	v_cmp_ne_u16_sdwa s12, v2, v3 src0_sel:BYTE_0 src1_sel:DWORD
	s_and_saveexec_b32 s25, s12
	s_cbranch_execz .LBB314_2309
; %bb.2302:                             ;   in Loop: Header=BB314_2086 Depth=1
	v_cmp_ne_u16_sdwa s12, v2, v55 src0_sel:BYTE_0 src1_sel:DWORD
	v_mov_b32_e32 v18, 0x8000
	s_and_saveexec_b32 s26, s12
	s_cbranch_execz .LBB314_2308
; %bb.2303:                             ;   in Loop: Header=BB314_2086 Depth=1
	v_bfe_u32 v37, v13, 16, 7
	v_mov_b32_e32 v18, 0x7c01
	s_mov_b32 s27, exec_lo
	v_cmpx_ne_u32_e32 0x7f, v37
	s_cbranch_execz .LBB314_2307
; %bb.2304:                             ;   in Loop: Header=BB314_2086 Depth=1
	v_and_b32_e32 v18, 7, v2
	v_lshrrev_b32_e32 v22, 3, v37
	s_mov_b32 s28, exec_lo
	v_cmpx_gt_u32_e32 8, v37
; %bb.2305:                             ;   in Loop: Header=BB314_2086 Depth=1
	v_ffbh_u32_e32 v18, v18
	v_min_u32_e32 v18, 32, v18
	v_subrev_nc_u32_e32 v22, 28, v18
	v_lshlrev_b64 v[37:38], v22, v[2:3]
	v_sub_nc_u32_e32 v22, 29, v18
	v_and_b32_e32 v18, 7, v37
; %bb.2306:                             ;   in Loop: Header=BB314_2086 Depth=1
	s_or_b32 exec_lo, exec_lo, s28
	v_lshlrev_b32_e32 v2, 8, v2
	v_lshl_add_u32 v22, v22, 10, 0x2000
	v_lshlrev_b32_e32 v18, 7, v18
	v_and_b32_e32 v2, 0x8000, v2
	v_and_b32_e32 v22, 0xfc00, v22
	v_or3_b32 v18, v2, v22, v18
.LBB314_2307:                           ;   in Loop: Header=BB314_2086 Depth=1
	s_or_b32 exec_lo, exec_lo, s27
.LBB314_2308:                           ;   in Loop: Header=BB314_2086 Depth=1
	s_or_b32 exec_lo, exec_lo, s26
.LBB314_2309:                           ;   in Loop: Header=BB314_2086 Depth=1
	s_or_b32 exec_lo, exec_lo, s25
	s_mov_b32 s25, exec_lo
	v_cmpx_lt_u32_e32 0xffffff, v13
	s_cbranch_execz .LBB314_2317
; %bb.2310:                             ;   in Loop: Header=BB314_2086 Depth=1
	v_lshrrev_b32_e32 v2, 24, v13
	v_bfrev_b32_e32 v17, 1
	s_mov_b32 s26, exec_lo
	v_cmpx_ne_u32_e32 0x80, v2
	s_cbranch_execz .LBB314_2316
; %bb.2311:                             ;   in Loop: Header=BB314_2086 Depth=1
	v_and_b32_e32 v37, 0x7f, v2
	v_mov_b32_e32 v17, 0x7c010000
	s_mov_b32 s27, exec_lo
	v_cmpx_ne_u32_e32 0x7f, v37
	s_cbranch_execz .LBB314_2315
; %bb.2312:                             ;   in Loop: Header=BB314_2086 Depth=1
	v_and_b32_e32 v17, 7, v2
	v_lshrrev_b32_e32 v22, 3, v37
	s_mov_b32 s28, exec_lo
	v_cmpx_gt_u32_e32 8, v37
; %bb.2313:                             ;   in Loop: Header=BB314_2086 Depth=1
	v_ffbh_u32_e32 v17, v17
	v_min_u32_e32 v17, 32, v17
	v_subrev_nc_u32_e32 v22, 28, v17
	v_lshlrev_b64 v[37:38], v22, v[2:3]
	v_sub_nc_u32_e32 v22, 29, v17
	v_and_b32_e32 v17, 7, v37
; %bb.2314:                             ;   in Loop: Header=BB314_2086 Depth=1
	s_or_b32 exec_lo, exec_lo, s28
	v_lshlrev_b32_e32 v2, 8, v2
	v_lshl_add_u32 v22, v22, 10, 0x2000
	v_lshlrev_b32_e32 v17, 23, v17
	v_and_or_b32 v2, 0x8000, v2, v22
	v_lshl_or_b32 v17, v2, 16, v17
.LBB314_2315:                           ;   in Loop: Header=BB314_2086 Depth=1
	s_or_b32 exec_lo, exec_lo, s27
.LBB314_2316:                           ;   in Loop: Header=BB314_2086 Depth=1
	s_or_b32 exec_lo, exec_lo, s26
.LBB314_2317:                           ;   in Loop: Header=BB314_2086 Depth=1
	s_or_b32 exec_lo, exec_lo, s25
	v_mov_b32_e32 v2, v14
	v_cmp_ne_u16_sdwa s12, v14, v3 src0_sel:BYTE_0 src1_sel:DWORD
	v_mov_b32_e32 v22, 0
	v_mov_b32_e32 v37, 0
	s_and_saveexec_b32 s25, s12
	s_cbranch_execz .LBB314_2325
; %bb.2318:                             ;   in Loop: Header=BB314_2086 Depth=1
	v_cmp_ne_u16_sdwa s12, v14, v55 src0_sel:BYTE_0 src1_sel:DWORD
	v_mov_b32_e32 v37, 0x8000
	s_and_saveexec_b32 s26, s12
	s_cbranch_execz .LBB314_2324
; %bb.2319:                             ;   in Loop: Header=BB314_2086 Depth=1
	v_and_b32_e32 v39, 0x7f, v14
	v_mov_b32_e32 v37, 0x7c01
	s_mov_b32 s27, exec_lo
	v_cmpx_ne_u32_e32 0x7f, v39
	s_cbranch_execz .LBB314_2323
; %bb.2320:                             ;   in Loop: Header=BB314_2086 Depth=1
	v_and_b32_e32 v37, 7, v14
	v_lshrrev_b32_e32 v38, 3, v39
	s_mov_b32 s28, exec_lo
	v_cmpx_gt_u32_e32 8, v39
; %bb.2321:                             ;   in Loop: Header=BB314_2086 Depth=1
	v_ffbh_u32_e32 v37, v37
	v_min_u32_e32 v39, 32, v37
	v_subrev_nc_u32_e32 v37, 28, v39
	v_lshlrev_b64 v[37:38], v37, v[2:3]
	v_sub_nc_u32_e32 v38, 29, v39
	v_and_b32_e32 v37, 7, v37
; %bb.2322:                             ;   in Loop: Header=BB314_2086 Depth=1
	s_or_b32 exec_lo, exec_lo, s28
	v_lshlrev_b32_e32 v39, 8, v14
	v_lshl_add_u32 v38, v38, 10, 0x2000
	v_lshlrev_b32_e32 v37, 7, v37
	v_and_b32_e32 v39, 0x8000, v39
	v_and_b32_e32 v38, 0xfc00, v38
	v_or3_b32 v37, v39, v38, v37
.LBB314_2323:                           ;   in Loop: Header=BB314_2086 Depth=1
	s_or_b32 exec_lo, exec_lo, s27
.LBB314_2324:                           ;   in Loop: Header=BB314_2086 Depth=1
	s_or_b32 exec_lo, exec_lo, s26
.LBB314_2325:                           ;   in Loop: Header=BB314_2086 Depth=1
	s_or_b32 exec_lo, exec_lo, s25
	v_lshrrev_b16 v2, 8, v2
	v_mov_b32_e32 v38, 0
	s_mov_b32 s25, exec_lo
	v_cmpx_ne_u16_e32 0, v2
	s_cbranch_execz .LBB314_2333
; %bb.2326:                             ;   in Loop: Header=BB314_2086 Depth=1
	v_bfrev_b32_e32 v38, 1
	s_mov_b32 s26, exec_lo
	v_cmpx_ne_u16_e32 0x80, v2
	s_cbranch_execz .LBB314_2332
; %bb.2327:                             ;   in Loop: Header=BB314_2086 Depth=1
	v_and_b32_sdwa v48, v2, v64 dst_sel:DWORD dst_unused:UNUSED_PAD src0_sel:WORD_0 src1_sel:DWORD
	v_mov_b32_e32 v38, 0x7c010000
	s_mov_b32 s27, exec_lo
	v_cmpx_ne_u32_e32 0x7f, v48
	s_cbranch_execz .LBB314_2331
; %bb.2328:                             ;   in Loop: Header=BB314_2086 Depth=1
	v_and_b32_sdwa v38, v2, v103 dst_sel:DWORD dst_unused:UNUSED_PAD src0_sel:WORD_0 src1_sel:DWORD
	v_lshrrev_b32_e32 v39, 3, v48
	s_mov_b32 s28, exec_lo
	v_cmpx_gt_u32_e32 8, v48
; %bb.2329:                             ;   in Loop: Header=BB314_2086 Depth=1
	v_ffbh_u32_e32 v38, v38
	v_min_u32_e32 v48, 32, v38
	v_subrev_nc_u32_e32 v38, 28, v48
	v_lshlrev_b64 v[38:39], v38, v[2:3]
	v_sub_nc_u32_e32 v39, 29, v48
	v_and_b32_e32 v38, 7, v38
; %bb.2330:                             ;   in Loop: Header=BB314_2086 Depth=1
	s_or_b32 exec_lo, exec_lo, s28
	v_lshlrev_b32_sdwa v2, v112, v2 dst_sel:DWORD dst_unused:UNUSED_PAD src0_sel:DWORD src1_sel:WORD_0
	v_lshl_add_u32 v39, v39, 10, 0x2000
	v_lshlrev_b32_e32 v38, 23, v38
	v_and_or_b32 v2, 0x8000, v2, v39
	v_lshl_or_b32 v38, v2, 16, v38
.LBB314_2331:                           ;   in Loop: Header=BB314_2086 Depth=1
	s_or_b32 exec_lo, exec_lo, s27
.LBB314_2332:                           ;   in Loop: Header=BB314_2086 Depth=1
	s_or_b32 exec_lo, exec_lo, s26
.LBB314_2333:                           ;   in Loop: Header=BB314_2086 Depth=1
	s_or_b32 exec_lo, exec_lo, s25
	v_lshrrev_b32_e32 v2, 16, v14
	v_cmp_ne_u16_sdwa s12, v2, v3 src0_sel:BYTE_0 src1_sel:DWORD
	s_and_saveexec_b32 s25, s12
	s_cbranch_execz .LBB314_2341
; %bb.2334:                             ;   in Loop: Header=BB314_2086 Depth=1
	v_cmp_ne_u16_sdwa s12, v2, v55 src0_sel:BYTE_0 src1_sel:DWORD
	v_mov_b32_e32 v22, 0x8000
	s_and_saveexec_b32 s26, s12
	s_cbranch_execz .LBB314_2340
; %bb.2335:                             ;   in Loop: Header=BB314_2086 Depth=1
	v_bfe_u32 v48, v14, 16, 7
	v_mov_b32_e32 v22, 0x7c01
	s_mov_b32 s27, exec_lo
	v_cmpx_ne_u32_e32 0x7f, v48
	s_cbranch_execz .LBB314_2339
; %bb.2336:                             ;   in Loop: Header=BB314_2086 Depth=1
	v_and_b32_e32 v22, 7, v2
	v_lshrrev_b32_e32 v39, 3, v48
	s_mov_b32 s28, exec_lo
	v_cmpx_gt_u32_e32 8, v48
; %bb.2337:                             ;   in Loop: Header=BB314_2086 Depth=1
	v_ffbh_u32_e32 v22, v22
	v_min_u32_e32 v22, 32, v22
	v_subrev_nc_u32_e32 v39, 28, v22
	v_lshlrev_b64 v[48:49], v39, v[2:3]
	v_sub_nc_u32_e32 v39, 29, v22
	v_and_b32_e32 v22, 7, v48
; %bb.2338:                             ;   in Loop: Header=BB314_2086 Depth=1
	s_or_b32 exec_lo, exec_lo, s28
	v_lshlrev_b32_e32 v2, 8, v2
	v_lshl_add_u32 v39, v39, 10, 0x2000
	v_lshlrev_b32_e32 v22, 7, v22
	v_and_b32_e32 v2, 0x8000, v2
	v_and_b32_e32 v39, 0xfc00, v39
	v_or3_b32 v22, v2, v39, v22
.LBB314_2339:                           ;   in Loop: Header=BB314_2086 Depth=1
	s_or_b32 exec_lo, exec_lo, s27
.LBB314_2340:                           ;   in Loop: Header=BB314_2086 Depth=1
	s_or_b32 exec_lo, exec_lo, s26
.LBB314_2341:                           ;   in Loop: Header=BB314_2086 Depth=1
	s_or_b32 exec_lo, exec_lo, s25
	v_cmp_lt_u64_e64 s12, s[22:23], v[13:14]
	v_mov_b32_e32 v13, 0
	s_and_saveexec_b32 s25, s12
	s_cbranch_execz .LBB314_2349
; %bb.2342:                             ;   in Loop: Header=BB314_2086 Depth=1
	v_lshrrev_b32_e32 v2, 24, v14
	v_bfrev_b32_e32 v13, 1
	s_mov_b32 s26, exec_lo
	v_cmpx_ne_u32_e32 0x80, v2
	s_cbranch_execz .LBB314_2348
; %bb.2343:                             ;   in Loop: Header=BB314_2086 Depth=1
	v_and_b32_e32 v39, 0x7f, v2
	v_mov_b32_e32 v13, 0x7c010000
	s_mov_b32 s27, exec_lo
	v_cmpx_ne_u32_e32 0x7f, v39
	s_cbranch_execz .LBB314_2347
; %bb.2344:                             ;   in Loop: Header=BB314_2086 Depth=1
	v_and_b32_e32 v13, 7, v2
	v_lshrrev_b32_e32 v14, 3, v39
	s_mov_b32 s28, exec_lo
	v_cmpx_gt_u32_e32 8, v39
; %bb.2345:                             ;   in Loop: Header=BB314_2086 Depth=1
	v_ffbh_u32_e32 v13, v13
	v_min_u32_e32 v39, 32, v13
	v_subrev_nc_u32_e32 v13, 28, v39
	v_lshlrev_b64 v[13:14], v13, v[2:3]
	v_sub_nc_u32_e32 v14, 29, v39
	v_and_b32_e32 v13, 7, v13
; %bb.2346:                             ;   in Loop: Header=BB314_2086 Depth=1
	s_or_b32 exec_lo, exec_lo, s28
	v_lshlrev_b32_e32 v2, 8, v2
	v_lshl_add_u32 v14, v14, 10, 0x2000
	v_lshlrev_b32_e32 v13, 23, v13
	v_and_or_b32 v2, 0x8000, v2, v14
	v_lshl_or_b32 v13, v2, 16, v13
.LBB314_2347:                           ;   in Loop: Header=BB314_2086 Depth=1
	s_or_b32 exec_lo, exec_lo, s27
.LBB314_2348:                           ;   in Loop: Header=BB314_2086 Depth=1
	s_or_b32 exec_lo, exec_lo, s26
.LBB314_2349:                           ;   in Loop: Header=BB314_2086 Depth=1
	s_or_b32 exec_lo, exec_lo, s25
	v_or_b32_e32 v2, v17, v18
	s_waitcnt vmcnt(0) lgkmcnt(0)
	v_fma_mixlo_f16 v14, v5, v17, 0 op_sel:[0,1,0] op_sel_hi:[0,1,0]
	v_or_b32_e32 v16, v6, v16
	v_fma_mixlo_f16 v6, v5, v6, 0 op_sel:[0,1,0] op_sel_hi:[0,1,0]
	v_or_b32_e32 v17, v38, v37
	v_fma_mixlo_f16 v18, v5, v2, 0 op_sel_hi:[0,1,0]
	v_or_b32_e32 v22, v13, v22
	v_lshlrev_b32_e32 v2, 16, v14
	v_lshlrev_b32_e32 v14, 16, v6
	v_fma_mixlo_f16 v16, v5, v16, 0 op_sel_hi:[0,1,0]
	v_and_b32_e32 v6, 0xffff, v18
	v_fma_mixlo_f16 v18, v5, v38, 0 op_sel:[0,1,0] op_sel_hi:[0,1,0]
	v_fma_mixlo_f16 v17, v5, v17, 0 op_sel_hi:[0,1,0]
	v_fma_mixlo_f16 v13, v5, v13, 0 op_sel:[0,1,0] op_sel_hi:[0,1,0]
	v_fma_mixlo_f16 v5, v5, v22, 0 op_sel_hi:[0,1,0]
	v_and_b32_e32 v39, 0xffff, v16
	v_lshlrev_b32_e32 v22, 16, v18
	v_and_b32_e32 v38, 0xffff, v17
	v_lshlrev_b32_e32 v18, 16, v13
	v_and_b32_e32 v37, 0xffff, v5
	v_or_b32_e32 v5, v2, v6
	v_or_b32_e32 v17, v14, v39
	;; [unrolled: 1-line block ×4, first 2 shown]
	s_and_saveexec_b32 s12, s4
	s_cbranch_execz .LBB314_2351
; %bb.2350:                             ;   in Loop: Header=BB314_2086 Depth=1
	v_cndmask_b32_e32 v5, 0, v39, vcc_lo
	v_cndmask_b32_e64 v13, 0, v14, s7
	v_cndmask_b32_e64 v6, 0, v6, s5
	;; [unrolled: 1-line block ×7, first 2 shown]
	v_or_b32_e32 v17, v5, v13
	v_or_b32_e32 v5, v6, v2
	;; [unrolled: 1-line block ×4, first 2 shown]
.LBB314_2351:                           ;   in Loop: Header=BB314_2086 Depth=1
	s_or_b32 exec_lo, exec_lo, s12
	;;#ASMSTART
	v_pk_mul_f16 v2, v41, v17;

	;;#ASMEND
	;;#ASMSTART
	v_pk_mul_f16 v5, v40, v5;

	;;#ASMEND
	;; [unrolled: 4-line block ×4, first 2 shown]
	;;#ASMSTART
	v_pk_add_f16 v2, v2, v5;

	;;#ASMEND
	;;#ASMSTART
	v_pk_add_f16 v2, v2, v6;

	;;#ASMEND
	;; [unrolled: 4-line block ×3, first 2 shown]
	v_and_b32_e32 v5, 0xffff, v2
	v_lshrrev_b32_e32 v2, 16, v2
	;;#ASMSTART
	v_cvt_f32_f16 v46, v5;
	;;#ASMEND
	;;#ASMSTART
	v_cvt_f32_f16 v47, v2;
	;;#ASMEND
	flat_load_dwordx2 v[13:14], v[11:12] offset:1024
	flat_load_dword v5, v[26:27]
	v_mov_b32_e32 v6, 0
	v_mov_b32_e32 v16, 0
	s_waitcnt vmcnt(1) lgkmcnt(1)
	v_cmp_ne_u16_sdwa s12, v13, v3 src0_sel:BYTE_0 src1_sel:DWORD
	s_and_saveexec_b32 s25, s12
	s_cbranch_execz .LBB314_2359
; %bb.2352:                             ;   in Loop: Header=BB314_2086 Depth=1
	v_cmp_ne_u16_sdwa s12, v13, v55 src0_sel:BYTE_0 src1_sel:DWORD
	v_mov_b32_e32 v16, 0x8000
	s_and_saveexec_b32 s26, s12
	s_cbranch_execz .LBB314_2358
; %bb.2353:                             ;   in Loop: Header=BB314_2086 Depth=1
	v_and_b32_e32 v17, 0x7f, v13
	v_mov_b32_e32 v16, 0x7c01
	s_mov_b32 s27, exec_lo
	v_cmpx_ne_u32_e32 0x7f, v17
	s_cbranch_execz .LBB314_2357
; %bb.2354:                             ;   in Loop: Header=BB314_2086 Depth=1
	v_and_b32_e32 v2, 7, v13
	v_lshrrev_b32_e32 v16, 3, v17
	s_mov_b32 s28, exec_lo
	v_cmpx_gt_u32_e32 8, v17
; %bb.2355:                             ;   in Loop: Header=BB314_2086 Depth=1
	v_ffbh_u32_e32 v2, v2
	v_min_u32_e32 v2, 32, v2
	v_subrev_nc_u32_e32 v16, 28, v2
	v_lshlrev_b64 v[17:18], v16, v[13:14]
	v_sub_nc_u32_e32 v16, 29, v2
	v_and_b32_e32 v2, 7, v17
; %bb.2356:                             ;   in Loop: Header=BB314_2086 Depth=1
	s_or_b32 exec_lo, exec_lo, s28
	v_lshlrev_b32_e32 v17, 8, v13
	v_lshl_add_u32 v16, v16, 10, 0x2000
	v_lshlrev_b32_e32 v2, 7, v2
	v_and_b32_e32 v17, 0x8000, v17
	v_and_b32_e32 v16, 0xfc00, v16
	v_or3_b32 v16, v17, v16, v2
.LBB314_2357:                           ;   in Loop: Header=BB314_2086 Depth=1
	s_or_b32 exec_lo, exec_lo, s27
.LBB314_2358:                           ;   in Loop: Header=BB314_2086 Depth=1
	s_or_b32 exec_lo, exec_lo, s26
.LBB314_2359:                           ;   in Loop: Header=BB314_2086 Depth=1
	s_or_b32 exec_lo, exec_lo, s25
	v_lshrrev_b16 v2, 8, v13
	s_mov_b32 s25, exec_lo
	v_cmpx_ne_u16_e32 0, v2
	s_cbranch_execz .LBB314_2367
; %bb.2360:                             ;   in Loop: Header=BB314_2086 Depth=1
	v_bfrev_b32_e32 v6, 1
	s_mov_b32 s26, exec_lo
	v_cmpx_ne_u16_e32 0x80, v2
	s_cbranch_execz .LBB314_2366
; %bb.2361:                             ;   in Loop: Header=BB314_2086 Depth=1
	v_and_b32_sdwa v18, v2, v64 dst_sel:DWORD dst_unused:UNUSED_PAD src0_sel:WORD_0 src1_sel:DWORD
	v_mov_b32_e32 v6, 0x7c010000
	s_mov_b32 s27, exec_lo
	v_cmpx_ne_u32_e32 0x7f, v18
	s_cbranch_execz .LBB314_2365
; %bb.2362:                             ;   in Loop: Header=BB314_2086 Depth=1
	v_and_b32_sdwa v6, v2, v103 dst_sel:DWORD dst_unused:UNUSED_PAD src0_sel:WORD_0 src1_sel:DWORD
	v_lshrrev_b32_e32 v17, 3, v18
	s_mov_b32 s28, exec_lo
	v_cmpx_gt_u32_e32 8, v18
; %bb.2363:                             ;   in Loop: Header=BB314_2086 Depth=1
	v_ffbh_u32_e32 v6, v6
	v_min_u32_e32 v6, 32, v6
	v_subrev_nc_u32_e32 v17, 28, v6
	v_lshlrev_b64 v[37:38], v17, v[2:3]
	v_sub_nc_u32_e32 v17, 29, v6
	v_and_b32_e32 v6, 7, v37
; %bb.2364:                             ;   in Loop: Header=BB314_2086 Depth=1
	s_or_b32 exec_lo, exec_lo, s28
	v_lshlrev_b32_sdwa v2, v112, v2 dst_sel:DWORD dst_unused:UNUSED_PAD src0_sel:DWORD src1_sel:WORD_0
	v_lshl_add_u32 v17, v17, 10, 0x2000
	v_lshlrev_b32_e32 v6, 23, v6
	v_and_or_b32 v2, 0x8000, v2, v17
	v_lshl_or_b32 v6, v2, 16, v6
.LBB314_2365:                           ;   in Loop: Header=BB314_2086 Depth=1
	s_or_b32 exec_lo, exec_lo, s27
.LBB314_2366:                           ;   in Loop: Header=BB314_2086 Depth=1
	s_or_b32 exec_lo, exec_lo, s26
.LBB314_2367:                           ;   in Loop: Header=BB314_2086 Depth=1
	s_or_b32 exec_lo, exec_lo, s25
	v_lshrrev_b32_e32 v2, 16, v13
	v_mov_b32_e32 v17, 0
	v_mov_b32_e32 v18, 0
	v_cmp_ne_u16_sdwa s12, v2, v3 src0_sel:BYTE_0 src1_sel:DWORD
	s_and_saveexec_b32 s25, s12
	s_cbranch_execz .LBB314_2375
; %bb.2368:                             ;   in Loop: Header=BB314_2086 Depth=1
	v_cmp_ne_u16_sdwa s12, v2, v55 src0_sel:BYTE_0 src1_sel:DWORD
	v_mov_b32_e32 v18, 0x8000
	s_and_saveexec_b32 s26, s12
	s_cbranch_execz .LBB314_2374
; %bb.2369:                             ;   in Loop: Header=BB314_2086 Depth=1
	v_bfe_u32 v37, v13, 16, 7
	v_mov_b32_e32 v18, 0x7c01
	s_mov_b32 s27, exec_lo
	v_cmpx_ne_u32_e32 0x7f, v37
	s_cbranch_execz .LBB314_2373
; %bb.2370:                             ;   in Loop: Header=BB314_2086 Depth=1
	v_and_b32_e32 v18, 7, v2
	v_lshrrev_b32_e32 v22, 3, v37
	s_mov_b32 s28, exec_lo
	v_cmpx_gt_u32_e32 8, v37
; %bb.2371:                             ;   in Loop: Header=BB314_2086 Depth=1
	v_ffbh_u32_e32 v18, v18
	v_min_u32_e32 v18, 32, v18
	v_subrev_nc_u32_e32 v22, 28, v18
	v_lshlrev_b64 v[37:38], v22, v[2:3]
	v_sub_nc_u32_e32 v22, 29, v18
	v_and_b32_e32 v18, 7, v37
; %bb.2372:                             ;   in Loop: Header=BB314_2086 Depth=1
	s_or_b32 exec_lo, exec_lo, s28
	v_lshlrev_b32_e32 v2, 8, v2
	v_lshl_add_u32 v22, v22, 10, 0x2000
	v_lshlrev_b32_e32 v18, 7, v18
	v_and_b32_e32 v2, 0x8000, v2
	v_and_b32_e32 v22, 0xfc00, v22
	v_or3_b32 v18, v2, v22, v18
.LBB314_2373:                           ;   in Loop: Header=BB314_2086 Depth=1
	s_or_b32 exec_lo, exec_lo, s27
.LBB314_2374:                           ;   in Loop: Header=BB314_2086 Depth=1
	s_or_b32 exec_lo, exec_lo, s26
.LBB314_2375:                           ;   in Loop: Header=BB314_2086 Depth=1
	s_or_b32 exec_lo, exec_lo, s25
	s_mov_b32 s25, exec_lo
	v_cmpx_lt_u32_e32 0xffffff, v13
	s_cbranch_execz .LBB314_2383
; %bb.2376:                             ;   in Loop: Header=BB314_2086 Depth=1
	v_lshrrev_b32_e32 v2, 24, v13
	v_bfrev_b32_e32 v17, 1
	s_mov_b32 s26, exec_lo
	v_cmpx_ne_u32_e32 0x80, v2
	s_cbranch_execz .LBB314_2382
; %bb.2377:                             ;   in Loop: Header=BB314_2086 Depth=1
	v_and_b32_e32 v37, 0x7f, v2
	v_mov_b32_e32 v17, 0x7c010000
	s_mov_b32 s27, exec_lo
	v_cmpx_ne_u32_e32 0x7f, v37
	s_cbranch_execz .LBB314_2381
; %bb.2378:                             ;   in Loop: Header=BB314_2086 Depth=1
	v_and_b32_e32 v17, 7, v2
	v_lshrrev_b32_e32 v22, 3, v37
	s_mov_b32 s28, exec_lo
	v_cmpx_gt_u32_e32 8, v37
; %bb.2379:                             ;   in Loop: Header=BB314_2086 Depth=1
	v_ffbh_u32_e32 v17, v17
	v_min_u32_e32 v17, 32, v17
	v_subrev_nc_u32_e32 v22, 28, v17
	v_lshlrev_b64 v[37:38], v22, v[2:3]
	v_sub_nc_u32_e32 v22, 29, v17
	v_and_b32_e32 v17, 7, v37
; %bb.2380:                             ;   in Loop: Header=BB314_2086 Depth=1
	s_or_b32 exec_lo, exec_lo, s28
	v_lshlrev_b32_e32 v2, 8, v2
	v_lshl_add_u32 v22, v22, 10, 0x2000
	v_lshlrev_b32_e32 v17, 23, v17
	v_and_or_b32 v2, 0x8000, v2, v22
	v_lshl_or_b32 v17, v2, 16, v17
.LBB314_2381:                           ;   in Loop: Header=BB314_2086 Depth=1
	s_or_b32 exec_lo, exec_lo, s27
.LBB314_2382:                           ;   in Loop: Header=BB314_2086 Depth=1
	s_or_b32 exec_lo, exec_lo, s26
.LBB314_2383:                           ;   in Loop: Header=BB314_2086 Depth=1
	s_or_b32 exec_lo, exec_lo, s25
	v_mov_b32_e32 v2, v14
	v_cmp_ne_u16_sdwa s12, v14, v3 src0_sel:BYTE_0 src1_sel:DWORD
	v_mov_b32_e32 v22, 0
	v_mov_b32_e32 v37, 0
	s_and_saveexec_b32 s25, s12
	s_cbranch_execz .LBB314_2391
; %bb.2384:                             ;   in Loop: Header=BB314_2086 Depth=1
	v_cmp_ne_u16_sdwa s12, v14, v55 src0_sel:BYTE_0 src1_sel:DWORD
	v_mov_b32_e32 v37, 0x8000
	s_and_saveexec_b32 s26, s12
	s_cbranch_execz .LBB314_2390
; %bb.2385:                             ;   in Loop: Header=BB314_2086 Depth=1
	v_and_b32_e32 v39, 0x7f, v14
	v_mov_b32_e32 v37, 0x7c01
	s_mov_b32 s27, exec_lo
	v_cmpx_ne_u32_e32 0x7f, v39
	s_cbranch_execz .LBB314_2389
; %bb.2386:                             ;   in Loop: Header=BB314_2086 Depth=1
	v_and_b32_e32 v37, 7, v14
	v_lshrrev_b32_e32 v38, 3, v39
	s_mov_b32 s28, exec_lo
	v_cmpx_gt_u32_e32 8, v39
; %bb.2387:                             ;   in Loop: Header=BB314_2086 Depth=1
	v_ffbh_u32_e32 v37, v37
	v_min_u32_e32 v39, 32, v37
	v_subrev_nc_u32_e32 v37, 28, v39
	v_lshlrev_b64 v[37:38], v37, v[2:3]
	v_sub_nc_u32_e32 v38, 29, v39
	v_and_b32_e32 v37, 7, v37
; %bb.2388:                             ;   in Loop: Header=BB314_2086 Depth=1
	s_or_b32 exec_lo, exec_lo, s28
	v_lshlrev_b32_e32 v39, 8, v14
	v_lshl_add_u32 v38, v38, 10, 0x2000
	v_lshlrev_b32_e32 v37, 7, v37
	v_and_b32_e32 v39, 0x8000, v39
	v_and_b32_e32 v38, 0xfc00, v38
	v_or3_b32 v37, v39, v38, v37
.LBB314_2389:                           ;   in Loop: Header=BB314_2086 Depth=1
	s_or_b32 exec_lo, exec_lo, s27
.LBB314_2390:                           ;   in Loop: Header=BB314_2086 Depth=1
	s_or_b32 exec_lo, exec_lo, s26
.LBB314_2391:                           ;   in Loop: Header=BB314_2086 Depth=1
	s_or_b32 exec_lo, exec_lo, s25
	v_lshrrev_b16 v2, 8, v2
	v_mov_b32_e32 v38, 0
	s_mov_b32 s25, exec_lo
	v_cmpx_ne_u16_e32 0, v2
	s_cbranch_execz .LBB314_2399
; %bb.2392:                             ;   in Loop: Header=BB314_2086 Depth=1
	v_bfrev_b32_e32 v38, 1
	s_mov_b32 s26, exec_lo
	v_cmpx_ne_u16_e32 0x80, v2
	s_cbranch_execz .LBB314_2398
; %bb.2393:                             ;   in Loop: Header=BB314_2086 Depth=1
	v_and_b32_sdwa v48, v2, v64 dst_sel:DWORD dst_unused:UNUSED_PAD src0_sel:WORD_0 src1_sel:DWORD
	v_mov_b32_e32 v38, 0x7c010000
	s_mov_b32 s27, exec_lo
	v_cmpx_ne_u32_e32 0x7f, v48
	s_cbranch_execz .LBB314_2397
; %bb.2394:                             ;   in Loop: Header=BB314_2086 Depth=1
	v_and_b32_sdwa v38, v2, v103 dst_sel:DWORD dst_unused:UNUSED_PAD src0_sel:WORD_0 src1_sel:DWORD
	v_lshrrev_b32_e32 v39, 3, v48
	s_mov_b32 s28, exec_lo
	v_cmpx_gt_u32_e32 8, v48
; %bb.2395:                             ;   in Loop: Header=BB314_2086 Depth=1
	v_ffbh_u32_e32 v38, v38
	v_min_u32_e32 v48, 32, v38
	v_subrev_nc_u32_e32 v38, 28, v48
	v_lshlrev_b64 v[38:39], v38, v[2:3]
	v_sub_nc_u32_e32 v39, 29, v48
	v_and_b32_e32 v38, 7, v38
; %bb.2396:                             ;   in Loop: Header=BB314_2086 Depth=1
	s_or_b32 exec_lo, exec_lo, s28
	v_lshlrev_b32_sdwa v2, v112, v2 dst_sel:DWORD dst_unused:UNUSED_PAD src0_sel:DWORD src1_sel:WORD_0
	v_lshl_add_u32 v39, v39, 10, 0x2000
	v_lshlrev_b32_e32 v38, 23, v38
	v_and_or_b32 v2, 0x8000, v2, v39
	v_lshl_or_b32 v38, v2, 16, v38
.LBB314_2397:                           ;   in Loop: Header=BB314_2086 Depth=1
	s_or_b32 exec_lo, exec_lo, s27
.LBB314_2398:                           ;   in Loop: Header=BB314_2086 Depth=1
	s_or_b32 exec_lo, exec_lo, s26
.LBB314_2399:                           ;   in Loop: Header=BB314_2086 Depth=1
	s_or_b32 exec_lo, exec_lo, s25
	v_lshrrev_b32_e32 v2, 16, v14
	v_cmp_ne_u16_sdwa s12, v2, v3 src0_sel:BYTE_0 src1_sel:DWORD
	s_and_saveexec_b32 s25, s12
	s_cbranch_execz .LBB314_2407
; %bb.2400:                             ;   in Loop: Header=BB314_2086 Depth=1
	v_cmp_ne_u16_sdwa s12, v2, v55 src0_sel:BYTE_0 src1_sel:DWORD
	v_mov_b32_e32 v22, 0x8000
	s_and_saveexec_b32 s26, s12
	s_cbranch_execz .LBB314_2406
; %bb.2401:                             ;   in Loop: Header=BB314_2086 Depth=1
	v_bfe_u32 v48, v14, 16, 7
	v_mov_b32_e32 v22, 0x7c01
	s_mov_b32 s27, exec_lo
	v_cmpx_ne_u32_e32 0x7f, v48
	s_cbranch_execz .LBB314_2405
; %bb.2402:                             ;   in Loop: Header=BB314_2086 Depth=1
	v_and_b32_e32 v22, 7, v2
	v_lshrrev_b32_e32 v39, 3, v48
	s_mov_b32 s28, exec_lo
	v_cmpx_gt_u32_e32 8, v48
; %bb.2403:                             ;   in Loop: Header=BB314_2086 Depth=1
	v_ffbh_u32_e32 v22, v22
	v_min_u32_e32 v22, 32, v22
	v_subrev_nc_u32_e32 v39, 28, v22
	v_lshlrev_b64 v[48:49], v39, v[2:3]
	v_sub_nc_u32_e32 v39, 29, v22
	v_and_b32_e32 v22, 7, v48
; %bb.2404:                             ;   in Loop: Header=BB314_2086 Depth=1
	s_or_b32 exec_lo, exec_lo, s28
	v_lshlrev_b32_e32 v2, 8, v2
	v_lshl_add_u32 v39, v39, 10, 0x2000
	v_lshlrev_b32_e32 v22, 7, v22
	v_and_b32_e32 v2, 0x8000, v2
	v_and_b32_e32 v39, 0xfc00, v39
	v_or3_b32 v22, v2, v39, v22
.LBB314_2405:                           ;   in Loop: Header=BB314_2086 Depth=1
	s_or_b32 exec_lo, exec_lo, s27
.LBB314_2406:                           ;   in Loop: Header=BB314_2086 Depth=1
	s_or_b32 exec_lo, exec_lo, s26
.LBB314_2407:                           ;   in Loop: Header=BB314_2086 Depth=1
	s_or_b32 exec_lo, exec_lo, s25
	v_cmp_lt_u64_e64 s12, s[22:23], v[13:14]
	v_mov_b32_e32 v13, 0
	s_and_saveexec_b32 s25, s12
	s_cbranch_execz .LBB314_2415
; %bb.2408:                             ;   in Loop: Header=BB314_2086 Depth=1
	v_lshrrev_b32_e32 v2, 24, v14
	v_bfrev_b32_e32 v13, 1
	s_mov_b32 s26, exec_lo
	v_cmpx_ne_u32_e32 0x80, v2
	s_cbranch_execz .LBB314_2414
; %bb.2409:                             ;   in Loop: Header=BB314_2086 Depth=1
	v_and_b32_e32 v39, 0x7f, v2
	v_mov_b32_e32 v13, 0x7c010000
	s_mov_b32 s27, exec_lo
	v_cmpx_ne_u32_e32 0x7f, v39
	s_cbranch_execz .LBB314_2413
; %bb.2410:                             ;   in Loop: Header=BB314_2086 Depth=1
	v_and_b32_e32 v13, 7, v2
	v_lshrrev_b32_e32 v14, 3, v39
	s_mov_b32 s28, exec_lo
	v_cmpx_gt_u32_e32 8, v39
; %bb.2411:                             ;   in Loop: Header=BB314_2086 Depth=1
	v_ffbh_u32_e32 v13, v13
	v_min_u32_e32 v39, 32, v13
	v_subrev_nc_u32_e32 v13, 28, v39
	v_lshlrev_b64 v[13:14], v13, v[2:3]
	v_sub_nc_u32_e32 v14, 29, v39
	v_and_b32_e32 v13, 7, v13
; %bb.2412:                             ;   in Loop: Header=BB314_2086 Depth=1
	s_or_b32 exec_lo, exec_lo, s28
	v_lshlrev_b32_e32 v2, 8, v2
	v_lshl_add_u32 v14, v14, 10, 0x2000
	v_lshlrev_b32_e32 v13, 23, v13
	v_and_or_b32 v2, 0x8000, v2, v14
	v_lshl_or_b32 v13, v2, 16, v13
.LBB314_2413:                           ;   in Loop: Header=BB314_2086 Depth=1
	s_or_b32 exec_lo, exec_lo, s27
.LBB314_2414:                           ;   in Loop: Header=BB314_2086 Depth=1
	s_or_b32 exec_lo, exec_lo, s26
.LBB314_2415:                           ;   in Loop: Header=BB314_2086 Depth=1
	s_or_b32 exec_lo, exec_lo, s25
	v_or_b32_e32 v2, v17, v18
	s_waitcnt vmcnt(0) lgkmcnt(0)
	v_fma_mixlo_f16 v14, v5, v17, 0 op_sel:[0,1,0] op_sel_hi:[0,1,0]
	v_or_b32_e32 v16, v6, v16
	v_fma_mixlo_f16 v6, v5, v6, 0 op_sel:[0,1,0] op_sel_hi:[0,1,0]
	v_or_b32_e32 v17, v38, v37
	v_fma_mixlo_f16 v18, v5, v2, 0 op_sel_hi:[0,1,0]
	v_or_b32_e32 v22, v13, v22
	v_lshlrev_b32_e32 v2, 16, v14
	v_lshlrev_b32_e32 v14, 16, v6
	v_fma_mixlo_f16 v16, v5, v16, 0 op_sel_hi:[0,1,0]
	v_and_b32_e32 v6, 0xffff, v18
	v_fma_mixlo_f16 v18, v5, v38, 0 op_sel:[0,1,0] op_sel_hi:[0,1,0]
	v_fma_mixlo_f16 v17, v5, v17, 0 op_sel_hi:[0,1,0]
	v_fma_mixlo_f16 v13, v5, v13, 0 op_sel:[0,1,0] op_sel_hi:[0,1,0]
	v_fma_mixlo_f16 v5, v5, v22, 0 op_sel_hi:[0,1,0]
	v_and_b32_e32 v39, 0xffff, v16
	v_lshlrev_b32_e32 v22, 16, v18
	v_and_b32_e32 v38, 0xffff, v17
	v_lshlrev_b32_e32 v18, 16, v13
	v_and_b32_e32 v37, 0xffff, v5
	v_or_b32_e32 v5, v2, v6
	v_or_b32_e32 v17, v14, v39
	;; [unrolled: 1-line block ×4, first 2 shown]
	s_and_saveexec_b32 s12, s4
	s_cbranch_execz .LBB314_2417
; %bb.2416:                             ;   in Loop: Header=BB314_2086 Depth=1
	v_cndmask_b32_e32 v5, 0, v39, vcc_lo
	v_cndmask_b32_e64 v13, 0, v14, s7
	v_cndmask_b32_e64 v6, 0, v6, s5
	;; [unrolled: 1-line block ×7, first 2 shown]
	v_or_b32_e32 v17, v5, v13
	v_or_b32_e32 v5, v6, v2
	;; [unrolled: 1-line block ×4, first 2 shown]
.LBB314_2417:                           ;   in Loop: Header=BB314_2086 Depth=1
	s_or_b32 exec_lo, exec_lo, s12
	;;#ASMSTART
	v_pk_mul_f16 v2, v41, v17;

	;;#ASMEND
	;;#ASMSTART
	v_pk_mul_f16 v5, v40, v5;

	;;#ASMEND
	;;#ASMSTART
	v_pk_mul_f16 v6, v119, v16;

	;;#ASMEND
	;;#ASMSTART
	v_pk_mul_f16 v13, v118, v13;

	;;#ASMEND
	;;#ASMSTART
	v_pk_add_f16 v2, v2, v5;

	;;#ASMEND
	;;#ASMSTART
	v_pk_add_f16 v2, v2, v6;

	;;#ASMEND
	;; [unrolled: 4-line block ×3, first 2 shown]
	v_and_b32_e32 v5, 0xffff, v2
	v_lshrrev_b32_e32 v2, 16, v2
	;;#ASMSTART
	v_cvt_f32_f16 v56, v5;
	;;#ASMEND
	;;#ASMSTART
	v_cvt_f32_f16 v116, v2;
	;;#ASMEND
	flat_load_dwordx2 v[13:14], v[11:12] offset:1280
	flat_load_dword v5, v[26:27]
	v_mov_b32_e32 v6, 0
	v_mov_b32_e32 v16, 0
	s_waitcnt vmcnt(1) lgkmcnt(1)
	v_cmp_ne_u16_sdwa s12, v13, v3 src0_sel:BYTE_0 src1_sel:DWORD
	s_and_saveexec_b32 s25, s12
	s_cbranch_execz .LBB314_2425
; %bb.2418:                             ;   in Loop: Header=BB314_2086 Depth=1
	v_cmp_ne_u16_sdwa s12, v13, v55 src0_sel:BYTE_0 src1_sel:DWORD
	v_mov_b32_e32 v16, 0x8000
	s_and_saveexec_b32 s26, s12
	s_cbranch_execz .LBB314_2424
; %bb.2419:                             ;   in Loop: Header=BB314_2086 Depth=1
	v_and_b32_e32 v17, 0x7f, v13
	v_mov_b32_e32 v16, 0x7c01
	s_mov_b32 s27, exec_lo
	v_cmpx_ne_u32_e32 0x7f, v17
	s_cbranch_execz .LBB314_2423
; %bb.2420:                             ;   in Loop: Header=BB314_2086 Depth=1
	v_and_b32_e32 v2, 7, v13
	v_lshrrev_b32_e32 v16, 3, v17
	s_mov_b32 s28, exec_lo
	v_cmpx_gt_u32_e32 8, v17
; %bb.2421:                             ;   in Loop: Header=BB314_2086 Depth=1
	v_ffbh_u32_e32 v2, v2
	v_min_u32_e32 v2, 32, v2
	v_subrev_nc_u32_e32 v16, 28, v2
	v_lshlrev_b64 v[17:18], v16, v[13:14]
	v_sub_nc_u32_e32 v16, 29, v2
	v_and_b32_e32 v2, 7, v17
; %bb.2422:                             ;   in Loop: Header=BB314_2086 Depth=1
	s_or_b32 exec_lo, exec_lo, s28
	v_lshlrev_b32_e32 v17, 8, v13
	v_lshl_add_u32 v16, v16, 10, 0x2000
	v_lshlrev_b32_e32 v2, 7, v2
	v_and_b32_e32 v17, 0x8000, v17
	v_and_b32_e32 v16, 0xfc00, v16
	v_or3_b32 v16, v17, v16, v2
.LBB314_2423:                           ;   in Loop: Header=BB314_2086 Depth=1
	s_or_b32 exec_lo, exec_lo, s27
.LBB314_2424:                           ;   in Loop: Header=BB314_2086 Depth=1
	s_or_b32 exec_lo, exec_lo, s26
.LBB314_2425:                           ;   in Loop: Header=BB314_2086 Depth=1
	s_or_b32 exec_lo, exec_lo, s25
	v_lshrrev_b16 v2, 8, v13
	s_mov_b32 s25, exec_lo
	v_cmpx_ne_u16_e32 0, v2
	s_cbranch_execz .LBB314_2433
; %bb.2426:                             ;   in Loop: Header=BB314_2086 Depth=1
	v_bfrev_b32_e32 v6, 1
	s_mov_b32 s26, exec_lo
	v_cmpx_ne_u16_e32 0x80, v2
	s_cbranch_execz .LBB314_2432
; %bb.2427:                             ;   in Loop: Header=BB314_2086 Depth=1
	v_and_b32_sdwa v18, v2, v64 dst_sel:DWORD dst_unused:UNUSED_PAD src0_sel:WORD_0 src1_sel:DWORD
	v_mov_b32_e32 v6, 0x7c010000
	s_mov_b32 s27, exec_lo
	v_cmpx_ne_u32_e32 0x7f, v18
	s_cbranch_execz .LBB314_2431
; %bb.2428:                             ;   in Loop: Header=BB314_2086 Depth=1
	v_and_b32_sdwa v6, v2, v103 dst_sel:DWORD dst_unused:UNUSED_PAD src0_sel:WORD_0 src1_sel:DWORD
	v_lshrrev_b32_e32 v17, 3, v18
	s_mov_b32 s28, exec_lo
	v_cmpx_gt_u32_e32 8, v18
; %bb.2429:                             ;   in Loop: Header=BB314_2086 Depth=1
	v_ffbh_u32_e32 v6, v6
	v_min_u32_e32 v6, 32, v6
	v_subrev_nc_u32_e32 v17, 28, v6
	v_lshlrev_b64 v[37:38], v17, v[2:3]
	v_sub_nc_u32_e32 v17, 29, v6
	v_and_b32_e32 v6, 7, v37
; %bb.2430:                             ;   in Loop: Header=BB314_2086 Depth=1
	s_or_b32 exec_lo, exec_lo, s28
	v_lshlrev_b32_sdwa v2, v112, v2 dst_sel:DWORD dst_unused:UNUSED_PAD src0_sel:DWORD src1_sel:WORD_0
	v_lshl_add_u32 v17, v17, 10, 0x2000
	v_lshlrev_b32_e32 v6, 23, v6
	v_and_or_b32 v2, 0x8000, v2, v17
	v_lshl_or_b32 v6, v2, 16, v6
.LBB314_2431:                           ;   in Loop: Header=BB314_2086 Depth=1
	s_or_b32 exec_lo, exec_lo, s27
.LBB314_2432:                           ;   in Loop: Header=BB314_2086 Depth=1
	s_or_b32 exec_lo, exec_lo, s26
.LBB314_2433:                           ;   in Loop: Header=BB314_2086 Depth=1
	s_or_b32 exec_lo, exec_lo, s25
	v_lshrrev_b32_e32 v2, 16, v13
	v_mov_b32_e32 v17, 0
	v_mov_b32_e32 v18, 0
	v_cmp_ne_u16_sdwa s12, v2, v3 src0_sel:BYTE_0 src1_sel:DWORD
	s_and_saveexec_b32 s25, s12
	s_cbranch_execz .LBB314_2441
; %bb.2434:                             ;   in Loop: Header=BB314_2086 Depth=1
	v_cmp_ne_u16_sdwa s12, v2, v55 src0_sel:BYTE_0 src1_sel:DWORD
	v_mov_b32_e32 v18, 0x8000
	s_and_saveexec_b32 s26, s12
	s_cbranch_execz .LBB314_2440
; %bb.2435:                             ;   in Loop: Header=BB314_2086 Depth=1
	v_bfe_u32 v37, v13, 16, 7
	v_mov_b32_e32 v18, 0x7c01
	s_mov_b32 s27, exec_lo
	v_cmpx_ne_u32_e32 0x7f, v37
	s_cbranch_execz .LBB314_2439
; %bb.2436:                             ;   in Loop: Header=BB314_2086 Depth=1
	v_and_b32_e32 v18, 7, v2
	v_lshrrev_b32_e32 v22, 3, v37
	s_mov_b32 s28, exec_lo
	v_cmpx_gt_u32_e32 8, v37
; %bb.2437:                             ;   in Loop: Header=BB314_2086 Depth=1
	v_ffbh_u32_e32 v18, v18
	v_min_u32_e32 v18, 32, v18
	v_subrev_nc_u32_e32 v22, 28, v18
	v_lshlrev_b64 v[37:38], v22, v[2:3]
	v_sub_nc_u32_e32 v22, 29, v18
	v_and_b32_e32 v18, 7, v37
; %bb.2438:                             ;   in Loop: Header=BB314_2086 Depth=1
	s_or_b32 exec_lo, exec_lo, s28
	v_lshlrev_b32_e32 v2, 8, v2
	v_lshl_add_u32 v22, v22, 10, 0x2000
	v_lshlrev_b32_e32 v18, 7, v18
	v_and_b32_e32 v2, 0x8000, v2
	v_and_b32_e32 v22, 0xfc00, v22
	v_or3_b32 v18, v2, v22, v18
.LBB314_2439:                           ;   in Loop: Header=BB314_2086 Depth=1
	s_or_b32 exec_lo, exec_lo, s27
.LBB314_2440:                           ;   in Loop: Header=BB314_2086 Depth=1
	s_or_b32 exec_lo, exec_lo, s26
.LBB314_2441:                           ;   in Loop: Header=BB314_2086 Depth=1
	s_or_b32 exec_lo, exec_lo, s25
	s_mov_b32 s25, exec_lo
	v_cmpx_lt_u32_e32 0xffffff, v13
	s_cbranch_execz .LBB314_2449
; %bb.2442:                             ;   in Loop: Header=BB314_2086 Depth=1
	v_lshrrev_b32_e32 v2, 24, v13
	v_bfrev_b32_e32 v17, 1
	s_mov_b32 s26, exec_lo
	v_cmpx_ne_u32_e32 0x80, v2
	s_cbranch_execz .LBB314_2448
; %bb.2443:                             ;   in Loop: Header=BB314_2086 Depth=1
	v_and_b32_e32 v37, 0x7f, v2
	v_mov_b32_e32 v17, 0x7c010000
	s_mov_b32 s27, exec_lo
	v_cmpx_ne_u32_e32 0x7f, v37
	s_cbranch_execz .LBB314_2447
; %bb.2444:                             ;   in Loop: Header=BB314_2086 Depth=1
	v_and_b32_e32 v17, 7, v2
	v_lshrrev_b32_e32 v22, 3, v37
	s_mov_b32 s28, exec_lo
	v_cmpx_gt_u32_e32 8, v37
; %bb.2445:                             ;   in Loop: Header=BB314_2086 Depth=1
	v_ffbh_u32_e32 v17, v17
	v_min_u32_e32 v17, 32, v17
	v_subrev_nc_u32_e32 v22, 28, v17
	v_lshlrev_b64 v[37:38], v22, v[2:3]
	v_sub_nc_u32_e32 v22, 29, v17
	v_and_b32_e32 v17, 7, v37
; %bb.2446:                             ;   in Loop: Header=BB314_2086 Depth=1
	s_or_b32 exec_lo, exec_lo, s28
	v_lshlrev_b32_e32 v2, 8, v2
	v_lshl_add_u32 v22, v22, 10, 0x2000
	v_lshlrev_b32_e32 v17, 23, v17
	v_and_or_b32 v2, 0x8000, v2, v22
	v_lshl_or_b32 v17, v2, 16, v17
.LBB314_2447:                           ;   in Loop: Header=BB314_2086 Depth=1
	s_or_b32 exec_lo, exec_lo, s27
.LBB314_2448:                           ;   in Loop: Header=BB314_2086 Depth=1
	s_or_b32 exec_lo, exec_lo, s26
.LBB314_2449:                           ;   in Loop: Header=BB314_2086 Depth=1
	s_or_b32 exec_lo, exec_lo, s25
	v_mov_b32_e32 v2, v14
	v_cmp_ne_u16_sdwa s12, v14, v3 src0_sel:BYTE_0 src1_sel:DWORD
	v_mov_b32_e32 v22, 0
	v_mov_b32_e32 v37, 0
	s_and_saveexec_b32 s25, s12
	s_cbranch_execz .LBB314_2457
; %bb.2450:                             ;   in Loop: Header=BB314_2086 Depth=1
	v_cmp_ne_u16_sdwa s12, v14, v55 src0_sel:BYTE_0 src1_sel:DWORD
	v_mov_b32_e32 v37, 0x8000
	s_and_saveexec_b32 s26, s12
	s_cbranch_execz .LBB314_2456
; %bb.2451:                             ;   in Loop: Header=BB314_2086 Depth=1
	v_and_b32_e32 v39, 0x7f, v14
	v_mov_b32_e32 v37, 0x7c01
	s_mov_b32 s27, exec_lo
	v_cmpx_ne_u32_e32 0x7f, v39
	s_cbranch_execz .LBB314_2455
; %bb.2452:                             ;   in Loop: Header=BB314_2086 Depth=1
	v_and_b32_e32 v37, 7, v14
	v_lshrrev_b32_e32 v38, 3, v39
	s_mov_b32 s28, exec_lo
	v_cmpx_gt_u32_e32 8, v39
; %bb.2453:                             ;   in Loop: Header=BB314_2086 Depth=1
	v_ffbh_u32_e32 v37, v37
	v_min_u32_e32 v39, 32, v37
	v_subrev_nc_u32_e32 v37, 28, v39
	v_lshlrev_b64 v[37:38], v37, v[2:3]
	v_sub_nc_u32_e32 v38, 29, v39
	v_and_b32_e32 v37, 7, v37
; %bb.2454:                             ;   in Loop: Header=BB314_2086 Depth=1
	s_or_b32 exec_lo, exec_lo, s28
	v_lshlrev_b32_e32 v39, 8, v14
	v_lshl_add_u32 v38, v38, 10, 0x2000
	v_lshlrev_b32_e32 v37, 7, v37
	v_and_b32_e32 v39, 0x8000, v39
	v_and_b32_e32 v38, 0xfc00, v38
	v_or3_b32 v37, v39, v38, v37
.LBB314_2455:                           ;   in Loop: Header=BB314_2086 Depth=1
	s_or_b32 exec_lo, exec_lo, s27
.LBB314_2456:                           ;   in Loop: Header=BB314_2086 Depth=1
	s_or_b32 exec_lo, exec_lo, s26
.LBB314_2457:                           ;   in Loop: Header=BB314_2086 Depth=1
	s_or_b32 exec_lo, exec_lo, s25
	v_lshrrev_b16 v2, 8, v2
	v_mov_b32_e32 v38, 0
	s_mov_b32 s25, exec_lo
	v_cmpx_ne_u16_e32 0, v2
	s_cbranch_execz .LBB314_2465
; %bb.2458:                             ;   in Loop: Header=BB314_2086 Depth=1
	v_bfrev_b32_e32 v38, 1
	s_mov_b32 s26, exec_lo
	v_cmpx_ne_u16_e32 0x80, v2
	s_cbranch_execz .LBB314_2464
; %bb.2459:                             ;   in Loop: Header=BB314_2086 Depth=1
	v_and_b32_sdwa v48, v2, v64 dst_sel:DWORD dst_unused:UNUSED_PAD src0_sel:WORD_0 src1_sel:DWORD
	v_mov_b32_e32 v38, 0x7c010000
	s_mov_b32 s27, exec_lo
	v_cmpx_ne_u32_e32 0x7f, v48
	s_cbranch_execz .LBB314_2463
; %bb.2460:                             ;   in Loop: Header=BB314_2086 Depth=1
	v_and_b32_sdwa v38, v2, v103 dst_sel:DWORD dst_unused:UNUSED_PAD src0_sel:WORD_0 src1_sel:DWORD
	v_lshrrev_b32_e32 v39, 3, v48
	s_mov_b32 s28, exec_lo
	v_cmpx_gt_u32_e32 8, v48
; %bb.2461:                             ;   in Loop: Header=BB314_2086 Depth=1
	v_ffbh_u32_e32 v38, v38
	v_min_u32_e32 v48, 32, v38
	v_subrev_nc_u32_e32 v38, 28, v48
	v_lshlrev_b64 v[38:39], v38, v[2:3]
	v_sub_nc_u32_e32 v39, 29, v48
	v_and_b32_e32 v38, 7, v38
; %bb.2462:                             ;   in Loop: Header=BB314_2086 Depth=1
	s_or_b32 exec_lo, exec_lo, s28
	v_lshlrev_b32_sdwa v2, v112, v2 dst_sel:DWORD dst_unused:UNUSED_PAD src0_sel:DWORD src1_sel:WORD_0
	v_lshl_add_u32 v39, v39, 10, 0x2000
	v_lshlrev_b32_e32 v38, 23, v38
	v_and_or_b32 v2, 0x8000, v2, v39
	v_lshl_or_b32 v38, v2, 16, v38
.LBB314_2463:                           ;   in Loop: Header=BB314_2086 Depth=1
	s_or_b32 exec_lo, exec_lo, s27
.LBB314_2464:                           ;   in Loop: Header=BB314_2086 Depth=1
	s_or_b32 exec_lo, exec_lo, s26
.LBB314_2465:                           ;   in Loop: Header=BB314_2086 Depth=1
	s_or_b32 exec_lo, exec_lo, s25
	v_lshrrev_b32_e32 v2, 16, v14
	v_cmp_ne_u16_sdwa s12, v2, v3 src0_sel:BYTE_0 src1_sel:DWORD
	s_and_saveexec_b32 s25, s12
	s_cbranch_execz .LBB314_2473
; %bb.2466:                             ;   in Loop: Header=BB314_2086 Depth=1
	v_cmp_ne_u16_sdwa s12, v2, v55 src0_sel:BYTE_0 src1_sel:DWORD
	v_mov_b32_e32 v22, 0x8000
	s_and_saveexec_b32 s26, s12
	s_cbranch_execz .LBB314_2472
; %bb.2467:                             ;   in Loop: Header=BB314_2086 Depth=1
	v_bfe_u32 v48, v14, 16, 7
	v_mov_b32_e32 v22, 0x7c01
	s_mov_b32 s27, exec_lo
	v_cmpx_ne_u32_e32 0x7f, v48
	s_cbranch_execz .LBB314_2471
; %bb.2468:                             ;   in Loop: Header=BB314_2086 Depth=1
	v_and_b32_e32 v22, 7, v2
	v_lshrrev_b32_e32 v39, 3, v48
	s_mov_b32 s28, exec_lo
	v_cmpx_gt_u32_e32 8, v48
; %bb.2469:                             ;   in Loop: Header=BB314_2086 Depth=1
	v_ffbh_u32_e32 v22, v22
	v_min_u32_e32 v22, 32, v22
	v_subrev_nc_u32_e32 v39, 28, v22
	v_lshlrev_b64 v[48:49], v39, v[2:3]
	v_sub_nc_u32_e32 v39, 29, v22
	v_and_b32_e32 v22, 7, v48
; %bb.2470:                             ;   in Loop: Header=BB314_2086 Depth=1
	s_or_b32 exec_lo, exec_lo, s28
	v_lshlrev_b32_e32 v2, 8, v2
	v_lshl_add_u32 v39, v39, 10, 0x2000
	v_lshlrev_b32_e32 v22, 7, v22
	v_and_b32_e32 v2, 0x8000, v2
	v_and_b32_e32 v39, 0xfc00, v39
	v_or3_b32 v22, v2, v39, v22
.LBB314_2471:                           ;   in Loop: Header=BB314_2086 Depth=1
	s_or_b32 exec_lo, exec_lo, s27
.LBB314_2472:                           ;   in Loop: Header=BB314_2086 Depth=1
	s_or_b32 exec_lo, exec_lo, s26
.LBB314_2473:                           ;   in Loop: Header=BB314_2086 Depth=1
	s_or_b32 exec_lo, exec_lo, s25
	v_cmp_lt_u64_e64 s12, s[22:23], v[13:14]
	v_mov_b32_e32 v13, 0
	s_and_saveexec_b32 s25, s12
	s_cbranch_execz .LBB314_2481
; %bb.2474:                             ;   in Loop: Header=BB314_2086 Depth=1
	v_lshrrev_b32_e32 v2, 24, v14
	v_bfrev_b32_e32 v13, 1
	s_mov_b32 s26, exec_lo
	v_cmpx_ne_u32_e32 0x80, v2
	s_cbranch_execz .LBB314_2480
; %bb.2475:                             ;   in Loop: Header=BB314_2086 Depth=1
	v_and_b32_e32 v39, 0x7f, v2
	v_mov_b32_e32 v13, 0x7c010000
	s_mov_b32 s27, exec_lo
	v_cmpx_ne_u32_e32 0x7f, v39
	s_cbranch_execz .LBB314_2479
; %bb.2476:                             ;   in Loop: Header=BB314_2086 Depth=1
	v_and_b32_e32 v13, 7, v2
	v_lshrrev_b32_e32 v14, 3, v39
	s_mov_b32 s28, exec_lo
	v_cmpx_gt_u32_e32 8, v39
; %bb.2477:                             ;   in Loop: Header=BB314_2086 Depth=1
	v_ffbh_u32_e32 v13, v13
	v_min_u32_e32 v39, 32, v13
	v_subrev_nc_u32_e32 v13, 28, v39
	v_lshlrev_b64 v[13:14], v13, v[2:3]
	v_sub_nc_u32_e32 v14, 29, v39
	v_and_b32_e32 v13, 7, v13
; %bb.2478:                             ;   in Loop: Header=BB314_2086 Depth=1
	s_or_b32 exec_lo, exec_lo, s28
	v_lshlrev_b32_e32 v2, 8, v2
	v_lshl_add_u32 v14, v14, 10, 0x2000
	v_lshlrev_b32_e32 v13, 23, v13
	v_and_or_b32 v2, 0x8000, v2, v14
	v_lshl_or_b32 v13, v2, 16, v13
.LBB314_2479:                           ;   in Loop: Header=BB314_2086 Depth=1
	s_or_b32 exec_lo, exec_lo, s27
.LBB314_2480:                           ;   in Loop: Header=BB314_2086 Depth=1
	s_or_b32 exec_lo, exec_lo, s26
.LBB314_2481:                           ;   in Loop: Header=BB314_2086 Depth=1
	s_or_b32 exec_lo, exec_lo, s25
	v_or_b32_e32 v2, v17, v18
	s_waitcnt vmcnt(0) lgkmcnt(0)
	v_fma_mixlo_f16 v14, v5, v17, 0 op_sel:[0,1,0] op_sel_hi:[0,1,0]
	v_or_b32_e32 v16, v6, v16
	v_fma_mixlo_f16 v6, v5, v6, 0 op_sel:[0,1,0] op_sel_hi:[0,1,0]
	v_or_b32_e32 v17, v38, v37
	v_fma_mixlo_f16 v18, v5, v2, 0 op_sel_hi:[0,1,0]
	v_or_b32_e32 v22, v13, v22
	v_lshlrev_b32_e32 v2, 16, v14
	v_lshlrev_b32_e32 v14, 16, v6
	v_fma_mixlo_f16 v16, v5, v16, 0 op_sel_hi:[0,1,0]
	v_and_b32_e32 v6, 0xffff, v18
	v_fma_mixlo_f16 v18, v5, v38, 0 op_sel:[0,1,0] op_sel_hi:[0,1,0]
	v_fma_mixlo_f16 v17, v5, v17, 0 op_sel_hi:[0,1,0]
	v_fma_mixlo_f16 v13, v5, v13, 0 op_sel:[0,1,0] op_sel_hi:[0,1,0]
	v_fma_mixlo_f16 v5, v5, v22, 0 op_sel_hi:[0,1,0]
	v_and_b32_e32 v39, 0xffff, v16
	v_lshlrev_b32_e32 v22, 16, v18
	v_and_b32_e32 v38, 0xffff, v17
	v_lshlrev_b32_e32 v18, 16, v13
	v_and_b32_e32 v37, 0xffff, v5
	v_or_b32_e32 v5, v2, v6
	v_or_b32_e32 v17, v14, v39
	;; [unrolled: 1-line block ×4, first 2 shown]
	s_and_saveexec_b32 s12, s4
	s_cbranch_execz .LBB314_2483
; %bb.2482:                             ;   in Loop: Header=BB314_2086 Depth=1
	v_cndmask_b32_e32 v5, 0, v39, vcc_lo
	v_cndmask_b32_e64 v13, 0, v14, s7
	v_cndmask_b32_e64 v6, 0, v6, s5
	;; [unrolled: 1-line block ×7, first 2 shown]
	v_or_b32_e32 v17, v5, v13
	v_or_b32_e32 v5, v6, v2
	;; [unrolled: 1-line block ×4, first 2 shown]
.LBB314_2483:                           ;   in Loop: Header=BB314_2086 Depth=1
	s_or_b32 exec_lo, exec_lo, s12
	;;#ASMSTART
	v_pk_mul_f16 v2, v41, v17;

	;;#ASMEND
	;;#ASMSTART
	v_pk_mul_f16 v5, v40, v5;

	;;#ASMEND
	;;#ASMSTART
	v_pk_mul_f16 v6, v119, v16;

	;;#ASMEND
	;;#ASMSTART
	v_pk_mul_f16 v13, v118, v13;

	;;#ASMEND
	;;#ASMSTART
	v_pk_add_f16 v2, v2, v5;

	;;#ASMEND
	;;#ASMSTART
	v_pk_add_f16 v2, v2, v6;

	;;#ASMEND
	;; [unrolled: 4-line block ×3, first 2 shown]
	v_and_b32_e32 v5, 0xffff, v2
	v_lshrrev_b32_e32 v2, 16, v2
	;;#ASMSTART
	v_cvt_f32_f16 v58, v5;
	;;#ASMEND
	;;#ASMSTART
	v_cvt_f32_f16 v66, v2;
	;;#ASMEND
	flat_load_dwordx2 v[13:14], v[11:12] offset:1536
	flat_load_dword v5, v[26:27]
	v_mov_b32_e32 v6, 0
	v_mov_b32_e32 v16, 0
	s_waitcnt vmcnt(1) lgkmcnt(1)
	v_cmp_ne_u16_sdwa s12, v13, v3 src0_sel:BYTE_0 src1_sel:DWORD
	s_and_saveexec_b32 s25, s12
	s_cbranch_execz .LBB314_2491
; %bb.2484:                             ;   in Loop: Header=BB314_2086 Depth=1
	v_cmp_ne_u16_sdwa s12, v13, v55 src0_sel:BYTE_0 src1_sel:DWORD
	v_mov_b32_e32 v16, 0x8000
	s_and_saveexec_b32 s26, s12
	s_cbranch_execz .LBB314_2490
; %bb.2485:                             ;   in Loop: Header=BB314_2086 Depth=1
	v_and_b32_e32 v17, 0x7f, v13
	v_mov_b32_e32 v16, 0x7c01
	s_mov_b32 s27, exec_lo
	v_cmpx_ne_u32_e32 0x7f, v17
	s_cbranch_execz .LBB314_2489
; %bb.2486:                             ;   in Loop: Header=BB314_2086 Depth=1
	v_and_b32_e32 v2, 7, v13
	v_lshrrev_b32_e32 v16, 3, v17
	s_mov_b32 s28, exec_lo
	v_cmpx_gt_u32_e32 8, v17
; %bb.2487:                             ;   in Loop: Header=BB314_2086 Depth=1
	v_ffbh_u32_e32 v2, v2
	v_min_u32_e32 v2, 32, v2
	v_subrev_nc_u32_e32 v16, 28, v2
	v_lshlrev_b64 v[17:18], v16, v[13:14]
	v_sub_nc_u32_e32 v16, 29, v2
	v_and_b32_e32 v2, 7, v17
; %bb.2488:                             ;   in Loop: Header=BB314_2086 Depth=1
	s_or_b32 exec_lo, exec_lo, s28
	v_lshlrev_b32_e32 v17, 8, v13
	v_lshl_add_u32 v16, v16, 10, 0x2000
	v_lshlrev_b32_e32 v2, 7, v2
	v_and_b32_e32 v17, 0x8000, v17
	v_and_b32_e32 v16, 0xfc00, v16
	v_or3_b32 v16, v17, v16, v2
.LBB314_2489:                           ;   in Loop: Header=BB314_2086 Depth=1
	s_or_b32 exec_lo, exec_lo, s27
.LBB314_2490:                           ;   in Loop: Header=BB314_2086 Depth=1
	s_or_b32 exec_lo, exec_lo, s26
.LBB314_2491:                           ;   in Loop: Header=BB314_2086 Depth=1
	s_or_b32 exec_lo, exec_lo, s25
	v_lshrrev_b16 v2, 8, v13
	s_mov_b32 s25, exec_lo
	v_cmpx_ne_u16_e32 0, v2
	s_cbranch_execz .LBB314_2499
; %bb.2492:                             ;   in Loop: Header=BB314_2086 Depth=1
	v_bfrev_b32_e32 v6, 1
	s_mov_b32 s26, exec_lo
	v_cmpx_ne_u16_e32 0x80, v2
	s_cbranch_execz .LBB314_2498
; %bb.2493:                             ;   in Loop: Header=BB314_2086 Depth=1
	v_and_b32_sdwa v18, v2, v64 dst_sel:DWORD dst_unused:UNUSED_PAD src0_sel:WORD_0 src1_sel:DWORD
	v_mov_b32_e32 v6, 0x7c010000
	s_mov_b32 s27, exec_lo
	v_cmpx_ne_u32_e32 0x7f, v18
	s_cbranch_execz .LBB314_2497
; %bb.2494:                             ;   in Loop: Header=BB314_2086 Depth=1
	v_and_b32_sdwa v6, v2, v103 dst_sel:DWORD dst_unused:UNUSED_PAD src0_sel:WORD_0 src1_sel:DWORD
	v_lshrrev_b32_e32 v17, 3, v18
	s_mov_b32 s28, exec_lo
	v_cmpx_gt_u32_e32 8, v18
; %bb.2495:                             ;   in Loop: Header=BB314_2086 Depth=1
	v_ffbh_u32_e32 v6, v6
	v_min_u32_e32 v6, 32, v6
	v_subrev_nc_u32_e32 v17, 28, v6
	v_lshlrev_b64 v[37:38], v17, v[2:3]
	v_sub_nc_u32_e32 v17, 29, v6
	v_and_b32_e32 v6, 7, v37
; %bb.2496:                             ;   in Loop: Header=BB314_2086 Depth=1
	s_or_b32 exec_lo, exec_lo, s28
	v_lshlrev_b32_sdwa v2, v112, v2 dst_sel:DWORD dst_unused:UNUSED_PAD src0_sel:DWORD src1_sel:WORD_0
	v_lshl_add_u32 v17, v17, 10, 0x2000
	v_lshlrev_b32_e32 v6, 23, v6
	v_and_or_b32 v2, 0x8000, v2, v17
	v_lshl_or_b32 v6, v2, 16, v6
.LBB314_2497:                           ;   in Loop: Header=BB314_2086 Depth=1
	s_or_b32 exec_lo, exec_lo, s27
.LBB314_2498:                           ;   in Loop: Header=BB314_2086 Depth=1
	s_or_b32 exec_lo, exec_lo, s26
.LBB314_2499:                           ;   in Loop: Header=BB314_2086 Depth=1
	s_or_b32 exec_lo, exec_lo, s25
	v_lshrrev_b32_e32 v2, 16, v13
	v_mov_b32_e32 v17, 0
	v_mov_b32_e32 v18, 0
	v_cmp_ne_u16_sdwa s12, v2, v3 src0_sel:BYTE_0 src1_sel:DWORD
	s_and_saveexec_b32 s25, s12
	s_cbranch_execz .LBB314_2507
; %bb.2500:                             ;   in Loop: Header=BB314_2086 Depth=1
	v_cmp_ne_u16_sdwa s12, v2, v55 src0_sel:BYTE_0 src1_sel:DWORD
	v_mov_b32_e32 v18, 0x8000
	s_and_saveexec_b32 s26, s12
	s_cbranch_execz .LBB314_2506
; %bb.2501:                             ;   in Loop: Header=BB314_2086 Depth=1
	v_bfe_u32 v37, v13, 16, 7
	v_mov_b32_e32 v18, 0x7c01
	s_mov_b32 s27, exec_lo
	v_cmpx_ne_u32_e32 0x7f, v37
	s_cbranch_execz .LBB314_2505
; %bb.2502:                             ;   in Loop: Header=BB314_2086 Depth=1
	v_and_b32_e32 v18, 7, v2
	v_lshrrev_b32_e32 v22, 3, v37
	s_mov_b32 s28, exec_lo
	v_cmpx_gt_u32_e32 8, v37
; %bb.2503:                             ;   in Loop: Header=BB314_2086 Depth=1
	v_ffbh_u32_e32 v18, v18
	v_min_u32_e32 v18, 32, v18
	v_subrev_nc_u32_e32 v22, 28, v18
	v_lshlrev_b64 v[37:38], v22, v[2:3]
	v_sub_nc_u32_e32 v22, 29, v18
	v_and_b32_e32 v18, 7, v37
; %bb.2504:                             ;   in Loop: Header=BB314_2086 Depth=1
	s_or_b32 exec_lo, exec_lo, s28
	v_lshlrev_b32_e32 v2, 8, v2
	v_lshl_add_u32 v22, v22, 10, 0x2000
	v_lshlrev_b32_e32 v18, 7, v18
	v_and_b32_e32 v2, 0x8000, v2
	v_and_b32_e32 v22, 0xfc00, v22
	v_or3_b32 v18, v2, v22, v18
.LBB314_2505:                           ;   in Loop: Header=BB314_2086 Depth=1
	s_or_b32 exec_lo, exec_lo, s27
.LBB314_2506:                           ;   in Loop: Header=BB314_2086 Depth=1
	s_or_b32 exec_lo, exec_lo, s26
.LBB314_2507:                           ;   in Loop: Header=BB314_2086 Depth=1
	s_or_b32 exec_lo, exec_lo, s25
	s_mov_b32 s25, exec_lo
	v_cmpx_lt_u32_e32 0xffffff, v13
	s_cbranch_execz .LBB314_2515
; %bb.2508:                             ;   in Loop: Header=BB314_2086 Depth=1
	v_lshrrev_b32_e32 v2, 24, v13
	v_bfrev_b32_e32 v17, 1
	s_mov_b32 s26, exec_lo
	v_cmpx_ne_u32_e32 0x80, v2
	s_cbranch_execz .LBB314_2514
; %bb.2509:                             ;   in Loop: Header=BB314_2086 Depth=1
	v_and_b32_e32 v37, 0x7f, v2
	v_mov_b32_e32 v17, 0x7c010000
	s_mov_b32 s27, exec_lo
	v_cmpx_ne_u32_e32 0x7f, v37
	s_cbranch_execz .LBB314_2513
; %bb.2510:                             ;   in Loop: Header=BB314_2086 Depth=1
	v_and_b32_e32 v17, 7, v2
	v_lshrrev_b32_e32 v22, 3, v37
	s_mov_b32 s28, exec_lo
	v_cmpx_gt_u32_e32 8, v37
; %bb.2511:                             ;   in Loop: Header=BB314_2086 Depth=1
	v_ffbh_u32_e32 v17, v17
	v_min_u32_e32 v17, 32, v17
	v_subrev_nc_u32_e32 v22, 28, v17
	v_lshlrev_b64 v[37:38], v22, v[2:3]
	v_sub_nc_u32_e32 v22, 29, v17
	v_and_b32_e32 v17, 7, v37
; %bb.2512:                             ;   in Loop: Header=BB314_2086 Depth=1
	s_or_b32 exec_lo, exec_lo, s28
	v_lshlrev_b32_e32 v2, 8, v2
	v_lshl_add_u32 v22, v22, 10, 0x2000
	v_lshlrev_b32_e32 v17, 23, v17
	v_and_or_b32 v2, 0x8000, v2, v22
	v_lshl_or_b32 v17, v2, 16, v17
.LBB314_2513:                           ;   in Loop: Header=BB314_2086 Depth=1
	s_or_b32 exec_lo, exec_lo, s27
.LBB314_2514:                           ;   in Loop: Header=BB314_2086 Depth=1
	s_or_b32 exec_lo, exec_lo, s26
.LBB314_2515:                           ;   in Loop: Header=BB314_2086 Depth=1
	s_or_b32 exec_lo, exec_lo, s25
	v_mov_b32_e32 v2, v14
	v_cmp_ne_u16_sdwa s12, v14, v3 src0_sel:BYTE_0 src1_sel:DWORD
	v_mov_b32_e32 v22, 0
	v_mov_b32_e32 v37, 0
	s_and_saveexec_b32 s25, s12
	s_cbranch_execz .LBB314_2523
; %bb.2516:                             ;   in Loop: Header=BB314_2086 Depth=1
	v_cmp_ne_u16_sdwa s12, v14, v55 src0_sel:BYTE_0 src1_sel:DWORD
	v_mov_b32_e32 v37, 0x8000
	s_and_saveexec_b32 s26, s12
	s_cbranch_execz .LBB314_2522
; %bb.2517:                             ;   in Loop: Header=BB314_2086 Depth=1
	v_and_b32_e32 v39, 0x7f, v14
	v_mov_b32_e32 v37, 0x7c01
	s_mov_b32 s27, exec_lo
	v_cmpx_ne_u32_e32 0x7f, v39
	s_cbranch_execz .LBB314_2521
; %bb.2518:                             ;   in Loop: Header=BB314_2086 Depth=1
	v_and_b32_e32 v37, 7, v14
	v_lshrrev_b32_e32 v38, 3, v39
	s_mov_b32 s28, exec_lo
	v_cmpx_gt_u32_e32 8, v39
; %bb.2519:                             ;   in Loop: Header=BB314_2086 Depth=1
	v_ffbh_u32_e32 v37, v37
	v_min_u32_e32 v39, 32, v37
	v_subrev_nc_u32_e32 v37, 28, v39
	v_lshlrev_b64 v[37:38], v37, v[2:3]
	v_sub_nc_u32_e32 v38, 29, v39
	v_and_b32_e32 v37, 7, v37
; %bb.2520:                             ;   in Loop: Header=BB314_2086 Depth=1
	s_or_b32 exec_lo, exec_lo, s28
	v_lshlrev_b32_e32 v39, 8, v14
	v_lshl_add_u32 v38, v38, 10, 0x2000
	v_lshlrev_b32_e32 v37, 7, v37
	v_and_b32_e32 v39, 0x8000, v39
	v_and_b32_e32 v38, 0xfc00, v38
	v_or3_b32 v37, v39, v38, v37
.LBB314_2521:                           ;   in Loop: Header=BB314_2086 Depth=1
	s_or_b32 exec_lo, exec_lo, s27
.LBB314_2522:                           ;   in Loop: Header=BB314_2086 Depth=1
	s_or_b32 exec_lo, exec_lo, s26
.LBB314_2523:                           ;   in Loop: Header=BB314_2086 Depth=1
	s_or_b32 exec_lo, exec_lo, s25
	v_lshrrev_b16 v2, 8, v2
	v_mov_b32_e32 v38, 0
	s_mov_b32 s25, exec_lo
	v_cmpx_ne_u16_e32 0, v2
	s_cbranch_execz .LBB314_2531
; %bb.2524:                             ;   in Loop: Header=BB314_2086 Depth=1
	v_bfrev_b32_e32 v38, 1
	s_mov_b32 s26, exec_lo
	v_cmpx_ne_u16_e32 0x80, v2
	s_cbranch_execz .LBB314_2530
; %bb.2525:                             ;   in Loop: Header=BB314_2086 Depth=1
	v_and_b32_sdwa v48, v2, v64 dst_sel:DWORD dst_unused:UNUSED_PAD src0_sel:WORD_0 src1_sel:DWORD
	v_mov_b32_e32 v38, 0x7c010000
	s_mov_b32 s27, exec_lo
	v_cmpx_ne_u32_e32 0x7f, v48
	s_cbranch_execz .LBB314_2529
; %bb.2526:                             ;   in Loop: Header=BB314_2086 Depth=1
	v_and_b32_sdwa v38, v2, v103 dst_sel:DWORD dst_unused:UNUSED_PAD src0_sel:WORD_0 src1_sel:DWORD
	v_lshrrev_b32_e32 v39, 3, v48
	s_mov_b32 s28, exec_lo
	v_cmpx_gt_u32_e32 8, v48
; %bb.2527:                             ;   in Loop: Header=BB314_2086 Depth=1
	v_ffbh_u32_e32 v38, v38
	v_min_u32_e32 v48, 32, v38
	v_subrev_nc_u32_e32 v38, 28, v48
	v_lshlrev_b64 v[38:39], v38, v[2:3]
	v_sub_nc_u32_e32 v39, 29, v48
	v_and_b32_e32 v38, 7, v38
; %bb.2528:                             ;   in Loop: Header=BB314_2086 Depth=1
	s_or_b32 exec_lo, exec_lo, s28
	v_lshlrev_b32_sdwa v2, v112, v2 dst_sel:DWORD dst_unused:UNUSED_PAD src0_sel:DWORD src1_sel:WORD_0
	v_lshl_add_u32 v39, v39, 10, 0x2000
	v_lshlrev_b32_e32 v38, 23, v38
	v_and_or_b32 v2, 0x8000, v2, v39
	v_lshl_or_b32 v38, v2, 16, v38
.LBB314_2529:                           ;   in Loop: Header=BB314_2086 Depth=1
	s_or_b32 exec_lo, exec_lo, s27
.LBB314_2530:                           ;   in Loop: Header=BB314_2086 Depth=1
	s_or_b32 exec_lo, exec_lo, s26
.LBB314_2531:                           ;   in Loop: Header=BB314_2086 Depth=1
	s_or_b32 exec_lo, exec_lo, s25
	v_lshrrev_b32_e32 v2, 16, v14
	v_cmp_ne_u16_sdwa s12, v2, v3 src0_sel:BYTE_0 src1_sel:DWORD
	s_and_saveexec_b32 s25, s12
	s_cbranch_execz .LBB314_2539
; %bb.2532:                             ;   in Loop: Header=BB314_2086 Depth=1
	v_cmp_ne_u16_sdwa s12, v2, v55 src0_sel:BYTE_0 src1_sel:DWORD
	v_mov_b32_e32 v22, 0x8000
	s_and_saveexec_b32 s26, s12
	s_cbranch_execz .LBB314_2538
; %bb.2533:                             ;   in Loop: Header=BB314_2086 Depth=1
	v_bfe_u32 v48, v14, 16, 7
	v_mov_b32_e32 v22, 0x7c01
	s_mov_b32 s27, exec_lo
	v_cmpx_ne_u32_e32 0x7f, v48
	s_cbranch_execz .LBB314_2537
; %bb.2534:                             ;   in Loop: Header=BB314_2086 Depth=1
	v_and_b32_e32 v22, 7, v2
	v_lshrrev_b32_e32 v39, 3, v48
	s_mov_b32 s28, exec_lo
	v_cmpx_gt_u32_e32 8, v48
; %bb.2535:                             ;   in Loop: Header=BB314_2086 Depth=1
	v_ffbh_u32_e32 v22, v22
	v_min_u32_e32 v22, 32, v22
	v_subrev_nc_u32_e32 v39, 28, v22
	v_lshlrev_b64 v[48:49], v39, v[2:3]
	v_sub_nc_u32_e32 v39, 29, v22
	v_and_b32_e32 v22, 7, v48
; %bb.2536:                             ;   in Loop: Header=BB314_2086 Depth=1
	s_or_b32 exec_lo, exec_lo, s28
	v_lshlrev_b32_e32 v2, 8, v2
	v_lshl_add_u32 v39, v39, 10, 0x2000
	v_lshlrev_b32_e32 v22, 7, v22
	v_and_b32_e32 v2, 0x8000, v2
	v_and_b32_e32 v39, 0xfc00, v39
	v_or3_b32 v22, v2, v39, v22
.LBB314_2537:                           ;   in Loop: Header=BB314_2086 Depth=1
	s_or_b32 exec_lo, exec_lo, s27
.LBB314_2538:                           ;   in Loop: Header=BB314_2086 Depth=1
	s_or_b32 exec_lo, exec_lo, s26
.LBB314_2539:                           ;   in Loop: Header=BB314_2086 Depth=1
	s_or_b32 exec_lo, exec_lo, s25
	v_cmp_lt_u64_e64 s12, s[22:23], v[13:14]
	v_mov_b32_e32 v13, 0
	s_and_saveexec_b32 s25, s12
	s_cbranch_execz .LBB314_2547
; %bb.2540:                             ;   in Loop: Header=BB314_2086 Depth=1
	v_lshrrev_b32_e32 v2, 24, v14
	v_bfrev_b32_e32 v13, 1
	s_mov_b32 s26, exec_lo
	v_cmpx_ne_u32_e32 0x80, v2
	s_cbranch_execz .LBB314_2546
; %bb.2541:                             ;   in Loop: Header=BB314_2086 Depth=1
	v_and_b32_e32 v39, 0x7f, v2
	v_mov_b32_e32 v13, 0x7c010000
	s_mov_b32 s27, exec_lo
	v_cmpx_ne_u32_e32 0x7f, v39
	s_cbranch_execz .LBB314_2545
; %bb.2542:                             ;   in Loop: Header=BB314_2086 Depth=1
	v_and_b32_e32 v13, 7, v2
	v_lshrrev_b32_e32 v14, 3, v39
	s_mov_b32 s28, exec_lo
	v_cmpx_gt_u32_e32 8, v39
; %bb.2543:                             ;   in Loop: Header=BB314_2086 Depth=1
	v_ffbh_u32_e32 v13, v13
	v_min_u32_e32 v39, 32, v13
	v_subrev_nc_u32_e32 v13, 28, v39
	v_lshlrev_b64 v[13:14], v13, v[2:3]
	v_sub_nc_u32_e32 v14, 29, v39
	v_and_b32_e32 v13, 7, v13
; %bb.2544:                             ;   in Loop: Header=BB314_2086 Depth=1
	s_or_b32 exec_lo, exec_lo, s28
	v_lshlrev_b32_e32 v2, 8, v2
	v_lshl_add_u32 v14, v14, 10, 0x2000
	v_lshlrev_b32_e32 v13, 23, v13
	v_and_or_b32 v2, 0x8000, v2, v14
	v_lshl_or_b32 v13, v2, 16, v13
.LBB314_2545:                           ;   in Loop: Header=BB314_2086 Depth=1
	s_or_b32 exec_lo, exec_lo, s27
.LBB314_2546:                           ;   in Loop: Header=BB314_2086 Depth=1
	s_or_b32 exec_lo, exec_lo, s26
.LBB314_2547:                           ;   in Loop: Header=BB314_2086 Depth=1
	s_or_b32 exec_lo, exec_lo, s25
	v_or_b32_e32 v2, v17, v18
	s_waitcnt vmcnt(0) lgkmcnt(0)
	v_fma_mixlo_f16 v14, v5, v17, 0 op_sel:[0,1,0] op_sel_hi:[0,1,0]
	v_or_b32_e32 v16, v6, v16
	v_fma_mixlo_f16 v6, v5, v6, 0 op_sel:[0,1,0] op_sel_hi:[0,1,0]
	v_or_b32_e32 v17, v38, v37
	v_fma_mixlo_f16 v18, v5, v2, 0 op_sel_hi:[0,1,0]
	v_or_b32_e32 v22, v13, v22
	v_lshlrev_b32_e32 v2, 16, v14
	v_lshlrev_b32_e32 v14, 16, v6
	v_fma_mixlo_f16 v16, v5, v16, 0 op_sel_hi:[0,1,0]
	v_and_b32_e32 v6, 0xffff, v18
	v_fma_mixlo_f16 v18, v5, v38, 0 op_sel:[0,1,0] op_sel_hi:[0,1,0]
	v_fma_mixlo_f16 v17, v5, v17, 0 op_sel_hi:[0,1,0]
	v_fma_mixlo_f16 v13, v5, v13, 0 op_sel:[0,1,0] op_sel_hi:[0,1,0]
	v_fma_mixlo_f16 v5, v5, v22, 0 op_sel_hi:[0,1,0]
	v_and_b32_e32 v39, 0xffff, v16
	v_lshlrev_b32_e32 v22, 16, v18
	v_and_b32_e32 v38, 0xffff, v17
	v_lshlrev_b32_e32 v18, 16, v13
	v_and_b32_e32 v37, 0xffff, v5
	v_or_b32_e32 v5, v2, v6
	v_or_b32_e32 v17, v14, v39
	;; [unrolled: 1-line block ×4, first 2 shown]
	s_and_saveexec_b32 s12, s4
	s_cbranch_execz .LBB314_2549
; %bb.2548:                             ;   in Loop: Header=BB314_2086 Depth=1
	v_cndmask_b32_e32 v5, 0, v39, vcc_lo
	v_cndmask_b32_e64 v13, 0, v14, s7
	v_cndmask_b32_e64 v6, 0, v6, s5
	;; [unrolled: 1-line block ×7, first 2 shown]
	v_or_b32_e32 v17, v5, v13
	v_or_b32_e32 v5, v6, v2
	;; [unrolled: 1-line block ×4, first 2 shown]
.LBB314_2549:                           ;   in Loop: Header=BB314_2086 Depth=1
	s_or_b32 exec_lo, exec_lo, s12
	;;#ASMSTART
	v_pk_mul_f16 v2, v41, v17;

	;;#ASMEND
	;;#ASMSTART
	v_pk_mul_f16 v5, v40, v5;

	;;#ASMEND
	;; [unrolled: 4-line block ×4, first 2 shown]
	;;#ASMSTART
	v_pk_add_f16 v2, v2, v5;

	;;#ASMEND
	;;#ASMSTART
	v_pk_add_f16 v2, v2, v6;

	;;#ASMEND
	;; [unrolled: 4-line block ×3, first 2 shown]
	v_and_b32_e32 v5, 0xffff, v2
	v_lshrrev_b32_e32 v2, 16, v2
	;;#ASMSTART
	v_cvt_f32_f16 v60, v5;
	;;#ASMEND
	;;#ASMSTART
	v_cvt_f32_f16 v61, v2;
	;;#ASMEND
	flat_load_dwordx2 v[13:14], v[11:12] offset:1792
	flat_load_dword v5, v[26:27]
	v_mov_b32_e32 v6, 0
	v_mov_b32_e32 v16, 0
	s_waitcnt vmcnt(1) lgkmcnt(1)
	v_cmp_ne_u16_sdwa s12, v13, v3 src0_sel:BYTE_0 src1_sel:DWORD
	s_and_saveexec_b32 s25, s12
	s_cbranch_execz .LBB314_2557
; %bb.2550:                             ;   in Loop: Header=BB314_2086 Depth=1
	v_cmp_ne_u16_sdwa s12, v13, v55 src0_sel:BYTE_0 src1_sel:DWORD
	v_mov_b32_e32 v16, 0x8000
	s_and_saveexec_b32 s26, s12
	s_cbranch_execz .LBB314_2556
; %bb.2551:                             ;   in Loop: Header=BB314_2086 Depth=1
	v_and_b32_e32 v17, 0x7f, v13
	v_mov_b32_e32 v16, 0x7c01
	s_mov_b32 s27, exec_lo
	v_cmpx_ne_u32_e32 0x7f, v17
	s_cbranch_execz .LBB314_2555
; %bb.2552:                             ;   in Loop: Header=BB314_2086 Depth=1
	v_and_b32_e32 v2, 7, v13
	v_lshrrev_b32_e32 v16, 3, v17
	s_mov_b32 s28, exec_lo
	v_cmpx_gt_u32_e32 8, v17
; %bb.2553:                             ;   in Loop: Header=BB314_2086 Depth=1
	v_ffbh_u32_e32 v2, v2
	v_min_u32_e32 v2, 32, v2
	v_subrev_nc_u32_e32 v16, 28, v2
	v_lshlrev_b64 v[17:18], v16, v[13:14]
	v_sub_nc_u32_e32 v16, 29, v2
	v_and_b32_e32 v2, 7, v17
; %bb.2554:                             ;   in Loop: Header=BB314_2086 Depth=1
	s_or_b32 exec_lo, exec_lo, s28
	v_lshlrev_b32_e32 v17, 8, v13
	v_lshl_add_u32 v16, v16, 10, 0x2000
	v_lshlrev_b32_e32 v2, 7, v2
	v_and_b32_e32 v17, 0x8000, v17
	v_and_b32_e32 v16, 0xfc00, v16
	v_or3_b32 v16, v17, v16, v2
.LBB314_2555:                           ;   in Loop: Header=BB314_2086 Depth=1
	s_or_b32 exec_lo, exec_lo, s27
.LBB314_2556:                           ;   in Loop: Header=BB314_2086 Depth=1
	s_or_b32 exec_lo, exec_lo, s26
.LBB314_2557:                           ;   in Loop: Header=BB314_2086 Depth=1
	s_or_b32 exec_lo, exec_lo, s25
	v_lshrrev_b16 v2, 8, v13
	s_mov_b32 s25, exec_lo
	v_cmpx_ne_u16_e32 0, v2
	s_cbranch_execz .LBB314_2565
; %bb.2558:                             ;   in Loop: Header=BB314_2086 Depth=1
	v_bfrev_b32_e32 v6, 1
	s_mov_b32 s26, exec_lo
	v_cmpx_ne_u16_e32 0x80, v2
	s_cbranch_execz .LBB314_2564
; %bb.2559:                             ;   in Loop: Header=BB314_2086 Depth=1
	v_and_b32_sdwa v18, v2, v64 dst_sel:DWORD dst_unused:UNUSED_PAD src0_sel:WORD_0 src1_sel:DWORD
	v_mov_b32_e32 v6, 0x7c010000
	s_mov_b32 s27, exec_lo
	v_cmpx_ne_u32_e32 0x7f, v18
	s_cbranch_execz .LBB314_2563
; %bb.2560:                             ;   in Loop: Header=BB314_2086 Depth=1
	v_and_b32_sdwa v6, v2, v103 dst_sel:DWORD dst_unused:UNUSED_PAD src0_sel:WORD_0 src1_sel:DWORD
	v_lshrrev_b32_e32 v17, 3, v18
	s_mov_b32 s28, exec_lo
	v_cmpx_gt_u32_e32 8, v18
; %bb.2561:                             ;   in Loop: Header=BB314_2086 Depth=1
	v_ffbh_u32_e32 v6, v6
	v_min_u32_e32 v6, 32, v6
	v_subrev_nc_u32_e32 v17, 28, v6
	v_lshlrev_b64 v[37:38], v17, v[2:3]
	v_sub_nc_u32_e32 v17, 29, v6
	v_and_b32_e32 v6, 7, v37
; %bb.2562:                             ;   in Loop: Header=BB314_2086 Depth=1
	s_or_b32 exec_lo, exec_lo, s28
	v_lshlrev_b32_sdwa v2, v112, v2 dst_sel:DWORD dst_unused:UNUSED_PAD src0_sel:DWORD src1_sel:WORD_0
	v_lshl_add_u32 v17, v17, 10, 0x2000
	v_lshlrev_b32_e32 v6, 23, v6
	v_and_or_b32 v2, 0x8000, v2, v17
	v_lshl_or_b32 v6, v2, 16, v6
.LBB314_2563:                           ;   in Loop: Header=BB314_2086 Depth=1
	s_or_b32 exec_lo, exec_lo, s27
.LBB314_2564:                           ;   in Loop: Header=BB314_2086 Depth=1
	s_or_b32 exec_lo, exec_lo, s26
.LBB314_2565:                           ;   in Loop: Header=BB314_2086 Depth=1
	s_or_b32 exec_lo, exec_lo, s25
	v_lshrrev_b32_e32 v2, 16, v13
	v_mov_b32_e32 v17, 0
	v_mov_b32_e32 v18, 0
	v_cmp_ne_u16_sdwa s12, v2, v3 src0_sel:BYTE_0 src1_sel:DWORD
	s_and_saveexec_b32 s25, s12
	s_cbranch_execz .LBB314_2573
; %bb.2566:                             ;   in Loop: Header=BB314_2086 Depth=1
	v_cmp_ne_u16_sdwa s12, v2, v55 src0_sel:BYTE_0 src1_sel:DWORD
	v_mov_b32_e32 v18, 0x8000
	s_and_saveexec_b32 s26, s12
	s_cbranch_execz .LBB314_2572
; %bb.2567:                             ;   in Loop: Header=BB314_2086 Depth=1
	v_bfe_u32 v37, v13, 16, 7
	v_mov_b32_e32 v18, 0x7c01
	s_mov_b32 s27, exec_lo
	v_cmpx_ne_u32_e32 0x7f, v37
	s_cbranch_execz .LBB314_2571
; %bb.2568:                             ;   in Loop: Header=BB314_2086 Depth=1
	v_and_b32_e32 v18, 7, v2
	v_lshrrev_b32_e32 v22, 3, v37
	s_mov_b32 s28, exec_lo
	v_cmpx_gt_u32_e32 8, v37
; %bb.2569:                             ;   in Loop: Header=BB314_2086 Depth=1
	v_ffbh_u32_e32 v18, v18
	v_min_u32_e32 v18, 32, v18
	v_subrev_nc_u32_e32 v22, 28, v18
	v_lshlrev_b64 v[37:38], v22, v[2:3]
	v_sub_nc_u32_e32 v22, 29, v18
	v_and_b32_e32 v18, 7, v37
; %bb.2570:                             ;   in Loop: Header=BB314_2086 Depth=1
	s_or_b32 exec_lo, exec_lo, s28
	v_lshlrev_b32_e32 v2, 8, v2
	v_lshl_add_u32 v22, v22, 10, 0x2000
	v_lshlrev_b32_e32 v18, 7, v18
	v_and_b32_e32 v2, 0x8000, v2
	v_and_b32_e32 v22, 0xfc00, v22
	v_or3_b32 v18, v2, v22, v18
.LBB314_2571:                           ;   in Loop: Header=BB314_2086 Depth=1
	s_or_b32 exec_lo, exec_lo, s27
.LBB314_2572:                           ;   in Loop: Header=BB314_2086 Depth=1
	s_or_b32 exec_lo, exec_lo, s26
.LBB314_2573:                           ;   in Loop: Header=BB314_2086 Depth=1
	s_or_b32 exec_lo, exec_lo, s25
	s_mov_b32 s25, exec_lo
	v_cmpx_lt_u32_e32 0xffffff, v13
	s_cbranch_execz .LBB314_2581
; %bb.2574:                             ;   in Loop: Header=BB314_2086 Depth=1
	v_lshrrev_b32_e32 v2, 24, v13
	v_bfrev_b32_e32 v17, 1
	s_mov_b32 s26, exec_lo
	v_cmpx_ne_u32_e32 0x80, v2
	s_cbranch_execz .LBB314_2580
; %bb.2575:                             ;   in Loop: Header=BB314_2086 Depth=1
	v_and_b32_e32 v37, 0x7f, v2
	v_mov_b32_e32 v17, 0x7c010000
	s_mov_b32 s27, exec_lo
	v_cmpx_ne_u32_e32 0x7f, v37
	s_cbranch_execz .LBB314_2579
; %bb.2576:                             ;   in Loop: Header=BB314_2086 Depth=1
	v_and_b32_e32 v17, 7, v2
	v_lshrrev_b32_e32 v22, 3, v37
	s_mov_b32 s28, exec_lo
	v_cmpx_gt_u32_e32 8, v37
; %bb.2577:                             ;   in Loop: Header=BB314_2086 Depth=1
	v_ffbh_u32_e32 v17, v17
	v_min_u32_e32 v17, 32, v17
	v_subrev_nc_u32_e32 v22, 28, v17
	v_lshlrev_b64 v[37:38], v22, v[2:3]
	v_sub_nc_u32_e32 v22, 29, v17
	v_and_b32_e32 v17, 7, v37
; %bb.2578:                             ;   in Loop: Header=BB314_2086 Depth=1
	s_or_b32 exec_lo, exec_lo, s28
	v_lshlrev_b32_e32 v2, 8, v2
	v_lshl_add_u32 v22, v22, 10, 0x2000
	v_lshlrev_b32_e32 v17, 23, v17
	v_and_or_b32 v2, 0x8000, v2, v22
	v_lshl_or_b32 v17, v2, 16, v17
.LBB314_2579:                           ;   in Loop: Header=BB314_2086 Depth=1
	s_or_b32 exec_lo, exec_lo, s27
.LBB314_2580:                           ;   in Loop: Header=BB314_2086 Depth=1
	s_or_b32 exec_lo, exec_lo, s26
.LBB314_2581:                           ;   in Loop: Header=BB314_2086 Depth=1
	s_or_b32 exec_lo, exec_lo, s25
	v_mov_b32_e32 v2, v14
	v_cmp_ne_u16_sdwa s12, v14, v3 src0_sel:BYTE_0 src1_sel:DWORD
	v_mov_b32_e32 v22, 0
	v_mov_b32_e32 v37, 0
	s_and_saveexec_b32 s25, s12
	s_cbranch_execz .LBB314_2589
; %bb.2582:                             ;   in Loop: Header=BB314_2086 Depth=1
	v_cmp_ne_u16_sdwa s12, v14, v55 src0_sel:BYTE_0 src1_sel:DWORD
	v_mov_b32_e32 v37, 0x8000
	s_and_saveexec_b32 s26, s12
	s_cbranch_execz .LBB314_2588
; %bb.2583:                             ;   in Loop: Header=BB314_2086 Depth=1
	v_and_b32_e32 v39, 0x7f, v14
	v_mov_b32_e32 v37, 0x7c01
	s_mov_b32 s27, exec_lo
	v_cmpx_ne_u32_e32 0x7f, v39
	s_cbranch_execz .LBB314_2587
; %bb.2584:                             ;   in Loop: Header=BB314_2086 Depth=1
	v_and_b32_e32 v37, 7, v14
	v_lshrrev_b32_e32 v38, 3, v39
	s_mov_b32 s28, exec_lo
	v_cmpx_gt_u32_e32 8, v39
; %bb.2585:                             ;   in Loop: Header=BB314_2086 Depth=1
	v_ffbh_u32_e32 v37, v37
	v_min_u32_e32 v39, 32, v37
	v_subrev_nc_u32_e32 v37, 28, v39
	v_lshlrev_b64 v[37:38], v37, v[2:3]
	v_sub_nc_u32_e32 v38, 29, v39
	v_and_b32_e32 v37, 7, v37
; %bb.2586:                             ;   in Loop: Header=BB314_2086 Depth=1
	s_or_b32 exec_lo, exec_lo, s28
	v_lshlrev_b32_e32 v39, 8, v14
	v_lshl_add_u32 v38, v38, 10, 0x2000
	v_lshlrev_b32_e32 v37, 7, v37
	v_and_b32_e32 v39, 0x8000, v39
	v_and_b32_e32 v38, 0xfc00, v38
	v_or3_b32 v37, v39, v38, v37
.LBB314_2587:                           ;   in Loop: Header=BB314_2086 Depth=1
	s_or_b32 exec_lo, exec_lo, s27
.LBB314_2588:                           ;   in Loop: Header=BB314_2086 Depth=1
	s_or_b32 exec_lo, exec_lo, s26
.LBB314_2589:                           ;   in Loop: Header=BB314_2086 Depth=1
	s_or_b32 exec_lo, exec_lo, s25
	v_lshrrev_b16 v2, 8, v2
	v_mov_b32_e32 v38, 0
	s_mov_b32 s25, exec_lo
	v_cmpx_ne_u16_e32 0, v2
	s_cbranch_execz .LBB314_2597
; %bb.2590:                             ;   in Loop: Header=BB314_2086 Depth=1
	v_bfrev_b32_e32 v38, 1
	s_mov_b32 s26, exec_lo
	v_cmpx_ne_u16_e32 0x80, v2
	s_cbranch_execz .LBB314_2596
; %bb.2591:                             ;   in Loop: Header=BB314_2086 Depth=1
	v_and_b32_sdwa v48, v2, v64 dst_sel:DWORD dst_unused:UNUSED_PAD src0_sel:WORD_0 src1_sel:DWORD
	v_mov_b32_e32 v38, 0x7c010000
	s_mov_b32 s27, exec_lo
	v_cmpx_ne_u32_e32 0x7f, v48
	s_cbranch_execz .LBB314_2595
; %bb.2592:                             ;   in Loop: Header=BB314_2086 Depth=1
	v_and_b32_sdwa v38, v2, v103 dst_sel:DWORD dst_unused:UNUSED_PAD src0_sel:WORD_0 src1_sel:DWORD
	v_lshrrev_b32_e32 v39, 3, v48
	s_mov_b32 s28, exec_lo
	v_cmpx_gt_u32_e32 8, v48
; %bb.2593:                             ;   in Loop: Header=BB314_2086 Depth=1
	v_ffbh_u32_e32 v38, v38
	v_min_u32_e32 v48, 32, v38
	v_subrev_nc_u32_e32 v38, 28, v48
	v_lshlrev_b64 v[38:39], v38, v[2:3]
	v_sub_nc_u32_e32 v39, 29, v48
	v_and_b32_e32 v38, 7, v38
; %bb.2594:                             ;   in Loop: Header=BB314_2086 Depth=1
	s_or_b32 exec_lo, exec_lo, s28
	v_lshlrev_b32_sdwa v2, v112, v2 dst_sel:DWORD dst_unused:UNUSED_PAD src0_sel:DWORD src1_sel:WORD_0
	v_lshl_add_u32 v39, v39, 10, 0x2000
	v_lshlrev_b32_e32 v38, 23, v38
	v_and_or_b32 v2, 0x8000, v2, v39
	v_lshl_or_b32 v38, v2, 16, v38
.LBB314_2595:                           ;   in Loop: Header=BB314_2086 Depth=1
	s_or_b32 exec_lo, exec_lo, s27
.LBB314_2596:                           ;   in Loop: Header=BB314_2086 Depth=1
	s_or_b32 exec_lo, exec_lo, s26
.LBB314_2597:                           ;   in Loop: Header=BB314_2086 Depth=1
	s_or_b32 exec_lo, exec_lo, s25
	v_lshrrev_b32_e32 v2, 16, v14
	v_cmp_ne_u16_sdwa s12, v2, v3 src0_sel:BYTE_0 src1_sel:DWORD
	s_and_saveexec_b32 s25, s12
	s_cbranch_execz .LBB314_2605
; %bb.2598:                             ;   in Loop: Header=BB314_2086 Depth=1
	v_cmp_ne_u16_sdwa s12, v2, v55 src0_sel:BYTE_0 src1_sel:DWORD
	v_mov_b32_e32 v22, 0x8000
	s_and_saveexec_b32 s26, s12
	s_cbranch_execz .LBB314_2604
; %bb.2599:                             ;   in Loop: Header=BB314_2086 Depth=1
	v_bfe_u32 v48, v14, 16, 7
	v_mov_b32_e32 v22, 0x7c01
	s_mov_b32 s27, exec_lo
	v_cmpx_ne_u32_e32 0x7f, v48
	s_cbranch_execz .LBB314_2603
; %bb.2600:                             ;   in Loop: Header=BB314_2086 Depth=1
	v_and_b32_e32 v22, 7, v2
	v_lshrrev_b32_e32 v39, 3, v48
	s_mov_b32 s28, exec_lo
	v_cmpx_gt_u32_e32 8, v48
; %bb.2601:                             ;   in Loop: Header=BB314_2086 Depth=1
	v_ffbh_u32_e32 v22, v22
	v_min_u32_e32 v22, 32, v22
	v_subrev_nc_u32_e32 v39, 28, v22
	v_lshlrev_b64 v[48:49], v39, v[2:3]
	v_sub_nc_u32_e32 v39, 29, v22
	v_and_b32_e32 v22, 7, v48
; %bb.2602:                             ;   in Loop: Header=BB314_2086 Depth=1
	s_or_b32 exec_lo, exec_lo, s28
	v_lshlrev_b32_e32 v2, 8, v2
	v_lshl_add_u32 v39, v39, 10, 0x2000
	v_lshlrev_b32_e32 v22, 7, v22
	v_and_b32_e32 v2, 0x8000, v2
	v_and_b32_e32 v39, 0xfc00, v39
	v_or3_b32 v22, v2, v39, v22
.LBB314_2603:                           ;   in Loop: Header=BB314_2086 Depth=1
	s_or_b32 exec_lo, exec_lo, s27
.LBB314_2604:                           ;   in Loop: Header=BB314_2086 Depth=1
	s_or_b32 exec_lo, exec_lo, s26
.LBB314_2605:                           ;   in Loop: Header=BB314_2086 Depth=1
	s_or_b32 exec_lo, exec_lo, s25
	v_cmp_lt_u64_e64 s12, s[22:23], v[13:14]
	v_mov_b32_e32 v13, 0
	s_and_saveexec_b32 s25, s12
	s_cbranch_execz .LBB314_2613
; %bb.2606:                             ;   in Loop: Header=BB314_2086 Depth=1
	v_lshrrev_b32_e32 v2, 24, v14
	v_bfrev_b32_e32 v13, 1
	s_mov_b32 s26, exec_lo
	v_cmpx_ne_u32_e32 0x80, v2
	s_cbranch_execz .LBB314_2612
; %bb.2607:                             ;   in Loop: Header=BB314_2086 Depth=1
	v_and_b32_e32 v39, 0x7f, v2
	v_mov_b32_e32 v13, 0x7c010000
	s_mov_b32 s27, exec_lo
	v_cmpx_ne_u32_e32 0x7f, v39
	s_cbranch_execz .LBB314_2611
; %bb.2608:                             ;   in Loop: Header=BB314_2086 Depth=1
	v_and_b32_e32 v13, 7, v2
	v_lshrrev_b32_e32 v14, 3, v39
	s_mov_b32 s28, exec_lo
	v_cmpx_gt_u32_e32 8, v39
; %bb.2609:                             ;   in Loop: Header=BB314_2086 Depth=1
	v_ffbh_u32_e32 v13, v13
	v_min_u32_e32 v39, 32, v13
	v_subrev_nc_u32_e32 v13, 28, v39
	v_lshlrev_b64 v[13:14], v13, v[2:3]
	v_sub_nc_u32_e32 v14, 29, v39
	v_and_b32_e32 v13, 7, v13
; %bb.2610:                             ;   in Loop: Header=BB314_2086 Depth=1
	s_or_b32 exec_lo, exec_lo, s28
	v_lshlrev_b32_e32 v2, 8, v2
	v_lshl_add_u32 v14, v14, 10, 0x2000
	v_lshlrev_b32_e32 v13, 23, v13
	v_and_or_b32 v2, 0x8000, v2, v14
	v_lshl_or_b32 v13, v2, 16, v13
.LBB314_2611:                           ;   in Loop: Header=BB314_2086 Depth=1
	s_or_b32 exec_lo, exec_lo, s27
.LBB314_2612:                           ;   in Loop: Header=BB314_2086 Depth=1
	s_or_b32 exec_lo, exec_lo, s26
.LBB314_2613:                           ;   in Loop: Header=BB314_2086 Depth=1
	s_or_b32 exec_lo, exec_lo, s25
	v_or_b32_e32 v2, v17, v18
	s_waitcnt vmcnt(0) lgkmcnt(0)
	v_fma_mixlo_f16 v14, v5, v17, 0 op_sel:[0,1,0] op_sel_hi:[0,1,0]
	v_or_b32_e32 v16, v6, v16
	v_fma_mixlo_f16 v6, v5, v6, 0 op_sel:[0,1,0] op_sel_hi:[0,1,0]
	v_or_b32_e32 v17, v38, v37
	v_fma_mixlo_f16 v18, v5, v2, 0 op_sel_hi:[0,1,0]
	v_or_b32_e32 v22, v13, v22
	v_lshlrev_b32_e32 v2, 16, v14
	v_lshlrev_b32_e32 v14, 16, v6
	v_fma_mixlo_f16 v16, v5, v16, 0 op_sel_hi:[0,1,0]
	v_and_b32_e32 v6, 0xffff, v18
	v_fma_mixlo_f16 v18, v5, v38, 0 op_sel:[0,1,0] op_sel_hi:[0,1,0]
	v_fma_mixlo_f16 v17, v5, v17, 0 op_sel_hi:[0,1,0]
	v_fma_mixlo_f16 v13, v5, v13, 0 op_sel:[0,1,0] op_sel_hi:[0,1,0]
	v_fma_mixlo_f16 v5, v5, v22, 0 op_sel_hi:[0,1,0]
	v_and_b32_e32 v39, 0xffff, v16
	v_lshlrev_b32_e32 v22, 16, v18
	v_and_b32_e32 v38, 0xffff, v17
	v_lshlrev_b32_e32 v18, 16, v13
	v_and_b32_e32 v37, 0xffff, v5
	v_or_b32_e32 v5, v2, v6
	v_or_b32_e32 v17, v14, v39
	;; [unrolled: 1-line block ×4, first 2 shown]
	s_and_saveexec_b32 s12, s4
	s_cbranch_execz .LBB314_2615
; %bb.2614:                             ;   in Loop: Header=BB314_2086 Depth=1
	v_cndmask_b32_e32 v5, 0, v39, vcc_lo
	v_cndmask_b32_e64 v13, 0, v14, s7
	v_cndmask_b32_e64 v6, 0, v6, s5
	;; [unrolled: 1-line block ×7, first 2 shown]
	v_or_b32_e32 v17, v5, v13
	v_or_b32_e32 v5, v6, v2
	;; [unrolled: 1-line block ×4, first 2 shown]
.LBB314_2615:                           ;   in Loop: Header=BB314_2086 Depth=1
	s_or_b32 exec_lo, exec_lo, s12
	;;#ASMSTART
	v_pk_mul_f16 v2, v41, v17;

	;;#ASMEND
	;;#ASMSTART
	v_pk_mul_f16 v5, v40, v5;

	;;#ASMEND
	;; [unrolled: 4-line block ×4, first 2 shown]
	;;#ASMSTART
	v_pk_add_f16 v2, v2, v5;

	;;#ASMEND
	;;#ASMSTART
	v_pk_add_f16 v2, v2, v6;

	;;#ASMEND
	;; [unrolled: 4-line block ×3, first 2 shown]
	v_add_co_u32 v13, s12, 0x800, v11
	v_add_co_ci_u32_e64 v14, null, 0, v12, s12
	v_lshrrev_b32_e32 v5, 16, v2
	v_and_b32_e32 v2, 0xffff, v2
	;;#ASMSTART
	v_cvt_f32_f16 v62, v2;
	;;#ASMEND
	;;#ASMSTART
	v_cvt_f32_f16 v63, v5;
	;;#ASMEND
	flat_load_dwordx2 v[17:18], v[13:14]
	flat_load_dword v5, v[26:27]
	v_mov_b32_e32 v6, 0
	v_mov_b32_e32 v16, 0
	s_waitcnt vmcnt(1) lgkmcnt(1)
	v_cmp_ne_u16_sdwa s12, v17, v3 src0_sel:BYTE_0 src1_sel:DWORD
	s_and_saveexec_b32 s25, s12
	s_cbranch_execz .LBB314_2623
; %bb.2616:                             ;   in Loop: Header=BB314_2086 Depth=1
	v_cmp_ne_u16_sdwa s12, v17, v55 src0_sel:BYTE_0 src1_sel:DWORD
	v_mov_b32_e32 v16, 0x8000
	s_and_saveexec_b32 s26, s12
	s_cbranch_execz .LBB314_2622
; %bb.2617:                             ;   in Loop: Header=BB314_2086 Depth=1
	v_and_b32_e32 v22, 0x7f, v17
	v_mov_b32_e32 v16, 0x7c01
	s_mov_b32 s27, exec_lo
	v_cmpx_ne_u32_e32 0x7f, v22
	s_cbranch_execz .LBB314_2621
; %bb.2618:                             ;   in Loop: Header=BB314_2086 Depth=1
	v_and_b32_e32 v2, 7, v17
	v_lshrrev_b32_e32 v16, 3, v22
	s_mov_b32 s28, exec_lo
	v_cmpx_gt_u32_e32 8, v22
; %bb.2619:                             ;   in Loop: Header=BB314_2086 Depth=1
	v_ffbh_u32_e32 v2, v2
	v_min_u32_e32 v2, 32, v2
	v_subrev_nc_u32_e32 v16, 28, v2
	v_lshlrev_b64 v[37:38], v16, v[17:18]
	v_sub_nc_u32_e32 v16, 29, v2
	v_and_b32_e32 v2, 7, v37
; %bb.2620:                             ;   in Loop: Header=BB314_2086 Depth=1
	s_or_b32 exec_lo, exec_lo, s28
	v_lshlrev_b32_e32 v22, 8, v17
	v_lshl_add_u32 v16, v16, 10, 0x2000
	v_lshlrev_b32_e32 v2, 7, v2
	v_and_b32_e32 v22, 0x8000, v22
	v_and_b32_e32 v16, 0xfc00, v16
	v_or3_b32 v16, v22, v16, v2
.LBB314_2621:                           ;   in Loop: Header=BB314_2086 Depth=1
	s_or_b32 exec_lo, exec_lo, s27
.LBB314_2622:                           ;   in Loop: Header=BB314_2086 Depth=1
	s_or_b32 exec_lo, exec_lo, s26
.LBB314_2623:                           ;   in Loop: Header=BB314_2086 Depth=1
	s_or_b32 exec_lo, exec_lo, s25
	v_lshrrev_b16 v2, 8, v17
	s_mov_b32 s25, exec_lo
	v_cmpx_ne_u16_e32 0, v2
	s_cbranch_execz .LBB314_2631
; %bb.2624:                             ;   in Loop: Header=BB314_2086 Depth=1
	v_bfrev_b32_e32 v6, 1
	s_mov_b32 s26, exec_lo
	v_cmpx_ne_u16_e32 0x80, v2
	s_cbranch_execz .LBB314_2630
; %bb.2625:                             ;   in Loop: Header=BB314_2086 Depth=1
	v_and_b32_sdwa v37, v2, v64 dst_sel:DWORD dst_unused:UNUSED_PAD src0_sel:WORD_0 src1_sel:DWORD
	v_mov_b32_e32 v6, 0x7c010000
	s_mov_b32 s27, exec_lo
	v_cmpx_ne_u32_e32 0x7f, v37
	s_cbranch_execz .LBB314_2629
; %bb.2626:                             ;   in Loop: Header=BB314_2086 Depth=1
	v_and_b32_sdwa v6, v2, v103 dst_sel:DWORD dst_unused:UNUSED_PAD src0_sel:WORD_0 src1_sel:DWORD
	v_lshrrev_b32_e32 v22, 3, v37
	s_mov_b32 s28, exec_lo
	v_cmpx_gt_u32_e32 8, v37
; %bb.2627:                             ;   in Loop: Header=BB314_2086 Depth=1
	v_ffbh_u32_e32 v6, v6
	v_min_u32_e32 v6, 32, v6
	v_subrev_nc_u32_e32 v22, 28, v6
	v_lshlrev_b64 v[37:38], v22, v[2:3]
	v_sub_nc_u32_e32 v22, 29, v6
	v_and_b32_e32 v6, 7, v37
; %bb.2628:                             ;   in Loop: Header=BB314_2086 Depth=1
	s_or_b32 exec_lo, exec_lo, s28
	v_lshlrev_b32_sdwa v2, v112, v2 dst_sel:DWORD dst_unused:UNUSED_PAD src0_sel:DWORD src1_sel:WORD_0
	v_lshl_add_u32 v22, v22, 10, 0x2000
	v_lshlrev_b32_e32 v6, 23, v6
	v_and_or_b32 v2, 0x8000, v2, v22
	v_lshl_or_b32 v6, v2, 16, v6
.LBB314_2629:                           ;   in Loop: Header=BB314_2086 Depth=1
	s_or_b32 exec_lo, exec_lo, s27
.LBB314_2630:                           ;   in Loop: Header=BB314_2086 Depth=1
	s_or_b32 exec_lo, exec_lo, s26
.LBB314_2631:                           ;   in Loop: Header=BB314_2086 Depth=1
	s_or_b32 exec_lo, exec_lo, s25
	v_lshrrev_b32_e32 v2, 16, v17
	v_mov_b32_e32 v22, 0
	v_mov_b32_e32 v37, 0
	v_cmp_ne_u16_sdwa s12, v2, v3 src0_sel:BYTE_0 src1_sel:DWORD
	s_and_saveexec_b32 s25, s12
	s_cbranch_execz .LBB314_2639
; %bb.2632:                             ;   in Loop: Header=BB314_2086 Depth=1
	v_cmp_ne_u16_sdwa s12, v2, v55 src0_sel:BYTE_0 src1_sel:DWORD
	v_mov_b32_e32 v37, 0x8000
	s_and_saveexec_b32 s26, s12
	s_cbranch_execz .LBB314_2638
; %bb.2633:                             ;   in Loop: Header=BB314_2086 Depth=1
	v_bfe_u32 v39, v17, 16, 7
	v_mov_b32_e32 v37, 0x7c01
	s_mov_b32 s27, exec_lo
	v_cmpx_ne_u32_e32 0x7f, v39
	s_cbranch_execz .LBB314_2637
; %bb.2634:                             ;   in Loop: Header=BB314_2086 Depth=1
	v_and_b32_e32 v37, 7, v2
	v_lshrrev_b32_e32 v38, 3, v39
	s_mov_b32 s28, exec_lo
	v_cmpx_gt_u32_e32 8, v39
; %bb.2635:                             ;   in Loop: Header=BB314_2086 Depth=1
	v_ffbh_u32_e32 v37, v37
	v_min_u32_e32 v39, 32, v37
	v_subrev_nc_u32_e32 v37, 28, v39
	v_lshlrev_b64 v[37:38], v37, v[2:3]
	v_sub_nc_u32_e32 v38, 29, v39
	v_and_b32_e32 v37, 7, v37
; %bb.2636:                             ;   in Loop: Header=BB314_2086 Depth=1
	s_or_b32 exec_lo, exec_lo, s28
	v_lshlrev_b32_e32 v2, 8, v2
	v_lshl_add_u32 v38, v38, 10, 0x2000
	v_lshlrev_b32_e32 v37, 7, v37
	v_and_b32_e32 v2, 0x8000, v2
	v_and_b32_e32 v38, 0xfc00, v38
	v_or3_b32 v37, v2, v38, v37
.LBB314_2637:                           ;   in Loop: Header=BB314_2086 Depth=1
	s_or_b32 exec_lo, exec_lo, s27
.LBB314_2638:                           ;   in Loop: Header=BB314_2086 Depth=1
	s_or_b32 exec_lo, exec_lo, s26
.LBB314_2639:                           ;   in Loop: Header=BB314_2086 Depth=1
	s_or_b32 exec_lo, exec_lo, s25
	s_mov_b32 s25, exec_lo
	v_cmpx_lt_u32_e32 0xffffff, v17
	s_cbranch_execz .LBB314_2647
; %bb.2640:                             ;   in Loop: Header=BB314_2086 Depth=1
	v_lshrrev_b32_e32 v2, 24, v17
	v_bfrev_b32_e32 v22, 1
	s_mov_b32 s26, exec_lo
	v_cmpx_ne_u32_e32 0x80, v2
	s_cbranch_execz .LBB314_2646
; %bb.2641:                             ;   in Loop: Header=BB314_2086 Depth=1
	v_and_b32_e32 v39, 0x7f, v2
	v_mov_b32_e32 v22, 0x7c010000
	s_mov_b32 s27, exec_lo
	v_cmpx_ne_u32_e32 0x7f, v39
	s_cbranch_execz .LBB314_2645
; %bb.2642:                             ;   in Loop: Header=BB314_2086 Depth=1
	v_and_b32_e32 v22, 7, v2
	v_lshrrev_b32_e32 v38, 3, v39
	s_mov_b32 s28, exec_lo
	v_cmpx_gt_u32_e32 8, v39
; %bb.2643:                             ;   in Loop: Header=BB314_2086 Depth=1
	v_ffbh_u32_e32 v22, v22
	v_min_u32_e32 v22, 32, v22
	v_subrev_nc_u32_e32 v38, 28, v22
	v_lshlrev_b64 v[48:49], v38, v[2:3]
	v_sub_nc_u32_e32 v38, 29, v22
	v_and_b32_e32 v22, 7, v48
; %bb.2644:                             ;   in Loop: Header=BB314_2086 Depth=1
	s_or_b32 exec_lo, exec_lo, s28
	v_lshlrev_b32_e32 v2, 8, v2
	v_lshl_add_u32 v38, v38, 10, 0x2000
	v_lshlrev_b32_e32 v22, 23, v22
	v_and_or_b32 v2, 0x8000, v2, v38
	v_lshl_or_b32 v22, v2, 16, v22
.LBB314_2645:                           ;   in Loop: Header=BB314_2086 Depth=1
	s_or_b32 exec_lo, exec_lo, s27
.LBB314_2646:                           ;   in Loop: Header=BB314_2086 Depth=1
	s_or_b32 exec_lo, exec_lo, s26
.LBB314_2647:                           ;   in Loop: Header=BB314_2086 Depth=1
	s_or_b32 exec_lo, exec_lo, s25
	v_mov_b32_e32 v2, v18
	v_cmp_ne_u16_sdwa s12, v18, v3 src0_sel:BYTE_0 src1_sel:DWORD
	v_mov_b32_e32 v38, 0
	v_mov_b32_e32 v39, 0
	s_and_saveexec_b32 s25, s12
	s_cbranch_execz .LBB314_2655
; %bb.2648:                             ;   in Loop: Header=BB314_2086 Depth=1
	v_cmp_ne_u16_sdwa s12, v18, v55 src0_sel:BYTE_0 src1_sel:DWORD
	v_mov_b32_e32 v39, 0x8000
	s_and_saveexec_b32 s26, s12
	s_cbranch_execz .LBB314_2654
; %bb.2649:                             ;   in Loop: Header=BB314_2086 Depth=1
	v_and_b32_e32 v49, 0x7f, v18
	v_mov_b32_e32 v39, 0x7c01
	s_mov_b32 s27, exec_lo
	v_cmpx_ne_u32_e32 0x7f, v49
	s_cbranch_execz .LBB314_2653
; %bb.2650:                             ;   in Loop: Header=BB314_2086 Depth=1
	v_and_b32_e32 v39, 7, v18
	v_lshrrev_b32_e32 v48, 3, v49
	s_mov_b32 s28, exec_lo
	v_cmpx_gt_u32_e32 8, v49
; %bb.2651:                             ;   in Loop: Header=BB314_2086 Depth=1
	v_ffbh_u32_e32 v39, v39
	v_min_u32_e32 v39, 32, v39
	v_subrev_nc_u32_e32 v48, 28, v39
	v_lshlrev_b64 v[51:52], v48, v[2:3]
	v_sub_nc_u32_e32 v48, 29, v39
	v_and_b32_e32 v39, 7, v51
; %bb.2652:                             ;   in Loop: Header=BB314_2086 Depth=1
	s_or_b32 exec_lo, exec_lo, s28
	v_lshlrev_b32_e32 v49, 8, v18
	v_lshl_add_u32 v48, v48, 10, 0x2000
	v_lshlrev_b32_e32 v39, 7, v39
	v_and_b32_e32 v49, 0x8000, v49
	v_and_b32_e32 v48, 0xfc00, v48
	v_or3_b32 v39, v49, v48, v39
.LBB314_2653:                           ;   in Loop: Header=BB314_2086 Depth=1
	s_or_b32 exec_lo, exec_lo, s27
.LBB314_2654:                           ;   in Loop: Header=BB314_2086 Depth=1
	s_or_b32 exec_lo, exec_lo, s26
.LBB314_2655:                           ;   in Loop: Header=BB314_2086 Depth=1
	s_or_b32 exec_lo, exec_lo, s25
	v_lshrrev_b16 v2, 8, v2
	v_mov_b32_e32 v48, 0
	s_mov_b32 s25, exec_lo
	v_cmpx_ne_u16_e32 0, v2
	s_cbranch_execz .LBB314_2663
; %bb.2656:                             ;   in Loop: Header=BB314_2086 Depth=1
	v_bfrev_b32_e32 v48, 1
	s_mov_b32 s26, exec_lo
	v_cmpx_ne_u16_e32 0x80, v2
	s_cbranch_execz .LBB314_2662
; %bb.2657:                             ;   in Loop: Header=BB314_2086 Depth=1
	v_and_b32_sdwa v51, v2, v64 dst_sel:DWORD dst_unused:UNUSED_PAD src0_sel:WORD_0 src1_sel:DWORD
	v_mov_b32_e32 v48, 0x7c010000
	s_mov_b32 s27, exec_lo
	v_cmpx_ne_u32_e32 0x7f, v51
	s_cbranch_execz .LBB314_2661
; %bb.2658:                             ;   in Loop: Header=BB314_2086 Depth=1
	v_and_b32_sdwa v48, v2, v103 dst_sel:DWORD dst_unused:UNUSED_PAD src0_sel:WORD_0 src1_sel:DWORD
	v_lshrrev_b32_e32 v49, 3, v51
	s_mov_b32 s28, exec_lo
	v_cmpx_gt_u32_e32 8, v51
; %bb.2659:                             ;   in Loop: Header=BB314_2086 Depth=1
	v_ffbh_u32_e32 v48, v48
	v_min_u32_e32 v51, 32, v48
	v_subrev_nc_u32_e32 v48, 28, v51
	v_lshlrev_b64 v[48:49], v48, v[2:3]
	v_sub_nc_u32_e32 v49, 29, v51
	v_and_b32_e32 v48, 7, v48
; %bb.2660:                             ;   in Loop: Header=BB314_2086 Depth=1
	s_or_b32 exec_lo, exec_lo, s28
	v_lshlrev_b32_sdwa v2, v112, v2 dst_sel:DWORD dst_unused:UNUSED_PAD src0_sel:DWORD src1_sel:WORD_0
	v_lshl_add_u32 v49, v49, 10, 0x2000
	v_lshlrev_b32_e32 v48, 23, v48
	v_and_or_b32 v2, 0x8000, v2, v49
	v_lshl_or_b32 v48, v2, 16, v48
.LBB314_2661:                           ;   in Loop: Header=BB314_2086 Depth=1
	s_or_b32 exec_lo, exec_lo, s27
.LBB314_2662:                           ;   in Loop: Header=BB314_2086 Depth=1
	s_or_b32 exec_lo, exec_lo, s26
.LBB314_2663:                           ;   in Loop: Header=BB314_2086 Depth=1
	s_or_b32 exec_lo, exec_lo, s25
	v_lshrrev_b32_e32 v2, 16, v18
	v_cmp_ne_u16_sdwa s12, v2, v3 src0_sel:BYTE_0 src1_sel:DWORD
	s_and_saveexec_b32 s25, s12
	s_cbranch_execz .LBB314_2671
; %bb.2664:                             ;   in Loop: Header=BB314_2086 Depth=1
	v_cmp_ne_u16_sdwa s12, v2, v55 src0_sel:BYTE_0 src1_sel:DWORD
	v_mov_b32_e32 v38, 0x8000
	s_and_saveexec_b32 s26, s12
	s_cbranch_execz .LBB314_2670
; %bb.2665:                             ;   in Loop: Header=BB314_2086 Depth=1
	v_bfe_u32 v51, v18, 16, 7
	v_mov_b32_e32 v38, 0x7c01
	s_mov_b32 s27, exec_lo
	v_cmpx_ne_u32_e32 0x7f, v51
	s_cbranch_execz .LBB314_2669
; %bb.2666:                             ;   in Loop: Header=BB314_2086 Depth=1
	v_and_b32_e32 v38, 7, v2
	v_lshrrev_b32_e32 v49, 3, v51
	s_mov_b32 s28, exec_lo
	v_cmpx_gt_u32_e32 8, v51
; %bb.2667:                             ;   in Loop: Header=BB314_2086 Depth=1
	v_ffbh_u32_e32 v38, v38
	v_min_u32_e32 v38, 32, v38
	v_subrev_nc_u32_e32 v49, 28, v38
	v_lshlrev_b64 v[51:52], v49, v[2:3]
	v_sub_nc_u32_e32 v49, 29, v38
	v_and_b32_e32 v38, 7, v51
; %bb.2668:                             ;   in Loop: Header=BB314_2086 Depth=1
	s_or_b32 exec_lo, exec_lo, s28
	v_lshlrev_b32_e32 v2, 8, v2
	v_lshl_add_u32 v49, v49, 10, 0x2000
	v_lshlrev_b32_e32 v38, 7, v38
	v_and_b32_e32 v2, 0x8000, v2
	v_and_b32_e32 v49, 0xfc00, v49
	v_or3_b32 v38, v2, v49, v38
.LBB314_2669:                           ;   in Loop: Header=BB314_2086 Depth=1
	s_or_b32 exec_lo, exec_lo, s27
.LBB314_2670:                           ;   in Loop: Header=BB314_2086 Depth=1
	s_or_b32 exec_lo, exec_lo, s26
.LBB314_2671:                           ;   in Loop: Header=BB314_2086 Depth=1
	s_or_b32 exec_lo, exec_lo, s25
	v_cmp_lt_u64_e64 s12, s[22:23], v[17:18]
	v_mov_b32_e32 v17, 0
	s_and_saveexec_b32 s25, s12
	s_cbranch_execz .LBB314_2679
; %bb.2672:                             ;   in Loop: Header=BB314_2086 Depth=1
	v_lshrrev_b32_e32 v2, 24, v18
	v_bfrev_b32_e32 v17, 1
	s_mov_b32 s26, exec_lo
	v_cmpx_ne_u32_e32 0x80, v2
	s_cbranch_execz .LBB314_2678
; %bb.2673:                             ;   in Loop: Header=BB314_2086 Depth=1
	v_and_b32_e32 v49, 0x7f, v2
	v_mov_b32_e32 v17, 0x7c010000
	s_mov_b32 s27, exec_lo
	v_cmpx_ne_u32_e32 0x7f, v49
	s_cbranch_execz .LBB314_2677
; %bb.2674:                             ;   in Loop: Header=BB314_2086 Depth=1
	v_and_b32_e32 v17, 7, v2
	v_lshrrev_b32_e32 v18, 3, v49
	s_mov_b32 s28, exec_lo
	v_cmpx_gt_u32_e32 8, v49
; %bb.2675:                             ;   in Loop: Header=BB314_2086 Depth=1
	v_ffbh_u32_e32 v17, v17
	v_min_u32_e32 v49, 32, v17
	v_subrev_nc_u32_e32 v17, 28, v49
	v_lshlrev_b64 v[17:18], v17, v[2:3]
	v_sub_nc_u32_e32 v18, 29, v49
	v_and_b32_e32 v17, 7, v17
; %bb.2676:                             ;   in Loop: Header=BB314_2086 Depth=1
	s_or_b32 exec_lo, exec_lo, s28
	v_lshlrev_b32_e32 v2, 8, v2
	v_lshl_add_u32 v18, v18, 10, 0x2000
	v_lshlrev_b32_e32 v17, 23, v17
	v_and_or_b32 v2, 0x8000, v2, v18
	v_lshl_or_b32 v17, v2, 16, v17
.LBB314_2677:                           ;   in Loop: Header=BB314_2086 Depth=1
	s_or_b32 exec_lo, exec_lo, s27
.LBB314_2678:                           ;   in Loop: Header=BB314_2086 Depth=1
	s_or_b32 exec_lo, exec_lo, s26
.LBB314_2679:                           ;   in Loop: Header=BB314_2086 Depth=1
	s_or_b32 exec_lo, exec_lo, s25
	v_or_b32_e32 v2, v22, v37
	s_waitcnt vmcnt(0) lgkmcnt(0)
	v_fma_mixlo_f16 v18, v5, v22, 0 op_sel:[0,1,0] op_sel_hi:[0,1,0]
	v_or_b32_e32 v22, v6, v16
	v_or_b32_e32 v37, v48, v39
	;; [unrolled: 1-line block ×3, first 2 shown]
	v_fma_mixlo_f16 v6, v5, v6, 0 op_sel:[0,1,0] op_sel_hi:[0,1,0]
	v_fma_mixlo_f16 v39, v5, v2, 0 op_sel_hi:[0,1,0]
	v_lshlrev_b32_e32 v2, 16, v18
	v_fma_mixlo_f16 v18, v5, v22, 0 op_sel_hi:[0,1,0]
	v_fma_mixlo_f16 v22, v5, v48, 0 op_sel:[0,1,0] op_sel_hi:[0,1,0]
	v_fma_mixlo_f16 v37, v5, v37, 0 op_sel_hi:[0,1,0]
	v_fma_mixlo_f16 v17, v5, v17, 0 op_sel:[0,1,0] op_sel_hi:[0,1,0]
	v_fma_mixlo_f16 v5, v5, v38, 0 op_sel_hi:[0,1,0]
	v_lshlrev_b32_e32 v16, 16, v6
	v_and_b32_e32 v6, 0xffff, v39
	v_and_b32_e32 v49, 0xffff, v18
	v_lshlrev_b32_e32 v38, 16, v22
	v_and_b32_e32 v48, 0xffff, v37
	v_lshlrev_b32_e32 v37, 16, v17
	v_and_b32_e32 v39, 0xffff, v5
	v_or_b32_e32 v5, v2, v6
	v_or_b32_e32 v22, v16, v49
	;; [unrolled: 1-line block ×4, first 2 shown]
	s_and_saveexec_b32 s12, s4
	s_cbranch_execz .LBB314_2681
; %bb.2680:                             ;   in Loop: Header=BB314_2086 Depth=1
	v_cndmask_b32_e32 v5, 0, v49, vcc_lo
	v_cndmask_b32_e64 v16, 0, v16, s7
	v_cndmask_b32_e64 v6, 0, v6, s5
	;; [unrolled: 1-line block ×7, first 2 shown]
	v_or_b32_e32 v22, v5, v16
	v_or_b32_e32 v5, v6, v2
	v_or_b32_e32 v18, v17, v18
	v_or_b32_e32 v17, v38, v37
.LBB314_2681:                           ;   in Loop: Header=BB314_2086 Depth=1
	s_or_b32 exec_lo, exec_lo, s12
	;;#ASMSTART
	v_pk_mul_f16 v2, v41, v22;

	;;#ASMEND
	;;#ASMSTART
	v_pk_mul_f16 v5, v40, v5;

	;;#ASMEND
	;; [unrolled: 4-line block ×4, first 2 shown]
	;;#ASMSTART
	v_pk_add_f16 v2, v2, v5;

	;;#ASMEND
	;;#ASMSTART
	v_pk_add_f16 v2, v2, v6;

	;;#ASMEND
	;; [unrolled: 4-line block ×3, first 2 shown]
	v_and_b32_e32 v5, 0xffff, v2
	v_lshrrev_b32_e32 v2, 16, v2
	;;#ASMSTART
	v_cvt_f32_f16 v49, v5;
	;;#ASMEND
	;;#ASMSTART
	v_cvt_f32_f16 v73, v2;
	;;#ASMEND
	flat_load_dwordx2 v[17:18], v[13:14] offset:256
	flat_load_dword v5, v[26:27]
	v_mov_b32_e32 v6, 0
	v_mov_b32_e32 v16, 0
	s_waitcnt vmcnt(1) lgkmcnt(1)
	v_cmp_ne_u16_sdwa s12, v17, v3 src0_sel:BYTE_0 src1_sel:DWORD
	s_and_saveexec_b32 s25, s12
	s_cbranch_execz .LBB314_2689
; %bb.2682:                             ;   in Loop: Header=BB314_2086 Depth=1
	v_cmp_ne_u16_sdwa s12, v17, v55 src0_sel:BYTE_0 src1_sel:DWORD
	v_mov_b32_e32 v16, 0x8000
	s_and_saveexec_b32 s26, s12
	s_cbranch_execz .LBB314_2688
; %bb.2683:                             ;   in Loop: Header=BB314_2086 Depth=1
	v_and_b32_e32 v22, 0x7f, v17
	v_mov_b32_e32 v16, 0x7c01
	s_mov_b32 s27, exec_lo
	v_cmpx_ne_u32_e32 0x7f, v22
	s_cbranch_execz .LBB314_2687
; %bb.2684:                             ;   in Loop: Header=BB314_2086 Depth=1
	v_and_b32_e32 v2, 7, v17
	v_lshrrev_b32_e32 v16, 3, v22
	s_mov_b32 s28, exec_lo
	v_cmpx_gt_u32_e32 8, v22
; %bb.2685:                             ;   in Loop: Header=BB314_2086 Depth=1
	v_ffbh_u32_e32 v2, v2
	v_min_u32_e32 v2, 32, v2
	v_subrev_nc_u32_e32 v16, 28, v2
	v_lshlrev_b64 v[37:38], v16, v[17:18]
	v_sub_nc_u32_e32 v16, 29, v2
	v_and_b32_e32 v2, 7, v37
; %bb.2686:                             ;   in Loop: Header=BB314_2086 Depth=1
	s_or_b32 exec_lo, exec_lo, s28
	v_lshlrev_b32_e32 v22, 8, v17
	v_lshl_add_u32 v16, v16, 10, 0x2000
	v_lshlrev_b32_e32 v2, 7, v2
	v_and_b32_e32 v22, 0x8000, v22
	v_and_b32_e32 v16, 0xfc00, v16
	v_or3_b32 v16, v22, v16, v2
.LBB314_2687:                           ;   in Loop: Header=BB314_2086 Depth=1
	s_or_b32 exec_lo, exec_lo, s27
.LBB314_2688:                           ;   in Loop: Header=BB314_2086 Depth=1
	s_or_b32 exec_lo, exec_lo, s26
.LBB314_2689:                           ;   in Loop: Header=BB314_2086 Depth=1
	s_or_b32 exec_lo, exec_lo, s25
	v_lshrrev_b16 v2, 8, v17
	s_mov_b32 s25, exec_lo
	v_cmpx_ne_u16_e32 0, v2
	s_cbranch_execz .LBB314_2697
; %bb.2690:                             ;   in Loop: Header=BB314_2086 Depth=1
	v_bfrev_b32_e32 v6, 1
	s_mov_b32 s26, exec_lo
	v_cmpx_ne_u16_e32 0x80, v2
	s_cbranch_execz .LBB314_2696
; %bb.2691:                             ;   in Loop: Header=BB314_2086 Depth=1
	v_and_b32_sdwa v37, v2, v64 dst_sel:DWORD dst_unused:UNUSED_PAD src0_sel:WORD_0 src1_sel:DWORD
	v_mov_b32_e32 v6, 0x7c010000
	s_mov_b32 s27, exec_lo
	v_cmpx_ne_u32_e32 0x7f, v37
	s_cbranch_execz .LBB314_2695
; %bb.2692:                             ;   in Loop: Header=BB314_2086 Depth=1
	v_and_b32_sdwa v6, v2, v103 dst_sel:DWORD dst_unused:UNUSED_PAD src0_sel:WORD_0 src1_sel:DWORD
	v_lshrrev_b32_e32 v22, 3, v37
	s_mov_b32 s28, exec_lo
	v_cmpx_gt_u32_e32 8, v37
; %bb.2693:                             ;   in Loop: Header=BB314_2086 Depth=1
	v_ffbh_u32_e32 v6, v6
	v_min_u32_e32 v6, 32, v6
	v_subrev_nc_u32_e32 v22, 28, v6
	v_lshlrev_b64 v[37:38], v22, v[2:3]
	v_sub_nc_u32_e32 v22, 29, v6
	v_and_b32_e32 v6, 7, v37
; %bb.2694:                             ;   in Loop: Header=BB314_2086 Depth=1
	s_or_b32 exec_lo, exec_lo, s28
	v_lshlrev_b32_sdwa v2, v112, v2 dst_sel:DWORD dst_unused:UNUSED_PAD src0_sel:DWORD src1_sel:WORD_0
	v_lshl_add_u32 v22, v22, 10, 0x2000
	v_lshlrev_b32_e32 v6, 23, v6
	v_and_or_b32 v2, 0x8000, v2, v22
	v_lshl_or_b32 v6, v2, 16, v6
.LBB314_2695:                           ;   in Loop: Header=BB314_2086 Depth=1
	s_or_b32 exec_lo, exec_lo, s27
.LBB314_2696:                           ;   in Loop: Header=BB314_2086 Depth=1
	s_or_b32 exec_lo, exec_lo, s26
.LBB314_2697:                           ;   in Loop: Header=BB314_2086 Depth=1
	s_or_b32 exec_lo, exec_lo, s25
	v_lshrrev_b32_e32 v2, 16, v17
	v_mov_b32_e32 v22, 0
	v_mov_b32_e32 v37, 0
	v_cmp_ne_u16_sdwa s12, v2, v3 src0_sel:BYTE_0 src1_sel:DWORD
	s_and_saveexec_b32 s25, s12
	s_cbranch_execz .LBB314_2705
; %bb.2698:                             ;   in Loop: Header=BB314_2086 Depth=1
	v_cmp_ne_u16_sdwa s12, v2, v55 src0_sel:BYTE_0 src1_sel:DWORD
	v_mov_b32_e32 v37, 0x8000
	s_and_saveexec_b32 s26, s12
	s_cbranch_execz .LBB314_2704
; %bb.2699:                             ;   in Loop: Header=BB314_2086 Depth=1
	v_bfe_u32 v39, v17, 16, 7
	v_mov_b32_e32 v37, 0x7c01
	s_mov_b32 s27, exec_lo
	v_cmpx_ne_u32_e32 0x7f, v39
	s_cbranch_execz .LBB314_2703
; %bb.2700:                             ;   in Loop: Header=BB314_2086 Depth=1
	v_and_b32_e32 v37, 7, v2
	v_lshrrev_b32_e32 v38, 3, v39
	s_mov_b32 s28, exec_lo
	v_cmpx_gt_u32_e32 8, v39
; %bb.2701:                             ;   in Loop: Header=BB314_2086 Depth=1
	v_ffbh_u32_e32 v37, v37
	v_min_u32_e32 v39, 32, v37
	v_subrev_nc_u32_e32 v37, 28, v39
	v_lshlrev_b64 v[37:38], v37, v[2:3]
	v_sub_nc_u32_e32 v38, 29, v39
	v_and_b32_e32 v37, 7, v37
; %bb.2702:                             ;   in Loop: Header=BB314_2086 Depth=1
	s_or_b32 exec_lo, exec_lo, s28
	v_lshlrev_b32_e32 v2, 8, v2
	v_lshl_add_u32 v38, v38, 10, 0x2000
	v_lshlrev_b32_e32 v37, 7, v37
	v_and_b32_e32 v2, 0x8000, v2
	v_and_b32_e32 v38, 0xfc00, v38
	v_or3_b32 v37, v2, v38, v37
.LBB314_2703:                           ;   in Loop: Header=BB314_2086 Depth=1
	s_or_b32 exec_lo, exec_lo, s27
.LBB314_2704:                           ;   in Loop: Header=BB314_2086 Depth=1
	s_or_b32 exec_lo, exec_lo, s26
.LBB314_2705:                           ;   in Loop: Header=BB314_2086 Depth=1
	s_or_b32 exec_lo, exec_lo, s25
	s_mov_b32 s25, exec_lo
	v_cmpx_lt_u32_e32 0xffffff, v17
	s_cbranch_execz .LBB314_2713
; %bb.2706:                             ;   in Loop: Header=BB314_2086 Depth=1
	v_lshrrev_b32_e32 v2, 24, v17
	v_bfrev_b32_e32 v22, 1
	s_mov_b32 s26, exec_lo
	v_cmpx_ne_u32_e32 0x80, v2
	s_cbranch_execz .LBB314_2712
; %bb.2707:                             ;   in Loop: Header=BB314_2086 Depth=1
	v_and_b32_e32 v39, 0x7f, v2
	v_mov_b32_e32 v22, 0x7c010000
	s_mov_b32 s27, exec_lo
	v_cmpx_ne_u32_e32 0x7f, v39
	s_cbranch_execz .LBB314_2711
; %bb.2708:                             ;   in Loop: Header=BB314_2086 Depth=1
	v_and_b32_e32 v22, 7, v2
	v_lshrrev_b32_e32 v38, 3, v39
	s_mov_b32 s28, exec_lo
	v_cmpx_gt_u32_e32 8, v39
; %bb.2709:                             ;   in Loop: Header=BB314_2086 Depth=1
	v_ffbh_u32_e32 v22, v22
	v_min_u32_e32 v22, 32, v22
	v_subrev_nc_u32_e32 v38, 28, v22
	v_lshlrev_b64 v[51:52], v38, v[2:3]
	v_sub_nc_u32_e32 v38, 29, v22
	v_and_b32_e32 v22, 7, v51
; %bb.2710:                             ;   in Loop: Header=BB314_2086 Depth=1
	s_or_b32 exec_lo, exec_lo, s28
	v_lshlrev_b32_e32 v2, 8, v2
	v_lshl_add_u32 v38, v38, 10, 0x2000
	v_lshlrev_b32_e32 v22, 23, v22
	v_and_or_b32 v2, 0x8000, v2, v38
	v_lshl_or_b32 v22, v2, 16, v22
.LBB314_2711:                           ;   in Loop: Header=BB314_2086 Depth=1
	s_or_b32 exec_lo, exec_lo, s27
.LBB314_2712:                           ;   in Loop: Header=BB314_2086 Depth=1
	s_or_b32 exec_lo, exec_lo, s26
.LBB314_2713:                           ;   in Loop: Header=BB314_2086 Depth=1
	s_or_b32 exec_lo, exec_lo, s25
	v_mov_b32_e32 v2, v18
	v_cmp_ne_u16_sdwa s12, v18, v3 src0_sel:BYTE_0 src1_sel:DWORD
	v_mov_b32_e32 v38, 0
	v_mov_b32_e32 v39, 0
	s_and_saveexec_b32 s25, s12
	s_cbranch_execz .LBB314_2721
; %bb.2714:                             ;   in Loop: Header=BB314_2086 Depth=1
	v_cmp_ne_u16_sdwa s12, v18, v55 src0_sel:BYTE_0 src1_sel:DWORD
	v_mov_b32_e32 v39, 0x8000
	s_and_saveexec_b32 s26, s12
	s_cbranch_execz .LBB314_2720
; %bb.2715:                             ;   in Loop: Header=BB314_2086 Depth=1
	v_and_b32_e32 v51, 0x7f, v18
	v_mov_b32_e32 v39, 0x7c01
	s_mov_b32 s27, exec_lo
	v_cmpx_ne_u32_e32 0x7f, v51
	s_cbranch_execz .LBB314_2719
; %bb.2716:                             ;   in Loop: Header=BB314_2086 Depth=1
	v_and_b32_e32 v39, 7, v18
	v_lshrrev_b32_e32 v48, 3, v51
	s_mov_b32 s28, exec_lo
	v_cmpx_gt_u32_e32 8, v51
; %bb.2717:                             ;   in Loop: Header=BB314_2086 Depth=1
	v_ffbh_u32_e32 v39, v39
	v_min_u32_e32 v39, 32, v39
	v_subrev_nc_u32_e32 v48, 28, v39
	v_lshlrev_b64 v[51:52], v48, v[2:3]
	v_sub_nc_u32_e32 v48, 29, v39
	v_and_b32_e32 v39, 7, v51
; %bb.2718:                             ;   in Loop: Header=BB314_2086 Depth=1
	s_or_b32 exec_lo, exec_lo, s28
	v_lshlrev_b32_e32 v51, 8, v18
	v_lshl_add_u32 v48, v48, 10, 0x2000
	v_lshlrev_b32_e32 v39, 7, v39
	v_and_b32_e32 v51, 0x8000, v51
	v_and_b32_e32 v48, 0xfc00, v48
	v_or3_b32 v39, v51, v48, v39
.LBB314_2719:                           ;   in Loop: Header=BB314_2086 Depth=1
	s_or_b32 exec_lo, exec_lo, s27
.LBB314_2720:                           ;   in Loop: Header=BB314_2086 Depth=1
	s_or_b32 exec_lo, exec_lo, s26
.LBB314_2721:                           ;   in Loop: Header=BB314_2086 Depth=1
	s_or_b32 exec_lo, exec_lo, s25
	v_lshrrev_b16 v2, 8, v2
	v_mov_b32_e32 v48, 0
	s_mov_b32 s25, exec_lo
	v_cmpx_ne_u16_e32 0, v2
	s_cbranch_execz .LBB314_2729
; %bb.2722:                             ;   in Loop: Header=BB314_2086 Depth=1
	v_bfrev_b32_e32 v48, 1
	s_mov_b32 s26, exec_lo
	v_cmpx_ne_u16_e32 0x80, v2
	s_cbranch_execz .LBB314_2728
; %bb.2723:                             ;   in Loop: Header=BB314_2086 Depth=1
	v_and_b32_sdwa v52, v2, v64 dst_sel:DWORD dst_unused:UNUSED_PAD src0_sel:WORD_0 src1_sel:DWORD
	v_mov_b32_e32 v48, 0x7c010000
	s_mov_b32 s27, exec_lo
	v_cmpx_ne_u32_e32 0x7f, v52
	s_cbranch_execz .LBB314_2727
; %bb.2724:                             ;   in Loop: Header=BB314_2086 Depth=1
	v_and_b32_sdwa v48, v2, v103 dst_sel:DWORD dst_unused:UNUSED_PAD src0_sel:WORD_0 src1_sel:DWORD
	v_lshrrev_b32_e32 v51, 3, v52
	s_mov_b32 s28, exec_lo
	v_cmpx_gt_u32_e32 8, v52
; %bb.2725:                             ;   in Loop: Header=BB314_2086 Depth=1
	v_ffbh_u32_e32 v48, v48
	v_min_u32_e32 v48, 32, v48
	v_subrev_nc_u32_e32 v51, 28, v48
	v_lshlrev_b64 v[52:53], v51, v[2:3]
	v_sub_nc_u32_e32 v51, 29, v48
	v_and_b32_e32 v48, 7, v52
; %bb.2726:                             ;   in Loop: Header=BB314_2086 Depth=1
	s_or_b32 exec_lo, exec_lo, s28
	v_lshlrev_b32_sdwa v2, v112, v2 dst_sel:DWORD dst_unused:UNUSED_PAD src0_sel:DWORD src1_sel:WORD_0
	v_lshl_add_u32 v51, v51, 10, 0x2000
	v_lshlrev_b32_e32 v48, 23, v48
	v_and_or_b32 v2, 0x8000, v2, v51
	v_lshl_or_b32 v48, v2, 16, v48
.LBB314_2727:                           ;   in Loop: Header=BB314_2086 Depth=1
	s_or_b32 exec_lo, exec_lo, s27
.LBB314_2728:                           ;   in Loop: Header=BB314_2086 Depth=1
	s_or_b32 exec_lo, exec_lo, s26
.LBB314_2729:                           ;   in Loop: Header=BB314_2086 Depth=1
	s_or_b32 exec_lo, exec_lo, s25
	v_lshrrev_b32_e32 v2, 16, v18
	v_cmp_ne_u16_sdwa s12, v2, v3 src0_sel:BYTE_0 src1_sel:DWORD
	s_and_saveexec_b32 s25, s12
	s_cbranch_execz .LBB314_2737
; %bb.2730:                             ;   in Loop: Header=BB314_2086 Depth=1
	v_cmp_ne_u16_sdwa s12, v2, v55 src0_sel:BYTE_0 src1_sel:DWORD
	v_mov_b32_e32 v38, 0x8000
	s_and_saveexec_b32 s26, s12
	s_cbranch_execz .LBB314_2736
; %bb.2731:                             ;   in Loop: Header=BB314_2086 Depth=1
	v_bfe_u32 v52, v18, 16, 7
	v_mov_b32_e32 v38, 0x7c01
	s_mov_b32 s27, exec_lo
	v_cmpx_ne_u32_e32 0x7f, v52
	s_cbranch_execz .LBB314_2735
; %bb.2732:                             ;   in Loop: Header=BB314_2086 Depth=1
	v_and_b32_e32 v38, 7, v2
	v_lshrrev_b32_e32 v51, 3, v52
	s_mov_b32 s28, exec_lo
	v_cmpx_gt_u32_e32 8, v52
; %bb.2733:                             ;   in Loop: Header=BB314_2086 Depth=1
	v_ffbh_u32_e32 v38, v38
	v_min_u32_e32 v38, 32, v38
	v_subrev_nc_u32_e32 v51, 28, v38
	v_lshlrev_b64 v[52:53], v51, v[2:3]
	v_sub_nc_u32_e32 v51, 29, v38
	v_and_b32_e32 v38, 7, v52
; %bb.2734:                             ;   in Loop: Header=BB314_2086 Depth=1
	s_or_b32 exec_lo, exec_lo, s28
	v_lshlrev_b32_e32 v2, 8, v2
	v_lshl_add_u32 v51, v51, 10, 0x2000
	v_lshlrev_b32_e32 v38, 7, v38
	v_and_b32_e32 v2, 0x8000, v2
	v_and_b32_e32 v51, 0xfc00, v51
	v_or3_b32 v38, v2, v51, v38
.LBB314_2735:                           ;   in Loop: Header=BB314_2086 Depth=1
	s_or_b32 exec_lo, exec_lo, s27
.LBB314_2736:                           ;   in Loop: Header=BB314_2086 Depth=1
	s_or_b32 exec_lo, exec_lo, s26
.LBB314_2737:                           ;   in Loop: Header=BB314_2086 Depth=1
	s_or_b32 exec_lo, exec_lo, s25
	v_cmp_lt_u64_e64 s12, s[22:23], v[17:18]
	v_mov_b32_e32 v17, 0
	s_and_saveexec_b32 s25, s12
	s_cbranch_execz .LBB314_2745
; %bb.2738:                             ;   in Loop: Header=BB314_2086 Depth=1
	v_lshrrev_b32_e32 v2, 24, v18
	v_bfrev_b32_e32 v17, 1
	s_mov_b32 s26, exec_lo
	v_cmpx_ne_u32_e32 0x80, v2
	s_cbranch_execz .LBB314_2744
; %bb.2739:                             ;   in Loop: Header=BB314_2086 Depth=1
	v_and_b32_e32 v51, 0x7f, v2
	v_mov_b32_e32 v17, 0x7c010000
	s_mov_b32 s27, exec_lo
	v_cmpx_ne_u32_e32 0x7f, v51
	s_cbranch_execz .LBB314_2743
; %bb.2740:                             ;   in Loop: Header=BB314_2086 Depth=1
	v_and_b32_e32 v17, 7, v2
	v_lshrrev_b32_e32 v18, 3, v51
	s_mov_b32 s28, exec_lo
	v_cmpx_gt_u32_e32 8, v51
; %bb.2741:                             ;   in Loop: Header=BB314_2086 Depth=1
	v_ffbh_u32_e32 v17, v17
	v_min_u32_e32 v51, 32, v17
	v_subrev_nc_u32_e32 v17, 28, v51
	v_lshlrev_b64 v[17:18], v17, v[2:3]
	v_sub_nc_u32_e32 v18, 29, v51
	v_and_b32_e32 v17, 7, v17
; %bb.2742:                             ;   in Loop: Header=BB314_2086 Depth=1
	s_or_b32 exec_lo, exec_lo, s28
	v_lshlrev_b32_e32 v2, 8, v2
	v_lshl_add_u32 v18, v18, 10, 0x2000
	v_lshlrev_b32_e32 v17, 23, v17
	v_and_or_b32 v2, 0x8000, v2, v18
	v_lshl_or_b32 v17, v2, 16, v17
.LBB314_2743:                           ;   in Loop: Header=BB314_2086 Depth=1
	s_or_b32 exec_lo, exec_lo, s27
.LBB314_2744:                           ;   in Loop: Header=BB314_2086 Depth=1
	s_or_b32 exec_lo, exec_lo, s26
.LBB314_2745:                           ;   in Loop: Header=BB314_2086 Depth=1
	s_or_b32 exec_lo, exec_lo, s25
	v_or_b32_e32 v2, v22, v37
	s_waitcnt vmcnt(0) lgkmcnt(0)
	v_fma_mixlo_f16 v18, v5, v22, 0 op_sel:[0,1,0] op_sel_hi:[0,1,0]
	v_or_b32_e32 v22, v6, v16
	v_or_b32_e32 v37, v48, v39
	;; [unrolled: 1-line block ×3, first 2 shown]
	v_fma_mixlo_f16 v6, v5, v6, 0 op_sel:[0,1,0] op_sel_hi:[0,1,0]
	v_fma_mixlo_f16 v39, v5, v2, 0 op_sel_hi:[0,1,0]
	v_lshlrev_b32_e32 v2, 16, v18
	v_fma_mixlo_f16 v18, v5, v22, 0 op_sel_hi:[0,1,0]
	v_fma_mixlo_f16 v22, v5, v48, 0 op_sel:[0,1,0] op_sel_hi:[0,1,0]
	v_fma_mixlo_f16 v37, v5, v37, 0 op_sel_hi:[0,1,0]
	v_fma_mixlo_f16 v17, v5, v17, 0 op_sel:[0,1,0] op_sel_hi:[0,1,0]
	v_fma_mixlo_f16 v5, v5, v38, 0 op_sel_hi:[0,1,0]
	v_lshlrev_b32_e32 v16, 16, v6
	v_and_b32_e32 v6, 0xffff, v39
	v_and_b32_e32 v51, 0xffff, v18
	v_lshlrev_b32_e32 v38, 16, v22
	v_and_b32_e32 v48, 0xffff, v37
	v_lshlrev_b32_e32 v37, 16, v17
	v_and_b32_e32 v39, 0xffff, v5
	v_or_b32_e32 v5, v2, v6
	v_or_b32_e32 v22, v16, v51
	;; [unrolled: 1-line block ×4, first 2 shown]
	s_and_saveexec_b32 s12, s4
	s_cbranch_execz .LBB314_2747
; %bb.2746:                             ;   in Loop: Header=BB314_2086 Depth=1
	v_cndmask_b32_e32 v5, 0, v51, vcc_lo
	v_cndmask_b32_e64 v16, 0, v16, s7
	v_cndmask_b32_e64 v6, 0, v6, s5
	;; [unrolled: 1-line block ×7, first 2 shown]
	v_or_b32_e32 v22, v5, v16
	v_or_b32_e32 v5, v6, v2
	;; [unrolled: 1-line block ×4, first 2 shown]
.LBB314_2747:                           ;   in Loop: Header=BB314_2086 Depth=1
	s_or_b32 exec_lo, exec_lo, s12
	;;#ASMSTART
	v_pk_mul_f16 v2, v41, v22;

	;;#ASMEND
	;;#ASMSTART
	v_pk_mul_f16 v5, v40, v5;

	;;#ASMEND
	;; [unrolled: 4-line block ×4, first 2 shown]
	;;#ASMSTART
	v_pk_add_f16 v2, v2, v5;

	;;#ASMEND
	;;#ASMSTART
	v_pk_add_f16 v2, v2, v6;

	;;#ASMEND
	;; [unrolled: 4-line block ×3, first 2 shown]
	v_and_b32_e32 v5, 0xffff, v2
	v_lshrrev_b32_e32 v2, 16, v2
	;;#ASMSTART
	v_cvt_f32_f16 v74, v5;
	;;#ASMEND
	;;#ASMSTART
	v_cvt_f32_f16 v97, v2;
	;;#ASMEND
	flat_load_dwordx2 v[17:18], v[13:14] offset:512
	flat_load_dword v5, v[26:27]
	v_mov_b32_e32 v6, 0
	v_mov_b32_e32 v16, 0
	s_waitcnt vmcnt(1) lgkmcnt(1)
	v_cmp_ne_u16_sdwa s12, v17, v3 src0_sel:BYTE_0 src1_sel:DWORD
	s_and_saveexec_b32 s25, s12
	s_cbranch_execz .LBB314_2755
; %bb.2748:                             ;   in Loop: Header=BB314_2086 Depth=1
	v_cmp_ne_u16_sdwa s12, v17, v55 src0_sel:BYTE_0 src1_sel:DWORD
	v_mov_b32_e32 v16, 0x8000
	s_and_saveexec_b32 s26, s12
	s_cbranch_execz .LBB314_2754
; %bb.2749:                             ;   in Loop: Header=BB314_2086 Depth=1
	v_and_b32_e32 v22, 0x7f, v17
	v_mov_b32_e32 v16, 0x7c01
	s_mov_b32 s27, exec_lo
	v_cmpx_ne_u32_e32 0x7f, v22
	s_cbranch_execz .LBB314_2753
; %bb.2750:                             ;   in Loop: Header=BB314_2086 Depth=1
	v_and_b32_e32 v2, 7, v17
	v_lshrrev_b32_e32 v16, 3, v22
	s_mov_b32 s28, exec_lo
	v_cmpx_gt_u32_e32 8, v22
; %bb.2751:                             ;   in Loop: Header=BB314_2086 Depth=1
	v_ffbh_u32_e32 v2, v2
	v_min_u32_e32 v2, 32, v2
	v_subrev_nc_u32_e32 v16, 28, v2
	v_lshlrev_b64 v[37:38], v16, v[17:18]
	v_sub_nc_u32_e32 v16, 29, v2
	v_and_b32_e32 v2, 7, v37
; %bb.2752:                             ;   in Loop: Header=BB314_2086 Depth=1
	s_or_b32 exec_lo, exec_lo, s28
	v_lshlrev_b32_e32 v22, 8, v17
	v_lshl_add_u32 v16, v16, 10, 0x2000
	v_lshlrev_b32_e32 v2, 7, v2
	v_and_b32_e32 v22, 0x8000, v22
	v_and_b32_e32 v16, 0xfc00, v16
	v_or3_b32 v16, v22, v16, v2
.LBB314_2753:                           ;   in Loop: Header=BB314_2086 Depth=1
	s_or_b32 exec_lo, exec_lo, s27
.LBB314_2754:                           ;   in Loop: Header=BB314_2086 Depth=1
	s_or_b32 exec_lo, exec_lo, s26
.LBB314_2755:                           ;   in Loop: Header=BB314_2086 Depth=1
	s_or_b32 exec_lo, exec_lo, s25
	v_lshrrev_b16 v2, 8, v17
	s_mov_b32 s25, exec_lo
	v_cmpx_ne_u16_e32 0, v2
	s_cbranch_execz .LBB314_2763
; %bb.2756:                             ;   in Loop: Header=BB314_2086 Depth=1
	v_bfrev_b32_e32 v6, 1
	s_mov_b32 s26, exec_lo
	v_cmpx_ne_u16_e32 0x80, v2
	s_cbranch_execz .LBB314_2762
; %bb.2757:                             ;   in Loop: Header=BB314_2086 Depth=1
	v_and_b32_sdwa v37, v2, v64 dst_sel:DWORD dst_unused:UNUSED_PAD src0_sel:WORD_0 src1_sel:DWORD
	v_mov_b32_e32 v6, 0x7c010000
	s_mov_b32 s27, exec_lo
	v_cmpx_ne_u32_e32 0x7f, v37
	s_cbranch_execz .LBB314_2761
; %bb.2758:                             ;   in Loop: Header=BB314_2086 Depth=1
	v_and_b32_sdwa v6, v2, v103 dst_sel:DWORD dst_unused:UNUSED_PAD src0_sel:WORD_0 src1_sel:DWORD
	v_lshrrev_b32_e32 v22, 3, v37
	s_mov_b32 s28, exec_lo
	v_cmpx_gt_u32_e32 8, v37
; %bb.2759:                             ;   in Loop: Header=BB314_2086 Depth=1
	v_ffbh_u32_e32 v6, v6
	v_min_u32_e32 v6, 32, v6
	v_subrev_nc_u32_e32 v22, 28, v6
	v_lshlrev_b64 v[37:38], v22, v[2:3]
	v_sub_nc_u32_e32 v22, 29, v6
	v_and_b32_e32 v6, 7, v37
; %bb.2760:                             ;   in Loop: Header=BB314_2086 Depth=1
	s_or_b32 exec_lo, exec_lo, s28
	v_lshlrev_b32_sdwa v2, v112, v2 dst_sel:DWORD dst_unused:UNUSED_PAD src0_sel:DWORD src1_sel:WORD_0
	v_lshl_add_u32 v22, v22, 10, 0x2000
	v_lshlrev_b32_e32 v6, 23, v6
	v_and_or_b32 v2, 0x8000, v2, v22
	v_lshl_or_b32 v6, v2, 16, v6
.LBB314_2761:                           ;   in Loop: Header=BB314_2086 Depth=1
	s_or_b32 exec_lo, exec_lo, s27
.LBB314_2762:                           ;   in Loop: Header=BB314_2086 Depth=1
	s_or_b32 exec_lo, exec_lo, s26
.LBB314_2763:                           ;   in Loop: Header=BB314_2086 Depth=1
	s_or_b32 exec_lo, exec_lo, s25
	v_lshrrev_b32_e32 v2, 16, v17
	v_mov_b32_e32 v22, 0
	v_mov_b32_e32 v37, 0
	v_cmp_ne_u16_sdwa s12, v2, v3 src0_sel:BYTE_0 src1_sel:DWORD
	s_and_saveexec_b32 s25, s12
	s_cbranch_execz .LBB314_2771
; %bb.2764:                             ;   in Loop: Header=BB314_2086 Depth=1
	v_cmp_ne_u16_sdwa s12, v2, v55 src0_sel:BYTE_0 src1_sel:DWORD
	v_mov_b32_e32 v37, 0x8000
	s_and_saveexec_b32 s26, s12
	s_cbranch_execz .LBB314_2770
; %bb.2765:                             ;   in Loop: Header=BB314_2086 Depth=1
	v_bfe_u32 v39, v17, 16, 7
	v_mov_b32_e32 v37, 0x7c01
	s_mov_b32 s27, exec_lo
	v_cmpx_ne_u32_e32 0x7f, v39
	s_cbranch_execz .LBB314_2769
; %bb.2766:                             ;   in Loop: Header=BB314_2086 Depth=1
	v_and_b32_e32 v37, 7, v2
	v_lshrrev_b32_e32 v38, 3, v39
	s_mov_b32 s28, exec_lo
	v_cmpx_gt_u32_e32 8, v39
; %bb.2767:                             ;   in Loop: Header=BB314_2086 Depth=1
	v_ffbh_u32_e32 v37, v37
	v_min_u32_e32 v39, 32, v37
	v_subrev_nc_u32_e32 v37, 28, v39
	v_lshlrev_b64 v[37:38], v37, v[2:3]
	v_sub_nc_u32_e32 v38, 29, v39
	v_and_b32_e32 v37, 7, v37
; %bb.2768:                             ;   in Loop: Header=BB314_2086 Depth=1
	s_or_b32 exec_lo, exec_lo, s28
	v_lshlrev_b32_e32 v2, 8, v2
	v_lshl_add_u32 v38, v38, 10, 0x2000
	v_lshlrev_b32_e32 v37, 7, v37
	v_and_b32_e32 v2, 0x8000, v2
	v_and_b32_e32 v38, 0xfc00, v38
	v_or3_b32 v37, v2, v38, v37
.LBB314_2769:                           ;   in Loop: Header=BB314_2086 Depth=1
	s_or_b32 exec_lo, exec_lo, s27
.LBB314_2770:                           ;   in Loop: Header=BB314_2086 Depth=1
	s_or_b32 exec_lo, exec_lo, s26
.LBB314_2771:                           ;   in Loop: Header=BB314_2086 Depth=1
	s_or_b32 exec_lo, exec_lo, s25
	s_mov_b32 s25, exec_lo
	v_cmpx_lt_u32_e32 0xffffff, v17
	s_cbranch_execz .LBB314_2779
; %bb.2772:                             ;   in Loop: Header=BB314_2086 Depth=1
	v_lshrrev_b32_e32 v2, 24, v17
	v_bfrev_b32_e32 v22, 1
	s_mov_b32 s26, exec_lo
	v_cmpx_ne_u32_e32 0x80, v2
	s_cbranch_execz .LBB314_2778
; %bb.2773:                             ;   in Loop: Header=BB314_2086 Depth=1
	v_and_b32_e32 v39, 0x7f, v2
	v_mov_b32_e32 v22, 0x7c010000
	s_mov_b32 s27, exec_lo
	v_cmpx_ne_u32_e32 0x7f, v39
	s_cbranch_execz .LBB314_2777
; %bb.2774:                             ;   in Loop: Header=BB314_2086 Depth=1
	v_and_b32_e32 v22, 7, v2
	v_lshrrev_b32_e32 v38, 3, v39
	s_mov_b32 s28, exec_lo
	v_cmpx_gt_u32_e32 8, v39
; %bb.2775:                             ;   in Loop: Header=BB314_2086 Depth=1
	v_ffbh_u32_e32 v22, v22
	v_min_u32_e32 v22, 32, v22
	v_subrev_nc_u32_e32 v38, 28, v22
	v_lshlrev_b64 v[51:52], v38, v[2:3]
	v_sub_nc_u32_e32 v38, 29, v22
	v_and_b32_e32 v22, 7, v51
; %bb.2776:                             ;   in Loop: Header=BB314_2086 Depth=1
	s_or_b32 exec_lo, exec_lo, s28
	v_lshlrev_b32_e32 v2, 8, v2
	v_lshl_add_u32 v38, v38, 10, 0x2000
	v_lshlrev_b32_e32 v22, 23, v22
	v_and_or_b32 v2, 0x8000, v2, v38
	v_lshl_or_b32 v22, v2, 16, v22
.LBB314_2777:                           ;   in Loop: Header=BB314_2086 Depth=1
	s_or_b32 exec_lo, exec_lo, s27
.LBB314_2778:                           ;   in Loop: Header=BB314_2086 Depth=1
	s_or_b32 exec_lo, exec_lo, s26
.LBB314_2779:                           ;   in Loop: Header=BB314_2086 Depth=1
	s_or_b32 exec_lo, exec_lo, s25
	v_mov_b32_e32 v2, v18
	v_cmp_ne_u16_sdwa s12, v18, v3 src0_sel:BYTE_0 src1_sel:DWORD
	v_mov_b32_e32 v38, 0
	v_mov_b32_e32 v39, 0
	s_and_saveexec_b32 s25, s12
	s_cbranch_execz .LBB314_2787
; %bb.2780:                             ;   in Loop: Header=BB314_2086 Depth=1
	v_cmp_ne_u16_sdwa s12, v18, v55 src0_sel:BYTE_0 src1_sel:DWORD
	v_mov_b32_e32 v39, 0x8000
	s_and_saveexec_b32 s26, s12
	s_cbranch_execz .LBB314_2786
; %bb.2781:                             ;   in Loop: Header=BB314_2086 Depth=1
	v_and_b32_e32 v51, 0x7f, v18
	v_mov_b32_e32 v39, 0x7c01
	s_mov_b32 s27, exec_lo
	v_cmpx_ne_u32_e32 0x7f, v51
	s_cbranch_execz .LBB314_2785
; %bb.2782:                             ;   in Loop: Header=BB314_2086 Depth=1
	v_and_b32_e32 v39, 7, v18
	v_lshrrev_b32_e32 v48, 3, v51
	s_mov_b32 s28, exec_lo
	v_cmpx_gt_u32_e32 8, v51
; %bb.2783:                             ;   in Loop: Header=BB314_2086 Depth=1
	v_ffbh_u32_e32 v39, v39
	v_min_u32_e32 v39, 32, v39
	v_subrev_nc_u32_e32 v48, 28, v39
	v_lshlrev_b64 v[51:52], v48, v[2:3]
	v_sub_nc_u32_e32 v48, 29, v39
	v_and_b32_e32 v39, 7, v51
; %bb.2784:                             ;   in Loop: Header=BB314_2086 Depth=1
	s_or_b32 exec_lo, exec_lo, s28
	v_lshlrev_b32_e32 v51, 8, v18
	v_lshl_add_u32 v48, v48, 10, 0x2000
	v_lshlrev_b32_e32 v39, 7, v39
	v_and_b32_e32 v51, 0x8000, v51
	v_and_b32_e32 v48, 0xfc00, v48
	v_or3_b32 v39, v51, v48, v39
.LBB314_2785:                           ;   in Loop: Header=BB314_2086 Depth=1
	s_or_b32 exec_lo, exec_lo, s27
.LBB314_2786:                           ;   in Loop: Header=BB314_2086 Depth=1
	s_or_b32 exec_lo, exec_lo, s26
.LBB314_2787:                           ;   in Loop: Header=BB314_2086 Depth=1
	s_or_b32 exec_lo, exec_lo, s25
	v_lshrrev_b16 v2, 8, v2
	v_mov_b32_e32 v48, 0
	s_mov_b32 s25, exec_lo
	v_cmpx_ne_u16_e32 0, v2
	s_cbranch_execz .LBB314_2795
; %bb.2788:                             ;   in Loop: Header=BB314_2086 Depth=1
	v_bfrev_b32_e32 v48, 1
	s_mov_b32 s26, exec_lo
	v_cmpx_ne_u16_e32 0x80, v2
	s_cbranch_execz .LBB314_2794
; %bb.2789:                             ;   in Loop: Header=BB314_2086 Depth=1
	v_and_b32_sdwa v52, v2, v64 dst_sel:DWORD dst_unused:UNUSED_PAD src0_sel:WORD_0 src1_sel:DWORD
	v_mov_b32_e32 v48, 0x7c010000
	s_mov_b32 s27, exec_lo
	v_cmpx_ne_u32_e32 0x7f, v52
	s_cbranch_execz .LBB314_2793
; %bb.2790:                             ;   in Loop: Header=BB314_2086 Depth=1
	v_and_b32_sdwa v48, v2, v103 dst_sel:DWORD dst_unused:UNUSED_PAD src0_sel:WORD_0 src1_sel:DWORD
	v_lshrrev_b32_e32 v51, 3, v52
	s_mov_b32 s28, exec_lo
	v_cmpx_gt_u32_e32 8, v52
; %bb.2791:                             ;   in Loop: Header=BB314_2086 Depth=1
	v_ffbh_u32_e32 v48, v48
	v_min_u32_e32 v48, 32, v48
	v_subrev_nc_u32_e32 v51, 28, v48
	v_lshlrev_b64 v[52:53], v51, v[2:3]
	v_sub_nc_u32_e32 v51, 29, v48
	v_and_b32_e32 v48, 7, v52
; %bb.2792:                             ;   in Loop: Header=BB314_2086 Depth=1
	s_or_b32 exec_lo, exec_lo, s28
	v_lshlrev_b32_sdwa v2, v112, v2 dst_sel:DWORD dst_unused:UNUSED_PAD src0_sel:DWORD src1_sel:WORD_0
	v_lshl_add_u32 v51, v51, 10, 0x2000
	v_lshlrev_b32_e32 v48, 23, v48
	v_and_or_b32 v2, 0x8000, v2, v51
	v_lshl_or_b32 v48, v2, 16, v48
.LBB314_2793:                           ;   in Loop: Header=BB314_2086 Depth=1
	s_or_b32 exec_lo, exec_lo, s27
.LBB314_2794:                           ;   in Loop: Header=BB314_2086 Depth=1
	s_or_b32 exec_lo, exec_lo, s26
.LBB314_2795:                           ;   in Loop: Header=BB314_2086 Depth=1
	s_or_b32 exec_lo, exec_lo, s25
	v_lshrrev_b32_e32 v2, 16, v18
	v_cmp_ne_u16_sdwa s12, v2, v3 src0_sel:BYTE_0 src1_sel:DWORD
	s_and_saveexec_b32 s25, s12
	s_cbranch_execz .LBB314_2803
; %bb.2796:                             ;   in Loop: Header=BB314_2086 Depth=1
	v_cmp_ne_u16_sdwa s12, v2, v55 src0_sel:BYTE_0 src1_sel:DWORD
	v_mov_b32_e32 v38, 0x8000
	s_and_saveexec_b32 s26, s12
	s_cbranch_execz .LBB314_2802
; %bb.2797:                             ;   in Loop: Header=BB314_2086 Depth=1
	v_bfe_u32 v52, v18, 16, 7
	v_mov_b32_e32 v38, 0x7c01
	s_mov_b32 s27, exec_lo
	v_cmpx_ne_u32_e32 0x7f, v52
	s_cbranch_execz .LBB314_2801
; %bb.2798:                             ;   in Loop: Header=BB314_2086 Depth=1
	v_and_b32_e32 v38, 7, v2
	v_lshrrev_b32_e32 v51, 3, v52
	s_mov_b32 s28, exec_lo
	v_cmpx_gt_u32_e32 8, v52
; %bb.2799:                             ;   in Loop: Header=BB314_2086 Depth=1
	v_ffbh_u32_e32 v38, v38
	v_min_u32_e32 v38, 32, v38
	v_subrev_nc_u32_e32 v51, 28, v38
	v_lshlrev_b64 v[52:53], v51, v[2:3]
	v_sub_nc_u32_e32 v51, 29, v38
	v_and_b32_e32 v38, 7, v52
; %bb.2800:                             ;   in Loop: Header=BB314_2086 Depth=1
	s_or_b32 exec_lo, exec_lo, s28
	v_lshlrev_b32_e32 v2, 8, v2
	v_lshl_add_u32 v51, v51, 10, 0x2000
	v_lshlrev_b32_e32 v38, 7, v38
	v_and_b32_e32 v2, 0x8000, v2
	v_and_b32_e32 v51, 0xfc00, v51
	v_or3_b32 v38, v2, v51, v38
.LBB314_2801:                           ;   in Loop: Header=BB314_2086 Depth=1
	s_or_b32 exec_lo, exec_lo, s27
.LBB314_2802:                           ;   in Loop: Header=BB314_2086 Depth=1
	s_or_b32 exec_lo, exec_lo, s26
.LBB314_2803:                           ;   in Loop: Header=BB314_2086 Depth=1
	s_or_b32 exec_lo, exec_lo, s25
	v_cmp_lt_u64_e64 s12, s[22:23], v[17:18]
	v_mov_b32_e32 v17, 0
	s_and_saveexec_b32 s25, s12
	s_cbranch_execz .LBB314_2811
; %bb.2804:                             ;   in Loop: Header=BB314_2086 Depth=1
	v_lshrrev_b32_e32 v2, 24, v18
	v_bfrev_b32_e32 v17, 1
	s_mov_b32 s26, exec_lo
	v_cmpx_ne_u32_e32 0x80, v2
	s_cbranch_execz .LBB314_2810
; %bb.2805:                             ;   in Loop: Header=BB314_2086 Depth=1
	v_and_b32_e32 v51, 0x7f, v2
	v_mov_b32_e32 v17, 0x7c010000
	s_mov_b32 s27, exec_lo
	v_cmpx_ne_u32_e32 0x7f, v51
	s_cbranch_execz .LBB314_2809
; %bb.2806:                             ;   in Loop: Header=BB314_2086 Depth=1
	v_and_b32_e32 v17, 7, v2
	v_lshrrev_b32_e32 v18, 3, v51
	s_mov_b32 s28, exec_lo
	v_cmpx_gt_u32_e32 8, v51
; %bb.2807:                             ;   in Loop: Header=BB314_2086 Depth=1
	v_ffbh_u32_e32 v17, v17
	v_min_u32_e32 v51, 32, v17
	v_subrev_nc_u32_e32 v17, 28, v51
	v_lshlrev_b64 v[17:18], v17, v[2:3]
	v_sub_nc_u32_e32 v18, 29, v51
	v_and_b32_e32 v17, 7, v17
; %bb.2808:                             ;   in Loop: Header=BB314_2086 Depth=1
	s_or_b32 exec_lo, exec_lo, s28
	v_lshlrev_b32_e32 v2, 8, v2
	v_lshl_add_u32 v18, v18, 10, 0x2000
	v_lshlrev_b32_e32 v17, 23, v17
	v_and_or_b32 v2, 0x8000, v2, v18
	v_lshl_or_b32 v17, v2, 16, v17
.LBB314_2809:                           ;   in Loop: Header=BB314_2086 Depth=1
	s_or_b32 exec_lo, exec_lo, s27
.LBB314_2810:                           ;   in Loop: Header=BB314_2086 Depth=1
	s_or_b32 exec_lo, exec_lo, s26
.LBB314_2811:                           ;   in Loop: Header=BB314_2086 Depth=1
	s_or_b32 exec_lo, exec_lo, s25
	v_or_b32_e32 v2, v22, v37
	s_waitcnt vmcnt(0) lgkmcnt(0)
	v_fma_mixlo_f16 v18, v5, v22, 0 op_sel:[0,1,0] op_sel_hi:[0,1,0]
	v_or_b32_e32 v22, v6, v16
	v_or_b32_e32 v37, v48, v39
	;; [unrolled: 1-line block ×3, first 2 shown]
	v_fma_mixlo_f16 v6, v5, v6, 0 op_sel:[0,1,0] op_sel_hi:[0,1,0]
	v_fma_mixlo_f16 v39, v5, v2, 0 op_sel_hi:[0,1,0]
	v_lshlrev_b32_e32 v2, 16, v18
	v_fma_mixlo_f16 v18, v5, v22, 0 op_sel_hi:[0,1,0]
	v_fma_mixlo_f16 v22, v5, v48, 0 op_sel:[0,1,0] op_sel_hi:[0,1,0]
	v_fma_mixlo_f16 v37, v5, v37, 0 op_sel_hi:[0,1,0]
	v_fma_mixlo_f16 v17, v5, v17, 0 op_sel:[0,1,0] op_sel_hi:[0,1,0]
	v_fma_mixlo_f16 v5, v5, v38, 0 op_sel_hi:[0,1,0]
	v_lshlrev_b32_e32 v16, 16, v6
	v_and_b32_e32 v6, 0xffff, v39
	v_and_b32_e32 v51, 0xffff, v18
	v_lshlrev_b32_e32 v38, 16, v22
	v_and_b32_e32 v48, 0xffff, v37
	v_lshlrev_b32_e32 v37, 16, v17
	v_and_b32_e32 v39, 0xffff, v5
	v_or_b32_e32 v5, v2, v6
	v_or_b32_e32 v22, v16, v51
	v_or_b32_e32 v18, v38, v48
	v_or_b32_e32 v17, v37, v39
	s_and_saveexec_b32 s12, s4
	s_cbranch_execz .LBB314_2813
; %bb.2812:                             ;   in Loop: Header=BB314_2086 Depth=1
	v_cndmask_b32_e32 v5, 0, v51, vcc_lo
	v_cndmask_b32_e64 v16, 0, v16, s7
	v_cndmask_b32_e64 v6, 0, v6, s5
	v_cndmask_b32_e64 v2, 0, v2, s6
	v_cndmask_b32_e64 v17, 0, v48, s8
	v_cndmask_b32_e64 v18, 0, v38, s9
	v_cndmask_b32_e64 v38, 0, v39, s10
	v_cndmask_b32_e64 v37, 0, v37, s11
	v_or_b32_e32 v22, v5, v16
	v_or_b32_e32 v5, v6, v2
	;; [unrolled: 1-line block ×4, first 2 shown]
.LBB314_2813:                           ;   in Loop: Header=BB314_2086 Depth=1
	s_or_b32 exec_lo, exec_lo, s12
	;;#ASMSTART
	v_pk_mul_f16 v2, v41, v22;

	;;#ASMEND
	;;#ASMSTART
	v_pk_mul_f16 v5, v40, v5;

	;;#ASMEND
	;; [unrolled: 4-line block ×4, first 2 shown]
	;;#ASMSTART
	v_pk_add_f16 v2, v2, v5;

	;;#ASMEND
	;;#ASMSTART
	v_pk_add_f16 v2, v2, v6;

	;;#ASMEND
	;; [unrolled: 4-line block ×3, first 2 shown]
	v_and_b32_e32 v5, 0xffff, v2
	v_lshrrev_b32_e32 v2, 16, v2
	;;#ASMSTART
	v_cvt_f32_f16 v76, v5;
	;;#ASMEND
	;;#ASMSTART
	v_cvt_f32_f16 v77, v2;
	;;#ASMEND
	flat_load_dwordx2 v[17:18], v[13:14] offset:768
	flat_load_dword v5, v[26:27]
	v_mov_b32_e32 v6, 0
	v_mov_b32_e32 v16, 0
	s_waitcnt vmcnt(1) lgkmcnt(1)
	v_cmp_ne_u16_sdwa s12, v17, v3 src0_sel:BYTE_0 src1_sel:DWORD
	s_and_saveexec_b32 s25, s12
	s_cbranch_execz .LBB314_2821
; %bb.2814:                             ;   in Loop: Header=BB314_2086 Depth=1
	v_cmp_ne_u16_sdwa s12, v17, v55 src0_sel:BYTE_0 src1_sel:DWORD
	v_mov_b32_e32 v16, 0x8000
	s_and_saveexec_b32 s26, s12
	s_cbranch_execz .LBB314_2820
; %bb.2815:                             ;   in Loop: Header=BB314_2086 Depth=1
	v_and_b32_e32 v22, 0x7f, v17
	v_mov_b32_e32 v16, 0x7c01
	s_mov_b32 s27, exec_lo
	v_cmpx_ne_u32_e32 0x7f, v22
	s_cbranch_execz .LBB314_2819
; %bb.2816:                             ;   in Loop: Header=BB314_2086 Depth=1
	v_and_b32_e32 v2, 7, v17
	v_lshrrev_b32_e32 v16, 3, v22
	s_mov_b32 s28, exec_lo
	v_cmpx_gt_u32_e32 8, v22
; %bb.2817:                             ;   in Loop: Header=BB314_2086 Depth=1
	v_ffbh_u32_e32 v2, v2
	v_min_u32_e32 v2, 32, v2
	v_subrev_nc_u32_e32 v16, 28, v2
	v_lshlrev_b64 v[37:38], v16, v[17:18]
	v_sub_nc_u32_e32 v16, 29, v2
	v_and_b32_e32 v2, 7, v37
; %bb.2818:                             ;   in Loop: Header=BB314_2086 Depth=1
	s_or_b32 exec_lo, exec_lo, s28
	v_lshlrev_b32_e32 v22, 8, v17
	v_lshl_add_u32 v16, v16, 10, 0x2000
	v_lshlrev_b32_e32 v2, 7, v2
	v_and_b32_e32 v22, 0x8000, v22
	v_and_b32_e32 v16, 0xfc00, v16
	v_or3_b32 v16, v22, v16, v2
.LBB314_2819:                           ;   in Loop: Header=BB314_2086 Depth=1
	s_or_b32 exec_lo, exec_lo, s27
.LBB314_2820:                           ;   in Loop: Header=BB314_2086 Depth=1
	s_or_b32 exec_lo, exec_lo, s26
.LBB314_2821:                           ;   in Loop: Header=BB314_2086 Depth=1
	s_or_b32 exec_lo, exec_lo, s25
	v_lshrrev_b16 v2, 8, v17
	s_mov_b32 s25, exec_lo
	v_cmpx_ne_u16_e32 0, v2
	s_cbranch_execz .LBB314_2829
; %bb.2822:                             ;   in Loop: Header=BB314_2086 Depth=1
	v_bfrev_b32_e32 v6, 1
	s_mov_b32 s26, exec_lo
	v_cmpx_ne_u16_e32 0x80, v2
	s_cbranch_execz .LBB314_2828
; %bb.2823:                             ;   in Loop: Header=BB314_2086 Depth=1
	v_and_b32_sdwa v37, v2, v64 dst_sel:DWORD dst_unused:UNUSED_PAD src0_sel:WORD_0 src1_sel:DWORD
	v_mov_b32_e32 v6, 0x7c010000
	s_mov_b32 s27, exec_lo
	v_cmpx_ne_u32_e32 0x7f, v37
	s_cbranch_execz .LBB314_2827
; %bb.2824:                             ;   in Loop: Header=BB314_2086 Depth=1
	v_and_b32_sdwa v6, v2, v103 dst_sel:DWORD dst_unused:UNUSED_PAD src0_sel:WORD_0 src1_sel:DWORD
	v_lshrrev_b32_e32 v22, 3, v37
	s_mov_b32 s28, exec_lo
	v_cmpx_gt_u32_e32 8, v37
; %bb.2825:                             ;   in Loop: Header=BB314_2086 Depth=1
	v_ffbh_u32_e32 v6, v6
	v_min_u32_e32 v6, 32, v6
	v_subrev_nc_u32_e32 v22, 28, v6
	v_lshlrev_b64 v[37:38], v22, v[2:3]
	v_sub_nc_u32_e32 v22, 29, v6
	v_and_b32_e32 v6, 7, v37
; %bb.2826:                             ;   in Loop: Header=BB314_2086 Depth=1
	s_or_b32 exec_lo, exec_lo, s28
	v_lshlrev_b32_sdwa v2, v112, v2 dst_sel:DWORD dst_unused:UNUSED_PAD src0_sel:DWORD src1_sel:WORD_0
	v_lshl_add_u32 v22, v22, 10, 0x2000
	v_lshlrev_b32_e32 v6, 23, v6
	v_and_or_b32 v2, 0x8000, v2, v22
	v_lshl_or_b32 v6, v2, 16, v6
.LBB314_2827:                           ;   in Loop: Header=BB314_2086 Depth=1
	s_or_b32 exec_lo, exec_lo, s27
.LBB314_2828:                           ;   in Loop: Header=BB314_2086 Depth=1
	s_or_b32 exec_lo, exec_lo, s26
.LBB314_2829:                           ;   in Loop: Header=BB314_2086 Depth=1
	s_or_b32 exec_lo, exec_lo, s25
	v_lshrrev_b32_e32 v2, 16, v17
	v_mov_b32_e32 v22, 0
	v_mov_b32_e32 v37, 0
	v_cmp_ne_u16_sdwa s12, v2, v3 src0_sel:BYTE_0 src1_sel:DWORD
	s_and_saveexec_b32 s25, s12
	s_cbranch_execz .LBB314_2837
; %bb.2830:                             ;   in Loop: Header=BB314_2086 Depth=1
	v_cmp_ne_u16_sdwa s12, v2, v55 src0_sel:BYTE_0 src1_sel:DWORD
	v_mov_b32_e32 v37, 0x8000
	s_and_saveexec_b32 s26, s12
	s_cbranch_execz .LBB314_2836
; %bb.2831:                             ;   in Loop: Header=BB314_2086 Depth=1
	v_bfe_u32 v39, v17, 16, 7
	v_mov_b32_e32 v37, 0x7c01
	s_mov_b32 s27, exec_lo
	v_cmpx_ne_u32_e32 0x7f, v39
	s_cbranch_execz .LBB314_2835
; %bb.2832:                             ;   in Loop: Header=BB314_2086 Depth=1
	v_and_b32_e32 v37, 7, v2
	v_lshrrev_b32_e32 v38, 3, v39
	s_mov_b32 s28, exec_lo
	v_cmpx_gt_u32_e32 8, v39
; %bb.2833:                             ;   in Loop: Header=BB314_2086 Depth=1
	v_ffbh_u32_e32 v37, v37
	v_min_u32_e32 v39, 32, v37
	v_subrev_nc_u32_e32 v37, 28, v39
	v_lshlrev_b64 v[37:38], v37, v[2:3]
	v_sub_nc_u32_e32 v38, 29, v39
	v_and_b32_e32 v37, 7, v37
; %bb.2834:                             ;   in Loop: Header=BB314_2086 Depth=1
	s_or_b32 exec_lo, exec_lo, s28
	v_lshlrev_b32_e32 v2, 8, v2
	v_lshl_add_u32 v38, v38, 10, 0x2000
	v_lshlrev_b32_e32 v37, 7, v37
	v_and_b32_e32 v2, 0x8000, v2
	v_and_b32_e32 v38, 0xfc00, v38
	v_or3_b32 v37, v2, v38, v37
.LBB314_2835:                           ;   in Loop: Header=BB314_2086 Depth=1
	s_or_b32 exec_lo, exec_lo, s27
.LBB314_2836:                           ;   in Loop: Header=BB314_2086 Depth=1
	s_or_b32 exec_lo, exec_lo, s26
.LBB314_2837:                           ;   in Loop: Header=BB314_2086 Depth=1
	s_or_b32 exec_lo, exec_lo, s25
	s_mov_b32 s25, exec_lo
	v_cmpx_lt_u32_e32 0xffffff, v17
	s_cbranch_execz .LBB314_2845
; %bb.2838:                             ;   in Loop: Header=BB314_2086 Depth=1
	v_lshrrev_b32_e32 v2, 24, v17
	v_bfrev_b32_e32 v22, 1
	s_mov_b32 s26, exec_lo
	v_cmpx_ne_u32_e32 0x80, v2
	s_cbranch_execz .LBB314_2844
; %bb.2839:                             ;   in Loop: Header=BB314_2086 Depth=1
	v_and_b32_e32 v39, 0x7f, v2
	v_mov_b32_e32 v22, 0x7c010000
	s_mov_b32 s27, exec_lo
	v_cmpx_ne_u32_e32 0x7f, v39
	s_cbranch_execz .LBB314_2843
; %bb.2840:                             ;   in Loop: Header=BB314_2086 Depth=1
	v_and_b32_e32 v22, 7, v2
	v_lshrrev_b32_e32 v38, 3, v39
	s_mov_b32 s28, exec_lo
	v_cmpx_gt_u32_e32 8, v39
; %bb.2841:                             ;   in Loop: Header=BB314_2086 Depth=1
	v_ffbh_u32_e32 v22, v22
	v_min_u32_e32 v22, 32, v22
	v_subrev_nc_u32_e32 v38, 28, v22
	v_lshlrev_b64 v[51:52], v38, v[2:3]
	v_sub_nc_u32_e32 v38, 29, v22
	v_and_b32_e32 v22, 7, v51
; %bb.2842:                             ;   in Loop: Header=BB314_2086 Depth=1
	s_or_b32 exec_lo, exec_lo, s28
	v_lshlrev_b32_e32 v2, 8, v2
	v_lshl_add_u32 v38, v38, 10, 0x2000
	v_lshlrev_b32_e32 v22, 23, v22
	v_and_or_b32 v2, 0x8000, v2, v38
	v_lshl_or_b32 v22, v2, 16, v22
.LBB314_2843:                           ;   in Loop: Header=BB314_2086 Depth=1
	s_or_b32 exec_lo, exec_lo, s27
.LBB314_2844:                           ;   in Loop: Header=BB314_2086 Depth=1
	s_or_b32 exec_lo, exec_lo, s26
.LBB314_2845:                           ;   in Loop: Header=BB314_2086 Depth=1
	s_or_b32 exec_lo, exec_lo, s25
	v_mov_b32_e32 v2, v18
	v_cmp_ne_u16_sdwa s12, v18, v3 src0_sel:BYTE_0 src1_sel:DWORD
	v_mov_b32_e32 v38, 0
	v_mov_b32_e32 v39, 0
	s_and_saveexec_b32 s25, s12
	s_cbranch_execz .LBB314_2853
; %bb.2846:                             ;   in Loop: Header=BB314_2086 Depth=1
	v_cmp_ne_u16_sdwa s12, v18, v55 src0_sel:BYTE_0 src1_sel:DWORD
	v_mov_b32_e32 v39, 0x8000
	s_and_saveexec_b32 s26, s12
	s_cbranch_execz .LBB314_2852
; %bb.2847:                             ;   in Loop: Header=BB314_2086 Depth=1
	v_and_b32_e32 v51, 0x7f, v18
	v_mov_b32_e32 v39, 0x7c01
	s_mov_b32 s27, exec_lo
	v_cmpx_ne_u32_e32 0x7f, v51
	s_cbranch_execz .LBB314_2851
; %bb.2848:                             ;   in Loop: Header=BB314_2086 Depth=1
	v_and_b32_e32 v39, 7, v18
	v_lshrrev_b32_e32 v48, 3, v51
	s_mov_b32 s28, exec_lo
	v_cmpx_gt_u32_e32 8, v51
; %bb.2849:                             ;   in Loop: Header=BB314_2086 Depth=1
	v_ffbh_u32_e32 v39, v39
	v_min_u32_e32 v39, 32, v39
	v_subrev_nc_u32_e32 v48, 28, v39
	v_lshlrev_b64 v[51:52], v48, v[2:3]
	v_sub_nc_u32_e32 v48, 29, v39
	v_and_b32_e32 v39, 7, v51
; %bb.2850:                             ;   in Loop: Header=BB314_2086 Depth=1
	s_or_b32 exec_lo, exec_lo, s28
	v_lshlrev_b32_e32 v51, 8, v18
	v_lshl_add_u32 v48, v48, 10, 0x2000
	v_lshlrev_b32_e32 v39, 7, v39
	v_and_b32_e32 v51, 0x8000, v51
	v_and_b32_e32 v48, 0xfc00, v48
	v_or3_b32 v39, v51, v48, v39
.LBB314_2851:                           ;   in Loop: Header=BB314_2086 Depth=1
	s_or_b32 exec_lo, exec_lo, s27
.LBB314_2852:                           ;   in Loop: Header=BB314_2086 Depth=1
	s_or_b32 exec_lo, exec_lo, s26
.LBB314_2853:                           ;   in Loop: Header=BB314_2086 Depth=1
	s_or_b32 exec_lo, exec_lo, s25
	v_lshrrev_b16 v2, 8, v2
	v_mov_b32_e32 v48, 0
	s_mov_b32 s25, exec_lo
	v_cmpx_ne_u16_e32 0, v2
	s_cbranch_execz .LBB314_2861
; %bb.2854:                             ;   in Loop: Header=BB314_2086 Depth=1
	v_bfrev_b32_e32 v48, 1
	s_mov_b32 s26, exec_lo
	v_cmpx_ne_u16_e32 0x80, v2
	s_cbranch_execz .LBB314_2860
; %bb.2855:                             ;   in Loop: Header=BB314_2086 Depth=1
	v_and_b32_sdwa v52, v2, v64 dst_sel:DWORD dst_unused:UNUSED_PAD src0_sel:WORD_0 src1_sel:DWORD
	v_mov_b32_e32 v48, 0x7c010000
	s_mov_b32 s27, exec_lo
	v_cmpx_ne_u32_e32 0x7f, v52
	s_cbranch_execz .LBB314_2859
; %bb.2856:                             ;   in Loop: Header=BB314_2086 Depth=1
	v_and_b32_sdwa v48, v2, v103 dst_sel:DWORD dst_unused:UNUSED_PAD src0_sel:WORD_0 src1_sel:DWORD
	v_lshrrev_b32_e32 v51, 3, v52
	s_mov_b32 s28, exec_lo
	v_cmpx_gt_u32_e32 8, v52
; %bb.2857:                             ;   in Loop: Header=BB314_2086 Depth=1
	v_ffbh_u32_e32 v48, v48
	v_min_u32_e32 v48, 32, v48
	v_subrev_nc_u32_e32 v51, 28, v48
	v_lshlrev_b64 v[52:53], v51, v[2:3]
	v_sub_nc_u32_e32 v51, 29, v48
	v_and_b32_e32 v48, 7, v52
; %bb.2858:                             ;   in Loop: Header=BB314_2086 Depth=1
	s_or_b32 exec_lo, exec_lo, s28
	v_lshlrev_b32_sdwa v2, v112, v2 dst_sel:DWORD dst_unused:UNUSED_PAD src0_sel:DWORD src1_sel:WORD_0
	v_lshl_add_u32 v51, v51, 10, 0x2000
	v_lshlrev_b32_e32 v48, 23, v48
	v_and_or_b32 v2, 0x8000, v2, v51
	v_lshl_or_b32 v48, v2, 16, v48
.LBB314_2859:                           ;   in Loop: Header=BB314_2086 Depth=1
	s_or_b32 exec_lo, exec_lo, s27
.LBB314_2860:                           ;   in Loop: Header=BB314_2086 Depth=1
	s_or_b32 exec_lo, exec_lo, s26
.LBB314_2861:                           ;   in Loop: Header=BB314_2086 Depth=1
	s_or_b32 exec_lo, exec_lo, s25
	v_lshrrev_b32_e32 v2, 16, v18
	v_cmp_ne_u16_sdwa s12, v2, v3 src0_sel:BYTE_0 src1_sel:DWORD
	s_and_saveexec_b32 s25, s12
	s_cbranch_execz .LBB314_2869
; %bb.2862:                             ;   in Loop: Header=BB314_2086 Depth=1
	v_cmp_ne_u16_sdwa s12, v2, v55 src0_sel:BYTE_0 src1_sel:DWORD
	v_mov_b32_e32 v38, 0x8000
	s_and_saveexec_b32 s26, s12
	s_cbranch_execz .LBB314_2868
; %bb.2863:                             ;   in Loop: Header=BB314_2086 Depth=1
	v_bfe_u32 v52, v18, 16, 7
	v_mov_b32_e32 v38, 0x7c01
	s_mov_b32 s27, exec_lo
	v_cmpx_ne_u32_e32 0x7f, v52
	s_cbranch_execz .LBB314_2867
; %bb.2864:                             ;   in Loop: Header=BB314_2086 Depth=1
	v_and_b32_e32 v38, 7, v2
	v_lshrrev_b32_e32 v51, 3, v52
	s_mov_b32 s28, exec_lo
	v_cmpx_gt_u32_e32 8, v52
; %bb.2865:                             ;   in Loop: Header=BB314_2086 Depth=1
	v_ffbh_u32_e32 v38, v38
	v_min_u32_e32 v38, 32, v38
	v_subrev_nc_u32_e32 v51, 28, v38
	v_lshlrev_b64 v[52:53], v51, v[2:3]
	v_sub_nc_u32_e32 v51, 29, v38
	v_and_b32_e32 v38, 7, v52
; %bb.2866:                             ;   in Loop: Header=BB314_2086 Depth=1
	s_or_b32 exec_lo, exec_lo, s28
	v_lshlrev_b32_e32 v2, 8, v2
	v_lshl_add_u32 v51, v51, 10, 0x2000
	v_lshlrev_b32_e32 v38, 7, v38
	v_and_b32_e32 v2, 0x8000, v2
	v_and_b32_e32 v51, 0xfc00, v51
	v_or3_b32 v38, v2, v51, v38
.LBB314_2867:                           ;   in Loop: Header=BB314_2086 Depth=1
	s_or_b32 exec_lo, exec_lo, s27
.LBB314_2868:                           ;   in Loop: Header=BB314_2086 Depth=1
	s_or_b32 exec_lo, exec_lo, s26
.LBB314_2869:                           ;   in Loop: Header=BB314_2086 Depth=1
	s_or_b32 exec_lo, exec_lo, s25
	v_cmp_lt_u64_e64 s12, s[22:23], v[17:18]
	v_mov_b32_e32 v17, 0
	s_and_saveexec_b32 s25, s12
	s_cbranch_execz .LBB314_2877
; %bb.2870:                             ;   in Loop: Header=BB314_2086 Depth=1
	v_lshrrev_b32_e32 v2, 24, v18
	v_bfrev_b32_e32 v17, 1
	s_mov_b32 s26, exec_lo
	v_cmpx_ne_u32_e32 0x80, v2
	s_cbranch_execz .LBB314_2876
; %bb.2871:                             ;   in Loop: Header=BB314_2086 Depth=1
	v_and_b32_e32 v51, 0x7f, v2
	v_mov_b32_e32 v17, 0x7c010000
	s_mov_b32 s27, exec_lo
	v_cmpx_ne_u32_e32 0x7f, v51
	s_cbranch_execz .LBB314_2875
; %bb.2872:                             ;   in Loop: Header=BB314_2086 Depth=1
	v_and_b32_e32 v17, 7, v2
	v_lshrrev_b32_e32 v18, 3, v51
	s_mov_b32 s28, exec_lo
	v_cmpx_gt_u32_e32 8, v51
; %bb.2873:                             ;   in Loop: Header=BB314_2086 Depth=1
	v_ffbh_u32_e32 v17, v17
	v_min_u32_e32 v51, 32, v17
	v_subrev_nc_u32_e32 v17, 28, v51
	v_lshlrev_b64 v[17:18], v17, v[2:3]
	v_sub_nc_u32_e32 v18, 29, v51
	v_and_b32_e32 v17, 7, v17
; %bb.2874:                             ;   in Loop: Header=BB314_2086 Depth=1
	s_or_b32 exec_lo, exec_lo, s28
	v_lshlrev_b32_e32 v2, 8, v2
	v_lshl_add_u32 v18, v18, 10, 0x2000
	v_lshlrev_b32_e32 v17, 23, v17
	v_and_or_b32 v2, 0x8000, v2, v18
	v_lshl_or_b32 v17, v2, 16, v17
.LBB314_2875:                           ;   in Loop: Header=BB314_2086 Depth=1
	s_or_b32 exec_lo, exec_lo, s27
.LBB314_2876:                           ;   in Loop: Header=BB314_2086 Depth=1
	s_or_b32 exec_lo, exec_lo, s26
.LBB314_2877:                           ;   in Loop: Header=BB314_2086 Depth=1
	s_or_b32 exec_lo, exec_lo, s25
	v_or_b32_e32 v2, v22, v37
	s_waitcnt vmcnt(0) lgkmcnt(0)
	v_fma_mixlo_f16 v18, v5, v22, 0 op_sel:[0,1,0] op_sel_hi:[0,1,0]
	v_or_b32_e32 v22, v6, v16
	v_or_b32_e32 v37, v48, v39
	;; [unrolled: 1-line block ×3, first 2 shown]
	v_fma_mixlo_f16 v6, v5, v6, 0 op_sel:[0,1,0] op_sel_hi:[0,1,0]
	v_fma_mixlo_f16 v39, v5, v2, 0 op_sel_hi:[0,1,0]
	v_lshlrev_b32_e32 v2, 16, v18
	v_fma_mixlo_f16 v18, v5, v22, 0 op_sel_hi:[0,1,0]
	v_fma_mixlo_f16 v22, v5, v48, 0 op_sel:[0,1,0] op_sel_hi:[0,1,0]
	v_fma_mixlo_f16 v37, v5, v37, 0 op_sel_hi:[0,1,0]
	v_fma_mixlo_f16 v17, v5, v17, 0 op_sel:[0,1,0] op_sel_hi:[0,1,0]
	v_fma_mixlo_f16 v5, v5, v38, 0 op_sel_hi:[0,1,0]
	v_lshlrev_b32_e32 v16, 16, v6
	v_and_b32_e32 v6, 0xffff, v39
	v_and_b32_e32 v51, 0xffff, v18
	v_lshlrev_b32_e32 v38, 16, v22
	v_and_b32_e32 v48, 0xffff, v37
	v_lshlrev_b32_e32 v37, 16, v17
	v_and_b32_e32 v39, 0xffff, v5
	v_or_b32_e32 v5, v2, v6
	v_or_b32_e32 v22, v16, v51
	;; [unrolled: 1-line block ×4, first 2 shown]
	s_and_saveexec_b32 s12, s4
	s_cbranch_execz .LBB314_2879
; %bb.2878:                             ;   in Loop: Header=BB314_2086 Depth=1
	v_cndmask_b32_e32 v5, 0, v51, vcc_lo
	v_cndmask_b32_e64 v16, 0, v16, s7
	v_cndmask_b32_e64 v6, 0, v6, s5
	;; [unrolled: 1-line block ×7, first 2 shown]
	v_or_b32_e32 v22, v5, v16
	v_or_b32_e32 v5, v6, v2
	;; [unrolled: 1-line block ×4, first 2 shown]
.LBB314_2879:                           ;   in Loop: Header=BB314_2086 Depth=1
	s_or_b32 exec_lo, exec_lo, s12
	;;#ASMSTART
	v_pk_mul_f16 v2, v41, v22;

	;;#ASMEND
	;;#ASMSTART
	v_pk_mul_f16 v5, v40, v5;

	;;#ASMEND
	;; [unrolled: 4-line block ×4, first 2 shown]
	;;#ASMSTART
	v_pk_add_f16 v2, v2, v5;

	;;#ASMEND
	;;#ASMSTART
	v_pk_add_f16 v2, v2, v6;

	;;#ASMEND
	;; [unrolled: 4-line block ×3, first 2 shown]
	v_and_b32_e32 v5, 0xffff, v2
	v_lshrrev_b32_e32 v2, 16, v2
	;;#ASMSTART
	v_cvt_f32_f16 v38, v5;
	;;#ASMEND
	;;#ASMSTART
	v_cvt_f32_f16 v5, v2;
	;;#ASMEND
	flat_load_dwordx2 v[17:18], v[13:14] offset:1024
	flat_load_dword v6, v[26:27]
	v_mov_b32_e32 v16, 0
	v_mov_b32_e32 v22, 0
	s_waitcnt vmcnt(1) lgkmcnt(1)
	v_cmp_ne_u16_sdwa s12, v17, v3 src0_sel:BYTE_0 src1_sel:DWORD
	s_and_saveexec_b32 s25, s12
	s_cbranch_execz .LBB314_2887
; %bb.2880:                             ;   in Loop: Header=BB314_2086 Depth=1
	v_cmp_ne_u16_sdwa s12, v17, v55 src0_sel:BYTE_0 src1_sel:DWORD
	v_mov_b32_e32 v22, 0x8000
	s_and_saveexec_b32 s26, s12
	s_cbranch_execz .LBB314_2886
; %bb.2881:                             ;   in Loop: Header=BB314_2086 Depth=1
	v_and_b32_e32 v37, 0x7f, v17
	v_mov_b32_e32 v22, 0x7c01
	s_mov_b32 s27, exec_lo
	v_cmpx_ne_u32_e32 0x7f, v37
	s_cbranch_execz .LBB314_2885
; %bb.2882:                             ;   in Loop: Header=BB314_2086 Depth=1
	v_and_b32_e32 v2, 7, v17
	v_lshrrev_b32_e32 v22, 3, v37
	s_mov_b32 s28, exec_lo
	v_cmpx_gt_u32_e32 8, v37
; %bb.2883:                             ;   in Loop: Header=BB314_2086 Depth=1
	v_ffbh_u32_e32 v2, v2
	v_min_u32_e32 v2, 32, v2
	v_subrev_nc_u32_e32 v22, 28, v2
	v_lshlrev_b64 v[51:52], v22, v[17:18]
	v_sub_nc_u32_e32 v22, 29, v2
	v_and_b32_e32 v2, 7, v51
; %bb.2884:                             ;   in Loop: Header=BB314_2086 Depth=1
	s_or_b32 exec_lo, exec_lo, s28
	v_lshlrev_b32_e32 v37, 8, v17
	v_lshl_add_u32 v22, v22, 10, 0x2000
	v_lshlrev_b32_e32 v2, 7, v2
	v_and_b32_e32 v37, 0x8000, v37
	v_and_b32_e32 v22, 0xfc00, v22
	v_or3_b32 v22, v37, v22, v2
.LBB314_2885:                           ;   in Loop: Header=BB314_2086 Depth=1
	s_or_b32 exec_lo, exec_lo, s27
.LBB314_2886:                           ;   in Loop: Header=BB314_2086 Depth=1
	s_or_b32 exec_lo, exec_lo, s26
.LBB314_2887:                           ;   in Loop: Header=BB314_2086 Depth=1
	s_or_b32 exec_lo, exec_lo, s25
	v_lshrrev_b16 v2, 8, v17
	s_mov_b32 s25, exec_lo
	v_cmpx_ne_u16_e32 0, v2
	s_cbranch_execz .LBB314_2895
; %bb.2888:                             ;   in Loop: Header=BB314_2086 Depth=1
	v_bfrev_b32_e32 v16, 1
	s_mov_b32 s26, exec_lo
	v_cmpx_ne_u16_e32 0x80, v2
	s_cbranch_execz .LBB314_2894
; %bb.2889:                             ;   in Loop: Header=BB314_2086 Depth=1
	v_and_b32_sdwa v39, v2, v64 dst_sel:DWORD dst_unused:UNUSED_PAD src0_sel:WORD_0 src1_sel:DWORD
	v_mov_b32_e32 v16, 0x7c010000
	s_mov_b32 s27, exec_lo
	v_cmpx_ne_u32_e32 0x7f, v39
	s_cbranch_execz .LBB314_2893
; %bb.2890:                             ;   in Loop: Header=BB314_2086 Depth=1
	v_and_b32_sdwa v16, v2, v103 dst_sel:DWORD dst_unused:UNUSED_PAD src0_sel:WORD_0 src1_sel:DWORD
	v_lshrrev_b32_e32 v37, 3, v39
	s_mov_b32 s28, exec_lo
	v_cmpx_gt_u32_e32 8, v39
; %bb.2891:                             ;   in Loop: Header=BB314_2086 Depth=1
	v_ffbh_u32_e32 v16, v16
	v_min_u32_e32 v16, 32, v16
	v_subrev_nc_u32_e32 v37, 28, v16
	v_lshlrev_b64 v[51:52], v37, v[2:3]
	v_sub_nc_u32_e32 v37, 29, v16
	v_and_b32_e32 v16, 7, v51
; %bb.2892:                             ;   in Loop: Header=BB314_2086 Depth=1
	s_or_b32 exec_lo, exec_lo, s28
	v_lshlrev_b32_sdwa v2, v112, v2 dst_sel:DWORD dst_unused:UNUSED_PAD src0_sel:DWORD src1_sel:WORD_0
	v_lshl_add_u32 v37, v37, 10, 0x2000
	v_lshlrev_b32_e32 v16, 23, v16
	v_and_or_b32 v2, 0x8000, v2, v37
	v_lshl_or_b32 v16, v2, 16, v16
.LBB314_2893:                           ;   in Loop: Header=BB314_2086 Depth=1
	s_or_b32 exec_lo, exec_lo, s27
.LBB314_2894:                           ;   in Loop: Header=BB314_2086 Depth=1
	s_or_b32 exec_lo, exec_lo, s26
.LBB314_2895:                           ;   in Loop: Header=BB314_2086 Depth=1
	s_or_b32 exec_lo, exec_lo, s25
	v_lshrrev_b32_e32 v2, 16, v17
	v_mov_b32_e32 v37, 0
	v_mov_b32_e32 v39, 0
	v_cmp_ne_u16_sdwa s12, v2, v3 src0_sel:BYTE_0 src1_sel:DWORD
	s_and_saveexec_b32 s25, s12
	s_cbranch_execz .LBB314_2903
; %bb.2896:                             ;   in Loop: Header=BB314_2086 Depth=1
	v_cmp_ne_u16_sdwa s12, v2, v55 src0_sel:BYTE_0 src1_sel:DWORD
	v_mov_b32_e32 v39, 0x8000
	s_and_saveexec_b32 s26, s12
	s_cbranch_execz .LBB314_2902
; %bb.2897:                             ;   in Loop: Header=BB314_2086 Depth=1
	v_bfe_u32 v51, v17, 16, 7
	v_mov_b32_e32 v39, 0x7c01
	s_mov_b32 s27, exec_lo
	v_cmpx_ne_u32_e32 0x7f, v51
	s_cbranch_execz .LBB314_2901
; %bb.2898:                             ;   in Loop: Header=BB314_2086 Depth=1
	v_and_b32_e32 v39, 7, v2
	v_lshrrev_b32_e32 v48, 3, v51
	s_mov_b32 s28, exec_lo
	v_cmpx_gt_u32_e32 8, v51
; %bb.2899:                             ;   in Loop: Header=BB314_2086 Depth=1
	v_ffbh_u32_e32 v39, v39
	v_min_u32_e32 v39, 32, v39
	v_subrev_nc_u32_e32 v48, 28, v39
	v_lshlrev_b64 v[51:52], v48, v[2:3]
	v_sub_nc_u32_e32 v48, 29, v39
	v_and_b32_e32 v39, 7, v51
; %bb.2900:                             ;   in Loop: Header=BB314_2086 Depth=1
	s_or_b32 exec_lo, exec_lo, s28
	v_lshlrev_b32_e32 v2, 8, v2
	v_lshl_add_u32 v48, v48, 10, 0x2000
	v_lshlrev_b32_e32 v39, 7, v39
	v_and_b32_e32 v2, 0x8000, v2
	v_and_b32_e32 v48, 0xfc00, v48
	v_or3_b32 v39, v2, v48, v39
.LBB314_2901:                           ;   in Loop: Header=BB314_2086 Depth=1
	s_or_b32 exec_lo, exec_lo, s27
.LBB314_2902:                           ;   in Loop: Header=BB314_2086 Depth=1
	s_or_b32 exec_lo, exec_lo, s26
.LBB314_2903:                           ;   in Loop: Header=BB314_2086 Depth=1
	s_or_b32 exec_lo, exec_lo, s25
	s_mov_b32 s25, exec_lo
	v_cmpx_lt_u32_e32 0xffffff, v17
	s_cbranch_execz .LBB314_2911
; %bb.2904:                             ;   in Loop: Header=BB314_2086 Depth=1
	v_lshrrev_b32_e32 v2, 24, v17
	v_bfrev_b32_e32 v37, 1
	s_mov_b32 s26, exec_lo
	v_cmpx_ne_u32_e32 0x80, v2
	s_cbranch_execz .LBB314_2910
; %bb.2905:                             ;   in Loop: Header=BB314_2086 Depth=1
	v_and_b32_e32 v51, 0x7f, v2
	v_mov_b32_e32 v37, 0x7c010000
	s_mov_b32 s27, exec_lo
	v_cmpx_ne_u32_e32 0x7f, v51
	s_cbranch_execz .LBB314_2909
; %bb.2906:                             ;   in Loop: Header=BB314_2086 Depth=1
	v_and_b32_e32 v37, 7, v2
	v_lshrrev_b32_e32 v48, 3, v51
	s_mov_b32 s28, exec_lo
	v_cmpx_gt_u32_e32 8, v51
; %bb.2907:                             ;   in Loop: Header=BB314_2086 Depth=1
	v_ffbh_u32_e32 v37, v37
	v_min_u32_e32 v37, 32, v37
	v_subrev_nc_u32_e32 v48, 28, v37
	v_lshlrev_b64 v[51:52], v48, v[2:3]
	v_sub_nc_u32_e32 v48, 29, v37
	v_and_b32_e32 v37, 7, v51
; %bb.2908:                             ;   in Loop: Header=BB314_2086 Depth=1
	s_or_b32 exec_lo, exec_lo, s28
	v_lshlrev_b32_e32 v2, 8, v2
	v_lshl_add_u32 v48, v48, 10, 0x2000
	v_lshlrev_b32_e32 v37, 23, v37
	v_and_or_b32 v2, 0x8000, v2, v48
	v_lshl_or_b32 v37, v2, 16, v37
.LBB314_2909:                           ;   in Loop: Header=BB314_2086 Depth=1
	s_or_b32 exec_lo, exec_lo, s27
.LBB314_2910:                           ;   in Loop: Header=BB314_2086 Depth=1
	s_or_b32 exec_lo, exec_lo, s26
.LBB314_2911:                           ;   in Loop: Header=BB314_2086 Depth=1
	s_or_b32 exec_lo, exec_lo, s25
	v_mov_b32_e32 v2, v18
	v_cmp_ne_u16_sdwa s12, v18, v3 src0_sel:BYTE_0 src1_sel:DWORD
	v_mov_b32_e32 v48, 0
	v_mov_b32_e32 v51, 0
	s_and_saveexec_b32 s25, s12
	s_cbranch_execz .LBB314_2919
; %bb.2912:                             ;   in Loop: Header=BB314_2086 Depth=1
	v_cmp_ne_u16_sdwa s12, v18, v55 src0_sel:BYTE_0 src1_sel:DWORD
	v_mov_b32_e32 v51, 0x8000
	s_and_saveexec_b32 s26, s12
	s_cbranch_execz .LBB314_2918
; %bb.2913:                             ;   in Loop: Header=BB314_2086 Depth=1
	v_and_b32_e32 v53, 0x7f, v18
	v_mov_b32_e32 v51, 0x7c01
	s_mov_b32 s27, exec_lo
	v_cmpx_ne_u32_e32 0x7f, v53
	s_cbranch_execz .LBB314_2917
; %bb.2914:                             ;   in Loop: Header=BB314_2086 Depth=1
	v_and_b32_e32 v51, 7, v18
	v_lshrrev_b32_e32 v52, 3, v53
	s_mov_b32 s28, exec_lo
	v_cmpx_gt_u32_e32 8, v53
; %bb.2915:                             ;   in Loop: Header=BB314_2086 Depth=1
	v_ffbh_u32_e32 v51, v51
	v_min_u32_e32 v53, 32, v51
	v_subrev_nc_u32_e32 v51, 28, v53
	v_lshlrev_b64 v[51:52], v51, v[2:3]
	v_sub_nc_u32_e32 v52, 29, v53
	v_and_b32_e32 v51, 7, v51
; %bb.2916:                             ;   in Loop: Header=BB314_2086 Depth=1
	s_or_b32 exec_lo, exec_lo, s28
	v_lshlrev_b32_e32 v53, 8, v18
	v_lshl_add_u32 v52, v52, 10, 0x2000
	v_lshlrev_b32_e32 v51, 7, v51
	v_and_b32_e32 v53, 0x8000, v53
	v_and_b32_e32 v52, 0xfc00, v52
	v_or3_b32 v51, v53, v52, v51
.LBB314_2917:                           ;   in Loop: Header=BB314_2086 Depth=1
	s_or_b32 exec_lo, exec_lo, s27
.LBB314_2918:                           ;   in Loop: Header=BB314_2086 Depth=1
	s_or_b32 exec_lo, exec_lo, s26
.LBB314_2919:                           ;   in Loop: Header=BB314_2086 Depth=1
	s_or_b32 exec_lo, exec_lo, s25
	v_lshrrev_b16 v2, 8, v2
	v_mov_b32_e32 v52, 0
	s_mov_b32 s25, exec_lo
	v_cmpx_ne_u16_e32 0, v2
	s_cbranch_execz .LBB314_2927
; %bb.2920:                             ;   in Loop: Header=BB314_2086 Depth=1
	v_bfrev_b32_e32 v52, 1
	s_mov_b32 s26, exec_lo
	v_cmpx_ne_u16_e32 0x80, v2
	s_cbranch_execz .LBB314_2926
; %bb.2921:                             ;   in Loop: Header=BB314_2086 Depth=1
	v_and_b32_sdwa v54, v2, v64 dst_sel:DWORD dst_unused:UNUSED_PAD src0_sel:WORD_0 src1_sel:DWORD
	v_mov_b32_e32 v52, 0x7c010000
	s_mov_b32 s27, exec_lo
	v_cmpx_ne_u32_e32 0x7f, v54
	s_cbranch_execz .LBB314_2925
; %bb.2922:                             ;   in Loop: Header=BB314_2086 Depth=1
	v_and_b32_sdwa v52, v2, v103 dst_sel:DWORD dst_unused:UNUSED_PAD src0_sel:WORD_0 src1_sel:DWORD
	v_lshrrev_b32_e32 v53, 3, v54
	s_mov_b32 s28, exec_lo
	v_cmpx_gt_u32_e32 8, v54
; %bb.2923:                             ;   in Loop: Header=BB314_2086 Depth=1
	v_ffbh_u32_e32 v52, v52
	v_min_u32_e32 v54, 32, v52
	v_subrev_nc_u32_e32 v52, 28, v54
	v_lshlrev_b64 v[52:53], v52, v[2:3]
	v_sub_nc_u32_e32 v53, 29, v54
	v_and_b32_e32 v52, 7, v52
; %bb.2924:                             ;   in Loop: Header=BB314_2086 Depth=1
	s_or_b32 exec_lo, exec_lo, s28
	v_lshlrev_b32_sdwa v2, v112, v2 dst_sel:DWORD dst_unused:UNUSED_PAD src0_sel:DWORD src1_sel:WORD_0
	v_lshl_add_u32 v53, v53, 10, 0x2000
	v_lshlrev_b32_e32 v52, 23, v52
	v_and_or_b32 v2, 0x8000, v2, v53
	v_lshl_or_b32 v52, v2, 16, v52
.LBB314_2925:                           ;   in Loop: Header=BB314_2086 Depth=1
	s_or_b32 exec_lo, exec_lo, s27
.LBB314_2926:                           ;   in Loop: Header=BB314_2086 Depth=1
	s_or_b32 exec_lo, exec_lo, s26
.LBB314_2927:                           ;   in Loop: Header=BB314_2086 Depth=1
	s_or_b32 exec_lo, exec_lo, s25
	v_lshrrev_b32_e32 v2, 16, v18
	v_cmp_ne_u16_sdwa s12, v2, v3 src0_sel:BYTE_0 src1_sel:DWORD
	s_and_saveexec_b32 s25, s12
	s_cbranch_execz .LBB314_2935
; %bb.2928:                             ;   in Loop: Header=BB314_2086 Depth=1
	v_cmp_ne_u16_sdwa s12, v2, v55 src0_sel:BYTE_0 src1_sel:DWORD
	v_mov_b32_e32 v48, 0x8000
	s_and_saveexec_b32 s26, s12
	s_cbranch_execz .LBB314_2934
; %bb.2929:                             ;   in Loop: Header=BB314_2086 Depth=1
	v_bfe_u32 v54, v18, 16, 7
	v_mov_b32_e32 v48, 0x7c01
	s_mov_b32 s27, exec_lo
	v_cmpx_ne_u32_e32 0x7f, v54
	s_cbranch_execz .LBB314_2933
; %bb.2930:                             ;   in Loop: Header=BB314_2086 Depth=1
	v_and_b32_e32 v48, 7, v2
	v_lshrrev_b32_e32 v53, 3, v54
	s_mov_b32 s28, exec_lo
	v_cmpx_gt_u32_e32 8, v54
; %bb.2931:                             ;   in Loop: Header=BB314_2086 Depth=1
	v_ffbh_u32_e32 v48, v48
	v_min_u32_e32 v48, 32, v48
	v_subrev_nc_u32_e32 v53, 28, v48
	v_lshlrev_b64 v[113:114], v53, v[2:3]
	v_sub_nc_u32_e32 v53, 29, v48
	v_and_b32_e32 v48, 7, v113
; %bb.2932:                             ;   in Loop: Header=BB314_2086 Depth=1
	s_or_b32 exec_lo, exec_lo, s28
	v_lshlrev_b32_e32 v2, 8, v2
	v_lshl_add_u32 v53, v53, 10, 0x2000
	v_lshlrev_b32_e32 v48, 7, v48
	v_and_b32_e32 v2, 0x8000, v2
	v_and_b32_e32 v53, 0xfc00, v53
	v_or3_b32 v48, v2, v53, v48
.LBB314_2933:                           ;   in Loop: Header=BB314_2086 Depth=1
	s_or_b32 exec_lo, exec_lo, s27
.LBB314_2934:                           ;   in Loop: Header=BB314_2086 Depth=1
	s_or_b32 exec_lo, exec_lo, s26
.LBB314_2935:                           ;   in Loop: Header=BB314_2086 Depth=1
	s_or_b32 exec_lo, exec_lo, s25
	v_cmp_lt_u64_e64 s12, s[22:23], v[17:18]
	v_mov_b32_e32 v17, 0
	s_and_saveexec_b32 s25, s12
	s_cbranch_execz .LBB314_2943
; %bb.2936:                             ;   in Loop: Header=BB314_2086 Depth=1
	v_lshrrev_b32_e32 v2, 24, v18
	v_bfrev_b32_e32 v17, 1
	s_mov_b32 s26, exec_lo
	v_cmpx_ne_u32_e32 0x80, v2
	s_cbranch_execz .LBB314_2942
; %bb.2937:                             ;   in Loop: Header=BB314_2086 Depth=1
	v_and_b32_e32 v53, 0x7f, v2
	v_mov_b32_e32 v17, 0x7c010000
	s_mov_b32 s27, exec_lo
	v_cmpx_ne_u32_e32 0x7f, v53
	s_cbranch_execz .LBB314_2941
; %bb.2938:                             ;   in Loop: Header=BB314_2086 Depth=1
	v_and_b32_e32 v17, 7, v2
	v_lshrrev_b32_e32 v18, 3, v53
	s_mov_b32 s28, exec_lo
	v_cmpx_gt_u32_e32 8, v53
; %bb.2939:                             ;   in Loop: Header=BB314_2086 Depth=1
	v_ffbh_u32_e32 v17, v17
	v_min_u32_e32 v53, 32, v17
	v_subrev_nc_u32_e32 v17, 28, v53
	v_lshlrev_b64 v[17:18], v17, v[2:3]
	v_sub_nc_u32_e32 v18, 29, v53
	v_and_b32_e32 v17, 7, v17
; %bb.2940:                             ;   in Loop: Header=BB314_2086 Depth=1
	s_or_b32 exec_lo, exec_lo, s28
	v_lshlrev_b32_e32 v2, 8, v2
	v_lshl_add_u32 v18, v18, 10, 0x2000
	v_lshlrev_b32_e32 v17, 23, v17
	v_and_or_b32 v2, 0x8000, v2, v18
	v_lshl_or_b32 v17, v2, 16, v17
.LBB314_2941:                           ;   in Loop: Header=BB314_2086 Depth=1
	s_or_b32 exec_lo, exec_lo, s27
.LBB314_2942:                           ;   in Loop: Header=BB314_2086 Depth=1
	s_or_b32 exec_lo, exec_lo, s26
.LBB314_2943:                           ;   in Loop: Header=BB314_2086 Depth=1
	s_or_b32 exec_lo, exec_lo, s25
	v_or_b32_e32 v2, v37, v39
	s_waitcnt vmcnt(0) lgkmcnt(0)
	v_fma_mixlo_f16 v18, v6, v37, 0 op_sel:[0,1,0] op_sel_hi:[0,1,0]
	v_or_b32_e32 v22, v16, v22
	v_fma_mixlo_f16 v16, v6, v16, 0 op_sel:[0,1,0] op_sel_hi:[0,1,0]
	v_or_b32_e32 v37, v52, v51
	v_fma_mixlo_f16 v39, v6, v2, 0 op_sel_hi:[0,1,0]
	v_or_b32_e32 v48, v17, v48
	v_lshlrev_b32_e32 v2, 16, v18
	v_lshlrev_b32_e32 v18, 16, v16
	v_fma_mixlo_f16 v22, v6, v22, 0 op_sel_hi:[0,1,0]
	v_and_b32_e32 v16, 0xffff, v39
	v_fma_mixlo_f16 v39, v6, v52, 0 op_sel:[0,1,0] op_sel_hi:[0,1,0]
	v_fma_mixlo_f16 v37, v6, v37, 0 op_sel_hi:[0,1,0]
	v_fma_mixlo_f16 v17, v6, v17, 0 op_sel:[0,1,0] op_sel_hi:[0,1,0]
	v_fma_mixlo_f16 v6, v6, v48, 0 op_sel_hi:[0,1,0]
	v_and_b32_e32 v53, 0xffff, v22
	v_lshlrev_b32_e32 v48, 16, v39
	v_and_b32_e32 v52, 0xffff, v37
	v_lshlrev_b32_e32 v39, 16, v17
	v_and_b32_e32 v51, 0xffff, v6
	v_or_b32_e32 v6, v2, v16
	v_or_b32_e32 v37, v18, v53
	;; [unrolled: 1-line block ×4, first 2 shown]
	s_and_saveexec_b32 s12, s4
	s_cbranch_execz .LBB314_2945
; %bb.2944:                             ;   in Loop: Header=BB314_2086 Depth=1
	v_cndmask_b32_e32 v6, 0, v53, vcc_lo
	v_cndmask_b32_e64 v17, 0, v18, s7
	v_cndmask_b32_e64 v16, 0, v16, s5
	;; [unrolled: 1-line block ×7, first 2 shown]
	v_or_b32_e32 v37, v6, v17
	v_or_b32_e32 v6, v16, v2
	;; [unrolled: 1-line block ×4, first 2 shown]
.LBB314_2945:                           ;   in Loop: Header=BB314_2086 Depth=1
	s_or_b32 exec_lo, exec_lo, s12
	;;#ASMSTART
	v_pk_mul_f16 v2, v41, v37;

	;;#ASMEND
	;;#ASMSTART
	v_pk_mul_f16 v6, v40, v6;

	;;#ASMEND
	;; [unrolled: 4-line block ×4, first 2 shown]
	;;#ASMSTART
	v_pk_add_f16 v2, v2, v6;

	;;#ASMEND
	;;#ASMSTART
	v_pk_add_f16 v2, v2, v16;

	;;#ASMEND
	;; [unrolled: 4-line block ×3, first 2 shown]
	v_and_b32_e32 v6, 0xffff, v2
	v_lshrrev_b32_e32 v2, 16, v2
	;;#ASMSTART
	v_cvt_f32_f16 v16, v6;
	;;#ASMEND
	;;#ASMSTART
	v_cvt_f32_f16 v72, v2;
	;;#ASMEND
	flat_load_dwordx2 v[17:18], v[13:14] offset:1280
	flat_load_dword v6, v[26:27]
	v_mov_b32_e32 v22, 0
	v_mov_b32_e32 v37, 0
	s_waitcnt vmcnt(1) lgkmcnt(1)
	v_cmp_ne_u16_sdwa s12, v17, v3 src0_sel:BYTE_0 src1_sel:DWORD
	s_and_saveexec_b32 s25, s12
	s_cbranch_execz .LBB314_2953
; %bb.2946:                             ;   in Loop: Header=BB314_2086 Depth=1
	v_cmp_ne_u16_sdwa s12, v17, v55 src0_sel:BYTE_0 src1_sel:DWORD
	v_mov_b32_e32 v37, 0x8000
	s_and_saveexec_b32 s26, s12
	s_cbranch_execz .LBB314_2952
; %bb.2947:                             ;   in Loop: Header=BB314_2086 Depth=1
	v_and_b32_e32 v39, 0x7f, v17
	v_mov_b32_e32 v37, 0x7c01
	s_mov_b32 s27, exec_lo
	v_cmpx_ne_u32_e32 0x7f, v39
	s_cbranch_execz .LBB314_2951
; %bb.2948:                             ;   in Loop: Header=BB314_2086 Depth=1
	v_and_b32_e32 v2, 7, v17
	v_lshrrev_b32_e32 v37, 3, v39
	s_mov_b32 s28, exec_lo
	v_cmpx_gt_u32_e32 8, v39
; %bb.2949:                             ;   in Loop: Header=BB314_2086 Depth=1
	v_ffbh_u32_e32 v2, v2
	v_min_u32_e32 v2, 32, v2
	v_subrev_nc_u32_e32 v37, 28, v2
	v_lshlrev_b64 v[51:52], v37, v[17:18]
	v_sub_nc_u32_e32 v37, 29, v2
	v_and_b32_e32 v2, 7, v51
; %bb.2950:                             ;   in Loop: Header=BB314_2086 Depth=1
	s_or_b32 exec_lo, exec_lo, s28
	v_lshlrev_b32_e32 v39, 8, v17
	v_lshl_add_u32 v37, v37, 10, 0x2000
	v_lshlrev_b32_e32 v2, 7, v2
	v_and_b32_e32 v39, 0x8000, v39
	v_and_b32_e32 v37, 0xfc00, v37
	v_or3_b32 v37, v39, v37, v2
.LBB314_2951:                           ;   in Loop: Header=BB314_2086 Depth=1
	s_or_b32 exec_lo, exec_lo, s27
.LBB314_2952:                           ;   in Loop: Header=BB314_2086 Depth=1
	s_or_b32 exec_lo, exec_lo, s26
.LBB314_2953:                           ;   in Loop: Header=BB314_2086 Depth=1
	s_or_b32 exec_lo, exec_lo, s25
	v_lshrrev_b16 v2, 8, v17
	s_mov_b32 s25, exec_lo
	v_cmpx_ne_u16_e32 0, v2
	s_cbranch_execz .LBB314_2961
; %bb.2954:                             ;   in Loop: Header=BB314_2086 Depth=1
	v_bfrev_b32_e32 v22, 1
	s_mov_b32 s26, exec_lo
	v_cmpx_ne_u16_e32 0x80, v2
	s_cbranch_execz .LBB314_2960
; %bb.2955:                             ;   in Loop: Header=BB314_2086 Depth=1
	v_and_b32_sdwa v48, v2, v64 dst_sel:DWORD dst_unused:UNUSED_PAD src0_sel:WORD_0 src1_sel:DWORD
	v_mov_b32_e32 v22, 0x7c010000
	s_mov_b32 s27, exec_lo
	v_cmpx_ne_u32_e32 0x7f, v48
	s_cbranch_execz .LBB314_2959
; %bb.2956:                             ;   in Loop: Header=BB314_2086 Depth=1
	v_and_b32_sdwa v22, v2, v103 dst_sel:DWORD dst_unused:UNUSED_PAD src0_sel:WORD_0 src1_sel:DWORD
	v_lshrrev_b32_e32 v39, 3, v48
	s_mov_b32 s28, exec_lo
	v_cmpx_gt_u32_e32 8, v48
; %bb.2957:                             ;   in Loop: Header=BB314_2086 Depth=1
	v_ffbh_u32_e32 v22, v22
	v_min_u32_e32 v22, 32, v22
	v_subrev_nc_u32_e32 v39, 28, v22
	v_lshlrev_b64 v[51:52], v39, v[2:3]
	v_sub_nc_u32_e32 v39, 29, v22
	v_and_b32_e32 v22, 7, v51
; %bb.2958:                             ;   in Loop: Header=BB314_2086 Depth=1
	s_or_b32 exec_lo, exec_lo, s28
	v_lshlrev_b32_sdwa v2, v112, v2 dst_sel:DWORD dst_unused:UNUSED_PAD src0_sel:DWORD src1_sel:WORD_0
	v_lshl_add_u32 v39, v39, 10, 0x2000
	v_lshlrev_b32_e32 v22, 23, v22
	v_and_or_b32 v2, 0x8000, v2, v39
	v_lshl_or_b32 v22, v2, 16, v22
.LBB314_2959:                           ;   in Loop: Header=BB314_2086 Depth=1
	s_or_b32 exec_lo, exec_lo, s27
.LBB314_2960:                           ;   in Loop: Header=BB314_2086 Depth=1
	s_or_b32 exec_lo, exec_lo, s26
.LBB314_2961:                           ;   in Loop: Header=BB314_2086 Depth=1
	s_or_b32 exec_lo, exec_lo, s25
	v_lshrrev_b32_e32 v2, 16, v17
	v_mov_b32_e32 v39, 0
	v_mov_b32_e32 v48, 0
	v_cmp_ne_u16_sdwa s12, v2, v3 src0_sel:BYTE_0 src1_sel:DWORD
	s_and_saveexec_b32 s25, s12
	s_cbranch_execz .LBB314_2969
; %bb.2962:                             ;   in Loop: Header=BB314_2086 Depth=1
	v_cmp_ne_u16_sdwa s12, v2, v55 src0_sel:BYTE_0 src1_sel:DWORD
	v_mov_b32_e32 v48, 0x8000
	s_and_saveexec_b32 s26, s12
	s_cbranch_execz .LBB314_2968
; %bb.2963:                             ;   in Loop: Header=BB314_2086 Depth=1
	v_bfe_u32 v52, v17, 16, 7
	v_mov_b32_e32 v48, 0x7c01
	s_mov_b32 s27, exec_lo
	v_cmpx_ne_u32_e32 0x7f, v52
	s_cbranch_execz .LBB314_2967
; %bb.2964:                             ;   in Loop: Header=BB314_2086 Depth=1
	v_and_b32_e32 v48, 7, v2
	v_lshrrev_b32_e32 v51, 3, v52
	s_mov_b32 s28, exec_lo
	v_cmpx_gt_u32_e32 8, v52
; %bb.2965:                             ;   in Loop: Header=BB314_2086 Depth=1
	v_ffbh_u32_e32 v48, v48
	v_min_u32_e32 v48, 32, v48
	v_subrev_nc_u32_e32 v51, 28, v48
	v_lshlrev_b64 v[52:53], v51, v[2:3]
	v_sub_nc_u32_e32 v51, 29, v48
	v_and_b32_e32 v48, 7, v52
; %bb.2966:                             ;   in Loop: Header=BB314_2086 Depth=1
	s_or_b32 exec_lo, exec_lo, s28
	v_lshlrev_b32_e32 v2, 8, v2
	v_lshl_add_u32 v51, v51, 10, 0x2000
	v_lshlrev_b32_e32 v48, 7, v48
	v_and_b32_e32 v2, 0x8000, v2
	v_and_b32_e32 v51, 0xfc00, v51
	v_or3_b32 v48, v2, v51, v48
.LBB314_2967:                           ;   in Loop: Header=BB314_2086 Depth=1
	s_or_b32 exec_lo, exec_lo, s27
.LBB314_2968:                           ;   in Loop: Header=BB314_2086 Depth=1
	s_or_b32 exec_lo, exec_lo, s26
.LBB314_2969:                           ;   in Loop: Header=BB314_2086 Depth=1
	s_or_b32 exec_lo, exec_lo, s25
	s_mov_b32 s25, exec_lo
	v_cmpx_lt_u32_e32 0xffffff, v17
	s_cbranch_execz .LBB314_2977
; %bb.2970:                             ;   in Loop: Header=BB314_2086 Depth=1
	v_lshrrev_b32_e32 v2, 24, v17
	v_bfrev_b32_e32 v39, 1
	s_mov_b32 s26, exec_lo
	v_cmpx_ne_u32_e32 0x80, v2
	s_cbranch_execz .LBB314_2976
; %bb.2971:                             ;   in Loop: Header=BB314_2086 Depth=1
	v_and_b32_e32 v52, 0x7f, v2
	v_mov_b32_e32 v39, 0x7c010000
	s_mov_b32 s27, exec_lo
	v_cmpx_ne_u32_e32 0x7f, v52
	s_cbranch_execz .LBB314_2975
; %bb.2972:                             ;   in Loop: Header=BB314_2086 Depth=1
	v_and_b32_e32 v39, 7, v2
	v_lshrrev_b32_e32 v51, 3, v52
	s_mov_b32 s28, exec_lo
	v_cmpx_gt_u32_e32 8, v52
; %bb.2973:                             ;   in Loop: Header=BB314_2086 Depth=1
	v_ffbh_u32_e32 v39, v39
	v_min_u32_e32 v39, 32, v39
	v_subrev_nc_u32_e32 v51, 28, v39
	v_lshlrev_b64 v[52:53], v51, v[2:3]
	v_sub_nc_u32_e32 v51, 29, v39
	v_and_b32_e32 v39, 7, v52
; %bb.2974:                             ;   in Loop: Header=BB314_2086 Depth=1
	s_or_b32 exec_lo, exec_lo, s28
	v_lshlrev_b32_e32 v2, 8, v2
	v_lshl_add_u32 v51, v51, 10, 0x2000
	v_lshlrev_b32_e32 v39, 23, v39
	v_and_or_b32 v2, 0x8000, v2, v51
	v_lshl_or_b32 v39, v2, 16, v39
.LBB314_2975:                           ;   in Loop: Header=BB314_2086 Depth=1
	s_or_b32 exec_lo, exec_lo, s27
.LBB314_2976:                           ;   in Loop: Header=BB314_2086 Depth=1
	s_or_b32 exec_lo, exec_lo, s26
.LBB314_2977:                           ;   in Loop: Header=BB314_2086 Depth=1
	s_or_b32 exec_lo, exec_lo, s25
	v_mov_b32_e32 v2, v18
	v_cmp_ne_u16_sdwa s12, v18, v3 src0_sel:BYTE_0 src1_sel:DWORD
	v_mov_b32_e32 v51, 0
	v_mov_b32_e32 v52, 0
	s_and_saveexec_b32 s25, s12
	s_cbranch_execz .LBB314_2985
; %bb.2978:                             ;   in Loop: Header=BB314_2086 Depth=1
	v_cmp_ne_u16_sdwa s12, v18, v55 src0_sel:BYTE_0 src1_sel:DWORD
	v_mov_b32_e32 v52, 0x8000
	s_and_saveexec_b32 s26, s12
	s_cbranch_execz .LBB314_2984
; %bb.2979:                             ;   in Loop: Header=BB314_2086 Depth=1
	v_and_b32_e32 v54, 0x7f, v18
	v_mov_b32_e32 v52, 0x7c01
	s_mov_b32 s27, exec_lo
	v_cmpx_ne_u32_e32 0x7f, v54
	s_cbranch_execz .LBB314_2983
; %bb.2980:                             ;   in Loop: Header=BB314_2086 Depth=1
	v_and_b32_e32 v52, 7, v18
	v_lshrrev_b32_e32 v53, 3, v54
	s_mov_b32 s28, exec_lo
	v_cmpx_gt_u32_e32 8, v54
; %bb.2981:                             ;   in Loop: Header=BB314_2086 Depth=1
	v_ffbh_u32_e32 v52, v52
	v_min_u32_e32 v54, 32, v52
	v_subrev_nc_u32_e32 v52, 28, v54
	v_lshlrev_b64 v[52:53], v52, v[2:3]
	v_sub_nc_u32_e32 v53, 29, v54
	v_and_b32_e32 v52, 7, v52
; %bb.2982:                             ;   in Loop: Header=BB314_2086 Depth=1
	s_or_b32 exec_lo, exec_lo, s28
	v_lshlrev_b32_e32 v54, 8, v18
	v_lshl_add_u32 v53, v53, 10, 0x2000
	v_lshlrev_b32_e32 v52, 7, v52
	v_and_b32_e32 v54, 0x8000, v54
	v_and_b32_e32 v53, 0xfc00, v53
	v_or3_b32 v52, v54, v53, v52
.LBB314_2983:                           ;   in Loop: Header=BB314_2086 Depth=1
	s_or_b32 exec_lo, exec_lo, s27
.LBB314_2984:                           ;   in Loop: Header=BB314_2086 Depth=1
	s_or_b32 exec_lo, exec_lo, s26
.LBB314_2985:                           ;   in Loop: Header=BB314_2086 Depth=1
	s_or_b32 exec_lo, exec_lo, s25
	v_lshrrev_b16 v2, 8, v2
	v_mov_b32_e32 v53, 0
	s_mov_b32 s25, exec_lo
	v_cmpx_ne_u16_e32 0, v2
	s_cbranch_execz .LBB314_2993
; %bb.2986:                             ;   in Loop: Header=BB314_2086 Depth=1
	v_bfrev_b32_e32 v53, 1
	s_mov_b32 s26, exec_lo
	v_cmpx_ne_u16_e32 0x80, v2
	s_cbranch_execz .LBB314_2992
; %bb.2987:                             ;   in Loop: Header=BB314_2086 Depth=1
	v_and_b32_sdwa v67, v2, v64 dst_sel:DWORD dst_unused:UNUSED_PAD src0_sel:WORD_0 src1_sel:DWORD
	v_mov_b32_e32 v53, 0x7c010000
	s_mov_b32 s27, exec_lo
	v_cmpx_ne_u32_e32 0x7f, v67
	s_cbranch_execz .LBB314_2991
; %bb.2988:                             ;   in Loop: Header=BB314_2086 Depth=1
	v_and_b32_sdwa v53, v2, v103 dst_sel:DWORD dst_unused:UNUSED_PAD src0_sel:WORD_0 src1_sel:DWORD
	v_lshrrev_b32_e32 v54, 3, v67
	s_mov_b32 s28, exec_lo
	v_cmpx_gt_u32_e32 8, v67
; %bb.2989:                             ;   in Loop: Header=BB314_2086 Depth=1
	v_ffbh_u32_e32 v53, v53
	v_min_u32_e32 v67, 32, v53
	v_subrev_nc_u32_e32 v53, 28, v67
	v_lshlrev_b64 v[53:54], v53, v[2:3]
	v_sub_nc_u32_e32 v54, 29, v67
	v_and_b32_e32 v53, 7, v53
; %bb.2990:                             ;   in Loop: Header=BB314_2086 Depth=1
	s_or_b32 exec_lo, exec_lo, s28
	v_lshlrev_b32_sdwa v2, v112, v2 dst_sel:DWORD dst_unused:UNUSED_PAD src0_sel:DWORD src1_sel:WORD_0
	v_lshl_add_u32 v54, v54, 10, 0x2000
	v_lshlrev_b32_e32 v53, 23, v53
	v_and_or_b32 v2, 0x8000, v2, v54
	v_lshl_or_b32 v53, v2, 16, v53
.LBB314_2991:                           ;   in Loop: Header=BB314_2086 Depth=1
	s_or_b32 exec_lo, exec_lo, s27
.LBB314_2992:                           ;   in Loop: Header=BB314_2086 Depth=1
	s_or_b32 exec_lo, exec_lo, s26
.LBB314_2993:                           ;   in Loop: Header=BB314_2086 Depth=1
	s_or_b32 exec_lo, exec_lo, s25
	v_lshrrev_b32_e32 v2, 16, v18
	v_cmp_ne_u16_sdwa s12, v2, v3 src0_sel:BYTE_0 src1_sel:DWORD
	s_and_saveexec_b32 s25, s12
	s_cbranch_execz .LBB314_3001
; %bb.2994:                             ;   in Loop: Header=BB314_2086 Depth=1
	v_cmp_ne_u16_sdwa s12, v2, v55 src0_sel:BYTE_0 src1_sel:DWORD
	v_mov_b32_e32 v51, 0x8000
	s_and_saveexec_b32 s26, s12
	s_cbranch_execz .LBB314_3000
; %bb.2995:                             ;   in Loop: Header=BB314_2086 Depth=1
	v_bfe_u32 v67, v18, 16, 7
	v_mov_b32_e32 v51, 0x7c01
	s_mov_b32 s27, exec_lo
	v_cmpx_ne_u32_e32 0x7f, v67
	s_cbranch_execz .LBB314_2999
; %bb.2996:                             ;   in Loop: Header=BB314_2086 Depth=1
	v_and_b32_e32 v51, 7, v2
	v_lshrrev_b32_e32 v54, 3, v67
	s_mov_b32 s28, exec_lo
	v_cmpx_gt_u32_e32 8, v67
; %bb.2997:                             ;   in Loop: Header=BB314_2086 Depth=1
	v_ffbh_u32_e32 v51, v51
	v_min_u32_e32 v51, 32, v51
	v_subrev_nc_u32_e32 v54, 28, v51
	v_lshlrev_b64 v[113:114], v54, v[2:3]
	v_sub_nc_u32_e32 v54, 29, v51
	v_and_b32_e32 v51, 7, v113
; %bb.2998:                             ;   in Loop: Header=BB314_2086 Depth=1
	s_or_b32 exec_lo, exec_lo, s28
	v_lshlrev_b32_e32 v2, 8, v2
	v_lshl_add_u32 v54, v54, 10, 0x2000
	v_lshlrev_b32_e32 v51, 7, v51
	v_and_b32_e32 v2, 0x8000, v2
	v_and_b32_e32 v54, 0xfc00, v54
	v_or3_b32 v51, v2, v54, v51
.LBB314_2999:                           ;   in Loop: Header=BB314_2086 Depth=1
	s_or_b32 exec_lo, exec_lo, s27
.LBB314_3000:                           ;   in Loop: Header=BB314_2086 Depth=1
	s_or_b32 exec_lo, exec_lo, s26
.LBB314_3001:                           ;   in Loop: Header=BB314_2086 Depth=1
	s_or_b32 exec_lo, exec_lo, s25
	v_cmp_lt_u64_e64 s12, s[22:23], v[17:18]
	v_mov_b32_e32 v17, 0
	s_and_saveexec_b32 s25, s12
	s_cbranch_execz .LBB314_3009
; %bb.3002:                             ;   in Loop: Header=BB314_2086 Depth=1
	v_lshrrev_b32_e32 v2, 24, v18
	v_bfrev_b32_e32 v17, 1
	s_mov_b32 s26, exec_lo
	v_cmpx_ne_u32_e32 0x80, v2
	s_cbranch_execz .LBB314_3008
; %bb.3003:                             ;   in Loop: Header=BB314_2086 Depth=1
	v_and_b32_e32 v54, 0x7f, v2
	v_mov_b32_e32 v17, 0x7c010000
	s_mov_b32 s27, exec_lo
	v_cmpx_ne_u32_e32 0x7f, v54
	s_cbranch_execz .LBB314_3007
; %bb.3004:                             ;   in Loop: Header=BB314_2086 Depth=1
	v_and_b32_e32 v17, 7, v2
	v_lshrrev_b32_e32 v18, 3, v54
	s_mov_b32 s28, exec_lo
	v_cmpx_gt_u32_e32 8, v54
; %bb.3005:                             ;   in Loop: Header=BB314_2086 Depth=1
	v_ffbh_u32_e32 v17, v17
	v_min_u32_e32 v54, 32, v17
	v_subrev_nc_u32_e32 v17, 28, v54
	v_lshlrev_b64 v[17:18], v17, v[2:3]
	v_sub_nc_u32_e32 v18, 29, v54
	v_and_b32_e32 v17, 7, v17
; %bb.3006:                             ;   in Loop: Header=BB314_2086 Depth=1
	s_or_b32 exec_lo, exec_lo, s28
	v_lshlrev_b32_e32 v2, 8, v2
	v_lshl_add_u32 v18, v18, 10, 0x2000
	v_lshlrev_b32_e32 v17, 23, v17
	v_and_or_b32 v2, 0x8000, v2, v18
	v_lshl_or_b32 v17, v2, 16, v17
.LBB314_3007:                           ;   in Loop: Header=BB314_2086 Depth=1
	s_or_b32 exec_lo, exec_lo, s27
.LBB314_3008:                           ;   in Loop: Header=BB314_2086 Depth=1
	s_or_b32 exec_lo, exec_lo, s26
.LBB314_3009:                           ;   in Loop: Header=BB314_2086 Depth=1
	s_or_b32 exec_lo, exec_lo, s25
	v_or_b32_e32 v2, v39, v48
	s_waitcnt vmcnt(0) lgkmcnt(0)
	v_fma_mixlo_f16 v18, v6, v39, 0 op_sel:[0,1,0] op_sel_hi:[0,1,0]
	v_or_b32_e32 v37, v22, v37
	v_or_b32_e32 v39, v53, v52
	;; [unrolled: 1-line block ×3, first 2 shown]
	v_fma_mixlo_f16 v48, v6, v2, 0 op_sel_hi:[0,1,0]
	v_fma_mixlo_f16 v22, v6, v22, 0 op_sel:[0,1,0] op_sel_hi:[0,1,0]
	v_lshlrev_b32_e32 v2, 16, v18
	v_fma_mixlo_f16 v37, v6, v37, 0 op_sel_hi:[0,1,0]
	v_fma_mixlo_f16 v39, v6, v39, 0 op_sel_hi:[0,1,0]
	v_and_b32_e32 v18, 0xffff, v48
	v_fma_mixlo_f16 v48, v6, v53, 0 op_sel:[0,1,0] op_sel_hi:[0,1,0]
	v_fma_mixlo_f16 v17, v6, v17, 0 op_sel:[0,1,0] op_sel_hi:[0,1,0]
	v_fma_mixlo_f16 v6, v6, v51, 0 op_sel_hi:[0,1,0]
	v_lshlrev_b32_e32 v22, 16, v22
	v_and_b32_e32 v54, 0xffff, v37
	v_lshlrev_b32_e32 v51, 16, v48
	v_and_b32_e32 v53, 0xffff, v39
	;; [unrolled: 2-line block ×3, first 2 shown]
	v_or_b32_e32 v6, v2, v18
	v_or_b32_e32 v39, v22, v54
	;; [unrolled: 1-line block ×4, first 2 shown]
	s_and_saveexec_b32 s12, s4
	s_cbranch_execz .LBB314_3011
; %bb.3010:                             ;   in Loop: Header=BB314_2086 Depth=1
	v_cndmask_b32_e32 v6, 0, v54, vcc_lo
	v_cndmask_b32_e64 v17, 0, v22, s7
	v_cndmask_b32_e64 v18, 0, v18, s5
	;; [unrolled: 1-line block ×7, first 2 shown]
	v_or_b32_e32 v39, v6, v17
	v_or_b32_e32 v6, v18, v2
	;; [unrolled: 1-line block ×4, first 2 shown]
.LBB314_3011:                           ;   in Loop: Header=BB314_2086 Depth=1
	s_or_b32 exec_lo, exec_lo, s12
	;;#ASMSTART
	v_pk_mul_f16 v2, v41, v39;

	;;#ASMEND
	;;#ASMSTART
	v_pk_mul_f16 v6, v40, v6;

	;;#ASMEND
	;; [unrolled: 4-line block ×4, first 2 shown]
	;;#ASMSTART
	v_pk_add_f16 v2, v2, v6;

	;;#ASMEND
	;;#ASMSTART
	v_pk_add_f16 v2, v2, v18;

	;;#ASMEND
	;; [unrolled: 4-line block ×3, first 2 shown]
	v_and_b32_e32 v6, 0xffff, v2
	v_lshrrev_b32_e32 v2, 16, v2
	;;#ASMSTART
	v_cvt_f32_f16 v22, v6;
	;;#ASMEND
	;;#ASMSTART
	v_cvt_f32_f16 v37, v2;
	;;#ASMEND
	flat_load_dwordx2 v[17:18], v[13:14] offset:1536
	flat_load_dword v6, v[26:27]
	v_mov_b32_e32 v39, 0
	v_mov_b32_e32 v48, 0
	s_waitcnt vmcnt(1) lgkmcnt(1)
	v_cmp_ne_u16_sdwa s12, v17, v3 src0_sel:BYTE_0 src1_sel:DWORD
	s_and_saveexec_b32 s25, s12
	s_cbranch_execz .LBB314_3019
; %bb.3012:                             ;   in Loop: Header=BB314_2086 Depth=1
	v_cmp_ne_u16_sdwa s12, v17, v55 src0_sel:BYTE_0 src1_sel:DWORD
	v_mov_b32_e32 v48, 0x8000
	s_and_saveexec_b32 s26, s12
	s_cbranch_execz .LBB314_3018
; %bb.3013:                             ;   in Loop: Header=BB314_2086 Depth=1
	v_and_b32_e32 v51, 0x7f, v17
	v_mov_b32_e32 v48, 0x7c01
	s_mov_b32 s27, exec_lo
	v_cmpx_ne_u32_e32 0x7f, v51
	s_cbranch_execz .LBB314_3017
; %bb.3014:                             ;   in Loop: Header=BB314_2086 Depth=1
	v_and_b32_e32 v2, 7, v17
	v_lshrrev_b32_e32 v48, 3, v51
	s_mov_b32 s28, exec_lo
	v_cmpx_gt_u32_e32 8, v51
; %bb.3015:                             ;   in Loop: Header=BB314_2086 Depth=1
	v_ffbh_u32_e32 v2, v2
	v_min_u32_e32 v2, 32, v2
	v_subrev_nc_u32_e32 v48, 28, v2
	v_lshlrev_b64 v[51:52], v48, v[17:18]
	v_sub_nc_u32_e32 v48, 29, v2
	v_and_b32_e32 v2, 7, v51
; %bb.3016:                             ;   in Loop: Header=BB314_2086 Depth=1
	s_or_b32 exec_lo, exec_lo, s28
	v_lshlrev_b32_e32 v51, 8, v17
	v_lshl_add_u32 v48, v48, 10, 0x2000
	v_lshlrev_b32_e32 v2, 7, v2
	v_and_b32_e32 v51, 0x8000, v51
	v_and_b32_e32 v48, 0xfc00, v48
	v_or3_b32 v48, v51, v48, v2
.LBB314_3017:                           ;   in Loop: Header=BB314_2086 Depth=1
	s_or_b32 exec_lo, exec_lo, s27
.LBB314_3018:                           ;   in Loop: Header=BB314_2086 Depth=1
	s_or_b32 exec_lo, exec_lo, s26
.LBB314_3019:                           ;   in Loop: Header=BB314_2086 Depth=1
	s_or_b32 exec_lo, exec_lo, s25
	v_lshrrev_b16 v2, 8, v17
	s_mov_b32 s25, exec_lo
	v_cmpx_ne_u16_e32 0, v2
	s_cbranch_execz .LBB314_3027
; %bb.3020:                             ;   in Loop: Header=BB314_2086 Depth=1
	v_bfrev_b32_e32 v39, 1
	s_mov_b32 s26, exec_lo
	v_cmpx_ne_u16_e32 0x80, v2
	s_cbranch_execz .LBB314_3026
; %bb.3021:                             ;   in Loop: Header=BB314_2086 Depth=1
	v_and_b32_sdwa v52, v2, v64 dst_sel:DWORD dst_unused:UNUSED_PAD src0_sel:WORD_0 src1_sel:DWORD
	v_mov_b32_e32 v39, 0x7c010000
	s_mov_b32 s27, exec_lo
	v_cmpx_ne_u32_e32 0x7f, v52
	s_cbranch_execz .LBB314_3025
; %bb.3022:                             ;   in Loop: Header=BB314_2086 Depth=1
	v_and_b32_sdwa v39, v2, v103 dst_sel:DWORD dst_unused:UNUSED_PAD src0_sel:WORD_0 src1_sel:DWORD
	v_lshrrev_b32_e32 v51, 3, v52
	s_mov_b32 s28, exec_lo
	v_cmpx_gt_u32_e32 8, v52
; %bb.3023:                             ;   in Loop: Header=BB314_2086 Depth=1
	v_ffbh_u32_e32 v39, v39
	v_min_u32_e32 v39, 32, v39
	v_subrev_nc_u32_e32 v51, 28, v39
	v_lshlrev_b64 v[52:53], v51, v[2:3]
	v_sub_nc_u32_e32 v51, 29, v39
	v_and_b32_e32 v39, 7, v52
; %bb.3024:                             ;   in Loop: Header=BB314_2086 Depth=1
	s_or_b32 exec_lo, exec_lo, s28
	v_lshlrev_b32_sdwa v2, v112, v2 dst_sel:DWORD dst_unused:UNUSED_PAD src0_sel:DWORD src1_sel:WORD_0
	v_lshl_add_u32 v51, v51, 10, 0x2000
	v_lshlrev_b32_e32 v39, 23, v39
	v_and_or_b32 v2, 0x8000, v2, v51
	v_lshl_or_b32 v39, v2, 16, v39
.LBB314_3025:                           ;   in Loop: Header=BB314_2086 Depth=1
	s_or_b32 exec_lo, exec_lo, s27
.LBB314_3026:                           ;   in Loop: Header=BB314_2086 Depth=1
	s_or_b32 exec_lo, exec_lo, s26
.LBB314_3027:                           ;   in Loop: Header=BB314_2086 Depth=1
	s_or_b32 exec_lo, exec_lo, s25
	v_lshrrev_b32_e32 v2, 16, v17
	v_mov_b32_e32 v51, 0
	v_mov_b32_e32 v52, 0
	v_cmp_ne_u16_sdwa s12, v2, v3 src0_sel:BYTE_0 src1_sel:DWORD
	s_and_saveexec_b32 s25, s12
	s_cbranch_execz .LBB314_3035
; %bb.3028:                             ;   in Loop: Header=BB314_2086 Depth=1
	v_cmp_ne_u16_sdwa s12, v2, v55 src0_sel:BYTE_0 src1_sel:DWORD
	v_mov_b32_e32 v52, 0x8000
	s_and_saveexec_b32 s26, s12
	s_cbranch_execz .LBB314_3034
; %bb.3029:                             ;   in Loop: Header=BB314_2086 Depth=1
	v_bfe_u32 v54, v17, 16, 7
	v_mov_b32_e32 v52, 0x7c01
	s_mov_b32 s27, exec_lo
	v_cmpx_ne_u32_e32 0x7f, v54
	s_cbranch_execz .LBB314_3033
; %bb.3030:                             ;   in Loop: Header=BB314_2086 Depth=1
	v_and_b32_e32 v52, 7, v2
	v_lshrrev_b32_e32 v53, 3, v54
	s_mov_b32 s28, exec_lo
	v_cmpx_gt_u32_e32 8, v54
; %bb.3031:                             ;   in Loop: Header=BB314_2086 Depth=1
	v_ffbh_u32_e32 v52, v52
	v_min_u32_e32 v54, 32, v52
	v_subrev_nc_u32_e32 v52, 28, v54
	v_lshlrev_b64 v[52:53], v52, v[2:3]
	v_sub_nc_u32_e32 v53, 29, v54
	v_and_b32_e32 v52, 7, v52
; %bb.3032:                             ;   in Loop: Header=BB314_2086 Depth=1
	s_or_b32 exec_lo, exec_lo, s28
	v_lshlrev_b32_e32 v2, 8, v2
	v_lshl_add_u32 v53, v53, 10, 0x2000
	v_lshlrev_b32_e32 v52, 7, v52
	v_and_b32_e32 v2, 0x8000, v2
	v_and_b32_e32 v53, 0xfc00, v53
	v_or3_b32 v52, v2, v53, v52
.LBB314_3033:                           ;   in Loop: Header=BB314_2086 Depth=1
	s_or_b32 exec_lo, exec_lo, s27
.LBB314_3034:                           ;   in Loop: Header=BB314_2086 Depth=1
	s_or_b32 exec_lo, exec_lo, s26
.LBB314_3035:                           ;   in Loop: Header=BB314_2086 Depth=1
	s_or_b32 exec_lo, exec_lo, s25
	s_mov_b32 s25, exec_lo
	v_cmpx_lt_u32_e32 0xffffff, v17
	s_cbranch_execz .LBB314_3043
; %bb.3036:                             ;   in Loop: Header=BB314_2086 Depth=1
	v_lshrrev_b32_e32 v2, 24, v17
	v_bfrev_b32_e32 v51, 1
	s_mov_b32 s26, exec_lo
	v_cmpx_ne_u32_e32 0x80, v2
	s_cbranch_execz .LBB314_3042
; %bb.3037:                             ;   in Loop: Header=BB314_2086 Depth=1
	v_and_b32_e32 v54, 0x7f, v2
	v_mov_b32_e32 v51, 0x7c010000
	s_mov_b32 s27, exec_lo
	v_cmpx_ne_u32_e32 0x7f, v54
	s_cbranch_execz .LBB314_3041
; %bb.3038:                             ;   in Loop: Header=BB314_2086 Depth=1
	v_and_b32_e32 v51, 7, v2
	v_lshrrev_b32_e32 v53, 3, v54
	s_mov_b32 s28, exec_lo
	v_cmpx_gt_u32_e32 8, v54
; %bb.3039:                             ;   in Loop: Header=BB314_2086 Depth=1
	v_ffbh_u32_e32 v51, v51
	v_min_u32_e32 v51, 32, v51
	v_subrev_nc_u32_e32 v53, 28, v51
	v_lshlrev_b64 v[113:114], v53, v[2:3]
	v_sub_nc_u32_e32 v53, 29, v51
	v_and_b32_e32 v51, 7, v113
; %bb.3040:                             ;   in Loop: Header=BB314_2086 Depth=1
	s_or_b32 exec_lo, exec_lo, s28
	v_lshlrev_b32_e32 v2, 8, v2
	v_lshl_add_u32 v53, v53, 10, 0x2000
	v_lshlrev_b32_e32 v51, 23, v51
	v_and_or_b32 v2, 0x8000, v2, v53
	v_lshl_or_b32 v51, v2, 16, v51
.LBB314_3041:                           ;   in Loop: Header=BB314_2086 Depth=1
	s_or_b32 exec_lo, exec_lo, s27
.LBB314_3042:                           ;   in Loop: Header=BB314_2086 Depth=1
	s_or_b32 exec_lo, exec_lo, s26
.LBB314_3043:                           ;   in Loop: Header=BB314_2086 Depth=1
	s_or_b32 exec_lo, exec_lo, s25
	v_mov_b32_e32 v2, v18
	v_cmp_ne_u16_sdwa s12, v18, v3 src0_sel:BYTE_0 src1_sel:DWORD
	v_mov_b32_e32 v53, 0
	v_mov_b32_e32 v67, 0
	s_and_saveexec_b32 s25, s12
	s_cbranch_execz .LBB314_3051
; %bb.3044:                             ;   in Loop: Header=BB314_2086 Depth=1
	v_cmp_ne_u16_sdwa s12, v18, v55 src0_sel:BYTE_0 src1_sel:DWORD
	v_mov_b32_e32 v67, 0x8000
	s_and_saveexec_b32 s26, s12
	s_cbranch_execz .LBB314_3050
; %bb.3045:                             ;   in Loop: Header=BB314_2086 Depth=1
	v_and_b32_e32 v80, 0x7f, v18
	v_mov_b32_e32 v67, 0x7c01
	s_mov_b32 s27, exec_lo
	v_cmpx_ne_u32_e32 0x7f, v80
	s_cbranch_execz .LBB314_3049
; %bb.3046:                             ;   in Loop: Header=BB314_2086 Depth=1
	v_and_b32_e32 v54, 7, v18
	v_lshrrev_b32_e32 v67, 3, v80
	s_mov_b32 s28, exec_lo
	v_cmpx_gt_u32_e32 8, v80
; %bb.3047:                             ;   in Loop: Header=BB314_2086 Depth=1
	v_ffbh_u32_e32 v54, v54
	v_min_u32_e32 v54, 32, v54
	v_subrev_nc_u32_e32 v67, 28, v54
	v_lshlrev_b64 v[113:114], v67, v[2:3]
	v_sub_nc_u32_e32 v67, 29, v54
	v_and_b32_e32 v54, 7, v113
; %bb.3048:                             ;   in Loop: Header=BB314_2086 Depth=1
	s_or_b32 exec_lo, exec_lo, s28
	v_lshlrev_b32_e32 v80, 8, v18
	v_lshl_add_u32 v67, v67, 10, 0x2000
	v_lshlrev_b32_e32 v54, 7, v54
	v_and_b32_e32 v80, 0x8000, v80
	v_and_b32_e32 v67, 0xfc00, v67
	v_or3_b32 v67, v80, v67, v54
.LBB314_3049:                           ;   in Loop: Header=BB314_2086 Depth=1
	s_or_b32 exec_lo, exec_lo, s27
.LBB314_3050:                           ;   in Loop: Header=BB314_2086 Depth=1
	s_or_b32 exec_lo, exec_lo, s26
.LBB314_3051:                           ;   in Loop: Header=BB314_2086 Depth=1
	s_or_b32 exec_lo, exec_lo, s25
	v_lshrrev_b16 v2, 8, v2
	v_mov_b32_e32 v80, 0
	s_mov_b32 s25, exec_lo
	v_cmpx_ne_u16_e32 0, v2
	s_cbranch_execz .LBB314_3059
; %bb.3052:                             ;   in Loop: Header=BB314_2086 Depth=1
	v_bfrev_b32_e32 v80, 1
	s_mov_b32 s26, exec_lo
	v_cmpx_ne_u16_e32 0x80, v2
	s_cbranch_execz .LBB314_3058
; %bb.3053:                             ;   in Loop: Header=BB314_2086 Depth=1
	v_and_b32_sdwa v86, v2, v64 dst_sel:DWORD dst_unused:UNUSED_PAD src0_sel:WORD_0 src1_sel:DWORD
	v_mov_b32_e32 v80, 0x7c010000
	s_mov_b32 s27, exec_lo
	v_cmpx_ne_u32_e32 0x7f, v86
	s_cbranch_execz .LBB314_3057
; %bb.3054:                             ;   in Loop: Header=BB314_2086 Depth=1
	v_and_b32_sdwa v54, v2, v103 dst_sel:DWORD dst_unused:UNUSED_PAD src0_sel:WORD_0 src1_sel:DWORD
	v_lshrrev_b32_e32 v80, 3, v86
	s_mov_b32 s28, exec_lo
	v_cmpx_gt_u32_e32 8, v86
; %bb.3055:                             ;   in Loop: Header=BB314_2086 Depth=1
	v_ffbh_u32_e32 v54, v54
	v_min_u32_e32 v54, 32, v54
	v_subrev_nc_u32_e32 v80, 28, v54
	v_lshlrev_b64 v[113:114], v80, v[2:3]
	v_sub_nc_u32_e32 v80, 29, v54
	v_and_b32_e32 v54, 7, v113
; %bb.3056:                             ;   in Loop: Header=BB314_2086 Depth=1
	s_or_b32 exec_lo, exec_lo, s28
	v_lshlrev_b32_sdwa v2, v112, v2 dst_sel:DWORD dst_unused:UNUSED_PAD src0_sel:DWORD src1_sel:WORD_0
	v_lshl_add_u32 v80, v80, 10, 0x2000
	v_lshlrev_b32_e32 v54, 23, v54
	v_and_or_b32 v2, 0x8000, v2, v80
	v_lshl_or_b32 v80, v2, 16, v54
.LBB314_3057:                           ;   in Loop: Header=BB314_2086 Depth=1
	s_or_b32 exec_lo, exec_lo, s27
.LBB314_3058:                           ;   in Loop: Header=BB314_2086 Depth=1
	s_or_b32 exec_lo, exec_lo, s26
.LBB314_3059:                           ;   in Loop: Header=BB314_2086 Depth=1
	s_or_b32 exec_lo, exec_lo, s25
	v_lshrrev_b32_e32 v2, 16, v18
	v_cmp_ne_u16_sdwa s12, v2, v3 src0_sel:BYTE_0 src1_sel:DWORD
	s_and_saveexec_b32 s25, s12
	s_cbranch_execz .LBB314_3067
; %bb.3060:                             ;   in Loop: Header=BB314_2086 Depth=1
	v_cmp_ne_u16_sdwa s12, v2, v55 src0_sel:BYTE_0 src1_sel:DWORD
	v_mov_b32_e32 v53, 0x8000
	s_and_saveexec_b32 s26, s12
	s_cbranch_execz .LBB314_3066
; %bb.3061:                             ;   in Loop: Header=BB314_2086 Depth=1
	v_bfe_u32 v86, v18, 16, 7
	v_mov_b32_e32 v53, 0x7c01
	s_mov_b32 s27, exec_lo
	v_cmpx_ne_u32_e32 0x7f, v86
	s_cbranch_execz .LBB314_3065
; %bb.3062:                             ;   in Loop: Header=BB314_2086 Depth=1
	v_and_b32_e32 v53, 7, v2
	v_lshrrev_b32_e32 v54, 3, v86
	s_mov_b32 s28, exec_lo
	v_cmpx_gt_u32_e32 8, v86
; %bb.3063:                             ;   in Loop: Header=BB314_2086 Depth=1
	v_ffbh_u32_e32 v53, v53
	v_min_u32_e32 v86, 32, v53
	v_subrev_nc_u32_e32 v53, 28, v86
	v_lshlrev_b64 v[53:54], v53, v[2:3]
	v_sub_nc_u32_e32 v54, 29, v86
	v_and_b32_e32 v53, 7, v53
; %bb.3064:                             ;   in Loop: Header=BB314_2086 Depth=1
	s_or_b32 exec_lo, exec_lo, s28
	v_lshlrev_b32_e32 v2, 8, v2
	v_lshl_add_u32 v54, v54, 10, 0x2000
	v_lshlrev_b32_e32 v53, 7, v53
	v_and_b32_e32 v2, 0x8000, v2
	v_and_b32_e32 v54, 0xfc00, v54
	v_or3_b32 v53, v2, v54, v53
.LBB314_3065:                           ;   in Loop: Header=BB314_2086 Depth=1
	s_or_b32 exec_lo, exec_lo, s27
.LBB314_3066:                           ;   in Loop: Header=BB314_2086 Depth=1
	s_or_b32 exec_lo, exec_lo, s26
.LBB314_3067:                           ;   in Loop: Header=BB314_2086 Depth=1
	s_or_b32 exec_lo, exec_lo, s25
	v_cmp_lt_u64_e64 s12, s[22:23], v[17:18]
	v_mov_b32_e32 v17, 0
	s_and_saveexec_b32 s25, s12
	s_cbranch_execz .LBB314_3075
; %bb.3068:                             ;   in Loop: Header=BB314_2086 Depth=1
	v_lshrrev_b32_e32 v2, 24, v18
	v_bfrev_b32_e32 v17, 1
	s_mov_b32 s26, exec_lo
	v_cmpx_ne_u32_e32 0x80, v2
	s_cbranch_execz .LBB314_3074
; %bb.3069:                             ;   in Loop: Header=BB314_2086 Depth=1
	v_and_b32_e32 v54, 0x7f, v2
	v_mov_b32_e32 v17, 0x7c010000
	s_mov_b32 s27, exec_lo
	v_cmpx_ne_u32_e32 0x7f, v54
	s_cbranch_execz .LBB314_3073
; %bb.3070:                             ;   in Loop: Header=BB314_2086 Depth=1
	v_and_b32_e32 v17, 7, v2
	v_lshrrev_b32_e32 v18, 3, v54
	s_mov_b32 s28, exec_lo
	v_cmpx_gt_u32_e32 8, v54
; %bb.3071:                             ;   in Loop: Header=BB314_2086 Depth=1
	v_ffbh_u32_e32 v17, v17
	v_min_u32_e32 v54, 32, v17
	v_subrev_nc_u32_e32 v17, 28, v54
	v_lshlrev_b64 v[17:18], v17, v[2:3]
	v_sub_nc_u32_e32 v18, 29, v54
	v_and_b32_e32 v17, 7, v17
; %bb.3072:                             ;   in Loop: Header=BB314_2086 Depth=1
	s_or_b32 exec_lo, exec_lo, s28
	v_lshlrev_b32_e32 v2, 8, v2
	v_lshl_add_u32 v18, v18, 10, 0x2000
	v_lshlrev_b32_e32 v17, 23, v17
	v_and_or_b32 v2, 0x8000, v2, v18
	v_lshl_or_b32 v17, v2, 16, v17
.LBB314_3073:                           ;   in Loop: Header=BB314_2086 Depth=1
	s_or_b32 exec_lo, exec_lo, s27
.LBB314_3074:                           ;   in Loop: Header=BB314_2086 Depth=1
	s_or_b32 exec_lo, exec_lo, s26
.LBB314_3075:                           ;   in Loop: Header=BB314_2086 Depth=1
	s_or_b32 exec_lo, exec_lo, s25
	v_or_b32_e32 v2, v51, v52
	s_waitcnt vmcnt(0) lgkmcnt(0)
	v_fma_mixlo_f16 v18, v6, v51, 0 op_sel:[0,1,0] op_sel_hi:[0,1,0]
	v_or_b32_e32 v48, v39, v48
	v_or_b32_e32 v51, v80, v67
	;; [unrolled: 1-line block ×3, first 2 shown]
	v_fma_mixlo_f16 v52, v6, v2, 0 op_sel_hi:[0,1,0]
	v_fma_mixlo_f16 v39, v6, v39, 0 op_sel:[0,1,0] op_sel_hi:[0,1,0]
	v_lshlrev_b32_e32 v2, 16, v18
	v_fma_mixlo_f16 v48, v6, v48, 0 op_sel_hi:[0,1,0]
	v_fma_mixlo_f16 v51, v6, v51, 0 op_sel_hi:[0,1,0]
	v_and_b32_e32 v18, 0xffff, v52
	v_fma_mixlo_f16 v52, v6, v80, 0 op_sel:[0,1,0] op_sel_hi:[0,1,0]
	v_fma_mixlo_f16 v17, v6, v17, 0 op_sel:[0,1,0] op_sel_hi:[0,1,0]
	v_fma_mixlo_f16 v6, v6, v53, 0 op_sel_hi:[0,1,0]
	v_lshlrev_b32_e32 v39, 16, v39
	v_and_b32_e32 v80, 0xffff, v48
	v_lshlrev_b32_e32 v53, 16, v52
	v_and_b32_e32 v67, 0xffff, v51
	;; [unrolled: 2-line block ×3, first 2 shown]
	v_or_b32_e32 v6, v2, v18
	v_or_b32_e32 v51, v39, v80
	;; [unrolled: 1-line block ×4, first 2 shown]
	s_and_saveexec_b32 s12, s4
	s_cbranch_execz .LBB314_3077
; %bb.3076:                             ;   in Loop: Header=BB314_2086 Depth=1
	v_cndmask_b32_e32 v6, 0, v80, vcc_lo
	v_cndmask_b32_e64 v17, 0, v39, s7
	v_cndmask_b32_e64 v18, 0, v18, s5
	;; [unrolled: 1-line block ×7, first 2 shown]
	v_or_b32_e32 v51, v6, v17
	v_or_b32_e32 v6, v18, v2
	;; [unrolled: 1-line block ×4, first 2 shown]
.LBB314_3077:                           ;   in Loop: Header=BB314_2086 Depth=1
	s_or_b32 exec_lo, exec_lo, s12
	;;#ASMSTART
	v_pk_mul_f16 v2, v41, v51;

	;;#ASMEND
	;;#ASMSTART
	v_pk_mul_f16 v6, v40, v6;

	;;#ASMEND
	;; [unrolled: 4-line block ×4, first 2 shown]
	;;#ASMSTART
	v_pk_add_f16 v2, v2, v6;

	;;#ASMEND
	;;#ASMSTART
	v_pk_add_f16 v2, v2, v18;

	;;#ASMEND
	;; [unrolled: 4-line block ×3, first 2 shown]
	v_and_b32_e32 v6, 0xffff, v2
	v_lshrrev_b32_e32 v2, 16, v2
	;;#ASMSTART
	v_cvt_f32_f16 v6, v6;
	;;#ASMEND
	;;#ASMSTART
	v_cvt_f32_f16 v39, v2;
	;;#ASMEND
	flat_load_dwordx2 v[13:14], v[13:14] offset:1792
	flat_load_dword v17, v[26:27]
	v_mov_b32_e32 v18, 0
	v_mov_b32_e32 v48, 0
	s_waitcnt vmcnt(1) lgkmcnt(1)
	v_cmp_ne_u16_sdwa s12, v13, v3 src0_sel:BYTE_0 src1_sel:DWORD
	s_and_saveexec_b32 s25, s12
	s_cbranch_execz .LBB314_3085
; %bb.3078:                             ;   in Loop: Header=BB314_2086 Depth=1
	v_cmp_ne_u16_sdwa s12, v13, v55 src0_sel:BYTE_0 src1_sel:DWORD
	v_mov_b32_e32 v48, 0x8000
	s_and_saveexec_b32 s26, s12
	s_cbranch_execz .LBB314_3084
; %bb.3079:                             ;   in Loop: Header=BB314_2086 Depth=1
	v_and_b32_e32 v51, 0x7f, v13
	v_mov_b32_e32 v48, 0x7c01
	s_mov_b32 s27, exec_lo
	v_cmpx_ne_u32_e32 0x7f, v51
	s_cbranch_execz .LBB314_3083
; %bb.3080:                             ;   in Loop: Header=BB314_2086 Depth=1
	v_and_b32_e32 v2, 7, v13
	v_lshrrev_b32_e32 v48, 3, v51
	s_mov_b32 s28, exec_lo
	v_cmpx_gt_u32_e32 8, v51
; %bb.3081:                             ;   in Loop: Header=BB314_2086 Depth=1
	v_ffbh_u32_e32 v2, v2
	v_min_u32_e32 v2, 32, v2
	v_subrev_nc_u32_e32 v48, 28, v2
	v_lshlrev_b64 v[51:52], v48, v[13:14]
	v_sub_nc_u32_e32 v48, 29, v2
	v_and_b32_e32 v2, 7, v51
; %bb.3082:                             ;   in Loop: Header=BB314_2086 Depth=1
	s_or_b32 exec_lo, exec_lo, s28
	v_lshlrev_b32_e32 v51, 8, v13
	v_lshl_add_u32 v48, v48, 10, 0x2000
	v_lshlrev_b32_e32 v2, 7, v2
	v_and_b32_e32 v51, 0x8000, v51
	v_and_b32_e32 v48, 0xfc00, v48
	v_or3_b32 v48, v51, v48, v2
.LBB314_3083:                           ;   in Loop: Header=BB314_2086 Depth=1
	s_or_b32 exec_lo, exec_lo, s27
.LBB314_3084:                           ;   in Loop: Header=BB314_2086 Depth=1
	s_or_b32 exec_lo, exec_lo, s26
.LBB314_3085:                           ;   in Loop: Header=BB314_2086 Depth=1
	s_or_b32 exec_lo, exec_lo, s25
	v_lshrrev_b16 v2, 8, v13
	s_mov_b32 s25, exec_lo
	v_cmpx_ne_u16_e32 0, v2
	s_cbranch_execz .LBB314_3093
; %bb.3086:                             ;   in Loop: Header=BB314_2086 Depth=1
	v_bfrev_b32_e32 v18, 1
	s_mov_b32 s26, exec_lo
	v_cmpx_ne_u16_e32 0x80, v2
	s_cbranch_execz .LBB314_3092
; %bb.3087:                             ;   in Loop: Header=BB314_2086 Depth=1
	v_and_b32_sdwa v52, v2, v64 dst_sel:DWORD dst_unused:UNUSED_PAD src0_sel:WORD_0 src1_sel:DWORD
	v_mov_b32_e32 v18, 0x7c010000
	s_mov_b32 s27, exec_lo
	v_cmpx_ne_u32_e32 0x7f, v52
	s_cbranch_execz .LBB314_3091
; %bb.3088:                             ;   in Loop: Header=BB314_2086 Depth=1
	v_and_b32_sdwa v18, v2, v103 dst_sel:DWORD dst_unused:UNUSED_PAD src0_sel:WORD_0 src1_sel:DWORD
	v_lshrrev_b32_e32 v51, 3, v52
	s_mov_b32 s28, exec_lo
	v_cmpx_gt_u32_e32 8, v52
; %bb.3089:                             ;   in Loop: Header=BB314_2086 Depth=1
	v_ffbh_u32_e32 v18, v18
	v_min_u32_e32 v18, 32, v18
	v_subrev_nc_u32_e32 v51, 28, v18
	v_lshlrev_b64 v[52:53], v51, v[2:3]
	v_sub_nc_u32_e32 v51, 29, v18
	v_and_b32_e32 v18, 7, v52
; %bb.3090:                             ;   in Loop: Header=BB314_2086 Depth=1
	s_or_b32 exec_lo, exec_lo, s28
	v_lshlrev_b32_sdwa v2, v112, v2 dst_sel:DWORD dst_unused:UNUSED_PAD src0_sel:DWORD src1_sel:WORD_0
	v_lshl_add_u32 v51, v51, 10, 0x2000
	v_lshlrev_b32_e32 v18, 23, v18
	v_and_or_b32 v2, 0x8000, v2, v51
	v_lshl_or_b32 v18, v2, 16, v18
.LBB314_3091:                           ;   in Loop: Header=BB314_2086 Depth=1
	s_or_b32 exec_lo, exec_lo, s27
.LBB314_3092:                           ;   in Loop: Header=BB314_2086 Depth=1
	s_or_b32 exec_lo, exec_lo, s26
.LBB314_3093:                           ;   in Loop: Header=BB314_2086 Depth=1
	s_or_b32 exec_lo, exec_lo, s25
	v_lshrrev_b32_e32 v2, 16, v13
	v_mov_b32_e32 v51, 0
	v_mov_b32_e32 v52, 0
	v_cmp_ne_u16_sdwa s12, v2, v3 src0_sel:BYTE_0 src1_sel:DWORD
	s_and_saveexec_b32 s25, s12
	s_cbranch_execz .LBB314_3101
; %bb.3094:                             ;   in Loop: Header=BB314_2086 Depth=1
	v_cmp_ne_u16_sdwa s12, v2, v55 src0_sel:BYTE_0 src1_sel:DWORD
	v_mov_b32_e32 v52, 0x8000
	s_and_saveexec_b32 s26, s12
	s_cbranch_execz .LBB314_3100
; %bb.3095:                             ;   in Loop: Header=BB314_2086 Depth=1
	v_bfe_u32 v54, v13, 16, 7
	v_mov_b32_e32 v52, 0x7c01
	s_mov_b32 s27, exec_lo
	v_cmpx_ne_u32_e32 0x7f, v54
	s_cbranch_execz .LBB314_3099
; %bb.3096:                             ;   in Loop: Header=BB314_2086 Depth=1
	v_and_b32_e32 v52, 7, v2
	v_lshrrev_b32_e32 v53, 3, v54
	s_mov_b32 s28, exec_lo
	v_cmpx_gt_u32_e32 8, v54
; %bb.3097:                             ;   in Loop: Header=BB314_2086 Depth=1
	v_ffbh_u32_e32 v52, v52
	v_min_u32_e32 v54, 32, v52
	v_subrev_nc_u32_e32 v52, 28, v54
	v_lshlrev_b64 v[52:53], v52, v[2:3]
	v_sub_nc_u32_e32 v53, 29, v54
	v_and_b32_e32 v52, 7, v52
; %bb.3098:                             ;   in Loop: Header=BB314_2086 Depth=1
	s_or_b32 exec_lo, exec_lo, s28
	v_lshlrev_b32_e32 v2, 8, v2
	v_lshl_add_u32 v53, v53, 10, 0x2000
	v_lshlrev_b32_e32 v52, 7, v52
	v_and_b32_e32 v2, 0x8000, v2
	v_and_b32_e32 v53, 0xfc00, v53
	v_or3_b32 v52, v2, v53, v52
.LBB314_3099:                           ;   in Loop: Header=BB314_2086 Depth=1
	s_or_b32 exec_lo, exec_lo, s27
.LBB314_3100:                           ;   in Loop: Header=BB314_2086 Depth=1
	s_or_b32 exec_lo, exec_lo, s26
.LBB314_3101:                           ;   in Loop: Header=BB314_2086 Depth=1
	s_or_b32 exec_lo, exec_lo, s25
	s_mov_b32 s25, exec_lo
	v_cmpx_lt_u32_e32 0xffffff, v13
	s_cbranch_execz .LBB314_3109
; %bb.3102:                             ;   in Loop: Header=BB314_2086 Depth=1
	v_lshrrev_b32_e32 v2, 24, v13
	v_bfrev_b32_e32 v51, 1
	s_mov_b32 s26, exec_lo
	v_cmpx_ne_u32_e32 0x80, v2
	s_cbranch_execz .LBB314_3108
; %bb.3103:                             ;   in Loop: Header=BB314_2086 Depth=1
	v_and_b32_e32 v54, 0x7f, v2
	v_mov_b32_e32 v51, 0x7c010000
	s_mov_b32 s27, exec_lo
	v_cmpx_ne_u32_e32 0x7f, v54
	s_cbranch_execz .LBB314_3107
; %bb.3104:                             ;   in Loop: Header=BB314_2086 Depth=1
	v_and_b32_e32 v51, 7, v2
	v_lshrrev_b32_e32 v53, 3, v54
	s_mov_b32 s28, exec_lo
	v_cmpx_gt_u32_e32 8, v54
; %bb.3105:                             ;   in Loop: Header=BB314_2086 Depth=1
	v_ffbh_u32_e32 v51, v51
	v_min_u32_e32 v51, 32, v51
	v_subrev_nc_u32_e32 v53, 28, v51
	v_lshlrev_b64 v[113:114], v53, v[2:3]
	v_sub_nc_u32_e32 v53, 29, v51
	v_and_b32_e32 v51, 7, v113
; %bb.3106:                             ;   in Loop: Header=BB314_2086 Depth=1
	s_or_b32 exec_lo, exec_lo, s28
	v_lshlrev_b32_e32 v2, 8, v2
	v_lshl_add_u32 v53, v53, 10, 0x2000
	v_lshlrev_b32_e32 v51, 23, v51
	v_and_or_b32 v2, 0x8000, v2, v53
	v_lshl_or_b32 v51, v2, 16, v51
.LBB314_3107:                           ;   in Loop: Header=BB314_2086 Depth=1
	s_or_b32 exec_lo, exec_lo, s27
.LBB314_3108:                           ;   in Loop: Header=BB314_2086 Depth=1
	s_or_b32 exec_lo, exec_lo, s26
.LBB314_3109:                           ;   in Loop: Header=BB314_2086 Depth=1
	s_or_b32 exec_lo, exec_lo, s25
	v_mov_b32_e32 v2, v14
	v_cmp_ne_u16_sdwa s12, v14, v3 src0_sel:BYTE_0 src1_sel:DWORD
	v_mov_b32_e32 v53, 0
	v_mov_b32_e32 v67, 0
	s_and_saveexec_b32 s25, s12
	s_cbranch_execz .LBB314_3117
; %bb.3110:                             ;   in Loop: Header=BB314_2086 Depth=1
	v_cmp_ne_u16_sdwa s12, v14, v55 src0_sel:BYTE_0 src1_sel:DWORD
	v_mov_b32_e32 v67, 0x8000
	s_and_saveexec_b32 s26, s12
	s_cbranch_execz .LBB314_3116
; %bb.3111:                             ;   in Loop: Header=BB314_2086 Depth=1
	v_and_b32_e32 v80, 0x7f, v14
	v_mov_b32_e32 v67, 0x7c01
	s_mov_b32 s27, exec_lo
	v_cmpx_ne_u32_e32 0x7f, v80
	s_cbranch_execz .LBB314_3115
; %bb.3112:                             ;   in Loop: Header=BB314_2086 Depth=1
	v_and_b32_e32 v54, 7, v14
	v_lshrrev_b32_e32 v67, 3, v80
	s_mov_b32 s28, exec_lo
	v_cmpx_gt_u32_e32 8, v80
; %bb.3113:                             ;   in Loop: Header=BB314_2086 Depth=1
	v_ffbh_u32_e32 v54, v54
	v_min_u32_e32 v54, 32, v54
	v_subrev_nc_u32_e32 v67, 28, v54
	v_lshlrev_b64 v[113:114], v67, v[2:3]
	v_sub_nc_u32_e32 v67, 29, v54
	v_and_b32_e32 v54, 7, v113
; %bb.3114:                             ;   in Loop: Header=BB314_2086 Depth=1
	s_or_b32 exec_lo, exec_lo, s28
	v_lshlrev_b32_e32 v80, 8, v14
	v_lshl_add_u32 v67, v67, 10, 0x2000
	v_lshlrev_b32_e32 v54, 7, v54
	v_and_b32_e32 v80, 0x8000, v80
	v_and_b32_e32 v67, 0xfc00, v67
	v_or3_b32 v67, v80, v67, v54
.LBB314_3115:                           ;   in Loop: Header=BB314_2086 Depth=1
	s_or_b32 exec_lo, exec_lo, s27
.LBB314_3116:                           ;   in Loop: Header=BB314_2086 Depth=1
	s_or_b32 exec_lo, exec_lo, s26
.LBB314_3117:                           ;   in Loop: Header=BB314_2086 Depth=1
	s_or_b32 exec_lo, exec_lo, s25
	v_lshrrev_b16 v2, 8, v2
	v_mov_b32_e32 v80, 0
	s_mov_b32 s25, exec_lo
	v_cmpx_ne_u16_e32 0, v2
	s_cbranch_execz .LBB314_3125
; %bb.3118:                             ;   in Loop: Header=BB314_2086 Depth=1
	v_bfrev_b32_e32 v80, 1
	s_mov_b32 s26, exec_lo
	v_cmpx_ne_u16_e32 0x80, v2
	s_cbranch_execz .LBB314_3124
; %bb.3119:                             ;   in Loop: Header=BB314_2086 Depth=1
	v_and_b32_sdwa v86, v2, v64 dst_sel:DWORD dst_unused:UNUSED_PAD src0_sel:WORD_0 src1_sel:DWORD
	v_mov_b32_e32 v80, 0x7c010000
	s_mov_b32 s27, exec_lo
	v_cmpx_ne_u32_e32 0x7f, v86
	s_cbranch_execz .LBB314_3123
; %bb.3120:                             ;   in Loop: Header=BB314_2086 Depth=1
	v_and_b32_sdwa v54, v2, v103 dst_sel:DWORD dst_unused:UNUSED_PAD src0_sel:WORD_0 src1_sel:DWORD
	v_lshrrev_b32_e32 v80, 3, v86
	s_mov_b32 s28, exec_lo
	v_cmpx_gt_u32_e32 8, v86
; %bb.3121:                             ;   in Loop: Header=BB314_2086 Depth=1
	v_ffbh_u32_e32 v54, v54
	v_min_u32_e32 v54, 32, v54
	v_subrev_nc_u32_e32 v80, 28, v54
	v_lshlrev_b64 v[113:114], v80, v[2:3]
	v_sub_nc_u32_e32 v80, 29, v54
	v_and_b32_e32 v54, 7, v113
; %bb.3122:                             ;   in Loop: Header=BB314_2086 Depth=1
	s_or_b32 exec_lo, exec_lo, s28
	v_lshlrev_b32_sdwa v2, v112, v2 dst_sel:DWORD dst_unused:UNUSED_PAD src0_sel:DWORD src1_sel:WORD_0
	v_lshl_add_u32 v80, v80, 10, 0x2000
	v_lshlrev_b32_e32 v54, 23, v54
	v_and_or_b32 v2, 0x8000, v2, v80
	v_lshl_or_b32 v80, v2, 16, v54
.LBB314_3123:                           ;   in Loop: Header=BB314_2086 Depth=1
	s_or_b32 exec_lo, exec_lo, s27
.LBB314_3124:                           ;   in Loop: Header=BB314_2086 Depth=1
	s_or_b32 exec_lo, exec_lo, s26
.LBB314_3125:                           ;   in Loop: Header=BB314_2086 Depth=1
	s_or_b32 exec_lo, exec_lo, s25
	v_lshrrev_b32_e32 v2, 16, v14
	v_cmp_ne_u16_sdwa s12, v2, v3 src0_sel:BYTE_0 src1_sel:DWORD
	s_and_saveexec_b32 s25, s12
	s_cbranch_execz .LBB314_3133
; %bb.3126:                             ;   in Loop: Header=BB314_2086 Depth=1
	v_cmp_ne_u16_sdwa s12, v2, v55 src0_sel:BYTE_0 src1_sel:DWORD
	v_mov_b32_e32 v53, 0x8000
	s_and_saveexec_b32 s26, s12
	s_cbranch_execz .LBB314_3132
; %bb.3127:                             ;   in Loop: Header=BB314_2086 Depth=1
	v_bfe_u32 v86, v14, 16, 7
	v_mov_b32_e32 v53, 0x7c01
	s_mov_b32 s27, exec_lo
	v_cmpx_ne_u32_e32 0x7f, v86
	s_cbranch_execz .LBB314_3131
; %bb.3128:                             ;   in Loop: Header=BB314_2086 Depth=1
	v_and_b32_e32 v53, 7, v2
	v_lshrrev_b32_e32 v54, 3, v86
	s_mov_b32 s28, exec_lo
	v_cmpx_gt_u32_e32 8, v86
; %bb.3129:                             ;   in Loop: Header=BB314_2086 Depth=1
	v_ffbh_u32_e32 v53, v53
	v_min_u32_e32 v86, 32, v53
	v_subrev_nc_u32_e32 v53, 28, v86
	v_lshlrev_b64 v[53:54], v53, v[2:3]
	v_sub_nc_u32_e32 v54, 29, v86
	v_and_b32_e32 v53, 7, v53
; %bb.3130:                             ;   in Loop: Header=BB314_2086 Depth=1
	s_or_b32 exec_lo, exec_lo, s28
	v_lshlrev_b32_e32 v2, 8, v2
	v_lshl_add_u32 v54, v54, 10, 0x2000
	v_lshlrev_b32_e32 v53, 7, v53
	v_and_b32_e32 v2, 0x8000, v2
	v_and_b32_e32 v54, 0xfc00, v54
	v_or3_b32 v53, v2, v54, v53
.LBB314_3131:                           ;   in Loop: Header=BB314_2086 Depth=1
	s_or_b32 exec_lo, exec_lo, s27
.LBB314_3132:                           ;   in Loop: Header=BB314_2086 Depth=1
	s_or_b32 exec_lo, exec_lo, s26
.LBB314_3133:                           ;   in Loop: Header=BB314_2086 Depth=1
	s_or_b32 exec_lo, exec_lo, s25
	v_cmp_lt_u64_e64 s12, s[22:23], v[13:14]
	v_mov_b32_e32 v13, 0
	s_and_saveexec_b32 s25, s12
	s_cbranch_execz .LBB314_3141
; %bb.3134:                             ;   in Loop: Header=BB314_2086 Depth=1
	v_lshrrev_b32_e32 v2, 24, v14
	v_bfrev_b32_e32 v13, 1
	s_mov_b32 s26, exec_lo
	v_cmpx_ne_u32_e32 0x80, v2
	s_cbranch_execz .LBB314_3140
; %bb.3135:                             ;   in Loop: Header=BB314_2086 Depth=1
	v_and_b32_e32 v54, 0x7f, v2
	v_mov_b32_e32 v13, 0x7c010000
	s_mov_b32 s27, exec_lo
	v_cmpx_ne_u32_e32 0x7f, v54
	s_cbranch_execz .LBB314_3139
; %bb.3136:                             ;   in Loop: Header=BB314_2086 Depth=1
	v_and_b32_e32 v13, 7, v2
	v_lshrrev_b32_e32 v14, 3, v54
	s_mov_b32 s28, exec_lo
	v_cmpx_gt_u32_e32 8, v54
; %bb.3137:                             ;   in Loop: Header=BB314_2086 Depth=1
	v_ffbh_u32_e32 v13, v13
	v_min_u32_e32 v54, 32, v13
	v_subrev_nc_u32_e32 v13, 28, v54
	v_lshlrev_b64 v[13:14], v13, v[2:3]
	v_sub_nc_u32_e32 v14, 29, v54
	v_and_b32_e32 v13, 7, v13
; %bb.3138:                             ;   in Loop: Header=BB314_2086 Depth=1
	s_or_b32 exec_lo, exec_lo, s28
	v_lshlrev_b32_e32 v2, 8, v2
	v_lshl_add_u32 v14, v14, 10, 0x2000
	v_lshlrev_b32_e32 v13, 23, v13
	v_and_or_b32 v2, 0x8000, v2, v14
	v_lshl_or_b32 v13, v2, 16, v13
.LBB314_3139:                           ;   in Loop: Header=BB314_2086 Depth=1
	s_or_b32 exec_lo, exec_lo, s27
.LBB314_3140:                           ;   in Loop: Header=BB314_2086 Depth=1
	s_or_b32 exec_lo, exec_lo, s26
.LBB314_3141:                           ;   in Loop: Header=BB314_2086 Depth=1
	s_or_b32 exec_lo, exec_lo, s25
	v_or_b32_e32 v2, v51, v52
	s_waitcnt vmcnt(0) lgkmcnt(0)
	v_fma_mixlo_f16 v14, v17, v51, 0 op_sel:[0,1,0] op_sel_hi:[0,1,0]
	v_or_b32_e32 v48, v18, v48
	v_or_b32_e32 v51, v80, v67
	;; [unrolled: 1-line block ×3, first 2 shown]
	v_fma_mixlo_f16 v52, v17, v2, 0 op_sel_hi:[0,1,0]
	v_fma_mixlo_f16 v18, v17, v18, 0 op_sel:[0,1,0] op_sel_hi:[0,1,0]
	v_lshlrev_b32_e32 v2, 16, v14
	v_fma_mixlo_f16 v48, v17, v48, 0 op_sel_hi:[0,1,0]
	v_fma_mixlo_f16 v51, v17, v51, 0 op_sel_hi:[0,1,0]
	v_and_b32_e32 v14, 0xffff, v52
	v_fma_mixlo_f16 v52, v17, v80, 0 op_sel:[0,1,0] op_sel_hi:[0,1,0]
	v_fma_mixlo_f16 v13, v17, v13, 0 op_sel:[0,1,0] op_sel_hi:[0,1,0]
	v_fma_mixlo_f16 v17, v17, v53, 0 op_sel_hi:[0,1,0]
	v_lshlrev_b32_e32 v18, 16, v18
	v_and_b32_e32 v80, 0xffff, v48
	v_lshlrev_b32_e32 v53, 16, v52
	v_and_b32_e32 v67, 0xffff, v51
	;; [unrolled: 2-line block ×3, first 2 shown]
	v_or_b32_e32 v13, v2, v14
	v_or_b32_e32 v51, v18, v80
	;; [unrolled: 1-line block ×4, first 2 shown]
	s_and_saveexec_b32 s12, s4
	s_cbranch_execz .LBB314_3143
; %bb.3142:                             ;   in Loop: Header=BB314_2086 Depth=1
	v_cndmask_b32_e32 v13, 0, v80, vcc_lo
	v_cndmask_b32_e64 v17, 0, v18, s7
	v_cndmask_b32_e64 v14, 0, v14, s5
	;; [unrolled: 1-line block ×7, first 2 shown]
	v_or_b32_e32 v51, v13, v17
	v_or_b32_e32 v13, v14, v2
	;; [unrolled: 1-line block ×4, first 2 shown]
.LBB314_3143:                           ;   in Loop: Header=BB314_2086 Depth=1
	s_or_b32 exec_lo, exec_lo, s12
	;;#ASMSTART
	v_pk_mul_f16 v2, v41, v51;

	;;#ASMEND
	;;#ASMSTART
	v_pk_mul_f16 v13, v40, v13;

	;;#ASMEND
	;; [unrolled: 4-line block ×4, first 2 shown]
	;;#ASMSTART
	v_pk_add_f16 v2, v2, v13;

	;;#ASMEND
	v_add_co_u32 v13, s12, 0x1000, v11
	;;#ASMSTART
	v_pk_add_f16 v2, v2, v14;

	;;#ASMEND
	v_add_co_ci_u32_e64 v14, null, 0, v12, s12
	;;#ASMSTART
	v_pk_add_f16 v2, v2, v17;

	;;#ASMEND
	v_lshrrev_b32_e32 v17, 16, v2
	v_and_b32_e32 v2, 0xffff, v2
	;;#ASMSTART
	v_cvt_f32_f16 v67, v2;
	;;#ASMEND
	;;#ASMSTART
	v_cvt_f32_f16 v51, v17;
	;;#ASMEND
	flat_load_dwordx2 v[17:18], v[13:14]
	flat_load_dword v48, v[26:27]
	v_mov_b32_e32 v52, 0
	v_mov_b32_e32 v53, 0
	s_waitcnt vmcnt(1) lgkmcnt(1)
	v_cmp_ne_u16_sdwa s12, v17, v3 src0_sel:BYTE_0 src1_sel:DWORD
	s_and_saveexec_b32 s25, s12
	s_cbranch_execz .LBB314_3151
; %bb.3144:                             ;   in Loop: Header=BB314_2086 Depth=1
	v_cmp_ne_u16_sdwa s12, v17, v55 src0_sel:BYTE_0 src1_sel:DWORD
	v_mov_b32_e32 v53, 0x8000
	s_and_saveexec_b32 s26, s12
	s_cbranch_execz .LBB314_3150
; %bb.3145:                             ;   in Loop: Header=BB314_2086 Depth=1
	v_and_b32_e32 v54, 0x7f, v17
	v_mov_b32_e32 v53, 0x7c01
	s_mov_b32 s27, exec_lo
	v_cmpx_ne_u32_e32 0x7f, v54
	s_cbranch_execz .LBB314_3149
; %bb.3146:                             ;   in Loop: Header=BB314_2086 Depth=1
	v_and_b32_e32 v2, 7, v17
	v_lshrrev_b32_e32 v53, 3, v54
	s_mov_b32 s28, exec_lo
	v_cmpx_gt_u32_e32 8, v54
; %bb.3147:                             ;   in Loop: Header=BB314_2086 Depth=1
	v_ffbh_u32_e32 v2, v2
	v_min_u32_e32 v2, 32, v2
	v_subrev_nc_u32_e32 v53, 28, v2
	v_lshlrev_b64 v[113:114], v53, v[17:18]
	v_sub_nc_u32_e32 v53, 29, v2
	v_and_b32_e32 v2, 7, v113
; %bb.3148:                             ;   in Loop: Header=BB314_2086 Depth=1
	s_or_b32 exec_lo, exec_lo, s28
	v_lshlrev_b32_e32 v54, 8, v17
	v_lshl_add_u32 v53, v53, 10, 0x2000
	v_lshlrev_b32_e32 v2, 7, v2
	v_and_b32_e32 v54, 0x8000, v54
	v_and_b32_e32 v53, 0xfc00, v53
	v_or3_b32 v53, v54, v53, v2
.LBB314_3149:                           ;   in Loop: Header=BB314_2086 Depth=1
	s_or_b32 exec_lo, exec_lo, s27
.LBB314_3150:                           ;   in Loop: Header=BB314_2086 Depth=1
	s_or_b32 exec_lo, exec_lo, s26
.LBB314_3151:                           ;   in Loop: Header=BB314_2086 Depth=1
	s_or_b32 exec_lo, exec_lo, s25
	v_lshrrev_b16 v2, 8, v17
	s_mov_b32 s25, exec_lo
	v_cmpx_ne_u16_e32 0, v2
	s_cbranch_execz .LBB314_3159
; %bb.3152:                             ;   in Loop: Header=BB314_2086 Depth=1
	v_bfrev_b32_e32 v52, 1
	s_mov_b32 s26, exec_lo
	v_cmpx_ne_u16_e32 0x80, v2
	s_cbranch_execz .LBB314_3158
; %bb.3153:                             ;   in Loop: Header=BB314_2086 Depth=1
	v_and_b32_sdwa v80, v2, v64 dst_sel:DWORD dst_unused:UNUSED_PAD src0_sel:WORD_0 src1_sel:DWORD
	v_mov_b32_e32 v52, 0x7c010000
	s_mov_b32 s27, exec_lo
	v_cmpx_ne_u32_e32 0x7f, v80
	s_cbranch_execz .LBB314_3157
; %bb.3154:                             ;   in Loop: Header=BB314_2086 Depth=1
	v_and_b32_sdwa v52, v2, v103 dst_sel:DWORD dst_unused:UNUSED_PAD src0_sel:WORD_0 src1_sel:DWORD
	v_lshrrev_b32_e32 v54, 3, v80
	s_mov_b32 s28, exec_lo
	v_cmpx_gt_u32_e32 8, v80
; %bb.3155:                             ;   in Loop: Header=BB314_2086 Depth=1
	v_ffbh_u32_e32 v52, v52
	v_min_u32_e32 v52, 32, v52
	v_subrev_nc_u32_e32 v54, 28, v52
	v_lshlrev_b64 v[113:114], v54, v[2:3]
	v_sub_nc_u32_e32 v54, 29, v52
	v_and_b32_e32 v52, 7, v113
; %bb.3156:                             ;   in Loop: Header=BB314_2086 Depth=1
	s_or_b32 exec_lo, exec_lo, s28
	v_lshlrev_b32_sdwa v2, v112, v2 dst_sel:DWORD dst_unused:UNUSED_PAD src0_sel:DWORD src1_sel:WORD_0
	v_lshl_add_u32 v54, v54, 10, 0x2000
	v_lshlrev_b32_e32 v52, 23, v52
	v_and_or_b32 v2, 0x8000, v2, v54
	v_lshl_or_b32 v52, v2, 16, v52
.LBB314_3157:                           ;   in Loop: Header=BB314_2086 Depth=1
	s_or_b32 exec_lo, exec_lo, s27
.LBB314_3158:                           ;   in Loop: Header=BB314_2086 Depth=1
	s_or_b32 exec_lo, exec_lo, s26
.LBB314_3159:                           ;   in Loop: Header=BB314_2086 Depth=1
	s_or_b32 exec_lo, exec_lo, s25
	v_lshrrev_b32_e32 v2, 16, v17
	v_mov_b32_e32 v80, 0
	v_mov_b32_e32 v86, 0
	v_cmp_ne_u16_sdwa s12, v2, v3 src0_sel:BYTE_0 src1_sel:DWORD
	s_and_saveexec_b32 s25, s12
	s_cbranch_execz .LBB314_3167
; %bb.3160:                             ;   in Loop: Header=BB314_2086 Depth=1
	v_cmp_ne_u16_sdwa s12, v2, v55 src0_sel:BYTE_0 src1_sel:DWORD
	v_mov_b32_e32 v86, 0x8000
	s_and_saveexec_b32 s26, s12
	s_cbranch_execz .LBB314_3166
; %bb.3161:                             ;   in Loop: Header=BB314_2086 Depth=1
	v_bfe_u32 v113, v17, 16, 7
	v_mov_b32_e32 v86, 0x7c01
	s_mov_b32 s27, exec_lo
	v_cmpx_ne_u32_e32 0x7f, v113
	s_cbranch_execz .LBB314_3165
; %bb.3162:                             ;   in Loop: Header=BB314_2086 Depth=1
	v_and_b32_e32 v54, 7, v2
	v_lshrrev_b32_e32 v86, 3, v113
	s_mov_b32 s28, exec_lo
	v_cmpx_gt_u32_e32 8, v113
; %bb.3163:                             ;   in Loop: Header=BB314_2086 Depth=1
	v_ffbh_u32_e32 v54, v54
	v_min_u32_e32 v54, 32, v54
	v_subrev_nc_u32_e32 v86, 28, v54
	v_lshlrev_b64 v[113:114], v86, v[2:3]
	v_sub_nc_u32_e32 v86, 29, v54
	v_and_b32_e32 v54, 7, v113
; %bb.3164:                             ;   in Loop: Header=BB314_2086 Depth=1
	s_or_b32 exec_lo, exec_lo, s28
	v_lshlrev_b32_e32 v2, 8, v2
	v_lshl_add_u32 v86, v86, 10, 0x2000
	v_lshlrev_b32_e32 v54, 7, v54
	v_and_b32_e32 v2, 0x8000, v2
	v_and_b32_e32 v86, 0xfc00, v86
	v_or3_b32 v86, v2, v86, v54
.LBB314_3165:                           ;   in Loop: Header=BB314_2086 Depth=1
	s_or_b32 exec_lo, exec_lo, s27
.LBB314_3166:                           ;   in Loop: Header=BB314_2086 Depth=1
	s_or_b32 exec_lo, exec_lo, s26
.LBB314_3167:                           ;   in Loop: Header=BB314_2086 Depth=1
	s_or_b32 exec_lo, exec_lo, s25
	s_mov_b32 s25, exec_lo
	v_cmpx_lt_u32_e32 0xffffff, v17
	s_cbranch_execz .LBB314_3175
; %bb.3168:                             ;   in Loop: Header=BB314_2086 Depth=1
	v_lshrrev_b32_e32 v2, 24, v17
	v_bfrev_b32_e32 v80, 1
	s_mov_b32 s26, exec_lo
	v_cmpx_ne_u32_e32 0x80, v2
	s_cbranch_execz .LBB314_3174
; %bb.3169:                             ;   in Loop: Header=BB314_2086 Depth=1
	v_and_b32_e32 v113, 0x7f, v2
	v_mov_b32_e32 v80, 0x7c010000
	s_mov_b32 s27, exec_lo
	v_cmpx_ne_u32_e32 0x7f, v113
	s_cbranch_execz .LBB314_3173
; %bb.3170:                             ;   in Loop: Header=BB314_2086 Depth=1
	v_and_b32_e32 v54, 7, v2
	v_lshrrev_b32_e32 v80, 3, v113
	s_mov_b32 s28, exec_lo
	v_cmpx_gt_u32_e32 8, v113
; %bb.3171:                             ;   in Loop: Header=BB314_2086 Depth=1
	v_ffbh_u32_e32 v54, v54
	v_min_u32_e32 v54, 32, v54
	v_subrev_nc_u32_e32 v80, 28, v54
	v_lshlrev_b64 v[113:114], v80, v[2:3]
	v_sub_nc_u32_e32 v80, 29, v54
	v_and_b32_e32 v54, 7, v113
; %bb.3172:                             ;   in Loop: Header=BB314_2086 Depth=1
	s_or_b32 exec_lo, exec_lo, s28
	v_lshlrev_b32_e32 v2, 8, v2
	v_lshl_add_u32 v80, v80, 10, 0x2000
	v_lshlrev_b32_e32 v54, 23, v54
	v_and_or_b32 v2, 0x8000, v2, v80
	v_lshl_or_b32 v80, v2, 16, v54
.LBB314_3173:                           ;   in Loop: Header=BB314_2086 Depth=1
	s_or_b32 exec_lo, exec_lo, s27
.LBB314_3174:                           ;   in Loop: Header=BB314_2086 Depth=1
	s_or_b32 exec_lo, exec_lo, s26
.LBB314_3175:                           ;   in Loop: Header=BB314_2086 Depth=1
	s_or_b32 exec_lo, exec_lo, s25
	v_mov_b32_e32 v2, v18
	v_cmp_ne_u16_sdwa s12, v18, v3 src0_sel:BYTE_0 src1_sel:DWORD
	v_mov_b32_e32 v75, 0
	v_mov_b32_e32 v78, 0
	s_and_saveexec_b32 s25, s12
	s_cbranch_execz .LBB314_3183
; %bb.3176:                             ;   in Loop: Header=BB314_2086 Depth=1
	v_cmp_ne_u16_sdwa s12, v18, v55 src0_sel:BYTE_0 src1_sel:DWORD
	v_mov_b32_e32 v78, 0x8000
	s_and_saveexec_b32 s26, s12
	s_cbranch_execz .LBB314_3182
; %bb.3177:                             ;   in Loop: Header=BB314_2086 Depth=1
	v_and_b32_e32 v113, 0x7f, v18
	v_mov_b32_e32 v78, 0x7c01
	s_mov_b32 s27, exec_lo
	v_cmpx_ne_u32_e32 0x7f, v113
	s_cbranch_execz .LBB314_3181
; %bb.3178:                             ;   in Loop: Header=BB314_2086 Depth=1
	v_and_b32_e32 v54, 7, v18
	v_lshrrev_b32_e32 v78, 3, v113
	s_mov_b32 s28, exec_lo
	v_cmpx_gt_u32_e32 8, v113
; %bb.3179:                             ;   in Loop: Header=BB314_2086 Depth=1
	v_ffbh_u32_e32 v54, v54
	v_min_u32_e32 v54, 32, v54
	v_subrev_nc_u32_e32 v113, 28, v54
	v_sub_nc_u32_e32 v78, 29, v54
	v_lshlrev_b64 v[113:114], v113, v[2:3]
	v_and_b32_e32 v54, 7, v113
; %bb.3180:                             ;   in Loop: Header=BB314_2086 Depth=1
	s_or_b32 exec_lo, exec_lo, s28
	v_lshlrev_b32_e32 v113, 8, v18
	v_lshl_add_u32 v114, v78, 10, 0x2000
	v_lshlrev_b32_e32 v54, 7, v54
	v_and_b32_e32 v113, 0x8000, v113
	v_and_b32_e32 v114, 0xfc00, v114
	v_or3_b32 v78, v113, v114, v54
.LBB314_3181:                           ;   in Loop: Header=BB314_2086 Depth=1
	s_or_b32 exec_lo, exec_lo, s27
.LBB314_3182:                           ;   in Loop: Header=BB314_2086 Depth=1
	s_or_b32 exec_lo, exec_lo, s26
.LBB314_3183:                           ;   in Loop: Header=BB314_2086 Depth=1
	s_or_b32 exec_lo, exec_lo, s25
	v_lshrrev_b16 v2, 8, v2
	v_mov_b32_e32 v79, 0
	s_mov_b32 s25, exec_lo
	v_cmpx_ne_u16_e32 0, v2
	s_cbranch_execz .LBB314_3191
; %bb.3184:                             ;   in Loop: Header=BB314_2086 Depth=1
	v_bfrev_b32_e32 v79, 1
	s_mov_b32 s26, exec_lo
	v_cmpx_ne_u16_e32 0x80, v2
	s_cbranch_execz .LBB314_3190
; %bb.3185:                             ;   in Loop: Header=BB314_2086 Depth=1
	v_and_b32_sdwa v88, v2, v64 dst_sel:DWORD dst_unused:UNUSED_PAD src0_sel:WORD_0 src1_sel:DWORD
	v_mov_b32_e32 v79, 0x7c010000
	s_mov_b32 s27, exec_lo
	v_cmpx_ne_u32_e32 0x7f, v88
	s_cbranch_execz .LBB314_3189
; %bb.3186:                             ;   in Loop: Header=BB314_2086 Depth=1
	v_and_b32_sdwa v54, v2, v103 dst_sel:DWORD dst_unused:UNUSED_PAD src0_sel:WORD_0 src1_sel:DWORD
	v_lshrrev_b32_e32 v113, 3, v88
	s_mov_b32 s28, exec_lo
	v_cmpx_gt_u32_e32 8, v88
; %bb.3187:                             ;   in Loop: Header=BB314_2086 Depth=1
	v_ffbh_u32_e32 v54, v54
	v_min_u32_e32 v54, 32, v54
	v_subrev_nc_u32_e32 v113, 28, v54
	v_lshlrev_b64 v[90:91], v113, v[2:3]
	v_sub_nc_u32_e32 v113, 29, v54
	v_and_b32_e32 v54, 7, v90
; %bb.3188:                             ;   in Loop: Header=BB314_2086 Depth=1
	s_or_b32 exec_lo, exec_lo, s28
	v_lshlrev_b32_sdwa v2, v112, v2 dst_sel:DWORD dst_unused:UNUSED_PAD src0_sel:DWORD src1_sel:WORD_0
	v_lshl_add_u32 v113, v113, 10, 0x2000
	v_lshlrev_b32_e32 v54, 23, v54
	v_and_or_b32 v2, 0x8000, v2, v113
	v_lshl_or_b32 v79, v2, 16, v54
.LBB314_3189:                           ;   in Loop: Header=BB314_2086 Depth=1
	s_or_b32 exec_lo, exec_lo, s27
.LBB314_3190:                           ;   in Loop: Header=BB314_2086 Depth=1
	s_or_b32 exec_lo, exec_lo, s26
.LBB314_3191:                           ;   in Loop: Header=BB314_2086 Depth=1
	s_or_b32 exec_lo, exec_lo, s25
	v_lshrrev_b32_e32 v2, 16, v18
	v_cmp_ne_u16_sdwa s12, v2, v3 src0_sel:BYTE_0 src1_sel:DWORD
	s_and_saveexec_b32 s25, s12
	s_cbranch_execz .LBB314_3199
; %bb.3192:                             ;   in Loop: Header=BB314_2086 Depth=1
	v_cmp_ne_u16_sdwa s12, v2, v55 src0_sel:BYTE_0 src1_sel:DWORD
	v_mov_b32_e32 v75, 0x8000
	s_and_saveexec_b32 s26, s12
	s_cbranch_execz .LBB314_3198
; %bb.3193:                             ;   in Loop: Header=BB314_2086 Depth=1
	v_bfe_u32 v113, v18, 16, 7
	v_mov_b32_e32 v75, 0x7c01
	s_mov_b32 s27, exec_lo
	v_cmpx_ne_u32_e32 0x7f, v113
	s_cbranch_execz .LBB314_3197
; %bb.3194:                             ;   in Loop: Header=BB314_2086 Depth=1
	v_and_b32_e32 v54, 7, v2
	v_lshrrev_b32_e32 v75, 3, v113
	s_mov_b32 s28, exec_lo
	v_cmpx_gt_u32_e32 8, v113
; %bb.3195:                             ;   in Loop: Header=BB314_2086 Depth=1
	v_ffbh_u32_e32 v54, v54
	v_min_u32_e32 v54, 32, v54
	v_subrev_nc_u32_e32 v113, 28, v54
	v_sub_nc_u32_e32 v75, 29, v54
	v_lshlrev_b64 v[113:114], v113, v[2:3]
	v_and_b32_e32 v54, 7, v113
; %bb.3196:                             ;   in Loop: Header=BB314_2086 Depth=1
	s_or_b32 exec_lo, exec_lo, s28
	v_lshlrev_b32_e32 v2, 8, v2
	v_lshl_add_u32 v113, v75, 10, 0x2000
	v_lshlrev_b32_e32 v54, 7, v54
	v_and_b32_e32 v2, 0x8000, v2
	v_and_b32_e32 v113, 0xfc00, v113
	v_or3_b32 v75, v2, v113, v54
.LBB314_3197:                           ;   in Loop: Header=BB314_2086 Depth=1
	s_or_b32 exec_lo, exec_lo, s27
.LBB314_3198:                           ;   in Loop: Header=BB314_2086 Depth=1
	s_or_b32 exec_lo, exec_lo, s26
.LBB314_3199:                           ;   in Loop: Header=BB314_2086 Depth=1
	s_or_b32 exec_lo, exec_lo, s25
	v_cmp_lt_u64_e64 s12, s[22:23], v[17:18]
	v_mov_b32_e32 v17, 0
	s_and_saveexec_b32 s25, s12
	s_cbranch_execz .LBB314_3207
; %bb.3200:                             ;   in Loop: Header=BB314_2086 Depth=1
	v_lshrrev_b32_e32 v2, 24, v18
	v_bfrev_b32_e32 v17, 1
	s_mov_b32 s26, exec_lo
	v_cmpx_ne_u32_e32 0x80, v2
	s_cbranch_execz .LBB314_3206
; %bb.3201:                             ;   in Loop: Header=BB314_2086 Depth=1
	v_and_b32_e32 v54, 0x7f, v2
	v_mov_b32_e32 v17, 0x7c010000
	s_mov_b32 s27, exec_lo
	v_cmpx_ne_u32_e32 0x7f, v54
	s_cbranch_execz .LBB314_3205
; %bb.3202:                             ;   in Loop: Header=BB314_2086 Depth=1
	v_and_b32_e32 v17, 7, v2
	v_lshrrev_b32_e32 v18, 3, v54
	s_mov_b32 s28, exec_lo
	v_cmpx_gt_u32_e32 8, v54
; %bb.3203:                             ;   in Loop: Header=BB314_2086 Depth=1
	v_ffbh_u32_e32 v17, v17
	v_min_u32_e32 v54, 32, v17
	v_subrev_nc_u32_e32 v17, 28, v54
	v_lshlrev_b64 v[17:18], v17, v[2:3]
	v_sub_nc_u32_e32 v18, 29, v54
	v_and_b32_e32 v17, 7, v17
; %bb.3204:                             ;   in Loop: Header=BB314_2086 Depth=1
	s_or_b32 exec_lo, exec_lo, s28
	v_lshlrev_b32_e32 v2, 8, v2
	v_lshl_add_u32 v18, v18, 10, 0x2000
	v_lshlrev_b32_e32 v17, 23, v17
	v_and_or_b32 v2, 0x8000, v2, v18
	v_lshl_or_b32 v17, v2, 16, v17
.LBB314_3205:                           ;   in Loop: Header=BB314_2086 Depth=1
	s_or_b32 exec_lo, exec_lo, s27
.LBB314_3206:                           ;   in Loop: Header=BB314_2086 Depth=1
	s_or_b32 exec_lo, exec_lo, s26
.LBB314_3207:                           ;   in Loop: Header=BB314_2086 Depth=1
	s_or_b32 exec_lo, exec_lo, s25
	v_or_b32_e32 v2, v80, v86
	s_waitcnt vmcnt(0) lgkmcnt(0)
	v_fma_mixlo_f16 v18, v48, v80, 0 op_sel:[0,1,0] op_sel_hi:[0,1,0]
	v_or_b32_e32 v53, v52, v53
	v_or_b32_e32 v54, v79, v78
	;; [unrolled: 1-line block ×3, first 2 shown]
	v_fma_mixlo_f16 v80, v48, v2, 0 op_sel_hi:[0,1,0]
	v_fma_mixlo_f16 v52, v48, v52, 0 op_sel:[0,1,0] op_sel_hi:[0,1,0]
	v_lshlrev_b32_e32 v2, 16, v18
	v_fma_mixlo_f16 v53, v48, v53, 0 op_sel_hi:[0,1,0]
	v_fma_mixlo_f16 v54, v48, v54, 0 op_sel_hi:[0,1,0]
	v_and_b32_e32 v18, 0xffff, v80
	v_fma_mixlo_f16 v80, v48, v79, 0 op_sel:[0,1,0] op_sel_hi:[0,1,0]
	v_fma_mixlo_f16 v17, v48, v17, 0 op_sel:[0,1,0] op_sel_hi:[0,1,0]
	v_fma_mixlo_f16 v48, v48, v86, 0 op_sel_hi:[0,1,0]
	v_lshlrev_b32_e32 v52, 16, v52
	v_and_b32_e32 v113, 0xffff, v53
	v_lshlrev_b32_e32 v86, 16, v80
	v_and_b32_e32 v78, 0xffff, v54
	;; [unrolled: 2-line block ×3, first 2 shown]
	v_or_b32_e32 v17, v2, v18
	v_or_b32_e32 v54, v52, v113
	v_or_b32_e32 v53, v86, v78
	v_or_b32_e32 v48, v80, v75
	s_and_saveexec_b32 s12, s4
	s_cbranch_execz .LBB314_3209
; %bb.3208:                             ;   in Loop: Header=BB314_2086 Depth=1
	v_cndmask_b32_e32 v17, 0, v113, vcc_lo
	v_cndmask_b32_e64 v48, 0, v52, s7
	v_cndmask_b32_e64 v18, 0, v18, s5
	;; [unrolled: 1-line block ×7, first 2 shown]
	v_or_b32_e32 v54, v17, v48
	v_or_b32_e32 v17, v18, v2
	;; [unrolled: 1-line block ×4, first 2 shown]
.LBB314_3209:                           ;   in Loop: Header=BB314_2086 Depth=1
	s_or_b32 exec_lo, exec_lo, s12
	;;#ASMSTART
	v_pk_mul_f16 v2, v41, v54;

	;;#ASMEND
	;;#ASMSTART
	v_pk_mul_f16 v17, v40, v17;

	;;#ASMEND
	;; [unrolled: 4-line block ×4, first 2 shown]
	;;#ASMSTART
	v_pk_add_f16 v2, v2, v17;

	;;#ASMEND
	;;#ASMSTART
	v_pk_add_f16 v2, v2, v18;

	;;#ASMEND
	;; [unrolled: 4-line block ×3, first 2 shown]
	v_and_b32_e32 v17, 0xffff, v2
	v_lshrrev_b32_e32 v2, 16, v2
	;;#ASMSTART
	v_cvt_f32_f16 v52, v17;
	;;#ASMEND
	;;#ASMSTART
	v_cvt_f32_f16 v53, v2;
	;;#ASMEND
	flat_load_dwordx2 v[17:18], v[13:14] offset:256
	flat_load_dword v48, v[26:27]
	v_mov_b32_e32 v80, 0
	v_mov_b32_e32 v86, 0
	s_waitcnt vmcnt(1) lgkmcnt(1)
	v_cmp_ne_u16_sdwa s12, v17, v3 src0_sel:BYTE_0 src1_sel:DWORD
	s_and_saveexec_b32 s25, s12
	s_cbranch_execz .LBB314_3217
; %bb.3210:                             ;   in Loop: Header=BB314_2086 Depth=1
	v_cmp_ne_u16_sdwa s12, v17, v55 src0_sel:BYTE_0 src1_sel:DWORD
	v_mov_b32_e32 v86, 0x8000
	s_and_saveexec_b32 s26, s12
	s_cbranch_execz .LBB314_3216
; %bb.3211:                             ;   in Loop: Header=BB314_2086 Depth=1
	v_and_b32_e32 v113, 0x7f, v17
	v_mov_b32_e32 v86, 0x7c01
	s_mov_b32 s27, exec_lo
	v_cmpx_ne_u32_e32 0x7f, v113
	s_cbranch_execz .LBB314_3215
; %bb.3212:                             ;   in Loop: Header=BB314_2086 Depth=1
	v_and_b32_e32 v2, 7, v17
	v_lshrrev_b32_e32 v54, 3, v113
	s_mov_b32 s28, exec_lo
	v_cmpx_gt_u32_e32 8, v113
; %bb.3213:                             ;   in Loop: Header=BB314_2086 Depth=1
	v_ffbh_u32_e32 v2, v2
	v_min_u32_e32 v2, 32, v2
	v_subrev_nc_u32_e32 v54, 28, v2
	v_lshlrev_b64 v[113:114], v54, v[17:18]
	v_sub_nc_u32_e32 v54, 29, v2
	v_and_b32_e32 v2, 7, v113
; %bb.3214:                             ;   in Loop: Header=BB314_2086 Depth=1
	s_or_b32 exec_lo, exec_lo, s28
	v_lshlrev_b32_e32 v86, 8, v17
	v_lshl_add_u32 v54, v54, 10, 0x2000
	v_lshlrev_b32_e32 v2, 7, v2
	v_and_b32_e32 v86, 0x8000, v86
	v_and_b32_e32 v54, 0xfc00, v54
	v_or3_b32 v86, v86, v54, v2
.LBB314_3215:                           ;   in Loop: Header=BB314_2086 Depth=1
	s_or_b32 exec_lo, exec_lo, s27
.LBB314_3216:                           ;   in Loop: Header=BB314_2086 Depth=1
	s_or_b32 exec_lo, exec_lo, s26
.LBB314_3217:                           ;   in Loop: Header=BB314_2086 Depth=1
	s_or_b32 exec_lo, exec_lo, s25
	v_lshrrev_b16 v2, 8, v17
	s_mov_b32 s25, exec_lo
	v_cmpx_ne_u16_e32 0, v2
	s_cbranch_execz .LBB314_3225
; %bb.3218:                             ;   in Loop: Header=BB314_2086 Depth=1
	v_bfrev_b32_e32 v80, 1
	s_mov_b32 s26, exec_lo
	v_cmpx_ne_u16_e32 0x80, v2
	s_cbranch_execz .LBB314_3224
; %bb.3219:                             ;   in Loop: Header=BB314_2086 Depth=1
	v_and_b32_sdwa v113, v2, v64 dst_sel:DWORD dst_unused:UNUSED_PAD src0_sel:WORD_0 src1_sel:DWORD
	v_mov_b32_e32 v80, 0x7c010000
	s_mov_b32 s27, exec_lo
	v_cmpx_ne_u32_e32 0x7f, v113
	s_cbranch_execz .LBB314_3223
; %bb.3220:                             ;   in Loop: Header=BB314_2086 Depth=1
	v_and_b32_sdwa v54, v2, v103 dst_sel:DWORD dst_unused:UNUSED_PAD src0_sel:WORD_0 src1_sel:DWORD
	v_lshrrev_b32_e32 v80, 3, v113
	s_mov_b32 s28, exec_lo
	v_cmpx_gt_u32_e32 8, v113
; %bb.3221:                             ;   in Loop: Header=BB314_2086 Depth=1
	v_ffbh_u32_e32 v54, v54
	v_min_u32_e32 v54, 32, v54
	v_subrev_nc_u32_e32 v80, 28, v54
	v_lshlrev_b64 v[113:114], v80, v[2:3]
	v_sub_nc_u32_e32 v80, 29, v54
	v_and_b32_e32 v54, 7, v113
; %bb.3222:                             ;   in Loop: Header=BB314_2086 Depth=1
	s_or_b32 exec_lo, exec_lo, s28
	v_lshlrev_b32_sdwa v2, v112, v2 dst_sel:DWORD dst_unused:UNUSED_PAD src0_sel:DWORD src1_sel:WORD_0
	v_lshl_add_u32 v80, v80, 10, 0x2000
	v_lshlrev_b32_e32 v54, 23, v54
	v_and_or_b32 v2, 0x8000, v2, v80
	v_lshl_or_b32 v80, v2, 16, v54
.LBB314_3223:                           ;   in Loop: Header=BB314_2086 Depth=1
	s_or_b32 exec_lo, exec_lo, s27
.LBB314_3224:                           ;   in Loop: Header=BB314_2086 Depth=1
	s_or_b32 exec_lo, exec_lo, s26
.LBB314_3225:                           ;   in Loop: Header=BB314_2086 Depth=1
	s_or_b32 exec_lo, exec_lo, s25
	v_lshrrev_b32_e32 v2, 16, v17
	v_mov_b32_e32 v75, 0
	v_mov_b32_e32 v78, 0
	v_cmp_ne_u16_sdwa s12, v2, v3 src0_sel:BYTE_0 src1_sel:DWORD
	s_and_saveexec_b32 s25, s12
	s_cbranch_execz .LBB314_3233
; %bb.3226:                             ;   in Loop: Header=BB314_2086 Depth=1
	v_cmp_ne_u16_sdwa s12, v2, v55 src0_sel:BYTE_0 src1_sel:DWORD
	v_mov_b32_e32 v78, 0x8000
	s_and_saveexec_b32 s26, s12
	s_cbranch_execz .LBB314_3232
; %bb.3227:                             ;   in Loop: Header=BB314_2086 Depth=1
	v_bfe_u32 v113, v17, 16, 7
	v_mov_b32_e32 v78, 0x7c01
	s_mov_b32 s27, exec_lo
	v_cmpx_ne_u32_e32 0x7f, v113
	s_cbranch_execz .LBB314_3231
; %bb.3228:                             ;   in Loop: Header=BB314_2086 Depth=1
	v_and_b32_e32 v54, 7, v2
	v_lshrrev_b32_e32 v78, 3, v113
	s_mov_b32 s28, exec_lo
	v_cmpx_gt_u32_e32 8, v113
; %bb.3229:                             ;   in Loop: Header=BB314_2086 Depth=1
	v_ffbh_u32_e32 v54, v54
	v_min_u32_e32 v54, 32, v54
	v_subrev_nc_u32_e32 v113, 28, v54
	v_sub_nc_u32_e32 v78, 29, v54
	v_lshlrev_b64 v[113:114], v113, v[2:3]
	v_and_b32_e32 v54, 7, v113
; %bb.3230:                             ;   in Loop: Header=BB314_2086 Depth=1
	s_or_b32 exec_lo, exec_lo, s28
	v_lshlrev_b32_e32 v2, 8, v2
	v_lshl_add_u32 v113, v78, 10, 0x2000
	v_lshlrev_b32_e32 v54, 7, v54
	v_and_b32_e32 v2, 0x8000, v2
	v_and_b32_e32 v113, 0xfc00, v113
	v_or3_b32 v78, v2, v113, v54
.LBB314_3231:                           ;   in Loop: Header=BB314_2086 Depth=1
	s_or_b32 exec_lo, exec_lo, s27
.LBB314_3232:                           ;   in Loop: Header=BB314_2086 Depth=1
	s_or_b32 exec_lo, exec_lo, s26
.LBB314_3233:                           ;   in Loop: Header=BB314_2086 Depth=1
	s_or_b32 exec_lo, exec_lo, s25
	s_mov_b32 s25, exec_lo
	v_cmpx_lt_u32_e32 0xffffff, v17
	s_cbranch_execz .LBB314_3241
; %bb.3234:                             ;   in Loop: Header=BB314_2086 Depth=1
	v_lshrrev_b32_e32 v2, 24, v17
	v_bfrev_b32_e32 v75, 1
	s_mov_b32 s26, exec_lo
	v_cmpx_ne_u32_e32 0x80, v2
	s_cbranch_execz .LBB314_3240
; %bb.3235:                             ;   in Loop: Header=BB314_2086 Depth=1
	v_and_b32_e32 v79, 0x7f, v2
	v_mov_b32_e32 v75, 0x7c010000
	s_mov_b32 s27, exec_lo
	v_cmpx_ne_u32_e32 0x7f, v79
	s_cbranch_execz .LBB314_3239
; %bb.3236:                             ;   in Loop: Header=BB314_2086 Depth=1
	v_and_b32_e32 v54, 7, v2
	v_lshrrev_b32_e32 v113, 3, v79
	s_mov_b32 s28, exec_lo
	v_cmpx_gt_u32_e32 8, v79
; %bb.3237:                             ;   in Loop: Header=BB314_2086 Depth=1
	v_ffbh_u32_e32 v54, v54
	v_min_u32_e32 v54, 32, v54
	v_subrev_nc_u32_e32 v113, 28, v54
	v_lshlrev_b64 v[90:91], v113, v[2:3]
	v_sub_nc_u32_e32 v113, 29, v54
	v_and_b32_e32 v54, 7, v90
; %bb.3238:                             ;   in Loop: Header=BB314_2086 Depth=1
	s_or_b32 exec_lo, exec_lo, s28
	v_lshlrev_b32_e32 v2, 8, v2
	v_lshl_add_u32 v113, v113, 10, 0x2000
	v_lshlrev_b32_e32 v54, 23, v54
	v_and_or_b32 v2, 0x8000, v2, v113
	v_lshl_or_b32 v75, v2, 16, v54
.LBB314_3239:                           ;   in Loop: Header=BB314_2086 Depth=1
	s_or_b32 exec_lo, exec_lo, s27
.LBB314_3240:                           ;   in Loop: Header=BB314_2086 Depth=1
	s_or_b32 exec_lo, exec_lo, s26
.LBB314_3241:                           ;   in Loop: Header=BB314_2086 Depth=1
	s_or_b32 exec_lo, exec_lo, s25
	v_mov_b32_e32 v2, v18
	v_cmp_ne_u16_sdwa s12, v18, v3 src0_sel:BYTE_0 src1_sel:DWORD
	v_mov_b32_e32 v79, 0
	v_mov_b32_e32 v88, 0
	s_and_saveexec_b32 s25, s12
	s_cbranch_execz .LBB314_3249
; %bb.3242:                             ;   in Loop: Header=BB314_2086 Depth=1
	v_cmp_ne_u16_sdwa s12, v18, v55 src0_sel:BYTE_0 src1_sel:DWORD
	v_mov_b32_e32 v88, 0x8000
	s_and_saveexec_b32 s26, s12
	s_cbranch_execz .LBB314_3248
; %bb.3243:                             ;   in Loop: Header=BB314_2086 Depth=1
	v_and_b32_e32 v113, 0x7f, v18
	v_mov_b32_e32 v88, 0x7c01
	s_mov_b32 s27, exec_lo
	v_cmpx_ne_u32_e32 0x7f, v113
	s_cbranch_execz .LBB314_3247
; %bb.3244:                             ;   in Loop: Header=BB314_2086 Depth=1
	v_and_b32_e32 v54, 7, v18
	v_lshrrev_b32_e32 v88, 3, v113
	s_mov_b32 s28, exec_lo
	v_cmpx_gt_u32_e32 8, v113
; %bb.3245:                             ;   in Loop: Header=BB314_2086 Depth=1
	v_ffbh_u32_e32 v54, v54
	v_min_u32_e32 v54, 32, v54
	v_subrev_nc_u32_e32 v113, 28, v54
	v_sub_nc_u32_e32 v88, 29, v54
	v_lshlrev_b64 v[113:114], v113, v[2:3]
	v_and_b32_e32 v54, 7, v113
; %bb.3246:                             ;   in Loop: Header=BB314_2086 Depth=1
	s_or_b32 exec_lo, exec_lo, s28
	v_lshlrev_b32_e32 v113, 8, v18
	v_lshl_add_u32 v114, v88, 10, 0x2000
	v_lshlrev_b32_e32 v54, 7, v54
	v_and_b32_e32 v113, 0x8000, v113
	v_and_b32_e32 v114, 0xfc00, v114
	v_or3_b32 v88, v113, v114, v54
.LBB314_3247:                           ;   in Loop: Header=BB314_2086 Depth=1
	s_or_b32 exec_lo, exec_lo, s27
.LBB314_3248:                           ;   in Loop: Header=BB314_2086 Depth=1
	s_or_b32 exec_lo, exec_lo, s26
.LBB314_3249:                           ;   in Loop: Header=BB314_2086 Depth=1
	s_or_b32 exec_lo, exec_lo, s25
	v_lshrrev_b16 v2, 8, v2
	v_mov_b32_e32 v90, 0
	s_mov_b32 s25, exec_lo
	v_cmpx_ne_u16_e32 0, v2
	s_cbranch_execz .LBB314_3257
; %bb.3250:                             ;   in Loop: Header=BB314_2086 Depth=1
	v_bfrev_b32_e32 v90, 1
	s_mov_b32 s26, exec_lo
	v_cmpx_ne_u16_e32 0x80, v2
	s_cbranch_execz .LBB314_3256
; %bb.3251:                             ;   in Loop: Header=BB314_2086 Depth=1
	v_and_b32_sdwa v91, v2, v64 dst_sel:DWORD dst_unused:UNUSED_PAD src0_sel:WORD_0 src1_sel:DWORD
	v_mov_b32_e32 v90, 0x7c010000
	s_mov_b32 s27, exec_lo
	v_cmpx_ne_u32_e32 0x7f, v91
	s_cbranch_execz .LBB314_3255
; %bb.3252:                             ;   in Loop: Header=BB314_2086 Depth=1
	v_and_b32_sdwa v54, v2, v103 dst_sel:DWORD dst_unused:UNUSED_PAD src0_sel:WORD_0 src1_sel:DWORD
	v_lshrrev_b32_e32 v113, 3, v91
	s_mov_b32 s28, exec_lo
	v_cmpx_gt_u32_e32 8, v91
; %bb.3253:                             ;   in Loop: Header=BB314_2086 Depth=1
	v_ffbh_u32_e32 v54, v54
	v_min_u32_e32 v54, 32, v54
	v_subrev_nc_u32_e32 v113, 28, v54
	v_lshlrev_b64 v[90:91], v113, v[2:3]
	v_sub_nc_u32_e32 v113, 29, v54
	v_and_b32_e32 v54, 7, v90
; %bb.3254:                             ;   in Loop: Header=BB314_2086 Depth=1
	s_or_b32 exec_lo, exec_lo, s28
	v_lshlrev_b32_sdwa v2, v112, v2 dst_sel:DWORD dst_unused:UNUSED_PAD src0_sel:DWORD src1_sel:WORD_0
	v_lshl_add_u32 v113, v113, 10, 0x2000
	v_lshlrev_b32_e32 v54, 23, v54
	v_and_or_b32 v2, 0x8000, v2, v113
	v_lshl_or_b32 v90, v2, 16, v54
.LBB314_3255:                           ;   in Loop: Header=BB314_2086 Depth=1
	s_or_b32 exec_lo, exec_lo, s27
.LBB314_3256:                           ;   in Loop: Header=BB314_2086 Depth=1
	s_or_b32 exec_lo, exec_lo, s26
.LBB314_3257:                           ;   in Loop: Header=BB314_2086 Depth=1
	s_or_b32 exec_lo, exec_lo, s25
	v_lshrrev_b32_e32 v2, 16, v18
	v_cmp_ne_u16_sdwa s12, v2, v3 src0_sel:BYTE_0 src1_sel:DWORD
	s_and_saveexec_b32 s25, s12
	s_cbranch_execz .LBB314_3265
; %bb.3258:                             ;   in Loop: Header=BB314_2086 Depth=1
	v_cmp_ne_u16_sdwa s12, v2, v55 src0_sel:BYTE_0 src1_sel:DWORD
	v_mov_b32_e32 v79, 0x8000
	s_and_saveexec_b32 s26, s12
	s_cbranch_execz .LBB314_3264
; %bb.3259:                             ;   in Loop: Header=BB314_2086 Depth=1
	v_bfe_u32 v113, v18, 16, 7
	v_mov_b32_e32 v79, 0x7c01
	s_mov_b32 s27, exec_lo
	v_cmpx_ne_u32_e32 0x7f, v113
	s_cbranch_execz .LBB314_3263
; %bb.3260:                             ;   in Loop: Header=BB314_2086 Depth=1
	v_and_b32_e32 v54, 7, v2
	v_lshrrev_b32_e32 v79, 3, v113
	s_mov_b32 s28, exec_lo
	v_cmpx_gt_u32_e32 8, v113
; %bb.3261:                             ;   in Loop: Header=BB314_2086 Depth=1
	v_ffbh_u32_e32 v54, v54
	v_min_u32_e32 v54, 32, v54
	v_subrev_nc_u32_e32 v113, 28, v54
	v_sub_nc_u32_e32 v79, 29, v54
	v_lshlrev_b64 v[113:114], v113, v[2:3]
	v_and_b32_e32 v54, 7, v113
; %bb.3262:                             ;   in Loop: Header=BB314_2086 Depth=1
	s_or_b32 exec_lo, exec_lo, s28
	v_lshlrev_b32_e32 v2, 8, v2
	v_lshl_add_u32 v113, v79, 10, 0x2000
	v_lshlrev_b32_e32 v54, 7, v54
	v_and_b32_e32 v2, 0x8000, v2
	v_and_b32_e32 v113, 0xfc00, v113
	v_or3_b32 v79, v2, v113, v54
.LBB314_3263:                           ;   in Loop: Header=BB314_2086 Depth=1
	s_or_b32 exec_lo, exec_lo, s27
.LBB314_3264:                           ;   in Loop: Header=BB314_2086 Depth=1
	s_or_b32 exec_lo, exec_lo, s26
.LBB314_3265:                           ;   in Loop: Header=BB314_2086 Depth=1
	s_or_b32 exec_lo, exec_lo, s25
	v_cmp_lt_u64_e64 s12, s[22:23], v[17:18]
	v_mov_b32_e32 v17, 0
	s_and_saveexec_b32 s25, s12
	s_cbranch_execz .LBB314_3273
; %bb.3266:                             ;   in Loop: Header=BB314_2086 Depth=1
	v_lshrrev_b32_e32 v2, 24, v18
	v_bfrev_b32_e32 v17, 1
	s_mov_b32 s26, exec_lo
	v_cmpx_ne_u32_e32 0x80, v2
	s_cbranch_execz .LBB314_3272
; %bb.3267:                             ;   in Loop: Header=BB314_2086 Depth=1
	v_and_b32_e32 v54, 0x7f, v2
	v_mov_b32_e32 v17, 0x7c010000
	s_mov_b32 s27, exec_lo
	v_cmpx_ne_u32_e32 0x7f, v54
	s_cbranch_execz .LBB314_3271
; %bb.3268:                             ;   in Loop: Header=BB314_2086 Depth=1
	v_and_b32_e32 v17, 7, v2
	v_lshrrev_b32_e32 v18, 3, v54
	s_mov_b32 s28, exec_lo
	v_cmpx_gt_u32_e32 8, v54
; %bb.3269:                             ;   in Loop: Header=BB314_2086 Depth=1
	v_ffbh_u32_e32 v17, v17
	v_min_u32_e32 v54, 32, v17
	v_subrev_nc_u32_e32 v17, 28, v54
	v_lshlrev_b64 v[17:18], v17, v[2:3]
	v_sub_nc_u32_e32 v18, 29, v54
	v_and_b32_e32 v17, 7, v17
; %bb.3270:                             ;   in Loop: Header=BB314_2086 Depth=1
	s_or_b32 exec_lo, exec_lo, s28
	v_lshlrev_b32_e32 v2, 8, v2
	v_lshl_add_u32 v18, v18, 10, 0x2000
	v_lshlrev_b32_e32 v17, 23, v17
	v_and_or_b32 v2, 0x8000, v2, v18
	v_lshl_or_b32 v17, v2, 16, v17
.LBB314_3271:                           ;   in Loop: Header=BB314_2086 Depth=1
	s_or_b32 exec_lo, exec_lo, s27
.LBB314_3272:                           ;   in Loop: Header=BB314_2086 Depth=1
	s_or_b32 exec_lo, exec_lo, s26
.LBB314_3273:                           ;   in Loop: Header=BB314_2086 Depth=1
	s_or_b32 exec_lo, exec_lo, s25
	v_or_b32_e32 v2, v75, v78
	v_or_b32_e32 v86, v80, v86
	s_waitcnt vmcnt(0) lgkmcnt(0)
	v_fma_mixlo_f16 v54, v48, v80, 0 op_sel:[0,1,0] op_sel_hi:[0,1,0]
	v_or_b32_e32 v80, v90, v88
	v_or_b32_e32 v114, v17, v79
	v_fma_mixlo_f16 v18, v48, v75, 0 op_sel:[0,1,0] op_sel_hi:[0,1,0]
	v_fma_mixlo_f16 v113, v48, v2, 0 op_sel_hi:[0,1,0]
	v_fma_mixlo_f16 v86, v48, v86, 0 op_sel_hi:[0,1,0]
	v_fma_mixlo_f16 v115, v48, v90, 0 op_sel:[0,1,0] op_sel_hi:[0,1,0]
	v_fma_mixlo_f16 v80, v48, v80, 0 op_sel_hi:[0,1,0]
	v_fma_mixlo_f16 v17, v48, v17, 0 op_sel:[0,1,0] op_sel_hi:[0,1,0]
	v_fma_mixlo_f16 v48, v48, v114, 0 op_sel_hi:[0,1,0]
	v_lshlrev_b32_e32 v2, 16, v18
	v_lshlrev_b32_e32 v54, 16, v54
	v_and_b32_e32 v18, 0xffff, v113
	v_and_b32_e32 v113, 0xffff, v86
	v_lshlrev_b32_e32 v78, 16, v115
	v_and_b32_e32 v88, 0xffff, v80
	v_lshlrev_b32_e32 v75, 16, v17
	v_and_b32_e32 v79, 0xffff, v48
	v_or_b32_e32 v17, v2, v18
	v_or_b32_e32 v86, v54, v113
	;; [unrolled: 1-line block ×4, first 2 shown]
	s_and_saveexec_b32 s12, s4
	s_cbranch_execz .LBB314_3275
; %bb.3274:                             ;   in Loop: Header=BB314_2086 Depth=1
	v_cndmask_b32_e32 v17, 0, v113, vcc_lo
	v_cndmask_b32_e64 v48, 0, v54, s7
	v_cndmask_b32_e64 v18, 0, v18, s5
	;; [unrolled: 1-line block ×7, first 2 shown]
	v_or_b32_e32 v86, v17, v48
	v_or_b32_e32 v17, v18, v2
	;; [unrolled: 1-line block ×4, first 2 shown]
.LBB314_3275:                           ;   in Loop: Header=BB314_2086 Depth=1
	s_or_b32 exec_lo, exec_lo, s12
	;;#ASMSTART
	v_pk_mul_f16 v2, v41, v86;

	;;#ASMEND
	;;#ASMSTART
	v_pk_mul_f16 v17, v40, v17;

	;;#ASMEND
	;; [unrolled: 4-line block ×4, first 2 shown]
	;;#ASMSTART
	v_pk_add_f16 v2, v2, v17;

	;;#ASMEND
	;;#ASMSTART
	v_pk_add_f16 v2, v2, v18;

	;;#ASMEND
	;; [unrolled: 4-line block ×3, first 2 shown]
	v_and_b32_e32 v17, 0xffff, v2
	v_lshrrev_b32_e32 v2, 16, v2
	;;#ASMSTART
	v_cvt_f32_f16 v48, v17;
	;;#ASMEND
	;;#ASMSTART
	v_cvt_f32_f16 v79, v2;
	;;#ASMEND
	flat_load_dwordx2 v[17:18], v[13:14] offset:512
	flat_load_dword v80, v[26:27]
	v_mov_b32_e32 v86, 0
	v_mov_b32_e32 v75, 0
	s_waitcnt vmcnt(1) lgkmcnt(1)
	v_cmp_ne_u16_sdwa s12, v17, v3 src0_sel:BYTE_0 src1_sel:DWORD
	s_and_saveexec_b32 s25, s12
	s_cbranch_execz .LBB314_3283
; %bb.3276:                             ;   in Loop: Header=BB314_2086 Depth=1
	v_cmp_ne_u16_sdwa s12, v17, v55 src0_sel:BYTE_0 src1_sel:DWORD
	v_mov_b32_e32 v75, 0x8000
	s_and_saveexec_b32 s26, s12
	s_cbranch_execz .LBB314_3282
; %bb.3277:                             ;   in Loop: Header=BB314_2086 Depth=1
	v_and_b32_e32 v113, 0x7f, v17
	v_mov_b32_e32 v75, 0x7c01
	s_mov_b32 s27, exec_lo
	v_cmpx_ne_u32_e32 0x7f, v113
	s_cbranch_execz .LBB314_3281
; %bb.3278:                             ;   in Loop: Header=BB314_2086 Depth=1
	v_and_b32_e32 v2, 7, v17
	v_lshrrev_b32_e32 v54, 3, v113
	s_mov_b32 s28, exec_lo
	v_cmpx_gt_u32_e32 8, v113
; %bb.3279:                             ;   in Loop: Header=BB314_2086 Depth=1
	v_ffbh_u32_e32 v2, v2
	v_min_u32_e32 v2, 32, v2
	v_subrev_nc_u32_e32 v54, 28, v2
	v_lshlrev_b64 v[113:114], v54, v[17:18]
	v_sub_nc_u32_e32 v54, 29, v2
	v_and_b32_e32 v2, 7, v113
; %bb.3280:                             ;   in Loop: Header=BB314_2086 Depth=1
	s_or_b32 exec_lo, exec_lo, s28
	v_lshlrev_b32_e32 v113, 8, v17
	v_lshl_add_u32 v54, v54, 10, 0x2000
	v_lshlrev_b32_e32 v2, 7, v2
	v_and_b32_e32 v113, 0x8000, v113
	v_and_b32_e32 v54, 0xfc00, v54
	v_or3_b32 v75, v113, v54, v2
.LBB314_3281:                           ;   in Loop: Header=BB314_2086 Depth=1
	s_or_b32 exec_lo, exec_lo, s27
.LBB314_3282:                           ;   in Loop: Header=BB314_2086 Depth=1
	s_or_b32 exec_lo, exec_lo, s26
.LBB314_3283:                           ;   in Loop: Header=BB314_2086 Depth=1
	s_or_b32 exec_lo, exec_lo, s25
	v_lshrrev_b16 v2, 8, v17
	s_mov_b32 s25, exec_lo
	v_cmpx_ne_u16_e32 0, v2
	s_cbranch_execz .LBB314_3291
; %bb.3284:                             ;   in Loop: Header=BB314_2086 Depth=1
	v_bfrev_b32_e32 v86, 1
	s_mov_b32 s26, exec_lo
	v_cmpx_ne_u16_e32 0x80, v2
	s_cbranch_execz .LBB314_3290
; %bb.3285:                             ;   in Loop: Header=BB314_2086 Depth=1
	v_and_b32_sdwa v113, v2, v64 dst_sel:DWORD dst_unused:UNUSED_PAD src0_sel:WORD_0 src1_sel:DWORD
	v_mov_b32_e32 v86, 0x7c010000
	s_mov_b32 s27, exec_lo
	v_cmpx_ne_u32_e32 0x7f, v113
	s_cbranch_execz .LBB314_3289
; %bb.3286:                             ;   in Loop: Header=BB314_2086 Depth=1
	v_and_b32_sdwa v54, v2, v103 dst_sel:DWORD dst_unused:UNUSED_PAD src0_sel:WORD_0 src1_sel:DWORD
	v_lshrrev_b32_e32 v86, 3, v113
	s_mov_b32 s28, exec_lo
	v_cmpx_gt_u32_e32 8, v113
; %bb.3287:                             ;   in Loop: Header=BB314_2086 Depth=1
	v_ffbh_u32_e32 v54, v54
	v_min_u32_e32 v54, 32, v54
	v_subrev_nc_u32_e32 v86, 28, v54
	v_lshlrev_b64 v[113:114], v86, v[2:3]
	v_sub_nc_u32_e32 v86, 29, v54
	v_and_b32_e32 v54, 7, v113
; %bb.3288:                             ;   in Loop: Header=BB314_2086 Depth=1
	s_or_b32 exec_lo, exec_lo, s28
	v_lshlrev_b32_sdwa v2, v112, v2 dst_sel:DWORD dst_unused:UNUSED_PAD src0_sel:DWORD src1_sel:WORD_0
	v_lshl_add_u32 v86, v86, 10, 0x2000
	v_lshlrev_b32_e32 v54, 23, v54
	v_and_or_b32 v2, 0x8000, v2, v86
	v_lshl_or_b32 v86, v2, 16, v54
.LBB314_3289:                           ;   in Loop: Header=BB314_2086 Depth=1
	s_or_b32 exec_lo, exec_lo, s27
.LBB314_3290:                           ;   in Loop: Header=BB314_2086 Depth=1
	s_or_b32 exec_lo, exec_lo, s26
.LBB314_3291:                           ;   in Loop: Header=BB314_2086 Depth=1
	s_or_b32 exec_lo, exec_lo, s25
	v_lshrrev_b32_e32 v2, 16, v17
	v_mov_b32_e32 v78, 0
	v_mov_b32_e32 v88, 0
	v_cmp_ne_u16_sdwa s12, v2, v3 src0_sel:BYTE_0 src1_sel:DWORD
	s_and_saveexec_b32 s25, s12
	s_cbranch_execz .LBB314_3299
; %bb.3292:                             ;   in Loop: Header=BB314_2086 Depth=1
	v_cmp_ne_u16_sdwa s12, v2, v55 src0_sel:BYTE_0 src1_sel:DWORD
	v_mov_b32_e32 v88, 0x8000
	s_and_saveexec_b32 s26, s12
	s_cbranch_execz .LBB314_3298
; %bb.3293:                             ;   in Loop: Header=BB314_2086 Depth=1
	v_bfe_u32 v113, v17, 16, 7
	v_mov_b32_e32 v88, 0x7c01
	s_mov_b32 s27, exec_lo
	v_cmpx_ne_u32_e32 0x7f, v113
	s_cbranch_execz .LBB314_3297
; %bb.3294:                             ;   in Loop: Header=BB314_2086 Depth=1
	v_and_b32_e32 v54, 7, v2
	v_lshrrev_b32_e32 v88, 3, v113
	s_mov_b32 s28, exec_lo
	v_cmpx_gt_u32_e32 8, v113
; %bb.3295:                             ;   in Loop: Header=BB314_2086 Depth=1
	v_ffbh_u32_e32 v54, v54
	v_min_u32_e32 v54, 32, v54
	v_subrev_nc_u32_e32 v113, 28, v54
	v_sub_nc_u32_e32 v88, 29, v54
	v_lshlrev_b64 v[113:114], v113, v[2:3]
	v_and_b32_e32 v54, 7, v113
; %bb.3296:                             ;   in Loop: Header=BB314_2086 Depth=1
	s_or_b32 exec_lo, exec_lo, s28
	v_lshlrev_b32_e32 v2, 8, v2
	v_lshl_add_u32 v113, v88, 10, 0x2000
	v_lshlrev_b32_e32 v54, 7, v54
	v_and_b32_e32 v2, 0x8000, v2
	v_and_b32_e32 v113, 0xfc00, v113
	v_or3_b32 v88, v2, v113, v54
.LBB314_3297:                           ;   in Loop: Header=BB314_2086 Depth=1
	s_or_b32 exec_lo, exec_lo, s27
.LBB314_3298:                           ;   in Loop: Header=BB314_2086 Depth=1
	s_or_b32 exec_lo, exec_lo, s26
.LBB314_3299:                           ;   in Loop: Header=BB314_2086 Depth=1
	s_or_b32 exec_lo, exec_lo, s25
	s_mov_b32 s25, exec_lo
	v_cmpx_lt_u32_e32 0xffffff, v17
	s_cbranch_execz .LBB314_3307
; %bb.3300:                             ;   in Loop: Header=BB314_2086 Depth=1
	v_lshrrev_b32_e32 v2, 24, v17
	v_bfrev_b32_e32 v78, 1
	s_mov_b32 s26, exec_lo
	v_cmpx_ne_u32_e32 0x80, v2
	s_cbranch_execz .LBB314_3306
; %bb.3301:                             ;   in Loop: Header=BB314_2086 Depth=1
	v_and_b32_e32 v90, 0x7f, v2
	v_mov_b32_e32 v78, 0x7c010000
	s_mov_b32 s27, exec_lo
	v_cmpx_ne_u32_e32 0x7f, v90
	s_cbranch_execz .LBB314_3305
; %bb.3302:                             ;   in Loop: Header=BB314_2086 Depth=1
	v_and_b32_e32 v54, 7, v2
	v_lshrrev_b32_e32 v113, 3, v90
	s_mov_b32 s28, exec_lo
	v_cmpx_gt_u32_e32 8, v90
; %bb.3303:                             ;   in Loop: Header=BB314_2086 Depth=1
	v_ffbh_u32_e32 v54, v54
	v_min_u32_e32 v54, 32, v54
	v_subrev_nc_u32_e32 v113, 28, v54
	v_lshlrev_b64 v[90:91], v113, v[2:3]
	v_sub_nc_u32_e32 v113, 29, v54
	v_and_b32_e32 v54, 7, v90
; %bb.3304:                             ;   in Loop: Header=BB314_2086 Depth=1
	s_or_b32 exec_lo, exec_lo, s28
	v_lshlrev_b32_e32 v2, 8, v2
	v_lshl_add_u32 v113, v113, 10, 0x2000
	v_lshlrev_b32_e32 v54, 23, v54
	v_and_or_b32 v2, 0x8000, v2, v113
	v_lshl_or_b32 v78, v2, 16, v54
.LBB314_3305:                           ;   in Loop: Header=BB314_2086 Depth=1
	s_or_b32 exec_lo, exec_lo, s27
.LBB314_3306:                           ;   in Loop: Header=BB314_2086 Depth=1
	s_or_b32 exec_lo, exec_lo, s26
.LBB314_3307:                           ;   in Loop: Header=BB314_2086 Depth=1
	s_or_b32 exec_lo, exec_lo, s25
	v_mov_b32_e32 v2, v18
	v_cmp_ne_u16_sdwa s12, v18, v3 src0_sel:BYTE_0 src1_sel:DWORD
	v_mov_b32_e32 v90, 0
	v_mov_b32_e32 v91, 0
	s_and_saveexec_b32 s25, s12
	s_cbranch_execz .LBB314_3315
; %bb.3308:                             ;   in Loop: Header=BB314_2086 Depth=1
	v_cmp_ne_u16_sdwa s12, v18, v55 src0_sel:BYTE_0 src1_sel:DWORD
	v_mov_b32_e32 v91, 0x8000
	s_and_saveexec_b32 s26, s12
	s_cbranch_execz .LBB314_3314
; %bb.3309:                             ;   in Loop: Header=BB314_2086 Depth=1
	v_and_b32_e32 v113, 0x7f, v18
	v_mov_b32_e32 v91, 0x7c01
	s_mov_b32 s27, exec_lo
	v_cmpx_ne_u32_e32 0x7f, v113
	s_cbranch_execz .LBB314_3313
; %bb.3310:                             ;   in Loop: Header=BB314_2086 Depth=1
	v_and_b32_e32 v54, 7, v18
	v_lshrrev_b32_e32 v91, 3, v113
	s_mov_b32 s28, exec_lo
	v_cmpx_gt_u32_e32 8, v113
; %bb.3311:                             ;   in Loop: Header=BB314_2086 Depth=1
	v_ffbh_u32_e32 v54, v54
	v_min_u32_e32 v54, 32, v54
	v_subrev_nc_u32_e32 v113, 28, v54
	v_sub_nc_u32_e32 v91, 29, v54
	v_lshlrev_b64 v[113:114], v113, v[2:3]
	v_and_b32_e32 v54, 7, v113
; %bb.3312:                             ;   in Loop: Header=BB314_2086 Depth=1
	s_or_b32 exec_lo, exec_lo, s28
	v_lshlrev_b32_e32 v113, 8, v18
	v_lshl_add_u32 v114, v91, 10, 0x2000
	v_lshlrev_b32_e32 v54, 7, v54
	v_and_b32_e32 v113, 0x8000, v113
	v_and_b32_e32 v114, 0xfc00, v114
	v_or3_b32 v91, v113, v114, v54
.LBB314_3313:                           ;   in Loop: Header=BB314_2086 Depth=1
	s_or_b32 exec_lo, exec_lo, s27
.LBB314_3314:                           ;   in Loop: Header=BB314_2086 Depth=1
	s_or_b32 exec_lo, exec_lo, s26
.LBB314_3315:                           ;   in Loop: Header=BB314_2086 Depth=1
	s_or_b32 exec_lo, exec_lo, s25
	v_lshrrev_b16 v2, 8, v2
	v_mov_b32_e32 v92, 0
	s_mov_b32 s25, exec_lo
	v_cmpx_ne_u16_e32 0, v2
	s_cbranch_execz .LBB314_3323
; %bb.3316:                             ;   in Loop: Header=BB314_2086 Depth=1
	v_bfrev_b32_e32 v92, 1
	s_mov_b32 s26, exec_lo
	v_cmpx_ne_u16_e32 0x80, v2
	s_cbranch_execz .LBB314_3322
; %bb.3317:                             ;   in Loop: Header=BB314_2086 Depth=1
	v_and_b32_sdwa v93, v2, v64 dst_sel:DWORD dst_unused:UNUSED_PAD src0_sel:WORD_0 src1_sel:DWORD
	v_mov_b32_e32 v92, 0x7c010000
	s_mov_b32 s27, exec_lo
	v_cmpx_ne_u32_e32 0x7f, v93
	s_cbranch_execz .LBB314_3321
; %bb.3318:                             ;   in Loop: Header=BB314_2086 Depth=1
	v_and_b32_sdwa v54, v2, v103 dst_sel:DWORD dst_unused:UNUSED_PAD src0_sel:WORD_0 src1_sel:DWORD
	v_lshrrev_b32_e32 v113, 3, v93
	s_mov_b32 s28, exec_lo
	v_cmpx_gt_u32_e32 8, v93
; %bb.3319:                             ;   in Loop: Header=BB314_2086 Depth=1
	v_ffbh_u32_e32 v54, v54
	v_min_u32_e32 v54, 32, v54
	v_subrev_nc_u32_e32 v113, 28, v54
	v_lshlrev_b64 v[92:93], v113, v[2:3]
	v_sub_nc_u32_e32 v113, 29, v54
	v_and_b32_e32 v54, 7, v92
; %bb.3320:                             ;   in Loop: Header=BB314_2086 Depth=1
	s_or_b32 exec_lo, exec_lo, s28
	v_lshlrev_b32_sdwa v2, v112, v2 dst_sel:DWORD dst_unused:UNUSED_PAD src0_sel:DWORD src1_sel:WORD_0
	v_lshl_add_u32 v113, v113, 10, 0x2000
	v_lshlrev_b32_e32 v54, 23, v54
	v_and_or_b32 v2, 0x8000, v2, v113
	v_lshl_or_b32 v92, v2, 16, v54
.LBB314_3321:                           ;   in Loop: Header=BB314_2086 Depth=1
	s_or_b32 exec_lo, exec_lo, s27
.LBB314_3322:                           ;   in Loop: Header=BB314_2086 Depth=1
	s_or_b32 exec_lo, exec_lo, s26
.LBB314_3323:                           ;   in Loop: Header=BB314_2086 Depth=1
	s_or_b32 exec_lo, exec_lo, s25
	v_lshrrev_b32_e32 v2, 16, v18
	v_cmp_ne_u16_sdwa s12, v2, v3 src0_sel:BYTE_0 src1_sel:DWORD
	s_and_saveexec_b32 s25, s12
	s_cbranch_execz .LBB314_3331
; %bb.3324:                             ;   in Loop: Header=BB314_2086 Depth=1
	v_cmp_ne_u16_sdwa s12, v2, v55 src0_sel:BYTE_0 src1_sel:DWORD
	v_mov_b32_e32 v90, 0x8000
	s_and_saveexec_b32 s26, s12
	s_cbranch_execz .LBB314_3330
; %bb.3325:                             ;   in Loop: Header=BB314_2086 Depth=1
	v_bfe_u32 v113, v18, 16, 7
	v_mov_b32_e32 v90, 0x7c01
	s_mov_b32 s27, exec_lo
	v_cmpx_ne_u32_e32 0x7f, v113
	s_cbranch_execz .LBB314_3329
; %bb.3326:                             ;   in Loop: Header=BB314_2086 Depth=1
	v_and_b32_e32 v54, 7, v2
	v_lshrrev_b32_e32 v90, 3, v113
	s_mov_b32 s28, exec_lo
	v_cmpx_gt_u32_e32 8, v113
; %bb.3327:                             ;   in Loop: Header=BB314_2086 Depth=1
	v_ffbh_u32_e32 v54, v54
	v_min_u32_e32 v54, 32, v54
	v_subrev_nc_u32_e32 v113, 28, v54
	v_sub_nc_u32_e32 v90, 29, v54
	v_lshlrev_b64 v[113:114], v113, v[2:3]
	v_and_b32_e32 v54, 7, v113
; %bb.3328:                             ;   in Loop: Header=BB314_2086 Depth=1
	s_or_b32 exec_lo, exec_lo, s28
	v_lshlrev_b32_e32 v2, 8, v2
	v_lshl_add_u32 v113, v90, 10, 0x2000
	v_lshlrev_b32_e32 v54, 7, v54
	v_and_b32_e32 v2, 0x8000, v2
	v_and_b32_e32 v113, 0xfc00, v113
	v_or3_b32 v90, v2, v113, v54
.LBB314_3329:                           ;   in Loop: Header=BB314_2086 Depth=1
	s_or_b32 exec_lo, exec_lo, s27
.LBB314_3330:                           ;   in Loop: Header=BB314_2086 Depth=1
	s_or_b32 exec_lo, exec_lo, s26
.LBB314_3331:                           ;   in Loop: Header=BB314_2086 Depth=1
	s_or_b32 exec_lo, exec_lo, s25
	v_cmp_lt_u64_e64 s12, s[22:23], v[17:18]
	v_mov_b32_e32 v17, 0
	s_and_saveexec_b32 s25, s12
	s_cbranch_execz .LBB314_3339
; %bb.3332:                             ;   in Loop: Header=BB314_2086 Depth=1
	v_lshrrev_b32_e32 v2, 24, v18
	v_bfrev_b32_e32 v17, 1
	s_mov_b32 s26, exec_lo
	v_cmpx_ne_u32_e32 0x80, v2
	s_cbranch_execz .LBB314_3338
; %bb.3333:                             ;   in Loop: Header=BB314_2086 Depth=1
	v_and_b32_e32 v54, 0x7f, v2
	v_mov_b32_e32 v17, 0x7c010000
	s_mov_b32 s27, exec_lo
	v_cmpx_ne_u32_e32 0x7f, v54
	s_cbranch_execz .LBB314_3337
; %bb.3334:                             ;   in Loop: Header=BB314_2086 Depth=1
	v_and_b32_e32 v17, 7, v2
	v_lshrrev_b32_e32 v18, 3, v54
	s_mov_b32 s28, exec_lo
	v_cmpx_gt_u32_e32 8, v54
; %bb.3335:                             ;   in Loop: Header=BB314_2086 Depth=1
	v_ffbh_u32_e32 v17, v17
	v_min_u32_e32 v54, 32, v17
	v_subrev_nc_u32_e32 v17, 28, v54
	v_lshlrev_b64 v[17:18], v17, v[2:3]
	v_sub_nc_u32_e32 v18, 29, v54
	v_and_b32_e32 v17, 7, v17
; %bb.3336:                             ;   in Loop: Header=BB314_2086 Depth=1
	s_or_b32 exec_lo, exec_lo, s28
	v_lshlrev_b32_e32 v2, 8, v2
	v_lshl_add_u32 v18, v18, 10, 0x2000
	v_lshlrev_b32_e32 v17, 23, v17
	v_and_or_b32 v2, 0x8000, v2, v18
	v_lshl_or_b32 v17, v2, 16, v17
.LBB314_3337:                           ;   in Loop: Header=BB314_2086 Depth=1
	s_or_b32 exec_lo, exec_lo, s27
.LBB314_3338:                           ;   in Loop: Header=BB314_2086 Depth=1
	s_or_b32 exec_lo, exec_lo, s26
.LBB314_3339:                           ;   in Loop: Header=BB314_2086 Depth=1
	s_or_b32 exec_lo, exec_lo, s25
	v_or_b32_e32 v2, v78, v88
	s_waitcnt vmcnt(0) lgkmcnt(0)
	v_fma_mixlo_f16 v18, v80, v78, 0 op_sel:[0,1,0] op_sel_hi:[0,1,0]
	v_or_b32_e32 v113, v86, v75
	v_fma_mixlo_f16 v54, v80, v86, 0 op_sel:[0,1,0] op_sel_hi:[0,1,0]
	v_or_b32_e32 v86, v92, v91
	v_fma_mixlo_f16 v114, v80, v2, 0 op_sel_hi:[0,1,0]
	v_or_b32_e32 v115, v17, v90
	v_lshlrev_b32_e32 v2, 16, v18
	v_fma_mixlo_f16 v113, v80, v113, 0 op_sel_hi:[0,1,0]
	v_fma_mixlo_f16 v86, v80, v86, 0 op_sel_hi:[0,1,0]
	v_and_b32_e32 v18, 0xffff, v114
	v_fma_mixlo_f16 v114, v80, v92, 0 op_sel:[0,1,0] op_sel_hi:[0,1,0]
	v_fma_mixlo_f16 v17, v80, v17, 0 op_sel:[0,1,0] op_sel_hi:[0,1,0]
	v_fma_mixlo_f16 v80, v80, v115, 0 op_sel_hi:[0,1,0]
	v_lshlrev_b32_e32 v54, 16, v54
	v_and_b32_e32 v113, 0xffff, v113
	v_lshlrev_b32_e32 v88, 16, v114
	v_and_b32_e32 v91, 0xffff, v86
	;; [unrolled: 2-line block ×3, first 2 shown]
	v_or_b32_e32 v17, v2, v18
	v_or_b32_e32 v75, v54, v113
	;; [unrolled: 1-line block ×4, first 2 shown]
	s_and_saveexec_b32 s12, s4
	s_cbranch_execz .LBB314_3341
; %bb.3340:                             ;   in Loop: Header=BB314_2086 Depth=1
	v_cndmask_b32_e32 v17, 0, v113, vcc_lo
	v_cndmask_b32_e64 v54, 0, v54, s7
	v_cndmask_b32_e64 v18, 0, v18, s5
	;; [unrolled: 1-line block ×7, first 2 shown]
	v_or_b32_e32 v75, v17, v54
	v_or_b32_e32 v17, v18, v2
	;; [unrolled: 1-line block ×4, first 2 shown]
.LBB314_3341:                           ;   in Loop: Header=BB314_2086 Depth=1
	s_or_b32 exec_lo, exec_lo, s12
	;;#ASMSTART
	v_pk_mul_f16 v2, v41, v75;

	;;#ASMEND
	;;#ASMSTART
	v_pk_mul_f16 v17, v40, v17;

	;;#ASMEND
	;; [unrolled: 4-line block ×4, first 2 shown]
	;;#ASMSTART
	v_pk_add_f16 v2, v2, v17;

	;;#ASMEND
	;;#ASMSTART
	v_pk_add_f16 v2, v2, v18;

	;;#ASMEND
	;; [unrolled: 4-line block ×3, first 2 shown]
	v_and_b32_e32 v17, 0xffff, v2
	v_lshrrev_b32_e32 v2, 16, v2
	;;#ASMSTART
	v_cvt_f32_f16 v75, v17;
	;;#ASMEND
	;;#ASMSTART
	v_cvt_f32_f16 v86, v2;
	;;#ASMEND
	flat_load_dwordx2 v[17:18], v[13:14] offset:768
	flat_load_dword v80, v[26:27]
	v_mov_b32_e32 v78, 0
	v_mov_b32_e32 v88, 0
	s_waitcnt vmcnt(1) lgkmcnt(1)
	v_cmp_ne_u16_sdwa s12, v17, v3 src0_sel:BYTE_0 src1_sel:DWORD
	s_and_saveexec_b32 s25, s12
	s_cbranch_execz .LBB314_3349
; %bb.3342:                             ;   in Loop: Header=BB314_2086 Depth=1
	v_cmp_ne_u16_sdwa s12, v17, v55 src0_sel:BYTE_0 src1_sel:DWORD
	v_mov_b32_e32 v88, 0x8000
	s_and_saveexec_b32 s26, s12
	s_cbranch_execz .LBB314_3348
; %bb.3343:                             ;   in Loop: Header=BB314_2086 Depth=1
	v_and_b32_e32 v113, 0x7f, v17
	v_mov_b32_e32 v88, 0x7c01
	s_mov_b32 s27, exec_lo
	v_cmpx_ne_u32_e32 0x7f, v113
	s_cbranch_execz .LBB314_3347
; %bb.3344:                             ;   in Loop: Header=BB314_2086 Depth=1
	v_and_b32_e32 v2, 7, v17
	v_lshrrev_b32_e32 v54, 3, v113
	s_mov_b32 s28, exec_lo
	v_cmpx_gt_u32_e32 8, v113
; %bb.3345:                             ;   in Loop: Header=BB314_2086 Depth=1
	v_ffbh_u32_e32 v2, v2
	v_min_u32_e32 v2, 32, v2
	v_subrev_nc_u32_e32 v54, 28, v2
	v_lshlrev_b64 v[113:114], v54, v[17:18]
	v_sub_nc_u32_e32 v54, 29, v2
	v_and_b32_e32 v2, 7, v113
; %bb.3346:                             ;   in Loop: Header=BB314_2086 Depth=1
	s_or_b32 exec_lo, exec_lo, s28
	v_lshlrev_b32_e32 v113, 8, v17
	v_lshl_add_u32 v54, v54, 10, 0x2000
	v_lshlrev_b32_e32 v2, 7, v2
	v_and_b32_e32 v113, 0x8000, v113
	v_and_b32_e32 v54, 0xfc00, v54
	v_or3_b32 v88, v113, v54, v2
.LBB314_3347:                           ;   in Loop: Header=BB314_2086 Depth=1
	s_or_b32 exec_lo, exec_lo, s27
.LBB314_3348:                           ;   in Loop: Header=BB314_2086 Depth=1
	s_or_b32 exec_lo, exec_lo, s26
.LBB314_3349:                           ;   in Loop: Header=BB314_2086 Depth=1
	s_or_b32 exec_lo, exec_lo, s25
	v_lshrrev_b16 v2, 8, v17
	s_mov_b32 s25, exec_lo
	v_cmpx_ne_u16_e32 0, v2
	s_cbranch_execz .LBB314_3357
; %bb.3350:                             ;   in Loop: Header=BB314_2086 Depth=1
	v_bfrev_b32_e32 v78, 1
	s_mov_b32 s26, exec_lo
	v_cmpx_ne_u16_e32 0x80, v2
	s_cbranch_execz .LBB314_3356
; %bb.3351:                             ;   in Loop: Header=BB314_2086 Depth=1
	v_and_b32_sdwa v90, v2, v64 dst_sel:DWORD dst_unused:UNUSED_PAD src0_sel:WORD_0 src1_sel:DWORD
	v_mov_b32_e32 v78, 0x7c010000
	s_mov_b32 s27, exec_lo
	v_cmpx_ne_u32_e32 0x7f, v90
	s_cbranch_execz .LBB314_3355
; %bb.3352:                             ;   in Loop: Header=BB314_2086 Depth=1
	v_and_b32_sdwa v54, v2, v103 dst_sel:DWORD dst_unused:UNUSED_PAD src0_sel:WORD_0 src1_sel:DWORD
	v_lshrrev_b32_e32 v113, 3, v90
	s_mov_b32 s28, exec_lo
	v_cmpx_gt_u32_e32 8, v90
; %bb.3353:                             ;   in Loop: Header=BB314_2086 Depth=1
	v_ffbh_u32_e32 v54, v54
	v_min_u32_e32 v54, 32, v54
	v_subrev_nc_u32_e32 v113, 28, v54
	v_lshlrev_b64 v[90:91], v113, v[2:3]
	v_sub_nc_u32_e32 v113, 29, v54
	v_and_b32_e32 v54, 7, v90
; %bb.3354:                             ;   in Loop: Header=BB314_2086 Depth=1
	s_or_b32 exec_lo, exec_lo, s28
	v_lshlrev_b32_sdwa v2, v112, v2 dst_sel:DWORD dst_unused:UNUSED_PAD src0_sel:DWORD src1_sel:WORD_0
	v_lshl_add_u32 v113, v113, 10, 0x2000
	v_lshlrev_b32_e32 v54, 23, v54
	v_and_or_b32 v2, 0x8000, v2, v113
	v_lshl_or_b32 v78, v2, 16, v54
.LBB314_3355:                           ;   in Loop: Header=BB314_2086 Depth=1
	s_or_b32 exec_lo, exec_lo, s27
.LBB314_3356:                           ;   in Loop: Header=BB314_2086 Depth=1
	s_or_b32 exec_lo, exec_lo, s26
.LBB314_3357:                           ;   in Loop: Header=BB314_2086 Depth=1
	s_or_b32 exec_lo, exec_lo, s25
	v_lshrrev_b32_e32 v2, 16, v17
	v_mov_b32_e32 v90, 0
	v_mov_b32_e32 v91, 0
	v_cmp_ne_u16_sdwa s12, v2, v3 src0_sel:BYTE_0 src1_sel:DWORD
	s_and_saveexec_b32 s25, s12
	s_cbranch_execz .LBB314_3365
; %bb.3358:                             ;   in Loop: Header=BB314_2086 Depth=1
	v_cmp_ne_u16_sdwa s12, v2, v55 src0_sel:BYTE_0 src1_sel:DWORD
	v_mov_b32_e32 v91, 0x8000
	s_and_saveexec_b32 s26, s12
	s_cbranch_execz .LBB314_3364
; %bb.3359:                             ;   in Loop: Header=BB314_2086 Depth=1
	v_bfe_u32 v113, v17, 16, 7
	v_mov_b32_e32 v91, 0x7c01
	s_mov_b32 s27, exec_lo
	v_cmpx_ne_u32_e32 0x7f, v113
	s_cbranch_execz .LBB314_3363
; %bb.3360:                             ;   in Loop: Header=BB314_2086 Depth=1
	v_and_b32_e32 v54, 7, v2
	v_lshrrev_b32_e32 v91, 3, v113
	s_mov_b32 s28, exec_lo
	v_cmpx_gt_u32_e32 8, v113
; %bb.3361:                             ;   in Loop: Header=BB314_2086 Depth=1
	v_ffbh_u32_e32 v54, v54
	v_min_u32_e32 v54, 32, v54
	v_subrev_nc_u32_e32 v113, 28, v54
	v_sub_nc_u32_e32 v91, 29, v54
	v_lshlrev_b64 v[113:114], v113, v[2:3]
	v_and_b32_e32 v54, 7, v113
; %bb.3362:                             ;   in Loop: Header=BB314_2086 Depth=1
	s_or_b32 exec_lo, exec_lo, s28
	v_lshlrev_b32_e32 v2, 8, v2
	v_lshl_add_u32 v113, v91, 10, 0x2000
	v_lshlrev_b32_e32 v54, 7, v54
	v_and_b32_e32 v2, 0x8000, v2
	v_and_b32_e32 v113, 0xfc00, v113
	v_or3_b32 v91, v2, v113, v54
.LBB314_3363:                           ;   in Loop: Header=BB314_2086 Depth=1
	s_or_b32 exec_lo, exec_lo, s27
.LBB314_3364:                           ;   in Loop: Header=BB314_2086 Depth=1
	s_or_b32 exec_lo, exec_lo, s26
.LBB314_3365:                           ;   in Loop: Header=BB314_2086 Depth=1
	s_or_b32 exec_lo, exec_lo, s25
	s_mov_b32 s25, exec_lo
	v_cmpx_lt_u32_e32 0xffffff, v17
	s_cbranch_execz .LBB314_3373
; %bb.3366:                             ;   in Loop: Header=BB314_2086 Depth=1
	v_lshrrev_b32_e32 v2, 24, v17
	v_bfrev_b32_e32 v90, 1
	s_mov_b32 s26, exec_lo
	v_cmpx_ne_u32_e32 0x80, v2
	s_cbranch_execz .LBB314_3372
; %bb.3367:                             ;   in Loop: Header=BB314_2086 Depth=1
	v_and_b32_e32 v92, 0x7f, v2
	v_mov_b32_e32 v90, 0x7c010000
	s_mov_b32 s27, exec_lo
	v_cmpx_ne_u32_e32 0x7f, v92
	s_cbranch_execz .LBB314_3371
; %bb.3368:                             ;   in Loop: Header=BB314_2086 Depth=1
	v_and_b32_e32 v54, 7, v2
	v_lshrrev_b32_e32 v113, 3, v92
	s_mov_b32 s28, exec_lo
	v_cmpx_gt_u32_e32 8, v92
; %bb.3369:                             ;   in Loop: Header=BB314_2086 Depth=1
	v_ffbh_u32_e32 v54, v54
	v_min_u32_e32 v54, 32, v54
	v_subrev_nc_u32_e32 v113, 28, v54
	v_lshlrev_b64 v[92:93], v113, v[2:3]
	v_sub_nc_u32_e32 v113, 29, v54
	v_and_b32_e32 v54, 7, v92
; %bb.3370:                             ;   in Loop: Header=BB314_2086 Depth=1
	s_or_b32 exec_lo, exec_lo, s28
	v_lshlrev_b32_e32 v2, 8, v2
	v_lshl_add_u32 v113, v113, 10, 0x2000
	v_lshlrev_b32_e32 v54, 23, v54
	v_and_or_b32 v2, 0x8000, v2, v113
	v_lshl_or_b32 v90, v2, 16, v54
.LBB314_3371:                           ;   in Loop: Header=BB314_2086 Depth=1
	s_or_b32 exec_lo, exec_lo, s27
.LBB314_3372:                           ;   in Loop: Header=BB314_2086 Depth=1
	s_or_b32 exec_lo, exec_lo, s26
.LBB314_3373:                           ;   in Loop: Header=BB314_2086 Depth=1
	s_or_b32 exec_lo, exec_lo, s25
	v_mov_b32_e32 v2, v18
	v_cmp_ne_u16_sdwa s12, v18, v3 src0_sel:BYTE_0 src1_sel:DWORD
	v_mov_b32_e32 v92, 0
	v_mov_b32_e32 v93, 0
	s_and_saveexec_b32 s25, s12
	s_cbranch_execz .LBB314_3381
; %bb.3374:                             ;   in Loop: Header=BB314_2086 Depth=1
	v_cmp_ne_u16_sdwa s12, v18, v55 src0_sel:BYTE_0 src1_sel:DWORD
	v_mov_b32_e32 v93, 0x8000
	s_and_saveexec_b32 s26, s12
	s_cbranch_execz .LBB314_3380
; %bb.3375:                             ;   in Loop: Header=BB314_2086 Depth=1
	v_and_b32_e32 v113, 0x7f, v18
	v_mov_b32_e32 v93, 0x7c01
	s_mov_b32 s27, exec_lo
	v_cmpx_ne_u32_e32 0x7f, v113
	s_cbranch_execz .LBB314_3379
; %bb.3376:                             ;   in Loop: Header=BB314_2086 Depth=1
	v_and_b32_e32 v54, 7, v18
	v_lshrrev_b32_e32 v93, 3, v113
	s_mov_b32 s28, exec_lo
	v_cmpx_gt_u32_e32 8, v113
; %bb.3377:                             ;   in Loop: Header=BB314_2086 Depth=1
	v_ffbh_u32_e32 v54, v54
	v_min_u32_e32 v54, 32, v54
	v_subrev_nc_u32_e32 v113, 28, v54
	v_sub_nc_u32_e32 v93, 29, v54
	v_lshlrev_b64 v[113:114], v113, v[2:3]
	v_and_b32_e32 v54, 7, v113
; %bb.3378:                             ;   in Loop: Header=BB314_2086 Depth=1
	s_or_b32 exec_lo, exec_lo, s28
	v_lshlrev_b32_e32 v113, 8, v18
	v_lshl_add_u32 v114, v93, 10, 0x2000
	v_lshlrev_b32_e32 v54, 7, v54
	v_and_b32_e32 v113, 0x8000, v113
	v_and_b32_e32 v114, 0xfc00, v114
	v_or3_b32 v93, v113, v114, v54
.LBB314_3379:                           ;   in Loop: Header=BB314_2086 Depth=1
	s_or_b32 exec_lo, exec_lo, s27
.LBB314_3380:                           ;   in Loop: Header=BB314_2086 Depth=1
	s_or_b32 exec_lo, exec_lo, s26
.LBB314_3381:                           ;   in Loop: Header=BB314_2086 Depth=1
	s_or_b32 exec_lo, exec_lo, s25
	v_lshrrev_b16 v2, 8, v2
	v_mov_b32_e32 v94, 0
	s_mov_b32 s25, exec_lo
	v_cmpx_ne_u16_e32 0, v2
	s_cbranch_execz .LBB314_3389
; %bb.3382:                             ;   in Loop: Header=BB314_2086 Depth=1
	v_bfrev_b32_e32 v94, 1
	s_mov_b32 s26, exec_lo
	v_cmpx_ne_u16_e32 0x80, v2
	s_cbranch_execz .LBB314_3388
; %bb.3383:                             ;   in Loop: Header=BB314_2086 Depth=1
	v_and_b32_sdwa v95, v2, v64 dst_sel:DWORD dst_unused:UNUSED_PAD src0_sel:WORD_0 src1_sel:DWORD
	v_mov_b32_e32 v94, 0x7c010000
	s_mov_b32 s27, exec_lo
	v_cmpx_ne_u32_e32 0x7f, v95
	s_cbranch_execz .LBB314_3387
; %bb.3384:                             ;   in Loop: Header=BB314_2086 Depth=1
	v_and_b32_sdwa v54, v2, v103 dst_sel:DWORD dst_unused:UNUSED_PAD src0_sel:WORD_0 src1_sel:DWORD
	v_lshrrev_b32_e32 v113, 3, v95
	s_mov_b32 s28, exec_lo
	v_cmpx_gt_u32_e32 8, v95
; %bb.3385:                             ;   in Loop: Header=BB314_2086 Depth=1
	v_ffbh_u32_e32 v54, v54
	v_min_u32_e32 v54, 32, v54
	v_subrev_nc_u32_e32 v113, 28, v54
	v_lshlrev_b64 v[94:95], v113, v[2:3]
	v_sub_nc_u32_e32 v113, 29, v54
	v_and_b32_e32 v54, 7, v94
; %bb.3386:                             ;   in Loop: Header=BB314_2086 Depth=1
	s_or_b32 exec_lo, exec_lo, s28
	v_lshlrev_b32_sdwa v2, v112, v2 dst_sel:DWORD dst_unused:UNUSED_PAD src0_sel:DWORD src1_sel:WORD_0
	v_lshl_add_u32 v113, v113, 10, 0x2000
	v_lshlrev_b32_e32 v54, 23, v54
	v_and_or_b32 v2, 0x8000, v2, v113
	v_lshl_or_b32 v94, v2, 16, v54
.LBB314_3387:                           ;   in Loop: Header=BB314_2086 Depth=1
	s_or_b32 exec_lo, exec_lo, s27
.LBB314_3388:                           ;   in Loop: Header=BB314_2086 Depth=1
	s_or_b32 exec_lo, exec_lo, s26
.LBB314_3389:                           ;   in Loop: Header=BB314_2086 Depth=1
	s_or_b32 exec_lo, exec_lo, s25
	v_lshrrev_b32_e32 v2, 16, v18
	v_cmp_ne_u16_sdwa s12, v2, v3 src0_sel:BYTE_0 src1_sel:DWORD
	s_and_saveexec_b32 s25, s12
	s_cbranch_execz .LBB314_3397
; %bb.3390:                             ;   in Loop: Header=BB314_2086 Depth=1
	v_cmp_ne_u16_sdwa s12, v2, v55 src0_sel:BYTE_0 src1_sel:DWORD
	v_mov_b32_e32 v92, 0x8000
	s_and_saveexec_b32 s26, s12
	s_cbranch_execz .LBB314_3396
; %bb.3391:                             ;   in Loop: Header=BB314_2086 Depth=1
	v_bfe_u32 v113, v18, 16, 7
	v_mov_b32_e32 v92, 0x7c01
	s_mov_b32 s27, exec_lo
	v_cmpx_ne_u32_e32 0x7f, v113
	s_cbranch_execz .LBB314_3395
; %bb.3392:                             ;   in Loop: Header=BB314_2086 Depth=1
	v_and_b32_e32 v54, 7, v2
	v_lshrrev_b32_e32 v92, 3, v113
	s_mov_b32 s28, exec_lo
	v_cmpx_gt_u32_e32 8, v113
; %bb.3393:                             ;   in Loop: Header=BB314_2086 Depth=1
	v_ffbh_u32_e32 v54, v54
	v_min_u32_e32 v54, 32, v54
	v_subrev_nc_u32_e32 v113, 28, v54
	v_sub_nc_u32_e32 v92, 29, v54
	v_lshlrev_b64 v[113:114], v113, v[2:3]
	v_and_b32_e32 v54, 7, v113
; %bb.3394:                             ;   in Loop: Header=BB314_2086 Depth=1
	s_or_b32 exec_lo, exec_lo, s28
	v_lshlrev_b32_e32 v2, 8, v2
	v_lshl_add_u32 v113, v92, 10, 0x2000
	v_lshlrev_b32_e32 v54, 7, v54
	v_and_b32_e32 v2, 0x8000, v2
	v_and_b32_e32 v113, 0xfc00, v113
	v_or3_b32 v92, v2, v113, v54
.LBB314_3395:                           ;   in Loop: Header=BB314_2086 Depth=1
	s_or_b32 exec_lo, exec_lo, s27
.LBB314_3396:                           ;   in Loop: Header=BB314_2086 Depth=1
	s_or_b32 exec_lo, exec_lo, s26
.LBB314_3397:                           ;   in Loop: Header=BB314_2086 Depth=1
	s_or_b32 exec_lo, exec_lo, s25
	v_cmp_lt_u64_e64 s12, s[22:23], v[17:18]
	v_mov_b32_e32 v17, 0
	s_and_saveexec_b32 s25, s12
	s_cbranch_execz .LBB314_3405
; %bb.3398:                             ;   in Loop: Header=BB314_2086 Depth=1
	v_lshrrev_b32_e32 v2, 24, v18
	v_bfrev_b32_e32 v17, 1
	s_mov_b32 s26, exec_lo
	v_cmpx_ne_u32_e32 0x80, v2
	s_cbranch_execz .LBB314_3404
; %bb.3399:                             ;   in Loop: Header=BB314_2086 Depth=1
	v_and_b32_e32 v54, 0x7f, v2
	v_mov_b32_e32 v17, 0x7c010000
	s_mov_b32 s27, exec_lo
	v_cmpx_ne_u32_e32 0x7f, v54
	s_cbranch_execz .LBB314_3403
; %bb.3400:                             ;   in Loop: Header=BB314_2086 Depth=1
	v_and_b32_e32 v17, 7, v2
	v_lshrrev_b32_e32 v18, 3, v54
	s_mov_b32 s28, exec_lo
	v_cmpx_gt_u32_e32 8, v54
; %bb.3401:                             ;   in Loop: Header=BB314_2086 Depth=1
	v_ffbh_u32_e32 v17, v17
	v_min_u32_e32 v54, 32, v17
	v_subrev_nc_u32_e32 v17, 28, v54
	v_lshlrev_b64 v[17:18], v17, v[2:3]
	v_sub_nc_u32_e32 v18, 29, v54
	v_and_b32_e32 v17, 7, v17
; %bb.3402:                             ;   in Loop: Header=BB314_2086 Depth=1
	s_or_b32 exec_lo, exec_lo, s28
	v_lshlrev_b32_e32 v2, 8, v2
	v_lshl_add_u32 v18, v18, 10, 0x2000
	v_lshlrev_b32_e32 v17, 23, v17
	v_and_or_b32 v2, 0x8000, v2, v18
	v_lshl_or_b32 v17, v2, 16, v17
.LBB314_3403:                           ;   in Loop: Header=BB314_2086 Depth=1
	s_or_b32 exec_lo, exec_lo, s27
.LBB314_3404:                           ;   in Loop: Header=BB314_2086 Depth=1
	s_or_b32 exec_lo, exec_lo, s26
.LBB314_3405:                           ;   in Loop: Header=BB314_2086 Depth=1
	s_or_b32 exec_lo, exec_lo, s25
	v_or_b32_e32 v2, v90, v91
	s_waitcnt vmcnt(0) lgkmcnt(0)
	v_fma_mixlo_f16 v18, v80, v90, 0 op_sel:[0,1,0] op_sel_hi:[0,1,0]
	v_or_b32_e32 v113, v78, v88
	v_fma_mixlo_f16 v54, v80, v78, 0 op_sel:[0,1,0] op_sel_hi:[0,1,0]
	v_or_b32_e32 v114, v94, v93
	v_fma_mixlo_f16 v115, v80, v2, 0 op_sel_hi:[0,1,0]
	v_or_b32_e32 v78, v17, v92
	v_lshlrev_b32_e32 v2, 16, v18
	v_fma_mixlo_f16 v113, v80, v113, 0 op_sel_hi:[0,1,0]
	v_fma_mixlo_f16 v114, v80, v114, 0 op_sel_hi:[0,1,0]
	v_and_b32_e32 v18, 0xffff, v115
	v_fma_mixlo_f16 v115, v80, v94, 0 op_sel:[0,1,0] op_sel_hi:[0,1,0]
	v_fma_mixlo_f16 v17, v80, v17, 0 op_sel:[0,1,0] op_sel_hi:[0,1,0]
	v_fma_mixlo_f16 v80, v80, v78, 0 op_sel_hi:[0,1,0]
	v_lshlrev_b32_e32 v54, 16, v54
	v_and_b32_e32 v113, 0xffff, v113
	v_lshlrev_b32_e32 v91, 16, v115
	v_and_b32_e32 v93, 0xffff, v114
	;; [unrolled: 2-line block ×3, first 2 shown]
	v_or_b32_e32 v17, v2, v18
	v_or_b32_e32 v88, v54, v113
	;; [unrolled: 1-line block ×4, first 2 shown]
	s_and_saveexec_b32 s12, s4
	s_cbranch_execz .LBB314_3407
; %bb.3406:                             ;   in Loop: Header=BB314_2086 Depth=1
	v_cndmask_b32_e32 v17, 0, v113, vcc_lo
	v_cndmask_b32_e64 v54, 0, v54, s7
	v_cndmask_b32_e64 v18, 0, v18, s5
	v_cndmask_b32_e64 v2, 0, v2, s6
	v_cndmask_b32_e64 v80, 0, v93, s8
	v_cndmask_b32_e64 v113, 0, v91, s9
	v_cndmask_b32_e64 v114, 0, v92, s10
	v_cndmask_b32_e64 v115, 0, v90, s11
	v_or_b32_e32 v88, v17, v54
	v_or_b32_e32 v17, v18, v2
	;; [unrolled: 1-line block ×4, first 2 shown]
.LBB314_3407:                           ;   in Loop: Header=BB314_2086 Depth=1
	s_or_b32 exec_lo, exec_lo, s12
	;;#ASMSTART
	v_pk_mul_f16 v2, v41, v88;

	;;#ASMEND
	;;#ASMSTART
	v_pk_mul_f16 v17, v40, v17;

	;;#ASMEND
	;; [unrolled: 4-line block ×4, first 2 shown]
	;;#ASMSTART
	v_pk_add_f16 v2, v2, v17;

	;;#ASMEND
	;;#ASMSTART
	v_pk_add_f16 v2, v2, v18;

	;;#ASMEND
	;; [unrolled: 4-line block ×3, first 2 shown]
	v_and_b32_e32 v17, 0xffff, v2
	v_lshrrev_b32_e32 v2, 16, v2
	;;#ASMSTART
	v_cvt_f32_f16 v90, v17;
	;;#ASMEND
	;;#ASMSTART
	v_cvt_f32_f16 v91, v2;
	;;#ASMEND
	flat_load_dwordx2 v[17:18], v[13:14] offset:1024
	flat_load_dword v80, v[26:27]
	v_mov_b32_e32 v78, 0
	v_mov_b32_e32 v88, 0
	s_waitcnt vmcnt(1) lgkmcnt(1)
	v_cmp_ne_u16_sdwa s12, v17, v3 src0_sel:BYTE_0 src1_sel:DWORD
	s_and_saveexec_b32 s25, s12
	s_cbranch_execz .LBB314_3415
; %bb.3408:                             ;   in Loop: Header=BB314_2086 Depth=1
	v_cmp_ne_u16_sdwa s12, v17, v55 src0_sel:BYTE_0 src1_sel:DWORD
	v_mov_b32_e32 v88, 0x8000
	s_and_saveexec_b32 s26, s12
	s_cbranch_execz .LBB314_3414
; %bb.3409:                             ;   in Loop: Header=BB314_2086 Depth=1
	v_and_b32_e32 v113, 0x7f, v17
	v_mov_b32_e32 v88, 0x7c01
	s_mov_b32 s27, exec_lo
	v_cmpx_ne_u32_e32 0x7f, v113
	s_cbranch_execz .LBB314_3413
; %bb.3410:                             ;   in Loop: Header=BB314_2086 Depth=1
	v_and_b32_e32 v2, 7, v17
	v_lshrrev_b32_e32 v54, 3, v113
	s_mov_b32 s28, exec_lo
	v_cmpx_gt_u32_e32 8, v113
; %bb.3411:                             ;   in Loop: Header=BB314_2086 Depth=1
	v_ffbh_u32_e32 v2, v2
	v_min_u32_e32 v2, 32, v2
	v_subrev_nc_u32_e32 v54, 28, v2
	v_lshlrev_b64 v[113:114], v54, v[17:18]
	v_sub_nc_u32_e32 v54, 29, v2
	v_and_b32_e32 v2, 7, v113
; %bb.3412:                             ;   in Loop: Header=BB314_2086 Depth=1
	s_or_b32 exec_lo, exec_lo, s28
	v_lshlrev_b32_e32 v113, 8, v17
	v_lshl_add_u32 v54, v54, 10, 0x2000
	v_lshlrev_b32_e32 v2, 7, v2
	v_and_b32_e32 v113, 0x8000, v113
	v_and_b32_e32 v54, 0xfc00, v54
	v_or3_b32 v88, v113, v54, v2
.LBB314_3413:                           ;   in Loop: Header=BB314_2086 Depth=1
	s_or_b32 exec_lo, exec_lo, s27
.LBB314_3414:                           ;   in Loop: Header=BB314_2086 Depth=1
	s_or_b32 exec_lo, exec_lo, s26
.LBB314_3415:                           ;   in Loop: Header=BB314_2086 Depth=1
	s_or_b32 exec_lo, exec_lo, s25
	v_lshrrev_b16 v2, 8, v17
	s_mov_b32 s25, exec_lo
	v_cmpx_ne_u16_e32 0, v2
	s_cbranch_execz .LBB314_3423
; %bb.3416:                             ;   in Loop: Header=BB314_2086 Depth=1
	v_bfrev_b32_e32 v78, 1
	s_mov_b32 s26, exec_lo
	v_cmpx_ne_u16_e32 0x80, v2
	s_cbranch_execz .LBB314_3422
; %bb.3417:                             ;   in Loop: Header=BB314_2086 Depth=1
	v_and_b32_sdwa v92, v2, v64 dst_sel:DWORD dst_unused:UNUSED_PAD src0_sel:WORD_0 src1_sel:DWORD
	v_mov_b32_e32 v78, 0x7c010000
	s_mov_b32 s27, exec_lo
	v_cmpx_ne_u32_e32 0x7f, v92
	s_cbranch_execz .LBB314_3421
; %bb.3418:                             ;   in Loop: Header=BB314_2086 Depth=1
	v_and_b32_sdwa v54, v2, v103 dst_sel:DWORD dst_unused:UNUSED_PAD src0_sel:WORD_0 src1_sel:DWORD
	v_lshrrev_b32_e32 v113, 3, v92
	s_mov_b32 s28, exec_lo
	v_cmpx_gt_u32_e32 8, v92
; %bb.3419:                             ;   in Loop: Header=BB314_2086 Depth=1
	v_ffbh_u32_e32 v54, v54
	v_min_u32_e32 v54, 32, v54
	v_subrev_nc_u32_e32 v113, 28, v54
	v_lshlrev_b64 v[92:93], v113, v[2:3]
	v_sub_nc_u32_e32 v113, 29, v54
	v_and_b32_e32 v54, 7, v92
; %bb.3420:                             ;   in Loop: Header=BB314_2086 Depth=1
	s_or_b32 exec_lo, exec_lo, s28
	v_lshlrev_b32_sdwa v2, v112, v2 dst_sel:DWORD dst_unused:UNUSED_PAD src0_sel:DWORD src1_sel:WORD_0
	v_lshl_add_u32 v113, v113, 10, 0x2000
	v_lshlrev_b32_e32 v54, 23, v54
	v_and_or_b32 v2, 0x8000, v2, v113
	v_lshl_or_b32 v78, v2, 16, v54
.LBB314_3421:                           ;   in Loop: Header=BB314_2086 Depth=1
	s_or_b32 exec_lo, exec_lo, s27
.LBB314_3422:                           ;   in Loop: Header=BB314_2086 Depth=1
	s_or_b32 exec_lo, exec_lo, s26
.LBB314_3423:                           ;   in Loop: Header=BB314_2086 Depth=1
	s_or_b32 exec_lo, exec_lo, s25
	v_lshrrev_b32_e32 v2, 16, v17
	v_mov_b32_e32 v92, 0
	v_mov_b32_e32 v93, 0
	v_cmp_ne_u16_sdwa s12, v2, v3 src0_sel:BYTE_0 src1_sel:DWORD
	s_and_saveexec_b32 s25, s12
	s_cbranch_execz .LBB314_3431
; %bb.3424:                             ;   in Loop: Header=BB314_2086 Depth=1
	v_cmp_ne_u16_sdwa s12, v2, v55 src0_sel:BYTE_0 src1_sel:DWORD
	v_mov_b32_e32 v93, 0x8000
	s_and_saveexec_b32 s26, s12
	s_cbranch_execz .LBB314_3430
; %bb.3425:                             ;   in Loop: Header=BB314_2086 Depth=1
	v_bfe_u32 v113, v17, 16, 7
	v_mov_b32_e32 v93, 0x7c01
	s_mov_b32 s27, exec_lo
	v_cmpx_ne_u32_e32 0x7f, v113
	s_cbranch_execz .LBB314_3429
; %bb.3426:                             ;   in Loop: Header=BB314_2086 Depth=1
	v_and_b32_e32 v54, 7, v2
	v_lshrrev_b32_e32 v93, 3, v113
	s_mov_b32 s28, exec_lo
	v_cmpx_gt_u32_e32 8, v113
; %bb.3427:                             ;   in Loop: Header=BB314_2086 Depth=1
	v_ffbh_u32_e32 v54, v54
	v_min_u32_e32 v54, 32, v54
	v_subrev_nc_u32_e32 v113, 28, v54
	v_sub_nc_u32_e32 v93, 29, v54
	v_lshlrev_b64 v[113:114], v113, v[2:3]
	v_and_b32_e32 v54, 7, v113
; %bb.3428:                             ;   in Loop: Header=BB314_2086 Depth=1
	s_or_b32 exec_lo, exec_lo, s28
	v_lshlrev_b32_e32 v2, 8, v2
	v_lshl_add_u32 v113, v93, 10, 0x2000
	v_lshlrev_b32_e32 v54, 7, v54
	v_and_b32_e32 v2, 0x8000, v2
	v_and_b32_e32 v113, 0xfc00, v113
	v_or3_b32 v93, v2, v113, v54
.LBB314_3429:                           ;   in Loop: Header=BB314_2086 Depth=1
	s_or_b32 exec_lo, exec_lo, s27
.LBB314_3430:                           ;   in Loop: Header=BB314_2086 Depth=1
	s_or_b32 exec_lo, exec_lo, s26
.LBB314_3431:                           ;   in Loop: Header=BB314_2086 Depth=1
	s_or_b32 exec_lo, exec_lo, s25
	s_mov_b32 s25, exec_lo
	v_cmpx_lt_u32_e32 0xffffff, v17
	s_cbranch_execz .LBB314_3439
; %bb.3432:                             ;   in Loop: Header=BB314_2086 Depth=1
	v_lshrrev_b32_e32 v2, 24, v17
	v_bfrev_b32_e32 v92, 1
	s_mov_b32 s26, exec_lo
	v_cmpx_ne_u32_e32 0x80, v2
	s_cbranch_execz .LBB314_3438
; %bb.3433:                             ;   in Loop: Header=BB314_2086 Depth=1
	v_and_b32_e32 v94, 0x7f, v2
	v_mov_b32_e32 v92, 0x7c010000
	s_mov_b32 s27, exec_lo
	v_cmpx_ne_u32_e32 0x7f, v94
	s_cbranch_execz .LBB314_3437
; %bb.3434:                             ;   in Loop: Header=BB314_2086 Depth=1
	v_and_b32_e32 v54, 7, v2
	v_lshrrev_b32_e32 v113, 3, v94
	s_mov_b32 s28, exec_lo
	v_cmpx_gt_u32_e32 8, v94
; %bb.3435:                             ;   in Loop: Header=BB314_2086 Depth=1
	v_ffbh_u32_e32 v54, v54
	v_min_u32_e32 v54, 32, v54
	v_subrev_nc_u32_e32 v113, 28, v54
	v_lshlrev_b64 v[94:95], v113, v[2:3]
	v_sub_nc_u32_e32 v113, 29, v54
	v_and_b32_e32 v54, 7, v94
; %bb.3436:                             ;   in Loop: Header=BB314_2086 Depth=1
	s_or_b32 exec_lo, exec_lo, s28
	v_lshlrev_b32_e32 v2, 8, v2
	v_lshl_add_u32 v113, v113, 10, 0x2000
	v_lshlrev_b32_e32 v54, 23, v54
	v_and_or_b32 v2, 0x8000, v2, v113
	v_lshl_or_b32 v92, v2, 16, v54
.LBB314_3437:                           ;   in Loop: Header=BB314_2086 Depth=1
	s_or_b32 exec_lo, exec_lo, s27
.LBB314_3438:                           ;   in Loop: Header=BB314_2086 Depth=1
	s_or_b32 exec_lo, exec_lo, s26
.LBB314_3439:                           ;   in Loop: Header=BB314_2086 Depth=1
	s_or_b32 exec_lo, exec_lo, s25
	v_mov_b32_e32 v2, v18
	v_cmp_ne_u16_sdwa s12, v18, v3 src0_sel:BYTE_0 src1_sel:DWORD
	v_mov_b32_e32 v94, 0
	v_mov_b32_e32 v95, 0
	s_and_saveexec_b32 s25, s12
	s_cbranch_execz .LBB314_3447
; %bb.3440:                             ;   in Loop: Header=BB314_2086 Depth=1
	v_cmp_ne_u16_sdwa s12, v18, v55 src0_sel:BYTE_0 src1_sel:DWORD
	v_mov_b32_e32 v95, 0x8000
	s_and_saveexec_b32 s26, s12
	s_cbranch_execz .LBB314_3446
; %bb.3441:                             ;   in Loop: Header=BB314_2086 Depth=1
	v_and_b32_e32 v113, 0x7f, v18
	v_mov_b32_e32 v95, 0x7c01
	s_mov_b32 s27, exec_lo
	v_cmpx_ne_u32_e32 0x7f, v113
	s_cbranch_execz .LBB314_3445
; %bb.3442:                             ;   in Loop: Header=BB314_2086 Depth=1
	v_and_b32_e32 v54, 7, v18
	v_lshrrev_b32_e32 v95, 3, v113
	s_mov_b32 s28, exec_lo
	v_cmpx_gt_u32_e32 8, v113
; %bb.3443:                             ;   in Loop: Header=BB314_2086 Depth=1
	v_ffbh_u32_e32 v54, v54
	v_min_u32_e32 v54, 32, v54
	v_subrev_nc_u32_e32 v113, 28, v54
	v_sub_nc_u32_e32 v95, 29, v54
	v_lshlrev_b64 v[113:114], v113, v[2:3]
	v_and_b32_e32 v54, 7, v113
; %bb.3444:                             ;   in Loop: Header=BB314_2086 Depth=1
	s_or_b32 exec_lo, exec_lo, s28
	v_lshlrev_b32_e32 v113, 8, v18
	v_lshl_add_u32 v114, v95, 10, 0x2000
	v_lshlrev_b32_e32 v54, 7, v54
	v_and_b32_e32 v113, 0x8000, v113
	v_and_b32_e32 v114, 0xfc00, v114
	v_or3_b32 v95, v113, v114, v54
.LBB314_3445:                           ;   in Loop: Header=BB314_2086 Depth=1
	s_or_b32 exec_lo, exec_lo, s27
.LBB314_3446:                           ;   in Loop: Header=BB314_2086 Depth=1
	s_or_b32 exec_lo, exec_lo, s26
.LBB314_3447:                           ;   in Loop: Header=BB314_2086 Depth=1
	s_or_b32 exec_lo, exec_lo, s25
	v_lshrrev_b16 v2, 8, v2
	v_mov_b32_e32 v104, 0
	s_mov_b32 s25, exec_lo
	v_cmpx_ne_u16_e32 0, v2
	s_cbranch_execz .LBB314_3455
; %bb.3448:                             ;   in Loop: Header=BB314_2086 Depth=1
	v_bfrev_b32_e32 v104, 1
	s_mov_b32 s26, exec_lo
	v_cmpx_ne_u16_e32 0x80, v2
	s_cbranch_execz .LBB314_3454
; %bb.3449:                             ;   in Loop: Header=BB314_2086 Depth=1
	v_and_b32_sdwa v105, v2, v64 dst_sel:DWORD dst_unused:UNUSED_PAD src0_sel:WORD_0 src1_sel:DWORD
	v_mov_b32_e32 v104, 0x7c010000
	s_mov_b32 s27, exec_lo
	v_cmpx_ne_u32_e32 0x7f, v105
	s_cbranch_execz .LBB314_3453
; %bb.3450:                             ;   in Loop: Header=BB314_2086 Depth=1
	v_and_b32_sdwa v54, v2, v103 dst_sel:DWORD dst_unused:UNUSED_PAD src0_sel:WORD_0 src1_sel:DWORD
	v_lshrrev_b32_e32 v113, 3, v105
	s_mov_b32 s28, exec_lo
	v_cmpx_gt_u32_e32 8, v105
; %bb.3451:                             ;   in Loop: Header=BB314_2086 Depth=1
	v_ffbh_u32_e32 v54, v54
	v_min_u32_e32 v54, 32, v54
	v_subrev_nc_u32_e32 v113, 28, v54
	v_lshlrev_b64 v[104:105], v113, v[2:3]
	v_sub_nc_u32_e32 v113, 29, v54
	v_and_b32_e32 v54, 7, v104
; %bb.3452:                             ;   in Loop: Header=BB314_2086 Depth=1
	s_or_b32 exec_lo, exec_lo, s28
	v_lshlrev_b32_sdwa v2, v112, v2 dst_sel:DWORD dst_unused:UNUSED_PAD src0_sel:DWORD src1_sel:WORD_0
	v_lshl_add_u32 v113, v113, 10, 0x2000
	v_lshlrev_b32_e32 v54, 23, v54
	v_and_or_b32 v2, 0x8000, v2, v113
	v_lshl_or_b32 v104, v2, 16, v54
.LBB314_3453:                           ;   in Loop: Header=BB314_2086 Depth=1
	s_or_b32 exec_lo, exec_lo, s27
.LBB314_3454:                           ;   in Loop: Header=BB314_2086 Depth=1
	s_or_b32 exec_lo, exec_lo, s26
.LBB314_3455:                           ;   in Loop: Header=BB314_2086 Depth=1
	s_or_b32 exec_lo, exec_lo, s25
	v_lshrrev_b32_e32 v2, 16, v18
	v_cmp_ne_u16_sdwa s12, v2, v3 src0_sel:BYTE_0 src1_sel:DWORD
	s_and_saveexec_b32 s25, s12
	s_cbranch_execz .LBB314_3463
; %bb.3456:                             ;   in Loop: Header=BB314_2086 Depth=1
	v_cmp_ne_u16_sdwa s12, v2, v55 src0_sel:BYTE_0 src1_sel:DWORD
	v_mov_b32_e32 v94, 0x8000
	s_and_saveexec_b32 s26, s12
	s_cbranch_execz .LBB314_3462
; %bb.3457:                             ;   in Loop: Header=BB314_2086 Depth=1
	v_bfe_u32 v113, v18, 16, 7
	v_mov_b32_e32 v94, 0x7c01
	s_mov_b32 s27, exec_lo
	v_cmpx_ne_u32_e32 0x7f, v113
	s_cbranch_execz .LBB314_3461
; %bb.3458:                             ;   in Loop: Header=BB314_2086 Depth=1
	v_and_b32_e32 v54, 7, v2
	v_lshrrev_b32_e32 v94, 3, v113
	s_mov_b32 s28, exec_lo
	v_cmpx_gt_u32_e32 8, v113
; %bb.3459:                             ;   in Loop: Header=BB314_2086 Depth=1
	v_ffbh_u32_e32 v54, v54
	v_min_u32_e32 v54, 32, v54
	v_subrev_nc_u32_e32 v113, 28, v54
	v_sub_nc_u32_e32 v94, 29, v54
	v_lshlrev_b64 v[113:114], v113, v[2:3]
	v_and_b32_e32 v54, 7, v113
; %bb.3460:                             ;   in Loop: Header=BB314_2086 Depth=1
	s_or_b32 exec_lo, exec_lo, s28
	v_lshlrev_b32_e32 v2, 8, v2
	v_lshl_add_u32 v113, v94, 10, 0x2000
	v_lshlrev_b32_e32 v54, 7, v54
	v_and_b32_e32 v2, 0x8000, v2
	v_and_b32_e32 v113, 0xfc00, v113
	v_or3_b32 v94, v2, v113, v54
.LBB314_3461:                           ;   in Loop: Header=BB314_2086 Depth=1
	s_or_b32 exec_lo, exec_lo, s27
.LBB314_3462:                           ;   in Loop: Header=BB314_2086 Depth=1
	s_or_b32 exec_lo, exec_lo, s26
.LBB314_3463:                           ;   in Loop: Header=BB314_2086 Depth=1
	s_or_b32 exec_lo, exec_lo, s25
	v_cmp_lt_u64_e64 s12, s[22:23], v[17:18]
	v_mov_b32_e32 v17, 0
	s_and_saveexec_b32 s25, s12
	s_cbranch_execz .LBB314_3471
; %bb.3464:                             ;   in Loop: Header=BB314_2086 Depth=1
	v_lshrrev_b32_e32 v2, 24, v18
	v_bfrev_b32_e32 v17, 1
	s_mov_b32 s26, exec_lo
	v_cmpx_ne_u32_e32 0x80, v2
	s_cbranch_execz .LBB314_3470
; %bb.3465:                             ;   in Loop: Header=BB314_2086 Depth=1
	v_and_b32_e32 v54, 0x7f, v2
	v_mov_b32_e32 v17, 0x7c010000
	s_mov_b32 s27, exec_lo
	v_cmpx_ne_u32_e32 0x7f, v54
	s_cbranch_execz .LBB314_3469
; %bb.3466:                             ;   in Loop: Header=BB314_2086 Depth=1
	v_and_b32_e32 v17, 7, v2
	v_lshrrev_b32_e32 v18, 3, v54
	s_mov_b32 s28, exec_lo
	v_cmpx_gt_u32_e32 8, v54
; %bb.3467:                             ;   in Loop: Header=BB314_2086 Depth=1
	v_ffbh_u32_e32 v17, v17
	v_min_u32_e32 v54, 32, v17
	v_subrev_nc_u32_e32 v17, 28, v54
	v_lshlrev_b64 v[17:18], v17, v[2:3]
	v_sub_nc_u32_e32 v18, 29, v54
	v_and_b32_e32 v17, 7, v17
; %bb.3468:                             ;   in Loop: Header=BB314_2086 Depth=1
	s_or_b32 exec_lo, exec_lo, s28
	v_lshlrev_b32_e32 v2, 8, v2
	v_lshl_add_u32 v18, v18, 10, 0x2000
	v_lshlrev_b32_e32 v17, 23, v17
	v_and_or_b32 v2, 0x8000, v2, v18
	v_lshl_or_b32 v17, v2, 16, v17
.LBB314_3469:                           ;   in Loop: Header=BB314_2086 Depth=1
	s_or_b32 exec_lo, exec_lo, s27
.LBB314_3470:                           ;   in Loop: Header=BB314_2086 Depth=1
	s_or_b32 exec_lo, exec_lo, s26
.LBB314_3471:                           ;   in Loop: Header=BB314_2086 Depth=1
	s_or_b32 exec_lo, exec_lo, s25
	v_or_b32_e32 v2, v92, v93
	s_waitcnt vmcnt(0) lgkmcnt(0)
	v_fma_mixlo_f16 v18, v80, v92, 0 op_sel:[0,1,0] op_sel_hi:[0,1,0]
	v_or_b32_e32 v113, v78, v88
	v_fma_mixlo_f16 v54, v80, v78, 0 op_sel:[0,1,0] op_sel_hi:[0,1,0]
	v_or_b32_e32 v114, v104, v95
	v_fma_mixlo_f16 v115, v80, v2, 0 op_sel_hi:[0,1,0]
	v_or_b32_e32 v78, v17, v94
	v_lshlrev_b32_e32 v2, 16, v18
	v_fma_mixlo_f16 v113, v80, v113, 0 op_sel_hi:[0,1,0]
	v_fma_mixlo_f16 v114, v80, v114, 0 op_sel_hi:[0,1,0]
	v_and_b32_e32 v18, 0xffff, v115
	v_fma_mixlo_f16 v115, v80, v104, 0 op_sel:[0,1,0] op_sel_hi:[0,1,0]
	v_fma_mixlo_f16 v17, v80, v17, 0 op_sel:[0,1,0] op_sel_hi:[0,1,0]
	v_fma_mixlo_f16 v80, v80, v78, 0 op_sel_hi:[0,1,0]
	v_lshlrev_b32_e32 v54, 16, v54
	v_and_b32_e32 v113, 0xffff, v113
	v_lshlrev_b32_e32 v93, 16, v115
	v_and_b32_e32 v95, 0xffff, v114
	;; [unrolled: 2-line block ×3, first 2 shown]
	v_or_b32_e32 v17, v2, v18
	v_or_b32_e32 v88, v54, v113
	;; [unrolled: 1-line block ×4, first 2 shown]
	s_and_saveexec_b32 s12, s4
	s_cbranch_execz .LBB314_3473
; %bb.3472:                             ;   in Loop: Header=BB314_2086 Depth=1
	v_cndmask_b32_e32 v17, 0, v113, vcc_lo
	v_cndmask_b32_e64 v54, 0, v54, s7
	v_cndmask_b32_e64 v18, 0, v18, s5
	;; [unrolled: 1-line block ×7, first 2 shown]
	v_or_b32_e32 v88, v17, v54
	v_or_b32_e32 v17, v18, v2
	;; [unrolled: 1-line block ×4, first 2 shown]
.LBB314_3473:                           ;   in Loop: Header=BB314_2086 Depth=1
	s_or_b32 exec_lo, exec_lo, s12
	;;#ASMSTART
	v_pk_mul_f16 v2, v41, v88;

	;;#ASMEND
	;;#ASMSTART
	v_pk_mul_f16 v17, v40, v17;

	;;#ASMEND
	;; [unrolled: 4-line block ×4, first 2 shown]
	;;#ASMSTART
	v_pk_add_f16 v2, v2, v17;

	;;#ASMEND
	;;#ASMSTART
	v_pk_add_f16 v2, v2, v18;

	;;#ASMEND
	;; [unrolled: 4-line block ×3, first 2 shown]
	v_and_b32_e32 v17, 0xffff, v2
	v_lshrrev_b32_e32 v2, 16, v2
	;;#ASMSTART
	v_cvt_f32_f16 v92, v17;
	;;#ASMEND
	;;#ASMSTART
	v_cvt_f32_f16 v93, v2;
	;;#ASMEND
	flat_load_dwordx2 v[17:18], v[13:14] offset:1280
	flat_load_dword v80, v[26:27]
	v_mov_b32_e32 v78, 0
	v_mov_b32_e32 v88, 0
	s_waitcnt vmcnt(1) lgkmcnt(1)
	v_cmp_ne_u16_sdwa s12, v17, v3 src0_sel:BYTE_0 src1_sel:DWORD
	s_and_saveexec_b32 s25, s12
	s_cbranch_execz .LBB314_3481
; %bb.3474:                             ;   in Loop: Header=BB314_2086 Depth=1
	v_cmp_ne_u16_sdwa s12, v17, v55 src0_sel:BYTE_0 src1_sel:DWORD
	v_mov_b32_e32 v88, 0x8000
	s_and_saveexec_b32 s26, s12
	s_cbranch_execz .LBB314_3480
; %bb.3475:                             ;   in Loop: Header=BB314_2086 Depth=1
	v_and_b32_e32 v113, 0x7f, v17
	v_mov_b32_e32 v88, 0x7c01
	s_mov_b32 s27, exec_lo
	v_cmpx_ne_u32_e32 0x7f, v113
	s_cbranch_execz .LBB314_3479
; %bb.3476:                             ;   in Loop: Header=BB314_2086 Depth=1
	v_and_b32_e32 v2, 7, v17
	v_lshrrev_b32_e32 v54, 3, v113
	s_mov_b32 s28, exec_lo
	v_cmpx_gt_u32_e32 8, v113
; %bb.3477:                             ;   in Loop: Header=BB314_2086 Depth=1
	v_ffbh_u32_e32 v2, v2
	v_min_u32_e32 v2, 32, v2
	v_subrev_nc_u32_e32 v54, 28, v2
	v_lshlrev_b64 v[113:114], v54, v[17:18]
	v_sub_nc_u32_e32 v54, 29, v2
	v_and_b32_e32 v2, 7, v113
; %bb.3478:                             ;   in Loop: Header=BB314_2086 Depth=1
	s_or_b32 exec_lo, exec_lo, s28
	v_lshlrev_b32_e32 v113, 8, v17
	v_lshl_add_u32 v54, v54, 10, 0x2000
	v_lshlrev_b32_e32 v2, 7, v2
	v_and_b32_e32 v113, 0x8000, v113
	v_and_b32_e32 v54, 0xfc00, v54
	v_or3_b32 v88, v113, v54, v2
.LBB314_3479:                           ;   in Loop: Header=BB314_2086 Depth=1
	s_or_b32 exec_lo, exec_lo, s27
.LBB314_3480:                           ;   in Loop: Header=BB314_2086 Depth=1
	s_or_b32 exec_lo, exec_lo, s26
.LBB314_3481:                           ;   in Loop: Header=BB314_2086 Depth=1
	s_or_b32 exec_lo, exec_lo, s25
	v_lshrrev_b16 v2, 8, v17
	s_mov_b32 s25, exec_lo
	v_cmpx_ne_u16_e32 0, v2
	s_cbranch_execz .LBB314_3489
; %bb.3482:                             ;   in Loop: Header=BB314_2086 Depth=1
	v_bfrev_b32_e32 v78, 1
	s_mov_b32 s26, exec_lo
	v_cmpx_ne_u16_e32 0x80, v2
	s_cbranch_execz .LBB314_3488
; %bb.3483:                             ;   in Loop: Header=BB314_2086 Depth=1
	v_and_b32_sdwa v94, v2, v64 dst_sel:DWORD dst_unused:UNUSED_PAD src0_sel:WORD_0 src1_sel:DWORD
	v_mov_b32_e32 v78, 0x7c010000
	s_mov_b32 s27, exec_lo
	v_cmpx_ne_u32_e32 0x7f, v94
	s_cbranch_execz .LBB314_3487
; %bb.3484:                             ;   in Loop: Header=BB314_2086 Depth=1
	v_and_b32_sdwa v54, v2, v103 dst_sel:DWORD dst_unused:UNUSED_PAD src0_sel:WORD_0 src1_sel:DWORD
	v_lshrrev_b32_e32 v113, 3, v94
	s_mov_b32 s28, exec_lo
	v_cmpx_gt_u32_e32 8, v94
; %bb.3485:                             ;   in Loop: Header=BB314_2086 Depth=1
	v_ffbh_u32_e32 v54, v54
	v_min_u32_e32 v54, 32, v54
	v_subrev_nc_u32_e32 v113, 28, v54
	v_lshlrev_b64 v[94:95], v113, v[2:3]
	v_sub_nc_u32_e32 v113, 29, v54
	v_and_b32_e32 v54, 7, v94
; %bb.3486:                             ;   in Loop: Header=BB314_2086 Depth=1
	s_or_b32 exec_lo, exec_lo, s28
	v_lshlrev_b32_sdwa v2, v112, v2 dst_sel:DWORD dst_unused:UNUSED_PAD src0_sel:DWORD src1_sel:WORD_0
	v_lshl_add_u32 v113, v113, 10, 0x2000
	v_lshlrev_b32_e32 v54, 23, v54
	v_and_or_b32 v2, 0x8000, v2, v113
	v_lshl_or_b32 v78, v2, 16, v54
.LBB314_3487:                           ;   in Loop: Header=BB314_2086 Depth=1
	s_or_b32 exec_lo, exec_lo, s27
.LBB314_3488:                           ;   in Loop: Header=BB314_2086 Depth=1
	s_or_b32 exec_lo, exec_lo, s26
.LBB314_3489:                           ;   in Loop: Header=BB314_2086 Depth=1
	s_or_b32 exec_lo, exec_lo, s25
	v_lshrrev_b32_e32 v2, 16, v17
	v_mov_b32_e32 v94, 0
	v_mov_b32_e32 v95, 0
	v_cmp_ne_u16_sdwa s12, v2, v3 src0_sel:BYTE_0 src1_sel:DWORD
	s_and_saveexec_b32 s25, s12
	s_cbranch_execz .LBB314_3497
; %bb.3490:                             ;   in Loop: Header=BB314_2086 Depth=1
	v_cmp_ne_u16_sdwa s12, v2, v55 src0_sel:BYTE_0 src1_sel:DWORD
	v_mov_b32_e32 v95, 0x8000
	s_and_saveexec_b32 s26, s12
	s_cbranch_execz .LBB314_3496
; %bb.3491:                             ;   in Loop: Header=BB314_2086 Depth=1
	v_bfe_u32 v113, v17, 16, 7
	v_mov_b32_e32 v95, 0x7c01
	s_mov_b32 s27, exec_lo
	v_cmpx_ne_u32_e32 0x7f, v113
	s_cbranch_execz .LBB314_3495
; %bb.3492:                             ;   in Loop: Header=BB314_2086 Depth=1
	v_and_b32_e32 v54, 7, v2
	v_lshrrev_b32_e32 v95, 3, v113
	s_mov_b32 s28, exec_lo
	v_cmpx_gt_u32_e32 8, v113
; %bb.3493:                             ;   in Loop: Header=BB314_2086 Depth=1
	v_ffbh_u32_e32 v54, v54
	v_min_u32_e32 v54, 32, v54
	v_subrev_nc_u32_e32 v113, 28, v54
	v_sub_nc_u32_e32 v95, 29, v54
	v_lshlrev_b64 v[113:114], v113, v[2:3]
	v_and_b32_e32 v54, 7, v113
; %bb.3494:                             ;   in Loop: Header=BB314_2086 Depth=1
	s_or_b32 exec_lo, exec_lo, s28
	v_lshlrev_b32_e32 v2, 8, v2
	v_lshl_add_u32 v113, v95, 10, 0x2000
	v_lshlrev_b32_e32 v54, 7, v54
	v_and_b32_e32 v2, 0x8000, v2
	v_and_b32_e32 v113, 0xfc00, v113
	v_or3_b32 v95, v2, v113, v54
.LBB314_3495:                           ;   in Loop: Header=BB314_2086 Depth=1
	s_or_b32 exec_lo, exec_lo, s27
.LBB314_3496:                           ;   in Loop: Header=BB314_2086 Depth=1
	s_or_b32 exec_lo, exec_lo, s26
.LBB314_3497:                           ;   in Loop: Header=BB314_2086 Depth=1
	s_or_b32 exec_lo, exec_lo, s25
	s_mov_b32 s25, exec_lo
	v_cmpx_lt_u32_e32 0xffffff, v17
	s_cbranch_execz .LBB314_3505
; %bb.3498:                             ;   in Loop: Header=BB314_2086 Depth=1
	v_lshrrev_b32_e32 v2, 24, v17
	v_bfrev_b32_e32 v94, 1
	s_mov_b32 s26, exec_lo
	v_cmpx_ne_u32_e32 0x80, v2
	s_cbranch_execz .LBB314_3504
; %bb.3499:                             ;   in Loop: Header=BB314_2086 Depth=1
	v_and_b32_e32 v104, 0x7f, v2
	v_mov_b32_e32 v94, 0x7c010000
	s_mov_b32 s27, exec_lo
	v_cmpx_ne_u32_e32 0x7f, v104
	s_cbranch_execz .LBB314_3503
; %bb.3500:                             ;   in Loop: Header=BB314_2086 Depth=1
	v_and_b32_e32 v54, 7, v2
	v_lshrrev_b32_e32 v113, 3, v104
	s_mov_b32 s28, exec_lo
	v_cmpx_gt_u32_e32 8, v104
; %bb.3501:                             ;   in Loop: Header=BB314_2086 Depth=1
	v_ffbh_u32_e32 v54, v54
	v_min_u32_e32 v54, 32, v54
	v_subrev_nc_u32_e32 v113, 28, v54
	v_lshlrev_b64 v[104:105], v113, v[2:3]
	v_sub_nc_u32_e32 v113, 29, v54
	v_and_b32_e32 v54, 7, v104
; %bb.3502:                             ;   in Loop: Header=BB314_2086 Depth=1
	s_or_b32 exec_lo, exec_lo, s28
	v_lshlrev_b32_e32 v2, 8, v2
	v_lshl_add_u32 v113, v113, 10, 0x2000
	v_lshlrev_b32_e32 v54, 23, v54
	v_and_or_b32 v2, 0x8000, v2, v113
	v_lshl_or_b32 v94, v2, 16, v54
.LBB314_3503:                           ;   in Loop: Header=BB314_2086 Depth=1
	s_or_b32 exec_lo, exec_lo, s27
.LBB314_3504:                           ;   in Loop: Header=BB314_2086 Depth=1
	s_or_b32 exec_lo, exec_lo, s26
.LBB314_3505:                           ;   in Loop: Header=BB314_2086 Depth=1
	s_or_b32 exec_lo, exec_lo, s25
	v_mov_b32_e32 v2, v18
	v_cmp_ne_u16_sdwa s12, v18, v3 src0_sel:BYTE_0 src1_sel:DWORD
	v_mov_b32_e32 v104, 0
	v_mov_b32_e32 v105, 0
	s_and_saveexec_b32 s25, s12
	s_cbranch_execz .LBB314_3513
; %bb.3506:                             ;   in Loop: Header=BB314_2086 Depth=1
	v_cmp_ne_u16_sdwa s12, v18, v55 src0_sel:BYTE_0 src1_sel:DWORD
	v_mov_b32_e32 v105, 0x8000
	s_and_saveexec_b32 s26, s12
	s_cbranch_execz .LBB314_3512
; %bb.3507:                             ;   in Loop: Header=BB314_2086 Depth=1
	v_and_b32_e32 v113, 0x7f, v18
	v_mov_b32_e32 v105, 0x7c01
	s_mov_b32 s27, exec_lo
	v_cmpx_ne_u32_e32 0x7f, v113
	s_cbranch_execz .LBB314_3511
; %bb.3508:                             ;   in Loop: Header=BB314_2086 Depth=1
	v_and_b32_e32 v54, 7, v18
	v_lshrrev_b32_e32 v105, 3, v113
	s_mov_b32 s28, exec_lo
	v_cmpx_gt_u32_e32 8, v113
; %bb.3509:                             ;   in Loop: Header=BB314_2086 Depth=1
	v_ffbh_u32_e32 v54, v54
	v_min_u32_e32 v54, 32, v54
	v_subrev_nc_u32_e32 v113, 28, v54
	v_sub_nc_u32_e32 v105, 29, v54
	v_lshlrev_b64 v[113:114], v113, v[2:3]
	v_and_b32_e32 v54, 7, v113
; %bb.3510:                             ;   in Loop: Header=BB314_2086 Depth=1
	s_or_b32 exec_lo, exec_lo, s28
	v_lshlrev_b32_e32 v113, 8, v18
	v_lshl_add_u32 v114, v105, 10, 0x2000
	v_lshlrev_b32_e32 v54, 7, v54
	v_and_b32_e32 v113, 0x8000, v113
	v_and_b32_e32 v114, 0xfc00, v114
	v_or3_b32 v105, v113, v114, v54
.LBB314_3511:                           ;   in Loop: Header=BB314_2086 Depth=1
	s_or_b32 exec_lo, exec_lo, s27
.LBB314_3512:                           ;   in Loop: Header=BB314_2086 Depth=1
	s_or_b32 exec_lo, exec_lo, s26
.LBB314_3513:                           ;   in Loop: Header=BB314_2086 Depth=1
	s_or_b32 exec_lo, exec_lo, s25
	v_lshrrev_b16 v2, 8, v2
	v_mov_b32_e32 v106, 0
	s_mov_b32 s25, exec_lo
	v_cmpx_ne_u16_e32 0, v2
	s_cbranch_execz .LBB314_3521
; %bb.3514:                             ;   in Loop: Header=BB314_2086 Depth=1
	v_bfrev_b32_e32 v106, 1
	s_mov_b32 s26, exec_lo
	v_cmpx_ne_u16_e32 0x80, v2
	s_cbranch_execz .LBB314_3520
; %bb.3515:                             ;   in Loop: Header=BB314_2086 Depth=1
	v_and_b32_sdwa v107, v2, v64 dst_sel:DWORD dst_unused:UNUSED_PAD src0_sel:WORD_0 src1_sel:DWORD
	v_mov_b32_e32 v106, 0x7c010000
	s_mov_b32 s27, exec_lo
	v_cmpx_ne_u32_e32 0x7f, v107
	s_cbranch_execz .LBB314_3519
; %bb.3516:                             ;   in Loop: Header=BB314_2086 Depth=1
	v_and_b32_sdwa v54, v2, v103 dst_sel:DWORD dst_unused:UNUSED_PAD src0_sel:WORD_0 src1_sel:DWORD
	v_lshrrev_b32_e32 v113, 3, v107
	s_mov_b32 s28, exec_lo
	v_cmpx_gt_u32_e32 8, v107
; %bb.3517:                             ;   in Loop: Header=BB314_2086 Depth=1
	v_ffbh_u32_e32 v54, v54
	v_min_u32_e32 v54, 32, v54
	v_subrev_nc_u32_e32 v113, 28, v54
	v_lshlrev_b64 v[106:107], v113, v[2:3]
	v_sub_nc_u32_e32 v113, 29, v54
	v_and_b32_e32 v54, 7, v106
; %bb.3518:                             ;   in Loop: Header=BB314_2086 Depth=1
	s_or_b32 exec_lo, exec_lo, s28
	v_lshlrev_b32_sdwa v2, v112, v2 dst_sel:DWORD dst_unused:UNUSED_PAD src0_sel:DWORD src1_sel:WORD_0
	v_lshl_add_u32 v113, v113, 10, 0x2000
	v_lshlrev_b32_e32 v54, 23, v54
	v_and_or_b32 v2, 0x8000, v2, v113
	v_lshl_or_b32 v106, v2, 16, v54
.LBB314_3519:                           ;   in Loop: Header=BB314_2086 Depth=1
	s_or_b32 exec_lo, exec_lo, s27
.LBB314_3520:                           ;   in Loop: Header=BB314_2086 Depth=1
	s_or_b32 exec_lo, exec_lo, s26
.LBB314_3521:                           ;   in Loop: Header=BB314_2086 Depth=1
	s_or_b32 exec_lo, exec_lo, s25
	v_lshrrev_b32_e32 v2, 16, v18
	v_cmp_ne_u16_sdwa s12, v2, v3 src0_sel:BYTE_0 src1_sel:DWORD
	s_and_saveexec_b32 s25, s12
	s_cbranch_execz .LBB314_3529
; %bb.3522:                             ;   in Loop: Header=BB314_2086 Depth=1
	v_cmp_ne_u16_sdwa s12, v2, v55 src0_sel:BYTE_0 src1_sel:DWORD
	v_mov_b32_e32 v104, 0x8000
	s_and_saveexec_b32 s26, s12
	s_cbranch_execz .LBB314_3528
; %bb.3523:                             ;   in Loop: Header=BB314_2086 Depth=1
	v_bfe_u32 v113, v18, 16, 7
	v_mov_b32_e32 v104, 0x7c01
	s_mov_b32 s27, exec_lo
	v_cmpx_ne_u32_e32 0x7f, v113
	s_cbranch_execz .LBB314_3527
; %bb.3524:                             ;   in Loop: Header=BB314_2086 Depth=1
	v_and_b32_e32 v54, 7, v2
	v_lshrrev_b32_e32 v104, 3, v113
	s_mov_b32 s28, exec_lo
	v_cmpx_gt_u32_e32 8, v113
; %bb.3525:                             ;   in Loop: Header=BB314_2086 Depth=1
	v_ffbh_u32_e32 v54, v54
	v_min_u32_e32 v54, 32, v54
	v_subrev_nc_u32_e32 v113, 28, v54
	v_sub_nc_u32_e32 v104, 29, v54
	v_lshlrev_b64 v[113:114], v113, v[2:3]
	v_and_b32_e32 v54, 7, v113
; %bb.3526:                             ;   in Loop: Header=BB314_2086 Depth=1
	s_or_b32 exec_lo, exec_lo, s28
	v_lshlrev_b32_e32 v2, 8, v2
	v_lshl_add_u32 v113, v104, 10, 0x2000
	v_lshlrev_b32_e32 v54, 7, v54
	v_and_b32_e32 v2, 0x8000, v2
	v_and_b32_e32 v113, 0xfc00, v113
	v_or3_b32 v104, v2, v113, v54
.LBB314_3527:                           ;   in Loop: Header=BB314_2086 Depth=1
	s_or_b32 exec_lo, exec_lo, s27
.LBB314_3528:                           ;   in Loop: Header=BB314_2086 Depth=1
	s_or_b32 exec_lo, exec_lo, s26
.LBB314_3529:                           ;   in Loop: Header=BB314_2086 Depth=1
	s_or_b32 exec_lo, exec_lo, s25
	v_cmp_lt_u64_e64 s12, s[22:23], v[17:18]
	v_mov_b32_e32 v17, 0
	s_and_saveexec_b32 s25, s12
	s_cbranch_execz .LBB314_3537
; %bb.3530:                             ;   in Loop: Header=BB314_2086 Depth=1
	v_lshrrev_b32_e32 v2, 24, v18
	v_bfrev_b32_e32 v17, 1
	s_mov_b32 s26, exec_lo
	v_cmpx_ne_u32_e32 0x80, v2
	s_cbranch_execz .LBB314_3536
; %bb.3531:                             ;   in Loop: Header=BB314_2086 Depth=1
	v_and_b32_e32 v54, 0x7f, v2
	v_mov_b32_e32 v17, 0x7c010000
	s_mov_b32 s27, exec_lo
	v_cmpx_ne_u32_e32 0x7f, v54
	s_cbranch_execz .LBB314_3535
; %bb.3532:                             ;   in Loop: Header=BB314_2086 Depth=1
	v_and_b32_e32 v17, 7, v2
	v_lshrrev_b32_e32 v18, 3, v54
	s_mov_b32 s28, exec_lo
	v_cmpx_gt_u32_e32 8, v54
; %bb.3533:                             ;   in Loop: Header=BB314_2086 Depth=1
	v_ffbh_u32_e32 v17, v17
	v_min_u32_e32 v54, 32, v17
	v_subrev_nc_u32_e32 v17, 28, v54
	v_lshlrev_b64 v[17:18], v17, v[2:3]
	v_sub_nc_u32_e32 v18, 29, v54
	v_and_b32_e32 v17, 7, v17
; %bb.3534:                             ;   in Loop: Header=BB314_2086 Depth=1
	s_or_b32 exec_lo, exec_lo, s28
	v_lshlrev_b32_e32 v2, 8, v2
	v_lshl_add_u32 v18, v18, 10, 0x2000
	v_lshlrev_b32_e32 v17, 23, v17
	v_and_or_b32 v2, 0x8000, v2, v18
	v_lshl_or_b32 v17, v2, 16, v17
.LBB314_3535:                           ;   in Loop: Header=BB314_2086 Depth=1
	s_or_b32 exec_lo, exec_lo, s27
.LBB314_3536:                           ;   in Loop: Header=BB314_2086 Depth=1
	s_or_b32 exec_lo, exec_lo, s26
.LBB314_3537:                           ;   in Loop: Header=BB314_2086 Depth=1
	s_or_b32 exec_lo, exec_lo, s25
	v_or_b32_e32 v2, v94, v95
	s_waitcnt vmcnt(0) lgkmcnt(0)
	v_fma_mixlo_f16 v18, v80, v94, 0 op_sel:[0,1,0] op_sel_hi:[0,1,0]
	v_or_b32_e32 v113, v78, v88
	v_fma_mixlo_f16 v54, v80, v78, 0 op_sel:[0,1,0] op_sel_hi:[0,1,0]
	v_or_b32_e32 v114, v106, v105
	v_fma_mixlo_f16 v115, v80, v2, 0 op_sel_hi:[0,1,0]
	v_or_b32_e32 v78, v17, v104
	v_lshlrev_b32_e32 v2, 16, v18
	v_fma_mixlo_f16 v113, v80, v113, 0 op_sel_hi:[0,1,0]
	v_fma_mixlo_f16 v114, v80, v114, 0 op_sel_hi:[0,1,0]
	v_and_b32_e32 v18, 0xffff, v115
	v_fma_mixlo_f16 v115, v80, v106, 0 op_sel:[0,1,0] op_sel_hi:[0,1,0]
	v_fma_mixlo_f16 v17, v80, v17, 0 op_sel:[0,1,0] op_sel_hi:[0,1,0]
	v_fma_mixlo_f16 v80, v80, v78, 0 op_sel_hi:[0,1,0]
	v_lshlrev_b32_e32 v54, 16, v54
	v_and_b32_e32 v113, 0xffff, v113
	v_lshlrev_b32_e32 v95, 16, v115
	v_and_b32_e32 v105, 0xffff, v114
	;; [unrolled: 2-line block ×3, first 2 shown]
	v_or_b32_e32 v17, v2, v18
	v_or_b32_e32 v88, v54, v113
	;; [unrolled: 1-line block ×4, first 2 shown]
	s_and_saveexec_b32 s12, s4
	s_cbranch_execz .LBB314_3539
; %bb.3538:                             ;   in Loop: Header=BB314_2086 Depth=1
	v_cndmask_b32_e32 v17, 0, v113, vcc_lo
	v_cndmask_b32_e64 v54, 0, v54, s7
	v_cndmask_b32_e64 v18, 0, v18, s5
	;; [unrolled: 1-line block ×7, first 2 shown]
	v_or_b32_e32 v88, v17, v54
	v_or_b32_e32 v17, v18, v2
	;; [unrolled: 1-line block ×4, first 2 shown]
.LBB314_3539:                           ;   in Loop: Header=BB314_2086 Depth=1
	s_or_b32 exec_lo, exec_lo, s12
	;;#ASMSTART
	v_pk_mul_f16 v2, v41, v88;

	;;#ASMEND
	;;#ASMSTART
	v_pk_mul_f16 v17, v40, v17;

	;;#ASMEND
	;; [unrolled: 4-line block ×4, first 2 shown]
	;;#ASMSTART
	v_pk_add_f16 v2, v2, v17;

	;;#ASMEND
	;;#ASMSTART
	v_pk_add_f16 v2, v2, v18;

	;;#ASMEND
	;;#ASMSTART
	v_pk_add_f16 v2, v2, v54;

	;;#ASMEND
	v_and_b32_e32 v17, 0xffff, v2
	v_lshrrev_b32_e32 v2, 16, v2
	;;#ASMSTART
	v_cvt_f32_f16 v94, v17;
	;;#ASMEND
	;;#ASMSTART
	v_cvt_f32_f16 v95, v2;
	;;#ASMEND
	flat_load_dwordx2 v[17:18], v[13:14] offset:1536
	flat_load_dword v80, v[26:27]
	v_mov_b32_e32 v78, 0
	v_mov_b32_e32 v88, 0
	s_waitcnt vmcnt(1) lgkmcnt(1)
	v_cmp_ne_u16_sdwa s12, v17, v3 src0_sel:BYTE_0 src1_sel:DWORD
	s_and_saveexec_b32 s25, s12
	s_cbranch_execz .LBB314_3547
; %bb.3540:                             ;   in Loop: Header=BB314_2086 Depth=1
	v_cmp_ne_u16_sdwa s12, v17, v55 src0_sel:BYTE_0 src1_sel:DWORD
	v_mov_b32_e32 v88, 0x8000
	s_and_saveexec_b32 s26, s12
	s_cbranch_execz .LBB314_3546
; %bb.3541:                             ;   in Loop: Header=BB314_2086 Depth=1
	v_and_b32_e32 v113, 0x7f, v17
	v_mov_b32_e32 v88, 0x7c01
	s_mov_b32 s27, exec_lo
	v_cmpx_ne_u32_e32 0x7f, v113
	s_cbranch_execz .LBB314_3545
; %bb.3542:                             ;   in Loop: Header=BB314_2086 Depth=1
	v_and_b32_e32 v2, 7, v17
	v_lshrrev_b32_e32 v54, 3, v113
	s_mov_b32 s28, exec_lo
	v_cmpx_gt_u32_e32 8, v113
; %bb.3543:                             ;   in Loop: Header=BB314_2086 Depth=1
	v_ffbh_u32_e32 v2, v2
	v_min_u32_e32 v2, 32, v2
	v_subrev_nc_u32_e32 v54, 28, v2
	v_lshlrev_b64 v[113:114], v54, v[17:18]
	v_sub_nc_u32_e32 v54, 29, v2
	v_and_b32_e32 v2, 7, v113
; %bb.3544:                             ;   in Loop: Header=BB314_2086 Depth=1
	s_or_b32 exec_lo, exec_lo, s28
	v_lshlrev_b32_e32 v113, 8, v17
	v_lshl_add_u32 v54, v54, 10, 0x2000
	v_lshlrev_b32_e32 v2, 7, v2
	v_and_b32_e32 v113, 0x8000, v113
	v_and_b32_e32 v54, 0xfc00, v54
	v_or3_b32 v88, v113, v54, v2
.LBB314_3545:                           ;   in Loop: Header=BB314_2086 Depth=1
	s_or_b32 exec_lo, exec_lo, s27
.LBB314_3546:                           ;   in Loop: Header=BB314_2086 Depth=1
	s_or_b32 exec_lo, exec_lo, s26
.LBB314_3547:                           ;   in Loop: Header=BB314_2086 Depth=1
	s_or_b32 exec_lo, exec_lo, s25
	v_lshrrev_b16 v2, 8, v17
	s_mov_b32 s25, exec_lo
	v_cmpx_ne_u16_e32 0, v2
	s_cbranch_execz .LBB314_3555
; %bb.3548:                             ;   in Loop: Header=BB314_2086 Depth=1
	v_bfrev_b32_e32 v78, 1
	s_mov_b32 s26, exec_lo
	v_cmpx_ne_u16_e32 0x80, v2
	s_cbranch_execz .LBB314_3554
; %bb.3549:                             ;   in Loop: Header=BB314_2086 Depth=1
	v_and_b32_sdwa v104, v2, v64 dst_sel:DWORD dst_unused:UNUSED_PAD src0_sel:WORD_0 src1_sel:DWORD
	v_mov_b32_e32 v78, 0x7c010000
	s_mov_b32 s27, exec_lo
	v_cmpx_ne_u32_e32 0x7f, v104
	s_cbranch_execz .LBB314_3553
; %bb.3550:                             ;   in Loop: Header=BB314_2086 Depth=1
	v_and_b32_sdwa v54, v2, v103 dst_sel:DWORD dst_unused:UNUSED_PAD src0_sel:WORD_0 src1_sel:DWORD
	v_lshrrev_b32_e32 v113, 3, v104
	s_mov_b32 s28, exec_lo
	v_cmpx_gt_u32_e32 8, v104
; %bb.3551:                             ;   in Loop: Header=BB314_2086 Depth=1
	v_ffbh_u32_e32 v54, v54
	v_min_u32_e32 v54, 32, v54
	v_subrev_nc_u32_e32 v113, 28, v54
	v_lshlrev_b64 v[104:105], v113, v[2:3]
	v_sub_nc_u32_e32 v113, 29, v54
	v_and_b32_e32 v54, 7, v104
; %bb.3552:                             ;   in Loop: Header=BB314_2086 Depth=1
	s_or_b32 exec_lo, exec_lo, s28
	v_lshlrev_b32_sdwa v2, v112, v2 dst_sel:DWORD dst_unused:UNUSED_PAD src0_sel:DWORD src1_sel:WORD_0
	v_lshl_add_u32 v113, v113, 10, 0x2000
	v_lshlrev_b32_e32 v54, 23, v54
	v_and_or_b32 v2, 0x8000, v2, v113
	v_lshl_or_b32 v78, v2, 16, v54
.LBB314_3553:                           ;   in Loop: Header=BB314_2086 Depth=1
	s_or_b32 exec_lo, exec_lo, s27
.LBB314_3554:                           ;   in Loop: Header=BB314_2086 Depth=1
	s_or_b32 exec_lo, exec_lo, s26
.LBB314_3555:                           ;   in Loop: Header=BB314_2086 Depth=1
	s_or_b32 exec_lo, exec_lo, s25
	v_lshrrev_b32_e32 v2, 16, v17
	v_mov_b32_e32 v104, 0
	v_mov_b32_e32 v105, 0
	v_cmp_ne_u16_sdwa s12, v2, v3 src0_sel:BYTE_0 src1_sel:DWORD
	s_and_saveexec_b32 s25, s12
	s_cbranch_execz .LBB314_3563
; %bb.3556:                             ;   in Loop: Header=BB314_2086 Depth=1
	v_cmp_ne_u16_sdwa s12, v2, v55 src0_sel:BYTE_0 src1_sel:DWORD
	v_mov_b32_e32 v105, 0x8000
	s_and_saveexec_b32 s26, s12
	s_cbranch_execz .LBB314_3562
; %bb.3557:                             ;   in Loop: Header=BB314_2086 Depth=1
	v_bfe_u32 v113, v17, 16, 7
	v_mov_b32_e32 v105, 0x7c01
	s_mov_b32 s27, exec_lo
	v_cmpx_ne_u32_e32 0x7f, v113
	s_cbranch_execz .LBB314_3561
; %bb.3558:                             ;   in Loop: Header=BB314_2086 Depth=1
	v_and_b32_e32 v54, 7, v2
	v_lshrrev_b32_e32 v105, 3, v113
	s_mov_b32 s28, exec_lo
	v_cmpx_gt_u32_e32 8, v113
; %bb.3559:                             ;   in Loop: Header=BB314_2086 Depth=1
	v_ffbh_u32_e32 v54, v54
	v_min_u32_e32 v54, 32, v54
	v_subrev_nc_u32_e32 v113, 28, v54
	v_sub_nc_u32_e32 v105, 29, v54
	v_lshlrev_b64 v[113:114], v113, v[2:3]
	v_and_b32_e32 v54, 7, v113
; %bb.3560:                             ;   in Loop: Header=BB314_2086 Depth=1
	s_or_b32 exec_lo, exec_lo, s28
	v_lshlrev_b32_e32 v2, 8, v2
	v_lshl_add_u32 v113, v105, 10, 0x2000
	v_lshlrev_b32_e32 v54, 7, v54
	v_and_b32_e32 v2, 0x8000, v2
	v_and_b32_e32 v113, 0xfc00, v113
	v_or3_b32 v105, v2, v113, v54
.LBB314_3561:                           ;   in Loop: Header=BB314_2086 Depth=1
	s_or_b32 exec_lo, exec_lo, s27
.LBB314_3562:                           ;   in Loop: Header=BB314_2086 Depth=1
	s_or_b32 exec_lo, exec_lo, s26
.LBB314_3563:                           ;   in Loop: Header=BB314_2086 Depth=1
	s_or_b32 exec_lo, exec_lo, s25
	s_mov_b32 s25, exec_lo
	v_cmpx_lt_u32_e32 0xffffff, v17
	s_cbranch_execz .LBB314_3571
; %bb.3564:                             ;   in Loop: Header=BB314_2086 Depth=1
	v_lshrrev_b32_e32 v2, 24, v17
	v_bfrev_b32_e32 v104, 1
	s_mov_b32 s26, exec_lo
	v_cmpx_ne_u32_e32 0x80, v2
	s_cbranch_execz .LBB314_3570
; %bb.3565:                             ;   in Loop: Header=BB314_2086 Depth=1
	v_and_b32_e32 v106, 0x7f, v2
	v_mov_b32_e32 v104, 0x7c010000
	s_mov_b32 s27, exec_lo
	v_cmpx_ne_u32_e32 0x7f, v106
	s_cbranch_execz .LBB314_3569
; %bb.3566:                             ;   in Loop: Header=BB314_2086 Depth=1
	v_and_b32_e32 v54, 7, v2
	v_lshrrev_b32_e32 v113, 3, v106
	s_mov_b32 s28, exec_lo
	v_cmpx_gt_u32_e32 8, v106
; %bb.3567:                             ;   in Loop: Header=BB314_2086 Depth=1
	v_ffbh_u32_e32 v54, v54
	v_min_u32_e32 v54, 32, v54
	v_subrev_nc_u32_e32 v113, 28, v54
	v_lshlrev_b64 v[106:107], v113, v[2:3]
	v_sub_nc_u32_e32 v113, 29, v54
	v_and_b32_e32 v54, 7, v106
; %bb.3568:                             ;   in Loop: Header=BB314_2086 Depth=1
	s_or_b32 exec_lo, exec_lo, s28
	v_lshlrev_b32_e32 v2, 8, v2
	v_lshl_add_u32 v113, v113, 10, 0x2000
	v_lshlrev_b32_e32 v54, 23, v54
	v_and_or_b32 v2, 0x8000, v2, v113
	v_lshl_or_b32 v104, v2, 16, v54
.LBB314_3569:                           ;   in Loop: Header=BB314_2086 Depth=1
	s_or_b32 exec_lo, exec_lo, s27
.LBB314_3570:                           ;   in Loop: Header=BB314_2086 Depth=1
	s_or_b32 exec_lo, exec_lo, s26
.LBB314_3571:                           ;   in Loop: Header=BB314_2086 Depth=1
	s_or_b32 exec_lo, exec_lo, s25
	v_mov_b32_e32 v2, v18
	v_cmp_ne_u16_sdwa s12, v18, v3 src0_sel:BYTE_0 src1_sel:DWORD
	v_mov_b32_e32 v106, 0
	v_mov_b32_e32 v107, 0
	s_and_saveexec_b32 s25, s12
	s_cbranch_execz .LBB314_3579
; %bb.3572:                             ;   in Loop: Header=BB314_2086 Depth=1
	v_cmp_ne_u16_sdwa s12, v18, v55 src0_sel:BYTE_0 src1_sel:DWORD
	v_mov_b32_e32 v107, 0x8000
	s_and_saveexec_b32 s26, s12
	s_cbranch_execz .LBB314_3578
; %bb.3573:                             ;   in Loop: Header=BB314_2086 Depth=1
	v_and_b32_e32 v113, 0x7f, v18
	v_mov_b32_e32 v107, 0x7c01
	s_mov_b32 s27, exec_lo
	v_cmpx_ne_u32_e32 0x7f, v113
	s_cbranch_execz .LBB314_3577
; %bb.3574:                             ;   in Loop: Header=BB314_2086 Depth=1
	v_and_b32_e32 v54, 7, v18
	v_lshrrev_b32_e32 v107, 3, v113
	s_mov_b32 s28, exec_lo
	v_cmpx_gt_u32_e32 8, v113
; %bb.3575:                             ;   in Loop: Header=BB314_2086 Depth=1
	v_ffbh_u32_e32 v54, v54
	v_min_u32_e32 v54, 32, v54
	v_subrev_nc_u32_e32 v113, 28, v54
	v_sub_nc_u32_e32 v107, 29, v54
	v_lshlrev_b64 v[113:114], v113, v[2:3]
	v_and_b32_e32 v54, 7, v113
; %bb.3576:                             ;   in Loop: Header=BB314_2086 Depth=1
	s_or_b32 exec_lo, exec_lo, s28
	v_lshlrev_b32_e32 v113, 8, v18
	v_lshl_add_u32 v114, v107, 10, 0x2000
	v_lshlrev_b32_e32 v54, 7, v54
	v_and_b32_e32 v113, 0x8000, v113
	v_and_b32_e32 v114, 0xfc00, v114
	v_or3_b32 v107, v113, v114, v54
.LBB314_3577:                           ;   in Loop: Header=BB314_2086 Depth=1
	s_or_b32 exec_lo, exec_lo, s27
.LBB314_3578:                           ;   in Loop: Header=BB314_2086 Depth=1
	s_or_b32 exec_lo, exec_lo, s26
.LBB314_3579:                           ;   in Loop: Header=BB314_2086 Depth=1
	s_or_b32 exec_lo, exec_lo, s25
	v_lshrrev_b16 v2, 8, v2
	v_mov_b32_e32 v108, 0
	s_mov_b32 s25, exec_lo
	v_cmpx_ne_u16_e32 0, v2
	s_cbranch_execz .LBB314_3587
; %bb.3580:                             ;   in Loop: Header=BB314_2086 Depth=1
	v_bfrev_b32_e32 v108, 1
	s_mov_b32 s26, exec_lo
	v_cmpx_ne_u16_e32 0x80, v2
	s_cbranch_execz .LBB314_3586
; %bb.3581:                             ;   in Loop: Header=BB314_2086 Depth=1
	v_and_b32_sdwa v109, v2, v64 dst_sel:DWORD dst_unused:UNUSED_PAD src0_sel:WORD_0 src1_sel:DWORD
	v_mov_b32_e32 v108, 0x7c010000
	s_mov_b32 s27, exec_lo
	v_cmpx_ne_u32_e32 0x7f, v109
	s_cbranch_execz .LBB314_3585
; %bb.3582:                             ;   in Loop: Header=BB314_2086 Depth=1
	v_and_b32_sdwa v54, v2, v103 dst_sel:DWORD dst_unused:UNUSED_PAD src0_sel:WORD_0 src1_sel:DWORD
	v_lshrrev_b32_e32 v113, 3, v109
	s_mov_b32 s28, exec_lo
	v_cmpx_gt_u32_e32 8, v109
; %bb.3583:                             ;   in Loop: Header=BB314_2086 Depth=1
	v_ffbh_u32_e32 v54, v54
	v_min_u32_e32 v54, 32, v54
	v_subrev_nc_u32_e32 v113, 28, v54
	v_lshlrev_b64 v[108:109], v113, v[2:3]
	v_sub_nc_u32_e32 v113, 29, v54
	v_and_b32_e32 v54, 7, v108
; %bb.3584:                             ;   in Loop: Header=BB314_2086 Depth=1
	s_or_b32 exec_lo, exec_lo, s28
	v_lshlrev_b32_sdwa v2, v112, v2 dst_sel:DWORD dst_unused:UNUSED_PAD src0_sel:DWORD src1_sel:WORD_0
	v_lshl_add_u32 v113, v113, 10, 0x2000
	v_lshlrev_b32_e32 v54, 23, v54
	v_and_or_b32 v2, 0x8000, v2, v113
	v_lshl_or_b32 v108, v2, 16, v54
.LBB314_3585:                           ;   in Loop: Header=BB314_2086 Depth=1
	s_or_b32 exec_lo, exec_lo, s27
.LBB314_3586:                           ;   in Loop: Header=BB314_2086 Depth=1
	s_or_b32 exec_lo, exec_lo, s26
.LBB314_3587:                           ;   in Loop: Header=BB314_2086 Depth=1
	s_or_b32 exec_lo, exec_lo, s25
	v_lshrrev_b32_e32 v2, 16, v18
	v_cmp_ne_u16_sdwa s12, v2, v3 src0_sel:BYTE_0 src1_sel:DWORD
	s_and_saveexec_b32 s25, s12
	s_cbranch_execz .LBB314_3595
; %bb.3588:                             ;   in Loop: Header=BB314_2086 Depth=1
	v_cmp_ne_u16_sdwa s12, v2, v55 src0_sel:BYTE_0 src1_sel:DWORD
	v_mov_b32_e32 v106, 0x8000
	s_and_saveexec_b32 s26, s12
	s_cbranch_execz .LBB314_3594
; %bb.3589:                             ;   in Loop: Header=BB314_2086 Depth=1
	v_bfe_u32 v113, v18, 16, 7
	v_mov_b32_e32 v106, 0x7c01
	s_mov_b32 s27, exec_lo
	v_cmpx_ne_u32_e32 0x7f, v113
	s_cbranch_execz .LBB314_3593
; %bb.3590:                             ;   in Loop: Header=BB314_2086 Depth=1
	v_and_b32_e32 v54, 7, v2
	v_lshrrev_b32_e32 v106, 3, v113
	s_mov_b32 s28, exec_lo
	v_cmpx_gt_u32_e32 8, v113
; %bb.3591:                             ;   in Loop: Header=BB314_2086 Depth=1
	v_ffbh_u32_e32 v54, v54
	v_min_u32_e32 v54, 32, v54
	v_subrev_nc_u32_e32 v113, 28, v54
	v_sub_nc_u32_e32 v106, 29, v54
	v_lshlrev_b64 v[113:114], v113, v[2:3]
	v_and_b32_e32 v54, 7, v113
; %bb.3592:                             ;   in Loop: Header=BB314_2086 Depth=1
	s_or_b32 exec_lo, exec_lo, s28
	v_lshlrev_b32_e32 v2, 8, v2
	v_lshl_add_u32 v113, v106, 10, 0x2000
	v_lshlrev_b32_e32 v54, 7, v54
	v_and_b32_e32 v2, 0x8000, v2
	v_and_b32_e32 v113, 0xfc00, v113
	v_or3_b32 v106, v2, v113, v54
.LBB314_3593:                           ;   in Loop: Header=BB314_2086 Depth=1
	s_or_b32 exec_lo, exec_lo, s27
.LBB314_3594:                           ;   in Loop: Header=BB314_2086 Depth=1
	s_or_b32 exec_lo, exec_lo, s26
.LBB314_3595:                           ;   in Loop: Header=BB314_2086 Depth=1
	s_or_b32 exec_lo, exec_lo, s25
	v_cmp_lt_u64_e64 s12, s[22:23], v[17:18]
	v_mov_b32_e32 v17, 0
	s_and_saveexec_b32 s25, s12
	s_cbranch_execz .LBB314_3603
; %bb.3596:                             ;   in Loop: Header=BB314_2086 Depth=1
	v_lshrrev_b32_e32 v2, 24, v18
	v_bfrev_b32_e32 v17, 1
	s_mov_b32 s26, exec_lo
	v_cmpx_ne_u32_e32 0x80, v2
	s_cbranch_execz .LBB314_3602
; %bb.3597:                             ;   in Loop: Header=BB314_2086 Depth=1
	v_and_b32_e32 v54, 0x7f, v2
	v_mov_b32_e32 v17, 0x7c010000
	s_mov_b32 s27, exec_lo
	v_cmpx_ne_u32_e32 0x7f, v54
	s_cbranch_execz .LBB314_3601
; %bb.3598:                             ;   in Loop: Header=BB314_2086 Depth=1
	v_and_b32_e32 v17, 7, v2
	v_lshrrev_b32_e32 v18, 3, v54
	s_mov_b32 s28, exec_lo
	v_cmpx_gt_u32_e32 8, v54
; %bb.3599:                             ;   in Loop: Header=BB314_2086 Depth=1
	v_ffbh_u32_e32 v17, v17
	v_min_u32_e32 v54, 32, v17
	v_subrev_nc_u32_e32 v17, 28, v54
	v_lshlrev_b64 v[17:18], v17, v[2:3]
	v_sub_nc_u32_e32 v18, 29, v54
	v_and_b32_e32 v17, 7, v17
; %bb.3600:                             ;   in Loop: Header=BB314_2086 Depth=1
	s_or_b32 exec_lo, exec_lo, s28
	v_lshlrev_b32_e32 v2, 8, v2
	v_lshl_add_u32 v18, v18, 10, 0x2000
	v_lshlrev_b32_e32 v17, 23, v17
	v_and_or_b32 v2, 0x8000, v2, v18
	v_lshl_or_b32 v17, v2, 16, v17
.LBB314_3601:                           ;   in Loop: Header=BB314_2086 Depth=1
	s_or_b32 exec_lo, exec_lo, s27
.LBB314_3602:                           ;   in Loop: Header=BB314_2086 Depth=1
	s_or_b32 exec_lo, exec_lo, s26
.LBB314_3603:                           ;   in Loop: Header=BB314_2086 Depth=1
	s_or_b32 exec_lo, exec_lo, s25
	v_or_b32_e32 v2, v104, v105
	s_waitcnt vmcnt(0) lgkmcnt(0)
	v_fma_mixlo_f16 v18, v80, v104, 0 op_sel:[0,1,0] op_sel_hi:[0,1,0]
	v_or_b32_e32 v113, v78, v88
	v_fma_mixlo_f16 v54, v80, v78, 0 op_sel:[0,1,0] op_sel_hi:[0,1,0]
	v_or_b32_e32 v114, v108, v107
	v_fma_mixlo_f16 v115, v80, v2, 0 op_sel_hi:[0,1,0]
	v_or_b32_e32 v78, v17, v106
	v_lshlrev_b32_e32 v2, 16, v18
	v_fma_mixlo_f16 v113, v80, v113, 0 op_sel_hi:[0,1,0]
	v_fma_mixlo_f16 v114, v80, v114, 0 op_sel_hi:[0,1,0]
	v_and_b32_e32 v18, 0xffff, v115
	v_fma_mixlo_f16 v115, v80, v108, 0 op_sel:[0,1,0] op_sel_hi:[0,1,0]
	v_fma_mixlo_f16 v17, v80, v17, 0 op_sel:[0,1,0] op_sel_hi:[0,1,0]
	v_fma_mixlo_f16 v80, v80, v78, 0 op_sel_hi:[0,1,0]
	v_lshlrev_b32_e32 v54, 16, v54
	v_and_b32_e32 v113, 0xffff, v113
	v_lshlrev_b32_e32 v105, 16, v115
	v_and_b32_e32 v107, 0xffff, v114
	;; [unrolled: 2-line block ×3, first 2 shown]
	v_or_b32_e32 v17, v2, v18
	v_or_b32_e32 v88, v54, v113
	;; [unrolled: 1-line block ×4, first 2 shown]
	s_and_saveexec_b32 s12, s4
	s_cbranch_execz .LBB314_3605
; %bb.3604:                             ;   in Loop: Header=BB314_2086 Depth=1
	v_cndmask_b32_e32 v17, 0, v113, vcc_lo
	v_cndmask_b32_e64 v54, 0, v54, s7
	v_cndmask_b32_e64 v18, 0, v18, s5
	;; [unrolled: 1-line block ×7, first 2 shown]
	v_or_b32_e32 v88, v17, v54
	v_or_b32_e32 v17, v18, v2
	;; [unrolled: 1-line block ×4, first 2 shown]
.LBB314_3605:                           ;   in Loop: Header=BB314_2086 Depth=1
	s_or_b32 exec_lo, exec_lo, s12
	;;#ASMSTART
	v_pk_mul_f16 v2, v41, v88;

	;;#ASMEND
	;;#ASMSTART
	v_pk_mul_f16 v17, v40, v17;

	;;#ASMEND
	;; [unrolled: 4-line block ×4, first 2 shown]
	;;#ASMSTART
	v_pk_add_f16 v2, v2, v17;

	;;#ASMEND
	;;#ASMSTART
	v_pk_add_f16 v2, v2, v18;

	;;#ASMEND
	;; [unrolled: 4-line block ×3, first 2 shown]
	v_and_b32_e32 v17, 0xffff, v2
	v_lshrrev_b32_e32 v2, 16, v2
	;;#ASMSTART
	v_cvt_f32_f16 v17, v17;
	;;#ASMEND
	;;#ASMSTART
	v_cvt_f32_f16 v18, v2;
	;;#ASMEND
	flat_load_dwordx2 v[13:14], v[13:14] offset:1792
	flat_load_dword v80, v[26:27]
	v_mov_b32_e32 v78, 0
	v_mov_b32_e32 v88, 0
	s_waitcnt vmcnt(1) lgkmcnt(1)
	v_cmp_ne_u16_sdwa s12, v13, v3 src0_sel:BYTE_0 src1_sel:DWORD
	s_and_saveexec_b32 s25, s12
	s_cbranch_execz .LBB314_3613
; %bb.3606:                             ;   in Loop: Header=BB314_2086 Depth=1
	v_cmp_ne_u16_sdwa s12, v13, v55 src0_sel:BYTE_0 src1_sel:DWORD
	v_mov_b32_e32 v88, 0x8000
	s_and_saveexec_b32 s26, s12
	s_cbranch_execz .LBB314_3612
; %bb.3607:                             ;   in Loop: Header=BB314_2086 Depth=1
	v_and_b32_e32 v113, 0x7f, v13
	v_mov_b32_e32 v88, 0x7c01
	s_mov_b32 s27, exec_lo
	v_cmpx_ne_u32_e32 0x7f, v113
	s_cbranch_execz .LBB314_3611
; %bb.3608:                             ;   in Loop: Header=BB314_2086 Depth=1
	v_and_b32_e32 v2, 7, v13
	v_lshrrev_b32_e32 v54, 3, v113
	s_mov_b32 s28, exec_lo
	v_cmpx_gt_u32_e32 8, v113
; %bb.3609:                             ;   in Loop: Header=BB314_2086 Depth=1
	v_ffbh_u32_e32 v2, v2
	v_min_u32_e32 v2, 32, v2
	v_subrev_nc_u32_e32 v54, 28, v2
	v_lshlrev_b64 v[113:114], v54, v[13:14]
	v_sub_nc_u32_e32 v54, 29, v2
	v_and_b32_e32 v2, 7, v113
; %bb.3610:                             ;   in Loop: Header=BB314_2086 Depth=1
	s_or_b32 exec_lo, exec_lo, s28
	v_lshlrev_b32_e32 v113, 8, v13
	v_lshl_add_u32 v54, v54, 10, 0x2000
	v_lshlrev_b32_e32 v2, 7, v2
	v_and_b32_e32 v113, 0x8000, v113
	v_and_b32_e32 v54, 0xfc00, v54
	v_or3_b32 v88, v113, v54, v2
.LBB314_3611:                           ;   in Loop: Header=BB314_2086 Depth=1
	s_or_b32 exec_lo, exec_lo, s27
.LBB314_3612:                           ;   in Loop: Header=BB314_2086 Depth=1
	s_or_b32 exec_lo, exec_lo, s26
.LBB314_3613:                           ;   in Loop: Header=BB314_2086 Depth=1
	s_or_b32 exec_lo, exec_lo, s25
	v_lshrrev_b16 v2, 8, v13
	s_mov_b32 s25, exec_lo
	v_cmpx_ne_u16_e32 0, v2
	s_cbranch_execz .LBB314_3621
; %bb.3614:                             ;   in Loop: Header=BB314_2086 Depth=1
	v_bfrev_b32_e32 v78, 1
	s_mov_b32 s26, exec_lo
	v_cmpx_ne_u16_e32 0x80, v2
	s_cbranch_execz .LBB314_3620
; %bb.3615:                             ;   in Loop: Header=BB314_2086 Depth=1
	v_and_b32_sdwa v104, v2, v64 dst_sel:DWORD dst_unused:UNUSED_PAD src0_sel:WORD_0 src1_sel:DWORD
	v_mov_b32_e32 v78, 0x7c010000
	s_mov_b32 s27, exec_lo
	v_cmpx_ne_u32_e32 0x7f, v104
	s_cbranch_execz .LBB314_3619
; %bb.3616:                             ;   in Loop: Header=BB314_2086 Depth=1
	v_and_b32_sdwa v54, v2, v103 dst_sel:DWORD dst_unused:UNUSED_PAD src0_sel:WORD_0 src1_sel:DWORD
	v_lshrrev_b32_e32 v113, 3, v104
	s_mov_b32 s28, exec_lo
	v_cmpx_gt_u32_e32 8, v104
; %bb.3617:                             ;   in Loop: Header=BB314_2086 Depth=1
	v_ffbh_u32_e32 v54, v54
	v_min_u32_e32 v54, 32, v54
	v_subrev_nc_u32_e32 v113, 28, v54
	v_lshlrev_b64 v[104:105], v113, v[2:3]
	v_sub_nc_u32_e32 v113, 29, v54
	v_and_b32_e32 v54, 7, v104
; %bb.3618:                             ;   in Loop: Header=BB314_2086 Depth=1
	s_or_b32 exec_lo, exec_lo, s28
	v_lshlrev_b32_sdwa v2, v112, v2 dst_sel:DWORD dst_unused:UNUSED_PAD src0_sel:DWORD src1_sel:WORD_0
	v_lshl_add_u32 v113, v113, 10, 0x2000
	v_lshlrev_b32_e32 v54, 23, v54
	v_and_or_b32 v2, 0x8000, v2, v113
	v_lshl_or_b32 v78, v2, 16, v54
.LBB314_3619:                           ;   in Loop: Header=BB314_2086 Depth=1
	s_or_b32 exec_lo, exec_lo, s27
.LBB314_3620:                           ;   in Loop: Header=BB314_2086 Depth=1
	s_or_b32 exec_lo, exec_lo, s26
.LBB314_3621:                           ;   in Loop: Header=BB314_2086 Depth=1
	s_or_b32 exec_lo, exec_lo, s25
	v_lshrrev_b32_e32 v2, 16, v13
	v_mov_b32_e32 v104, 0
	v_mov_b32_e32 v105, 0
	v_cmp_ne_u16_sdwa s12, v2, v3 src0_sel:BYTE_0 src1_sel:DWORD
	s_and_saveexec_b32 s25, s12
	s_cbranch_execz .LBB314_3629
; %bb.3622:                             ;   in Loop: Header=BB314_2086 Depth=1
	v_cmp_ne_u16_sdwa s12, v2, v55 src0_sel:BYTE_0 src1_sel:DWORD
	v_mov_b32_e32 v105, 0x8000
	s_and_saveexec_b32 s26, s12
	s_cbranch_execz .LBB314_3628
; %bb.3623:                             ;   in Loop: Header=BB314_2086 Depth=1
	v_bfe_u32 v113, v13, 16, 7
	v_mov_b32_e32 v105, 0x7c01
	s_mov_b32 s27, exec_lo
	v_cmpx_ne_u32_e32 0x7f, v113
	s_cbranch_execz .LBB314_3627
; %bb.3624:                             ;   in Loop: Header=BB314_2086 Depth=1
	v_and_b32_e32 v54, 7, v2
	v_lshrrev_b32_e32 v105, 3, v113
	s_mov_b32 s28, exec_lo
	v_cmpx_gt_u32_e32 8, v113
; %bb.3625:                             ;   in Loop: Header=BB314_2086 Depth=1
	v_ffbh_u32_e32 v54, v54
	v_min_u32_e32 v54, 32, v54
	v_subrev_nc_u32_e32 v113, 28, v54
	v_sub_nc_u32_e32 v105, 29, v54
	v_lshlrev_b64 v[113:114], v113, v[2:3]
	v_and_b32_e32 v54, 7, v113
; %bb.3626:                             ;   in Loop: Header=BB314_2086 Depth=1
	s_or_b32 exec_lo, exec_lo, s28
	v_lshlrev_b32_e32 v2, 8, v2
	v_lshl_add_u32 v113, v105, 10, 0x2000
	v_lshlrev_b32_e32 v54, 7, v54
	v_and_b32_e32 v2, 0x8000, v2
	v_and_b32_e32 v113, 0xfc00, v113
	v_or3_b32 v105, v2, v113, v54
.LBB314_3627:                           ;   in Loop: Header=BB314_2086 Depth=1
	s_or_b32 exec_lo, exec_lo, s27
.LBB314_3628:                           ;   in Loop: Header=BB314_2086 Depth=1
	s_or_b32 exec_lo, exec_lo, s26
.LBB314_3629:                           ;   in Loop: Header=BB314_2086 Depth=1
	s_or_b32 exec_lo, exec_lo, s25
	s_mov_b32 s25, exec_lo
	v_cmpx_lt_u32_e32 0xffffff, v13
	s_cbranch_execz .LBB314_3637
; %bb.3630:                             ;   in Loop: Header=BB314_2086 Depth=1
	v_lshrrev_b32_e32 v2, 24, v13
	v_bfrev_b32_e32 v104, 1
	s_mov_b32 s26, exec_lo
	v_cmpx_ne_u32_e32 0x80, v2
	s_cbranch_execz .LBB314_3636
; %bb.3631:                             ;   in Loop: Header=BB314_2086 Depth=1
	v_and_b32_e32 v106, 0x7f, v2
	v_mov_b32_e32 v104, 0x7c010000
	s_mov_b32 s27, exec_lo
	v_cmpx_ne_u32_e32 0x7f, v106
	s_cbranch_execz .LBB314_3635
; %bb.3632:                             ;   in Loop: Header=BB314_2086 Depth=1
	v_and_b32_e32 v54, 7, v2
	v_lshrrev_b32_e32 v113, 3, v106
	s_mov_b32 s28, exec_lo
	v_cmpx_gt_u32_e32 8, v106
; %bb.3633:                             ;   in Loop: Header=BB314_2086 Depth=1
	v_ffbh_u32_e32 v54, v54
	v_min_u32_e32 v54, 32, v54
	v_subrev_nc_u32_e32 v113, 28, v54
	v_lshlrev_b64 v[106:107], v113, v[2:3]
	v_sub_nc_u32_e32 v113, 29, v54
	v_and_b32_e32 v54, 7, v106
; %bb.3634:                             ;   in Loop: Header=BB314_2086 Depth=1
	s_or_b32 exec_lo, exec_lo, s28
	v_lshlrev_b32_e32 v2, 8, v2
	v_lshl_add_u32 v113, v113, 10, 0x2000
	v_lshlrev_b32_e32 v54, 23, v54
	v_and_or_b32 v2, 0x8000, v2, v113
	v_lshl_or_b32 v104, v2, 16, v54
.LBB314_3635:                           ;   in Loop: Header=BB314_2086 Depth=1
	s_or_b32 exec_lo, exec_lo, s27
.LBB314_3636:                           ;   in Loop: Header=BB314_2086 Depth=1
	s_or_b32 exec_lo, exec_lo, s26
.LBB314_3637:                           ;   in Loop: Header=BB314_2086 Depth=1
	s_or_b32 exec_lo, exec_lo, s25
	v_mov_b32_e32 v2, v14
	v_cmp_ne_u16_sdwa s12, v14, v3 src0_sel:BYTE_0 src1_sel:DWORD
	v_mov_b32_e32 v106, 0
	v_mov_b32_e32 v107, 0
	s_and_saveexec_b32 s25, s12
	s_cbranch_execz .LBB314_3645
; %bb.3638:                             ;   in Loop: Header=BB314_2086 Depth=1
	v_cmp_ne_u16_sdwa s12, v14, v55 src0_sel:BYTE_0 src1_sel:DWORD
	v_mov_b32_e32 v107, 0x8000
	s_and_saveexec_b32 s26, s12
	s_cbranch_execz .LBB314_3644
; %bb.3639:                             ;   in Loop: Header=BB314_2086 Depth=1
	v_and_b32_e32 v113, 0x7f, v14
	v_mov_b32_e32 v107, 0x7c01
	s_mov_b32 s27, exec_lo
	v_cmpx_ne_u32_e32 0x7f, v113
	s_cbranch_execz .LBB314_3643
; %bb.3640:                             ;   in Loop: Header=BB314_2086 Depth=1
	v_and_b32_e32 v54, 7, v14
	v_lshrrev_b32_e32 v107, 3, v113
	s_mov_b32 s28, exec_lo
	v_cmpx_gt_u32_e32 8, v113
; %bb.3641:                             ;   in Loop: Header=BB314_2086 Depth=1
	v_ffbh_u32_e32 v54, v54
	v_min_u32_e32 v54, 32, v54
	v_subrev_nc_u32_e32 v113, 28, v54
	v_sub_nc_u32_e32 v107, 29, v54
	v_lshlrev_b64 v[113:114], v113, v[2:3]
	v_and_b32_e32 v54, 7, v113
; %bb.3642:                             ;   in Loop: Header=BB314_2086 Depth=1
	s_or_b32 exec_lo, exec_lo, s28
	v_lshlrev_b32_e32 v113, 8, v14
	v_lshl_add_u32 v114, v107, 10, 0x2000
	v_lshlrev_b32_e32 v54, 7, v54
	v_and_b32_e32 v113, 0x8000, v113
	v_and_b32_e32 v114, 0xfc00, v114
	v_or3_b32 v107, v113, v114, v54
.LBB314_3643:                           ;   in Loop: Header=BB314_2086 Depth=1
	s_or_b32 exec_lo, exec_lo, s27
.LBB314_3644:                           ;   in Loop: Header=BB314_2086 Depth=1
	s_or_b32 exec_lo, exec_lo, s26
.LBB314_3645:                           ;   in Loop: Header=BB314_2086 Depth=1
	s_or_b32 exec_lo, exec_lo, s25
	v_lshrrev_b16 v2, 8, v2
	v_mov_b32_e32 v108, 0
	s_mov_b32 s25, exec_lo
	v_cmpx_ne_u16_e32 0, v2
	s_cbranch_execz .LBB314_3653
; %bb.3646:                             ;   in Loop: Header=BB314_2086 Depth=1
	v_bfrev_b32_e32 v108, 1
	s_mov_b32 s26, exec_lo
	v_cmpx_ne_u16_e32 0x80, v2
	s_cbranch_execz .LBB314_3652
; %bb.3647:                             ;   in Loop: Header=BB314_2086 Depth=1
	v_and_b32_sdwa v109, v2, v64 dst_sel:DWORD dst_unused:UNUSED_PAD src0_sel:WORD_0 src1_sel:DWORD
	v_mov_b32_e32 v108, 0x7c010000
	s_mov_b32 s27, exec_lo
	v_cmpx_ne_u32_e32 0x7f, v109
	s_cbranch_execz .LBB314_3651
; %bb.3648:                             ;   in Loop: Header=BB314_2086 Depth=1
	v_and_b32_sdwa v54, v2, v103 dst_sel:DWORD dst_unused:UNUSED_PAD src0_sel:WORD_0 src1_sel:DWORD
	v_lshrrev_b32_e32 v113, 3, v109
	s_mov_b32 s28, exec_lo
	v_cmpx_gt_u32_e32 8, v109
; %bb.3649:                             ;   in Loop: Header=BB314_2086 Depth=1
	v_ffbh_u32_e32 v54, v54
	v_min_u32_e32 v54, 32, v54
	v_subrev_nc_u32_e32 v113, 28, v54
	v_lshlrev_b64 v[108:109], v113, v[2:3]
	v_sub_nc_u32_e32 v113, 29, v54
	v_and_b32_e32 v54, 7, v108
; %bb.3650:                             ;   in Loop: Header=BB314_2086 Depth=1
	s_or_b32 exec_lo, exec_lo, s28
	v_lshlrev_b32_sdwa v2, v112, v2 dst_sel:DWORD dst_unused:UNUSED_PAD src0_sel:DWORD src1_sel:WORD_0
	v_lshl_add_u32 v113, v113, 10, 0x2000
	v_lshlrev_b32_e32 v54, 23, v54
	v_and_or_b32 v2, 0x8000, v2, v113
	v_lshl_or_b32 v108, v2, 16, v54
.LBB314_3651:                           ;   in Loop: Header=BB314_2086 Depth=1
	s_or_b32 exec_lo, exec_lo, s27
.LBB314_3652:                           ;   in Loop: Header=BB314_2086 Depth=1
	s_or_b32 exec_lo, exec_lo, s26
.LBB314_3653:                           ;   in Loop: Header=BB314_2086 Depth=1
	s_or_b32 exec_lo, exec_lo, s25
	v_lshrrev_b32_e32 v2, 16, v14
	v_cmp_ne_u16_sdwa s12, v2, v3 src0_sel:BYTE_0 src1_sel:DWORD
	s_and_saveexec_b32 s25, s12
	s_cbranch_execz .LBB314_3661
; %bb.3654:                             ;   in Loop: Header=BB314_2086 Depth=1
	v_cmp_ne_u16_sdwa s12, v2, v55 src0_sel:BYTE_0 src1_sel:DWORD
	v_mov_b32_e32 v106, 0x8000
	s_and_saveexec_b32 s26, s12
	s_cbranch_execz .LBB314_3660
; %bb.3655:                             ;   in Loop: Header=BB314_2086 Depth=1
	v_bfe_u32 v113, v14, 16, 7
	v_mov_b32_e32 v106, 0x7c01
	s_mov_b32 s27, exec_lo
	v_cmpx_ne_u32_e32 0x7f, v113
	s_cbranch_execz .LBB314_3659
; %bb.3656:                             ;   in Loop: Header=BB314_2086 Depth=1
	v_and_b32_e32 v54, 7, v2
	v_lshrrev_b32_e32 v106, 3, v113
	s_mov_b32 s28, exec_lo
	v_cmpx_gt_u32_e32 8, v113
; %bb.3657:                             ;   in Loop: Header=BB314_2086 Depth=1
	v_ffbh_u32_e32 v54, v54
	v_min_u32_e32 v54, 32, v54
	v_subrev_nc_u32_e32 v113, 28, v54
	v_sub_nc_u32_e32 v106, 29, v54
	v_lshlrev_b64 v[113:114], v113, v[2:3]
	v_and_b32_e32 v54, 7, v113
; %bb.3658:                             ;   in Loop: Header=BB314_2086 Depth=1
	s_or_b32 exec_lo, exec_lo, s28
	v_lshlrev_b32_e32 v2, 8, v2
	v_lshl_add_u32 v113, v106, 10, 0x2000
	v_lshlrev_b32_e32 v54, 7, v54
	v_and_b32_e32 v2, 0x8000, v2
	v_and_b32_e32 v113, 0xfc00, v113
	v_or3_b32 v106, v2, v113, v54
.LBB314_3659:                           ;   in Loop: Header=BB314_2086 Depth=1
	s_or_b32 exec_lo, exec_lo, s27
.LBB314_3660:                           ;   in Loop: Header=BB314_2086 Depth=1
	s_or_b32 exec_lo, exec_lo, s26
.LBB314_3661:                           ;   in Loop: Header=BB314_2086 Depth=1
	s_or_b32 exec_lo, exec_lo, s25
	v_cmp_lt_u64_e64 s12, s[22:23], v[13:14]
	v_mov_b32_e32 v13, 0
	s_and_saveexec_b32 s25, s12
	s_cbranch_execz .LBB314_3669
; %bb.3662:                             ;   in Loop: Header=BB314_2086 Depth=1
	v_lshrrev_b32_e32 v2, 24, v14
	v_bfrev_b32_e32 v13, 1
	s_mov_b32 s26, exec_lo
	v_cmpx_ne_u32_e32 0x80, v2
	s_cbranch_execz .LBB314_3668
; %bb.3663:                             ;   in Loop: Header=BB314_2086 Depth=1
	v_and_b32_e32 v54, 0x7f, v2
	v_mov_b32_e32 v13, 0x7c010000
	s_mov_b32 s27, exec_lo
	v_cmpx_ne_u32_e32 0x7f, v54
	s_cbranch_execz .LBB314_3667
; %bb.3664:                             ;   in Loop: Header=BB314_2086 Depth=1
	v_and_b32_e32 v13, 7, v2
	v_lshrrev_b32_e32 v14, 3, v54
	s_mov_b32 s28, exec_lo
	v_cmpx_gt_u32_e32 8, v54
; %bb.3665:                             ;   in Loop: Header=BB314_2086 Depth=1
	v_ffbh_u32_e32 v13, v13
	v_min_u32_e32 v54, 32, v13
	v_subrev_nc_u32_e32 v13, 28, v54
	v_lshlrev_b64 v[13:14], v13, v[2:3]
	v_sub_nc_u32_e32 v14, 29, v54
	v_and_b32_e32 v13, 7, v13
; %bb.3666:                             ;   in Loop: Header=BB314_2086 Depth=1
	s_or_b32 exec_lo, exec_lo, s28
	v_lshlrev_b32_e32 v2, 8, v2
	v_lshl_add_u32 v14, v14, 10, 0x2000
	v_lshlrev_b32_e32 v13, 23, v13
	v_and_or_b32 v2, 0x8000, v2, v14
	v_lshl_or_b32 v13, v2, 16, v13
.LBB314_3667:                           ;   in Loop: Header=BB314_2086 Depth=1
	s_or_b32 exec_lo, exec_lo, s27
.LBB314_3668:                           ;   in Loop: Header=BB314_2086 Depth=1
	s_or_b32 exec_lo, exec_lo, s26
.LBB314_3669:                           ;   in Loop: Header=BB314_2086 Depth=1
	s_or_b32 exec_lo, exec_lo, s25
	v_or_b32_e32 v2, v104, v105
	s_waitcnt vmcnt(0) lgkmcnt(0)
	v_fma_mixlo_f16 v14, v80, v104, 0 op_sel:[0,1,0] op_sel_hi:[0,1,0]
	v_or_b32_e32 v113, v78, v88
	v_fma_mixlo_f16 v54, v80, v78, 0 op_sel:[0,1,0] op_sel_hi:[0,1,0]
	v_or_b32_e32 v114, v108, v107
	v_fma_mixlo_f16 v115, v80, v2, 0 op_sel_hi:[0,1,0]
	v_or_b32_e32 v78, v13, v106
	v_lshlrev_b32_e32 v2, 16, v14
	v_fma_mixlo_f16 v113, v80, v113, 0 op_sel_hi:[0,1,0]
	v_fma_mixlo_f16 v114, v80, v114, 0 op_sel_hi:[0,1,0]
	v_and_b32_e32 v14, 0xffff, v115
	v_fma_mixlo_f16 v115, v80, v108, 0 op_sel:[0,1,0] op_sel_hi:[0,1,0]
	v_fma_mixlo_f16 v13, v80, v13, 0 op_sel:[0,1,0] op_sel_hi:[0,1,0]
	v_fma_mixlo_f16 v80, v80, v78, 0 op_sel_hi:[0,1,0]
	v_lshlrev_b32_e32 v54, 16, v54
	v_and_b32_e32 v113, 0xffff, v113
	v_lshlrev_b32_e32 v105, 16, v115
	v_and_b32_e32 v107, 0xffff, v114
	;; [unrolled: 2-line block ×3, first 2 shown]
	v_or_b32_e32 v13, v2, v14
	v_or_b32_e32 v88, v54, v113
	;; [unrolled: 1-line block ×4, first 2 shown]
	s_and_saveexec_b32 s12, s4
	s_cbranch_execz .LBB314_3671
; %bb.3670:                             ;   in Loop: Header=BB314_2086 Depth=1
	v_cndmask_b32_e32 v13, 0, v113, vcc_lo
	v_cndmask_b32_e64 v54, 0, v54, s7
	v_cndmask_b32_e64 v14, 0, v14, s5
	;; [unrolled: 1-line block ×7, first 2 shown]
	v_or_b32_e32 v88, v13, v54
	v_or_b32_e32 v13, v14, v2
	;; [unrolled: 1-line block ×4, first 2 shown]
.LBB314_3671:                           ;   in Loop: Header=BB314_2086 Depth=1
	s_or_b32 exec_lo, exec_lo, s12
	v_add_co_u32 v11, s12, 0x1800, v11
	v_add_co_ci_u32_e64 v12, null, 0, v12, s12
	;;#ASMSTART
	v_pk_mul_f16 v2, v41, v88;

	;;#ASMEND
	;;#ASMSTART
	v_pk_mul_f16 v13, v40, v13;

	;;#ASMEND
	;; [unrolled: 4-line block ×4, first 2 shown]
	;;#ASMSTART
	v_pk_add_f16 v2, v2, v13;

	;;#ASMEND
	;;#ASMSTART
	v_pk_add_f16 v2, v2, v14;

	;;#ASMEND
	;; [unrolled: 4-line block ×3, first 2 shown]
	v_lshrrev_b32_e32 v13, 16, v2
	v_and_b32_e32 v2, 0xffff, v2
	;;#ASMSTART
	v_cvt_f32_f16 v104, v2;
	;;#ASMEND
	;;#ASMSTART
	v_cvt_f32_f16 v105, v13;
	;;#ASMEND
	flat_load_dwordx2 v[13:14], v[11:12]
	flat_load_dword v80, v[26:27]
	v_mov_b32_e32 v78, 0
	v_mov_b32_e32 v88, 0
	s_waitcnt vmcnt(1) lgkmcnt(1)
	v_cmp_ne_u16_sdwa s12, v13, v3 src0_sel:BYTE_0 src1_sel:DWORD
	s_and_saveexec_b32 s25, s12
	s_cbranch_execz .LBB314_3679
; %bb.3672:                             ;   in Loop: Header=BB314_2086 Depth=1
	v_cmp_ne_u16_sdwa s12, v13, v55 src0_sel:BYTE_0 src1_sel:DWORD
	v_mov_b32_e32 v88, 0x8000
	s_and_saveexec_b32 s26, s12
	s_cbranch_execz .LBB314_3678
; %bb.3673:                             ;   in Loop: Header=BB314_2086 Depth=1
	v_and_b32_e32 v113, 0x7f, v13
	v_mov_b32_e32 v88, 0x7c01
	s_mov_b32 s27, exec_lo
	v_cmpx_ne_u32_e32 0x7f, v113
	s_cbranch_execz .LBB314_3677
; %bb.3674:                             ;   in Loop: Header=BB314_2086 Depth=1
	v_and_b32_e32 v2, 7, v13
	v_lshrrev_b32_e32 v54, 3, v113
	s_mov_b32 s28, exec_lo
	v_cmpx_gt_u32_e32 8, v113
; %bb.3675:                             ;   in Loop: Header=BB314_2086 Depth=1
	v_ffbh_u32_e32 v2, v2
	v_min_u32_e32 v2, 32, v2
	v_subrev_nc_u32_e32 v54, 28, v2
	v_lshlrev_b64 v[113:114], v54, v[13:14]
	v_sub_nc_u32_e32 v54, 29, v2
	v_and_b32_e32 v2, 7, v113
; %bb.3676:                             ;   in Loop: Header=BB314_2086 Depth=1
	s_or_b32 exec_lo, exec_lo, s28
	v_lshlrev_b32_e32 v113, 8, v13
	v_lshl_add_u32 v54, v54, 10, 0x2000
	v_lshlrev_b32_e32 v2, 7, v2
	v_and_b32_e32 v113, 0x8000, v113
	v_and_b32_e32 v54, 0xfc00, v54
	v_or3_b32 v88, v113, v54, v2
.LBB314_3677:                           ;   in Loop: Header=BB314_2086 Depth=1
	s_or_b32 exec_lo, exec_lo, s27
.LBB314_3678:                           ;   in Loop: Header=BB314_2086 Depth=1
	s_or_b32 exec_lo, exec_lo, s26
.LBB314_3679:                           ;   in Loop: Header=BB314_2086 Depth=1
	s_or_b32 exec_lo, exec_lo, s25
	v_lshrrev_b16 v2, 8, v13
	s_mov_b32 s25, exec_lo
	v_cmpx_ne_u16_e32 0, v2
	s_cbranch_execz .LBB314_3687
; %bb.3680:                             ;   in Loop: Header=BB314_2086 Depth=1
	v_bfrev_b32_e32 v78, 1
	s_mov_b32 s26, exec_lo
	v_cmpx_ne_u16_e32 0x80, v2
	s_cbranch_execz .LBB314_3686
; %bb.3681:                             ;   in Loop: Header=BB314_2086 Depth=1
	v_and_b32_sdwa v106, v2, v64 dst_sel:DWORD dst_unused:UNUSED_PAD src0_sel:WORD_0 src1_sel:DWORD
	v_mov_b32_e32 v78, 0x7c010000
	s_mov_b32 s27, exec_lo
	v_cmpx_ne_u32_e32 0x7f, v106
	s_cbranch_execz .LBB314_3685
; %bb.3682:                             ;   in Loop: Header=BB314_2086 Depth=1
	v_and_b32_sdwa v54, v2, v103 dst_sel:DWORD dst_unused:UNUSED_PAD src0_sel:WORD_0 src1_sel:DWORD
	v_lshrrev_b32_e32 v113, 3, v106
	s_mov_b32 s28, exec_lo
	v_cmpx_gt_u32_e32 8, v106
; %bb.3683:                             ;   in Loop: Header=BB314_2086 Depth=1
	v_ffbh_u32_e32 v54, v54
	v_min_u32_e32 v54, 32, v54
	v_subrev_nc_u32_e32 v113, 28, v54
	v_lshlrev_b64 v[106:107], v113, v[2:3]
	v_sub_nc_u32_e32 v113, 29, v54
	v_and_b32_e32 v54, 7, v106
; %bb.3684:                             ;   in Loop: Header=BB314_2086 Depth=1
	s_or_b32 exec_lo, exec_lo, s28
	v_lshlrev_b32_sdwa v2, v112, v2 dst_sel:DWORD dst_unused:UNUSED_PAD src0_sel:DWORD src1_sel:WORD_0
	v_lshl_add_u32 v113, v113, 10, 0x2000
	v_lshlrev_b32_e32 v54, 23, v54
	v_and_or_b32 v2, 0x8000, v2, v113
	v_lshl_or_b32 v78, v2, 16, v54
.LBB314_3685:                           ;   in Loop: Header=BB314_2086 Depth=1
	s_or_b32 exec_lo, exec_lo, s27
.LBB314_3686:                           ;   in Loop: Header=BB314_2086 Depth=1
	s_or_b32 exec_lo, exec_lo, s26
.LBB314_3687:                           ;   in Loop: Header=BB314_2086 Depth=1
	s_or_b32 exec_lo, exec_lo, s25
	v_lshrrev_b32_e32 v2, 16, v13
	v_mov_b32_e32 v106, 0
	v_mov_b32_e32 v107, 0
	v_cmp_ne_u16_sdwa s12, v2, v3 src0_sel:BYTE_0 src1_sel:DWORD
	s_and_saveexec_b32 s25, s12
	s_cbranch_execz .LBB314_3695
; %bb.3688:                             ;   in Loop: Header=BB314_2086 Depth=1
	v_cmp_ne_u16_sdwa s12, v2, v55 src0_sel:BYTE_0 src1_sel:DWORD
	v_mov_b32_e32 v107, 0x8000
	s_and_saveexec_b32 s26, s12
	s_cbranch_execz .LBB314_3694
; %bb.3689:                             ;   in Loop: Header=BB314_2086 Depth=1
	v_bfe_u32 v113, v13, 16, 7
	v_mov_b32_e32 v107, 0x7c01
	s_mov_b32 s27, exec_lo
	v_cmpx_ne_u32_e32 0x7f, v113
	s_cbranch_execz .LBB314_3693
; %bb.3690:                             ;   in Loop: Header=BB314_2086 Depth=1
	v_and_b32_e32 v54, 7, v2
	v_lshrrev_b32_e32 v107, 3, v113
	s_mov_b32 s28, exec_lo
	v_cmpx_gt_u32_e32 8, v113
; %bb.3691:                             ;   in Loop: Header=BB314_2086 Depth=1
	v_ffbh_u32_e32 v54, v54
	v_min_u32_e32 v54, 32, v54
	v_subrev_nc_u32_e32 v113, 28, v54
	v_sub_nc_u32_e32 v107, 29, v54
	v_lshlrev_b64 v[113:114], v113, v[2:3]
	v_and_b32_e32 v54, 7, v113
; %bb.3692:                             ;   in Loop: Header=BB314_2086 Depth=1
	s_or_b32 exec_lo, exec_lo, s28
	v_lshlrev_b32_e32 v2, 8, v2
	v_lshl_add_u32 v113, v107, 10, 0x2000
	v_lshlrev_b32_e32 v54, 7, v54
	v_and_b32_e32 v2, 0x8000, v2
	v_and_b32_e32 v113, 0xfc00, v113
	v_or3_b32 v107, v2, v113, v54
.LBB314_3693:                           ;   in Loop: Header=BB314_2086 Depth=1
	s_or_b32 exec_lo, exec_lo, s27
.LBB314_3694:                           ;   in Loop: Header=BB314_2086 Depth=1
	s_or_b32 exec_lo, exec_lo, s26
.LBB314_3695:                           ;   in Loop: Header=BB314_2086 Depth=1
	s_or_b32 exec_lo, exec_lo, s25
	s_mov_b32 s25, exec_lo
	v_cmpx_lt_u32_e32 0xffffff, v13
	s_cbranch_execz .LBB314_3703
; %bb.3696:                             ;   in Loop: Header=BB314_2086 Depth=1
	v_lshrrev_b32_e32 v2, 24, v13
	v_bfrev_b32_e32 v106, 1
	s_mov_b32 s26, exec_lo
	v_cmpx_ne_u32_e32 0x80, v2
	s_cbranch_execz .LBB314_3702
; %bb.3697:                             ;   in Loop: Header=BB314_2086 Depth=1
	v_and_b32_e32 v108, 0x7f, v2
	v_mov_b32_e32 v106, 0x7c010000
	s_mov_b32 s27, exec_lo
	v_cmpx_ne_u32_e32 0x7f, v108
	s_cbranch_execz .LBB314_3701
; %bb.3698:                             ;   in Loop: Header=BB314_2086 Depth=1
	v_and_b32_e32 v54, 7, v2
	v_lshrrev_b32_e32 v113, 3, v108
	s_mov_b32 s28, exec_lo
	v_cmpx_gt_u32_e32 8, v108
; %bb.3699:                             ;   in Loop: Header=BB314_2086 Depth=1
	v_ffbh_u32_e32 v54, v54
	v_min_u32_e32 v54, 32, v54
	v_subrev_nc_u32_e32 v113, 28, v54
	v_lshlrev_b64 v[108:109], v113, v[2:3]
	v_sub_nc_u32_e32 v113, 29, v54
	v_and_b32_e32 v54, 7, v108
; %bb.3700:                             ;   in Loop: Header=BB314_2086 Depth=1
	s_or_b32 exec_lo, exec_lo, s28
	v_lshlrev_b32_e32 v2, 8, v2
	v_lshl_add_u32 v113, v113, 10, 0x2000
	v_lshlrev_b32_e32 v54, 23, v54
	v_and_or_b32 v2, 0x8000, v2, v113
	v_lshl_or_b32 v106, v2, 16, v54
.LBB314_3701:                           ;   in Loop: Header=BB314_2086 Depth=1
	s_or_b32 exec_lo, exec_lo, s27
.LBB314_3702:                           ;   in Loop: Header=BB314_2086 Depth=1
	s_or_b32 exec_lo, exec_lo, s26
.LBB314_3703:                           ;   in Loop: Header=BB314_2086 Depth=1
	s_or_b32 exec_lo, exec_lo, s25
	v_mov_b32_e32 v2, v14
	v_cmp_ne_u16_sdwa s12, v14, v3 src0_sel:BYTE_0 src1_sel:DWORD
	v_mov_b32_e32 v108, 0
	v_mov_b32_e32 v109, 0
	s_and_saveexec_b32 s25, s12
	s_cbranch_execz .LBB314_3711
; %bb.3704:                             ;   in Loop: Header=BB314_2086 Depth=1
	v_cmp_ne_u16_sdwa s12, v14, v55 src0_sel:BYTE_0 src1_sel:DWORD
	v_mov_b32_e32 v109, 0x8000
	s_and_saveexec_b32 s26, s12
	s_cbranch_execz .LBB314_3710
; %bb.3705:                             ;   in Loop: Header=BB314_2086 Depth=1
	v_and_b32_e32 v113, 0x7f, v14
	v_mov_b32_e32 v109, 0x7c01
	s_mov_b32 s27, exec_lo
	v_cmpx_ne_u32_e32 0x7f, v113
	s_cbranch_execz .LBB314_3709
; %bb.3706:                             ;   in Loop: Header=BB314_2086 Depth=1
	v_and_b32_e32 v54, 7, v14
	v_lshrrev_b32_e32 v109, 3, v113
	s_mov_b32 s28, exec_lo
	v_cmpx_gt_u32_e32 8, v113
; %bb.3707:                             ;   in Loop: Header=BB314_2086 Depth=1
	v_ffbh_u32_e32 v54, v54
	v_min_u32_e32 v54, 32, v54
	v_subrev_nc_u32_e32 v113, 28, v54
	v_sub_nc_u32_e32 v109, 29, v54
	v_lshlrev_b64 v[113:114], v113, v[2:3]
	v_and_b32_e32 v54, 7, v113
; %bb.3708:                             ;   in Loop: Header=BB314_2086 Depth=1
	s_or_b32 exec_lo, exec_lo, s28
	v_lshlrev_b32_e32 v113, 8, v14
	v_lshl_add_u32 v114, v109, 10, 0x2000
	v_lshlrev_b32_e32 v54, 7, v54
	v_and_b32_e32 v113, 0x8000, v113
	v_and_b32_e32 v114, 0xfc00, v114
	v_or3_b32 v109, v113, v114, v54
.LBB314_3709:                           ;   in Loop: Header=BB314_2086 Depth=1
	s_or_b32 exec_lo, exec_lo, s27
.LBB314_3710:                           ;   in Loop: Header=BB314_2086 Depth=1
	s_or_b32 exec_lo, exec_lo, s26
.LBB314_3711:                           ;   in Loop: Header=BB314_2086 Depth=1
	s_or_b32 exec_lo, exec_lo, s25
	v_lshrrev_b16 v2, 8, v2
	v_mov_b32_e32 v110, 0
	s_mov_b32 s25, exec_lo
	v_cmpx_ne_u16_e32 0, v2
	s_cbranch_execz .LBB314_3719
; %bb.3712:                             ;   in Loop: Header=BB314_2086 Depth=1
	v_bfrev_b32_e32 v110, 1
	s_mov_b32 s26, exec_lo
	v_cmpx_ne_u16_e32 0x80, v2
	s_cbranch_execz .LBB314_3718
; %bb.3713:                             ;   in Loop: Header=BB314_2086 Depth=1
	v_and_b32_sdwa v111, v2, v64 dst_sel:DWORD dst_unused:UNUSED_PAD src0_sel:WORD_0 src1_sel:DWORD
	v_mov_b32_e32 v110, 0x7c010000
	s_mov_b32 s27, exec_lo
	v_cmpx_ne_u32_e32 0x7f, v111
	s_cbranch_execz .LBB314_3717
; %bb.3714:                             ;   in Loop: Header=BB314_2086 Depth=1
	v_and_b32_sdwa v54, v2, v103 dst_sel:DWORD dst_unused:UNUSED_PAD src0_sel:WORD_0 src1_sel:DWORD
	v_lshrrev_b32_e32 v113, 3, v111
	s_mov_b32 s28, exec_lo
	v_cmpx_gt_u32_e32 8, v111
; %bb.3715:                             ;   in Loop: Header=BB314_2086 Depth=1
	v_ffbh_u32_e32 v54, v54
	v_min_u32_e32 v54, 32, v54
	v_subrev_nc_u32_e32 v113, 28, v54
	v_lshlrev_b64 v[110:111], v113, v[2:3]
	v_sub_nc_u32_e32 v113, 29, v54
	v_and_b32_e32 v54, 7, v110
; %bb.3716:                             ;   in Loop: Header=BB314_2086 Depth=1
	s_or_b32 exec_lo, exec_lo, s28
	v_lshlrev_b32_sdwa v2, v112, v2 dst_sel:DWORD dst_unused:UNUSED_PAD src0_sel:DWORD src1_sel:WORD_0
	v_lshl_add_u32 v113, v113, 10, 0x2000
	v_lshlrev_b32_e32 v54, 23, v54
	v_and_or_b32 v2, 0x8000, v2, v113
	v_lshl_or_b32 v110, v2, 16, v54
.LBB314_3717:                           ;   in Loop: Header=BB314_2086 Depth=1
	s_or_b32 exec_lo, exec_lo, s27
.LBB314_3718:                           ;   in Loop: Header=BB314_2086 Depth=1
	s_or_b32 exec_lo, exec_lo, s26
.LBB314_3719:                           ;   in Loop: Header=BB314_2086 Depth=1
	s_or_b32 exec_lo, exec_lo, s25
	v_lshrrev_b32_e32 v2, 16, v14
	v_cmp_ne_u16_sdwa s12, v2, v3 src0_sel:BYTE_0 src1_sel:DWORD
	s_and_saveexec_b32 s25, s12
	s_cbranch_execz .LBB314_3727
; %bb.3720:                             ;   in Loop: Header=BB314_2086 Depth=1
	v_cmp_ne_u16_sdwa s12, v2, v55 src0_sel:BYTE_0 src1_sel:DWORD
	v_mov_b32_e32 v108, 0x8000
	s_and_saveexec_b32 s26, s12
	s_cbranch_execz .LBB314_3726
; %bb.3721:                             ;   in Loop: Header=BB314_2086 Depth=1
	v_bfe_u32 v113, v14, 16, 7
	v_mov_b32_e32 v108, 0x7c01
	s_mov_b32 s27, exec_lo
	v_cmpx_ne_u32_e32 0x7f, v113
	s_cbranch_execz .LBB314_3725
; %bb.3722:                             ;   in Loop: Header=BB314_2086 Depth=1
	v_and_b32_e32 v54, 7, v2
	v_lshrrev_b32_e32 v108, 3, v113
	s_mov_b32 s28, exec_lo
	v_cmpx_gt_u32_e32 8, v113
; %bb.3723:                             ;   in Loop: Header=BB314_2086 Depth=1
	v_ffbh_u32_e32 v54, v54
	v_min_u32_e32 v54, 32, v54
	v_subrev_nc_u32_e32 v113, 28, v54
	v_sub_nc_u32_e32 v108, 29, v54
	v_lshlrev_b64 v[113:114], v113, v[2:3]
	v_and_b32_e32 v54, 7, v113
; %bb.3724:                             ;   in Loop: Header=BB314_2086 Depth=1
	s_or_b32 exec_lo, exec_lo, s28
	v_lshlrev_b32_e32 v2, 8, v2
	v_lshl_add_u32 v113, v108, 10, 0x2000
	v_lshlrev_b32_e32 v54, 7, v54
	v_and_b32_e32 v2, 0x8000, v2
	v_and_b32_e32 v113, 0xfc00, v113
	v_or3_b32 v108, v2, v113, v54
.LBB314_3725:                           ;   in Loop: Header=BB314_2086 Depth=1
	s_or_b32 exec_lo, exec_lo, s27
.LBB314_3726:                           ;   in Loop: Header=BB314_2086 Depth=1
	s_or_b32 exec_lo, exec_lo, s26
.LBB314_3727:                           ;   in Loop: Header=BB314_2086 Depth=1
	s_or_b32 exec_lo, exec_lo, s25
	v_cmp_lt_u64_e64 s12, s[22:23], v[13:14]
	v_mov_b32_e32 v13, 0
	s_and_saveexec_b32 s25, s12
	s_cbranch_execz .LBB314_3735
; %bb.3728:                             ;   in Loop: Header=BB314_2086 Depth=1
	v_lshrrev_b32_e32 v2, 24, v14
	v_bfrev_b32_e32 v13, 1
	s_mov_b32 s26, exec_lo
	v_cmpx_ne_u32_e32 0x80, v2
	s_cbranch_execz .LBB314_3734
; %bb.3729:                             ;   in Loop: Header=BB314_2086 Depth=1
	v_and_b32_e32 v54, 0x7f, v2
	v_mov_b32_e32 v13, 0x7c010000
	s_mov_b32 s27, exec_lo
	v_cmpx_ne_u32_e32 0x7f, v54
	s_cbranch_execz .LBB314_3733
; %bb.3730:                             ;   in Loop: Header=BB314_2086 Depth=1
	v_and_b32_e32 v13, 7, v2
	v_lshrrev_b32_e32 v14, 3, v54
	s_mov_b32 s28, exec_lo
	v_cmpx_gt_u32_e32 8, v54
; %bb.3731:                             ;   in Loop: Header=BB314_2086 Depth=1
	v_ffbh_u32_e32 v13, v13
	v_min_u32_e32 v54, 32, v13
	v_subrev_nc_u32_e32 v13, 28, v54
	v_lshlrev_b64 v[13:14], v13, v[2:3]
	v_sub_nc_u32_e32 v14, 29, v54
	v_and_b32_e32 v13, 7, v13
; %bb.3732:                             ;   in Loop: Header=BB314_2086 Depth=1
	s_or_b32 exec_lo, exec_lo, s28
	v_lshlrev_b32_e32 v2, 8, v2
	v_lshl_add_u32 v14, v14, 10, 0x2000
	v_lshlrev_b32_e32 v13, 23, v13
	v_and_or_b32 v2, 0x8000, v2, v14
	v_lshl_or_b32 v13, v2, 16, v13
.LBB314_3733:                           ;   in Loop: Header=BB314_2086 Depth=1
	s_or_b32 exec_lo, exec_lo, s27
.LBB314_3734:                           ;   in Loop: Header=BB314_2086 Depth=1
	s_or_b32 exec_lo, exec_lo, s26
.LBB314_3735:                           ;   in Loop: Header=BB314_2086 Depth=1
	s_or_b32 exec_lo, exec_lo, s25
	v_or_b32_e32 v2, v106, v107
	s_waitcnt vmcnt(0) lgkmcnt(0)
	v_fma_mixlo_f16 v14, v80, v106, 0 op_sel:[0,1,0] op_sel_hi:[0,1,0]
	v_or_b32_e32 v113, v78, v88
	v_fma_mixlo_f16 v54, v80, v78, 0 op_sel:[0,1,0] op_sel_hi:[0,1,0]
	v_or_b32_e32 v114, v110, v109
	v_fma_mixlo_f16 v115, v80, v2, 0 op_sel_hi:[0,1,0]
	v_or_b32_e32 v78, v13, v108
	v_lshlrev_b32_e32 v2, 16, v14
	v_fma_mixlo_f16 v113, v80, v113, 0 op_sel_hi:[0,1,0]
	v_fma_mixlo_f16 v114, v80, v114, 0 op_sel_hi:[0,1,0]
	v_and_b32_e32 v14, 0xffff, v115
	v_fma_mixlo_f16 v115, v80, v110, 0 op_sel:[0,1,0] op_sel_hi:[0,1,0]
	v_fma_mixlo_f16 v13, v80, v13, 0 op_sel:[0,1,0] op_sel_hi:[0,1,0]
	v_fma_mixlo_f16 v80, v80, v78, 0 op_sel_hi:[0,1,0]
	v_lshlrev_b32_e32 v54, 16, v54
	v_and_b32_e32 v113, 0xffff, v113
	v_lshlrev_b32_e32 v107, 16, v115
	v_and_b32_e32 v109, 0xffff, v114
	;; [unrolled: 2-line block ×3, first 2 shown]
	v_or_b32_e32 v13, v2, v14
	v_or_b32_e32 v88, v54, v113
	;; [unrolled: 1-line block ×4, first 2 shown]
	s_and_saveexec_b32 s12, s4
	s_cbranch_execz .LBB314_3737
; %bb.3736:                             ;   in Loop: Header=BB314_2086 Depth=1
	v_cndmask_b32_e32 v13, 0, v113, vcc_lo
	v_cndmask_b32_e64 v54, 0, v54, s7
	v_cndmask_b32_e64 v14, 0, v14, s5
	;; [unrolled: 1-line block ×7, first 2 shown]
	v_or_b32_e32 v88, v13, v54
	v_or_b32_e32 v13, v14, v2
	;; [unrolled: 1-line block ×4, first 2 shown]
.LBB314_3737:                           ;   in Loop: Header=BB314_2086 Depth=1
	s_or_b32 exec_lo, exec_lo, s12
	;;#ASMSTART
	v_pk_mul_f16 v2, v41, v88;

	;;#ASMEND
	;;#ASMSTART
	v_pk_mul_f16 v13, v40, v13;

	;;#ASMEND
	;; [unrolled: 4-line block ×4, first 2 shown]
	;;#ASMSTART
	v_pk_add_f16 v2, v2, v13;

	;;#ASMEND
	;;#ASMSTART
	v_pk_add_f16 v2, v2, v14;

	;;#ASMEND
	;; [unrolled: 4-line block ×3, first 2 shown]
	v_and_b32_e32 v13, 0xffff, v2
	v_lshrrev_b32_e32 v2, 16, v2
	;;#ASMSTART
	v_cvt_f32_f16 v106, v13;
	;;#ASMEND
	;;#ASMSTART
	v_cvt_f32_f16 v107, v2;
	;;#ASMEND
	flat_load_dwordx2 v[13:14], v[11:12] offset:256
	flat_load_dword v80, v[26:27]
	v_mov_b32_e32 v78, 0
	v_mov_b32_e32 v88, 0
	s_waitcnt vmcnt(1) lgkmcnt(1)
	v_cmp_ne_u16_sdwa s12, v13, v3 src0_sel:BYTE_0 src1_sel:DWORD
	s_and_saveexec_b32 s25, s12
	s_cbranch_execz .LBB314_3745
; %bb.3738:                             ;   in Loop: Header=BB314_2086 Depth=1
	v_cmp_ne_u16_sdwa s12, v13, v55 src0_sel:BYTE_0 src1_sel:DWORD
	v_mov_b32_e32 v88, 0x8000
	s_and_saveexec_b32 s26, s12
	s_cbranch_execz .LBB314_3744
; %bb.3739:                             ;   in Loop: Header=BB314_2086 Depth=1
	v_and_b32_e32 v113, 0x7f, v13
	v_mov_b32_e32 v88, 0x7c01
	s_mov_b32 s27, exec_lo
	v_cmpx_ne_u32_e32 0x7f, v113
	s_cbranch_execz .LBB314_3743
; %bb.3740:                             ;   in Loop: Header=BB314_2086 Depth=1
	v_and_b32_e32 v2, 7, v13
	v_lshrrev_b32_e32 v54, 3, v113
	s_mov_b32 s28, exec_lo
	v_cmpx_gt_u32_e32 8, v113
; %bb.3741:                             ;   in Loop: Header=BB314_2086 Depth=1
	v_ffbh_u32_e32 v2, v2
	v_min_u32_e32 v2, 32, v2
	v_subrev_nc_u32_e32 v54, 28, v2
	v_lshlrev_b64 v[113:114], v54, v[13:14]
	v_sub_nc_u32_e32 v54, 29, v2
	v_and_b32_e32 v2, 7, v113
; %bb.3742:                             ;   in Loop: Header=BB314_2086 Depth=1
	s_or_b32 exec_lo, exec_lo, s28
	v_lshlrev_b32_e32 v113, 8, v13
	v_lshl_add_u32 v54, v54, 10, 0x2000
	v_lshlrev_b32_e32 v2, 7, v2
	v_and_b32_e32 v113, 0x8000, v113
	v_and_b32_e32 v54, 0xfc00, v54
	v_or3_b32 v88, v113, v54, v2
.LBB314_3743:                           ;   in Loop: Header=BB314_2086 Depth=1
	s_or_b32 exec_lo, exec_lo, s27
.LBB314_3744:                           ;   in Loop: Header=BB314_2086 Depth=1
	s_or_b32 exec_lo, exec_lo, s26
.LBB314_3745:                           ;   in Loop: Header=BB314_2086 Depth=1
	s_or_b32 exec_lo, exec_lo, s25
	v_lshrrev_b16 v2, 8, v13
	s_mov_b32 s25, exec_lo
	v_cmpx_ne_u16_e32 0, v2
	s_cbranch_execz .LBB314_3753
; %bb.3746:                             ;   in Loop: Header=BB314_2086 Depth=1
	v_bfrev_b32_e32 v78, 1
	s_mov_b32 s26, exec_lo
	v_cmpx_ne_u16_e32 0x80, v2
	s_cbranch_execz .LBB314_3752
; %bb.3747:                             ;   in Loop: Header=BB314_2086 Depth=1
	v_and_b32_sdwa v108, v2, v64 dst_sel:DWORD dst_unused:UNUSED_PAD src0_sel:WORD_0 src1_sel:DWORD
	v_mov_b32_e32 v78, 0x7c010000
	s_mov_b32 s27, exec_lo
	v_cmpx_ne_u32_e32 0x7f, v108
	s_cbranch_execz .LBB314_3751
; %bb.3748:                             ;   in Loop: Header=BB314_2086 Depth=1
	v_and_b32_sdwa v54, v2, v103 dst_sel:DWORD dst_unused:UNUSED_PAD src0_sel:WORD_0 src1_sel:DWORD
	v_lshrrev_b32_e32 v113, 3, v108
	s_mov_b32 s28, exec_lo
	v_cmpx_gt_u32_e32 8, v108
; %bb.3749:                             ;   in Loop: Header=BB314_2086 Depth=1
	v_ffbh_u32_e32 v54, v54
	v_min_u32_e32 v54, 32, v54
	v_subrev_nc_u32_e32 v113, 28, v54
	v_lshlrev_b64 v[108:109], v113, v[2:3]
	v_sub_nc_u32_e32 v113, 29, v54
	v_and_b32_e32 v54, 7, v108
; %bb.3750:                             ;   in Loop: Header=BB314_2086 Depth=1
	s_or_b32 exec_lo, exec_lo, s28
	v_lshlrev_b32_sdwa v2, v112, v2 dst_sel:DWORD dst_unused:UNUSED_PAD src0_sel:DWORD src1_sel:WORD_0
	v_lshl_add_u32 v113, v113, 10, 0x2000
	v_lshlrev_b32_e32 v54, 23, v54
	v_and_or_b32 v2, 0x8000, v2, v113
	v_lshl_or_b32 v78, v2, 16, v54
.LBB314_3751:                           ;   in Loop: Header=BB314_2086 Depth=1
	s_or_b32 exec_lo, exec_lo, s27
.LBB314_3752:                           ;   in Loop: Header=BB314_2086 Depth=1
	s_or_b32 exec_lo, exec_lo, s26
.LBB314_3753:                           ;   in Loop: Header=BB314_2086 Depth=1
	s_or_b32 exec_lo, exec_lo, s25
	v_lshrrev_b32_e32 v2, 16, v13
	v_mov_b32_e32 v108, 0
	v_mov_b32_e32 v109, 0
	v_cmp_ne_u16_sdwa s12, v2, v3 src0_sel:BYTE_0 src1_sel:DWORD
	s_and_saveexec_b32 s25, s12
	s_cbranch_execz .LBB314_3761
; %bb.3754:                             ;   in Loop: Header=BB314_2086 Depth=1
	v_cmp_ne_u16_sdwa s12, v2, v55 src0_sel:BYTE_0 src1_sel:DWORD
	v_mov_b32_e32 v109, 0x8000
	s_and_saveexec_b32 s26, s12
	s_cbranch_execz .LBB314_3760
; %bb.3755:                             ;   in Loop: Header=BB314_2086 Depth=1
	v_bfe_u32 v113, v13, 16, 7
	v_mov_b32_e32 v109, 0x7c01
	s_mov_b32 s27, exec_lo
	v_cmpx_ne_u32_e32 0x7f, v113
	s_cbranch_execz .LBB314_3759
; %bb.3756:                             ;   in Loop: Header=BB314_2086 Depth=1
	v_and_b32_e32 v54, 7, v2
	v_lshrrev_b32_e32 v109, 3, v113
	s_mov_b32 s28, exec_lo
	v_cmpx_gt_u32_e32 8, v113
; %bb.3757:                             ;   in Loop: Header=BB314_2086 Depth=1
	v_ffbh_u32_e32 v54, v54
	v_min_u32_e32 v54, 32, v54
	v_subrev_nc_u32_e32 v113, 28, v54
	v_sub_nc_u32_e32 v109, 29, v54
	v_lshlrev_b64 v[113:114], v113, v[2:3]
	v_and_b32_e32 v54, 7, v113
; %bb.3758:                             ;   in Loop: Header=BB314_2086 Depth=1
	s_or_b32 exec_lo, exec_lo, s28
	v_lshlrev_b32_e32 v2, 8, v2
	v_lshl_add_u32 v113, v109, 10, 0x2000
	v_lshlrev_b32_e32 v54, 7, v54
	v_and_b32_e32 v2, 0x8000, v2
	v_and_b32_e32 v113, 0xfc00, v113
	v_or3_b32 v109, v2, v113, v54
.LBB314_3759:                           ;   in Loop: Header=BB314_2086 Depth=1
	s_or_b32 exec_lo, exec_lo, s27
.LBB314_3760:                           ;   in Loop: Header=BB314_2086 Depth=1
	s_or_b32 exec_lo, exec_lo, s26
.LBB314_3761:                           ;   in Loop: Header=BB314_2086 Depth=1
	s_or_b32 exec_lo, exec_lo, s25
	s_mov_b32 s25, exec_lo
	v_cmpx_lt_u32_e32 0xffffff, v13
	s_cbranch_execz .LBB314_3769
; %bb.3762:                             ;   in Loop: Header=BB314_2086 Depth=1
	v_lshrrev_b32_e32 v2, 24, v13
	v_bfrev_b32_e32 v108, 1
	s_mov_b32 s26, exec_lo
	v_cmpx_ne_u32_e32 0x80, v2
	s_cbranch_execz .LBB314_3768
; %bb.3763:                             ;   in Loop: Header=BB314_2086 Depth=1
	v_and_b32_e32 v110, 0x7f, v2
	v_mov_b32_e32 v108, 0x7c010000
	s_mov_b32 s27, exec_lo
	v_cmpx_ne_u32_e32 0x7f, v110
	s_cbranch_execz .LBB314_3767
; %bb.3764:                             ;   in Loop: Header=BB314_2086 Depth=1
	v_and_b32_e32 v54, 7, v2
	v_lshrrev_b32_e32 v113, 3, v110
	s_mov_b32 s28, exec_lo
	v_cmpx_gt_u32_e32 8, v110
; %bb.3765:                             ;   in Loop: Header=BB314_2086 Depth=1
	v_ffbh_u32_e32 v54, v54
	v_min_u32_e32 v54, 32, v54
	v_subrev_nc_u32_e32 v113, 28, v54
	v_lshlrev_b64 v[110:111], v113, v[2:3]
	v_sub_nc_u32_e32 v113, 29, v54
	v_and_b32_e32 v54, 7, v110
; %bb.3766:                             ;   in Loop: Header=BB314_2086 Depth=1
	s_or_b32 exec_lo, exec_lo, s28
	v_lshlrev_b32_e32 v2, 8, v2
	v_lshl_add_u32 v113, v113, 10, 0x2000
	v_lshlrev_b32_e32 v54, 23, v54
	v_and_or_b32 v2, 0x8000, v2, v113
	v_lshl_or_b32 v108, v2, 16, v54
.LBB314_3767:                           ;   in Loop: Header=BB314_2086 Depth=1
	s_or_b32 exec_lo, exec_lo, s27
.LBB314_3768:                           ;   in Loop: Header=BB314_2086 Depth=1
	s_or_b32 exec_lo, exec_lo, s26
.LBB314_3769:                           ;   in Loop: Header=BB314_2086 Depth=1
	s_or_b32 exec_lo, exec_lo, s25
	v_mov_b32_e32 v2, v14
	v_cmp_ne_u16_sdwa s12, v14, v3 src0_sel:BYTE_0 src1_sel:DWORD
	v_mov_b32_e32 v110, 0
	v_mov_b32_e32 v111, 0
	s_and_saveexec_b32 s25, s12
	s_cbranch_execz .LBB314_3777
; %bb.3770:                             ;   in Loop: Header=BB314_2086 Depth=1
	v_cmp_ne_u16_sdwa s12, v14, v55 src0_sel:BYTE_0 src1_sel:DWORD
	v_mov_b32_e32 v111, 0x8000
	s_and_saveexec_b32 s26, s12
	s_cbranch_execz .LBB314_3776
; %bb.3771:                             ;   in Loop: Header=BB314_2086 Depth=1
	v_and_b32_e32 v113, 0x7f, v14
	v_mov_b32_e32 v111, 0x7c01
	s_mov_b32 s27, exec_lo
	v_cmpx_ne_u32_e32 0x7f, v113
	s_cbranch_execz .LBB314_3775
; %bb.3772:                             ;   in Loop: Header=BB314_2086 Depth=1
	v_and_b32_e32 v54, 7, v14
	v_lshrrev_b32_e32 v111, 3, v113
	s_mov_b32 s28, exec_lo
	v_cmpx_gt_u32_e32 8, v113
; %bb.3773:                             ;   in Loop: Header=BB314_2086 Depth=1
	v_ffbh_u32_e32 v54, v54
	v_min_u32_e32 v54, 32, v54
	v_subrev_nc_u32_e32 v113, 28, v54
	v_sub_nc_u32_e32 v111, 29, v54
	v_lshlrev_b64 v[113:114], v113, v[2:3]
	v_and_b32_e32 v54, 7, v113
; %bb.3774:                             ;   in Loop: Header=BB314_2086 Depth=1
	s_or_b32 exec_lo, exec_lo, s28
	v_lshlrev_b32_e32 v113, 8, v14
	v_lshl_add_u32 v114, v111, 10, 0x2000
	v_lshlrev_b32_e32 v54, 7, v54
	v_and_b32_e32 v113, 0x8000, v113
	v_and_b32_e32 v114, 0xfc00, v114
	v_or3_b32 v111, v113, v114, v54
.LBB314_3775:                           ;   in Loop: Header=BB314_2086 Depth=1
	s_or_b32 exec_lo, exec_lo, s27
.LBB314_3776:                           ;   in Loop: Header=BB314_2086 Depth=1
	s_or_b32 exec_lo, exec_lo, s26
.LBB314_3777:                           ;   in Loop: Header=BB314_2086 Depth=1
	s_or_b32 exec_lo, exec_lo, s25
	v_lshrrev_b16 v2, 8, v2
	v_mov_b32_e32 v120, 0
	s_mov_b32 s25, exec_lo
	v_cmpx_ne_u16_e32 0, v2
	s_cbranch_execz .LBB314_3785
; %bb.3778:                             ;   in Loop: Header=BB314_2086 Depth=1
	v_bfrev_b32_e32 v120, 1
	s_mov_b32 s26, exec_lo
	v_cmpx_ne_u16_e32 0x80, v2
	s_cbranch_execz .LBB314_3784
; %bb.3779:                             ;   in Loop: Header=BB314_2086 Depth=1
	v_and_b32_sdwa v121, v2, v64 dst_sel:DWORD dst_unused:UNUSED_PAD src0_sel:WORD_0 src1_sel:DWORD
	v_mov_b32_e32 v120, 0x7c010000
	s_mov_b32 s27, exec_lo
	v_cmpx_ne_u32_e32 0x7f, v121
	s_cbranch_execz .LBB314_3783
; %bb.3780:                             ;   in Loop: Header=BB314_2086 Depth=1
	v_and_b32_sdwa v54, v2, v103 dst_sel:DWORD dst_unused:UNUSED_PAD src0_sel:WORD_0 src1_sel:DWORD
	v_lshrrev_b32_e32 v113, 3, v121
	s_mov_b32 s28, exec_lo
	v_cmpx_gt_u32_e32 8, v121
; %bb.3781:                             ;   in Loop: Header=BB314_2086 Depth=1
	v_ffbh_u32_e32 v54, v54
	v_min_u32_e32 v54, 32, v54
	v_subrev_nc_u32_e32 v113, 28, v54
	v_lshlrev_b64 v[120:121], v113, v[2:3]
	v_sub_nc_u32_e32 v113, 29, v54
	v_and_b32_e32 v54, 7, v120
; %bb.3782:                             ;   in Loop: Header=BB314_2086 Depth=1
	s_or_b32 exec_lo, exec_lo, s28
	v_lshlrev_b32_sdwa v2, v112, v2 dst_sel:DWORD dst_unused:UNUSED_PAD src0_sel:DWORD src1_sel:WORD_0
	v_lshl_add_u32 v113, v113, 10, 0x2000
	v_lshlrev_b32_e32 v54, 23, v54
	v_and_or_b32 v2, 0x8000, v2, v113
	v_lshl_or_b32 v120, v2, 16, v54
.LBB314_3783:                           ;   in Loop: Header=BB314_2086 Depth=1
	s_or_b32 exec_lo, exec_lo, s27
.LBB314_3784:                           ;   in Loop: Header=BB314_2086 Depth=1
	s_or_b32 exec_lo, exec_lo, s26
.LBB314_3785:                           ;   in Loop: Header=BB314_2086 Depth=1
	s_or_b32 exec_lo, exec_lo, s25
	v_lshrrev_b32_e32 v2, 16, v14
	v_cmp_ne_u16_sdwa s12, v2, v3 src0_sel:BYTE_0 src1_sel:DWORD
	s_and_saveexec_b32 s25, s12
	s_cbranch_execz .LBB314_3793
; %bb.3786:                             ;   in Loop: Header=BB314_2086 Depth=1
	v_cmp_ne_u16_sdwa s12, v2, v55 src0_sel:BYTE_0 src1_sel:DWORD
	v_mov_b32_e32 v110, 0x8000
	s_and_saveexec_b32 s26, s12
	s_cbranch_execz .LBB314_3792
; %bb.3787:                             ;   in Loop: Header=BB314_2086 Depth=1
	v_bfe_u32 v113, v14, 16, 7
	v_mov_b32_e32 v110, 0x7c01
	s_mov_b32 s27, exec_lo
	v_cmpx_ne_u32_e32 0x7f, v113
	s_cbranch_execz .LBB314_3791
; %bb.3788:                             ;   in Loop: Header=BB314_2086 Depth=1
	v_and_b32_e32 v54, 7, v2
	v_lshrrev_b32_e32 v110, 3, v113
	s_mov_b32 s28, exec_lo
	v_cmpx_gt_u32_e32 8, v113
; %bb.3789:                             ;   in Loop: Header=BB314_2086 Depth=1
	v_ffbh_u32_e32 v54, v54
	v_min_u32_e32 v54, 32, v54
	v_subrev_nc_u32_e32 v113, 28, v54
	v_sub_nc_u32_e32 v110, 29, v54
	v_lshlrev_b64 v[113:114], v113, v[2:3]
	v_and_b32_e32 v54, 7, v113
; %bb.3790:                             ;   in Loop: Header=BB314_2086 Depth=1
	s_or_b32 exec_lo, exec_lo, s28
	v_lshlrev_b32_e32 v2, 8, v2
	v_lshl_add_u32 v113, v110, 10, 0x2000
	v_lshlrev_b32_e32 v54, 7, v54
	v_and_b32_e32 v2, 0x8000, v2
	v_and_b32_e32 v113, 0xfc00, v113
	v_or3_b32 v110, v2, v113, v54
.LBB314_3791:                           ;   in Loop: Header=BB314_2086 Depth=1
	s_or_b32 exec_lo, exec_lo, s27
.LBB314_3792:                           ;   in Loop: Header=BB314_2086 Depth=1
	s_or_b32 exec_lo, exec_lo, s26
.LBB314_3793:                           ;   in Loop: Header=BB314_2086 Depth=1
	s_or_b32 exec_lo, exec_lo, s25
	v_cmp_lt_u64_e64 s12, s[22:23], v[13:14]
	v_mov_b32_e32 v13, 0
	s_and_saveexec_b32 s25, s12
	s_cbranch_execz .LBB314_3801
; %bb.3794:                             ;   in Loop: Header=BB314_2086 Depth=1
	v_lshrrev_b32_e32 v2, 24, v14
	v_bfrev_b32_e32 v13, 1
	s_mov_b32 s26, exec_lo
	v_cmpx_ne_u32_e32 0x80, v2
	s_cbranch_execz .LBB314_3800
; %bb.3795:                             ;   in Loop: Header=BB314_2086 Depth=1
	v_and_b32_e32 v54, 0x7f, v2
	v_mov_b32_e32 v13, 0x7c010000
	s_mov_b32 s27, exec_lo
	v_cmpx_ne_u32_e32 0x7f, v54
	s_cbranch_execz .LBB314_3799
; %bb.3796:                             ;   in Loop: Header=BB314_2086 Depth=1
	v_and_b32_e32 v13, 7, v2
	v_lshrrev_b32_e32 v14, 3, v54
	s_mov_b32 s28, exec_lo
	v_cmpx_gt_u32_e32 8, v54
; %bb.3797:                             ;   in Loop: Header=BB314_2086 Depth=1
	v_ffbh_u32_e32 v13, v13
	v_min_u32_e32 v54, 32, v13
	v_subrev_nc_u32_e32 v13, 28, v54
	v_lshlrev_b64 v[13:14], v13, v[2:3]
	v_sub_nc_u32_e32 v14, 29, v54
	v_and_b32_e32 v13, 7, v13
; %bb.3798:                             ;   in Loop: Header=BB314_2086 Depth=1
	s_or_b32 exec_lo, exec_lo, s28
	v_lshlrev_b32_e32 v2, 8, v2
	v_lshl_add_u32 v14, v14, 10, 0x2000
	v_lshlrev_b32_e32 v13, 23, v13
	v_and_or_b32 v2, 0x8000, v2, v14
	v_lshl_or_b32 v13, v2, 16, v13
.LBB314_3799:                           ;   in Loop: Header=BB314_2086 Depth=1
	s_or_b32 exec_lo, exec_lo, s27
.LBB314_3800:                           ;   in Loop: Header=BB314_2086 Depth=1
	s_or_b32 exec_lo, exec_lo, s26
.LBB314_3801:                           ;   in Loop: Header=BB314_2086 Depth=1
	s_or_b32 exec_lo, exec_lo, s25
	v_or_b32_e32 v2, v108, v109
	s_waitcnt vmcnt(0) lgkmcnt(0)
	v_fma_mixlo_f16 v14, v80, v108, 0 op_sel:[0,1,0] op_sel_hi:[0,1,0]
	v_or_b32_e32 v113, v78, v88
	v_fma_mixlo_f16 v54, v80, v78, 0 op_sel:[0,1,0] op_sel_hi:[0,1,0]
	v_or_b32_e32 v114, v120, v111
	v_fma_mixlo_f16 v115, v80, v2, 0 op_sel_hi:[0,1,0]
	v_or_b32_e32 v78, v13, v110
	v_lshlrev_b32_e32 v2, 16, v14
	v_fma_mixlo_f16 v113, v80, v113, 0 op_sel_hi:[0,1,0]
	v_fma_mixlo_f16 v114, v80, v114, 0 op_sel_hi:[0,1,0]
	v_and_b32_e32 v14, 0xffff, v115
	v_fma_mixlo_f16 v115, v80, v120, 0 op_sel:[0,1,0] op_sel_hi:[0,1,0]
	v_fma_mixlo_f16 v13, v80, v13, 0 op_sel:[0,1,0] op_sel_hi:[0,1,0]
	v_fma_mixlo_f16 v80, v80, v78, 0 op_sel_hi:[0,1,0]
	v_lshlrev_b32_e32 v54, 16, v54
	v_and_b32_e32 v113, 0xffff, v113
	v_lshlrev_b32_e32 v109, 16, v115
	v_and_b32_e32 v111, 0xffff, v114
	v_lshlrev_b32_e32 v108, 16, v13
	v_and_b32_e32 v110, 0xffff, v80
	v_or_b32_e32 v13, v2, v14
	v_or_b32_e32 v88, v54, v113
	;; [unrolled: 1-line block ×4, first 2 shown]
	s_and_saveexec_b32 s12, s4
	s_cbranch_execz .LBB314_3803
; %bb.3802:                             ;   in Loop: Header=BB314_2086 Depth=1
	v_cndmask_b32_e32 v13, 0, v113, vcc_lo
	v_cndmask_b32_e64 v54, 0, v54, s7
	v_cndmask_b32_e64 v14, 0, v14, s5
	;; [unrolled: 1-line block ×7, first 2 shown]
	v_or_b32_e32 v88, v13, v54
	v_or_b32_e32 v13, v14, v2
	;; [unrolled: 1-line block ×4, first 2 shown]
.LBB314_3803:                           ;   in Loop: Header=BB314_2086 Depth=1
	s_or_b32 exec_lo, exec_lo, s12
	;;#ASMSTART
	v_pk_mul_f16 v2, v41, v88;

	;;#ASMEND
	;;#ASMSTART
	v_pk_mul_f16 v13, v40, v13;

	;;#ASMEND
	;; [unrolled: 4-line block ×4, first 2 shown]
	;;#ASMSTART
	v_pk_add_f16 v2, v2, v13;

	;;#ASMEND
	;;#ASMSTART
	v_pk_add_f16 v2, v2, v14;

	;;#ASMEND
	;; [unrolled: 4-line block ×3, first 2 shown]
	v_and_b32_e32 v13, 0xffff, v2
	v_lshrrev_b32_e32 v2, 16, v2
	;;#ASMSTART
	v_cvt_f32_f16 v78, v13;
	;;#ASMEND
	;;#ASMSTART
	v_cvt_f32_f16 v88, v2;
	;;#ASMEND
	flat_load_dwordx2 v[13:14], v[11:12] offset:512
	flat_load_dword v80, v[26:27]
	v_mov_b32_e32 v108, 0
	v_mov_b32_e32 v109, 0
	s_waitcnt vmcnt(1) lgkmcnt(1)
	v_cmp_ne_u16_sdwa s12, v13, v3 src0_sel:BYTE_0 src1_sel:DWORD
	s_and_saveexec_b32 s25, s12
	s_cbranch_execz .LBB314_3811
; %bb.3804:                             ;   in Loop: Header=BB314_2086 Depth=1
	v_cmp_ne_u16_sdwa s12, v13, v55 src0_sel:BYTE_0 src1_sel:DWORD
	v_mov_b32_e32 v109, 0x8000
	s_and_saveexec_b32 s26, s12
	s_cbranch_execz .LBB314_3810
; %bb.3805:                             ;   in Loop: Header=BB314_2086 Depth=1
	v_and_b32_e32 v113, 0x7f, v13
	v_mov_b32_e32 v109, 0x7c01
	s_mov_b32 s27, exec_lo
	v_cmpx_ne_u32_e32 0x7f, v113
	s_cbranch_execz .LBB314_3809
; %bb.3806:                             ;   in Loop: Header=BB314_2086 Depth=1
	v_and_b32_e32 v2, 7, v13
	v_lshrrev_b32_e32 v54, 3, v113
	s_mov_b32 s28, exec_lo
	v_cmpx_gt_u32_e32 8, v113
; %bb.3807:                             ;   in Loop: Header=BB314_2086 Depth=1
	v_ffbh_u32_e32 v2, v2
	v_min_u32_e32 v2, 32, v2
	v_subrev_nc_u32_e32 v54, 28, v2
	v_lshlrev_b64 v[113:114], v54, v[13:14]
	v_sub_nc_u32_e32 v54, 29, v2
	v_and_b32_e32 v2, 7, v113
; %bb.3808:                             ;   in Loop: Header=BB314_2086 Depth=1
	s_or_b32 exec_lo, exec_lo, s28
	v_lshlrev_b32_e32 v113, 8, v13
	v_lshl_add_u32 v54, v54, 10, 0x2000
	v_lshlrev_b32_e32 v2, 7, v2
	v_and_b32_e32 v113, 0x8000, v113
	v_and_b32_e32 v54, 0xfc00, v54
	v_or3_b32 v109, v113, v54, v2
.LBB314_3809:                           ;   in Loop: Header=BB314_2086 Depth=1
	s_or_b32 exec_lo, exec_lo, s27
.LBB314_3810:                           ;   in Loop: Header=BB314_2086 Depth=1
	s_or_b32 exec_lo, exec_lo, s26
.LBB314_3811:                           ;   in Loop: Header=BB314_2086 Depth=1
	s_or_b32 exec_lo, exec_lo, s25
	v_lshrrev_b16 v2, 8, v13
	s_mov_b32 s25, exec_lo
	v_cmpx_ne_u16_e32 0, v2
	s_cbranch_execz .LBB314_3819
; %bb.3812:                             ;   in Loop: Header=BB314_2086 Depth=1
	v_bfrev_b32_e32 v108, 1
	s_mov_b32 s26, exec_lo
	v_cmpx_ne_u16_e32 0x80, v2
	s_cbranch_execz .LBB314_3818
; %bb.3813:                             ;   in Loop: Header=BB314_2086 Depth=1
	v_and_b32_sdwa v110, v2, v64 dst_sel:DWORD dst_unused:UNUSED_PAD src0_sel:WORD_0 src1_sel:DWORD
	v_mov_b32_e32 v108, 0x7c010000
	s_mov_b32 s27, exec_lo
	v_cmpx_ne_u32_e32 0x7f, v110
	s_cbranch_execz .LBB314_3817
; %bb.3814:                             ;   in Loop: Header=BB314_2086 Depth=1
	v_and_b32_sdwa v54, v2, v103 dst_sel:DWORD dst_unused:UNUSED_PAD src0_sel:WORD_0 src1_sel:DWORD
	v_lshrrev_b32_e32 v113, 3, v110
	s_mov_b32 s28, exec_lo
	v_cmpx_gt_u32_e32 8, v110
; %bb.3815:                             ;   in Loop: Header=BB314_2086 Depth=1
	v_ffbh_u32_e32 v54, v54
	v_min_u32_e32 v54, 32, v54
	v_subrev_nc_u32_e32 v113, 28, v54
	v_lshlrev_b64 v[110:111], v113, v[2:3]
	v_sub_nc_u32_e32 v113, 29, v54
	v_and_b32_e32 v54, 7, v110
; %bb.3816:                             ;   in Loop: Header=BB314_2086 Depth=1
	s_or_b32 exec_lo, exec_lo, s28
	v_lshlrev_b32_sdwa v2, v112, v2 dst_sel:DWORD dst_unused:UNUSED_PAD src0_sel:DWORD src1_sel:WORD_0
	v_lshl_add_u32 v113, v113, 10, 0x2000
	v_lshlrev_b32_e32 v54, 23, v54
	v_and_or_b32 v2, 0x8000, v2, v113
	v_lshl_or_b32 v108, v2, 16, v54
.LBB314_3817:                           ;   in Loop: Header=BB314_2086 Depth=1
	s_or_b32 exec_lo, exec_lo, s27
.LBB314_3818:                           ;   in Loop: Header=BB314_2086 Depth=1
	s_or_b32 exec_lo, exec_lo, s26
.LBB314_3819:                           ;   in Loop: Header=BB314_2086 Depth=1
	s_or_b32 exec_lo, exec_lo, s25
	v_lshrrev_b32_e32 v2, 16, v13
	v_mov_b32_e32 v110, 0
	v_mov_b32_e32 v111, 0
	v_cmp_ne_u16_sdwa s12, v2, v3 src0_sel:BYTE_0 src1_sel:DWORD
	s_and_saveexec_b32 s25, s12
	s_cbranch_execz .LBB314_3827
; %bb.3820:                             ;   in Loop: Header=BB314_2086 Depth=1
	v_cmp_ne_u16_sdwa s12, v2, v55 src0_sel:BYTE_0 src1_sel:DWORD
	v_mov_b32_e32 v111, 0x8000
	s_and_saveexec_b32 s26, s12
	s_cbranch_execz .LBB314_3826
; %bb.3821:                             ;   in Loop: Header=BB314_2086 Depth=1
	v_bfe_u32 v113, v13, 16, 7
	v_mov_b32_e32 v111, 0x7c01
	s_mov_b32 s27, exec_lo
	v_cmpx_ne_u32_e32 0x7f, v113
	s_cbranch_execz .LBB314_3825
; %bb.3822:                             ;   in Loop: Header=BB314_2086 Depth=1
	v_and_b32_e32 v54, 7, v2
	v_lshrrev_b32_e32 v111, 3, v113
	s_mov_b32 s28, exec_lo
	v_cmpx_gt_u32_e32 8, v113
; %bb.3823:                             ;   in Loop: Header=BB314_2086 Depth=1
	v_ffbh_u32_e32 v54, v54
	v_min_u32_e32 v54, 32, v54
	v_subrev_nc_u32_e32 v113, 28, v54
	v_sub_nc_u32_e32 v111, 29, v54
	v_lshlrev_b64 v[113:114], v113, v[2:3]
	v_and_b32_e32 v54, 7, v113
; %bb.3824:                             ;   in Loop: Header=BB314_2086 Depth=1
	s_or_b32 exec_lo, exec_lo, s28
	v_lshlrev_b32_e32 v2, 8, v2
	v_lshl_add_u32 v113, v111, 10, 0x2000
	v_lshlrev_b32_e32 v54, 7, v54
	v_and_b32_e32 v2, 0x8000, v2
	v_and_b32_e32 v113, 0xfc00, v113
	v_or3_b32 v111, v2, v113, v54
.LBB314_3825:                           ;   in Loop: Header=BB314_2086 Depth=1
	s_or_b32 exec_lo, exec_lo, s27
.LBB314_3826:                           ;   in Loop: Header=BB314_2086 Depth=1
	s_or_b32 exec_lo, exec_lo, s26
.LBB314_3827:                           ;   in Loop: Header=BB314_2086 Depth=1
	s_or_b32 exec_lo, exec_lo, s25
	s_mov_b32 s25, exec_lo
	v_cmpx_lt_u32_e32 0xffffff, v13
	s_cbranch_execz .LBB314_3835
; %bb.3828:                             ;   in Loop: Header=BB314_2086 Depth=1
	v_lshrrev_b32_e32 v2, 24, v13
	v_bfrev_b32_e32 v110, 1
	s_mov_b32 s26, exec_lo
	v_cmpx_ne_u32_e32 0x80, v2
	s_cbranch_execz .LBB314_3834
; %bb.3829:                             ;   in Loop: Header=BB314_2086 Depth=1
	v_and_b32_e32 v120, 0x7f, v2
	v_mov_b32_e32 v110, 0x7c010000
	s_mov_b32 s27, exec_lo
	v_cmpx_ne_u32_e32 0x7f, v120
	s_cbranch_execz .LBB314_3833
; %bb.3830:                             ;   in Loop: Header=BB314_2086 Depth=1
	v_and_b32_e32 v54, 7, v2
	v_lshrrev_b32_e32 v113, 3, v120
	s_mov_b32 s28, exec_lo
	v_cmpx_gt_u32_e32 8, v120
; %bb.3831:                             ;   in Loop: Header=BB314_2086 Depth=1
	v_ffbh_u32_e32 v54, v54
	v_min_u32_e32 v54, 32, v54
	v_subrev_nc_u32_e32 v113, 28, v54
	v_lshlrev_b64 v[120:121], v113, v[2:3]
	v_sub_nc_u32_e32 v113, 29, v54
	v_and_b32_e32 v54, 7, v120
; %bb.3832:                             ;   in Loop: Header=BB314_2086 Depth=1
	s_or_b32 exec_lo, exec_lo, s28
	v_lshlrev_b32_e32 v2, 8, v2
	v_lshl_add_u32 v113, v113, 10, 0x2000
	v_lshlrev_b32_e32 v54, 23, v54
	v_and_or_b32 v2, 0x8000, v2, v113
	v_lshl_or_b32 v110, v2, 16, v54
.LBB314_3833:                           ;   in Loop: Header=BB314_2086 Depth=1
	s_or_b32 exec_lo, exec_lo, s27
.LBB314_3834:                           ;   in Loop: Header=BB314_2086 Depth=1
	s_or_b32 exec_lo, exec_lo, s26
.LBB314_3835:                           ;   in Loop: Header=BB314_2086 Depth=1
	s_or_b32 exec_lo, exec_lo, s25
	v_mov_b32_e32 v2, v14
	v_cmp_ne_u16_sdwa s12, v14, v3 src0_sel:BYTE_0 src1_sel:DWORD
	v_mov_b32_e32 v120, 0
	v_mov_b32_e32 v121, 0
	s_and_saveexec_b32 s25, s12
	s_cbranch_execz .LBB314_3843
; %bb.3836:                             ;   in Loop: Header=BB314_2086 Depth=1
	v_cmp_ne_u16_sdwa s12, v14, v55 src0_sel:BYTE_0 src1_sel:DWORD
	v_mov_b32_e32 v121, 0x8000
	s_and_saveexec_b32 s26, s12
	s_cbranch_execz .LBB314_3842
; %bb.3837:                             ;   in Loop: Header=BB314_2086 Depth=1
	v_and_b32_e32 v113, 0x7f, v14
	v_mov_b32_e32 v121, 0x7c01
	s_mov_b32 s27, exec_lo
	v_cmpx_ne_u32_e32 0x7f, v113
	s_cbranch_execz .LBB314_3841
; %bb.3838:                             ;   in Loop: Header=BB314_2086 Depth=1
	v_and_b32_e32 v54, 7, v14
	v_lshrrev_b32_e32 v121, 3, v113
	s_mov_b32 s28, exec_lo
	v_cmpx_gt_u32_e32 8, v113
; %bb.3839:                             ;   in Loop: Header=BB314_2086 Depth=1
	v_ffbh_u32_e32 v54, v54
	v_min_u32_e32 v54, 32, v54
	v_subrev_nc_u32_e32 v113, 28, v54
	v_sub_nc_u32_e32 v121, 29, v54
	v_lshlrev_b64 v[113:114], v113, v[2:3]
	v_and_b32_e32 v54, 7, v113
; %bb.3840:                             ;   in Loop: Header=BB314_2086 Depth=1
	s_or_b32 exec_lo, exec_lo, s28
	v_lshlrev_b32_e32 v113, 8, v14
	v_lshl_add_u32 v114, v121, 10, 0x2000
	v_lshlrev_b32_e32 v54, 7, v54
	v_and_b32_e32 v113, 0x8000, v113
	v_and_b32_e32 v114, 0xfc00, v114
	v_or3_b32 v121, v113, v114, v54
.LBB314_3841:                           ;   in Loop: Header=BB314_2086 Depth=1
	s_or_b32 exec_lo, exec_lo, s27
.LBB314_3842:                           ;   in Loop: Header=BB314_2086 Depth=1
	s_or_b32 exec_lo, exec_lo, s26
.LBB314_3843:                           ;   in Loop: Header=BB314_2086 Depth=1
	s_or_b32 exec_lo, exec_lo, s25
	v_lshrrev_b16 v2, 8, v2
	v_mov_b32_e32 v122, 0
	s_mov_b32 s25, exec_lo
	v_cmpx_ne_u16_e32 0, v2
	s_cbranch_execz .LBB314_3851
; %bb.3844:                             ;   in Loop: Header=BB314_2086 Depth=1
	v_bfrev_b32_e32 v122, 1
	s_mov_b32 s26, exec_lo
	v_cmpx_ne_u16_e32 0x80, v2
	s_cbranch_execz .LBB314_3850
; %bb.3845:                             ;   in Loop: Header=BB314_2086 Depth=1
	v_and_b32_sdwa v123, v2, v64 dst_sel:DWORD dst_unused:UNUSED_PAD src0_sel:WORD_0 src1_sel:DWORD
	v_mov_b32_e32 v122, 0x7c010000
	s_mov_b32 s27, exec_lo
	v_cmpx_ne_u32_e32 0x7f, v123
	s_cbranch_execz .LBB314_3849
; %bb.3846:                             ;   in Loop: Header=BB314_2086 Depth=1
	v_and_b32_sdwa v54, v2, v103 dst_sel:DWORD dst_unused:UNUSED_PAD src0_sel:WORD_0 src1_sel:DWORD
	v_lshrrev_b32_e32 v113, 3, v123
	s_mov_b32 s28, exec_lo
	v_cmpx_gt_u32_e32 8, v123
; %bb.3847:                             ;   in Loop: Header=BB314_2086 Depth=1
	v_ffbh_u32_e32 v54, v54
	v_min_u32_e32 v54, 32, v54
	v_subrev_nc_u32_e32 v113, 28, v54
	v_lshlrev_b64 v[122:123], v113, v[2:3]
	v_sub_nc_u32_e32 v113, 29, v54
	v_and_b32_e32 v54, 7, v122
; %bb.3848:                             ;   in Loop: Header=BB314_2086 Depth=1
	s_or_b32 exec_lo, exec_lo, s28
	v_lshlrev_b32_sdwa v2, v112, v2 dst_sel:DWORD dst_unused:UNUSED_PAD src0_sel:DWORD src1_sel:WORD_0
	v_lshl_add_u32 v113, v113, 10, 0x2000
	v_lshlrev_b32_e32 v54, 23, v54
	v_and_or_b32 v2, 0x8000, v2, v113
	v_lshl_or_b32 v122, v2, 16, v54
.LBB314_3849:                           ;   in Loop: Header=BB314_2086 Depth=1
	s_or_b32 exec_lo, exec_lo, s27
.LBB314_3850:                           ;   in Loop: Header=BB314_2086 Depth=1
	s_or_b32 exec_lo, exec_lo, s26
.LBB314_3851:                           ;   in Loop: Header=BB314_2086 Depth=1
	s_or_b32 exec_lo, exec_lo, s25
	v_lshrrev_b32_e32 v2, 16, v14
	v_cmp_ne_u16_sdwa s12, v2, v3 src0_sel:BYTE_0 src1_sel:DWORD
	s_and_saveexec_b32 s25, s12
	s_cbranch_execz .LBB314_3859
; %bb.3852:                             ;   in Loop: Header=BB314_2086 Depth=1
	v_cmp_ne_u16_sdwa s12, v2, v55 src0_sel:BYTE_0 src1_sel:DWORD
	v_mov_b32_e32 v120, 0x8000
	s_and_saveexec_b32 s26, s12
	s_cbranch_execz .LBB314_3858
; %bb.3853:                             ;   in Loop: Header=BB314_2086 Depth=1
	v_bfe_u32 v113, v14, 16, 7
	v_mov_b32_e32 v120, 0x7c01
	s_mov_b32 s27, exec_lo
	v_cmpx_ne_u32_e32 0x7f, v113
	s_cbranch_execz .LBB314_3857
; %bb.3854:                             ;   in Loop: Header=BB314_2086 Depth=1
	v_and_b32_e32 v54, 7, v2
	v_lshrrev_b32_e32 v120, 3, v113
	s_mov_b32 s28, exec_lo
	v_cmpx_gt_u32_e32 8, v113
; %bb.3855:                             ;   in Loop: Header=BB314_2086 Depth=1
	v_ffbh_u32_e32 v54, v54
	v_min_u32_e32 v54, 32, v54
	v_subrev_nc_u32_e32 v113, 28, v54
	v_sub_nc_u32_e32 v120, 29, v54
	v_lshlrev_b64 v[113:114], v113, v[2:3]
	v_and_b32_e32 v54, 7, v113
; %bb.3856:                             ;   in Loop: Header=BB314_2086 Depth=1
	s_or_b32 exec_lo, exec_lo, s28
	v_lshlrev_b32_e32 v2, 8, v2
	v_lshl_add_u32 v113, v120, 10, 0x2000
	v_lshlrev_b32_e32 v54, 7, v54
	v_and_b32_e32 v2, 0x8000, v2
	v_and_b32_e32 v113, 0xfc00, v113
	v_or3_b32 v120, v2, v113, v54
.LBB314_3857:                           ;   in Loop: Header=BB314_2086 Depth=1
	s_or_b32 exec_lo, exec_lo, s27
.LBB314_3858:                           ;   in Loop: Header=BB314_2086 Depth=1
	s_or_b32 exec_lo, exec_lo, s26
.LBB314_3859:                           ;   in Loop: Header=BB314_2086 Depth=1
	s_or_b32 exec_lo, exec_lo, s25
	v_cmp_lt_u64_e64 s12, s[22:23], v[13:14]
	v_mov_b32_e32 v13, 0
	s_and_saveexec_b32 s25, s12
	s_cbranch_execz .LBB314_3867
; %bb.3860:                             ;   in Loop: Header=BB314_2086 Depth=1
	v_lshrrev_b32_e32 v2, 24, v14
	v_bfrev_b32_e32 v13, 1
	s_mov_b32 s26, exec_lo
	v_cmpx_ne_u32_e32 0x80, v2
	s_cbranch_execz .LBB314_3866
; %bb.3861:                             ;   in Loop: Header=BB314_2086 Depth=1
	v_and_b32_e32 v54, 0x7f, v2
	v_mov_b32_e32 v13, 0x7c010000
	s_mov_b32 s27, exec_lo
	v_cmpx_ne_u32_e32 0x7f, v54
	s_cbranch_execz .LBB314_3865
; %bb.3862:                             ;   in Loop: Header=BB314_2086 Depth=1
	v_and_b32_e32 v13, 7, v2
	v_lshrrev_b32_e32 v14, 3, v54
	s_mov_b32 s28, exec_lo
	v_cmpx_gt_u32_e32 8, v54
; %bb.3863:                             ;   in Loop: Header=BB314_2086 Depth=1
	v_ffbh_u32_e32 v13, v13
	v_min_u32_e32 v54, 32, v13
	v_subrev_nc_u32_e32 v13, 28, v54
	v_lshlrev_b64 v[13:14], v13, v[2:3]
	v_sub_nc_u32_e32 v14, 29, v54
	v_and_b32_e32 v13, 7, v13
; %bb.3864:                             ;   in Loop: Header=BB314_2086 Depth=1
	s_or_b32 exec_lo, exec_lo, s28
	v_lshlrev_b32_e32 v2, 8, v2
	v_lshl_add_u32 v14, v14, 10, 0x2000
	v_lshlrev_b32_e32 v13, 23, v13
	v_and_or_b32 v2, 0x8000, v2, v14
	v_lshl_or_b32 v13, v2, 16, v13
.LBB314_3865:                           ;   in Loop: Header=BB314_2086 Depth=1
	s_or_b32 exec_lo, exec_lo, s27
.LBB314_3866:                           ;   in Loop: Header=BB314_2086 Depth=1
	s_or_b32 exec_lo, exec_lo, s26
.LBB314_3867:                           ;   in Loop: Header=BB314_2086 Depth=1
	s_or_b32 exec_lo, exec_lo, s25
	v_or_b32_e32 v2, v110, v111
	s_waitcnt vmcnt(0) lgkmcnt(0)
	v_fma_mixlo_f16 v14, v80, v110, 0 op_sel:[0,1,0] op_sel_hi:[0,1,0]
	v_or_b32_e32 v113, v108, v109
	v_fma_mixlo_f16 v54, v80, v108, 0 op_sel:[0,1,0] op_sel_hi:[0,1,0]
	v_or_b32_e32 v114, v122, v121
	v_fma_mixlo_f16 v115, v80, v2, 0 op_sel_hi:[0,1,0]
	v_or_b32_e32 v108, v13, v120
	v_lshlrev_b32_e32 v2, 16, v14
	v_fma_mixlo_f16 v113, v80, v113, 0 op_sel_hi:[0,1,0]
	v_fma_mixlo_f16 v114, v80, v114, 0 op_sel_hi:[0,1,0]
	v_and_b32_e32 v14, 0xffff, v115
	v_fma_mixlo_f16 v115, v80, v122, 0 op_sel:[0,1,0] op_sel_hi:[0,1,0]
	v_fma_mixlo_f16 v13, v80, v13, 0 op_sel:[0,1,0] op_sel_hi:[0,1,0]
	v_fma_mixlo_f16 v80, v80, v108, 0 op_sel_hi:[0,1,0]
	v_lshlrev_b32_e32 v54, 16, v54
	v_and_b32_e32 v113, 0xffff, v113
	v_lshlrev_b32_e32 v111, 16, v115
	v_and_b32_e32 v121, 0xffff, v114
	;; [unrolled: 2-line block ×3, first 2 shown]
	v_or_b32_e32 v13, v2, v14
	v_or_b32_e32 v109, v54, v113
	;; [unrolled: 1-line block ×4, first 2 shown]
	s_and_saveexec_b32 s12, s4
	s_cbranch_execz .LBB314_3869
; %bb.3868:                             ;   in Loop: Header=BB314_2086 Depth=1
	v_cndmask_b32_e32 v13, 0, v113, vcc_lo
	v_cndmask_b32_e64 v54, 0, v54, s7
	v_cndmask_b32_e64 v14, 0, v14, s5
	;; [unrolled: 1-line block ×7, first 2 shown]
	v_or_b32_e32 v109, v13, v54
	v_or_b32_e32 v13, v14, v2
	v_or_b32_e32 v108, v80, v113
	v_or_b32_e32 v80, v114, v115
.LBB314_3869:                           ;   in Loop: Header=BB314_2086 Depth=1
	s_or_b32 exec_lo, exec_lo, s12
	;;#ASMSTART
	v_pk_mul_f16 v2, v41, v109;

	;;#ASMEND
	;;#ASMSTART
	v_pk_mul_f16 v13, v40, v13;

	;;#ASMEND
	;; [unrolled: 4-line block ×4, first 2 shown]
	;;#ASMSTART
	v_pk_add_f16 v2, v2, v13;

	;;#ASMEND
	;;#ASMSTART
	v_pk_add_f16 v2, v2, v14;

	;;#ASMEND
	;; [unrolled: 4-line block ×3, first 2 shown]
	v_and_b32_e32 v13, 0xffff, v2
	v_lshrrev_b32_e32 v2, 16, v2
	;;#ASMSTART
	v_cvt_f32_f16 v80, v13;
	;;#ASMEND
	;;#ASMSTART
	v_cvt_f32_f16 v108, v2;
	;;#ASMEND
	flat_load_dwordx2 v[13:14], v[11:12] offset:768
	flat_load_dword v109, v[26:27]
	v_mov_b32_e32 v110, 0
	v_mov_b32_e32 v111, 0
	s_waitcnt vmcnt(1) lgkmcnt(1)
	v_cmp_ne_u16_sdwa s12, v13, v3 src0_sel:BYTE_0 src1_sel:DWORD
	s_and_saveexec_b32 s25, s12
	s_cbranch_execz .LBB314_3877
; %bb.3870:                             ;   in Loop: Header=BB314_2086 Depth=1
	v_cmp_ne_u16_sdwa s12, v13, v55 src0_sel:BYTE_0 src1_sel:DWORD
	v_mov_b32_e32 v111, 0x8000
	s_and_saveexec_b32 s26, s12
	s_cbranch_execz .LBB314_3876
; %bb.3871:                             ;   in Loop: Header=BB314_2086 Depth=1
	v_and_b32_e32 v113, 0x7f, v13
	v_mov_b32_e32 v111, 0x7c01
	s_mov_b32 s27, exec_lo
	v_cmpx_ne_u32_e32 0x7f, v113
	s_cbranch_execz .LBB314_3875
; %bb.3872:                             ;   in Loop: Header=BB314_2086 Depth=1
	v_and_b32_e32 v2, 7, v13
	v_lshrrev_b32_e32 v54, 3, v113
	s_mov_b32 s28, exec_lo
	v_cmpx_gt_u32_e32 8, v113
; %bb.3873:                             ;   in Loop: Header=BB314_2086 Depth=1
	v_ffbh_u32_e32 v2, v2
	v_min_u32_e32 v2, 32, v2
	v_subrev_nc_u32_e32 v54, 28, v2
	v_lshlrev_b64 v[113:114], v54, v[13:14]
	v_sub_nc_u32_e32 v54, 29, v2
	v_and_b32_e32 v2, 7, v113
; %bb.3874:                             ;   in Loop: Header=BB314_2086 Depth=1
	s_or_b32 exec_lo, exec_lo, s28
	v_lshlrev_b32_e32 v113, 8, v13
	v_lshl_add_u32 v54, v54, 10, 0x2000
	v_lshlrev_b32_e32 v2, 7, v2
	v_and_b32_e32 v113, 0x8000, v113
	v_and_b32_e32 v54, 0xfc00, v54
	v_or3_b32 v111, v113, v54, v2
.LBB314_3875:                           ;   in Loop: Header=BB314_2086 Depth=1
	s_or_b32 exec_lo, exec_lo, s27
.LBB314_3876:                           ;   in Loop: Header=BB314_2086 Depth=1
	s_or_b32 exec_lo, exec_lo, s26
.LBB314_3877:                           ;   in Loop: Header=BB314_2086 Depth=1
	s_or_b32 exec_lo, exec_lo, s25
	v_lshrrev_b16 v2, 8, v13
	s_mov_b32 s25, exec_lo
	v_cmpx_ne_u16_e32 0, v2
	s_cbranch_execz .LBB314_3885
; %bb.3878:                             ;   in Loop: Header=BB314_2086 Depth=1
	v_bfrev_b32_e32 v110, 1
	s_mov_b32 s26, exec_lo
	v_cmpx_ne_u16_e32 0x80, v2
	s_cbranch_execz .LBB314_3884
; %bb.3879:                             ;   in Loop: Header=BB314_2086 Depth=1
	v_and_b32_sdwa v120, v2, v64 dst_sel:DWORD dst_unused:UNUSED_PAD src0_sel:WORD_0 src1_sel:DWORD
	v_mov_b32_e32 v110, 0x7c010000
	s_mov_b32 s27, exec_lo
	v_cmpx_ne_u32_e32 0x7f, v120
	s_cbranch_execz .LBB314_3883
; %bb.3880:                             ;   in Loop: Header=BB314_2086 Depth=1
	v_and_b32_sdwa v54, v2, v103 dst_sel:DWORD dst_unused:UNUSED_PAD src0_sel:WORD_0 src1_sel:DWORD
	v_lshrrev_b32_e32 v113, 3, v120
	s_mov_b32 s28, exec_lo
	v_cmpx_gt_u32_e32 8, v120
; %bb.3881:                             ;   in Loop: Header=BB314_2086 Depth=1
	v_ffbh_u32_e32 v54, v54
	v_min_u32_e32 v54, 32, v54
	v_subrev_nc_u32_e32 v113, 28, v54
	v_lshlrev_b64 v[120:121], v113, v[2:3]
	v_sub_nc_u32_e32 v113, 29, v54
	v_and_b32_e32 v54, 7, v120
; %bb.3882:                             ;   in Loop: Header=BB314_2086 Depth=1
	s_or_b32 exec_lo, exec_lo, s28
	v_lshlrev_b32_sdwa v2, v112, v2 dst_sel:DWORD dst_unused:UNUSED_PAD src0_sel:DWORD src1_sel:WORD_0
	v_lshl_add_u32 v113, v113, 10, 0x2000
	v_lshlrev_b32_e32 v54, 23, v54
	v_and_or_b32 v2, 0x8000, v2, v113
	v_lshl_or_b32 v110, v2, 16, v54
.LBB314_3883:                           ;   in Loop: Header=BB314_2086 Depth=1
	s_or_b32 exec_lo, exec_lo, s27
.LBB314_3884:                           ;   in Loop: Header=BB314_2086 Depth=1
	s_or_b32 exec_lo, exec_lo, s26
.LBB314_3885:                           ;   in Loop: Header=BB314_2086 Depth=1
	s_or_b32 exec_lo, exec_lo, s25
	v_lshrrev_b32_e32 v2, 16, v13
	v_mov_b32_e32 v120, 0
	v_mov_b32_e32 v121, 0
	v_cmp_ne_u16_sdwa s12, v2, v3 src0_sel:BYTE_0 src1_sel:DWORD
	s_and_saveexec_b32 s25, s12
	s_cbranch_execz .LBB314_3893
; %bb.3886:                             ;   in Loop: Header=BB314_2086 Depth=1
	v_cmp_ne_u16_sdwa s12, v2, v55 src0_sel:BYTE_0 src1_sel:DWORD
	v_mov_b32_e32 v121, 0x8000
	s_and_saveexec_b32 s26, s12
	s_cbranch_execz .LBB314_3892
; %bb.3887:                             ;   in Loop: Header=BB314_2086 Depth=1
	v_bfe_u32 v113, v13, 16, 7
	v_mov_b32_e32 v121, 0x7c01
	s_mov_b32 s27, exec_lo
	v_cmpx_ne_u32_e32 0x7f, v113
	s_cbranch_execz .LBB314_3891
; %bb.3888:                             ;   in Loop: Header=BB314_2086 Depth=1
	v_and_b32_e32 v54, 7, v2
	v_lshrrev_b32_e32 v121, 3, v113
	s_mov_b32 s28, exec_lo
	v_cmpx_gt_u32_e32 8, v113
; %bb.3889:                             ;   in Loop: Header=BB314_2086 Depth=1
	v_ffbh_u32_e32 v54, v54
	v_min_u32_e32 v54, 32, v54
	v_subrev_nc_u32_e32 v113, 28, v54
	v_sub_nc_u32_e32 v121, 29, v54
	v_lshlrev_b64 v[113:114], v113, v[2:3]
	v_and_b32_e32 v54, 7, v113
; %bb.3890:                             ;   in Loop: Header=BB314_2086 Depth=1
	s_or_b32 exec_lo, exec_lo, s28
	v_lshlrev_b32_e32 v2, 8, v2
	v_lshl_add_u32 v113, v121, 10, 0x2000
	v_lshlrev_b32_e32 v54, 7, v54
	v_and_b32_e32 v2, 0x8000, v2
	v_and_b32_e32 v113, 0xfc00, v113
	v_or3_b32 v121, v2, v113, v54
.LBB314_3891:                           ;   in Loop: Header=BB314_2086 Depth=1
	s_or_b32 exec_lo, exec_lo, s27
.LBB314_3892:                           ;   in Loop: Header=BB314_2086 Depth=1
	s_or_b32 exec_lo, exec_lo, s26
.LBB314_3893:                           ;   in Loop: Header=BB314_2086 Depth=1
	s_or_b32 exec_lo, exec_lo, s25
	s_mov_b32 s25, exec_lo
	v_cmpx_lt_u32_e32 0xffffff, v13
	s_cbranch_execz .LBB314_3901
; %bb.3894:                             ;   in Loop: Header=BB314_2086 Depth=1
	v_lshrrev_b32_e32 v2, 24, v13
	v_bfrev_b32_e32 v120, 1
	s_mov_b32 s26, exec_lo
	v_cmpx_ne_u32_e32 0x80, v2
	s_cbranch_execz .LBB314_3900
; %bb.3895:                             ;   in Loop: Header=BB314_2086 Depth=1
	v_and_b32_e32 v122, 0x7f, v2
	v_mov_b32_e32 v120, 0x7c010000
	s_mov_b32 s27, exec_lo
	v_cmpx_ne_u32_e32 0x7f, v122
	s_cbranch_execz .LBB314_3899
; %bb.3896:                             ;   in Loop: Header=BB314_2086 Depth=1
	v_and_b32_e32 v54, 7, v2
	v_lshrrev_b32_e32 v113, 3, v122
	s_mov_b32 s28, exec_lo
	v_cmpx_gt_u32_e32 8, v122
; %bb.3897:                             ;   in Loop: Header=BB314_2086 Depth=1
	v_ffbh_u32_e32 v54, v54
	v_min_u32_e32 v54, 32, v54
	v_subrev_nc_u32_e32 v113, 28, v54
	v_lshlrev_b64 v[122:123], v113, v[2:3]
	v_sub_nc_u32_e32 v113, 29, v54
	v_and_b32_e32 v54, 7, v122
; %bb.3898:                             ;   in Loop: Header=BB314_2086 Depth=1
	s_or_b32 exec_lo, exec_lo, s28
	v_lshlrev_b32_e32 v2, 8, v2
	v_lshl_add_u32 v113, v113, 10, 0x2000
	v_lshlrev_b32_e32 v54, 23, v54
	v_and_or_b32 v2, 0x8000, v2, v113
	v_lshl_or_b32 v120, v2, 16, v54
.LBB314_3899:                           ;   in Loop: Header=BB314_2086 Depth=1
	s_or_b32 exec_lo, exec_lo, s27
.LBB314_3900:                           ;   in Loop: Header=BB314_2086 Depth=1
	s_or_b32 exec_lo, exec_lo, s26
.LBB314_3901:                           ;   in Loop: Header=BB314_2086 Depth=1
	s_or_b32 exec_lo, exec_lo, s25
	v_mov_b32_e32 v2, v14
	v_cmp_ne_u16_sdwa s12, v14, v3 src0_sel:BYTE_0 src1_sel:DWORD
	v_mov_b32_e32 v122, 0
	v_mov_b32_e32 v123, 0
	s_and_saveexec_b32 s25, s12
	s_cbranch_execz .LBB314_3909
; %bb.3902:                             ;   in Loop: Header=BB314_2086 Depth=1
	v_cmp_ne_u16_sdwa s12, v14, v55 src0_sel:BYTE_0 src1_sel:DWORD
	v_mov_b32_e32 v123, 0x8000
	s_and_saveexec_b32 s26, s12
	s_cbranch_execz .LBB314_3908
; %bb.3903:                             ;   in Loop: Header=BB314_2086 Depth=1
	v_and_b32_e32 v113, 0x7f, v14
	v_mov_b32_e32 v123, 0x7c01
	s_mov_b32 s27, exec_lo
	v_cmpx_ne_u32_e32 0x7f, v113
	s_cbranch_execz .LBB314_3907
; %bb.3904:                             ;   in Loop: Header=BB314_2086 Depth=1
	v_and_b32_e32 v54, 7, v14
	v_lshrrev_b32_e32 v123, 3, v113
	s_mov_b32 s28, exec_lo
	v_cmpx_gt_u32_e32 8, v113
; %bb.3905:                             ;   in Loop: Header=BB314_2086 Depth=1
	v_ffbh_u32_e32 v54, v54
	v_min_u32_e32 v54, 32, v54
	v_subrev_nc_u32_e32 v113, 28, v54
	v_sub_nc_u32_e32 v123, 29, v54
	v_lshlrev_b64 v[113:114], v113, v[2:3]
	v_and_b32_e32 v54, 7, v113
; %bb.3906:                             ;   in Loop: Header=BB314_2086 Depth=1
	s_or_b32 exec_lo, exec_lo, s28
	v_lshlrev_b32_e32 v113, 8, v14
	v_lshl_add_u32 v114, v123, 10, 0x2000
	v_lshlrev_b32_e32 v54, 7, v54
	v_and_b32_e32 v113, 0x8000, v113
	v_and_b32_e32 v114, 0xfc00, v114
	v_or3_b32 v123, v113, v114, v54
.LBB314_3907:                           ;   in Loop: Header=BB314_2086 Depth=1
	s_or_b32 exec_lo, exec_lo, s27
.LBB314_3908:                           ;   in Loop: Header=BB314_2086 Depth=1
	s_or_b32 exec_lo, exec_lo, s26
.LBB314_3909:                           ;   in Loop: Header=BB314_2086 Depth=1
	s_or_b32 exec_lo, exec_lo, s25
	v_lshrrev_b16 v2, 8, v2
	v_mov_b32_e32 v124, 0
	s_mov_b32 s25, exec_lo
	v_cmpx_ne_u16_e32 0, v2
	s_cbranch_execz .LBB314_3917
; %bb.3910:                             ;   in Loop: Header=BB314_2086 Depth=1
	v_bfrev_b32_e32 v124, 1
	s_mov_b32 s26, exec_lo
	v_cmpx_ne_u16_e32 0x80, v2
	s_cbranch_execz .LBB314_3916
; %bb.3911:                             ;   in Loop: Header=BB314_2086 Depth=1
	v_and_b32_sdwa v125, v2, v64 dst_sel:DWORD dst_unused:UNUSED_PAD src0_sel:WORD_0 src1_sel:DWORD
	v_mov_b32_e32 v124, 0x7c010000
	s_mov_b32 s27, exec_lo
	v_cmpx_ne_u32_e32 0x7f, v125
	s_cbranch_execz .LBB314_3915
; %bb.3912:                             ;   in Loop: Header=BB314_2086 Depth=1
	v_and_b32_sdwa v54, v2, v103 dst_sel:DWORD dst_unused:UNUSED_PAD src0_sel:WORD_0 src1_sel:DWORD
	v_lshrrev_b32_e32 v113, 3, v125
	s_mov_b32 s28, exec_lo
	v_cmpx_gt_u32_e32 8, v125
; %bb.3913:                             ;   in Loop: Header=BB314_2086 Depth=1
	v_ffbh_u32_e32 v54, v54
	v_min_u32_e32 v54, 32, v54
	v_subrev_nc_u32_e32 v113, 28, v54
	v_lshlrev_b64 v[124:125], v113, v[2:3]
	v_sub_nc_u32_e32 v113, 29, v54
	v_and_b32_e32 v54, 7, v124
; %bb.3914:                             ;   in Loop: Header=BB314_2086 Depth=1
	s_or_b32 exec_lo, exec_lo, s28
	v_lshlrev_b32_sdwa v2, v112, v2 dst_sel:DWORD dst_unused:UNUSED_PAD src0_sel:DWORD src1_sel:WORD_0
	v_lshl_add_u32 v113, v113, 10, 0x2000
	v_lshlrev_b32_e32 v54, 23, v54
	v_and_or_b32 v2, 0x8000, v2, v113
	v_lshl_or_b32 v124, v2, 16, v54
.LBB314_3915:                           ;   in Loop: Header=BB314_2086 Depth=1
	s_or_b32 exec_lo, exec_lo, s27
.LBB314_3916:                           ;   in Loop: Header=BB314_2086 Depth=1
	s_or_b32 exec_lo, exec_lo, s26
.LBB314_3917:                           ;   in Loop: Header=BB314_2086 Depth=1
	s_or_b32 exec_lo, exec_lo, s25
	v_lshrrev_b32_e32 v2, 16, v14
	v_cmp_ne_u16_sdwa s12, v2, v3 src0_sel:BYTE_0 src1_sel:DWORD
	s_and_saveexec_b32 s25, s12
	s_cbranch_execz .LBB314_3925
; %bb.3918:                             ;   in Loop: Header=BB314_2086 Depth=1
	v_cmp_ne_u16_sdwa s12, v2, v55 src0_sel:BYTE_0 src1_sel:DWORD
	v_mov_b32_e32 v122, 0x8000
	s_and_saveexec_b32 s26, s12
	s_cbranch_execz .LBB314_3924
; %bb.3919:                             ;   in Loop: Header=BB314_2086 Depth=1
	v_bfe_u32 v113, v14, 16, 7
	v_mov_b32_e32 v122, 0x7c01
	s_mov_b32 s27, exec_lo
	v_cmpx_ne_u32_e32 0x7f, v113
	s_cbranch_execz .LBB314_3923
; %bb.3920:                             ;   in Loop: Header=BB314_2086 Depth=1
	v_and_b32_e32 v54, 7, v2
	v_lshrrev_b32_e32 v122, 3, v113
	s_mov_b32 s28, exec_lo
	v_cmpx_gt_u32_e32 8, v113
; %bb.3921:                             ;   in Loop: Header=BB314_2086 Depth=1
	v_ffbh_u32_e32 v54, v54
	v_min_u32_e32 v54, 32, v54
	v_subrev_nc_u32_e32 v113, 28, v54
	v_sub_nc_u32_e32 v122, 29, v54
	v_lshlrev_b64 v[113:114], v113, v[2:3]
	v_and_b32_e32 v54, 7, v113
; %bb.3922:                             ;   in Loop: Header=BB314_2086 Depth=1
	s_or_b32 exec_lo, exec_lo, s28
	v_lshlrev_b32_e32 v2, 8, v2
	v_lshl_add_u32 v113, v122, 10, 0x2000
	v_lshlrev_b32_e32 v54, 7, v54
	v_and_b32_e32 v2, 0x8000, v2
	v_and_b32_e32 v113, 0xfc00, v113
	v_or3_b32 v122, v2, v113, v54
.LBB314_3923:                           ;   in Loop: Header=BB314_2086 Depth=1
	s_or_b32 exec_lo, exec_lo, s27
.LBB314_3924:                           ;   in Loop: Header=BB314_2086 Depth=1
	s_or_b32 exec_lo, exec_lo, s26
.LBB314_3925:                           ;   in Loop: Header=BB314_2086 Depth=1
	s_or_b32 exec_lo, exec_lo, s25
	v_cmp_lt_u64_e64 s12, s[22:23], v[13:14]
	v_mov_b32_e32 v13, 0
	s_and_saveexec_b32 s25, s12
	s_cbranch_execz .LBB314_3933
; %bb.3926:                             ;   in Loop: Header=BB314_2086 Depth=1
	v_lshrrev_b32_e32 v2, 24, v14
	v_bfrev_b32_e32 v13, 1
	s_mov_b32 s26, exec_lo
	v_cmpx_ne_u32_e32 0x80, v2
	s_cbranch_execz .LBB314_3932
; %bb.3927:                             ;   in Loop: Header=BB314_2086 Depth=1
	v_and_b32_e32 v54, 0x7f, v2
	v_mov_b32_e32 v13, 0x7c010000
	s_mov_b32 s27, exec_lo
	v_cmpx_ne_u32_e32 0x7f, v54
	s_cbranch_execz .LBB314_3931
; %bb.3928:                             ;   in Loop: Header=BB314_2086 Depth=1
	v_and_b32_e32 v13, 7, v2
	v_lshrrev_b32_e32 v14, 3, v54
	s_mov_b32 s28, exec_lo
	v_cmpx_gt_u32_e32 8, v54
; %bb.3929:                             ;   in Loop: Header=BB314_2086 Depth=1
	v_ffbh_u32_e32 v13, v13
	v_min_u32_e32 v54, 32, v13
	v_subrev_nc_u32_e32 v13, 28, v54
	v_lshlrev_b64 v[13:14], v13, v[2:3]
	v_sub_nc_u32_e32 v14, 29, v54
	v_and_b32_e32 v13, 7, v13
; %bb.3930:                             ;   in Loop: Header=BB314_2086 Depth=1
	s_or_b32 exec_lo, exec_lo, s28
	v_lshlrev_b32_e32 v2, 8, v2
	v_lshl_add_u32 v14, v14, 10, 0x2000
	v_lshlrev_b32_e32 v13, 23, v13
	v_and_or_b32 v2, 0x8000, v2, v14
	v_lshl_or_b32 v13, v2, 16, v13
.LBB314_3931:                           ;   in Loop: Header=BB314_2086 Depth=1
	s_or_b32 exec_lo, exec_lo, s27
.LBB314_3932:                           ;   in Loop: Header=BB314_2086 Depth=1
	s_or_b32 exec_lo, exec_lo, s26
.LBB314_3933:                           ;   in Loop: Header=BB314_2086 Depth=1
	s_or_b32 exec_lo, exec_lo, s25
	v_or_b32_e32 v2, v120, v121
	s_waitcnt vmcnt(0) lgkmcnt(0)
	v_fma_mixlo_f16 v14, v109, v120, 0 op_sel:[0,1,0] op_sel_hi:[0,1,0]
	v_or_b32_e32 v113, v110, v111
	v_fma_mixlo_f16 v54, v109, v110, 0 op_sel:[0,1,0] op_sel_hi:[0,1,0]
	v_or_b32_e32 v114, v124, v123
	v_fma_mixlo_f16 v115, v109, v2, 0 op_sel_hi:[0,1,0]
	v_or_b32_e32 v110, v13, v122
	v_lshlrev_b32_e32 v2, 16, v14
	v_fma_mixlo_f16 v113, v109, v113, 0 op_sel_hi:[0,1,0]
	v_fma_mixlo_f16 v114, v109, v114, 0 op_sel_hi:[0,1,0]
	v_and_b32_e32 v14, 0xffff, v115
	v_fma_mixlo_f16 v115, v109, v124, 0 op_sel:[0,1,0] op_sel_hi:[0,1,0]
	v_fma_mixlo_f16 v13, v109, v13, 0 op_sel:[0,1,0] op_sel_hi:[0,1,0]
	v_fma_mixlo_f16 v109, v109, v110, 0 op_sel_hi:[0,1,0]
	v_lshlrev_b32_e32 v54, 16, v54
	v_and_b32_e32 v113, 0xffff, v113
	v_lshlrev_b32_e32 v121, 16, v115
	v_and_b32_e32 v123, 0xffff, v114
	v_lshlrev_b32_e32 v120, 16, v13
	v_and_b32_e32 v122, 0xffff, v109
	v_or_b32_e32 v13, v2, v14
	v_or_b32_e32 v111, v54, v113
	;; [unrolled: 1-line block ×4, first 2 shown]
	s_and_saveexec_b32 s12, s4
	s_cbranch_execz .LBB314_3935
; %bb.3934:                             ;   in Loop: Header=BB314_2086 Depth=1
	v_cndmask_b32_e32 v13, 0, v113, vcc_lo
	v_cndmask_b32_e64 v54, 0, v54, s7
	v_cndmask_b32_e64 v14, 0, v14, s5
	;; [unrolled: 1-line block ×7, first 2 shown]
	v_or_b32_e32 v111, v13, v54
	v_or_b32_e32 v13, v14, v2
	;; [unrolled: 1-line block ×4, first 2 shown]
.LBB314_3935:                           ;   in Loop: Header=BB314_2086 Depth=1
	s_or_b32 exec_lo, exec_lo, s12
	;;#ASMSTART
	v_pk_mul_f16 v2, v41, v111;

	;;#ASMEND
	;;#ASMSTART
	v_pk_mul_f16 v13, v40, v13;

	;;#ASMEND
	;; [unrolled: 4-line block ×4, first 2 shown]
	;;#ASMSTART
	v_pk_add_f16 v2, v2, v13;

	;;#ASMEND
	;;#ASMSTART
	v_pk_add_f16 v2, v2, v14;

	;;#ASMEND
	;; [unrolled: 4-line block ×3, first 2 shown]
	v_and_b32_e32 v13, 0xffff, v2
	v_lshrrev_b32_e32 v2, 16, v2
	;;#ASMSTART
	v_cvt_f32_f16 v109, v13;
	;;#ASMEND
	;;#ASMSTART
	v_cvt_f32_f16 v110, v2;
	;;#ASMEND
	flat_load_dwordx2 v[13:14], v[11:12] offset:1024
	flat_load_dword v111, v[26:27]
	v_mov_b32_e32 v120, 0
	v_mov_b32_e32 v121, 0
	s_waitcnt vmcnt(1) lgkmcnt(1)
	v_cmp_ne_u16_sdwa s12, v13, v3 src0_sel:BYTE_0 src1_sel:DWORD
	s_and_saveexec_b32 s25, s12
	s_cbranch_execz .LBB314_3943
; %bb.3936:                             ;   in Loop: Header=BB314_2086 Depth=1
	v_cmp_ne_u16_sdwa s12, v13, v55 src0_sel:BYTE_0 src1_sel:DWORD
	v_mov_b32_e32 v121, 0x8000
	s_and_saveexec_b32 s26, s12
	s_cbranch_execz .LBB314_3942
; %bb.3937:                             ;   in Loop: Header=BB314_2086 Depth=1
	v_and_b32_e32 v113, 0x7f, v13
	v_mov_b32_e32 v121, 0x7c01
	s_mov_b32 s27, exec_lo
	v_cmpx_ne_u32_e32 0x7f, v113
	s_cbranch_execz .LBB314_3941
; %bb.3938:                             ;   in Loop: Header=BB314_2086 Depth=1
	v_and_b32_e32 v2, 7, v13
	v_lshrrev_b32_e32 v54, 3, v113
	s_mov_b32 s28, exec_lo
	v_cmpx_gt_u32_e32 8, v113
; %bb.3939:                             ;   in Loop: Header=BB314_2086 Depth=1
	v_ffbh_u32_e32 v2, v2
	v_min_u32_e32 v2, 32, v2
	v_subrev_nc_u32_e32 v54, 28, v2
	v_lshlrev_b64 v[113:114], v54, v[13:14]
	v_sub_nc_u32_e32 v54, 29, v2
	v_and_b32_e32 v2, 7, v113
; %bb.3940:                             ;   in Loop: Header=BB314_2086 Depth=1
	s_or_b32 exec_lo, exec_lo, s28
	v_lshlrev_b32_e32 v113, 8, v13
	v_lshl_add_u32 v54, v54, 10, 0x2000
	v_lshlrev_b32_e32 v2, 7, v2
	v_and_b32_e32 v113, 0x8000, v113
	v_and_b32_e32 v54, 0xfc00, v54
	v_or3_b32 v121, v113, v54, v2
.LBB314_3941:                           ;   in Loop: Header=BB314_2086 Depth=1
	s_or_b32 exec_lo, exec_lo, s27
.LBB314_3942:                           ;   in Loop: Header=BB314_2086 Depth=1
	s_or_b32 exec_lo, exec_lo, s26
.LBB314_3943:                           ;   in Loop: Header=BB314_2086 Depth=1
	s_or_b32 exec_lo, exec_lo, s25
	v_lshrrev_b16 v2, 8, v13
	s_mov_b32 s25, exec_lo
	v_cmpx_ne_u16_e32 0, v2
	s_cbranch_execz .LBB314_3951
; %bb.3944:                             ;   in Loop: Header=BB314_2086 Depth=1
	v_bfrev_b32_e32 v120, 1
	s_mov_b32 s26, exec_lo
	v_cmpx_ne_u16_e32 0x80, v2
	s_cbranch_execz .LBB314_3950
; %bb.3945:                             ;   in Loop: Header=BB314_2086 Depth=1
	v_and_b32_sdwa v122, v2, v64 dst_sel:DWORD dst_unused:UNUSED_PAD src0_sel:WORD_0 src1_sel:DWORD
	v_mov_b32_e32 v120, 0x7c010000
	s_mov_b32 s27, exec_lo
	v_cmpx_ne_u32_e32 0x7f, v122
	s_cbranch_execz .LBB314_3949
; %bb.3946:                             ;   in Loop: Header=BB314_2086 Depth=1
	v_and_b32_sdwa v54, v2, v103 dst_sel:DWORD dst_unused:UNUSED_PAD src0_sel:WORD_0 src1_sel:DWORD
	v_lshrrev_b32_e32 v113, 3, v122
	s_mov_b32 s28, exec_lo
	v_cmpx_gt_u32_e32 8, v122
; %bb.3947:                             ;   in Loop: Header=BB314_2086 Depth=1
	v_ffbh_u32_e32 v54, v54
	v_min_u32_e32 v54, 32, v54
	v_subrev_nc_u32_e32 v113, 28, v54
	v_lshlrev_b64 v[122:123], v113, v[2:3]
	v_sub_nc_u32_e32 v113, 29, v54
	v_and_b32_e32 v54, 7, v122
; %bb.3948:                             ;   in Loop: Header=BB314_2086 Depth=1
	s_or_b32 exec_lo, exec_lo, s28
	v_lshlrev_b32_sdwa v2, v112, v2 dst_sel:DWORD dst_unused:UNUSED_PAD src0_sel:DWORD src1_sel:WORD_0
	v_lshl_add_u32 v113, v113, 10, 0x2000
	v_lshlrev_b32_e32 v54, 23, v54
	v_and_or_b32 v2, 0x8000, v2, v113
	v_lshl_or_b32 v120, v2, 16, v54
.LBB314_3949:                           ;   in Loop: Header=BB314_2086 Depth=1
	s_or_b32 exec_lo, exec_lo, s27
.LBB314_3950:                           ;   in Loop: Header=BB314_2086 Depth=1
	s_or_b32 exec_lo, exec_lo, s26
.LBB314_3951:                           ;   in Loop: Header=BB314_2086 Depth=1
	s_or_b32 exec_lo, exec_lo, s25
	v_lshrrev_b32_e32 v2, 16, v13
	v_mov_b32_e32 v122, 0
	v_mov_b32_e32 v123, 0
	v_cmp_ne_u16_sdwa s12, v2, v3 src0_sel:BYTE_0 src1_sel:DWORD
	s_and_saveexec_b32 s25, s12
	s_cbranch_execz .LBB314_3959
; %bb.3952:                             ;   in Loop: Header=BB314_2086 Depth=1
	v_cmp_ne_u16_sdwa s12, v2, v55 src0_sel:BYTE_0 src1_sel:DWORD
	v_mov_b32_e32 v123, 0x8000
	s_and_saveexec_b32 s26, s12
	s_cbranch_execz .LBB314_3958
; %bb.3953:                             ;   in Loop: Header=BB314_2086 Depth=1
	v_bfe_u32 v113, v13, 16, 7
	v_mov_b32_e32 v123, 0x7c01
	s_mov_b32 s27, exec_lo
	v_cmpx_ne_u32_e32 0x7f, v113
	s_cbranch_execz .LBB314_3957
; %bb.3954:                             ;   in Loop: Header=BB314_2086 Depth=1
	v_and_b32_e32 v54, 7, v2
	v_lshrrev_b32_e32 v123, 3, v113
	s_mov_b32 s28, exec_lo
	v_cmpx_gt_u32_e32 8, v113
; %bb.3955:                             ;   in Loop: Header=BB314_2086 Depth=1
	v_ffbh_u32_e32 v54, v54
	v_min_u32_e32 v54, 32, v54
	v_subrev_nc_u32_e32 v113, 28, v54
	v_sub_nc_u32_e32 v123, 29, v54
	v_lshlrev_b64 v[113:114], v113, v[2:3]
	v_and_b32_e32 v54, 7, v113
; %bb.3956:                             ;   in Loop: Header=BB314_2086 Depth=1
	s_or_b32 exec_lo, exec_lo, s28
	v_lshlrev_b32_e32 v2, 8, v2
	v_lshl_add_u32 v113, v123, 10, 0x2000
	v_lshlrev_b32_e32 v54, 7, v54
	v_and_b32_e32 v2, 0x8000, v2
	v_and_b32_e32 v113, 0xfc00, v113
	v_or3_b32 v123, v2, v113, v54
.LBB314_3957:                           ;   in Loop: Header=BB314_2086 Depth=1
	s_or_b32 exec_lo, exec_lo, s27
.LBB314_3958:                           ;   in Loop: Header=BB314_2086 Depth=1
	s_or_b32 exec_lo, exec_lo, s26
.LBB314_3959:                           ;   in Loop: Header=BB314_2086 Depth=1
	s_or_b32 exec_lo, exec_lo, s25
	s_mov_b32 s25, exec_lo
	v_cmpx_lt_u32_e32 0xffffff, v13
	s_cbranch_execz .LBB314_3967
; %bb.3960:                             ;   in Loop: Header=BB314_2086 Depth=1
	v_lshrrev_b32_e32 v2, 24, v13
	v_bfrev_b32_e32 v122, 1
	s_mov_b32 s26, exec_lo
	v_cmpx_ne_u32_e32 0x80, v2
	s_cbranch_execz .LBB314_3966
; %bb.3961:                             ;   in Loop: Header=BB314_2086 Depth=1
	v_and_b32_e32 v124, 0x7f, v2
	v_mov_b32_e32 v122, 0x7c010000
	s_mov_b32 s27, exec_lo
	v_cmpx_ne_u32_e32 0x7f, v124
	s_cbranch_execz .LBB314_3965
; %bb.3962:                             ;   in Loop: Header=BB314_2086 Depth=1
	v_and_b32_e32 v54, 7, v2
	v_lshrrev_b32_e32 v113, 3, v124
	s_mov_b32 s28, exec_lo
	v_cmpx_gt_u32_e32 8, v124
; %bb.3963:                             ;   in Loop: Header=BB314_2086 Depth=1
	v_ffbh_u32_e32 v54, v54
	v_min_u32_e32 v54, 32, v54
	v_subrev_nc_u32_e32 v113, 28, v54
	v_lshlrev_b64 v[124:125], v113, v[2:3]
	v_sub_nc_u32_e32 v113, 29, v54
	v_and_b32_e32 v54, 7, v124
; %bb.3964:                             ;   in Loop: Header=BB314_2086 Depth=1
	s_or_b32 exec_lo, exec_lo, s28
	v_lshlrev_b32_e32 v2, 8, v2
	v_lshl_add_u32 v113, v113, 10, 0x2000
	v_lshlrev_b32_e32 v54, 23, v54
	v_and_or_b32 v2, 0x8000, v2, v113
	v_lshl_or_b32 v122, v2, 16, v54
.LBB314_3965:                           ;   in Loop: Header=BB314_2086 Depth=1
	s_or_b32 exec_lo, exec_lo, s27
.LBB314_3966:                           ;   in Loop: Header=BB314_2086 Depth=1
	s_or_b32 exec_lo, exec_lo, s26
.LBB314_3967:                           ;   in Loop: Header=BB314_2086 Depth=1
	s_or_b32 exec_lo, exec_lo, s25
	v_mov_b32_e32 v2, v14
	v_cmp_ne_u16_sdwa s12, v14, v3 src0_sel:BYTE_0 src1_sel:DWORD
	v_mov_b32_e32 v124, 0
	v_mov_b32_e32 v125, 0
	s_and_saveexec_b32 s25, s12
	s_cbranch_execz .LBB314_3975
; %bb.3968:                             ;   in Loop: Header=BB314_2086 Depth=1
	v_cmp_ne_u16_sdwa s12, v14, v55 src0_sel:BYTE_0 src1_sel:DWORD
	v_mov_b32_e32 v125, 0x8000
	s_and_saveexec_b32 s26, s12
	s_cbranch_execz .LBB314_3974
; %bb.3969:                             ;   in Loop: Header=BB314_2086 Depth=1
	v_and_b32_e32 v113, 0x7f, v14
	v_mov_b32_e32 v125, 0x7c01
	s_mov_b32 s27, exec_lo
	v_cmpx_ne_u32_e32 0x7f, v113
	s_cbranch_execz .LBB314_3973
; %bb.3970:                             ;   in Loop: Header=BB314_2086 Depth=1
	v_and_b32_e32 v54, 7, v14
	v_lshrrev_b32_e32 v125, 3, v113
	s_mov_b32 s28, exec_lo
	v_cmpx_gt_u32_e32 8, v113
; %bb.3971:                             ;   in Loop: Header=BB314_2086 Depth=1
	v_ffbh_u32_e32 v54, v54
	v_min_u32_e32 v54, 32, v54
	v_subrev_nc_u32_e32 v113, 28, v54
	v_sub_nc_u32_e32 v125, 29, v54
	v_lshlrev_b64 v[113:114], v113, v[2:3]
	v_and_b32_e32 v54, 7, v113
; %bb.3972:                             ;   in Loop: Header=BB314_2086 Depth=1
	s_or_b32 exec_lo, exec_lo, s28
	v_lshlrev_b32_e32 v113, 8, v14
	v_lshl_add_u32 v114, v125, 10, 0x2000
	v_lshlrev_b32_e32 v54, 7, v54
	v_and_b32_e32 v113, 0x8000, v113
	v_and_b32_e32 v114, 0xfc00, v114
	v_or3_b32 v125, v113, v114, v54
.LBB314_3973:                           ;   in Loop: Header=BB314_2086 Depth=1
	s_or_b32 exec_lo, exec_lo, s27
.LBB314_3974:                           ;   in Loop: Header=BB314_2086 Depth=1
	s_or_b32 exec_lo, exec_lo, s26
.LBB314_3975:                           ;   in Loop: Header=BB314_2086 Depth=1
	s_or_b32 exec_lo, exec_lo, s25
	v_lshrrev_b16 v2, 8, v2
	v_mov_b32_e32 v126, 0
	s_mov_b32 s25, exec_lo
	v_cmpx_ne_u16_e32 0, v2
	s_cbranch_execz .LBB314_3983
; %bb.3976:                             ;   in Loop: Header=BB314_2086 Depth=1
	v_bfrev_b32_e32 v126, 1
	s_mov_b32 s26, exec_lo
	v_cmpx_ne_u16_e32 0x80, v2
	s_cbranch_execz .LBB314_3982
; %bb.3977:                             ;   in Loop: Header=BB314_2086 Depth=1
	v_and_b32_sdwa v127, v2, v64 dst_sel:DWORD dst_unused:UNUSED_PAD src0_sel:WORD_0 src1_sel:DWORD
	v_mov_b32_e32 v126, 0x7c010000
	s_mov_b32 s27, exec_lo
	v_cmpx_ne_u32_e32 0x7f, v127
	s_cbranch_execz .LBB314_3981
; %bb.3978:                             ;   in Loop: Header=BB314_2086 Depth=1
	v_and_b32_sdwa v54, v2, v103 dst_sel:DWORD dst_unused:UNUSED_PAD src0_sel:WORD_0 src1_sel:DWORD
	v_lshrrev_b32_e32 v113, 3, v127
	s_mov_b32 s28, exec_lo
	v_cmpx_gt_u32_e32 8, v127
; %bb.3979:                             ;   in Loop: Header=BB314_2086 Depth=1
	v_ffbh_u32_e32 v54, v54
	v_min_u32_e32 v54, 32, v54
	v_subrev_nc_u32_e32 v113, 28, v54
	v_lshlrev_b64 v[126:127], v113, v[2:3]
	v_sub_nc_u32_e32 v113, 29, v54
	v_and_b32_e32 v54, 7, v126
; %bb.3980:                             ;   in Loop: Header=BB314_2086 Depth=1
	s_or_b32 exec_lo, exec_lo, s28
	v_lshlrev_b32_sdwa v2, v112, v2 dst_sel:DWORD dst_unused:UNUSED_PAD src0_sel:DWORD src1_sel:WORD_0
	v_lshl_add_u32 v113, v113, 10, 0x2000
	v_lshlrev_b32_e32 v54, 23, v54
	v_and_or_b32 v2, 0x8000, v2, v113
	v_lshl_or_b32 v126, v2, 16, v54
.LBB314_3981:                           ;   in Loop: Header=BB314_2086 Depth=1
	s_or_b32 exec_lo, exec_lo, s27
.LBB314_3982:                           ;   in Loop: Header=BB314_2086 Depth=1
	s_or_b32 exec_lo, exec_lo, s26
.LBB314_3983:                           ;   in Loop: Header=BB314_2086 Depth=1
	s_or_b32 exec_lo, exec_lo, s25
	v_lshrrev_b32_e32 v2, 16, v14
	v_cmp_ne_u16_sdwa s12, v2, v3 src0_sel:BYTE_0 src1_sel:DWORD
	s_and_saveexec_b32 s25, s12
	s_cbranch_execz .LBB314_3991
; %bb.3984:                             ;   in Loop: Header=BB314_2086 Depth=1
	v_cmp_ne_u16_sdwa s12, v2, v55 src0_sel:BYTE_0 src1_sel:DWORD
	v_mov_b32_e32 v124, 0x8000
	s_and_saveexec_b32 s26, s12
	s_cbranch_execz .LBB314_3990
; %bb.3985:                             ;   in Loop: Header=BB314_2086 Depth=1
	v_bfe_u32 v113, v14, 16, 7
	v_mov_b32_e32 v124, 0x7c01
	s_mov_b32 s27, exec_lo
	v_cmpx_ne_u32_e32 0x7f, v113
	s_cbranch_execz .LBB314_3989
; %bb.3986:                             ;   in Loop: Header=BB314_2086 Depth=1
	v_and_b32_e32 v54, 7, v2
	v_lshrrev_b32_e32 v124, 3, v113
	s_mov_b32 s28, exec_lo
	v_cmpx_gt_u32_e32 8, v113
; %bb.3987:                             ;   in Loop: Header=BB314_2086 Depth=1
	v_ffbh_u32_e32 v54, v54
	v_min_u32_e32 v54, 32, v54
	v_subrev_nc_u32_e32 v113, 28, v54
	v_sub_nc_u32_e32 v124, 29, v54
	v_lshlrev_b64 v[113:114], v113, v[2:3]
	v_and_b32_e32 v54, 7, v113
; %bb.3988:                             ;   in Loop: Header=BB314_2086 Depth=1
	s_or_b32 exec_lo, exec_lo, s28
	v_lshlrev_b32_e32 v2, 8, v2
	v_lshl_add_u32 v113, v124, 10, 0x2000
	v_lshlrev_b32_e32 v54, 7, v54
	v_and_b32_e32 v2, 0x8000, v2
	v_and_b32_e32 v113, 0xfc00, v113
	v_or3_b32 v124, v2, v113, v54
.LBB314_3989:                           ;   in Loop: Header=BB314_2086 Depth=1
	s_or_b32 exec_lo, exec_lo, s27
.LBB314_3990:                           ;   in Loop: Header=BB314_2086 Depth=1
	s_or_b32 exec_lo, exec_lo, s26
.LBB314_3991:                           ;   in Loop: Header=BB314_2086 Depth=1
	s_or_b32 exec_lo, exec_lo, s25
	v_cmp_lt_u64_e64 s12, s[22:23], v[13:14]
	v_mov_b32_e32 v13, 0
	s_and_saveexec_b32 s25, s12
	s_cbranch_execz .LBB314_3999
; %bb.3992:                             ;   in Loop: Header=BB314_2086 Depth=1
	v_lshrrev_b32_e32 v2, 24, v14
	v_bfrev_b32_e32 v13, 1
	s_mov_b32 s26, exec_lo
	v_cmpx_ne_u32_e32 0x80, v2
	s_cbranch_execz .LBB314_3998
; %bb.3993:                             ;   in Loop: Header=BB314_2086 Depth=1
	v_and_b32_e32 v54, 0x7f, v2
	v_mov_b32_e32 v13, 0x7c010000
	s_mov_b32 s27, exec_lo
	v_cmpx_ne_u32_e32 0x7f, v54
	s_cbranch_execz .LBB314_3997
; %bb.3994:                             ;   in Loop: Header=BB314_2086 Depth=1
	v_and_b32_e32 v13, 7, v2
	v_lshrrev_b32_e32 v14, 3, v54
	s_mov_b32 s28, exec_lo
	v_cmpx_gt_u32_e32 8, v54
; %bb.3995:                             ;   in Loop: Header=BB314_2086 Depth=1
	v_ffbh_u32_e32 v13, v13
	v_min_u32_e32 v54, 32, v13
	v_subrev_nc_u32_e32 v13, 28, v54
	v_lshlrev_b64 v[13:14], v13, v[2:3]
	v_sub_nc_u32_e32 v14, 29, v54
	v_and_b32_e32 v13, 7, v13
; %bb.3996:                             ;   in Loop: Header=BB314_2086 Depth=1
	s_or_b32 exec_lo, exec_lo, s28
	v_lshlrev_b32_e32 v2, 8, v2
	v_lshl_add_u32 v14, v14, 10, 0x2000
	v_lshlrev_b32_e32 v13, 23, v13
	v_and_or_b32 v2, 0x8000, v2, v14
	v_lshl_or_b32 v13, v2, 16, v13
.LBB314_3997:                           ;   in Loop: Header=BB314_2086 Depth=1
	s_or_b32 exec_lo, exec_lo, s27
.LBB314_3998:                           ;   in Loop: Header=BB314_2086 Depth=1
	s_or_b32 exec_lo, exec_lo, s26
.LBB314_3999:                           ;   in Loop: Header=BB314_2086 Depth=1
	s_or_b32 exec_lo, exec_lo, s25
	v_or_b32_e32 v2, v122, v123
	s_waitcnt vmcnt(0) lgkmcnt(0)
	v_fma_mixlo_f16 v14, v111, v122, 0 op_sel:[0,1,0] op_sel_hi:[0,1,0]
	v_or_b32_e32 v113, v120, v121
	v_fma_mixlo_f16 v54, v111, v120, 0 op_sel:[0,1,0] op_sel_hi:[0,1,0]
	v_or_b32_e32 v114, v126, v125
	v_fma_mixlo_f16 v115, v111, v2, 0 op_sel_hi:[0,1,0]
	v_or_b32_e32 v120, v13, v124
	v_lshlrev_b32_e32 v2, 16, v14
	v_fma_mixlo_f16 v113, v111, v113, 0 op_sel_hi:[0,1,0]
	v_fma_mixlo_f16 v114, v111, v114, 0 op_sel_hi:[0,1,0]
	v_and_b32_e32 v14, 0xffff, v115
	v_fma_mixlo_f16 v115, v111, v126, 0 op_sel:[0,1,0] op_sel_hi:[0,1,0]
	v_fma_mixlo_f16 v13, v111, v13, 0 op_sel:[0,1,0] op_sel_hi:[0,1,0]
	v_fma_mixlo_f16 v111, v111, v120, 0 op_sel_hi:[0,1,0]
	v_lshlrev_b32_e32 v54, 16, v54
	v_and_b32_e32 v113, 0xffff, v113
	v_lshlrev_b32_e32 v123, 16, v115
	v_and_b32_e32 v125, 0xffff, v114
	;; [unrolled: 2-line block ×3, first 2 shown]
	v_or_b32_e32 v13, v2, v14
	v_or_b32_e32 v121, v54, v113
	;; [unrolled: 1-line block ×4, first 2 shown]
	s_and_saveexec_b32 s12, s4
	s_cbranch_execz .LBB314_4001
; %bb.4000:                             ;   in Loop: Header=BB314_2086 Depth=1
	v_cndmask_b32_e32 v13, 0, v113, vcc_lo
	v_cndmask_b32_e64 v54, 0, v54, s7
	v_cndmask_b32_e64 v14, 0, v14, s5
	;; [unrolled: 1-line block ×7, first 2 shown]
	v_or_b32_e32 v121, v13, v54
	v_or_b32_e32 v13, v14, v2
	;; [unrolled: 1-line block ×4, first 2 shown]
.LBB314_4001:                           ;   in Loop: Header=BB314_2086 Depth=1
	s_or_b32 exec_lo, exec_lo, s12
	;;#ASMSTART
	v_pk_mul_f16 v2, v41, v121;

	;;#ASMEND
	;;#ASMSTART
	v_pk_mul_f16 v13, v40, v13;

	;;#ASMEND
	;; [unrolled: 4-line block ×4, first 2 shown]
	;;#ASMSTART
	v_pk_add_f16 v2, v2, v13;

	;;#ASMEND
	;;#ASMSTART
	v_pk_add_f16 v2, v2, v14;

	;;#ASMEND
	;;#ASMSTART
	v_pk_add_f16 v2, v2, v54;

	;;#ASMEND
	v_and_b32_e32 v13, 0xffff, v2
	v_lshrrev_b32_e32 v2, 16, v2
	;;#ASMSTART
	v_cvt_f32_f16 v111, v13;
	;;#ASMEND
	;;#ASMSTART
	v_cvt_f32_f16 v120, v2;
	;;#ASMEND
	flat_load_dwordx2 v[13:14], v[11:12] offset:1280
	flat_load_dword v121, v[26:27]
	v_mov_b32_e32 v122, 0
	v_mov_b32_e32 v123, 0
	s_waitcnt vmcnt(1) lgkmcnt(1)
	v_cmp_ne_u16_sdwa s12, v13, v3 src0_sel:BYTE_0 src1_sel:DWORD
	s_and_saveexec_b32 s25, s12
	s_cbranch_execz .LBB314_4009
; %bb.4002:                             ;   in Loop: Header=BB314_2086 Depth=1
	v_cmp_ne_u16_sdwa s12, v13, v55 src0_sel:BYTE_0 src1_sel:DWORD
	v_mov_b32_e32 v123, 0x8000
	s_and_saveexec_b32 s26, s12
	s_cbranch_execz .LBB314_4008
; %bb.4003:                             ;   in Loop: Header=BB314_2086 Depth=1
	v_and_b32_e32 v113, 0x7f, v13
	v_mov_b32_e32 v123, 0x7c01
	s_mov_b32 s27, exec_lo
	v_cmpx_ne_u32_e32 0x7f, v113
	s_cbranch_execz .LBB314_4007
; %bb.4004:                             ;   in Loop: Header=BB314_2086 Depth=1
	v_and_b32_e32 v2, 7, v13
	v_lshrrev_b32_e32 v54, 3, v113
	s_mov_b32 s28, exec_lo
	v_cmpx_gt_u32_e32 8, v113
; %bb.4005:                             ;   in Loop: Header=BB314_2086 Depth=1
	v_ffbh_u32_e32 v2, v2
	v_min_u32_e32 v2, 32, v2
	v_subrev_nc_u32_e32 v54, 28, v2
	v_lshlrev_b64 v[113:114], v54, v[13:14]
	v_sub_nc_u32_e32 v54, 29, v2
	v_and_b32_e32 v2, 7, v113
; %bb.4006:                             ;   in Loop: Header=BB314_2086 Depth=1
	s_or_b32 exec_lo, exec_lo, s28
	v_lshlrev_b32_e32 v113, 8, v13
	v_lshl_add_u32 v54, v54, 10, 0x2000
	v_lshlrev_b32_e32 v2, 7, v2
	v_and_b32_e32 v113, 0x8000, v113
	v_and_b32_e32 v54, 0xfc00, v54
	v_or3_b32 v123, v113, v54, v2
.LBB314_4007:                           ;   in Loop: Header=BB314_2086 Depth=1
	s_or_b32 exec_lo, exec_lo, s27
.LBB314_4008:                           ;   in Loop: Header=BB314_2086 Depth=1
	s_or_b32 exec_lo, exec_lo, s26
.LBB314_4009:                           ;   in Loop: Header=BB314_2086 Depth=1
	s_or_b32 exec_lo, exec_lo, s25
	v_lshrrev_b16 v2, 8, v13
	s_mov_b32 s25, exec_lo
	v_cmpx_ne_u16_e32 0, v2
	s_cbranch_execz .LBB314_4017
; %bb.4010:                             ;   in Loop: Header=BB314_2086 Depth=1
	v_bfrev_b32_e32 v122, 1
	s_mov_b32 s26, exec_lo
	v_cmpx_ne_u16_e32 0x80, v2
	s_cbranch_execz .LBB314_4016
; %bb.4011:                             ;   in Loop: Header=BB314_2086 Depth=1
	v_and_b32_sdwa v124, v2, v64 dst_sel:DWORD dst_unused:UNUSED_PAD src0_sel:WORD_0 src1_sel:DWORD
	v_mov_b32_e32 v122, 0x7c010000
	s_mov_b32 s27, exec_lo
	v_cmpx_ne_u32_e32 0x7f, v124
	s_cbranch_execz .LBB314_4015
; %bb.4012:                             ;   in Loop: Header=BB314_2086 Depth=1
	v_and_b32_sdwa v54, v2, v103 dst_sel:DWORD dst_unused:UNUSED_PAD src0_sel:WORD_0 src1_sel:DWORD
	v_lshrrev_b32_e32 v113, 3, v124
	s_mov_b32 s28, exec_lo
	v_cmpx_gt_u32_e32 8, v124
; %bb.4013:                             ;   in Loop: Header=BB314_2086 Depth=1
	v_ffbh_u32_e32 v54, v54
	v_min_u32_e32 v54, 32, v54
	v_subrev_nc_u32_e32 v113, 28, v54
	v_lshlrev_b64 v[124:125], v113, v[2:3]
	v_sub_nc_u32_e32 v113, 29, v54
	v_and_b32_e32 v54, 7, v124
; %bb.4014:                             ;   in Loop: Header=BB314_2086 Depth=1
	s_or_b32 exec_lo, exec_lo, s28
	v_lshlrev_b32_sdwa v2, v112, v2 dst_sel:DWORD dst_unused:UNUSED_PAD src0_sel:DWORD src1_sel:WORD_0
	v_lshl_add_u32 v113, v113, 10, 0x2000
	v_lshlrev_b32_e32 v54, 23, v54
	v_and_or_b32 v2, 0x8000, v2, v113
	v_lshl_or_b32 v122, v2, 16, v54
.LBB314_4015:                           ;   in Loop: Header=BB314_2086 Depth=1
	s_or_b32 exec_lo, exec_lo, s27
.LBB314_4016:                           ;   in Loop: Header=BB314_2086 Depth=1
	s_or_b32 exec_lo, exec_lo, s26
.LBB314_4017:                           ;   in Loop: Header=BB314_2086 Depth=1
	s_or_b32 exec_lo, exec_lo, s25
	v_lshrrev_b32_e32 v2, 16, v13
	v_mov_b32_e32 v124, 0
	v_mov_b32_e32 v125, 0
	v_cmp_ne_u16_sdwa s12, v2, v3 src0_sel:BYTE_0 src1_sel:DWORD
	s_and_saveexec_b32 s25, s12
	s_cbranch_execz .LBB314_4025
; %bb.4018:                             ;   in Loop: Header=BB314_2086 Depth=1
	v_cmp_ne_u16_sdwa s12, v2, v55 src0_sel:BYTE_0 src1_sel:DWORD
	v_mov_b32_e32 v125, 0x8000
	s_and_saveexec_b32 s26, s12
	s_cbranch_execz .LBB314_4024
; %bb.4019:                             ;   in Loop: Header=BB314_2086 Depth=1
	v_bfe_u32 v113, v13, 16, 7
	v_mov_b32_e32 v125, 0x7c01
	s_mov_b32 s27, exec_lo
	v_cmpx_ne_u32_e32 0x7f, v113
	s_cbranch_execz .LBB314_4023
; %bb.4020:                             ;   in Loop: Header=BB314_2086 Depth=1
	v_and_b32_e32 v54, 7, v2
	v_lshrrev_b32_e32 v125, 3, v113
	s_mov_b32 s28, exec_lo
	v_cmpx_gt_u32_e32 8, v113
; %bb.4021:                             ;   in Loop: Header=BB314_2086 Depth=1
	v_ffbh_u32_e32 v54, v54
	v_min_u32_e32 v54, 32, v54
	v_subrev_nc_u32_e32 v113, 28, v54
	v_sub_nc_u32_e32 v125, 29, v54
	v_lshlrev_b64 v[113:114], v113, v[2:3]
	v_and_b32_e32 v54, 7, v113
; %bb.4022:                             ;   in Loop: Header=BB314_2086 Depth=1
	s_or_b32 exec_lo, exec_lo, s28
	v_lshlrev_b32_e32 v2, 8, v2
	v_lshl_add_u32 v113, v125, 10, 0x2000
	v_lshlrev_b32_e32 v54, 7, v54
	v_and_b32_e32 v2, 0x8000, v2
	v_and_b32_e32 v113, 0xfc00, v113
	v_or3_b32 v125, v2, v113, v54
.LBB314_4023:                           ;   in Loop: Header=BB314_2086 Depth=1
	s_or_b32 exec_lo, exec_lo, s27
.LBB314_4024:                           ;   in Loop: Header=BB314_2086 Depth=1
	s_or_b32 exec_lo, exec_lo, s26
.LBB314_4025:                           ;   in Loop: Header=BB314_2086 Depth=1
	s_or_b32 exec_lo, exec_lo, s25
	s_mov_b32 s25, exec_lo
	v_cmpx_lt_u32_e32 0xffffff, v13
	s_cbranch_execz .LBB314_4033
; %bb.4026:                             ;   in Loop: Header=BB314_2086 Depth=1
	v_lshrrev_b32_e32 v2, 24, v13
	v_bfrev_b32_e32 v124, 1
	s_mov_b32 s26, exec_lo
	v_cmpx_ne_u32_e32 0x80, v2
	s_cbranch_execz .LBB314_4032
; %bb.4027:                             ;   in Loop: Header=BB314_2086 Depth=1
	v_and_b32_e32 v126, 0x7f, v2
	v_mov_b32_e32 v124, 0x7c010000
	s_mov_b32 s27, exec_lo
	v_cmpx_ne_u32_e32 0x7f, v126
	s_cbranch_execz .LBB314_4031
; %bb.4028:                             ;   in Loop: Header=BB314_2086 Depth=1
	v_and_b32_e32 v54, 7, v2
	v_lshrrev_b32_e32 v113, 3, v126
	s_mov_b32 s28, exec_lo
	v_cmpx_gt_u32_e32 8, v126
; %bb.4029:                             ;   in Loop: Header=BB314_2086 Depth=1
	v_ffbh_u32_e32 v54, v54
	v_min_u32_e32 v54, 32, v54
	v_subrev_nc_u32_e32 v113, 28, v54
	v_lshlrev_b64 v[126:127], v113, v[2:3]
	v_sub_nc_u32_e32 v113, 29, v54
	v_and_b32_e32 v54, 7, v126
; %bb.4030:                             ;   in Loop: Header=BB314_2086 Depth=1
	s_or_b32 exec_lo, exec_lo, s28
	v_lshlrev_b32_e32 v2, 8, v2
	v_lshl_add_u32 v113, v113, 10, 0x2000
	v_lshlrev_b32_e32 v54, 23, v54
	v_and_or_b32 v2, 0x8000, v2, v113
	v_lshl_or_b32 v124, v2, 16, v54
.LBB314_4031:                           ;   in Loop: Header=BB314_2086 Depth=1
	s_or_b32 exec_lo, exec_lo, s27
.LBB314_4032:                           ;   in Loop: Header=BB314_2086 Depth=1
	s_or_b32 exec_lo, exec_lo, s26
.LBB314_4033:                           ;   in Loop: Header=BB314_2086 Depth=1
	s_or_b32 exec_lo, exec_lo, s25
	v_mov_b32_e32 v2, v14
	v_cmp_ne_u16_sdwa s12, v14, v3 src0_sel:BYTE_0 src1_sel:DWORD
	v_mov_b32_e32 v126, 0
	v_mov_b32_e32 v127, 0
	s_and_saveexec_b32 s25, s12
	s_cbranch_execz .LBB314_4041
; %bb.4034:                             ;   in Loop: Header=BB314_2086 Depth=1
	v_cmp_ne_u16_sdwa s12, v14, v55 src0_sel:BYTE_0 src1_sel:DWORD
	v_mov_b32_e32 v127, 0x8000
	s_and_saveexec_b32 s26, s12
	s_cbranch_execz .LBB314_4040
; %bb.4035:                             ;   in Loop: Header=BB314_2086 Depth=1
	v_and_b32_e32 v113, 0x7f, v14
	v_mov_b32_e32 v127, 0x7c01
	s_mov_b32 s27, exec_lo
	v_cmpx_ne_u32_e32 0x7f, v113
	s_cbranch_execz .LBB314_4039
; %bb.4036:                             ;   in Loop: Header=BB314_2086 Depth=1
	v_and_b32_e32 v54, 7, v14
	v_lshrrev_b32_e32 v127, 3, v113
	s_mov_b32 s28, exec_lo
	v_cmpx_gt_u32_e32 8, v113
; %bb.4037:                             ;   in Loop: Header=BB314_2086 Depth=1
	v_ffbh_u32_e32 v54, v54
	v_min_u32_e32 v54, 32, v54
	v_subrev_nc_u32_e32 v113, 28, v54
	v_sub_nc_u32_e32 v127, 29, v54
	v_lshlrev_b64 v[113:114], v113, v[2:3]
	v_and_b32_e32 v54, 7, v113
; %bb.4038:                             ;   in Loop: Header=BB314_2086 Depth=1
	s_or_b32 exec_lo, exec_lo, s28
	v_lshlrev_b32_e32 v113, 8, v14
	v_lshl_add_u32 v114, v127, 10, 0x2000
	v_lshlrev_b32_e32 v54, 7, v54
	v_and_b32_e32 v113, 0x8000, v113
	v_and_b32_e32 v114, 0xfc00, v114
	v_or3_b32 v127, v113, v114, v54
.LBB314_4039:                           ;   in Loop: Header=BB314_2086 Depth=1
	s_or_b32 exec_lo, exec_lo, s27
.LBB314_4040:                           ;   in Loop: Header=BB314_2086 Depth=1
	s_or_b32 exec_lo, exec_lo, s26
.LBB314_4041:                           ;   in Loop: Header=BB314_2086 Depth=1
	s_or_b32 exec_lo, exec_lo, s25
	v_lshrrev_b16 v2, 8, v2
	v_mov_b32_e32 v54, 0
	s_mov_b32 s25, exec_lo
	v_cmpx_ne_u16_e32 0, v2
	s_cbranch_execz .LBB314_4049
; %bb.4042:                             ;   in Loop: Header=BB314_2086 Depth=1
	v_bfrev_b32_e32 v54, 1
	s_mov_b32 s26, exec_lo
	v_cmpx_ne_u16_e32 0x80, v2
	s_cbranch_execz .LBB314_4048
; %bb.4043:                             ;   in Loop: Header=BB314_2086 Depth=1
	v_and_b32_sdwa v114, v2, v64 dst_sel:DWORD dst_unused:UNUSED_PAD src0_sel:WORD_0 src1_sel:DWORD
	v_mov_b32_e32 v54, 0x7c010000
	s_mov_b32 s27, exec_lo
	v_cmpx_ne_u32_e32 0x7f, v114
	s_cbranch_execz .LBB314_4047
; %bb.4044:                             ;   in Loop: Header=BB314_2086 Depth=1
	v_and_b32_sdwa v54, v2, v103 dst_sel:DWORD dst_unused:UNUSED_PAD src0_sel:WORD_0 src1_sel:DWORD
	v_lshrrev_b32_e32 v113, 3, v114
	s_mov_b32 s28, exec_lo
	v_cmpx_gt_u32_e32 8, v114
; %bb.4045:                             ;   in Loop: Header=BB314_2086 Depth=1
	v_ffbh_u32_e32 v54, v54
	v_min_u32_e32 v54, 32, v54
	v_subrev_nc_u32_e32 v113, 28, v54
	v_lshlrev_b64 v[114:115], v113, v[2:3]
	v_sub_nc_u32_e32 v113, 29, v54
	v_and_b32_e32 v54, 7, v114
; %bb.4046:                             ;   in Loop: Header=BB314_2086 Depth=1
	s_or_b32 exec_lo, exec_lo, s28
	v_lshlrev_b32_sdwa v2, v112, v2 dst_sel:DWORD dst_unused:UNUSED_PAD src0_sel:DWORD src1_sel:WORD_0
	v_lshl_add_u32 v113, v113, 10, 0x2000
	v_lshlrev_b32_e32 v54, 23, v54
	v_and_or_b32 v2, 0x8000, v2, v113
	v_lshl_or_b32 v54, v2, 16, v54
.LBB314_4047:                           ;   in Loop: Header=BB314_2086 Depth=1
	s_or_b32 exec_lo, exec_lo, s27
.LBB314_4048:                           ;   in Loop: Header=BB314_2086 Depth=1
	s_or_b32 exec_lo, exec_lo, s26
.LBB314_4049:                           ;   in Loop: Header=BB314_2086 Depth=1
	s_or_b32 exec_lo, exec_lo, s25
	v_lshrrev_b32_e32 v2, 16, v14
	v_cmp_ne_u16_sdwa s12, v2, v3 src0_sel:BYTE_0 src1_sel:DWORD
	s_and_saveexec_b32 s25, s12
	s_cbranch_execz .LBB314_4057
; %bb.4050:                             ;   in Loop: Header=BB314_2086 Depth=1
	v_cmp_ne_u16_sdwa s12, v2, v55 src0_sel:BYTE_0 src1_sel:DWORD
	v_mov_b32_e32 v126, 0x8000
	s_and_saveexec_b32 s26, s12
	s_cbranch_execz .LBB314_4056
; %bb.4051:                             ;   in Loop: Header=BB314_2086 Depth=1
	v_bfe_u32 v114, v14, 16, 7
	v_mov_b32_e32 v126, 0x7c01
	s_mov_b32 s27, exec_lo
	v_cmpx_ne_u32_e32 0x7f, v114
	s_cbranch_execz .LBB314_4055
; %bb.4052:                             ;   in Loop: Header=BB314_2086 Depth=1
	v_and_b32_e32 v126, 7, v2
	v_lshrrev_b32_e32 v113, 3, v114
	s_mov_b32 s28, exec_lo
	v_cmpx_gt_u32_e32 8, v114
; %bb.4053:                             ;   in Loop: Header=BB314_2086 Depth=1
	v_ffbh_u32_e32 v113, v126
	v_min_u32_e32 v113, 32, v113
	v_subrev_nc_u32_e32 v114, 28, v113
	v_sub_nc_u32_e32 v113, 29, v113
	v_lshlrev_b64 v[114:115], v114, v[2:3]
	v_and_b32_e32 v126, 7, v114
; %bb.4054:                             ;   in Loop: Header=BB314_2086 Depth=1
	s_or_b32 exec_lo, exec_lo, s28
	v_lshlrev_b32_e32 v2, 8, v2
	v_lshl_add_u32 v113, v113, 10, 0x2000
	v_lshlrev_b32_e32 v114, 7, v126
	v_and_b32_e32 v2, 0x8000, v2
	v_and_b32_e32 v113, 0xfc00, v113
	v_or3_b32 v126, v2, v113, v114
.LBB314_4055:                           ;   in Loop: Header=BB314_2086 Depth=1
	s_or_b32 exec_lo, exec_lo, s27
.LBB314_4056:                           ;   in Loop: Header=BB314_2086 Depth=1
	s_or_b32 exec_lo, exec_lo, s26
.LBB314_4057:                           ;   in Loop: Header=BB314_2086 Depth=1
	s_or_b32 exec_lo, exec_lo, s25
	v_cmp_lt_u64_e64 s12, s[22:23], v[13:14]
	v_mov_b32_e32 v13, 0
	s_and_saveexec_b32 s25, s12
	s_cbranch_execz .LBB314_4065
; %bb.4058:                             ;   in Loop: Header=BB314_2086 Depth=1
	v_lshrrev_b32_e32 v2, 24, v14
	v_bfrev_b32_e32 v13, 1
	s_mov_b32 s26, exec_lo
	v_cmpx_ne_u32_e32 0x80, v2
	s_cbranch_execz .LBB314_4064
; %bb.4059:                             ;   in Loop: Header=BB314_2086 Depth=1
	v_and_b32_e32 v113, 0x7f, v2
	v_mov_b32_e32 v13, 0x7c010000
	s_mov_b32 s27, exec_lo
	v_cmpx_ne_u32_e32 0x7f, v113
	s_cbranch_execz .LBB314_4063
; %bb.4060:                             ;   in Loop: Header=BB314_2086 Depth=1
	v_and_b32_e32 v13, 7, v2
	v_lshrrev_b32_e32 v14, 3, v113
	s_mov_b32 s28, exec_lo
	v_cmpx_gt_u32_e32 8, v113
; %bb.4061:                             ;   in Loop: Header=BB314_2086 Depth=1
	v_ffbh_u32_e32 v13, v13
	v_min_u32_e32 v113, 32, v13
	v_subrev_nc_u32_e32 v13, 28, v113
	v_lshlrev_b64 v[13:14], v13, v[2:3]
	v_sub_nc_u32_e32 v14, 29, v113
	v_and_b32_e32 v13, 7, v13
; %bb.4062:                             ;   in Loop: Header=BB314_2086 Depth=1
	s_or_b32 exec_lo, exec_lo, s28
	v_lshlrev_b32_e32 v2, 8, v2
	v_lshl_add_u32 v14, v14, 10, 0x2000
	v_lshlrev_b32_e32 v13, 23, v13
	v_and_or_b32 v2, 0x8000, v2, v14
	v_lshl_or_b32 v13, v2, 16, v13
.LBB314_4063:                           ;   in Loop: Header=BB314_2086 Depth=1
	s_or_b32 exec_lo, exec_lo, s27
.LBB314_4064:                           ;   in Loop: Header=BB314_2086 Depth=1
	s_or_b32 exec_lo, exec_lo, s26
.LBB314_4065:                           ;   in Loop: Header=BB314_2086 Depth=1
	s_or_b32 exec_lo, exec_lo, s25
	v_or_b32_e32 v2, v124, v125
	s_waitcnt vmcnt(0) lgkmcnt(0)
	v_fma_mixlo_f16 v14, v121, v124, 0 op_sel:[0,1,0] op_sel_hi:[0,1,0]
	v_or_b32_e32 v113, v122, v123
	v_fma_mixlo_f16 v114, v121, v122, 0 op_sel:[0,1,0] op_sel_hi:[0,1,0]
	v_or_b32_e32 v115, v54, v127
	v_or_b32_e32 v124, v13, v126
	v_fma_mixlo_f16 v123, v121, v2, 0 op_sel_hi:[0,1,0]
	v_fma_mixlo_f16 v113, v121, v113, 0 op_sel_hi:[0,1,0]
	v_lshlrev_b32_e32 v122, 16, v114
	v_fma_mixlo_f16 v54, v121, v54, 0 op_sel:[0,1,0] op_sel_hi:[0,1,0]
	v_fma_mixlo_f16 v114, v121, v115, 0 op_sel_hi:[0,1,0]
	v_fma_mixlo_f16 v13, v121, v13, 0 op_sel:[0,1,0] op_sel_hi:[0,1,0]
	v_fma_mixlo_f16 v115, v121, v124, 0 op_sel_hi:[0,1,0]
	v_lshlrev_b32_e32 v2, 16, v14
	v_and_b32_e32 v14, 0xffff, v123
	v_and_b32_e32 v113, 0xffff, v113
	v_lshlrev_b32_e32 v125, 16, v54
	v_and_b32_e32 v127, 0xffff, v114
	v_lshlrev_b32_e32 v124, 16, v13
	v_and_b32_e32 v126, 0xffff, v115
	v_or_b32_e32 v13, v2, v14
	v_or_b32_e32 v123, v122, v113
	;; [unrolled: 1-line block ×4, first 2 shown]
	s_and_saveexec_b32 s12, s4
	s_cbranch_execz .LBB314_4067
; %bb.4066:                             ;   in Loop: Header=BB314_2086 Depth=1
	v_cndmask_b32_e32 v13, 0, v113, vcc_lo
	v_cndmask_b32_e64 v54, 0, v122, s7
	v_cndmask_b32_e64 v14, 0, v14, s5
	;; [unrolled: 1-line block ×7, first 2 shown]
	v_or_b32_e32 v123, v13, v54
	v_or_b32_e32 v13, v14, v2
	;; [unrolled: 1-line block ×4, first 2 shown]
.LBB314_4067:                           ;   in Loop: Header=BB314_2086 Depth=1
	s_or_b32 exec_lo, exec_lo, s12
	;;#ASMSTART
	v_pk_mul_f16 v2, v41, v123;

	;;#ASMEND
	;;#ASMSTART
	v_pk_mul_f16 v13, v40, v13;

	;;#ASMEND
	;; [unrolled: 4-line block ×4, first 2 shown]
	;;#ASMSTART
	v_pk_add_f16 v2, v2, v13;

	;;#ASMEND
	;;#ASMSTART
	v_pk_add_f16 v2, v2, v14;

	;;#ASMEND
	;;#ASMSTART
	v_pk_add_f16 v2, v2, v54;

	;;#ASMEND
	v_and_b32_e32 v13, 0xffff, v2
	v_lshrrev_b32_e32 v2, 16, v2
	;;#ASMSTART
	v_cvt_f32_f16 v13, v13;
	;;#ASMEND
	;;#ASMSTART
	v_cvt_f32_f16 v14, v2;
	;;#ASMEND
	flat_load_dwordx2 v[11:12], v[11:12] offset:1536
	flat_load_dword v121, v[26:27]
	v_mov_b32_e32 v122, 0
	v_mov_b32_e32 v123, 0
	s_waitcnt vmcnt(1) lgkmcnt(1)
	v_cmp_ne_u16_sdwa s12, v11, v3 src0_sel:BYTE_0 src1_sel:DWORD
	s_and_saveexec_b32 s25, s12
	s_cbranch_execz .LBB314_4075
; %bb.4068:                             ;   in Loop: Header=BB314_2086 Depth=1
	v_cmp_ne_u16_sdwa s12, v11, v55 src0_sel:BYTE_0 src1_sel:DWORD
	v_mov_b32_e32 v123, 0x8000
	s_and_saveexec_b32 s26, s12
	s_cbranch_execz .LBB314_4074
; %bb.4069:                             ;   in Loop: Header=BB314_2086 Depth=1
	v_and_b32_e32 v113, 0x7f, v11
	v_mov_b32_e32 v123, 0x7c01
	s_mov_b32 s27, exec_lo
	v_cmpx_ne_u32_e32 0x7f, v113
	s_cbranch_execz .LBB314_4073
; %bb.4070:                             ;   in Loop: Header=BB314_2086 Depth=1
	v_and_b32_e32 v2, 7, v11
	v_lshrrev_b32_e32 v54, 3, v113
	s_mov_b32 s28, exec_lo
	v_cmpx_gt_u32_e32 8, v113
; %bb.4071:                             ;   in Loop: Header=BB314_2086 Depth=1
	v_ffbh_u32_e32 v2, v2
	v_min_u32_e32 v2, 32, v2
	v_subrev_nc_u32_e32 v54, 28, v2
	v_lshlrev_b64 v[113:114], v54, v[11:12]
	v_sub_nc_u32_e32 v54, 29, v2
	v_and_b32_e32 v2, 7, v113
; %bb.4072:                             ;   in Loop: Header=BB314_2086 Depth=1
	s_or_b32 exec_lo, exec_lo, s28
	v_lshlrev_b32_e32 v113, 8, v11
	v_lshl_add_u32 v54, v54, 10, 0x2000
	v_lshlrev_b32_e32 v2, 7, v2
	v_and_b32_e32 v113, 0x8000, v113
	v_and_b32_e32 v54, 0xfc00, v54
	v_or3_b32 v123, v113, v54, v2
.LBB314_4073:                           ;   in Loop: Header=BB314_2086 Depth=1
	s_or_b32 exec_lo, exec_lo, s27
.LBB314_4074:                           ;   in Loop: Header=BB314_2086 Depth=1
	s_or_b32 exec_lo, exec_lo, s26
.LBB314_4075:                           ;   in Loop: Header=BB314_2086 Depth=1
	s_or_b32 exec_lo, exec_lo, s25
	v_lshrrev_b16 v2, 8, v11
	s_mov_b32 s25, exec_lo
	v_cmpx_ne_u16_e32 0, v2
	s_cbranch_execz .LBB314_4083
; %bb.4076:                             ;   in Loop: Header=BB314_2086 Depth=1
	v_bfrev_b32_e32 v122, 1
	s_mov_b32 s26, exec_lo
	v_cmpx_ne_u16_e32 0x80, v2
	s_cbranch_execz .LBB314_4082
; %bb.4077:                             ;   in Loop: Header=BB314_2086 Depth=1
	v_and_b32_sdwa v114, v2, v64 dst_sel:DWORD dst_unused:UNUSED_PAD src0_sel:WORD_0 src1_sel:DWORD
	v_mov_b32_e32 v122, 0x7c010000
	s_mov_b32 s27, exec_lo
	v_cmpx_ne_u32_e32 0x7f, v114
	s_cbranch_execz .LBB314_4081
; %bb.4078:                             ;   in Loop: Header=BB314_2086 Depth=1
	v_and_b32_sdwa v54, v2, v103 dst_sel:DWORD dst_unused:UNUSED_PAD src0_sel:WORD_0 src1_sel:DWORD
	v_lshrrev_b32_e32 v113, 3, v114
	s_mov_b32 s28, exec_lo
	v_cmpx_gt_u32_e32 8, v114
; %bb.4079:                             ;   in Loop: Header=BB314_2086 Depth=1
	v_ffbh_u32_e32 v54, v54
	v_min_u32_e32 v54, 32, v54
	v_subrev_nc_u32_e32 v113, 28, v54
	v_lshlrev_b64 v[114:115], v113, v[2:3]
	v_sub_nc_u32_e32 v113, 29, v54
	v_and_b32_e32 v54, 7, v114
; %bb.4080:                             ;   in Loop: Header=BB314_2086 Depth=1
	s_or_b32 exec_lo, exec_lo, s28
	v_lshlrev_b32_sdwa v2, v112, v2 dst_sel:DWORD dst_unused:UNUSED_PAD src0_sel:DWORD src1_sel:WORD_0
	v_lshl_add_u32 v113, v113, 10, 0x2000
	v_lshlrev_b32_e32 v54, 23, v54
	v_and_or_b32 v2, 0x8000, v2, v113
	v_lshl_or_b32 v122, v2, 16, v54
.LBB314_4081:                           ;   in Loop: Header=BB314_2086 Depth=1
	s_or_b32 exec_lo, exec_lo, s27
.LBB314_4082:                           ;   in Loop: Header=BB314_2086 Depth=1
	s_or_b32 exec_lo, exec_lo, s26
.LBB314_4083:                           ;   in Loop: Header=BB314_2086 Depth=1
	s_or_b32 exec_lo, exec_lo, s25
	v_lshrrev_b32_e32 v2, 16, v11
	v_mov_b32_e32 v124, 0
	v_mov_b32_e32 v125, 0
	v_cmp_ne_u16_sdwa s12, v2, v3 src0_sel:BYTE_0 src1_sel:DWORD
	s_and_saveexec_b32 s25, s12
	s_cbranch_execz .LBB314_4091
; %bb.4084:                             ;   in Loop: Header=BB314_2086 Depth=1
	v_cmp_ne_u16_sdwa s12, v2, v55 src0_sel:BYTE_0 src1_sel:DWORD
	v_mov_b32_e32 v125, 0x8000
	s_and_saveexec_b32 s26, s12
	s_cbranch_execz .LBB314_4090
; %bb.4085:                             ;   in Loop: Header=BB314_2086 Depth=1
	v_bfe_u32 v114, v11, 16, 7
	v_mov_b32_e32 v125, 0x7c01
	s_mov_b32 s27, exec_lo
	v_cmpx_ne_u32_e32 0x7f, v114
	s_cbranch_execz .LBB314_4089
; %bb.4086:                             ;   in Loop: Header=BB314_2086 Depth=1
	v_and_b32_e32 v54, 7, v2
	v_lshrrev_b32_e32 v113, 3, v114
	s_mov_b32 s28, exec_lo
	v_cmpx_gt_u32_e32 8, v114
; %bb.4087:                             ;   in Loop: Header=BB314_2086 Depth=1
	v_ffbh_u32_e32 v54, v54
	v_min_u32_e32 v54, 32, v54
	v_subrev_nc_u32_e32 v113, 28, v54
	v_lshlrev_b64 v[114:115], v113, v[2:3]
	v_sub_nc_u32_e32 v113, 29, v54
	v_and_b32_e32 v54, 7, v114
; %bb.4088:                             ;   in Loop: Header=BB314_2086 Depth=1
	s_or_b32 exec_lo, exec_lo, s28
	v_lshlrev_b32_e32 v2, 8, v2
	v_lshl_add_u32 v113, v113, 10, 0x2000
	v_lshlrev_b32_e32 v54, 7, v54
	v_and_b32_e32 v2, 0x8000, v2
	v_and_b32_e32 v113, 0xfc00, v113
	v_or3_b32 v125, v2, v113, v54
.LBB314_4089:                           ;   in Loop: Header=BB314_2086 Depth=1
	s_or_b32 exec_lo, exec_lo, s27
.LBB314_4090:                           ;   in Loop: Header=BB314_2086 Depth=1
	s_or_b32 exec_lo, exec_lo, s26
.LBB314_4091:                           ;   in Loop: Header=BB314_2086 Depth=1
	s_or_b32 exec_lo, exec_lo, s25
	s_mov_b32 s25, exec_lo
	v_cmpx_lt_u32_e32 0xffffff, v11
	s_cbranch_execz .LBB314_4099
; %bb.4092:                             ;   in Loop: Header=BB314_2086 Depth=1
	v_lshrrev_b32_e32 v2, 24, v11
	v_bfrev_b32_e32 v124, 1
	s_mov_b32 s26, exec_lo
	v_cmpx_ne_u32_e32 0x80, v2
	s_cbranch_execz .LBB314_4098
; %bb.4093:                             ;   in Loop: Header=BB314_2086 Depth=1
	v_and_b32_e32 v126, 0x7f, v2
	v_mov_b32_e32 v124, 0x7c010000
	s_mov_b32 s27, exec_lo
	v_cmpx_ne_u32_e32 0x7f, v126
	s_cbranch_execz .LBB314_4097
; %bb.4094:                             ;   in Loop: Header=BB314_2086 Depth=1
	v_and_b32_e32 v54, 7, v2
	v_lshrrev_b32_e32 v113, 3, v126
	s_mov_b32 s28, exec_lo
	v_cmpx_gt_u32_e32 8, v126
; %bb.4095:                             ;   in Loop: Header=BB314_2086 Depth=1
	v_ffbh_u32_e32 v54, v54
	v_min_u32_e32 v54, 32, v54
	v_subrev_nc_u32_e32 v113, 28, v54
	v_lshlrev_b64 v[114:115], v113, v[2:3]
	v_sub_nc_u32_e32 v113, 29, v54
	v_and_b32_e32 v54, 7, v114
; %bb.4096:                             ;   in Loop: Header=BB314_2086 Depth=1
	s_or_b32 exec_lo, exec_lo, s28
	v_lshlrev_b32_e32 v2, 8, v2
	v_lshl_add_u32 v113, v113, 10, 0x2000
	v_lshlrev_b32_e32 v54, 23, v54
	v_and_or_b32 v2, 0x8000, v2, v113
	v_lshl_or_b32 v124, v2, 16, v54
.LBB314_4097:                           ;   in Loop: Header=BB314_2086 Depth=1
	s_or_b32 exec_lo, exec_lo, s27
.LBB314_4098:                           ;   in Loop: Header=BB314_2086 Depth=1
	s_or_b32 exec_lo, exec_lo, s26
.LBB314_4099:                           ;   in Loop: Header=BB314_2086 Depth=1
	s_or_b32 exec_lo, exec_lo, s25
	v_mov_b32_e32 v2, v12
	v_cmp_ne_u16_sdwa s12, v12, v3 src0_sel:BYTE_0 src1_sel:DWORD
	v_mov_b32_e32 v126, 0
	v_mov_b32_e32 v127, 0
	s_and_saveexec_b32 s25, s12
	s_cbranch_execz .LBB314_4107
; %bb.4100:                             ;   in Loop: Header=BB314_2086 Depth=1
	v_cmp_ne_u16_sdwa s12, v12, v55 src0_sel:BYTE_0 src1_sel:DWORD
	v_mov_b32_e32 v127, 0x8000
	s_and_saveexec_b32 s26, s12
	s_cbranch_execz .LBB314_4106
; %bb.4101:                             ;   in Loop: Header=BB314_2086 Depth=1
	v_and_b32_e32 v114, 0x7f, v12
	v_mov_b32_e32 v127, 0x7c01
	s_mov_b32 s27, exec_lo
	v_cmpx_ne_u32_e32 0x7f, v114
	s_cbranch_execz .LBB314_4105
; %bb.4102:                             ;   in Loop: Header=BB314_2086 Depth=1
	v_and_b32_e32 v54, 7, v12
	v_lshrrev_b32_e32 v113, 3, v114
	s_mov_b32 s28, exec_lo
	v_cmpx_gt_u32_e32 8, v114
; %bb.4103:                             ;   in Loop: Header=BB314_2086 Depth=1
	v_ffbh_u32_e32 v54, v54
	v_min_u32_e32 v54, 32, v54
	v_subrev_nc_u32_e32 v113, 28, v54
	v_lshlrev_b64 v[114:115], v113, v[2:3]
	v_sub_nc_u32_e32 v113, 29, v54
	v_and_b32_e32 v54, 7, v114
; %bb.4104:                             ;   in Loop: Header=BB314_2086 Depth=1
	s_or_b32 exec_lo, exec_lo, s28
	v_lshlrev_b32_e32 v114, 8, v12
	v_lshl_add_u32 v113, v113, 10, 0x2000
	v_lshlrev_b32_e32 v54, 7, v54
	v_and_b32_e32 v114, 0x8000, v114
	v_and_b32_e32 v113, 0xfc00, v113
	v_or3_b32 v127, v114, v113, v54
.LBB314_4105:                           ;   in Loop: Header=BB314_2086 Depth=1
	s_or_b32 exec_lo, exec_lo, s27
.LBB314_4106:                           ;   in Loop: Header=BB314_2086 Depth=1
	s_or_b32 exec_lo, exec_lo, s26
.LBB314_4107:                           ;   in Loop: Header=BB314_2086 Depth=1
	s_or_b32 exec_lo, exec_lo, s25
	v_lshrrev_b16 v2, 8, v2
	v_mov_b32_e32 v54, 0
	s_mov_b32 s25, exec_lo
	v_cmpx_ne_u16_e32 0, v2
	s_cbranch_execz .LBB314_4115
; %bb.4108:                             ;   in Loop: Header=BB314_2086 Depth=1
	v_bfrev_b32_e32 v54, 1
	s_mov_b32 s26, exec_lo
	v_cmpx_ne_u16_e32 0x80, v2
	s_cbranch_execz .LBB314_4114
; %bb.4109:                             ;   in Loop: Header=BB314_2086 Depth=1
	v_and_b32_sdwa v114, v2, v64 dst_sel:DWORD dst_unused:UNUSED_PAD src0_sel:WORD_0 src1_sel:DWORD
	v_mov_b32_e32 v54, 0x7c010000
	s_mov_b32 s27, exec_lo
	v_cmpx_ne_u32_e32 0x7f, v114
	s_cbranch_execz .LBB314_4113
; %bb.4110:                             ;   in Loop: Header=BB314_2086 Depth=1
	v_and_b32_sdwa v54, v2, v103 dst_sel:DWORD dst_unused:UNUSED_PAD src0_sel:WORD_0 src1_sel:DWORD
	v_lshrrev_b32_e32 v113, 3, v114
	s_mov_b32 s28, exec_lo
	v_cmpx_gt_u32_e32 8, v114
; %bb.4111:                             ;   in Loop: Header=BB314_2086 Depth=1
	v_ffbh_u32_e32 v54, v54
	v_min_u32_e32 v54, 32, v54
	v_subrev_nc_u32_e32 v113, 28, v54
	v_lshlrev_b64 v[114:115], v113, v[2:3]
	v_sub_nc_u32_e32 v113, 29, v54
	v_and_b32_e32 v54, 7, v114
; %bb.4112:                             ;   in Loop: Header=BB314_2086 Depth=1
	s_or_b32 exec_lo, exec_lo, s28
	v_lshlrev_b32_sdwa v2, v112, v2 dst_sel:DWORD dst_unused:UNUSED_PAD src0_sel:DWORD src1_sel:WORD_0
	v_lshl_add_u32 v113, v113, 10, 0x2000
	v_lshlrev_b32_e32 v54, 23, v54
	v_and_or_b32 v2, 0x8000, v2, v113
	v_lshl_or_b32 v54, v2, 16, v54
.LBB314_4113:                           ;   in Loop: Header=BB314_2086 Depth=1
	s_or_b32 exec_lo, exec_lo, s27
.LBB314_4114:                           ;   in Loop: Header=BB314_2086 Depth=1
	s_or_b32 exec_lo, exec_lo, s26
.LBB314_4115:                           ;   in Loop: Header=BB314_2086 Depth=1
	s_or_b32 exec_lo, exec_lo, s25
	v_lshrrev_b32_e32 v2, 16, v12
	v_cmp_ne_u16_sdwa s12, v2, v3 src0_sel:BYTE_0 src1_sel:DWORD
	s_and_saveexec_b32 s25, s12
	s_cbranch_execz .LBB314_4123
; %bb.4116:                             ;   in Loop: Header=BB314_2086 Depth=1
	v_cmp_ne_u16_sdwa s12, v2, v55 src0_sel:BYTE_0 src1_sel:DWORD
	v_mov_b32_e32 v126, 0x8000
	s_and_saveexec_b32 s26, s12
	s_cbranch_execz .LBB314_4122
; %bb.4117:                             ;   in Loop: Header=BB314_2086 Depth=1
	v_bfe_u32 v114, v12, 16, 7
	v_mov_b32_e32 v126, 0x7c01
	s_mov_b32 s27, exec_lo
	v_cmpx_ne_u32_e32 0x7f, v114
	s_cbranch_execz .LBB314_4121
; %bb.4118:                             ;   in Loop: Header=BB314_2086 Depth=1
	v_and_b32_e32 v126, 7, v2
	v_lshrrev_b32_e32 v113, 3, v114
	s_mov_b32 s28, exec_lo
	v_cmpx_gt_u32_e32 8, v114
; %bb.4119:                             ;   in Loop: Header=BB314_2086 Depth=1
	v_ffbh_u32_e32 v113, v126
	v_min_u32_e32 v113, 32, v113
	v_subrev_nc_u32_e32 v114, 28, v113
	v_sub_nc_u32_e32 v113, 29, v113
	v_lshlrev_b64 v[114:115], v114, v[2:3]
	v_and_b32_e32 v126, 7, v114
; %bb.4120:                             ;   in Loop: Header=BB314_2086 Depth=1
	s_or_b32 exec_lo, exec_lo, s28
	v_lshlrev_b32_e32 v2, 8, v2
	v_lshl_add_u32 v113, v113, 10, 0x2000
	v_lshlrev_b32_e32 v114, 7, v126
	v_and_b32_e32 v2, 0x8000, v2
	v_and_b32_e32 v113, 0xfc00, v113
	v_or3_b32 v126, v2, v113, v114
.LBB314_4121:                           ;   in Loop: Header=BB314_2086 Depth=1
	s_or_b32 exec_lo, exec_lo, s27
.LBB314_4122:                           ;   in Loop: Header=BB314_2086 Depth=1
	s_or_b32 exec_lo, exec_lo, s26
.LBB314_4123:                           ;   in Loop: Header=BB314_2086 Depth=1
	s_or_b32 exec_lo, exec_lo, s25
	v_cmp_lt_u64_e64 s12, s[22:23], v[11:12]
	v_mov_b32_e32 v11, 0
	s_and_saveexec_b32 s25, s12
	s_cbranch_execz .LBB314_4131
; %bb.4124:                             ;   in Loop: Header=BB314_2086 Depth=1
	v_lshrrev_b32_e32 v2, 24, v12
	v_bfrev_b32_e32 v11, 1
	s_mov_b32 s26, exec_lo
	v_cmpx_ne_u32_e32 0x80, v2
	s_cbranch_execz .LBB314_4130
; %bb.4125:                             ;   in Loop: Header=BB314_2086 Depth=1
	v_and_b32_e32 v113, 0x7f, v2
	v_mov_b32_e32 v11, 0x7c010000
	s_mov_b32 s27, exec_lo
	v_cmpx_ne_u32_e32 0x7f, v113
	s_cbranch_execz .LBB314_4129
; %bb.4126:                             ;   in Loop: Header=BB314_2086 Depth=1
	v_and_b32_e32 v11, 7, v2
	v_lshrrev_b32_e32 v12, 3, v113
	s_mov_b32 s28, exec_lo
	v_cmpx_gt_u32_e32 8, v113
; %bb.4127:                             ;   in Loop: Header=BB314_2086 Depth=1
	v_ffbh_u32_e32 v11, v11
	v_min_u32_e32 v113, 32, v11
	v_subrev_nc_u32_e32 v11, 28, v113
	v_lshlrev_b64 v[11:12], v11, v[2:3]
	v_sub_nc_u32_e32 v12, 29, v113
	v_and_b32_e32 v11, 7, v11
; %bb.4128:                             ;   in Loop: Header=BB314_2086 Depth=1
	s_or_b32 exec_lo, exec_lo, s28
	v_lshlrev_b32_e32 v2, 8, v2
	v_lshl_add_u32 v12, v12, 10, 0x2000
	v_lshlrev_b32_e32 v11, 23, v11
	v_and_or_b32 v2, 0x8000, v2, v12
	v_lshl_or_b32 v11, v2, 16, v11
.LBB314_4129:                           ;   in Loop: Header=BB314_2086 Depth=1
	s_or_b32 exec_lo, exec_lo, s27
.LBB314_4130:                           ;   in Loop: Header=BB314_2086 Depth=1
	s_or_b32 exec_lo, exec_lo, s26
.LBB314_4131:                           ;   in Loop: Header=BB314_2086 Depth=1
	s_or_b32 exec_lo, exec_lo, s25
	v_or_b32_e32 v2, v124, v125
	s_waitcnt vmcnt(0) lgkmcnt(0)
	v_fma_mixlo_f16 v12, v121, v124, 0 op_sel:[0,1,0] op_sel_hi:[0,1,0]
	v_or_b32_e32 v113, v122, v123
	v_fma_mixlo_f16 v114, v121, v122, 0 op_sel:[0,1,0] op_sel_hi:[0,1,0]
	v_or_b32_e32 v115, v54, v127
	v_or_b32_e32 v124, v11, v126
	v_fma_mixlo_f16 v123, v121, v2, 0 op_sel_hi:[0,1,0]
	v_fma_mixlo_f16 v113, v121, v113, 0 op_sel_hi:[0,1,0]
	v_lshlrev_b32_e32 v122, 16, v114
	v_fma_mixlo_f16 v54, v121, v54, 0 op_sel:[0,1,0] op_sel_hi:[0,1,0]
	v_fma_mixlo_f16 v114, v121, v115, 0 op_sel_hi:[0,1,0]
	v_fma_mixlo_f16 v11, v121, v11, 0 op_sel:[0,1,0] op_sel_hi:[0,1,0]
	v_fma_mixlo_f16 v115, v121, v124, 0 op_sel_hi:[0,1,0]
	v_lshlrev_b32_e32 v2, 16, v12
	v_and_b32_e32 v12, 0xffff, v123
	v_and_b32_e32 v113, 0xffff, v113
	v_lshlrev_b32_e32 v125, 16, v54
	v_and_b32_e32 v127, 0xffff, v114
	v_lshlrev_b32_e32 v124, 16, v11
	v_and_b32_e32 v126, 0xffff, v115
	v_or_b32_e32 v11, v2, v12
	v_or_b32_e32 v123, v122, v113
	;; [unrolled: 1-line block ×4, first 2 shown]
	s_and_saveexec_b32 s12, s4
	s_cbranch_execz .LBB314_4133
; %bb.4132:                             ;   in Loop: Header=BB314_2086 Depth=1
	v_cndmask_b32_e32 v11, 0, v113, vcc_lo
	v_cndmask_b32_e64 v54, 0, v122, s7
	v_cndmask_b32_e64 v12, 0, v12, s5
	;; [unrolled: 1-line block ×7, first 2 shown]
	v_or_b32_e32 v123, v11, v54
	v_or_b32_e32 v11, v12, v2
	v_or_b32_e32 v121, v113, v114
	v_or_b32_e32 v54, v115, v122
.LBB314_4133:                           ;   in Loop: Header=BB314_2086 Depth=1
	s_or_b32 exec_lo, exec_lo, s12
	;;#ASMSTART
	v_pk_mul_f16 v2, v41, v123;

	;;#ASMEND
	;;#ASMSTART
	v_pk_mul_f16 v11, v40, v11;

	;;#ASMEND
	;; [unrolled: 4-line block ×4, first 2 shown]
	;;#ASMSTART
	v_pk_add_f16 v2, v2, v11;

	;;#ASMEND
	;;#ASMSTART
	v_pk_add_f16 v2, v2, v12;

	;;#ASMEND
	;; [unrolled: 4-line block ×3, first 2 shown]
	buffer_load_dword v1, off, s[0:3], s32 offset:256 ; 4-byte Folded Reload
	v_lshrrev_b32_e32 v12, 16, v2
	v_and_b32_e32 v2, 0xffff, v2
	;;#ASMSTART
	v_cvt_f32_f16 v11, v2;
	;;#ASMEND
	;;#ASMSTART
	v_cvt_f32_f16 v12, v12;
	;;#ASMEND
	v_mov_b32_e32 v122, 0
	v_mov_b32_e32 v123, 0
	s_waitcnt vmcnt(0)
	v_add_co_u32 v9, s12, v9, v1
	v_add_co_ci_u32_e64 v10, null, 0, v10, s12
	flat_load_dwordx2 v[9:10], v[9:10]
	flat_load_dword v121, v[26:27]
	s_waitcnt vmcnt(1) lgkmcnt(1)
	v_cmp_ne_u16_sdwa s12, v9, v3 src0_sel:BYTE_0 src1_sel:DWORD
	s_and_saveexec_b32 s25, s12
	s_cbranch_execz .LBB314_4141
; %bb.4134:                             ;   in Loop: Header=BB314_2086 Depth=1
	v_cmp_ne_u16_sdwa s12, v9, v55 src0_sel:BYTE_0 src1_sel:DWORD
	v_mov_b32_e32 v123, 0x8000
	s_and_saveexec_b32 s26, s12
	s_cbranch_execz .LBB314_4140
; %bb.4135:                             ;   in Loop: Header=BB314_2086 Depth=1
	v_and_b32_e32 v113, 0x7f, v9
	v_mov_b32_e32 v123, 0x7c01
	s_mov_b32 s27, exec_lo
	v_cmpx_ne_u32_e32 0x7f, v113
	s_cbranch_execz .LBB314_4139
; %bb.4136:                             ;   in Loop: Header=BB314_2086 Depth=1
	v_and_b32_e32 v2, 7, v9
	v_lshrrev_b32_e32 v54, 3, v113
	s_mov_b32 s28, exec_lo
	v_cmpx_gt_u32_e32 8, v113
; %bb.4137:                             ;   in Loop: Header=BB314_2086 Depth=1
	v_ffbh_u32_e32 v2, v2
	v_min_u32_e32 v2, 32, v2
	v_subrev_nc_u32_e32 v54, 28, v2
	v_lshlrev_b64 v[113:114], v54, v[9:10]
	v_sub_nc_u32_e32 v54, 29, v2
	v_and_b32_e32 v2, 7, v113
; %bb.4138:                             ;   in Loop: Header=BB314_2086 Depth=1
	s_or_b32 exec_lo, exec_lo, s28
	v_lshlrev_b32_e32 v113, 8, v9
	v_lshl_add_u32 v54, v54, 10, 0x2000
	v_lshlrev_b32_e32 v2, 7, v2
	v_and_b32_e32 v113, 0x8000, v113
	v_and_b32_e32 v54, 0xfc00, v54
	v_or3_b32 v123, v113, v54, v2
.LBB314_4139:                           ;   in Loop: Header=BB314_2086 Depth=1
	s_or_b32 exec_lo, exec_lo, s27
.LBB314_4140:                           ;   in Loop: Header=BB314_2086 Depth=1
	s_or_b32 exec_lo, exec_lo, s26
.LBB314_4141:                           ;   in Loop: Header=BB314_2086 Depth=1
	s_or_b32 exec_lo, exec_lo, s25
	v_lshrrev_b16 v2, 8, v9
	s_mov_b32 s25, exec_lo
	v_cmpx_ne_u16_e32 0, v2
	s_cbranch_execz .LBB314_4149
; %bb.4142:                             ;   in Loop: Header=BB314_2086 Depth=1
	v_bfrev_b32_e32 v122, 1
	s_mov_b32 s26, exec_lo
	v_cmpx_ne_u16_e32 0x80, v2
	s_cbranch_execz .LBB314_4148
; %bb.4143:                             ;   in Loop: Header=BB314_2086 Depth=1
	v_and_b32_sdwa v114, v2, v64 dst_sel:DWORD dst_unused:UNUSED_PAD src0_sel:WORD_0 src1_sel:DWORD
	v_mov_b32_e32 v122, 0x7c010000
	s_mov_b32 s27, exec_lo
	v_cmpx_ne_u32_e32 0x7f, v114
	s_cbranch_execz .LBB314_4147
; %bb.4144:                             ;   in Loop: Header=BB314_2086 Depth=1
	v_and_b32_sdwa v54, v2, v103 dst_sel:DWORD dst_unused:UNUSED_PAD src0_sel:WORD_0 src1_sel:DWORD
	v_lshrrev_b32_e32 v113, 3, v114
	s_mov_b32 s28, exec_lo
	v_cmpx_gt_u32_e32 8, v114
; %bb.4145:                             ;   in Loop: Header=BB314_2086 Depth=1
	v_ffbh_u32_e32 v54, v54
	v_min_u32_e32 v54, 32, v54
	v_subrev_nc_u32_e32 v113, 28, v54
	v_lshlrev_b64 v[114:115], v113, v[2:3]
	v_sub_nc_u32_e32 v113, 29, v54
	v_and_b32_e32 v54, 7, v114
; %bb.4146:                             ;   in Loop: Header=BB314_2086 Depth=1
	s_or_b32 exec_lo, exec_lo, s28
	v_lshlrev_b32_sdwa v2, v112, v2 dst_sel:DWORD dst_unused:UNUSED_PAD src0_sel:DWORD src1_sel:WORD_0
	v_lshl_add_u32 v113, v113, 10, 0x2000
	v_lshlrev_b32_e32 v54, 23, v54
	v_and_or_b32 v2, 0x8000, v2, v113
	v_lshl_or_b32 v122, v2, 16, v54
.LBB314_4147:                           ;   in Loop: Header=BB314_2086 Depth=1
	s_or_b32 exec_lo, exec_lo, s27
.LBB314_4148:                           ;   in Loop: Header=BB314_2086 Depth=1
	s_or_b32 exec_lo, exec_lo, s26
.LBB314_4149:                           ;   in Loop: Header=BB314_2086 Depth=1
	s_or_b32 exec_lo, exec_lo, s25
	v_lshrrev_b32_e32 v2, 16, v9
	v_mov_b32_e32 v124, 0
	v_mov_b32_e32 v125, 0
	v_cmp_ne_u16_sdwa s12, v2, v3 src0_sel:BYTE_0 src1_sel:DWORD
	s_and_saveexec_b32 s25, s12
	s_cbranch_execz .LBB314_4157
; %bb.4150:                             ;   in Loop: Header=BB314_2086 Depth=1
	v_cmp_ne_u16_sdwa s12, v2, v55 src0_sel:BYTE_0 src1_sel:DWORD
	v_mov_b32_e32 v125, 0x8000
	s_and_saveexec_b32 s26, s12
	s_cbranch_execz .LBB314_4156
; %bb.4151:                             ;   in Loop: Header=BB314_2086 Depth=1
	v_bfe_u32 v114, v9, 16, 7
	v_mov_b32_e32 v125, 0x7c01
	s_mov_b32 s27, exec_lo
	v_cmpx_ne_u32_e32 0x7f, v114
	s_cbranch_execz .LBB314_4155
; %bb.4152:                             ;   in Loop: Header=BB314_2086 Depth=1
	v_and_b32_e32 v54, 7, v2
	v_lshrrev_b32_e32 v113, 3, v114
	s_mov_b32 s28, exec_lo
	v_cmpx_gt_u32_e32 8, v114
; %bb.4153:                             ;   in Loop: Header=BB314_2086 Depth=1
	v_ffbh_u32_e32 v54, v54
	v_min_u32_e32 v54, 32, v54
	v_subrev_nc_u32_e32 v113, 28, v54
	v_lshlrev_b64 v[114:115], v113, v[2:3]
	v_sub_nc_u32_e32 v113, 29, v54
	v_and_b32_e32 v54, 7, v114
; %bb.4154:                             ;   in Loop: Header=BB314_2086 Depth=1
	s_or_b32 exec_lo, exec_lo, s28
	v_lshlrev_b32_e32 v2, 8, v2
	v_lshl_add_u32 v113, v113, 10, 0x2000
	v_lshlrev_b32_e32 v54, 7, v54
	v_and_b32_e32 v2, 0x8000, v2
	v_and_b32_e32 v113, 0xfc00, v113
	v_or3_b32 v125, v2, v113, v54
.LBB314_4155:                           ;   in Loop: Header=BB314_2086 Depth=1
	s_or_b32 exec_lo, exec_lo, s27
.LBB314_4156:                           ;   in Loop: Header=BB314_2086 Depth=1
	s_or_b32 exec_lo, exec_lo, s26
.LBB314_4157:                           ;   in Loop: Header=BB314_2086 Depth=1
	s_or_b32 exec_lo, exec_lo, s25
	s_mov_b32 s25, exec_lo
	v_cmpx_lt_u32_e32 0xffffff, v9
	s_cbranch_execz .LBB314_4165
; %bb.4158:                             ;   in Loop: Header=BB314_2086 Depth=1
	v_lshrrev_b32_e32 v2, 24, v9
	v_bfrev_b32_e32 v124, 1
	s_mov_b32 s26, exec_lo
	v_cmpx_ne_u32_e32 0x80, v2
	s_cbranch_execz .LBB314_4164
; %bb.4159:                             ;   in Loop: Header=BB314_2086 Depth=1
	v_and_b32_e32 v126, 0x7f, v2
	v_mov_b32_e32 v124, 0x7c010000
	s_mov_b32 s27, exec_lo
	v_cmpx_ne_u32_e32 0x7f, v126
	s_cbranch_execz .LBB314_4163
; %bb.4160:                             ;   in Loop: Header=BB314_2086 Depth=1
	v_and_b32_e32 v54, 7, v2
	v_lshrrev_b32_e32 v113, 3, v126
	s_mov_b32 s28, exec_lo
	v_cmpx_gt_u32_e32 8, v126
; %bb.4161:                             ;   in Loop: Header=BB314_2086 Depth=1
	v_ffbh_u32_e32 v54, v54
	v_min_u32_e32 v54, 32, v54
	v_subrev_nc_u32_e32 v113, 28, v54
	v_lshlrev_b64 v[114:115], v113, v[2:3]
	v_sub_nc_u32_e32 v113, 29, v54
	v_and_b32_e32 v54, 7, v114
; %bb.4162:                             ;   in Loop: Header=BB314_2086 Depth=1
	s_or_b32 exec_lo, exec_lo, s28
	v_lshlrev_b32_e32 v2, 8, v2
	v_lshl_add_u32 v113, v113, 10, 0x2000
	v_lshlrev_b32_e32 v54, 23, v54
	v_and_or_b32 v2, 0x8000, v2, v113
	v_lshl_or_b32 v124, v2, 16, v54
.LBB314_4163:                           ;   in Loop: Header=BB314_2086 Depth=1
	s_or_b32 exec_lo, exec_lo, s27
.LBB314_4164:                           ;   in Loop: Header=BB314_2086 Depth=1
	s_or_b32 exec_lo, exec_lo, s26
.LBB314_4165:                           ;   in Loop: Header=BB314_2086 Depth=1
	s_or_b32 exec_lo, exec_lo, s25
	v_mov_b32_e32 v2, v10
	v_cmp_ne_u16_sdwa s12, v10, v3 src0_sel:BYTE_0 src1_sel:DWORD
	v_mov_b32_e32 v126, 0
	v_mov_b32_e32 v127, 0
	s_and_saveexec_b32 s25, s12
	s_cbranch_execz .LBB314_4173
; %bb.4166:                             ;   in Loop: Header=BB314_2086 Depth=1
	v_cmp_ne_u16_sdwa s12, v10, v55 src0_sel:BYTE_0 src1_sel:DWORD
	v_mov_b32_e32 v127, 0x8000
	s_and_saveexec_b32 s26, s12
	s_cbranch_execz .LBB314_4172
; %bb.4167:                             ;   in Loop: Header=BB314_2086 Depth=1
	v_and_b32_e32 v114, 0x7f, v10
	v_mov_b32_e32 v127, 0x7c01
	s_mov_b32 s27, exec_lo
	v_cmpx_ne_u32_e32 0x7f, v114
	s_cbranch_execz .LBB314_4171
; %bb.4168:                             ;   in Loop: Header=BB314_2086 Depth=1
	v_and_b32_e32 v54, 7, v10
	v_lshrrev_b32_e32 v113, 3, v114
	s_mov_b32 s28, exec_lo
	v_cmpx_gt_u32_e32 8, v114
; %bb.4169:                             ;   in Loop: Header=BB314_2086 Depth=1
	v_ffbh_u32_e32 v54, v54
	v_min_u32_e32 v54, 32, v54
	v_subrev_nc_u32_e32 v113, 28, v54
	v_lshlrev_b64 v[114:115], v113, v[2:3]
	v_sub_nc_u32_e32 v113, 29, v54
	v_and_b32_e32 v54, 7, v114
; %bb.4170:                             ;   in Loop: Header=BB314_2086 Depth=1
	s_or_b32 exec_lo, exec_lo, s28
	v_lshlrev_b32_e32 v114, 8, v10
	v_lshl_add_u32 v113, v113, 10, 0x2000
	v_lshlrev_b32_e32 v54, 7, v54
	v_and_b32_e32 v114, 0x8000, v114
	v_and_b32_e32 v113, 0xfc00, v113
	v_or3_b32 v127, v114, v113, v54
.LBB314_4171:                           ;   in Loop: Header=BB314_2086 Depth=1
	s_or_b32 exec_lo, exec_lo, s27
.LBB314_4172:                           ;   in Loop: Header=BB314_2086 Depth=1
	s_or_b32 exec_lo, exec_lo, s26
.LBB314_4173:                           ;   in Loop: Header=BB314_2086 Depth=1
	s_or_b32 exec_lo, exec_lo, s25
	v_lshrrev_b16 v2, 8, v2
	v_mov_b32_e32 v54, 0
	s_mov_b32 s25, exec_lo
	v_cmpx_ne_u16_e32 0, v2
	s_cbranch_execz .LBB314_4181
; %bb.4174:                             ;   in Loop: Header=BB314_2086 Depth=1
	v_bfrev_b32_e32 v54, 1
	s_mov_b32 s26, exec_lo
	v_cmpx_ne_u16_e32 0x80, v2
	s_cbranch_execz .LBB314_4180
; %bb.4175:                             ;   in Loop: Header=BB314_2086 Depth=1
	v_and_b32_sdwa v114, v2, v64 dst_sel:DWORD dst_unused:UNUSED_PAD src0_sel:WORD_0 src1_sel:DWORD
	v_mov_b32_e32 v54, 0x7c010000
	s_mov_b32 s27, exec_lo
	v_cmpx_ne_u32_e32 0x7f, v114
	s_cbranch_execz .LBB314_4179
; %bb.4176:                             ;   in Loop: Header=BB314_2086 Depth=1
	v_and_b32_sdwa v54, v2, v103 dst_sel:DWORD dst_unused:UNUSED_PAD src0_sel:WORD_0 src1_sel:DWORD
	v_lshrrev_b32_e32 v113, 3, v114
	s_mov_b32 s28, exec_lo
	v_cmpx_gt_u32_e32 8, v114
; %bb.4177:                             ;   in Loop: Header=BB314_2086 Depth=1
	v_ffbh_u32_e32 v54, v54
	v_min_u32_e32 v54, 32, v54
	v_subrev_nc_u32_e32 v113, 28, v54
	v_lshlrev_b64 v[114:115], v113, v[2:3]
	v_sub_nc_u32_e32 v113, 29, v54
	v_and_b32_e32 v54, 7, v114
; %bb.4178:                             ;   in Loop: Header=BB314_2086 Depth=1
	s_or_b32 exec_lo, exec_lo, s28
	v_lshlrev_b32_sdwa v2, v112, v2 dst_sel:DWORD dst_unused:UNUSED_PAD src0_sel:DWORD src1_sel:WORD_0
	v_lshl_add_u32 v113, v113, 10, 0x2000
	v_lshlrev_b32_e32 v54, 23, v54
	v_and_or_b32 v2, 0x8000, v2, v113
	v_lshl_or_b32 v54, v2, 16, v54
.LBB314_4179:                           ;   in Loop: Header=BB314_2086 Depth=1
	s_or_b32 exec_lo, exec_lo, s27
.LBB314_4180:                           ;   in Loop: Header=BB314_2086 Depth=1
	s_or_b32 exec_lo, exec_lo, s26
.LBB314_4181:                           ;   in Loop: Header=BB314_2086 Depth=1
	s_or_b32 exec_lo, exec_lo, s25
	v_lshrrev_b32_e32 v2, 16, v10
	v_cmp_ne_u16_sdwa s12, v2, v3 src0_sel:BYTE_0 src1_sel:DWORD
	s_and_saveexec_b32 s25, s12
	s_cbranch_execz .LBB314_4189
; %bb.4182:                             ;   in Loop: Header=BB314_2086 Depth=1
	v_cmp_ne_u16_sdwa s12, v2, v55 src0_sel:BYTE_0 src1_sel:DWORD
	v_mov_b32_e32 v126, 0x8000
	s_and_saveexec_b32 s26, s12
	s_cbranch_execz .LBB314_4188
; %bb.4183:                             ;   in Loop: Header=BB314_2086 Depth=1
	v_bfe_u32 v114, v10, 16, 7
	v_mov_b32_e32 v126, 0x7c01
	s_mov_b32 s27, exec_lo
	v_cmpx_ne_u32_e32 0x7f, v114
	s_cbranch_execz .LBB314_4187
; %bb.4184:                             ;   in Loop: Header=BB314_2086 Depth=1
	v_and_b32_e32 v126, 7, v2
	v_lshrrev_b32_e32 v113, 3, v114
	s_mov_b32 s28, exec_lo
	v_cmpx_gt_u32_e32 8, v114
; %bb.4185:                             ;   in Loop: Header=BB314_2086 Depth=1
	v_ffbh_u32_e32 v113, v126
	v_min_u32_e32 v113, 32, v113
	v_subrev_nc_u32_e32 v114, 28, v113
	v_sub_nc_u32_e32 v113, 29, v113
	v_lshlrev_b64 v[114:115], v114, v[2:3]
	v_and_b32_e32 v126, 7, v114
; %bb.4186:                             ;   in Loop: Header=BB314_2086 Depth=1
	s_or_b32 exec_lo, exec_lo, s28
	v_lshlrev_b32_e32 v2, 8, v2
	v_lshl_add_u32 v113, v113, 10, 0x2000
	v_lshlrev_b32_e32 v114, 7, v126
	v_and_b32_e32 v2, 0x8000, v2
	v_and_b32_e32 v113, 0xfc00, v113
	v_or3_b32 v126, v2, v113, v114
.LBB314_4187:                           ;   in Loop: Header=BB314_2086 Depth=1
	s_or_b32 exec_lo, exec_lo, s27
.LBB314_4188:                           ;   in Loop: Header=BB314_2086 Depth=1
	s_or_b32 exec_lo, exec_lo, s26
.LBB314_4189:                           ;   in Loop: Header=BB314_2086 Depth=1
	s_or_b32 exec_lo, exec_lo, s25
	v_cmp_lt_u64_e64 s12, s[22:23], v[9:10]
	v_mov_b32_e32 v9, 0
	s_and_saveexec_b32 s25, s12
	s_cbranch_execz .LBB314_4197
; %bb.4190:                             ;   in Loop: Header=BB314_2086 Depth=1
	v_lshrrev_b32_e32 v2, 24, v10
	v_bfrev_b32_e32 v9, 1
	s_mov_b32 s26, exec_lo
	v_cmpx_ne_u32_e32 0x80, v2
	s_cbranch_execz .LBB314_4196
; %bb.4191:                             ;   in Loop: Header=BB314_2086 Depth=1
	v_and_b32_e32 v113, 0x7f, v2
	v_mov_b32_e32 v9, 0x7c010000
	s_mov_b32 s27, exec_lo
	v_cmpx_ne_u32_e32 0x7f, v113
	s_cbranch_execz .LBB314_4195
; %bb.4192:                             ;   in Loop: Header=BB314_2086 Depth=1
	v_and_b32_e32 v9, 7, v2
	v_lshrrev_b32_e32 v10, 3, v113
	s_mov_b32 s28, exec_lo
	v_cmpx_gt_u32_e32 8, v113
; %bb.4193:                             ;   in Loop: Header=BB314_2086 Depth=1
	v_ffbh_u32_e32 v9, v9
	v_min_u32_e32 v113, 32, v9
	v_subrev_nc_u32_e32 v9, 28, v113
	v_lshlrev_b64 v[9:10], v9, v[2:3]
	v_sub_nc_u32_e32 v10, 29, v113
	v_and_b32_e32 v9, 7, v9
; %bb.4194:                             ;   in Loop: Header=BB314_2086 Depth=1
	s_or_b32 exec_lo, exec_lo, s28
	v_lshlrev_b32_e32 v2, 8, v2
	v_lshl_add_u32 v10, v10, 10, 0x2000
	v_lshlrev_b32_e32 v9, 23, v9
	v_and_or_b32 v2, 0x8000, v2, v10
	v_lshl_or_b32 v9, v2, 16, v9
.LBB314_4195:                           ;   in Loop: Header=BB314_2086 Depth=1
	s_or_b32 exec_lo, exec_lo, s27
.LBB314_4196:                           ;   in Loop: Header=BB314_2086 Depth=1
	s_or_b32 exec_lo, exec_lo, s26
.LBB314_4197:                           ;   in Loop: Header=BB314_2086 Depth=1
	s_or_b32 exec_lo, exec_lo, s25
	v_or_b32_e32 v2, v124, v125
	s_waitcnt vmcnt(0) lgkmcnt(0)
	v_fma_mixlo_f16 v10, v121, v124, 0 op_sel:[0,1,0] op_sel_hi:[0,1,0]
	v_or_b32_e32 v113, v122, v123
	v_fma_mixlo_f16 v114, v121, v122, 0 op_sel:[0,1,0] op_sel_hi:[0,1,0]
	v_or_b32_e32 v115, v54, v127
	v_fma_mixlo_f16 v2, v121, v2, 0 op_sel_hi:[0,1,0]
	v_or_b32_e32 v125, v9, v126
	v_lshlrev_b32_e32 v122, 16, v10
	v_lshlrev_b32_e32 v124, 16, v114
	v_fma_mixlo_f16 v10, v121, v113, 0 op_sel_hi:[0,1,0]
	v_and_b32_e32 v123, 0xffff, v2
	v_fma_mixlo_f16 v2, v121, v54, 0 op_sel:[0,1,0] op_sel_hi:[0,1,0]
	v_fma_mixlo_f16 v54, v121, v115, 0 op_sel_hi:[0,1,0]
	v_fma_mixlo_f16 v9, v121, v9, 0 op_sel:[0,1,0] op_sel_hi:[0,1,0]
	v_fma_mixlo_f16 v114, v121, v125, 0 op_sel_hi:[0,1,0]
	v_and_b32_e32 v113, 0xffff, v10
	v_lshlrev_b32_e32 v125, 16, v2
	v_and_b32_e32 v127, 0xffff, v54
	v_lshlrev_b32_e32 v121, 16, v9
	v_and_b32_e32 v126, 0xffff, v114
	v_or_b32_e32 v10, v122, v123
	v_or_b32_e32 v54, v124, v113
	;; [unrolled: 1-line block ×4, first 2 shown]
	s_and_saveexec_b32 s12, s4
	s_cbranch_execz .LBB314_2084
; %bb.4198:                             ;   in Loop: Header=BB314_2086 Depth=1
	v_cndmask_b32_e32 v2, 0, v113, vcc_lo
	v_cndmask_b32_e64 v9, 0, v124, s7
	v_cndmask_b32_e64 v10, 0, v123, s5
	;; [unrolled: 1-line block ×7, first 2 shown]
	v_or_b32_e32 v54, v2, v9
	v_or_b32_e32 v10, v10, v113
	;; [unrolled: 1-line block ×4, first 2 shown]
	s_branch .LBB314_2084
.LBB314_4199:
	s_or_b32 exec_lo, exec_lo, s17
.LBB314_4200:
	s_or_b32 exec_lo, exec_lo, s15
	ds_bpermute_b32 v9, v21, v99
	ds_bpermute_b32 v10, v21, v85
	;; [unrolled: 1-line block ×16, first 2 shown]
	s_waitcnt lgkmcnt(0)
	s_waitcnt_vscnt null, 0x0
	s_barrier
	buffer_gl0_inv
	s_load_dword s4, s[20:21], 0x0
	v_add_f32_e32 v9, v99, v9
	v_add_f32_e32 v19, v85, v10
	v_add_f32_e32 v0, v102, v0
	v_add_f32_e32 v1, v101, v1
	v_add_f32_e32 v17, v23, v7
	v_add_f32_e32 v18, v87, v8
	v_add_f32_e32 v37, v81, v14
	ds_bpermute_b32 v14, v20, v9
	ds_bpermute_b32 v39, v20, v19
	v_add_f32_e32 v6, v4, v6
	ds_bpermute_b32 v4, v20, v0
	ds_bpermute_b32 v8, v20, v1
	;; [unrolled: 1-line block ×5, first 2 shown]
	v_add_f32_e32 v2, v100, v2
	v_add_f32_e32 v3, v96, v3
	;; [unrolled: 1-line block ×7, first 2 shown]
	ds_bpermute_b32 v10, v20, v2
	ds_bpermute_b32 v13, v20, v3
	;; [unrolled: 1-line block ×5, first 2 shown]
	s_waitcnt lgkmcnt(0)
	v_add_f32_e32 v15, v9, v14
	v_add_f32_e32 v14, v19, v39
	ds_bpermute_b32 v39, v21, v32
	ds_bpermute_b32 v49, v20, v12
	v_add_f32_e32 v7, v0, v4
	v_add_f32_e32 v4, v1, v8
	ds_bpermute_b32 v50, v21, v70
	ds_bpermute_b32 v51, v20, v22
	;; [unrolled: 1-line block ×3, first 2 shown]
	v_add_f32_e32 v1, v17, v27
	v_add_f32_e32 v0, v18, v30
	ds_bpermute_b32 v17, v21, v69
	ds_bpermute_b32 v27, v21, v65
	;; [unrolled: 1-line block ×3, first 2 shown]
	v_add_f32_e32 v9, v37, v52
	ds_bpermute_b32 v37, v21, v34
	v_add_f32_e32 v10, v2, v10
	v_add_f32_e32 v8, v3, v13
	;; [unrolled: 1-line block ×4, first 2 shown]
	ds_bpermute_b32 v18, v21, v68
	ds_bpermute_b32 v23, v21, v57
	s_waitcnt lgkmcnt(10)
	v_add_f32_e32 v32, v32, v39
	ds_bpermute_b32 v26, v21, v89
	v_add_f32_e32 v13, v11, v48
	s_waitcnt lgkmcnt(10)
	v_add_f32_e32 v12, v12, v49
	s_waitcnt lgkmcnt(9)
	;; [unrolled: 2-line block ×4, first 2 shown]
	v_add_f32_e32 v6, v38, v53
	ds_bpermute_b32 v22, v21, v36
	ds_bpermute_b32 v38, v21, v33
	s_waitcnt lgkmcnt(8)
	v_add_f32_e32 v17, v69, v17
	s_waitcnt lgkmcnt(7)
	v_add_f32_e32 v48, v65, v27
	ds_bpermute_b32 v27, v21, v31
	ds_bpermute_b32 v49, v21, v29
	;; [unrolled: 1-line block ×5, first 2 shown]
	s_waitcnt lgkmcnt(11)
	v_add_f32_e32 v35, v35, v30
	ds_bpermute_b32 v65, v20, v32
	ds_bpermute_b32 v52, v20, v17
	s_waitcnt lgkmcnt(12)
	v_add_f32_e32 v34, v34, v37
	v_add_f32_e32 v16, v71, v16
	ds_bpermute_b32 v37, v20, v35
	s_waitcnt lgkmcnt(12)
	v_add_f32_e32 v18, v68, v18
	s_waitcnt lgkmcnt(11)
	v_add_f32_e32 v23, v57, v23
	;; [unrolled: 2-line block ×3, first 2 shown]
	ds_bpermute_b32 v54, v20, v16
	ds_bpermute_b32 v64, v20, v48
	s_waitcnt lgkmcnt(11)
	v_add_f32_e32 v22, v36, v22
	s_waitcnt lgkmcnt(10)
	v_add_f32_e32 v33, v33, v38
	ds_bpermute_b32 v53, v20, v18
	ds_bpermute_b32 v55, v20, v26
	s_waitcnt lgkmcnt(11)
	v_add_f32_e32 v66, v31, v27
	ds_bpermute_b32 v36, v20, v22
	ds_bpermute_b32 v39, v20, v33
	s_waitcnt lgkmcnt(12)
	v_add_f32_e32 v49, v29, v49
	s_waitcnt lgkmcnt(9)
	v_add_f32_e32 v67, v24, v21
	v_add_f32_e32 v50, v28, v50
	s_waitcnt lgkmcnt(8)
	v_add_f32_e32 v21, v32, v65
	buffer_load_dword v32, off, s[0:3], s32 offset:1264 ; 4-byte Folded Reload
	s_waitcnt lgkmcnt(7)
	v_add_f32_e32 v30, v17, v52
	buffer_load_dword v17, off, s[0:3], s32 offset:1284 ; 4-byte Folded Reload
	;; [unrolled: 3-line block ×3, first 2 shown]
	v_add_f32_e32 v51, v25, v51
	ds_bpermute_b32 v38, v20, v34
	s_waitcnt lgkmcnt(6)
	v_add_f32_e32 v3, v16, v54
	ds_bpermute_b32 v16, v20, v19
	ds_bpermute_b32 v54, v20, v23
	;; [unrolled: 1-line block ×7, first 2 shown]
	s_waitcnt lgkmcnt(9)
	v_add_f32_e32 v25, v22, v36
	s_waitcnt lgkmcnt(8)
	v_add_f32_e32 v22, v33, v39
	v_add_f32_e32 v29, v18, v53
	;; [unrolled: 1-line block ×4, first 2 shown]
	s_mov_b32 s5, exec_lo
	s_waitcnt lgkmcnt(6)
	v_add_f32_e32 v31, v19, v16
	s_waitcnt lgkmcnt(5)
	v_add_f32_e32 v28, v23, v54
	v_add_f32_e32 v23, v34, v38
	s_waitcnt lgkmcnt(4)
	v_add_f32_e32 v20, v66, v68
	s_waitcnt lgkmcnt(3)
	;; [unrolled: 2-line block ×4, first 2 shown]
	v_add_f32_e32 v16, v51, v71
	s_waitcnt vmcnt(2)
	v_and_b32_e32 v33, 28, v32
	v_lshrrev_b32_e32 v32, 2, v32
	s_waitcnt vmcnt(1)
	v_and_b32_e32 v34, 0x3c3, v17
	s_waitcnt lgkmcnt(0)
	v_add_f32_e32 v17, v67, v80
	s_waitcnt vmcnt(0)
	v_lshlrev_b32_e32 v35, 10, v35
	v_add_nc_u32_e32 v33, s4, v33
	v_cmpx_eq_u32_e32 64, v34
	s_cbranch_execz .LBB314_4202
; %bb.4201:
	v_add_nc_u32_e32 v36, v33, v35
	v_add_nc_u32_e32 v37, 0xfffff800, v36
	;; [unrolled: 1-line block ×8, first 2 shown]
	ds_write_b32 v37, v7
	ds_write_b32 v38, v4
	;; [unrolled: 1-line block ×7, first 2 shown]
	v_add_nc_u32_e32 v37, 0xfffff8e0, v36
	v_add_nc_u32_e32 v38, 0xfffff900, v36
	v_add_nc_u32_e32 v39, 0xfffff920, v36
	v_add_nc_u32_e32 v48, 0xfffff940, v36
	v_add_nc_u32_e32 v49, 0xfffff960, v36
	ds_write_b32 v37, v0
	ds_write_b32 v38, v15
	ds_write_b32 v39, v14
	ds_write_b32 v48, v13
	ds_write_b32 v49, v12
	v_add_nc_u32_e32 v37, 0xfffff980, v36
	v_add_nc_u32_e32 v38, 0xfffff9a0, v36
	v_add_nc_u32_e32 v39, 0xfffff9c0, v36
	v_add_nc_u32_e32 v48, 0xfffff9e0, v36
	v_add_nc_u32_e32 v49, 0xfffffa00, v36
	ds_write_b32 v37, v11
	ds_write_b32 v38, v9
	ds_write_b32 v39, v6
	ds_write_b32 v48, v3
	ds_write_b32 v49, v31
	;; [unrolled: 10-line block ×5, first 2 shown]
.LBB314_4202:
	s_or_b32 exec_lo, exec_lo, s5
	v_lshlrev_b32_e32 v32, 2, v32
	s_waitcnt lgkmcnt(0)
	s_barrier
	buffer_gl0_inv
	v_add3_u32 v32, s4, v35, v32
	s_mov_b32 s4, exec_lo
	v_cmpx_eq_u32_e32 0, v34
	s_cbranch_execz .LBB314_4204
; %bb.4203:
	ds_read2_b32 v[34:35], v32 offset1:8
	ds_read2_b32 v[36:37], v32 offset0:16 offset1:24
	ds_read2_b32 v[38:39], v32 offset0:32 offset1:40
	;; [unrolled: 1-line block ×12, first 2 shown]
	s_waitcnt lgkmcnt(12)
	v_add_f32_e32 v7, v34, v7
	v_add_f32_e32 v4, v35, v4
	s_waitcnt lgkmcnt(11)
	v_add_f32_e32 v10, v36, v10
	v_add_f32_e32 v8, v37, v8
	;; [unrolled: 3-line block ×3, first 2 shown]
	ds_read2_b32 v[34:35], v32 offset0:208 offset1:216
	ds_read2_b32 v[36:37], v32 offset0:224 offset1:232
	;; [unrolled: 1-line block ×3, first 2 shown]
	s_waitcnt lgkmcnt(12)
	v_add_f32_e32 v1, v48, v1
	v_add_f32_e32 v0, v49, v0
	s_waitcnt lgkmcnt(11)
	v_add_f32_e32 v15, v50, v15
	v_add_f32_e32 v14, v51, v14
	;; [unrolled: 3-line block ×13, first 2 shown]
.LBB314_4204:
	s_or_b32 exec_lo, exec_lo, s4
	buffer_load_dword v34, off, s[0:3], s32 offset:1284 ; 4-byte Folded Reload
	s_mov_b32 s4, exec_lo
	s_waitcnt vmcnt(0)
	s_barrier
	buffer_gl0_inv
	v_and_b32_e32 v34, 0x3e3, v34
	v_cmpx_eq_u32_e32 32, v34
	s_cbranch_execz .LBB314_4206
; %bb.4205:
	ds_write2_b32 v33, v7, v4 offset1:8
	ds_write2_b32 v33, v10, v8 offset0:16 offset1:24
	ds_write2_b32 v33, v5, v2 offset0:32 offset1:40
	;; [unrolled: 1-line block ×15, first 2 shown]
.LBB314_4206:
	s_or_b32 exec_lo, exec_lo, s4
	v_cmp_eq_u32_e32 vcc_lo, 0, v34
	s_waitcnt lgkmcnt(0)
	s_barrier
	buffer_gl0_inv
	s_and_saveexec_b32 s4, vcc_lo
	s_cbranch_execz .LBB314_4208
; %bb.4207:
	ds_read2_b32 v[33:34], v32 offset1:8
	ds_read2_b32 v[35:36], v32 offset0:16 offset1:24
	ds_read2_b32 v[37:38], v32 offset0:32 offset1:40
	;; [unrolled: 1-line block ×12, first 2 shown]
	s_waitcnt lgkmcnt(12)
	v_add_f32_e32 v7, v33, v7
	v_add_f32_e32 v4, v34, v4
	s_waitcnt lgkmcnt(11)
	v_add_f32_e32 v10, v35, v10
	v_add_f32_e32 v8, v36, v8
	;; [unrolled: 3-line block ×3, first 2 shown]
	ds_read2_b32 v[33:34], v32 offset0:208 offset1:216
	ds_read2_b32 v[35:36], v32 offset0:224 offset1:232
	;; [unrolled: 1-line block ×3, first 2 shown]
	s_waitcnt lgkmcnt(12)
	v_add_f32_e32 v1, v48, v1
	v_add_f32_e32 v0, v49, v0
	s_waitcnt lgkmcnt(11)
	v_add_f32_e32 v15, v50, v15
	v_add_f32_e32 v14, v51, v14
	;; [unrolled: 3-line block ×13, first 2 shown]
.LBB314_4208:
	s_or_b32 exec_lo, exec_lo, s4
	s_barrier
	buffer_gl0_inv
	s_and_b32 exec_lo, exec_lo, vcc_lo
	s_cbranch_execz .LBB314_4210
; %bb.4209:
	s_clause 0x2
	buffer_load_dword v32, off, s[0:3], s32 offset:1308
	buffer_load_dword v33, off, s[0:3], s32 offset:1304
	;; [unrolled: 1-line block ×3, first 2 shown]
	s_lshl_b32 s4, s18, 8
	s_mul_i32 s6, s16, s13
	s_ashr_i32 s5, s4, 31
	s_ashr_i32 s7, s6, 31
	s_lshl_b64 s[4:5], s[4:5], 1
	s_lshl_b64 s[6:7], s[6:7], 1
	;;#ASMSTART
	v_cvt_f16_f32 v7, v7;

	;;#ASMEND
	s_waitcnt vmcnt(2)
	v_add_co_u32 v32, vcc_lo, v32, s4
	s_waitcnt vmcnt(1)
	v_add_co_ci_u32_e64 v33, null, s5, v33, vcc_lo
	s_lshl_b32 s4, s14, 8
	v_add_co_u32 v32, vcc_lo, v32, s6
	s_ashr_i32 s5, s4, 31
	v_add_co_ci_u32_e64 v33, null, s7, v33, vcc_lo
	s_lshl_b64 s[4:5], s[4:5], 1
	s_waitcnt vmcnt(0)
	v_lshrrev_b32_e32 v34, 1, v34
	v_add_co_u32 v32, vcc_lo, v32, s4
	v_add_co_ci_u32_e64 v33, null, s5, v33, vcc_lo
	v_add_co_u32 v32, vcc_lo, v32, v34
	v_add_co_ci_u32_e64 v33, null, 0, v33, vcc_lo
	flat_store_short v[32:33], v7
	;;#ASMSTART
	v_cvt_f16_f32 v4, v4;

	;;#ASMEND
	flat_store_short v[32:33], v4 offset:16
	;;#ASMSTART
	v_cvt_f16_f32 v4, v10;

	;;#ASMEND
	flat_store_short v[32:33], v4 offset:32
	;; [unrolled: 5-line block ×31, first 2 shown]
.LBB314_4210:
	s_or_b32 exec_lo, exec_lo, s24
	s_clause 0x2f
	buffer_load_dword v127, off, s[0:3], s32 offset:8
	buffer_load_dword v126, off, s[0:3], s32 offset:12
	;; [unrolled: 1-line block ×48, first 2 shown]
	s_waitcnt vmcnt(0) lgkmcnt(0)
	s_setpc_b64 s[30:31]
.Lfunc_end314:
	.size	_ZN4vllm22paged_attention_kernelIthLi256ELi32ELi128ELNS_18Fp8KVCacheDataTypeE1ELb1ELi512EEEvPfS2_PT_PKS3_PKT0_S9_ifPKiSB_iPKfiiiSD_SD_iiiii, .Lfunc_end314-_ZN4vllm22paged_attention_kernelIthLi256ELi32ELi128ELNS_18Fp8KVCacheDataTypeE1ELb1ELi512EEEvPfS2_PT_PKS3_PKT0_S9_ifPKiSB_iPKfiiiSD_SD_iiiii
                                        ; -- End function
	.set .L_ZN4vllm22paged_attention_kernelIthLi256ELi32ELi128ELNS_18Fp8KVCacheDataTypeE1ELb1ELi512EEEvPfS2_PT_PKS3_PKT0_S9_ifPKiSB_iPKfiiiSD_SD_iiiii.num_vgpr, 128
	.set .L_ZN4vllm22paged_attention_kernelIthLi256ELi32ELi128ELNS_18Fp8KVCacheDataTypeE1ELb1ELi512EEEvPfS2_PT_PKS3_PKT0_S9_ifPKiSB_iPKfiiiSD_SD_iiiii.num_agpr, 0
	.set .L_ZN4vllm22paged_attention_kernelIthLi256ELi32ELi128ELNS_18Fp8KVCacheDataTypeE1ELb1ELi512EEEvPfS2_PT_PKS3_PKT0_S9_ifPKiSB_iPKfiiiSD_SD_iiiii.numbered_sgpr, 33
	.set .L_ZN4vllm22paged_attention_kernelIthLi256ELi32ELi128ELNS_18Fp8KVCacheDataTypeE1ELb1ELi512EEEvPfS2_PT_PKS3_PKT0_S9_ifPKiSB_iPKfiiiSD_SD_iiiii.num_named_barrier, 0
	.set .L_ZN4vllm22paged_attention_kernelIthLi256ELi32ELi128ELNS_18Fp8KVCacheDataTypeE1ELb1ELi512EEEvPfS2_PT_PKS3_PKT0_S9_ifPKiSB_iPKfiiiSD_SD_iiiii.private_seg_size, 1384
	.set .L_ZN4vllm22paged_attention_kernelIthLi256ELi32ELi128ELNS_18Fp8KVCacheDataTypeE1ELb1ELi512EEEvPfS2_PT_PKS3_PKT0_S9_ifPKiSB_iPKfiiiSD_SD_iiiii.uses_vcc, 1
	.set .L_ZN4vllm22paged_attention_kernelIthLi256ELi32ELi128ELNS_18Fp8KVCacheDataTypeE1ELb1ELi512EEEvPfS2_PT_PKS3_PKT0_S9_ifPKiSB_iPKfiiiSD_SD_iiiii.uses_flat_scratch, 0
	.set .L_ZN4vllm22paged_attention_kernelIthLi256ELi32ELi128ELNS_18Fp8KVCacheDataTypeE1ELb1ELi512EEEvPfS2_PT_PKS3_PKT0_S9_ifPKiSB_iPKfiiiSD_SD_iiiii.has_dyn_sized_stack, 0
	.set .L_ZN4vllm22paged_attention_kernelIthLi256ELi32ELi128ELNS_18Fp8KVCacheDataTypeE1ELb1ELi512EEEvPfS2_PT_PKS3_PKT0_S9_ifPKiSB_iPKfiiiSD_SD_iiiii.has_recursion, 0
	.set .L_ZN4vllm22paged_attention_kernelIthLi256ELi32ELi128ELNS_18Fp8KVCacheDataTypeE1ELb1ELi512EEEvPfS2_PT_PKS3_PKT0_S9_ifPKiSB_iPKfiiiSD_SD_iiiii.has_indirect_call, 0
	.section	.AMDGPU.csdata,"",@progbits
; Function info:
; codeLenInByte = 145596
; TotalNumSgprs: 35
; NumVgprs: 128
; ScratchSize: 1384
; MemoryBound: 0
	.section	.text._ZN4vllm25paged_attention_v2_kernelIthLi256ELi32ELi128ELNS_18Fp8KVCacheDataTypeE1ELb1ELi512EEEvPfS2_PT_PKS3_PKT0_S9_ifPKiSB_iPKfiiiSD_SD_iiiii,"axG",@progbits,_ZN4vllm25paged_attention_v2_kernelIthLi256ELi32ELi128ELNS_18Fp8KVCacheDataTypeE1ELb1ELi512EEEvPfS2_PT_PKS3_PKT0_S9_ifPKiSB_iPKfiiiSD_SD_iiiii,comdat
	.protected	_ZN4vllm25paged_attention_v2_kernelIthLi256ELi32ELi128ELNS_18Fp8KVCacheDataTypeE1ELb1ELi512EEEvPfS2_PT_PKS3_PKT0_S9_ifPKiSB_iPKfiiiSD_SD_iiiii ; -- Begin function _ZN4vllm25paged_attention_v2_kernelIthLi256ELi32ELi128ELNS_18Fp8KVCacheDataTypeE1ELb1ELi512EEEvPfS2_PT_PKS3_PKT0_S9_ifPKiSB_iPKfiiiSD_SD_iiiii
	.globl	_ZN4vllm25paged_attention_v2_kernelIthLi256ELi32ELi128ELNS_18Fp8KVCacheDataTypeE1ELb1ELi512EEEvPfS2_PT_PKS3_PKT0_S9_ifPKiSB_iPKfiiiSD_SD_iiiii
	.p2align	8
	.type	_ZN4vllm25paged_attention_v2_kernelIthLi256ELi32ELi128ELNS_18Fp8KVCacheDataTypeE1ELb1ELi512EEEvPfS2_PT_PKS3_PKT0_S9_ifPKiSB_iPKfiiiSD_SD_iiiii,@function
_ZN4vllm25paged_attention_v2_kernelIthLi256ELi32ELi128ELNS_18Fp8KVCacheDataTypeE1ELb1ELi512EEEvPfS2_PT_PKS3_PKT0_S9_ifPKiSB_iPKfiiiSD_SD_iiiii: ; @_ZN4vllm25paged_attention_v2_kernelIthLi256ELi32ELi128ELNS_18Fp8KVCacheDataTypeE1ELb1ELi512EEEvPfS2_PT_PKS3_PKT0_S9_ifPKiSB_iPKfiiiSD_SD_iiiii
; %bb.0:
	s_mov_b32 s14, s8
	s_clause 0x7
	s_load_dwordx4 s[36:39], s[4:5], 0x78
	s_load_dword s8, s[4:5], 0x88
	s_load_dwordx8 s[40:47], s[4:5], 0x0
	s_load_dwordx8 s[24:31], s[4:5], 0x20
	s_load_dwordx2 s[10:11], s[4:5], 0x40
	s_load_dwordx2 s[34:35], s[4:5], 0x50
	s_load_dword s13, s[4:5], 0x48
	s_load_dwordx8 s[16:23], s[4:5], 0x58
	s_add_u32 s0, s0, s9
	s_mov_b32 s32, 0
	s_addc_u32 s1, s1, 0
	v_mov_b32_e32 v31, v0
	s_mov_b32 s12, s6
	s_mov_b32 s15, 47
	s_waitcnt lgkmcnt(0)
	v_mov_b32_e32 v1, s39
	v_mov_b32_e32 v2, s8
	;; [unrolled: 1-line block ×4, first 2 shown]
	buffer_store_dword v1, off, s[0:3], s32
	buffer_store_dword v2, off, s[0:3], s32 offset:4
	v_mov_b32_e32 v1, s41
	v_mov_b32_e32 v2, s42
	;; [unrolled: 1-line block ×29, first 2 shown]
	s_add_u32 s8, s4, 0x90
	s_addc_u32 s9, s5, 0
	s_getpc_b64 s[4:5]
	s_add_u32 s4, s4, _ZN4vllm22paged_attention_kernelIthLi256ELi32ELi128ELNS_18Fp8KVCacheDataTypeE1ELb1ELi512EEEvPfS2_PT_PKS3_PKT0_S9_ifPKiSB_iPKfiiiSD_SD_iiiii@rel32@lo+4
	s_addc_u32 s5, s5, _ZN4vllm22paged_attention_kernelIthLi256ELi32ELi128ELNS_18Fp8KVCacheDataTypeE1ELb1ELi512EEEvPfS2_PT_PKS3_PKT0_S9_ifPKiSB_iPKfiiiSD_SD_iiiii@rel32@hi+12
	s_mov_b32 s13, s7
	s_swappc_b64 s[30:31], s[4:5]
	s_endpgm
	.section	.rodata,"a",@progbits
	.p2align	6, 0x0
	.amdhsa_kernel _ZN4vllm25paged_attention_v2_kernelIthLi256ELi32ELi128ELNS_18Fp8KVCacheDataTypeE1ELb1ELi512EEEvPfS2_PT_PKS3_PKT0_S9_ifPKiSB_iPKfiiiSD_SD_iiiii
		.amdhsa_group_segment_fixed_size 544
		.amdhsa_private_segment_fixed_size 1384
		.amdhsa_kernarg_size 400
		.amdhsa_user_sgpr_count 6
		.amdhsa_user_sgpr_private_segment_buffer 1
		.amdhsa_user_sgpr_dispatch_ptr 0
		.amdhsa_user_sgpr_queue_ptr 0
		.amdhsa_user_sgpr_kernarg_segment_ptr 1
		.amdhsa_user_sgpr_dispatch_id 0
		.amdhsa_user_sgpr_flat_scratch_init 0
		.amdhsa_user_sgpr_private_segment_size 0
		.amdhsa_wavefront_size32 1
		.amdhsa_uses_dynamic_stack 0
		.amdhsa_system_sgpr_private_segment_wavefront_offset 1
		.amdhsa_system_sgpr_workgroup_id_x 1
		.amdhsa_system_sgpr_workgroup_id_y 1
		.amdhsa_system_sgpr_workgroup_id_z 1
		.amdhsa_system_sgpr_workgroup_info 0
		.amdhsa_system_vgpr_workitem_id 0
		.amdhsa_next_free_vgpr 128
		.amdhsa_next_free_sgpr 48
		.amdhsa_reserve_vcc 1
		.amdhsa_reserve_flat_scratch 0
		.amdhsa_float_round_mode_32 0
		.amdhsa_float_round_mode_16_64 0
		.amdhsa_float_denorm_mode_32 3
		.amdhsa_float_denorm_mode_16_64 3
		.amdhsa_dx10_clamp 1
		.amdhsa_ieee_mode 1
		.amdhsa_fp16_overflow 0
		.amdhsa_workgroup_processor_mode 1
		.amdhsa_memory_ordered 1
		.amdhsa_forward_progress 1
		.amdhsa_shared_vgpr_count 0
		.amdhsa_exception_fp_ieee_invalid_op 0
		.amdhsa_exception_fp_denorm_src 0
		.amdhsa_exception_fp_ieee_div_zero 0
		.amdhsa_exception_fp_ieee_overflow 0
		.amdhsa_exception_fp_ieee_underflow 0
		.amdhsa_exception_fp_ieee_inexact 0
		.amdhsa_exception_int_div_zero 0
	.end_amdhsa_kernel
	.section	.text._ZN4vllm25paged_attention_v2_kernelIthLi256ELi32ELi128ELNS_18Fp8KVCacheDataTypeE1ELb1ELi512EEEvPfS2_PT_PKS3_PKT0_S9_ifPKiSB_iPKfiiiSD_SD_iiiii,"axG",@progbits,_ZN4vllm25paged_attention_v2_kernelIthLi256ELi32ELi128ELNS_18Fp8KVCacheDataTypeE1ELb1ELi512EEEvPfS2_PT_PKS3_PKT0_S9_ifPKiSB_iPKfiiiSD_SD_iiiii,comdat
.Lfunc_end315:
	.size	_ZN4vllm25paged_attention_v2_kernelIthLi256ELi32ELi128ELNS_18Fp8KVCacheDataTypeE1ELb1ELi512EEEvPfS2_PT_PKS3_PKT0_S9_ifPKiSB_iPKfiiiSD_SD_iiiii, .Lfunc_end315-_ZN4vllm25paged_attention_v2_kernelIthLi256ELi32ELi128ELNS_18Fp8KVCacheDataTypeE1ELb1ELi512EEEvPfS2_PT_PKS3_PKT0_S9_ifPKiSB_iPKfiiiSD_SD_iiiii
                                        ; -- End function
	.set _ZN4vllm25paged_attention_v2_kernelIthLi256ELi32ELi128ELNS_18Fp8KVCacheDataTypeE1ELb1ELi512EEEvPfS2_PT_PKS3_PKT0_S9_ifPKiSB_iPKfiiiSD_SD_iiiii.num_vgpr, max(32, .L_ZN4vllm22paged_attention_kernelIthLi256ELi32ELi128ELNS_18Fp8KVCacheDataTypeE1ELb1ELi512EEEvPfS2_PT_PKS3_PKT0_S9_ifPKiSB_iPKfiiiSD_SD_iiiii.num_vgpr)
	.set _ZN4vllm25paged_attention_v2_kernelIthLi256ELi32ELi128ELNS_18Fp8KVCacheDataTypeE1ELb1ELi512EEEvPfS2_PT_PKS3_PKT0_S9_ifPKiSB_iPKfiiiSD_SD_iiiii.num_agpr, max(0, .L_ZN4vllm22paged_attention_kernelIthLi256ELi32ELi128ELNS_18Fp8KVCacheDataTypeE1ELb1ELi512EEEvPfS2_PT_PKS3_PKT0_S9_ifPKiSB_iPKfiiiSD_SD_iiiii.num_agpr)
	.set _ZN4vllm25paged_attention_v2_kernelIthLi256ELi32ELi128ELNS_18Fp8KVCacheDataTypeE1ELb1ELi512EEEvPfS2_PT_PKS3_PKT0_S9_ifPKiSB_iPKfiiiSD_SD_iiiii.numbered_sgpr, max(48, .L_ZN4vllm22paged_attention_kernelIthLi256ELi32ELi128ELNS_18Fp8KVCacheDataTypeE1ELb1ELi512EEEvPfS2_PT_PKS3_PKT0_S9_ifPKiSB_iPKfiiiSD_SD_iiiii.numbered_sgpr)
	.set _ZN4vllm25paged_attention_v2_kernelIthLi256ELi32ELi128ELNS_18Fp8KVCacheDataTypeE1ELb1ELi512EEEvPfS2_PT_PKS3_PKT0_S9_ifPKiSB_iPKfiiiSD_SD_iiiii.num_named_barrier, max(0, .L_ZN4vllm22paged_attention_kernelIthLi256ELi32ELi128ELNS_18Fp8KVCacheDataTypeE1ELb1ELi512EEEvPfS2_PT_PKS3_PKT0_S9_ifPKiSB_iPKfiiiSD_SD_iiiii.num_named_barrier)
	.set _ZN4vllm25paged_attention_v2_kernelIthLi256ELi32ELi128ELNS_18Fp8KVCacheDataTypeE1ELb1ELi512EEEvPfS2_PT_PKS3_PKT0_S9_ifPKiSB_iPKfiiiSD_SD_iiiii.private_seg_size, 0+max(.L_ZN4vllm22paged_attention_kernelIthLi256ELi32ELi128ELNS_18Fp8KVCacheDataTypeE1ELb1ELi512EEEvPfS2_PT_PKS3_PKT0_S9_ifPKiSB_iPKfiiiSD_SD_iiiii.private_seg_size)
	.set _ZN4vllm25paged_attention_v2_kernelIthLi256ELi32ELi128ELNS_18Fp8KVCacheDataTypeE1ELb1ELi512EEEvPfS2_PT_PKS3_PKT0_S9_ifPKiSB_iPKfiiiSD_SD_iiiii.uses_vcc, or(1, .L_ZN4vllm22paged_attention_kernelIthLi256ELi32ELi128ELNS_18Fp8KVCacheDataTypeE1ELb1ELi512EEEvPfS2_PT_PKS3_PKT0_S9_ifPKiSB_iPKfiiiSD_SD_iiiii.uses_vcc)
	.set _ZN4vllm25paged_attention_v2_kernelIthLi256ELi32ELi128ELNS_18Fp8KVCacheDataTypeE1ELb1ELi512EEEvPfS2_PT_PKS3_PKT0_S9_ifPKiSB_iPKfiiiSD_SD_iiiii.uses_flat_scratch, or(0, .L_ZN4vllm22paged_attention_kernelIthLi256ELi32ELi128ELNS_18Fp8KVCacheDataTypeE1ELb1ELi512EEEvPfS2_PT_PKS3_PKT0_S9_ifPKiSB_iPKfiiiSD_SD_iiiii.uses_flat_scratch)
	.set _ZN4vllm25paged_attention_v2_kernelIthLi256ELi32ELi128ELNS_18Fp8KVCacheDataTypeE1ELb1ELi512EEEvPfS2_PT_PKS3_PKT0_S9_ifPKiSB_iPKfiiiSD_SD_iiiii.has_dyn_sized_stack, or(0, .L_ZN4vllm22paged_attention_kernelIthLi256ELi32ELi128ELNS_18Fp8KVCacheDataTypeE1ELb1ELi512EEEvPfS2_PT_PKS3_PKT0_S9_ifPKiSB_iPKfiiiSD_SD_iiiii.has_dyn_sized_stack)
	.set _ZN4vllm25paged_attention_v2_kernelIthLi256ELi32ELi128ELNS_18Fp8KVCacheDataTypeE1ELb1ELi512EEEvPfS2_PT_PKS3_PKT0_S9_ifPKiSB_iPKfiiiSD_SD_iiiii.has_recursion, or(0, .L_ZN4vllm22paged_attention_kernelIthLi256ELi32ELi128ELNS_18Fp8KVCacheDataTypeE1ELb1ELi512EEEvPfS2_PT_PKS3_PKT0_S9_ifPKiSB_iPKfiiiSD_SD_iiiii.has_recursion)
	.set _ZN4vllm25paged_attention_v2_kernelIthLi256ELi32ELi128ELNS_18Fp8KVCacheDataTypeE1ELb1ELi512EEEvPfS2_PT_PKS3_PKT0_S9_ifPKiSB_iPKfiiiSD_SD_iiiii.has_indirect_call, or(0, .L_ZN4vllm22paged_attention_kernelIthLi256ELi32ELi128ELNS_18Fp8KVCacheDataTypeE1ELb1ELi512EEEvPfS2_PT_PKS3_PKT0_S9_ifPKiSB_iPKfiiiSD_SD_iiiii.has_indirect_call)
	.section	.AMDGPU.csdata,"",@progbits
; Kernel info:
; codeLenInByte = 292
; TotalNumSgprs: 50
; NumVgprs: 128
; ScratchSize: 1384
; MemoryBound: 0
; FloatMode: 240
; IeeeMode: 1
; LDSByteSize: 544 bytes/workgroup (compile time only)
; SGPRBlocks: 0
; VGPRBlocks: 15
; NumSGPRsForWavesPerEU: 50
; NumVGPRsForWavesPerEU: 128
; Occupancy: 8
; WaveLimiterHint : 1
; COMPUTE_PGM_RSRC2:SCRATCH_EN: 1
; COMPUTE_PGM_RSRC2:USER_SGPR: 6
; COMPUTE_PGM_RSRC2:TRAP_HANDLER: 0
; COMPUTE_PGM_RSRC2:TGID_X_EN: 1
; COMPUTE_PGM_RSRC2:TGID_Y_EN: 1
; COMPUTE_PGM_RSRC2:TGID_Z_EN: 1
; COMPUTE_PGM_RSRC2:TIDIG_COMP_CNT: 0
	.section	.text._ZN4vllm25paged_attention_v2_kernelIthLi32ELi32ELi128ELNS_18Fp8KVCacheDataTypeE1ELb0ELi512EEEvPfS2_PT_PKS3_PKT0_S9_ifPKiSB_iPKfiiiSD_SD_iiiii,"axG",@progbits,_ZN4vllm25paged_attention_v2_kernelIthLi32ELi32ELi128ELNS_18Fp8KVCacheDataTypeE1ELb0ELi512EEEvPfS2_PT_PKS3_PKT0_S9_ifPKiSB_iPKfiiiSD_SD_iiiii,comdat
	.protected	_ZN4vllm25paged_attention_v2_kernelIthLi32ELi32ELi128ELNS_18Fp8KVCacheDataTypeE1ELb0ELi512EEEvPfS2_PT_PKS3_PKT0_S9_ifPKiSB_iPKfiiiSD_SD_iiiii ; -- Begin function _ZN4vllm25paged_attention_v2_kernelIthLi32ELi32ELi128ELNS_18Fp8KVCacheDataTypeE1ELb0ELi512EEEvPfS2_PT_PKS3_PKT0_S9_ifPKiSB_iPKfiiiSD_SD_iiiii
	.globl	_ZN4vllm25paged_attention_v2_kernelIthLi32ELi32ELi128ELNS_18Fp8KVCacheDataTypeE1ELb0ELi512EEEvPfS2_PT_PKS3_PKT0_S9_ifPKiSB_iPKfiiiSD_SD_iiiii
	.p2align	8
	.type	_ZN4vllm25paged_attention_v2_kernelIthLi32ELi32ELi128ELNS_18Fp8KVCacheDataTypeE1ELb0ELi512EEEvPfS2_PT_PKS3_PKT0_S9_ifPKiSB_iPKfiiiSD_SD_iiiii,@function
_ZN4vllm25paged_attention_v2_kernelIthLi32ELi32ELi128ELNS_18Fp8KVCacheDataTypeE1ELb0ELi512EEEvPfS2_PT_PKS3_PKT0_S9_ifPKiSB_iPKfiiiSD_SD_iiiii: ; @_ZN4vllm25paged_attention_v2_kernelIthLi32ELi32ELi128ELNS_18Fp8KVCacheDataTypeE1ELb0ELi512EEEvPfS2_PT_PKS3_PKT0_S9_ifPKiSB_iPKfiiiSD_SD_iiiii
; %bb.0:
	s_load_dwordx2 s[0:1], s[4:5], 0x40
	s_mov_b32 s28, s7
	s_ashr_i32 s29, s7, 31
	s_lshl_b64 s[2:3], s[28:29], 2
	s_waitcnt lgkmcnt(0)
	s_add_u32 s0, s0, s2
	s_addc_u32 s1, s1, s3
	s_lshl_b32 s33, s8, 9
	s_load_dword s29, s[0:1], 0x0
	s_waitcnt lgkmcnt(0)
	s_cmp_ge_i32 s33, s29
	s_cbranch_scc1 .LBB316_570
; %bb.1:
	s_clause 0x1
	s_load_dword s9, s[4:5], 0x90
	s_load_dwordx2 s[2:3], s[4:5], 0x30
	s_mov_b32 s36, 0
	s_waitcnt lgkmcnt(0)
	s_abs_i32 s10, s9
	s_abs_i32 s0, s2
	s_xor_b32 s2, s9, s2
	v_cvt_f32_u32_e32 v1, s0
	s_sub_i32 s7, 0, s0
	s_ashr_i32 s2, s2, 31
	v_rcp_iflag_f32_e32 v1, v1
	v_mul_f32_e32 v1, 0x4f7ffffe, v1
	v_cvt_u32_f32_e32 v1, v1
	v_readfirstlane_b32 s1, v1
	s_mul_i32 s7, s7, s1
	s_mul_hi_u32 s7, s1, s7
	s_add_i32 s1, s1, s7
	s_mul_hi_u32 s1, s10, s1
	s_mul_i32 s7, s1, s0
	s_sub_i32 s7, s10, s7
	s_add_i32 s10, s1, 1
	s_sub_i32 s11, s7, s0
	s_cmp_ge_u32 s7, s0
	s_cselect_b32 s1, s10, s1
	s_cselect_b32 s7, s11, s7
	s_add_i32 s10, s1, 1
	s_cmp_ge_u32 s7, s0
	s_cselect_b32 s0, s10, s1
	s_abs_i32 s13, s6
	s_xor_b32 s0, s0, s2
	s_sub_i32 s10, s0, s2
	s_load_dwordx2 s[0:1], s[4:5], 0x50
	s_abs_i32 s2, s10
	v_cvt_f32_u32_e32 v1, s2
	s_sub_i32 s11, 0, s2
	v_rcp_iflag_f32_e32 v1, v1
	v_mul_f32_e32 v1, 0x4f7ffffe, v1
	v_cvt_u32_f32_e32 v1, v1
	v_readfirstlane_b32 s7, v1
	s_mul_i32 s11, s11, s7
	s_mul_hi_u32 s11, s7, s11
	s_add_i32 s7, s7, s11
	s_waitcnt lgkmcnt(0)
	s_cmp_eq_u64 s[0:1], 0
	s_mul_hi_u32 s12, s13, s7
	s_cbranch_scc1 .LBB316_3
; %bb.2:
	s_ashr_i32 s7, s6, 31
	s_lshl_b64 s[14:15], s[6:7], 2
	s_add_u32 s0, s0, s14
	s_addc_u32 s1, s1, s15
	s_load_dword s36, s[0:1], 0x0
.LBB316_3:
	s_clause 0x1
	s_load_dwordx2 s[26:27], s[4:5], 0x38
	s_load_dwordx4 s[16:19], s[4:5], 0x58
	s_ashr_i32 s0, s6, 31
	s_ashr_i32 s1, s10, 31
	s_lshl_b32 s10, s6, 5
	s_mov_b32 s7, exec_lo
	v_cmpx_gt_u32_e32 4, v0
	s_cbranch_execz .LBB316_5
; %bb.4:
	s_load_dwordx2 s[14:15], s[4:5], 0x18
	s_waitcnt lgkmcnt(0)
	s_mul_i32 s20, s16, s28
	v_lshlrev_b32_e32 v5, 4, v0
	s_ashr_i32 s21, s20, 31
	s_lshl_b64 s[20:21], s[20:21], 1
	s_add_u32 s16, s14, s20
	s_addc_u32 s19, s15, s21
	s_ashr_i32 s11, s10, 31
	s_lshl_b64 s[14:15], s[10:11], 1
	s_add_u32 s14, s16, s14
	s_addc_u32 s15, s19, s15
	global_load_dwordx4 v[1:4], v5, s[14:15]
	s_waitcnt vmcnt(0)
	ds_write_b128 v5, v[1:4]
.LBB316_5:
	s_or_b32 exec_lo, exec_lo, s7
	s_add_i32 s7, s29, 31
	s_waitcnt lgkmcnt(0)
	s_lshl_b32 s19, s8, 4
	s_ashr_i32 s11, s7, 31
	s_xor_b32 s0, s0, s1
	s_lshr_b32 s11, s11, 27
	s_mul_i32 s1, s12, s2
	s_add_i32 s7, s7, s11
	s_add_i32 s11, s19, 16
	s_ashr_i32 s16, s7, 5
	s_sub_i32 s1, s13, s1
	s_clause 0x3
	s_load_dwordx4 s[20:23], s[4:5], 0x0
	s_load_dwordx2 s[24:25], s[4:5], 0x10
	s_load_dwordx2 s[30:31], s[4:5], 0x28
	s_load_dword s34, s[4:5], 0x48
	s_min_i32 s11, s11, s16
	s_add_i32 s7, s12, 1
	s_sub_i32 s13, s1, s2
	s_cmp_ge_u32 s1, s2
	v_lshrrev_b32_e32 v13, 5, v0
	s_cselect_b32 s35, s7, s12
	s_cselect_b32 s1, s13, s1
	s_clause 0x1
	s_load_dword s7, s[4:5], 0x98
	s_load_dwordx4 s[12:15], s[4:5], 0x68
	s_add_i32 s37, s35, 1
	s_cmp_ge_u32 s1, s2
	v_add_nc_u32_e32 v1, s19, v13
	v_and_b32_e32 v14, 31, v0
	s_cselect_b32 s1, s37, s35
	v_mov_b32_e32 v16, 0xff7fffff
	s_xor_b32 s1, s1, s0
	v_ashrrev_i32_e32 v2, 31, v1
	s_sub_i32 s1, s1, s0
	v_cmp_gt_i32_e64 s0, s11, v1
	v_lshlrev_b32_e32 v15, 2, v14
	s_waitcnt lgkmcnt(0)
	s_mul_i32 s34, s34, s28
	s_mul_i32 s18, s1, s18
	s_ashr_i32 s35, s34, 31
	s_barrier
	buffer_gl0_inv
	s_and_saveexec_b32 s37, s0
	s_cbranch_execz .LBB316_265
; %bb.6:
	s_load_dwordx2 s[4:5], s[4:5], 0x20
	v_lshlrev_b32_e32 v3, 4, v14
	v_lshlrev_b32_e32 v5, 5, v13
	s_ashr_i32 s1, s18, 31
	v_lshl_or_b32 v6, v13, 7, v15
	v_lshlrev_b64 v[7:8], 2, v[1:2]
	v_mov_b32_e32 v4, 0
	v_add3_u32 v18, s33, v5, v14
	v_cmp_neq_f32_e64 vcc_lo, s36, 0
	v_add_nc_u32_e32 v19, 0x60, v6
	v_mov_b32_e32 v16, 0xff7fffff
	v_mov_b32_e32 v17, 0x80
	;; [unrolled: 1-line block ×6, first 2 shown]
	s_mov_b32 s38, s17
	s_mov_b32 s40, 0
	s_waitcnt lgkmcnt(0)
	s_add_u32 s2, s4, s18
	s_addc_u32 s1, s5, s1
	s_lshl_b64 s[4:5], s[34:35], 2
	v_add_co_u32 v5, s2, s2, v3
	s_sub_i32 s39, 1, s29
	v_add_co_ci_u32_e64 v6, null, s1, 0, s2
	s_add_u32 s1, s26, s4
	s_addc_u32 s2, s27, s5
	v_add_co_u32 v7, s1, s1, v7
	v_add_co_ci_u32_e64 v8, null, s2, v8, s1
	s_mov_b32 s4, -1
	s_mov_b32 s5, 0xffffff
	s_branch .LBB316_11
.LBB316_7:                              ;   in Loop: Header=BB316_11 Depth=1
	s_or_b32 exec_lo, exec_lo, s43
	v_lshlrev_b32_e32 v3, 8, v3
	v_lshl_add_u32 v10, v10, 10, 0x2000
	v_lshlrev_b32_e32 v9, 23, v9
	v_and_or_b32 v3, 0x8000, v3, v10
	v_lshl_or_b32 v54, v3, 16, v9
.LBB316_8:                              ;   in Loop: Header=BB316_11 Depth=1
	s_or_b32 exec_lo, exec_lo, s42
.LBB316_9:                              ;   in Loop: Header=BB316_11 Depth=1
	s_or_b32 exec_lo, exec_lo, s41
.LBB316_10:                             ;   in Loop: Header=BB316_11 Depth=1
	s_or_b32 exec_lo, exec_lo, s2
	ds_read_b128 v[55:58], v4
	v_or_b32_e32 v10, v26, v25
	v_or_b32_e32 v3, v29, v27
	v_fma_mixlo_f16 v25, v24, v26, 0 op_sel:[0,1,0] op_sel_hi:[0,1,0]
	v_or_b32_e32 v26, v31, v28
	v_or_b32_e32 v28, v33, v30
	v_fma_mixlo_f16 v10, v24, v10, 0 op_sel_hi:[0,1,0]
	v_fma_mixlo_f16 v9, v24, v29, 0 op_sel:[0,1,0] op_sel_hi:[0,1,0]
	v_fma_mixlo_f16 v3, v24, v3, 0 op_sel_hi:[0,1,0]
	v_fma_mixlo_f16 v26, v24, v26, 0 op_sel_hi:[0,1,0]
	v_fma_mixlo_f16 v27, v24, v31, 0 op_sel:[0,1,0] op_sel_hi:[0,1,0]
	v_fma_mixlo_f16 v29, v24, v33, 0 op_sel:[0,1,0] op_sel_hi:[0,1,0]
	v_fma_mixlo_f16 v28, v24, v28, 0 op_sel_hi:[0,1,0]
	v_and_b32_e32 v25, 0xffff, v25
	v_and_b32_e32 v10, 0xffff, v10
	;; [unrolled: 1-line block ×4, first 2 shown]
	v_or_b32_e32 v32, v34, v32
	v_or_b32_e32 v41, v42, v41
	v_or_b32_e32 v35, v37, v35
	s_waitcnt lgkmcnt(0)
	v_and_b32_e32 v30, 0xffff, v55
	v_lshrrev_b32_e32 v31, 16, v55
	v_and_b32_e32 v55, 0xffff, v3
	v_lshrrev_b32_e32 v3, 16, v56
	v_and_b32_e32 v33, 0xffff, v56
	;;#ASMSTART
	v_cvt_f32_f16 v60, v30;
	;;#ASMEND
	;;#ASMSTART
	v_cvt_f32_f16 v61, v31;
	;;#ASMEND
	;;#ASMSTART
	v_cvt_f32_f16 v62, v10;
	;;#ASMEND
	;;#ASMSTART
	v_cvt_f32_f16 v63, v25;
	;;#ASMEND
	v_and_b32_e32 v10, 0xffff, v57
	v_lshrrev_b32_e32 v25, 16, v57
	v_and_b32_e32 v30, 0xffff, v26
	;;#ASMSTART
	v_cvt_f32_f16 v33, v33;
	;;#ASMEND
	;;#ASMSTART
	v_cvt_f32_f16 v3, v3;
	;;#ASMEND
	;; [unrolled: 3-line block ×7, first 2 shown]
	v_and_b32_e32 v30, 0xffff, v58
	v_lshrrev_b32_e32 v31, 16, v58
	v_and_b32_e32 v56, 0xffff, v28
	v_and_b32_e32 v57, 0xffff, v29
	;;#ASMSTART
	v_cvt_f32_f16 v27, v27;
	;;#ASMEND
	;;#ASMSTART
	v_cvt_f32_f16 v28, v30;
	;;#ASMEND
	;; [unrolled: 3-line block ×5, first 2 shown]
	ds_read_b128 v[56:59], v4 offset:16
	v_or_b32_e32 v36, v38, v36
	v_or_b32_e32 v39, v40, v39
	v_fma_mixlo_f16 v34, v24, v34, 0 op_sel:[0,1,0] op_sel_hi:[0,1,0]
	v_fma_mixlo_f16 v32, v24, v32, 0 op_sel_hi:[0,1,0]
	v_fma_mixlo_f16 v65, v24, v41, 0 op_sel_hi:[0,1,0]
	v_fma_mixlo_f16 v37, v24, v37, 0 op_sel:[0,1,0] op_sel_hi:[0,1,0]
	v_fma_mixlo_f16 v35, v24, v35, 0 op_sel_hi:[0,1,0]
	v_fma_mixlo_f16 v41, v24, v36, 0 op_sel_hi:[0,1,0]
	;; [unrolled: 1-line block ×3, first 2 shown]
	v_fma_mixlo_f16 v40, v24, v40, 0 op_sel:[0,1,0] op_sel_hi:[0,1,0]
	v_fma_mixlo_f16 v38, v24, v38, 0 op_sel:[0,1,0] op_sel_hi:[0,1,0]
	;; [unrolled: 1-line block ×3, first 2 shown]
	v_and_b32_e32 v32, 0xffff, v32
	v_and_b32_e32 v35, 0xffff, v35
	;; [unrolled: 1-line block ×7, first 2 shown]
	s_waitcnt lgkmcnt(0)
	v_and_b32_e32 v42, 0xffff, v56
	v_lshrrev_b32_e32 v36, 16, v56
	;;#ASMSTART
	v_cvt_f32_f16 v56, v42;
	;;#ASMEND
	v_and_b32_e32 v42, 0xffff, v34
	v_and_b32_e32 v66, 0xffff, v57
	v_lshrrev_b32_e32 v67, 16, v57
	;;#ASMSTART
	v_cvt_f32_f16 v34, v36;
	;;#ASMEND
	;;#ASMSTART
	v_cvt_f32_f16 v32, v32;
	;;#ASMEND
	;;#ASMSTART
	v_cvt_f32_f16 v57, v42;
	;;#ASMEND
	v_and_b32_e32 v42, 0xffff, v58
	v_lshrrev_b32_e32 v68, 16, v58
	;;#ASMSTART
	v_cvt_f32_f16 v66, v66;
	;;#ASMEND
	;;#ASMSTART
	v_cvt_f32_f16 v36, v67;
	;;#ASMEND
	;; [unrolled: 3-line block ×7, first 2 shown]
	v_and_b32_e32 v41, 0xffff, v59
	v_lshrrev_b32_e32 v42, 16, v59
	;;#ASMSTART
	v_cvt_f32_f16 v59, v38;
	;;#ASMEND
	;;#ASMSTART
	v_cvt_f32_f16 v69, v41;
	;;#ASMEND
	;; [unrolled: 3-line block ×5, first 2 shown]
	ds_read_b128 v[39:42], v4 offset:32
	v_or_b32_e32 v38, v51, v49
	v_or_b32_e32 v43, v46, v43
	;; [unrolled: 1-line block ×4, first 2 shown]
	v_mul_f32_e32 v32, v56, v32
	v_mul_f32_e32 v34, v34, v57
	v_or_b32_e32 v11, v12, v11
	v_fma_mixlo_f16 v56, v24, v38, 0 op_sel_hi:[0,1,0]
	v_or_b32_e32 v38, v52, v50
	v_or_b32_e32 v50, v54, v53
	v_fma_mixlo_f16 v46, v24, v46, 0 op_sel:[0,1,0] op_sel_hi:[0,1,0]
	v_fma_mixlo_f16 v43, v24, v43, 0 op_sel_hi:[0,1,0]
	v_fma_mixlo_f16 v44, v24, v44, 0 op_sel:[0,1,0] op_sel_hi:[0,1,0]
	v_fma_mixlo_f16 v45, v24, v45, 0 op_sel_hi:[0,1,0]
	v_fma_mixlo_f16 v48, v24, v48, 0 op_sel_hi:[0,1,0]
	v_fma_mixlo_f16 v47, v24, v47, 0 op_sel:[0,1,0] op_sel_hi:[0,1,0]
	v_fma_mixlo_f16 v51, v24, v51, 0 op_sel:[0,1,0] op_sel_hi:[0,1,0]
	v_fma_mixlo_f16 v53, v24, v12, 0 op_sel:[0,1,0] op_sel_hi:[0,1,0]
	v_fma_mixlo_f16 v57, v24, v11, 0 op_sel_hi:[0,1,0]
	v_fma_mixlo_f16 v12, v24, v52, 0 op_sel:[0,1,0] op_sel_hi:[0,1,0]
	v_fma_mixlo_f16 v38, v24, v38, 0 op_sel_hi:[0,1,0]
	v_fma_mixlo_f16 v11, v24, v50, 0 op_sel_hi:[0,1,0]
	s_waitcnt lgkmcnt(0)
	v_and_b32_e32 v50, 0xffff, v39
	v_fma_mixlo_f16 v24, v24, v54, 0 op_sel:[0,1,0] op_sel_hi:[0,1,0]
	v_fmac_f32_e32 v32, v60, v62
	v_fmac_f32_e32 v34, v61, v63
	v_lshrrev_b32_e32 v39, 16, v39
	v_and_b32_e32 v54, 0xffff, v65
	v_and_b32_e32 v60, 0xffff, v64
	;; [unrolled: 1-line block ×3, first 2 shown]
	v_lshrrev_b32_e32 v40, 16, v40
	;;#ASMSTART
	v_cvt_f32_f16 v50, v50;
	;;#ASMEND
	;;#ASMSTART
	v_cvt_f32_f16 v52, v39;
	;;#ASMEND
	;; [unrolled: 3-line block ×6, first 2 shown]
	v_and_b32_e32 v39, 0xffff, v43
	v_and_b32_e32 v40, 0xffff, v46
	;; [unrolled: 1-line block ×3, first 2 shown]
	v_lshrrev_b32_e32 v41, 16, v41
	v_mul_f32_e32 v35, v66, v35
	v_and_b32_e32 v64, 0xffff, v45
	;;#ASMSTART
	v_cvt_f32_f16 v43, v39;
	;;#ASMEND
	;;#ASMSTART
	v_cvt_f32_f16 v45, v40;
	;;#ASMEND
	;; [unrolled: 3-line block ×4, first 2 shown]
	v_and_b32_e32 v39, 0xffff, v44
	v_and_b32_e32 v40, 0xffff, v42
	v_lshrrev_b32_e32 v41, 16, v42
	v_and_b32_e32 v42, 0xffff, v48
	v_and_b32_e32 v66, 0xffff, v47
	;;#ASMSTART
	v_cvt_f32_f16 v64, v64;
	;;#ASMEND
	;;#ASMSTART
	v_cvt_f32_f16 v44, v39;
	;;#ASMEND
	;; [unrolled: 3-line block ×6, first 2 shown]
	ds_read_b128 v[39:42], v4 offset:48
	v_add_nc_u32_e32 v49, s39, v18
	v_fmac_f32_e32 v35, v33, v55
	v_mul_f32_e32 v36, v36, v58
	v_mul_f32_e32 v37, v37, v59
	v_fmac_f32_e32 v32, v50, v54
	v_cvt_f32_i32_e32 v33, v49
	v_mul_f32_e32 v49, v67, v68
	v_fmac_f32_e32 v34, v52, v60
	v_fmac_f32_e32 v36, v3, v26
	;; [unrolled: 1-line block ×3, first 2 shown]
	v_and_b32_e32 v10, 0xffff, v57
	v_fmac_f32_e32 v49, v9, v25
	v_and_b32_e32 v25, 0xffff, v53
	v_fmac_f32_e32 v35, v61, v43
	v_fmac_f32_e32 v36, v62, v45
	v_and_b32_e32 v26, 0xffff, v56
	v_mul_f32_e32 v55, v69, v71
	v_fmac_f32_e32 v49, v46, v64
	v_and_b32_e32 v27, 0xffff, v51
	s_waitcnt lgkmcnt(0)
	v_and_b32_e32 v3, 0xffff, v39
	v_lshrrev_b32_e32 v9, 16, v39
	;;#ASMSTART
	v_cvt_f32_f16 v3, v3;
	;;#ASMEND
	;;#ASMSTART
	v_cvt_f32_f16 v9, v9;
	;;#ASMEND
	;; [unrolled: 3-line block ×4, first 2 shown]
	v_fmac_f32_e32 v32, v3, v10
	v_fmac_f32_e32 v34, v9, v25
	v_and_b32_e32 v3, 0xffff, v40
	v_lshrrev_b32_e32 v10, 16, v40
	;;#ASMSTART
	v_cvt_f32_f16 v3, v3;
	;;#ASMEND
	;;#ASMSTART
	v_cvt_f32_f16 v9, v10;
	;;#ASMEND
	;; [unrolled: 3-line block ×3, first 2 shown]
	v_fmac_f32_e32 v35, v3, v10
	v_add_f32_e32 v3, v32, v34
	;;#ASMSTART
	v_cvt_f32_f16 v25, v27;
	;;#ASMEND
	v_fmac_f32_e32 v36, v9, v25
	v_and_b32_e32 v9, 0xffff, v41
	v_lshrrev_b32_e32 v10, 16, v41
	v_add_f32_e32 v3, v3, v35
	v_mul_f32_e32 v58, v70, v72
	v_fmac_f32_e32 v55, v28, v30
	v_fmac_f32_e32 v37, v63, v44
	v_and_b32_e32 v25, 0xffff, v38
	v_and_b32_e32 v26, 0xffff, v12
	;;#ASMSTART
	v_cvt_f32_f16 v9, v9;
	;;#ASMEND
	;;#ASMSTART
	v_cvt_f32_f16 v10, v10;
	;;#ASMEND
	;; [unrolled: 3-line block ×3, first 2 shown]
	v_fmac_f32_e32 v49, v9, v12
	v_add_f32_e32 v3, v36, v3
	v_fmac_f32_e32 v58, v29, v31
	v_fmac_f32_e32 v55, v47, v65
	;;#ASMSTART
	v_cvt_f32_f16 v25, v26;
	;;#ASMEND
	v_fmac_f32_e32 v37, v10, v25
	v_add_f32_e32 v3, v3, v49
	v_and_b32_e32 v9, 0xffff, v42
	v_and_b32_e32 v11, 0xffff, v11
	v_fmac_f32_e32 v58, v48, v66
	v_lshrrev_b32_e32 v12, 16, v42
	;;#ASMSTART
	v_cvt_f32_f16 v9, v9;
	;;#ASMEND
	;;#ASMSTART
	v_cvt_f32_f16 v10, v12;
	;;#ASMEND
	;; [unrolled: 3-line block ×3, first 2 shown]
	v_fmac_f32_e32 v55, v9, v11
	v_add_f32_e32 v3, v37, v3
	v_and_b32_e32 v12, 0xffff, v24
	v_mul_f32_e32 v9, s36, v33
	;;#ASMSTART
	v_cvt_f32_f16 v11, v12;
	;;#ASMEND
	v_fmac_f32_e32 v58, v10, v11
	v_add_f32_e32 v3, v3, v55
	v_cmp_gt_i32_e64 s1, s29, v18
	v_cndmask_b32_e32 v9, 0, v9, vcc_lo
	v_add_nc_u32_e32 v23, 4, v23
	v_add_co_u32 v7, s2, v7, 16
	v_add_f32_e32 v3, v58, v3
	v_add_nc_u32_e32 v18, 0x80, v18
	v_add_co_ci_u32_e64 v8, null, 0, v8, s2
	v_fmac_f32_e32 v9, s3, v3
	v_max_f32_e32 v3, v16, v16
	v_cndmask_b32_e64 v10, 0, v9, s1
	v_max_f32_e32 v3, v3, v9
	ds_write_b32 v19, v10
	v_cndmask_b32_e64 v16, v16, v3, s1
	v_cmp_le_i32_e64 s1, s11, v23
	v_add_nc_u32_e32 v19, 0x200, v19
	s_or_b32 s40, s1, s40
	s_andn2_b32 exec_lo, exec_lo, s40
	s_cbranch_execz .LBB316_264
.LBB316_11:                             ; =>This Inner Loop Header: Depth=1
	global_load_dword v3, v[7:8], off
	v_mov_b32_e32 v25, 0
	s_waitcnt vmcnt(0)
	v_mad_i64_i32 v[9:10], null, v3, s38, v[5:6]
	global_load_dwordx2 v[11:12], v[9:10], off
	global_load_dword v24, v4, s[12:13]
	s_waitcnt vmcnt(1)
	v_cmp_ne_u16_sdwa s1, v11, v4 src0_sel:BYTE_0 src1_sel:DWORD
	s_and_saveexec_b32 s2, s1
	s_cbranch_execz .LBB316_19
; %bb.12:                               ;   in Loop: Header=BB316_11 Depth=1
	v_cmp_ne_u16_sdwa s1, v11, v17 src0_sel:BYTE_0 src1_sel:DWORD
	v_mov_b32_e32 v25, 0x8000
	s_and_saveexec_b32 s41, s1
	s_cbranch_execz .LBB316_18
; %bb.13:                               ;   in Loop: Header=BB316_11 Depth=1
	v_and_b32_e32 v26, 0x7f, v11
	v_mov_b32_e32 v25, 0x7c01
	s_mov_b32 s42, exec_lo
	v_cmpx_ne_u32_e32 0x7f, v26
	s_cbranch_execz .LBB316_17
; %bb.14:                               ;   in Loop: Header=BB316_11 Depth=1
	v_and_b32_e32 v3, 7, v11
	v_lshrrev_b32_e32 v25, 3, v26
	s_mov_b32 s43, exec_lo
	v_cmpx_gt_u32_e32 8, v26
; %bb.15:                               ;   in Loop: Header=BB316_11 Depth=1
	v_ffbh_u32_e32 v3, v3
	v_min_u32_e32 v3, 32, v3
	v_subrev_nc_u32_e32 v25, 28, v3
	v_lshlrev_b64 v[26:27], v25, v[11:12]
	v_sub_nc_u32_e32 v25, 29, v3
	v_and_b32_e32 v3, 7, v26
; %bb.16:                               ;   in Loop: Header=BB316_11 Depth=1
	s_or_b32 exec_lo, exec_lo, s43
	v_lshlrev_b32_e32 v26, 8, v11
	v_lshl_add_u32 v25, v25, 10, 0x2000
	v_lshlrev_b32_e32 v3, 7, v3
	v_and_b32_e32 v26, 0x8000, v26
	v_and_b32_e32 v25, 0xfc00, v25
	v_or3_b32 v25, v26, v25, v3
.LBB316_17:                             ;   in Loop: Header=BB316_11 Depth=1
	s_or_b32 exec_lo, exec_lo, s42
.LBB316_18:                             ;   in Loop: Header=BB316_11 Depth=1
	s_or_b32 exec_lo, exec_lo, s41
.LBB316_19:                             ;   in Loop: Header=BB316_11 Depth=1
	s_or_b32 exec_lo, exec_lo, s2
	v_lshrrev_b16 v3, 8, v11
	v_mov_b32_e32 v27, 0
	v_mov_b32_e32 v26, 0
	s_mov_b32 s2, exec_lo
	v_cmpx_ne_u16_e32 0, v3
	s_cbranch_execz .LBB316_27
; %bb.20:                               ;   in Loop: Header=BB316_11 Depth=1
	v_bfrev_b32_e32 v26, 1
	s_mov_b32 s41, exec_lo
	v_cmpx_ne_u16_e32 0x80, v3
	s_cbranch_execz .LBB316_26
; %bb.21:                               ;   in Loop: Header=BB316_11 Depth=1
	v_and_b32_sdwa v29, v3, v20 dst_sel:DWORD dst_unused:UNUSED_PAD src0_sel:WORD_0 src1_sel:DWORD
	v_mov_b32_e32 v26, 0x7c010000
	s_mov_b32 s42, exec_lo
	v_cmpx_ne_u32_e32 0x7f, v29
	s_cbranch_execz .LBB316_25
; %bb.22:                               ;   in Loop: Header=BB316_11 Depth=1
	v_and_b32_sdwa v26, v3, v21 dst_sel:DWORD dst_unused:UNUSED_PAD src0_sel:WORD_0 src1_sel:DWORD
	v_lshrrev_b32_e32 v28, 3, v29
	s_mov_b32 s43, exec_lo
	v_cmpx_gt_u32_e32 8, v29
; %bb.23:                               ;   in Loop: Header=BB316_11 Depth=1
	v_ffbh_u32_e32 v26, v26
	v_min_u32_e32 v26, 32, v26
	v_subrev_nc_u32_e32 v28, 28, v26
	v_lshlrev_b64 v[29:30], v28, v[3:4]
	v_sub_nc_u32_e32 v28, 29, v26
	v_and_b32_e32 v26, 7, v29
; %bb.24:                               ;   in Loop: Header=BB316_11 Depth=1
	s_or_b32 exec_lo, exec_lo, s43
	v_lshlrev_b32_sdwa v3, v22, v3 dst_sel:DWORD dst_unused:UNUSED_PAD src0_sel:DWORD src1_sel:WORD_0
	v_lshl_add_u32 v28, v28, 10, 0x2000
	v_lshlrev_b32_e32 v26, 23, v26
	v_and_or_b32 v3, 0x8000, v3, v28
	v_lshl_or_b32 v26, v3, 16, v26
.LBB316_25:                             ;   in Loop: Header=BB316_11 Depth=1
	s_or_b32 exec_lo, exec_lo, s42
.LBB316_26:                             ;   in Loop: Header=BB316_11 Depth=1
	s_or_b32 exec_lo, exec_lo, s41
.LBB316_27:                             ;   in Loop: Header=BB316_11 Depth=1
	s_or_b32 exec_lo, exec_lo, s2
	v_lshrrev_b32_e32 v3, 16, v11
	v_cmp_ne_u16_sdwa s1, v3, v4 src0_sel:BYTE_0 src1_sel:DWORD
	s_and_saveexec_b32 s2, s1
	s_cbranch_execz .LBB316_35
; %bb.28:                               ;   in Loop: Header=BB316_11 Depth=1
	v_cmp_ne_u16_sdwa s1, v3, v17 src0_sel:BYTE_0 src1_sel:DWORD
	v_mov_b32_e32 v27, 0x8000
	s_and_saveexec_b32 s41, s1
	s_cbranch_execz .LBB316_34
; %bb.29:                               ;   in Loop: Header=BB316_11 Depth=1
	v_bfe_u32 v29, v11, 16, 7
	v_mov_b32_e32 v27, 0x7c01
	s_mov_b32 s42, exec_lo
	v_cmpx_ne_u32_e32 0x7f, v29
	s_cbranch_execz .LBB316_33
; %bb.30:                               ;   in Loop: Header=BB316_11 Depth=1
	v_and_b32_e32 v27, 7, v3
	v_lshrrev_b32_e32 v28, 3, v29
	s_mov_b32 s43, exec_lo
	v_cmpx_gt_u32_e32 8, v29
; %bb.31:                               ;   in Loop: Header=BB316_11 Depth=1
	v_ffbh_u32_e32 v27, v27
	v_min_u32_e32 v29, 32, v27
	v_subrev_nc_u32_e32 v27, 28, v29
	v_lshlrev_b64 v[27:28], v27, v[3:4]
	v_sub_nc_u32_e32 v28, 29, v29
	v_and_b32_e32 v27, 7, v27
; %bb.32:                               ;   in Loop: Header=BB316_11 Depth=1
	s_or_b32 exec_lo, exec_lo, s43
	v_lshlrev_b32_e32 v3, 8, v3
	v_lshl_add_u32 v28, v28, 10, 0x2000
	v_lshlrev_b32_e32 v27, 7, v27
	v_and_b32_e32 v3, 0x8000, v3
	v_and_b32_e32 v28, 0xfc00, v28
	v_or3_b32 v27, v3, v28, v27
.LBB316_33:                             ;   in Loop: Header=BB316_11 Depth=1
	s_or_b32 exec_lo, exec_lo, s42
.LBB316_34:                             ;   in Loop: Header=BB316_11 Depth=1
	s_or_b32 exec_lo, exec_lo, s41
.LBB316_35:                             ;   in Loop: Header=BB316_11 Depth=1
	s_or_b32 exec_lo, exec_lo, s2
	v_mov_b32_e32 v28, 0
	v_mov_b32_e32 v29, 0
	s_mov_b32 s2, exec_lo
	v_cmpx_lt_u32_e32 0xffffff, v11
	s_cbranch_execz .LBB316_43
; %bb.36:                               ;   in Loop: Header=BB316_11 Depth=1
	v_lshrrev_b32_e32 v3, 24, v11
	v_bfrev_b32_e32 v29, 1
	s_mov_b32 s41, exec_lo
	v_cmpx_ne_u32_e32 0x80, v3
	s_cbranch_execz .LBB316_42
; %bb.37:                               ;   in Loop: Header=BB316_11 Depth=1
	v_and_b32_e32 v31, 0x7f, v3
	v_mov_b32_e32 v29, 0x7c010000
	s_mov_b32 s42, exec_lo
	v_cmpx_ne_u32_e32 0x7f, v31
	s_cbranch_execz .LBB316_41
; %bb.38:                               ;   in Loop: Header=BB316_11 Depth=1
	v_and_b32_e32 v29, 7, v3
	v_lshrrev_b32_e32 v30, 3, v31
	s_mov_b32 s43, exec_lo
	v_cmpx_gt_u32_e32 8, v31
; %bb.39:                               ;   in Loop: Header=BB316_11 Depth=1
	v_ffbh_u32_e32 v29, v29
	v_min_u32_e32 v31, 32, v29
	v_subrev_nc_u32_e32 v29, 28, v31
	v_lshlrev_b64 v[29:30], v29, v[3:4]
	v_sub_nc_u32_e32 v30, 29, v31
	v_and_b32_e32 v29, 7, v29
; %bb.40:                               ;   in Loop: Header=BB316_11 Depth=1
	s_or_b32 exec_lo, exec_lo, s43
	v_lshlrev_b32_e32 v3, 8, v3
	v_lshl_add_u32 v30, v30, 10, 0x2000
	v_lshlrev_b32_e32 v29, 23, v29
	v_and_or_b32 v3, 0x8000, v3, v30
	v_lshl_or_b32 v29, v3, 16, v29
.LBB316_41:                             ;   in Loop: Header=BB316_11 Depth=1
	s_or_b32 exec_lo, exec_lo, s42
.LBB316_42:                             ;   in Loop: Header=BB316_11 Depth=1
	s_or_b32 exec_lo, exec_lo, s41
.LBB316_43:                             ;   in Loop: Header=BB316_11 Depth=1
	s_or_b32 exec_lo, exec_lo, s2
	v_mov_b32_e32 v3, v12
	v_cmp_ne_u16_sdwa s1, v12, v4 src0_sel:BYTE_0 src1_sel:DWORD
	s_and_saveexec_b32 s2, s1
	s_cbranch_execz .LBB316_51
; %bb.44:                               ;   in Loop: Header=BB316_11 Depth=1
	v_cmp_ne_u16_sdwa s1, v12, v17 src0_sel:BYTE_0 src1_sel:DWORD
	v_mov_b32_e32 v28, 0x8000
	s_and_saveexec_b32 s41, s1
	s_cbranch_execz .LBB316_50
; %bb.45:                               ;   in Loop: Header=BB316_11 Depth=1
	v_and_b32_e32 v31, 0x7f, v12
	v_mov_b32_e32 v28, 0x7c01
	s_mov_b32 s42, exec_lo
	v_cmpx_ne_u32_e32 0x7f, v31
	s_cbranch_execz .LBB316_49
; %bb.46:                               ;   in Loop: Header=BB316_11 Depth=1
	v_and_b32_e32 v28, 7, v12
	v_lshrrev_b32_e32 v30, 3, v31
	s_mov_b32 s43, exec_lo
	v_cmpx_gt_u32_e32 8, v31
; %bb.47:                               ;   in Loop: Header=BB316_11 Depth=1
	v_ffbh_u32_e32 v28, v28
	v_min_u32_e32 v28, 32, v28
	v_subrev_nc_u32_e32 v30, 28, v28
	v_lshlrev_b64 v[31:32], v30, v[3:4]
	v_sub_nc_u32_e32 v30, 29, v28
	v_and_b32_e32 v28, 7, v31
; %bb.48:                               ;   in Loop: Header=BB316_11 Depth=1
	s_or_b32 exec_lo, exec_lo, s43
	v_lshlrev_b32_e32 v31, 8, v12
	v_lshl_add_u32 v30, v30, 10, 0x2000
	v_lshlrev_b32_e32 v28, 7, v28
	v_and_b32_e32 v31, 0x8000, v31
	v_and_b32_e32 v30, 0xfc00, v30
	v_or3_b32 v28, v31, v30, v28
.LBB316_49:                             ;   in Loop: Header=BB316_11 Depth=1
	s_or_b32 exec_lo, exec_lo, s42
.LBB316_50:                             ;   in Loop: Header=BB316_11 Depth=1
	s_or_b32 exec_lo, exec_lo, s41
.LBB316_51:                             ;   in Loop: Header=BB316_11 Depth=1
	s_or_b32 exec_lo, exec_lo, s2
	v_lshrrev_b16 v3, 8, v3
	v_mov_b32_e32 v30, 0
	v_mov_b32_e32 v31, 0
	s_mov_b32 s2, exec_lo
	v_cmpx_ne_u16_e32 0, v3
	s_cbranch_execz .LBB316_59
; %bb.52:                               ;   in Loop: Header=BB316_11 Depth=1
	v_bfrev_b32_e32 v31, 1
	s_mov_b32 s41, exec_lo
	v_cmpx_ne_u16_e32 0x80, v3
	s_cbranch_execz .LBB316_58
; %bb.53:                               ;   in Loop: Header=BB316_11 Depth=1
	v_and_b32_sdwa v33, v3, v20 dst_sel:DWORD dst_unused:UNUSED_PAD src0_sel:WORD_0 src1_sel:DWORD
	v_mov_b32_e32 v31, 0x7c010000
	s_mov_b32 s42, exec_lo
	v_cmpx_ne_u32_e32 0x7f, v33
	s_cbranch_execz .LBB316_57
; %bb.54:                               ;   in Loop: Header=BB316_11 Depth=1
	v_and_b32_sdwa v31, v3, v21 dst_sel:DWORD dst_unused:UNUSED_PAD src0_sel:WORD_0 src1_sel:DWORD
	v_lshrrev_b32_e32 v32, 3, v33
	s_mov_b32 s43, exec_lo
	v_cmpx_gt_u32_e32 8, v33
; %bb.55:                               ;   in Loop: Header=BB316_11 Depth=1
	v_ffbh_u32_e32 v31, v31
	v_min_u32_e32 v33, 32, v31
	v_subrev_nc_u32_e32 v31, 28, v33
	v_lshlrev_b64 v[31:32], v31, v[3:4]
	v_sub_nc_u32_e32 v32, 29, v33
	v_and_b32_e32 v31, 7, v31
; %bb.56:                               ;   in Loop: Header=BB316_11 Depth=1
	s_or_b32 exec_lo, exec_lo, s43
	v_lshlrev_b32_sdwa v3, v22, v3 dst_sel:DWORD dst_unused:UNUSED_PAD src0_sel:DWORD src1_sel:WORD_0
	v_lshl_add_u32 v32, v32, 10, 0x2000
	v_lshlrev_b32_e32 v31, 23, v31
	v_and_or_b32 v3, 0x8000, v3, v32
	v_lshl_or_b32 v31, v3, 16, v31
.LBB316_57:                             ;   in Loop: Header=BB316_11 Depth=1
	s_or_b32 exec_lo, exec_lo, s42
.LBB316_58:                             ;   in Loop: Header=BB316_11 Depth=1
	s_or_b32 exec_lo, exec_lo, s41
.LBB316_59:                             ;   in Loop: Header=BB316_11 Depth=1
	s_or_b32 exec_lo, exec_lo, s2
	v_lshrrev_b32_e32 v3, 16, v12
	v_cmp_ne_u16_sdwa s1, v3, v4 src0_sel:BYTE_0 src1_sel:DWORD
	s_and_saveexec_b32 s2, s1
	s_cbranch_execz .LBB316_67
; %bb.60:                               ;   in Loop: Header=BB316_11 Depth=1
	v_cmp_ne_u16_sdwa s1, v3, v17 src0_sel:BYTE_0 src1_sel:DWORD
	v_mov_b32_e32 v30, 0x8000
	s_and_saveexec_b32 s41, s1
	s_cbranch_execz .LBB316_66
; %bb.61:                               ;   in Loop: Header=BB316_11 Depth=1
	v_bfe_u32 v33, v12, 16, 7
	v_mov_b32_e32 v30, 0x7c01
	s_mov_b32 s42, exec_lo
	v_cmpx_ne_u32_e32 0x7f, v33
	s_cbranch_execz .LBB316_65
; %bb.62:                               ;   in Loop: Header=BB316_11 Depth=1
	v_and_b32_e32 v30, 7, v3
	v_lshrrev_b32_e32 v32, 3, v33
	s_mov_b32 s43, exec_lo
	v_cmpx_gt_u32_e32 8, v33
; %bb.63:                               ;   in Loop: Header=BB316_11 Depth=1
	v_ffbh_u32_e32 v30, v30
	v_min_u32_e32 v30, 32, v30
	v_subrev_nc_u32_e32 v32, 28, v30
	v_lshlrev_b64 v[33:34], v32, v[3:4]
	v_sub_nc_u32_e32 v32, 29, v30
	v_and_b32_e32 v30, 7, v33
; %bb.64:                               ;   in Loop: Header=BB316_11 Depth=1
	s_or_b32 exec_lo, exec_lo, s43
	v_lshlrev_b32_e32 v3, 8, v3
	v_lshl_add_u32 v32, v32, 10, 0x2000
	v_lshlrev_b32_e32 v30, 7, v30
	v_and_b32_e32 v3, 0x8000, v3
	v_and_b32_e32 v32, 0xfc00, v32
	v_or3_b32 v30, v3, v32, v30
.LBB316_65:                             ;   in Loop: Header=BB316_11 Depth=1
	s_or_b32 exec_lo, exec_lo, s42
.LBB316_66:                             ;   in Loop: Header=BB316_11 Depth=1
	s_or_b32 exec_lo, exec_lo, s41
.LBB316_67:                             ;   in Loop: Header=BB316_11 Depth=1
	s_or_b32 exec_lo, exec_lo, s2
	v_mov_b32_e32 v32, 0
	v_mov_b32_e32 v33, 0
	s_mov_b32 s2, exec_lo
	v_cmpx_lt_u64_e64 s[4:5], v[11:12]
	s_cbranch_execz .LBB316_75
; %bb.68:                               ;   in Loop: Header=BB316_11 Depth=1
	v_lshrrev_b32_e32 v3, 24, v12
	v_bfrev_b32_e32 v33, 1
	s_mov_b32 s41, exec_lo
	v_cmpx_ne_u32_e32 0x80, v3
	s_cbranch_execz .LBB316_74
; %bb.69:                               ;   in Loop: Header=BB316_11 Depth=1
	v_and_b32_e32 v34, 0x7f, v3
	v_mov_b32_e32 v33, 0x7c010000
	s_mov_b32 s42, exec_lo
	v_cmpx_ne_u32_e32 0x7f, v34
	s_cbranch_execz .LBB316_73
; %bb.70:                               ;   in Loop: Header=BB316_11 Depth=1
	v_and_b32_e32 v11, 7, v3
	v_lshrrev_b32_e32 v12, 3, v34
	s_mov_b32 s43, exec_lo
	v_cmpx_gt_u32_e32 8, v34
; %bb.71:                               ;   in Loop: Header=BB316_11 Depth=1
	v_ffbh_u32_e32 v11, v11
	v_min_u32_e32 v33, 32, v11
	v_subrev_nc_u32_e32 v11, 28, v33
	v_lshlrev_b64 v[11:12], v11, v[3:4]
	v_sub_nc_u32_e32 v12, 29, v33
	v_and_b32_e32 v11, 7, v11
; %bb.72:                               ;   in Loop: Header=BB316_11 Depth=1
	s_or_b32 exec_lo, exec_lo, s43
	v_lshlrev_b32_e32 v3, 8, v3
	v_lshl_add_u32 v12, v12, 10, 0x2000
	v_lshlrev_b32_e32 v11, 23, v11
	v_and_or_b32 v3, 0x8000, v3, v12
	v_lshl_or_b32 v33, v3, 16, v11
.LBB316_73:                             ;   in Loop: Header=BB316_11 Depth=1
	s_or_b32 exec_lo, exec_lo, s42
.LBB316_74:                             ;   in Loop: Header=BB316_11 Depth=1
	s_or_b32 exec_lo, exec_lo, s41
.LBB316_75:                             ;   in Loop: Header=BB316_11 Depth=1
	s_or_b32 exec_lo, exec_lo, s2
	global_load_dwordx2 v[11:12], v[9:10], off offset:8
	s_waitcnt vmcnt(0)
	v_cmp_ne_u16_sdwa s1, v11, v4 src0_sel:BYTE_0 src1_sel:DWORD
	s_and_saveexec_b32 s2, s1
	s_cbranch_execz .LBB316_83
; %bb.76:                               ;   in Loop: Header=BB316_11 Depth=1
	v_cmp_ne_u16_sdwa s1, v11, v17 src0_sel:BYTE_0 src1_sel:DWORD
	v_mov_b32_e32 v32, 0x8000
	s_and_saveexec_b32 s41, s1
	s_cbranch_execz .LBB316_82
; %bb.77:                               ;   in Loop: Header=BB316_11 Depth=1
	v_and_b32_e32 v34, 0x7f, v11
	v_mov_b32_e32 v32, 0x7c01
	s_mov_b32 s42, exec_lo
	v_cmpx_ne_u32_e32 0x7f, v34
	s_cbranch_execz .LBB316_81
; %bb.78:                               ;   in Loop: Header=BB316_11 Depth=1
	v_and_b32_e32 v3, 7, v11
	v_lshrrev_b32_e32 v32, 3, v34
	s_mov_b32 s43, exec_lo
	v_cmpx_gt_u32_e32 8, v34
; %bb.79:                               ;   in Loop: Header=BB316_11 Depth=1
	v_ffbh_u32_e32 v3, v3
	v_min_u32_e32 v3, 32, v3
	v_subrev_nc_u32_e32 v32, 28, v3
	v_lshlrev_b64 v[34:35], v32, v[11:12]
	v_sub_nc_u32_e32 v32, 29, v3
	v_and_b32_e32 v3, 7, v34
; %bb.80:                               ;   in Loop: Header=BB316_11 Depth=1
	s_or_b32 exec_lo, exec_lo, s43
	v_lshlrev_b32_e32 v34, 8, v11
	v_lshl_add_u32 v32, v32, 10, 0x2000
	v_lshlrev_b32_e32 v3, 7, v3
	v_and_b32_e32 v34, 0x8000, v34
	v_and_b32_e32 v32, 0xfc00, v32
	v_or3_b32 v32, v34, v32, v3
.LBB316_81:                             ;   in Loop: Header=BB316_11 Depth=1
	s_or_b32 exec_lo, exec_lo, s42
.LBB316_82:                             ;   in Loop: Header=BB316_11 Depth=1
	s_or_b32 exec_lo, exec_lo, s41
.LBB316_83:                             ;   in Loop: Header=BB316_11 Depth=1
	s_or_b32 exec_lo, exec_lo, s2
	v_lshrrev_b16 v3, 8, v11
	v_mov_b32_e32 v35, 0
	v_mov_b32_e32 v34, 0
	s_mov_b32 s2, exec_lo
	v_cmpx_ne_u16_e32 0, v3
	s_cbranch_execz .LBB316_91
; %bb.84:                               ;   in Loop: Header=BB316_11 Depth=1
	v_bfrev_b32_e32 v34, 1
	s_mov_b32 s41, exec_lo
	v_cmpx_ne_u16_e32 0x80, v3
	s_cbranch_execz .LBB316_90
; %bb.85:                               ;   in Loop: Header=BB316_11 Depth=1
	v_and_b32_sdwa v37, v3, v20 dst_sel:DWORD dst_unused:UNUSED_PAD src0_sel:WORD_0 src1_sel:DWORD
	v_mov_b32_e32 v34, 0x7c010000
	s_mov_b32 s42, exec_lo
	v_cmpx_ne_u32_e32 0x7f, v37
	s_cbranch_execz .LBB316_89
; %bb.86:                               ;   in Loop: Header=BB316_11 Depth=1
	v_and_b32_sdwa v34, v3, v21 dst_sel:DWORD dst_unused:UNUSED_PAD src0_sel:WORD_0 src1_sel:DWORD
	v_lshrrev_b32_e32 v36, 3, v37
	s_mov_b32 s43, exec_lo
	v_cmpx_gt_u32_e32 8, v37
; %bb.87:                               ;   in Loop: Header=BB316_11 Depth=1
	v_ffbh_u32_e32 v34, v34
	v_min_u32_e32 v34, 32, v34
	v_subrev_nc_u32_e32 v36, 28, v34
	v_lshlrev_b64 v[37:38], v36, v[3:4]
	v_sub_nc_u32_e32 v36, 29, v34
	v_and_b32_e32 v34, 7, v37
; %bb.88:                               ;   in Loop: Header=BB316_11 Depth=1
	s_or_b32 exec_lo, exec_lo, s43
	v_lshlrev_b32_sdwa v3, v22, v3 dst_sel:DWORD dst_unused:UNUSED_PAD src0_sel:DWORD src1_sel:WORD_0
	v_lshl_add_u32 v36, v36, 10, 0x2000
	v_lshlrev_b32_e32 v34, 23, v34
	v_and_or_b32 v3, 0x8000, v3, v36
	v_lshl_or_b32 v34, v3, 16, v34
.LBB316_89:                             ;   in Loop: Header=BB316_11 Depth=1
	s_or_b32 exec_lo, exec_lo, s42
.LBB316_90:                             ;   in Loop: Header=BB316_11 Depth=1
	s_or_b32 exec_lo, exec_lo, s41
.LBB316_91:                             ;   in Loop: Header=BB316_11 Depth=1
	s_or_b32 exec_lo, exec_lo, s2
	v_lshrrev_b32_e32 v3, 16, v11
	v_cmp_ne_u16_sdwa s1, v3, v4 src0_sel:BYTE_0 src1_sel:DWORD
	s_and_saveexec_b32 s2, s1
	s_cbranch_execz .LBB316_99
; %bb.92:                               ;   in Loop: Header=BB316_11 Depth=1
	v_cmp_ne_u16_sdwa s1, v3, v17 src0_sel:BYTE_0 src1_sel:DWORD
	v_mov_b32_e32 v35, 0x8000
	s_and_saveexec_b32 s41, s1
	s_cbranch_execz .LBB316_98
; %bb.93:                               ;   in Loop: Header=BB316_11 Depth=1
	v_bfe_u32 v37, v11, 16, 7
	v_mov_b32_e32 v35, 0x7c01
	s_mov_b32 s42, exec_lo
	v_cmpx_ne_u32_e32 0x7f, v37
	s_cbranch_execz .LBB316_97
; %bb.94:                               ;   in Loop: Header=BB316_11 Depth=1
	v_and_b32_e32 v35, 7, v3
	v_lshrrev_b32_e32 v36, 3, v37
	s_mov_b32 s43, exec_lo
	v_cmpx_gt_u32_e32 8, v37
; %bb.95:                               ;   in Loop: Header=BB316_11 Depth=1
	v_ffbh_u32_e32 v35, v35
	v_min_u32_e32 v37, 32, v35
	v_subrev_nc_u32_e32 v35, 28, v37
	v_lshlrev_b64 v[35:36], v35, v[3:4]
	v_sub_nc_u32_e32 v36, 29, v37
	v_and_b32_e32 v35, 7, v35
; %bb.96:                               ;   in Loop: Header=BB316_11 Depth=1
	s_or_b32 exec_lo, exec_lo, s43
	v_lshlrev_b32_e32 v3, 8, v3
	v_lshl_add_u32 v36, v36, 10, 0x2000
	v_lshlrev_b32_e32 v35, 7, v35
	v_and_b32_e32 v3, 0x8000, v3
	v_and_b32_e32 v36, 0xfc00, v36
	v_or3_b32 v35, v3, v36, v35
.LBB316_97:                             ;   in Loop: Header=BB316_11 Depth=1
	s_or_b32 exec_lo, exec_lo, s42
.LBB316_98:                             ;   in Loop: Header=BB316_11 Depth=1
	s_or_b32 exec_lo, exec_lo, s41
.LBB316_99:                             ;   in Loop: Header=BB316_11 Depth=1
	s_or_b32 exec_lo, exec_lo, s2
	v_mov_b32_e32 v36, 0
	v_mov_b32_e32 v37, 0
	s_mov_b32 s2, exec_lo
	v_cmpx_lt_u32_e32 0xffffff, v11
	s_cbranch_execz .LBB316_107
; %bb.100:                              ;   in Loop: Header=BB316_11 Depth=1
	v_lshrrev_b32_e32 v3, 24, v11
	v_bfrev_b32_e32 v37, 1
	s_mov_b32 s41, exec_lo
	v_cmpx_ne_u32_e32 0x80, v3
	s_cbranch_execz .LBB316_106
; %bb.101:                              ;   in Loop: Header=BB316_11 Depth=1
	v_and_b32_e32 v39, 0x7f, v3
	v_mov_b32_e32 v37, 0x7c010000
	s_mov_b32 s42, exec_lo
	v_cmpx_ne_u32_e32 0x7f, v39
	s_cbranch_execz .LBB316_105
; %bb.102:                              ;   in Loop: Header=BB316_11 Depth=1
	v_and_b32_e32 v37, 7, v3
	v_lshrrev_b32_e32 v38, 3, v39
	s_mov_b32 s43, exec_lo
	v_cmpx_gt_u32_e32 8, v39
; %bb.103:                              ;   in Loop: Header=BB316_11 Depth=1
	v_ffbh_u32_e32 v37, v37
	v_min_u32_e32 v39, 32, v37
	v_subrev_nc_u32_e32 v37, 28, v39
	v_lshlrev_b64 v[37:38], v37, v[3:4]
	v_sub_nc_u32_e32 v38, 29, v39
	v_and_b32_e32 v37, 7, v37
; %bb.104:                              ;   in Loop: Header=BB316_11 Depth=1
	s_or_b32 exec_lo, exec_lo, s43
	v_lshlrev_b32_e32 v3, 8, v3
	v_lshl_add_u32 v38, v38, 10, 0x2000
	v_lshlrev_b32_e32 v37, 23, v37
	v_and_or_b32 v3, 0x8000, v3, v38
	v_lshl_or_b32 v37, v3, 16, v37
.LBB316_105:                            ;   in Loop: Header=BB316_11 Depth=1
	s_or_b32 exec_lo, exec_lo, s42
.LBB316_106:                            ;   in Loop: Header=BB316_11 Depth=1
	s_or_b32 exec_lo, exec_lo, s41
.LBB316_107:                            ;   in Loop: Header=BB316_11 Depth=1
	s_or_b32 exec_lo, exec_lo, s2
	v_mov_b32_e32 v3, v12
	v_cmp_ne_u16_sdwa s1, v12, v4 src0_sel:BYTE_0 src1_sel:DWORD
	s_and_saveexec_b32 s2, s1
	s_cbranch_execz .LBB316_115
; %bb.108:                              ;   in Loop: Header=BB316_11 Depth=1
	v_cmp_ne_u16_sdwa s1, v12, v17 src0_sel:BYTE_0 src1_sel:DWORD
	v_mov_b32_e32 v36, 0x8000
	s_and_saveexec_b32 s41, s1
	s_cbranch_execz .LBB316_114
; %bb.109:                              ;   in Loop: Header=BB316_11 Depth=1
	v_and_b32_e32 v39, 0x7f, v12
	v_mov_b32_e32 v36, 0x7c01
	s_mov_b32 s42, exec_lo
	v_cmpx_ne_u32_e32 0x7f, v39
	s_cbranch_execz .LBB316_113
; %bb.110:                              ;   in Loop: Header=BB316_11 Depth=1
	v_and_b32_e32 v36, 7, v12
	v_lshrrev_b32_e32 v38, 3, v39
	s_mov_b32 s43, exec_lo
	v_cmpx_gt_u32_e32 8, v39
; %bb.111:                              ;   in Loop: Header=BB316_11 Depth=1
	v_ffbh_u32_e32 v36, v36
	v_min_u32_e32 v36, 32, v36
	v_subrev_nc_u32_e32 v38, 28, v36
	v_lshlrev_b64 v[39:40], v38, v[3:4]
	v_sub_nc_u32_e32 v38, 29, v36
	v_and_b32_e32 v36, 7, v39
; %bb.112:                              ;   in Loop: Header=BB316_11 Depth=1
	s_or_b32 exec_lo, exec_lo, s43
	v_lshlrev_b32_e32 v39, 8, v12
	v_lshl_add_u32 v38, v38, 10, 0x2000
	v_lshlrev_b32_e32 v36, 7, v36
	v_and_b32_e32 v39, 0x8000, v39
	v_and_b32_e32 v38, 0xfc00, v38
	v_or3_b32 v36, v39, v38, v36
.LBB316_113:                            ;   in Loop: Header=BB316_11 Depth=1
	s_or_b32 exec_lo, exec_lo, s42
.LBB316_114:                            ;   in Loop: Header=BB316_11 Depth=1
	s_or_b32 exec_lo, exec_lo, s41
.LBB316_115:                            ;   in Loop: Header=BB316_11 Depth=1
	s_or_b32 exec_lo, exec_lo, s2
	v_lshrrev_b16 v3, 8, v3
	v_mov_b32_e32 v39, 0
	v_mov_b32_e32 v38, 0
	s_mov_b32 s2, exec_lo
	v_cmpx_ne_u16_e32 0, v3
	s_cbranch_execz .LBB316_123
; %bb.116:                              ;   in Loop: Header=BB316_11 Depth=1
	v_bfrev_b32_e32 v38, 1
	s_mov_b32 s41, exec_lo
	v_cmpx_ne_u16_e32 0x80, v3
	s_cbranch_execz .LBB316_122
; %bb.117:                              ;   in Loop: Header=BB316_11 Depth=1
	v_and_b32_sdwa v41, v3, v20 dst_sel:DWORD dst_unused:UNUSED_PAD src0_sel:WORD_0 src1_sel:DWORD
	v_mov_b32_e32 v38, 0x7c010000
	s_mov_b32 s42, exec_lo
	v_cmpx_ne_u32_e32 0x7f, v41
	s_cbranch_execz .LBB316_121
; %bb.118:                              ;   in Loop: Header=BB316_11 Depth=1
	v_and_b32_sdwa v38, v3, v21 dst_sel:DWORD dst_unused:UNUSED_PAD src0_sel:WORD_0 src1_sel:DWORD
	v_lshrrev_b32_e32 v40, 3, v41
	s_mov_b32 s43, exec_lo
	v_cmpx_gt_u32_e32 8, v41
; %bb.119:                              ;   in Loop: Header=BB316_11 Depth=1
	v_ffbh_u32_e32 v38, v38
	v_min_u32_e32 v38, 32, v38
	v_subrev_nc_u32_e32 v40, 28, v38
	v_lshlrev_b64 v[41:42], v40, v[3:4]
	v_sub_nc_u32_e32 v40, 29, v38
	v_and_b32_e32 v38, 7, v41
; %bb.120:                              ;   in Loop: Header=BB316_11 Depth=1
	s_or_b32 exec_lo, exec_lo, s43
	v_lshlrev_b32_sdwa v3, v22, v3 dst_sel:DWORD dst_unused:UNUSED_PAD src0_sel:DWORD src1_sel:WORD_0
	v_lshl_add_u32 v40, v40, 10, 0x2000
	v_lshlrev_b32_e32 v38, 23, v38
	v_and_or_b32 v3, 0x8000, v3, v40
	v_lshl_or_b32 v38, v3, 16, v38
.LBB316_121:                            ;   in Loop: Header=BB316_11 Depth=1
	s_or_b32 exec_lo, exec_lo, s42
.LBB316_122:                            ;   in Loop: Header=BB316_11 Depth=1
	s_or_b32 exec_lo, exec_lo, s41
.LBB316_123:                            ;   in Loop: Header=BB316_11 Depth=1
	s_or_b32 exec_lo, exec_lo, s2
	v_lshrrev_b32_e32 v3, 16, v12
	v_cmp_ne_u16_sdwa s1, v3, v4 src0_sel:BYTE_0 src1_sel:DWORD
	s_and_saveexec_b32 s2, s1
	s_cbranch_execz .LBB316_131
; %bb.124:                              ;   in Loop: Header=BB316_11 Depth=1
	v_cmp_ne_u16_sdwa s1, v3, v17 src0_sel:BYTE_0 src1_sel:DWORD
	v_mov_b32_e32 v39, 0x8000
	s_and_saveexec_b32 s41, s1
	s_cbranch_execz .LBB316_130
; %bb.125:                              ;   in Loop: Header=BB316_11 Depth=1
	v_bfe_u32 v41, v12, 16, 7
	v_mov_b32_e32 v39, 0x7c01
	s_mov_b32 s42, exec_lo
	v_cmpx_ne_u32_e32 0x7f, v41
	s_cbranch_execz .LBB316_129
; %bb.126:                              ;   in Loop: Header=BB316_11 Depth=1
	v_and_b32_e32 v39, 7, v3
	v_lshrrev_b32_e32 v40, 3, v41
	s_mov_b32 s43, exec_lo
	v_cmpx_gt_u32_e32 8, v41
; %bb.127:                              ;   in Loop: Header=BB316_11 Depth=1
	v_ffbh_u32_e32 v39, v39
	v_min_u32_e32 v41, 32, v39
	v_subrev_nc_u32_e32 v39, 28, v41
	v_lshlrev_b64 v[39:40], v39, v[3:4]
	v_sub_nc_u32_e32 v40, 29, v41
	v_and_b32_e32 v39, 7, v39
; %bb.128:                              ;   in Loop: Header=BB316_11 Depth=1
	s_or_b32 exec_lo, exec_lo, s43
	v_lshlrev_b32_e32 v3, 8, v3
	v_lshl_add_u32 v40, v40, 10, 0x2000
	v_lshlrev_b32_e32 v39, 7, v39
	v_and_b32_e32 v3, 0x8000, v3
	v_and_b32_e32 v40, 0xfc00, v40
	v_or3_b32 v39, v3, v40, v39
.LBB316_129:                            ;   in Loop: Header=BB316_11 Depth=1
	s_or_b32 exec_lo, exec_lo, s42
.LBB316_130:                            ;   in Loop: Header=BB316_11 Depth=1
	s_or_b32 exec_lo, exec_lo, s41
.LBB316_131:                            ;   in Loop: Header=BB316_11 Depth=1
	s_or_b32 exec_lo, exec_lo, s2
	v_mov_b32_e32 v41, 0
	v_mov_b32_e32 v40, 0
	s_mov_b32 s2, exec_lo
	v_cmpx_lt_u64_e64 s[4:5], v[11:12]
	s_cbranch_execz .LBB316_139
; %bb.132:                              ;   in Loop: Header=BB316_11 Depth=1
	v_lshrrev_b32_e32 v3, 24, v12
	v_bfrev_b32_e32 v40, 1
	s_mov_b32 s41, exec_lo
	v_cmpx_ne_u32_e32 0x80, v3
	s_cbranch_execz .LBB316_138
; %bb.133:                              ;   in Loop: Header=BB316_11 Depth=1
	v_and_b32_e32 v42, 0x7f, v3
	v_mov_b32_e32 v40, 0x7c010000
	s_mov_b32 s42, exec_lo
	v_cmpx_ne_u32_e32 0x7f, v42
	s_cbranch_execz .LBB316_137
; %bb.134:                              ;   in Loop: Header=BB316_11 Depth=1
	v_and_b32_e32 v11, 7, v3
	v_lshrrev_b32_e32 v12, 3, v42
	s_mov_b32 s43, exec_lo
	v_cmpx_gt_u32_e32 8, v42
; %bb.135:                              ;   in Loop: Header=BB316_11 Depth=1
	v_ffbh_u32_e32 v11, v11
	v_min_u32_e32 v40, 32, v11
	v_subrev_nc_u32_e32 v11, 28, v40
	v_lshlrev_b64 v[11:12], v11, v[3:4]
	v_sub_nc_u32_e32 v12, 29, v40
	v_and_b32_e32 v11, 7, v11
; %bb.136:                              ;   in Loop: Header=BB316_11 Depth=1
	s_or_b32 exec_lo, exec_lo, s43
	v_lshlrev_b32_e32 v3, 8, v3
	v_lshl_add_u32 v12, v12, 10, 0x2000
	v_lshlrev_b32_e32 v11, 23, v11
	v_and_or_b32 v3, 0x8000, v3, v12
	v_lshl_or_b32 v40, v3, 16, v11
.LBB316_137:                            ;   in Loop: Header=BB316_11 Depth=1
	s_or_b32 exec_lo, exec_lo, s42
.LBB316_138:                            ;   in Loop: Header=BB316_11 Depth=1
	s_or_b32 exec_lo, exec_lo, s41
.LBB316_139:                            ;   in Loop: Header=BB316_11 Depth=1
	s_or_b32 exec_lo, exec_lo, s2
	global_load_dwordx2 v[11:12], v[9:10], off offset:512
	s_waitcnt vmcnt(0)
	v_cmp_ne_u16_sdwa s1, v11, v4 src0_sel:BYTE_0 src1_sel:DWORD
	s_and_saveexec_b32 s2, s1
	s_cbranch_execz .LBB316_147
; %bb.140:                              ;   in Loop: Header=BB316_11 Depth=1
	v_cmp_ne_u16_sdwa s1, v11, v17 src0_sel:BYTE_0 src1_sel:DWORD
	v_mov_b32_e32 v41, 0x8000
	s_and_saveexec_b32 s41, s1
	s_cbranch_execz .LBB316_146
; %bb.141:                              ;   in Loop: Header=BB316_11 Depth=1
	v_and_b32_e32 v42, 0x7f, v11
	v_mov_b32_e32 v41, 0x7c01
	s_mov_b32 s42, exec_lo
	v_cmpx_ne_u32_e32 0x7f, v42
	s_cbranch_execz .LBB316_145
; %bb.142:                              ;   in Loop: Header=BB316_11 Depth=1
	v_and_b32_e32 v3, 7, v11
	v_lshrrev_b32_e32 v41, 3, v42
	s_mov_b32 s43, exec_lo
	v_cmpx_gt_u32_e32 8, v42
; %bb.143:                              ;   in Loop: Header=BB316_11 Depth=1
	v_ffbh_u32_e32 v3, v3
	v_min_u32_e32 v3, 32, v3
	v_subrev_nc_u32_e32 v41, 28, v3
	v_lshlrev_b64 v[42:43], v41, v[11:12]
	v_sub_nc_u32_e32 v41, 29, v3
	v_and_b32_e32 v3, 7, v42
; %bb.144:                              ;   in Loop: Header=BB316_11 Depth=1
	s_or_b32 exec_lo, exec_lo, s43
	v_lshlrev_b32_e32 v42, 8, v11
	v_lshl_add_u32 v41, v41, 10, 0x2000
	v_lshlrev_b32_e32 v3, 7, v3
	v_and_b32_e32 v42, 0x8000, v42
	v_and_b32_e32 v41, 0xfc00, v41
	v_or3_b32 v41, v42, v41, v3
.LBB316_145:                            ;   in Loop: Header=BB316_11 Depth=1
	s_or_b32 exec_lo, exec_lo, s42
.LBB316_146:                            ;   in Loop: Header=BB316_11 Depth=1
	s_or_b32 exec_lo, exec_lo, s41
.LBB316_147:                            ;   in Loop: Header=BB316_11 Depth=1
	s_or_b32 exec_lo, exec_lo, s2
	v_lshrrev_b16 v3, 8, v11
	v_mov_b32_e32 v43, 0
	v_mov_b32_e32 v42, 0
	s_mov_b32 s2, exec_lo
	v_cmpx_ne_u16_e32 0, v3
	s_cbranch_execz .LBB316_155
; %bb.148:                              ;   in Loop: Header=BB316_11 Depth=1
	v_bfrev_b32_e32 v42, 1
	s_mov_b32 s41, exec_lo
	v_cmpx_ne_u16_e32 0x80, v3
	s_cbranch_execz .LBB316_154
; %bb.149:                              ;   in Loop: Header=BB316_11 Depth=1
	v_and_b32_sdwa v45, v3, v20 dst_sel:DWORD dst_unused:UNUSED_PAD src0_sel:WORD_0 src1_sel:DWORD
	v_mov_b32_e32 v42, 0x7c010000
	s_mov_b32 s42, exec_lo
	v_cmpx_ne_u32_e32 0x7f, v45
	s_cbranch_execz .LBB316_153
; %bb.150:                              ;   in Loop: Header=BB316_11 Depth=1
	v_and_b32_sdwa v42, v3, v21 dst_sel:DWORD dst_unused:UNUSED_PAD src0_sel:WORD_0 src1_sel:DWORD
	v_lshrrev_b32_e32 v44, 3, v45
	s_mov_b32 s43, exec_lo
	v_cmpx_gt_u32_e32 8, v45
; %bb.151:                              ;   in Loop: Header=BB316_11 Depth=1
	v_ffbh_u32_e32 v42, v42
	v_min_u32_e32 v42, 32, v42
	v_subrev_nc_u32_e32 v44, 28, v42
	v_lshlrev_b64 v[45:46], v44, v[3:4]
	v_sub_nc_u32_e32 v44, 29, v42
	v_and_b32_e32 v42, 7, v45
; %bb.152:                              ;   in Loop: Header=BB316_11 Depth=1
	s_or_b32 exec_lo, exec_lo, s43
	v_lshlrev_b32_sdwa v3, v22, v3 dst_sel:DWORD dst_unused:UNUSED_PAD src0_sel:DWORD src1_sel:WORD_0
	v_lshl_add_u32 v44, v44, 10, 0x2000
	v_lshlrev_b32_e32 v42, 23, v42
	v_and_or_b32 v3, 0x8000, v3, v44
	v_lshl_or_b32 v42, v3, 16, v42
.LBB316_153:                            ;   in Loop: Header=BB316_11 Depth=1
	s_or_b32 exec_lo, exec_lo, s42
.LBB316_154:                            ;   in Loop: Header=BB316_11 Depth=1
	s_or_b32 exec_lo, exec_lo, s41
.LBB316_155:                            ;   in Loop: Header=BB316_11 Depth=1
	s_or_b32 exec_lo, exec_lo, s2
	v_lshrrev_b32_e32 v3, 16, v11
	v_cmp_ne_u16_sdwa s1, v3, v4 src0_sel:BYTE_0 src1_sel:DWORD
	s_and_saveexec_b32 s2, s1
	s_cbranch_execz .LBB316_163
; %bb.156:                              ;   in Loop: Header=BB316_11 Depth=1
	v_cmp_ne_u16_sdwa s1, v3, v17 src0_sel:BYTE_0 src1_sel:DWORD
	v_mov_b32_e32 v43, 0x8000
	s_and_saveexec_b32 s41, s1
	s_cbranch_execz .LBB316_162
; %bb.157:                              ;   in Loop: Header=BB316_11 Depth=1
	v_bfe_u32 v45, v11, 16, 7
	v_mov_b32_e32 v43, 0x7c01
	s_mov_b32 s42, exec_lo
	v_cmpx_ne_u32_e32 0x7f, v45
	s_cbranch_execz .LBB316_161
; %bb.158:                              ;   in Loop: Header=BB316_11 Depth=1
	v_and_b32_e32 v43, 7, v3
	v_lshrrev_b32_e32 v44, 3, v45
	s_mov_b32 s43, exec_lo
	v_cmpx_gt_u32_e32 8, v45
; %bb.159:                              ;   in Loop: Header=BB316_11 Depth=1
	v_ffbh_u32_e32 v43, v43
	v_min_u32_e32 v45, 32, v43
	v_subrev_nc_u32_e32 v43, 28, v45
	v_lshlrev_b64 v[43:44], v43, v[3:4]
	v_sub_nc_u32_e32 v44, 29, v45
	v_and_b32_e32 v43, 7, v43
; %bb.160:                              ;   in Loop: Header=BB316_11 Depth=1
	s_or_b32 exec_lo, exec_lo, s43
	v_lshlrev_b32_e32 v3, 8, v3
	v_lshl_add_u32 v44, v44, 10, 0x2000
	v_lshlrev_b32_e32 v43, 7, v43
	v_and_b32_e32 v3, 0x8000, v3
	v_and_b32_e32 v44, 0xfc00, v44
	v_or3_b32 v43, v3, v44, v43
.LBB316_161:                            ;   in Loop: Header=BB316_11 Depth=1
	s_or_b32 exec_lo, exec_lo, s42
.LBB316_162:                            ;   in Loop: Header=BB316_11 Depth=1
	s_or_b32 exec_lo, exec_lo, s41
.LBB316_163:                            ;   in Loop: Header=BB316_11 Depth=1
	s_or_b32 exec_lo, exec_lo, s2
	v_mov_b32_e32 v45, 0
	v_mov_b32_e32 v46, 0
	s_mov_b32 s2, exec_lo
	v_cmpx_lt_u32_e32 0xffffff, v11
	s_cbranch_execz .LBB316_171
; %bb.164:                              ;   in Loop: Header=BB316_11 Depth=1
	v_lshrrev_b32_e32 v3, 24, v11
	v_bfrev_b32_e32 v46, 1
	s_mov_b32 s41, exec_lo
	v_cmpx_ne_u32_e32 0x80, v3
	s_cbranch_execz .LBB316_170
; %bb.165:                              ;   in Loop: Header=BB316_11 Depth=1
	v_and_b32_e32 v47, 0x7f, v3
	v_mov_b32_e32 v46, 0x7c010000
	s_mov_b32 s42, exec_lo
	v_cmpx_ne_u32_e32 0x7f, v47
	s_cbranch_execz .LBB316_169
; %bb.166:                              ;   in Loop: Header=BB316_11 Depth=1
	v_and_b32_e32 v44, 7, v3
	v_lshrrev_b32_e32 v46, 3, v47
	s_mov_b32 s43, exec_lo
	v_cmpx_gt_u32_e32 8, v47
; %bb.167:                              ;   in Loop: Header=BB316_11 Depth=1
	v_ffbh_u32_e32 v44, v44
	v_min_u32_e32 v44, 32, v44
	v_subrev_nc_u32_e32 v46, 28, v44
	v_lshlrev_b64 v[47:48], v46, v[3:4]
	v_sub_nc_u32_e32 v46, 29, v44
	v_and_b32_e32 v44, 7, v47
; %bb.168:                              ;   in Loop: Header=BB316_11 Depth=1
	s_or_b32 exec_lo, exec_lo, s43
	v_lshlrev_b32_e32 v3, 8, v3
	v_lshl_add_u32 v46, v46, 10, 0x2000
	v_lshlrev_b32_e32 v44, 23, v44
	v_and_or_b32 v3, 0x8000, v3, v46
	v_lshl_or_b32 v46, v3, 16, v44
.LBB316_169:                            ;   in Loop: Header=BB316_11 Depth=1
	s_or_b32 exec_lo, exec_lo, s42
.LBB316_170:                            ;   in Loop: Header=BB316_11 Depth=1
	s_or_b32 exec_lo, exec_lo, s41
.LBB316_171:                            ;   in Loop: Header=BB316_11 Depth=1
	s_or_b32 exec_lo, exec_lo, s2
	v_mov_b32_e32 v3, v12
	v_cmp_ne_u16_sdwa s1, v12, v4 src0_sel:BYTE_0 src1_sel:DWORD
	s_and_saveexec_b32 s2, s1
	s_cbranch_execz .LBB316_179
; %bb.172:                              ;   in Loop: Header=BB316_11 Depth=1
	v_cmp_ne_u16_sdwa s1, v12, v17 src0_sel:BYTE_0 src1_sel:DWORD
	v_mov_b32_e32 v45, 0x8000
	s_and_saveexec_b32 s41, s1
	s_cbranch_execz .LBB316_178
; %bb.173:                              ;   in Loop: Header=BB316_11 Depth=1
	v_and_b32_e32 v47, 0x7f, v12
	v_mov_b32_e32 v45, 0x7c01
	s_mov_b32 s42, exec_lo
	v_cmpx_ne_u32_e32 0x7f, v47
	s_cbranch_execz .LBB316_177
; %bb.174:                              ;   in Loop: Header=BB316_11 Depth=1
	v_and_b32_e32 v44, 7, v12
	v_lshrrev_b32_e32 v45, 3, v47
	s_mov_b32 s43, exec_lo
	v_cmpx_gt_u32_e32 8, v47
; %bb.175:                              ;   in Loop: Header=BB316_11 Depth=1
	v_ffbh_u32_e32 v44, v44
	v_min_u32_e32 v47, 32, v44
	v_subrev_nc_u32_e32 v44, 28, v47
	v_lshlrev_b64 v[44:45], v44, v[3:4]
	v_sub_nc_u32_e32 v45, 29, v47
	v_and_b32_e32 v44, 7, v44
; %bb.176:                              ;   in Loop: Header=BB316_11 Depth=1
	s_or_b32 exec_lo, exec_lo, s43
	v_lshlrev_b32_e32 v47, 8, v12
	v_lshl_add_u32 v45, v45, 10, 0x2000
	v_lshlrev_b32_e32 v44, 7, v44
	v_and_b32_e32 v47, 0x8000, v47
	v_and_b32_e32 v45, 0xfc00, v45
	v_or3_b32 v45, v47, v45, v44
.LBB316_177:                            ;   in Loop: Header=BB316_11 Depth=1
	s_or_b32 exec_lo, exec_lo, s42
.LBB316_178:                            ;   in Loop: Header=BB316_11 Depth=1
	s_or_b32 exec_lo, exec_lo, s41
.LBB316_179:                            ;   in Loop: Header=BB316_11 Depth=1
	s_or_b32 exec_lo, exec_lo, s2
	v_lshrrev_b16 v3, 8, v3
	v_mov_b32_e32 v48, 0
	v_mov_b32_e32 v44, 0
	s_mov_b32 s2, exec_lo
	v_cmpx_ne_u16_e32 0, v3
	s_cbranch_execz .LBB316_187
; %bb.180:                              ;   in Loop: Header=BB316_11 Depth=1
	v_bfrev_b32_e32 v44, 1
	s_mov_b32 s41, exec_lo
	v_cmpx_ne_u16_e32 0x80, v3
	s_cbranch_execz .LBB316_186
; %bb.181:                              ;   in Loop: Header=BB316_11 Depth=1
	v_and_b32_sdwa v49, v3, v20 dst_sel:DWORD dst_unused:UNUSED_PAD src0_sel:WORD_0 src1_sel:DWORD
	v_mov_b32_e32 v44, 0x7c010000
	s_mov_b32 s42, exec_lo
	v_cmpx_ne_u32_e32 0x7f, v49
	s_cbranch_execz .LBB316_185
; %bb.182:                              ;   in Loop: Header=BB316_11 Depth=1
	v_and_b32_sdwa v44, v3, v21 dst_sel:DWORD dst_unused:UNUSED_PAD src0_sel:WORD_0 src1_sel:DWORD
	v_lshrrev_b32_e32 v47, 3, v49
	s_mov_b32 s43, exec_lo
	v_cmpx_gt_u32_e32 8, v49
; %bb.183:                              ;   in Loop: Header=BB316_11 Depth=1
	v_ffbh_u32_e32 v44, v44
	v_min_u32_e32 v44, 32, v44
	v_subrev_nc_u32_e32 v47, 28, v44
	v_lshlrev_b64 v[49:50], v47, v[3:4]
	v_sub_nc_u32_e32 v47, 29, v44
	v_and_b32_e32 v44, 7, v49
; %bb.184:                              ;   in Loop: Header=BB316_11 Depth=1
	s_or_b32 exec_lo, exec_lo, s43
	v_lshlrev_b32_sdwa v3, v22, v3 dst_sel:DWORD dst_unused:UNUSED_PAD src0_sel:DWORD src1_sel:WORD_0
	v_lshl_add_u32 v47, v47, 10, 0x2000
	v_lshlrev_b32_e32 v44, 23, v44
	v_and_or_b32 v3, 0x8000, v3, v47
	v_lshl_or_b32 v44, v3, 16, v44
.LBB316_185:                            ;   in Loop: Header=BB316_11 Depth=1
	s_or_b32 exec_lo, exec_lo, s42
.LBB316_186:                            ;   in Loop: Header=BB316_11 Depth=1
	s_or_b32 exec_lo, exec_lo, s41
.LBB316_187:                            ;   in Loop: Header=BB316_11 Depth=1
	s_or_b32 exec_lo, exec_lo, s2
	v_lshrrev_b32_e32 v3, 16, v12
	v_cmp_ne_u16_sdwa s1, v3, v4 src0_sel:BYTE_0 src1_sel:DWORD
	s_and_saveexec_b32 s2, s1
	s_cbranch_execz .LBB316_195
; %bb.188:                              ;   in Loop: Header=BB316_11 Depth=1
	v_cmp_ne_u16_sdwa s1, v3, v17 src0_sel:BYTE_0 src1_sel:DWORD
	v_mov_b32_e32 v48, 0x8000
	s_and_saveexec_b32 s41, s1
	s_cbranch_execz .LBB316_194
; %bb.189:                              ;   in Loop: Header=BB316_11 Depth=1
	v_bfe_u32 v49, v12, 16, 7
	v_mov_b32_e32 v48, 0x7c01
	s_mov_b32 s42, exec_lo
	v_cmpx_ne_u32_e32 0x7f, v49
	s_cbranch_execz .LBB316_193
; %bb.190:                              ;   in Loop: Header=BB316_11 Depth=1
	v_and_b32_e32 v47, 7, v3
	v_lshrrev_b32_e32 v48, 3, v49
	s_mov_b32 s43, exec_lo
	v_cmpx_gt_u32_e32 8, v49
; %bb.191:                              ;   in Loop: Header=BB316_11 Depth=1
	v_ffbh_u32_e32 v47, v47
	v_min_u32_e32 v49, 32, v47
	v_subrev_nc_u32_e32 v47, 28, v49
	v_lshlrev_b64 v[47:48], v47, v[3:4]
	v_sub_nc_u32_e32 v48, 29, v49
	v_and_b32_e32 v47, 7, v47
; %bb.192:                              ;   in Loop: Header=BB316_11 Depth=1
	s_or_b32 exec_lo, exec_lo, s43
	v_lshlrev_b32_e32 v3, 8, v3
	v_lshl_add_u32 v48, v48, 10, 0x2000
	v_lshlrev_b32_e32 v47, 7, v47
	v_and_b32_e32 v3, 0x8000, v3
	v_and_b32_e32 v48, 0xfc00, v48
	v_or3_b32 v48, v3, v48, v47
.LBB316_193:                            ;   in Loop: Header=BB316_11 Depth=1
	s_or_b32 exec_lo, exec_lo, s42
.LBB316_194:                            ;   in Loop: Header=BB316_11 Depth=1
	s_or_b32 exec_lo, exec_lo, s41
.LBB316_195:                            ;   in Loop: Header=BB316_11 Depth=1
	s_or_b32 exec_lo, exec_lo, s2
	v_cmp_lt_u64_e64 s1, s[4:5], v[11:12]
	v_mov_b32_e32 v11, 0
	v_mov_b32_e32 v47, 0
	s_and_saveexec_b32 s2, s1
	s_cbranch_execz .LBB316_203
; %bb.196:                              ;   in Loop: Header=BB316_11 Depth=1
	v_lshrrev_b32_e32 v3, 24, v12
	v_bfrev_b32_e32 v47, 1
	s_mov_b32 s41, exec_lo
	v_cmpx_ne_u32_e32 0x80, v3
	s_cbranch_execz .LBB316_202
; %bb.197:                              ;   in Loop: Header=BB316_11 Depth=1
	v_and_b32_e32 v49, 0x7f, v3
	v_mov_b32_e32 v47, 0x7c010000
	s_mov_b32 s42, exec_lo
	v_cmpx_ne_u32_e32 0x7f, v49
	s_cbranch_execz .LBB316_201
; %bb.198:                              ;   in Loop: Header=BB316_11 Depth=1
	v_and_b32_e32 v12, 7, v3
	v_lshrrev_b32_e32 v47, 3, v49
	s_mov_b32 s43, exec_lo
	v_cmpx_gt_u32_e32 8, v49
; %bb.199:                              ;   in Loop: Header=BB316_11 Depth=1
	v_ffbh_u32_e32 v12, v12
	v_min_u32_e32 v12, 32, v12
	v_subrev_nc_u32_e32 v47, 28, v12
	v_lshlrev_b64 v[49:50], v47, v[3:4]
	v_sub_nc_u32_e32 v47, 29, v12
	v_and_b32_e32 v12, 7, v49
; %bb.200:                              ;   in Loop: Header=BB316_11 Depth=1
	s_or_b32 exec_lo, exec_lo, s43
	v_lshlrev_b32_e32 v3, 8, v3
	v_lshl_add_u32 v47, v47, 10, 0x2000
	v_lshlrev_b32_e32 v12, 23, v12
	v_and_or_b32 v3, 0x8000, v3, v47
	v_lshl_or_b32 v47, v3, 16, v12
.LBB316_201:                            ;   in Loop: Header=BB316_11 Depth=1
	s_or_b32 exec_lo, exec_lo, s42
.LBB316_202:                            ;   in Loop: Header=BB316_11 Depth=1
	s_or_b32 exec_lo, exec_lo, s41
.LBB316_203:                            ;   in Loop: Header=BB316_11 Depth=1
	s_or_b32 exec_lo, exec_lo, s2
	global_load_dwordx2 v[9:10], v[9:10], off offset:520
	s_waitcnt vmcnt(0)
	v_cmp_ne_u16_sdwa s1, v9, v4 src0_sel:BYTE_0 src1_sel:DWORD
	s_and_saveexec_b32 s2, s1
	s_cbranch_execz .LBB316_211
; %bb.204:                              ;   in Loop: Header=BB316_11 Depth=1
	v_cmp_ne_u16_sdwa s1, v9, v17 src0_sel:BYTE_0 src1_sel:DWORD
	v_mov_b32_e32 v11, 0x8000
	s_and_saveexec_b32 s41, s1
	s_cbranch_execz .LBB316_210
; %bb.205:                              ;   in Loop: Header=BB316_11 Depth=1
	v_and_b32_e32 v12, 0x7f, v9
	v_mov_b32_e32 v11, 0x7c01
	s_mov_b32 s42, exec_lo
	v_cmpx_ne_u32_e32 0x7f, v12
	s_cbranch_execz .LBB316_209
; %bb.206:                              ;   in Loop: Header=BB316_11 Depth=1
	v_and_b32_e32 v3, 7, v9
	v_lshrrev_b32_e32 v11, 3, v12
	s_mov_b32 s43, exec_lo
	v_cmpx_gt_u32_e32 8, v12
; %bb.207:                              ;   in Loop: Header=BB316_11 Depth=1
	v_ffbh_u32_e32 v3, v3
	v_min_u32_e32 v3, 32, v3
	v_subrev_nc_u32_e32 v11, 28, v3
	v_lshlrev_b64 v[49:50], v11, v[9:10]
	v_sub_nc_u32_e32 v11, 29, v3
	v_and_b32_e32 v3, 7, v49
; %bb.208:                              ;   in Loop: Header=BB316_11 Depth=1
	s_or_b32 exec_lo, exec_lo, s43
	v_lshlrev_b32_e32 v12, 8, v9
	v_lshl_add_u32 v11, v11, 10, 0x2000
	v_lshlrev_b32_e32 v3, 7, v3
	v_and_b32_e32 v12, 0x8000, v12
	v_and_b32_e32 v11, 0xfc00, v11
	v_or3_b32 v11, v12, v11, v3
.LBB316_209:                            ;   in Loop: Header=BB316_11 Depth=1
	s_or_b32 exec_lo, exec_lo, s42
.LBB316_210:                            ;   in Loop: Header=BB316_11 Depth=1
	s_or_b32 exec_lo, exec_lo, s41
.LBB316_211:                            ;   in Loop: Header=BB316_11 Depth=1
	s_or_b32 exec_lo, exec_lo, s2
	v_lshrrev_b16 v3, 8, v9
	v_mov_b32_e32 v49, 0
	v_mov_b32_e32 v12, 0
	s_mov_b32 s2, exec_lo
	v_cmpx_ne_u16_e32 0, v3
	s_cbranch_execz .LBB316_219
; %bb.212:                              ;   in Loop: Header=BB316_11 Depth=1
	v_bfrev_b32_e32 v12, 1
	s_mov_b32 s41, exec_lo
	v_cmpx_ne_u16_e32 0x80, v3
	s_cbranch_execz .LBB316_218
; %bb.213:                              ;   in Loop: Header=BB316_11 Depth=1
	v_and_b32_sdwa v51, v3, v20 dst_sel:DWORD dst_unused:UNUSED_PAD src0_sel:WORD_0 src1_sel:DWORD
	v_mov_b32_e32 v12, 0x7c010000
	s_mov_b32 s42, exec_lo
	v_cmpx_ne_u32_e32 0x7f, v51
	s_cbranch_execz .LBB316_217
; %bb.214:                              ;   in Loop: Header=BB316_11 Depth=1
	v_and_b32_sdwa v12, v3, v21 dst_sel:DWORD dst_unused:UNUSED_PAD src0_sel:WORD_0 src1_sel:DWORD
	v_lshrrev_b32_e32 v50, 3, v51
	s_mov_b32 s43, exec_lo
	v_cmpx_gt_u32_e32 8, v51
; %bb.215:                              ;   in Loop: Header=BB316_11 Depth=1
	v_ffbh_u32_e32 v12, v12
	v_min_u32_e32 v12, 32, v12
	v_subrev_nc_u32_e32 v50, 28, v12
	v_lshlrev_b64 v[51:52], v50, v[3:4]
	v_sub_nc_u32_e32 v50, 29, v12
	v_and_b32_e32 v12, 7, v51
; %bb.216:                              ;   in Loop: Header=BB316_11 Depth=1
	s_or_b32 exec_lo, exec_lo, s43
	v_lshlrev_b32_sdwa v3, v22, v3 dst_sel:DWORD dst_unused:UNUSED_PAD src0_sel:DWORD src1_sel:WORD_0
	v_lshl_add_u32 v50, v50, 10, 0x2000
	v_lshlrev_b32_e32 v12, 23, v12
	v_and_or_b32 v3, 0x8000, v3, v50
	v_lshl_or_b32 v12, v3, 16, v12
.LBB316_217:                            ;   in Loop: Header=BB316_11 Depth=1
	s_or_b32 exec_lo, exec_lo, s42
.LBB316_218:                            ;   in Loop: Header=BB316_11 Depth=1
	s_or_b32 exec_lo, exec_lo, s41
.LBB316_219:                            ;   in Loop: Header=BB316_11 Depth=1
	s_or_b32 exec_lo, exec_lo, s2
	v_lshrrev_b32_e32 v3, 16, v9
	v_cmp_ne_u16_sdwa s1, v3, v4 src0_sel:BYTE_0 src1_sel:DWORD
	s_and_saveexec_b32 s2, s1
	s_cbranch_execz .LBB316_227
; %bb.220:                              ;   in Loop: Header=BB316_11 Depth=1
	v_cmp_ne_u16_sdwa s1, v3, v17 src0_sel:BYTE_0 src1_sel:DWORD
	v_mov_b32_e32 v49, 0x8000
	s_and_saveexec_b32 s41, s1
	s_cbranch_execz .LBB316_226
; %bb.221:                              ;   in Loop: Header=BB316_11 Depth=1
	v_bfe_u32 v51, v9, 16, 7
	v_mov_b32_e32 v49, 0x7c01
	s_mov_b32 s42, exec_lo
	v_cmpx_ne_u32_e32 0x7f, v51
	s_cbranch_execz .LBB316_225
; %bb.222:                              ;   in Loop: Header=BB316_11 Depth=1
	v_and_b32_e32 v49, 7, v3
	v_lshrrev_b32_e32 v50, 3, v51
	s_mov_b32 s43, exec_lo
	v_cmpx_gt_u32_e32 8, v51
; %bb.223:                              ;   in Loop: Header=BB316_11 Depth=1
	v_ffbh_u32_e32 v49, v49
	v_min_u32_e32 v51, 32, v49
	v_subrev_nc_u32_e32 v49, 28, v51
	v_lshlrev_b64 v[49:50], v49, v[3:4]
	v_sub_nc_u32_e32 v50, 29, v51
	v_and_b32_e32 v49, 7, v49
; %bb.224:                              ;   in Loop: Header=BB316_11 Depth=1
	s_or_b32 exec_lo, exec_lo, s43
	v_lshlrev_b32_e32 v3, 8, v3
	v_lshl_add_u32 v50, v50, 10, 0x2000
	v_lshlrev_b32_e32 v49, 7, v49
	v_and_b32_e32 v3, 0x8000, v3
	v_and_b32_e32 v50, 0xfc00, v50
	v_or3_b32 v49, v3, v50, v49
.LBB316_225:                            ;   in Loop: Header=BB316_11 Depth=1
	s_or_b32 exec_lo, exec_lo, s42
.LBB316_226:                            ;   in Loop: Header=BB316_11 Depth=1
	s_or_b32 exec_lo, exec_lo, s41
.LBB316_227:                            ;   in Loop: Header=BB316_11 Depth=1
	s_or_b32 exec_lo, exec_lo, s2
	v_mov_b32_e32 v50, 0
	v_mov_b32_e32 v51, 0
	s_mov_b32 s2, exec_lo
	v_cmpx_lt_u32_e32 0xffffff, v9
	s_cbranch_execz .LBB316_235
; %bb.228:                              ;   in Loop: Header=BB316_11 Depth=1
	v_lshrrev_b32_e32 v3, 24, v9
	v_bfrev_b32_e32 v51, 1
	s_mov_b32 s41, exec_lo
	v_cmpx_ne_u32_e32 0x80, v3
	s_cbranch_execz .LBB316_234
; %bb.229:                              ;   in Loop: Header=BB316_11 Depth=1
	v_and_b32_e32 v53, 0x7f, v3
	v_mov_b32_e32 v51, 0x7c010000
	s_mov_b32 s42, exec_lo
	v_cmpx_ne_u32_e32 0x7f, v53
	s_cbranch_execz .LBB316_233
; %bb.230:                              ;   in Loop: Header=BB316_11 Depth=1
	v_and_b32_e32 v51, 7, v3
	v_lshrrev_b32_e32 v52, 3, v53
	s_mov_b32 s43, exec_lo
	v_cmpx_gt_u32_e32 8, v53
; %bb.231:                              ;   in Loop: Header=BB316_11 Depth=1
	v_ffbh_u32_e32 v51, v51
	v_min_u32_e32 v53, 32, v51
	v_subrev_nc_u32_e32 v51, 28, v53
	v_lshlrev_b64 v[51:52], v51, v[3:4]
	v_sub_nc_u32_e32 v52, 29, v53
	v_and_b32_e32 v51, 7, v51
; %bb.232:                              ;   in Loop: Header=BB316_11 Depth=1
	s_or_b32 exec_lo, exec_lo, s43
	v_lshlrev_b32_e32 v3, 8, v3
	v_lshl_add_u32 v52, v52, 10, 0x2000
	v_lshlrev_b32_e32 v51, 23, v51
	v_and_or_b32 v3, 0x8000, v3, v52
	v_lshl_or_b32 v51, v3, 16, v51
.LBB316_233:                            ;   in Loop: Header=BB316_11 Depth=1
	s_or_b32 exec_lo, exec_lo, s42
.LBB316_234:                            ;   in Loop: Header=BB316_11 Depth=1
	s_or_b32 exec_lo, exec_lo, s41
.LBB316_235:                            ;   in Loop: Header=BB316_11 Depth=1
	s_or_b32 exec_lo, exec_lo, s2
	v_mov_b32_e32 v3, v10
	v_cmp_ne_u16_sdwa s1, v10, v4 src0_sel:BYTE_0 src1_sel:DWORD
	s_and_saveexec_b32 s2, s1
	s_cbranch_execz .LBB316_243
; %bb.236:                              ;   in Loop: Header=BB316_11 Depth=1
	v_cmp_ne_u16_sdwa s1, v10, v17 src0_sel:BYTE_0 src1_sel:DWORD
	v_mov_b32_e32 v50, 0x8000
	s_and_saveexec_b32 s41, s1
	s_cbranch_execz .LBB316_242
; %bb.237:                              ;   in Loop: Header=BB316_11 Depth=1
	v_and_b32_e32 v53, 0x7f, v10
	v_mov_b32_e32 v50, 0x7c01
	s_mov_b32 s42, exec_lo
	v_cmpx_ne_u32_e32 0x7f, v53
	s_cbranch_execz .LBB316_241
; %bb.238:                              ;   in Loop: Header=BB316_11 Depth=1
	v_and_b32_e32 v50, 7, v10
	v_lshrrev_b32_e32 v52, 3, v53
	s_mov_b32 s43, exec_lo
	v_cmpx_gt_u32_e32 8, v53
; %bb.239:                              ;   in Loop: Header=BB316_11 Depth=1
	v_ffbh_u32_e32 v50, v50
	v_min_u32_e32 v50, 32, v50
	v_subrev_nc_u32_e32 v52, 28, v50
	v_lshlrev_b64 v[53:54], v52, v[3:4]
	v_sub_nc_u32_e32 v52, 29, v50
	v_and_b32_e32 v50, 7, v53
; %bb.240:                              ;   in Loop: Header=BB316_11 Depth=1
	s_or_b32 exec_lo, exec_lo, s43
	v_lshlrev_b32_e32 v53, 8, v10
	v_lshl_add_u32 v52, v52, 10, 0x2000
	v_lshlrev_b32_e32 v50, 7, v50
	v_and_b32_e32 v53, 0x8000, v53
	v_and_b32_e32 v52, 0xfc00, v52
	v_or3_b32 v50, v53, v52, v50
.LBB316_241:                            ;   in Loop: Header=BB316_11 Depth=1
	s_or_b32 exec_lo, exec_lo, s42
.LBB316_242:                            ;   in Loop: Header=BB316_11 Depth=1
	s_or_b32 exec_lo, exec_lo, s41
.LBB316_243:                            ;   in Loop: Header=BB316_11 Depth=1
	s_or_b32 exec_lo, exec_lo, s2
	v_lshrrev_b16 v3, 8, v3
	v_mov_b32_e32 v53, 0
	v_mov_b32_e32 v52, 0
	s_mov_b32 s2, exec_lo
	v_cmpx_ne_u16_e32 0, v3
	s_cbranch_execz .LBB316_251
; %bb.244:                              ;   in Loop: Header=BB316_11 Depth=1
	v_bfrev_b32_e32 v52, 1
	s_mov_b32 s41, exec_lo
	v_cmpx_ne_u16_e32 0x80, v3
	s_cbranch_execz .LBB316_250
; %bb.245:                              ;   in Loop: Header=BB316_11 Depth=1
	v_and_b32_sdwa v55, v3, v20 dst_sel:DWORD dst_unused:UNUSED_PAD src0_sel:WORD_0 src1_sel:DWORD
	v_mov_b32_e32 v52, 0x7c010000
	s_mov_b32 s42, exec_lo
	v_cmpx_ne_u32_e32 0x7f, v55
	s_cbranch_execz .LBB316_249
; %bb.246:                              ;   in Loop: Header=BB316_11 Depth=1
	v_and_b32_sdwa v52, v3, v21 dst_sel:DWORD dst_unused:UNUSED_PAD src0_sel:WORD_0 src1_sel:DWORD
	v_lshrrev_b32_e32 v54, 3, v55
	s_mov_b32 s43, exec_lo
	v_cmpx_gt_u32_e32 8, v55
; %bb.247:                              ;   in Loop: Header=BB316_11 Depth=1
	v_ffbh_u32_e32 v52, v52
	v_min_u32_e32 v52, 32, v52
	v_subrev_nc_u32_e32 v54, 28, v52
	v_lshlrev_b64 v[55:56], v54, v[3:4]
	v_sub_nc_u32_e32 v54, 29, v52
	v_and_b32_e32 v52, 7, v55
; %bb.248:                              ;   in Loop: Header=BB316_11 Depth=1
	s_or_b32 exec_lo, exec_lo, s43
	v_lshlrev_b32_sdwa v3, v22, v3 dst_sel:DWORD dst_unused:UNUSED_PAD src0_sel:DWORD src1_sel:WORD_0
	v_lshl_add_u32 v54, v54, 10, 0x2000
	v_lshlrev_b32_e32 v52, 23, v52
	v_and_or_b32 v3, 0x8000, v3, v54
	v_lshl_or_b32 v52, v3, 16, v52
.LBB316_249:                            ;   in Loop: Header=BB316_11 Depth=1
	s_or_b32 exec_lo, exec_lo, s42
.LBB316_250:                            ;   in Loop: Header=BB316_11 Depth=1
	s_or_b32 exec_lo, exec_lo, s41
.LBB316_251:                            ;   in Loop: Header=BB316_11 Depth=1
	s_or_b32 exec_lo, exec_lo, s2
	v_lshrrev_b32_e32 v3, 16, v10
	v_cmp_ne_u16_sdwa s1, v3, v4 src0_sel:BYTE_0 src1_sel:DWORD
	s_and_saveexec_b32 s2, s1
	s_cbranch_execz .LBB316_259
; %bb.252:                              ;   in Loop: Header=BB316_11 Depth=1
	v_cmp_ne_u16_sdwa s1, v3, v17 src0_sel:BYTE_0 src1_sel:DWORD
	v_mov_b32_e32 v53, 0x8000
	s_and_saveexec_b32 s41, s1
	s_cbranch_execz .LBB316_258
; %bb.253:                              ;   in Loop: Header=BB316_11 Depth=1
	v_bfe_u32 v55, v10, 16, 7
	v_mov_b32_e32 v53, 0x7c01
	s_mov_b32 s42, exec_lo
	v_cmpx_ne_u32_e32 0x7f, v55
	s_cbranch_execz .LBB316_257
; %bb.254:                              ;   in Loop: Header=BB316_11 Depth=1
	v_and_b32_e32 v53, 7, v3
	v_lshrrev_b32_e32 v54, 3, v55
	s_mov_b32 s43, exec_lo
	v_cmpx_gt_u32_e32 8, v55
; %bb.255:                              ;   in Loop: Header=BB316_11 Depth=1
	v_ffbh_u32_e32 v53, v53
	v_min_u32_e32 v55, 32, v53
	v_subrev_nc_u32_e32 v53, 28, v55
	v_lshlrev_b64 v[53:54], v53, v[3:4]
	v_sub_nc_u32_e32 v54, 29, v55
	v_and_b32_e32 v53, 7, v53
; %bb.256:                              ;   in Loop: Header=BB316_11 Depth=1
	s_or_b32 exec_lo, exec_lo, s43
	v_lshlrev_b32_e32 v3, 8, v3
	v_lshl_add_u32 v54, v54, 10, 0x2000
	v_lshlrev_b32_e32 v53, 7, v53
	v_and_b32_e32 v3, 0x8000, v3
	v_and_b32_e32 v54, 0xfc00, v54
	v_or3_b32 v53, v3, v54, v53
.LBB316_257:                            ;   in Loop: Header=BB316_11 Depth=1
	s_or_b32 exec_lo, exec_lo, s42
.LBB316_258:                            ;   in Loop: Header=BB316_11 Depth=1
	s_or_b32 exec_lo, exec_lo, s41
.LBB316_259:                            ;   in Loop: Header=BB316_11 Depth=1
	s_or_b32 exec_lo, exec_lo, s2
	v_mov_b32_e32 v54, 0
	s_mov_b32 s2, exec_lo
	v_cmpx_lt_u64_e64 s[4:5], v[9:10]
	s_cbranch_execz .LBB316_10
; %bb.260:                              ;   in Loop: Header=BB316_11 Depth=1
	v_lshrrev_b32_e32 v3, 24, v10
	v_bfrev_b32_e32 v54, 1
	s_mov_b32 s41, exec_lo
	v_cmpx_ne_u32_e32 0x80, v3
	s_cbranch_execz .LBB316_9
; %bb.261:                              ;   in Loop: Header=BB316_11 Depth=1
	v_and_b32_e32 v55, 0x7f, v3
	v_mov_b32_e32 v54, 0x7c010000
	s_mov_b32 s42, exec_lo
	v_cmpx_ne_u32_e32 0x7f, v55
	s_cbranch_execz .LBB316_8
; %bb.262:                              ;   in Loop: Header=BB316_11 Depth=1
	v_and_b32_e32 v9, 7, v3
	v_lshrrev_b32_e32 v10, 3, v55
	s_mov_b32 s43, exec_lo
	v_cmpx_gt_u32_e32 8, v55
	s_cbranch_execz .LBB316_7
; %bb.263:                              ;   in Loop: Header=BB316_11 Depth=1
	v_ffbh_u32_e32 v9, v9
	v_min_u32_e32 v54, 32, v9
	v_subrev_nc_u32_e32 v9, 28, v54
	v_lshlrev_b64 v[9:10], v9, v[3:4]
	v_sub_nc_u32_e32 v10, 29, v54
	v_and_b32_e32 v9, 7, v9
	s_branch .LBB316_7
.LBB316_264:
	s_or_b32 exec_lo, exec_lo, s40
.LBB316_265:
	s_or_b32 exec_lo, exec_lo, s37
	v_mbcnt_lo_u32_b32 v3, -1, 0
	v_max_f32_e32 v7, v16, v16
	v_xor_b32_e32 v4, 16, v3
	v_xor_b32_e32 v6, 8, v3
	v_cmp_gt_i32_e32 vcc_lo, 32, v4
	v_cndmask_b32_e32 v4, v3, v4, vcc_lo
	v_cmp_gt_i32_e32 vcc_lo, 32, v6
	v_lshlrev_b32_e32 v4, 2, v4
	v_cndmask_b32_e32 v6, v3, v6, vcc_lo
	ds_bpermute_b32 v5, v4, v16
	s_waitcnt lgkmcnt(0)
	v_max_f32_e32 v8, v5, v5
	v_lshlrev_b32_e32 v5, 2, v6
	v_max_f32_e32 v6, v7, v8
	v_xor_b32_e32 v8, 4, v3
	ds_bpermute_b32 v7, v5, v6
	v_cmp_gt_i32_e32 vcc_lo, 32, v8
	v_cndmask_b32_e32 v8, v3, v8, vcc_lo
	s_waitcnt lgkmcnt(0)
	v_max_f32_e32 v9, v7, v7
	v_lshlrev_b32_e32 v7, 2, v8
	v_max_f32_e32 v6, v6, v9
	v_xor_b32_e32 v9, 2, v3
	ds_bpermute_b32 v8, v7, v6
	v_cmp_gt_i32_e32 vcc_lo, 32, v9
	v_cndmask_b32_e32 v9, v3, v9, vcc_lo
	v_lshlrev_b32_e32 v12, 2, v9
	v_xor_b32_e32 v9, 1, v3
	v_cmp_gt_i32_e32 vcc_lo, 32, v9
	s_waitcnt lgkmcnt(0)
	v_max_f32_e32 v8, v8, v8
	v_cndmask_b32_e32 v9, v3, v9, vcc_lo
	v_cmp_eq_u32_e32 vcc_lo, 0, v14
	v_max_f32_e32 v6, v6, v8
	v_lshlrev_b32_e32 v16, 2, v9
	ds_bpermute_b32 v8, v12, v6
	s_waitcnt lgkmcnt(0)
	v_max_f32_e32 v8, v8, v8
	v_max_f32_e32 v3, v6, v8
	v_lshlrev_b32_e32 v8, 2, v13
	ds_bpermute_b32 v6, v16, v3
	s_and_saveexec_b32 s1, vcc_lo
	s_cbranch_execz .LBB316_267
; %bb.266:
	s_waitcnt lgkmcnt(0)
	v_max_f32_e32 v6, v6, v6
	v_max_f32_e32 v3, v3, v3
	;; [unrolled: 1-line block ×3, first 2 shown]
	ds_write_b32 v8, v3 offset:64
.LBB316_267:
	s_or_b32 exec_lo, exec_lo, s1
	v_cmp_gt_u32_e64 s1, 4, v14
	v_mov_b32_e32 v3, 0xff7fffff
	s_waitcnt lgkmcnt(0)
	s_barrier
	buffer_gl0_inv
	s_and_saveexec_b32 s2, s1
; %bb.268:
	ds_read_b32 v3, v15 offset:64
; %bb.269:
	s_or_b32 exec_lo, exec_lo, s2
	s_waitcnt lgkmcnt(0)
	ds_bpermute_b32 v6, v12, v3
	v_max_f32_e32 v3, v3, v3
	v_mov_b32_e32 v9, 0
	s_sub_i32 s2, s11, s19
	s_lshl_b32 s2, s2, 5
	s_add_i32 s2, s2, s33
	s_min_i32 s2, s2, s29
	s_sub_i32 s4, s2, s33
	v_cmp_gt_i32_e64 s2, s4, v0
	s_waitcnt lgkmcnt(0)
	v_max_f32_e32 v6, v6, v6
	v_max_f32_e32 v3, v3, v6
	ds_bpermute_b32 v6, v16, v3
	s_waitcnt lgkmcnt(0)
	v_max_f32_e32 v6, v6, v6
	v_max_f32_e32 v3, v3, v6
	v_lshl_add_u32 v6, v0, 2, 0x60
	ds_bpermute_b32 v3, v9, v3
	s_and_saveexec_b32 s5, s2
	s_cbranch_execz .LBB316_273
; %bb.270:
	v_lshl_add_u32 v10, v0, 2, 0x60
	v_mov_b32_e32 v9, 0
	v_mov_b32_e32 v11, v0
	s_mov_b32 s12, 0
	.p2align	6
.LBB316_271:                            ; =>This Inner Loop Header: Depth=1
	ds_read_b32 v17, v10
	v_add_nc_u32_e32 v11, 0x80, v11
	v_cmp_le_i32_e64 s3, s4, v11
	s_or_b32 s12, s3, s12
	s_waitcnt lgkmcnt(0)
	v_sub_f32_e32 v17, v17, v3
	v_mul_f32_e32 v17, 0x3fb8aa3b, v17
	v_exp_f32_e32 v17, v17
	ds_write_b32 v10, v17
	v_add_f32_e32 v9, v9, v17
	v_add_nc_u32_e32 v10, 0x200, v10
	s_andn2_b32 exec_lo, exec_lo, s12
	s_cbranch_execnz .LBB316_271
; %bb.272:
	s_or_b32 exec_lo, exec_lo, s12
.LBB316_273:
	s_or_b32 exec_lo, exec_lo, s5
	ds_bpermute_b32 v4, v4, v9
	s_waitcnt lgkmcnt(0)
	v_add_f32_e32 v4, v9, v4
	ds_bpermute_b32 v5, v5, v4
	s_waitcnt lgkmcnt(0)
	v_add_f32_e32 v4, v4, v5
	;; [unrolled: 3-line block ×5, first 2 shown]
	s_and_saveexec_b32 s3, vcc_lo
; %bb.274:
	ds_write_b32 v8, v4 offset:80
; %bb.275:
	s_or_b32 exec_lo, exec_lo, s3
	s_waitcnt lgkmcnt(0)
	s_barrier
	buffer_gl0_inv
	s_and_saveexec_b32 s3, s1
; %bb.276:
	ds_read_b32 v4, v15 offset:80
; %bb.277:
	s_or_b32 exec_lo, exec_lo, s3
	s_waitcnt lgkmcnt(0)
	ds_bpermute_b32 v5, v12, v4
	s_waitcnt lgkmcnt(0)
	v_add_f32_e32 v4, v4, v5
	ds_bpermute_b32 v5, v16, v4
	s_waitcnt lgkmcnt(0)
	v_add_f32_e32 v4, v4, v5
	v_mov_b32_e32 v5, 0
	ds_bpermute_b32 v4, v5, v4
	s_and_saveexec_b32 s1, s2
	s_cbranch_execz .LBB316_280
; %bb.278:
	s_waitcnt lgkmcnt(0)
	v_add_f32_e32 v5, 0x358637bd, v4
	s_mov_b32 s2, 0
	v_div_scale_f32 v7, null, v5, v5, 1.0
	v_div_scale_f32 v10, vcc_lo, 1.0, v5, 1.0
	v_rcp_f32_e32 v8, v7
	v_fma_f32 v9, -v7, v8, 1.0
	v_fmac_f32_e32 v8, v9, v8
	v_mul_f32_e32 v9, v10, v8
	v_fma_f32 v11, -v7, v9, v10
	v_fmac_f32_e32 v9, v11, v8
	v_fma_f32 v7, -v7, v9, v10
	v_div_fmas_f32 v7, v7, v8, v9
	v_div_fixup_f32 v5, v7, v5, 1.0
	v_mov_b32_e32 v7, v0
.LBB316_279:                            ; =>This Inner Loop Header: Depth=1
	ds_read_b32 v8, v6
	v_add_nc_u32_e32 v7, 0x80, v7
	v_cmp_le_i32_e32 vcc_lo, s4, v7
	s_or_b32 s2, vcc_lo, s2
	s_waitcnt lgkmcnt(0)
	v_mul_f32_e32 v8, v5, v8
	ds_write_b32 v6, v8
	v_add_nc_u32_e32 v6, 0x200, v6
	s_andn2_b32 exec_lo, exec_lo, s2
	s_cbranch_execnz .LBB316_279
.LBB316_280:
	s_or_b32 exec_lo, exec_lo, s1
	s_mul_i32 s1, s7, s28
	s_waitcnt lgkmcnt(0)
	s_mul_i32 s2, s1, s9
	s_mov_b32 s1, exec_lo
	s_barrier
	buffer_gl0_inv
	v_cmpx_eq_u32_e32 0, v0
	s_cbranch_execz .LBB316_282
; %bb.281:
	s_ashr_i32 s3, s2, 31
	s_mul_i32 s12, s7, s6
	s_lshl_b64 s[4:5], s[2:3], 2
	v_mov_b32_e32 v5, 0
	s_add_u32 s3, s22, s4
	s_addc_u32 s6, s23, s5
	s_ashr_i32 s13, s12, 31
	s_lshl_b64 s[12:13], s[12:13], 2
	s_add_u32 s3, s3, s12
	s_addc_u32 s6, s6, s13
	s_ashr_i32 s9, s8, 31
	s_lshl_b64 s[22:23], s[8:9], 2
	s_add_u32 s36, s3, s22
	s_addc_u32 s37, s6, s23
	s_add_u32 s3, s20, s4
	s_addc_u32 s4, s21, s5
	;; [unrolled: 2-line block ×4, first 2 shown]
	global_store_dword v5, v3, s[36:37]
	global_store_dword v5, v4, s[4:5]
.LBB316_282:
	s_or_b32 exec_lo, exec_lo, s1
	v_mov_b32_e32 v18, 0
	v_and_b32_e32 v15, 3, v0
	v_mov_b32_e32 v20, 0
	v_mov_b32_e32 v19, 0
	;; [unrolled: 1-line block ×3, first 2 shown]
	s_and_saveexec_b32 s1, s0
	s_cbranch_execz .LBB316_550
; %bb.283:
	v_lshlrev_b32_e32 v3, 3, v0
	v_lshlrev_b32_e32 v4, 5, v15
	v_lshl_add_u32 v7, v13, 5, s33
	s_ashr_i32 s0, s18, 31
	s_add_u32 s4, s30, s18
	v_and_b32_e32 v6, 24, v3
	v_and_b32_e32 v5, 0xf8, v3
	s_addc_u32 s0, s31, s0
	v_lshl_or_b32 v8, v13, 7, v4
	s_add_i32 s16, s16, -1
	v_add3_u32 v21, v7, v6, 7
	v_add_co_u32 v4, s4, s4, v5
	v_lshlrev_b64 v[6:7], 2, v[1:2]
	v_add_co_ci_u32_e64 v5, null, s0, 0, s4
	s_lshl_b64 s[4:5], s[34:35], 2
	v_mov_b32_e32 v3, 0
	s_add_u32 s0, s26, s4
	s_addc_u32 s4, s27, s5
	v_add_co_u32 v6, vcc_lo, s0, v6
	v_add_nc_u32_e32 v22, 0x60, v8
	v_add_co_ci_u32_e64 v7, null, s4, v7, vcc_lo
	v_mov_b32_e32 v23, 0x80
	v_mov_b32_e32 v24, 0x7f
	;; [unrolled: 1-line block ×8, first 2 shown]
	s_mov_b32 s4, -1
	s_mov_b32 s3, s17
	s_mov_b32 s5, 0xffffff
	;; [unrolled: 1-line block ×3, first 2 shown]
	s_branch .LBB316_285
.LBB316_284:                            ;   in Loop: Header=BB316_285 Depth=1
	s_or_b32 exec_lo, exec_lo, s0
	;;#ASMSTART
	v_pk_mul_f16 v2, v38, v44;

	;;#ASMEND
	;;#ASMSTART
	v_pk_mul_f16 v8, v36, v8;

	;;#ASMEND
	;; [unrolled: 4-line block ×4, first 2 shown]
	;;#ASMSTART
	v_pk_add_f16 v2, v2, v8;

	;;#ASMEND
	;;#ASMSTART
	v_pk_add_f16 v2, v2, v9;

	;;#ASMEND
	;; [unrolled: 4-line block ×3, first 2 shown]
	v_add_nc_u32_e32 v1, 4, v1
	v_and_b32_e32 v27, 0xffff, v2
	v_lshrrev_b32_e32 v28, 16, v2
	v_add_f32_e32 v2, v10, v11
	;;#ASMSTART
	v_cvt_f32_f16 v10, v27;
	;;#ASMEND
	v_add_f32_e32 v8, v40, v41
	v_add_f32_e32 v9, v37, v39
	;;#ASMSTART
	v_cvt_f32_f16 v11, v28;
	;;#ASMEND
	v_add_f32_e32 v10, v10, v11
	v_cmp_le_i32_e32 vcc_lo, s11, v1
	v_add_co_u32 v6, s0, v6, 16
	v_add_f32_e32 v19, v19, v2
	v_add_f32_e32 v20, v20, v8
	;; [unrolled: 1-line block ×4, first 2 shown]
	v_add_nc_u32_e32 v21, 0x80, v21
	v_add_nc_u32_e32 v22, 0x200, v22
	v_add_co_ci_u32_e64 v7, null, 0, v7, s0
	s_or_b32 s6, vcc_lo, s6
	s_andn2_b32 exec_lo, exec_lo, s6
	s_cbranch_execz .LBB316_549
.LBB316_285:                            ; =>This Inner Loop Header: Depth=1
	global_load_dword v2, v[6:7], off
	ds_read2_b64 v[27:30], v22 offset1:1
	ds_read2_b64 v[40:43], v22 offset0:2 offset1:3
	s_waitcnt lgkmcnt(1)
	;;#ASMSTART
	v_cvt_f16_f32 v34, v27;

	;;#ASMEND
	;;#ASMSTART
	v_cvt_f16_f32 v35, v28;

	;;#ASMEND
	;; [unrolled: 4-line block ×4, first 2 shown]
	s_waitcnt lgkmcnt(0)
	;;#ASMSTART
	v_cvt_f16_f32 v40, v40;

	;;#ASMEND
	;;#ASMSTART
	v_cvt_f16_f32 v37, v41;

	;;#ASMEND
	;; [unrolled: 4-line block ×4, first 2 shown]
	v_mov_b32_e32 v29, 0
	s_waitcnt vmcnt(0)
	v_mad_i64_i32 v[8:9], null, v2, s3, v[4:5]
	global_load_dwordx2 v[10:11], v[8:9], off
	global_load_dword v28, v3, s[14:15]
	s_waitcnt vmcnt(1)
	v_cmp_ne_u16_sdwa s9, v10, v3 src0_sel:BYTE_0 src1_sel:DWORD
	s_and_saveexec_b32 s0, s9
	s_cbranch_execz .LBB316_293
; %bb.286:                              ;   in Loop: Header=BB316_285 Depth=1
	v_cmp_ne_u16_sdwa s12, v10, v23 src0_sel:BYTE_0 src1_sel:DWORD
	v_mov_b32_e32 v29, 0x8000
	s_and_saveexec_b32 s9, s12
	s_cbranch_execz .LBB316_292
; %bb.287:                              ;   in Loop: Header=BB316_285 Depth=1
	v_and_b32_e32 v30, 0x7f, v10
	v_mov_b32_e32 v29, 0x7c01
	s_mov_b32 s12, exec_lo
	v_cmpx_ne_u32_e32 0x7f, v30
	s_cbranch_execz .LBB316_291
; %bb.288:                              ;   in Loop: Header=BB316_285 Depth=1
	v_and_b32_e32 v2, 7, v10
	v_lshrrev_b32_e32 v27, 3, v30
	s_mov_b32 s13, exec_lo
	v_cmpx_gt_u32_e32 8, v30
; %bb.289:                              ;   in Loop: Header=BB316_285 Depth=1
	v_ffbh_u32_e32 v2, v2
	v_min_u32_e32 v2, 32, v2
	v_subrev_nc_u32_e32 v27, 28, v2
	v_lshlrev_b64 v[29:30], v27, v[10:11]
	v_sub_nc_u32_e32 v27, 29, v2
	v_and_b32_e32 v2, 7, v29
; %bb.290:                              ;   in Loop: Header=BB316_285 Depth=1
	s_or_b32 exec_lo, exec_lo, s13
	v_lshlrev_b32_e32 v29, 8, v10
	v_lshl_add_u32 v27, v27, 10, 0x2000
	v_lshlrev_b32_e32 v2, 7, v2
	v_and_b32_e32 v29, 0x8000, v29
	v_and_b32_e32 v27, 0xfc00, v27
	v_or3_b32 v29, v29, v27, v2
.LBB316_291:                            ;   in Loop: Header=BB316_285 Depth=1
	s_or_b32 exec_lo, exec_lo, s12
.LBB316_292:                            ;   in Loop: Header=BB316_285 Depth=1
	s_or_b32 exec_lo, exec_lo, s9
.LBB316_293:                            ;   in Loop: Header=BB316_285 Depth=1
	s_or_b32 exec_lo, exec_lo, s0
	v_lshrrev_b16 v2, 8, v10
	v_mov_b32_e32 v27, 0
	v_mov_b32_e32 v30, 0
	s_mov_b32 s0, exec_lo
	v_cmpx_ne_u16_e32 0, v2
	s_cbranch_execz .LBB316_301
; %bb.294:                              ;   in Loop: Header=BB316_285 Depth=1
	v_bfrev_b32_e32 v30, 1
	s_mov_b32 s9, exec_lo
	v_cmpx_ne_u16_e32 0x80, v2
	s_cbranch_execz .LBB316_300
; %bb.295:                              ;   in Loop: Header=BB316_285 Depth=1
	v_and_b32_sdwa v32, v2, v24 dst_sel:DWORD dst_unused:UNUSED_PAD src0_sel:WORD_0 src1_sel:DWORD
	v_mov_b32_e32 v30, 0x7c010000
	s_mov_b32 s12, exec_lo
	v_cmpx_ne_u32_e32 0x7f, v32
	s_cbranch_execz .LBB316_299
; %bb.296:                              ;   in Loop: Header=BB316_285 Depth=1
	v_and_b32_sdwa v30, v2, v25 dst_sel:DWORD dst_unused:UNUSED_PAD src0_sel:WORD_0 src1_sel:DWORD
	v_lshrrev_b32_e32 v31, 3, v32
	s_mov_b32 s13, exec_lo
	v_cmpx_gt_u32_e32 8, v32
; %bb.297:                              ;   in Loop: Header=BB316_285 Depth=1
	v_ffbh_u32_e32 v30, v30
	v_min_u32_e32 v32, 32, v30
	v_subrev_nc_u32_e32 v30, 28, v32
	v_lshlrev_b64 v[30:31], v30, v[2:3]
	v_sub_nc_u32_e32 v31, 29, v32
	v_and_b32_e32 v30, 7, v30
; %bb.298:                              ;   in Loop: Header=BB316_285 Depth=1
	s_or_b32 exec_lo, exec_lo, s13
	v_lshlrev_b32_sdwa v2, v26, v2 dst_sel:DWORD dst_unused:UNUSED_PAD src0_sel:DWORD src1_sel:WORD_0
	v_lshl_add_u32 v31, v31, 10, 0x2000
	v_lshlrev_b32_e32 v30, 23, v30
	v_and_or_b32 v2, 0x8000, v2, v31
	v_lshl_or_b32 v30, v2, 16, v30
.LBB316_299:                            ;   in Loop: Header=BB316_285 Depth=1
	s_or_b32 exec_lo, exec_lo, s12
.LBB316_300:                            ;   in Loop: Header=BB316_285 Depth=1
	s_or_b32 exec_lo, exec_lo, s9
.LBB316_301:                            ;   in Loop: Header=BB316_285 Depth=1
	s_or_b32 exec_lo, exec_lo, s0
	v_lshrrev_b32_e32 v2, 16, v10
	v_cmp_ne_u16_sdwa s9, v2, v3 src0_sel:BYTE_0 src1_sel:DWORD
	s_and_saveexec_b32 s0, s9
	s_cbranch_execz .LBB316_309
; %bb.302:                              ;   in Loop: Header=BB316_285 Depth=1
	v_cmp_ne_u16_sdwa s12, v2, v23 src0_sel:BYTE_0 src1_sel:DWORD
	v_mov_b32_e32 v27, 0x8000
	s_and_saveexec_b32 s9, s12
	s_cbranch_execz .LBB316_308
; %bb.303:                              ;   in Loop: Header=BB316_285 Depth=1
	v_bfe_u32 v32, v10, 16, 7
	v_mov_b32_e32 v27, 0x7c01
	s_mov_b32 s12, exec_lo
	v_cmpx_ne_u32_e32 0x7f, v32
	s_cbranch_execz .LBB316_307
; %bb.304:                              ;   in Loop: Header=BB316_285 Depth=1
	v_and_b32_e32 v27, 7, v2
	v_lshrrev_b32_e32 v31, 3, v32
	s_mov_b32 s13, exec_lo
	v_cmpx_gt_u32_e32 8, v32
; %bb.305:                              ;   in Loop: Header=BB316_285 Depth=1
	v_ffbh_u32_e32 v27, v27
	v_min_u32_e32 v27, 32, v27
	v_subrev_nc_u32_e32 v31, 28, v27
	v_lshlrev_b64 v[32:33], v31, v[2:3]
	v_sub_nc_u32_e32 v31, 29, v27
	v_and_b32_e32 v27, 7, v32
; %bb.306:                              ;   in Loop: Header=BB316_285 Depth=1
	s_or_b32 exec_lo, exec_lo, s13
	v_lshlrev_b32_e32 v2, 8, v2
	v_lshl_add_u32 v31, v31, 10, 0x2000
	v_lshlrev_b32_e32 v27, 7, v27
	v_and_b32_e32 v2, 0x8000, v2
	v_and_b32_e32 v31, 0xfc00, v31
	v_or3_b32 v27, v2, v31, v27
.LBB316_307:                            ;   in Loop: Header=BB316_285 Depth=1
	s_or_b32 exec_lo, exec_lo, s12
.LBB316_308:                            ;   in Loop: Header=BB316_285 Depth=1
	s_or_b32 exec_lo, exec_lo, s9
.LBB316_309:                            ;   in Loop: Header=BB316_285 Depth=1
	s_or_b32 exec_lo, exec_lo, s0
	v_mov_b32_e32 v31, 0
	v_mov_b32_e32 v32, 0
	s_mov_b32 s0, exec_lo
	v_cmpx_lt_u32_e32 0xffffff, v10
	s_cbranch_execz .LBB316_317
; %bb.310:                              ;   in Loop: Header=BB316_285 Depth=1
	v_lshrrev_b32_e32 v2, 24, v10
	v_bfrev_b32_e32 v32, 1
	s_mov_b32 s9, exec_lo
	v_cmpx_ne_u32_e32 0x80, v2
	s_cbranch_execz .LBB316_316
; %bb.311:                              ;   in Loop: Header=BB316_285 Depth=1
	v_and_b32_e32 v42, 0x7f, v2
	v_mov_b32_e32 v32, 0x7c010000
	s_mov_b32 s12, exec_lo
	v_cmpx_ne_u32_e32 0x7f, v42
	s_cbranch_execz .LBB316_315
; %bb.312:                              ;   in Loop: Header=BB316_285 Depth=1
	v_and_b32_e32 v32, 7, v2
	v_lshrrev_b32_e32 v33, 3, v42
	s_mov_b32 s13, exec_lo
	v_cmpx_gt_u32_e32 8, v42
; %bb.313:                              ;   in Loop: Header=BB316_285 Depth=1
	v_ffbh_u32_e32 v32, v32
	v_min_u32_e32 v42, 32, v32
	v_subrev_nc_u32_e32 v32, 28, v42
	v_lshlrev_b64 v[32:33], v32, v[2:3]
	v_sub_nc_u32_e32 v33, 29, v42
	v_and_b32_e32 v32, 7, v32
; %bb.314:                              ;   in Loop: Header=BB316_285 Depth=1
	s_or_b32 exec_lo, exec_lo, s13
	v_lshlrev_b32_e32 v2, 8, v2
	v_lshl_add_u32 v33, v33, 10, 0x2000
	v_lshlrev_b32_e32 v32, 23, v32
	v_and_or_b32 v2, 0x8000, v2, v33
	v_lshl_or_b32 v32, v2, 16, v32
.LBB316_315:                            ;   in Loop: Header=BB316_285 Depth=1
	s_or_b32 exec_lo, exec_lo, s12
.LBB316_316:                            ;   in Loop: Header=BB316_285 Depth=1
	s_or_b32 exec_lo, exec_lo, s9
.LBB316_317:                            ;   in Loop: Header=BB316_285 Depth=1
	s_or_b32 exec_lo, exec_lo, s0
	v_mov_b32_e32 v2, v11
	v_cmp_ne_u16_sdwa s9, v11, v3 src0_sel:BYTE_0 src1_sel:DWORD
	s_and_saveexec_b32 s0, s9
	s_cbranch_execz .LBB316_325
; %bb.318:                              ;   in Loop: Header=BB316_285 Depth=1
	v_cmp_ne_u16_sdwa s12, v11, v23 src0_sel:BYTE_0 src1_sel:DWORD
	v_mov_b32_e32 v31, 0x8000
	s_and_saveexec_b32 s9, s12
	s_cbranch_execz .LBB316_324
; %bb.319:                              ;   in Loop: Header=BB316_285 Depth=1
	v_and_b32_e32 v42, 0x7f, v11
	v_mov_b32_e32 v31, 0x7c01
	s_mov_b32 s12, exec_lo
	v_cmpx_ne_u32_e32 0x7f, v42
	s_cbranch_execz .LBB316_323
; %bb.320:                              ;   in Loop: Header=BB316_285 Depth=1
	v_and_b32_e32 v31, 7, v11
	v_lshrrev_b32_e32 v33, 3, v42
	s_mov_b32 s13, exec_lo
	v_cmpx_gt_u32_e32 8, v42
; %bb.321:                              ;   in Loop: Header=BB316_285 Depth=1
	v_ffbh_u32_e32 v31, v31
	v_min_u32_e32 v31, 32, v31
	v_subrev_nc_u32_e32 v33, 28, v31
	v_lshlrev_b64 v[42:43], v33, v[2:3]
	v_sub_nc_u32_e32 v33, 29, v31
	v_and_b32_e32 v31, 7, v42
; %bb.322:                              ;   in Loop: Header=BB316_285 Depth=1
	s_or_b32 exec_lo, exec_lo, s13
	v_lshlrev_b32_e32 v42, 8, v11
	v_lshl_add_u32 v33, v33, 10, 0x2000
	v_lshlrev_b32_e32 v31, 7, v31
	v_and_b32_e32 v42, 0x8000, v42
	v_and_b32_e32 v33, 0xfc00, v33
	v_or3_b32 v31, v42, v33, v31
.LBB316_323:                            ;   in Loop: Header=BB316_285 Depth=1
	s_or_b32 exec_lo, exec_lo, s12
.LBB316_324:                            ;   in Loop: Header=BB316_285 Depth=1
	s_or_b32 exec_lo, exec_lo, s9
.LBB316_325:                            ;   in Loop: Header=BB316_285 Depth=1
	s_or_b32 exec_lo, exec_lo, s0
	v_lshrrev_b16 v2, 8, v2
	v_mov_b32_e32 v42, 0
	v_mov_b32_e32 v33, 0
	s_mov_b32 s0, exec_lo
	v_cmpx_ne_u16_e32 0, v2
	s_cbranch_execz .LBB316_333
; %bb.326:                              ;   in Loop: Header=BB316_285 Depth=1
	v_bfrev_b32_e32 v33, 1
	s_mov_b32 s9, exec_lo
	v_cmpx_ne_u16_e32 0x80, v2
	s_cbranch_execz .LBB316_332
; %bb.327:                              ;   in Loop: Header=BB316_285 Depth=1
	v_and_b32_sdwa v44, v2, v24 dst_sel:DWORD dst_unused:UNUSED_PAD src0_sel:WORD_0 src1_sel:DWORD
	v_mov_b32_e32 v33, 0x7c010000
	s_mov_b32 s12, exec_lo
	v_cmpx_ne_u32_e32 0x7f, v44
	s_cbranch_execz .LBB316_331
; %bb.328:                              ;   in Loop: Header=BB316_285 Depth=1
	v_and_b32_sdwa v33, v2, v25 dst_sel:DWORD dst_unused:UNUSED_PAD src0_sel:WORD_0 src1_sel:DWORD
	v_lshrrev_b32_e32 v43, 3, v44
	s_mov_b32 s13, exec_lo
	v_cmpx_gt_u32_e32 8, v44
; %bb.329:                              ;   in Loop: Header=BB316_285 Depth=1
	v_ffbh_u32_e32 v33, v33
	v_min_u32_e32 v33, 32, v33
	v_subrev_nc_u32_e32 v43, 28, v33
	v_lshlrev_b64 v[44:45], v43, v[2:3]
	v_sub_nc_u32_e32 v43, 29, v33
	v_and_b32_e32 v33, 7, v44
; %bb.330:                              ;   in Loop: Header=BB316_285 Depth=1
	s_or_b32 exec_lo, exec_lo, s13
	v_lshlrev_b32_sdwa v2, v26, v2 dst_sel:DWORD dst_unused:UNUSED_PAD src0_sel:DWORD src1_sel:WORD_0
	v_lshl_add_u32 v43, v43, 10, 0x2000
	v_lshlrev_b32_e32 v33, 23, v33
	v_and_or_b32 v2, 0x8000, v2, v43
	v_lshl_or_b32 v33, v2, 16, v33
.LBB316_331:                            ;   in Loop: Header=BB316_285 Depth=1
	s_or_b32 exec_lo, exec_lo, s12
.LBB316_332:                            ;   in Loop: Header=BB316_285 Depth=1
	s_or_b32 exec_lo, exec_lo, s9
.LBB316_333:                            ;   in Loop: Header=BB316_285 Depth=1
	s_or_b32 exec_lo, exec_lo, s0
	v_lshrrev_b32_e32 v2, 16, v11
	v_cmp_ne_u16_sdwa s9, v2, v3 src0_sel:BYTE_0 src1_sel:DWORD
	s_and_saveexec_b32 s0, s9
	s_cbranch_execz .LBB316_341
; %bb.334:                              ;   in Loop: Header=BB316_285 Depth=1
	v_cmp_ne_u16_sdwa s12, v2, v23 src0_sel:BYTE_0 src1_sel:DWORD
	v_mov_b32_e32 v42, 0x8000
	s_and_saveexec_b32 s9, s12
	s_cbranch_execz .LBB316_340
; %bb.335:                              ;   in Loop: Header=BB316_285 Depth=1
	v_bfe_u32 v44, v11, 16, 7
	v_mov_b32_e32 v42, 0x7c01
	s_mov_b32 s12, exec_lo
	v_cmpx_ne_u32_e32 0x7f, v44
	s_cbranch_execz .LBB316_339
; %bb.336:                              ;   in Loop: Header=BB316_285 Depth=1
	v_and_b32_e32 v42, 7, v2
	v_lshrrev_b32_e32 v43, 3, v44
	s_mov_b32 s13, exec_lo
	v_cmpx_gt_u32_e32 8, v44
; %bb.337:                              ;   in Loop: Header=BB316_285 Depth=1
	v_ffbh_u32_e32 v42, v42
	v_min_u32_e32 v44, 32, v42
	v_subrev_nc_u32_e32 v42, 28, v44
	v_lshlrev_b64 v[42:43], v42, v[2:3]
	v_sub_nc_u32_e32 v43, 29, v44
	v_and_b32_e32 v42, 7, v42
; %bb.338:                              ;   in Loop: Header=BB316_285 Depth=1
	s_or_b32 exec_lo, exec_lo, s13
	v_lshlrev_b32_e32 v2, 8, v2
	v_lshl_add_u32 v43, v43, 10, 0x2000
	v_lshlrev_b32_e32 v42, 7, v42
	v_and_b32_e32 v2, 0x8000, v2
	v_and_b32_e32 v43, 0xfc00, v43
	v_or3_b32 v42, v2, v43, v42
.LBB316_339:                            ;   in Loop: Header=BB316_285 Depth=1
	s_or_b32 exec_lo, exec_lo, s12
.LBB316_340:                            ;   in Loop: Header=BB316_285 Depth=1
	s_or_b32 exec_lo, exec_lo, s9
.LBB316_341:                            ;   in Loop: Header=BB316_285 Depth=1
	s_or_b32 exec_lo, exec_lo, s0
	v_cmp_lt_u64_e32 vcc_lo, s[4:5], v[10:11]
	v_mov_b32_e32 v10, 0
	s_and_saveexec_b32 s0, vcc_lo
	s_cbranch_execz .LBB316_349
; %bb.342:                              ;   in Loop: Header=BB316_285 Depth=1
	v_lshrrev_b32_e32 v2, 24, v11
	v_bfrev_b32_e32 v10, 1
	s_mov_b32 s9, exec_lo
	v_cmpx_ne_u32_e32 0x80, v2
	s_cbranch_execz .LBB316_348
; %bb.343:                              ;   in Loop: Header=BB316_285 Depth=1
	v_and_b32_e32 v43, 0x7f, v2
	v_mov_b32_e32 v10, 0x7c010000
	s_mov_b32 s12, exec_lo
	v_cmpx_ne_u32_e32 0x7f, v43
	s_cbranch_execz .LBB316_347
; %bb.344:                              ;   in Loop: Header=BB316_285 Depth=1
	v_and_b32_e32 v10, 7, v2
	v_lshrrev_b32_e32 v11, 3, v43
	s_mov_b32 s13, exec_lo
	v_cmpx_gt_u32_e32 8, v43
; %bb.345:                              ;   in Loop: Header=BB316_285 Depth=1
	v_ffbh_u32_e32 v10, v10
	v_min_u32_e32 v43, 32, v10
	v_subrev_nc_u32_e32 v10, 28, v43
	v_lshlrev_b64 v[10:11], v10, v[2:3]
	v_sub_nc_u32_e32 v11, 29, v43
	v_and_b32_e32 v10, 7, v10
; %bb.346:                              ;   in Loop: Header=BB316_285 Depth=1
	s_or_b32 exec_lo, exec_lo, s13
	v_lshlrev_b32_e32 v2, 8, v2
	v_lshl_add_u32 v11, v11, 10, 0x2000
	v_lshlrev_b32_e32 v10, 23, v10
	v_and_or_b32 v2, 0x8000, v2, v11
	v_lshl_or_b32 v10, v2, 16, v10
.LBB316_347:                            ;   in Loop: Header=BB316_285 Depth=1
	s_or_b32 exec_lo, exec_lo, s12
.LBB316_348:                            ;   in Loop: Header=BB316_285 Depth=1
	s_or_b32 exec_lo, exec_lo, s9
.LBB316_349:                            ;   in Loop: Header=BB316_285 Depth=1
	s_or_b32 exec_lo, exec_lo, s0
	v_or_b32_e32 v2, v32, v27
	s_waitcnt vmcnt(0)
	v_fma_mixlo_f16 v11, v28, v32, 0 op_sel:[0,1,0] op_sel_hi:[0,1,0]
	v_or_b32_e32 v29, v30, v29
	v_fma_mixlo_f16 v30, v28, v30, 0 op_sel:[0,1,0] op_sel_hi:[0,1,0]
	v_or_b32_e32 v31, v33, v31
	v_fma_mixlo_f16 v2, v28, v2, 0 op_sel_hi:[0,1,0]
	v_or_b32_e32 v32, v10, v42
	v_fma_mixlo_f16 v10, v28, v10, 0 op_sel:[0,1,0] op_sel_hi:[0,1,0]
	v_lshlrev_b32_e32 v48, 16, v30
	v_fma_mixlo_f16 v30, v28, v31, 0 op_sel_hi:[0,1,0]
	v_and_b32_e32 v45, 0xffff, v2
	v_fma_mixlo_f16 v2, v28, v29, 0 op_sel_hi:[0,1,0]
	v_fma_mixlo_f16 v29, v28, v33, 0 op_sel:[0,1,0] op_sel_hi:[0,1,0]
	v_fma_mixlo_f16 v28, v28, v32, 0 op_sel_hi:[0,1,0]
	v_lshlrev_b32_e32 v11, 16, v11
	v_and_b32_e32 v49, 0xffff, v30
	v_and_b32_e32 v50, 0xffff, v2
	v_lshlrev_b32_e32 v46, 16, v29
	v_lshlrev_b32_e32 v43, 16, v10
	v_and_b32_e32 v47, 0xffff, v28
	v_add_nc_u32_e32 v27, -7, v21
	v_cmp_eq_u32_e32 vcc_lo, s16, v1
	v_or_b32_e32 v2, v11, v45
	v_or_b32_e32 v10, v48, v50
	;; [unrolled: 1-line block ×4, first 2 shown]
	v_add_nc_u32_e32 v33, -6, v21
	v_add_nc_u32_e32 v32, -5, v21
	v_add_nc_u32_e32 v31, -4, v21
	v_add_nc_u32_e32 v30, -3, v21
	v_add_nc_u32_e32 v29, -2, v21
	v_add_nc_u32_e32 v28, -1, v21
	s_and_saveexec_b32 s9, vcc_lo
	s_cbranch_execz .LBB316_351
; %bb.350:                              ;   in Loop: Header=BB316_285 Depth=1
	v_cmp_gt_i32_e64 s0, s29, v27
	v_cndmask_b32_e64 v2, 0, v50, s0
	v_cmp_gt_i32_e64 s0, s29, v33
	v_cndmask_b32_e64 v10, 0, v48, s0
	v_cmp_gt_i32_e64 s0, s29, v32
	v_or_b32_e32 v10, v10, v2
	v_cndmask_b32_e64 v42, 0, v45, s0
	v_cmp_gt_i32_e64 s0, s29, v31
	v_cndmask_b32_e64 v11, 0, v11, s0
	v_cmp_gt_i32_e64 s0, s29, v30
	v_or_b32_e32 v2, v11, v42
	;; [unrolled: 5-line block ×3, first 2 shown]
	v_cndmask_b32_e64 v46, 0, v47, s0
	v_cmp_gt_i32_e64 s0, s29, v21
	v_cndmask_b32_e64 v43, 0, v43, s0
	v_or_b32_e32 v44, v43, v46
.LBB316_351:                            ;   in Loop: Header=BB316_285 Depth=1
	s_or_b32 exec_lo, exec_lo, s9
	v_and_b32_e32 v11, 0xffff, v34
	v_and_b32_e32 v34, 0xffff, v38
	;; [unrolled: 1-line block ×4, first 2 shown]
	v_lshl_or_b32 v38, v35, 16, v11
	v_lshl_or_b32 v36, v36, 16, v34
	;;#ASMSTART
	v_pk_mul_f16 v10, v38, v10;

	;;#ASMEND
	;;#ASMSTART
	v_pk_mul_f16 v2, v36, v2;

	;;#ASMEND
	v_lshl_or_b32 v35, v37, 16, v40
	v_lshl_or_b32 v34, v39, 16, v41
	;;#ASMSTART
	v_pk_mul_f16 v11, v35, v42;

	;;#ASMEND
	;;#ASMSTART
	v_pk_mul_f16 v37, v34, v44;

	;;#ASMEND
	;;#ASMSTART
	v_pk_add_f16 v2, v10, v2;

	;;#ASMEND
	;;#ASMSTART
	v_pk_add_f16 v2, v2, v11;
	;; [unrolled: 4-line block ×3, first 2 shown]

	;;#ASMEND
	v_and_b32_e32 v10, 0xffff, v2
	v_lshrrev_b32_e32 v2, 16, v2
	;;#ASMSTART
	v_cvt_f32_f16 v37, v10;
	;;#ASMEND
	;;#ASMSTART
	v_cvt_f32_f16 v39, v2;
	;;#ASMEND
	global_load_dwordx2 v[10:11], v[8:9], off offset:256
	v_mov_b32_e32 v41, 0
	v_mov_b32_e32 v42, 0
	global_load_dword v40, v41, s[14:15]
	s_waitcnt vmcnt(1)
	v_cmp_ne_u16_sdwa s0, v10, v3 src0_sel:BYTE_0 src1_sel:DWORD
	s_and_saveexec_b32 s9, s0
	s_cbranch_execz .LBB316_359
; %bb.352:                              ;   in Loop: Header=BB316_285 Depth=1
	v_cmp_ne_u16_sdwa s0, v10, v23 src0_sel:BYTE_0 src1_sel:DWORD
	v_mov_b32_e32 v42, 0x8000
	s_and_saveexec_b32 s12, s0
	s_cbranch_execz .LBB316_358
; %bb.353:                              ;   in Loop: Header=BB316_285 Depth=1
	v_and_b32_e32 v43, 0x7f, v10
	v_mov_b32_e32 v42, 0x7c01
	s_mov_b32 s13, exec_lo
	v_cmpx_ne_u32_e32 0x7f, v43
	s_cbranch_execz .LBB316_357
; %bb.354:                              ;   in Loop: Header=BB316_285 Depth=1
	v_and_b32_e32 v2, 7, v10
	v_lshrrev_b32_e32 v42, 3, v43
	s_mov_b32 s17, exec_lo
	v_cmpx_gt_u32_e32 8, v43
; %bb.355:                              ;   in Loop: Header=BB316_285 Depth=1
	v_ffbh_u32_e32 v2, v2
	v_min_u32_e32 v2, 32, v2
	v_subrev_nc_u32_e32 v42, 28, v2
	v_lshlrev_b64 v[43:44], v42, v[10:11]
	v_sub_nc_u32_e32 v42, 29, v2
	v_and_b32_e32 v2, 7, v43
; %bb.356:                              ;   in Loop: Header=BB316_285 Depth=1
	s_or_b32 exec_lo, exec_lo, s17
	v_lshlrev_b32_e32 v43, 8, v10
	v_lshl_add_u32 v42, v42, 10, 0x2000
	v_lshlrev_b32_e32 v2, 7, v2
	v_and_b32_e32 v43, 0x8000, v43
	v_and_b32_e32 v42, 0xfc00, v42
	v_or3_b32 v42, v43, v42, v2
.LBB316_357:                            ;   in Loop: Header=BB316_285 Depth=1
	s_or_b32 exec_lo, exec_lo, s13
.LBB316_358:                            ;   in Loop: Header=BB316_285 Depth=1
	s_or_b32 exec_lo, exec_lo, s12
.LBB316_359:                            ;   in Loop: Header=BB316_285 Depth=1
	s_or_b32 exec_lo, exec_lo, s9
	v_lshrrev_b16 v2, 8, v10
	s_mov_b32 s9, exec_lo
	v_cmpx_ne_u16_e32 0, v2
	s_cbranch_execz .LBB316_367
; %bb.360:                              ;   in Loop: Header=BB316_285 Depth=1
	v_bfrev_b32_e32 v41, 1
	s_mov_b32 s12, exec_lo
	v_cmpx_ne_u16_e32 0x80, v2
	s_cbranch_execz .LBB316_366
; %bb.361:                              ;   in Loop: Header=BB316_285 Depth=1
	v_and_b32_sdwa v44, v2, v24 dst_sel:DWORD dst_unused:UNUSED_PAD src0_sel:WORD_0 src1_sel:DWORD
	v_mov_b32_e32 v41, 0x7c010000
	s_mov_b32 s13, exec_lo
	v_cmpx_ne_u32_e32 0x7f, v44
	s_cbranch_execz .LBB316_365
; %bb.362:                              ;   in Loop: Header=BB316_285 Depth=1
	v_and_b32_sdwa v41, v2, v25 dst_sel:DWORD dst_unused:UNUSED_PAD src0_sel:WORD_0 src1_sel:DWORD
	v_lshrrev_b32_e32 v43, 3, v44
	s_mov_b32 s17, exec_lo
	v_cmpx_gt_u32_e32 8, v44
; %bb.363:                              ;   in Loop: Header=BB316_285 Depth=1
	v_ffbh_u32_e32 v41, v41
	v_min_u32_e32 v41, 32, v41
	v_subrev_nc_u32_e32 v43, 28, v41
	v_lshlrev_b64 v[44:45], v43, v[2:3]
	v_sub_nc_u32_e32 v43, 29, v41
	v_and_b32_e32 v41, 7, v44
; %bb.364:                              ;   in Loop: Header=BB316_285 Depth=1
	s_or_b32 exec_lo, exec_lo, s17
	v_lshlrev_b32_sdwa v2, v26, v2 dst_sel:DWORD dst_unused:UNUSED_PAD src0_sel:DWORD src1_sel:WORD_0
	v_lshl_add_u32 v43, v43, 10, 0x2000
	v_lshlrev_b32_e32 v41, 23, v41
	v_and_or_b32 v2, 0x8000, v2, v43
	v_lshl_or_b32 v41, v2, 16, v41
.LBB316_365:                            ;   in Loop: Header=BB316_285 Depth=1
	s_or_b32 exec_lo, exec_lo, s13
.LBB316_366:                            ;   in Loop: Header=BB316_285 Depth=1
	s_or_b32 exec_lo, exec_lo, s12
.LBB316_367:                            ;   in Loop: Header=BB316_285 Depth=1
	s_or_b32 exec_lo, exec_lo, s9
	v_lshrrev_b32_e32 v2, 16, v10
	v_mov_b32_e32 v43, 0
	v_mov_b32_e32 v44, 0
	v_cmp_ne_u16_sdwa s0, v2, v3 src0_sel:BYTE_0 src1_sel:DWORD
	s_and_saveexec_b32 s9, s0
	s_cbranch_execz .LBB316_375
; %bb.368:                              ;   in Loop: Header=BB316_285 Depth=1
	v_cmp_ne_u16_sdwa s0, v2, v23 src0_sel:BYTE_0 src1_sel:DWORD
	v_mov_b32_e32 v44, 0x8000
	s_and_saveexec_b32 s12, s0
	s_cbranch_execz .LBB316_374
; %bb.369:                              ;   in Loop: Header=BB316_285 Depth=1
	v_bfe_u32 v46, v10, 16, 7
	v_mov_b32_e32 v44, 0x7c01
	s_mov_b32 s13, exec_lo
	v_cmpx_ne_u32_e32 0x7f, v46
	s_cbranch_execz .LBB316_373
; %bb.370:                              ;   in Loop: Header=BB316_285 Depth=1
	v_and_b32_e32 v44, 7, v2
	v_lshrrev_b32_e32 v45, 3, v46
	s_mov_b32 s17, exec_lo
	v_cmpx_gt_u32_e32 8, v46
; %bb.371:                              ;   in Loop: Header=BB316_285 Depth=1
	v_ffbh_u32_e32 v44, v44
	v_min_u32_e32 v46, 32, v44
	v_subrev_nc_u32_e32 v44, 28, v46
	v_lshlrev_b64 v[44:45], v44, v[2:3]
	v_sub_nc_u32_e32 v45, 29, v46
	v_and_b32_e32 v44, 7, v44
; %bb.372:                              ;   in Loop: Header=BB316_285 Depth=1
	s_or_b32 exec_lo, exec_lo, s17
	v_lshlrev_b32_e32 v2, 8, v2
	v_lshl_add_u32 v45, v45, 10, 0x2000
	v_lshlrev_b32_e32 v44, 7, v44
	v_and_b32_e32 v2, 0x8000, v2
	v_and_b32_e32 v45, 0xfc00, v45
	v_or3_b32 v44, v2, v45, v44
.LBB316_373:                            ;   in Loop: Header=BB316_285 Depth=1
	s_or_b32 exec_lo, exec_lo, s13
.LBB316_374:                            ;   in Loop: Header=BB316_285 Depth=1
	s_or_b32 exec_lo, exec_lo, s12
.LBB316_375:                            ;   in Loop: Header=BB316_285 Depth=1
	s_or_b32 exec_lo, exec_lo, s9
	s_mov_b32 s9, exec_lo
	v_cmpx_lt_u32_e32 0xffffff, v10
	s_cbranch_execz .LBB316_383
; %bb.376:                              ;   in Loop: Header=BB316_285 Depth=1
	v_lshrrev_b32_e32 v2, 24, v10
	v_bfrev_b32_e32 v43, 1
	s_mov_b32 s12, exec_lo
	v_cmpx_ne_u32_e32 0x80, v2
	s_cbranch_execz .LBB316_382
; %bb.377:                              ;   in Loop: Header=BB316_285 Depth=1
	v_and_b32_e32 v46, 0x7f, v2
	v_mov_b32_e32 v43, 0x7c010000
	s_mov_b32 s13, exec_lo
	v_cmpx_ne_u32_e32 0x7f, v46
	s_cbranch_execz .LBB316_381
; %bb.378:                              ;   in Loop: Header=BB316_285 Depth=1
	v_and_b32_e32 v43, 7, v2
	v_lshrrev_b32_e32 v45, 3, v46
	s_mov_b32 s17, exec_lo
	v_cmpx_gt_u32_e32 8, v46
; %bb.379:                              ;   in Loop: Header=BB316_285 Depth=1
	v_ffbh_u32_e32 v43, v43
	v_min_u32_e32 v43, 32, v43
	v_subrev_nc_u32_e32 v45, 28, v43
	v_lshlrev_b64 v[46:47], v45, v[2:3]
	v_sub_nc_u32_e32 v45, 29, v43
	v_and_b32_e32 v43, 7, v46
; %bb.380:                              ;   in Loop: Header=BB316_285 Depth=1
	s_or_b32 exec_lo, exec_lo, s17
	v_lshlrev_b32_e32 v2, 8, v2
	v_lshl_add_u32 v45, v45, 10, 0x2000
	v_lshlrev_b32_e32 v43, 23, v43
	v_and_or_b32 v2, 0x8000, v2, v45
	v_lshl_or_b32 v43, v2, 16, v43
.LBB316_381:                            ;   in Loop: Header=BB316_285 Depth=1
	s_or_b32 exec_lo, exec_lo, s13
.LBB316_382:                            ;   in Loop: Header=BB316_285 Depth=1
	s_or_b32 exec_lo, exec_lo, s12
.LBB316_383:                            ;   in Loop: Header=BB316_285 Depth=1
	s_or_b32 exec_lo, exec_lo, s9
	v_mov_b32_e32 v2, v11
	v_cmp_ne_u16_sdwa s0, v11, v3 src0_sel:BYTE_0 src1_sel:DWORD
	v_mov_b32_e32 v45, 0
	v_mov_b32_e32 v46, 0
	s_and_saveexec_b32 s9, s0
	s_cbranch_execz .LBB316_391
; %bb.384:                              ;   in Loop: Header=BB316_285 Depth=1
	v_cmp_ne_u16_sdwa s0, v11, v23 src0_sel:BYTE_0 src1_sel:DWORD
	v_mov_b32_e32 v46, 0x8000
	s_and_saveexec_b32 s12, s0
	s_cbranch_execz .LBB316_390
; %bb.385:                              ;   in Loop: Header=BB316_285 Depth=1
	v_and_b32_e32 v48, 0x7f, v11
	v_mov_b32_e32 v46, 0x7c01
	s_mov_b32 s13, exec_lo
	v_cmpx_ne_u32_e32 0x7f, v48
	s_cbranch_execz .LBB316_389
; %bb.386:                              ;   in Loop: Header=BB316_285 Depth=1
	v_and_b32_e32 v46, 7, v11
	v_lshrrev_b32_e32 v47, 3, v48
	s_mov_b32 s17, exec_lo
	v_cmpx_gt_u32_e32 8, v48
; %bb.387:                              ;   in Loop: Header=BB316_285 Depth=1
	v_ffbh_u32_e32 v46, v46
	v_min_u32_e32 v48, 32, v46
	v_subrev_nc_u32_e32 v46, 28, v48
	v_lshlrev_b64 v[46:47], v46, v[2:3]
	v_sub_nc_u32_e32 v47, 29, v48
	v_and_b32_e32 v46, 7, v46
; %bb.388:                              ;   in Loop: Header=BB316_285 Depth=1
	s_or_b32 exec_lo, exec_lo, s17
	v_lshlrev_b32_e32 v48, 8, v11
	v_lshl_add_u32 v47, v47, 10, 0x2000
	v_lshlrev_b32_e32 v46, 7, v46
	v_and_b32_e32 v48, 0x8000, v48
	v_and_b32_e32 v47, 0xfc00, v47
	v_or3_b32 v46, v48, v47, v46
.LBB316_389:                            ;   in Loop: Header=BB316_285 Depth=1
	s_or_b32 exec_lo, exec_lo, s13
.LBB316_390:                            ;   in Loop: Header=BB316_285 Depth=1
	s_or_b32 exec_lo, exec_lo, s12
.LBB316_391:                            ;   in Loop: Header=BB316_285 Depth=1
	s_or_b32 exec_lo, exec_lo, s9
	v_lshrrev_b16 v2, 8, v2
	v_mov_b32_e32 v47, 0
	s_mov_b32 s9, exec_lo
	v_cmpx_ne_u16_e32 0, v2
	s_cbranch_execz .LBB316_399
; %bb.392:                              ;   in Loop: Header=BB316_285 Depth=1
	v_bfrev_b32_e32 v47, 1
	s_mov_b32 s12, exec_lo
	v_cmpx_ne_u16_e32 0x80, v2
	s_cbranch_execz .LBB316_398
; %bb.393:                              ;   in Loop: Header=BB316_285 Depth=1
	v_and_b32_sdwa v49, v2, v24 dst_sel:DWORD dst_unused:UNUSED_PAD src0_sel:WORD_0 src1_sel:DWORD
	v_mov_b32_e32 v47, 0x7c010000
	s_mov_b32 s13, exec_lo
	v_cmpx_ne_u32_e32 0x7f, v49
	s_cbranch_execz .LBB316_397
; %bb.394:                              ;   in Loop: Header=BB316_285 Depth=1
	v_and_b32_sdwa v47, v2, v25 dst_sel:DWORD dst_unused:UNUSED_PAD src0_sel:WORD_0 src1_sel:DWORD
	v_lshrrev_b32_e32 v48, 3, v49
	s_mov_b32 s17, exec_lo
	v_cmpx_gt_u32_e32 8, v49
; %bb.395:                              ;   in Loop: Header=BB316_285 Depth=1
	v_ffbh_u32_e32 v47, v47
	v_min_u32_e32 v49, 32, v47
	v_subrev_nc_u32_e32 v47, 28, v49
	v_lshlrev_b64 v[47:48], v47, v[2:3]
	v_sub_nc_u32_e32 v48, 29, v49
	v_and_b32_e32 v47, 7, v47
; %bb.396:                              ;   in Loop: Header=BB316_285 Depth=1
	s_or_b32 exec_lo, exec_lo, s17
	v_lshlrev_b32_sdwa v2, v26, v2 dst_sel:DWORD dst_unused:UNUSED_PAD src0_sel:DWORD src1_sel:WORD_0
	v_lshl_add_u32 v48, v48, 10, 0x2000
	v_lshlrev_b32_e32 v47, 23, v47
	v_and_or_b32 v2, 0x8000, v2, v48
	v_lshl_or_b32 v47, v2, 16, v47
.LBB316_397:                            ;   in Loop: Header=BB316_285 Depth=1
	s_or_b32 exec_lo, exec_lo, s13
.LBB316_398:                            ;   in Loop: Header=BB316_285 Depth=1
	s_or_b32 exec_lo, exec_lo, s12
.LBB316_399:                            ;   in Loop: Header=BB316_285 Depth=1
	s_or_b32 exec_lo, exec_lo, s9
	v_lshrrev_b32_e32 v2, 16, v11
	v_cmp_ne_u16_sdwa s0, v2, v3 src0_sel:BYTE_0 src1_sel:DWORD
	s_and_saveexec_b32 s9, s0
	s_cbranch_execz .LBB316_407
; %bb.400:                              ;   in Loop: Header=BB316_285 Depth=1
	v_cmp_ne_u16_sdwa s0, v2, v23 src0_sel:BYTE_0 src1_sel:DWORD
	v_mov_b32_e32 v45, 0x8000
	s_and_saveexec_b32 s12, s0
	s_cbranch_execz .LBB316_406
; %bb.401:                              ;   in Loop: Header=BB316_285 Depth=1
	v_bfe_u32 v49, v11, 16, 7
	v_mov_b32_e32 v45, 0x7c01
	s_mov_b32 s13, exec_lo
	v_cmpx_ne_u32_e32 0x7f, v49
	s_cbranch_execz .LBB316_405
; %bb.402:                              ;   in Loop: Header=BB316_285 Depth=1
	v_and_b32_e32 v45, 7, v2
	v_lshrrev_b32_e32 v48, 3, v49
	s_mov_b32 s17, exec_lo
	v_cmpx_gt_u32_e32 8, v49
; %bb.403:                              ;   in Loop: Header=BB316_285 Depth=1
	v_ffbh_u32_e32 v45, v45
	v_min_u32_e32 v45, 32, v45
	v_subrev_nc_u32_e32 v48, 28, v45
	v_lshlrev_b64 v[49:50], v48, v[2:3]
	v_sub_nc_u32_e32 v48, 29, v45
	v_and_b32_e32 v45, 7, v49
; %bb.404:                              ;   in Loop: Header=BB316_285 Depth=1
	s_or_b32 exec_lo, exec_lo, s17
	v_lshlrev_b32_e32 v2, 8, v2
	v_lshl_add_u32 v48, v48, 10, 0x2000
	v_lshlrev_b32_e32 v45, 7, v45
	v_and_b32_e32 v2, 0x8000, v2
	v_and_b32_e32 v48, 0xfc00, v48
	v_or3_b32 v45, v2, v48, v45
.LBB316_405:                            ;   in Loop: Header=BB316_285 Depth=1
	s_or_b32 exec_lo, exec_lo, s13
.LBB316_406:                            ;   in Loop: Header=BB316_285 Depth=1
	s_or_b32 exec_lo, exec_lo, s12
.LBB316_407:                            ;   in Loop: Header=BB316_285 Depth=1
	s_or_b32 exec_lo, exec_lo, s9
	v_cmp_lt_u64_e64 s0, s[4:5], v[10:11]
	v_mov_b32_e32 v10, 0
	s_and_saveexec_b32 s9, s0
	s_cbranch_execz .LBB316_415
; %bb.408:                              ;   in Loop: Header=BB316_285 Depth=1
	v_lshrrev_b32_e32 v2, 24, v11
	v_bfrev_b32_e32 v10, 1
	s_mov_b32 s12, exec_lo
	v_cmpx_ne_u32_e32 0x80, v2
	s_cbranch_execz .LBB316_414
; %bb.409:                              ;   in Loop: Header=BB316_285 Depth=1
	v_and_b32_e32 v48, 0x7f, v2
	v_mov_b32_e32 v10, 0x7c010000
	s_mov_b32 s13, exec_lo
	v_cmpx_ne_u32_e32 0x7f, v48
	s_cbranch_execz .LBB316_413
; %bb.410:                              ;   in Loop: Header=BB316_285 Depth=1
	v_and_b32_e32 v10, 7, v2
	v_lshrrev_b32_e32 v11, 3, v48
	s_mov_b32 s17, exec_lo
	v_cmpx_gt_u32_e32 8, v48
; %bb.411:                              ;   in Loop: Header=BB316_285 Depth=1
	v_ffbh_u32_e32 v10, v10
	v_min_u32_e32 v48, 32, v10
	v_subrev_nc_u32_e32 v10, 28, v48
	v_lshlrev_b64 v[10:11], v10, v[2:3]
	v_sub_nc_u32_e32 v11, 29, v48
	v_and_b32_e32 v10, 7, v10
; %bb.412:                              ;   in Loop: Header=BB316_285 Depth=1
	s_or_b32 exec_lo, exec_lo, s17
	v_lshlrev_b32_e32 v2, 8, v2
	v_lshl_add_u32 v11, v11, 10, 0x2000
	v_lshlrev_b32_e32 v10, 23, v10
	v_and_or_b32 v2, 0x8000, v2, v11
	v_lshl_or_b32 v10, v2, 16, v10
.LBB316_413:                            ;   in Loop: Header=BB316_285 Depth=1
	s_or_b32 exec_lo, exec_lo, s13
.LBB316_414:                            ;   in Loop: Header=BB316_285 Depth=1
	s_or_b32 exec_lo, exec_lo, s12
.LBB316_415:                            ;   in Loop: Header=BB316_285 Depth=1
	s_or_b32 exec_lo, exec_lo, s9
	v_or_b32_e32 v2, v43, v44
	s_waitcnt vmcnt(0)
	v_fma_mixlo_f16 v11, v40, v43, 0 op_sel:[0,1,0] op_sel_hi:[0,1,0]
	v_or_b32_e32 v43, v41, v42
	v_fma_mixlo_f16 v41, v40, v41, 0 op_sel:[0,1,0] op_sel_hi:[0,1,0]
	v_or_b32_e32 v44, v47, v46
	v_or_b32_e32 v45, v10, v45
	v_fma_mixlo_f16 v46, v40, v2, 0 op_sel_hi:[0,1,0]
	v_fma_mixlo_f16 v10, v40, v10, 0 op_sel:[0,1,0] op_sel_hi:[0,1,0]
	v_lshlrev_b32_e32 v42, 16, v41
	v_fma_mixlo_f16 v41, v40, v43, 0 op_sel_hi:[0,1,0]
	v_fma_mixlo_f16 v43, v40, v47, 0 op_sel:[0,1,0] op_sel_hi:[0,1,0]
	v_fma_mixlo_f16 v44, v40, v44, 0 op_sel_hi:[0,1,0]
	v_fma_mixlo_f16 v45, v40, v45, 0 op_sel_hi:[0,1,0]
	v_lshlrev_b32_e32 v2, 16, v11
	v_and_b32_e32 v11, 0xffff, v46
	v_and_b32_e32 v48, 0xffff, v41
	v_lshlrev_b32_e32 v40, 16, v43
	v_and_b32_e32 v44, 0xffff, v44
	v_lshlrev_b32_e32 v10, 16, v10
	v_and_b32_e32 v41, 0xffff, v45
	v_or_b32_e32 v43, v2, v11
	v_or_b32_e32 v47, v42, v48
	;; [unrolled: 1-line block ×4, first 2 shown]
	s_and_saveexec_b32 s9, vcc_lo
	s_cbranch_execz .LBB316_417
; %bb.416:                              ;   in Loop: Header=BB316_285 Depth=1
	v_cmp_gt_i32_e64 s0, s29, v27
	v_cndmask_b32_e64 v43, 0, v48, s0
	v_cmp_gt_i32_e64 s0, s29, v33
	v_cndmask_b32_e64 v42, 0, v42, s0
	v_cmp_gt_i32_e64 s0, s29, v32
	v_or_b32_e32 v47, v42, v43
	v_cndmask_b32_e64 v11, 0, v11, s0
	v_cmp_gt_i32_e64 s0, s29, v31
	v_cndmask_b32_e64 v2, 0, v2, s0
	v_cmp_gt_i32_e64 s0, s29, v30
	v_or_b32_e32 v43, v2, v11
	;; [unrolled: 5-line block ×3, first 2 shown]
	v_cndmask_b32_e64 v41, 0, v41, s0
	v_cmp_gt_i32_e64 s0, s29, v21
	v_cndmask_b32_e64 v10, 0, v10, s0
	v_or_b32_e32 v45, v10, v41
.LBB316_417:                            ;   in Loop: Header=BB316_285 Depth=1
	s_or_b32 exec_lo, exec_lo, s9
	;;#ASMSTART
	v_pk_mul_f16 v2, v38, v47;

	;;#ASMEND
	;;#ASMSTART
	v_pk_mul_f16 v10, v36, v43;

	;;#ASMEND
	;; [unrolled: 4-line block ×4, first 2 shown]
	;;#ASMSTART
	v_pk_add_f16 v2, v2, v10;

	;;#ASMEND
	;;#ASMSTART
	v_pk_add_f16 v2, v2, v11;

	;;#ASMEND
	;; [unrolled: 4-line block ×3, first 2 shown]
	v_and_b32_e32 v10, 0xffff, v2
	v_lshrrev_b32_e32 v2, 16, v2
	;;#ASMSTART
	v_cvt_f32_f16 v40, v10;
	;;#ASMEND
	;;#ASMSTART
	v_cvt_f32_f16 v41, v2;
	;;#ASMEND
	global_load_dwordx2 v[10:11], v[8:9], off offset:512
	v_mov_b32_e32 v43, 0
	v_mov_b32_e32 v44, 0
	global_load_dword v42, v43, s[14:15]
	s_waitcnt vmcnt(1)
	v_cmp_ne_u16_sdwa s0, v10, v3 src0_sel:BYTE_0 src1_sel:DWORD
	s_and_saveexec_b32 s9, s0
	s_cbranch_execz .LBB316_425
; %bb.418:                              ;   in Loop: Header=BB316_285 Depth=1
	v_cmp_ne_u16_sdwa s0, v10, v23 src0_sel:BYTE_0 src1_sel:DWORD
	v_mov_b32_e32 v44, 0x8000
	s_and_saveexec_b32 s12, s0
	s_cbranch_execz .LBB316_424
; %bb.419:                              ;   in Loop: Header=BB316_285 Depth=1
	v_and_b32_e32 v45, 0x7f, v10
	v_mov_b32_e32 v44, 0x7c01
	s_mov_b32 s13, exec_lo
	v_cmpx_ne_u32_e32 0x7f, v45
	s_cbranch_execz .LBB316_423
; %bb.420:                              ;   in Loop: Header=BB316_285 Depth=1
	v_and_b32_e32 v2, 7, v10
	v_lshrrev_b32_e32 v44, 3, v45
	s_mov_b32 s17, exec_lo
	v_cmpx_gt_u32_e32 8, v45
; %bb.421:                              ;   in Loop: Header=BB316_285 Depth=1
	v_ffbh_u32_e32 v2, v2
	v_min_u32_e32 v2, 32, v2
	v_subrev_nc_u32_e32 v44, 28, v2
	v_lshlrev_b64 v[45:46], v44, v[10:11]
	v_sub_nc_u32_e32 v44, 29, v2
	v_and_b32_e32 v2, 7, v45
; %bb.422:                              ;   in Loop: Header=BB316_285 Depth=1
	s_or_b32 exec_lo, exec_lo, s17
	v_lshlrev_b32_e32 v45, 8, v10
	v_lshl_add_u32 v44, v44, 10, 0x2000
	v_lshlrev_b32_e32 v2, 7, v2
	v_and_b32_e32 v45, 0x8000, v45
	v_and_b32_e32 v44, 0xfc00, v44
	v_or3_b32 v44, v45, v44, v2
.LBB316_423:                            ;   in Loop: Header=BB316_285 Depth=1
	s_or_b32 exec_lo, exec_lo, s13
.LBB316_424:                            ;   in Loop: Header=BB316_285 Depth=1
	s_or_b32 exec_lo, exec_lo, s12
.LBB316_425:                            ;   in Loop: Header=BB316_285 Depth=1
	s_or_b32 exec_lo, exec_lo, s9
	v_lshrrev_b16 v2, 8, v10
	s_mov_b32 s9, exec_lo
	v_cmpx_ne_u16_e32 0, v2
	s_cbranch_execz .LBB316_433
; %bb.426:                              ;   in Loop: Header=BB316_285 Depth=1
	v_bfrev_b32_e32 v43, 1
	s_mov_b32 s12, exec_lo
	v_cmpx_ne_u16_e32 0x80, v2
	s_cbranch_execz .LBB316_432
; %bb.427:                              ;   in Loop: Header=BB316_285 Depth=1
	v_and_b32_sdwa v46, v2, v24 dst_sel:DWORD dst_unused:UNUSED_PAD src0_sel:WORD_0 src1_sel:DWORD
	v_mov_b32_e32 v43, 0x7c010000
	s_mov_b32 s13, exec_lo
	v_cmpx_ne_u32_e32 0x7f, v46
	s_cbranch_execz .LBB316_431
; %bb.428:                              ;   in Loop: Header=BB316_285 Depth=1
	v_and_b32_sdwa v43, v2, v25 dst_sel:DWORD dst_unused:UNUSED_PAD src0_sel:WORD_0 src1_sel:DWORD
	v_lshrrev_b32_e32 v45, 3, v46
	s_mov_b32 s17, exec_lo
	v_cmpx_gt_u32_e32 8, v46
; %bb.429:                              ;   in Loop: Header=BB316_285 Depth=1
	v_ffbh_u32_e32 v43, v43
	v_min_u32_e32 v43, 32, v43
	v_subrev_nc_u32_e32 v45, 28, v43
	v_lshlrev_b64 v[46:47], v45, v[2:3]
	v_sub_nc_u32_e32 v45, 29, v43
	v_and_b32_e32 v43, 7, v46
; %bb.430:                              ;   in Loop: Header=BB316_285 Depth=1
	s_or_b32 exec_lo, exec_lo, s17
	v_lshlrev_b32_sdwa v2, v26, v2 dst_sel:DWORD dst_unused:UNUSED_PAD src0_sel:DWORD src1_sel:WORD_0
	v_lshl_add_u32 v45, v45, 10, 0x2000
	v_lshlrev_b32_e32 v43, 23, v43
	v_and_or_b32 v2, 0x8000, v2, v45
	v_lshl_or_b32 v43, v2, 16, v43
.LBB316_431:                            ;   in Loop: Header=BB316_285 Depth=1
	s_or_b32 exec_lo, exec_lo, s13
.LBB316_432:                            ;   in Loop: Header=BB316_285 Depth=1
	s_or_b32 exec_lo, exec_lo, s12
.LBB316_433:                            ;   in Loop: Header=BB316_285 Depth=1
	s_or_b32 exec_lo, exec_lo, s9
	v_lshrrev_b32_e32 v2, 16, v10
	v_mov_b32_e32 v45, 0
	v_mov_b32_e32 v46, 0
	v_cmp_ne_u16_sdwa s0, v2, v3 src0_sel:BYTE_0 src1_sel:DWORD
	s_and_saveexec_b32 s9, s0
	s_cbranch_execz .LBB316_441
; %bb.434:                              ;   in Loop: Header=BB316_285 Depth=1
	v_cmp_ne_u16_sdwa s0, v2, v23 src0_sel:BYTE_0 src1_sel:DWORD
	v_mov_b32_e32 v46, 0x8000
	s_and_saveexec_b32 s12, s0
	s_cbranch_execz .LBB316_440
; %bb.435:                              ;   in Loop: Header=BB316_285 Depth=1
	v_bfe_u32 v48, v10, 16, 7
	v_mov_b32_e32 v46, 0x7c01
	s_mov_b32 s13, exec_lo
	v_cmpx_ne_u32_e32 0x7f, v48
	s_cbranch_execz .LBB316_439
; %bb.436:                              ;   in Loop: Header=BB316_285 Depth=1
	v_and_b32_e32 v46, 7, v2
	v_lshrrev_b32_e32 v47, 3, v48
	s_mov_b32 s17, exec_lo
	v_cmpx_gt_u32_e32 8, v48
; %bb.437:                              ;   in Loop: Header=BB316_285 Depth=1
	v_ffbh_u32_e32 v46, v46
	v_min_u32_e32 v48, 32, v46
	v_subrev_nc_u32_e32 v46, 28, v48
	v_lshlrev_b64 v[46:47], v46, v[2:3]
	v_sub_nc_u32_e32 v47, 29, v48
	v_and_b32_e32 v46, 7, v46
; %bb.438:                              ;   in Loop: Header=BB316_285 Depth=1
	s_or_b32 exec_lo, exec_lo, s17
	v_lshlrev_b32_e32 v2, 8, v2
	v_lshl_add_u32 v47, v47, 10, 0x2000
	v_lshlrev_b32_e32 v46, 7, v46
	v_and_b32_e32 v2, 0x8000, v2
	v_and_b32_e32 v47, 0xfc00, v47
	v_or3_b32 v46, v2, v47, v46
.LBB316_439:                            ;   in Loop: Header=BB316_285 Depth=1
	s_or_b32 exec_lo, exec_lo, s13
.LBB316_440:                            ;   in Loop: Header=BB316_285 Depth=1
	s_or_b32 exec_lo, exec_lo, s12
.LBB316_441:                            ;   in Loop: Header=BB316_285 Depth=1
	s_or_b32 exec_lo, exec_lo, s9
	s_mov_b32 s9, exec_lo
	v_cmpx_lt_u32_e32 0xffffff, v10
	s_cbranch_execz .LBB316_449
; %bb.442:                              ;   in Loop: Header=BB316_285 Depth=1
	v_lshrrev_b32_e32 v2, 24, v10
	v_bfrev_b32_e32 v45, 1
	s_mov_b32 s12, exec_lo
	v_cmpx_ne_u32_e32 0x80, v2
	s_cbranch_execz .LBB316_448
; %bb.443:                              ;   in Loop: Header=BB316_285 Depth=1
	v_and_b32_e32 v48, 0x7f, v2
	v_mov_b32_e32 v45, 0x7c010000
	s_mov_b32 s13, exec_lo
	v_cmpx_ne_u32_e32 0x7f, v48
	s_cbranch_execz .LBB316_447
; %bb.444:                              ;   in Loop: Header=BB316_285 Depth=1
	v_and_b32_e32 v45, 7, v2
	v_lshrrev_b32_e32 v47, 3, v48
	s_mov_b32 s17, exec_lo
	v_cmpx_gt_u32_e32 8, v48
; %bb.445:                              ;   in Loop: Header=BB316_285 Depth=1
	v_ffbh_u32_e32 v45, v45
	v_min_u32_e32 v45, 32, v45
	v_subrev_nc_u32_e32 v47, 28, v45
	v_lshlrev_b64 v[48:49], v47, v[2:3]
	v_sub_nc_u32_e32 v47, 29, v45
	v_and_b32_e32 v45, 7, v48
; %bb.446:                              ;   in Loop: Header=BB316_285 Depth=1
	s_or_b32 exec_lo, exec_lo, s17
	v_lshlrev_b32_e32 v2, 8, v2
	v_lshl_add_u32 v47, v47, 10, 0x2000
	v_lshlrev_b32_e32 v45, 23, v45
	v_and_or_b32 v2, 0x8000, v2, v47
	v_lshl_or_b32 v45, v2, 16, v45
.LBB316_447:                            ;   in Loop: Header=BB316_285 Depth=1
	s_or_b32 exec_lo, exec_lo, s13
.LBB316_448:                            ;   in Loop: Header=BB316_285 Depth=1
	s_or_b32 exec_lo, exec_lo, s12
.LBB316_449:                            ;   in Loop: Header=BB316_285 Depth=1
	s_or_b32 exec_lo, exec_lo, s9
	v_mov_b32_e32 v2, v11
	v_cmp_ne_u16_sdwa s0, v11, v3 src0_sel:BYTE_0 src1_sel:DWORD
	v_mov_b32_e32 v47, 0
	v_mov_b32_e32 v48, 0
	s_and_saveexec_b32 s9, s0
	s_cbranch_execz .LBB316_457
; %bb.450:                              ;   in Loop: Header=BB316_285 Depth=1
	v_cmp_ne_u16_sdwa s0, v11, v23 src0_sel:BYTE_0 src1_sel:DWORD
	v_mov_b32_e32 v48, 0x8000
	s_and_saveexec_b32 s12, s0
	s_cbranch_execz .LBB316_456
; %bb.451:                              ;   in Loop: Header=BB316_285 Depth=1
	v_and_b32_e32 v50, 0x7f, v11
	v_mov_b32_e32 v48, 0x7c01
	s_mov_b32 s13, exec_lo
	v_cmpx_ne_u32_e32 0x7f, v50
	s_cbranch_execz .LBB316_455
; %bb.452:                              ;   in Loop: Header=BB316_285 Depth=1
	v_and_b32_e32 v48, 7, v11
	v_lshrrev_b32_e32 v49, 3, v50
	s_mov_b32 s17, exec_lo
	v_cmpx_gt_u32_e32 8, v50
; %bb.453:                              ;   in Loop: Header=BB316_285 Depth=1
	v_ffbh_u32_e32 v48, v48
	v_min_u32_e32 v50, 32, v48
	v_subrev_nc_u32_e32 v48, 28, v50
	v_lshlrev_b64 v[48:49], v48, v[2:3]
	v_sub_nc_u32_e32 v49, 29, v50
	v_and_b32_e32 v48, 7, v48
; %bb.454:                              ;   in Loop: Header=BB316_285 Depth=1
	s_or_b32 exec_lo, exec_lo, s17
	v_lshlrev_b32_e32 v50, 8, v11
	v_lshl_add_u32 v49, v49, 10, 0x2000
	v_lshlrev_b32_e32 v48, 7, v48
	v_and_b32_e32 v50, 0x8000, v50
	v_and_b32_e32 v49, 0xfc00, v49
	v_or3_b32 v48, v50, v49, v48
.LBB316_455:                            ;   in Loop: Header=BB316_285 Depth=1
	s_or_b32 exec_lo, exec_lo, s13
.LBB316_456:                            ;   in Loop: Header=BB316_285 Depth=1
	s_or_b32 exec_lo, exec_lo, s12
.LBB316_457:                            ;   in Loop: Header=BB316_285 Depth=1
	s_or_b32 exec_lo, exec_lo, s9
	v_lshrrev_b16 v2, 8, v2
	v_mov_b32_e32 v49, 0
	s_mov_b32 s9, exec_lo
	v_cmpx_ne_u16_e32 0, v2
	s_cbranch_execz .LBB316_465
; %bb.458:                              ;   in Loop: Header=BB316_285 Depth=1
	v_bfrev_b32_e32 v49, 1
	s_mov_b32 s12, exec_lo
	v_cmpx_ne_u16_e32 0x80, v2
	s_cbranch_execz .LBB316_464
; %bb.459:                              ;   in Loop: Header=BB316_285 Depth=1
	v_and_b32_sdwa v51, v2, v24 dst_sel:DWORD dst_unused:UNUSED_PAD src0_sel:WORD_0 src1_sel:DWORD
	v_mov_b32_e32 v49, 0x7c010000
	s_mov_b32 s13, exec_lo
	v_cmpx_ne_u32_e32 0x7f, v51
	s_cbranch_execz .LBB316_463
; %bb.460:                              ;   in Loop: Header=BB316_285 Depth=1
	v_and_b32_sdwa v49, v2, v25 dst_sel:DWORD dst_unused:UNUSED_PAD src0_sel:WORD_0 src1_sel:DWORD
	v_lshrrev_b32_e32 v50, 3, v51
	s_mov_b32 s17, exec_lo
	v_cmpx_gt_u32_e32 8, v51
; %bb.461:                              ;   in Loop: Header=BB316_285 Depth=1
	v_ffbh_u32_e32 v49, v49
	v_min_u32_e32 v51, 32, v49
	v_subrev_nc_u32_e32 v49, 28, v51
	v_lshlrev_b64 v[49:50], v49, v[2:3]
	v_sub_nc_u32_e32 v50, 29, v51
	v_and_b32_e32 v49, 7, v49
; %bb.462:                              ;   in Loop: Header=BB316_285 Depth=1
	s_or_b32 exec_lo, exec_lo, s17
	v_lshlrev_b32_sdwa v2, v26, v2 dst_sel:DWORD dst_unused:UNUSED_PAD src0_sel:DWORD src1_sel:WORD_0
	v_lshl_add_u32 v50, v50, 10, 0x2000
	v_lshlrev_b32_e32 v49, 23, v49
	v_and_or_b32 v2, 0x8000, v2, v50
	v_lshl_or_b32 v49, v2, 16, v49
.LBB316_463:                            ;   in Loop: Header=BB316_285 Depth=1
	s_or_b32 exec_lo, exec_lo, s13
.LBB316_464:                            ;   in Loop: Header=BB316_285 Depth=1
	s_or_b32 exec_lo, exec_lo, s12
.LBB316_465:                            ;   in Loop: Header=BB316_285 Depth=1
	s_or_b32 exec_lo, exec_lo, s9
	v_lshrrev_b32_e32 v2, 16, v11
	v_cmp_ne_u16_sdwa s0, v2, v3 src0_sel:BYTE_0 src1_sel:DWORD
	s_and_saveexec_b32 s9, s0
	s_cbranch_execz .LBB316_473
; %bb.466:                              ;   in Loop: Header=BB316_285 Depth=1
	v_cmp_ne_u16_sdwa s0, v2, v23 src0_sel:BYTE_0 src1_sel:DWORD
	v_mov_b32_e32 v47, 0x8000
	s_and_saveexec_b32 s12, s0
	s_cbranch_execz .LBB316_472
; %bb.467:                              ;   in Loop: Header=BB316_285 Depth=1
	v_bfe_u32 v51, v11, 16, 7
	v_mov_b32_e32 v47, 0x7c01
	s_mov_b32 s13, exec_lo
	v_cmpx_ne_u32_e32 0x7f, v51
	s_cbranch_execz .LBB316_471
; %bb.468:                              ;   in Loop: Header=BB316_285 Depth=1
	v_and_b32_e32 v47, 7, v2
	v_lshrrev_b32_e32 v50, 3, v51
	s_mov_b32 s17, exec_lo
	v_cmpx_gt_u32_e32 8, v51
; %bb.469:                              ;   in Loop: Header=BB316_285 Depth=1
	v_ffbh_u32_e32 v47, v47
	v_min_u32_e32 v47, 32, v47
	v_subrev_nc_u32_e32 v50, 28, v47
	v_lshlrev_b64 v[51:52], v50, v[2:3]
	v_sub_nc_u32_e32 v50, 29, v47
	v_and_b32_e32 v47, 7, v51
; %bb.470:                              ;   in Loop: Header=BB316_285 Depth=1
	s_or_b32 exec_lo, exec_lo, s17
	v_lshlrev_b32_e32 v2, 8, v2
	v_lshl_add_u32 v50, v50, 10, 0x2000
	v_lshlrev_b32_e32 v47, 7, v47
	v_and_b32_e32 v2, 0x8000, v2
	v_and_b32_e32 v50, 0xfc00, v50
	v_or3_b32 v47, v2, v50, v47
.LBB316_471:                            ;   in Loop: Header=BB316_285 Depth=1
	s_or_b32 exec_lo, exec_lo, s13
.LBB316_472:                            ;   in Loop: Header=BB316_285 Depth=1
	s_or_b32 exec_lo, exec_lo, s12
.LBB316_473:                            ;   in Loop: Header=BB316_285 Depth=1
	s_or_b32 exec_lo, exec_lo, s9
	v_cmp_lt_u64_e64 s0, s[4:5], v[10:11]
	v_mov_b32_e32 v10, 0
	s_and_saveexec_b32 s9, s0
	s_cbranch_execz .LBB316_481
; %bb.474:                              ;   in Loop: Header=BB316_285 Depth=1
	v_lshrrev_b32_e32 v2, 24, v11
	v_bfrev_b32_e32 v10, 1
	s_mov_b32 s12, exec_lo
	v_cmpx_ne_u32_e32 0x80, v2
	s_cbranch_execz .LBB316_480
; %bb.475:                              ;   in Loop: Header=BB316_285 Depth=1
	v_and_b32_e32 v50, 0x7f, v2
	v_mov_b32_e32 v10, 0x7c010000
	s_mov_b32 s13, exec_lo
	v_cmpx_ne_u32_e32 0x7f, v50
	s_cbranch_execz .LBB316_479
; %bb.476:                              ;   in Loop: Header=BB316_285 Depth=1
	v_and_b32_e32 v10, 7, v2
	v_lshrrev_b32_e32 v11, 3, v50
	s_mov_b32 s17, exec_lo
	v_cmpx_gt_u32_e32 8, v50
; %bb.477:                              ;   in Loop: Header=BB316_285 Depth=1
	v_ffbh_u32_e32 v10, v10
	v_min_u32_e32 v50, 32, v10
	v_subrev_nc_u32_e32 v10, 28, v50
	v_lshlrev_b64 v[10:11], v10, v[2:3]
	v_sub_nc_u32_e32 v11, 29, v50
	v_and_b32_e32 v10, 7, v10
; %bb.478:                              ;   in Loop: Header=BB316_285 Depth=1
	s_or_b32 exec_lo, exec_lo, s17
	v_lshlrev_b32_e32 v2, 8, v2
	v_lshl_add_u32 v11, v11, 10, 0x2000
	v_lshlrev_b32_e32 v10, 23, v10
	v_and_or_b32 v2, 0x8000, v2, v11
	v_lshl_or_b32 v10, v2, 16, v10
.LBB316_479:                            ;   in Loop: Header=BB316_285 Depth=1
	s_or_b32 exec_lo, exec_lo, s13
.LBB316_480:                            ;   in Loop: Header=BB316_285 Depth=1
	s_or_b32 exec_lo, exec_lo, s12
.LBB316_481:                            ;   in Loop: Header=BB316_285 Depth=1
	s_or_b32 exec_lo, exec_lo, s9
	v_or_b32_e32 v2, v45, v46
	s_waitcnt vmcnt(0)
	v_fma_mixlo_f16 v11, v42, v45, 0 op_sel:[0,1,0] op_sel_hi:[0,1,0]
	v_or_b32_e32 v45, v43, v44
	v_fma_mixlo_f16 v43, v42, v43, 0 op_sel:[0,1,0] op_sel_hi:[0,1,0]
	v_or_b32_e32 v46, v49, v48
	v_or_b32_e32 v47, v10, v47
	v_fma_mixlo_f16 v48, v42, v2, 0 op_sel_hi:[0,1,0]
	v_fma_mixlo_f16 v10, v42, v10, 0 op_sel:[0,1,0] op_sel_hi:[0,1,0]
	v_lshlrev_b32_e32 v44, 16, v43
	v_fma_mixlo_f16 v43, v42, v45, 0 op_sel_hi:[0,1,0]
	v_fma_mixlo_f16 v45, v42, v49, 0 op_sel:[0,1,0] op_sel_hi:[0,1,0]
	v_fma_mixlo_f16 v46, v42, v46, 0 op_sel_hi:[0,1,0]
	v_fma_mixlo_f16 v47, v42, v47, 0 op_sel_hi:[0,1,0]
	v_lshlrev_b32_e32 v2, 16, v11
	v_and_b32_e32 v11, 0xffff, v48
	v_and_b32_e32 v50, 0xffff, v43
	v_lshlrev_b32_e32 v42, 16, v45
	v_and_b32_e32 v46, 0xffff, v46
	v_lshlrev_b32_e32 v10, 16, v10
	v_and_b32_e32 v43, 0xffff, v47
	v_or_b32_e32 v45, v2, v11
	v_or_b32_e32 v49, v44, v50
	;; [unrolled: 1-line block ×4, first 2 shown]
	s_and_saveexec_b32 s9, vcc_lo
	s_cbranch_execz .LBB316_483
; %bb.482:                              ;   in Loop: Header=BB316_285 Depth=1
	v_cmp_gt_i32_e64 s0, s29, v27
	v_cndmask_b32_e64 v45, 0, v50, s0
	v_cmp_gt_i32_e64 s0, s29, v33
	v_cndmask_b32_e64 v44, 0, v44, s0
	v_cmp_gt_i32_e64 s0, s29, v32
	v_or_b32_e32 v49, v44, v45
	v_cndmask_b32_e64 v11, 0, v11, s0
	v_cmp_gt_i32_e64 s0, s29, v31
	v_cndmask_b32_e64 v2, 0, v2, s0
	v_cmp_gt_i32_e64 s0, s29, v30
	v_or_b32_e32 v45, v2, v11
	;; [unrolled: 5-line block ×3, first 2 shown]
	v_cndmask_b32_e64 v43, 0, v43, s0
	v_cmp_gt_i32_e64 s0, s29, v21
	v_cndmask_b32_e64 v10, 0, v10, s0
	v_or_b32_e32 v47, v10, v43
.LBB316_483:                            ;   in Loop: Header=BB316_285 Depth=1
	s_or_b32 exec_lo, exec_lo, s9
	;;#ASMSTART
	v_pk_mul_f16 v2, v38, v49;

	;;#ASMEND
	;;#ASMSTART
	v_pk_mul_f16 v10, v36, v45;

	;;#ASMEND
	;; [unrolled: 4-line block ×4, first 2 shown]
	;;#ASMSTART
	v_pk_add_f16 v2, v2, v10;

	;;#ASMEND
	;;#ASMSTART
	v_pk_add_f16 v2, v2, v11;

	;;#ASMEND
	;; [unrolled: 4-line block ×3, first 2 shown]
	v_and_b32_e32 v10, 0xffff, v2
	v_lshrrev_b32_e32 v2, 16, v2
	;;#ASMSTART
	v_cvt_f32_f16 v10, v10;
	;;#ASMEND
	;;#ASMSTART
	v_cvt_f32_f16 v11, v2;
	;;#ASMEND
	global_load_dwordx2 v[8:9], v[8:9], off offset:768
	v_mov_b32_e32 v43, 0
	v_mov_b32_e32 v44, 0
	global_load_dword v42, v43, s[14:15]
	s_waitcnt vmcnt(1)
	v_cmp_ne_u16_sdwa s0, v8, v3 src0_sel:BYTE_0 src1_sel:DWORD
	s_and_saveexec_b32 s9, s0
	s_cbranch_execz .LBB316_491
; %bb.484:                              ;   in Loop: Header=BB316_285 Depth=1
	v_cmp_ne_u16_sdwa s0, v8, v23 src0_sel:BYTE_0 src1_sel:DWORD
	v_mov_b32_e32 v44, 0x8000
	s_and_saveexec_b32 s12, s0
	s_cbranch_execz .LBB316_490
; %bb.485:                              ;   in Loop: Header=BB316_285 Depth=1
	v_and_b32_e32 v45, 0x7f, v8
	v_mov_b32_e32 v44, 0x7c01
	s_mov_b32 s13, exec_lo
	v_cmpx_ne_u32_e32 0x7f, v45
	s_cbranch_execz .LBB316_489
; %bb.486:                              ;   in Loop: Header=BB316_285 Depth=1
	v_and_b32_e32 v2, 7, v8
	v_lshrrev_b32_e32 v44, 3, v45
	s_mov_b32 s17, exec_lo
	v_cmpx_gt_u32_e32 8, v45
; %bb.487:                              ;   in Loop: Header=BB316_285 Depth=1
	v_ffbh_u32_e32 v2, v2
	v_min_u32_e32 v2, 32, v2
	v_subrev_nc_u32_e32 v44, 28, v2
	v_lshlrev_b64 v[45:46], v44, v[8:9]
	v_sub_nc_u32_e32 v44, 29, v2
	v_and_b32_e32 v2, 7, v45
; %bb.488:                              ;   in Loop: Header=BB316_285 Depth=1
	s_or_b32 exec_lo, exec_lo, s17
	v_lshlrev_b32_e32 v45, 8, v8
	v_lshl_add_u32 v44, v44, 10, 0x2000
	v_lshlrev_b32_e32 v2, 7, v2
	v_and_b32_e32 v45, 0x8000, v45
	v_and_b32_e32 v44, 0xfc00, v44
	v_or3_b32 v44, v45, v44, v2
.LBB316_489:                            ;   in Loop: Header=BB316_285 Depth=1
	s_or_b32 exec_lo, exec_lo, s13
.LBB316_490:                            ;   in Loop: Header=BB316_285 Depth=1
	s_or_b32 exec_lo, exec_lo, s12
.LBB316_491:                            ;   in Loop: Header=BB316_285 Depth=1
	s_or_b32 exec_lo, exec_lo, s9
	v_lshrrev_b16 v2, 8, v8
	s_mov_b32 s9, exec_lo
	v_cmpx_ne_u16_e32 0, v2
	s_cbranch_execz .LBB316_499
; %bb.492:                              ;   in Loop: Header=BB316_285 Depth=1
	v_bfrev_b32_e32 v43, 1
	s_mov_b32 s12, exec_lo
	v_cmpx_ne_u16_e32 0x80, v2
	s_cbranch_execz .LBB316_498
; %bb.493:                              ;   in Loop: Header=BB316_285 Depth=1
	v_and_b32_sdwa v46, v2, v24 dst_sel:DWORD dst_unused:UNUSED_PAD src0_sel:WORD_0 src1_sel:DWORD
	v_mov_b32_e32 v43, 0x7c010000
	s_mov_b32 s13, exec_lo
	v_cmpx_ne_u32_e32 0x7f, v46
	s_cbranch_execz .LBB316_497
; %bb.494:                              ;   in Loop: Header=BB316_285 Depth=1
	v_and_b32_sdwa v43, v2, v25 dst_sel:DWORD dst_unused:UNUSED_PAD src0_sel:WORD_0 src1_sel:DWORD
	v_lshrrev_b32_e32 v45, 3, v46
	s_mov_b32 s17, exec_lo
	v_cmpx_gt_u32_e32 8, v46
; %bb.495:                              ;   in Loop: Header=BB316_285 Depth=1
	v_ffbh_u32_e32 v43, v43
	v_min_u32_e32 v43, 32, v43
	v_subrev_nc_u32_e32 v45, 28, v43
	v_lshlrev_b64 v[46:47], v45, v[2:3]
	v_sub_nc_u32_e32 v45, 29, v43
	v_and_b32_e32 v43, 7, v46
; %bb.496:                              ;   in Loop: Header=BB316_285 Depth=1
	s_or_b32 exec_lo, exec_lo, s17
	v_lshlrev_b32_sdwa v2, v26, v2 dst_sel:DWORD dst_unused:UNUSED_PAD src0_sel:DWORD src1_sel:WORD_0
	v_lshl_add_u32 v45, v45, 10, 0x2000
	v_lshlrev_b32_e32 v43, 23, v43
	v_and_or_b32 v2, 0x8000, v2, v45
	v_lshl_or_b32 v43, v2, 16, v43
.LBB316_497:                            ;   in Loop: Header=BB316_285 Depth=1
	s_or_b32 exec_lo, exec_lo, s13
.LBB316_498:                            ;   in Loop: Header=BB316_285 Depth=1
	s_or_b32 exec_lo, exec_lo, s12
.LBB316_499:                            ;   in Loop: Header=BB316_285 Depth=1
	s_or_b32 exec_lo, exec_lo, s9
	v_lshrrev_b32_e32 v2, 16, v8
	v_mov_b32_e32 v45, 0
	v_mov_b32_e32 v46, 0
	v_cmp_ne_u16_sdwa s0, v2, v3 src0_sel:BYTE_0 src1_sel:DWORD
	s_and_saveexec_b32 s9, s0
	s_cbranch_execz .LBB316_507
; %bb.500:                              ;   in Loop: Header=BB316_285 Depth=1
	v_cmp_ne_u16_sdwa s0, v2, v23 src0_sel:BYTE_0 src1_sel:DWORD
	v_mov_b32_e32 v46, 0x8000
	s_and_saveexec_b32 s12, s0
	s_cbranch_execz .LBB316_506
; %bb.501:                              ;   in Loop: Header=BB316_285 Depth=1
	v_bfe_u32 v48, v8, 16, 7
	v_mov_b32_e32 v46, 0x7c01
	s_mov_b32 s13, exec_lo
	v_cmpx_ne_u32_e32 0x7f, v48
	s_cbranch_execz .LBB316_505
; %bb.502:                              ;   in Loop: Header=BB316_285 Depth=1
	v_and_b32_e32 v46, 7, v2
	v_lshrrev_b32_e32 v47, 3, v48
	s_mov_b32 s17, exec_lo
	v_cmpx_gt_u32_e32 8, v48
; %bb.503:                              ;   in Loop: Header=BB316_285 Depth=1
	v_ffbh_u32_e32 v46, v46
	v_min_u32_e32 v48, 32, v46
	v_subrev_nc_u32_e32 v46, 28, v48
	v_lshlrev_b64 v[46:47], v46, v[2:3]
	v_sub_nc_u32_e32 v47, 29, v48
	v_and_b32_e32 v46, 7, v46
; %bb.504:                              ;   in Loop: Header=BB316_285 Depth=1
	s_or_b32 exec_lo, exec_lo, s17
	v_lshlrev_b32_e32 v2, 8, v2
	v_lshl_add_u32 v47, v47, 10, 0x2000
	v_lshlrev_b32_e32 v46, 7, v46
	v_and_b32_e32 v2, 0x8000, v2
	v_and_b32_e32 v47, 0xfc00, v47
	v_or3_b32 v46, v2, v47, v46
.LBB316_505:                            ;   in Loop: Header=BB316_285 Depth=1
	s_or_b32 exec_lo, exec_lo, s13
.LBB316_506:                            ;   in Loop: Header=BB316_285 Depth=1
	s_or_b32 exec_lo, exec_lo, s12
.LBB316_507:                            ;   in Loop: Header=BB316_285 Depth=1
	s_or_b32 exec_lo, exec_lo, s9
	s_mov_b32 s9, exec_lo
	v_cmpx_lt_u32_e32 0xffffff, v8
	s_cbranch_execz .LBB316_515
; %bb.508:                              ;   in Loop: Header=BB316_285 Depth=1
	v_lshrrev_b32_e32 v2, 24, v8
	v_bfrev_b32_e32 v45, 1
	s_mov_b32 s12, exec_lo
	v_cmpx_ne_u32_e32 0x80, v2
	s_cbranch_execz .LBB316_514
; %bb.509:                              ;   in Loop: Header=BB316_285 Depth=1
	v_and_b32_e32 v48, 0x7f, v2
	v_mov_b32_e32 v45, 0x7c010000
	s_mov_b32 s13, exec_lo
	v_cmpx_ne_u32_e32 0x7f, v48
	s_cbranch_execz .LBB316_513
; %bb.510:                              ;   in Loop: Header=BB316_285 Depth=1
	v_and_b32_e32 v45, 7, v2
	v_lshrrev_b32_e32 v47, 3, v48
	s_mov_b32 s17, exec_lo
	v_cmpx_gt_u32_e32 8, v48
; %bb.511:                              ;   in Loop: Header=BB316_285 Depth=1
	v_ffbh_u32_e32 v45, v45
	v_min_u32_e32 v45, 32, v45
	v_subrev_nc_u32_e32 v47, 28, v45
	v_lshlrev_b64 v[48:49], v47, v[2:3]
	v_sub_nc_u32_e32 v47, 29, v45
	v_and_b32_e32 v45, 7, v48
; %bb.512:                              ;   in Loop: Header=BB316_285 Depth=1
	s_or_b32 exec_lo, exec_lo, s17
	v_lshlrev_b32_e32 v2, 8, v2
	v_lshl_add_u32 v47, v47, 10, 0x2000
	v_lshlrev_b32_e32 v45, 23, v45
	v_and_or_b32 v2, 0x8000, v2, v47
	v_lshl_or_b32 v45, v2, 16, v45
.LBB316_513:                            ;   in Loop: Header=BB316_285 Depth=1
	s_or_b32 exec_lo, exec_lo, s13
.LBB316_514:                            ;   in Loop: Header=BB316_285 Depth=1
	s_or_b32 exec_lo, exec_lo, s12
.LBB316_515:                            ;   in Loop: Header=BB316_285 Depth=1
	s_or_b32 exec_lo, exec_lo, s9
	v_mov_b32_e32 v2, v9
	v_cmp_ne_u16_sdwa s0, v9, v3 src0_sel:BYTE_0 src1_sel:DWORD
	v_mov_b32_e32 v47, 0
	v_mov_b32_e32 v48, 0
	s_and_saveexec_b32 s9, s0
	s_cbranch_execz .LBB316_523
; %bb.516:                              ;   in Loop: Header=BB316_285 Depth=1
	v_cmp_ne_u16_sdwa s0, v9, v23 src0_sel:BYTE_0 src1_sel:DWORD
	v_mov_b32_e32 v48, 0x8000
	s_and_saveexec_b32 s12, s0
	s_cbranch_execz .LBB316_522
; %bb.517:                              ;   in Loop: Header=BB316_285 Depth=1
	v_and_b32_e32 v50, 0x7f, v9
	v_mov_b32_e32 v48, 0x7c01
	s_mov_b32 s13, exec_lo
	v_cmpx_ne_u32_e32 0x7f, v50
	s_cbranch_execz .LBB316_521
; %bb.518:                              ;   in Loop: Header=BB316_285 Depth=1
	v_and_b32_e32 v48, 7, v9
	v_lshrrev_b32_e32 v49, 3, v50
	s_mov_b32 s17, exec_lo
	v_cmpx_gt_u32_e32 8, v50
; %bb.519:                              ;   in Loop: Header=BB316_285 Depth=1
	v_ffbh_u32_e32 v48, v48
	v_min_u32_e32 v50, 32, v48
	v_subrev_nc_u32_e32 v48, 28, v50
	v_lshlrev_b64 v[48:49], v48, v[2:3]
	v_sub_nc_u32_e32 v49, 29, v50
	v_and_b32_e32 v48, 7, v48
; %bb.520:                              ;   in Loop: Header=BB316_285 Depth=1
	s_or_b32 exec_lo, exec_lo, s17
	v_lshlrev_b32_e32 v50, 8, v9
	v_lshl_add_u32 v49, v49, 10, 0x2000
	v_lshlrev_b32_e32 v48, 7, v48
	v_and_b32_e32 v50, 0x8000, v50
	v_and_b32_e32 v49, 0xfc00, v49
	v_or3_b32 v48, v50, v49, v48
.LBB316_521:                            ;   in Loop: Header=BB316_285 Depth=1
	s_or_b32 exec_lo, exec_lo, s13
.LBB316_522:                            ;   in Loop: Header=BB316_285 Depth=1
	s_or_b32 exec_lo, exec_lo, s12
.LBB316_523:                            ;   in Loop: Header=BB316_285 Depth=1
	s_or_b32 exec_lo, exec_lo, s9
	v_lshrrev_b16 v2, 8, v2
	v_mov_b32_e32 v49, 0
	s_mov_b32 s9, exec_lo
	v_cmpx_ne_u16_e32 0, v2
	s_cbranch_execz .LBB316_531
; %bb.524:                              ;   in Loop: Header=BB316_285 Depth=1
	v_bfrev_b32_e32 v49, 1
	s_mov_b32 s12, exec_lo
	v_cmpx_ne_u16_e32 0x80, v2
	s_cbranch_execz .LBB316_530
; %bb.525:                              ;   in Loop: Header=BB316_285 Depth=1
	v_and_b32_sdwa v51, v2, v24 dst_sel:DWORD dst_unused:UNUSED_PAD src0_sel:WORD_0 src1_sel:DWORD
	v_mov_b32_e32 v49, 0x7c010000
	s_mov_b32 s13, exec_lo
	v_cmpx_ne_u32_e32 0x7f, v51
	s_cbranch_execz .LBB316_529
; %bb.526:                              ;   in Loop: Header=BB316_285 Depth=1
	v_and_b32_sdwa v49, v2, v25 dst_sel:DWORD dst_unused:UNUSED_PAD src0_sel:WORD_0 src1_sel:DWORD
	v_lshrrev_b32_e32 v50, 3, v51
	s_mov_b32 s17, exec_lo
	v_cmpx_gt_u32_e32 8, v51
; %bb.527:                              ;   in Loop: Header=BB316_285 Depth=1
	v_ffbh_u32_e32 v49, v49
	v_min_u32_e32 v51, 32, v49
	v_subrev_nc_u32_e32 v49, 28, v51
	v_lshlrev_b64 v[49:50], v49, v[2:3]
	v_sub_nc_u32_e32 v50, 29, v51
	v_and_b32_e32 v49, 7, v49
; %bb.528:                              ;   in Loop: Header=BB316_285 Depth=1
	s_or_b32 exec_lo, exec_lo, s17
	v_lshlrev_b32_sdwa v2, v26, v2 dst_sel:DWORD dst_unused:UNUSED_PAD src0_sel:DWORD src1_sel:WORD_0
	v_lshl_add_u32 v50, v50, 10, 0x2000
	v_lshlrev_b32_e32 v49, 23, v49
	v_and_or_b32 v2, 0x8000, v2, v50
	v_lshl_or_b32 v49, v2, 16, v49
.LBB316_529:                            ;   in Loop: Header=BB316_285 Depth=1
	s_or_b32 exec_lo, exec_lo, s13
.LBB316_530:                            ;   in Loop: Header=BB316_285 Depth=1
	s_or_b32 exec_lo, exec_lo, s12
.LBB316_531:                            ;   in Loop: Header=BB316_285 Depth=1
	s_or_b32 exec_lo, exec_lo, s9
	v_lshrrev_b32_e32 v2, 16, v9
	v_cmp_ne_u16_sdwa s0, v2, v3 src0_sel:BYTE_0 src1_sel:DWORD
	s_and_saveexec_b32 s9, s0
	s_cbranch_execz .LBB316_539
; %bb.532:                              ;   in Loop: Header=BB316_285 Depth=1
	v_cmp_ne_u16_sdwa s0, v2, v23 src0_sel:BYTE_0 src1_sel:DWORD
	v_mov_b32_e32 v47, 0x8000
	s_and_saveexec_b32 s12, s0
	s_cbranch_execz .LBB316_538
; %bb.533:                              ;   in Loop: Header=BB316_285 Depth=1
	v_bfe_u32 v51, v9, 16, 7
	v_mov_b32_e32 v47, 0x7c01
	s_mov_b32 s13, exec_lo
	v_cmpx_ne_u32_e32 0x7f, v51
	s_cbranch_execz .LBB316_537
; %bb.534:                              ;   in Loop: Header=BB316_285 Depth=1
	v_and_b32_e32 v47, 7, v2
	v_lshrrev_b32_e32 v50, 3, v51
	s_mov_b32 s17, exec_lo
	v_cmpx_gt_u32_e32 8, v51
; %bb.535:                              ;   in Loop: Header=BB316_285 Depth=1
	v_ffbh_u32_e32 v47, v47
	v_min_u32_e32 v47, 32, v47
	v_subrev_nc_u32_e32 v50, 28, v47
	v_lshlrev_b64 v[51:52], v50, v[2:3]
	v_sub_nc_u32_e32 v50, 29, v47
	v_and_b32_e32 v47, 7, v51
; %bb.536:                              ;   in Loop: Header=BB316_285 Depth=1
	s_or_b32 exec_lo, exec_lo, s17
	v_lshlrev_b32_e32 v2, 8, v2
	v_lshl_add_u32 v50, v50, 10, 0x2000
	v_lshlrev_b32_e32 v47, 7, v47
	v_and_b32_e32 v2, 0x8000, v2
	v_and_b32_e32 v50, 0xfc00, v50
	v_or3_b32 v47, v2, v50, v47
.LBB316_537:                            ;   in Loop: Header=BB316_285 Depth=1
	s_or_b32 exec_lo, exec_lo, s13
.LBB316_538:                            ;   in Loop: Header=BB316_285 Depth=1
	s_or_b32 exec_lo, exec_lo, s12
.LBB316_539:                            ;   in Loop: Header=BB316_285 Depth=1
	s_or_b32 exec_lo, exec_lo, s9
	v_cmp_lt_u64_e64 s0, s[4:5], v[8:9]
	v_mov_b32_e32 v8, 0
	s_and_saveexec_b32 s9, s0
	s_cbranch_execz .LBB316_547
; %bb.540:                              ;   in Loop: Header=BB316_285 Depth=1
	v_lshrrev_b32_e32 v2, 24, v9
	v_bfrev_b32_e32 v8, 1
	s_mov_b32 s12, exec_lo
	v_cmpx_ne_u32_e32 0x80, v2
	s_cbranch_execz .LBB316_546
; %bb.541:                              ;   in Loop: Header=BB316_285 Depth=1
	v_and_b32_e32 v50, 0x7f, v2
	v_mov_b32_e32 v8, 0x7c010000
	s_mov_b32 s13, exec_lo
	v_cmpx_ne_u32_e32 0x7f, v50
	s_cbranch_execz .LBB316_545
; %bb.542:                              ;   in Loop: Header=BB316_285 Depth=1
	v_and_b32_e32 v8, 7, v2
	v_lshrrev_b32_e32 v9, 3, v50
	s_mov_b32 s17, exec_lo
	v_cmpx_gt_u32_e32 8, v50
; %bb.543:                              ;   in Loop: Header=BB316_285 Depth=1
	v_ffbh_u32_e32 v8, v8
	v_min_u32_e32 v50, 32, v8
	v_subrev_nc_u32_e32 v8, 28, v50
	v_lshlrev_b64 v[8:9], v8, v[2:3]
	v_sub_nc_u32_e32 v9, 29, v50
	v_and_b32_e32 v8, 7, v8
; %bb.544:                              ;   in Loop: Header=BB316_285 Depth=1
	s_or_b32 exec_lo, exec_lo, s17
	v_lshlrev_b32_e32 v2, 8, v2
	v_lshl_add_u32 v9, v9, 10, 0x2000
	v_lshlrev_b32_e32 v8, 23, v8
	v_and_or_b32 v2, 0x8000, v2, v9
	v_lshl_or_b32 v8, v2, 16, v8
.LBB316_545:                            ;   in Loop: Header=BB316_285 Depth=1
	s_or_b32 exec_lo, exec_lo, s13
.LBB316_546:                            ;   in Loop: Header=BB316_285 Depth=1
	s_or_b32 exec_lo, exec_lo, s12
.LBB316_547:                            ;   in Loop: Header=BB316_285 Depth=1
	s_or_b32 exec_lo, exec_lo, s9
	v_or_b32_e32 v2, v45, v46
	s_waitcnt vmcnt(0)
	v_fma_mixlo_f16 v9, v42, v45, 0 op_sel:[0,1,0] op_sel_hi:[0,1,0]
	v_or_b32_e32 v44, v43, v44
	v_fma_mixlo_f16 v43, v42, v43, 0 op_sel:[0,1,0] op_sel_hi:[0,1,0]
	v_or_b32_e32 v46, v49, v48
	v_or_b32_e32 v47, v8, v47
	v_fma_mixlo_f16 v45, v42, v2, 0 op_sel_hi:[0,1,0]
	v_lshlrev_b32_e32 v2, 16, v9
	v_lshlrev_b32_e32 v48, 16, v43
	v_fma_mixlo_f16 v9, v42, v44, 0 op_sel_hi:[0,1,0]
	v_fma_mixlo_f16 v43, v42, v49, 0 op_sel:[0,1,0] op_sel_hi:[0,1,0]
	v_fma_mixlo_f16 v44, v42, v46, 0 op_sel_hi:[0,1,0]
	v_fma_mixlo_f16 v8, v42, v8, 0 op_sel:[0,1,0] op_sel_hi:[0,1,0]
	v_fma_mixlo_f16 v42, v42, v47, 0 op_sel_hi:[0,1,0]
	v_and_b32_e32 v45, 0xffff, v45
	v_and_b32_e32 v50, 0xffff, v9
	v_lshlrev_b32_e32 v46, 16, v43
	v_and_b32_e32 v49, 0xffff, v44
	v_lshlrev_b32_e32 v9, 16, v8
	v_and_b32_e32 v47, 0xffff, v42
	v_or_b32_e32 v8, v2, v45
	v_or_b32_e32 v44, v48, v50
	;; [unrolled: 1-line block ×4, first 2 shown]
	s_and_saveexec_b32 s0, vcc_lo
	s_cbranch_execz .LBB316_284
; %bb.548:                              ;   in Loop: Header=BB316_285 Depth=1
	v_cmp_gt_i32_e32 vcc_lo, s29, v27
	v_cndmask_b32_e32 v8, 0, v50, vcc_lo
	v_cmp_gt_i32_e32 vcc_lo, s29, v33
	v_cndmask_b32_e32 v27, 0, v48, vcc_lo
	v_cmp_gt_i32_e32 vcc_lo, s29, v32
	v_or_b32_e32 v44, v27, v8
	v_cndmask_b32_e32 v32, 0, v45, vcc_lo
	v_cmp_gt_i32_e32 vcc_lo, s29, v31
	v_cndmask_b32_e32 v2, 0, v2, vcc_lo
	v_cmp_gt_i32_e32 vcc_lo, s29, v30
	v_or_b32_e32 v8, v2, v32
	;; [unrolled: 5-line block ×3, first 2 shown]
	v_cndmask_b32_e32 v28, 0, v47, vcc_lo
	v_cmp_gt_i32_e32 vcc_lo, s29, v21
	v_cndmask_b32_e32 v9, 0, v9, vcc_lo
	v_or_b32_e32 v42, v9, v28
	s_branch .LBB316_284
.LBB316_549:
	s_or_b32 exec_lo, exec_lo, s6
.LBB316_550:
	s_or_b32 exec_lo, exec_lo, s1
	ds_bpermute_b32 v1, v12, v18
	ds_bpermute_b32 v2, v12, v20
	;; [unrolled: 1-line block ×4, first 2 shown]
	v_lshrrev_b32_e32 v5, 2, v14
	v_and_b32_e32 v12, 0x3c3, v0
	s_mov_b32 s0, exec_lo
	s_waitcnt lgkmcnt(0)
	s_waitcnt_vscnt null, 0x0
	s_barrier
	buffer_gl0_inv
	v_add_f32_e32 v1, v18, v1
	v_add_f32_e32 v2, v20, v2
	;; [unrolled: 1-line block ×4, first 2 shown]
	v_and_b32_e32 v4, 28, v14
	ds_bpermute_b32 v3, v16, v1
	ds_bpermute_b32 v9, v16, v2
	;; [unrolled: 1-line block ×4, first 2 shown]
	v_add_nc_u32_e32 v6, 0x60, v4
	s_waitcnt lgkmcnt(3)
	v_add_f32_e32 v4, v1, v3
	s_waitcnt lgkmcnt(2)
	v_add_f32_e32 v3, v2, v9
	;; [unrolled: 2-line block ×4, first 2 shown]
	v_cmpx_eq_u32_e32 64, v12
	s_cbranch_execz .LBB316_552
; %bb.551:
	v_lshl_add_u32 v7, v13, 7, v6
	v_add_nc_u32_e32 v8, 0xffffff00, v7
	v_add_nc_u32_e32 v9, 0xffffff20, v7
	;; [unrolled: 1-line block ×4, first 2 shown]
	ds_write_b32 v8, v4
	ds_write_b32 v9, v3
	;; [unrolled: 1-line block ×4, first 2 shown]
.LBB316_552:
	s_or_b32 exec_lo, exec_lo, s0
	v_and_b32_e32 v7, 0x3e0, v0
	v_lshlrev_b32_e32 v5, 2, v5
	s_mov_b32 s1, exec_lo
	v_cmp_eq_u32_e32 vcc_lo, 0, v15
	s_waitcnt lgkmcnt(0)
	v_lshlrev_b32_e32 v7, 2, v7
	s_barrier
	buffer_gl0_inv
	v_add3_u32 v5, 0x60, v7, v5
	v_cmpx_gt_u32_e32 64, v0
	s_cbranch_execz .LBB316_559
; %bb.553:
	s_and_saveexec_b32 s0, vcc_lo
	s_cbranch_execnz .LBB316_571
; %bb.554:
	s_or_b32 exec_lo, exec_lo, s0
	s_and_saveexec_b32 s0, vcc_lo
	s_cbranch_execnz .LBB316_572
.LBB316_555:
	s_or_b32 exec_lo, exec_lo, s0
	s_and_saveexec_b32 s0, vcc_lo
	s_cbranch_execnz .LBB316_573
.LBB316_556:
	s_or_b32 exec_lo, exec_lo, s0
	s_and_saveexec_b32 s0, vcc_lo
	s_cbranch_execz .LBB316_558
.LBB316_557:
	ds_read_b32 v7, v5 offset:96
	s_waitcnt lgkmcnt(0)
	v_add_f32_e32 v1, v1, v7
.LBB316_558:
	s_or_b32 exec_lo, exec_lo, s0
.LBB316_559:
	s_or_b32 exec_lo, exec_lo, s1
	v_and_b32_e32 v7, 0x3e3, v0
	s_mov_b32 s1, exec_lo
	s_barrier
	buffer_gl0_inv
	v_cmpx_eq_u32_e32 32, v7
	s_cbranch_execz .LBB316_561
; %bb.560:
	ds_write2_b32 v6, v4, v3 offset1:8
	ds_write2_b32 v6, v2, v1 offset0:16 offset1:24
.LBB316_561:
	s_or_b32 exec_lo, exec_lo, s1
	s_mov_b32 s1, exec_lo
	s_waitcnt lgkmcnt(0)
	s_barrier
	buffer_gl0_inv
	v_cmpx_gt_u32_e32 32, v0
	s_cbranch_execz .LBB316_568
; %bb.562:
	s_and_saveexec_b32 s0, vcc_lo
	s_cbranch_execnz .LBB316_574
; %bb.563:
	s_or_b32 exec_lo, exec_lo, s0
	s_and_saveexec_b32 s0, vcc_lo
	s_cbranch_execnz .LBB316_575
.LBB316_564:
	s_or_b32 exec_lo, exec_lo, s0
	s_and_saveexec_b32 s0, vcc_lo
	s_cbranch_execnz .LBB316_576
.LBB316_565:
	s_or_b32 exec_lo, exec_lo, s0
	s_and_saveexec_b32 s0, vcc_lo
	s_cbranch_execz .LBB316_567
.LBB316_566:
	ds_read_b32 v5, v5 offset:96
	s_waitcnt lgkmcnt(0)
	v_add_f32_e32 v1, v1, v5
.LBB316_567:
	s_or_b32 exec_lo, exec_lo, s0
.LBB316_568:
	s_or_b32 exec_lo, exec_lo, s1
	s_barrier
	buffer_gl0_inv
	s_mov_b32 s0, exec_lo
	v_cmpx_eq_u32_e32 0, v7
	s_cbranch_execz .LBB316_570
; %bb.569:
	s_lshl_b32 s0, s2, 5
	s_mul_i32 s2, s7, s10
	s_ashr_i32 s1, s0, 31
	v_lshrrev_b32_e32 v0, 1, v0
	s_lshl_b64 s[0:1], s[0:1], 1
	;;#ASMSTART
	v_cvt_f16_f32 v4, v4;

	;;#ASMEND
	s_add_u32 s4, s24, s0
	s_addc_u32 s5, s25, s1
	s_ashr_i32 s3, s2, 31
	s_lshl_b64 s[0:1], s[2:3], 1
	s_add_u32 s2, s4, s0
	s_addc_u32 s3, s5, s1
	s_lshl_b32 s0, s8, 5
	s_ashr_i32 s1, s0, 31
	s_lshl_b64 s[0:1], s[0:1], 1
	s_add_u32 s0, s2, s0
	s_addc_u32 s1, s3, s1
	global_store_short v0, v4, s[0:1]
	;;#ASMSTART
	v_cvt_f16_f32 v3, v3;

	;;#ASMEND
	global_store_short v0, v3, s[0:1] offset:16
	;;#ASMSTART
	v_cvt_f16_f32 v2, v2;

	;;#ASMEND
	global_store_short v0, v2, s[0:1] offset:32
	;; [unrolled: 5-line block ×3, first 2 shown]
.LBB316_570:
	s_endpgm
.LBB316_571:
	ds_read_b32 v7, v5
	s_waitcnt lgkmcnt(0)
	v_add_f32_e32 v4, v4, v7
	s_or_b32 exec_lo, exec_lo, s0
	s_and_saveexec_b32 s0, vcc_lo
	s_cbranch_execz .LBB316_555
.LBB316_572:
	ds_read_b32 v7, v5 offset:32
	s_waitcnt lgkmcnt(0)
	v_add_f32_e32 v3, v3, v7
	s_or_b32 exec_lo, exec_lo, s0
	s_and_saveexec_b32 s0, vcc_lo
	s_cbranch_execz .LBB316_556
.LBB316_573:
	ds_read_b32 v7, v5 offset:64
	s_waitcnt lgkmcnt(0)
	v_add_f32_e32 v2, v2, v7
	s_or_b32 exec_lo, exec_lo, s0
	s_and_saveexec_b32 s0, vcc_lo
	s_cbranch_execnz .LBB316_557
	s_branch .LBB316_558
.LBB316_574:
	ds_read_b32 v6, v5
	s_waitcnt lgkmcnt(0)
	v_add_f32_e32 v4, v4, v6
	s_or_b32 exec_lo, exec_lo, s0
	s_and_saveexec_b32 s0, vcc_lo
	s_cbranch_execz .LBB316_564
.LBB316_575:
	ds_read_b32 v6, v5 offset:32
	s_waitcnt lgkmcnt(0)
	v_add_f32_e32 v3, v3, v6
	s_or_b32 exec_lo, exec_lo, s0
	s_and_saveexec_b32 s0, vcc_lo
	s_cbranch_execz .LBB316_565
.LBB316_576:
	ds_read_b32 v6, v5 offset:64
	s_waitcnt lgkmcnt(0)
	v_add_f32_e32 v2, v2, v6
	s_or_b32 exec_lo, exec_lo, s0
	s_and_saveexec_b32 s0, vcc_lo
	s_cbranch_execnz .LBB316_566
	s_branch .LBB316_567
	.section	.rodata,"a",@progbits
	.p2align	6, 0x0
	.amdhsa_kernel _ZN4vllm25paged_attention_v2_kernelIthLi32ELi32ELi128ELNS_18Fp8KVCacheDataTypeE1ELb0ELi512EEEvPfS2_PT_PKS3_PKT0_S9_ifPKiSB_iPKfiiiSD_SD_iiiii
		.amdhsa_group_segment_fixed_size 96
		.amdhsa_private_segment_fixed_size 0
		.amdhsa_kernarg_size 400
		.amdhsa_user_sgpr_count 6
		.amdhsa_user_sgpr_private_segment_buffer 1
		.amdhsa_user_sgpr_dispatch_ptr 0
		.amdhsa_user_sgpr_queue_ptr 0
		.amdhsa_user_sgpr_kernarg_segment_ptr 1
		.amdhsa_user_sgpr_dispatch_id 0
		.amdhsa_user_sgpr_flat_scratch_init 0
		.amdhsa_user_sgpr_private_segment_size 0
		.amdhsa_wavefront_size32 1
		.amdhsa_uses_dynamic_stack 0
		.amdhsa_system_sgpr_private_segment_wavefront_offset 0
		.amdhsa_system_sgpr_workgroup_id_x 1
		.amdhsa_system_sgpr_workgroup_id_y 1
		.amdhsa_system_sgpr_workgroup_id_z 1
		.amdhsa_system_sgpr_workgroup_info 0
		.amdhsa_system_vgpr_workitem_id 0
		.amdhsa_next_free_vgpr 73
		.amdhsa_next_free_sgpr 44
		.amdhsa_reserve_vcc 1
		.amdhsa_reserve_flat_scratch 0
		.amdhsa_float_round_mode_32 0
		.amdhsa_float_round_mode_16_64 0
		.amdhsa_float_denorm_mode_32 3
		.amdhsa_float_denorm_mode_16_64 3
		.amdhsa_dx10_clamp 1
		.amdhsa_ieee_mode 1
		.amdhsa_fp16_overflow 0
		.amdhsa_workgroup_processor_mode 1
		.amdhsa_memory_ordered 1
		.amdhsa_forward_progress 1
		.amdhsa_shared_vgpr_count 0
		.amdhsa_exception_fp_ieee_invalid_op 0
		.amdhsa_exception_fp_denorm_src 0
		.amdhsa_exception_fp_ieee_div_zero 0
		.amdhsa_exception_fp_ieee_overflow 0
		.amdhsa_exception_fp_ieee_underflow 0
		.amdhsa_exception_fp_ieee_inexact 0
		.amdhsa_exception_int_div_zero 0
	.end_amdhsa_kernel
	.section	.text._ZN4vllm25paged_attention_v2_kernelIthLi32ELi32ELi128ELNS_18Fp8KVCacheDataTypeE1ELb0ELi512EEEvPfS2_PT_PKS3_PKT0_S9_ifPKiSB_iPKfiiiSD_SD_iiiii,"axG",@progbits,_ZN4vllm25paged_attention_v2_kernelIthLi32ELi32ELi128ELNS_18Fp8KVCacheDataTypeE1ELb0ELi512EEEvPfS2_PT_PKS3_PKT0_S9_ifPKiSB_iPKfiiiSD_SD_iiiii,comdat
.Lfunc_end316:
	.size	_ZN4vllm25paged_attention_v2_kernelIthLi32ELi32ELi128ELNS_18Fp8KVCacheDataTypeE1ELb0ELi512EEEvPfS2_PT_PKS3_PKT0_S9_ifPKiSB_iPKfiiiSD_SD_iiiii, .Lfunc_end316-_ZN4vllm25paged_attention_v2_kernelIthLi32ELi32ELi128ELNS_18Fp8KVCacheDataTypeE1ELb0ELi512EEEvPfS2_PT_PKS3_PKT0_S9_ifPKiSB_iPKfiiiSD_SD_iiiii
                                        ; -- End function
	.set _ZN4vllm25paged_attention_v2_kernelIthLi32ELi32ELi128ELNS_18Fp8KVCacheDataTypeE1ELb0ELi512EEEvPfS2_PT_PKS3_PKT0_S9_ifPKiSB_iPKfiiiSD_SD_iiiii.num_vgpr, 73
	.set _ZN4vllm25paged_attention_v2_kernelIthLi32ELi32ELi128ELNS_18Fp8KVCacheDataTypeE1ELb0ELi512EEEvPfS2_PT_PKS3_PKT0_S9_ifPKiSB_iPKfiiiSD_SD_iiiii.num_agpr, 0
	.set _ZN4vllm25paged_attention_v2_kernelIthLi32ELi32ELi128ELNS_18Fp8KVCacheDataTypeE1ELb0ELi512EEEvPfS2_PT_PKS3_PKT0_S9_ifPKiSB_iPKfiiiSD_SD_iiiii.numbered_sgpr, 44
	.set _ZN4vllm25paged_attention_v2_kernelIthLi32ELi32ELi128ELNS_18Fp8KVCacheDataTypeE1ELb0ELi512EEEvPfS2_PT_PKS3_PKT0_S9_ifPKiSB_iPKfiiiSD_SD_iiiii.num_named_barrier, 0
	.set _ZN4vllm25paged_attention_v2_kernelIthLi32ELi32ELi128ELNS_18Fp8KVCacheDataTypeE1ELb0ELi512EEEvPfS2_PT_PKS3_PKT0_S9_ifPKiSB_iPKfiiiSD_SD_iiiii.private_seg_size, 0
	.set _ZN4vllm25paged_attention_v2_kernelIthLi32ELi32ELi128ELNS_18Fp8KVCacheDataTypeE1ELb0ELi512EEEvPfS2_PT_PKS3_PKT0_S9_ifPKiSB_iPKfiiiSD_SD_iiiii.uses_vcc, 1
	.set _ZN4vllm25paged_attention_v2_kernelIthLi32ELi32ELi128ELNS_18Fp8KVCacheDataTypeE1ELb0ELi512EEEvPfS2_PT_PKS3_PKT0_S9_ifPKiSB_iPKfiiiSD_SD_iiiii.uses_flat_scratch, 0
	.set _ZN4vllm25paged_attention_v2_kernelIthLi32ELi32ELi128ELNS_18Fp8KVCacheDataTypeE1ELb0ELi512EEEvPfS2_PT_PKS3_PKT0_S9_ifPKiSB_iPKfiiiSD_SD_iiiii.has_dyn_sized_stack, 0
	.set _ZN4vllm25paged_attention_v2_kernelIthLi32ELi32ELi128ELNS_18Fp8KVCacheDataTypeE1ELb0ELi512EEEvPfS2_PT_PKS3_PKT0_S9_ifPKiSB_iPKfiiiSD_SD_iiiii.has_recursion, 0
	.set _ZN4vllm25paged_attention_v2_kernelIthLi32ELi32ELi128ELNS_18Fp8KVCacheDataTypeE1ELb0ELi512EEEvPfS2_PT_PKS3_PKT0_S9_ifPKiSB_iPKfiiiSD_SD_iiiii.has_indirect_call, 0
	.section	.AMDGPU.csdata,"",@progbits
; Kernel info:
; codeLenInByte = 19408
; TotalNumSgprs: 46
; NumVgprs: 73
; ScratchSize: 0
; MemoryBound: 0
; FloatMode: 240
; IeeeMode: 1
; LDSByteSize: 96 bytes/workgroup (compile time only)
; SGPRBlocks: 0
; VGPRBlocks: 9
; NumSGPRsForWavesPerEU: 46
; NumVGPRsForWavesPerEU: 73
; Occupancy: 12
; WaveLimiterHint : 1
; COMPUTE_PGM_RSRC2:SCRATCH_EN: 0
; COMPUTE_PGM_RSRC2:USER_SGPR: 6
; COMPUTE_PGM_RSRC2:TRAP_HANDLER: 0
; COMPUTE_PGM_RSRC2:TGID_X_EN: 1
; COMPUTE_PGM_RSRC2:TGID_Y_EN: 1
; COMPUTE_PGM_RSRC2:TGID_Z_EN: 1
; COMPUTE_PGM_RSRC2:TIDIG_COMP_CNT: 0
	.section	.text._ZN4vllm25paged_attention_v2_kernelIthLi64ELi32ELi128ELNS_18Fp8KVCacheDataTypeE1ELb0ELi512EEEvPfS2_PT_PKS3_PKT0_S9_ifPKiSB_iPKfiiiSD_SD_iiiii,"axG",@progbits,_ZN4vllm25paged_attention_v2_kernelIthLi64ELi32ELi128ELNS_18Fp8KVCacheDataTypeE1ELb0ELi512EEEvPfS2_PT_PKS3_PKT0_S9_ifPKiSB_iPKfiiiSD_SD_iiiii,comdat
	.protected	_ZN4vllm25paged_attention_v2_kernelIthLi64ELi32ELi128ELNS_18Fp8KVCacheDataTypeE1ELb0ELi512EEEvPfS2_PT_PKS3_PKT0_S9_ifPKiSB_iPKfiiiSD_SD_iiiii ; -- Begin function _ZN4vllm25paged_attention_v2_kernelIthLi64ELi32ELi128ELNS_18Fp8KVCacheDataTypeE1ELb0ELi512EEEvPfS2_PT_PKS3_PKT0_S9_ifPKiSB_iPKfiiiSD_SD_iiiii
	.globl	_ZN4vllm25paged_attention_v2_kernelIthLi64ELi32ELi128ELNS_18Fp8KVCacheDataTypeE1ELb0ELi512EEEvPfS2_PT_PKS3_PKT0_S9_ifPKiSB_iPKfiiiSD_SD_iiiii
	.p2align	8
	.type	_ZN4vllm25paged_attention_v2_kernelIthLi64ELi32ELi128ELNS_18Fp8KVCacheDataTypeE1ELb0ELi512EEEvPfS2_PT_PKS3_PKT0_S9_ifPKiSB_iPKfiiiSD_SD_iiiii,@function
_ZN4vllm25paged_attention_v2_kernelIthLi64ELi32ELi128ELNS_18Fp8KVCacheDataTypeE1ELb0ELi512EEEvPfS2_PT_PKS3_PKT0_S9_ifPKiSB_iPKfiiiSD_SD_iiiii: ; @_ZN4vllm25paged_attention_v2_kernelIthLi64ELi32ELi128ELNS_18Fp8KVCacheDataTypeE1ELb0ELi512EEEvPfS2_PT_PKS3_PKT0_S9_ifPKiSB_iPKfiiiSD_SD_iiiii
; %bb.0:
	s_load_dwordx2 s[0:1], s[4:5], 0x40
	s_mov_b32 s28, s7
	s_ashr_i32 s29, s7, 31
	s_lshl_b64 s[2:3], s[28:29], 2
	s_waitcnt lgkmcnt(0)
	s_add_u32 s0, s0, s2
	s_addc_u32 s1, s1, s3
	s_lshl_b32 s33, s8, 9
	s_load_dword s29, s[0:1], 0x0
	s_waitcnt lgkmcnt(0)
	s_cmp_ge_i32 s33, s29
	s_cbranch_scc1 .LBB317_1098
; %bb.1:
	s_clause 0x1
	s_load_dword s9, s[4:5], 0x90
	s_load_dwordx2 s[2:3], s[4:5], 0x30
	s_mov_b32 s36, 0
	s_waitcnt lgkmcnt(0)
	s_abs_i32 s10, s9
	s_abs_i32 s0, s2
	s_xor_b32 s2, s9, s2
	v_cvt_f32_u32_e32 v1, s0
	s_sub_i32 s7, 0, s0
	s_ashr_i32 s2, s2, 31
	v_rcp_iflag_f32_e32 v1, v1
	v_mul_f32_e32 v1, 0x4f7ffffe, v1
	v_cvt_u32_f32_e32 v1, v1
	v_readfirstlane_b32 s1, v1
	s_mul_i32 s7, s7, s1
	s_mul_hi_u32 s7, s1, s7
	s_add_i32 s1, s1, s7
	s_mul_hi_u32 s1, s10, s1
	s_mul_i32 s7, s1, s0
	s_sub_i32 s7, s10, s7
	s_add_i32 s10, s1, 1
	s_sub_i32 s11, s7, s0
	s_cmp_ge_u32 s7, s0
	s_cselect_b32 s1, s10, s1
	s_cselect_b32 s7, s11, s7
	s_add_i32 s10, s1, 1
	s_cmp_ge_u32 s7, s0
	s_cselect_b32 s0, s10, s1
	s_abs_i32 s13, s6
	s_xor_b32 s0, s0, s2
	s_sub_i32 s10, s0, s2
	s_load_dwordx2 s[0:1], s[4:5], 0x50
	s_abs_i32 s2, s10
	v_cvt_f32_u32_e32 v1, s2
	s_sub_i32 s11, 0, s2
	v_rcp_iflag_f32_e32 v1, v1
	v_mul_f32_e32 v1, 0x4f7ffffe, v1
	v_cvt_u32_f32_e32 v1, v1
	v_readfirstlane_b32 s7, v1
	s_mul_i32 s11, s11, s7
	s_mul_hi_u32 s11, s7, s11
	s_add_i32 s7, s7, s11
	s_waitcnt lgkmcnt(0)
	s_cmp_eq_u64 s[0:1], 0
	s_mul_hi_u32 s12, s13, s7
	s_cbranch_scc1 .LBB317_3
; %bb.2:
	s_ashr_i32 s7, s6, 31
	s_lshl_b64 s[14:15], s[6:7], 2
	s_add_u32 s0, s0, s14
	s_addc_u32 s1, s1, s15
	s_load_dword s36, s[0:1], 0x0
.LBB317_3:
	s_clause 0x1
	s_load_dwordx2 s[26:27], s[4:5], 0x38
	s_load_dwordx4 s[16:19], s[4:5], 0x58
	s_ashr_i32 s0, s6, 31
	s_ashr_i32 s1, s10, 31
	s_lshl_b32 s10, s6, 6
	s_mov_b32 s7, exec_lo
	v_cmpx_gt_u32_e32 8, v0
	s_cbranch_execz .LBB317_5
; %bb.4:
	s_load_dwordx2 s[14:15], s[4:5], 0x18
	s_waitcnt lgkmcnt(0)
	s_mul_i32 s20, s16, s28
	v_lshlrev_b32_e32 v5, 4, v0
	s_ashr_i32 s21, s20, 31
	s_lshl_b64 s[20:21], s[20:21], 1
	s_add_u32 s16, s14, s20
	s_addc_u32 s19, s15, s21
	s_ashr_i32 s11, s10, 31
	s_lshl_b64 s[14:15], s[10:11], 1
	s_add_u32 s14, s16, s14
	s_addc_u32 s15, s19, s15
	global_load_dwordx4 v[1:4], v5, s[14:15]
	s_waitcnt vmcnt(0)
	ds_write_b128 v5, v[1:4]
.LBB317_5:
	s_or_b32 exec_lo, exec_lo, s7
	s_add_i32 s7, s29, 31
	s_waitcnt lgkmcnt(0)
	s_lshl_b32 s19, s8, 4
	s_ashr_i32 s11, s7, 31
	s_xor_b32 s0, s0, s1
	s_lshr_b32 s11, s11, 27
	s_mul_i32 s1, s12, s2
	s_add_i32 s7, s7, s11
	s_add_i32 s11, s19, 16
	s_ashr_i32 s16, s7, 5
	s_sub_i32 s1, s13, s1
	s_clause 0x3
	s_load_dwordx4 s[20:23], s[4:5], 0x0
	s_load_dwordx2 s[24:25], s[4:5], 0x10
	s_load_dwordx2 s[30:31], s[4:5], 0x28
	s_load_dword s34, s[4:5], 0x48
	s_min_i32 s11, s11, s16
	s_add_i32 s7, s12, 1
	s_sub_i32 s13, s1, s2
	s_cmp_ge_u32 s1, s2
	v_lshrrev_b32_e32 v13, 5, v0
	s_cselect_b32 s35, s7, s12
	s_cselect_b32 s1, s13, s1
	s_clause 0x1
	s_load_dword s7, s[4:5], 0x98
	s_load_dwordx4 s[12:15], s[4:5], 0x68
	s_add_i32 s37, s35, 1
	s_cmp_ge_u32 s1, s2
	v_add_nc_u32_e32 v1, s19, v13
	v_and_b32_e32 v14, 31, v0
	s_cselect_b32 s1, s37, s35
	v_mov_b32_e32 v16, 0xff7fffff
	s_xor_b32 s1, s1, s0
	v_ashrrev_i32_e32 v2, 31, v1
	s_sub_i32 s1, s1, s0
	v_cmp_gt_i32_e64 s0, s11, v1
	v_lshlrev_b32_e32 v15, 2, v14
	s_waitcnt lgkmcnt(0)
	s_mul_i32 s34, s34, s28
	s_mul_i32 s18, s1, s18
	s_ashr_i32 s35, s34, 31
	s_barrier
	buffer_gl0_inv
	s_and_saveexec_b32 s37, s0
	s_cbranch_execz .LBB317_521
; %bb.6:
	s_load_dwordx2 s[4:5], s[4:5], 0x20
	v_lshlrev_b32_e32 v3, 4, v14
	v_lshlrev_b32_e32 v5, 5, v13
	s_ashr_i32 s1, s18, 31
	v_lshl_or_b32 v6, v13, 7, v15
	v_lshlrev_b64 v[7:8], 2, v[1:2]
	v_mov_b32_e32 v4, 0
	v_add3_u32 v18, s33, v5, v14
	v_cmp_neq_f32_e64 vcc_lo, s36, 0
	v_add_nc_u32_e32 v19, 0xa0, v6
	v_mov_b32_e32 v16, 0xff7fffff
	v_mov_b32_e32 v17, 0x80
	;; [unrolled: 1-line block ×6, first 2 shown]
	s_mov_b32 s38, s17
	s_mov_b32 s40, 0
	s_waitcnt lgkmcnt(0)
	s_add_u32 s2, s4, s18
	s_addc_u32 s1, s5, s1
	s_lshl_b64 s[4:5], s[34:35], 2
	v_add_co_u32 v5, s2, s2, v3
	s_sub_i32 s39, 1, s29
	v_add_co_ci_u32_e64 v6, null, s1, 0, s2
	s_add_u32 s1, s26, s4
	s_addc_u32 s2, s27, s5
	v_add_co_u32 v7, s1, s1, v7
	v_add_co_ci_u32_e64 v8, null, s2, v8, s1
	s_mov_b32 s4, -1
	s_mov_b32 s5, 0xffffff
	s_branch .LBB317_11
.LBB317_7:                              ;   in Loop: Header=BB317_11 Depth=1
	s_or_b32 exec_lo, exec_lo, s43
	v_lshlrev_b32_e32 v3, 8, v3
	v_lshl_add_u32 v10, v10, 10, 0x2000
	v_lshlrev_b32_e32 v9, 23, v9
	v_and_or_b32 v3, 0x8000, v3, v10
	v_lshl_or_b32 v9, v3, 16, v9
.LBB317_8:                              ;   in Loop: Header=BB317_11 Depth=1
	s_or_b32 exec_lo, exec_lo, s42
.LBB317_9:                              ;   in Loop: Header=BB317_11 Depth=1
	s_or_b32 exec_lo, exec_lo, s41
.LBB317_10:                             ;   in Loop: Header=BB317_11 Depth=1
	s_or_b32 exec_lo, exec_lo, s2
	ds_read_b128 v[86:89], v4
	v_or_b32_e32 v3, v29, v27
	v_or_b32_e32 v25, v26, v25
	v_fma_mixlo_f16 v10, v24, v29, 0 op_sel:[0,1,0] op_sel_hi:[0,1,0]
	v_or_b32_e32 v27, v31, v28
	v_or_b32_e32 v29, v33, v30
	v_fma_mixlo_f16 v26, v24, v26, 0 op_sel:[0,1,0] op_sel_hi:[0,1,0]
	v_fma_mixlo_f16 v25, v24, v25, 0 op_sel_hi:[0,1,0]
	v_fma_mixlo_f16 v3, v24, v3, 0 op_sel_hi:[0,1,0]
	v_fma_mixlo_f16 v28, v24, v31, 0 op_sel:[0,1,0] op_sel_hi:[0,1,0]
	v_fma_mixlo_f16 v90, v24, v33, 0 op_sel:[0,1,0] op_sel_hi:[0,1,0]
	v_fma_mixlo_f16 v30, v24, v27, 0 op_sel_hi:[0,1,0]
	v_fma_mixlo_f16 v91, v24, v29, 0 op_sel_hi:[0,1,0]
	v_and_b32_e32 v29, 0xffff, v26
	v_and_b32_e32 v27, 0xffff, v25
	;; [unrolled: 1-line block ×6, first 2 shown]
	v_or_b32_e32 v38, v41, v38
	s_waitcnt lgkmcnt(0)
	v_and_b32_e32 v25, 0xffff, v86
	v_lshrrev_b32_e32 v26, 16, v86
	v_lshrrev_b32_e32 v86, 16, v87
	v_and_b32_e32 v31, 0xffff, v87
	;;#ASMSTART
	v_cvt_f32_f16 v25, v25;
	;;#ASMEND
	;;#ASMSTART
	v_cvt_f32_f16 v26, v26;
	;;#ASMEND
	;; [unrolled: 3-line block ×6, first 2 shown]
	v_and_b32_e32 v29, 0xffff, v88
	v_lshrrev_b32_e32 v86, 16, v88
	;;#ASMSTART
	v_cvt_f32_f16 v93, v3;
	;;#ASMEND
	;;#ASMSTART
	v_cvt_f32_f16 v94, v10;
	;;#ASMEND
	v_and_b32_e32 v3, 0xffff, v28
	v_and_b32_e32 v10, 0xffff, v89
	v_lshrrev_b32_e32 v28, 16, v89
	v_and_b32_e32 v89, 0xffff, v91
	;;#ASMSTART
	v_cvt_f32_f16 v29, v29;
	;;#ASMEND
	;;#ASMSTART
	v_cvt_f32_f16 v86, v86;
	;;#ASMEND
	;; [unrolled: 3-line block ×8, first 2 shown]
	ds_read_b128 v[95:98], v4 offset:16
	v_or_b32_e32 v3, v37, v35
	v_or_b32_e32 v28, v34, v32
	;; [unrolled: 1-line block ×3, first 2 shown]
	v_fma_mixlo_f16 v10, v24, v37, 0 op_sel:[0,1,0] op_sel_hi:[0,1,0]
	v_fma_mixlo_f16 v37, v24, v43, 0 op_sel:[0,1,0] op_sel_hi:[0,1,0]
	v_fma_mixlo_f16 v32, v24, v3, 0 op_sel_hi:[0,1,0]
	v_fma_mixlo_f16 v3, v24, v34, 0 op_sel:[0,1,0] op_sel_hi:[0,1,0]
	v_or_b32_e32 v34, v39, v36
	v_fma_mixlo_f16 v28, v24, v28, 0 op_sel_hi:[0,1,0]
	v_fma_mixlo_f16 v36, v24, v39, 0 op_sel:[0,1,0] op_sel_hi:[0,1,0]
	v_fma_mixlo_f16 v35, v24, v35, 0 op_sel_hi:[0,1,0]
	v_and_b32_e32 v43, 0xffff, v3
	v_fma_mixlo_f16 v34, v24, v34, 0 op_sel_hi:[0,1,0]
	v_and_b32_e32 v28, 0xffff, v28
	v_and_b32_e32 v10, 0xffff, v10
	;; [unrolled: 1-line block ×3, first 2 shown]
	v_fma_mixlo_f16 v41, v24, v41, 0 op_sel:[0,1,0] op_sel_hi:[0,1,0]
	v_and_b32_e32 v34, 0xffff, v34
	v_fma_mixlo_f16 v38, v24, v38, 0 op_sel_hi:[0,1,0]
	s_waitcnt lgkmcnt(0)
	v_and_b32_e32 v39, 0xffff, v95
	v_lshrrev_b32_e32 v40, 16, v95
	;;#ASMSTART
	v_cvt_f32_f16 v39, v39;
	;;#ASMEND
	;;#ASMSTART
	v_cvt_f32_f16 v40, v40;
	;;#ASMEND
	v_and_b32_e32 v95, 0xffff, v96
	;;#ASMSTART
	v_cvt_f32_f16 v3, v28;
	;;#ASMEND
	;;#ASMSTART
	v_cvt_f32_f16 v101, v43;
	;;#ASMEND
	v_and_b32_e32 v43, 0xffff, v97
	v_lshrrev_b32_e32 v96, 16, v96
	v_mul_f32_e32 v3, v39, v3
	;;#ASMSTART
	v_cvt_f32_f16 v39, v95;
	;;#ASMEND
	;;#ASMSTART
	v_cvt_f32_f16 v102, v96;
	;;#ASMEND
	v_and_b32_e32 v28, 0xffff, v32
	v_lshrrev_b32_e32 v95, 16, v97
	;;#ASMSTART
	v_cvt_f32_f16 v32, v28;
	;;#ASMEND
	;;#ASMSTART
	v_cvt_f32_f16 v97, v10;
	;;#ASMEND
	;;#ASMSTART
	v_cvt_f32_f16 v103, v43;
	;;#ASMEND
	;;#ASMSTART
	v_cvt_f32_f16 v43, v95;
	;;#ASMEND
	;;#ASMSTART
	v_cvt_f32_f16 v104, v34;
	;;#ASMEND
	v_and_b32_e32 v10, 0xffff, v36
	v_lshrrev_b32_e32 v34, 16, v98
	v_and_b32_e32 v36, 0xffff, v37
	v_and_b32_e32 v28, 0xffff, v98
	;;#ASMSTART
	v_cvt_f32_f16 v98, v10;
	;;#ASMEND
	;;#ASMSTART
	v_cvt_f32_f16 v99, v28;
	;;#ASMEND
	;; [unrolled: 3-line block ×5, first 2 shown]
	ds_read_b128 v[34:37], v4 offset:32
	v_or_b32_e32 v10, v45, v42
	v_or_b32_e32 v42, v47, v44
	;; [unrolled: 1-line block ×3, first 2 shown]
	v_fma_mixlo_f16 v45, v24, v45, 0 op_sel:[0,1,0] op_sel_hi:[0,1,0]
	v_fma_mixlo_f16 v106, v24, v47, 0 op_sel:[0,1,0] op_sel_hi:[0,1,0]
	v_fma_mixlo_f16 v105, v24, v10, 0 op_sel_hi:[0,1,0]
	v_mul_f32_e32 v10, v40, v101
	v_fma_mixlo_f16 v40, v24, v42, 0 op_sel_hi:[0,1,0]
	v_fma_mixlo_f16 v44, v24, v44, 0 op_sel_hi:[0,1,0]
	v_fma_mixlo_f16 v101, v24, v51, 0 op_sel:[0,1,0] op_sel_hi:[0,1,0]
	v_fmac_f32_e32 v3, v25, v27
	v_fmac_f32_e32 v10, v26, v33
	v_mul_f32_e32 v27, v39, v32
	v_mul_f32_e32 v26, v102, v97
	v_or_b32_e32 v108, v85, v79
	v_fma_mixlo_f16 v28, v24, v85, 0 op_sel:[0,1,0] op_sel_hi:[0,1,0]
	v_or_b32_e32 v85, v74, v76
	v_mul_f32_e32 v25, v103, v104
	v_and_b32_e32 v39, 0xffff, v44
	s_waitcnt lgkmcnt(0)
	v_and_b32_e32 v33, 0xffff, v34
	v_lshrrev_b32_e32 v32, 16, v34
	;;#ASMSTART
	v_cvt_f32_f16 v97, v33;
	;;#ASMEND
	v_and_b32_e32 v33, 0xffff, v38
	v_and_b32_e32 v34, 0xffff, v41
	;; [unrolled: 1-line block ×3, first 2 shown]
	v_lshrrev_b32_e32 v35, 16, v35
	;;#ASMSTART
	v_cvt_f32_f16 v76, v32;
	;;#ASMEND
	;;#ASMSTART
	v_cvt_f32_f16 v103, v33;
	;;#ASMEND
	;; [unrolled: 3-line block ×5, first 2 shown]
	v_and_b32_e32 v32, 0xffff, v105
	v_and_b32_e32 v33, 0xffff, v45
	;; [unrolled: 1-line block ×3, first 2 shown]
	v_lshrrev_b32_e32 v35, 16, v36
	v_and_b32_e32 v36, 0xffff, v40
	v_and_b32_e32 v40, 0xffff, v101
	;;#ASMSTART
	v_cvt_f32_f16 v45, v32;
	;;#ASMEND
	;;#ASMSTART
	v_cvt_f32_f16 v47, v33;
	;;#ASMEND
	;; [unrolled: 3-line block ×5, first 2 shown]
	v_and_b32_e32 v32, 0xffff, v106
	v_and_b32_e32 v33, 0xffff, v37
	v_lshrrev_b32_e32 v34, 16, v37
	;;#ASMSTART
	v_cvt_f32_f16 v36, v32;
	;;#ASMEND
	;;#ASMSTART
	v_cvt_f32_f16 v37, v33;
	;;#ASMEND
	;; [unrolled: 3-line block ×5, first 2 shown]
	ds_read_b128 v[104:107], v4 offset:48
	v_or_b32_e32 v46, v49, v46
	v_or_b32_e32 v44, v53, v50
	;; [unrolled: 1-line block ×4, first 2 shown]
	v_fma_mixlo_f16 v49, v24, v49, 0 op_sel:[0,1,0] op_sel_hi:[0,1,0]
	v_fma_mixlo_f16 v46, v24, v46, 0 op_sel_hi:[0,1,0]
	v_or_b32_e32 v109, v78, v84
	v_fma_mixlo_f16 v53, v24, v53, 0 op_sel:[0,1,0] op_sel_hi:[0,1,0]
	v_fma_mixlo_f16 v44, v24, v44, 0 op_sel_hi:[0,1,0]
	v_fma_mixlo_f16 v84, v24, v50, 0 op_sel_hi:[0,1,0]
	v_fma_mixlo_f16 v101, v24, v55, 0 op_sel:[0,1,0] op_sel_hi:[0,1,0]
	v_fma_mixlo_f16 v52, v24, v52, 0 op_sel_hi:[0,1,0]
	v_fma_mixlo_f16 v102, v24, v59, 0 op_sel:[0,1,0] op_sel_hi:[0,1,0]
	v_fmac_f32_e32 v27, v31, v93
	v_fmac_f32_e32 v25, v29, v30
	v_mul_f32_e32 v30, v43, v98
	v_fma_mixlo_f16 v32, v24, v108, 0 op_sel_hi:[0,1,0]
	v_fma_mixlo_f16 v33, v24, v74, 0 op_sel:[0,1,0] op_sel_hi:[0,1,0]
	v_or_b32_e32 v108, v75, v77
	s_waitcnt lgkmcnt(0)
	v_and_b32_e32 v31, 0xffff, v104
	v_lshrrev_b32_e32 v43, 16, v104
	;;#ASMSTART
	v_cvt_f32_f16 v50, v31;
	;;#ASMEND
	v_and_b32_e32 v31, 0xffff, v46
	v_and_b32_e32 v46, 0xffff, v49
	;; [unrolled: 1-line block ×3, first 2 shown]
	v_lshrrev_b32_e32 v77, 16, v105
	;;#ASMSTART
	v_cvt_f32_f16 v55, v43;
	;;#ASMEND
	;;#ASMSTART
	v_cvt_f32_f16 v56, v31;
	;;#ASMEND
	;; [unrolled: 3-line block ×4, first 2 shown]
	v_and_b32_e32 v31, 0xffff, v44
	v_and_b32_e32 v43, 0xffff, v53
	;; [unrolled: 1-line block ×3, first 2 shown]
	v_lshrrev_b32_e32 v46, 16, v106
	v_and_b32_e32 v49, 0xffff, v84
	v_fma_mixlo_f16 v34, v24, v85, 0 op_sel_hi:[0,1,0]
	v_fmac_f32_e32 v26, v92, v94
	v_mul_f32_e32 v29, v99, v100
	;;#ASMSTART
	v_cvt_f32_f16 v77, v77;
	;;#ASMEND
	;;#ASMSTART
	v_cvt_f32_f16 v84, v31;
	;;#ASMEND
	;; [unrolled: 3-line block ×6, first 2 shown]
	v_and_b32_e32 v31, 0xffff, v101
	v_and_b32_e32 v43, 0xffff, v107
	v_lshrrev_b32_e32 v44, 16, v107
	v_and_b32_e32 v46, 0xffff, v52
	v_and_b32_e32 v49, 0xffff, v102
	;;#ASMSTART
	v_cvt_f32_f16 v98, v31;
	;;#ASMEND
	;;#ASMSTART
	v_cvt_f32_f16 v99, v43;
	;;#ASMEND
	;; [unrolled: 3-line block ×5, first 2 shown]
	ds_read_b128 v[104:107], v4 offset:64
	v_or_b32_e32 v31, v61, v58
	v_or_b32_e32 v53, v57, v54
	v_fma_mixlo_f16 v57, v24, v57, 0 op_sel:[0,1,0] op_sel_hi:[0,1,0]
	v_fma_mixlo_f16 v52, v24, v61, 0 op_sel:[0,1,0] op_sel_hi:[0,1,0]
	v_fma_mixlo_f16 v61, v24, v63, 0 op_sel:[0,1,0] op_sel_hi:[0,1,0]
	v_fma_mixlo_f16 v54, v24, v31, 0 op_sel_hi:[0,1,0]
	v_or_b32_e32 v31, v63, v60
	v_or_b32_e32 v60, v66, v64
	v_fma_mixlo_f16 v53, v24, v53, 0 op_sel_hi:[0,1,0]
	v_fma_mixlo_f16 v64, v24, v66, 0 op_sel:[0,1,0] op_sel_hi:[0,1,0]
	v_or_b32_e32 v58, v68, v69
	v_fma_mixlo_f16 v63, v24, v31, 0 op_sel_hi:[0,1,0]
	v_mul_f32_e32 v31, v95, v96
	v_fma_mixlo_f16 v60, v24, v60, 0 op_sel_hi:[0,1,0]
	v_and_b32_e32 v53, 0xffff, v53
	v_and_b32_e32 v57, 0xffff, v57
	v_fma_mixlo_f16 v46, v24, v75, 0 op_sel:[0,1,0] op_sel_hi:[0,1,0]
	v_fmac_f32_e32 v30, v86, v91
	v_fmac_f32_e32 v29, v87, v89
	s_waitcnt lgkmcnt(0)
	v_and_b32_e32 v66, 0xffff, v104
	v_lshrrev_b32_e32 v69, 16, v104
	v_fmac_f32_e32 v31, v88, v90
	;;#ASMSTART
	v_cvt_f32_f16 v89, v66;
	;;#ASMEND
	v_and_b32_e32 v66, 0xffff, v105
	v_lshrrev_b32_e32 v86, 16, v105
	;;#ASMSTART
	v_cvt_f32_f16 v69, v69;
	;;#ASMEND
	;;#ASMSTART
	v_cvt_f32_f16 v90, v53;
	;;#ASMEND
	;; [unrolled: 3-line block ×3, first 2 shown]
	v_and_b32_e32 v53, 0xffff, v54
	v_and_b32_e32 v52, 0xffff, v52
	;; [unrolled: 1-line block ×3, first 2 shown]
	v_lshrrev_b32_e32 v57, 16, v106
	v_and_b32_e32 v63, 0xffff, v63
	v_fma_mixlo_f16 v44, v24, v78, 0 op_sel:[0,1,0] op_sel_hi:[0,1,0]
	;;#ASMSTART
	v_cvt_f32_f16 v78, v66;
	;;#ASMEND
	;;#ASMSTART
	v_cvt_f32_f16 v86, v86;
	;;#ASMEND
	;; [unrolled: 3-line block ×7, first 2 shown]
	v_and_b32_e32 v57, 0xffff, v61
	v_and_b32_e32 v61, 0xffff, v107
	v_lshrrev_b32_e32 v63, 16, v107
	v_and_b32_e32 v66, 0xffff, v60
	v_fmac_f32_e32 v3, v97, v103
	v_and_b32_e32 v91, 0xffff, v64
	;;#ASMSTART
	v_cvt_f32_f16 v60, v57;
	;;#ASMEND
	;;#ASMSTART
	v_cvt_f32_f16 v61, v61;
	;;#ASMEND
	;; [unrolled: 3-line block ×5, first 2 shown]
	ds_read_b128 v[103:106], v4 offset:80
	v_or_b32_e32 v57, v65, v62
	v_fma_mixlo_f16 v91, v24, v58, 0 op_sel_hi:[0,1,0]
	v_or_b32_e32 v58, v70, v67
	v_fma_mixlo_f16 v62, v24, v65, 0 op_sel:[0,1,0] op_sel_hi:[0,1,0]
	v_add_nc_u32_e32 v67, s39, v18
	v_fma_mixlo_f16 v65, v24, v57, 0 op_sel_hi:[0,1,0]
	v_or_b32_e32 v57, v72, v71
	v_fma_mixlo_f16 v68, v24, v68, 0 op_sel:[0,1,0] op_sel_hi:[0,1,0]
	v_fma_mixlo_f16 v95, v24, v70, 0 op_sel:[0,1,0] op_sel_hi:[0,1,0]
	v_fma_mixlo_f16 v70, v24, v58, 0 op_sel_hi:[0,1,0]
	v_fma_mixlo_f16 v97, v24, v72, 0 op_sel:[0,1,0] op_sel_hi:[0,1,0]
	v_fma_mixlo_f16 v96, v24, v57, 0 op_sel_hi:[0,1,0]
	v_fmac_f32_e32 v27, v41, v45
	v_or_b32_e32 v58, v83, v12
	v_cvt_f32_i32_e32 v12, v67
	v_fmac_f32_e32 v26, v42, v47
	v_fmac_f32_e32 v25, v48, v51
	v_and_b32_e32 v42, 0xffff, v65
	v_and_b32_e32 v51, 0xffff, v62
	s_waitcnt lgkmcnt(0)
	v_lshrrev_b32_e32 v41, 16, v103
	v_and_b32_e32 v67, 0xffff, v103
	;;#ASMSTART
	v_cvt_f32_f16 v45, v67;
	;;#ASMEND
	v_and_b32_e32 v62, 0xffff, v104
	v_lshrrev_b32_e32 v65, 16, v104
	;;#ASMSTART
	v_cvt_f32_f16 v47, v41;
	;;#ASMEND
	v_and_b32_e32 v41, 0xffff, v91
	v_or_b32_e32 v107, v11, v73
	;;#ASMSTART
	v_cvt_f32_f16 v48, v42;
	;;#ASMEND
	;;#ASMSTART
	v_cvt_f32_f16 v51, v51;
	;;#ASMEND
	;; [unrolled: 3-line block ×4, first 2 shown]
	v_and_b32_e32 v42, 0xffff, v68
	v_and_b32_e32 v71, 0xffff, v105
	v_lshrrev_b32_e32 v72, 16, v105
	v_and_b32_e32 v73, 0xffff, v70
	;;#ASMSTART
	v_cvt_f32_f16 v67, v41;
	;;#ASMEND
	v_and_b32_e32 v41, 0xffff, v95
	v_and_b32_e32 v95, 0xffff, v97
	v_fma_mixlo_f16 v49, v24, v108, 0 op_sel_hi:[0,1,0]
	v_fma_mixlo_f16 v57, v24, v83, 0 op_sel:[0,1,0] op_sel_hi:[0,1,0]
	v_or_b32_e32 v108, v80, v82
	v_fmac_f32_e32 v10, v76, v79
	;;#ASMSTART
	v_cvt_f32_f16 v68, v42;
	;;#ASMEND
	;;#ASMSTART
	v_cvt_f32_f16 v70, v71;
	;;#ASMEND
	;; [unrolled: 3-line block ×4, first 2 shown]
	v_and_b32_e32 v42, 0xffff, v106
	v_lshrrev_b32_e32 v73, 16, v106
	v_and_b32_e32 v76, 0xffff, v96
	;;#ASMSTART
	v_cvt_f32_f16 v79, v41;
	;;#ASMEND
	;;#ASMSTART
	v_cvt_f32_f16 v82, v42;
	;;#ASMEND
	;; [unrolled: 3-line block ×5, first 2 shown]
	ds_read_b128 v[103:106], v4 offset:96
	v_or_b32_e32 v81, v9, v81
	v_fma_mixlo_f16 v43, v24, v109, 0 op_sel_hi:[0,1,0]
	v_fmac_f32_e32 v10, v55, v59
	v_fma_mixlo_f16 v58, v24, v58, 0 op_sel_hi:[0,1,0]
	v_fma_mixlo_f16 v73, v24, v11, 0 op_sel:[0,1,0] op_sel_hi:[0,1,0]
	v_fma_mixlo_f16 v76, v24, v107, 0 op_sel_hi:[0,1,0]
	v_fma_mixlo_f16 v41, v24, v80, 0 op_sel:[0,1,0] op_sel_hi:[0,1,0]
	v_fma_mixlo_f16 v42, v24, v108, 0 op_sel_hi:[0,1,0]
	v_fma_mixlo_f16 v11, v24, v81, 0 op_sel_hi:[0,1,0]
	v_fma_mixlo_f16 v9, v24, v9, 0 op_sel:[0,1,0] op_sel_hi:[0,1,0]
	v_fmac_f32_e32 v30, v35, v36
	v_and_b32_e32 v34, 0xffff, v34
	v_and_b32_e32 v33, 0xffff, v33
	v_fmac_f32_e32 v29, v37, v39
	v_fmac_f32_e32 v31, v38, v40
	v_and_b32_e32 v32, 0xffff, v32
	v_fmac_f32_e32 v3, v50, v56
	v_fmac_f32_e32 v10, v69, v75
	v_and_b32_e32 v56, 0xffff, v49
	s_waitcnt lgkmcnt(0)
	v_and_b32_e32 v24, 0xffff, v103
	v_lshrrev_b32_e32 v35, 16, v103
	;;#ASMSTART
	v_cvt_f32_f16 v24, v24;
	;;#ASMEND
	v_and_b32_e32 v39, 0xffff, v104
	v_lshrrev_b32_e32 v40, 16, v104
	;;#ASMSTART
	v_cvt_f32_f16 v36, v35;
	;;#ASMEND
	;;#ASMSTART
	v_cvt_f32_f16 v37, v34;
	;;#ASMEND
	;; [unrolled: 3-line block ×3, first 2 shown]
	v_and_b32_e32 v33, 0xffff, v28
	v_and_b32_e32 v34, 0xffff, v105
	v_lshrrev_b32_e32 v35, 16, v105
	;;#ASMSTART
	v_cvt_f32_f16 v39, v39;
	;;#ASMEND
	;;#ASMSTART
	v_cvt_f32_f16 v40, v40;
	;;#ASMEND
	;;#ASMSTART
	v_cvt_f32_f16 v28, v32;
	;;#ASMEND
	;;#ASMSTART
	v_cvt_f32_f16 v49, v33;
	;;#ASMEND
	;;#ASMSTART
	v_cvt_f32_f16 v50, v34;
	;;#ASMEND
	;;#ASMSTART
	v_cvt_f32_f16 v55, v35;
	;;#ASMEND
	v_and_b32_e32 v32, 0xffff, v46
	v_and_b32_e32 v33, 0xffff, v106
	v_lshrrev_b32_e32 v34, 16, v106
	v_and_b32_e32 v35, 0xffff, v43
	v_and_b32_e32 v69, 0xffff, v44
	;;#ASMSTART
	v_cvt_f32_f16 v56, v56;
	;;#ASMEND
	;;#ASMSTART
	v_cvt_f32_f16 v43, v32;
	;;#ASMEND
	;;#ASMSTART
	v_cvt_f32_f16 v44, v33;
	;;#ASMEND
	;;#ASMSTART
	v_cvt_f32_f16 v46, v34;
	;;#ASMEND
	;;#ASMSTART
	v_cvt_f32_f16 v59, v35;
	;;#ASMEND
	;;#ASMSTART
	v_cvt_f32_f16 v69, v69;
	;;#ASMEND
	ds_read_b128 v[32:35], v4 offset:112
	v_fmac_f32_e32 v27, v74, v84
	v_fmac_f32_e32 v3, v89, v90
	;; [unrolled: 1-line block ×9, first 2 shown]
	v_and_b32_e32 v36, 0xffff, v73
	v_fmac_f32_e32 v27, v62, v67
	v_fmac_f32_e32 v3, v24, v37
	;; [unrolled: 1-line block ×9, first 2 shown]
	s_waitcnt lgkmcnt(0)
	v_and_b32_e32 v24, 0xffff, v32
	v_lshrrev_b32_e32 v28, 16, v32
	v_and_b32_e32 v32, 0xffff, v76
	;;#ASMSTART
	v_cvt_f32_f16 v24, v24;
	;;#ASMEND
	;;#ASMSTART
	v_cvt_f32_f16 v28, v28;
	;;#ASMEND
	;; [unrolled: 3-line block ×4, first 2 shown]
	v_fmac_f32_e32 v3, v24, v32
	v_fmac_f32_e32 v10, v28, v36
	v_and_b32_e32 v24, 0xffff, v33
	v_lshrrev_b32_e32 v32, 16, v33
	v_fmac_f32_e32 v26, v40, v49
	v_and_b32_e32 v33, 0xffff, v58
	;;#ASMSTART
	v_cvt_f32_f16 v24, v24;
	;;#ASMEND
	;;#ASMSTART
	v_cvt_f32_f16 v28, v32;
	;;#ASMEND
	;;#ASMSTART
	v_cvt_f32_f16 v32, v33;
	;;#ASMEND
	v_fmac_f32_e32 v27, v24, v32
	v_add_f32_e32 v3, v3, v10
	v_fmac_f32_e32 v31, v100, v102
	v_fmac_f32_e32 v29, v61, v64
	;; [unrolled: 1-line block ×4, first 2 shown]
	v_and_b32_e32 v37, 0xffff, v57
	;;#ASMSTART
	v_cvt_f32_f16 v33, v37;
	;;#ASMEND
	v_fmac_f32_e32 v26, v28, v33
	v_add_f32_e32 v3, v3, v27
	v_and_b32_e32 v24, 0xffff, v34
	v_fmac_f32_e32 v31, v63, v66
	v_fmac_f32_e32 v29, v82, v91
	;; [unrolled: 1-line block ×3, first 2 shown]
	v_lshrrev_b32_e32 v28, 16, v34
	v_and_b32_e32 v32, 0xffff, v42
	;;#ASMSTART
	v_cvt_f32_f16 v10, v24;
	;;#ASMEND
	;;#ASMSTART
	v_cvt_f32_f16 v24, v28;
	;;#ASMEND
	;; [unrolled: 3-line block ×3, first 2 shown]
	v_fmac_f32_e32 v25, v10, v27
	v_add_f32_e32 v3, v26, v3
	v_fmac_f32_e32 v31, v83, v95
	v_fmac_f32_e32 v29, v44, v59
	v_and_b32_e32 v33, 0xffff, v41
	;;#ASMSTART
	v_cvt_f32_f16 v28, v33;
	;;#ASMEND
	v_fmac_f32_e32 v30, v24, v28
	v_add_f32_e32 v3, v3, v25
	v_and_b32_e32 v10, 0xffff, v35
	v_fmac_f32_e32 v31, v46, v69
	v_lshrrev_b32_e32 v26, 16, v35
	v_and_b32_e32 v27, 0xffff, v11
	;;#ASMSTART
	v_cvt_f32_f16 v10, v10;
	;;#ASMEND
	;;#ASMSTART
	v_cvt_f32_f16 v11, v26;
	;;#ASMEND
	;; [unrolled: 3-line block ×3, first 2 shown]
	v_fmac_f32_e32 v29, v10, v24
	v_add_f32_e32 v3, v30, v3
	v_and_b32_e32 v25, 0xffff, v9
	v_mul_f32_e32 v9, s36, v12
	;;#ASMSTART
	v_cvt_f32_f16 v10, v25;
	;;#ASMEND
	v_fmac_f32_e32 v31, v11, v10
	v_add_f32_e32 v3, v3, v29
	v_cmp_gt_i32_e64 s1, s29, v18
	v_cndmask_b32_e32 v9, 0, v9, vcc_lo
	v_add_nc_u32_e32 v23, 4, v23
	v_add_co_u32 v7, s2, v7, 16
	v_add_f32_e32 v3, v31, v3
	v_add_nc_u32_e32 v18, 0x80, v18
	v_add_co_ci_u32_e64 v8, null, 0, v8, s2
	v_fmac_f32_e32 v9, s3, v3
	v_max_f32_e32 v3, v16, v16
	v_cndmask_b32_e64 v10, 0, v9, s1
	v_max_f32_e32 v3, v3, v9
	ds_write_b32 v19, v10
	v_cndmask_b32_e64 v16, v16, v3, s1
	v_cmp_le_i32_e64 s1, s11, v23
	v_add_nc_u32_e32 v19, 0x200, v19
	s_or_b32 s40, s1, s40
	s_andn2_b32 exec_lo, exec_lo, s40
	s_cbranch_execz .LBB317_520
.LBB317_11:                             ; =>This Inner Loop Header: Depth=1
	global_load_dword v3, v[7:8], off
	v_mov_b32_e32 v25, 0
	s_waitcnt vmcnt(0)
	v_mad_i64_i32 v[9:10], null, v3, s38, v[5:6]
	global_load_dwordx2 v[11:12], v[9:10], off
	global_load_dword v24, v4, s[12:13]
	s_waitcnt vmcnt(1)
	v_cmp_ne_u16_sdwa s1, v11, v4 src0_sel:BYTE_0 src1_sel:DWORD
	s_and_saveexec_b32 s2, s1
	s_cbranch_execz .LBB317_19
; %bb.12:                               ;   in Loop: Header=BB317_11 Depth=1
	v_cmp_ne_u16_sdwa s1, v11, v17 src0_sel:BYTE_0 src1_sel:DWORD
	v_mov_b32_e32 v25, 0x8000
	s_and_saveexec_b32 s41, s1
	s_cbranch_execz .LBB317_18
; %bb.13:                               ;   in Loop: Header=BB317_11 Depth=1
	v_and_b32_e32 v26, 0x7f, v11
	v_mov_b32_e32 v25, 0x7c01
	s_mov_b32 s42, exec_lo
	v_cmpx_ne_u32_e32 0x7f, v26
	s_cbranch_execz .LBB317_17
; %bb.14:                               ;   in Loop: Header=BB317_11 Depth=1
	v_and_b32_e32 v3, 7, v11
	v_lshrrev_b32_e32 v25, 3, v26
	s_mov_b32 s43, exec_lo
	v_cmpx_gt_u32_e32 8, v26
; %bb.15:                               ;   in Loop: Header=BB317_11 Depth=1
	v_ffbh_u32_e32 v3, v3
	v_min_u32_e32 v3, 32, v3
	v_subrev_nc_u32_e32 v25, 28, v3
	v_lshlrev_b64 v[26:27], v25, v[11:12]
	v_sub_nc_u32_e32 v25, 29, v3
	v_and_b32_e32 v3, 7, v26
; %bb.16:                               ;   in Loop: Header=BB317_11 Depth=1
	s_or_b32 exec_lo, exec_lo, s43
	v_lshlrev_b32_e32 v26, 8, v11
	v_lshl_add_u32 v25, v25, 10, 0x2000
	v_lshlrev_b32_e32 v3, 7, v3
	v_and_b32_e32 v26, 0x8000, v26
	v_and_b32_e32 v25, 0xfc00, v25
	v_or3_b32 v25, v26, v25, v3
.LBB317_17:                             ;   in Loop: Header=BB317_11 Depth=1
	s_or_b32 exec_lo, exec_lo, s42
.LBB317_18:                             ;   in Loop: Header=BB317_11 Depth=1
	s_or_b32 exec_lo, exec_lo, s41
.LBB317_19:                             ;   in Loop: Header=BB317_11 Depth=1
	s_or_b32 exec_lo, exec_lo, s2
	v_lshrrev_b16 v3, 8, v11
	v_mov_b32_e32 v27, 0
	v_mov_b32_e32 v26, 0
	s_mov_b32 s2, exec_lo
	v_cmpx_ne_u16_e32 0, v3
	s_cbranch_execz .LBB317_27
; %bb.20:                               ;   in Loop: Header=BB317_11 Depth=1
	v_bfrev_b32_e32 v26, 1
	s_mov_b32 s41, exec_lo
	v_cmpx_ne_u16_e32 0x80, v3
	s_cbranch_execz .LBB317_26
; %bb.21:                               ;   in Loop: Header=BB317_11 Depth=1
	v_and_b32_sdwa v29, v3, v20 dst_sel:DWORD dst_unused:UNUSED_PAD src0_sel:WORD_0 src1_sel:DWORD
	v_mov_b32_e32 v26, 0x7c010000
	s_mov_b32 s42, exec_lo
	v_cmpx_ne_u32_e32 0x7f, v29
	s_cbranch_execz .LBB317_25
; %bb.22:                               ;   in Loop: Header=BB317_11 Depth=1
	v_and_b32_sdwa v26, v3, v21 dst_sel:DWORD dst_unused:UNUSED_PAD src0_sel:WORD_0 src1_sel:DWORD
	v_lshrrev_b32_e32 v28, 3, v29
	s_mov_b32 s43, exec_lo
	v_cmpx_gt_u32_e32 8, v29
; %bb.23:                               ;   in Loop: Header=BB317_11 Depth=1
	v_ffbh_u32_e32 v26, v26
	v_min_u32_e32 v26, 32, v26
	v_subrev_nc_u32_e32 v28, 28, v26
	v_lshlrev_b64 v[29:30], v28, v[3:4]
	v_sub_nc_u32_e32 v28, 29, v26
	v_and_b32_e32 v26, 7, v29
; %bb.24:                               ;   in Loop: Header=BB317_11 Depth=1
	s_or_b32 exec_lo, exec_lo, s43
	v_lshlrev_b32_sdwa v3, v22, v3 dst_sel:DWORD dst_unused:UNUSED_PAD src0_sel:DWORD src1_sel:WORD_0
	v_lshl_add_u32 v28, v28, 10, 0x2000
	v_lshlrev_b32_e32 v26, 23, v26
	v_and_or_b32 v3, 0x8000, v3, v28
	v_lshl_or_b32 v26, v3, 16, v26
.LBB317_25:                             ;   in Loop: Header=BB317_11 Depth=1
	s_or_b32 exec_lo, exec_lo, s42
.LBB317_26:                             ;   in Loop: Header=BB317_11 Depth=1
	s_or_b32 exec_lo, exec_lo, s41
.LBB317_27:                             ;   in Loop: Header=BB317_11 Depth=1
	s_or_b32 exec_lo, exec_lo, s2
	v_lshrrev_b32_e32 v3, 16, v11
	v_cmp_ne_u16_sdwa s1, v3, v4 src0_sel:BYTE_0 src1_sel:DWORD
	s_and_saveexec_b32 s2, s1
	s_cbranch_execz .LBB317_35
; %bb.28:                               ;   in Loop: Header=BB317_11 Depth=1
	v_cmp_ne_u16_sdwa s1, v3, v17 src0_sel:BYTE_0 src1_sel:DWORD
	v_mov_b32_e32 v27, 0x8000
	s_and_saveexec_b32 s41, s1
	s_cbranch_execz .LBB317_34
; %bb.29:                               ;   in Loop: Header=BB317_11 Depth=1
	v_bfe_u32 v29, v11, 16, 7
	v_mov_b32_e32 v27, 0x7c01
	s_mov_b32 s42, exec_lo
	v_cmpx_ne_u32_e32 0x7f, v29
	s_cbranch_execz .LBB317_33
; %bb.30:                               ;   in Loop: Header=BB317_11 Depth=1
	v_and_b32_e32 v27, 7, v3
	v_lshrrev_b32_e32 v28, 3, v29
	s_mov_b32 s43, exec_lo
	v_cmpx_gt_u32_e32 8, v29
; %bb.31:                               ;   in Loop: Header=BB317_11 Depth=1
	v_ffbh_u32_e32 v27, v27
	v_min_u32_e32 v29, 32, v27
	v_subrev_nc_u32_e32 v27, 28, v29
	v_lshlrev_b64 v[27:28], v27, v[3:4]
	v_sub_nc_u32_e32 v28, 29, v29
	v_and_b32_e32 v27, 7, v27
; %bb.32:                               ;   in Loop: Header=BB317_11 Depth=1
	s_or_b32 exec_lo, exec_lo, s43
	v_lshlrev_b32_e32 v3, 8, v3
	v_lshl_add_u32 v28, v28, 10, 0x2000
	v_lshlrev_b32_e32 v27, 7, v27
	v_and_b32_e32 v3, 0x8000, v3
	v_and_b32_e32 v28, 0xfc00, v28
	v_or3_b32 v27, v3, v28, v27
.LBB317_33:                             ;   in Loop: Header=BB317_11 Depth=1
	s_or_b32 exec_lo, exec_lo, s42
.LBB317_34:                             ;   in Loop: Header=BB317_11 Depth=1
	s_or_b32 exec_lo, exec_lo, s41
.LBB317_35:                             ;   in Loop: Header=BB317_11 Depth=1
	s_or_b32 exec_lo, exec_lo, s2
	v_mov_b32_e32 v28, 0
	v_mov_b32_e32 v29, 0
	s_mov_b32 s2, exec_lo
	v_cmpx_lt_u32_e32 0xffffff, v11
	s_cbranch_execz .LBB317_43
; %bb.36:                               ;   in Loop: Header=BB317_11 Depth=1
	v_lshrrev_b32_e32 v3, 24, v11
	v_bfrev_b32_e32 v29, 1
	s_mov_b32 s41, exec_lo
	v_cmpx_ne_u32_e32 0x80, v3
	s_cbranch_execz .LBB317_42
; %bb.37:                               ;   in Loop: Header=BB317_11 Depth=1
	v_and_b32_e32 v31, 0x7f, v3
	v_mov_b32_e32 v29, 0x7c010000
	s_mov_b32 s42, exec_lo
	v_cmpx_ne_u32_e32 0x7f, v31
	s_cbranch_execz .LBB317_41
; %bb.38:                               ;   in Loop: Header=BB317_11 Depth=1
	v_and_b32_e32 v29, 7, v3
	v_lshrrev_b32_e32 v30, 3, v31
	s_mov_b32 s43, exec_lo
	v_cmpx_gt_u32_e32 8, v31
; %bb.39:                               ;   in Loop: Header=BB317_11 Depth=1
	v_ffbh_u32_e32 v29, v29
	v_min_u32_e32 v31, 32, v29
	v_subrev_nc_u32_e32 v29, 28, v31
	v_lshlrev_b64 v[29:30], v29, v[3:4]
	v_sub_nc_u32_e32 v30, 29, v31
	v_and_b32_e32 v29, 7, v29
; %bb.40:                               ;   in Loop: Header=BB317_11 Depth=1
	s_or_b32 exec_lo, exec_lo, s43
	v_lshlrev_b32_e32 v3, 8, v3
	v_lshl_add_u32 v30, v30, 10, 0x2000
	v_lshlrev_b32_e32 v29, 23, v29
	v_and_or_b32 v3, 0x8000, v3, v30
	v_lshl_or_b32 v29, v3, 16, v29
.LBB317_41:                             ;   in Loop: Header=BB317_11 Depth=1
	s_or_b32 exec_lo, exec_lo, s42
.LBB317_42:                             ;   in Loop: Header=BB317_11 Depth=1
	s_or_b32 exec_lo, exec_lo, s41
.LBB317_43:                             ;   in Loop: Header=BB317_11 Depth=1
	s_or_b32 exec_lo, exec_lo, s2
	v_mov_b32_e32 v3, v12
	v_cmp_ne_u16_sdwa s1, v12, v4 src0_sel:BYTE_0 src1_sel:DWORD
	s_and_saveexec_b32 s2, s1
	s_cbranch_execz .LBB317_51
; %bb.44:                               ;   in Loop: Header=BB317_11 Depth=1
	v_cmp_ne_u16_sdwa s1, v12, v17 src0_sel:BYTE_0 src1_sel:DWORD
	v_mov_b32_e32 v28, 0x8000
	s_and_saveexec_b32 s41, s1
	s_cbranch_execz .LBB317_50
; %bb.45:                               ;   in Loop: Header=BB317_11 Depth=1
	v_and_b32_e32 v31, 0x7f, v12
	v_mov_b32_e32 v28, 0x7c01
	s_mov_b32 s42, exec_lo
	v_cmpx_ne_u32_e32 0x7f, v31
	s_cbranch_execz .LBB317_49
; %bb.46:                               ;   in Loop: Header=BB317_11 Depth=1
	v_and_b32_e32 v28, 7, v12
	v_lshrrev_b32_e32 v30, 3, v31
	s_mov_b32 s43, exec_lo
	v_cmpx_gt_u32_e32 8, v31
; %bb.47:                               ;   in Loop: Header=BB317_11 Depth=1
	v_ffbh_u32_e32 v28, v28
	v_min_u32_e32 v28, 32, v28
	v_subrev_nc_u32_e32 v30, 28, v28
	v_lshlrev_b64 v[31:32], v30, v[3:4]
	v_sub_nc_u32_e32 v30, 29, v28
	v_and_b32_e32 v28, 7, v31
; %bb.48:                               ;   in Loop: Header=BB317_11 Depth=1
	s_or_b32 exec_lo, exec_lo, s43
	v_lshlrev_b32_e32 v31, 8, v12
	v_lshl_add_u32 v30, v30, 10, 0x2000
	v_lshlrev_b32_e32 v28, 7, v28
	v_and_b32_e32 v31, 0x8000, v31
	v_and_b32_e32 v30, 0xfc00, v30
	v_or3_b32 v28, v31, v30, v28
.LBB317_49:                             ;   in Loop: Header=BB317_11 Depth=1
	s_or_b32 exec_lo, exec_lo, s42
.LBB317_50:                             ;   in Loop: Header=BB317_11 Depth=1
	s_or_b32 exec_lo, exec_lo, s41
.LBB317_51:                             ;   in Loop: Header=BB317_11 Depth=1
	s_or_b32 exec_lo, exec_lo, s2
	v_lshrrev_b16 v3, 8, v3
	v_mov_b32_e32 v30, 0
	v_mov_b32_e32 v31, 0
	s_mov_b32 s2, exec_lo
	v_cmpx_ne_u16_e32 0, v3
	s_cbranch_execz .LBB317_59
; %bb.52:                               ;   in Loop: Header=BB317_11 Depth=1
	v_bfrev_b32_e32 v31, 1
	s_mov_b32 s41, exec_lo
	v_cmpx_ne_u16_e32 0x80, v3
	s_cbranch_execz .LBB317_58
; %bb.53:                               ;   in Loop: Header=BB317_11 Depth=1
	v_and_b32_sdwa v33, v3, v20 dst_sel:DWORD dst_unused:UNUSED_PAD src0_sel:WORD_0 src1_sel:DWORD
	v_mov_b32_e32 v31, 0x7c010000
	s_mov_b32 s42, exec_lo
	v_cmpx_ne_u32_e32 0x7f, v33
	s_cbranch_execz .LBB317_57
; %bb.54:                               ;   in Loop: Header=BB317_11 Depth=1
	v_and_b32_sdwa v31, v3, v21 dst_sel:DWORD dst_unused:UNUSED_PAD src0_sel:WORD_0 src1_sel:DWORD
	v_lshrrev_b32_e32 v32, 3, v33
	s_mov_b32 s43, exec_lo
	v_cmpx_gt_u32_e32 8, v33
; %bb.55:                               ;   in Loop: Header=BB317_11 Depth=1
	v_ffbh_u32_e32 v31, v31
	v_min_u32_e32 v33, 32, v31
	v_subrev_nc_u32_e32 v31, 28, v33
	v_lshlrev_b64 v[31:32], v31, v[3:4]
	v_sub_nc_u32_e32 v32, 29, v33
	v_and_b32_e32 v31, 7, v31
; %bb.56:                               ;   in Loop: Header=BB317_11 Depth=1
	s_or_b32 exec_lo, exec_lo, s43
	v_lshlrev_b32_sdwa v3, v22, v3 dst_sel:DWORD dst_unused:UNUSED_PAD src0_sel:DWORD src1_sel:WORD_0
	v_lshl_add_u32 v32, v32, 10, 0x2000
	v_lshlrev_b32_e32 v31, 23, v31
	v_and_or_b32 v3, 0x8000, v3, v32
	v_lshl_or_b32 v31, v3, 16, v31
.LBB317_57:                             ;   in Loop: Header=BB317_11 Depth=1
	s_or_b32 exec_lo, exec_lo, s42
.LBB317_58:                             ;   in Loop: Header=BB317_11 Depth=1
	s_or_b32 exec_lo, exec_lo, s41
.LBB317_59:                             ;   in Loop: Header=BB317_11 Depth=1
	s_or_b32 exec_lo, exec_lo, s2
	v_lshrrev_b32_e32 v3, 16, v12
	v_cmp_ne_u16_sdwa s1, v3, v4 src0_sel:BYTE_0 src1_sel:DWORD
	s_and_saveexec_b32 s2, s1
	s_cbranch_execz .LBB317_67
; %bb.60:                               ;   in Loop: Header=BB317_11 Depth=1
	v_cmp_ne_u16_sdwa s1, v3, v17 src0_sel:BYTE_0 src1_sel:DWORD
	v_mov_b32_e32 v30, 0x8000
	s_and_saveexec_b32 s41, s1
	s_cbranch_execz .LBB317_66
; %bb.61:                               ;   in Loop: Header=BB317_11 Depth=1
	v_bfe_u32 v33, v12, 16, 7
	v_mov_b32_e32 v30, 0x7c01
	s_mov_b32 s42, exec_lo
	v_cmpx_ne_u32_e32 0x7f, v33
	s_cbranch_execz .LBB317_65
; %bb.62:                               ;   in Loop: Header=BB317_11 Depth=1
	v_and_b32_e32 v30, 7, v3
	v_lshrrev_b32_e32 v32, 3, v33
	s_mov_b32 s43, exec_lo
	v_cmpx_gt_u32_e32 8, v33
; %bb.63:                               ;   in Loop: Header=BB317_11 Depth=1
	v_ffbh_u32_e32 v30, v30
	v_min_u32_e32 v30, 32, v30
	v_subrev_nc_u32_e32 v32, 28, v30
	v_lshlrev_b64 v[33:34], v32, v[3:4]
	v_sub_nc_u32_e32 v32, 29, v30
	v_and_b32_e32 v30, 7, v33
; %bb.64:                               ;   in Loop: Header=BB317_11 Depth=1
	s_or_b32 exec_lo, exec_lo, s43
	v_lshlrev_b32_e32 v3, 8, v3
	v_lshl_add_u32 v32, v32, 10, 0x2000
	v_lshlrev_b32_e32 v30, 7, v30
	v_and_b32_e32 v3, 0x8000, v3
	v_and_b32_e32 v32, 0xfc00, v32
	v_or3_b32 v30, v3, v32, v30
.LBB317_65:                             ;   in Loop: Header=BB317_11 Depth=1
	s_or_b32 exec_lo, exec_lo, s42
.LBB317_66:                             ;   in Loop: Header=BB317_11 Depth=1
	s_or_b32 exec_lo, exec_lo, s41
.LBB317_67:                             ;   in Loop: Header=BB317_11 Depth=1
	s_or_b32 exec_lo, exec_lo, s2
	v_mov_b32_e32 v32, 0
	v_mov_b32_e32 v33, 0
	s_mov_b32 s2, exec_lo
	v_cmpx_lt_u64_e64 s[4:5], v[11:12]
	s_cbranch_execz .LBB317_75
; %bb.68:                               ;   in Loop: Header=BB317_11 Depth=1
	v_lshrrev_b32_e32 v3, 24, v12
	v_bfrev_b32_e32 v33, 1
	s_mov_b32 s41, exec_lo
	v_cmpx_ne_u32_e32 0x80, v3
	s_cbranch_execz .LBB317_74
; %bb.69:                               ;   in Loop: Header=BB317_11 Depth=1
	v_and_b32_e32 v34, 0x7f, v3
	v_mov_b32_e32 v33, 0x7c010000
	s_mov_b32 s42, exec_lo
	v_cmpx_ne_u32_e32 0x7f, v34
	s_cbranch_execz .LBB317_73
; %bb.70:                               ;   in Loop: Header=BB317_11 Depth=1
	v_and_b32_e32 v11, 7, v3
	v_lshrrev_b32_e32 v12, 3, v34
	s_mov_b32 s43, exec_lo
	v_cmpx_gt_u32_e32 8, v34
; %bb.71:                               ;   in Loop: Header=BB317_11 Depth=1
	v_ffbh_u32_e32 v11, v11
	v_min_u32_e32 v33, 32, v11
	v_subrev_nc_u32_e32 v11, 28, v33
	v_lshlrev_b64 v[11:12], v11, v[3:4]
	v_sub_nc_u32_e32 v12, 29, v33
	v_and_b32_e32 v11, 7, v11
; %bb.72:                               ;   in Loop: Header=BB317_11 Depth=1
	s_or_b32 exec_lo, exec_lo, s43
	v_lshlrev_b32_e32 v3, 8, v3
	v_lshl_add_u32 v12, v12, 10, 0x2000
	v_lshlrev_b32_e32 v11, 23, v11
	v_and_or_b32 v3, 0x8000, v3, v12
	v_lshl_or_b32 v33, v3, 16, v11
.LBB317_73:                             ;   in Loop: Header=BB317_11 Depth=1
	s_or_b32 exec_lo, exec_lo, s42
.LBB317_74:                             ;   in Loop: Header=BB317_11 Depth=1
	s_or_b32 exec_lo, exec_lo, s41
.LBB317_75:                             ;   in Loop: Header=BB317_11 Depth=1
	s_or_b32 exec_lo, exec_lo, s2
	global_load_dwordx2 v[11:12], v[9:10], off offset:8
	s_waitcnt vmcnt(0)
	v_cmp_ne_u16_sdwa s1, v11, v4 src0_sel:BYTE_0 src1_sel:DWORD
	s_and_saveexec_b32 s2, s1
	s_cbranch_execz .LBB317_83
; %bb.76:                               ;   in Loop: Header=BB317_11 Depth=1
	v_cmp_ne_u16_sdwa s1, v11, v17 src0_sel:BYTE_0 src1_sel:DWORD
	v_mov_b32_e32 v32, 0x8000
	s_and_saveexec_b32 s41, s1
	s_cbranch_execz .LBB317_82
; %bb.77:                               ;   in Loop: Header=BB317_11 Depth=1
	v_and_b32_e32 v34, 0x7f, v11
	v_mov_b32_e32 v32, 0x7c01
	s_mov_b32 s42, exec_lo
	v_cmpx_ne_u32_e32 0x7f, v34
	s_cbranch_execz .LBB317_81
; %bb.78:                               ;   in Loop: Header=BB317_11 Depth=1
	v_and_b32_e32 v3, 7, v11
	v_lshrrev_b32_e32 v32, 3, v34
	s_mov_b32 s43, exec_lo
	v_cmpx_gt_u32_e32 8, v34
; %bb.79:                               ;   in Loop: Header=BB317_11 Depth=1
	v_ffbh_u32_e32 v3, v3
	v_min_u32_e32 v3, 32, v3
	v_subrev_nc_u32_e32 v32, 28, v3
	v_lshlrev_b64 v[34:35], v32, v[11:12]
	v_sub_nc_u32_e32 v32, 29, v3
	v_and_b32_e32 v3, 7, v34
; %bb.80:                               ;   in Loop: Header=BB317_11 Depth=1
	s_or_b32 exec_lo, exec_lo, s43
	v_lshlrev_b32_e32 v34, 8, v11
	v_lshl_add_u32 v32, v32, 10, 0x2000
	v_lshlrev_b32_e32 v3, 7, v3
	v_and_b32_e32 v34, 0x8000, v34
	v_and_b32_e32 v32, 0xfc00, v32
	v_or3_b32 v32, v34, v32, v3
.LBB317_81:                             ;   in Loop: Header=BB317_11 Depth=1
	s_or_b32 exec_lo, exec_lo, s42
.LBB317_82:                             ;   in Loop: Header=BB317_11 Depth=1
	s_or_b32 exec_lo, exec_lo, s41
.LBB317_83:                             ;   in Loop: Header=BB317_11 Depth=1
	s_or_b32 exec_lo, exec_lo, s2
	v_lshrrev_b16 v3, 8, v11
	v_mov_b32_e32 v35, 0
	v_mov_b32_e32 v34, 0
	s_mov_b32 s2, exec_lo
	v_cmpx_ne_u16_e32 0, v3
	s_cbranch_execz .LBB317_91
; %bb.84:                               ;   in Loop: Header=BB317_11 Depth=1
	v_bfrev_b32_e32 v34, 1
	s_mov_b32 s41, exec_lo
	v_cmpx_ne_u16_e32 0x80, v3
	s_cbranch_execz .LBB317_90
; %bb.85:                               ;   in Loop: Header=BB317_11 Depth=1
	v_and_b32_sdwa v37, v3, v20 dst_sel:DWORD dst_unused:UNUSED_PAD src0_sel:WORD_0 src1_sel:DWORD
	v_mov_b32_e32 v34, 0x7c010000
	s_mov_b32 s42, exec_lo
	v_cmpx_ne_u32_e32 0x7f, v37
	s_cbranch_execz .LBB317_89
; %bb.86:                               ;   in Loop: Header=BB317_11 Depth=1
	v_and_b32_sdwa v34, v3, v21 dst_sel:DWORD dst_unused:UNUSED_PAD src0_sel:WORD_0 src1_sel:DWORD
	v_lshrrev_b32_e32 v36, 3, v37
	s_mov_b32 s43, exec_lo
	v_cmpx_gt_u32_e32 8, v37
; %bb.87:                               ;   in Loop: Header=BB317_11 Depth=1
	v_ffbh_u32_e32 v34, v34
	v_min_u32_e32 v34, 32, v34
	v_subrev_nc_u32_e32 v36, 28, v34
	v_lshlrev_b64 v[37:38], v36, v[3:4]
	v_sub_nc_u32_e32 v36, 29, v34
	v_and_b32_e32 v34, 7, v37
; %bb.88:                               ;   in Loop: Header=BB317_11 Depth=1
	s_or_b32 exec_lo, exec_lo, s43
	v_lshlrev_b32_sdwa v3, v22, v3 dst_sel:DWORD dst_unused:UNUSED_PAD src0_sel:DWORD src1_sel:WORD_0
	v_lshl_add_u32 v36, v36, 10, 0x2000
	v_lshlrev_b32_e32 v34, 23, v34
	v_and_or_b32 v3, 0x8000, v3, v36
	v_lshl_or_b32 v34, v3, 16, v34
.LBB317_89:                             ;   in Loop: Header=BB317_11 Depth=1
	s_or_b32 exec_lo, exec_lo, s42
.LBB317_90:                             ;   in Loop: Header=BB317_11 Depth=1
	s_or_b32 exec_lo, exec_lo, s41
.LBB317_91:                             ;   in Loop: Header=BB317_11 Depth=1
	s_or_b32 exec_lo, exec_lo, s2
	v_lshrrev_b32_e32 v3, 16, v11
	v_cmp_ne_u16_sdwa s1, v3, v4 src0_sel:BYTE_0 src1_sel:DWORD
	s_and_saveexec_b32 s2, s1
	s_cbranch_execz .LBB317_99
; %bb.92:                               ;   in Loop: Header=BB317_11 Depth=1
	v_cmp_ne_u16_sdwa s1, v3, v17 src0_sel:BYTE_0 src1_sel:DWORD
	v_mov_b32_e32 v35, 0x8000
	s_and_saveexec_b32 s41, s1
	s_cbranch_execz .LBB317_98
; %bb.93:                               ;   in Loop: Header=BB317_11 Depth=1
	v_bfe_u32 v37, v11, 16, 7
	v_mov_b32_e32 v35, 0x7c01
	s_mov_b32 s42, exec_lo
	v_cmpx_ne_u32_e32 0x7f, v37
	s_cbranch_execz .LBB317_97
; %bb.94:                               ;   in Loop: Header=BB317_11 Depth=1
	v_and_b32_e32 v35, 7, v3
	v_lshrrev_b32_e32 v36, 3, v37
	s_mov_b32 s43, exec_lo
	v_cmpx_gt_u32_e32 8, v37
; %bb.95:                               ;   in Loop: Header=BB317_11 Depth=1
	v_ffbh_u32_e32 v35, v35
	v_min_u32_e32 v37, 32, v35
	v_subrev_nc_u32_e32 v35, 28, v37
	v_lshlrev_b64 v[35:36], v35, v[3:4]
	v_sub_nc_u32_e32 v36, 29, v37
	v_and_b32_e32 v35, 7, v35
; %bb.96:                               ;   in Loop: Header=BB317_11 Depth=1
	s_or_b32 exec_lo, exec_lo, s43
	v_lshlrev_b32_e32 v3, 8, v3
	v_lshl_add_u32 v36, v36, 10, 0x2000
	v_lshlrev_b32_e32 v35, 7, v35
	v_and_b32_e32 v3, 0x8000, v3
	v_and_b32_e32 v36, 0xfc00, v36
	v_or3_b32 v35, v3, v36, v35
.LBB317_97:                             ;   in Loop: Header=BB317_11 Depth=1
	s_or_b32 exec_lo, exec_lo, s42
.LBB317_98:                             ;   in Loop: Header=BB317_11 Depth=1
	s_or_b32 exec_lo, exec_lo, s41
.LBB317_99:                             ;   in Loop: Header=BB317_11 Depth=1
	s_or_b32 exec_lo, exec_lo, s2
	v_mov_b32_e32 v36, 0
	v_mov_b32_e32 v37, 0
	s_mov_b32 s2, exec_lo
	v_cmpx_lt_u32_e32 0xffffff, v11
	s_cbranch_execz .LBB317_107
; %bb.100:                              ;   in Loop: Header=BB317_11 Depth=1
	v_lshrrev_b32_e32 v3, 24, v11
	v_bfrev_b32_e32 v37, 1
	s_mov_b32 s41, exec_lo
	v_cmpx_ne_u32_e32 0x80, v3
	s_cbranch_execz .LBB317_106
; %bb.101:                              ;   in Loop: Header=BB317_11 Depth=1
	v_and_b32_e32 v39, 0x7f, v3
	v_mov_b32_e32 v37, 0x7c010000
	s_mov_b32 s42, exec_lo
	v_cmpx_ne_u32_e32 0x7f, v39
	s_cbranch_execz .LBB317_105
; %bb.102:                              ;   in Loop: Header=BB317_11 Depth=1
	v_and_b32_e32 v37, 7, v3
	v_lshrrev_b32_e32 v38, 3, v39
	s_mov_b32 s43, exec_lo
	v_cmpx_gt_u32_e32 8, v39
; %bb.103:                              ;   in Loop: Header=BB317_11 Depth=1
	v_ffbh_u32_e32 v37, v37
	v_min_u32_e32 v39, 32, v37
	v_subrev_nc_u32_e32 v37, 28, v39
	v_lshlrev_b64 v[37:38], v37, v[3:4]
	v_sub_nc_u32_e32 v38, 29, v39
	v_and_b32_e32 v37, 7, v37
; %bb.104:                              ;   in Loop: Header=BB317_11 Depth=1
	s_or_b32 exec_lo, exec_lo, s43
	v_lshlrev_b32_e32 v3, 8, v3
	v_lshl_add_u32 v38, v38, 10, 0x2000
	v_lshlrev_b32_e32 v37, 23, v37
	v_and_or_b32 v3, 0x8000, v3, v38
	v_lshl_or_b32 v37, v3, 16, v37
.LBB317_105:                            ;   in Loop: Header=BB317_11 Depth=1
	s_or_b32 exec_lo, exec_lo, s42
.LBB317_106:                            ;   in Loop: Header=BB317_11 Depth=1
	s_or_b32 exec_lo, exec_lo, s41
.LBB317_107:                            ;   in Loop: Header=BB317_11 Depth=1
	s_or_b32 exec_lo, exec_lo, s2
	v_mov_b32_e32 v3, v12
	v_cmp_ne_u16_sdwa s1, v12, v4 src0_sel:BYTE_0 src1_sel:DWORD
	s_and_saveexec_b32 s2, s1
	s_cbranch_execz .LBB317_115
; %bb.108:                              ;   in Loop: Header=BB317_11 Depth=1
	v_cmp_ne_u16_sdwa s1, v12, v17 src0_sel:BYTE_0 src1_sel:DWORD
	v_mov_b32_e32 v36, 0x8000
	s_and_saveexec_b32 s41, s1
	s_cbranch_execz .LBB317_114
; %bb.109:                              ;   in Loop: Header=BB317_11 Depth=1
	v_and_b32_e32 v39, 0x7f, v12
	v_mov_b32_e32 v36, 0x7c01
	s_mov_b32 s42, exec_lo
	v_cmpx_ne_u32_e32 0x7f, v39
	s_cbranch_execz .LBB317_113
; %bb.110:                              ;   in Loop: Header=BB317_11 Depth=1
	v_and_b32_e32 v36, 7, v12
	v_lshrrev_b32_e32 v38, 3, v39
	s_mov_b32 s43, exec_lo
	v_cmpx_gt_u32_e32 8, v39
; %bb.111:                              ;   in Loop: Header=BB317_11 Depth=1
	v_ffbh_u32_e32 v36, v36
	v_min_u32_e32 v36, 32, v36
	v_subrev_nc_u32_e32 v38, 28, v36
	v_lshlrev_b64 v[39:40], v38, v[3:4]
	v_sub_nc_u32_e32 v38, 29, v36
	v_and_b32_e32 v36, 7, v39
; %bb.112:                              ;   in Loop: Header=BB317_11 Depth=1
	s_or_b32 exec_lo, exec_lo, s43
	v_lshlrev_b32_e32 v39, 8, v12
	v_lshl_add_u32 v38, v38, 10, 0x2000
	v_lshlrev_b32_e32 v36, 7, v36
	v_and_b32_e32 v39, 0x8000, v39
	v_and_b32_e32 v38, 0xfc00, v38
	v_or3_b32 v36, v39, v38, v36
.LBB317_113:                            ;   in Loop: Header=BB317_11 Depth=1
	s_or_b32 exec_lo, exec_lo, s42
.LBB317_114:                            ;   in Loop: Header=BB317_11 Depth=1
	s_or_b32 exec_lo, exec_lo, s41
.LBB317_115:                            ;   in Loop: Header=BB317_11 Depth=1
	s_or_b32 exec_lo, exec_lo, s2
	v_lshrrev_b16 v3, 8, v3
	v_mov_b32_e32 v40, 0
	v_mov_b32_e32 v39, 0
	s_mov_b32 s2, exec_lo
	v_cmpx_ne_u16_e32 0, v3
	s_cbranch_execz .LBB317_123
; %bb.116:                              ;   in Loop: Header=BB317_11 Depth=1
	v_bfrev_b32_e32 v39, 1
	s_mov_b32 s41, exec_lo
	v_cmpx_ne_u16_e32 0x80, v3
	s_cbranch_execz .LBB317_122
; %bb.117:                              ;   in Loop: Header=BB317_11 Depth=1
	v_and_b32_sdwa v41, v3, v20 dst_sel:DWORD dst_unused:UNUSED_PAD src0_sel:WORD_0 src1_sel:DWORD
	v_mov_b32_e32 v39, 0x7c010000
	s_mov_b32 s42, exec_lo
	v_cmpx_ne_u32_e32 0x7f, v41
	s_cbranch_execz .LBB317_121
; %bb.118:                              ;   in Loop: Header=BB317_11 Depth=1
	v_and_b32_sdwa v38, v3, v21 dst_sel:DWORD dst_unused:UNUSED_PAD src0_sel:WORD_0 src1_sel:DWORD
	v_lshrrev_b32_e32 v39, 3, v41
	s_mov_b32 s43, exec_lo
	v_cmpx_gt_u32_e32 8, v41
; %bb.119:                              ;   in Loop: Header=BB317_11 Depth=1
	v_ffbh_u32_e32 v38, v38
	v_min_u32_e32 v41, 32, v38
	v_subrev_nc_u32_e32 v38, 28, v41
	v_lshlrev_b64 v[38:39], v38, v[3:4]
	v_sub_nc_u32_e32 v39, 29, v41
	v_and_b32_e32 v38, 7, v38
; %bb.120:                              ;   in Loop: Header=BB317_11 Depth=1
	s_or_b32 exec_lo, exec_lo, s43
	v_lshlrev_b32_sdwa v3, v22, v3 dst_sel:DWORD dst_unused:UNUSED_PAD src0_sel:DWORD src1_sel:WORD_0
	v_lshl_add_u32 v39, v39, 10, 0x2000
	v_lshlrev_b32_e32 v38, 23, v38
	v_and_or_b32 v3, 0x8000, v3, v39
	v_lshl_or_b32 v39, v3, 16, v38
.LBB317_121:                            ;   in Loop: Header=BB317_11 Depth=1
	s_or_b32 exec_lo, exec_lo, s42
.LBB317_122:                            ;   in Loop: Header=BB317_11 Depth=1
	s_or_b32 exec_lo, exec_lo, s41
.LBB317_123:                            ;   in Loop: Header=BB317_11 Depth=1
	s_or_b32 exec_lo, exec_lo, s2
	v_lshrrev_b32_e32 v3, 16, v12
	v_cmp_ne_u16_sdwa s1, v3, v4 src0_sel:BYTE_0 src1_sel:DWORD
	s_and_saveexec_b32 s2, s1
	s_cbranch_execz .LBB317_131
; %bb.124:                              ;   in Loop: Header=BB317_11 Depth=1
	v_cmp_ne_u16_sdwa s1, v3, v17 src0_sel:BYTE_0 src1_sel:DWORD
	v_mov_b32_e32 v40, 0x8000
	s_and_saveexec_b32 s41, s1
	s_cbranch_execz .LBB317_130
; %bb.125:                              ;   in Loop: Header=BB317_11 Depth=1
	v_bfe_u32 v41, v12, 16, 7
	v_mov_b32_e32 v40, 0x7c01
	s_mov_b32 s42, exec_lo
	v_cmpx_ne_u32_e32 0x7f, v41
	s_cbranch_execz .LBB317_129
; %bb.126:                              ;   in Loop: Header=BB317_11 Depth=1
	v_and_b32_e32 v38, 7, v3
	v_lshrrev_b32_e32 v40, 3, v41
	s_mov_b32 s43, exec_lo
	v_cmpx_gt_u32_e32 8, v41
; %bb.127:                              ;   in Loop: Header=BB317_11 Depth=1
	v_ffbh_u32_e32 v38, v38
	v_min_u32_e32 v38, 32, v38
	v_subrev_nc_u32_e32 v40, 28, v38
	v_lshlrev_b64 v[41:42], v40, v[3:4]
	v_sub_nc_u32_e32 v40, 29, v38
	v_and_b32_e32 v38, 7, v41
; %bb.128:                              ;   in Loop: Header=BB317_11 Depth=1
	s_or_b32 exec_lo, exec_lo, s43
	v_lshlrev_b32_e32 v3, 8, v3
	v_lshl_add_u32 v40, v40, 10, 0x2000
	v_lshlrev_b32_e32 v38, 7, v38
	v_and_b32_e32 v3, 0x8000, v3
	v_and_b32_e32 v40, 0xfc00, v40
	v_or3_b32 v40, v3, v40, v38
.LBB317_129:                            ;   in Loop: Header=BB317_11 Depth=1
	s_or_b32 exec_lo, exec_lo, s42
.LBB317_130:                            ;   in Loop: Header=BB317_11 Depth=1
	s_or_b32 exec_lo, exec_lo, s41
.LBB317_131:                            ;   in Loop: Header=BB317_11 Depth=1
	s_or_b32 exec_lo, exec_lo, s2
	v_mov_b32_e32 v38, 0
	v_mov_b32_e32 v43, 0
	s_mov_b32 s2, exec_lo
	v_cmpx_lt_u64_e64 s[4:5], v[11:12]
	s_cbranch_execz .LBB317_139
; %bb.132:                              ;   in Loop: Header=BB317_11 Depth=1
	v_lshrrev_b32_e32 v3, 24, v12
	v_bfrev_b32_e32 v43, 1
	s_mov_b32 s41, exec_lo
	v_cmpx_ne_u32_e32 0x80, v3
	s_cbranch_execz .LBB317_138
; %bb.133:                              ;   in Loop: Header=BB317_11 Depth=1
	v_and_b32_e32 v41, 0x7f, v3
	v_mov_b32_e32 v43, 0x7c010000
	s_mov_b32 s42, exec_lo
	v_cmpx_ne_u32_e32 0x7f, v41
	s_cbranch_execz .LBB317_137
; %bb.134:                              ;   in Loop: Header=BB317_11 Depth=1
	v_and_b32_e32 v11, 7, v3
	v_lshrrev_b32_e32 v12, 3, v41
	s_mov_b32 s43, exec_lo
	v_cmpx_gt_u32_e32 8, v41
; %bb.135:                              ;   in Loop: Header=BB317_11 Depth=1
	v_ffbh_u32_e32 v11, v11
	v_min_u32_e32 v41, 32, v11
	v_subrev_nc_u32_e32 v11, 28, v41
	v_lshlrev_b64 v[11:12], v11, v[3:4]
	v_sub_nc_u32_e32 v12, 29, v41
	v_and_b32_e32 v11, 7, v11
; %bb.136:                              ;   in Loop: Header=BB317_11 Depth=1
	s_or_b32 exec_lo, exec_lo, s43
	v_lshlrev_b32_e32 v3, 8, v3
	v_lshl_add_u32 v12, v12, 10, 0x2000
	v_lshlrev_b32_e32 v11, 23, v11
	v_and_or_b32 v3, 0x8000, v3, v12
	v_lshl_or_b32 v43, v3, 16, v11
.LBB317_137:                            ;   in Loop: Header=BB317_11 Depth=1
	s_or_b32 exec_lo, exec_lo, s42
.LBB317_138:                            ;   in Loop: Header=BB317_11 Depth=1
	s_or_b32 exec_lo, exec_lo, s41
.LBB317_139:                            ;   in Loop: Header=BB317_11 Depth=1
	s_or_b32 exec_lo, exec_lo, s2
	global_load_dwordx2 v[11:12], v[9:10], off offset:512
	s_waitcnt vmcnt(0)
	v_cmp_ne_u16_sdwa s1, v11, v4 src0_sel:BYTE_0 src1_sel:DWORD
	s_and_saveexec_b32 s2, s1
	s_cbranch_execz .LBB317_147
; %bb.140:                              ;   in Loop: Header=BB317_11 Depth=1
	v_cmp_ne_u16_sdwa s1, v11, v17 src0_sel:BYTE_0 src1_sel:DWORD
	v_mov_b32_e32 v38, 0x8000
	s_and_saveexec_b32 s41, s1
	s_cbranch_execz .LBB317_146
; %bb.141:                              ;   in Loop: Header=BB317_11 Depth=1
	v_and_b32_e32 v41, 0x7f, v11
	v_mov_b32_e32 v38, 0x7c01
	s_mov_b32 s42, exec_lo
	v_cmpx_ne_u32_e32 0x7f, v41
	s_cbranch_execz .LBB317_145
; %bb.142:                              ;   in Loop: Header=BB317_11 Depth=1
	v_and_b32_e32 v3, 7, v11
	v_lshrrev_b32_e32 v38, 3, v41
	s_mov_b32 s43, exec_lo
	v_cmpx_gt_u32_e32 8, v41
; %bb.143:                              ;   in Loop: Header=BB317_11 Depth=1
	v_ffbh_u32_e32 v3, v3
	v_min_u32_e32 v3, 32, v3
	v_subrev_nc_u32_e32 v38, 28, v3
	v_lshlrev_b64 v[41:42], v38, v[11:12]
	v_sub_nc_u32_e32 v38, 29, v3
	v_and_b32_e32 v3, 7, v41
; %bb.144:                              ;   in Loop: Header=BB317_11 Depth=1
	s_or_b32 exec_lo, exec_lo, s43
	v_lshlrev_b32_e32 v41, 8, v11
	v_lshl_add_u32 v38, v38, 10, 0x2000
	v_lshlrev_b32_e32 v3, 7, v3
	v_and_b32_e32 v41, 0x8000, v41
	v_and_b32_e32 v38, 0xfc00, v38
	v_or3_b32 v38, v41, v38, v3
.LBB317_145:                            ;   in Loop: Header=BB317_11 Depth=1
	s_or_b32 exec_lo, exec_lo, s42
.LBB317_146:                            ;   in Loop: Header=BB317_11 Depth=1
	s_or_b32 exec_lo, exec_lo, s41
.LBB317_147:                            ;   in Loop: Header=BB317_11 Depth=1
	s_or_b32 exec_lo, exec_lo, s2
	v_lshrrev_b16 v3, 8, v11
	v_mov_b32_e32 v42, 0
	v_mov_b32_e32 v41, 0
	s_mov_b32 s2, exec_lo
	v_cmpx_ne_u16_e32 0, v3
	s_cbranch_execz .LBB317_155
; %bb.148:                              ;   in Loop: Header=BB317_11 Depth=1
	v_bfrev_b32_e32 v41, 1
	s_mov_b32 s41, exec_lo
	v_cmpx_ne_u16_e32 0x80, v3
	s_cbranch_execz .LBB317_154
; %bb.149:                              ;   in Loop: Header=BB317_11 Depth=1
	v_and_b32_sdwa v45, v3, v20 dst_sel:DWORD dst_unused:UNUSED_PAD src0_sel:WORD_0 src1_sel:DWORD
	v_mov_b32_e32 v41, 0x7c010000
	s_mov_b32 s42, exec_lo
	v_cmpx_ne_u32_e32 0x7f, v45
	s_cbranch_execz .LBB317_153
; %bb.150:                              ;   in Loop: Header=BB317_11 Depth=1
	v_and_b32_sdwa v41, v3, v21 dst_sel:DWORD dst_unused:UNUSED_PAD src0_sel:WORD_0 src1_sel:DWORD
	v_lshrrev_b32_e32 v44, 3, v45
	s_mov_b32 s43, exec_lo
	v_cmpx_gt_u32_e32 8, v45
; %bb.151:                              ;   in Loop: Header=BB317_11 Depth=1
	v_ffbh_u32_e32 v41, v41
	v_min_u32_e32 v41, 32, v41
	v_subrev_nc_u32_e32 v44, 28, v41
	v_lshlrev_b64 v[45:46], v44, v[3:4]
	v_sub_nc_u32_e32 v44, 29, v41
	v_and_b32_e32 v41, 7, v45
; %bb.152:                              ;   in Loop: Header=BB317_11 Depth=1
	s_or_b32 exec_lo, exec_lo, s43
	v_lshlrev_b32_sdwa v3, v22, v3 dst_sel:DWORD dst_unused:UNUSED_PAD src0_sel:DWORD src1_sel:WORD_0
	v_lshl_add_u32 v44, v44, 10, 0x2000
	v_lshlrev_b32_e32 v41, 23, v41
	v_and_or_b32 v3, 0x8000, v3, v44
	v_lshl_or_b32 v41, v3, 16, v41
.LBB317_153:                            ;   in Loop: Header=BB317_11 Depth=1
	s_or_b32 exec_lo, exec_lo, s42
.LBB317_154:                            ;   in Loop: Header=BB317_11 Depth=1
	s_or_b32 exec_lo, exec_lo, s41
.LBB317_155:                            ;   in Loop: Header=BB317_11 Depth=1
	s_or_b32 exec_lo, exec_lo, s2
	v_lshrrev_b32_e32 v3, 16, v11
	v_cmp_ne_u16_sdwa s1, v3, v4 src0_sel:BYTE_0 src1_sel:DWORD
	s_and_saveexec_b32 s2, s1
	s_cbranch_execz .LBB317_163
; %bb.156:                              ;   in Loop: Header=BB317_11 Depth=1
	v_cmp_ne_u16_sdwa s1, v3, v17 src0_sel:BYTE_0 src1_sel:DWORD
	v_mov_b32_e32 v42, 0x8000
	s_and_saveexec_b32 s41, s1
	s_cbranch_execz .LBB317_162
; %bb.157:                              ;   in Loop: Header=BB317_11 Depth=1
	v_bfe_u32 v45, v11, 16, 7
	v_mov_b32_e32 v42, 0x7c01
	s_mov_b32 s42, exec_lo
	v_cmpx_ne_u32_e32 0x7f, v45
	s_cbranch_execz .LBB317_161
; %bb.158:                              ;   in Loop: Header=BB317_11 Depth=1
	v_and_b32_e32 v42, 7, v3
	v_lshrrev_b32_e32 v44, 3, v45
	s_mov_b32 s43, exec_lo
	v_cmpx_gt_u32_e32 8, v45
; %bb.159:                              ;   in Loop: Header=BB317_11 Depth=1
	v_ffbh_u32_e32 v42, v42
	v_min_u32_e32 v42, 32, v42
	v_subrev_nc_u32_e32 v44, 28, v42
	v_lshlrev_b64 v[45:46], v44, v[3:4]
	v_sub_nc_u32_e32 v44, 29, v42
	v_and_b32_e32 v42, 7, v45
; %bb.160:                              ;   in Loop: Header=BB317_11 Depth=1
	s_or_b32 exec_lo, exec_lo, s43
	v_lshlrev_b32_e32 v3, 8, v3
	v_lshl_add_u32 v44, v44, 10, 0x2000
	v_lshlrev_b32_e32 v42, 7, v42
	v_and_b32_e32 v3, 0x8000, v3
	v_and_b32_e32 v44, 0xfc00, v44
	v_or3_b32 v42, v3, v44, v42
.LBB317_161:                            ;   in Loop: Header=BB317_11 Depth=1
	s_or_b32 exec_lo, exec_lo, s42
.LBB317_162:                            ;   in Loop: Header=BB317_11 Depth=1
	s_or_b32 exec_lo, exec_lo, s41
.LBB317_163:                            ;   in Loop: Header=BB317_11 Depth=1
	s_or_b32 exec_lo, exec_lo, s2
	v_mov_b32_e32 v44, 0
	v_mov_b32_e32 v45, 0
	s_mov_b32 s2, exec_lo
	v_cmpx_lt_u32_e32 0xffffff, v11
	s_cbranch_execz .LBB317_171
; %bb.164:                              ;   in Loop: Header=BB317_11 Depth=1
	v_lshrrev_b32_e32 v3, 24, v11
	v_bfrev_b32_e32 v45, 1
	s_mov_b32 s41, exec_lo
	v_cmpx_ne_u32_e32 0x80, v3
	s_cbranch_execz .LBB317_170
; %bb.165:                              ;   in Loop: Header=BB317_11 Depth=1
	v_and_b32_e32 v47, 0x7f, v3
	v_mov_b32_e32 v45, 0x7c010000
	s_mov_b32 s42, exec_lo
	v_cmpx_ne_u32_e32 0x7f, v47
	s_cbranch_execz .LBB317_169
; %bb.166:                              ;   in Loop: Header=BB317_11 Depth=1
	v_and_b32_e32 v45, 7, v3
	v_lshrrev_b32_e32 v46, 3, v47
	s_mov_b32 s43, exec_lo
	v_cmpx_gt_u32_e32 8, v47
; %bb.167:                              ;   in Loop: Header=BB317_11 Depth=1
	v_ffbh_u32_e32 v45, v45
	v_min_u32_e32 v47, 32, v45
	v_subrev_nc_u32_e32 v45, 28, v47
	v_lshlrev_b64 v[45:46], v45, v[3:4]
	v_sub_nc_u32_e32 v46, 29, v47
	v_and_b32_e32 v45, 7, v45
; %bb.168:                              ;   in Loop: Header=BB317_11 Depth=1
	s_or_b32 exec_lo, exec_lo, s43
	v_lshlrev_b32_e32 v3, 8, v3
	v_lshl_add_u32 v46, v46, 10, 0x2000
	v_lshlrev_b32_e32 v45, 23, v45
	v_and_or_b32 v3, 0x8000, v3, v46
	v_lshl_or_b32 v45, v3, 16, v45
.LBB317_169:                            ;   in Loop: Header=BB317_11 Depth=1
	s_or_b32 exec_lo, exec_lo, s42
.LBB317_170:                            ;   in Loop: Header=BB317_11 Depth=1
	s_or_b32 exec_lo, exec_lo, s41
.LBB317_171:                            ;   in Loop: Header=BB317_11 Depth=1
	s_or_b32 exec_lo, exec_lo, s2
	v_mov_b32_e32 v3, v12
	v_cmp_ne_u16_sdwa s1, v12, v4 src0_sel:BYTE_0 src1_sel:DWORD
	s_and_saveexec_b32 s2, s1
	s_cbranch_execz .LBB317_179
; %bb.172:                              ;   in Loop: Header=BB317_11 Depth=1
	v_cmp_ne_u16_sdwa s1, v12, v17 src0_sel:BYTE_0 src1_sel:DWORD
	v_mov_b32_e32 v44, 0x8000
	s_and_saveexec_b32 s41, s1
	s_cbranch_execz .LBB317_178
; %bb.173:                              ;   in Loop: Header=BB317_11 Depth=1
	v_and_b32_e32 v47, 0x7f, v12
	v_mov_b32_e32 v44, 0x7c01
	s_mov_b32 s42, exec_lo
	v_cmpx_ne_u32_e32 0x7f, v47
	s_cbranch_execz .LBB317_177
; %bb.174:                              ;   in Loop: Header=BB317_11 Depth=1
	v_and_b32_e32 v44, 7, v12
	v_lshrrev_b32_e32 v46, 3, v47
	s_mov_b32 s43, exec_lo
	v_cmpx_gt_u32_e32 8, v47
; %bb.175:                              ;   in Loop: Header=BB317_11 Depth=1
	v_ffbh_u32_e32 v44, v44
	v_min_u32_e32 v44, 32, v44
	v_subrev_nc_u32_e32 v46, 28, v44
	v_lshlrev_b64 v[47:48], v46, v[3:4]
	v_sub_nc_u32_e32 v46, 29, v44
	v_and_b32_e32 v44, 7, v47
; %bb.176:                              ;   in Loop: Header=BB317_11 Depth=1
	s_or_b32 exec_lo, exec_lo, s43
	v_lshlrev_b32_e32 v47, 8, v12
	v_lshl_add_u32 v46, v46, 10, 0x2000
	v_lshlrev_b32_e32 v44, 7, v44
	v_and_b32_e32 v47, 0x8000, v47
	v_and_b32_e32 v46, 0xfc00, v46
	v_or3_b32 v44, v47, v46, v44
.LBB317_177:                            ;   in Loop: Header=BB317_11 Depth=1
	s_or_b32 exec_lo, exec_lo, s42
.LBB317_178:                            ;   in Loop: Header=BB317_11 Depth=1
	s_or_b32 exec_lo, exec_lo, s41
.LBB317_179:                            ;   in Loop: Header=BB317_11 Depth=1
	s_or_b32 exec_lo, exec_lo, s2
	v_lshrrev_b16 v3, 8, v3
	v_mov_b32_e32 v48, 0
	v_mov_b32_e32 v47, 0
	s_mov_b32 s2, exec_lo
	v_cmpx_ne_u16_e32 0, v3
	s_cbranch_execz .LBB317_187
; %bb.180:                              ;   in Loop: Header=BB317_11 Depth=1
	v_bfrev_b32_e32 v47, 1
	s_mov_b32 s41, exec_lo
	v_cmpx_ne_u16_e32 0x80, v3
	s_cbranch_execz .LBB317_186
; %bb.181:                              ;   in Loop: Header=BB317_11 Depth=1
	v_and_b32_sdwa v49, v3, v20 dst_sel:DWORD dst_unused:UNUSED_PAD src0_sel:WORD_0 src1_sel:DWORD
	v_mov_b32_e32 v47, 0x7c010000
	s_mov_b32 s42, exec_lo
	v_cmpx_ne_u32_e32 0x7f, v49
	s_cbranch_execz .LBB317_185
; %bb.182:                              ;   in Loop: Header=BB317_11 Depth=1
	v_and_b32_sdwa v46, v3, v21 dst_sel:DWORD dst_unused:UNUSED_PAD src0_sel:WORD_0 src1_sel:DWORD
	v_lshrrev_b32_e32 v47, 3, v49
	s_mov_b32 s43, exec_lo
	v_cmpx_gt_u32_e32 8, v49
; %bb.183:                              ;   in Loop: Header=BB317_11 Depth=1
	v_ffbh_u32_e32 v46, v46
	v_min_u32_e32 v49, 32, v46
	v_subrev_nc_u32_e32 v46, 28, v49
	v_lshlrev_b64 v[46:47], v46, v[3:4]
	v_sub_nc_u32_e32 v47, 29, v49
	v_and_b32_e32 v46, 7, v46
; %bb.184:                              ;   in Loop: Header=BB317_11 Depth=1
	s_or_b32 exec_lo, exec_lo, s43
	v_lshlrev_b32_sdwa v3, v22, v3 dst_sel:DWORD dst_unused:UNUSED_PAD src0_sel:DWORD src1_sel:WORD_0
	v_lshl_add_u32 v47, v47, 10, 0x2000
	v_lshlrev_b32_e32 v46, 23, v46
	v_and_or_b32 v3, 0x8000, v3, v47
	v_lshl_or_b32 v47, v3, 16, v46
.LBB317_185:                            ;   in Loop: Header=BB317_11 Depth=1
	s_or_b32 exec_lo, exec_lo, s42
.LBB317_186:                            ;   in Loop: Header=BB317_11 Depth=1
	s_or_b32 exec_lo, exec_lo, s41
.LBB317_187:                            ;   in Loop: Header=BB317_11 Depth=1
	s_or_b32 exec_lo, exec_lo, s2
	v_lshrrev_b32_e32 v3, 16, v12
	v_cmp_ne_u16_sdwa s1, v3, v4 src0_sel:BYTE_0 src1_sel:DWORD
	s_and_saveexec_b32 s2, s1
	s_cbranch_execz .LBB317_195
; %bb.188:                              ;   in Loop: Header=BB317_11 Depth=1
	v_cmp_ne_u16_sdwa s1, v3, v17 src0_sel:BYTE_0 src1_sel:DWORD
	v_mov_b32_e32 v48, 0x8000
	s_and_saveexec_b32 s41, s1
	s_cbranch_execz .LBB317_194
; %bb.189:                              ;   in Loop: Header=BB317_11 Depth=1
	v_bfe_u32 v49, v12, 16, 7
	v_mov_b32_e32 v48, 0x7c01
	s_mov_b32 s42, exec_lo
	v_cmpx_ne_u32_e32 0x7f, v49
	s_cbranch_execz .LBB317_193
; %bb.190:                              ;   in Loop: Header=BB317_11 Depth=1
	v_and_b32_e32 v46, 7, v3
	v_lshrrev_b32_e32 v48, 3, v49
	s_mov_b32 s43, exec_lo
	v_cmpx_gt_u32_e32 8, v49
; %bb.191:                              ;   in Loop: Header=BB317_11 Depth=1
	v_ffbh_u32_e32 v46, v46
	v_min_u32_e32 v46, 32, v46
	v_subrev_nc_u32_e32 v48, 28, v46
	v_lshlrev_b64 v[49:50], v48, v[3:4]
	v_sub_nc_u32_e32 v48, 29, v46
	v_and_b32_e32 v46, 7, v49
; %bb.192:                              ;   in Loop: Header=BB317_11 Depth=1
	s_or_b32 exec_lo, exec_lo, s43
	v_lshlrev_b32_e32 v3, 8, v3
	v_lshl_add_u32 v48, v48, 10, 0x2000
	v_lshlrev_b32_e32 v46, 7, v46
	v_and_b32_e32 v3, 0x8000, v3
	v_and_b32_e32 v48, 0xfc00, v48
	v_or3_b32 v48, v3, v48, v46
.LBB317_193:                            ;   in Loop: Header=BB317_11 Depth=1
	s_or_b32 exec_lo, exec_lo, s42
.LBB317_194:                            ;   in Loop: Header=BB317_11 Depth=1
	s_or_b32 exec_lo, exec_lo, s41
.LBB317_195:                            ;   in Loop: Header=BB317_11 Depth=1
	s_or_b32 exec_lo, exec_lo, s2
	v_mov_b32_e32 v46, 0
	v_mov_b32_e32 v51, 0
	s_mov_b32 s2, exec_lo
	v_cmpx_lt_u64_e64 s[4:5], v[11:12]
	s_cbranch_execz .LBB317_203
; %bb.196:                              ;   in Loop: Header=BB317_11 Depth=1
	v_lshrrev_b32_e32 v3, 24, v12
	v_bfrev_b32_e32 v51, 1
	s_mov_b32 s41, exec_lo
	v_cmpx_ne_u32_e32 0x80, v3
	s_cbranch_execz .LBB317_202
; %bb.197:                              ;   in Loop: Header=BB317_11 Depth=1
	v_and_b32_e32 v49, 0x7f, v3
	v_mov_b32_e32 v51, 0x7c010000
	s_mov_b32 s42, exec_lo
	v_cmpx_ne_u32_e32 0x7f, v49
	s_cbranch_execz .LBB317_201
; %bb.198:                              ;   in Loop: Header=BB317_11 Depth=1
	v_and_b32_e32 v11, 7, v3
	v_lshrrev_b32_e32 v12, 3, v49
	s_mov_b32 s43, exec_lo
	v_cmpx_gt_u32_e32 8, v49
; %bb.199:                              ;   in Loop: Header=BB317_11 Depth=1
	v_ffbh_u32_e32 v11, v11
	v_min_u32_e32 v49, 32, v11
	v_subrev_nc_u32_e32 v11, 28, v49
	v_lshlrev_b64 v[11:12], v11, v[3:4]
	v_sub_nc_u32_e32 v12, 29, v49
	v_and_b32_e32 v11, 7, v11
; %bb.200:                              ;   in Loop: Header=BB317_11 Depth=1
	s_or_b32 exec_lo, exec_lo, s43
	v_lshlrev_b32_e32 v3, 8, v3
	v_lshl_add_u32 v12, v12, 10, 0x2000
	v_lshlrev_b32_e32 v11, 23, v11
	v_and_or_b32 v3, 0x8000, v3, v12
	v_lshl_or_b32 v51, v3, 16, v11
.LBB317_201:                            ;   in Loop: Header=BB317_11 Depth=1
	s_or_b32 exec_lo, exec_lo, s42
.LBB317_202:                            ;   in Loop: Header=BB317_11 Depth=1
	s_or_b32 exec_lo, exec_lo, s41
.LBB317_203:                            ;   in Loop: Header=BB317_11 Depth=1
	s_or_b32 exec_lo, exec_lo, s2
	global_load_dwordx2 v[11:12], v[9:10], off offset:520
	s_waitcnt vmcnt(0)
	v_cmp_ne_u16_sdwa s1, v11, v4 src0_sel:BYTE_0 src1_sel:DWORD
	s_and_saveexec_b32 s2, s1
	s_cbranch_execz .LBB317_211
; %bb.204:                              ;   in Loop: Header=BB317_11 Depth=1
	v_cmp_ne_u16_sdwa s1, v11, v17 src0_sel:BYTE_0 src1_sel:DWORD
	v_mov_b32_e32 v46, 0x8000
	s_and_saveexec_b32 s41, s1
	s_cbranch_execz .LBB317_210
; %bb.205:                              ;   in Loop: Header=BB317_11 Depth=1
	v_and_b32_e32 v49, 0x7f, v11
	v_mov_b32_e32 v46, 0x7c01
	s_mov_b32 s42, exec_lo
	v_cmpx_ne_u32_e32 0x7f, v49
	s_cbranch_execz .LBB317_209
; %bb.206:                              ;   in Loop: Header=BB317_11 Depth=1
	v_and_b32_e32 v3, 7, v11
	v_lshrrev_b32_e32 v46, 3, v49
	s_mov_b32 s43, exec_lo
	v_cmpx_gt_u32_e32 8, v49
; %bb.207:                              ;   in Loop: Header=BB317_11 Depth=1
	v_ffbh_u32_e32 v3, v3
	v_min_u32_e32 v3, 32, v3
	v_subrev_nc_u32_e32 v46, 28, v3
	v_lshlrev_b64 v[49:50], v46, v[11:12]
	v_sub_nc_u32_e32 v46, 29, v3
	v_and_b32_e32 v3, 7, v49
; %bb.208:                              ;   in Loop: Header=BB317_11 Depth=1
	s_or_b32 exec_lo, exec_lo, s43
	v_lshlrev_b32_e32 v49, 8, v11
	v_lshl_add_u32 v46, v46, 10, 0x2000
	v_lshlrev_b32_e32 v3, 7, v3
	v_and_b32_e32 v49, 0x8000, v49
	v_and_b32_e32 v46, 0xfc00, v46
	v_or3_b32 v46, v49, v46, v3
.LBB317_209:                            ;   in Loop: Header=BB317_11 Depth=1
	s_or_b32 exec_lo, exec_lo, s42
.LBB317_210:                            ;   in Loop: Header=BB317_11 Depth=1
	s_or_b32 exec_lo, exec_lo, s41
.LBB317_211:                            ;   in Loop: Header=BB317_11 Depth=1
	s_or_b32 exec_lo, exec_lo, s2
	v_lshrrev_b16 v3, 8, v11
	v_mov_b32_e32 v50, 0
	v_mov_b32_e32 v49, 0
	s_mov_b32 s2, exec_lo
	v_cmpx_ne_u16_e32 0, v3
	s_cbranch_execz .LBB317_219
; %bb.212:                              ;   in Loop: Header=BB317_11 Depth=1
	v_bfrev_b32_e32 v49, 1
	s_mov_b32 s41, exec_lo
	v_cmpx_ne_u16_e32 0x80, v3
	s_cbranch_execz .LBB317_218
; %bb.213:                              ;   in Loop: Header=BB317_11 Depth=1
	v_and_b32_sdwa v53, v3, v20 dst_sel:DWORD dst_unused:UNUSED_PAD src0_sel:WORD_0 src1_sel:DWORD
	v_mov_b32_e32 v49, 0x7c010000
	s_mov_b32 s42, exec_lo
	v_cmpx_ne_u32_e32 0x7f, v53
	s_cbranch_execz .LBB317_217
; %bb.214:                              ;   in Loop: Header=BB317_11 Depth=1
	v_and_b32_sdwa v49, v3, v21 dst_sel:DWORD dst_unused:UNUSED_PAD src0_sel:WORD_0 src1_sel:DWORD
	v_lshrrev_b32_e32 v52, 3, v53
	s_mov_b32 s43, exec_lo
	v_cmpx_gt_u32_e32 8, v53
; %bb.215:                              ;   in Loop: Header=BB317_11 Depth=1
	v_ffbh_u32_e32 v49, v49
	v_min_u32_e32 v49, 32, v49
	v_subrev_nc_u32_e32 v52, 28, v49
	v_lshlrev_b64 v[53:54], v52, v[3:4]
	v_sub_nc_u32_e32 v52, 29, v49
	v_and_b32_e32 v49, 7, v53
; %bb.216:                              ;   in Loop: Header=BB317_11 Depth=1
	s_or_b32 exec_lo, exec_lo, s43
	v_lshlrev_b32_sdwa v3, v22, v3 dst_sel:DWORD dst_unused:UNUSED_PAD src0_sel:DWORD src1_sel:WORD_0
	v_lshl_add_u32 v52, v52, 10, 0x2000
	v_lshlrev_b32_e32 v49, 23, v49
	v_and_or_b32 v3, 0x8000, v3, v52
	v_lshl_or_b32 v49, v3, 16, v49
.LBB317_217:                            ;   in Loop: Header=BB317_11 Depth=1
	s_or_b32 exec_lo, exec_lo, s42
.LBB317_218:                            ;   in Loop: Header=BB317_11 Depth=1
	s_or_b32 exec_lo, exec_lo, s41
.LBB317_219:                            ;   in Loop: Header=BB317_11 Depth=1
	s_or_b32 exec_lo, exec_lo, s2
	v_lshrrev_b32_e32 v3, 16, v11
	v_cmp_ne_u16_sdwa s1, v3, v4 src0_sel:BYTE_0 src1_sel:DWORD
	s_and_saveexec_b32 s2, s1
	s_cbranch_execz .LBB317_227
; %bb.220:                              ;   in Loop: Header=BB317_11 Depth=1
	v_cmp_ne_u16_sdwa s1, v3, v17 src0_sel:BYTE_0 src1_sel:DWORD
	v_mov_b32_e32 v50, 0x8000
	s_and_saveexec_b32 s41, s1
	s_cbranch_execz .LBB317_226
; %bb.221:                              ;   in Loop: Header=BB317_11 Depth=1
	v_bfe_u32 v53, v11, 16, 7
	v_mov_b32_e32 v50, 0x7c01
	s_mov_b32 s42, exec_lo
	v_cmpx_ne_u32_e32 0x7f, v53
	s_cbranch_execz .LBB317_225
; %bb.222:                              ;   in Loop: Header=BB317_11 Depth=1
	v_and_b32_e32 v50, 7, v3
	v_lshrrev_b32_e32 v52, 3, v53
	s_mov_b32 s43, exec_lo
	v_cmpx_gt_u32_e32 8, v53
; %bb.223:                              ;   in Loop: Header=BB317_11 Depth=1
	v_ffbh_u32_e32 v50, v50
	v_min_u32_e32 v50, 32, v50
	v_subrev_nc_u32_e32 v52, 28, v50
	v_lshlrev_b64 v[53:54], v52, v[3:4]
	v_sub_nc_u32_e32 v52, 29, v50
	v_and_b32_e32 v50, 7, v53
; %bb.224:                              ;   in Loop: Header=BB317_11 Depth=1
	s_or_b32 exec_lo, exec_lo, s43
	v_lshlrev_b32_e32 v3, 8, v3
	v_lshl_add_u32 v52, v52, 10, 0x2000
	v_lshlrev_b32_e32 v50, 7, v50
	v_and_b32_e32 v3, 0x8000, v3
	v_and_b32_e32 v52, 0xfc00, v52
	v_or3_b32 v50, v3, v52, v50
.LBB317_225:                            ;   in Loop: Header=BB317_11 Depth=1
	s_or_b32 exec_lo, exec_lo, s42
.LBB317_226:                            ;   in Loop: Header=BB317_11 Depth=1
	s_or_b32 exec_lo, exec_lo, s41
.LBB317_227:                            ;   in Loop: Header=BB317_11 Depth=1
	s_or_b32 exec_lo, exec_lo, s2
	v_mov_b32_e32 v52, 0
	v_mov_b32_e32 v53, 0
	s_mov_b32 s2, exec_lo
	v_cmpx_lt_u32_e32 0xffffff, v11
	s_cbranch_execz .LBB317_235
; %bb.228:                              ;   in Loop: Header=BB317_11 Depth=1
	v_lshrrev_b32_e32 v3, 24, v11
	v_bfrev_b32_e32 v53, 1
	s_mov_b32 s41, exec_lo
	v_cmpx_ne_u32_e32 0x80, v3
	s_cbranch_execz .LBB317_234
; %bb.229:                              ;   in Loop: Header=BB317_11 Depth=1
	v_and_b32_e32 v55, 0x7f, v3
	v_mov_b32_e32 v53, 0x7c010000
	s_mov_b32 s42, exec_lo
	v_cmpx_ne_u32_e32 0x7f, v55
	s_cbranch_execz .LBB317_233
; %bb.230:                              ;   in Loop: Header=BB317_11 Depth=1
	v_and_b32_e32 v53, 7, v3
	v_lshrrev_b32_e32 v54, 3, v55
	s_mov_b32 s43, exec_lo
	v_cmpx_gt_u32_e32 8, v55
; %bb.231:                              ;   in Loop: Header=BB317_11 Depth=1
	v_ffbh_u32_e32 v53, v53
	v_min_u32_e32 v55, 32, v53
	v_subrev_nc_u32_e32 v53, 28, v55
	v_lshlrev_b64 v[53:54], v53, v[3:4]
	v_sub_nc_u32_e32 v54, 29, v55
	v_and_b32_e32 v53, 7, v53
; %bb.232:                              ;   in Loop: Header=BB317_11 Depth=1
	s_or_b32 exec_lo, exec_lo, s43
	v_lshlrev_b32_e32 v3, 8, v3
	v_lshl_add_u32 v54, v54, 10, 0x2000
	v_lshlrev_b32_e32 v53, 23, v53
	v_and_or_b32 v3, 0x8000, v3, v54
	v_lshl_or_b32 v53, v3, 16, v53
.LBB317_233:                            ;   in Loop: Header=BB317_11 Depth=1
	s_or_b32 exec_lo, exec_lo, s42
.LBB317_234:                            ;   in Loop: Header=BB317_11 Depth=1
	s_or_b32 exec_lo, exec_lo, s41
.LBB317_235:                            ;   in Loop: Header=BB317_11 Depth=1
	s_or_b32 exec_lo, exec_lo, s2
	v_mov_b32_e32 v3, v12
	v_cmp_ne_u16_sdwa s1, v12, v4 src0_sel:BYTE_0 src1_sel:DWORD
	s_and_saveexec_b32 s2, s1
	s_cbranch_execz .LBB317_243
; %bb.236:                              ;   in Loop: Header=BB317_11 Depth=1
	v_cmp_ne_u16_sdwa s1, v12, v17 src0_sel:BYTE_0 src1_sel:DWORD
	v_mov_b32_e32 v52, 0x8000
	s_and_saveexec_b32 s41, s1
	s_cbranch_execz .LBB317_242
; %bb.237:                              ;   in Loop: Header=BB317_11 Depth=1
	v_and_b32_e32 v55, 0x7f, v12
	v_mov_b32_e32 v52, 0x7c01
	s_mov_b32 s42, exec_lo
	v_cmpx_ne_u32_e32 0x7f, v55
	s_cbranch_execz .LBB317_241
; %bb.238:                              ;   in Loop: Header=BB317_11 Depth=1
	v_and_b32_e32 v52, 7, v12
	v_lshrrev_b32_e32 v54, 3, v55
	s_mov_b32 s43, exec_lo
	v_cmpx_gt_u32_e32 8, v55
; %bb.239:                              ;   in Loop: Header=BB317_11 Depth=1
	v_ffbh_u32_e32 v52, v52
	v_min_u32_e32 v52, 32, v52
	v_subrev_nc_u32_e32 v54, 28, v52
	v_lshlrev_b64 v[55:56], v54, v[3:4]
	v_sub_nc_u32_e32 v54, 29, v52
	v_and_b32_e32 v52, 7, v55
; %bb.240:                              ;   in Loop: Header=BB317_11 Depth=1
	s_or_b32 exec_lo, exec_lo, s43
	v_lshlrev_b32_e32 v55, 8, v12
	v_lshl_add_u32 v54, v54, 10, 0x2000
	v_lshlrev_b32_e32 v52, 7, v52
	v_and_b32_e32 v55, 0x8000, v55
	v_and_b32_e32 v54, 0xfc00, v54
	v_or3_b32 v52, v55, v54, v52
.LBB317_241:                            ;   in Loop: Header=BB317_11 Depth=1
	s_or_b32 exec_lo, exec_lo, s42
.LBB317_242:                            ;   in Loop: Header=BB317_11 Depth=1
	s_or_b32 exec_lo, exec_lo, s41
.LBB317_243:                            ;   in Loop: Header=BB317_11 Depth=1
	s_or_b32 exec_lo, exec_lo, s2
	v_lshrrev_b16 v3, 8, v3
	v_mov_b32_e32 v56, 0
	v_mov_b32_e32 v55, 0
	s_mov_b32 s2, exec_lo
	v_cmpx_ne_u16_e32 0, v3
	s_cbranch_execz .LBB317_251
; %bb.244:                              ;   in Loop: Header=BB317_11 Depth=1
	v_bfrev_b32_e32 v55, 1
	s_mov_b32 s41, exec_lo
	v_cmpx_ne_u16_e32 0x80, v3
	s_cbranch_execz .LBB317_250
; %bb.245:                              ;   in Loop: Header=BB317_11 Depth=1
	v_and_b32_sdwa v57, v3, v20 dst_sel:DWORD dst_unused:UNUSED_PAD src0_sel:WORD_0 src1_sel:DWORD
	v_mov_b32_e32 v55, 0x7c010000
	s_mov_b32 s42, exec_lo
	v_cmpx_ne_u32_e32 0x7f, v57
	s_cbranch_execz .LBB317_249
; %bb.246:                              ;   in Loop: Header=BB317_11 Depth=1
	v_and_b32_sdwa v54, v3, v21 dst_sel:DWORD dst_unused:UNUSED_PAD src0_sel:WORD_0 src1_sel:DWORD
	v_lshrrev_b32_e32 v55, 3, v57
	s_mov_b32 s43, exec_lo
	v_cmpx_gt_u32_e32 8, v57
; %bb.247:                              ;   in Loop: Header=BB317_11 Depth=1
	v_ffbh_u32_e32 v54, v54
	v_min_u32_e32 v57, 32, v54
	v_subrev_nc_u32_e32 v54, 28, v57
	v_lshlrev_b64 v[54:55], v54, v[3:4]
	v_sub_nc_u32_e32 v55, 29, v57
	v_and_b32_e32 v54, 7, v54
; %bb.248:                              ;   in Loop: Header=BB317_11 Depth=1
	s_or_b32 exec_lo, exec_lo, s43
	v_lshlrev_b32_sdwa v3, v22, v3 dst_sel:DWORD dst_unused:UNUSED_PAD src0_sel:DWORD src1_sel:WORD_0
	v_lshl_add_u32 v55, v55, 10, 0x2000
	v_lshlrev_b32_e32 v54, 23, v54
	v_and_or_b32 v3, 0x8000, v3, v55
	v_lshl_or_b32 v55, v3, 16, v54
.LBB317_249:                            ;   in Loop: Header=BB317_11 Depth=1
	s_or_b32 exec_lo, exec_lo, s42
.LBB317_250:                            ;   in Loop: Header=BB317_11 Depth=1
	s_or_b32 exec_lo, exec_lo, s41
.LBB317_251:                            ;   in Loop: Header=BB317_11 Depth=1
	s_or_b32 exec_lo, exec_lo, s2
	v_lshrrev_b32_e32 v3, 16, v12
	v_cmp_ne_u16_sdwa s1, v3, v4 src0_sel:BYTE_0 src1_sel:DWORD
	s_and_saveexec_b32 s2, s1
	s_cbranch_execz .LBB317_259
; %bb.252:                              ;   in Loop: Header=BB317_11 Depth=1
	v_cmp_ne_u16_sdwa s1, v3, v17 src0_sel:BYTE_0 src1_sel:DWORD
	v_mov_b32_e32 v56, 0x8000
	s_and_saveexec_b32 s41, s1
	s_cbranch_execz .LBB317_258
; %bb.253:                              ;   in Loop: Header=BB317_11 Depth=1
	v_bfe_u32 v57, v12, 16, 7
	v_mov_b32_e32 v56, 0x7c01
	s_mov_b32 s42, exec_lo
	v_cmpx_ne_u32_e32 0x7f, v57
	s_cbranch_execz .LBB317_257
; %bb.254:                              ;   in Loop: Header=BB317_11 Depth=1
	v_and_b32_e32 v54, 7, v3
	v_lshrrev_b32_e32 v56, 3, v57
	s_mov_b32 s43, exec_lo
	v_cmpx_gt_u32_e32 8, v57
; %bb.255:                              ;   in Loop: Header=BB317_11 Depth=1
	v_ffbh_u32_e32 v54, v54
	v_min_u32_e32 v54, 32, v54
	v_subrev_nc_u32_e32 v56, 28, v54
	v_lshlrev_b64 v[57:58], v56, v[3:4]
	v_sub_nc_u32_e32 v56, 29, v54
	v_and_b32_e32 v54, 7, v57
; %bb.256:                              ;   in Loop: Header=BB317_11 Depth=1
	s_or_b32 exec_lo, exec_lo, s43
	v_lshlrev_b32_e32 v3, 8, v3
	v_lshl_add_u32 v56, v56, 10, 0x2000
	v_lshlrev_b32_e32 v54, 7, v54
	v_and_b32_e32 v3, 0x8000, v3
	v_and_b32_e32 v56, 0xfc00, v56
	v_or3_b32 v56, v3, v56, v54
.LBB317_257:                            ;   in Loop: Header=BB317_11 Depth=1
	s_or_b32 exec_lo, exec_lo, s42
.LBB317_258:                            ;   in Loop: Header=BB317_11 Depth=1
	s_or_b32 exec_lo, exec_lo, s41
.LBB317_259:                            ;   in Loop: Header=BB317_11 Depth=1
	s_or_b32 exec_lo, exec_lo, s2
	v_mov_b32_e32 v54, 0
	v_mov_b32_e32 v59, 0
	s_mov_b32 s2, exec_lo
	v_cmpx_lt_u64_e64 s[4:5], v[11:12]
	s_cbranch_execz .LBB317_267
; %bb.260:                              ;   in Loop: Header=BB317_11 Depth=1
	v_lshrrev_b32_e32 v3, 24, v12
	v_bfrev_b32_e32 v59, 1
	s_mov_b32 s41, exec_lo
	v_cmpx_ne_u32_e32 0x80, v3
	s_cbranch_execz .LBB317_266
; %bb.261:                              ;   in Loop: Header=BB317_11 Depth=1
	v_and_b32_e32 v57, 0x7f, v3
	v_mov_b32_e32 v59, 0x7c010000
	s_mov_b32 s42, exec_lo
	v_cmpx_ne_u32_e32 0x7f, v57
	s_cbranch_execz .LBB317_265
; %bb.262:                              ;   in Loop: Header=BB317_11 Depth=1
	v_and_b32_e32 v11, 7, v3
	v_lshrrev_b32_e32 v12, 3, v57
	s_mov_b32 s43, exec_lo
	v_cmpx_gt_u32_e32 8, v57
; %bb.263:                              ;   in Loop: Header=BB317_11 Depth=1
	v_ffbh_u32_e32 v11, v11
	v_min_u32_e32 v57, 32, v11
	v_subrev_nc_u32_e32 v11, 28, v57
	v_lshlrev_b64 v[11:12], v11, v[3:4]
	v_sub_nc_u32_e32 v12, 29, v57
	v_and_b32_e32 v11, 7, v11
; %bb.264:                              ;   in Loop: Header=BB317_11 Depth=1
	s_or_b32 exec_lo, exec_lo, s43
	v_lshlrev_b32_e32 v3, 8, v3
	v_lshl_add_u32 v12, v12, 10, 0x2000
	v_lshlrev_b32_e32 v11, 23, v11
	v_and_or_b32 v3, 0x8000, v3, v12
	v_lshl_or_b32 v59, v3, 16, v11
.LBB317_265:                            ;   in Loop: Header=BB317_11 Depth=1
	s_or_b32 exec_lo, exec_lo, s42
.LBB317_266:                            ;   in Loop: Header=BB317_11 Depth=1
	s_or_b32 exec_lo, exec_lo, s41
.LBB317_267:                            ;   in Loop: Header=BB317_11 Depth=1
	s_or_b32 exec_lo, exec_lo, s2
	global_load_dwordx2 v[11:12], v[9:10], off offset:1024
	s_waitcnt vmcnt(0)
	v_cmp_ne_u16_sdwa s1, v11, v4 src0_sel:BYTE_0 src1_sel:DWORD
	s_and_saveexec_b32 s2, s1
	s_cbranch_execz .LBB317_275
; %bb.268:                              ;   in Loop: Header=BB317_11 Depth=1
	v_cmp_ne_u16_sdwa s1, v11, v17 src0_sel:BYTE_0 src1_sel:DWORD
	v_mov_b32_e32 v54, 0x8000
	s_and_saveexec_b32 s41, s1
	s_cbranch_execz .LBB317_274
; %bb.269:                              ;   in Loop: Header=BB317_11 Depth=1
	v_and_b32_e32 v57, 0x7f, v11
	v_mov_b32_e32 v54, 0x7c01
	s_mov_b32 s42, exec_lo
	v_cmpx_ne_u32_e32 0x7f, v57
	s_cbranch_execz .LBB317_273
; %bb.270:                              ;   in Loop: Header=BB317_11 Depth=1
	v_and_b32_e32 v3, 7, v11
	v_lshrrev_b32_e32 v54, 3, v57
	s_mov_b32 s43, exec_lo
	v_cmpx_gt_u32_e32 8, v57
; %bb.271:                              ;   in Loop: Header=BB317_11 Depth=1
	v_ffbh_u32_e32 v3, v3
	v_min_u32_e32 v3, 32, v3
	v_subrev_nc_u32_e32 v54, 28, v3
	v_lshlrev_b64 v[57:58], v54, v[11:12]
	v_sub_nc_u32_e32 v54, 29, v3
	v_and_b32_e32 v3, 7, v57
; %bb.272:                              ;   in Loop: Header=BB317_11 Depth=1
	s_or_b32 exec_lo, exec_lo, s43
	v_lshlrev_b32_e32 v57, 8, v11
	v_lshl_add_u32 v54, v54, 10, 0x2000
	v_lshlrev_b32_e32 v3, 7, v3
	v_and_b32_e32 v57, 0x8000, v57
	v_and_b32_e32 v54, 0xfc00, v54
	v_or3_b32 v54, v57, v54, v3
.LBB317_273:                            ;   in Loop: Header=BB317_11 Depth=1
	s_or_b32 exec_lo, exec_lo, s42
.LBB317_274:                            ;   in Loop: Header=BB317_11 Depth=1
	s_or_b32 exec_lo, exec_lo, s41
.LBB317_275:                            ;   in Loop: Header=BB317_11 Depth=1
	s_or_b32 exec_lo, exec_lo, s2
	v_lshrrev_b16 v3, 8, v11
	v_mov_b32_e32 v58, 0
	v_mov_b32_e32 v57, 0
	s_mov_b32 s2, exec_lo
	v_cmpx_ne_u16_e32 0, v3
	s_cbranch_execz .LBB317_283
; %bb.276:                              ;   in Loop: Header=BB317_11 Depth=1
	v_bfrev_b32_e32 v57, 1
	s_mov_b32 s41, exec_lo
	v_cmpx_ne_u16_e32 0x80, v3
	s_cbranch_execz .LBB317_282
; %bb.277:                              ;   in Loop: Header=BB317_11 Depth=1
	v_and_b32_sdwa v61, v3, v20 dst_sel:DWORD dst_unused:UNUSED_PAD src0_sel:WORD_0 src1_sel:DWORD
	v_mov_b32_e32 v57, 0x7c010000
	s_mov_b32 s42, exec_lo
	v_cmpx_ne_u32_e32 0x7f, v61
	s_cbranch_execz .LBB317_281
; %bb.278:                              ;   in Loop: Header=BB317_11 Depth=1
	v_and_b32_sdwa v57, v3, v21 dst_sel:DWORD dst_unused:UNUSED_PAD src0_sel:WORD_0 src1_sel:DWORD
	v_lshrrev_b32_e32 v60, 3, v61
	s_mov_b32 s43, exec_lo
	v_cmpx_gt_u32_e32 8, v61
; %bb.279:                              ;   in Loop: Header=BB317_11 Depth=1
	v_ffbh_u32_e32 v57, v57
	v_min_u32_e32 v57, 32, v57
	v_subrev_nc_u32_e32 v60, 28, v57
	v_lshlrev_b64 v[61:62], v60, v[3:4]
	v_sub_nc_u32_e32 v60, 29, v57
	v_and_b32_e32 v57, 7, v61
; %bb.280:                              ;   in Loop: Header=BB317_11 Depth=1
	s_or_b32 exec_lo, exec_lo, s43
	v_lshlrev_b32_sdwa v3, v22, v3 dst_sel:DWORD dst_unused:UNUSED_PAD src0_sel:DWORD src1_sel:WORD_0
	v_lshl_add_u32 v60, v60, 10, 0x2000
	v_lshlrev_b32_e32 v57, 23, v57
	v_and_or_b32 v3, 0x8000, v3, v60
	v_lshl_or_b32 v57, v3, 16, v57
.LBB317_281:                            ;   in Loop: Header=BB317_11 Depth=1
	s_or_b32 exec_lo, exec_lo, s42
.LBB317_282:                            ;   in Loop: Header=BB317_11 Depth=1
	s_or_b32 exec_lo, exec_lo, s41
.LBB317_283:                            ;   in Loop: Header=BB317_11 Depth=1
	s_or_b32 exec_lo, exec_lo, s2
	v_lshrrev_b32_e32 v3, 16, v11
	v_cmp_ne_u16_sdwa s1, v3, v4 src0_sel:BYTE_0 src1_sel:DWORD
	s_and_saveexec_b32 s2, s1
	s_cbranch_execz .LBB317_291
; %bb.284:                              ;   in Loop: Header=BB317_11 Depth=1
	v_cmp_ne_u16_sdwa s1, v3, v17 src0_sel:BYTE_0 src1_sel:DWORD
	v_mov_b32_e32 v58, 0x8000
	s_and_saveexec_b32 s41, s1
	s_cbranch_execz .LBB317_290
; %bb.285:                              ;   in Loop: Header=BB317_11 Depth=1
	v_bfe_u32 v61, v11, 16, 7
	v_mov_b32_e32 v58, 0x7c01
	s_mov_b32 s42, exec_lo
	v_cmpx_ne_u32_e32 0x7f, v61
	s_cbranch_execz .LBB317_289
; %bb.286:                              ;   in Loop: Header=BB317_11 Depth=1
	v_and_b32_e32 v58, 7, v3
	v_lshrrev_b32_e32 v60, 3, v61
	s_mov_b32 s43, exec_lo
	v_cmpx_gt_u32_e32 8, v61
; %bb.287:                              ;   in Loop: Header=BB317_11 Depth=1
	v_ffbh_u32_e32 v58, v58
	v_min_u32_e32 v58, 32, v58
	v_subrev_nc_u32_e32 v60, 28, v58
	v_lshlrev_b64 v[61:62], v60, v[3:4]
	v_sub_nc_u32_e32 v60, 29, v58
	v_and_b32_e32 v58, 7, v61
; %bb.288:                              ;   in Loop: Header=BB317_11 Depth=1
	s_or_b32 exec_lo, exec_lo, s43
	v_lshlrev_b32_e32 v3, 8, v3
	v_lshl_add_u32 v60, v60, 10, 0x2000
	v_lshlrev_b32_e32 v58, 7, v58
	v_and_b32_e32 v3, 0x8000, v3
	v_and_b32_e32 v60, 0xfc00, v60
	v_or3_b32 v58, v3, v60, v58
.LBB317_289:                            ;   in Loop: Header=BB317_11 Depth=1
	s_or_b32 exec_lo, exec_lo, s42
.LBB317_290:                            ;   in Loop: Header=BB317_11 Depth=1
	s_or_b32 exec_lo, exec_lo, s41
.LBB317_291:                            ;   in Loop: Header=BB317_11 Depth=1
	s_or_b32 exec_lo, exec_lo, s2
	v_mov_b32_e32 v60, 0
	v_mov_b32_e32 v61, 0
	s_mov_b32 s2, exec_lo
	v_cmpx_lt_u32_e32 0xffffff, v11
	s_cbranch_execz .LBB317_299
; %bb.292:                              ;   in Loop: Header=BB317_11 Depth=1
	v_lshrrev_b32_e32 v3, 24, v11
	v_bfrev_b32_e32 v61, 1
	s_mov_b32 s41, exec_lo
	v_cmpx_ne_u32_e32 0x80, v3
	s_cbranch_execz .LBB317_298
; %bb.293:                              ;   in Loop: Header=BB317_11 Depth=1
	v_and_b32_e32 v63, 0x7f, v3
	v_mov_b32_e32 v61, 0x7c010000
	s_mov_b32 s42, exec_lo
	v_cmpx_ne_u32_e32 0x7f, v63
	s_cbranch_execz .LBB317_297
; %bb.294:                              ;   in Loop: Header=BB317_11 Depth=1
	v_and_b32_e32 v61, 7, v3
	v_lshrrev_b32_e32 v62, 3, v63
	s_mov_b32 s43, exec_lo
	v_cmpx_gt_u32_e32 8, v63
; %bb.295:                              ;   in Loop: Header=BB317_11 Depth=1
	v_ffbh_u32_e32 v61, v61
	v_min_u32_e32 v63, 32, v61
	v_subrev_nc_u32_e32 v61, 28, v63
	v_lshlrev_b64 v[61:62], v61, v[3:4]
	v_sub_nc_u32_e32 v62, 29, v63
	v_and_b32_e32 v61, 7, v61
; %bb.296:                              ;   in Loop: Header=BB317_11 Depth=1
	s_or_b32 exec_lo, exec_lo, s43
	v_lshlrev_b32_e32 v3, 8, v3
	v_lshl_add_u32 v62, v62, 10, 0x2000
	v_lshlrev_b32_e32 v61, 23, v61
	v_and_or_b32 v3, 0x8000, v3, v62
	v_lshl_or_b32 v61, v3, 16, v61
.LBB317_297:                            ;   in Loop: Header=BB317_11 Depth=1
	s_or_b32 exec_lo, exec_lo, s42
.LBB317_298:                            ;   in Loop: Header=BB317_11 Depth=1
	s_or_b32 exec_lo, exec_lo, s41
.LBB317_299:                            ;   in Loop: Header=BB317_11 Depth=1
	s_or_b32 exec_lo, exec_lo, s2
	v_mov_b32_e32 v3, v12
	v_cmp_ne_u16_sdwa s1, v12, v4 src0_sel:BYTE_0 src1_sel:DWORD
	s_and_saveexec_b32 s2, s1
	s_cbranch_execz .LBB317_307
; %bb.300:                              ;   in Loop: Header=BB317_11 Depth=1
	v_cmp_ne_u16_sdwa s1, v12, v17 src0_sel:BYTE_0 src1_sel:DWORD
	v_mov_b32_e32 v60, 0x8000
	s_and_saveexec_b32 s41, s1
	s_cbranch_execz .LBB317_306
; %bb.301:                              ;   in Loop: Header=BB317_11 Depth=1
	v_and_b32_e32 v63, 0x7f, v12
	v_mov_b32_e32 v60, 0x7c01
	s_mov_b32 s42, exec_lo
	v_cmpx_ne_u32_e32 0x7f, v63
	s_cbranch_execz .LBB317_305
; %bb.302:                              ;   in Loop: Header=BB317_11 Depth=1
	v_and_b32_e32 v60, 7, v12
	v_lshrrev_b32_e32 v62, 3, v63
	s_mov_b32 s43, exec_lo
	v_cmpx_gt_u32_e32 8, v63
; %bb.303:                              ;   in Loop: Header=BB317_11 Depth=1
	v_ffbh_u32_e32 v60, v60
	v_min_u32_e32 v60, 32, v60
	v_subrev_nc_u32_e32 v62, 28, v60
	v_lshlrev_b64 v[63:64], v62, v[3:4]
	v_sub_nc_u32_e32 v62, 29, v60
	v_and_b32_e32 v60, 7, v63
; %bb.304:                              ;   in Loop: Header=BB317_11 Depth=1
	s_or_b32 exec_lo, exec_lo, s43
	v_lshlrev_b32_e32 v63, 8, v12
	v_lshl_add_u32 v62, v62, 10, 0x2000
	v_lshlrev_b32_e32 v60, 7, v60
	v_and_b32_e32 v63, 0x8000, v63
	v_and_b32_e32 v62, 0xfc00, v62
	v_or3_b32 v60, v63, v62, v60
.LBB317_305:                            ;   in Loop: Header=BB317_11 Depth=1
	s_or_b32 exec_lo, exec_lo, s42
.LBB317_306:                            ;   in Loop: Header=BB317_11 Depth=1
	s_or_b32 exec_lo, exec_lo, s41
.LBB317_307:                            ;   in Loop: Header=BB317_11 Depth=1
	s_or_b32 exec_lo, exec_lo, s2
	v_lshrrev_b16 v3, 8, v3
	v_mov_b32_e32 v64, 0
	v_mov_b32_e32 v63, 0
	s_mov_b32 s2, exec_lo
	v_cmpx_ne_u16_e32 0, v3
	s_cbranch_execz .LBB317_315
; %bb.308:                              ;   in Loop: Header=BB317_11 Depth=1
	v_bfrev_b32_e32 v63, 1
	s_mov_b32 s41, exec_lo
	v_cmpx_ne_u16_e32 0x80, v3
	s_cbranch_execz .LBB317_314
; %bb.309:                              ;   in Loop: Header=BB317_11 Depth=1
	v_and_b32_sdwa v65, v3, v20 dst_sel:DWORD dst_unused:UNUSED_PAD src0_sel:WORD_0 src1_sel:DWORD
	v_mov_b32_e32 v63, 0x7c010000
	s_mov_b32 s42, exec_lo
	v_cmpx_ne_u32_e32 0x7f, v65
	s_cbranch_execz .LBB317_313
; %bb.310:                              ;   in Loop: Header=BB317_11 Depth=1
	v_and_b32_sdwa v62, v3, v21 dst_sel:DWORD dst_unused:UNUSED_PAD src0_sel:WORD_0 src1_sel:DWORD
	v_lshrrev_b32_e32 v63, 3, v65
	s_mov_b32 s43, exec_lo
	v_cmpx_gt_u32_e32 8, v65
; %bb.311:                              ;   in Loop: Header=BB317_11 Depth=1
	v_ffbh_u32_e32 v62, v62
	v_min_u32_e32 v65, 32, v62
	v_subrev_nc_u32_e32 v62, 28, v65
	v_lshlrev_b64 v[62:63], v62, v[3:4]
	v_sub_nc_u32_e32 v63, 29, v65
	v_and_b32_e32 v62, 7, v62
; %bb.312:                              ;   in Loop: Header=BB317_11 Depth=1
	s_or_b32 exec_lo, exec_lo, s43
	v_lshlrev_b32_sdwa v3, v22, v3 dst_sel:DWORD dst_unused:UNUSED_PAD src0_sel:DWORD src1_sel:WORD_0
	v_lshl_add_u32 v63, v63, 10, 0x2000
	v_lshlrev_b32_e32 v62, 23, v62
	v_and_or_b32 v3, 0x8000, v3, v63
	v_lshl_or_b32 v63, v3, 16, v62
.LBB317_313:                            ;   in Loop: Header=BB317_11 Depth=1
	s_or_b32 exec_lo, exec_lo, s42
.LBB317_314:                            ;   in Loop: Header=BB317_11 Depth=1
	s_or_b32 exec_lo, exec_lo, s41
.LBB317_315:                            ;   in Loop: Header=BB317_11 Depth=1
	s_or_b32 exec_lo, exec_lo, s2
	v_lshrrev_b32_e32 v3, 16, v12
	v_cmp_ne_u16_sdwa s1, v3, v4 src0_sel:BYTE_0 src1_sel:DWORD
	s_and_saveexec_b32 s2, s1
	s_cbranch_execz .LBB317_323
; %bb.316:                              ;   in Loop: Header=BB317_11 Depth=1
	v_cmp_ne_u16_sdwa s1, v3, v17 src0_sel:BYTE_0 src1_sel:DWORD
	v_mov_b32_e32 v64, 0x8000
	s_and_saveexec_b32 s41, s1
	s_cbranch_execz .LBB317_322
; %bb.317:                              ;   in Loop: Header=BB317_11 Depth=1
	v_bfe_u32 v65, v12, 16, 7
	v_mov_b32_e32 v64, 0x7c01
	s_mov_b32 s42, exec_lo
	v_cmpx_ne_u32_e32 0x7f, v65
	s_cbranch_execz .LBB317_321
; %bb.318:                              ;   in Loop: Header=BB317_11 Depth=1
	v_and_b32_e32 v62, 7, v3
	v_lshrrev_b32_e32 v64, 3, v65
	s_mov_b32 s43, exec_lo
	v_cmpx_gt_u32_e32 8, v65
; %bb.319:                              ;   in Loop: Header=BB317_11 Depth=1
	v_ffbh_u32_e32 v62, v62
	v_min_u32_e32 v62, 32, v62
	v_subrev_nc_u32_e32 v64, 28, v62
	v_lshlrev_b64 v[65:66], v64, v[3:4]
	v_sub_nc_u32_e32 v64, 29, v62
	v_and_b32_e32 v62, 7, v65
; %bb.320:                              ;   in Loop: Header=BB317_11 Depth=1
	s_or_b32 exec_lo, exec_lo, s43
	v_lshlrev_b32_e32 v3, 8, v3
	v_lshl_add_u32 v64, v64, 10, 0x2000
	v_lshlrev_b32_e32 v62, 7, v62
	v_and_b32_e32 v3, 0x8000, v3
	v_and_b32_e32 v64, 0xfc00, v64
	v_or3_b32 v64, v3, v64, v62
.LBB317_321:                            ;   in Loop: Header=BB317_11 Depth=1
	s_or_b32 exec_lo, exec_lo, s42
.LBB317_322:                            ;   in Loop: Header=BB317_11 Depth=1
	s_or_b32 exec_lo, exec_lo, s41
.LBB317_323:                            ;   in Loop: Header=BB317_11 Depth=1
	s_or_b32 exec_lo, exec_lo, s2
	v_mov_b32_e32 v62, 0
	v_mov_b32_e32 v66, 0
	s_mov_b32 s2, exec_lo
	v_cmpx_lt_u64_e64 s[4:5], v[11:12]
	s_cbranch_execz .LBB317_331
; %bb.324:                              ;   in Loop: Header=BB317_11 Depth=1
	v_lshrrev_b32_e32 v3, 24, v12
	v_bfrev_b32_e32 v66, 1
	s_mov_b32 s41, exec_lo
	v_cmpx_ne_u32_e32 0x80, v3
	s_cbranch_execz .LBB317_330
; %bb.325:                              ;   in Loop: Header=BB317_11 Depth=1
	v_and_b32_e32 v65, 0x7f, v3
	v_mov_b32_e32 v66, 0x7c010000
	s_mov_b32 s42, exec_lo
	v_cmpx_ne_u32_e32 0x7f, v65
	s_cbranch_execz .LBB317_329
; %bb.326:                              ;   in Loop: Header=BB317_11 Depth=1
	v_and_b32_e32 v11, 7, v3
	v_lshrrev_b32_e32 v12, 3, v65
	s_mov_b32 s43, exec_lo
	v_cmpx_gt_u32_e32 8, v65
; %bb.327:                              ;   in Loop: Header=BB317_11 Depth=1
	v_ffbh_u32_e32 v11, v11
	v_min_u32_e32 v65, 32, v11
	v_subrev_nc_u32_e32 v11, 28, v65
	v_lshlrev_b64 v[11:12], v11, v[3:4]
	v_sub_nc_u32_e32 v12, 29, v65
	v_and_b32_e32 v11, 7, v11
; %bb.328:                              ;   in Loop: Header=BB317_11 Depth=1
	s_or_b32 exec_lo, exec_lo, s43
	v_lshlrev_b32_e32 v3, 8, v3
	v_lshl_add_u32 v12, v12, 10, 0x2000
	v_lshlrev_b32_e32 v11, 23, v11
	v_and_or_b32 v3, 0x8000, v3, v12
	v_lshl_or_b32 v66, v3, 16, v11
.LBB317_329:                            ;   in Loop: Header=BB317_11 Depth=1
	s_or_b32 exec_lo, exec_lo, s42
.LBB317_330:                            ;   in Loop: Header=BB317_11 Depth=1
	s_or_b32 exec_lo, exec_lo, s41
.LBB317_331:                            ;   in Loop: Header=BB317_11 Depth=1
	s_or_b32 exec_lo, exec_lo, s2
	global_load_dwordx2 v[11:12], v[9:10], off offset:1032
	s_waitcnt vmcnt(0)
	v_cmp_ne_u16_sdwa s1, v11, v4 src0_sel:BYTE_0 src1_sel:DWORD
	s_and_saveexec_b32 s2, s1
	s_cbranch_execz .LBB317_339
; %bb.332:                              ;   in Loop: Header=BB317_11 Depth=1
	v_cmp_ne_u16_sdwa s1, v11, v17 src0_sel:BYTE_0 src1_sel:DWORD
	v_mov_b32_e32 v62, 0x8000
	s_and_saveexec_b32 s41, s1
	s_cbranch_execz .LBB317_338
; %bb.333:                              ;   in Loop: Header=BB317_11 Depth=1
	v_and_b32_e32 v65, 0x7f, v11
	v_mov_b32_e32 v62, 0x7c01
	s_mov_b32 s42, exec_lo
	v_cmpx_ne_u32_e32 0x7f, v65
	s_cbranch_execz .LBB317_337
; %bb.334:                              ;   in Loop: Header=BB317_11 Depth=1
	v_and_b32_e32 v3, 7, v11
	v_lshrrev_b32_e32 v62, 3, v65
	s_mov_b32 s43, exec_lo
	v_cmpx_gt_u32_e32 8, v65
; %bb.335:                              ;   in Loop: Header=BB317_11 Depth=1
	v_ffbh_u32_e32 v3, v3
	v_min_u32_e32 v3, 32, v3
	v_subrev_nc_u32_e32 v62, 28, v3
	v_lshlrev_b64 v[67:68], v62, v[11:12]
	v_sub_nc_u32_e32 v62, 29, v3
	v_and_b32_e32 v3, 7, v67
; %bb.336:                              ;   in Loop: Header=BB317_11 Depth=1
	s_or_b32 exec_lo, exec_lo, s43
	v_lshlrev_b32_e32 v65, 8, v11
	v_lshl_add_u32 v62, v62, 10, 0x2000
	v_lshlrev_b32_e32 v3, 7, v3
	v_and_b32_e32 v65, 0x8000, v65
	v_and_b32_e32 v62, 0xfc00, v62
	v_or3_b32 v62, v65, v62, v3
.LBB317_337:                            ;   in Loop: Header=BB317_11 Depth=1
	s_or_b32 exec_lo, exec_lo, s42
.LBB317_338:                            ;   in Loop: Header=BB317_11 Depth=1
	s_or_b32 exec_lo, exec_lo, s41
.LBB317_339:                            ;   in Loop: Header=BB317_11 Depth=1
	s_or_b32 exec_lo, exec_lo, s2
	v_lshrrev_b16 v3, 8, v11
	v_mov_b32_e32 v69, 0
	v_mov_b32_e32 v65, 0
	s_mov_b32 s2, exec_lo
	v_cmpx_ne_u16_e32 0, v3
	s_cbranch_execz .LBB317_347
; %bb.340:                              ;   in Loop: Header=BB317_11 Depth=1
	v_bfrev_b32_e32 v65, 1
	s_mov_b32 s41, exec_lo
	v_cmpx_ne_u16_e32 0x80, v3
	s_cbranch_execz .LBB317_346
; %bb.341:                              ;   in Loop: Header=BB317_11 Depth=1
	v_and_b32_sdwa v68, v3, v20 dst_sel:DWORD dst_unused:UNUSED_PAD src0_sel:WORD_0 src1_sel:DWORD
	v_mov_b32_e32 v65, 0x7c010000
	s_mov_b32 s42, exec_lo
	v_cmpx_ne_u32_e32 0x7f, v68
	s_cbranch_execz .LBB317_345
; %bb.342:                              ;   in Loop: Header=BB317_11 Depth=1
	v_and_b32_sdwa v65, v3, v21 dst_sel:DWORD dst_unused:UNUSED_PAD src0_sel:WORD_0 src1_sel:DWORD
	v_lshrrev_b32_e32 v67, 3, v68
	s_mov_b32 s43, exec_lo
	v_cmpx_gt_u32_e32 8, v68
; %bb.343:                              ;   in Loop: Header=BB317_11 Depth=1
	v_ffbh_u32_e32 v65, v65
	v_min_u32_e32 v65, 32, v65
	v_subrev_nc_u32_e32 v67, 28, v65
	v_lshlrev_b64 v[70:71], v67, v[3:4]
	v_sub_nc_u32_e32 v67, 29, v65
	v_and_b32_e32 v65, 7, v70
; %bb.344:                              ;   in Loop: Header=BB317_11 Depth=1
	s_or_b32 exec_lo, exec_lo, s43
	v_lshlrev_b32_sdwa v3, v22, v3 dst_sel:DWORD dst_unused:UNUSED_PAD src0_sel:DWORD src1_sel:WORD_0
	v_lshl_add_u32 v67, v67, 10, 0x2000
	v_lshlrev_b32_e32 v65, 23, v65
	v_and_or_b32 v3, 0x8000, v3, v67
	v_lshl_or_b32 v65, v3, 16, v65
.LBB317_345:                            ;   in Loop: Header=BB317_11 Depth=1
	s_or_b32 exec_lo, exec_lo, s42
.LBB317_346:                            ;   in Loop: Header=BB317_11 Depth=1
	s_or_b32 exec_lo, exec_lo, s41
.LBB317_347:                            ;   in Loop: Header=BB317_11 Depth=1
	s_or_b32 exec_lo, exec_lo, s2
	v_lshrrev_b32_e32 v3, 16, v11
	v_cmp_ne_u16_sdwa s1, v3, v4 src0_sel:BYTE_0 src1_sel:DWORD
	s_and_saveexec_b32 s2, s1
	s_cbranch_execz .LBB317_355
; %bb.348:                              ;   in Loop: Header=BB317_11 Depth=1
	v_cmp_ne_u16_sdwa s1, v3, v17 src0_sel:BYTE_0 src1_sel:DWORD
	v_mov_b32_e32 v69, 0x8000
	s_and_saveexec_b32 s41, s1
	s_cbranch_execz .LBB317_354
; %bb.349:                              ;   in Loop: Header=BB317_11 Depth=1
	v_bfe_u32 v70, v11, 16, 7
	v_mov_b32_e32 v69, 0x7c01
	s_mov_b32 s42, exec_lo
	v_cmpx_ne_u32_e32 0x7f, v70
	s_cbranch_execz .LBB317_353
; %bb.350:                              ;   in Loop: Header=BB317_11 Depth=1
	v_and_b32_e32 v67, 7, v3
	v_lshrrev_b32_e32 v68, 3, v70
	s_mov_b32 s43, exec_lo
	v_cmpx_gt_u32_e32 8, v70
; %bb.351:                              ;   in Loop: Header=BB317_11 Depth=1
	v_ffbh_u32_e32 v67, v67
	v_min_u32_e32 v69, 32, v67
	v_subrev_nc_u32_e32 v67, 28, v69
	v_lshlrev_b64 v[67:68], v67, v[3:4]
	v_sub_nc_u32_e32 v68, 29, v69
	v_and_b32_e32 v67, 7, v67
; %bb.352:                              ;   in Loop: Header=BB317_11 Depth=1
	s_or_b32 exec_lo, exec_lo, s43
	v_lshlrev_b32_e32 v3, 8, v3
	v_lshl_add_u32 v68, v68, 10, 0x2000
	v_lshlrev_b32_e32 v67, 7, v67
	v_and_b32_e32 v3, 0x8000, v3
	v_and_b32_e32 v68, 0xfc00, v68
	v_or3_b32 v69, v3, v68, v67
.LBB317_353:                            ;   in Loop: Header=BB317_11 Depth=1
	s_or_b32 exec_lo, exec_lo, s42
.LBB317_354:                            ;   in Loop: Header=BB317_11 Depth=1
	s_or_b32 exec_lo, exec_lo, s41
.LBB317_355:                            ;   in Loop: Header=BB317_11 Depth=1
	s_or_b32 exec_lo, exec_lo, s2
	v_mov_b32_e32 v67, 0
	v_mov_b32_e32 v68, 0
	s_mov_b32 s2, exec_lo
	v_cmpx_lt_u32_e32 0xffffff, v11
	s_cbranch_execz .LBB317_363
; %bb.356:                              ;   in Loop: Header=BB317_11 Depth=1
	v_lshrrev_b32_e32 v3, 24, v11
	v_bfrev_b32_e32 v68, 1
	s_mov_b32 s41, exec_lo
	v_cmpx_ne_u32_e32 0x80, v3
	s_cbranch_execz .LBB317_362
; %bb.357:                              ;   in Loop: Header=BB317_11 Depth=1
	v_and_b32_e32 v71, 0x7f, v3
	v_mov_b32_e32 v68, 0x7c010000
	s_mov_b32 s42, exec_lo
	v_cmpx_ne_u32_e32 0x7f, v71
	s_cbranch_execz .LBB317_361
; %bb.358:                              ;   in Loop: Header=BB317_11 Depth=1
	v_and_b32_e32 v68, 7, v3
	v_lshrrev_b32_e32 v70, 3, v71
	s_mov_b32 s43, exec_lo
	v_cmpx_gt_u32_e32 8, v71
; %bb.359:                              ;   in Loop: Header=BB317_11 Depth=1
	v_ffbh_u32_e32 v68, v68
	v_min_u32_e32 v68, 32, v68
	v_subrev_nc_u32_e32 v70, 28, v68
	v_lshlrev_b64 v[71:72], v70, v[3:4]
	v_sub_nc_u32_e32 v70, 29, v68
	v_and_b32_e32 v68, 7, v71
; %bb.360:                              ;   in Loop: Header=BB317_11 Depth=1
	s_or_b32 exec_lo, exec_lo, s43
	v_lshlrev_b32_e32 v3, 8, v3
	v_lshl_add_u32 v70, v70, 10, 0x2000
	v_lshlrev_b32_e32 v68, 23, v68
	v_and_or_b32 v3, 0x8000, v3, v70
	v_lshl_or_b32 v68, v3, 16, v68
.LBB317_361:                            ;   in Loop: Header=BB317_11 Depth=1
	s_or_b32 exec_lo, exec_lo, s42
.LBB317_362:                            ;   in Loop: Header=BB317_11 Depth=1
	s_or_b32 exec_lo, exec_lo, s41
.LBB317_363:                            ;   in Loop: Header=BB317_11 Depth=1
	s_or_b32 exec_lo, exec_lo, s2
	v_mov_b32_e32 v3, v12
	v_cmp_ne_u16_sdwa s1, v12, v4 src0_sel:BYTE_0 src1_sel:DWORD
	s_and_saveexec_b32 s2, s1
	s_cbranch_execz .LBB317_371
; %bb.364:                              ;   in Loop: Header=BB317_11 Depth=1
	v_cmp_ne_u16_sdwa s1, v12, v17 src0_sel:BYTE_0 src1_sel:DWORD
	v_mov_b32_e32 v67, 0x8000
	s_and_saveexec_b32 s41, s1
	s_cbranch_execz .LBB317_370
; %bb.365:                              ;   in Loop: Header=BB317_11 Depth=1
	v_and_b32_e32 v71, 0x7f, v12
	v_mov_b32_e32 v67, 0x7c01
	s_mov_b32 s42, exec_lo
	v_cmpx_ne_u32_e32 0x7f, v71
	s_cbranch_execz .LBB317_369
; %bb.366:                              ;   in Loop: Header=BB317_11 Depth=1
	v_and_b32_e32 v67, 7, v12
	v_lshrrev_b32_e32 v70, 3, v71
	s_mov_b32 s43, exec_lo
	v_cmpx_gt_u32_e32 8, v71
; %bb.367:                              ;   in Loop: Header=BB317_11 Depth=1
	v_ffbh_u32_e32 v67, v67
	v_min_u32_e32 v67, 32, v67
	v_subrev_nc_u32_e32 v70, 28, v67
	v_lshlrev_b64 v[71:72], v70, v[3:4]
	v_sub_nc_u32_e32 v70, 29, v67
	v_and_b32_e32 v67, 7, v71
; %bb.368:                              ;   in Loop: Header=BB317_11 Depth=1
	s_or_b32 exec_lo, exec_lo, s43
	v_lshlrev_b32_e32 v71, 8, v12
	v_lshl_add_u32 v70, v70, 10, 0x2000
	v_lshlrev_b32_e32 v67, 7, v67
	v_and_b32_e32 v71, 0x8000, v71
	v_and_b32_e32 v70, 0xfc00, v70
	v_or3_b32 v67, v71, v70, v67
.LBB317_369:                            ;   in Loop: Header=BB317_11 Depth=1
	s_or_b32 exec_lo, exec_lo, s42
.LBB317_370:                            ;   in Loop: Header=BB317_11 Depth=1
	s_or_b32 exec_lo, exec_lo, s41
.LBB317_371:                            ;   in Loop: Header=BB317_11 Depth=1
	s_or_b32 exec_lo, exec_lo, s2
	v_lshrrev_b16 v3, 8, v3
	v_mov_b32_e32 v71, 0
	v_mov_b32_e32 v70, 0
	s_mov_b32 s2, exec_lo
	v_cmpx_ne_u16_e32 0, v3
	s_cbranch_execz .LBB317_379
; %bb.372:                              ;   in Loop: Header=BB317_11 Depth=1
	v_bfrev_b32_e32 v70, 1
	s_mov_b32 s41, exec_lo
	v_cmpx_ne_u16_e32 0x80, v3
	s_cbranch_execz .LBB317_378
; %bb.373:                              ;   in Loop: Header=BB317_11 Depth=1
	v_and_b32_sdwa v73, v3, v20 dst_sel:DWORD dst_unused:UNUSED_PAD src0_sel:WORD_0 src1_sel:DWORD
	v_mov_b32_e32 v70, 0x7c010000
	s_mov_b32 s42, exec_lo
	v_cmpx_ne_u32_e32 0x7f, v73
	s_cbranch_execz .LBB317_377
; %bb.374:                              ;   in Loop: Header=BB317_11 Depth=1
	v_and_b32_sdwa v70, v3, v21 dst_sel:DWORD dst_unused:UNUSED_PAD src0_sel:WORD_0 src1_sel:DWORD
	v_lshrrev_b32_e32 v72, 3, v73
	s_mov_b32 s43, exec_lo
	v_cmpx_gt_u32_e32 8, v73
; %bb.375:                              ;   in Loop: Header=BB317_11 Depth=1
	v_ffbh_u32_e32 v70, v70
	v_min_u32_e32 v70, 32, v70
	v_subrev_nc_u32_e32 v72, 28, v70
	v_lshlrev_b64 v[73:74], v72, v[3:4]
	v_sub_nc_u32_e32 v72, 29, v70
	v_and_b32_e32 v70, 7, v73
; %bb.376:                              ;   in Loop: Header=BB317_11 Depth=1
	s_or_b32 exec_lo, exec_lo, s43
	v_lshlrev_b32_sdwa v3, v22, v3 dst_sel:DWORD dst_unused:UNUSED_PAD src0_sel:DWORD src1_sel:WORD_0
	v_lshl_add_u32 v72, v72, 10, 0x2000
	v_lshlrev_b32_e32 v70, 23, v70
	v_and_or_b32 v3, 0x8000, v3, v72
	v_lshl_or_b32 v70, v3, 16, v70
.LBB317_377:                            ;   in Loop: Header=BB317_11 Depth=1
	s_or_b32 exec_lo, exec_lo, s42
.LBB317_378:                            ;   in Loop: Header=BB317_11 Depth=1
	s_or_b32 exec_lo, exec_lo, s41
.LBB317_379:                            ;   in Loop: Header=BB317_11 Depth=1
	s_or_b32 exec_lo, exec_lo, s2
	v_lshrrev_b32_e32 v3, 16, v12
	v_cmp_ne_u16_sdwa s1, v3, v4 src0_sel:BYTE_0 src1_sel:DWORD
	s_and_saveexec_b32 s2, s1
	s_cbranch_execz .LBB317_387
; %bb.380:                              ;   in Loop: Header=BB317_11 Depth=1
	v_cmp_ne_u16_sdwa s1, v3, v17 src0_sel:BYTE_0 src1_sel:DWORD
	v_mov_b32_e32 v71, 0x8000
	s_and_saveexec_b32 s41, s1
	s_cbranch_execz .LBB317_386
; %bb.381:                              ;   in Loop: Header=BB317_11 Depth=1
	v_bfe_u32 v73, v12, 16, 7
	v_mov_b32_e32 v71, 0x7c01
	s_mov_b32 s42, exec_lo
	v_cmpx_ne_u32_e32 0x7f, v73
	s_cbranch_execz .LBB317_385
; %bb.382:                              ;   in Loop: Header=BB317_11 Depth=1
	v_and_b32_e32 v71, 7, v3
	v_lshrrev_b32_e32 v72, 3, v73
	s_mov_b32 s43, exec_lo
	v_cmpx_gt_u32_e32 8, v73
; %bb.383:                              ;   in Loop: Header=BB317_11 Depth=1
	v_ffbh_u32_e32 v71, v71
	v_min_u32_e32 v73, 32, v71
	v_subrev_nc_u32_e32 v71, 28, v73
	v_lshlrev_b64 v[71:72], v71, v[3:4]
	v_sub_nc_u32_e32 v72, 29, v73
	v_and_b32_e32 v71, 7, v71
; %bb.384:                              ;   in Loop: Header=BB317_11 Depth=1
	s_or_b32 exec_lo, exec_lo, s43
	v_lshlrev_b32_e32 v3, 8, v3
	v_lshl_add_u32 v72, v72, 10, 0x2000
	v_lshlrev_b32_e32 v71, 7, v71
	v_and_b32_e32 v3, 0x8000, v3
	v_and_b32_e32 v72, 0xfc00, v72
	v_or3_b32 v71, v3, v72, v71
.LBB317_385:                            ;   in Loop: Header=BB317_11 Depth=1
	s_or_b32 exec_lo, exec_lo, s42
.LBB317_386:                            ;   in Loop: Header=BB317_11 Depth=1
	s_or_b32 exec_lo, exec_lo, s41
.LBB317_387:                            ;   in Loop: Header=BB317_11 Depth=1
	s_or_b32 exec_lo, exec_lo, s2
	v_mov_b32_e32 v76, 0
	v_mov_b32_e32 v72, 0
	s_mov_b32 s2, exec_lo
	v_cmpx_lt_u64_e64 s[4:5], v[11:12]
	s_cbranch_execz .LBB317_395
; %bb.388:                              ;   in Loop: Header=BB317_11 Depth=1
	v_lshrrev_b32_e32 v3, 24, v12
	v_bfrev_b32_e32 v72, 1
	s_mov_b32 s41, exec_lo
	v_cmpx_ne_u32_e32 0x80, v3
	s_cbranch_execz .LBB317_394
; %bb.389:                              ;   in Loop: Header=BB317_11 Depth=1
	v_and_b32_e32 v73, 0x7f, v3
	v_mov_b32_e32 v72, 0x7c010000
	s_mov_b32 s42, exec_lo
	v_cmpx_ne_u32_e32 0x7f, v73
	s_cbranch_execz .LBB317_393
; %bb.390:                              ;   in Loop: Header=BB317_11 Depth=1
	v_and_b32_e32 v11, 7, v3
	v_lshrrev_b32_e32 v12, 3, v73
	s_mov_b32 s43, exec_lo
	v_cmpx_gt_u32_e32 8, v73
; %bb.391:                              ;   in Loop: Header=BB317_11 Depth=1
	v_ffbh_u32_e32 v11, v11
	v_min_u32_e32 v72, 32, v11
	v_subrev_nc_u32_e32 v11, 28, v72
	v_lshlrev_b64 v[11:12], v11, v[3:4]
	v_sub_nc_u32_e32 v12, 29, v72
	v_and_b32_e32 v11, 7, v11
; %bb.392:                              ;   in Loop: Header=BB317_11 Depth=1
	s_or_b32 exec_lo, exec_lo, s43
	v_lshlrev_b32_e32 v3, 8, v3
	v_lshl_add_u32 v12, v12, 10, 0x2000
	v_lshlrev_b32_e32 v11, 23, v11
	v_and_or_b32 v3, 0x8000, v3, v12
	v_lshl_or_b32 v72, v3, 16, v11
.LBB317_393:                            ;   in Loop: Header=BB317_11 Depth=1
	s_or_b32 exec_lo, exec_lo, s42
.LBB317_394:                            ;   in Loop: Header=BB317_11 Depth=1
	s_or_b32 exec_lo, exec_lo, s41
.LBB317_395:                            ;   in Loop: Header=BB317_11 Depth=1
	s_or_b32 exec_lo, exec_lo, s2
	global_load_dwordx2 v[11:12], v[9:10], off offset:1536
	s_waitcnt vmcnt(0)
	v_cmp_ne_u16_sdwa s1, v11, v4 src0_sel:BYTE_0 src1_sel:DWORD
	s_and_saveexec_b32 s2, s1
	s_cbranch_execz .LBB317_403
; %bb.396:                              ;   in Loop: Header=BB317_11 Depth=1
	v_cmp_ne_u16_sdwa s1, v11, v17 src0_sel:BYTE_0 src1_sel:DWORD
	v_mov_b32_e32 v76, 0x8000
	s_and_saveexec_b32 s41, s1
	s_cbranch_execz .LBB317_402
; %bb.397:                              ;   in Loop: Header=BB317_11 Depth=1
	v_and_b32_e32 v74, 0x7f, v11
	v_mov_b32_e32 v76, 0x7c01
	s_mov_b32 s42, exec_lo
	v_cmpx_ne_u32_e32 0x7f, v74
	s_cbranch_execz .LBB317_401
; %bb.398:                              ;   in Loop: Header=BB317_11 Depth=1
	v_and_b32_e32 v3, 7, v11
	v_lshrrev_b32_e32 v73, 3, v74
	s_mov_b32 s43, exec_lo
	v_cmpx_gt_u32_e32 8, v74
; %bb.399:                              ;   in Loop: Header=BB317_11 Depth=1
	v_ffbh_u32_e32 v3, v3
	v_min_u32_e32 v3, 32, v3
	v_subrev_nc_u32_e32 v73, 28, v3
	v_lshlrev_b64 v[74:75], v73, v[11:12]
	v_sub_nc_u32_e32 v73, 29, v3
	v_and_b32_e32 v3, 7, v74
; %bb.400:                              ;   in Loop: Header=BB317_11 Depth=1
	s_or_b32 exec_lo, exec_lo, s43
	v_lshlrev_b32_e32 v74, 8, v11
	v_lshl_add_u32 v73, v73, 10, 0x2000
	v_lshlrev_b32_e32 v3, 7, v3
	v_and_b32_e32 v74, 0x8000, v74
	v_and_b32_e32 v73, 0xfc00, v73
	v_or3_b32 v76, v74, v73, v3
.LBB317_401:                            ;   in Loop: Header=BB317_11 Depth=1
	s_or_b32 exec_lo, exec_lo, s42
.LBB317_402:                            ;   in Loop: Header=BB317_11 Depth=1
	s_or_b32 exec_lo, exec_lo, s41
.LBB317_403:                            ;   in Loop: Header=BB317_11 Depth=1
	s_or_b32 exec_lo, exec_lo, s2
	v_lshrrev_b16 v3, 8, v11
	v_mov_b32_e32 v79, 0
	v_mov_b32_e32 v74, 0
	s_mov_b32 s2, exec_lo
	v_cmpx_ne_u16_e32 0, v3
	s_cbranch_execz .LBB317_411
; %bb.404:                              ;   in Loop: Header=BB317_11 Depth=1
	v_bfrev_b32_e32 v74, 1
	s_mov_b32 s41, exec_lo
	v_cmpx_ne_u16_e32 0x80, v3
	s_cbranch_execz .LBB317_410
; %bb.405:                              ;   in Loop: Header=BB317_11 Depth=1
	v_and_b32_sdwa v75, v3, v20 dst_sel:DWORD dst_unused:UNUSED_PAD src0_sel:WORD_0 src1_sel:DWORD
	v_mov_b32_e32 v74, 0x7c010000
	s_mov_b32 s42, exec_lo
	v_cmpx_ne_u32_e32 0x7f, v75
	s_cbranch_execz .LBB317_409
; %bb.406:                              ;   in Loop: Header=BB317_11 Depth=1
	v_and_b32_sdwa v73, v3, v21 dst_sel:DWORD dst_unused:UNUSED_PAD src0_sel:WORD_0 src1_sel:DWORD
	v_lshrrev_b32_e32 v74, 3, v75
	s_mov_b32 s43, exec_lo
	v_cmpx_gt_u32_e32 8, v75
; %bb.407:                              ;   in Loop: Header=BB317_11 Depth=1
	v_ffbh_u32_e32 v73, v73
	v_min_u32_e32 v75, 32, v73
	v_subrev_nc_u32_e32 v73, 28, v75
	v_lshlrev_b64 v[73:74], v73, v[3:4]
	v_sub_nc_u32_e32 v74, 29, v75
	v_and_b32_e32 v73, 7, v73
; %bb.408:                              ;   in Loop: Header=BB317_11 Depth=1
	s_or_b32 exec_lo, exec_lo, s43
	v_lshlrev_b32_sdwa v3, v22, v3 dst_sel:DWORD dst_unused:UNUSED_PAD src0_sel:DWORD src1_sel:WORD_0
	v_lshl_add_u32 v74, v74, 10, 0x2000
	v_lshlrev_b32_e32 v73, 23, v73
	v_and_or_b32 v3, 0x8000, v3, v74
	v_lshl_or_b32 v74, v3, 16, v73
.LBB317_409:                            ;   in Loop: Header=BB317_11 Depth=1
	s_or_b32 exec_lo, exec_lo, s42
.LBB317_410:                            ;   in Loop: Header=BB317_11 Depth=1
	s_or_b32 exec_lo, exec_lo, s41
.LBB317_411:                            ;   in Loop: Header=BB317_11 Depth=1
	s_or_b32 exec_lo, exec_lo, s2
	v_lshrrev_b32_e32 v3, 16, v11
	v_cmp_ne_u16_sdwa s1, v3, v4 src0_sel:BYTE_0 src1_sel:DWORD
	s_and_saveexec_b32 s2, s1
	s_cbranch_execz .LBB317_419
; %bb.412:                              ;   in Loop: Header=BB317_11 Depth=1
	v_cmp_ne_u16_sdwa s1, v3, v17 src0_sel:BYTE_0 src1_sel:DWORD
	v_mov_b32_e32 v79, 0x8000
	s_and_saveexec_b32 s41, s1
	s_cbranch_execz .LBB317_418
; %bb.413:                              ;   in Loop: Header=BB317_11 Depth=1
	v_bfe_u32 v77, v11, 16, 7
	v_mov_b32_e32 v79, 0x7c01
	s_mov_b32 s42, exec_lo
	v_cmpx_ne_u32_e32 0x7f, v77
	s_cbranch_execz .LBB317_417
; %bb.414:                              ;   in Loop: Header=BB317_11 Depth=1
	v_and_b32_e32 v73, 7, v3
	v_lshrrev_b32_e32 v75, 3, v77
	s_mov_b32 s43, exec_lo
	v_cmpx_gt_u32_e32 8, v77
; %bb.415:                              ;   in Loop: Header=BB317_11 Depth=1
	v_ffbh_u32_e32 v73, v73
	v_min_u32_e32 v73, 32, v73
	v_subrev_nc_u32_e32 v75, 28, v73
	v_lshlrev_b64 v[77:78], v75, v[3:4]
	v_sub_nc_u32_e32 v75, 29, v73
	v_and_b32_e32 v73, 7, v77
; %bb.416:                              ;   in Loop: Header=BB317_11 Depth=1
	s_or_b32 exec_lo, exec_lo, s43
	v_lshlrev_b32_e32 v3, 8, v3
	v_lshl_add_u32 v75, v75, 10, 0x2000
	v_lshlrev_b32_e32 v73, 7, v73
	v_and_b32_e32 v3, 0x8000, v3
	v_and_b32_e32 v75, 0xfc00, v75
	v_or3_b32 v79, v3, v75, v73
.LBB317_417:                            ;   in Loop: Header=BB317_11 Depth=1
	s_or_b32 exec_lo, exec_lo, s42
.LBB317_418:                            ;   in Loop: Header=BB317_11 Depth=1
	s_or_b32 exec_lo, exec_lo, s41
.LBB317_419:                            ;   in Loop: Header=BB317_11 Depth=1
	s_or_b32 exec_lo, exec_lo, s2
	v_mov_b32_e32 v77, 0
	v_mov_b32_e32 v85, 0
	s_mov_b32 s2, exec_lo
	v_cmpx_lt_u32_e32 0xffffff, v11
	s_cbranch_execz .LBB317_427
; %bb.420:                              ;   in Loop: Header=BB317_11 Depth=1
	v_lshrrev_b32_e32 v3, 24, v11
	v_bfrev_b32_e32 v85, 1
	s_mov_b32 s41, exec_lo
	v_cmpx_ne_u32_e32 0x80, v3
	s_cbranch_execz .LBB317_426
; %bb.421:                              ;   in Loop: Header=BB317_11 Depth=1
	v_and_b32_e32 v78, 0x7f, v3
	v_mov_b32_e32 v85, 0x7c010000
	s_mov_b32 s42, exec_lo
	v_cmpx_ne_u32_e32 0x7f, v78
	s_cbranch_execz .LBB317_425
; %bb.422:                              ;   in Loop: Header=BB317_11 Depth=1
	v_and_b32_e32 v73, 7, v3
	v_lshrrev_b32_e32 v75, 3, v78
	s_mov_b32 s43, exec_lo
	v_cmpx_gt_u32_e32 8, v78
; %bb.423:                              ;   in Loop: Header=BB317_11 Depth=1
	v_ffbh_u32_e32 v73, v73
	v_min_u32_e32 v73, 32, v73
	v_subrev_nc_u32_e32 v75, 28, v73
	v_lshlrev_b64 v[80:81], v75, v[3:4]
	v_sub_nc_u32_e32 v75, 29, v73
	v_and_b32_e32 v73, 7, v80
; %bb.424:                              ;   in Loop: Header=BB317_11 Depth=1
	s_or_b32 exec_lo, exec_lo, s43
	v_lshlrev_b32_e32 v3, 8, v3
	v_lshl_add_u32 v75, v75, 10, 0x2000
	v_lshlrev_b32_e32 v73, 23, v73
	v_and_or_b32 v3, 0x8000, v3, v75
	v_lshl_or_b32 v85, v3, 16, v73
.LBB317_425:                            ;   in Loop: Header=BB317_11 Depth=1
	s_or_b32 exec_lo, exec_lo, s42
.LBB317_426:                            ;   in Loop: Header=BB317_11 Depth=1
	s_or_b32 exec_lo, exec_lo, s41
.LBB317_427:                            ;   in Loop: Header=BB317_11 Depth=1
	s_or_b32 exec_lo, exec_lo, s2
	v_mov_b32_e32 v3, v12
	v_cmp_ne_u16_sdwa s1, v12, v4 src0_sel:BYTE_0 src1_sel:DWORD
	s_and_saveexec_b32 s2, s1
	s_cbranch_execz .LBB317_435
; %bb.428:                              ;   in Loop: Header=BB317_11 Depth=1
	v_cmp_ne_u16_sdwa s1, v12, v17 src0_sel:BYTE_0 src1_sel:DWORD
	v_mov_b32_e32 v77, 0x8000
	s_and_saveexec_b32 s41, s1
	s_cbranch_execz .LBB317_434
; %bb.429:                              ;   in Loop: Header=BB317_11 Depth=1
	v_and_b32_e32 v78, 0x7f, v12
	v_mov_b32_e32 v77, 0x7c01
	s_mov_b32 s42, exec_lo
	v_cmpx_ne_u32_e32 0x7f, v78
	s_cbranch_execz .LBB317_433
; %bb.430:                              ;   in Loop: Header=BB317_11 Depth=1
	v_and_b32_e32 v73, 7, v12
	v_lshrrev_b32_e32 v75, 3, v78
	s_mov_b32 s43, exec_lo
	v_cmpx_gt_u32_e32 8, v78
; %bb.431:                              ;   in Loop: Header=BB317_11 Depth=1
	v_ffbh_u32_e32 v73, v73
	v_min_u32_e32 v73, 32, v73
	v_subrev_nc_u32_e32 v75, 28, v73
	v_lshlrev_b64 v[77:78], v75, v[3:4]
	v_sub_nc_u32_e32 v75, 29, v73
	v_and_b32_e32 v73, 7, v77
; %bb.432:                              ;   in Loop: Header=BB317_11 Depth=1
	s_or_b32 exec_lo, exec_lo, s43
	v_lshlrev_b32_e32 v77, 8, v12
	v_lshl_add_u32 v75, v75, 10, 0x2000
	v_lshlrev_b32_e32 v73, 7, v73
	v_and_b32_e32 v77, 0x8000, v77
	v_and_b32_e32 v75, 0xfc00, v75
	v_or3_b32 v77, v77, v75, v73
.LBB317_433:                            ;   in Loop: Header=BB317_11 Depth=1
	s_or_b32 exec_lo, exec_lo, s42
.LBB317_434:                            ;   in Loop: Header=BB317_11 Depth=1
	s_or_b32 exec_lo, exec_lo, s41
.LBB317_435:                            ;   in Loop: Header=BB317_11 Depth=1
	s_or_b32 exec_lo, exec_lo, s2
	v_lshrrev_b16 v3, 8, v3
	v_mov_b32_e32 v84, 0
	v_mov_b32_e32 v75, 0
	s_mov_b32 s2, exec_lo
	v_cmpx_ne_u16_e32 0, v3
	s_cbranch_execz .LBB317_443
; %bb.436:                              ;   in Loop: Header=BB317_11 Depth=1
	v_bfrev_b32_e32 v75, 1
	s_mov_b32 s41, exec_lo
	v_cmpx_ne_u16_e32 0x80, v3
	s_cbranch_execz .LBB317_442
; %bb.437:                              ;   in Loop: Header=BB317_11 Depth=1
	v_and_b32_sdwa v78, v3, v20 dst_sel:DWORD dst_unused:UNUSED_PAD src0_sel:WORD_0 src1_sel:DWORD
	v_mov_b32_e32 v75, 0x7c010000
	s_mov_b32 s42, exec_lo
	v_cmpx_ne_u32_e32 0x7f, v78
	s_cbranch_execz .LBB317_441
; %bb.438:                              ;   in Loop: Header=BB317_11 Depth=1
	v_and_b32_sdwa v73, v3, v21 dst_sel:DWORD dst_unused:UNUSED_PAD src0_sel:WORD_0 src1_sel:DWORD
	v_lshrrev_b32_e32 v75, 3, v78
	s_mov_b32 s43, exec_lo
	v_cmpx_gt_u32_e32 8, v78
; %bb.439:                              ;   in Loop: Header=BB317_11 Depth=1
	v_ffbh_u32_e32 v73, v73
	v_min_u32_e32 v73, 32, v73
	v_subrev_nc_u32_e32 v75, 28, v73
	v_lshlrev_b64 v[80:81], v75, v[3:4]
	v_sub_nc_u32_e32 v75, 29, v73
	v_and_b32_e32 v73, 7, v80
; %bb.440:                              ;   in Loop: Header=BB317_11 Depth=1
	s_or_b32 exec_lo, exec_lo, s43
	v_lshlrev_b32_sdwa v3, v22, v3 dst_sel:DWORD dst_unused:UNUSED_PAD src0_sel:DWORD src1_sel:WORD_0
	v_lshl_add_u32 v75, v75, 10, 0x2000
	v_lshlrev_b32_e32 v73, 23, v73
	v_and_or_b32 v3, 0x8000, v3, v75
	v_lshl_or_b32 v75, v3, 16, v73
.LBB317_441:                            ;   in Loop: Header=BB317_11 Depth=1
	s_or_b32 exec_lo, exec_lo, s42
.LBB317_442:                            ;   in Loop: Header=BB317_11 Depth=1
	s_or_b32 exec_lo, exec_lo, s41
.LBB317_443:                            ;   in Loop: Header=BB317_11 Depth=1
	s_or_b32 exec_lo, exec_lo, s2
	v_lshrrev_b32_e32 v3, 16, v12
	v_cmp_ne_u16_sdwa s1, v3, v4 src0_sel:BYTE_0 src1_sel:DWORD
	s_and_saveexec_b32 s2, s1
	s_cbranch_execz .LBB317_451
; %bb.444:                              ;   in Loop: Header=BB317_11 Depth=1
	v_cmp_ne_u16_sdwa s1, v3, v17 src0_sel:BYTE_0 src1_sel:DWORD
	v_mov_b32_e32 v84, 0x8000
	s_and_saveexec_b32 s41, s1
	s_cbranch_execz .LBB317_450
; %bb.445:                              ;   in Loop: Header=BB317_11 Depth=1
	v_bfe_u32 v80, v12, 16, 7
	v_mov_b32_e32 v84, 0x7c01
	s_mov_b32 s42, exec_lo
	v_cmpx_ne_u32_e32 0x7f, v80
	s_cbranch_execz .LBB317_449
; %bb.446:                              ;   in Loop: Header=BB317_11 Depth=1
	v_and_b32_e32 v73, 7, v3
	v_lshrrev_b32_e32 v78, 3, v80
	s_mov_b32 s43, exec_lo
	v_cmpx_gt_u32_e32 8, v80
; %bb.447:                              ;   in Loop: Header=BB317_11 Depth=1
	v_ffbh_u32_e32 v73, v73
	v_min_u32_e32 v73, 32, v73
	v_subrev_nc_u32_e32 v78, 28, v73
	v_lshlrev_b64 v[80:81], v78, v[3:4]
	v_sub_nc_u32_e32 v78, 29, v73
	v_and_b32_e32 v73, 7, v80
; %bb.448:                              ;   in Loop: Header=BB317_11 Depth=1
	s_or_b32 exec_lo, exec_lo, s43
	v_lshlrev_b32_e32 v3, 8, v3
	v_lshl_add_u32 v78, v78, 10, 0x2000
	v_lshlrev_b32_e32 v73, 7, v73
	v_and_b32_e32 v3, 0x8000, v3
	v_and_b32_e32 v78, 0xfc00, v78
	v_or3_b32 v84, v3, v78, v73
.LBB317_449:                            ;   in Loop: Header=BB317_11 Depth=1
	s_or_b32 exec_lo, exec_lo, s42
.LBB317_450:                            ;   in Loop: Header=BB317_11 Depth=1
	s_or_b32 exec_lo, exec_lo, s41
.LBB317_451:                            ;   in Loop: Header=BB317_11 Depth=1
	s_or_b32 exec_lo, exec_lo, s2
	v_mov_b32_e32 v73, 0
	v_mov_b32_e32 v78, 0
	s_mov_b32 s2, exec_lo
	v_cmpx_lt_u64_e64 s[4:5], v[11:12]
	s_cbranch_execz .LBB317_459
; %bb.452:                              ;   in Loop: Header=BB317_11 Depth=1
	v_lshrrev_b32_e32 v3, 24, v12
	v_bfrev_b32_e32 v78, 1
	s_mov_b32 s41, exec_lo
	v_cmpx_ne_u32_e32 0x80, v3
	s_cbranch_execz .LBB317_458
; %bb.453:                              ;   in Loop: Header=BB317_11 Depth=1
	v_and_b32_e32 v80, 0x7f, v3
	v_mov_b32_e32 v78, 0x7c010000
	s_mov_b32 s42, exec_lo
	v_cmpx_ne_u32_e32 0x7f, v80
	s_cbranch_execz .LBB317_457
; %bb.454:                              ;   in Loop: Header=BB317_11 Depth=1
	v_and_b32_e32 v11, 7, v3
	v_lshrrev_b32_e32 v12, 3, v80
	s_mov_b32 s43, exec_lo
	v_cmpx_gt_u32_e32 8, v80
; %bb.455:                              ;   in Loop: Header=BB317_11 Depth=1
	v_ffbh_u32_e32 v11, v11
	v_min_u32_e32 v78, 32, v11
	v_subrev_nc_u32_e32 v11, 28, v78
	v_lshlrev_b64 v[11:12], v11, v[3:4]
	v_sub_nc_u32_e32 v12, 29, v78
	v_and_b32_e32 v11, 7, v11
; %bb.456:                              ;   in Loop: Header=BB317_11 Depth=1
	s_or_b32 exec_lo, exec_lo, s43
	v_lshlrev_b32_e32 v3, 8, v3
	v_lshl_add_u32 v12, v12, 10, 0x2000
	v_lshlrev_b32_e32 v11, 23, v11
	v_and_or_b32 v3, 0x8000, v3, v12
	v_lshl_or_b32 v78, v3, 16, v11
.LBB317_457:                            ;   in Loop: Header=BB317_11 Depth=1
	s_or_b32 exec_lo, exec_lo, s42
.LBB317_458:                            ;   in Loop: Header=BB317_11 Depth=1
	s_or_b32 exec_lo, exec_lo, s41
.LBB317_459:                            ;   in Loop: Header=BB317_11 Depth=1
	s_or_b32 exec_lo, exec_lo, s2
	global_load_dwordx2 v[9:10], v[9:10], off offset:1544
	s_waitcnt vmcnt(0)
	v_cmp_ne_u16_sdwa s1, v9, v4 src0_sel:BYTE_0 src1_sel:DWORD
	s_and_saveexec_b32 s2, s1
	s_cbranch_execz .LBB317_467
; %bb.460:                              ;   in Loop: Header=BB317_11 Depth=1
	v_cmp_ne_u16_sdwa s1, v9, v17 src0_sel:BYTE_0 src1_sel:DWORD
	v_mov_b32_e32 v73, 0x8000
	s_and_saveexec_b32 s41, s1
	s_cbranch_execz .LBB317_466
; %bb.461:                              ;   in Loop: Header=BB317_11 Depth=1
	v_and_b32_e32 v12, 0x7f, v9
	v_mov_b32_e32 v73, 0x7c01
	s_mov_b32 s42, exec_lo
	v_cmpx_ne_u32_e32 0x7f, v12
	s_cbranch_execz .LBB317_465
; %bb.462:                              ;   in Loop: Header=BB317_11 Depth=1
	v_and_b32_e32 v3, 7, v9
	v_lshrrev_b32_e32 v11, 3, v12
	s_mov_b32 s43, exec_lo
	v_cmpx_gt_u32_e32 8, v12
; %bb.463:                              ;   in Loop: Header=BB317_11 Depth=1
	v_ffbh_u32_e32 v3, v3
	v_min_u32_e32 v3, 32, v3
	v_subrev_nc_u32_e32 v11, 28, v3
	v_lshlrev_b64 v[80:81], v11, v[9:10]
	v_sub_nc_u32_e32 v11, 29, v3
	v_and_b32_e32 v3, 7, v80
; %bb.464:                              ;   in Loop: Header=BB317_11 Depth=1
	s_or_b32 exec_lo, exec_lo, s43
	v_lshlrev_b32_e32 v12, 8, v9
	v_lshl_add_u32 v11, v11, 10, 0x2000
	v_lshlrev_b32_e32 v3, 7, v3
	v_and_b32_e32 v12, 0x8000, v12
	v_and_b32_e32 v11, 0xfc00, v11
	v_or3_b32 v73, v12, v11, v3
.LBB317_465:                            ;   in Loop: Header=BB317_11 Depth=1
	s_or_b32 exec_lo, exec_lo, s42
.LBB317_466:                            ;   in Loop: Header=BB317_11 Depth=1
	s_or_b32 exec_lo, exec_lo, s41
.LBB317_467:                            ;   in Loop: Header=BB317_11 Depth=1
	s_or_b32 exec_lo, exec_lo, s2
	v_lshrrev_b16 v3, 8, v9
	v_mov_b32_e32 v12, 0
	v_mov_b32_e32 v11, 0
	s_mov_b32 s2, exec_lo
	v_cmpx_ne_u16_e32 0, v3
	s_cbranch_execz .LBB317_475
; %bb.468:                              ;   in Loop: Header=BB317_11 Depth=1
	v_bfrev_b32_e32 v11, 1
	s_mov_b32 s41, exec_lo
	v_cmpx_ne_u16_e32 0x80, v3
	s_cbranch_execz .LBB317_474
; %bb.469:                              ;   in Loop: Header=BB317_11 Depth=1
	v_and_b32_sdwa v81, v3, v20 dst_sel:DWORD dst_unused:UNUSED_PAD src0_sel:WORD_0 src1_sel:DWORD
	v_mov_b32_e32 v11, 0x7c010000
	s_mov_b32 s42, exec_lo
	v_cmpx_ne_u32_e32 0x7f, v81
	s_cbranch_execz .LBB317_473
; %bb.470:                              ;   in Loop: Header=BB317_11 Depth=1
	v_and_b32_sdwa v11, v3, v21 dst_sel:DWORD dst_unused:UNUSED_PAD src0_sel:WORD_0 src1_sel:DWORD
	v_lshrrev_b32_e32 v80, 3, v81
	s_mov_b32 s43, exec_lo
	v_cmpx_gt_u32_e32 8, v81
; %bb.471:                              ;   in Loop: Header=BB317_11 Depth=1
	v_ffbh_u32_e32 v11, v11
	v_min_u32_e32 v11, 32, v11
	v_subrev_nc_u32_e32 v80, 28, v11
	v_lshlrev_b64 v[81:82], v80, v[3:4]
	v_sub_nc_u32_e32 v80, 29, v11
	v_and_b32_e32 v11, 7, v81
; %bb.472:                              ;   in Loop: Header=BB317_11 Depth=1
	s_or_b32 exec_lo, exec_lo, s43
	v_lshlrev_b32_sdwa v3, v22, v3 dst_sel:DWORD dst_unused:UNUSED_PAD src0_sel:DWORD src1_sel:WORD_0
	v_lshl_add_u32 v80, v80, 10, 0x2000
	v_lshlrev_b32_e32 v11, 23, v11
	v_and_or_b32 v3, 0x8000, v3, v80
	v_lshl_or_b32 v11, v3, 16, v11
.LBB317_473:                            ;   in Loop: Header=BB317_11 Depth=1
	s_or_b32 exec_lo, exec_lo, s42
.LBB317_474:                            ;   in Loop: Header=BB317_11 Depth=1
	s_or_b32 exec_lo, exec_lo, s41
.LBB317_475:                            ;   in Loop: Header=BB317_11 Depth=1
	s_or_b32 exec_lo, exec_lo, s2
	v_lshrrev_b32_e32 v3, 16, v9
	v_cmp_ne_u16_sdwa s1, v3, v4 src0_sel:BYTE_0 src1_sel:DWORD
	s_and_saveexec_b32 s2, s1
	s_cbranch_execz .LBB317_483
; %bb.476:                              ;   in Loop: Header=BB317_11 Depth=1
	v_cmp_ne_u16_sdwa s1, v3, v17 src0_sel:BYTE_0 src1_sel:DWORD
	v_mov_b32_e32 v12, 0x8000
	s_and_saveexec_b32 s41, s1
	s_cbranch_execz .LBB317_482
; %bb.477:                              ;   in Loop: Header=BB317_11 Depth=1
	v_bfe_u32 v81, v9, 16, 7
	v_mov_b32_e32 v12, 0x7c01
	s_mov_b32 s42, exec_lo
	v_cmpx_ne_u32_e32 0x7f, v81
	s_cbranch_execz .LBB317_481
; %bb.478:                              ;   in Loop: Header=BB317_11 Depth=1
	v_and_b32_e32 v12, 7, v3
	v_lshrrev_b32_e32 v80, 3, v81
	s_mov_b32 s43, exec_lo
	v_cmpx_gt_u32_e32 8, v81
; %bb.479:                              ;   in Loop: Header=BB317_11 Depth=1
	v_ffbh_u32_e32 v12, v12
	v_min_u32_e32 v12, 32, v12
	v_subrev_nc_u32_e32 v80, 28, v12
	v_lshlrev_b64 v[81:82], v80, v[3:4]
	v_sub_nc_u32_e32 v80, 29, v12
	v_and_b32_e32 v12, 7, v81
; %bb.480:                              ;   in Loop: Header=BB317_11 Depth=1
	s_or_b32 exec_lo, exec_lo, s43
	v_lshlrev_b32_e32 v3, 8, v3
	v_lshl_add_u32 v80, v80, 10, 0x2000
	v_lshlrev_b32_e32 v12, 7, v12
	v_and_b32_e32 v3, 0x8000, v3
	v_and_b32_e32 v80, 0xfc00, v80
	v_or3_b32 v12, v3, v80, v12
.LBB317_481:                            ;   in Loop: Header=BB317_11 Depth=1
	s_or_b32 exec_lo, exec_lo, s42
.LBB317_482:                            ;   in Loop: Header=BB317_11 Depth=1
	s_or_b32 exec_lo, exec_lo, s41
.LBB317_483:                            ;   in Loop: Header=BB317_11 Depth=1
	s_or_b32 exec_lo, exec_lo, s2
	v_mov_b32_e32 v82, 0
	v_mov_b32_e32 v83, 0
	s_mov_b32 s2, exec_lo
	v_cmpx_lt_u32_e32 0xffffff, v9
	s_cbranch_execz .LBB317_491
; %bb.484:                              ;   in Loop: Header=BB317_11 Depth=1
	v_lshrrev_b32_e32 v3, 24, v9
	v_bfrev_b32_e32 v83, 1
	s_mov_b32 s41, exec_lo
	v_cmpx_ne_u32_e32 0x80, v3
	s_cbranch_execz .LBB317_490
; %bb.485:                              ;   in Loop: Header=BB317_11 Depth=1
	v_and_b32_e32 v86, 0x7f, v3
	v_mov_b32_e32 v83, 0x7c010000
	s_mov_b32 s42, exec_lo
	v_cmpx_ne_u32_e32 0x7f, v86
	s_cbranch_execz .LBB317_489
; %bb.486:                              ;   in Loop: Header=BB317_11 Depth=1
	v_and_b32_e32 v80, 7, v3
	v_lshrrev_b32_e32 v81, 3, v86
	s_mov_b32 s43, exec_lo
	v_cmpx_gt_u32_e32 8, v86
; %bb.487:                              ;   in Loop: Header=BB317_11 Depth=1
	v_ffbh_u32_e32 v80, v80
	v_min_u32_e32 v83, 32, v80
	v_subrev_nc_u32_e32 v80, 28, v83
	v_lshlrev_b64 v[80:81], v80, v[3:4]
	v_sub_nc_u32_e32 v81, 29, v83
	v_and_b32_e32 v80, 7, v80
; %bb.488:                              ;   in Loop: Header=BB317_11 Depth=1
	s_or_b32 exec_lo, exec_lo, s43
	v_lshlrev_b32_e32 v3, 8, v3
	v_lshl_add_u32 v81, v81, 10, 0x2000
	v_lshlrev_b32_e32 v80, 23, v80
	v_and_or_b32 v3, 0x8000, v3, v81
	v_lshl_or_b32 v83, v3, 16, v80
.LBB317_489:                            ;   in Loop: Header=BB317_11 Depth=1
	s_or_b32 exec_lo, exec_lo, s42
.LBB317_490:                            ;   in Loop: Header=BB317_11 Depth=1
	s_or_b32 exec_lo, exec_lo, s41
.LBB317_491:                            ;   in Loop: Header=BB317_11 Depth=1
	s_or_b32 exec_lo, exec_lo, s2
	v_mov_b32_e32 v3, v10
	v_cmp_ne_u16_sdwa s1, v10, v4 src0_sel:BYTE_0 src1_sel:DWORD
	s_and_saveexec_b32 s2, s1
	s_cbranch_execz .LBB317_499
; %bb.492:                              ;   in Loop: Header=BB317_11 Depth=1
	v_cmp_ne_u16_sdwa s1, v10, v17 src0_sel:BYTE_0 src1_sel:DWORD
	v_mov_b32_e32 v82, 0x8000
	s_and_saveexec_b32 s41, s1
	s_cbranch_execz .LBB317_498
; %bb.493:                              ;   in Loop: Header=BB317_11 Depth=1
	v_and_b32_e32 v86, 0x7f, v10
	v_mov_b32_e32 v82, 0x7c01
	s_mov_b32 s42, exec_lo
	v_cmpx_ne_u32_e32 0x7f, v86
	s_cbranch_execz .LBB317_497
; %bb.494:                              ;   in Loop: Header=BB317_11 Depth=1
	v_and_b32_e32 v80, 7, v10
	v_lshrrev_b32_e32 v81, 3, v86
	s_mov_b32 s43, exec_lo
	v_cmpx_gt_u32_e32 8, v86
; %bb.495:                              ;   in Loop: Header=BB317_11 Depth=1
	v_ffbh_u32_e32 v80, v80
	v_min_u32_e32 v82, 32, v80
	v_subrev_nc_u32_e32 v80, 28, v82
	v_lshlrev_b64 v[80:81], v80, v[3:4]
	v_sub_nc_u32_e32 v81, 29, v82
	v_and_b32_e32 v80, 7, v80
; %bb.496:                              ;   in Loop: Header=BB317_11 Depth=1
	s_or_b32 exec_lo, exec_lo, s43
	v_lshlrev_b32_e32 v82, 8, v10
	v_lshl_add_u32 v81, v81, 10, 0x2000
	v_lshlrev_b32_e32 v80, 7, v80
	v_and_b32_e32 v82, 0x8000, v82
	v_and_b32_e32 v81, 0xfc00, v81
	v_or3_b32 v82, v82, v81, v80
.LBB317_497:                            ;   in Loop: Header=BB317_11 Depth=1
	s_or_b32 exec_lo, exec_lo, s42
.LBB317_498:                            ;   in Loop: Header=BB317_11 Depth=1
	s_or_b32 exec_lo, exec_lo, s41
.LBB317_499:                            ;   in Loop: Header=BB317_11 Depth=1
	s_or_b32 exec_lo, exec_lo, s2
	v_lshrrev_b16 v3, 8, v3
	v_mov_b32_e32 v81, 0
	v_mov_b32_e32 v80, 0
	s_mov_b32 s2, exec_lo
	v_cmpx_ne_u16_e32 0, v3
	s_cbranch_execz .LBB317_507
; %bb.500:                              ;   in Loop: Header=BB317_11 Depth=1
	v_bfrev_b32_e32 v80, 1
	s_mov_b32 s41, exec_lo
	v_cmpx_ne_u16_e32 0x80, v3
	s_cbranch_execz .LBB317_506
; %bb.501:                              ;   in Loop: Header=BB317_11 Depth=1
	v_and_b32_sdwa v87, v3, v20 dst_sel:DWORD dst_unused:UNUSED_PAD src0_sel:WORD_0 src1_sel:DWORD
	v_mov_b32_e32 v80, 0x7c010000
	s_mov_b32 s42, exec_lo
	v_cmpx_ne_u32_e32 0x7f, v87
	s_cbranch_execz .LBB317_505
; %bb.502:                              ;   in Loop: Header=BB317_11 Depth=1
	v_and_b32_sdwa v80, v3, v21 dst_sel:DWORD dst_unused:UNUSED_PAD src0_sel:WORD_0 src1_sel:DWORD
	v_lshrrev_b32_e32 v86, 3, v87
	s_mov_b32 s43, exec_lo
	v_cmpx_gt_u32_e32 8, v87
; %bb.503:                              ;   in Loop: Header=BB317_11 Depth=1
	v_ffbh_u32_e32 v80, v80
	v_min_u32_e32 v80, 32, v80
	v_subrev_nc_u32_e32 v86, 28, v80
	v_lshlrev_b64 v[87:88], v86, v[3:4]
	v_sub_nc_u32_e32 v86, 29, v80
	v_and_b32_e32 v80, 7, v87
; %bb.504:                              ;   in Loop: Header=BB317_11 Depth=1
	s_or_b32 exec_lo, exec_lo, s43
	v_lshlrev_b32_sdwa v3, v22, v3 dst_sel:DWORD dst_unused:UNUSED_PAD src0_sel:DWORD src1_sel:WORD_0
	v_lshl_add_u32 v86, v86, 10, 0x2000
	v_lshlrev_b32_e32 v80, 23, v80
	v_and_or_b32 v3, 0x8000, v3, v86
	v_lshl_or_b32 v80, v3, 16, v80
.LBB317_505:                            ;   in Loop: Header=BB317_11 Depth=1
	s_or_b32 exec_lo, exec_lo, s42
.LBB317_506:                            ;   in Loop: Header=BB317_11 Depth=1
	s_or_b32 exec_lo, exec_lo, s41
.LBB317_507:                            ;   in Loop: Header=BB317_11 Depth=1
	s_or_b32 exec_lo, exec_lo, s2
	v_lshrrev_b32_e32 v3, 16, v10
	v_cmp_ne_u16_sdwa s1, v3, v4 src0_sel:BYTE_0 src1_sel:DWORD
	s_and_saveexec_b32 s2, s1
	s_cbranch_execz .LBB317_515
; %bb.508:                              ;   in Loop: Header=BB317_11 Depth=1
	v_cmp_ne_u16_sdwa s1, v3, v17 src0_sel:BYTE_0 src1_sel:DWORD
	v_mov_b32_e32 v81, 0x8000
	s_and_saveexec_b32 s41, s1
	s_cbranch_execz .LBB317_514
; %bb.509:                              ;   in Loop: Header=BB317_11 Depth=1
	v_bfe_u32 v87, v10, 16, 7
	v_mov_b32_e32 v81, 0x7c01
	s_mov_b32 s42, exec_lo
	v_cmpx_ne_u32_e32 0x7f, v87
	s_cbranch_execz .LBB317_513
; %bb.510:                              ;   in Loop: Header=BB317_11 Depth=1
	v_and_b32_e32 v81, 7, v3
	v_lshrrev_b32_e32 v86, 3, v87
	s_mov_b32 s43, exec_lo
	v_cmpx_gt_u32_e32 8, v87
; %bb.511:                              ;   in Loop: Header=BB317_11 Depth=1
	v_ffbh_u32_e32 v81, v81
	v_min_u32_e32 v81, 32, v81
	v_subrev_nc_u32_e32 v86, 28, v81
	v_lshlrev_b64 v[87:88], v86, v[3:4]
	v_sub_nc_u32_e32 v86, 29, v81
	v_and_b32_e32 v81, 7, v87
; %bb.512:                              ;   in Loop: Header=BB317_11 Depth=1
	s_or_b32 exec_lo, exec_lo, s43
	v_lshlrev_b32_e32 v3, 8, v3
	v_lshl_add_u32 v86, v86, 10, 0x2000
	v_lshlrev_b32_e32 v81, 7, v81
	v_and_b32_e32 v3, 0x8000, v3
	v_and_b32_e32 v86, 0xfc00, v86
	v_or3_b32 v81, v3, v86, v81
.LBB317_513:                            ;   in Loop: Header=BB317_11 Depth=1
	s_or_b32 exec_lo, exec_lo, s42
.LBB317_514:                            ;   in Loop: Header=BB317_11 Depth=1
	s_or_b32 exec_lo, exec_lo, s41
.LBB317_515:                            ;   in Loop: Header=BB317_11 Depth=1
	s_or_b32 exec_lo, exec_lo, s2
	v_cmp_lt_u64_e64 s1, s[4:5], v[9:10]
	v_mov_b32_e32 v9, 0
	s_and_saveexec_b32 s2, s1
	s_cbranch_execz .LBB317_10
; %bb.516:                              ;   in Loop: Header=BB317_11 Depth=1
	v_lshrrev_b32_e32 v3, 24, v10
	v_bfrev_b32_e32 v9, 1
	s_mov_b32 s41, exec_lo
	v_cmpx_ne_u32_e32 0x80, v3
	s_cbranch_execz .LBB317_9
; %bb.517:                              ;   in Loop: Header=BB317_11 Depth=1
	v_and_b32_e32 v86, 0x7f, v3
	v_mov_b32_e32 v9, 0x7c010000
	s_mov_b32 s42, exec_lo
	v_cmpx_ne_u32_e32 0x7f, v86
	s_cbranch_execz .LBB317_8
; %bb.518:                              ;   in Loop: Header=BB317_11 Depth=1
	v_and_b32_e32 v9, 7, v3
	v_lshrrev_b32_e32 v10, 3, v86
	s_mov_b32 s43, exec_lo
	v_cmpx_gt_u32_e32 8, v86
	s_cbranch_execz .LBB317_7
; %bb.519:                              ;   in Loop: Header=BB317_11 Depth=1
	v_ffbh_u32_e32 v9, v9
	v_min_u32_e32 v86, 32, v9
	v_subrev_nc_u32_e32 v9, 28, v86
	v_lshlrev_b64 v[9:10], v9, v[3:4]
	v_sub_nc_u32_e32 v10, 29, v86
	v_and_b32_e32 v9, 7, v9
	s_branch .LBB317_7
.LBB317_520:
	s_or_b32 exec_lo, exec_lo, s40
.LBB317_521:
	s_or_b32 exec_lo, exec_lo, s37
	v_mbcnt_lo_u32_b32 v3, -1, 0
	v_max_f32_e32 v7, v16, v16
	v_xor_b32_e32 v4, 16, v3
	v_xor_b32_e32 v6, 8, v3
	v_cmp_gt_i32_e32 vcc_lo, 32, v4
	v_cndmask_b32_e32 v4, v3, v4, vcc_lo
	v_cmp_gt_i32_e32 vcc_lo, 32, v6
	v_lshlrev_b32_e32 v4, 2, v4
	v_cndmask_b32_e32 v6, v3, v6, vcc_lo
	ds_bpermute_b32 v5, v4, v16
	s_waitcnt lgkmcnt(0)
	v_max_f32_e32 v8, v5, v5
	v_lshlrev_b32_e32 v5, 2, v6
	v_max_f32_e32 v6, v7, v8
	v_xor_b32_e32 v8, 4, v3
	ds_bpermute_b32 v7, v5, v6
	v_cmp_gt_i32_e32 vcc_lo, 32, v8
	v_cndmask_b32_e32 v8, v3, v8, vcc_lo
	s_waitcnt lgkmcnt(0)
	v_max_f32_e32 v9, v7, v7
	v_lshlrev_b32_e32 v7, 2, v8
	v_max_f32_e32 v6, v6, v9
	v_xor_b32_e32 v9, 2, v3
	ds_bpermute_b32 v8, v7, v6
	v_cmp_gt_i32_e32 vcc_lo, 32, v9
	v_cndmask_b32_e32 v9, v3, v9, vcc_lo
	v_lshlrev_b32_e32 v16, 2, v9
	v_xor_b32_e32 v9, 1, v3
	v_cmp_gt_i32_e32 vcc_lo, 32, v9
	s_waitcnt lgkmcnt(0)
	v_max_f32_e32 v8, v8, v8
	v_cndmask_b32_e32 v9, v3, v9, vcc_lo
	v_cmp_eq_u32_e32 vcc_lo, 0, v14
	v_max_f32_e32 v6, v6, v8
	v_lshlrev_b32_e32 v12, 2, v9
	ds_bpermute_b32 v8, v16, v6
	s_waitcnt lgkmcnt(0)
	v_max_f32_e32 v8, v8, v8
	v_max_f32_e32 v3, v6, v8
	v_lshlrev_b32_e32 v8, 2, v13
	ds_bpermute_b32 v6, v12, v3
	s_and_saveexec_b32 s1, vcc_lo
	s_cbranch_execz .LBB317_523
; %bb.522:
	s_waitcnt lgkmcnt(0)
	v_max_f32_e32 v6, v6, v6
	v_max_f32_e32 v3, v3, v3
	;; [unrolled: 1-line block ×3, first 2 shown]
	ds_write_b32 v8, v3 offset:128
.LBB317_523:
	s_or_b32 exec_lo, exec_lo, s1
	v_cmp_gt_u32_e64 s1, 4, v14
	v_mov_b32_e32 v3, 0xff7fffff
	s_waitcnt lgkmcnt(0)
	s_barrier
	buffer_gl0_inv
	s_and_saveexec_b32 s2, s1
; %bb.524:
	ds_read_b32 v3, v15 offset:128
; %bb.525:
	s_or_b32 exec_lo, exec_lo, s2
	s_waitcnt lgkmcnt(0)
	ds_bpermute_b32 v6, v16, v3
	v_max_f32_e32 v3, v3, v3
	v_mov_b32_e32 v9, 0
	s_sub_i32 s2, s11, s19
	s_lshl_b32 s2, s2, 5
	s_add_i32 s2, s2, s33
	s_min_i32 s2, s2, s29
	s_sub_i32 s4, s2, s33
	v_cmp_gt_i32_e64 s2, s4, v0
	s_waitcnt lgkmcnt(0)
	v_max_f32_e32 v6, v6, v6
	v_max_f32_e32 v3, v3, v6
	ds_bpermute_b32 v6, v12, v3
	s_waitcnt lgkmcnt(0)
	v_max_f32_e32 v6, v6, v6
	v_max_f32_e32 v3, v3, v6
	v_lshl_add_u32 v6, v0, 2, 0xa0
	ds_bpermute_b32 v3, v9, v3
	s_and_saveexec_b32 s5, s2
	s_cbranch_execz .LBB317_529
; %bb.526:
	v_lshl_add_u32 v10, v0, 2, 0xa0
	v_mov_b32_e32 v9, 0
	v_mov_b32_e32 v11, v0
	s_mov_b32 s12, 0
	.p2align	6
.LBB317_527:                            ; =>This Inner Loop Header: Depth=1
	ds_read_b32 v17, v10
	v_add_nc_u32_e32 v11, 0x80, v11
	v_cmp_le_i32_e64 s3, s4, v11
	s_or_b32 s12, s3, s12
	s_waitcnt lgkmcnt(0)
	v_sub_f32_e32 v17, v17, v3
	v_mul_f32_e32 v17, 0x3fb8aa3b, v17
	v_exp_f32_e32 v17, v17
	ds_write_b32 v10, v17
	v_add_f32_e32 v9, v9, v17
	v_add_nc_u32_e32 v10, 0x200, v10
	s_andn2_b32 exec_lo, exec_lo, s12
	s_cbranch_execnz .LBB317_527
; %bb.528:
	s_or_b32 exec_lo, exec_lo, s12
.LBB317_529:
	s_or_b32 exec_lo, exec_lo, s5
	ds_bpermute_b32 v4, v4, v9
	s_waitcnt lgkmcnt(0)
	v_add_f32_e32 v4, v9, v4
	ds_bpermute_b32 v5, v5, v4
	s_waitcnt lgkmcnt(0)
	v_add_f32_e32 v4, v4, v5
	;; [unrolled: 3-line block ×5, first 2 shown]
	s_and_saveexec_b32 s3, vcc_lo
; %bb.530:
	ds_write_b32 v8, v4 offset:144
; %bb.531:
	s_or_b32 exec_lo, exec_lo, s3
	s_waitcnt lgkmcnt(0)
	s_barrier
	buffer_gl0_inv
	s_and_saveexec_b32 s3, s1
; %bb.532:
	ds_read_b32 v4, v15 offset:144
; %bb.533:
	s_or_b32 exec_lo, exec_lo, s3
	s_waitcnt lgkmcnt(0)
	ds_bpermute_b32 v5, v16, v4
	s_waitcnt lgkmcnt(0)
	v_add_f32_e32 v4, v4, v5
	ds_bpermute_b32 v5, v12, v4
	s_waitcnt lgkmcnt(0)
	v_add_f32_e32 v4, v4, v5
	v_mov_b32_e32 v5, 0
	ds_bpermute_b32 v4, v5, v4
	s_and_saveexec_b32 s1, s2
	s_cbranch_execz .LBB317_536
; %bb.534:
	s_waitcnt lgkmcnt(0)
	v_add_f32_e32 v5, 0x358637bd, v4
	s_mov_b32 s2, 0
	v_div_scale_f32 v7, null, v5, v5, 1.0
	v_div_scale_f32 v10, vcc_lo, 1.0, v5, 1.0
	v_rcp_f32_e32 v8, v7
	v_fma_f32 v9, -v7, v8, 1.0
	v_fmac_f32_e32 v8, v9, v8
	v_mul_f32_e32 v9, v10, v8
	v_fma_f32 v11, -v7, v9, v10
	v_fmac_f32_e32 v9, v11, v8
	v_fma_f32 v7, -v7, v9, v10
	v_div_fmas_f32 v7, v7, v8, v9
	v_div_fixup_f32 v5, v7, v5, 1.0
	v_mov_b32_e32 v7, v0
.LBB317_535:                            ; =>This Inner Loop Header: Depth=1
	ds_read_b32 v8, v6
	v_add_nc_u32_e32 v7, 0x80, v7
	v_cmp_le_i32_e32 vcc_lo, s4, v7
	s_or_b32 s2, vcc_lo, s2
	s_waitcnt lgkmcnt(0)
	v_mul_f32_e32 v8, v5, v8
	ds_write_b32 v6, v8
	v_add_nc_u32_e32 v6, 0x200, v6
	s_andn2_b32 exec_lo, exec_lo, s2
	s_cbranch_execnz .LBB317_535
.LBB317_536:
	s_or_b32 exec_lo, exec_lo, s1
	s_mul_i32 s1, s7, s28
	s_waitcnt lgkmcnt(0)
	s_mul_i32 s2, s1, s9
	s_mov_b32 s1, exec_lo
	s_barrier
	buffer_gl0_inv
	v_cmpx_eq_u32_e32 0, v0
	s_cbranch_execz .LBB317_538
; %bb.537:
	s_ashr_i32 s3, s2, 31
	s_mul_i32 s12, s7, s6
	s_lshl_b64 s[4:5], s[2:3], 2
	v_mov_b32_e32 v5, 0
	s_add_u32 s3, s22, s4
	s_addc_u32 s6, s23, s5
	s_ashr_i32 s13, s12, 31
	s_lshl_b64 s[12:13], s[12:13], 2
	s_add_u32 s3, s3, s12
	s_addc_u32 s6, s6, s13
	s_ashr_i32 s9, s8, 31
	s_lshl_b64 s[22:23], s[8:9], 2
	s_add_u32 s36, s3, s22
	s_addc_u32 s37, s6, s23
	s_add_u32 s3, s20, s4
	s_addc_u32 s4, s21, s5
	;; [unrolled: 2-line block ×4, first 2 shown]
	global_store_dword v5, v3, s[36:37]
	global_store_dword v5, v4, s[4:5]
.LBB317_538:
	s_or_b32 exec_lo, exec_lo, s1
	v_mov_b32_e32 v22, 0
	v_and_b32_e32 v15, 3, v0
	v_mov_b32_e32 v24, 0
	v_mov_b32_e32 v23, 0
	v_mov_b32_e32 v21, 0
	v_mov_b32_e32 v20, 0
	v_mov_b32_e32 v19, 0
	v_mov_b32_e32 v18, 0
	v_mov_b32_e32 v17, 0
	s_and_saveexec_b32 s1, s0
	s_cbranch_execz .LBB317_1070
; %bb.539:
	v_lshlrev_b32_e32 v3, 3, v0
	v_lshlrev_b32_e32 v4, 5, v15
	v_lshl_add_u32 v7, v13, 5, s33
	s_ashr_i32 s0, s18, 31
	s_add_u32 s4, s30, s18
	v_and_b32_e32 v6, 24, v3
	v_and_b32_e32 v5, 0xf8, v3
	s_addc_u32 s0, s31, s0
	v_lshl_or_b32 v8, v13, 7, v4
	s_add_i32 s16, s16, -1
	v_add3_u32 v25, v7, v6, 7
	v_add_co_u32 v4, s4, s4, v5
	v_lshlrev_b64 v[6:7], 2, v[1:2]
	v_add_co_ci_u32_e64 v5, null, s0, 0, s4
	s_lshl_b64 s[4:5], s[34:35], 2
	v_mov_b32_e32 v3, 0
	s_add_u32 s0, s26, s4
	s_addc_u32 s4, s27, s5
	v_add_co_u32 v6, vcc_lo, s0, v6
	v_add_nc_u32_e32 v26, 0xa0, v8
	v_add_co_ci_u32_e64 v7, null, s4, v7, vcc_lo
	v_mov_b32_e32 v27, 0x80
	v_mov_b32_e32 v28, 0x7f
	;; [unrolled: 1-line block ×12, first 2 shown]
	s_mov_b32 s4, -1
	s_mov_b32 s3, s17
	s_mov_b32 s5, 0xffffff
	;; [unrolled: 1-line block ×3, first 2 shown]
	s_branch .LBB317_541
.LBB317_540:                            ;   in Loop: Header=BB317_541 Depth=1
	s_or_b32 exec_lo, exec_lo, s0
	v_add_f32_e32 v10, v10, v11
	v_add_f32_e32 v11, v52, v53
	v_add_nc_u32_e32 v1, 4, v1
	v_add_f32_e32 v31, v50, v51
	v_add_f32_e32 v32, v48, v49
	;; [unrolled: 1-line block ×3, first 2 shown]
	;;#ASMSTART
	v_pk_mul_f16 v10, v42, v54;

	;;#ASMEND
	;;#ASMSTART
	v_pk_mul_f16 v2, v40, v2;

	;;#ASMEND
	;; [unrolled: 4-line block ×4, first 2 shown]
	;;#ASMSTART
	v_pk_add_f16 v2, v10, v2;

	;;#ASMEND
	;;#ASMSTART
	v_pk_add_f16 v2, v2, v9;

	;;#ASMEND
	;;#ASMSTART
	v_pk_add_f16 v2, v2, v8;

	;;#ASMEND
	v_and_b32_e32 v10, 0xffff, v2
	v_add_f32_e32 v19, v19, v11
	v_lshrrev_b32_e32 v11, 16, v2
	;;#ASMSTART
	v_cvt_f32_f16 v10, v10;
	;;#ASMEND
	v_add_f32_e32 v2, v46, v47
	v_add_f32_e32 v8, v44, v45
	;; [unrolled: 1-line block ×3, first 2 shown]
	;;#ASMSTART
	v_cvt_f32_f16 v11, v11;
	;;#ASMEND
	v_add_f32_e32 v10, v10, v11
	v_cmp_le_i32_e32 vcc_lo, s11, v1
	v_add_co_u32 v6, s0, v6, 16
	v_add_f32_e32 v20, v20, v31
	v_add_f32_e32 v21, v21, v32
	;; [unrolled: 1-line block ×6, first 2 shown]
	v_add_nc_u32_e32 v25, 0x80, v25
	v_add_nc_u32_e32 v26, 0x200, v26
	v_add_co_ci_u32_e64 v7, null, 0, v7, s0
	s_or_b32 s6, vcc_lo, s6
	s_andn2_b32 exec_lo, exec_lo, s6
	s_cbranch_execz .LBB317_1069
.LBB317_541:                            ; =>This Inner Loop Header: Depth=1
	global_load_dword v2, v[6:7], off
	ds_read2_b64 v[31:34], v26 offset1:1
	ds_read2_b64 v[44:47], v26 offset0:2 offset1:3
	s_waitcnt lgkmcnt(1)
	;;#ASMSTART
	v_cvt_f16_f32 v38, v31;

	;;#ASMEND
	;;#ASMSTART
	v_cvt_f16_f32 v39, v32;

	;;#ASMEND
	;;#ASMSTART
	v_cvt_f16_f32 v42, v33;

	;;#ASMEND
	;;#ASMSTART
	v_cvt_f16_f32 v40, v34;

	;;#ASMEND
	s_waitcnt lgkmcnt(0)
	;;#ASMSTART
	v_cvt_f16_f32 v44, v44;

	;;#ASMEND
	;;#ASMSTART
	v_cvt_f16_f32 v41, v45;

	;;#ASMEND
	;; [unrolled: 4-line block ×4, first 2 shown]
	v_mov_b32_e32 v33, 0
	s_waitcnt vmcnt(0)
	v_mad_i64_i32 v[8:9], null, v2, s3, v[4:5]
	global_load_dwordx2 v[10:11], v[8:9], off
	global_load_dword v32, v3, s[14:15]
	s_waitcnt vmcnt(1)
	v_cmp_ne_u16_sdwa s9, v10, v3 src0_sel:BYTE_0 src1_sel:DWORD
	s_and_saveexec_b32 s0, s9
	s_cbranch_execz .LBB317_549
; %bb.542:                              ;   in Loop: Header=BB317_541 Depth=1
	v_cmp_ne_u16_sdwa s12, v10, v27 src0_sel:BYTE_0 src1_sel:DWORD
	v_mov_b32_e32 v33, 0x8000
	s_and_saveexec_b32 s9, s12
	s_cbranch_execz .LBB317_548
; %bb.543:                              ;   in Loop: Header=BB317_541 Depth=1
	v_and_b32_e32 v34, 0x7f, v10
	v_mov_b32_e32 v33, 0x7c01
	s_mov_b32 s12, exec_lo
	v_cmpx_ne_u32_e32 0x7f, v34
	s_cbranch_execz .LBB317_547
; %bb.544:                              ;   in Loop: Header=BB317_541 Depth=1
	v_and_b32_e32 v2, 7, v10
	v_lshrrev_b32_e32 v31, 3, v34
	s_mov_b32 s13, exec_lo
	v_cmpx_gt_u32_e32 8, v34
; %bb.545:                              ;   in Loop: Header=BB317_541 Depth=1
	v_ffbh_u32_e32 v2, v2
	v_min_u32_e32 v2, 32, v2
	v_subrev_nc_u32_e32 v31, 28, v2
	v_lshlrev_b64 v[33:34], v31, v[10:11]
	v_sub_nc_u32_e32 v31, 29, v2
	v_and_b32_e32 v2, 7, v33
; %bb.546:                              ;   in Loop: Header=BB317_541 Depth=1
	s_or_b32 exec_lo, exec_lo, s13
	v_lshlrev_b32_e32 v33, 8, v10
	v_lshl_add_u32 v31, v31, 10, 0x2000
	v_lshlrev_b32_e32 v2, 7, v2
	v_and_b32_e32 v33, 0x8000, v33
	v_and_b32_e32 v31, 0xfc00, v31
	v_or3_b32 v33, v33, v31, v2
.LBB317_547:                            ;   in Loop: Header=BB317_541 Depth=1
	s_or_b32 exec_lo, exec_lo, s12
.LBB317_548:                            ;   in Loop: Header=BB317_541 Depth=1
	s_or_b32 exec_lo, exec_lo, s9
.LBB317_549:                            ;   in Loop: Header=BB317_541 Depth=1
	s_or_b32 exec_lo, exec_lo, s0
	v_lshrrev_b16 v2, 8, v10
	v_mov_b32_e32 v31, 0
	v_mov_b32_e32 v34, 0
	s_mov_b32 s0, exec_lo
	v_cmpx_ne_u16_e32 0, v2
	s_cbranch_execz .LBB317_557
; %bb.550:                              ;   in Loop: Header=BB317_541 Depth=1
	v_bfrev_b32_e32 v34, 1
	s_mov_b32 s9, exec_lo
	v_cmpx_ne_u16_e32 0x80, v2
	s_cbranch_execz .LBB317_556
; %bb.551:                              ;   in Loop: Header=BB317_541 Depth=1
	v_and_b32_sdwa v36, v2, v28 dst_sel:DWORD dst_unused:UNUSED_PAD src0_sel:WORD_0 src1_sel:DWORD
	v_mov_b32_e32 v34, 0x7c010000
	s_mov_b32 s12, exec_lo
	v_cmpx_ne_u32_e32 0x7f, v36
	s_cbranch_execz .LBB317_555
; %bb.552:                              ;   in Loop: Header=BB317_541 Depth=1
	v_and_b32_sdwa v34, v2, v29 dst_sel:DWORD dst_unused:UNUSED_PAD src0_sel:WORD_0 src1_sel:DWORD
	v_lshrrev_b32_e32 v35, 3, v36
	s_mov_b32 s13, exec_lo
	v_cmpx_gt_u32_e32 8, v36
; %bb.553:                              ;   in Loop: Header=BB317_541 Depth=1
	v_ffbh_u32_e32 v34, v34
	v_min_u32_e32 v36, 32, v34
	v_subrev_nc_u32_e32 v34, 28, v36
	v_lshlrev_b64 v[34:35], v34, v[2:3]
	v_sub_nc_u32_e32 v35, 29, v36
	v_and_b32_e32 v34, 7, v34
; %bb.554:                              ;   in Loop: Header=BB317_541 Depth=1
	s_or_b32 exec_lo, exec_lo, s13
	v_lshlrev_b32_sdwa v2, v30, v2 dst_sel:DWORD dst_unused:UNUSED_PAD src0_sel:DWORD src1_sel:WORD_0
	v_lshl_add_u32 v35, v35, 10, 0x2000
	v_lshlrev_b32_e32 v34, 23, v34
	v_and_or_b32 v2, 0x8000, v2, v35
	v_lshl_or_b32 v34, v2, 16, v34
.LBB317_555:                            ;   in Loop: Header=BB317_541 Depth=1
	s_or_b32 exec_lo, exec_lo, s12
.LBB317_556:                            ;   in Loop: Header=BB317_541 Depth=1
	s_or_b32 exec_lo, exec_lo, s9
.LBB317_557:                            ;   in Loop: Header=BB317_541 Depth=1
	s_or_b32 exec_lo, exec_lo, s0
	v_lshrrev_b32_e32 v2, 16, v10
	v_cmp_ne_u16_sdwa s9, v2, v3 src0_sel:BYTE_0 src1_sel:DWORD
	s_and_saveexec_b32 s0, s9
	s_cbranch_execz .LBB317_565
; %bb.558:                              ;   in Loop: Header=BB317_541 Depth=1
	v_cmp_ne_u16_sdwa s12, v2, v27 src0_sel:BYTE_0 src1_sel:DWORD
	v_mov_b32_e32 v31, 0x8000
	s_and_saveexec_b32 s9, s12
	s_cbranch_execz .LBB317_564
; %bb.559:                              ;   in Loop: Header=BB317_541 Depth=1
	v_bfe_u32 v36, v10, 16, 7
	v_mov_b32_e32 v31, 0x7c01
	s_mov_b32 s12, exec_lo
	v_cmpx_ne_u32_e32 0x7f, v36
	s_cbranch_execz .LBB317_563
; %bb.560:                              ;   in Loop: Header=BB317_541 Depth=1
	v_and_b32_e32 v31, 7, v2
	v_lshrrev_b32_e32 v35, 3, v36
	s_mov_b32 s13, exec_lo
	v_cmpx_gt_u32_e32 8, v36
; %bb.561:                              ;   in Loop: Header=BB317_541 Depth=1
	v_ffbh_u32_e32 v31, v31
	v_min_u32_e32 v31, 32, v31
	v_subrev_nc_u32_e32 v35, 28, v31
	v_lshlrev_b64 v[36:37], v35, v[2:3]
	v_sub_nc_u32_e32 v35, 29, v31
	v_and_b32_e32 v31, 7, v36
; %bb.562:                              ;   in Loop: Header=BB317_541 Depth=1
	s_or_b32 exec_lo, exec_lo, s13
	v_lshlrev_b32_e32 v2, 8, v2
	v_lshl_add_u32 v35, v35, 10, 0x2000
	v_lshlrev_b32_e32 v31, 7, v31
	v_and_b32_e32 v2, 0x8000, v2
	v_and_b32_e32 v35, 0xfc00, v35
	v_or3_b32 v31, v2, v35, v31
.LBB317_563:                            ;   in Loop: Header=BB317_541 Depth=1
	s_or_b32 exec_lo, exec_lo, s12
.LBB317_564:                            ;   in Loop: Header=BB317_541 Depth=1
	s_or_b32 exec_lo, exec_lo, s9
.LBB317_565:                            ;   in Loop: Header=BB317_541 Depth=1
	s_or_b32 exec_lo, exec_lo, s0
	v_mov_b32_e32 v35, 0
	v_mov_b32_e32 v36, 0
	s_mov_b32 s0, exec_lo
	v_cmpx_lt_u32_e32 0xffffff, v10
	s_cbranch_execz .LBB317_573
; %bb.566:                              ;   in Loop: Header=BB317_541 Depth=1
	v_lshrrev_b32_e32 v2, 24, v10
	v_bfrev_b32_e32 v36, 1
	s_mov_b32 s9, exec_lo
	v_cmpx_ne_u32_e32 0x80, v2
	s_cbranch_execz .LBB317_572
; %bb.567:                              ;   in Loop: Header=BB317_541 Depth=1
	v_and_b32_e32 v46, 0x7f, v2
	v_mov_b32_e32 v36, 0x7c010000
	s_mov_b32 s12, exec_lo
	v_cmpx_ne_u32_e32 0x7f, v46
	s_cbranch_execz .LBB317_571
; %bb.568:                              ;   in Loop: Header=BB317_541 Depth=1
	v_and_b32_e32 v36, 7, v2
	v_lshrrev_b32_e32 v37, 3, v46
	s_mov_b32 s13, exec_lo
	v_cmpx_gt_u32_e32 8, v46
; %bb.569:                              ;   in Loop: Header=BB317_541 Depth=1
	v_ffbh_u32_e32 v36, v36
	v_min_u32_e32 v46, 32, v36
	v_subrev_nc_u32_e32 v36, 28, v46
	v_lshlrev_b64 v[36:37], v36, v[2:3]
	v_sub_nc_u32_e32 v37, 29, v46
	v_and_b32_e32 v36, 7, v36
; %bb.570:                              ;   in Loop: Header=BB317_541 Depth=1
	s_or_b32 exec_lo, exec_lo, s13
	v_lshlrev_b32_e32 v2, 8, v2
	v_lshl_add_u32 v37, v37, 10, 0x2000
	v_lshlrev_b32_e32 v36, 23, v36
	v_and_or_b32 v2, 0x8000, v2, v37
	v_lshl_or_b32 v36, v2, 16, v36
.LBB317_571:                            ;   in Loop: Header=BB317_541 Depth=1
	s_or_b32 exec_lo, exec_lo, s12
.LBB317_572:                            ;   in Loop: Header=BB317_541 Depth=1
	s_or_b32 exec_lo, exec_lo, s9
.LBB317_573:                            ;   in Loop: Header=BB317_541 Depth=1
	s_or_b32 exec_lo, exec_lo, s0
	v_mov_b32_e32 v2, v11
	v_cmp_ne_u16_sdwa s9, v11, v3 src0_sel:BYTE_0 src1_sel:DWORD
	s_and_saveexec_b32 s0, s9
	s_cbranch_execz .LBB317_581
; %bb.574:                              ;   in Loop: Header=BB317_541 Depth=1
	v_cmp_ne_u16_sdwa s12, v11, v27 src0_sel:BYTE_0 src1_sel:DWORD
	v_mov_b32_e32 v35, 0x8000
	s_and_saveexec_b32 s9, s12
	s_cbranch_execz .LBB317_580
; %bb.575:                              ;   in Loop: Header=BB317_541 Depth=1
	v_and_b32_e32 v46, 0x7f, v11
	v_mov_b32_e32 v35, 0x7c01
	s_mov_b32 s12, exec_lo
	v_cmpx_ne_u32_e32 0x7f, v46
	s_cbranch_execz .LBB317_579
; %bb.576:                              ;   in Loop: Header=BB317_541 Depth=1
	v_and_b32_e32 v35, 7, v11
	v_lshrrev_b32_e32 v37, 3, v46
	s_mov_b32 s13, exec_lo
	v_cmpx_gt_u32_e32 8, v46
; %bb.577:                              ;   in Loop: Header=BB317_541 Depth=1
	v_ffbh_u32_e32 v35, v35
	v_min_u32_e32 v35, 32, v35
	v_subrev_nc_u32_e32 v37, 28, v35
	v_lshlrev_b64 v[46:47], v37, v[2:3]
	v_sub_nc_u32_e32 v37, 29, v35
	v_and_b32_e32 v35, 7, v46
; %bb.578:                              ;   in Loop: Header=BB317_541 Depth=1
	s_or_b32 exec_lo, exec_lo, s13
	v_lshlrev_b32_e32 v46, 8, v11
	v_lshl_add_u32 v37, v37, 10, 0x2000
	v_lshlrev_b32_e32 v35, 7, v35
	v_and_b32_e32 v46, 0x8000, v46
	v_and_b32_e32 v37, 0xfc00, v37
	v_or3_b32 v35, v46, v37, v35
.LBB317_579:                            ;   in Loop: Header=BB317_541 Depth=1
	s_or_b32 exec_lo, exec_lo, s12
.LBB317_580:                            ;   in Loop: Header=BB317_541 Depth=1
	s_or_b32 exec_lo, exec_lo, s9
.LBB317_581:                            ;   in Loop: Header=BB317_541 Depth=1
	s_or_b32 exec_lo, exec_lo, s0
	v_lshrrev_b16 v2, 8, v2
	v_mov_b32_e32 v46, 0
	v_mov_b32_e32 v37, 0
	s_mov_b32 s0, exec_lo
	v_cmpx_ne_u16_e32 0, v2
	s_cbranch_execz .LBB317_589
; %bb.582:                              ;   in Loop: Header=BB317_541 Depth=1
	v_bfrev_b32_e32 v37, 1
	s_mov_b32 s9, exec_lo
	v_cmpx_ne_u16_e32 0x80, v2
	s_cbranch_execz .LBB317_588
; %bb.583:                              ;   in Loop: Header=BB317_541 Depth=1
	v_and_b32_sdwa v48, v2, v28 dst_sel:DWORD dst_unused:UNUSED_PAD src0_sel:WORD_0 src1_sel:DWORD
	v_mov_b32_e32 v37, 0x7c010000
	s_mov_b32 s12, exec_lo
	v_cmpx_ne_u32_e32 0x7f, v48
	s_cbranch_execz .LBB317_587
; %bb.584:                              ;   in Loop: Header=BB317_541 Depth=1
	v_and_b32_sdwa v37, v2, v29 dst_sel:DWORD dst_unused:UNUSED_PAD src0_sel:WORD_0 src1_sel:DWORD
	v_lshrrev_b32_e32 v47, 3, v48
	s_mov_b32 s13, exec_lo
	v_cmpx_gt_u32_e32 8, v48
; %bb.585:                              ;   in Loop: Header=BB317_541 Depth=1
	v_ffbh_u32_e32 v37, v37
	v_min_u32_e32 v37, 32, v37
	v_subrev_nc_u32_e32 v47, 28, v37
	v_lshlrev_b64 v[48:49], v47, v[2:3]
	v_sub_nc_u32_e32 v47, 29, v37
	v_and_b32_e32 v37, 7, v48
; %bb.586:                              ;   in Loop: Header=BB317_541 Depth=1
	s_or_b32 exec_lo, exec_lo, s13
	v_lshlrev_b32_sdwa v2, v30, v2 dst_sel:DWORD dst_unused:UNUSED_PAD src0_sel:DWORD src1_sel:WORD_0
	v_lshl_add_u32 v47, v47, 10, 0x2000
	v_lshlrev_b32_e32 v37, 23, v37
	v_and_or_b32 v2, 0x8000, v2, v47
	v_lshl_or_b32 v37, v2, 16, v37
.LBB317_587:                            ;   in Loop: Header=BB317_541 Depth=1
	s_or_b32 exec_lo, exec_lo, s12
.LBB317_588:                            ;   in Loop: Header=BB317_541 Depth=1
	s_or_b32 exec_lo, exec_lo, s9
.LBB317_589:                            ;   in Loop: Header=BB317_541 Depth=1
	s_or_b32 exec_lo, exec_lo, s0
	v_lshrrev_b32_e32 v2, 16, v11
	v_cmp_ne_u16_sdwa s9, v2, v3 src0_sel:BYTE_0 src1_sel:DWORD
	s_and_saveexec_b32 s0, s9
	s_cbranch_execz .LBB317_597
; %bb.590:                              ;   in Loop: Header=BB317_541 Depth=1
	v_cmp_ne_u16_sdwa s12, v2, v27 src0_sel:BYTE_0 src1_sel:DWORD
	v_mov_b32_e32 v46, 0x8000
	s_and_saveexec_b32 s9, s12
	s_cbranch_execz .LBB317_596
; %bb.591:                              ;   in Loop: Header=BB317_541 Depth=1
	v_bfe_u32 v48, v11, 16, 7
	v_mov_b32_e32 v46, 0x7c01
	s_mov_b32 s12, exec_lo
	v_cmpx_ne_u32_e32 0x7f, v48
	s_cbranch_execz .LBB317_595
; %bb.592:                              ;   in Loop: Header=BB317_541 Depth=1
	v_and_b32_e32 v46, 7, v2
	v_lshrrev_b32_e32 v47, 3, v48
	s_mov_b32 s13, exec_lo
	v_cmpx_gt_u32_e32 8, v48
; %bb.593:                              ;   in Loop: Header=BB317_541 Depth=1
	v_ffbh_u32_e32 v46, v46
	v_min_u32_e32 v48, 32, v46
	v_subrev_nc_u32_e32 v46, 28, v48
	v_lshlrev_b64 v[46:47], v46, v[2:3]
	v_sub_nc_u32_e32 v47, 29, v48
	v_and_b32_e32 v46, 7, v46
; %bb.594:                              ;   in Loop: Header=BB317_541 Depth=1
	s_or_b32 exec_lo, exec_lo, s13
	v_lshlrev_b32_e32 v2, 8, v2
	v_lshl_add_u32 v47, v47, 10, 0x2000
	v_lshlrev_b32_e32 v46, 7, v46
	v_and_b32_e32 v2, 0x8000, v2
	v_and_b32_e32 v47, 0xfc00, v47
	v_or3_b32 v46, v2, v47, v46
.LBB317_595:                            ;   in Loop: Header=BB317_541 Depth=1
	s_or_b32 exec_lo, exec_lo, s12
.LBB317_596:                            ;   in Loop: Header=BB317_541 Depth=1
	s_or_b32 exec_lo, exec_lo, s9
.LBB317_597:                            ;   in Loop: Header=BB317_541 Depth=1
	s_or_b32 exec_lo, exec_lo, s0
	v_cmp_lt_u64_e32 vcc_lo, s[4:5], v[10:11]
	v_mov_b32_e32 v10, 0
	s_and_saveexec_b32 s0, vcc_lo
	s_cbranch_execz .LBB317_605
; %bb.598:                              ;   in Loop: Header=BB317_541 Depth=1
	v_lshrrev_b32_e32 v2, 24, v11
	v_bfrev_b32_e32 v10, 1
	s_mov_b32 s9, exec_lo
	v_cmpx_ne_u32_e32 0x80, v2
	s_cbranch_execz .LBB317_604
; %bb.599:                              ;   in Loop: Header=BB317_541 Depth=1
	v_and_b32_e32 v47, 0x7f, v2
	v_mov_b32_e32 v10, 0x7c010000
	s_mov_b32 s12, exec_lo
	v_cmpx_ne_u32_e32 0x7f, v47
	s_cbranch_execz .LBB317_603
; %bb.600:                              ;   in Loop: Header=BB317_541 Depth=1
	v_and_b32_e32 v10, 7, v2
	v_lshrrev_b32_e32 v11, 3, v47
	s_mov_b32 s13, exec_lo
	v_cmpx_gt_u32_e32 8, v47
; %bb.601:                              ;   in Loop: Header=BB317_541 Depth=1
	v_ffbh_u32_e32 v10, v10
	v_min_u32_e32 v47, 32, v10
	v_subrev_nc_u32_e32 v10, 28, v47
	v_lshlrev_b64 v[10:11], v10, v[2:3]
	v_sub_nc_u32_e32 v11, 29, v47
	v_and_b32_e32 v10, 7, v10
; %bb.602:                              ;   in Loop: Header=BB317_541 Depth=1
	s_or_b32 exec_lo, exec_lo, s13
	v_lshlrev_b32_e32 v2, 8, v2
	v_lshl_add_u32 v11, v11, 10, 0x2000
	v_lshlrev_b32_e32 v10, 23, v10
	v_and_or_b32 v2, 0x8000, v2, v11
	v_lshl_or_b32 v10, v2, 16, v10
.LBB317_603:                            ;   in Loop: Header=BB317_541 Depth=1
	s_or_b32 exec_lo, exec_lo, s12
.LBB317_604:                            ;   in Loop: Header=BB317_541 Depth=1
	s_or_b32 exec_lo, exec_lo, s9
.LBB317_605:                            ;   in Loop: Header=BB317_541 Depth=1
	s_or_b32 exec_lo, exec_lo, s0
	v_or_b32_e32 v2, v36, v31
	s_waitcnt vmcnt(0)
	v_fma_mixlo_f16 v11, v32, v36, 0 op_sel:[0,1,0] op_sel_hi:[0,1,0]
	v_or_b32_e32 v33, v34, v33
	v_fma_mixlo_f16 v34, v32, v34, 0 op_sel:[0,1,0] op_sel_hi:[0,1,0]
	v_or_b32_e32 v35, v37, v35
	v_fma_mixlo_f16 v2, v32, v2, 0 op_sel_hi:[0,1,0]
	v_or_b32_e32 v36, v10, v46
	v_fma_mixlo_f16 v10, v32, v10, 0 op_sel:[0,1,0] op_sel_hi:[0,1,0]
	v_lshlrev_b32_e32 v52, 16, v34
	v_fma_mixlo_f16 v34, v32, v35, 0 op_sel_hi:[0,1,0]
	v_and_b32_e32 v49, 0xffff, v2
	v_fma_mixlo_f16 v2, v32, v33, 0 op_sel_hi:[0,1,0]
	v_fma_mixlo_f16 v33, v32, v37, 0 op_sel:[0,1,0] op_sel_hi:[0,1,0]
	v_fma_mixlo_f16 v32, v32, v36, 0 op_sel_hi:[0,1,0]
	v_lshlrev_b32_e32 v11, 16, v11
	v_and_b32_e32 v53, 0xffff, v34
	v_and_b32_e32 v54, 0xffff, v2
	v_lshlrev_b32_e32 v50, 16, v33
	v_lshlrev_b32_e32 v47, 16, v10
	v_and_b32_e32 v51, 0xffff, v32
	v_add_nc_u32_e32 v31, -7, v25
	v_cmp_eq_u32_e32 vcc_lo, s16, v1
	v_or_b32_e32 v2, v11, v49
	v_or_b32_e32 v10, v52, v54
	;; [unrolled: 1-line block ×4, first 2 shown]
	v_add_nc_u32_e32 v37, -6, v25
	v_add_nc_u32_e32 v36, -5, v25
	;; [unrolled: 1-line block ×6, first 2 shown]
	s_and_saveexec_b32 s9, vcc_lo
	s_cbranch_execz .LBB317_607
; %bb.606:                              ;   in Loop: Header=BB317_541 Depth=1
	v_cmp_gt_i32_e64 s0, s29, v31
	v_cndmask_b32_e64 v2, 0, v54, s0
	v_cmp_gt_i32_e64 s0, s29, v37
	v_cndmask_b32_e64 v10, 0, v52, s0
	v_cmp_gt_i32_e64 s0, s29, v36
	v_or_b32_e32 v10, v10, v2
	v_cndmask_b32_e64 v46, 0, v49, s0
	v_cmp_gt_i32_e64 s0, s29, v35
	v_cndmask_b32_e64 v11, 0, v11, s0
	v_cmp_gt_i32_e64 s0, s29, v34
	v_or_b32_e32 v2, v11, v46
	;; [unrolled: 5-line block ×3, first 2 shown]
	v_cndmask_b32_e64 v50, 0, v51, s0
	v_cmp_gt_i32_e64 s0, s29, v25
	v_cndmask_b32_e64 v47, 0, v47, s0
	v_or_b32_e32 v48, v47, v50
.LBB317_607:                            ;   in Loop: Header=BB317_541 Depth=1
	s_or_b32 exec_lo, exec_lo, s9
	v_and_b32_e32 v11, 0xffff, v38
	v_and_b32_e32 v38, 0xffff, v42
	;; [unrolled: 1-line block ×4, first 2 shown]
	v_lshl_or_b32 v42, v39, 16, v11
	v_lshl_or_b32 v40, v40, 16, v38
	;;#ASMSTART
	v_pk_mul_f16 v10, v42, v10;

	;;#ASMEND
	;;#ASMSTART
	v_pk_mul_f16 v2, v40, v2;

	;;#ASMEND
	v_lshl_or_b32 v39, v41, 16, v44
	v_lshl_or_b32 v38, v43, 16, v45
	;;#ASMSTART
	v_pk_mul_f16 v11, v39, v46;

	;;#ASMEND
	;;#ASMSTART
	v_pk_mul_f16 v41, v38, v48;

	;;#ASMEND
	;;#ASMSTART
	v_pk_add_f16 v2, v10, v2;

	;;#ASMEND
	;;#ASMSTART
	v_pk_add_f16 v2, v2, v11;
	;; [unrolled: 4-line block ×3, first 2 shown]

	;;#ASMEND
	v_and_b32_e32 v10, 0xffff, v2
	v_lshrrev_b32_e32 v2, 16, v2
	;;#ASMSTART
	v_cvt_f32_f16 v41, v10;
	;;#ASMEND
	;;#ASMSTART
	v_cvt_f32_f16 v43, v2;
	;;#ASMEND
	global_load_dwordx2 v[10:11], v[8:9], off offset:256
	v_mov_b32_e32 v45, 0
	v_mov_b32_e32 v46, 0
	global_load_dword v44, v45, s[14:15]
	s_waitcnt vmcnt(1)
	v_cmp_ne_u16_sdwa s0, v10, v3 src0_sel:BYTE_0 src1_sel:DWORD
	s_and_saveexec_b32 s9, s0
	s_cbranch_execz .LBB317_615
; %bb.608:                              ;   in Loop: Header=BB317_541 Depth=1
	v_cmp_ne_u16_sdwa s0, v10, v27 src0_sel:BYTE_0 src1_sel:DWORD
	v_mov_b32_e32 v46, 0x8000
	s_and_saveexec_b32 s12, s0
	s_cbranch_execz .LBB317_614
; %bb.609:                              ;   in Loop: Header=BB317_541 Depth=1
	v_and_b32_e32 v47, 0x7f, v10
	v_mov_b32_e32 v46, 0x7c01
	s_mov_b32 s13, exec_lo
	v_cmpx_ne_u32_e32 0x7f, v47
	s_cbranch_execz .LBB317_613
; %bb.610:                              ;   in Loop: Header=BB317_541 Depth=1
	v_and_b32_e32 v2, 7, v10
	v_lshrrev_b32_e32 v46, 3, v47
	s_mov_b32 s17, exec_lo
	v_cmpx_gt_u32_e32 8, v47
; %bb.611:                              ;   in Loop: Header=BB317_541 Depth=1
	v_ffbh_u32_e32 v2, v2
	v_min_u32_e32 v2, 32, v2
	v_subrev_nc_u32_e32 v46, 28, v2
	v_lshlrev_b64 v[47:48], v46, v[10:11]
	v_sub_nc_u32_e32 v46, 29, v2
	v_and_b32_e32 v2, 7, v47
; %bb.612:                              ;   in Loop: Header=BB317_541 Depth=1
	s_or_b32 exec_lo, exec_lo, s17
	v_lshlrev_b32_e32 v47, 8, v10
	v_lshl_add_u32 v46, v46, 10, 0x2000
	v_lshlrev_b32_e32 v2, 7, v2
	v_and_b32_e32 v47, 0x8000, v47
	v_and_b32_e32 v46, 0xfc00, v46
	v_or3_b32 v46, v47, v46, v2
.LBB317_613:                            ;   in Loop: Header=BB317_541 Depth=1
	s_or_b32 exec_lo, exec_lo, s13
.LBB317_614:                            ;   in Loop: Header=BB317_541 Depth=1
	s_or_b32 exec_lo, exec_lo, s12
.LBB317_615:                            ;   in Loop: Header=BB317_541 Depth=1
	s_or_b32 exec_lo, exec_lo, s9
	v_lshrrev_b16 v2, 8, v10
	s_mov_b32 s9, exec_lo
	v_cmpx_ne_u16_e32 0, v2
	s_cbranch_execz .LBB317_623
; %bb.616:                              ;   in Loop: Header=BB317_541 Depth=1
	v_bfrev_b32_e32 v45, 1
	s_mov_b32 s12, exec_lo
	v_cmpx_ne_u16_e32 0x80, v2
	s_cbranch_execz .LBB317_622
; %bb.617:                              ;   in Loop: Header=BB317_541 Depth=1
	v_and_b32_sdwa v48, v2, v28 dst_sel:DWORD dst_unused:UNUSED_PAD src0_sel:WORD_0 src1_sel:DWORD
	v_mov_b32_e32 v45, 0x7c010000
	s_mov_b32 s13, exec_lo
	v_cmpx_ne_u32_e32 0x7f, v48
	s_cbranch_execz .LBB317_621
; %bb.618:                              ;   in Loop: Header=BB317_541 Depth=1
	v_and_b32_sdwa v45, v2, v29 dst_sel:DWORD dst_unused:UNUSED_PAD src0_sel:WORD_0 src1_sel:DWORD
	v_lshrrev_b32_e32 v47, 3, v48
	s_mov_b32 s17, exec_lo
	v_cmpx_gt_u32_e32 8, v48
; %bb.619:                              ;   in Loop: Header=BB317_541 Depth=1
	v_ffbh_u32_e32 v45, v45
	v_min_u32_e32 v45, 32, v45
	v_subrev_nc_u32_e32 v47, 28, v45
	v_lshlrev_b64 v[48:49], v47, v[2:3]
	v_sub_nc_u32_e32 v47, 29, v45
	v_and_b32_e32 v45, 7, v48
; %bb.620:                              ;   in Loop: Header=BB317_541 Depth=1
	s_or_b32 exec_lo, exec_lo, s17
	v_lshlrev_b32_sdwa v2, v30, v2 dst_sel:DWORD dst_unused:UNUSED_PAD src0_sel:DWORD src1_sel:WORD_0
	v_lshl_add_u32 v47, v47, 10, 0x2000
	v_lshlrev_b32_e32 v45, 23, v45
	v_and_or_b32 v2, 0x8000, v2, v47
	v_lshl_or_b32 v45, v2, 16, v45
.LBB317_621:                            ;   in Loop: Header=BB317_541 Depth=1
	s_or_b32 exec_lo, exec_lo, s13
.LBB317_622:                            ;   in Loop: Header=BB317_541 Depth=1
	s_or_b32 exec_lo, exec_lo, s12
.LBB317_623:                            ;   in Loop: Header=BB317_541 Depth=1
	s_or_b32 exec_lo, exec_lo, s9
	v_lshrrev_b32_e32 v2, 16, v10
	v_mov_b32_e32 v47, 0
	v_mov_b32_e32 v48, 0
	v_cmp_ne_u16_sdwa s0, v2, v3 src0_sel:BYTE_0 src1_sel:DWORD
	s_and_saveexec_b32 s9, s0
	s_cbranch_execz .LBB317_631
; %bb.624:                              ;   in Loop: Header=BB317_541 Depth=1
	v_cmp_ne_u16_sdwa s0, v2, v27 src0_sel:BYTE_0 src1_sel:DWORD
	v_mov_b32_e32 v48, 0x8000
	s_and_saveexec_b32 s12, s0
	s_cbranch_execz .LBB317_630
; %bb.625:                              ;   in Loop: Header=BB317_541 Depth=1
	v_bfe_u32 v50, v10, 16, 7
	v_mov_b32_e32 v48, 0x7c01
	s_mov_b32 s13, exec_lo
	v_cmpx_ne_u32_e32 0x7f, v50
	s_cbranch_execz .LBB317_629
; %bb.626:                              ;   in Loop: Header=BB317_541 Depth=1
	v_and_b32_e32 v48, 7, v2
	v_lshrrev_b32_e32 v49, 3, v50
	s_mov_b32 s17, exec_lo
	v_cmpx_gt_u32_e32 8, v50
; %bb.627:                              ;   in Loop: Header=BB317_541 Depth=1
	v_ffbh_u32_e32 v48, v48
	v_min_u32_e32 v50, 32, v48
	v_subrev_nc_u32_e32 v48, 28, v50
	v_lshlrev_b64 v[48:49], v48, v[2:3]
	v_sub_nc_u32_e32 v49, 29, v50
	v_and_b32_e32 v48, 7, v48
; %bb.628:                              ;   in Loop: Header=BB317_541 Depth=1
	s_or_b32 exec_lo, exec_lo, s17
	v_lshlrev_b32_e32 v2, 8, v2
	v_lshl_add_u32 v49, v49, 10, 0x2000
	v_lshlrev_b32_e32 v48, 7, v48
	v_and_b32_e32 v2, 0x8000, v2
	v_and_b32_e32 v49, 0xfc00, v49
	v_or3_b32 v48, v2, v49, v48
.LBB317_629:                            ;   in Loop: Header=BB317_541 Depth=1
	s_or_b32 exec_lo, exec_lo, s13
.LBB317_630:                            ;   in Loop: Header=BB317_541 Depth=1
	s_or_b32 exec_lo, exec_lo, s12
.LBB317_631:                            ;   in Loop: Header=BB317_541 Depth=1
	s_or_b32 exec_lo, exec_lo, s9
	s_mov_b32 s9, exec_lo
	v_cmpx_lt_u32_e32 0xffffff, v10
	s_cbranch_execz .LBB317_639
; %bb.632:                              ;   in Loop: Header=BB317_541 Depth=1
	v_lshrrev_b32_e32 v2, 24, v10
	v_bfrev_b32_e32 v47, 1
	s_mov_b32 s12, exec_lo
	v_cmpx_ne_u32_e32 0x80, v2
	s_cbranch_execz .LBB317_638
; %bb.633:                              ;   in Loop: Header=BB317_541 Depth=1
	v_and_b32_e32 v50, 0x7f, v2
	v_mov_b32_e32 v47, 0x7c010000
	s_mov_b32 s13, exec_lo
	v_cmpx_ne_u32_e32 0x7f, v50
	s_cbranch_execz .LBB317_637
; %bb.634:                              ;   in Loop: Header=BB317_541 Depth=1
	v_and_b32_e32 v47, 7, v2
	v_lshrrev_b32_e32 v49, 3, v50
	s_mov_b32 s17, exec_lo
	v_cmpx_gt_u32_e32 8, v50
; %bb.635:                              ;   in Loop: Header=BB317_541 Depth=1
	v_ffbh_u32_e32 v47, v47
	v_min_u32_e32 v47, 32, v47
	v_subrev_nc_u32_e32 v49, 28, v47
	v_lshlrev_b64 v[50:51], v49, v[2:3]
	v_sub_nc_u32_e32 v49, 29, v47
	v_and_b32_e32 v47, 7, v50
; %bb.636:                              ;   in Loop: Header=BB317_541 Depth=1
	s_or_b32 exec_lo, exec_lo, s17
	v_lshlrev_b32_e32 v2, 8, v2
	v_lshl_add_u32 v49, v49, 10, 0x2000
	v_lshlrev_b32_e32 v47, 23, v47
	v_and_or_b32 v2, 0x8000, v2, v49
	v_lshl_or_b32 v47, v2, 16, v47
.LBB317_637:                            ;   in Loop: Header=BB317_541 Depth=1
	s_or_b32 exec_lo, exec_lo, s13
.LBB317_638:                            ;   in Loop: Header=BB317_541 Depth=1
	s_or_b32 exec_lo, exec_lo, s12
.LBB317_639:                            ;   in Loop: Header=BB317_541 Depth=1
	s_or_b32 exec_lo, exec_lo, s9
	v_mov_b32_e32 v2, v11
	v_cmp_ne_u16_sdwa s0, v11, v3 src0_sel:BYTE_0 src1_sel:DWORD
	v_mov_b32_e32 v49, 0
	v_mov_b32_e32 v50, 0
	s_and_saveexec_b32 s9, s0
	s_cbranch_execz .LBB317_647
; %bb.640:                              ;   in Loop: Header=BB317_541 Depth=1
	v_cmp_ne_u16_sdwa s0, v11, v27 src0_sel:BYTE_0 src1_sel:DWORD
	v_mov_b32_e32 v50, 0x8000
	s_and_saveexec_b32 s12, s0
	s_cbranch_execz .LBB317_646
; %bb.641:                              ;   in Loop: Header=BB317_541 Depth=1
	v_and_b32_e32 v52, 0x7f, v11
	v_mov_b32_e32 v50, 0x7c01
	s_mov_b32 s13, exec_lo
	v_cmpx_ne_u32_e32 0x7f, v52
	s_cbranch_execz .LBB317_645
; %bb.642:                              ;   in Loop: Header=BB317_541 Depth=1
	v_and_b32_e32 v50, 7, v11
	v_lshrrev_b32_e32 v51, 3, v52
	s_mov_b32 s17, exec_lo
	v_cmpx_gt_u32_e32 8, v52
; %bb.643:                              ;   in Loop: Header=BB317_541 Depth=1
	v_ffbh_u32_e32 v50, v50
	v_min_u32_e32 v52, 32, v50
	v_subrev_nc_u32_e32 v50, 28, v52
	v_lshlrev_b64 v[50:51], v50, v[2:3]
	v_sub_nc_u32_e32 v51, 29, v52
	v_and_b32_e32 v50, 7, v50
; %bb.644:                              ;   in Loop: Header=BB317_541 Depth=1
	s_or_b32 exec_lo, exec_lo, s17
	v_lshlrev_b32_e32 v52, 8, v11
	v_lshl_add_u32 v51, v51, 10, 0x2000
	v_lshlrev_b32_e32 v50, 7, v50
	v_and_b32_e32 v52, 0x8000, v52
	v_and_b32_e32 v51, 0xfc00, v51
	v_or3_b32 v50, v52, v51, v50
.LBB317_645:                            ;   in Loop: Header=BB317_541 Depth=1
	s_or_b32 exec_lo, exec_lo, s13
.LBB317_646:                            ;   in Loop: Header=BB317_541 Depth=1
	s_or_b32 exec_lo, exec_lo, s12
.LBB317_647:                            ;   in Loop: Header=BB317_541 Depth=1
	s_or_b32 exec_lo, exec_lo, s9
	v_lshrrev_b16 v2, 8, v2
	v_mov_b32_e32 v51, 0
	s_mov_b32 s9, exec_lo
	v_cmpx_ne_u16_e32 0, v2
	s_cbranch_execz .LBB317_655
; %bb.648:                              ;   in Loop: Header=BB317_541 Depth=1
	v_bfrev_b32_e32 v51, 1
	s_mov_b32 s12, exec_lo
	v_cmpx_ne_u16_e32 0x80, v2
	s_cbranch_execz .LBB317_654
; %bb.649:                              ;   in Loop: Header=BB317_541 Depth=1
	v_and_b32_sdwa v53, v2, v28 dst_sel:DWORD dst_unused:UNUSED_PAD src0_sel:WORD_0 src1_sel:DWORD
	v_mov_b32_e32 v51, 0x7c010000
	s_mov_b32 s13, exec_lo
	v_cmpx_ne_u32_e32 0x7f, v53
	s_cbranch_execz .LBB317_653
; %bb.650:                              ;   in Loop: Header=BB317_541 Depth=1
	v_and_b32_sdwa v51, v2, v29 dst_sel:DWORD dst_unused:UNUSED_PAD src0_sel:WORD_0 src1_sel:DWORD
	v_lshrrev_b32_e32 v52, 3, v53
	s_mov_b32 s17, exec_lo
	v_cmpx_gt_u32_e32 8, v53
; %bb.651:                              ;   in Loop: Header=BB317_541 Depth=1
	v_ffbh_u32_e32 v51, v51
	v_min_u32_e32 v53, 32, v51
	v_subrev_nc_u32_e32 v51, 28, v53
	v_lshlrev_b64 v[51:52], v51, v[2:3]
	v_sub_nc_u32_e32 v52, 29, v53
	v_and_b32_e32 v51, 7, v51
; %bb.652:                              ;   in Loop: Header=BB317_541 Depth=1
	s_or_b32 exec_lo, exec_lo, s17
	v_lshlrev_b32_sdwa v2, v30, v2 dst_sel:DWORD dst_unused:UNUSED_PAD src0_sel:DWORD src1_sel:WORD_0
	v_lshl_add_u32 v52, v52, 10, 0x2000
	v_lshlrev_b32_e32 v51, 23, v51
	v_and_or_b32 v2, 0x8000, v2, v52
	v_lshl_or_b32 v51, v2, 16, v51
.LBB317_653:                            ;   in Loop: Header=BB317_541 Depth=1
	s_or_b32 exec_lo, exec_lo, s13
.LBB317_654:                            ;   in Loop: Header=BB317_541 Depth=1
	s_or_b32 exec_lo, exec_lo, s12
.LBB317_655:                            ;   in Loop: Header=BB317_541 Depth=1
	s_or_b32 exec_lo, exec_lo, s9
	v_lshrrev_b32_e32 v2, 16, v11
	v_cmp_ne_u16_sdwa s0, v2, v3 src0_sel:BYTE_0 src1_sel:DWORD
	s_and_saveexec_b32 s9, s0
	s_cbranch_execz .LBB317_663
; %bb.656:                              ;   in Loop: Header=BB317_541 Depth=1
	v_cmp_ne_u16_sdwa s0, v2, v27 src0_sel:BYTE_0 src1_sel:DWORD
	v_mov_b32_e32 v49, 0x8000
	s_and_saveexec_b32 s12, s0
	s_cbranch_execz .LBB317_662
; %bb.657:                              ;   in Loop: Header=BB317_541 Depth=1
	v_bfe_u32 v53, v11, 16, 7
	v_mov_b32_e32 v49, 0x7c01
	s_mov_b32 s13, exec_lo
	v_cmpx_ne_u32_e32 0x7f, v53
	s_cbranch_execz .LBB317_661
; %bb.658:                              ;   in Loop: Header=BB317_541 Depth=1
	v_and_b32_e32 v49, 7, v2
	v_lshrrev_b32_e32 v52, 3, v53
	s_mov_b32 s17, exec_lo
	v_cmpx_gt_u32_e32 8, v53
; %bb.659:                              ;   in Loop: Header=BB317_541 Depth=1
	v_ffbh_u32_e32 v49, v49
	v_min_u32_e32 v49, 32, v49
	v_subrev_nc_u32_e32 v52, 28, v49
	v_lshlrev_b64 v[53:54], v52, v[2:3]
	v_sub_nc_u32_e32 v52, 29, v49
	v_and_b32_e32 v49, 7, v53
; %bb.660:                              ;   in Loop: Header=BB317_541 Depth=1
	s_or_b32 exec_lo, exec_lo, s17
	v_lshlrev_b32_e32 v2, 8, v2
	v_lshl_add_u32 v52, v52, 10, 0x2000
	v_lshlrev_b32_e32 v49, 7, v49
	v_and_b32_e32 v2, 0x8000, v2
	v_and_b32_e32 v52, 0xfc00, v52
	v_or3_b32 v49, v2, v52, v49
.LBB317_661:                            ;   in Loop: Header=BB317_541 Depth=1
	s_or_b32 exec_lo, exec_lo, s13
.LBB317_662:                            ;   in Loop: Header=BB317_541 Depth=1
	s_or_b32 exec_lo, exec_lo, s12
.LBB317_663:                            ;   in Loop: Header=BB317_541 Depth=1
	s_or_b32 exec_lo, exec_lo, s9
	v_cmp_lt_u64_e64 s0, s[4:5], v[10:11]
	v_mov_b32_e32 v10, 0
	s_and_saveexec_b32 s9, s0
	s_cbranch_execz .LBB317_671
; %bb.664:                              ;   in Loop: Header=BB317_541 Depth=1
	v_lshrrev_b32_e32 v2, 24, v11
	v_bfrev_b32_e32 v10, 1
	s_mov_b32 s12, exec_lo
	v_cmpx_ne_u32_e32 0x80, v2
	s_cbranch_execz .LBB317_670
; %bb.665:                              ;   in Loop: Header=BB317_541 Depth=1
	v_and_b32_e32 v52, 0x7f, v2
	v_mov_b32_e32 v10, 0x7c010000
	s_mov_b32 s13, exec_lo
	v_cmpx_ne_u32_e32 0x7f, v52
	s_cbranch_execz .LBB317_669
; %bb.666:                              ;   in Loop: Header=BB317_541 Depth=1
	v_and_b32_e32 v10, 7, v2
	v_lshrrev_b32_e32 v11, 3, v52
	s_mov_b32 s17, exec_lo
	v_cmpx_gt_u32_e32 8, v52
; %bb.667:                              ;   in Loop: Header=BB317_541 Depth=1
	v_ffbh_u32_e32 v10, v10
	v_min_u32_e32 v52, 32, v10
	v_subrev_nc_u32_e32 v10, 28, v52
	v_lshlrev_b64 v[10:11], v10, v[2:3]
	v_sub_nc_u32_e32 v11, 29, v52
	v_and_b32_e32 v10, 7, v10
; %bb.668:                              ;   in Loop: Header=BB317_541 Depth=1
	s_or_b32 exec_lo, exec_lo, s17
	v_lshlrev_b32_e32 v2, 8, v2
	v_lshl_add_u32 v11, v11, 10, 0x2000
	v_lshlrev_b32_e32 v10, 23, v10
	v_and_or_b32 v2, 0x8000, v2, v11
	v_lshl_or_b32 v10, v2, 16, v10
.LBB317_669:                            ;   in Loop: Header=BB317_541 Depth=1
	s_or_b32 exec_lo, exec_lo, s13
.LBB317_670:                            ;   in Loop: Header=BB317_541 Depth=1
	s_or_b32 exec_lo, exec_lo, s12
.LBB317_671:                            ;   in Loop: Header=BB317_541 Depth=1
	s_or_b32 exec_lo, exec_lo, s9
	v_or_b32_e32 v2, v47, v48
	s_waitcnt vmcnt(0)
	v_fma_mixlo_f16 v11, v44, v47, 0 op_sel:[0,1,0] op_sel_hi:[0,1,0]
	v_or_b32_e32 v47, v45, v46
	v_fma_mixlo_f16 v45, v44, v45, 0 op_sel:[0,1,0] op_sel_hi:[0,1,0]
	v_or_b32_e32 v48, v51, v50
	v_or_b32_e32 v49, v10, v49
	v_fma_mixlo_f16 v50, v44, v2, 0 op_sel_hi:[0,1,0]
	v_fma_mixlo_f16 v10, v44, v10, 0 op_sel:[0,1,0] op_sel_hi:[0,1,0]
	v_lshlrev_b32_e32 v46, 16, v45
	v_fma_mixlo_f16 v45, v44, v47, 0 op_sel_hi:[0,1,0]
	v_fma_mixlo_f16 v47, v44, v51, 0 op_sel:[0,1,0] op_sel_hi:[0,1,0]
	v_fma_mixlo_f16 v48, v44, v48, 0 op_sel_hi:[0,1,0]
	v_fma_mixlo_f16 v49, v44, v49, 0 op_sel_hi:[0,1,0]
	v_lshlrev_b32_e32 v2, 16, v11
	v_and_b32_e32 v11, 0xffff, v50
	v_and_b32_e32 v52, 0xffff, v45
	v_lshlrev_b32_e32 v44, 16, v47
	v_and_b32_e32 v48, 0xffff, v48
	v_lshlrev_b32_e32 v10, 16, v10
	v_and_b32_e32 v45, 0xffff, v49
	v_or_b32_e32 v47, v2, v11
	v_or_b32_e32 v51, v46, v52
	;; [unrolled: 1-line block ×4, first 2 shown]
	s_and_saveexec_b32 s9, vcc_lo
	s_cbranch_execz .LBB317_673
; %bb.672:                              ;   in Loop: Header=BB317_541 Depth=1
	v_cmp_gt_i32_e64 s0, s29, v31
	v_cndmask_b32_e64 v47, 0, v52, s0
	v_cmp_gt_i32_e64 s0, s29, v37
	v_cndmask_b32_e64 v46, 0, v46, s0
	v_cmp_gt_i32_e64 s0, s29, v36
	v_or_b32_e32 v51, v46, v47
	v_cndmask_b32_e64 v11, 0, v11, s0
	v_cmp_gt_i32_e64 s0, s29, v35
	v_cndmask_b32_e64 v2, 0, v2, s0
	v_cmp_gt_i32_e64 s0, s29, v34
	v_or_b32_e32 v47, v2, v11
	;; [unrolled: 5-line block ×3, first 2 shown]
	v_cndmask_b32_e64 v45, 0, v45, s0
	v_cmp_gt_i32_e64 s0, s29, v25
	v_cndmask_b32_e64 v10, 0, v10, s0
	v_or_b32_e32 v49, v10, v45
.LBB317_673:                            ;   in Loop: Header=BB317_541 Depth=1
	s_or_b32 exec_lo, exec_lo, s9
	;;#ASMSTART
	v_pk_mul_f16 v2, v42, v51;

	;;#ASMEND
	;;#ASMSTART
	v_pk_mul_f16 v10, v40, v47;

	;;#ASMEND
	;; [unrolled: 4-line block ×4, first 2 shown]
	;;#ASMSTART
	v_pk_add_f16 v2, v2, v10;

	;;#ASMEND
	;;#ASMSTART
	v_pk_add_f16 v2, v2, v11;

	;;#ASMEND
	;;#ASMSTART
	v_pk_add_f16 v2, v2, v44;

	;;#ASMEND
	v_and_b32_e32 v10, 0xffff, v2
	v_lshrrev_b32_e32 v2, 16, v2
	;;#ASMSTART
	v_cvt_f32_f16 v44, v10;
	;;#ASMEND
	;;#ASMSTART
	v_cvt_f32_f16 v45, v2;
	;;#ASMEND
	global_load_dwordx2 v[10:11], v[8:9], off offset:512
	v_mov_b32_e32 v47, 0
	v_mov_b32_e32 v48, 0
	global_load_dword v46, v47, s[14:15]
	s_waitcnt vmcnt(1)
	v_cmp_ne_u16_sdwa s0, v10, v3 src0_sel:BYTE_0 src1_sel:DWORD
	s_and_saveexec_b32 s9, s0
	s_cbranch_execz .LBB317_681
; %bb.674:                              ;   in Loop: Header=BB317_541 Depth=1
	v_cmp_ne_u16_sdwa s0, v10, v27 src0_sel:BYTE_0 src1_sel:DWORD
	v_mov_b32_e32 v48, 0x8000
	s_and_saveexec_b32 s12, s0
	s_cbranch_execz .LBB317_680
; %bb.675:                              ;   in Loop: Header=BB317_541 Depth=1
	v_and_b32_e32 v49, 0x7f, v10
	v_mov_b32_e32 v48, 0x7c01
	s_mov_b32 s13, exec_lo
	v_cmpx_ne_u32_e32 0x7f, v49
	s_cbranch_execz .LBB317_679
; %bb.676:                              ;   in Loop: Header=BB317_541 Depth=1
	v_and_b32_e32 v2, 7, v10
	v_lshrrev_b32_e32 v48, 3, v49
	s_mov_b32 s17, exec_lo
	v_cmpx_gt_u32_e32 8, v49
; %bb.677:                              ;   in Loop: Header=BB317_541 Depth=1
	v_ffbh_u32_e32 v2, v2
	v_min_u32_e32 v2, 32, v2
	v_subrev_nc_u32_e32 v48, 28, v2
	v_lshlrev_b64 v[49:50], v48, v[10:11]
	v_sub_nc_u32_e32 v48, 29, v2
	v_and_b32_e32 v2, 7, v49
; %bb.678:                              ;   in Loop: Header=BB317_541 Depth=1
	s_or_b32 exec_lo, exec_lo, s17
	v_lshlrev_b32_e32 v49, 8, v10
	v_lshl_add_u32 v48, v48, 10, 0x2000
	v_lshlrev_b32_e32 v2, 7, v2
	v_and_b32_e32 v49, 0x8000, v49
	v_and_b32_e32 v48, 0xfc00, v48
	v_or3_b32 v48, v49, v48, v2
.LBB317_679:                            ;   in Loop: Header=BB317_541 Depth=1
	s_or_b32 exec_lo, exec_lo, s13
.LBB317_680:                            ;   in Loop: Header=BB317_541 Depth=1
	s_or_b32 exec_lo, exec_lo, s12
.LBB317_681:                            ;   in Loop: Header=BB317_541 Depth=1
	s_or_b32 exec_lo, exec_lo, s9
	v_lshrrev_b16 v2, 8, v10
	s_mov_b32 s9, exec_lo
	v_cmpx_ne_u16_e32 0, v2
	s_cbranch_execz .LBB317_689
; %bb.682:                              ;   in Loop: Header=BB317_541 Depth=1
	v_bfrev_b32_e32 v47, 1
	s_mov_b32 s12, exec_lo
	v_cmpx_ne_u16_e32 0x80, v2
	s_cbranch_execz .LBB317_688
; %bb.683:                              ;   in Loop: Header=BB317_541 Depth=1
	v_and_b32_sdwa v50, v2, v28 dst_sel:DWORD dst_unused:UNUSED_PAD src0_sel:WORD_0 src1_sel:DWORD
	v_mov_b32_e32 v47, 0x7c010000
	s_mov_b32 s13, exec_lo
	v_cmpx_ne_u32_e32 0x7f, v50
	s_cbranch_execz .LBB317_687
; %bb.684:                              ;   in Loop: Header=BB317_541 Depth=1
	v_and_b32_sdwa v47, v2, v29 dst_sel:DWORD dst_unused:UNUSED_PAD src0_sel:WORD_0 src1_sel:DWORD
	v_lshrrev_b32_e32 v49, 3, v50
	s_mov_b32 s17, exec_lo
	v_cmpx_gt_u32_e32 8, v50
; %bb.685:                              ;   in Loop: Header=BB317_541 Depth=1
	v_ffbh_u32_e32 v47, v47
	v_min_u32_e32 v47, 32, v47
	v_subrev_nc_u32_e32 v49, 28, v47
	v_lshlrev_b64 v[50:51], v49, v[2:3]
	v_sub_nc_u32_e32 v49, 29, v47
	v_and_b32_e32 v47, 7, v50
; %bb.686:                              ;   in Loop: Header=BB317_541 Depth=1
	s_or_b32 exec_lo, exec_lo, s17
	v_lshlrev_b32_sdwa v2, v30, v2 dst_sel:DWORD dst_unused:UNUSED_PAD src0_sel:DWORD src1_sel:WORD_0
	v_lshl_add_u32 v49, v49, 10, 0x2000
	v_lshlrev_b32_e32 v47, 23, v47
	v_and_or_b32 v2, 0x8000, v2, v49
	v_lshl_or_b32 v47, v2, 16, v47
.LBB317_687:                            ;   in Loop: Header=BB317_541 Depth=1
	s_or_b32 exec_lo, exec_lo, s13
.LBB317_688:                            ;   in Loop: Header=BB317_541 Depth=1
	s_or_b32 exec_lo, exec_lo, s12
.LBB317_689:                            ;   in Loop: Header=BB317_541 Depth=1
	s_or_b32 exec_lo, exec_lo, s9
	v_lshrrev_b32_e32 v2, 16, v10
	v_mov_b32_e32 v49, 0
	v_mov_b32_e32 v50, 0
	v_cmp_ne_u16_sdwa s0, v2, v3 src0_sel:BYTE_0 src1_sel:DWORD
	s_and_saveexec_b32 s9, s0
	s_cbranch_execz .LBB317_697
; %bb.690:                              ;   in Loop: Header=BB317_541 Depth=1
	v_cmp_ne_u16_sdwa s0, v2, v27 src0_sel:BYTE_0 src1_sel:DWORD
	v_mov_b32_e32 v50, 0x8000
	s_and_saveexec_b32 s12, s0
	s_cbranch_execz .LBB317_696
; %bb.691:                              ;   in Loop: Header=BB317_541 Depth=1
	v_bfe_u32 v52, v10, 16, 7
	v_mov_b32_e32 v50, 0x7c01
	s_mov_b32 s13, exec_lo
	v_cmpx_ne_u32_e32 0x7f, v52
	s_cbranch_execz .LBB317_695
; %bb.692:                              ;   in Loop: Header=BB317_541 Depth=1
	v_and_b32_e32 v50, 7, v2
	v_lshrrev_b32_e32 v51, 3, v52
	s_mov_b32 s17, exec_lo
	v_cmpx_gt_u32_e32 8, v52
; %bb.693:                              ;   in Loop: Header=BB317_541 Depth=1
	v_ffbh_u32_e32 v50, v50
	v_min_u32_e32 v52, 32, v50
	v_subrev_nc_u32_e32 v50, 28, v52
	v_lshlrev_b64 v[50:51], v50, v[2:3]
	v_sub_nc_u32_e32 v51, 29, v52
	v_and_b32_e32 v50, 7, v50
; %bb.694:                              ;   in Loop: Header=BB317_541 Depth=1
	s_or_b32 exec_lo, exec_lo, s17
	v_lshlrev_b32_e32 v2, 8, v2
	v_lshl_add_u32 v51, v51, 10, 0x2000
	v_lshlrev_b32_e32 v50, 7, v50
	v_and_b32_e32 v2, 0x8000, v2
	v_and_b32_e32 v51, 0xfc00, v51
	v_or3_b32 v50, v2, v51, v50
.LBB317_695:                            ;   in Loop: Header=BB317_541 Depth=1
	s_or_b32 exec_lo, exec_lo, s13
.LBB317_696:                            ;   in Loop: Header=BB317_541 Depth=1
	s_or_b32 exec_lo, exec_lo, s12
.LBB317_697:                            ;   in Loop: Header=BB317_541 Depth=1
	s_or_b32 exec_lo, exec_lo, s9
	s_mov_b32 s9, exec_lo
	v_cmpx_lt_u32_e32 0xffffff, v10
	s_cbranch_execz .LBB317_705
; %bb.698:                              ;   in Loop: Header=BB317_541 Depth=1
	v_lshrrev_b32_e32 v2, 24, v10
	v_bfrev_b32_e32 v49, 1
	s_mov_b32 s12, exec_lo
	v_cmpx_ne_u32_e32 0x80, v2
	s_cbranch_execz .LBB317_704
; %bb.699:                              ;   in Loop: Header=BB317_541 Depth=1
	v_and_b32_e32 v52, 0x7f, v2
	v_mov_b32_e32 v49, 0x7c010000
	s_mov_b32 s13, exec_lo
	v_cmpx_ne_u32_e32 0x7f, v52
	s_cbranch_execz .LBB317_703
; %bb.700:                              ;   in Loop: Header=BB317_541 Depth=1
	v_and_b32_e32 v49, 7, v2
	v_lshrrev_b32_e32 v51, 3, v52
	s_mov_b32 s17, exec_lo
	v_cmpx_gt_u32_e32 8, v52
; %bb.701:                              ;   in Loop: Header=BB317_541 Depth=1
	v_ffbh_u32_e32 v49, v49
	v_min_u32_e32 v49, 32, v49
	v_subrev_nc_u32_e32 v51, 28, v49
	v_lshlrev_b64 v[52:53], v51, v[2:3]
	v_sub_nc_u32_e32 v51, 29, v49
	v_and_b32_e32 v49, 7, v52
; %bb.702:                              ;   in Loop: Header=BB317_541 Depth=1
	s_or_b32 exec_lo, exec_lo, s17
	v_lshlrev_b32_e32 v2, 8, v2
	v_lshl_add_u32 v51, v51, 10, 0x2000
	v_lshlrev_b32_e32 v49, 23, v49
	v_and_or_b32 v2, 0x8000, v2, v51
	v_lshl_or_b32 v49, v2, 16, v49
.LBB317_703:                            ;   in Loop: Header=BB317_541 Depth=1
	s_or_b32 exec_lo, exec_lo, s13
.LBB317_704:                            ;   in Loop: Header=BB317_541 Depth=1
	s_or_b32 exec_lo, exec_lo, s12
.LBB317_705:                            ;   in Loop: Header=BB317_541 Depth=1
	s_or_b32 exec_lo, exec_lo, s9
	v_mov_b32_e32 v2, v11
	v_cmp_ne_u16_sdwa s0, v11, v3 src0_sel:BYTE_0 src1_sel:DWORD
	v_mov_b32_e32 v51, 0
	v_mov_b32_e32 v52, 0
	s_and_saveexec_b32 s9, s0
	s_cbranch_execz .LBB317_713
; %bb.706:                              ;   in Loop: Header=BB317_541 Depth=1
	v_cmp_ne_u16_sdwa s0, v11, v27 src0_sel:BYTE_0 src1_sel:DWORD
	v_mov_b32_e32 v52, 0x8000
	s_and_saveexec_b32 s12, s0
	s_cbranch_execz .LBB317_712
; %bb.707:                              ;   in Loop: Header=BB317_541 Depth=1
	v_and_b32_e32 v54, 0x7f, v11
	v_mov_b32_e32 v52, 0x7c01
	s_mov_b32 s13, exec_lo
	v_cmpx_ne_u32_e32 0x7f, v54
	s_cbranch_execz .LBB317_711
; %bb.708:                              ;   in Loop: Header=BB317_541 Depth=1
	v_and_b32_e32 v52, 7, v11
	v_lshrrev_b32_e32 v53, 3, v54
	s_mov_b32 s17, exec_lo
	v_cmpx_gt_u32_e32 8, v54
; %bb.709:                              ;   in Loop: Header=BB317_541 Depth=1
	v_ffbh_u32_e32 v52, v52
	v_min_u32_e32 v54, 32, v52
	v_subrev_nc_u32_e32 v52, 28, v54
	v_lshlrev_b64 v[52:53], v52, v[2:3]
	v_sub_nc_u32_e32 v53, 29, v54
	v_and_b32_e32 v52, 7, v52
; %bb.710:                              ;   in Loop: Header=BB317_541 Depth=1
	s_or_b32 exec_lo, exec_lo, s17
	v_lshlrev_b32_e32 v54, 8, v11
	v_lshl_add_u32 v53, v53, 10, 0x2000
	v_lshlrev_b32_e32 v52, 7, v52
	v_and_b32_e32 v54, 0x8000, v54
	v_and_b32_e32 v53, 0xfc00, v53
	v_or3_b32 v52, v54, v53, v52
.LBB317_711:                            ;   in Loop: Header=BB317_541 Depth=1
	s_or_b32 exec_lo, exec_lo, s13
.LBB317_712:                            ;   in Loop: Header=BB317_541 Depth=1
	s_or_b32 exec_lo, exec_lo, s12
.LBB317_713:                            ;   in Loop: Header=BB317_541 Depth=1
	s_or_b32 exec_lo, exec_lo, s9
	v_lshrrev_b16 v2, 8, v2
	v_mov_b32_e32 v53, 0
	s_mov_b32 s9, exec_lo
	v_cmpx_ne_u16_e32 0, v2
	s_cbranch_execz .LBB317_721
; %bb.714:                              ;   in Loop: Header=BB317_541 Depth=1
	v_bfrev_b32_e32 v53, 1
	s_mov_b32 s12, exec_lo
	v_cmpx_ne_u16_e32 0x80, v2
	s_cbranch_execz .LBB317_720
; %bb.715:                              ;   in Loop: Header=BB317_541 Depth=1
	v_and_b32_sdwa v55, v2, v28 dst_sel:DWORD dst_unused:UNUSED_PAD src0_sel:WORD_0 src1_sel:DWORD
	v_mov_b32_e32 v53, 0x7c010000
	s_mov_b32 s13, exec_lo
	v_cmpx_ne_u32_e32 0x7f, v55
	s_cbranch_execz .LBB317_719
; %bb.716:                              ;   in Loop: Header=BB317_541 Depth=1
	v_and_b32_sdwa v53, v2, v29 dst_sel:DWORD dst_unused:UNUSED_PAD src0_sel:WORD_0 src1_sel:DWORD
	v_lshrrev_b32_e32 v54, 3, v55
	s_mov_b32 s17, exec_lo
	v_cmpx_gt_u32_e32 8, v55
; %bb.717:                              ;   in Loop: Header=BB317_541 Depth=1
	v_ffbh_u32_e32 v53, v53
	v_min_u32_e32 v55, 32, v53
	v_subrev_nc_u32_e32 v53, 28, v55
	v_lshlrev_b64 v[53:54], v53, v[2:3]
	v_sub_nc_u32_e32 v54, 29, v55
	v_and_b32_e32 v53, 7, v53
; %bb.718:                              ;   in Loop: Header=BB317_541 Depth=1
	s_or_b32 exec_lo, exec_lo, s17
	v_lshlrev_b32_sdwa v2, v30, v2 dst_sel:DWORD dst_unused:UNUSED_PAD src0_sel:DWORD src1_sel:WORD_0
	v_lshl_add_u32 v54, v54, 10, 0x2000
	v_lshlrev_b32_e32 v53, 23, v53
	v_and_or_b32 v2, 0x8000, v2, v54
	v_lshl_or_b32 v53, v2, 16, v53
.LBB317_719:                            ;   in Loop: Header=BB317_541 Depth=1
	s_or_b32 exec_lo, exec_lo, s13
.LBB317_720:                            ;   in Loop: Header=BB317_541 Depth=1
	s_or_b32 exec_lo, exec_lo, s12
.LBB317_721:                            ;   in Loop: Header=BB317_541 Depth=1
	s_or_b32 exec_lo, exec_lo, s9
	v_lshrrev_b32_e32 v2, 16, v11
	v_cmp_ne_u16_sdwa s0, v2, v3 src0_sel:BYTE_0 src1_sel:DWORD
	s_and_saveexec_b32 s9, s0
	s_cbranch_execz .LBB317_729
; %bb.722:                              ;   in Loop: Header=BB317_541 Depth=1
	v_cmp_ne_u16_sdwa s0, v2, v27 src0_sel:BYTE_0 src1_sel:DWORD
	v_mov_b32_e32 v51, 0x8000
	s_and_saveexec_b32 s12, s0
	s_cbranch_execz .LBB317_728
; %bb.723:                              ;   in Loop: Header=BB317_541 Depth=1
	v_bfe_u32 v55, v11, 16, 7
	v_mov_b32_e32 v51, 0x7c01
	s_mov_b32 s13, exec_lo
	v_cmpx_ne_u32_e32 0x7f, v55
	s_cbranch_execz .LBB317_727
; %bb.724:                              ;   in Loop: Header=BB317_541 Depth=1
	v_and_b32_e32 v51, 7, v2
	v_lshrrev_b32_e32 v54, 3, v55
	s_mov_b32 s17, exec_lo
	v_cmpx_gt_u32_e32 8, v55
; %bb.725:                              ;   in Loop: Header=BB317_541 Depth=1
	v_ffbh_u32_e32 v51, v51
	v_min_u32_e32 v51, 32, v51
	v_subrev_nc_u32_e32 v54, 28, v51
	v_lshlrev_b64 v[55:56], v54, v[2:3]
	v_sub_nc_u32_e32 v54, 29, v51
	v_and_b32_e32 v51, 7, v55
; %bb.726:                              ;   in Loop: Header=BB317_541 Depth=1
	s_or_b32 exec_lo, exec_lo, s17
	v_lshlrev_b32_e32 v2, 8, v2
	v_lshl_add_u32 v54, v54, 10, 0x2000
	v_lshlrev_b32_e32 v51, 7, v51
	v_and_b32_e32 v2, 0x8000, v2
	v_and_b32_e32 v54, 0xfc00, v54
	v_or3_b32 v51, v2, v54, v51
.LBB317_727:                            ;   in Loop: Header=BB317_541 Depth=1
	s_or_b32 exec_lo, exec_lo, s13
.LBB317_728:                            ;   in Loop: Header=BB317_541 Depth=1
	s_or_b32 exec_lo, exec_lo, s12
.LBB317_729:                            ;   in Loop: Header=BB317_541 Depth=1
	s_or_b32 exec_lo, exec_lo, s9
	v_cmp_lt_u64_e64 s0, s[4:5], v[10:11]
	v_mov_b32_e32 v10, 0
	s_and_saveexec_b32 s9, s0
	s_cbranch_execz .LBB317_737
; %bb.730:                              ;   in Loop: Header=BB317_541 Depth=1
	v_lshrrev_b32_e32 v2, 24, v11
	v_bfrev_b32_e32 v10, 1
	s_mov_b32 s12, exec_lo
	v_cmpx_ne_u32_e32 0x80, v2
	s_cbranch_execz .LBB317_736
; %bb.731:                              ;   in Loop: Header=BB317_541 Depth=1
	v_and_b32_e32 v54, 0x7f, v2
	v_mov_b32_e32 v10, 0x7c010000
	s_mov_b32 s13, exec_lo
	v_cmpx_ne_u32_e32 0x7f, v54
	s_cbranch_execz .LBB317_735
; %bb.732:                              ;   in Loop: Header=BB317_541 Depth=1
	v_and_b32_e32 v10, 7, v2
	v_lshrrev_b32_e32 v11, 3, v54
	s_mov_b32 s17, exec_lo
	v_cmpx_gt_u32_e32 8, v54
; %bb.733:                              ;   in Loop: Header=BB317_541 Depth=1
	v_ffbh_u32_e32 v10, v10
	v_min_u32_e32 v54, 32, v10
	v_subrev_nc_u32_e32 v10, 28, v54
	v_lshlrev_b64 v[10:11], v10, v[2:3]
	v_sub_nc_u32_e32 v11, 29, v54
	v_and_b32_e32 v10, 7, v10
; %bb.734:                              ;   in Loop: Header=BB317_541 Depth=1
	s_or_b32 exec_lo, exec_lo, s17
	v_lshlrev_b32_e32 v2, 8, v2
	v_lshl_add_u32 v11, v11, 10, 0x2000
	v_lshlrev_b32_e32 v10, 23, v10
	v_and_or_b32 v2, 0x8000, v2, v11
	v_lshl_or_b32 v10, v2, 16, v10
.LBB317_735:                            ;   in Loop: Header=BB317_541 Depth=1
	s_or_b32 exec_lo, exec_lo, s13
.LBB317_736:                            ;   in Loop: Header=BB317_541 Depth=1
	s_or_b32 exec_lo, exec_lo, s12
.LBB317_737:                            ;   in Loop: Header=BB317_541 Depth=1
	s_or_b32 exec_lo, exec_lo, s9
	v_or_b32_e32 v2, v49, v50
	s_waitcnt vmcnt(0)
	v_fma_mixlo_f16 v11, v46, v49, 0 op_sel:[0,1,0] op_sel_hi:[0,1,0]
	v_or_b32_e32 v49, v47, v48
	v_fma_mixlo_f16 v47, v46, v47, 0 op_sel:[0,1,0] op_sel_hi:[0,1,0]
	v_or_b32_e32 v50, v53, v52
	v_or_b32_e32 v51, v10, v51
	v_fma_mixlo_f16 v52, v46, v2, 0 op_sel_hi:[0,1,0]
	v_fma_mixlo_f16 v10, v46, v10, 0 op_sel:[0,1,0] op_sel_hi:[0,1,0]
	v_lshlrev_b32_e32 v48, 16, v47
	v_fma_mixlo_f16 v47, v46, v49, 0 op_sel_hi:[0,1,0]
	v_fma_mixlo_f16 v49, v46, v53, 0 op_sel:[0,1,0] op_sel_hi:[0,1,0]
	v_fma_mixlo_f16 v50, v46, v50, 0 op_sel_hi:[0,1,0]
	v_fma_mixlo_f16 v51, v46, v51, 0 op_sel_hi:[0,1,0]
	v_lshlrev_b32_e32 v2, 16, v11
	v_and_b32_e32 v11, 0xffff, v52
	v_and_b32_e32 v54, 0xffff, v47
	v_lshlrev_b32_e32 v46, 16, v49
	v_and_b32_e32 v50, 0xffff, v50
	v_lshlrev_b32_e32 v10, 16, v10
	v_and_b32_e32 v47, 0xffff, v51
	v_or_b32_e32 v49, v2, v11
	v_or_b32_e32 v53, v48, v54
	;; [unrolled: 1-line block ×4, first 2 shown]
	s_and_saveexec_b32 s9, vcc_lo
	s_cbranch_execz .LBB317_739
; %bb.738:                              ;   in Loop: Header=BB317_541 Depth=1
	v_cmp_gt_i32_e64 s0, s29, v31
	v_cndmask_b32_e64 v49, 0, v54, s0
	v_cmp_gt_i32_e64 s0, s29, v37
	v_cndmask_b32_e64 v48, 0, v48, s0
	v_cmp_gt_i32_e64 s0, s29, v36
	v_or_b32_e32 v53, v48, v49
	v_cndmask_b32_e64 v11, 0, v11, s0
	v_cmp_gt_i32_e64 s0, s29, v35
	v_cndmask_b32_e64 v2, 0, v2, s0
	v_cmp_gt_i32_e64 s0, s29, v34
	v_or_b32_e32 v49, v2, v11
	;; [unrolled: 5-line block ×3, first 2 shown]
	v_cndmask_b32_e64 v47, 0, v47, s0
	v_cmp_gt_i32_e64 s0, s29, v25
	v_cndmask_b32_e64 v10, 0, v10, s0
	v_or_b32_e32 v51, v10, v47
.LBB317_739:                            ;   in Loop: Header=BB317_541 Depth=1
	s_or_b32 exec_lo, exec_lo, s9
	;;#ASMSTART
	v_pk_mul_f16 v2, v42, v53;

	;;#ASMEND
	;;#ASMSTART
	v_pk_mul_f16 v10, v40, v49;

	;;#ASMEND
	;; [unrolled: 4-line block ×4, first 2 shown]
	;;#ASMSTART
	v_pk_add_f16 v2, v2, v10;

	;;#ASMEND
	;;#ASMSTART
	v_pk_add_f16 v2, v2, v11;

	;;#ASMEND
	;; [unrolled: 4-line block ×3, first 2 shown]
	v_and_b32_e32 v10, 0xffff, v2
	v_lshrrev_b32_e32 v2, 16, v2
	;;#ASMSTART
	v_cvt_f32_f16 v46, v10;
	;;#ASMEND
	;;#ASMSTART
	v_cvt_f32_f16 v47, v2;
	;;#ASMEND
	global_load_dwordx2 v[10:11], v[8:9], off offset:768
	v_mov_b32_e32 v49, 0
	v_mov_b32_e32 v50, 0
	global_load_dword v48, v49, s[14:15]
	s_waitcnt vmcnt(1)
	v_cmp_ne_u16_sdwa s0, v10, v3 src0_sel:BYTE_0 src1_sel:DWORD
	s_and_saveexec_b32 s9, s0
	s_cbranch_execz .LBB317_747
; %bb.740:                              ;   in Loop: Header=BB317_541 Depth=1
	v_cmp_ne_u16_sdwa s0, v10, v27 src0_sel:BYTE_0 src1_sel:DWORD
	v_mov_b32_e32 v50, 0x8000
	s_and_saveexec_b32 s12, s0
	s_cbranch_execz .LBB317_746
; %bb.741:                              ;   in Loop: Header=BB317_541 Depth=1
	v_and_b32_e32 v51, 0x7f, v10
	v_mov_b32_e32 v50, 0x7c01
	s_mov_b32 s13, exec_lo
	v_cmpx_ne_u32_e32 0x7f, v51
	s_cbranch_execz .LBB317_745
; %bb.742:                              ;   in Loop: Header=BB317_541 Depth=1
	v_and_b32_e32 v2, 7, v10
	v_lshrrev_b32_e32 v50, 3, v51
	s_mov_b32 s17, exec_lo
	v_cmpx_gt_u32_e32 8, v51
; %bb.743:                              ;   in Loop: Header=BB317_541 Depth=1
	v_ffbh_u32_e32 v2, v2
	v_min_u32_e32 v2, 32, v2
	v_subrev_nc_u32_e32 v50, 28, v2
	v_lshlrev_b64 v[51:52], v50, v[10:11]
	v_sub_nc_u32_e32 v50, 29, v2
	v_and_b32_e32 v2, 7, v51
; %bb.744:                              ;   in Loop: Header=BB317_541 Depth=1
	s_or_b32 exec_lo, exec_lo, s17
	v_lshlrev_b32_e32 v51, 8, v10
	v_lshl_add_u32 v50, v50, 10, 0x2000
	v_lshlrev_b32_e32 v2, 7, v2
	v_and_b32_e32 v51, 0x8000, v51
	v_and_b32_e32 v50, 0xfc00, v50
	v_or3_b32 v50, v51, v50, v2
.LBB317_745:                            ;   in Loop: Header=BB317_541 Depth=1
	s_or_b32 exec_lo, exec_lo, s13
.LBB317_746:                            ;   in Loop: Header=BB317_541 Depth=1
	s_or_b32 exec_lo, exec_lo, s12
.LBB317_747:                            ;   in Loop: Header=BB317_541 Depth=1
	s_or_b32 exec_lo, exec_lo, s9
	v_lshrrev_b16 v2, 8, v10
	s_mov_b32 s9, exec_lo
	v_cmpx_ne_u16_e32 0, v2
	s_cbranch_execz .LBB317_755
; %bb.748:                              ;   in Loop: Header=BB317_541 Depth=1
	v_bfrev_b32_e32 v49, 1
	s_mov_b32 s12, exec_lo
	v_cmpx_ne_u16_e32 0x80, v2
	s_cbranch_execz .LBB317_754
; %bb.749:                              ;   in Loop: Header=BB317_541 Depth=1
	v_and_b32_sdwa v52, v2, v28 dst_sel:DWORD dst_unused:UNUSED_PAD src0_sel:WORD_0 src1_sel:DWORD
	v_mov_b32_e32 v49, 0x7c010000
	s_mov_b32 s13, exec_lo
	v_cmpx_ne_u32_e32 0x7f, v52
	s_cbranch_execz .LBB317_753
; %bb.750:                              ;   in Loop: Header=BB317_541 Depth=1
	v_and_b32_sdwa v49, v2, v29 dst_sel:DWORD dst_unused:UNUSED_PAD src0_sel:WORD_0 src1_sel:DWORD
	v_lshrrev_b32_e32 v51, 3, v52
	s_mov_b32 s17, exec_lo
	v_cmpx_gt_u32_e32 8, v52
; %bb.751:                              ;   in Loop: Header=BB317_541 Depth=1
	v_ffbh_u32_e32 v49, v49
	v_min_u32_e32 v49, 32, v49
	v_subrev_nc_u32_e32 v51, 28, v49
	v_lshlrev_b64 v[52:53], v51, v[2:3]
	v_sub_nc_u32_e32 v51, 29, v49
	v_and_b32_e32 v49, 7, v52
; %bb.752:                              ;   in Loop: Header=BB317_541 Depth=1
	s_or_b32 exec_lo, exec_lo, s17
	v_lshlrev_b32_sdwa v2, v30, v2 dst_sel:DWORD dst_unused:UNUSED_PAD src0_sel:DWORD src1_sel:WORD_0
	v_lshl_add_u32 v51, v51, 10, 0x2000
	v_lshlrev_b32_e32 v49, 23, v49
	v_and_or_b32 v2, 0x8000, v2, v51
	v_lshl_or_b32 v49, v2, 16, v49
.LBB317_753:                            ;   in Loop: Header=BB317_541 Depth=1
	s_or_b32 exec_lo, exec_lo, s13
.LBB317_754:                            ;   in Loop: Header=BB317_541 Depth=1
	s_or_b32 exec_lo, exec_lo, s12
.LBB317_755:                            ;   in Loop: Header=BB317_541 Depth=1
	s_or_b32 exec_lo, exec_lo, s9
	v_lshrrev_b32_e32 v2, 16, v10
	v_mov_b32_e32 v51, 0
	v_mov_b32_e32 v52, 0
	v_cmp_ne_u16_sdwa s0, v2, v3 src0_sel:BYTE_0 src1_sel:DWORD
	s_and_saveexec_b32 s9, s0
	s_cbranch_execz .LBB317_763
; %bb.756:                              ;   in Loop: Header=BB317_541 Depth=1
	v_cmp_ne_u16_sdwa s0, v2, v27 src0_sel:BYTE_0 src1_sel:DWORD
	v_mov_b32_e32 v52, 0x8000
	s_and_saveexec_b32 s12, s0
	s_cbranch_execz .LBB317_762
; %bb.757:                              ;   in Loop: Header=BB317_541 Depth=1
	v_bfe_u32 v54, v10, 16, 7
	v_mov_b32_e32 v52, 0x7c01
	s_mov_b32 s13, exec_lo
	v_cmpx_ne_u32_e32 0x7f, v54
	s_cbranch_execz .LBB317_761
; %bb.758:                              ;   in Loop: Header=BB317_541 Depth=1
	v_and_b32_e32 v52, 7, v2
	v_lshrrev_b32_e32 v53, 3, v54
	s_mov_b32 s17, exec_lo
	v_cmpx_gt_u32_e32 8, v54
; %bb.759:                              ;   in Loop: Header=BB317_541 Depth=1
	v_ffbh_u32_e32 v52, v52
	v_min_u32_e32 v54, 32, v52
	v_subrev_nc_u32_e32 v52, 28, v54
	v_lshlrev_b64 v[52:53], v52, v[2:3]
	v_sub_nc_u32_e32 v53, 29, v54
	v_and_b32_e32 v52, 7, v52
; %bb.760:                              ;   in Loop: Header=BB317_541 Depth=1
	s_or_b32 exec_lo, exec_lo, s17
	v_lshlrev_b32_e32 v2, 8, v2
	v_lshl_add_u32 v53, v53, 10, 0x2000
	v_lshlrev_b32_e32 v52, 7, v52
	v_and_b32_e32 v2, 0x8000, v2
	v_and_b32_e32 v53, 0xfc00, v53
	v_or3_b32 v52, v2, v53, v52
.LBB317_761:                            ;   in Loop: Header=BB317_541 Depth=1
	s_or_b32 exec_lo, exec_lo, s13
.LBB317_762:                            ;   in Loop: Header=BB317_541 Depth=1
	s_or_b32 exec_lo, exec_lo, s12
.LBB317_763:                            ;   in Loop: Header=BB317_541 Depth=1
	s_or_b32 exec_lo, exec_lo, s9
	s_mov_b32 s9, exec_lo
	v_cmpx_lt_u32_e32 0xffffff, v10
	s_cbranch_execz .LBB317_771
; %bb.764:                              ;   in Loop: Header=BB317_541 Depth=1
	v_lshrrev_b32_e32 v2, 24, v10
	v_bfrev_b32_e32 v51, 1
	s_mov_b32 s12, exec_lo
	v_cmpx_ne_u32_e32 0x80, v2
	s_cbranch_execz .LBB317_770
; %bb.765:                              ;   in Loop: Header=BB317_541 Depth=1
	v_and_b32_e32 v54, 0x7f, v2
	v_mov_b32_e32 v51, 0x7c010000
	s_mov_b32 s13, exec_lo
	v_cmpx_ne_u32_e32 0x7f, v54
	s_cbranch_execz .LBB317_769
; %bb.766:                              ;   in Loop: Header=BB317_541 Depth=1
	v_and_b32_e32 v51, 7, v2
	v_lshrrev_b32_e32 v53, 3, v54
	s_mov_b32 s17, exec_lo
	v_cmpx_gt_u32_e32 8, v54
; %bb.767:                              ;   in Loop: Header=BB317_541 Depth=1
	v_ffbh_u32_e32 v51, v51
	v_min_u32_e32 v51, 32, v51
	v_subrev_nc_u32_e32 v53, 28, v51
	v_lshlrev_b64 v[54:55], v53, v[2:3]
	v_sub_nc_u32_e32 v53, 29, v51
	v_and_b32_e32 v51, 7, v54
; %bb.768:                              ;   in Loop: Header=BB317_541 Depth=1
	s_or_b32 exec_lo, exec_lo, s17
	v_lshlrev_b32_e32 v2, 8, v2
	v_lshl_add_u32 v53, v53, 10, 0x2000
	v_lshlrev_b32_e32 v51, 23, v51
	v_and_or_b32 v2, 0x8000, v2, v53
	v_lshl_or_b32 v51, v2, 16, v51
.LBB317_769:                            ;   in Loop: Header=BB317_541 Depth=1
	s_or_b32 exec_lo, exec_lo, s13
.LBB317_770:                            ;   in Loop: Header=BB317_541 Depth=1
	s_or_b32 exec_lo, exec_lo, s12
.LBB317_771:                            ;   in Loop: Header=BB317_541 Depth=1
	s_or_b32 exec_lo, exec_lo, s9
	v_mov_b32_e32 v2, v11
	v_cmp_ne_u16_sdwa s0, v11, v3 src0_sel:BYTE_0 src1_sel:DWORD
	v_mov_b32_e32 v53, 0
	v_mov_b32_e32 v54, 0
	s_and_saveexec_b32 s9, s0
	s_cbranch_execz .LBB317_779
; %bb.772:                              ;   in Loop: Header=BB317_541 Depth=1
	v_cmp_ne_u16_sdwa s0, v11, v27 src0_sel:BYTE_0 src1_sel:DWORD
	v_mov_b32_e32 v54, 0x8000
	s_and_saveexec_b32 s12, s0
	s_cbranch_execz .LBB317_778
; %bb.773:                              ;   in Loop: Header=BB317_541 Depth=1
	v_and_b32_e32 v56, 0x7f, v11
	v_mov_b32_e32 v54, 0x7c01
	s_mov_b32 s13, exec_lo
	v_cmpx_ne_u32_e32 0x7f, v56
	s_cbranch_execz .LBB317_777
; %bb.774:                              ;   in Loop: Header=BB317_541 Depth=1
	v_and_b32_e32 v54, 7, v11
	v_lshrrev_b32_e32 v55, 3, v56
	s_mov_b32 s17, exec_lo
	v_cmpx_gt_u32_e32 8, v56
; %bb.775:                              ;   in Loop: Header=BB317_541 Depth=1
	v_ffbh_u32_e32 v54, v54
	v_min_u32_e32 v56, 32, v54
	v_subrev_nc_u32_e32 v54, 28, v56
	v_lshlrev_b64 v[54:55], v54, v[2:3]
	v_sub_nc_u32_e32 v55, 29, v56
	v_and_b32_e32 v54, 7, v54
; %bb.776:                              ;   in Loop: Header=BB317_541 Depth=1
	s_or_b32 exec_lo, exec_lo, s17
	v_lshlrev_b32_e32 v56, 8, v11
	v_lshl_add_u32 v55, v55, 10, 0x2000
	v_lshlrev_b32_e32 v54, 7, v54
	v_and_b32_e32 v56, 0x8000, v56
	v_and_b32_e32 v55, 0xfc00, v55
	v_or3_b32 v54, v56, v55, v54
.LBB317_777:                            ;   in Loop: Header=BB317_541 Depth=1
	s_or_b32 exec_lo, exec_lo, s13
.LBB317_778:                            ;   in Loop: Header=BB317_541 Depth=1
	s_or_b32 exec_lo, exec_lo, s12
.LBB317_779:                            ;   in Loop: Header=BB317_541 Depth=1
	s_or_b32 exec_lo, exec_lo, s9
	v_lshrrev_b16 v2, 8, v2
	v_mov_b32_e32 v55, 0
	s_mov_b32 s9, exec_lo
	v_cmpx_ne_u16_e32 0, v2
	s_cbranch_execz .LBB317_787
; %bb.780:                              ;   in Loop: Header=BB317_541 Depth=1
	v_bfrev_b32_e32 v55, 1
	s_mov_b32 s12, exec_lo
	v_cmpx_ne_u16_e32 0x80, v2
	s_cbranch_execz .LBB317_786
; %bb.781:                              ;   in Loop: Header=BB317_541 Depth=1
	v_and_b32_sdwa v57, v2, v28 dst_sel:DWORD dst_unused:UNUSED_PAD src0_sel:WORD_0 src1_sel:DWORD
	v_mov_b32_e32 v55, 0x7c010000
	s_mov_b32 s13, exec_lo
	v_cmpx_ne_u32_e32 0x7f, v57
	s_cbranch_execz .LBB317_785
; %bb.782:                              ;   in Loop: Header=BB317_541 Depth=1
	v_and_b32_sdwa v55, v2, v29 dst_sel:DWORD dst_unused:UNUSED_PAD src0_sel:WORD_0 src1_sel:DWORD
	v_lshrrev_b32_e32 v56, 3, v57
	s_mov_b32 s17, exec_lo
	v_cmpx_gt_u32_e32 8, v57
; %bb.783:                              ;   in Loop: Header=BB317_541 Depth=1
	v_ffbh_u32_e32 v55, v55
	v_min_u32_e32 v57, 32, v55
	v_subrev_nc_u32_e32 v55, 28, v57
	v_lshlrev_b64 v[55:56], v55, v[2:3]
	v_sub_nc_u32_e32 v56, 29, v57
	v_and_b32_e32 v55, 7, v55
; %bb.784:                              ;   in Loop: Header=BB317_541 Depth=1
	s_or_b32 exec_lo, exec_lo, s17
	v_lshlrev_b32_sdwa v2, v30, v2 dst_sel:DWORD dst_unused:UNUSED_PAD src0_sel:DWORD src1_sel:WORD_0
	v_lshl_add_u32 v56, v56, 10, 0x2000
	v_lshlrev_b32_e32 v55, 23, v55
	v_and_or_b32 v2, 0x8000, v2, v56
	v_lshl_or_b32 v55, v2, 16, v55
.LBB317_785:                            ;   in Loop: Header=BB317_541 Depth=1
	s_or_b32 exec_lo, exec_lo, s13
.LBB317_786:                            ;   in Loop: Header=BB317_541 Depth=1
	s_or_b32 exec_lo, exec_lo, s12
.LBB317_787:                            ;   in Loop: Header=BB317_541 Depth=1
	s_or_b32 exec_lo, exec_lo, s9
	v_lshrrev_b32_e32 v2, 16, v11
	v_cmp_ne_u16_sdwa s0, v2, v3 src0_sel:BYTE_0 src1_sel:DWORD
	s_and_saveexec_b32 s9, s0
	s_cbranch_execz .LBB317_795
; %bb.788:                              ;   in Loop: Header=BB317_541 Depth=1
	v_cmp_ne_u16_sdwa s0, v2, v27 src0_sel:BYTE_0 src1_sel:DWORD
	v_mov_b32_e32 v53, 0x8000
	s_and_saveexec_b32 s12, s0
	s_cbranch_execz .LBB317_794
; %bb.789:                              ;   in Loop: Header=BB317_541 Depth=1
	v_bfe_u32 v57, v11, 16, 7
	v_mov_b32_e32 v53, 0x7c01
	s_mov_b32 s13, exec_lo
	v_cmpx_ne_u32_e32 0x7f, v57
	s_cbranch_execz .LBB317_793
; %bb.790:                              ;   in Loop: Header=BB317_541 Depth=1
	v_and_b32_e32 v53, 7, v2
	v_lshrrev_b32_e32 v56, 3, v57
	s_mov_b32 s17, exec_lo
	v_cmpx_gt_u32_e32 8, v57
; %bb.791:                              ;   in Loop: Header=BB317_541 Depth=1
	v_ffbh_u32_e32 v53, v53
	v_min_u32_e32 v53, 32, v53
	v_subrev_nc_u32_e32 v56, 28, v53
	v_lshlrev_b64 v[57:58], v56, v[2:3]
	v_sub_nc_u32_e32 v56, 29, v53
	v_and_b32_e32 v53, 7, v57
; %bb.792:                              ;   in Loop: Header=BB317_541 Depth=1
	s_or_b32 exec_lo, exec_lo, s17
	v_lshlrev_b32_e32 v2, 8, v2
	v_lshl_add_u32 v56, v56, 10, 0x2000
	v_lshlrev_b32_e32 v53, 7, v53
	v_and_b32_e32 v2, 0x8000, v2
	v_and_b32_e32 v56, 0xfc00, v56
	v_or3_b32 v53, v2, v56, v53
.LBB317_793:                            ;   in Loop: Header=BB317_541 Depth=1
	s_or_b32 exec_lo, exec_lo, s13
.LBB317_794:                            ;   in Loop: Header=BB317_541 Depth=1
	s_or_b32 exec_lo, exec_lo, s12
.LBB317_795:                            ;   in Loop: Header=BB317_541 Depth=1
	s_or_b32 exec_lo, exec_lo, s9
	v_cmp_lt_u64_e64 s0, s[4:5], v[10:11]
	v_mov_b32_e32 v10, 0
	s_and_saveexec_b32 s9, s0
	s_cbranch_execz .LBB317_803
; %bb.796:                              ;   in Loop: Header=BB317_541 Depth=1
	v_lshrrev_b32_e32 v2, 24, v11
	v_bfrev_b32_e32 v10, 1
	s_mov_b32 s12, exec_lo
	v_cmpx_ne_u32_e32 0x80, v2
	s_cbranch_execz .LBB317_802
; %bb.797:                              ;   in Loop: Header=BB317_541 Depth=1
	v_and_b32_e32 v56, 0x7f, v2
	v_mov_b32_e32 v10, 0x7c010000
	s_mov_b32 s13, exec_lo
	v_cmpx_ne_u32_e32 0x7f, v56
	s_cbranch_execz .LBB317_801
; %bb.798:                              ;   in Loop: Header=BB317_541 Depth=1
	v_and_b32_e32 v10, 7, v2
	v_lshrrev_b32_e32 v11, 3, v56
	s_mov_b32 s17, exec_lo
	v_cmpx_gt_u32_e32 8, v56
; %bb.799:                              ;   in Loop: Header=BB317_541 Depth=1
	v_ffbh_u32_e32 v10, v10
	v_min_u32_e32 v56, 32, v10
	v_subrev_nc_u32_e32 v10, 28, v56
	v_lshlrev_b64 v[10:11], v10, v[2:3]
	v_sub_nc_u32_e32 v11, 29, v56
	v_and_b32_e32 v10, 7, v10
; %bb.800:                              ;   in Loop: Header=BB317_541 Depth=1
	s_or_b32 exec_lo, exec_lo, s17
	v_lshlrev_b32_e32 v2, 8, v2
	v_lshl_add_u32 v11, v11, 10, 0x2000
	v_lshlrev_b32_e32 v10, 23, v10
	v_and_or_b32 v2, 0x8000, v2, v11
	v_lshl_or_b32 v10, v2, 16, v10
.LBB317_801:                            ;   in Loop: Header=BB317_541 Depth=1
	s_or_b32 exec_lo, exec_lo, s13
.LBB317_802:                            ;   in Loop: Header=BB317_541 Depth=1
	s_or_b32 exec_lo, exec_lo, s12
.LBB317_803:                            ;   in Loop: Header=BB317_541 Depth=1
	s_or_b32 exec_lo, exec_lo, s9
	v_or_b32_e32 v2, v51, v52
	s_waitcnt vmcnt(0)
	v_fma_mixlo_f16 v11, v48, v51, 0 op_sel:[0,1,0] op_sel_hi:[0,1,0]
	v_or_b32_e32 v51, v49, v50
	v_fma_mixlo_f16 v49, v48, v49, 0 op_sel:[0,1,0] op_sel_hi:[0,1,0]
	v_or_b32_e32 v52, v55, v54
	v_or_b32_e32 v53, v10, v53
	v_fma_mixlo_f16 v54, v48, v2, 0 op_sel_hi:[0,1,0]
	v_fma_mixlo_f16 v10, v48, v10, 0 op_sel:[0,1,0] op_sel_hi:[0,1,0]
	v_lshlrev_b32_e32 v50, 16, v49
	v_fma_mixlo_f16 v49, v48, v51, 0 op_sel_hi:[0,1,0]
	v_fma_mixlo_f16 v51, v48, v55, 0 op_sel:[0,1,0] op_sel_hi:[0,1,0]
	v_fma_mixlo_f16 v52, v48, v52, 0 op_sel_hi:[0,1,0]
	v_fma_mixlo_f16 v53, v48, v53, 0 op_sel_hi:[0,1,0]
	v_lshlrev_b32_e32 v2, 16, v11
	v_and_b32_e32 v11, 0xffff, v54
	v_and_b32_e32 v56, 0xffff, v49
	v_lshlrev_b32_e32 v48, 16, v51
	v_and_b32_e32 v52, 0xffff, v52
	v_lshlrev_b32_e32 v10, 16, v10
	v_and_b32_e32 v49, 0xffff, v53
	v_or_b32_e32 v51, v2, v11
	v_or_b32_e32 v55, v50, v56
	;; [unrolled: 1-line block ×4, first 2 shown]
	s_and_saveexec_b32 s9, vcc_lo
	s_cbranch_execz .LBB317_805
; %bb.804:                              ;   in Loop: Header=BB317_541 Depth=1
	v_cmp_gt_i32_e64 s0, s29, v31
	v_cndmask_b32_e64 v51, 0, v56, s0
	v_cmp_gt_i32_e64 s0, s29, v37
	v_cndmask_b32_e64 v50, 0, v50, s0
	v_cmp_gt_i32_e64 s0, s29, v36
	v_or_b32_e32 v55, v50, v51
	v_cndmask_b32_e64 v11, 0, v11, s0
	v_cmp_gt_i32_e64 s0, s29, v35
	v_cndmask_b32_e64 v2, 0, v2, s0
	v_cmp_gt_i32_e64 s0, s29, v34
	v_or_b32_e32 v51, v2, v11
	;; [unrolled: 5-line block ×3, first 2 shown]
	v_cndmask_b32_e64 v49, 0, v49, s0
	v_cmp_gt_i32_e64 s0, s29, v25
	v_cndmask_b32_e64 v10, 0, v10, s0
	v_or_b32_e32 v53, v10, v49
.LBB317_805:                            ;   in Loop: Header=BB317_541 Depth=1
	s_or_b32 exec_lo, exec_lo, s9
	;;#ASMSTART
	v_pk_mul_f16 v2, v42, v55;

	;;#ASMEND
	;;#ASMSTART
	v_pk_mul_f16 v10, v40, v51;

	;;#ASMEND
	;; [unrolled: 4-line block ×4, first 2 shown]
	;;#ASMSTART
	v_pk_add_f16 v2, v2, v10;

	;;#ASMEND
	;;#ASMSTART
	v_pk_add_f16 v2, v2, v11;

	;;#ASMEND
	;; [unrolled: 4-line block ×3, first 2 shown]
	v_and_b32_e32 v10, 0xffff, v2
	v_lshrrev_b32_e32 v2, 16, v2
	;;#ASMSTART
	v_cvt_f32_f16 v48, v10;
	;;#ASMEND
	;;#ASMSTART
	v_cvt_f32_f16 v49, v2;
	;;#ASMEND
	global_load_dwordx2 v[10:11], v[8:9], off offset:1024
	v_mov_b32_e32 v51, 0
	v_mov_b32_e32 v52, 0
	global_load_dword v50, v51, s[14:15]
	s_waitcnt vmcnt(1)
	v_cmp_ne_u16_sdwa s0, v10, v3 src0_sel:BYTE_0 src1_sel:DWORD
	s_and_saveexec_b32 s9, s0
	s_cbranch_execz .LBB317_813
; %bb.806:                              ;   in Loop: Header=BB317_541 Depth=1
	v_cmp_ne_u16_sdwa s0, v10, v27 src0_sel:BYTE_0 src1_sel:DWORD
	v_mov_b32_e32 v52, 0x8000
	s_and_saveexec_b32 s12, s0
	s_cbranch_execz .LBB317_812
; %bb.807:                              ;   in Loop: Header=BB317_541 Depth=1
	v_and_b32_e32 v53, 0x7f, v10
	v_mov_b32_e32 v52, 0x7c01
	s_mov_b32 s13, exec_lo
	v_cmpx_ne_u32_e32 0x7f, v53
	s_cbranch_execz .LBB317_811
; %bb.808:                              ;   in Loop: Header=BB317_541 Depth=1
	v_and_b32_e32 v2, 7, v10
	v_lshrrev_b32_e32 v52, 3, v53
	s_mov_b32 s17, exec_lo
	v_cmpx_gt_u32_e32 8, v53
; %bb.809:                              ;   in Loop: Header=BB317_541 Depth=1
	v_ffbh_u32_e32 v2, v2
	v_min_u32_e32 v2, 32, v2
	v_subrev_nc_u32_e32 v52, 28, v2
	v_lshlrev_b64 v[53:54], v52, v[10:11]
	v_sub_nc_u32_e32 v52, 29, v2
	v_and_b32_e32 v2, 7, v53
; %bb.810:                              ;   in Loop: Header=BB317_541 Depth=1
	s_or_b32 exec_lo, exec_lo, s17
	v_lshlrev_b32_e32 v53, 8, v10
	v_lshl_add_u32 v52, v52, 10, 0x2000
	v_lshlrev_b32_e32 v2, 7, v2
	v_and_b32_e32 v53, 0x8000, v53
	v_and_b32_e32 v52, 0xfc00, v52
	v_or3_b32 v52, v53, v52, v2
.LBB317_811:                            ;   in Loop: Header=BB317_541 Depth=1
	s_or_b32 exec_lo, exec_lo, s13
.LBB317_812:                            ;   in Loop: Header=BB317_541 Depth=1
	s_or_b32 exec_lo, exec_lo, s12
.LBB317_813:                            ;   in Loop: Header=BB317_541 Depth=1
	s_or_b32 exec_lo, exec_lo, s9
	v_lshrrev_b16 v2, 8, v10
	s_mov_b32 s9, exec_lo
	v_cmpx_ne_u16_e32 0, v2
	s_cbranch_execz .LBB317_821
; %bb.814:                              ;   in Loop: Header=BB317_541 Depth=1
	v_bfrev_b32_e32 v51, 1
	s_mov_b32 s12, exec_lo
	v_cmpx_ne_u16_e32 0x80, v2
	s_cbranch_execz .LBB317_820
; %bb.815:                              ;   in Loop: Header=BB317_541 Depth=1
	v_and_b32_sdwa v54, v2, v28 dst_sel:DWORD dst_unused:UNUSED_PAD src0_sel:WORD_0 src1_sel:DWORD
	v_mov_b32_e32 v51, 0x7c010000
	s_mov_b32 s13, exec_lo
	v_cmpx_ne_u32_e32 0x7f, v54
	s_cbranch_execz .LBB317_819
; %bb.816:                              ;   in Loop: Header=BB317_541 Depth=1
	v_and_b32_sdwa v51, v2, v29 dst_sel:DWORD dst_unused:UNUSED_PAD src0_sel:WORD_0 src1_sel:DWORD
	v_lshrrev_b32_e32 v53, 3, v54
	s_mov_b32 s17, exec_lo
	v_cmpx_gt_u32_e32 8, v54
; %bb.817:                              ;   in Loop: Header=BB317_541 Depth=1
	v_ffbh_u32_e32 v51, v51
	v_min_u32_e32 v51, 32, v51
	v_subrev_nc_u32_e32 v53, 28, v51
	v_lshlrev_b64 v[54:55], v53, v[2:3]
	v_sub_nc_u32_e32 v53, 29, v51
	v_and_b32_e32 v51, 7, v54
; %bb.818:                              ;   in Loop: Header=BB317_541 Depth=1
	s_or_b32 exec_lo, exec_lo, s17
	v_lshlrev_b32_sdwa v2, v30, v2 dst_sel:DWORD dst_unused:UNUSED_PAD src0_sel:DWORD src1_sel:WORD_0
	v_lshl_add_u32 v53, v53, 10, 0x2000
	v_lshlrev_b32_e32 v51, 23, v51
	v_and_or_b32 v2, 0x8000, v2, v53
	v_lshl_or_b32 v51, v2, 16, v51
.LBB317_819:                            ;   in Loop: Header=BB317_541 Depth=1
	s_or_b32 exec_lo, exec_lo, s13
.LBB317_820:                            ;   in Loop: Header=BB317_541 Depth=1
	s_or_b32 exec_lo, exec_lo, s12
.LBB317_821:                            ;   in Loop: Header=BB317_541 Depth=1
	s_or_b32 exec_lo, exec_lo, s9
	v_lshrrev_b32_e32 v2, 16, v10
	v_mov_b32_e32 v53, 0
	v_mov_b32_e32 v54, 0
	v_cmp_ne_u16_sdwa s0, v2, v3 src0_sel:BYTE_0 src1_sel:DWORD
	s_and_saveexec_b32 s9, s0
	s_cbranch_execz .LBB317_829
; %bb.822:                              ;   in Loop: Header=BB317_541 Depth=1
	v_cmp_ne_u16_sdwa s0, v2, v27 src0_sel:BYTE_0 src1_sel:DWORD
	v_mov_b32_e32 v54, 0x8000
	s_and_saveexec_b32 s12, s0
	s_cbranch_execz .LBB317_828
; %bb.823:                              ;   in Loop: Header=BB317_541 Depth=1
	v_bfe_u32 v56, v10, 16, 7
	v_mov_b32_e32 v54, 0x7c01
	s_mov_b32 s13, exec_lo
	v_cmpx_ne_u32_e32 0x7f, v56
	s_cbranch_execz .LBB317_827
; %bb.824:                              ;   in Loop: Header=BB317_541 Depth=1
	v_and_b32_e32 v54, 7, v2
	v_lshrrev_b32_e32 v55, 3, v56
	s_mov_b32 s17, exec_lo
	v_cmpx_gt_u32_e32 8, v56
; %bb.825:                              ;   in Loop: Header=BB317_541 Depth=1
	v_ffbh_u32_e32 v54, v54
	v_min_u32_e32 v56, 32, v54
	v_subrev_nc_u32_e32 v54, 28, v56
	v_lshlrev_b64 v[54:55], v54, v[2:3]
	v_sub_nc_u32_e32 v55, 29, v56
	v_and_b32_e32 v54, 7, v54
; %bb.826:                              ;   in Loop: Header=BB317_541 Depth=1
	s_or_b32 exec_lo, exec_lo, s17
	v_lshlrev_b32_e32 v2, 8, v2
	v_lshl_add_u32 v55, v55, 10, 0x2000
	v_lshlrev_b32_e32 v54, 7, v54
	v_and_b32_e32 v2, 0x8000, v2
	v_and_b32_e32 v55, 0xfc00, v55
	v_or3_b32 v54, v2, v55, v54
.LBB317_827:                            ;   in Loop: Header=BB317_541 Depth=1
	s_or_b32 exec_lo, exec_lo, s13
.LBB317_828:                            ;   in Loop: Header=BB317_541 Depth=1
	s_or_b32 exec_lo, exec_lo, s12
.LBB317_829:                            ;   in Loop: Header=BB317_541 Depth=1
	s_or_b32 exec_lo, exec_lo, s9
	s_mov_b32 s9, exec_lo
	v_cmpx_lt_u32_e32 0xffffff, v10
	s_cbranch_execz .LBB317_837
; %bb.830:                              ;   in Loop: Header=BB317_541 Depth=1
	v_lshrrev_b32_e32 v2, 24, v10
	v_bfrev_b32_e32 v53, 1
	s_mov_b32 s12, exec_lo
	v_cmpx_ne_u32_e32 0x80, v2
	s_cbranch_execz .LBB317_836
; %bb.831:                              ;   in Loop: Header=BB317_541 Depth=1
	v_and_b32_e32 v56, 0x7f, v2
	v_mov_b32_e32 v53, 0x7c010000
	s_mov_b32 s13, exec_lo
	v_cmpx_ne_u32_e32 0x7f, v56
	s_cbranch_execz .LBB317_835
; %bb.832:                              ;   in Loop: Header=BB317_541 Depth=1
	v_and_b32_e32 v53, 7, v2
	v_lshrrev_b32_e32 v55, 3, v56
	s_mov_b32 s17, exec_lo
	v_cmpx_gt_u32_e32 8, v56
; %bb.833:                              ;   in Loop: Header=BB317_541 Depth=1
	v_ffbh_u32_e32 v53, v53
	v_min_u32_e32 v53, 32, v53
	v_subrev_nc_u32_e32 v55, 28, v53
	v_lshlrev_b64 v[56:57], v55, v[2:3]
	v_sub_nc_u32_e32 v55, 29, v53
	v_and_b32_e32 v53, 7, v56
; %bb.834:                              ;   in Loop: Header=BB317_541 Depth=1
	s_or_b32 exec_lo, exec_lo, s17
	v_lshlrev_b32_e32 v2, 8, v2
	v_lshl_add_u32 v55, v55, 10, 0x2000
	v_lshlrev_b32_e32 v53, 23, v53
	v_and_or_b32 v2, 0x8000, v2, v55
	v_lshl_or_b32 v53, v2, 16, v53
.LBB317_835:                            ;   in Loop: Header=BB317_541 Depth=1
	s_or_b32 exec_lo, exec_lo, s13
.LBB317_836:                            ;   in Loop: Header=BB317_541 Depth=1
	s_or_b32 exec_lo, exec_lo, s12
.LBB317_837:                            ;   in Loop: Header=BB317_541 Depth=1
	s_or_b32 exec_lo, exec_lo, s9
	v_mov_b32_e32 v2, v11
	v_cmp_ne_u16_sdwa s0, v11, v3 src0_sel:BYTE_0 src1_sel:DWORD
	v_mov_b32_e32 v55, 0
	v_mov_b32_e32 v56, 0
	s_and_saveexec_b32 s9, s0
	s_cbranch_execz .LBB317_845
; %bb.838:                              ;   in Loop: Header=BB317_541 Depth=1
	v_cmp_ne_u16_sdwa s0, v11, v27 src0_sel:BYTE_0 src1_sel:DWORD
	v_mov_b32_e32 v56, 0x8000
	s_and_saveexec_b32 s12, s0
	s_cbranch_execz .LBB317_844
; %bb.839:                              ;   in Loop: Header=BB317_541 Depth=1
	v_and_b32_e32 v58, 0x7f, v11
	v_mov_b32_e32 v56, 0x7c01
	s_mov_b32 s13, exec_lo
	v_cmpx_ne_u32_e32 0x7f, v58
	s_cbranch_execz .LBB317_843
; %bb.840:                              ;   in Loop: Header=BB317_541 Depth=1
	v_and_b32_e32 v56, 7, v11
	v_lshrrev_b32_e32 v57, 3, v58
	s_mov_b32 s17, exec_lo
	v_cmpx_gt_u32_e32 8, v58
; %bb.841:                              ;   in Loop: Header=BB317_541 Depth=1
	v_ffbh_u32_e32 v56, v56
	v_min_u32_e32 v58, 32, v56
	v_subrev_nc_u32_e32 v56, 28, v58
	v_lshlrev_b64 v[56:57], v56, v[2:3]
	v_sub_nc_u32_e32 v57, 29, v58
	v_and_b32_e32 v56, 7, v56
; %bb.842:                              ;   in Loop: Header=BB317_541 Depth=1
	s_or_b32 exec_lo, exec_lo, s17
	v_lshlrev_b32_e32 v58, 8, v11
	v_lshl_add_u32 v57, v57, 10, 0x2000
	v_lshlrev_b32_e32 v56, 7, v56
	v_and_b32_e32 v58, 0x8000, v58
	v_and_b32_e32 v57, 0xfc00, v57
	v_or3_b32 v56, v58, v57, v56
.LBB317_843:                            ;   in Loop: Header=BB317_541 Depth=1
	s_or_b32 exec_lo, exec_lo, s13
.LBB317_844:                            ;   in Loop: Header=BB317_541 Depth=1
	s_or_b32 exec_lo, exec_lo, s12
.LBB317_845:                            ;   in Loop: Header=BB317_541 Depth=1
	s_or_b32 exec_lo, exec_lo, s9
	v_lshrrev_b16 v2, 8, v2
	v_mov_b32_e32 v57, 0
	s_mov_b32 s9, exec_lo
	v_cmpx_ne_u16_e32 0, v2
	s_cbranch_execz .LBB317_853
; %bb.846:                              ;   in Loop: Header=BB317_541 Depth=1
	v_bfrev_b32_e32 v57, 1
	s_mov_b32 s12, exec_lo
	v_cmpx_ne_u16_e32 0x80, v2
	s_cbranch_execz .LBB317_852
; %bb.847:                              ;   in Loop: Header=BB317_541 Depth=1
	v_and_b32_sdwa v59, v2, v28 dst_sel:DWORD dst_unused:UNUSED_PAD src0_sel:WORD_0 src1_sel:DWORD
	v_mov_b32_e32 v57, 0x7c010000
	s_mov_b32 s13, exec_lo
	v_cmpx_ne_u32_e32 0x7f, v59
	s_cbranch_execz .LBB317_851
; %bb.848:                              ;   in Loop: Header=BB317_541 Depth=1
	v_and_b32_sdwa v57, v2, v29 dst_sel:DWORD dst_unused:UNUSED_PAD src0_sel:WORD_0 src1_sel:DWORD
	v_lshrrev_b32_e32 v58, 3, v59
	s_mov_b32 s17, exec_lo
	v_cmpx_gt_u32_e32 8, v59
; %bb.849:                              ;   in Loop: Header=BB317_541 Depth=1
	v_ffbh_u32_e32 v57, v57
	v_min_u32_e32 v59, 32, v57
	v_subrev_nc_u32_e32 v57, 28, v59
	v_lshlrev_b64 v[57:58], v57, v[2:3]
	v_sub_nc_u32_e32 v58, 29, v59
	v_and_b32_e32 v57, 7, v57
; %bb.850:                              ;   in Loop: Header=BB317_541 Depth=1
	s_or_b32 exec_lo, exec_lo, s17
	v_lshlrev_b32_sdwa v2, v30, v2 dst_sel:DWORD dst_unused:UNUSED_PAD src0_sel:DWORD src1_sel:WORD_0
	v_lshl_add_u32 v58, v58, 10, 0x2000
	v_lshlrev_b32_e32 v57, 23, v57
	v_and_or_b32 v2, 0x8000, v2, v58
	v_lshl_or_b32 v57, v2, 16, v57
.LBB317_851:                            ;   in Loop: Header=BB317_541 Depth=1
	s_or_b32 exec_lo, exec_lo, s13
.LBB317_852:                            ;   in Loop: Header=BB317_541 Depth=1
	s_or_b32 exec_lo, exec_lo, s12
.LBB317_853:                            ;   in Loop: Header=BB317_541 Depth=1
	s_or_b32 exec_lo, exec_lo, s9
	v_lshrrev_b32_e32 v2, 16, v11
	v_cmp_ne_u16_sdwa s0, v2, v3 src0_sel:BYTE_0 src1_sel:DWORD
	s_and_saveexec_b32 s9, s0
	s_cbranch_execz .LBB317_861
; %bb.854:                              ;   in Loop: Header=BB317_541 Depth=1
	v_cmp_ne_u16_sdwa s0, v2, v27 src0_sel:BYTE_0 src1_sel:DWORD
	v_mov_b32_e32 v55, 0x8000
	s_and_saveexec_b32 s12, s0
	s_cbranch_execz .LBB317_860
; %bb.855:                              ;   in Loop: Header=BB317_541 Depth=1
	v_bfe_u32 v59, v11, 16, 7
	v_mov_b32_e32 v55, 0x7c01
	s_mov_b32 s13, exec_lo
	v_cmpx_ne_u32_e32 0x7f, v59
	s_cbranch_execz .LBB317_859
; %bb.856:                              ;   in Loop: Header=BB317_541 Depth=1
	v_and_b32_e32 v55, 7, v2
	v_lshrrev_b32_e32 v58, 3, v59
	s_mov_b32 s17, exec_lo
	v_cmpx_gt_u32_e32 8, v59
; %bb.857:                              ;   in Loop: Header=BB317_541 Depth=1
	v_ffbh_u32_e32 v55, v55
	v_min_u32_e32 v55, 32, v55
	v_subrev_nc_u32_e32 v58, 28, v55
	v_lshlrev_b64 v[59:60], v58, v[2:3]
	v_sub_nc_u32_e32 v58, 29, v55
	v_and_b32_e32 v55, 7, v59
; %bb.858:                              ;   in Loop: Header=BB317_541 Depth=1
	s_or_b32 exec_lo, exec_lo, s17
	v_lshlrev_b32_e32 v2, 8, v2
	v_lshl_add_u32 v58, v58, 10, 0x2000
	v_lshlrev_b32_e32 v55, 7, v55
	v_and_b32_e32 v2, 0x8000, v2
	v_and_b32_e32 v58, 0xfc00, v58
	v_or3_b32 v55, v2, v58, v55
.LBB317_859:                            ;   in Loop: Header=BB317_541 Depth=1
	s_or_b32 exec_lo, exec_lo, s13
.LBB317_860:                            ;   in Loop: Header=BB317_541 Depth=1
	s_or_b32 exec_lo, exec_lo, s12
.LBB317_861:                            ;   in Loop: Header=BB317_541 Depth=1
	s_or_b32 exec_lo, exec_lo, s9
	v_cmp_lt_u64_e64 s0, s[4:5], v[10:11]
	v_mov_b32_e32 v10, 0
	s_and_saveexec_b32 s9, s0
	s_cbranch_execz .LBB317_869
; %bb.862:                              ;   in Loop: Header=BB317_541 Depth=1
	v_lshrrev_b32_e32 v2, 24, v11
	v_bfrev_b32_e32 v10, 1
	s_mov_b32 s12, exec_lo
	v_cmpx_ne_u32_e32 0x80, v2
	s_cbranch_execz .LBB317_868
; %bb.863:                              ;   in Loop: Header=BB317_541 Depth=1
	v_and_b32_e32 v58, 0x7f, v2
	v_mov_b32_e32 v10, 0x7c010000
	s_mov_b32 s13, exec_lo
	v_cmpx_ne_u32_e32 0x7f, v58
	s_cbranch_execz .LBB317_867
; %bb.864:                              ;   in Loop: Header=BB317_541 Depth=1
	v_and_b32_e32 v10, 7, v2
	v_lshrrev_b32_e32 v11, 3, v58
	s_mov_b32 s17, exec_lo
	v_cmpx_gt_u32_e32 8, v58
; %bb.865:                              ;   in Loop: Header=BB317_541 Depth=1
	v_ffbh_u32_e32 v10, v10
	v_min_u32_e32 v58, 32, v10
	v_subrev_nc_u32_e32 v10, 28, v58
	v_lshlrev_b64 v[10:11], v10, v[2:3]
	v_sub_nc_u32_e32 v11, 29, v58
	v_and_b32_e32 v10, 7, v10
; %bb.866:                              ;   in Loop: Header=BB317_541 Depth=1
	s_or_b32 exec_lo, exec_lo, s17
	v_lshlrev_b32_e32 v2, 8, v2
	v_lshl_add_u32 v11, v11, 10, 0x2000
	v_lshlrev_b32_e32 v10, 23, v10
	v_and_or_b32 v2, 0x8000, v2, v11
	v_lshl_or_b32 v10, v2, 16, v10
.LBB317_867:                            ;   in Loop: Header=BB317_541 Depth=1
	s_or_b32 exec_lo, exec_lo, s13
.LBB317_868:                            ;   in Loop: Header=BB317_541 Depth=1
	s_or_b32 exec_lo, exec_lo, s12
.LBB317_869:                            ;   in Loop: Header=BB317_541 Depth=1
	s_or_b32 exec_lo, exec_lo, s9
	v_or_b32_e32 v2, v53, v54
	s_waitcnt vmcnt(0)
	v_fma_mixlo_f16 v11, v50, v53, 0 op_sel:[0,1,0] op_sel_hi:[0,1,0]
	v_or_b32_e32 v53, v51, v52
	v_fma_mixlo_f16 v51, v50, v51, 0 op_sel:[0,1,0] op_sel_hi:[0,1,0]
	v_or_b32_e32 v54, v57, v56
	v_or_b32_e32 v55, v10, v55
	v_fma_mixlo_f16 v56, v50, v2, 0 op_sel_hi:[0,1,0]
	v_fma_mixlo_f16 v10, v50, v10, 0 op_sel:[0,1,0] op_sel_hi:[0,1,0]
	v_lshlrev_b32_e32 v52, 16, v51
	v_fma_mixlo_f16 v51, v50, v53, 0 op_sel_hi:[0,1,0]
	v_fma_mixlo_f16 v53, v50, v57, 0 op_sel:[0,1,0] op_sel_hi:[0,1,0]
	v_fma_mixlo_f16 v54, v50, v54, 0 op_sel_hi:[0,1,0]
	v_fma_mixlo_f16 v55, v50, v55, 0 op_sel_hi:[0,1,0]
	v_lshlrev_b32_e32 v2, 16, v11
	v_and_b32_e32 v11, 0xffff, v56
	v_and_b32_e32 v58, 0xffff, v51
	v_lshlrev_b32_e32 v50, 16, v53
	v_and_b32_e32 v54, 0xffff, v54
	v_lshlrev_b32_e32 v10, 16, v10
	v_and_b32_e32 v51, 0xffff, v55
	v_or_b32_e32 v53, v2, v11
	v_or_b32_e32 v57, v52, v58
	;; [unrolled: 1-line block ×4, first 2 shown]
	s_and_saveexec_b32 s9, vcc_lo
	s_cbranch_execz .LBB317_871
; %bb.870:                              ;   in Loop: Header=BB317_541 Depth=1
	v_cmp_gt_i32_e64 s0, s29, v31
	v_cndmask_b32_e64 v53, 0, v58, s0
	v_cmp_gt_i32_e64 s0, s29, v37
	v_cndmask_b32_e64 v52, 0, v52, s0
	v_cmp_gt_i32_e64 s0, s29, v36
	v_or_b32_e32 v57, v52, v53
	v_cndmask_b32_e64 v11, 0, v11, s0
	v_cmp_gt_i32_e64 s0, s29, v35
	v_cndmask_b32_e64 v2, 0, v2, s0
	v_cmp_gt_i32_e64 s0, s29, v34
	v_or_b32_e32 v53, v2, v11
	;; [unrolled: 5-line block ×3, first 2 shown]
	v_cndmask_b32_e64 v51, 0, v51, s0
	v_cmp_gt_i32_e64 s0, s29, v25
	v_cndmask_b32_e64 v10, 0, v10, s0
	v_or_b32_e32 v55, v10, v51
.LBB317_871:                            ;   in Loop: Header=BB317_541 Depth=1
	s_or_b32 exec_lo, exec_lo, s9
	;;#ASMSTART
	v_pk_mul_f16 v2, v42, v57;

	;;#ASMEND
	;;#ASMSTART
	v_pk_mul_f16 v10, v40, v53;

	;;#ASMEND
	;; [unrolled: 4-line block ×4, first 2 shown]
	;;#ASMSTART
	v_pk_add_f16 v2, v2, v10;

	;;#ASMEND
	;;#ASMSTART
	v_pk_add_f16 v2, v2, v11;

	;;#ASMEND
	;; [unrolled: 4-line block ×3, first 2 shown]
	v_and_b32_e32 v10, 0xffff, v2
	v_lshrrev_b32_e32 v2, 16, v2
	;;#ASMSTART
	v_cvt_f32_f16 v50, v10;
	;;#ASMEND
	;;#ASMSTART
	v_cvt_f32_f16 v51, v2;
	;;#ASMEND
	global_load_dwordx2 v[10:11], v[8:9], off offset:1280
	v_mov_b32_e32 v53, 0
	v_mov_b32_e32 v54, 0
	global_load_dword v52, v53, s[14:15]
	s_waitcnt vmcnt(1)
	v_cmp_ne_u16_sdwa s0, v10, v3 src0_sel:BYTE_0 src1_sel:DWORD
	s_and_saveexec_b32 s9, s0
	s_cbranch_execz .LBB317_879
; %bb.872:                              ;   in Loop: Header=BB317_541 Depth=1
	v_cmp_ne_u16_sdwa s0, v10, v27 src0_sel:BYTE_0 src1_sel:DWORD
	v_mov_b32_e32 v54, 0x8000
	s_and_saveexec_b32 s12, s0
	s_cbranch_execz .LBB317_878
; %bb.873:                              ;   in Loop: Header=BB317_541 Depth=1
	v_and_b32_e32 v55, 0x7f, v10
	v_mov_b32_e32 v54, 0x7c01
	s_mov_b32 s13, exec_lo
	v_cmpx_ne_u32_e32 0x7f, v55
	s_cbranch_execz .LBB317_877
; %bb.874:                              ;   in Loop: Header=BB317_541 Depth=1
	v_and_b32_e32 v2, 7, v10
	v_lshrrev_b32_e32 v54, 3, v55
	s_mov_b32 s17, exec_lo
	v_cmpx_gt_u32_e32 8, v55
; %bb.875:                              ;   in Loop: Header=BB317_541 Depth=1
	v_ffbh_u32_e32 v2, v2
	v_min_u32_e32 v2, 32, v2
	v_subrev_nc_u32_e32 v54, 28, v2
	v_lshlrev_b64 v[55:56], v54, v[10:11]
	v_sub_nc_u32_e32 v54, 29, v2
	v_and_b32_e32 v2, 7, v55
; %bb.876:                              ;   in Loop: Header=BB317_541 Depth=1
	s_or_b32 exec_lo, exec_lo, s17
	v_lshlrev_b32_e32 v55, 8, v10
	v_lshl_add_u32 v54, v54, 10, 0x2000
	v_lshlrev_b32_e32 v2, 7, v2
	v_and_b32_e32 v55, 0x8000, v55
	v_and_b32_e32 v54, 0xfc00, v54
	v_or3_b32 v54, v55, v54, v2
.LBB317_877:                            ;   in Loop: Header=BB317_541 Depth=1
	s_or_b32 exec_lo, exec_lo, s13
.LBB317_878:                            ;   in Loop: Header=BB317_541 Depth=1
	s_or_b32 exec_lo, exec_lo, s12
.LBB317_879:                            ;   in Loop: Header=BB317_541 Depth=1
	s_or_b32 exec_lo, exec_lo, s9
	v_lshrrev_b16 v2, 8, v10
	s_mov_b32 s9, exec_lo
	v_cmpx_ne_u16_e32 0, v2
	s_cbranch_execz .LBB317_887
; %bb.880:                              ;   in Loop: Header=BB317_541 Depth=1
	v_bfrev_b32_e32 v53, 1
	s_mov_b32 s12, exec_lo
	v_cmpx_ne_u16_e32 0x80, v2
	s_cbranch_execz .LBB317_886
; %bb.881:                              ;   in Loop: Header=BB317_541 Depth=1
	v_and_b32_sdwa v56, v2, v28 dst_sel:DWORD dst_unused:UNUSED_PAD src0_sel:WORD_0 src1_sel:DWORD
	v_mov_b32_e32 v53, 0x7c010000
	s_mov_b32 s13, exec_lo
	v_cmpx_ne_u32_e32 0x7f, v56
	s_cbranch_execz .LBB317_885
; %bb.882:                              ;   in Loop: Header=BB317_541 Depth=1
	v_and_b32_sdwa v53, v2, v29 dst_sel:DWORD dst_unused:UNUSED_PAD src0_sel:WORD_0 src1_sel:DWORD
	v_lshrrev_b32_e32 v55, 3, v56
	s_mov_b32 s17, exec_lo
	v_cmpx_gt_u32_e32 8, v56
; %bb.883:                              ;   in Loop: Header=BB317_541 Depth=1
	v_ffbh_u32_e32 v53, v53
	v_min_u32_e32 v53, 32, v53
	v_subrev_nc_u32_e32 v55, 28, v53
	v_lshlrev_b64 v[56:57], v55, v[2:3]
	v_sub_nc_u32_e32 v55, 29, v53
	v_and_b32_e32 v53, 7, v56
; %bb.884:                              ;   in Loop: Header=BB317_541 Depth=1
	s_or_b32 exec_lo, exec_lo, s17
	v_lshlrev_b32_sdwa v2, v30, v2 dst_sel:DWORD dst_unused:UNUSED_PAD src0_sel:DWORD src1_sel:WORD_0
	v_lshl_add_u32 v55, v55, 10, 0x2000
	v_lshlrev_b32_e32 v53, 23, v53
	v_and_or_b32 v2, 0x8000, v2, v55
	v_lshl_or_b32 v53, v2, 16, v53
.LBB317_885:                            ;   in Loop: Header=BB317_541 Depth=1
	s_or_b32 exec_lo, exec_lo, s13
.LBB317_886:                            ;   in Loop: Header=BB317_541 Depth=1
	s_or_b32 exec_lo, exec_lo, s12
.LBB317_887:                            ;   in Loop: Header=BB317_541 Depth=1
	s_or_b32 exec_lo, exec_lo, s9
	v_lshrrev_b32_e32 v2, 16, v10
	v_mov_b32_e32 v55, 0
	v_mov_b32_e32 v56, 0
	v_cmp_ne_u16_sdwa s0, v2, v3 src0_sel:BYTE_0 src1_sel:DWORD
	s_and_saveexec_b32 s9, s0
	s_cbranch_execz .LBB317_895
; %bb.888:                              ;   in Loop: Header=BB317_541 Depth=1
	v_cmp_ne_u16_sdwa s0, v2, v27 src0_sel:BYTE_0 src1_sel:DWORD
	v_mov_b32_e32 v56, 0x8000
	s_and_saveexec_b32 s12, s0
	s_cbranch_execz .LBB317_894
; %bb.889:                              ;   in Loop: Header=BB317_541 Depth=1
	v_bfe_u32 v58, v10, 16, 7
	v_mov_b32_e32 v56, 0x7c01
	s_mov_b32 s13, exec_lo
	v_cmpx_ne_u32_e32 0x7f, v58
	s_cbranch_execz .LBB317_893
; %bb.890:                              ;   in Loop: Header=BB317_541 Depth=1
	v_and_b32_e32 v56, 7, v2
	v_lshrrev_b32_e32 v57, 3, v58
	s_mov_b32 s17, exec_lo
	v_cmpx_gt_u32_e32 8, v58
; %bb.891:                              ;   in Loop: Header=BB317_541 Depth=1
	v_ffbh_u32_e32 v56, v56
	v_min_u32_e32 v58, 32, v56
	v_subrev_nc_u32_e32 v56, 28, v58
	v_lshlrev_b64 v[56:57], v56, v[2:3]
	v_sub_nc_u32_e32 v57, 29, v58
	v_and_b32_e32 v56, 7, v56
; %bb.892:                              ;   in Loop: Header=BB317_541 Depth=1
	s_or_b32 exec_lo, exec_lo, s17
	v_lshlrev_b32_e32 v2, 8, v2
	v_lshl_add_u32 v57, v57, 10, 0x2000
	v_lshlrev_b32_e32 v56, 7, v56
	v_and_b32_e32 v2, 0x8000, v2
	v_and_b32_e32 v57, 0xfc00, v57
	v_or3_b32 v56, v2, v57, v56
.LBB317_893:                            ;   in Loop: Header=BB317_541 Depth=1
	s_or_b32 exec_lo, exec_lo, s13
.LBB317_894:                            ;   in Loop: Header=BB317_541 Depth=1
	s_or_b32 exec_lo, exec_lo, s12
.LBB317_895:                            ;   in Loop: Header=BB317_541 Depth=1
	s_or_b32 exec_lo, exec_lo, s9
	s_mov_b32 s9, exec_lo
	v_cmpx_lt_u32_e32 0xffffff, v10
	s_cbranch_execz .LBB317_903
; %bb.896:                              ;   in Loop: Header=BB317_541 Depth=1
	v_lshrrev_b32_e32 v2, 24, v10
	v_bfrev_b32_e32 v55, 1
	s_mov_b32 s12, exec_lo
	v_cmpx_ne_u32_e32 0x80, v2
	s_cbranch_execz .LBB317_902
; %bb.897:                              ;   in Loop: Header=BB317_541 Depth=1
	v_and_b32_e32 v58, 0x7f, v2
	v_mov_b32_e32 v55, 0x7c010000
	s_mov_b32 s13, exec_lo
	v_cmpx_ne_u32_e32 0x7f, v58
	s_cbranch_execz .LBB317_901
; %bb.898:                              ;   in Loop: Header=BB317_541 Depth=1
	v_and_b32_e32 v55, 7, v2
	v_lshrrev_b32_e32 v57, 3, v58
	s_mov_b32 s17, exec_lo
	v_cmpx_gt_u32_e32 8, v58
; %bb.899:                              ;   in Loop: Header=BB317_541 Depth=1
	v_ffbh_u32_e32 v55, v55
	v_min_u32_e32 v55, 32, v55
	v_subrev_nc_u32_e32 v57, 28, v55
	v_lshlrev_b64 v[58:59], v57, v[2:3]
	v_sub_nc_u32_e32 v57, 29, v55
	v_and_b32_e32 v55, 7, v58
; %bb.900:                              ;   in Loop: Header=BB317_541 Depth=1
	s_or_b32 exec_lo, exec_lo, s17
	v_lshlrev_b32_e32 v2, 8, v2
	v_lshl_add_u32 v57, v57, 10, 0x2000
	v_lshlrev_b32_e32 v55, 23, v55
	v_and_or_b32 v2, 0x8000, v2, v57
	v_lshl_or_b32 v55, v2, 16, v55
.LBB317_901:                            ;   in Loop: Header=BB317_541 Depth=1
	s_or_b32 exec_lo, exec_lo, s13
.LBB317_902:                            ;   in Loop: Header=BB317_541 Depth=1
	s_or_b32 exec_lo, exec_lo, s12
.LBB317_903:                            ;   in Loop: Header=BB317_541 Depth=1
	s_or_b32 exec_lo, exec_lo, s9
	v_mov_b32_e32 v2, v11
	v_cmp_ne_u16_sdwa s0, v11, v3 src0_sel:BYTE_0 src1_sel:DWORD
	v_mov_b32_e32 v57, 0
	v_mov_b32_e32 v58, 0
	s_and_saveexec_b32 s9, s0
	s_cbranch_execz .LBB317_911
; %bb.904:                              ;   in Loop: Header=BB317_541 Depth=1
	v_cmp_ne_u16_sdwa s0, v11, v27 src0_sel:BYTE_0 src1_sel:DWORD
	v_mov_b32_e32 v58, 0x8000
	s_and_saveexec_b32 s12, s0
	s_cbranch_execz .LBB317_910
; %bb.905:                              ;   in Loop: Header=BB317_541 Depth=1
	v_and_b32_e32 v60, 0x7f, v11
	v_mov_b32_e32 v58, 0x7c01
	s_mov_b32 s13, exec_lo
	v_cmpx_ne_u32_e32 0x7f, v60
	s_cbranch_execz .LBB317_909
; %bb.906:                              ;   in Loop: Header=BB317_541 Depth=1
	v_and_b32_e32 v58, 7, v11
	v_lshrrev_b32_e32 v59, 3, v60
	s_mov_b32 s17, exec_lo
	v_cmpx_gt_u32_e32 8, v60
; %bb.907:                              ;   in Loop: Header=BB317_541 Depth=1
	v_ffbh_u32_e32 v58, v58
	v_min_u32_e32 v60, 32, v58
	v_subrev_nc_u32_e32 v58, 28, v60
	v_lshlrev_b64 v[58:59], v58, v[2:3]
	v_sub_nc_u32_e32 v59, 29, v60
	v_and_b32_e32 v58, 7, v58
; %bb.908:                              ;   in Loop: Header=BB317_541 Depth=1
	s_or_b32 exec_lo, exec_lo, s17
	v_lshlrev_b32_e32 v60, 8, v11
	v_lshl_add_u32 v59, v59, 10, 0x2000
	v_lshlrev_b32_e32 v58, 7, v58
	v_and_b32_e32 v60, 0x8000, v60
	v_and_b32_e32 v59, 0xfc00, v59
	v_or3_b32 v58, v60, v59, v58
.LBB317_909:                            ;   in Loop: Header=BB317_541 Depth=1
	s_or_b32 exec_lo, exec_lo, s13
.LBB317_910:                            ;   in Loop: Header=BB317_541 Depth=1
	s_or_b32 exec_lo, exec_lo, s12
.LBB317_911:                            ;   in Loop: Header=BB317_541 Depth=1
	s_or_b32 exec_lo, exec_lo, s9
	v_lshrrev_b16 v2, 8, v2
	v_mov_b32_e32 v59, 0
	s_mov_b32 s9, exec_lo
	v_cmpx_ne_u16_e32 0, v2
	s_cbranch_execz .LBB317_919
; %bb.912:                              ;   in Loop: Header=BB317_541 Depth=1
	v_bfrev_b32_e32 v59, 1
	s_mov_b32 s12, exec_lo
	v_cmpx_ne_u16_e32 0x80, v2
	s_cbranch_execz .LBB317_918
; %bb.913:                              ;   in Loop: Header=BB317_541 Depth=1
	v_and_b32_sdwa v61, v2, v28 dst_sel:DWORD dst_unused:UNUSED_PAD src0_sel:WORD_0 src1_sel:DWORD
	v_mov_b32_e32 v59, 0x7c010000
	s_mov_b32 s13, exec_lo
	v_cmpx_ne_u32_e32 0x7f, v61
	s_cbranch_execz .LBB317_917
; %bb.914:                              ;   in Loop: Header=BB317_541 Depth=1
	v_and_b32_sdwa v59, v2, v29 dst_sel:DWORD dst_unused:UNUSED_PAD src0_sel:WORD_0 src1_sel:DWORD
	v_lshrrev_b32_e32 v60, 3, v61
	s_mov_b32 s17, exec_lo
	v_cmpx_gt_u32_e32 8, v61
; %bb.915:                              ;   in Loop: Header=BB317_541 Depth=1
	v_ffbh_u32_e32 v59, v59
	v_min_u32_e32 v61, 32, v59
	v_subrev_nc_u32_e32 v59, 28, v61
	v_lshlrev_b64 v[59:60], v59, v[2:3]
	v_sub_nc_u32_e32 v60, 29, v61
	v_and_b32_e32 v59, 7, v59
; %bb.916:                              ;   in Loop: Header=BB317_541 Depth=1
	s_or_b32 exec_lo, exec_lo, s17
	v_lshlrev_b32_sdwa v2, v30, v2 dst_sel:DWORD dst_unused:UNUSED_PAD src0_sel:DWORD src1_sel:WORD_0
	v_lshl_add_u32 v60, v60, 10, 0x2000
	v_lshlrev_b32_e32 v59, 23, v59
	v_and_or_b32 v2, 0x8000, v2, v60
	v_lshl_or_b32 v59, v2, 16, v59
.LBB317_917:                            ;   in Loop: Header=BB317_541 Depth=1
	s_or_b32 exec_lo, exec_lo, s13
.LBB317_918:                            ;   in Loop: Header=BB317_541 Depth=1
	s_or_b32 exec_lo, exec_lo, s12
.LBB317_919:                            ;   in Loop: Header=BB317_541 Depth=1
	s_or_b32 exec_lo, exec_lo, s9
	v_lshrrev_b32_e32 v2, 16, v11
	v_cmp_ne_u16_sdwa s0, v2, v3 src0_sel:BYTE_0 src1_sel:DWORD
	s_and_saveexec_b32 s9, s0
	s_cbranch_execz .LBB317_927
; %bb.920:                              ;   in Loop: Header=BB317_541 Depth=1
	v_cmp_ne_u16_sdwa s0, v2, v27 src0_sel:BYTE_0 src1_sel:DWORD
	v_mov_b32_e32 v57, 0x8000
	s_and_saveexec_b32 s12, s0
	s_cbranch_execz .LBB317_926
; %bb.921:                              ;   in Loop: Header=BB317_541 Depth=1
	v_bfe_u32 v61, v11, 16, 7
	v_mov_b32_e32 v57, 0x7c01
	s_mov_b32 s13, exec_lo
	v_cmpx_ne_u32_e32 0x7f, v61
	s_cbranch_execz .LBB317_925
; %bb.922:                              ;   in Loop: Header=BB317_541 Depth=1
	v_and_b32_e32 v57, 7, v2
	v_lshrrev_b32_e32 v60, 3, v61
	s_mov_b32 s17, exec_lo
	v_cmpx_gt_u32_e32 8, v61
; %bb.923:                              ;   in Loop: Header=BB317_541 Depth=1
	v_ffbh_u32_e32 v57, v57
	v_min_u32_e32 v57, 32, v57
	v_subrev_nc_u32_e32 v60, 28, v57
	v_lshlrev_b64 v[61:62], v60, v[2:3]
	v_sub_nc_u32_e32 v60, 29, v57
	v_and_b32_e32 v57, 7, v61
; %bb.924:                              ;   in Loop: Header=BB317_541 Depth=1
	s_or_b32 exec_lo, exec_lo, s17
	v_lshlrev_b32_e32 v2, 8, v2
	v_lshl_add_u32 v60, v60, 10, 0x2000
	v_lshlrev_b32_e32 v57, 7, v57
	v_and_b32_e32 v2, 0x8000, v2
	v_and_b32_e32 v60, 0xfc00, v60
	v_or3_b32 v57, v2, v60, v57
.LBB317_925:                            ;   in Loop: Header=BB317_541 Depth=1
	s_or_b32 exec_lo, exec_lo, s13
.LBB317_926:                            ;   in Loop: Header=BB317_541 Depth=1
	s_or_b32 exec_lo, exec_lo, s12
.LBB317_927:                            ;   in Loop: Header=BB317_541 Depth=1
	s_or_b32 exec_lo, exec_lo, s9
	v_cmp_lt_u64_e64 s0, s[4:5], v[10:11]
	v_mov_b32_e32 v10, 0
	s_and_saveexec_b32 s9, s0
	s_cbranch_execz .LBB317_935
; %bb.928:                              ;   in Loop: Header=BB317_541 Depth=1
	v_lshrrev_b32_e32 v2, 24, v11
	v_bfrev_b32_e32 v10, 1
	s_mov_b32 s12, exec_lo
	v_cmpx_ne_u32_e32 0x80, v2
	s_cbranch_execz .LBB317_934
; %bb.929:                              ;   in Loop: Header=BB317_541 Depth=1
	v_and_b32_e32 v60, 0x7f, v2
	v_mov_b32_e32 v10, 0x7c010000
	s_mov_b32 s13, exec_lo
	v_cmpx_ne_u32_e32 0x7f, v60
	s_cbranch_execz .LBB317_933
; %bb.930:                              ;   in Loop: Header=BB317_541 Depth=1
	v_and_b32_e32 v10, 7, v2
	v_lshrrev_b32_e32 v11, 3, v60
	s_mov_b32 s17, exec_lo
	v_cmpx_gt_u32_e32 8, v60
; %bb.931:                              ;   in Loop: Header=BB317_541 Depth=1
	v_ffbh_u32_e32 v10, v10
	v_min_u32_e32 v60, 32, v10
	v_subrev_nc_u32_e32 v10, 28, v60
	v_lshlrev_b64 v[10:11], v10, v[2:3]
	v_sub_nc_u32_e32 v11, 29, v60
	v_and_b32_e32 v10, 7, v10
; %bb.932:                              ;   in Loop: Header=BB317_541 Depth=1
	s_or_b32 exec_lo, exec_lo, s17
	v_lshlrev_b32_e32 v2, 8, v2
	v_lshl_add_u32 v11, v11, 10, 0x2000
	v_lshlrev_b32_e32 v10, 23, v10
	v_and_or_b32 v2, 0x8000, v2, v11
	v_lshl_or_b32 v10, v2, 16, v10
.LBB317_933:                            ;   in Loop: Header=BB317_541 Depth=1
	s_or_b32 exec_lo, exec_lo, s13
.LBB317_934:                            ;   in Loop: Header=BB317_541 Depth=1
	s_or_b32 exec_lo, exec_lo, s12
.LBB317_935:                            ;   in Loop: Header=BB317_541 Depth=1
	s_or_b32 exec_lo, exec_lo, s9
	v_or_b32_e32 v2, v55, v56
	s_waitcnt vmcnt(0)
	v_fma_mixlo_f16 v11, v52, v55, 0 op_sel:[0,1,0] op_sel_hi:[0,1,0]
	v_or_b32_e32 v55, v53, v54
	v_fma_mixlo_f16 v53, v52, v53, 0 op_sel:[0,1,0] op_sel_hi:[0,1,0]
	v_or_b32_e32 v56, v59, v58
	v_or_b32_e32 v57, v10, v57
	v_fma_mixlo_f16 v58, v52, v2, 0 op_sel_hi:[0,1,0]
	v_fma_mixlo_f16 v10, v52, v10, 0 op_sel:[0,1,0] op_sel_hi:[0,1,0]
	v_lshlrev_b32_e32 v54, 16, v53
	v_fma_mixlo_f16 v53, v52, v55, 0 op_sel_hi:[0,1,0]
	v_fma_mixlo_f16 v55, v52, v59, 0 op_sel:[0,1,0] op_sel_hi:[0,1,0]
	v_fma_mixlo_f16 v56, v52, v56, 0 op_sel_hi:[0,1,0]
	v_fma_mixlo_f16 v57, v52, v57, 0 op_sel_hi:[0,1,0]
	v_lshlrev_b32_e32 v2, 16, v11
	v_and_b32_e32 v11, 0xffff, v58
	v_and_b32_e32 v60, 0xffff, v53
	v_lshlrev_b32_e32 v52, 16, v55
	v_and_b32_e32 v56, 0xffff, v56
	v_lshlrev_b32_e32 v10, 16, v10
	v_and_b32_e32 v53, 0xffff, v57
	v_or_b32_e32 v55, v2, v11
	v_or_b32_e32 v59, v54, v60
	;; [unrolled: 1-line block ×4, first 2 shown]
	s_and_saveexec_b32 s9, vcc_lo
	s_cbranch_execz .LBB317_937
; %bb.936:                              ;   in Loop: Header=BB317_541 Depth=1
	v_cmp_gt_i32_e64 s0, s29, v31
	v_cndmask_b32_e64 v55, 0, v60, s0
	v_cmp_gt_i32_e64 s0, s29, v37
	v_cndmask_b32_e64 v54, 0, v54, s0
	v_cmp_gt_i32_e64 s0, s29, v36
	v_or_b32_e32 v59, v54, v55
	v_cndmask_b32_e64 v11, 0, v11, s0
	v_cmp_gt_i32_e64 s0, s29, v35
	v_cndmask_b32_e64 v2, 0, v2, s0
	v_cmp_gt_i32_e64 s0, s29, v34
	v_or_b32_e32 v55, v2, v11
	;; [unrolled: 5-line block ×3, first 2 shown]
	v_cndmask_b32_e64 v53, 0, v53, s0
	v_cmp_gt_i32_e64 s0, s29, v25
	v_cndmask_b32_e64 v10, 0, v10, s0
	v_or_b32_e32 v57, v10, v53
.LBB317_937:                            ;   in Loop: Header=BB317_541 Depth=1
	s_or_b32 exec_lo, exec_lo, s9
	;;#ASMSTART
	v_pk_mul_f16 v2, v42, v59;

	;;#ASMEND
	;;#ASMSTART
	v_pk_mul_f16 v10, v40, v55;

	;;#ASMEND
	;; [unrolled: 4-line block ×4, first 2 shown]
	;;#ASMSTART
	v_pk_add_f16 v2, v2, v10;

	;;#ASMEND
	;;#ASMSTART
	v_pk_add_f16 v2, v2, v11;

	;;#ASMEND
	;; [unrolled: 4-line block ×3, first 2 shown]
	v_and_b32_e32 v10, 0xffff, v2
	v_lshrrev_b32_e32 v2, 16, v2
	;;#ASMSTART
	v_cvt_f32_f16 v52, v10;
	;;#ASMEND
	;;#ASMSTART
	v_cvt_f32_f16 v53, v2;
	;;#ASMEND
	global_load_dwordx2 v[10:11], v[8:9], off offset:1536
	v_mov_b32_e32 v55, 0
	v_mov_b32_e32 v56, 0
	global_load_dword v54, v55, s[14:15]
	s_waitcnt vmcnt(1)
	v_cmp_ne_u16_sdwa s0, v10, v3 src0_sel:BYTE_0 src1_sel:DWORD
	s_and_saveexec_b32 s9, s0
	s_cbranch_execz .LBB317_945
; %bb.938:                              ;   in Loop: Header=BB317_541 Depth=1
	v_cmp_ne_u16_sdwa s0, v10, v27 src0_sel:BYTE_0 src1_sel:DWORD
	v_mov_b32_e32 v56, 0x8000
	s_and_saveexec_b32 s12, s0
	s_cbranch_execz .LBB317_944
; %bb.939:                              ;   in Loop: Header=BB317_541 Depth=1
	v_and_b32_e32 v57, 0x7f, v10
	v_mov_b32_e32 v56, 0x7c01
	s_mov_b32 s13, exec_lo
	v_cmpx_ne_u32_e32 0x7f, v57
	s_cbranch_execz .LBB317_943
; %bb.940:                              ;   in Loop: Header=BB317_541 Depth=1
	v_and_b32_e32 v2, 7, v10
	v_lshrrev_b32_e32 v56, 3, v57
	s_mov_b32 s17, exec_lo
	v_cmpx_gt_u32_e32 8, v57
; %bb.941:                              ;   in Loop: Header=BB317_541 Depth=1
	v_ffbh_u32_e32 v2, v2
	v_min_u32_e32 v2, 32, v2
	v_subrev_nc_u32_e32 v56, 28, v2
	v_lshlrev_b64 v[57:58], v56, v[10:11]
	v_sub_nc_u32_e32 v56, 29, v2
	v_and_b32_e32 v2, 7, v57
; %bb.942:                              ;   in Loop: Header=BB317_541 Depth=1
	s_or_b32 exec_lo, exec_lo, s17
	v_lshlrev_b32_e32 v57, 8, v10
	v_lshl_add_u32 v56, v56, 10, 0x2000
	v_lshlrev_b32_e32 v2, 7, v2
	v_and_b32_e32 v57, 0x8000, v57
	v_and_b32_e32 v56, 0xfc00, v56
	v_or3_b32 v56, v57, v56, v2
.LBB317_943:                            ;   in Loop: Header=BB317_541 Depth=1
	s_or_b32 exec_lo, exec_lo, s13
.LBB317_944:                            ;   in Loop: Header=BB317_541 Depth=1
	s_or_b32 exec_lo, exec_lo, s12
.LBB317_945:                            ;   in Loop: Header=BB317_541 Depth=1
	s_or_b32 exec_lo, exec_lo, s9
	v_lshrrev_b16 v2, 8, v10
	s_mov_b32 s9, exec_lo
	v_cmpx_ne_u16_e32 0, v2
	s_cbranch_execz .LBB317_953
; %bb.946:                              ;   in Loop: Header=BB317_541 Depth=1
	v_bfrev_b32_e32 v55, 1
	s_mov_b32 s12, exec_lo
	v_cmpx_ne_u16_e32 0x80, v2
	s_cbranch_execz .LBB317_952
; %bb.947:                              ;   in Loop: Header=BB317_541 Depth=1
	v_and_b32_sdwa v58, v2, v28 dst_sel:DWORD dst_unused:UNUSED_PAD src0_sel:WORD_0 src1_sel:DWORD
	v_mov_b32_e32 v55, 0x7c010000
	s_mov_b32 s13, exec_lo
	v_cmpx_ne_u32_e32 0x7f, v58
	s_cbranch_execz .LBB317_951
; %bb.948:                              ;   in Loop: Header=BB317_541 Depth=1
	v_and_b32_sdwa v55, v2, v29 dst_sel:DWORD dst_unused:UNUSED_PAD src0_sel:WORD_0 src1_sel:DWORD
	v_lshrrev_b32_e32 v57, 3, v58
	s_mov_b32 s17, exec_lo
	v_cmpx_gt_u32_e32 8, v58
; %bb.949:                              ;   in Loop: Header=BB317_541 Depth=1
	v_ffbh_u32_e32 v55, v55
	v_min_u32_e32 v55, 32, v55
	v_subrev_nc_u32_e32 v57, 28, v55
	v_lshlrev_b64 v[58:59], v57, v[2:3]
	v_sub_nc_u32_e32 v57, 29, v55
	v_and_b32_e32 v55, 7, v58
; %bb.950:                              ;   in Loop: Header=BB317_541 Depth=1
	s_or_b32 exec_lo, exec_lo, s17
	v_lshlrev_b32_sdwa v2, v30, v2 dst_sel:DWORD dst_unused:UNUSED_PAD src0_sel:DWORD src1_sel:WORD_0
	v_lshl_add_u32 v57, v57, 10, 0x2000
	v_lshlrev_b32_e32 v55, 23, v55
	v_and_or_b32 v2, 0x8000, v2, v57
	v_lshl_or_b32 v55, v2, 16, v55
.LBB317_951:                            ;   in Loop: Header=BB317_541 Depth=1
	s_or_b32 exec_lo, exec_lo, s13
.LBB317_952:                            ;   in Loop: Header=BB317_541 Depth=1
	s_or_b32 exec_lo, exec_lo, s12
.LBB317_953:                            ;   in Loop: Header=BB317_541 Depth=1
	s_or_b32 exec_lo, exec_lo, s9
	v_lshrrev_b32_e32 v2, 16, v10
	v_mov_b32_e32 v57, 0
	v_mov_b32_e32 v58, 0
	v_cmp_ne_u16_sdwa s0, v2, v3 src0_sel:BYTE_0 src1_sel:DWORD
	s_and_saveexec_b32 s9, s0
	s_cbranch_execz .LBB317_961
; %bb.954:                              ;   in Loop: Header=BB317_541 Depth=1
	v_cmp_ne_u16_sdwa s0, v2, v27 src0_sel:BYTE_0 src1_sel:DWORD
	v_mov_b32_e32 v58, 0x8000
	s_and_saveexec_b32 s12, s0
	s_cbranch_execz .LBB317_960
; %bb.955:                              ;   in Loop: Header=BB317_541 Depth=1
	v_bfe_u32 v60, v10, 16, 7
	v_mov_b32_e32 v58, 0x7c01
	s_mov_b32 s13, exec_lo
	v_cmpx_ne_u32_e32 0x7f, v60
	s_cbranch_execz .LBB317_959
; %bb.956:                              ;   in Loop: Header=BB317_541 Depth=1
	v_and_b32_e32 v58, 7, v2
	v_lshrrev_b32_e32 v59, 3, v60
	s_mov_b32 s17, exec_lo
	v_cmpx_gt_u32_e32 8, v60
; %bb.957:                              ;   in Loop: Header=BB317_541 Depth=1
	v_ffbh_u32_e32 v58, v58
	v_min_u32_e32 v60, 32, v58
	v_subrev_nc_u32_e32 v58, 28, v60
	v_lshlrev_b64 v[58:59], v58, v[2:3]
	v_sub_nc_u32_e32 v59, 29, v60
	v_and_b32_e32 v58, 7, v58
; %bb.958:                              ;   in Loop: Header=BB317_541 Depth=1
	s_or_b32 exec_lo, exec_lo, s17
	v_lshlrev_b32_e32 v2, 8, v2
	v_lshl_add_u32 v59, v59, 10, 0x2000
	v_lshlrev_b32_e32 v58, 7, v58
	v_and_b32_e32 v2, 0x8000, v2
	v_and_b32_e32 v59, 0xfc00, v59
	v_or3_b32 v58, v2, v59, v58
.LBB317_959:                            ;   in Loop: Header=BB317_541 Depth=1
	s_or_b32 exec_lo, exec_lo, s13
.LBB317_960:                            ;   in Loop: Header=BB317_541 Depth=1
	s_or_b32 exec_lo, exec_lo, s12
.LBB317_961:                            ;   in Loop: Header=BB317_541 Depth=1
	s_or_b32 exec_lo, exec_lo, s9
	s_mov_b32 s9, exec_lo
	v_cmpx_lt_u32_e32 0xffffff, v10
	s_cbranch_execz .LBB317_969
; %bb.962:                              ;   in Loop: Header=BB317_541 Depth=1
	v_lshrrev_b32_e32 v2, 24, v10
	v_bfrev_b32_e32 v57, 1
	s_mov_b32 s12, exec_lo
	v_cmpx_ne_u32_e32 0x80, v2
	s_cbranch_execz .LBB317_968
; %bb.963:                              ;   in Loop: Header=BB317_541 Depth=1
	v_and_b32_e32 v60, 0x7f, v2
	v_mov_b32_e32 v57, 0x7c010000
	s_mov_b32 s13, exec_lo
	v_cmpx_ne_u32_e32 0x7f, v60
	s_cbranch_execz .LBB317_967
; %bb.964:                              ;   in Loop: Header=BB317_541 Depth=1
	v_and_b32_e32 v57, 7, v2
	v_lshrrev_b32_e32 v59, 3, v60
	s_mov_b32 s17, exec_lo
	v_cmpx_gt_u32_e32 8, v60
; %bb.965:                              ;   in Loop: Header=BB317_541 Depth=1
	v_ffbh_u32_e32 v57, v57
	v_min_u32_e32 v57, 32, v57
	v_subrev_nc_u32_e32 v59, 28, v57
	v_lshlrev_b64 v[60:61], v59, v[2:3]
	v_sub_nc_u32_e32 v59, 29, v57
	v_and_b32_e32 v57, 7, v60
; %bb.966:                              ;   in Loop: Header=BB317_541 Depth=1
	s_or_b32 exec_lo, exec_lo, s17
	v_lshlrev_b32_e32 v2, 8, v2
	v_lshl_add_u32 v59, v59, 10, 0x2000
	v_lshlrev_b32_e32 v57, 23, v57
	v_and_or_b32 v2, 0x8000, v2, v59
	v_lshl_or_b32 v57, v2, 16, v57
.LBB317_967:                            ;   in Loop: Header=BB317_541 Depth=1
	s_or_b32 exec_lo, exec_lo, s13
.LBB317_968:                            ;   in Loop: Header=BB317_541 Depth=1
	s_or_b32 exec_lo, exec_lo, s12
.LBB317_969:                            ;   in Loop: Header=BB317_541 Depth=1
	s_or_b32 exec_lo, exec_lo, s9
	v_mov_b32_e32 v2, v11
	v_cmp_ne_u16_sdwa s0, v11, v3 src0_sel:BYTE_0 src1_sel:DWORD
	v_mov_b32_e32 v59, 0
	v_mov_b32_e32 v60, 0
	s_and_saveexec_b32 s9, s0
	s_cbranch_execz .LBB317_977
; %bb.970:                              ;   in Loop: Header=BB317_541 Depth=1
	v_cmp_ne_u16_sdwa s0, v11, v27 src0_sel:BYTE_0 src1_sel:DWORD
	v_mov_b32_e32 v60, 0x8000
	s_and_saveexec_b32 s12, s0
	s_cbranch_execz .LBB317_976
; %bb.971:                              ;   in Loop: Header=BB317_541 Depth=1
	v_and_b32_e32 v62, 0x7f, v11
	v_mov_b32_e32 v60, 0x7c01
	s_mov_b32 s13, exec_lo
	v_cmpx_ne_u32_e32 0x7f, v62
	s_cbranch_execz .LBB317_975
; %bb.972:                              ;   in Loop: Header=BB317_541 Depth=1
	v_and_b32_e32 v60, 7, v11
	v_lshrrev_b32_e32 v61, 3, v62
	s_mov_b32 s17, exec_lo
	v_cmpx_gt_u32_e32 8, v62
; %bb.973:                              ;   in Loop: Header=BB317_541 Depth=1
	v_ffbh_u32_e32 v60, v60
	v_min_u32_e32 v62, 32, v60
	v_subrev_nc_u32_e32 v60, 28, v62
	v_lshlrev_b64 v[60:61], v60, v[2:3]
	v_sub_nc_u32_e32 v61, 29, v62
	v_and_b32_e32 v60, 7, v60
; %bb.974:                              ;   in Loop: Header=BB317_541 Depth=1
	s_or_b32 exec_lo, exec_lo, s17
	v_lshlrev_b32_e32 v62, 8, v11
	v_lshl_add_u32 v61, v61, 10, 0x2000
	v_lshlrev_b32_e32 v60, 7, v60
	v_and_b32_e32 v62, 0x8000, v62
	v_and_b32_e32 v61, 0xfc00, v61
	v_or3_b32 v60, v62, v61, v60
.LBB317_975:                            ;   in Loop: Header=BB317_541 Depth=1
	s_or_b32 exec_lo, exec_lo, s13
.LBB317_976:                            ;   in Loop: Header=BB317_541 Depth=1
	s_or_b32 exec_lo, exec_lo, s12
.LBB317_977:                            ;   in Loop: Header=BB317_541 Depth=1
	s_or_b32 exec_lo, exec_lo, s9
	v_lshrrev_b16 v2, 8, v2
	v_mov_b32_e32 v61, 0
	s_mov_b32 s9, exec_lo
	v_cmpx_ne_u16_e32 0, v2
	s_cbranch_execz .LBB317_985
; %bb.978:                              ;   in Loop: Header=BB317_541 Depth=1
	v_bfrev_b32_e32 v61, 1
	s_mov_b32 s12, exec_lo
	v_cmpx_ne_u16_e32 0x80, v2
	s_cbranch_execz .LBB317_984
; %bb.979:                              ;   in Loop: Header=BB317_541 Depth=1
	v_and_b32_sdwa v63, v2, v28 dst_sel:DWORD dst_unused:UNUSED_PAD src0_sel:WORD_0 src1_sel:DWORD
	v_mov_b32_e32 v61, 0x7c010000
	s_mov_b32 s13, exec_lo
	v_cmpx_ne_u32_e32 0x7f, v63
	s_cbranch_execz .LBB317_983
; %bb.980:                              ;   in Loop: Header=BB317_541 Depth=1
	v_and_b32_sdwa v61, v2, v29 dst_sel:DWORD dst_unused:UNUSED_PAD src0_sel:WORD_0 src1_sel:DWORD
	v_lshrrev_b32_e32 v62, 3, v63
	s_mov_b32 s17, exec_lo
	v_cmpx_gt_u32_e32 8, v63
; %bb.981:                              ;   in Loop: Header=BB317_541 Depth=1
	v_ffbh_u32_e32 v61, v61
	v_min_u32_e32 v63, 32, v61
	v_subrev_nc_u32_e32 v61, 28, v63
	v_lshlrev_b64 v[61:62], v61, v[2:3]
	v_sub_nc_u32_e32 v62, 29, v63
	v_and_b32_e32 v61, 7, v61
; %bb.982:                              ;   in Loop: Header=BB317_541 Depth=1
	s_or_b32 exec_lo, exec_lo, s17
	v_lshlrev_b32_sdwa v2, v30, v2 dst_sel:DWORD dst_unused:UNUSED_PAD src0_sel:DWORD src1_sel:WORD_0
	v_lshl_add_u32 v62, v62, 10, 0x2000
	v_lshlrev_b32_e32 v61, 23, v61
	v_and_or_b32 v2, 0x8000, v2, v62
	v_lshl_or_b32 v61, v2, 16, v61
.LBB317_983:                            ;   in Loop: Header=BB317_541 Depth=1
	s_or_b32 exec_lo, exec_lo, s13
.LBB317_984:                            ;   in Loop: Header=BB317_541 Depth=1
	s_or_b32 exec_lo, exec_lo, s12
.LBB317_985:                            ;   in Loop: Header=BB317_541 Depth=1
	s_or_b32 exec_lo, exec_lo, s9
	v_lshrrev_b32_e32 v2, 16, v11
	v_cmp_ne_u16_sdwa s0, v2, v3 src0_sel:BYTE_0 src1_sel:DWORD
	s_and_saveexec_b32 s9, s0
	s_cbranch_execz .LBB317_993
; %bb.986:                              ;   in Loop: Header=BB317_541 Depth=1
	v_cmp_ne_u16_sdwa s0, v2, v27 src0_sel:BYTE_0 src1_sel:DWORD
	v_mov_b32_e32 v59, 0x8000
	s_and_saveexec_b32 s12, s0
	s_cbranch_execz .LBB317_992
; %bb.987:                              ;   in Loop: Header=BB317_541 Depth=1
	v_bfe_u32 v63, v11, 16, 7
	v_mov_b32_e32 v59, 0x7c01
	s_mov_b32 s13, exec_lo
	v_cmpx_ne_u32_e32 0x7f, v63
	s_cbranch_execz .LBB317_991
; %bb.988:                              ;   in Loop: Header=BB317_541 Depth=1
	v_and_b32_e32 v59, 7, v2
	v_lshrrev_b32_e32 v62, 3, v63
	s_mov_b32 s17, exec_lo
	v_cmpx_gt_u32_e32 8, v63
; %bb.989:                              ;   in Loop: Header=BB317_541 Depth=1
	v_ffbh_u32_e32 v59, v59
	v_min_u32_e32 v59, 32, v59
	v_subrev_nc_u32_e32 v62, 28, v59
	v_lshlrev_b64 v[63:64], v62, v[2:3]
	v_sub_nc_u32_e32 v62, 29, v59
	v_and_b32_e32 v59, 7, v63
; %bb.990:                              ;   in Loop: Header=BB317_541 Depth=1
	s_or_b32 exec_lo, exec_lo, s17
	v_lshlrev_b32_e32 v2, 8, v2
	v_lshl_add_u32 v62, v62, 10, 0x2000
	v_lshlrev_b32_e32 v59, 7, v59
	v_and_b32_e32 v2, 0x8000, v2
	v_and_b32_e32 v62, 0xfc00, v62
	v_or3_b32 v59, v2, v62, v59
.LBB317_991:                            ;   in Loop: Header=BB317_541 Depth=1
	s_or_b32 exec_lo, exec_lo, s13
.LBB317_992:                            ;   in Loop: Header=BB317_541 Depth=1
	s_or_b32 exec_lo, exec_lo, s12
.LBB317_993:                            ;   in Loop: Header=BB317_541 Depth=1
	s_or_b32 exec_lo, exec_lo, s9
	v_cmp_lt_u64_e64 s0, s[4:5], v[10:11]
	v_mov_b32_e32 v10, 0
	s_and_saveexec_b32 s9, s0
	s_cbranch_execz .LBB317_1001
; %bb.994:                              ;   in Loop: Header=BB317_541 Depth=1
	v_lshrrev_b32_e32 v2, 24, v11
	v_bfrev_b32_e32 v10, 1
	s_mov_b32 s12, exec_lo
	v_cmpx_ne_u32_e32 0x80, v2
	s_cbranch_execz .LBB317_1000
; %bb.995:                              ;   in Loop: Header=BB317_541 Depth=1
	v_and_b32_e32 v62, 0x7f, v2
	v_mov_b32_e32 v10, 0x7c010000
	s_mov_b32 s13, exec_lo
	v_cmpx_ne_u32_e32 0x7f, v62
	s_cbranch_execz .LBB317_999
; %bb.996:                              ;   in Loop: Header=BB317_541 Depth=1
	v_and_b32_e32 v10, 7, v2
	v_lshrrev_b32_e32 v11, 3, v62
	s_mov_b32 s17, exec_lo
	v_cmpx_gt_u32_e32 8, v62
; %bb.997:                              ;   in Loop: Header=BB317_541 Depth=1
	v_ffbh_u32_e32 v10, v10
	v_min_u32_e32 v62, 32, v10
	v_subrev_nc_u32_e32 v10, 28, v62
	v_lshlrev_b64 v[10:11], v10, v[2:3]
	v_sub_nc_u32_e32 v11, 29, v62
	v_and_b32_e32 v10, 7, v10
; %bb.998:                              ;   in Loop: Header=BB317_541 Depth=1
	s_or_b32 exec_lo, exec_lo, s17
	v_lshlrev_b32_e32 v2, 8, v2
	v_lshl_add_u32 v11, v11, 10, 0x2000
	v_lshlrev_b32_e32 v10, 23, v10
	v_and_or_b32 v2, 0x8000, v2, v11
	v_lshl_or_b32 v10, v2, 16, v10
.LBB317_999:                            ;   in Loop: Header=BB317_541 Depth=1
	s_or_b32 exec_lo, exec_lo, s13
.LBB317_1000:                           ;   in Loop: Header=BB317_541 Depth=1
	s_or_b32 exec_lo, exec_lo, s12
.LBB317_1001:                           ;   in Loop: Header=BB317_541 Depth=1
	s_or_b32 exec_lo, exec_lo, s9
	v_or_b32_e32 v2, v57, v58
	s_waitcnt vmcnt(0)
	v_fma_mixlo_f16 v11, v54, v57, 0 op_sel:[0,1,0] op_sel_hi:[0,1,0]
	v_or_b32_e32 v57, v55, v56
	v_fma_mixlo_f16 v55, v54, v55, 0 op_sel:[0,1,0] op_sel_hi:[0,1,0]
	v_or_b32_e32 v58, v61, v60
	v_or_b32_e32 v59, v10, v59
	v_fma_mixlo_f16 v60, v54, v2, 0 op_sel_hi:[0,1,0]
	v_fma_mixlo_f16 v10, v54, v10, 0 op_sel:[0,1,0] op_sel_hi:[0,1,0]
	v_lshlrev_b32_e32 v56, 16, v55
	v_fma_mixlo_f16 v55, v54, v57, 0 op_sel_hi:[0,1,0]
	v_fma_mixlo_f16 v57, v54, v61, 0 op_sel:[0,1,0] op_sel_hi:[0,1,0]
	v_fma_mixlo_f16 v58, v54, v58, 0 op_sel_hi:[0,1,0]
	v_fma_mixlo_f16 v59, v54, v59, 0 op_sel_hi:[0,1,0]
	v_lshlrev_b32_e32 v2, 16, v11
	v_and_b32_e32 v11, 0xffff, v60
	v_and_b32_e32 v62, 0xffff, v55
	v_lshlrev_b32_e32 v54, 16, v57
	v_and_b32_e32 v58, 0xffff, v58
	v_lshlrev_b32_e32 v10, 16, v10
	v_and_b32_e32 v55, 0xffff, v59
	v_or_b32_e32 v57, v2, v11
	v_or_b32_e32 v61, v56, v62
	;; [unrolled: 1-line block ×4, first 2 shown]
	s_and_saveexec_b32 s9, vcc_lo
	s_cbranch_execz .LBB317_1003
; %bb.1002:                             ;   in Loop: Header=BB317_541 Depth=1
	v_cmp_gt_i32_e64 s0, s29, v31
	v_cndmask_b32_e64 v57, 0, v62, s0
	v_cmp_gt_i32_e64 s0, s29, v37
	v_cndmask_b32_e64 v56, 0, v56, s0
	v_cmp_gt_i32_e64 s0, s29, v36
	v_or_b32_e32 v61, v56, v57
	v_cndmask_b32_e64 v11, 0, v11, s0
	v_cmp_gt_i32_e64 s0, s29, v35
	v_cndmask_b32_e64 v2, 0, v2, s0
	v_cmp_gt_i32_e64 s0, s29, v34
	v_or_b32_e32 v57, v2, v11
	;; [unrolled: 5-line block ×3, first 2 shown]
	v_cndmask_b32_e64 v55, 0, v55, s0
	v_cmp_gt_i32_e64 s0, s29, v25
	v_cndmask_b32_e64 v10, 0, v10, s0
	v_or_b32_e32 v59, v10, v55
.LBB317_1003:                           ;   in Loop: Header=BB317_541 Depth=1
	s_or_b32 exec_lo, exec_lo, s9
	;;#ASMSTART
	v_pk_mul_f16 v2, v42, v61;

	;;#ASMEND
	;;#ASMSTART
	v_pk_mul_f16 v10, v40, v57;

	;;#ASMEND
	;; [unrolled: 4-line block ×4, first 2 shown]
	;;#ASMSTART
	v_pk_add_f16 v2, v2, v10;

	;;#ASMEND
	;;#ASMSTART
	v_pk_add_f16 v2, v2, v11;

	;;#ASMEND
	;; [unrolled: 4-line block ×3, first 2 shown]
	v_and_b32_e32 v10, 0xffff, v2
	v_lshrrev_b32_e32 v2, 16, v2
	;;#ASMSTART
	v_cvt_f32_f16 v10, v10;
	;;#ASMEND
	;;#ASMSTART
	v_cvt_f32_f16 v11, v2;
	;;#ASMEND
	global_load_dwordx2 v[8:9], v[8:9], off offset:1792
	v_mov_b32_e32 v55, 0
	v_mov_b32_e32 v56, 0
	global_load_dword v54, v55, s[14:15]
	s_waitcnt vmcnt(1)
	v_cmp_ne_u16_sdwa s0, v8, v3 src0_sel:BYTE_0 src1_sel:DWORD
	s_and_saveexec_b32 s9, s0
	s_cbranch_execz .LBB317_1011
; %bb.1004:                             ;   in Loop: Header=BB317_541 Depth=1
	v_cmp_ne_u16_sdwa s0, v8, v27 src0_sel:BYTE_0 src1_sel:DWORD
	v_mov_b32_e32 v56, 0x8000
	s_and_saveexec_b32 s12, s0
	s_cbranch_execz .LBB317_1010
; %bb.1005:                             ;   in Loop: Header=BB317_541 Depth=1
	v_and_b32_e32 v57, 0x7f, v8
	v_mov_b32_e32 v56, 0x7c01
	s_mov_b32 s13, exec_lo
	v_cmpx_ne_u32_e32 0x7f, v57
	s_cbranch_execz .LBB317_1009
; %bb.1006:                             ;   in Loop: Header=BB317_541 Depth=1
	v_and_b32_e32 v2, 7, v8
	v_lshrrev_b32_e32 v56, 3, v57
	s_mov_b32 s17, exec_lo
	v_cmpx_gt_u32_e32 8, v57
; %bb.1007:                             ;   in Loop: Header=BB317_541 Depth=1
	v_ffbh_u32_e32 v2, v2
	v_min_u32_e32 v2, 32, v2
	v_subrev_nc_u32_e32 v56, 28, v2
	v_lshlrev_b64 v[57:58], v56, v[8:9]
	v_sub_nc_u32_e32 v56, 29, v2
	v_and_b32_e32 v2, 7, v57
; %bb.1008:                             ;   in Loop: Header=BB317_541 Depth=1
	s_or_b32 exec_lo, exec_lo, s17
	v_lshlrev_b32_e32 v57, 8, v8
	v_lshl_add_u32 v56, v56, 10, 0x2000
	v_lshlrev_b32_e32 v2, 7, v2
	v_and_b32_e32 v57, 0x8000, v57
	v_and_b32_e32 v56, 0xfc00, v56
	v_or3_b32 v56, v57, v56, v2
.LBB317_1009:                           ;   in Loop: Header=BB317_541 Depth=1
	s_or_b32 exec_lo, exec_lo, s13
.LBB317_1010:                           ;   in Loop: Header=BB317_541 Depth=1
	s_or_b32 exec_lo, exec_lo, s12
.LBB317_1011:                           ;   in Loop: Header=BB317_541 Depth=1
	s_or_b32 exec_lo, exec_lo, s9
	v_lshrrev_b16 v2, 8, v8
	s_mov_b32 s9, exec_lo
	v_cmpx_ne_u16_e32 0, v2
	s_cbranch_execz .LBB317_1019
; %bb.1012:                             ;   in Loop: Header=BB317_541 Depth=1
	v_bfrev_b32_e32 v55, 1
	s_mov_b32 s12, exec_lo
	v_cmpx_ne_u16_e32 0x80, v2
	s_cbranch_execz .LBB317_1018
; %bb.1013:                             ;   in Loop: Header=BB317_541 Depth=1
	v_and_b32_sdwa v58, v2, v28 dst_sel:DWORD dst_unused:UNUSED_PAD src0_sel:WORD_0 src1_sel:DWORD
	v_mov_b32_e32 v55, 0x7c010000
	s_mov_b32 s13, exec_lo
	v_cmpx_ne_u32_e32 0x7f, v58
	s_cbranch_execz .LBB317_1017
; %bb.1014:                             ;   in Loop: Header=BB317_541 Depth=1
	v_and_b32_sdwa v55, v2, v29 dst_sel:DWORD dst_unused:UNUSED_PAD src0_sel:WORD_0 src1_sel:DWORD
	v_lshrrev_b32_e32 v57, 3, v58
	s_mov_b32 s17, exec_lo
	v_cmpx_gt_u32_e32 8, v58
; %bb.1015:                             ;   in Loop: Header=BB317_541 Depth=1
	v_ffbh_u32_e32 v55, v55
	v_min_u32_e32 v55, 32, v55
	v_subrev_nc_u32_e32 v57, 28, v55
	v_lshlrev_b64 v[58:59], v57, v[2:3]
	v_sub_nc_u32_e32 v57, 29, v55
	v_and_b32_e32 v55, 7, v58
; %bb.1016:                             ;   in Loop: Header=BB317_541 Depth=1
	s_or_b32 exec_lo, exec_lo, s17
	v_lshlrev_b32_sdwa v2, v30, v2 dst_sel:DWORD dst_unused:UNUSED_PAD src0_sel:DWORD src1_sel:WORD_0
	v_lshl_add_u32 v57, v57, 10, 0x2000
	v_lshlrev_b32_e32 v55, 23, v55
	v_and_or_b32 v2, 0x8000, v2, v57
	v_lshl_or_b32 v55, v2, 16, v55
.LBB317_1017:                           ;   in Loop: Header=BB317_541 Depth=1
	s_or_b32 exec_lo, exec_lo, s13
.LBB317_1018:                           ;   in Loop: Header=BB317_541 Depth=1
	s_or_b32 exec_lo, exec_lo, s12
.LBB317_1019:                           ;   in Loop: Header=BB317_541 Depth=1
	s_or_b32 exec_lo, exec_lo, s9
	v_lshrrev_b32_e32 v2, 16, v8
	v_mov_b32_e32 v57, 0
	v_mov_b32_e32 v58, 0
	v_cmp_ne_u16_sdwa s0, v2, v3 src0_sel:BYTE_0 src1_sel:DWORD
	s_and_saveexec_b32 s9, s0
	s_cbranch_execz .LBB317_1027
; %bb.1020:                             ;   in Loop: Header=BB317_541 Depth=1
	v_cmp_ne_u16_sdwa s0, v2, v27 src0_sel:BYTE_0 src1_sel:DWORD
	v_mov_b32_e32 v58, 0x8000
	s_and_saveexec_b32 s12, s0
	s_cbranch_execz .LBB317_1026
; %bb.1021:                             ;   in Loop: Header=BB317_541 Depth=1
	v_bfe_u32 v60, v8, 16, 7
	v_mov_b32_e32 v58, 0x7c01
	s_mov_b32 s13, exec_lo
	v_cmpx_ne_u32_e32 0x7f, v60
	s_cbranch_execz .LBB317_1025
; %bb.1022:                             ;   in Loop: Header=BB317_541 Depth=1
	v_and_b32_e32 v58, 7, v2
	v_lshrrev_b32_e32 v59, 3, v60
	s_mov_b32 s17, exec_lo
	v_cmpx_gt_u32_e32 8, v60
; %bb.1023:                             ;   in Loop: Header=BB317_541 Depth=1
	v_ffbh_u32_e32 v58, v58
	v_min_u32_e32 v60, 32, v58
	v_subrev_nc_u32_e32 v58, 28, v60
	v_lshlrev_b64 v[58:59], v58, v[2:3]
	v_sub_nc_u32_e32 v59, 29, v60
	v_and_b32_e32 v58, 7, v58
; %bb.1024:                             ;   in Loop: Header=BB317_541 Depth=1
	s_or_b32 exec_lo, exec_lo, s17
	v_lshlrev_b32_e32 v2, 8, v2
	v_lshl_add_u32 v59, v59, 10, 0x2000
	v_lshlrev_b32_e32 v58, 7, v58
	v_and_b32_e32 v2, 0x8000, v2
	v_and_b32_e32 v59, 0xfc00, v59
	v_or3_b32 v58, v2, v59, v58
.LBB317_1025:                           ;   in Loop: Header=BB317_541 Depth=1
	s_or_b32 exec_lo, exec_lo, s13
.LBB317_1026:                           ;   in Loop: Header=BB317_541 Depth=1
	s_or_b32 exec_lo, exec_lo, s12
.LBB317_1027:                           ;   in Loop: Header=BB317_541 Depth=1
	s_or_b32 exec_lo, exec_lo, s9
	s_mov_b32 s9, exec_lo
	v_cmpx_lt_u32_e32 0xffffff, v8
	s_cbranch_execz .LBB317_1035
; %bb.1028:                             ;   in Loop: Header=BB317_541 Depth=1
	v_lshrrev_b32_e32 v2, 24, v8
	v_bfrev_b32_e32 v57, 1
	s_mov_b32 s12, exec_lo
	v_cmpx_ne_u32_e32 0x80, v2
	s_cbranch_execz .LBB317_1034
; %bb.1029:                             ;   in Loop: Header=BB317_541 Depth=1
	v_and_b32_e32 v60, 0x7f, v2
	v_mov_b32_e32 v57, 0x7c010000
	s_mov_b32 s13, exec_lo
	v_cmpx_ne_u32_e32 0x7f, v60
	s_cbranch_execz .LBB317_1033
; %bb.1030:                             ;   in Loop: Header=BB317_541 Depth=1
	v_and_b32_e32 v57, 7, v2
	v_lshrrev_b32_e32 v59, 3, v60
	s_mov_b32 s17, exec_lo
	v_cmpx_gt_u32_e32 8, v60
; %bb.1031:                             ;   in Loop: Header=BB317_541 Depth=1
	v_ffbh_u32_e32 v57, v57
	v_min_u32_e32 v57, 32, v57
	v_subrev_nc_u32_e32 v59, 28, v57
	v_lshlrev_b64 v[60:61], v59, v[2:3]
	v_sub_nc_u32_e32 v59, 29, v57
	v_and_b32_e32 v57, 7, v60
; %bb.1032:                             ;   in Loop: Header=BB317_541 Depth=1
	s_or_b32 exec_lo, exec_lo, s17
	v_lshlrev_b32_e32 v2, 8, v2
	v_lshl_add_u32 v59, v59, 10, 0x2000
	v_lshlrev_b32_e32 v57, 23, v57
	v_and_or_b32 v2, 0x8000, v2, v59
	v_lshl_or_b32 v57, v2, 16, v57
.LBB317_1033:                           ;   in Loop: Header=BB317_541 Depth=1
	s_or_b32 exec_lo, exec_lo, s13
.LBB317_1034:                           ;   in Loop: Header=BB317_541 Depth=1
	s_or_b32 exec_lo, exec_lo, s12
.LBB317_1035:                           ;   in Loop: Header=BB317_541 Depth=1
	s_or_b32 exec_lo, exec_lo, s9
	v_mov_b32_e32 v2, v9
	v_cmp_ne_u16_sdwa s0, v9, v3 src0_sel:BYTE_0 src1_sel:DWORD
	v_mov_b32_e32 v59, 0
	v_mov_b32_e32 v60, 0
	s_and_saveexec_b32 s9, s0
	s_cbranch_execz .LBB317_1043
; %bb.1036:                             ;   in Loop: Header=BB317_541 Depth=1
	v_cmp_ne_u16_sdwa s0, v9, v27 src0_sel:BYTE_0 src1_sel:DWORD
	v_mov_b32_e32 v60, 0x8000
	s_and_saveexec_b32 s12, s0
	s_cbranch_execz .LBB317_1042
; %bb.1037:                             ;   in Loop: Header=BB317_541 Depth=1
	v_and_b32_e32 v62, 0x7f, v9
	v_mov_b32_e32 v60, 0x7c01
	s_mov_b32 s13, exec_lo
	v_cmpx_ne_u32_e32 0x7f, v62
	s_cbranch_execz .LBB317_1041
; %bb.1038:                             ;   in Loop: Header=BB317_541 Depth=1
	v_and_b32_e32 v60, 7, v9
	v_lshrrev_b32_e32 v61, 3, v62
	s_mov_b32 s17, exec_lo
	v_cmpx_gt_u32_e32 8, v62
; %bb.1039:                             ;   in Loop: Header=BB317_541 Depth=1
	v_ffbh_u32_e32 v60, v60
	v_min_u32_e32 v62, 32, v60
	v_subrev_nc_u32_e32 v60, 28, v62
	v_lshlrev_b64 v[60:61], v60, v[2:3]
	v_sub_nc_u32_e32 v61, 29, v62
	v_and_b32_e32 v60, 7, v60
; %bb.1040:                             ;   in Loop: Header=BB317_541 Depth=1
	s_or_b32 exec_lo, exec_lo, s17
	v_lshlrev_b32_e32 v62, 8, v9
	v_lshl_add_u32 v61, v61, 10, 0x2000
	v_lshlrev_b32_e32 v60, 7, v60
	v_and_b32_e32 v62, 0x8000, v62
	v_and_b32_e32 v61, 0xfc00, v61
	v_or3_b32 v60, v62, v61, v60
.LBB317_1041:                           ;   in Loop: Header=BB317_541 Depth=1
	s_or_b32 exec_lo, exec_lo, s13
.LBB317_1042:                           ;   in Loop: Header=BB317_541 Depth=1
	s_or_b32 exec_lo, exec_lo, s12
.LBB317_1043:                           ;   in Loop: Header=BB317_541 Depth=1
	s_or_b32 exec_lo, exec_lo, s9
	v_lshrrev_b16 v2, 8, v2
	v_mov_b32_e32 v61, 0
	s_mov_b32 s9, exec_lo
	v_cmpx_ne_u16_e32 0, v2
	s_cbranch_execz .LBB317_1051
; %bb.1044:                             ;   in Loop: Header=BB317_541 Depth=1
	v_bfrev_b32_e32 v61, 1
	s_mov_b32 s12, exec_lo
	v_cmpx_ne_u16_e32 0x80, v2
	s_cbranch_execz .LBB317_1050
; %bb.1045:                             ;   in Loop: Header=BB317_541 Depth=1
	v_and_b32_sdwa v63, v2, v28 dst_sel:DWORD dst_unused:UNUSED_PAD src0_sel:WORD_0 src1_sel:DWORD
	v_mov_b32_e32 v61, 0x7c010000
	s_mov_b32 s13, exec_lo
	v_cmpx_ne_u32_e32 0x7f, v63
	s_cbranch_execz .LBB317_1049
; %bb.1046:                             ;   in Loop: Header=BB317_541 Depth=1
	v_and_b32_sdwa v61, v2, v29 dst_sel:DWORD dst_unused:UNUSED_PAD src0_sel:WORD_0 src1_sel:DWORD
	v_lshrrev_b32_e32 v62, 3, v63
	s_mov_b32 s17, exec_lo
	v_cmpx_gt_u32_e32 8, v63
; %bb.1047:                             ;   in Loop: Header=BB317_541 Depth=1
	v_ffbh_u32_e32 v61, v61
	v_min_u32_e32 v63, 32, v61
	v_subrev_nc_u32_e32 v61, 28, v63
	v_lshlrev_b64 v[61:62], v61, v[2:3]
	v_sub_nc_u32_e32 v62, 29, v63
	v_and_b32_e32 v61, 7, v61
; %bb.1048:                             ;   in Loop: Header=BB317_541 Depth=1
	s_or_b32 exec_lo, exec_lo, s17
	v_lshlrev_b32_sdwa v2, v30, v2 dst_sel:DWORD dst_unused:UNUSED_PAD src0_sel:DWORD src1_sel:WORD_0
	v_lshl_add_u32 v62, v62, 10, 0x2000
	v_lshlrev_b32_e32 v61, 23, v61
	v_and_or_b32 v2, 0x8000, v2, v62
	v_lshl_or_b32 v61, v2, 16, v61
.LBB317_1049:                           ;   in Loop: Header=BB317_541 Depth=1
	s_or_b32 exec_lo, exec_lo, s13
.LBB317_1050:                           ;   in Loop: Header=BB317_541 Depth=1
	s_or_b32 exec_lo, exec_lo, s12
.LBB317_1051:                           ;   in Loop: Header=BB317_541 Depth=1
	s_or_b32 exec_lo, exec_lo, s9
	v_lshrrev_b32_e32 v2, 16, v9
	v_cmp_ne_u16_sdwa s0, v2, v3 src0_sel:BYTE_0 src1_sel:DWORD
	s_and_saveexec_b32 s9, s0
	s_cbranch_execz .LBB317_1059
; %bb.1052:                             ;   in Loop: Header=BB317_541 Depth=1
	v_cmp_ne_u16_sdwa s0, v2, v27 src0_sel:BYTE_0 src1_sel:DWORD
	v_mov_b32_e32 v59, 0x8000
	s_and_saveexec_b32 s12, s0
	s_cbranch_execz .LBB317_1058
; %bb.1053:                             ;   in Loop: Header=BB317_541 Depth=1
	v_bfe_u32 v63, v9, 16, 7
	v_mov_b32_e32 v59, 0x7c01
	s_mov_b32 s13, exec_lo
	v_cmpx_ne_u32_e32 0x7f, v63
	s_cbranch_execz .LBB317_1057
; %bb.1054:                             ;   in Loop: Header=BB317_541 Depth=1
	v_and_b32_e32 v59, 7, v2
	v_lshrrev_b32_e32 v62, 3, v63
	s_mov_b32 s17, exec_lo
	v_cmpx_gt_u32_e32 8, v63
; %bb.1055:                             ;   in Loop: Header=BB317_541 Depth=1
	v_ffbh_u32_e32 v59, v59
	v_min_u32_e32 v59, 32, v59
	v_subrev_nc_u32_e32 v62, 28, v59
	v_lshlrev_b64 v[63:64], v62, v[2:3]
	v_sub_nc_u32_e32 v62, 29, v59
	v_and_b32_e32 v59, 7, v63
; %bb.1056:                             ;   in Loop: Header=BB317_541 Depth=1
	s_or_b32 exec_lo, exec_lo, s17
	v_lshlrev_b32_e32 v2, 8, v2
	v_lshl_add_u32 v62, v62, 10, 0x2000
	v_lshlrev_b32_e32 v59, 7, v59
	v_and_b32_e32 v2, 0x8000, v2
	v_and_b32_e32 v62, 0xfc00, v62
	v_or3_b32 v59, v2, v62, v59
.LBB317_1057:                           ;   in Loop: Header=BB317_541 Depth=1
	s_or_b32 exec_lo, exec_lo, s13
.LBB317_1058:                           ;   in Loop: Header=BB317_541 Depth=1
	s_or_b32 exec_lo, exec_lo, s12
.LBB317_1059:                           ;   in Loop: Header=BB317_541 Depth=1
	s_or_b32 exec_lo, exec_lo, s9
	v_cmp_lt_u64_e64 s0, s[4:5], v[8:9]
	v_mov_b32_e32 v8, 0
	s_and_saveexec_b32 s9, s0
	s_cbranch_execz .LBB317_1067
; %bb.1060:                             ;   in Loop: Header=BB317_541 Depth=1
	v_lshrrev_b32_e32 v2, 24, v9
	v_bfrev_b32_e32 v8, 1
	s_mov_b32 s12, exec_lo
	v_cmpx_ne_u32_e32 0x80, v2
	s_cbranch_execz .LBB317_1066
; %bb.1061:                             ;   in Loop: Header=BB317_541 Depth=1
	v_and_b32_e32 v62, 0x7f, v2
	v_mov_b32_e32 v8, 0x7c010000
	s_mov_b32 s13, exec_lo
	v_cmpx_ne_u32_e32 0x7f, v62
	s_cbranch_execz .LBB317_1065
; %bb.1062:                             ;   in Loop: Header=BB317_541 Depth=1
	v_and_b32_e32 v8, 7, v2
	v_lshrrev_b32_e32 v9, 3, v62
	s_mov_b32 s17, exec_lo
	v_cmpx_gt_u32_e32 8, v62
; %bb.1063:                             ;   in Loop: Header=BB317_541 Depth=1
	v_ffbh_u32_e32 v8, v8
	v_min_u32_e32 v62, 32, v8
	v_subrev_nc_u32_e32 v8, 28, v62
	v_lshlrev_b64 v[8:9], v8, v[2:3]
	v_sub_nc_u32_e32 v9, 29, v62
	v_and_b32_e32 v8, 7, v8
; %bb.1064:                             ;   in Loop: Header=BB317_541 Depth=1
	s_or_b32 exec_lo, exec_lo, s17
	v_lshlrev_b32_e32 v2, 8, v2
	v_lshl_add_u32 v9, v9, 10, 0x2000
	v_lshlrev_b32_e32 v8, 23, v8
	v_and_or_b32 v2, 0x8000, v2, v9
	v_lshl_or_b32 v8, v2, 16, v8
.LBB317_1065:                           ;   in Loop: Header=BB317_541 Depth=1
	s_or_b32 exec_lo, exec_lo, s13
.LBB317_1066:                           ;   in Loop: Header=BB317_541 Depth=1
	s_or_b32 exec_lo, exec_lo, s12
.LBB317_1067:                           ;   in Loop: Header=BB317_541 Depth=1
	s_or_b32 exec_lo, exec_lo, s9
	v_or_b32_e32 v2, v57, v58
	s_waitcnt vmcnt(0)
	v_fma_mixlo_f16 v9, v54, v57, 0 op_sel:[0,1,0] op_sel_hi:[0,1,0]
	v_or_b32_e32 v56, v55, v56
	v_fma_mixlo_f16 v57, v54, v55, 0 op_sel:[0,1,0] op_sel_hi:[0,1,0]
	v_or_b32_e32 v58, v61, v60
	v_fma_mixlo_f16 v2, v54, v2, 0 op_sel_hi:[0,1,0]
	v_or_b32_e32 v59, v8, v59
	v_lshlrev_b32_e32 v55, 16, v9
	v_lshlrev_b32_e32 v60, 16, v57
	v_fma_mixlo_f16 v9, v54, v56, 0 op_sel_hi:[0,1,0]
	v_and_b32_e32 v57, 0xffff, v2
	v_fma_mixlo_f16 v2, v54, v61, 0 op_sel:[0,1,0] op_sel_hi:[0,1,0]
	v_fma_mixlo_f16 v56, v54, v58, 0 op_sel_hi:[0,1,0]
	v_fma_mixlo_f16 v8, v54, v8, 0 op_sel:[0,1,0] op_sel_hi:[0,1,0]
	v_fma_mixlo_f16 v54, v54, v59, 0 op_sel_hi:[0,1,0]
	v_and_b32_e32 v62, 0xffff, v9
	v_lshlrev_b32_e32 v58, 16, v2
	v_and_b32_e32 v61, 0xffff, v56
	v_lshlrev_b32_e32 v56, 16, v8
	v_and_b32_e32 v59, 0xffff, v54
	v_or_b32_e32 v2, v55, v57
	v_or_b32_e32 v54, v60, v62
	;; [unrolled: 1-line block ×4, first 2 shown]
	s_and_saveexec_b32 s0, vcc_lo
	s_cbranch_execz .LBB317_540
; %bb.1068:                             ;   in Loop: Header=BB317_541 Depth=1
	v_cmp_gt_i32_e32 vcc_lo, s29, v31
	v_cndmask_b32_e32 v2, 0, v62, vcc_lo
	v_cmp_gt_i32_e32 vcc_lo, s29, v37
	v_cndmask_b32_e32 v8, 0, v60, vcc_lo
	v_cmp_gt_i32_e32 vcc_lo, s29, v36
	v_or_b32_e32 v54, v8, v2
	v_cndmask_b32_e32 v9, 0, v57, vcc_lo
	v_cmp_gt_i32_e32 vcc_lo, s29, v35
	v_cndmask_b32_e32 v31, 0, v55, vcc_lo
	v_cmp_gt_i32_e32 vcc_lo, s29, v34
	v_or_b32_e32 v2, v31, v9
	;; [unrolled: 5-line block ×3, first 2 shown]
	v_cndmask_b32_e32 v32, 0, v59, vcc_lo
	v_cmp_gt_i32_e32 vcc_lo, s29, v25
	v_cndmask_b32_e32 v35, 0, v56, vcc_lo
	v_or_b32_e32 v8, v35, v32
	s_branch .LBB317_540
.LBB317_1069:
	s_or_b32 exec_lo, exec_lo, s6
.LBB317_1070:
	s_or_b32 exec_lo, exec_lo, s1
	ds_bpermute_b32 v1, v16, v22
	ds_bpermute_b32 v2, v16, v24
	;; [unrolled: 1-line block ×8, first 2 shown]
	v_lshrrev_b32_e32 v9, 2, v14
	v_lshlrev_b32_e32 v11, 8, v13
	v_and_b32_e32 v13, 0x3c3, v0
	s_mov_b32 s0, exec_lo
	s_waitcnt lgkmcnt(0)
	s_waitcnt_vscnt null, 0x0
	s_barrier
	buffer_gl0_inv
	v_add_f32_e32 v1, v22, v1
	v_add_f32_e32 v2, v24, v2
	;; [unrolled: 1-line block ×8, first 2 shown]
	ds_bpermute_b32 v5, v12, v1
	ds_bpermute_b32 v6, v12, v2
	;; [unrolled: 1-line block ×8, first 2 shown]
	v_and_b32_e32 v7, 28, v14
	v_add_nc_u32_e32 v10, 0xa0, v7
	s_waitcnt lgkmcnt(7)
	v_add_f32_e32 v8, v1, v5
	s_waitcnt lgkmcnt(6)
	v_add_f32_e32 v7, v2, v6
	s_waitcnt lgkmcnt(5)
	v_add_f32_e32 v6, v3, v20
	s_waitcnt lgkmcnt(4)
	v_add_f32_e32 v5, v4, v21
	s_waitcnt lgkmcnt(3)
	v_add_f32_e32 v4, v16, v22
	s_waitcnt lgkmcnt(2)
	v_add_f32_e32 v3, v19, v23
	s_waitcnt lgkmcnt(1)
	v_add_f32_e32 v2, v18, v24
	s_waitcnt lgkmcnt(0)
	v_add_f32_e32 v1, v17, v12
	v_cmpx_eq_u32_e32 64, v13
	s_cbranch_execz .LBB317_1072
; %bb.1071:
	v_add_nc_u32_e32 v12, v10, v11
	v_add_nc_u32_e32 v13, 0xfffffe00, v12
	;; [unrolled: 1-line block ×9, first 2 shown]
	ds_write_b32 v13, v8
	ds_write_b32 v14, v7
	;; [unrolled: 1-line block ×8, first 2 shown]
.LBB317_1072:
	s_or_b32 exec_lo, exec_lo, s0
	v_lshlrev_b32_e32 v9, 2, v9
	s_mov_b32 s1, exec_lo
	v_cmp_eq_u32_e32 vcc_lo, 0, v15
	s_waitcnt lgkmcnt(0)
	s_barrier
	v_add3_u32 v9, 0xa0, v11, v9
	buffer_gl0_inv
	v_cmpx_gt_u32_e32 64, v0
	s_cbranch_execz .LBB317_1083
; %bb.1073:
	s_and_saveexec_b32 s0, vcc_lo
	s_cbranch_execnz .LBB317_1099
; %bb.1074:
	s_or_b32 exec_lo, exec_lo, s0
	s_and_saveexec_b32 s0, vcc_lo
	s_cbranch_execnz .LBB317_1100
.LBB317_1075:
	s_or_b32 exec_lo, exec_lo, s0
	s_and_saveexec_b32 s0, vcc_lo
	s_cbranch_execnz .LBB317_1101
.LBB317_1076:
	s_or_b32 exec_lo, exec_lo, s0
	s_and_saveexec_b32 s0, vcc_lo
	s_cbranch_execnz .LBB317_1102
.LBB317_1077:
	s_or_b32 exec_lo, exec_lo, s0
	s_and_saveexec_b32 s0, vcc_lo
	s_cbranch_execnz .LBB317_1103
.LBB317_1078:
	s_or_b32 exec_lo, exec_lo, s0
	s_and_saveexec_b32 s0, vcc_lo
	s_cbranch_execnz .LBB317_1104
.LBB317_1079:
	s_or_b32 exec_lo, exec_lo, s0
	s_and_saveexec_b32 s0, vcc_lo
	s_cbranch_execnz .LBB317_1105
.LBB317_1080:
	s_or_b32 exec_lo, exec_lo, s0
	s_and_saveexec_b32 s0, vcc_lo
	s_cbranch_execz .LBB317_1082
.LBB317_1081:
	ds_read_b32 v11, v9 offset:224
	s_waitcnt lgkmcnt(0)
	v_add_f32_e32 v1, v1, v11
.LBB317_1082:
	s_or_b32 exec_lo, exec_lo, s0
.LBB317_1083:
	s_or_b32 exec_lo, exec_lo, s1
	v_and_b32_e32 v11, 0x3e3, v0
	s_mov_b32 s1, exec_lo
	s_barrier
	buffer_gl0_inv
	v_cmpx_eq_u32_e32 32, v11
	s_cbranch_execz .LBB317_1085
; %bb.1084:
	ds_write2_b32 v10, v8, v7 offset1:8
	ds_write2_b32 v10, v6, v5 offset0:16 offset1:24
	ds_write2_b32 v10, v4, v3 offset0:32 offset1:40
	;; [unrolled: 1-line block ×3, first 2 shown]
.LBB317_1085:
	s_or_b32 exec_lo, exec_lo, s1
	s_mov_b32 s1, exec_lo
	s_waitcnt lgkmcnt(0)
	s_barrier
	buffer_gl0_inv
	v_cmpx_gt_u32_e32 32, v0
	s_cbranch_execz .LBB317_1096
; %bb.1086:
	s_and_saveexec_b32 s0, vcc_lo
	s_cbranch_execnz .LBB317_1106
; %bb.1087:
	s_or_b32 exec_lo, exec_lo, s0
	s_and_saveexec_b32 s0, vcc_lo
	s_cbranch_execnz .LBB317_1107
.LBB317_1088:
	s_or_b32 exec_lo, exec_lo, s0
	s_and_saveexec_b32 s0, vcc_lo
	s_cbranch_execnz .LBB317_1108
.LBB317_1089:
	s_or_b32 exec_lo, exec_lo, s0
	s_and_saveexec_b32 s0, vcc_lo
	s_cbranch_execnz .LBB317_1109
.LBB317_1090:
	s_or_b32 exec_lo, exec_lo, s0
	s_and_saveexec_b32 s0, vcc_lo
	s_cbranch_execnz .LBB317_1110
.LBB317_1091:
	s_or_b32 exec_lo, exec_lo, s0
	s_and_saveexec_b32 s0, vcc_lo
	s_cbranch_execnz .LBB317_1111
.LBB317_1092:
	s_or_b32 exec_lo, exec_lo, s0
	s_and_saveexec_b32 s0, vcc_lo
	s_cbranch_execnz .LBB317_1112
.LBB317_1093:
	s_or_b32 exec_lo, exec_lo, s0
	s_and_saveexec_b32 s0, vcc_lo
	s_cbranch_execz .LBB317_1095
.LBB317_1094:
	ds_read_b32 v9, v9 offset:224
	s_waitcnt lgkmcnt(0)
	v_add_f32_e32 v1, v1, v9
.LBB317_1095:
	s_or_b32 exec_lo, exec_lo, s0
.LBB317_1096:
	s_or_b32 exec_lo, exec_lo, s1
	s_barrier
	buffer_gl0_inv
	s_mov_b32 s0, exec_lo
	v_cmpx_eq_u32_e32 0, v11
	s_cbranch_execz .LBB317_1098
; %bb.1097:
	s_lshl_b32 s0, s2, 6
	s_mul_i32 s2, s7, s10
	s_ashr_i32 s1, s0, 31
	v_lshrrev_b32_e32 v0, 1, v0
	s_lshl_b64 s[0:1], s[0:1], 1
	;;#ASMSTART
	v_cvt_f16_f32 v8, v8;

	;;#ASMEND
	s_add_u32 s4, s24, s0
	s_addc_u32 s5, s25, s1
	s_ashr_i32 s3, s2, 31
	s_lshl_b64 s[0:1], s[2:3], 1
	s_add_u32 s2, s4, s0
	s_addc_u32 s3, s5, s1
	s_lshl_b32 s0, s8, 6
	s_ashr_i32 s1, s0, 31
	s_lshl_b64 s[0:1], s[0:1], 1
	s_add_u32 s0, s2, s0
	s_addc_u32 s1, s3, s1
	global_store_short v0, v8, s[0:1]
	;;#ASMSTART
	v_cvt_f16_f32 v7, v7;

	;;#ASMEND
	global_store_short v0, v7, s[0:1] offset:16
	;;#ASMSTART
	v_cvt_f16_f32 v6, v6;

	;;#ASMEND
	global_store_short v0, v6, s[0:1] offset:32
	;; [unrolled: 5-line block ×7, first 2 shown]
.LBB317_1098:
	s_endpgm
.LBB317_1099:
	ds_read_b32 v11, v9
	s_waitcnt lgkmcnt(0)
	v_add_f32_e32 v8, v8, v11
	s_or_b32 exec_lo, exec_lo, s0
	s_and_saveexec_b32 s0, vcc_lo
	s_cbranch_execz .LBB317_1075
.LBB317_1100:
	ds_read_b32 v11, v9 offset:32
	s_waitcnt lgkmcnt(0)
	v_add_f32_e32 v7, v7, v11
	s_or_b32 exec_lo, exec_lo, s0
	s_and_saveexec_b32 s0, vcc_lo
	s_cbranch_execz .LBB317_1076
.LBB317_1101:
	ds_read_b32 v11, v9 offset:64
	s_waitcnt lgkmcnt(0)
	v_add_f32_e32 v6, v6, v11
	s_or_b32 exec_lo, exec_lo, s0
	s_and_saveexec_b32 s0, vcc_lo
	s_cbranch_execz .LBB317_1077
.LBB317_1102:
	ds_read_b32 v11, v9 offset:96
	s_waitcnt lgkmcnt(0)
	v_add_f32_e32 v5, v5, v11
	s_or_b32 exec_lo, exec_lo, s0
	s_and_saveexec_b32 s0, vcc_lo
	s_cbranch_execz .LBB317_1078
.LBB317_1103:
	ds_read_b32 v11, v9 offset:128
	s_waitcnt lgkmcnt(0)
	v_add_f32_e32 v4, v4, v11
	s_or_b32 exec_lo, exec_lo, s0
	s_and_saveexec_b32 s0, vcc_lo
	s_cbranch_execz .LBB317_1079
.LBB317_1104:
	ds_read_b32 v11, v9 offset:160
	s_waitcnt lgkmcnt(0)
	v_add_f32_e32 v3, v3, v11
	s_or_b32 exec_lo, exec_lo, s0
	s_and_saveexec_b32 s0, vcc_lo
	s_cbranch_execz .LBB317_1080
.LBB317_1105:
	ds_read_b32 v11, v9 offset:192
	s_waitcnt lgkmcnt(0)
	v_add_f32_e32 v2, v2, v11
	s_or_b32 exec_lo, exec_lo, s0
	s_and_saveexec_b32 s0, vcc_lo
	s_cbranch_execnz .LBB317_1081
	s_branch .LBB317_1082
.LBB317_1106:
	ds_read_b32 v10, v9
	s_waitcnt lgkmcnt(0)
	v_add_f32_e32 v8, v8, v10
	s_or_b32 exec_lo, exec_lo, s0
	s_and_saveexec_b32 s0, vcc_lo
	s_cbranch_execz .LBB317_1088
.LBB317_1107:
	ds_read_b32 v10, v9 offset:32
	s_waitcnt lgkmcnt(0)
	v_add_f32_e32 v7, v7, v10
	s_or_b32 exec_lo, exec_lo, s0
	s_and_saveexec_b32 s0, vcc_lo
	s_cbranch_execz .LBB317_1089
.LBB317_1108:
	ds_read_b32 v10, v9 offset:64
	s_waitcnt lgkmcnt(0)
	v_add_f32_e32 v6, v6, v10
	s_or_b32 exec_lo, exec_lo, s0
	s_and_saveexec_b32 s0, vcc_lo
	s_cbranch_execz .LBB317_1090
.LBB317_1109:
	ds_read_b32 v10, v9 offset:96
	s_waitcnt lgkmcnt(0)
	v_add_f32_e32 v5, v5, v10
	s_or_b32 exec_lo, exec_lo, s0
	s_and_saveexec_b32 s0, vcc_lo
	s_cbranch_execz .LBB317_1091
.LBB317_1110:
	ds_read_b32 v10, v9 offset:128
	s_waitcnt lgkmcnt(0)
	v_add_f32_e32 v4, v4, v10
	s_or_b32 exec_lo, exec_lo, s0
	s_and_saveexec_b32 s0, vcc_lo
	s_cbranch_execz .LBB317_1092
.LBB317_1111:
	ds_read_b32 v10, v9 offset:160
	s_waitcnt lgkmcnt(0)
	v_add_f32_e32 v3, v3, v10
	s_or_b32 exec_lo, exec_lo, s0
	s_and_saveexec_b32 s0, vcc_lo
	s_cbranch_execz .LBB317_1093
.LBB317_1112:
	ds_read_b32 v10, v9 offset:192
	s_waitcnt lgkmcnt(0)
	v_add_f32_e32 v2, v2, v10
	s_or_b32 exec_lo, exec_lo, s0
	s_and_saveexec_b32 s0, vcc_lo
	s_cbranch_execnz .LBB317_1094
	s_branch .LBB317_1095
	.section	.rodata,"a",@progbits
	.p2align	6, 0x0
	.amdhsa_kernel _ZN4vllm25paged_attention_v2_kernelIthLi64ELi32ELi128ELNS_18Fp8KVCacheDataTypeE1ELb0ELi512EEEvPfS2_PT_PKS3_PKT0_S9_ifPKiSB_iPKfiiiSD_SD_iiiii
		.amdhsa_group_segment_fixed_size 160
		.amdhsa_private_segment_fixed_size 0
		.amdhsa_kernarg_size 400
		.amdhsa_user_sgpr_count 6
		.amdhsa_user_sgpr_private_segment_buffer 1
		.amdhsa_user_sgpr_dispatch_ptr 0
		.amdhsa_user_sgpr_queue_ptr 0
		.amdhsa_user_sgpr_kernarg_segment_ptr 1
		.amdhsa_user_sgpr_dispatch_id 0
		.amdhsa_user_sgpr_flat_scratch_init 0
		.amdhsa_user_sgpr_private_segment_size 0
		.amdhsa_wavefront_size32 1
		.amdhsa_uses_dynamic_stack 0
		.amdhsa_system_sgpr_private_segment_wavefront_offset 0
		.amdhsa_system_sgpr_workgroup_id_x 1
		.amdhsa_system_sgpr_workgroup_id_y 1
		.amdhsa_system_sgpr_workgroup_id_z 1
		.amdhsa_system_sgpr_workgroup_info 0
		.amdhsa_system_vgpr_workitem_id 0
		.amdhsa_next_free_vgpr 110
		.amdhsa_next_free_sgpr 44
		.amdhsa_reserve_vcc 1
		.amdhsa_reserve_flat_scratch 0
		.amdhsa_float_round_mode_32 0
		.amdhsa_float_round_mode_16_64 0
		.amdhsa_float_denorm_mode_32 3
		.amdhsa_float_denorm_mode_16_64 3
		.amdhsa_dx10_clamp 1
		.amdhsa_ieee_mode 1
		.amdhsa_fp16_overflow 0
		.amdhsa_workgroup_processor_mode 1
		.amdhsa_memory_ordered 1
		.amdhsa_forward_progress 1
		.amdhsa_shared_vgpr_count 0
		.amdhsa_exception_fp_ieee_invalid_op 0
		.amdhsa_exception_fp_denorm_src 0
		.amdhsa_exception_fp_ieee_div_zero 0
		.amdhsa_exception_fp_ieee_overflow 0
		.amdhsa_exception_fp_ieee_underflow 0
		.amdhsa_exception_fp_ieee_inexact 0
		.amdhsa_exception_int_div_zero 0
	.end_amdhsa_kernel
	.section	.text._ZN4vllm25paged_attention_v2_kernelIthLi64ELi32ELi128ELNS_18Fp8KVCacheDataTypeE1ELb0ELi512EEEvPfS2_PT_PKS3_PKT0_S9_ifPKiSB_iPKfiiiSD_SD_iiiii,"axG",@progbits,_ZN4vllm25paged_attention_v2_kernelIthLi64ELi32ELi128ELNS_18Fp8KVCacheDataTypeE1ELb0ELi512EEEvPfS2_PT_PKS3_PKT0_S9_ifPKiSB_iPKfiiiSD_SD_iiiii,comdat
.Lfunc_end317:
	.size	_ZN4vllm25paged_attention_v2_kernelIthLi64ELi32ELi128ELNS_18Fp8KVCacheDataTypeE1ELb0ELi512EEEvPfS2_PT_PKS3_PKT0_S9_ifPKiSB_iPKfiiiSD_SD_iiiii, .Lfunc_end317-_ZN4vllm25paged_attention_v2_kernelIthLi64ELi32ELi128ELNS_18Fp8KVCacheDataTypeE1ELb0ELi512EEEvPfS2_PT_PKS3_PKT0_S9_ifPKiSB_iPKfiiiSD_SD_iiiii
                                        ; -- End function
	.set _ZN4vllm25paged_attention_v2_kernelIthLi64ELi32ELi128ELNS_18Fp8KVCacheDataTypeE1ELb0ELi512EEEvPfS2_PT_PKS3_PKT0_S9_ifPKiSB_iPKfiiiSD_SD_iiiii.num_vgpr, 110
	.set _ZN4vllm25paged_attention_v2_kernelIthLi64ELi32ELi128ELNS_18Fp8KVCacheDataTypeE1ELb0ELi512EEEvPfS2_PT_PKS3_PKT0_S9_ifPKiSB_iPKfiiiSD_SD_iiiii.num_agpr, 0
	.set _ZN4vllm25paged_attention_v2_kernelIthLi64ELi32ELi128ELNS_18Fp8KVCacheDataTypeE1ELb0ELi512EEEvPfS2_PT_PKS3_PKT0_S9_ifPKiSB_iPKfiiiSD_SD_iiiii.numbered_sgpr, 44
	.set _ZN4vllm25paged_attention_v2_kernelIthLi64ELi32ELi128ELNS_18Fp8KVCacheDataTypeE1ELb0ELi512EEEvPfS2_PT_PKS3_PKT0_S9_ifPKiSB_iPKfiiiSD_SD_iiiii.num_named_barrier, 0
	.set _ZN4vllm25paged_attention_v2_kernelIthLi64ELi32ELi128ELNS_18Fp8KVCacheDataTypeE1ELb0ELi512EEEvPfS2_PT_PKS3_PKT0_S9_ifPKiSB_iPKfiiiSD_SD_iiiii.private_seg_size, 0
	.set _ZN4vllm25paged_attention_v2_kernelIthLi64ELi32ELi128ELNS_18Fp8KVCacheDataTypeE1ELb0ELi512EEEvPfS2_PT_PKS3_PKT0_S9_ifPKiSB_iPKfiiiSD_SD_iiiii.uses_vcc, 1
	.set _ZN4vllm25paged_attention_v2_kernelIthLi64ELi32ELi128ELNS_18Fp8KVCacheDataTypeE1ELb0ELi512EEEvPfS2_PT_PKS3_PKT0_S9_ifPKiSB_iPKfiiiSD_SD_iiiii.uses_flat_scratch, 0
	.set _ZN4vllm25paged_attention_v2_kernelIthLi64ELi32ELi128ELNS_18Fp8KVCacheDataTypeE1ELb0ELi512EEEvPfS2_PT_PKS3_PKT0_S9_ifPKiSB_iPKfiiiSD_SD_iiiii.has_dyn_sized_stack, 0
	.set _ZN4vllm25paged_attention_v2_kernelIthLi64ELi32ELi128ELNS_18Fp8KVCacheDataTypeE1ELb0ELi512EEEvPfS2_PT_PKS3_PKT0_S9_ifPKiSB_iPKfiiiSD_SD_iiiii.has_recursion, 0
	.set _ZN4vllm25paged_attention_v2_kernelIthLi64ELi32ELi128ELNS_18Fp8KVCacheDataTypeE1ELb0ELi512EEEvPfS2_PT_PKS3_PKT0_S9_ifPKiSB_iPKfiiiSD_SD_iiiii.has_indirect_call, 0
	.section	.AMDGPU.csdata,"",@progbits
; Kernel info:
; codeLenInByte = 36020
; TotalNumSgprs: 46
; NumVgprs: 110
; ScratchSize: 0
; MemoryBound: 0
; FloatMode: 240
; IeeeMode: 1
; LDSByteSize: 160 bytes/workgroup (compile time only)
; SGPRBlocks: 0
; VGPRBlocks: 13
; NumSGPRsForWavesPerEU: 46
; NumVGPRsForWavesPerEU: 110
; Occupancy: 9
; WaveLimiterHint : 1
; COMPUTE_PGM_RSRC2:SCRATCH_EN: 0
; COMPUTE_PGM_RSRC2:USER_SGPR: 6
; COMPUTE_PGM_RSRC2:TRAP_HANDLER: 0
; COMPUTE_PGM_RSRC2:TGID_X_EN: 1
; COMPUTE_PGM_RSRC2:TGID_Y_EN: 1
; COMPUTE_PGM_RSRC2:TGID_Z_EN: 1
; COMPUTE_PGM_RSRC2:TIDIG_COMP_CNT: 0
	.section	.text._ZN4vllm25paged_attention_v2_kernelIthLi80ELi32ELi128ELNS_18Fp8KVCacheDataTypeE1ELb0ELi512EEEvPfS2_PT_PKS3_PKT0_S9_ifPKiSB_iPKfiiiSD_SD_iiiii,"axG",@progbits,_ZN4vllm25paged_attention_v2_kernelIthLi80ELi32ELi128ELNS_18Fp8KVCacheDataTypeE1ELb0ELi512EEEvPfS2_PT_PKS3_PKT0_S9_ifPKiSB_iPKfiiiSD_SD_iiiii,comdat
	.protected	_ZN4vllm25paged_attention_v2_kernelIthLi80ELi32ELi128ELNS_18Fp8KVCacheDataTypeE1ELb0ELi512EEEvPfS2_PT_PKS3_PKT0_S9_ifPKiSB_iPKfiiiSD_SD_iiiii ; -- Begin function _ZN4vllm25paged_attention_v2_kernelIthLi80ELi32ELi128ELNS_18Fp8KVCacheDataTypeE1ELb0ELi512EEEvPfS2_PT_PKS3_PKT0_S9_ifPKiSB_iPKfiiiSD_SD_iiiii
	.globl	_ZN4vllm25paged_attention_v2_kernelIthLi80ELi32ELi128ELNS_18Fp8KVCacheDataTypeE1ELb0ELi512EEEvPfS2_PT_PKS3_PKT0_S9_ifPKiSB_iPKfiiiSD_SD_iiiii
	.p2align	8
	.type	_ZN4vllm25paged_attention_v2_kernelIthLi80ELi32ELi128ELNS_18Fp8KVCacheDataTypeE1ELb0ELi512EEEvPfS2_PT_PKS3_PKT0_S9_ifPKiSB_iPKfiiiSD_SD_iiiii,@function
_ZN4vllm25paged_attention_v2_kernelIthLi80ELi32ELi128ELNS_18Fp8KVCacheDataTypeE1ELb0ELi512EEEvPfS2_PT_PKS3_PKT0_S9_ifPKiSB_iPKfiiiSD_SD_iiiii: ; @_ZN4vllm25paged_attention_v2_kernelIthLi80ELi32ELi128ELNS_18Fp8KVCacheDataTypeE1ELb0ELi512EEEvPfS2_PT_PKS3_PKT0_S9_ifPKiSB_iPKfiiiSD_SD_iiiii
; %bb.0:
	s_load_dwordx2 s[0:1], s[4:5], 0x40
	s_mov_b32 s28, s7
	s_ashr_i32 s29, s7, 31
	s_lshl_b64 s[2:3], s[28:29], 2
	s_waitcnt lgkmcnt(0)
	s_add_u32 s0, s0, s2
	s_addc_u32 s1, s1, s3
	s_lshl_b32 s33, s8, 9
	s_load_dword s29, s[0:1], 0x0
	s_waitcnt lgkmcnt(0)
	s_cmp_ge_i32 s33, s29
	s_cbranch_scc1 .LBB318_1362
; %bb.1:
	s_clause 0x1
	s_load_dword s9, s[4:5], 0x90
	s_load_dwordx2 s[2:3], s[4:5], 0x30
	s_mov_b32 s36, 0
	s_waitcnt lgkmcnt(0)
	s_abs_i32 s10, s9
	s_abs_i32 s0, s2
	s_xor_b32 s2, s9, s2
	v_cvt_f32_u32_e32 v1, s0
	s_sub_i32 s7, 0, s0
	s_ashr_i32 s2, s2, 31
	v_rcp_iflag_f32_e32 v1, v1
	v_mul_f32_e32 v1, 0x4f7ffffe, v1
	v_cvt_u32_f32_e32 v1, v1
	v_readfirstlane_b32 s1, v1
	s_mul_i32 s7, s7, s1
	s_mul_hi_u32 s7, s1, s7
	s_add_i32 s1, s1, s7
	s_mul_hi_u32 s1, s10, s1
	s_mul_i32 s7, s1, s0
	s_sub_i32 s7, s10, s7
	s_add_i32 s10, s1, 1
	s_sub_i32 s11, s7, s0
	s_cmp_ge_u32 s7, s0
	s_cselect_b32 s1, s10, s1
	s_cselect_b32 s7, s11, s7
	s_add_i32 s10, s1, 1
	s_cmp_ge_u32 s7, s0
	s_cselect_b32 s0, s10, s1
	s_abs_i32 s13, s6
	s_xor_b32 s0, s0, s2
	s_sub_i32 s10, s0, s2
	s_load_dwordx2 s[0:1], s[4:5], 0x50
	s_abs_i32 s2, s10
	v_cvt_f32_u32_e32 v1, s2
	s_sub_i32 s11, 0, s2
	v_rcp_iflag_f32_e32 v1, v1
	v_mul_f32_e32 v1, 0x4f7ffffe, v1
	v_cvt_u32_f32_e32 v1, v1
	v_readfirstlane_b32 s7, v1
	s_mul_i32 s11, s11, s7
	s_mul_hi_u32 s11, s7, s11
	s_add_i32 s7, s7, s11
	s_waitcnt lgkmcnt(0)
	s_cmp_eq_u64 s[0:1], 0
	s_mul_hi_u32 s12, s13, s7
	s_cbranch_scc1 .LBB318_3
; %bb.2:
	s_ashr_i32 s7, s6, 31
	s_lshl_b64 s[14:15], s[6:7], 2
	s_add_u32 s0, s0, s14
	s_addc_u32 s1, s1, s15
	s_load_dword s36, s[0:1], 0x0
.LBB318_3:
	s_clause 0x1
	s_load_dwordx2 s[26:27], s[4:5], 0x38
	s_load_dwordx4 s[16:19], s[4:5], 0x58
	s_ashr_i32 s0, s6, 31
	s_ashr_i32 s1, s10, 31
	s_mul_i32 s10, s6, 0x50
	s_mov_b32 s7, exec_lo
	v_cmpx_gt_u32_e32 10, v0
	s_cbranch_execz .LBB318_5
; %bb.4:
	s_load_dwordx2 s[14:15], s[4:5], 0x18
	s_waitcnt lgkmcnt(0)
	s_mul_i32 s20, s16, s28
	v_lshlrev_b32_e32 v5, 4, v0
	s_ashr_i32 s21, s20, 31
	s_lshl_b64 s[20:21], s[20:21], 1
	s_add_u32 s16, s14, s20
	s_addc_u32 s19, s15, s21
	s_ashr_i32 s11, s10, 31
	s_lshl_b64 s[14:15], s[10:11], 1
	s_add_u32 s14, s16, s14
	s_addc_u32 s15, s19, s15
	global_load_dwordx4 v[1:4], v5, s[14:15]
	s_waitcnt vmcnt(0)
	ds_write_b128 v5, v[1:4]
.LBB318_5:
	s_or_b32 exec_lo, exec_lo, s7
	s_add_i32 s7, s29, 31
	s_waitcnt lgkmcnt(0)
	s_lshl_b32 s19, s8, 4
	s_ashr_i32 s11, s7, 31
	s_xor_b32 s0, s0, s1
	s_lshr_b32 s11, s11, 27
	s_mul_i32 s1, s12, s2
	s_add_i32 s7, s7, s11
	s_add_i32 s11, s19, 16
	s_ashr_i32 s16, s7, 5
	s_sub_i32 s1, s13, s1
	s_clause 0x3
	s_load_dwordx4 s[20:23], s[4:5], 0x0
	s_load_dwordx2 s[24:25], s[4:5], 0x10
	s_load_dwordx2 s[30:31], s[4:5], 0x28
	s_load_dword s34, s[4:5], 0x48
	s_min_i32 s11, s11, s16
	s_add_i32 s7, s12, 1
	s_sub_i32 s13, s1, s2
	s_cmp_ge_u32 s1, s2
	v_lshrrev_b32_e32 v13, 5, v0
	s_cselect_b32 s35, s7, s12
	s_cselect_b32 s1, s13, s1
	s_clause 0x1
	s_load_dword s7, s[4:5], 0x98
	s_load_dwordx4 s[12:15], s[4:5], 0x68
	s_add_i32 s37, s35, 1
	s_cmp_ge_u32 s1, s2
	v_add_nc_u32_e32 v1, s19, v13
	v_and_b32_e32 v14, 31, v0
	s_cselect_b32 s1, s37, s35
	v_mov_b32_e32 v16, 0xff7fffff
	s_xor_b32 s1, s1, s0
	v_ashrrev_i32_e32 v2, 31, v1
	s_sub_i32 s1, s1, s0
	v_cmp_gt_i32_e64 s0, s11, v1
	v_lshlrev_b32_e32 v15, 2, v14
	s_waitcnt lgkmcnt(0)
	s_mul_i32 s34, s34, s28
	s_mul_i32 s18, s1, s18
	s_ashr_i32 s35, s34, 31
	s_barrier
	buffer_gl0_inv
	s_and_saveexec_b32 s37, s0
	s_cbranch_execz .LBB318_649
; %bb.6:
	s_load_dwordx2 s[4:5], s[4:5], 0x20
	v_lshlrev_b32_e32 v3, 4, v14
	v_lshlrev_b32_e32 v5, 5, v13
	s_ashr_i32 s1, s18, 31
	v_lshl_or_b32 v6, v13, 7, v15
	v_lshlrev_b64 v[7:8], 2, v[1:2]
	v_mov_b32_e32 v4, 0
	v_add3_u32 v18, s33, v5, v14
	v_cmp_neq_f32_e64 vcc_lo, s36, 0
	v_add_nc_u32_e32 v19, 0xc0, v6
	v_mov_b32_e32 v16, 0xff7fffff
	v_mov_b32_e32 v17, 0x80
	;; [unrolled: 1-line block ×6, first 2 shown]
	s_mov_b32 s38, s17
	s_mov_b32 s40, 0
	s_waitcnt lgkmcnt(0)
	s_add_u32 s2, s4, s18
	s_addc_u32 s1, s5, s1
	s_lshl_b64 s[4:5], s[34:35], 2
	v_add_co_u32 v5, s2, s2, v3
	s_sub_i32 s39, 1, s29
	v_add_co_ci_u32_e64 v6, null, s1, 0, s2
	s_add_u32 s1, s26, s4
	s_addc_u32 s2, s27, s5
	v_add_co_u32 v7, s1, s1, v7
	v_add_co_ci_u32_e64 v8, null, s2, v8, s1
	s_mov_b32 s4, -1
	s_mov_b32 s5, 0xffffff
	s_branch .LBB318_11
.LBB318_7:                              ;   in Loop: Header=BB318_11 Depth=1
	s_or_b32 exec_lo, exec_lo, s43
	v_lshlrev_b32_e32 v3, 8, v3
	v_lshl_add_u32 v10, v10, 10, 0x2000
	v_lshlrev_b32_e32 v9, 23, v9
	v_and_or_b32 v3, 0x8000, v3, v10
	v_lshl_or_b32 v100, v3, 16, v9
.LBB318_8:                              ;   in Loop: Header=BB318_11 Depth=1
	s_or_b32 exec_lo, exec_lo, s42
.LBB318_9:                              ;   in Loop: Header=BB318_11 Depth=1
	s_or_b32 exec_lo, exec_lo, s41
.LBB318_10:                             ;   in Loop: Header=BB318_11 Depth=1
	s_or_b32 exec_lo, exec_lo, s2
	ds_read_b128 v[103:106], v4
	v_or_b32_e32 v10, v26, v25
	v_or_b32_e32 v3, v29, v27
	v_fma_mixlo_f16 v25, v24, v26, 0 op_sel:[0,1,0] op_sel_hi:[0,1,0]
	v_or_b32_e32 v26, v31, v28
	v_or_b32_e32 v27, v33, v30
	v_fma_mixlo_f16 v10, v24, v10, 0 op_sel_hi:[0,1,0]
	v_fma_mixlo_f16 v9, v24, v29, 0 op_sel:[0,1,0] op_sel_hi:[0,1,0]
	v_fma_mixlo_f16 v3, v24, v3, 0 op_sel_hi:[0,1,0]
	v_fma_mixlo_f16 v28, v24, v26, 0 op_sel_hi:[0,1,0]
	v_fma_mixlo_f16 v31, v24, v31, 0 op_sel:[0,1,0] op_sel_hi:[0,1,0]
	v_fma_mixlo_f16 v46, v24, v33, 0 op_sel:[0,1,0] op_sel_hi:[0,1,0]
	v_fma_mixlo_f16 v107, v24, v27, 0 op_sel_hi:[0,1,0]
	v_and_b32_e32 v27, 0xffff, v25
	v_and_b32_e32 v26, 0xffff, v10
	v_and_b32_e32 v3, 0xffff, v3
	v_and_b32_e32 v9, 0xffff, v9
	v_and_b32_e32 v28, 0xffff, v28
	v_and_b32_e32 v46, 0xffff, v46
	v_or_b32_e32 v38, v41, v38
	s_waitcnt lgkmcnt(0)
	v_and_b32_e32 v10, 0xffff, v103
	v_lshrrev_b32_e32 v25, 16, v103
	v_lshrrev_b32_e32 v33, 16, v104
	v_and_b32_e32 v29, 0xffff, v104
	;;#ASMSTART
	v_cvt_f32_f16 v10, v10;
	;;#ASMEND
	;;#ASMSTART
	v_cvt_f32_f16 v25, v25;
	;;#ASMEND
	;; [unrolled: 3-line block ×4, first 2 shown]
	v_and_b32_e32 v27, 0xffff, v105
	v_lshrrev_b32_e32 v103, 16, v105
	;;#ASMSTART
	v_cvt_f32_f16 v29, v29;
	;;#ASMEND
	;;#ASMSTART
	v_cvt_f32_f16 v33, v33;
	;;#ASMEND
	;; [unrolled: 3-line block ×7, first 2 shown]
	v_and_b32_e32 v3, 0xffff, v31
	v_and_b32_e32 v9, 0xffff, v106
	v_lshrrev_b32_e32 v31, 16, v106
	v_and_b32_e32 v103, 0xffff, v107
	;;#ASMSTART
	v_cvt_f32_f16 v116, v3;
	;;#ASMEND
	;;#ASMSTART
	v_cvt_f32_f16 v110, v9;
	;;#ASMEND
	;; [unrolled: 3-line block ×5, first 2 shown]
	ds_read_b128 v[105:108], v4 offset:16
	v_or_b32_e32 v3, v37, v35
	v_or_b32_e32 v31, v34, v32
	;; [unrolled: 1-line block ×3, first 2 shown]
	v_fma_mixlo_f16 v9, v24, v37, 0 op_sel:[0,1,0] op_sel_hi:[0,1,0]
	v_fma_mixlo_f16 v37, v24, v43, 0 op_sel:[0,1,0] op_sel_hi:[0,1,0]
	v_fma_mixlo_f16 v32, v24, v3, 0 op_sel_hi:[0,1,0]
	v_fma_mixlo_f16 v3, v24, v34, 0 op_sel:[0,1,0] op_sel_hi:[0,1,0]
	v_or_b32_e32 v34, v39, v36
	v_fma_mixlo_f16 v31, v24, v31, 0 op_sel_hi:[0,1,0]
	v_fma_mixlo_f16 v36, v24, v39, 0 op_sel:[0,1,0] op_sel_hi:[0,1,0]
	v_fma_mixlo_f16 v35, v24, v35, 0 op_sel_hi:[0,1,0]
	v_and_b32_e32 v46, 0xffff, v3
	v_fma_mixlo_f16 v34, v24, v34, 0 op_sel_hi:[0,1,0]
	v_and_b32_e32 v43, 0xffff, v31
	v_and_b32_e32 v32, 0xffff, v32
	;; [unrolled: 1-line block ×5, first 2 shown]
	v_fma_mixlo_f16 v38, v24, v38, 0 op_sel_hi:[0,1,0]
	s_waitcnt lgkmcnt(0)
	v_and_b32_e32 v39, 0xffff, v105
	v_lshrrev_b32_e32 v40, 16, v105
	;;#ASMSTART
	v_cvt_f32_f16 v39, v39;
	;;#ASMEND
	;;#ASMSTART
	v_cvt_f32_f16 v31, v40;
	;;#ASMEND
	;; [unrolled: 3-line block ×3, first 2 shown]
	v_and_b32_e32 v103, 0xffff, v106
	v_mul_f32_e32 v3, v39, v3
	v_and_b32_e32 v39, 0xffff, v107
	v_lshrrev_b32_e32 v43, 16, v107
	v_lshrrev_b32_e32 v105, 16, v106
	;;#ASMSTART
	v_cvt_f32_f16 v40, v46;
	;;#ASMEND
	;;#ASMSTART
	v_cvt_f32_f16 v46, v103;
	;;#ASMEND
	;; [unrolled: 3-line block ×7, first 2 shown]
	v_and_b32_e32 v9, 0xffff, v36
	v_and_b32_e32 v36, 0xffff, v108
	v_lshrrev_b32_e32 v39, 16, v108
	v_and_b32_e32 v43, 0xffff, v35
	;;#ASMSTART
	v_cvt_f32_f16 v120, v34;
	;;#ASMEND
	;;#ASMSTART
	v_cvt_f32_f16 v34, v9;
	;;#ASMEND
	;; [unrolled: 3-line block ×6, first 2 shown]
	ds_read_b128 v[105:108], v4 offset:32
	v_or_b32_e32 v9, v45, v42
	v_fma_mixlo_f16 v42, v24, v41, 0 op_sel:[0,1,0] op_sel_hi:[0,1,0]
	v_or_b32_e32 v41, v47, v44
	v_or_b32_e32 v44, v51, v48
	;; [unrolled: 1-line block ×3, first 2 shown]
	v_fma_mixlo_f16 v102, v24, v9, 0 op_sel_hi:[0,1,0]
	v_mul_f32_e32 v9, v31, v40
	v_fma_mixlo_f16 v45, v24, v45, 0 op_sel:[0,1,0] op_sel_hi:[0,1,0]
	v_fma_mixlo_f16 v31, v24, v41, 0 op_sel_hi:[0,1,0]
	v_fma_mixlo_f16 v40, v24, v44, 0 op_sel_hi:[0,1,0]
	v_fma_mixlo_f16 v44, v24, v51, 0 op_sel:[0,1,0] op_sel_hi:[0,1,0]
	v_fma_mixlo_f16 v47, v24, v47, 0 op_sel:[0,1,0] op_sel_hi:[0,1,0]
	v_fmac_f32_e32 v9, v25, v30
	v_fmac_f32_e32 v3, v10, v26
	v_mul_f32_e32 v26, v46, v114
	v_and_b32_e32 v31, 0xffff, v31
	v_and_b32_e32 v44, 0xffff, v44
	v_mul_f32_e32 v25, v103, v118
	v_mul_f32_e32 v10, v119, v120
	s_waitcnt lgkmcnt(0)
	v_and_b32_e32 v30, 0xffff, v105
	v_lshrrev_b32_e32 v46, 16, v105
	;;#ASMSTART
	v_cvt_f32_f16 v41, v30;
	;;#ASMEND
	v_and_b32_e32 v30, 0xffff, v38
	v_and_b32_e32 v38, 0xffff, v42
	;;#ASMSTART
	v_cvt_f32_f16 v124, v46;
	;;#ASMEND
	;;#ASMSTART
	v_cvt_f32_f16 v42, v30;
	;;#ASMEND
	;; [unrolled: 3-line block ×3, first 2 shown]
	v_and_b32_e32 v30, 0xffff, v102
	v_and_b32_e32 v38, 0xffff, v45
	;; [unrolled: 1-line block ×3, first 2 shown]
	v_lshrrev_b32_e32 v46, 16, v107
	v_and_b32_e32 v48, 0xffff, v106
	v_lshrrev_b32_e32 v51, 16, v106
	;;#ASMSTART
	v_cvt_f32_f16 v118, v48;
	;;#ASMEND
	;;#ASMSTART
	v_cvt_f32_f16 v119, v51;
	;;#ASMEND
	;; [unrolled: 3-line block ×7, first 2 shown]
	v_and_b32_e32 v30, 0xffff, v47
	v_and_b32_e32 v31, 0xffff, v108
	v_lshrrev_b32_e32 v38, 16, v108
	v_and_b32_e32 v40, 0xffff, v40
	;;#ASMSTART
	v_cvt_f32_f16 v114, v30;
	;;#ASMEND
	;;#ASMSTART
	v_cvt_f32_f16 v105, v31;
	;;#ASMEND
	;; [unrolled: 3-line block ×5, first 2 shown]
	ds_read_b128 v[44:47], v4 offset:48
	v_or_b32_e32 v40, v49, v117
	v_or_b32_e32 v38, v53, v50
	;; [unrolled: 1-line block ×4, first 2 shown]
	v_fma_mixlo_f16 v49, v24, v49, 0 op_sel:[0,1,0] op_sel_hi:[0,1,0]
	v_fma_mixlo_f16 v40, v24, v40, 0 op_sel_hi:[0,1,0]
	v_fma_mixlo_f16 v31, v24, v37, 0 op_sel_hi:[0,1,0]
	v_fma_mixlo_f16 v37, v24, v53, 0 op_sel:[0,1,0] op_sel_hi:[0,1,0]
	v_fma_mixlo_f16 v38, v24, v38, 0 op_sel_hi:[0,1,0]
	v_fma_mixlo_f16 v52, v24, v55, 0 op_sel:[0,1,0] op_sel_hi:[0,1,0]
	;; [unrolled: 2-line block ×3, first 2 shown]
	v_fma_mixlo_f16 v53, v24, v50, 0 op_sel_hi:[0,1,0]
	v_fmac_f32_e32 v26, v29, v104
	v_fmac_f32_e32 v25, v33, v115
	;; [unrolled: 1-line block ×3, first 2 shown]
	v_mul_f32_e32 v28, v32, v34
	v_mul_f32_e32 v27, v35, v36
	v_and_b32_e32 v33, 0xffff, v49
	s_waitcnt lgkmcnt(0)
	v_and_b32_e32 v29, 0xffff, v44
	v_lshrrev_b32_e32 v32, 16, v44
	;;#ASMSTART
	v_cvt_f32_f16 v115, v29;
	;;#ASMEND
	v_and_b32_e32 v29, 0xffff, v40
	v_and_b32_e32 v34, 0xffff, v45
	v_lshrrev_b32_e32 v35, 16, v45
	v_fma_mixlo_f16 v30, v24, v101, 0 op_sel:[0,1,0] op_sel_hi:[0,1,0]
	v_or_b32_e32 v126, v90, v93
	;;#ASMSTART
	v_cvt_f32_f16 v59, v32;
	;;#ASMEND
	;;#ASMSTART
	v_cvt_f32_f16 v117, v29;
	;;#ASMEND
	;; [unrolled: 3-line block ×5, first 2 shown]
	v_and_b32_e32 v29, 0xffff, v38
	v_and_b32_e32 v32, 0xffff, v37
	;; [unrolled: 1-line block ×3, first 2 shown]
	v_lshrrev_b32_e32 v34, 16, v46
	v_and_b32_e32 v35, 0xffff, v48
	v_and_b32_e32 v38, 0xffff, v55
	;;#ASMSTART
	v_cvt_f32_f16 v102, v29;
	;;#ASMEND
	;;#ASMSTART
	v_cvt_f32_f16 v48, v32;
	;;#ASMEND
	;; [unrolled: 3-line block ×5, first 2 shown]
	v_and_b32_e32 v29, 0xffff, v52
	v_and_b32_e32 v32, 0xffff, v47
	v_lshrrev_b32_e32 v33, 16, v47
	v_and_b32_e32 v34, 0xffff, v53
	;;#ASMSTART
	v_cvt_f32_f16 v104, v29;
	;;#ASMEND
	;;#ASMSTART
	v_cvt_f32_f16 v35, v32;
	;;#ASMEND
	;; [unrolled: 3-line block ×5, first 2 shown]
	ds_read_b128 v[44:47], v4 offset:64
	v_or_b32_e32 v29, v61, v58
	v_or_b32_e32 v53, v57, v54
	;; [unrolled: 1-line block ×3, first 2 shown]
	v_fma_mixlo_f16 v52, v24, v61, 0 op_sel:[0,1,0] op_sel_hi:[0,1,0]
	v_fma_mixlo_f16 v56, v24, v57, 0 op_sel:[0,1,0] op_sel_hi:[0,1,0]
	v_fma_mixlo_f16 v54, v24, v29, 0 op_sel_hi:[0,1,0]
	v_or_b32_e32 v29, v63, v60
	v_fma_mixlo_f16 v53, v24, v53, 0 op_sel_hi:[0,1,0]
	v_fma_mixlo_f16 v60, v24, v55, 0 op_sel_hi:[0,1,0]
	v_fma_mixlo_f16 v61, v24, v67, 0 op_sel:[0,1,0] op_sel_hi:[0,1,0]
	v_fma_mixlo_f16 v57, v24, v63, 0 op_sel:[0,1,0] op_sel_hi:[0,1,0]
	v_fma_mixlo_f16 v58, v24, v29, 0 op_sel_hi:[0,1,0]
	v_mul_f32_e32 v29, v39, v43
	v_fmac_f32_e32 v3, v41, v42
	v_and_b32_e32 v42, 0xffff, v53
	v_and_b32_e32 v43, 0xffff, v56
	;; [unrolled: 1-line block ×5, first 2 shown]
	s_waitcnt lgkmcnt(0)
	v_and_b32_e32 v39, 0xffff, v44
	v_lshrrev_b32_e32 v41, 16, v44
	v_and_b32_e32 v44, 0xffff, v45
	v_lshrrev_b32_e32 v45, 16, v45
	;; [unrolled: 2-line block ×3, first 2 shown]
	v_and_b32_e32 v63, 0xffff, v60
	v_and_b32_e32 v64, 0xffff, v61
	v_fmac_f32_e32 v28, v109, v116
	v_fmac_f32_e32 v27, v110, v112
	;; [unrolled: 1-line block ×3, first 2 shown]
	;;#ASMSTART
	v_cvt_f32_f16 v39, v39;
	;;#ASMEND
	;;#ASMSTART
	v_cvt_f32_f16 v41, v41;
	;;#ASMEND
	;; [unrolled: 3-line block ×11, first 2 shown]
	v_and_b32_e32 v46, 0xffff, v57
	v_and_b32_e32 v57, 0xffff, v47
	v_lshrrev_b32_e32 v47, 16, v47
	;;#ASMSTART
	v_cvt_f32_f16 v58, v46;
	;;#ASMEND
	;;#ASMSTART
	v_cvt_f32_f16 v60, v57;
	;;#ASMEND
	;; [unrolled: 3-line block ×5, first 2 shown]
	ds_read_b128 v[109:112], v4 offset:80
	v_or_b32_e32 v66, v69, v66
	v_or_b32_e32 v62, v65, v62
	v_fma_mixlo_f16 v33, v24, v90, 0 op_sel:[0,1,0] op_sel_hi:[0,1,0]
	v_or_b32_e32 v90, v99, v94
	v_or_b32_e32 v113, v88, v85
	v_fma_mixlo_f16 v85, v24, v66, 0 op_sel_hi:[0,1,0]
	v_or_b32_e32 v66, v71, v68
	v_or_b32_e32 v94, v97, v98
	;; [unrolled: 1-line block ×3, first 2 shown]
	v_fma_mixlo_f16 v65, v24, v65, 0 op_sel:[0,1,0] op_sel_hi:[0,1,0]
	v_fma_mixlo_f16 v68, v24, v62, 0 op_sel_hi:[0,1,0]
	v_fma_mixlo_f16 v57, v24, v90, 0 op_sel_hi:[0,1,0]
	v_or_b32_e32 v116, v81, v82
	v_fma_mixlo_f16 v82, v24, v69, 0 op_sel:[0,1,0] op_sel_hi:[0,1,0]
	v_fma_mixlo_f16 v90, v24, v71, 0 op_sel:[0,1,0] op_sel_hi:[0,1,0]
	v_fma_mixlo_f16 v71, v24, v66, 0 op_sel_hi:[0,1,0]
	v_fma_mixlo_f16 v46, v24, v94, 0 op_sel_hi:[0,1,0]
	v_fma_mixlo_f16 v47, v24, v97, 0 op_sel:[0,1,0] op_sel_hi:[0,1,0]
	v_fma_mixlo_f16 v94, v24, v67, 0 op_sel_hi:[0,1,0]
	v_fma_mixlo_f16 v97, v24, v75, 0 op_sel:[0,1,0] op_sel_hi:[0,1,0]
	s_waitcnt lgkmcnt(0)
	v_and_b32_e32 v62, 0xffff, v109
	v_lshrrev_b32_e32 v66, 16, v109
	v_and_b32_e32 v67, 0xffff, v68
	v_and_b32_e32 v68, 0xffff, v65
	;; [unrolled: 1-line block ×3, first 2 shown]
	v_lshrrev_b32_e32 v72, 16, v110
	;;#ASMSTART
	v_cvt_f32_f16 v62, v62;
	;;#ASMEND
	;;#ASMSTART
	v_cvt_f32_f16 v65, v66;
	;;#ASMEND
	;; [unrolled: 3-line block ×6, first 2 shown]
	v_and_b32_e32 v72, 0xffff, v85
	v_and_b32_e32 v75, 0xffff, v82
	;; [unrolled: 1-line block ×3, first 2 shown]
	v_lshrrev_b32_e32 v85, 16, v111
	v_and_b32_e32 v98, 0xffff, v71
	v_fma_mixlo_f16 v32, v24, v99, 0 op_sel:[0,1,0] op_sel_hi:[0,1,0]
	;;#ASMSTART
	v_cvt_f32_f16 v71, v72;
	;;#ASMEND
	;;#ASMSTART
	v_cvt_f32_f16 v72, v75;
	;;#ASMEND
	;; [unrolled: 3-line block ×5, first 2 shown]
	v_and_b32_e32 v90, 0xffff, v90
	v_and_b32_e32 v98, 0xffff, v112
	v_lshrrev_b32_e32 v99, 16, v112
	v_fmac_f32_e32 v9, v124, v125
	v_fmac_f32_e32 v25, v119, v121
	;; [unrolled: 1-line block ×3, first 2 shown]
	v_and_b32_e32 v109, 0xffff, v94
	v_and_b32_e32 v110, 0xffff, v97
	;;#ASMSTART
	v_cvt_f32_f16 v90, v90;
	;;#ASMEND
	;;#ASMSTART
	v_cvt_f32_f16 v94, v98;
	;;#ASMEND
	;; [unrolled: 3-line block ×5, first 2 shown]
	ds_read_b128 v[121:124], v4 offset:96
	v_or_b32_e32 v70, v73, v70
	v_or_b32_e32 v74, v77, v74
	;; [unrolled: 1-line block ×4, first 2 shown]
	v_fma_mixlo_f16 v73, v24, v73, 0 op_sel:[0,1,0] op_sel_hi:[0,1,0]
	v_fma_mixlo_f16 v70, v24, v70, 0 op_sel_hi:[0,1,0]
	v_fma_mixlo_f16 v77, v24, v77, 0 op_sel:[0,1,0] op_sel_hi:[0,1,0]
	v_fma_mixlo_f16 v74, v24, v74, 0 op_sel_hi:[0,1,0]
	v_fma_mixlo_f16 v76, v24, v76, 0 op_sel_hi:[0,1,0]
	v_fma_mixlo_f16 v119, v24, v81, 0 op_sel:[0,1,0] op_sel_hi:[0,1,0]
	v_or_b32_e32 v81, v87, v83
	v_or_b32_e32 v83, v84, v86
	v_fma_mixlo_f16 v86, v24, v78, 0 op_sel:[0,1,0] op_sel_hi:[0,1,0]
	v_fma_mixlo_f16 v79, v24, v79, 0 op_sel_hi:[0,1,0]
	v_fma_mixlo_f16 v80, v24, v80, 0 op_sel:[0,1,0] op_sel_hi:[0,1,0]
	v_and_b32_e32 v70, 0xffff, v70
	v_and_b32_e32 v73, 0xffff, v73
	v_fmac_f32_e32 v26, v118, v120
	v_fma_mixlo_f16 v120, v24, v116, 0 op_sel_hi:[0,1,0]
	s_waitcnt lgkmcnt(0)
	v_and_b32_e32 v78, 0xffff, v121
	;;#ASMSTART
	v_cvt_f32_f16 v111, v78;
	;;#ASMEND
	v_and_b32_e32 v78, 0xffff, v122
	v_fma_mixlo_f16 v116, v24, v87, 0 op_sel:[0,1,0] op_sel_hi:[0,1,0]
	v_fmac_f32_e32 v28, v103, v114
	v_fmac_f32_e32 v27, v105, v107
	;; [unrolled: 1-line block ×3, first 2 shown]
	v_lshrrev_b32_e32 v87, 16, v121
	v_lshrrev_b32_e32 v103, 16, v122
	;;#ASMSTART
	v_cvt_f32_f16 v107, v87;
	;;#ASMEND
	;;#ASMSTART
	v_cvt_f32_f16 v112, v70;
	;;#ASMEND
	;; [unrolled: 3-line block ×4, first 2 shown]
	v_and_b32_e32 v70, 0xffff, v74
	v_and_b32_e32 v73, 0xffff, v77
	;; [unrolled: 1-line block ×3, first 2 shown]
	v_lshrrev_b32_e32 v77, 16, v123
	v_and_b32_e32 v78, 0xffff, v76
	v_fma_mixlo_f16 v118, v24, v113, 0 op_sel_hi:[0,1,0]
	;;#ASMSTART
	v_cvt_f32_f16 v110, v103;
	;;#ASMEND
	;;#ASMSTART
	v_cvt_f32_f16 v113, v70;
	;;#ASMEND
	;; [unrolled: 3-line block ×6, first 2 shown]
	v_and_b32_e32 v70, 0xffff, v86
	v_and_b32_e32 v73, 0xffff, v124
	v_lshrrev_b32_e32 v74, 16, v124
	v_and_b32_e32 v79, 0xffff, v79
	v_and_b32_e32 v80, 0xffff, v80
	;;#ASMSTART
	v_cvt_f32_f16 v86, v70;
	;;#ASMEND
	;;#ASMSTART
	v_cvt_f32_f16 v87, v73;
	;;#ASMEND
	;; [unrolled: 3-line block ×5, first 2 shown]
	ds_read_b128 v[121:124], v4 offset:112
	v_fma_mixlo_f16 v88, v24, v88, 0 op_sel:[0,1,0] op_sel_hi:[0,1,0]
	v_fmac_f32_e32 v3, v115, v117
	v_fma_mixlo_f16 v125, v24, v81, 0 op_sel_hi:[0,1,0]
	v_fma_mixlo_f16 v117, v24, v83, 0 op_sel_hi:[0,1,0]
	v_or_b32_e32 v73, v92, v89
	v_fma_mixlo_f16 v115, v24, v84, 0 op_sel:[0,1,0] op_sel_hi:[0,1,0]
	v_or_b32_e32 v11, v12, v11
	v_or_b32_e32 v74, v95, v91
	v_or_b32_e32 v84, v100, v96
	v_fma_mixlo_f16 v34, v24, v126, 0 op_sel_hi:[0,1,0]
	v_fma_mixlo_f16 v79, v24, v92, 0 op_sel:[0,1,0] op_sel_hi:[0,1,0]
	v_fma_mixlo_f16 v80, v24, v73, 0 op_sel_hi:[0,1,0]
	v_fma_mixlo_f16 v81, v24, v12, 0 op_sel:[0,1,0] op_sel_hi:[0,1,0]
	;; [unrolled: 2-line block ×3, first 2 shown]
	v_fma_mixlo_f16 v74, v24, v74, 0 op_sel_hi:[0,1,0]
	v_fma_mixlo_f16 v12, v24, v84, 0 op_sel_hi:[0,1,0]
	v_fma_mixlo_f16 v11, v24, v100, 0 op_sel:[0,1,0] op_sel_hi:[0,1,0]
	v_fmac_f32_e32 v9, v59, v93
	s_waitcnt lgkmcnt(0)
	v_and_b32_e32 v24, 0xffff, v121
	v_fmac_f32_e32 v25, v40, v48
	v_fmac_f32_e32 v10, v49, v51
	;; [unrolled: 1-line block ×3, first 2 shown]
	v_lshrrev_b32_e32 v40, 16, v121
	v_and_b32_e32 v48, 0xffff, v120
	v_and_b32_e32 v49, 0xffff, v119
	v_and_b32_e32 v50, 0xffff, v122
	v_lshrrev_b32_e32 v51, 16, v122
	v_and_b32_e32 v59, 0xffff, v118
	v_and_b32_e32 v84, 0xffff, v88
	v_and_b32_e32 v88, 0xffff, v123
	;; [unrolled: 4-line block ×3, first 2 shown]
	v_lshrrev_b32_e32 v95, 16, v124
	v_and_b32_e32 v96, 0xffff, v117
	v_and_b32_e32 v100, 0xffff, v115
	;;#ASMSTART
	v_cvt_f32_f16 v24, v24;
	;;#ASMEND
	;;#ASMSTART
	v_cvt_f32_f16 v40, v40;
	;;#ASMEND
	;; [unrolled: 3-line block ×16, first 2 shown]
	ds_read_b128 v[115:118], v4 offset:128
	v_fmac_f32_e32 v26, v101, v102
	v_fmac_f32_e32 v3, v39, v42
	;; [unrolled: 1-line block ×5, first 2 shown]
	v_and_b32_e32 v37, 0xffff, v34
	v_and_b32_e32 v33, 0xffff, v33
	;; [unrolled: 1-line block ×4, first 2 shown]
	v_fmac_f32_e32 v26, v44, v52
	v_fmac_f32_e32 v25, v45, v53
	;; [unrolled: 1-line block ×3, first 2 shown]
	v_and_b32_e32 v45, 0xffff, v57
	v_and_b32_e32 v54, 0xffff, v47
	v_fmac_f32_e32 v3, v62, v66
	v_fmac_f32_e32 v9, v65, v67
	;; [unrolled: 1-line block ×5, first 2 shown]
	s_waitcnt lgkmcnt(0)
	v_and_b32_e32 v35, 0xffff, v115
	v_lshrrev_b32_e32 v36, 16, v115
	;;#ASMSTART
	v_cvt_f32_f16 v35, v35;
	;;#ASMEND
	v_and_b32_e32 v38, 0xffff, v116
	v_lshrrev_b32_e32 v39, 16, v116
	;;#ASMSTART
	v_cvt_f32_f16 v34, v36;
	;;#ASMEND
	;;#ASMSTART
	v_cvt_f32_f16 v36, v37;
	;;#ASMEND
	;; [unrolled: 3-line block ×3, first 2 shown]
	v_and_b32_e32 v33, 0xffff, v117
	;;#ASMSTART
	v_cvt_f32_f16 v38, v38;
	;;#ASMEND
	;;#ASMSTART
	v_cvt_f32_f16 v39, v39;
	;;#ASMEND
	v_lshrrev_b32_e32 v44, 16, v117
	;;#ASMSTART
	v_cvt_f32_f16 v41, v31;
	;;#ASMEND
	;;#ASMSTART
	v_cvt_f32_f16 v42, v30;
	;;#ASMEND
	;; [unrolled: 3-line block ×3, first 2 shown]
	v_and_b32_e32 v30, 0xffff, v32
	v_and_b32_e32 v31, 0xffff, v118
	v_lshrrev_b32_e32 v32, 16, v118
	v_and_b32_e32 v33, 0xffff, v46
	;;#ASMSTART
	v_cvt_f32_f16 v44, v44;
	;;#ASMEND
	;;#ASMSTART
	v_cvt_f32_f16 v45, v45;
	;;#ASMEND
	;; [unrolled: 3-line block ×7, first 2 shown]
	ds_read_b128 v[30:33], v4 offset:144
	v_fmac_f32_e32 v3, v111, v112
	v_fmac_f32_e32 v9, v107, v108
	;; [unrolled: 1-line block ×12, first 2 shown]
	v_and_b32_e32 v34, 0xffff, v83
	v_and_b32_e32 v35, 0xffff, v81
	v_fmac_f32_e32 v10, v76, v78
	v_fmac_f32_e32 v25, v51, v84
	;; [unrolled: 1-line block ×5, first 2 shown]
	s_waitcnt lgkmcnt(0)
	v_and_b32_e32 v24, 0xffff, v30
	v_lshrrev_b32_e32 v30, 16, v30
	;;#ASMSTART
	v_cvt_f32_f16 v24, v24;
	;;#ASMEND
	;;#ASMSTART
	v_cvt_f32_f16 v30, v30;
	;;#ASMEND
	;; [unrolled: 3-line block ×4, first 2 shown]
	v_fmac_f32_e32 v3, v24, v34
	v_fmac_f32_e32 v9, v30, v35
	v_and_b32_e32 v24, 0xffff, v31
	v_lshrrev_b32_e32 v31, 16, v31
	v_fmac_f32_e32 v28, v77, v86
	v_fmac_f32_e32 v10, v88, v91
	;; [unrolled: 1-line block ×3, first 2 shown]
	v_and_b32_e32 v34, 0xffff, v80
	;;#ASMSTART
	v_cvt_f32_f16 v24, v24;
	;;#ASMEND
	;;#ASMSTART
	v_cvt_f32_f16 v30, v31;
	;;#ASMEND
	;; [unrolled: 3-line block ×3, first 2 shown]
	v_fmac_f32_e32 v26, v24, v31
	v_add_f32_e32 v3, v3, v9
	v_fmac_f32_e32 v29, v97, v99
	v_fmac_f32_e32 v27, v87, v105
	;; [unrolled: 1-line block ×4, first 2 shown]
	v_and_b32_e32 v36, 0xffff, v79
	;;#ASMSTART
	v_cvt_f32_f16 v34, v36;
	;;#ASMEND
	v_fmac_f32_e32 v25, v30, v34
	v_add_f32_e32 v3, v3, v26
	v_and_b32_e32 v24, 0xffff, v32
	v_fmac_f32_e32 v29, v103, v106
	v_fmac_f32_e32 v27, v93, v96
	;; [unrolled: 1-line block ×3, first 2 shown]
	v_lshrrev_b32_e32 v30, 16, v32
	v_and_b32_e32 v31, 0xffff, v74
	;;#ASMSTART
	v_cvt_f32_f16 v9, v24;
	;;#ASMEND
	;;#ASMSTART
	v_cvt_f32_f16 v24, v30;
	;;#ASMEND
	;; [unrolled: 3-line block ×3, first 2 shown]
	v_fmac_f32_e32 v10, v9, v26
	v_add_f32_e32 v3, v25, v3
	v_add_nc_u32_e32 v70, s39, v18
	v_fmac_f32_e32 v29, v95, v100
	v_fmac_f32_e32 v27, v47, v53
	v_and_b32_e32 v32, 0xffff, v73
	;;#ASMSTART
	v_cvt_f32_f16 v30, v32;
	;;#ASMEND
	v_fmac_f32_e32 v28, v24, v30
	v_add_f32_e32 v3, v3, v10
	v_and_b32_e32 v9, 0xffff, v33
	v_and_b32_e32 v12, 0xffff, v12
	v_cvt_f32_i32_e32 v70, v70
	v_fmac_f32_e32 v29, v52, v54
	v_lshrrev_b32_e32 v25, 16, v33
	;;#ASMSTART
	v_cvt_f32_f16 v9, v9;
	;;#ASMEND
	;;#ASMSTART
	v_cvt_f32_f16 v10, v25;
	;;#ASMEND
	;; [unrolled: 3-line block ×3, first 2 shown]
	v_fmac_f32_e32 v27, v9, v12
	v_add_f32_e32 v3, v28, v3
	v_and_b32_e32 v11, 0xffff, v11
	v_mul_f32_e32 v9, s36, v70
	;;#ASMSTART
	v_cvt_f32_f16 v11, v11;
	;;#ASMEND
	v_fmac_f32_e32 v29, v10, v11
	v_add_f32_e32 v3, v3, v27
	v_cmp_gt_i32_e64 s1, s29, v18
	v_cndmask_b32_e32 v9, 0, v9, vcc_lo
	v_add_nc_u32_e32 v23, 4, v23
	v_add_co_u32 v7, s2, v7, 16
	v_add_f32_e32 v3, v29, v3
	v_add_nc_u32_e32 v18, 0x80, v18
	v_add_co_ci_u32_e64 v8, null, 0, v8, s2
	v_fmac_f32_e32 v9, s3, v3
	v_max_f32_e32 v3, v16, v16
	v_cndmask_b32_e64 v10, 0, v9, s1
	v_max_f32_e32 v3, v3, v9
	ds_write_b32 v19, v10
	v_cndmask_b32_e64 v16, v16, v3, s1
	v_cmp_le_i32_e64 s1, s11, v23
	v_add_nc_u32_e32 v19, 0x200, v19
	s_or_b32 s40, s1, s40
	s_andn2_b32 exec_lo, exec_lo, s40
	s_cbranch_execz .LBB318_648
.LBB318_11:                             ; =>This Inner Loop Header: Depth=1
	global_load_dword v3, v[7:8], off
	v_mov_b32_e32 v25, 0
	s_waitcnt vmcnt(0)
	v_mad_i64_i32 v[9:10], null, v3, s38, v[5:6]
	global_load_dwordx2 v[11:12], v[9:10], off
	global_load_dword v24, v4, s[12:13]
	s_waitcnt vmcnt(1)
	v_cmp_ne_u16_sdwa s1, v11, v4 src0_sel:BYTE_0 src1_sel:DWORD
	s_and_saveexec_b32 s2, s1
	s_cbranch_execz .LBB318_19
; %bb.12:                               ;   in Loop: Header=BB318_11 Depth=1
	v_cmp_ne_u16_sdwa s1, v11, v17 src0_sel:BYTE_0 src1_sel:DWORD
	v_mov_b32_e32 v25, 0x8000
	s_and_saveexec_b32 s41, s1
	s_cbranch_execz .LBB318_18
; %bb.13:                               ;   in Loop: Header=BB318_11 Depth=1
	v_and_b32_e32 v26, 0x7f, v11
	v_mov_b32_e32 v25, 0x7c01
	s_mov_b32 s42, exec_lo
	v_cmpx_ne_u32_e32 0x7f, v26
	s_cbranch_execz .LBB318_17
; %bb.14:                               ;   in Loop: Header=BB318_11 Depth=1
	v_and_b32_e32 v3, 7, v11
	v_lshrrev_b32_e32 v25, 3, v26
	s_mov_b32 s43, exec_lo
	v_cmpx_gt_u32_e32 8, v26
; %bb.15:                               ;   in Loop: Header=BB318_11 Depth=1
	v_ffbh_u32_e32 v3, v3
	v_min_u32_e32 v3, 32, v3
	v_subrev_nc_u32_e32 v25, 28, v3
	v_lshlrev_b64 v[26:27], v25, v[11:12]
	v_sub_nc_u32_e32 v25, 29, v3
	v_and_b32_e32 v3, 7, v26
; %bb.16:                               ;   in Loop: Header=BB318_11 Depth=1
	s_or_b32 exec_lo, exec_lo, s43
	v_lshlrev_b32_e32 v26, 8, v11
	v_lshl_add_u32 v25, v25, 10, 0x2000
	v_lshlrev_b32_e32 v3, 7, v3
	v_and_b32_e32 v26, 0x8000, v26
	v_and_b32_e32 v25, 0xfc00, v25
	v_or3_b32 v25, v26, v25, v3
.LBB318_17:                             ;   in Loop: Header=BB318_11 Depth=1
	s_or_b32 exec_lo, exec_lo, s42
.LBB318_18:                             ;   in Loop: Header=BB318_11 Depth=1
	s_or_b32 exec_lo, exec_lo, s41
.LBB318_19:                             ;   in Loop: Header=BB318_11 Depth=1
	s_or_b32 exec_lo, exec_lo, s2
	v_lshrrev_b16 v3, 8, v11
	v_mov_b32_e32 v27, 0
	v_mov_b32_e32 v26, 0
	s_mov_b32 s2, exec_lo
	v_cmpx_ne_u16_e32 0, v3
	s_cbranch_execz .LBB318_27
; %bb.20:                               ;   in Loop: Header=BB318_11 Depth=1
	v_bfrev_b32_e32 v26, 1
	s_mov_b32 s41, exec_lo
	v_cmpx_ne_u16_e32 0x80, v3
	s_cbranch_execz .LBB318_26
; %bb.21:                               ;   in Loop: Header=BB318_11 Depth=1
	v_and_b32_sdwa v29, v3, v20 dst_sel:DWORD dst_unused:UNUSED_PAD src0_sel:WORD_0 src1_sel:DWORD
	v_mov_b32_e32 v26, 0x7c010000
	s_mov_b32 s42, exec_lo
	v_cmpx_ne_u32_e32 0x7f, v29
	s_cbranch_execz .LBB318_25
; %bb.22:                               ;   in Loop: Header=BB318_11 Depth=1
	v_and_b32_sdwa v26, v3, v21 dst_sel:DWORD dst_unused:UNUSED_PAD src0_sel:WORD_0 src1_sel:DWORD
	v_lshrrev_b32_e32 v28, 3, v29
	s_mov_b32 s43, exec_lo
	v_cmpx_gt_u32_e32 8, v29
; %bb.23:                               ;   in Loop: Header=BB318_11 Depth=1
	v_ffbh_u32_e32 v26, v26
	v_min_u32_e32 v26, 32, v26
	v_subrev_nc_u32_e32 v28, 28, v26
	v_lshlrev_b64 v[29:30], v28, v[3:4]
	v_sub_nc_u32_e32 v28, 29, v26
	v_and_b32_e32 v26, 7, v29
; %bb.24:                               ;   in Loop: Header=BB318_11 Depth=1
	s_or_b32 exec_lo, exec_lo, s43
	v_lshlrev_b32_sdwa v3, v22, v3 dst_sel:DWORD dst_unused:UNUSED_PAD src0_sel:DWORD src1_sel:WORD_0
	v_lshl_add_u32 v28, v28, 10, 0x2000
	v_lshlrev_b32_e32 v26, 23, v26
	v_and_or_b32 v3, 0x8000, v3, v28
	v_lshl_or_b32 v26, v3, 16, v26
.LBB318_25:                             ;   in Loop: Header=BB318_11 Depth=1
	s_or_b32 exec_lo, exec_lo, s42
.LBB318_26:                             ;   in Loop: Header=BB318_11 Depth=1
	s_or_b32 exec_lo, exec_lo, s41
.LBB318_27:                             ;   in Loop: Header=BB318_11 Depth=1
	s_or_b32 exec_lo, exec_lo, s2
	v_lshrrev_b32_e32 v3, 16, v11
	v_cmp_ne_u16_sdwa s1, v3, v4 src0_sel:BYTE_0 src1_sel:DWORD
	s_and_saveexec_b32 s2, s1
	s_cbranch_execz .LBB318_35
; %bb.28:                               ;   in Loop: Header=BB318_11 Depth=1
	v_cmp_ne_u16_sdwa s1, v3, v17 src0_sel:BYTE_0 src1_sel:DWORD
	v_mov_b32_e32 v27, 0x8000
	s_and_saveexec_b32 s41, s1
	s_cbranch_execz .LBB318_34
; %bb.29:                               ;   in Loop: Header=BB318_11 Depth=1
	v_bfe_u32 v29, v11, 16, 7
	v_mov_b32_e32 v27, 0x7c01
	s_mov_b32 s42, exec_lo
	v_cmpx_ne_u32_e32 0x7f, v29
	s_cbranch_execz .LBB318_33
; %bb.30:                               ;   in Loop: Header=BB318_11 Depth=1
	v_and_b32_e32 v27, 7, v3
	v_lshrrev_b32_e32 v28, 3, v29
	s_mov_b32 s43, exec_lo
	v_cmpx_gt_u32_e32 8, v29
; %bb.31:                               ;   in Loop: Header=BB318_11 Depth=1
	v_ffbh_u32_e32 v27, v27
	v_min_u32_e32 v29, 32, v27
	v_subrev_nc_u32_e32 v27, 28, v29
	v_lshlrev_b64 v[27:28], v27, v[3:4]
	v_sub_nc_u32_e32 v28, 29, v29
	v_and_b32_e32 v27, 7, v27
; %bb.32:                               ;   in Loop: Header=BB318_11 Depth=1
	s_or_b32 exec_lo, exec_lo, s43
	v_lshlrev_b32_e32 v3, 8, v3
	v_lshl_add_u32 v28, v28, 10, 0x2000
	v_lshlrev_b32_e32 v27, 7, v27
	v_and_b32_e32 v3, 0x8000, v3
	v_and_b32_e32 v28, 0xfc00, v28
	v_or3_b32 v27, v3, v28, v27
.LBB318_33:                             ;   in Loop: Header=BB318_11 Depth=1
	s_or_b32 exec_lo, exec_lo, s42
.LBB318_34:                             ;   in Loop: Header=BB318_11 Depth=1
	s_or_b32 exec_lo, exec_lo, s41
.LBB318_35:                             ;   in Loop: Header=BB318_11 Depth=1
	s_or_b32 exec_lo, exec_lo, s2
	v_mov_b32_e32 v28, 0
	v_mov_b32_e32 v29, 0
	s_mov_b32 s2, exec_lo
	v_cmpx_lt_u32_e32 0xffffff, v11
	s_cbranch_execz .LBB318_43
; %bb.36:                               ;   in Loop: Header=BB318_11 Depth=1
	v_lshrrev_b32_e32 v3, 24, v11
	v_bfrev_b32_e32 v29, 1
	s_mov_b32 s41, exec_lo
	v_cmpx_ne_u32_e32 0x80, v3
	s_cbranch_execz .LBB318_42
; %bb.37:                               ;   in Loop: Header=BB318_11 Depth=1
	v_and_b32_e32 v31, 0x7f, v3
	v_mov_b32_e32 v29, 0x7c010000
	s_mov_b32 s42, exec_lo
	v_cmpx_ne_u32_e32 0x7f, v31
	s_cbranch_execz .LBB318_41
; %bb.38:                               ;   in Loop: Header=BB318_11 Depth=1
	v_and_b32_e32 v29, 7, v3
	v_lshrrev_b32_e32 v30, 3, v31
	s_mov_b32 s43, exec_lo
	v_cmpx_gt_u32_e32 8, v31
; %bb.39:                               ;   in Loop: Header=BB318_11 Depth=1
	v_ffbh_u32_e32 v29, v29
	v_min_u32_e32 v31, 32, v29
	v_subrev_nc_u32_e32 v29, 28, v31
	v_lshlrev_b64 v[29:30], v29, v[3:4]
	v_sub_nc_u32_e32 v30, 29, v31
	v_and_b32_e32 v29, 7, v29
; %bb.40:                               ;   in Loop: Header=BB318_11 Depth=1
	s_or_b32 exec_lo, exec_lo, s43
	v_lshlrev_b32_e32 v3, 8, v3
	v_lshl_add_u32 v30, v30, 10, 0x2000
	v_lshlrev_b32_e32 v29, 23, v29
	v_and_or_b32 v3, 0x8000, v3, v30
	v_lshl_or_b32 v29, v3, 16, v29
.LBB318_41:                             ;   in Loop: Header=BB318_11 Depth=1
	s_or_b32 exec_lo, exec_lo, s42
.LBB318_42:                             ;   in Loop: Header=BB318_11 Depth=1
	s_or_b32 exec_lo, exec_lo, s41
.LBB318_43:                             ;   in Loop: Header=BB318_11 Depth=1
	s_or_b32 exec_lo, exec_lo, s2
	v_mov_b32_e32 v3, v12
	v_cmp_ne_u16_sdwa s1, v12, v4 src0_sel:BYTE_0 src1_sel:DWORD
	s_and_saveexec_b32 s2, s1
	s_cbranch_execz .LBB318_51
; %bb.44:                               ;   in Loop: Header=BB318_11 Depth=1
	v_cmp_ne_u16_sdwa s1, v12, v17 src0_sel:BYTE_0 src1_sel:DWORD
	v_mov_b32_e32 v28, 0x8000
	s_and_saveexec_b32 s41, s1
	s_cbranch_execz .LBB318_50
; %bb.45:                               ;   in Loop: Header=BB318_11 Depth=1
	v_and_b32_e32 v31, 0x7f, v12
	v_mov_b32_e32 v28, 0x7c01
	s_mov_b32 s42, exec_lo
	v_cmpx_ne_u32_e32 0x7f, v31
	s_cbranch_execz .LBB318_49
; %bb.46:                               ;   in Loop: Header=BB318_11 Depth=1
	v_and_b32_e32 v28, 7, v12
	v_lshrrev_b32_e32 v30, 3, v31
	s_mov_b32 s43, exec_lo
	v_cmpx_gt_u32_e32 8, v31
; %bb.47:                               ;   in Loop: Header=BB318_11 Depth=1
	v_ffbh_u32_e32 v28, v28
	v_min_u32_e32 v28, 32, v28
	v_subrev_nc_u32_e32 v30, 28, v28
	v_lshlrev_b64 v[31:32], v30, v[3:4]
	v_sub_nc_u32_e32 v30, 29, v28
	v_and_b32_e32 v28, 7, v31
; %bb.48:                               ;   in Loop: Header=BB318_11 Depth=1
	s_or_b32 exec_lo, exec_lo, s43
	v_lshlrev_b32_e32 v31, 8, v12
	v_lshl_add_u32 v30, v30, 10, 0x2000
	v_lshlrev_b32_e32 v28, 7, v28
	v_and_b32_e32 v31, 0x8000, v31
	v_and_b32_e32 v30, 0xfc00, v30
	v_or3_b32 v28, v31, v30, v28
.LBB318_49:                             ;   in Loop: Header=BB318_11 Depth=1
	s_or_b32 exec_lo, exec_lo, s42
.LBB318_50:                             ;   in Loop: Header=BB318_11 Depth=1
	s_or_b32 exec_lo, exec_lo, s41
.LBB318_51:                             ;   in Loop: Header=BB318_11 Depth=1
	s_or_b32 exec_lo, exec_lo, s2
	v_lshrrev_b16 v3, 8, v3
	v_mov_b32_e32 v30, 0
	v_mov_b32_e32 v31, 0
	s_mov_b32 s2, exec_lo
	v_cmpx_ne_u16_e32 0, v3
	s_cbranch_execz .LBB318_59
; %bb.52:                               ;   in Loop: Header=BB318_11 Depth=1
	v_bfrev_b32_e32 v31, 1
	s_mov_b32 s41, exec_lo
	v_cmpx_ne_u16_e32 0x80, v3
	s_cbranch_execz .LBB318_58
; %bb.53:                               ;   in Loop: Header=BB318_11 Depth=1
	v_and_b32_sdwa v33, v3, v20 dst_sel:DWORD dst_unused:UNUSED_PAD src0_sel:WORD_0 src1_sel:DWORD
	v_mov_b32_e32 v31, 0x7c010000
	s_mov_b32 s42, exec_lo
	v_cmpx_ne_u32_e32 0x7f, v33
	s_cbranch_execz .LBB318_57
; %bb.54:                               ;   in Loop: Header=BB318_11 Depth=1
	v_and_b32_sdwa v31, v3, v21 dst_sel:DWORD dst_unused:UNUSED_PAD src0_sel:WORD_0 src1_sel:DWORD
	v_lshrrev_b32_e32 v32, 3, v33
	s_mov_b32 s43, exec_lo
	v_cmpx_gt_u32_e32 8, v33
; %bb.55:                               ;   in Loop: Header=BB318_11 Depth=1
	v_ffbh_u32_e32 v31, v31
	v_min_u32_e32 v33, 32, v31
	v_subrev_nc_u32_e32 v31, 28, v33
	v_lshlrev_b64 v[31:32], v31, v[3:4]
	v_sub_nc_u32_e32 v32, 29, v33
	v_and_b32_e32 v31, 7, v31
; %bb.56:                               ;   in Loop: Header=BB318_11 Depth=1
	s_or_b32 exec_lo, exec_lo, s43
	v_lshlrev_b32_sdwa v3, v22, v3 dst_sel:DWORD dst_unused:UNUSED_PAD src0_sel:DWORD src1_sel:WORD_0
	v_lshl_add_u32 v32, v32, 10, 0x2000
	v_lshlrev_b32_e32 v31, 23, v31
	v_and_or_b32 v3, 0x8000, v3, v32
	v_lshl_or_b32 v31, v3, 16, v31
.LBB318_57:                             ;   in Loop: Header=BB318_11 Depth=1
	s_or_b32 exec_lo, exec_lo, s42
.LBB318_58:                             ;   in Loop: Header=BB318_11 Depth=1
	s_or_b32 exec_lo, exec_lo, s41
.LBB318_59:                             ;   in Loop: Header=BB318_11 Depth=1
	s_or_b32 exec_lo, exec_lo, s2
	v_lshrrev_b32_e32 v3, 16, v12
	v_cmp_ne_u16_sdwa s1, v3, v4 src0_sel:BYTE_0 src1_sel:DWORD
	s_and_saveexec_b32 s2, s1
	s_cbranch_execz .LBB318_67
; %bb.60:                               ;   in Loop: Header=BB318_11 Depth=1
	v_cmp_ne_u16_sdwa s1, v3, v17 src0_sel:BYTE_0 src1_sel:DWORD
	v_mov_b32_e32 v30, 0x8000
	s_and_saveexec_b32 s41, s1
	s_cbranch_execz .LBB318_66
; %bb.61:                               ;   in Loop: Header=BB318_11 Depth=1
	v_bfe_u32 v33, v12, 16, 7
	v_mov_b32_e32 v30, 0x7c01
	s_mov_b32 s42, exec_lo
	v_cmpx_ne_u32_e32 0x7f, v33
	s_cbranch_execz .LBB318_65
; %bb.62:                               ;   in Loop: Header=BB318_11 Depth=1
	v_and_b32_e32 v30, 7, v3
	v_lshrrev_b32_e32 v32, 3, v33
	s_mov_b32 s43, exec_lo
	v_cmpx_gt_u32_e32 8, v33
; %bb.63:                               ;   in Loop: Header=BB318_11 Depth=1
	v_ffbh_u32_e32 v30, v30
	v_min_u32_e32 v30, 32, v30
	v_subrev_nc_u32_e32 v32, 28, v30
	v_lshlrev_b64 v[33:34], v32, v[3:4]
	v_sub_nc_u32_e32 v32, 29, v30
	v_and_b32_e32 v30, 7, v33
; %bb.64:                               ;   in Loop: Header=BB318_11 Depth=1
	s_or_b32 exec_lo, exec_lo, s43
	v_lshlrev_b32_e32 v3, 8, v3
	v_lshl_add_u32 v32, v32, 10, 0x2000
	v_lshlrev_b32_e32 v30, 7, v30
	v_and_b32_e32 v3, 0x8000, v3
	v_and_b32_e32 v32, 0xfc00, v32
	v_or3_b32 v30, v3, v32, v30
.LBB318_65:                             ;   in Loop: Header=BB318_11 Depth=1
	s_or_b32 exec_lo, exec_lo, s42
.LBB318_66:                             ;   in Loop: Header=BB318_11 Depth=1
	s_or_b32 exec_lo, exec_lo, s41
.LBB318_67:                             ;   in Loop: Header=BB318_11 Depth=1
	s_or_b32 exec_lo, exec_lo, s2
	v_mov_b32_e32 v32, 0
	v_mov_b32_e32 v33, 0
	s_mov_b32 s2, exec_lo
	v_cmpx_lt_u64_e64 s[4:5], v[11:12]
	s_cbranch_execz .LBB318_75
; %bb.68:                               ;   in Loop: Header=BB318_11 Depth=1
	v_lshrrev_b32_e32 v3, 24, v12
	v_bfrev_b32_e32 v33, 1
	s_mov_b32 s41, exec_lo
	v_cmpx_ne_u32_e32 0x80, v3
	s_cbranch_execz .LBB318_74
; %bb.69:                               ;   in Loop: Header=BB318_11 Depth=1
	v_and_b32_e32 v34, 0x7f, v3
	v_mov_b32_e32 v33, 0x7c010000
	s_mov_b32 s42, exec_lo
	v_cmpx_ne_u32_e32 0x7f, v34
	s_cbranch_execz .LBB318_73
; %bb.70:                               ;   in Loop: Header=BB318_11 Depth=1
	v_and_b32_e32 v11, 7, v3
	v_lshrrev_b32_e32 v12, 3, v34
	s_mov_b32 s43, exec_lo
	v_cmpx_gt_u32_e32 8, v34
; %bb.71:                               ;   in Loop: Header=BB318_11 Depth=1
	v_ffbh_u32_e32 v11, v11
	v_min_u32_e32 v33, 32, v11
	v_subrev_nc_u32_e32 v11, 28, v33
	v_lshlrev_b64 v[11:12], v11, v[3:4]
	v_sub_nc_u32_e32 v12, 29, v33
	v_and_b32_e32 v11, 7, v11
; %bb.72:                               ;   in Loop: Header=BB318_11 Depth=1
	s_or_b32 exec_lo, exec_lo, s43
	v_lshlrev_b32_e32 v3, 8, v3
	v_lshl_add_u32 v12, v12, 10, 0x2000
	v_lshlrev_b32_e32 v11, 23, v11
	v_and_or_b32 v3, 0x8000, v3, v12
	v_lshl_or_b32 v33, v3, 16, v11
.LBB318_73:                             ;   in Loop: Header=BB318_11 Depth=1
	s_or_b32 exec_lo, exec_lo, s42
.LBB318_74:                             ;   in Loop: Header=BB318_11 Depth=1
	s_or_b32 exec_lo, exec_lo, s41
.LBB318_75:                             ;   in Loop: Header=BB318_11 Depth=1
	s_or_b32 exec_lo, exec_lo, s2
	global_load_dwordx2 v[11:12], v[9:10], off offset:8
	s_waitcnt vmcnt(0)
	v_cmp_ne_u16_sdwa s1, v11, v4 src0_sel:BYTE_0 src1_sel:DWORD
	s_and_saveexec_b32 s2, s1
	s_cbranch_execz .LBB318_83
; %bb.76:                               ;   in Loop: Header=BB318_11 Depth=1
	v_cmp_ne_u16_sdwa s1, v11, v17 src0_sel:BYTE_0 src1_sel:DWORD
	v_mov_b32_e32 v32, 0x8000
	s_and_saveexec_b32 s41, s1
	s_cbranch_execz .LBB318_82
; %bb.77:                               ;   in Loop: Header=BB318_11 Depth=1
	v_and_b32_e32 v34, 0x7f, v11
	v_mov_b32_e32 v32, 0x7c01
	s_mov_b32 s42, exec_lo
	v_cmpx_ne_u32_e32 0x7f, v34
	s_cbranch_execz .LBB318_81
; %bb.78:                               ;   in Loop: Header=BB318_11 Depth=1
	v_and_b32_e32 v3, 7, v11
	v_lshrrev_b32_e32 v32, 3, v34
	s_mov_b32 s43, exec_lo
	v_cmpx_gt_u32_e32 8, v34
; %bb.79:                               ;   in Loop: Header=BB318_11 Depth=1
	v_ffbh_u32_e32 v3, v3
	v_min_u32_e32 v3, 32, v3
	v_subrev_nc_u32_e32 v32, 28, v3
	v_lshlrev_b64 v[34:35], v32, v[11:12]
	v_sub_nc_u32_e32 v32, 29, v3
	v_and_b32_e32 v3, 7, v34
; %bb.80:                               ;   in Loop: Header=BB318_11 Depth=1
	s_or_b32 exec_lo, exec_lo, s43
	v_lshlrev_b32_e32 v34, 8, v11
	v_lshl_add_u32 v32, v32, 10, 0x2000
	v_lshlrev_b32_e32 v3, 7, v3
	v_and_b32_e32 v34, 0x8000, v34
	v_and_b32_e32 v32, 0xfc00, v32
	v_or3_b32 v32, v34, v32, v3
.LBB318_81:                             ;   in Loop: Header=BB318_11 Depth=1
	s_or_b32 exec_lo, exec_lo, s42
.LBB318_82:                             ;   in Loop: Header=BB318_11 Depth=1
	s_or_b32 exec_lo, exec_lo, s41
.LBB318_83:                             ;   in Loop: Header=BB318_11 Depth=1
	s_or_b32 exec_lo, exec_lo, s2
	v_lshrrev_b16 v3, 8, v11
	v_mov_b32_e32 v35, 0
	v_mov_b32_e32 v34, 0
	s_mov_b32 s2, exec_lo
	v_cmpx_ne_u16_e32 0, v3
	s_cbranch_execz .LBB318_91
; %bb.84:                               ;   in Loop: Header=BB318_11 Depth=1
	v_bfrev_b32_e32 v34, 1
	s_mov_b32 s41, exec_lo
	v_cmpx_ne_u16_e32 0x80, v3
	s_cbranch_execz .LBB318_90
; %bb.85:                               ;   in Loop: Header=BB318_11 Depth=1
	v_and_b32_sdwa v37, v3, v20 dst_sel:DWORD dst_unused:UNUSED_PAD src0_sel:WORD_0 src1_sel:DWORD
	v_mov_b32_e32 v34, 0x7c010000
	s_mov_b32 s42, exec_lo
	v_cmpx_ne_u32_e32 0x7f, v37
	s_cbranch_execz .LBB318_89
; %bb.86:                               ;   in Loop: Header=BB318_11 Depth=1
	v_and_b32_sdwa v34, v3, v21 dst_sel:DWORD dst_unused:UNUSED_PAD src0_sel:WORD_0 src1_sel:DWORD
	v_lshrrev_b32_e32 v36, 3, v37
	s_mov_b32 s43, exec_lo
	v_cmpx_gt_u32_e32 8, v37
; %bb.87:                               ;   in Loop: Header=BB318_11 Depth=1
	v_ffbh_u32_e32 v34, v34
	v_min_u32_e32 v34, 32, v34
	v_subrev_nc_u32_e32 v36, 28, v34
	v_lshlrev_b64 v[37:38], v36, v[3:4]
	v_sub_nc_u32_e32 v36, 29, v34
	v_and_b32_e32 v34, 7, v37
; %bb.88:                               ;   in Loop: Header=BB318_11 Depth=1
	s_or_b32 exec_lo, exec_lo, s43
	v_lshlrev_b32_sdwa v3, v22, v3 dst_sel:DWORD dst_unused:UNUSED_PAD src0_sel:DWORD src1_sel:WORD_0
	v_lshl_add_u32 v36, v36, 10, 0x2000
	v_lshlrev_b32_e32 v34, 23, v34
	v_and_or_b32 v3, 0x8000, v3, v36
	v_lshl_or_b32 v34, v3, 16, v34
.LBB318_89:                             ;   in Loop: Header=BB318_11 Depth=1
	s_or_b32 exec_lo, exec_lo, s42
.LBB318_90:                             ;   in Loop: Header=BB318_11 Depth=1
	s_or_b32 exec_lo, exec_lo, s41
.LBB318_91:                             ;   in Loop: Header=BB318_11 Depth=1
	s_or_b32 exec_lo, exec_lo, s2
	v_lshrrev_b32_e32 v3, 16, v11
	v_cmp_ne_u16_sdwa s1, v3, v4 src0_sel:BYTE_0 src1_sel:DWORD
	s_and_saveexec_b32 s2, s1
	s_cbranch_execz .LBB318_99
; %bb.92:                               ;   in Loop: Header=BB318_11 Depth=1
	v_cmp_ne_u16_sdwa s1, v3, v17 src0_sel:BYTE_0 src1_sel:DWORD
	v_mov_b32_e32 v35, 0x8000
	s_and_saveexec_b32 s41, s1
	s_cbranch_execz .LBB318_98
; %bb.93:                               ;   in Loop: Header=BB318_11 Depth=1
	v_bfe_u32 v37, v11, 16, 7
	v_mov_b32_e32 v35, 0x7c01
	s_mov_b32 s42, exec_lo
	v_cmpx_ne_u32_e32 0x7f, v37
	s_cbranch_execz .LBB318_97
; %bb.94:                               ;   in Loop: Header=BB318_11 Depth=1
	v_and_b32_e32 v35, 7, v3
	v_lshrrev_b32_e32 v36, 3, v37
	s_mov_b32 s43, exec_lo
	v_cmpx_gt_u32_e32 8, v37
; %bb.95:                               ;   in Loop: Header=BB318_11 Depth=1
	v_ffbh_u32_e32 v35, v35
	v_min_u32_e32 v37, 32, v35
	v_subrev_nc_u32_e32 v35, 28, v37
	v_lshlrev_b64 v[35:36], v35, v[3:4]
	v_sub_nc_u32_e32 v36, 29, v37
	v_and_b32_e32 v35, 7, v35
; %bb.96:                               ;   in Loop: Header=BB318_11 Depth=1
	s_or_b32 exec_lo, exec_lo, s43
	v_lshlrev_b32_e32 v3, 8, v3
	v_lshl_add_u32 v36, v36, 10, 0x2000
	v_lshlrev_b32_e32 v35, 7, v35
	v_and_b32_e32 v3, 0x8000, v3
	v_and_b32_e32 v36, 0xfc00, v36
	v_or3_b32 v35, v3, v36, v35
.LBB318_97:                             ;   in Loop: Header=BB318_11 Depth=1
	s_or_b32 exec_lo, exec_lo, s42
.LBB318_98:                             ;   in Loop: Header=BB318_11 Depth=1
	s_or_b32 exec_lo, exec_lo, s41
.LBB318_99:                             ;   in Loop: Header=BB318_11 Depth=1
	s_or_b32 exec_lo, exec_lo, s2
	v_mov_b32_e32 v36, 0
	v_mov_b32_e32 v37, 0
	s_mov_b32 s2, exec_lo
	v_cmpx_lt_u32_e32 0xffffff, v11
	s_cbranch_execz .LBB318_107
; %bb.100:                              ;   in Loop: Header=BB318_11 Depth=1
	v_lshrrev_b32_e32 v3, 24, v11
	v_bfrev_b32_e32 v37, 1
	s_mov_b32 s41, exec_lo
	v_cmpx_ne_u32_e32 0x80, v3
	s_cbranch_execz .LBB318_106
; %bb.101:                              ;   in Loop: Header=BB318_11 Depth=1
	v_and_b32_e32 v39, 0x7f, v3
	v_mov_b32_e32 v37, 0x7c010000
	s_mov_b32 s42, exec_lo
	v_cmpx_ne_u32_e32 0x7f, v39
	s_cbranch_execz .LBB318_105
; %bb.102:                              ;   in Loop: Header=BB318_11 Depth=1
	v_and_b32_e32 v37, 7, v3
	v_lshrrev_b32_e32 v38, 3, v39
	s_mov_b32 s43, exec_lo
	v_cmpx_gt_u32_e32 8, v39
; %bb.103:                              ;   in Loop: Header=BB318_11 Depth=1
	v_ffbh_u32_e32 v37, v37
	v_min_u32_e32 v39, 32, v37
	v_subrev_nc_u32_e32 v37, 28, v39
	v_lshlrev_b64 v[37:38], v37, v[3:4]
	v_sub_nc_u32_e32 v38, 29, v39
	v_and_b32_e32 v37, 7, v37
; %bb.104:                              ;   in Loop: Header=BB318_11 Depth=1
	s_or_b32 exec_lo, exec_lo, s43
	v_lshlrev_b32_e32 v3, 8, v3
	v_lshl_add_u32 v38, v38, 10, 0x2000
	v_lshlrev_b32_e32 v37, 23, v37
	v_and_or_b32 v3, 0x8000, v3, v38
	v_lshl_or_b32 v37, v3, 16, v37
.LBB318_105:                            ;   in Loop: Header=BB318_11 Depth=1
	s_or_b32 exec_lo, exec_lo, s42
.LBB318_106:                            ;   in Loop: Header=BB318_11 Depth=1
	s_or_b32 exec_lo, exec_lo, s41
.LBB318_107:                            ;   in Loop: Header=BB318_11 Depth=1
	s_or_b32 exec_lo, exec_lo, s2
	v_mov_b32_e32 v3, v12
	v_cmp_ne_u16_sdwa s1, v12, v4 src0_sel:BYTE_0 src1_sel:DWORD
	s_and_saveexec_b32 s2, s1
	s_cbranch_execz .LBB318_115
; %bb.108:                              ;   in Loop: Header=BB318_11 Depth=1
	v_cmp_ne_u16_sdwa s1, v12, v17 src0_sel:BYTE_0 src1_sel:DWORD
	v_mov_b32_e32 v36, 0x8000
	s_and_saveexec_b32 s41, s1
	s_cbranch_execz .LBB318_114
; %bb.109:                              ;   in Loop: Header=BB318_11 Depth=1
	v_and_b32_e32 v39, 0x7f, v12
	v_mov_b32_e32 v36, 0x7c01
	s_mov_b32 s42, exec_lo
	v_cmpx_ne_u32_e32 0x7f, v39
	s_cbranch_execz .LBB318_113
; %bb.110:                              ;   in Loop: Header=BB318_11 Depth=1
	v_and_b32_e32 v36, 7, v12
	v_lshrrev_b32_e32 v38, 3, v39
	s_mov_b32 s43, exec_lo
	v_cmpx_gt_u32_e32 8, v39
; %bb.111:                              ;   in Loop: Header=BB318_11 Depth=1
	v_ffbh_u32_e32 v36, v36
	v_min_u32_e32 v36, 32, v36
	v_subrev_nc_u32_e32 v38, 28, v36
	v_lshlrev_b64 v[39:40], v38, v[3:4]
	v_sub_nc_u32_e32 v38, 29, v36
	v_and_b32_e32 v36, 7, v39
; %bb.112:                              ;   in Loop: Header=BB318_11 Depth=1
	s_or_b32 exec_lo, exec_lo, s43
	v_lshlrev_b32_e32 v39, 8, v12
	v_lshl_add_u32 v38, v38, 10, 0x2000
	v_lshlrev_b32_e32 v36, 7, v36
	v_and_b32_e32 v39, 0x8000, v39
	v_and_b32_e32 v38, 0xfc00, v38
	v_or3_b32 v36, v39, v38, v36
.LBB318_113:                            ;   in Loop: Header=BB318_11 Depth=1
	s_or_b32 exec_lo, exec_lo, s42
.LBB318_114:                            ;   in Loop: Header=BB318_11 Depth=1
	s_or_b32 exec_lo, exec_lo, s41
.LBB318_115:                            ;   in Loop: Header=BB318_11 Depth=1
	s_or_b32 exec_lo, exec_lo, s2
	v_lshrrev_b16 v3, 8, v3
	v_mov_b32_e32 v40, 0
	v_mov_b32_e32 v39, 0
	s_mov_b32 s2, exec_lo
	v_cmpx_ne_u16_e32 0, v3
	s_cbranch_execz .LBB318_123
; %bb.116:                              ;   in Loop: Header=BB318_11 Depth=1
	v_bfrev_b32_e32 v39, 1
	s_mov_b32 s41, exec_lo
	v_cmpx_ne_u16_e32 0x80, v3
	s_cbranch_execz .LBB318_122
; %bb.117:                              ;   in Loop: Header=BB318_11 Depth=1
	v_and_b32_sdwa v41, v3, v20 dst_sel:DWORD dst_unused:UNUSED_PAD src0_sel:WORD_0 src1_sel:DWORD
	v_mov_b32_e32 v39, 0x7c010000
	s_mov_b32 s42, exec_lo
	v_cmpx_ne_u32_e32 0x7f, v41
	s_cbranch_execz .LBB318_121
; %bb.118:                              ;   in Loop: Header=BB318_11 Depth=1
	v_and_b32_sdwa v38, v3, v21 dst_sel:DWORD dst_unused:UNUSED_PAD src0_sel:WORD_0 src1_sel:DWORD
	v_lshrrev_b32_e32 v39, 3, v41
	s_mov_b32 s43, exec_lo
	v_cmpx_gt_u32_e32 8, v41
; %bb.119:                              ;   in Loop: Header=BB318_11 Depth=1
	v_ffbh_u32_e32 v38, v38
	v_min_u32_e32 v41, 32, v38
	v_subrev_nc_u32_e32 v38, 28, v41
	v_lshlrev_b64 v[38:39], v38, v[3:4]
	v_sub_nc_u32_e32 v39, 29, v41
	v_and_b32_e32 v38, 7, v38
; %bb.120:                              ;   in Loop: Header=BB318_11 Depth=1
	s_or_b32 exec_lo, exec_lo, s43
	v_lshlrev_b32_sdwa v3, v22, v3 dst_sel:DWORD dst_unused:UNUSED_PAD src0_sel:DWORD src1_sel:WORD_0
	v_lshl_add_u32 v39, v39, 10, 0x2000
	v_lshlrev_b32_e32 v38, 23, v38
	v_and_or_b32 v3, 0x8000, v3, v39
	v_lshl_or_b32 v39, v3, 16, v38
.LBB318_121:                            ;   in Loop: Header=BB318_11 Depth=1
	s_or_b32 exec_lo, exec_lo, s42
.LBB318_122:                            ;   in Loop: Header=BB318_11 Depth=1
	s_or_b32 exec_lo, exec_lo, s41
.LBB318_123:                            ;   in Loop: Header=BB318_11 Depth=1
	s_or_b32 exec_lo, exec_lo, s2
	v_lshrrev_b32_e32 v3, 16, v12
	v_cmp_ne_u16_sdwa s1, v3, v4 src0_sel:BYTE_0 src1_sel:DWORD
	s_and_saveexec_b32 s2, s1
	s_cbranch_execz .LBB318_131
; %bb.124:                              ;   in Loop: Header=BB318_11 Depth=1
	v_cmp_ne_u16_sdwa s1, v3, v17 src0_sel:BYTE_0 src1_sel:DWORD
	v_mov_b32_e32 v40, 0x8000
	s_and_saveexec_b32 s41, s1
	s_cbranch_execz .LBB318_130
; %bb.125:                              ;   in Loop: Header=BB318_11 Depth=1
	v_bfe_u32 v41, v12, 16, 7
	v_mov_b32_e32 v40, 0x7c01
	s_mov_b32 s42, exec_lo
	v_cmpx_ne_u32_e32 0x7f, v41
	s_cbranch_execz .LBB318_129
; %bb.126:                              ;   in Loop: Header=BB318_11 Depth=1
	v_and_b32_e32 v38, 7, v3
	v_lshrrev_b32_e32 v40, 3, v41
	s_mov_b32 s43, exec_lo
	v_cmpx_gt_u32_e32 8, v41
; %bb.127:                              ;   in Loop: Header=BB318_11 Depth=1
	v_ffbh_u32_e32 v38, v38
	v_min_u32_e32 v38, 32, v38
	v_subrev_nc_u32_e32 v40, 28, v38
	v_lshlrev_b64 v[41:42], v40, v[3:4]
	v_sub_nc_u32_e32 v40, 29, v38
	v_and_b32_e32 v38, 7, v41
; %bb.128:                              ;   in Loop: Header=BB318_11 Depth=1
	s_or_b32 exec_lo, exec_lo, s43
	v_lshlrev_b32_e32 v3, 8, v3
	v_lshl_add_u32 v40, v40, 10, 0x2000
	v_lshlrev_b32_e32 v38, 7, v38
	v_and_b32_e32 v3, 0x8000, v3
	v_and_b32_e32 v40, 0xfc00, v40
	v_or3_b32 v40, v3, v40, v38
.LBB318_129:                            ;   in Loop: Header=BB318_11 Depth=1
	s_or_b32 exec_lo, exec_lo, s42
.LBB318_130:                            ;   in Loop: Header=BB318_11 Depth=1
	s_or_b32 exec_lo, exec_lo, s41
.LBB318_131:                            ;   in Loop: Header=BB318_11 Depth=1
	s_or_b32 exec_lo, exec_lo, s2
	v_mov_b32_e32 v38, 0
	v_mov_b32_e32 v43, 0
	s_mov_b32 s2, exec_lo
	v_cmpx_lt_u64_e64 s[4:5], v[11:12]
	s_cbranch_execz .LBB318_139
; %bb.132:                              ;   in Loop: Header=BB318_11 Depth=1
	v_lshrrev_b32_e32 v3, 24, v12
	v_bfrev_b32_e32 v43, 1
	s_mov_b32 s41, exec_lo
	v_cmpx_ne_u32_e32 0x80, v3
	s_cbranch_execz .LBB318_138
; %bb.133:                              ;   in Loop: Header=BB318_11 Depth=1
	v_and_b32_e32 v41, 0x7f, v3
	v_mov_b32_e32 v43, 0x7c010000
	s_mov_b32 s42, exec_lo
	v_cmpx_ne_u32_e32 0x7f, v41
	s_cbranch_execz .LBB318_137
; %bb.134:                              ;   in Loop: Header=BB318_11 Depth=1
	v_and_b32_e32 v11, 7, v3
	v_lshrrev_b32_e32 v12, 3, v41
	s_mov_b32 s43, exec_lo
	v_cmpx_gt_u32_e32 8, v41
; %bb.135:                              ;   in Loop: Header=BB318_11 Depth=1
	v_ffbh_u32_e32 v11, v11
	v_min_u32_e32 v41, 32, v11
	v_subrev_nc_u32_e32 v11, 28, v41
	v_lshlrev_b64 v[11:12], v11, v[3:4]
	v_sub_nc_u32_e32 v12, 29, v41
	v_and_b32_e32 v11, 7, v11
; %bb.136:                              ;   in Loop: Header=BB318_11 Depth=1
	s_or_b32 exec_lo, exec_lo, s43
	v_lshlrev_b32_e32 v3, 8, v3
	v_lshl_add_u32 v12, v12, 10, 0x2000
	v_lshlrev_b32_e32 v11, 23, v11
	v_and_or_b32 v3, 0x8000, v3, v12
	v_lshl_or_b32 v43, v3, 16, v11
.LBB318_137:                            ;   in Loop: Header=BB318_11 Depth=1
	s_or_b32 exec_lo, exec_lo, s42
.LBB318_138:                            ;   in Loop: Header=BB318_11 Depth=1
	s_or_b32 exec_lo, exec_lo, s41
.LBB318_139:                            ;   in Loop: Header=BB318_11 Depth=1
	s_or_b32 exec_lo, exec_lo, s2
	global_load_dwordx2 v[11:12], v[9:10], off offset:512
	s_waitcnt vmcnt(0)
	v_cmp_ne_u16_sdwa s1, v11, v4 src0_sel:BYTE_0 src1_sel:DWORD
	s_and_saveexec_b32 s2, s1
	s_cbranch_execz .LBB318_147
; %bb.140:                              ;   in Loop: Header=BB318_11 Depth=1
	v_cmp_ne_u16_sdwa s1, v11, v17 src0_sel:BYTE_0 src1_sel:DWORD
	v_mov_b32_e32 v38, 0x8000
	s_and_saveexec_b32 s41, s1
	s_cbranch_execz .LBB318_146
; %bb.141:                              ;   in Loop: Header=BB318_11 Depth=1
	v_and_b32_e32 v41, 0x7f, v11
	v_mov_b32_e32 v38, 0x7c01
	s_mov_b32 s42, exec_lo
	v_cmpx_ne_u32_e32 0x7f, v41
	s_cbranch_execz .LBB318_145
; %bb.142:                              ;   in Loop: Header=BB318_11 Depth=1
	v_and_b32_e32 v3, 7, v11
	v_lshrrev_b32_e32 v38, 3, v41
	s_mov_b32 s43, exec_lo
	v_cmpx_gt_u32_e32 8, v41
; %bb.143:                              ;   in Loop: Header=BB318_11 Depth=1
	v_ffbh_u32_e32 v3, v3
	v_min_u32_e32 v3, 32, v3
	v_subrev_nc_u32_e32 v38, 28, v3
	v_lshlrev_b64 v[41:42], v38, v[11:12]
	v_sub_nc_u32_e32 v38, 29, v3
	v_and_b32_e32 v3, 7, v41
; %bb.144:                              ;   in Loop: Header=BB318_11 Depth=1
	s_or_b32 exec_lo, exec_lo, s43
	v_lshlrev_b32_e32 v41, 8, v11
	v_lshl_add_u32 v38, v38, 10, 0x2000
	v_lshlrev_b32_e32 v3, 7, v3
	v_and_b32_e32 v41, 0x8000, v41
	v_and_b32_e32 v38, 0xfc00, v38
	v_or3_b32 v38, v41, v38, v3
.LBB318_145:                            ;   in Loop: Header=BB318_11 Depth=1
	s_or_b32 exec_lo, exec_lo, s42
.LBB318_146:                            ;   in Loop: Header=BB318_11 Depth=1
	s_or_b32 exec_lo, exec_lo, s41
.LBB318_147:                            ;   in Loop: Header=BB318_11 Depth=1
	s_or_b32 exec_lo, exec_lo, s2
	v_lshrrev_b16 v3, 8, v11
	v_mov_b32_e32 v42, 0
	v_mov_b32_e32 v41, 0
	s_mov_b32 s2, exec_lo
	v_cmpx_ne_u16_e32 0, v3
	s_cbranch_execz .LBB318_155
; %bb.148:                              ;   in Loop: Header=BB318_11 Depth=1
	v_bfrev_b32_e32 v41, 1
	s_mov_b32 s41, exec_lo
	v_cmpx_ne_u16_e32 0x80, v3
	s_cbranch_execz .LBB318_154
; %bb.149:                              ;   in Loop: Header=BB318_11 Depth=1
	v_and_b32_sdwa v45, v3, v20 dst_sel:DWORD dst_unused:UNUSED_PAD src0_sel:WORD_0 src1_sel:DWORD
	v_mov_b32_e32 v41, 0x7c010000
	s_mov_b32 s42, exec_lo
	v_cmpx_ne_u32_e32 0x7f, v45
	s_cbranch_execz .LBB318_153
; %bb.150:                              ;   in Loop: Header=BB318_11 Depth=1
	v_and_b32_sdwa v41, v3, v21 dst_sel:DWORD dst_unused:UNUSED_PAD src0_sel:WORD_0 src1_sel:DWORD
	v_lshrrev_b32_e32 v44, 3, v45
	s_mov_b32 s43, exec_lo
	v_cmpx_gt_u32_e32 8, v45
; %bb.151:                              ;   in Loop: Header=BB318_11 Depth=1
	v_ffbh_u32_e32 v41, v41
	v_min_u32_e32 v41, 32, v41
	v_subrev_nc_u32_e32 v44, 28, v41
	v_lshlrev_b64 v[45:46], v44, v[3:4]
	v_sub_nc_u32_e32 v44, 29, v41
	v_and_b32_e32 v41, 7, v45
; %bb.152:                              ;   in Loop: Header=BB318_11 Depth=1
	s_or_b32 exec_lo, exec_lo, s43
	v_lshlrev_b32_sdwa v3, v22, v3 dst_sel:DWORD dst_unused:UNUSED_PAD src0_sel:DWORD src1_sel:WORD_0
	v_lshl_add_u32 v44, v44, 10, 0x2000
	v_lshlrev_b32_e32 v41, 23, v41
	v_and_or_b32 v3, 0x8000, v3, v44
	v_lshl_or_b32 v41, v3, 16, v41
.LBB318_153:                            ;   in Loop: Header=BB318_11 Depth=1
	s_or_b32 exec_lo, exec_lo, s42
.LBB318_154:                            ;   in Loop: Header=BB318_11 Depth=1
	s_or_b32 exec_lo, exec_lo, s41
.LBB318_155:                            ;   in Loop: Header=BB318_11 Depth=1
	s_or_b32 exec_lo, exec_lo, s2
	v_lshrrev_b32_e32 v3, 16, v11
	v_cmp_ne_u16_sdwa s1, v3, v4 src0_sel:BYTE_0 src1_sel:DWORD
	s_and_saveexec_b32 s2, s1
	s_cbranch_execz .LBB318_163
; %bb.156:                              ;   in Loop: Header=BB318_11 Depth=1
	v_cmp_ne_u16_sdwa s1, v3, v17 src0_sel:BYTE_0 src1_sel:DWORD
	v_mov_b32_e32 v42, 0x8000
	s_and_saveexec_b32 s41, s1
	s_cbranch_execz .LBB318_162
; %bb.157:                              ;   in Loop: Header=BB318_11 Depth=1
	v_bfe_u32 v45, v11, 16, 7
	v_mov_b32_e32 v42, 0x7c01
	s_mov_b32 s42, exec_lo
	v_cmpx_ne_u32_e32 0x7f, v45
	s_cbranch_execz .LBB318_161
; %bb.158:                              ;   in Loop: Header=BB318_11 Depth=1
	v_and_b32_e32 v42, 7, v3
	v_lshrrev_b32_e32 v44, 3, v45
	s_mov_b32 s43, exec_lo
	v_cmpx_gt_u32_e32 8, v45
; %bb.159:                              ;   in Loop: Header=BB318_11 Depth=1
	v_ffbh_u32_e32 v42, v42
	v_min_u32_e32 v42, 32, v42
	v_subrev_nc_u32_e32 v44, 28, v42
	v_lshlrev_b64 v[45:46], v44, v[3:4]
	v_sub_nc_u32_e32 v44, 29, v42
	v_and_b32_e32 v42, 7, v45
; %bb.160:                              ;   in Loop: Header=BB318_11 Depth=1
	s_or_b32 exec_lo, exec_lo, s43
	v_lshlrev_b32_e32 v3, 8, v3
	v_lshl_add_u32 v44, v44, 10, 0x2000
	v_lshlrev_b32_e32 v42, 7, v42
	v_and_b32_e32 v3, 0x8000, v3
	v_and_b32_e32 v44, 0xfc00, v44
	v_or3_b32 v42, v3, v44, v42
.LBB318_161:                            ;   in Loop: Header=BB318_11 Depth=1
	s_or_b32 exec_lo, exec_lo, s42
.LBB318_162:                            ;   in Loop: Header=BB318_11 Depth=1
	s_or_b32 exec_lo, exec_lo, s41
.LBB318_163:                            ;   in Loop: Header=BB318_11 Depth=1
	s_or_b32 exec_lo, exec_lo, s2
	v_mov_b32_e32 v44, 0
	v_mov_b32_e32 v45, 0
	s_mov_b32 s2, exec_lo
	v_cmpx_lt_u32_e32 0xffffff, v11
	s_cbranch_execz .LBB318_171
; %bb.164:                              ;   in Loop: Header=BB318_11 Depth=1
	v_lshrrev_b32_e32 v3, 24, v11
	v_bfrev_b32_e32 v45, 1
	s_mov_b32 s41, exec_lo
	v_cmpx_ne_u32_e32 0x80, v3
	s_cbranch_execz .LBB318_170
; %bb.165:                              ;   in Loop: Header=BB318_11 Depth=1
	v_and_b32_e32 v47, 0x7f, v3
	v_mov_b32_e32 v45, 0x7c010000
	s_mov_b32 s42, exec_lo
	v_cmpx_ne_u32_e32 0x7f, v47
	s_cbranch_execz .LBB318_169
; %bb.166:                              ;   in Loop: Header=BB318_11 Depth=1
	v_and_b32_e32 v45, 7, v3
	v_lshrrev_b32_e32 v46, 3, v47
	s_mov_b32 s43, exec_lo
	v_cmpx_gt_u32_e32 8, v47
; %bb.167:                              ;   in Loop: Header=BB318_11 Depth=1
	v_ffbh_u32_e32 v45, v45
	v_min_u32_e32 v47, 32, v45
	v_subrev_nc_u32_e32 v45, 28, v47
	v_lshlrev_b64 v[45:46], v45, v[3:4]
	v_sub_nc_u32_e32 v46, 29, v47
	v_and_b32_e32 v45, 7, v45
; %bb.168:                              ;   in Loop: Header=BB318_11 Depth=1
	s_or_b32 exec_lo, exec_lo, s43
	v_lshlrev_b32_e32 v3, 8, v3
	v_lshl_add_u32 v46, v46, 10, 0x2000
	v_lshlrev_b32_e32 v45, 23, v45
	v_and_or_b32 v3, 0x8000, v3, v46
	v_lshl_or_b32 v45, v3, 16, v45
.LBB318_169:                            ;   in Loop: Header=BB318_11 Depth=1
	s_or_b32 exec_lo, exec_lo, s42
.LBB318_170:                            ;   in Loop: Header=BB318_11 Depth=1
	s_or_b32 exec_lo, exec_lo, s41
.LBB318_171:                            ;   in Loop: Header=BB318_11 Depth=1
	s_or_b32 exec_lo, exec_lo, s2
	v_mov_b32_e32 v3, v12
	v_cmp_ne_u16_sdwa s1, v12, v4 src0_sel:BYTE_0 src1_sel:DWORD
	s_and_saveexec_b32 s2, s1
	s_cbranch_execz .LBB318_179
; %bb.172:                              ;   in Loop: Header=BB318_11 Depth=1
	v_cmp_ne_u16_sdwa s1, v12, v17 src0_sel:BYTE_0 src1_sel:DWORD
	v_mov_b32_e32 v44, 0x8000
	s_and_saveexec_b32 s41, s1
	s_cbranch_execz .LBB318_178
; %bb.173:                              ;   in Loop: Header=BB318_11 Depth=1
	v_and_b32_e32 v47, 0x7f, v12
	v_mov_b32_e32 v44, 0x7c01
	s_mov_b32 s42, exec_lo
	v_cmpx_ne_u32_e32 0x7f, v47
	s_cbranch_execz .LBB318_177
; %bb.174:                              ;   in Loop: Header=BB318_11 Depth=1
	v_and_b32_e32 v44, 7, v12
	v_lshrrev_b32_e32 v46, 3, v47
	s_mov_b32 s43, exec_lo
	v_cmpx_gt_u32_e32 8, v47
; %bb.175:                              ;   in Loop: Header=BB318_11 Depth=1
	v_ffbh_u32_e32 v44, v44
	v_min_u32_e32 v44, 32, v44
	v_subrev_nc_u32_e32 v46, 28, v44
	v_lshlrev_b64 v[47:48], v46, v[3:4]
	v_sub_nc_u32_e32 v46, 29, v44
	v_and_b32_e32 v44, 7, v47
; %bb.176:                              ;   in Loop: Header=BB318_11 Depth=1
	s_or_b32 exec_lo, exec_lo, s43
	v_lshlrev_b32_e32 v47, 8, v12
	v_lshl_add_u32 v46, v46, 10, 0x2000
	v_lshlrev_b32_e32 v44, 7, v44
	v_and_b32_e32 v47, 0x8000, v47
	v_and_b32_e32 v46, 0xfc00, v46
	v_or3_b32 v44, v47, v46, v44
.LBB318_177:                            ;   in Loop: Header=BB318_11 Depth=1
	s_or_b32 exec_lo, exec_lo, s42
.LBB318_178:                            ;   in Loop: Header=BB318_11 Depth=1
	s_or_b32 exec_lo, exec_lo, s41
.LBB318_179:                            ;   in Loop: Header=BB318_11 Depth=1
	s_or_b32 exec_lo, exec_lo, s2
	v_lshrrev_b16 v3, 8, v3
	v_mov_b32_e32 v48, 0
	v_mov_b32_e32 v47, 0
	s_mov_b32 s2, exec_lo
	v_cmpx_ne_u16_e32 0, v3
	s_cbranch_execz .LBB318_187
; %bb.180:                              ;   in Loop: Header=BB318_11 Depth=1
	v_bfrev_b32_e32 v47, 1
	s_mov_b32 s41, exec_lo
	v_cmpx_ne_u16_e32 0x80, v3
	s_cbranch_execz .LBB318_186
; %bb.181:                              ;   in Loop: Header=BB318_11 Depth=1
	v_and_b32_sdwa v49, v3, v20 dst_sel:DWORD dst_unused:UNUSED_PAD src0_sel:WORD_0 src1_sel:DWORD
	v_mov_b32_e32 v47, 0x7c010000
	s_mov_b32 s42, exec_lo
	v_cmpx_ne_u32_e32 0x7f, v49
	s_cbranch_execz .LBB318_185
; %bb.182:                              ;   in Loop: Header=BB318_11 Depth=1
	v_and_b32_sdwa v46, v3, v21 dst_sel:DWORD dst_unused:UNUSED_PAD src0_sel:WORD_0 src1_sel:DWORD
	v_lshrrev_b32_e32 v47, 3, v49
	s_mov_b32 s43, exec_lo
	v_cmpx_gt_u32_e32 8, v49
; %bb.183:                              ;   in Loop: Header=BB318_11 Depth=1
	v_ffbh_u32_e32 v46, v46
	v_min_u32_e32 v49, 32, v46
	v_subrev_nc_u32_e32 v46, 28, v49
	v_lshlrev_b64 v[46:47], v46, v[3:4]
	v_sub_nc_u32_e32 v47, 29, v49
	v_and_b32_e32 v46, 7, v46
; %bb.184:                              ;   in Loop: Header=BB318_11 Depth=1
	s_or_b32 exec_lo, exec_lo, s43
	v_lshlrev_b32_sdwa v3, v22, v3 dst_sel:DWORD dst_unused:UNUSED_PAD src0_sel:DWORD src1_sel:WORD_0
	v_lshl_add_u32 v47, v47, 10, 0x2000
	v_lshlrev_b32_e32 v46, 23, v46
	v_and_or_b32 v3, 0x8000, v3, v47
	v_lshl_or_b32 v47, v3, 16, v46
.LBB318_185:                            ;   in Loop: Header=BB318_11 Depth=1
	s_or_b32 exec_lo, exec_lo, s42
.LBB318_186:                            ;   in Loop: Header=BB318_11 Depth=1
	s_or_b32 exec_lo, exec_lo, s41
.LBB318_187:                            ;   in Loop: Header=BB318_11 Depth=1
	s_or_b32 exec_lo, exec_lo, s2
	v_lshrrev_b32_e32 v3, 16, v12
	v_cmp_ne_u16_sdwa s1, v3, v4 src0_sel:BYTE_0 src1_sel:DWORD
	s_and_saveexec_b32 s2, s1
	s_cbranch_execz .LBB318_195
; %bb.188:                              ;   in Loop: Header=BB318_11 Depth=1
	v_cmp_ne_u16_sdwa s1, v3, v17 src0_sel:BYTE_0 src1_sel:DWORD
	v_mov_b32_e32 v48, 0x8000
	s_and_saveexec_b32 s41, s1
	s_cbranch_execz .LBB318_194
; %bb.189:                              ;   in Loop: Header=BB318_11 Depth=1
	v_bfe_u32 v49, v12, 16, 7
	v_mov_b32_e32 v48, 0x7c01
	s_mov_b32 s42, exec_lo
	v_cmpx_ne_u32_e32 0x7f, v49
	s_cbranch_execz .LBB318_193
; %bb.190:                              ;   in Loop: Header=BB318_11 Depth=1
	v_and_b32_e32 v46, 7, v3
	v_lshrrev_b32_e32 v48, 3, v49
	s_mov_b32 s43, exec_lo
	v_cmpx_gt_u32_e32 8, v49
; %bb.191:                              ;   in Loop: Header=BB318_11 Depth=1
	v_ffbh_u32_e32 v46, v46
	v_min_u32_e32 v46, 32, v46
	v_subrev_nc_u32_e32 v48, 28, v46
	v_lshlrev_b64 v[49:50], v48, v[3:4]
	v_sub_nc_u32_e32 v48, 29, v46
	v_and_b32_e32 v46, 7, v49
; %bb.192:                              ;   in Loop: Header=BB318_11 Depth=1
	s_or_b32 exec_lo, exec_lo, s43
	v_lshlrev_b32_e32 v3, 8, v3
	v_lshl_add_u32 v48, v48, 10, 0x2000
	v_lshlrev_b32_e32 v46, 7, v46
	v_and_b32_e32 v3, 0x8000, v3
	v_and_b32_e32 v48, 0xfc00, v48
	v_or3_b32 v48, v3, v48, v46
.LBB318_193:                            ;   in Loop: Header=BB318_11 Depth=1
	s_or_b32 exec_lo, exec_lo, s42
.LBB318_194:                            ;   in Loop: Header=BB318_11 Depth=1
	s_or_b32 exec_lo, exec_lo, s41
.LBB318_195:                            ;   in Loop: Header=BB318_11 Depth=1
	s_or_b32 exec_lo, exec_lo, s2
	v_mov_b32_e32 v117, 0
	v_mov_b32_e32 v51, 0
	s_mov_b32 s2, exec_lo
	v_cmpx_lt_u64_e64 s[4:5], v[11:12]
	s_cbranch_execz .LBB318_203
; %bb.196:                              ;   in Loop: Header=BB318_11 Depth=1
	v_lshrrev_b32_e32 v3, 24, v12
	v_bfrev_b32_e32 v51, 1
	s_mov_b32 s41, exec_lo
	v_cmpx_ne_u32_e32 0x80, v3
	s_cbranch_execz .LBB318_202
; %bb.197:                              ;   in Loop: Header=BB318_11 Depth=1
	v_and_b32_e32 v49, 0x7f, v3
	v_mov_b32_e32 v51, 0x7c010000
	s_mov_b32 s42, exec_lo
	v_cmpx_ne_u32_e32 0x7f, v49
	s_cbranch_execz .LBB318_201
; %bb.198:                              ;   in Loop: Header=BB318_11 Depth=1
	v_and_b32_e32 v11, 7, v3
	v_lshrrev_b32_e32 v12, 3, v49
	s_mov_b32 s43, exec_lo
	v_cmpx_gt_u32_e32 8, v49
; %bb.199:                              ;   in Loop: Header=BB318_11 Depth=1
	v_ffbh_u32_e32 v11, v11
	v_min_u32_e32 v46, 32, v11
	v_subrev_nc_u32_e32 v11, 28, v46
	v_lshlrev_b64 v[11:12], v11, v[3:4]
	v_sub_nc_u32_e32 v12, 29, v46
	v_and_b32_e32 v11, 7, v11
; %bb.200:                              ;   in Loop: Header=BB318_11 Depth=1
	s_or_b32 exec_lo, exec_lo, s43
	v_lshlrev_b32_e32 v3, 8, v3
	v_lshl_add_u32 v12, v12, 10, 0x2000
	v_lshlrev_b32_e32 v11, 23, v11
	v_and_or_b32 v3, 0x8000, v3, v12
	v_lshl_or_b32 v51, v3, 16, v11
.LBB318_201:                            ;   in Loop: Header=BB318_11 Depth=1
	s_or_b32 exec_lo, exec_lo, s42
.LBB318_202:                            ;   in Loop: Header=BB318_11 Depth=1
	s_or_b32 exec_lo, exec_lo, s41
.LBB318_203:                            ;   in Loop: Header=BB318_11 Depth=1
	s_or_b32 exec_lo, exec_lo, s2
	global_load_dwordx2 v[11:12], v[9:10], off offset:520
	s_waitcnt vmcnt(0)
	v_cmp_ne_u16_sdwa s1, v11, v4 src0_sel:BYTE_0 src1_sel:DWORD
	s_and_saveexec_b32 s2, s1
	s_cbranch_execz .LBB318_211
; %bb.204:                              ;   in Loop: Header=BB318_11 Depth=1
	v_cmp_ne_u16_sdwa s1, v11, v17 src0_sel:BYTE_0 src1_sel:DWORD
	v_mov_b32_e32 v117, 0x8000
	s_and_saveexec_b32 s41, s1
	s_cbranch_execz .LBB318_210
; %bb.205:                              ;   in Loop: Header=BB318_11 Depth=1
	v_and_b32_e32 v49, 0x7f, v11
	v_mov_b32_e32 v117, 0x7c01
	s_mov_b32 s42, exec_lo
	v_cmpx_ne_u32_e32 0x7f, v49
	s_cbranch_execz .LBB318_209
; %bb.206:                              ;   in Loop: Header=BB318_11 Depth=1
	v_and_b32_e32 v3, 7, v11
	v_lshrrev_b32_e32 v46, 3, v49
	s_mov_b32 s43, exec_lo
	v_cmpx_gt_u32_e32 8, v49
; %bb.207:                              ;   in Loop: Header=BB318_11 Depth=1
	v_ffbh_u32_e32 v3, v3
	v_min_u32_e32 v3, 32, v3
	v_subrev_nc_u32_e32 v46, 28, v3
	v_lshlrev_b64 v[49:50], v46, v[11:12]
	v_sub_nc_u32_e32 v46, 29, v3
	v_and_b32_e32 v3, 7, v49
; %bb.208:                              ;   in Loop: Header=BB318_11 Depth=1
	s_or_b32 exec_lo, exec_lo, s43
	v_lshlrev_b32_e32 v49, 8, v11
	v_lshl_add_u32 v46, v46, 10, 0x2000
	v_lshlrev_b32_e32 v3, 7, v3
	v_and_b32_e32 v49, 0x8000, v49
	v_and_b32_e32 v46, 0xfc00, v46
	v_or3_b32 v117, v49, v46, v3
.LBB318_209:                            ;   in Loop: Header=BB318_11 Depth=1
	s_or_b32 exec_lo, exec_lo, s42
.LBB318_210:                            ;   in Loop: Header=BB318_11 Depth=1
	s_or_b32 exec_lo, exec_lo, s41
.LBB318_211:                            ;   in Loop: Header=BB318_11 Depth=1
	s_or_b32 exec_lo, exec_lo, s2
	v_lshrrev_b16 v3, 8, v11
	v_mov_b32_e32 v50, 0
	v_mov_b32_e32 v49, 0
	s_mov_b32 s2, exec_lo
	v_cmpx_ne_u16_e32 0, v3
	s_cbranch_execz .LBB318_219
; %bb.212:                              ;   in Loop: Header=BB318_11 Depth=1
	v_bfrev_b32_e32 v49, 1
	s_mov_b32 s41, exec_lo
	v_cmpx_ne_u16_e32 0x80, v3
	s_cbranch_execz .LBB318_218
; %bb.213:                              ;   in Loop: Header=BB318_11 Depth=1
	v_and_b32_sdwa v53, v3, v20 dst_sel:DWORD dst_unused:UNUSED_PAD src0_sel:WORD_0 src1_sel:DWORD
	v_mov_b32_e32 v49, 0x7c010000
	s_mov_b32 s42, exec_lo
	v_cmpx_ne_u32_e32 0x7f, v53
	s_cbranch_execz .LBB318_217
; %bb.214:                              ;   in Loop: Header=BB318_11 Depth=1
	v_and_b32_sdwa v49, v3, v21 dst_sel:DWORD dst_unused:UNUSED_PAD src0_sel:WORD_0 src1_sel:DWORD
	v_lshrrev_b32_e32 v52, 3, v53
	s_mov_b32 s43, exec_lo
	v_cmpx_gt_u32_e32 8, v53
; %bb.215:                              ;   in Loop: Header=BB318_11 Depth=1
	v_ffbh_u32_e32 v46, v49
	v_min_u32_e32 v46, 32, v46
	v_subrev_nc_u32_e32 v49, 28, v46
	v_sub_nc_u32_e32 v52, 29, v46
	v_lshlrev_b64 v[53:54], v49, v[3:4]
	v_and_b32_e32 v49, 7, v53
; %bb.216:                              ;   in Loop: Header=BB318_11 Depth=1
	s_or_b32 exec_lo, exec_lo, s43
	v_lshlrev_b32_sdwa v3, v22, v3 dst_sel:DWORD dst_unused:UNUSED_PAD src0_sel:DWORD src1_sel:WORD_0
	v_lshl_add_u32 v46, v52, 10, 0x2000
	v_and_or_b32 v3, 0x8000, v3, v46
	v_lshlrev_b32_e32 v46, 23, v49
	v_lshl_or_b32 v49, v3, 16, v46
.LBB318_217:                            ;   in Loop: Header=BB318_11 Depth=1
	s_or_b32 exec_lo, exec_lo, s42
.LBB318_218:                            ;   in Loop: Header=BB318_11 Depth=1
	s_or_b32 exec_lo, exec_lo, s41
.LBB318_219:                            ;   in Loop: Header=BB318_11 Depth=1
	s_or_b32 exec_lo, exec_lo, s2
	v_lshrrev_b32_e32 v3, 16, v11
	v_cmp_ne_u16_sdwa s1, v3, v4 src0_sel:BYTE_0 src1_sel:DWORD
	s_and_saveexec_b32 s2, s1
	s_cbranch_execz .LBB318_227
; %bb.220:                              ;   in Loop: Header=BB318_11 Depth=1
	v_cmp_ne_u16_sdwa s1, v3, v17 src0_sel:BYTE_0 src1_sel:DWORD
	v_mov_b32_e32 v50, 0x8000
	s_and_saveexec_b32 s41, s1
	s_cbranch_execz .LBB318_226
; %bb.221:                              ;   in Loop: Header=BB318_11 Depth=1
	v_bfe_u32 v53, v11, 16, 7
	v_mov_b32_e32 v50, 0x7c01
	s_mov_b32 s42, exec_lo
	v_cmpx_ne_u32_e32 0x7f, v53
	s_cbranch_execz .LBB318_225
; %bb.222:                              ;   in Loop: Header=BB318_11 Depth=1
	v_and_b32_e32 v50, 7, v3
	v_lshrrev_b32_e32 v52, 3, v53
	s_mov_b32 s43, exec_lo
	v_cmpx_gt_u32_e32 8, v53
; %bb.223:                              ;   in Loop: Header=BB318_11 Depth=1
	v_ffbh_u32_e32 v46, v50
	v_min_u32_e32 v46, 32, v46
	v_subrev_nc_u32_e32 v50, 28, v46
	v_sub_nc_u32_e32 v52, 29, v46
	v_lshlrev_b64 v[53:54], v50, v[3:4]
	v_and_b32_e32 v50, 7, v53
; %bb.224:                              ;   in Loop: Header=BB318_11 Depth=1
	s_or_b32 exec_lo, exec_lo, s43
	v_lshlrev_b32_e32 v3, 8, v3
	v_lshl_add_u32 v46, v52, 10, 0x2000
	v_lshlrev_b32_e32 v50, 7, v50
	v_and_b32_e32 v3, 0x8000, v3
	v_and_b32_e32 v46, 0xfc00, v46
	v_or3_b32 v50, v3, v46, v50
.LBB318_225:                            ;   in Loop: Header=BB318_11 Depth=1
	s_or_b32 exec_lo, exec_lo, s42
.LBB318_226:                            ;   in Loop: Header=BB318_11 Depth=1
	s_or_b32 exec_lo, exec_lo, s41
.LBB318_227:                            ;   in Loop: Header=BB318_11 Depth=1
	s_or_b32 exec_lo, exec_lo, s2
	v_mov_b32_e32 v52, 0
	v_mov_b32_e32 v53, 0
	s_mov_b32 s2, exec_lo
	v_cmpx_lt_u32_e32 0xffffff, v11
	s_cbranch_execz .LBB318_235
; %bb.228:                              ;   in Loop: Header=BB318_11 Depth=1
	v_lshrrev_b32_e32 v3, 24, v11
	v_bfrev_b32_e32 v53, 1
	s_mov_b32 s41, exec_lo
	v_cmpx_ne_u32_e32 0x80, v3
	s_cbranch_execz .LBB318_234
; %bb.229:                              ;   in Loop: Header=BB318_11 Depth=1
	v_and_b32_e32 v55, 0x7f, v3
	v_mov_b32_e32 v53, 0x7c010000
	s_mov_b32 s42, exec_lo
	v_cmpx_ne_u32_e32 0x7f, v55
	s_cbranch_execz .LBB318_233
; %bb.230:                              ;   in Loop: Header=BB318_11 Depth=1
	v_and_b32_e32 v53, 7, v3
	v_lshrrev_b32_e32 v54, 3, v55
	s_mov_b32 s43, exec_lo
	v_cmpx_gt_u32_e32 8, v55
; %bb.231:                              ;   in Loop: Header=BB318_11 Depth=1
	v_ffbh_u32_e32 v46, v53
	v_min_u32_e32 v46, 32, v46
	v_subrev_nc_u32_e32 v53, 28, v46
	v_lshlrev_b64 v[53:54], v53, v[3:4]
	v_sub_nc_u32_e32 v54, 29, v46
	v_and_b32_e32 v53, 7, v53
; %bb.232:                              ;   in Loop: Header=BB318_11 Depth=1
	s_or_b32 exec_lo, exec_lo, s43
	v_lshlrev_b32_e32 v3, 8, v3
	v_lshl_add_u32 v46, v54, 10, 0x2000
	v_and_or_b32 v3, 0x8000, v3, v46
	v_lshlrev_b32_e32 v46, 23, v53
	v_lshl_or_b32 v53, v3, 16, v46
.LBB318_233:                            ;   in Loop: Header=BB318_11 Depth=1
	s_or_b32 exec_lo, exec_lo, s42
.LBB318_234:                            ;   in Loop: Header=BB318_11 Depth=1
	s_or_b32 exec_lo, exec_lo, s41
.LBB318_235:                            ;   in Loop: Header=BB318_11 Depth=1
	s_or_b32 exec_lo, exec_lo, s2
	v_mov_b32_e32 v3, v12
	v_cmp_ne_u16_sdwa s1, v12, v4 src0_sel:BYTE_0 src1_sel:DWORD
	s_and_saveexec_b32 s2, s1
	s_cbranch_execz .LBB318_243
; %bb.236:                              ;   in Loop: Header=BB318_11 Depth=1
	v_cmp_ne_u16_sdwa s1, v12, v17 src0_sel:BYTE_0 src1_sel:DWORD
	v_mov_b32_e32 v52, 0x8000
	s_and_saveexec_b32 s41, s1
	s_cbranch_execz .LBB318_242
; %bb.237:                              ;   in Loop: Header=BB318_11 Depth=1
	v_and_b32_e32 v55, 0x7f, v12
	v_mov_b32_e32 v52, 0x7c01
	s_mov_b32 s42, exec_lo
	v_cmpx_ne_u32_e32 0x7f, v55
	s_cbranch_execz .LBB318_241
; %bb.238:                              ;   in Loop: Header=BB318_11 Depth=1
	v_and_b32_e32 v52, 7, v12
	v_lshrrev_b32_e32 v54, 3, v55
	s_mov_b32 s43, exec_lo
	v_cmpx_gt_u32_e32 8, v55
; %bb.239:                              ;   in Loop: Header=BB318_11 Depth=1
	v_ffbh_u32_e32 v46, v52
	v_min_u32_e32 v46, 32, v46
	v_subrev_nc_u32_e32 v52, 28, v46
	v_sub_nc_u32_e32 v54, 29, v46
	v_lshlrev_b64 v[55:56], v52, v[3:4]
	v_and_b32_e32 v52, 7, v55
; %bb.240:                              ;   in Loop: Header=BB318_11 Depth=1
	s_or_b32 exec_lo, exec_lo, s43
	v_lshlrev_b32_e32 v46, 8, v12
	v_lshl_add_u32 v54, v54, 10, 0x2000
	v_lshlrev_b32_e32 v52, 7, v52
	v_and_b32_e32 v46, 0x8000, v46
	v_and_b32_e32 v54, 0xfc00, v54
	v_or3_b32 v52, v46, v54, v52
.LBB318_241:                            ;   in Loop: Header=BB318_11 Depth=1
	s_or_b32 exec_lo, exec_lo, s42
.LBB318_242:                            ;   in Loop: Header=BB318_11 Depth=1
	s_or_b32 exec_lo, exec_lo, s41
.LBB318_243:                            ;   in Loop: Header=BB318_11 Depth=1
	s_or_b32 exec_lo, exec_lo, s2
	v_lshrrev_b16 v3, 8, v3
	v_mov_b32_e32 v56, 0
	v_mov_b32_e32 v55, 0
	s_mov_b32 s2, exec_lo
	v_cmpx_ne_u16_e32 0, v3
	s_cbranch_execz .LBB318_251
; %bb.244:                              ;   in Loop: Header=BB318_11 Depth=1
	v_bfrev_b32_e32 v55, 1
	s_mov_b32 s41, exec_lo
	v_cmpx_ne_u16_e32 0x80, v3
	s_cbranch_execz .LBB318_250
; %bb.245:                              ;   in Loop: Header=BB318_11 Depth=1
	v_and_b32_sdwa v57, v3, v20 dst_sel:DWORD dst_unused:UNUSED_PAD src0_sel:WORD_0 src1_sel:DWORD
	v_mov_b32_e32 v55, 0x7c010000
	s_mov_b32 s42, exec_lo
	v_cmpx_ne_u32_e32 0x7f, v57
	s_cbranch_execz .LBB318_249
; %bb.246:                              ;   in Loop: Header=BB318_11 Depth=1
	v_and_b32_sdwa v54, v3, v21 dst_sel:DWORD dst_unused:UNUSED_PAD src0_sel:WORD_0 src1_sel:DWORD
	v_lshrrev_b32_e32 v55, 3, v57
	s_mov_b32 s43, exec_lo
	v_cmpx_gt_u32_e32 8, v57
; %bb.247:                              ;   in Loop: Header=BB318_11 Depth=1
	v_ffbh_u32_e32 v46, v54
	v_min_u32_e32 v46, 32, v46
	v_subrev_nc_u32_e32 v54, 28, v46
	v_lshlrev_b64 v[54:55], v54, v[3:4]
	v_sub_nc_u32_e32 v55, 29, v46
	v_and_b32_e32 v54, 7, v54
; %bb.248:                              ;   in Loop: Header=BB318_11 Depth=1
	s_or_b32 exec_lo, exec_lo, s43
	v_lshlrev_b32_sdwa v3, v22, v3 dst_sel:DWORD dst_unused:UNUSED_PAD src0_sel:DWORD src1_sel:WORD_0
	v_lshl_add_u32 v46, v55, 10, 0x2000
	v_and_or_b32 v3, 0x8000, v3, v46
	v_lshlrev_b32_e32 v46, 23, v54
	v_lshl_or_b32 v55, v3, 16, v46
.LBB318_249:                            ;   in Loop: Header=BB318_11 Depth=1
	s_or_b32 exec_lo, exec_lo, s42
.LBB318_250:                            ;   in Loop: Header=BB318_11 Depth=1
	s_or_b32 exec_lo, exec_lo, s41
.LBB318_251:                            ;   in Loop: Header=BB318_11 Depth=1
	s_or_b32 exec_lo, exec_lo, s2
	v_lshrrev_b32_e32 v3, 16, v12
	v_cmp_ne_u16_sdwa s1, v3, v4 src0_sel:BYTE_0 src1_sel:DWORD
	s_and_saveexec_b32 s2, s1
	s_cbranch_execz .LBB318_259
; %bb.252:                              ;   in Loop: Header=BB318_11 Depth=1
	v_cmp_ne_u16_sdwa s1, v3, v17 src0_sel:BYTE_0 src1_sel:DWORD
	v_mov_b32_e32 v56, 0x8000
	s_and_saveexec_b32 s41, s1
	s_cbranch_execz .LBB318_258
; %bb.253:                              ;   in Loop: Header=BB318_11 Depth=1
	v_bfe_u32 v57, v12, 16, 7
	v_mov_b32_e32 v56, 0x7c01
	s_mov_b32 s42, exec_lo
	v_cmpx_ne_u32_e32 0x7f, v57
	s_cbranch_execz .LBB318_257
; %bb.254:                              ;   in Loop: Header=BB318_11 Depth=1
	v_and_b32_e32 v54, 7, v3
	v_lshrrev_b32_e32 v56, 3, v57
	s_mov_b32 s43, exec_lo
	v_cmpx_gt_u32_e32 8, v57
; %bb.255:                              ;   in Loop: Header=BB318_11 Depth=1
	v_ffbh_u32_e32 v46, v54
	v_min_u32_e32 v46, 32, v46
	v_subrev_nc_u32_e32 v54, 28, v46
	v_sub_nc_u32_e32 v56, 29, v46
	v_lshlrev_b64 v[57:58], v54, v[3:4]
	v_and_b32_e32 v54, 7, v57
; %bb.256:                              ;   in Loop: Header=BB318_11 Depth=1
	s_or_b32 exec_lo, exec_lo, s43
	v_lshlrev_b32_e32 v3, 8, v3
	v_lshl_add_u32 v46, v56, 10, 0x2000
	v_lshlrev_b32_e32 v54, 7, v54
	v_and_b32_e32 v3, 0x8000, v3
	v_and_b32_e32 v46, 0xfc00, v46
	v_or3_b32 v56, v3, v46, v54
.LBB318_257:                            ;   in Loop: Header=BB318_11 Depth=1
	s_or_b32 exec_lo, exec_lo, s42
.LBB318_258:                            ;   in Loop: Header=BB318_11 Depth=1
	s_or_b32 exec_lo, exec_lo, s41
.LBB318_259:                            ;   in Loop: Header=BB318_11 Depth=1
	s_or_b32 exec_lo, exec_lo, s2
	v_mov_b32_e32 v54, 0
	v_mov_b32_e32 v59, 0
	s_mov_b32 s2, exec_lo
	v_cmpx_lt_u64_e64 s[4:5], v[11:12]
	s_cbranch_execz .LBB318_267
; %bb.260:                              ;   in Loop: Header=BB318_11 Depth=1
	v_lshrrev_b32_e32 v3, 24, v12
	v_bfrev_b32_e32 v59, 1
	s_mov_b32 s41, exec_lo
	v_cmpx_ne_u32_e32 0x80, v3
	s_cbranch_execz .LBB318_266
; %bb.261:                              ;   in Loop: Header=BB318_11 Depth=1
	v_and_b32_e32 v57, 0x7f, v3
	v_mov_b32_e32 v59, 0x7c010000
	s_mov_b32 s42, exec_lo
	v_cmpx_ne_u32_e32 0x7f, v57
	s_cbranch_execz .LBB318_265
; %bb.262:                              ;   in Loop: Header=BB318_11 Depth=1
	v_and_b32_e32 v11, 7, v3
	v_lshrrev_b32_e32 v12, 3, v57
	s_mov_b32 s43, exec_lo
	v_cmpx_gt_u32_e32 8, v57
; %bb.263:                              ;   in Loop: Header=BB318_11 Depth=1
	v_ffbh_u32_e32 v11, v11
	v_min_u32_e32 v46, 32, v11
	v_subrev_nc_u32_e32 v11, 28, v46
	v_lshlrev_b64 v[11:12], v11, v[3:4]
	v_sub_nc_u32_e32 v12, 29, v46
	v_and_b32_e32 v11, 7, v11
; %bb.264:                              ;   in Loop: Header=BB318_11 Depth=1
	s_or_b32 exec_lo, exec_lo, s43
	v_lshlrev_b32_e32 v3, 8, v3
	v_lshl_add_u32 v12, v12, 10, 0x2000
	v_lshlrev_b32_e32 v11, 23, v11
	v_and_or_b32 v3, 0x8000, v3, v12
	v_lshl_or_b32 v59, v3, 16, v11
.LBB318_265:                            ;   in Loop: Header=BB318_11 Depth=1
	s_or_b32 exec_lo, exec_lo, s42
.LBB318_266:                            ;   in Loop: Header=BB318_11 Depth=1
	s_or_b32 exec_lo, exec_lo, s41
.LBB318_267:                            ;   in Loop: Header=BB318_11 Depth=1
	s_or_b32 exec_lo, exec_lo, s2
	global_load_dwordx2 v[11:12], v[9:10], off offset:1024
	s_waitcnt vmcnt(0)
	v_cmp_ne_u16_sdwa s1, v11, v4 src0_sel:BYTE_0 src1_sel:DWORD
	s_and_saveexec_b32 s2, s1
	s_cbranch_execz .LBB318_275
; %bb.268:                              ;   in Loop: Header=BB318_11 Depth=1
	v_cmp_ne_u16_sdwa s1, v11, v17 src0_sel:BYTE_0 src1_sel:DWORD
	v_mov_b32_e32 v54, 0x8000
	s_and_saveexec_b32 s41, s1
	s_cbranch_execz .LBB318_274
; %bb.269:                              ;   in Loop: Header=BB318_11 Depth=1
	v_and_b32_e32 v57, 0x7f, v11
	v_mov_b32_e32 v54, 0x7c01
	s_mov_b32 s42, exec_lo
	v_cmpx_ne_u32_e32 0x7f, v57
	s_cbranch_execz .LBB318_273
; %bb.270:                              ;   in Loop: Header=BB318_11 Depth=1
	v_and_b32_e32 v3, 7, v11
	v_lshrrev_b32_e32 v54, 3, v57
	s_mov_b32 s43, exec_lo
	v_cmpx_gt_u32_e32 8, v57
; %bb.271:                              ;   in Loop: Header=BB318_11 Depth=1
	v_ffbh_u32_e32 v3, v3
	v_min_u32_e32 v3, 32, v3
	v_subrev_nc_u32_e32 v46, 28, v3
	v_sub_nc_u32_e32 v54, 29, v3
	v_lshlrev_b64 v[57:58], v46, v[11:12]
	v_and_b32_e32 v3, 7, v57
; %bb.272:                              ;   in Loop: Header=BB318_11 Depth=1
	s_or_b32 exec_lo, exec_lo, s43
	v_lshlrev_b32_e32 v46, 8, v11
	v_lshl_add_u32 v54, v54, 10, 0x2000
	v_lshlrev_b32_e32 v3, 7, v3
	v_and_b32_e32 v46, 0x8000, v46
	v_and_b32_e32 v54, 0xfc00, v54
	v_or3_b32 v54, v46, v54, v3
.LBB318_273:                            ;   in Loop: Header=BB318_11 Depth=1
	s_or_b32 exec_lo, exec_lo, s42
.LBB318_274:                            ;   in Loop: Header=BB318_11 Depth=1
	s_or_b32 exec_lo, exec_lo, s41
.LBB318_275:                            ;   in Loop: Header=BB318_11 Depth=1
	s_or_b32 exec_lo, exec_lo, s2
	v_lshrrev_b16 v3, 8, v11
	v_mov_b32_e32 v58, 0
	v_mov_b32_e32 v57, 0
	s_mov_b32 s2, exec_lo
	v_cmpx_ne_u16_e32 0, v3
	s_cbranch_execz .LBB318_283
; %bb.276:                              ;   in Loop: Header=BB318_11 Depth=1
	v_bfrev_b32_e32 v57, 1
	s_mov_b32 s41, exec_lo
	v_cmpx_ne_u16_e32 0x80, v3
	s_cbranch_execz .LBB318_282
; %bb.277:                              ;   in Loop: Header=BB318_11 Depth=1
	v_and_b32_sdwa v61, v3, v20 dst_sel:DWORD dst_unused:UNUSED_PAD src0_sel:WORD_0 src1_sel:DWORD
	v_mov_b32_e32 v57, 0x7c010000
	s_mov_b32 s42, exec_lo
	v_cmpx_ne_u32_e32 0x7f, v61
	s_cbranch_execz .LBB318_281
; %bb.278:                              ;   in Loop: Header=BB318_11 Depth=1
	v_and_b32_sdwa v57, v3, v21 dst_sel:DWORD dst_unused:UNUSED_PAD src0_sel:WORD_0 src1_sel:DWORD
	v_lshrrev_b32_e32 v60, 3, v61
	s_mov_b32 s43, exec_lo
	v_cmpx_gt_u32_e32 8, v61
; %bb.279:                              ;   in Loop: Header=BB318_11 Depth=1
	v_ffbh_u32_e32 v46, v57
	v_min_u32_e32 v46, 32, v46
	v_subrev_nc_u32_e32 v57, 28, v46
	v_sub_nc_u32_e32 v60, 29, v46
	v_lshlrev_b64 v[61:62], v57, v[3:4]
	v_and_b32_e32 v57, 7, v61
; %bb.280:                              ;   in Loop: Header=BB318_11 Depth=1
	s_or_b32 exec_lo, exec_lo, s43
	v_lshlrev_b32_sdwa v3, v22, v3 dst_sel:DWORD dst_unused:UNUSED_PAD src0_sel:DWORD src1_sel:WORD_0
	v_lshl_add_u32 v46, v60, 10, 0x2000
	v_and_or_b32 v3, 0x8000, v3, v46
	v_lshlrev_b32_e32 v46, 23, v57
	v_lshl_or_b32 v57, v3, 16, v46
.LBB318_281:                            ;   in Loop: Header=BB318_11 Depth=1
	s_or_b32 exec_lo, exec_lo, s42
.LBB318_282:                            ;   in Loop: Header=BB318_11 Depth=1
	s_or_b32 exec_lo, exec_lo, s41
.LBB318_283:                            ;   in Loop: Header=BB318_11 Depth=1
	s_or_b32 exec_lo, exec_lo, s2
	v_lshrrev_b32_e32 v3, 16, v11
	v_cmp_ne_u16_sdwa s1, v3, v4 src0_sel:BYTE_0 src1_sel:DWORD
	s_and_saveexec_b32 s2, s1
	s_cbranch_execz .LBB318_291
; %bb.284:                              ;   in Loop: Header=BB318_11 Depth=1
	v_cmp_ne_u16_sdwa s1, v3, v17 src0_sel:BYTE_0 src1_sel:DWORD
	v_mov_b32_e32 v58, 0x8000
	s_and_saveexec_b32 s41, s1
	s_cbranch_execz .LBB318_290
; %bb.285:                              ;   in Loop: Header=BB318_11 Depth=1
	v_bfe_u32 v61, v11, 16, 7
	v_mov_b32_e32 v58, 0x7c01
	s_mov_b32 s42, exec_lo
	v_cmpx_ne_u32_e32 0x7f, v61
	s_cbranch_execz .LBB318_289
; %bb.286:                              ;   in Loop: Header=BB318_11 Depth=1
	v_and_b32_e32 v58, 7, v3
	v_lshrrev_b32_e32 v60, 3, v61
	s_mov_b32 s43, exec_lo
	v_cmpx_gt_u32_e32 8, v61
; %bb.287:                              ;   in Loop: Header=BB318_11 Depth=1
	v_ffbh_u32_e32 v46, v58
	v_min_u32_e32 v46, 32, v46
	v_subrev_nc_u32_e32 v58, 28, v46
	v_sub_nc_u32_e32 v60, 29, v46
	v_lshlrev_b64 v[61:62], v58, v[3:4]
	v_and_b32_e32 v58, 7, v61
; %bb.288:                              ;   in Loop: Header=BB318_11 Depth=1
	s_or_b32 exec_lo, exec_lo, s43
	v_lshlrev_b32_e32 v3, 8, v3
	v_lshl_add_u32 v46, v60, 10, 0x2000
	v_lshlrev_b32_e32 v58, 7, v58
	v_and_b32_e32 v3, 0x8000, v3
	v_and_b32_e32 v46, 0xfc00, v46
	v_or3_b32 v58, v3, v46, v58
.LBB318_289:                            ;   in Loop: Header=BB318_11 Depth=1
	s_or_b32 exec_lo, exec_lo, s42
.LBB318_290:                            ;   in Loop: Header=BB318_11 Depth=1
	s_or_b32 exec_lo, exec_lo, s41
.LBB318_291:                            ;   in Loop: Header=BB318_11 Depth=1
	s_or_b32 exec_lo, exec_lo, s2
	v_mov_b32_e32 v60, 0
	v_mov_b32_e32 v61, 0
	s_mov_b32 s2, exec_lo
	v_cmpx_lt_u32_e32 0xffffff, v11
	s_cbranch_execz .LBB318_299
; %bb.292:                              ;   in Loop: Header=BB318_11 Depth=1
	v_lshrrev_b32_e32 v3, 24, v11
	v_bfrev_b32_e32 v61, 1
	s_mov_b32 s41, exec_lo
	v_cmpx_ne_u32_e32 0x80, v3
	s_cbranch_execz .LBB318_298
; %bb.293:                              ;   in Loop: Header=BB318_11 Depth=1
	v_and_b32_e32 v63, 0x7f, v3
	v_mov_b32_e32 v61, 0x7c010000
	s_mov_b32 s42, exec_lo
	v_cmpx_ne_u32_e32 0x7f, v63
	s_cbranch_execz .LBB318_297
; %bb.294:                              ;   in Loop: Header=BB318_11 Depth=1
	v_and_b32_e32 v61, 7, v3
	v_lshrrev_b32_e32 v62, 3, v63
	s_mov_b32 s43, exec_lo
	v_cmpx_gt_u32_e32 8, v63
; %bb.295:                              ;   in Loop: Header=BB318_11 Depth=1
	v_ffbh_u32_e32 v46, v61
	v_min_u32_e32 v46, 32, v46
	v_subrev_nc_u32_e32 v61, 28, v46
	v_lshlrev_b64 v[61:62], v61, v[3:4]
	v_sub_nc_u32_e32 v62, 29, v46
	v_and_b32_e32 v61, 7, v61
; %bb.296:                              ;   in Loop: Header=BB318_11 Depth=1
	s_or_b32 exec_lo, exec_lo, s43
	v_lshlrev_b32_e32 v3, 8, v3
	v_lshl_add_u32 v46, v62, 10, 0x2000
	v_and_or_b32 v3, 0x8000, v3, v46
	v_lshlrev_b32_e32 v46, 23, v61
	v_lshl_or_b32 v61, v3, 16, v46
.LBB318_297:                            ;   in Loop: Header=BB318_11 Depth=1
	s_or_b32 exec_lo, exec_lo, s42
.LBB318_298:                            ;   in Loop: Header=BB318_11 Depth=1
	s_or_b32 exec_lo, exec_lo, s41
.LBB318_299:                            ;   in Loop: Header=BB318_11 Depth=1
	s_or_b32 exec_lo, exec_lo, s2
	v_mov_b32_e32 v3, v12
	v_cmp_ne_u16_sdwa s1, v12, v4 src0_sel:BYTE_0 src1_sel:DWORD
	s_and_saveexec_b32 s2, s1
	s_cbranch_execz .LBB318_307
; %bb.300:                              ;   in Loop: Header=BB318_11 Depth=1
	v_cmp_ne_u16_sdwa s1, v12, v17 src0_sel:BYTE_0 src1_sel:DWORD
	v_mov_b32_e32 v60, 0x8000
	s_and_saveexec_b32 s41, s1
	s_cbranch_execz .LBB318_306
; %bb.301:                              ;   in Loop: Header=BB318_11 Depth=1
	v_and_b32_e32 v63, 0x7f, v12
	v_mov_b32_e32 v60, 0x7c01
	s_mov_b32 s42, exec_lo
	v_cmpx_ne_u32_e32 0x7f, v63
	s_cbranch_execz .LBB318_305
; %bb.302:                              ;   in Loop: Header=BB318_11 Depth=1
	v_and_b32_e32 v60, 7, v12
	v_lshrrev_b32_e32 v62, 3, v63
	s_mov_b32 s43, exec_lo
	v_cmpx_gt_u32_e32 8, v63
; %bb.303:                              ;   in Loop: Header=BB318_11 Depth=1
	v_ffbh_u32_e32 v46, v60
	v_min_u32_e32 v46, 32, v46
	v_subrev_nc_u32_e32 v60, 28, v46
	v_sub_nc_u32_e32 v62, 29, v46
	v_lshlrev_b64 v[63:64], v60, v[3:4]
	v_and_b32_e32 v60, 7, v63
; %bb.304:                              ;   in Loop: Header=BB318_11 Depth=1
	s_or_b32 exec_lo, exec_lo, s43
	v_lshlrev_b32_e32 v46, 8, v12
	v_lshl_add_u32 v62, v62, 10, 0x2000
	v_lshlrev_b32_e32 v60, 7, v60
	v_and_b32_e32 v46, 0x8000, v46
	v_and_b32_e32 v62, 0xfc00, v62
	v_or3_b32 v60, v46, v62, v60
.LBB318_305:                            ;   in Loop: Header=BB318_11 Depth=1
	s_or_b32 exec_lo, exec_lo, s42
.LBB318_306:                            ;   in Loop: Header=BB318_11 Depth=1
	s_or_b32 exec_lo, exec_lo, s41
.LBB318_307:                            ;   in Loop: Header=BB318_11 Depth=1
	s_or_b32 exec_lo, exec_lo, s2
	v_lshrrev_b16 v3, 8, v3
	v_mov_b32_e32 v64, 0
	v_mov_b32_e32 v63, 0
	s_mov_b32 s2, exec_lo
	v_cmpx_ne_u16_e32 0, v3
	s_cbranch_execz .LBB318_315
; %bb.308:                              ;   in Loop: Header=BB318_11 Depth=1
	v_bfrev_b32_e32 v63, 1
	s_mov_b32 s41, exec_lo
	v_cmpx_ne_u16_e32 0x80, v3
	s_cbranch_execz .LBB318_314
; %bb.309:                              ;   in Loop: Header=BB318_11 Depth=1
	v_and_b32_sdwa v65, v3, v20 dst_sel:DWORD dst_unused:UNUSED_PAD src0_sel:WORD_0 src1_sel:DWORD
	v_mov_b32_e32 v63, 0x7c010000
	s_mov_b32 s42, exec_lo
	v_cmpx_ne_u32_e32 0x7f, v65
	s_cbranch_execz .LBB318_313
; %bb.310:                              ;   in Loop: Header=BB318_11 Depth=1
	v_and_b32_sdwa v62, v3, v21 dst_sel:DWORD dst_unused:UNUSED_PAD src0_sel:WORD_0 src1_sel:DWORD
	v_lshrrev_b32_e32 v63, 3, v65
	s_mov_b32 s43, exec_lo
	v_cmpx_gt_u32_e32 8, v65
; %bb.311:                              ;   in Loop: Header=BB318_11 Depth=1
	v_ffbh_u32_e32 v46, v62
	v_min_u32_e32 v46, 32, v46
	v_subrev_nc_u32_e32 v62, 28, v46
	v_lshlrev_b64 v[62:63], v62, v[3:4]
	v_sub_nc_u32_e32 v63, 29, v46
	v_and_b32_e32 v62, 7, v62
; %bb.312:                              ;   in Loop: Header=BB318_11 Depth=1
	s_or_b32 exec_lo, exec_lo, s43
	v_lshlrev_b32_sdwa v3, v22, v3 dst_sel:DWORD dst_unused:UNUSED_PAD src0_sel:DWORD src1_sel:WORD_0
	v_lshl_add_u32 v46, v63, 10, 0x2000
	v_and_or_b32 v3, 0x8000, v3, v46
	v_lshlrev_b32_e32 v46, 23, v62
	v_lshl_or_b32 v63, v3, 16, v46
.LBB318_313:                            ;   in Loop: Header=BB318_11 Depth=1
	s_or_b32 exec_lo, exec_lo, s42
.LBB318_314:                            ;   in Loop: Header=BB318_11 Depth=1
	s_or_b32 exec_lo, exec_lo, s41
.LBB318_315:                            ;   in Loop: Header=BB318_11 Depth=1
	s_or_b32 exec_lo, exec_lo, s2
	v_lshrrev_b32_e32 v3, 16, v12
	v_cmp_ne_u16_sdwa s1, v3, v4 src0_sel:BYTE_0 src1_sel:DWORD
	s_and_saveexec_b32 s2, s1
	s_cbranch_execz .LBB318_323
; %bb.316:                              ;   in Loop: Header=BB318_11 Depth=1
	v_cmp_ne_u16_sdwa s1, v3, v17 src0_sel:BYTE_0 src1_sel:DWORD
	v_mov_b32_e32 v64, 0x8000
	s_and_saveexec_b32 s41, s1
	s_cbranch_execz .LBB318_322
; %bb.317:                              ;   in Loop: Header=BB318_11 Depth=1
	v_bfe_u32 v65, v12, 16, 7
	v_mov_b32_e32 v64, 0x7c01
	s_mov_b32 s42, exec_lo
	v_cmpx_ne_u32_e32 0x7f, v65
	s_cbranch_execz .LBB318_321
; %bb.318:                              ;   in Loop: Header=BB318_11 Depth=1
	v_and_b32_e32 v62, 7, v3
	v_lshrrev_b32_e32 v64, 3, v65
	s_mov_b32 s43, exec_lo
	v_cmpx_gt_u32_e32 8, v65
; %bb.319:                              ;   in Loop: Header=BB318_11 Depth=1
	v_ffbh_u32_e32 v46, v62
	v_min_u32_e32 v46, 32, v46
	v_subrev_nc_u32_e32 v62, 28, v46
	v_sub_nc_u32_e32 v64, 29, v46
	v_lshlrev_b64 v[65:66], v62, v[3:4]
	v_and_b32_e32 v62, 7, v65
; %bb.320:                              ;   in Loop: Header=BB318_11 Depth=1
	s_or_b32 exec_lo, exec_lo, s43
	v_lshlrev_b32_e32 v3, 8, v3
	v_lshl_add_u32 v46, v64, 10, 0x2000
	v_lshlrev_b32_e32 v62, 7, v62
	v_and_b32_e32 v3, 0x8000, v3
	v_and_b32_e32 v46, 0xfc00, v46
	v_or3_b32 v64, v3, v46, v62
.LBB318_321:                            ;   in Loop: Header=BB318_11 Depth=1
	s_or_b32 exec_lo, exec_lo, s42
.LBB318_322:                            ;   in Loop: Header=BB318_11 Depth=1
	s_or_b32 exec_lo, exec_lo, s41
.LBB318_323:                            ;   in Loop: Header=BB318_11 Depth=1
	s_or_b32 exec_lo, exec_lo, s2
	v_mov_b32_e32 v62, 0
	v_mov_b32_e32 v67, 0
	s_mov_b32 s2, exec_lo
	v_cmpx_lt_u64_e64 s[4:5], v[11:12]
	s_cbranch_execz .LBB318_331
; %bb.324:                              ;   in Loop: Header=BB318_11 Depth=1
	v_lshrrev_b32_e32 v3, 24, v12
	v_bfrev_b32_e32 v67, 1
	s_mov_b32 s41, exec_lo
	v_cmpx_ne_u32_e32 0x80, v3
	s_cbranch_execz .LBB318_330
; %bb.325:                              ;   in Loop: Header=BB318_11 Depth=1
	v_and_b32_e32 v65, 0x7f, v3
	v_mov_b32_e32 v67, 0x7c010000
	s_mov_b32 s42, exec_lo
	v_cmpx_ne_u32_e32 0x7f, v65
	s_cbranch_execz .LBB318_329
; %bb.326:                              ;   in Loop: Header=BB318_11 Depth=1
	v_and_b32_e32 v11, 7, v3
	v_lshrrev_b32_e32 v12, 3, v65
	s_mov_b32 s43, exec_lo
	v_cmpx_gt_u32_e32 8, v65
; %bb.327:                              ;   in Loop: Header=BB318_11 Depth=1
	v_ffbh_u32_e32 v11, v11
	v_min_u32_e32 v46, 32, v11
	v_subrev_nc_u32_e32 v11, 28, v46
	v_lshlrev_b64 v[11:12], v11, v[3:4]
	v_sub_nc_u32_e32 v12, 29, v46
	v_and_b32_e32 v11, 7, v11
; %bb.328:                              ;   in Loop: Header=BB318_11 Depth=1
	s_or_b32 exec_lo, exec_lo, s43
	v_lshlrev_b32_e32 v3, 8, v3
	v_lshl_add_u32 v12, v12, 10, 0x2000
	v_lshlrev_b32_e32 v11, 23, v11
	v_and_or_b32 v3, 0x8000, v3, v12
	v_lshl_or_b32 v67, v3, 16, v11
.LBB318_329:                            ;   in Loop: Header=BB318_11 Depth=1
	s_or_b32 exec_lo, exec_lo, s42
.LBB318_330:                            ;   in Loop: Header=BB318_11 Depth=1
	s_or_b32 exec_lo, exec_lo, s41
.LBB318_331:                            ;   in Loop: Header=BB318_11 Depth=1
	s_or_b32 exec_lo, exec_lo, s2
	global_load_dwordx2 v[11:12], v[9:10], off offset:1032
	s_waitcnt vmcnt(0)
	v_cmp_ne_u16_sdwa s1, v11, v4 src0_sel:BYTE_0 src1_sel:DWORD
	s_and_saveexec_b32 s2, s1
	s_cbranch_execz .LBB318_339
; %bb.332:                              ;   in Loop: Header=BB318_11 Depth=1
	v_cmp_ne_u16_sdwa s1, v11, v17 src0_sel:BYTE_0 src1_sel:DWORD
	v_mov_b32_e32 v62, 0x8000
	s_and_saveexec_b32 s41, s1
	s_cbranch_execz .LBB318_338
; %bb.333:                              ;   in Loop: Header=BB318_11 Depth=1
	v_and_b32_e32 v65, 0x7f, v11
	v_mov_b32_e32 v62, 0x7c01
	s_mov_b32 s42, exec_lo
	v_cmpx_ne_u32_e32 0x7f, v65
	s_cbranch_execz .LBB318_337
; %bb.334:                              ;   in Loop: Header=BB318_11 Depth=1
	v_and_b32_e32 v3, 7, v11
	v_lshrrev_b32_e32 v62, 3, v65
	s_mov_b32 s43, exec_lo
	v_cmpx_gt_u32_e32 8, v65
; %bb.335:                              ;   in Loop: Header=BB318_11 Depth=1
	v_ffbh_u32_e32 v3, v3
	v_min_u32_e32 v3, 32, v3
	v_subrev_nc_u32_e32 v46, 28, v3
	v_sub_nc_u32_e32 v62, 29, v3
	v_lshlrev_b64 v[65:66], v46, v[11:12]
	v_and_b32_e32 v3, 7, v65
; %bb.336:                              ;   in Loop: Header=BB318_11 Depth=1
	s_or_b32 exec_lo, exec_lo, s43
	v_lshlrev_b32_e32 v46, 8, v11
	v_lshl_add_u32 v62, v62, 10, 0x2000
	v_lshlrev_b32_e32 v3, 7, v3
	v_and_b32_e32 v46, 0x8000, v46
	v_and_b32_e32 v62, 0xfc00, v62
	v_or3_b32 v62, v46, v62, v3
.LBB318_337:                            ;   in Loop: Header=BB318_11 Depth=1
	s_or_b32 exec_lo, exec_lo, s42
.LBB318_338:                            ;   in Loop: Header=BB318_11 Depth=1
	s_or_b32 exec_lo, exec_lo, s41
.LBB318_339:                            ;   in Loop: Header=BB318_11 Depth=1
	s_or_b32 exec_lo, exec_lo, s2
	v_lshrrev_b16 v3, 8, v11
	v_mov_b32_e32 v66, 0
	v_mov_b32_e32 v65, 0
	s_mov_b32 s2, exec_lo
	v_cmpx_ne_u16_e32 0, v3
	s_cbranch_execz .LBB318_347
; %bb.340:                              ;   in Loop: Header=BB318_11 Depth=1
	v_bfrev_b32_e32 v65, 1
	s_mov_b32 s41, exec_lo
	v_cmpx_ne_u16_e32 0x80, v3
	s_cbranch_execz .LBB318_346
; %bb.341:                              ;   in Loop: Header=BB318_11 Depth=1
	v_and_b32_sdwa v69, v3, v20 dst_sel:DWORD dst_unused:UNUSED_PAD src0_sel:WORD_0 src1_sel:DWORD
	v_mov_b32_e32 v65, 0x7c010000
	s_mov_b32 s42, exec_lo
	v_cmpx_ne_u32_e32 0x7f, v69
	s_cbranch_execz .LBB318_345
; %bb.342:                              ;   in Loop: Header=BB318_11 Depth=1
	v_and_b32_sdwa v65, v3, v21 dst_sel:DWORD dst_unused:UNUSED_PAD src0_sel:WORD_0 src1_sel:DWORD
	v_lshrrev_b32_e32 v68, 3, v69
	s_mov_b32 s43, exec_lo
	v_cmpx_gt_u32_e32 8, v69
; %bb.343:                              ;   in Loop: Header=BB318_11 Depth=1
	v_ffbh_u32_e32 v46, v65
	v_min_u32_e32 v46, 32, v46
	v_subrev_nc_u32_e32 v65, 28, v46
	v_sub_nc_u32_e32 v68, 29, v46
	v_lshlrev_b64 v[69:70], v65, v[3:4]
	v_and_b32_e32 v65, 7, v69
; %bb.344:                              ;   in Loop: Header=BB318_11 Depth=1
	s_or_b32 exec_lo, exec_lo, s43
	v_lshlrev_b32_sdwa v3, v22, v3 dst_sel:DWORD dst_unused:UNUSED_PAD src0_sel:DWORD src1_sel:WORD_0
	v_lshl_add_u32 v46, v68, 10, 0x2000
	v_and_or_b32 v3, 0x8000, v3, v46
	v_lshlrev_b32_e32 v46, 23, v65
	v_lshl_or_b32 v65, v3, 16, v46
.LBB318_345:                            ;   in Loop: Header=BB318_11 Depth=1
	s_or_b32 exec_lo, exec_lo, s42
.LBB318_346:                            ;   in Loop: Header=BB318_11 Depth=1
	s_or_b32 exec_lo, exec_lo, s41
.LBB318_347:                            ;   in Loop: Header=BB318_11 Depth=1
	s_or_b32 exec_lo, exec_lo, s2
	v_lshrrev_b32_e32 v3, 16, v11
	v_cmp_ne_u16_sdwa s1, v3, v4 src0_sel:BYTE_0 src1_sel:DWORD
	s_and_saveexec_b32 s2, s1
	s_cbranch_execz .LBB318_355
; %bb.348:                              ;   in Loop: Header=BB318_11 Depth=1
	v_cmp_ne_u16_sdwa s1, v3, v17 src0_sel:BYTE_0 src1_sel:DWORD
	v_mov_b32_e32 v66, 0x8000
	s_and_saveexec_b32 s41, s1
	s_cbranch_execz .LBB318_354
; %bb.349:                              ;   in Loop: Header=BB318_11 Depth=1
	v_bfe_u32 v69, v11, 16, 7
	v_mov_b32_e32 v66, 0x7c01
	s_mov_b32 s42, exec_lo
	v_cmpx_ne_u32_e32 0x7f, v69
	s_cbranch_execz .LBB318_353
; %bb.350:                              ;   in Loop: Header=BB318_11 Depth=1
	v_and_b32_e32 v66, 7, v3
	v_lshrrev_b32_e32 v68, 3, v69
	s_mov_b32 s43, exec_lo
	v_cmpx_gt_u32_e32 8, v69
; %bb.351:                              ;   in Loop: Header=BB318_11 Depth=1
	v_ffbh_u32_e32 v46, v66
	v_min_u32_e32 v46, 32, v46
	v_subrev_nc_u32_e32 v66, 28, v46
	v_sub_nc_u32_e32 v68, 29, v46
	v_lshlrev_b64 v[69:70], v66, v[3:4]
	v_and_b32_e32 v66, 7, v69
; %bb.352:                              ;   in Loop: Header=BB318_11 Depth=1
	s_or_b32 exec_lo, exec_lo, s43
	v_lshlrev_b32_e32 v3, 8, v3
	v_lshl_add_u32 v46, v68, 10, 0x2000
	v_lshlrev_b32_e32 v66, 7, v66
	v_and_b32_e32 v3, 0x8000, v3
	v_and_b32_e32 v46, 0xfc00, v46
	v_or3_b32 v66, v3, v46, v66
.LBB318_353:                            ;   in Loop: Header=BB318_11 Depth=1
	s_or_b32 exec_lo, exec_lo, s42
.LBB318_354:                            ;   in Loop: Header=BB318_11 Depth=1
	s_or_b32 exec_lo, exec_lo, s41
.LBB318_355:                            ;   in Loop: Header=BB318_11 Depth=1
	s_or_b32 exec_lo, exec_lo, s2
	v_mov_b32_e32 v68, 0
	v_mov_b32_e32 v69, 0
	s_mov_b32 s2, exec_lo
	v_cmpx_lt_u32_e32 0xffffff, v11
	s_cbranch_execz .LBB318_363
; %bb.356:                              ;   in Loop: Header=BB318_11 Depth=1
	v_lshrrev_b32_e32 v3, 24, v11
	v_bfrev_b32_e32 v69, 1
	s_mov_b32 s41, exec_lo
	v_cmpx_ne_u32_e32 0x80, v3
	s_cbranch_execz .LBB318_362
; %bb.357:                              ;   in Loop: Header=BB318_11 Depth=1
	v_and_b32_e32 v71, 0x7f, v3
	v_mov_b32_e32 v69, 0x7c010000
	s_mov_b32 s42, exec_lo
	v_cmpx_ne_u32_e32 0x7f, v71
	s_cbranch_execz .LBB318_361
; %bb.358:                              ;   in Loop: Header=BB318_11 Depth=1
	v_and_b32_e32 v69, 7, v3
	v_lshrrev_b32_e32 v70, 3, v71
	s_mov_b32 s43, exec_lo
	v_cmpx_gt_u32_e32 8, v71
; %bb.359:                              ;   in Loop: Header=BB318_11 Depth=1
	v_ffbh_u32_e32 v46, v69
	v_min_u32_e32 v46, 32, v46
	v_subrev_nc_u32_e32 v69, 28, v46
	v_lshlrev_b64 v[69:70], v69, v[3:4]
	v_sub_nc_u32_e32 v70, 29, v46
	v_and_b32_e32 v69, 7, v69
; %bb.360:                              ;   in Loop: Header=BB318_11 Depth=1
	s_or_b32 exec_lo, exec_lo, s43
	v_lshlrev_b32_e32 v3, 8, v3
	v_lshl_add_u32 v46, v70, 10, 0x2000
	v_and_or_b32 v3, 0x8000, v3, v46
	v_lshlrev_b32_e32 v46, 23, v69
	v_lshl_or_b32 v69, v3, 16, v46
.LBB318_361:                            ;   in Loop: Header=BB318_11 Depth=1
	s_or_b32 exec_lo, exec_lo, s42
.LBB318_362:                            ;   in Loop: Header=BB318_11 Depth=1
	s_or_b32 exec_lo, exec_lo, s41
.LBB318_363:                            ;   in Loop: Header=BB318_11 Depth=1
	s_or_b32 exec_lo, exec_lo, s2
	v_mov_b32_e32 v3, v12
	v_cmp_ne_u16_sdwa s1, v12, v4 src0_sel:BYTE_0 src1_sel:DWORD
	s_and_saveexec_b32 s2, s1
	s_cbranch_execz .LBB318_371
; %bb.364:                              ;   in Loop: Header=BB318_11 Depth=1
	v_cmp_ne_u16_sdwa s1, v12, v17 src0_sel:BYTE_0 src1_sel:DWORD
	v_mov_b32_e32 v68, 0x8000
	s_and_saveexec_b32 s41, s1
	s_cbranch_execz .LBB318_370
; %bb.365:                              ;   in Loop: Header=BB318_11 Depth=1
	v_and_b32_e32 v71, 0x7f, v12
	v_mov_b32_e32 v68, 0x7c01
	s_mov_b32 s42, exec_lo
	v_cmpx_ne_u32_e32 0x7f, v71
	s_cbranch_execz .LBB318_369
; %bb.366:                              ;   in Loop: Header=BB318_11 Depth=1
	v_and_b32_e32 v68, 7, v12
	v_lshrrev_b32_e32 v70, 3, v71
	s_mov_b32 s43, exec_lo
	v_cmpx_gt_u32_e32 8, v71
; %bb.367:                              ;   in Loop: Header=BB318_11 Depth=1
	v_ffbh_u32_e32 v46, v68
	v_min_u32_e32 v46, 32, v46
	v_subrev_nc_u32_e32 v68, 28, v46
	v_sub_nc_u32_e32 v70, 29, v46
	v_lshlrev_b64 v[71:72], v68, v[3:4]
	v_and_b32_e32 v68, 7, v71
; %bb.368:                              ;   in Loop: Header=BB318_11 Depth=1
	s_or_b32 exec_lo, exec_lo, s43
	v_lshlrev_b32_e32 v46, 8, v12
	v_lshl_add_u32 v70, v70, 10, 0x2000
	v_lshlrev_b32_e32 v68, 7, v68
	v_and_b32_e32 v46, 0x8000, v46
	v_and_b32_e32 v70, 0xfc00, v70
	v_or3_b32 v68, v46, v70, v68
.LBB318_369:                            ;   in Loop: Header=BB318_11 Depth=1
	s_or_b32 exec_lo, exec_lo, s42
.LBB318_370:                            ;   in Loop: Header=BB318_11 Depth=1
	s_or_b32 exec_lo, exec_lo, s41
.LBB318_371:                            ;   in Loop: Header=BB318_11 Depth=1
	s_or_b32 exec_lo, exec_lo, s2
	v_lshrrev_b16 v3, 8, v3
	v_mov_b32_e32 v72, 0
	v_mov_b32_e32 v71, 0
	s_mov_b32 s2, exec_lo
	v_cmpx_ne_u16_e32 0, v3
	s_cbranch_execz .LBB318_379
; %bb.372:                              ;   in Loop: Header=BB318_11 Depth=1
	v_bfrev_b32_e32 v71, 1
	s_mov_b32 s41, exec_lo
	v_cmpx_ne_u16_e32 0x80, v3
	s_cbranch_execz .LBB318_378
; %bb.373:                              ;   in Loop: Header=BB318_11 Depth=1
	v_and_b32_sdwa v73, v3, v20 dst_sel:DWORD dst_unused:UNUSED_PAD src0_sel:WORD_0 src1_sel:DWORD
	v_mov_b32_e32 v71, 0x7c010000
	s_mov_b32 s42, exec_lo
	v_cmpx_ne_u32_e32 0x7f, v73
	s_cbranch_execz .LBB318_377
; %bb.374:                              ;   in Loop: Header=BB318_11 Depth=1
	v_and_b32_sdwa v70, v3, v21 dst_sel:DWORD dst_unused:UNUSED_PAD src0_sel:WORD_0 src1_sel:DWORD
	v_lshrrev_b32_e32 v71, 3, v73
	s_mov_b32 s43, exec_lo
	v_cmpx_gt_u32_e32 8, v73
; %bb.375:                              ;   in Loop: Header=BB318_11 Depth=1
	v_ffbh_u32_e32 v46, v70
	v_min_u32_e32 v46, 32, v46
	v_subrev_nc_u32_e32 v70, 28, v46
	v_lshlrev_b64 v[70:71], v70, v[3:4]
	v_sub_nc_u32_e32 v71, 29, v46
	v_and_b32_e32 v70, 7, v70
; %bb.376:                              ;   in Loop: Header=BB318_11 Depth=1
	s_or_b32 exec_lo, exec_lo, s43
	v_lshlrev_b32_sdwa v3, v22, v3 dst_sel:DWORD dst_unused:UNUSED_PAD src0_sel:DWORD src1_sel:WORD_0
	v_lshl_add_u32 v46, v71, 10, 0x2000
	v_and_or_b32 v3, 0x8000, v3, v46
	v_lshlrev_b32_e32 v46, 23, v70
	v_lshl_or_b32 v71, v3, 16, v46
.LBB318_377:                            ;   in Loop: Header=BB318_11 Depth=1
	s_or_b32 exec_lo, exec_lo, s42
.LBB318_378:                            ;   in Loop: Header=BB318_11 Depth=1
	s_or_b32 exec_lo, exec_lo, s41
.LBB318_379:                            ;   in Loop: Header=BB318_11 Depth=1
	s_or_b32 exec_lo, exec_lo, s2
	v_lshrrev_b32_e32 v3, 16, v12
	v_cmp_ne_u16_sdwa s1, v3, v4 src0_sel:BYTE_0 src1_sel:DWORD
	s_and_saveexec_b32 s2, s1
	s_cbranch_execz .LBB318_387
; %bb.380:                              ;   in Loop: Header=BB318_11 Depth=1
	v_cmp_ne_u16_sdwa s1, v3, v17 src0_sel:BYTE_0 src1_sel:DWORD
	v_mov_b32_e32 v72, 0x8000
	s_and_saveexec_b32 s41, s1
	s_cbranch_execz .LBB318_386
; %bb.381:                              ;   in Loop: Header=BB318_11 Depth=1
	v_bfe_u32 v73, v12, 16, 7
	v_mov_b32_e32 v72, 0x7c01
	s_mov_b32 s42, exec_lo
	v_cmpx_ne_u32_e32 0x7f, v73
	s_cbranch_execz .LBB318_385
; %bb.382:                              ;   in Loop: Header=BB318_11 Depth=1
	v_and_b32_e32 v70, 7, v3
	v_lshrrev_b32_e32 v72, 3, v73
	s_mov_b32 s43, exec_lo
	v_cmpx_gt_u32_e32 8, v73
; %bb.383:                              ;   in Loop: Header=BB318_11 Depth=1
	v_ffbh_u32_e32 v46, v70
	v_min_u32_e32 v46, 32, v46
	v_subrev_nc_u32_e32 v70, 28, v46
	v_sub_nc_u32_e32 v72, 29, v46
	v_lshlrev_b64 v[73:74], v70, v[3:4]
	v_and_b32_e32 v70, 7, v73
; %bb.384:                              ;   in Loop: Header=BB318_11 Depth=1
	s_or_b32 exec_lo, exec_lo, s43
	v_lshlrev_b32_e32 v3, 8, v3
	v_lshl_add_u32 v46, v72, 10, 0x2000
	v_lshlrev_b32_e32 v70, 7, v70
	v_and_b32_e32 v3, 0x8000, v3
	v_and_b32_e32 v46, 0xfc00, v46
	v_or3_b32 v72, v3, v46, v70
.LBB318_385:                            ;   in Loop: Header=BB318_11 Depth=1
	s_or_b32 exec_lo, exec_lo, s42
.LBB318_386:                            ;   in Loop: Header=BB318_11 Depth=1
	s_or_b32 exec_lo, exec_lo, s41
.LBB318_387:                            ;   in Loop: Header=BB318_11 Depth=1
	s_or_b32 exec_lo, exec_lo, s2
	v_mov_b32_e32 v70, 0
	v_mov_b32_e32 v75, 0
	s_mov_b32 s2, exec_lo
	v_cmpx_lt_u64_e64 s[4:5], v[11:12]
	s_cbranch_execz .LBB318_395
; %bb.388:                              ;   in Loop: Header=BB318_11 Depth=1
	v_lshrrev_b32_e32 v3, 24, v12
	v_bfrev_b32_e32 v75, 1
	s_mov_b32 s41, exec_lo
	v_cmpx_ne_u32_e32 0x80, v3
	s_cbranch_execz .LBB318_394
; %bb.389:                              ;   in Loop: Header=BB318_11 Depth=1
	v_and_b32_e32 v73, 0x7f, v3
	v_mov_b32_e32 v75, 0x7c010000
	s_mov_b32 s42, exec_lo
	v_cmpx_ne_u32_e32 0x7f, v73
	s_cbranch_execz .LBB318_393
; %bb.390:                              ;   in Loop: Header=BB318_11 Depth=1
	v_and_b32_e32 v11, 7, v3
	v_lshrrev_b32_e32 v12, 3, v73
	s_mov_b32 s43, exec_lo
	v_cmpx_gt_u32_e32 8, v73
; %bb.391:                              ;   in Loop: Header=BB318_11 Depth=1
	v_ffbh_u32_e32 v11, v11
	v_min_u32_e32 v46, 32, v11
	v_subrev_nc_u32_e32 v11, 28, v46
	v_lshlrev_b64 v[11:12], v11, v[3:4]
	v_sub_nc_u32_e32 v12, 29, v46
	v_and_b32_e32 v11, 7, v11
; %bb.392:                              ;   in Loop: Header=BB318_11 Depth=1
	s_or_b32 exec_lo, exec_lo, s43
	v_lshlrev_b32_e32 v3, 8, v3
	v_lshl_add_u32 v12, v12, 10, 0x2000
	v_lshlrev_b32_e32 v11, 23, v11
	v_and_or_b32 v3, 0x8000, v3, v12
	v_lshl_or_b32 v75, v3, 16, v11
.LBB318_393:                            ;   in Loop: Header=BB318_11 Depth=1
	s_or_b32 exec_lo, exec_lo, s42
.LBB318_394:                            ;   in Loop: Header=BB318_11 Depth=1
	s_or_b32 exec_lo, exec_lo, s41
.LBB318_395:                            ;   in Loop: Header=BB318_11 Depth=1
	s_or_b32 exec_lo, exec_lo, s2
	global_load_dwordx2 v[11:12], v[9:10], off offset:1536
	s_waitcnt vmcnt(0)
	v_cmp_ne_u16_sdwa s1, v11, v4 src0_sel:BYTE_0 src1_sel:DWORD
	s_and_saveexec_b32 s2, s1
	s_cbranch_execz .LBB318_403
; %bb.396:                              ;   in Loop: Header=BB318_11 Depth=1
	v_cmp_ne_u16_sdwa s1, v11, v17 src0_sel:BYTE_0 src1_sel:DWORD
	v_mov_b32_e32 v70, 0x8000
	s_and_saveexec_b32 s41, s1
	s_cbranch_execz .LBB318_402
; %bb.397:                              ;   in Loop: Header=BB318_11 Depth=1
	v_and_b32_e32 v73, 0x7f, v11
	v_mov_b32_e32 v70, 0x7c01
	s_mov_b32 s42, exec_lo
	v_cmpx_ne_u32_e32 0x7f, v73
	s_cbranch_execz .LBB318_401
; %bb.398:                              ;   in Loop: Header=BB318_11 Depth=1
	v_and_b32_e32 v3, 7, v11
	v_lshrrev_b32_e32 v70, 3, v73
	s_mov_b32 s43, exec_lo
	v_cmpx_gt_u32_e32 8, v73
; %bb.399:                              ;   in Loop: Header=BB318_11 Depth=1
	v_ffbh_u32_e32 v3, v3
	v_min_u32_e32 v3, 32, v3
	v_subrev_nc_u32_e32 v46, 28, v3
	v_sub_nc_u32_e32 v70, 29, v3
	v_lshlrev_b64 v[73:74], v46, v[11:12]
	v_and_b32_e32 v3, 7, v73
; %bb.400:                              ;   in Loop: Header=BB318_11 Depth=1
	s_or_b32 exec_lo, exec_lo, s43
	v_lshlrev_b32_e32 v46, 8, v11
	v_lshl_add_u32 v70, v70, 10, 0x2000
	v_lshlrev_b32_e32 v3, 7, v3
	v_and_b32_e32 v46, 0x8000, v46
	v_and_b32_e32 v70, 0xfc00, v70
	v_or3_b32 v70, v46, v70, v3
.LBB318_401:                            ;   in Loop: Header=BB318_11 Depth=1
	s_or_b32 exec_lo, exec_lo, s42
.LBB318_402:                            ;   in Loop: Header=BB318_11 Depth=1
	s_or_b32 exec_lo, exec_lo, s41
.LBB318_403:                            ;   in Loop: Header=BB318_11 Depth=1
	s_or_b32 exec_lo, exec_lo, s2
	v_lshrrev_b16 v3, 8, v11
	v_mov_b32_e32 v74, 0
	v_mov_b32_e32 v73, 0
	s_mov_b32 s2, exec_lo
	v_cmpx_ne_u16_e32 0, v3
	s_cbranch_execz .LBB318_411
; %bb.404:                              ;   in Loop: Header=BB318_11 Depth=1
	v_bfrev_b32_e32 v73, 1
	s_mov_b32 s41, exec_lo
	v_cmpx_ne_u16_e32 0x80, v3
	s_cbranch_execz .LBB318_410
; %bb.405:                              ;   in Loop: Header=BB318_11 Depth=1
	v_and_b32_sdwa v77, v3, v20 dst_sel:DWORD dst_unused:UNUSED_PAD src0_sel:WORD_0 src1_sel:DWORD
	v_mov_b32_e32 v73, 0x7c010000
	s_mov_b32 s42, exec_lo
	v_cmpx_ne_u32_e32 0x7f, v77
	s_cbranch_execz .LBB318_409
; %bb.406:                              ;   in Loop: Header=BB318_11 Depth=1
	v_and_b32_sdwa v73, v3, v21 dst_sel:DWORD dst_unused:UNUSED_PAD src0_sel:WORD_0 src1_sel:DWORD
	v_lshrrev_b32_e32 v76, 3, v77
	s_mov_b32 s43, exec_lo
	v_cmpx_gt_u32_e32 8, v77
; %bb.407:                              ;   in Loop: Header=BB318_11 Depth=1
	v_ffbh_u32_e32 v46, v73
	v_min_u32_e32 v46, 32, v46
	v_subrev_nc_u32_e32 v73, 28, v46
	v_sub_nc_u32_e32 v76, 29, v46
	v_lshlrev_b64 v[77:78], v73, v[3:4]
	v_and_b32_e32 v73, 7, v77
; %bb.408:                              ;   in Loop: Header=BB318_11 Depth=1
	s_or_b32 exec_lo, exec_lo, s43
	v_lshlrev_b32_sdwa v3, v22, v3 dst_sel:DWORD dst_unused:UNUSED_PAD src0_sel:DWORD src1_sel:WORD_0
	v_lshl_add_u32 v46, v76, 10, 0x2000
	v_and_or_b32 v3, 0x8000, v3, v46
	v_lshlrev_b32_e32 v46, 23, v73
	v_lshl_or_b32 v73, v3, 16, v46
.LBB318_409:                            ;   in Loop: Header=BB318_11 Depth=1
	s_or_b32 exec_lo, exec_lo, s42
.LBB318_410:                            ;   in Loop: Header=BB318_11 Depth=1
	s_or_b32 exec_lo, exec_lo, s41
.LBB318_411:                            ;   in Loop: Header=BB318_11 Depth=1
	s_or_b32 exec_lo, exec_lo, s2
	v_lshrrev_b32_e32 v3, 16, v11
	v_cmp_ne_u16_sdwa s1, v3, v4 src0_sel:BYTE_0 src1_sel:DWORD
	s_and_saveexec_b32 s2, s1
	s_cbranch_execz .LBB318_419
; %bb.412:                              ;   in Loop: Header=BB318_11 Depth=1
	v_cmp_ne_u16_sdwa s1, v3, v17 src0_sel:BYTE_0 src1_sel:DWORD
	v_mov_b32_e32 v74, 0x8000
	s_and_saveexec_b32 s41, s1
	s_cbranch_execz .LBB318_418
; %bb.413:                              ;   in Loop: Header=BB318_11 Depth=1
	v_bfe_u32 v77, v11, 16, 7
	v_mov_b32_e32 v74, 0x7c01
	s_mov_b32 s42, exec_lo
	v_cmpx_ne_u32_e32 0x7f, v77
	s_cbranch_execz .LBB318_417
; %bb.414:                              ;   in Loop: Header=BB318_11 Depth=1
	v_and_b32_e32 v74, 7, v3
	v_lshrrev_b32_e32 v76, 3, v77
	s_mov_b32 s43, exec_lo
	v_cmpx_gt_u32_e32 8, v77
; %bb.415:                              ;   in Loop: Header=BB318_11 Depth=1
	v_ffbh_u32_e32 v46, v74
	v_min_u32_e32 v46, 32, v46
	v_subrev_nc_u32_e32 v74, 28, v46
	v_sub_nc_u32_e32 v76, 29, v46
	v_lshlrev_b64 v[77:78], v74, v[3:4]
	v_and_b32_e32 v74, 7, v77
; %bb.416:                              ;   in Loop: Header=BB318_11 Depth=1
	s_or_b32 exec_lo, exec_lo, s43
	v_lshlrev_b32_e32 v3, 8, v3
	v_lshl_add_u32 v46, v76, 10, 0x2000
	v_lshlrev_b32_e32 v74, 7, v74
	v_and_b32_e32 v3, 0x8000, v3
	v_and_b32_e32 v46, 0xfc00, v46
	v_or3_b32 v74, v3, v46, v74
.LBB318_417:                            ;   in Loop: Header=BB318_11 Depth=1
	s_or_b32 exec_lo, exec_lo, s42
.LBB318_418:                            ;   in Loop: Header=BB318_11 Depth=1
	s_or_b32 exec_lo, exec_lo, s41
.LBB318_419:                            ;   in Loop: Header=BB318_11 Depth=1
	s_or_b32 exec_lo, exec_lo, s2
	v_mov_b32_e32 v76, 0
	v_mov_b32_e32 v77, 0
	s_mov_b32 s2, exec_lo
	v_cmpx_lt_u32_e32 0xffffff, v11
	s_cbranch_execz .LBB318_427
; %bb.420:                              ;   in Loop: Header=BB318_11 Depth=1
	v_lshrrev_b32_e32 v3, 24, v11
	v_bfrev_b32_e32 v77, 1
	s_mov_b32 s41, exec_lo
	v_cmpx_ne_u32_e32 0x80, v3
	s_cbranch_execz .LBB318_426
; %bb.421:                              ;   in Loop: Header=BB318_11 Depth=1
	v_and_b32_e32 v79, 0x7f, v3
	v_mov_b32_e32 v77, 0x7c010000
	s_mov_b32 s42, exec_lo
	v_cmpx_ne_u32_e32 0x7f, v79
	s_cbranch_execz .LBB318_425
; %bb.422:                              ;   in Loop: Header=BB318_11 Depth=1
	v_and_b32_e32 v77, 7, v3
	v_lshrrev_b32_e32 v78, 3, v79
	s_mov_b32 s43, exec_lo
	v_cmpx_gt_u32_e32 8, v79
; %bb.423:                              ;   in Loop: Header=BB318_11 Depth=1
	v_ffbh_u32_e32 v46, v77
	v_min_u32_e32 v46, 32, v46
	v_subrev_nc_u32_e32 v77, 28, v46
	v_lshlrev_b64 v[77:78], v77, v[3:4]
	v_sub_nc_u32_e32 v78, 29, v46
	v_and_b32_e32 v77, 7, v77
; %bb.424:                              ;   in Loop: Header=BB318_11 Depth=1
	s_or_b32 exec_lo, exec_lo, s43
	v_lshlrev_b32_e32 v3, 8, v3
	v_lshl_add_u32 v46, v78, 10, 0x2000
	v_and_or_b32 v3, 0x8000, v3, v46
	v_lshlrev_b32_e32 v46, 23, v77
	v_lshl_or_b32 v77, v3, 16, v46
.LBB318_425:                            ;   in Loop: Header=BB318_11 Depth=1
	s_or_b32 exec_lo, exec_lo, s42
.LBB318_426:                            ;   in Loop: Header=BB318_11 Depth=1
	s_or_b32 exec_lo, exec_lo, s41
.LBB318_427:                            ;   in Loop: Header=BB318_11 Depth=1
	s_or_b32 exec_lo, exec_lo, s2
	v_mov_b32_e32 v3, v12
	v_cmp_ne_u16_sdwa s1, v12, v4 src0_sel:BYTE_0 src1_sel:DWORD
	s_and_saveexec_b32 s2, s1
	s_cbranch_execz .LBB318_435
; %bb.428:                              ;   in Loop: Header=BB318_11 Depth=1
	v_cmp_ne_u16_sdwa s1, v12, v17 src0_sel:BYTE_0 src1_sel:DWORD
	v_mov_b32_e32 v76, 0x8000
	s_and_saveexec_b32 s41, s1
	s_cbranch_execz .LBB318_434
; %bb.429:                              ;   in Loop: Header=BB318_11 Depth=1
	v_and_b32_e32 v79, 0x7f, v12
	v_mov_b32_e32 v76, 0x7c01
	s_mov_b32 s42, exec_lo
	v_cmpx_ne_u32_e32 0x7f, v79
	s_cbranch_execz .LBB318_433
; %bb.430:                              ;   in Loop: Header=BB318_11 Depth=1
	v_and_b32_e32 v76, 7, v12
	v_lshrrev_b32_e32 v78, 3, v79
	s_mov_b32 s43, exec_lo
	v_cmpx_gt_u32_e32 8, v79
; %bb.431:                              ;   in Loop: Header=BB318_11 Depth=1
	v_ffbh_u32_e32 v46, v76
	v_min_u32_e32 v46, 32, v46
	v_subrev_nc_u32_e32 v76, 28, v46
	v_sub_nc_u32_e32 v78, 29, v46
	v_lshlrev_b64 v[79:80], v76, v[3:4]
	v_and_b32_e32 v76, 7, v79
; %bb.432:                              ;   in Loop: Header=BB318_11 Depth=1
	s_or_b32 exec_lo, exec_lo, s43
	v_lshlrev_b32_e32 v46, 8, v12
	v_lshl_add_u32 v78, v78, 10, 0x2000
	v_lshlrev_b32_e32 v76, 7, v76
	v_and_b32_e32 v46, 0x8000, v46
	v_and_b32_e32 v78, 0xfc00, v78
	v_or3_b32 v76, v46, v78, v76
.LBB318_433:                            ;   in Loop: Header=BB318_11 Depth=1
	s_or_b32 exec_lo, exec_lo, s42
.LBB318_434:                            ;   in Loop: Header=BB318_11 Depth=1
	s_or_b32 exec_lo, exec_lo, s41
.LBB318_435:                            ;   in Loop: Header=BB318_11 Depth=1
	s_or_b32 exec_lo, exec_lo, s2
	v_lshrrev_b16 v3, 8, v3
	v_mov_b32_e32 v79, 0
	v_mov_b32_e32 v78, 0
	s_mov_b32 s2, exec_lo
	v_cmpx_ne_u16_e32 0, v3
	s_cbranch_execz .LBB318_443
; %bb.436:                              ;   in Loop: Header=BB318_11 Depth=1
	v_bfrev_b32_e32 v78, 1
	s_mov_b32 s41, exec_lo
	v_cmpx_ne_u16_e32 0x80, v3
	s_cbranch_execz .LBB318_442
; %bb.437:                              ;   in Loop: Header=BB318_11 Depth=1
	v_and_b32_sdwa v81, v3, v20 dst_sel:DWORD dst_unused:UNUSED_PAD src0_sel:WORD_0 src1_sel:DWORD
	v_mov_b32_e32 v78, 0x7c010000
	s_mov_b32 s42, exec_lo
	v_cmpx_ne_u32_e32 0x7f, v81
	s_cbranch_execz .LBB318_441
; %bb.438:                              ;   in Loop: Header=BB318_11 Depth=1
	v_and_b32_sdwa v78, v3, v21 dst_sel:DWORD dst_unused:UNUSED_PAD src0_sel:WORD_0 src1_sel:DWORD
	v_lshrrev_b32_e32 v80, 3, v81
	s_mov_b32 s43, exec_lo
	v_cmpx_gt_u32_e32 8, v81
; %bb.439:                              ;   in Loop: Header=BB318_11 Depth=1
	v_ffbh_u32_e32 v46, v78
	v_min_u32_e32 v46, 32, v46
	v_subrev_nc_u32_e32 v78, 28, v46
	v_sub_nc_u32_e32 v80, 29, v46
	v_lshlrev_b64 v[81:82], v78, v[3:4]
	v_and_b32_e32 v78, 7, v81
; %bb.440:                              ;   in Loop: Header=BB318_11 Depth=1
	s_or_b32 exec_lo, exec_lo, s43
	v_lshlrev_b32_sdwa v3, v22, v3 dst_sel:DWORD dst_unused:UNUSED_PAD src0_sel:DWORD src1_sel:WORD_0
	v_lshl_add_u32 v46, v80, 10, 0x2000
	v_and_or_b32 v3, 0x8000, v3, v46
	v_lshlrev_b32_e32 v46, 23, v78
	v_lshl_or_b32 v78, v3, 16, v46
.LBB318_441:                            ;   in Loop: Header=BB318_11 Depth=1
	s_or_b32 exec_lo, exec_lo, s42
.LBB318_442:                            ;   in Loop: Header=BB318_11 Depth=1
	s_or_b32 exec_lo, exec_lo, s41
.LBB318_443:                            ;   in Loop: Header=BB318_11 Depth=1
	s_or_b32 exec_lo, exec_lo, s2
	v_lshrrev_b32_e32 v3, 16, v12
	v_cmp_ne_u16_sdwa s1, v3, v4 src0_sel:BYTE_0 src1_sel:DWORD
	s_and_saveexec_b32 s2, s1
	s_cbranch_execz .LBB318_451
; %bb.444:                              ;   in Loop: Header=BB318_11 Depth=1
	v_cmp_ne_u16_sdwa s1, v3, v17 src0_sel:BYTE_0 src1_sel:DWORD
	v_mov_b32_e32 v79, 0x8000
	s_and_saveexec_b32 s41, s1
	s_cbranch_execz .LBB318_450
; %bb.445:                              ;   in Loop: Header=BB318_11 Depth=1
	v_bfe_u32 v81, v12, 16, 7
	v_mov_b32_e32 v79, 0x7c01
	s_mov_b32 s42, exec_lo
	v_cmpx_ne_u32_e32 0x7f, v81
	s_cbranch_execz .LBB318_449
; %bb.446:                              ;   in Loop: Header=BB318_11 Depth=1
	v_and_b32_e32 v79, 7, v3
	v_lshrrev_b32_e32 v80, 3, v81
	s_mov_b32 s43, exec_lo
	v_cmpx_gt_u32_e32 8, v81
; %bb.447:                              ;   in Loop: Header=BB318_11 Depth=1
	v_ffbh_u32_e32 v46, v79
	v_min_u32_e32 v46, 32, v46
	v_subrev_nc_u32_e32 v79, 28, v46
	v_lshlrev_b64 v[79:80], v79, v[3:4]
	v_sub_nc_u32_e32 v80, 29, v46
	v_and_b32_e32 v79, 7, v79
; %bb.448:                              ;   in Loop: Header=BB318_11 Depth=1
	s_or_b32 exec_lo, exec_lo, s43
	v_lshlrev_b32_e32 v3, 8, v3
	v_lshl_add_u32 v46, v80, 10, 0x2000
	v_lshlrev_b32_e32 v79, 7, v79
	v_and_b32_e32 v3, 0x8000, v3
	v_and_b32_e32 v46, 0xfc00, v46
	v_or3_b32 v79, v3, v46, v79
.LBB318_449:                            ;   in Loop: Header=BB318_11 Depth=1
	s_or_b32 exec_lo, exec_lo, s42
.LBB318_450:                            ;   in Loop: Header=BB318_11 Depth=1
	s_or_b32 exec_lo, exec_lo, s41
.LBB318_451:                            ;   in Loop: Header=BB318_11 Depth=1
	s_or_b32 exec_lo, exec_lo, s2
	v_mov_b32_e32 v82, 0
	v_mov_b32_e32 v80, 0
	s_mov_b32 s2, exec_lo
	v_cmpx_lt_u64_e64 s[4:5], v[11:12]
	s_cbranch_execz .LBB318_459
; %bb.452:                              ;   in Loop: Header=BB318_11 Depth=1
	v_lshrrev_b32_e32 v3, 24, v12
	v_bfrev_b32_e32 v80, 1
	s_mov_b32 s41, exec_lo
	v_cmpx_ne_u32_e32 0x80, v3
	s_cbranch_execz .LBB318_458
; %bb.453:                              ;   in Loop: Header=BB318_11 Depth=1
	v_and_b32_e32 v81, 0x7f, v3
	v_mov_b32_e32 v80, 0x7c010000
	s_mov_b32 s42, exec_lo
	v_cmpx_ne_u32_e32 0x7f, v81
	s_cbranch_execz .LBB318_457
; %bb.454:                              ;   in Loop: Header=BB318_11 Depth=1
	v_and_b32_e32 v11, 7, v3
	v_lshrrev_b32_e32 v12, 3, v81
	s_mov_b32 s43, exec_lo
	v_cmpx_gt_u32_e32 8, v81
; %bb.455:                              ;   in Loop: Header=BB318_11 Depth=1
	v_ffbh_u32_e32 v11, v11
	v_min_u32_e32 v46, 32, v11
	v_subrev_nc_u32_e32 v11, 28, v46
	v_lshlrev_b64 v[11:12], v11, v[3:4]
	v_sub_nc_u32_e32 v12, 29, v46
	v_and_b32_e32 v11, 7, v11
; %bb.456:                              ;   in Loop: Header=BB318_11 Depth=1
	s_or_b32 exec_lo, exec_lo, s43
	v_lshlrev_b32_e32 v3, 8, v3
	v_lshl_add_u32 v12, v12, 10, 0x2000
	v_lshlrev_b32_e32 v11, 23, v11
	v_and_or_b32 v3, 0x8000, v3, v12
	v_lshl_or_b32 v80, v3, 16, v11
.LBB318_457:                            ;   in Loop: Header=BB318_11 Depth=1
	s_or_b32 exec_lo, exec_lo, s42
.LBB318_458:                            ;   in Loop: Header=BB318_11 Depth=1
	s_or_b32 exec_lo, exec_lo, s41
.LBB318_459:                            ;   in Loop: Header=BB318_11 Depth=1
	s_or_b32 exec_lo, exec_lo, s2
	global_load_dwordx2 v[11:12], v[9:10], off offset:1544
	s_waitcnt vmcnt(0)
	v_cmp_ne_u16_sdwa s1, v11, v4 src0_sel:BYTE_0 src1_sel:DWORD
	s_and_saveexec_b32 s2, s1
	s_cbranch_execz .LBB318_467
; %bb.460:                              ;   in Loop: Header=BB318_11 Depth=1
	v_cmp_ne_u16_sdwa s1, v11, v17 src0_sel:BYTE_0 src1_sel:DWORD
	v_mov_b32_e32 v82, 0x8000
	s_and_saveexec_b32 s41, s1
	s_cbranch_execz .LBB318_466
; %bb.461:                              ;   in Loop: Header=BB318_11 Depth=1
	v_and_b32_e32 v83, 0x7f, v11
	v_mov_b32_e32 v82, 0x7c01
	s_mov_b32 s42, exec_lo
	v_cmpx_ne_u32_e32 0x7f, v83
	s_cbranch_execz .LBB318_465
; %bb.462:                              ;   in Loop: Header=BB318_11 Depth=1
	v_and_b32_e32 v3, 7, v11
	v_lshrrev_b32_e32 v81, 3, v83
	s_mov_b32 s43, exec_lo
	v_cmpx_gt_u32_e32 8, v83
; %bb.463:                              ;   in Loop: Header=BB318_11 Depth=1
	v_ffbh_u32_e32 v3, v3
	v_min_u32_e32 v3, 32, v3
	v_subrev_nc_u32_e32 v46, 28, v3
	v_sub_nc_u32_e32 v81, 29, v3
	v_lshlrev_b64 v[82:83], v46, v[11:12]
	v_and_b32_e32 v3, 7, v82
; %bb.464:                              ;   in Loop: Header=BB318_11 Depth=1
	s_or_b32 exec_lo, exec_lo, s43
	v_lshlrev_b32_e32 v46, 8, v11
	v_lshl_add_u32 v81, v81, 10, 0x2000
	v_lshlrev_b32_e32 v3, 7, v3
	v_and_b32_e32 v46, 0x8000, v46
	v_and_b32_e32 v81, 0xfc00, v81
	v_or3_b32 v82, v46, v81, v3
.LBB318_465:                            ;   in Loop: Header=BB318_11 Depth=1
	s_or_b32 exec_lo, exec_lo, s42
.LBB318_466:                            ;   in Loop: Header=BB318_11 Depth=1
	s_or_b32 exec_lo, exec_lo, s41
.LBB318_467:                            ;   in Loop: Header=BB318_11 Depth=1
	s_or_b32 exec_lo, exec_lo, s2
	v_lshrrev_b16 v3, 8, v11
	v_mov_b32_e32 v85, 0
	v_mov_b32_e32 v81, 0
	s_mov_b32 s2, exec_lo
	v_cmpx_ne_u16_e32 0, v3
	s_cbranch_execz .LBB318_475
; %bb.468:                              ;   in Loop: Header=BB318_11 Depth=1
	v_bfrev_b32_e32 v81, 1
	s_mov_b32 s41, exec_lo
	v_cmpx_ne_u16_e32 0x80, v3
	s_cbranch_execz .LBB318_474
; %bb.469:                              ;   in Loop: Header=BB318_11 Depth=1
	v_and_b32_sdwa v84, v3, v20 dst_sel:DWORD dst_unused:UNUSED_PAD src0_sel:WORD_0 src1_sel:DWORD
	v_mov_b32_e32 v81, 0x7c010000
	s_mov_b32 s42, exec_lo
	v_cmpx_ne_u32_e32 0x7f, v84
	s_cbranch_execz .LBB318_473
; %bb.470:                              ;   in Loop: Header=BB318_11 Depth=1
	v_and_b32_sdwa v81, v3, v21 dst_sel:DWORD dst_unused:UNUSED_PAD src0_sel:WORD_0 src1_sel:DWORD
	v_lshrrev_b32_e32 v83, 3, v84
	s_mov_b32 s43, exec_lo
	v_cmpx_gt_u32_e32 8, v84
; %bb.471:                              ;   in Loop: Header=BB318_11 Depth=1
	v_ffbh_u32_e32 v46, v81
	v_min_u32_e32 v46, 32, v46
	v_subrev_nc_u32_e32 v81, 28, v46
	v_sub_nc_u32_e32 v83, 29, v46
	v_lshlrev_b64 v[86:87], v81, v[3:4]
	v_and_b32_e32 v81, 7, v86
; %bb.472:                              ;   in Loop: Header=BB318_11 Depth=1
	s_or_b32 exec_lo, exec_lo, s43
	v_lshlrev_b32_sdwa v3, v22, v3 dst_sel:DWORD dst_unused:UNUSED_PAD src0_sel:DWORD src1_sel:WORD_0
	v_lshl_add_u32 v46, v83, 10, 0x2000
	v_and_or_b32 v3, 0x8000, v3, v46
	v_lshlrev_b32_e32 v46, 23, v81
	v_lshl_or_b32 v81, v3, 16, v46
.LBB318_473:                            ;   in Loop: Header=BB318_11 Depth=1
	s_or_b32 exec_lo, exec_lo, s42
.LBB318_474:                            ;   in Loop: Header=BB318_11 Depth=1
	s_or_b32 exec_lo, exec_lo, s41
.LBB318_475:                            ;   in Loop: Header=BB318_11 Depth=1
	s_or_b32 exec_lo, exec_lo, s2
	v_lshrrev_b32_e32 v3, 16, v11
	v_cmp_ne_u16_sdwa s1, v3, v4 src0_sel:BYTE_0 src1_sel:DWORD
	s_and_saveexec_b32 s2, s1
	s_cbranch_execz .LBB318_483
; %bb.476:                              ;   in Loop: Header=BB318_11 Depth=1
	v_cmp_ne_u16_sdwa s1, v3, v17 src0_sel:BYTE_0 src1_sel:DWORD
	v_mov_b32_e32 v85, 0x8000
	s_and_saveexec_b32 s41, s1
	s_cbranch_execz .LBB318_482
; %bb.477:                              ;   in Loop: Header=BB318_11 Depth=1
	v_bfe_u32 v86, v11, 16, 7
	v_mov_b32_e32 v85, 0x7c01
	s_mov_b32 s42, exec_lo
	v_cmpx_ne_u32_e32 0x7f, v86
	s_cbranch_execz .LBB318_481
; %bb.478:                              ;   in Loop: Header=BB318_11 Depth=1
	v_and_b32_e32 v83, 7, v3
	v_lshrrev_b32_e32 v84, 3, v86
	s_mov_b32 s43, exec_lo
	v_cmpx_gt_u32_e32 8, v86
; %bb.479:                              ;   in Loop: Header=BB318_11 Depth=1
	v_ffbh_u32_e32 v46, v83
	v_min_u32_e32 v46, 32, v46
	v_subrev_nc_u32_e32 v83, 28, v46
	v_lshlrev_b64 v[83:84], v83, v[3:4]
	v_sub_nc_u32_e32 v84, 29, v46
	v_and_b32_e32 v83, 7, v83
; %bb.480:                              ;   in Loop: Header=BB318_11 Depth=1
	s_or_b32 exec_lo, exec_lo, s43
	v_lshlrev_b32_e32 v3, 8, v3
	v_lshl_add_u32 v46, v84, 10, 0x2000
	v_lshlrev_b32_e32 v83, 7, v83
	v_and_b32_e32 v3, 0x8000, v3
	v_and_b32_e32 v46, 0xfc00, v46
	v_or3_b32 v85, v3, v46, v83
.LBB318_481:                            ;   in Loop: Header=BB318_11 Depth=1
	s_or_b32 exec_lo, exec_lo, s42
.LBB318_482:                            ;   in Loop: Header=BB318_11 Depth=1
	s_or_b32 exec_lo, exec_lo, s41
.LBB318_483:                            ;   in Loop: Header=BB318_11 Depth=1
	s_or_b32 exec_lo, exec_lo, s2
	v_mov_b32_e32 v83, 0
	v_mov_b32_e32 v88, 0
	s_mov_b32 s2, exec_lo
	v_cmpx_lt_u32_e32 0xffffff, v11
	s_cbranch_execz .LBB318_491
; %bb.484:                              ;   in Loop: Header=BB318_11 Depth=1
	v_lshrrev_b32_e32 v3, 24, v11
	v_bfrev_b32_e32 v88, 1
	s_mov_b32 s41, exec_lo
	v_cmpx_ne_u32_e32 0x80, v3
	s_cbranch_execz .LBB318_490
; %bb.485:                              ;   in Loop: Header=BB318_11 Depth=1
	v_and_b32_e32 v87, 0x7f, v3
	v_mov_b32_e32 v88, 0x7c010000
	s_mov_b32 s42, exec_lo
	v_cmpx_ne_u32_e32 0x7f, v87
	s_cbranch_execz .LBB318_489
; %bb.486:                              ;   in Loop: Header=BB318_11 Depth=1
	v_and_b32_e32 v84, 7, v3
	v_lshrrev_b32_e32 v86, 3, v87
	s_mov_b32 s43, exec_lo
	v_cmpx_gt_u32_e32 8, v87
; %bb.487:                              ;   in Loop: Header=BB318_11 Depth=1
	v_ffbh_u32_e32 v46, v84
	v_min_u32_e32 v46, 32, v46
	v_subrev_nc_u32_e32 v84, 28, v46
	v_sub_nc_u32_e32 v86, 29, v46
	v_lshlrev_b64 v[87:88], v84, v[3:4]
	v_and_b32_e32 v84, 7, v87
; %bb.488:                              ;   in Loop: Header=BB318_11 Depth=1
	s_or_b32 exec_lo, exec_lo, s43
	v_lshlrev_b32_e32 v3, 8, v3
	v_lshl_add_u32 v46, v86, 10, 0x2000
	v_and_or_b32 v3, 0x8000, v3, v46
	v_lshlrev_b32_e32 v46, 23, v84
	v_lshl_or_b32 v88, v3, 16, v46
.LBB318_489:                            ;   in Loop: Header=BB318_11 Depth=1
	s_or_b32 exec_lo, exec_lo, s42
.LBB318_490:                            ;   in Loop: Header=BB318_11 Depth=1
	s_or_b32 exec_lo, exec_lo, s41
.LBB318_491:                            ;   in Loop: Header=BB318_11 Depth=1
	s_or_b32 exec_lo, exec_lo, s2
	v_mov_b32_e32 v3, v12
	v_cmp_ne_u16_sdwa s1, v12, v4 src0_sel:BYTE_0 src1_sel:DWORD
	s_and_saveexec_b32 s2, s1
	s_cbranch_execz .LBB318_499
; %bb.492:                              ;   in Loop: Header=BB318_11 Depth=1
	v_cmp_ne_u16_sdwa s1, v12, v17 src0_sel:BYTE_0 src1_sel:DWORD
	v_mov_b32_e32 v83, 0x8000
	s_and_saveexec_b32 s41, s1
	s_cbranch_execz .LBB318_498
; %bb.493:                              ;   in Loop: Header=BB318_11 Depth=1
	v_and_b32_e32 v86, 0x7f, v12
	v_mov_b32_e32 v83, 0x7c01
	s_mov_b32 s42, exec_lo
	v_cmpx_ne_u32_e32 0x7f, v86
	s_cbranch_execz .LBB318_497
; %bb.494:                              ;   in Loop: Header=BB318_11 Depth=1
	v_and_b32_e32 v83, 7, v12
	v_lshrrev_b32_e32 v84, 3, v86
	s_mov_b32 s43, exec_lo
	v_cmpx_gt_u32_e32 8, v86
; %bb.495:                              ;   in Loop: Header=BB318_11 Depth=1
	v_ffbh_u32_e32 v46, v83
	v_min_u32_e32 v46, 32, v46
	v_subrev_nc_u32_e32 v83, 28, v46
	v_lshlrev_b64 v[83:84], v83, v[3:4]
	v_sub_nc_u32_e32 v84, 29, v46
	v_and_b32_e32 v83, 7, v83
; %bb.496:                              ;   in Loop: Header=BB318_11 Depth=1
	s_or_b32 exec_lo, exec_lo, s43
	v_lshlrev_b32_e32 v46, 8, v12
	v_lshl_add_u32 v84, v84, 10, 0x2000
	v_lshlrev_b32_e32 v83, 7, v83
	v_and_b32_e32 v46, 0x8000, v46
	v_and_b32_e32 v84, 0xfc00, v84
	v_or3_b32 v83, v46, v84, v83
.LBB318_497:                            ;   in Loop: Header=BB318_11 Depth=1
	s_or_b32 exec_lo, exec_lo, s42
.LBB318_498:                            ;   in Loop: Header=BB318_11 Depth=1
	s_or_b32 exec_lo, exec_lo, s41
.LBB318_499:                            ;   in Loop: Header=BB318_11 Depth=1
	s_or_b32 exec_lo, exec_lo, s2
	v_lshrrev_b16 v3, 8, v3
	v_mov_b32_e32 v86, 0
	v_mov_b32_e32 v87, 0
	s_mov_b32 s2, exec_lo
	v_cmpx_ne_u16_e32 0, v3
	s_cbranch_execz .LBB318_507
; %bb.500:                              ;   in Loop: Header=BB318_11 Depth=1
	v_bfrev_b32_e32 v87, 1
	s_mov_b32 s41, exec_lo
	v_cmpx_ne_u16_e32 0x80, v3
	s_cbranch_execz .LBB318_506
; %bb.501:                              ;   in Loop: Header=BB318_11 Depth=1
	v_and_b32_sdwa v89, v3, v20 dst_sel:DWORD dst_unused:UNUSED_PAD src0_sel:WORD_0 src1_sel:DWORD
	v_mov_b32_e32 v87, 0x7c010000
	s_mov_b32 s42, exec_lo
	v_cmpx_ne_u32_e32 0x7f, v89
	s_cbranch_execz .LBB318_505
; %bb.502:                              ;   in Loop: Header=BB318_11 Depth=1
	v_and_b32_sdwa v84, v3, v21 dst_sel:DWORD dst_unused:UNUSED_PAD src0_sel:WORD_0 src1_sel:DWORD
	v_lshrrev_b32_e32 v87, 3, v89
	s_mov_b32 s43, exec_lo
	v_cmpx_gt_u32_e32 8, v89
; %bb.503:                              ;   in Loop: Header=BB318_11 Depth=1
	v_ffbh_u32_e32 v46, v84
	v_min_u32_e32 v46, 32, v46
	v_subrev_nc_u32_e32 v84, 28, v46
	v_sub_nc_u32_e32 v87, 29, v46
	v_lshlrev_b64 v[89:90], v84, v[3:4]
	v_and_b32_e32 v84, 7, v89
; %bb.504:                              ;   in Loop: Header=BB318_11 Depth=1
	s_or_b32 exec_lo, exec_lo, s43
	v_lshlrev_b32_sdwa v3, v22, v3 dst_sel:DWORD dst_unused:UNUSED_PAD src0_sel:DWORD src1_sel:WORD_0
	v_lshl_add_u32 v46, v87, 10, 0x2000
	v_and_or_b32 v3, 0x8000, v3, v46
	v_lshlrev_b32_e32 v46, 23, v84
	v_lshl_or_b32 v87, v3, 16, v46
.LBB318_505:                            ;   in Loop: Header=BB318_11 Depth=1
	s_or_b32 exec_lo, exec_lo, s42
.LBB318_506:                            ;   in Loop: Header=BB318_11 Depth=1
	s_or_b32 exec_lo, exec_lo, s41
.LBB318_507:                            ;   in Loop: Header=BB318_11 Depth=1
	s_or_b32 exec_lo, exec_lo, s2
	v_lshrrev_b32_e32 v3, 16, v12
	v_cmp_ne_u16_sdwa s1, v3, v4 src0_sel:BYTE_0 src1_sel:DWORD
	s_and_saveexec_b32 s2, s1
	s_cbranch_execz .LBB318_515
; %bb.508:                              ;   in Loop: Header=BB318_11 Depth=1
	v_cmp_ne_u16_sdwa s1, v3, v17 src0_sel:BYTE_0 src1_sel:DWORD
	v_mov_b32_e32 v86, 0x8000
	s_and_saveexec_b32 s41, s1
	s_cbranch_execz .LBB318_514
; %bb.509:                              ;   in Loop: Header=BB318_11 Depth=1
	v_bfe_u32 v89, v12, 16, 7
	v_mov_b32_e32 v86, 0x7c01
	s_mov_b32 s42, exec_lo
	v_cmpx_ne_u32_e32 0x7f, v89
	s_cbranch_execz .LBB318_513
; %bb.510:                              ;   in Loop: Header=BB318_11 Depth=1
	v_and_b32_e32 v84, 7, v3
	v_lshrrev_b32_e32 v86, 3, v89
	s_mov_b32 s43, exec_lo
	v_cmpx_gt_u32_e32 8, v89
; %bb.511:                              ;   in Loop: Header=BB318_11 Depth=1
	v_ffbh_u32_e32 v46, v84
	v_min_u32_e32 v46, 32, v46
	v_subrev_nc_u32_e32 v84, 28, v46
	v_sub_nc_u32_e32 v86, 29, v46
	v_lshlrev_b64 v[89:90], v84, v[3:4]
	v_and_b32_e32 v84, 7, v89
; %bb.512:                              ;   in Loop: Header=BB318_11 Depth=1
	s_or_b32 exec_lo, exec_lo, s43
	v_lshlrev_b32_e32 v3, 8, v3
	v_lshl_add_u32 v46, v86, 10, 0x2000
	v_lshlrev_b32_e32 v84, 7, v84
	v_and_b32_e32 v3, 0x8000, v3
	v_and_b32_e32 v46, 0xfc00, v46
	v_or3_b32 v86, v3, v46, v84
.LBB318_513:                            ;   in Loop: Header=BB318_11 Depth=1
	s_or_b32 exec_lo, exec_lo, s42
.LBB318_514:                            ;   in Loop: Header=BB318_11 Depth=1
	s_or_b32 exec_lo, exec_lo, s41
.LBB318_515:                            ;   in Loop: Header=BB318_11 Depth=1
	s_or_b32 exec_lo, exec_lo, s2
	v_mov_b32_e32 v93, 0
	v_mov_b32_e32 v84, 0
	s_mov_b32 s2, exec_lo
	v_cmpx_lt_u64_e64 s[4:5], v[11:12]
	s_cbranch_execz .LBB318_523
; %bb.516:                              ;   in Loop: Header=BB318_11 Depth=1
	v_lshrrev_b32_e32 v3, 24, v12
	v_bfrev_b32_e32 v84, 1
	s_mov_b32 s41, exec_lo
	v_cmpx_ne_u32_e32 0x80, v3
	s_cbranch_execz .LBB318_522
; %bb.517:                              ;   in Loop: Header=BB318_11 Depth=1
	v_and_b32_e32 v89, 0x7f, v3
	v_mov_b32_e32 v84, 0x7c010000
	s_mov_b32 s42, exec_lo
	v_cmpx_ne_u32_e32 0x7f, v89
	s_cbranch_execz .LBB318_521
; %bb.518:                              ;   in Loop: Header=BB318_11 Depth=1
	v_and_b32_e32 v11, 7, v3
	v_lshrrev_b32_e32 v12, 3, v89
	s_mov_b32 s43, exec_lo
	v_cmpx_gt_u32_e32 8, v89
; %bb.519:                              ;   in Loop: Header=BB318_11 Depth=1
	v_ffbh_u32_e32 v11, v11
	v_min_u32_e32 v46, 32, v11
	v_subrev_nc_u32_e32 v11, 28, v46
	v_lshlrev_b64 v[11:12], v11, v[3:4]
	v_sub_nc_u32_e32 v12, 29, v46
	v_and_b32_e32 v11, 7, v11
; %bb.520:                              ;   in Loop: Header=BB318_11 Depth=1
	s_or_b32 exec_lo, exec_lo, s43
	v_lshlrev_b32_e32 v3, 8, v3
	v_lshl_add_u32 v12, v12, 10, 0x2000
	v_lshlrev_b32_e32 v11, 23, v11
	v_and_or_b32 v3, 0x8000, v3, v12
	v_lshl_or_b32 v84, v3, 16, v11
.LBB318_521:                            ;   in Loop: Header=BB318_11 Depth=1
	s_or_b32 exec_lo, exec_lo, s42
.LBB318_522:                            ;   in Loop: Header=BB318_11 Depth=1
	s_or_b32 exec_lo, exec_lo, s41
.LBB318_523:                            ;   in Loop: Header=BB318_11 Depth=1
	s_or_b32 exec_lo, exec_lo, s2
	v_add_co_u32 v9, s1, 0x800, v9
	v_add_co_ci_u32_e64 v10, null, 0, v10, s1
	global_load_dwordx2 v[11:12], v[9:10], off
	s_waitcnt vmcnt(0)
	v_cmp_ne_u16_sdwa s1, v11, v4 src0_sel:BYTE_0 src1_sel:DWORD
	s_and_saveexec_b32 s2, s1
	s_cbranch_execz .LBB318_531
; %bb.524:                              ;   in Loop: Header=BB318_11 Depth=1
	v_cmp_ne_u16_sdwa s1, v11, v17 src0_sel:BYTE_0 src1_sel:DWORD
	v_mov_b32_e32 v93, 0x8000
	s_and_saveexec_b32 s41, s1
	s_cbranch_execz .LBB318_530
; %bb.525:                              ;   in Loop: Header=BB318_11 Depth=1
	v_and_b32_e32 v90, 0x7f, v11
	v_mov_b32_e32 v93, 0x7c01
	s_mov_b32 s42, exec_lo
	v_cmpx_ne_u32_e32 0x7f, v90
	s_cbranch_execz .LBB318_529
; %bb.526:                              ;   in Loop: Header=BB318_11 Depth=1
	v_and_b32_e32 v3, 7, v11
	v_lshrrev_b32_e32 v89, 3, v90
	s_mov_b32 s43, exec_lo
	v_cmpx_gt_u32_e32 8, v90
; %bb.527:                              ;   in Loop: Header=BB318_11 Depth=1
	v_ffbh_u32_e32 v3, v3
	v_min_u32_e32 v3, 32, v3
	v_subrev_nc_u32_e32 v46, 28, v3
	v_sub_nc_u32_e32 v89, 29, v3
	v_lshlrev_b64 v[90:91], v46, v[11:12]
	v_and_b32_e32 v3, 7, v90
; %bb.528:                              ;   in Loop: Header=BB318_11 Depth=1
	s_or_b32 exec_lo, exec_lo, s43
	v_lshlrev_b32_e32 v46, 8, v11
	v_lshl_add_u32 v89, v89, 10, 0x2000
	v_lshlrev_b32_e32 v3, 7, v3
	v_and_b32_e32 v46, 0x8000, v46
	v_and_b32_e32 v89, 0xfc00, v89
	v_or3_b32 v93, v46, v89, v3
.LBB318_529:                            ;   in Loop: Header=BB318_11 Depth=1
	s_or_b32 exec_lo, exec_lo, s42
.LBB318_530:                            ;   in Loop: Header=BB318_11 Depth=1
	s_or_b32 exec_lo, exec_lo, s41
.LBB318_531:                            ;   in Loop: Header=BB318_11 Depth=1
	s_or_b32 exec_lo, exec_lo, s2
	v_lshrrev_b16 v3, 8, v11
	v_mov_b32_e32 v102, 0
	v_mov_b32_e32 v90, 0
	s_mov_b32 s2, exec_lo
	v_cmpx_ne_u16_e32 0, v3
	s_cbranch_execz .LBB318_539
; %bb.532:                              ;   in Loop: Header=BB318_11 Depth=1
	v_bfrev_b32_e32 v90, 1
	s_mov_b32 s41, exec_lo
	v_cmpx_ne_u16_e32 0x80, v3
	s_cbranch_execz .LBB318_538
; %bb.533:                              ;   in Loop: Header=BB318_11 Depth=1
	v_and_b32_sdwa v91, v3, v20 dst_sel:DWORD dst_unused:UNUSED_PAD src0_sel:WORD_0 src1_sel:DWORD
	v_mov_b32_e32 v90, 0x7c010000
	s_mov_b32 s42, exec_lo
	v_cmpx_ne_u32_e32 0x7f, v91
	s_cbranch_execz .LBB318_537
; %bb.534:                              ;   in Loop: Header=BB318_11 Depth=1
	v_and_b32_sdwa v89, v3, v21 dst_sel:DWORD dst_unused:UNUSED_PAD src0_sel:WORD_0 src1_sel:DWORD
	v_lshrrev_b32_e32 v90, 3, v91
	s_mov_b32 s43, exec_lo
	v_cmpx_gt_u32_e32 8, v91
; %bb.535:                              ;   in Loop: Header=BB318_11 Depth=1
	v_ffbh_u32_e32 v46, v89
	v_min_u32_e32 v46, 32, v46
	v_subrev_nc_u32_e32 v89, 28, v46
	v_lshlrev_b64 v[89:90], v89, v[3:4]
	v_sub_nc_u32_e32 v90, 29, v46
	v_and_b32_e32 v89, 7, v89
; %bb.536:                              ;   in Loop: Header=BB318_11 Depth=1
	s_or_b32 exec_lo, exec_lo, s43
	v_lshlrev_b32_sdwa v3, v22, v3 dst_sel:DWORD dst_unused:UNUSED_PAD src0_sel:DWORD src1_sel:WORD_0
	v_lshl_add_u32 v46, v90, 10, 0x2000
	v_and_or_b32 v3, 0x8000, v3, v46
	v_lshlrev_b32_e32 v46, 23, v89
	v_lshl_or_b32 v90, v3, 16, v46
.LBB318_537:                            ;   in Loop: Header=BB318_11 Depth=1
	s_or_b32 exec_lo, exec_lo, s42
.LBB318_538:                            ;   in Loop: Header=BB318_11 Depth=1
	s_or_b32 exec_lo, exec_lo, s41
.LBB318_539:                            ;   in Loop: Header=BB318_11 Depth=1
	s_or_b32 exec_lo, exec_lo, s2
	v_lshrrev_b32_e32 v3, 16, v11
	v_cmp_ne_u16_sdwa s1, v3, v4 src0_sel:BYTE_0 src1_sel:DWORD
	s_and_saveexec_b32 s2, s1
	s_cbranch_execz .LBB318_547
; %bb.540:                              ;   in Loop: Header=BB318_11 Depth=1
	v_cmp_ne_u16_sdwa s1, v3, v17 src0_sel:BYTE_0 src1_sel:DWORD
	v_mov_b32_e32 v102, 0x8000
	s_and_saveexec_b32 s41, s1
	s_cbranch_execz .LBB318_546
; %bb.541:                              ;   in Loop: Header=BB318_11 Depth=1
	v_bfe_u32 v92, v11, 16, 7
	v_mov_b32_e32 v102, 0x7c01
	s_mov_b32 s42, exec_lo
	v_cmpx_ne_u32_e32 0x7f, v92
	s_cbranch_execz .LBB318_545
; %bb.542:                              ;   in Loop: Header=BB318_11 Depth=1
	v_and_b32_e32 v89, 7, v3
	v_lshrrev_b32_e32 v91, 3, v92
	s_mov_b32 s43, exec_lo
	v_cmpx_gt_u32_e32 8, v92
; %bb.543:                              ;   in Loop: Header=BB318_11 Depth=1
	v_ffbh_u32_e32 v46, v89
	v_min_u32_e32 v46, 32, v46
	v_subrev_nc_u32_e32 v89, 28, v46
	v_sub_nc_u32_e32 v91, 29, v46
	v_lshlrev_b64 v[94:95], v89, v[3:4]
	v_and_b32_e32 v89, 7, v94
; %bb.544:                              ;   in Loop: Header=BB318_11 Depth=1
	s_or_b32 exec_lo, exec_lo, s43
	v_lshlrev_b32_e32 v3, 8, v3
	v_lshl_add_u32 v46, v91, 10, 0x2000
	v_lshlrev_b32_e32 v89, 7, v89
	v_and_b32_e32 v3, 0x8000, v3
	v_and_b32_e32 v46, 0xfc00, v46
	v_or3_b32 v102, v3, v46, v89
.LBB318_545:                            ;   in Loop: Header=BB318_11 Depth=1
	s_or_b32 exec_lo, exec_lo, s42
.LBB318_546:                            ;   in Loop: Header=BB318_11 Depth=1
	s_or_b32 exec_lo, exec_lo, s41
.LBB318_547:                            ;   in Loop: Header=BB318_11 Depth=1
	s_or_b32 exec_lo, exec_lo, s2
	v_mov_b32_e32 v94, 0
	v_mov_b32_e32 v101, 0
	s_mov_b32 s2, exec_lo
	v_cmpx_lt_u32_e32 0xffffff, v11
	s_cbranch_execz .LBB318_555
; %bb.548:                              ;   in Loop: Header=BB318_11 Depth=1
	v_lshrrev_b32_e32 v3, 24, v11
	v_bfrev_b32_e32 v101, 1
	s_mov_b32 s41, exec_lo
	v_cmpx_ne_u32_e32 0x80, v3
	s_cbranch_execz .LBB318_554
; %bb.549:                              ;   in Loop: Header=BB318_11 Depth=1
	v_and_b32_e32 v92, 0x7f, v3
	v_mov_b32_e32 v101, 0x7c010000
	s_mov_b32 s42, exec_lo
	v_cmpx_ne_u32_e32 0x7f, v92
	s_cbranch_execz .LBB318_553
; %bb.550:                              ;   in Loop: Header=BB318_11 Depth=1
	v_and_b32_e32 v89, 7, v3
	v_lshrrev_b32_e32 v91, 3, v92
	s_mov_b32 s43, exec_lo
	v_cmpx_gt_u32_e32 8, v92
; %bb.551:                              ;   in Loop: Header=BB318_11 Depth=1
	v_ffbh_u32_e32 v46, v89
	v_min_u32_e32 v46, 32, v46
	v_subrev_nc_u32_e32 v89, 28, v46
	v_sub_nc_u32_e32 v91, 29, v46
	v_lshlrev_b64 v[95:96], v89, v[3:4]
	v_and_b32_e32 v89, 7, v95
; %bb.552:                              ;   in Loop: Header=BB318_11 Depth=1
	s_or_b32 exec_lo, exec_lo, s43
	v_lshlrev_b32_e32 v3, 8, v3
	v_lshl_add_u32 v46, v91, 10, 0x2000
	v_and_or_b32 v3, 0x8000, v3, v46
	v_lshlrev_b32_e32 v46, 23, v89
	v_lshl_or_b32 v101, v3, 16, v46
.LBB318_553:                            ;   in Loop: Header=BB318_11 Depth=1
	s_or_b32 exec_lo, exec_lo, s42
.LBB318_554:                            ;   in Loop: Header=BB318_11 Depth=1
	s_or_b32 exec_lo, exec_lo, s41
.LBB318_555:                            ;   in Loop: Header=BB318_11 Depth=1
	s_or_b32 exec_lo, exec_lo, s2
	v_mov_b32_e32 v3, v12
	v_cmp_ne_u16_sdwa s1, v12, v4 src0_sel:BYTE_0 src1_sel:DWORD
	s_and_saveexec_b32 s2, s1
	s_cbranch_execz .LBB318_563
; %bb.556:                              ;   in Loop: Header=BB318_11 Depth=1
	v_cmp_ne_u16_sdwa s1, v12, v17 src0_sel:BYTE_0 src1_sel:DWORD
	v_mov_b32_e32 v94, 0x8000
	s_and_saveexec_b32 s41, s1
	s_cbranch_execz .LBB318_562
; %bb.557:                              ;   in Loop: Header=BB318_11 Depth=1
	v_and_b32_e32 v92, 0x7f, v12
	v_mov_b32_e32 v94, 0x7c01
	s_mov_b32 s42, exec_lo
	v_cmpx_ne_u32_e32 0x7f, v92
	s_cbranch_execz .LBB318_561
; %bb.558:                              ;   in Loop: Header=BB318_11 Depth=1
	v_and_b32_e32 v89, 7, v12
	v_lshrrev_b32_e32 v91, 3, v92
	s_mov_b32 s43, exec_lo
	v_cmpx_gt_u32_e32 8, v92
; %bb.559:                              ;   in Loop: Header=BB318_11 Depth=1
	v_ffbh_u32_e32 v46, v89
	v_min_u32_e32 v46, 32, v46
	v_subrev_nc_u32_e32 v89, 28, v46
	v_sub_nc_u32_e32 v91, 29, v46
	v_lshlrev_b64 v[94:95], v89, v[3:4]
	v_and_b32_e32 v89, 7, v94
; %bb.560:                              ;   in Loop: Header=BB318_11 Depth=1
	s_or_b32 exec_lo, exec_lo, s43
	v_lshlrev_b32_e32 v46, 8, v12
	v_lshl_add_u32 v91, v91, 10, 0x2000
	v_lshlrev_b32_e32 v89, 7, v89
	v_and_b32_e32 v46, 0x8000, v46
	v_and_b32_e32 v91, 0xfc00, v91
	v_or3_b32 v94, v46, v91, v89
.LBB318_561:                            ;   in Loop: Header=BB318_11 Depth=1
	s_or_b32 exec_lo, exec_lo, s42
.LBB318_562:                            ;   in Loop: Header=BB318_11 Depth=1
	s_or_b32 exec_lo, exec_lo, s41
.LBB318_563:                            ;   in Loop: Header=BB318_11 Depth=1
	s_or_b32 exec_lo, exec_lo, s2
	v_lshrrev_b16 v3, 8, v3
	v_mov_b32_e32 v98, 0
	v_mov_b32_e32 v99, 0
	s_mov_b32 s2, exec_lo
	v_cmpx_ne_u16_e32 0, v3
	s_cbranch_execz .LBB318_571
; %bb.564:                              ;   in Loop: Header=BB318_11 Depth=1
	v_bfrev_b32_e32 v99, 1
	s_mov_b32 s41, exec_lo
	v_cmpx_ne_u16_e32 0x80, v3
	s_cbranch_execz .LBB318_570
; %bb.565:                              ;   in Loop: Header=BB318_11 Depth=1
	v_and_b32_sdwa v92, v3, v20 dst_sel:DWORD dst_unused:UNUSED_PAD src0_sel:WORD_0 src1_sel:DWORD
	v_mov_b32_e32 v99, 0x7c010000
	s_mov_b32 s42, exec_lo
	v_cmpx_ne_u32_e32 0x7f, v92
	s_cbranch_execz .LBB318_569
; %bb.566:                              ;   in Loop: Header=BB318_11 Depth=1
	v_and_b32_sdwa v89, v3, v21 dst_sel:DWORD dst_unused:UNUSED_PAD src0_sel:WORD_0 src1_sel:DWORD
	v_lshrrev_b32_e32 v91, 3, v92
	s_mov_b32 s43, exec_lo
	v_cmpx_gt_u32_e32 8, v92
; %bb.567:                              ;   in Loop: Header=BB318_11 Depth=1
	v_ffbh_u32_e32 v46, v89
	v_min_u32_e32 v46, 32, v46
	v_subrev_nc_u32_e32 v89, 28, v46
	v_sub_nc_u32_e32 v91, 29, v46
	v_lshlrev_b64 v[95:96], v89, v[3:4]
	v_and_b32_e32 v89, 7, v95
; %bb.568:                              ;   in Loop: Header=BB318_11 Depth=1
	s_or_b32 exec_lo, exec_lo, s43
	v_lshlrev_b32_sdwa v3, v22, v3 dst_sel:DWORD dst_unused:UNUSED_PAD src0_sel:DWORD src1_sel:WORD_0
	v_lshl_add_u32 v46, v91, 10, 0x2000
	v_and_or_b32 v3, 0x8000, v3, v46
	v_lshlrev_b32_e32 v46, 23, v89
	v_lshl_or_b32 v99, v3, 16, v46
.LBB318_569:                            ;   in Loop: Header=BB318_11 Depth=1
	s_or_b32 exec_lo, exec_lo, s42
.LBB318_570:                            ;   in Loop: Header=BB318_11 Depth=1
	s_or_b32 exec_lo, exec_lo, s41
.LBB318_571:                            ;   in Loop: Header=BB318_11 Depth=1
	s_or_b32 exec_lo, exec_lo, s2
	v_lshrrev_b32_e32 v3, 16, v12
	v_cmp_ne_u16_sdwa s1, v3, v4 src0_sel:BYTE_0 src1_sel:DWORD
	s_and_saveexec_b32 s2, s1
	s_cbranch_execz .LBB318_579
; %bb.572:                              ;   in Loop: Header=BB318_11 Depth=1
	v_cmp_ne_u16_sdwa s1, v3, v17 src0_sel:BYTE_0 src1_sel:DWORD
	v_mov_b32_e32 v98, 0x8000
	s_and_saveexec_b32 s41, s1
	s_cbranch_execz .LBB318_578
; %bb.573:                              ;   in Loop: Header=BB318_11 Depth=1
	v_bfe_u32 v92, v12, 16, 7
	v_mov_b32_e32 v98, 0x7c01
	s_mov_b32 s42, exec_lo
	v_cmpx_ne_u32_e32 0x7f, v92
	s_cbranch_execz .LBB318_577
; %bb.574:                              ;   in Loop: Header=BB318_11 Depth=1
	v_and_b32_e32 v89, 7, v3
	v_lshrrev_b32_e32 v91, 3, v92
	s_mov_b32 s43, exec_lo
	v_cmpx_gt_u32_e32 8, v92
; %bb.575:                              ;   in Loop: Header=BB318_11 Depth=1
	v_ffbh_u32_e32 v46, v89
	v_min_u32_e32 v46, 32, v46
	v_subrev_nc_u32_e32 v89, 28, v46
	v_sub_nc_u32_e32 v91, 29, v46
	v_lshlrev_b64 v[95:96], v89, v[3:4]
	v_and_b32_e32 v89, 7, v95
; %bb.576:                              ;   in Loop: Header=BB318_11 Depth=1
	s_or_b32 exec_lo, exec_lo, s43
	v_lshlrev_b32_e32 v3, 8, v3
	v_lshl_add_u32 v46, v91, 10, 0x2000
	v_lshlrev_b32_e32 v89, 7, v89
	v_and_b32_e32 v3, 0x8000, v3
	v_and_b32_e32 v46, 0xfc00, v46
	v_or3_b32 v98, v3, v46, v89
.LBB318_577:                            ;   in Loop: Header=BB318_11 Depth=1
	s_or_b32 exec_lo, exec_lo, s42
.LBB318_578:                            ;   in Loop: Header=BB318_11 Depth=1
	s_or_b32 exec_lo, exec_lo, s41
.LBB318_579:                            ;   in Loop: Header=BB318_11 Depth=1
	s_or_b32 exec_lo, exec_lo, s2
	v_cmp_lt_u64_e64 s1, s[4:5], v[11:12]
	v_mov_b32_e32 v11, 0
	v_mov_b32_e32 v97, 0
	s_and_saveexec_b32 s2, s1
	s_cbranch_execz .LBB318_587
; %bb.580:                              ;   in Loop: Header=BB318_11 Depth=1
	v_lshrrev_b32_e32 v3, 24, v12
	v_bfrev_b32_e32 v97, 1
	s_mov_b32 s41, exec_lo
	v_cmpx_ne_u32_e32 0x80, v3
	s_cbranch_execz .LBB318_586
; %bb.581:                              ;   in Loop: Header=BB318_11 Depth=1
	v_and_b32_e32 v91, 0x7f, v3
	v_mov_b32_e32 v97, 0x7c010000
	s_mov_b32 s42, exec_lo
	v_cmpx_ne_u32_e32 0x7f, v91
	s_cbranch_execz .LBB318_585
; %bb.582:                              ;   in Loop: Header=BB318_11 Depth=1
	v_and_b32_e32 v12, 7, v3
	v_lshrrev_b32_e32 v89, 3, v91
	s_mov_b32 s43, exec_lo
	v_cmpx_gt_u32_e32 8, v91
; %bb.583:                              ;   in Loop: Header=BB318_11 Depth=1
	v_ffbh_u32_e32 v12, v12
	v_min_u32_e32 v12, 32, v12
	v_subrev_nc_u32_e32 v46, 28, v12
	v_sub_nc_u32_e32 v89, 29, v12
	v_lshlrev_b64 v[91:92], v46, v[3:4]
	v_and_b32_e32 v12, 7, v91
; %bb.584:                              ;   in Loop: Header=BB318_11 Depth=1
	s_or_b32 exec_lo, exec_lo, s43
	v_lshlrev_b32_e32 v3, 8, v3
	v_lshl_add_u32 v46, v89, 10, 0x2000
	v_lshlrev_b32_e32 v12, 23, v12
	v_and_or_b32 v3, 0x8000, v3, v46
	v_lshl_or_b32 v97, v3, 16, v12
.LBB318_585:                            ;   in Loop: Header=BB318_11 Depth=1
	s_or_b32 exec_lo, exec_lo, s42
.LBB318_586:                            ;   in Loop: Header=BB318_11 Depth=1
	s_or_b32 exec_lo, exec_lo, s41
.LBB318_587:                            ;   in Loop: Header=BB318_11 Depth=1
	s_or_b32 exec_lo, exec_lo, s2
	global_load_dwordx2 v[9:10], v[9:10], off offset:8
	s_waitcnt vmcnt(0)
	v_cmp_ne_u16_sdwa s1, v9, v4 src0_sel:BYTE_0 src1_sel:DWORD
	s_and_saveexec_b32 s2, s1
	s_cbranch_execz .LBB318_595
; %bb.588:                              ;   in Loop: Header=BB318_11 Depth=1
	v_cmp_ne_u16_sdwa s1, v9, v17 src0_sel:BYTE_0 src1_sel:DWORD
	v_mov_b32_e32 v11, 0x8000
	s_and_saveexec_b32 s41, s1
	s_cbranch_execz .LBB318_594
; %bb.589:                              ;   in Loop: Header=BB318_11 Depth=1
	v_and_b32_e32 v12, 0x7f, v9
	v_mov_b32_e32 v11, 0x7c01
	s_mov_b32 s42, exec_lo
	v_cmpx_ne_u32_e32 0x7f, v12
	s_cbranch_execz .LBB318_593
; %bb.590:                              ;   in Loop: Header=BB318_11 Depth=1
	v_and_b32_e32 v3, 7, v9
	v_lshrrev_b32_e32 v11, 3, v12
	s_mov_b32 s43, exec_lo
	v_cmpx_gt_u32_e32 8, v12
; %bb.591:                              ;   in Loop: Header=BB318_11 Depth=1
	v_ffbh_u32_e32 v3, v3
	v_min_u32_e32 v3, 32, v3
	v_subrev_nc_u32_e32 v11, 28, v3
	v_lshlrev_b64 v[91:92], v11, v[9:10]
	v_sub_nc_u32_e32 v11, 29, v3
	v_and_b32_e32 v3, 7, v91
; %bb.592:                              ;   in Loop: Header=BB318_11 Depth=1
	s_or_b32 exec_lo, exec_lo, s43
	v_lshlrev_b32_e32 v12, 8, v9
	v_lshl_add_u32 v11, v11, 10, 0x2000
	v_lshlrev_b32_e32 v3, 7, v3
	v_and_b32_e32 v12, 0x8000, v12
	v_and_b32_e32 v11, 0xfc00, v11
	v_or3_b32 v11, v12, v11, v3
.LBB318_593:                            ;   in Loop: Header=BB318_11 Depth=1
	s_or_b32 exec_lo, exec_lo, s42
.LBB318_594:                            ;   in Loop: Header=BB318_11 Depth=1
	s_or_b32 exec_lo, exec_lo, s41
.LBB318_595:                            ;   in Loop: Header=BB318_11 Depth=1
	s_or_b32 exec_lo, exec_lo, s2
	v_lshrrev_b16 v3, 8, v9
	v_mov_b32_e32 v89, 0
	v_mov_b32_e32 v12, 0
	s_mov_b32 s2, exec_lo
	v_cmpx_ne_u16_e32 0, v3
	s_cbranch_execz .LBB318_603
; %bb.596:                              ;   in Loop: Header=BB318_11 Depth=1
	v_bfrev_b32_e32 v12, 1
	s_mov_b32 s41, exec_lo
	v_cmpx_ne_u16_e32 0x80, v3
	s_cbranch_execz .LBB318_602
; %bb.597:                              ;   in Loop: Header=BB318_11 Depth=1
	v_and_b32_sdwa v92, v3, v20 dst_sel:DWORD dst_unused:UNUSED_PAD src0_sel:WORD_0 src1_sel:DWORD
	v_mov_b32_e32 v12, 0x7c010000
	s_mov_b32 s42, exec_lo
	v_cmpx_ne_u32_e32 0x7f, v92
	s_cbranch_execz .LBB318_601
; %bb.598:                              ;   in Loop: Header=BB318_11 Depth=1
	v_and_b32_sdwa v12, v3, v21 dst_sel:DWORD dst_unused:UNUSED_PAD src0_sel:WORD_0 src1_sel:DWORD
	v_lshrrev_b32_e32 v91, 3, v92
	s_mov_b32 s43, exec_lo
	v_cmpx_gt_u32_e32 8, v92
; %bb.599:                              ;   in Loop: Header=BB318_11 Depth=1
	v_ffbh_u32_e32 v12, v12
	v_min_u32_e32 v12, 32, v12
	v_subrev_nc_u32_e32 v46, 28, v12
	v_sub_nc_u32_e32 v91, 29, v12
	v_lshlrev_b64 v[95:96], v46, v[3:4]
	v_and_b32_e32 v12, 7, v95
; %bb.600:                              ;   in Loop: Header=BB318_11 Depth=1
	s_or_b32 exec_lo, exec_lo, s43
	v_lshlrev_b32_sdwa v3, v22, v3 dst_sel:DWORD dst_unused:UNUSED_PAD src0_sel:DWORD src1_sel:WORD_0
	v_lshl_add_u32 v46, v91, 10, 0x2000
	v_lshlrev_b32_e32 v12, 23, v12
	v_and_or_b32 v3, 0x8000, v3, v46
	v_lshl_or_b32 v12, v3, 16, v12
.LBB318_601:                            ;   in Loop: Header=BB318_11 Depth=1
	s_or_b32 exec_lo, exec_lo, s42
.LBB318_602:                            ;   in Loop: Header=BB318_11 Depth=1
	s_or_b32 exec_lo, exec_lo, s41
.LBB318_603:                            ;   in Loop: Header=BB318_11 Depth=1
	s_or_b32 exec_lo, exec_lo, s2
	v_lshrrev_b32_e32 v3, 16, v9
	v_cmp_ne_u16_sdwa s1, v3, v4 src0_sel:BYTE_0 src1_sel:DWORD
	s_and_saveexec_b32 s2, s1
	s_cbranch_execz .LBB318_611
; %bb.604:                              ;   in Loop: Header=BB318_11 Depth=1
	v_cmp_ne_u16_sdwa s1, v3, v17 src0_sel:BYTE_0 src1_sel:DWORD
	v_mov_b32_e32 v89, 0x8000
	s_and_saveexec_b32 s41, s1
	s_cbranch_execz .LBB318_610
; %bb.605:                              ;   in Loop: Header=BB318_11 Depth=1
	v_bfe_u32 v92, v9, 16, 7
	v_mov_b32_e32 v89, 0x7c01
	s_mov_b32 s42, exec_lo
	v_cmpx_ne_u32_e32 0x7f, v92
	s_cbranch_execz .LBB318_609
; %bb.606:                              ;   in Loop: Header=BB318_11 Depth=1
	v_and_b32_e32 v89, 7, v3
	v_lshrrev_b32_e32 v91, 3, v92
	s_mov_b32 s43, exec_lo
	v_cmpx_gt_u32_e32 8, v92
; %bb.607:                              ;   in Loop: Header=BB318_11 Depth=1
	v_ffbh_u32_e32 v46, v89
	v_min_u32_e32 v46, 32, v46
	v_subrev_nc_u32_e32 v89, 28, v46
	v_sub_nc_u32_e32 v91, 29, v46
	v_lshlrev_b64 v[95:96], v89, v[3:4]
	v_and_b32_e32 v89, 7, v95
; %bb.608:                              ;   in Loop: Header=BB318_11 Depth=1
	s_or_b32 exec_lo, exec_lo, s43
	v_lshlrev_b32_e32 v3, 8, v3
	v_lshl_add_u32 v46, v91, 10, 0x2000
	v_lshlrev_b32_e32 v89, 7, v89
	v_and_b32_e32 v3, 0x8000, v3
	v_and_b32_e32 v46, 0xfc00, v46
	v_or3_b32 v89, v3, v46, v89
.LBB318_609:                            ;   in Loop: Header=BB318_11 Depth=1
	s_or_b32 exec_lo, exec_lo, s42
.LBB318_610:                            ;   in Loop: Header=BB318_11 Depth=1
	s_or_b32 exec_lo, exec_lo, s41
.LBB318_611:                            ;   in Loop: Header=BB318_11 Depth=1
	s_or_b32 exec_lo, exec_lo, s2
	v_mov_b32_e32 v91, 0
	v_mov_b32_e32 v92, 0
	s_mov_b32 s2, exec_lo
	v_cmpx_lt_u32_e32 0xffffff, v9
	s_cbranch_execz .LBB318_619
; %bb.612:                              ;   in Loop: Header=BB318_11 Depth=1
	v_lshrrev_b32_e32 v3, 24, v9
	v_bfrev_b32_e32 v92, 1
	s_mov_b32 s41, exec_lo
	v_cmpx_ne_u32_e32 0x80, v3
	s_cbranch_execz .LBB318_618
; %bb.613:                              ;   in Loop: Header=BB318_11 Depth=1
	v_and_b32_e32 v96, 0x7f, v3
	v_mov_b32_e32 v92, 0x7c010000
	s_mov_b32 s42, exec_lo
	v_cmpx_ne_u32_e32 0x7f, v96
	s_cbranch_execz .LBB318_617
; %bb.614:                              ;   in Loop: Header=BB318_11 Depth=1
	v_and_b32_e32 v92, 7, v3
	v_lshrrev_b32_e32 v95, 3, v96
	s_mov_b32 s43, exec_lo
	v_cmpx_gt_u32_e32 8, v96
; %bb.615:                              ;   in Loop: Header=BB318_11 Depth=1
	v_ffbh_u32_e32 v46, v92
	v_min_u32_e32 v46, 32, v46
	v_subrev_nc_u32_e32 v92, 28, v46
	v_sub_nc_u32_e32 v95, 29, v46
	v_lshlrev_b64 v[103:104], v92, v[3:4]
	v_and_b32_e32 v92, 7, v103
; %bb.616:                              ;   in Loop: Header=BB318_11 Depth=1
	s_or_b32 exec_lo, exec_lo, s43
	v_lshlrev_b32_e32 v3, 8, v3
	v_lshl_add_u32 v46, v95, 10, 0x2000
	v_and_or_b32 v3, 0x8000, v3, v46
	v_lshlrev_b32_e32 v46, 23, v92
	v_lshl_or_b32 v92, v3, 16, v46
.LBB318_617:                            ;   in Loop: Header=BB318_11 Depth=1
	s_or_b32 exec_lo, exec_lo, s42
.LBB318_618:                            ;   in Loop: Header=BB318_11 Depth=1
	s_or_b32 exec_lo, exec_lo, s41
.LBB318_619:                            ;   in Loop: Header=BB318_11 Depth=1
	s_or_b32 exec_lo, exec_lo, s2
	v_mov_b32_e32 v3, v10
	v_cmp_ne_u16_sdwa s1, v10, v4 src0_sel:BYTE_0 src1_sel:DWORD
	s_and_saveexec_b32 s2, s1
	s_cbranch_execz .LBB318_627
; %bb.620:                              ;   in Loop: Header=BB318_11 Depth=1
	v_cmp_ne_u16_sdwa s1, v10, v17 src0_sel:BYTE_0 src1_sel:DWORD
	v_mov_b32_e32 v91, 0x8000
	s_and_saveexec_b32 s41, s1
	s_cbranch_execz .LBB318_626
; %bb.621:                              ;   in Loop: Header=BB318_11 Depth=1
	v_and_b32_e32 v96, 0x7f, v10
	v_mov_b32_e32 v91, 0x7c01
	s_mov_b32 s42, exec_lo
	v_cmpx_ne_u32_e32 0x7f, v96
	s_cbranch_execz .LBB318_625
; %bb.622:                              ;   in Loop: Header=BB318_11 Depth=1
	v_and_b32_e32 v91, 7, v10
	v_lshrrev_b32_e32 v95, 3, v96
	s_mov_b32 s43, exec_lo
	v_cmpx_gt_u32_e32 8, v96
; %bb.623:                              ;   in Loop: Header=BB318_11 Depth=1
	v_ffbh_u32_e32 v46, v91
	v_min_u32_e32 v46, 32, v46
	v_subrev_nc_u32_e32 v91, 28, v46
	v_sub_nc_u32_e32 v95, 29, v46
	v_lshlrev_b64 v[103:104], v91, v[3:4]
	v_and_b32_e32 v91, 7, v103
; %bb.624:                              ;   in Loop: Header=BB318_11 Depth=1
	s_or_b32 exec_lo, exec_lo, s43
	v_lshlrev_b32_e32 v46, 8, v10
	v_lshl_add_u32 v95, v95, 10, 0x2000
	v_lshlrev_b32_e32 v91, 7, v91
	v_and_b32_e32 v46, 0x8000, v46
	v_and_b32_e32 v95, 0xfc00, v95
	v_or3_b32 v91, v46, v95, v91
.LBB318_625:                            ;   in Loop: Header=BB318_11 Depth=1
	s_or_b32 exec_lo, exec_lo, s42
.LBB318_626:                            ;   in Loop: Header=BB318_11 Depth=1
	s_or_b32 exec_lo, exec_lo, s41
.LBB318_627:                            ;   in Loop: Header=BB318_11 Depth=1
	s_or_b32 exec_lo, exec_lo, s2
	v_lshrrev_b16 v3, 8, v3
	v_mov_b32_e32 v96, 0
	v_mov_b32_e32 v95, 0
	s_mov_b32 s2, exec_lo
	v_cmpx_ne_u16_e32 0, v3
	s_cbranch_execz .LBB318_635
; %bb.628:                              ;   in Loop: Header=BB318_11 Depth=1
	v_bfrev_b32_e32 v95, 1
	s_mov_b32 s41, exec_lo
	v_cmpx_ne_u16_e32 0x80, v3
	s_cbranch_execz .LBB318_634
; %bb.629:                              ;   in Loop: Header=BB318_11 Depth=1
	v_and_b32_sdwa v103, v3, v20 dst_sel:DWORD dst_unused:UNUSED_PAD src0_sel:WORD_0 src1_sel:DWORD
	v_mov_b32_e32 v95, 0x7c010000
	s_mov_b32 s42, exec_lo
	v_cmpx_ne_u32_e32 0x7f, v103
	s_cbranch_execz .LBB318_633
; %bb.630:                              ;   in Loop: Header=BB318_11 Depth=1
	v_and_b32_sdwa v95, v3, v21 dst_sel:DWORD dst_unused:UNUSED_PAD src0_sel:WORD_0 src1_sel:DWORD
	v_lshrrev_b32_e32 v100, 3, v103
	s_mov_b32 s43, exec_lo
	v_cmpx_gt_u32_e32 8, v103
; %bb.631:                              ;   in Loop: Header=BB318_11 Depth=1
	v_ffbh_u32_e32 v46, v95
	v_min_u32_e32 v46, 32, v46
	v_subrev_nc_u32_e32 v95, 28, v46
	v_sub_nc_u32_e32 v100, 29, v46
	v_lshlrev_b64 v[103:104], v95, v[3:4]
	v_and_b32_e32 v95, 7, v103
; %bb.632:                              ;   in Loop: Header=BB318_11 Depth=1
	s_or_b32 exec_lo, exec_lo, s43
	v_lshlrev_b32_sdwa v3, v22, v3 dst_sel:DWORD dst_unused:UNUSED_PAD src0_sel:DWORD src1_sel:WORD_0
	v_lshl_add_u32 v46, v100, 10, 0x2000
	v_and_or_b32 v3, 0x8000, v3, v46
	v_lshlrev_b32_e32 v46, 23, v95
	v_lshl_or_b32 v95, v3, 16, v46
.LBB318_633:                            ;   in Loop: Header=BB318_11 Depth=1
	s_or_b32 exec_lo, exec_lo, s42
.LBB318_634:                            ;   in Loop: Header=BB318_11 Depth=1
	s_or_b32 exec_lo, exec_lo, s41
.LBB318_635:                            ;   in Loop: Header=BB318_11 Depth=1
	s_or_b32 exec_lo, exec_lo, s2
	v_lshrrev_b32_e32 v3, 16, v10
	v_cmp_ne_u16_sdwa s1, v3, v4 src0_sel:BYTE_0 src1_sel:DWORD
	s_and_saveexec_b32 s2, s1
	s_cbranch_execz .LBB318_643
; %bb.636:                              ;   in Loop: Header=BB318_11 Depth=1
	v_cmp_ne_u16_sdwa s1, v3, v17 src0_sel:BYTE_0 src1_sel:DWORD
	v_mov_b32_e32 v96, 0x8000
	s_and_saveexec_b32 s41, s1
	s_cbranch_execz .LBB318_642
; %bb.637:                              ;   in Loop: Header=BB318_11 Depth=1
	v_bfe_u32 v103, v10, 16, 7
	v_mov_b32_e32 v96, 0x7c01
	s_mov_b32 s42, exec_lo
	v_cmpx_ne_u32_e32 0x7f, v103
	s_cbranch_execz .LBB318_641
; %bb.638:                              ;   in Loop: Header=BB318_11 Depth=1
	v_and_b32_e32 v96, 7, v3
	v_lshrrev_b32_e32 v100, 3, v103
	s_mov_b32 s43, exec_lo
	v_cmpx_gt_u32_e32 8, v103
; %bb.639:                              ;   in Loop: Header=BB318_11 Depth=1
	v_ffbh_u32_e32 v46, v96
	v_min_u32_e32 v46, 32, v46
	v_subrev_nc_u32_e32 v96, 28, v46
	v_sub_nc_u32_e32 v100, 29, v46
	v_lshlrev_b64 v[103:104], v96, v[3:4]
	v_and_b32_e32 v96, 7, v103
; %bb.640:                              ;   in Loop: Header=BB318_11 Depth=1
	s_or_b32 exec_lo, exec_lo, s43
	v_lshlrev_b32_e32 v3, 8, v3
	v_lshl_add_u32 v46, v100, 10, 0x2000
	v_lshlrev_b32_e32 v96, 7, v96
	v_and_b32_e32 v3, 0x8000, v3
	v_and_b32_e32 v46, 0xfc00, v46
	v_or3_b32 v96, v3, v46, v96
.LBB318_641:                            ;   in Loop: Header=BB318_11 Depth=1
	s_or_b32 exec_lo, exec_lo, s42
.LBB318_642:                            ;   in Loop: Header=BB318_11 Depth=1
	s_or_b32 exec_lo, exec_lo, s41
.LBB318_643:                            ;   in Loop: Header=BB318_11 Depth=1
	s_or_b32 exec_lo, exec_lo, s2
	v_mov_b32_e32 v100, 0
	s_mov_b32 s2, exec_lo
	v_cmpx_lt_u64_e64 s[4:5], v[9:10]
	s_cbranch_execz .LBB318_10
; %bb.644:                              ;   in Loop: Header=BB318_11 Depth=1
	v_lshrrev_b32_e32 v3, 24, v10
	v_bfrev_b32_e32 v100, 1
	s_mov_b32 s41, exec_lo
	v_cmpx_ne_u32_e32 0x80, v3
	s_cbranch_execz .LBB318_9
; %bb.645:                              ;   in Loop: Header=BB318_11 Depth=1
	v_and_b32_e32 v103, 0x7f, v3
	v_mov_b32_e32 v100, 0x7c010000
	s_mov_b32 s42, exec_lo
	v_cmpx_ne_u32_e32 0x7f, v103
	s_cbranch_execz .LBB318_8
; %bb.646:                              ;   in Loop: Header=BB318_11 Depth=1
	v_and_b32_e32 v9, 7, v3
	v_lshrrev_b32_e32 v10, 3, v103
	s_mov_b32 s43, exec_lo
	v_cmpx_gt_u32_e32 8, v103
	s_cbranch_execz .LBB318_7
; %bb.647:                              ;   in Loop: Header=BB318_11 Depth=1
	v_ffbh_u32_e32 v9, v9
	v_min_u32_e32 v46, 32, v9
	v_subrev_nc_u32_e32 v9, 28, v46
	v_lshlrev_b64 v[9:10], v9, v[3:4]
	v_sub_nc_u32_e32 v10, 29, v46
	v_and_b32_e32 v9, 7, v9
	s_branch .LBB318_7
.LBB318_648:
	s_or_b32 exec_lo, exec_lo, s40
.LBB318_649:
	s_or_b32 exec_lo, exec_lo, s37
	v_mbcnt_lo_u32_b32 v3, -1, 0
	v_max_f32_e32 v7, v16, v16
	v_xor_b32_e32 v4, 16, v3
	v_xor_b32_e32 v6, 8, v3
	v_cmp_gt_i32_e32 vcc_lo, 32, v4
	v_cndmask_b32_e32 v4, v3, v4, vcc_lo
	v_cmp_gt_i32_e32 vcc_lo, 32, v6
	v_lshlrev_b32_e32 v4, 2, v4
	v_cndmask_b32_e32 v6, v3, v6, vcc_lo
	ds_bpermute_b32 v5, v4, v16
	s_waitcnt lgkmcnt(0)
	v_max_f32_e32 v8, v5, v5
	v_lshlrev_b32_e32 v5, 2, v6
	v_max_f32_e32 v6, v7, v8
	v_xor_b32_e32 v8, 4, v3
	ds_bpermute_b32 v7, v5, v6
	v_cmp_gt_i32_e32 vcc_lo, 32, v8
	v_cndmask_b32_e32 v8, v3, v8, vcc_lo
	s_waitcnt lgkmcnt(0)
	v_max_f32_e32 v9, v7, v7
	v_lshlrev_b32_e32 v7, 2, v8
	v_max_f32_e32 v6, v6, v9
	v_xor_b32_e32 v9, 2, v3
	ds_bpermute_b32 v8, v7, v6
	v_cmp_gt_i32_e32 vcc_lo, 32, v9
	v_cndmask_b32_e32 v9, v3, v9, vcc_lo
	v_lshlrev_b32_e32 v16, 2, v9
	v_xor_b32_e32 v9, 1, v3
	v_cmp_gt_i32_e32 vcc_lo, 32, v9
	s_waitcnt lgkmcnt(0)
	v_max_f32_e32 v8, v8, v8
	v_cndmask_b32_e32 v9, v3, v9, vcc_lo
	v_cmp_eq_u32_e32 vcc_lo, 0, v14
	v_max_f32_e32 v6, v6, v8
	v_lshlrev_b32_e32 v12, 2, v9
	ds_bpermute_b32 v8, v16, v6
	s_waitcnt lgkmcnt(0)
	v_max_f32_e32 v8, v8, v8
	v_max_f32_e32 v3, v6, v8
	v_lshlrev_b32_e32 v8, 2, v13
	ds_bpermute_b32 v6, v12, v3
	s_and_saveexec_b32 s1, vcc_lo
	s_cbranch_execz .LBB318_651
; %bb.650:
	s_waitcnt lgkmcnt(0)
	v_max_f32_e32 v6, v6, v6
	v_max_f32_e32 v3, v3, v3
	;; [unrolled: 1-line block ×3, first 2 shown]
	ds_write_b32 v8, v3 offset:160
.LBB318_651:
	s_or_b32 exec_lo, exec_lo, s1
	v_cmp_gt_u32_e64 s1, 4, v14
	v_mov_b32_e32 v3, 0xff7fffff
	s_waitcnt lgkmcnt(0)
	s_barrier
	buffer_gl0_inv
	s_and_saveexec_b32 s2, s1
; %bb.652:
	ds_read_b32 v3, v15 offset:160
; %bb.653:
	s_or_b32 exec_lo, exec_lo, s2
	s_waitcnt lgkmcnt(0)
	ds_bpermute_b32 v6, v16, v3
	v_max_f32_e32 v3, v3, v3
	v_mov_b32_e32 v9, 0
	s_sub_i32 s2, s11, s19
	s_lshl_b32 s2, s2, 5
	s_add_i32 s2, s2, s33
	s_min_i32 s2, s2, s29
	s_sub_i32 s4, s2, s33
	v_cmp_gt_i32_e64 s2, s4, v0
	s_waitcnt lgkmcnt(0)
	v_max_f32_e32 v6, v6, v6
	v_max_f32_e32 v3, v3, v6
	ds_bpermute_b32 v6, v12, v3
	s_waitcnt lgkmcnt(0)
	v_max_f32_e32 v6, v6, v6
	v_max_f32_e32 v3, v3, v6
	v_lshl_add_u32 v6, v0, 2, 0xc0
	ds_bpermute_b32 v3, v9, v3
	s_and_saveexec_b32 s5, s2
	s_cbranch_execz .LBB318_657
; %bb.654:
	v_lshl_add_u32 v10, v0, 2, 0xc0
	v_mov_b32_e32 v9, 0
	v_mov_b32_e32 v11, v0
	s_mov_b32 s12, 0
	.p2align	6
.LBB318_655:                            ; =>This Inner Loop Header: Depth=1
	ds_read_b32 v17, v10
	v_add_nc_u32_e32 v11, 0x80, v11
	v_cmp_le_i32_e64 s3, s4, v11
	s_or_b32 s12, s3, s12
	s_waitcnt lgkmcnt(0)
	v_sub_f32_e32 v17, v17, v3
	v_mul_f32_e32 v17, 0x3fb8aa3b, v17
	v_exp_f32_e32 v17, v17
	ds_write_b32 v10, v17
	v_add_f32_e32 v9, v9, v17
	v_add_nc_u32_e32 v10, 0x200, v10
	s_andn2_b32 exec_lo, exec_lo, s12
	s_cbranch_execnz .LBB318_655
; %bb.656:
	s_or_b32 exec_lo, exec_lo, s12
.LBB318_657:
	s_or_b32 exec_lo, exec_lo, s5
	ds_bpermute_b32 v4, v4, v9
	s_waitcnt lgkmcnt(0)
	v_add_f32_e32 v4, v9, v4
	ds_bpermute_b32 v5, v5, v4
	s_waitcnt lgkmcnt(0)
	v_add_f32_e32 v4, v4, v5
	;; [unrolled: 3-line block ×5, first 2 shown]
	s_and_saveexec_b32 s3, vcc_lo
; %bb.658:
	ds_write_b32 v8, v4 offset:176
; %bb.659:
	s_or_b32 exec_lo, exec_lo, s3
	s_waitcnt lgkmcnt(0)
	s_barrier
	buffer_gl0_inv
	s_and_saveexec_b32 s3, s1
; %bb.660:
	ds_read_b32 v4, v15 offset:176
; %bb.661:
	s_or_b32 exec_lo, exec_lo, s3
	s_waitcnt lgkmcnt(0)
	ds_bpermute_b32 v5, v16, v4
	s_waitcnt lgkmcnt(0)
	v_add_f32_e32 v4, v4, v5
	ds_bpermute_b32 v5, v12, v4
	s_waitcnt lgkmcnt(0)
	v_add_f32_e32 v4, v4, v5
	v_mov_b32_e32 v5, 0
	ds_bpermute_b32 v4, v5, v4
	s_and_saveexec_b32 s1, s2
	s_cbranch_execz .LBB318_664
; %bb.662:
	s_waitcnt lgkmcnt(0)
	v_add_f32_e32 v5, 0x358637bd, v4
	s_mov_b32 s2, 0
	v_div_scale_f32 v7, null, v5, v5, 1.0
	v_div_scale_f32 v10, vcc_lo, 1.0, v5, 1.0
	v_rcp_f32_e32 v8, v7
	v_fma_f32 v9, -v7, v8, 1.0
	v_fmac_f32_e32 v8, v9, v8
	v_mul_f32_e32 v9, v10, v8
	v_fma_f32 v11, -v7, v9, v10
	v_fmac_f32_e32 v9, v11, v8
	v_fma_f32 v7, -v7, v9, v10
	v_div_fmas_f32 v7, v7, v8, v9
	v_div_fixup_f32 v5, v7, v5, 1.0
	v_mov_b32_e32 v7, v0
.LBB318_663:                            ; =>This Inner Loop Header: Depth=1
	ds_read_b32 v8, v6
	v_add_nc_u32_e32 v7, 0x80, v7
	v_cmp_le_i32_e32 vcc_lo, s4, v7
	s_or_b32 s2, vcc_lo, s2
	s_waitcnt lgkmcnt(0)
	v_mul_f32_e32 v8, v5, v8
	ds_write_b32 v6, v8
	v_add_nc_u32_e32 v6, 0x200, v6
	s_andn2_b32 exec_lo, exec_lo, s2
	s_cbranch_execnz .LBB318_663
.LBB318_664:
	s_or_b32 exec_lo, exec_lo, s1
	s_mul_i32 s1, s7, s28
	s_waitcnt lgkmcnt(0)
	s_mul_i32 s2, s1, s9
	s_mov_b32 s1, exec_lo
	s_barrier
	buffer_gl0_inv
	v_cmpx_eq_u32_e32 0, v0
	s_cbranch_execz .LBB318_666
; %bb.665:
	s_ashr_i32 s3, s2, 31
	s_mul_i32 s12, s7, s6
	s_lshl_b64 s[4:5], s[2:3], 2
	v_mov_b32_e32 v5, 0
	s_add_u32 s3, s22, s4
	s_addc_u32 s6, s23, s5
	s_ashr_i32 s13, s12, 31
	s_lshl_b64 s[12:13], s[12:13], 2
	s_add_u32 s3, s3, s12
	s_addc_u32 s6, s6, s13
	s_ashr_i32 s9, s8, 31
	s_lshl_b64 s[22:23], s[8:9], 2
	s_add_u32 s36, s3, s22
	s_addc_u32 s37, s6, s23
	s_add_u32 s3, s20, s4
	s_addc_u32 s4, s21, s5
	;; [unrolled: 2-line block ×4, first 2 shown]
	global_store_dword v5, v3, s[36:37]
	global_store_dword v5, v4, s[4:5]
.LBB318_666:
	s_or_b32 exec_lo, exec_lo, s1
	v_mov_b32_e32 v24, 0
	v_and_b32_e32 v15, 3, v0
	v_mov_b32_e32 v26, 0
	v_mov_b32_e32 v25, 0
	;; [unrolled: 1-line block ×9, first 2 shown]
	s_and_saveexec_b32 s1, s0
	s_cbranch_execz .LBB318_1330
; %bb.667:
	v_lshlrev_b32_e32 v3, 3, v0
	v_lshlrev_b32_e32 v4, 5, v15
	v_lshl_add_u32 v7, v13, 5, s33
	s_ashr_i32 s0, s18, 31
	s_add_u32 s4, s30, s18
	v_and_b32_e32 v6, 24, v3
	v_and_b32_e32 v5, 0xf8, v3
	s_addc_u32 s0, s31, s0
	v_lshl_or_b32 v8, v13, 7, v4
	s_add_i32 s16, s16, -1
	v_add3_u32 v27, v7, v6, 7
	v_add_co_u32 v4, s4, s4, v5
	v_lshlrev_b64 v[6:7], 2, v[1:2]
	v_add_co_ci_u32_e64 v5, null, s0, 0, s4
	s_lshl_b64 s[4:5], s[34:35], 2
	v_mov_b32_e32 v3, 0
	s_add_u32 s0, s26, s4
	s_addc_u32 s4, s27, s5
	v_add_co_u32 v6, vcc_lo, s0, v6
	v_add_nc_u32_e32 v28, 0xc0, v8
	v_add_co_ci_u32_e64 v7, null, s4, v7, vcc_lo
	v_mov_b32_e32 v29, 0x80
	v_mov_b32_e32 v30, 0x7f
	;; [unrolled: 1-line block ×14, first 2 shown]
	s_mov_b32 s4, -1
	s_mov_b32 s3, s17
	s_mov_b32 s5, 0xffffff
	;; [unrolled: 1-line block ×3, first 2 shown]
	s_branch .LBB318_669
.LBB318_668:                            ;   in Loop: Header=BB318_669 Depth=1
	s_or_b32 exec_lo, exec_lo, s0
	v_add_f32_e32 v10, v10, v11
	v_add_f32_e32 v11, v58, v59
	v_add_nc_u32_e32 v1, 4, v1
	v_add_f32_e32 v33, v56, v57
	v_add_f32_e32 v34, v54, v55
	;; [unrolled: 1-line block ×6, first 2 shown]
	v_cmp_le_i32_e32 vcc_lo, s11, v1
	v_add_co_u32 v6, s0, v6, 16
	v_add_f32_e32 v23, v23, v10
	;;#ASMSTART
	v_pk_mul_f16 v10, v44, v60;

	;;#ASMEND
	;;#ASMSTART
	v_pk_mul_f16 v2, v41, v2;

	;;#ASMEND
	;; [unrolled: 4-line block ×4, first 2 shown]
	;;#ASMSTART
	v_pk_add_f16 v2, v10, v2;

	;;#ASMEND
	;;#ASMSTART
	v_pk_add_f16 v2, v2, v9;

	;;#ASMEND
	;; [unrolled: 4-line block ×3, first 2 shown]
	v_and_b32_e32 v10, 0xffff, v2
	v_lshrrev_b32_e32 v11, 16, v2
	;;#ASMSTART
	v_cvt_f32_f16 v10, v10;
	;;#ASMEND
	v_add_f32_e32 v2, v48, v49
	v_add_f32_e32 v8, v46, v47
	;; [unrolled: 1-line block ×3, first 2 shown]
	;;#ASMSTART
	v_cvt_f32_f16 v11, v11;
	;;#ASMEND
	v_add_f32_e32 v10, v10, v11
	v_add_f32_e32 v20, v20, v33
	;; [unrolled: 1-line block ×8, first 2 shown]
	v_add_nc_u32_e32 v27, 0x80, v27
	v_add_nc_u32_e32 v28, 0x200, v28
	v_add_co_ci_u32_e64 v7, null, 0, v7, s0
	s_or_b32 s6, vcc_lo, s6
	s_andn2_b32 exec_lo, exec_lo, s6
	s_cbranch_execz .LBB318_1329
.LBB318_669:                            ; =>This Inner Loop Header: Depth=1
	global_load_dword v2, v[6:7], off
	ds_read2_b64 v[33:36], v28 offset1:1
	ds_read2_b64 v[46:49], v28 offset0:2 offset1:3
	s_waitcnt lgkmcnt(1)
	;;#ASMSTART
	v_cvt_f16_f32 v38, v33;

	;;#ASMEND
	;;#ASMSTART
	v_cvt_f16_f32 v40, v34;

	;;#ASMEND
	;; [unrolled: 4-line block ×4, first 2 shown]
	s_waitcnt lgkmcnt(0)
	;;#ASMSTART
	v_cvt_f16_f32 v46, v46;

	;;#ASMEND
	;;#ASMSTART
	v_cvt_f16_f32 v43, v47;

	;;#ASMEND
	;; [unrolled: 4-line block ×4, first 2 shown]
	v_mov_b32_e32 v35, 0
	s_waitcnt vmcnt(0)
	v_mad_i64_i32 v[8:9], null, v2, s3, v[4:5]
	global_load_dwordx2 v[10:11], v[8:9], off
	global_load_dword v34, v3, s[14:15]
	s_waitcnt vmcnt(1)
	v_cmp_ne_u16_sdwa s9, v10, v3 src0_sel:BYTE_0 src1_sel:DWORD
	s_and_saveexec_b32 s0, s9
	s_cbranch_execz .LBB318_677
; %bb.670:                              ;   in Loop: Header=BB318_669 Depth=1
	v_cmp_ne_u16_sdwa s12, v10, v29 src0_sel:BYTE_0 src1_sel:DWORD
	v_mov_b32_e32 v35, 0x8000
	s_and_saveexec_b32 s9, s12
	s_cbranch_execz .LBB318_676
; %bb.671:                              ;   in Loop: Header=BB318_669 Depth=1
	v_and_b32_e32 v36, 0x7f, v10
	v_mov_b32_e32 v35, 0x7c01
	s_mov_b32 s12, exec_lo
	v_cmpx_ne_u32_e32 0x7f, v36
	s_cbranch_execz .LBB318_675
; %bb.672:                              ;   in Loop: Header=BB318_669 Depth=1
	v_and_b32_e32 v2, 7, v10
	v_lshrrev_b32_e32 v33, 3, v36
	s_mov_b32 s13, exec_lo
	v_cmpx_gt_u32_e32 8, v36
; %bb.673:                              ;   in Loop: Header=BB318_669 Depth=1
	v_ffbh_u32_e32 v2, v2
	v_min_u32_e32 v2, 32, v2
	v_subrev_nc_u32_e32 v33, 28, v2
	v_lshlrev_b64 v[35:36], v33, v[10:11]
	v_sub_nc_u32_e32 v33, 29, v2
	v_and_b32_e32 v2, 7, v35
; %bb.674:                              ;   in Loop: Header=BB318_669 Depth=1
	s_or_b32 exec_lo, exec_lo, s13
	v_lshlrev_b32_e32 v35, 8, v10
	v_lshl_add_u32 v33, v33, 10, 0x2000
	v_lshlrev_b32_e32 v2, 7, v2
	v_and_b32_e32 v35, 0x8000, v35
	v_and_b32_e32 v33, 0xfc00, v33
	v_or3_b32 v35, v35, v33, v2
.LBB318_675:                            ;   in Loop: Header=BB318_669 Depth=1
	s_or_b32 exec_lo, exec_lo, s12
.LBB318_676:                            ;   in Loop: Header=BB318_669 Depth=1
	s_or_b32 exec_lo, exec_lo, s9
.LBB318_677:                            ;   in Loop: Header=BB318_669 Depth=1
	s_or_b32 exec_lo, exec_lo, s0
	v_lshrrev_b16 v2, 8, v10
	v_mov_b32_e32 v33, 0
	v_mov_b32_e32 v36, 0
	s_mov_b32 s0, exec_lo
	v_cmpx_ne_u16_e32 0, v2
	s_cbranch_execz .LBB318_685
; %bb.678:                              ;   in Loop: Header=BB318_669 Depth=1
	v_bfrev_b32_e32 v36, 1
	s_mov_b32 s9, exec_lo
	v_cmpx_ne_u16_e32 0x80, v2
	s_cbranch_execz .LBB318_684
; %bb.679:                              ;   in Loop: Header=BB318_669 Depth=1
	v_and_b32_sdwa v39, v2, v30 dst_sel:DWORD dst_unused:UNUSED_PAD src0_sel:WORD_0 src1_sel:DWORD
	v_mov_b32_e32 v36, 0x7c010000
	s_mov_b32 s12, exec_lo
	v_cmpx_ne_u32_e32 0x7f, v39
	s_cbranch_execz .LBB318_683
; %bb.680:                              ;   in Loop: Header=BB318_669 Depth=1
	v_and_b32_sdwa v36, v2, v31 dst_sel:DWORD dst_unused:UNUSED_PAD src0_sel:WORD_0 src1_sel:DWORD
	v_lshrrev_b32_e32 v37, 3, v39
	s_mov_b32 s13, exec_lo
	v_cmpx_gt_u32_e32 8, v39
; %bb.681:                              ;   in Loop: Header=BB318_669 Depth=1
	v_ffbh_u32_e32 v36, v36
	v_min_u32_e32 v39, 32, v36
	v_subrev_nc_u32_e32 v36, 28, v39
	v_lshlrev_b64 v[36:37], v36, v[2:3]
	v_sub_nc_u32_e32 v37, 29, v39
	v_and_b32_e32 v36, 7, v36
; %bb.682:                              ;   in Loop: Header=BB318_669 Depth=1
	s_or_b32 exec_lo, exec_lo, s13
	v_lshlrev_b32_sdwa v2, v32, v2 dst_sel:DWORD dst_unused:UNUSED_PAD src0_sel:DWORD src1_sel:WORD_0
	v_lshl_add_u32 v37, v37, 10, 0x2000
	v_lshlrev_b32_e32 v36, 23, v36
	v_and_or_b32 v2, 0x8000, v2, v37
	v_lshl_or_b32 v36, v2, 16, v36
.LBB318_683:                            ;   in Loop: Header=BB318_669 Depth=1
	s_or_b32 exec_lo, exec_lo, s12
.LBB318_684:                            ;   in Loop: Header=BB318_669 Depth=1
	s_or_b32 exec_lo, exec_lo, s9
.LBB318_685:                            ;   in Loop: Header=BB318_669 Depth=1
	s_or_b32 exec_lo, exec_lo, s0
	v_lshrrev_b32_e32 v2, 16, v10
	v_cmp_ne_u16_sdwa s9, v2, v3 src0_sel:BYTE_0 src1_sel:DWORD
	s_and_saveexec_b32 s0, s9
	s_cbranch_execz .LBB318_693
; %bb.686:                              ;   in Loop: Header=BB318_669 Depth=1
	v_cmp_ne_u16_sdwa s12, v2, v29 src0_sel:BYTE_0 src1_sel:DWORD
	v_mov_b32_e32 v33, 0x8000
	s_and_saveexec_b32 s9, s12
	s_cbranch_execz .LBB318_692
; %bb.687:                              ;   in Loop: Header=BB318_669 Depth=1
	v_bfe_u32 v39, v10, 16, 7
	v_mov_b32_e32 v33, 0x7c01
	s_mov_b32 s12, exec_lo
	v_cmpx_ne_u32_e32 0x7f, v39
	s_cbranch_execz .LBB318_691
; %bb.688:                              ;   in Loop: Header=BB318_669 Depth=1
	v_and_b32_e32 v33, 7, v2
	v_lshrrev_b32_e32 v37, 3, v39
	s_mov_b32 s13, exec_lo
	v_cmpx_gt_u32_e32 8, v39
; %bb.689:                              ;   in Loop: Header=BB318_669 Depth=1
	v_ffbh_u32_e32 v33, v33
	v_min_u32_e32 v33, 32, v33
	v_subrev_nc_u32_e32 v37, 28, v33
	v_lshlrev_b64 v[48:49], v37, v[2:3]
	v_sub_nc_u32_e32 v37, 29, v33
	v_and_b32_e32 v33, 7, v48
; %bb.690:                              ;   in Loop: Header=BB318_669 Depth=1
	s_or_b32 exec_lo, exec_lo, s13
	v_lshlrev_b32_e32 v2, 8, v2
	v_lshl_add_u32 v37, v37, 10, 0x2000
	v_lshlrev_b32_e32 v33, 7, v33
	v_and_b32_e32 v2, 0x8000, v2
	v_and_b32_e32 v37, 0xfc00, v37
	v_or3_b32 v33, v2, v37, v33
.LBB318_691:                            ;   in Loop: Header=BB318_669 Depth=1
	s_or_b32 exec_lo, exec_lo, s12
.LBB318_692:                            ;   in Loop: Header=BB318_669 Depth=1
	s_or_b32 exec_lo, exec_lo, s9
.LBB318_693:                            ;   in Loop: Header=BB318_669 Depth=1
	s_or_b32 exec_lo, exec_lo, s0
	v_mov_b32_e32 v37, 0
	v_mov_b32_e32 v39, 0
	s_mov_b32 s0, exec_lo
	v_cmpx_lt_u32_e32 0xffffff, v10
	s_cbranch_execz .LBB318_701
; %bb.694:                              ;   in Loop: Header=BB318_669 Depth=1
	v_lshrrev_b32_e32 v2, 24, v10
	v_bfrev_b32_e32 v39, 1
	s_mov_b32 s9, exec_lo
	v_cmpx_ne_u32_e32 0x80, v2
	s_cbranch_execz .LBB318_700
; %bb.695:                              ;   in Loop: Header=BB318_669 Depth=1
	v_and_b32_e32 v48, 0x7f, v2
	v_mov_b32_e32 v39, 0x7c010000
	s_mov_b32 s12, exec_lo
	v_cmpx_ne_u32_e32 0x7f, v48
	s_cbranch_execz .LBB318_699
; %bb.696:                              ;   in Loop: Header=BB318_669 Depth=1
	v_and_b32_e32 v39, 7, v2
	v_lshrrev_b32_e32 v42, 3, v48
	s_mov_b32 s13, exec_lo
	v_cmpx_gt_u32_e32 8, v48
; %bb.697:                              ;   in Loop: Header=BB318_669 Depth=1
	v_ffbh_u32_e32 v39, v39
	v_min_u32_e32 v39, 32, v39
	v_subrev_nc_u32_e32 v42, 28, v39
	v_lshlrev_b64 v[48:49], v42, v[2:3]
	v_sub_nc_u32_e32 v42, 29, v39
	v_and_b32_e32 v39, 7, v48
; %bb.698:                              ;   in Loop: Header=BB318_669 Depth=1
	s_or_b32 exec_lo, exec_lo, s13
	v_lshlrev_b32_e32 v2, 8, v2
	v_lshl_add_u32 v42, v42, 10, 0x2000
	v_lshlrev_b32_e32 v39, 23, v39
	v_and_or_b32 v2, 0x8000, v2, v42
	v_lshl_or_b32 v39, v2, 16, v39
.LBB318_699:                            ;   in Loop: Header=BB318_669 Depth=1
	s_or_b32 exec_lo, exec_lo, s12
.LBB318_700:                            ;   in Loop: Header=BB318_669 Depth=1
	s_or_b32 exec_lo, exec_lo, s9
.LBB318_701:                            ;   in Loop: Header=BB318_669 Depth=1
	s_or_b32 exec_lo, exec_lo, s0
	v_mov_b32_e32 v2, v11
	v_cmp_ne_u16_sdwa s9, v11, v3 src0_sel:BYTE_0 src1_sel:DWORD
	s_and_saveexec_b32 s0, s9
	s_cbranch_execz .LBB318_709
; %bb.702:                              ;   in Loop: Header=BB318_669 Depth=1
	v_cmp_ne_u16_sdwa s12, v11, v29 src0_sel:BYTE_0 src1_sel:DWORD
	v_mov_b32_e32 v37, 0x8000
	s_and_saveexec_b32 s9, s12
	s_cbranch_execz .LBB318_708
; %bb.703:                              ;   in Loop: Header=BB318_669 Depth=1
	v_and_b32_e32 v48, 0x7f, v11
	v_mov_b32_e32 v37, 0x7c01
	s_mov_b32 s12, exec_lo
	v_cmpx_ne_u32_e32 0x7f, v48
	s_cbranch_execz .LBB318_707
; %bb.704:                              ;   in Loop: Header=BB318_669 Depth=1
	v_and_b32_e32 v37, 7, v11
	v_lshrrev_b32_e32 v42, 3, v48
	s_mov_b32 s13, exec_lo
	v_cmpx_gt_u32_e32 8, v48
; %bb.705:                              ;   in Loop: Header=BB318_669 Depth=1
	v_ffbh_u32_e32 v37, v37
	v_min_u32_e32 v37, 32, v37
	v_subrev_nc_u32_e32 v42, 28, v37
	v_lshlrev_b64 v[48:49], v42, v[2:3]
	v_sub_nc_u32_e32 v42, 29, v37
	v_and_b32_e32 v37, 7, v48
; %bb.706:                              ;   in Loop: Header=BB318_669 Depth=1
	s_or_b32 exec_lo, exec_lo, s13
	v_lshlrev_b32_e32 v48, 8, v11
	v_lshl_add_u32 v42, v42, 10, 0x2000
	v_lshlrev_b32_e32 v37, 7, v37
	v_and_b32_e32 v48, 0x8000, v48
	v_and_b32_e32 v42, 0xfc00, v42
	v_or3_b32 v37, v48, v42, v37
.LBB318_707:                            ;   in Loop: Header=BB318_669 Depth=1
	s_or_b32 exec_lo, exec_lo, s12
.LBB318_708:                            ;   in Loop: Header=BB318_669 Depth=1
	s_or_b32 exec_lo, exec_lo, s9
.LBB318_709:                            ;   in Loop: Header=BB318_669 Depth=1
	s_or_b32 exec_lo, exec_lo, s0
	v_lshrrev_b16 v2, 8, v2
	v_mov_b32_e32 v48, 0
	v_mov_b32_e32 v42, 0
	s_mov_b32 s0, exec_lo
	v_cmpx_ne_u16_e32 0, v2
	s_cbranch_execz .LBB318_717
; %bb.710:                              ;   in Loop: Header=BB318_669 Depth=1
	v_bfrev_b32_e32 v42, 1
	s_mov_b32 s9, exec_lo
	v_cmpx_ne_u16_e32 0x80, v2
	s_cbranch_execz .LBB318_716
; %bb.711:                              ;   in Loop: Header=BB318_669 Depth=1
	v_and_b32_sdwa v50, v2, v30 dst_sel:DWORD dst_unused:UNUSED_PAD src0_sel:WORD_0 src1_sel:DWORD
	v_mov_b32_e32 v42, 0x7c010000
	s_mov_b32 s12, exec_lo
	v_cmpx_ne_u32_e32 0x7f, v50
	s_cbranch_execz .LBB318_715
; %bb.712:                              ;   in Loop: Header=BB318_669 Depth=1
	v_and_b32_sdwa v42, v2, v31 dst_sel:DWORD dst_unused:UNUSED_PAD src0_sel:WORD_0 src1_sel:DWORD
	v_lshrrev_b32_e32 v49, 3, v50
	s_mov_b32 s13, exec_lo
	v_cmpx_gt_u32_e32 8, v50
; %bb.713:                              ;   in Loop: Header=BB318_669 Depth=1
	v_ffbh_u32_e32 v42, v42
	v_min_u32_e32 v42, 32, v42
	v_subrev_nc_u32_e32 v49, 28, v42
	v_lshlrev_b64 v[50:51], v49, v[2:3]
	v_sub_nc_u32_e32 v49, 29, v42
	v_and_b32_e32 v42, 7, v50
; %bb.714:                              ;   in Loop: Header=BB318_669 Depth=1
	s_or_b32 exec_lo, exec_lo, s13
	v_lshlrev_b32_sdwa v2, v32, v2 dst_sel:DWORD dst_unused:UNUSED_PAD src0_sel:DWORD src1_sel:WORD_0
	v_lshl_add_u32 v49, v49, 10, 0x2000
	v_lshlrev_b32_e32 v42, 23, v42
	v_and_or_b32 v2, 0x8000, v2, v49
	v_lshl_or_b32 v42, v2, 16, v42
.LBB318_715:                            ;   in Loop: Header=BB318_669 Depth=1
	s_or_b32 exec_lo, exec_lo, s12
.LBB318_716:                            ;   in Loop: Header=BB318_669 Depth=1
	s_or_b32 exec_lo, exec_lo, s9
.LBB318_717:                            ;   in Loop: Header=BB318_669 Depth=1
	s_or_b32 exec_lo, exec_lo, s0
	v_lshrrev_b32_e32 v2, 16, v11
	v_cmp_ne_u16_sdwa s9, v2, v3 src0_sel:BYTE_0 src1_sel:DWORD
	s_and_saveexec_b32 s0, s9
	s_cbranch_execz .LBB318_725
; %bb.718:                              ;   in Loop: Header=BB318_669 Depth=1
	v_cmp_ne_u16_sdwa s12, v2, v29 src0_sel:BYTE_0 src1_sel:DWORD
	v_mov_b32_e32 v48, 0x8000
	s_and_saveexec_b32 s9, s12
	s_cbranch_execz .LBB318_724
; %bb.719:                              ;   in Loop: Header=BB318_669 Depth=1
	v_bfe_u32 v50, v11, 16, 7
	v_mov_b32_e32 v48, 0x7c01
	s_mov_b32 s12, exec_lo
	v_cmpx_ne_u32_e32 0x7f, v50
	s_cbranch_execz .LBB318_723
; %bb.720:                              ;   in Loop: Header=BB318_669 Depth=1
	v_and_b32_e32 v48, 7, v2
	v_lshrrev_b32_e32 v49, 3, v50
	s_mov_b32 s13, exec_lo
	v_cmpx_gt_u32_e32 8, v50
; %bb.721:                              ;   in Loop: Header=BB318_669 Depth=1
	v_ffbh_u32_e32 v48, v48
	v_min_u32_e32 v50, 32, v48
	v_subrev_nc_u32_e32 v48, 28, v50
	v_lshlrev_b64 v[48:49], v48, v[2:3]
	v_sub_nc_u32_e32 v49, 29, v50
	v_and_b32_e32 v48, 7, v48
; %bb.722:                              ;   in Loop: Header=BB318_669 Depth=1
	s_or_b32 exec_lo, exec_lo, s13
	v_lshlrev_b32_e32 v2, 8, v2
	v_lshl_add_u32 v49, v49, 10, 0x2000
	v_lshlrev_b32_e32 v48, 7, v48
	v_and_b32_e32 v2, 0x8000, v2
	v_and_b32_e32 v49, 0xfc00, v49
	v_or3_b32 v48, v2, v49, v48
.LBB318_723:                            ;   in Loop: Header=BB318_669 Depth=1
	s_or_b32 exec_lo, exec_lo, s12
.LBB318_724:                            ;   in Loop: Header=BB318_669 Depth=1
	s_or_b32 exec_lo, exec_lo, s9
.LBB318_725:                            ;   in Loop: Header=BB318_669 Depth=1
	s_or_b32 exec_lo, exec_lo, s0
	v_cmp_lt_u64_e32 vcc_lo, s[4:5], v[10:11]
	v_mov_b32_e32 v10, 0
	s_and_saveexec_b32 s0, vcc_lo
	s_cbranch_execz .LBB318_733
; %bb.726:                              ;   in Loop: Header=BB318_669 Depth=1
	v_lshrrev_b32_e32 v2, 24, v11
	v_bfrev_b32_e32 v10, 1
	s_mov_b32 s9, exec_lo
	v_cmpx_ne_u32_e32 0x80, v2
	s_cbranch_execz .LBB318_732
; %bb.727:                              ;   in Loop: Header=BB318_669 Depth=1
	v_and_b32_e32 v49, 0x7f, v2
	v_mov_b32_e32 v10, 0x7c010000
	s_mov_b32 s12, exec_lo
	v_cmpx_ne_u32_e32 0x7f, v49
	s_cbranch_execz .LBB318_731
; %bb.728:                              ;   in Loop: Header=BB318_669 Depth=1
	v_and_b32_e32 v10, 7, v2
	v_lshrrev_b32_e32 v11, 3, v49
	s_mov_b32 s13, exec_lo
	v_cmpx_gt_u32_e32 8, v49
; %bb.729:                              ;   in Loop: Header=BB318_669 Depth=1
	v_ffbh_u32_e32 v10, v10
	v_min_u32_e32 v49, 32, v10
	v_subrev_nc_u32_e32 v10, 28, v49
	v_lshlrev_b64 v[10:11], v10, v[2:3]
	v_sub_nc_u32_e32 v11, 29, v49
	v_and_b32_e32 v10, 7, v10
; %bb.730:                              ;   in Loop: Header=BB318_669 Depth=1
	s_or_b32 exec_lo, exec_lo, s13
	v_lshlrev_b32_e32 v2, 8, v2
	v_lshl_add_u32 v11, v11, 10, 0x2000
	v_lshlrev_b32_e32 v10, 23, v10
	v_and_or_b32 v2, 0x8000, v2, v11
	v_lshl_or_b32 v10, v2, 16, v10
.LBB318_731:                            ;   in Loop: Header=BB318_669 Depth=1
	s_or_b32 exec_lo, exec_lo, s12
.LBB318_732:                            ;   in Loop: Header=BB318_669 Depth=1
	s_or_b32 exec_lo, exec_lo, s9
.LBB318_733:                            ;   in Loop: Header=BB318_669 Depth=1
	s_or_b32 exec_lo, exec_lo, s0
	v_or_b32_e32 v2, v39, v33
	s_waitcnt vmcnt(0)
	v_fma_mixlo_f16 v11, v34, v39, 0 op_sel:[0,1,0] op_sel_hi:[0,1,0]
	v_or_b32_e32 v35, v36, v35
	v_fma_mixlo_f16 v36, v34, v36, 0 op_sel:[0,1,0] op_sel_hi:[0,1,0]
	v_or_b32_e32 v37, v42, v37
	v_fma_mixlo_f16 v2, v34, v2, 0 op_sel_hi:[0,1,0]
	v_or_b32_e32 v39, v10, v48
	v_fma_mixlo_f16 v10, v34, v10, 0 op_sel:[0,1,0] op_sel_hi:[0,1,0]
	v_lshlrev_b32_e32 v54, 16, v36
	v_fma_mixlo_f16 v36, v34, v37, 0 op_sel_hi:[0,1,0]
	v_and_b32_e32 v51, 0xffff, v2
	v_fma_mixlo_f16 v2, v34, v35, 0 op_sel_hi:[0,1,0]
	v_fma_mixlo_f16 v35, v34, v42, 0 op_sel:[0,1,0] op_sel_hi:[0,1,0]
	v_fma_mixlo_f16 v34, v34, v39, 0 op_sel_hi:[0,1,0]
	v_lshlrev_b32_e32 v11, 16, v11
	v_and_b32_e32 v55, 0xffff, v36
	v_and_b32_e32 v56, 0xffff, v2
	v_lshlrev_b32_e32 v52, 16, v35
	v_lshlrev_b32_e32 v49, 16, v10
	v_and_b32_e32 v53, 0xffff, v34
	v_add_nc_u32_e32 v33, -7, v27
	v_cmp_eq_u32_e32 vcc_lo, s16, v1
	v_or_b32_e32 v2, v11, v51
	v_or_b32_e32 v10, v54, v56
	;; [unrolled: 1-line block ×4, first 2 shown]
	v_add_nc_u32_e32 v42, -6, v27
	v_add_nc_u32_e32 v39, -5, v27
	;; [unrolled: 1-line block ×6, first 2 shown]
	s_and_saveexec_b32 s9, vcc_lo
	s_cbranch_execz .LBB318_735
; %bb.734:                              ;   in Loop: Header=BB318_669 Depth=1
	v_cmp_gt_i32_e64 s0, s29, v33
	v_cndmask_b32_e64 v2, 0, v56, s0
	v_cmp_gt_i32_e64 s0, s29, v42
	v_cndmask_b32_e64 v10, 0, v54, s0
	v_cmp_gt_i32_e64 s0, s29, v39
	v_or_b32_e32 v10, v10, v2
	v_cndmask_b32_e64 v48, 0, v51, s0
	v_cmp_gt_i32_e64 s0, s29, v37
	v_cndmask_b32_e64 v11, 0, v11, s0
	v_cmp_gt_i32_e64 s0, s29, v36
	v_or_b32_e32 v2, v11, v48
	;; [unrolled: 5-line block ×3, first 2 shown]
	v_cndmask_b32_e64 v52, 0, v53, s0
	v_cmp_gt_i32_e64 s0, s29, v27
	v_cndmask_b32_e64 v49, 0, v49, s0
	v_or_b32_e32 v50, v49, v52
.LBB318_735:                            ;   in Loop: Header=BB318_669 Depth=1
	s_or_b32 exec_lo, exec_lo, s9
	v_and_b32_e32 v11, 0xffff, v38
	v_and_b32_e32 v38, 0xffff, v44
	;; [unrolled: 1-line block ×4, first 2 shown]
	v_lshl_or_b32 v44, v40, 16, v11
	v_lshl_or_b32 v41, v41, 16, v38
	;;#ASMSTART
	v_pk_mul_f16 v10, v44, v10;

	;;#ASMEND
	;;#ASMSTART
	v_pk_mul_f16 v2, v41, v2;

	;;#ASMEND
	v_lshl_or_b32 v40, v43, 16, v46
	v_lshl_or_b32 v38, v45, 16, v47
	;;#ASMSTART
	v_pk_mul_f16 v11, v40, v48;

	;;#ASMEND
	;;#ASMSTART
	v_pk_mul_f16 v43, v38, v50;

	;;#ASMEND
	;;#ASMSTART
	v_pk_add_f16 v2, v10, v2;

	;;#ASMEND
	;;#ASMSTART
	v_pk_add_f16 v2, v2, v11;
	;; [unrolled: 4-line block ×3, first 2 shown]

	;;#ASMEND
	v_and_b32_e32 v10, 0xffff, v2
	v_lshrrev_b32_e32 v2, 16, v2
	;;#ASMSTART
	v_cvt_f32_f16 v43, v10;
	;;#ASMEND
	;;#ASMSTART
	v_cvt_f32_f16 v45, v2;
	;;#ASMEND
	global_load_dwordx2 v[10:11], v[8:9], off offset:256
	v_mov_b32_e32 v47, 0
	v_mov_b32_e32 v48, 0
	global_load_dword v46, v47, s[14:15]
	s_waitcnt vmcnt(1)
	v_cmp_ne_u16_sdwa s0, v10, v3 src0_sel:BYTE_0 src1_sel:DWORD
	s_and_saveexec_b32 s9, s0
	s_cbranch_execz .LBB318_743
; %bb.736:                              ;   in Loop: Header=BB318_669 Depth=1
	v_cmp_ne_u16_sdwa s0, v10, v29 src0_sel:BYTE_0 src1_sel:DWORD
	v_mov_b32_e32 v48, 0x8000
	s_and_saveexec_b32 s12, s0
	s_cbranch_execz .LBB318_742
; %bb.737:                              ;   in Loop: Header=BB318_669 Depth=1
	v_and_b32_e32 v49, 0x7f, v10
	v_mov_b32_e32 v48, 0x7c01
	s_mov_b32 s13, exec_lo
	v_cmpx_ne_u32_e32 0x7f, v49
	s_cbranch_execz .LBB318_741
; %bb.738:                              ;   in Loop: Header=BB318_669 Depth=1
	v_and_b32_e32 v2, 7, v10
	v_lshrrev_b32_e32 v48, 3, v49
	s_mov_b32 s17, exec_lo
	v_cmpx_gt_u32_e32 8, v49
; %bb.739:                              ;   in Loop: Header=BB318_669 Depth=1
	v_ffbh_u32_e32 v2, v2
	v_min_u32_e32 v2, 32, v2
	v_subrev_nc_u32_e32 v48, 28, v2
	v_lshlrev_b64 v[49:50], v48, v[10:11]
	v_sub_nc_u32_e32 v48, 29, v2
	v_and_b32_e32 v2, 7, v49
; %bb.740:                              ;   in Loop: Header=BB318_669 Depth=1
	s_or_b32 exec_lo, exec_lo, s17
	v_lshlrev_b32_e32 v49, 8, v10
	v_lshl_add_u32 v48, v48, 10, 0x2000
	v_lshlrev_b32_e32 v2, 7, v2
	v_and_b32_e32 v49, 0x8000, v49
	v_and_b32_e32 v48, 0xfc00, v48
	v_or3_b32 v48, v49, v48, v2
.LBB318_741:                            ;   in Loop: Header=BB318_669 Depth=1
	s_or_b32 exec_lo, exec_lo, s13
.LBB318_742:                            ;   in Loop: Header=BB318_669 Depth=1
	s_or_b32 exec_lo, exec_lo, s12
.LBB318_743:                            ;   in Loop: Header=BB318_669 Depth=1
	s_or_b32 exec_lo, exec_lo, s9
	v_lshrrev_b16 v2, 8, v10
	s_mov_b32 s9, exec_lo
	v_cmpx_ne_u16_e32 0, v2
	s_cbranch_execz .LBB318_751
; %bb.744:                              ;   in Loop: Header=BB318_669 Depth=1
	v_bfrev_b32_e32 v47, 1
	s_mov_b32 s12, exec_lo
	v_cmpx_ne_u16_e32 0x80, v2
	s_cbranch_execz .LBB318_750
; %bb.745:                              ;   in Loop: Header=BB318_669 Depth=1
	v_and_b32_sdwa v50, v2, v30 dst_sel:DWORD dst_unused:UNUSED_PAD src0_sel:WORD_0 src1_sel:DWORD
	v_mov_b32_e32 v47, 0x7c010000
	s_mov_b32 s13, exec_lo
	v_cmpx_ne_u32_e32 0x7f, v50
	s_cbranch_execz .LBB318_749
; %bb.746:                              ;   in Loop: Header=BB318_669 Depth=1
	v_and_b32_sdwa v47, v2, v31 dst_sel:DWORD dst_unused:UNUSED_PAD src0_sel:WORD_0 src1_sel:DWORD
	v_lshrrev_b32_e32 v49, 3, v50
	s_mov_b32 s17, exec_lo
	v_cmpx_gt_u32_e32 8, v50
; %bb.747:                              ;   in Loop: Header=BB318_669 Depth=1
	v_ffbh_u32_e32 v47, v47
	v_min_u32_e32 v47, 32, v47
	v_subrev_nc_u32_e32 v49, 28, v47
	v_lshlrev_b64 v[50:51], v49, v[2:3]
	v_sub_nc_u32_e32 v49, 29, v47
	v_and_b32_e32 v47, 7, v50
; %bb.748:                              ;   in Loop: Header=BB318_669 Depth=1
	s_or_b32 exec_lo, exec_lo, s17
	v_lshlrev_b32_sdwa v2, v32, v2 dst_sel:DWORD dst_unused:UNUSED_PAD src0_sel:DWORD src1_sel:WORD_0
	v_lshl_add_u32 v49, v49, 10, 0x2000
	v_lshlrev_b32_e32 v47, 23, v47
	v_and_or_b32 v2, 0x8000, v2, v49
	v_lshl_or_b32 v47, v2, 16, v47
.LBB318_749:                            ;   in Loop: Header=BB318_669 Depth=1
	s_or_b32 exec_lo, exec_lo, s13
.LBB318_750:                            ;   in Loop: Header=BB318_669 Depth=1
	s_or_b32 exec_lo, exec_lo, s12
.LBB318_751:                            ;   in Loop: Header=BB318_669 Depth=1
	s_or_b32 exec_lo, exec_lo, s9
	v_lshrrev_b32_e32 v2, 16, v10
	v_mov_b32_e32 v49, 0
	v_mov_b32_e32 v50, 0
	v_cmp_ne_u16_sdwa s0, v2, v3 src0_sel:BYTE_0 src1_sel:DWORD
	s_and_saveexec_b32 s9, s0
	s_cbranch_execz .LBB318_759
; %bb.752:                              ;   in Loop: Header=BB318_669 Depth=1
	v_cmp_ne_u16_sdwa s0, v2, v29 src0_sel:BYTE_0 src1_sel:DWORD
	v_mov_b32_e32 v50, 0x8000
	s_and_saveexec_b32 s12, s0
	s_cbranch_execz .LBB318_758
; %bb.753:                              ;   in Loop: Header=BB318_669 Depth=1
	v_bfe_u32 v52, v10, 16, 7
	v_mov_b32_e32 v50, 0x7c01
	s_mov_b32 s13, exec_lo
	v_cmpx_ne_u32_e32 0x7f, v52
	s_cbranch_execz .LBB318_757
; %bb.754:                              ;   in Loop: Header=BB318_669 Depth=1
	v_and_b32_e32 v50, 7, v2
	v_lshrrev_b32_e32 v51, 3, v52
	s_mov_b32 s17, exec_lo
	v_cmpx_gt_u32_e32 8, v52
; %bb.755:                              ;   in Loop: Header=BB318_669 Depth=1
	v_ffbh_u32_e32 v50, v50
	v_min_u32_e32 v52, 32, v50
	v_subrev_nc_u32_e32 v50, 28, v52
	v_lshlrev_b64 v[50:51], v50, v[2:3]
	v_sub_nc_u32_e32 v51, 29, v52
	v_and_b32_e32 v50, 7, v50
; %bb.756:                              ;   in Loop: Header=BB318_669 Depth=1
	s_or_b32 exec_lo, exec_lo, s17
	v_lshlrev_b32_e32 v2, 8, v2
	v_lshl_add_u32 v51, v51, 10, 0x2000
	v_lshlrev_b32_e32 v50, 7, v50
	v_and_b32_e32 v2, 0x8000, v2
	v_and_b32_e32 v51, 0xfc00, v51
	v_or3_b32 v50, v2, v51, v50
.LBB318_757:                            ;   in Loop: Header=BB318_669 Depth=1
	s_or_b32 exec_lo, exec_lo, s13
.LBB318_758:                            ;   in Loop: Header=BB318_669 Depth=1
	s_or_b32 exec_lo, exec_lo, s12
.LBB318_759:                            ;   in Loop: Header=BB318_669 Depth=1
	s_or_b32 exec_lo, exec_lo, s9
	s_mov_b32 s9, exec_lo
	v_cmpx_lt_u32_e32 0xffffff, v10
	s_cbranch_execz .LBB318_767
; %bb.760:                              ;   in Loop: Header=BB318_669 Depth=1
	v_lshrrev_b32_e32 v2, 24, v10
	v_bfrev_b32_e32 v49, 1
	s_mov_b32 s12, exec_lo
	v_cmpx_ne_u32_e32 0x80, v2
	s_cbranch_execz .LBB318_766
; %bb.761:                              ;   in Loop: Header=BB318_669 Depth=1
	v_and_b32_e32 v52, 0x7f, v2
	v_mov_b32_e32 v49, 0x7c010000
	s_mov_b32 s13, exec_lo
	v_cmpx_ne_u32_e32 0x7f, v52
	s_cbranch_execz .LBB318_765
; %bb.762:                              ;   in Loop: Header=BB318_669 Depth=1
	v_and_b32_e32 v49, 7, v2
	v_lshrrev_b32_e32 v51, 3, v52
	s_mov_b32 s17, exec_lo
	v_cmpx_gt_u32_e32 8, v52
; %bb.763:                              ;   in Loop: Header=BB318_669 Depth=1
	v_ffbh_u32_e32 v49, v49
	v_min_u32_e32 v49, 32, v49
	v_subrev_nc_u32_e32 v51, 28, v49
	v_lshlrev_b64 v[52:53], v51, v[2:3]
	v_sub_nc_u32_e32 v51, 29, v49
	v_and_b32_e32 v49, 7, v52
; %bb.764:                              ;   in Loop: Header=BB318_669 Depth=1
	s_or_b32 exec_lo, exec_lo, s17
	v_lshlrev_b32_e32 v2, 8, v2
	v_lshl_add_u32 v51, v51, 10, 0x2000
	v_lshlrev_b32_e32 v49, 23, v49
	v_and_or_b32 v2, 0x8000, v2, v51
	v_lshl_or_b32 v49, v2, 16, v49
.LBB318_765:                            ;   in Loop: Header=BB318_669 Depth=1
	s_or_b32 exec_lo, exec_lo, s13
.LBB318_766:                            ;   in Loop: Header=BB318_669 Depth=1
	s_or_b32 exec_lo, exec_lo, s12
.LBB318_767:                            ;   in Loop: Header=BB318_669 Depth=1
	s_or_b32 exec_lo, exec_lo, s9
	v_mov_b32_e32 v2, v11
	v_cmp_ne_u16_sdwa s0, v11, v3 src0_sel:BYTE_0 src1_sel:DWORD
	v_mov_b32_e32 v51, 0
	v_mov_b32_e32 v52, 0
	s_and_saveexec_b32 s9, s0
	s_cbranch_execz .LBB318_775
; %bb.768:                              ;   in Loop: Header=BB318_669 Depth=1
	v_cmp_ne_u16_sdwa s0, v11, v29 src0_sel:BYTE_0 src1_sel:DWORD
	v_mov_b32_e32 v52, 0x8000
	s_and_saveexec_b32 s12, s0
	s_cbranch_execz .LBB318_774
; %bb.769:                              ;   in Loop: Header=BB318_669 Depth=1
	v_and_b32_e32 v54, 0x7f, v11
	v_mov_b32_e32 v52, 0x7c01
	s_mov_b32 s13, exec_lo
	v_cmpx_ne_u32_e32 0x7f, v54
	s_cbranch_execz .LBB318_773
; %bb.770:                              ;   in Loop: Header=BB318_669 Depth=1
	v_and_b32_e32 v52, 7, v11
	v_lshrrev_b32_e32 v53, 3, v54
	s_mov_b32 s17, exec_lo
	v_cmpx_gt_u32_e32 8, v54
; %bb.771:                              ;   in Loop: Header=BB318_669 Depth=1
	v_ffbh_u32_e32 v52, v52
	v_min_u32_e32 v54, 32, v52
	v_subrev_nc_u32_e32 v52, 28, v54
	v_lshlrev_b64 v[52:53], v52, v[2:3]
	v_sub_nc_u32_e32 v53, 29, v54
	v_and_b32_e32 v52, 7, v52
; %bb.772:                              ;   in Loop: Header=BB318_669 Depth=1
	s_or_b32 exec_lo, exec_lo, s17
	v_lshlrev_b32_e32 v54, 8, v11
	v_lshl_add_u32 v53, v53, 10, 0x2000
	v_lshlrev_b32_e32 v52, 7, v52
	v_and_b32_e32 v54, 0x8000, v54
	v_and_b32_e32 v53, 0xfc00, v53
	v_or3_b32 v52, v54, v53, v52
.LBB318_773:                            ;   in Loop: Header=BB318_669 Depth=1
	s_or_b32 exec_lo, exec_lo, s13
.LBB318_774:                            ;   in Loop: Header=BB318_669 Depth=1
	s_or_b32 exec_lo, exec_lo, s12
.LBB318_775:                            ;   in Loop: Header=BB318_669 Depth=1
	s_or_b32 exec_lo, exec_lo, s9
	v_lshrrev_b16 v2, 8, v2
	v_mov_b32_e32 v53, 0
	s_mov_b32 s9, exec_lo
	v_cmpx_ne_u16_e32 0, v2
	s_cbranch_execz .LBB318_783
; %bb.776:                              ;   in Loop: Header=BB318_669 Depth=1
	v_bfrev_b32_e32 v53, 1
	s_mov_b32 s12, exec_lo
	v_cmpx_ne_u16_e32 0x80, v2
	s_cbranch_execz .LBB318_782
; %bb.777:                              ;   in Loop: Header=BB318_669 Depth=1
	v_and_b32_sdwa v55, v2, v30 dst_sel:DWORD dst_unused:UNUSED_PAD src0_sel:WORD_0 src1_sel:DWORD
	v_mov_b32_e32 v53, 0x7c010000
	s_mov_b32 s13, exec_lo
	v_cmpx_ne_u32_e32 0x7f, v55
	s_cbranch_execz .LBB318_781
; %bb.778:                              ;   in Loop: Header=BB318_669 Depth=1
	v_and_b32_sdwa v53, v2, v31 dst_sel:DWORD dst_unused:UNUSED_PAD src0_sel:WORD_0 src1_sel:DWORD
	v_lshrrev_b32_e32 v54, 3, v55
	s_mov_b32 s17, exec_lo
	v_cmpx_gt_u32_e32 8, v55
; %bb.779:                              ;   in Loop: Header=BB318_669 Depth=1
	v_ffbh_u32_e32 v53, v53
	v_min_u32_e32 v55, 32, v53
	v_subrev_nc_u32_e32 v53, 28, v55
	v_lshlrev_b64 v[53:54], v53, v[2:3]
	v_sub_nc_u32_e32 v54, 29, v55
	v_and_b32_e32 v53, 7, v53
; %bb.780:                              ;   in Loop: Header=BB318_669 Depth=1
	s_or_b32 exec_lo, exec_lo, s17
	v_lshlrev_b32_sdwa v2, v32, v2 dst_sel:DWORD dst_unused:UNUSED_PAD src0_sel:DWORD src1_sel:WORD_0
	v_lshl_add_u32 v54, v54, 10, 0x2000
	v_lshlrev_b32_e32 v53, 23, v53
	v_and_or_b32 v2, 0x8000, v2, v54
	v_lshl_or_b32 v53, v2, 16, v53
.LBB318_781:                            ;   in Loop: Header=BB318_669 Depth=1
	s_or_b32 exec_lo, exec_lo, s13
.LBB318_782:                            ;   in Loop: Header=BB318_669 Depth=1
	s_or_b32 exec_lo, exec_lo, s12
.LBB318_783:                            ;   in Loop: Header=BB318_669 Depth=1
	s_or_b32 exec_lo, exec_lo, s9
	v_lshrrev_b32_e32 v2, 16, v11
	v_cmp_ne_u16_sdwa s0, v2, v3 src0_sel:BYTE_0 src1_sel:DWORD
	s_and_saveexec_b32 s9, s0
	s_cbranch_execz .LBB318_791
; %bb.784:                              ;   in Loop: Header=BB318_669 Depth=1
	v_cmp_ne_u16_sdwa s0, v2, v29 src0_sel:BYTE_0 src1_sel:DWORD
	v_mov_b32_e32 v51, 0x8000
	s_and_saveexec_b32 s12, s0
	s_cbranch_execz .LBB318_790
; %bb.785:                              ;   in Loop: Header=BB318_669 Depth=1
	v_bfe_u32 v55, v11, 16, 7
	v_mov_b32_e32 v51, 0x7c01
	s_mov_b32 s13, exec_lo
	v_cmpx_ne_u32_e32 0x7f, v55
	s_cbranch_execz .LBB318_789
; %bb.786:                              ;   in Loop: Header=BB318_669 Depth=1
	v_and_b32_e32 v51, 7, v2
	v_lshrrev_b32_e32 v54, 3, v55
	s_mov_b32 s17, exec_lo
	v_cmpx_gt_u32_e32 8, v55
; %bb.787:                              ;   in Loop: Header=BB318_669 Depth=1
	v_ffbh_u32_e32 v51, v51
	v_min_u32_e32 v51, 32, v51
	v_subrev_nc_u32_e32 v54, 28, v51
	v_lshlrev_b64 v[55:56], v54, v[2:3]
	v_sub_nc_u32_e32 v54, 29, v51
	v_and_b32_e32 v51, 7, v55
; %bb.788:                              ;   in Loop: Header=BB318_669 Depth=1
	s_or_b32 exec_lo, exec_lo, s17
	v_lshlrev_b32_e32 v2, 8, v2
	v_lshl_add_u32 v54, v54, 10, 0x2000
	v_lshlrev_b32_e32 v51, 7, v51
	v_and_b32_e32 v2, 0x8000, v2
	v_and_b32_e32 v54, 0xfc00, v54
	v_or3_b32 v51, v2, v54, v51
.LBB318_789:                            ;   in Loop: Header=BB318_669 Depth=1
	s_or_b32 exec_lo, exec_lo, s13
.LBB318_790:                            ;   in Loop: Header=BB318_669 Depth=1
	s_or_b32 exec_lo, exec_lo, s12
.LBB318_791:                            ;   in Loop: Header=BB318_669 Depth=1
	s_or_b32 exec_lo, exec_lo, s9
	v_cmp_lt_u64_e64 s0, s[4:5], v[10:11]
	v_mov_b32_e32 v10, 0
	s_and_saveexec_b32 s9, s0
	s_cbranch_execz .LBB318_799
; %bb.792:                              ;   in Loop: Header=BB318_669 Depth=1
	v_lshrrev_b32_e32 v2, 24, v11
	v_bfrev_b32_e32 v10, 1
	s_mov_b32 s12, exec_lo
	v_cmpx_ne_u32_e32 0x80, v2
	s_cbranch_execz .LBB318_798
; %bb.793:                              ;   in Loop: Header=BB318_669 Depth=1
	v_and_b32_e32 v54, 0x7f, v2
	v_mov_b32_e32 v10, 0x7c010000
	s_mov_b32 s13, exec_lo
	v_cmpx_ne_u32_e32 0x7f, v54
	s_cbranch_execz .LBB318_797
; %bb.794:                              ;   in Loop: Header=BB318_669 Depth=1
	v_and_b32_e32 v10, 7, v2
	v_lshrrev_b32_e32 v11, 3, v54
	s_mov_b32 s17, exec_lo
	v_cmpx_gt_u32_e32 8, v54
; %bb.795:                              ;   in Loop: Header=BB318_669 Depth=1
	v_ffbh_u32_e32 v10, v10
	v_min_u32_e32 v54, 32, v10
	v_subrev_nc_u32_e32 v10, 28, v54
	v_lshlrev_b64 v[10:11], v10, v[2:3]
	v_sub_nc_u32_e32 v11, 29, v54
	v_and_b32_e32 v10, 7, v10
; %bb.796:                              ;   in Loop: Header=BB318_669 Depth=1
	s_or_b32 exec_lo, exec_lo, s17
	v_lshlrev_b32_e32 v2, 8, v2
	v_lshl_add_u32 v11, v11, 10, 0x2000
	v_lshlrev_b32_e32 v10, 23, v10
	v_and_or_b32 v2, 0x8000, v2, v11
	v_lshl_or_b32 v10, v2, 16, v10
.LBB318_797:                            ;   in Loop: Header=BB318_669 Depth=1
	s_or_b32 exec_lo, exec_lo, s13
.LBB318_798:                            ;   in Loop: Header=BB318_669 Depth=1
	s_or_b32 exec_lo, exec_lo, s12
.LBB318_799:                            ;   in Loop: Header=BB318_669 Depth=1
	s_or_b32 exec_lo, exec_lo, s9
	v_or_b32_e32 v2, v49, v50
	s_waitcnt vmcnt(0)
	v_fma_mixlo_f16 v11, v46, v49, 0 op_sel:[0,1,0] op_sel_hi:[0,1,0]
	v_or_b32_e32 v49, v47, v48
	v_fma_mixlo_f16 v47, v46, v47, 0 op_sel:[0,1,0] op_sel_hi:[0,1,0]
	v_or_b32_e32 v50, v53, v52
	v_or_b32_e32 v51, v10, v51
	v_fma_mixlo_f16 v52, v46, v2, 0 op_sel_hi:[0,1,0]
	v_fma_mixlo_f16 v10, v46, v10, 0 op_sel:[0,1,0] op_sel_hi:[0,1,0]
	v_lshlrev_b32_e32 v48, 16, v47
	v_fma_mixlo_f16 v47, v46, v49, 0 op_sel_hi:[0,1,0]
	v_fma_mixlo_f16 v49, v46, v53, 0 op_sel:[0,1,0] op_sel_hi:[0,1,0]
	v_fma_mixlo_f16 v50, v46, v50, 0 op_sel_hi:[0,1,0]
	v_fma_mixlo_f16 v51, v46, v51, 0 op_sel_hi:[0,1,0]
	v_lshlrev_b32_e32 v2, 16, v11
	v_and_b32_e32 v11, 0xffff, v52
	v_and_b32_e32 v54, 0xffff, v47
	v_lshlrev_b32_e32 v46, 16, v49
	v_and_b32_e32 v50, 0xffff, v50
	v_lshlrev_b32_e32 v10, 16, v10
	v_and_b32_e32 v47, 0xffff, v51
	v_or_b32_e32 v49, v2, v11
	v_or_b32_e32 v53, v48, v54
	;; [unrolled: 1-line block ×4, first 2 shown]
	s_and_saveexec_b32 s9, vcc_lo
	s_cbranch_execz .LBB318_801
; %bb.800:                              ;   in Loop: Header=BB318_669 Depth=1
	v_cmp_gt_i32_e64 s0, s29, v33
	v_cndmask_b32_e64 v49, 0, v54, s0
	v_cmp_gt_i32_e64 s0, s29, v42
	v_cndmask_b32_e64 v48, 0, v48, s0
	v_cmp_gt_i32_e64 s0, s29, v39
	v_or_b32_e32 v53, v48, v49
	v_cndmask_b32_e64 v11, 0, v11, s0
	v_cmp_gt_i32_e64 s0, s29, v37
	v_cndmask_b32_e64 v2, 0, v2, s0
	v_cmp_gt_i32_e64 s0, s29, v36
	v_or_b32_e32 v49, v2, v11
	;; [unrolled: 5-line block ×3, first 2 shown]
	v_cndmask_b32_e64 v47, 0, v47, s0
	v_cmp_gt_i32_e64 s0, s29, v27
	v_cndmask_b32_e64 v10, 0, v10, s0
	v_or_b32_e32 v51, v10, v47
.LBB318_801:                            ;   in Loop: Header=BB318_669 Depth=1
	s_or_b32 exec_lo, exec_lo, s9
	;;#ASMSTART
	v_pk_mul_f16 v2, v44, v53;

	;;#ASMEND
	;;#ASMSTART
	v_pk_mul_f16 v10, v41, v49;

	;;#ASMEND
	;; [unrolled: 4-line block ×4, first 2 shown]
	;;#ASMSTART
	v_pk_add_f16 v2, v2, v10;

	;;#ASMEND
	;;#ASMSTART
	v_pk_add_f16 v2, v2, v11;

	;;#ASMEND
	;; [unrolled: 4-line block ×3, first 2 shown]
	v_and_b32_e32 v10, 0xffff, v2
	v_lshrrev_b32_e32 v2, 16, v2
	;;#ASMSTART
	v_cvt_f32_f16 v46, v10;
	;;#ASMEND
	;;#ASMSTART
	v_cvt_f32_f16 v47, v2;
	;;#ASMEND
	global_load_dwordx2 v[10:11], v[8:9], off offset:512
	v_mov_b32_e32 v49, 0
	v_mov_b32_e32 v50, 0
	global_load_dword v48, v49, s[14:15]
	s_waitcnt vmcnt(1)
	v_cmp_ne_u16_sdwa s0, v10, v3 src0_sel:BYTE_0 src1_sel:DWORD
	s_and_saveexec_b32 s9, s0
	s_cbranch_execz .LBB318_809
; %bb.802:                              ;   in Loop: Header=BB318_669 Depth=1
	v_cmp_ne_u16_sdwa s0, v10, v29 src0_sel:BYTE_0 src1_sel:DWORD
	v_mov_b32_e32 v50, 0x8000
	s_and_saveexec_b32 s12, s0
	s_cbranch_execz .LBB318_808
; %bb.803:                              ;   in Loop: Header=BB318_669 Depth=1
	v_and_b32_e32 v51, 0x7f, v10
	v_mov_b32_e32 v50, 0x7c01
	s_mov_b32 s13, exec_lo
	v_cmpx_ne_u32_e32 0x7f, v51
	s_cbranch_execz .LBB318_807
; %bb.804:                              ;   in Loop: Header=BB318_669 Depth=1
	v_and_b32_e32 v2, 7, v10
	v_lshrrev_b32_e32 v50, 3, v51
	s_mov_b32 s17, exec_lo
	v_cmpx_gt_u32_e32 8, v51
; %bb.805:                              ;   in Loop: Header=BB318_669 Depth=1
	v_ffbh_u32_e32 v2, v2
	v_min_u32_e32 v2, 32, v2
	v_subrev_nc_u32_e32 v50, 28, v2
	v_lshlrev_b64 v[51:52], v50, v[10:11]
	v_sub_nc_u32_e32 v50, 29, v2
	v_and_b32_e32 v2, 7, v51
; %bb.806:                              ;   in Loop: Header=BB318_669 Depth=1
	s_or_b32 exec_lo, exec_lo, s17
	v_lshlrev_b32_e32 v51, 8, v10
	v_lshl_add_u32 v50, v50, 10, 0x2000
	v_lshlrev_b32_e32 v2, 7, v2
	v_and_b32_e32 v51, 0x8000, v51
	v_and_b32_e32 v50, 0xfc00, v50
	v_or3_b32 v50, v51, v50, v2
.LBB318_807:                            ;   in Loop: Header=BB318_669 Depth=1
	s_or_b32 exec_lo, exec_lo, s13
.LBB318_808:                            ;   in Loop: Header=BB318_669 Depth=1
	s_or_b32 exec_lo, exec_lo, s12
.LBB318_809:                            ;   in Loop: Header=BB318_669 Depth=1
	s_or_b32 exec_lo, exec_lo, s9
	v_lshrrev_b16 v2, 8, v10
	s_mov_b32 s9, exec_lo
	v_cmpx_ne_u16_e32 0, v2
	s_cbranch_execz .LBB318_817
; %bb.810:                              ;   in Loop: Header=BB318_669 Depth=1
	v_bfrev_b32_e32 v49, 1
	s_mov_b32 s12, exec_lo
	v_cmpx_ne_u16_e32 0x80, v2
	s_cbranch_execz .LBB318_816
; %bb.811:                              ;   in Loop: Header=BB318_669 Depth=1
	v_and_b32_sdwa v52, v2, v30 dst_sel:DWORD dst_unused:UNUSED_PAD src0_sel:WORD_0 src1_sel:DWORD
	v_mov_b32_e32 v49, 0x7c010000
	s_mov_b32 s13, exec_lo
	v_cmpx_ne_u32_e32 0x7f, v52
	s_cbranch_execz .LBB318_815
; %bb.812:                              ;   in Loop: Header=BB318_669 Depth=1
	v_and_b32_sdwa v49, v2, v31 dst_sel:DWORD dst_unused:UNUSED_PAD src0_sel:WORD_0 src1_sel:DWORD
	v_lshrrev_b32_e32 v51, 3, v52
	s_mov_b32 s17, exec_lo
	v_cmpx_gt_u32_e32 8, v52
; %bb.813:                              ;   in Loop: Header=BB318_669 Depth=1
	v_ffbh_u32_e32 v49, v49
	v_min_u32_e32 v49, 32, v49
	v_subrev_nc_u32_e32 v51, 28, v49
	v_lshlrev_b64 v[52:53], v51, v[2:3]
	v_sub_nc_u32_e32 v51, 29, v49
	v_and_b32_e32 v49, 7, v52
; %bb.814:                              ;   in Loop: Header=BB318_669 Depth=1
	s_or_b32 exec_lo, exec_lo, s17
	v_lshlrev_b32_sdwa v2, v32, v2 dst_sel:DWORD dst_unused:UNUSED_PAD src0_sel:DWORD src1_sel:WORD_0
	v_lshl_add_u32 v51, v51, 10, 0x2000
	v_lshlrev_b32_e32 v49, 23, v49
	v_and_or_b32 v2, 0x8000, v2, v51
	v_lshl_or_b32 v49, v2, 16, v49
.LBB318_815:                            ;   in Loop: Header=BB318_669 Depth=1
	s_or_b32 exec_lo, exec_lo, s13
.LBB318_816:                            ;   in Loop: Header=BB318_669 Depth=1
	s_or_b32 exec_lo, exec_lo, s12
.LBB318_817:                            ;   in Loop: Header=BB318_669 Depth=1
	s_or_b32 exec_lo, exec_lo, s9
	v_lshrrev_b32_e32 v2, 16, v10
	v_mov_b32_e32 v51, 0
	v_mov_b32_e32 v52, 0
	v_cmp_ne_u16_sdwa s0, v2, v3 src0_sel:BYTE_0 src1_sel:DWORD
	s_and_saveexec_b32 s9, s0
	s_cbranch_execz .LBB318_825
; %bb.818:                              ;   in Loop: Header=BB318_669 Depth=1
	v_cmp_ne_u16_sdwa s0, v2, v29 src0_sel:BYTE_0 src1_sel:DWORD
	v_mov_b32_e32 v52, 0x8000
	s_and_saveexec_b32 s12, s0
	s_cbranch_execz .LBB318_824
; %bb.819:                              ;   in Loop: Header=BB318_669 Depth=1
	v_bfe_u32 v54, v10, 16, 7
	v_mov_b32_e32 v52, 0x7c01
	s_mov_b32 s13, exec_lo
	v_cmpx_ne_u32_e32 0x7f, v54
	s_cbranch_execz .LBB318_823
; %bb.820:                              ;   in Loop: Header=BB318_669 Depth=1
	v_and_b32_e32 v52, 7, v2
	v_lshrrev_b32_e32 v53, 3, v54
	s_mov_b32 s17, exec_lo
	v_cmpx_gt_u32_e32 8, v54
; %bb.821:                              ;   in Loop: Header=BB318_669 Depth=1
	v_ffbh_u32_e32 v52, v52
	v_min_u32_e32 v54, 32, v52
	v_subrev_nc_u32_e32 v52, 28, v54
	v_lshlrev_b64 v[52:53], v52, v[2:3]
	v_sub_nc_u32_e32 v53, 29, v54
	v_and_b32_e32 v52, 7, v52
; %bb.822:                              ;   in Loop: Header=BB318_669 Depth=1
	s_or_b32 exec_lo, exec_lo, s17
	v_lshlrev_b32_e32 v2, 8, v2
	v_lshl_add_u32 v53, v53, 10, 0x2000
	v_lshlrev_b32_e32 v52, 7, v52
	v_and_b32_e32 v2, 0x8000, v2
	v_and_b32_e32 v53, 0xfc00, v53
	v_or3_b32 v52, v2, v53, v52
.LBB318_823:                            ;   in Loop: Header=BB318_669 Depth=1
	s_or_b32 exec_lo, exec_lo, s13
.LBB318_824:                            ;   in Loop: Header=BB318_669 Depth=1
	s_or_b32 exec_lo, exec_lo, s12
.LBB318_825:                            ;   in Loop: Header=BB318_669 Depth=1
	s_or_b32 exec_lo, exec_lo, s9
	s_mov_b32 s9, exec_lo
	v_cmpx_lt_u32_e32 0xffffff, v10
	s_cbranch_execz .LBB318_833
; %bb.826:                              ;   in Loop: Header=BB318_669 Depth=1
	v_lshrrev_b32_e32 v2, 24, v10
	v_bfrev_b32_e32 v51, 1
	s_mov_b32 s12, exec_lo
	v_cmpx_ne_u32_e32 0x80, v2
	s_cbranch_execz .LBB318_832
; %bb.827:                              ;   in Loop: Header=BB318_669 Depth=1
	v_and_b32_e32 v54, 0x7f, v2
	v_mov_b32_e32 v51, 0x7c010000
	s_mov_b32 s13, exec_lo
	v_cmpx_ne_u32_e32 0x7f, v54
	s_cbranch_execz .LBB318_831
; %bb.828:                              ;   in Loop: Header=BB318_669 Depth=1
	v_and_b32_e32 v51, 7, v2
	v_lshrrev_b32_e32 v53, 3, v54
	s_mov_b32 s17, exec_lo
	v_cmpx_gt_u32_e32 8, v54
; %bb.829:                              ;   in Loop: Header=BB318_669 Depth=1
	v_ffbh_u32_e32 v51, v51
	v_min_u32_e32 v51, 32, v51
	v_subrev_nc_u32_e32 v53, 28, v51
	v_lshlrev_b64 v[54:55], v53, v[2:3]
	v_sub_nc_u32_e32 v53, 29, v51
	v_and_b32_e32 v51, 7, v54
; %bb.830:                              ;   in Loop: Header=BB318_669 Depth=1
	s_or_b32 exec_lo, exec_lo, s17
	v_lshlrev_b32_e32 v2, 8, v2
	v_lshl_add_u32 v53, v53, 10, 0x2000
	v_lshlrev_b32_e32 v51, 23, v51
	v_and_or_b32 v2, 0x8000, v2, v53
	v_lshl_or_b32 v51, v2, 16, v51
.LBB318_831:                            ;   in Loop: Header=BB318_669 Depth=1
	s_or_b32 exec_lo, exec_lo, s13
.LBB318_832:                            ;   in Loop: Header=BB318_669 Depth=1
	s_or_b32 exec_lo, exec_lo, s12
.LBB318_833:                            ;   in Loop: Header=BB318_669 Depth=1
	s_or_b32 exec_lo, exec_lo, s9
	v_mov_b32_e32 v2, v11
	v_cmp_ne_u16_sdwa s0, v11, v3 src0_sel:BYTE_0 src1_sel:DWORD
	v_mov_b32_e32 v53, 0
	v_mov_b32_e32 v54, 0
	s_and_saveexec_b32 s9, s0
	s_cbranch_execz .LBB318_841
; %bb.834:                              ;   in Loop: Header=BB318_669 Depth=1
	v_cmp_ne_u16_sdwa s0, v11, v29 src0_sel:BYTE_0 src1_sel:DWORD
	v_mov_b32_e32 v54, 0x8000
	s_and_saveexec_b32 s12, s0
	s_cbranch_execz .LBB318_840
; %bb.835:                              ;   in Loop: Header=BB318_669 Depth=1
	v_and_b32_e32 v56, 0x7f, v11
	v_mov_b32_e32 v54, 0x7c01
	s_mov_b32 s13, exec_lo
	v_cmpx_ne_u32_e32 0x7f, v56
	s_cbranch_execz .LBB318_839
; %bb.836:                              ;   in Loop: Header=BB318_669 Depth=1
	v_and_b32_e32 v54, 7, v11
	v_lshrrev_b32_e32 v55, 3, v56
	s_mov_b32 s17, exec_lo
	v_cmpx_gt_u32_e32 8, v56
; %bb.837:                              ;   in Loop: Header=BB318_669 Depth=1
	v_ffbh_u32_e32 v54, v54
	v_min_u32_e32 v56, 32, v54
	v_subrev_nc_u32_e32 v54, 28, v56
	v_lshlrev_b64 v[54:55], v54, v[2:3]
	v_sub_nc_u32_e32 v55, 29, v56
	v_and_b32_e32 v54, 7, v54
; %bb.838:                              ;   in Loop: Header=BB318_669 Depth=1
	s_or_b32 exec_lo, exec_lo, s17
	v_lshlrev_b32_e32 v56, 8, v11
	v_lshl_add_u32 v55, v55, 10, 0x2000
	v_lshlrev_b32_e32 v54, 7, v54
	v_and_b32_e32 v56, 0x8000, v56
	v_and_b32_e32 v55, 0xfc00, v55
	v_or3_b32 v54, v56, v55, v54
.LBB318_839:                            ;   in Loop: Header=BB318_669 Depth=1
	s_or_b32 exec_lo, exec_lo, s13
.LBB318_840:                            ;   in Loop: Header=BB318_669 Depth=1
	s_or_b32 exec_lo, exec_lo, s12
.LBB318_841:                            ;   in Loop: Header=BB318_669 Depth=1
	s_or_b32 exec_lo, exec_lo, s9
	v_lshrrev_b16 v2, 8, v2
	v_mov_b32_e32 v55, 0
	s_mov_b32 s9, exec_lo
	v_cmpx_ne_u16_e32 0, v2
	s_cbranch_execz .LBB318_849
; %bb.842:                              ;   in Loop: Header=BB318_669 Depth=1
	v_bfrev_b32_e32 v55, 1
	s_mov_b32 s12, exec_lo
	v_cmpx_ne_u16_e32 0x80, v2
	s_cbranch_execz .LBB318_848
; %bb.843:                              ;   in Loop: Header=BB318_669 Depth=1
	v_and_b32_sdwa v57, v2, v30 dst_sel:DWORD dst_unused:UNUSED_PAD src0_sel:WORD_0 src1_sel:DWORD
	v_mov_b32_e32 v55, 0x7c010000
	s_mov_b32 s13, exec_lo
	v_cmpx_ne_u32_e32 0x7f, v57
	s_cbranch_execz .LBB318_847
; %bb.844:                              ;   in Loop: Header=BB318_669 Depth=1
	v_and_b32_sdwa v55, v2, v31 dst_sel:DWORD dst_unused:UNUSED_PAD src0_sel:WORD_0 src1_sel:DWORD
	v_lshrrev_b32_e32 v56, 3, v57
	s_mov_b32 s17, exec_lo
	v_cmpx_gt_u32_e32 8, v57
; %bb.845:                              ;   in Loop: Header=BB318_669 Depth=1
	v_ffbh_u32_e32 v55, v55
	v_min_u32_e32 v57, 32, v55
	v_subrev_nc_u32_e32 v55, 28, v57
	v_lshlrev_b64 v[55:56], v55, v[2:3]
	v_sub_nc_u32_e32 v56, 29, v57
	v_and_b32_e32 v55, 7, v55
; %bb.846:                              ;   in Loop: Header=BB318_669 Depth=1
	s_or_b32 exec_lo, exec_lo, s17
	v_lshlrev_b32_sdwa v2, v32, v2 dst_sel:DWORD dst_unused:UNUSED_PAD src0_sel:DWORD src1_sel:WORD_0
	v_lshl_add_u32 v56, v56, 10, 0x2000
	v_lshlrev_b32_e32 v55, 23, v55
	v_and_or_b32 v2, 0x8000, v2, v56
	v_lshl_or_b32 v55, v2, 16, v55
.LBB318_847:                            ;   in Loop: Header=BB318_669 Depth=1
	s_or_b32 exec_lo, exec_lo, s13
.LBB318_848:                            ;   in Loop: Header=BB318_669 Depth=1
	s_or_b32 exec_lo, exec_lo, s12
.LBB318_849:                            ;   in Loop: Header=BB318_669 Depth=1
	s_or_b32 exec_lo, exec_lo, s9
	v_lshrrev_b32_e32 v2, 16, v11
	v_cmp_ne_u16_sdwa s0, v2, v3 src0_sel:BYTE_0 src1_sel:DWORD
	s_and_saveexec_b32 s9, s0
	s_cbranch_execz .LBB318_857
; %bb.850:                              ;   in Loop: Header=BB318_669 Depth=1
	v_cmp_ne_u16_sdwa s0, v2, v29 src0_sel:BYTE_0 src1_sel:DWORD
	v_mov_b32_e32 v53, 0x8000
	s_and_saveexec_b32 s12, s0
	s_cbranch_execz .LBB318_856
; %bb.851:                              ;   in Loop: Header=BB318_669 Depth=1
	v_bfe_u32 v57, v11, 16, 7
	v_mov_b32_e32 v53, 0x7c01
	s_mov_b32 s13, exec_lo
	v_cmpx_ne_u32_e32 0x7f, v57
	s_cbranch_execz .LBB318_855
; %bb.852:                              ;   in Loop: Header=BB318_669 Depth=1
	v_and_b32_e32 v53, 7, v2
	v_lshrrev_b32_e32 v56, 3, v57
	s_mov_b32 s17, exec_lo
	v_cmpx_gt_u32_e32 8, v57
; %bb.853:                              ;   in Loop: Header=BB318_669 Depth=1
	v_ffbh_u32_e32 v53, v53
	v_min_u32_e32 v53, 32, v53
	v_subrev_nc_u32_e32 v56, 28, v53
	v_lshlrev_b64 v[57:58], v56, v[2:3]
	v_sub_nc_u32_e32 v56, 29, v53
	v_and_b32_e32 v53, 7, v57
; %bb.854:                              ;   in Loop: Header=BB318_669 Depth=1
	s_or_b32 exec_lo, exec_lo, s17
	v_lshlrev_b32_e32 v2, 8, v2
	v_lshl_add_u32 v56, v56, 10, 0x2000
	v_lshlrev_b32_e32 v53, 7, v53
	v_and_b32_e32 v2, 0x8000, v2
	v_and_b32_e32 v56, 0xfc00, v56
	v_or3_b32 v53, v2, v56, v53
.LBB318_855:                            ;   in Loop: Header=BB318_669 Depth=1
	s_or_b32 exec_lo, exec_lo, s13
.LBB318_856:                            ;   in Loop: Header=BB318_669 Depth=1
	s_or_b32 exec_lo, exec_lo, s12
.LBB318_857:                            ;   in Loop: Header=BB318_669 Depth=1
	s_or_b32 exec_lo, exec_lo, s9
	v_cmp_lt_u64_e64 s0, s[4:5], v[10:11]
	v_mov_b32_e32 v10, 0
	s_and_saveexec_b32 s9, s0
	s_cbranch_execz .LBB318_865
; %bb.858:                              ;   in Loop: Header=BB318_669 Depth=1
	v_lshrrev_b32_e32 v2, 24, v11
	v_bfrev_b32_e32 v10, 1
	s_mov_b32 s12, exec_lo
	v_cmpx_ne_u32_e32 0x80, v2
	s_cbranch_execz .LBB318_864
; %bb.859:                              ;   in Loop: Header=BB318_669 Depth=1
	v_and_b32_e32 v56, 0x7f, v2
	v_mov_b32_e32 v10, 0x7c010000
	s_mov_b32 s13, exec_lo
	v_cmpx_ne_u32_e32 0x7f, v56
	s_cbranch_execz .LBB318_863
; %bb.860:                              ;   in Loop: Header=BB318_669 Depth=1
	v_and_b32_e32 v10, 7, v2
	v_lshrrev_b32_e32 v11, 3, v56
	s_mov_b32 s17, exec_lo
	v_cmpx_gt_u32_e32 8, v56
; %bb.861:                              ;   in Loop: Header=BB318_669 Depth=1
	v_ffbh_u32_e32 v10, v10
	v_min_u32_e32 v56, 32, v10
	v_subrev_nc_u32_e32 v10, 28, v56
	v_lshlrev_b64 v[10:11], v10, v[2:3]
	v_sub_nc_u32_e32 v11, 29, v56
	v_and_b32_e32 v10, 7, v10
; %bb.862:                              ;   in Loop: Header=BB318_669 Depth=1
	s_or_b32 exec_lo, exec_lo, s17
	v_lshlrev_b32_e32 v2, 8, v2
	v_lshl_add_u32 v11, v11, 10, 0x2000
	v_lshlrev_b32_e32 v10, 23, v10
	v_and_or_b32 v2, 0x8000, v2, v11
	v_lshl_or_b32 v10, v2, 16, v10
.LBB318_863:                            ;   in Loop: Header=BB318_669 Depth=1
	s_or_b32 exec_lo, exec_lo, s13
.LBB318_864:                            ;   in Loop: Header=BB318_669 Depth=1
	s_or_b32 exec_lo, exec_lo, s12
.LBB318_865:                            ;   in Loop: Header=BB318_669 Depth=1
	s_or_b32 exec_lo, exec_lo, s9
	v_or_b32_e32 v2, v51, v52
	s_waitcnt vmcnt(0)
	v_fma_mixlo_f16 v11, v48, v51, 0 op_sel:[0,1,0] op_sel_hi:[0,1,0]
	v_or_b32_e32 v51, v49, v50
	v_fma_mixlo_f16 v49, v48, v49, 0 op_sel:[0,1,0] op_sel_hi:[0,1,0]
	v_or_b32_e32 v52, v55, v54
	v_or_b32_e32 v53, v10, v53
	v_fma_mixlo_f16 v54, v48, v2, 0 op_sel_hi:[0,1,0]
	v_fma_mixlo_f16 v10, v48, v10, 0 op_sel:[0,1,0] op_sel_hi:[0,1,0]
	v_lshlrev_b32_e32 v50, 16, v49
	v_fma_mixlo_f16 v49, v48, v51, 0 op_sel_hi:[0,1,0]
	v_fma_mixlo_f16 v51, v48, v55, 0 op_sel:[0,1,0] op_sel_hi:[0,1,0]
	v_fma_mixlo_f16 v52, v48, v52, 0 op_sel_hi:[0,1,0]
	v_fma_mixlo_f16 v53, v48, v53, 0 op_sel_hi:[0,1,0]
	v_lshlrev_b32_e32 v2, 16, v11
	v_and_b32_e32 v11, 0xffff, v54
	v_and_b32_e32 v56, 0xffff, v49
	v_lshlrev_b32_e32 v48, 16, v51
	v_and_b32_e32 v52, 0xffff, v52
	v_lshlrev_b32_e32 v10, 16, v10
	v_and_b32_e32 v49, 0xffff, v53
	v_or_b32_e32 v51, v2, v11
	v_or_b32_e32 v55, v50, v56
	;; [unrolled: 1-line block ×4, first 2 shown]
	s_and_saveexec_b32 s9, vcc_lo
	s_cbranch_execz .LBB318_867
; %bb.866:                              ;   in Loop: Header=BB318_669 Depth=1
	v_cmp_gt_i32_e64 s0, s29, v33
	v_cndmask_b32_e64 v51, 0, v56, s0
	v_cmp_gt_i32_e64 s0, s29, v42
	v_cndmask_b32_e64 v50, 0, v50, s0
	v_cmp_gt_i32_e64 s0, s29, v39
	v_or_b32_e32 v55, v50, v51
	v_cndmask_b32_e64 v11, 0, v11, s0
	v_cmp_gt_i32_e64 s0, s29, v37
	v_cndmask_b32_e64 v2, 0, v2, s0
	v_cmp_gt_i32_e64 s0, s29, v36
	v_or_b32_e32 v51, v2, v11
	;; [unrolled: 5-line block ×3, first 2 shown]
	v_cndmask_b32_e64 v49, 0, v49, s0
	v_cmp_gt_i32_e64 s0, s29, v27
	v_cndmask_b32_e64 v10, 0, v10, s0
	v_or_b32_e32 v53, v10, v49
.LBB318_867:                            ;   in Loop: Header=BB318_669 Depth=1
	s_or_b32 exec_lo, exec_lo, s9
	;;#ASMSTART
	v_pk_mul_f16 v2, v44, v55;

	;;#ASMEND
	;;#ASMSTART
	v_pk_mul_f16 v10, v41, v51;

	;;#ASMEND
	;; [unrolled: 4-line block ×4, first 2 shown]
	;;#ASMSTART
	v_pk_add_f16 v2, v2, v10;

	;;#ASMEND
	;;#ASMSTART
	v_pk_add_f16 v2, v2, v11;

	;;#ASMEND
	;; [unrolled: 4-line block ×3, first 2 shown]
	v_and_b32_e32 v10, 0xffff, v2
	v_lshrrev_b32_e32 v2, 16, v2
	;;#ASMSTART
	v_cvt_f32_f16 v48, v10;
	;;#ASMEND
	;;#ASMSTART
	v_cvt_f32_f16 v49, v2;
	;;#ASMEND
	global_load_dwordx2 v[10:11], v[8:9], off offset:768
	v_mov_b32_e32 v51, 0
	v_mov_b32_e32 v52, 0
	global_load_dword v50, v51, s[14:15]
	s_waitcnt vmcnt(1)
	v_cmp_ne_u16_sdwa s0, v10, v3 src0_sel:BYTE_0 src1_sel:DWORD
	s_and_saveexec_b32 s9, s0
	s_cbranch_execz .LBB318_875
; %bb.868:                              ;   in Loop: Header=BB318_669 Depth=1
	v_cmp_ne_u16_sdwa s0, v10, v29 src0_sel:BYTE_0 src1_sel:DWORD
	v_mov_b32_e32 v52, 0x8000
	s_and_saveexec_b32 s12, s0
	s_cbranch_execz .LBB318_874
; %bb.869:                              ;   in Loop: Header=BB318_669 Depth=1
	v_and_b32_e32 v53, 0x7f, v10
	v_mov_b32_e32 v52, 0x7c01
	s_mov_b32 s13, exec_lo
	v_cmpx_ne_u32_e32 0x7f, v53
	s_cbranch_execz .LBB318_873
; %bb.870:                              ;   in Loop: Header=BB318_669 Depth=1
	v_and_b32_e32 v2, 7, v10
	v_lshrrev_b32_e32 v52, 3, v53
	s_mov_b32 s17, exec_lo
	v_cmpx_gt_u32_e32 8, v53
; %bb.871:                              ;   in Loop: Header=BB318_669 Depth=1
	v_ffbh_u32_e32 v2, v2
	v_min_u32_e32 v2, 32, v2
	v_subrev_nc_u32_e32 v52, 28, v2
	v_lshlrev_b64 v[53:54], v52, v[10:11]
	v_sub_nc_u32_e32 v52, 29, v2
	v_and_b32_e32 v2, 7, v53
; %bb.872:                              ;   in Loop: Header=BB318_669 Depth=1
	s_or_b32 exec_lo, exec_lo, s17
	v_lshlrev_b32_e32 v53, 8, v10
	v_lshl_add_u32 v52, v52, 10, 0x2000
	v_lshlrev_b32_e32 v2, 7, v2
	v_and_b32_e32 v53, 0x8000, v53
	v_and_b32_e32 v52, 0xfc00, v52
	v_or3_b32 v52, v53, v52, v2
.LBB318_873:                            ;   in Loop: Header=BB318_669 Depth=1
	s_or_b32 exec_lo, exec_lo, s13
.LBB318_874:                            ;   in Loop: Header=BB318_669 Depth=1
	s_or_b32 exec_lo, exec_lo, s12
.LBB318_875:                            ;   in Loop: Header=BB318_669 Depth=1
	s_or_b32 exec_lo, exec_lo, s9
	v_lshrrev_b16 v2, 8, v10
	s_mov_b32 s9, exec_lo
	v_cmpx_ne_u16_e32 0, v2
	s_cbranch_execz .LBB318_883
; %bb.876:                              ;   in Loop: Header=BB318_669 Depth=1
	v_bfrev_b32_e32 v51, 1
	s_mov_b32 s12, exec_lo
	v_cmpx_ne_u16_e32 0x80, v2
	s_cbranch_execz .LBB318_882
; %bb.877:                              ;   in Loop: Header=BB318_669 Depth=1
	v_and_b32_sdwa v54, v2, v30 dst_sel:DWORD dst_unused:UNUSED_PAD src0_sel:WORD_0 src1_sel:DWORD
	v_mov_b32_e32 v51, 0x7c010000
	s_mov_b32 s13, exec_lo
	v_cmpx_ne_u32_e32 0x7f, v54
	s_cbranch_execz .LBB318_881
; %bb.878:                              ;   in Loop: Header=BB318_669 Depth=1
	v_and_b32_sdwa v51, v2, v31 dst_sel:DWORD dst_unused:UNUSED_PAD src0_sel:WORD_0 src1_sel:DWORD
	v_lshrrev_b32_e32 v53, 3, v54
	s_mov_b32 s17, exec_lo
	v_cmpx_gt_u32_e32 8, v54
; %bb.879:                              ;   in Loop: Header=BB318_669 Depth=1
	v_ffbh_u32_e32 v51, v51
	v_min_u32_e32 v51, 32, v51
	v_subrev_nc_u32_e32 v53, 28, v51
	v_lshlrev_b64 v[54:55], v53, v[2:3]
	v_sub_nc_u32_e32 v53, 29, v51
	v_and_b32_e32 v51, 7, v54
; %bb.880:                              ;   in Loop: Header=BB318_669 Depth=1
	s_or_b32 exec_lo, exec_lo, s17
	v_lshlrev_b32_sdwa v2, v32, v2 dst_sel:DWORD dst_unused:UNUSED_PAD src0_sel:DWORD src1_sel:WORD_0
	v_lshl_add_u32 v53, v53, 10, 0x2000
	v_lshlrev_b32_e32 v51, 23, v51
	v_and_or_b32 v2, 0x8000, v2, v53
	v_lshl_or_b32 v51, v2, 16, v51
.LBB318_881:                            ;   in Loop: Header=BB318_669 Depth=1
	s_or_b32 exec_lo, exec_lo, s13
.LBB318_882:                            ;   in Loop: Header=BB318_669 Depth=1
	s_or_b32 exec_lo, exec_lo, s12
.LBB318_883:                            ;   in Loop: Header=BB318_669 Depth=1
	s_or_b32 exec_lo, exec_lo, s9
	v_lshrrev_b32_e32 v2, 16, v10
	v_mov_b32_e32 v53, 0
	v_mov_b32_e32 v54, 0
	v_cmp_ne_u16_sdwa s0, v2, v3 src0_sel:BYTE_0 src1_sel:DWORD
	s_and_saveexec_b32 s9, s0
	s_cbranch_execz .LBB318_891
; %bb.884:                              ;   in Loop: Header=BB318_669 Depth=1
	v_cmp_ne_u16_sdwa s0, v2, v29 src0_sel:BYTE_0 src1_sel:DWORD
	v_mov_b32_e32 v54, 0x8000
	s_and_saveexec_b32 s12, s0
	s_cbranch_execz .LBB318_890
; %bb.885:                              ;   in Loop: Header=BB318_669 Depth=1
	v_bfe_u32 v56, v10, 16, 7
	v_mov_b32_e32 v54, 0x7c01
	s_mov_b32 s13, exec_lo
	v_cmpx_ne_u32_e32 0x7f, v56
	s_cbranch_execz .LBB318_889
; %bb.886:                              ;   in Loop: Header=BB318_669 Depth=1
	v_and_b32_e32 v54, 7, v2
	v_lshrrev_b32_e32 v55, 3, v56
	s_mov_b32 s17, exec_lo
	v_cmpx_gt_u32_e32 8, v56
; %bb.887:                              ;   in Loop: Header=BB318_669 Depth=1
	v_ffbh_u32_e32 v54, v54
	v_min_u32_e32 v56, 32, v54
	v_subrev_nc_u32_e32 v54, 28, v56
	v_lshlrev_b64 v[54:55], v54, v[2:3]
	v_sub_nc_u32_e32 v55, 29, v56
	v_and_b32_e32 v54, 7, v54
; %bb.888:                              ;   in Loop: Header=BB318_669 Depth=1
	s_or_b32 exec_lo, exec_lo, s17
	v_lshlrev_b32_e32 v2, 8, v2
	v_lshl_add_u32 v55, v55, 10, 0x2000
	v_lshlrev_b32_e32 v54, 7, v54
	v_and_b32_e32 v2, 0x8000, v2
	v_and_b32_e32 v55, 0xfc00, v55
	v_or3_b32 v54, v2, v55, v54
.LBB318_889:                            ;   in Loop: Header=BB318_669 Depth=1
	s_or_b32 exec_lo, exec_lo, s13
.LBB318_890:                            ;   in Loop: Header=BB318_669 Depth=1
	s_or_b32 exec_lo, exec_lo, s12
.LBB318_891:                            ;   in Loop: Header=BB318_669 Depth=1
	s_or_b32 exec_lo, exec_lo, s9
	s_mov_b32 s9, exec_lo
	v_cmpx_lt_u32_e32 0xffffff, v10
	s_cbranch_execz .LBB318_899
; %bb.892:                              ;   in Loop: Header=BB318_669 Depth=1
	v_lshrrev_b32_e32 v2, 24, v10
	v_bfrev_b32_e32 v53, 1
	s_mov_b32 s12, exec_lo
	v_cmpx_ne_u32_e32 0x80, v2
	s_cbranch_execz .LBB318_898
; %bb.893:                              ;   in Loop: Header=BB318_669 Depth=1
	v_and_b32_e32 v56, 0x7f, v2
	v_mov_b32_e32 v53, 0x7c010000
	s_mov_b32 s13, exec_lo
	v_cmpx_ne_u32_e32 0x7f, v56
	s_cbranch_execz .LBB318_897
; %bb.894:                              ;   in Loop: Header=BB318_669 Depth=1
	v_and_b32_e32 v53, 7, v2
	v_lshrrev_b32_e32 v55, 3, v56
	s_mov_b32 s17, exec_lo
	v_cmpx_gt_u32_e32 8, v56
; %bb.895:                              ;   in Loop: Header=BB318_669 Depth=1
	v_ffbh_u32_e32 v53, v53
	v_min_u32_e32 v53, 32, v53
	v_subrev_nc_u32_e32 v55, 28, v53
	v_lshlrev_b64 v[56:57], v55, v[2:3]
	v_sub_nc_u32_e32 v55, 29, v53
	v_and_b32_e32 v53, 7, v56
; %bb.896:                              ;   in Loop: Header=BB318_669 Depth=1
	s_or_b32 exec_lo, exec_lo, s17
	v_lshlrev_b32_e32 v2, 8, v2
	v_lshl_add_u32 v55, v55, 10, 0x2000
	v_lshlrev_b32_e32 v53, 23, v53
	v_and_or_b32 v2, 0x8000, v2, v55
	v_lshl_or_b32 v53, v2, 16, v53
.LBB318_897:                            ;   in Loop: Header=BB318_669 Depth=1
	s_or_b32 exec_lo, exec_lo, s13
.LBB318_898:                            ;   in Loop: Header=BB318_669 Depth=1
	s_or_b32 exec_lo, exec_lo, s12
.LBB318_899:                            ;   in Loop: Header=BB318_669 Depth=1
	s_or_b32 exec_lo, exec_lo, s9
	v_mov_b32_e32 v2, v11
	v_cmp_ne_u16_sdwa s0, v11, v3 src0_sel:BYTE_0 src1_sel:DWORD
	v_mov_b32_e32 v55, 0
	v_mov_b32_e32 v56, 0
	s_and_saveexec_b32 s9, s0
	s_cbranch_execz .LBB318_907
; %bb.900:                              ;   in Loop: Header=BB318_669 Depth=1
	v_cmp_ne_u16_sdwa s0, v11, v29 src0_sel:BYTE_0 src1_sel:DWORD
	v_mov_b32_e32 v56, 0x8000
	s_and_saveexec_b32 s12, s0
	s_cbranch_execz .LBB318_906
; %bb.901:                              ;   in Loop: Header=BB318_669 Depth=1
	v_and_b32_e32 v58, 0x7f, v11
	v_mov_b32_e32 v56, 0x7c01
	s_mov_b32 s13, exec_lo
	v_cmpx_ne_u32_e32 0x7f, v58
	s_cbranch_execz .LBB318_905
; %bb.902:                              ;   in Loop: Header=BB318_669 Depth=1
	v_and_b32_e32 v56, 7, v11
	v_lshrrev_b32_e32 v57, 3, v58
	s_mov_b32 s17, exec_lo
	v_cmpx_gt_u32_e32 8, v58
; %bb.903:                              ;   in Loop: Header=BB318_669 Depth=1
	v_ffbh_u32_e32 v56, v56
	v_min_u32_e32 v58, 32, v56
	v_subrev_nc_u32_e32 v56, 28, v58
	v_lshlrev_b64 v[56:57], v56, v[2:3]
	v_sub_nc_u32_e32 v57, 29, v58
	v_and_b32_e32 v56, 7, v56
; %bb.904:                              ;   in Loop: Header=BB318_669 Depth=1
	s_or_b32 exec_lo, exec_lo, s17
	v_lshlrev_b32_e32 v58, 8, v11
	v_lshl_add_u32 v57, v57, 10, 0x2000
	v_lshlrev_b32_e32 v56, 7, v56
	v_and_b32_e32 v58, 0x8000, v58
	v_and_b32_e32 v57, 0xfc00, v57
	v_or3_b32 v56, v58, v57, v56
.LBB318_905:                            ;   in Loop: Header=BB318_669 Depth=1
	s_or_b32 exec_lo, exec_lo, s13
.LBB318_906:                            ;   in Loop: Header=BB318_669 Depth=1
	s_or_b32 exec_lo, exec_lo, s12
.LBB318_907:                            ;   in Loop: Header=BB318_669 Depth=1
	s_or_b32 exec_lo, exec_lo, s9
	v_lshrrev_b16 v2, 8, v2
	v_mov_b32_e32 v57, 0
	s_mov_b32 s9, exec_lo
	v_cmpx_ne_u16_e32 0, v2
	s_cbranch_execz .LBB318_915
; %bb.908:                              ;   in Loop: Header=BB318_669 Depth=1
	v_bfrev_b32_e32 v57, 1
	s_mov_b32 s12, exec_lo
	v_cmpx_ne_u16_e32 0x80, v2
	s_cbranch_execz .LBB318_914
; %bb.909:                              ;   in Loop: Header=BB318_669 Depth=1
	v_and_b32_sdwa v59, v2, v30 dst_sel:DWORD dst_unused:UNUSED_PAD src0_sel:WORD_0 src1_sel:DWORD
	v_mov_b32_e32 v57, 0x7c010000
	s_mov_b32 s13, exec_lo
	v_cmpx_ne_u32_e32 0x7f, v59
	s_cbranch_execz .LBB318_913
; %bb.910:                              ;   in Loop: Header=BB318_669 Depth=1
	v_and_b32_sdwa v57, v2, v31 dst_sel:DWORD dst_unused:UNUSED_PAD src0_sel:WORD_0 src1_sel:DWORD
	v_lshrrev_b32_e32 v58, 3, v59
	s_mov_b32 s17, exec_lo
	v_cmpx_gt_u32_e32 8, v59
; %bb.911:                              ;   in Loop: Header=BB318_669 Depth=1
	v_ffbh_u32_e32 v57, v57
	v_min_u32_e32 v59, 32, v57
	v_subrev_nc_u32_e32 v57, 28, v59
	v_lshlrev_b64 v[57:58], v57, v[2:3]
	v_sub_nc_u32_e32 v58, 29, v59
	v_and_b32_e32 v57, 7, v57
; %bb.912:                              ;   in Loop: Header=BB318_669 Depth=1
	s_or_b32 exec_lo, exec_lo, s17
	v_lshlrev_b32_sdwa v2, v32, v2 dst_sel:DWORD dst_unused:UNUSED_PAD src0_sel:DWORD src1_sel:WORD_0
	v_lshl_add_u32 v58, v58, 10, 0x2000
	v_lshlrev_b32_e32 v57, 23, v57
	v_and_or_b32 v2, 0x8000, v2, v58
	v_lshl_or_b32 v57, v2, 16, v57
.LBB318_913:                            ;   in Loop: Header=BB318_669 Depth=1
	s_or_b32 exec_lo, exec_lo, s13
.LBB318_914:                            ;   in Loop: Header=BB318_669 Depth=1
	s_or_b32 exec_lo, exec_lo, s12
.LBB318_915:                            ;   in Loop: Header=BB318_669 Depth=1
	s_or_b32 exec_lo, exec_lo, s9
	v_lshrrev_b32_e32 v2, 16, v11
	v_cmp_ne_u16_sdwa s0, v2, v3 src0_sel:BYTE_0 src1_sel:DWORD
	s_and_saveexec_b32 s9, s0
	s_cbranch_execz .LBB318_923
; %bb.916:                              ;   in Loop: Header=BB318_669 Depth=1
	v_cmp_ne_u16_sdwa s0, v2, v29 src0_sel:BYTE_0 src1_sel:DWORD
	v_mov_b32_e32 v55, 0x8000
	s_and_saveexec_b32 s12, s0
	s_cbranch_execz .LBB318_922
; %bb.917:                              ;   in Loop: Header=BB318_669 Depth=1
	v_bfe_u32 v59, v11, 16, 7
	v_mov_b32_e32 v55, 0x7c01
	s_mov_b32 s13, exec_lo
	v_cmpx_ne_u32_e32 0x7f, v59
	s_cbranch_execz .LBB318_921
; %bb.918:                              ;   in Loop: Header=BB318_669 Depth=1
	v_and_b32_e32 v55, 7, v2
	v_lshrrev_b32_e32 v58, 3, v59
	s_mov_b32 s17, exec_lo
	v_cmpx_gt_u32_e32 8, v59
; %bb.919:                              ;   in Loop: Header=BB318_669 Depth=1
	v_ffbh_u32_e32 v55, v55
	v_min_u32_e32 v55, 32, v55
	v_subrev_nc_u32_e32 v58, 28, v55
	v_lshlrev_b64 v[59:60], v58, v[2:3]
	v_sub_nc_u32_e32 v58, 29, v55
	v_and_b32_e32 v55, 7, v59
; %bb.920:                              ;   in Loop: Header=BB318_669 Depth=1
	s_or_b32 exec_lo, exec_lo, s17
	v_lshlrev_b32_e32 v2, 8, v2
	v_lshl_add_u32 v58, v58, 10, 0x2000
	v_lshlrev_b32_e32 v55, 7, v55
	v_and_b32_e32 v2, 0x8000, v2
	v_and_b32_e32 v58, 0xfc00, v58
	v_or3_b32 v55, v2, v58, v55
.LBB318_921:                            ;   in Loop: Header=BB318_669 Depth=1
	s_or_b32 exec_lo, exec_lo, s13
.LBB318_922:                            ;   in Loop: Header=BB318_669 Depth=1
	s_or_b32 exec_lo, exec_lo, s12
.LBB318_923:                            ;   in Loop: Header=BB318_669 Depth=1
	s_or_b32 exec_lo, exec_lo, s9
	v_cmp_lt_u64_e64 s0, s[4:5], v[10:11]
	v_mov_b32_e32 v10, 0
	s_and_saveexec_b32 s9, s0
	s_cbranch_execz .LBB318_931
; %bb.924:                              ;   in Loop: Header=BB318_669 Depth=1
	v_lshrrev_b32_e32 v2, 24, v11
	v_bfrev_b32_e32 v10, 1
	s_mov_b32 s12, exec_lo
	v_cmpx_ne_u32_e32 0x80, v2
	s_cbranch_execz .LBB318_930
; %bb.925:                              ;   in Loop: Header=BB318_669 Depth=1
	v_and_b32_e32 v58, 0x7f, v2
	v_mov_b32_e32 v10, 0x7c010000
	s_mov_b32 s13, exec_lo
	v_cmpx_ne_u32_e32 0x7f, v58
	s_cbranch_execz .LBB318_929
; %bb.926:                              ;   in Loop: Header=BB318_669 Depth=1
	v_and_b32_e32 v10, 7, v2
	v_lshrrev_b32_e32 v11, 3, v58
	s_mov_b32 s17, exec_lo
	v_cmpx_gt_u32_e32 8, v58
; %bb.927:                              ;   in Loop: Header=BB318_669 Depth=1
	v_ffbh_u32_e32 v10, v10
	v_min_u32_e32 v58, 32, v10
	v_subrev_nc_u32_e32 v10, 28, v58
	v_lshlrev_b64 v[10:11], v10, v[2:3]
	v_sub_nc_u32_e32 v11, 29, v58
	v_and_b32_e32 v10, 7, v10
; %bb.928:                              ;   in Loop: Header=BB318_669 Depth=1
	s_or_b32 exec_lo, exec_lo, s17
	v_lshlrev_b32_e32 v2, 8, v2
	v_lshl_add_u32 v11, v11, 10, 0x2000
	v_lshlrev_b32_e32 v10, 23, v10
	v_and_or_b32 v2, 0x8000, v2, v11
	v_lshl_or_b32 v10, v2, 16, v10
.LBB318_929:                            ;   in Loop: Header=BB318_669 Depth=1
	s_or_b32 exec_lo, exec_lo, s13
.LBB318_930:                            ;   in Loop: Header=BB318_669 Depth=1
	s_or_b32 exec_lo, exec_lo, s12
.LBB318_931:                            ;   in Loop: Header=BB318_669 Depth=1
	s_or_b32 exec_lo, exec_lo, s9
	v_or_b32_e32 v2, v53, v54
	s_waitcnt vmcnt(0)
	v_fma_mixlo_f16 v11, v50, v53, 0 op_sel:[0,1,0] op_sel_hi:[0,1,0]
	v_or_b32_e32 v53, v51, v52
	v_fma_mixlo_f16 v51, v50, v51, 0 op_sel:[0,1,0] op_sel_hi:[0,1,0]
	v_or_b32_e32 v54, v57, v56
	v_or_b32_e32 v55, v10, v55
	v_fma_mixlo_f16 v56, v50, v2, 0 op_sel_hi:[0,1,0]
	v_fma_mixlo_f16 v10, v50, v10, 0 op_sel:[0,1,0] op_sel_hi:[0,1,0]
	v_lshlrev_b32_e32 v52, 16, v51
	v_fma_mixlo_f16 v51, v50, v53, 0 op_sel_hi:[0,1,0]
	v_fma_mixlo_f16 v53, v50, v57, 0 op_sel:[0,1,0] op_sel_hi:[0,1,0]
	v_fma_mixlo_f16 v54, v50, v54, 0 op_sel_hi:[0,1,0]
	v_fma_mixlo_f16 v55, v50, v55, 0 op_sel_hi:[0,1,0]
	v_lshlrev_b32_e32 v2, 16, v11
	v_and_b32_e32 v11, 0xffff, v56
	v_and_b32_e32 v58, 0xffff, v51
	v_lshlrev_b32_e32 v50, 16, v53
	v_and_b32_e32 v54, 0xffff, v54
	v_lshlrev_b32_e32 v10, 16, v10
	v_and_b32_e32 v51, 0xffff, v55
	v_or_b32_e32 v53, v2, v11
	v_or_b32_e32 v57, v52, v58
	v_or_b32_e32 v56, v50, v54
	v_or_b32_e32 v55, v10, v51
	s_and_saveexec_b32 s9, vcc_lo
	s_cbranch_execz .LBB318_933
; %bb.932:                              ;   in Loop: Header=BB318_669 Depth=1
	v_cmp_gt_i32_e64 s0, s29, v33
	v_cndmask_b32_e64 v53, 0, v58, s0
	v_cmp_gt_i32_e64 s0, s29, v42
	v_cndmask_b32_e64 v52, 0, v52, s0
	v_cmp_gt_i32_e64 s0, s29, v39
	v_or_b32_e32 v57, v52, v53
	v_cndmask_b32_e64 v11, 0, v11, s0
	v_cmp_gt_i32_e64 s0, s29, v37
	v_cndmask_b32_e64 v2, 0, v2, s0
	v_cmp_gt_i32_e64 s0, s29, v36
	v_or_b32_e32 v53, v2, v11
	;; [unrolled: 5-line block ×3, first 2 shown]
	v_cndmask_b32_e64 v51, 0, v51, s0
	v_cmp_gt_i32_e64 s0, s29, v27
	v_cndmask_b32_e64 v10, 0, v10, s0
	v_or_b32_e32 v55, v10, v51
.LBB318_933:                            ;   in Loop: Header=BB318_669 Depth=1
	s_or_b32 exec_lo, exec_lo, s9
	;;#ASMSTART
	v_pk_mul_f16 v2, v44, v57;

	;;#ASMEND
	;;#ASMSTART
	v_pk_mul_f16 v10, v41, v53;

	;;#ASMEND
	;; [unrolled: 4-line block ×4, first 2 shown]
	;;#ASMSTART
	v_pk_add_f16 v2, v2, v10;

	;;#ASMEND
	;;#ASMSTART
	v_pk_add_f16 v2, v2, v11;

	;;#ASMEND
	;; [unrolled: 4-line block ×3, first 2 shown]
	v_and_b32_e32 v10, 0xffff, v2
	v_lshrrev_b32_e32 v2, 16, v2
	;;#ASMSTART
	v_cvt_f32_f16 v50, v10;
	;;#ASMEND
	;;#ASMSTART
	v_cvt_f32_f16 v51, v2;
	;;#ASMEND
	global_load_dwordx2 v[10:11], v[8:9], off offset:1024
	v_mov_b32_e32 v53, 0
	v_mov_b32_e32 v54, 0
	global_load_dword v52, v53, s[14:15]
	s_waitcnt vmcnt(1)
	v_cmp_ne_u16_sdwa s0, v10, v3 src0_sel:BYTE_0 src1_sel:DWORD
	s_and_saveexec_b32 s9, s0
	s_cbranch_execz .LBB318_941
; %bb.934:                              ;   in Loop: Header=BB318_669 Depth=1
	v_cmp_ne_u16_sdwa s0, v10, v29 src0_sel:BYTE_0 src1_sel:DWORD
	v_mov_b32_e32 v54, 0x8000
	s_and_saveexec_b32 s12, s0
	s_cbranch_execz .LBB318_940
; %bb.935:                              ;   in Loop: Header=BB318_669 Depth=1
	v_and_b32_e32 v55, 0x7f, v10
	v_mov_b32_e32 v54, 0x7c01
	s_mov_b32 s13, exec_lo
	v_cmpx_ne_u32_e32 0x7f, v55
	s_cbranch_execz .LBB318_939
; %bb.936:                              ;   in Loop: Header=BB318_669 Depth=1
	v_and_b32_e32 v2, 7, v10
	v_lshrrev_b32_e32 v54, 3, v55
	s_mov_b32 s17, exec_lo
	v_cmpx_gt_u32_e32 8, v55
; %bb.937:                              ;   in Loop: Header=BB318_669 Depth=1
	v_ffbh_u32_e32 v2, v2
	v_min_u32_e32 v2, 32, v2
	v_subrev_nc_u32_e32 v54, 28, v2
	v_lshlrev_b64 v[55:56], v54, v[10:11]
	v_sub_nc_u32_e32 v54, 29, v2
	v_and_b32_e32 v2, 7, v55
; %bb.938:                              ;   in Loop: Header=BB318_669 Depth=1
	s_or_b32 exec_lo, exec_lo, s17
	v_lshlrev_b32_e32 v55, 8, v10
	v_lshl_add_u32 v54, v54, 10, 0x2000
	v_lshlrev_b32_e32 v2, 7, v2
	v_and_b32_e32 v55, 0x8000, v55
	v_and_b32_e32 v54, 0xfc00, v54
	v_or3_b32 v54, v55, v54, v2
.LBB318_939:                            ;   in Loop: Header=BB318_669 Depth=1
	s_or_b32 exec_lo, exec_lo, s13
.LBB318_940:                            ;   in Loop: Header=BB318_669 Depth=1
	s_or_b32 exec_lo, exec_lo, s12
.LBB318_941:                            ;   in Loop: Header=BB318_669 Depth=1
	s_or_b32 exec_lo, exec_lo, s9
	v_lshrrev_b16 v2, 8, v10
	s_mov_b32 s9, exec_lo
	v_cmpx_ne_u16_e32 0, v2
	s_cbranch_execz .LBB318_949
; %bb.942:                              ;   in Loop: Header=BB318_669 Depth=1
	v_bfrev_b32_e32 v53, 1
	s_mov_b32 s12, exec_lo
	v_cmpx_ne_u16_e32 0x80, v2
	s_cbranch_execz .LBB318_948
; %bb.943:                              ;   in Loop: Header=BB318_669 Depth=1
	v_and_b32_sdwa v56, v2, v30 dst_sel:DWORD dst_unused:UNUSED_PAD src0_sel:WORD_0 src1_sel:DWORD
	v_mov_b32_e32 v53, 0x7c010000
	s_mov_b32 s13, exec_lo
	v_cmpx_ne_u32_e32 0x7f, v56
	s_cbranch_execz .LBB318_947
; %bb.944:                              ;   in Loop: Header=BB318_669 Depth=1
	v_and_b32_sdwa v53, v2, v31 dst_sel:DWORD dst_unused:UNUSED_PAD src0_sel:WORD_0 src1_sel:DWORD
	v_lshrrev_b32_e32 v55, 3, v56
	s_mov_b32 s17, exec_lo
	v_cmpx_gt_u32_e32 8, v56
; %bb.945:                              ;   in Loop: Header=BB318_669 Depth=1
	v_ffbh_u32_e32 v53, v53
	v_min_u32_e32 v53, 32, v53
	v_subrev_nc_u32_e32 v55, 28, v53
	v_lshlrev_b64 v[56:57], v55, v[2:3]
	v_sub_nc_u32_e32 v55, 29, v53
	v_and_b32_e32 v53, 7, v56
; %bb.946:                              ;   in Loop: Header=BB318_669 Depth=1
	s_or_b32 exec_lo, exec_lo, s17
	v_lshlrev_b32_sdwa v2, v32, v2 dst_sel:DWORD dst_unused:UNUSED_PAD src0_sel:DWORD src1_sel:WORD_0
	v_lshl_add_u32 v55, v55, 10, 0x2000
	v_lshlrev_b32_e32 v53, 23, v53
	v_and_or_b32 v2, 0x8000, v2, v55
	v_lshl_or_b32 v53, v2, 16, v53
.LBB318_947:                            ;   in Loop: Header=BB318_669 Depth=1
	s_or_b32 exec_lo, exec_lo, s13
.LBB318_948:                            ;   in Loop: Header=BB318_669 Depth=1
	s_or_b32 exec_lo, exec_lo, s12
.LBB318_949:                            ;   in Loop: Header=BB318_669 Depth=1
	s_or_b32 exec_lo, exec_lo, s9
	v_lshrrev_b32_e32 v2, 16, v10
	v_mov_b32_e32 v55, 0
	v_mov_b32_e32 v56, 0
	v_cmp_ne_u16_sdwa s0, v2, v3 src0_sel:BYTE_0 src1_sel:DWORD
	s_and_saveexec_b32 s9, s0
	s_cbranch_execz .LBB318_957
; %bb.950:                              ;   in Loop: Header=BB318_669 Depth=1
	v_cmp_ne_u16_sdwa s0, v2, v29 src0_sel:BYTE_0 src1_sel:DWORD
	v_mov_b32_e32 v56, 0x8000
	s_and_saveexec_b32 s12, s0
	s_cbranch_execz .LBB318_956
; %bb.951:                              ;   in Loop: Header=BB318_669 Depth=1
	v_bfe_u32 v58, v10, 16, 7
	v_mov_b32_e32 v56, 0x7c01
	s_mov_b32 s13, exec_lo
	v_cmpx_ne_u32_e32 0x7f, v58
	s_cbranch_execz .LBB318_955
; %bb.952:                              ;   in Loop: Header=BB318_669 Depth=1
	v_and_b32_e32 v56, 7, v2
	v_lshrrev_b32_e32 v57, 3, v58
	s_mov_b32 s17, exec_lo
	v_cmpx_gt_u32_e32 8, v58
; %bb.953:                              ;   in Loop: Header=BB318_669 Depth=1
	v_ffbh_u32_e32 v56, v56
	v_min_u32_e32 v58, 32, v56
	v_subrev_nc_u32_e32 v56, 28, v58
	v_lshlrev_b64 v[56:57], v56, v[2:3]
	v_sub_nc_u32_e32 v57, 29, v58
	v_and_b32_e32 v56, 7, v56
; %bb.954:                              ;   in Loop: Header=BB318_669 Depth=1
	s_or_b32 exec_lo, exec_lo, s17
	v_lshlrev_b32_e32 v2, 8, v2
	v_lshl_add_u32 v57, v57, 10, 0x2000
	v_lshlrev_b32_e32 v56, 7, v56
	v_and_b32_e32 v2, 0x8000, v2
	v_and_b32_e32 v57, 0xfc00, v57
	v_or3_b32 v56, v2, v57, v56
.LBB318_955:                            ;   in Loop: Header=BB318_669 Depth=1
	s_or_b32 exec_lo, exec_lo, s13
.LBB318_956:                            ;   in Loop: Header=BB318_669 Depth=1
	s_or_b32 exec_lo, exec_lo, s12
.LBB318_957:                            ;   in Loop: Header=BB318_669 Depth=1
	s_or_b32 exec_lo, exec_lo, s9
	s_mov_b32 s9, exec_lo
	v_cmpx_lt_u32_e32 0xffffff, v10
	s_cbranch_execz .LBB318_965
; %bb.958:                              ;   in Loop: Header=BB318_669 Depth=1
	v_lshrrev_b32_e32 v2, 24, v10
	v_bfrev_b32_e32 v55, 1
	s_mov_b32 s12, exec_lo
	v_cmpx_ne_u32_e32 0x80, v2
	s_cbranch_execz .LBB318_964
; %bb.959:                              ;   in Loop: Header=BB318_669 Depth=1
	v_and_b32_e32 v58, 0x7f, v2
	v_mov_b32_e32 v55, 0x7c010000
	s_mov_b32 s13, exec_lo
	v_cmpx_ne_u32_e32 0x7f, v58
	s_cbranch_execz .LBB318_963
; %bb.960:                              ;   in Loop: Header=BB318_669 Depth=1
	v_and_b32_e32 v55, 7, v2
	v_lshrrev_b32_e32 v57, 3, v58
	s_mov_b32 s17, exec_lo
	v_cmpx_gt_u32_e32 8, v58
; %bb.961:                              ;   in Loop: Header=BB318_669 Depth=1
	v_ffbh_u32_e32 v55, v55
	v_min_u32_e32 v55, 32, v55
	v_subrev_nc_u32_e32 v57, 28, v55
	v_lshlrev_b64 v[58:59], v57, v[2:3]
	v_sub_nc_u32_e32 v57, 29, v55
	v_and_b32_e32 v55, 7, v58
; %bb.962:                              ;   in Loop: Header=BB318_669 Depth=1
	s_or_b32 exec_lo, exec_lo, s17
	v_lshlrev_b32_e32 v2, 8, v2
	v_lshl_add_u32 v57, v57, 10, 0x2000
	v_lshlrev_b32_e32 v55, 23, v55
	v_and_or_b32 v2, 0x8000, v2, v57
	v_lshl_or_b32 v55, v2, 16, v55
.LBB318_963:                            ;   in Loop: Header=BB318_669 Depth=1
	s_or_b32 exec_lo, exec_lo, s13
.LBB318_964:                            ;   in Loop: Header=BB318_669 Depth=1
	s_or_b32 exec_lo, exec_lo, s12
.LBB318_965:                            ;   in Loop: Header=BB318_669 Depth=1
	s_or_b32 exec_lo, exec_lo, s9
	v_mov_b32_e32 v2, v11
	v_cmp_ne_u16_sdwa s0, v11, v3 src0_sel:BYTE_0 src1_sel:DWORD
	v_mov_b32_e32 v57, 0
	v_mov_b32_e32 v58, 0
	s_and_saveexec_b32 s9, s0
	s_cbranch_execz .LBB318_973
; %bb.966:                              ;   in Loop: Header=BB318_669 Depth=1
	v_cmp_ne_u16_sdwa s0, v11, v29 src0_sel:BYTE_0 src1_sel:DWORD
	v_mov_b32_e32 v58, 0x8000
	s_and_saveexec_b32 s12, s0
	s_cbranch_execz .LBB318_972
; %bb.967:                              ;   in Loop: Header=BB318_669 Depth=1
	v_and_b32_e32 v60, 0x7f, v11
	v_mov_b32_e32 v58, 0x7c01
	s_mov_b32 s13, exec_lo
	v_cmpx_ne_u32_e32 0x7f, v60
	s_cbranch_execz .LBB318_971
; %bb.968:                              ;   in Loop: Header=BB318_669 Depth=1
	v_and_b32_e32 v58, 7, v11
	v_lshrrev_b32_e32 v59, 3, v60
	s_mov_b32 s17, exec_lo
	v_cmpx_gt_u32_e32 8, v60
; %bb.969:                              ;   in Loop: Header=BB318_669 Depth=1
	v_ffbh_u32_e32 v58, v58
	v_min_u32_e32 v60, 32, v58
	v_subrev_nc_u32_e32 v58, 28, v60
	v_lshlrev_b64 v[58:59], v58, v[2:3]
	v_sub_nc_u32_e32 v59, 29, v60
	v_and_b32_e32 v58, 7, v58
; %bb.970:                              ;   in Loop: Header=BB318_669 Depth=1
	s_or_b32 exec_lo, exec_lo, s17
	v_lshlrev_b32_e32 v60, 8, v11
	v_lshl_add_u32 v59, v59, 10, 0x2000
	v_lshlrev_b32_e32 v58, 7, v58
	v_and_b32_e32 v60, 0x8000, v60
	v_and_b32_e32 v59, 0xfc00, v59
	v_or3_b32 v58, v60, v59, v58
.LBB318_971:                            ;   in Loop: Header=BB318_669 Depth=1
	s_or_b32 exec_lo, exec_lo, s13
.LBB318_972:                            ;   in Loop: Header=BB318_669 Depth=1
	s_or_b32 exec_lo, exec_lo, s12
.LBB318_973:                            ;   in Loop: Header=BB318_669 Depth=1
	s_or_b32 exec_lo, exec_lo, s9
	v_lshrrev_b16 v2, 8, v2
	v_mov_b32_e32 v59, 0
	s_mov_b32 s9, exec_lo
	v_cmpx_ne_u16_e32 0, v2
	s_cbranch_execz .LBB318_981
; %bb.974:                              ;   in Loop: Header=BB318_669 Depth=1
	v_bfrev_b32_e32 v59, 1
	s_mov_b32 s12, exec_lo
	v_cmpx_ne_u16_e32 0x80, v2
	s_cbranch_execz .LBB318_980
; %bb.975:                              ;   in Loop: Header=BB318_669 Depth=1
	v_and_b32_sdwa v61, v2, v30 dst_sel:DWORD dst_unused:UNUSED_PAD src0_sel:WORD_0 src1_sel:DWORD
	v_mov_b32_e32 v59, 0x7c010000
	s_mov_b32 s13, exec_lo
	v_cmpx_ne_u32_e32 0x7f, v61
	s_cbranch_execz .LBB318_979
; %bb.976:                              ;   in Loop: Header=BB318_669 Depth=1
	v_and_b32_sdwa v59, v2, v31 dst_sel:DWORD dst_unused:UNUSED_PAD src0_sel:WORD_0 src1_sel:DWORD
	v_lshrrev_b32_e32 v60, 3, v61
	s_mov_b32 s17, exec_lo
	v_cmpx_gt_u32_e32 8, v61
; %bb.977:                              ;   in Loop: Header=BB318_669 Depth=1
	v_ffbh_u32_e32 v59, v59
	v_min_u32_e32 v61, 32, v59
	v_subrev_nc_u32_e32 v59, 28, v61
	v_lshlrev_b64 v[59:60], v59, v[2:3]
	v_sub_nc_u32_e32 v60, 29, v61
	v_and_b32_e32 v59, 7, v59
; %bb.978:                              ;   in Loop: Header=BB318_669 Depth=1
	s_or_b32 exec_lo, exec_lo, s17
	v_lshlrev_b32_sdwa v2, v32, v2 dst_sel:DWORD dst_unused:UNUSED_PAD src0_sel:DWORD src1_sel:WORD_0
	v_lshl_add_u32 v60, v60, 10, 0x2000
	v_lshlrev_b32_e32 v59, 23, v59
	v_and_or_b32 v2, 0x8000, v2, v60
	v_lshl_or_b32 v59, v2, 16, v59
.LBB318_979:                            ;   in Loop: Header=BB318_669 Depth=1
	s_or_b32 exec_lo, exec_lo, s13
.LBB318_980:                            ;   in Loop: Header=BB318_669 Depth=1
	s_or_b32 exec_lo, exec_lo, s12
.LBB318_981:                            ;   in Loop: Header=BB318_669 Depth=1
	s_or_b32 exec_lo, exec_lo, s9
	v_lshrrev_b32_e32 v2, 16, v11
	v_cmp_ne_u16_sdwa s0, v2, v3 src0_sel:BYTE_0 src1_sel:DWORD
	s_and_saveexec_b32 s9, s0
	s_cbranch_execz .LBB318_989
; %bb.982:                              ;   in Loop: Header=BB318_669 Depth=1
	v_cmp_ne_u16_sdwa s0, v2, v29 src0_sel:BYTE_0 src1_sel:DWORD
	v_mov_b32_e32 v57, 0x8000
	s_and_saveexec_b32 s12, s0
	s_cbranch_execz .LBB318_988
; %bb.983:                              ;   in Loop: Header=BB318_669 Depth=1
	v_bfe_u32 v61, v11, 16, 7
	v_mov_b32_e32 v57, 0x7c01
	s_mov_b32 s13, exec_lo
	v_cmpx_ne_u32_e32 0x7f, v61
	s_cbranch_execz .LBB318_987
; %bb.984:                              ;   in Loop: Header=BB318_669 Depth=1
	v_and_b32_e32 v57, 7, v2
	v_lshrrev_b32_e32 v60, 3, v61
	s_mov_b32 s17, exec_lo
	v_cmpx_gt_u32_e32 8, v61
; %bb.985:                              ;   in Loop: Header=BB318_669 Depth=1
	v_ffbh_u32_e32 v57, v57
	v_min_u32_e32 v57, 32, v57
	v_subrev_nc_u32_e32 v60, 28, v57
	v_lshlrev_b64 v[61:62], v60, v[2:3]
	v_sub_nc_u32_e32 v60, 29, v57
	v_and_b32_e32 v57, 7, v61
; %bb.986:                              ;   in Loop: Header=BB318_669 Depth=1
	s_or_b32 exec_lo, exec_lo, s17
	v_lshlrev_b32_e32 v2, 8, v2
	v_lshl_add_u32 v60, v60, 10, 0x2000
	v_lshlrev_b32_e32 v57, 7, v57
	v_and_b32_e32 v2, 0x8000, v2
	v_and_b32_e32 v60, 0xfc00, v60
	v_or3_b32 v57, v2, v60, v57
.LBB318_987:                            ;   in Loop: Header=BB318_669 Depth=1
	s_or_b32 exec_lo, exec_lo, s13
.LBB318_988:                            ;   in Loop: Header=BB318_669 Depth=1
	s_or_b32 exec_lo, exec_lo, s12
.LBB318_989:                            ;   in Loop: Header=BB318_669 Depth=1
	s_or_b32 exec_lo, exec_lo, s9
	v_cmp_lt_u64_e64 s0, s[4:5], v[10:11]
	v_mov_b32_e32 v10, 0
	s_and_saveexec_b32 s9, s0
	s_cbranch_execz .LBB318_997
; %bb.990:                              ;   in Loop: Header=BB318_669 Depth=1
	v_lshrrev_b32_e32 v2, 24, v11
	v_bfrev_b32_e32 v10, 1
	s_mov_b32 s12, exec_lo
	v_cmpx_ne_u32_e32 0x80, v2
	s_cbranch_execz .LBB318_996
; %bb.991:                              ;   in Loop: Header=BB318_669 Depth=1
	v_and_b32_e32 v60, 0x7f, v2
	v_mov_b32_e32 v10, 0x7c010000
	s_mov_b32 s13, exec_lo
	v_cmpx_ne_u32_e32 0x7f, v60
	s_cbranch_execz .LBB318_995
; %bb.992:                              ;   in Loop: Header=BB318_669 Depth=1
	v_and_b32_e32 v10, 7, v2
	v_lshrrev_b32_e32 v11, 3, v60
	s_mov_b32 s17, exec_lo
	v_cmpx_gt_u32_e32 8, v60
; %bb.993:                              ;   in Loop: Header=BB318_669 Depth=1
	v_ffbh_u32_e32 v10, v10
	v_min_u32_e32 v60, 32, v10
	v_subrev_nc_u32_e32 v10, 28, v60
	v_lshlrev_b64 v[10:11], v10, v[2:3]
	v_sub_nc_u32_e32 v11, 29, v60
	v_and_b32_e32 v10, 7, v10
; %bb.994:                              ;   in Loop: Header=BB318_669 Depth=1
	s_or_b32 exec_lo, exec_lo, s17
	v_lshlrev_b32_e32 v2, 8, v2
	v_lshl_add_u32 v11, v11, 10, 0x2000
	v_lshlrev_b32_e32 v10, 23, v10
	v_and_or_b32 v2, 0x8000, v2, v11
	v_lshl_or_b32 v10, v2, 16, v10
.LBB318_995:                            ;   in Loop: Header=BB318_669 Depth=1
	s_or_b32 exec_lo, exec_lo, s13
.LBB318_996:                            ;   in Loop: Header=BB318_669 Depth=1
	s_or_b32 exec_lo, exec_lo, s12
.LBB318_997:                            ;   in Loop: Header=BB318_669 Depth=1
	s_or_b32 exec_lo, exec_lo, s9
	v_or_b32_e32 v2, v55, v56
	s_waitcnt vmcnt(0)
	v_fma_mixlo_f16 v11, v52, v55, 0 op_sel:[0,1,0] op_sel_hi:[0,1,0]
	v_or_b32_e32 v55, v53, v54
	v_fma_mixlo_f16 v53, v52, v53, 0 op_sel:[0,1,0] op_sel_hi:[0,1,0]
	v_or_b32_e32 v56, v59, v58
	v_or_b32_e32 v57, v10, v57
	v_fma_mixlo_f16 v58, v52, v2, 0 op_sel_hi:[0,1,0]
	v_fma_mixlo_f16 v10, v52, v10, 0 op_sel:[0,1,0] op_sel_hi:[0,1,0]
	v_lshlrev_b32_e32 v54, 16, v53
	v_fma_mixlo_f16 v53, v52, v55, 0 op_sel_hi:[0,1,0]
	v_fma_mixlo_f16 v55, v52, v59, 0 op_sel:[0,1,0] op_sel_hi:[0,1,0]
	v_fma_mixlo_f16 v56, v52, v56, 0 op_sel_hi:[0,1,0]
	v_fma_mixlo_f16 v57, v52, v57, 0 op_sel_hi:[0,1,0]
	v_lshlrev_b32_e32 v2, 16, v11
	v_and_b32_e32 v11, 0xffff, v58
	v_and_b32_e32 v60, 0xffff, v53
	v_lshlrev_b32_e32 v52, 16, v55
	v_and_b32_e32 v56, 0xffff, v56
	v_lshlrev_b32_e32 v10, 16, v10
	v_and_b32_e32 v53, 0xffff, v57
	v_or_b32_e32 v55, v2, v11
	v_or_b32_e32 v59, v54, v60
	;; [unrolled: 1-line block ×4, first 2 shown]
	s_and_saveexec_b32 s9, vcc_lo
	s_cbranch_execz .LBB318_999
; %bb.998:                              ;   in Loop: Header=BB318_669 Depth=1
	v_cmp_gt_i32_e64 s0, s29, v33
	v_cndmask_b32_e64 v55, 0, v60, s0
	v_cmp_gt_i32_e64 s0, s29, v42
	v_cndmask_b32_e64 v54, 0, v54, s0
	v_cmp_gt_i32_e64 s0, s29, v39
	v_or_b32_e32 v59, v54, v55
	v_cndmask_b32_e64 v11, 0, v11, s0
	v_cmp_gt_i32_e64 s0, s29, v37
	v_cndmask_b32_e64 v2, 0, v2, s0
	v_cmp_gt_i32_e64 s0, s29, v36
	v_or_b32_e32 v55, v2, v11
	;; [unrolled: 5-line block ×3, first 2 shown]
	v_cndmask_b32_e64 v53, 0, v53, s0
	v_cmp_gt_i32_e64 s0, s29, v27
	v_cndmask_b32_e64 v10, 0, v10, s0
	v_or_b32_e32 v57, v10, v53
.LBB318_999:                            ;   in Loop: Header=BB318_669 Depth=1
	s_or_b32 exec_lo, exec_lo, s9
	;;#ASMSTART
	v_pk_mul_f16 v2, v44, v59;

	;;#ASMEND
	;;#ASMSTART
	v_pk_mul_f16 v10, v41, v55;

	;;#ASMEND
	;; [unrolled: 4-line block ×4, first 2 shown]
	;;#ASMSTART
	v_pk_add_f16 v2, v2, v10;

	;;#ASMEND
	;;#ASMSTART
	v_pk_add_f16 v2, v2, v11;

	;;#ASMEND
	;; [unrolled: 4-line block ×3, first 2 shown]
	v_and_b32_e32 v10, 0xffff, v2
	v_lshrrev_b32_e32 v2, 16, v2
	;;#ASMSTART
	v_cvt_f32_f16 v52, v10;
	;;#ASMEND
	;;#ASMSTART
	v_cvt_f32_f16 v53, v2;
	;;#ASMEND
	global_load_dwordx2 v[10:11], v[8:9], off offset:1280
	v_mov_b32_e32 v55, 0
	v_mov_b32_e32 v56, 0
	global_load_dword v54, v55, s[14:15]
	s_waitcnt vmcnt(1)
	v_cmp_ne_u16_sdwa s0, v10, v3 src0_sel:BYTE_0 src1_sel:DWORD
	s_and_saveexec_b32 s9, s0
	s_cbranch_execz .LBB318_1007
; %bb.1000:                             ;   in Loop: Header=BB318_669 Depth=1
	v_cmp_ne_u16_sdwa s0, v10, v29 src0_sel:BYTE_0 src1_sel:DWORD
	v_mov_b32_e32 v56, 0x8000
	s_and_saveexec_b32 s12, s0
	s_cbranch_execz .LBB318_1006
; %bb.1001:                             ;   in Loop: Header=BB318_669 Depth=1
	v_and_b32_e32 v57, 0x7f, v10
	v_mov_b32_e32 v56, 0x7c01
	s_mov_b32 s13, exec_lo
	v_cmpx_ne_u32_e32 0x7f, v57
	s_cbranch_execz .LBB318_1005
; %bb.1002:                             ;   in Loop: Header=BB318_669 Depth=1
	v_and_b32_e32 v2, 7, v10
	v_lshrrev_b32_e32 v56, 3, v57
	s_mov_b32 s17, exec_lo
	v_cmpx_gt_u32_e32 8, v57
; %bb.1003:                             ;   in Loop: Header=BB318_669 Depth=1
	v_ffbh_u32_e32 v2, v2
	v_min_u32_e32 v2, 32, v2
	v_subrev_nc_u32_e32 v56, 28, v2
	v_lshlrev_b64 v[57:58], v56, v[10:11]
	v_sub_nc_u32_e32 v56, 29, v2
	v_and_b32_e32 v2, 7, v57
; %bb.1004:                             ;   in Loop: Header=BB318_669 Depth=1
	s_or_b32 exec_lo, exec_lo, s17
	v_lshlrev_b32_e32 v57, 8, v10
	v_lshl_add_u32 v56, v56, 10, 0x2000
	v_lshlrev_b32_e32 v2, 7, v2
	v_and_b32_e32 v57, 0x8000, v57
	v_and_b32_e32 v56, 0xfc00, v56
	v_or3_b32 v56, v57, v56, v2
.LBB318_1005:                           ;   in Loop: Header=BB318_669 Depth=1
	s_or_b32 exec_lo, exec_lo, s13
.LBB318_1006:                           ;   in Loop: Header=BB318_669 Depth=1
	s_or_b32 exec_lo, exec_lo, s12
.LBB318_1007:                           ;   in Loop: Header=BB318_669 Depth=1
	s_or_b32 exec_lo, exec_lo, s9
	v_lshrrev_b16 v2, 8, v10
	s_mov_b32 s9, exec_lo
	v_cmpx_ne_u16_e32 0, v2
	s_cbranch_execz .LBB318_1015
; %bb.1008:                             ;   in Loop: Header=BB318_669 Depth=1
	v_bfrev_b32_e32 v55, 1
	s_mov_b32 s12, exec_lo
	v_cmpx_ne_u16_e32 0x80, v2
	s_cbranch_execz .LBB318_1014
; %bb.1009:                             ;   in Loop: Header=BB318_669 Depth=1
	v_and_b32_sdwa v58, v2, v30 dst_sel:DWORD dst_unused:UNUSED_PAD src0_sel:WORD_0 src1_sel:DWORD
	v_mov_b32_e32 v55, 0x7c010000
	s_mov_b32 s13, exec_lo
	v_cmpx_ne_u32_e32 0x7f, v58
	s_cbranch_execz .LBB318_1013
; %bb.1010:                             ;   in Loop: Header=BB318_669 Depth=1
	v_and_b32_sdwa v55, v2, v31 dst_sel:DWORD dst_unused:UNUSED_PAD src0_sel:WORD_0 src1_sel:DWORD
	v_lshrrev_b32_e32 v57, 3, v58
	s_mov_b32 s17, exec_lo
	v_cmpx_gt_u32_e32 8, v58
; %bb.1011:                             ;   in Loop: Header=BB318_669 Depth=1
	v_ffbh_u32_e32 v55, v55
	v_min_u32_e32 v55, 32, v55
	v_subrev_nc_u32_e32 v57, 28, v55
	v_lshlrev_b64 v[58:59], v57, v[2:3]
	v_sub_nc_u32_e32 v57, 29, v55
	v_and_b32_e32 v55, 7, v58
; %bb.1012:                             ;   in Loop: Header=BB318_669 Depth=1
	s_or_b32 exec_lo, exec_lo, s17
	v_lshlrev_b32_sdwa v2, v32, v2 dst_sel:DWORD dst_unused:UNUSED_PAD src0_sel:DWORD src1_sel:WORD_0
	v_lshl_add_u32 v57, v57, 10, 0x2000
	v_lshlrev_b32_e32 v55, 23, v55
	v_and_or_b32 v2, 0x8000, v2, v57
	v_lshl_or_b32 v55, v2, 16, v55
.LBB318_1013:                           ;   in Loop: Header=BB318_669 Depth=1
	s_or_b32 exec_lo, exec_lo, s13
.LBB318_1014:                           ;   in Loop: Header=BB318_669 Depth=1
	s_or_b32 exec_lo, exec_lo, s12
.LBB318_1015:                           ;   in Loop: Header=BB318_669 Depth=1
	s_or_b32 exec_lo, exec_lo, s9
	v_lshrrev_b32_e32 v2, 16, v10
	v_mov_b32_e32 v57, 0
	v_mov_b32_e32 v58, 0
	v_cmp_ne_u16_sdwa s0, v2, v3 src0_sel:BYTE_0 src1_sel:DWORD
	s_and_saveexec_b32 s9, s0
	s_cbranch_execz .LBB318_1023
; %bb.1016:                             ;   in Loop: Header=BB318_669 Depth=1
	v_cmp_ne_u16_sdwa s0, v2, v29 src0_sel:BYTE_0 src1_sel:DWORD
	v_mov_b32_e32 v58, 0x8000
	s_and_saveexec_b32 s12, s0
	s_cbranch_execz .LBB318_1022
; %bb.1017:                             ;   in Loop: Header=BB318_669 Depth=1
	v_bfe_u32 v60, v10, 16, 7
	v_mov_b32_e32 v58, 0x7c01
	s_mov_b32 s13, exec_lo
	v_cmpx_ne_u32_e32 0x7f, v60
	s_cbranch_execz .LBB318_1021
; %bb.1018:                             ;   in Loop: Header=BB318_669 Depth=1
	v_and_b32_e32 v58, 7, v2
	v_lshrrev_b32_e32 v59, 3, v60
	s_mov_b32 s17, exec_lo
	v_cmpx_gt_u32_e32 8, v60
; %bb.1019:                             ;   in Loop: Header=BB318_669 Depth=1
	v_ffbh_u32_e32 v58, v58
	v_min_u32_e32 v60, 32, v58
	v_subrev_nc_u32_e32 v58, 28, v60
	v_lshlrev_b64 v[58:59], v58, v[2:3]
	v_sub_nc_u32_e32 v59, 29, v60
	v_and_b32_e32 v58, 7, v58
; %bb.1020:                             ;   in Loop: Header=BB318_669 Depth=1
	s_or_b32 exec_lo, exec_lo, s17
	v_lshlrev_b32_e32 v2, 8, v2
	v_lshl_add_u32 v59, v59, 10, 0x2000
	v_lshlrev_b32_e32 v58, 7, v58
	v_and_b32_e32 v2, 0x8000, v2
	v_and_b32_e32 v59, 0xfc00, v59
	v_or3_b32 v58, v2, v59, v58
.LBB318_1021:                           ;   in Loop: Header=BB318_669 Depth=1
	s_or_b32 exec_lo, exec_lo, s13
.LBB318_1022:                           ;   in Loop: Header=BB318_669 Depth=1
	s_or_b32 exec_lo, exec_lo, s12
.LBB318_1023:                           ;   in Loop: Header=BB318_669 Depth=1
	s_or_b32 exec_lo, exec_lo, s9
	s_mov_b32 s9, exec_lo
	v_cmpx_lt_u32_e32 0xffffff, v10
	s_cbranch_execz .LBB318_1031
; %bb.1024:                             ;   in Loop: Header=BB318_669 Depth=1
	v_lshrrev_b32_e32 v2, 24, v10
	v_bfrev_b32_e32 v57, 1
	s_mov_b32 s12, exec_lo
	v_cmpx_ne_u32_e32 0x80, v2
	s_cbranch_execz .LBB318_1030
; %bb.1025:                             ;   in Loop: Header=BB318_669 Depth=1
	v_and_b32_e32 v60, 0x7f, v2
	v_mov_b32_e32 v57, 0x7c010000
	s_mov_b32 s13, exec_lo
	v_cmpx_ne_u32_e32 0x7f, v60
	s_cbranch_execz .LBB318_1029
; %bb.1026:                             ;   in Loop: Header=BB318_669 Depth=1
	v_and_b32_e32 v57, 7, v2
	v_lshrrev_b32_e32 v59, 3, v60
	s_mov_b32 s17, exec_lo
	v_cmpx_gt_u32_e32 8, v60
; %bb.1027:                             ;   in Loop: Header=BB318_669 Depth=1
	v_ffbh_u32_e32 v57, v57
	v_min_u32_e32 v57, 32, v57
	v_subrev_nc_u32_e32 v59, 28, v57
	v_lshlrev_b64 v[60:61], v59, v[2:3]
	v_sub_nc_u32_e32 v59, 29, v57
	v_and_b32_e32 v57, 7, v60
; %bb.1028:                             ;   in Loop: Header=BB318_669 Depth=1
	s_or_b32 exec_lo, exec_lo, s17
	v_lshlrev_b32_e32 v2, 8, v2
	v_lshl_add_u32 v59, v59, 10, 0x2000
	v_lshlrev_b32_e32 v57, 23, v57
	v_and_or_b32 v2, 0x8000, v2, v59
	v_lshl_or_b32 v57, v2, 16, v57
.LBB318_1029:                           ;   in Loop: Header=BB318_669 Depth=1
	s_or_b32 exec_lo, exec_lo, s13
.LBB318_1030:                           ;   in Loop: Header=BB318_669 Depth=1
	s_or_b32 exec_lo, exec_lo, s12
.LBB318_1031:                           ;   in Loop: Header=BB318_669 Depth=1
	s_or_b32 exec_lo, exec_lo, s9
	v_mov_b32_e32 v2, v11
	v_cmp_ne_u16_sdwa s0, v11, v3 src0_sel:BYTE_0 src1_sel:DWORD
	v_mov_b32_e32 v59, 0
	v_mov_b32_e32 v60, 0
	s_and_saveexec_b32 s9, s0
	s_cbranch_execz .LBB318_1039
; %bb.1032:                             ;   in Loop: Header=BB318_669 Depth=1
	v_cmp_ne_u16_sdwa s0, v11, v29 src0_sel:BYTE_0 src1_sel:DWORD
	v_mov_b32_e32 v60, 0x8000
	s_and_saveexec_b32 s12, s0
	s_cbranch_execz .LBB318_1038
; %bb.1033:                             ;   in Loop: Header=BB318_669 Depth=1
	v_and_b32_e32 v62, 0x7f, v11
	v_mov_b32_e32 v60, 0x7c01
	s_mov_b32 s13, exec_lo
	v_cmpx_ne_u32_e32 0x7f, v62
	s_cbranch_execz .LBB318_1037
; %bb.1034:                             ;   in Loop: Header=BB318_669 Depth=1
	v_and_b32_e32 v60, 7, v11
	v_lshrrev_b32_e32 v61, 3, v62
	s_mov_b32 s17, exec_lo
	v_cmpx_gt_u32_e32 8, v62
; %bb.1035:                             ;   in Loop: Header=BB318_669 Depth=1
	v_ffbh_u32_e32 v60, v60
	v_min_u32_e32 v62, 32, v60
	v_subrev_nc_u32_e32 v60, 28, v62
	v_lshlrev_b64 v[60:61], v60, v[2:3]
	v_sub_nc_u32_e32 v61, 29, v62
	v_and_b32_e32 v60, 7, v60
; %bb.1036:                             ;   in Loop: Header=BB318_669 Depth=1
	s_or_b32 exec_lo, exec_lo, s17
	v_lshlrev_b32_e32 v62, 8, v11
	v_lshl_add_u32 v61, v61, 10, 0x2000
	v_lshlrev_b32_e32 v60, 7, v60
	v_and_b32_e32 v62, 0x8000, v62
	v_and_b32_e32 v61, 0xfc00, v61
	v_or3_b32 v60, v62, v61, v60
.LBB318_1037:                           ;   in Loop: Header=BB318_669 Depth=1
	s_or_b32 exec_lo, exec_lo, s13
.LBB318_1038:                           ;   in Loop: Header=BB318_669 Depth=1
	s_or_b32 exec_lo, exec_lo, s12
.LBB318_1039:                           ;   in Loop: Header=BB318_669 Depth=1
	s_or_b32 exec_lo, exec_lo, s9
	v_lshrrev_b16 v2, 8, v2
	v_mov_b32_e32 v61, 0
	s_mov_b32 s9, exec_lo
	v_cmpx_ne_u16_e32 0, v2
	s_cbranch_execz .LBB318_1047
; %bb.1040:                             ;   in Loop: Header=BB318_669 Depth=1
	v_bfrev_b32_e32 v61, 1
	s_mov_b32 s12, exec_lo
	v_cmpx_ne_u16_e32 0x80, v2
	s_cbranch_execz .LBB318_1046
; %bb.1041:                             ;   in Loop: Header=BB318_669 Depth=1
	v_and_b32_sdwa v63, v2, v30 dst_sel:DWORD dst_unused:UNUSED_PAD src0_sel:WORD_0 src1_sel:DWORD
	v_mov_b32_e32 v61, 0x7c010000
	s_mov_b32 s13, exec_lo
	v_cmpx_ne_u32_e32 0x7f, v63
	s_cbranch_execz .LBB318_1045
; %bb.1042:                             ;   in Loop: Header=BB318_669 Depth=1
	v_and_b32_sdwa v61, v2, v31 dst_sel:DWORD dst_unused:UNUSED_PAD src0_sel:WORD_0 src1_sel:DWORD
	v_lshrrev_b32_e32 v62, 3, v63
	s_mov_b32 s17, exec_lo
	v_cmpx_gt_u32_e32 8, v63
; %bb.1043:                             ;   in Loop: Header=BB318_669 Depth=1
	v_ffbh_u32_e32 v61, v61
	v_min_u32_e32 v63, 32, v61
	v_subrev_nc_u32_e32 v61, 28, v63
	v_lshlrev_b64 v[61:62], v61, v[2:3]
	v_sub_nc_u32_e32 v62, 29, v63
	v_and_b32_e32 v61, 7, v61
; %bb.1044:                             ;   in Loop: Header=BB318_669 Depth=1
	s_or_b32 exec_lo, exec_lo, s17
	v_lshlrev_b32_sdwa v2, v32, v2 dst_sel:DWORD dst_unused:UNUSED_PAD src0_sel:DWORD src1_sel:WORD_0
	v_lshl_add_u32 v62, v62, 10, 0x2000
	v_lshlrev_b32_e32 v61, 23, v61
	v_and_or_b32 v2, 0x8000, v2, v62
	v_lshl_or_b32 v61, v2, 16, v61
.LBB318_1045:                           ;   in Loop: Header=BB318_669 Depth=1
	s_or_b32 exec_lo, exec_lo, s13
.LBB318_1046:                           ;   in Loop: Header=BB318_669 Depth=1
	s_or_b32 exec_lo, exec_lo, s12
.LBB318_1047:                           ;   in Loop: Header=BB318_669 Depth=1
	s_or_b32 exec_lo, exec_lo, s9
	v_lshrrev_b32_e32 v2, 16, v11
	v_cmp_ne_u16_sdwa s0, v2, v3 src0_sel:BYTE_0 src1_sel:DWORD
	s_and_saveexec_b32 s9, s0
	s_cbranch_execz .LBB318_1055
; %bb.1048:                             ;   in Loop: Header=BB318_669 Depth=1
	v_cmp_ne_u16_sdwa s0, v2, v29 src0_sel:BYTE_0 src1_sel:DWORD
	v_mov_b32_e32 v59, 0x8000
	s_and_saveexec_b32 s12, s0
	s_cbranch_execz .LBB318_1054
; %bb.1049:                             ;   in Loop: Header=BB318_669 Depth=1
	v_bfe_u32 v63, v11, 16, 7
	v_mov_b32_e32 v59, 0x7c01
	s_mov_b32 s13, exec_lo
	v_cmpx_ne_u32_e32 0x7f, v63
	s_cbranch_execz .LBB318_1053
; %bb.1050:                             ;   in Loop: Header=BB318_669 Depth=1
	v_and_b32_e32 v59, 7, v2
	v_lshrrev_b32_e32 v62, 3, v63
	s_mov_b32 s17, exec_lo
	v_cmpx_gt_u32_e32 8, v63
; %bb.1051:                             ;   in Loop: Header=BB318_669 Depth=1
	v_ffbh_u32_e32 v59, v59
	v_min_u32_e32 v59, 32, v59
	v_subrev_nc_u32_e32 v62, 28, v59
	v_lshlrev_b64 v[63:64], v62, v[2:3]
	v_sub_nc_u32_e32 v62, 29, v59
	v_and_b32_e32 v59, 7, v63
; %bb.1052:                             ;   in Loop: Header=BB318_669 Depth=1
	s_or_b32 exec_lo, exec_lo, s17
	v_lshlrev_b32_e32 v2, 8, v2
	v_lshl_add_u32 v62, v62, 10, 0x2000
	v_lshlrev_b32_e32 v59, 7, v59
	v_and_b32_e32 v2, 0x8000, v2
	v_and_b32_e32 v62, 0xfc00, v62
	v_or3_b32 v59, v2, v62, v59
.LBB318_1053:                           ;   in Loop: Header=BB318_669 Depth=1
	s_or_b32 exec_lo, exec_lo, s13
.LBB318_1054:                           ;   in Loop: Header=BB318_669 Depth=1
	s_or_b32 exec_lo, exec_lo, s12
.LBB318_1055:                           ;   in Loop: Header=BB318_669 Depth=1
	s_or_b32 exec_lo, exec_lo, s9
	v_cmp_lt_u64_e64 s0, s[4:5], v[10:11]
	v_mov_b32_e32 v10, 0
	s_and_saveexec_b32 s9, s0
	s_cbranch_execz .LBB318_1063
; %bb.1056:                             ;   in Loop: Header=BB318_669 Depth=1
	v_lshrrev_b32_e32 v2, 24, v11
	v_bfrev_b32_e32 v10, 1
	s_mov_b32 s12, exec_lo
	v_cmpx_ne_u32_e32 0x80, v2
	s_cbranch_execz .LBB318_1062
; %bb.1057:                             ;   in Loop: Header=BB318_669 Depth=1
	v_and_b32_e32 v62, 0x7f, v2
	v_mov_b32_e32 v10, 0x7c010000
	s_mov_b32 s13, exec_lo
	v_cmpx_ne_u32_e32 0x7f, v62
	s_cbranch_execz .LBB318_1061
; %bb.1058:                             ;   in Loop: Header=BB318_669 Depth=1
	v_and_b32_e32 v10, 7, v2
	v_lshrrev_b32_e32 v11, 3, v62
	s_mov_b32 s17, exec_lo
	v_cmpx_gt_u32_e32 8, v62
; %bb.1059:                             ;   in Loop: Header=BB318_669 Depth=1
	v_ffbh_u32_e32 v10, v10
	v_min_u32_e32 v62, 32, v10
	v_subrev_nc_u32_e32 v10, 28, v62
	v_lshlrev_b64 v[10:11], v10, v[2:3]
	v_sub_nc_u32_e32 v11, 29, v62
	v_and_b32_e32 v10, 7, v10
; %bb.1060:                             ;   in Loop: Header=BB318_669 Depth=1
	s_or_b32 exec_lo, exec_lo, s17
	v_lshlrev_b32_e32 v2, 8, v2
	v_lshl_add_u32 v11, v11, 10, 0x2000
	v_lshlrev_b32_e32 v10, 23, v10
	v_and_or_b32 v2, 0x8000, v2, v11
	v_lshl_or_b32 v10, v2, 16, v10
.LBB318_1061:                           ;   in Loop: Header=BB318_669 Depth=1
	s_or_b32 exec_lo, exec_lo, s13
.LBB318_1062:                           ;   in Loop: Header=BB318_669 Depth=1
	s_or_b32 exec_lo, exec_lo, s12
.LBB318_1063:                           ;   in Loop: Header=BB318_669 Depth=1
	s_or_b32 exec_lo, exec_lo, s9
	v_or_b32_e32 v2, v57, v58
	s_waitcnt vmcnt(0)
	v_fma_mixlo_f16 v11, v54, v57, 0 op_sel:[0,1,0] op_sel_hi:[0,1,0]
	v_or_b32_e32 v57, v55, v56
	v_fma_mixlo_f16 v55, v54, v55, 0 op_sel:[0,1,0] op_sel_hi:[0,1,0]
	v_or_b32_e32 v58, v61, v60
	v_or_b32_e32 v59, v10, v59
	v_fma_mixlo_f16 v60, v54, v2, 0 op_sel_hi:[0,1,0]
	v_fma_mixlo_f16 v10, v54, v10, 0 op_sel:[0,1,0] op_sel_hi:[0,1,0]
	v_lshlrev_b32_e32 v56, 16, v55
	v_fma_mixlo_f16 v55, v54, v57, 0 op_sel_hi:[0,1,0]
	v_fma_mixlo_f16 v57, v54, v61, 0 op_sel:[0,1,0] op_sel_hi:[0,1,0]
	v_fma_mixlo_f16 v58, v54, v58, 0 op_sel_hi:[0,1,0]
	v_fma_mixlo_f16 v59, v54, v59, 0 op_sel_hi:[0,1,0]
	v_lshlrev_b32_e32 v2, 16, v11
	v_and_b32_e32 v11, 0xffff, v60
	v_and_b32_e32 v62, 0xffff, v55
	v_lshlrev_b32_e32 v54, 16, v57
	v_and_b32_e32 v58, 0xffff, v58
	v_lshlrev_b32_e32 v10, 16, v10
	v_and_b32_e32 v55, 0xffff, v59
	v_or_b32_e32 v57, v2, v11
	v_or_b32_e32 v61, v56, v62
	;; [unrolled: 1-line block ×4, first 2 shown]
	s_and_saveexec_b32 s9, vcc_lo
	s_cbranch_execz .LBB318_1065
; %bb.1064:                             ;   in Loop: Header=BB318_669 Depth=1
	v_cmp_gt_i32_e64 s0, s29, v33
	v_cndmask_b32_e64 v57, 0, v62, s0
	v_cmp_gt_i32_e64 s0, s29, v42
	v_cndmask_b32_e64 v56, 0, v56, s0
	v_cmp_gt_i32_e64 s0, s29, v39
	v_or_b32_e32 v61, v56, v57
	v_cndmask_b32_e64 v11, 0, v11, s0
	v_cmp_gt_i32_e64 s0, s29, v37
	v_cndmask_b32_e64 v2, 0, v2, s0
	v_cmp_gt_i32_e64 s0, s29, v36
	v_or_b32_e32 v57, v2, v11
	;; [unrolled: 5-line block ×3, first 2 shown]
	v_cndmask_b32_e64 v55, 0, v55, s0
	v_cmp_gt_i32_e64 s0, s29, v27
	v_cndmask_b32_e64 v10, 0, v10, s0
	v_or_b32_e32 v59, v10, v55
.LBB318_1065:                           ;   in Loop: Header=BB318_669 Depth=1
	s_or_b32 exec_lo, exec_lo, s9
	;;#ASMSTART
	v_pk_mul_f16 v2, v44, v61;

	;;#ASMEND
	;;#ASMSTART
	v_pk_mul_f16 v10, v41, v57;

	;;#ASMEND
	;; [unrolled: 4-line block ×4, first 2 shown]
	;;#ASMSTART
	v_pk_add_f16 v2, v2, v10;

	;;#ASMEND
	;;#ASMSTART
	v_pk_add_f16 v2, v2, v11;

	;;#ASMEND
	;; [unrolled: 4-line block ×3, first 2 shown]
	v_and_b32_e32 v10, 0xffff, v2
	v_lshrrev_b32_e32 v2, 16, v2
	;;#ASMSTART
	v_cvt_f32_f16 v54, v10;
	;;#ASMEND
	;;#ASMSTART
	v_cvt_f32_f16 v55, v2;
	;;#ASMEND
	global_load_dwordx2 v[10:11], v[8:9], off offset:1536
	v_mov_b32_e32 v57, 0
	v_mov_b32_e32 v58, 0
	global_load_dword v56, v57, s[14:15]
	s_waitcnt vmcnt(1)
	v_cmp_ne_u16_sdwa s0, v10, v3 src0_sel:BYTE_0 src1_sel:DWORD
	s_and_saveexec_b32 s9, s0
	s_cbranch_execz .LBB318_1073
; %bb.1066:                             ;   in Loop: Header=BB318_669 Depth=1
	v_cmp_ne_u16_sdwa s0, v10, v29 src0_sel:BYTE_0 src1_sel:DWORD
	v_mov_b32_e32 v58, 0x8000
	s_and_saveexec_b32 s12, s0
	s_cbranch_execz .LBB318_1072
; %bb.1067:                             ;   in Loop: Header=BB318_669 Depth=1
	v_and_b32_e32 v59, 0x7f, v10
	v_mov_b32_e32 v58, 0x7c01
	s_mov_b32 s13, exec_lo
	v_cmpx_ne_u32_e32 0x7f, v59
	s_cbranch_execz .LBB318_1071
; %bb.1068:                             ;   in Loop: Header=BB318_669 Depth=1
	v_and_b32_e32 v2, 7, v10
	v_lshrrev_b32_e32 v58, 3, v59
	s_mov_b32 s17, exec_lo
	v_cmpx_gt_u32_e32 8, v59
; %bb.1069:                             ;   in Loop: Header=BB318_669 Depth=1
	v_ffbh_u32_e32 v2, v2
	v_min_u32_e32 v2, 32, v2
	v_subrev_nc_u32_e32 v58, 28, v2
	v_lshlrev_b64 v[59:60], v58, v[10:11]
	v_sub_nc_u32_e32 v58, 29, v2
	v_and_b32_e32 v2, 7, v59
; %bb.1070:                             ;   in Loop: Header=BB318_669 Depth=1
	s_or_b32 exec_lo, exec_lo, s17
	v_lshlrev_b32_e32 v59, 8, v10
	v_lshl_add_u32 v58, v58, 10, 0x2000
	v_lshlrev_b32_e32 v2, 7, v2
	v_and_b32_e32 v59, 0x8000, v59
	v_and_b32_e32 v58, 0xfc00, v58
	v_or3_b32 v58, v59, v58, v2
.LBB318_1071:                           ;   in Loop: Header=BB318_669 Depth=1
	s_or_b32 exec_lo, exec_lo, s13
.LBB318_1072:                           ;   in Loop: Header=BB318_669 Depth=1
	s_or_b32 exec_lo, exec_lo, s12
.LBB318_1073:                           ;   in Loop: Header=BB318_669 Depth=1
	s_or_b32 exec_lo, exec_lo, s9
	v_lshrrev_b16 v2, 8, v10
	s_mov_b32 s9, exec_lo
	v_cmpx_ne_u16_e32 0, v2
	s_cbranch_execz .LBB318_1081
; %bb.1074:                             ;   in Loop: Header=BB318_669 Depth=1
	v_bfrev_b32_e32 v57, 1
	s_mov_b32 s12, exec_lo
	v_cmpx_ne_u16_e32 0x80, v2
	s_cbranch_execz .LBB318_1080
; %bb.1075:                             ;   in Loop: Header=BB318_669 Depth=1
	v_and_b32_sdwa v60, v2, v30 dst_sel:DWORD dst_unused:UNUSED_PAD src0_sel:WORD_0 src1_sel:DWORD
	v_mov_b32_e32 v57, 0x7c010000
	s_mov_b32 s13, exec_lo
	v_cmpx_ne_u32_e32 0x7f, v60
	s_cbranch_execz .LBB318_1079
; %bb.1076:                             ;   in Loop: Header=BB318_669 Depth=1
	v_and_b32_sdwa v57, v2, v31 dst_sel:DWORD dst_unused:UNUSED_PAD src0_sel:WORD_0 src1_sel:DWORD
	v_lshrrev_b32_e32 v59, 3, v60
	s_mov_b32 s17, exec_lo
	v_cmpx_gt_u32_e32 8, v60
; %bb.1077:                             ;   in Loop: Header=BB318_669 Depth=1
	v_ffbh_u32_e32 v57, v57
	v_min_u32_e32 v57, 32, v57
	v_subrev_nc_u32_e32 v59, 28, v57
	v_lshlrev_b64 v[60:61], v59, v[2:3]
	v_sub_nc_u32_e32 v59, 29, v57
	v_and_b32_e32 v57, 7, v60
; %bb.1078:                             ;   in Loop: Header=BB318_669 Depth=1
	s_or_b32 exec_lo, exec_lo, s17
	v_lshlrev_b32_sdwa v2, v32, v2 dst_sel:DWORD dst_unused:UNUSED_PAD src0_sel:DWORD src1_sel:WORD_0
	v_lshl_add_u32 v59, v59, 10, 0x2000
	v_lshlrev_b32_e32 v57, 23, v57
	v_and_or_b32 v2, 0x8000, v2, v59
	v_lshl_or_b32 v57, v2, 16, v57
.LBB318_1079:                           ;   in Loop: Header=BB318_669 Depth=1
	s_or_b32 exec_lo, exec_lo, s13
.LBB318_1080:                           ;   in Loop: Header=BB318_669 Depth=1
	s_or_b32 exec_lo, exec_lo, s12
.LBB318_1081:                           ;   in Loop: Header=BB318_669 Depth=1
	s_or_b32 exec_lo, exec_lo, s9
	v_lshrrev_b32_e32 v2, 16, v10
	v_mov_b32_e32 v59, 0
	v_mov_b32_e32 v60, 0
	v_cmp_ne_u16_sdwa s0, v2, v3 src0_sel:BYTE_0 src1_sel:DWORD
	s_and_saveexec_b32 s9, s0
	s_cbranch_execz .LBB318_1089
; %bb.1082:                             ;   in Loop: Header=BB318_669 Depth=1
	v_cmp_ne_u16_sdwa s0, v2, v29 src0_sel:BYTE_0 src1_sel:DWORD
	v_mov_b32_e32 v60, 0x8000
	s_and_saveexec_b32 s12, s0
	s_cbranch_execz .LBB318_1088
; %bb.1083:                             ;   in Loop: Header=BB318_669 Depth=1
	v_bfe_u32 v62, v10, 16, 7
	v_mov_b32_e32 v60, 0x7c01
	s_mov_b32 s13, exec_lo
	v_cmpx_ne_u32_e32 0x7f, v62
	s_cbranch_execz .LBB318_1087
; %bb.1084:                             ;   in Loop: Header=BB318_669 Depth=1
	v_and_b32_e32 v60, 7, v2
	v_lshrrev_b32_e32 v61, 3, v62
	s_mov_b32 s17, exec_lo
	v_cmpx_gt_u32_e32 8, v62
; %bb.1085:                             ;   in Loop: Header=BB318_669 Depth=1
	v_ffbh_u32_e32 v60, v60
	v_min_u32_e32 v62, 32, v60
	v_subrev_nc_u32_e32 v60, 28, v62
	v_lshlrev_b64 v[60:61], v60, v[2:3]
	v_sub_nc_u32_e32 v61, 29, v62
	v_and_b32_e32 v60, 7, v60
; %bb.1086:                             ;   in Loop: Header=BB318_669 Depth=1
	s_or_b32 exec_lo, exec_lo, s17
	v_lshlrev_b32_e32 v2, 8, v2
	v_lshl_add_u32 v61, v61, 10, 0x2000
	v_lshlrev_b32_e32 v60, 7, v60
	v_and_b32_e32 v2, 0x8000, v2
	v_and_b32_e32 v61, 0xfc00, v61
	v_or3_b32 v60, v2, v61, v60
.LBB318_1087:                           ;   in Loop: Header=BB318_669 Depth=1
	s_or_b32 exec_lo, exec_lo, s13
.LBB318_1088:                           ;   in Loop: Header=BB318_669 Depth=1
	s_or_b32 exec_lo, exec_lo, s12
.LBB318_1089:                           ;   in Loop: Header=BB318_669 Depth=1
	s_or_b32 exec_lo, exec_lo, s9
	s_mov_b32 s9, exec_lo
	v_cmpx_lt_u32_e32 0xffffff, v10
	s_cbranch_execz .LBB318_1097
; %bb.1090:                             ;   in Loop: Header=BB318_669 Depth=1
	v_lshrrev_b32_e32 v2, 24, v10
	v_bfrev_b32_e32 v59, 1
	s_mov_b32 s12, exec_lo
	v_cmpx_ne_u32_e32 0x80, v2
	s_cbranch_execz .LBB318_1096
; %bb.1091:                             ;   in Loop: Header=BB318_669 Depth=1
	v_and_b32_e32 v62, 0x7f, v2
	v_mov_b32_e32 v59, 0x7c010000
	s_mov_b32 s13, exec_lo
	v_cmpx_ne_u32_e32 0x7f, v62
	s_cbranch_execz .LBB318_1095
; %bb.1092:                             ;   in Loop: Header=BB318_669 Depth=1
	v_and_b32_e32 v59, 7, v2
	v_lshrrev_b32_e32 v61, 3, v62
	s_mov_b32 s17, exec_lo
	v_cmpx_gt_u32_e32 8, v62
; %bb.1093:                             ;   in Loop: Header=BB318_669 Depth=1
	v_ffbh_u32_e32 v59, v59
	v_min_u32_e32 v59, 32, v59
	v_subrev_nc_u32_e32 v61, 28, v59
	v_lshlrev_b64 v[62:63], v61, v[2:3]
	v_sub_nc_u32_e32 v61, 29, v59
	v_and_b32_e32 v59, 7, v62
; %bb.1094:                             ;   in Loop: Header=BB318_669 Depth=1
	s_or_b32 exec_lo, exec_lo, s17
	v_lshlrev_b32_e32 v2, 8, v2
	v_lshl_add_u32 v61, v61, 10, 0x2000
	v_lshlrev_b32_e32 v59, 23, v59
	v_and_or_b32 v2, 0x8000, v2, v61
	v_lshl_or_b32 v59, v2, 16, v59
.LBB318_1095:                           ;   in Loop: Header=BB318_669 Depth=1
	s_or_b32 exec_lo, exec_lo, s13
.LBB318_1096:                           ;   in Loop: Header=BB318_669 Depth=1
	s_or_b32 exec_lo, exec_lo, s12
.LBB318_1097:                           ;   in Loop: Header=BB318_669 Depth=1
	s_or_b32 exec_lo, exec_lo, s9
	v_mov_b32_e32 v2, v11
	v_cmp_ne_u16_sdwa s0, v11, v3 src0_sel:BYTE_0 src1_sel:DWORD
	v_mov_b32_e32 v61, 0
	v_mov_b32_e32 v62, 0
	s_and_saveexec_b32 s9, s0
	s_cbranch_execz .LBB318_1105
; %bb.1098:                             ;   in Loop: Header=BB318_669 Depth=1
	v_cmp_ne_u16_sdwa s0, v11, v29 src0_sel:BYTE_0 src1_sel:DWORD
	v_mov_b32_e32 v62, 0x8000
	s_and_saveexec_b32 s12, s0
	s_cbranch_execz .LBB318_1104
; %bb.1099:                             ;   in Loop: Header=BB318_669 Depth=1
	v_and_b32_e32 v64, 0x7f, v11
	v_mov_b32_e32 v62, 0x7c01
	s_mov_b32 s13, exec_lo
	v_cmpx_ne_u32_e32 0x7f, v64
	s_cbranch_execz .LBB318_1103
; %bb.1100:                             ;   in Loop: Header=BB318_669 Depth=1
	v_and_b32_e32 v62, 7, v11
	v_lshrrev_b32_e32 v63, 3, v64
	s_mov_b32 s17, exec_lo
	v_cmpx_gt_u32_e32 8, v64
; %bb.1101:                             ;   in Loop: Header=BB318_669 Depth=1
	v_ffbh_u32_e32 v62, v62
	v_min_u32_e32 v64, 32, v62
	v_subrev_nc_u32_e32 v62, 28, v64
	v_lshlrev_b64 v[62:63], v62, v[2:3]
	v_sub_nc_u32_e32 v63, 29, v64
	v_and_b32_e32 v62, 7, v62
; %bb.1102:                             ;   in Loop: Header=BB318_669 Depth=1
	s_or_b32 exec_lo, exec_lo, s17
	v_lshlrev_b32_e32 v64, 8, v11
	v_lshl_add_u32 v63, v63, 10, 0x2000
	v_lshlrev_b32_e32 v62, 7, v62
	v_and_b32_e32 v64, 0x8000, v64
	v_and_b32_e32 v63, 0xfc00, v63
	v_or3_b32 v62, v64, v63, v62
.LBB318_1103:                           ;   in Loop: Header=BB318_669 Depth=1
	s_or_b32 exec_lo, exec_lo, s13
.LBB318_1104:                           ;   in Loop: Header=BB318_669 Depth=1
	s_or_b32 exec_lo, exec_lo, s12
.LBB318_1105:                           ;   in Loop: Header=BB318_669 Depth=1
	s_or_b32 exec_lo, exec_lo, s9
	v_lshrrev_b16 v2, 8, v2
	v_mov_b32_e32 v63, 0
	s_mov_b32 s9, exec_lo
	v_cmpx_ne_u16_e32 0, v2
	s_cbranch_execz .LBB318_1113
; %bb.1106:                             ;   in Loop: Header=BB318_669 Depth=1
	v_bfrev_b32_e32 v63, 1
	s_mov_b32 s12, exec_lo
	v_cmpx_ne_u16_e32 0x80, v2
	s_cbranch_execz .LBB318_1112
; %bb.1107:                             ;   in Loop: Header=BB318_669 Depth=1
	v_and_b32_sdwa v65, v2, v30 dst_sel:DWORD dst_unused:UNUSED_PAD src0_sel:WORD_0 src1_sel:DWORD
	v_mov_b32_e32 v63, 0x7c010000
	s_mov_b32 s13, exec_lo
	v_cmpx_ne_u32_e32 0x7f, v65
	s_cbranch_execz .LBB318_1111
; %bb.1108:                             ;   in Loop: Header=BB318_669 Depth=1
	v_and_b32_sdwa v63, v2, v31 dst_sel:DWORD dst_unused:UNUSED_PAD src0_sel:WORD_0 src1_sel:DWORD
	v_lshrrev_b32_e32 v64, 3, v65
	s_mov_b32 s17, exec_lo
	v_cmpx_gt_u32_e32 8, v65
; %bb.1109:                             ;   in Loop: Header=BB318_669 Depth=1
	v_ffbh_u32_e32 v63, v63
	v_min_u32_e32 v65, 32, v63
	v_subrev_nc_u32_e32 v63, 28, v65
	v_lshlrev_b64 v[63:64], v63, v[2:3]
	v_sub_nc_u32_e32 v64, 29, v65
	v_and_b32_e32 v63, 7, v63
; %bb.1110:                             ;   in Loop: Header=BB318_669 Depth=1
	s_or_b32 exec_lo, exec_lo, s17
	v_lshlrev_b32_sdwa v2, v32, v2 dst_sel:DWORD dst_unused:UNUSED_PAD src0_sel:DWORD src1_sel:WORD_0
	v_lshl_add_u32 v64, v64, 10, 0x2000
	v_lshlrev_b32_e32 v63, 23, v63
	v_and_or_b32 v2, 0x8000, v2, v64
	v_lshl_or_b32 v63, v2, 16, v63
.LBB318_1111:                           ;   in Loop: Header=BB318_669 Depth=1
	s_or_b32 exec_lo, exec_lo, s13
.LBB318_1112:                           ;   in Loop: Header=BB318_669 Depth=1
	s_or_b32 exec_lo, exec_lo, s12
.LBB318_1113:                           ;   in Loop: Header=BB318_669 Depth=1
	s_or_b32 exec_lo, exec_lo, s9
	v_lshrrev_b32_e32 v2, 16, v11
	v_cmp_ne_u16_sdwa s0, v2, v3 src0_sel:BYTE_0 src1_sel:DWORD
	s_and_saveexec_b32 s9, s0
	s_cbranch_execz .LBB318_1121
; %bb.1114:                             ;   in Loop: Header=BB318_669 Depth=1
	v_cmp_ne_u16_sdwa s0, v2, v29 src0_sel:BYTE_0 src1_sel:DWORD
	v_mov_b32_e32 v61, 0x8000
	s_and_saveexec_b32 s12, s0
	s_cbranch_execz .LBB318_1120
; %bb.1115:                             ;   in Loop: Header=BB318_669 Depth=1
	v_bfe_u32 v65, v11, 16, 7
	v_mov_b32_e32 v61, 0x7c01
	s_mov_b32 s13, exec_lo
	v_cmpx_ne_u32_e32 0x7f, v65
	s_cbranch_execz .LBB318_1119
; %bb.1116:                             ;   in Loop: Header=BB318_669 Depth=1
	v_and_b32_e32 v61, 7, v2
	v_lshrrev_b32_e32 v64, 3, v65
	s_mov_b32 s17, exec_lo
	v_cmpx_gt_u32_e32 8, v65
; %bb.1117:                             ;   in Loop: Header=BB318_669 Depth=1
	v_ffbh_u32_e32 v61, v61
	v_min_u32_e32 v61, 32, v61
	v_subrev_nc_u32_e32 v64, 28, v61
	v_lshlrev_b64 v[65:66], v64, v[2:3]
	v_sub_nc_u32_e32 v64, 29, v61
	v_and_b32_e32 v61, 7, v65
; %bb.1118:                             ;   in Loop: Header=BB318_669 Depth=1
	s_or_b32 exec_lo, exec_lo, s17
	v_lshlrev_b32_e32 v2, 8, v2
	v_lshl_add_u32 v64, v64, 10, 0x2000
	v_lshlrev_b32_e32 v61, 7, v61
	v_and_b32_e32 v2, 0x8000, v2
	v_and_b32_e32 v64, 0xfc00, v64
	v_or3_b32 v61, v2, v64, v61
.LBB318_1119:                           ;   in Loop: Header=BB318_669 Depth=1
	s_or_b32 exec_lo, exec_lo, s13
.LBB318_1120:                           ;   in Loop: Header=BB318_669 Depth=1
	s_or_b32 exec_lo, exec_lo, s12
.LBB318_1121:                           ;   in Loop: Header=BB318_669 Depth=1
	s_or_b32 exec_lo, exec_lo, s9
	v_cmp_lt_u64_e64 s0, s[4:5], v[10:11]
	v_mov_b32_e32 v10, 0
	s_and_saveexec_b32 s9, s0
	s_cbranch_execz .LBB318_1129
; %bb.1122:                             ;   in Loop: Header=BB318_669 Depth=1
	v_lshrrev_b32_e32 v2, 24, v11
	v_bfrev_b32_e32 v10, 1
	s_mov_b32 s12, exec_lo
	v_cmpx_ne_u32_e32 0x80, v2
	s_cbranch_execz .LBB318_1128
; %bb.1123:                             ;   in Loop: Header=BB318_669 Depth=1
	v_and_b32_e32 v64, 0x7f, v2
	v_mov_b32_e32 v10, 0x7c010000
	s_mov_b32 s13, exec_lo
	v_cmpx_ne_u32_e32 0x7f, v64
	s_cbranch_execz .LBB318_1127
; %bb.1124:                             ;   in Loop: Header=BB318_669 Depth=1
	v_and_b32_e32 v10, 7, v2
	v_lshrrev_b32_e32 v11, 3, v64
	s_mov_b32 s17, exec_lo
	v_cmpx_gt_u32_e32 8, v64
; %bb.1125:                             ;   in Loop: Header=BB318_669 Depth=1
	v_ffbh_u32_e32 v10, v10
	v_min_u32_e32 v64, 32, v10
	v_subrev_nc_u32_e32 v10, 28, v64
	v_lshlrev_b64 v[10:11], v10, v[2:3]
	v_sub_nc_u32_e32 v11, 29, v64
	v_and_b32_e32 v10, 7, v10
; %bb.1126:                             ;   in Loop: Header=BB318_669 Depth=1
	s_or_b32 exec_lo, exec_lo, s17
	v_lshlrev_b32_e32 v2, 8, v2
	v_lshl_add_u32 v11, v11, 10, 0x2000
	v_lshlrev_b32_e32 v10, 23, v10
	v_and_or_b32 v2, 0x8000, v2, v11
	v_lshl_or_b32 v10, v2, 16, v10
.LBB318_1127:                           ;   in Loop: Header=BB318_669 Depth=1
	s_or_b32 exec_lo, exec_lo, s13
.LBB318_1128:                           ;   in Loop: Header=BB318_669 Depth=1
	s_or_b32 exec_lo, exec_lo, s12
.LBB318_1129:                           ;   in Loop: Header=BB318_669 Depth=1
	s_or_b32 exec_lo, exec_lo, s9
	v_or_b32_e32 v2, v59, v60
	s_waitcnt vmcnt(0)
	v_fma_mixlo_f16 v11, v56, v59, 0 op_sel:[0,1,0] op_sel_hi:[0,1,0]
	v_or_b32_e32 v59, v57, v58
	v_fma_mixlo_f16 v57, v56, v57, 0 op_sel:[0,1,0] op_sel_hi:[0,1,0]
	v_or_b32_e32 v60, v63, v62
	v_or_b32_e32 v61, v10, v61
	v_fma_mixlo_f16 v62, v56, v2, 0 op_sel_hi:[0,1,0]
	v_fma_mixlo_f16 v10, v56, v10, 0 op_sel:[0,1,0] op_sel_hi:[0,1,0]
	v_lshlrev_b32_e32 v58, 16, v57
	v_fma_mixlo_f16 v57, v56, v59, 0 op_sel_hi:[0,1,0]
	v_fma_mixlo_f16 v59, v56, v63, 0 op_sel:[0,1,0] op_sel_hi:[0,1,0]
	v_fma_mixlo_f16 v60, v56, v60, 0 op_sel_hi:[0,1,0]
	v_fma_mixlo_f16 v61, v56, v61, 0 op_sel_hi:[0,1,0]
	v_lshlrev_b32_e32 v2, 16, v11
	v_and_b32_e32 v11, 0xffff, v62
	v_and_b32_e32 v64, 0xffff, v57
	v_lshlrev_b32_e32 v56, 16, v59
	v_and_b32_e32 v60, 0xffff, v60
	v_lshlrev_b32_e32 v10, 16, v10
	v_and_b32_e32 v57, 0xffff, v61
	v_or_b32_e32 v59, v2, v11
	v_or_b32_e32 v63, v58, v64
	;; [unrolled: 1-line block ×4, first 2 shown]
	s_and_saveexec_b32 s9, vcc_lo
	s_cbranch_execz .LBB318_1131
; %bb.1130:                             ;   in Loop: Header=BB318_669 Depth=1
	v_cmp_gt_i32_e64 s0, s29, v33
	v_cndmask_b32_e64 v59, 0, v64, s0
	v_cmp_gt_i32_e64 s0, s29, v42
	v_cndmask_b32_e64 v58, 0, v58, s0
	v_cmp_gt_i32_e64 s0, s29, v39
	v_or_b32_e32 v63, v58, v59
	v_cndmask_b32_e64 v11, 0, v11, s0
	v_cmp_gt_i32_e64 s0, s29, v37
	v_cndmask_b32_e64 v2, 0, v2, s0
	v_cmp_gt_i32_e64 s0, s29, v36
	v_or_b32_e32 v59, v2, v11
	;; [unrolled: 5-line block ×3, first 2 shown]
	v_cndmask_b32_e64 v57, 0, v57, s0
	v_cmp_gt_i32_e64 s0, s29, v27
	v_cndmask_b32_e64 v10, 0, v10, s0
	v_or_b32_e32 v61, v10, v57
.LBB318_1131:                           ;   in Loop: Header=BB318_669 Depth=1
	s_or_b32 exec_lo, exec_lo, s9
	;;#ASMSTART
	v_pk_mul_f16 v2, v44, v63;

	;;#ASMEND
	;;#ASMSTART
	v_pk_mul_f16 v10, v41, v59;

	;;#ASMEND
	;;#ASMSTART
	v_pk_mul_f16 v11, v40, v62;

	;;#ASMEND
	;;#ASMSTART
	v_pk_mul_f16 v56, v38, v61;

	;;#ASMEND
	;;#ASMSTART
	v_pk_add_f16 v2, v2, v10;

	;;#ASMEND
	;;#ASMSTART
	v_pk_add_f16 v2, v2, v11;

	;;#ASMEND
	;; [unrolled: 4-line block ×3, first 2 shown]
	v_and_b32_e32 v10, 0xffff, v2
	v_lshrrev_b32_e32 v2, 16, v2
	;;#ASMSTART
	v_cvt_f32_f16 v56, v10;
	;;#ASMEND
	;;#ASMSTART
	v_cvt_f32_f16 v57, v2;
	;;#ASMEND
	global_load_dwordx2 v[10:11], v[8:9], off offset:1792
	v_mov_b32_e32 v59, 0
	v_mov_b32_e32 v60, 0
	global_load_dword v58, v59, s[14:15]
	s_waitcnt vmcnt(1)
	v_cmp_ne_u16_sdwa s0, v10, v3 src0_sel:BYTE_0 src1_sel:DWORD
	s_and_saveexec_b32 s9, s0
	s_cbranch_execz .LBB318_1139
; %bb.1132:                             ;   in Loop: Header=BB318_669 Depth=1
	v_cmp_ne_u16_sdwa s0, v10, v29 src0_sel:BYTE_0 src1_sel:DWORD
	v_mov_b32_e32 v60, 0x8000
	s_and_saveexec_b32 s12, s0
	s_cbranch_execz .LBB318_1138
; %bb.1133:                             ;   in Loop: Header=BB318_669 Depth=1
	v_and_b32_e32 v61, 0x7f, v10
	v_mov_b32_e32 v60, 0x7c01
	s_mov_b32 s13, exec_lo
	v_cmpx_ne_u32_e32 0x7f, v61
	s_cbranch_execz .LBB318_1137
; %bb.1134:                             ;   in Loop: Header=BB318_669 Depth=1
	v_and_b32_e32 v2, 7, v10
	v_lshrrev_b32_e32 v60, 3, v61
	s_mov_b32 s17, exec_lo
	v_cmpx_gt_u32_e32 8, v61
; %bb.1135:                             ;   in Loop: Header=BB318_669 Depth=1
	v_ffbh_u32_e32 v2, v2
	v_min_u32_e32 v2, 32, v2
	v_subrev_nc_u32_e32 v60, 28, v2
	v_lshlrev_b64 v[61:62], v60, v[10:11]
	v_sub_nc_u32_e32 v60, 29, v2
	v_and_b32_e32 v2, 7, v61
; %bb.1136:                             ;   in Loop: Header=BB318_669 Depth=1
	s_or_b32 exec_lo, exec_lo, s17
	v_lshlrev_b32_e32 v61, 8, v10
	v_lshl_add_u32 v60, v60, 10, 0x2000
	v_lshlrev_b32_e32 v2, 7, v2
	v_and_b32_e32 v61, 0x8000, v61
	v_and_b32_e32 v60, 0xfc00, v60
	v_or3_b32 v60, v61, v60, v2
.LBB318_1137:                           ;   in Loop: Header=BB318_669 Depth=1
	s_or_b32 exec_lo, exec_lo, s13
.LBB318_1138:                           ;   in Loop: Header=BB318_669 Depth=1
	s_or_b32 exec_lo, exec_lo, s12
.LBB318_1139:                           ;   in Loop: Header=BB318_669 Depth=1
	s_or_b32 exec_lo, exec_lo, s9
	v_lshrrev_b16 v2, 8, v10
	s_mov_b32 s9, exec_lo
	v_cmpx_ne_u16_e32 0, v2
	s_cbranch_execz .LBB318_1147
; %bb.1140:                             ;   in Loop: Header=BB318_669 Depth=1
	v_bfrev_b32_e32 v59, 1
	s_mov_b32 s12, exec_lo
	v_cmpx_ne_u16_e32 0x80, v2
	s_cbranch_execz .LBB318_1146
; %bb.1141:                             ;   in Loop: Header=BB318_669 Depth=1
	v_and_b32_sdwa v62, v2, v30 dst_sel:DWORD dst_unused:UNUSED_PAD src0_sel:WORD_0 src1_sel:DWORD
	v_mov_b32_e32 v59, 0x7c010000
	s_mov_b32 s13, exec_lo
	v_cmpx_ne_u32_e32 0x7f, v62
	s_cbranch_execz .LBB318_1145
; %bb.1142:                             ;   in Loop: Header=BB318_669 Depth=1
	v_and_b32_sdwa v59, v2, v31 dst_sel:DWORD dst_unused:UNUSED_PAD src0_sel:WORD_0 src1_sel:DWORD
	v_lshrrev_b32_e32 v61, 3, v62
	s_mov_b32 s17, exec_lo
	v_cmpx_gt_u32_e32 8, v62
; %bb.1143:                             ;   in Loop: Header=BB318_669 Depth=1
	v_ffbh_u32_e32 v59, v59
	v_min_u32_e32 v59, 32, v59
	v_subrev_nc_u32_e32 v61, 28, v59
	v_lshlrev_b64 v[62:63], v61, v[2:3]
	v_sub_nc_u32_e32 v61, 29, v59
	v_and_b32_e32 v59, 7, v62
; %bb.1144:                             ;   in Loop: Header=BB318_669 Depth=1
	s_or_b32 exec_lo, exec_lo, s17
	v_lshlrev_b32_sdwa v2, v32, v2 dst_sel:DWORD dst_unused:UNUSED_PAD src0_sel:DWORD src1_sel:WORD_0
	v_lshl_add_u32 v61, v61, 10, 0x2000
	v_lshlrev_b32_e32 v59, 23, v59
	v_and_or_b32 v2, 0x8000, v2, v61
	v_lshl_or_b32 v59, v2, 16, v59
.LBB318_1145:                           ;   in Loop: Header=BB318_669 Depth=1
	s_or_b32 exec_lo, exec_lo, s13
.LBB318_1146:                           ;   in Loop: Header=BB318_669 Depth=1
	s_or_b32 exec_lo, exec_lo, s12
.LBB318_1147:                           ;   in Loop: Header=BB318_669 Depth=1
	s_or_b32 exec_lo, exec_lo, s9
	v_lshrrev_b32_e32 v2, 16, v10
	v_mov_b32_e32 v61, 0
	v_mov_b32_e32 v62, 0
	v_cmp_ne_u16_sdwa s0, v2, v3 src0_sel:BYTE_0 src1_sel:DWORD
	s_and_saveexec_b32 s9, s0
	s_cbranch_execz .LBB318_1155
; %bb.1148:                             ;   in Loop: Header=BB318_669 Depth=1
	v_cmp_ne_u16_sdwa s0, v2, v29 src0_sel:BYTE_0 src1_sel:DWORD
	v_mov_b32_e32 v62, 0x8000
	s_and_saveexec_b32 s12, s0
	s_cbranch_execz .LBB318_1154
; %bb.1149:                             ;   in Loop: Header=BB318_669 Depth=1
	v_bfe_u32 v64, v10, 16, 7
	v_mov_b32_e32 v62, 0x7c01
	s_mov_b32 s13, exec_lo
	v_cmpx_ne_u32_e32 0x7f, v64
	s_cbranch_execz .LBB318_1153
; %bb.1150:                             ;   in Loop: Header=BB318_669 Depth=1
	v_and_b32_e32 v62, 7, v2
	v_lshrrev_b32_e32 v63, 3, v64
	s_mov_b32 s17, exec_lo
	v_cmpx_gt_u32_e32 8, v64
; %bb.1151:                             ;   in Loop: Header=BB318_669 Depth=1
	v_ffbh_u32_e32 v62, v62
	v_min_u32_e32 v64, 32, v62
	v_subrev_nc_u32_e32 v62, 28, v64
	v_lshlrev_b64 v[62:63], v62, v[2:3]
	v_sub_nc_u32_e32 v63, 29, v64
	v_and_b32_e32 v62, 7, v62
; %bb.1152:                             ;   in Loop: Header=BB318_669 Depth=1
	s_or_b32 exec_lo, exec_lo, s17
	v_lshlrev_b32_e32 v2, 8, v2
	v_lshl_add_u32 v63, v63, 10, 0x2000
	v_lshlrev_b32_e32 v62, 7, v62
	v_and_b32_e32 v2, 0x8000, v2
	v_and_b32_e32 v63, 0xfc00, v63
	v_or3_b32 v62, v2, v63, v62
.LBB318_1153:                           ;   in Loop: Header=BB318_669 Depth=1
	s_or_b32 exec_lo, exec_lo, s13
.LBB318_1154:                           ;   in Loop: Header=BB318_669 Depth=1
	s_or_b32 exec_lo, exec_lo, s12
.LBB318_1155:                           ;   in Loop: Header=BB318_669 Depth=1
	s_or_b32 exec_lo, exec_lo, s9
	s_mov_b32 s9, exec_lo
	v_cmpx_lt_u32_e32 0xffffff, v10
	s_cbranch_execz .LBB318_1163
; %bb.1156:                             ;   in Loop: Header=BB318_669 Depth=1
	v_lshrrev_b32_e32 v2, 24, v10
	v_bfrev_b32_e32 v61, 1
	s_mov_b32 s12, exec_lo
	v_cmpx_ne_u32_e32 0x80, v2
	s_cbranch_execz .LBB318_1162
; %bb.1157:                             ;   in Loop: Header=BB318_669 Depth=1
	v_and_b32_e32 v64, 0x7f, v2
	v_mov_b32_e32 v61, 0x7c010000
	s_mov_b32 s13, exec_lo
	v_cmpx_ne_u32_e32 0x7f, v64
	s_cbranch_execz .LBB318_1161
; %bb.1158:                             ;   in Loop: Header=BB318_669 Depth=1
	v_and_b32_e32 v61, 7, v2
	v_lshrrev_b32_e32 v63, 3, v64
	s_mov_b32 s17, exec_lo
	v_cmpx_gt_u32_e32 8, v64
; %bb.1159:                             ;   in Loop: Header=BB318_669 Depth=1
	v_ffbh_u32_e32 v61, v61
	v_min_u32_e32 v61, 32, v61
	v_subrev_nc_u32_e32 v63, 28, v61
	v_lshlrev_b64 v[64:65], v63, v[2:3]
	v_sub_nc_u32_e32 v63, 29, v61
	v_and_b32_e32 v61, 7, v64
; %bb.1160:                             ;   in Loop: Header=BB318_669 Depth=1
	s_or_b32 exec_lo, exec_lo, s17
	v_lshlrev_b32_e32 v2, 8, v2
	v_lshl_add_u32 v63, v63, 10, 0x2000
	v_lshlrev_b32_e32 v61, 23, v61
	v_and_or_b32 v2, 0x8000, v2, v63
	v_lshl_or_b32 v61, v2, 16, v61
.LBB318_1161:                           ;   in Loop: Header=BB318_669 Depth=1
	s_or_b32 exec_lo, exec_lo, s13
.LBB318_1162:                           ;   in Loop: Header=BB318_669 Depth=1
	s_or_b32 exec_lo, exec_lo, s12
.LBB318_1163:                           ;   in Loop: Header=BB318_669 Depth=1
	s_or_b32 exec_lo, exec_lo, s9
	v_mov_b32_e32 v2, v11
	v_cmp_ne_u16_sdwa s0, v11, v3 src0_sel:BYTE_0 src1_sel:DWORD
	v_mov_b32_e32 v63, 0
	v_mov_b32_e32 v64, 0
	s_and_saveexec_b32 s9, s0
	s_cbranch_execz .LBB318_1171
; %bb.1164:                             ;   in Loop: Header=BB318_669 Depth=1
	v_cmp_ne_u16_sdwa s0, v11, v29 src0_sel:BYTE_0 src1_sel:DWORD
	v_mov_b32_e32 v64, 0x8000
	s_and_saveexec_b32 s12, s0
	s_cbranch_execz .LBB318_1170
; %bb.1165:                             ;   in Loop: Header=BB318_669 Depth=1
	v_and_b32_e32 v66, 0x7f, v11
	v_mov_b32_e32 v64, 0x7c01
	s_mov_b32 s13, exec_lo
	v_cmpx_ne_u32_e32 0x7f, v66
	s_cbranch_execz .LBB318_1169
; %bb.1166:                             ;   in Loop: Header=BB318_669 Depth=1
	v_and_b32_e32 v64, 7, v11
	v_lshrrev_b32_e32 v65, 3, v66
	s_mov_b32 s17, exec_lo
	v_cmpx_gt_u32_e32 8, v66
; %bb.1167:                             ;   in Loop: Header=BB318_669 Depth=1
	v_ffbh_u32_e32 v64, v64
	v_min_u32_e32 v66, 32, v64
	v_subrev_nc_u32_e32 v64, 28, v66
	v_lshlrev_b64 v[64:65], v64, v[2:3]
	v_sub_nc_u32_e32 v65, 29, v66
	v_and_b32_e32 v64, 7, v64
; %bb.1168:                             ;   in Loop: Header=BB318_669 Depth=1
	s_or_b32 exec_lo, exec_lo, s17
	v_lshlrev_b32_e32 v66, 8, v11
	v_lshl_add_u32 v65, v65, 10, 0x2000
	v_lshlrev_b32_e32 v64, 7, v64
	v_and_b32_e32 v66, 0x8000, v66
	v_and_b32_e32 v65, 0xfc00, v65
	v_or3_b32 v64, v66, v65, v64
.LBB318_1169:                           ;   in Loop: Header=BB318_669 Depth=1
	s_or_b32 exec_lo, exec_lo, s13
.LBB318_1170:                           ;   in Loop: Header=BB318_669 Depth=1
	s_or_b32 exec_lo, exec_lo, s12
.LBB318_1171:                           ;   in Loop: Header=BB318_669 Depth=1
	s_or_b32 exec_lo, exec_lo, s9
	v_lshrrev_b16 v2, 8, v2
	v_mov_b32_e32 v65, 0
	s_mov_b32 s9, exec_lo
	v_cmpx_ne_u16_e32 0, v2
	s_cbranch_execz .LBB318_1179
; %bb.1172:                             ;   in Loop: Header=BB318_669 Depth=1
	v_bfrev_b32_e32 v65, 1
	s_mov_b32 s12, exec_lo
	v_cmpx_ne_u16_e32 0x80, v2
	s_cbranch_execz .LBB318_1178
; %bb.1173:                             ;   in Loop: Header=BB318_669 Depth=1
	v_and_b32_sdwa v67, v2, v30 dst_sel:DWORD dst_unused:UNUSED_PAD src0_sel:WORD_0 src1_sel:DWORD
	v_mov_b32_e32 v65, 0x7c010000
	s_mov_b32 s13, exec_lo
	v_cmpx_ne_u32_e32 0x7f, v67
	s_cbranch_execz .LBB318_1177
; %bb.1174:                             ;   in Loop: Header=BB318_669 Depth=1
	v_and_b32_sdwa v65, v2, v31 dst_sel:DWORD dst_unused:UNUSED_PAD src0_sel:WORD_0 src1_sel:DWORD
	v_lshrrev_b32_e32 v66, 3, v67
	s_mov_b32 s17, exec_lo
	v_cmpx_gt_u32_e32 8, v67
; %bb.1175:                             ;   in Loop: Header=BB318_669 Depth=1
	v_ffbh_u32_e32 v65, v65
	v_min_u32_e32 v67, 32, v65
	v_subrev_nc_u32_e32 v65, 28, v67
	v_lshlrev_b64 v[65:66], v65, v[2:3]
	v_sub_nc_u32_e32 v66, 29, v67
	v_and_b32_e32 v65, 7, v65
; %bb.1176:                             ;   in Loop: Header=BB318_669 Depth=1
	s_or_b32 exec_lo, exec_lo, s17
	v_lshlrev_b32_sdwa v2, v32, v2 dst_sel:DWORD dst_unused:UNUSED_PAD src0_sel:DWORD src1_sel:WORD_0
	v_lshl_add_u32 v66, v66, 10, 0x2000
	v_lshlrev_b32_e32 v65, 23, v65
	v_and_or_b32 v2, 0x8000, v2, v66
	v_lshl_or_b32 v65, v2, 16, v65
.LBB318_1177:                           ;   in Loop: Header=BB318_669 Depth=1
	s_or_b32 exec_lo, exec_lo, s13
.LBB318_1178:                           ;   in Loop: Header=BB318_669 Depth=1
	s_or_b32 exec_lo, exec_lo, s12
.LBB318_1179:                           ;   in Loop: Header=BB318_669 Depth=1
	s_or_b32 exec_lo, exec_lo, s9
	v_lshrrev_b32_e32 v2, 16, v11
	v_cmp_ne_u16_sdwa s0, v2, v3 src0_sel:BYTE_0 src1_sel:DWORD
	s_and_saveexec_b32 s9, s0
	s_cbranch_execz .LBB318_1187
; %bb.1180:                             ;   in Loop: Header=BB318_669 Depth=1
	v_cmp_ne_u16_sdwa s0, v2, v29 src0_sel:BYTE_0 src1_sel:DWORD
	v_mov_b32_e32 v63, 0x8000
	s_and_saveexec_b32 s12, s0
	s_cbranch_execz .LBB318_1186
; %bb.1181:                             ;   in Loop: Header=BB318_669 Depth=1
	v_bfe_u32 v67, v11, 16, 7
	v_mov_b32_e32 v63, 0x7c01
	s_mov_b32 s13, exec_lo
	v_cmpx_ne_u32_e32 0x7f, v67
	s_cbranch_execz .LBB318_1185
; %bb.1182:                             ;   in Loop: Header=BB318_669 Depth=1
	v_and_b32_e32 v63, 7, v2
	v_lshrrev_b32_e32 v66, 3, v67
	s_mov_b32 s17, exec_lo
	v_cmpx_gt_u32_e32 8, v67
; %bb.1183:                             ;   in Loop: Header=BB318_669 Depth=1
	v_ffbh_u32_e32 v63, v63
	v_min_u32_e32 v63, 32, v63
	v_subrev_nc_u32_e32 v66, 28, v63
	v_lshlrev_b64 v[67:68], v66, v[2:3]
	v_sub_nc_u32_e32 v66, 29, v63
	v_and_b32_e32 v63, 7, v67
; %bb.1184:                             ;   in Loop: Header=BB318_669 Depth=1
	s_or_b32 exec_lo, exec_lo, s17
	v_lshlrev_b32_e32 v2, 8, v2
	v_lshl_add_u32 v66, v66, 10, 0x2000
	v_lshlrev_b32_e32 v63, 7, v63
	v_and_b32_e32 v2, 0x8000, v2
	v_and_b32_e32 v66, 0xfc00, v66
	v_or3_b32 v63, v2, v66, v63
.LBB318_1185:                           ;   in Loop: Header=BB318_669 Depth=1
	s_or_b32 exec_lo, exec_lo, s13
.LBB318_1186:                           ;   in Loop: Header=BB318_669 Depth=1
	s_or_b32 exec_lo, exec_lo, s12
.LBB318_1187:                           ;   in Loop: Header=BB318_669 Depth=1
	s_or_b32 exec_lo, exec_lo, s9
	v_cmp_lt_u64_e64 s0, s[4:5], v[10:11]
	v_mov_b32_e32 v10, 0
	s_and_saveexec_b32 s9, s0
	s_cbranch_execz .LBB318_1195
; %bb.1188:                             ;   in Loop: Header=BB318_669 Depth=1
	v_lshrrev_b32_e32 v2, 24, v11
	v_bfrev_b32_e32 v10, 1
	s_mov_b32 s12, exec_lo
	v_cmpx_ne_u32_e32 0x80, v2
	s_cbranch_execz .LBB318_1194
; %bb.1189:                             ;   in Loop: Header=BB318_669 Depth=1
	v_and_b32_e32 v66, 0x7f, v2
	v_mov_b32_e32 v10, 0x7c010000
	s_mov_b32 s13, exec_lo
	v_cmpx_ne_u32_e32 0x7f, v66
	s_cbranch_execz .LBB318_1193
; %bb.1190:                             ;   in Loop: Header=BB318_669 Depth=1
	v_and_b32_e32 v10, 7, v2
	v_lshrrev_b32_e32 v11, 3, v66
	s_mov_b32 s17, exec_lo
	v_cmpx_gt_u32_e32 8, v66
; %bb.1191:                             ;   in Loop: Header=BB318_669 Depth=1
	v_ffbh_u32_e32 v10, v10
	v_min_u32_e32 v66, 32, v10
	v_subrev_nc_u32_e32 v10, 28, v66
	v_lshlrev_b64 v[10:11], v10, v[2:3]
	v_sub_nc_u32_e32 v11, 29, v66
	v_and_b32_e32 v10, 7, v10
; %bb.1192:                             ;   in Loop: Header=BB318_669 Depth=1
	s_or_b32 exec_lo, exec_lo, s17
	v_lshlrev_b32_e32 v2, 8, v2
	v_lshl_add_u32 v11, v11, 10, 0x2000
	v_lshlrev_b32_e32 v10, 23, v10
	v_and_or_b32 v2, 0x8000, v2, v11
	v_lshl_or_b32 v10, v2, 16, v10
.LBB318_1193:                           ;   in Loop: Header=BB318_669 Depth=1
	s_or_b32 exec_lo, exec_lo, s13
.LBB318_1194:                           ;   in Loop: Header=BB318_669 Depth=1
	s_or_b32 exec_lo, exec_lo, s12
.LBB318_1195:                           ;   in Loop: Header=BB318_669 Depth=1
	s_or_b32 exec_lo, exec_lo, s9
	v_or_b32_e32 v2, v61, v62
	s_waitcnt vmcnt(0)
	v_fma_mixlo_f16 v11, v58, v61, 0 op_sel:[0,1,0] op_sel_hi:[0,1,0]
	v_or_b32_e32 v61, v59, v60
	v_fma_mixlo_f16 v59, v58, v59, 0 op_sel:[0,1,0] op_sel_hi:[0,1,0]
	v_or_b32_e32 v62, v65, v64
	v_or_b32_e32 v63, v10, v63
	v_fma_mixlo_f16 v64, v58, v2, 0 op_sel_hi:[0,1,0]
	v_fma_mixlo_f16 v10, v58, v10, 0 op_sel:[0,1,0] op_sel_hi:[0,1,0]
	v_lshlrev_b32_e32 v60, 16, v59
	v_fma_mixlo_f16 v59, v58, v61, 0 op_sel_hi:[0,1,0]
	v_fma_mixlo_f16 v61, v58, v65, 0 op_sel:[0,1,0] op_sel_hi:[0,1,0]
	v_fma_mixlo_f16 v62, v58, v62, 0 op_sel_hi:[0,1,0]
	v_fma_mixlo_f16 v63, v58, v63, 0 op_sel_hi:[0,1,0]
	v_lshlrev_b32_e32 v2, 16, v11
	v_and_b32_e32 v11, 0xffff, v64
	v_and_b32_e32 v66, 0xffff, v59
	v_lshlrev_b32_e32 v58, 16, v61
	v_and_b32_e32 v62, 0xffff, v62
	v_lshlrev_b32_e32 v10, 16, v10
	v_and_b32_e32 v59, 0xffff, v63
	v_or_b32_e32 v61, v2, v11
	v_or_b32_e32 v65, v60, v66
	;; [unrolled: 1-line block ×4, first 2 shown]
	s_and_saveexec_b32 s9, vcc_lo
	s_cbranch_execz .LBB318_1197
; %bb.1196:                             ;   in Loop: Header=BB318_669 Depth=1
	v_cmp_gt_i32_e64 s0, s29, v33
	v_cndmask_b32_e64 v61, 0, v66, s0
	v_cmp_gt_i32_e64 s0, s29, v42
	v_cndmask_b32_e64 v60, 0, v60, s0
	v_cmp_gt_i32_e64 s0, s29, v39
	v_or_b32_e32 v65, v60, v61
	v_cndmask_b32_e64 v11, 0, v11, s0
	v_cmp_gt_i32_e64 s0, s29, v37
	v_cndmask_b32_e64 v2, 0, v2, s0
	v_cmp_gt_i32_e64 s0, s29, v36
	v_or_b32_e32 v61, v2, v11
	v_cndmask_b32_e64 v62, 0, v62, s0
	v_cmp_gt_i32_e64 s0, s29, v35
	v_cndmask_b32_e64 v58, 0, v58, s0
	v_cmp_gt_i32_e64 s0, s29, v34
	v_or_b32_e32 v64, v58, v62
	v_cndmask_b32_e64 v59, 0, v59, s0
	v_cmp_gt_i32_e64 s0, s29, v27
	v_cndmask_b32_e64 v10, 0, v10, s0
	v_or_b32_e32 v63, v10, v59
.LBB318_1197:                           ;   in Loop: Header=BB318_669 Depth=1
	s_or_b32 exec_lo, exec_lo, s9
	v_add_co_u32 v8, s0, 0x800, v8
	v_add_co_ci_u32_e64 v9, null, 0, v9, s0
	;;#ASMSTART
	v_pk_mul_f16 v2, v44, v65;

	;;#ASMEND
	;;#ASMSTART
	v_pk_mul_f16 v10, v41, v61;

	;;#ASMEND
	;; [unrolled: 4-line block ×4, first 2 shown]
	;;#ASMSTART
	v_pk_add_f16 v2, v2, v10;

	;;#ASMEND
	;;#ASMSTART
	v_pk_add_f16 v2, v2, v11;

	;;#ASMEND
	;; [unrolled: 4-line block ×3, first 2 shown]
	v_lshrrev_b32_e32 v10, 16, v2
	v_and_b32_e32 v2, 0xffff, v2
	;;#ASMSTART
	v_cvt_f32_f16 v58, v2;
	;;#ASMEND
	;;#ASMSTART
	v_cvt_f32_f16 v59, v10;
	;;#ASMEND
	global_load_dwordx2 v[10:11], v[8:9], off
	v_mov_b32_e32 v61, 0
	v_mov_b32_e32 v62, 0
	global_load_dword v60, v61, s[14:15]
	s_waitcnt vmcnt(1)
	v_cmp_ne_u16_sdwa s0, v10, v3 src0_sel:BYTE_0 src1_sel:DWORD
	s_and_saveexec_b32 s9, s0
	s_cbranch_execz .LBB318_1205
; %bb.1198:                             ;   in Loop: Header=BB318_669 Depth=1
	v_cmp_ne_u16_sdwa s0, v10, v29 src0_sel:BYTE_0 src1_sel:DWORD
	v_mov_b32_e32 v62, 0x8000
	s_and_saveexec_b32 s12, s0
	s_cbranch_execz .LBB318_1204
; %bb.1199:                             ;   in Loop: Header=BB318_669 Depth=1
	v_and_b32_e32 v63, 0x7f, v10
	v_mov_b32_e32 v62, 0x7c01
	s_mov_b32 s13, exec_lo
	v_cmpx_ne_u32_e32 0x7f, v63
	s_cbranch_execz .LBB318_1203
; %bb.1200:                             ;   in Loop: Header=BB318_669 Depth=1
	v_and_b32_e32 v2, 7, v10
	v_lshrrev_b32_e32 v62, 3, v63
	s_mov_b32 s17, exec_lo
	v_cmpx_gt_u32_e32 8, v63
; %bb.1201:                             ;   in Loop: Header=BB318_669 Depth=1
	v_ffbh_u32_e32 v2, v2
	v_min_u32_e32 v2, 32, v2
	v_subrev_nc_u32_e32 v62, 28, v2
	v_lshlrev_b64 v[63:64], v62, v[10:11]
	v_sub_nc_u32_e32 v62, 29, v2
	v_and_b32_e32 v2, 7, v63
; %bb.1202:                             ;   in Loop: Header=BB318_669 Depth=1
	s_or_b32 exec_lo, exec_lo, s17
	v_lshlrev_b32_e32 v63, 8, v10
	v_lshl_add_u32 v62, v62, 10, 0x2000
	v_lshlrev_b32_e32 v2, 7, v2
	v_and_b32_e32 v63, 0x8000, v63
	v_and_b32_e32 v62, 0xfc00, v62
	v_or3_b32 v62, v63, v62, v2
.LBB318_1203:                           ;   in Loop: Header=BB318_669 Depth=1
	s_or_b32 exec_lo, exec_lo, s13
.LBB318_1204:                           ;   in Loop: Header=BB318_669 Depth=1
	s_or_b32 exec_lo, exec_lo, s12
.LBB318_1205:                           ;   in Loop: Header=BB318_669 Depth=1
	s_or_b32 exec_lo, exec_lo, s9
	v_lshrrev_b16 v2, 8, v10
	s_mov_b32 s9, exec_lo
	v_cmpx_ne_u16_e32 0, v2
	s_cbranch_execz .LBB318_1213
; %bb.1206:                             ;   in Loop: Header=BB318_669 Depth=1
	v_bfrev_b32_e32 v61, 1
	s_mov_b32 s12, exec_lo
	v_cmpx_ne_u16_e32 0x80, v2
	s_cbranch_execz .LBB318_1212
; %bb.1207:                             ;   in Loop: Header=BB318_669 Depth=1
	v_and_b32_sdwa v64, v2, v30 dst_sel:DWORD dst_unused:UNUSED_PAD src0_sel:WORD_0 src1_sel:DWORD
	v_mov_b32_e32 v61, 0x7c010000
	s_mov_b32 s13, exec_lo
	v_cmpx_ne_u32_e32 0x7f, v64
	s_cbranch_execz .LBB318_1211
; %bb.1208:                             ;   in Loop: Header=BB318_669 Depth=1
	v_and_b32_sdwa v61, v2, v31 dst_sel:DWORD dst_unused:UNUSED_PAD src0_sel:WORD_0 src1_sel:DWORD
	v_lshrrev_b32_e32 v63, 3, v64
	s_mov_b32 s17, exec_lo
	v_cmpx_gt_u32_e32 8, v64
; %bb.1209:                             ;   in Loop: Header=BB318_669 Depth=1
	v_ffbh_u32_e32 v61, v61
	v_min_u32_e32 v61, 32, v61
	v_subrev_nc_u32_e32 v63, 28, v61
	v_lshlrev_b64 v[64:65], v63, v[2:3]
	v_sub_nc_u32_e32 v63, 29, v61
	v_and_b32_e32 v61, 7, v64
; %bb.1210:                             ;   in Loop: Header=BB318_669 Depth=1
	s_or_b32 exec_lo, exec_lo, s17
	v_lshlrev_b32_sdwa v2, v32, v2 dst_sel:DWORD dst_unused:UNUSED_PAD src0_sel:DWORD src1_sel:WORD_0
	v_lshl_add_u32 v63, v63, 10, 0x2000
	v_lshlrev_b32_e32 v61, 23, v61
	v_and_or_b32 v2, 0x8000, v2, v63
	v_lshl_or_b32 v61, v2, 16, v61
.LBB318_1211:                           ;   in Loop: Header=BB318_669 Depth=1
	s_or_b32 exec_lo, exec_lo, s13
.LBB318_1212:                           ;   in Loop: Header=BB318_669 Depth=1
	s_or_b32 exec_lo, exec_lo, s12
.LBB318_1213:                           ;   in Loop: Header=BB318_669 Depth=1
	s_or_b32 exec_lo, exec_lo, s9
	v_lshrrev_b32_e32 v2, 16, v10
	v_mov_b32_e32 v63, 0
	v_mov_b32_e32 v64, 0
	v_cmp_ne_u16_sdwa s0, v2, v3 src0_sel:BYTE_0 src1_sel:DWORD
	s_and_saveexec_b32 s9, s0
	s_cbranch_execz .LBB318_1221
; %bb.1214:                             ;   in Loop: Header=BB318_669 Depth=1
	v_cmp_ne_u16_sdwa s0, v2, v29 src0_sel:BYTE_0 src1_sel:DWORD
	v_mov_b32_e32 v64, 0x8000
	s_and_saveexec_b32 s12, s0
	s_cbranch_execz .LBB318_1220
; %bb.1215:                             ;   in Loop: Header=BB318_669 Depth=1
	v_bfe_u32 v66, v10, 16, 7
	v_mov_b32_e32 v64, 0x7c01
	s_mov_b32 s13, exec_lo
	v_cmpx_ne_u32_e32 0x7f, v66
	s_cbranch_execz .LBB318_1219
; %bb.1216:                             ;   in Loop: Header=BB318_669 Depth=1
	v_and_b32_e32 v64, 7, v2
	v_lshrrev_b32_e32 v65, 3, v66
	s_mov_b32 s17, exec_lo
	v_cmpx_gt_u32_e32 8, v66
; %bb.1217:                             ;   in Loop: Header=BB318_669 Depth=1
	v_ffbh_u32_e32 v64, v64
	v_min_u32_e32 v66, 32, v64
	v_subrev_nc_u32_e32 v64, 28, v66
	v_lshlrev_b64 v[64:65], v64, v[2:3]
	v_sub_nc_u32_e32 v65, 29, v66
	v_and_b32_e32 v64, 7, v64
; %bb.1218:                             ;   in Loop: Header=BB318_669 Depth=1
	s_or_b32 exec_lo, exec_lo, s17
	v_lshlrev_b32_e32 v2, 8, v2
	v_lshl_add_u32 v65, v65, 10, 0x2000
	v_lshlrev_b32_e32 v64, 7, v64
	v_and_b32_e32 v2, 0x8000, v2
	v_and_b32_e32 v65, 0xfc00, v65
	v_or3_b32 v64, v2, v65, v64
.LBB318_1219:                           ;   in Loop: Header=BB318_669 Depth=1
	s_or_b32 exec_lo, exec_lo, s13
.LBB318_1220:                           ;   in Loop: Header=BB318_669 Depth=1
	s_or_b32 exec_lo, exec_lo, s12
.LBB318_1221:                           ;   in Loop: Header=BB318_669 Depth=1
	s_or_b32 exec_lo, exec_lo, s9
	s_mov_b32 s9, exec_lo
	v_cmpx_lt_u32_e32 0xffffff, v10
	s_cbranch_execz .LBB318_1229
; %bb.1222:                             ;   in Loop: Header=BB318_669 Depth=1
	v_lshrrev_b32_e32 v2, 24, v10
	v_bfrev_b32_e32 v63, 1
	s_mov_b32 s12, exec_lo
	v_cmpx_ne_u32_e32 0x80, v2
	s_cbranch_execz .LBB318_1228
; %bb.1223:                             ;   in Loop: Header=BB318_669 Depth=1
	v_and_b32_e32 v66, 0x7f, v2
	v_mov_b32_e32 v63, 0x7c010000
	s_mov_b32 s13, exec_lo
	v_cmpx_ne_u32_e32 0x7f, v66
	s_cbranch_execz .LBB318_1227
; %bb.1224:                             ;   in Loop: Header=BB318_669 Depth=1
	v_and_b32_e32 v63, 7, v2
	v_lshrrev_b32_e32 v65, 3, v66
	s_mov_b32 s17, exec_lo
	v_cmpx_gt_u32_e32 8, v66
; %bb.1225:                             ;   in Loop: Header=BB318_669 Depth=1
	v_ffbh_u32_e32 v63, v63
	v_min_u32_e32 v63, 32, v63
	v_subrev_nc_u32_e32 v65, 28, v63
	v_lshlrev_b64 v[66:67], v65, v[2:3]
	v_sub_nc_u32_e32 v65, 29, v63
	v_and_b32_e32 v63, 7, v66
; %bb.1226:                             ;   in Loop: Header=BB318_669 Depth=1
	s_or_b32 exec_lo, exec_lo, s17
	v_lshlrev_b32_e32 v2, 8, v2
	v_lshl_add_u32 v65, v65, 10, 0x2000
	v_lshlrev_b32_e32 v63, 23, v63
	v_and_or_b32 v2, 0x8000, v2, v65
	v_lshl_or_b32 v63, v2, 16, v63
.LBB318_1227:                           ;   in Loop: Header=BB318_669 Depth=1
	s_or_b32 exec_lo, exec_lo, s13
.LBB318_1228:                           ;   in Loop: Header=BB318_669 Depth=1
	s_or_b32 exec_lo, exec_lo, s12
.LBB318_1229:                           ;   in Loop: Header=BB318_669 Depth=1
	s_or_b32 exec_lo, exec_lo, s9
	v_mov_b32_e32 v2, v11
	v_cmp_ne_u16_sdwa s0, v11, v3 src0_sel:BYTE_0 src1_sel:DWORD
	v_mov_b32_e32 v65, 0
	v_mov_b32_e32 v66, 0
	s_and_saveexec_b32 s9, s0
	s_cbranch_execz .LBB318_1237
; %bb.1230:                             ;   in Loop: Header=BB318_669 Depth=1
	v_cmp_ne_u16_sdwa s0, v11, v29 src0_sel:BYTE_0 src1_sel:DWORD
	v_mov_b32_e32 v66, 0x8000
	s_and_saveexec_b32 s12, s0
	s_cbranch_execz .LBB318_1236
; %bb.1231:                             ;   in Loop: Header=BB318_669 Depth=1
	v_and_b32_e32 v68, 0x7f, v11
	v_mov_b32_e32 v66, 0x7c01
	s_mov_b32 s13, exec_lo
	v_cmpx_ne_u32_e32 0x7f, v68
	s_cbranch_execz .LBB318_1235
; %bb.1232:                             ;   in Loop: Header=BB318_669 Depth=1
	v_and_b32_e32 v66, 7, v11
	v_lshrrev_b32_e32 v67, 3, v68
	s_mov_b32 s17, exec_lo
	v_cmpx_gt_u32_e32 8, v68
; %bb.1233:                             ;   in Loop: Header=BB318_669 Depth=1
	v_ffbh_u32_e32 v66, v66
	v_min_u32_e32 v68, 32, v66
	v_subrev_nc_u32_e32 v66, 28, v68
	v_lshlrev_b64 v[66:67], v66, v[2:3]
	v_sub_nc_u32_e32 v67, 29, v68
	v_and_b32_e32 v66, 7, v66
; %bb.1234:                             ;   in Loop: Header=BB318_669 Depth=1
	s_or_b32 exec_lo, exec_lo, s17
	v_lshlrev_b32_e32 v68, 8, v11
	v_lshl_add_u32 v67, v67, 10, 0x2000
	v_lshlrev_b32_e32 v66, 7, v66
	v_and_b32_e32 v68, 0x8000, v68
	v_and_b32_e32 v67, 0xfc00, v67
	v_or3_b32 v66, v68, v67, v66
.LBB318_1235:                           ;   in Loop: Header=BB318_669 Depth=1
	s_or_b32 exec_lo, exec_lo, s13
.LBB318_1236:                           ;   in Loop: Header=BB318_669 Depth=1
	s_or_b32 exec_lo, exec_lo, s12
.LBB318_1237:                           ;   in Loop: Header=BB318_669 Depth=1
	s_or_b32 exec_lo, exec_lo, s9
	v_lshrrev_b16 v2, 8, v2
	v_mov_b32_e32 v67, 0
	s_mov_b32 s9, exec_lo
	v_cmpx_ne_u16_e32 0, v2
	s_cbranch_execz .LBB318_1245
; %bb.1238:                             ;   in Loop: Header=BB318_669 Depth=1
	v_bfrev_b32_e32 v67, 1
	s_mov_b32 s12, exec_lo
	v_cmpx_ne_u16_e32 0x80, v2
	s_cbranch_execz .LBB318_1244
; %bb.1239:                             ;   in Loop: Header=BB318_669 Depth=1
	v_and_b32_sdwa v69, v2, v30 dst_sel:DWORD dst_unused:UNUSED_PAD src0_sel:WORD_0 src1_sel:DWORD
	v_mov_b32_e32 v67, 0x7c010000
	s_mov_b32 s13, exec_lo
	v_cmpx_ne_u32_e32 0x7f, v69
	s_cbranch_execz .LBB318_1243
; %bb.1240:                             ;   in Loop: Header=BB318_669 Depth=1
	v_and_b32_sdwa v67, v2, v31 dst_sel:DWORD dst_unused:UNUSED_PAD src0_sel:WORD_0 src1_sel:DWORD
	v_lshrrev_b32_e32 v68, 3, v69
	s_mov_b32 s17, exec_lo
	v_cmpx_gt_u32_e32 8, v69
; %bb.1241:                             ;   in Loop: Header=BB318_669 Depth=1
	v_ffbh_u32_e32 v67, v67
	v_min_u32_e32 v69, 32, v67
	v_subrev_nc_u32_e32 v67, 28, v69
	v_lshlrev_b64 v[67:68], v67, v[2:3]
	v_sub_nc_u32_e32 v68, 29, v69
	v_and_b32_e32 v67, 7, v67
; %bb.1242:                             ;   in Loop: Header=BB318_669 Depth=1
	s_or_b32 exec_lo, exec_lo, s17
	v_lshlrev_b32_sdwa v2, v32, v2 dst_sel:DWORD dst_unused:UNUSED_PAD src0_sel:DWORD src1_sel:WORD_0
	v_lshl_add_u32 v68, v68, 10, 0x2000
	v_lshlrev_b32_e32 v67, 23, v67
	v_and_or_b32 v2, 0x8000, v2, v68
	v_lshl_or_b32 v67, v2, 16, v67
.LBB318_1243:                           ;   in Loop: Header=BB318_669 Depth=1
	s_or_b32 exec_lo, exec_lo, s13
.LBB318_1244:                           ;   in Loop: Header=BB318_669 Depth=1
	s_or_b32 exec_lo, exec_lo, s12
.LBB318_1245:                           ;   in Loop: Header=BB318_669 Depth=1
	s_or_b32 exec_lo, exec_lo, s9
	v_lshrrev_b32_e32 v2, 16, v11
	v_cmp_ne_u16_sdwa s0, v2, v3 src0_sel:BYTE_0 src1_sel:DWORD
	s_and_saveexec_b32 s9, s0
	s_cbranch_execz .LBB318_1253
; %bb.1246:                             ;   in Loop: Header=BB318_669 Depth=1
	v_cmp_ne_u16_sdwa s0, v2, v29 src0_sel:BYTE_0 src1_sel:DWORD
	v_mov_b32_e32 v65, 0x8000
	s_and_saveexec_b32 s12, s0
	s_cbranch_execz .LBB318_1252
; %bb.1247:                             ;   in Loop: Header=BB318_669 Depth=1
	v_bfe_u32 v69, v11, 16, 7
	v_mov_b32_e32 v65, 0x7c01
	s_mov_b32 s13, exec_lo
	v_cmpx_ne_u32_e32 0x7f, v69
	s_cbranch_execz .LBB318_1251
; %bb.1248:                             ;   in Loop: Header=BB318_669 Depth=1
	v_and_b32_e32 v65, 7, v2
	v_lshrrev_b32_e32 v68, 3, v69
	s_mov_b32 s17, exec_lo
	v_cmpx_gt_u32_e32 8, v69
; %bb.1249:                             ;   in Loop: Header=BB318_669 Depth=1
	v_ffbh_u32_e32 v65, v65
	v_min_u32_e32 v65, 32, v65
	v_subrev_nc_u32_e32 v68, 28, v65
	v_lshlrev_b64 v[69:70], v68, v[2:3]
	v_sub_nc_u32_e32 v68, 29, v65
	v_and_b32_e32 v65, 7, v69
; %bb.1250:                             ;   in Loop: Header=BB318_669 Depth=1
	s_or_b32 exec_lo, exec_lo, s17
	v_lshlrev_b32_e32 v2, 8, v2
	v_lshl_add_u32 v68, v68, 10, 0x2000
	v_lshlrev_b32_e32 v65, 7, v65
	v_and_b32_e32 v2, 0x8000, v2
	v_and_b32_e32 v68, 0xfc00, v68
	v_or3_b32 v65, v2, v68, v65
.LBB318_1251:                           ;   in Loop: Header=BB318_669 Depth=1
	s_or_b32 exec_lo, exec_lo, s13
.LBB318_1252:                           ;   in Loop: Header=BB318_669 Depth=1
	s_or_b32 exec_lo, exec_lo, s12
.LBB318_1253:                           ;   in Loop: Header=BB318_669 Depth=1
	s_or_b32 exec_lo, exec_lo, s9
	v_cmp_lt_u64_e64 s0, s[4:5], v[10:11]
	v_mov_b32_e32 v10, 0
	s_and_saveexec_b32 s9, s0
	s_cbranch_execz .LBB318_1261
; %bb.1254:                             ;   in Loop: Header=BB318_669 Depth=1
	v_lshrrev_b32_e32 v2, 24, v11
	v_bfrev_b32_e32 v10, 1
	s_mov_b32 s12, exec_lo
	v_cmpx_ne_u32_e32 0x80, v2
	s_cbranch_execz .LBB318_1260
; %bb.1255:                             ;   in Loop: Header=BB318_669 Depth=1
	v_and_b32_e32 v68, 0x7f, v2
	v_mov_b32_e32 v10, 0x7c010000
	s_mov_b32 s13, exec_lo
	v_cmpx_ne_u32_e32 0x7f, v68
	s_cbranch_execz .LBB318_1259
; %bb.1256:                             ;   in Loop: Header=BB318_669 Depth=1
	v_and_b32_e32 v10, 7, v2
	v_lshrrev_b32_e32 v11, 3, v68
	s_mov_b32 s17, exec_lo
	v_cmpx_gt_u32_e32 8, v68
; %bb.1257:                             ;   in Loop: Header=BB318_669 Depth=1
	v_ffbh_u32_e32 v10, v10
	v_min_u32_e32 v68, 32, v10
	v_subrev_nc_u32_e32 v10, 28, v68
	v_lshlrev_b64 v[10:11], v10, v[2:3]
	v_sub_nc_u32_e32 v11, 29, v68
	v_and_b32_e32 v10, 7, v10
; %bb.1258:                             ;   in Loop: Header=BB318_669 Depth=1
	s_or_b32 exec_lo, exec_lo, s17
	v_lshlrev_b32_e32 v2, 8, v2
	v_lshl_add_u32 v11, v11, 10, 0x2000
	v_lshlrev_b32_e32 v10, 23, v10
	v_and_or_b32 v2, 0x8000, v2, v11
	v_lshl_or_b32 v10, v2, 16, v10
.LBB318_1259:                           ;   in Loop: Header=BB318_669 Depth=1
	s_or_b32 exec_lo, exec_lo, s13
.LBB318_1260:                           ;   in Loop: Header=BB318_669 Depth=1
	s_or_b32 exec_lo, exec_lo, s12
.LBB318_1261:                           ;   in Loop: Header=BB318_669 Depth=1
	s_or_b32 exec_lo, exec_lo, s9
	v_or_b32_e32 v2, v63, v64
	s_waitcnt vmcnt(0)
	v_fma_mixlo_f16 v11, v60, v63, 0 op_sel:[0,1,0] op_sel_hi:[0,1,0]
	v_or_b32_e32 v63, v61, v62
	v_fma_mixlo_f16 v61, v60, v61, 0 op_sel:[0,1,0] op_sel_hi:[0,1,0]
	v_or_b32_e32 v64, v67, v66
	v_or_b32_e32 v65, v10, v65
	v_fma_mixlo_f16 v66, v60, v2, 0 op_sel_hi:[0,1,0]
	v_fma_mixlo_f16 v10, v60, v10, 0 op_sel:[0,1,0] op_sel_hi:[0,1,0]
	v_lshlrev_b32_e32 v62, 16, v61
	v_fma_mixlo_f16 v61, v60, v63, 0 op_sel_hi:[0,1,0]
	v_fma_mixlo_f16 v63, v60, v67, 0 op_sel:[0,1,0] op_sel_hi:[0,1,0]
	v_fma_mixlo_f16 v64, v60, v64, 0 op_sel_hi:[0,1,0]
	v_fma_mixlo_f16 v65, v60, v65, 0 op_sel_hi:[0,1,0]
	v_lshlrev_b32_e32 v2, 16, v11
	v_and_b32_e32 v11, 0xffff, v66
	v_and_b32_e32 v68, 0xffff, v61
	v_lshlrev_b32_e32 v60, 16, v63
	v_and_b32_e32 v64, 0xffff, v64
	v_lshlrev_b32_e32 v10, 16, v10
	v_and_b32_e32 v61, 0xffff, v65
	v_or_b32_e32 v63, v2, v11
	v_or_b32_e32 v67, v62, v68
	;; [unrolled: 1-line block ×4, first 2 shown]
	s_and_saveexec_b32 s9, vcc_lo
	s_cbranch_execz .LBB318_1263
; %bb.1262:                             ;   in Loop: Header=BB318_669 Depth=1
	v_cmp_gt_i32_e64 s0, s29, v33
	v_cndmask_b32_e64 v63, 0, v68, s0
	v_cmp_gt_i32_e64 s0, s29, v42
	v_cndmask_b32_e64 v62, 0, v62, s0
	v_cmp_gt_i32_e64 s0, s29, v39
	v_or_b32_e32 v67, v62, v63
	v_cndmask_b32_e64 v11, 0, v11, s0
	v_cmp_gt_i32_e64 s0, s29, v37
	v_cndmask_b32_e64 v2, 0, v2, s0
	v_cmp_gt_i32_e64 s0, s29, v36
	v_or_b32_e32 v63, v2, v11
	;; [unrolled: 5-line block ×3, first 2 shown]
	v_cndmask_b32_e64 v61, 0, v61, s0
	v_cmp_gt_i32_e64 s0, s29, v27
	v_cndmask_b32_e64 v10, 0, v10, s0
	v_or_b32_e32 v65, v10, v61
.LBB318_1263:                           ;   in Loop: Header=BB318_669 Depth=1
	s_or_b32 exec_lo, exec_lo, s9
	;;#ASMSTART
	v_pk_mul_f16 v2, v44, v67;

	;;#ASMEND
	;;#ASMSTART
	v_pk_mul_f16 v10, v41, v63;

	;;#ASMEND
	;; [unrolled: 4-line block ×4, first 2 shown]
	;;#ASMSTART
	v_pk_add_f16 v2, v2, v10;

	;;#ASMEND
	;;#ASMSTART
	v_pk_add_f16 v2, v2, v11;

	;;#ASMEND
	;; [unrolled: 4-line block ×3, first 2 shown]
	v_and_b32_e32 v10, 0xffff, v2
	v_lshrrev_b32_e32 v2, 16, v2
	;;#ASMSTART
	v_cvt_f32_f16 v10, v10;
	;;#ASMEND
	;;#ASMSTART
	v_cvt_f32_f16 v11, v2;
	;;#ASMEND
	global_load_dwordx2 v[8:9], v[8:9], off offset:256
	v_mov_b32_e32 v61, 0
	v_mov_b32_e32 v62, 0
	global_load_dword v60, v61, s[14:15]
	s_waitcnt vmcnt(1)
	v_cmp_ne_u16_sdwa s0, v8, v3 src0_sel:BYTE_0 src1_sel:DWORD
	s_and_saveexec_b32 s9, s0
	s_cbranch_execz .LBB318_1271
; %bb.1264:                             ;   in Loop: Header=BB318_669 Depth=1
	v_cmp_ne_u16_sdwa s0, v8, v29 src0_sel:BYTE_0 src1_sel:DWORD
	v_mov_b32_e32 v62, 0x8000
	s_and_saveexec_b32 s12, s0
	s_cbranch_execz .LBB318_1270
; %bb.1265:                             ;   in Loop: Header=BB318_669 Depth=1
	v_and_b32_e32 v63, 0x7f, v8
	v_mov_b32_e32 v62, 0x7c01
	s_mov_b32 s13, exec_lo
	v_cmpx_ne_u32_e32 0x7f, v63
	s_cbranch_execz .LBB318_1269
; %bb.1266:                             ;   in Loop: Header=BB318_669 Depth=1
	v_and_b32_e32 v2, 7, v8
	v_lshrrev_b32_e32 v62, 3, v63
	s_mov_b32 s17, exec_lo
	v_cmpx_gt_u32_e32 8, v63
; %bb.1267:                             ;   in Loop: Header=BB318_669 Depth=1
	v_ffbh_u32_e32 v2, v2
	v_min_u32_e32 v2, 32, v2
	v_subrev_nc_u32_e32 v62, 28, v2
	v_lshlrev_b64 v[63:64], v62, v[8:9]
	v_sub_nc_u32_e32 v62, 29, v2
	v_and_b32_e32 v2, 7, v63
; %bb.1268:                             ;   in Loop: Header=BB318_669 Depth=1
	s_or_b32 exec_lo, exec_lo, s17
	v_lshlrev_b32_e32 v63, 8, v8
	v_lshl_add_u32 v62, v62, 10, 0x2000
	v_lshlrev_b32_e32 v2, 7, v2
	v_and_b32_e32 v63, 0x8000, v63
	v_and_b32_e32 v62, 0xfc00, v62
	v_or3_b32 v62, v63, v62, v2
.LBB318_1269:                           ;   in Loop: Header=BB318_669 Depth=1
	s_or_b32 exec_lo, exec_lo, s13
.LBB318_1270:                           ;   in Loop: Header=BB318_669 Depth=1
	s_or_b32 exec_lo, exec_lo, s12
.LBB318_1271:                           ;   in Loop: Header=BB318_669 Depth=1
	s_or_b32 exec_lo, exec_lo, s9
	v_lshrrev_b16 v2, 8, v8
	s_mov_b32 s9, exec_lo
	v_cmpx_ne_u16_e32 0, v2
	s_cbranch_execz .LBB318_1279
; %bb.1272:                             ;   in Loop: Header=BB318_669 Depth=1
	v_bfrev_b32_e32 v61, 1
	s_mov_b32 s12, exec_lo
	v_cmpx_ne_u16_e32 0x80, v2
	s_cbranch_execz .LBB318_1278
; %bb.1273:                             ;   in Loop: Header=BB318_669 Depth=1
	v_and_b32_sdwa v64, v2, v30 dst_sel:DWORD dst_unused:UNUSED_PAD src0_sel:WORD_0 src1_sel:DWORD
	v_mov_b32_e32 v61, 0x7c010000
	s_mov_b32 s13, exec_lo
	v_cmpx_ne_u32_e32 0x7f, v64
	s_cbranch_execz .LBB318_1277
; %bb.1274:                             ;   in Loop: Header=BB318_669 Depth=1
	v_and_b32_sdwa v61, v2, v31 dst_sel:DWORD dst_unused:UNUSED_PAD src0_sel:WORD_0 src1_sel:DWORD
	v_lshrrev_b32_e32 v63, 3, v64
	s_mov_b32 s17, exec_lo
	v_cmpx_gt_u32_e32 8, v64
; %bb.1275:                             ;   in Loop: Header=BB318_669 Depth=1
	v_ffbh_u32_e32 v61, v61
	v_min_u32_e32 v61, 32, v61
	v_subrev_nc_u32_e32 v63, 28, v61
	v_lshlrev_b64 v[64:65], v63, v[2:3]
	v_sub_nc_u32_e32 v63, 29, v61
	v_and_b32_e32 v61, 7, v64
; %bb.1276:                             ;   in Loop: Header=BB318_669 Depth=1
	s_or_b32 exec_lo, exec_lo, s17
	v_lshlrev_b32_sdwa v2, v32, v2 dst_sel:DWORD dst_unused:UNUSED_PAD src0_sel:DWORD src1_sel:WORD_0
	v_lshl_add_u32 v63, v63, 10, 0x2000
	v_lshlrev_b32_e32 v61, 23, v61
	v_and_or_b32 v2, 0x8000, v2, v63
	v_lshl_or_b32 v61, v2, 16, v61
.LBB318_1277:                           ;   in Loop: Header=BB318_669 Depth=1
	s_or_b32 exec_lo, exec_lo, s13
.LBB318_1278:                           ;   in Loop: Header=BB318_669 Depth=1
	s_or_b32 exec_lo, exec_lo, s12
.LBB318_1279:                           ;   in Loop: Header=BB318_669 Depth=1
	s_or_b32 exec_lo, exec_lo, s9
	v_lshrrev_b32_e32 v2, 16, v8
	v_mov_b32_e32 v63, 0
	v_mov_b32_e32 v64, 0
	v_cmp_ne_u16_sdwa s0, v2, v3 src0_sel:BYTE_0 src1_sel:DWORD
	s_and_saveexec_b32 s9, s0
	s_cbranch_execz .LBB318_1287
; %bb.1280:                             ;   in Loop: Header=BB318_669 Depth=1
	v_cmp_ne_u16_sdwa s0, v2, v29 src0_sel:BYTE_0 src1_sel:DWORD
	v_mov_b32_e32 v64, 0x8000
	s_and_saveexec_b32 s12, s0
	s_cbranch_execz .LBB318_1286
; %bb.1281:                             ;   in Loop: Header=BB318_669 Depth=1
	v_bfe_u32 v66, v8, 16, 7
	v_mov_b32_e32 v64, 0x7c01
	s_mov_b32 s13, exec_lo
	v_cmpx_ne_u32_e32 0x7f, v66
	s_cbranch_execz .LBB318_1285
; %bb.1282:                             ;   in Loop: Header=BB318_669 Depth=1
	v_and_b32_e32 v64, 7, v2
	v_lshrrev_b32_e32 v65, 3, v66
	s_mov_b32 s17, exec_lo
	v_cmpx_gt_u32_e32 8, v66
; %bb.1283:                             ;   in Loop: Header=BB318_669 Depth=1
	v_ffbh_u32_e32 v64, v64
	v_min_u32_e32 v66, 32, v64
	v_subrev_nc_u32_e32 v64, 28, v66
	v_lshlrev_b64 v[64:65], v64, v[2:3]
	v_sub_nc_u32_e32 v65, 29, v66
	v_and_b32_e32 v64, 7, v64
; %bb.1284:                             ;   in Loop: Header=BB318_669 Depth=1
	s_or_b32 exec_lo, exec_lo, s17
	v_lshlrev_b32_e32 v2, 8, v2
	v_lshl_add_u32 v65, v65, 10, 0x2000
	v_lshlrev_b32_e32 v64, 7, v64
	v_and_b32_e32 v2, 0x8000, v2
	v_and_b32_e32 v65, 0xfc00, v65
	v_or3_b32 v64, v2, v65, v64
.LBB318_1285:                           ;   in Loop: Header=BB318_669 Depth=1
	s_or_b32 exec_lo, exec_lo, s13
.LBB318_1286:                           ;   in Loop: Header=BB318_669 Depth=1
	s_or_b32 exec_lo, exec_lo, s12
.LBB318_1287:                           ;   in Loop: Header=BB318_669 Depth=1
	s_or_b32 exec_lo, exec_lo, s9
	s_mov_b32 s9, exec_lo
	v_cmpx_lt_u32_e32 0xffffff, v8
	s_cbranch_execz .LBB318_1295
; %bb.1288:                             ;   in Loop: Header=BB318_669 Depth=1
	v_lshrrev_b32_e32 v2, 24, v8
	v_bfrev_b32_e32 v63, 1
	s_mov_b32 s12, exec_lo
	v_cmpx_ne_u32_e32 0x80, v2
	s_cbranch_execz .LBB318_1294
; %bb.1289:                             ;   in Loop: Header=BB318_669 Depth=1
	v_and_b32_e32 v66, 0x7f, v2
	v_mov_b32_e32 v63, 0x7c010000
	s_mov_b32 s13, exec_lo
	v_cmpx_ne_u32_e32 0x7f, v66
	s_cbranch_execz .LBB318_1293
; %bb.1290:                             ;   in Loop: Header=BB318_669 Depth=1
	v_and_b32_e32 v63, 7, v2
	v_lshrrev_b32_e32 v65, 3, v66
	s_mov_b32 s17, exec_lo
	v_cmpx_gt_u32_e32 8, v66
; %bb.1291:                             ;   in Loop: Header=BB318_669 Depth=1
	v_ffbh_u32_e32 v63, v63
	v_min_u32_e32 v63, 32, v63
	v_subrev_nc_u32_e32 v65, 28, v63
	v_lshlrev_b64 v[66:67], v65, v[2:3]
	v_sub_nc_u32_e32 v65, 29, v63
	v_and_b32_e32 v63, 7, v66
; %bb.1292:                             ;   in Loop: Header=BB318_669 Depth=1
	s_or_b32 exec_lo, exec_lo, s17
	v_lshlrev_b32_e32 v2, 8, v2
	v_lshl_add_u32 v65, v65, 10, 0x2000
	v_lshlrev_b32_e32 v63, 23, v63
	v_and_or_b32 v2, 0x8000, v2, v65
	v_lshl_or_b32 v63, v2, 16, v63
.LBB318_1293:                           ;   in Loop: Header=BB318_669 Depth=1
	s_or_b32 exec_lo, exec_lo, s13
.LBB318_1294:                           ;   in Loop: Header=BB318_669 Depth=1
	s_or_b32 exec_lo, exec_lo, s12
.LBB318_1295:                           ;   in Loop: Header=BB318_669 Depth=1
	s_or_b32 exec_lo, exec_lo, s9
	v_mov_b32_e32 v2, v9
	v_cmp_ne_u16_sdwa s0, v9, v3 src0_sel:BYTE_0 src1_sel:DWORD
	v_mov_b32_e32 v65, 0
	v_mov_b32_e32 v66, 0
	s_and_saveexec_b32 s9, s0
	s_cbranch_execz .LBB318_1303
; %bb.1296:                             ;   in Loop: Header=BB318_669 Depth=1
	v_cmp_ne_u16_sdwa s0, v9, v29 src0_sel:BYTE_0 src1_sel:DWORD
	v_mov_b32_e32 v66, 0x8000
	s_and_saveexec_b32 s12, s0
	s_cbranch_execz .LBB318_1302
; %bb.1297:                             ;   in Loop: Header=BB318_669 Depth=1
	v_and_b32_e32 v68, 0x7f, v9
	v_mov_b32_e32 v66, 0x7c01
	s_mov_b32 s13, exec_lo
	v_cmpx_ne_u32_e32 0x7f, v68
	s_cbranch_execz .LBB318_1301
; %bb.1298:                             ;   in Loop: Header=BB318_669 Depth=1
	v_and_b32_e32 v66, 7, v9
	v_lshrrev_b32_e32 v67, 3, v68
	s_mov_b32 s17, exec_lo
	v_cmpx_gt_u32_e32 8, v68
; %bb.1299:                             ;   in Loop: Header=BB318_669 Depth=1
	v_ffbh_u32_e32 v66, v66
	v_min_u32_e32 v68, 32, v66
	v_subrev_nc_u32_e32 v66, 28, v68
	v_lshlrev_b64 v[66:67], v66, v[2:3]
	v_sub_nc_u32_e32 v67, 29, v68
	v_and_b32_e32 v66, 7, v66
; %bb.1300:                             ;   in Loop: Header=BB318_669 Depth=1
	s_or_b32 exec_lo, exec_lo, s17
	v_lshlrev_b32_e32 v68, 8, v9
	v_lshl_add_u32 v67, v67, 10, 0x2000
	v_lshlrev_b32_e32 v66, 7, v66
	v_and_b32_e32 v68, 0x8000, v68
	v_and_b32_e32 v67, 0xfc00, v67
	v_or3_b32 v66, v68, v67, v66
.LBB318_1301:                           ;   in Loop: Header=BB318_669 Depth=1
	s_or_b32 exec_lo, exec_lo, s13
.LBB318_1302:                           ;   in Loop: Header=BB318_669 Depth=1
	s_or_b32 exec_lo, exec_lo, s12
.LBB318_1303:                           ;   in Loop: Header=BB318_669 Depth=1
	s_or_b32 exec_lo, exec_lo, s9
	v_lshrrev_b16 v2, 8, v2
	v_mov_b32_e32 v67, 0
	s_mov_b32 s9, exec_lo
	v_cmpx_ne_u16_e32 0, v2
	s_cbranch_execz .LBB318_1311
; %bb.1304:                             ;   in Loop: Header=BB318_669 Depth=1
	v_bfrev_b32_e32 v67, 1
	s_mov_b32 s12, exec_lo
	v_cmpx_ne_u16_e32 0x80, v2
	s_cbranch_execz .LBB318_1310
; %bb.1305:                             ;   in Loop: Header=BB318_669 Depth=1
	v_and_b32_sdwa v69, v2, v30 dst_sel:DWORD dst_unused:UNUSED_PAD src0_sel:WORD_0 src1_sel:DWORD
	v_mov_b32_e32 v67, 0x7c010000
	s_mov_b32 s13, exec_lo
	v_cmpx_ne_u32_e32 0x7f, v69
	s_cbranch_execz .LBB318_1309
; %bb.1306:                             ;   in Loop: Header=BB318_669 Depth=1
	v_and_b32_sdwa v67, v2, v31 dst_sel:DWORD dst_unused:UNUSED_PAD src0_sel:WORD_0 src1_sel:DWORD
	v_lshrrev_b32_e32 v68, 3, v69
	s_mov_b32 s17, exec_lo
	v_cmpx_gt_u32_e32 8, v69
; %bb.1307:                             ;   in Loop: Header=BB318_669 Depth=1
	v_ffbh_u32_e32 v67, v67
	v_min_u32_e32 v69, 32, v67
	v_subrev_nc_u32_e32 v67, 28, v69
	v_lshlrev_b64 v[67:68], v67, v[2:3]
	v_sub_nc_u32_e32 v68, 29, v69
	v_and_b32_e32 v67, 7, v67
; %bb.1308:                             ;   in Loop: Header=BB318_669 Depth=1
	s_or_b32 exec_lo, exec_lo, s17
	v_lshlrev_b32_sdwa v2, v32, v2 dst_sel:DWORD dst_unused:UNUSED_PAD src0_sel:DWORD src1_sel:WORD_0
	v_lshl_add_u32 v68, v68, 10, 0x2000
	v_lshlrev_b32_e32 v67, 23, v67
	v_and_or_b32 v2, 0x8000, v2, v68
	v_lshl_or_b32 v67, v2, 16, v67
.LBB318_1309:                           ;   in Loop: Header=BB318_669 Depth=1
	s_or_b32 exec_lo, exec_lo, s13
.LBB318_1310:                           ;   in Loop: Header=BB318_669 Depth=1
	s_or_b32 exec_lo, exec_lo, s12
.LBB318_1311:                           ;   in Loop: Header=BB318_669 Depth=1
	s_or_b32 exec_lo, exec_lo, s9
	v_lshrrev_b32_e32 v2, 16, v9
	v_cmp_ne_u16_sdwa s0, v2, v3 src0_sel:BYTE_0 src1_sel:DWORD
	s_and_saveexec_b32 s9, s0
	s_cbranch_execz .LBB318_1319
; %bb.1312:                             ;   in Loop: Header=BB318_669 Depth=1
	v_cmp_ne_u16_sdwa s0, v2, v29 src0_sel:BYTE_0 src1_sel:DWORD
	v_mov_b32_e32 v65, 0x8000
	s_and_saveexec_b32 s12, s0
	s_cbranch_execz .LBB318_1318
; %bb.1313:                             ;   in Loop: Header=BB318_669 Depth=1
	v_bfe_u32 v69, v9, 16, 7
	v_mov_b32_e32 v65, 0x7c01
	s_mov_b32 s13, exec_lo
	v_cmpx_ne_u32_e32 0x7f, v69
	s_cbranch_execz .LBB318_1317
; %bb.1314:                             ;   in Loop: Header=BB318_669 Depth=1
	v_and_b32_e32 v65, 7, v2
	v_lshrrev_b32_e32 v68, 3, v69
	s_mov_b32 s17, exec_lo
	v_cmpx_gt_u32_e32 8, v69
; %bb.1315:                             ;   in Loop: Header=BB318_669 Depth=1
	v_ffbh_u32_e32 v65, v65
	v_min_u32_e32 v65, 32, v65
	v_subrev_nc_u32_e32 v68, 28, v65
	v_lshlrev_b64 v[69:70], v68, v[2:3]
	v_sub_nc_u32_e32 v68, 29, v65
	v_and_b32_e32 v65, 7, v69
; %bb.1316:                             ;   in Loop: Header=BB318_669 Depth=1
	s_or_b32 exec_lo, exec_lo, s17
	v_lshlrev_b32_e32 v2, 8, v2
	v_lshl_add_u32 v68, v68, 10, 0x2000
	v_lshlrev_b32_e32 v65, 7, v65
	v_and_b32_e32 v2, 0x8000, v2
	v_and_b32_e32 v68, 0xfc00, v68
	v_or3_b32 v65, v2, v68, v65
.LBB318_1317:                           ;   in Loop: Header=BB318_669 Depth=1
	s_or_b32 exec_lo, exec_lo, s13
.LBB318_1318:                           ;   in Loop: Header=BB318_669 Depth=1
	s_or_b32 exec_lo, exec_lo, s12
.LBB318_1319:                           ;   in Loop: Header=BB318_669 Depth=1
	s_or_b32 exec_lo, exec_lo, s9
	v_cmp_lt_u64_e64 s0, s[4:5], v[8:9]
	v_mov_b32_e32 v8, 0
	s_and_saveexec_b32 s9, s0
	s_cbranch_execz .LBB318_1327
; %bb.1320:                             ;   in Loop: Header=BB318_669 Depth=1
	v_lshrrev_b32_e32 v2, 24, v9
	v_bfrev_b32_e32 v8, 1
	s_mov_b32 s12, exec_lo
	v_cmpx_ne_u32_e32 0x80, v2
	s_cbranch_execz .LBB318_1326
; %bb.1321:                             ;   in Loop: Header=BB318_669 Depth=1
	v_and_b32_e32 v68, 0x7f, v2
	v_mov_b32_e32 v8, 0x7c010000
	s_mov_b32 s13, exec_lo
	v_cmpx_ne_u32_e32 0x7f, v68
	s_cbranch_execz .LBB318_1325
; %bb.1322:                             ;   in Loop: Header=BB318_669 Depth=1
	v_and_b32_e32 v8, 7, v2
	v_lshrrev_b32_e32 v9, 3, v68
	s_mov_b32 s17, exec_lo
	v_cmpx_gt_u32_e32 8, v68
; %bb.1323:                             ;   in Loop: Header=BB318_669 Depth=1
	v_ffbh_u32_e32 v8, v8
	v_min_u32_e32 v68, 32, v8
	v_subrev_nc_u32_e32 v8, 28, v68
	v_lshlrev_b64 v[8:9], v8, v[2:3]
	v_sub_nc_u32_e32 v9, 29, v68
	v_and_b32_e32 v8, 7, v8
; %bb.1324:                             ;   in Loop: Header=BB318_669 Depth=1
	s_or_b32 exec_lo, exec_lo, s17
	v_lshlrev_b32_e32 v2, 8, v2
	v_lshl_add_u32 v9, v9, 10, 0x2000
	v_lshlrev_b32_e32 v8, 23, v8
	v_and_or_b32 v2, 0x8000, v2, v9
	v_lshl_or_b32 v8, v2, 16, v8
.LBB318_1325:                           ;   in Loop: Header=BB318_669 Depth=1
	s_or_b32 exec_lo, exec_lo, s13
.LBB318_1326:                           ;   in Loop: Header=BB318_669 Depth=1
	s_or_b32 exec_lo, exec_lo, s12
.LBB318_1327:                           ;   in Loop: Header=BB318_669 Depth=1
	s_or_b32 exec_lo, exec_lo, s9
	v_or_b32_e32 v2, v63, v64
	s_waitcnt vmcnt(0)
	v_fma_mixlo_f16 v9, v60, v63, 0 op_sel:[0,1,0] op_sel_hi:[0,1,0]
	v_or_b32_e32 v62, v61, v62
	v_fma_mixlo_f16 v63, v60, v61, 0 op_sel:[0,1,0] op_sel_hi:[0,1,0]
	v_or_b32_e32 v64, v67, v66
	v_fma_mixlo_f16 v2, v60, v2, 0 op_sel_hi:[0,1,0]
	v_or_b32_e32 v65, v8, v65
	v_lshlrev_b32_e32 v61, 16, v9
	v_lshlrev_b32_e32 v66, 16, v63
	v_fma_mixlo_f16 v9, v60, v62, 0 op_sel_hi:[0,1,0]
	v_and_b32_e32 v63, 0xffff, v2
	v_fma_mixlo_f16 v2, v60, v67, 0 op_sel:[0,1,0] op_sel_hi:[0,1,0]
	v_fma_mixlo_f16 v62, v60, v64, 0 op_sel_hi:[0,1,0]
	v_fma_mixlo_f16 v8, v60, v8, 0 op_sel:[0,1,0] op_sel_hi:[0,1,0]
	v_fma_mixlo_f16 v60, v60, v65, 0 op_sel_hi:[0,1,0]
	v_and_b32_e32 v68, 0xffff, v9
	v_lshlrev_b32_e32 v64, 16, v2
	v_and_b32_e32 v67, 0xffff, v62
	v_lshlrev_b32_e32 v62, 16, v8
	v_and_b32_e32 v65, 0xffff, v60
	v_or_b32_e32 v2, v61, v63
	v_or_b32_e32 v60, v66, v68
	;; [unrolled: 1-line block ×4, first 2 shown]
	s_and_saveexec_b32 s0, vcc_lo
	s_cbranch_execz .LBB318_668
; %bb.1328:                             ;   in Loop: Header=BB318_669 Depth=1
	v_cmp_gt_i32_e32 vcc_lo, s29, v33
	v_cndmask_b32_e32 v2, 0, v68, vcc_lo
	v_cmp_gt_i32_e32 vcc_lo, s29, v42
	v_cndmask_b32_e32 v8, 0, v66, vcc_lo
	v_cmp_gt_i32_e32 vcc_lo, s29, v39
	v_or_b32_e32 v60, v8, v2
	v_cndmask_b32_e32 v9, 0, v63, vcc_lo
	v_cmp_gt_i32_e32 vcc_lo, s29, v37
	v_cndmask_b32_e32 v33, 0, v61, vcc_lo
	v_cmp_gt_i32_e32 vcc_lo, s29, v36
	v_or_b32_e32 v2, v33, v9
	;; [unrolled: 5-line block ×3, first 2 shown]
	v_cndmask_b32_e32 v34, 0, v65, vcc_lo
	v_cmp_gt_i32_e32 vcc_lo, s29, v27
	v_cndmask_b32_e32 v37, 0, v62, vcc_lo
	v_or_b32_e32 v8, v37, v34
	s_branch .LBB318_668
.LBB318_1329:
	s_or_b32 exec_lo, exec_lo, s6
.LBB318_1330:
	s_or_b32 exec_lo, exec_lo, s1
	ds_bpermute_b32 v1, v16, v24
	ds_bpermute_b32 v2, v16, v26
	;; [unrolled: 1-line block ×10, first 2 shown]
	v_lshrrev_b32_e32 v11, 2, v14
	v_mul_u32_u24_e32 v13, 0x140, v13
	s_mov_b32 s0, exec_lo
	s_waitcnt lgkmcnt(0)
	s_waitcnt_vscnt null, 0x0
	s_barrier
	buffer_gl0_inv
	v_add_f32_e32 v1, v24, v1
	v_add_f32_e32 v2, v26, v2
	;; [unrolled: 1-line block ×10, first 2 shown]
	ds_bpermute_b32 v6, v12, v1
	ds_bpermute_b32 v7, v12, v2
	;; [unrolled: 1-line block ×10, first 2 shown]
	v_and_b32_e32 v9, 28, v14
	v_and_b32_e32 v14, 0x3c3, v0
	v_add_nc_u32_e32 v12, 0xc0, v9
	s_waitcnt lgkmcnt(9)
	v_add_f32_e32 v10, v1, v6
	s_waitcnt lgkmcnt(8)
	v_add_f32_e32 v9, v2, v7
	;; [unrolled: 2-line block ×10, first 2 shown]
	v_cmpx_eq_u32_e32 64, v14
	s_cbranch_execz .LBB318_1332
; %bb.1331:
	v_add_nc_u32_e32 v14, v12, v13
	v_add_nc_u32_e32 v16, 0xfffffd80, v14
	;; [unrolled: 1-line block ×6, first 2 shown]
	ds_write_b32 v16, v10
	ds_write_b32 v17, v9
	;; [unrolled: 1-line block ×5, first 2 shown]
	v_add_nc_u32_e32 v16, 0xfffffe20, v14
	v_add_nc_u32_e32 v17, 0xfffffe40, v14
	;; [unrolled: 1-line block ×5, first 2 shown]
	ds_write_b32 v16, v5
	ds_write_b32 v17, v4
	;; [unrolled: 1-line block ×5, first 2 shown]
.LBB318_1332:
	s_or_b32 exec_lo, exec_lo, s0
	v_lshlrev_b32_e32 v11, 2, v11
	s_mov_b32 s1, exec_lo
	v_cmp_eq_u32_e32 vcc_lo, 0, v15
	s_waitcnt lgkmcnt(0)
	s_barrier
	v_add3_u32 v11, 0xc0, v13, v11
	buffer_gl0_inv
	v_cmpx_gt_u32_e32 64, v0
	s_cbranch_execz .LBB318_1345
; %bb.1333:
	s_and_saveexec_b32 s0, vcc_lo
	s_cbranch_execnz .LBB318_1363
; %bb.1334:
	s_or_b32 exec_lo, exec_lo, s0
	s_and_saveexec_b32 s0, vcc_lo
	s_cbranch_execnz .LBB318_1364
.LBB318_1335:
	s_or_b32 exec_lo, exec_lo, s0
	s_and_saveexec_b32 s0, vcc_lo
	s_cbranch_execnz .LBB318_1365
.LBB318_1336:
	s_or_b32 exec_lo, exec_lo, s0
	s_and_saveexec_b32 s0, vcc_lo
	s_cbranch_execnz .LBB318_1366
.LBB318_1337:
	s_or_b32 exec_lo, exec_lo, s0
	s_and_saveexec_b32 s0, vcc_lo
	s_cbranch_execnz .LBB318_1367
.LBB318_1338:
	s_or_b32 exec_lo, exec_lo, s0
	s_and_saveexec_b32 s0, vcc_lo
	s_cbranch_execnz .LBB318_1368
.LBB318_1339:
	s_or_b32 exec_lo, exec_lo, s0
	s_and_saveexec_b32 s0, vcc_lo
	s_cbranch_execnz .LBB318_1369
.LBB318_1340:
	s_or_b32 exec_lo, exec_lo, s0
	s_and_saveexec_b32 s0, vcc_lo
	s_cbranch_execnz .LBB318_1370
.LBB318_1341:
	s_or_b32 exec_lo, exec_lo, s0
	s_and_saveexec_b32 s0, vcc_lo
	s_cbranch_execnz .LBB318_1371
.LBB318_1342:
	s_or_b32 exec_lo, exec_lo, s0
	s_and_saveexec_b32 s0, vcc_lo
	s_cbranch_execz .LBB318_1344
.LBB318_1343:
	ds_read_b32 v13, v11 offset:288
	s_waitcnt lgkmcnt(0)
	v_add_f32_e32 v1, v1, v13
.LBB318_1344:
	s_or_b32 exec_lo, exec_lo, s0
.LBB318_1345:
	s_or_b32 exec_lo, exec_lo, s1
	v_and_b32_e32 v13, 0x3e3, v0
	s_mov_b32 s1, exec_lo
	s_barrier
	buffer_gl0_inv
	v_cmpx_eq_u32_e32 32, v13
	s_cbranch_execz .LBB318_1347
; %bb.1346:
	ds_write2_b32 v12, v10, v9 offset1:8
	ds_write2_b32 v12, v8, v7 offset0:16 offset1:24
	ds_write2_b32 v12, v6, v5 offset0:32 offset1:40
	;; [unrolled: 1-line block ×4, first 2 shown]
.LBB318_1347:
	s_or_b32 exec_lo, exec_lo, s1
	s_mov_b32 s1, exec_lo
	s_waitcnt lgkmcnt(0)
	s_barrier
	buffer_gl0_inv
	v_cmpx_gt_u32_e32 32, v0
	s_cbranch_execz .LBB318_1360
; %bb.1348:
	s_and_saveexec_b32 s0, vcc_lo
	s_cbranch_execnz .LBB318_1372
; %bb.1349:
	s_or_b32 exec_lo, exec_lo, s0
	s_and_saveexec_b32 s0, vcc_lo
	s_cbranch_execnz .LBB318_1373
.LBB318_1350:
	s_or_b32 exec_lo, exec_lo, s0
	s_and_saveexec_b32 s0, vcc_lo
	s_cbranch_execnz .LBB318_1374
.LBB318_1351:
	s_or_b32 exec_lo, exec_lo, s0
	s_and_saveexec_b32 s0, vcc_lo
	s_cbranch_execnz .LBB318_1375
.LBB318_1352:
	s_or_b32 exec_lo, exec_lo, s0
	s_and_saveexec_b32 s0, vcc_lo
	s_cbranch_execnz .LBB318_1376
.LBB318_1353:
	s_or_b32 exec_lo, exec_lo, s0
	s_and_saveexec_b32 s0, vcc_lo
	s_cbranch_execnz .LBB318_1377
.LBB318_1354:
	s_or_b32 exec_lo, exec_lo, s0
	s_and_saveexec_b32 s0, vcc_lo
	s_cbranch_execnz .LBB318_1378
.LBB318_1355:
	s_or_b32 exec_lo, exec_lo, s0
	s_and_saveexec_b32 s0, vcc_lo
	s_cbranch_execnz .LBB318_1379
.LBB318_1356:
	s_or_b32 exec_lo, exec_lo, s0
	s_and_saveexec_b32 s0, vcc_lo
	s_cbranch_execnz .LBB318_1380
.LBB318_1357:
	s_or_b32 exec_lo, exec_lo, s0
	s_and_saveexec_b32 s0, vcc_lo
	s_cbranch_execz .LBB318_1359
.LBB318_1358:
	ds_read_b32 v11, v11 offset:288
	s_waitcnt lgkmcnt(0)
	v_add_f32_e32 v1, v1, v11
.LBB318_1359:
	s_or_b32 exec_lo, exec_lo, s0
.LBB318_1360:
	s_or_b32 exec_lo, exec_lo, s1
	s_barrier
	buffer_gl0_inv
	s_mov_b32 s0, exec_lo
	v_cmpx_eq_u32_e32 0, v13
	s_cbranch_execz .LBB318_1362
; %bb.1361:
	s_mul_i32 s0, s2, 0x50
	s_mul_i32 s2, s7, s10
	s_ashr_i32 s1, s0, 31
	v_lshrrev_b32_e32 v0, 1, v0
	s_lshl_b64 s[0:1], s[0:1], 1
	;;#ASMSTART
	v_cvt_f16_f32 v10, v10;

	;;#ASMEND
	s_add_u32 s4, s24, s0
	s_addc_u32 s5, s25, s1
	s_ashr_i32 s3, s2, 31
	s_lshl_b64 s[0:1], s[2:3], 1
	s_mul_i32 s2, s8, 0x50
	s_add_u32 s4, s4, s0
	s_addc_u32 s5, s5, s1
	s_ashr_i32 s3, s2, 31
	s_lshl_b64 s[0:1], s[2:3], 1
	s_add_u32 s0, s4, s0
	s_addc_u32 s1, s5, s1
	global_store_short v0, v10, s[0:1]
	;;#ASMSTART
	v_cvt_f16_f32 v9, v9;

	;;#ASMEND
	global_store_short v0, v9, s[0:1] offset:16
	;;#ASMSTART
	v_cvt_f16_f32 v8, v8;

	;;#ASMEND
	global_store_short v0, v8, s[0:1] offset:32
	;; [unrolled: 5-line block ×9, first 2 shown]
.LBB318_1362:
	s_endpgm
.LBB318_1363:
	ds_read_b32 v13, v11
	s_waitcnt lgkmcnt(0)
	v_add_f32_e32 v10, v10, v13
	s_or_b32 exec_lo, exec_lo, s0
	s_and_saveexec_b32 s0, vcc_lo
	s_cbranch_execz .LBB318_1335
.LBB318_1364:
	ds_read_b32 v13, v11 offset:32
	s_waitcnt lgkmcnt(0)
	v_add_f32_e32 v9, v9, v13
	s_or_b32 exec_lo, exec_lo, s0
	s_and_saveexec_b32 s0, vcc_lo
	s_cbranch_execz .LBB318_1336
.LBB318_1365:
	ds_read_b32 v13, v11 offset:64
	s_waitcnt lgkmcnt(0)
	v_add_f32_e32 v8, v8, v13
	s_or_b32 exec_lo, exec_lo, s0
	s_and_saveexec_b32 s0, vcc_lo
	s_cbranch_execz .LBB318_1337
.LBB318_1366:
	ds_read_b32 v13, v11 offset:96
	s_waitcnt lgkmcnt(0)
	v_add_f32_e32 v7, v7, v13
	s_or_b32 exec_lo, exec_lo, s0
	s_and_saveexec_b32 s0, vcc_lo
	s_cbranch_execz .LBB318_1338
.LBB318_1367:
	ds_read_b32 v13, v11 offset:128
	s_waitcnt lgkmcnt(0)
	v_add_f32_e32 v6, v6, v13
	s_or_b32 exec_lo, exec_lo, s0
	s_and_saveexec_b32 s0, vcc_lo
	s_cbranch_execz .LBB318_1339
.LBB318_1368:
	ds_read_b32 v13, v11 offset:160
	s_waitcnt lgkmcnt(0)
	v_add_f32_e32 v5, v5, v13
	s_or_b32 exec_lo, exec_lo, s0
	s_and_saveexec_b32 s0, vcc_lo
	s_cbranch_execz .LBB318_1340
.LBB318_1369:
	ds_read_b32 v13, v11 offset:192
	s_waitcnt lgkmcnt(0)
	v_add_f32_e32 v4, v4, v13
	s_or_b32 exec_lo, exec_lo, s0
	s_and_saveexec_b32 s0, vcc_lo
	s_cbranch_execz .LBB318_1341
.LBB318_1370:
	ds_read_b32 v13, v11 offset:224
	s_waitcnt lgkmcnt(0)
	v_add_f32_e32 v3, v3, v13
	s_or_b32 exec_lo, exec_lo, s0
	s_and_saveexec_b32 s0, vcc_lo
	s_cbranch_execz .LBB318_1342
.LBB318_1371:
	ds_read_b32 v13, v11 offset:256
	s_waitcnt lgkmcnt(0)
	v_add_f32_e32 v2, v2, v13
	s_or_b32 exec_lo, exec_lo, s0
	s_and_saveexec_b32 s0, vcc_lo
	s_cbranch_execnz .LBB318_1343
	s_branch .LBB318_1344
.LBB318_1372:
	ds_read_b32 v12, v11
	s_waitcnt lgkmcnt(0)
	v_add_f32_e32 v10, v10, v12
	s_or_b32 exec_lo, exec_lo, s0
	s_and_saveexec_b32 s0, vcc_lo
	s_cbranch_execz .LBB318_1350
.LBB318_1373:
	ds_read_b32 v12, v11 offset:32
	s_waitcnt lgkmcnt(0)
	v_add_f32_e32 v9, v9, v12
	s_or_b32 exec_lo, exec_lo, s0
	s_and_saveexec_b32 s0, vcc_lo
	s_cbranch_execz .LBB318_1351
.LBB318_1374:
	ds_read_b32 v12, v11 offset:64
	s_waitcnt lgkmcnt(0)
	v_add_f32_e32 v8, v8, v12
	s_or_b32 exec_lo, exec_lo, s0
	s_and_saveexec_b32 s0, vcc_lo
	s_cbranch_execz .LBB318_1352
.LBB318_1375:
	ds_read_b32 v12, v11 offset:96
	s_waitcnt lgkmcnt(0)
	v_add_f32_e32 v7, v7, v12
	s_or_b32 exec_lo, exec_lo, s0
	s_and_saveexec_b32 s0, vcc_lo
	s_cbranch_execz .LBB318_1353
.LBB318_1376:
	ds_read_b32 v12, v11 offset:128
	s_waitcnt lgkmcnt(0)
	v_add_f32_e32 v6, v6, v12
	s_or_b32 exec_lo, exec_lo, s0
	s_and_saveexec_b32 s0, vcc_lo
	s_cbranch_execz .LBB318_1354
.LBB318_1377:
	ds_read_b32 v12, v11 offset:160
	s_waitcnt lgkmcnt(0)
	v_add_f32_e32 v5, v5, v12
	s_or_b32 exec_lo, exec_lo, s0
	s_and_saveexec_b32 s0, vcc_lo
	s_cbranch_execz .LBB318_1355
.LBB318_1378:
	ds_read_b32 v12, v11 offset:192
	s_waitcnt lgkmcnt(0)
	v_add_f32_e32 v4, v4, v12
	s_or_b32 exec_lo, exec_lo, s0
	s_and_saveexec_b32 s0, vcc_lo
	s_cbranch_execz .LBB318_1356
.LBB318_1379:
	ds_read_b32 v12, v11 offset:224
	s_waitcnt lgkmcnt(0)
	v_add_f32_e32 v3, v3, v12
	s_or_b32 exec_lo, exec_lo, s0
	s_and_saveexec_b32 s0, vcc_lo
	s_cbranch_execz .LBB318_1357
.LBB318_1380:
	ds_read_b32 v12, v11 offset:256
	s_waitcnt lgkmcnt(0)
	v_add_f32_e32 v2, v2, v12
	s_or_b32 exec_lo, exec_lo, s0
	s_and_saveexec_b32 s0, vcc_lo
	s_cbranch_execnz .LBB318_1358
	s_branch .LBB318_1359
	.section	.rodata,"a",@progbits
	.p2align	6, 0x0
	.amdhsa_kernel _ZN4vllm25paged_attention_v2_kernelIthLi80ELi32ELi128ELNS_18Fp8KVCacheDataTypeE1ELb0ELi512EEEvPfS2_PT_PKS3_PKT0_S9_ifPKiSB_iPKfiiiSD_SD_iiiii
		.amdhsa_group_segment_fixed_size 192
		.amdhsa_private_segment_fixed_size 0
		.amdhsa_kernarg_size 400
		.amdhsa_user_sgpr_count 6
		.amdhsa_user_sgpr_private_segment_buffer 1
		.amdhsa_user_sgpr_dispatch_ptr 0
		.amdhsa_user_sgpr_queue_ptr 0
		.amdhsa_user_sgpr_kernarg_segment_ptr 1
		.amdhsa_user_sgpr_dispatch_id 0
		.amdhsa_user_sgpr_flat_scratch_init 0
		.amdhsa_user_sgpr_private_segment_size 0
		.amdhsa_wavefront_size32 1
		.amdhsa_uses_dynamic_stack 0
		.amdhsa_system_sgpr_private_segment_wavefront_offset 0
		.amdhsa_system_sgpr_workgroup_id_x 1
		.amdhsa_system_sgpr_workgroup_id_y 1
		.amdhsa_system_sgpr_workgroup_id_z 1
		.amdhsa_system_sgpr_workgroup_info 0
		.amdhsa_system_vgpr_workitem_id 0
		.amdhsa_next_free_vgpr 127
		.amdhsa_next_free_sgpr 44
		.amdhsa_reserve_vcc 1
		.amdhsa_reserve_flat_scratch 0
		.amdhsa_float_round_mode_32 0
		.amdhsa_float_round_mode_16_64 0
		.amdhsa_float_denorm_mode_32 3
		.amdhsa_float_denorm_mode_16_64 3
		.amdhsa_dx10_clamp 1
		.amdhsa_ieee_mode 1
		.amdhsa_fp16_overflow 0
		.amdhsa_workgroup_processor_mode 1
		.amdhsa_memory_ordered 1
		.amdhsa_forward_progress 1
		.amdhsa_shared_vgpr_count 0
		.amdhsa_exception_fp_ieee_invalid_op 0
		.amdhsa_exception_fp_denorm_src 0
		.amdhsa_exception_fp_ieee_div_zero 0
		.amdhsa_exception_fp_ieee_overflow 0
		.amdhsa_exception_fp_ieee_underflow 0
		.amdhsa_exception_fp_ieee_inexact 0
		.amdhsa_exception_int_div_zero 0
	.end_amdhsa_kernel
	.section	.text._ZN4vllm25paged_attention_v2_kernelIthLi80ELi32ELi128ELNS_18Fp8KVCacheDataTypeE1ELb0ELi512EEEvPfS2_PT_PKS3_PKT0_S9_ifPKiSB_iPKfiiiSD_SD_iiiii,"axG",@progbits,_ZN4vllm25paged_attention_v2_kernelIthLi80ELi32ELi128ELNS_18Fp8KVCacheDataTypeE1ELb0ELi512EEEvPfS2_PT_PKS3_PKT0_S9_ifPKiSB_iPKfiiiSD_SD_iiiii,comdat
.Lfunc_end318:
	.size	_ZN4vllm25paged_attention_v2_kernelIthLi80ELi32ELi128ELNS_18Fp8KVCacheDataTypeE1ELb0ELi512EEEvPfS2_PT_PKS3_PKT0_S9_ifPKiSB_iPKfiiiSD_SD_iiiii, .Lfunc_end318-_ZN4vllm25paged_attention_v2_kernelIthLi80ELi32ELi128ELNS_18Fp8KVCacheDataTypeE1ELb0ELi512EEEvPfS2_PT_PKS3_PKT0_S9_ifPKiSB_iPKfiiiSD_SD_iiiii
                                        ; -- End function
	.set _ZN4vllm25paged_attention_v2_kernelIthLi80ELi32ELi128ELNS_18Fp8KVCacheDataTypeE1ELb0ELi512EEEvPfS2_PT_PKS3_PKT0_S9_ifPKiSB_iPKfiiiSD_SD_iiiii.num_vgpr, 127
	.set _ZN4vllm25paged_attention_v2_kernelIthLi80ELi32ELi128ELNS_18Fp8KVCacheDataTypeE1ELb0ELi512EEEvPfS2_PT_PKS3_PKT0_S9_ifPKiSB_iPKfiiiSD_SD_iiiii.num_agpr, 0
	.set _ZN4vllm25paged_attention_v2_kernelIthLi80ELi32ELi128ELNS_18Fp8KVCacheDataTypeE1ELb0ELi512EEEvPfS2_PT_PKS3_PKT0_S9_ifPKiSB_iPKfiiiSD_SD_iiiii.numbered_sgpr, 44
	.set _ZN4vllm25paged_attention_v2_kernelIthLi80ELi32ELi128ELNS_18Fp8KVCacheDataTypeE1ELb0ELi512EEEvPfS2_PT_PKS3_PKT0_S9_ifPKiSB_iPKfiiiSD_SD_iiiii.num_named_barrier, 0
	.set _ZN4vllm25paged_attention_v2_kernelIthLi80ELi32ELi128ELNS_18Fp8KVCacheDataTypeE1ELb0ELi512EEEvPfS2_PT_PKS3_PKT0_S9_ifPKiSB_iPKfiiiSD_SD_iiiii.private_seg_size, 0
	.set _ZN4vllm25paged_attention_v2_kernelIthLi80ELi32ELi128ELNS_18Fp8KVCacheDataTypeE1ELb0ELi512EEEvPfS2_PT_PKS3_PKT0_S9_ifPKiSB_iPKfiiiSD_SD_iiiii.uses_vcc, 1
	.set _ZN4vllm25paged_attention_v2_kernelIthLi80ELi32ELi128ELNS_18Fp8KVCacheDataTypeE1ELb0ELi512EEEvPfS2_PT_PKS3_PKT0_S9_ifPKiSB_iPKfiiiSD_SD_iiiii.uses_flat_scratch, 0
	.set _ZN4vllm25paged_attention_v2_kernelIthLi80ELi32ELi128ELNS_18Fp8KVCacheDataTypeE1ELb0ELi512EEEvPfS2_PT_PKS3_PKT0_S9_ifPKiSB_iPKfiiiSD_SD_iiiii.has_dyn_sized_stack, 0
	.set _ZN4vllm25paged_attention_v2_kernelIthLi80ELi32ELi128ELNS_18Fp8KVCacheDataTypeE1ELb0ELi512EEEvPfS2_PT_PKS3_PKT0_S9_ifPKiSB_iPKfiiiSD_SD_iiiii.has_recursion, 0
	.set _ZN4vllm25paged_attention_v2_kernelIthLi80ELi32ELi128ELNS_18Fp8KVCacheDataTypeE1ELb0ELi512EEEvPfS2_PT_PKS3_PKT0_S9_ifPKiSB_iPKfiiiSD_SD_iiiii.has_indirect_call, 0
	.section	.AMDGPU.csdata,"",@progbits
; Kernel info:
; codeLenInByte = 44364
; TotalNumSgprs: 46
; NumVgprs: 127
; ScratchSize: 0
; MemoryBound: 0
; FloatMode: 240
; IeeeMode: 1
; LDSByteSize: 192 bytes/workgroup (compile time only)
; SGPRBlocks: 0
; VGPRBlocks: 15
; NumSGPRsForWavesPerEU: 46
; NumVGPRsForWavesPerEU: 127
; Occupancy: 8
; WaveLimiterHint : 1
; COMPUTE_PGM_RSRC2:SCRATCH_EN: 0
; COMPUTE_PGM_RSRC2:USER_SGPR: 6
; COMPUTE_PGM_RSRC2:TRAP_HANDLER: 0
; COMPUTE_PGM_RSRC2:TGID_X_EN: 1
; COMPUTE_PGM_RSRC2:TGID_Y_EN: 1
; COMPUTE_PGM_RSRC2:TGID_Z_EN: 1
; COMPUTE_PGM_RSRC2:TIDIG_COMP_CNT: 0
	.text
	.p2align	2                               ; -- Begin function _ZN4vllm22paged_attention_kernelIthLi96ELi32ELi128ELNS_18Fp8KVCacheDataTypeE1ELb0ELi512EEEvPfS2_PT_PKS3_PKT0_S9_ifPKiSB_iPKfiiiSD_SD_iiiii
	.type	_ZN4vllm22paged_attention_kernelIthLi96ELi32ELi128ELNS_18Fp8KVCacheDataTypeE1ELb0ELi512EEEvPfS2_PT_PKS3_PKT0_S9_ifPKiSB_iPKfiiiSD_SD_iiiii,@function
_ZN4vllm22paged_attention_kernelIthLi96ELi32ELi128ELNS_18Fp8KVCacheDataTypeE1ELb0ELi512EEEvPfS2_PT_PKS3_PKT0_S9_ifPKiSB_iPKfiiiSD_SD_iiiii: ; @_ZN4vllm22paged_attention_kernelIthLi96ELi32ELi128ELNS_18Fp8KVCacheDataTypeE1ELb0ELi512EEEvPfS2_PT_PKS3_PKT0_S9_ifPKiSB_iPKfiiiSD_SD_iiiii
; %bb.0:
	s_waitcnt vmcnt(0) expcnt(0) lgkmcnt(0)
	buffer_store_dword v40, off, s[0:3], s32 offset:188 ; 4-byte Folded Spill
	buffer_store_dword v41, off, s[0:3], s32 offset:184 ; 4-byte Folded Spill
	;; [unrolled: 1-line block ×47, first 2 shown]
	buffer_store_dword v127, off, s[0:3], s32 ; 4-byte Folded Spill
	s_mov_b32 s18, s13
	s_ashr_i32 s19, s13, 31
	buffer_store_dword v24, off, s[0:3], s32 offset:204 ; 4-byte Folded Spill
	buffer_store_dword v25, off, s[0:3], s32 offset:208 ; 4-byte Folded Spill
	;; [unrolled: 1-line block ×4, first 2 shown]
	s_lshl_b64 s[4:5], s[18:19], 2
	v_mov_b32_e32 v24, v0
	v_add_co_u32 v0, vcc_lo, v16, s4
	v_mov_b32_e32 v22, v1
	v_add_co_ci_u32_e64 v1, null, s5, v17, vcc_lo
	v_mov_b32_e32 v34, v5
	v_mov_b32_e32 v35, v4
	;; [unrolled: 1-line block ×3, first 2 shown]
	flat_load_dword v33, v[0:1]
	v_mov_b32_e32 v28, v2
	s_lshl_b32 s20, s14, 9
	s_mov_b32 s19, exec_lo
	s_waitcnt vmcnt(0) lgkmcnt(0)
	v_cmpx_lt_i32_e64 s20, v33
	s_cbranch_execz .LBB319_1628
; %bb.1:
	v_sub_nc_u32_e32 v0, 0, v12
	s_clause 0x1
	s_load_dword s4, s[8:9], 0x10
	s_load_dword s5, s[8:9], 0x0
	s_mov_b32 s16, s15
	v_max_i32_e32 v0, v12, v0
	v_cvt_f32_u32_e32 v1, v0
	v_sub_nc_u32_e32 v2, 0, v0
	v_rcp_iflag_f32_e32 v1, v1
	s_waitcnt lgkmcnt(0)
	s_lshr_b32 s4, s4, 16
	s_cmp_lg_u32 s4, 0
	s_cselect_b32 s4, -1, 0
	v_mul_f32_e32 v1, 0x4f7ffffe, v1
	s_cmp_lg_u32 s4, 0
	s_addc_u32 s15, s5, 0
	s_mov_b32 s5, exec_lo
	v_cvt_u32_f32_e32 v1, v1
	s_abs_i32 s4, s15
	v_mul_lo_u32 v2, v2, v1
	v_mul_hi_u32 v2, v1, v2
	v_add_nc_u32_e32 v1, v1, v2
	v_mul_hi_u32 v1, s4, v1
	v_mul_lo_u32 v2, v1, v0
	v_add_nc_u32_e32 v3, 1, v1
	v_sub_nc_u32_e32 v2, s4, v2
	s_abs_i32 s4, s12
	v_sub_nc_u32_e32 v4, v2, v0
	v_cmp_ge_u32_e32 vcc_lo, v2, v0
	v_cndmask_b32_e32 v1, v1, v3, vcc_lo
	v_cndmask_b32_e32 v2, v2, v4, vcc_lo
	v_xor_b32_e32 v3, s15, v12
	v_add_nc_u32_e32 v4, 1, v1
	v_cmp_ge_u32_e32 vcc_lo, v2, v0
	v_ashrrev_i32_e32 v3, 31, v3
	v_cndmask_b32_e32 v0, v1, v4, vcc_lo
	v_xor_b32_e32 v0, v0, v3
	v_sub_nc_u32_e32 v1, v0, v3
	v_sub_nc_u32_e32 v0, 0, v1
	v_max_i32_e32 v0, v1, v0
	v_cvt_f32_u32_e32 v2, v0
	v_sub_nc_u32_e32 v3, 0, v0
	v_rcp_iflag_f32_e32 v2, v2
	v_mul_f32_e32 v2, 0x4f7ffffe, v2
	v_cvt_u32_f32_e32 v2, v2
	v_mul_lo_u32 v3, v3, v2
	v_mul_hi_u32 v3, v2, v3
	v_add_nc_u32_e32 v2, v2, v3
	v_mad_u64_u32 v[16:17], null, s4, v2, 0
	v_mov_b32_e32 v2, 0
	buffer_store_dword v2, off, s[0:3], s32 offset:216 ; 4-byte Folded Spill
	v_cmpx_ne_u64_e32 0, v[19:20]
	s_cbranch_execz .LBB319_3
; %bb.2:
	s_ashr_i32 s13, s12, 31
	s_lshl_b64 s[6:7], s[12:13], 2
	v_add_co_u32 v2, vcc_lo, v19, s6
	v_add_co_ci_u32_e64 v3, null, s7, v20, vcc_lo
	flat_load_dword v2, v[2:3]
	s_waitcnt vmcnt(0) lgkmcnt(0)
	buffer_store_dword v2, off, s[0:3], s32 offset:216 ; 4-byte Folded Spill
.LBB319_3:
	s_or_b32 exec_lo, exec_lo, s5
	v_and_b32_e32 v36, 0x3ff, v31
	v_ashrrev_i32_e32 v1, 31, v1
	s_ashr_i32 s5, s12, 31
	s_mul_i32 s10, s12, 0x60
	s_mov_b32 s6, exec_lo
	v_cmpx_gt_u32_e32 12, v36
	s_cbranch_execz .LBB319_5
; %bb.4:
	v_mul_lo_u32 v2, v21, s18
	s_ashr_i32 s11, s10, 31
	v_lshlrev_b32_e32 v12, 4, v36
	s_lshl_b64 s[22:23], s[10:11], 1
	v_ashrrev_i32_e32 v3, 31, v2
	v_lshlrev_b64 v[2:3], 1, v[2:3]
	v_add_co_u32 v2, vcc_lo, v6, v2
	v_add_co_ci_u32_e64 v3, null, v7, v3, vcc_lo
	v_add_co_u32 v2, vcc_lo, v2, s22
	v_add_co_ci_u32_e64 v3, null, s23, v3, vcc_lo
	;; [unrolled: 2-line block ×3, first 2 shown]
	flat_load_dwordx4 v[2:5], v[2:3]
	s_waitcnt vmcnt(0) lgkmcnt(0)
	ds_write_b128 v12, v[2:5]
.LBB319_5:
	s_or_b32 exec_lo, exec_lo, s6
	v_mul_lo_u32 v2, v17, v0
	v_add_nc_u32_e32 v3, 1, v17
	v_add_nc_u32_e32 v4, 31, v33
	v_lshrrev_b32_e32 v32, 5, v36
	s_clause 0x1
	s_load_dword s11, s[8:9], 0x14
	s_load_dword s8, s[8:9], 0x8
	s_lshl_b32 s9, s14, 4
	v_xor_b32_e32 v1, s5, v1
	v_ashrrev_i32_e32 v6, 31, v4
	v_sub_nc_u32_e32 v2, s4, v2
	s_add_i32 s4, s9, 16
	v_and_b32_e32 v42, 31, v36
	v_mov_b32_e32 v48, 0xff7fffff
	v_lshrrev_b32_e32 v6, 27, v6
	v_sub_nc_u32_e32 v5, v2, v0
	v_cmp_ge_u32_e32 vcc_lo, v2, v0
	v_lshlrev_b32_e32 v19, 2, v42
	s_mov_b32 s13, exec_lo
	v_cndmask_b32_e32 v3, v17, v3, vcc_lo
	v_cndmask_b32_e32 v2, v2, v5, vcc_lo
	v_add_nc_u32_e32 v5, 1, v3
	v_cmp_ge_u32_e32 vcc_lo, v2, v0
	v_mul_lo_u32 v0, v18, s18
	v_cndmask_b32_e32 v2, v3, v5, vcc_lo
	v_add_nc_u32_e32 v3, v4, v6
	v_xor_b32_e32 v2, v2, v1
	v_ashrrev_i32_e32 v12, 5, v3
	v_add_nc_u32_e32 v3, s9, v32
	v_sub_nc_u32_e32 v2, v2, v1
	v_min_i32_e32 v75, s4, v12
	v_ashrrev_i32_e32 v4, 31, v3
	v_ashrrev_i32_e32 v1, 31, v0
	v_mul_lo_u32 v23, v2, v23
	v_cmp_ge_i32_e64 s4, v3, v75
	buffer_store_dword v3, off, s[0:3], s32 offset:192 ; 4-byte Folded Spill
	buffer_store_dword v4, off, s[0:3], s32 offset:196 ; 4-byte Folded Spill
	v_lshlrev_b64 v[16:17], 2, v[0:1]
	s_waitcnt lgkmcnt(0)
	s_waitcnt_vscnt null, 0x0
	s_barrier
	buffer_gl0_inv
	v_ashrrev_i32_e32 v37, 31, v23
	v_cmpx_lt_i32_e64 v3, v75
	s_cbranch_execz .LBB319_777
; %bb.6:
	s_getpc_b64 s[6:7]
	s_add_u32 s6, s6, llvm.amdgcn.dynlds.offset.table@rel32@lo+4
	s_addc_u32 s7, s7, llvm.amdgcn.dynlds.offset.table@rel32@hi+12
	s_ashr_i32 s17, s16, 31
	buffer_store_dword v12, off, s[0:3], s32 offset:280 ; 4-byte Folded Spill
	buffer_store_dword v28, off, s[0:3], s32 offset:276 ; 4-byte Folded Spill
	;; [unrolled: 1-line block ×10, first 2 shown]
	s_lshl_b64 s[22:23], s[16:17], 2
	buffer_store_dword v23, off, s[0:3], s32 offset:292 ; 4-byte Folded Spill
	s_add_u32 s6, s6, s22
	s_addc_u32 s7, s7, s23
	buffer_store_dword v37, off, s[0:3], s32 offset:296 ; 4-byte Folded Spill
	s_load_dword s6, s[6:7], 0x0
	s_clause 0x1
	buffer_load_dword v5, off, s[0:3], s32 offset:192
	buffer_load_dword v6, off, s[0:3], s32 offset:196
	v_lshlrev_b32_e32 v2, 4, v42
	v_add_co_u32 v3, vcc_lo, v8, v23
	v_add_co_ci_u32_e64 v4, null, v9, v37, vcc_lo
	v_mov_b32_e32 v9, 0
	v_add_co_u32 v2, vcc_lo, v3, v2
	v_add_co_ci_u32_e64 v3, null, 0, v4, vcc_lo
	buffer_store_dword v2, off, s[0:3], s32 offset:220 ; 4-byte Folded Spill
	buffer_store_dword v3, off, s[0:3], s32 offset:224 ; 4-byte Folded Spill
	buffer_load_dword v2, off, s[0:3], s32 offset:216 ; 4-byte Folded Reload
	v_lshl_or_b32 v3, v32, 7, v19
	v_mov_b32_e32 v48, 0xff7fffff
	v_mov_b32_e32 v51, 0x80
	;; [unrolled: 1-line block ×4, first 2 shown]
	s_waitcnt lgkmcnt(0)
	v_add_nc_u32_e32 v50, s6, v3
	s_mov_b32 s6, -1
	s_mov_b32 s17, 0
	s_mov_b32 s7, 0xffffff
	s_waitcnt vmcnt(1)
	v_lshlrev_b64 v[0:1], 2, v[5:6]
	v_mov_b32_e32 v6, v5
	v_add_co_u32 v0, s5, v16, v0
	buffer_store_dword v16, off, s[0:3], s32 offset:284 ; 4-byte Folded Spill
	buffer_store_dword v17, off, s[0:3], s32 offset:288 ; 4-byte Folded Spill
	;; [unrolled: 1-line block ×7, first 2 shown]
	s_waitcnt vmcnt(0)
	v_cmp_neq_f32_e32 vcc_lo, 0, v2
	v_lshlrev_b32_e32 v2, 5, v32
	v_add3_u32 v49, s20, v2, v42
	v_add_co_ci_u32_e64 v1, null, v17, v1, s5
	v_add_co_u32 v20, s5, v14, v0
	v_add_co_ci_u32_e64 v21, null, v15, v1, s5
	s_branch .LBB319_11
.LBB319_7:                              ;   in Loop: Header=BB319_11 Depth=1
	s_or_b32 exec_lo, exec_lo, s24
	v_lshlrev_b32_e32 v7, 8, v8
	v_lshl_add_u32 v1, v1, 10, 0x2000
	v_lshlrev_b32_e32 v0, 23, v0
	v_and_or_b32 v1, 0x8000, v7, v1
	v_lshl_or_b32 v0, v1, 16, v0
.LBB319_8:                              ;   in Loop: Header=BB319_11 Depth=1
	s_or_b32 exec_lo, exec_lo, s23
.LBB319_9:                              ;   in Loop: Header=BB319_11 Depth=1
	s_or_b32 exec_lo, exec_lo, s22
.LBB319_10:                             ;   in Loop: Header=BB319_11 Depth=1
	s_or_b32 exec_lo, exec_lo, s21
	buffer_load_dword v7, off, s[0:3], s32 offset:216 ; 4-byte Folded Reload
	v_or_b32_e32 v1, v74, v72
	v_fma_mixlo_f16 v78, v64, v59, 0 op_sel:[0,1,0] op_sel_hi:[0,1,0]
	v_fma_mixlo_f16 v72, v64, v106, 0 op_sel:[0,1,0] op_sel_hi:[0,1,0]
	v_fma_mixlo_f16 v126, v64, v12, 0 op_sel:[0,1,0] op_sel_hi:[0,1,0]
	ds_read_b128 v[52:55], v9
	v_fma_mixlo_f16 v75, v64, v1, 0 op_sel_hi:[0,1,0]
	v_or_b32_e32 v1, v59, v58
	v_fma_mixlo_f16 v58, v64, v107, 0 op_sel:[0,1,0] op_sel_hi:[0,1,0]
	v_fma_mixlo_f16 v28, v64, v0, 0 op_sel:[0,1,0] op_sel_hi:[0,1,0]
	;; [unrolled: 1-line block ×3, first 2 shown]
	v_cmp_lt_i32_e64 s5, v49, v33
	v_fma_mixlo_f16 v79, v64, v1, 0 op_sel_hi:[0,1,0]
	v_or_b32_e32 v1, v106, v73
	v_fma_mixlo_f16 v106, v64, v89, 0 op_sel:[0,1,0] op_sel_hi:[0,1,0]
	v_add_nc_u32_e32 v6, 4, v6
	v_fma_mixlo_f16 v73, v64, v1, 0 op_sel_hi:[0,1,0]
	v_or_b32_e32 v1, v107, v95
	v_fma_mixlo_f16 v59, v64, v1, 0 op_sel_hi:[0,1,0]
	v_or_b32_e32 v1, v94, v92
	v_fma_mixlo_f16 v92, v64, v124, 0 op_sel:[0,1,0] op_sel_hi:[0,1,0]
	v_fma_mixlo_f16 v94, v64, v94, 0 op_sel:[0,1,0] op_sel_hi:[0,1,0]
	v_fma_mixlo_f16 v95, v64, v1, 0 op_sel_hi:[0,1,0]
	v_or_b32_e32 v1, v89, v88
	v_fma_mixlo_f16 v88, v64, v125, 0 op_sel:[0,1,0] op_sel_hi:[0,1,0]
	v_fma_mixlo_f16 v107, v64, v1, 0 op_sel_hi:[0,1,0]
	v_or_b32_e32 v1, v124, v93
	;; [unrolled: 3-line block ×3, first 2 shown]
	v_fma_mixlo_f16 v89, v64, v1, 0 op_sel_hi:[0,1,0]
	v_or_b32_e32 v1, v108, v15
	v_fma_mixlo_f16 v15, v64, v90, 0 op_sel:[0,1,0] op_sel_hi:[0,1,0]
	v_fma_mixlo_f16 v108, v64, v36, 0 op_sel:[0,1,0] op_sel_hi:[0,1,0]
	v_fma_mixlo_f16 v125, v64, v1, 0 op_sel_hi:[0,1,0]
	v_or_b32_e32 v1, v12, v11
	v_fma_mixlo_f16 v11, v64, v4, 0 op_sel:[0,1,0] op_sel_hi:[0,1,0]
	v_fma_mixlo_f16 v127, v64, v1, 0 op_sel_hi:[0,1,0]
	v_or_b32_e32 v1, v120, v23
	v_fma_mixlo_f16 v23, v64, v10, 0 op_sel:[0,1,0] op_sel_hi:[0,1,0]
	v_fma_mixlo_f16 v120, v64, v120, 0 op_sel:[0,1,0] op_sel_hi:[0,1,0]
	v_and_b32_e32 v11, 0xffff, v11
	v_fma_mixlo_f16 v121, v64, v1, 0 op_sel_hi:[0,1,0]
	v_or_b32_e32 v1, v36, v109
	v_fma_mixlo_f16 v36, v64, v40, 0 op_sel:[0,1,0] op_sel_hi:[0,1,0]
	v_fma_mixlo_f16 v109, v64, v1, 0 op_sel_hi:[0,1,0]
	v_or_b32_e32 v1, v10, v37
	v_fma_mixlo_f16 v12, v64, v1, 0 op_sel_hi:[0,1,0]
	v_or_b32_e32 v1, v4, v5
	v_fma_mixlo_f16 v4, v64, v17, 0 op_sel:[0,1,0] op_sel_hi:[0,1,0]
	v_fma_mixlo_f16 v10, v64, v1, 0 op_sel_hi:[0,1,0]
	v_or_b32_e32 v1, v17, v38
	v_fma_mixlo_f16 v38, v64, v14, 0 op_sel:[0,1,0] op_sel_hi:[0,1,0]
	v_fma_mixlo_f16 v17, v64, v111, 0 op_sel:[0,1,0] op_sel_hi:[0,1,0]
	v_and_b32_e32 v4, 0xffff, v4
	v_and_b32_e32 v10, 0xffff, v10
	v_fma_mixlo_f16 v37, v64, v1, 0 op_sel_hi:[0,1,0]
	v_or_b32_e32 v1, v14, v16
	v_fma_mixlo_f16 v5, v64, v1, 0 op_sel_hi:[0,1,0]
	v_or_b32_e32 v1, v111, v105
	v_fma_mixlo_f16 v111, v64, v104, 0 op_sel:[0,1,0] op_sel_hi:[0,1,0]
	v_fma_mixlo_f16 v105, v64, v1, 0 op_sel_hi:[0,1,0]
	v_or_b32_e32 v1, v104, v91
	v_fma_mixlo_f16 v104, v64, v123, 0 op_sel:[0,1,0] op_sel_hi:[0,1,0]
	v_fma_mixlo_f16 v14, v64, v1, 0 op_sel_hi:[0,1,0]
	v_or_b32_e32 v1, v123, v110
	v_and_b32_e32 v14, 0xffff, v14
	v_fma_mixlo_f16 v16, v64, v1, 0 op_sel_hi:[0,1,0]
	v_or_b32_e32 v1, v34, v122
	v_fma_mixlo_f16 v122, v64, v60, 0 op_sel:[0,1,0] op_sel_hi:[0,1,0]
	v_fma_mixlo_f16 v34, v64, v34, 0 op_sel:[0,1,0] op_sel_hi:[0,1,0]
	v_fma_mixlo_f16 v91, v64, v1, 0 op_sel_hi:[0,1,0]
	v_or_b32_e32 v1, v63, v61
	v_fma_mixlo_f16 v63, v64, v63, 0 op_sel:[0,1,0] op_sel_hi:[0,1,0]
	v_fma_mixlo_f16 v110, v64, v1, 0 op_sel_hi:[0,1,0]
	v_or_b32_e32 v1, v60, v57
	;; [unrolled: 3-line block ×3, first 2 shown]
	v_fma_mixlo_f16 v61, v64, v1, 0 op_sel_hi:[0,1,0]
	v_or_b32_e32 v1, v90, v76
	v_fma_mixlo_f16 v76, v64, v42, 0 op_sel:[0,1,0] op_sel_hi:[0,1,0]
	v_fma_mixlo_f16 v57, v64, v1, 0 op_sel_hi:[0,1,0]
	v_or_b32_e32 v1, v45, v43
	v_fma_mixlo_f16 v43, v64, v47, 0 op_sel:[0,1,0] op_sel_hi:[0,1,0]
	v_fma_mixlo_f16 v45, v64, v45, 0 op_sel:[0,1,0] op_sel_hi:[0,1,0]
	v_fma_mixlo_f16 v62, v64, v1, 0 op_sel_hi:[0,1,0]
	v_or_b32_e32 v1, v42, v41
	v_fma_mixlo_f16 v41, v64, v56, 0 op_sel:[0,1,0] op_sel_hi:[0,1,0]
	v_fma_mixlo_f16 v77, v64, v1, 0 op_sel_hi:[0,1,0]
	v_or_b32_e32 v1, v47, v44
	v_fma_mixlo_f16 v47, v64, v114, 0 op_sel:[0,1,0] op_sel_hi:[0,1,0]
	v_fma_mixlo_f16 v44, v64, v1, 0 op_sel_hi:[0,1,0]
	v_or_b32_e32 v1, v56, v46
	v_fma_mixlo_f16 v42, v64, v1, 0 op_sel_hi:[0,1,0]
	v_or_b32_e32 v1, v117, v115
	v_fma_mixlo_f16 v117, v64, v117, 0 op_sel:[0,1,0] op_sel_hi:[0,1,0]
	v_fma_mixlo_f16 v46, v64, v1, 0 op_sel_hi:[0,1,0]
	v_or_b32_e32 v1, v114, v113
	v_fma_mixlo_f16 v114, v64, v119, 0 op_sel:[0,1,0] op_sel_hi:[0,1,0]
	v_fma_mixlo_f16 v56, v64, v1, 0 op_sel_hi:[0,1,0]
	v_or_b32_e32 v1, v119, v116
	v_fma_mixlo_f16 v115, v64, v1, 0 op_sel_hi:[0,1,0]
	v_or_b32_e32 v1, v40, v118
	v_fma_mixlo_f16 v118, v64, v98, 0 op_sel:[0,1,0] op_sel_hi:[0,1,0]
	v_fma_mixlo_f16 v40, v64, v66, 0 op_sel:[0,1,0] op_sel_hi:[0,1,0]
	v_fma_mixlo_f16 v113, v64, v1, 0 op_sel_hi:[0,1,0]
	v_or_b32_e32 v1, v101, v99
	v_fma_mixlo_f16 v99, v64, v103, 0 op_sel:[0,1,0] op_sel_hi:[0,1,0]
	v_fma_mixlo_f16 v101, v64, v101, 0 op_sel:[0,1,0] op_sel_hi:[0,1,0]
	v_fma_mixlo_f16 v116, v64, v1, 0 op_sel_hi:[0,1,0]
	v_or_b32_e32 v1, v98, v97
	v_fma_mixlo_f16 v97, v64, v112, 0 op_sel:[0,1,0] op_sel_hi:[0,1,0]
	v_fma_mixlo_f16 v119, v64, v1, 0 op_sel_hi:[0,1,0]
	v_or_b32_e32 v1, v103, v100
	;; [unrolled: 3-line block ×3, first 2 shown]
	v_fma_mixlo_f16 v98, v64, v1, 0 op_sel_hi:[0,1,0]
	v_or_b32_e32 v1, v85, v83
	v_fma_mixlo_f16 v85, v64, v85, 0 op_sel:[0,1,0] op_sel_hi:[0,1,0]
	v_fma_mixlo_f16 v102, v64, v1, 0 op_sel_hi:[0,1,0]
	v_or_b32_e32 v1, v82, v81
	v_fma_mixlo_f16 v82, v64, v96, 0 op_sel:[0,1,0] op_sel_hi:[0,1,0]
	v_fma_mixlo_f16 v81, v64, v87, 0 op_sel:[0,1,0] op_sel_hi:[0,1,0]
	v_fma_mixlo_f16 v112, v64, v1, 0 op_sel_hi:[0,1,0]
	v_or_b32_e32 v1, v87, v84
	v_fma_mixlo_f16 v87, v64, v69, 0 op_sel:[0,1,0] op_sel_hi:[0,1,0]
	v_fma_mixlo_f16 v84, v64, v1, 0 op_sel_hi:[0,1,0]
	v_or_b32_e32 v1, v96, v86
	v_fma_mixlo_f16 v83, v64, v1, 0 op_sel_hi:[0,1,0]
	v_or_b32_e32 v1, v69, v67
	v_fma_mixlo_f16 v67, v64, v31, 0 op_sel:[0,1,0] op_sel_hi:[0,1,0]
	v_fma_mixlo_f16 v69, v64, v80, 0 op_sel:[0,1,0] op_sel_hi:[0,1,0]
	v_fma_mixlo_f16 v96, v64, v1, 0 op_sel_hi:[0,1,0]
	v_or_b32_e32 v1, v66, v65
	v_fma_mixlo_f16 v65, v64, v32, 0 op_sel:[0,1,0] op_sel_hi:[0,1,0]
	v_fma_mixlo_f16 v90, v64, v1, 0 op_sel_hi:[0,1,0]
	v_or_b32_e32 v1, v71, v68
	;; [unrolled: 3-line block ×3, first 2 shown]
	v_fma_mixlo_f16 v70, v64, v1, 0 op_sel_hi:[0,1,0]
	v_sub_nc_u32_e32 v1, 1, v33
	v_add_nc_u32_e32 v1, v1, v49
	v_add_nc_u32_e32 v49, 0x80, v49
	v_cvt_f32_i32_e32 v1, v1
	s_waitcnt vmcnt(0)
	v_mul_f32_e32 v1, v7, v1
	v_and_b32_e32 v7, 0xffff, v70
	v_cndmask_b32_e32 v8, 0, v1, vcc_lo
	v_or_b32_e32 v1, v32, v3
	s_waitcnt lgkmcnt(0)
	v_and_b32_e32 v3, 0xffff, v54
	v_fma_mixlo_f16 v66, v64, v1, 0 op_sel_hi:[0,1,0]
	v_or_b32_e32 v1, v31, v30
	v_fma_mixlo_f16 v30, v64, v19, 0 op_sel:[0,1,0] op_sel_hi:[0,1,0]
	v_fma_mixlo_f16 v68, v64, v1, 0 op_sel_hi:[0,1,0]
	v_or_b32_e32 v1, v19, v2
	v_and_b32_e32 v2, 0xffff, v53
	v_fma_mixlo_f16 v31, v64, v1, 0 op_sel_hi:[0,1,0]
	v_or_b32_e32 v1, v0, v18
	v_lshrrev_b32_e32 v0, 16, v52
	v_fma_mixlo_f16 v29, v64, v1, 0 op_sel_hi:[0,1,0]
	v_and_b32_e32 v1, 0xffff, v52
	;;#ASMSTART
	v_cvt_f32_f16 v39, v1;
	;;#ASMEND
	;;#ASMSTART
	v_cvt_f32_f16 v1, v0;
	;;#ASMEND
	v_and_b32_e32 v0, 0xffff, v90
	;;#ASMSTART
	v_cvt_f32_f16 v35, v0;
	;;#ASMEND
	v_and_b32_e32 v0, 0xffff, v40
	;;#ASMSTART
	v_cvt_f32_f16 v22, v0;
	;;#ASMEND
	v_lshrrev_b32_e32 v0, 16, v53
	;;#ASMSTART
	v_cvt_f32_f16 v90, v2;
	;;#ASMEND
	;;#ASMSTART
	v_cvt_f32_f16 v40, v0;
	;;#ASMEND
	v_and_b32_e32 v0, 0xffff, v96
	;;#ASMSTART
	v_cvt_f32_f16 v96, v0;
	;;#ASMEND
	v_and_b32_e32 v0, 0xffff, v87
	v_lshrrev_b32_e32 v2, 16, v54
	;;#ASMSTART
	v_cvt_f32_f16 v0, v0;
	;;#ASMEND
	;;#ASMSTART
	v_cvt_f32_f16 v80, v3;
	;;#ASMEND
	;; [unrolled: 3-line block ×3, first 2 shown]
	v_and_b32_e32 v2, 0xffff, v86
	;;#ASMSTART
	v_cvt_f32_f16 v86, v2;
	;;#ASMEND
	v_and_b32_e32 v2, 0xffff, v71
	;;#ASMSTART
	v_cvt_f32_f16 v87, v2;
	;;#ASMEND
	v_lshrrev_b32_e32 v2, 16, v55
	v_and_b32_e32 v3, 0xffff, v55
	;;#ASMSTART
	v_cvt_f32_f16 v3, v3;
	;;#ASMEND
	;;#ASMSTART
	v_cvt_f32_f16 v2, v2;
	;;#ASMEND
	;; [unrolled: 3-line block ×3, first 2 shown]
	v_and_b32_e32 v7, 0xffff, v69
	;;#ASMSTART
	v_cvt_f32_f16 v18, v7;
	;;#ASMEND
	ds_read_b128 v[52:55], v9 offset:16
	v_and_b32_e32 v69, 0xffff, v103
	s_waitcnt lgkmcnt(0)
	v_lshrrev_b32_e32 v64, 16, v52
	v_and_b32_e32 v7, 0xffff, v52
	;;#ASMSTART
	v_cvt_f32_f16 v7, v7;
	;;#ASMEND
	;;#ASMSTART
	v_cvt_f32_f16 v52, v64;
	;;#ASMEND
	v_and_b32_e32 v64, 0xffff, v112
	;;#ASMSTART
	v_cvt_f32_f16 v64, v64;
	;;#ASMEND
	;;#ASMSTART
	v_cvt_f32_f16 v69, v69;
	;;#ASMEND
	v_mul_f32_e32 v64, v7, v64
	v_mul_f32_e32 v69, v52, v69
	v_lshrrev_b32_e32 v7, 16, v53
	v_fmac_f32_e32 v64, v39, v35
	v_fmac_f32_e32 v69, v1, v22
	v_and_b32_e32 v1, 0xffff, v53
	v_and_b32_e32 v22, 0xffff, v102
	;; [unrolled: 1-line block ×3, first 2 shown]
	;;#ASMSTART
	v_cvt_f32_f16 v1, v1;
	;;#ASMEND
	;;#ASMSTART
	v_cvt_f32_f16 v7, v7;
	;;#ASMEND
	;; [unrolled: 3-line block ×4, first 2 shown]
	v_mul_f32_e32 v70, v7, v35
	v_mul_f32_e32 v71, v1, v22
	v_lshrrev_b32_e32 v1, 16, v54
	v_and_b32_e32 v7, 0xffff, v84
	v_and_b32_e32 v22, 0xffff, v81
	v_fmac_f32_e32 v70, v40, v0
	v_and_b32_e32 v0, 0xffff, v54
	;;#ASMSTART
	v_cvt_f32_f16 v0, v0;
	;;#ASMEND
	;;#ASMSTART
	v_cvt_f32_f16 v1, v1;
	;;#ASMEND
	;; [unrolled: 3-line block ×3, first 2 shown]
	v_mul_f32_e32 v81, v0, v7
	;;#ASMSTART
	v_cvt_f32_f16 v22, v22;
	;;#ASMEND
	v_and_b32_e32 v0, 0xffff, v55
	v_and_b32_e32 v7, 0xffff, v83
	;;#ASMSTART
	v_cvt_f32_f16 v0, v0;
	;;#ASMEND
	v_fmac_f32_e32 v81, v80, v86
	v_mul_f32_e32 v80, v1, v22
	v_lshrrev_b32_e32 v1, 16, v55
	;;#ASMSTART
	v_cvt_f32_f16 v1, v1;
	;;#ASMEND
	;;#ASMSTART
	v_cvt_f32_f16 v7, v7;
	;;#ASMEND
	v_mul_f32_e32 v83, v0, v7
	v_fmac_f32_e32 v80, v19, v87
	v_and_b32_e32 v19, 0xffff, v82
	;;#ASMSTART
	v_cvt_f32_f16 v19, v19;
	;;#ASMEND
	v_mul_f32_e32 v82, v1, v19
	v_fmac_f32_e32 v83, v3, v32
	v_fmac_f32_e32 v71, v90, v96
	v_and_b32_e32 v19, 0xffff, v118
	v_fmac_f32_e32 v82, v2, v18
	ds_read_b128 v[0:3], v9 offset:32
	v_and_b32_e32 v18, 0xffff, v119
	s_waitcnt lgkmcnt(0)
	v_lshrrev_b32_e32 v7, 16, v0
	v_and_b32_e32 v0, 0xffff, v0
	;;#ASMSTART
	v_cvt_f32_f16 v0, v0;
	;;#ASMEND
	;;#ASMSTART
	v_cvt_f32_f16 v7, v7;
	;;#ASMEND
	;; [unrolled: 3-line block ×4, first 2 shown]
	v_fmac_f32_e32 v64, v0, v18
	v_fmac_f32_e32 v69, v7, v19
	v_lshrrev_b32_e32 v7, 16, v1
	v_and_b32_e32 v0, 0xffff, v1
	;;#ASMSTART
	v_cvt_f32_f16 v0, v0;
	;;#ASMEND
	;;#ASMSTART
	v_cvt_f32_f16 v1, v7;
	;;#ASMEND
	v_and_b32_e32 v7, 0xffff, v116
	v_and_b32_e32 v18, 0xffff, v101
	;;#ASMSTART
	v_cvt_f32_f16 v7, v7;
	;;#ASMEND
	;;#ASMSTART
	v_cvt_f32_f16 v18, v18;
	;;#ASMEND
	v_fmac_f32_e32 v71, v0, v7
	v_fmac_f32_e32 v70, v1, v18
	v_lshrrev_b32_e32 v1, 16, v2
	v_and_b32_e32 v0, 0xffff, v2
	v_and_b32_e32 v2, 0xffff, v100
	;;#ASMSTART
	v_cvt_f32_f16 v0, v0;
	;;#ASMEND
	;;#ASMSTART
	v_cvt_f32_f16 v1, v1;
	;;#ASMEND
	;;#ASMSTART
	v_cvt_f32_f16 v2, v2;
	;;#ASMEND
	v_and_b32_e32 v7, 0xffff, v99
	;;#ASMSTART
	v_cvt_f32_f16 v7, v7;
	;;#ASMEND
	v_fmac_f32_e32 v81, v0, v2
	v_fmac_f32_e32 v80, v1, v7
	v_lshrrev_b32_e32 v1, 16, v3
	v_and_b32_e32 v0, 0xffff, v3
	v_and_b32_e32 v2, 0xffff, v98
	;; [unrolled: 1-line block ×3, first 2 shown]
	;;#ASMSTART
	v_cvt_f32_f16 v0, v0;
	;;#ASMEND
	;;#ASMSTART
	v_cvt_f32_f16 v1, v1;
	;;#ASMEND
	;; [unrolled: 3-line block ×4, first 2 shown]
	v_fmac_f32_e32 v83, v0, v2
	v_fmac_f32_e32 v82, v1, v3
	ds_read_b128 v[0:3], v9 offset:48
	v_and_b32_e32 v18, 0xffff, v56
	v_and_b32_e32 v19, 0xffff, v47
	s_waitcnt lgkmcnt(0)
	v_lshrrev_b32_e32 v7, 16, v0
	v_and_b32_e32 v0, 0xffff, v0
	;;#ASMSTART
	v_cvt_f32_f16 v0, v0;
	;;#ASMEND
	;;#ASMSTART
	v_cvt_f32_f16 v7, v7;
	;;#ASMEND
	;; [unrolled: 3-line block ×4, first 2 shown]
	v_fmac_f32_e32 v64, v0, v18
	v_fmac_f32_e32 v69, v7, v19
	v_lshrrev_b32_e32 v7, 16, v1
	v_and_b32_e32 v0, 0xffff, v1
	;;#ASMSTART
	v_cvt_f32_f16 v0, v0;
	;;#ASMEND
	;;#ASMSTART
	v_cvt_f32_f16 v1, v7;
	;;#ASMEND
	v_and_b32_e32 v7, 0xffff, v46
	v_and_b32_e32 v18, 0xffff, v117
	;;#ASMSTART
	v_cvt_f32_f16 v7, v7;
	;;#ASMEND
	;;#ASMSTART
	v_cvt_f32_f16 v18, v18;
	;;#ASMEND
	v_fmac_f32_e32 v71, v0, v7
	v_fmac_f32_e32 v70, v1, v18
	v_lshrrev_b32_e32 v1, 16, v2
	v_and_b32_e32 v0, 0xffff, v2
	v_and_b32_e32 v2, 0xffff, v115
	;;#ASMSTART
	v_cvt_f32_f16 v0, v0;
	;;#ASMEND
	;;#ASMSTART
	v_cvt_f32_f16 v1, v1;
	;;#ASMEND
	;; [unrolled: 3-line block ×3, first 2 shown]
	v_and_b32_e32 v7, 0xffff, v114
	;;#ASMSTART
	v_cvt_f32_f16 v7, v7;
	;;#ASMEND
	v_fmac_f32_e32 v81, v0, v2
	v_fmac_f32_e32 v80, v1, v7
	v_lshrrev_b32_e32 v1, 16, v3
	v_and_b32_e32 v0, 0xffff, v3
	v_and_b32_e32 v2, 0xffff, v113
	;; [unrolled: 1-line block ×3, first 2 shown]
	;;#ASMSTART
	v_cvt_f32_f16 v0, v0;
	;;#ASMEND
	;;#ASMSTART
	v_cvt_f32_f16 v1, v1;
	;;#ASMEND
	;; [unrolled: 3-line block ×4, first 2 shown]
	v_fmac_f32_e32 v83, v0, v2
	v_fmac_f32_e32 v82, v1, v3
	ds_read_b128 v[0:3], v9 offset:64
	v_and_b32_e32 v18, 0xffff, v77
	v_and_b32_e32 v19, 0xffff, v76
	s_waitcnt lgkmcnt(0)
	v_lshrrev_b32_e32 v7, 16, v0
	v_and_b32_e32 v0, 0xffff, v0
	;;#ASMSTART
	v_cvt_f32_f16 v0, v0;
	;;#ASMEND
	;;#ASMSTART
	v_cvt_f32_f16 v7, v7;
	;;#ASMEND
	;; [unrolled: 3-line block ×4, first 2 shown]
	v_fmac_f32_e32 v64, v0, v18
	v_fmac_f32_e32 v69, v7, v19
	v_lshrrev_b32_e32 v7, 16, v1
	v_and_b32_e32 v0, 0xffff, v1
	;;#ASMSTART
	v_cvt_f32_f16 v0, v0;
	;;#ASMEND
	;;#ASMSTART
	v_cvt_f32_f16 v1, v7;
	;;#ASMEND
	v_and_b32_e32 v7, 0xffff, v62
	v_and_b32_e32 v18, 0xffff, v45
	;;#ASMSTART
	v_cvt_f32_f16 v7, v7;
	;;#ASMEND
	;;#ASMSTART
	v_cvt_f32_f16 v18, v18;
	;;#ASMEND
	v_fmac_f32_e32 v71, v0, v7
	v_fmac_f32_e32 v70, v1, v18
	v_lshrrev_b32_e32 v1, 16, v2
	v_and_b32_e32 v0, 0xffff, v2
	v_and_b32_e32 v2, 0xffff, v44
	;;#ASMSTART
	v_cvt_f32_f16 v0, v0;
	;;#ASMEND
	;;#ASMSTART
	v_cvt_f32_f16 v1, v1;
	;;#ASMEND
	;; [unrolled: 3-line block ×3, first 2 shown]
	v_and_b32_e32 v7, 0xffff, v43
	;;#ASMSTART
	v_cvt_f32_f16 v7, v7;
	;;#ASMEND
	v_fmac_f32_e32 v81, v0, v2
	v_fmac_f32_e32 v80, v1, v7
	v_lshrrev_b32_e32 v1, 16, v3
	v_and_b32_e32 v0, 0xffff, v3
	v_and_b32_e32 v2, 0xffff, v42
	;; [unrolled: 1-line block ×3, first 2 shown]
	;;#ASMSTART
	v_cvt_f32_f16 v0, v0;
	;;#ASMEND
	;;#ASMSTART
	v_cvt_f32_f16 v1, v1;
	;;#ASMEND
	;; [unrolled: 3-line block ×4, first 2 shown]
	v_fmac_f32_e32 v83, v0, v2
	v_fmac_f32_e32 v82, v1, v3
	ds_read_b128 v[0:3], v9 offset:80
	v_and_b32_e32 v18, 0xffff, v123
	v_and_b32_e32 v19, 0xffff, v122
	s_waitcnt lgkmcnt(0)
	v_lshrrev_b32_e32 v7, 16, v0
	v_and_b32_e32 v0, 0xffff, v0
	;;#ASMSTART
	v_cvt_f32_f16 v0, v0;
	;;#ASMEND
	;;#ASMSTART
	v_cvt_f32_f16 v7, v7;
	;;#ASMEND
	;; [unrolled: 3-line block ×4, first 2 shown]
	v_fmac_f32_e32 v64, v0, v18
	v_fmac_f32_e32 v69, v7, v19
	v_lshrrev_b32_e32 v7, 16, v1
	v_and_b32_e32 v0, 0xffff, v1
	;;#ASMSTART
	v_cvt_f32_f16 v0, v0;
	;;#ASMEND
	;;#ASMSTART
	v_cvt_f32_f16 v1, v7;
	;;#ASMEND
	v_and_b32_e32 v7, 0xffff, v110
	v_and_b32_e32 v18, 0xffff, v63
	;;#ASMSTART
	v_cvt_f32_f16 v7, v7;
	;;#ASMEND
	;;#ASMSTART
	v_cvt_f32_f16 v18, v18;
	;;#ASMEND
	v_fmac_f32_e32 v71, v0, v7
	v_fmac_f32_e32 v70, v1, v18
	v_lshrrev_b32_e32 v1, 16, v2
	v_and_b32_e32 v0, 0xffff, v2
	v_and_b32_e32 v2, 0xffff, v61
	;;#ASMSTART
	v_cvt_f32_f16 v0, v0;
	;;#ASMEND
	;;#ASMSTART
	v_cvt_f32_f16 v1, v1;
	;;#ASMEND
	;; [unrolled: 3-line block ×3, first 2 shown]
	v_and_b32_e32 v7, 0xffff, v60
	;;#ASMSTART
	v_cvt_f32_f16 v7, v7;
	;;#ASMEND
	v_fmac_f32_e32 v81, v0, v2
	v_fmac_f32_e32 v80, v1, v7
	v_lshrrev_b32_e32 v1, 16, v3
	v_and_b32_e32 v0, 0xffff, v3
	v_and_b32_e32 v2, 0xffff, v57
	v_and_b32_e32 v3, 0xffff, v15
	;;#ASMSTART
	v_cvt_f32_f16 v0, v0;
	;;#ASMEND
	;;#ASMSTART
	v_cvt_f32_f16 v1, v1;
	;;#ASMEND
	;; [unrolled: 3-line block ×4, first 2 shown]
	v_fmac_f32_e32 v83, v0, v2
	v_fmac_f32_e32 v82, v1, v3
	ds_read_b128 v[0:3], v9 offset:96
	v_and_b32_e32 v15, 0xffff, v111
	s_waitcnt lgkmcnt(0)
	v_lshrrev_b32_e32 v7, 16, v0
	v_and_b32_e32 v0, 0xffff, v0
	;;#ASMSTART
	v_cvt_f32_f16 v0, v0;
	;;#ASMEND
	;;#ASMSTART
	v_cvt_f32_f16 v7, v7;
	;;#ASMEND
	;; [unrolled: 3-line block ×4, first 2 shown]
	v_fmac_f32_e32 v64, v0, v14
	v_fmac_f32_e32 v69, v7, v15
	v_lshrrev_b32_e32 v7, 16, v1
	v_and_b32_e32 v0, 0xffff, v1
	;;#ASMSTART
	v_cvt_f32_f16 v0, v0;
	;;#ASMEND
	;;#ASMSTART
	v_cvt_f32_f16 v1, v7;
	;;#ASMEND
	v_and_b32_e32 v7, 0xffff, v105
	v_and_b32_e32 v14, 0xffff, v17
	;;#ASMSTART
	v_cvt_f32_f16 v7, v7;
	;;#ASMEND
	;;#ASMSTART
	v_cvt_f32_f16 v14, v14;
	;;#ASMEND
	v_fmac_f32_e32 v71, v0, v7
	v_fmac_f32_e32 v70, v1, v14
	v_lshrrev_b32_e32 v1, 16, v2
	v_and_b32_e32 v0, 0xffff, v2
	v_and_b32_e32 v2, 0xffff, v16
	;;#ASMSTART
	v_cvt_f32_f16 v0, v0;
	;;#ASMEND
	;;#ASMSTART
	v_cvt_f32_f16 v1, v1;
	;;#ASMEND
	;; [unrolled: 3-line block ×3, first 2 shown]
	v_and_b32_e32 v7, 0xffff, v104
	;;#ASMSTART
	v_cvt_f32_f16 v7, v7;
	;;#ASMEND
	v_fmac_f32_e32 v81, v0, v2
	v_fmac_f32_e32 v80, v1, v7
	v_lshrrev_b32_e32 v1, 16, v3
	v_and_b32_e32 v0, 0xffff, v3
	v_and_b32_e32 v2, 0xffff, v91
	;; [unrolled: 1-line block ×3, first 2 shown]
	;;#ASMSTART
	v_cvt_f32_f16 v0, v0;
	;;#ASMEND
	;;#ASMSTART
	v_cvt_f32_f16 v1, v1;
	;;#ASMEND
	;; [unrolled: 3-line block ×4, first 2 shown]
	v_fmac_f32_e32 v83, v0, v2
	v_fmac_f32_e32 v82, v1, v3
	ds_read_b128 v[0:3], v9 offset:112
	s_waitcnt lgkmcnt(0)
	v_lshrrev_b32_e32 v7, 16, v0
	v_and_b32_e32 v0, 0xffff, v0
	;;#ASMSTART
	v_cvt_f32_f16 v0, v0;
	;;#ASMEND
	;;#ASMSTART
	v_cvt_f32_f16 v7, v7;
	;;#ASMEND
	;; [unrolled: 3-line block ×4, first 2 shown]
	v_fmac_f32_e32 v64, v0, v10
	v_fmac_f32_e32 v69, v7, v11
	v_lshrrev_b32_e32 v7, 16, v1
	v_and_b32_e32 v0, 0xffff, v1
	;;#ASMSTART
	v_cvt_f32_f16 v0, v0;
	;;#ASMEND
	;;#ASMSTART
	v_cvt_f32_f16 v1, v7;
	;;#ASMEND
	v_and_b32_e32 v7, 0xffff, v12
	v_and_b32_e32 v10, 0xffff, v23
	;;#ASMSTART
	v_cvt_f32_f16 v7, v7;
	;;#ASMEND
	;;#ASMSTART
	v_cvt_f32_f16 v10, v10;
	;;#ASMEND
	v_fmac_f32_e32 v71, v0, v7
	v_fmac_f32_e32 v70, v1, v10
	v_lshrrev_b32_e32 v1, 16, v2
	v_and_b32_e32 v0, 0xffff, v2
	v_and_b32_e32 v2, 0xffff, v37
	;;#ASMSTART
	v_cvt_f32_f16 v0, v0;
	;;#ASMEND
	;;#ASMSTART
	v_cvt_f32_f16 v1, v1;
	;;#ASMEND
	;; [unrolled: 3-line block ×4, first 2 shown]
	v_fmac_f32_e32 v81, v0, v2
	v_fmac_f32_e32 v80, v1, v4
	v_lshrrev_b32_e32 v1, 16, v3
	v_and_b32_e32 v0, 0xffff, v3
	v_and_b32_e32 v2, 0xffff, v5
	;; [unrolled: 1-line block ×3, first 2 shown]
	;;#ASMSTART
	v_cvt_f32_f16 v0, v0;
	;;#ASMEND
	;;#ASMSTART
	v_cvt_f32_f16 v1, v1;
	;;#ASMEND
	;; [unrolled: 3-line block ×4, first 2 shown]
	v_fmac_f32_e32 v83, v0, v2
	v_fmac_f32_e32 v82, v1, v3
	ds_read_b128 v[0:3], v9 offset:128
	v_and_b32_e32 v5, 0xffff, v127
	v_and_b32_e32 v7, 0xffff, v126
	s_waitcnt lgkmcnt(0)
	v_lshrrev_b32_e32 v4, 16, v0
	v_and_b32_e32 v0, 0xffff, v0
	;;#ASMSTART
	v_cvt_f32_f16 v0, v0;
	;;#ASMEND
	;;#ASMSTART
	v_cvt_f32_f16 v4, v4;
	;;#ASMEND
	;; [unrolled: 3-line block ×4, first 2 shown]
	v_fmac_f32_e32 v64, v0, v5
	v_fmac_f32_e32 v69, v4, v7
	v_lshrrev_b32_e32 v4, 16, v1
	v_and_b32_e32 v0, 0xffff, v1
	;;#ASMSTART
	v_cvt_f32_f16 v0, v0;
	;;#ASMEND
	;;#ASMSTART
	v_cvt_f32_f16 v1, v4;
	;;#ASMEND
	v_and_b32_e32 v4, 0xffff, v125
	v_and_b32_e32 v5, 0xffff, v124
	;;#ASMSTART
	v_cvt_f32_f16 v4, v4;
	;;#ASMEND
	;;#ASMSTART
	v_cvt_f32_f16 v5, v5;
	;;#ASMEND
	v_fmac_f32_e32 v71, v0, v4
	v_fmac_f32_e32 v70, v1, v5
	v_lshrrev_b32_e32 v1, 16, v2
	v_and_b32_e32 v0, 0xffff, v2
	v_and_b32_e32 v2, 0xffff, v121
	;;#ASMSTART
	v_cvt_f32_f16 v0, v0;
	;;#ASMEND
	;;#ASMSTART
	v_cvt_f32_f16 v1, v1;
	;;#ASMEND
	;; [unrolled: 3-line block ×3, first 2 shown]
	v_and_b32_e32 v4, 0xffff, v120
	;;#ASMSTART
	v_cvt_f32_f16 v4, v4;
	;;#ASMEND
	v_fmac_f32_e32 v81, v0, v2
	v_fmac_f32_e32 v80, v1, v4
	v_lshrrev_b32_e32 v1, 16, v3
	v_and_b32_e32 v0, 0xffff, v3
	v_and_b32_e32 v2, 0xffff, v109
	;; [unrolled: 1-line block ×3, first 2 shown]
	;;#ASMSTART
	v_cvt_f32_f16 v0, v0;
	;;#ASMEND
	;;#ASMSTART
	v_cvt_f32_f16 v1, v1;
	;;#ASMEND
	;; [unrolled: 3-line block ×4, first 2 shown]
	v_fmac_f32_e32 v83, v0, v2
	v_fmac_f32_e32 v82, v1, v3
	ds_read_b128 v[0:3], v9 offset:144
	v_and_b32_e32 v5, 0xffff, v107
	v_and_b32_e32 v7, 0xffff, v106
	s_waitcnt lgkmcnt(0)
	v_lshrrev_b32_e32 v4, 16, v0
	v_and_b32_e32 v0, 0xffff, v0
	;;#ASMSTART
	v_cvt_f32_f16 v0, v0;
	;;#ASMEND
	;;#ASMSTART
	v_cvt_f32_f16 v4, v4;
	;;#ASMEND
	;; [unrolled: 3-line block ×4, first 2 shown]
	v_fmac_f32_e32 v64, v0, v5
	v_fmac_f32_e32 v69, v4, v7
	v_lshrrev_b32_e32 v4, 16, v1
	v_and_b32_e32 v0, 0xffff, v1
	;;#ASMSTART
	v_cvt_f32_f16 v0, v0;
	;;#ASMEND
	;;#ASMSTART
	v_cvt_f32_f16 v1, v4;
	;;#ASMEND
	v_and_b32_e32 v4, 0xffff, v95
	v_and_b32_e32 v5, 0xffff, v94
	;;#ASMSTART
	v_cvt_f32_f16 v4, v4;
	;;#ASMEND
	;;#ASMSTART
	v_cvt_f32_f16 v5, v5;
	;;#ASMEND
	v_fmac_f32_e32 v71, v0, v4
	v_fmac_f32_e32 v70, v1, v5
	v_lshrrev_b32_e32 v1, 16, v2
	v_and_b32_e32 v0, 0xffff, v2
	v_and_b32_e32 v2, 0xffff, v93
	;;#ASMSTART
	v_cvt_f32_f16 v0, v0;
	;;#ASMEND
	;;#ASMSTART
	v_cvt_f32_f16 v1, v1;
	;;#ASMEND
	;; [unrolled: 3-line block ×3, first 2 shown]
	v_and_b32_e32 v4, 0xffff, v92
	;;#ASMSTART
	v_cvt_f32_f16 v4, v4;
	;;#ASMEND
	v_fmac_f32_e32 v81, v0, v2
	v_fmac_f32_e32 v80, v1, v4
	v_lshrrev_b32_e32 v1, 16, v3
	v_and_b32_e32 v0, 0xffff, v3
	v_and_b32_e32 v2, 0xffff, v89
	;; [unrolled: 1-line block ×3, first 2 shown]
	;;#ASMSTART
	v_cvt_f32_f16 v0, v0;
	;;#ASMEND
	;;#ASMSTART
	v_cvt_f32_f16 v1, v1;
	;;#ASMEND
	;; [unrolled: 3-line block ×4, first 2 shown]
	v_fmac_f32_e32 v83, v0, v2
	v_fmac_f32_e32 v82, v1, v3
	ds_read_b128 v[0:3], v9 offset:160
	v_and_b32_e32 v5, 0xffff, v79
	v_and_b32_e32 v7, 0xffff, v78
	s_waitcnt lgkmcnt(0)
	v_lshrrev_b32_e32 v4, 16, v0
	v_and_b32_e32 v0, 0xffff, v0
	;;#ASMSTART
	v_cvt_f32_f16 v0, v0;
	;;#ASMEND
	;;#ASMSTART
	v_cvt_f32_f16 v4, v4;
	;;#ASMEND
	;; [unrolled: 3-line block ×4, first 2 shown]
	v_fmac_f32_e32 v64, v0, v5
	v_fmac_f32_e32 v69, v4, v7
	v_lshrrev_b32_e32 v4, 16, v1
	v_and_b32_e32 v0, 0xffff, v1
	;;#ASMSTART
	v_cvt_f32_f16 v0, v0;
	;;#ASMEND
	;;#ASMSTART
	v_cvt_f32_f16 v1, v4;
	;;#ASMEND
	v_and_b32_e32 v4, 0xffff, v75
	v_and_b32_e32 v5, 0xffff, v74
	;;#ASMSTART
	v_cvt_f32_f16 v4, v4;
	;;#ASMEND
	;;#ASMSTART
	v_cvt_f32_f16 v5, v5;
	;;#ASMEND
	v_fmac_f32_e32 v71, v0, v4
	v_fmac_f32_e32 v70, v1, v5
	v_lshrrev_b32_e32 v1, 16, v2
	v_and_b32_e32 v0, 0xffff, v2
	;;#ASMSTART
	v_cvt_f32_f16 v0, v0;
	;;#ASMEND
	;;#ASMSTART
	v_cvt_f32_f16 v1, v1;
	;;#ASMEND
	v_and_b32_e32 v2, 0xffff, v73
	v_and_b32_e32 v4, 0xffff, v72
	;;#ASMSTART
	v_cvt_f32_f16 v2, v2;
	;;#ASMEND
	;;#ASMSTART
	v_cvt_f32_f16 v4, v4;
	;;#ASMEND
	;; [unrolled: 18-line block ×3, first 2 shown]
	v_fmac_f32_e32 v83, v3, v0
	v_fmac_f32_e32 v82, v2, v1
	ds_read_b128 v[0:3], v9 offset:176
	v_and_b32_e32 v5, 0xffff, v68
	v_and_b32_e32 v7, 0xffff, v67
	v_mov_b32_e32 v75, v24
	s_waitcnt lgkmcnt(0)
	v_lshrrev_b32_e32 v4, 16, v0
	v_and_b32_e32 v0, 0xffff, v0
	;;#ASMSTART
	v_cvt_f32_f16 v0, v0;
	;;#ASMEND
	;;#ASMSTART
	v_cvt_f32_f16 v4, v4;
	;;#ASMEND
	;; [unrolled: 3-line block ×4, first 2 shown]
	v_fmac_f32_e32 v64, v0, v5
	v_fmac_f32_e32 v69, v4, v7
	v_lshrrev_b32_e32 v4, 16, v1
	v_and_b32_e32 v0, 0xffff, v1
	;;#ASMSTART
	v_cvt_f32_f16 v0, v0;
	;;#ASMEND
	;;#ASMSTART
	v_cvt_f32_f16 v1, v4;
	;;#ASMEND
	v_and_b32_e32 v4, 0xffff, v66
	v_and_b32_e32 v5, 0xffff, v65
	;;#ASMSTART
	v_cvt_f32_f16 v4, v4;
	;;#ASMEND
	;;#ASMSTART
	v_cvt_f32_f16 v5, v5;
	;;#ASMEND
	v_fmac_f32_e32 v71, v0, v4
	v_fmac_f32_e32 v70, v1, v5
	v_lshrrev_b32_e32 v1, 16, v2
	v_and_b32_e32 v0, 0xffff, v2
	;;#ASMSTART
	v_cvt_f32_f16 v0, v0;
	;;#ASMEND
	;;#ASMSTART
	v_cvt_f32_f16 v1, v1;
	;;#ASMEND
	v_and_b32_e32 v2, 0xffff, v31
	v_and_b32_e32 v4, 0xffff, v30
	;;#ASMSTART
	v_cvt_f32_f16 v2, v2;
	;;#ASMEND
	;;#ASMSTART
	v_cvt_f32_f16 v4, v4;
	;;#ASMEND
	;; [unrolled: 18-line block ×3, first 2 shown]
	v_fmac_f32_e32 v82, v1, v3
	buffer_load_dword v1, off, s[0:3], s32 offset:212 ; 4-byte Folded Reload
	v_fmac_f32_e32 v83, v0, v2
	v_add_f32_e32 v0, v64, v69
	v_add_f32_e32 v0, v0, v71
	;; [unrolled: 1-line block ×7, first 2 shown]
	s_waitcnt vmcnt(0)
	v_fmac_f32_e32 v8, v1, v0
	v_cndmask_b32_e64 v0, 0, v8, s5
	ds_write_b32 v50, v0
	v_max_f32_e32 v0, v48, v48
	v_add_nc_u32_e32 v50, 0x200, v50
	v_max_f32_e32 v0, v0, v8
	v_cndmask_b32_e64 v48, v48, v0, s5
	v_add_co_u32 v20, s5, v20, 16
	v_add_co_ci_u32_e64 v21, null, 0, v21, s5
	v_cmp_ge_i32_e64 s5, v6, v75
	s_or_b32 s17, s5, s17
	s_andn2_b32 exec_lo, exec_lo, s17
	s_cbranch_execz .LBB319_776
.LBB319_11:                             ; =>This Inner Loop Header: Depth=1
	flat_load_dword v0, v[20:21]
	s_clause 0x2
	buffer_load_dword v1, off, s[0:3], s32 offset:200
	buffer_load_dword v2, off, s[0:3], s32 offset:220
	;; [unrolled: 1-line block ×3, first 2 shown]
	v_mov_b32_e32 v65, 0
	s_waitcnt vmcnt(0) lgkmcnt(0)
	v_mad_i64_i32 v[28:29], null, v0, v1, v[2:3]
	flat_load_dwordx2 v[30:31], v[28:29]
	s_clause 0x1
	buffer_load_dword v0, off, s[0:3], s32 offset:204
	buffer_load_dword v1, off, s[0:3], s32 offset:208
	s_waitcnt vmcnt(2) lgkmcnt(0)
	v_cmp_ne_u16_sdwa s5, v30, v9 src0_sel:BYTE_0 src1_sel:DWORD
	s_waitcnt vmcnt(0)
	flat_load_dword v64, v[0:1]
	s_and_saveexec_b32 s21, s5
	s_cbranch_execz .LBB319_19
; %bb.12:                               ;   in Loop: Header=BB319_11 Depth=1
	v_cmp_ne_u16_sdwa s5, v30, v51 src0_sel:BYTE_0 src1_sel:DWORD
	v_mov_b32_e32 v65, 0x8000
	s_and_saveexec_b32 s22, s5
	s_cbranch_execz .LBB319_18
; %bb.13:                               ;   in Loop: Header=BB319_11 Depth=1
	v_and_b32_e32 v2, 0x7f, v30
	v_mov_b32_e32 v65, 0x7c01
	s_mov_b32 s23, exec_lo
	v_cmpx_ne_u32_e32 0x7f, v2
	s_cbranch_execz .LBB319_17
; %bb.14:                               ;   in Loop: Header=BB319_11 Depth=1
	v_and_b32_e32 v0, 7, v30
	v_lshrrev_b32_e32 v1, 3, v2
	s_mov_b32 s24, exec_lo
	v_cmpx_gt_u32_e32 8, v2
; %bb.15:                               ;   in Loop: Header=BB319_11 Depth=1
	v_ffbh_u32_e32 v0, v0
	v_min_u32_e32 v2, 32, v0
	v_subrev_nc_u32_e32 v0, 28, v2
	v_lshlrev_b64 v[0:1], v0, v[30:31]
	v_sub_nc_u32_e32 v1, 29, v2
	v_and_b32_e32 v0, 7, v0
; %bb.16:                               ;   in Loop: Header=BB319_11 Depth=1
	s_or_b32 exec_lo, exec_lo, s24
	v_lshlrev_b32_e32 v2, 8, v30
	v_lshl_add_u32 v1, v1, 10, 0x2000
	v_lshlrev_b32_e32 v0, 7, v0
	v_and_b32_e32 v2, 0x8000, v2
	v_and_b32_e32 v1, 0xfc00, v1
	v_or3_b32 v65, v2, v1, v0
.LBB319_17:                             ;   in Loop: Header=BB319_11 Depth=1
	s_or_b32 exec_lo, exec_lo, s23
.LBB319_18:                             ;   in Loop: Header=BB319_11 Depth=1
	s_or_b32 exec_lo, exec_lo, s22
.LBB319_19:                             ;   in Loop: Header=BB319_11 Depth=1
	s_or_b32 exec_lo, exec_lo, s21
	v_lshrrev_b16 v8, 8, v30
	v_mov_b32_e32 v67, 0
	v_mov_b32_e32 v66, 0
	s_mov_b32 s21, exec_lo
	v_cmpx_ne_u16_e32 0, v8
	s_cbranch_execz .LBB319_27
; %bb.20:                               ;   in Loop: Header=BB319_11 Depth=1
	v_bfrev_b32_e32 v66, 1
	s_mov_b32 s22, exec_lo
	v_cmpx_ne_u16_e32 0x80, v8
	s_cbranch_execz .LBB319_26
; %bb.21:                               ;   in Loop: Header=BB319_11 Depth=1
	v_and_b32_sdwa v2, v8, v13 dst_sel:DWORD dst_unused:UNUSED_PAD src0_sel:WORD_0 src1_sel:DWORD
	v_mov_b32_e32 v66, 0x7c010000
	s_mov_b32 s23, exec_lo
	v_cmpx_ne_u32_e32 0x7f, v2
	s_cbranch_execz .LBB319_25
; %bb.22:                               ;   in Loop: Header=BB319_11 Depth=1
	v_mov_b32_e32 v0, 7
	v_lshrrev_b32_e32 v1, 3, v2
	s_mov_b32 s24, exec_lo
	v_and_b32_sdwa v0, v8, v0 dst_sel:DWORD dst_unused:UNUSED_PAD src0_sel:WORD_0 src1_sel:DWORD
	v_cmpx_gt_u32_e32 8, v2
; %bb.23:                               ;   in Loop: Header=BB319_11 Depth=1
	v_ffbh_u32_e32 v0, v0
	v_min_u32_e32 v2, 32, v0
	v_subrev_nc_u32_e32 v0, 28, v2
	v_lshlrev_b64 v[0:1], v0, v[8:9]
	v_sub_nc_u32_e32 v1, 29, v2
	v_and_b32_e32 v0, 7, v0
; %bb.24:                               ;   in Loop: Header=BB319_11 Depth=1
	s_or_b32 exec_lo, exec_lo, s24
	v_lshlrev_b32_sdwa v2, v25, v8 dst_sel:DWORD dst_unused:UNUSED_PAD src0_sel:DWORD src1_sel:WORD_0
	v_lshl_add_u32 v1, v1, 10, 0x2000
	v_lshlrev_b32_e32 v0, 23, v0
	v_and_or_b32 v1, 0x8000, v2, v1
	v_lshl_or_b32 v66, v1, 16, v0
.LBB319_25:                             ;   in Loop: Header=BB319_11 Depth=1
	s_or_b32 exec_lo, exec_lo, s23
.LBB319_26:                             ;   in Loop: Header=BB319_11 Depth=1
	s_or_b32 exec_lo, exec_lo, s22
.LBB319_27:                             ;   in Loop: Header=BB319_11 Depth=1
	s_or_b32 exec_lo, exec_lo, s21
	v_lshrrev_b32_e32 v8, 16, v30
	v_cmp_ne_u16_sdwa s5, v8, v9 src0_sel:BYTE_0 src1_sel:DWORD
	s_and_saveexec_b32 s21, s5
	s_cbranch_execz .LBB319_35
; %bb.28:                               ;   in Loop: Header=BB319_11 Depth=1
	v_cmp_ne_u16_sdwa s5, v8, v51 src0_sel:BYTE_0 src1_sel:DWORD
	v_mov_b32_e32 v67, 0x8000
	s_and_saveexec_b32 s22, s5
	s_cbranch_execz .LBB319_34
; %bb.29:                               ;   in Loop: Header=BB319_11 Depth=1
	v_bfe_u32 v2, v30, 16, 7
	v_mov_b32_e32 v67, 0x7c01
	s_mov_b32 s23, exec_lo
	v_cmpx_ne_u32_e32 0x7f, v2
	s_cbranch_execz .LBB319_33
; %bb.30:                               ;   in Loop: Header=BB319_11 Depth=1
	v_and_b32_e32 v0, 7, v8
	v_lshrrev_b32_e32 v1, 3, v2
	s_mov_b32 s24, exec_lo
	v_cmpx_gt_u32_e32 8, v2
; %bb.31:                               ;   in Loop: Header=BB319_11 Depth=1
	v_ffbh_u32_e32 v0, v0
	v_min_u32_e32 v2, 32, v0
	v_subrev_nc_u32_e32 v0, 28, v2
	v_lshlrev_b64 v[0:1], v0, v[8:9]
	v_sub_nc_u32_e32 v1, 29, v2
	v_and_b32_e32 v0, 7, v0
; %bb.32:                               ;   in Loop: Header=BB319_11 Depth=1
	s_or_b32 exec_lo, exec_lo, s24
	v_lshlrev_b32_e32 v2, 8, v8
	v_lshl_add_u32 v1, v1, 10, 0x2000
	v_lshlrev_b32_e32 v0, 7, v0
	v_and_b32_e32 v2, 0x8000, v2
	v_and_b32_e32 v1, 0xfc00, v1
	v_or3_b32 v67, v2, v1, v0
.LBB319_33:                             ;   in Loop: Header=BB319_11 Depth=1
	s_or_b32 exec_lo, exec_lo, s23
.LBB319_34:                             ;   in Loop: Header=BB319_11 Depth=1
	s_or_b32 exec_lo, exec_lo, s22
.LBB319_35:                             ;   in Loop: Header=BB319_11 Depth=1
	s_or_b32 exec_lo, exec_lo, s21
	v_mov_b32_e32 v68, 0
	v_mov_b32_e32 v69, 0
	s_mov_b32 s21, exec_lo
	v_cmpx_lt_u32_e32 0xffffff, v30
	s_cbranch_execz .LBB319_43
; %bb.36:                               ;   in Loop: Header=BB319_11 Depth=1
	v_lshrrev_b32_e32 v8, 24, v30
	v_bfrev_b32_e32 v69, 1
	s_mov_b32 s22, exec_lo
	v_cmpx_ne_u32_e32 0x80, v8
	s_cbranch_execz .LBB319_42
; %bb.37:                               ;   in Loop: Header=BB319_11 Depth=1
	v_and_b32_e32 v2, 0x7f, v8
	v_mov_b32_e32 v69, 0x7c010000
	s_mov_b32 s23, exec_lo
	v_cmpx_ne_u32_e32 0x7f, v2
	s_cbranch_execz .LBB319_41
; %bb.38:                               ;   in Loop: Header=BB319_11 Depth=1
	v_and_b32_e32 v0, 7, v8
	v_lshrrev_b32_e32 v1, 3, v2
	s_mov_b32 s24, exec_lo
	v_cmpx_gt_u32_e32 8, v2
; %bb.39:                               ;   in Loop: Header=BB319_11 Depth=1
	v_ffbh_u32_e32 v0, v0
	v_min_u32_e32 v2, 32, v0
	v_subrev_nc_u32_e32 v0, 28, v2
	v_lshlrev_b64 v[0:1], v0, v[8:9]
	v_sub_nc_u32_e32 v1, 29, v2
	v_and_b32_e32 v0, 7, v0
; %bb.40:                               ;   in Loop: Header=BB319_11 Depth=1
	s_or_b32 exec_lo, exec_lo, s24
	v_lshlrev_b32_e32 v2, 8, v8
	v_lshl_add_u32 v1, v1, 10, 0x2000
	v_lshlrev_b32_e32 v0, 23, v0
	v_and_or_b32 v1, 0x8000, v2, v1
	v_lshl_or_b32 v69, v1, 16, v0
.LBB319_41:                             ;   in Loop: Header=BB319_11 Depth=1
	s_or_b32 exec_lo, exec_lo, s23
.LBB319_42:                             ;   in Loop: Header=BB319_11 Depth=1
	s_or_b32 exec_lo, exec_lo, s22
.LBB319_43:                             ;   in Loop: Header=BB319_11 Depth=1
	s_or_b32 exec_lo, exec_lo, s21
	v_mov_b32_e32 v8, v31
	v_cmp_ne_u16_sdwa s5, v31, v9 src0_sel:BYTE_0 src1_sel:DWORD
	s_and_saveexec_b32 s21, s5
	s_cbranch_execz .LBB319_51
; %bb.44:                               ;   in Loop: Header=BB319_11 Depth=1
	v_cmp_ne_u16_sdwa s5, v31, v51 src0_sel:BYTE_0 src1_sel:DWORD
	v_mov_b32_e32 v68, 0x8000
	s_and_saveexec_b32 s22, s5
	s_cbranch_execz .LBB319_50
; %bb.45:                               ;   in Loop: Header=BB319_11 Depth=1
	v_and_b32_e32 v2, 0x7f, v31
	v_mov_b32_e32 v68, 0x7c01
	s_mov_b32 s23, exec_lo
	v_cmpx_ne_u32_e32 0x7f, v2
	s_cbranch_execz .LBB319_49
; %bb.46:                               ;   in Loop: Header=BB319_11 Depth=1
	v_and_b32_e32 v0, 7, v31
	v_lshrrev_b32_e32 v1, 3, v2
	s_mov_b32 s24, exec_lo
	v_cmpx_gt_u32_e32 8, v2
; %bb.47:                               ;   in Loop: Header=BB319_11 Depth=1
	v_ffbh_u32_e32 v0, v0
	v_min_u32_e32 v2, 32, v0
	v_subrev_nc_u32_e32 v0, 28, v2
	v_lshlrev_b64 v[0:1], v0, v[8:9]
	v_sub_nc_u32_e32 v1, 29, v2
	v_and_b32_e32 v0, 7, v0
; %bb.48:                               ;   in Loop: Header=BB319_11 Depth=1
	s_or_b32 exec_lo, exec_lo, s24
	v_lshlrev_b32_e32 v2, 8, v31
	v_lshl_add_u32 v1, v1, 10, 0x2000
	v_lshlrev_b32_e32 v0, 7, v0
	v_and_b32_e32 v2, 0x8000, v2
	v_and_b32_e32 v1, 0xfc00, v1
	v_or3_b32 v68, v2, v1, v0
.LBB319_49:                             ;   in Loop: Header=BB319_11 Depth=1
	s_or_b32 exec_lo, exec_lo, s23
.LBB319_50:                             ;   in Loop: Header=BB319_11 Depth=1
	s_or_b32 exec_lo, exec_lo, s22
.LBB319_51:                             ;   in Loop: Header=BB319_11 Depth=1
	s_or_b32 exec_lo, exec_lo, s21
	v_lshrrev_b16 v8, 8, v8
	v_mov_b32_e32 v70, 0
	v_mov_b32_e32 v71, 0
	s_mov_b32 s21, exec_lo
	v_cmpx_ne_u16_e32 0, v8
	s_cbranch_execz .LBB319_59
; %bb.52:                               ;   in Loop: Header=BB319_11 Depth=1
	v_bfrev_b32_e32 v71, 1
	s_mov_b32 s22, exec_lo
	v_cmpx_ne_u16_e32 0x80, v8
	s_cbranch_execz .LBB319_58
; %bb.53:                               ;   in Loop: Header=BB319_11 Depth=1
	v_and_b32_sdwa v2, v8, v13 dst_sel:DWORD dst_unused:UNUSED_PAD src0_sel:WORD_0 src1_sel:DWORD
	v_mov_b32_e32 v71, 0x7c010000
	s_mov_b32 s23, exec_lo
	v_cmpx_ne_u32_e32 0x7f, v2
	s_cbranch_execz .LBB319_57
; %bb.54:                               ;   in Loop: Header=BB319_11 Depth=1
	v_mov_b32_e32 v0, 7
	v_lshrrev_b32_e32 v1, 3, v2
	s_mov_b32 s24, exec_lo
	v_and_b32_sdwa v0, v8, v0 dst_sel:DWORD dst_unused:UNUSED_PAD src0_sel:WORD_0 src1_sel:DWORD
	v_cmpx_gt_u32_e32 8, v2
; %bb.55:                               ;   in Loop: Header=BB319_11 Depth=1
	v_ffbh_u32_e32 v0, v0
	v_min_u32_e32 v2, 32, v0
	v_subrev_nc_u32_e32 v0, 28, v2
	v_lshlrev_b64 v[0:1], v0, v[8:9]
	v_sub_nc_u32_e32 v1, 29, v2
	v_and_b32_e32 v0, 7, v0
; %bb.56:                               ;   in Loop: Header=BB319_11 Depth=1
	s_or_b32 exec_lo, exec_lo, s24
	v_lshlrev_b32_sdwa v2, v25, v8 dst_sel:DWORD dst_unused:UNUSED_PAD src0_sel:DWORD src1_sel:WORD_0
	v_lshl_add_u32 v1, v1, 10, 0x2000
	v_lshlrev_b32_e32 v0, 23, v0
	v_and_or_b32 v1, 0x8000, v2, v1
	v_lshl_or_b32 v71, v1, 16, v0
.LBB319_57:                             ;   in Loop: Header=BB319_11 Depth=1
	s_or_b32 exec_lo, exec_lo, s23
.LBB319_58:                             ;   in Loop: Header=BB319_11 Depth=1
	s_or_b32 exec_lo, exec_lo, s22
.LBB319_59:                             ;   in Loop: Header=BB319_11 Depth=1
	s_or_b32 exec_lo, exec_lo, s21
	v_lshrrev_b32_e32 v8, 16, v31
	v_cmp_ne_u16_sdwa s5, v8, v9 src0_sel:BYTE_0 src1_sel:DWORD
	s_and_saveexec_b32 s21, s5
	s_cbranch_execz .LBB319_67
; %bb.60:                               ;   in Loop: Header=BB319_11 Depth=1
	v_cmp_ne_u16_sdwa s5, v8, v51 src0_sel:BYTE_0 src1_sel:DWORD
	v_mov_b32_e32 v70, 0x8000
	s_and_saveexec_b32 s22, s5
	s_cbranch_execz .LBB319_66
; %bb.61:                               ;   in Loop: Header=BB319_11 Depth=1
	v_bfe_u32 v2, v31, 16, 7
	v_mov_b32_e32 v70, 0x7c01
	s_mov_b32 s23, exec_lo
	v_cmpx_ne_u32_e32 0x7f, v2
	s_cbranch_execz .LBB319_65
; %bb.62:                               ;   in Loop: Header=BB319_11 Depth=1
	v_and_b32_e32 v0, 7, v8
	v_lshrrev_b32_e32 v1, 3, v2
	s_mov_b32 s24, exec_lo
	v_cmpx_gt_u32_e32 8, v2
; %bb.63:                               ;   in Loop: Header=BB319_11 Depth=1
	v_ffbh_u32_e32 v0, v0
	v_min_u32_e32 v2, 32, v0
	v_subrev_nc_u32_e32 v0, 28, v2
	v_lshlrev_b64 v[0:1], v0, v[8:9]
	v_sub_nc_u32_e32 v1, 29, v2
	v_and_b32_e32 v0, 7, v0
; %bb.64:                               ;   in Loop: Header=BB319_11 Depth=1
	s_or_b32 exec_lo, exec_lo, s24
	v_lshlrev_b32_e32 v2, 8, v8
	v_lshl_add_u32 v1, v1, 10, 0x2000
	v_lshlrev_b32_e32 v0, 7, v0
	v_and_b32_e32 v2, 0x8000, v2
	v_and_b32_e32 v1, 0xfc00, v1
	v_or3_b32 v70, v2, v1, v0
.LBB319_65:                             ;   in Loop: Header=BB319_11 Depth=1
	s_or_b32 exec_lo, exec_lo, s23
.LBB319_66:                             ;   in Loop: Header=BB319_11 Depth=1
	s_or_b32 exec_lo, exec_lo, s22
.LBB319_67:                             ;   in Loop: Header=BB319_11 Depth=1
	s_or_b32 exec_lo, exec_lo, s21
	v_mov_b32_e32 v81, 0
	v_mov_b32_e32 v80, 0
	s_mov_b32 s21, exec_lo
	v_cmpx_lt_u64_e64 s[6:7], v[30:31]
	s_cbranch_execz .LBB319_75
; %bb.68:                               ;   in Loop: Header=BB319_11 Depth=1
	v_lshrrev_b32_e32 v8, 24, v31
	v_bfrev_b32_e32 v80, 1
	s_mov_b32 s22, exec_lo
	v_cmpx_ne_u32_e32 0x80, v8
	s_cbranch_execz .LBB319_74
; %bb.69:                               ;   in Loop: Header=BB319_11 Depth=1
	v_and_b32_e32 v2, 0x7f, v8
	v_mov_b32_e32 v80, 0x7c010000
	s_mov_b32 s23, exec_lo
	v_cmpx_ne_u32_e32 0x7f, v2
	s_cbranch_execz .LBB319_73
; %bb.70:                               ;   in Loop: Header=BB319_11 Depth=1
	v_and_b32_e32 v0, 7, v8
	v_lshrrev_b32_e32 v1, 3, v2
	s_mov_b32 s24, exec_lo
	v_cmpx_gt_u32_e32 8, v2
; %bb.71:                               ;   in Loop: Header=BB319_11 Depth=1
	v_ffbh_u32_e32 v0, v0
	v_min_u32_e32 v2, 32, v0
	v_subrev_nc_u32_e32 v0, 28, v2
	v_lshlrev_b64 v[0:1], v0, v[8:9]
	v_sub_nc_u32_e32 v1, 29, v2
	v_and_b32_e32 v0, 7, v0
; %bb.72:                               ;   in Loop: Header=BB319_11 Depth=1
	s_or_b32 exec_lo, exec_lo, s24
	v_lshlrev_b32_e32 v2, 8, v8
	v_lshl_add_u32 v1, v1, 10, 0x2000
	v_lshlrev_b32_e32 v0, 23, v0
	v_and_or_b32 v1, 0x8000, v2, v1
	v_lshl_or_b32 v80, v1, 16, v0
.LBB319_73:                             ;   in Loop: Header=BB319_11 Depth=1
	s_or_b32 exec_lo, exec_lo, s23
.LBB319_74:                             ;   in Loop: Header=BB319_11 Depth=1
	s_or_b32 exec_lo, exec_lo, s22
.LBB319_75:                             ;   in Loop: Header=BB319_11 Depth=1
	s_or_b32 exec_lo, exec_lo, s21
	flat_load_dwordx2 v[30:31], v[28:29] offset:8
	s_waitcnt vmcnt(0) lgkmcnt(0)
	v_cmp_ne_u16_sdwa s5, v30, v9 src0_sel:BYTE_0 src1_sel:DWORD
	s_and_saveexec_b32 s21, s5
	s_cbranch_execz .LBB319_83
; %bb.76:                               ;   in Loop: Header=BB319_11 Depth=1
	v_cmp_ne_u16_sdwa s5, v30, v51 src0_sel:BYTE_0 src1_sel:DWORD
	v_mov_b32_e32 v81, 0x8000
	s_and_saveexec_b32 s22, s5
	s_cbranch_execz .LBB319_82
; %bb.77:                               ;   in Loop: Header=BB319_11 Depth=1
	v_and_b32_e32 v2, 0x7f, v30
	v_mov_b32_e32 v81, 0x7c01
	s_mov_b32 s23, exec_lo
	v_cmpx_ne_u32_e32 0x7f, v2
	s_cbranch_execz .LBB319_81
; %bb.78:                               ;   in Loop: Header=BB319_11 Depth=1
	v_and_b32_e32 v0, 7, v30
	v_lshrrev_b32_e32 v1, 3, v2
	s_mov_b32 s24, exec_lo
	v_cmpx_gt_u32_e32 8, v2
; %bb.79:                               ;   in Loop: Header=BB319_11 Depth=1
	v_ffbh_u32_e32 v0, v0
	v_min_u32_e32 v2, 32, v0
	v_subrev_nc_u32_e32 v0, 28, v2
	v_lshlrev_b64 v[0:1], v0, v[30:31]
	v_sub_nc_u32_e32 v1, 29, v2
	v_and_b32_e32 v0, 7, v0
; %bb.80:                               ;   in Loop: Header=BB319_11 Depth=1
	s_or_b32 exec_lo, exec_lo, s24
	v_lshlrev_b32_e32 v2, 8, v30
	v_lshl_add_u32 v1, v1, 10, 0x2000
	v_lshlrev_b32_e32 v0, 7, v0
	v_and_b32_e32 v2, 0x8000, v2
	v_and_b32_e32 v1, 0xfc00, v1
	v_or3_b32 v81, v2, v1, v0
.LBB319_81:                             ;   in Loop: Header=BB319_11 Depth=1
	s_or_b32 exec_lo, exec_lo, s23
.LBB319_82:                             ;   in Loop: Header=BB319_11 Depth=1
	s_or_b32 exec_lo, exec_lo, s22
.LBB319_83:                             ;   in Loop: Header=BB319_11 Depth=1
	s_or_b32 exec_lo, exec_lo, s21
	v_lshrrev_b16 v8, 8, v30
	v_mov_b32_e32 v83, 0
	v_mov_b32_e32 v82, 0
	s_mov_b32 s21, exec_lo
	v_cmpx_ne_u16_e32 0, v8
	s_cbranch_execz .LBB319_91
; %bb.84:                               ;   in Loop: Header=BB319_11 Depth=1
	v_bfrev_b32_e32 v82, 1
	s_mov_b32 s22, exec_lo
	v_cmpx_ne_u16_e32 0x80, v8
	s_cbranch_execz .LBB319_90
; %bb.85:                               ;   in Loop: Header=BB319_11 Depth=1
	v_and_b32_sdwa v2, v8, v13 dst_sel:DWORD dst_unused:UNUSED_PAD src0_sel:WORD_0 src1_sel:DWORD
	v_mov_b32_e32 v82, 0x7c010000
	s_mov_b32 s23, exec_lo
	v_cmpx_ne_u32_e32 0x7f, v2
	s_cbranch_execz .LBB319_89
; %bb.86:                               ;   in Loop: Header=BB319_11 Depth=1
	v_mov_b32_e32 v0, 7
	v_lshrrev_b32_e32 v1, 3, v2
	s_mov_b32 s24, exec_lo
	v_and_b32_sdwa v0, v8, v0 dst_sel:DWORD dst_unused:UNUSED_PAD src0_sel:WORD_0 src1_sel:DWORD
	v_cmpx_gt_u32_e32 8, v2
; %bb.87:                               ;   in Loop: Header=BB319_11 Depth=1
	v_ffbh_u32_e32 v0, v0
	v_min_u32_e32 v2, 32, v0
	v_subrev_nc_u32_e32 v0, 28, v2
	v_lshlrev_b64 v[0:1], v0, v[8:9]
	v_sub_nc_u32_e32 v1, 29, v2
	v_and_b32_e32 v0, 7, v0
; %bb.88:                               ;   in Loop: Header=BB319_11 Depth=1
	s_or_b32 exec_lo, exec_lo, s24
	v_lshlrev_b32_sdwa v2, v25, v8 dst_sel:DWORD dst_unused:UNUSED_PAD src0_sel:DWORD src1_sel:WORD_0
	v_lshl_add_u32 v1, v1, 10, 0x2000
	v_lshlrev_b32_e32 v0, 23, v0
	v_and_or_b32 v1, 0x8000, v2, v1
	v_lshl_or_b32 v82, v1, 16, v0
.LBB319_89:                             ;   in Loop: Header=BB319_11 Depth=1
	s_or_b32 exec_lo, exec_lo, s23
.LBB319_90:                             ;   in Loop: Header=BB319_11 Depth=1
	s_or_b32 exec_lo, exec_lo, s22
.LBB319_91:                             ;   in Loop: Header=BB319_11 Depth=1
	s_or_b32 exec_lo, exec_lo, s21
	v_lshrrev_b32_e32 v8, 16, v30
	v_cmp_ne_u16_sdwa s5, v8, v9 src0_sel:BYTE_0 src1_sel:DWORD
	s_and_saveexec_b32 s21, s5
	s_cbranch_execz .LBB319_99
; %bb.92:                               ;   in Loop: Header=BB319_11 Depth=1
	v_cmp_ne_u16_sdwa s5, v8, v51 src0_sel:BYTE_0 src1_sel:DWORD
	v_mov_b32_e32 v83, 0x8000
	s_and_saveexec_b32 s22, s5
	s_cbranch_execz .LBB319_98
; %bb.93:                               ;   in Loop: Header=BB319_11 Depth=1
	v_bfe_u32 v2, v30, 16, 7
	v_mov_b32_e32 v83, 0x7c01
	s_mov_b32 s23, exec_lo
	v_cmpx_ne_u32_e32 0x7f, v2
	s_cbranch_execz .LBB319_97
; %bb.94:                               ;   in Loop: Header=BB319_11 Depth=1
	v_and_b32_e32 v0, 7, v8
	v_lshrrev_b32_e32 v1, 3, v2
	s_mov_b32 s24, exec_lo
	v_cmpx_gt_u32_e32 8, v2
; %bb.95:                               ;   in Loop: Header=BB319_11 Depth=1
	v_ffbh_u32_e32 v0, v0
	v_min_u32_e32 v2, 32, v0
	v_subrev_nc_u32_e32 v0, 28, v2
	v_lshlrev_b64 v[0:1], v0, v[8:9]
	v_sub_nc_u32_e32 v1, 29, v2
	v_and_b32_e32 v0, 7, v0
; %bb.96:                               ;   in Loop: Header=BB319_11 Depth=1
	s_or_b32 exec_lo, exec_lo, s24
	v_lshlrev_b32_e32 v2, 8, v8
	v_lshl_add_u32 v1, v1, 10, 0x2000
	v_lshlrev_b32_e32 v0, 7, v0
	v_and_b32_e32 v2, 0x8000, v2
	v_and_b32_e32 v1, 0xfc00, v1
	v_or3_b32 v83, v2, v1, v0
.LBB319_97:                             ;   in Loop: Header=BB319_11 Depth=1
	s_or_b32 exec_lo, exec_lo, s23
.LBB319_98:                             ;   in Loop: Header=BB319_11 Depth=1
	s_or_b32 exec_lo, exec_lo, s22
.LBB319_99:                             ;   in Loop: Header=BB319_11 Depth=1
	s_or_b32 exec_lo, exec_lo, s21
	v_mov_b32_e32 v84, 0
	v_mov_b32_e32 v85, 0
	s_mov_b32 s21, exec_lo
	v_cmpx_lt_u32_e32 0xffffff, v30
	s_cbranch_execz .LBB319_107
; %bb.100:                              ;   in Loop: Header=BB319_11 Depth=1
	v_lshrrev_b32_e32 v8, 24, v30
	v_bfrev_b32_e32 v85, 1
	s_mov_b32 s22, exec_lo
	v_cmpx_ne_u32_e32 0x80, v8
	s_cbranch_execz .LBB319_106
; %bb.101:                              ;   in Loop: Header=BB319_11 Depth=1
	v_and_b32_e32 v2, 0x7f, v8
	v_mov_b32_e32 v85, 0x7c010000
	s_mov_b32 s23, exec_lo
	v_cmpx_ne_u32_e32 0x7f, v2
	s_cbranch_execz .LBB319_105
; %bb.102:                              ;   in Loop: Header=BB319_11 Depth=1
	v_and_b32_e32 v0, 7, v8
	v_lshrrev_b32_e32 v1, 3, v2
	s_mov_b32 s24, exec_lo
	v_cmpx_gt_u32_e32 8, v2
; %bb.103:                              ;   in Loop: Header=BB319_11 Depth=1
	v_ffbh_u32_e32 v0, v0
	v_min_u32_e32 v2, 32, v0
	v_subrev_nc_u32_e32 v0, 28, v2
	v_lshlrev_b64 v[0:1], v0, v[8:9]
	v_sub_nc_u32_e32 v1, 29, v2
	v_and_b32_e32 v0, 7, v0
; %bb.104:                              ;   in Loop: Header=BB319_11 Depth=1
	s_or_b32 exec_lo, exec_lo, s24
	v_lshlrev_b32_e32 v2, 8, v8
	v_lshl_add_u32 v1, v1, 10, 0x2000
	v_lshlrev_b32_e32 v0, 23, v0
	v_and_or_b32 v1, 0x8000, v2, v1
	v_lshl_or_b32 v85, v1, 16, v0
.LBB319_105:                            ;   in Loop: Header=BB319_11 Depth=1
	s_or_b32 exec_lo, exec_lo, s23
.LBB319_106:                            ;   in Loop: Header=BB319_11 Depth=1
	s_or_b32 exec_lo, exec_lo, s22
.LBB319_107:                            ;   in Loop: Header=BB319_11 Depth=1
	s_or_b32 exec_lo, exec_lo, s21
	v_mov_b32_e32 v8, v31
	v_cmp_ne_u16_sdwa s5, v31, v9 src0_sel:BYTE_0 src1_sel:DWORD
	s_and_saveexec_b32 s21, s5
	s_cbranch_execz .LBB319_115
; %bb.108:                              ;   in Loop: Header=BB319_11 Depth=1
	v_cmp_ne_u16_sdwa s5, v31, v51 src0_sel:BYTE_0 src1_sel:DWORD
	v_mov_b32_e32 v84, 0x8000
	s_and_saveexec_b32 s22, s5
	s_cbranch_execz .LBB319_114
; %bb.109:                              ;   in Loop: Header=BB319_11 Depth=1
	v_and_b32_e32 v2, 0x7f, v31
	v_mov_b32_e32 v84, 0x7c01
	s_mov_b32 s23, exec_lo
	v_cmpx_ne_u32_e32 0x7f, v2
	s_cbranch_execz .LBB319_113
; %bb.110:                              ;   in Loop: Header=BB319_11 Depth=1
	v_and_b32_e32 v0, 7, v31
	v_lshrrev_b32_e32 v1, 3, v2
	s_mov_b32 s24, exec_lo
	v_cmpx_gt_u32_e32 8, v2
; %bb.111:                              ;   in Loop: Header=BB319_11 Depth=1
	v_ffbh_u32_e32 v0, v0
	v_min_u32_e32 v2, 32, v0
	v_subrev_nc_u32_e32 v0, 28, v2
	v_lshlrev_b64 v[0:1], v0, v[8:9]
	v_sub_nc_u32_e32 v1, 29, v2
	v_and_b32_e32 v0, 7, v0
; %bb.112:                              ;   in Loop: Header=BB319_11 Depth=1
	s_or_b32 exec_lo, exec_lo, s24
	v_lshlrev_b32_e32 v2, 8, v31
	v_lshl_add_u32 v1, v1, 10, 0x2000
	v_lshlrev_b32_e32 v0, 7, v0
	v_and_b32_e32 v2, 0x8000, v2
	v_and_b32_e32 v1, 0xfc00, v1
	v_or3_b32 v84, v2, v1, v0
.LBB319_113:                            ;   in Loop: Header=BB319_11 Depth=1
	s_or_b32 exec_lo, exec_lo, s23
.LBB319_114:                            ;   in Loop: Header=BB319_11 Depth=1
	s_or_b32 exec_lo, exec_lo, s22
.LBB319_115:                            ;   in Loop: Header=BB319_11 Depth=1
	s_or_b32 exec_lo, exec_lo, s21
	v_lshrrev_b16 v8, 8, v8
	v_mov_b32_e32 v86, 0
	v_mov_b32_e32 v87, 0
	s_mov_b32 s21, exec_lo
	v_cmpx_ne_u16_e32 0, v8
	s_cbranch_execz .LBB319_123
; %bb.116:                              ;   in Loop: Header=BB319_11 Depth=1
	v_bfrev_b32_e32 v87, 1
	s_mov_b32 s22, exec_lo
	v_cmpx_ne_u16_e32 0x80, v8
	s_cbranch_execz .LBB319_122
; %bb.117:                              ;   in Loop: Header=BB319_11 Depth=1
	v_and_b32_sdwa v2, v8, v13 dst_sel:DWORD dst_unused:UNUSED_PAD src0_sel:WORD_0 src1_sel:DWORD
	v_mov_b32_e32 v87, 0x7c010000
	s_mov_b32 s23, exec_lo
	v_cmpx_ne_u32_e32 0x7f, v2
	s_cbranch_execz .LBB319_121
; %bb.118:                              ;   in Loop: Header=BB319_11 Depth=1
	v_mov_b32_e32 v0, 7
	v_lshrrev_b32_e32 v1, 3, v2
	s_mov_b32 s24, exec_lo
	v_and_b32_sdwa v0, v8, v0 dst_sel:DWORD dst_unused:UNUSED_PAD src0_sel:WORD_0 src1_sel:DWORD
	v_cmpx_gt_u32_e32 8, v2
; %bb.119:                              ;   in Loop: Header=BB319_11 Depth=1
	v_ffbh_u32_e32 v0, v0
	v_min_u32_e32 v2, 32, v0
	v_subrev_nc_u32_e32 v0, 28, v2
	v_lshlrev_b64 v[0:1], v0, v[8:9]
	v_sub_nc_u32_e32 v1, 29, v2
	v_and_b32_e32 v0, 7, v0
; %bb.120:                              ;   in Loop: Header=BB319_11 Depth=1
	s_or_b32 exec_lo, exec_lo, s24
	v_lshlrev_b32_sdwa v2, v25, v8 dst_sel:DWORD dst_unused:UNUSED_PAD src0_sel:DWORD src1_sel:WORD_0
	v_lshl_add_u32 v1, v1, 10, 0x2000
	v_lshlrev_b32_e32 v0, 23, v0
	v_and_or_b32 v1, 0x8000, v2, v1
	v_lshl_or_b32 v87, v1, 16, v0
.LBB319_121:                            ;   in Loop: Header=BB319_11 Depth=1
	s_or_b32 exec_lo, exec_lo, s23
.LBB319_122:                            ;   in Loop: Header=BB319_11 Depth=1
	s_or_b32 exec_lo, exec_lo, s22
.LBB319_123:                            ;   in Loop: Header=BB319_11 Depth=1
	s_or_b32 exec_lo, exec_lo, s21
	v_lshrrev_b32_e32 v8, 16, v31
	v_cmp_ne_u16_sdwa s5, v8, v9 src0_sel:BYTE_0 src1_sel:DWORD
	s_and_saveexec_b32 s21, s5
	s_cbranch_execz .LBB319_131
; %bb.124:                              ;   in Loop: Header=BB319_11 Depth=1
	v_cmp_ne_u16_sdwa s5, v8, v51 src0_sel:BYTE_0 src1_sel:DWORD
	v_mov_b32_e32 v86, 0x8000
	s_and_saveexec_b32 s22, s5
	s_cbranch_execz .LBB319_130
; %bb.125:                              ;   in Loop: Header=BB319_11 Depth=1
	v_bfe_u32 v2, v31, 16, 7
	v_mov_b32_e32 v86, 0x7c01
	s_mov_b32 s23, exec_lo
	v_cmpx_ne_u32_e32 0x7f, v2
	s_cbranch_execz .LBB319_129
; %bb.126:                              ;   in Loop: Header=BB319_11 Depth=1
	v_and_b32_e32 v0, 7, v8
	v_lshrrev_b32_e32 v1, 3, v2
	s_mov_b32 s24, exec_lo
	v_cmpx_gt_u32_e32 8, v2
; %bb.127:                              ;   in Loop: Header=BB319_11 Depth=1
	v_ffbh_u32_e32 v0, v0
	v_min_u32_e32 v2, 32, v0
	v_subrev_nc_u32_e32 v0, 28, v2
	v_lshlrev_b64 v[0:1], v0, v[8:9]
	v_sub_nc_u32_e32 v1, 29, v2
	v_and_b32_e32 v0, 7, v0
; %bb.128:                              ;   in Loop: Header=BB319_11 Depth=1
	s_or_b32 exec_lo, exec_lo, s24
	v_lshlrev_b32_e32 v2, 8, v8
	v_lshl_add_u32 v1, v1, 10, 0x2000
	v_lshlrev_b32_e32 v0, 7, v0
	v_and_b32_e32 v2, 0x8000, v2
	v_and_b32_e32 v1, 0xfc00, v1
	v_or3_b32 v86, v2, v1, v0
.LBB319_129:                            ;   in Loop: Header=BB319_11 Depth=1
	s_or_b32 exec_lo, exec_lo, s23
.LBB319_130:                            ;   in Loop: Header=BB319_11 Depth=1
	s_or_b32 exec_lo, exec_lo, s22
.LBB319_131:                            ;   in Loop: Header=BB319_11 Depth=1
	s_or_b32 exec_lo, exec_lo, s21
	v_mov_b32_e32 v97, 0
	v_mov_b32_e32 v96, 0
	s_mov_b32 s21, exec_lo
	v_cmpx_lt_u64_e64 s[6:7], v[30:31]
	s_cbranch_execz .LBB319_139
; %bb.132:                              ;   in Loop: Header=BB319_11 Depth=1
	v_lshrrev_b32_e32 v8, 24, v31
	v_bfrev_b32_e32 v96, 1
	s_mov_b32 s22, exec_lo
	v_cmpx_ne_u32_e32 0x80, v8
	s_cbranch_execz .LBB319_138
; %bb.133:                              ;   in Loop: Header=BB319_11 Depth=1
	v_and_b32_e32 v2, 0x7f, v8
	v_mov_b32_e32 v96, 0x7c010000
	s_mov_b32 s23, exec_lo
	v_cmpx_ne_u32_e32 0x7f, v2
	s_cbranch_execz .LBB319_137
; %bb.134:                              ;   in Loop: Header=BB319_11 Depth=1
	v_and_b32_e32 v0, 7, v8
	v_lshrrev_b32_e32 v1, 3, v2
	s_mov_b32 s24, exec_lo
	v_cmpx_gt_u32_e32 8, v2
; %bb.135:                              ;   in Loop: Header=BB319_11 Depth=1
	v_ffbh_u32_e32 v0, v0
	v_min_u32_e32 v2, 32, v0
	v_subrev_nc_u32_e32 v0, 28, v2
	v_lshlrev_b64 v[0:1], v0, v[8:9]
	v_sub_nc_u32_e32 v1, 29, v2
	v_and_b32_e32 v0, 7, v0
; %bb.136:                              ;   in Loop: Header=BB319_11 Depth=1
	s_or_b32 exec_lo, exec_lo, s24
	v_lshlrev_b32_e32 v2, 8, v8
	v_lshl_add_u32 v1, v1, 10, 0x2000
	v_lshlrev_b32_e32 v0, 23, v0
	v_and_or_b32 v1, 0x8000, v2, v1
	v_lshl_or_b32 v96, v1, 16, v0
.LBB319_137:                            ;   in Loop: Header=BB319_11 Depth=1
	s_or_b32 exec_lo, exec_lo, s23
.LBB319_138:                            ;   in Loop: Header=BB319_11 Depth=1
	s_or_b32 exec_lo, exec_lo, s22
.LBB319_139:                            ;   in Loop: Header=BB319_11 Depth=1
	s_or_b32 exec_lo, exec_lo, s21
	flat_load_dwordx2 v[30:31], v[28:29] offset:512
	s_waitcnt vmcnt(0) lgkmcnt(0)
	v_cmp_ne_u16_sdwa s5, v30, v9 src0_sel:BYTE_0 src1_sel:DWORD
	s_and_saveexec_b32 s21, s5
	s_cbranch_execz .LBB319_147
; %bb.140:                              ;   in Loop: Header=BB319_11 Depth=1
	v_cmp_ne_u16_sdwa s5, v30, v51 src0_sel:BYTE_0 src1_sel:DWORD
	v_mov_b32_e32 v97, 0x8000
	s_and_saveexec_b32 s22, s5
	s_cbranch_execz .LBB319_146
; %bb.141:                              ;   in Loop: Header=BB319_11 Depth=1
	v_and_b32_e32 v2, 0x7f, v30
	v_mov_b32_e32 v97, 0x7c01
	s_mov_b32 s23, exec_lo
	v_cmpx_ne_u32_e32 0x7f, v2
	s_cbranch_execz .LBB319_145
; %bb.142:                              ;   in Loop: Header=BB319_11 Depth=1
	v_and_b32_e32 v0, 7, v30
	v_lshrrev_b32_e32 v1, 3, v2
	s_mov_b32 s24, exec_lo
	v_cmpx_gt_u32_e32 8, v2
; %bb.143:                              ;   in Loop: Header=BB319_11 Depth=1
	v_ffbh_u32_e32 v0, v0
	v_min_u32_e32 v2, 32, v0
	v_subrev_nc_u32_e32 v0, 28, v2
	v_lshlrev_b64 v[0:1], v0, v[30:31]
	v_sub_nc_u32_e32 v1, 29, v2
	v_and_b32_e32 v0, 7, v0
; %bb.144:                              ;   in Loop: Header=BB319_11 Depth=1
	s_or_b32 exec_lo, exec_lo, s24
	v_lshlrev_b32_e32 v2, 8, v30
	v_lshl_add_u32 v1, v1, 10, 0x2000
	v_lshlrev_b32_e32 v0, 7, v0
	v_and_b32_e32 v2, 0x8000, v2
	v_and_b32_e32 v1, 0xfc00, v1
	v_or3_b32 v97, v2, v1, v0
.LBB319_145:                            ;   in Loop: Header=BB319_11 Depth=1
	s_or_b32 exec_lo, exec_lo, s23
.LBB319_146:                            ;   in Loop: Header=BB319_11 Depth=1
	s_or_b32 exec_lo, exec_lo, s22
.LBB319_147:                            ;   in Loop: Header=BB319_11 Depth=1
	s_or_b32 exec_lo, exec_lo, s21
	v_lshrrev_b16 v8, 8, v30
	v_mov_b32_e32 v99, 0
	v_mov_b32_e32 v98, 0
	s_mov_b32 s21, exec_lo
	v_cmpx_ne_u16_e32 0, v8
	s_cbranch_execz .LBB319_155
; %bb.148:                              ;   in Loop: Header=BB319_11 Depth=1
	v_bfrev_b32_e32 v98, 1
	s_mov_b32 s22, exec_lo
	v_cmpx_ne_u16_e32 0x80, v8
	s_cbranch_execz .LBB319_154
; %bb.149:                              ;   in Loop: Header=BB319_11 Depth=1
	v_and_b32_sdwa v2, v8, v13 dst_sel:DWORD dst_unused:UNUSED_PAD src0_sel:WORD_0 src1_sel:DWORD
	v_mov_b32_e32 v98, 0x7c010000
	s_mov_b32 s23, exec_lo
	v_cmpx_ne_u32_e32 0x7f, v2
	s_cbranch_execz .LBB319_153
; %bb.150:                              ;   in Loop: Header=BB319_11 Depth=1
	v_mov_b32_e32 v0, 7
	v_lshrrev_b32_e32 v1, 3, v2
	s_mov_b32 s24, exec_lo
	v_and_b32_sdwa v0, v8, v0 dst_sel:DWORD dst_unused:UNUSED_PAD src0_sel:WORD_0 src1_sel:DWORD
	v_cmpx_gt_u32_e32 8, v2
; %bb.151:                              ;   in Loop: Header=BB319_11 Depth=1
	v_ffbh_u32_e32 v0, v0
	v_min_u32_e32 v2, 32, v0
	v_subrev_nc_u32_e32 v0, 28, v2
	v_lshlrev_b64 v[0:1], v0, v[8:9]
	v_sub_nc_u32_e32 v1, 29, v2
	v_and_b32_e32 v0, 7, v0
; %bb.152:                              ;   in Loop: Header=BB319_11 Depth=1
	s_or_b32 exec_lo, exec_lo, s24
	v_lshlrev_b32_sdwa v2, v25, v8 dst_sel:DWORD dst_unused:UNUSED_PAD src0_sel:DWORD src1_sel:WORD_0
	v_lshl_add_u32 v1, v1, 10, 0x2000
	v_lshlrev_b32_e32 v0, 23, v0
	v_and_or_b32 v1, 0x8000, v2, v1
	v_lshl_or_b32 v98, v1, 16, v0
.LBB319_153:                            ;   in Loop: Header=BB319_11 Depth=1
	s_or_b32 exec_lo, exec_lo, s23
.LBB319_154:                            ;   in Loop: Header=BB319_11 Depth=1
	s_or_b32 exec_lo, exec_lo, s22
.LBB319_155:                            ;   in Loop: Header=BB319_11 Depth=1
	s_or_b32 exec_lo, exec_lo, s21
	v_lshrrev_b32_e32 v8, 16, v30
	v_cmp_ne_u16_sdwa s5, v8, v9 src0_sel:BYTE_0 src1_sel:DWORD
	s_and_saveexec_b32 s21, s5
	s_cbranch_execz .LBB319_163
; %bb.156:                              ;   in Loop: Header=BB319_11 Depth=1
	v_cmp_ne_u16_sdwa s5, v8, v51 src0_sel:BYTE_0 src1_sel:DWORD
	v_mov_b32_e32 v99, 0x8000
	s_and_saveexec_b32 s22, s5
	s_cbranch_execz .LBB319_162
; %bb.157:                              ;   in Loop: Header=BB319_11 Depth=1
	v_bfe_u32 v2, v30, 16, 7
	v_mov_b32_e32 v99, 0x7c01
	s_mov_b32 s23, exec_lo
	v_cmpx_ne_u32_e32 0x7f, v2
	s_cbranch_execz .LBB319_161
; %bb.158:                              ;   in Loop: Header=BB319_11 Depth=1
	v_and_b32_e32 v0, 7, v8
	v_lshrrev_b32_e32 v1, 3, v2
	s_mov_b32 s24, exec_lo
	v_cmpx_gt_u32_e32 8, v2
; %bb.159:                              ;   in Loop: Header=BB319_11 Depth=1
	v_ffbh_u32_e32 v0, v0
	v_min_u32_e32 v2, 32, v0
	v_subrev_nc_u32_e32 v0, 28, v2
	v_lshlrev_b64 v[0:1], v0, v[8:9]
	v_sub_nc_u32_e32 v1, 29, v2
	v_and_b32_e32 v0, 7, v0
; %bb.160:                              ;   in Loop: Header=BB319_11 Depth=1
	s_or_b32 exec_lo, exec_lo, s24
	v_lshlrev_b32_e32 v2, 8, v8
	v_lshl_add_u32 v1, v1, 10, 0x2000
	v_lshlrev_b32_e32 v0, 7, v0
	v_and_b32_e32 v2, 0x8000, v2
	v_and_b32_e32 v1, 0xfc00, v1
	v_or3_b32 v99, v2, v1, v0
.LBB319_161:                            ;   in Loop: Header=BB319_11 Depth=1
	s_or_b32 exec_lo, exec_lo, s23
.LBB319_162:                            ;   in Loop: Header=BB319_11 Depth=1
	s_or_b32 exec_lo, exec_lo, s22
.LBB319_163:                            ;   in Loop: Header=BB319_11 Depth=1
	s_or_b32 exec_lo, exec_lo, s21
	v_mov_b32_e32 v100, 0
	v_mov_b32_e32 v101, 0
	s_mov_b32 s21, exec_lo
	v_cmpx_lt_u32_e32 0xffffff, v30
	s_cbranch_execz .LBB319_171
; %bb.164:                              ;   in Loop: Header=BB319_11 Depth=1
	v_lshrrev_b32_e32 v8, 24, v30
	v_bfrev_b32_e32 v101, 1
	s_mov_b32 s22, exec_lo
	v_cmpx_ne_u32_e32 0x80, v8
	s_cbranch_execz .LBB319_170
; %bb.165:                              ;   in Loop: Header=BB319_11 Depth=1
	v_and_b32_e32 v2, 0x7f, v8
	v_mov_b32_e32 v101, 0x7c010000
	s_mov_b32 s23, exec_lo
	v_cmpx_ne_u32_e32 0x7f, v2
	s_cbranch_execz .LBB319_169
; %bb.166:                              ;   in Loop: Header=BB319_11 Depth=1
	v_and_b32_e32 v0, 7, v8
	v_lshrrev_b32_e32 v1, 3, v2
	s_mov_b32 s24, exec_lo
	v_cmpx_gt_u32_e32 8, v2
; %bb.167:                              ;   in Loop: Header=BB319_11 Depth=1
	v_ffbh_u32_e32 v0, v0
	v_min_u32_e32 v2, 32, v0
	v_subrev_nc_u32_e32 v0, 28, v2
	v_lshlrev_b64 v[0:1], v0, v[8:9]
	v_sub_nc_u32_e32 v1, 29, v2
	v_and_b32_e32 v0, 7, v0
; %bb.168:                              ;   in Loop: Header=BB319_11 Depth=1
	s_or_b32 exec_lo, exec_lo, s24
	v_lshlrev_b32_e32 v2, 8, v8
	v_lshl_add_u32 v1, v1, 10, 0x2000
	v_lshlrev_b32_e32 v0, 23, v0
	v_and_or_b32 v1, 0x8000, v2, v1
	v_lshl_or_b32 v101, v1, 16, v0
.LBB319_169:                            ;   in Loop: Header=BB319_11 Depth=1
	s_or_b32 exec_lo, exec_lo, s23
.LBB319_170:                            ;   in Loop: Header=BB319_11 Depth=1
	s_or_b32 exec_lo, exec_lo, s22
.LBB319_171:                            ;   in Loop: Header=BB319_11 Depth=1
	s_or_b32 exec_lo, exec_lo, s21
	v_mov_b32_e32 v8, v31
	v_cmp_ne_u16_sdwa s5, v31, v9 src0_sel:BYTE_0 src1_sel:DWORD
	s_and_saveexec_b32 s21, s5
	s_cbranch_execz .LBB319_179
; %bb.172:                              ;   in Loop: Header=BB319_11 Depth=1
	v_cmp_ne_u16_sdwa s5, v31, v51 src0_sel:BYTE_0 src1_sel:DWORD
	v_mov_b32_e32 v100, 0x8000
	s_and_saveexec_b32 s22, s5
	s_cbranch_execz .LBB319_178
; %bb.173:                              ;   in Loop: Header=BB319_11 Depth=1
	v_and_b32_e32 v2, 0x7f, v31
	v_mov_b32_e32 v100, 0x7c01
	s_mov_b32 s23, exec_lo
	v_cmpx_ne_u32_e32 0x7f, v2
	s_cbranch_execz .LBB319_177
; %bb.174:                              ;   in Loop: Header=BB319_11 Depth=1
	v_and_b32_e32 v0, 7, v31
	v_lshrrev_b32_e32 v1, 3, v2
	s_mov_b32 s24, exec_lo
	v_cmpx_gt_u32_e32 8, v2
; %bb.175:                              ;   in Loop: Header=BB319_11 Depth=1
	v_ffbh_u32_e32 v0, v0
	v_min_u32_e32 v2, 32, v0
	v_subrev_nc_u32_e32 v0, 28, v2
	v_lshlrev_b64 v[0:1], v0, v[8:9]
	v_sub_nc_u32_e32 v1, 29, v2
	v_and_b32_e32 v0, 7, v0
; %bb.176:                              ;   in Loop: Header=BB319_11 Depth=1
	s_or_b32 exec_lo, exec_lo, s24
	v_lshlrev_b32_e32 v2, 8, v31
	v_lshl_add_u32 v1, v1, 10, 0x2000
	v_lshlrev_b32_e32 v0, 7, v0
	v_and_b32_e32 v2, 0x8000, v2
	v_and_b32_e32 v1, 0xfc00, v1
	v_or3_b32 v100, v2, v1, v0
.LBB319_177:                            ;   in Loop: Header=BB319_11 Depth=1
	s_or_b32 exec_lo, exec_lo, s23
.LBB319_178:                            ;   in Loop: Header=BB319_11 Depth=1
	s_or_b32 exec_lo, exec_lo, s22
.LBB319_179:                            ;   in Loop: Header=BB319_11 Depth=1
	s_or_b32 exec_lo, exec_lo, s21
	v_lshrrev_b16 v8, 8, v8
	v_mov_b32_e32 v102, 0
	v_mov_b32_e32 v103, 0
	s_mov_b32 s21, exec_lo
	v_cmpx_ne_u16_e32 0, v8
	s_cbranch_execz .LBB319_187
; %bb.180:                              ;   in Loop: Header=BB319_11 Depth=1
	v_bfrev_b32_e32 v103, 1
	s_mov_b32 s22, exec_lo
	v_cmpx_ne_u16_e32 0x80, v8
	s_cbranch_execz .LBB319_186
; %bb.181:                              ;   in Loop: Header=BB319_11 Depth=1
	v_and_b32_sdwa v2, v8, v13 dst_sel:DWORD dst_unused:UNUSED_PAD src0_sel:WORD_0 src1_sel:DWORD
	v_mov_b32_e32 v103, 0x7c010000
	s_mov_b32 s23, exec_lo
	v_cmpx_ne_u32_e32 0x7f, v2
	s_cbranch_execz .LBB319_185
; %bb.182:                              ;   in Loop: Header=BB319_11 Depth=1
	v_mov_b32_e32 v0, 7
	v_lshrrev_b32_e32 v1, 3, v2
	s_mov_b32 s24, exec_lo
	v_and_b32_sdwa v0, v8, v0 dst_sel:DWORD dst_unused:UNUSED_PAD src0_sel:WORD_0 src1_sel:DWORD
	v_cmpx_gt_u32_e32 8, v2
; %bb.183:                              ;   in Loop: Header=BB319_11 Depth=1
	v_ffbh_u32_e32 v0, v0
	v_min_u32_e32 v2, 32, v0
	v_subrev_nc_u32_e32 v0, 28, v2
	v_lshlrev_b64 v[0:1], v0, v[8:9]
	v_sub_nc_u32_e32 v1, 29, v2
	v_and_b32_e32 v0, 7, v0
; %bb.184:                              ;   in Loop: Header=BB319_11 Depth=1
	s_or_b32 exec_lo, exec_lo, s24
	v_lshlrev_b32_sdwa v2, v25, v8 dst_sel:DWORD dst_unused:UNUSED_PAD src0_sel:DWORD src1_sel:WORD_0
	v_lshl_add_u32 v1, v1, 10, 0x2000
	v_lshlrev_b32_e32 v0, 23, v0
	v_and_or_b32 v1, 0x8000, v2, v1
	v_lshl_or_b32 v103, v1, 16, v0
.LBB319_185:                            ;   in Loop: Header=BB319_11 Depth=1
	s_or_b32 exec_lo, exec_lo, s23
.LBB319_186:                            ;   in Loop: Header=BB319_11 Depth=1
	s_or_b32 exec_lo, exec_lo, s22
.LBB319_187:                            ;   in Loop: Header=BB319_11 Depth=1
	s_or_b32 exec_lo, exec_lo, s21
	v_lshrrev_b32_e32 v8, 16, v31
	v_cmp_ne_u16_sdwa s5, v8, v9 src0_sel:BYTE_0 src1_sel:DWORD
	s_and_saveexec_b32 s21, s5
	s_cbranch_execz .LBB319_195
; %bb.188:                              ;   in Loop: Header=BB319_11 Depth=1
	v_cmp_ne_u16_sdwa s5, v8, v51 src0_sel:BYTE_0 src1_sel:DWORD
	v_mov_b32_e32 v102, 0x8000
	s_and_saveexec_b32 s22, s5
	s_cbranch_execz .LBB319_194
; %bb.189:                              ;   in Loop: Header=BB319_11 Depth=1
	v_bfe_u32 v2, v31, 16, 7
	v_mov_b32_e32 v102, 0x7c01
	s_mov_b32 s23, exec_lo
	v_cmpx_ne_u32_e32 0x7f, v2
	s_cbranch_execz .LBB319_193
; %bb.190:                              ;   in Loop: Header=BB319_11 Depth=1
	v_and_b32_e32 v0, 7, v8
	v_lshrrev_b32_e32 v1, 3, v2
	s_mov_b32 s24, exec_lo
	v_cmpx_gt_u32_e32 8, v2
; %bb.191:                              ;   in Loop: Header=BB319_11 Depth=1
	v_ffbh_u32_e32 v0, v0
	v_min_u32_e32 v2, 32, v0
	v_subrev_nc_u32_e32 v0, 28, v2
	v_lshlrev_b64 v[0:1], v0, v[8:9]
	v_sub_nc_u32_e32 v1, 29, v2
	v_and_b32_e32 v0, 7, v0
; %bb.192:                              ;   in Loop: Header=BB319_11 Depth=1
	s_or_b32 exec_lo, exec_lo, s24
	v_lshlrev_b32_e32 v2, 8, v8
	v_lshl_add_u32 v1, v1, 10, 0x2000
	v_lshlrev_b32_e32 v0, 7, v0
	v_and_b32_e32 v2, 0x8000, v2
	v_and_b32_e32 v1, 0xfc00, v1
	v_or3_b32 v102, v2, v1, v0
.LBB319_193:                            ;   in Loop: Header=BB319_11 Depth=1
	s_or_b32 exec_lo, exec_lo, s23
.LBB319_194:                            ;   in Loop: Header=BB319_11 Depth=1
	s_or_b32 exec_lo, exec_lo, s22
.LBB319_195:                            ;   in Loop: Header=BB319_11 Depth=1
	s_or_b32 exec_lo, exec_lo, s21
	v_mov_b32_e32 v113, 0
	v_mov_b32_e32 v112, 0
	s_mov_b32 s21, exec_lo
	v_cmpx_lt_u64_e64 s[6:7], v[30:31]
	s_cbranch_execz .LBB319_203
; %bb.196:                              ;   in Loop: Header=BB319_11 Depth=1
	v_lshrrev_b32_e32 v8, 24, v31
	v_bfrev_b32_e32 v112, 1
	s_mov_b32 s22, exec_lo
	v_cmpx_ne_u32_e32 0x80, v8
	s_cbranch_execz .LBB319_202
; %bb.197:                              ;   in Loop: Header=BB319_11 Depth=1
	v_and_b32_e32 v2, 0x7f, v8
	v_mov_b32_e32 v112, 0x7c010000
	s_mov_b32 s23, exec_lo
	v_cmpx_ne_u32_e32 0x7f, v2
	s_cbranch_execz .LBB319_201
; %bb.198:                              ;   in Loop: Header=BB319_11 Depth=1
	v_and_b32_e32 v0, 7, v8
	v_lshrrev_b32_e32 v1, 3, v2
	s_mov_b32 s24, exec_lo
	v_cmpx_gt_u32_e32 8, v2
; %bb.199:                              ;   in Loop: Header=BB319_11 Depth=1
	v_ffbh_u32_e32 v0, v0
	v_min_u32_e32 v2, 32, v0
	v_subrev_nc_u32_e32 v0, 28, v2
	v_lshlrev_b64 v[0:1], v0, v[8:9]
	v_sub_nc_u32_e32 v1, 29, v2
	v_and_b32_e32 v0, 7, v0
; %bb.200:                              ;   in Loop: Header=BB319_11 Depth=1
	s_or_b32 exec_lo, exec_lo, s24
	v_lshlrev_b32_e32 v2, 8, v8
	v_lshl_add_u32 v1, v1, 10, 0x2000
	v_lshlrev_b32_e32 v0, 23, v0
	v_and_or_b32 v1, 0x8000, v2, v1
	v_lshl_or_b32 v112, v1, 16, v0
.LBB319_201:                            ;   in Loop: Header=BB319_11 Depth=1
	s_or_b32 exec_lo, exec_lo, s23
.LBB319_202:                            ;   in Loop: Header=BB319_11 Depth=1
	s_or_b32 exec_lo, exec_lo, s22
.LBB319_203:                            ;   in Loop: Header=BB319_11 Depth=1
	s_or_b32 exec_lo, exec_lo, s21
	flat_load_dwordx2 v[30:31], v[28:29] offset:520
	s_waitcnt vmcnt(0) lgkmcnt(0)
	v_cmp_ne_u16_sdwa s5, v30, v9 src0_sel:BYTE_0 src1_sel:DWORD
	s_and_saveexec_b32 s21, s5
	s_cbranch_execz .LBB319_211
; %bb.204:                              ;   in Loop: Header=BB319_11 Depth=1
	v_cmp_ne_u16_sdwa s5, v30, v51 src0_sel:BYTE_0 src1_sel:DWORD
	v_mov_b32_e32 v113, 0x8000
	s_and_saveexec_b32 s22, s5
	s_cbranch_execz .LBB319_210
; %bb.205:                              ;   in Loop: Header=BB319_11 Depth=1
	v_and_b32_e32 v2, 0x7f, v30
	v_mov_b32_e32 v113, 0x7c01
	s_mov_b32 s23, exec_lo
	v_cmpx_ne_u32_e32 0x7f, v2
	s_cbranch_execz .LBB319_209
; %bb.206:                              ;   in Loop: Header=BB319_11 Depth=1
	v_and_b32_e32 v0, 7, v30
	v_lshrrev_b32_e32 v1, 3, v2
	s_mov_b32 s24, exec_lo
	v_cmpx_gt_u32_e32 8, v2
; %bb.207:                              ;   in Loop: Header=BB319_11 Depth=1
	v_ffbh_u32_e32 v0, v0
	v_min_u32_e32 v2, 32, v0
	v_subrev_nc_u32_e32 v0, 28, v2
	v_lshlrev_b64 v[0:1], v0, v[30:31]
	v_sub_nc_u32_e32 v1, 29, v2
	v_and_b32_e32 v0, 7, v0
; %bb.208:                              ;   in Loop: Header=BB319_11 Depth=1
	s_or_b32 exec_lo, exec_lo, s24
	v_lshlrev_b32_e32 v2, 8, v30
	v_lshl_add_u32 v1, v1, 10, 0x2000
	v_lshlrev_b32_e32 v0, 7, v0
	v_and_b32_e32 v2, 0x8000, v2
	v_and_b32_e32 v1, 0xfc00, v1
	v_or3_b32 v113, v2, v1, v0
.LBB319_209:                            ;   in Loop: Header=BB319_11 Depth=1
	s_or_b32 exec_lo, exec_lo, s23
.LBB319_210:                            ;   in Loop: Header=BB319_11 Depth=1
	s_or_b32 exec_lo, exec_lo, s22
.LBB319_211:                            ;   in Loop: Header=BB319_11 Depth=1
	s_or_b32 exec_lo, exec_lo, s21
	v_lshrrev_b16 v8, 8, v30
	v_mov_b32_e32 v115, 0
	v_mov_b32_e32 v114, 0
	s_mov_b32 s21, exec_lo
	v_cmpx_ne_u16_e32 0, v8
	s_cbranch_execz .LBB319_219
; %bb.212:                              ;   in Loop: Header=BB319_11 Depth=1
	v_bfrev_b32_e32 v114, 1
	s_mov_b32 s22, exec_lo
	v_cmpx_ne_u16_e32 0x80, v8
	s_cbranch_execz .LBB319_218
; %bb.213:                              ;   in Loop: Header=BB319_11 Depth=1
	v_and_b32_sdwa v2, v8, v13 dst_sel:DWORD dst_unused:UNUSED_PAD src0_sel:WORD_0 src1_sel:DWORD
	v_mov_b32_e32 v114, 0x7c010000
	s_mov_b32 s23, exec_lo
	v_cmpx_ne_u32_e32 0x7f, v2
	s_cbranch_execz .LBB319_217
; %bb.214:                              ;   in Loop: Header=BB319_11 Depth=1
	v_mov_b32_e32 v0, 7
	v_lshrrev_b32_e32 v1, 3, v2
	s_mov_b32 s24, exec_lo
	v_and_b32_sdwa v0, v8, v0 dst_sel:DWORD dst_unused:UNUSED_PAD src0_sel:WORD_0 src1_sel:DWORD
	v_cmpx_gt_u32_e32 8, v2
; %bb.215:                              ;   in Loop: Header=BB319_11 Depth=1
	v_ffbh_u32_e32 v0, v0
	v_min_u32_e32 v2, 32, v0
	v_subrev_nc_u32_e32 v0, 28, v2
	v_lshlrev_b64 v[0:1], v0, v[8:9]
	v_sub_nc_u32_e32 v1, 29, v2
	v_and_b32_e32 v0, 7, v0
; %bb.216:                              ;   in Loop: Header=BB319_11 Depth=1
	s_or_b32 exec_lo, exec_lo, s24
	v_lshlrev_b32_sdwa v2, v25, v8 dst_sel:DWORD dst_unused:UNUSED_PAD src0_sel:DWORD src1_sel:WORD_0
	v_lshl_add_u32 v1, v1, 10, 0x2000
	v_lshlrev_b32_e32 v0, 23, v0
	v_and_or_b32 v1, 0x8000, v2, v1
	v_lshl_or_b32 v114, v1, 16, v0
.LBB319_217:                            ;   in Loop: Header=BB319_11 Depth=1
	s_or_b32 exec_lo, exec_lo, s23
.LBB319_218:                            ;   in Loop: Header=BB319_11 Depth=1
	s_or_b32 exec_lo, exec_lo, s22
.LBB319_219:                            ;   in Loop: Header=BB319_11 Depth=1
	s_or_b32 exec_lo, exec_lo, s21
	v_lshrrev_b32_e32 v8, 16, v30
	v_cmp_ne_u16_sdwa s5, v8, v9 src0_sel:BYTE_0 src1_sel:DWORD
	s_and_saveexec_b32 s21, s5
	s_cbranch_execz .LBB319_227
; %bb.220:                              ;   in Loop: Header=BB319_11 Depth=1
	v_cmp_ne_u16_sdwa s5, v8, v51 src0_sel:BYTE_0 src1_sel:DWORD
	v_mov_b32_e32 v115, 0x8000
	s_and_saveexec_b32 s22, s5
	s_cbranch_execz .LBB319_226
; %bb.221:                              ;   in Loop: Header=BB319_11 Depth=1
	v_bfe_u32 v2, v30, 16, 7
	v_mov_b32_e32 v115, 0x7c01
	s_mov_b32 s23, exec_lo
	v_cmpx_ne_u32_e32 0x7f, v2
	s_cbranch_execz .LBB319_225
; %bb.222:                              ;   in Loop: Header=BB319_11 Depth=1
	v_and_b32_e32 v0, 7, v8
	v_lshrrev_b32_e32 v1, 3, v2
	s_mov_b32 s24, exec_lo
	v_cmpx_gt_u32_e32 8, v2
; %bb.223:                              ;   in Loop: Header=BB319_11 Depth=1
	v_ffbh_u32_e32 v0, v0
	v_min_u32_e32 v2, 32, v0
	v_subrev_nc_u32_e32 v0, 28, v2
	v_lshlrev_b64 v[0:1], v0, v[8:9]
	v_sub_nc_u32_e32 v1, 29, v2
	v_and_b32_e32 v0, 7, v0
; %bb.224:                              ;   in Loop: Header=BB319_11 Depth=1
	s_or_b32 exec_lo, exec_lo, s24
	v_lshlrev_b32_e32 v2, 8, v8
	v_lshl_add_u32 v1, v1, 10, 0x2000
	v_lshlrev_b32_e32 v0, 7, v0
	v_and_b32_e32 v2, 0x8000, v2
	v_and_b32_e32 v1, 0xfc00, v1
	v_or3_b32 v115, v2, v1, v0
.LBB319_225:                            ;   in Loop: Header=BB319_11 Depth=1
	s_or_b32 exec_lo, exec_lo, s23
.LBB319_226:                            ;   in Loop: Header=BB319_11 Depth=1
	s_or_b32 exec_lo, exec_lo, s22
.LBB319_227:                            ;   in Loop: Header=BB319_11 Depth=1
	s_or_b32 exec_lo, exec_lo, s21
	v_mov_b32_e32 v116, 0
	v_mov_b32_e32 v117, 0
	s_mov_b32 s21, exec_lo
	v_cmpx_lt_u32_e32 0xffffff, v30
	s_cbranch_execz .LBB319_235
; %bb.228:                              ;   in Loop: Header=BB319_11 Depth=1
	v_lshrrev_b32_e32 v8, 24, v30
	v_bfrev_b32_e32 v117, 1
	s_mov_b32 s22, exec_lo
	v_cmpx_ne_u32_e32 0x80, v8
	s_cbranch_execz .LBB319_234
; %bb.229:                              ;   in Loop: Header=BB319_11 Depth=1
	v_and_b32_e32 v2, 0x7f, v8
	v_mov_b32_e32 v117, 0x7c010000
	s_mov_b32 s23, exec_lo
	v_cmpx_ne_u32_e32 0x7f, v2
	s_cbranch_execz .LBB319_233
; %bb.230:                              ;   in Loop: Header=BB319_11 Depth=1
	v_and_b32_e32 v0, 7, v8
	v_lshrrev_b32_e32 v1, 3, v2
	s_mov_b32 s24, exec_lo
	v_cmpx_gt_u32_e32 8, v2
; %bb.231:                              ;   in Loop: Header=BB319_11 Depth=1
	v_ffbh_u32_e32 v0, v0
	v_min_u32_e32 v2, 32, v0
	v_subrev_nc_u32_e32 v0, 28, v2
	v_lshlrev_b64 v[0:1], v0, v[8:9]
	v_sub_nc_u32_e32 v1, 29, v2
	v_and_b32_e32 v0, 7, v0
; %bb.232:                              ;   in Loop: Header=BB319_11 Depth=1
	s_or_b32 exec_lo, exec_lo, s24
	v_lshlrev_b32_e32 v2, 8, v8
	v_lshl_add_u32 v1, v1, 10, 0x2000
	v_lshlrev_b32_e32 v0, 23, v0
	v_and_or_b32 v1, 0x8000, v2, v1
	v_lshl_or_b32 v117, v1, 16, v0
.LBB319_233:                            ;   in Loop: Header=BB319_11 Depth=1
	s_or_b32 exec_lo, exec_lo, s23
.LBB319_234:                            ;   in Loop: Header=BB319_11 Depth=1
	s_or_b32 exec_lo, exec_lo, s22
.LBB319_235:                            ;   in Loop: Header=BB319_11 Depth=1
	s_or_b32 exec_lo, exec_lo, s21
	v_mov_b32_e32 v8, v31
	v_cmp_ne_u16_sdwa s5, v31, v9 src0_sel:BYTE_0 src1_sel:DWORD
	s_and_saveexec_b32 s21, s5
	s_cbranch_execz .LBB319_243
; %bb.236:                              ;   in Loop: Header=BB319_11 Depth=1
	v_cmp_ne_u16_sdwa s5, v31, v51 src0_sel:BYTE_0 src1_sel:DWORD
	v_mov_b32_e32 v116, 0x8000
	s_and_saveexec_b32 s22, s5
	s_cbranch_execz .LBB319_242
; %bb.237:                              ;   in Loop: Header=BB319_11 Depth=1
	v_and_b32_e32 v2, 0x7f, v31
	v_mov_b32_e32 v116, 0x7c01
	s_mov_b32 s23, exec_lo
	v_cmpx_ne_u32_e32 0x7f, v2
	s_cbranch_execz .LBB319_241
; %bb.238:                              ;   in Loop: Header=BB319_11 Depth=1
	v_and_b32_e32 v0, 7, v31
	v_lshrrev_b32_e32 v1, 3, v2
	s_mov_b32 s24, exec_lo
	v_cmpx_gt_u32_e32 8, v2
; %bb.239:                              ;   in Loop: Header=BB319_11 Depth=1
	v_ffbh_u32_e32 v0, v0
	v_min_u32_e32 v2, 32, v0
	v_subrev_nc_u32_e32 v0, 28, v2
	v_lshlrev_b64 v[0:1], v0, v[8:9]
	v_sub_nc_u32_e32 v1, 29, v2
	v_and_b32_e32 v0, 7, v0
; %bb.240:                              ;   in Loop: Header=BB319_11 Depth=1
	s_or_b32 exec_lo, exec_lo, s24
	v_lshlrev_b32_e32 v2, 8, v31
	v_lshl_add_u32 v1, v1, 10, 0x2000
	v_lshlrev_b32_e32 v0, 7, v0
	v_and_b32_e32 v2, 0x8000, v2
	v_and_b32_e32 v1, 0xfc00, v1
	v_or3_b32 v116, v2, v1, v0
.LBB319_241:                            ;   in Loop: Header=BB319_11 Depth=1
	s_or_b32 exec_lo, exec_lo, s23
.LBB319_242:                            ;   in Loop: Header=BB319_11 Depth=1
	s_or_b32 exec_lo, exec_lo, s22
.LBB319_243:                            ;   in Loop: Header=BB319_11 Depth=1
	s_or_b32 exec_lo, exec_lo, s21
	v_lshrrev_b16 v8, 8, v8
	v_mov_b32_e32 v118, 0
	v_mov_b32_e32 v119, 0
	s_mov_b32 s21, exec_lo
	v_cmpx_ne_u16_e32 0, v8
	s_cbranch_execz .LBB319_251
; %bb.244:                              ;   in Loop: Header=BB319_11 Depth=1
	v_bfrev_b32_e32 v119, 1
	s_mov_b32 s22, exec_lo
	v_cmpx_ne_u16_e32 0x80, v8
	s_cbranch_execz .LBB319_250
; %bb.245:                              ;   in Loop: Header=BB319_11 Depth=1
	v_and_b32_sdwa v2, v8, v13 dst_sel:DWORD dst_unused:UNUSED_PAD src0_sel:WORD_0 src1_sel:DWORD
	v_mov_b32_e32 v119, 0x7c010000
	s_mov_b32 s23, exec_lo
	v_cmpx_ne_u32_e32 0x7f, v2
	s_cbranch_execz .LBB319_249
; %bb.246:                              ;   in Loop: Header=BB319_11 Depth=1
	v_mov_b32_e32 v0, 7
	v_lshrrev_b32_e32 v1, 3, v2
	s_mov_b32 s24, exec_lo
	v_and_b32_sdwa v0, v8, v0 dst_sel:DWORD dst_unused:UNUSED_PAD src0_sel:WORD_0 src1_sel:DWORD
	v_cmpx_gt_u32_e32 8, v2
; %bb.247:                              ;   in Loop: Header=BB319_11 Depth=1
	v_ffbh_u32_e32 v0, v0
	v_min_u32_e32 v2, 32, v0
	v_subrev_nc_u32_e32 v0, 28, v2
	v_lshlrev_b64 v[0:1], v0, v[8:9]
	v_sub_nc_u32_e32 v1, 29, v2
	v_and_b32_e32 v0, 7, v0
; %bb.248:                              ;   in Loop: Header=BB319_11 Depth=1
	s_or_b32 exec_lo, exec_lo, s24
	v_lshlrev_b32_sdwa v2, v25, v8 dst_sel:DWORD dst_unused:UNUSED_PAD src0_sel:DWORD src1_sel:WORD_0
	v_lshl_add_u32 v1, v1, 10, 0x2000
	v_lshlrev_b32_e32 v0, 23, v0
	v_and_or_b32 v1, 0x8000, v2, v1
	v_lshl_or_b32 v119, v1, 16, v0
.LBB319_249:                            ;   in Loop: Header=BB319_11 Depth=1
	s_or_b32 exec_lo, exec_lo, s23
.LBB319_250:                            ;   in Loop: Header=BB319_11 Depth=1
	s_or_b32 exec_lo, exec_lo, s22
.LBB319_251:                            ;   in Loop: Header=BB319_11 Depth=1
	s_or_b32 exec_lo, exec_lo, s21
	v_lshrrev_b32_e32 v8, 16, v31
	v_cmp_ne_u16_sdwa s5, v8, v9 src0_sel:BYTE_0 src1_sel:DWORD
	s_and_saveexec_b32 s21, s5
	s_cbranch_execz .LBB319_259
; %bb.252:                              ;   in Loop: Header=BB319_11 Depth=1
	v_cmp_ne_u16_sdwa s5, v8, v51 src0_sel:BYTE_0 src1_sel:DWORD
	v_mov_b32_e32 v118, 0x8000
	s_and_saveexec_b32 s22, s5
	s_cbranch_execz .LBB319_258
; %bb.253:                              ;   in Loop: Header=BB319_11 Depth=1
	v_bfe_u32 v2, v31, 16, 7
	v_mov_b32_e32 v118, 0x7c01
	s_mov_b32 s23, exec_lo
	v_cmpx_ne_u32_e32 0x7f, v2
	s_cbranch_execz .LBB319_257
; %bb.254:                              ;   in Loop: Header=BB319_11 Depth=1
	v_and_b32_e32 v0, 7, v8
	v_lshrrev_b32_e32 v1, 3, v2
	s_mov_b32 s24, exec_lo
	v_cmpx_gt_u32_e32 8, v2
; %bb.255:                              ;   in Loop: Header=BB319_11 Depth=1
	v_ffbh_u32_e32 v0, v0
	v_min_u32_e32 v2, 32, v0
	v_subrev_nc_u32_e32 v0, 28, v2
	v_lshlrev_b64 v[0:1], v0, v[8:9]
	v_sub_nc_u32_e32 v1, 29, v2
	v_and_b32_e32 v0, 7, v0
; %bb.256:                              ;   in Loop: Header=BB319_11 Depth=1
	s_or_b32 exec_lo, exec_lo, s24
	v_lshlrev_b32_e32 v2, 8, v8
	v_lshl_add_u32 v1, v1, 10, 0x2000
	v_lshlrev_b32_e32 v0, 7, v0
	v_and_b32_e32 v2, 0x8000, v2
	v_and_b32_e32 v1, 0xfc00, v1
	v_or3_b32 v118, v2, v1, v0
.LBB319_257:                            ;   in Loop: Header=BB319_11 Depth=1
	s_or_b32 exec_lo, exec_lo, s23
.LBB319_258:                            ;   in Loop: Header=BB319_11 Depth=1
	s_or_b32 exec_lo, exec_lo, s22
.LBB319_259:                            ;   in Loop: Header=BB319_11 Depth=1
	s_or_b32 exec_lo, exec_lo, s21
	v_mov_b32_e32 v41, 0
	v_mov_b32_e32 v40, 0
	s_mov_b32 s21, exec_lo
	v_cmpx_lt_u64_e64 s[6:7], v[30:31]
	s_cbranch_execz .LBB319_267
; %bb.260:                              ;   in Loop: Header=BB319_11 Depth=1
	v_lshrrev_b32_e32 v8, 24, v31
	v_bfrev_b32_e32 v40, 1
	s_mov_b32 s22, exec_lo
	v_cmpx_ne_u32_e32 0x80, v8
	s_cbranch_execz .LBB319_266
; %bb.261:                              ;   in Loop: Header=BB319_11 Depth=1
	v_and_b32_e32 v2, 0x7f, v8
	v_mov_b32_e32 v40, 0x7c010000
	s_mov_b32 s23, exec_lo
	v_cmpx_ne_u32_e32 0x7f, v2
	s_cbranch_execz .LBB319_265
; %bb.262:                              ;   in Loop: Header=BB319_11 Depth=1
	v_and_b32_e32 v0, 7, v8
	v_lshrrev_b32_e32 v1, 3, v2
	s_mov_b32 s24, exec_lo
	v_cmpx_gt_u32_e32 8, v2
; %bb.263:                              ;   in Loop: Header=BB319_11 Depth=1
	v_ffbh_u32_e32 v0, v0
	v_min_u32_e32 v2, 32, v0
	v_subrev_nc_u32_e32 v0, 28, v2
	v_lshlrev_b64 v[0:1], v0, v[8:9]
	v_sub_nc_u32_e32 v1, 29, v2
	v_and_b32_e32 v0, 7, v0
; %bb.264:                              ;   in Loop: Header=BB319_11 Depth=1
	s_or_b32 exec_lo, exec_lo, s24
	v_lshlrev_b32_e32 v2, 8, v8
	v_lshl_add_u32 v1, v1, 10, 0x2000
	v_lshlrev_b32_e32 v0, 23, v0
	v_and_or_b32 v1, 0x8000, v2, v1
	v_lshl_or_b32 v40, v1, 16, v0
.LBB319_265:                            ;   in Loop: Header=BB319_11 Depth=1
	s_or_b32 exec_lo, exec_lo, s23
.LBB319_266:                            ;   in Loop: Header=BB319_11 Depth=1
	s_or_b32 exec_lo, exec_lo, s22
.LBB319_267:                            ;   in Loop: Header=BB319_11 Depth=1
	s_or_b32 exec_lo, exec_lo, s21
	flat_load_dwordx2 v[30:31], v[28:29] offset:1024
	s_waitcnt vmcnt(0) lgkmcnt(0)
	v_cmp_ne_u16_sdwa s5, v30, v9 src0_sel:BYTE_0 src1_sel:DWORD
	s_and_saveexec_b32 s21, s5
	s_cbranch_execz .LBB319_275
; %bb.268:                              ;   in Loop: Header=BB319_11 Depth=1
	v_cmp_ne_u16_sdwa s5, v30, v51 src0_sel:BYTE_0 src1_sel:DWORD
	v_mov_b32_e32 v41, 0x8000
	s_and_saveexec_b32 s22, s5
	s_cbranch_execz .LBB319_274
; %bb.269:                              ;   in Loop: Header=BB319_11 Depth=1
	v_and_b32_e32 v2, 0x7f, v30
	v_mov_b32_e32 v41, 0x7c01
	s_mov_b32 s23, exec_lo
	v_cmpx_ne_u32_e32 0x7f, v2
	s_cbranch_execz .LBB319_273
; %bb.270:                              ;   in Loop: Header=BB319_11 Depth=1
	v_and_b32_e32 v0, 7, v30
	v_lshrrev_b32_e32 v1, 3, v2
	s_mov_b32 s24, exec_lo
	v_cmpx_gt_u32_e32 8, v2
; %bb.271:                              ;   in Loop: Header=BB319_11 Depth=1
	v_ffbh_u32_e32 v0, v0
	v_min_u32_e32 v2, 32, v0
	v_subrev_nc_u32_e32 v0, 28, v2
	v_lshlrev_b64 v[0:1], v0, v[30:31]
	v_sub_nc_u32_e32 v1, 29, v2
	v_and_b32_e32 v0, 7, v0
; %bb.272:                              ;   in Loop: Header=BB319_11 Depth=1
	s_or_b32 exec_lo, exec_lo, s24
	v_lshlrev_b32_e32 v2, 8, v30
	v_lshl_add_u32 v1, v1, 10, 0x2000
	v_lshlrev_b32_e32 v0, 7, v0
	v_and_b32_e32 v2, 0x8000, v2
	v_and_b32_e32 v1, 0xfc00, v1
	v_or3_b32 v41, v2, v1, v0
.LBB319_273:                            ;   in Loop: Header=BB319_11 Depth=1
	s_or_b32 exec_lo, exec_lo, s23
.LBB319_274:                            ;   in Loop: Header=BB319_11 Depth=1
	s_or_b32 exec_lo, exec_lo, s22
.LBB319_275:                            ;   in Loop: Header=BB319_11 Depth=1
	s_or_b32 exec_lo, exec_lo, s21
	v_lshrrev_b16 v8, 8, v30
	v_mov_b32_e32 v43, 0
	v_mov_b32_e32 v42, 0
	s_mov_b32 s21, exec_lo
	v_cmpx_ne_u16_e32 0, v8
	s_cbranch_execz .LBB319_283
; %bb.276:                              ;   in Loop: Header=BB319_11 Depth=1
	v_bfrev_b32_e32 v42, 1
	s_mov_b32 s22, exec_lo
	v_cmpx_ne_u16_e32 0x80, v8
	s_cbranch_execz .LBB319_282
; %bb.277:                              ;   in Loop: Header=BB319_11 Depth=1
	v_and_b32_sdwa v2, v8, v13 dst_sel:DWORD dst_unused:UNUSED_PAD src0_sel:WORD_0 src1_sel:DWORD
	v_mov_b32_e32 v42, 0x7c010000
	s_mov_b32 s23, exec_lo
	v_cmpx_ne_u32_e32 0x7f, v2
	s_cbranch_execz .LBB319_281
; %bb.278:                              ;   in Loop: Header=BB319_11 Depth=1
	v_mov_b32_e32 v0, 7
	v_lshrrev_b32_e32 v1, 3, v2
	s_mov_b32 s24, exec_lo
	v_and_b32_sdwa v0, v8, v0 dst_sel:DWORD dst_unused:UNUSED_PAD src0_sel:WORD_0 src1_sel:DWORD
	v_cmpx_gt_u32_e32 8, v2
; %bb.279:                              ;   in Loop: Header=BB319_11 Depth=1
	v_ffbh_u32_e32 v0, v0
	v_min_u32_e32 v2, 32, v0
	v_subrev_nc_u32_e32 v0, 28, v2
	v_lshlrev_b64 v[0:1], v0, v[8:9]
	v_sub_nc_u32_e32 v1, 29, v2
	v_and_b32_e32 v0, 7, v0
; %bb.280:                              ;   in Loop: Header=BB319_11 Depth=1
	s_or_b32 exec_lo, exec_lo, s24
	v_lshlrev_b32_sdwa v2, v25, v8 dst_sel:DWORD dst_unused:UNUSED_PAD src0_sel:DWORD src1_sel:WORD_0
	v_lshl_add_u32 v1, v1, 10, 0x2000
	v_lshlrev_b32_e32 v0, 23, v0
	v_and_or_b32 v1, 0x8000, v2, v1
	v_lshl_or_b32 v42, v1, 16, v0
.LBB319_281:                            ;   in Loop: Header=BB319_11 Depth=1
	s_or_b32 exec_lo, exec_lo, s23
.LBB319_282:                            ;   in Loop: Header=BB319_11 Depth=1
	s_or_b32 exec_lo, exec_lo, s22
.LBB319_283:                            ;   in Loop: Header=BB319_11 Depth=1
	s_or_b32 exec_lo, exec_lo, s21
	v_lshrrev_b32_e32 v8, 16, v30
	v_cmp_ne_u16_sdwa s5, v8, v9 src0_sel:BYTE_0 src1_sel:DWORD
	s_and_saveexec_b32 s21, s5
	s_cbranch_execz .LBB319_291
; %bb.284:                              ;   in Loop: Header=BB319_11 Depth=1
	v_cmp_ne_u16_sdwa s5, v8, v51 src0_sel:BYTE_0 src1_sel:DWORD
	v_mov_b32_e32 v43, 0x8000
	s_and_saveexec_b32 s22, s5
	s_cbranch_execz .LBB319_290
; %bb.285:                              ;   in Loop: Header=BB319_11 Depth=1
	v_bfe_u32 v2, v30, 16, 7
	v_mov_b32_e32 v43, 0x7c01
	s_mov_b32 s23, exec_lo
	v_cmpx_ne_u32_e32 0x7f, v2
	s_cbranch_execz .LBB319_289
; %bb.286:                              ;   in Loop: Header=BB319_11 Depth=1
	v_and_b32_e32 v0, 7, v8
	v_lshrrev_b32_e32 v1, 3, v2
	s_mov_b32 s24, exec_lo
	v_cmpx_gt_u32_e32 8, v2
; %bb.287:                              ;   in Loop: Header=BB319_11 Depth=1
	v_ffbh_u32_e32 v0, v0
	v_min_u32_e32 v2, 32, v0
	v_subrev_nc_u32_e32 v0, 28, v2
	v_lshlrev_b64 v[0:1], v0, v[8:9]
	v_sub_nc_u32_e32 v1, 29, v2
	v_and_b32_e32 v0, 7, v0
; %bb.288:                              ;   in Loop: Header=BB319_11 Depth=1
	s_or_b32 exec_lo, exec_lo, s24
	v_lshlrev_b32_e32 v2, 8, v8
	v_lshl_add_u32 v1, v1, 10, 0x2000
	v_lshlrev_b32_e32 v0, 7, v0
	v_and_b32_e32 v2, 0x8000, v2
	v_and_b32_e32 v1, 0xfc00, v1
	v_or3_b32 v43, v2, v1, v0
.LBB319_289:                            ;   in Loop: Header=BB319_11 Depth=1
	s_or_b32 exec_lo, exec_lo, s23
.LBB319_290:                            ;   in Loop: Header=BB319_11 Depth=1
	s_or_b32 exec_lo, exec_lo, s22
.LBB319_291:                            ;   in Loop: Header=BB319_11 Depth=1
	s_or_b32 exec_lo, exec_lo, s21
	v_mov_b32_e32 v44, 0
	v_mov_b32_e32 v45, 0
	s_mov_b32 s21, exec_lo
	v_cmpx_lt_u32_e32 0xffffff, v30
	s_cbranch_execz .LBB319_299
; %bb.292:                              ;   in Loop: Header=BB319_11 Depth=1
	v_lshrrev_b32_e32 v8, 24, v30
	v_bfrev_b32_e32 v45, 1
	s_mov_b32 s22, exec_lo
	v_cmpx_ne_u32_e32 0x80, v8
	s_cbranch_execz .LBB319_298
; %bb.293:                              ;   in Loop: Header=BB319_11 Depth=1
	v_and_b32_e32 v2, 0x7f, v8
	v_mov_b32_e32 v45, 0x7c010000
	s_mov_b32 s23, exec_lo
	v_cmpx_ne_u32_e32 0x7f, v2
	s_cbranch_execz .LBB319_297
; %bb.294:                              ;   in Loop: Header=BB319_11 Depth=1
	v_and_b32_e32 v0, 7, v8
	v_lshrrev_b32_e32 v1, 3, v2
	s_mov_b32 s24, exec_lo
	v_cmpx_gt_u32_e32 8, v2
; %bb.295:                              ;   in Loop: Header=BB319_11 Depth=1
	v_ffbh_u32_e32 v0, v0
	v_min_u32_e32 v2, 32, v0
	v_subrev_nc_u32_e32 v0, 28, v2
	v_lshlrev_b64 v[0:1], v0, v[8:9]
	v_sub_nc_u32_e32 v1, 29, v2
	v_and_b32_e32 v0, 7, v0
; %bb.296:                              ;   in Loop: Header=BB319_11 Depth=1
	s_or_b32 exec_lo, exec_lo, s24
	v_lshlrev_b32_e32 v2, 8, v8
	v_lshl_add_u32 v1, v1, 10, 0x2000
	v_lshlrev_b32_e32 v0, 23, v0
	v_and_or_b32 v1, 0x8000, v2, v1
	v_lshl_or_b32 v45, v1, 16, v0
.LBB319_297:                            ;   in Loop: Header=BB319_11 Depth=1
	s_or_b32 exec_lo, exec_lo, s23
.LBB319_298:                            ;   in Loop: Header=BB319_11 Depth=1
	s_or_b32 exec_lo, exec_lo, s22
.LBB319_299:                            ;   in Loop: Header=BB319_11 Depth=1
	s_or_b32 exec_lo, exec_lo, s21
	v_mov_b32_e32 v8, v31
	v_cmp_ne_u16_sdwa s5, v31, v9 src0_sel:BYTE_0 src1_sel:DWORD
	s_and_saveexec_b32 s21, s5
	s_cbranch_execz .LBB319_307
; %bb.300:                              ;   in Loop: Header=BB319_11 Depth=1
	v_cmp_ne_u16_sdwa s5, v31, v51 src0_sel:BYTE_0 src1_sel:DWORD
	v_mov_b32_e32 v44, 0x8000
	s_and_saveexec_b32 s22, s5
	s_cbranch_execz .LBB319_306
; %bb.301:                              ;   in Loop: Header=BB319_11 Depth=1
	v_and_b32_e32 v2, 0x7f, v31
	v_mov_b32_e32 v44, 0x7c01
	s_mov_b32 s23, exec_lo
	v_cmpx_ne_u32_e32 0x7f, v2
	s_cbranch_execz .LBB319_305
; %bb.302:                              ;   in Loop: Header=BB319_11 Depth=1
	v_and_b32_e32 v0, 7, v31
	v_lshrrev_b32_e32 v1, 3, v2
	s_mov_b32 s24, exec_lo
	v_cmpx_gt_u32_e32 8, v2
; %bb.303:                              ;   in Loop: Header=BB319_11 Depth=1
	v_ffbh_u32_e32 v0, v0
	v_min_u32_e32 v2, 32, v0
	v_subrev_nc_u32_e32 v0, 28, v2
	v_lshlrev_b64 v[0:1], v0, v[8:9]
	v_sub_nc_u32_e32 v1, 29, v2
	v_and_b32_e32 v0, 7, v0
; %bb.304:                              ;   in Loop: Header=BB319_11 Depth=1
	s_or_b32 exec_lo, exec_lo, s24
	v_lshlrev_b32_e32 v2, 8, v31
	v_lshl_add_u32 v1, v1, 10, 0x2000
	v_lshlrev_b32_e32 v0, 7, v0
	v_and_b32_e32 v2, 0x8000, v2
	v_and_b32_e32 v1, 0xfc00, v1
	v_or3_b32 v44, v2, v1, v0
.LBB319_305:                            ;   in Loop: Header=BB319_11 Depth=1
	s_or_b32 exec_lo, exec_lo, s23
.LBB319_306:                            ;   in Loop: Header=BB319_11 Depth=1
	s_or_b32 exec_lo, exec_lo, s22
.LBB319_307:                            ;   in Loop: Header=BB319_11 Depth=1
	s_or_b32 exec_lo, exec_lo, s21
	v_lshrrev_b16 v8, 8, v8
	v_mov_b32_e32 v46, 0
	v_mov_b32_e32 v47, 0
	s_mov_b32 s21, exec_lo
	v_cmpx_ne_u16_e32 0, v8
	s_cbranch_execz .LBB319_315
; %bb.308:                              ;   in Loop: Header=BB319_11 Depth=1
	v_bfrev_b32_e32 v47, 1
	s_mov_b32 s22, exec_lo
	v_cmpx_ne_u16_e32 0x80, v8
	s_cbranch_execz .LBB319_314
; %bb.309:                              ;   in Loop: Header=BB319_11 Depth=1
	v_and_b32_sdwa v2, v8, v13 dst_sel:DWORD dst_unused:UNUSED_PAD src0_sel:WORD_0 src1_sel:DWORD
	v_mov_b32_e32 v47, 0x7c010000
	s_mov_b32 s23, exec_lo
	v_cmpx_ne_u32_e32 0x7f, v2
	s_cbranch_execz .LBB319_313
; %bb.310:                              ;   in Loop: Header=BB319_11 Depth=1
	v_mov_b32_e32 v0, 7
	v_lshrrev_b32_e32 v1, 3, v2
	s_mov_b32 s24, exec_lo
	v_and_b32_sdwa v0, v8, v0 dst_sel:DWORD dst_unused:UNUSED_PAD src0_sel:WORD_0 src1_sel:DWORD
	v_cmpx_gt_u32_e32 8, v2
; %bb.311:                              ;   in Loop: Header=BB319_11 Depth=1
	v_ffbh_u32_e32 v0, v0
	v_min_u32_e32 v2, 32, v0
	v_subrev_nc_u32_e32 v0, 28, v2
	v_lshlrev_b64 v[0:1], v0, v[8:9]
	v_sub_nc_u32_e32 v1, 29, v2
	v_and_b32_e32 v0, 7, v0
; %bb.312:                              ;   in Loop: Header=BB319_11 Depth=1
	s_or_b32 exec_lo, exec_lo, s24
	v_lshlrev_b32_sdwa v2, v25, v8 dst_sel:DWORD dst_unused:UNUSED_PAD src0_sel:DWORD src1_sel:WORD_0
	v_lshl_add_u32 v1, v1, 10, 0x2000
	v_lshlrev_b32_e32 v0, 23, v0
	v_and_or_b32 v1, 0x8000, v2, v1
	v_lshl_or_b32 v47, v1, 16, v0
.LBB319_313:                            ;   in Loop: Header=BB319_11 Depth=1
	s_or_b32 exec_lo, exec_lo, s23
.LBB319_314:                            ;   in Loop: Header=BB319_11 Depth=1
	s_or_b32 exec_lo, exec_lo, s22
.LBB319_315:                            ;   in Loop: Header=BB319_11 Depth=1
	s_or_b32 exec_lo, exec_lo, s21
	v_lshrrev_b32_e32 v8, 16, v31
	v_cmp_ne_u16_sdwa s5, v8, v9 src0_sel:BYTE_0 src1_sel:DWORD
	s_and_saveexec_b32 s21, s5
	s_cbranch_execz .LBB319_323
; %bb.316:                              ;   in Loop: Header=BB319_11 Depth=1
	v_cmp_ne_u16_sdwa s5, v8, v51 src0_sel:BYTE_0 src1_sel:DWORD
	v_mov_b32_e32 v46, 0x8000
	s_and_saveexec_b32 s22, s5
	s_cbranch_execz .LBB319_322
; %bb.317:                              ;   in Loop: Header=BB319_11 Depth=1
	v_bfe_u32 v2, v31, 16, 7
	v_mov_b32_e32 v46, 0x7c01
	s_mov_b32 s23, exec_lo
	v_cmpx_ne_u32_e32 0x7f, v2
	s_cbranch_execz .LBB319_321
; %bb.318:                              ;   in Loop: Header=BB319_11 Depth=1
	v_and_b32_e32 v0, 7, v8
	v_lshrrev_b32_e32 v1, 3, v2
	s_mov_b32 s24, exec_lo
	v_cmpx_gt_u32_e32 8, v2
; %bb.319:                              ;   in Loop: Header=BB319_11 Depth=1
	v_ffbh_u32_e32 v0, v0
	v_min_u32_e32 v2, 32, v0
	v_subrev_nc_u32_e32 v0, 28, v2
	v_lshlrev_b64 v[0:1], v0, v[8:9]
	v_sub_nc_u32_e32 v1, 29, v2
	v_and_b32_e32 v0, 7, v0
; %bb.320:                              ;   in Loop: Header=BB319_11 Depth=1
	s_or_b32 exec_lo, exec_lo, s24
	v_lshlrev_b32_e32 v2, 8, v8
	v_lshl_add_u32 v1, v1, 10, 0x2000
	v_lshlrev_b32_e32 v0, 7, v0
	v_and_b32_e32 v2, 0x8000, v2
	v_and_b32_e32 v1, 0xfc00, v1
	v_or3_b32 v46, v2, v1, v0
.LBB319_321:                            ;   in Loop: Header=BB319_11 Depth=1
	s_or_b32 exec_lo, exec_lo, s23
.LBB319_322:                            ;   in Loop: Header=BB319_11 Depth=1
	s_or_b32 exec_lo, exec_lo, s22
.LBB319_323:                            ;   in Loop: Header=BB319_11 Depth=1
	s_or_b32 exec_lo, exec_lo, s21
	v_mov_b32_e32 v57, 0
	v_mov_b32_e32 v56, 0
	s_mov_b32 s21, exec_lo
	v_cmpx_lt_u64_e64 s[6:7], v[30:31]
	s_cbranch_execz .LBB319_331
; %bb.324:                              ;   in Loop: Header=BB319_11 Depth=1
	v_lshrrev_b32_e32 v8, 24, v31
	v_bfrev_b32_e32 v56, 1
	s_mov_b32 s22, exec_lo
	v_cmpx_ne_u32_e32 0x80, v8
	s_cbranch_execz .LBB319_330
; %bb.325:                              ;   in Loop: Header=BB319_11 Depth=1
	v_and_b32_e32 v2, 0x7f, v8
	v_mov_b32_e32 v56, 0x7c010000
	s_mov_b32 s23, exec_lo
	v_cmpx_ne_u32_e32 0x7f, v2
	s_cbranch_execz .LBB319_329
; %bb.326:                              ;   in Loop: Header=BB319_11 Depth=1
	v_and_b32_e32 v0, 7, v8
	v_lshrrev_b32_e32 v1, 3, v2
	s_mov_b32 s24, exec_lo
	v_cmpx_gt_u32_e32 8, v2
; %bb.327:                              ;   in Loop: Header=BB319_11 Depth=1
	v_ffbh_u32_e32 v0, v0
	v_min_u32_e32 v2, 32, v0
	v_subrev_nc_u32_e32 v0, 28, v2
	v_lshlrev_b64 v[0:1], v0, v[8:9]
	v_sub_nc_u32_e32 v1, 29, v2
	v_and_b32_e32 v0, 7, v0
; %bb.328:                              ;   in Loop: Header=BB319_11 Depth=1
	s_or_b32 exec_lo, exec_lo, s24
	v_lshlrev_b32_e32 v2, 8, v8
	v_lshl_add_u32 v1, v1, 10, 0x2000
	v_lshlrev_b32_e32 v0, 23, v0
	v_and_or_b32 v1, 0x8000, v2, v1
	v_lshl_or_b32 v56, v1, 16, v0
.LBB319_329:                            ;   in Loop: Header=BB319_11 Depth=1
	s_or_b32 exec_lo, exec_lo, s23
.LBB319_330:                            ;   in Loop: Header=BB319_11 Depth=1
	s_or_b32 exec_lo, exec_lo, s22
.LBB319_331:                            ;   in Loop: Header=BB319_11 Depth=1
	s_or_b32 exec_lo, exec_lo, s21
	flat_load_dwordx2 v[30:31], v[28:29] offset:1032
	s_waitcnt vmcnt(0) lgkmcnt(0)
	v_cmp_ne_u16_sdwa s5, v30, v9 src0_sel:BYTE_0 src1_sel:DWORD
	s_and_saveexec_b32 s21, s5
	s_cbranch_execz .LBB319_339
; %bb.332:                              ;   in Loop: Header=BB319_11 Depth=1
	v_cmp_ne_u16_sdwa s5, v30, v51 src0_sel:BYTE_0 src1_sel:DWORD
	v_mov_b32_e32 v57, 0x8000
	s_and_saveexec_b32 s22, s5
	s_cbranch_execz .LBB319_338
; %bb.333:                              ;   in Loop: Header=BB319_11 Depth=1
	v_and_b32_e32 v2, 0x7f, v30
	v_mov_b32_e32 v57, 0x7c01
	s_mov_b32 s23, exec_lo
	v_cmpx_ne_u32_e32 0x7f, v2
	s_cbranch_execz .LBB319_337
; %bb.334:                              ;   in Loop: Header=BB319_11 Depth=1
	v_and_b32_e32 v0, 7, v30
	v_lshrrev_b32_e32 v1, 3, v2
	s_mov_b32 s24, exec_lo
	v_cmpx_gt_u32_e32 8, v2
; %bb.335:                              ;   in Loop: Header=BB319_11 Depth=1
	v_ffbh_u32_e32 v0, v0
	v_min_u32_e32 v2, 32, v0
	v_subrev_nc_u32_e32 v0, 28, v2
	v_lshlrev_b64 v[0:1], v0, v[30:31]
	v_sub_nc_u32_e32 v1, 29, v2
	v_and_b32_e32 v0, 7, v0
; %bb.336:                              ;   in Loop: Header=BB319_11 Depth=1
	s_or_b32 exec_lo, exec_lo, s24
	v_lshlrev_b32_e32 v2, 8, v30
	v_lshl_add_u32 v1, v1, 10, 0x2000
	v_lshlrev_b32_e32 v0, 7, v0
	v_and_b32_e32 v2, 0x8000, v2
	v_and_b32_e32 v1, 0xfc00, v1
	v_or3_b32 v57, v2, v1, v0
.LBB319_337:                            ;   in Loop: Header=BB319_11 Depth=1
	s_or_b32 exec_lo, exec_lo, s23
.LBB319_338:                            ;   in Loop: Header=BB319_11 Depth=1
	s_or_b32 exec_lo, exec_lo, s22
.LBB319_339:                            ;   in Loop: Header=BB319_11 Depth=1
	s_or_b32 exec_lo, exec_lo, s21
	v_lshrrev_b16 v8, 8, v30
	v_mov_b32_e32 v61, 0
	v_mov_b32_e32 v60, 0
	s_mov_b32 s21, exec_lo
	v_cmpx_ne_u16_e32 0, v8
	s_cbranch_execz .LBB319_347
; %bb.340:                              ;   in Loop: Header=BB319_11 Depth=1
	v_bfrev_b32_e32 v60, 1
	s_mov_b32 s22, exec_lo
	v_cmpx_ne_u16_e32 0x80, v8
	s_cbranch_execz .LBB319_346
; %bb.341:                              ;   in Loop: Header=BB319_11 Depth=1
	v_and_b32_sdwa v2, v8, v13 dst_sel:DWORD dst_unused:UNUSED_PAD src0_sel:WORD_0 src1_sel:DWORD
	v_mov_b32_e32 v60, 0x7c010000
	s_mov_b32 s23, exec_lo
	v_cmpx_ne_u32_e32 0x7f, v2
	s_cbranch_execz .LBB319_345
; %bb.342:                              ;   in Loop: Header=BB319_11 Depth=1
	v_mov_b32_e32 v0, 7
	v_lshrrev_b32_e32 v1, 3, v2
	s_mov_b32 s24, exec_lo
	v_and_b32_sdwa v0, v8, v0 dst_sel:DWORD dst_unused:UNUSED_PAD src0_sel:WORD_0 src1_sel:DWORD
	v_cmpx_gt_u32_e32 8, v2
; %bb.343:                              ;   in Loop: Header=BB319_11 Depth=1
	v_ffbh_u32_e32 v0, v0
	v_min_u32_e32 v2, 32, v0
	v_subrev_nc_u32_e32 v0, 28, v2
	v_lshlrev_b64 v[0:1], v0, v[8:9]
	v_sub_nc_u32_e32 v1, 29, v2
	v_and_b32_e32 v0, 7, v0
; %bb.344:                              ;   in Loop: Header=BB319_11 Depth=1
	s_or_b32 exec_lo, exec_lo, s24
	v_lshlrev_b32_sdwa v2, v25, v8 dst_sel:DWORD dst_unused:UNUSED_PAD src0_sel:DWORD src1_sel:WORD_0
	v_lshl_add_u32 v1, v1, 10, 0x2000
	v_lshlrev_b32_e32 v0, 23, v0
	v_and_or_b32 v1, 0x8000, v2, v1
	v_lshl_or_b32 v60, v1, 16, v0
.LBB319_345:                            ;   in Loop: Header=BB319_11 Depth=1
	s_or_b32 exec_lo, exec_lo, s23
.LBB319_346:                            ;   in Loop: Header=BB319_11 Depth=1
	s_or_b32 exec_lo, exec_lo, s22
.LBB319_347:                            ;   in Loop: Header=BB319_11 Depth=1
	s_or_b32 exec_lo, exec_lo, s21
	v_lshrrev_b32_e32 v8, 16, v30
	v_cmp_ne_u16_sdwa s5, v8, v9 src0_sel:BYTE_0 src1_sel:DWORD
	s_and_saveexec_b32 s21, s5
	s_cbranch_execz .LBB319_355
; %bb.348:                              ;   in Loop: Header=BB319_11 Depth=1
	v_cmp_ne_u16_sdwa s5, v8, v51 src0_sel:BYTE_0 src1_sel:DWORD
	v_mov_b32_e32 v61, 0x8000
	s_and_saveexec_b32 s22, s5
	s_cbranch_execz .LBB319_354
; %bb.349:                              ;   in Loop: Header=BB319_11 Depth=1
	v_bfe_u32 v2, v30, 16, 7
	v_mov_b32_e32 v61, 0x7c01
	s_mov_b32 s23, exec_lo
	v_cmpx_ne_u32_e32 0x7f, v2
	s_cbranch_execz .LBB319_353
; %bb.350:                              ;   in Loop: Header=BB319_11 Depth=1
	v_and_b32_e32 v0, 7, v8
	v_lshrrev_b32_e32 v1, 3, v2
	s_mov_b32 s24, exec_lo
	v_cmpx_gt_u32_e32 8, v2
; %bb.351:                              ;   in Loop: Header=BB319_11 Depth=1
	v_ffbh_u32_e32 v0, v0
	v_min_u32_e32 v2, 32, v0
	v_subrev_nc_u32_e32 v0, 28, v2
	v_lshlrev_b64 v[0:1], v0, v[8:9]
	v_sub_nc_u32_e32 v1, 29, v2
	v_and_b32_e32 v0, 7, v0
; %bb.352:                              ;   in Loop: Header=BB319_11 Depth=1
	s_or_b32 exec_lo, exec_lo, s24
	v_lshlrev_b32_e32 v2, 8, v8
	v_lshl_add_u32 v1, v1, 10, 0x2000
	v_lshlrev_b32_e32 v0, 7, v0
	v_and_b32_e32 v2, 0x8000, v2
	v_and_b32_e32 v1, 0xfc00, v1
	v_or3_b32 v61, v2, v1, v0
.LBB319_353:                            ;   in Loop: Header=BB319_11 Depth=1
	s_or_b32 exec_lo, exec_lo, s23
.LBB319_354:                            ;   in Loop: Header=BB319_11 Depth=1
	s_or_b32 exec_lo, exec_lo, s22
.LBB319_355:                            ;   in Loop: Header=BB319_11 Depth=1
	s_or_b32 exec_lo, exec_lo, s21
	v_mov_b32_e32 v62, 0
	v_mov_b32_e32 v63, 0
	s_mov_b32 s21, exec_lo
	v_cmpx_lt_u32_e32 0xffffff, v30
	s_cbranch_execz .LBB319_363
; %bb.356:                              ;   in Loop: Header=BB319_11 Depth=1
	v_lshrrev_b32_e32 v8, 24, v30
	v_bfrev_b32_e32 v63, 1
	s_mov_b32 s22, exec_lo
	v_cmpx_ne_u32_e32 0x80, v8
	s_cbranch_execz .LBB319_362
; %bb.357:                              ;   in Loop: Header=BB319_11 Depth=1
	v_and_b32_e32 v2, 0x7f, v8
	v_mov_b32_e32 v63, 0x7c010000
	s_mov_b32 s23, exec_lo
	v_cmpx_ne_u32_e32 0x7f, v2
	s_cbranch_execz .LBB319_361
; %bb.358:                              ;   in Loop: Header=BB319_11 Depth=1
	v_and_b32_e32 v0, 7, v8
	v_lshrrev_b32_e32 v1, 3, v2
	s_mov_b32 s24, exec_lo
	v_cmpx_gt_u32_e32 8, v2
; %bb.359:                              ;   in Loop: Header=BB319_11 Depth=1
	v_ffbh_u32_e32 v0, v0
	v_min_u32_e32 v2, 32, v0
	v_subrev_nc_u32_e32 v0, 28, v2
	v_lshlrev_b64 v[0:1], v0, v[8:9]
	v_sub_nc_u32_e32 v1, 29, v2
	v_and_b32_e32 v0, 7, v0
; %bb.360:                              ;   in Loop: Header=BB319_11 Depth=1
	s_or_b32 exec_lo, exec_lo, s24
	v_lshlrev_b32_e32 v2, 8, v8
	v_lshl_add_u32 v1, v1, 10, 0x2000
	v_lshlrev_b32_e32 v0, 23, v0
	v_and_or_b32 v1, 0x8000, v2, v1
	v_lshl_or_b32 v63, v1, 16, v0
.LBB319_361:                            ;   in Loop: Header=BB319_11 Depth=1
	s_or_b32 exec_lo, exec_lo, s23
.LBB319_362:                            ;   in Loop: Header=BB319_11 Depth=1
	s_or_b32 exec_lo, exec_lo, s22
.LBB319_363:                            ;   in Loop: Header=BB319_11 Depth=1
	s_or_b32 exec_lo, exec_lo, s21
	v_mov_b32_e32 v8, v31
	v_cmp_ne_u16_sdwa s5, v31, v9 src0_sel:BYTE_0 src1_sel:DWORD
	s_and_saveexec_b32 s21, s5
	s_cbranch_execz .LBB319_371
; %bb.364:                              ;   in Loop: Header=BB319_11 Depth=1
	v_cmp_ne_u16_sdwa s5, v31, v51 src0_sel:BYTE_0 src1_sel:DWORD
	v_mov_b32_e32 v62, 0x8000
	s_and_saveexec_b32 s22, s5
	s_cbranch_execz .LBB319_370
; %bb.365:                              ;   in Loop: Header=BB319_11 Depth=1
	v_and_b32_e32 v2, 0x7f, v31
	v_mov_b32_e32 v62, 0x7c01
	s_mov_b32 s23, exec_lo
	v_cmpx_ne_u32_e32 0x7f, v2
	s_cbranch_execz .LBB319_369
; %bb.366:                              ;   in Loop: Header=BB319_11 Depth=1
	v_and_b32_e32 v0, 7, v31
	v_lshrrev_b32_e32 v1, 3, v2
	s_mov_b32 s24, exec_lo
	v_cmpx_gt_u32_e32 8, v2
; %bb.367:                              ;   in Loop: Header=BB319_11 Depth=1
	v_ffbh_u32_e32 v0, v0
	v_min_u32_e32 v2, 32, v0
	v_subrev_nc_u32_e32 v0, 28, v2
	v_lshlrev_b64 v[0:1], v0, v[8:9]
	v_sub_nc_u32_e32 v1, 29, v2
	v_and_b32_e32 v0, 7, v0
; %bb.368:                              ;   in Loop: Header=BB319_11 Depth=1
	s_or_b32 exec_lo, exec_lo, s24
	v_lshlrev_b32_e32 v2, 8, v31
	v_lshl_add_u32 v1, v1, 10, 0x2000
	v_lshlrev_b32_e32 v0, 7, v0
	v_and_b32_e32 v2, 0x8000, v2
	v_and_b32_e32 v1, 0xfc00, v1
	v_or3_b32 v62, v2, v1, v0
.LBB319_369:                            ;   in Loop: Header=BB319_11 Depth=1
	s_or_b32 exec_lo, exec_lo, s23
.LBB319_370:                            ;   in Loop: Header=BB319_11 Depth=1
	s_or_b32 exec_lo, exec_lo, s22
.LBB319_371:                            ;   in Loop: Header=BB319_11 Depth=1
	s_or_b32 exec_lo, exec_lo, s21
	v_lshrrev_b16 v8, 8, v8
	v_mov_b32_e32 v76, 0
	v_mov_b32_e32 v77, 0
	s_mov_b32 s21, exec_lo
	v_cmpx_ne_u16_e32 0, v8
	s_cbranch_execz .LBB319_379
; %bb.372:                              ;   in Loop: Header=BB319_11 Depth=1
	v_bfrev_b32_e32 v77, 1
	s_mov_b32 s22, exec_lo
	v_cmpx_ne_u16_e32 0x80, v8
	s_cbranch_execz .LBB319_378
; %bb.373:                              ;   in Loop: Header=BB319_11 Depth=1
	v_and_b32_sdwa v2, v8, v13 dst_sel:DWORD dst_unused:UNUSED_PAD src0_sel:WORD_0 src1_sel:DWORD
	v_mov_b32_e32 v77, 0x7c010000
	s_mov_b32 s23, exec_lo
	v_cmpx_ne_u32_e32 0x7f, v2
	s_cbranch_execz .LBB319_377
; %bb.374:                              ;   in Loop: Header=BB319_11 Depth=1
	v_mov_b32_e32 v0, 7
	v_lshrrev_b32_e32 v1, 3, v2
	s_mov_b32 s24, exec_lo
	v_and_b32_sdwa v0, v8, v0 dst_sel:DWORD dst_unused:UNUSED_PAD src0_sel:WORD_0 src1_sel:DWORD
	v_cmpx_gt_u32_e32 8, v2
; %bb.375:                              ;   in Loop: Header=BB319_11 Depth=1
	v_ffbh_u32_e32 v0, v0
	v_min_u32_e32 v2, 32, v0
	v_subrev_nc_u32_e32 v0, 28, v2
	v_lshlrev_b64 v[0:1], v0, v[8:9]
	v_sub_nc_u32_e32 v1, 29, v2
	v_and_b32_e32 v0, 7, v0
; %bb.376:                              ;   in Loop: Header=BB319_11 Depth=1
	s_or_b32 exec_lo, exec_lo, s24
	v_lshlrev_b32_sdwa v2, v25, v8 dst_sel:DWORD dst_unused:UNUSED_PAD src0_sel:DWORD src1_sel:WORD_0
	v_lshl_add_u32 v1, v1, 10, 0x2000
	v_lshlrev_b32_e32 v0, 23, v0
	v_and_or_b32 v1, 0x8000, v2, v1
	v_lshl_or_b32 v77, v1, 16, v0
.LBB319_377:                            ;   in Loop: Header=BB319_11 Depth=1
	s_or_b32 exec_lo, exec_lo, s23
.LBB319_378:                            ;   in Loop: Header=BB319_11 Depth=1
	s_or_b32 exec_lo, exec_lo, s22
.LBB319_379:                            ;   in Loop: Header=BB319_11 Depth=1
	s_or_b32 exec_lo, exec_lo, s21
	v_lshrrev_b32_e32 v8, 16, v31
	v_cmp_ne_u16_sdwa s5, v8, v9 src0_sel:BYTE_0 src1_sel:DWORD
	s_and_saveexec_b32 s21, s5
	s_cbranch_execz .LBB319_387
; %bb.380:                              ;   in Loop: Header=BB319_11 Depth=1
	v_cmp_ne_u16_sdwa s5, v8, v51 src0_sel:BYTE_0 src1_sel:DWORD
	v_mov_b32_e32 v76, 0x8000
	s_and_saveexec_b32 s22, s5
	s_cbranch_execz .LBB319_386
; %bb.381:                              ;   in Loop: Header=BB319_11 Depth=1
	v_bfe_u32 v2, v31, 16, 7
	v_mov_b32_e32 v76, 0x7c01
	s_mov_b32 s23, exec_lo
	v_cmpx_ne_u32_e32 0x7f, v2
	s_cbranch_execz .LBB319_385
; %bb.382:                              ;   in Loop: Header=BB319_11 Depth=1
	v_and_b32_e32 v0, 7, v8
	v_lshrrev_b32_e32 v1, 3, v2
	s_mov_b32 s24, exec_lo
	v_cmpx_gt_u32_e32 8, v2
; %bb.383:                              ;   in Loop: Header=BB319_11 Depth=1
	v_ffbh_u32_e32 v0, v0
	v_min_u32_e32 v2, 32, v0
	v_subrev_nc_u32_e32 v0, 28, v2
	v_lshlrev_b64 v[0:1], v0, v[8:9]
	v_sub_nc_u32_e32 v1, 29, v2
	v_and_b32_e32 v0, 7, v0
; %bb.384:                              ;   in Loop: Header=BB319_11 Depth=1
	s_or_b32 exec_lo, exec_lo, s24
	v_lshlrev_b32_e32 v2, 8, v8
	v_lshl_add_u32 v1, v1, 10, 0x2000
	v_lshlrev_b32_e32 v0, 7, v0
	v_and_b32_e32 v2, 0x8000, v2
	v_and_b32_e32 v1, 0xfc00, v1
	v_or3_b32 v76, v2, v1, v0
.LBB319_385:                            ;   in Loop: Header=BB319_11 Depth=1
	s_or_b32 exec_lo, exec_lo, s23
.LBB319_386:                            ;   in Loop: Header=BB319_11 Depth=1
	s_or_b32 exec_lo, exec_lo, s22
.LBB319_387:                            ;   in Loop: Header=BB319_11 Depth=1
	s_or_b32 exec_lo, exec_lo, s21
	v_mov_b32_e32 v91, 0
	v_mov_b32_e32 v90, 0
	s_mov_b32 s21, exec_lo
	v_cmpx_lt_u64_e64 s[6:7], v[30:31]
	s_cbranch_execz .LBB319_395
; %bb.388:                              ;   in Loop: Header=BB319_11 Depth=1
	v_lshrrev_b32_e32 v8, 24, v31
	v_bfrev_b32_e32 v90, 1
	s_mov_b32 s22, exec_lo
	v_cmpx_ne_u32_e32 0x80, v8
	s_cbranch_execz .LBB319_394
; %bb.389:                              ;   in Loop: Header=BB319_11 Depth=1
	v_and_b32_e32 v2, 0x7f, v8
	v_mov_b32_e32 v90, 0x7c010000
	s_mov_b32 s23, exec_lo
	v_cmpx_ne_u32_e32 0x7f, v2
	s_cbranch_execz .LBB319_393
; %bb.390:                              ;   in Loop: Header=BB319_11 Depth=1
	v_and_b32_e32 v0, 7, v8
	v_lshrrev_b32_e32 v1, 3, v2
	s_mov_b32 s24, exec_lo
	v_cmpx_gt_u32_e32 8, v2
; %bb.391:                              ;   in Loop: Header=BB319_11 Depth=1
	v_ffbh_u32_e32 v0, v0
	v_min_u32_e32 v2, 32, v0
	v_subrev_nc_u32_e32 v0, 28, v2
	v_lshlrev_b64 v[0:1], v0, v[8:9]
	v_sub_nc_u32_e32 v1, 29, v2
	v_and_b32_e32 v0, 7, v0
; %bb.392:                              ;   in Loop: Header=BB319_11 Depth=1
	s_or_b32 exec_lo, exec_lo, s24
	v_lshlrev_b32_e32 v2, 8, v8
	v_lshl_add_u32 v1, v1, 10, 0x2000
	v_lshlrev_b32_e32 v0, 23, v0
	v_and_or_b32 v1, 0x8000, v2, v1
	v_lshl_or_b32 v90, v1, 16, v0
.LBB319_393:                            ;   in Loop: Header=BB319_11 Depth=1
	s_or_b32 exec_lo, exec_lo, s23
.LBB319_394:                            ;   in Loop: Header=BB319_11 Depth=1
	s_or_b32 exec_lo, exec_lo, s22
.LBB319_395:                            ;   in Loop: Header=BB319_11 Depth=1
	s_or_b32 exec_lo, exec_lo, s21
	flat_load_dwordx2 v[30:31], v[28:29] offset:1536
	s_waitcnt vmcnt(0) lgkmcnt(0)
	v_cmp_ne_u16_sdwa s5, v30, v9 src0_sel:BYTE_0 src1_sel:DWORD
	s_and_saveexec_b32 s21, s5
	s_cbranch_execz .LBB319_403
; %bb.396:                              ;   in Loop: Header=BB319_11 Depth=1
	v_cmp_ne_u16_sdwa s5, v30, v51 src0_sel:BYTE_0 src1_sel:DWORD
	v_mov_b32_e32 v91, 0x8000
	s_and_saveexec_b32 s22, s5
	s_cbranch_execz .LBB319_402
; %bb.397:                              ;   in Loop: Header=BB319_11 Depth=1
	v_and_b32_e32 v2, 0x7f, v30
	v_mov_b32_e32 v91, 0x7c01
	s_mov_b32 s23, exec_lo
	v_cmpx_ne_u32_e32 0x7f, v2
	s_cbranch_execz .LBB319_401
; %bb.398:                              ;   in Loop: Header=BB319_11 Depth=1
	v_and_b32_e32 v0, 7, v30
	v_lshrrev_b32_e32 v1, 3, v2
	s_mov_b32 s24, exec_lo
	v_cmpx_gt_u32_e32 8, v2
; %bb.399:                              ;   in Loop: Header=BB319_11 Depth=1
	v_ffbh_u32_e32 v0, v0
	v_min_u32_e32 v2, 32, v0
	v_subrev_nc_u32_e32 v0, 28, v2
	v_lshlrev_b64 v[0:1], v0, v[30:31]
	v_sub_nc_u32_e32 v1, 29, v2
	v_and_b32_e32 v0, 7, v0
; %bb.400:                              ;   in Loop: Header=BB319_11 Depth=1
	s_or_b32 exec_lo, exec_lo, s24
	v_lshlrev_b32_e32 v2, 8, v30
	v_lshl_add_u32 v1, v1, 10, 0x2000
	v_lshlrev_b32_e32 v0, 7, v0
	v_and_b32_e32 v2, 0x8000, v2
	v_and_b32_e32 v1, 0xfc00, v1
	v_or3_b32 v91, v2, v1, v0
.LBB319_401:                            ;   in Loop: Header=BB319_11 Depth=1
	s_or_b32 exec_lo, exec_lo, s23
.LBB319_402:                            ;   in Loop: Header=BB319_11 Depth=1
	s_or_b32 exec_lo, exec_lo, s22
.LBB319_403:                            ;   in Loop: Header=BB319_11 Depth=1
	s_or_b32 exec_lo, exec_lo, s21
	v_lshrrev_b16 v8, 8, v30
	v_mov_b32_e32 v105, 0
	v_mov_b32_e32 v104, 0
	s_mov_b32 s21, exec_lo
	v_cmpx_ne_u16_e32 0, v8
	s_cbranch_execz .LBB319_411
; %bb.404:                              ;   in Loop: Header=BB319_11 Depth=1
	v_bfrev_b32_e32 v104, 1
	s_mov_b32 s22, exec_lo
	v_cmpx_ne_u16_e32 0x80, v8
	s_cbranch_execz .LBB319_410
; %bb.405:                              ;   in Loop: Header=BB319_11 Depth=1
	v_and_b32_sdwa v2, v8, v13 dst_sel:DWORD dst_unused:UNUSED_PAD src0_sel:WORD_0 src1_sel:DWORD
	v_mov_b32_e32 v104, 0x7c010000
	s_mov_b32 s23, exec_lo
	v_cmpx_ne_u32_e32 0x7f, v2
	s_cbranch_execz .LBB319_409
; %bb.406:                              ;   in Loop: Header=BB319_11 Depth=1
	v_mov_b32_e32 v0, 7
	v_lshrrev_b32_e32 v1, 3, v2
	s_mov_b32 s24, exec_lo
	v_and_b32_sdwa v0, v8, v0 dst_sel:DWORD dst_unused:UNUSED_PAD src0_sel:WORD_0 src1_sel:DWORD
	v_cmpx_gt_u32_e32 8, v2
; %bb.407:                              ;   in Loop: Header=BB319_11 Depth=1
	v_ffbh_u32_e32 v0, v0
	v_min_u32_e32 v2, 32, v0
	v_subrev_nc_u32_e32 v0, 28, v2
	v_lshlrev_b64 v[0:1], v0, v[8:9]
	v_sub_nc_u32_e32 v1, 29, v2
	v_and_b32_e32 v0, 7, v0
; %bb.408:                              ;   in Loop: Header=BB319_11 Depth=1
	s_or_b32 exec_lo, exec_lo, s24
	v_lshlrev_b32_sdwa v2, v25, v8 dst_sel:DWORD dst_unused:UNUSED_PAD src0_sel:DWORD src1_sel:WORD_0
	v_lshl_add_u32 v1, v1, 10, 0x2000
	v_lshlrev_b32_e32 v0, 23, v0
	v_and_or_b32 v1, 0x8000, v2, v1
	v_lshl_or_b32 v104, v1, 16, v0
.LBB319_409:                            ;   in Loop: Header=BB319_11 Depth=1
	s_or_b32 exec_lo, exec_lo, s23
.LBB319_410:                            ;   in Loop: Header=BB319_11 Depth=1
	s_or_b32 exec_lo, exec_lo, s22
.LBB319_411:                            ;   in Loop: Header=BB319_11 Depth=1
	s_or_b32 exec_lo, exec_lo, s21
	v_lshrrev_b32_e32 v8, 16, v30
	v_cmp_ne_u16_sdwa s5, v8, v9 src0_sel:BYTE_0 src1_sel:DWORD
	s_and_saveexec_b32 s21, s5
	s_cbranch_execz .LBB319_419
; %bb.412:                              ;   in Loop: Header=BB319_11 Depth=1
	v_cmp_ne_u16_sdwa s5, v8, v51 src0_sel:BYTE_0 src1_sel:DWORD
	v_mov_b32_e32 v105, 0x8000
	s_and_saveexec_b32 s22, s5
	s_cbranch_execz .LBB319_418
; %bb.413:                              ;   in Loop: Header=BB319_11 Depth=1
	v_bfe_u32 v2, v30, 16, 7
	v_mov_b32_e32 v105, 0x7c01
	s_mov_b32 s23, exec_lo
	v_cmpx_ne_u32_e32 0x7f, v2
	s_cbranch_execz .LBB319_417
; %bb.414:                              ;   in Loop: Header=BB319_11 Depth=1
	v_and_b32_e32 v0, 7, v8
	v_lshrrev_b32_e32 v1, 3, v2
	s_mov_b32 s24, exec_lo
	v_cmpx_gt_u32_e32 8, v2
; %bb.415:                              ;   in Loop: Header=BB319_11 Depth=1
	v_ffbh_u32_e32 v0, v0
	v_min_u32_e32 v2, 32, v0
	v_subrev_nc_u32_e32 v0, 28, v2
	v_lshlrev_b64 v[0:1], v0, v[8:9]
	v_sub_nc_u32_e32 v1, 29, v2
	v_and_b32_e32 v0, 7, v0
; %bb.416:                              ;   in Loop: Header=BB319_11 Depth=1
	s_or_b32 exec_lo, exec_lo, s24
	v_lshlrev_b32_e32 v2, 8, v8
	v_lshl_add_u32 v1, v1, 10, 0x2000
	v_lshlrev_b32_e32 v0, 7, v0
	v_and_b32_e32 v2, 0x8000, v2
	v_and_b32_e32 v1, 0xfc00, v1
	v_or3_b32 v105, v2, v1, v0
.LBB319_417:                            ;   in Loop: Header=BB319_11 Depth=1
	s_or_b32 exec_lo, exec_lo, s23
.LBB319_418:                            ;   in Loop: Header=BB319_11 Depth=1
	s_or_b32 exec_lo, exec_lo, s22
.LBB319_419:                            ;   in Loop: Header=BB319_11 Depth=1
	s_or_b32 exec_lo, exec_lo, s21
	v_mov_b32_e32 v110, 0
	v_mov_b32_e32 v111, 0
	s_mov_b32 s21, exec_lo
	v_cmpx_lt_u32_e32 0xffffff, v30
	s_cbranch_execz .LBB319_427
; %bb.420:                              ;   in Loop: Header=BB319_11 Depth=1
	v_lshrrev_b32_e32 v8, 24, v30
	v_bfrev_b32_e32 v111, 1
	s_mov_b32 s22, exec_lo
	v_cmpx_ne_u32_e32 0x80, v8
	s_cbranch_execz .LBB319_426
; %bb.421:                              ;   in Loop: Header=BB319_11 Depth=1
	v_and_b32_e32 v2, 0x7f, v8
	v_mov_b32_e32 v111, 0x7c010000
	s_mov_b32 s23, exec_lo
	v_cmpx_ne_u32_e32 0x7f, v2
	s_cbranch_execz .LBB319_425
; %bb.422:                              ;   in Loop: Header=BB319_11 Depth=1
	v_and_b32_e32 v0, 7, v8
	v_lshrrev_b32_e32 v1, 3, v2
	s_mov_b32 s24, exec_lo
	v_cmpx_gt_u32_e32 8, v2
; %bb.423:                              ;   in Loop: Header=BB319_11 Depth=1
	v_ffbh_u32_e32 v0, v0
	v_min_u32_e32 v2, 32, v0
	v_subrev_nc_u32_e32 v0, 28, v2
	v_lshlrev_b64 v[0:1], v0, v[8:9]
	v_sub_nc_u32_e32 v1, 29, v2
	v_and_b32_e32 v0, 7, v0
; %bb.424:                              ;   in Loop: Header=BB319_11 Depth=1
	s_or_b32 exec_lo, exec_lo, s24
	v_lshlrev_b32_e32 v2, 8, v8
	v_lshl_add_u32 v1, v1, 10, 0x2000
	v_lshlrev_b32_e32 v0, 23, v0
	v_and_or_b32 v1, 0x8000, v2, v1
	v_lshl_or_b32 v111, v1, 16, v0
.LBB319_425:                            ;   in Loop: Header=BB319_11 Depth=1
	s_or_b32 exec_lo, exec_lo, s23
.LBB319_426:                            ;   in Loop: Header=BB319_11 Depth=1
	s_or_b32 exec_lo, exec_lo, s22
.LBB319_427:                            ;   in Loop: Header=BB319_11 Depth=1
	s_or_b32 exec_lo, exec_lo, s21
	v_mov_b32_e32 v8, v31
	v_cmp_ne_u16_sdwa s5, v31, v9 src0_sel:BYTE_0 src1_sel:DWORD
	s_and_saveexec_b32 s21, s5
	s_cbranch_execz .LBB319_435
; %bb.428:                              ;   in Loop: Header=BB319_11 Depth=1
	v_cmp_ne_u16_sdwa s5, v31, v51 src0_sel:BYTE_0 src1_sel:DWORD
	v_mov_b32_e32 v110, 0x8000
	s_and_saveexec_b32 s22, s5
	s_cbranch_execz .LBB319_434
; %bb.429:                              ;   in Loop: Header=BB319_11 Depth=1
	v_and_b32_e32 v2, 0x7f, v31
	v_mov_b32_e32 v110, 0x7c01
	s_mov_b32 s23, exec_lo
	v_cmpx_ne_u32_e32 0x7f, v2
	s_cbranch_execz .LBB319_433
; %bb.430:                              ;   in Loop: Header=BB319_11 Depth=1
	v_and_b32_e32 v0, 7, v31
	v_lshrrev_b32_e32 v1, 3, v2
	s_mov_b32 s24, exec_lo
	v_cmpx_gt_u32_e32 8, v2
; %bb.431:                              ;   in Loop: Header=BB319_11 Depth=1
	v_ffbh_u32_e32 v0, v0
	v_min_u32_e32 v2, 32, v0
	v_subrev_nc_u32_e32 v0, 28, v2
	v_lshlrev_b64 v[0:1], v0, v[8:9]
	v_sub_nc_u32_e32 v1, 29, v2
	v_and_b32_e32 v0, 7, v0
; %bb.432:                              ;   in Loop: Header=BB319_11 Depth=1
	s_or_b32 exec_lo, exec_lo, s24
	v_lshlrev_b32_e32 v2, 8, v31
	v_lshl_add_u32 v1, v1, 10, 0x2000
	v_lshlrev_b32_e32 v0, 7, v0
	v_and_b32_e32 v2, 0x8000, v2
	v_and_b32_e32 v1, 0xfc00, v1
	v_or3_b32 v110, v2, v1, v0
.LBB319_433:                            ;   in Loop: Header=BB319_11 Depth=1
	s_or_b32 exec_lo, exec_lo, s23
.LBB319_434:                            ;   in Loop: Header=BB319_11 Depth=1
	s_or_b32 exec_lo, exec_lo, s22
.LBB319_435:                            ;   in Loop: Header=BB319_11 Depth=1
	s_or_b32 exec_lo, exec_lo, s21
	v_lshrrev_b16 v8, 8, v8
	v_mov_b32_e32 v122, 0
	v_mov_b32_e32 v123, 0
	s_mov_b32 s21, exec_lo
	v_cmpx_ne_u16_e32 0, v8
	s_cbranch_execz .LBB319_443
; %bb.436:                              ;   in Loop: Header=BB319_11 Depth=1
	v_bfrev_b32_e32 v123, 1
	s_mov_b32 s22, exec_lo
	v_cmpx_ne_u16_e32 0x80, v8
	s_cbranch_execz .LBB319_442
; %bb.437:                              ;   in Loop: Header=BB319_11 Depth=1
	v_and_b32_sdwa v2, v8, v13 dst_sel:DWORD dst_unused:UNUSED_PAD src0_sel:WORD_0 src1_sel:DWORD
	v_mov_b32_e32 v123, 0x7c010000
	s_mov_b32 s23, exec_lo
	v_cmpx_ne_u32_e32 0x7f, v2
	s_cbranch_execz .LBB319_441
; %bb.438:                              ;   in Loop: Header=BB319_11 Depth=1
	v_mov_b32_e32 v0, 7
	v_lshrrev_b32_e32 v1, 3, v2
	s_mov_b32 s24, exec_lo
	v_and_b32_sdwa v0, v8, v0 dst_sel:DWORD dst_unused:UNUSED_PAD src0_sel:WORD_0 src1_sel:DWORD
	v_cmpx_gt_u32_e32 8, v2
; %bb.439:                              ;   in Loop: Header=BB319_11 Depth=1
	v_ffbh_u32_e32 v0, v0
	v_min_u32_e32 v2, 32, v0
	v_subrev_nc_u32_e32 v0, 28, v2
	v_lshlrev_b64 v[0:1], v0, v[8:9]
	v_sub_nc_u32_e32 v1, 29, v2
	v_and_b32_e32 v0, 7, v0
; %bb.440:                              ;   in Loop: Header=BB319_11 Depth=1
	s_or_b32 exec_lo, exec_lo, s24
	v_lshlrev_b32_sdwa v2, v25, v8 dst_sel:DWORD dst_unused:UNUSED_PAD src0_sel:DWORD src1_sel:WORD_0
	v_lshl_add_u32 v1, v1, 10, 0x2000
	v_lshlrev_b32_e32 v0, 23, v0
	v_and_or_b32 v1, 0x8000, v2, v1
	v_lshl_or_b32 v123, v1, 16, v0
.LBB319_441:                            ;   in Loop: Header=BB319_11 Depth=1
	s_or_b32 exec_lo, exec_lo, s23
.LBB319_442:                            ;   in Loop: Header=BB319_11 Depth=1
	s_or_b32 exec_lo, exec_lo, s22
.LBB319_443:                            ;   in Loop: Header=BB319_11 Depth=1
	s_or_b32 exec_lo, exec_lo, s21
	v_lshrrev_b32_e32 v8, 16, v31
	v_cmp_ne_u16_sdwa s5, v8, v9 src0_sel:BYTE_0 src1_sel:DWORD
	s_and_saveexec_b32 s21, s5
	s_cbranch_execz .LBB319_451
; %bb.444:                              ;   in Loop: Header=BB319_11 Depth=1
	v_cmp_ne_u16_sdwa s5, v8, v51 src0_sel:BYTE_0 src1_sel:DWORD
	v_mov_b32_e32 v122, 0x8000
	s_and_saveexec_b32 s22, s5
	s_cbranch_execz .LBB319_450
; %bb.445:                              ;   in Loop: Header=BB319_11 Depth=1
	v_bfe_u32 v2, v31, 16, 7
	v_mov_b32_e32 v122, 0x7c01
	s_mov_b32 s23, exec_lo
	v_cmpx_ne_u32_e32 0x7f, v2
	s_cbranch_execz .LBB319_449
; %bb.446:                              ;   in Loop: Header=BB319_11 Depth=1
	v_and_b32_e32 v0, 7, v8
	v_lshrrev_b32_e32 v1, 3, v2
	s_mov_b32 s24, exec_lo
	v_cmpx_gt_u32_e32 8, v2
; %bb.447:                              ;   in Loop: Header=BB319_11 Depth=1
	v_ffbh_u32_e32 v0, v0
	v_min_u32_e32 v2, 32, v0
	v_subrev_nc_u32_e32 v0, 28, v2
	v_lshlrev_b64 v[0:1], v0, v[8:9]
	v_sub_nc_u32_e32 v1, 29, v2
	v_and_b32_e32 v0, 7, v0
; %bb.448:                              ;   in Loop: Header=BB319_11 Depth=1
	s_or_b32 exec_lo, exec_lo, s24
	v_lshlrev_b32_e32 v2, 8, v8
	v_lshl_add_u32 v1, v1, 10, 0x2000
	v_lshlrev_b32_e32 v0, 7, v0
	v_and_b32_e32 v2, 0x8000, v2
	v_and_b32_e32 v1, 0xfc00, v1
	v_or3_b32 v122, v2, v1, v0
.LBB319_449:                            ;   in Loop: Header=BB319_11 Depth=1
	s_or_b32 exec_lo, exec_lo, s23
.LBB319_450:                            ;   in Loop: Header=BB319_11 Depth=1
	s_or_b32 exec_lo, exec_lo, s22
.LBB319_451:                            ;   in Loop: Header=BB319_11 Depth=1
	s_or_b32 exec_lo, exec_lo, s21
	v_mov_b32_e32 v5, 0
	v_mov_b32_e32 v34, 0
	s_mov_b32 s21, exec_lo
	v_cmpx_lt_u64_e64 s[6:7], v[30:31]
	s_cbranch_execz .LBB319_459
; %bb.452:                              ;   in Loop: Header=BB319_11 Depth=1
	v_lshrrev_b32_e32 v8, 24, v31
	v_bfrev_b32_e32 v34, 1
	s_mov_b32 s22, exec_lo
	v_cmpx_ne_u32_e32 0x80, v8
	s_cbranch_execz .LBB319_458
; %bb.453:                              ;   in Loop: Header=BB319_11 Depth=1
	v_and_b32_e32 v2, 0x7f, v8
	v_mov_b32_e32 v34, 0x7c010000
	s_mov_b32 s23, exec_lo
	v_cmpx_ne_u32_e32 0x7f, v2
	s_cbranch_execz .LBB319_457
; %bb.454:                              ;   in Loop: Header=BB319_11 Depth=1
	v_and_b32_e32 v0, 7, v8
	v_lshrrev_b32_e32 v1, 3, v2
	s_mov_b32 s24, exec_lo
	v_cmpx_gt_u32_e32 8, v2
; %bb.455:                              ;   in Loop: Header=BB319_11 Depth=1
	v_ffbh_u32_e32 v0, v0
	v_min_u32_e32 v2, 32, v0
	v_subrev_nc_u32_e32 v0, 28, v2
	v_lshlrev_b64 v[0:1], v0, v[8:9]
	v_sub_nc_u32_e32 v1, 29, v2
	v_and_b32_e32 v0, 7, v0
; %bb.456:                              ;   in Loop: Header=BB319_11 Depth=1
	s_or_b32 exec_lo, exec_lo, s24
	v_lshlrev_b32_e32 v2, 8, v8
	v_lshl_add_u32 v1, v1, 10, 0x2000
	v_lshlrev_b32_e32 v0, 23, v0
	v_and_or_b32 v1, 0x8000, v2, v1
	v_lshl_or_b32 v34, v1, 16, v0
.LBB319_457:                            ;   in Loop: Header=BB319_11 Depth=1
	s_or_b32 exec_lo, exec_lo, s23
.LBB319_458:                            ;   in Loop: Header=BB319_11 Depth=1
	s_or_b32 exec_lo, exec_lo, s22
.LBB319_459:                            ;   in Loop: Header=BB319_11 Depth=1
	s_or_b32 exec_lo, exec_lo, s21
	flat_load_dwordx2 v[30:31], v[28:29] offset:1544
	s_waitcnt vmcnt(0) lgkmcnt(0)
	v_cmp_ne_u16_sdwa s5, v30, v9 src0_sel:BYTE_0 src1_sel:DWORD
	s_and_saveexec_b32 s21, s5
	s_cbranch_execz .LBB319_467
; %bb.460:                              ;   in Loop: Header=BB319_11 Depth=1
	v_cmp_ne_u16_sdwa s5, v30, v51 src0_sel:BYTE_0 src1_sel:DWORD
	v_mov_b32_e32 v5, 0x8000
	s_and_saveexec_b32 s22, s5
	s_cbranch_execz .LBB319_466
; %bb.461:                              ;   in Loop: Header=BB319_11 Depth=1
	v_and_b32_e32 v2, 0x7f, v30
	v_mov_b32_e32 v5, 0x7c01
	s_mov_b32 s23, exec_lo
	v_cmpx_ne_u32_e32 0x7f, v2
	s_cbranch_execz .LBB319_465
; %bb.462:                              ;   in Loop: Header=BB319_11 Depth=1
	v_and_b32_e32 v0, 7, v30
	v_lshrrev_b32_e32 v1, 3, v2
	s_mov_b32 s24, exec_lo
	v_cmpx_gt_u32_e32 8, v2
; %bb.463:                              ;   in Loop: Header=BB319_11 Depth=1
	v_ffbh_u32_e32 v0, v0
	v_min_u32_e32 v2, 32, v0
	v_subrev_nc_u32_e32 v0, 28, v2
	v_lshlrev_b64 v[0:1], v0, v[30:31]
	v_sub_nc_u32_e32 v1, 29, v2
	v_and_b32_e32 v0, 7, v0
; %bb.464:                              ;   in Loop: Header=BB319_11 Depth=1
	s_or_b32 exec_lo, exec_lo, s24
	v_lshlrev_b32_e32 v2, 8, v30
	v_lshl_add_u32 v1, v1, 10, 0x2000
	v_lshlrev_b32_e32 v0, 7, v0
	v_and_b32_e32 v2, 0x8000, v2
	v_and_b32_e32 v1, 0xfc00, v1
	v_or3_b32 v5, v2, v1, v0
.LBB319_465:                            ;   in Loop: Header=BB319_11 Depth=1
	s_or_b32 exec_lo, exec_lo, s23
.LBB319_466:                            ;   in Loop: Header=BB319_11 Depth=1
	s_or_b32 exec_lo, exec_lo, s22
.LBB319_467:                            ;   in Loop: Header=BB319_11 Depth=1
	s_or_b32 exec_lo, exec_lo, s21
	v_lshrrev_b16 v8, 8, v30
	v_mov_b32_e32 v37, 0
	v_mov_b32_e32 v4, 0
	s_mov_b32 s21, exec_lo
	v_cmpx_ne_u16_e32 0, v8
	s_cbranch_execz .LBB319_475
; %bb.468:                              ;   in Loop: Header=BB319_11 Depth=1
	v_bfrev_b32_e32 v4, 1
	s_mov_b32 s22, exec_lo
	v_cmpx_ne_u16_e32 0x80, v8
	s_cbranch_execz .LBB319_474
; %bb.469:                              ;   in Loop: Header=BB319_11 Depth=1
	v_and_b32_sdwa v2, v8, v13 dst_sel:DWORD dst_unused:UNUSED_PAD src0_sel:WORD_0 src1_sel:DWORD
	v_mov_b32_e32 v4, 0x7c010000
	s_mov_b32 s23, exec_lo
	v_cmpx_ne_u32_e32 0x7f, v2
	s_cbranch_execz .LBB319_473
; %bb.470:                              ;   in Loop: Header=BB319_11 Depth=1
	v_mov_b32_e32 v0, 7
	v_lshrrev_b32_e32 v1, 3, v2
	s_mov_b32 s24, exec_lo
	v_and_b32_sdwa v0, v8, v0 dst_sel:DWORD dst_unused:UNUSED_PAD src0_sel:WORD_0 src1_sel:DWORD
	v_cmpx_gt_u32_e32 8, v2
; %bb.471:                              ;   in Loop: Header=BB319_11 Depth=1
	v_ffbh_u32_e32 v0, v0
	v_min_u32_e32 v2, 32, v0
	v_subrev_nc_u32_e32 v0, 28, v2
	v_lshlrev_b64 v[0:1], v0, v[8:9]
	v_sub_nc_u32_e32 v1, 29, v2
	v_and_b32_e32 v0, 7, v0
; %bb.472:                              ;   in Loop: Header=BB319_11 Depth=1
	s_or_b32 exec_lo, exec_lo, s24
	v_lshlrev_b32_sdwa v2, v25, v8 dst_sel:DWORD dst_unused:UNUSED_PAD src0_sel:DWORD src1_sel:WORD_0
	v_lshl_add_u32 v1, v1, 10, 0x2000
	v_lshlrev_b32_e32 v0, 23, v0
	v_and_or_b32 v1, 0x8000, v2, v1
	v_lshl_or_b32 v4, v1, 16, v0
.LBB319_473:                            ;   in Loop: Header=BB319_11 Depth=1
	s_or_b32 exec_lo, exec_lo, s23
.LBB319_474:                            ;   in Loop: Header=BB319_11 Depth=1
	s_or_b32 exec_lo, exec_lo, s22
.LBB319_475:                            ;   in Loop: Header=BB319_11 Depth=1
	s_or_b32 exec_lo, exec_lo, s21
	v_lshrrev_b32_e32 v8, 16, v30
	v_cmp_ne_u16_sdwa s5, v8, v9 src0_sel:BYTE_0 src1_sel:DWORD
	s_and_saveexec_b32 s21, s5
	s_cbranch_execz .LBB319_483
; %bb.476:                              ;   in Loop: Header=BB319_11 Depth=1
	v_cmp_ne_u16_sdwa s5, v8, v51 src0_sel:BYTE_0 src1_sel:DWORD
	v_mov_b32_e32 v37, 0x8000
	s_and_saveexec_b32 s22, s5
	s_cbranch_execz .LBB319_482
; %bb.477:                              ;   in Loop: Header=BB319_11 Depth=1
	v_bfe_u32 v2, v30, 16, 7
	v_mov_b32_e32 v37, 0x7c01
	s_mov_b32 s23, exec_lo
	v_cmpx_ne_u32_e32 0x7f, v2
	s_cbranch_execz .LBB319_481
; %bb.478:                              ;   in Loop: Header=BB319_11 Depth=1
	v_and_b32_e32 v0, 7, v8
	v_lshrrev_b32_e32 v1, 3, v2
	s_mov_b32 s24, exec_lo
	v_cmpx_gt_u32_e32 8, v2
; %bb.479:                              ;   in Loop: Header=BB319_11 Depth=1
	v_ffbh_u32_e32 v0, v0
	v_min_u32_e32 v2, 32, v0
	v_subrev_nc_u32_e32 v0, 28, v2
	v_lshlrev_b64 v[0:1], v0, v[8:9]
	v_sub_nc_u32_e32 v1, 29, v2
	v_and_b32_e32 v0, 7, v0
; %bb.480:                              ;   in Loop: Header=BB319_11 Depth=1
	s_or_b32 exec_lo, exec_lo, s24
	v_lshlrev_b32_e32 v2, 8, v8
	v_lshl_add_u32 v1, v1, 10, 0x2000
	v_lshlrev_b32_e32 v0, 7, v0
	v_and_b32_e32 v2, 0x8000, v2
	v_and_b32_e32 v1, 0xfc00, v1
	v_or3_b32 v37, v2, v1, v0
.LBB319_481:                            ;   in Loop: Header=BB319_11 Depth=1
	s_or_b32 exec_lo, exec_lo, s23
.LBB319_482:                            ;   in Loop: Header=BB319_11 Depth=1
	s_or_b32 exec_lo, exec_lo, s22
.LBB319_483:                            ;   in Loop: Header=BB319_11 Depth=1
	s_or_b32 exec_lo, exec_lo, s21
	v_mov_b32_e32 v38, 0
	v_mov_b32_e32 v10, 0
	s_mov_b32 s21, exec_lo
	v_cmpx_lt_u32_e32 0xffffff, v30
	s_cbranch_execz .LBB319_491
; %bb.484:                              ;   in Loop: Header=BB319_11 Depth=1
	v_lshrrev_b32_e32 v8, 24, v30
	v_bfrev_b32_e32 v10, 1
	s_mov_b32 s22, exec_lo
	v_cmpx_ne_u32_e32 0x80, v8
	s_cbranch_execz .LBB319_490
; %bb.485:                              ;   in Loop: Header=BB319_11 Depth=1
	v_and_b32_e32 v2, 0x7f, v8
	v_mov_b32_e32 v10, 0x7c010000
	s_mov_b32 s23, exec_lo
	v_cmpx_ne_u32_e32 0x7f, v2
	s_cbranch_execz .LBB319_489
; %bb.486:                              ;   in Loop: Header=BB319_11 Depth=1
	v_and_b32_e32 v0, 7, v8
	v_lshrrev_b32_e32 v1, 3, v2
	s_mov_b32 s24, exec_lo
	v_cmpx_gt_u32_e32 8, v2
; %bb.487:                              ;   in Loop: Header=BB319_11 Depth=1
	v_ffbh_u32_e32 v0, v0
	v_min_u32_e32 v2, 32, v0
	v_subrev_nc_u32_e32 v0, 28, v2
	v_lshlrev_b64 v[0:1], v0, v[8:9]
	v_sub_nc_u32_e32 v1, 29, v2
	v_and_b32_e32 v0, 7, v0
; %bb.488:                              ;   in Loop: Header=BB319_11 Depth=1
	s_or_b32 exec_lo, exec_lo, s24
	v_lshlrev_b32_e32 v2, 8, v8
	v_lshl_add_u32 v1, v1, 10, 0x2000
	v_lshlrev_b32_e32 v0, 23, v0
	v_and_or_b32 v1, 0x8000, v2, v1
	v_lshl_or_b32 v10, v1, 16, v0
.LBB319_489:                            ;   in Loop: Header=BB319_11 Depth=1
	s_or_b32 exec_lo, exec_lo, s23
.LBB319_490:                            ;   in Loop: Header=BB319_11 Depth=1
	s_or_b32 exec_lo, exec_lo, s22
.LBB319_491:                            ;   in Loop: Header=BB319_11 Depth=1
	s_or_b32 exec_lo, exec_lo, s21
	v_mov_b32_e32 v8, v31
	v_cmp_ne_u16_sdwa s5, v31, v9 src0_sel:BYTE_0 src1_sel:DWORD
	s_and_saveexec_b32 s21, s5
	s_cbranch_execz .LBB319_499
; %bb.492:                              ;   in Loop: Header=BB319_11 Depth=1
	v_cmp_ne_u16_sdwa s5, v31, v51 src0_sel:BYTE_0 src1_sel:DWORD
	v_mov_b32_e32 v38, 0x8000
	s_and_saveexec_b32 s22, s5
	s_cbranch_execz .LBB319_498
; %bb.493:                              ;   in Loop: Header=BB319_11 Depth=1
	v_and_b32_e32 v2, 0x7f, v31
	v_mov_b32_e32 v38, 0x7c01
	s_mov_b32 s23, exec_lo
	v_cmpx_ne_u32_e32 0x7f, v2
	s_cbranch_execz .LBB319_497
; %bb.494:                              ;   in Loop: Header=BB319_11 Depth=1
	v_and_b32_e32 v0, 7, v31
	v_lshrrev_b32_e32 v1, 3, v2
	s_mov_b32 s24, exec_lo
	v_cmpx_gt_u32_e32 8, v2
; %bb.495:                              ;   in Loop: Header=BB319_11 Depth=1
	v_ffbh_u32_e32 v0, v0
	v_min_u32_e32 v2, 32, v0
	v_subrev_nc_u32_e32 v0, 28, v2
	v_lshlrev_b64 v[0:1], v0, v[8:9]
	v_sub_nc_u32_e32 v1, 29, v2
	v_and_b32_e32 v0, 7, v0
; %bb.496:                              ;   in Loop: Header=BB319_11 Depth=1
	s_or_b32 exec_lo, exec_lo, s24
	v_lshlrev_b32_e32 v2, 8, v31
	v_lshl_add_u32 v1, v1, 10, 0x2000
	v_lshlrev_b32_e32 v0, 7, v0
	v_and_b32_e32 v2, 0x8000, v2
	v_and_b32_e32 v1, 0xfc00, v1
	v_or3_b32 v38, v2, v1, v0
.LBB319_497:                            ;   in Loop: Header=BB319_11 Depth=1
	s_or_b32 exec_lo, exec_lo, s23
.LBB319_498:                            ;   in Loop: Header=BB319_11 Depth=1
	s_or_b32 exec_lo, exec_lo, s22
.LBB319_499:                            ;   in Loop: Header=BB319_11 Depth=1
	s_or_b32 exec_lo, exec_lo, s21
	v_lshrrev_b16 v8, 8, v8
	v_mov_b32_e32 v16, 0
	v_mov_b32_e32 v17, 0
	s_mov_b32 s21, exec_lo
	v_cmpx_ne_u16_e32 0, v8
	s_cbranch_execz .LBB319_507
; %bb.500:                              ;   in Loop: Header=BB319_11 Depth=1
	v_bfrev_b32_e32 v17, 1
	s_mov_b32 s22, exec_lo
	v_cmpx_ne_u16_e32 0x80, v8
	s_cbranch_execz .LBB319_506
; %bb.501:                              ;   in Loop: Header=BB319_11 Depth=1
	v_and_b32_sdwa v2, v8, v13 dst_sel:DWORD dst_unused:UNUSED_PAD src0_sel:WORD_0 src1_sel:DWORD
	v_mov_b32_e32 v17, 0x7c010000
	s_mov_b32 s23, exec_lo
	v_cmpx_ne_u32_e32 0x7f, v2
	s_cbranch_execz .LBB319_505
; %bb.502:                              ;   in Loop: Header=BB319_11 Depth=1
	v_mov_b32_e32 v0, 7
	v_lshrrev_b32_e32 v1, 3, v2
	s_mov_b32 s24, exec_lo
	v_and_b32_sdwa v0, v8, v0 dst_sel:DWORD dst_unused:UNUSED_PAD src0_sel:WORD_0 src1_sel:DWORD
	v_cmpx_gt_u32_e32 8, v2
; %bb.503:                              ;   in Loop: Header=BB319_11 Depth=1
	v_ffbh_u32_e32 v0, v0
	v_min_u32_e32 v2, 32, v0
	v_subrev_nc_u32_e32 v0, 28, v2
	v_lshlrev_b64 v[0:1], v0, v[8:9]
	v_sub_nc_u32_e32 v1, 29, v2
	v_and_b32_e32 v0, 7, v0
; %bb.504:                              ;   in Loop: Header=BB319_11 Depth=1
	s_or_b32 exec_lo, exec_lo, s24
	v_lshlrev_b32_sdwa v2, v25, v8 dst_sel:DWORD dst_unused:UNUSED_PAD src0_sel:DWORD src1_sel:WORD_0
	v_lshl_add_u32 v1, v1, 10, 0x2000
	v_lshlrev_b32_e32 v0, 23, v0
	v_and_or_b32 v1, 0x8000, v2, v1
	v_lshl_or_b32 v17, v1, 16, v0
.LBB319_505:                            ;   in Loop: Header=BB319_11 Depth=1
	s_or_b32 exec_lo, exec_lo, s23
.LBB319_506:                            ;   in Loop: Header=BB319_11 Depth=1
	s_or_b32 exec_lo, exec_lo, s22
.LBB319_507:                            ;   in Loop: Header=BB319_11 Depth=1
	s_or_b32 exec_lo, exec_lo, s21
	v_lshrrev_b32_e32 v8, 16, v31
	v_cmp_ne_u16_sdwa s5, v8, v9 src0_sel:BYTE_0 src1_sel:DWORD
	s_and_saveexec_b32 s21, s5
	s_cbranch_execz .LBB319_515
; %bb.508:                              ;   in Loop: Header=BB319_11 Depth=1
	v_cmp_ne_u16_sdwa s5, v8, v51 src0_sel:BYTE_0 src1_sel:DWORD
	v_mov_b32_e32 v16, 0x8000
	s_and_saveexec_b32 s22, s5
	s_cbranch_execz .LBB319_514
; %bb.509:                              ;   in Loop: Header=BB319_11 Depth=1
	v_bfe_u32 v2, v31, 16, 7
	v_mov_b32_e32 v16, 0x7c01
	s_mov_b32 s23, exec_lo
	v_cmpx_ne_u32_e32 0x7f, v2
	s_cbranch_execz .LBB319_513
; %bb.510:                              ;   in Loop: Header=BB319_11 Depth=1
	v_and_b32_e32 v0, 7, v8
	v_lshrrev_b32_e32 v1, 3, v2
	s_mov_b32 s24, exec_lo
	v_cmpx_gt_u32_e32 8, v2
; %bb.511:                              ;   in Loop: Header=BB319_11 Depth=1
	v_ffbh_u32_e32 v0, v0
	v_min_u32_e32 v2, 32, v0
	v_subrev_nc_u32_e32 v0, 28, v2
	v_lshlrev_b64 v[0:1], v0, v[8:9]
	v_sub_nc_u32_e32 v1, 29, v2
	v_and_b32_e32 v0, 7, v0
; %bb.512:                              ;   in Loop: Header=BB319_11 Depth=1
	s_or_b32 exec_lo, exec_lo, s24
	v_lshlrev_b32_e32 v2, 8, v8
	v_lshl_add_u32 v1, v1, 10, 0x2000
	v_lshlrev_b32_e32 v0, 7, v0
	v_and_b32_e32 v2, 0x8000, v2
	v_and_b32_e32 v1, 0xfc00, v1
	v_or3_b32 v16, v2, v1, v0
.LBB319_513:                            ;   in Loop: Header=BB319_11 Depth=1
	s_or_b32 exec_lo, exec_lo, s23
.LBB319_514:                            ;   in Loop: Header=BB319_11 Depth=1
	s_or_b32 exec_lo, exec_lo, s22
.LBB319_515:                            ;   in Loop: Header=BB319_11 Depth=1
	s_or_b32 exec_lo, exec_lo, s21
	v_mov_b32_e32 v11, 0
	v_mov_b32_e32 v14, 0
	s_mov_b32 s21, exec_lo
	v_cmpx_lt_u64_e64 s[6:7], v[30:31]
	s_cbranch_execz .LBB319_523
; %bb.516:                              ;   in Loop: Header=BB319_11 Depth=1
	v_lshrrev_b32_e32 v8, 24, v31
	v_bfrev_b32_e32 v14, 1
	s_mov_b32 s22, exec_lo
	v_cmpx_ne_u32_e32 0x80, v8
	s_cbranch_execz .LBB319_522
; %bb.517:                              ;   in Loop: Header=BB319_11 Depth=1
	v_and_b32_e32 v2, 0x7f, v8
	v_mov_b32_e32 v14, 0x7c010000
	s_mov_b32 s23, exec_lo
	v_cmpx_ne_u32_e32 0x7f, v2
	s_cbranch_execz .LBB319_521
; %bb.518:                              ;   in Loop: Header=BB319_11 Depth=1
	v_and_b32_e32 v0, 7, v8
	v_lshrrev_b32_e32 v1, 3, v2
	s_mov_b32 s24, exec_lo
	v_cmpx_gt_u32_e32 8, v2
; %bb.519:                              ;   in Loop: Header=BB319_11 Depth=1
	v_ffbh_u32_e32 v0, v0
	v_min_u32_e32 v2, 32, v0
	v_subrev_nc_u32_e32 v0, 28, v2
	v_lshlrev_b64 v[0:1], v0, v[8:9]
	v_sub_nc_u32_e32 v1, 29, v2
	v_and_b32_e32 v0, 7, v0
; %bb.520:                              ;   in Loop: Header=BB319_11 Depth=1
	s_or_b32 exec_lo, exec_lo, s24
	v_lshlrev_b32_e32 v2, 8, v8
	v_lshl_add_u32 v1, v1, 10, 0x2000
	v_lshlrev_b32_e32 v0, 23, v0
	v_and_or_b32 v1, 0x8000, v2, v1
	v_lshl_or_b32 v14, v1, 16, v0
.LBB319_521:                            ;   in Loop: Header=BB319_11 Depth=1
	s_or_b32 exec_lo, exec_lo, s23
.LBB319_522:                            ;   in Loop: Header=BB319_11 Depth=1
	s_or_b32 exec_lo, exec_lo, s22
.LBB319_523:                            ;   in Loop: Header=BB319_11 Depth=1
	s_or_b32 exec_lo, exec_lo, s21
	v_add_co_u32 v28, s5, 0x800, v28
	v_add_co_ci_u32_e64 v29, null, 0, v29, s5
	flat_load_dwordx2 v[30:31], v[28:29]
	s_waitcnt vmcnt(0) lgkmcnt(0)
	v_cmp_ne_u16_sdwa s5, v30, v9 src0_sel:BYTE_0 src1_sel:DWORD
	s_and_saveexec_b32 s21, s5
	s_cbranch_execz .LBB319_531
; %bb.524:                              ;   in Loop: Header=BB319_11 Depth=1
	v_cmp_ne_u16_sdwa s5, v30, v51 src0_sel:BYTE_0 src1_sel:DWORD
	v_mov_b32_e32 v11, 0x8000
	s_and_saveexec_b32 s22, s5
	s_cbranch_execz .LBB319_530
; %bb.525:                              ;   in Loop: Header=BB319_11 Depth=1
	v_and_b32_e32 v2, 0x7f, v30
	v_mov_b32_e32 v11, 0x7c01
	s_mov_b32 s23, exec_lo
	v_cmpx_ne_u32_e32 0x7f, v2
	s_cbranch_execz .LBB319_529
; %bb.526:                              ;   in Loop: Header=BB319_11 Depth=1
	v_and_b32_e32 v0, 7, v30
	v_lshrrev_b32_e32 v1, 3, v2
	s_mov_b32 s24, exec_lo
	v_cmpx_gt_u32_e32 8, v2
; %bb.527:                              ;   in Loop: Header=BB319_11 Depth=1
	v_ffbh_u32_e32 v0, v0
	v_min_u32_e32 v2, 32, v0
	v_subrev_nc_u32_e32 v0, 28, v2
	v_lshlrev_b64 v[0:1], v0, v[30:31]
	v_sub_nc_u32_e32 v1, 29, v2
	v_and_b32_e32 v0, 7, v0
; %bb.528:                              ;   in Loop: Header=BB319_11 Depth=1
	s_or_b32 exec_lo, exec_lo, s24
	v_lshlrev_b32_e32 v2, 8, v30
	v_lshl_add_u32 v1, v1, 10, 0x2000
	v_lshlrev_b32_e32 v0, 7, v0
	v_and_b32_e32 v2, 0x8000, v2
	v_and_b32_e32 v1, 0xfc00, v1
	v_or3_b32 v11, v2, v1, v0
.LBB319_529:                            ;   in Loop: Header=BB319_11 Depth=1
	s_or_b32 exec_lo, exec_lo, s23
.LBB319_530:                            ;   in Loop: Header=BB319_11 Depth=1
	s_or_b32 exec_lo, exec_lo, s22
.LBB319_531:                            ;   in Loop: Header=BB319_11 Depth=1
	s_or_b32 exec_lo, exec_lo, s21
	v_lshrrev_b16 v8, 8, v30
	v_mov_b32_e32 v15, 0
	v_mov_b32_e32 v12, 0
	s_mov_b32 s21, exec_lo
	v_cmpx_ne_u16_e32 0, v8
	s_cbranch_execz .LBB319_539
; %bb.532:                              ;   in Loop: Header=BB319_11 Depth=1
	v_bfrev_b32_e32 v12, 1
	s_mov_b32 s22, exec_lo
	v_cmpx_ne_u16_e32 0x80, v8
	s_cbranch_execz .LBB319_538
; %bb.533:                              ;   in Loop: Header=BB319_11 Depth=1
	v_and_b32_sdwa v2, v8, v13 dst_sel:DWORD dst_unused:UNUSED_PAD src0_sel:WORD_0 src1_sel:DWORD
	v_mov_b32_e32 v12, 0x7c010000
	s_mov_b32 s23, exec_lo
	v_cmpx_ne_u32_e32 0x7f, v2
	s_cbranch_execz .LBB319_537
; %bb.534:                              ;   in Loop: Header=BB319_11 Depth=1
	v_mov_b32_e32 v0, 7
	v_lshrrev_b32_e32 v1, 3, v2
	s_mov_b32 s24, exec_lo
	v_and_b32_sdwa v0, v8, v0 dst_sel:DWORD dst_unused:UNUSED_PAD src0_sel:WORD_0 src1_sel:DWORD
	v_cmpx_gt_u32_e32 8, v2
; %bb.535:                              ;   in Loop: Header=BB319_11 Depth=1
	v_ffbh_u32_e32 v0, v0
	v_min_u32_e32 v2, 32, v0
	v_subrev_nc_u32_e32 v0, 28, v2
	v_lshlrev_b64 v[0:1], v0, v[8:9]
	v_sub_nc_u32_e32 v1, 29, v2
	v_and_b32_e32 v0, 7, v0
; %bb.536:                              ;   in Loop: Header=BB319_11 Depth=1
	s_or_b32 exec_lo, exec_lo, s24
	v_lshlrev_b32_sdwa v2, v25, v8 dst_sel:DWORD dst_unused:UNUSED_PAD src0_sel:DWORD src1_sel:WORD_0
	v_lshl_add_u32 v1, v1, 10, 0x2000
	v_lshlrev_b32_e32 v0, 23, v0
	v_and_or_b32 v1, 0x8000, v2, v1
	v_lshl_or_b32 v12, v1, 16, v0
.LBB319_537:                            ;   in Loop: Header=BB319_11 Depth=1
	s_or_b32 exec_lo, exec_lo, s23
.LBB319_538:                            ;   in Loop: Header=BB319_11 Depth=1
	s_or_b32 exec_lo, exec_lo, s22
.LBB319_539:                            ;   in Loop: Header=BB319_11 Depth=1
	s_or_b32 exec_lo, exec_lo, s21
	v_lshrrev_b32_e32 v8, 16, v30
	v_cmp_ne_u16_sdwa s5, v8, v9 src0_sel:BYTE_0 src1_sel:DWORD
	s_and_saveexec_b32 s21, s5
	s_cbranch_execz .LBB319_547
; %bb.540:                              ;   in Loop: Header=BB319_11 Depth=1
	v_cmp_ne_u16_sdwa s5, v8, v51 src0_sel:BYTE_0 src1_sel:DWORD
	v_mov_b32_e32 v15, 0x8000
	s_and_saveexec_b32 s22, s5
	s_cbranch_execz .LBB319_546
; %bb.541:                              ;   in Loop: Header=BB319_11 Depth=1
	v_bfe_u32 v2, v30, 16, 7
	v_mov_b32_e32 v15, 0x7c01
	s_mov_b32 s23, exec_lo
	v_cmpx_ne_u32_e32 0x7f, v2
	s_cbranch_execz .LBB319_545
; %bb.542:                              ;   in Loop: Header=BB319_11 Depth=1
	v_and_b32_e32 v0, 7, v8
	v_lshrrev_b32_e32 v1, 3, v2
	s_mov_b32 s24, exec_lo
	v_cmpx_gt_u32_e32 8, v2
; %bb.543:                              ;   in Loop: Header=BB319_11 Depth=1
	v_ffbh_u32_e32 v0, v0
	v_min_u32_e32 v2, 32, v0
	v_subrev_nc_u32_e32 v0, 28, v2
	v_lshlrev_b64 v[0:1], v0, v[8:9]
	v_sub_nc_u32_e32 v1, 29, v2
	v_and_b32_e32 v0, 7, v0
; %bb.544:                              ;   in Loop: Header=BB319_11 Depth=1
	s_or_b32 exec_lo, exec_lo, s24
	v_lshlrev_b32_e32 v2, 8, v8
	v_lshl_add_u32 v1, v1, 10, 0x2000
	v_lshlrev_b32_e32 v0, 7, v0
	v_and_b32_e32 v2, 0x8000, v2
	v_and_b32_e32 v1, 0xfc00, v1
	v_or3_b32 v15, v2, v1, v0
.LBB319_545:                            ;   in Loop: Header=BB319_11 Depth=1
	s_or_b32 exec_lo, exec_lo, s23
.LBB319_546:                            ;   in Loop: Header=BB319_11 Depth=1
	s_or_b32 exec_lo, exec_lo, s22
.LBB319_547:                            ;   in Loop: Header=BB319_11 Depth=1
	s_or_b32 exec_lo, exec_lo, s21
	v_mov_b32_e32 v23, 0
	v_mov_b32_e32 v108, 0
	s_mov_b32 s21, exec_lo
	v_cmpx_lt_u32_e32 0xffffff, v30
	s_cbranch_execz .LBB319_555
; %bb.548:                              ;   in Loop: Header=BB319_11 Depth=1
	v_lshrrev_b32_e32 v8, 24, v30
	v_bfrev_b32_e32 v108, 1
	s_mov_b32 s22, exec_lo
	v_cmpx_ne_u32_e32 0x80, v8
	s_cbranch_execz .LBB319_554
; %bb.549:                              ;   in Loop: Header=BB319_11 Depth=1
	v_and_b32_e32 v2, 0x7f, v8
	v_mov_b32_e32 v108, 0x7c010000
	s_mov_b32 s23, exec_lo
	v_cmpx_ne_u32_e32 0x7f, v2
	s_cbranch_execz .LBB319_553
; %bb.550:                              ;   in Loop: Header=BB319_11 Depth=1
	v_and_b32_e32 v0, 7, v8
	v_lshrrev_b32_e32 v1, 3, v2
	s_mov_b32 s24, exec_lo
	v_cmpx_gt_u32_e32 8, v2
; %bb.551:                              ;   in Loop: Header=BB319_11 Depth=1
	v_ffbh_u32_e32 v0, v0
	v_min_u32_e32 v2, 32, v0
	v_subrev_nc_u32_e32 v0, 28, v2
	v_lshlrev_b64 v[0:1], v0, v[8:9]
	v_sub_nc_u32_e32 v1, 29, v2
	v_and_b32_e32 v0, 7, v0
; %bb.552:                              ;   in Loop: Header=BB319_11 Depth=1
	s_or_b32 exec_lo, exec_lo, s24
	v_lshlrev_b32_e32 v2, 8, v8
	v_lshl_add_u32 v1, v1, 10, 0x2000
	v_lshlrev_b32_e32 v0, 23, v0
	v_and_or_b32 v1, 0x8000, v2, v1
	v_lshl_or_b32 v108, v1, 16, v0
.LBB319_553:                            ;   in Loop: Header=BB319_11 Depth=1
	s_or_b32 exec_lo, exec_lo, s23
.LBB319_554:                            ;   in Loop: Header=BB319_11 Depth=1
	s_or_b32 exec_lo, exec_lo, s22
.LBB319_555:                            ;   in Loop: Header=BB319_11 Depth=1
	s_or_b32 exec_lo, exec_lo, s21
	v_mov_b32_e32 v8, v31
	v_cmp_ne_u16_sdwa s5, v31, v9 src0_sel:BYTE_0 src1_sel:DWORD
	s_and_saveexec_b32 s21, s5
	s_cbranch_execz .LBB319_563
; %bb.556:                              ;   in Loop: Header=BB319_11 Depth=1
	v_cmp_ne_u16_sdwa s5, v31, v51 src0_sel:BYTE_0 src1_sel:DWORD
	v_mov_b32_e32 v23, 0x8000
	s_and_saveexec_b32 s22, s5
	s_cbranch_execz .LBB319_562
; %bb.557:                              ;   in Loop: Header=BB319_11 Depth=1
	v_and_b32_e32 v2, 0x7f, v31
	v_mov_b32_e32 v23, 0x7c01
	s_mov_b32 s23, exec_lo
	v_cmpx_ne_u32_e32 0x7f, v2
	s_cbranch_execz .LBB319_561
; %bb.558:                              ;   in Loop: Header=BB319_11 Depth=1
	v_and_b32_e32 v0, 7, v31
	v_lshrrev_b32_e32 v1, 3, v2
	s_mov_b32 s24, exec_lo
	v_cmpx_gt_u32_e32 8, v2
; %bb.559:                              ;   in Loop: Header=BB319_11 Depth=1
	v_ffbh_u32_e32 v0, v0
	v_min_u32_e32 v2, 32, v0
	v_subrev_nc_u32_e32 v0, 28, v2
	v_lshlrev_b64 v[0:1], v0, v[8:9]
	v_sub_nc_u32_e32 v1, 29, v2
	v_and_b32_e32 v0, 7, v0
; %bb.560:                              ;   in Loop: Header=BB319_11 Depth=1
	s_or_b32 exec_lo, exec_lo, s24
	v_lshlrev_b32_e32 v2, 8, v31
	v_lshl_add_u32 v1, v1, 10, 0x2000
	v_lshlrev_b32_e32 v0, 7, v0
	v_and_b32_e32 v2, 0x8000, v2
	v_and_b32_e32 v1, 0xfc00, v1
	v_or3_b32 v23, v2, v1, v0
.LBB319_561:                            ;   in Loop: Header=BB319_11 Depth=1
	s_or_b32 exec_lo, exec_lo, s23
.LBB319_562:                            ;   in Loop: Header=BB319_11 Depth=1
	s_or_b32 exec_lo, exec_lo, s22
.LBB319_563:                            ;   in Loop: Header=BB319_11 Depth=1
	s_or_b32 exec_lo, exec_lo, s21
	v_lshrrev_b16 v8, 8, v8
	v_mov_b32_e32 v109, 0
	v_mov_b32_e32 v120, 0
	s_mov_b32 s21, exec_lo
	v_cmpx_ne_u16_e32 0, v8
	s_cbranch_execz .LBB319_571
; %bb.564:                              ;   in Loop: Header=BB319_11 Depth=1
	v_bfrev_b32_e32 v120, 1
	s_mov_b32 s22, exec_lo
	v_cmpx_ne_u16_e32 0x80, v8
	s_cbranch_execz .LBB319_570
; %bb.565:                              ;   in Loop: Header=BB319_11 Depth=1
	v_and_b32_sdwa v2, v8, v13 dst_sel:DWORD dst_unused:UNUSED_PAD src0_sel:WORD_0 src1_sel:DWORD
	v_mov_b32_e32 v120, 0x7c010000
	s_mov_b32 s23, exec_lo
	v_cmpx_ne_u32_e32 0x7f, v2
	s_cbranch_execz .LBB319_569
; %bb.566:                              ;   in Loop: Header=BB319_11 Depth=1
	v_mov_b32_e32 v0, 7
	v_lshrrev_b32_e32 v1, 3, v2
	s_mov_b32 s24, exec_lo
	v_and_b32_sdwa v0, v8, v0 dst_sel:DWORD dst_unused:UNUSED_PAD src0_sel:WORD_0 src1_sel:DWORD
	v_cmpx_gt_u32_e32 8, v2
; %bb.567:                              ;   in Loop: Header=BB319_11 Depth=1
	v_ffbh_u32_e32 v0, v0
	v_min_u32_e32 v2, 32, v0
	v_subrev_nc_u32_e32 v0, 28, v2
	v_lshlrev_b64 v[0:1], v0, v[8:9]
	v_sub_nc_u32_e32 v1, 29, v2
	v_and_b32_e32 v0, 7, v0
; %bb.568:                              ;   in Loop: Header=BB319_11 Depth=1
	s_or_b32 exec_lo, exec_lo, s24
	v_lshlrev_b32_sdwa v2, v25, v8 dst_sel:DWORD dst_unused:UNUSED_PAD src0_sel:DWORD src1_sel:WORD_0
	v_lshl_add_u32 v1, v1, 10, 0x2000
	v_lshlrev_b32_e32 v0, 23, v0
	v_and_or_b32 v1, 0x8000, v2, v1
	v_lshl_or_b32 v120, v1, 16, v0
.LBB319_569:                            ;   in Loop: Header=BB319_11 Depth=1
	s_or_b32 exec_lo, exec_lo, s23
.LBB319_570:                            ;   in Loop: Header=BB319_11 Depth=1
	s_or_b32 exec_lo, exec_lo, s22
.LBB319_571:                            ;   in Loop: Header=BB319_11 Depth=1
	s_or_b32 exec_lo, exec_lo, s21
	v_lshrrev_b32_e32 v8, 16, v31
	v_cmp_ne_u16_sdwa s5, v8, v9 src0_sel:BYTE_0 src1_sel:DWORD
	s_and_saveexec_b32 s21, s5
	s_cbranch_execz .LBB319_579
; %bb.572:                              ;   in Loop: Header=BB319_11 Depth=1
	v_cmp_ne_u16_sdwa s5, v8, v51 src0_sel:BYTE_0 src1_sel:DWORD
	v_mov_b32_e32 v109, 0x8000
	s_and_saveexec_b32 s22, s5
	s_cbranch_execz .LBB319_578
; %bb.573:                              ;   in Loop: Header=BB319_11 Depth=1
	v_bfe_u32 v2, v31, 16, 7
	v_mov_b32_e32 v109, 0x7c01
	s_mov_b32 s23, exec_lo
	v_cmpx_ne_u32_e32 0x7f, v2
	s_cbranch_execz .LBB319_577
; %bb.574:                              ;   in Loop: Header=BB319_11 Depth=1
	v_and_b32_e32 v0, 7, v8
	v_lshrrev_b32_e32 v1, 3, v2
	s_mov_b32 s24, exec_lo
	v_cmpx_gt_u32_e32 8, v2
; %bb.575:                              ;   in Loop: Header=BB319_11 Depth=1
	v_ffbh_u32_e32 v0, v0
	v_min_u32_e32 v2, 32, v0
	v_subrev_nc_u32_e32 v0, 28, v2
	v_lshlrev_b64 v[0:1], v0, v[8:9]
	v_sub_nc_u32_e32 v1, 29, v2
	v_and_b32_e32 v0, 7, v0
; %bb.576:                              ;   in Loop: Header=BB319_11 Depth=1
	s_or_b32 exec_lo, exec_lo, s24
	v_lshlrev_b32_e32 v2, 8, v8
	v_lshl_add_u32 v1, v1, 10, 0x2000
	v_lshlrev_b32_e32 v0, 7, v0
	v_and_b32_e32 v2, 0x8000, v2
	v_and_b32_e32 v1, 0xfc00, v1
	v_or3_b32 v109, v2, v1, v0
.LBB319_577:                            ;   in Loop: Header=BB319_11 Depth=1
	s_or_b32 exec_lo, exec_lo, s23
.LBB319_578:                            ;   in Loop: Header=BB319_11 Depth=1
	s_or_b32 exec_lo, exec_lo, s22
.LBB319_579:                            ;   in Loop: Header=BB319_11 Depth=1
	s_or_b32 exec_lo, exec_lo, s21
	v_mov_b32_e32 v88, 0
	v_mov_b32_e32 v36, 0
	s_mov_b32 s21, exec_lo
	v_cmpx_lt_u64_e64 s[6:7], v[30:31]
	s_cbranch_execz .LBB319_587
; %bb.580:                              ;   in Loop: Header=BB319_11 Depth=1
	v_lshrrev_b32_e32 v8, 24, v31
	v_bfrev_b32_e32 v36, 1
	s_mov_b32 s22, exec_lo
	v_cmpx_ne_u32_e32 0x80, v8
	s_cbranch_execz .LBB319_586
; %bb.581:                              ;   in Loop: Header=BB319_11 Depth=1
	v_and_b32_e32 v2, 0x7f, v8
	v_mov_b32_e32 v36, 0x7c010000
	s_mov_b32 s23, exec_lo
	v_cmpx_ne_u32_e32 0x7f, v2
	s_cbranch_execz .LBB319_585
; %bb.582:                              ;   in Loop: Header=BB319_11 Depth=1
	v_and_b32_e32 v0, 7, v8
	v_lshrrev_b32_e32 v1, 3, v2
	s_mov_b32 s24, exec_lo
	v_cmpx_gt_u32_e32 8, v2
; %bb.583:                              ;   in Loop: Header=BB319_11 Depth=1
	v_ffbh_u32_e32 v0, v0
	v_min_u32_e32 v2, 32, v0
	v_subrev_nc_u32_e32 v0, 28, v2
	v_lshlrev_b64 v[0:1], v0, v[8:9]
	v_sub_nc_u32_e32 v1, 29, v2
	v_and_b32_e32 v0, 7, v0
; %bb.584:                              ;   in Loop: Header=BB319_11 Depth=1
	s_or_b32 exec_lo, exec_lo, s24
	v_lshlrev_b32_e32 v2, 8, v8
	v_lshl_add_u32 v1, v1, 10, 0x2000
	v_lshlrev_b32_e32 v0, 23, v0
	v_and_or_b32 v1, 0x8000, v2, v1
	v_lshl_or_b32 v36, v1, 16, v0
.LBB319_585:                            ;   in Loop: Header=BB319_11 Depth=1
	s_or_b32 exec_lo, exec_lo, s23
.LBB319_586:                            ;   in Loop: Header=BB319_11 Depth=1
	s_or_b32 exec_lo, exec_lo, s22
.LBB319_587:                            ;   in Loop: Header=BB319_11 Depth=1
	s_or_b32 exec_lo, exec_lo, s21
	flat_load_dwordx2 v[30:31], v[28:29] offset:8
	s_waitcnt vmcnt(0) lgkmcnt(0)
	v_cmp_ne_u16_sdwa s5, v30, v9 src0_sel:BYTE_0 src1_sel:DWORD
	s_and_saveexec_b32 s21, s5
	s_cbranch_execz .LBB319_595
; %bb.588:                              ;   in Loop: Header=BB319_11 Depth=1
	v_cmp_ne_u16_sdwa s5, v30, v51 src0_sel:BYTE_0 src1_sel:DWORD
	v_mov_b32_e32 v88, 0x8000
	s_and_saveexec_b32 s22, s5
	s_cbranch_execz .LBB319_594
; %bb.589:                              ;   in Loop: Header=BB319_11 Depth=1
	v_and_b32_e32 v2, 0x7f, v30
	v_mov_b32_e32 v88, 0x7c01
	s_mov_b32 s23, exec_lo
	v_cmpx_ne_u32_e32 0x7f, v2
	s_cbranch_execz .LBB319_593
; %bb.590:                              ;   in Loop: Header=BB319_11 Depth=1
	v_and_b32_e32 v0, 7, v30
	v_lshrrev_b32_e32 v1, 3, v2
	s_mov_b32 s24, exec_lo
	v_cmpx_gt_u32_e32 8, v2
; %bb.591:                              ;   in Loop: Header=BB319_11 Depth=1
	v_ffbh_u32_e32 v0, v0
	v_min_u32_e32 v2, 32, v0
	v_subrev_nc_u32_e32 v0, 28, v2
	v_lshlrev_b64 v[0:1], v0, v[30:31]
	v_sub_nc_u32_e32 v1, 29, v2
	v_and_b32_e32 v0, 7, v0
; %bb.592:                              ;   in Loop: Header=BB319_11 Depth=1
	s_or_b32 exec_lo, exec_lo, s24
	v_lshlrev_b32_e32 v2, 8, v30
	v_lshl_add_u32 v1, v1, 10, 0x2000
	v_lshlrev_b32_e32 v0, 7, v0
	v_and_b32_e32 v2, 0x8000, v2
	v_and_b32_e32 v1, 0xfc00, v1
	v_or3_b32 v88, v2, v1, v0
.LBB319_593:                            ;   in Loop: Header=BB319_11 Depth=1
	s_or_b32 exec_lo, exec_lo, s23
.LBB319_594:                            ;   in Loop: Header=BB319_11 Depth=1
	s_or_b32 exec_lo, exec_lo, s22
.LBB319_595:                            ;   in Loop: Header=BB319_11 Depth=1
	s_or_b32 exec_lo, exec_lo, s21
	v_lshrrev_b16 v8, 8, v30
	v_mov_b32_e32 v92, 0
	v_mov_b32_e32 v89, 0
	s_mov_b32 s21, exec_lo
	v_cmpx_ne_u16_e32 0, v8
	s_cbranch_execz .LBB319_603
; %bb.596:                              ;   in Loop: Header=BB319_11 Depth=1
	v_bfrev_b32_e32 v89, 1
	s_mov_b32 s22, exec_lo
	v_cmpx_ne_u16_e32 0x80, v8
	s_cbranch_execz .LBB319_602
; %bb.597:                              ;   in Loop: Header=BB319_11 Depth=1
	v_and_b32_sdwa v2, v8, v13 dst_sel:DWORD dst_unused:UNUSED_PAD src0_sel:WORD_0 src1_sel:DWORD
	v_mov_b32_e32 v89, 0x7c010000
	s_mov_b32 s23, exec_lo
	v_cmpx_ne_u32_e32 0x7f, v2
	s_cbranch_execz .LBB319_601
; %bb.598:                              ;   in Loop: Header=BB319_11 Depth=1
	v_mov_b32_e32 v0, 7
	v_lshrrev_b32_e32 v1, 3, v2
	s_mov_b32 s24, exec_lo
	v_and_b32_sdwa v0, v8, v0 dst_sel:DWORD dst_unused:UNUSED_PAD src0_sel:WORD_0 src1_sel:DWORD
	v_cmpx_gt_u32_e32 8, v2
; %bb.599:                              ;   in Loop: Header=BB319_11 Depth=1
	v_ffbh_u32_e32 v0, v0
	v_min_u32_e32 v2, 32, v0
	v_subrev_nc_u32_e32 v0, 28, v2
	v_lshlrev_b64 v[0:1], v0, v[8:9]
	v_sub_nc_u32_e32 v1, 29, v2
	v_and_b32_e32 v0, 7, v0
; %bb.600:                              ;   in Loop: Header=BB319_11 Depth=1
	s_or_b32 exec_lo, exec_lo, s24
	v_lshlrev_b32_sdwa v2, v25, v8 dst_sel:DWORD dst_unused:UNUSED_PAD src0_sel:DWORD src1_sel:WORD_0
	v_lshl_add_u32 v1, v1, 10, 0x2000
	v_lshlrev_b32_e32 v0, 23, v0
	v_and_or_b32 v1, 0x8000, v2, v1
	v_lshl_or_b32 v89, v1, 16, v0
.LBB319_601:                            ;   in Loop: Header=BB319_11 Depth=1
	s_or_b32 exec_lo, exec_lo, s23
.LBB319_602:                            ;   in Loop: Header=BB319_11 Depth=1
	s_or_b32 exec_lo, exec_lo, s22
.LBB319_603:                            ;   in Loop: Header=BB319_11 Depth=1
	s_or_b32 exec_lo, exec_lo, s21
	v_lshrrev_b32_e32 v8, 16, v30
	v_cmp_ne_u16_sdwa s5, v8, v9 src0_sel:BYTE_0 src1_sel:DWORD
	s_and_saveexec_b32 s21, s5
	s_cbranch_execz .LBB319_611
; %bb.604:                              ;   in Loop: Header=BB319_11 Depth=1
	v_cmp_ne_u16_sdwa s5, v8, v51 src0_sel:BYTE_0 src1_sel:DWORD
	v_mov_b32_e32 v92, 0x8000
	s_and_saveexec_b32 s22, s5
	s_cbranch_execz .LBB319_610
; %bb.605:                              ;   in Loop: Header=BB319_11 Depth=1
	v_bfe_u32 v2, v30, 16, 7
	v_mov_b32_e32 v92, 0x7c01
	s_mov_b32 s23, exec_lo
	v_cmpx_ne_u32_e32 0x7f, v2
	s_cbranch_execz .LBB319_609
; %bb.606:                              ;   in Loop: Header=BB319_11 Depth=1
	v_and_b32_e32 v0, 7, v8
	v_lshrrev_b32_e32 v1, 3, v2
	s_mov_b32 s24, exec_lo
	v_cmpx_gt_u32_e32 8, v2
; %bb.607:                              ;   in Loop: Header=BB319_11 Depth=1
	v_ffbh_u32_e32 v0, v0
	v_min_u32_e32 v2, 32, v0
	v_subrev_nc_u32_e32 v0, 28, v2
	v_lshlrev_b64 v[0:1], v0, v[8:9]
	v_sub_nc_u32_e32 v1, 29, v2
	v_and_b32_e32 v0, 7, v0
; %bb.608:                              ;   in Loop: Header=BB319_11 Depth=1
	s_or_b32 exec_lo, exec_lo, s24
	v_lshlrev_b32_e32 v2, 8, v8
	v_lshl_add_u32 v1, v1, 10, 0x2000
	v_lshlrev_b32_e32 v0, 7, v0
	v_and_b32_e32 v2, 0x8000, v2
	v_and_b32_e32 v1, 0xfc00, v1
	v_or3_b32 v92, v2, v1, v0
.LBB319_609:                            ;   in Loop: Header=BB319_11 Depth=1
	s_or_b32 exec_lo, exec_lo, s23
.LBB319_610:                            ;   in Loop: Header=BB319_11 Depth=1
	s_or_b32 exec_lo, exec_lo, s22
.LBB319_611:                            ;   in Loop: Header=BB319_11 Depth=1
	s_or_b32 exec_lo, exec_lo, s21
	v_mov_b32_e32 v93, 0
	v_mov_b32_e32 v94, 0
	s_mov_b32 s21, exec_lo
	v_cmpx_lt_u32_e32 0xffffff, v30
	s_cbranch_execz .LBB319_619
; %bb.612:                              ;   in Loop: Header=BB319_11 Depth=1
	v_lshrrev_b32_e32 v8, 24, v30
	v_bfrev_b32_e32 v94, 1
	s_mov_b32 s22, exec_lo
	v_cmpx_ne_u32_e32 0x80, v8
	s_cbranch_execz .LBB319_618
; %bb.613:                              ;   in Loop: Header=BB319_11 Depth=1
	v_and_b32_e32 v2, 0x7f, v8
	v_mov_b32_e32 v94, 0x7c010000
	s_mov_b32 s23, exec_lo
	v_cmpx_ne_u32_e32 0x7f, v2
	s_cbranch_execz .LBB319_617
; %bb.614:                              ;   in Loop: Header=BB319_11 Depth=1
	v_and_b32_e32 v0, 7, v8
	v_lshrrev_b32_e32 v1, 3, v2
	s_mov_b32 s24, exec_lo
	v_cmpx_gt_u32_e32 8, v2
; %bb.615:                              ;   in Loop: Header=BB319_11 Depth=1
	v_ffbh_u32_e32 v0, v0
	v_min_u32_e32 v2, 32, v0
	v_subrev_nc_u32_e32 v0, 28, v2
	v_lshlrev_b64 v[0:1], v0, v[8:9]
	v_sub_nc_u32_e32 v1, 29, v2
	v_and_b32_e32 v0, 7, v0
; %bb.616:                              ;   in Loop: Header=BB319_11 Depth=1
	s_or_b32 exec_lo, exec_lo, s24
	v_lshlrev_b32_e32 v2, 8, v8
	v_lshl_add_u32 v1, v1, 10, 0x2000
	v_lshlrev_b32_e32 v0, 23, v0
	v_and_or_b32 v1, 0x8000, v2, v1
	v_lshl_or_b32 v94, v1, 16, v0
.LBB319_617:                            ;   in Loop: Header=BB319_11 Depth=1
	s_or_b32 exec_lo, exec_lo, s23
.LBB319_618:                            ;   in Loop: Header=BB319_11 Depth=1
	s_or_b32 exec_lo, exec_lo, s22
.LBB319_619:                            ;   in Loop: Header=BB319_11 Depth=1
	s_or_b32 exec_lo, exec_lo, s21
	v_mov_b32_e32 v8, v31
	v_cmp_ne_u16_sdwa s5, v31, v9 src0_sel:BYTE_0 src1_sel:DWORD
	s_and_saveexec_b32 s21, s5
	s_cbranch_execz .LBB319_627
; %bb.620:                              ;   in Loop: Header=BB319_11 Depth=1
	v_cmp_ne_u16_sdwa s5, v31, v51 src0_sel:BYTE_0 src1_sel:DWORD
	v_mov_b32_e32 v93, 0x8000
	s_and_saveexec_b32 s22, s5
	s_cbranch_execz .LBB319_626
; %bb.621:                              ;   in Loop: Header=BB319_11 Depth=1
	v_and_b32_e32 v2, 0x7f, v31
	v_mov_b32_e32 v93, 0x7c01
	s_mov_b32 s23, exec_lo
	v_cmpx_ne_u32_e32 0x7f, v2
	s_cbranch_execz .LBB319_625
; %bb.622:                              ;   in Loop: Header=BB319_11 Depth=1
	v_and_b32_e32 v0, 7, v31
	v_lshrrev_b32_e32 v1, 3, v2
	s_mov_b32 s24, exec_lo
	v_cmpx_gt_u32_e32 8, v2
; %bb.623:                              ;   in Loop: Header=BB319_11 Depth=1
	v_ffbh_u32_e32 v0, v0
	v_min_u32_e32 v2, 32, v0
	v_subrev_nc_u32_e32 v0, 28, v2
	v_lshlrev_b64 v[0:1], v0, v[8:9]
	v_sub_nc_u32_e32 v1, 29, v2
	v_and_b32_e32 v0, 7, v0
; %bb.624:                              ;   in Loop: Header=BB319_11 Depth=1
	s_or_b32 exec_lo, exec_lo, s24
	v_lshlrev_b32_e32 v2, 8, v31
	v_lshl_add_u32 v1, v1, 10, 0x2000
	v_lshlrev_b32_e32 v0, 7, v0
	v_and_b32_e32 v2, 0x8000, v2
	v_and_b32_e32 v1, 0xfc00, v1
	v_or3_b32 v93, v2, v1, v0
.LBB319_625:                            ;   in Loop: Header=BB319_11 Depth=1
	s_or_b32 exec_lo, exec_lo, s23
.LBB319_626:                            ;   in Loop: Header=BB319_11 Depth=1
	s_or_b32 exec_lo, exec_lo, s22
.LBB319_627:                            ;   in Loop: Header=BB319_11 Depth=1
	s_or_b32 exec_lo, exec_lo, s21
	v_lshrrev_b16 v8, 8, v8
	v_mov_b32_e32 v121, 0
	v_mov_b32_e32 v124, 0
	s_mov_b32 s21, exec_lo
	v_cmpx_ne_u16_e32 0, v8
	s_cbranch_execz .LBB319_635
; %bb.628:                              ;   in Loop: Header=BB319_11 Depth=1
	v_bfrev_b32_e32 v124, 1
	s_mov_b32 s22, exec_lo
	v_cmpx_ne_u16_e32 0x80, v8
	s_cbranch_execz .LBB319_634
; %bb.629:                              ;   in Loop: Header=BB319_11 Depth=1
	v_and_b32_sdwa v2, v8, v13 dst_sel:DWORD dst_unused:UNUSED_PAD src0_sel:WORD_0 src1_sel:DWORD
	v_mov_b32_e32 v124, 0x7c010000
	s_mov_b32 s23, exec_lo
	v_cmpx_ne_u32_e32 0x7f, v2
	s_cbranch_execz .LBB319_633
; %bb.630:                              ;   in Loop: Header=BB319_11 Depth=1
	v_mov_b32_e32 v0, 7
	v_lshrrev_b32_e32 v1, 3, v2
	s_mov_b32 s24, exec_lo
	v_and_b32_sdwa v0, v8, v0 dst_sel:DWORD dst_unused:UNUSED_PAD src0_sel:WORD_0 src1_sel:DWORD
	v_cmpx_gt_u32_e32 8, v2
; %bb.631:                              ;   in Loop: Header=BB319_11 Depth=1
	v_ffbh_u32_e32 v0, v0
	v_min_u32_e32 v2, 32, v0
	v_subrev_nc_u32_e32 v0, 28, v2
	v_lshlrev_b64 v[0:1], v0, v[8:9]
	v_sub_nc_u32_e32 v1, 29, v2
	v_and_b32_e32 v0, 7, v0
; %bb.632:                              ;   in Loop: Header=BB319_11 Depth=1
	s_or_b32 exec_lo, exec_lo, s24
	v_lshlrev_b32_sdwa v2, v25, v8 dst_sel:DWORD dst_unused:UNUSED_PAD src0_sel:DWORD src1_sel:WORD_0
	v_lshl_add_u32 v1, v1, 10, 0x2000
	v_lshlrev_b32_e32 v0, 23, v0
	v_and_or_b32 v1, 0x8000, v2, v1
	v_lshl_or_b32 v124, v1, 16, v0
.LBB319_633:                            ;   in Loop: Header=BB319_11 Depth=1
	s_or_b32 exec_lo, exec_lo, s23
.LBB319_634:                            ;   in Loop: Header=BB319_11 Depth=1
	s_or_b32 exec_lo, exec_lo, s22
.LBB319_635:                            ;   in Loop: Header=BB319_11 Depth=1
	s_or_b32 exec_lo, exec_lo, s21
	v_lshrrev_b32_e32 v8, 16, v31
	v_cmp_ne_u16_sdwa s5, v8, v9 src0_sel:BYTE_0 src1_sel:DWORD
	s_and_saveexec_b32 s21, s5
	s_cbranch_execz .LBB319_643
; %bb.636:                              ;   in Loop: Header=BB319_11 Depth=1
	v_cmp_ne_u16_sdwa s5, v8, v51 src0_sel:BYTE_0 src1_sel:DWORD
	v_mov_b32_e32 v121, 0x8000
	s_and_saveexec_b32 s22, s5
	s_cbranch_execz .LBB319_642
; %bb.637:                              ;   in Loop: Header=BB319_11 Depth=1
	v_bfe_u32 v2, v31, 16, 7
	v_mov_b32_e32 v121, 0x7c01
	s_mov_b32 s23, exec_lo
	v_cmpx_ne_u32_e32 0x7f, v2
	s_cbranch_execz .LBB319_641
; %bb.638:                              ;   in Loop: Header=BB319_11 Depth=1
	v_and_b32_e32 v0, 7, v8
	v_lshrrev_b32_e32 v1, 3, v2
	s_mov_b32 s24, exec_lo
	v_cmpx_gt_u32_e32 8, v2
; %bb.639:                              ;   in Loop: Header=BB319_11 Depth=1
	v_ffbh_u32_e32 v0, v0
	v_min_u32_e32 v2, 32, v0
	v_subrev_nc_u32_e32 v0, 28, v2
	v_lshlrev_b64 v[0:1], v0, v[8:9]
	v_sub_nc_u32_e32 v1, 29, v2
	v_and_b32_e32 v0, 7, v0
; %bb.640:                              ;   in Loop: Header=BB319_11 Depth=1
	s_or_b32 exec_lo, exec_lo, s24
	v_lshlrev_b32_e32 v2, 8, v8
	v_lshl_add_u32 v1, v1, 10, 0x2000
	v_lshlrev_b32_e32 v0, 7, v0
	v_and_b32_e32 v2, 0x8000, v2
	v_and_b32_e32 v1, 0xfc00, v1
	v_or3_b32 v121, v2, v1, v0
.LBB319_641:                            ;   in Loop: Header=BB319_11 Depth=1
	s_or_b32 exec_lo, exec_lo, s23
.LBB319_642:                            ;   in Loop: Header=BB319_11 Depth=1
	s_or_b32 exec_lo, exec_lo, s22
.LBB319_643:                            ;   in Loop: Header=BB319_11 Depth=1
	s_or_b32 exec_lo, exec_lo, s21
	v_mov_b32_e32 v58, 0
	v_mov_b32_e32 v125, 0
	s_mov_b32 s21, exec_lo
	v_cmpx_lt_u64_e64 s[6:7], v[30:31]
	s_cbranch_execz .LBB319_651
; %bb.644:                              ;   in Loop: Header=BB319_11 Depth=1
	v_lshrrev_b32_e32 v8, 24, v31
	v_bfrev_b32_e32 v125, 1
	s_mov_b32 s22, exec_lo
	v_cmpx_ne_u32_e32 0x80, v8
	s_cbranch_execz .LBB319_650
; %bb.645:                              ;   in Loop: Header=BB319_11 Depth=1
	v_and_b32_e32 v2, 0x7f, v8
	v_mov_b32_e32 v125, 0x7c010000
	s_mov_b32 s23, exec_lo
	v_cmpx_ne_u32_e32 0x7f, v2
	s_cbranch_execz .LBB319_649
; %bb.646:                              ;   in Loop: Header=BB319_11 Depth=1
	v_and_b32_e32 v0, 7, v8
	v_lshrrev_b32_e32 v1, 3, v2
	s_mov_b32 s24, exec_lo
	v_cmpx_gt_u32_e32 8, v2
; %bb.647:                              ;   in Loop: Header=BB319_11 Depth=1
	v_ffbh_u32_e32 v0, v0
	v_min_u32_e32 v2, 32, v0
	v_subrev_nc_u32_e32 v0, 28, v2
	v_lshlrev_b64 v[0:1], v0, v[8:9]
	v_sub_nc_u32_e32 v1, 29, v2
	v_and_b32_e32 v0, 7, v0
; %bb.648:                              ;   in Loop: Header=BB319_11 Depth=1
	s_or_b32 exec_lo, exec_lo, s24
	v_lshlrev_b32_e32 v2, 8, v8
	v_lshl_add_u32 v1, v1, 10, 0x2000
	v_lshlrev_b32_e32 v0, 23, v0
	v_and_or_b32 v1, 0x8000, v2, v1
	v_lshl_or_b32 v125, v1, 16, v0
.LBB319_649:                            ;   in Loop: Header=BB319_11 Depth=1
	s_or_b32 exec_lo, exec_lo, s23
.LBB319_650:                            ;   in Loop: Header=BB319_11 Depth=1
	s_or_b32 exec_lo, exec_lo, s22
.LBB319_651:                            ;   in Loop: Header=BB319_11 Depth=1
	s_or_b32 exec_lo, exec_lo, s21
	flat_load_dwordx2 v[30:31], v[28:29] offset:512
	s_waitcnt vmcnt(0) lgkmcnt(0)
	v_cmp_ne_u16_sdwa s5, v30, v9 src0_sel:BYTE_0 src1_sel:DWORD
	s_and_saveexec_b32 s21, s5
	s_cbranch_execz .LBB319_659
; %bb.652:                              ;   in Loop: Header=BB319_11 Depth=1
	v_cmp_ne_u16_sdwa s5, v30, v51 src0_sel:BYTE_0 src1_sel:DWORD
	v_mov_b32_e32 v58, 0x8000
	s_and_saveexec_b32 s22, s5
	s_cbranch_execz .LBB319_658
; %bb.653:                              ;   in Loop: Header=BB319_11 Depth=1
	v_and_b32_e32 v2, 0x7f, v30
	v_mov_b32_e32 v58, 0x7c01
	s_mov_b32 s23, exec_lo
	v_cmpx_ne_u32_e32 0x7f, v2
	s_cbranch_execz .LBB319_657
; %bb.654:                              ;   in Loop: Header=BB319_11 Depth=1
	v_and_b32_e32 v0, 7, v30
	v_lshrrev_b32_e32 v1, 3, v2
	s_mov_b32 s24, exec_lo
	v_cmpx_gt_u32_e32 8, v2
; %bb.655:                              ;   in Loop: Header=BB319_11 Depth=1
	v_ffbh_u32_e32 v0, v0
	v_min_u32_e32 v2, 32, v0
	v_subrev_nc_u32_e32 v0, 28, v2
	v_lshlrev_b64 v[0:1], v0, v[30:31]
	v_sub_nc_u32_e32 v1, 29, v2
	v_and_b32_e32 v0, 7, v0
; %bb.656:                              ;   in Loop: Header=BB319_11 Depth=1
	s_or_b32 exec_lo, exec_lo, s24
	v_lshlrev_b32_e32 v2, 8, v30
	v_lshl_add_u32 v1, v1, 10, 0x2000
	v_lshlrev_b32_e32 v0, 7, v0
	v_and_b32_e32 v2, 0x8000, v2
	v_and_b32_e32 v1, 0xfc00, v1
	v_or3_b32 v58, v2, v1, v0
.LBB319_657:                            ;   in Loop: Header=BB319_11 Depth=1
	s_or_b32 exec_lo, exec_lo, s23
.LBB319_658:                            ;   in Loop: Header=BB319_11 Depth=1
	s_or_b32 exec_lo, exec_lo, s22
.LBB319_659:                            ;   in Loop: Header=BB319_11 Depth=1
	s_or_b32 exec_lo, exec_lo, s21
	v_lshrrev_b16 v8, 8, v30
	v_mov_b32_e32 v72, 0
	v_mov_b32_e32 v59, 0
	s_mov_b32 s21, exec_lo
	v_cmpx_ne_u16_e32 0, v8
	s_cbranch_execz .LBB319_667
; %bb.660:                              ;   in Loop: Header=BB319_11 Depth=1
	v_bfrev_b32_e32 v59, 1
	s_mov_b32 s22, exec_lo
	v_cmpx_ne_u16_e32 0x80, v8
	s_cbranch_execz .LBB319_666
; %bb.661:                              ;   in Loop: Header=BB319_11 Depth=1
	v_and_b32_sdwa v2, v8, v13 dst_sel:DWORD dst_unused:UNUSED_PAD src0_sel:WORD_0 src1_sel:DWORD
	v_mov_b32_e32 v59, 0x7c010000
	s_mov_b32 s23, exec_lo
	v_cmpx_ne_u32_e32 0x7f, v2
	s_cbranch_execz .LBB319_665
; %bb.662:                              ;   in Loop: Header=BB319_11 Depth=1
	v_mov_b32_e32 v0, 7
	v_lshrrev_b32_e32 v1, 3, v2
	s_mov_b32 s24, exec_lo
	v_and_b32_sdwa v0, v8, v0 dst_sel:DWORD dst_unused:UNUSED_PAD src0_sel:WORD_0 src1_sel:DWORD
	v_cmpx_gt_u32_e32 8, v2
; %bb.663:                              ;   in Loop: Header=BB319_11 Depth=1
	v_ffbh_u32_e32 v0, v0
	v_min_u32_e32 v2, 32, v0
	v_subrev_nc_u32_e32 v0, 28, v2
	v_lshlrev_b64 v[0:1], v0, v[8:9]
	v_sub_nc_u32_e32 v1, 29, v2
	v_and_b32_e32 v0, 7, v0
; %bb.664:                              ;   in Loop: Header=BB319_11 Depth=1
	s_or_b32 exec_lo, exec_lo, s24
	v_lshlrev_b32_sdwa v2, v25, v8 dst_sel:DWORD dst_unused:UNUSED_PAD src0_sel:DWORD src1_sel:WORD_0
	v_lshl_add_u32 v1, v1, 10, 0x2000
	v_lshlrev_b32_e32 v0, 23, v0
	v_and_or_b32 v1, 0x8000, v2, v1
	v_lshl_or_b32 v59, v1, 16, v0
.LBB319_665:                            ;   in Loop: Header=BB319_11 Depth=1
	s_or_b32 exec_lo, exec_lo, s23
.LBB319_666:                            ;   in Loop: Header=BB319_11 Depth=1
	s_or_b32 exec_lo, exec_lo, s22
.LBB319_667:                            ;   in Loop: Header=BB319_11 Depth=1
	s_or_b32 exec_lo, exec_lo, s21
	v_lshrrev_b32_e32 v8, 16, v30
	v_cmp_ne_u16_sdwa s5, v8, v9 src0_sel:BYTE_0 src1_sel:DWORD
	s_and_saveexec_b32 s21, s5
	s_cbranch_execz .LBB319_675
; %bb.668:                              ;   in Loop: Header=BB319_11 Depth=1
	v_cmp_ne_u16_sdwa s5, v8, v51 src0_sel:BYTE_0 src1_sel:DWORD
	v_mov_b32_e32 v72, 0x8000
	s_and_saveexec_b32 s22, s5
	s_cbranch_execz .LBB319_674
; %bb.669:                              ;   in Loop: Header=BB319_11 Depth=1
	v_bfe_u32 v2, v30, 16, 7
	v_mov_b32_e32 v72, 0x7c01
	s_mov_b32 s23, exec_lo
	v_cmpx_ne_u32_e32 0x7f, v2
	s_cbranch_execz .LBB319_673
; %bb.670:                              ;   in Loop: Header=BB319_11 Depth=1
	v_and_b32_e32 v0, 7, v8
	v_lshrrev_b32_e32 v1, 3, v2
	s_mov_b32 s24, exec_lo
	v_cmpx_gt_u32_e32 8, v2
; %bb.671:                              ;   in Loop: Header=BB319_11 Depth=1
	v_ffbh_u32_e32 v0, v0
	v_min_u32_e32 v2, 32, v0
	v_subrev_nc_u32_e32 v0, 28, v2
	v_lshlrev_b64 v[0:1], v0, v[8:9]
	v_sub_nc_u32_e32 v1, 29, v2
	v_and_b32_e32 v0, 7, v0
; %bb.672:                              ;   in Loop: Header=BB319_11 Depth=1
	s_or_b32 exec_lo, exec_lo, s24
	v_lshlrev_b32_e32 v2, 8, v8
	v_lshl_add_u32 v1, v1, 10, 0x2000
	v_lshlrev_b32_e32 v0, 7, v0
	v_and_b32_e32 v2, 0x8000, v2
	v_and_b32_e32 v1, 0xfc00, v1
	v_or3_b32 v72, v2, v1, v0
.LBB319_673:                            ;   in Loop: Header=BB319_11 Depth=1
	s_or_b32 exec_lo, exec_lo, s23
.LBB319_674:                            ;   in Loop: Header=BB319_11 Depth=1
	s_or_b32 exec_lo, exec_lo, s22
.LBB319_675:                            ;   in Loop: Header=BB319_11 Depth=1
	s_or_b32 exec_lo, exec_lo, s21
	v_mov_b32_e32 v73, 0
	v_mov_b32_e32 v74, 0
	s_mov_b32 s21, exec_lo
	v_cmpx_lt_u32_e32 0xffffff, v30
	s_cbranch_execz .LBB319_683
; %bb.676:                              ;   in Loop: Header=BB319_11 Depth=1
	v_lshrrev_b32_e32 v8, 24, v30
	v_bfrev_b32_e32 v74, 1
	s_mov_b32 s22, exec_lo
	v_cmpx_ne_u32_e32 0x80, v8
	s_cbranch_execz .LBB319_682
; %bb.677:                              ;   in Loop: Header=BB319_11 Depth=1
	v_and_b32_e32 v2, 0x7f, v8
	v_mov_b32_e32 v74, 0x7c010000
	s_mov_b32 s23, exec_lo
	v_cmpx_ne_u32_e32 0x7f, v2
	s_cbranch_execz .LBB319_681
; %bb.678:                              ;   in Loop: Header=BB319_11 Depth=1
	v_and_b32_e32 v0, 7, v8
	v_lshrrev_b32_e32 v1, 3, v2
	s_mov_b32 s24, exec_lo
	v_cmpx_gt_u32_e32 8, v2
; %bb.679:                              ;   in Loop: Header=BB319_11 Depth=1
	v_ffbh_u32_e32 v0, v0
	v_min_u32_e32 v2, 32, v0
	v_subrev_nc_u32_e32 v0, 28, v2
	v_lshlrev_b64 v[0:1], v0, v[8:9]
	v_sub_nc_u32_e32 v1, 29, v2
	v_and_b32_e32 v0, 7, v0
; %bb.680:                              ;   in Loop: Header=BB319_11 Depth=1
	s_or_b32 exec_lo, exec_lo, s24
	v_lshlrev_b32_e32 v2, 8, v8
	v_lshl_add_u32 v1, v1, 10, 0x2000
	v_lshlrev_b32_e32 v0, 23, v0
	v_and_or_b32 v1, 0x8000, v2, v1
	v_lshl_or_b32 v74, v1, 16, v0
.LBB319_681:                            ;   in Loop: Header=BB319_11 Depth=1
	s_or_b32 exec_lo, exec_lo, s23
.LBB319_682:                            ;   in Loop: Header=BB319_11 Depth=1
	s_or_b32 exec_lo, exec_lo, s22
.LBB319_683:                            ;   in Loop: Header=BB319_11 Depth=1
	s_or_b32 exec_lo, exec_lo, s21
	v_mov_b32_e32 v8, v31
	v_cmp_ne_u16_sdwa s5, v31, v9 src0_sel:BYTE_0 src1_sel:DWORD
	s_and_saveexec_b32 s21, s5
	s_cbranch_execz .LBB319_691
; %bb.684:                              ;   in Loop: Header=BB319_11 Depth=1
	v_cmp_ne_u16_sdwa s5, v31, v51 src0_sel:BYTE_0 src1_sel:DWORD
	v_mov_b32_e32 v73, 0x8000
	s_and_saveexec_b32 s22, s5
	s_cbranch_execz .LBB319_690
; %bb.685:                              ;   in Loop: Header=BB319_11 Depth=1
	v_and_b32_e32 v2, 0x7f, v31
	v_mov_b32_e32 v73, 0x7c01
	s_mov_b32 s23, exec_lo
	v_cmpx_ne_u32_e32 0x7f, v2
	s_cbranch_execz .LBB319_689
; %bb.686:                              ;   in Loop: Header=BB319_11 Depth=1
	v_and_b32_e32 v0, 7, v31
	v_lshrrev_b32_e32 v1, 3, v2
	s_mov_b32 s24, exec_lo
	v_cmpx_gt_u32_e32 8, v2
; %bb.687:                              ;   in Loop: Header=BB319_11 Depth=1
	v_ffbh_u32_e32 v0, v0
	v_min_u32_e32 v2, 32, v0
	v_subrev_nc_u32_e32 v0, 28, v2
	v_lshlrev_b64 v[0:1], v0, v[8:9]
	v_sub_nc_u32_e32 v1, 29, v2
	v_and_b32_e32 v0, 7, v0
; %bb.688:                              ;   in Loop: Header=BB319_11 Depth=1
	s_or_b32 exec_lo, exec_lo, s24
	v_lshlrev_b32_e32 v2, 8, v31
	v_lshl_add_u32 v1, v1, 10, 0x2000
	v_lshlrev_b32_e32 v0, 7, v0
	v_and_b32_e32 v2, 0x8000, v2
	v_and_b32_e32 v1, 0xfc00, v1
	v_or3_b32 v73, v2, v1, v0
.LBB319_689:                            ;   in Loop: Header=BB319_11 Depth=1
	s_or_b32 exec_lo, exec_lo, s23
.LBB319_690:                            ;   in Loop: Header=BB319_11 Depth=1
	s_or_b32 exec_lo, exec_lo, s22
.LBB319_691:                            ;   in Loop: Header=BB319_11 Depth=1
	s_or_b32 exec_lo, exec_lo, s21
	v_lshrrev_b16 v8, 8, v8
	v_mov_b32_e32 v95, 0
	v_mov_b32_e32 v106, 0
	s_mov_b32 s21, exec_lo
	v_cmpx_ne_u16_e32 0, v8
	s_cbranch_execz .LBB319_699
; %bb.692:                              ;   in Loop: Header=BB319_11 Depth=1
	v_bfrev_b32_e32 v106, 1
	s_mov_b32 s22, exec_lo
	v_cmpx_ne_u16_e32 0x80, v8
	s_cbranch_execz .LBB319_698
; %bb.693:                              ;   in Loop: Header=BB319_11 Depth=1
	v_and_b32_sdwa v2, v8, v13 dst_sel:DWORD dst_unused:UNUSED_PAD src0_sel:WORD_0 src1_sel:DWORD
	v_mov_b32_e32 v106, 0x7c010000
	s_mov_b32 s23, exec_lo
	v_cmpx_ne_u32_e32 0x7f, v2
	s_cbranch_execz .LBB319_697
; %bb.694:                              ;   in Loop: Header=BB319_11 Depth=1
	v_mov_b32_e32 v0, 7
	v_lshrrev_b32_e32 v1, 3, v2
	s_mov_b32 s24, exec_lo
	v_and_b32_sdwa v0, v8, v0 dst_sel:DWORD dst_unused:UNUSED_PAD src0_sel:WORD_0 src1_sel:DWORD
	v_cmpx_gt_u32_e32 8, v2
; %bb.695:                              ;   in Loop: Header=BB319_11 Depth=1
	v_ffbh_u32_e32 v0, v0
	v_min_u32_e32 v2, 32, v0
	v_subrev_nc_u32_e32 v0, 28, v2
	v_lshlrev_b64 v[0:1], v0, v[8:9]
	v_sub_nc_u32_e32 v1, 29, v2
	v_and_b32_e32 v0, 7, v0
; %bb.696:                              ;   in Loop: Header=BB319_11 Depth=1
	s_or_b32 exec_lo, exec_lo, s24
	v_lshlrev_b32_sdwa v2, v25, v8 dst_sel:DWORD dst_unused:UNUSED_PAD src0_sel:DWORD src1_sel:WORD_0
	v_lshl_add_u32 v1, v1, 10, 0x2000
	v_lshlrev_b32_e32 v0, 23, v0
	v_and_or_b32 v1, 0x8000, v2, v1
	v_lshl_or_b32 v106, v1, 16, v0
.LBB319_697:                            ;   in Loop: Header=BB319_11 Depth=1
	s_or_b32 exec_lo, exec_lo, s23
.LBB319_698:                            ;   in Loop: Header=BB319_11 Depth=1
	s_or_b32 exec_lo, exec_lo, s22
.LBB319_699:                            ;   in Loop: Header=BB319_11 Depth=1
	s_or_b32 exec_lo, exec_lo, s21
	v_lshrrev_b32_e32 v8, 16, v31
	v_cmp_ne_u16_sdwa s5, v8, v9 src0_sel:BYTE_0 src1_sel:DWORD
	s_and_saveexec_b32 s21, s5
	s_cbranch_execz .LBB319_707
; %bb.700:                              ;   in Loop: Header=BB319_11 Depth=1
	v_cmp_ne_u16_sdwa s5, v8, v51 src0_sel:BYTE_0 src1_sel:DWORD
	v_mov_b32_e32 v95, 0x8000
	s_and_saveexec_b32 s22, s5
	s_cbranch_execz .LBB319_706
; %bb.701:                              ;   in Loop: Header=BB319_11 Depth=1
	v_bfe_u32 v2, v31, 16, 7
	v_mov_b32_e32 v95, 0x7c01
	s_mov_b32 s23, exec_lo
	v_cmpx_ne_u32_e32 0x7f, v2
	s_cbranch_execz .LBB319_705
; %bb.702:                              ;   in Loop: Header=BB319_11 Depth=1
	v_and_b32_e32 v0, 7, v8
	v_lshrrev_b32_e32 v1, 3, v2
	s_mov_b32 s24, exec_lo
	v_cmpx_gt_u32_e32 8, v2
; %bb.703:                              ;   in Loop: Header=BB319_11 Depth=1
	v_ffbh_u32_e32 v0, v0
	v_min_u32_e32 v2, 32, v0
	v_subrev_nc_u32_e32 v0, 28, v2
	v_lshlrev_b64 v[0:1], v0, v[8:9]
	v_sub_nc_u32_e32 v1, 29, v2
	v_and_b32_e32 v0, 7, v0
; %bb.704:                              ;   in Loop: Header=BB319_11 Depth=1
	s_or_b32 exec_lo, exec_lo, s24
	v_lshlrev_b32_e32 v2, 8, v8
	v_lshl_add_u32 v1, v1, 10, 0x2000
	v_lshlrev_b32_e32 v0, 7, v0
	v_and_b32_e32 v2, 0x8000, v2
	v_and_b32_e32 v1, 0xfc00, v1
	v_or3_b32 v95, v2, v1, v0
.LBB319_705:                            ;   in Loop: Header=BB319_11 Depth=1
	s_or_b32 exec_lo, exec_lo, s23
.LBB319_706:                            ;   in Loop: Header=BB319_11 Depth=1
	s_or_b32 exec_lo, exec_lo, s22
.LBB319_707:                            ;   in Loop: Header=BB319_11 Depth=1
	s_or_b32 exec_lo, exec_lo, s21
	v_cmp_lt_u64_e64 s5, s[6:7], v[30:31]
	v_mov_b32_e32 v30, 0
	v_mov_b32_e32 v107, 0
	s_and_saveexec_b32 s21, s5
	s_cbranch_execz .LBB319_715
; %bb.708:                              ;   in Loop: Header=BB319_11 Depth=1
	v_lshrrev_b32_e32 v8, 24, v31
	v_bfrev_b32_e32 v107, 1
	s_mov_b32 s22, exec_lo
	v_cmpx_ne_u32_e32 0x80, v8
	s_cbranch_execz .LBB319_714
; %bb.709:                              ;   in Loop: Header=BB319_11 Depth=1
	v_and_b32_e32 v2, 0x7f, v8
	v_mov_b32_e32 v107, 0x7c010000
	s_mov_b32 s23, exec_lo
	v_cmpx_ne_u32_e32 0x7f, v2
	s_cbranch_execz .LBB319_713
; %bb.710:                              ;   in Loop: Header=BB319_11 Depth=1
	v_and_b32_e32 v0, 7, v8
	v_lshrrev_b32_e32 v1, 3, v2
	s_mov_b32 s24, exec_lo
	v_cmpx_gt_u32_e32 8, v2
; %bb.711:                              ;   in Loop: Header=BB319_11 Depth=1
	v_ffbh_u32_e32 v0, v0
	v_min_u32_e32 v2, 32, v0
	v_subrev_nc_u32_e32 v0, 28, v2
	v_lshlrev_b64 v[0:1], v0, v[8:9]
	v_sub_nc_u32_e32 v1, 29, v2
	v_and_b32_e32 v0, 7, v0
; %bb.712:                              ;   in Loop: Header=BB319_11 Depth=1
	s_or_b32 exec_lo, exec_lo, s24
	v_lshlrev_b32_e32 v2, 8, v8
	v_lshl_add_u32 v1, v1, 10, 0x2000
	v_lshlrev_b32_e32 v0, 23, v0
	v_and_or_b32 v1, 0x8000, v2, v1
	v_lshl_or_b32 v107, v1, 16, v0
.LBB319_713:                            ;   in Loop: Header=BB319_11 Depth=1
	s_or_b32 exec_lo, exec_lo, s23
.LBB319_714:                            ;   in Loop: Header=BB319_11 Depth=1
	s_or_b32 exec_lo, exec_lo, s22
.LBB319_715:                            ;   in Loop: Header=BB319_11 Depth=1
	s_or_b32 exec_lo, exec_lo, s21
	flat_load_dwordx2 v[28:29], v[28:29] offset:520
	s_waitcnt vmcnt(0) lgkmcnt(0)
	v_cmp_ne_u16_sdwa s5, v28, v9 src0_sel:BYTE_0 src1_sel:DWORD
	s_and_saveexec_b32 s21, s5
	s_cbranch_execz .LBB319_723
; %bb.716:                              ;   in Loop: Header=BB319_11 Depth=1
	v_cmp_ne_u16_sdwa s5, v28, v51 src0_sel:BYTE_0 src1_sel:DWORD
	v_mov_b32_e32 v30, 0x8000
	s_and_saveexec_b32 s22, s5
	s_cbranch_execz .LBB319_722
; %bb.717:                              ;   in Loop: Header=BB319_11 Depth=1
	v_and_b32_e32 v2, 0x7f, v28
	v_mov_b32_e32 v30, 0x7c01
	s_mov_b32 s23, exec_lo
	v_cmpx_ne_u32_e32 0x7f, v2
	s_cbranch_execz .LBB319_721
; %bb.718:                              ;   in Loop: Header=BB319_11 Depth=1
	v_and_b32_e32 v0, 7, v28
	v_lshrrev_b32_e32 v1, 3, v2
	s_mov_b32 s24, exec_lo
	v_cmpx_gt_u32_e32 8, v2
; %bb.719:                              ;   in Loop: Header=BB319_11 Depth=1
	v_ffbh_u32_e32 v0, v0
	v_min_u32_e32 v2, 32, v0
	v_subrev_nc_u32_e32 v0, 28, v2
	v_lshlrev_b64 v[0:1], v0, v[28:29]
	v_sub_nc_u32_e32 v1, 29, v2
	v_and_b32_e32 v0, 7, v0
; %bb.720:                              ;   in Loop: Header=BB319_11 Depth=1
	s_or_b32 exec_lo, exec_lo, s24
	v_lshlrev_b32_e32 v2, 8, v28
	v_lshl_add_u32 v1, v1, 10, 0x2000
	v_lshlrev_b32_e32 v0, 7, v0
	v_and_b32_e32 v2, 0x8000, v2
	v_and_b32_e32 v1, 0xfc00, v1
	v_or3_b32 v30, v2, v1, v0
.LBB319_721:                            ;   in Loop: Header=BB319_11 Depth=1
	s_or_b32 exec_lo, exec_lo, s23
.LBB319_722:                            ;   in Loop: Header=BB319_11 Depth=1
	s_or_b32 exec_lo, exec_lo, s22
.LBB319_723:                            ;   in Loop: Header=BB319_11 Depth=1
	s_or_b32 exec_lo, exec_lo, s21
	v_lshrrev_b16 v8, 8, v28
	v_mov_b32_e32 v3, 0
	v_mov_b32_e32 v31, 0
	s_mov_b32 s21, exec_lo
	v_cmpx_ne_u16_e32 0, v8
	s_cbranch_execz .LBB319_731
; %bb.724:                              ;   in Loop: Header=BB319_11 Depth=1
	v_bfrev_b32_e32 v31, 1
	s_mov_b32 s22, exec_lo
	v_cmpx_ne_u16_e32 0x80, v8
	s_cbranch_execz .LBB319_730
; %bb.725:                              ;   in Loop: Header=BB319_11 Depth=1
	v_and_b32_sdwa v2, v8, v13 dst_sel:DWORD dst_unused:UNUSED_PAD src0_sel:WORD_0 src1_sel:DWORD
	v_mov_b32_e32 v31, 0x7c010000
	s_mov_b32 s23, exec_lo
	v_cmpx_ne_u32_e32 0x7f, v2
	s_cbranch_execz .LBB319_729
; %bb.726:                              ;   in Loop: Header=BB319_11 Depth=1
	v_mov_b32_e32 v0, 7
	v_lshrrev_b32_e32 v1, 3, v2
	s_mov_b32 s24, exec_lo
	v_and_b32_sdwa v0, v8, v0 dst_sel:DWORD dst_unused:UNUSED_PAD src0_sel:WORD_0 src1_sel:DWORD
	v_cmpx_gt_u32_e32 8, v2
; %bb.727:                              ;   in Loop: Header=BB319_11 Depth=1
	v_ffbh_u32_e32 v0, v0
	v_min_u32_e32 v2, 32, v0
	v_subrev_nc_u32_e32 v0, 28, v2
	v_lshlrev_b64 v[0:1], v0, v[8:9]
	v_sub_nc_u32_e32 v1, 29, v2
	v_and_b32_e32 v0, 7, v0
; %bb.728:                              ;   in Loop: Header=BB319_11 Depth=1
	s_or_b32 exec_lo, exec_lo, s24
	v_lshlrev_b32_sdwa v2, v25, v8 dst_sel:DWORD dst_unused:UNUSED_PAD src0_sel:DWORD src1_sel:WORD_0
	v_lshl_add_u32 v1, v1, 10, 0x2000
	v_lshlrev_b32_e32 v0, 23, v0
	v_and_or_b32 v1, 0x8000, v2, v1
	v_lshl_or_b32 v31, v1, 16, v0
.LBB319_729:                            ;   in Loop: Header=BB319_11 Depth=1
	s_or_b32 exec_lo, exec_lo, s23
.LBB319_730:                            ;   in Loop: Header=BB319_11 Depth=1
	s_or_b32 exec_lo, exec_lo, s22
.LBB319_731:                            ;   in Loop: Header=BB319_11 Depth=1
	s_or_b32 exec_lo, exec_lo, s21
	v_lshrrev_b32_e32 v8, 16, v28
	v_cmp_ne_u16_sdwa s5, v8, v9 src0_sel:BYTE_0 src1_sel:DWORD
	s_and_saveexec_b32 s21, s5
	s_cbranch_execz .LBB319_739
; %bb.732:                              ;   in Loop: Header=BB319_11 Depth=1
	v_cmp_ne_u16_sdwa s5, v8, v51 src0_sel:BYTE_0 src1_sel:DWORD
	v_mov_b32_e32 v3, 0x8000
	s_and_saveexec_b32 s22, s5
	s_cbranch_execz .LBB319_738
; %bb.733:                              ;   in Loop: Header=BB319_11 Depth=1
	v_bfe_u32 v2, v28, 16, 7
	v_mov_b32_e32 v3, 0x7c01
	s_mov_b32 s23, exec_lo
	v_cmpx_ne_u32_e32 0x7f, v2
	s_cbranch_execz .LBB319_737
; %bb.734:                              ;   in Loop: Header=BB319_11 Depth=1
	v_and_b32_e32 v0, 7, v8
	v_lshrrev_b32_e32 v1, 3, v2
	s_mov_b32 s24, exec_lo
	v_cmpx_gt_u32_e32 8, v2
; %bb.735:                              ;   in Loop: Header=BB319_11 Depth=1
	v_ffbh_u32_e32 v0, v0
	v_min_u32_e32 v2, 32, v0
	v_subrev_nc_u32_e32 v0, 28, v2
	v_lshlrev_b64 v[0:1], v0, v[8:9]
	v_sub_nc_u32_e32 v1, 29, v2
	v_and_b32_e32 v0, 7, v0
; %bb.736:                              ;   in Loop: Header=BB319_11 Depth=1
	s_or_b32 exec_lo, exec_lo, s24
	v_lshlrev_b32_e32 v2, 8, v8
	v_lshl_add_u32 v1, v1, 10, 0x2000
	v_lshlrev_b32_e32 v0, 7, v0
	v_and_b32_e32 v2, 0x8000, v2
	v_and_b32_e32 v1, 0xfc00, v1
	v_or3_b32 v3, v2, v1, v0
.LBB319_737:                            ;   in Loop: Header=BB319_11 Depth=1
	s_or_b32 exec_lo, exec_lo, s23
.LBB319_738:                            ;   in Loop: Header=BB319_11 Depth=1
	s_or_b32 exec_lo, exec_lo, s22
.LBB319_739:                            ;   in Loop: Header=BB319_11 Depth=1
	s_or_b32 exec_lo, exec_lo, s21
	v_mov_b32_e32 v2, 0
	v_mov_b32_e32 v32, 0
	s_mov_b32 s21, exec_lo
	v_cmpx_lt_u32_e32 0xffffff, v28
	s_cbranch_execz .LBB319_747
; %bb.740:                              ;   in Loop: Header=BB319_11 Depth=1
	v_lshrrev_b32_e32 v8, 24, v28
	v_bfrev_b32_e32 v32, 1
	s_mov_b32 s22, exec_lo
	v_cmpx_ne_u32_e32 0x80, v8
	s_cbranch_execz .LBB319_746
; %bb.741:                              ;   in Loop: Header=BB319_11 Depth=1
	v_and_b32_e32 v18, 0x7f, v8
	v_mov_b32_e32 v32, 0x7c010000
	s_mov_b32 s23, exec_lo
	v_cmpx_ne_u32_e32 0x7f, v18
	s_cbranch_execz .LBB319_745
; %bb.742:                              ;   in Loop: Header=BB319_11 Depth=1
	v_and_b32_e32 v0, 7, v8
	v_lshrrev_b32_e32 v1, 3, v18
	s_mov_b32 s24, exec_lo
	v_cmpx_gt_u32_e32 8, v18
; %bb.743:                              ;   in Loop: Header=BB319_11 Depth=1
	v_ffbh_u32_e32 v0, v0
	v_min_u32_e32 v7, 32, v0
	v_subrev_nc_u32_e32 v0, 28, v7
	v_lshlrev_b64 v[0:1], v0, v[8:9]
	v_sub_nc_u32_e32 v1, 29, v7
	v_and_b32_e32 v0, 7, v0
; %bb.744:                              ;   in Loop: Header=BB319_11 Depth=1
	s_or_b32 exec_lo, exec_lo, s24
	v_lshlrev_b32_e32 v7, 8, v8
	v_lshl_add_u32 v1, v1, 10, 0x2000
	v_lshlrev_b32_e32 v0, 23, v0
	v_and_or_b32 v1, 0x8000, v7, v1
	v_lshl_or_b32 v32, v1, 16, v0
.LBB319_745:                            ;   in Loop: Header=BB319_11 Depth=1
	s_or_b32 exec_lo, exec_lo, s23
.LBB319_746:                            ;   in Loop: Header=BB319_11 Depth=1
	s_or_b32 exec_lo, exec_lo, s22
.LBB319_747:                            ;   in Loop: Header=BB319_11 Depth=1
	s_or_b32 exec_lo, exec_lo, s21
	v_mov_b32_e32 v8, v29
	v_cmp_ne_u16_sdwa s5, v29, v9 src0_sel:BYTE_0 src1_sel:DWORD
	s_and_saveexec_b32 s21, s5
	s_cbranch_execz .LBB319_755
; %bb.748:                              ;   in Loop: Header=BB319_11 Depth=1
	v_cmp_ne_u16_sdwa s5, v29, v51 src0_sel:BYTE_0 src1_sel:DWORD
	v_mov_b32_e32 v2, 0x8000
	s_and_saveexec_b32 s22, s5
	s_cbranch_execz .LBB319_754
; %bb.749:                              ;   in Loop: Header=BB319_11 Depth=1
	v_and_b32_e32 v18, 0x7f, v29
	v_mov_b32_e32 v2, 0x7c01
	s_mov_b32 s23, exec_lo
	v_cmpx_ne_u32_e32 0x7f, v18
	s_cbranch_execz .LBB319_753
; %bb.750:                              ;   in Loop: Header=BB319_11 Depth=1
	v_and_b32_e32 v0, 7, v29
	v_lshrrev_b32_e32 v1, 3, v18
	s_mov_b32 s24, exec_lo
	v_cmpx_gt_u32_e32 8, v18
; %bb.751:                              ;   in Loop: Header=BB319_11 Depth=1
	v_ffbh_u32_e32 v0, v0
	v_min_u32_e32 v2, 32, v0
	v_subrev_nc_u32_e32 v0, 28, v2
	v_lshlrev_b64 v[0:1], v0, v[8:9]
	v_sub_nc_u32_e32 v1, 29, v2
	v_and_b32_e32 v0, 7, v0
; %bb.752:                              ;   in Loop: Header=BB319_11 Depth=1
	s_or_b32 exec_lo, exec_lo, s24
	v_lshlrev_b32_e32 v2, 8, v29
	v_lshl_add_u32 v1, v1, 10, 0x2000
	v_lshlrev_b32_e32 v0, 7, v0
	v_and_b32_e32 v2, 0x8000, v2
	v_and_b32_e32 v1, 0xfc00, v1
	v_or3_b32 v2, v2, v1, v0
.LBB319_753:                            ;   in Loop: Header=BB319_11 Depth=1
	s_or_b32 exec_lo, exec_lo, s23
.LBB319_754:                            ;   in Loop: Header=BB319_11 Depth=1
	s_or_b32 exec_lo, exec_lo, s22
.LBB319_755:                            ;   in Loop: Header=BB319_11 Depth=1
	s_or_b32 exec_lo, exec_lo, s21
	v_lshrrev_b16 v8, 8, v8
	v_mov_b32_e32 v18, 0
	v_mov_b32_e32 v19, 0
	s_mov_b32 s21, exec_lo
	v_cmpx_ne_u16_e32 0, v8
	s_cbranch_execz .LBB319_763
; %bb.756:                              ;   in Loop: Header=BB319_11 Depth=1
	v_bfrev_b32_e32 v19, 1
	s_mov_b32 s22, exec_lo
	v_cmpx_ne_u16_e32 0x80, v8
	s_cbranch_execz .LBB319_762
; %bb.757:                              ;   in Loop: Header=BB319_11 Depth=1
	v_and_b32_sdwa v22, v8, v13 dst_sel:DWORD dst_unused:UNUSED_PAD src0_sel:WORD_0 src1_sel:DWORD
	v_mov_b32_e32 v19, 0x7c010000
	s_mov_b32 s23, exec_lo
	v_cmpx_ne_u32_e32 0x7f, v22
	s_cbranch_execz .LBB319_761
; %bb.758:                              ;   in Loop: Header=BB319_11 Depth=1
	v_mov_b32_e32 v0, 7
	v_lshrrev_b32_e32 v1, 3, v22
	s_mov_b32 s24, exec_lo
	v_and_b32_sdwa v0, v8, v0 dst_sel:DWORD dst_unused:UNUSED_PAD src0_sel:WORD_0 src1_sel:DWORD
	v_cmpx_gt_u32_e32 8, v22
; %bb.759:                              ;   in Loop: Header=BB319_11 Depth=1
	v_ffbh_u32_e32 v0, v0
	v_min_u32_e32 v7, 32, v0
	v_subrev_nc_u32_e32 v0, 28, v7
	v_lshlrev_b64 v[0:1], v0, v[8:9]
	v_sub_nc_u32_e32 v1, 29, v7
	v_and_b32_e32 v0, 7, v0
; %bb.760:                              ;   in Loop: Header=BB319_11 Depth=1
	s_or_b32 exec_lo, exec_lo, s24
	v_lshlrev_b32_sdwa v7, v25, v8 dst_sel:DWORD dst_unused:UNUSED_PAD src0_sel:DWORD src1_sel:WORD_0
	v_lshl_add_u32 v1, v1, 10, 0x2000
	v_lshlrev_b32_e32 v0, 23, v0
	v_and_or_b32 v1, 0x8000, v7, v1
	v_lshl_or_b32 v19, v1, 16, v0
.LBB319_761:                            ;   in Loop: Header=BB319_11 Depth=1
	s_or_b32 exec_lo, exec_lo, s23
.LBB319_762:                            ;   in Loop: Header=BB319_11 Depth=1
	s_or_b32 exec_lo, exec_lo, s22
.LBB319_763:                            ;   in Loop: Header=BB319_11 Depth=1
	s_or_b32 exec_lo, exec_lo, s21
	v_lshrrev_b32_e32 v8, 16, v29
	v_cmp_ne_u16_sdwa s5, v8, v9 src0_sel:BYTE_0 src1_sel:DWORD
	s_and_saveexec_b32 s21, s5
	s_cbranch_execz .LBB319_771
; %bb.764:                              ;   in Loop: Header=BB319_11 Depth=1
	v_cmp_ne_u16_sdwa s5, v8, v51 src0_sel:BYTE_0 src1_sel:DWORD
	v_mov_b32_e32 v18, 0x8000
	s_and_saveexec_b32 s22, s5
	s_cbranch_execz .LBB319_770
; %bb.765:                              ;   in Loop: Header=BB319_11 Depth=1
	v_bfe_u32 v22, v29, 16, 7
	v_mov_b32_e32 v18, 0x7c01
	s_mov_b32 s23, exec_lo
	v_cmpx_ne_u32_e32 0x7f, v22
	s_cbranch_execz .LBB319_769
; %bb.766:                              ;   in Loop: Header=BB319_11 Depth=1
	v_and_b32_e32 v0, 7, v8
	v_lshrrev_b32_e32 v1, 3, v22
	s_mov_b32 s24, exec_lo
	v_cmpx_gt_u32_e32 8, v22
; %bb.767:                              ;   in Loop: Header=BB319_11 Depth=1
	v_ffbh_u32_e32 v0, v0
	v_min_u32_e32 v7, 32, v0
	v_subrev_nc_u32_e32 v0, 28, v7
	v_lshlrev_b64 v[0:1], v0, v[8:9]
	v_sub_nc_u32_e32 v1, 29, v7
	v_and_b32_e32 v0, 7, v0
; %bb.768:                              ;   in Loop: Header=BB319_11 Depth=1
	s_or_b32 exec_lo, exec_lo, s24
	v_lshlrev_b32_e32 v7, 8, v8
	v_lshl_add_u32 v1, v1, 10, 0x2000
	v_lshlrev_b32_e32 v0, 7, v0
	v_and_b32_e32 v7, 0x8000, v7
	v_and_b32_e32 v1, 0xfc00, v1
	v_or3_b32 v18, v7, v1, v0
.LBB319_769:                            ;   in Loop: Header=BB319_11 Depth=1
	s_or_b32 exec_lo, exec_lo, s23
.LBB319_770:                            ;   in Loop: Header=BB319_11 Depth=1
	s_or_b32 exec_lo, exec_lo, s22
.LBB319_771:                            ;   in Loop: Header=BB319_11 Depth=1
	s_or_b32 exec_lo, exec_lo, s21
	v_mov_b32_e32 v24, v75
	v_mov_b32_e32 v0, 0
	s_mov_b32 s21, exec_lo
	v_cmpx_lt_u64_e64 s[6:7], v[28:29]
	s_cbranch_execz .LBB319_10
; %bb.772:                              ;   in Loop: Header=BB319_11 Depth=1
	v_lshrrev_b32_e32 v8, 24, v29
	v_bfrev_b32_e32 v0, 1
	s_mov_b32 s22, exec_lo
	v_cmpx_ne_u32_e32 0x80, v8
	s_cbranch_execz .LBB319_9
; %bb.773:                              ;   in Loop: Header=BB319_11 Depth=1
	v_and_b32_e32 v22, 0x7f, v8
	v_mov_b32_e32 v0, 0x7c010000
	s_mov_b32 s23, exec_lo
	v_cmpx_ne_u32_e32 0x7f, v22
	s_cbranch_execz .LBB319_8
; %bb.774:                              ;   in Loop: Header=BB319_11 Depth=1
	v_and_b32_e32 v0, 7, v8
	v_lshrrev_b32_e32 v1, 3, v22
	s_mov_b32 s24, exec_lo
	v_cmpx_gt_u32_e32 8, v22
	s_cbranch_execz .LBB319_7
; %bb.775:                              ;   in Loop: Header=BB319_11 Depth=1
	v_ffbh_u32_e32 v0, v0
	v_min_u32_e32 v7, 32, v0
	v_subrev_nc_u32_e32 v0, 28, v7
	v_lshlrev_b64 v[0:1], v0, v[8:9]
	v_sub_nc_u32_e32 v1, 29, v7
	v_and_b32_e32 v0, 7, v0
	s_branch .LBB319_7
.LBB319_776:
	s_or_b32 exec_lo, exec_lo, s17
	s_clause 0x12
	buffer_load_dword v34, off, s[0:3], s32 offset:228
	buffer_load_dword v35, off, s[0:3], s32 offset:232
	;; [unrolled: 1-line block ×19, first 2 shown]
.LBB319_777:
	s_or_b32 exec_lo, exec_lo, s13
	v_mbcnt_lo_u32_b32 v0, -1, 0
	v_max_f32_e32 v4, v48, v48
	s_lshr_b32 s11, s11, 16
	v_xor_b32_e32 v1, 16, v0
	v_xor_b32_e32 v3, 8, v0
	;; [unrolled: 1-line block ×3, first 2 shown]
	v_cmp_gt_i32_e32 vcc_lo, 32, v1
	v_cndmask_b32_e32 v1, v0, v1, vcc_lo
	v_cmp_gt_i32_e32 vcc_lo, 32, v3
	v_lshlrev_b32_e32 v2, 2, v1
	v_cndmask_b32_e32 v3, v0, v3, vcc_lo
	v_cmp_gt_i32_e32 vcc_lo, 32, v5
	ds_bpermute_b32 v1, v2, v48
	v_lshlrev_b32_e32 v3, 2, v3
	v_cndmask_b32_e32 v5, v0, v5, vcc_lo
	s_waitcnt lgkmcnt(0)
	v_max_f32_e32 v1, v1, v1
	v_max_f32_e32 v1, v4, v1
	ds_bpermute_b32 v4, v3, v1
	s_waitcnt lgkmcnt(0)
	v_max_f32_e32 v6, v4, v4
	v_lshlrev_b32_e32 v4, 2, v5
	v_max_f32_e32 v1, v1, v6
	v_xor_b32_e32 v6, 2, v0
	ds_bpermute_b32 v5, v4, v1
	v_cmp_gt_i32_e32 vcc_lo, 32, v6
	v_cndmask_b32_e32 v6, v0, v6, vcc_lo
	v_lshlrev_b32_e32 v18, 2, v6
	v_xor_b32_e32 v6, 1, v0
	v_cmp_gt_i32_e32 vcc_lo, 32, v6
	s_waitcnt lgkmcnt(0)
	v_max_f32_e32 v5, v5, v5
	v_cndmask_b32_e32 v6, v0, v6, vcc_lo
	s_waitcnt vmcnt(14)
	v_cmp_eq_u32_e32 vcc_lo, 0, v42
	v_max_f32_e32 v1, v1, v5
	v_lshlrev_b32_e32 v13, 2, v6
	ds_bpermute_b32 v5, v18, v1
	s_waitcnt lgkmcnt(0)
	v_max_f32_e32 v5, v5, v5
	v_max_f32_e32 v0, v1, v5
	v_lshlrev_b32_e32 v5, 2, v32
	ds_bpermute_b32 v1, v13, v0
	s_and_saveexec_b32 s5, vcc_lo
	s_cbranch_execz .LBB319_779
; %bb.778:
	s_waitcnt lgkmcnt(0)
	v_max_f32_e32 v1, v1, v1
	v_max_f32_e32 v0, v0, v0
	v_max_f32_e32 v0, v0, v1
	ds_write_b32 v5, v0 offset:192
.LBB319_779:
	s_or_b32 exec_lo, exec_lo, s5
	v_cmp_gt_u32_e64 s5, 4, v42
	v_mov_b32_e32 v0, 0xff7fffff
	s_waitcnt vmcnt(0) lgkmcnt(0)
	s_waitcnt_vscnt null, 0x0
	s_barrier
	buffer_gl0_inv
	s_and_saveexec_b32 s6, s5
; %bb.780:
	ds_read_b32 v0, v19 offset:192
; %bb.781:
	s_or_b32 exec_lo, exec_lo, s6
	s_waitcnt lgkmcnt(0)
	ds_bpermute_b32 v1, v18, v0
	v_max_f32_e32 v0, v0, v0
	v_subrev_nc_u32_e32 v6, s9, v75
	v_mov_b32_e32 v8, 0
	s_waitcnt lgkmcnt(0)
	v_max_f32_e32 v1, v1, v1
	v_max_f32_e32 v0, v0, v1
	ds_bpermute_b32 v1, v13, v0
	s_waitcnt lgkmcnt(0)
	v_max_f32_e32 v1, v1, v1
	v_max_f32_e32 v0, v0, v1
	v_lshl_add_u32 v1, v6, 5, s20
	ds_bpermute_b32 v0, v8, v0
	v_min_i32_e32 v1, v1, v33
	v_subrev_nc_u32_e32 v1, s20, v1
	v_cmp_lt_i32_e64 s6, v36, v1
	s_and_saveexec_b32 s9, s6
	s_cbranch_execz .LBB319_785
; %bb.782:
	s_getpc_b64 s[22:23]
	s_add_u32 s22, s22, llvm.amdgcn.dynlds.offset.table@rel32@lo+4
	s_addc_u32 s23, s23, llvm.amdgcn.dynlds.offset.table@rel32@hi+12
	s_ashr_i32 s17, s16, 31
	v_mov_b32_e32 v8, 0
	s_lshl_b64 s[24:25], s[16:17], 2
	v_mov_b32_e32 v7, v36
	s_add_u32 s22, s22, s24
	s_addc_u32 s23, s23, s25
	s_mov_b32 s13, 0
	s_load_dword s7, s[22:23], 0x0
	s_waitcnt lgkmcnt(0)
	v_lshl_add_u32 v9, v36, 2, s7
	.p2align	6
.LBB319_783:                            ; =>This Inner Loop Header: Depth=1
	ds_read_b32 v6, v9
	v_add_nc_u32_e32 v7, 0x80, v7
	v_cmp_ge_i32_e64 s7, v7, v1
	s_or_b32 s13, s7, s13
	s_waitcnt lgkmcnt(0)
	v_sub_f32_e32 v6, v6, v0
	v_mul_f32_e32 v6, 0x3fb8aa3b, v6
	v_exp_f32_e32 v6, v6
	ds_write_b32 v9, v6
	v_add_f32_e32 v8, v8, v6
	v_add_nc_u32_e32 v9, 0x200, v9
	s_andn2_b32 exec_lo, exec_lo, s13
	s_cbranch_execnz .LBB319_783
; %bb.784:
	s_or_b32 exec_lo, exec_lo, s13
.LBB319_785:
	s_or_b32 exec_lo, exec_lo, s9
	ds_bpermute_b32 v2, v2, v8
	s_waitcnt lgkmcnt(0)
	v_add_f32_e32 v2, v8, v2
	ds_bpermute_b32 v3, v3, v2
	s_waitcnt lgkmcnt(0)
	v_add_f32_e32 v2, v2, v3
	;; [unrolled: 3-line block ×5, first 2 shown]
	s_and_saveexec_b32 s7, vcc_lo
; %bb.786:
	ds_write_b32 v5, v2 offset:208
; %bb.787:
	s_or_b32 exec_lo, exec_lo, s7
	s_waitcnt lgkmcnt(0)
	s_barrier
	buffer_gl0_inv
	s_and_saveexec_b32 s7, s5
; %bb.788:
	ds_read_b32 v2, v19 offset:208
; %bb.789:
	s_or_b32 exec_lo, exec_lo, s7
	s_waitcnt lgkmcnt(0)
	ds_bpermute_b32 v3, v18, v2
	s_waitcnt lgkmcnt(0)
	v_add_f32_e32 v2, v2, v3
	ds_bpermute_b32 v3, v13, v2
	s_waitcnt lgkmcnt(0)
	v_add_f32_e32 v2, v2, v3
	v_mov_b32_e32 v3, 0
	ds_bpermute_b32 v2, v3, v2
	s_and_saveexec_b32 s5, s6
	s_cbranch_execz .LBB319_792
; %bb.790:
	s_waitcnt lgkmcnt(0)
	v_add_f32_e32 v4, 0x358637bd, v2
	s_getpc_b64 s[6:7]
	s_add_u32 s6, s6, llvm.amdgcn.dynlds.offset.table@rel32@lo+4
	s_addc_u32 s7, s7, llvm.amdgcn.dynlds.offset.table@rel32@hi+12
	s_ashr_i32 s17, s16, 31
	s_lshl_b64 s[22:23], s[16:17], 2
	v_div_scale_f32 v3, null, v4, v4, 1.0
	v_div_scale_f32 v7, vcc_lo, 1.0, v4, 1.0
	s_add_u32 s6, s6, s22
	v_rcp_f32_e32 v5, v3
	s_addc_u32 s7, s7, s23
	s_load_dword s6, s[6:7], 0x0
	v_fma_f32 v6, -v3, v5, 1.0
	v_fmac_f32_e32 v5, v6, v5
	v_mul_f32_e32 v6, v7, v5
	v_fma_f32 v8, -v3, v6, v7
	v_fmac_f32_e32 v6, v8, v5
	v_fma_f32 v3, -v3, v6, v7
	v_div_fmas_f32 v5, v3, v5, v6
	s_waitcnt lgkmcnt(0)
	v_lshl_add_u32 v3, v36, 2, s6
	s_mov_b32 s6, 0
	v_div_fixup_f32 v4, v5, v4, 1.0
	v_mov_b32_e32 v5, v36
.LBB319_791:                            ; =>This Inner Loop Header: Depth=1
	ds_read_b32 v6, v3
	v_add_nc_u32_e32 v5, 0x80, v5
	v_cmp_ge_i32_e32 vcc_lo, v5, v1
	s_or_b32 s6, vcc_lo, s6
	s_waitcnt lgkmcnt(0)
	v_mul_f32_e32 v6, v4, v6
	ds_write_b32 v3, v6
	v_add_nc_u32_e32 v3, 0x200, v3
	s_andn2_b32 exec_lo, exec_lo, s6
	s_cbranch_execnz .LBB319_791
.LBB319_792:
	s_or_b32 exec_lo, exec_lo, s5
	s_and_b32 s5, 0xffff, s11
	s_waitcnt lgkmcnt(0)
	s_cmp_lg_u32 s5, 0
	s_barrier
	s_cselect_b32 s5, -1, 0
	buffer_gl0_inv
	s_cmp_lg_u32 s5, 0
	s_addc_u32 s5, s8, 0
	s_mov_b32 s8, exec_lo
	s_mul_i32 s6, s5, s18
	s_mul_i32 s6, s6, s15
	v_cmpx_eq_u32_e32 0, v36
	s_cbranch_execz .LBB319_794
; %bb.793:
	s_ashr_i32 s7, s6, 31
	s_mul_i32 s12, s5, s12
	s_lshl_b64 s[22:23], s[6:7], 2
	s_ashr_i32 s13, s12, 31
	v_add_co_u32 v1, vcc_lo, v28, s22
	v_add_co_ci_u32_e64 v3, null, s23, v25, vcc_lo
	s_lshl_b64 s[12:13], s[12:13], 2
	s_ashr_i32 s15, s14, 31
	v_add_co_u32 v1, vcc_lo, v1, s12
	v_add_co_ci_u32_e64 v4, null, s13, v3, vcc_lo
	v_add_co_u32 v3, vcc_lo, v24, s22
	v_add_co_ci_u32_e64 v5, null, s23, v22, vcc_lo
	s_lshl_b64 s[22:23], s[14:15], 2
	v_add_co_u32 v6, vcc_lo, v3, s12
	v_add_co_ci_u32_e64 v7, null, s13, v5, vcc_lo
	v_add_co_u32 v3, vcc_lo, v1, s22
	v_add_co_ci_u32_e64 v4, null, s23, v4, vcc_lo
	;; [unrolled: 2-line block ×3, first 2 shown]
	flat_store_dword v[3:4], v0
	flat_store_dword v[5:6], v2
.LBB319_794:
	s_or_b32 exec_lo, exec_lo, s8
	s_and_saveexec_b32 s7, s4
	s_xor_b32 s4, exec_lo, s7
	s_cbranch_execz .LBB319_796
; %bb.795:
	s_ashr_i32 s17, s16, 31
                                        ; implicit-def: $vgpr0
	buffer_store_dword v0, off, s[0:3], s32 offset:192 ; 4-byte Folded Spill
	buffer_store_dword v1, off, s[0:3], s32 offset:196 ; 4-byte Folded Spill
                                        ; implicit-def: $vgpr33
                                        ; implicit-def: $vgpr12
                                        ; implicit-def: $vgpr75
                                        ; implicit-def: $vgpr10
                                        ; implicit-def: $vgpr11
                                        ; implicit-def: $vgpr14
                                        ; implicit-def: $vgpr15
                                        ; implicit-def: $vgpr0
                                        ; kill: killed $vgpr0
                                        ; implicit-def: $vgpr26_vgpr27
                                        ; implicit-def: $vgpr23
                                        ; implicit-def: $vgpr37
                                        ; implicit-def: $vgpr16_vgpr17
.LBB319_796:
	s_or_saveexec_b32 s7, s4
	v_mov_b32_e32 v0, s16
	v_mov_b32_e32 v38, 0
	;; [unrolled: 1-line block ×3, first 2 shown]
	v_and_b32_e32 v19, 3, v36
	v_mov_b32_e32 v49, 0
	v_mov_b32_e32 v48, 0
	;; [unrolled: 1-line block ×11, first 2 shown]
	s_xor_b32 exec_lo, exec_lo, s7
	s_cbranch_execz .LBB319_1592
; %bb.797:
	s_getpc_b64 s[8:9]
	s_add_u32 s8, s8, llvm.amdgcn.dynlds.offset.table@rel32@lo+4
	s_addc_u32 s9, s9, llvm.amdgcn.dynlds.offset.table@rel32@hi+12
	s_ashr_i32 s17, s16, 31
	v_lshlrev_b32_e32 v0, 3, v36
	s_lshl_b64 s[12:13], s[16:17], 2
	v_add_co_u32 v2, vcc_lo, v10, v23
	s_add_u32 s8, s8, s12
	s_addc_u32 s9, s9, s13
	v_and_b32_e32 v6, 24, v0
	s_load_dword s4, s[8:9], 0x0
	s_clause 0x1
	buffer_load_dword v4, off, s[0:3], s32 offset:192
	buffer_load_dword v5, off, s[0:3], s32 offset:196
	v_and_b32_e32 v0, 0xf8, v0
	v_add_co_ci_u32_e64 v3, null, v11, v37, vcc_lo
	v_lshl_add_u32 v9, v32, 5, s20
	v_mov_b32_e32 v119, v35
	v_add_co_u32 v2, vcc_lo, v2, v0
	v_lshlrev_b32_e32 v0, 5, v19
	v_add_co_ci_u32_e64 v3, null, 0, v3, vcc_lo
	v_mov_b32_e32 v118, v34
	v_mov_b32_e32 v40, v36
	v_lshl_or_b32 v0, v32, 7, v0
	v_add_nc_u32_e32 v36, -1, v12
	v_mov_b32_e32 v1, 0
	v_mov_b32_e32 v41, v32
	;; [unrolled: 1-line block ×16, first 2 shown]
	s_mov_b32 s8, -1
	s_mov_b32 s9, 0xffffff
	s_mov_b32 s11, 0
	s_waitcnt vmcnt(0)
	v_lshlrev_b64 v[4:5], 2, v[4:5]
	v_add_co_u32 v4, vcc_lo, v16, v4
	v_add_co_ci_u32_e64 v5, null, v17, v5, vcc_lo
	v_mov_b32_e32 v16, 0x80
	v_add_co_u32 v7, vcc_lo, v14, v4
	v_add_co_ci_u32_e64 v8, null, v15, v5, vcc_lo
	v_add3_u32 v14, v9, v6, 7
	s_waitcnt lgkmcnt(0)
	v_add_nc_u32_e32 v15, s4, v0
	v_mov_b32_e32 v17, 0x7f
	s_branch .LBB319_799
.LBB319_798:                            ;   in Loop: Header=BB319_799 Depth=1
	s_or_b32 exec_lo, exec_lo, s4
	v_add_f32_e32 v6, v11, v12
	v_add_f32_e32 v4, v4, v5
	v_add_f32_e32 v5, v98, v99
	v_add_f32_e32 v11, v100, v101
	v_add_f32_e32 v12, v23, v34
	v_add_f32_e32 v21, v21, v6
	v_add_f32_e32 v6, v96, v97
	v_add_f32_e32 v28, v28, v4
	;;#ASMSTART
	v_pk_mul_f16 v4, v67, v22;

	;;#ASMEND
	;;#ASMSTART
	v_pk_mul_f16 v0, v64, v0;

	;;#ASMEND
	v_add_f32_e32 v29, v29, v5
	v_add_f32_e32 v30, v30, v6
	;;#ASMSTART
	v_pk_mul_f16 v5, v54, v10;

	;;#ASMEND
	;;#ASMSTART
	v_pk_mul_f16 v6, v53, v9;

	;;#ASMEND
	;;#ASMSTART
	v_pk_add_f16 v0, v4, v0;

	;;#ASMEND
	;;#ASMSTART
	v_pk_add_f16 v0, v0, v5;
	;; [unrolled: 4-line block ×3, first 2 shown]

	;;#ASMEND
	v_and_b32_e32 v6, 0xffff, v0
	v_lshrrev_b32_e32 v9, 16, v0
	;;#ASMSTART
	v_cvt_f32_f16 v6, v6;
	;;#ASMEND
	;;#ASMSTART
	v_cvt_f32_f16 v9, v9;
	;;#ASMEND
	v_add_f32_e32 v6, v6, v9
	s_clause 0x1
	buffer_load_dword v9, off, s[0:3], s32 offset:192
	buffer_load_dword v10, off, s[0:3], s32 offset:196
	v_add_f32_e32 v24, v24, v11
	v_add_f32_e32 v25, v25, v12
	;; [unrolled: 1-line block ×7, first 2 shown]
	v_add_co_u32 v7, s4, v7, 16
	v_add_f32_e32 v31, v31, v11
	v_add_f32_e32 v39, v39, v12
	;; [unrolled: 1-line block ×6, first 2 shown]
	v_add_co_ci_u32_e64 v8, null, 0, v8, s4
	v_add_nc_u32_e32 v14, 0x80, v14
	v_add_nc_u32_e32 v15, 0x200, v15
	s_waitcnt vmcnt(1)
	v_add_nc_u32_e32 v9, 4, v9
	v_cmp_ge_i32_e32 vcc_lo, v9, v75
	v_mov_b32_e32 v0, v9
	buffer_store_dword v0, off, s[0:3], s32 offset:192 ; 4-byte Folded Spill
	buffer_store_dword v1, off, s[0:3], s32 offset:196 ; 4-byte Folded Spill
	s_or_b32 s11, vcc_lo, s11
	s_andn2_b32 exec_lo, exec_lo, s11
	s_cbranch_execz .LBB319_1591
.LBB319_799:                            ; =>This Inner Loop Header: Depth=1
	flat_load_dword v0, v[7:8]
	ds_read2_b64 v[52:55], v15 offset1:1
	ds_read2_b64 v[64:67], v15 offset0:2 offset1:3
	s_waitcnt lgkmcnt(1)
	;;#ASMSTART
	v_cvt_f16_f32 v4, v52;

	;;#ASMEND
	buffer_load_dword v5, off, s[0:3], s32 offset:200 ; 4-byte Folded Reload
	s_waitcnt vmcnt(0)
	v_mad_i64_i32 v[9:10], null, v0, v5, v[2:3]
	;;#ASMSTART
	v_cvt_f16_f32 v5, v53;

	;;#ASMEND
	;;#ASMSTART
	v_cvt_f16_f32 v54, v54;

	;;#ASMEND
	;; [unrolled: 4-line block ×3, first 2 shown]
	s_waitcnt lgkmcnt(0)
	;;#ASMSTART
	v_cvt_f16_f32 v64, v64;

	;;#ASMEND
	;;#ASMSTART
	v_cvt_f16_f32 v34, v65;

	;;#ASMEND
	;; [unrolled: 4-line block ×4, first 2 shown]
	flat_load_dwordx2 v[11:12], v[9:10]
	flat_load_dword v52, v[26:27]
	v_mov_b32_e32 v55, 0
	s_waitcnt vmcnt(1) lgkmcnt(1)
	v_cmp_ne_u16_sdwa s12, v11, v1 src0_sel:BYTE_0 src1_sel:DWORD
	s_and_saveexec_b32 s4, s12
	s_cbranch_execz .LBB319_807
; %bb.800:                              ;   in Loop: Header=BB319_799 Depth=1
	v_cmp_ne_u16_sdwa s13, v11, v16 src0_sel:BYTE_0 src1_sel:DWORD
	v_mov_b32_e32 v55, 0x8000
	s_and_saveexec_b32 s12, s13
	s_cbranch_execz .LBB319_806
; %bb.801:                              ;   in Loop: Header=BB319_799 Depth=1
	v_and_b32_e32 v32, 0x7f, v11
	v_mov_b32_e32 v55, 0x7c01
	s_mov_b32 s13, exec_lo
	v_cmpx_ne_u32_e32 0x7f, v32
	s_cbranch_execz .LBB319_805
; %bb.802:                              ;   in Loop: Header=BB319_799 Depth=1
	v_and_b32_e32 v0, 7, v11
	v_lshrrev_b32_e32 v22, 3, v32
	s_mov_b32 s15, exec_lo
	v_cmpx_gt_u32_e32 8, v32
; %bb.803:                              ;   in Loop: Header=BB319_799 Depth=1
	v_ffbh_u32_e32 v0, v0
	v_min_u32_e32 v0, 32, v0
	v_subrev_nc_u32_e32 v6, 28, v0
	v_sub_nc_u32_e32 v22, 29, v0
	v_lshlrev_b64 v[67:68], v6, v[11:12]
	v_and_b32_e32 v0, 7, v67
; %bb.804:                              ;   in Loop: Header=BB319_799 Depth=1
	s_or_b32 exec_lo, exec_lo, s15
	v_lshlrev_b32_e32 v6, 8, v11
	v_lshl_add_u32 v22, v22, 10, 0x2000
	v_lshlrev_b32_e32 v0, 7, v0
	v_and_b32_e32 v6, 0x8000, v6
	v_and_b32_e32 v22, 0xfc00, v22
	v_or3_b32 v55, v6, v22, v0
.LBB319_805:                            ;   in Loop: Header=BB319_799 Depth=1
	s_or_b32 exec_lo, exec_lo, s13
.LBB319_806:                            ;   in Loop: Header=BB319_799 Depth=1
	s_or_b32 exec_lo, exec_lo, s12
.LBB319_807:                            ;   in Loop: Header=BB319_799 Depth=1
	s_or_b32 exec_lo, exec_lo, s4
	v_lshrrev_b16 v0, 8, v11
	v_mov_b32_e32 v51, 0
	v_mov_b32_e32 v65, 0
	s_mov_b32 s4, exec_lo
	v_cmpx_ne_u16_e32 0, v0
	s_cbranch_execz .LBB319_815
; %bb.808:                              ;   in Loop: Header=BB319_799 Depth=1
	v_bfrev_b32_e32 v65, 1
	s_mov_b32 s12, exec_lo
	v_cmpx_ne_u16_e32 0x80, v0
	s_cbranch_execz .LBB319_814
; %bb.809:                              ;   in Loop: Header=BB319_799 Depth=1
	v_and_b32_sdwa v35, v0, v17 dst_sel:DWORD dst_unused:UNUSED_PAD src0_sel:WORD_0 src1_sel:DWORD
	v_mov_b32_e32 v65, 0x7c010000
	s_mov_b32 s13, exec_lo
	v_cmpx_ne_u32_e32 0x7f, v35
	s_cbranch_execz .LBB319_813
; %bb.810:                              ;   in Loop: Header=BB319_799 Depth=1
	v_and_b32_sdwa v22, v0, v37 dst_sel:DWORD dst_unused:UNUSED_PAD src0_sel:WORD_0 src1_sel:DWORD
	v_lshrrev_b32_e32 v32, 3, v35
	s_mov_b32 s15, exec_lo
	v_cmpx_gt_u32_e32 8, v35
; %bb.811:                              ;   in Loop: Header=BB319_799 Depth=1
	v_ffbh_u32_e32 v6, v22
	v_min_u32_e32 v6, 32, v6
	v_subrev_nc_u32_e32 v22, 28, v6
	v_sub_nc_u32_e32 v32, 29, v6
	v_lshlrev_b64 v[67:68], v22, v[0:1]
	v_and_b32_e32 v22, 7, v67
; %bb.812:                              ;   in Loop: Header=BB319_799 Depth=1
	s_or_b32 exec_lo, exec_lo, s15
	v_lshlrev_b32_sdwa v0, v50, v0 dst_sel:DWORD dst_unused:UNUSED_PAD src0_sel:DWORD src1_sel:WORD_0
	v_lshl_add_u32 v6, v32, 10, 0x2000
	v_and_or_b32 v0, 0x8000, v0, v6
	v_lshlrev_b32_e32 v6, 23, v22
	v_lshl_or_b32 v65, v0, 16, v6
.LBB319_813:                            ;   in Loop: Header=BB319_799 Depth=1
	s_or_b32 exec_lo, exec_lo, s13
.LBB319_814:                            ;   in Loop: Header=BB319_799 Depth=1
	s_or_b32 exec_lo, exec_lo, s12
.LBB319_815:                            ;   in Loop: Header=BB319_799 Depth=1
	s_or_b32 exec_lo, exec_lo, s4
	v_lshrrev_b32_e32 v0, 16, v11
	v_cmp_ne_u16_sdwa s12, v0, v1 src0_sel:BYTE_0 src1_sel:DWORD
	s_and_saveexec_b32 s4, s12
	s_cbranch_execz .LBB319_823
; %bb.816:                              ;   in Loop: Header=BB319_799 Depth=1
	v_cmp_ne_u16_sdwa s13, v0, v16 src0_sel:BYTE_0 src1_sel:DWORD
	v_mov_b32_e32 v51, 0x8000
	s_and_saveexec_b32 s12, s13
	s_cbranch_execz .LBB319_822
; %bb.817:                              ;   in Loop: Header=BB319_799 Depth=1
	v_bfe_u32 v35, v11, 16, 7
	v_mov_b32_e32 v51, 0x7c01
	s_mov_b32 s13, exec_lo
	v_cmpx_ne_u32_e32 0x7f, v35
	s_cbranch_execz .LBB319_821
; %bb.818:                              ;   in Loop: Header=BB319_799 Depth=1
	v_and_b32_e32 v22, 7, v0
	v_lshrrev_b32_e32 v32, 3, v35
	s_mov_b32 s15, exec_lo
	v_cmpx_gt_u32_e32 8, v35
; %bb.819:                              ;   in Loop: Header=BB319_799 Depth=1
	v_ffbh_u32_e32 v6, v22
	v_min_u32_e32 v6, 32, v6
	v_subrev_nc_u32_e32 v22, 28, v6
	v_sub_nc_u32_e32 v32, 29, v6
	v_lshlrev_b64 v[67:68], v22, v[0:1]
	v_and_b32_e32 v22, 7, v67
; %bb.820:                              ;   in Loop: Header=BB319_799 Depth=1
	s_or_b32 exec_lo, exec_lo, s15
	v_lshlrev_b32_e32 v0, 8, v0
	v_lshl_add_u32 v6, v32, 10, 0x2000
	v_lshlrev_b32_e32 v22, 7, v22
	v_and_b32_e32 v0, 0x8000, v0
	v_and_b32_e32 v6, 0xfc00, v6
	v_or3_b32 v51, v0, v6, v22
.LBB319_821:                            ;   in Loop: Header=BB319_799 Depth=1
	s_or_b32 exec_lo, exec_lo, s13
.LBB319_822:                            ;   in Loop: Header=BB319_799 Depth=1
	s_or_b32 exec_lo, exec_lo, s12
.LBB319_823:                            ;   in Loop: Header=BB319_799 Depth=1
	s_or_b32 exec_lo, exec_lo, s4
	v_mov_b32_e32 v32, 0
	v_mov_b32_e32 v67, 0
	s_mov_b32 s4, exec_lo
	v_cmpx_lt_u32_e32 0xffffff, v11
	s_cbranch_execz .LBB319_831
; %bb.824:                              ;   in Loop: Header=BB319_799 Depth=1
	v_lshrrev_b32_e32 v0, 24, v11
	v_bfrev_b32_e32 v67, 1
	s_mov_b32 s12, exec_lo
	v_cmpx_ne_u32_e32 0x80, v0
	s_cbranch_execz .LBB319_830
; %bb.825:                              ;   in Loop: Header=BB319_799 Depth=1
	v_and_b32_e32 v68, 0x7f, v0
	v_mov_b32_e32 v67, 0x7c010000
	s_mov_b32 s13, exec_lo
	v_cmpx_ne_u32_e32 0x7f, v68
	s_cbranch_execz .LBB319_829
; %bb.826:                              ;   in Loop: Header=BB319_799 Depth=1
	v_and_b32_e32 v22, 7, v0
	v_lshrrev_b32_e32 v35, 3, v68
	s_mov_b32 s15, exec_lo
	v_cmpx_gt_u32_e32 8, v68
; %bb.827:                              ;   in Loop: Header=BB319_799 Depth=1
	v_ffbh_u32_e32 v6, v22
	v_min_u32_e32 v6, 32, v6
	v_subrev_nc_u32_e32 v22, 28, v6
	v_sub_nc_u32_e32 v35, 29, v6
	v_lshlrev_b64 v[67:68], v22, v[0:1]
	v_and_b32_e32 v22, 7, v67
; %bb.828:                              ;   in Loop: Header=BB319_799 Depth=1
	s_or_b32 exec_lo, exec_lo, s15
	v_lshlrev_b32_e32 v0, 8, v0
	v_lshl_add_u32 v6, v35, 10, 0x2000
	v_and_or_b32 v0, 0x8000, v0, v6
	v_lshlrev_b32_e32 v6, 23, v22
	v_lshl_or_b32 v67, v0, 16, v6
.LBB319_829:                            ;   in Loop: Header=BB319_799 Depth=1
	s_or_b32 exec_lo, exec_lo, s13
.LBB319_830:                            ;   in Loop: Header=BB319_799 Depth=1
	s_or_b32 exec_lo, exec_lo, s12
.LBB319_831:                            ;   in Loop: Header=BB319_799 Depth=1
	s_or_b32 exec_lo, exec_lo, s4
	v_mov_b32_e32 v0, v12
	v_cmp_ne_u16_sdwa s12, v12, v1 src0_sel:BYTE_0 src1_sel:DWORD
	s_and_saveexec_b32 s4, s12
	s_cbranch_execz .LBB319_839
; %bb.832:                              ;   in Loop: Header=BB319_799 Depth=1
	v_cmp_ne_u16_sdwa s13, v12, v16 src0_sel:BYTE_0 src1_sel:DWORD
	v_mov_b32_e32 v32, 0x8000
	s_and_saveexec_b32 s12, s13
	s_cbranch_execz .LBB319_838
; %bb.833:                              ;   in Loop: Header=BB319_799 Depth=1
	v_and_b32_e32 v35, 0x7f, v12
	v_mov_b32_e32 v32, 0x7c01
	s_mov_b32 s13, exec_lo
	v_cmpx_ne_u32_e32 0x7f, v35
	s_cbranch_execz .LBB319_837
; %bb.834:                              ;   in Loop: Header=BB319_799 Depth=1
	v_and_b32_e32 v22, 7, v12
	v_lshrrev_b32_e32 v32, 3, v35
	s_mov_b32 s15, exec_lo
	v_cmpx_gt_u32_e32 8, v35
; %bb.835:                              ;   in Loop: Header=BB319_799 Depth=1
	v_ffbh_u32_e32 v6, v22
	v_min_u32_e32 v6, 32, v6
	v_subrev_nc_u32_e32 v22, 28, v6
	v_sub_nc_u32_e32 v32, 29, v6
	v_lshlrev_b64 v[68:69], v22, v[0:1]
	v_and_b32_e32 v22, 7, v68
; %bb.836:                              ;   in Loop: Header=BB319_799 Depth=1
	s_or_b32 exec_lo, exec_lo, s15
	v_lshlrev_b32_e32 v6, 8, v12
	v_lshl_add_u32 v32, v32, 10, 0x2000
	v_lshlrev_b32_e32 v22, 7, v22
	v_and_b32_e32 v6, 0x8000, v6
	v_and_b32_e32 v32, 0xfc00, v32
	v_or3_b32 v32, v6, v32, v22
.LBB319_837:                            ;   in Loop: Header=BB319_799 Depth=1
	s_or_b32 exec_lo, exec_lo, s13
.LBB319_838:                            ;   in Loop: Header=BB319_799 Depth=1
	s_or_b32 exec_lo, exec_lo, s12
.LBB319_839:                            ;   in Loop: Header=BB319_799 Depth=1
	s_or_b32 exec_lo, exec_lo, s4
	v_lshrrev_b16 v0, 8, v0
	v_mov_b32_e32 v35, 0
	v_mov_b32_e32 v22, 0
	s_mov_b32 s4, exec_lo
	v_cmpx_ne_u16_e32 0, v0
	s_cbranch_execz .LBB319_847
; %bb.840:                              ;   in Loop: Header=BB319_799 Depth=1
	v_bfrev_b32_e32 v22, 1
	s_mov_b32 s12, exec_lo
	v_cmpx_ne_u16_e32 0x80, v0
	s_cbranch_execz .LBB319_846
; %bb.841:                              ;   in Loop: Header=BB319_799 Depth=1
	v_and_b32_sdwa v69, v0, v17 dst_sel:DWORD dst_unused:UNUSED_PAD src0_sel:WORD_0 src1_sel:DWORD
	v_mov_b32_e32 v22, 0x7c010000
	s_mov_b32 s13, exec_lo
	v_cmpx_ne_u32_e32 0x7f, v69
	s_cbranch_execz .LBB319_845
; %bb.842:                              ;   in Loop: Header=BB319_799 Depth=1
	v_and_b32_sdwa v22, v0, v37 dst_sel:DWORD dst_unused:UNUSED_PAD src0_sel:WORD_0 src1_sel:DWORD
	v_lshrrev_b32_e32 v68, 3, v69
	s_mov_b32 s15, exec_lo
	v_cmpx_gt_u32_e32 8, v69
; %bb.843:                              ;   in Loop: Header=BB319_799 Depth=1
	v_ffbh_u32_e32 v6, v22
	v_min_u32_e32 v6, 32, v6
	v_subrev_nc_u32_e32 v22, 28, v6
	v_sub_nc_u32_e32 v68, 29, v6
	v_lshlrev_b64 v[69:70], v22, v[0:1]
	v_and_b32_e32 v22, 7, v69
; %bb.844:                              ;   in Loop: Header=BB319_799 Depth=1
	s_or_b32 exec_lo, exec_lo, s15
	v_lshlrev_b32_sdwa v0, v50, v0 dst_sel:DWORD dst_unused:UNUSED_PAD src0_sel:DWORD src1_sel:WORD_0
	v_lshl_add_u32 v6, v68, 10, 0x2000
	v_and_or_b32 v0, 0x8000, v0, v6
	v_lshlrev_b32_e32 v6, 23, v22
	v_lshl_or_b32 v22, v0, 16, v6
.LBB319_845:                            ;   in Loop: Header=BB319_799 Depth=1
	s_or_b32 exec_lo, exec_lo, s13
.LBB319_846:                            ;   in Loop: Header=BB319_799 Depth=1
	s_or_b32 exec_lo, exec_lo, s12
.LBB319_847:                            ;   in Loop: Header=BB319_799 Depth=1
	s_or_b32 exec_lo, exec_lo, s4
	v_lshrrev_b32_e32 v0, 16, v12
	v_cmp_ne_u16_sdwa s12, v0, v1 src0_sel:BYTE_0 src1_sel:DWORD
	s_and_saveexec_b32 s4, s12
	s_cbranch_execz .LBB319_855
; %bb.848:                              ;   in Loop: Header=BB319_799 Depth=1
	v_cmp_ne_u16_sdwa s13, v0, v16 src0_sel:BYTE_0 src1_sel:DWORD
	v_mov_b32_e32 v35, 0x8000
	s_and_saveexec_b32 s12, s13
	s_cbranch_execz .LBB319_854
; %bb.849:                              ;   in Loop: Header=BB319_799 Depth=1
	v_bfe_u32 v69, v12, 16, 7
	v_mov_b32_e32 v35, 0x7c01
	s_mov_b32 s13, exec_lo
	v_cmpx_ne_u32_e32 0x7f, v69
	s_cbranch_execz .LBB319_853
; %bb.850:                              ;   in Loop: Header=BB319_799 Depth=1
	v_and_b32_e32 v35, 7, v0
	v_lshrrev_b32_e32 v68, 3, v69
	s_mov_b32 s15, exec_lo
	v_cmpx_gt_u32_e32 8, v69
; %bb.851:                              ;   in Loop: Header=BB319_799 Depth=1
	v_ffbh_u32_e32 v6, v35
	v_min_u32_e32 v6, 32, v6
	v_subrev_nc_u32_e32 v35, 28, v6
	v_sub_nc_u32_e32 v68, 29, v6
	v_lshlrev_b64 v[69:70], v35, v[0:1]
	v_and_b32_e32 v35, 7, v69
; %bb.852:                              ;   in Loop: Header=BB319_799 Depth=1
	s_or_b32 exec_lo, exec_lo, s15
	v_lshlrev_b32_e32 v0, 8, v0
	v_lshl_add_u32 v6, v68, 10, 0x2000
	v_lshlrev_b32_e32 v35, 7, v35
	v_and_b32_e32 v0, 0x8000, v0
	v_and_b32_e32 v6, 0xfc00, v6
	v_or3_b32 v35, v0, v6, v35
.LBB319_853:                            ;   in Loop: Header=BB319_799 Depth=1
	s_or_b32 exec_lo, exec_lo, s13
.LBB319_854:                            ;   in Loop: Header=BB319_799 Depth=1
	s_or_b32 exec_lo, exec_lo, s12
.LBB319_855:                            ;   in Loop: Header=BB319_799 Depth=1
	s_or_b32 exec_lo, exec_lo, s4
	v_cmp_lt_u64_e32 vcc_lo, s[8:9], v[11:12]
	v_mov_b32_e32 v11, 0
	s_and_saveexec_b32 s4, vcc_lo
	s_cbranch_execz .LBB319_863
; %bb.856:                              ;   in Loop: Header=BB319_799 Depth=1
	v_lshrrev_b32_e32 v0, 24, v12
	v_bfrev_b32_e32 v11, 1
	s_mov_b32 s12, exec_lo
	v_cmpx_ne_u32_e32 0x80, v0
	s_cbranch_execz .LBB319_862
; %bb.857:                              ;   in Loop: Header=BB319_799 Depth=1
	v_and_b32_e32 v68, 0x7f, v0
	v_mov_b32_e32 v11, 0x7c010000
	s_mov_b32 s13, exec_lo
	v_cmpx_ne_u32_e32 0x7f, v68
	s_cbranch_execz .LBB319_861
; %bb.858:                              ;   in Loop: Header=BB319_799 Depth=1
	v_and_b32_e32 v11, 7, v0
	v_lshrrev_b32_e32 v12, 3, v68
	s_mov_b32 s15, exec_lo
	v_cmpx_gt_u32_e32 8, v68
; %bb.859:                              ;   in Loop: Header=BB319_799 Depth=1
	v_ffbh_u32_e32 v6, v11
	v_min_u32_e32 v6, 32, v6
	v_subrev_nc_u32_e32 v11, 28, v6
	v_lshlrev_b64 v[11:12], v11, v[0:1]
	v_sub_nc_u32_e32 v12, 29, v6
	v_and_b32_e32 v11, 7, v11
; %bb.860:                              ;   in Loop: Header=BB319_799 Depth=1
	s_or_b32 exec_lo, exec_lo, s15
	v_lshlrev_b32_e32 v0, 8, v0
	v_lshl_add_u32 v6, v12, 10, 0x2000
	v_and_or_b32 v0, 0x8000, v0, v6
	v_lshlrev_b32_e32 v6, 23, v11
	v_lshl_or_b32 v11, v0, 16, v6
.LBB319_861:                            ;   in Loop: Header=BB319_799 Depth=1
	s_or_b32 exec_lo, exec_lo, s13
.LBB319_862:                            ;   in Loop: Header=BB319_799 Depth=1
	s_or_b32 exec_lo, exec_lo, s12
.LBB319_863:                            ;   in Loop: Header=BB319_799 Depth=1
	s_or_b32 exec_lo, exec_lo, s4
	s_clause 0x1
	buffer_load_dword v70, off, s[0:3], s32 offset:192
	buffer_load_dword v71, off, s[0:3], s32 offset:196
	v_or_b32_e32 v0, v67, v51
	s_waitcnt vmcnt(2) lgkmcnt(0)
	v_fma_mixlo_f16 v6, v52, v67, 0 op_sel:[0,1,0] op_sel_hi:[0,1,0]
	v_or_b32_e32 v55, v65, v55
	v_or_b32_e32 v32, v22, v32
	;; [unrolled: 1-line block ×3, first 2 shown]
	v_fma_mixlo_f16 v0, v52, v0, 0 op_sel_hi:[0,1,0]
	v_fma_mixlo_f16 v65, v52, v65, 0 op_sel:[0,1,0] op_sel_hi:[0,1,0]
	v_lshlrev_b32_e32 v12, 16, v6
	v_fma_mixlo_f16 v6, v52, v22, 0 op_sel:[0,1,0] op_sel_hi:[0,1,0]
	v_fma_mixlo_f16 v22, v52, v32, 0 op_sel_hi:[0,1,0]
	v_and_b32_e32 v67, 0xffff, v0
	v_fma_mixlo_f16 v0, v52, v55, 0 op_sel_hi:[0,1,0]
	v_fma_mixlo_f16 v11, v52, v11, 0 op_sel:[0,1,0] op_sel_hi:[0,1,0]
	v_fma_mixlo_f16 v35, v52, v35, 0 op_sel_hi:[0,1,0]
	v_lshlrev_b32_e32 v81, 16, v65
	v_lshlrev_b32_e32 v69, 16, v6
	v_and_b32_e32 v83, 0xffff, v0
	v_and_b32_e32 v82, 0xffff, v22
	v_lshlrev_b32_e32 v32, 16, v11
	v_and_b32_e32 v80, 0xffff, v35
	v_add_nc_u32_e32 v51, -7, v14
	v_or_b32_e32 v0, v12, v67
	v_or_b32_e32 v11, v81, v83
	v_or_b32_e32 v22, v69, v82
	v_or_b32_e32 v35, v32, v80
	s_waitcnt vmcnt(0)
	v_add_nc_u32_e32 v71, -6, v14
	v_add_nc_u32_e32 v68, -4, v14
	;; [unrolled: 1-line block ×5, first 2 shown]
	v_cmp_eq_u32_e32 vcc_lo, v36, v70
	v_add_nc_u32_e32 v70, -5, v14
	s_and_saveexec_b32 s12, vcc_lo
	s_cbranch_execz .LBB319_865
; %bb.864:                              ;   in Loop: Header=BB319_799 Depth=1
	v_cmp_lt_i32_e64 s4, v51, v33
	v_cndmask_b32_e64 v0, 0, v83, s4
	v_cmp_lt_i32_e64 s4, v71, v33
	v_cndmask_b32_e64 v6, 0, v81, s4
	v_cmp_lt_i32_e64 s4, v70, v33
	v_or_b32_e32 v11, v0, v6
	v_cndmask_b32_e64 v22, 0, v67, s4
	v_cmp_lt_i32_e64 s4, v68, v33
	v_cndmask_b32_e64 v12, 0, v12, s4
	v_cmp_lt_i32_e64 s4, v65, v33
	v_or_b32_e32 v0, v22, v12
	v_cndmask_b32_e64 v35, 0, v82, s4
	v_cmp_lt_i32_e64 s4, v55, v33
	v_cndmask_b32_e64 v67, 0, v69, s4
	v_cmp_lt_i32_e64 s4, v52, v33
	v_or_b32_e32 v22, v35, v67
	v_cndmask_b32_e64 v69, 0, v80, s4
	v_cmp_lt_i32_e64 s4, v14, v33
	v_cndmask_b32_e64 v32, 0, v32, s4
	v_or_b32_e32 v35, v69, v32
.LBB319_865:                            ;   in Loop: Header=BB319_799 Depth=1
	s_or_b32 exec_lo, exec_lo, s12
	v_and_b32_e32 v4, 0xffff, v4
	v_and_b32_e32 v6, 0xffff, v54
	;; [unrolled: 1-line block ×4, first 2 shown]
	v_lshl_or_b32 v67, v5, 16, v4
	v_lshl_or_b32 v64, v23, 16, v6
	;;#ASMSTART
	v_pk_mul_f16 v4, v67, v11;

	;;#ASMEND
	;;#ASMSTART
	v_pk_mul_f16 v0, v64, v0;

	;;#ASMEND
	v_lshl_or_b32 v54, v34, 16, v12
	v_lshl_or_b32 v53, v53, 16, v32
	;;#ASMSTART
	v_pk_mul_f16 v5, v54, v22;

	;;#ASMEND
	;;#ASMSTART
	v_pk_mul_f16 v6, v53, v35;

	;;#ASMEND
	;;#ASMSTART
	v_pk_add_f16 v0, v4, v0;

	;;#ASMEND
	;;#ASMSTART
	v_pk_add_f16 v0, v0, v5;
	;; [unrolled: 4-line block ×3, first 2 shown]

	;;#ASMEND
	v_and_b32_e32 v4, 0xffff, v0
	v_lshrrev_b32_e32 v0, 16, v0
	;;#ASMSTART
	v_cvt_f32_f16 v66, v4;
	;;#ASMEND
	;;#ASMSTART
	v_cvt_f32_f16 v69, v0;
	;;#ASMEND
	flat_load_dwordx2 v[11:12], v[9:10] offset:256
	flat_load_dword v4, v[26:27]
	v_mov_b32_e32 v5, 0
	v_mov_b32_e32 v23, 0
	s_waitcnt vmcnt(1) lgkmcnt(1)
	v_cmp_ne_u16_sdwa s4, v11, v1 src0_sel:BYTE_0 src1_sel:DWORD
	s_and_saveexec_b32 s12, s4
	s_cbranch_execz .LBB319_873
; %bb.866:                              ;   in Loop: Header=BB319_799 Depth=1
	v_cmp_ne_u16_sdwa s4, v11, v16 src0_sel:BYTE_0 src1_sel:DWORD
	v_mov_b32_e32 v23, 0x8000
	s_and_saveexec_b32 s13, s4
	s_cbranch_execz .LBB319_872
; %bb.867:                              ;   in Loop: Header=BB319_799 Depth=1
	v_and_b32_e32 v32, 0x7f, v11
	v_mov_b32_e32 v23, 0x7c01
	s_mov_b32 s15, exec_lo
	v_cmpx_ne_u32_e32 0x7f, v32
	s_cbranch_execz .LBB319_871
; %bb.868:                              ;   in Loop: Header=BB319_799 Depth=1
	v_and_b32_e32 v0, 7, v11
	v_lshrrev_b32_e32 v22, 3, v32
	s_mov_b32 s18, exec_lo
	v_cmpx_gt_u32_e32 8, v32
; %bb.869:                              ;   in Loop: Header=BB319_799 Depth=1
	v_ffbh_u32_e32 v0, v0
	v_min_u32_e32 v0, 32, v0
	v_subrev_nc_u32_e32 v6, 28, v0
	v_sub_nc_u32_e32 v22, 29, v0
	v_lshlrev_b64 v[34:35], v6, v[11:12]
	v_and_b32_e32 v0, 7, v34
; %bb.870:                              ;   in Loop: Header=BB319_799 Depth=1
	s_or_b32 exec_lo, exec_lo, s18
	v_lshlrev_b32_e32 v6, 8, v11
	v_lshl_add_u32 v22, v22, 10, 0x2000
	v_lshlrev_b32_e32 v0, 7, v0
	v_and_b32_e32 v6, 0x8000, v6
	v_and_b32_e32 v22, 0xfc00, v22
	v_or3_b32 v23, v6, v22, v0
.LBB319_871:                            ;   in Loop: Header=BB319_799 Depth=1
	s_or_b32 exec_lo, exec_lo, s15
.LBB319_872:                            ;   in Loop: Header=BB319_799 Depth=1
	s_or_b32 exec_lo, exec_lo, s13
.LBB319_873:                            ;   in Loop: Header=BB319_799 Depth=1
	s_or_b32 exec_lo, exec_lo, s12
	v_lshrrev_b16 v0, 8, v11
	s_mov_b32 s12, exec_lo
	v_cmpx_ne_u16_e32 0, v0
	s_cbranch_execz .LBB319_881
; %bb.874:                              ;   in Loop: Header=BB319_799 Depth=1
	v_bfrev_b32_e32 v5, 1
	s_mov_b32 s13, exec_lo
	v_cmpx_ne_u16_e32 0x80, v0
	s_cbranch_execz .LBB319_880
; %bb.875:                              ;   in Loop: Header=BB319_799 Depth=1
	v_and_b32_sdwa v32, v0, v17 dst_sel:DWORD dst_unused:UNUSED_PAD src0_sel:WORD_0 src1_sel:DWORD
	v_mov_b32_e32 v5, 0x7c010000
	s_mov_b32 s15, exec_lo
	v_cmpx_ne_u32_e32 0x7f, v32
	s_cbranch_execz .LBB319_879
; %bb.876:                              ;   in Loop: Header=BB319_799 Depth=1
	v_and_b32_sdwa v5, v0, v37 dst_sel:DWORD dst_unused:UNUSED_PAD src0_sel:WORD_0 src1_sel:DWORD
	v_lshrrev_b32_e32 v22, 3, v32
	s_mov_b32 s18, exec_lo
	v_cmpx_gt_u32_e32 8, v32
; %bb.877:                              ;   in Loop: Header=BB319_799 Depth=1
	v_ffbh_u32_e32 v5, v5
	v_min_u32_e32 v22, 32, v5
	v_subrev_nc_u32_e32 v5, 28, v22
	v_sub_nc_u32_e32 v22, 29, v22
	v_lshlrev_b64 v[5:6], v5, v[0:1]
	v_and_b32_e32 v5, 7, v5
; %bb.878:                              ;   in Loop: Header=BB319_799 Depth=1
	s_or_b32 exec_lo, exec_lo, s18
	v_lshlrev_b32_sdwa v0, v50, v0 dst_sel:DWORD dst_unused:UNUSED_PAD src0_sel:DWORD src1_sel:WORD_0
	v_lshl_add_u32 v6, v22, 10, 0x2000
	v_lshlrev_b32_e32 v5, 23, v5
	v_and_or_b32 v0, 0x8000, v0, v6
	v_lshl_or_b32 v5, v0, 16, v5
.LBB319_879:                            ;   in Loop: Header=BB319_799 Depth=1
	s_or_b32 exec_lo, exec_lo, s15
.LBB319_880:                            ;   in Loop: Header=BB319_799 Depth=1
	s_or_b32 exec_lo, exec_lo, s13
.LBB319_881:                            ;   in Loop: Header=BB319_799 Depth=1
	s_or_b32 exec_lo, exec_lo, s12
	v_lshrrev_b32_e32 v0, 16, v11
	v_mov_b32_e32 v32, 0
	v_mov_b32_e32 v34, 0
	v_cmp_ne_u16_sdwa s4, v0, v1 src0_sel:BYTE_0 src1_sel:DWORD
	s_and_saveexec_b32 s12, s4
	s_cbranch_execz .LBB319_889
; %bb.882:                              ;   in Loop: Header=BB319_799 Depth=1
	v_cmp_ne_u16_sdwa s4, v0, v16 src0_sel:BYTE_0 src1_sel:DWORD
	v_mov_b32_e32 v34, 0x8000
	s_and_saveexec_b32 s13, s4
	s_cbranch_execz .LBB319_888
; %bb.883:                              ;   in Loop: Header=BB319_799 Depth=1
	v_bfe_u32 v35, v11, 16, 7
	v_mov_b32_e32 v34, 0x7c01
	s_mov_b32 s15, exec_lo
	v_cmpx_ne_u32_e32 0x7f, v35
	s_cbranch_execz .LBB319_887
; %bb.884:                              ;   in Loop: Header=BB319_799 Depth=1
	v_and_b32_e32 v22, 7, v0
	v_lshrrev_b32_e32 v34, 3, v35
	s_mov_b32 s18, exec_lo
	v_cmpx_gt_u32_e32 8, v35
; %bb.885:                              ;   in Loop: Header=BB319_799 Depth=1
	v_ffbh_u32_e32 v6, v22
	v_min_u32_e32 v6, 32, v6
	v_subrev_nc_u32_e32 v22, 28, v6
	v_sub_nc_u32_e32 v34, 29, v6
	v_lshlrev_b64 v[80:81], v22, v[0:1]
	v_and_b32_e32 v22, 7, v80
; %bb.886:                              ;   in Loop: Header=BB319_799 Depth=1
	s_or_b32 exec_lo, exec_lo, s18
	v_lshlrev_b32_e32 v0, 8, v0
	v_lshl_add_u32 v6, v34, 10, 0x2000
	v_lshlrev_b32_e32 v22, 7, v22
	v_and_b32_e32 v0, 0x8000, v0
	v_and_b32_e32 v6, 0xfc00, v6
	v_or3_b32 v34, v0, v6, v22
.LBB319_887:                            ;   in Loop: Header=BB319_799 Depth=1
	s_or_b32 exec_lo, exec_lo, s15
.LBB319_888:                            ;   in Loop: Header=BB319_799 Depth=1
	s_or_b32 exec_lo, exec_lo, s13
.LBB319_889:                            ;   in Loop: Header=BB319_799 Depth=1
	s_or_b32 exec_lo, exec_lo, s12
	s_mov_b32 s12, exec_lo
	v_cmpx_lt_u32_e32 0xffffff, v11
	s_cbranch_execz .LBB319_897
; %bb.890:                              ;   in Loop: Header=BB319_799 Depth=1
	v_lshrrev_b32_e32 v0, 24, v11
	v_bfrev_b32_e32 v32, 1
	s_mov_b32 s13, exec_lo
	v_cmpx_ne_u32_e32 0x80, v0
	s_cbranch_execz .LBB319_896
; %bb.891:                              ;   in Loop: Header=BB319_799 Depth=1
	v_and_b32_e32 v35, 0x7f, v0
	v_mov_b32_e32 v32, 0x7c010000
	s_mov_b32 s15, exec_lo
	v_cmpx_ne_u32_e32 0x7f, v35
	s_cbranch_execz .LBB319_895
; %bb.892:                              ;   in Loop: Header=BB319_799 Depth=1
	v_and_b32_e32 v22, 7, v0
	v_lshrrev_b32_e32 v32, 3, v35
	s_mov_b32 s18, exec_lo
	v_cmpx_gt_u32_e32 8, v35
; %bb.893:                              ;   in Loop: Header=BB319_799 Depth=1
	v_ffbh_u32_e32 v6, v22
	v_min_u32_e32 v6, 32, v6
	v_subrev_nc_u32_e32 v22, 28, v6
	v_sub_nc_u32_e32 v32, 29, v6
	v_lshlrev_b64 v[80:81], v22, v[0:1]
	v_and_b32_e32 v22, 7, v80
; %bb.894:                              ;   in Loop: Header=BB319_799 Depth=1
	s_or_b32 exec_lo, exec_lo, s18
	v_lshlrev_b32_e32 v0, 8, v0
	v_lshl_add_u32 v6, v32, 10, 0x2000
	v_and_or_b32 v0, 0x8000, v0, v6
	v_lshlrev_b32_e32 v6, 23, v22
	v_lshl_or_b32 v32, v0, 16, v6
.LBB319_895:                            ;   in Loop: Header=BB319_799 Depth=1
	s_or_b32 exec_lo, exec_lo, s15
.LBB319_896:                            ;   in Loop: Header=BB319_799 Depth=1
	s_or_b32 exec_lo, exec_lo, s13
.LBB319_897:                            ;   in Loop: Header=BB319_799 Depth=1
	s_or_b32 exec_lo, exec_lo, s12
	v_mov_b32_e32 v0, v12
	v_cmp_ne_u16_sdwa s4, v12, v1 src0_sel:BYTE_0 src1_sel:DWORD
	v_mov_b32_e32 v80, 0
	v_mov_b32_e32 v22, 0
	s_and_saveexec_b32 s12, s4
	s_cbranch_execz .LBB319_905
; %bb.898:                              ;   in Loop: Header=BB319_799 Depth=1
	v_cmp_ne_u16_sdwa s4, v12, v16 src0_sel:BYTE_0 src1_sel:DWORD
	v_mov_b32_e32 v22, 0x8000
	s_and_saveexec_b32 s13, s4
	s_cbranch_execz .LBB319_904
; %bb.899:                              ;   in Loop: Header=BB319_799 Depth=1
	v_and_b32_e32 v81, 0x7f, v12
	v_mov_b32_e32 v22, 0x7c01
	s_mov_b32 s15, exec_lo
	v_cmpx_ne_u32_e32 0x7f, v81
	s_cbranch_execz .LBB319_903
; %bb.900:                              ;   in Loop: Header=BB319_799 Depth=1
	v_and_b32_e32 v22, 7, v12
	v_lshrrev_b32_e32 v35, 3, v81
	s_mov_b32 s18, exec_lo
	v_cmpx_gt_u32_e32 8, v81
; %bb.901:                              ;   in Loop: Header=BB319_799 Depth=1
	v_ffbh_u32_e32 v6, v22
	v_min_u32_e32 v6, 32, v6
	v_subrev_nc_u32_e32 v22, 28, v6
	v_sub_nc_u32_e32 v35, 29, v6
	v_lshlrev_b64 v[81:82], v22, v[0:1]
	v_and_b32_e32 v22, 7, v81
; %bb.902:                              ;   in Loop: Header=BB319_799 Depth=1
	s_or_b32 exec_lo, exec_lo, s18
	v_lshlrev_b32_e32 v6, 8, v12
	v_lshl_add_u32 v35, v35, 10, 0x2000
	v_lshlrev_b32_e32 v22, 7, v22
	v_and_b32_e32 v6, 0x8000, v6
	v_and_b32_e32 v35, 0xfc00, v35
	v_or3_b32 v22, v6, v35, v22
.LBB319_903:                            ;   in Loop: Header=BB319_799 Depth=1
	s_or_b32 exec_lo, exec_lo, s15
.LBB319_904:                            ;   in Loop: Header=BB319_799 Depth=1
	s_or_b32 exec_lo, exec_lo, s13
.LBB319_905:                            ;   in Loop: Header=BB319_799 Depth=1
	s_or_b32 exec_lo, exec_lo, s12
	v_lshrrev_b16 v0, 8, v0
	v_mov_b32_e32 v35, 0
	s_mov_b32 s12, exec_lo
	v_cmpx_ne_u16_e32 0, v0
	s_cbranch_execz .LBB319_913
; %bb.906:                              ;   in Loop: Header=BB319_799 Depth=1
	v_bfrev_b32_e32 v35, 1
	s_mov_b32 s13, exec_lo
	v_cmpx_ne_u16_e32 0x80, v0
	s_cbranch_execz .LBB319_912
; %bb.907:                              ;   in Loop: Header=BB319_799 Depth=1
	v_and_b32_sdwa v82, v0, v17 dst_sel:DWORD dst_unused:UNUSED_PAD src0_sel:WORD_0 src1_sel:DWORD
	v_mov_b32_e32 v35, 0x7c010000
	s_mov_b32 s15, exec_lo
	v_cmpx_ne_u32_e32 0x7f, v82
	s_cbranch_execz .LBB319_911
; %bb.908:                              ;   in Loop: Header=BB319_799 Depth=1
	v_and_b32_sdwa v35, v0, v37 dst_sel:DWORD dst_unused:UNUSED_PAD src0_sel:WORD_0 src1_sel:DWORD
	v_lshrrev_b32_e32 v81, 3, v82
	s_mov_b32 s18, exec_lo
	v_cmpx_gt_u32_e32 8, v82
; %bb.909:                              ;   in Loop: Header=BB319_799 Depth=1
	v_ffbh_u32_e32 v6, v35
	v_min_u32_e32 v6, 32, v6
	v_subrev_nc_u32_e32 v35, 28, v6
	v_sub_nc_u32_e32 v81, 29, v6
	v_lshlrev_b64 v[82:83], v35, v[0:1]
	v_and_b32_e32 v35, 7, v82
; %bb.910:                              ;   in Loop: Header=BB319_799 Depth=1
	s_or_b32 exec_lo, exec_lo, s18
	v_lshlrev_b32_sdwa v0, v50, v0 dst_sel:DWORD dst_unused:UNUSED_PAD src0_sel:DWORD src1_sel:WORD_0
	v_lshl_add_u32 v6, v81, 10, 0x2000
	v_and_or_b32 v0, 0x8000, v0, v6
	v_lshlrev_b32_e32 v6, 23, v35
	v_lshl_or_b32 v35, v0, 16, v6
.LBB319_911:                            ;   in Loop: Header=BB319_799 Depth=1
	s_or_b32 exec_lo, exec_lo, s15
.LBB319_912:                            ;   in Loop: Header=BB319_799 Depth=1
	s_or_b32 exec_lo, exec_lo, s13
.LBB319_913:                            ;   in Loop: Header=BB319_799 Depth=1
	s_or_b32 exec_lo, exec_lo, s12
	v_lshrrev_b32_e32 v0, 16, v12
	v_cmp_ne_u16_sdwa s4, v0, v1 src0_sel:BYTE_0 src1_sel:DWORD
	s_and_saveexec_b32 s12, s4
	s_cbranch_execz .LBB319_921
; %bb.914:                              ;   in Loop: Header=BB319_799 Depth=1
	v_cmp_ne_u16_sdwa s4, v0, v16 src0_sel:BYTE_0 src1_sel:DWORD
	v_mov_b32_e32 v80, 0x8000
	s_and_saveexec_b32 s13, s4
	s_cbranch_execz .LBB319_920
; %bb.915:                              ;   in Loop: Header=BB319_799 Depth=1
	v_bfe_u32 v82, v12, 16, 7
	v_mov_b32_e32 v80, 0x7c01
	s_mov_b32 s15, exec_lo
	v_cmpx_ne_u32_e32 0x7f, v82
	s_cbranch_execz .LBB319_919
; %bb.916:                              ;   in Loop: Header=BB319_799 Depth=1
	v_and_b32_e32 v80, 7, v0
	v_lshrrev_b32_e32 v81, 3, v82
	s_mov_b32 s18, exec_lo
	v_cmpx_gt_u32_e32 8, v82
; %bb.917:                              ;   in Loop: Header=BB319_799 Depth=1
	v_ffbh_u32_e32 v6, v80
	v_min_u32_e32 v6, 32, v6
	v_subrev_nc_u32_e32 v80, 28, v6
	v_lshlrev_b64 v[80:81], v80, v[0:1]
	v_sub_nc_u32_e32 v81, 29, v6
	v_and_b32_e32 v80, 7, v80
; %bb.918:                              ;   in Loop: Header=BB319_799 Depth=1
	s_or_b32 exec_lo, exec_lo, s18
	v_lshlrev_b32_e32 v0, 8, v0
	v_lshl_add_u32 v6, v81, 10, 0x2000
	v_lshlrev_b32_e32 v80, 7, v80
	v_and_b32_e32 v0, 0x8000, v0
	v_and_b32_e32 v6, 0xfc00, v6
	v_or3_b32 v80, v0, v6, v80
.LBB319_919:                            ;   in Loop: Header=BB319_799 Depth=1
	s_or_b32 exec_lo, exec_lo, s15
.LBB319_920:                            ;   in Loop: Header=BB319_799 Depth=1
	s_or_b32 exec_lo, exec_lo, s13
.LBB319_921:                            ;   in Loop: Header=BB319_799 Depth=1
	s_or_b32 exec_lo, exec_lo, s12
	v_cmp_lt_u64_e64 s4, s[8:9], v[11:12]
	v_mov_b32_e32 v11, 0
	s_and_saveexec_b32 s12, s4
	s_cbranch_execz .LBB319_929
; %bb.922:                              ;   in Loop: Header=BB319_799 Depth=1
	v_lshrrev_b32_e32 v0, 24, v12
	v_bfrev_b32_e32 v11, 1
	s_mov_b32 s13, exec_lo
	v_cmpx_ne_u32_e32 0x80, v0
	s_cbranch_execz .LBB319_928
; %bb.923:                              ;   in Loop: Header=BB319_799 Depth=1
	v_and_b32_e32 v81, 0x7f, v0
	v_mov_b32_e32 v11, 0x7c010000
	s_mov_b32 s15, exec_lo
	v_cmpx_ne_u32_e32 0x7f, v81
	s_cbranch_execz .LBB319_927
; %bb.924:                              ;   in Loop: Header=BB319_799 Depth=1
	v_and_b32_e32 v11, 7, v0
	v_lshrrev_b32_e32 v12, 3, v81
	s_mov_b32 s18, exec_lo
	v_cmpx_gt_u32_e32 8, v81
; %bb.925:                              ;   in Loop: Header=BB319_799 Depth=1
	v_ffbh_u32_e32 v6, v11
	v_min_u32_e32 v6, 32, v6
	v_subrev_nc_u32_e32 v11, 28, v6
	v_lshlrev_b64 v[11:12], v11, v[0:1]
	v_sub_nc_u32_e32 v12, 29, v6
	v_and_b32_e32 v11, 7, v11
; %bb.926:                              ;   in Loop: Header=BB319_799 Depth=1
	s_or_b32 exec_lo, exec_lo, s18
	v_lshlrev_b32_e32 v0, 8, v0
	v_lshl_add_u32 v6, v12, 10, 0x2000
	v_and_or_b32 v0, 0x8000, v0, v6
	v_lshlrev_b32_e32 v6, 23, v11
	v_lshl_or_b32 v11, v0, 16, v6
.LBB319_927:                            ;   in Loop: Header=BB319_799 Depth=1
	s_or_b32 exec_lo, exec_lo, s15
.LBB319_928:                            ;   in Loop: Header=BB319_799 Depth=1
	s_or_b32 exec_lo, exec_lo, s13
.LBB319_929:                            ;   in Loop: Header=BB319_799 Depth=1
	s_or_b32 exec_lo, exec_lo, s12
	v_or_b32_e32 v0, v32, v34
	s_waitcnt vmcnt(0) lgkmcnt(0)
	v_fma_mixlo_f16 v6, v4, v32, 0 op_sel:[0,1,0] op_sel_hi:[0,1,0]
	v_or_b32_e32 v12, v5, v23
	v_or_b32_e32 v23, v35, v22
	;; [unrolled: 1-line block ×3, first 2 shown]
	v_fma_mixlo_f16 v5, v4, v5, 0 op_sel:[0,1,0] op_sel_hi:[0,1,0]
	v_fma_mixlo_f16 v32, v4, v0, 0 op_sel_hi:[0,1,0]
	v_lshlrev_b32_e32 v0, 16, v6
	v_fma_mixlo_f16 v6, v4, v12, 0 op_sel_hi:[0,1,0]
	v_fma_mixlo_f16 v12, v4, v35, 0 op_sel:[0,1,0] op_sel_hi:[0,1,0]
	v_fma_mixlo_f16 v23, v4, v23, 0 op_sel_hi:[0,1,0]
	v_fma_mixlo_f16 v35, v4, v11, 0 op_sel:[0,1,0] op_sel_hi:[0,1,0]
	v_fma_mixlo_f16 v34, v4, v34, 0 op_sel_hi:[0,1,0]
	v_lshlrev_b32_e32 v22, 16, v5
	v_and_b32_e32 v5, 0xffff, v32
	v_and_b32_e32 v81, 0xffff, v6
	v_lshlrev_b32_e32 v11, 16, v12
	v_and_b32_e32 v32, 0xffff, v23
	v_lshlrev_b32_e32 v4, 16, v35
	v_and_b32_e32 v12, 0xffff, v34
	v_or_b32_e32 v23, v0, v5
	v_or_b32_e32 v80, v22, v81
	;; [unrolled: 1-line block ×4, first 2 shown]
	s_and_saveexec_b32 s12, vcc_lo
	s_cbranch_execz .LBB319_931
; %bb.930:                              ;   in Loop: Header=BB319_799 Depth=1
	v_cmp_lt_i32_e64 s4, v51, v33
	v_cndmask_b32_e64 v6, 0, v81, s4
	v_cmp_lt_i32_e64 s4, v71, v33
	v_cndmask_b32_e64 v22, 0, v22, s4
	v_cmp_lt_i32_e64 s4, v70, v33
	v_or_b32_e32 v80, v6, v22
	v_cndmask_b32_e64 v5, 0, v5, s4
	v_cmp_lt_i32_e64 s4, v68, v33
	v_cndmask_b32_e64 v0, 0, v0, s4
	v_cmp_lt_i32_e64 s4, v65, v33
	v_or_b32_e32 v23, v5, v0
	;; [unrolled: 5-line block ×3, first 2 shown]
	v_cndmask_b32_e64 v12, 0, v12, s4
	v_cmp_lt_i32_e64 s4, v14, v33
	v_cndmask_b32_e64 v4, 0, v4, s4
	v_or_b32_e32 v34, v12, v4
.LBB319_931:                            ;   in Loop: Header=BB319_799 Depth=1
	s_or_b32 exec_lo, exec_lo, s12
	;;#ASMSTART
	v_pk_mul_f16 v0, v67, v80;

	;;#ASMEND
	;;#ASMSTART
	v_pk_mul_f16 v4, v64, v23;

	;;#ASMEND
	;; [unrolled: 4-line block ×4, first 2 shown]
	;;#ASMSTART
	v_pk_add_f16 v0, v0, v4;

	;;#ASMEND
	;;#ASMSTART
	v_pk_add_f16 v0, v0, v5;

	;;#ASMEND
	;; [unrolled: 4-line block ×3, first 2 shown]
	v_and_b32_e32 v4, 0xffff, v0
	v_lshrrev_b32_e32 v0, 16, v0
	;;#ASMSTART
	v_cvt_f32_f16 v80, v4;
	;;#ASMEND
	;;#ASMSTART
	v_cvt_f32_f16 v81, v0;
	;;#ASMEND
	flat_load_dwordx2 v[11:12], v[9:10] offset:512
	flat_load_dword v4, v[26:27]
	v_mov_b32_e32 v5, 0
	v_mov_b32_e32 v23, 0
	s_waitcnt vmcnt(1) lgkmcnt(1)
	v_cmp_ne_u16_sdwa s4, v11, v1 src0_sel:BYTE_0 src1_sel:DWORD
	s_and_saveexec_b32 s12, s4
	s_cbranch_execz .LBB319_939
; %bb.932:                              ;   in Loop: Header=BB319_799 Depth=1
	v_cmp_ne_u16_sdwa s4, v11, v16 src0_sel:BYTE_0 src1_sel:DWORD
	v_mov_b32_e32 v23, 0x8000
	s_and_saveexec_b32 s13, s4
	s_cbranch_execz .LBB319_938
; %bb.933:                              ;   in Loop: Header=BB319_799 Depth=1
	v_and_b32_e32 v32, 0x7f, v11
	v_mov_b32_e32 v23, 0x7c01
	s_mov_b32 s15, exec_lo
	v_cmpx_ne_u32_e32 0x7f, v32
	s_cbranch_execz .LBB319_937
; %bb.934:                              ;   in Loop: Header=BB319_799 Depth=1
	v_and_b32_e32 v0, 7, v11
	v_lshrrev_b32_e32 v22, 3, v32
	s_mov_b32 s18, exec_lo
	v_cmpx_gt_u32_e32 8, v32
; %bb.935:                              ;   in Loop: Header=BB319_799 Depth=1
	v_ffbh_u32_e32 v0, v0
	v_min_u32_e32 v0, 32, v0
	v_subrev_nc_u32_e32 v6, 28, v0
	v_sub_nc_u32_e32 v22, 29, v0
	v_lshlrev_b64 v[34:35], v6, v[11:12]
	v_and_b32_e32 v0, 7, v34
; %bb.936:                              ;   in Loop: Header=BB319_799 Depth=1
	s_or_b32 exec_lo, exec_lo, s18
	v_lshlrev_b32_e32 v6, 8, v11
	v_lshl_add_u32 v22, v22, 10, 0x2000
	v_lshlrev_b32_e32 v0, 7, v0
	v_and_b32_e32 v6, 0x8000, v6
	v_and_b32_e32 v22, 0xfc00, v22
	v_or3_b32 v23, v6, v22, v0
.LBB319_937:                            ;   in Loop: Header=BB319_799 Depth=1
	s_or_b32 exec_lo, exec_lo, s15
.LBB319_938:                            ;   in Loop: Header=BB319_799 Depth=1
	s_or_b32 exec_lo, exec_lo, s13
.LBB319_939:                            ;   in Loop: Header=BB319_799 Depth=1
	s_or_b32 exec_lo, exec_lo, s12
	v_lshrrev_b16 v0, 8, v11
	s_mov_b32 s12, exec_lo
	v_cmpx_ne_u16_e32 0, v0
	s_cbranch_execz .LBB319_947
; %bb.940:                              ;   in Loop: Header=BB319_799 Depth=1
	v_bfrev_b32_e32 v5, 1
	s_mov_b32 s13, exec_lo
	v_cmpx_ne_u16_e32 0x80, v0
	s_cbranch_execz .LBB319_946
; %bb.941:                              ;   in Loop: Header=BB319_799 Depth=1
	v_and_b32_sdwa v32, v0, v17 dst_sel:DWORD dst_unused:UNUSED_PAD src0_sel:WORD_0 src1_sel:DWORD
	v_mov_b32_e32 v5, 0x7c010000
	s_mov_b32 s15, exec_lo
	v_cmpx_ne_u32_e32 0x7f, v32
	s_cbranch_execz .LBB319_945
; %bb.942:                              ;   in Loop: Header=BB319_799 Depth=1
	v_and_b32_sdwa v5, v0, v37 dst_sel:DWORD dst_unused:UNUSED_PAD src0_sel:WORD_0 src1_sel:DWORD
	v_lshrrev_b32_e32 v22, 3, v32
	s_mov_b32 s18, exec_lo
	v_cmpx_gt_u32_e32 8, v32
; %bb.943:                              ;   in Loop: Header=BB319_799 Depth=1
	v_ffbh_u32_e32 v5, v5
	v_min_u32_e32 v22, 32, v5
	v_subrev_nc_u32_e32 v5, 28, v22
	v_sub_nc_u32_e32 v22, 29, v22
	v_lshlrev_b64 v[5:6], v5, v[0:1]
	v_and_b32_e32 v5, 7, v5
; %bb.944:                              ;   in Loop: Header=BB319_799 Depth=1
	s_or_b32 exec_lo, exec_lo, s18
	v_lshlrev_b32_sdwa v0, v50, v0 dst_sel:DWORD dst_unused:UNUSED_PAD src0_sel:DWORD src1_sel:WORD_0
	v_lshl_add_u32 v6, v22, 10, 0x2000
	v_lshlrev_b32_e32 v5, 23, v5
	v_and_or_b32 v0, 0x8000, v0, v6
	v_lshl_or_b32 v5, v0, 16, v5
.LBB319_945:                            ;   in Loop: Header=BB319_799 Depth=1
	s_or_b32 exec_lo, exec_lo, s15
.LBB319_946:                            ;   in Loop: Header=BB319_799 Depth=1
	s_or_b32 exec_lo, exec_lo, s13
.LBB319_947:                            ;   in Loop: Header=BB319_799 Depth=1
	s_or_b32 exec_lo, exec_lo, s12
	v_lshrrev_b32_e32 v0, 16, v11
	v_mov_b32_e32 v32, 0
	v_mov_b32_e32 v34, 0
	v_cmp_ne_u16_sdwa s4, v0, v1 src0_sel:BYTE_0 src1_sel:DWORD
	s_and_saveexec_b32 s12, s4
	s_cbranch_execz .LBB319_955
; %bb.948:                              ;   in Loop: Header=BB319_799 Depth=1
	v_cmp_ne_u16_sdwa s4, v0, v16 src0_sel:BYTE_0 src1_sel:DWORD
	v_mov_b32_e32 v34, 0x8000
	s_and_saveexec_b32 s13, s4
	s_cbranch_execz .LBB319_954
; %bb.949:                              ;   in Loop: Header=BB319_799 Depth=1
	v_bfe_u32 v35, v11, 16, 7
	v_mov_b32_e32 v34, 0x7c01
	s_mov_b32 s15, exec_lo
	v_cmpx_ne_u32_e32 0x7f, v35
	s_cbranch_execz .LBB319_953
; %bb.950:                              ;   in Loop: Header=BB319_799 Depth=1
	v_and_b32_e32 v22, 7, v0
	v_lshrrev_b32_e32 v34, 3, v35
	s_mov_b32 s18, exec_lo
	v_cmpx_gt_u32_e32 8, v35
; %bb.951:                              ;   in Loop: Header=BB319_799 Depth=1
	v_ffbh_u32_e32 v6, v22
	v_min_u32_e32 v6, 32, v6
	v_subrev_nc_u32_e32 v22, 28, v6
	v_sub_nc_u32_e32 v34, 29, v6
	v_lshlrev_b64 v[82:83], v22, v[0:1]
	v_and_b32_e32 v22, 7, v82
; %bb.952:                              ;   in Loop: Header=BB319_799 Depth=1
	s_or_b32 exec_lo, exec_lo, s18
	v_lshlrev_b32_e32 v0, 8, v0
	v_lshl_add_u32 v6, v34, 10, 0x2000
	v_lshlrev_b32_e32 v22, 7, v22
	v_and_b32_e32 v0, 0x8000, v0
	v_and_b32_e32 v6, 0xfc00, v6
	v_or3_b32 v34, v0, v6, v22
.LBB319_953:                            ;   in Loop: Header=BB319_799 Depth=1
	s_or_b32 exec_lo, exec_lo, s15
.LBB319_954:                            ;   in Loop: Header=BB319_799 Depth=1
	s_or_b32 exec_lo, exec_lo, s13
.LBB319_955:                            ;   in Loop: Header=BB319_799 Depth=1
	s_or_b32 exec_lo, exec_lo, s12
	s_mov_b32 s12, exec_lo
	v_cmpx_lt_u32_e32 0xffffff, v11
	s_cbranch_execz .LBB319_963
; %bb.956:                              ;   in Loop: Header=BB319_799 Depth=1
	v_lshrrev_b32_e32 v0, 24, v11
	v_bfrev_b32_e32 v32, 1
	s_mov_b32 s13, exec_lo
	v_cmpx_ne_u32_e32 0x80, v0
	s_cbranch_execz .LBB319_962
; %bb.957:                              ;   in Loop: Header=BB319_799 Depth=1
	v_and_b32_e32 v35, 0x7f, v0
	v_mov_b32_e32 v32, 0x7c010000
	s_mov_b32 s15, exec_lo
	v_cmpx_ne_u32_e32 0x7f, v35
	s_cbranch_execz .LBB319_961
; %bb.958:                              ;   in Loop: Header=BB319_799 Depth=1
	v_and_b32_e32 v22, 7, v0
	v_lshrrev_b32_e32 v32, 3, v35
	s_mov_b32 s18, exec_lo
	v_cmpx_gt_u32_e32 8, v35
; %bb.959:                              ;   in Loop: Header=BB319_799 Depth=1
	v_ffbh_u32_e32 v6, v22
	v_min_u32_e32 v6, 32, v6
	v_subrev_nc_u32_e32 v22, 28, v6
	v_sub_nc_u32_e32 v32, 29, v6
	v_lshlrev_b64 v[82:83], v22, v[0:1]
	v_and_b32_e32 v22, 7, v82
; %bb.960:                              ;   in Loop: Header=BB319_799 Depth=1
	s_or_b32 exec_lo, exec_lo, s18
	v_lshlrev_b32_e32 v0, 8, v0
	v_lshl_add_u32 v6, v32, 10, 0x2000
	v_and_or_b32 v0, 0x8000, v0, v6
	v_lshlrev_b32_e32 v6, 23, v22
	v_lshl_or_b32 v32, v0, 16, v6
.LBB319_961:                            ;   in Loop: Header=BB319_799 Depth=1
	s_or_b32 exec_lo, exec_lo, s15
.LBB319_962:                            ;   in Loop: Header=BB319_799 Depth=1
	s_or_b32 exec_lo, exec_lo, s13
.LBB319_963:                            ;   in Loop: Header=BB319_799 Depth=1
	s_or_b32 exec_lo, exec_lo, s12
	v_mov_b32_e32 v0, v12
	v_cmp_ne_u16_sdwa s4, v12, v1 src0_sel:BYTE_0 src1_sel:DWORD
	v_mov_b32_e32 v82, 0
	v_mov_b32_e32 v22, 0
	s_and_saveexec_b32 s12, s4
	s_cbranch_execz .LBB319_971
; %bb.964:                              ;   in Loop: Header=BB319_799 Depth=1
	v_cmp_ne_u16_sdwa s4, v12, v16 src0_sel:BYTE_0 src1_sel:DWORD
	v_mov_b32_e32 v22, 0x8000
	s_and_saveexec_b32 s13, s4
	s_cbranch_execz .LBB319_970
; %bb.965:                              ;   in Loop: Header=BB319_799 Depth=1
	v_and_b32_e32 v83, 0x7f, v12
	v_mov_b32_e32 v22, 0x7c01
	s_mov_b32 s15, exec_lo
	v_cmpx_ne_u32_e32 0x7f, v83
	s_cbranch_execz .LBB319_969
; %bb.966:                              ;   in Loop: Header=BB319_799 Depth=1
	v_and_b32_e32 v22, 7, v12
	v_lshrrev_b32_e32 v35, 3, v83
	s_mov_b32 s18, exec_lo
	v_cmpx_gt_u32_e32 8, v83
; %bb.967:                              ;   in Loop: Header=BB319_799 Depth=1
	v_ffbh_u32_e32 v6, v22
	v_min_u32_e32 v6, 32, v6
	v_subrev_nc_u32_e32 v22, 28, v6
	v_sub_nc_u32_e32 v35, 29, v6
	v_lshlrev_b64 v[83:84], v22, v[0:1]
	v_and_b32_e32 v22, 7, v83
; %bb.968:                              ;   in Loop: Header=BB319_799 Depth=1
	s_or_b32 exec_lo, exec_lo, s18
	v_lshlrev_b32_e32 v6, 8, v12
	v_lshl_add_u32 v35, v35, 10, 0x2000
	v_lshlrev_b32_e32 v22, 7, v22
	v_and_b32_e32 v6, 0x8000, v6
	v_and_b32_e32 v35, 0xfc00, v35
	v_or3_b32 v22, v6, v35, v22
.LBB319_969:                            ;   in Loop: Header=BB319_799 Depth=1
	s_or_b32 exec_lo, exec_lo, s15
.LBB319_970:                            ;   in Loop: Header=BB319_799 Depth=1
	s_or_b32 exec_lo, exec_lo, s13
.LBB319_971:                            ;   in Loop: Header=BB319_799 Depth=1
	s_or_b32 exec_lo, exec_lo, s12
	v_lshrrev_b16 v0, 8, v0
	v_mov_b32_e32 v35, 0
	s_mov_b32 s12, exec_lo
	v_cmpx_ne_u16_e32 0, v0
	s_cbranch_execz .LBB319_979
; %bb.972:                              ;   in Loop: Header=BB319_799 Depth=1
	v_bfrev_b32_e32 v35, 1
	s_mov_b32 s13, exec_lo
	v_cmpx_ne_u16_e32 0x80, v0
	s_cbranch_execz .LBB319_978
; %bb.973:                              ;   in Loop: Header=BB319_799 Depth=1
	v_and_b32_sdwa v84, v0, v17 dst_sel:DWORD dst_unused:UNUSED_PAD src0_sel:WORD_0 src1_sel:DWORD
	v_mov_b32_e32 v35, 0x7c010000
	s_mov_b32 s15, exec_lo
	v_cmpx_ne_u32_e32 0x7f, v84
	s_cbranch_execz .LBB319_977
; %bb.974:                              ;   in Loop: Header=BB319_799 Depth=1
	v_and_b32_sdwa v35, v0, v37 dst_sel:DWORD dst_unused:UNUSED_PAD src0_sel:WORD_0 src1_sel:DWORD
	v_lshrrev_b32_e32 v83, 3, v84
	s_mov_b32 s18, exec_lo
	v_cmpx_gt_u32_e32 8, v84
; %bb.975:                              ;   in Loop: Header=BB319_799 Depth=1
	v_ffbh_u32_e32 v6, v35
	v_min_u32_e32 v6, 32, v6
	v_subrev_nc_u32_e32 v35, 28, v6
	v_sub_nc_u32_e32 v83, 29, v6
	v_lshlrev_b64 v[84:85], v35, v[0:1]
	v_and_b32_e32 v35, 7, v84
; %bb.976:                              ;   in Loop: Header=BB319_799 Depth=1
	s_or_b32 exec_lo, exec_lo, s18
	v_lshlrev_b32_sdwa v0, v50, v0 dst_sel:DWORD dst_unused:UNUSED_PAD src0_sel:DWORD src1_sel:WORD_0
	v_lshl_add_u32 v6, v83, 10, 0x2000
	v_and_or_b32 v0, 0x8000, v0, v6
	v_lshlrev_b32_e32 v6, 23, v35
	v_lshl_or_b32 v35, v0, 16, v6
.LBB319_977:                            ;   in Loop: Header=BB319_799 Depth=1
	s_or_b32 exec_lo, exec_lo, s15
.LBB319_978:                            ;   in Loop: Header=BB319_799 Depth=1
	s_or_b32 exec_lo, exec_lo, s13
.LBB319_979:                            ;   in Loop: Header=BB319_799 Depth=1
	s_or_b32 exec_lo, exec_lo, s12
	v_lshrrev_b32_e32 v0, 16, v12
	v_cmp_ne_u16_sdwa s4, v0, v1 src0_sel:BYTE_0 src1_sel:DWORD
	s_and_saveexec_b32 s12, s4
	s_cbranch_execz .LBB319_987
; %bb.980:                              ;   in Loop: Header=BB319_799 Depth=1
	v_cmp_ne_u16_sdwa s4, v0, v16 src0_sel:BYTE_0 src1_sel:DWORD
	v_mov_b32_e32 v82, 0x8000
	s_and_saveexec_b32 s13, s4
	s_cbranch_execz .LBB319_986
; %bb.981:                              ;   in Loop: Header=BB319_799 Depth=1
	v_bfe_u32 v84, v12, 16, 7
	v_mov_b32_e32 v82, 0x7c01
	s_mov_b32 s15, exec_lo
	v_cmpx_ne_u32_e32 0x7f, v84
	s_cbranch_execz .LBB319_985
; %bb.982:                              ;   in Loop: Header=BB319_799 Depth=1
	v_and_b32_e32 v82, 7, v0
	v_lshrrev_b32_e32 v83, 3, v84
	s_mov_b32 s18, exec_lo
	v_cmpx_gt_u32_e32 8, v84
; %bb.983:                              ;   in Loop: Header=BB319_799 Depth=1
	v_ffbh_u32_e32 v6, v82
	v_min_u32_e32 v6, 32, v6
	v_subrev_nc_u32_e32 v82, 28, v6
	v_lshlrev_b64 v[82:83], v82, v[0:1]
	v_sub_nc_u32_e32 v83, 29, v6
	v_and_b32_e32 v82, 7, v82
; %bb.984:                              ;   in Loop: Header=BB319_799 Depth=1
	s_or_b32 exec_lo, exec_lo, s18
	v_lshlrev_b32_e32 v0, 8, v0
	v_lshl_add_u32 v6, v83, 10, 0x2000
	v_lshlrev_b32_e32 v82, 7, v82
	v_and_b32_e32 v0, 0x8000, v0
	v_and_b32_e32 v6, 0xfc00, v6
	v_or3_b32 v82, v0, v6, v82
.LBB319_985:                            ;   in Loop: Header=BB319_799 Depth=1
	s_or_b32 exec_lo, exec_lo, s15
.LBB319_986:                            ;   in Loop: Header=BB319_799 Depth=1
	s_or_b32 exec_lo, exec_lo, s13
.LBB319_987:                            ;   in Loop: Header=BB319_799 Depth=1
	s_or_b32 exec_lo, exec_lo, s12
	v_cmp_lt_u64_e64 s4, s[8:9], v[11:12]
	v_mov_b32_e32 v11, 0
	s_and_saveexec_b32 s12, s4
	s_cbranch_execz .LBB319_995
; %bb.988:                              ;   in Loop: Header=BB319_799 Depth=1
	v_lshrrev_b32_e32 v0, 24, v12
	v_bfrev_b32_e32 v11, 1
	s_mov_b32 s13, exec_lo
	v_cmpx_ne_u32_e32 0x80, v0
	s_cbranch_execz .LBB319_994
; %bb.989:                              ;   in Loop: Header=BB319_799 Depth=1
	v_and_b32_e32 v83, 0x7f, v0
	v_mov_b32_e32 v11, 0x7c010000
	s_mov_b32 s15, exec_lo
	v_cmpx_ne_u32_e32 0x7f, v83
	s_cbranch_execz .LBB319_993
; %bb.990:                              ;   in Loop: Header=BB319_799 Depth=1
	v_and_b32_e32 v11, 7, v0
	v_lshrrev_b32_e32 v12, 3, v83
	s_mov_b32 s18, exec_lo
	v_cmpx_gt_u32_e32 8, v83
; %bb.991:                              ;   in Loop: Header=BB319_799 Depth=1
	v_ffbh_u32_e32 v6, v11
	v_min_u32_e32 v6, 32, v6
	v_subrev_nc_u32_e32 v11, 28, v6
	v_lshlrev_b64 v[11:12], v11, v[0:1]
	v_sub_nc_u32_e32 v12, 29, v6
	v_and_b32_e32 v11, 7, v11
; %bb.992:                              ;   in Loop: Header=BB319_799 Depth=1
	s_or_b32 exec_lo, exec_lo, s18
	v_lshlrev_b32_e32 v0, 8, v0
	v_lshl_add_u32 v6, v12, 10, 0x2000
	v_and_or_b32 v0, 0x8000, v0, v6
	v_lshlrev_b32_e32 v6, 23, v11
	v_lshl_or_b32 v11, v0, 16, v6
.LBB319_993:                            ;   in Loop: Header=BB319_799 Depth=1
	s_or_b32 exec_lo, exec_lo, s15
.LBB319_994:                            ;   in Loop: Header=BB319_799 Depth=1
	s_or_b32 exec_lo, exec_lo, s13
.LBB319_995:                            ;   in Loop: Header=BB319_799 Depth=1
	s_or_b32 exec_lo, exec_lo, s12
	v_or_b32_e32 v0, v32, v34
	s_waitcnt vmcnt(0) lgkmcnt(0)
	v_fma_mixlo_f16 v6, v4, v32, 0 op_sel:[0,1,0] op_sel_hi:[0,1,0]
	v_or_b32_e32 v12, v5, v23
	v_or_b32_e32 v23, v35, v22
	;; [unrolled: 1-line block ×3, first 2 shown]
	v_fma_mixlo_f16 v5, v4, v5, 0 op_sel:[0,1,0] op_sel_hi:[0,1,0]
	v_fma_mixlo_f16 v32, v4, v0, 0 op_sel_hi:[0,1,0]
	v_lshlrev_b32_e32 v0, 16, v6
	v_fma_mixlo_f16 v6, v4, v12, 0 op_sel_hi:[0,1,0]
	v_fma_mixlo_f16 v12, v4, v35, 0 op_sel:[0,1,0] op_sel_hi:[0,1,0]
	v_fma_mixlo_f16 v23, v4, v23, 0 op_sel_hi:[0,1,0]
	v_fma_mixlo_f16 v35, v4, v11, 0 op_sel:[0,1,0] op_sel_hi:[0,1,0]
	v_fma_mixlo_f16 v34, v4, v34, 0 op_sel_hi:[0,1,0]
	v_lshlrev_b32_e32 v22, 16, v5
	v_and_b32_e32 v5, 0xffff, v32
	v_and_b32_e32 v83, 0xffff, v6
	v_lshlrev_b32_e32 v11, 16, v12
	v_and_b32_e32 v32, 0xffff, v23
	v_lshlrev_b32_e32 v4, 16, v35
	v_and_b32_e32 v12, 0xffff, v34
	v_or_b32_e32 v23, v0, v5
	v_or_b32_e32 v82, v22, v83
	;; [unrolled: 1-line block ×4, first 2 shown]
	s_and_saveexec_b32 s12, vcc_lo
	s_cbranch_execz .LBB319_997
; %bb.996:                              ;   in Loop: Header=BB319_799 Depth=1
	v_cmp_lt_i32_e64 s4, v51, v33
	v_cndmask_b32_e64 v6, 0, v83, s4
	v_cmp_lt_i32_e64 s4, v71, v33
	v_cndmask_b32_e64 v22, 0, v22, s4
	v_cmp_lt_i32_e64 s4, v70, v33
	v_or_b32_e32 v82, v6, v22
	v_cndmask_b32_e64 v5, 0, v5, s4
	v_cmp_lt_i32_e64 s4, v68, v33
	v_cndmask_b32_e64 v0, 0, v0, s4
	v_cmp_lt_i32_e64 s4, v65, v33
	v_or_b32_e32 v23, v5, v0
	;; [unrolled: 5-line block ×3, first 2 shown]
	v_cndmask_b32_e64 v12, 0, v12, s4
	v_cmp_lt_i32_e64 s4, v14, v33
	v_cndmask_b32_e64 v4, 0, v4, s4
	v_or_b32_e32 v34, v12, v4
.LBB319_997:                            ;   in Loop: Header=BB319_799 Depth=1
	s_or_b32 exec_lo, exec_lo, s12
	;;#ASMSTART
	v_pk_mul_f16 v0, v67, v82;

	;;#ASMEND
	;;#ASMSTART
	v_pk_mul_f16 v4, v64, v23;

	;;#ASMEND
	;;#ASMSTART
	v_pk_mul_f16 v5, v54, v35;

	;;#ASMEND
	;;#ASMSTART
	v_pk_mul_f16 v6, v53, v34;

	;;#ASMEND
	;;#ASMSTART
	v_pk_add_f16 v0, v0, v4;

	;;#ASMEND
	;;#ASMSTART
	v_pk_add_f16 v0, v0, v5;

	;;#ASMEND
	;; [unrolled: 4-line block ×3, first 2 shown]
	v_and_b32_e32 v4, 0xffff, v0
	v_lshrrev_b32_e32 v0, 16, v0
	;;#ASMSTART
	v_cvt_f32_f16 v82, v4;
	;;#ASMEND
	;;#ASMSTART
	v_cvt_f32_f16 v83, v0;
	;;#ASMEND
	flat_load_dwordx2 v[11:12], v[9:10] offset:768
	flat_load_dword v4, v[26:27]
	v_mov_b32_e32 v5, 0
	v_mov_b32_e32 v23, 0
	s_waitcnt vmcnt(1) lgkmcnt(1)
	v_cmp_ne_u16_sdwa s4, v11, v1 src0_sel:BYTE_0 src1_sel:DWORD
	s_and_saveexec_b32 s12, s4
	s_cbranch_execz .LBB319_1005
; %bb.998:                              ;   in Loop: Header=BB319_799 Depth=1
	v_cmp_ne_u16_sdwa s4, v11, v16 src0_sel:BYTE_0 src1_sel:DWORD
	v_mov_b32_e32 v23, 0x8000
	s_and_saveexec_b32 s13, s4
	s_cbranch_execz .LBB319_1004
; %bb.999:                              ;   in Loop: Header=BB319_799 Depth=1
	v_and_b32_e32 v32, 0x7f, v11
	v_mov_b32_e32 v23, 0x7c01
	s_mov_b32 s15, exec_lo
	v_cmpx_ne_u32_e32 0x7f, v32
	s_cbranch_execz .LBB319_1003
; %bb.1000:                             ;   in Loop: Header=BB319_799 Depth=1
	v_and_b32_e32 v0, 7, v11
	v_lshrrev_b32_e32 v22, 3, v32
	s_mov_b32 s18, exec_lo
	v_cmpx_gt_u32_e32 8, v32
; %bb.1001:                             ;   in Loop: Header=BB319_799 Depth=1
	v_ffbh_u32_e32 v0, v0
	v_min_u32_e32 v0, 32, v0
	v_subrev_nc_u32_e32 v6, 28, v0
	v_sub_nc_u32_e32 v22, 29, v0
	v_lshlrev_b64 v[34:35], v6, v[11:12]
	v_and_b32_e32 v0, 7, v34
; %bb.1002:                             ;   in Loop: Header=BB319_799 Depth=1
	s_or_b32 exec_lo, exec_lo, s18
	v_lshlrev_b32_e32 v6, 8, v11
	v_lshl_add_u32 v22, v22, 10, 0x2000
	v_lshlrev_b32_e32 v0, 7, v0
	v_and_b32_e32 v6, 0x8000, v6
	v_and_b32_e32 v22, 0xfc00, v22
	v_or3_b32 v23, v6, v22, v0
.LBB319_1003:                           ;   in Loop: Header=BB319_799 Depth=1
	s_or_b32 exec_lo, exec_lo, s15
.LBB319_1004:                           ;   in Loop: Header=BB319_799 Depth=1
	s_or_b32 exec_lo, exec_lo, s13
.LBB319_1005:                           ;   in Loop: Header=BB319_799 Depth=1
	s_or_b32 exec_lo, exec_lo, s12
	v_lshrrev_b16 v0, 8, v11
	s_mov_b32 s12, exec_lo
	v_cmpx_ne_u16_e32 0, v0
	s_cbranch_execz .LBB319_1013
; %bb.1006:                             ;   in Loop: Header=BB319_799 Depth=1
	v_bfrev_b32_e32 v5, 1
	s_mov_b32 s13, exec_lo
	v_cmpx_ne_u16_e32 0x80, v0
	s_cbranch_execz .LBB319_1012
; %bb.1007:                             ;   in Loop: Header=BB319_799 Depth=1
	v_and_b32_sdwa v32, v0, v17 dst_sel:DWORD dst_unused:UNUSED_PAD src0_sel:WORD_0 src1_sel:DWORD
	v_mov_b32_e32 v5, 0x7c010000
	s_mov_b32 s15, exec_lo
	v_cmpx_ne_u32_e32 0x7f, v32
	s_cbranch_execz .LBB319_1011
; %bb.1008:                             ;   in Loop: Header=BB319_799 Depth=1
	v_and_b32_sdwa v5, v0, v37 dst_sel:DWORD dst_unused:UNUSED_PAD src0_sel:WORD_0 src1_sel:DWORD
	v_lshrrev_b32_e32 v22, 3, v32
	s_mov_b32 s18, exec_lo
	v_cmpx_gt_u32_e32 8, v32
; %bb.1009:                             ;   in Loop: Header=BB319_799 Depth=1
	v_ffbh_u32_e32 v5, v5
	v_min_u32_e32 v22, 32, v5
	v_subrev_nc_u32_e32 v5, 28, v22
	v_sub_nc_u32_e32 v22, 29, v22
	v_lshlrev_b64 v[5:6], v5, v[0:1]
	v_and_b32_e32 v5, 7, v5
; %bb.1010:                             ;   in Loop: Header=BB319_799 Depth=1
	s_or_b32 exec_lo, exec_lo, s18
	v_lshlrev_b32_sdwa v0, v50, v0 dst_sel:DWORD dst_unused:UNUSED_PAD src0_sel:DWORD src1_sel:WORD_0
	v_lshl_add_u32 v6, v22, 10, 0x2000
	v_lshlrev_b32_e32 v5, 23, v5
	v_and_or_b32 v0, 0x8000, v0, v6
	v_lshl_or_b32 v5, v0, 16, v5
.LBB319_1011:                           ;   in Loop: Header=BB319_799 Depth=1
	s_or_b32 exec_lo, exec_lo, s15
.LBB319_1012:                           ;   in Loop: Header=BB319_799 Depth=1
	s_or_b32 exec_lo, exec_lo, s13
.LBB319_1013:                           ;   in Loop: Header=BB319_799 Depth=1
	s_or_b32 exec_lo, exec_lo, s12
	v_lshrrev_b32_e32 v0, 16, v11
	v_mov_b32_e32 v32, 0
	v_mov_b32_e32 v34, 0
	v_cmp_ne_u16_sdwa s4, v0, v1 src0_sel:BYTE_0 src1_sel:DWORD
	s_and_saveexec_b32 s12, s4
	s_cbranch_execz .LBB319_1021
; %bb.1014:                             ;   in Loop: Header=BB319_799 Depth=1
	v_cmp_ne_u16_sdwa s4, v0, v16 src0_sel:BYTE_0 src1_sel:DWORD
	v_mov_b32_e32 v34, 0x8000
	s_and_saveexec_b32 s13, s4
	s_cbranch_execz .LBB319_1020
; %bb.1015:                             ;   in Loop: Header=BB319_799 Depth=1
	v_bfe_u32 v35, v11, 16, 7
	v_mov_b32_e32 v34, 0x7c01
	s_mov_b32 s15, exec_lo
	v_cmpx_ne_u32_e32 0x7f, v35
	s_cbranch_execz .LBB319_1019
; %bb.1016:                             ;   in Loop: Header=BB319_799 Depth=1
	v_and_b32_e32 v22, 7, v0
	v_lshrrev_b32_e32 v34, 3, v35
	s_mov_b32 s18, exec_lo
	v_cmpx_gt_u32_e32 8, v35
; %bb.1017:                             ;   in Loop: Header=BB319_799 Depth=1
	v_ffbh_u32_e32 v6, v22
	v_min_u32_e32 v6, 32, v6
	v_subrev_nc_u32_e32 v22, 28, v6
	v_sub_nc_u32_e32 v34, 29, v6
	v_lshlrev_b64 v[84:85], v22, v[0:1]
	v_and_b32_e32 v22, 7, v84
; %bb.1018:                             ;   in Loop: Header=BB319_799 Depth=1
	s_or_b32 exec_lo, exec_lo, s18
	v_lshlrev_b32_e32 v0, 8, v0
	v_lshl_add_u32 v6, v34, 10, 0x2000
	v_lshlrev_b32_e32 v22, 7, v22
	v_and_b32_e32 v0, 0x8000, v0
	v_and_b32_e32 v6, 0xfc00, v6
	v_or3_b32 v34, v0, v6, v22
.LBB319_1019:                           ;   in Loop: Header=BB319_799 Depth=1
	s_or_b32 exec_lo, exec_lo, s15
.LBB319_1020:                           ;   in Loop: Header=BB319_799 Depth=1
	s_or_b32 exec_lo, exec_lo, s13
.LBB319_1021:                           ;   in Loop: Header=BB319_799 Depth=1
	s_or_b32 exec_lo, exec_lo, s12
	s_mov_b32 s12, exec_lo
	v_cmpx_lt_u32_e32 0xffffff, v11
	s_cbranch_execz .LBB319_1029
; %bb.1022:                             ;   in Loop: Header=BB319_799 Depth=1
	v_lshrrev_b32_e32 v0, 24, v11
	v_bfrev_b32_e32 v32, 1
	s_mov_b32 s13, exec_lo
	v_cmpx_ne_u32_e32 0x80, v0
	s_cbranch_execz .LBB319_1028
; %bb.1023:                             ;   in Loop: Header=BB319_799 Depth=1
	v_and_b32_e32 v35, 0x7f, v0
	v_mov_b32_e32 v32, 0x7c010000
	s_mov_b32 s15, exec_lo
	v_cmpx_ne_u32_e32 0x7f, v35
	s_cbranch_execz .LBB319_1027
; %bb.1024:                             ;   in Loop: Header=BB319_799 Depth=1
	v_and_b32_e32 v22, 7, v0
	v_lshrrev_b32_e32 v32, 3, v35
	s_mov_b32 s18, exec_lo
	v_cmpx_gt_u32_e32 8, v35
; %bb.1025:                             ;   in Loop: Header=BB319_799 Depth=1
	v_ffbh_u32_e32 v6, v22
	v_min_u32_e32 v6, 32, v6
	v_subrev_nc_u32_e32 v22, 28, v6
	v_sub_nc_u32_e32 v32, 29, v6
	v_lshlrev_b64 v[84:85], v22, v[0:1]
	v_and_b32_e32 v22, 7, v84
; %bb.1026:                             ;   in Loop: Header=BB319_799 Depth=1
	s_or_b32 exec_lo, exec_lo, s18
	v_lshlrev_b32_e32 v0, 8, v0
	v_lshl_add_u32 v6, v32, 10, 0x2000
	v_and_or_b32 v0, 0x8000, v0, v6
	v_lshlrev_b32_e32 v6, 23, v22
	v_lshl_or_b32 v32, v0, 16, v6
.LBB319_1027:                           ;   in Loop: Header=BB319_799 Depth=1
	s_or_b32 exec_lo, exec_lo, s15
.LBB319_1028:                           ;   in Loop: Header=BB319_799 Depth=1
	s_or_b32 exec_lo, exec_lo, s13
.LBB319_1029:                           ;   in Loop: Header=BB319_799 Depth=1
	s_or_b32 exec_lo, exec_lo, s12
	v_mov_b32_e32 v0, v12
	v_cmp_ne_u16_sdwa s4, v12, v1 src0_sel:BYTE_0 src1_sel:DWORD
	v_mov_b32_e32 v84, 0
	v_mov_b32_e32 v22, 0
	s_and_saveexec_b32 s12, s4
	s_cbranch_execz .LBB319_1037
; %bb.1030:                             ;   in Loop: Header=BB319_799 Depth=1
	v_cmp_ne_u16_sdwa s4, v12, v16 src0_sel:BYTE_0 src1_sel:DWORD
	v_mov_b32_e32 v22, 0x8000
	s_and_saveexec_b32 s13, s4
	s_cbranch_execz .LBB319_1036
; %bb.1031:                             ;   in Loop: Header=BB319_799 Depth=1
	v_and_b32_e32 v85, 0x7f, v12
	v_mov_b32_e32 v22, 0x7c01
	s_mov_b32 s15, exec_lo
	v_cmpx_ne_u32_e32 0x7f, v85
	s_cbranch_execz .LBB319_1035
; %bb.1032:                             ;   in Loop: Header=BB319_799 Depth=1
	v_and_b32_e32 v22, 7, v12
	v_lshrrev_b32_e32 v35, 3, v85
	s_mov_b32 s18, exec_lo
	v_cmpx_gt_u32_e32 8, v85
; %bb.1033:                             ;   in Loop: Header=BB319_799 Depth=1
	v_ffbh_u32_e32 v6, v22
	v_min_u32_e32 v6, 32, v6
	v_subrev_nc_u32_e32 v22, 28, v6
	v_sub_nc_u32_e32 v35, 29, v6
	v_lshlrev_b64 v[85:86], v22, v[0:1]
	v_and_b32_e32 v22, 7, v85
; %bb.1034:                             ;   in Loop: Header=BB319_799 Depth=1
	s_or_b32 exec_lo, exec_lo, s18
	v_lshlrev_b32_e32 v6, 8, v12
	v_lshl_add_u32 v35, v35, 10, 0x2000
	v_lshlrev_b32_e32 v22, 7, v22
	v_and_b32_e32 v6, 0x8000, v6
	v_and_b32_e32 v35, 0xfc00, v35
	v_or3_b32 v22, v6, v35, v22
.LBB319_1035:                           ;   in Loop: Header=BB319_799 Depth=1
	s_or_b32 exec_lo, exec_lo, s15
.LBB319_1036:                           ;   in Loop: Header=BB319_799 Depth=1
	s_or_b32 exec_lo, exec_lo, s13
.LBB319_1037:                           ;   in Loop: Header=BB319_799 Depth=1
	s_or_b32 exec_lo, exec_lo, s12
	v_lshrrev_b16 v0, 8, v0
	v_mov_b32_e32 v35, 0
	s_mov_b32 s12, exec_lo
	v_cmpx_ne_u16_e32 0, v0
	s_cbranch_execz .LBB319_1045
; %bb.1038:                             ;   in Loop: Header=BB319_799 Depth=1
	v_bfrev_b32_e32 v35, 1
	s_mov_b32 s13, exec_lo
	v_cmpx_ne_u16_e32 0x80, v0
	s_cbranch_execz .LBB319_1044
; %bb.1039:                             ;   in Loop: Header=BB319_799 Depth=1
	v_and_b32_sdwa v86, v0, v17 dst_sel:DWORD dst_unused:UNUSED_PAD src0_sel:WORD_0 src1_sel:DWORD
	v_mov_b32_e32 v35, 0x7c010000
	s_mov_b32 s15, exec_lo
	v_cmpx_ne_u32_e32 0x7f, v86
	s_cbranch_execz .LBB319_1043
; %bb.1040:                             ;   in Loop: Header=BB319_799 Depth=1
	v_and_b32_sdwa v35, v0, v37 dst_sel:DWORD dst_unused:UNUSED_PAD src0_sel:WORD_0 src1_sel:DWORD
	v_lshrrev_b32_e32 v85, 3, v86
	s_mov_b32 s18, exec_lo
	v_cmpx_gt_u32_e32 8, v86
; %bb.1041:                             ;   in Loop: Header=BB319_799 Depth=1
	v_ffbh_u32_e32 v6, v35
	v_min_u32_e32 v6, 32, v6
	v_subrev_nc_u32_e32 v35, 28, v6
	v_sub_nc_u32_e32 v85, 29, v6
	v_lshlrev_b64 v[86:87], v35, v[0:1]
	v_and_b32_e32 v35, 7, v86
; %bb.1042:                             ;   in Loop: Header=BB319_799 Depth=1
	s_or_b32 exec_lo, exec_lo, s18
	v_lshlrev_b32_sdwa v0, v50, v0 dst_sel:DWORD dst_unused:UNUSED_PAD src0_sel:DWORD src1_sel:WORD_0
	v_lshl_add_u32 v6, v85, 10, 0x2000
	v_and_or_b32 v0, 0x8000, v0, v6
	v_lshlrev_b32_e32 v6, 23, v35
	v_lshl_or_b32 v35, v0, 16, v6
.LBB319_1043:                           ;   in Loop: Header=BB319_799 Depth=1
	s_or_b32 exec_lo, exec_lo, s15
.LBB319_1044:                           ;   in Loop: Header=BB319_799 Depth=1
	s_or_b32 exec_lo, exec_lo, s13
.LBB319_1045:                           ;   in Loop: Header=BB319_799 Depth=1
	s_or_b32 exec_lo, exec_lo, s12
	v_lshrrev_b32_e32 v0, 16, v12
	v_cmp_ne_u16_sdwa s4, v0, v1 src0_sel:BYTE_0 src1_sel:DWORD
	s_and_saveexec_b32 s12, s4
	s_cbranch_execz .LBB319_1053
; %bb.1046:                             ;   in Loop: Header=BB319_799 Depth=1
	v_cmp_ne_u16_sdwa s4, v0, v16 src0_sel:BYTE_0 src1_sel:DWORD
	v_mov_b32_e32 v84, 0x8000
	s_and_saveexec_b32 s13, s4
	s_cbranch_execz .LBB319_1052
; %bb.1047:                             ;   in Loop: Header=BB319_799 Depth=1
	v_bfe_u32 v86, v12, 16, 7
	v_mov_b32_e32 v84, 0x7c01
	s_mov_b32 s15, exec_lo
	v_cmpx_ne_u32_e32 0x7f, v86
	s_cbranch_execz .LBB319_1051
; %bb.1048:                             ;   in Loop: Header=BB319_799 Depth=1
	v_and_b32_e32 v84, 7, v0
	v_lshrrev_b32_e32 v85, 3, v86
	s_mov_b32 s18, exec_lo
	v_cmpx_gt_u32_e32 8, v86
; %bb.1049:                             ;   in Loop: Header=BB319_799 Depth=1
	v_ffbh_u32_e32 v6, v84
	v_min_u32_e32 v6, 32, v6
	v_subrev_nc_u32_e32 v84, 28, v6
	v_lshlrev_b64 v[84:85], v84, v[0:1]
	v_sub_nc_u32_e32 v85, 29, v6
	v_and_b32_e32 v84, 7, v84
; %bb.1050:                             ;   in Loop: Header=BB319_799 Depth=1
	s_or_b32 exec_lo, exec_lo, s18
	v_lshlrev_b32_e32 v0, 8, v0
	v_lshl_add_u32 v6, v85, 10, 0x2000
	v_lshlrev_b32_e32 v84, 7, v84
	v_and_b32_e32 v0, 0x8000, v0
	v_and_b32_e32 v6, 0xfc00, v6
	v_or3_b32 v84, v0, v6, v84
.LBB319_1051:                           ;   in Loop: Header=BB319_799 Depth=1
	s_or_b32 exec_lo, exec_lo, s15
.LBB319_1052:                           ;   in Loop: Header=BB319_799 Depth=1
	s_or_b32 exec_lo, exec_lo, s13
.LBB319_1053:                           ;   in Loop: Header=BB319_799 Depth=1
	s_or_b32 exec_lo, exec_lo, s12
	v_cmp_lt_u64_e64 s4, s[8:9], v[11:12]
	v_mov_b32_e32 v11, 0
	s_and_saveexec_b32 s12, s4
	s_cbranch_execz .LBB319_1061
; %bb.1054:                             ;   in Loop: Header=BB319_799 Depth=1
	v_lshrrev_b32_e32 v0, 24, v12
	v_bfrev_b32_e32 v11, 1
	s_mov_b32 s13, exec_lo
	v_cmpx_ne_u32_e32 0x80, v0
	s_cbranch_execz .LBB319_1060
; %bb.1055:                             ;   in Loop: Header=BB319_799 Depth=1
	v_and_b32_e32 v85, 0x7f, v0
	v_mov_b32_e32 v11, 0x7c010000
	s_mov_b32 s15, exec_lo
	v_cmpx_ne_u32_e32 0x7f, v85
	s_cbranch_execz .LBB319_1059
; %bb.1056:                             ;   in Loop: Header=BB319_799 Depth=1
	v_and_b32_e32 v11, 7, v0
	v_lshrrev_b32_e32 v12, 3, v85
	s_mov_b32 s18, exec_lo
	v_cmpx_gt_u32_e32 8, v85
; %bb.1057:                             ;   in Loop: Header=BB319_799 Depth=1
	v_ffbh_u32_e32 v6, v11
	v_min_u32_e32 v6, 32, v6
	v_subrev_nc_u32_e32 v11, 28, v6
	v_lshlrev_b64 v[11:12], v11, v[0:1]
	v_sub_nc_u32_e32 v12, 29, v6
	v_and_b32_e32 v11, 7, v11
; %bb.1058:                             ;   in Loop: Header=BB319_799 Depth=1
	s_or_b32 exec_lo, exec_lo, s18
	v_lshlrev_b32_e32 v0, 8, v0
	v_lshl_add_u32 v6, v12, 10, 0x2000
	v_and_or_b32 v0, 0x8000, v0, v6
	v_lshlrev_b32_e32 v6, 23, v11
	v_lshl_or_b32 v11, v0, 16, v6
.LBB319_1059:                           ;   in Loop: Header=BB319_799 Depth=1
	s_or_b32 exec_lo, exec_lo, s15
.LBB319_1060:                           ;   in Loop: Header=BB319_799 Depth=1
	s_or_b32 exec_lo, exec_lo, s13
.LBB319_1061:                           ;   in Loop: Header=BB319_799 Depth=1
	s_or_b32 exec_lo, exec_lo, s12
	v_or_b32_e32 v0, v32, v34
	s_waitcnt vmcnt(0) lgkmcnt(0)
	v_fma_mixlo_f16 v6, v4, v32, 0 op_sel:[0,1,0] op_sel_hi:[0,1,0]
	v_or_b32_e32 v12, v5, v23
	v_or_b32_e32 v23, v35, v22
	v_or_b32_e32 v34, v11, v84
	v_fma_mixlo_f16 v5, v4, v5, 0 op_sel:[0,1,0] op_sel_hi:[0,1,0]
	v_fma_mixlo_f16 v32, v4, v0, 0 op_sel_hi:[0,1,0]
	v_lshlrev_b32_e32 v0, 16, v6
	v_fma_mixlo_f16 v6, v4, v12, 0 op_sel_hi:[0,1,0]
	v_fma_mixlo_f16 v12, v4, v35, 0 op_sel:[0,1,0] op_sel_hi:[0,1,0]
	v_fma_mixlo_f16 v23, v4, v23, 0 op_sel_hi:[0,1,0]
	v_fma_mixlo_f16 v35, v4, v11, 0 op_sel:[0,1,0] op_sel_hi:[0,1,0]
	v_fma_mixlo_f16 v34, v4, v34, 0 op_sel_hi:[0,1,0]
	v_lshlrev_b32_e32 v22, 16, v5
	v_and_b32_e32 v5, 0xffff, v32
	v_and_b32_e32 v85, 0xffff, v6
	v_lshlrev_b32_e32 v11, 16, v12
	v_and_b32_e32 v32, 0xffff, v23
	v_lshlrev_b32_e32 v4, 16, v35
	v_and_b32_e32 v12, 0xffff, v34
	v_or_b32_e32 v23, v0, v5
	v_or_b32_e32 v84, v22, v85
	;; [unrolled: 1-line block ×4, first 2 shown]
	s_and_saveexec_b32 s12, vcc_lo
	s_cbranch_execz .LBB319_1063
; %bb.1062:                             ;   in Loop: Header=BB319_799 Depth=1
	v_cmp_lt_i32_e64 s4, v51, v33
	v_cndmask_b32_e64 v6, 0, v85, s4
	v_cmp_lt_i32_e64 s4, v71, v33
	v_cndmask_b32_e64 v22, 0, v22, s4
	v_cmp_lt_i32_e64 s4, v70, v33
	v_or_b32_e32 v84, v6, v22
	v_cndmask_b32_e64 v5, 0, v5, s4
	v_cmp_lt_i32_e64 s4, v68, v33
	v_cndmask_b32_e64 v0, 0, v0, s4
	v_cmp_lt_i32_e64 s4, v65, v33
	v_or_b32_e32 v23, v5, v0
	;; [unrolled: 5-line block ×3, first 2 shown]
	v_cndmask_b32_e64 v12, 0, v12, s4
	v_cmp_lt_i32_e64 s4, v14, v33
	v_cndmask_b32_e64 v4, 0, v4, s4
	v_or_b32_e32 v34, v12, v4
.LBB319_1063:                           ;   in Loop: Header=BB319_799 Depth=1
	s_or_b32 exec_lo, exec_lo, s12
	;;#ASMSTART
	v_pk_mul_f16 v0, v67, v84;

	;;#ASMEND
	;;#ASMSTART
	v_pk_mul_f16 v4, v64, v23;

	;;#ASMEND
	;; [unrolled: 4-line block ×4, first 2 shown]
	;;#ASMSTART
	v_pk_add_f16 v0, v0, v4;

	;;#ASMEND
	;;#ASMSTART
	v_pk_add_f16 v0, v0, v5;

	;;#ASMEND
	;; [unrolled: 4-line block ×3, first 2 shown]
	v_and_b32_e32 v4, 0xffff, v0
	v_lshrrev_b32_e32 v0, 16, v0
	;;#ASMSTART
	v_cvt_f32_f16 v84, v4;
	;;#ASMEND
	;;#ASMSTART
	v_cvt_f32_f16 v85, v0;
	;;#ASMEND
	flat_load_dwordx2 v[11:12], v[9:10] offset:1024
	flat_load_dword v4, v[26:27]
	v_mov_b32_e32 v5, 0
	v_mov_b32_e32 v23, 0
	s_waitcnt vmcnt(1) lgkmcnt(1)
	v_cmp_ne_u16_sdwa s4, v11, v1 src0_sel:BYTE_0 src1_sel:DWORD
	s_and_saveexec_b32 s12, s4
	s_cbranch_execz .LBB319_1071
; %bb.1064:                             ;   in Loop: Header=BB319_799 Depth=1
	v_cmp_ne_u16_sdwa s4, v11, v16 src0_sel:BYTE_0 src1_sel:DWORD
	v_mov_b32_e32 v23, 0x8000
	s_and_saveexec_b32 s13, s4
	s_cbranch_execz .LBB319_1070
; %bb.1065:                             ;   in Loop: Header=BB319_799 Depth=1
	v_and_b32_e32 v32, 0x7f, v11
	v_mov_b32_e32 v23, 0x7c01
	s_mov_b32 s15, exec_lo
	v_cmpx_ne_u32_e32 0x7f, v32
	s_cbranch_execz .LBB319_1069
; %bb.1066:                             ;   in Loop: Header=BB319_799 Depth=1
	v_and_b32_e32 v0, 7, v11
	v_lshrrev_b32_e32 v22, 3, v32
	s_mov_b32 s18, exec_lo
	v_cmpx_gt_u32_e32 8, v32
; %bb.1067:                             ;   in Loop: Header=BB319_799 Depth=1
	v_ffbh_u32_e32 v0, v0
	v_min_u32_e32 v0, 32, v0
	v_subrev_nc_u32_e32 v6, 28, v0
	v_sub_nc_u32_e32 v22, 29, v0
	v_lshlrev_b64 v[34:35], v6, v[11:12]
	v_and_b32_e32 v0, 7, v34
; %bb.1068:                             ;   in Loop: Header=BB319_799 Depth=1
	s_or_b32 exec_lo, exec_lo, s18
	v_lshlrev_b32_e32 v6, 8, v11
	v_lshl_add_u32 v22, v22, 10, 0x2000
	v_lshlrev_b32_e32 v0, 7, v0
	v_and_b32_e32 v6, 0x8000, v6
	v_and_b32_e32 v22, 0xfc00, v22
	v_or3_b32 v23, v6, v22, v0
.LBB319_1069:                           ;   in Loop: Header=BB319_799 Depth=1
	s_or_b32 exec_lo, exec_lo, s15
.LBB319_1070:                           ;   in Loop: Header=BB319_799 Depth=1
	s_or_b32 exec_lo, exec_lo, s13
.LBB319_1071:                           ;   in Loop: Header=BB319_799 Depth=1
	s_or_b32 exec_lo, exec_lo, s12
	v_lshrrev_b16 v0, 8, v11
	s_mov_b32 s12, exec_lo
	v_cmpx_ne_u16_e32 0, v0
	s_cbranch_execz .LBB319_1079
; %bb.1072:                             ;   in Loop: Header=BB319_799 Depth=1
	v_bfrev_b32_e32 v5, 1
	s_mov_b32 s13, exec_lo
	v_cmpx_ne_u16_e32 0x80, v0
	s_cbranch_execz .LBB319_1078
; %bb.1073:                             ;   in Loop: Header=BB319_799 Depth=1
	v_and_b32_sdwa v32, v0, v17 dst_sel:DWORD dst_unused:UNUSED_PAD src0_sel:WORD_0 src1_sel:DWORD
	v_mov_b32_e32 v5, 0x7c010000
	s_mov_b32 s15, exec_lo
	v_cmpx_ne_u32_e32 0x7f, v32
	s_cbranch_execz .LBB319_1077
; %bb.1074:                             ;   in Loop: Header=BB319_799 Depth=1
	v_and_b32_sdwa v5, v0, v37 dst_sel:DWORD dst_unused:UNUSED_PAD src0_sel:WORD_0 src1_sel:DWORD
	v_lshrrev_b32_e32 v22, 3, v32
	s_mov_b32 s18, exec_lo
	v_cmpx_gt_u32_e32 8, v32
; %bb.1075:                             ;   in Loop: Header=BB319_799 Depth=1
	v_ffbh_u32_e32 v5, v5
	v_min_u32_e32 v22, 32, v5
	v_subrev_nc_u32_e32 v5, 28, v22
	v_sub_nc_u32_e32 v22, 29, v22
	v_lshlrev_b64 v[5:6], v5, v[0:1]
	v_and_b32_e32 v5, 7, v5
; %bb.1076:                             ;   in Loop: Header=BB319_799 Depth=1
	s_or_b32 exec_lo, exec_lo, s18
	v_lshlrev_b32_sdwa v0, v50, v0 dst_sel:DWORD dst_unused:UNUSED_PAD src0_sel:DWORD src1_sel:WORD_0
	v_lshl_add_u32 v6, v22, 10, 0x2000
	v_lshlrev_b32_e32 v5, 23, v5
	v_and_or_b32 v0, 0x8000, v0, v6
	v_lshl_or_b32 v5, v0, 16, v5
.LBB319_1077:                           ;   in Loop: Header=BB319_799 Depth=1
	s_or_b32 exec_lo, exec_lo, s15
.LBB319_1078:                           ;   in Loop: Header=BB319_799 Depth=1
	s_or_b32 exec_lo, exec_lo, s13
.LBB319_1079:                           ;   in Loop: Header=BB319_799 Depth=1
	s_or_b32 exec_lo, exec_lo, s12
	v_lshrrev_b32_e32 v0, 16, v11
	v_mov_b32_e32 v32, 0
	v_mov_b32_e32 v34, 0
	v_cmp_ne_u16_sdwa s4, v0, v1 src0_sel:BYTE_0 src1_sel:DWORD
	s_and_saveexec_b32 s12, s4
	s_cbranch_execz .LBB319_1087
; %bb.1080:                             ;   in Loop: Header=BB319_799 Depth=1
	v_cmp_ne_u16_sdwa s4, v0, v16 src0_sel:BYTE_0 src1_sel:DWORD
	v_mov_b32_e32 v34, 0x8000
	s_and_saveexec_b32 s13, s4
	s_cbranch_execz .LBB319_1086
; %bb.1081:                             ;   in Loop: Header=BB319_799 Depth=1
	v_bfe_u32 v35, v11, 16, 7
	v_mov_b32_e32 v34, 0x7c01
	s_mov_b32 s15, exec_lo
	v_cmpx_ne_u32_e32 0x7f, v35
	s_cbranch_execz .LBB319_1085
; %bb.1082:                             ;   in Loop: Header=BB319_799 Depth=1
	v_and_b32_e32 v22, 7, v0
	v_lshrrev_b32_e32 v34, 3, v35
	s_mov_b32 s18, exec_lo
	v_cmpx_gt_u32_e32 8, v35
; %bb.1083:                             ;   in Loop: Header=BB319_799 Depth=1
	v_ffbh_u32_e32 v6, v22
	v_min_u32_e32 v6, 32, v6
	v_subrev_nc_u32_e32 v22, 28, v6
	v_sub_nc_u32_e32 v34, 29, v6
	v_lshlrev_b64 v[86:87], v22, v[0:1]
	v_and_b32_e32 v22, 7, v86
; %bb.1084:                             ;   in Loop: Header=BB319_799 Depth=1
	s_or_b32 exec_lo, exec_lo, s18
	v_lshlrev_b32_e32 v0, 8, v0
	v_lshl_add_u32 v6, v34, 10, 0x2000
	v_lshlrev_b32_e32 v22, 7, v22
	v_and_b32_e32 v0, 0x8000, v0
	v_and_b32_e32 v6, 0xfc00, v6
	v_or3_b32 v34, v0, v6, v22
.LBB319_1085:                           ;   in Loop: Header=BB319_799 Depth=1
	s_or_b32 exec_lo, exec_lo, s15
.LBB319_1086:                           ;   in Loop: Header=BB319_799 Depth=1
	s_or_b32 exec_lo, exec_lo, s13
.LBB319_1087:                           ;   in Loop: Header=BB319_799 Depth=1
	s_or_b32 exec_lo, exec_lo, s12
	s_mov_b32 s12, exec_lo
	v_cmpx_lt_u32_e32 0xffffff, v11
	s_cbranch_execz .LBB319_1095
; %bb.1088:                             ;   in Loop: Header=BB319_799 Depth=1
	v_lshrrev_b32_e32 v0, 24, v11
	v_bfrev_b32_e32 v32, 1
	s_mov_b32 s13, exec_lo
	v_cmpx_ne_u32_e32 0x80, v0
	s_cbranch_execz .LBB319_1094
; %bb.1089:                             ;   in Loop: Header=BB319_799 Depth=1
	v_and_b32_e32 v35, 0x7f, v0
	v_mov_b32_e32 v32, 0x7c010000
	s_mov_b32 s15, exec_lo
	v_cmpx_ne_u32_e32 0x7f, v35
	s_cbranch_execz .LBB319_1093
; %bb.1090:                             ;   in Loop: Header=BB319_799 Depth=1
	v_and_b32_e32 v22, 7, v0
	v_lshrrev_b32_e32 v32, 3, v35
	s_mov_b32 s18, exec_lo
	v_cmpx_gt_u32_e32 8, v35
; %bb.1091:                             ;   in Loop: Header=BB319_799 Depth=1
	v_ffbh_u32_e32 v6, v22
	v_min_u32_e32 v6, 32, v6
	v_subrev_nc_u32_e32 v22, 28, v6
	v_sub_nc_u32_e32 v32, 29, v6
	v_lshlrev_b64 v[86:87], v22, v[0:1]
	v_and_b32_e32 v22, 7, v86
; %bb.1092:                             ;   in Loop: Header=BB319_799 Depth=1
	s_or_b32 exec_lo, exec_lo, s18
	v_lshlrev_b32_e32 v0, 8, v0
	v_lshl_add_u32 v6, v32, 10, 0x2000
	v_and_or_b32 v0, 0x8000, v0, v6
	v_lshlrev_b32_e32 v6, 23, v22
	v_lshl_or_b32 v32, v0, 16, v6
.LBB319_1093:                           ;   in Loop: Header=BB319_799 Depth=1
	s_or_b32 exec_lo, exec_lo, s15
.LBB319_1094:                           ;   in Loop: Header=BB319_799 Depth=1
	s_or_b32 exec_lo, exec_lo, s13
.LBB319_1095:                           ;   in Loop: Header=BB319_799 Depth=1
	s_or_b32 exec_lo, exec_lo, s12
	v_mov_b32_e32 v0, v12
	v_cmp_ne_u16_sdwa s4, v12, v1 src0_sel:BYTE_0 src1_sel:DWORD
	v_mov_b32_e32 v86, 0
	v_mov_b32_e32 v22, 0
	s_and_saveexec_b32 s12, s4
	s_cbranch_execz .LBB319_1103
; %bb.1096:                             ;   in Loop: Header=BB319_799 Depth=1
	v_cmp_ne_u16_sdwa s4, v12, v16 src0_sel:BYTE_0 src1_sel:DWORD
	v_mov_b32_e32 v22, 0x8000
	s_and_saveexec_b32 s13, s4
	s_cbranch_execz .LBB319_1102
; %bb.1097:                             ;   in Loop: Header=BB319_799 Depth=1
	v_and_b32_e32 v87, 0x7f, v12
	v_mov_b32_e32 v22, 0x7c01
	s_mov_b32 s15, exec_lo
	v_cmpx_ne_u32_e32 0x7f, v87
	s_cbranch_execz .LBB319_1101
; %bb.1098:                             ;   in Loop: Header=BB319_799 Depth=1
	v_and_b32_e32 v22, 7, v12
	v_lshrrev_b32_e32 v35, 3, v87
	s_mov_b32 s18, exec_lo
	v_cmpx_gt_u32_e32 8, v87
; %bb.1099:                             ;   in Loop: Header=BB319_799 Depth=1
	v_ffbh_u32_e32 v6, v22
	v_min_u32_e32 v6, 32, v6
	v_subrev_nc_u32_e32 v22, 28, v6
	v_sub_nc_u32_e32 v35, 29, v6
	v_lshlrev_b64 v[96:97], v22, v[0:1]
	v_and_b32_e32 v22, 7, v96
; %bb.1100:                             ;   in Loop: Header=BB319_799 Depth=1
	s_or_b32 exec_lo, exec_lo, s18
	v_lshlrev_b32_e32 v6, 8, v12
	v_lshl_add_u32 v35, v35, 10, 0x2000
	v_lshlrev_b32_e32 v22, 7, v22
	v_and_b32_e32 v6, 0x8000, v6
	v_and_b32_e32 v35, 0xfc00, v35
	v_or3_b32 v22, v6, v35, v22
.LBB319_1101:                           ;   in Loop: Header=BB319_799 Depth=1
	s_or_b32 exec_lo, exec_lo, s15
.LBB319_1102:                           ;   in Loop: Header=BB319_799 Depth=1
	s_or_b32 exec_lo, exec_lo, s13
.LBB319_1103:                           ;   in Loop: Header=BB319_799 Depth=1
	s_or_b32 exec_lo, exec_lo, s12
	v_lshrrev_b16 v0, 8, v0
	v_mov_b32_e32 v35, 0
	s_mov_b32 s12, exec_lo
	v_cmpx_ne_u16_e32 0, v0
	s_cbranch_execz .LBB319_1111
; %bb.1104:                             ;   in Loop: Header=BB319_799 Depth=1
	v_bfrev_b32_e32 v35, 1
	s_mov_b32 s13, exec_lo
	v_cmpx_ne_u16_e32 0x80, v0
	s_cbranch_execz .LBB319_1110
; %bb.1105:                             ;   in Loop: Header=BB319_799 Depth=1
	v_and_b32_sdwa v96, v0, v17 dst_sel:DWORD dst_unused:UNUSED_PAD src0_sel:WORD_0 src1_sel:DWORD
	v_mov_b32_e32 v35, 0x7c010000
	s_mov_b32 s15, exec_lo
	v_cmpx_ne_u32_e32 0x7f, v96
	s_cbranch_execz .LBB319_1109
; %bb.1106:                             ;   in Loop: Header=BB319_799 Depth=1
	v_and_b32_sdwa v35, v0, v37 dst_sel:DWORD dst_unused:UNUSED_PAD src0_sel:WORD_0 src1_sel:DWORD
	v_lshrrev_b32_e32 v87, 3, v96
	s_mov_b32 s18, exec_lo
	v_cmpx_gt_u32_e32 8, v96
; %bb.1107:                             ;   in Loop: Header=BB319_799 Depth=1
	v_ffbh_u32_e32 v6, v35
	v_min_u32_e32 v6, 32, v6
	v_subrev_nc_u32_e32 v35, 28, v6
	v_sub_nc_u32_e32 v87, 29, v6
	v_lshlrev_b64 v[96:97], v35, v[0:1]
	v_and_b32_e32 v35, 7, v96
; %bb.1108:                             ;   in Loop: Header=BB319_799 Depth=1
	s_or_b32 exec_lo, exec_lo, s18
	v_lshlrev_b32_sdwa v0, v50, v0 dst_sel:DWORD dst_unused:UNUSED_PAD src0_sel:DWORD src1_sel:WORD_0
	v_lshl_add_u32 v6, v87, 10, 0x2000
	v_and_or_b32 v0, 0x8000, v0, v6
	v_lshlrev_b32_e32 v6, 23, v35
	v_lshl_or_b32 v35, v0, 16, v6
.LBB319_1109:                           ;   in Loop: Header=BB319_799 Depth=1
	s_or_b32 exec_lo, exec_lo, s15
.LBB319_1110:                           ;   in Loop: Header=BB319_799 Depth=1
	s_or_b32 exec_lo, exec_lo, s13
.LBB319_1111:                           ;   in Loop: Header=BB319_799 Depth=1
	s_or_b32 exec_lo, exec_lo, s12
	v_lshrrev_b32_e32 v0, 16, v12
	v_cmp_ne_u16_sdwa s4, v0, v1 src0_sel:BYTE_0 src1_sel:DWORD
	s_and_saveexec_b32 s12, s4
	s_cbranch_execz .LBB319_1119
; %bb.1112:                             ;   in Loop: Header=BB319_799 Depth=1
	v_cmp_ne_u16_sdwa s4, v0, v16 src0_sel:BYTE_0 src1_sel:DWORD
	v_mov_b32_e32 v86, 0x8000
	s_and_saveexec_b32 s13, s4
	s_cbranch_execz .LBB319_1118
; %bb.1113:                             ;   in Loop: Header=BB319_799 Depth=1
	v_bfe_u32 v96, v12, 16, 7
	v_mov_b32_e32 v86, 0x7c01
	s_mov_b32 s15, exec_lo
	v_cmpx_ne_u32_e32 0x7f, v96
	s_cbranch_execz .LBB319_1117
; %bb.1114:                             ;   in Loop: Header=BB319_799 Depth=1
	v_and_b32_e32 v86, 7, v0
	v_lshrrev_b32_e32 v87, 3, v96
	s_mov_b32 s18, exec_lo
	v_cmpx_gt_u32_e32 8, v96
; %bb.1115:                             ;   in Loop: Header=BB319_799 Depth=1
	v_ffbh_u32_e32 v6, v86
	v_min_u32_e32 v6, 32, v6
	v_subrev_nc_u32_e32 v86, 28, v6
	v_lshlrev_b64 v[86:87], v86, v[0:1]
	v_sub_nc_u32_e32 v87, 29, v6
	v_and_b32_e32 v86, 7, v86
; %bb.1116:                             ;   in Loop: Header=BB319_799 Depth=1
	s_or_b32 exec_lo, exec_lo, s18
	v_lshlrev_b32_e32 v0, 8, v0
	v_lshl_add_u32 v6, v87, 10, 0x2000
	v_lshlrev_b32_e32 v86, 7, v86
	v_and_b32_e32 v0, 0x8000, v0
	v_and_b32_e32 v6, 0xfc00, v6
	v_or3_b32 v86, v0, v6, v86
.LBB319_1117:                           ;   in Loop: Header=BB319_799 Depth=1
	s_or_b32 exec_lo, exec_lo, s15
.LBB319_1118:                           ;   in Loop: Header=BB319_799 Depth=1
	s_or_b32 exec_lo, exec_lo, s13
.LBB319_1119:                           ;   in Loop: Header=BB319_799 Depth=1
	s_or_b32 exec_lo, exec_lo, s12
	v_cmp_lt_u64_e64 s4, s[8:9], v[11:12]
	v_mov_b32_e32 v11, 0
	s_and_saveexec_b32 s12, s4
	s_cbranch_execz .LBB319_1127
; %bb.1120:                             ;   in Loop: Header=BB319_799 Depth=1
	v_lshrrev_b32_e32 v0, 24, v12
	v_bfrev_b32_e32 v11, 1
	s_mov_b32 s13, exec_lo
	v_cmpx_ne_u32_e32 0x80, v0
	s_cbranch_execz .LBB319_1126
; %bb.1121:                             ;   in Loop: Header=BB319_799 Depth=1
	v_and_b32_e32 v87, 0x7f, v0
	v_mov_b32_e32 v11, 0x7c010000
	s_mov_b32 s15, exec_lo
	v_cmpx_ne_u32_e32 0x7f, v87
	s_cbranch_execz .LBB319_1125
; %bb.1122:                             ;   in Loop: Header=BB319_799 Depth=1
	v_and_b32_e32 v11, 7, v0
	v_lshrrev_b32_e32 v12, 3, v87
	s_mov_b32 s18, exec_lo
	v_cmpx_gt_u32_e32 8, v87
; %bb.1123:                             ;   in Loop: Header=BB319_799 Depth=1
	v_ffbh_u32_e32 v6, v11
	v_min_u32_e32 v6, 32, v6
	v_subrev_nc_u32_e32 v11, 28, v6
	v_lshlrev_b64 v[11:12], v11, v[0:1]
	v_sub_nc_u32_e32 v12, 29, v6
	v_and_b32_e32 v11, 7, v11
; %bb.1124:                             ;   in Loop: Header=BB319_799 Depth=1
	s_or_b32 exec_lo, exec_lo, s18
	v_lshlrev_b32_e32 v0, 8, v0
	v_lshl_add_u32 v6, v12, 10, 0x2000
	v_and_or_b32 v0, 0x8000, v0, v6
	v_lshlrev_b32_e32 v6, 23, v11
	v_lshl_or_b32 v11, v0, 16, v6
.LBB319_1125:                           ;   in Loop: Header=BB319_799 Depth=1
	s_or_b32 exec_lo, exec_lo, s15
.LBB319_1126:                           ;   in Loop: Header=BB319_799 Depth=1
	s_or_b32 exec_lo, exec_lo, s13
.LBB319_1127:                           ;   in Loop: Header=BB319_799 Depth=1
	s_or_b32 exec_lo, exec_lo, s12
	v_or_b32_e32 v0, v32, v34
	s_waitcnt vmcnt(0) lgkmcnt(0)
	v_fma_mixlo_f16 v6, v4, v32, 0 op_sel:[0,1,0] op_sel_hi:[0,1,0]
	v_or_b32_e32 v12, v5, v23
	v_or_b32_e32 v23, v35, v22
	;; [unrolled: 1-line block ×3, first 2 shown]
	v_fma_mixlo_f16 v5, v4, v5, 0 op_sel:[0,1,0] op_sel_hi:[0,1,0]
	v_fma_mixlo_f16 v32, v4, v0, 0 op_sel_hi:[0,1,0]
	v_lshlrev_b32_e32 v0, 16, v6
	v_fma_mixlo_f16 v6, v4, v12, 0 op_sel_hi:[0,1,0]
	v_fma_mixlo_f16 v12, v4, v35, 0 op_sel:[0,1,0] op_sel_hi:[0,1,0]
	v_fma_mixlo_f16 v23, v4, v23, 0 op_sel_hi:[0,1,0]
	v_fma_mixlo_f16 v35, v4, v11, 0 op_sel:[0,1,0] op_sel_hi:[0,1,0]
	v_fma_mixlo_f16 v34, v4, v34, 0 op_sel_hi:[0,1,0]
	v_lshlrev_b32_e32 v22, 16, v5
	v_and_b32_e32 v5, 0xffff, v32
	v_and_b32_e32 v87, 0xffff, v6
	v_lshlrev_b32_e32 v11, 16, v12
	v_and_b32_e32 v32, 0xffff, v23
	v_lshlrev_b32_e32 v4, 16, v35
	v_and_b32_e32 v12, 0xffff, v34
	v_or_b32_e32 v23, v0, v5
	v_or_b32_e32 v86, v22, v87
	;; [unrolled: 1-line block ×4, first 2 shown]
	s_and_saveexec_b32 s12, vcc_lo
	s_cbranch_execz .LBB319_1129
; %bb.1128:                             ;   in Loop: Header=BB319_799 Depth=1
	v_cmp_lt_i32_e64 s4, v51, v33
	v_cndmask_b32_e64 v6, 0, v87, s4
	v_cmp_lt_i32_e64 s4, v71, v33
	v_cndmask_b32_e64 v22, 0, v22, s4
	v_cmp_lt_i32_e64 s4, v70, v33
	v_or_b32_e32 v86, v6, v22
	v_cndmask_b32_e64 v5, 0, v5, s4
	v_cmp_lt_i32_e64 s4, v68, v33
	v_cndmask_b32_e64 v0, 0, v0, s4
	v_cmp_lt_i32_e64 s4, v65, v33
	v_or_b32_e32 v23, v5, v0
	;; [unrolled: 5-line block ×3, first 2 shown]
	v_cndmask_b32_e64 v12, 0, v12, s4
	v_cmp_lt_i32_e64 s4, v14, v33
	v_cndmask_b32_e64 v4, 0, v4, s4
	v_or_b32_e32 v34, v12, v4
.LBB319_1129:                           ;   in Loop: Header=BB319_799 Depth=1
	s_or_b32 exec_lo, exec_lo, s12
	;;#ASMSTART
	v_pk_mul_f16 v0, v67, v86;

	;;#ASMEND
	;;#ASMSTART
	v_pk_mul_f16 v4, v64, v23;

	;;#ASMEND
	;; [unrolled: 4-line block ×4, first 2 shown]
	;;#ASMSTART
	v_pk_add_f16 v0, v0, v4;

	;;#ASMEND
	;;#ASMSTART
	v_pk_add_f16 v0, v0, v5;

	;;#ASMEND
	;; [unrolled: 4-line block ×3, first 2 shown]
	v_and_b32_e32 v4, 0xffff, v0
	v_lshrrev_b32_e32 v0, 16, v0
	;;#ASMSTART
	v_cvt_f32_f16 v86, v4;
	;;#ASMEND
	;;#ASMSTART
	v_cvt_f32_f16 v87, v0;
	;;#ASMEND
	flat_load_dwordx2 v[11:12], v[9:10] offset:1280
	flat_load_dword v4, v[26:27]
	v_mov_b32_e32 v5, 0
	v_mov_b32_e32 v23, 0
	s_waitcnt vmcnt(1) lgkmcnt(1)
	v_cmp_ne_u16_sdwa s4, v11, v1 src0_sel:BYTE_0 src1_sel:DWORD
	s_and_saveexec_b32 s12, s4
	s_cbranch_execz .LBB319_1137
; %bb.1130:                             ;   in Loop: Header=BB319_799 Depth=1
	v_cmp_ne_u16_sdwa s4, v11, v16 src0_sel:BYTE_0 src1_sel:DWORD
	v_mov_b32_e32 v23, 0x8000
	s_and_saveexec_b32 s13, s4
	s_cbranch_execz .LBB319_1136
; %bb.1131:                             ;   in Loop: Header=BB319_799 Depth=1
	v_and_b32_e32 v32, 0x7f, v11
	v_mov_b32_e32 v23, 0x7c01
	s_mov_b32 s15, exec_lo
	v_cmpx_ne_u32_e32 0x7f, v32
	s_cbranch_execz .LBB319_1135
; %bb.1132:                             ;   in Loop: Header=BB319_799 Depth=1
	v_and_b32_e32 v0, 7, v11
	v_lshrrev_b32_e32 v22, 3, v32
	s_mov_b32 s18, exec_lo
	v_cmpx_gt_u32_e32 8, v32
; %bb.1133:                             ;   in Loop: Header=BB319_799 Depth=1
	v_ffbh_u32_e32 v0, v0
	v_min_u32_e32 v0, 32, v0
	v_subrev_nc_u32_e32 v6, 28, v0
	v_sub_nc_u32_e32 v22, 29, v0
	v_lshlrev_b64 v[34:35], v6, v[11:12]
	v_and_b32_e32 v0, 7, v34
; %bb.1134:                             ;   in Loop: Header=BB319_799 Depth=1
	s_or_b32 exec_lo, exec_lo, s18
	v_lshlrev_b32_e32 v6, 8, v11
	v_lshl_add_u32 v22, v22, 10, 0x2000
	v_lshlrev_b32_e32 v0, 7, v0
	v_and_b32_e32 v6, 0x8000, v6
	v_and_b32_e32 v22, 0xfc00, v22
	v_or3_b32 v23, v6, v22, v0
.LBB319_1135:                           ;   in Loop: Header=BB319_799 Depth=1
	s_or_b32 exec_lo, exec_lo, s15
.LBB319_1136:                           ;   in Loop: Header=BB319_799 Depth=1
	s_or_b32 exec_lo, exec_lo, s13
.LBB319_1137:                           ;   in Loop: Header=BB319_799 Depth=1
	s_or_b32 exec_lo, exec_lo, s12
	v_lshrrev_b16 v0, 8, v11
	s_mov_b32 s12, exec_lo
	v_cmpx_ne_u16_e32 0, v0
	s_cbranch_execz .LBB319_1145
; %bb.1138:                             ;   in Loop: Header=BB319_799 Depth=1
	v_bfrev_b32_e32 v5, 1
	s_mov_b32 s13, exec_lo
	v_cmpx_ne_u16_e32 0x80, v0
	s_cbranch_execz .LBB319_1144
; %bb.1139:                             ;   in Loop: Header=BB319_799 Depth=1
	v_and_b32_sdwa v32, v0, v17 dst_sel:DWORD dst_unused:UNUSED_PAD src0_sel:WORD_0 src1_sel:DWORD
	v_mov_b32_e32 v5, 0x7c010000
	s_mov_b32 s15, exec_lo
	v_cmpx_ne_u32_e32 0x7f, v32
	s_cbranch_execz .LBB319_1143
; %bb.1140:                             ;   in Loop: Header=BB319_799 Depth=1
	v_and_b32_sdwa v5, v0, v37 dst_sel:DWORD dst_unused:UNUSED_PAD src0_sel:WORD_0 src1_sel:DWORD
	v_lshrrev_b32_e32 v22, 3, v32
	s_mov_b32 s18, exec_lo
	v_cmpx_gt_u32_e32 8, v32
; %bb.1141:                             ;   in Loop: Header=BB319_799 Depth=1
	v_ffbh_u32_e32 v5, v5
	v_min_u32_e32 v22, 32, v5
	v_subrev_nc_u32_e32 v5, 28, v22
	v_sub_nc_u32_e32 v22, 29, v22
	v_lshlrev_b64 v[5:6], v5, v[0:1]
	v_and_b32_e32 v5, 7, v5
; %bb.1142:                             ;   in Loop: Header=BB319_799 Depth=1
	s_or_b32 exec_lo, exec_lo, s18
	v_lshlrev_b32_sdwa v0, v50, v0 dst_sel:DWORD dst_unused:UNUSED_PAD src0_sel:DWORD src1_sel:WORD_0
	v_lshl_add_u32 v6, v22, 10, 0x2000
	v_lshlrev_b32_e32 v5, 23, v5
	v_and_or_b32 v0, 0x8000, v0, v6
	v_lshl_or_b32 v5, v0, 16, v5
.LBB319_1143:                           ;   in Loop: Header=BB319_799 Depth=1
	s_or_b32 exec_lo, exec_lo, s15
.LBB319_1144:                           ;   in Loop: Header=BB319_799 Depth=1
	s_or_b32 exec_lo, exec_lo, s13
.LBB319_1145:                           ;   in Loop: Header=BB319_799 Depth=1
	s_or_b32 exec_lo, exec_lo, s12
	v_lshrrev_b32_e32 v0, 16, v11
	v_mov_b32_e32 v32, 0
	v_mov_b32_e32 v34, 0
	v_cmp_ne_u16_sdwa s4, v0, v1 src0_sel:BYTE_0 src1_sel:DWORD
	s_and_saveexec_b32 s12, s4
	s_cbranch_execz .LBB319_1153
; %bb.1146:                             ;   in Loop: Header=BB319_799 Depth=1
	v_cmp_ne_u16_sdwa s4, v0, v16 src0_sel:BYTE_0 src1_sel:DWORD
	v_mov_b32_e32 v34, 0x8000
	s_and_saveexec_b32 s13, s4
	s_cbranch_execz .LBB319_1152
; %bb.1147:                             ;   in Loop: Header=BB319_799 Depth=1
	v_bfe_u32 v35, v11, 16, 7
	v_mov_b32_e32 v34, 0x7c01
	s_mov_b32 s15, exec_lo
	v_cmpx_ne_u32_e32 0x7f, v35
	s_cbranch_execz .LBB319_1151
; %bb.1148:                             ;   in Loop: Header=BB319_799 Depth=1
	v_and_b32_e32 v22, 7, v0
	v_lshrrev_b32_e32 v34, 3, v35
	s_mov_b32 s18, exec_lo
	v_cmpx_gt_u32_e32 8, v35
; %bb.1149:                             ;   in Loop: Header=BB319_799 Depth=1
	v_ffbh_u32_e32 v6, v22
	v_min_u32_e32 v6, 32, v6
	v_subrev_nc_u32_e32 v22, 28, v6
	v_sub_nc_u32_e32 v34, 29, v6
	v_lshlrev_b64 v[96:97], v22, v[0:1]
	v_and_b32_e32 v22, 7, v96
; %bb.1150:                             ;   in Loop: Header=BB319_799 Depth=1
	s_or_b32 exec_lo, exec_lo, s18
	v_lshlrev_b32_e32 v0, 8, v0
	v_lshl_add_u32 v6, v34, 10, 0x2000
	v_lshlrev_b32_e32 v22, 7, v22
	v_and_b32_e32 v0, 0x8000, v0
	v_and_b32_e32 v6, 0xfc00, v6
	v_or3_b32 v34, v0, v6, v22
.LBB319_1151:                           ;   in Loop: Header=BB319_799 Depth=1
	s_or_b32 exec_lo, exec_lo, s15
.LBB319_1152:                           ;   in Loop: Header=BB319_799 Depth=1
	s_or_b32 exec_lo, exec_lo, s13
.LBB319_1153:                           ;   in Loop: Header=BB319_799 Depth=1
	s_or_b32 exec_lo, exec_lo, s12
	s_mov_b32 s12, exec_lo
	v_cmpx_lt_u32_e32 0xffffff, v11
	s_cbranch_execz .LBB319_1161
; %bb.1154:                             ;   in Loop: Header=BB319_799 Depth=1
	v_lshrrev_b32_e32 v0, 24, v11
	v_bfrev_b32_e32 v32, 1
	s_mov_b32 s13, exec_lo
	v_cmpx_ne_u32_e32 0x80, v0
	s_cbranch_execz .LBB319_1160
; %bb.1155:                             ;   in Loop: Header=BB319_799 Depth=1
	v_and_b32_e32 v35, 0x7f, v0
	v_mov_b32_e32 v32, 0x7c010000
	s_mov_b32 s15, exec_lo
	v_cmpx_ne_u32_e32 0x7f, v35
	s_cbranch_execz .LBB319_1159
; %bb.1156:                             ;   in Loop: Header=BB319_799 Depth=1
	v_and_b32_e32 v22, 7, v0
	v_lshrrev_b32_e32 v32, 3, v35
	s_mov_b32 s18, exec_lo
	v_cmpx_gt_u32_e32 8, v35
; %bb.1157:                             ;   in Loop: Header=BB319_799 Depth=1
	v_ffbh_u32_e32 v6, v22
	v_min_u32_e32 v6, 32, v6
	v_subrev_nc_u32_e32 v22, 28, v6
	v_sub_nc_u32_e32 v32, 29, v6
	v_lshlrev_b64 v[96:97], v22, v[0:1]
	v_and_b32_e32 v22, 7, v96
; %bb.1158:                             ;   in Loop: Header=BB319_799 Depth=1
	s_or_b32 exec_lo, exec_lo, s18
	v_lshlrev_b32_e32 v0, 8, v0
	v_lshl_add_u32 v6, v32, 10, 0x2000
	v_and_or_b32 v0, 0x8000, v0, v6
	v_lshlrev_b32_e32 v6, 23, v22
	v_lshl_or_b32 v32, v0, 16, v6
.LBB319_1159:                           ;   in Loop: Header=BB319_799 Depth=1
	s_or_b32 exec_lo, exec_lo, s15
.LBB319_1160:                           ;   in Loop: Header=BB319_799 Depth=1
	s_or_b32 exec_lo, exec_lo, s13
.LBB319_1161:                           ;   in Loop: Header=BB319_799 Depth=1
	s_or_b32 exec_lo, exec_lo, s12
	v_mov_b32_e32 v0, v12
	v_cmp_ne_u16_sdwa s4, v12, v1 src0_sel:BYTE_0 src1_sel:DWORD
	v_mov_b32_e32 v96, 0
	v_mov_b32_e32 v22, 0
	s_and_saveexec_b32 s12, s4
	s_cbranch_execz .LBB319_1169
; %bb.1162:                             ;   in Loop: Header=BB319_799 Depth=1
	v_cmp_ne_u16_sdwa s4, v12, v16 src0_sel:BYTE_0 src1_sel:DWORD
	v_mov_b32_e32 v22, 0x8000
	s_and_saveexec_b32 s13, s4
	s_cbranch_execz .LBB319_1168
; %bb.1163:                             ;   in Loop: Header=BB319_799 Depth=1
	v_and_b32_e32 v97, 0x7f, v12
	v_mov_b32_e32 v22, 0x7c01
	s_mov_b32 s15, exec_lo
	v_cmpx_ne_u32_e32 0x7f, v97
	s_cbranch_execz .LBB319_1167
; %bb.1164:                             ;   in Loop: Header=BB319_799 Depth=1
	v_and_b32_e32 v22, 7, v12
	v_lshrrev_b32_e32 v35, 3, v97
	s_mov_b32 s18, exec_lo
	v_cmpx_gt_u32_e32 8, v97
; %bb.1165:                             ;   in Loop: Header=BB319_799 Depth=1
	v_ffbh_u32_e32 v6, v22
	v_min_u32_e32 v6, 32, v6
	v_subrev_nc_u32_e32 v22, 28, v6
	v_sub_nc_u32_e32 v35, 29, v6
	v_lshlrev_b64 v[97:98], v22, v[0:1]
	v_and_b32_e32 v22, 7, v97
; %bb.1166:                             ;   in Loop: Header=BB319_799 Depth=1
	s_or_b32 exec_lo, exec_lo, s18
	v_lshlrev_b32_e32 v6, 8, v12
	v_lshl_add_u32 v35, v35, 10, 0x2000
	v_lshlrev_b32_e32 v22, 7, v22
	v_and_b32_e32 v6, 0x8000, v6
	v_and_b32_e32 v35, 0xfc00, v35
	v_or3_b32 v22, v6, v35, v22
.LBB319_1167:                           ;   in Loop: Header=BB319_799 Depth=1
	s_or_b32 exec_lo, exec_lo, s15
.LBB319_1168:                           ;   in Loop: Header=BB319_799 Depth=1
	s_or_b32 exec_lo, exec_lo, s13
.LBB319_1169:                           ;   in Loop: Header=BB319_799 Depth=1
	s_or_b32 exec_lo, exec_lo, s12
	v_lshrrev_b16 v0, 8, v0
	v_mov_b32_e32 v35, 0
	s_mov_b32 s12, exec_lo
	v_cmpx_ne_u16_e32 0, v0
	s_cbranch_execz .LBB319_1177
; %bb.1170:                             ;   in Loop: Header=BB319_799 Depth=1
	v_bfrev_b32_e32 v35, 1
	s_mov_b32 s13, exec_lo
	v_cmpx_ne_u16_e32 0x80, v0
	s_cbranch_execz .LBB319_1176
; %bb.1171:                             ;   in Loop: Header=BB319_799 Depth=1
	v_and_b32_sdwa v98, v0, v17 dst_sel:DWORD dst_unused:UNUSED_PAD src0_sel:WORD_0 src1_sel:DWORD
	v_mov_b32_e32 v35, 0x7c010000
	s_mov_b32 s15, exec_lo
	v_cmpx_ne_u32_e32 0x7f, v98
	s_cbranch_execz .LBB319_1175
; %bb.1172:                             ;   in Loop: Header=BB319_799 Depth=1
	v_and_b32_sdwa v35, v0, v37 dst_sel:DWORD dst_unused:UNUSED_PAD src0_sel:WORD_0 src1_sel:DWORD
	v_lshrrev_b32_e32 v97, 3, v98
	s_mov_b32 s18, exec_lo
	v_cmpx_gt_u32_e32 8, v98
; %bb.1173:                             ;   in Loop: Header=BB319_799 Depth=1
	v_ffbh_u32_e32 v6, v35
	v_min_u32_e32 v6, 32, v6
	v_subrev_nc_u32_e32 v35, 28, v6
	v_sub_nc_u32_e32 v97, 29, v6
	v_lshlrev_b64 v[98:99], v35, v[0:1]
	v_and_b32_e32 v35, 7, v98
; %bb.1174:                             ;   in Loop: Header=BB319_799 Depth=1
	s_or_b32 exec_lo, exec_lo, s18
	v_lshlrev_b32_sdwa v0, v50, v0 dst_sel:DWORD dst_unused:UNUSED_PAD src0_sel:DWORD src1_sel:WORD_0
	v_lshl_add_u32 v6, v97, 10, 0x2000
	v_and_or_b32 v0, 0x8000, v0, v6
	v_lshlrev_b32_e32 v6, 23, v35
	v_lshl_or_b32 v35, v0, 16, v6
.LBB319_1175:                           ;   in Loop: Header=BB319_799 Depth=1
	s_or_b32 exec_lo, exec_lo, s15
.LBB319_1176:                           ;   in Loop: Header=BB319_799 Depth=1
	s_or_b32 exec_lo, exec_lo, s13
.LBB319_1177:                           ;   in Loop: Header=BB319_799 Depth=1
	s_or_b32 exec_lo, exec_lo, s12
	v_lshrrev_b32_e32 v0, 16, v12
	v_cmp_ne_u16_sdwa s4, v0, v1 src0_sel:BYTE_0 src1_sel:DWORD
	s_and_saveexec_b32 s12, s4
	s_cbranch_execz .LBB319_1185
; %bb.1178:                             ;   in Loop: Header=BB319_799 Depth=1
	v_cmp_ne_u16_sdwa s4, v0, v16 src0_sel:BYTE_0 src1_sel:DWORD
	v_mov_b32_e32 v96, 0x8000
	s_and_saveexec_b32 s13, s4
	s_cbranch_execz .LBB319_1184
; %bb.1179:                             ;   in Loop: Header=BB319_799 Depth=1
	v_bfe_u32 v98, v12, 16, 7
	v_mov_b32_e32 v96, 0x7c01
	s_mov_b32 s15, exec_lo
	v_cmpx_ne_u32_e32 0x7f, v98
	s_cbranch_execz .LBB319_1183
; %bb.1180:                             ;   in Loop: Header=BB319_799 Depth=1
	v_and_b32_e32 v96, 7, v0
	v_lshrrev_b32_e32 v97, 3, v98
	s_mov_b32 s18, exec_lo
	v_cmpx_gt_u32_e32 8, v98
; %bb.1181:                             ;   in Loop: Header=BB319_799 Depth=1
	v_ffbh_u32_e32 v6, v96
	v_min_u32_e32 v6, 32, v6
	v_subrev_nc_u32_e32 v96, 28, v6
	v_lshlrev_b64 v[96:97], v96, v[0:1]
	v_sub_nc_u32_e32 v97, 29, v6
	v_and_b32_e32 v96, 7, v96
; %bb.1182:                             ;   in Loop: Header=BB319_799 Depth=1
	s_or_b32 exec_lo, exec_lo, s18
	v_lshlrev_b32_e32 v0, 8, v0
	v_lshl_add_u32 v6, v97, 10, 0x2000
	v_lshlrev_b32_e32 v96, 7, v96
	v_and_b32_e32 v0, 0x8000, v0
	v_and_b32_e32 v6, 0xfc00, v6
	v_or3_b32 v96, v0, v6, v96
.LBB319_1183:                           ;   in Loop: Header=BB319_799 Depth=1
	s_or_b32 exec_lo, exec_lo, s15
.LBB319_1184:                           ;   in Loop: Header=BB319_799 Depth=1
	s_or_b32 exec_lo, exec_lo, s13
.LBB319_1185:                           ;   in Loop: Header=BB319_799 Depth=1
	s_or_b32 exec_lo, exec_lo, s12
	v_cmp_lt_u64_e64 s4, s[8:9], v[11:12]
	v_mov_b32_e32 v11, 0
	s_and_saveexec_b32 s12, s4
	s_cbranch_execz .LBB319_1193
; %bb.1186:                             ;   in Loop: Header=BB319_799 Depth=1
	v_lshrrev_b32_e32 v0, 24, v12
	v_bfrev_b32_e32 v11, 1
	s_mov_b32 s13, exec_lo
	v_cmpx_ne_u32_e32 0x80, v0
	s_cbranch_execz .LBB319_1192
; %bb.1187:                             ;   in Loop: Header=BB319_799 Depth=1
	v_and_b32_e32 v97, 0x7f, v0
	v_mov_b32_e32 v11, 0x7c010000
	s_mov_b32 s15, exec_lo
	v_cmpx_ne_u32_e32 0x7f, v97
	s_cbranch_execz .LBB319_1191
; %bb.1188:                             ;   in Loop: Header=BB319_799 Depth=1
	v_and_b32_e32 v11, 7, v0
	v_lshrrev_b32_e32 v12, 3, v97
	s_mov_b32 s18, exec_lo
	v_cmpx_gt_u32_e32 8, v97
; %bb.1189:                             ;   in Loop: Header=BB319_799 Depth=1
	v_ffbh_u32_e32 v6, v11
	v_min_u32_e32 v6, 32, v6
	v_subrev_nc_u32_e32 v11, 28, v6
	v_lshlrev_b64 v[11:12], v11, v[0:1]
	v_sub_nc_u32_e32 v12, 29, v6
	v_and_b32_e32 v11, 7, v11
; %bb.1190:                             ;   in Loop: Header=BB319_799 Depth=1
	s_or_b32 exec_lo, exec_lo, s18
	v_lshlrev_b32_e32 v0, 8, v0
	v_lshl_add_u32 v6, v12, 10, 0x2000
	v_and_or_b32 v0, 0x8000, v0, v6
	v_lshlrev_b32_e32 v6, 23, v11
	v_lshl_or_b32 v11, v0, 16, v6
.LBB319_1191:                           ;   in Loop: Header=BB319_799 Depth=1
	s_or_b32 exec_lo, exec_lo, s15
.LBB319_1192:                           ;   in Loop: Header=BB319_799 Depth=1
	s_or_b32 exec_lo, exec_lo, s13
.LBB319_1193:                           ;   in Loop: Header=BB319_799 Depth=1
	s_or_b32 exec_lo, exec_lo, s12
	v_or_b32_e32 v0, v32, v34
	s_waitcnt vmcnt(0) lgkmcnt(0)
	v_fma_mixlo_f16 v6, v4, v32, 0 op_sel:[0,1,0] op_sel_hi:[0,1,0]
	v_or_b32_e32 v12, v5, v23
	v_or_b32_e32 v23, v35, v22
	;; [unrolled: 1-line block ×3, first 2 shown]
	v_fma_mixlo_f16 v5, v4, v5, 0 op_sel:[0,1,0] op_sel_hi:[0,1,0]
	v_fma_mixlo_f16 v32, v4, v0, 0 op_sel_hi:[0,1,0]
	v_lshlrev_b32_e32 v0, 16, v6
	v_fma_mixlo_f16 v6, v4, v12, 0 op_sel_hi:[0,1,0]
	v_fma_mixlo_f16 v12, v4, v35, 0 op_sel:[0,1,0] op_sel_hi:[0,1,0]
	v_fma_mixlo_f16 v23, v4, v23, 0 op_sel_hi:[0,1,0]
	v_fma_mixlo_f16 v35, v4, v11, 0 op_sel:[0,1,0] op_sel_hi:[0,1,0]
	v_fma_mixlo_f16 v34, v4, v34, 0 op_sel_hi:[0,1,0]
	v_lshlrev_b32_e32 v22, 16, v5
	v_and_b32_e32 v5, 0xffff, v32
	v_and_b32_e32 v97, 0xffff, v6
	v_lshlrev_b32_e32 v11, 16, v12
	v_and_b32_e32 v32, 0xffff, v23
	v_lshlrev_b32_e32 v4, 16, v35
	v_and_b32_e32 v12, 0xffff, v34
	v_or_b32_e32 v23, v0, v5
	v_or_b32_e32 v96, v22, v97
	;; [unrolled: 1-line block ×4, first 2 shown]
	s_and_saveexec_b32 s12, vcc_lo
	s_cbranch_execz .LBB319_1195
; %bb.1194:                             ;   in Loop: Header=BB319_799 Depth=1
	v_cmp_lt_i32_e64 s4, v51, v33
	v_cndmask_b32_e64 v6, 0, v97, s4
	v_cmp_lt_i32_e64 s4, v71, v33
	v_cndmask_b32_e64 v22, 0, v22, s4
	v_cmp_lt_i32_e64 s4, v70, v33
	v_or_b32_e32 v96, v6, v22
	v_cndmask_b32_e64 v5, 0, v5, s4
	v_cmp_lt_i32_e64 s4, v68, v33
	v_cndmask_b32_e64 v0, 0, v0, s4
	v_cmp_lt_i32_e64 s4, v65, v33
	v_or_b32_e32 v23, v5, v0
	;; [unrolled: 5-line block ×3, first 2 shown]
	v_cndmask_b32_e64 v12, 0, v12, s4
	v_cmp_lt_i32_e64 s4, v14, v33
	v_cndmask_b32_e64 v4, 0, v4, s4
	v_or_b32_e32 v34, v12, v4
.LBB319_1195:                           ;   in Loop: Header=BB319_799 Depth=1
	s_or_b32 exec_lo, exec_lo, s12
	;;#ASMSTART
	v_pk_mul_f16 v0, v67, v96;

	;;#ASMEND
	;;#ASMSTART
	v_pk_mul_f16 v4, v64, v23;

	;;#ASMEND
	;; [unrolled: 4-line block ×4, first 2 shown]
	;;#ASMSTART
	v_pk_add_f16 v0, v0, v4;

	;;#ASMEND
	;;#ASMSTART
	v_pk_add_f16 v0, v0, v5;

	;;#ASMEND
	;; [unrolled: 4-line block ×3, first 2 shown]
	v_and_b32_e32 v4, 0xffff, v0
	v_lshrrev_b32_e32 v0, 16, v0
	;;#ASMSTART
	v_cvt_f32_f16 v96, v4;
	;;#ASMEND
	;;#ASMSTART
	v_cvt_f32_f16 v97, v0;
	;;#ASMEND
	flat_load_dwordx2 v[11:12], v[9:10] offset:1536
	flat_load_dword v4, v[26:27]
	v_mov_b32_e32 v5, 0
	v_mov_b32_e32 v23, 0
	s_waitcnt vmcnt(1) lgkmcnt(1)
	v_cmp_ne_u16_sdwa s4, v11, v1 src0_sel:BYTE_0 src1_sel:DWORD
	s_and_saveexec_b32 s12, s4
	s_cbranch_execz .LBB319_1203
; %bb.1196:                             ;   in Loop: Header=BB319_799 Depth=1
	v_cmp_ne_u16_sdwa s4, v11, v16 src0_sel:BYTE_0 src1_sel:DWORD
	v_mov_b32_e32 v23, 0x8000
	s_and_saveexec_b32 s13, s4
	s_cbranch_execz .LBB319_1202
; %bb.1197:                             ;   in Loop: Header=BB319_799 Depth=1
	v_and_b32_e32 v32, 0x7f, v11
	v_mov_b32_e32 v23, 0x7c01
	s_mov_b32 s15, exec_lo
	v_cmpx_ne_u32_e32 0x7f, v32
	s_cbranch_execz .LBB319_1201
; %bb.1198:                             ;   in Loop: Header=BB319_799 Depth=1
	v_and_b32_e32 v0, 7, v11
	v_lshrrev_b32_e32 v22, 3, v32
	s_mov_b32 s18, exec_lo
	v_cmpx_gt_u32_e32 8, v32
; %bb.1199:                             ;   in Loop: Header=BB319_799 Depth=1
	v_ffbh_u32_e32 v0, v0
	v_min_u32_e32 v0, 32, v0
	v_subrev_nc_u32_e32 v6, 28, v0
	v_sub_nc_u32_e32 v22, 29, v0
	v_lshlrev_b64 v[34:35], v6, v[11:12]
	v_and_b32_e32 v0, 7, v34
; %bb.1200:                             ;   in Loop: Header=BB319_799 Depth=1
	s_or_b32 exec_lo, exec_lo, s18
	v_lshlrev_b32_e32 v6, 8, v11
	v_lshl_add_u32 v22, v22, 10, 0x2000
	v_lshlrev_b32_e32 v0, 7, v0
	v_and_b32_e32 v6, 0x8000, v6
	v_and_b32_e32 v22, 0xfc00, v22
	v_or3_b32 v23, v6, v22, v0
.LBB319_1201:                           ;   in Loop: Header=BB319_799 Depth=1
	s_or_b32 exec_lo, exec_lo, s15
.LBB319_1202:                           ;   in Loop: Header=BB319_799 Depth=1
	s_or_b32 exec_lo, exec_lo, s13
.LBB319_1203:                           ;   in Loop: Header=BB319_799 Depth=1
	s_or_b32 exec_lo, exec_lo, s12
	v_lshrrev_b16 v0, 8, v11
	s_mov_b32 s12, exec_lo
	v_cmpx_ne_u16_e32 0, v0
	s_cbranch_execz .LBB319_1211
; %bb.1204:                             ;   in Loop: Header=BB319_799 Depth=1
	v_bfrev_b32_e32 v5, 1
	s_mov_b32 s13, exec_lo
	v_cmpx_ne_u16_e32 0x80, v0
	s_cbranch_execz .LBB319_1210
; %bb.1205:                             ;   in Loop: Header=BB319_799 Depth=1
	v_and_b32_sdwa v32, v0, v17 dst_sel:DWORD dst_unused:UNUSED_PAD src0_sel:WORD_0 src1_sel:DWORD
	v_mov_b32_e32 v5, 0x7c010000
	s_mov_b32 s15, exec_lo
	v_cmpx_ne_u32_e32 0x7f, v32
	s_cbranch_execz .LBB319_1209
; %bb.1206:                             ;   in Loop: Header=BB319_799 Depth=1
	v_and_b32_sdwa v5, v0, v37 dst_sel:DWORD dst_unused:UNUSED_PAD src0_sel:WORD_0 src1_sel:DWORD
	v_lshrrev_b32_e32 v22, 3, v32
	s_mov_b32 s18, exec_lo
	v_cmpx_gt_u32_e32 8, v32
; %bb.1207:                             ;   in Loop: Header=BB319_799 Depth=1
	v_ffbh_u32_e32 v5, v5
	v_min_u32_e32 v22, 32, v5
	v_subrev_nc_u32_e32 v5, 28, v22
	v_sub_nc_u32_e32 v22, 29, v22
	v_lshlrev_b64 v[5:6], v5, v[0:1]
	v_and_b32_e32 v5, 7, v5
; %bb.1208:                             ;   in Loop: Header=BB319_799 Depth=1
	s_or_b32 exec_lo, exec_lo, s18
	v_lshlrev_b32_sdwa v0, v50, v0 dst_sel:DWORD dst_unused:UNUSED_PAD src0_sel:DWORD src1_sel:WORD_0
	v_lshl_add_u32 v6, v22, 10, 0x2000
	v_lshlrev_b32_e32 v5, 23, v5
	v_and_or_b32 v0, 0x8000, v0, v6
	v_lshl_or_b32 v5, v0, 16, v5
.LBB319_1209:                           ;   in Loop: Header=BB319_799 Depth=1
	s_or_b32 exec_lo, exec_lo, s15
.LBB319_1210:                           ;   in Loop: Header=BB319_799 Depth=1
	s_or_b32 exec_lo, exec_lo, s13
.LBB319_1211:                           ;   in Loop: Header=BB319_799 Depth=1
	s_or_b32 exec_lo, exec_lo, s12
	v_lshrrev_b32_e32 v0, 16, v11
	v_mov_b32_e32 v32, 0
	v_mov_b32_e32 v34, 0
	v_cmp_ne_u16_sdwa s4, v0, v1 src0_sel:BYTE_0 src1_sel:DWORD
	s_and_saveexec_b32 s12, s4
	s_cbranch_execz .LBB319_1219
; %bb.1212:                             ;   in Loop: Header=BB319_799 Depth=1
	v_cmp_ne_u16_sdwa s4, v0, v16 src0_sel:BYTE_0 src1_sel:DWORD
	v_mov_b32_e32 v34, 0x8000
	s_and_saveexec_b32 s13, s4
	s_cbranch_execz .LBB319_1218
; %bb.1213:                             ;   in Loop: Header=BB319_799 Depth=1
	v_bfe_u32 v35, v11, 16, 7
	v_mov_b32_e32 v34, 0x7c01
	s_mov_b32 s15, exec_lo
	v_cmpx_ne_u32_e32 0x7f, v35
	s_cbranch_execz .LBB319_1217
; %bb.1214:                             ;   in Loop: Header=BB319_799 Depth=1
	v_and_b32_e32 v22, 7, v0
	v_lshrrev_b32_e32 v34, 3, v35
	s_mov_b32 s18, exec_lo
	v_cmpx_gt_u32_e32 8, v35
; %bb.1215:                             ;   in Loop: Header=BB319_799 Depth=1
	v_ffbh_u32_e32 v6, v22
	v_min_u32_e32 v6, 32, v6
	v_subrev_nc_u32_e32 v22, 28, v6
	v_sub_nc_u32_e32 v34, 29, v6
	v_lshlrev_b64 v[98:99], v22, v[0:1]
	v_and_b32_e32 v22, 7, v98
; %bb.1216:                             ;   in Loop: Header=BB319_799 Depth=1
	s_or_b32 exec_lo, exec_lo, s18
	v_lshlrev_b32_e32 v0, 8, v0
	v_lshl_add_u32 v6, v34, 10, 0x2000
	v_lshlrev_b32_e32 v22, 7, v22
	v_and_b32_e32 v0, 0x8000, v0
	v_and_b32_e32 v6, 0xfc00, v6
	v_or3_b32 v34, v0, v6, v22
.LBB319_1217:                           ;   in Loop: Header=BB319_799 Depth=1
	s_or_b32 exec_lo, exec_lo, s15
.LBB319_1218:                           ;   in Loop: Header=BB319_799 Depth=1
	s_or_b32 exec_lo, exec_lo, s13
.LBB319_1219:                           ;   in Loop: Header=BB319_799 Depth=1
	s_or_b32 exec_lo, exec_lo, s12
	s_mov_b32 s12, exec_lo
	v_cmpx_lt_u32_e32 0xffffff, v11
	s_cbranch_execz .LBB319_1227
; %bb.1220:                             ;   in Loop: Header=BB319_799 Depth=1
	v_lshrrev_b32_e32 v0, 24, v11
	v_bfrev_b32_e32 v32, 1
	s_mov_b32 s13, exec_lo
	v_cmpx_ne_u32_e32 0x80, v0
	s_cbranch_execz .LBB319_1226
; %bb.1221:                             ;   in Loop: Header=BB319_799 Depth=1
	v_and_b32_e32 v35, 0x7f, v0
	v_mov_b32_e32 v32, 0x7c010000
	s_mov_b32 s15, exec_lo
	v_cmpx_ne_u32_e32 0x7f, v35
	s_cbranch_execz .LBB319_1225
; %bb.1222:                             ;   in Loop: Header=BB319_799 Depth=1
	v_and_b32_e32 v22, 7, v0
	v_lshrrev_b32_e32 v32, 3, v35
	s_mov_b32 s18, exec_lo
	v_cmpx_gt_u32_e32 8, v35
; %bb.1223:                             ;   in Loop: Header=BB319_799 Depth=1
	v_ffbh_u32_e32 v6, v22
	v_min_u32_e32 v6, 32, v6
	v_subrev_nc_u32_e32 v22, 28, v6
	v_sub_nc_u32_e32 v32, 29, v6
	v_lshlrev_b64 v[98:99], v22, v[0:1]
	v_and_b32_e32 v22, 7, v98
; %bb.1224:                             ;   in Loop: Header=BB319_799 Depth=1
	s_or_b32 exec_lo, exec_lo, s18
	v_lshlrev_b32_e32 v0, 8, v0
	v_lshl_add_u32 v6, v32, 10, 0x2000
	v_and_or_b32 v0, 0x8000, v0, v6
	v_lshlrev_b32_e32 v6, 23, v22
	v_lshl_or_b32 v32, v0, 16, v6
.LBB319_1225:                           ;   in Loop: Header=BB319_799 Depth=1
	s_or_b32 exec_lo, exec_lo, s15
.LBB319_1226:                           ;   in Loop: Header=BB319_799 Depth=1
	s_or_b32 exec_lo, exec_lo, s13
.LBB319_1227:                           ;   in Loop: Header=BB319_799 Depth=1
	s_or_b32 exec_lo, exec_lo, s12
	v_mov_b32_e32 v0, v12
	v_cmp_ne_u16_sdwa s4, v12, v1 src0_sel:BYTE_0 src1_sel:DWORD
	v_mov_b32_e32 v98, 0
	v_mov_b32_e32 v22, 0
	s_and_saveexec_b32 s12, s4
	s_cbranch_execz .LBB319_1235
; %bb.1228:                             ;   in Loop: Header=BB319_799 Depth=1
	v_cmp_ne_u16_sdwa s4, v12, v16 src0_sel:BYTE_0 src1_sel:DWORD
	v_mov_b32_e32 v22, 0x8000
	s_and_saveexec_b32 s13, s4
	s_cbranch_execz .LBB319_1234
; %bb.1229:                             ;   in Loop: Header=BB319_799 Depth=1
	v_and_b32_e32 v99, 0x7f, v12
	v_mov_b32_e32 v22, 0x7c01
	s_mov_b32 s15, exec_lo
	v_cmpx_ne_u32_e32 0x7f, v99
	s_cbranch_execz .LBB319_1233
; %bb.1230:                             ;   in Loop: Header=BB319_799 Depth=1
	v_and_b32_e32 v22, 7, v12
	v_lshrrev_b32_e32 v35, 3, v99
	s_mov_b32 s18, exec_lo
	v_cmpx_gt_u32_e32 8, v99
; %bb.1231:                             ;   in Loop: Header=BB319_799 Depth=1
	v_ffbh_u32_e32 v6, v22
	v_min_u32_e32 v6, 32, v6
	v_subrev_nc_u32_e32 v22, 28, v6
	v_sub_nc_u32_e32 v35, 29, v6
	v_lshlrev_b64 v[99:100], v22, v[0:1]
	v_and_b32_e32 v22, 7, v99
; %bb.1232:                             ;   in Loop: Header=BB319_799 Depth=1
	s_or_b32 exec_lo, exec_lo, s18
	v_lshlrev_b32_e32 v6, 8, v12
	v_lshl_add_u32 v35, v35, 10, 0x2000
	v_lshlrev_b32_e32 v22, 7, v22
	v_and_b32_e32 v6, 0x8000, v6
	v_and_b32_e32 v35, 0xfc00, v35
	v_or3_b32 v22, v6, v35, v22
.LBB319_1233:                           ;   in Loop: Header=BB319_799 Depth=1
	s_or_b32 exec_lo, exec_lo, s15
.LBB319_1234:                           ;   in Loop: Header=BB319_799 Depth=1
	s_or_b32 exec_lo, exec_lo, s13
.LBB319_1235:                           ;   in Loop: Header=BB319_799 Depth=1
	s_or_b32 exec_lo, exec_lo, s12
	v_lshrrev_b16 v0, 8, v0
	v_mov_b32_e32 v35, 0
	s_mov_b32 s12, exec_lo
	v_cmpx_ne_u16_e32 0, v0
	s_cbranch_execz .LBB319_1243
; %bb.1236:                             ;   in Loop: Header=BB319_799 Depth=1
	v_bfrev_b32_e32 v35, 1
	s_mov_b32 s13, exec_lo
	v_cmpx_ne_u16_e32 0x80, v0
	s_cbranch_execz .LBB319_1242
; %bb.1237:                             ;   in Loop: Header=BB319_799 Depth=1
	v_and_b32_sdwa v100, v0, v17 dst_sel:DWORD dst_unused:UNUSED_PAD src0_sel:WORD_0 src1_sel:DWORD
	v_mov_b32_e32 v35, 0x7c010000
	s_mov_b32 s15, exec_lo
	v_cmpx_ne_u32_e32 0x7f, v100
	s_cbranch_execz .LBB319_1241
; %bb.1238:                             ;   in Loop: Header=BB319_799 Depth=1
	v_and_b32_sdwa v35, v0, v37 dst_sel:DWORD dst_unused:UNUSED_PAD src0_sel:WORD_0 src1_sel:DWORD
	v_lshrrev_b32_e32 v99, 3, v100
	s_mov_b32 s18, exec_lo
	v_cmpx_gt_u32_e32 8, v100
; %bb.1239:                             ;   in Loop: Header=BB319_799 Depth=1
	v_ffbh_u32_e32 v6, v35
	v_min_u32_e32 v6, 32, v6
	v_subrev_nc_u32_e32 v35, 28, v6
	v_sub_nc_u32_e32 v99, 29, v6
	v_lshlrev_b64 v[100:101], v35, v[0:1]
	v_and_b32_e32 v35, 7, v100
; %bb.1240:                             ;   in Loop: Header=BB319_799 Depth=1
	s_or_b32 exec_lo, exec_lo, s18
	v_lshlrev_b32_sdwa v0, v50, v0 dst_sel:DWORD dst_unused:UNUSED_PAD src0_sel:DWORD src1_sel:WORD_0
	v_lshl_add_u32 v6, v99, 10, 0x2000
	v_and_or_b32 v0, 0x8000, v0, v6
	v_lshlrev_b32_e32 v6, 23, v35
	v_lshl_or_b32 v35, v0, 16, v6
.LBB319_1241:                           ;   in Loop: Header=BB319_799 Depth=1
	s_or_b32 exec_lo, exec_lo, s15
.LBB319_1242:                           ;   in Loop: Header=BB319_799 Depth=1
	s_or_b32 exec_lo, exec_lo, s13
.LBB319_1243:                           ;   in Loop: Header=BB319_799 Depth=1
	s_or_b32 exec_lo, exec_lo, s12
	v_lshrrev_b32_e32 v0, 16, v12
	v_cmp_ne_u16_sdwa s4, v0, v1 src0_sel:BYTE_0 src1_sel:DWORD
	s_and_saveexec_b32 s12, s4
	s_cbranch_execz .LBB319_1251
; %bb.1244:                             ;   in Loop: Header=BB319_799 Depth=1
	v_cmp_ne_u16_sdwa s4, v0, v16 src0_sel:BYTE_0 src1_sel:DWORD
	v_mov_b32_e32 v98, 0x8000
	s_and_saveexec_b32 s13, s4
	s_cbranch_execz .LBB319_1250
; %bb.1245:                             ;   in Loop: Header=BB319_799 Depth=1
	v_bfe_u32 v100, v12, 16, 7
	v_mov_b32_e32 v98, 0x7c01
	s_mov_b32 s15, exec_lo
	v_cmpx_ne_u32_e32 0x7f, v100
	s_cbranch_execz .LBB319_1249
; %bb.1246:                             ;   in Loop: Header=BB319_799 Depth=1
	v_and_b32_e32 v98, 7, v0
	v_lshrrev_b32_e32 v99, 3, v100
	s_mov_b32 s18, exec_lo
	v_cmpx_gt_u32_e32 8, v100
; %bb.1247:                             ;   in Loop: Header=BB319_799 Depth=1
	v_ffbh_u32_e32 v6, v98
	v_min_u32_e32 v6, 32, v6
	v_subrev_nc_u32_e32 v98, 28, v6
	v_lshlrev_b64 v[98:99], v98, v[0:1]
	v_sub_nc_u32_e32 v99, 29, v6
	v_and_b32_e32 v98, 7, v98
; %bb.1248:                             ;   in Loop: Header=BB319_799 Depth=1
	s_or_b32 exec_lo, exec_lo, s18
	v_lshlrev_b32_e32 v0, 8, v0
	v_lshl_add_u32 v6, v99, 10, 0x2000
	v_lshlrev_b32_e32 v98, 7, v98
	v_and_b32_e32 v0, 0x8000, v0
	v_and_b32_e32 v6, 0xfc00, v6
	v_or3_b32 v98, v0, v6, v98
.LBB319_1249:                           ;   in Loop: Header=BB319_799 Depth=1
	s_or_b32 exec_lo, exec_lo, s15
.LBB319_1250:                           ;   in Loop: Header=BB319_799 Depth=1
	s_or_b32 exec_lo, exec_lo, s13
.LBB319_1251:                           ;   in Loop: Header=BB319_799 Depth=1
	s_or_b32 exec_lo, exec_lo, s12
	v_cmp_lt_u64_e64 s4, s[8:9], v[11:12]
	v_mov_b32_e32 v11, 0
	s_and_saveexec_b32 s12, s4
	s_cbranch_execz .LBB319_1259
; %bb.1252:                             ;   in Loop: Header=BB319_799 Depth=1
	v_lshrrev_b32_e32 v0, 24, v12
	v_bfrev_b32_e32 v11, 1
	s_mov_b32 s13, exec_lo
	v_cmpx_ne_u32_e32 0x80, v0
	s_cbranch_execz .LBB319_1258
; %bb.1253:                             ;   in Loop: Header=BB319_799 Depth=1
	v_and_b32_e32 v99, 0x7f, v0
	v_mov_b32_e32 v11, 0x7c010000
	s_mov_b32 s15, exec_lo
	v_cmpx_ne_u32_e32 0x7f, v99
	s_cbranch_execz .LBB319_1257
; %bb.1254:                             ;   in Loop: Header=BB319_799 Depth=1
	v_and_b32_e32 v11, 7, v0
	v_lshrrev_b32_e32 v12, 3, v99
	s_mov_b32 s18, exec_lo
	v_cmpx_gt_u32_e32 8, v99
; %bb.1255:                             ;   in Loop: Header=BB319_799 Depth=1
	v_ffbh_u32_e32 v6, v11
	v_min_u32_e32 v6, 32, v6
	v_subrev_nc_u32_e32 v11, 28, v6
	v_lshlrev_b64 v[11:12], v11, v[0:1]
	v_sub_nc_u32_e32 v12, 29, v6
	v_and_b32_e32 v11, 7, v11
; %bb.1256:                             ;   in Loop: Header=BB319_799 Depth=1
	s_or_b32 exec_lo, exec_lo, s18
	v_lshlrev_b32_e32 v0, 8, v0
	v_lshl_add_u32 v6, v12, 10, 0x2000
	v_and_or_b32 v0, 0x8000, v0, v6
	v_lshlrev_b32_e32 v6, 23, v11
	v_lshl_or_b32 v11, v0, 16, v6
.LBB319_1257:                           ;   in Loop: Header=BB319_799 Depth=1
	s_or_b32 exec_lo, exec_lo, s15
.LBB319_1258:                           ;   in Loop: Header=BB319_799 Depth=1
	s_or_b32 exec_lo, exec_lo, s13
.LBB319_1259:                           ;   in Loop: Header=BB319_799 Depth=1
	s_or_b32 exec_lo, exec_lo, s12
	v_or_b32_e32 v0, v32, v34
	s_waitcnt vmcnt(0) lgkmcnt(0)
	v_fma_mixlo_f16 v6, v4, v32, 0 op_sel:[0,1,0] op_sel_hi:[0,1,0]
	v_or_b32_e32 v12, v5, v23
	v_or_b32_e32 v23, v35, v22
	v_or_b32_e32 v34, v11, v98
	v_fma_mixlo_f16 v5, v4, v5, 0 op_sel:[0,1,0] op_sel_hi:[0,1,0]
	v_fma_mixlo_f16 v32, v4, v0, 0 op_sel_hi:[0,1,0]
	v_lshlrev_b32_e32 v0, 16, v6
	v_fma_mixlo_f16 v6, v4, v12, 0 op_sel_hi:[0,1,0]
	v_fma_mixlo_f16 v12, v4, v35, 0 op_sel:[0,1,0] op_sel_hi:[0,1,0]
	v_fma_mixlo_f16 v23, v4, v23, 0 op_sel_hi:[0,1,0]
	v_fma_mixlo_f16 v35, v4, v11, 0 op_sel:[0,1,0] op_sel_hi:[0,1,0]
	v_fma_mixlo_f16 v34, v4, v34, 0 op_sel_hi:[0,1,0]
	v_lshlrev_b32_e32 v22, 16, v5
	v_and_b32_e32 v5, 0xffff, v32
	v_and_b32_e32 v99, 0xffff, v6
	v_lshlrev_b32_e32 v11, 16, v12
	v_and_b32_e32 v32, 0xffff, v23
	v_lshlrev_b32_e32 v4, 16, v35
	v_and_b32_e32 v12, 0xffff, v34
	v_or_b32_e32 v23, v0, v5
	v_or_b32_e32 v98, v22, v99
	;; [unrolled: 1-line block ×4, first 2 shown]
	s_and_saveexec_b32 s12, vcc_lo
	s_cbranch_execz .LBB319_1261
; %bb.1260:                             ;   in Loop: Header=BB319_799 Depth=1
	v_cmp_lt_i32_e64 s4, v51, v33
	v_cndmask_b32_e64 v6, 0, v99, s4
	v_cmp_lt_i32_e64 s4, v71, v33
	v_cndmask_b32_e64 v22, 0, v22, s4
	v_cmp_lt_i32_e64 s4, v70, v33
	v_or_b32_e32 v98, v6, v22
	v_cndmask_b32_e64 v5, 0, v5, s4
	v_cmp_lt_i32_e64 s4, v68, v33
	v_cndmask_b32_e64 v0, 0, v0, s4
	v_cmp_lt_i32_e64 s4, v65, v33
	v_or_b32_e32 v23, v5, v0
	;; [unrolled: 5-line block ×3, first 2 shown]
	v_cndmask_b32_e64 v12, 0, v12, s4
	v_cmp_lt_i32_e64 s4, v14, v33
	v_cndmask_b32_e64 v4, 0, v4, s4
	v_or_b32_e32 v34, v12, v4
.LBB319_1261:                           ;   in Loop: Header=BB319_799 Depth=1
	s_or_b32 exec_lo, exec_lo, s12
	;;#ASMSTART
	v_pk_mul_f16 v0, v67, v98;

	;;#ASMEND
	;;#ASMSTART
	v_pk_mul_f16 v4, v64, v23;

	;;#ASMEND
	;;#ASMSTART
	v_pk_mul_f16 v5, v54, v35;

	;;#ASMEND
	;;#ASMSTART
	v_pk_mul_f16 v6, v53, v34;

	;;#ASMEND
	;;#ASMSTART
	v_pk_add_f16 v0, v0, v4;

	;;#ASMEND
	;;#ASMSTART
	v_pk_add_f16 v0, v0, v5;

	;;#ASMEND
	;; [unrolled: 4-line block ×3, first 2 shown]
	v_and_b32_e32 v4, 0xffff, v0
	v_lshrrev_b32_e32 v0, 16, v0
	;;#ASMSTART
	v_cvt_f32_f16 v98, v4;
	;;#ASMEND
	;;#ASMSTART
	v_cvt_f32_f16 v99, v0;
	;;#ASMEND
	flat_load_dwordx2 v[11:12], v[9:10] offset:1792
	flat_load_dword v4, v[26:27]
	v_mov_b32_e32 v5, 0
	v_mov_b32_e32 v23, 0
	s_waitcnt vmcnt(1) lgkmcnt(1)
	v_cmp_ne_u16_sdwa s4, v11, v1 src0_sel:BYTE_0 src1_sel:DWORD
	s_and_saveexec_b32 s12, s4
	s_cbranch_execz .LBB319_1269
; %bb.1262:                             ;   in Loop: Header=BB319_799 Depth=1
	v_cmp_ne_u16_sdwa s4, v11, v16 src0_sel:BYTE_0 src1_sel:DWORD
	v_mov_b32_e32 v23, 0x8000
	s_and_saveexec_b32 s13, s4
	s_cbranch_execz .LBB319_1268
; %bb.1263:                             ;   in Loop: Header=BB319_799 Depth=1
	v_and_b32_e32 v32, 0x7f, v11
	v_mov_b32_e32 v23, 0x7c01
	s_mov_b32 s15, exec_lo
	v_cmpx_ne_u32_e32 0x7f, v32
	s_cbranch_execz .LBB319_1267
; %bb.1264:                             ;   in Loop: Header=BB319_799 Depth=1
	v_and_b32_e32 v0, 7, v11
	v_lshrrev_b32_e32 v22, 3, v32
	s_mov_b32 s18, exec_lo
	v_cmpx_gt_u32_e32 8, v32
; %bb.1265:                             ;   in Loop: Header=BB319_799 Depth=1
	v_ffbh_u32_e32 v0, v0
	v_min_u32_e32 v0, 32, v0
	v_subrev_nc_u32_e32 v6, 28, v0
	v_sub_nc_u32_e32 v22, 29, v0
	v_lshlrev_b64 v[34:35], v6, v[11:12]
	v_and_b32_e32 v0, 7, v34
; %bb.1266:                             ;   in Loop: Header=BB319_799 Depth=1
	s_or_b32 exec_lo, exec_lo, s18
	v_lshlrev_b32_e32 v6, 8, v11
	v_lshl_add_u32 v22, v22, 10, 0x2000
	v_lshlrev_b32_e32 v0, 7, v0
	v_and_b32_e32 v6, 0x8000, v6
	v_and_b32_e32 v22, 0xfc00, v22
	v_or3_b32 v23, v6, v22, v0
.LBB319_1267:                           ;   in Loop: Header=BB319_799 Depth=1
	s_or_b32 exec_lo, exec_lo, s15
.LBB319_1268:                           ;   in Loop: Header=BB319_799 Depth=1
	s_or_b32 exec_lo, exec_lo, s13
.LBB319_1269:                           ;   in Loop: Header=BB319_799 Depth=1
	s_or_b32 exec_lo, exec_lo, s12
	v_lshrrev_b16 v0, 8, v11
	s_mov_b32 s12, exec_lo
	v_cmpx_ne_u16_e32 0, v0
	s_cbranch_execz .LBB319_1277
; %bb.1270:                             ;   in Loop: Header=BB319_799 Depth=1
	v_bfrev_b32_e32 v5, 1
	s_mov_b32 s13, exec_lo
	v_cmpx_ne_u16_e32 0x80, v0
	s_cbranch_execz .LBB319_1276
; %bb.1271:                             ;   in Loop: Header=BB319_799 Depth=1
	v_and_b32_sdwa v32, v0, v17 dst_sel:DWORD dst_unused:UNUSED_PAD src0_sel:WORD_0 src1_sel:DWORD
	v_mov_b32_e32 v5, 0x7c010000
	s_mov_b32 s15, exec_lo
	v_cmpx_ne_u32_e32 0x7f, v32
	s_cbranch_execz .LBB319_1275
; %bb.1272:                             ;   in Loop: Header=BB319_799 Depth=1
	v_and_b32_sdwa v5, v0, v37 dst_sel:DWORD dst_unused:UNUSED_PAD src0_sel:WORD_0 src1_sel:DWORD
	v_lshrrev_b32_e32 v22, 3, v32
	s_mov_b32 s18, exec_lo
	v_cmpx_gt_u32_e32 8, v32
; %bb.1273:                             ;   in Loop: Header=BB319_799 Depth=1
	v_ffbh_u32_e32 v5, v5
	v_min_u32_e32 v22, 32, v5
	v_subrev_nc_u32_e32 v5, 28, v22
	v_sub_nc_u32_e32 v22, 29, v22
	v_lshlrev_b64 v[5:6], v5, v[0:1]
	v_and_b32_e32 v5, 7, v5
; %bb.1274:                             ;   in Loop: Header=BB319_799 Depth=1
	s_or_b32 exec_lo, exec_lo, s18
	v_lshlrev_b32_sdwa v0, v50, v0 dst_sel:DWORD dst_unused:UNUSED_PAD src0_sel:DWORD src1_sel:WORD_0
	v_lshl_add_u32 v6, v22, 10, 0x2000
	v_lshlrev_b32_e32 v5, 23, v5
	v_and_or_b32 v0, 0x8000, v0, v6
	v_lshl_or_b32 v5, v0, 16, v5
.LBB319_1275:                           ;   in Loop: Header=BB319_799 Depth=1
	s_or_b32 exec_lo, exec_lo, s15
.LBB319_1276:                           ;   in Loop: Header=BB319_799 Depth=1
	s_or_b32 exec_lo, exec_lo, s13
.LBB319_1277:                           ;   in Loop: Header=BB319_799 Depth=1
	s_or_b32 exec_lo, exec_lo, s12
	v_lshrrev_b32_e32 v0, 16, v11
	v_mov_b32_e32 v32, 0
	v_mov_b32_e32 v34, 0
	v_cmp_ne_u16_sdwa s4, v0, v1 src0_sel:BYTE_0 src1_sel:DWORD
	s_and_saveexec_b32 s12, s4
	s_cbranch_execz .LBB319_1285
; %bb.1278:                             ;   in Loop: Header=BB319_799 Depth=1
	v_cmp_ne_u16_sdwa s4, v0, v16 src0_sel:BYTE_0 src1_sel:DWORD
	v_mov_b32_e32 v34, 0x8000
	s_and_saveexec_b32 s13, s4
	s_cbranch_execz .LBB319_1284
; %bb.1279:                             ;   in Loop: Header=BB319_799 Depth=1
	v_bfe_u32 v35, v11, 16, 7
	v_mov_b32_e32 v34, 0x7c01
	s_mov_b32 s15, exec_lo
	v_cmpx_ne_u32_e32 0x7f, v35
	s_cbranch_execz .LBB319_1283
; %bb.1280:                             ;   in Loop: Header=BB319_799 Depth=1
	v_and_b32_e32 v22, 7, v0
	v_lshrrev_b32_e32 v34, 3, v35
	s_mov_b32 s18, exec_lo
	v_cmpx_gt_u32_e32 8, v35
; %bb.1281:                             ;   in Loop: Header=BB319_799 Depth=1
	v_ffbh_u32_e32 v6, v22
	v_min_u32_e32 v6, 32, v6
	v_subrev_nc_u32_e32 v22, 28, v6
	v_sub_nc_u32_e32 v34, 29, v6
	v_lshlrev_b64 v[100:101], v22, v[0:1]
	v_and_b32_e32 v22, 7, v100
; %bb.1282:                             ;   in Loop: Header=BB319_799 Depth=1
	s_or_b32 exec_lo, exec_lo, s18
	v_lshlrev_b32_e32 v0, 8, v0
	v_lshl_add_u32 v6, v34, 10, 0x2000
	v_lshlrev_b32_e32 v22, 7, v22
	v_and_b32_e32 v0, 0x8000, v0
	v_and_b32_e32 v6, 0xfc00, v6
	v_or3_b32 v34, v0, v6, v22
.LBB319_1283:                           ;   in Loop: Header=BB319_799 Depth=1
	s_or_b32 exec_lo, exec_lo, s15
.LBB319_1284:                           ;   in Loop: Header=BB319_799 Depth=1
	s_or_b32 exec_lo, exec_lo, s13
.LBB319_1285:                           ;   in Loop: Header=BB319_799 Depth=1
	s_or_b32 exec_lo, exec_lo, s12
	s_mov_b32 s12, exec_lo
	v_cmpx_lt_u32_e32 0xffffff, v11
	s_cbranch_execz .LBB319_1293
; %bb.1286:                             ;   in Loop: Header=BB319_799 Depth=1
	v_lshrrev_b32_e32 v0, 24, v11
	v_bfrev_b32_e32 v32, 1
	s_mov_b32 s13, exec_lo
	v_cmpx_ne_u32_e32 0x80, v0
	s_cbranch_execz .LBB319_1292
; %bb.1287:                             ;   in Loop: Header=BB319_799 Depth=1
	v_and_b32_e32 v35, 0x7f, v0
	v_mov_b32_e32 v32, 0x7c010000
	s_mov_b32 s15, exec_lo
	v_cmpx_ne_u32_e32 0x7f, v35
	s_cbranch_execz .LBB319_1291
; %bb.1288:                             ;   in Loop: Header=BB319_799 Depth=1
	v_and_b32_e32 v22, 7, v0
	v_lshrrev_b32_e32 v32, 3, v35
	s_mov_b32 s18, exec_lo
	v_cmpx_gt_u32_e32 8, v35
; %bb.1289:                             ;   in Loop: Header=BB319_799 Depth=1
	v_ffbh_u32_e32 v6, v22
	v_min_u32_e32 v6, 32, v6
	v_subrev_nc_u32_e32 v22, 28, v6
	v_sub_nc_u32_e32 v32, 29, v6
	v_lshlrev_b64 v[100:101], v22, v[0:1]
	v_and_b32_e32 v22, 7, v100
; %bb.1290:                             ;   in Loop: Header=BB319_799 Depth=1
	s_or_b32 exec_lo, exec_lo, s18
	v_lshlrev_b32_e32 v0, 8, v0
	v_lshl_add_u32 v6, v32, 10, 0x2000
	v_and_or_b32 v0, 0x8000, v0, v6
	v_lshlrev_b32_e32 v6, 23, v22
	v_lshl_or_b32 v32, v0, 16, v6
.LBB319_1291:                           ;   in Loop: Header=BB319_799 Depth=1
	s_or_b32 exec_lo, exec_lo, s15
.LBB319_1292:                           ;   in Loop: Header=BB319_799 Depth=1
	s_or_b32 exec_lo, exec_lo, s13
.LBB319_1293:                           ;   in Loop: Header=BB319_799 Depth=1
	s_or_b32 exec_lo, exec_lo, s12
	v_mov_b32_e32 v0, v12
	v_cmp_ne_u16_sdwa s4, v12, v1 src0_sel:BYTE_0 src1_sel:DWORD
	v_mov_b32_e32 v100, 0
	v_mov_b32_e32 v22, 0
	s_and_saveexec_b32 s12, s4
	s_cbranch_execz .LBB319_1301
; %bb.1294:                             ;   in Loop: Header=BB319_799 Depth=1
	v_cmp_ne_u16_sdwa s4, v12, v16 src0_sel:BYTE_0 src1_sel:DWORD
	v_mov_b32_e32 v22, 0x8000
	s_and_saveexec_b32 s13, s4
	s_cbranch_execz .LBB319_1300
; %bb.1295:                             ;   in Loop: Header=BB319_799 Depth=1
	v_and_b32_e32 v101, 0x7f, v12
	v_mov_b32_e32 v22, 0x7c01
	s_mov_b32 s15, exec_lo
	v_cmpx_ne_u32_e32 0x7f, v101
	s_cbranch_execz .LBB319_1299
; %bb.1296:                             ;   in Loop: Header=BB319_799 Depth=1
	v_and_b32_e32 v22, 7, v12
	v_lshrrev_b32_e32 v35, 3, v101
	s_mov_b32 s18, exec_lo
	v_cmpx_gt_u32_e32 8, v101
; %bb.1297:                             ;   in Loop: Header=BB319_799 Depth=1
	v_ffbh_u32_e32 v6, v22
	v_min_u32_e32 v6, 32, v6
	v_subrev_nc_u32_e32 v22, 28, v6
	v_sub_nc_u32_e32 v35, 29, v6
	v_lshlrev_b64 v[101:102], v22, v[0:1]
	v_and_b32_e32 v22, 7, v101
; %bb.1298:                             ;   in Loop: Header=BB319_799 Depth=1
	s_or_b32 exec_lo, exec_lo, s18
	v_lshlrev_b32_e32 v6, 8, v12
	v_lshl_add_u32 v35, v35, 10, 0x2000
	v_lshlrev_b32_e32 v22, 7, v22
	v_and_b32_e32 v6, 0x8000, v6
	v_and_b32_e32 v35, 0xfc00, v35
	v_or3_b32 v22, v6, v35, v22
.LBB319_1299:                           ;   in Loop: Header=BB319_799 Depth=1
	s_or_b32 exec_lo, exec_lo, s15
.LBB319_1300:                           ;   in Loop: Header=BB319_799 Depth=1
	s_or_b32 exec_lo, exec_lo, s13
.LBB319_1301:                           ;   in Loop: Header=BB319_799 Depth=1
	s_or_b32 exec_lo, exec_lo, s12
	v_lshrrev_b16 v0, 8, v0
	v_mov_b32_e32 v35, 0
	s_mov_b32 s12, exec_lo
	v_cmpx_ne_u16_e32 0, v0
	s_cbranch_execz .LBB319_1309
; %bb.1302:                             ;   in Loop: Header=BB319_799 Depth=1
	v_bfrev_b32_e32 v35, 1
	s_mov_b32 s13, exec_lo
	v_cmpx_ne_u16_e32 0x80, v0
	s_cbranch_execz .LBB319_1308
; %bb.1303:                             ;   in Loop: Header=BB319_799 Depth=1
	v_and_b32_sdwa v102, v0, v17 dst_sel:DWORD dst_unused:UNUSED_PAD src0_sel:WORD_0 src1_sel:DWORD
	v_mov_b32_e32 v35, 0x7c010000
	s_mov_b32 s15, exec_lo
	v_cmpx_ne_u32_e32 0x7f, v102
	s_cbranch_execz .LBB319_1307
; %bb.1304:                             ;   in Loop: Header=BB319_799 Depth=1
	v_and_b32_sdwa v35, v0, v37 dst_sel:DWORD dst_unused:UNUSED_PAD src0_sel:WORD_0 src1_sel:DWORD
	v_lshrrev_b32_e32 v101, 3, v102
	s_mov_b32 s18, exec_lo
	v_cmpx_gt_u32_e32 8, v102
; %bb.1305:                             ;   in Loop: Header=BB319_799 Depth=1
	v_ffbh_u32_e32 v6, v35
	v_min_u32_e32 v6, 32, v6
	v_subrev_nc_u32_e32 v35, 28, v6
	v_sub_nc_u32_e32 v101, 29, v6
	v_lshlrev_b64 v[102:103], v35, v[0:1]
	v_and_b32_e32 v35, 7, v102
; %bb.1306:                             ;   in Loop: Header=BB319_799 Depth=1
	s_or_b32 exec_lo, exec_lo, s18
	v_lshlrev_b32_sdwa v0, v50, v0 dst_sel:DWORD dst_unused:UNUSED_PAD src0_sel:DWORD src1_sel:WORD_0
	v_lshl_add_u32 v6, v101, 10, 0x2000
	v_and_or_b32 v0, 0x8000, v0, v6
	v_lshlrev_b32_e32 v6, 23, v35
	v_lshl_or_b32 v35, v0, 16, v6
.LBB319_1307:                           ;   in Loop: Header=BB319_799 Depth=1
	s_or_b32 exec_lo, exec_lo, s15
.LBB319_1308:                           ;   in Loop: Header=BB319_799 Depth=1
	s_or_b32 exec_lo, exec_lo, s13
.LBB319_1309:                           ;   in Loop: Header=BB319_799 Depth=1
	s_or_b32 exec_lo, exec_lo, s12
	v_lshrrev_b32_e32 v0, 16, v12
	v_cmp_ne_u16_sdwa s4, v0, v1 src0_sel:BYTE_0 src1_sel:DWORD
	s_and_saveexec_b32 s12, s4
	s_cbranch_execz .LBB319_1317
; %bb.1310:                             ;   in Loop: Header=BB319_799 Depth=1
	v_cmp_ne_u16_sdwa s4, v0, v16 src0_sel:BYTE_0 src1_sel:DWORD
	v_mov_b32_e32 v100, 0x8000
	s_and_saveexec_b32 s13, s4
	s_cbranch_execz .LBB319_1316
; %bb.1311:                             ;   in Loop: Header=BB319_799 Depth=1
	v_bfe_u32 v102, v12, 16, 7
	v_mov_b32_e32 v100, 0x7c01
	s_mov_b32 s15, exec_lo
	v_cmpx_ne_u32_e32 0x7f, v102
	s_cbranch_execz .LBB319_1315
; %bb.1312:                             ;   in Loop: Header=BB319_799 Depth=1
	v_and_b32_e32 v100, 7, v0
	v_lshrrev_b32_e32 v101, 3, v102
	s_mov_b32 s18, exec_lo
	v_cmpx_gt_u32_e32 8, v102
; %bb.1313:                             ;   in Loop: Header=BB319_799 Depth=1
	v_ffbh_u32_e32 v6, v100
	v_min_u32_e32 v6, 32, v6
	v_subrev_nc_u32_e32 v100, 28, v6
	v_lshlrev_b64 v[100:101], v100, v[0:1]
	v_sub_nc_u32_e32 v101, 29, v6
	v_and_b32_e32 v100, 7, v100
; %bb.1314:                             ;   in Loop: Header=BB319_799 Depth=1
	s_or_b32 exec_lo, exec_lo, s18
	v_lshlrev_b32_e32 v0, 8, v0
	v_lshl_add_u32 v6, v101, 10, 0x2000
	v_lshlrev_b32_e32 v100, 7, v100
	v_and_b32_e32 v0, 0x8000, v0
	v_and_b32_e32 v6, 0xfc00, v6
	v_or3_b32 v100, v0, v6, v100
.LBB319_1315:                           ;   in Loop: Header=BB319_799 Depth=1
	s_or_b32 exec_lo, exec_lo, s15
.LBB319_1316:                           ;   in Loop: Header=BB319_799 Depth=1
	s_or_b32 exec_lo, exec_lo, s13
.LBB319_1317:                           ;   in Loop: Header=BB319_799 Depth=1
	s_or_b32 exec_lo, exec_lo, s12
	v_cmp_lt_u64_e64 s4, s[8:9], v[11:12]
	v_mov_b32_e32 v11, 0
	s_and_saveexec_b32 s12, s4
	s_cbranch_execz .LBB319_1325
; %bb.1318:                             ;   in Loop: Header=BB319_799 Depth=1
	v_lshrrev_b32_e32 v0, 24, v12
	v_bfrev_b32_e32 v11, 1
	s_mov_b32 s13, exec_lo
	v_cmpx_ne_u32_e32 0x80, v0
	s_cbranch_execz .LBB319_1324
; %bb.1319:                             ;   in Loop: Header=BB319_799 Depth=1
	v_and_b32_e32 v101, 0x7f, v0
	v_mov_b32_e32 v11, 0x7c010000
	s_mov_b32 s15, exec_lo
	v_cmpx_ne_u32_e32 0x7f, v101
	s_cbranch_execz .LBB319_1323
; %bb.1320:                             ;   in Loop: Header=BB319_799 Depth=1
	v_and_b32_e32 v11, 7, v0
	v_lshrrev_b32_e32 v12, 3, v101
	s_mov_b32 s18, exec_lo
	v_cmpx_gt_u32_e32 8, v101
; %bb.1321:                             ;   in Loop: Header=BB319_799 Depth=1
	v_ffbh_u32_e32 v6, v11
	v_min_u32_e32 v6, 32, v6
	v_subrev_nc_u32_e32 v11, 28, v6
	v_lshlrev_b64 v[11:12], v11, v[0:1]
	v_sub_nc_u32_e32 v12, 29, v6
	v_and_b32_e32 v11, 7, v11
; %bb.1322:                             ;   in Loop: Header=BB319_799 Depth=1
	s_or_b32 exec_lo, exec_lo, s18
	v_lshlrev_b32_e32 v0, 8, v0
	v_lshl_add_u32 v6, v12, 10, 0x2000
	v_and_or_b32 v0, 0x8000, v0, v6
	v_lshlrev_b32_e32 v6, 23, v11
	v_lshl_or_b32 v11, v0, 16, v6
.LBB319_1323:                           ;   in Loop: Header=BB319_799 Depth=1
	s_or_b32 exec_lo, exec_lo, s15
.LBB319_1324:                           ;   in Loop: Header=BB319_799 Depth=1
	s_or_b32 exec_lo, exec_lo, s13
.LBB319_1325:                           ;   in Loop: Header=BB319_799 Depth=1
	s_or_b32 exec_lo, exec_lo, s12
	v_or_b32_e32 v0, v32, v34
	s_waitcnt vmcnt(0) lgkmcnt(0)
	v_fma_mixlo_f16 v6, v4, v32, 0 op_sel:[0,1,0] op_sel_hi:[0,1,0]
	v_or_b32_e32 v12, v5, v23
	v_or_b32_e32 v23, v35, v22
	;; [unrolled: 1-line block ×3, first 2 shown]
	v_fma_mixlo_f16 v5, v4, v5, 0 op_sel:[0,1,0] op_sel_hi:[0,1,0]
	v_fma_mixlo_f16 v32, v4, v0, 0 op_sel_hi:[0,1,0]
	v_lshlrev_b32_e32 v0, 16, v6
	v_fma_mixlo_f16 v6, v4, v12, 0 op_sel_hi:[0,1,0]
	v_fma_mixlo_f16 v12, v4, v35, 0 op_sel:[0,1,0] op_sel_hi:[0,1,0]
	v_fma_mixlo_f16 v23, v4, v23, 0 op_sel_hi:[0,1,0]
	v_fma_mixlo_f16 v35, v4, v11, 0 op_sel:[0,1,0] op_sel_hi:[0,1,0]
	v_fma_mixlo_f16 v34, v4, v34, 0 op_sel_hi:[0,1,0]
	v_lshlrev_b32_e32 v22, 16, v5
	v_and_b32_e32 v5, 0xffff, v32
	v_and_b32_e32 v101, 0xffff, v6
	v_lshlrev_b32_e32 v11, 16, v12
	v_and_b32_e32 v32, 0xffff, v23
	v_lshlrev_b32_e32 v4, 16, v35
	v_and_b32_e32 v12, 0xffff, v34
	v_or_b32_e32 v23, v0, v5
	v_or_b32_e32 v100, v22, v101
	;; [unrolled: 1-line block ×4, first 2 shown]
	s_and_saveexec_b32 s12, vcc_lo
	s_cbranch_execz .LBB319_1327
; %bb.1326:                             ;   in Loop: Header=BB319_799 Depth=1
	v_cmp_lt_i32_e64 s4, v51, v33
	v_cndmask_b32_e64 v6, 0, v101, s4
	v_cmp_lt_i32_e64 s4, v71, v33
	v_cndmask_b32_e64 v22, 0, v22, s4
	v_cmp_lt_i32_e64 s4, v70, v33
	v_or_b32_e32 v100, v6, v22
	v_cndmask_b32_e64 v5, 0, v5, s4
	v_cmp_lt_i32_e64 s4, v68, v33
	v_cndmask_b32_e64 v0, 0, v0, s4
	v_cmp_lt_i32_e64 s4, v65, v33
	v_or_b32_e32 v23, v5, v0
	;; [unrolled: 5-line block ×3, first 2 shown]
	v_cndmask_b32_e64 v12, 0, v12, s4
	v_cmp_lt_i32_e64 s4, v14, v33
	v_cndmask_b32_e64 v4, 0, v4, s4
	v_or_b32_e32 v34, v12, v4
.LBB319_1327:                           ;   in Loop: Header=BB319_799 Depth=1
	s_or_b32 exec_lo, exec_lo, s12
	v_add_co_u32 v9, s4, 0x800, v9
	v_add_co_ci_u32_e64 v10, null, 0, v10, s4
	;;#ASMSTART
	v_pk_mul_f16 v0, v67, v100;

	;;#ASMEND
	;;#ASMSTART
	v_pk_mul_f16 v4, v64, v23;

	;;#ASMEND
	;; [unrolled: 4-line block ×4, first 2 shown]
	;;#ASMSTART
	v_pk_add_f16 v0, v0, v4;

	;;#ASMEND
	;;#ASMSTART
	v_pk_add_f16 v0, v0, v5;

	;;#ASMEND
	;; [unrolled: 4-line block ×3, first 2 shown]
	v_lshrrev_b32_e32 v5, 16, v0
	v_and_b32_e32 v0, 0xffff, v0
	;;#ASMSTART
	v_cvt_f32_f16 v4, v0;
	;;#ASMEND
	;;#ASMSTART
	v_cvt_f32_f16 v5, v5;
	;;#ASMEND
	flat_load_dwordx2 v[11:12], v[9:10]
	flat_load_dword v23, v[26:27]
	v_mov_b32_e32 v34, 0
	v_mov_b32_e32 v100, 0
	s_waitcnt vmcnt(1) lgkmcnt(1)
	v_cmp_ne_u16_sdwa s4, v11, v1 src0_sel:BYTE_0 src1_sel:DWORD
	s_and_saveexec_b32 s12, s4
	s_cbranch_execz .LBB319_1335
; %bb.1328:                             ;   in Loop: Header=BB319_799 Depth=1
	v_cmp_ne_u16_sdwa s4, v11, v16 src0_sel:BYTE_0 src1_sel:DWORD
	v_mov_b32_e32 v100, 0x8000
	s_and_saveexec_b32 s13, s4
	s_cbranch_execz .LBB319_1334
; %bb.1329:                             ;   in Loop: Header=BB319_799 Depth=1
	v_and_b32_e32 v32, 0x7f, v11
	v_mov_b32_e32 v100, 0x7c01
	s_mov_b32 s15, exec_lo
	v_cmpx_ne_u32_e32 0x7f, v32
	s_cbranch_execz .LBB319_1333
; %bb.1330:                             ;   in Loop: Header=BB319_799 Depth=1
	v_and_b32_e32 v0, 7, v11
	v_lshrrev_b32_e32 v22, 3, v32
	s_mov_b32 s18, exec_lo
	v_cmpx_gt_u32_e32 8, v32
; %bb.1331:                             ;   in Loop: Header=BB319_799 Depth=1
	v_ffbh_u32_e32 v0, v0
	v_min_u32_e32 v0, 32, v0
	v_subrev_nc_u32_e32 v6, 28, v0
	v_sub_nc_u32_e32 v22, 29, v0
	v_lshlrev_b64 v[100:101], v6, v[11:12]
	v_and_b32_e32 v0, 7, v100
; %bb.1332:                             ;   in Loop: Header=BB319_799 Depth=1
	s_or_b32 exec_lo, exec_lo, s18
	v_lshlrev_b32_e32 v6, 8, v11
	v_lshl_add_u32 v22, v22, 10, 0x2000
	v_lshlrev_b32_e32 v0, 7, v0
	v_and_b32_e32 v6, 0x8000, v6
	v_and_b32_e32 v22, 0xfc00, v22
	v_or3_b32 v100, v6, v22, v0
.LBB319_1333:                           ;   in Loop: Header=BB319_799 Depth=1
	s_or_b32 exec_lo, exec_lo, s15
.LBB319_1334:                           ;   in Loop: Header=BB319_799 Depth=1
	s_or_b32 exec_lo, exec_lo, s13
.LBB319_1335:                           ;   in Loop: Header=BB319_799 Depth=1
	s_or_b32 exec_lo, exec_lo, s12
	v_lshrrev_b16 v0, 8, v11
	s_mov_b32 s12, exec_lo
	v_cmpx_ne_u16_e32 0, v0
	s_cbranch_execz .LBB319_1343
; %bb.1336:                             ;   in Loop: Header=BB319_799 Depth=1
	v_bfrev_b32_e32 v34, 1
	s_mov_b32 s13, exec_lo
	v_cmpx_ne_u16_e32 0x80, v0
	s_cbranch_execz .LBB319_1342
; %bb.1337:                             ;   in Loop: Header=BB319_799 Depth=1
	v_and_b32_sdwa v35, v0, v17 dst_sel:DWORD dst_unused:UNUSED_PAD src0_sel:WORD_0 src1_sel:DWORD
	v_mov_b32_e32 v34, 0x7c010000
	s_mov_b32 s15, exec_lo
	v_cmpx_ne_u32_e32 0x7f, v35
	s_cbranch_execz .LBB319_1341
; %bb.1338:                             ;   in Loop: Header=BB319_799 Depth=1
	v_and_b32_sdwa v22, v0, v37 dst_sel:DWORD dst_unused:UNUSED_PAD src0_sel:WORD_0 src1_sel:DWORD
	v_lshrrev_b32_e32 v32, 3, v35
	s_mov_b32 s18, exec_lo
	v_cmpx_gt_u32_e32 8, v35
; %bb.1339:                             ;   in Loop: Header=BB319_799 Depth=1
	v_ffbh_u32_e32 v6, v22
	v_min_u32_e32 v6, 32, v6
	v_subrev_nc_u32_e32 v22, 28, v6
	v_sub_nc_u32_e32 v32, 29, v6
	v_lshlrev_b64 v[34:35], v22, v[0:1]
	v_and_b32_e32 v22, 7, v34
; %bb.1340:                             ;   in Loop: Header=BB319_799 Depth=1
	s_or_b32 exec_lo, exec_lo, s18
	v_lshlrev_b32_sdwa v0, v50, v0 dst_sel:DWORD dst_unused:UNUSED_PAD src0_sel:DWORD src1_sel:WORD_0
	v_lshl_add_u32 v6, v32, 10, 0x2000
	v_and_or_b32 v0, 0x8000, v0, v6
	v_lshlrev_b32_e32 v6, 23, v22
	v_lshl_or_b32 v34, v0, 16, v6
.LBB319_1341:                           ;   in Loop: Header=BB319_799 Depth=1
	s_or_b32 exec_lo, exec_lo, s15
.LBB319_1342:                           ;   in Loop: Header=BB319_799 Depth=1
	s_or_b32 exec_lo, exec_lo, s13
.LBB319_1343:                           ;   in Loop: Header=BB319_799 Depth=1
	s_or_b32 exec_lo, exec_lo, s12
	v_lshrrev_b32_e32 v0, 16, v11
	v_mov_b32_e32 v32, 0
	v_mov_b32_e32 v101, 0
	v_cmp_ne_u16_sdwa s4, v0, v1 src0_sel:BYTE_0 src1_sel:DWORD
	s_and_saveexec_b32 s12, s4
	s_cbranch_execz .LBB319_1351
; %bb.1344:                             ;   in Loop: Header=BB319_799 Depth=1
	v_cmp_ne_u16_sdwa s4, v0, v16 src0_sel:BYTE_0 src1_sel:DWORD
	v_mov_b32_e32 v101, 0x8000
	s_and_saveexec_b32 s13, s4
	s_cbranch_execz .LBB319_1350
; %bb.1345:                             ;   in Loop: Header=BB319_799 Depth=1
	v_bfe_u32 v102, v11, 16, 7
	v_mov_b32_e32 v101, 0x7c01
	s_mov_b32 s15, exec_lo
	v_cmpx_ne_u32_e32 0x7f, v102
	s_cbranch_execz .LBB319_1349
; %bb.1346:                             ;   in Loop: Header=BB319_799 Depth=1
	v_and_b32_e32 v22, 7, v0
	v_lshrrev_b32_e32 v35, 3, v102
	s_mov_b32 s18, exec_lo
	v_cmpx_gt_u32_e32 8, v102
; %bb.1347:                             ;   in Loop: Header=BB319_799 Depth=1
	v_ffbh_u32_e32 v6, v22
	v_min_u32_e32 v6, 32, v6
	v_subrev_nc_u32_e32 v22, 28, v6
	v_sub_nc_u32_e32 v35, 29, v6
	v_lshlrev_b64 v[101:102], v22, v[0:1]
	v_and_b32_e32 v22, 7, v101
; %bb.1348:                             ;   in Loop: Header=BB319_799 Depth=1
	s_or_b32 exec_lo, exec_lo, s18
	v_lshlrev_b32_e32 v0, 8, v0
	v_lshl_add_u32 v6, v35, 10, 0x2000
	v_lshlrev_b32_e32 v22, 7, v22
	v_and_b32_e32 v0, 0x8000, v0
	v_and_b32_e32 v6, 0xfc00, v6
	v_or3_b32 v101, v0, v6, v22
.LBB319_1349:                           ;   in Loop: Header=BB319_799 Depth=1
	s_or_b32 exec_lo, exec_lo, s15
.LBB319_1350:                           ;   in Loop: Header=BB319_799 Depth=1
	s_or_b32 exec_lo, exec_lo, s13
.LBB319_1351:                           ;   in Loop: Header=BB319_799 Depth=1
	s_or_b32 exec_lo, exec_lo, s12
	s_mov_b32 s12, exec_lo
	v_cmpx_lt_u32_e32 0xffffff, v11
	s_cbranch_execz .LBB319_1359
; %bb.1352:                             ;   in Loop: Header=BB319_799 Depth=1
	v_lshrrev_b32_e32 v0, 24, v11
	v_bfrev_b32_e32 v32, 1
	s_mov_b32 s13, exec_lo
	v_cmpx_ne_u32_e32 0x80, v0
	s_cbranch_execz .LBB319_1358
; %bb.1353:                             ;   in Loop: Header=BB319_799 Depth=1
	v_and_b32_e32 v35, 0x7f, v0
	v_mov_b32_e32 v32, 0x7c010000
	s_mov_b32 s15, exec_lo
	v_cmpx_ne_u32_e32 0x7f, v35
	s_cbranch_execz .LBB319_1357
; %bb.1354:                             ;   in Loop: Header=BB319_799 Depth=1
	v_and_b32_e32 v22, 7, v0
	v_lshrrev_b32_e32 v32, 3, v35
	s_mov_b32 s18, exec_lo
	v_cmpx_gt_u32_e32 8, v35
; %bb.1355:                             ;   in Loop: Header=BB319_799 Depth=1
	v_ffbh_u32_e32 v6, v22
	v_min_u32_e32 v6, 32, v6
	v_subrev_nc_u32_e32 v22, 28, v6
	v_sub_nc_u32_e32 v32, 29, v6
	v_lshlrev_b64 v[102:103], v22, v[0:1]
	v_and_b32_e32 v22, 7, v102
; %bb.1356:                             ;   in Loop: Header=BB319_799 Depth=1
	s_or_b32 exec_lo, exec_lo, s18
	v_lshlrev_b32_e32 v0, 8, v0
	v_lshl_add_u32 v6, v32, 10, 0x2000
	v_and_or_b32 v0, 0x8000, v0, v6
	v_lshlrev_b32_e32 v6, 23, v22
	v_lshl_or_b32 v32, v0, 16, v6
.LBB319_1357:                           ;   in Loop: Header=BB319_799 Depth=1
	s_or_b32 exec_lo, exec_lo, s15
.LBB319_1358:                           ;   in Loop: Header=BB319_799 Depth=1
	s_or_b32 exec_lo, exec_lo, s13
.LBB319_1359:                           ;   in Loop: Header=BB319_799 Depth=1
	s_or_b32 exec_lo, exec_lo, s12
	v_mov_b32_e32 v0, v12
	v_cmp_ne_u16_sdwa s4, v12, v1 src0_sel:BYTE_0 src1_sel:DWORD
	v_mov_b32_e32 v102, 0
	v_mov_b32_e32 v22, 0
	s_and_saveexec_b32 s12, s4
	s_cbranch_execz .LBB319_1367
; %bb.1360:                             ;   in Loop: Header=BB319_799 Depth=1
	v_cmp_ne_u16_sdwa s4, v12, v16 src0_sel:BYTE_0 src1_sel:DWORD
	v_mov_b32_e32 v22, 0x8000
	s_and_saveexec_b32 s13, s4
	s_cbranch_execz .LBB319_1366
; %bb.1361:                             ;   in Loop: Header=BB319_799 Depth=1
	v_and_b32_e32 v103, 0x7f, v12
	v_mov_b32_e32 v22, 0x7c01
	s_mov_b32 s15, exec_lo
	v_cmpx_ne_u32_e32 0x7f, v103
	s_cbranch_execz .LBB319_1365
; %bb.1362:                             ;   in Loop: Header=BB319_799 Depth=1
	v_and_b32_e32 v22, 7, v12
	v_lshrrev_b32_e32 v35, 3, v103
	s_mov_b32 s18, exec_lo
	v_cmpx_gt_u32_e32 8, v103
; %bb.1363:                             ;   in Loop: Header=BB319_799 Depth=1
	v_ffbh_u32_e32 v6, v22
	v_min_u32_e32 v6, 32, v6
	v_subrev_nc_u32_e32 v22, 28, v6
	v_sub_nc_u32_e32 v35, 29, v6
	v_lshlrev_b64 v[112:113], v22, v[0:1]
	v_and_b32_e32 v22, 7, v112
; %bb.1364:                             ;   in Loop: Header=BB319_799 Depth=1
	s_or_b32 exec_lo, exec_lo, s18
	v_lshlrev_b32_e32 v6, 8, v12
	v_lshl_add_u32 v35, v35, 10, 0x2000
	v_lshlrev_b32_e32 v22, 7, v22
	v_and_b32_e32 v6, 0x8000, v6
	v_and_b32_e32 v35, 0xfc00, v35
	v_or3_b32 v22, v6, v35, v22
.LBB319_1365:                           ;   in Loop: Header=BB319_799 Depth=1
	s_or_b32 exec_lo, exec_lo, s15
.LBB319_1366:                           ;   in Loop: Header=BB319_799 Depth=1
	s_or_b32 exec_lo, exec_lo, s13
.LBB319_1367:                           ;   in Loop: Header=BB319_799 Depth=1
	s_or_b32 exec_lo, exec_lo, s12
	v_lshrrev_b16 v0, 8, v0
	v_mov_b32_e32 v35, 0
	s_mov_b32 s12, exec_lo
	v_cmpx_ne_u16_e32 0, v0
	s_cbranch_execz .LBB319_1375
; %bb.1368:                             ;   in Loop: Header=BB319_799 Depth=1
	v_bfrev_b32_e32 v35, 1
	s_mov_b32 s13, exec_lo
	v_cmpx_ne_u16_e32 0x80, v0
	s_cbranch_execz .LBB319_1374
; %bb.1369:                             ;   in Loop: Header=BB319_799 Depth=1
	v_and_b32_sdwa v112, v0, v17 dst_sel:DWORD dst_unused:UNUSED_PAD src0_sel:WORD_0 src1_sel:DWORD
	v_mov_b32_e32 v35, 0x7c010000
	s_mov_b32 s15, exec_lo
	v_cmpx_ne_u32_e32 0x7f, v112
	s_cbranch_execz .LBB319_1373
; %bb.1370:                             ;   in Loop: Header=BB319_799 Depth=1
	v_and_b32_sdwa v35, v0, v37 dst_sel:DWORD dst_unused:UNUSED_PAD src0_sel:WORD_0 src1_sel:DWORD
	v_lshrrev_b32_e32 v103, 3, v112
	s_mov_b32 s18, exec_lo
	v_cmpx_gt_u32_e32 8, v112
; %bb.1371:                             ;   in Loop: Header=BB319_799 Depth=1
	v_ffbh_u32_e32 v6, v35
	v_min_u32_e32 v6, 32, v6
	v_subrev_nc_u32_e32 v35, 28, v6
	v_sub_nc_u32_e32 v103, 29, v6
	v_lshlrev_b64 v[112:113], v35, v[0:1]
	v_and_b32_e32 v35, 7, v112
; %bb.1372:                             ;   in Loop: Header=BB319_799 Depth=1
	s_or_b32 exec_lo, exec_lo, s18
	v_lshlrev_b32_sdwa v0, v50, v0 dst_sel:DWORD dst_unused:UNUSED_PAD src0_sel:DWORD src1_sel:WORD_0
	v_lshl_add_u32 v6, v103, 10, 0x2000
	v_and_or_b32 v0, 0x8000, v0, v6
	v_lshlrev_b32_e32 v6, 23, v35
	v_lshl_or_b32 v35, v0, 16, v6
.LBB319_1373:                           ;   in Loop: Header=BB319_799 Depth=1
	s_or_b32 exec_lo, exec_lo, s15
.LBB319_1374:                           ;   in Loop: Header=BB319_799 Depth=1
	s_or_b32 exec_lo, exec_lo, s13
.LBB319_1375:                           ;   in Loop: Header=BB319_799 Depth=1
	s_or_b32 exec_lo, exec_lo, s12
	v_lshrrev_b32_e32 v0, 16, v12
	v_cmp_ne_u16_sdwa s4, v0, v1 src0_sel:BYTE_0 src1_sel:DWORD
	s_and_saveexec_b32 s12, s4
	s_cbranch_execz .LBB319_1383
; %bb.1376:                             ;   in Loop: Header=BB319_799 Depth=1
	v_cmp_ne_u16_sdwa s4, v0, v16 src0_sel:BYTE_0 src1_sel:DWORD
	v_mov_b32_e32 v102, 0x8000
	s_and_saveexec_b32 s13, s4
	s_cbranch_execz .LBB319_1382
; %bb.1377:                             ;   in Loop: Header=BB319_799 Depth=1
	v_bfe_u32 v112, v12, 16, 7
	v_mov_b32_e32 v102, 0x7c01
	s_mov_b32 s15, exec_lo
	v_cmpx_ne_u32_e32 0x7f, v112
	s_cbranch_execz .LBB319_1381
; %bb.1378:                             ;   in Loop: Header=BB319_799 Depth=1
	v_and_b32_e32 v102, 7, v0
	v_lshrrev_b32_e32 v103, 3, v112
	s_mov_b32 s18, exec_lo
	v_cmpx_gt_u32_e32 8, v112
; %bb.1379:                             ;   in Loop: Header=BB319_799 Depth=1
	v_ffbh_u32_e32 v6, v102
	v_min_u32_e32 v6, 32, v6
	v_subrev_nc_u32_e32 v102, 28, v6
	v_lshlrev_b64 v[102:103], v102, v[0:1]
	v_sub_nc_u32_e32 v103, 29, v6
	v_and_b32_e32 v102, 7, v102
; %bb.1380:                             ;   in Loop: Header=BB319_799 Depth=1
	s_or_b32 exec_lo, exec_lo, s18
	v_lshlrev_b32_e32 v0, 8, v0
	v_lshl_add_u32 v6, v103, 10, 0x2000
	v_lshlrev_b32_e32 v102, 7, v102
	v_and_b32_e32 v0, 0x8000, v0
	v_and_b32_e32 v6, 0xfc00, v6
	v_or3_b32 v102, v0, v6, v102
.LBB319_1381:                           ;   in Loop: Header=BB319_799 Depth=1
	s_or_b32 exec_lo, exec_lo, s15
.LBB319_1382:                           ;   in Loop: Header=BB319_799 Depth=1
	s_or_b32 exec_lo, exec_lo, s13
.LBB319_1383:                           ;   in Loop: Header=BB319_799 Depth=1
	s_or_b32 exec_lo, exec_lo, s12
	v_cmp_lt_u64_e64 s4, s[8:9], v[11:12]
	v_mov_b32_e32 v11, 0
	s_and_saveexec_b32 s12, s4
	s_cbranch_execz .LBB319_1391
; %bb.1384:                             ;   in Loop: Header=BB319_799 Depth=1
	v_lshrrev_b32_e32 v0, 24, v12
	v_bfrev_b32_e32 v11, 1
	s_mov_b32 s13, exec_lo
	v_cmpx_ne_u32_e32 0x80, v0
	s_cbranch_execz .LBB319_1390
; %bb.1385:                             ;   in Loop: Header=BB319_799 Depth=1
	v_and_b32_e32 v103, 0x7f, v0
	v_mov_b32_e32 v11, 0x7c010000
	s_mov_b32 s15, exec_lo
	v_cmpx_ne_u32_e32 0x7f, v103
	s_cbranch_execz .LBB319_1389
; %bb.1386:                             ;   in Loop: Header=BB319_799 Depth=1
	v_and_b32_e32 v11, 7, v0
	v_lshrrev_b32_e32 v12, 3, v103
	s_mov_b32 s18, exec_lo
	v_cmpx_gt_u32_e32 8, v103
; %bb.1387:                             ;   in Loop: Header=BB319_799 Depth=1
	v_ffbh_u32_e32 v6, v11
	v_min_u32_e32 v6, 32, v6
	v_subrev_nc_u32_e32 v11, 28, v6
	v_lshlrev_b64 v[11:12], v11, v[0:1]
	v_sub_nc_u32_e32 v12, 29, v6
	v_and_b32_e32 v11, 7, v11
; %bb.1388:                             ;   in Loop: Header=BB319_799 Depth=1
	s_or_b32 exec_lo, exec_lo, s18
	v_lshlrev_b32_e32 v0, 8, v0
	v_lshl_add_u32 v6, v12, 10, 0x2000
	v_and_or_b32 v0, 0x8000, v0, v6
	v_lshlrev_b32_e32 v6, 23, v11
	v_lshl_or_b32 v11, v0, 16, v6
.LBB319_1389:                           ;   in Loop: Header=BB319_799 Depth=1
	s_or_b32 exec_lo, exec_lo, s15
.LBB319_1390:                           ;   in Loop: Header=BB319_799 Depth=1
	s_or_b32 exec_lo, exec_lo, s13
.LBB319_1391:                           ;   in Loop: Header=BB319_799 Depth=1
	s_or_b32 exec_lo, exec_lo, s12
	v_or_b32_e32 v0, v32, v101
	s_waitcnt vmcnt(0) lgkmcnt(0)
	v_fma_mixlo_f16 v6, v23, v32, 0 op_sel:[0,1,0] op_sel_hi:[0,1,0]
	v_or_b32_e32 v12, v34, v100
	v_fma_mixlo_f16 v32, v23, v34, 0 op_sel:[0,1,0] op_sel_hi:[0,1,0]
	v_or_b32_e32 v22, v35, v22
	v_fma_mixlo_f16 v34, v23, v0, 0 op_sel_hi:[0,1,0]
	v_or_b32_e32 v100, v11, v102
	v_lshlrev_b32_e32 v0, 16, v6
	v_fma_mixlo_f16 v6, v23, v12, 0 op_sel_hi:[0,1,0]
	v_fma_mixlo_f16 v11, v23, v11, 0 op_sel:[0,1,0] op_sel_hi:[0,1,0]
	v_and_b32_e32 v12, 0xffff, v34
	v_fma_mixlo_f16 v34, v23, v35, 0 op_sel:[0,1,0] op_sel_hi:[0,1,0]
	v_fma_mixlo_f16 v35, v23, v22, 0 op_sel_hi:[0,1,0]
	v_fma_mixlo_f16 v23, v23, v100, 0 op_sel_hi:[0,1,0]
	v_lshlrev_b32_e32 v32, 16, v32
	v_and_b32_e32 v103, 0xffff, v6
	v_lshlrev_b32_e32 v22, 16, v34
	v_and_b32_e32 v35, 0xffff, v35
	;; [unrolled: 2-line block ×3, first 2 shown]
	v_or_b32_e32 v34, v0, v12
	v_or_b32_e32 v102, v32, v103
	;; [unrolled: 1-line block ×4, first 2 shown]
	s_and_saveexec_b32 s12, vcc_lo
	s_cbranch_execz .LBB319_1393
; %bb.1392:                             ;   in Loop: Header=BB319_799 Depth=1
	v_cmp_lt_i32_e64 s4, v51, v33
	v_cndmask_b32_e64 v6, 0, v103, s4
	v_cmp_lt_i32_e64 s4, v71, v33
	v_cndmask_b32_e64 v32, 0, v32, s4
	v_cmp_lt_i32_e64 s4, v70, v33
	v_or_b32_e32 v102, v6, v32
	v_cndmask_b32_e64 v12, 0, v12, s4
	v_cmp_lt_i32_e64 s4, v68, v33
	v_cndmask_b32_e64 v0, 0, v0, s4
	v_cmp_lt_i32_e64 s4, v65, v33
	v_or_b32_e32 v34, v12, v0
	;; [unrolled: 5-line block ×3, first 2 shown]
	v_cndmask_b32_e64 v23, 0, v23, s4
	v_cmp_lt_i32_e64 s4, v14, v33
	v_cndmask_b32_e64 v11, 0, v11, s4
	v_or_b32_e32 v100, v23, v11
.LBB319_1393:                           ;   in Loop: Header=BB319_799 Depth=1
	s_or_b32 exec_lo, exec_lo, s12
	;;#ASMSTART
	v_pk_mul_f16 v0, v67, v102;

	;;#ASMEND
	;;#ASMSTART
	v_pk_mul_f16 v6, v64, v34;

	;;#ASMEND
	;; [unrolled: 4-line block ×4, first 2 shown]
	;;#ASMSTART
	v_pk_add_f16 v0, v0, v6;

	;;#ASMEND
	;;#ASMSTART
	v_pk_add_f16 v0, v0, v11;

	;;#ASMEND
	;; [unrolled: 4-line block ×3, first 2 shown]
	v_and_b32_e32 v6, 0xffff, v0
	v_lshrrev_b32_e32 v0, 16, v0
	;;#ASMSTART
	v_cvt_f32_f16 v23, v6;
	;;#ASMEND
	;;#ASMSTART
	v_cvt_f32_f16 v34, v0;
	;;#ASMEND
	flat_load_dwordx2 v[11:12], v[9:10] offset:256
	flat_load_dword v100, v[26:27]
	v_mov_b32_e32 v101, 0
	v_mov_b32_e32 v102, 0
	s_waitcnt vmcnt(1) lgkmcnt(1)
	v_cmp_ne_u16_sdwa s4, v11, v1 src0_sel:BYTE_0 src1_sel:DWORD
	s_and_saveexec_b32 s12, s4
	s_cbranch_execz .LBB319_1401
; %bb.1394:                             ;   in Loop: Header=BB319_799 Depth=1
	v_cmp_ne_u16_sdwa s4, v11, v16 src0_sel:BYTE_0 src1_sel:DWORD
	v_mov_b32_e32 v102, 0x8000
	s_and_saveexec_b32 s13, s4
	s_cbranch_execz .LBB319_1400
; %bb.1395:                             ;   in Loop: Header=BB319_799 Depth=1
	v_and_b32_e32 v32, 0x7f, v11
	v_mov_b32_e32 v102, 0x7c01
	s_mov_b32 s15, exec_lo
	v_cmpx_ne_u32_e32 0x7f, v32
	s_cbranch_execz .LBB319_1399
; %bb.1396:                             ;   in Loop: Header=BB319_799 Depth=1
	v_and_b32_e32 v0, 7, v11
	v_lshrrev_b32_e32 v22, 3, v32
	s_mov_b32 s18, exec_lo
	v_cmpx_gt_u32_e32 8, v32
; %bb.1397:                             ;   in Loop: Header=BB319_799 Depth=1
	v_ffbh_u32_e32 v0, v0
	v_min_u32_e32 v0, 32, v0
	v_subrev_nc_u32_e32 v6, 28, v0
	v_sub_nc_u32_e32 v22, 29, v0
	v_lshlrev_b64 v[102:103], v6, v[11:12]
	v_and_b32_e32 v0, 7, v102
; %bb.1398:                             ;   in Loop: Header=BB319_799 Depth=1
	s_or_b32 exec_lo, exec_lo, s18
	v_lshlrev_b32_e32 v6, 8, v11
	v_lshl_add_u32 v22, v22, 10, 0x2000
	v_lshlrev_b32_e32 v0, 7, v0
	v_and_b32_e32 v6, 0x8000, v6
	v_and_b32_e32 v22, 0xfc00, v22
	v_or3_b32 v102, v6, v22, v0
.LBB319_1399:                           ;   in Loop: Header=BB319_799 Depth=1
	s_or_b32 exec_lo, exec_lo, s15
.LBB319_1400:                           ;   in Loop: Header=BB319_799 Depth=1
	s_or_b32 exec_lo, exec_lo, s13
.LBB319_1401:                           ;   in Loop: Header=BB319_799 Depth=1
	s_or_b32 exec_lo, exec_lo, s12
	v_lshrrev_b16 v0, 8, v11
	s_mov_b32 s12, exec_lo
	v_cmpx_ne_u16_e32 0, v0
	s_cbranch_execz .LBB319_1409
; %bb.1402:                             ;   in Loop: Header=BB319_799 Depth=1
	v_bfrev_b32_e32 v101, 1
	s_mov_b32 s13, exec_lo
	v_cmpx_ne_u16_e32 0x80, v0
	s_cbranch_execz .LBB319_1408
; %bb.1403:                             ;   in Loop: Header=BB319_799 Depth=1
	v_and_b32_sdwa v35, v0, v17 dst_sel:DWORD dst_unused:UNUSED_PAD src0_sel:WORD_0 src1_sel:DWORD
	v_mov_b32_e32 v101, 0x7c010000
	s_mov_b32 s15, exec_lo
	v_cmpx_ne_u32_e32 0x7f, v35
	s_cbranch_execz .LBB319_1407
; %bb.1404:                             ;   in Loop: Header=BB319_799 Depth=1
	v_and_b32_sdwa v22, v0, v37 dst_sel:DWORD dst_unused:UNUSED_PAD src0_sel:WORD_0 src1_sel:DWORD
	v_lshrrev_b32_e32 v32, 3, v35
	s_mov_b32 s18, exec_lo
	v_cmpx_gt_u32_e32 8, v35
; %bb.1405:                             ;   in Loop: Header=BB319_799 Depth=1
	v_ffbh_u32_e32 v6, v22
	v_min_u32_e32 v6, 32, v6
	v_subrev_nc_u32_e32 v22, 28, v6
	v_sub_nc_u32_e32 v32, 29, v6
	v_lshlrev_b64 v[112:113], v22, v[0:1]
	v_and_b32_e32 v22, 7, v112
; %bb.1406:                             ;   in Loop: Header=BB319_799 Depth=1
	s_or_b32 exec_lo, exec_lo, s18
	v_lshlrev_b32_sdwa v0, v50, v0 dst_sel:DWORD dst_unused:UNUSED_PAD src0_sel:DWORD src1_sel:WORD_0
	v_lshl_add_u32 v6, v32, 10, 0x2000
	v_and_or_b32 v0, 0x8000, v0, v6
	v_lshlrev_b32_e32 v6, 23, v22
	v_lshl_or_b32 v101, v0, 16, v6
.LBB319_1407:                           ;   in Loop: Header=BB319_799 Depth=1
	s_or_b32 exec_lo, exec_lo, s15
.LBB319_1408:                           ;   in Loop: Header=BB319_799 Depth=1
	s_or_b32 exec_lo, exec_lo, s13
.LBB319_1409:                           ;   in Loop: Header=BB319_799 Depth=1
	s_or_b32 exec_lo, exec_lo, s12
	v_lshrrev_b32_e32 v0, 16, v11
	v_mov_b32_e32 v32, 0
	v_mov_b32_e32 v103, 0
	v_cmp_ne_u16_sdwa s4, v0, v1 src0_sel:BYTE_0 src1_sel:DWORD
	s_and_saveexec_b32 s12, s4
	s_cbranch_execz .LBB319_1417
; %bb.1410:                             ;   in Loop: Header=BB319_799 Depth=1
	v_cmp_ne_u16_sdwa s4, v0, v16 src0_sel:BYTE_0 src1_sel:DWORD
	v_mov_b32_e32 v103, 0x8000
	s_and_saveexec_b32 s13, s4
	s_cbranch_execz .LBB319_1416
; %bb.1411:                             ;   in Loop: Header=BB319_799 Depth=1
	v_bfe_u32 v112, v11, 16, 7
	v_mov_b32_e32 v103, 0x7c01
	s_mov_b32 s15, exec_lo
	v_cmpx_ne_u32_e32 0x7f, v112
	s_cbranch_execz .LBB319_1415
; %bb.1412:                             ;   in Loop: Header=BB319_799 Depth=1
	v_and_b32_e32 v22, 7, v0
	v_lshrrev_b32_e32 v35, 3, v112
	s_mov_b32 s18, exec_lo
	v_cmpx_gt_u32_e32 8, v112
; %bb.1413:                             ;   in Loop: Header=BB319_799 Depth=1
	v_ffbh_u32_e32 v6, v22
	v_min_u32_e32 v6, 32, v6
	v_subrev_nc_u32_e32 v22, 28, v6
	v_sub_nc_u32_e32 v35, 29, v6
	v_lshlrev_b64 v[112:113], v22, v[0:1]
	v_and_b32_e32 v22, 7, v112
; %bb.1414:                             ;   in Loop: Header=BB319_799 Depth=1
	s_or_b32 exec_lo, exec_lo, s18
	v_lshlrev_b32_e32 v0, 8, v0
	v_lshl_add_u32 v6, v35, 10, 0x2000
	v_lshlrev_b32_e32 v22, 7, v22
	v_and_b32_e32 v0, 0x8000, v0
	v_and_b32_e32 v6, 0xfc00, v6
	v_or3_b32 v103, v0, v6, v22
.LBB319_1415:                           ;   in Loop: Header=BB319_799 Depth=1
	s_or_b32 exec_lo, exec_lo, s15
.LBB319_1416:                           ;   in Loop: Header=BB319_799 Depth=1
	s_or_b32 exec_lo, exec_lo, s13
.LBB319_1417:                           ;   in Loop: Header=BB319_799 Depth=1
	s_or_b32 exec_lo, exec_lo, s12
	s_mov_b32 s12, exec_lo
	v_cmpx_lt_u32_e32 0xffffff, v11
	s_cbranch_execz .LBB319_1425
; %bb.1418:                             ;   in Loop: Header=BB319_799 Depth=1
	v_lshrrev_b32_e32 v0, 24, v11
	v_bfrev_b32_e32 v32, 1
	s_mov_b32 s13, exec_lo
	v_cmpx_ne_u32_e32 0x80, v0
	s_cbranch_execz .LBB319_1424
; %bb.1419:                             ;   in Loop: Header=BB319_799 Depth=1
	v_and_b32_e32 v35, 0x7f, v0
	v_mov_b32_e32 v32, 0x7c010000
	s_mov_b32 s15, exec_lo
	v_cmpx_ne_u32_e32 0x7f, v35
	s_cbranch_execz .LBB319_1423
; %bb.1420:                             ;   in Loop: Header=BB319_799 Depth=1
	v_and_b32_e32 v22, 7, v0
	v_lshrrev_b32_e32 v32, 3, v35
	s_mov_b32 s18, exec_lo
	v_cmpx_gt_u32_e32 8, v35
; %bb.1421:                             ;   in Loop: Header=BB319_799 Depth=1
	v_ffbh_u32_e32 v6, v22
	v_min_u32_e32 v6, 32, v6
	v_subrev_nc_u32_e32 v22, 28, v6
	v_sub_nc_u32_e32 v32, 29, v6
	v_lshlrev_b64 v[112:113], v22, v[0:1]
	v_and_b32_e32 v22, 7, v112
; %bb.1422:                             ;   in Loop: Header=BB319_799 Depth=1
	s_or_b32 exec_lo, exec_lo, s18
	v_lshlrev_b32_e32 v0, 8, v0
	v_lshl_add_u32 v6, v32, 10, 0x2000
	v_and_or_b32 v0, 0x8000, v0, v6
	v_lshlrev_b32_e32 v6, 23, v22
	v_lshl_or_b32 v32, v0, 16, v6
.LBB319_1423:                           ;   in Loop: Header=BB319_799 Depth=1
	s_or_b32 exec_lo, exec_lo, s15
.LBB319_1424:                           ;   in Loop: Header=BB319_799 Depth=1
	s_or_b32 exec_lo, exec_lo, s13
.LBB319_1425:                           ;   in Loop: Header=BB319_799 Depth=1
	s_or_b32 exec_lo, exec_lo, s12
	v_mov_b32_e32 v0, v12
	v_cmp_ne_u16_sdwa s4, v12, v1 src0_sel:BYTE_0 src1_sel:DWORD
	v_mov_b32_e32 v112, 0
	v_mov_b32_e32 v22, 0
	s_and_saveexec_b32 s12, s4
	s_cbranch_execz .LBB319_1433
; %bb.1426:                             ;   in Loop: Header=BB319_799 Depth=1
	v_cmp_ne_u16_sdwa s4, v12, v16 src0_sel:BYTE_0 src1_sel:DWORD
	v_mov_b32_e32 v22, 0x8000
	s_and_saveexec_b32 s13, s4
	s_cbranch_execz .LBB319_1432
; %bb.1427:                             ;   in Loop: Header=BB319_799 Depth=1
	v_and_b32_e32 v113, 0x7f, v12
	v_mov_b32_e32 v22, 0x7c01
	s_mov_b32 s15, exec_lo
	v_cmpx_ne_u32_e32 0x7f, v113
	s_cbranch_execz .LBB319_1431
; %bb.1428:                             ;   in Loop: Header=BB319_799 Depth=1
	v_and_b32_e32 v22, 7, v12
	v_lshrrev_b32_e32 v35, 3, v113
	s_mov_b32 s18, exec_lo
	v_cmpx_gt_u32_e32 8, v113
; %bb.1429:                             ;   in Loop: Header=BB319_799 Depth=1
	v_ffbh_u32_e32 v6, v22
	v_min_u32_e32 v6, 32, v6
	v_subrev_nc_u32_e32 v22, 28, v6
	v_sub_nc_u32_e32 v35, 29, v6
	v_lshlrev_b64 v[113:114], v22, v[0:1]
	v_and_b32_e32 v22, 7, v113
; %bb.1430:                             ;   in Loop: Header=BB319_799 Depth=1
	s_or_b32 exec_lo, exec_lo, s18
	v_lshlrev_b32_e32 v6, 8, v12
	v_lshl_add_u32 v35, v35, 10, 0x2000
	v_lshlrev_b32_e32 v22, 7, v22
	v_and_b32_e32 v6, 0x8000, v6
	v_and_b32_e32 v35, 0xfc00, v35
	v_or3_b32 v22, v6, v35, v22
.LBB319_1431:                           ;   in Loop: Header=BB319_799 Depth=1
	s_or_b32 exec_lo, exec_lo, s15
.LBB319_1432:                           ;   in Loop: Header=BB319_799 Depth=1
	s_or_b32 exec_lo, exec_lo, s13
.LBB319_1433:                           ;   in Loop: Header=BB319_799 Depth=1
	s_or_b32 exec_lo, exec_lo, s12
	v_lshrrev_b16 v0, 8, v0
	v_mov_b32_e32 v35, 0
	s_mov_b32 s12, exec_lo
	v_cmpx_ne_u16_e32 0, v0
	s_cbranch_execz .LBB319_1441
; %bb.1434:                             ;   in Loop: Header=BB319_799 Depth=1
	v_bfrev_b32_e32 v35, 1
	s_mov_b32 s13, exec_lo
	v_cmpx_ne_u16_e32 0x80, v0
	s_cbranch_execz .LBB319_1440
; %bb.1435:                             ;   in Loop: Header=BB319_799 Depth=1
	v_and_b32_sdwa v114, v0, v17 dst_sel:DWORD dst_unused:UNUSED_PAD src0_sel:WORD_0 src1_sel:DWORD
	v_mov_b32_e32 v35, 0x7c010000
	s_mov_b32 s15, exec_lo
	v_cmpx_ne_u32_e32 0x7f, v114
	s_cbranch_execz .LBB319_1439
; %bb.1436:                             ;   in Loop: Header=BB319_799 Depth=1
	v_and_b32_sdwa v35, v0, v37 dst_sel:DWORD dst_unused:UNUSED_PAD src0_sel:WORD_0 src1_sel:DWORD
	v_lshrrev_b32_e32 v113, 3, v114
	s_mov_b32 s18, exec_lo
	v_cmpx_gt_u32_e32 8, v114
; %bb.1437:                             ;   in Loop: Header=BB319_799 Depth=1
	v_ffbh_u32_e32 v6, v35
	v_min_u32_e32 v6, 32, v6
	v_subrev_nc_u32_e32 v35, 28, v6
	v_sub_nc_u32_e32 v113, 29, v6
	v_lshlrev_b64 v[114:115], v35, v[0:1]
	v_and_b32_e32 v35, 7, v114
; %bb.1438:                             ;   in Loop: Header=BB319_799 Depth=1
	s_or_b32 exec_lo, exec_lo, s18
	v_lshlrev_b32_sdwa v0, v50, v0 dst_sel:DWORD dst_unused:UNUSED_PAD src0_sel:DWORD src1_sel:WORD_0
	v_lshl_add_u32 v6, v113, 10, 0x2000
	v_and_or_b32 v0, 0x8000, v0, v6
	v_lshlrev_b32_e32 v6, 23, v35
	v_lshl_or_b32 v35, v0, 16, v6
.LBB319_1439:                           ;   in Loop: Header=BB319_799 Depth=1
	s_or_b32 exec_lo, exec_lo, s15
.LBB319_1440:                           ;   in Loop: Header=BB319_799 Depth=1
	s_or_b32 exec_lo, exec_lo, s13
.LBB319_1441:                           ;   in Loop: Header=BB319_799 Depth=1
	s_or_b32 exec_lo, exec_lo, s12
	v_lshrrev_b32_e32 v0, 16, v12
	v_cmp_ne_u16_sdwa s4, v0, v1 src0_sel:BYTE_0 src1_sel:DWORD
	s_and_saveexec_b32 s12, s4
	s_cbranch_execz .LBB319_1449
; %bb.1442:                             ;   in Loop: Header=BB319_799 Depth=1
	v_cmp_ne_u16_sdwa s4, v0, v16 src0_sel:BYTE_0 src1_sel:DWORD
	v_mov_b32_e32 v112, 0x8000
	s_and_saveexec_b32 s13, s4
	s_cbranch_execz .LBB319_1448
; %bb.1443:                             ;   in Loop: Header=BB319_799 Depth=1
	v_bfe_u32 v114, v12, 16, 7
	v_mov_b32_e32 v112, 0x7c01
	s_mov_b32 s15, exec_lo
	v_cmpx_ne_u32_e32 0x7f, v114
	s_cbranch_execz .LBB319_1447
; %bb.1444:                             ;   in Loop: Header=BB319_799 Depth=1
	v_and_b32_e32 v112, 7, v0
	v_lshrrev_b32_e32 v113, 3, v114
	s_mov_b32 s18, exec_lo
	v_cmpx_gt_u32_e32 8, v114
; %bb.1445:                             ;   in Loop: Header=BB319_799 Depth=1
	v_ffbh_u32_e32 v6, v112
	v_min_u32_e32 v6, 32, v6
	v_subrev_nc_u32_e32 v112, 28, v6
	v_lshlrev_b64 v[112:113], v112, v[0:1]
	v_sub_nc_u32_e32 v113, 29, v6
	v_and_b32_e32 v112, 7, v112
; %bb.1446:                             ;   in Loop: Header=BB319_799 Depth=1
	s_or_b32 exec_lo, exec_lo, s18
	v_lshlrev_b32_e32 v0, 8, v0
	v_lshl_add_u32 v6, v113, 10, 0x2000
	v_lshlrev_b32_e32 v112, 7, v112
	v_and_b32_e32 v0, 0x8000, v0
	v_and_b32_e32 v6, 0xfc00, v6
	v_or3_b32 v112, v0, v6, v112
.LBB319_1447:                           ;   in Loop: Header=BB319_799 Depth=1
	s_or_b32 exec_lo, exec_lo, s15
.LBB319_1448:                           ;   in Loop: Header=BB319_799 Depth=1
	s_or_b32 exec_lo, exec_lo, s13
.LBB319_1449:                           ;   in Loop: Header=BB319_799 Depth=1
	s_or_b32 exec_lo, exec_lo, s12
	v_cmp_lt_u64_e64 s4, s[8:9], v[11:12]
	v_mov_b32_e32 v11, 0
	s_and_saveexec_b32 s12, s4
	s_cbranch_execz .LBB319_1457
; %bb.1450:                             ;   in Loop: Header=BB319_799 Depth=1
	v_lshrrev_b32_e32 v0, 24, v12
	v_bfrev_b32_e32 v11, 1
	s_mov_b32 s13, exec_lo
	v_cmpx_ne_u32_e32 0x80, v0
	s_cbranch_execz .LBB319_1456
; %bb.1451:                             ;   in Loop: Header=BB319_799 Depth=1
	v_and_b32_e32 v113, 0x7f, v0
	v_mov_b32_e32 v11, 0x7c010000
	s_mov_b32 s15, exec_lo
	v_cmpx_ne_u32_e32 0x7f, v113
	s_cbranch_execz .LBB319_1455
; %bb.1452:                             ;   in Loop: Header=BB319_799 Depth=1
	v_and_b32_e32 v11, 7, v0
	v_lshrrev_b32_e32 v12, 3, v113
	s_mov_b32 s18, exec_lo
	v_cmpx_gt_u32_e32 8, v113
; %bb.1453:                             ;   in Loop: Header=BB319_799 Depth=1
	v_ffbh_u32_e32 v6, v11
	v_min_u32_e32 v6, 32, v6
	v_subrev_nc_u32_e32 v11, 28, v6
	v_lshlrev_b64 v[11:12], v11, v[0:1]
	v_sub_nc_u32_e32 v12, 29, v6
	v_and_b32_e32 v11, 7, v11
; %bb.1454:                             ;   in Loop: Header=BB319_799 Depth=1
	s_or_b32 exec_lo, exec_lo, s18
	v_lshlrev_b32_e32 v0, 8, v0
	v_lshl_add_u32 v6, v12, 10, 0x2000
	v_and_or_b32 v0, 0x8000, v0, v6
	v_lshlrev_b32_e32 v6, 23, v11
	v_lshl_or_b32 v11, v0, 16, v6
.LBB319_1455:                           ;   in Loop: Header=BB319_799 Depth=1
	s_or_b32 exec_lo, exec_lo, s15
.LBB319_1456:                           ;   in Loop: Header=BB319_799 Depth=1
	s_or_b32 exec_lo, exec_lo, s13
.LBB319_1457:                           ;   in Loop: Header=BB319_799 Depth=1
	s_or_b32 exec_lo, exec_lo, s12
	v_or_b32_e32 v0, v32, v103
	s_waitcnt vmcnt(0) lgkmcnt(0)
	v_fma_mixlo_f16 v6, v100, v32, 0 op_sel:[0,1,0] op_sel_hi:[0,1,0]
	v_or_b32_e32 v12, v101, v102
	v_fma_mixlo_f16 v32, v100, v101, 0 op_sel:[0,1,0] op_sel_hi:[0,1,0]
	v_or_b32_e32 v22, v35, v22
	v_fma_mixlo_f16 v102, v100, v0, 0 op_sel_hi:[0,1,0]
	v_or_b32_e32 v103, v11, v112
	v_lshlrev_b32_e32 v0, 16, v6
	v_lshlrev_b32_e32 v101, 16, v32
	v_fma_mixlo_f16 v6, v100, v12, 0 op_sel_hi:[0,1,0]
	v_and_b32_e32 v12, 0xffff, v102
	v_fma_mixlo_f16 v32, v100, v35, 0 op_sel:[0,1,0] op_sel_hi:[0,1,0]
	v_fma_mixlo_f16 v35, v100, v22, 0 op_sel_hi:[0,1,0]
	v_fma_mixlo_f16 v11, v100, v11, 0 op_sel:[0,1,0] op_sel_hi:[0,1,0]
	v_fma_mixlo_f16 v102, v100, v103, 0 op_sel_hi:[0,1,0]
	v_and_b32_e32 v113, 0xffff, v6
	v_lshlrev_b32_e32 v22, 16, v32
	v_and_b32_e32 v100, 0xffff, v35
	v_lshlrev_b32_e32 v11, 16, v11
	v_and_b32_e32 v32, 0xffff, v102
	v_or_b32_e32 v35, v0, v12
	v_or_b32_e32 v112, v101, v113
	;; [unrolled: 1-line block ×4, first 2 shown]
	s_and_saveexec_b32 s12, vcc_lo
	s_cbranch_execz .LBB319_1459
; %bb.1458:                             ;   in Loop: Header=BB319_799 Depth=1
	v_cmp_lt_i32_e64 s4, v51, v33
	v_cndmask_b32_e64 v6, 0, v113, s4
	v_cmp_lt_i32_e64 s4, v71, v33
	v_cndmask_b32_e64 v35, 0, v101, s4
	v_cmp_lt_i32_e64 s4, v70, v33
	v_or_b32_e32 v112, v6, v35
	v_cndmask_b32_e64 v12, 0, v12, s4
	v_cmp_lt_i32_e64 s4, v68, v33
	v_cndmask_b32_e64 v0, 0, v0, s4
	v_cmp_lt_i32_e64 s4, v65, v33
	v_or_b32_e32 v35, v12, v0
	v_cndmask_b32_e64 v100, 0, v100, s4
	v_cmp_lt_i32_e64 s4, v55, v33
	v_cndmask_b32_e64 v22, 0, v22, s4
	v_cmp_lt_i32_e64 s4, v52, v33
	v_or_b32_e32 v103, v100, v22
	v_cndmask_b32_e64 v32, 0, v32, s4
	v_cmp_lt_i32_e64 s4, v14, v33
	v_cndmask_b32_e64 v11, 0, v11, s4
	v_or_b32_e32 v102, v32, v11
.LBB319_1459:                           ;   in Loop: Header=BB319_799 Depth=1
	s_or_b32 exec_lo, exec_lo, s12
	;;#ASMSTART
	v_pk_mul_f16 v0, v67, v112;

	;;#ASMEND
	;;#ASMSTART
	v_pk_mul_f16 v6, v64, v35;

	;;#ASMEND
	;; [unrolled: 4-line block ×4, first 2 shown]
	;;#ASMSTART
	v_pk_add_f16 v0, v0, v6;

	;;#ASMEND
	;;#ASMSTART
	v_pk_add_f16 v0, v0, v11;

	;;#ASMEND
	;; [unrolled: 4-line block ×3, first 2 shown]
	v_and_b32_e32 v6, 0xffff, v0
	v_lshrrev_b32_e32 v0, 16, v0
	;;#ASMSTART
	v_cvt_f32_f16 v100, v6;
	;;#ASMEND
	;;#ASMSTART
	v_cvt_f32_f16 v101, v0;
	;;#ASMEND
	flat_load_dwordx2 v[11:12], v[9:10] offset:512
	flat_load_dword v102, v[26:27]
	v_mov_b32_e32 v103, 0
	v_mov_b32_e32 v112, 0
	s_waitcnt vmcnt(1) lgkmcnt(1)
	v_cmp_ne_u16_sdwa s4, v11, v1 src0_sel:BYTE_0 src1_sel:DWORD
	s_and_saveexec_b32 s12, s4
	s_cbranch_execz .LBB319_1467
; %bb.1460:                             ;   in Loop: Header=BB319_799 Depth=1
	v_cmp_ne_u16_sdwa s4, v11, v16 src0_sel:BYTE_0 src1_sel:DWORD
	v_mov_b32_e32 v112, 0x8000
	s_and_saveexec_b32 s13, s4
	s_cbranch_execz .LBB319_1466
; %bb.1461:                             ;   in Loop: Header=BB319_799 Depth=1
	v_and_b32_e32 v32, 0x7f, v11
	v_mov_b32_e32 v112, 0x7c01
	s_mov_b32 s15, exec_lo
	v_cmpx_ne_u32_e32 0x7f, v32
	s_cbranch_execz .LBB319_1465
; %bb.1462:                             ;   in Loop: Header=BB319_799 Depth=1
	v_and_b32_e32 v0, 7, v11
	v_lshrrev_b32_e32 v22, 3, v32
	s_mov_b32 s18, exec_lo
	v_cmpx_gt_u32_e32 8, v32
; %bb.1463:                             ;   in Loop: Header=BB319_799 Depth=1
	v_ffbh_u32_e32 v0, v0
	v_min_u32_e32 v0, 32, v0
	v_subrev_nc_u32_e32 v6, 28, v0
	v_sub_nc_u32_e32 v22, 29, v0
	v_lshlrev_b64 v[112:113], v6, v[11:12]
	v_and_b32_e32 v0, 7, v112
; %bb.1464:                             ;   in Loop: Header=BB319_799 Depth=1
	s_or_b32 exec_lo, exec_lo, s18
	v_lshlrev_b32_e32 v6, 8, v11
	v_lshl_add_u32 v22, v22, 10, 0x2000
	v_lshlrev_b32_e32 v0, 7, v0
	v_and_b32_e32 v6, 0x8000, v6
	v_and_b32_e32 v22, 0xfc00, v22
	v_or3_b32 v112, v6, v22, v0
.LBB319_1465:                           ;   in Loop: Header=BB319_799 Depth=1
	s_or_b32 exec_lo, exec_lo, s15
.LBB319_1466:                           ;   in Loop: Header=BB319_799 Depth=1
	s_or_b32 exec_lo, exec_lo, s13
.LBB319_1467:                           ;   in Loop: Header=BB319_799 Depth=1
	s_or_b32 exec_lo, exec_lo, s12
	v_lshrrev_b16 v0, 8, v11
	s_mov_b32 s12, exec_lo
	v_cmpx_ne_u16_e32 0, v0
	s_cbranch_execz .LBB319_1475
; %bb.1468:                             ;   in Loop: Header=BB319_799 Depth=1
	v_bfrev_b32_e32 v103, 1
	s_mov_b32 s13, exec_lo
	v_cmpx_ne_u16_e32 0x80, v0
	s_cbranch_execz .LBB319_1474
; %bb.1469:                             ;   in Loop: Header=BB319_799 Depth=1
	v_and_b32_sdwa v35, v0, v17 dst_sel:DWORD dst_unused:UNUSED_PAD src0_sel:WORD_0 src1_sel:DWORD
	v_mov_b32_e32 v103, 0x7c010000
	s_mov_b32 s15, exec_lo
	v_cmpx_ne_u32_e32 0x7f, v35
	s_cbranch_execz .LBB319_1473
; %bb.1470:                             ;   in Loop: Header=BB319_799 Depth=1
	v_and_b32_sdwa v22, v0, v37 dst_sel:DWORD dst_unused:UNUSED_PAD src0_sel:WORD_0 src1_sel:DWORD
	v_lshrrev_b32_e32 v32, 3, v35
	s_mov_b32 s18, exec_lo
	v_cmpx_gt_u32_e32 8, v35
; %bb.1471:                             ;   in Loop: Header=BB319_799 Depth=1
	v_ffbh_u32_e32 v6, v22
	v_min_u32_e32 v6, 32, v6
	v_subrev_nc_u32_e32 v22, 28, v6
	v_sub_nc_u32_e32 v32, 29, v6
	v_lshlrev_b64 v[113:114], v22, v[0:1]
	v_and_b32_e32 v22, 7, v113
; %bb.1472:                             ;   in Loop: Header=BB319_799 Depth=1
	s_or_b32 exec_lo, exec_lo, s18
	v_lshlrev_b32_sdwa v0, v50, v0 dst_sel:DWORD dst_unused:UNUSED_PAD src0_sel:DWORD src1_sel:WORD_0
	v_lshl_add_u32 v6, v32, 10, 0x2000
	v_and_or_b32 v0, 0x8000, v0, v6
	v_lshlrev_b32_e32 v6, 23, v22
	v_lshl_or_b32 v103, v0, 16, v6
.LBB319_1473:                           ;   in Loop: Header=BB319_799 Depth=1
	s_or_b32 exec_lo, exec_lo, s15
.LBB319_1474:                           ;   in Loop: Header=BB319_799 Depth=1
	s_or_b32 exec_lo, exec_lo, s13
.LBB319_1475:                           ;   in Loop: Header=BB319_799 Depth=1
	s_or_b32 exec_lo, exec_lo, s12
	v_lshrrev_b32_e32 v0, 16, v11
	v_mov_b32_e32 v32, 0
	v_mov_b32_e32 v113, 0
	v_cmp_ne_u16_sdwa s4, v0, v1 src0_sel:BYTE_0 src1_sel:DWORD
	s_and_saveexec_b32 s12, s4
	s_cbranch_execz .LBB319_1483
; %bb.1476:                             ;   in Loop: Header=BB319_799 Depth=1
	v_cmp_ne_u16_sdwa s4, v0, v16 src0_sel:BYTE_0 src1_sel:DWORD
	v_mov_b32_e32 v113, 0x8000
	s_and_saveexec_b32 s13, s4
	s_cbranch_execz .LBB319_1482
; %bb.1477:                             ;   in Loop: Header=BB319_799 Depth=1
	v_bfe_u32 v114, v11, 16, 7
	v_mov_b32_e32 v113, 0x7c01
	s_mov_b32 s15, exec_lo
	v_cmpx_ne_u32_e32 0x7f, v114
	s_cbranch_execz .LBB319_1481
; %bb.1478:                             ;   in Loop: Header=BB319_799 Depth=1
	v_and_b32_e32 v22, 7, v0
	v_lshrrev_b32_e32 v35, 3, v114
	s_mov_b32 s18, exec_lo
	v_cmpx_gt_u32_e32 8, v114
; %bb.1479:                             ;   in Loop: Header=BB319_799 Depth=1
	v_ffbh_u32_e32 v6, v22
	v_min_u32_e32 v6, 32, v6
	v_subrev_nc_u32_e32 v22, 28, v6
	v_sub_nc_u32_e32 v35, 29, v6
	v_lshlrev_b64 v[113:114], v22, v[0:1]
	v_and_b32_e32 v22, 7, v113
; %bb.1480:                             ;   in Loop: Header=BB319_799 Depth=1
	s_or_b32 exec_lo, exec_lo, s18
	v_lshlrev_b32_e32 v0, 8, v0
	v_lshl_add_u32 v6, v35, 10, 0x2000
	v_lshlrev_b32_e32 v22, 7, v22
	v_and_b32_e32 v0, 0x8000, v0
	v_and_b32_e32 v6, 0xfc00, v6
	v_or3_b32 v113, v0, v6, v22
.LBB319_1481:                           ;   in Loop: Header=BB319_799 Depth=1
	s_or_b32 exec_lo, exec_lo, s15
.LBB319_1482:                           ;   in Loop: Header=BB319_799 Depth=1
	s_or_b32 exec_lo, exec_lo, s13
.LBB319_1483:                           ;   in Loop: Header=BB319_799 Depth=1
	s_or_b32 exec_lo, exec_lo, s12
	s_mov_b32 s12, exec_lo
	v_cmpx_lt_u32_e32 0xffffff, v11
	s_cbranch_execz .LBB319_1491
; %bb.1484:                             ;   in Loop: Header=BB319_799 Depth=1
	v_lshrrev_b32_e32 v0, 24, v11
	v_bfrev_b32_e32 v32, 1
	s_mov_b32 s13, exec_lo
	v_cmpx_ne_u32_e32 0x80, v0
	s_cbranch_execz .LBB319_1490
; %bb.1485:                             ;   in Loop: Header=BB319_799 Depth=1
	v_and_b32_e32 v35, 0x7f, v0
	v_mov_b32_e32 v32, 0x7c010000
	s_mov_b32 s15, exec_lo
	v_cmpx_ne_u32_e32 0x7f, v35
	s_cbranch_execz .LBB319_1489
; %bb.1486:                             ;   in Loop: Header=BB319_799 Depth=1
	v_and_b32_e32 v22, 7, v0
	v_lshrrev_b32_e32 v32, 3, v35
	s_mov_b32 s18, exec_lo
	v_cmpx_gt_u32_e32 8, v35
; %bb.1487:                             ;   in Loop: Header=BB319_799 Depth=1
	v_ffbh_u32_e32 v6, v22
	v_min_u32_e32 v6, 32, v6
	v_subrev_nc_u32_e32 v22, 28, v6
	v_sub_nc_u32_e32 v32, 29, v6
	v_lshlrev_b64 v[114:115], v22, v[0:1]
	v_and_b32_e32 v22, 7, v114
; %bb.1488:                             ;   in Loop: Header=BB319_799 Depth=1
	s_or_b32 exec_lo, exec_lo, s18
	v_lshlrev_b32_e32 v0, 8, v0
	v_lshl_add_u32 v6, v32, 10, 0x2000
	v_and_or_b32 v0, 0x8000, v0, v6
	v_lshlrev_b32_e32 v6, 23, v22
	v_lshl_or_b32 v32, v0, 16, v6
.LBB319_1489:                           ;   in Loop: Header=BB319_799 Depth=1
	s_or_b32 exec_lo, exec_lo, s15
.LBB319_1490:                           ;   in Loop: Header=BB319_799 Depth=1
	s_or_b32 exec_lo, exec_lo, s13
.LBB319_1491:                           ;   in Loop: Header=BB319_799 Depth=1
	s_or_b32 exec_lo, exec_lo, s12
	v_mov_b32_e32 v0, v12
	v_cmp_ne_u16_sdwa s4, v12, v1 src0_sel:BYTE_0 src1_sel:DWORD
	v_mov_b32_e32 v114, 0
	v_mov_b32_e32 v22, 0
	s_and_saveexec_b32 s12, s4
	s_cbranch_execz .LBB319_1499
; %bb.1492:                             ;   in Loop: Header=BB319_799 Depth=1
	v_cmp_ne_u16_sdwa s4, v12, v16 src0_sel:BYTE_0 src1_sel:DWORD
	v_mov_b32_e32 v22, 0x8000
	s_and_saveexec_b32 s13, s4
	s_cbranch_execz .LBB319_1498
; %bb.1493:                             ;   in Loop: Header=BB319_799 Depth=1
	v_and_b32_e32 v115, 0x7f, v12
	v_mov_b32_e32 v22, 0x7c01
	s_mov_b32 s15, exec_lo
	v_cmpx_ne_u32_e32 0x7f, v115
	s_cbranch_execz .LBB319_1497
; %bb.1494:                             ;   in Loop: Header=BB319_799 Depth=1
	v_and_b32_e32 v22, 7, v12
	v_lshrrev_b32_e32 v35, 3, v115
	s_mov_b32 s18, exec_lo
	v_cmpx_gt_u32_e32 8, v115
; %bb.1495:                             ;   in Loop: Header=BB319_799 Depth=1
	v_ffbh_u32_e32 v6, v22
	v_min_u32_e32 v6, 32, v6
	v_subrev_nc_u32_e32 v22, 28, v6
	v_sub_nc_u32_e32 v35, 29, v6
	v_lshlrev_b64 v[115:116], v22, v[0:1]
	v_and_b32_e32 v22, 7, v115
; %bb.1496:                             ;   in Loop: Header=BB319_799 Depth=1
	s_or_b32 exec_lo, exec_lo, s18
	v_lshlrev_b32_e32 v6, 8, v12
	v_lshl_add_u32 v35, v35, 10, 0x2000
	v_lshlrev_b32_e32 v22, 7, v22
	v_and_b32_e32 v6, 0x8000, v6
	v_and_b32_e32 v35, 0xfc00, v35
	v_or3_b32 v22, v6, v35, v22
.LBB319_1497:                           ;   in Loop: Header=BB319_799 Depth=1
	s_or_b32 exec_lo, exec_lo, s15
.LBB319_1498:                           ;   in Loop: Header=BB319_799 Depth=1
	s_or_b32 exec_lo, exec_lo, s13
.LBB319_1499:                           ;   in Loop: Header=BB319_799 Depth=1
	s_or_b32 exec_lo, exec_lo, s12
	v_lshrrev_b16 v0, 8, v0
	v_mov_b32_e32 v35, 0
	s_mov_b32 s12, exec_lo
	v_cmpx_ne_u16_e32 0, v0
	s_cbranch_execz .LBB319_1507
; %bb.1500:                             ;   in Loop: Header=BB319_799 Depth=1
	v_bfrev_b32_e32 v35, 1
	s_mov_b32 s13, exec_lo
	v_cmpx_ne_u16_e32 0x80, v0
	s_cbranch_execz .LBB319_1506
; %bb.1501:                             ;   in Loop: Header=BB319_799 Depth=1
	v_and_b32_sdwa v116, v0, v17 dst_sel:DWORD dst_unused:UNUSED_PAD src0_sel:WORD_0 src1_sel:DWORD
	v_mov_b32_e32 v35, 0x7c010000
	s_mov_b32 s15, exec_lo
	v_cmpx_ne_u32_e32 0x7f, v116
	s_cbranch_execz .LBB319_1505
; %bb.1502:                             ;   in Loop: Header=BB319_799 Depth=1
	v_and_b32_sdwa v35, v0, v37 dst_sel:DWORD dst_unused:UNUSED_PAD src0_sel:WORD_0 src1_sel:DWORD
	v_lshrrev_b32_e32 v115, 3, v116
	s_mov_b32 s18, exec_lo
	v_cmpx_gt_u32_e32 8, v116
; %bb.1503:                             ;   in Loop: Header=BB319_799 Depth=1
	v_ffbh_u32_e32 v6, v35
	v_min_u32_e32 v6, 32, v6
	v_subrev_nc_u32_e32 v35, 28, v6
	v_sub_nc_u32_e32 v115, 29, v6
	v_lshlrev_b64 v[116:117], v35, v[0:1]
	v_and_b32_e32 v35, 7, v116
; %bb.1504:                             ;   in Loop: Header=BB319_799 Depth=1
	s_or_b32 exec_lo, exec_lo, s18
	v_lshlrev_b32_sdwa v0, v50, v0 dst_sel:DWORD dst_unused:UNUSED_PAD src0_sel:DWORD src1_sel:WORD_0
	v_lshl_add_u32 v6, v115, 10, 0x2000
	v_and_or_b32 v0, 0x8000, v0, v6
	v_lshlrev_b32_e32 v6, 23, v35
	v_lshl_or_b32 v35, v0, 16, v6
.LBB319_1505:                           ;   in Loop: Header=BB319_799 Depth=1
	s_or_b32 exec_lo, exec_lo, s15
.LBB319_1506:                           ;   in Loop: Header=BB319_799 Depth=1
	s_or_b32 exec_lo, exec_lo, s13
.LBB319_1507:                           ;   in Loop: Header=BB319_799 Depth=1
	s_or_b32 exec_lo, exec_lo, s12
	v_lshrrev_b32_e32 v0, 16, v12
	v_cmp_ne_u16_sdwa s4, v0, v1 src0_sel:BYTE_0 src1_sel:DWORD
	s_and_saveexec_b32 s12, s4
	s_cbranch_execz .LBB319_1515
; %bb.1508:                             ;   in Loop: Header=BB319_799 Depth=1
	v_cmp_ne_u16_sdwa s4, v0, v16 src0_sel:BYTE_0 src1_sel:DWORD
	v_mov_b32_e32 v114, 0x8000
	s_and_saveexec_b32 s13, s4
	s_cbranch_execz .LBB319_1514
; %bb.1509:                             ;   in Loop: Header=BB319_799 Depth=1
	v_bfe_u32 v116, v12, 16, 7
	v_mov_b32_e32 v114, 0x7c01
	s_mov_b32 s15, exec_lo
	v_cmpx_ne_u32_e32 0x7f, v116
	s_cbranch_execz .LBB319_1513
; %bb.1510:                             ;   in Loop: Header=BB319_799 Depth=1
	v_and_b32_e32 v114, 7, v0
	v_lshrrev_b32_e32 v115, 3, v116
	s_mov_b32 s18, exec_lo
	v_cmpx_gt_u32_e32 8, v116
; %bb.1511:                             ;   in Loop: Header=BB319_799 Depth=1
	v_ffbh_u32_e32 v6, v114
	v_min_u32_e32 v6, 32, v6
	v_subrev_nc_u32_e32 v114, 28, v6
	v_lshlrev_b64 v[114:115], v114, v[0:1]
	v_sub_nc_u32_e32 v115, 29, v6
	v_and_b32_e32 v114, 7, v114
; %bb.1512:                             ;   in Loop: Header=BB319_799 Depth=1
	s_or_b32 exec_lo, exec_lo, s18
	v_lshlrev_b32_e32 v0, 8, v0
	v_lshl_add_u32 v6, v115, 10, 0x2000
	v_lshlrev_b32_e32 v114, 7, v114
	v_and_b32_e32 v0, 0x8000, v0
	v_and_b32_e32 v6, 0xfc00, v6
	v_or3_b32 v114, v0, v6, v114
.LBB319_1513:                           ;   in Loop: Header=BB319_799 Depth=1
	s_or_b32 exec_lo, exec_lo, s15
.LBB319_1514:                           ;   in Loop: Header=BB319_799 Depth=1
	s_or_b32 exec_lo, exec_lo, s13
.LBB319_1515:                           ;   in Loop: Header=BB319_799 Depth=1
	s_or_b32 exec_lo, exec_lo, s12
	v_cmp_lt_u64_e64 s4, s[8:9], v[11:12]
	v_mov_b32_e32 v11, 0
	s_and_saveexec_b32 s12, s4
	s_cbranch_execz .LBB319_1523
; %bb.1516:                             ;   in Loop: Header=BB319_799 Depth=1
	v_lshrrev_b32_e32 v0, 24, v12
	v_bfrev_b32_e32 v11, 1
	s_mov_b32 s13, exec_lo
	v_cmpx_ne_u32_e32 0x80, v0
	s_cbranch_execz .LBB319_1522
; %bb.1517:                             ;   in Loop: Header=BB319_799 Depth=1
	v_and_b32_e32 v115, 0x7f, v0
	v_mov_b32_e32 v11, 0x7c010000
	s_mov_b32 s15, exec_lo
	v_cmpx_ne_u32_e32 0x7f, v115
	s_cbranch_execz .LBB319_1521
; %bb.1518:                             ;   in Loop: Header=BB319_799 Depth=1
	v_and_b32_e32 v11, 7, v0
	v_lshrrev_b32_e32 v12, 3, v115
	s_mov_b32 s18, exec_lo
	v_cmpx_gt_u32_e32 8, v115
; %bb.1519:                             ;   in Loop: Header=BB319_799 Depth=1
	v_ffbh_u32_e32 v6, v11
	v_min_u32_e32 v6, 32, v6
	v_subrev_nc_u32_e32 v11, 28, v6
	v_lshlrev_b64 v[11:12], v11, v[0:1]
	v_sub_nc_u32_e32 v12, 29, v6
	v_and_b32_e32 v11, 7, v11
; %bb.1520:                             ;   in Loop: Header=BB319_799 Depth=1
	s_or_b32 exec_lo, exec_lo, s18
	v_lshlrev_b32_e32 v0, 8, v0
	v_lshl_add_u32 v6, v12, 10, 0x2000
	v_and_or_b32 v0, 0x8000, v0, v6
	v_lshlrev_b32_e32 v6, 23, v11
	v_lshl_or_b32 v11, v0, 16, v6
.LBB319_1521:                           ;   in Loop: Header=BB319_799 Depth=1
	s_or_b32 exec_lo, exec_lo, s15
.LBB319_1522:                           ;   in Loop: Header=BB319_799 Depth=1
	s_or_b32 exec_lo, exec_lo, s13
.LBB319_1523:                           ;   in Loop: Header=BB319_799 Depth=1
	s_or_b32 exec_lo, exec_lo, s12
	v_or_b32_e32 v0, v32, v113
	s_waitcnt vmcnt(0) lgkmcnt(0)
	v_fma_mixlo_f16 v6, v102, v32, 0 op_sel:[0,1,0] op_sel_hi:[0,1,0]
	v_or_b32_e32 v12, v103, v112
	v_fma_mixlo_f16 v32, v102, v103, 0 op_sel:[0,1,0] op_sel_hi:[0,1,0]
	v_or_b32_e32 v22, v35, v22
	v_fma_mixlo_f16 v112, v102, v0, 0 op_sel_hi:[0,1,0]
	v_or_b32_e32 v113, v11, v114
	v_lshlrev_b32_e32 v0, 16, v6
	v_lshlrev_b32_e32 v103, 16, v32
	v_fma_mixlo_f16 v6, v102, v12, 0 op_sel_hi:[0,1,0]
	v_and_b32_e32 v12, 0xffff, v112
	v_fma_mixlo_f16 v32, v102, v35, 0 op_sel:[0,1,0] op_sel_hi:[0,1,0]
	v_fma_mixlo_f16 v35, v102, v22, 0 op_sel_hi:[0,1,0]
	v_fma_mixlo_f16 v11, v102, v11, 0 op_sel:[0,1,0] op_sel_hi:[0,1,0]
	v_fma_mixlo_f16 v112, v102, v113, 0 op_sel_hi:[0,1,0]
	v_and_b32_e32 v115, 0xffff, v6
	v_lshlrev_b32_e32 v22, 16, v32
	v_and_b32_e32 v102, 0xffff, v35
	v_lshlrev_b32_e32 v11, 16, v11
	v_and_b32_e32 v32, 0xffff, v112
	v_or_b32_e32 v35, v0, v12
	v_or_b32_e32 v114, v103, v115
	;; [unrolled: 1-line block ×4, first 2 shown]
	s_and_saveexec_b32 s12, vcc_lo
	s_cbranch_execz .LBB319_1525
; %bb.1524:                             ;   in Loop: Header=BB319_799 Depth=1
	v_cmp_lt_i32_e64 s4, v51, v33
	v_cndmask_b32_e64 v6, 0, v115, s4
	v_cmp_lt_i32_e64 s4, v71, v33
	v_cndmask_b32_e64 v35, 0, v103, s4
	v_cmp_lt_i32_e64 s4, v70, v33
	v_or_b32_e32 v114, v6, v35
	v_cndmask_b32_e64 v12, 0, v12, s4
	v_cmp_lt_i32_e64 s4, v68, v33
	v_cndmask_b32_e64 v0, 0, v0, s4
	v_cmp_lt_i32_e64 s4, v65, v33
	v_or_b32_e32 v35, v12, v0
	;; [unrolled: 5-line block ×3, first 2 shown]
	v_cndmask_b32_e64 v32, 0, v32, s4
	v_cmp_lt_i32_e64 s4, v14, v33
	v_cndmask_b32_e64 v11, 0, v11, s4
	v_or_b32_e32 v112, v32, v11
.LBB319_1525:                           ;   in Loop: Header=BB319_799 Depth=1
	s_or_b32 exec_lo, exec_lo, s12
	;;#ASMSTART
	v_pk_mul_f16 v0, v67, v114;

	;;#ASMEND
	;;#ASMSTART
	v_pk_mul_f16 v6, v64, v35;

	;;#ASMEND
	;;#ASMSTART
	v_pk_mul_f16 v11, v54, v113;

	;;#ASMEND
	;;#ASMSTART
	v_pk_mul_f16 v12, v53, v112;

	;;#ASMEND
	;;#ASMSTART
	v_pk_add_f16 v0, v0, v6;

	;;#ASMEND
	;;#ASMSTART
	v_pk_add_f16 v0, v0, v11;

	;;#ASMEND
	;; [unrolled: 4-line block ×3, first 2 shown]
	v_and_b32_e32 v6, 0xffff, v0
	v_lshrrev_b32_e32 v0, 16, v0
	;;#ASMSTART
	v_cvt_f32_f16 v11, v6;
	;;#ASMEND
	;;#ASMSTART
	v_cvt_f32_f16 v12, v0;
	;;#ASMEND
	flat_load_dwordx2 v[9:10], v[9:10] offset:768
	flat_load_dword v102, v[26:27]
	v_mov_b32_e32 v103, 0
	v_mov_b32_e32 v112, 0
	s_waitcnt vmcnt(1) lgkmcnt(1)
	v_cmp_ne_u16_sdwa s4, v9, v1 src0_sel:BYTE_0 src1_sel:DWORD
	s_and_saveexec_b32 s12, s4
	s_cbranch_execz .LBB319_1533
; %bb.1526:                             ;   in Loop: Header=BB319_799 Depth=1
	v_cmp_ne_u16_sdwa s4, v9, v16 src0_sel:BYTE_0 src1_sel:DWORD
	v_mov_b32_e32 v112, 0x8000
	s_and_saveexec_b32 s13, s4
	s_cbranch_execz .LBB319_1532
; %bb.1527:                             ;   in Loop: Header=BB319_799 Depth=1
	v_and_b32_e32 v32, 0x7f, v9
	v_mov_b32_e32 v112, 0x7c01
	s_mov_b32 s15, exec_lo
	v_cmpx_ne_u32_e32 0x7f, v32
	s_cbranch_execz .LBB319_1531
; %bb.1528:                             ;   in Loop: Header=BB319_799 Depth=1
	v_and_b32_e32 v0, 7, v9
	v_lshrrev_b32_e32 v22, 3, v32
	s_mov_b32 s18, exec_lo
	v_cmpx_gt_u32_e32 8, v32
; %bb.1529:                             ;   in Loop: Header=BB319_799 Depth=1
	v_ffbh_u32_e32 v0, v0
	v_min_u32_e32 v0, 32, v0
	v_subrev_nc_u32_e32 v6, 28, v0
	v_sub_nc_u32_e32 v22, 29, v0
	v_lshlrev_b64 v[112:113], v6, v[9:10]
	v_and_b32_e32 v0, 7, v112
; %bb.1530:                             ;   in Loop: Header=BB319_799 Depth=1
	s_or_b32 exec_lo, exec_lo, s18
	v_lshlrev_b32_e32 v6, 8, v9
	v_lshl_add_u32 v22, v22, 10, 0x2000
	v_lshlrev_b32_e32 v0, 7, v0
	v_and_b32_e32 v6, 0x8000, v6
	v_and_b32_e32 v22, 0xfc00, v22
	v_or3_b32 v112, v6, v22, v0
.LBB319_1531:                           ;   in Loop: Header=BB319_799 Depth=1
	s_or_b32 exec_lo, exec_lo, s15
.LBB319_1532:                           ;   in Loop: Header=BB319_799 Depth=1
	s_or_b32 exec_lo, exec_lo, s13
.LBB319_1533:                           ;   in Loop: Header=BB319_799 Depth=1
	s_or_b32 exec_lo, exec_lo, s12
	v_lshrrev_b16 v0, 8, v9
	s_mov_b32 s12, exec_lo
	v_cmpx_ne_u16_e32 0, v0
	s_cbranch_execz .LBB319_1541
; %bb.1534:                             ;   in Loop: Header=BB319_799 Depth=1
	v_bfrev_b32_e32 v103, 1
	s_mov_b32 s13, exec_lo
	v_cmpx_ne_u16_e32 0x80, v0
	s_cbranch_execz .LBB319_1540
; %bb.1535:                             ;   in Loop: Header=BB319_799 Depth=1
	v_and_b32_sdwa v35, v0, v17 dst_sel:DWORD dst_unused:UNUSED_PAD src0_sel:WORD_0 src1_sel:DWORD
	v_mov_b32_e32 v103, 0x7c010000
	s_mov_b32 s15, exec_lo
	v_cmpx_ne_u32_e32 0x7f, v35
	s_cbranch_execz .LBB319_1539
; %bb.1536:                             ;   in Loop: Header=BB319_799 Depth=1
	v_and_b32_sdwa v22, v0, v37 dst_sel:DWORD dst_unused:UNUSED_PAD src0_sel:WORD_0 src1_sel:DWORD
	v_lshrrev_b32_e32 v32, 3, v35
	s_mov_b32 s18, exec_lo
	v_cmpx_gt_u32_e32 8, v35
; %bb.1537:                             ;   in Loop: Header=BB319_799 Depth=1
	v_ffbh_u32_e32 v6, v22
	v_min_u32_e32 v6, 32, v6
	v_subrev_nc_u32_e32 v22, 28, v6
	v_sub_nc_u32_e32 v32, 29, v6
	v_lshlrev_b64 v[113:114], v22, v[0:1]
	v_and_b32_e32 v22, 7, v113
; %bb.1538:                             ;   in Loop: Header=BB319_799 Depth=1
	s_or_b32 exec_lo, exec_lo, s18
	v_lshlrev_b32_sdwa v0, v50, v0 dst_sel:DWORD dst_unused:UNUSED_PAD src0_sel:DWORD src1_sel:WORD_0
	v_lshl_add_u32 v6, v32, 10, 0x2000
	v_and_or_b32 v0, 0x8000, v0, v6
	v_lshlrev_b32_e32 v6, 23, v22
	v_lshl_or_b32 v103, v0, 16, v6
.LBB319_1539:                           ;   in Loop: Header=BB319_799 Depth=1
	s_or_b32 exec_lo, exec_lo, s15
.LBB319_1540:                           ;   in Loop: Header=BB319_799 Depth=1
	s_or_b32 exec_lo, exec_lo, s13
.LBB319_1541:                           ;   in Loop: Header=BB319_799 Depth=1
	s_or_b32 exec_lo, exec_lo, s12
	v_lshrrev_b32_e32 v0, 16, v9
	v_mov_b32_e32 v32, 0
	v_mov_b32_e32 v113, 0
	v_cmp_ne_u16_sdwa s4, v0, v1 src0_sel:BYTE_0 src1_sel:DWORD
	s_and_saveexec_b32 s12, s4
	s_cbranch_execz .LBB319_1549
; %bb.1542:                             ;   in Loop: Header=BB319_799 Depth=1
	v_cmp_ne_u16_sdwa s4, v0, v16 src0_sel:BYTE_0 src1_sel:DWORD
	v_mov_b32_e32 v113, 0x8000
	s_and_saveexec_b32 s13, s4
	s_cbranch_execz .LBB319_1548
; %bb.1543:                             ;   in Loop: Header=BB319_799 Depth=1
	v_bfe_u32 v114, v9, 16, 7
	v_mov_b32_e32 v113, 0x7c01
	s_mov_b32 s15, exec_lo
	v_cmpx_ne_u32_e32 0x7f, v114
	s_cbranch_execz .LBB319_1547
; %bb.1544:                             ;   in Loop: Header=BB319_799 Depth=1
	v_and_b32_e32 v22, 7, v0
	v_lshrrev_b32_e32 v35, 3, v114
	s_mov_b32 s18, exec_lo
	v_cmpx_gt_u32_e32 8, v114
; %bb.1545:                             ;   in Loop: Header=BB319_799 Depth=1
	v_ffbh_u32_e32 v6, v22
	v_min_u32_e32 v6, 32, v6
	v_subrev_nc_u32_e32 v22, 28, v6
	v_sub_nc_u32_e32 v35, 29, v6
	v_lshlrev_b64 v[113:114], v22, v[0:1]
	v_and_b32_e32 v22, 7, v113
; %bb.1546:                             ;   in Loop: Header=BB319_799 Depth=1
	s_or_b32 exec_lo, exec_lo, s18
	v_lshlrev_b32_e32 v0, 8, v0
	v_lshl_add_u32 v6, v35, 10, 0x2000
	v_lshlrev_b32_e32 v22, 7, v22
	v_and_b32_e32 v0, 0x8000, v0
	v_and_b32_e32 v6, 0xfc00, v6
	v_or3_b32 v113, v0, v6, v22
.LBB319_1547:                           ;   in Loop: Header=BB319_799 Depth=1
	s_or_b32 exec_lo, exec_lo, s15
.LBB319_1548:                           ;   in Loop: Header=BB319_799 Depth=1
	s_or_b32 exec_lo, exec_lo, s13
.LBB319_1549:                           ;   in Loop: Header=BB319_799 Depth=1
	s_or_b32 exec_lo, exec_lo, s12
	s_mov_b32 s12, exec_lo
	v_cmpx_lt_u32_e32 0xffffff, v9
	s_cbranch_execz .LBB319_1557
; %bb.1550:                             ;   in Loop: Header=BB319_799 Depth=1
	v_lshrrev_b32_e32 v0, 24, v9
	v_bfrev_b32_e32 v32, 1
	s_mov_b32 s13, exec_lo
	v_cmpx_ne_u32_e32 0x80, v0
	s_cbranch_execz .LBB319_1556
; %bb.1551:                             ;   in Loop: Header=BB319_799 Depth=1
	v_and_b32_e32 v35, 0x7f, v0
	v_mov_b32_e32 v32, 0x7c010000
	s_mov_b32 s15, exec_lo
	v_cmpx_ne_u32_e32 0x7f, v35
	s_cbranch_execz .LBB319_1555
; %bb.1552:                             ;   in Loop: Header=BB319_799 Depth=1
	v_and_b32_e32 v22, 7, v0
	v_lshrrev_b32_e32 v32, 3, v35
	s_mov_b32 s18, exec_lo
	v_cmpx_gt_u32_e32 8, v35
; %bb.1553:                             ;   in Loop: Header=BB319_799 Depth=1
	v_ffbh_u32_e32 v6, v22
	v_min_u32_e32 v6, 32, v6
	v_subrev_nc_u32_e32 v22, 28, v6
	v_sub_nc_u32_e32 v32, 29, v6
	v_lshlrev_b64 v[114:115], v22, v[0:1]
	v_and_b32_e32 v22, 7, v114
; %bb.1554:                             ;   in Loop: Header=BB319_799 Depth=1
	s_or_b32 exec_lo, exec_lo, s18
	v_lshlrev_b32_e32 v0, 8, v0
	v_lshl_add_u32 v6, v32, 10, 0x2000
	v_and_or_b32 v0, 0x8000, v0, v6
	v_lshlrev_b32_e32 v6, 23, v22
	v_lshl_or_b32 v32, v0, 16, v6
.LBB319_1555:                           ;   in Loop: Header=BB319_799 Depth=1
	s_or_b32 exec_lo, exec_lo, s15
.LBB319_1556:                           ;   in Loop: Header=BB319_799 Depth=1
	s_or_b32 exec_lo, exec_lo, s13
.LBB319_1557:                           ;   in Loop: Header=BB319_799 Depth=1
	s_or_b32 exec_lo, exec_lo, s12
	v_mov_b32_e32 v0, v10
	v_cmp_ne_u16_sdwa s4, v10, v1 src0_sel:BYTE_0 src1_sel:DWORD
	v_mov_b32_e32 v114, 0
	v_mov_b32_e32 v22, 0
	s_and_saveexec_b32 s12, s4
	s_cbranch_execz .LBB319_1565
; %bb.1558:                             ;   in Loop: Header=BB319_799 Depth=1
	v_cmp_ne_u16_sdwa s4, v10, v16 src0_sel:BYTE_0 src1_sel:DWORD
	v_mov_b32_e32 v22, 0x8000
	s_and_saveexec_b32 s13, s4
	s_cbranch_execz .LBB319_1564
; %bb.1559:                             ;   in Loop: Header=BB319_799 Depth=1
	v_and_b32_e32 v115, 0x7f, v10
	v_mov_b32_e32 v22, 0x7c01
	s_mov_b32 s15, exec_lo
	v_cmpx_ne_u32_e32 0x7f, v115
	s_cbranch_execz .LBB319_1563
; %bb.1560:                             ;   in Loop: Header=BB319_799 Depth=1
	v_and_b32_e32 v22, 7, v10
	v_lshrrev_b32_e32 v35, 3, v115
	s_mov_b32 s18, exec_lo
	v_cmpx_gt_u32_e32 8, v115
; %bb.1561:                             ;   in Loop: Header=BB319_799 Depth=1
	v_ffbh_u32_e32 v6, v22
	v_min_u32_e32 v6, 32, v6
	v_subrev_nc_u32_e32 v22, 28, v6
	v_sub_nc_u32_e32 v35, 29, v6
	v_lshlrev_b64 v[115:116], v22, v[0:1]
	v_and_b32_e32 v22, 7, v115
; %bb.1562:                             ;   in Loop: Header=BB319_799 Depth=1
	s_or_b32 exec_lo, exec_lo, s18
	v_lshlrev_b32_e32 v6, 8, v10
	v_lshl_add_u32 v35, v35, 10, 0x2000
	v_lshlrev_b32_e32 v22, 7, v22
	v_and_b32_e32 v6, 0x8000, v6
	v_and_b32_e32 v35, 0xfc00, v35
	v_or3_b32 v22, v6, v35, v22
.LBB319_1563:                           ;   in Loop: Header=BB319_799 Depth=1
	s_or_b32 exec_lo, exec_lo, s15
.LBB319_1564:                           ;   in Loop: Header=BB319_799 Depth=1
	s_or_b32 exec_lo, exec_lo, s13
.LBB319_1565:                           ;   in Loop: Header=BB319_799 Depth=1
	s_or_b32 exec_lo, exec_lo, s12
	v_lshrrev_b16 v0, 8, v0
	v_mov_b32_e32 v35, 0
	s_mov_b32 s12, exec_lo
	v_cmpx_ne_u16_e32 0, v0
	s_cbranch_execz .LBB319_1573
; %bb.1566:                             ;   in Loop: Header=BB319_799 Depth=1
	v_bfrev_b32_e32 v35, 1
	s_mov_b32 s13, exec_lo
	v_cmpx_ne_u16_e32 0x80, v0
	s_cbranch_execz .LBB319_1572
; %bb.1567:                             ;   in Loop: Header=BB319_799 Depth=1
	v_and_b32_sdwa v116, v0, v17 dst_sel:DWORD dst_unused:UNUSED_PAD src0_sel:WORD_0 src1_sel:DWORD
	v_mov_b32_e32 v35, 0x7c010000
	s_mov_b32 s15, exec_lo
	v_cmpx_ne_u32_e32 0x7f, v116
	s_cbranch_execz .LBB319_1571
; %bb.1568:                             ;   in Loop: Header=BB319_799 Depth=1
	v_and_b32_sdwa v35, v0, v37 dst_sel:DWORD dst_unused:UNUSED_PAD src0_sel:WORD_0 src1_sel:DWORD
	v_lshrrev_b32_e32 v115, 3, v116
	s_mov_b32 s18, exec_lo
	v_cmpx_gt_u32_e32 8, v116
; %bb.1569:                             ;   in Loop: Header=BB319_799 Depth=1
	v_ffbh_u32_e32 v6, v35
	v_min_u32_e32 v6, 32, v6
	v_subrev_nc_u32_e32 v35, 28, v6
	v_sub_nc_u32_e32 v115, 29, v6
	v_lshlrev_b64 v[116:117], v35, v[0:1]
	v_and_b32_e32 v35, 7, v116
; %bb.1570:                             ;   in Loop: Header=BB319_799 Depth=1
	s_or_b32 exec_lo, exec_lo, s18
	v_lshlrev_b32_sdwa v0, v50, v0 dst_sel:DWORD dst_unused:UNUSED_PAD src0_sel:DWORD src1_sel:WORD_0
	v_lshl_add_u32 v6, v115, 10, 0x2000
	v_and_or_b32 v0, 0x8000, v0, v6
	v_lshlrev_b32_e32 v6, 23, v35
	v_lshl_or_b32 v35, v0, 16, v6
.LBB319_1571:                           ;   in Loop: Header=BB319_799 Depth=1
	s_or_b32 exec_lo, exec_lo, s15
.LBB319_1572:                           ;   in Loop: Header=BB319_799 Depth=1
	s_or_b32 exec_lo, exec_lo, s13
.LBB319_1573:                           ;   in Loop: Header=BB319_799 Depth=1
	s_or_b32 exec_lo, exec_lo, s12
	v_lshrrev_b32_e32 v0, 16, v10
	v_cmp_ne_u16_sdwa s4, v0, v1 src0_sel:BYTE_0 src1_sel:DWORD
	s_and_saveexec_b32 s12, s4
	s_cbranch_execz .LBB319_1581
; %bb.1574:                             ;   in Loop: Header=BB319_799 Depth=1
	v_cmp_ne_u16_sdwa s4, v0, v16 src0_sel:BYTE_0 src1_sel:DWORD
	v_mov_b32_e32 v114, 0x8000
	s_and_saveexec_b32 s13, s4
	s_cbranch_execz .LBB319_1580
; %bb.1575:                             ;   in Loop: Header=BB319_799 Depth=1
	v_bfe_u32 v116, v10, 16, 7
	v_mov_b32_e32 v114, 0x7c01
	s_mov_b32 s15, exec_lo
	v_cmpx_ne_u32_e32 0x7f, v116
	s_cbranch_execz .LBB319_1579
; %bb.1576:                             ;   in Loop: Header=BB319_799 Depth=1
	v_and_b32_e32 v114, 7, v0
	v_lshrrev_b32_e32 v115, 3, v116
	s_mov_b32 s18, exec_lo
	v_cmpx_gt_u32_e32 8, v116
; %bb.1577:                             ;   in Loop: Header=BB319_799 Depth=1
	v_ffbh_u32_e32 v6, v114
	v_min_u32_e32 v6, 32, v6
	v_subrev_nc_u32_e32 v114, 28, v6
	v_lshlrev_b64 v[114:115], v114, v[0:1]
	v_sub_nc_u32_e32 v115, 29, v6
	v_and_b32_e32 v114, 7, v114
; %bb.1578:                             ;   in Loop: Header=BB319_799 Depth=1
	s_or_b32 exec_lo, exec_lo, s18
	v_lshlrev_b32_e32 v0, 8, v0
	v_lshl_add_u32 v6, v115, 10, 0x2000
	v_lshlrev_b32_e32 v114, 7, v114
	v_and_b32_e32 v0, 0x8000, v0
	v_and_b32_e32 v6, 0xfc00, v6
	v_or3_b32 v114, v0, v6, v114
.LBB319_1579:                           ;   in Loop: Header=BB319_799 Depth=1
	s_or_b32 exec_lo, exec_lo, s15
.LBB319_1580:                           ;   in Loop: Header=BB319_799 Depth=1
	s_or_b32 exec_lo, exec_lo, s13
.LBB319_1581:                           ;   in Loop: Header=BB319_799 Depth=1
	s_or_b32 exec_lo, exec_lo, s12
	v_cmp_lt_u64_e64 s4, s[8:9], v[9:10]
	v_mov_b32_e32 v9, 0
	s_and_saveexec_b32 s12, s4
	s_cbranch_execz .LBB319_1589
; %bb.1582:                             ;   in Loop: Header=BB319_799 Depth=1
	v_lshrrev_b32_e32 v0, 24, v10
	v_bfrev_b32_e32 v9, 1
	s_mov_b32 s13, exec_lo
	v_cmpx_ne_u32_e32 0x80, v0
	s_cbranch_execz .LBB319_1588
; %bb.1583:                             ;   in Loop: Header=BB319_799 Depth=1
	v_and_b32_e32 v115, 0x7f, v0
	v_mov_b32_e32 v9, 0x7c010000
	s_mov_b32 s15, exec_lo
	v_cmpx_ne_u32_e32 0x7f, v115
	s_cbranch_execz .LBB319_1587
; %bb.1584:                             ;   in Loop: Header=BB319_799 Depth=1
	v_and_b32_e32 v9, 7, v0
	v_lshrrev_b32_e32 v10, 3, v115
	s_mov_b32 s18, exec_lo
	v_cmpx_gt_u32_e32 8, v115
; %bb.1585:                             ;   in Loop: Header=BB319_799 Depth=1
	v_ffbh_u32_e32 v6, v9
	v_min_u32_e32 v6, 32, v6
	v_subrev_nc_u32_e32 v9, 28, v6
	v_lshlrev_b64 v[9:10], v9, v[0:1]
	v_sub_nc_u32_e32 v10, 29, v6
	v_and_b32_e32 v9, 7, v9
; %bb.1586:                             ;   in Loop: Header=BB319_799 Depth=1
	s_or_b32 exec_lo, exec_lo, s18
	v_lshlrev_b32_e32 v0, 8, v0
	v_lshl_add_u32 v6, v10, 10, 0x2000
	v_and_or_b32 v0, 0x8000, v0, v6
	v_lshlrev_b32_e32 v6, 23, v9
	v_lshl_or_b32 v9, v0, 16, v6
.LBB319_1587:                           ;   in Loop: Header=BB319_799 Depth=1
	s_or_b32 exec_lo, exec_lo, s15
.LBB319_1588:                           ;   in Loop: Header=BB319_799 Depth=1
	s_or_b32 exec_lo, exec_lo, s13
.LBB319_1589:                           ;   in Loop: Header=BB319_799 Depth=1
	s_or_b32 exec_lo, exec_lo, s12
	v_or_b32_e32 v0, v32, v113
	s_waitcnt vmcnt(0) lgkmcnt(0)
	v_fma_mixlo_f16 v6, v102, v32, 0 op_sel:[0,1,0] op_sel_hi:[0,1,0]
	v_or_b32_e32 v10, v103, v112
	v_fma_mixlo_f16 v103, v102, v103, 0 op_sel:[0,1,0] op_sel_hi:[0,1,0]
	v_or_b32_e32 v22, v35, v22
	v_fma_mixlo_f16 v0, v102, v0, 0 op_sel_hi:[0,1,0]
	v_or_b32_e32 v112, v9, v114
	v_lshlrev_b32_e32 v32, 16, v6
	v_lshlrev_b32_e32 v113, 16, v103
	v_fma_mixlo_f16 v6, v102, v10, 0 op_sel_hi:[0,1,0]
	v_and_b32_e32 v103, 0xffff, v0
	v_fma_mixlo_f16 v0, v102, v35, 0 op_sel:[0,1,0] op_sel_hi:[0,1,0]
	v_fma_mixlo_f16 v10, v102, v22, 0 op_sel_hi:[0,1,0]
	v_fma_mixlo_f16 v9, v102, v9, 0 op_sel:[0,1,0] op_sel_hi:[0,1,0]
	v_fma_mixlo_f16 v22, v102, v112, 0 op_sel_hi:[0,1,0]
	v_and_b32_e32 v115, 0xffff, v6
	v_lshlrev_b32_e32 v102, 16, v0
	v_and_b32_e32 v114, 0xffff, v10
	v_lshlrev_b32_e32 v35, 16, v9
	v_and_b32_e32 v112, 0xffff, v22
	v_or_b32_e32 v0, v32, v103
	v_or_b32_e32 v22, v113, v115
	;; [unrolled: 1-line block ×4, first 2 shown]
	s_and_saveexec_b32 s4, vcc_lo
	s_cbranch_execz .LBB319_798
; %bb.1590:                             ;   in Loop: Header=BB319_799 Depth=1
	v_cmp_lt_i32_e32 vcc_lo, v51, v33
	v_cndmask_b32_e32 v0, 0, v115, vcc_lo
	v_cmp_lt_i32_e32 vcc_lo, v71, v33
	v_cndmask_b32_e32 v6, 0, v113, vcc_lo
	v_cmp_lt_i32_e32 vcc_lo, v70, v33
	v_or_b32_e32 v22, v0, v6
	v_cndmask_b32_e32 v9, 0, v103, vcc_lo
	v_cmp_lt_i32_e32 vcc_lo, v68, v33
	v_cndmask_b32_e32 v10, 0, v32, vcc_lo
	v_cmp_lt_i32_e32 vcc_lo, v65, v33
	v_or_b32_e32 v0, v9, v10
	;; [unrolled: 5-line block ×3, first 2 shown]
	v_cndmask_b32_e32 v52, 0, v112, vcc_lo
	v_cmp_lt_i32_e32 vcc_lo, v14, v33
	v_cndmask_b32_e32 v35, 0, v35, vcc_lo
	v_or_b32_e32 v9, v52, v35
	s_branch .LBB319_798
.LBB319_1591:
	s_or_b32 exec_lo, exec_lo, s11
	v_mov_b32_e32 v0, s16
	v_mov_b32_e32 v1, s17
	v_mov_b32_e32 v34, v118
	v_mov_b32_e32 v35, v119
	v_mov_b32_e32 v36, v40
	v_mov_b32_e32 v32, v41
.LBB319_1592:
	s_or_b32 exec_lo, exec_lo, s7
	v_lshlrev_b64 v[0:1], 2, v[0:1]
	s_getpc_b64 s[8:9]
	s_add_u32 s8, s8, llvm.amdgcn.dynlds.offset.table@rel32@lo+4
	s_addc_u32 s9, s9, llvm.amdgcn.dynlds.offset.table@rel32@hi+12
	s_waitcnt vmcnt(0) lgkmcnt(0)
	s_waitcnt_vscnt null, 0x0
	s_barrier
	buffer_gl0_inv
	ds_bpermute_b32 v2, v18, v48
	v_add_co_u32 v0, vcc_lo, s8, v0
	v_add_co_ci_u32_e64 v1, null, s9, v1, vcc_lo
	ds_bpermute_b32 v3, v18, v39
	ds_bpermute_b32 v4, v18, v31
	;; [unrolled: 1-line block ×3, first 2 shown]
	global_load_dword v12, v[0:1], off
	ds_bpermute_b32 v0, v18, v38
	ds_bpermute_b32 v1, v18, v49
	;; [unrolled: 1-line block ×8, first 2 shown]
	v_lshrrev_b32_e32 v14, 2, v42
	v_mul_u32_u24_e32 v15, 0x180, v32
	v_and_b32_e32 v32, 0x3c3, v36
	s_waitcnt lgkmcnt(11)
	v_add_f32_e32 v2, v48, v2
	s_mov_b32 s4, exec_lo
	s_waitcnt lgkmcnt(10)
	v_add_f32_e32 v3, v39, v3
	s_waitcnt lgkmcnt(9)
	v_add_f32_e32 v4, v31, v4
	;; [unrolled: 2-line block ×3, first 2 shown]
	v_and_b32_e32 v31, 28, v42
	s_waitcnt lgkmcnt(7)
	v_add_f32_e32 v0, v38, v0
	s_waitcnt lgkmcnt(6)
	v_add_f32_e32 v1, v49, v1
	;; [unrolled: 2-line block ×8, first 2 shown]
	ds_bpermute_b32 v6, v13, v0
	ds_bpermute_b32 v7, v13, v1
	;; [unrolled: 1-line block ×12, first 2 shown]
	s_waitcnt lgkmcnt(11)
	v_add_f32_e32 v11, v0, v6
	s_waitcnt lgkmcnt(10)
	v_add_f32_e32 v10, v1, v7
	;; [unrolled: 2-line block ×12, first 2 shown]
	s_waitcnt vmcnt(0)
	v_add_nc_u32_e32 v13, v12, v31
	v_cmpx_eq_u32_e32 64, v32
	s_cbranch_execz .LBB319_1594
; %bb.1593:
	v_add_nc_u32_e32 v16, v13, v15
	v_add_nc_u32_e32 v17, 0xfffffd00, v16
	;; [unrolled: 1-line block ×8, first 2 shown]
	ds_write_b32 v17, v11
	ds_write_b32 v18, v10
	;; [unrolled: 1-line block ×7, first 2 shown]
	v_add_nc_u32_e32 v17, 0xfffffde0, v16
	v_add_nc_u32_e32 v18, 0xfffffe00, v16
	;; [unrolled: 1-line block ×5, first 2 shown]
	ds_write_b32 v17, v4
	ds_write_b32 v18, v3
	;; [unrolled: 1-line block ×5, first 2 shown]
.LBB319_1594:
	s_or_b32 exec_lo, exec_lo, s4
	v_lshlrev_b32_e32 v14, 2, v14
	s_mov_b32 s7, exec_lo
	v_cmp_eq_u32_e32 vcc_lo, 0, v19
	s_waitcnt lgkmcnt(0)
	s_barrier
	v_add3_u32 v12, v12, v15, v14
	buffer_gl0_inv
	v_cmpx_gt_u32_e32 64, v36
	s_cbranch_execz .LBB319_1609
; %bb.1595:
	s_and_saveexec_b32 s4, vcc_lo
	s_cbranch_execnz .LBB319_1629
; %bb.1596:
	s_or_b32 exec_lo, exec_lo, s4
	s_and_saveexec_b32 s4, vcc_lo
	s_cbranch_execnz .LBB319_1630
.LBB319_1597:
	s_or_b32 exec_lo, exec_lo, s4
	s_and_saveexec_b32 s4, vcc_lo
	s_cbranch_execnz .LBB319_1631
.LBB319_1598:
	s_or_b32 exec_lo, exec_lo, s4
	s_and_saveexec_b32 s4, vcc_lo
	s_cbranch_execnz .LBB319_1632
.LBB319_1599:
	s_or_b32 exec_lo, exec_lo, s4
	s_and_saveexec_b32 s4, vcc_lo
	s_cbranch_execnz .LBB319_1633
.LBB319_1600:
	s_or_b32 exec_lo, exec_lo, s4
	s_and_saveexec_b32 s4, vcc_lo
	s_cbranch_execnz .LBB319_1634
.LBB319_1601:
	s_or_b32 exec_lo, exec_lo, s4
	s_and_saveexec_b32 s4, vcc_lo
	s_cbranch_execnz .LBB319_1635
.LBB319_1602:
	s_or_b32 exec_lo, exec_lo, s4
	s_and_saveexec_b32 s4, vcc_lo
	s_cbranch_execnz .LBB319_1636
.LBB319_1603:
	s_or_b32 exec_lo, exec_lo, s4
	s_and_saveexec_b32 s4, vcc_lo
	s_cbranch_execnz .LBB319_1637
.LBB319_1604:
	s_or_b32 exec_lo, exec_lo, s4
	s_and_saveexec_b32 s4, vcc_lo
	s_cbranch_execnz .LBB319_1638
.LBB319_1605:
	s_or_b32 exec_lo, exec_lo, s4
	s_and_saveexec_b32 s4, vcc_lo
	s_cbranch_execnz .LBB319_1639
.LBB319_1606:
	s_or_b32 exec_lo, exec_lo, s4
	s_and_saveexec_b32 s4, vcc_lo
	s_cbranch_execz .LBB319_1608
.LBB319_1607:
	ds_read_b32 v14, v12 offset:352
	s_waitcnt lgkmcnt(0)
	v_add_f32_e32 v0, v14, v0
.LBB319_1608:
	s_or_b32 exec_lo, exec_lo, s4
.LBB319_1609:
	s_or_b32 exec_lo, exec_lo, s7
	v_and_b32_e32 v14, 0x3e3, v36
	s_mov_b32 s7, exec_lo
	s_barrier
	buffer_gl0_inv
	v_cmpx_eq_u32_e32 32, v14
	s_cbranch_execz .LBB319_1611
; %bb.1610:
	ds_write2_b32 v13, v11, v10 offset1:8
	ds_write2_b32 v13, v9, v8 offset0:16 offset1:24
	ds_write2_b32 v13, v7, v6 offset0:32 offset1:40
	;; [unrolled: 1-line block ×5, first 2 shown]
.LBB319_1611:
	s_or_b32 exec_lo, exec_lo, s7
	s_mov_b32 s7, exec_lo
	s_waitcnt lgkmcnt(0)
	s_barrier
	buffer_gl0_inv
	v_cmpx_gt_u32_e32 32, v36
	s_cbranch_execz .LBB319_1626
; %bb.1612:
	s_and_saveexec_b32 s4, vcc_lo
	s_cbranch_execnz .LBB319_1640
; %bb.1613:
	s_or_b32 exec_lo, exec_lo, s4
	s_and_saveexec_b32 s4, vcc_lo
	s_cbranch_execnz .LBB319_1641
.LBB319_1614:
	s_or_b32 exec_lo, exec_lo, s4
	s_and_saveexec_b32 s4, vcc_lo
	s_cbranch_execnz .LBB319_1642
.LBB319_1615:
	s_or_b32 exec_lo, exec_lo, s4
	s_and_saveexec_b32 s4, vcc_lo
	s_cbranch_execnz .LBB319_1643
.LBB319_1616:
	s_or_b32 exec_lo, exec_lo, s4
	s_and_saveexec_b32 s4, vcc_lo
	s_cbranch_execnz .LBB319_1644
.LBB319_1617:
	s_or_b32 exec_lo, exec_lo, s4
	s_and_saveexec_b32 s4, vcc_lo
	s_cbranch_execnz .LBB319_1645
.LBB319_1618:
	s_or_b32 exec_lo, exec_lo, s4
	s_and_saveexec_b32 s4, vcc_lo
	s_cbranch_execnz .LBB319_1646
.LBB319_1619:
	s_or_b32 exec_lo, exec_lo, s4
	s_and_saveexec_b32 s4, vcc_lo
	s_cbranch_execnz .LBB319_1647
.LBB319_1620:
	s_or_b32 exec_lo, exec_lo, s4
	s_and_saveexec_b32 s4, vcc_lo
	s_cbranch_execnz .LBB319_1648
.LBB319_1621:
	s_or_b32 exec_lo, exec_lo, s4
	s_and_saveexec_b32 s4, vcc_lo
	s_cbranch_execnz .LBB319_1649
.LBB319_1622:
	s_or_b32 exec_lo, exec_lo, s4
	s_and_saveexec_b32 s4, vcc_lo
	s_cbranch_execnz .LBB319_1650
.LBB319_1623:
	s_or_b32 exec_lo, exec_lo, s4
	s_and_saveexec_b32 s4, vcc_lo
	s_cbranch_execz .LBB319_1625
.LBB319_1624:
	ds_read_b32 v12, v12 offset:352
	s_waitcnt lgkmcnt(0)
	v_add_f32_e32 v0, v12, v0
.LBB319_1625:
	s_or_b32 exec_lo, exec_lo, s4
.LBB319_1626:
	s_or_b32 exec_lo, exec_lo, s7
	v_cmp_eq_u32_e32 vcc_lo, 0, v14
	s_barrier
	buffer_gl0_inv
	s_and_b32 exec_lo, exec_lo, vcc_lo
	s_cbranch_execz .LBB319_1628
; %bb.1627:
	s_mulk_i32 s6, 0x60
	s_mul_i32 s4, s10, s5
	s_ashr_i32 s7, s6, 31
	s_ashr_i32 s5, s4, 31
	s_lshl_b64 s[6:7], s[6:7], 1
	s_lshl_b64 s[4:5], s[4:5], 1
	v_add_co_u32 v12, vcc_lo, v35, s6
	v_add_co_ci_u32_e64 v13, null, s7, v34, vcc_lo
	s_mul_i32 s6, s14, 0x60
	v_add_co_u32 v12, vcc_lo, v12, s4
	s_ashr_i32 s7, s6, 31
	v_add_co_ci_u32_e64 v13, null, s5, v13, vcc_lo
	s_lshl_b64 s[4:5], s[6:7], 1
	v_lshrrev_b32_e32 v14, 1, v36
	v_add_co_u32 v12, vcc_lo, v12, s4
	v_add_co_ci_u32_e64 v13, null, s5, v13, vcc_lo
	;;#ASMSTART
	v_cvt_f16_f32 v11, v11;

	;;#ASMEND
	v_add_co_u32 v12, vcc_lo, v12, v14
	v_add_co_ci_u32_e64 v13, null, 0, v13, vcc_lo
	flat_store_short v[12:13], v11
	;;#ASMSTART
	v_cvt_f16_f32 v10, v10;

	;;#ASMEND
	flat_store_short v[12:13], v10 offset:16
	;;#ASMSTART
	v_cvt_f16_f32 v9, v9;

	;;#ASMEND
	flat_store_short v[12:13], v9 offset:32
	;; [unrolled: 5-line block ×11, first 2 shown]
.LBB319_1628:
	s_or_b32 exec_lo, exec_lo, s19
	s_clause 0x2f
	buffer_load_dword v127, off, s[0:3], s32
	buffer_load_dword v126, off, s[0:3], s32 offset:4
	buffer_load_dword v125, off, s[0:3], s32 offset:8
	;; [unrolled: 1-line block ×47, first 2 shown]
	s_waitcnt vmcnt(0) lgkmcnt(0)
	s_setpc_b64 s[30:31]
.LBB319_1629:
	ds_read_b32 v14, v12
	s_waitcnt lgkmcnt(0)
	v_add_f32_e32 v11, v14, v11
	s_or_b32 exec_lo, exec_lo, s4
	s_and_saveexec_b32 s4, vcc_lo
	s_cbranch_execz .LBB319_1597
.LBB319_1630:
	ds_read_b32 v14, v12 offset:32
	s_waitcnt lgkmcnt(0)
	v_add_f32_e32 v10, v14, v10
	s_or_b32 exec_lo, exec_lo, s4
	s_and_saveexec_b32 s4, vcc_lo
	s_cbranch_execz .LBB319_1598
.LBB319_1631:
	ds_read_b32 v14, v12 offset:64
	s_waitcnt lgkmcnt(0)
	v_add_f32_e32 v9, v14, v9
	s_or_b32 exec_lo, exec_lo, s4
	s_and_saveexec_b32 s4, vcc_lo
	s_cbranch_execz .LBB319_1599
.LBB319_1632:
	ds_read_b32 v14, v12 offset:96
	s_waitcnt lgkmcnt(0)
	v_add_f32_e32 v8, v14, v8
	s_or_b32 exec_lo, exec_lo, s4
	s_and_saveexec_b32 s4, vcc_lo
	s_cbranch_execz .LBB319_1600
.LBB319_1633:
	ds_read_b32 v14, v12 offset:128
	s_waitcnt lgkmcnt(0)
	v_add_f32_e32 v7, v14, v7
	s_or_b32 exec_lo, exec_lo, s4
	s_and_saveexec_b32 s4, vcc_lo
	s_cbranch_execz .LBB319_1601
.LBB319_1634:
	ds_read_b32 v14, v12 offset:160
	s_waitcnt lgkmcnt(0)
	v_add_f32_e32 v6, v14, v6
	s_or_b32 exec_lo, exec_lo, s4
	s_and_saveexec_b32 s4, vcc_lo
	s_cbranch_execz .LBB319_1602
.LBB319_1635:
	ds_read_b32 v14, v12 offset:192
	s_waitcnt lgkmcnt(0)
	v_add_f32_e32 v5, v14, v5
	s_or_b32 exec_lo, exec_lo, s4
	s_and_saveexec_b32 s4, vcc_lo
	s_cbranch_execz .LBB319_1603
.LBB319_1636:
	ds_read_b32 v14, v12 offset:224
	s_waitcnt lgkmcnt(0)
	v_add_f32_e32 v4, v14, v4
	s_or_b32 exec_lo, exec_lo, s4
	s_and_saveexec_b32 s4, vcc_lo
	s_cbranch_execz .LBB319_1604
.LBB319_1637:
	ds_read_b32 v14, v12 offset:256
	s_waitcnt lgkmcnt(0)
	v_add_f32_e32 v3, v14, v3
	s_or_b32 exec_lo, exec_lo, s4
	s_and_saveexec_b32 s4, vcc_lo
	s_cbranch_execz .LBB319_1605
.LBB319_1638:
	ds_read_b32 v14, v12 offset:288
	s_waitcnt lgkmcnt(0)
	v_add_f32_e32 v2, v14, v2
	s_or_b32 exec_lo, exec_lo, s4
	s_and_saveexec_b32 s4, vcc_lo
	s_cbranch_execz .LBB319_1606
.LBB319_1639:
	ds_read_b32 v14, v12 offset:320
	s_waitcnt lgkmcnt(0)
	v_add_f32_e32 v1, v14, v1
	s_or_b32 exec_lo, exec_lo, s4
	s_and_saveexec_b32 s4, vcc_lo
	s_cbranch_execnz .LBB319_1607
	s_branch .LBB319_1608
.LBB319_1640:
	ds_read_b32 v13, v12
	s_waitcnt lgkmcnt(0)
	v_add_f32_e32 v11, v13, v11
	s_or_b32 exec_lo, exec_lo, s4
	s_and_saveexec_b32 s4, vcc_lo
	s_cbranch_execz .LBB319_1614
.LBB319_1641:
	ds_read_b32 v13, v12 offset:32
	s_waitcnt lgkmcnt(0)
	v_add_f32_e32 v10, v13, v10
	s_or_b32 exec_lo, exec_lo, s4
	s_and_saveexec_b32 s4, vcc_lo
	s_cbranch_execz .LBB319_1615
.LBB319_1642:
	ds_read_b32 v13, v12 offset:64
	s_waitcnt lgkmcnt(0)
	v_add_f32_e32 v9, v13, v9
	s_or_b32 exec_lo, exec_lo, s4
	s_and_saveexec_b32 s4, vcc_lo
	s_cbranch_execz .LBB319_1616
.LBB319_1643:
	ds_read_b32 v13, v12 offset:96
	s_waitcnt lgkmcnt(0)
	v_add_f32_e32 v8, v13, v8
	s_or_b32 exec_lo, exec_lo, s4
	s_and_saveexec_b32 s4, vcc_lo
	s_cbranch_execz .LBB319_1617
.LBB319_1644:
	ds_read_b32 v13, v12 offset:128
	s_waitcnt lgkmcnt(0)
	v_add_f32_e32 v7, v13, v7
	s_or_b32 exec_lo, exec_lo, s4
	s_and_saveexec_b32 s4, vcc_lo
	s_cbranch_execz .LBB319_1618
.LBB319_1645:
	ds_read_b32 v13, v12 offset:160
	s_waitcnt lgkmcnt(0)
	v_add_f32_e32 v6, v13, v6
	s_or_b32 exec_lo, exec_lo, s4
	s_and_saveexec_b32 s4, vcc_lo
	s_cbranch_execz .LBB319_1619
.LBB319_1646:
	ds_read_b32 v13, v12 offset:192
	s_waitcnt lgkmcnt(0)
	v_add_f32_e32 v5, v13, v5
	s_or_b32 exec_lo, exec_lo, s4
	s_and_saveexec_b32 s4, vcc_lo
	s_cbranch_execz .LBB319_1620
.LBB319_1647:
	ds_read_b32 v13, v12 offset:224
	s_waitcnt lgkmcnt(0)
	v_add_f32_e32 v4, v13, v4
	s_or_b32 exec_lo, exec_lo, s4
	s_and_saveexec_b32 s4, vcc_lo
	s_cbranch_execz .LBB319_1621
.LBB319_1648:
	ds_read_b32 v13, v12 offset:256
	s_waitcnt lgkmcnt(0)
	v_add_f32_e32 v3, v13, v3
	s_or_b32 exec_lo, exec_lo, s4
	s_and_saveexec_b32 s4, vcc_lo
	s_cbranch_execz .LBB319_1622
.LBB319_1649:
	ds_read_b32 v13, v12 offset:288
	s_waitcnt lgkmcnt(0)
	v_add_f32_e32 v2, v13, v2
	s_or_b32 exec_lo, exec_lo, s4
	s_and_saveexec_b32 s4, vcc_lo
	s_cbranch_execz .LBB319_1623
.LBB319_1650:
	ds_read_b32 v13, v12 offset:320
	s_waitcnt lgkmcnt(0)
	v_add_f32_e32 v1, v13, v1
	s_or_b32 exec_lo, exec_lo, s4
	s_and_saveexec_b32 s4, vcc_lo
	s_cbranch_execnz .LBB319_1624
	s_branch .LBB319_1625
.Lfunc_end319:
	.size	_ZN4vllm22paged_attention_kernelIthLi96ELi32ELi128ELNS_18Fp8KVCacheDataTypeE1ELb0ELi512EEEvPfS2_PT_PKS3_PKT0_S9_ifPKiSB_iPKfiiiSD_SD_iiiii, .Lfunc_end319-_ZN4vllm22paged_attention_kernelIthLi96ELi32ELi128ELNS_18Fp8KVCacheDataTypeE1ELb0ELi512EEEvPfS2_PT_PKS3_PKT0_S9_ifPKiSB_iPKfiiiSD_SD_iiiii
                                        ; -- End function
	.set .L_ZN4vllm22paged_attention_kernelIthLi96ELi32ELi128ELNS_18Fp8KVCacheDataTypeE1ELb0ELi512EEEvPfS2_PT_PKS3_PKT0_S9_ifPKiSB_iPKfiiiSD_SD_iiiii.num_vgpr, 128
	.set .L_ZN4vllm22paged_attention_kernelIthLi96ELi32ELi128ELNS_18Fp8KVCacheDataTypeE1ELb0ELi512EEEvPfS2_PT_PKS3_PKT0_S9_ifPKiSB_iPKfiiiSD_SD_iiiii.num_agpr, 0
	.set .L_ZN4vllm22paged_attention_kernelIthLi96ELi32ELi128ELNS_18Fp8KVCacheDataTypeE1ELb0ELi512EEEvPfS2_PT_PKS3_PKT0_S9_ifPKiSB_iPKfiiiSD_SD_iiiii.numbered_sgpr, 33
	.set .L_ZN4vllm22paged_attention_kernelIthLi96ELi32ELi128ELNS_18Fp8KVCacheDataTypeE1ELb0ELi512EEEvPfS2_PT_PKS3_PKT0_S9_ifPKiSB_iPKfiiiSD_SD_iiiii.num_named_barrier, 0
	.set .L_ZN4vllm22paged_attention_kernelIthLi96ELi32ELi128ELNS_18Fp8KVCacheDataTypeE1ELb0ELi512EEEvPfS2_PT_PKS3_PKT0_S9_ifPKiSB_iPKfiiiSD_SD_iiiii.private_seg_size, 308
	.set .L_ZN4vllm22paged_attention_kernelIthLi96ELi32ELi128ELNS_18Fp8KVCacheDataTypeE1ELb0ELi512EEEvPfS2_PT_PKS3_PKT0_S9_ifPKiSB_iPKfiiiSD_SD_iiiii.uses_vcc, 1
	.set .L_ZN4vllm22paged_attention_kernelIthLi96ELi32ELi128ELNS_18Fp8KVCacheDataTypeE1ELb0ELi512EEEvPfS2_PT_PKS3_PKT0_S9_ifPKiSB_iPKfiiiSD_SD_iiiii.uses_flat_scratch, 0
	.set .L_ZN4vllm22paged_attention_kernelIthLi96ELi32ELi128ELNS_18Fp8KVCacheDataTypeE1ELb0ELi512EEEvPfS2_PT_PKS3_PKT0_S9_ifPKiSB_iPKfiiiSD_SD_iiiii.has_dyn_sized_stack, 0
	.set .L_ZN4vllm22paged_attention_kernelIthLi96ELi32ELi128ELNS_18Fp8KVCacheDataTypeE1ELb0ELi512EEEvPfS2_PT_PKS3_PKT0_S9_ifPKiSB_iPKfiiiSD_SD_iiiii.has_recursion, 0
	.set .L_ZN4vllm22paged_attention_kernelIthLi96ELi32ELi128ELNS_18Fp8KVCacheDataTypeE1ELb0ELi512EEEvPfS2_PT_PKS3_PKT0_S9_ifPKiSB_iPKfiiiSD_SD_iiiii.has_indirect_call, 0
	.section	.AMDGPU.csdata,"",@progbits
; Function info:
; codeLenInByte = 54776
; TotalNumSgprs: 35
; NumVgprs: 128
; ScratchSize: 308
; MemoryBound: 0
	.section	.text._ZN4vllm25paged_attention_v2_kernelIthLi96ELi32ELi128ELNS_18Fp8KVCacheDataTypeE1ELb0ELi512EEEvPfS2_PT_PKS3_PKT0_S9_ifPKiSB_iPKfiiiSD_SD_iiiii,"axG",@progbits,_ZN4vllm25paged_attention_v2_kernelIthLi96ELi32ELi128ELNS_18Fp8KVCacheDataTypeE1ELb0ELi512EEEvPfS2_PT_PKS3_PKT0_S9_ifPKiSB_iPKfiiiSD_SD_iiiii,comdat
	.protected	_ZN4vllm25paged_attention_v2_kernelIthLi96ELi32ELi128ELNS_18Fp8KVCacheDataTypeE1ELb0ELi512EEEvPfS2_PT_PKS3_PKT0_S9_ifPKiSB_iPKfiiiSD_SD_iiiii ; -- Begin function _ZN4vllm25paged_attention_v2_kernelIthLi96ELi32ELi128ELNS_18Fp8KVCacheDataTypeE1ELb0ELi512EEEvPfS2_PT_PKS3_PKT0_S9_ifPKiSB_iPKfiiiSD_SD_iiiii
	.globl	_ZN4vllm25paged_attention_v2_kernelIthLi96ELi32ELi128ELNS_18Fp8KVCacheDataTypeE1ELb0ELi512EEEvPfS2_PT_PKS3_PKT0_S9_ifPKiSB_iPKfiiiSD_SD_iiiii
	.p2align	8
	.type	_ZN4vllm25paged_attention_v2_kernelIthLi96ELi32ELi128ELNS_18Fp8KVCacheDataTypeE1ELb0ELi512EEEvPfS2_PT_PKS3_PKT0_S9_ifPKiSB_iPKfiiiSD_SD_iiiii,@function
_ZN4vllm25paged_attention_v2_kernelIthLi96ELi32ELi128ELNS_18Fp8KVCacheDataTypeE1ELb0ELi512EEEvPfS2_PT_PKS3_PKT0_S9_ifPKiSB_iPKfiiiSD_SD_iiiii: ; @_ZN4vllm25paged_attention_v2_kernelIthLi96ELi32ELi128ELNS_18Fp8KVCacheDataTypeE1ELb0ELi512EEEvPfS2_PT_PKS3_PKT0_S9_ifPKiSB_iPKfiiiSD_SD_iiiii
; %bb.0:
	s_clause 0x5
	s_load_dwordx8 s[24:31], s[4:5], 0x0
	s_load_dwordx8 s[16:23], s[4:5], 0x20
	s_load_dwordx2 s[10:11], s[4:5], 0x40
	s_load_dwordx2 s[34:35], s[4:5], 0x50
	s_load_dword s13, s[4:5], 0x48
	s_load_dwordx8 s[36:43], s[4:5], 0x58
	s_add_u32 s0, s0, s9
	s_addc_u32 s1, s1, 0
	v_mov_b32_e32 v31, v0
	s_mov_b32 s14, s8
	s_add_u32 s8, s4, 0x90
	s_addc_u32 s9, s5, 0
	s_getpc_b64 s[4:5]
	s_add_u32 s4, s4, _ZN4vllm22paged_attention_kernelIthLi96ELi32ELi128ELNS_18Fp8KVCacheDataTypeE1ELb0ELi512EEEvPfS2_PT_PKS3_PKT0_S9_ifPKiSB_iPKfiiiSD_SD_iiiii@rel32@lo+4
	s_addc_u32 s5, s5, _ZN4vllm22paged_attention_kernelIthLi96ELi32ELi128ELNS_18Fp8KVCacheDataTypeE1ELb0ELi512EEEvPfS2_PT_PKS3_PKT0_S9_ifPKiSB_iPKfiiiSD_SD_iiiii@rel32@hi+12
	s_mov_b32 s12, s6
	s_mov_b32 s15, 48
	;; [unrolled: 1-line block ×3, first 2 shown]
	s_waitcnt lgkmcnt(0)
	v_mov_b32_e32 v0, s24
	v_mov_b32_e32 v1, s25
	;; [unrolled: 1-line block ×28, first 2 shown]
	s_mov_b32 s13, s7
	s_swappc_b64 s[30:31], s[4:5]
	s_endpgm
	.section	.rodata,"a",@progbits
	.p2align	6, 0x0
	.amdhsa_kernel _ZN4vllm25paged_attention_v2_kernelIthLi96ELi32ELi128ELNS_18Fp8KVCacheDataTypeE1ELb0ELi512EEEvPfS2_PT_PKS3_PKT0_S9_ifPKiSB_iPKfiiiSD_SD_iiiii
		.amdhsa_group_segment_fixed_size 224
		.amdhsa_private_segment_fixed_size 308
		.amdhsa_kernarg_size 400
		.amdhsa_user_sgpr_count 6
		.amdhsa_user_sgpr_private_segment_buffer 1
		.amdhsa_user_sgpr_dispatch_ptr 0
		.amdhsa_user_sgpr_queue_ptr 0
		.amdhsa_user_sgpr_kernarg_segment_ptr 1
		.amdhsa_user_sgpr_dispatch_id 0
		.amdhsa_user_sgpr_flat_scratch_init 0
		.amdhsa_user_sgpr_private_segment_size 0
		.amdhsa_wavefront_size32 1
		.amdhsa_uses_dynamic_stack 0
		.amdhsa_system_sgpr_private_segment_wavefront_offset 1
		.amdhsa_system_sgpr_workgroup_id_x 1
		.amdhsa_system_sgpr_workgroup_id_y 1
		.amdhsa_system_sgpr_workgroup_id_z 1
		.amdhsa_system_sgpr_workgroup_info 0
		.amdhsa_system_vgpr_workitem_id 0
		.amdhsa_next_free_vgpr 128
		.amdhsa_next_free_sgpr 44
		.amdhsa_reserve_vcc 1
		.amdhsa_reserve_flat_scratch 0
		.amdhsa_float_round_mode_32 0
		.amdhsa_float_round_mode_16_64 0
		.amdhsa_float_denorm_mode_32 3
		.amdhsa_float_denorm_mode_16_64 3
		.amdhsa_dx10_clamp 1
		.amdhsa_ieee_mode 1
		.amdhsa_fp16_overflow 0
		.amdhsa_workgroup_processor_mode 1
		.amdhsa_memory_ordered 1
		.amdhsa_forward_progress 1
		.amdhsa_shared_vgpr_count 0
		.amdhsa_exception_fp_ieee_invalid_op 0
		.amdhsa_exception_fp_denorm_src 0
		.amdhsa_exception_fp_ieee_div_zero 0
		.amdhsa_exception_fp_ieee_overflow 0
		.amdhsa_exception_fp_ieee_underflow 0
		.amdhsa_exception_fp_ieee_inexact 0
		.amdhsa_exception_int_div_zero 0
	.end_amdhsa_kernel
	.section	.text._ZN4vllm25paged_attention_v2_kernelIthLi96ELi32ELi128ELNS_18Fp8KVCacheDataTypeE1ELb0ELi512EEEvPfS2_PT_PKS3_PKT0_S9_ifPKiSB_iPKfiiiSD_SD_iiiii,"axG",@progbits,_ZN4vllm25paged_attention_v2_kernelIthLi96ELi32ELi128ELNS_18Fp8KVCacheDataTypeE1ELb0ELi512EEEvPfS2_PT_PKS3_PKT0_S9_ifPKiSB_iPKfiiiSD_SD_iiiii,comdat
.Lfunc_end320:
	.size	_ZN4vllm25paged_attention_v2_kernelIthLi96ELi32ELi128ELNS_18Fp8KVCacheDataTypeE1ELb0ELi512EEEvPfS2_PT_PKS3_PKT0_S9_ifPKiSB_iPKfiiiSD_SD_iiiii, .Lfunc_end320-_ZN4vllm25paged_attention_v2_kernelIthLi96ELi32ELi128ELNS_18Fp8KVCacheDataTypeE1ELb0ELi512EEEvPfS2_PT_PKS3_PKT0_S9_ifPKiSB_iPKfiiiSD_SD_iiiii
                                        ; -- End function
	.set _ZN4vllm25paged_attention_v2_kernelIthLi96ELi32ELi128ELNS_18Fp8KVCacheDataTypeE1ELb0ELi512EEEvPfS2_PT_PKS3_PKT0_S9_ifPKiSB_iPKfiiiSD_SD_iiiii.num_vgpr, max(32, .L_ZN4vllm22paged_attention_kernelIthLi96ELi32ELi128ELNS_18Fp8KVCacheDataTypeE1ELb0ELi512EEEvPfS2_PT_PKS3_PKT0_S9_ifPKiSB_iPKfiiiSD_SD_iiiii.num_vgpr)
	.set _ZN4vllm25paged_attention_v2_kernelIthLi96ELi32ELi128ELNS_18Fp8KVCacheDataTypeE1ELb0ELi512EEEvPfS2_PT_PKS3_PKT0_S9_ifPKiSB_iPKfiiiSD_SD_iiiii.num_agpr, max(0, .L_ZN4vllm22paged_attention_kernelIthLi96ELi32ELi128ELNS_18Fp8KVCacheDataTypeE1ELb0ELi512EEEvPfS2_PT_PKS3_PKT0_S9_ifPKiSB_iPKfiiiSD_SD_iiiii.num_agpr)
	.set _ZN4vllm25paged_attention_v2_kernelIthLi96ELi32ELi128ELNS_18Fp8KVCacheDataTypeE1ELb0ELi512EEEvPfS2_PT_PKS3_PKT0_S9_ifPKiSB_iPKfiiiSD_SD_iiiii.numbered_sgpr, max(44, .L_ZN4vllm22paged_attention_kernelIthLi96ELi32ELi128ELNS_18Fp8KVCacheDataTypeE1ELb0ELi512EEEvPfS2_PT_PKS3_PKT0_S9_ifPKiSB_iPKfiiiSD_SD_iiiii.numbered_sgpr)
	.set _ZN4vllm25paged_attention_v2_kernelIthLi96ELi32ELi128ELNS_18Fp8KVCacheDataTypeE1ELb0ELi512EEEvPfS2_PT_PKS3_PKT0_S9_ifPKiSB_iPKfiiiSD_SD_iiiii.num_named_barrier, max(0, .L_ZN4vllm22paged_attention_kernelIthLi96ELi32ELi128ELNS_18Fp8KVCacheDataTypeE1ELb0ELi512EEEvPfS2_PT_PKS3_PKT0_S9_ifPKiSB_iPKfiiiSD_SD_iiiii.num_named_barrier)
	.set _ZN4vllm25paged_attention_v2_kernelIthLi96ELi32ELi128ELNS_18Fp8KVCacheDataTypeE1ELb0ELi512EEEvPfS2_PT_PKS3_PKT0_S9_ifPKiSB_iPKfiiiSD_SD_iiiii.private_seg_size, 0+max(.L_ZN4vllm22paged_attention_kernelIthLi96ELi32ELi128ELNS_18Fp8KVCacheDataTypeE1ELb0ELi512EEEvPfS2_PT_PKS3_PKT0_S9_ifPKiSB_iPKfiiiSD_SD_iiiii.private_seg_size)
	.set _ZN4vllm25paged_attention_v2_kernelIthLi96ELi32ELi128ELNS_18Fp8KVCacheDataTypeE1ELb0ELi512EEEvPfS2_PT_PKS3_PKT0_S9_ifPKiSB_iPKfiiiSD_SD_iiiii.uses_vcc, or(1, .L_ZN4vllm22paged_attention_kernelIthLi96ELi32ELi128ELNS_18Fp8KVCacheDataTypeE1ELb0ELi512EEEvPfS2_PT_PKS3_PKT0_S9_ifPKiSB_iPKfiiiSD_SD_iiiii.uses_vcc)
	.set _ZN4vllm25paged_attention_v2_kernelIthLi96ELi32ELi128ELNS_18Fp8KVCacheDataTypeE1ELb0ELi512EEEvPfS2_PT_PKS3_PKT0_S9_ifPKiSB_iPKfiiiSD_SD_iiiii.uses_flat_scratch, or(0, .L_ZN4vllm22paged_attention_kernelIthLi96ELi32ELi128ELNS_18Fp8KVCacheDataTypeE1ELb0ELi512EEEvPfS2_PT_PKS3_PKT0_S9_ifPKiSB_iPKfiiiSD_SD_iiiii.uses_flat_scratch)
	.set _ZN4vllm25paged_attention_v2_kernelIthLi96ELi32ELi128ELNS_18Fp8KVCacheDataTypeE1ELb0ELi512EEEvPfS2_PT_PKS3_PKT0_S9_ifPKiSB_iPKfiiiSD_SD_iiiii.has_dyn_sized_stack, or(0, .L_ZN4vllm22paged_attention_kernelIthLi96ELi32ELi128ELNS_18Fp8KVCacheDataTypeE1ELb0ELi512EEEvPfS2_PT_PKS3_PKT0_S9_ifPKiSB_iPKfiiiSD_SD_iiiii.has_dyn_sized_stack)
	.set _ZN4vllm25paged_attention_v2_kernelIthLi96ELi32ELi128ELNS_18Fp8KVCacheDataTypeE1ELb0ELi512EEEvPfS2_PT_PKS3_PKT0_S9_ifPKiSB_iPKfiiiSD_SD_iiiii.has_recursion, or(0, .L_ZN4vllm22paged_attention_kernelIthLi96ELi32ELi128ELNS_18Fp8KVCacheDataTypeE1ELb0ELi512EEEvPfS2_PT_PKS3_PKT0_S9_ifPKiSB_iPKfiiiSD_SD_iiiii.has_recursion)
	.set _ZN4vllm25paged_attention_v2_kernelIthLi96ELi32ELi128ELNS_18Fp8KVCacheDataTypeE1ELb0ELi512EEEvPfS2_PT_PKS3_PKT0_S9_ifPKiSB_iPKfiiiSD_SD_iiiii.has_indirect_call, or(0, .L_ZN4vllm22paged_attention_kernelIthLi96ELi32ELi128ELNS_18Fp8KVCacheDataTypeE1ELb0ELi512EEEvPfS2_PT_PKS3_PKT0_S9_ifPKiSB_iPKfiiiSD_SD_iiiii.has_indirect_call)
	.section	.AMDGPU.csdata,"",@progbits
; Kernel info:
; codeLenInByte = 240
; TotalNumSgprs: 46
; NumVgprs: 128
; ScratchSize: 308
; MemoryBound: 0
; FloatMode: 240
; IeeeMode: 1
; LDSByteSize: 224 bytes/workgroup (compile time only)
; SGPRBlocks: 0
; VGPRBlocks: 15
; NumSGPRsForWavesPerEU: 46
; NumVGPRsForWavesPerEU: 128
; Occupancy: 8
; WaveLimiterHint : 1
; COMPUTE_PGM_RSRC2:SCRATCH_EN: 1
; COMPUTE_PGM_RSRC2:USER_SGPR: 6
; COMPUTE_PGM_RSRC2:TRAP_HANDLER: 0
; COMPUTE_PGM_RSRC2:TGID_X_EN: 1
; COMPUTE_PGM_RSRC2:TGID_Y_EN: 1
; COMPUTE_PGM_RSRC2:TGID_Z_EN: 1
; COMPUTE_PGM_RSRC2:TIDIG_COMP_CNT: 0
	.text
	.p2align	2                               ; -- Begin function _ZN4vllm22paged_attention_kernelIthLi112ELi32ELi128ELNS_18Fp8KVCacheDataTypeE1ELb0ELi512EEEvPfS2_PT_PKS3_PKT0_S9_ifPKiSB_iPKfiiiSD_SD_iiiii
	.type	_ZN4vllm22paged_attention_kernelIthLi112ELi32ELi128ELNS_18Fp8KVCacheDataTypeE1ELb0ELi512EEEvPfS2_PT_PKS3_PKT0_S9_ifPKiSB_iPKfiiiSD_SD_iiiii,@function
_ZN4vllm22paged_attention_kernelIthLi112ELi32ELi128ELNS_18Fp8KVCacheDataTypeE1ELb0ELi512EEEvPfS2_PT_PKS3_PKT0_S9_ifPKiSB_iPKfiiiSD_SD_iiiii: ; @_ZN4vllm22paged_attention_kernelIthLi112ELi32ELi128ELNS_18Fp8KVCacheDataTypeE1ELb0ELi512EEEvPfS2_PT_PKS3_PKT0_S9_ifPKiSB_iPKfiiiSD_SD_iiiii
; %bb.0:
	s_waitcnt vmcnt(0) expcnt(0) lgkmcnt(0)
	buffer_store_dword v40, off, s[0:3], s32 offset:188 ; 4-byte Folded Spill
	buffer_store_dword v41, off, s[0:3], s32 offset:184 ; 4-byte Folded Spill
	;; [unrolled: 1-line block ×47, first 2 shown]
	buffer_store_dword v127, off, s[0:3], s32 ; 4-byte Folded Spill
	s_mov_b32 s18, s13
	s_ashr_i32 s19, s13, 31
	buffer_store_dword v24, off, s[0:3], s32 offset:260 ; 4-byte Folded Spill
	buffer_store_dword v25, off, s[0:3], s32 offset:264 ; 4-byte Folded Spill
	;; [unrolled: 1-line block ×10, first 2 shown]
	s_lshl_b64 s[4:5], s[18:19], 2
	v_mov_b32_e32 v15, v0
	v_add_co_u32 v0, vcc_lo, v16, s4
	v_mov_b32_e32 v14, v1
	v_add_co_ci_u32_e64 v1, null, s5, v17, vcc_lo
	v_mov_b32_e32 v22, v3
	v_mov_b32_e32 v24, v2
	s_lshl_b32 s20, s14, 9
	flat_load_dword v33, v[0:1]
	s_mov_b32 s19, exec_lo
	s_waitcnt vmcnt(0) lgkmcnt(0)
	v_cmpx_lt_i32_e64 s20, v33
	s_cbranch_execz .LBB321_1892
; %bb.1:
	v_sub_nc_u32_e32 v0, 0, v12
	s_clause 0x1
	s_load_dword s4, s[8:9], 0x10
	s_load_dword s5, s[8:9], 0x0
	s_mov_b32 s16, s15
	v_max_i32_e32 v0, v12, v0
	v_cvt_f32_u32_e32 v1, v0
	v_sub_nc_u32_e32 v2, 0, v0
	v_rcp_iflag_f32_e32 v1, v1
	s_waitcnt lgkmcnt(0)
	s_lshr_b32 s4, s4, 16
	s_cmp_lg_u32 s4, 0
	s_cselect_b32 s4, -1, 0
	v_mul_f32_e32 v1, 0x4f7ffffe, v1
	s_cmp_lg_u32 s4, 0
	s_addc_u32 s15, s5, 0
	s_mov_b32 s5, exec_lo
	v_cvt_u32_f32_e32 v1, v1
	s_abs_i32 s4, s15
	v_mul_lo_u32 v2, v2, v1
	v_mul_hi_u32 v2, v1, v2
	v_add_nc_u32_e32 v1, v1, v2
	v_mul_hi_u32 v1, s4, v1
	v_mul_lo_u32 v2, v1, v0
	v_add_nc_u32_e32 v3, 1, v1
	v_sub_nc_u32_e32 v2, s4, v2
	s_abs_i32 s4, s12
	v_sub_nc_u32_e32 v4, v2, v0
	v_cmp_ge_u32_e32 vcc_lo, v2, v0
	v_cndmask_b32_e32 v1, v1, v3, vcc_lo
	v_cndmask_b32_e32 v2, v2, v4, vcc_lo
	v_xor_b32_e32 v3, s15, v12
	v_add_nc_u32_e32 v4, 1, v1
	v_cmp_ge_u32_e32 vcc_lo, v2, v0
	v_ashrrev_i32_e32 v3, 31, v3
	v_cndmask_b32_e32 v0, v1, v4, vcc_lo
	v_xor_b32_e32 v0, v0, v3
	v_sub_nc_u32_e32 v1, v0, v3
	v_sub_nc_u32_e32 v0, 0, v1
	v_max_i32_e32 v0, v1, v0
	v_cvt_f32_u32_e32 v2, v0
	v_sub_nc_u32_e32 v3, 0, v0
	v_rcp_iflag_f32_e32 v2, v2
	v_mul_f32_e32 v2, 0x4f7ffffe, v2
	v_cvt_u32_f32_e32 v2, v2
	v_mul_lo_u32 v3, v3, v2
	v_mul_hi_u32 v3, v2, v3
	v_add_nc_u32_e32 v2, v2, v3
	v_mad_u64_u32 v[16:17], null, s4, v2, 0
	v_mov_b32_e32 v2, 0
	buffer_store_dword v2, off, s[0:3], s32 offset:272 ; 4-byte Folded Spill
	v_cmpx_ne_u64_e32 0, v[19:20]
	s_cbranch_execz .LBB321_3
; %bb.2:
	s_ashr_i32 s13, s12, 31
	s_lshl_b64 s[6:7], s[12:13], 2
	v_add_co_u32 v2, vcc_lo, v19, s6
	v_add_co_ci_u32_e64 v3, null, s7, v20, vcc_lo
	flat_load_dword v2, v[2:3]
	s_waitcnt vmcnt(0) lgkmcnt(0)
	buffer_store_dword v2, off, s[0:3], s32 offset:272 ; 4-byte Folded Spill
.LBB321_3:
	s_or_b32 exec_lo, exec_lo, s5
	v_and_b32_e32 v11, 0x3ff, v31
	v_ashrrev_i32_e32 v1, 31, v1
	s_ashr_i32 s5, s12, 31
	s_mul_i32 s10, s12, 0x70
	s_mov_b32 s6, exec_lo
	v_cmpx_gt_u32_e32 14, v11
	s_cbranch_execz .LBB321_5
; %bb.4:
	v_mul_lo_u32 v2, v21, s18
	s_ashr_i32 s11, s10, 31
	v_lshlrev_b32_e32 v10, 4, v11
	s_lshl_b64 s[22:23], s[10:11], 1
	v_ashrrev_i32_e32 v3, 31, v2
	v_lshlrev_b64 v[2:3], 1, v[2:3]
	v_add_co_u32 v2, vcc_lo, v6, v2
	v_add_co_ci_u32_e64 v3, null, v7, v3, vcc_lo
	v_add_co_u32 v2, vcc_lo, v2, s22
	v_add_co_ci_u32_e64 v3, null, s23, v3, vcc_lo
	;; [unrolled: 2-line block ×3, first 2 shown]
	flat_load_dwordx4 v[2:5], v[2:3]
	s_waitcnt vmcnt(0) lgkmcnt(0)
	ds_write_b128 v10, v[2:5]
.LBB321_5:
	s_or_b32 exec_lo, exec_lo, s6
	v_mul_lo_u32 v2, v17, v0
	v_add_nc_u32_e32 v3, 1, v17
	v_add_nc_u32_e32 v4, 31, v33
	v_xor_b32_e32 v1, s5, v1
	s_clause 0x1
	s_load_dword s11, s[8:9], 0x14
	s_load_dword s8, s[8:9], 0x8
	s_lshl_b32 s9, s14, 4
	s_mov_b32 s13, exec_lo
	v_ashrrev_i32_e32 v6, 31, v4
	v_sub_nc_u32_e32 v2, s4, v2
	s_add_i32 s4, s9, 16
	v_lshrrev_b32_e32 v6, 27, v6
	v_sub_nc_u32_e32 v5, v2, v0
	v_cmp_ge_u32_e32 vcc_lo, v2, v0
	v_cndmask_b32_e32 v3, v17, v3, vcc_lo
	v_cndmask_b32_e32 v2, v2, v5, vcc_lo
	v_add_nc_u32_e32 v5, 1, v3
	v_cmp_ge_u32_e32 vcc_lo, v2, v0
	v_mul_lo_u32 v0, v18, s18
	v_cndmask_b32_e32 v2, v3, v5, vcc_lo
	v_add_nc_u32_e32 v3, v4, v6
	v_lshrrev_b32_e32 v4, 5, v11
	v_xor_b32_e32 v2, v2, v1
	v_ashrrev_i32_e32 v5, 5, v3
	v_add_nc_u32_e32 v3, s9, v4
	buffer_store_dword v4, off, s[0:3], s32 offset:292 ; 4-byte Folded Spill
	v_sub_nc_u32_e32 v2, v2, v1
	v_ashrrev_i32_e32 v1, 31, v0
	v_min_i32_e32 v79, s4, v5
	v_ashrrev_i32_e32 v4, 31, v3
	buffer_store_dword v5, off, s[0:3], s32 offset:336 ; 4-byte Folded Spill
	v_mul_lo_u32 v6, v2, v23
	v_lshlrev_b64 v[0:1], 2, v[0:1]
	v_cmp_ge_i32_e64 s4, v3, v79
	v_and_b32_e32 v2, 31, v11
	buffer_store_dword v0, off, s[0:3], s32 offset:320 ; 4-byte Folded Spill
	buffer_store_dword v1, off, s[0:3], s32 offset:324 ; 4-byte Folded Spill
	buffer_store_dword v3, off, s[0:3], s32 offset:192 ; 4-byte Folded Spill
	buffer_store_dword v4, off, s[0:3], s32 offset:196 ; 4-byte Folded Spill
	buffer_store_dword v6, off, s[0:3], s32 offset:328 ; 4-byte Folded Spill
	v_mov_b32_e32 v5, 0xff7fffff
	v_ashrrev_i32_e32 v0, 31, v6
	v_lshlrev_b32_e32 v10, 2, v2
	buffer_store_dword v0, off, s[0:3], s32 offset:332 ; 4-byte Folded Spill
	buffer_store_dword v2, off, s[0:3], s32 offset:288 ; 4-byte Folded Spill
	s_waitcnt lgkmcnt(0)
	s_waitcnt_vscnt null, 0x0
	s_barrier
	buffer_gl0_inv
	v_cmpx_lt_i32_e64 v3, v79
	s_cbranch_execz .LBB321_905
; %bb.6:
	buffer_store_dword v24, off, s[0:3], s32 offset:356 ; 4-byte Folded Spill
	buffer_store_dword v22, off, s[0:3], s32 offset:352 ; 4-byte Folded Spill
	;; [unrolled: 1-line block ×5, first 2 shown]
	s_clause 0x1
	buffer_load_dword v5, off, s[0:3], s32 offset:288
	buffer_load_dword v0, off, s[0:3], s32 offset:328
	s_getpc_b64 s[6:7]
	s_add_u32 s6, s6, llvm.amdgcn.dynlds.offset.table@rel32@lo+4
	s_addc_u32 s7, s7, llvm.amdgcn.dynlds.offset.table@rel32@hi+12
	s_ashr_i32 s17, s16, 31
	v_mov_b32_e32 v51, 0x80
	s_lshl_b64 s[22:23], s[16:17], 2
	s_mov_b32 s17, 0
	s_add_u32 s6, s6, s22
	s_addc_u32 s7, s7, s23
	s_load_dword s6, s[6:7], 0x0
	s_waitcnt vmcnt(1)
	v_lshlrev_b32_e32 v2, 4, v5
	s_waitcnt vmcnt(0)
	v_add_co_u32 v3, vcc_lo, v8, v0
	s_clause 0x2
	buffer_load_dword v0, off, s[0:3], s32 offset:332
	buffer_load_dword v6, off, s[0:3], s32 offset:192
	;; [unrolled: 1-line block ×3, first 2 shown]
	s_waitcnt vmcnt(1)
	v_mov_b32_e32 v49, v6
	v_add_co_ci_u32_e64 v4, null, v9, v0, vcc_lo
	v_add_co_u32 v2, vcc_lo, v3, v2
	s_waitcnt vmcnt(0)
	v_lshlrev_b64 v[0:1], 2, v[6:7]
	v_add_co_ci_u32_e64 v3, null, 0, v4, vcc_lo
	buffer_store_dword v2, off, s[0:3], s32 offset:280 ; 4-byte Folded Spill
	buffer_store_dword v3, off, s[0:3], s32 offset:284 ; 4-byte Folded Spill
	buffer_load_dword v2, off, s[0:3], s32 offset:272 ; 4-byte Folded Reload
	v_mov_b32_e32 v9, 0
	s_waitcnt vmcnt(0)
	v_cmp_neq_f32_e32 vcc_lo, 0, v2
	s_clause 0x2
	buffer_load_dword v2, off, s[0:3], s32 offset:320
	buffer_load_dword v3, off, s[0:3], s32 offset:324
	buffer_load_dword v4, off, s[0:3], s32 offset:300
	buffer_store_dword v10, off, s[0:3], s32 offset:360 ; 4-byte Folded Spill
	buffer_store_dword v79, off, s[0:3], s32 offset:276 ; 4-byte Folded Spill
	s_waitcnt vmcnt(2)
	v_add_co_u32 v0, s5, v2, v0
	s_waitcnt vmcnt(1)
	v_add_co_ci_u32_e64 v1, null, v3, v1, s5
	buffer_load_dword v3, off, s[0:3], s32 offset:292 ; 4-byte Folded Reload
	s_waitcnt vmcnt(1)
	v_add_co_u32 v20, s5, v4, v0
	buffer_load_dword v0, off, s[0:3], s32 offset:296 ; 4-byte Folded Reload
	s_waitcnt vmcnt(1)
	v_lshlrev_b32_e32 v2, 5, v3
	v_lshl_or_b32 v3, v3, 7, v10
	s_waitcnt vmcnt(0)
	v_add_co_ci_u32_e64 v21, null, v0, v1, s5
	v_add3_u32 v88, s20, v2, v5
	s_waitcnt lgkmcnt(0)
	v_add_nc_u32_e32 v28, s6, v3
	v_mov_b32_e32 v5, 0xff7fffff
	s_mov_b32 s6, -1
	s_mov_b32 s7, 0xffffff
	s_branch .LBB321_11
.LBB321_7:                              ;   in Loop: Header=BB321_11 Depth=1
	s_or_b32 exec_lo, exec_lo, s24
	v_lshlrev_b32_e32 v8, 8, v8
	v_lshl_add_u32 v29, v29, 10, 0x2000
	v_lshlrev_b32_e32 v28, 23, v28
	v_and_or_b32 v8, 0x8000, v8, v29
	v_lshl_or_b32 v48, v8, 16, v28
.LBB321_8:                              ;   in Loop: Header=BB321_11 Depth=1
	s_or_b32 exec_lo, exec_lo, s23
.LBB321_9:                              ;   in Loop: Header=BB321_11 Depth=1
	s_or_b32 exec_lo, exec_lo, s22
	s_clause 0x1
	buffer_load_dword v28, off, s[0:3], s32 offset:204
	buffer_load_dword v49, off, s[0:3], s32 offset:200
.LBB321_10:                             ;   in Loop: Header=BB321_11 Depth=1
	s_or_b32 exec_lo, exec_lo, s21
	v_or_b32_e32 v8, v78, v76
	v_fma_mixlo_f16 v29, v64, v78, 0 op_sel:[0,1,0] op_sel_hi:[0,1,0]
	v_or_b32_e32 v4, v5, v4
	v_or_b32_e32 v2, v3, v2
	v_fma_mixlo_f16 v76, v64, v23, 0 op_sel:[0,1,0] op_sel_hi:[0,1,0]
	v_fma_mixlo_f16 v8, v64, v8, 0 op_sel_hi:[0,1,0]
	buffer_store_dword v29, off, s[0:3], s32 offset:244 ; 4-byte Folded Spill
	v_fma_mixlo_f16 v29, v64, v73, 0 op_sel:[0,1,0] op_sel_hi:[0,1,0]
	v_or_b32_e32 v0, v39, v0
	v_fma_mixlo_f16 v39, v64, v39, 0 op_sel:[0,1,0] op_sel_hi:[0,1,0]
	buffer_store_dword v8, off, s[0:3], s32 offset:248 ; 4-byte Folded Spill
	v_or_b32_e32 v8, v73, v63
	buffer_store_dword v29, off, s[0:3], s32 offset:252 ; 4-byte Folded Spill
	v_fma_mixlo_f16 v29, v64, v111, 0 op_sel:[0,1,0] op_sel_hi:[0,1,0]
	v_fma_mixlo_f16 v63, v64, v5, 0 op_sel:[0,1,0] op_sel_hi:[0,1,0]
	;; [unrolled: 1-line block ×3, first 2 shown]
	v_fma_mixlo_f16 v78, v64, v8, 0 op_sel_hi:[0,1,0]
	v_or_b32_e32 v8, v111, v77
	buffer_store_dword v29, off, s[0:3], s32 offset:236 ; 4-byte Folded Spill
	v_fma_mixlo_f16 v29, v64, v4, 0 op_sel_hi:[0,1,0]
	v_or_b32_e32 v4, v23, v18
	v_fma_mixlo_f16 v23, v64, v2, 0 op_sel_hi:[0,1,0]
	v_fma_mixlo_f16 v8, v64, v8, 0 op_sel_hi:[0,1,0]
	v_or_b32_e32 v2, v14, v10
	v_fma_mixlo_f16 v77, v64, v53, 0 op_sel:[0,1,0] op_sel_hi:[0,1,0]
	v_fma_mixlo_f16 v10, v64, v24, 0 op_sel:[0,1,0] op_sel_hi:[0,1,0]
	v_cmp_lt_i32_e64 s5, v88, v33
	buffer_store_dword v8, off, s[0:3], s32 offset:240 ; 4-byte Folded Spill
	v_or_b32_e32 v8, v120, v110
	v_fma_mixlo_f16 v110, v64, v107, 0 op_sel:[0,1,0] op_sel_hi:[0,1,0]
	v_fma_mixlo_f16 v18, v64, v2, 0 op_sel_hi:[0,1,0]
	v_or_b32_e32 v2, v35, v16
	v_fma_mixlo_f16 v16, v64, v35, 0 op_sel:[0,1,0] op_sel_hi:[0,1,0]
	v_fma_mixlo_f16 v8, v64, v8, 0 op_sel_hi:[0,1,0]
	v_fma_mixlo_f16 v35, v64, v0, 0 op_sel_hi:[0,1,0]
	v_or_b32_e32 v0, v19, v15
	v_fma_mixlo_f16 v15, v64, v25, 0 op_sel:[0,1,0] op_sel_hi:[0,1,0]
	s_waitcnt vmcnt(0)
	v_add_nc_u32_e32 v49, 4, v49
	buffer_store_dword v8, off, s[0:3], s32 offset:232 ; 4-byte Folded Spill
	v_fma_mixlo_f16 v8, v64, v120, 0 op_sel:[0,1,0] op_sel_hi:[0,1,0]
	v_fma_mixlo_f16 v120, v64, v92, 0 op_sel:[0,1,0] op_sel_hi:[0,1,0]
	buffer_store_dword v8, off, s[0:3], s32 offset:228 ; 4-byte Folded Spill
	v_or_b32_e32 v8, v107, v93
	v_fma_mixlo_f16 v111, v64, v8, 0 op_sel_hi:[0,1,0]
	v_or_b32_e32 v8, v92, v37
	v_fma_mixlo_f16 v37, v64, v4, 0 op_sel_hi:[0,1,0]
	v_or_b32_e32 v4, v54, v32
	v_fma_mixlo_f16 v32, v64, v14, 0 op_sel:[0,1,0] op_sel_hi:[0,1,0]
	v_fma_mixlo_f16 v73, v64, v8, 0 op_sel_hi:[0,1,0]
	v_or_b32_e32 v8, v126, v106
	v_fma_mixlo_f16 v106, v64, v126, 0 op_sel:[0,1,0] op_sel_hi:[0,1,0]
	v_fma_mixlo_f16 v126, v64, v54, 0 op_sel:[0,1,0] op_sel_hi:[0,1,0]
	v_fma_mixlo_f16 v107, v64, v8, 0 op_sel_hi:[0,1,0]
	v_or_b32_e32 v8, v127, v123
	v_fma_mixlo_f16 v93, v64, v8, 0 op_sel_hi:[0,1,0]
	v_fma_mixlo_f16 v8, v64, v127, 0 op_sel:[0,1,0] op_sel_hi:[0,1,0]
	v_fma_mixlo_f16 v127, v64, v4, 0 op_sel_hi:[0,1,0]
	v_or_b32_e32 v4, v122, v36
	v_fma_mixlo_f16 v36, v64, v2, 0 op_sel_hi:[0,1,0]
	v_or_b32_e32 v2, v53, v22
	;; [unrolled: 2-line block ×3, first 2 shown]
	buffer_load_dword v1, off, s[0:3], s32 offset:272 ; 4-byte Folded Reload
	v_fma_mixlo_f16 v22, v64, v19, 0 op_sel:[0,1,0] op_sel_hi:[0,1,0]
	v_fma_mixlo_f16 v25, v64, v34, 0 op_sel:[0,1,0] op_sel_hi:[0,1,0]
	buffer_store_dword v8, off, s[0:3], s32 offset:256 ; 4-byte Folded Spill
	v_fma_mixlo_f16 v19, v64, v0, 0 op_sel_hi:[0,1,0]
	v_or_b32_e32 v0, v24, v13
	v_fma_mixlo_f16 v92, v64, v2, 0 op_sel_hi:[0,1,0]
	v_fma_mixlo_f16 v13, v64, v11, 0 op_sel:[0,1,0] op_sel_hi:[0,1,0]
	v_fma_mixlo_f16 v123, v64, v4, 0 op_sel_hi:[0,1,0]
	v_fma_mixlo_f16 v122, v64, v122, 0 op_sel:[0,1,0] op_sel_hi:[0,1,0]
	v_fma_mixlo_f16 v14, v64, v0, 0 op_sel_hi:[0,1,0]
	v_or_b32_e32 v0, v34, v125
	v_fma_mixlo_f16 v125, v64, v90, 0 op_sel:[0,1,0] op_sel_hi:[0,1,0]
	v_fma_mixlo_f16 v34, v64, v0, 0 op_sel_hi:[0,1,0]
	v_or_b32_e32 v0, v124, v109
	v_fma_mixlo_f16 v109, v64, v124, 0 op_sel:[0,1,0] op_sel_hi:[0,1,0]
	v_fma_mixlo_f16 v124, v64, v0, 0 op_sel_hi:[0,1,0]
	v_or_b32_e32 v0, v11, v38
	v_fma_mixlo_f16 v11, v64, v17, 0 op_sel:[0,1,0] op_sel_hi:[0,1,0]
	v_fma_mixlo_f16 v24, v64, v0, 0 op_sel_hi:[0,1,0]
	v_or_b32_e32 v0, v17, v12
	v_fma_mixlo_f16 v17, v64, v108, 0 op_sel:[0,1,0] op_sel_hi:[0,1,0]
	v_fma_mixlo_f16 v12, v64, v0, 0 op_sel_hi:[0,1,0]
	v_or_b32_e32 v0, v95, v91
	v_fma_mixlo_f16 v91, v64, v95, 0 op_sel:[0,1,0] op_sel_hi:[0,1,0]
	v_fma_mixlo_f16 v95, v64, v0, 0 op_sel_hi:[0,1,0]
	v_or_b32_e32 v0, v90, v75
	v_fma_mixlo_f16 v75, v64, v105, 0 op_sel:[0,1,0] op_sel_hi:[0,1,0]
	v_fma_mixlo_f16 v54, v64, v0, 0 op_sel_hi:[0,1,0]
	v_or_b32_e32 v0, v105, v94
	v_fma_mixlo_f16 v90, v64, v0, 0 op_sel_hi:[0,1,0]
	v_or_b32_e32 v0, v108, v104
	v_fma_mixlo_f16 v104, v64, v58, 0 op_sel:[0,1,0] op_sel_hi:[0,1,0]
	v_fma_mixlo_f16 v108, v64, v50, 0 op_sel:[0,1,0] op_sel_hi:[0,1,0]
	v_fma_mixlo_f16 v38, v64, v0, 0 op_sel_hi:[0,1,0]
	v_or_b32_e32 v0, v61, v59
	v_fma_mixlo_f16 v59, v64, v72, 0 op_sel:[0,1,0] op_sel_hi:[0,1,0]
	v_fma_mixlo_f16 v61, v64, v61, 0 op_sel:[0,1,0] op_sel_hi:[0,1,0]
	v_fma_mixlo_f16 v94, v64, v0, 0 op_sel_hi:[0,1,0]
	v_or_b32_e32 v0, v58, v57
	v_fma_mixlo_f16 v57, v64, v74, 0 op_sel:[0,1,0] op_sel_hi:[0,1,0]
	v_fma_mixlo_f16 v105, v64, v0, 0 op_sel_hi:[0,1,0]
	v_or_b32_e32 v0, v72, v60
	v_fma_mixlo_f16 v72, v64, v42, 0 op_sel:[0,1,0] op_sel_hi:[0,1,0]
	v_fma_mixlo_f16 v60, v64, v0, 0 op_sel_hi:[0,1,0]
	v_or_b32_e32 v0, v74, v62
	v_fma_mixlo_f16 v58, v64, v0, 0 op_sel_hi:[0,1,0]
	v_or_b32_e32 v0, v45, v43
	v_fma_mixlo_f16 v43, v64, v47, 0 op_sel:[0,1,0] op_sel_hi:[0,1,0]
	v_fma_mixlo_f16 v45, v64, v45, 0 op_sel:[0,1,0] op_sel_hi:[0,1,0]
	v_fma_mixlo_f16 v62, v64, v0, 0 op_sel_hi:[0,1,0]
	v_or_b32_e32 v0, v42, v41
	v_fma_mixlo_f16 v41, v64, v56, 0 op_sel:[0,1,0] op_sel_hi:[0,1,0]
	v_fma_mixlo_f16 v74, v64, v0, 0 op_sel_hi:[0,1,0]
	v_or_b32_e32 v0, v47, v44
	v_fma_mixlo_f16 v47, v64, v114, 0 op_sel:[0,1,0] op_sel_hi:[0,1,0]
	v_fma_mixlo_f16 v44, v64, v0, 0 op_sel_hi:[0,1,0]
	v_or_b32_e32 v0, v56, v46
	;; [unrolled: 12-line block ×4, first 2 shown]
	v_fma_mixlo_f16 v98, v64, v0, 0 op_sel_hi:[0,1,0]
	v_or_b32_e32 v0, v85, v83
	v_fma_mixlo_f16 v85, v64, v85, 0 op_sel:[0,1,0] op_sel_hi:[0,1,0]
	v_fma_mixlo_f16 v102, v64, v0, 0 op_sel_hi:[0,1,0]
	v_or_b32_e32 v0, v82, v81
	v_fma_mixlo_f16 v82, v64, v96, 0 op_sel:[0,1,0] op_sel_hi:[0,1,0]
	v_fma_mixlo_f16 v81, v64, v87, 0 op_sel:[0,1,0] op_sel_hi:[0,1,0]
	v_fma_mixlo_f16 v112, v64, v0, 0 op_sel_hi:[0,1,0]
	v_or_b32_e32 v0, v87, v84
	v_fma_mixlo_f16 v87, v64, v69, 0 op_sel:[0,1,0] op_sel_hi:[0,1,0]
	v_fma_mixlo_f16 v84, v64, v0, 0 op_sel_hi:[0,1,0]
	v_or_b32_e32 v0, v96, v86
	v_fma_mixlo_f16 v83, v64, v0, 0 op_sel_hi:[0,1,0]
	v_or_b32_e32 v0, v69, v52
	v_fma_mixlo_f16 v69, v64, v80, 0 op_sel:[0,1,0] op_sel_hi:[0,1,0]
	v_fma_mixlo_f16 v96, v64, v0, 0 op_sel_hi:[0,1,0]
	v_or_b32_e32 v0, v50, v89
	;; [unrolled: 5-line block ×3, first 2 shown]
	v_fma_mixlo_f16 v70, v64, v0, 0 op_sel_hi:[0,1,0]
	v_sub_nc_u32_e32 v0, 1, v33
	v_add_nc_u32_e32 v0, v0, v88
	v_add_nc_u32_e32 v88, 0x80, v88
	v_cvt_f32_i32_e32 v0, v0
	s_waitcnt vmcnt(0)
	v_mul_f32_e32 v0, v1, v0
	v_fma_mixlo_f16 v1, v64, v7, 0 op_sel:[0,1,0] op_sel_hi:[0,1,0]
	v_cndmask_b32_e32 v8, 0, v0, vcc_lo
	v_or_b32_e32 v0, v7, v65
	buffer_store_dword v1, off, s[0:3], s32 offset:224 ; 4-byte Folded Spill
	v_fma_mixlo_f16 v1, v64, v68, 0 op_sel:[0,1,0] op_sel_hi:[0,1,0]
	v_fma_mixlo_f16 v65, v64, v0, 0 op_sel_hi:[0,1,0]
	v_or_b32_e32 v0, v31, v30
	buffer_store_dword v1, off, s[0:3], s32 offset:220 ; 4-byte Folded Spill
	v_fma_mixlo_f16 v31, v64, v31, 0 op_sel:[0,1,0] op_sel_hi:[0,1,0]
	v_fma_mixlo_f16 v30, v64, v0, 0 op_sel_hi:[0,1,0]
	v_or_b32_e32 v0, v68, v6
	v_fma_mixlo_f16 v68, v64, v0, 0 op_sel_hi:[0,1,0]
	v_or_b32_e32 v0, v48, v67
	v_fma_mixlo_f16 v67, v64, v0, 0 op_sel_hi:[0,1,0]
	v_fma_mixlo_f16 v0, v64, v48, 0 op_sel:[0,1,0] op_sel_hi:[0,1,0]
	buffer_store_dword v0, off, s[0:3], s32 offset:216 ; 4-byte Folded Spill
	ds_read_b128 v[0:3], v9
	s_waitcnt lgkmcnt(0)
	v_lshrrev_b32_e32 v6, 16, v0
	v_and_b32_e32 v0, 0xffff, v0
	;;#ASMSTART
	v_cvt_f32_f16 v121, v0;
	;;#ASMEND
	v_and_b32_e32 v0, 0xffff, v52
	;;#ASMSTART
	v_cvt_f32_f16 v66, v6;
	;;#ASMEND
	;;#ASMSTART
	v_cvt_f32_f16 v55, v0;
	;;#ASMEND
	v_and_b32_e32 v0, 0xffff, v108
	;;#ASMSTART
	v_cvt_f32_f16 v48, v0;
	;;#ASMEND
	v_lshrrev_b32_e32 v0, 16, v1
	v_and_b32_e32 v1, 0xffff, v1
	;;#ASMSTART
	v_cvt_f32_f16 v79, v1;
	;;#ASMEND
	;;#ASMSTART
	v_cvt_f32_f16 v50, v0;
	;;#ASMEND
	v_and_b32_e32 v0, 0xffff, v96
	;;#ASMSTART
	v_cvt_f32_f16 v4, v0;
	;;#ASMEND
	v_and_b32_e32 v0, 0xffff, v87
	;;#ASMSTART
	v_cvt_f32_f16 v89, v0;
	;;#ASMEND
	v_lshrrev_b32_e32 v0, 16, v2
	v_and_b32_e32 v1, 0xffff, v2
	;;#ASMSTART
	v_cvt_f32_f16 v80, v1;
	;;#ASMEND
	;;#ASMSTART
	v_cvt_f32_f16 v87, v0;
	;;#ASMEND
	v_and_b32_e32 v0, 0xffff, v86
	;; [unrolled: 16-line block ×3, first 2 shown]
	;;#ASMSTART
	v_cvt_f32_f16 v52, v0;
	;;#ASMEND
	v_and_b32_e32 v0, 0xffff, v69
	;;#ASMSTART
	v_cvt_f32_f16 v86, v0;
	;;#ASMEND
	ds_read_b128 v[0:3], v9 offset:16
	v_and_b32_e32 v70, 0xffff, v103
	s_waitcnt lgkmcnt(0)
	v_lshrrev_b32_e32 v64, 16, v0
	v_and_b32_e32 v0, 0xffff, v0
	;;#ASMSTART
	v_cvt_f32_f16 v0, v0;
	;;#ASMEND
	;;#ASMSTART
	v_cvt_f32_f16 v69, v64;
	;;#ASMEND
	v_and_b32_e32 v64, 0xffff, v112
	;;#ASMSTART
	v_cvt_f32_f16 v64, v64;
	;;#ASMEND
	;;#ASMSTART
	v_cvt_f32_f16 v70, v70;
	;;#ASMEND
	v_mul_f32_e32 v69, v69, v70
	v_mul_f32_e32 v64, v0, v64
	v_and_b32_e32 v0, 0xffff, v1
	;;#ASMSTART
	v_cvt_f32_f16 v0, v0;
	;;#ASMEND
	v_fmac_f32_e32 v69, v66, v48
	v_lshrrev_b32_e32 v48, 16, v1
	v_fmac_f32_e32 v64, v121, v55
	;;#ASMSTART
	v_cvt_f32_f16 v1, v48;
	;;#ASMEND
	v_and_b32_e32 v48, 0xffff, v102
	v_and_b32_e32 v55, 0xffff, v85
	;;#ASMSTART
	v_cvt_f32_f16 v48, v48;
	;;#ASMEND
	;;#ASMSTART
	v_cvt_f32_f16 v55, v55;
	;;#ASMEND
	v_mul_f32_e32 v71, v0, v48
	v_mul_f32_e32 v70, v1, v55
	v_lshrrev_b32_e32 v1, 16, v2
	v_and_b32_e32 v0, 0xffff, v2
	v_and_b32_e32 v2, 0xffff, v84
	;;#ASMSTART
	v_cvt_f32_f16 v0, v0;
	;;#ASMEND
	;;#ASMSTART
	v_cvt_f32_f16 v1, v1;
	;;#ASMEND
	;; [unrolled: 3-line block ×3, first 2 shown]
	v_and_b32_e32 v48, 0xffff, v81
	v_mul_f32_e32 v81, v0, v2
	;;#ASMSTART
	v_cvt_f32_f16 v48, v48;
	;;#ASMEND
	v_and_b32_e32 v0, 0xffff, v3
	v_and_b32_e32 v2, 0xffff, v83
	;;#ASMSTART
	v_cvt_f32_f16 v0, v0;
	;;#ASMEND
	v_fmac_f32_e32 v81, v80, v96
	v_mul_f32_e32 v80, v1, v48
	v_lshrrev_b32_e32 v1, 16, v3
	v_and_b32_e32 v3, 0xffff, v82
	;;#ASMSTART
	v_cvt_f32_f16 v1, v1;
	;;#ASMEND
	;;#ASMSTART
	v_cvt_f32_f16 v2, v2;
	;;#ASMEND
	;; [unrolled: 3-line block ×3, first 2 shown]
	v_mul_f32_e32 v83, v0, v2
	v_mul_f32_e32 v82, v1, v3
	ds_read_b128 v[0:3], v9 offset:32
	v_fmac_f32_e32 v71, v79, v4
	v_fmac_f32_e32 v70, v50, v89
	;; [unrolled: 1-line block ×5, first 2 shown]
	v_and_b32_e32 v7, 0xffff, v40
	v_and_b32_e32 v48, 0xffff, v119
	;; [unrolled: 1-line block ×4, first 2 shown]
	s_waitcnt lgkmcnt(0)
	v_lshrrev_b32_e32 v6, 16, v0
	v_and_b32_e32 v0, 0xffff, v0
	;;#ASMSTART
	v_cvt_f32_f16 v0, v0;
	;;#ASMEND
	;;#ASMSTART
	v_cvt_f32_f16 v6, v6;
	;;#ASMEND
	;; [unrolled: 3-line block ×4, first 2 shown]
	v_fmac_f32_e32 v64, v0, v7
	v_fmac_f32_e32 v69, v6, v48
	v_lshrrev_b32_e32 v6, 16, v1
	v_and_b32_e32 v0, 0xffff, v1
	;;#ASMSTART
	v_cvt_f32_f16 v0, v0;
	;;#ASMEND
	;;#ASMSTART
	v_cvt_f32_f16 v1, v6;
	;;#ASMEND
	v_and_b32_e32 v6, 0xffff, v118
	v_and_b32_e32 v7, 0xffff, v101
	;;#ASMSTART
	v_cvt_f32_f16 v6, v6;
	;;#ASMEND
	;;#ASMSTART
	v_cvt_f32_f16 v7, v7;
	;;#ASMEND
	v_fmac_f32_e32 v71, v0, v6
	v_fmac_f32_e32 v70, v1, v7
	v_lshrrev_b32_e32 v1, 16, v2
	v_and_b32_e32 v0, 0xffff, v2
	v_and_b32_e32 v2, 0xffff, v100
	;;#ASMSTART
	v_cvt_f32_f16 v0, v0;
	;;#ASMEND
	;;#ASMSTART
	v_cvt_f32_f16 v1, v1;
	;;#ASMEND
	;; [unrolled: 3-line block ×3, first 2 shown]
	v_and_b32_e32 v6, 0xffff, v99
	;;#ASMSTART
	v_cvt_f32_f16 v6, v6;
	;;#ASMEND
	v_fmac_f32_e32 v81, v0, v2
	v_fmac_f32_e32 v80, v1, v6
	v_lshrrev_b32_e32 v1, 16, v3
	v_and_b32_e32 v0, 0xffff, v3
	v_and_b32_e32 v2, 0xffff, v98
	;; [unrolled: 1-line block ×3, first 2 shown]
	;;#ASMSTART
	v_cvt_f32_f16 v0, v0;
	;;#ASMEND
	;;#ASMSTART
	v_cvt_f32_f16 v1, v1;
	;;#ASMEND
	;; [unrolled: 3-line block ×4, first 2 shown]
	v_fmac_f32_e32 v83, v0, v2
	v_fmac_f32_e32 v82, v1, v3
	ds_read_b128 v[0:3], v9 offset:48
	v_and_b32_e32 v7, 0xffff, v56
	v_and_b32_e32 v48, 0xffff, v47
	s_waitcnt lgkmcnt(0)
	v_lshrrev_b32_e32 v6, 16, v0
	v_and_b32_e32 v0, 0xffff, v0
	;;#ASMSTART
	v_cvt_f32_f16 v0, v0;
	;;#ASMEND
	;;#ASMSTART
	v_cvt_f32_f16 v6, v6;
	;;#ASMEND
	;; [unrolled: 3-line block ×4, first 2 shown]
	v_fmac_f32_e32 v64, v0, v7
	v_fmac_f32_e32 v69, v6, v48
	v_lshrrev_b32_e32 v6, 16, v1
	v_and_b32_e32 v0, 0xffff, v1
	;;#ASMSTART
	v_cvt_f32_f16 v0, v0;
	;;#ASMEND
	;;#ASMSTART
	v_cvt_f32_f16 v1, v6;
	;;#ASMEND
	v_and_b32_e32 v6, 0xffff, v46
	v_and_b32_e32 v7, 0xffff, v117
	;;#ASMSTART
	v_cvt_f32_f16 v6, v6;
	;;#ASMEND
	;;#ASMSTART
	v_cvt_f32_f16 v7, v7;
	;;#ASMEND
	v_fmac_f32_e32 v71, v0, v6
	v_fmac_f32_e32 v70, v1, v7
	v_lshrrev_b32_e32 v1, 16, v2
	v_and_b32_e32 v0, 0xffff, v2
	v_and_b32_e32 v2, 0xffff, v116
	;;#ASMSTART
	v_cvt_f32_f16 v0, v0;
	;;#ASMEND
	;;#ASMSTART
	v_cvt_f32_f16 v1, v1;
	;;#ASMEND
	;; [unrolled: 3-line block ×3, first 2 shown]
	v_and_b32_e32 v6, 0xffff, v115
	;;#ASMSTART
	v_cvt_f32_f16 v6, v6;
	;;#ASMEND
	v_fmac_f32_e32 v81, v0, v2
	v_fmac_f32_e32 v80, v1, v6
	v_lshrrev_b32_e32 v1, 16, v3
	v_and_b32_e32 v0, 0xffff, v3
	v_and_b32_e32 v2, 0xffff, v114
	;; [unrolled: 1-line block ×3, first 2 shown]
	;;#ASMSTART
	v_cvt_f32_f16 v0, v0;
	;;#ASMEND
	;;#ASMSTART
	v_cvt_f32_f16 v1, v1;
	;;#ASMEND
	;; [unrolled: 3-line block ×4, first 2 shown]
	v_fmac_f32_e32 v83, v0, v2
	v_fmac_f32_e32 v82, v1, v3
	ds_read_b128 v[0:3], v9 offset:64
	v_and_b32_e32 v7, 0xffff, v74
	v_and_b32_e32 v48, 0xffff, v72
	s_waitcnt lgkmcnt(0)
	v_lshrrev_b32_e32 v6, 16, v0
	v_and_b32_e32 v0, 0xffff, v0
	;;#ASMSTART
	v_cvt_f32_f16 v0, v0;
	;;#ASMEND
	;;#ASMSTART
	v_cvt_f32_f16 v6, v6;
	;;#ASMEND
	;; [unrolled: 3-line block ×4, first 2 shown]
	v_fmac_f32_e32 v64, v0, v7
	v_fmac_f32_e32 v69, v6, v48
	v_lshrrev_b32_e32 v6, 16, v1
	v_and_b32_e32 v0, 0xffff, v1
	;;#ASMSTART
	v_cvt_f32_f16 v0, v0;
	;;#ASMEND
	;;#ASMSTART
	v_cvt_f32_f16 v1, v6;
	;;#ASMEND
	v_and_b32_e32 v6, 0xffff, v62
	v_and_b32_e32 v7, 0xffff, v45
	;;#ASMSTART
	v_cvt_f32_f16 v6, v6;
	;;#ASMEND
	;;#ASMSTART
	v_cvt_f32_f16 v7, v7;
	;;#ASMEND
	v_fmac_f32_e32 v71, v0, v6
	v_fmac_f32_e32 v70, v1, v7
	v_lshrrev_b32_e32 v1, 16, v2
	v_and_b32_e32 v0, 0xffff, v2
	v_and_b32_e32 v2, 0xffff, v44
	;;#ASMSTART
	v_cvt_f32_f16 v0, v0;
	;;#ASMEND
	;;#ASMSTART
	v_cvt_f32_f16 v1, v1;
	;;#ASMEND
	;; [unrolled: 3-line block ×3, first 2 shown]
	v_and_b32_e32 v6, 0xffff, v43
	;;#ASMSTART
	v_cvt_f32_f16 v6, v6;
	;;#ASMEND
	v_fmac_f32_e32 v81, v0, v2
	v_fmac_f32_e32 v80, v1, v6
	v_lshrrev_b32_e32 v1, 16, v3
	v_and_b32_e32 v0, 0xffff, v3
	v_and_b32_e32 v2, 0xffff, v42
	;; [unrolled: 1-line block ×3, first 2 shown]
	;;#ASMSTART
	v_cvt_f32_f16 v0, v0;
	;;#ASMEND
	;;#ASMSTART
	v_cvt_f32_f16 v1, v1;
	;;#ASMEND
	;; [unrolled: 3-line block ×4, first 2 shown]
	v_fmac_f32_e32 v83, v0, v2
	v_fmac_f32_e32 v82, v1, v3
	ds_read_b128 v[0:3], v9 offset:80
	v_and_b32_e32 v7, 0xffff, v105
	v_and_b32_e32 v48, 0xffff, v104
	s_waitcnt lgkmcnt(0)
	v_lshrrev_b32_e32 v6, 16, v0
	v_and_b32_e32 v0, 0xffff, v0
	;;#ASMSTART
	v_cvt_f32_f16 v0, v0;
	;;#ASMEND
	;;#ASMSTART
	v_cvt_f32_f16 v6, v6;
	;;#ASMEND
	;; [unrolled: 3-line block ×4, first 2 shown]
	v_fmac_f32_e32 v64, v0, v7
	v_fmac_f32_e32 v69, v6, v48
	v_lshrrev_b32_e32 v6, 16, v1
	v_and_b32_e32 v0, 0xffff, v1
	;;#ASMSTART
	v_cvt_f32_f16 v0, v0;
	;;#ASMEND
	;;#ASMSTART
	v_cvt_f32_f16 v1, v6;
	;;#ASMEND
	v_and_b32_e32 v6, 0xffff, v94
	v_and_b32_e32 v7, 0xffff, v61
	;;#ASMSTART
	v_cvt_f32_f16 v6, v6;
	;;#ASMEND
	;;#ASMSTART
	v_cvt_f32_f16 v7, v7;
	;;#ASMEND
	v_fmac_f32_e32 v71, v0, v6
	v_fmac_f32_e32 v70, v1, v7
	v_lshrrev_b32_e32 v1, 16, v2
	v_and_b32_e32 v0, 0xffff, v2
	v_and_b32_e32 v2, 0xffff, v60
	;;#ASMSTART
	v_cvt_f32_f16 v0, v0;
	;;#ASMEND
	;;#ASMSTART
	v_cvt_f32_f16 v1, v1;
	;;#ASMEND
	;; [unrolled: 3-line block ×3, first 2 shown]
	v_and_b32_e32 v6, 0xffff, v59
	;;#ASMSTART
	v_cvt_f32_f16 v6, v6;
	;;#ASMEND
	v_fmac_f32_e32 v81, v0, v2
	v_fmac_f32_e32 v80, v1, v6
	v_lshrrev_b32_e32 v1, 16, v3
	v_and_b32_e32 v0, 0xffff, v3
	v_and_b32_e32 v2, 0xffff, v58
	;; [unrolled: 1-line block ×3, first 2 shown]
	;;#ASMSTART
	v_cvt_f32_f16 v0, v0;
	;;#ASMEND
	;;#ASMSTART
	v_cvt_f32_f16 v1, v1;
	;;#ASMEND
	;; [unrolled: 3-line block ×4, first 2 shown]
	v_fmac_f32_e32 v83, v0, v2
	v_fmac_f32_e32 v82, v1, v3
	ds_read_b128 v[0:3], v9 offset:96
	v_and_b32_e32 v7, 0xffff, v54
	v_and_b32_e32 v48, 0xffff, v125
	s_waitcnt lgkmcnt(0)
	v_lshrrev_b32_e32 v6, 16, v0
	v_and_b32_e32 v0, 0xffff, v0
	;;#ASMSTART
	v_cvt_f32_f16 v0, v0;
	;;#ASMEND
	;;#ASMSTART
	v_cvt_f32_f16 v6, v6;
	;;#ASMEND
	;; [unrolled: 3-line block ×4, first 2 shown]
	v_fmac_f32_e32 v64, v0, v7
	v_fmac_f32_e32 v69, v6, v48
	v_lshrrev_b32_e32 v6, 16, v1
	v_and_b32_e32 v0, 0xffff, v1
	;;#ASMSTART
	v_cvt_f32_f16 v0, v0;
	;;#ASMEND
	;;#ASMSTART
	v_cvt_f32_f16 v1, v6;
	;;#ASMEND
	v_and_b32_e32 v6, 0xffff, v95
	v_and_b32_e32 v7, 0xffff, v91
	;;#ASMSTART
	v_cvt_f32_f16 v6, v6;
	;;#ASMEND
	;;#ASMSTART
	v_cvt_f32_f16 v7, v7;
	;;#ASMEND
	v_fmac_f32_e32 v71, v0, v6
	v_fmac_f32_e32 v70, v1, v7
	v_lshrrev_b32_e32 v1, 16, v2
	v_and_b32_e32 v0, 0xffff, v2
	v_and_b32_e32 v2, 0xffff, v90
	;;#ASMSTART
	v_cvt_f32_f16 v0, v0;
	;;#ASMEND
	;;#ASMSTART
	v_cvt_f32_f16 v1, v1;
	;;#ASMEND
	;; [unrolled: 3-line block ×3, first 2 shown]
	v_and_b32_e32 v6, 0xffff, v75
	;;#ASMSTART
	v_cvt_f32_f16 v6, v6;
	;;#ASMEND
	v_fmac_f32_e32 v81, v0, v2
	v_fmac_f32_e32 v80, v1, v6
	v_lshrrev_b32_e32 v1, 16, v3
	v_and_b32_e32 v0, 0xffff, v3
	v_and_b32_e32 v2, 0xffff, v38
	;; [unrolled: 1-line block ×3, first 2 shown]
	;;#ASMSTART
	v_cvt_f32_f16 v0, v0;
	;;#ASMEND
	;;#ASMSTART
	v_cvt_f32_f16 v1, v1;
	;;#ASMEND
	;; [unrolled: 3-line block ×4, first 2 shown]
	v_fmac_f32_e32 v83, v0, v2
	v_fmac_f32_e32 v82, v1, v3
	ds_read_b128 v[0:3], v9 offset:112
	v_and_b32_e32 v7, 0xffff, v124
	v_and_b32_e32 v17, 0xffff, v109
	s_waitcnt lgkmcnt(0)
	v_lshrrev_b32_e32 v6, 16, v0
	v_and_b32_e32 v0, 0xffff, v0
	;;#ASMSTART
	v_cvt_f32_f16 v0, v0;
	;;#ASMEND
	;;#ASMSTART
	v_cvt_f32_f16 v6, v6;
	;;#ASMEND
	;; [unrolled: 3-line block ×4, first 2 shown]
	v_fmac_f32_e32 v64, v0, v7
	v_fmac_f32_e32 v69, v6, v17
	v_lshrrev_b32_e32 v6, 16, v1
	v_and_b32_e32 v0, 0xffff, v1
	;;#ASMSTART
	v_cvt_f32_f16 v0, v0;
	;;#ASMEND
	;;#ASMSTART
	v_cvt_f32_f16 v1, v6;
	;;#ASMEND
	v_and_b32_e32 v6, 0xffff, v34
	v_and_b32_e32 v7, 0xffff, v25
	;;#ASMSTART
	v_cvt_f32_f16 v6, v6;
	;;#ASMEND
	;;#ASMSTART
	v_cvt_f32_f16 v7, v7;
	;;#ASMEND
	v_fmac_f32_e32 v71, v0, v6
	v_fmac_f32_e32 v70, v1, v7
	v_lshrrev_b32_e32 v1, 16, v2
	v_and_b32_e32 v0, 0xffff, v2
	v_and_b32_e32 v2, 0xffff, v24
	;;#ASMSTART
	v_cvt_f32_f16 v0, v0;
	;;#ASMEND
	;;#ASMSTART
	v_cvt_f32_f16 v1, v1;
	;;#ASMEND
	;; [unrolled: 3-line block ×3, first 2 shown]
	v_and_b32_e32 v6, 0xffff, v13
	;;#ASMSTART
	v_cvt_f32_f16 v6, v6;
	;;#ASMEND
	v_fmac_f32_e32 v81, v0, v2
	v_fmac_f32_e32 v80, v1, v6
	v_lshrrev_b32_e32 v1, 16, v3
	v_and_b32_e32 v0, 0xffff, v3
	v_and_b32_e32 v2, 0xffff, v12
	;; [unrolled: 1-line block ×3, first 2 shown]
	;;#ASMSTART
	v_cvt_f32_f16 v0, v0;
	;;#ASMEND
	;;#ASMSTART
	v_cvt_f32_f16 v1, v1;
	;;#ASMEND
	;; [unrolled: 3-line block ×4, first 2 shown]
	v_fmac_f32_e32 v83, v0, v2
	v_fmac_f32_e32 v82, v1, v3
	ds_read_b128 v[0:3], v9 offset:128
	v_and_b32_e32 v7, 0xffff, v53
	v_and_b32_e32 v11, 0xffff, v22
	s_waitcnt lgkmcnt(0)
	v_lshrrev_b32_e32 v6, 16, v0
	v_and_b32_e32 v0, 0xffff, v0
	;;#ASMSTART
	v_cvt_f32_f16 v0, v0;
	;;#ASMEND
	;;#ASMSTART
	v_cvt_f32_f16 v6, v6;
	;;#ASMEND
	;; [unrolled: 3-line block ×4, first 2 shown]
	v_fmac_f32_e32 v64, v0, v7
	v_fmac_f32_e32 v69, v6, v11
	v_lshrrev_b32_e32 v6, 16, v1
	v_and_b32_e32 v0, 0xffff, v1
	;;#ASMSTART
	v_cvt_f32_f16 v0, v0;
	;;#ASMEND
	;;#ASMSTART
	v_cvt_f32_f16 v1, v6;
	;;#ASMEND
	v_and_b32_e32 v6, 0xffff, v35
	v_and_b32_e32 v7, 0xffff, v39
	;;#ASMSTART
	v_cvt_f32_f16 v6, v6;
	;;#ASMEND
	;;#ASMSTART
	v_cvt_f32_f16 v7, v7;
	;;#ASMEND
	v_fmac_f32_e32 v71, v0, v6
	v_fmac_f32_e32 v70, v1, v7
	v_lshrrev_b32_e32 v1, 16, v2
	v_and_b32_e32 v0, 0xffff, v2
	v_and_b32_e32 v2, 0xffff, v19
	;;#ASMSTART
	v_cvt_f32_f16 v0, v0;
	;;#ASMEND
	;;#ASMSTART
	v_cvt_f32_f16 v1, v1;
	;;#ASMEND
	;; [unrolled: 3-line block ×3, first 2 shown]
	v_and_b32_e32 v6, 0xffff, v15
	;;#ASMSTART
	v_cvt_f32_f16 v6, v6;
	;;#ASMEND
	v_fmac_f32_e32 v81, v0, v2
	v_fmac_f32_e32 v80, v1, v6
	v_lshrrev_b32_e32 v1, 16, v3
	v_and_b32_e32 v0, 0xffff, v3
	v_and_b32_e32 v2, 0xffff, v14
	;; [unrolled: 1-line block ×3, first 2 shown]
	;;#ASMSTART
	v_cvt_f32_f16 v0, v0;
	;;#ASMEND
	;;#ASMSTART
	v_cvt_f32_f16 v1, v1;
	;;#ASMEND
	;; [unrolled: 3-line block ×4, first 2 shown]
	v_fmac_f32_e32 v83, v0, v2
	v_fmac_f32_e32 v82, v1, v3
	ds_read_b128 v[0:3], v9 offset:144
	v_and_b32_e32 v7, 0xffff, v18
	v_and_b32_e32 v10, 0xffff, v32
	s_waitcnt lgkmcnt(0)
	v_lshrrev_b32_e32 v6, 16, v0
	v_and_b32_e32 v0, 0xffff, v0
	;;#ASMSTART
	v_cvt_f32_f16 v0, v0;
	;;#ASMEND
	;;#ASMSTART
	v_cvt_f32_f16 v6, v6;
	;;#ASMEND
	;; [unrolled: 3-line block ×4, first 2 shown]
	v_fmac_f32_e32 v64, v0, v7
	v_fmac_f32_e32 v69, v6, v10
	v_lshrrev_b32_e32 v6, 16, v1
	v_and_b32_e32 v0, 0xffff, v1
	;;#ASMSTART
	v_cvt_f32_f16 v0, v0;
	;;#ASMEND
	;;#ASMSTART
	v_cvt_f32_f16 v1, v6;
	;;#ASMEND
	v_and_b32_e32 v6, 0xffff, v23
	;;#ASMSTART
	v_cvt_f32_f16 v6, v6;
	;;#ASMEND
	;;#ASMSTART
	v_cvt_f32_f16 v4, v4;
	;;#ASMEND
	v_fmac_f32_e32 v71, v0, v6
	v_fmac_f32_e32 v70, v1, v4
	v_lshrrev_b32_e32 v1, 16, v2
	v_and_b32_e32 v0, 0xffff, v2
	v_and_b32_e32 v2, 0xffff, v36
	;;#ASMSTART
	v_cvt_f32_f16 v0, v0;
	;;#ASMEND
	;;#ASMSTART
	v_cvt_f32_f16 v1, v1;
	;;#ASMEND
	;; [unrolled: 3-line block ×3, first 2 shown]
	v_and_b32_e32 v4, 0xffff, v16
	;;#ASMSTART
	v_cvt_f32_f16 v4, v4;
	;;#ASMEND
	v_fmac_f32_e32 v81, v0, v2
	v_fmac_f32_e32 v80, v1, v4
	v_lshrrev_b32_e32 v1, 16, v3
	v_and_b32_e32 v0, 0xffff, v3
	v_and_b32_e32 v2, 0xffff, v92
	v_and_b32_e32 v3, 0xffff, v77
	;;#ASMSTART
	v_cvt_f32_f16 v0, v0;
	;;#ASMEND
	;;#ASMSTART
	v_cvt_f32_f16 v1, v1;
	;;#ASMEND
	;; [unrolled: 3-line block ×4, first 2 shown]
	v_fmac_f32_e32 v83, v0, v2
	v_fmac_f32_e32 v82, v1, v3
	ds_read_b128 v[0:3], v9 offset:160
	v_and_b32_e32 v6, 0xffff, v37
	v_and_b32_e32 v7, 0xffff, v76
	s_waitcnt lgkmcnt(0)
	v_lshrrev_b32_e32 v4, 16, v0
	v_and_b32_e32 v0, 0xffff, v0
	;;#ASMSTART
	v_cvt_f32_f16 v0, v0;
	;;#ASMEND
	;;#ASMSTART
	v_cvt_f32_f16 v4, v4;
	;;#ASMEND
	;;#ASMSTART
	v_cvt_f32_f16 v6, v6;
	;;#ASMEND
	;;#ASMSTART
	v_cvt_f32_f16 v7, v7;
	;;#ASMEND
	v_fmac_f32_e32 v64, v0, v6
	v_fmac_f32_e32 v69, v4, v7
	v_lshrrev_b32_e32 v4, 16, v1
	v_and_b32_e32 v0, 0xffff, v1
	;;#ASMSTART
	v_cvt_f32_f16 v0, v0;
	;;#ASMEND
	;;#ASMSTART
	v_cvt_f32_f16 v1, v4;
	;;#ASMEND
	v_and_b32_e32 v4, 0xffff, v29
	;;#ASMSTART
	v_cvt_f32_f16 v4, v4;
	;;#ASMEND
	;;#ASMSTART
	v_cvt_f32_f16 v5, v5;
	;;#ASMEND
	v_fmac_f32_e32 v71, v0, v4
	v_fmac_f32_e32 v70, v1, v5
	v_lshrrev_b32_e32 v1, 16, v2
	v_and_b32_e32 v0, 0xffff, v2
	v_and_b32_e32 v2, 0xffff, v127
	;;#ASMSTART
	v_cvt_f32_f16 v0, v0;
	;;#ASMEND
	;;#ASMSTART
	v_cvt_f32_f16 v1, v1;
	;;#ASMEND
	;; [unrolled: 3-line block ×3, first 2 shown]
	v_and_b32_e32 v4, 0xffff, v126
	;;#ASMSTART
	v_cvt_f32_f16 v4, v4;
	;;#ASMEND
	v_fmac_f32_e32 v81, v0, v2
	v_fmac_f32_e32 v80, v1, v4
	v_lshrrev_b32_e32 v1, 16, v3
	v_and_b32_e32 v0, 0xffff, v3
	v_and_b32_e32 v2, 0xffff, v123
	;; [unrolled: 1-line block ×3, first 2 shown]
	;;#ASMSTART
	v_cvt_f32_f16 v0, v0;
	;;#ASMEND
	;;#ASMSTART
	v_cvt_f32_f16 v1, v1;
	;;#ASMEND
	;; [unrolled: 3-line block ×4, first 2 shown]
	v_fmac_f32_e32 v83, v0, v2
	v_fmac_f32_e32 v82, v1, v3
	ds_read_b128 v[0:3], v9 offset:176
	v_and_b32_e32 v5, 0xffff, v73
	v_and_b32_e32 v6, 0xffff, v120
	s_waitcnt lgkmcnt(0)
	v_lshrrev_b32_e32 v4, 16, v0
	v_and_b32_e32 v0, 0xffff, v0
	;;#ASMSTART
	v_cvt_f32_f16 v0, v0;
	;;#ASMEND
	;;#ASMSTART
	v_cvt_f32_f16 v4, v4;
	;;#ASMEND
	;; [unrolled: 3-line block ×4, first 2 shown]
	v_fmac_f32_e32 v64, v0, v5
	v_fmac_f32_e32 v69, v4, v6
	v_lshrrev_b32_e32 v4, 16, v1
	v_and_b32_e32 v0, 0xffff, v1
	;;#ASMSTART
	v_cvt_f32_f16 v0, v0;
	;;#ASMEND
	;;#ASMSTART
	v_cvt_f32_f16 v1, v4;
	;;#ASMEND
	v_and_b32_e32 v4, 0xffff, v111
	v_and_b32_e32 v5, 0xffff, v110
	;;#ASMSTART
	v_cvt_f32_f16 v4, v4;
	;;#ASMEND
	;;#ASMSTART
	v_cvt_f32_f16 v5, v5;
	;;#ASMEND
	v_fmac_f32_e32 v71, v0, v4
	v_fmac_f32_e32 v70, v1, v5
	v_lshrrev_b32_e32 v1, 16, v2
	v_and_b32_e32 v0, 0xffff, v2
	v_and_b32_e32 v2, 0xffff, v107
	;;#ASMSTART
	v_cvt_f32_f16 v0, v0;
	;;#ASMEND
	;;#ASMSTART
	v_cvt_f32_f16 v1, v1;
	;;#ASMEND
	;; [unrolled: 3-line block ×3, first 2 shown]
	v_and_b32_e32 v4, 0xffff, v106
	;;#ASMSTART
	v_cvt_f32_f16 v4, v4;
	;;#ASMEND
	v_fmac_f32_e32 v81, v0, v2
	v_fmac_f32_e32 v80, v1, v4
	v_lshrrev_b32_e32 v1, 16, v3
	v_and_b32_e32 v0, 0xffff, v3
	v_and_b32_e32 v2, 0xffff, v93
	;;#ASMSTART
	v_cvt_f32_f16 v0, v0;
	;;#ASMEND
	;;#ASMSTART
	v_cvt_f32_f16 v1, v1;
	;;#ASMEND
	;; [unrolled: 3-line block ×3, first 2 shown]
	buffer_load_dword v3, off, s[0:3], s32 offset:256 ; 4-byte Folded Reload
	v_fmac_f32_e32 v83, v0, v2
	v_and_b32_e32 v5, 0xffff, v78
	s_waitcnt vmcnt(0)
	v_and_b32_e32 v3, 0xffff, v3
	;;#ASMSTART
	v_cvt_f32_f16 v3, v3;
	;;#ASMEND
	v_fmac_f32_e32 v82, v1, v3
	ds_read_b128 v[0:3], v9 offset:192
	s_waitcnt lgkmcnt(0)
	v_lshrrev_b32_e32 v4, 16, v0
	v_and_b32_e32 v0, 0xffff, v0
	;;#ASMSTART
	v_cvt_f32_f16 v0, v0;
	;;#ASMEND
	;;#ASMSTART
	v_cvt_f32_f16 v4, v4;
	;;#ASMEND
	;; [unrolled: 3-line block ×3, first 2 shown]
	buffer_load_dword v6, off, s[0:3], s32 offset:252 ; 4-byte Folded Reload
	v_fmac_f32_e32 v64, v0, v5
	v_and_b32_e32 v0, 0xffff, v1
	s_waitcnt vmcnt(0)
	v_and_b32_e32 v6, 0xffff, v6
	;;#ASMSTART
	v_cvt_f32_f16 v6, v6;
	;;#ASMEND
	v_fmac_f32_e32 v69, v4, v6
	v_lshrrev_b32_e32 v4, 16, v1
	;;#ASMSTART
	v_cvt_f32_f16 v0, v0;
	;;#ASMEND
	;;#ASMSTART
	v_cvt_f32_f16 v1, v4;
	;;#ASMEND
	buffer_load_dword v4, off, s[0:3], s32 offset:248 ; 4-byte Folded Reload
	v_and_b32_e32 v6, 0xffff, v31
	s_waitcnt vmcnt(0)
	v_and_b32_e32 v4, 0xffff, v4
	;;#ASMSTART
	v_cvt_f32_f16 v4, v4;
	;;#ASMEND
	buffer_load_dword v5, off, s[0:3], s32 offset:244 ; 4-byte Folded Reload
	v_fmac_f32_e32 v71, v0, v4
	v_and_b32_e32 v0, 0xffff, v2
	s_waitcnt vmcnt(0)
	v_and_b32_e32 v5, 0xffff, v5
	;;#ASMSTART
	v_cvt_f32_f16 v5, v5;
	;;#ASMEND
	v_fmac_f32_e32 v70, v1, v5
	v_lshrrev_b32_e32 v1, 16, v2
	;;#ASMSTART
	v_cvt_f32_f16 v0, v0;
	;;#ASMEND
	;;#ASMSTART
	v_cvt_f32_f16 v1, v1;
	;;#ASMEND
	buffer_load_dword v2, off, s[0:3], s32 offset:240 ; 4-byte Folded Reload
	v_and_b32_e32 v5, 0xffff, v30
	s_waitcnt vmcnt(0)
	v_and_b32_e32 v2, 0xffff, v2
	;;#ASMSTART
	v_cvt_f32_f16 v2, v2;
	;;#ASMEND
	buffer_load_dword v4, off, s[0:3], s32 offset:236 ; 4-byte Folded Reload
	v_fmac_f32_e32 v81, v0, v2
	v_and_b32_e32 v0, 0xffff, v3
	s_waitcnt vmcnt(0)
	v_and_b32_e32 v4, 0xffff, v4
	;;#ASMSTART
	v_cvt_f32_f16 v4, v4;
	;;#ASMEND
	v_fmac_f32_e32 v80, v1, v4
	v_lshrrev_b32_e32 v1, 16, v3
	;;#ASMSTART
	v_cvt_f32_f16 v0, v0;
	;;#ASMEND
	;;#ASMSTART
	v_cvt_f32_f16 v1, v1;
	;;#ASMEND
	buffer_load_dword v2, off, s[0:3], s32 offset:232 ; 4-byte Folded Reload
	s_waitcnt vmcnt(0)
	v_and_b32_e32 v2, 0xffff, v2
	;;#ASMSTART
	v_cvt_f32_f16 v2, v2;
	;;#ASMEND
	buffer_load_dword v3, off, s[0:3], s32 offset:228 ; 4-byte Folded Reload
	v_fmac_f32_e32 v83, v0, v2
	s_waitcnt vmcnt(0)
	v_and_b32_e32 v3, 0xffff, v3
	;;#ASMSTART
	v_cvt_f32_f16 v3, v3;
	;;#ASMEND
	v_fmac_f32_e32 v82, v1, v3
	ds_read_b128 v[0:3], v9 offset:208
	s_waitcnt lgkmcnt(0)
	v_lshrrev_b32_e32 v4, 16, v0
	v_and_b32_e32 v0, 0xffff, v0
	;;#ASMSTART
	v_cvt_f32_f16 v0, v0;
	;;#ASMEND
	;;#ASMSTART
	v_cvt_f32_f16 v4, v4;
	;;#ASMEND
	;; [unrolled: 3-line block ×4, first 2 shown]
	v_fmac_f32_e32 v64, v0, v5
	v_fmac_f32_e32 v69, v4, v6
	v_lshrrev_b32_e32 v4, 16, v1
	v_and_b32_e32 v0, 0xffff, v1
	;;#ASMSTART
	v_cvt_f32_f16 v0, v0;
	;;#ASMEND
	;;#ASMSTART
	v_cvt_f32_f16 v1, v4;
	;;#ASMEND
	v_and_b32_e32 v4, 0xffff, v65
	;;#ASMSTART
	v_cvt_f32_f16 v4, v4;
	;;#ASMEND
	buffer_load_dword v5, off, s[0:3], s32 offset:224 ; 4-byte Folded Reload
	v_fmac_f32_e32 v71, v0, v4
	v_and_b32_e32 v0, 0xffff, v2
	s_waitcnt vmcnt(0)
	v_and_b32_e32 v5, 0xffff, v5
	;;#ASMSTART
	v_cvt_f32_f16 v5, v5;
	;;#ASMEND
	v_fmac_f32_e32 v70, v1, v5
	v_lshrrev_b32_e32 v1, 16, v2
	v_and_b32_e32 v2, 0xffff, v68
	;;#ASMSTART
	v_cvt_f32_f16 v0, v0;
	;;#ASMEND
	;;#ASMSTART
	v_cvt_f32_f16 v1, v1;
	;;#ASMEND
	;; [unrolled: 3-line block ×3, first 2 shown]
	buffer_load_dword v4, off, s[0:3], s32 offset:220 ; 4-byte Folded Reload
	v_fmac_f32_e32 v81, v0, v2
	v_and_b32_e32 v0, 0xffff, v3
	v_and_b32_e32 v2, 0xffff, v67
	s_waitcnt vmcnt(0)
	v_and_b32_e32 v4, 0xffff, v4
	;;#ASMSTART
	v_cvt_f32_f16 v4, v4;
	;;#ASMEND
	v_fmac_f32_e32 v80, v1, v4
	v_lshrrev_b32_e32 v1, 16, v3
	;;#ASMSTART
	v_cvt_f32_f16 v0, v0;
	;;#ASMEND
	;;#ASMSTART
	v_cvt_f32_f16 v1, v1;
	;;#ASMEND
	;; [unrolled: 3-line block ×3, first 2 shown]
	buffer_load_dword v3, off, s[0:3], s32 offset:216 ; 4-byte Folded Reload
	v_fmac_f32_e32 v83, v0, v2
	v_add_f32_e32 v0, v64, v69
	v_add_f32_e32 v0, v0, v71
	;; [unrolled: 1-line block ×6, first 2 shown]
	s_waitcnt vmcnt(0)
	v_and_b32_e32 v3, 0xffff, v3
	;;#ASMSTART
	v_cvt_f32_f16 v3, v3;
	;;#ASMEND
	v_fmac_f32_e32 v82, v1, v3
	s_clause 0x2
	buffer_load_dword v1, off, s[0:3], s32 offset:268
	buffer_load_dword v79, off, s[0:3], s32 offset:276
	;; [unrolled: 1-line block ×3, first 2 shown]
	v_add_f32_e32 v0, v82, v0
	s_waitcnt vmcnt(2)
	v_fmac_f32_e32 v8, v1, v0
	v_cndmask_b32_e64 v0, 0, v8, s5
	ds_write_b32 v28, v0
	s_waitcnt vmcnt(0)
	v_max_f32_e32 v0, v5, v5
	v_add_nc_u32_e32 v28, 0x200, v28
	v_max_f32_e32 v0, v0, v8
	v_cndmask_b32_e64 v5, v5, v0, s5
	v_add_co_u32 v20, s5, v20, 16
	v_add_co_ci_u32_e64 v21, null, 0, v21, s5
	v_cmp_ge_i32_e64 s5, v49, v79
	s_or_b32 s17, s5, s17
	s_andn2_b32 exec_lo, exec_lo, s17
	s_cbranch_execz .LBB321_904
.LBB321_11:                             ; =>This Inner Loop Header: Depth=1
	buffer_store_dword v28, off, s[0:3], s32 offset:204 ; 4-byte Folded Spill
	buffer_store_dword v49, off, s[0:3], s32 offset:200 ; 4-byte Folded Spill
	;; [unrolled: 1-line block ×3, first 2 shown]
	flat_load_dword v0, v[20:21]
	s_clause 0x2
	buffer_load_dword v1, off, s[0:3], s32 offset:208
	buffer_load_dword v2, off, s[0:3], s32 offset:280
	;; [unrolled: 1-line block ×3, first 2 shown]
	v_mov_b32_e32 v89, 0
	s_waitcnt vmcnt(0) lgkmcnt(0)
	v_mad_i64_i32 v[28:29], null, v0, v1, v[2:3]
	flat_load_dwordx2 v[30:31], v[28:29]
	s_clause 0x1
	buffer_load_dword v0, off, s[0:3], s32 offset:260
	buffer_load_dword v1, off, s[0:3], s32 offset:264
	s_waitcnt vmcnt(2) lgkmcnt(0)
	v_cmp_ne_u16_sdwa s5, v30, v9 src0_sel:BYTE_0 src1_sel:DWORD
	s_waitcnt vmcnt(0)
	flat_load_dword v64, v[0:1]
	s_and_saveexec_b32 s21, s5
	s_cbranch_execz .LBB321_19
; %bb.12:                               ;   in Loop: Header=BB321_11 Depth=1
	v_cmp_ne_u16_sdwa s5, v30, v51 src0_sel:BYTE_0 src1_sel:DWORD
	v_mov_b32_e32 v89, 0x8000
	s_and_saveexec_b32 s22, s5
	s_cbranch_execz .LBB321_18
; %bb.13:                               ;   in Loop: Header=BB321_11 Depth=1
	v_and_b32_e32 v2, 0x7f, v30
	v_mov_b32_e32 v89, 0x7c01
	s_mov_b32 s23, exec_lo
	v_cmpx_ne_u32_e32 0x7f, v2
	s_cbranch_execz .LBB321_17
; %bb.14:                               ;   in Loop: Header=BB321_11 Depth=1
	v_and_b32_e32 v0, 7, v30
	v_lshrrev_b32_e32 v1, 3, v2
	s_mov_b32 s24, exec_lo
	v_cmpx_gt_u32_e32 8, v2
; %bb.15:                               ;   in Loop: Header=BB321_11 Depth=1
	v_ffbh_u32_e32 v0, v0
	v_min_u32_e32 v2, 32, v0
	v_subrev_nc_u32_e32 v0, 28, v2
	v_lshlrev_b64 v[0:1], v0, v[30:31]
	v_sub_nc_u32_e32 v1, 29, v2
	v_and_b32_e32 v0, 7, v0
; %bb.16:                               ;   in Loop: Header=BB321_11 Depth=1
	s_or_b32 exec_lo, exec_lo, s24
	v_lshlrev_b32_e32 v2, 8, v30
	v_lshl_add_u32 v1, v1, 10, 0x2000
	v_lshlrev_b32_e32 v0, 7, v0
	v_and_b32_e32 v2, 0x8000, v2
	v_and_b32_e32 v1, 0xfc00, v1
	v_or3_b32 v89, v2, v1, v0
.LBB321_17:                             ;   in Loop: Header=BB321_11 Depth=1
	s_or_b32 exec_lo, exec_lo, s23
.LBB321_18:                             ;   in Loop: Header=BB321_11 Depth=1
	s_or_b32 exec_lo, exec_lo, s22
.LBB321_19:                             ;   in Loop: Header=BB321_11 Depth=1
	s_or_b32 exec_lo, exec_lo, s21
	v_lshrrev_b16 v8, 8, v30
	v_mov_b32_e32 v52, 0
	v_mov_b32_e32 v50, 0
	s_mov_b32 s21, exec_lo
	v_cmpx_ne_u16_e32 0, v8
	s_cbranch_execz .LBB321_27
; %bb.20:                               ;   in Loop: Header=BB321_11 Depth=1
	v_bfrev_b32_e32 v50, 1
	s_mov_b32 s22, exec_lo
	v_cmpx_ne_u16_e32 0x80, v8
	s_cbranch_execz .LBB321_26
; %bb.21:                               ;   in Loop: Header=BB321_11 Depth=1
	v_mov_b32_e32 v0, 0x7f
	v_mov_b32_e32 v50, 0x7c010000
	s_mov_b32 s23, exec_lo
	v_and_b32_sdwa v2, v8, v0 dst_sel:DWORD dst_unused:UNUSED_PAD src0_sel:WORD_0 src1_sel:DWORD
	v_cmpx_ne_u32_e32 0x7f, v2
	s_cbranch_execz .LBB321_25
; %bb.22:                               ;   in Loop: Header=BB321_11 Depth=1
	v_mov_b32_e32 v0, 7
	v_lshrrev_b32_e32 v1, 3, v2
	s_mov_b32 s24, exec_lo
	v_and_b32_sdwa v0, v8, v0 dst_sel:DWORD dst_unused:UNUSED_PAD src0_sel:WORD_0 src1_sel:DWORD
	v_cmpx_gt_u32_e32 8, v2
; %bb.23:                               ;   in Loop: Header=BB321_11 Depth=1
	v_ffbh_u32_e32 v0, v0
	v_min_u32_e32 v2, 32, v0
	v_subrev_nc_u32_e32 v0, 28, v2
	v_lshlrev_b64 v[0:1], v0, v[8:9]
	v_sub_nc_u32_e32 v1, 29, v2
	v_and_b32_e32 v0, 7, v0
; %bb.24:                               ;   in Loop: Header=BB321_11 Depth=1
	s_or_b32 exec_lo, exec_lo, s24
	v_mov_b32_e32 v2, 8
	v_lshl_add_u32 v1, v1, 10, 0x2000
	v_lshlrev_b32_e32 v0, 23, v0
	v_lshlrev_b32_sdwa v2, v2, v8 dst_sel:DWORD dst_unused:UNUSED_PAD src0_sel:DWORD src1_sel:WORD_0
	v_and_or_b32 v1, 0x8000, v2, v1
	v_lshl_or_b32 v50, v1, 16, v0
.LBB321_25:                             ;   in Loop: Header=BB321_11 Depth=1
	s_or_b32 exec_lo, exec_lo, s23
.LBB321_26:                             ;   in Loop: Header=BB321_11 Depth=1
	s_or_b32 exec_lo, exec_lo, s22
.LBB321_27:                             ;   in Loop: Header=BB321_11 Depth=1
	s_or_b32 exec_lo, exec_lo, s21
	v_lshrrev_b32_e32 v8, 16, v30
	v_cmp_ne_u16_sdwa s5, v8, v9 src0_sel:BYTE_0 src1_sel:DWORD
	s_and_saveexec_b32 s21, s5
	s_cbranch_execz .LBB321_35
; %bb.28:                               ;   in Loop: Header=BB321_11 Depth=1
	v_cmp_ne_u16_sdwa s5, v8, v51 src0_sel:BYTE_0 src1_sel:DWORD
	v_mov_b32_e32 v52, 0x8000
	s_and_saveexec_b32 s22, s5
	s_cbranch_execz .LBB321_34
; %bb.29:                               ;   in Loop: Header=BB321_11 Depth=1
	v_bfe_u32 v2, v30, 16, 7
	v_mov_b32_e32 v52, 0x7c01
	s_mov_b32 s23, exec_lo
	v_cmpx_ne_u32_e32 0x7f, v2
	s_cbranch_execz .LBB321_33
; %bb.30:                               ;   in Loop: Header=BB321_11 Depth=1
	v_and_b32_e32 v0, 7, v8
	v_lshrrev_b32_e32 v1, 3, v2
	s_mov_b32 s24, exec_lo
	v_cmpx_gt_u32_e32 8, v2
; %bb.31:                               ;   in Loop: Header=BB321_11 Depth=1
	v_ffbh_u32_e32 v0, v0
	v_min_u32_e32 v2, 32, v0
	v_subrev_nc_u32_e32 v0, 28, v2
	v_lshlrev_b64 v[0:1], v0, v[8:9]
	v_sub_nc_u32_e32 v1, 29, v2
	v_and_b32_e32 v0, 7, v0
; %bb.32:                               ;   in Loop: Header=BB321_11 Depth=1
	s_or_b32 exec_lo, exec_lo, s24
	v_lshlrev_b32_e32 v2, 8, v8
	v_lshl_add_u32 v1, v1, 10, 0x2000
	v_lshlrev_b32_e32 v0, 7, v0
	v_and_b32_e32 v2, 0x8000, v2
	v_and_b32_e32 v1, 0xfc00, v1
	v_or3_b32 v52, v2, v1, v0
.LBB321_33:                             ;   in Loop: Header=BB321_11 Depth=1
	s_or_b32 exec_lo, exec_lo, s23
.LBB321_34:                             ;   in Loop: Header=BB321_11 Depth=1
	s_or_b32 exec_lo, exec_lo, s22
.LBB321_35:                             ;   in Loop: Header=BB321_11 Depth=1
	s_or_b32 exec_lo, exec_lo, s21
	v_mov_b32_e32 v121, 0
	v_mov_b32_e32 v69, 0
	s_mov_b32 s21, exec_lo
	v_cmpx_lt_u32_e32 0xffffff, v30
	s_cbranch_execz .LBB321_43
; %bb.36:                               ;   in Loop: Header=BB321_11 Depth=1
	v_lshrrev_b32_e32 v8, 24, v30
	v_bfrev_b32_e32 v69, 1
	s_mov_b32 s22, exec_lo
	v_cmpx_ne_u32_e32 0x80, v8
	s_cbranch_execz .LBB321_42
; %bb.37:                               ;   in Loop: Header=BB321_11 Depth=1
	v_and_b32_e32 v2, 0x7f, v8
	v_mov_b32_e32 v69, 0x7c010000
	s_mov_b32 s23, exec_lo
	v_cmpx_ne_u32_e32 0x7f, v2
	s_cbranch_execz .LBB321_41
; %bb.38:                               ;   in Loop: Header=BB321_11 Depth=1
	v_and_b32_e32 v0, 7, v8
	v_lshrrev_b32_e32 v1, 3, v2
	s_mov_b32 s24, exec_lo
	v_cmpx_gt_u32_e32 8, v2
; %bb.39:                               ;   in Loop: Header=BB321_11 Depth=1
	v_ffbh_u32_e32 v0, v0
	v_min_u32_e32 v2, 32, v0
	v_subrev_nc_u32_e32 v0, 28, v2
	v_lshlrev_b64 v[0:1], v0, v[8:9]
	v_sub_nc_u32_e32 v1, 29, v2
	v_and_b32_e32 v0, 7, v0
; %bb.40:                               ;   in Loop: Header=BB321_11 Depth=1
	s_or_b32 exec_lo, exec_lo, s24
	v_lshlrev_b32_e32 v2, 8, v8
	v_lshl_add_u32 v1, v1, 10, 0x2000
	v_lshlrev_b32_e32 v0, 23, v0
	v_and_or_b32 v1, 0x8000, v2, v1
	v_lshl_or_b32 v69, v1, 16, v0
.LBB321_41:                             ;   in Loop: Header=BB321_11 Depth=1
	s_or_b32 exec_lo, exec_lo, s23
.LBB321_42:                             ;   in Loop: Header=BB321_11 Depth=1
	s_or_b32 exec_lo, exec_lo, s22
.LBB321_43:                             ;   in Loop: Header=BB321_11 Depth=1
	s_or_b32 exec_lo, exec_lo, s21
	v_mov_b32_e32 v8, v31
	v_cmp_ne_u16_sdwa s5, v31, v9 src0_sel:BYTE_0 src1_sel:DWORD
	s_and_saveexec_b32 s21, s5
	s_cbranch_execz .LBB321_51
; %bb.44:                               ;   in Loop: Header=BB321_11 Depth=1
	v_cmp_ne_u16_sdwa s5, v31, v51 src0_sel:BYTE_0 src1_sel:DWORD
	v_mov_b32_e32 v121, 0x8000
	s_and_saveexec_b32 s22, s5
	s_cbranch_execz .LBB321_50
; %bb.45:                               ;   in Loop: Header=BB321_11 Depth=1
	v_and_b32_e32 v2, 0x7f, v31
	v_mov_b32_e32 v121, 0x7c01
	s_mov_b32 s23, exec_lo
	v_cmpx_ne_u32_e32 0x7f, v2
	s_cbranch_execz .LBB321_49
; %bb.46:                               ;   in Loop: Header=BB321_11 Depth=1
	v_and_b32_e32 v0, 7, v31
	v_lshrrev_b32_e32 v1, 3, v2
	s_mov_b32 s24, exec_lo
	v_cmpx_gt_u32_e32 8, v2
; %bb.47:                               ;   in Loop: Header=BB321_11 Depth=1
	v_ffbh_u32_e32 v0, v0
	v_min_u32_e32 v2, 32, v0
	v_subrev_nc_u32_e32 v0, 28, v2
	v_lshlrev_b64 v[0:1], v0, v[8:9]
	v_sub_nc_u32_e32 v1, 29, v2
	v_and_b32_e32 v0, 7, v0
; %bb.48:                               ;   in Loop: Header=BB321_11 Depth=1
	s_or_b32 exec_lo, exec_lo, s24
	v_lshlrev_b32_e32 v2, 8, v31
	v_lshl_add_u32 v1, v1, 10, 0x2000
	v_lshlrev_b32_e32 v0, 7, v0
	v_and_b32_e32 v2, 0x8000, v2
	v_and_b32_e32 v1, 0xfc00, v1
	v_or3_b32 v121, v2, v1, v0
.LBB321_49:                             ;   in Loop: Header=BB321_11 Depth=1
	s_or_b32 exec_lo, exec_lo, s23
.LBB321_50:                             ;   in Loop: Header=BB321_11 Depth=1
	s_or_b32 exec_lo, exec_lo, s22
.LBB321_51:                             ;   in Loop: Header=BB321_11 Depth=1
	s_or_b32 exec_lo, exec_lo, s21
	v_lshrrev_b16 v8, 8, v8
	v_mov_b32_e32 v70, 0
	v_mov_b32_e32 v71, 0
	s_mov_b32 s21, exec_lo
	v_cmpx_ne_u16_e32 0, v8
	s_cbranch_execz .LBB321_59
; %bb.52:                               ;   in Loop: Header=BB321_11 Depth=1
	v_bfrev_b32_e32 v71, 1
	s_mov_b32 s22, exec_lo
	v_cmpx_ne_u16_e32 0x80, v8
	s_cbranch_execz .LBB321_58
; %bb.53:                               ;   in Loop: Header=BB321_11 Depth=1
	v_mov_b32_e32 v0, 0x7f
	v_mov_b32_e32 v71, 0x7c010000
	s_mov_b32 s23, exec_lo
	v_and_b32_sdwa v2, v8, v0 dst_sel:DWORD dst_unused:UNUSED_PAD src0_sel:WORD_0 src1_sel:DWORD
	v_cmpx_ne_u32_e32 0x7f, v2
	s_cbranch_execz .LBB321_57
; %bb.54:                               ;   in Loop: Header=BB321_11 Depth=1
	v_mov_b32_e32 v0, 7
	v_lshrrev_b32_e32 v1, 3, v2
	s_mov_b32 s24, exec_lo
	v_and_b32_sdwa v0, v8, v0 dst_sel:DWORD dst_unused:UNUSED_PAD src0_sel:WORD_0 src1_sel:DWORD
	v_cmpx_gt_u32_e32 8, v2
; %bb.55:                               ;   in Loop: Header=BB321_11 Depth=1
	v_ffbh_u32_e32 v0, v0
	v_min_u32_e32 v2, 32, v0
	v_subrev_nc_u32_e32 v0, 28, v2
	v_lshlrev_b64 v[0:1], v0, v[8:9]
	v_sub_nc_u32_e32 v1, 29, v2
	v_and_b32_e32 v0, 7, v0
; %bb.56:                               ;   in Loop: Header=BB321_11 Depth=1
	s_or_b32 exec_lo, exec_lo, s24
	v_mov_b32_e32 v2, 8
	v_lshl_add_u32 v1, v1, 10, 0x2000
	v_lshlrev_b32_e32 v0, 23, v0
	v_lshlrev_b32_sdwa v2, v2, v8 dst_sel:DWORD dst_unused:UNUSED_PAD src0_sel:DWORD src1_sel:WORD_0
	v_and_or_b32 v1, 0x8000, v2, v1
	v_lshl_or_b32 v71, v1, 16, v0
.LBB321_57:                             ;   in Loop: Header=BB321_11 Depth=1
	s_or_b32 exec_lo, exec_lo, s23
.LBB321_58:                             ;   in Loop: Header=BB321_11 Depth=1
	s_or_b32 exec_lo, exec_lo, s22
.LBB321_59:                             ;   in Loop: Header=BB321_11 Depth=1
	s_or_b32 exec_lo, exec_lo, s21
	v_lshrrev_b32_e32 v8, 16, v31
	v_cmp_ne_u16_sdwa s5, v8, v9 src0_sel:BYTE_0 src1_sel:DWORD
	s_and_saveexec_b32 s21, s5
	s_cbranch_execz .LBB321_67
; %bb.60:                               ;   in Loop: Header=BB321_11 Depth=1
	v_cmp_ne_u16_sdwa s5, v8, v51 src0_sel:BYTE_0 src1_sel:DWORD
	v_mov_b32_e32 v70, 0x8000
	s_and_saveexec_b32 s22, s5
	s_cbranch_execz .LBB321_66
; %bb.61:                               ;   in Loop: Header=BB321_11 Depth=1
	v_bfe_u32 v2, v31, 16, 7
	v_mov_b32_e32 v70, 0x7c01
	s_mov_b32 s23, exec_lo
	v_cmpx_ne_u32_e32 0x7f, v2
	s_cbranch_execz .LBB321_65
; %bb.62:                               ;   in Loop: Header=BB321_11 Depth=1
	v_and_b32_e32 v0, 7, v8
	v_lshrrev_b32_e32 v1, 3, v2
	s_mov_b32 s24, exec_lo
	v_cmpx_gt_u32_e32 8, v2
; %bb.63:                               ;   in Loop: Header=BB321_11 Depth=1
	v_ffbh_u32_e32 v0, v0
	v_min_u32_e32 v2, 32, v0
	v_subrev_nc_u32_e32 v0, 28, v2
	v_lshlrev_b64 v[0:1], v0, v[8:9]
	v_sub_nc_u32_e32 v1, 29, v2
	v_and_b32_e32 v0, 7, v0
; %bb.64:                               ;   in Loop: Header=BB321_11 Depth=1
	s_or_b32 exec_lo, exec_lo, s24
	v_lshlrev_b32_e32 v2, 8, v8
	v_lshl_add_u32 v1, v1, 10, 0x2000
	v_lshlrev_b32_e32 v0, 7, v0
	v_and_b32_e32 v2, 0x8000, v2
	v_and_b32_e32 v1, 0xfc00, v1
	v_or3_b32 v70, v2, v1, v0
.LBB321_65:                             ;   in Loop: Header=BB321_11 Depth=1
	s_or_b32 exec_lo, exec_lo, s23
.LBB321_66:                             ;   in Loop: Header=BB321_11 Depth=1
	s_or_b32 exec_lo, exec_lo, s22
.LBB321_67:                             ;   in Loop: Header=BB321_11 Depth=1
	s_or_b32 exec_lo, exec_lo, s21
	v_mov_b32_e32 v81, 0
	v_mov_b32_e32 v80, 0
	s_mov_b32 s21, exec_lo
	v_cmpx_lt_u64_e64 s[6:7], v[30:31]
	s_cbranch_execz .LBB321_75
; %bb.68:                               ;   in Loop: Header=BB321_11 Depth=1
	v_lshrrev_b32_e32 v8, 24, v31
	v_bfrev_b32_e32 v80, 1
	s_mov_b32 s22, exec_lo
	v_cmpx_ne_u32_e32 0x80, v8
	s_cbranch_execz .LBB321_74
; %bb.69:                               ;   in Loop: Header=BB321_11 Depth=1
	v_and_b32_e32 v2, 0x7f, v8
	v_mov_b32_e32 v80, 0x7c010000
	s_mov_b32 s23, exec_lo
	v_cmpx_ne_u32_e32 0x7f, v2
	s_cbranch_execz .LBB321_73
; %bb.70:                               ;   in Loop: Header=BB321_11 Depth=1
	v_and_b32_e32 v0, 7, v8
	v_lshrrev_b32_e32 v1, 3, v2
	s_mov_b32 s24, exec_lo
	v_cmpx_gt_u32_e32 8, v2
; %bb.71:                               ;   in Loop: Header=BB321_11 Depth=1
	v_ffbh_u32_e32 v0, v0
	v_min_u32_e32 v2, 32, v0
	v_subrev_nc_u32_e32 v0, 28, v2
	v_lshlrev_b64 v[0:1], v0, v[8:9]
	v_sub_nc_u32_e32 v1, 29, v2
	v_and_b32_e32 v0, 7, v0
; %bb.72:                               ;   in Loop: Header=BB321_11 Depth=1
	s_or_b32 exec_lo, exec_lo, s24
	v_lshlrev_b32_e32 v2, 8, v8
	v_lshl_add_u32 v1, v1, 10, 0x2000
	v_lshlrev_b32_e32 v0, 23, v0
	v_and_or_b32 v1, 0x8000, v2, v1
	v_lshl_or_b32 v80, v1, 16, v0
.LBB321_73:                             ;   in Loop: Header=BB321_11 Depth=1
	s_or_b32 exec_lo, exec_lo, s23
.LBB321_74:                             ;   in Loop: Header=BB321_11 Depth=1
	s_or_b32 exec_lo, exec_lo, s22
.LBB321_75:                             ;   in Loop: Header=BB321_11 Depth=1
	s_or_b32 exec_lo, exec_lo, s21
	flat_load_dwordx2 v[30:31], v[28:29] offset:8
	s_waitcnt vmcnt(0) lgkmcnt(0)
	v_cmp_ne_u16_sdwa s5, v30, v9 src0_sel:BYTE_0 src1_sel:DWORD
	s_and_saveexec_b32 s21, s5
	s_cbranch_execz .LBB321_83
; %bb.76:                               ;   in Loop: Header=BB321_11 Depth=1
	v_cmp_ne_u16_sdwa s5, v30, v51 src0_sel:BYTE_0 src1_sel:DWORD
	v_mov_b32_e32 v81, 0x8000
	s_and_saveexec_b32 s22, s5
	s_cbranch_execz .LBB321_82
; %bb.77:                               ;   in Loop: Header=BB321_11 Depth=1
	v_and_b32_e32 v2, 0x7f, v30
	v_mov_b32_e32 v81, 0x7c01
	s_mov_b32 s23, exec_lo
	v_cmpx_ne_u32_e32 0x7f, v2
	s_cbranch_execz .LBB321_81
; %bb.78:                               ;   in Loop: Header=BB321_11 Depth=1
	v_and_b32_e32 v0, 7, v30
	v_lshrrev_b32_e32 v1, 3, v2
	s_mov_b32 s24, exec_lo
	v_cmpx_gt_u32_e32 8, v2
; %bb.79:                               ;   in Loop: Header=BB321_11 Depth=1
	v_ffbh_u32_e32 v0, v0
	v_min_u32_e32 v2, 32, v0
	v_subrev_nc_u32_e32 v0, 28, v2
	v_lshlrev_b64 v[0:1], v0, v[30:31]
	v_sub_nc_u32_e32 v1, 29, v2
	v_and_b32_e32 v0, 7, v0
; %bb.80:                               ;   in Loop: Header=BB321_11 Depth=1
	s_or_b32 exec_lo, exec_lo, s24
	v_lshlrev_b32_e32 v2, 8, v30
	v_lshl_add_u32 v1, v1, 10, 0x2000
	v_lshlrev_b32_e32 v0, 7, v0
	v_and_b32_e32 v2, 0x8000, v2
	v_and_b32_e32 v1, 0xfc00, v1
	v_or3_b32 v81, v2, v1, v0
.LBB321_81:                             ;   in Loop: Header=BB321_11 Depth=1
	s_or_b32 exec_lo, exec_lo, s23
.LBB321_82:                             ;   in Loop: Header=BB321_11 Depth=1
	s_or_b32 exec_lo, exec_lo, s22
.LBB321_83:                             ;   in Loop: Header=BB321_11 Depth=1
	s_or_b32 exec_lo, exec_lo, s21
	v_lshrrev_b16 v8, 8, v30
	v_mov_b32_e32 v83, 0
	v_mov_b32_e32 v82, 0
	s_mov_b32 s21, exec_lo
	v_cmpx_ne_u16_e32 0, v8
	s_cbranch_execz .LBB321_91
; %bb.84:                               ;   in Loop: Header=BB321_11 Depth=1
	v_bfrev_b32_e32 v82, 1
	s_mov_b32 s22, exec_lo
	v_cmpx_ne_u16_e32 0x80, v8
	s_cbranch_execz .LBB321_90
; %bb.85:                               ;   in Loop: Header=BB321_11 Depth=1
	v_mov_b32_e32 v0, 0x7f
	v_mov_b32_e32 v82, 0x7c010000
	s_mov_b32 s23, exec_lo
	v_and_b32_sdwa v2, v8, v0 dst_sel:DWORD dst_unused:UNUSED_PAD src0_sel:WORD_0 src1_sel:DWORD
	v_cmpx_ne_u32_e32 0x7f, v2
	s_cbranch_execz .LBB321_89
; %bb.86:                               ;   in Loop: Header=BB321_11 Depth=1
	v_mov_b32_e32 v0, 7
	v_lshrrev_b32_e32 v1, 3, v2
	s_mov_b32 s24, exec_lo
	v_and_b32_sdwa v0, v8, v0 dst_sel:DWORD dst_unused:UNUSED_PAD src0_sel:WORD_0 src1_sel:DWORD
	v_cmpx_gt_u32_e32 8, v2
; %bb.87:                               ;   in Loop: Header=BB321_11 Depth=1
	v_ffbh_u32_e32 v0, v0
	v_min_u32_e32 v2, 32, v0
	v_subrev_nc_u32_e32 v0, 28, v2
	v_lshlrev_b64 v[0:1], v0, v[8:9]
	v_sub_nc_u32_e32 v1, 29, v2
	v_and_b32_e32 v0, 7, v0
; %bb.88:                               ;   in Loop: Header=BB321_11 Depth=1
	s_or_b32 exec_lo, exec_lo, s24
	v_mov_b32_e32 v2, 8
	v_lshl_add_u32 v1, v1, 10, 0x2000
	v_lshlrev_b32_e32 v0, 23, v0
	v_lshlrev_b32_sdwa v2, v2, v8 dst_sel:DWORD dst_unused:UNUSED_PAD src0_sel:DWORD src1_sel:WORD_0
	v_and_or_b32 v1, 0x8000, v2, v1
	v_lshl_or_b32 v82, v1, 16, v0
.LBB321_89:                             ;   in Loop: Header=BB321_11 Depth=1
	s_or_b32 exec_lo, exec_lo, s23
.LBB321_90:                             ;   in Loop: Header=BB321_11 Depth=1
	s_or_b32 exec_lo, exec_lo, s22
.LBB321_91:                             ;   in Loop: Header=BB321_11 Depth=1
	s_or_b32 exec_lo, exec_lo, s21
	v_lshrrev_b32_e32 v8, 16, v30
	v_cmp_ne_u16_sdwa s5, v8, v9 src0_sel:BYTE_0 src1_sel:DWORD
	s_and_saveexec_b32 s21, s5
	s_cbranch_execz .LBB321_99
; %bb.92:                               ;   in Loop: Header=BB321_11 Depth=1
	v_cmp_ne_u16_sdwa s5, v8, v51 src0_sel:BYTE_0 src1_sel:DWORD
	v_mov_b32_e32 v83, 0x8000
	s_and_saveexec_b32 s22, s5
	s_cbranch_execz .LBB321_98
; %bb.93:                               ;   in Loop: Header=BB321_11 Depth=1
	v_bfe_u32 v2, v30, 16, 7
	v_mov_b32_e32 v83, 0x7c01
	s_mov_b32 s23, exec_lo
	v_cmpx_ne_u32_e32 0x7f, v2
	s_cbranch_execz .LBB321_97
; %bb.94:                               ;   in Loop: Header=BB321_11 Depth=1
	v_and_b32_e32 v0, 7, v8
	v_lshrrev_b32_e32 v1, 3, v2
	s_mov_b32 s24, exec_lo
	v_cmpx_gt_u32_e32 8, v2
; %bb.95:                               ;   in Loop: Header=BB321_11 Depth=1
	v_ffbh_u32_e32 v0, v0
	v_min_u32_e32 v2, 32, v0
	v_subrev_nc_u32_e32 v0, 28, v2
	v_lshlrev_b64 v[0:1], v0, v[8:9]
	v_sub_nc_u32_e32 v1, 29, v2
	v_and_b32_e32 v0, 7, v0
; %bb.96:                               ;   in Loop: Header=BB321_11 Depth=1
	s_or_b32 exec_lo, exec_lo, s24
	v_lshlrev_b32_e32 v2, 8, v8
	v_lshl_add_u32 v1, v1, 10, 0x2000
	v_lshlrev_b32_e32 v0, 7, v0
	v_and_b32_e32 v2, 0x8000, v2
	v_and_b32_e32 v1, 0xfc00, v1
	v_or3_b32 v83, v2, v1, v0
.LBB321_97:                             ;   in Loop: Header=BB321_11 Depth=1
	s_or_b32 exec_lo, exec_lo, s23
.LBB321_98:                             ;   in Loop: Header=BB321_11 Depth=1
	s_or_b32 exec_lo, exec_lo, s22
.LBB321_99:                             ;   in Loop: Header=BB321_11 Depth=1
	s_or_b32 exec_lo, exec_lo, s21
	v_mov_b32_e32 v84, 0
	v_mov_b32_e32 v85, 0
	s_mov_b32 s21, exec_lo
	v_cmpx_lt_u32_e32 0xffffff, v30
	s_cbranch_execz .LBB321_107
; %bb.100:                              ;   in Loop: Header=BB321_11 Depth=1
	v_lshrrev_b32_e32 v8, 24, v30
	v_bfrev_b32_e32 v85, 1
	s_mov_b32 s22, exec_lo
	v_cmpx_ne_u32_e32 0x80, v8
	s_cbranch_execz .LBB321_106
; %bb.101:                              ;   in Loop: Header=BB321_11 Depth=1
	v_and_b32_e32 v2, 0x7f, v8
	v_mov_b32_e32 v85, 0x7c010000
	s_mov_b32 s23, exec_lo
	v_cmpx_ne_u32_e32 0x7f, v2
	s_cbranch_execz .LBB321_105
; %bb.102:                              ;   in Loop: Header=BB321_11 Depth=1
	v_and_b32_e32 v0, 7, v8
	v_lshrrev_b32_e32 v1, 3, v2
	s_mov_b32 s24, exec_lo
	v_cmpx_gt_u32_e32 8, v2
; %bb.103:                              ;   in Loop: Header=BB321_11 Depth=1
	v_ffbh_u32_e32 v0, v0
	v_min_u32_e32 v2, 32, v0
	v_subrev_nc_u32_e32 v0, 28, v2
	v_lshlrev_b64 v[0:1], v0, v[8:9]
	v_sub_nc_u32_e32 v1, 29, v2
	v_and_b32_e32 v0, 7, v0
; %bb.104:                              ;   in Loop: Header=BB321_11 Depth=1
	s_or_b32 exec_lo, exec_lo, s24
	v_lshlrev_b32_e32 v2, 8, v8
	v_lshl_add_u32 v1, v1, 10, 0x2000
	v_lshlrev_b32_e32 v0, 23, v0
	v_and_or_b32 v1, 0x8000, v2, v1
	v_lshl_or_b32 v85, v1, 16, v0
.LBB321_105:                            ;   in Loop: Header=BB321_11 Depth=1
	s_or_b32 exec_lo, exec_lo, s23
.LBB321_106:                            ;   in Loop: Header=BB321_11 Depth=1
	s_or_b32 exec_lo, exec_lo, s22
.LBB321_107:                            ;   in Loop: Header=BB321_11 Depth=1
	s_or_b32 exec_lo, exec_lo, s21
	v_mov_b32_e32 v8, v31
	v_cmp_ne_u16_sdwa s5, v31, v9 src0_sel:BYTE_0 src1_sel:DWORD
	s_and_saveexec_b32 s21, s5
	s_cbranch_execz .LBB321_115
; %bb.108:                              ;   in Loop: Header=BB321_11 Depth=1
	v_cmp_ne_u16_sdwa s5, v31, v51 src0_sel:BYTE_0 src1_sel:DWORD
	v_mov_b32_e32 v84, 0x8000
	s_and_saveexec_b32 s22, s5
	s_cbranch_execz .LBB321_114
; %bb.109:                              ;   in Loop: Header=BB321_11 Depth=1
	v_and_b32_e32 v2, 0x7f, v31
	v_mov_b32_e32 v84, 0x7c01
	s_mov_b32 s23, exec_lo
	v_cmpx_ne_u32_e32 0x7f, v2
	s_cbranch_execz .LBB321_113
; %bb.110:                              ;   in Loop: Header=BB321_11 Depth=1
	v_and_b32_e32 v0, 7, v31
	v_lshrrev_b32_e32 v1, 3, v2
	s_mov_b32 s24, exec_lo
	v_cmpx_gt_u32_e32 8, v2
; %bb.111:                              ;   in Loop: Header=BB321_11 Depth=1
	v_ffbh_u32_e32 v0, v0
	v_min_u32_e32 v2, 32, v0
	v_subrev_nc_u32_e32 v0, 28, v2
	v_lshlrev_b64 v[0:1], v0, v[8:9]
	v_sub_nc_u32_e32 v1, 29, v2
	v_and_b32_e32 v0, 7, v0
; %bb.112:                              ;   in Loop: Header=BB321_11 Depth=1
	s_or_b32 exec_lo, exec_lo, s24
	v_lshlrev_b32_e32 v2, 8, v31
	v_lshl_add_u32 v1, v1, 10, 0x2000
	v_lshlrev_b32_e32 v0, 7, v0
	v_and_b32_e32 v2, 0x8000, v2
	v_and_b32_e32 v1, 0xfc00, v1
	v_or3_b32 v84, v2, v1, v0
.LBB321_113:                            ;   in Loop: Header=BB321_11 Depth=1
	s_or_b32 exec_lo, exec_lo, s23
.LBB321_114:                            ;   in Loop: Header=BB321_11 Depth=1
	s_or_b32 exec_lo, exec_lo, s22
.LBB321_115:                            ;   in Loop: Header=BB321_11 Depth=1
	s_or_b32 exec_lo, exec_lo, s21
	v_lshrrev_b16 v8, 8, v8
	v_mov_b32_e32 v86, 0
	v_mov_b32_e32 v87, 0
	s_mov_b32 s21, exec_lo
	v_cmpx_ne_u16_e32 0, v8
	s_cbranch_execz .LBB321_123
; %bb.116:                              ;   in Loop: Header=BB321_11 Depth=1
	v_bfrev_b32_e32 v87, 1
	s_mov_b32 s22, exec_lo
	v_cmpx_ne_u16_e32 0x80, v8
	s_cbranch_execz .LBB321_122
; %bb.117:                              ;   in Loop: Header=BB321_11 Depth=1
	v_mov_b32_e32 v0, 0x7f
	v_mov_b32_e32 v87, 0x7c010000
	s_mov_b32 s23, exec_lo
	v_and_b32_sdwa v2, v8, v0 dst_sel:DWORD dst_unused:UNUSED_PAD src0_sel:WORD_0 src1_sel:DWORD
	v_cmpx_ne_u32_e32 0x7f, v2
	s_cbranch_execz .LBB321_121
; %bb.118:                              ;   in Loop: Header=BB321_11 Depth=1
	v_mov_b32_e32 v0, 7
	v_lshrrev_b32_e32 v1, 3, v2
	s_mov_b32 s24, exec_lo
	v_and_b32_sdwa v0, v8, v0 dst_sel:DWORD dst_unused:UNUSED_PAD src0_sel:WORD_0 src1_sel:DWORD
	v_cmpx_gt_u32_e32 8, v2
; %bb.119:                              ;   in Loop: Header=BB321_11 Depth=1
	v_ffbh_u32_e32 v0, v0
	v_min_u32_e32 v2, 32, v0
	v_subrev_nc_u32_e32 v0, 28, v2
	v_lshlrev_b64 v[0:1], v0, v[8:9]
	v_sub_nc_u32_e32 v1, 29, v2
	v_and_b32_e32 v0, 7, v0
; %bb.120:                              ;   in Loop: Header=BB321_11 Depth=1
	s_or_b32 exec_lo, exec_lo, s24
	v_mov_b32_e32 v2, 8
	v_lshl_add_u32 v1, v1, 10, 0x2000
	v_lshlrev_b32_e32 v0, 23, v0
	v_lshlrev_b32_sdwa v2, v2, v8 dst_sel:DWORD dst_unused:UNUSED_PAD src0_sel:DWORD src1_sel:WORD_0
	v_and_or_b32 v1, 0x8000, v2, v1
	v_lshl_or_b32 v87, v1, 16, v0
.LBB321_121:                            ;   in Loop: Header=BB321_11 Depth=1
	s_or_b32 exec_lo, exec_lo, s23
.LBB321_122:                            ;   in Loop: Header=BB321_11 Depth=1
	s_or_b32 exec_lo, exec_lo, s22
.LBB321_123:                            ;   in Loop: Header=BB321_11 Depth=1
	s_or_b32 exec_lo, exec_lo, s21
	v_lshrrev_b32_e32 v8, 16, v31
	v_cmp_ne_u16_sdwa s5, v8, v9 src0_sel:BYTE_0 src1_sel:DWORD
	s_and_saveexec_b32 s21, s5
	s_cbranch_execz .LBB321_131
; %bb.124:                              ;   in Loop: Header=BB321_11 Depth=1
	v_cmp_ne_u16_sdwa s5, v8, v51 src0_sel:BYTE_0 src1_sel:DWORD
	v_mov_b32_e32 v86, 0x8000
	s_and_saveexec_b32 s22, s5
	s_cbranch_execz .LBB321_130
; %bb.125:                              ;   in Loop: Header=BB321_11 Depth=1
	v_bfe_u32 v2, v31, 16, 7
	v_mov_b32_e32 v86, 0x7c01
	s_mov_b32 s23, exec_lo
	v_cmpx_ne_u32_e32 0x7f, v2
	s_cbranch_execz .LBB321_129
; %bb.126:                              ;   in Loop: Header=BB321_11 Depth=1
	v_and_b32_e32 v0, 7, v8
	v_lshrrev_b32_e32 v1, 3, v2
	s_mov_b32 s24, exec_lo
	v_cmpx_gt_u32_e32 8, v2
; %bb.127:                              ;   in Loop: Header=BB321_11 Depth=1
	v_ffbh_u32_e32 v0, v0
	v_min_u32_e32 v2, 32, v0
	v_subrev_nc_u32_e32 v0, 28, v2
	v_lshlrev_b64 v[0:1], v0, v[8:9]
	v_sub_nc_u32_e32 v1, 29, v2
	v_and_b32_e32 v0, 7, v0
; %bb.128:                              ;   in Loop: Header=BB321_11 Depth=1
	s_or_b32 exec_lo, exec_lo, s24
	v_lshlrev_b32_e32 v2, 8, v8
	v_lshl_add_u32 v1, v1, 10, 0x2000
	v_lshlrev_b32_e32 v0, 7, v0
	v_and_b32_e32 v2, 0x8000, v2
	v_and_b32_e32 v1, 0xfc00, v1
	v_or3_b32 v86, v2, v1, v0
.LBB321_129:                            ;   in Loop: Header=BB321_11 Depth=1
	s_or_b32 exec_lo, exec_lo, s23
.LBB321_130:                            ;   in Loop: Header=BB321_11 Depth=1
	s_or_b32 exec_lo, exec_lo, s22
.LBB321_131:                            ;   in Loop: Header=BB321_11 Depth=1
	s_or_b32 exec_lo, exec_lo, s21
	v_mov_b32_e32 v97, 0
	v_mov_b32_e32 v96, 0
	s_mov_b32 s21, exec_lo
	v_cmpx_lt_u64_e64 s[6:7], v[30:31]
	s_cbranch_execz .LBB321_139
; %bb.132:                              ;   in Loop: Header=BB321_11 Depth=1
	v_lshrrev_b32_e32 v8, 24, v31
	v_bfrev_b32_e32 v96, 1
	s_mov_b32 s22, exec_lo
	v_cmpx_ne_u32_e32 0x80, v8
	s_cbranch_execz .LBB321_138
; %bb.133:                              ;   in Loop: Header=BB321_11 Depth=1
	v_and_b32_e32 v2, 0x7f, v8
	v_mov_b32_e32 v96, 0x7c010000
	s_mov_b32 s23, exec_lo
	v_cmpx_ne_u32_e32 0x7f, v2
	s_cbranch_execz .LBB321_137
; %bb.134:                              ;   in Loop: Header=BB321_11 Depth=1
	v_and_b32_e32 v0, 7, v8
	v_lshrrev_b32_e32 v1, 3, v2
	s_mov_b32 s24, exec_lo
	v_cmpx_gt_u32_e32 8, v2
; %bb.135:                              ;   in Loop: Header=BB321_11 Depth=1
	v_ffbh_u32_e32 v0, v0
	v_min_u32_e32 v2, 32, v0
	v_subrev_nc_u32_e32 v0, 28, v2
	v_lshlrev_b64 v[0:1], v0, v[8:9]
	v_sub_nc_u32_e32 v1, 29, v2
	v_and_b32_e32 v0, 7, v0
; %bb.136:                              ;   in Loop: Header=BB321_11 Depth=1
	s_or_b32 exec_lo, exec_lo, s24
	v_lshlrev_b32_e32 v2, 8, v8
	v_lshl_add_u32 v1, v1, 10, 0x2000
	v_lshlrev_b32_e32 v0, 23, v0
	v_and_or_b32 v1, 0x8000, v2, v1
	v_lshl_or_b32 v96, v1, 16, v0
.LBB321_137:                            ;   in Loop: Header=BB321_11 Depth=1
	s_or_b32 exec_lo, exec_lo, s23
.LBB321_138:                            ;   in Loop: Header=BB321_11 Depth=1
	s_or_b32 exec_lo, exec_lo, s22
.LBB321_139:                            ;   in Loop: Header=BB321_11 Depth=1
	s_or_b32 exec_lo, exec_lo, s21
	flat_load_dwordx2 v[30:31], v[28:29] offset:512
	s_waitcnt vmcnt(0) lgkmcnt(0)
	v_cmp_ne_u16_sdwa s5, v30, v9 src0_sel:BYTE_0 src1_sel:DWORD
	s_and_saveexec_b32 s21, s5
	s_cbranch_execz .LBB321_147
; %bb.140:                              ;   in Loop: Header=BB321_11 Depth=1
	v_cmp_ne_u16_sdwa s5, v30, v51 src0_sel:BYTE_0 src1_sel:DWORD
	v_mov_b32_e32 v97, 0x8000
	s_and_saveexec_b32 s22, s5
	s_cbranch_execz .LBB321_146
; %bb.141:                              ;   in Loop: Header=BB321_11 Depth=1
	v_and_b32_e32 v2, 0x7f, v30
	v_mov_b32_e32 v97, 0x7c01
	s_mov_b32 s23, exec_lo
	v_cmpx_ne_u32_e32 0x7f, v2
	s_cbranch_execz .LBB321_145
; %bb.142:                              ;   in Loop: Header=BB321_11 Depth=1
	v_and_b32_e32 v0, 7, v30
	v_lshrrev_b32_e32 v1, 3, v2
	s_mov_b32 s24, exec_lo
	v_cmpx_gt_u32_e32 8, v2
; %bb.143:                              ;   in Loop: Header=BB321_11 Depth=1
	v_ffbh_u32_e32 v0, v0
	v_min_u32_e32 v2, 32, v0
	v_subrev_nc_u32_e32 v0, 28, v2
	v_lshlrev_b64 v[0:1], v0, v[30:31]
	v_sub_nc_u32_e32 v1, 29, v2
	v_and_b32_e32 v0, 7, v0
; %bb.144:                              ;   in Loop: Header=BB321_11 Depth=1
	s_or_b32 exec_lo, exec_lo, s24
	v_lshlrev_b32_e32 v2, 8, v30
	v_lshl_add_u32 v1, v1, 10, 0x2000
	v_lshlrev_b32_e32 v0, 7, v0
	v_and_b32_e32 v2, 0x8000, v2
	v_and_b32_e32 v1, 0xfc00, v1
	v_or3_b32 v97, v2, v1, v0
.LBB321_145:                            ;   in Loop: Header=BB321_11 Depth=1
	s_or_b32 exec_lo, exec_lo, s23
.LBB321_146:                            ;   in Loop: Header=BB321_11 Depth=1
	s_or_b32 exec_lo, exec_lo, s22
.LBB321_147:                            ;   in Loop: Header=BB321_11 Depth=1
	s_or_b32 exec_lo, exec_lo, s21
	v_lshrrev_b16 v8, 8, v30
	v_mov_b32_e32 v99, 0
	v_mov_b32_e32 v98, 0
	s_mov_b32 s21, exec_lo
	v_cmpx_ne_u16_e32 0, v8
	s_cbranch_execz .LBB321_155
; %bb.148:                              ;   in Loop: Header=BB321_11 Depth=1
	v_bfrev_b32_e32 v98, 1
	s_mov_b32 s22, exec_lo
	v_cmpx_ne_u16_e32 0x80, v8
	s_cbranch_execz .LBB321_154
; %bb.149:                              ;   in Loop: Header=BB321_11 Depth=1
	v_mov_b32_e32 v0, 0x7f
	v_mov_b32_e32 v98, 0x7c010000
	s_mov_b32 s23, exec_lo
	v_and_b32_sdwa v2, v8, v0 dst_sel:DWORD dst_unused:UNUSED_PAD src0_sel:WORD_0 src1_sel:DWORD
	v_cmpx_ne_u32_e32 0x7f, v2
	s_cbranch_execz .LBB321_153
; %bb.150:                              ;   in Loop: Header=BB321_11 Depth=1
	v_mov_b32_e32 v0, 7
	v_lshrrev_b32_e32 v1, 3, v2
	s_mov_b32 s24, exec_lo
	v_and_b32_sdwa v0, v8, v0 dst_sel:DWORD dst_unused:UNUSED_PAD src0_sel:WORD_0 src1_sel:DWORD
	v_cmpx_gt_u32_e32 8, v2
; %bb.151:                              ;   in Loop: Header=BB321_11 Depth=1
	v_ffbh_u32_e32 v0, v0
	v_min_u32_e32 v2, 32, v0
	v_subrev_nc_u32_e32 v0, 28, v2
	v_lshlrev_b64 v[0:1], v0, v[8:9]
	v_sub_nc_u32_e32 v1, 29, v2
	v_and_b32_e32 v0, 7, v0
; %bb.152:                              ;   in Loop: Header=BB321_11 Depth=1
	s_or_b32 exec_lo, exec_lo, s24
	v_mov_b32_e32 v2, 8
	v_lshl_add_u32 v1, v1, 10, 0x2000
	v_lshlrev_b32_e32 v0, 23, v0
	v_lshlrev_b32_sdwa v2, v2, v8 dst_sel:DWORD dst_unused:UNUSED_PAD src0_sel:DWORD src1_sel:WORD_0
	v_and_or_b32 v1, 0x8000, v2, v1
	v_lshl_or_b32 v98, v1, 16, v0
.LBB321_153:                            ;   in Loop: Header=BB321_11 Depth=1
	s_or_b32 exec_lo, exec_lo, s23
.LBB321_154:                            ;   in Loop: Header=BB321_11 Depth=1
	s_or_b32 exec_lo, exec_lo, s22
.LBB321_155:                            ;   in Loop: Header=BB321_11 Depth=1
	s_or_b32 exec_lo, exec_lo, s21
	v_lshrrev_b32_e32 v8, 16, v30
	v_cmp_ne_u16_sdwa s5, v8, v9 src0_sel:BYTE_0 src1_sel:DWORD
	s_and_saveexec_b32 s21, s5
	s_cbranch_execz .LBB321_163
; %bb.156:                              ;   in Loop: Header=BB321_11 Depth=1
	v_cmp_ne_u16_sdwa s5, v8, v51 src0_sel:BYTE_0 src1_sel:DWORD
	v_mov_b32_e32 v99, 0x8000
	s_and_saveexec_b32 s22, s5
	s_cbranch_execz .LBB321_162
; %bb.157:                              ;   in Loop: Header=BB321_11 Depth=1
	v_bfe_u32 v2, v30, 16, 7
	v_mov_b32_e32 v99, 0x7c01
	s_mov_b32 s23, exec_lo
	v_cmpx_ne_u32_e32 0x7f, v2
	s_cbranch_execz .LBB321_161
; %bb.158:                              ;   in Loop: Header=BB321_11 Depth=1
	v_and_b32_e32 v0, 7, v8
	v_lshrrev_b32_e32 v1, 3, v2
	s_mov_b32 s24, exec_lo
	v_cmpx_gt_u32_e32 8, v2
; %bb.159:                              ;   in Loop: Header=BB321_11 Depth=1
	v_ffbh_u32_e32 v0, v0
	v_min_u32_e32 v2, 32, v0
	v_subrev_nc_u32_e32 v0, 28, v2
	v_lshlrev_b64 v[0:1], v0, v[8:9]
	v_sub_nc_u32_e32 v1, 29, v2
	v_and_b32_e32 v0, 7, v0
; %bb.160:                              ;   in Loop: Header=BB321_11 Depth=1
	s_or_b32 exec_lo, exec_lo, s24
	v_lshlrev_b32_e32 v2, 8, v8
	v_lshl_add_u32 v1, v1, 10, 0x2000
	v_lshlrev_b32_e32 v0, 7, v0
	v_and_b32_e32 v2, 0x8000, v2
	v_and_b32_e32 v1, 0xfc00, v1
	v_or3_b32 v99, v2, v1, v0
.LBB321_161:                            ;   in Loop: Header=BB321_11 Depth=1
	s_or_b32 exec_lo, exec_lo, s23
.LBB321_162:                            ;   in Loop: Header=BB321_11 Depth=1
	s_or_b32 exec_lo, exec_lo, s22
.LBB321_163:                            ;   in Loop: Header=BB321_11 Depth=1
	s_or_b32 exec_lo, exec_lo, s21
	v_mov_b32_e32 v100, 0
	v_mov_b32_e32 v101, 0
	s_mov_b32 s21, exec_lo
	v_cmpx_lt_u32_e32 0xffffff, v30
	s_cbranch_execz .LBB321_171
; %bb.164:                              ;   in Loop: Header=BB321_11 Depth=1
	v_lshrrev_b32_e32 v8, 24, v30
	v_bfrev_b32_e32 v101, 1
	s_mov_b32 s22, exec_lo
	v_cmpx_ne_u32_e32 0x80, v8
	s_cbranch_execz .LBB321_170
; %bb.165:                              ;   in Loop: Header=BB321_11 Depth=1
	v_and_b32_e32 v2, 0x7f, v8
	v_mov_b32_e32 v101, 0x7c010000
	s_mov_b32 s23, exec_lo
	v_cmpx_ne_u32_e32 0x7f, v2
	s_cbranch_execz .LBB321_169
; %bb.166:                              ;   in Loop: Header=BB321_11 Depth=1
	v_and_b32_e32 v0, 7, v8
	v_lshrrev_b32_e32 v1, 3, v2
	s_mov_b32 s24, exec_lo
	v_cmpx_gt_u32_e32 8, v2
; %bb.167:                              ;   in Loop: Header=BB321_11 Depth=1
	v_ffbh_u32_e32 v0, v0
	v_min_u32_e32 v2, 32, v0
	v_subrev_nc_u32_e32 v0, 28, v2
	v_lshlrev_b64 v[0:1], v0, v[8:9]
	v_sub_nc_u32_e32 v1, 29, v2
	v_and_b32_e32 v0, 7, v0
; %bb.168:                              ;   in Loop: Header=BB321_11 Depth=1
	s_or_b32 exec_lo, exec_lo, s24
	v_lshlrev_b32_e32 v2, 8, v8
	v_lshl_add_u32 v1, v1, 10, 0x2000
	v_lshlrev_b32_e32 v0, 23, v0
	v_and_or_b32 v1, 0x8000, v2, v1
	v_lshl_or_b32 v101, v1, 16, v0
.LBB321_169:                            ;   in Loop: Header=BB321_11 Depth=1
	s_or_b32 exec_lo, exec_lo, s23
.LBB321_170:                            ;   in Loop: Header=BB321_11 Depth=1
	s_or_b32 exec_lo, exec_lo, s22
.LBB321_171:                            ;   in Loop: Header=BB321_11 Depth=1
	s_or_b32 exec_lo, exec_lo, s21
	v_mov_b32_e32 v8, v31
	v_cmp_ne_u16_sdwa s5, v31, v9 src0_sel:BYTE_0 src1_sel:DWORD
	s_and_saveexec_b32 s21, s5
	s_cbranch_execz .LBB321_179
; %bb.172:                              ;   in Loop: Header=BB321_11 Depth=1
	v_cmp_ne_u16_sdwa s5, v31, v51 src0_sel:BYTE_0 src1_sel:DWORD
	v_mov_b32_e32 v100, 0x8000
	s_and_saveexec_b32 s22, s5
	s_cbranch_execz .LBB321_178
; %bb.173:                              ;   in Loop: Header=BB321_11 Depth=1
	v_and_b32_e32 v2, 0x7f, v31
	v_mov_b32_e32 v100, 0x7c01
	s_mov_b32 s23, exec_lo
	v_cmpx_ne_u32_e32 0x7f, v2
	s_cbranch_execz .LBB321_177
; %bb.174:                              ;   in Loop: Header=BB321_11 Depth=1
	v_and_b32_e32 v0, 7, v31
	v_lshrrev_b32_e32 v1, 3, v2
	s_mov_b32 s24, exec_lo
	v_cmpx_gt_u32_e32 8, v2
; %bb.175:                              ;   in Loop: Header=BB321_11 Depth=1
	v_ffbh_u32_e32 v0, v0
	v_min_u32_e32 v2, 32, v0
	v_subrev_nc_u32_e32 v0, 28, v2
	v_lshlrev_b64 v[0:1], v0, v[8:9]
	v_sub_nc_u32_e32 v1, 29, v2
	v_and_b32_e32 v0, 7, v0
; %bb.176:                              ;   in Loop: Header=BB321_11 Depth=1
	s_or_b32 exec_lo, exec_lo, s24
	v_lshlrev_b32_e32 v2, 8, v31
	v_lshl_add_u32 v1, v1, 10, 0x2000
	v_lshlrev_b32_e32 v0, 7, v0
	v_and_b32_e32 v2, 0x8000, v2
	v_and_b32_e32 v1, 0xfc00, v1
	v_or3_b32 v100, v2, v1, v0
.LBB321_177:                            ;   in Loop: Header=BB321_11 Depth=1
	s_or_b32 exec_lo, exec_lo, s23
.LBB321_178:                            ;   in Loop: Header=BB321_11 Depth=1
	s_or_b32 exec_lo, exec_lo, s22
.LBB321_179:                            ;   in Loop: Header=BB321_11 Depth=1
	s_or_b32 exec_lo, exec_lo, s21
	v_lshrrev_b16 v8, 8, v8
	v_mov_b32_e32 v102, 0
	v_mov_b32_e32 v103, 0
	s_mov_b32 s21, exec_lo
	v_cmpx_ne_u16_e32 0, v8
	s_cbranch_execz .LBB321_187
; %bb.180:                              ;   in Loop: Header=BB321_11 Depth=1
	v_bfrev_b32_e32 v103, 1
	s_mov_b32 s22, exec_lo
	v_cmpx_ne_u16_e32 0x80, v8
	s_cbranch_execz .LBB321_186
; %bb.181:                              ;   in Loop: Header=BB321_11 Depth=1
	v_mov_b32_e32 v0, 0x7f
	v_mov_b32_e32 v103, 0x7c010000
	s_mov_b32 s23, exec_lo
	v_and_b32_sdwa v2, v8, v0 dst_sel:DWORD dst_unused:UNUSED_PAD src0_sel:WORD_0 src1_sel:DWORD
	v_cmpx_ne_u32_e32 0x7f, v2
	s_cbranch_execz .LBB321_185
; %bb.182:                              ;   in Loop: Header=BB321_11 Depth=1
	v_mov_b32_e32 v0, 7
	v_lshrrev_b32_e32 v1, 3, v2
	s_mov_b32 s24, exec_lo
	v_and_b32_sdwa v0, v8, v0 dst_sel:DWORD dst_unused:UNUSED_PAD src0_sel:WORD_0 src1_sel:DWORD
	v_cmpx_gt_u32_e32 8, v2
; %bb.183:                              ;   in Loop: Header=BB321_11 Depth=1
	v_ffbh_u32_e32 v0, v0
	v_min_u32_e32 v2, 32, v0
	v_subrev_nc_u32_e32 v0, 28, v2
	v_lshlrev_b64 v[0:1], v0, v[8:9]
	v_sub_nc_u32_e32 v1, 29, v2
	v_and_b32_e32 v0, 7, v0
; %bb.184:                              ;   in Loop: Header=BB321_11 Depth=1
	s_or_b32 exec_lo, exec_lo, s24
	v_mov_b32_e32 v2, 8
	v_lshl_add_u32 v1, v1, 10, 0x2000
	v_lshlrev_b32_e32 v0, 23, v0
	v_lshlrev_b32_sdwa v2, v2, v8 dst_sel:DWORD dst_unused:UNUSED_PAD src0_sel:DWORD src1_sel:WORD_0
	v_and_or_b32 v1, 0x8000, v2, v1
	v_lshl_or_b32 v103, v1, 16, v0
.LBB321_185:                            ;   in Loop: Header=BB321_11 Depth=1
	s_or_b32 exec_lo, exec_lo, s23
.LBB321_186:                            ;   in Loop: Header=BB321_11 Depth=1
	s_or_b32 exec_lo, exec_lo, s22
.LBB321_187:                            ;   in Loop: Header=BB321_11 Depth=1
	s_or_b32 exec_lo, exec_lo, s21
	v_lshrrev_b32_e32 v8, 16, v31
	v_cmp_ne_u16_sdwa s5, v8, v9 src0_sel:BYTE_0 src1_sel:DWORD
	s_and_saveexec_b32 s21, s5
	s_cbranch_execz .LBB321_195
; %bb.188:                              ;   in Loop: Header=BB321_11 Depth=1
	v_cmp_ne_u16_sdwa s5, v8, v51 src0_sel:BYTE_0 src1_sel:DWORD
	v_mov_b32_e32 v102, 0x8000
	s_and_saveexec_b32 s22, s5
	s_cbranch_execz .LBB321_194
; %bb.189:                              ;   in Loop: Header=BB321_11 Depth=1
	v_bfe_u32 v2, v31, 16, 7
	v_mov_b32_e32 v102, 0x7c01
	s_mov_b32 s23, exec_lo
	v_cmpx_ne_u32_e32 0x7f, v2
	s_cbranch_execz .LBB321_193
; %bb.190:                              ;   in Loop: Header=BB321_11 Depth=1
	v_and_b32_e32 v0, 7, v8
	v_lshrrev_b32_e32 v1, 3, v2
	s_mov_b32 s24, exec_lo
	v_cmpx_gt_u32_e32 8, v2
; %bb.191:                              ;   in Loop: Header=BB321_11 Depth=1
	v_ffbh_u32_e32 v0, v0
	v_min_u32_e32 v2, 32, v0
	v_subrev_nc_u32_e32 v0, 28, v2
	v_lshlrev_b64 v[0:1], v0, v[8:9]
	v_sub_nc_u32_e32 v1, 29, v2
	v_and_b32_e32 v0, 7, v0
; %bb.192:                              ;   in Loop: Header=BB321_11 Depth=1
	s_or_b32 exec_lo, exec_lo, s24
	v_lshlrev_b32_e32 v2, 8, v8
	v_lshl_add_u32 v1, v1, 10, 0x2000
	v_lshlrev_b32_e32 v0, 7, v0
	v_and_b32_e32 v2, 0x8000, v2
	v_and_b32_e32 v1, 0xfc00, v1
	v_or3_b32 v102, v2, v1, v0
.LBB321_193:                            ;   in Loop: Header=BB321_11 Depth=1
	s_or_b32 exec_lo, exec_lo, s23
.LBB321_194:                            ;   in Loop: Header=BB321_11 Depth=1
	s_or_b32 exec_lo, exec_lo, s22
.LBB321_195:                            ;   in Loop: Header=BB321_11 Depth=1
	s_or_b32 exec_lo, exec_lo, s21
	v_mov_b32_e32 v113, 0
	v_mov_b32_e32 v112, 0
	s_mov_b32 s21, exec_lo
	v_cmpx_lt_u64_e64 s[6:7], v[30:31]
	s_cbranch_execz .LBB321_203
; %bb.196:                              ;   in Loop: Header=BB321_11 Depth=1
	v_lshrrev_b32_e32 v8, 24, v31
	v_bfrev_b32_e32 v112, 1
	s_mov_b32 s22, exec_lo
	v_cmpx_ne_u32_e32 0x80, v8
	s_cbranch_execz .LBB321_202
; %bb.197:                              ;   in Loop: Header=BB321_11 Depth=1
	v_and_b32_e32 v2, 0x7f, v8
	v_mov_b32_e32 v112, 0x7c010000
	s_mov_b32 s23, exec_lo
	v_cmpx_ne_u32_e32 0x7f, v2
	s_cbranch_execz .LBB321_201
; %bb.198:                              ;   in Loop: Header=BB321_11 Depth=1
	v_and_b32_e32 v0, 7, v8
	v_lshrrev_b32_e32 v1, 3, v2
	s_mov_b32 s24, exec_lo
	v_cmpx_gt_u32_e32 8, v2
; %bb.199:                              ;   in Loop: Header=BB321_11 Depth=1
	v_ffbh_u32_e32 v0, v0
	v_min_u32_e32 v2, 32, v0
	v_subrev_nc_u32_e32 v0, 28, v2
	v_lshlrev_b64 v[0:1], v0, v[8:9]
	v_sub_nc_u32_e32 v1, 29, v2
	v_and_b32_e32 v0, 7, v0
; %bb.200:                              ;   in Loop: Header=BB321_11 Depth=1
	s_or_b32 exec_lo, exec_lo, s24
	v_lshlrev_b32_e32 v2, 8, v8
	v_lshl_add_u32 v1, v1, 10, 0x2000
	v_lshlrev_b32_e32 v0, 23, v0
	v_and_or_b32 v1, 0x8000, v2, v1
	v_lshl_or_b32 v112, v1, 16, v0
.LBB321_201:                            ;   in Loop: Header=BB321_11 Depth=1
	s_or_b32 exec_lo, exec_lo, s23
.LBB321_202:                            ;   in Loop: Header=BB321_11 Depth=1
	s_or_b32 exec_lo, exec_lo, s22
.LBB321_203:                            ;   in Loop: Header=BB321_11 Depth=1
	s_or_b32 exec_lo, exec_lo, s21
	flat_load_dwordx2 v[30:31], v[28:29] offset:520
	s_waitcnt vmcnt(0) lgkmcnt(0)
	v_cmp_ne_u16_sdwa s5, v30, v9 src0_sel:BYTE_0 src1_sel:DWORD
	s_and_saveexec_b32 s21, s5
	s_cbranch_execz .LBB321_211
; %bb.204:                              ;   in Loop: Header=BB321_11 Depth=1
	v_cmp_ne_u16_sdwa s5, v30, v51 src0_sel:BYTE_0 src1_sel:DWORD
	v_mov_b32_e32 v113, 0x8000
	s_and_saveexec_b32 s22, s5
	s_cbranch_execz .LBB321_210
; %bb.205:                              ;   in Loop: Header=BB321_11 Depth=1
	v_and_b32_e32 v2, 0x7f, v30
	v_mov_b32_e32 v113, 0x7c01
	s_mov_b32 s23, exec_lo
	v_cmpx_ne_u32_e32 0x7f, v2
	s_cbranch_execz .LBB321_209
; %bb.206:                              ;   in Loop: Header=BB321_11 Depth=1
	v_and_b32_e32 v0, 7, v30
	v_lshrrev_b32_e32 v1, 3, v2
	s_mov_b32 s24, exec_lo
	v_cmpx_gt_u32_e32 8, v2
; %bb.207:                              ;   in Loop: Header=BB321_11 Depth=1
	v_ffbh_u32_e32 v0, v0
	v_min_u32_e32 v2, 32, v0
	v_subrev_nc_u32_e32 v0, 28, v2
	v_lshlrev_b64 v[0:1], v0, v[30:31]
	v_sub_nc_u32_e32 v1, 29, v2
	v_and_b32_e32 v0, 7, v0
; %bb.208:                              ;   in Loop: Header=BB321_11 Depth=1
	s_or_b32 exec_lo, exec_lo, s24
	v_lshlrev_b32_e32 v2, 8, v30
	v_lshl_add_u32 v1, v1, 10, 0x2000
	v_lshlrev_b32_e32 v0, 7, v0
	v_and_b32_e32 v2, 0x8000, v2
	v_and_b32_e32 v1, 0xfc00, v1
	v_or3_b32 v113, v2, v1, v0
.LBB321_209:                            ;   in Loop: Header=BB321_11 Depth=1
	s_or_b32 exec_lo, exec_lo, s23
.LBB321_210:                            ;   in Loop: Header=BB321_11 Depth=1
	s_or_b32 exec_lo, exec_lo, s22
.LBB321_211:                            ;   in Loop: Header=BB321_11 Depth=1
	s_or_b32 exec_lo, exec_lo, s21
	v_lshrrev_b16 v8, 8, v30
	v_mov_b32_e32 v115, 0
	v_mov_b32_e32 v114, 0
	s_mov_b32 s21, exec_lo
	v_cmpx_ne_u16_e32 0, v8
	s_cbranch_execz .LBB321_219
; %bb.212:                              ;   in Loop: Header=BB321_11 Depth=1
	v_bfrev_b32_e32 v114, 1
	s_mov_b32 s22, exec_lo
	v_cmpx_ne_u16_e32 0x80, v8
	s_cbranch_execz .LBB321_218
; %bb.213:                              ;   in Loop: Header=BB321_11 Depth=1
	v_mov_b32_e32 v0, 0x7f
	v_mov_b32_e32 v114, 0x7c010000
	s_mov_b32 s23, exec_lo
	v_and_b32_sdwa v2, v8, v0 dst_sel:DWORD dst_unused:UNUSED_PAD src0_sel:WORD_0 src1_sel:DWORD
	v_cmpx_ne_u32_e32 0x7f, v2
	s_cbranch_execz .LBB321_217
; %bb.214:                              ;   in Loop: Header=BB321_11 Depth=1
	v_mov_b32_e32 v0, 7
	v_lshrrev_b32_e32 v1, 3, v2
	s_mov_b32 s24, exec_lo
	v_and_b32_sdwa v0, v8, v0 dst_sel:DWORD dst_unused:UNUSED_PAD src0_sel:WORD_0 src1_sel:DWORD
	v_cmpx_gt_u32_e32 8, v2
; %bb.215:                              ;   in Loop: Header=BB321_11 Depth=1
	v_ffbh_u32_e32 v0, v0
	v_min_u32_e32 v2, 32, v0
	v_subrev_nc_u32_e32 v0, 28, v2
	v_lshlrev_b64 v[0:1], v0, v[8:9]
	v_sub_nc_u32_e32 v1, 29, v2
	v_and_b32_e32 v0, 7, v0
; %bb.216:                              ;   in Loop: Header=BB321_11 Depth=1
	s_or_b32 exec_lo, exec_lo, s24
	v_mov_b32_e32 v2, 8
	v_lshl_add_u32 v1, v1, 10, 0x2000
	v_lshlrev_b32_e32 v0, 23, v0
	v_lshlrev_b32_sdwa v2, v2, v8 dst_sel:DWORD dst_unused:UNUSED_PAD src0_sel:DWORD src1_sel:WORD_0
	v_and_or_b32 v1, 0x8000, v2, v1
	v_lshl_or_b32 v114, v1, 16, v0
.LBB321_217:                            ;   in Loop: Header=BB321_11 Depth=1
	s_or_b32 exec_lo, exec_lo, s23
.LBB321_218:                            ;   in Loop: Header=BB321_11 Depth=1
	s_or_b32 exec_lo, exec_lo, s22
.LBB321_219:                            ;   in Loop: Header=BB321_11 Depth=1
	s_or_b32 exec_lo, exec_lo, s21
	v_lshrrev_b32_e32 v8, 16, v30
	v_cmp_ne_u16_sdwa s5, v8, v9 src0_sel:BYTE_0 src1_sel:DWORD
	s_and_saveexec_b32 s21, s5
	s_cbranch_execz .LBB321_227
; %bb.220:                              ;   in Loop: Header=BB321_11 Depth=1
	v_cmp_ne_u16_sdwa s5, v8, v51 src0_sel:BYTE_0 src1_sel:DWORD
	v_mov_b32_e32 v115, 0x8000
	s_and_saveexec_b32 s22, s5
	s_cbranch_execz .LBB321_226
; %bb.221:                              ;   in Loop: Header=BB321_11 Depth=1
	v_bfe_u32 v2, v30, 16, 7
	v_mov_b32_e32 v115, 0x7c01
	s_mov_b32 s23, exec_lo
	v_cmpx_ne_u32_e32 0x7f, v2
	s_cbranch_execz .LBB321_225
; %bb.222:                              ;   in Loop: Header=BB321_11 Depth=1
	v_and_b32_e32 v0, 7, v8
	v_lshrrev_b32_e32 v1, 3, v2
	s_mov_b32 s24, exec_lo
	v_cmpx_gt_u32_e32 8, v2
; %bb.223:                              ;   in Loop: Header=BB321_11 Depth=1
	v_ffbh_u32_e32 v0, v0
	v_min_u32_e32 v2, 32, v0
	v_subrev_nc_u32_e32 v0, 28, v2
	v_lshlrev_b64 v[0:1], v0, v[8:9]
	v_sub_nc_u32_e32 v1, 29, v2
	v_and_b32_e32 v0, 7, v0
; %bb.224:                              ;   in Loop: Header=BB321_11 Depth=1
	s_or_b32 exec_lo, exec_lo, s24
	v_lshlrev_b32_e32 v2, 8, v8
	v_lshl_add_u32 v1, v1, 10, 0x2000
	v_lshlrev_b32_e32 v0, 7, v0
	v_and_b32_e32 v2, 0x8000, v2
	v_and_b32_e32 v1, 0xfc00, v1
	v_or3_b32 v115, v2, v1, v0
.LBB321_225:                            ;   in Loop: Header=BB321_11 Depth=1
	s_or_b32 exec_lo, exec_lo, s23
.LBB321_226:                            ;   in Loop: Header=BB321_11 Depth=1
	s_or_b32 exec_lo, exec_lo, s22
.LBB321_227:                            ;   in Loop: Header=BB321_11 Depth=1
	s_or_b32 exec_lo, exec_lo, s21
	v_mov_b32_e32 v116, 0
	v_mov_b32_e32 v117, 0
	s_mov_b32 s21, exec_lo
	v_cmpx_lt_u32_e32 0xffffff, v30
	s_cbranch_execz .LBB321_235
; %bb.228:                              ;   in Loop: Header=BB321_11 Depth=1
	v_lshrrev_b32_e32 v8, 24, v30
	v_bfrev_b32_e32 v117, 1
	s_mov_b32 s22, exec_lo
	v_cmpx_ne_u32_e32 0x80, v8
	s_cbranch_execz .LBB321_234
; %bb.229:                              ;   in Loop: Header=BB321_11 Depth=1
	v_and_b32_e32 v2, 0x7f, v8
	v_mov_b32_e32 v117, 0x7c010000
	s_mov_b32 s23, exec_lo
	v_cmpx_ne_u32_e32 0x7f, v2
	s_cbranch_execz .LBB321_233
; %bb.230:                              ;   in Loop: Header=BB321_11 Depth=1
	v_and_b32_e32 v0, 7, v8
	v_lshrrev_b32_e32 v1, 3, v2
	s_mov_b32 s24, exec_lo
	v_cmpx_gt_u32_e32 8, v2
; %bb.231:                              ;   in Loop: Header=BB321_11 Depth=1
	v_ffbh_u32_e32 v0, v0
	v_min_u32_e32 v2, 32, v0
	v_subrev_nc_u32_e32 v0, 28, v2
	v_lshlrev_b64 v[0:1], v0, v[8:9]
	v_sub_nc_u32_e32 v1, 29, v2
	v_and_b32_e32 v0, 7, v0
; %bb.232:                              ;   in Loop: Header=BB321_11 Depth=1
	s_or_b32 exec_lo, exec_lo, s24
	v_lshlrev_b32_e32 v2, 8, v8
	v_lshl_add_u32 v1, v1, 10, 0x2000
	v_lshlrev_b32_e32 v0, 23, v0
	v_and_or_b32 v1, 0x8000, v2, v1
	v_lshl_or_b32 v117, v1, 16, v0
.LBB321_233:                            ;   in Loop: Header=BB321_11 Depth=1
	s_or_b32 exec_lo, exec_lo, s23
.LBB321_234:                            ;   in Loop: Header=BB321_11 Depth=1
	s_or_b32 exec_lo, exec_lo, s22
.LBB321_235:                            ;   in Loop: Header=BB321_11 Depth=1
	s_or_b32 exec_lo, exec_lo, s21
	v_mov_b32_e32 v8, v31
	v_cmp_ne_u16_sdwa s5, v31, v9 src0_sel:BYTE_0 src1_sel:DWORD
	s_and_saveexec_b32 s21, s5
	s_cbranch_execz .LBB321_243
; %bb.236:                              ;   in Loop: Header=BB321_11 Depth=1
	v_cmp_ne_u16_sdwa s5, v31, v51 src0_sel:BYTE_0 src1_sel:DWORD
	v_mov_b32_e32 v116, 0x8000
	s_and_saveexec_b32 s22, s5
	s_cbranch_execz .LBB321_242
; %bb.237:                              ;   in Loop: Header=BB321_11 Depth=1
	v_and_b32_e32 v2, 0x7f, v31
	v_mov_b32_e32 v116, 0x7c01
	s_mov_b32 s23, exec_lo
	v_cmpx_ne_u32_e32 0x7f, v2
	s_cbranch_execz .LBB321_241
; %bb.238:                              ;   in Loop: Header=BB321_11 Depth=1
	v_and_b32_e32 v0, 7, v31
	v_lshrrev_b32_e32 v1, 3, v2
	s_mov_b32 s24, exec_lo
	v_cmpx_gt_u32_e32 8, v2
; %bb.239:                              ;   in Loop: Header=BB321_11 Depth=1
	v_ffbh_u32_e32 v0, v0
	v_min_u32_e32 v2, 32, v0
	v_subrev_nc_u32_e32 v0, 28, v2
	v_lshlrev_b64 v[0:1], v0, v[8:9]
	v_sub_nc_u32_e32 v1, 29, v2
	v_and_b32_e32 v0, 7, v0
; %bb.240:                              ;   in Loop: Header=BB321_11 Depth=1
	s_or_b32 exec_lo, exec_lo, s24
	v_lshlrev_b32_e32 v2, 8, v31
	v_lshl_add_u32 v1, v1, 10, 0x2000
	v_lshlrev_b32_e32 v0, 7, v0
	v_and_b32_e32 v2, 0x8000, v2
	v_and_b32_e32 v1, 0xfc00, v1
	v_or3_b32 v116, v2, v1, v0
.LBB321_241:                            ;   in Loop: Header=BB321_11 Depth=1
	s_or_b32 exec_lo, exec_lo, s23
.LBB321_242:                            ;   in Loop: Header=BB321_11 Depth=1
	s_or_b32 exec_lo, exec_lo, s22
.LBB321_243:                            ;   in Loop: Header=BB321_11 Depth=1
	s_or_b32 exec_lo, exec_lo, s21
	v_lshrrev_b16 v8, 8, v8
	v_mov_b32_e32 v118, 0
	v_mov_b32_e32 v119, 0
	s_mov_b32 s21, exec_lo
	v_cmpx_ne_u16_e32 0, v8
	s_cbranch_execz .LBB321_251
; %bb.244:                              ;   in Loop: Header=BB321_11 Depth=1
	v_bfrev_b32_e32 v119, 1
	s_mov_b32 s22, exec_lo
	v_cmpx_ne_u16_e32 0x80, v8
	s_cbranch_execz .LBB321_250
; %bb.245:                              ;   in Loop: Header=BB321_11 Depth=1
	v_mov_b32_e32 v0, 0x7f
	v_mov_b32_e32 v119, 0x7c010000
	s_mov_b32 s23, exec_lo
	v_and_b32_sdwa v2, v8, v0 dst_sel:DWORD dst_unused:UNUSED_PAD src0_sel:WORD_0 src1_sel:DWORD
	v_cmpx_ne_u32_e32 0x7f, v2
	s_cbranch_execz .LBB321_249
; %bb.246:                              ;   in Loop: Header=BB321_11 Depth=1
	v_mov_b32_e32 v0, 7
	v_lshrrev_b32_e32 v1, 3, v2
	s_mov_b32 s24, exec_lo
	v_and_b32_sdwa v0, v8, v0 dst_sel:DWORD dst_unused:UNUSED_PAD src0_sel:WORD_0 src1_sel:DWORD
	v_cmpx_gt_u32_e32 8, v2
; %bb.247:                              ;   in Loop: Header=BB321_11 Depth=1
	v_ffbh_u32_e32 v0, v0
	v_min_u32_e32 v2, 32, v0
	v_subrev_nc_u32_e32 v0, 28, v2
	v_lshlrev_b64 v[0:1], v0, v[8:9]
	v_sub_nc_u32_e32 v1, 29, v2
	v_and_b32_e32 v0, 7, v0
; %bb.248:                              ;   in Loop: Header=BB321_11 Depth=1
	s_or_b32 exec_lo, exec_lo, s24
	v_mov_b32_e32 v2, 8
	v_lshl_add_u32 v1, v1, 10, 0x2000
	v_lshlrev_b32_e32 v0, 23, v0
	v_lshlrev_b32_sdwa v2, v2, v8 dst_sel:DWORD dst_unused:UNUSED_PAD src0_sel:DWORD src1_sel:WORD_0
	v_and_or_b32 v1, 0x8000, v2, v1
	v_lshl_or_b32 v119, v1, 16, v0
.LBB321_249:                            ;   in Loop: Header=BB321_11 Depth=1
	s_or_b32 exec_lo, exec_lo, s23
.LBB321_250:                            ;   in Loop: Header=BB321_11 Depth=1
	s_or_b32 exec_lo, exec_lo, s22
.LBB321_251:                            ;   in Loop: Header=BB321_11 Depth=1
	s_or_b32 exec_lo, exec_lo, s21
	v_lshrrev_b32_e32 v8, 16, v31
	v_cmp_ne_u16_sdwa s5, v8, v9 src0_sel:BYTE_0 src1_sel:DWORD
	s_and_saveexec_b32 s21, s5
	s_cbranch_execz .LBB321_259
; %bb.252:                              ;   in Loop: Header=BB321_11 Depth=1
	v_cmp_ne_u16_sdwa s5, v8, v51 src0_sel:BYTE_0 src1_sel:DWORD
	v_mov_b32_e32 v118, 0x8000
	s_and_saveexec_b32 s22, s5
	s_cbranch_execz .LBB321_258
; %bb.253:                              ;   in Loop: Header=BB321_11 Depth=1
	v_bfe_u32 v2, v31, 16, 7
	v_mov_b32_e32 v118, 0x7c01
	s_mov_b32 s23, exec_lo
	v_cmpx_ne_u32_e32 0x7f, v2
	s_cbranch_execz .LBB321_257
; %bb.254:                              ;   in Loop: Header=BB321_11 Depth=1
	v_and_b32_e32 v0, 7, v8
	v_lshrrev_b32_e32 v1, 3, v2
	s_mov_b32 s24, exec_lo
	v_cmpx_gt_u32_e32 8, v2
; %bb.255:                              ;   in Loop: Header=BB321_11 Depth=1
	v_ffbh_u32_e32 v0, v0
	v_min_u32_e32 v2, 32, v0
	v_subrev_nc_u32_e32 v0, 28, v2
	v_lshlrev_b64 v[0:1], v0, v[8:9]
	v_sub_nc_u32_e32 v1, 29, v2
	v_and_b32_e32 v0, 7, v0
; %bb.256:                              ;   in Loop: Header=BB321_11 Depth=1
	s_or_b32 exec_lo, exec_lo, s24
	v_lshlrev_b32_e32 v2, 8, v8
	v_lshl_add_u32 v1, v1, 10, 0x2000
	v_lshlrev_b32_e32 v0, 7, v0
	v_and_b32_e32 v2, 0x8000, v2
	v_and_b32_e32 v1, 0xfc00, v1
	v_or3_b32 v118, v2, v1, v0
.LBB321_257:                            ;   in Loop: Header=BB321_11 Depth=1
	s_or_b32 exec_lo, exec_lo, s23
.LBB321_258:                            ;   in Loop: Header=BB321_11 Depth=1
	s_or_b32 exec_lo, exec_lo, s22
.LBB321_259:                            ;   in Loop: Header=BB321_11 Depth=1
	s_or_b32 exec_lo, exec_lo, s21
	v_mov_b32_e32 v41, 0
	v_mov_b32_e32 v40, 0
	s_mov_b32 s21, exec_lo
	v_cmpx_lt_u64_e64 s[6:7], v[30:31]
	s_cbranch_execz .LBB321_267
; %bb.260:                              ;   in Loop: Header=BB321_11 Depth=1
	v_lshrrev_b32_e32 v8, 24, v31
	v_bfrev_b32_e32 v40, 1
	s_mov_b32 s22, exec_lo
	v_cmpx_ne_u32_e32 0x80, v8
	s_cbranch_execz .LBB321_266
; %bb.261:                              ;   in Loop: Header=BB321_11 Depth=1
	v_and_b32_e32 v2, 0x7f, v8
	v_mov_b32_e32 v40, 0x7c010000
	s_mov_b32 s23, exec_lo
	v_cmpx_ne_u32_e32 0x7f, v2
	s_cbranch_execz .LBB321_265
; %bb.262:                              ;   in Loop: Header=BB321_11 Depth=1
	v_and_b32_e32 v0, 7, v8
	v_lshrrev_b32_e32 v1, 3, v2
	s_mov_b32 s24, exec_lo
	v_cmpx_gt_u32_e32 8, v2
; %bb.263:                              ;   in Loop: Header=BB321_11 Depth=1
	v_ffbh_u32_e32 v0, v0
	v_min_u32_e32 v2, 32, v0
	v_subrev_nc_u32_e32 v0, 28, v2
	v_lshlrev_b64 v[0:1], v0, v[8:9]
	v_sub_nc_u32_e32 v1, 29, v2
	v_and_b32_e32 v0, 7, v0
; %bb.264:                              ;   in Loop: Header=BB321_11 Depth=1
	s_or_b32 exec_lo, exec_lo, s24
	v_lshlrev_b32_e32 v2, 8, v8
	v_lshl_add_u32 v1, v1, 10, 0x2000
	v_lshlrev_b32_e32 v0, 23, v0
	v_and_or_b32 v1, 0x8000, v2, v1
	v_lshl_or_b32 v40, v1, 16, v0
.LBB321_265:                            ;   in Loop: Header=BB321_11 Depth=1
	s_or_b32 exec_lo, exec_lo, s23
.LBB321_266:                            ;   in Loop: Header=BB321_11 Depth=1
	s_or_b32 exec_lo, exec_lo, s22
.LBB321_267:                            ;   in Loop: Header=BB321_11 Depth=1
	s_or_b32 exec_lo, exec_lo, s21
	flat_load_dwordx2 v[30:31], v[28:29] offset:1024
	s_waitcnt vmcnt(0) lgkmcnt(0)
	v_cmp_ne_u16_sdwa s5, v30, v9 src0_sel:BYTE_0 src1_sel:DWORD
	s_and_saveexec_b32 s21, s5
	s_cbranch_execz .LBB321_275
; %bb.268:                              ;   in Loop: Header=BB321_11 Depth=1
	v_cmp_ne_u16_sdwa s5, v30, v51 src0_sel:BYTE_0 src1_sel:DWORD
	v_mov_b32_e32 v41, 0x8000
	s_and_saveexec_b32 s22, s5
	s_cbranch_execz .LBB321_274
; %bb.269:                              ;   in Loop: Header=BB321_11 Depth=1
	v_and_b32_e32 v2, 0x7f, v30
	v_mov_b32_e32 v41, 0x7c01
	s_mov_b32 s23, exec_lo
	v_cmpx_ne_u32_e32 0x7f, v2
	s_cbranch_execz .LBB321_273
; %bb.270:                              ;   in Loop: Header=BB321_11 Depth=1
	v_and_b32_e32 v0, 7, v30
	v_lshrrev_b32_e32 v1, 3, v2
	s_mov_b32 s24, exec_lo
	v_cmpx_gt_u32_e32 8, v2
; %bb.271:                              ;   in Loop: Header=BB321_11 Depth=1
	v_ffbh_u32_e32 v0, v0
	v_min_u32_e32 v2, 32, v0
	v_subrev_nc_u32_e32 v0, 28, v2
	v_lshlrev_b64 v[0:1], v0, v[30:31]
	v_sub_nc_u32_e32 v1, 29, v2
	v_and_b32_e32 v0, 7, v0
; %bb.272:                              ;   in Loop: Header=BB321_11 Depth=1
	s_or_b32 exec_lo, exec_lo, s24
	v_lshlrev_b32_e32 v2, 8, v30
	v_lshl_add_u32 v1, v1, 10, 0x2000
	v_lshlrev_b32_e32 v0, 7, v0
	v_and_b32_e32 v2, 0x8000, v2
	v_and_b32_e32 v1, 0xfc00, v1
	v_or3_b32 v41, v2, v1, v0
.LBB321_273:                            ;   in Loop: Header=BB321_11 Depth=1
	s_or_b32 exec_lo, exec_lo, s23
.LBB321_274:                            ;   in Loop: Header=BB321_11 Depth=1
	s_or_b32 exec_lo, exec_lo, s22
.LBB321_275:                            ;   in Loop: Header=BB321_11 Depth=1
	s_or_b32 exec_lo, exec_lo, s21
	v_lshrrev_b16 v8, 8, v30
	v_mov_b32_e32 v43, 0
	v_mov_b32_e32 v42, 0
	s_mov_b32 s21, exec_lo
	v_cmpx_ne_u16_e32 0, v8
	s_cbranch_execz .LBB321_283
; %bb.276:                              ;   in Loop: Header=BB321_11 Depth=1
	v_bfrev_b32_e32 v42, 1
	s_mov_b32 s22, exec_lo
	v_cmpx_ne_u16_e32 0x80, v8
	s_cbranch_execz .LBB321_282
; %bb.277:                              ;   in Loop: Header=BB321_11 Depth=1
	v_mov_b32_e32 v0, 0x7f
	v_mov_b32_e32 v42, 0x7c010000
	s_mov_b32 s23, exec_lo
	v_and_b32_sdwa v2, v8, v0 dst_sel:DWORD dst_unused:UNUSED_PAD src0_sel:WORD_0 src1_sel:DWORD
	v_cmpx_ne_u32_e32 0x7f, v2
	s_cbranch_execz .LBB321_281
; %bb.278:                              ;   in Loop: Header=BB321_11 Depth=1
	v_mov_b32_e32 v0, 7
	v_lshrrev_b32_e32 v1, 3, v2
	s_mov_b32 s24, exec_lo
	v_and_b32_sdwa v0, v8, v0 dst_sel:DWORD dst_unused:UNUSED_PAD src0_sel:WORD_0 src1_sel:DWORD
	v_cmpx_gt_u32_e32 8, v2
; %bb.279:                              ;   in Loop: Header=BB321_11 Depth=1
	v_ffbh_u32_e32 v0, v0
	v_min_u32_e32 v2, 32, v0
	v_subrev_nc_u32_e32 v0, 28, v2
	v_lshlrev_b64 v[0:1], v0, v[8:9]
	v_sub_nc_u32_e32 v1, 29, v2
	v_and_b32_e32 v0, 7, v0
; %bb.280:                              ;   in Loop: Header=BB321_11 Depth=1
	s_or_b32 exec_lo, exec_lo, s24
	v_mov_b32_e32 v2, 8
	v_lshl_add_u32 v1, v1, 10, 0x2000
	v_lshlrev_b32_e32 v0, 23, v0
	v_lshlrev_b32_sdwa v2, v2, v8 dst_sel:DWORD dst_unused:UNUSED_PAD src0_sel:DWORD src1_sel:WORD_0
	v_and_or_b32 v1, 0x8000, v2, v1
	v_lshl_or_b32 v42, v1, 16, v0
.LBB321_281:                            ;   in Loop: Header=BB321_11 Depth=1
	s_or_b32 exec_lo, exec_lo, s23
.LBB321_282:                            ;   in Loop: Header=BB321_11 Depth=1
	s_or_b32 exec_lo, exec_lo, s22
.LBB321_283:                            ;   in Loop: Header=BB321_11 Depth=1
	s_or_b32 exec_lo, exec_lo, s21
	v_lshrrev_b32_e32 v8, 16, v30
	v_cmp_ne_u16_sdwa s5, v8, v9 src0_sel:BYTE_0 src1_sel:DWORD
	s_and_saveexec_b32 s21, s5
	s_cbranch_execz .LBB321_291
; %bb.284:                              ;   in Loop: Header=BB321_11 Depth=1
	v_cmp_ne_u16_sdwa s5, v8, v51 src0_sel:BYTE_0 src1_sel:DWORD
	v_mov_b32_e32 v43, 0x8000
	s_and_saveexec_b32 s22, s5
	s_cbranch_execz .LBB321_290
; %bb.285:                              ;   in Loop: Header=BB321_11 Depth=1
	v_bfe_u32 v2, v30, 16, 7
	v_mov_b32_e32 v43, 0x7c01
	s_mov_b32 s23, exec_lo
	v_cmpx_ne_u32_e32 0x7f, v2
	s_cbranch_execz .LBB321_289
; %bb.286:                              ;   in Loop: Header=BB321_11 Depth=1
	v_and_b32_e32 v0, 7, v8
	v_lshrrev_b32_e32 v1, 3, v2
	s_mov_b32 s24, exec_lo
	v_cmpx_gt_u32_e32 8, v2
; %bb.287:                              ;   in Loop: Header=BB321_11 Depth=1
	v_ffbh_u32_e32 v0, v0
	v_min_u32_e32 v2, 32, v0
	v_subrev_nc_u32_e32 v0, 28, v2
	v_lshlrev_b64 v[0:1], v0, v[8:9]
	v_sub_nc_u32_e32 v1, 29, v2
	v_and_b32_e32 v0, 7, v0
; %bb.288:                              ;   in Loop: Header=BB321_11 Depth=1
	s_or_b32 exec_lo, exec_lo, s24
	v_lshlrev_b32_e32 v2, 8, v8
	v_lshl_add_u32 v1, v1, 10, 0x2000
	v_lshlrev_b32_e32 v0, 7, v0
	v_and_b32_e32 v2, 0x8000, v2
	v_and_b32_e32 v1, 0xfc00, v1
	v_or3_b32 v43, v2, v1, v0
.LBB321_289:                            ;   in Loop: Header=BB321_11 Depth=1
	s_or_b32 exec_lo, exec_lo, s23
.LBB321_290:                            ;   in Loop: Header=BB321_11 Depth=1
	s_or_b32 exec_lo, exec_lo, s22
.LBB321_291:                            ;   in Loop: Header=BB321_11 Depth=1
	s_or_b32 exec_lo, exec_lo, s21
	v_mov_b32_e32 v44, 0
	v_mov_b32_e32 v45, 0
	s_mov_b32 s21, exec_lo
	v_cmpx_lt_u32_e32 0xffffff, v30
	s_cbranch_execz .LBB321_299
; %bb.292:                              ;   in Loop: Header=BB321_11 Depth=1
	v_lshrrev_b32_e32 v8, 24, v30
	v_bfrev_b32_e32 v45, 1
	s_mov_b32 s22, exec_lo
	v_cmpx_ne_u32_e32 0x80, v8
	s_cbranch_execz .LBB321_298
; %bb.293:                              ;   in Loop: Header=BB321_11 Depth=1
	v_and_b32_e32 v2, 0x7f, v8
	v_mov_b32_e32 v45, 0x7c010000
	s_mov_b32 s23, exec_lo
	v_cmpx_ne_u32_e32 0x7f, v2
	s_cbranch_execz .LBB321_297
; %bb.294:                              ;   in Loop: Header=BB321_11 Depth=1
	v_and_b32_e32 v0, 7, v8
	v_lshrrev_b32_e32 v1, 3, v2
	s_mov_b32 s24, exec_lo
	v_cmpx_gt_u32_e32 8, v2
; %bb.295:                              ;   in Loop: Header=BB321_11 Depth=1
	v_ffbh_u32_e32 v0, v0
	v_min_u32_e32 v2, 32, v0
	v_subrev_nc_u32_e32 v0, 28, v2
	v_lshlrev_b64 v[0:1], v0, v[8:9]
	v_sub_nc_u32_e32 v1, 29, v2
	v_and_b32_e32 v0, 7, v0
; %bb.296:                              ;   in Loop: Header=BB321_11 Depth=1
	s_or_b32 exec_lo, exec_lo, s24
	v_lshlrev_b32_e32 v2, 8, v8
	v_lshl_add_u32 v1, v1, 10, 0x2000
	v_lshlrev_b32_e32 v0, 23, v0
	v_and_or_b32 v1, 0x8000, v2, v1
	v_lshl_or_b32 v45, v1, 16, v0
.LBB321_297:                            ;   in Loop: Header=BB321_11 Depth=1
	s_or_b32 exec_lo, exec_lo, s23
.LBB321_298:                            ;   in Loop: Header=BB321_11 Depth=1
	s_or_b32 exec_lo, exec_lo, s22
.LBB321_299:                            ;   in Loop: Header=BB321_11 Depth=1
	s_or_b32 exec_lo, exec_lo, s21
	v_mov_b32_e32 v8, v31
	v_cmp_ne_u16_sdwa s5, v31, v9 src0_sel:BYTE_0 src1_sel:DWORD
	s_and_saveexec_b32 s21, s5
	s_cbranch_execz .LBB321_307
; %bb.300:                              ;   in Loop: Header=BB321_11 Depth=1
	v_cmp_ne_u16_sdwa s5, v31, v51 src0_sel:BYTE_0 src1_sel:DWORD
	v_mov_b32_e32 v44, 0x8000
	s_and_saveexec_b32 s22, s5
	s_cbranch_execz .LBB321_306
; %bb.301:                              ;   in Loop: Header=BB321_11 Depth=1
	v_and_b32_e32 v2, 0x7f, v31
	v_mov_b32_e32 v44, 0x7c01
	s_mov_b32 s23, exec_lo
	v_cmpx_ne_u32_e32 0x7f, v2
	s_cbranch_execz .LBB321_305
; %bb.302:                              ;   in Loop: Header=BB321_11 Depth=1
	v_and_b32_e32 v0, 7, v31
	v_lshrrev_b32_e32 v1, 3, v2
	s_mov_b32 s24, exec_lo
	v_cmpx_gt_u32_e32 8, v2
; %bb.303:                              ;   in Loop: Header=BB321_11 Depth=1
	v_ffbh_u32_e32 v0, v0
	v_min_u32_e32 v2, 32, v0
	v_subrev_nc_u32_e32 v0, 28, v2
	v_lshlrev_b64 v[0:1], v0, v[8:9]
	v_sub_nc_u32_e32 v1, 29, v2
	v_and_b32_e32 v0, 7, v0
; %bb.304:                              ;   in Loop: Header=BB321_11 Depth=1
	s_or_b32 exec_lo, exec_lo, s24
	v_lshlrev_b32_e32 v2, 8, v31
	v_lshl_add_u32 v1, v1, 10, 0x2000
	v_lshlrev_b32_e32 v0, 7, v0
	v_and_b32_e32 v2, 0x8000, v2
	v_and_b32_e32 v1, 0xfc00, v1
	v_or3_b32 v44, v2, v1, v0
.LBB321_305:                            ;   in Loop: Header=BB321_11 Depth=1
	s_or_b32 exec_lo, exec_lo, s23
.LBB321_306:                            ;   in Loop: Header=BB321_11 Depth=1
	s_or_b32 exec_lo, exec_lo, s22
.LBB321_307:                            ;   in Loop: Header=BB321_11 Depth=1
	s_or_b32 exec_lo, exec_lo, s21
	v_lshrrev_b16 v8, 8, v8
	v_mov_b32_e32 v46, 0
	v_mov_b32_e32 v47, 0
	s_mov_b32 s21, exec_lo
	v_cmpx_ne_u16_e32 0, v8
	s_cbranch_execz .LBB321_315
; %bb.308:                              ;   in Loop: Header=BB321_11 Depth=1
	v_bfrev_b32_e32 v47, 1
	s_mov_b32 s22, exec_lo
	v_cmpx_ne_u16_e32 0x80, v8
	s_cbranch_execz .LBB321_314
; %bb.309:                              ;   in Loop: Header=BB321_11 Depth=1
	v_mov_b32_e32 v0, 0x7f
	v_mov_b32_e32 v47, 0x7c010000
	s_mov_b32 s23, exec_lo
	v_and_b32_sdwa v2, v8, v0 dst_sel:DWORD dst_unused:UNUSED_PAD src0_sel:WORD_0 src1_sel:DWORD
	v_cmpx_ne_u32_e32 0x7f, v2
	s_cbranch_execz .LBB321_313
; %bb.310:                              ;   in Loop: Header=BB321_11 Depth=1
	v_mov_b32_e32 v0, 7
	v_lshrrev_b32_e32 v1, 3, v2
	s_mov_b32 s24, exec_lo
	v_and_b32_sdwa v0, v8, v0 dst_sel:DWORD dst_unused:UNUSED_PAD src0_sel:WORD_0 src1_sel:DWORD
	v_cmpx_gt_u32_e32 8, v2
; %bb.311:                              ;   in Loop: Header=BB321_11 Depth=1
	v_ffbh_u32_e32 v0, v0
	v_min_u32_e32 v2, 32, v0
	v_subrev_nc_u32_e32 v0, 28, v2
	v_lshlrev_b64 v[0:1], v0, v[8:9]
	v_sub_nc_u32_e32 v1, 29, v2
	v_and_b32_e32 v0, 7, v0
; %bb.312:                              ;   in Loop: Header=BB321_11 Depth=1
	s_or_b32 exec_lo, exec_lo, s24
	v_mov_b32_e32 v2, 8
	v_lshl_add_u32 v1, v1, 10, 0x2000
	v_lshlrev_b32_e32 v0, 23, v0
	v_lshlrev_b32_sdwa v2, v2, v8 dst_sel:DWORD dst_unused:UNUSED_PAD src0_sel:DWORD src1_sel:WORD_0
	v_and_or_b32 v1, 0x8000, v2, v1
	v_lshl_or_b32 v47, v1, 16, v0
.LBB321_313:                            ;   in Loop: Header=BB321_11 Depth=1
	s_or_b32 exec_lo, exec_lo, s23
.LBB321_314:                            ;   in Loop: Header=BB321_11 Depth=1
	s_or_b32 exec_lo, exec_lo, s22
.LBB321_315:                            ;   in Loop: Header=BB321_11 Depth=1
	s_or_b32 exec_lo, exec_lo, s21
	v_lshrrev_b32_e32 v8, 16, v31
	v_cmp_ne_u16_sdwa s5, v8, v9 src0_sel:BYTE_0 src1_sel:DWORD
	s_and_saveexec_b32 s21, s5
	s_cbranch_execz .LBB321_323
; %bb.316:                              ;   in Loop: Header=BB321_11 Depth=1
	v_cmp_ne_u16_sdwa s5, v8, v51 src0_sel:BYTE_0 src1_sel:DWORD
	v_mov_b32_e32 v46, 0x8000
	s_and_saveexec_b32 s22, s5
	s_cbranch_execz .LBB321_322
; %bb.317:                              ;   in Loop: Header=BB321_11 Depth=1
	v_bfe_u32 v2, v31, 16, 7
	v_mov_b32_e32 v46, 0x7c01
	s_mov_b32 s23, exec_lo
	v_cmpx_ne_u32_e32 0x7f, v2
	s_cbranch_execz .LBB321_321
; %bb.318:                              ;   in Loop: Header=BB321_11 Depth=1
	v_and_b32_e32 v0, 7, v8
	v_lshrrev_b32_e32 v1, 3, v2
	s_mov_b32 s24, exec_lo
	v_cmpx_gt_u32_e32 8, v2
; %bb.319:                              ;   in Loop: Header=BB321_11 Depth=1
	v_ffbh_u32_e32 v0, v0
	v_min_u32_e32 v2, 32, v0
	v_subrev_nc_u32_e32 v0, 28, v2
	v_lshlrev_b64 v[0:1], v0, v[8:9]
	v_sub_nc_u32_e32 v1, 29, v2
	v_and_b32_e32 v0, 7, v0
; %bb.320:                              ;   in Loop: Header=BB321_11 Depth=1
	s_or_b32 exec_lo, exec_lo, s24
	v_lshlrev_b32_e32 v2, 8, v8
	v_lshl_add_u32 v1, v1, 10, 0x2000
	v_lshlrev_b32_e32 v0, 7, v0
	v_and_b32_e32 v2, 0x8000, v2
	v_and_b32_e32 v1, 0xfc00, v1
	v_or3_b32 v46, v2, v1, v0
.LBB321_321:                            ;   in Loop: Header=BB321_11 Depth=1
	s_or_b32 exec_lo, exec_lo, s23
.LBB321_322:                            ;   in Loop: Header=BB321_11 Depth=1
	s_or_b32 exec_lo, exec_lo, s22
.LBB321_323:                            ;   in Loop: Header=BB321_11 Depth=1
	s_or_b32 exec_lo, exec_lo, s21
	v_mov_b32_e32 v57, 0
	v_mov_b32_e32 v56, 0
	s_mov_b32 s21, exec_lo
	v_cmpx_lt_u64_e64 s[6:7], v[30:31]
	s_cbranch_execz .LBB321_331
; %bb.324:                              ;   in Loop: Header=BB321_11 Depth=1
	v_lshrrev_b32_e32 v8, 24, v31
	v_bfrev_b32_e32 v56, 1
	s_mov_b32 s22, exec_lo
	v_cmpx_ne_u32_e32 0x80, v8
	s_cbranch_execz .LBB321_330
; %bb.325:                              ;   in Loop: Header=BB321_11 Depth=1
	v_and_b32_e32 v2, 0x7f, v8
	v_mov_b32_e32 v56, 0x7c010000
	s_mov_b32 s23, exec_lo
	v_cmpx_ne_u32_e32 0x7f, v2
	s_cbranch_execz .LBB321_329
; %bb.326:                              ;   in Loop: Header=BB321_11 Depth=1
	v_and_b32_e32 v0, 7, v8
	v_lshrrev_b32_e32 v1, 3, v2
	s_mov_b32 s24, exec_lo
	v_cmpx_gt_u32_e32 8, v2
; %bb.327:                              ;   in Loop: Header=BB321_11 Depth=1
	v_ffbh_u32_e32 v0, v0
	v_min_u32_e32 v2, 32, v0
	v_subrev_nc_u32_e32 v0, 28, v2
	v_lshlrev_b64 v[0:1], v0, v[8:9]
	v_sub_nc_u32_e32 v1, 29, v2
	v_and_b32_e32 v0, 7, v0
; %bb.328:                              ;   in Loop: Header=BB321_11 Depth=1
	s_or_b32 exec_lo, exec_lo, s24
	v_lshlrev_b32_e32 v2, 8, v8
	v_lshl_add_u32 v1, v1, 10, 0x2000
	v_lshlrev_b32_e32 v0, 23, v0
	v_and_or_b32 v1, 0x8000, v2, v1
	v_lshl_or_b32 v56, v1, 16, v0
.LBB321_329:                            ;   in Loop: Header=BB321_11 Depth=1
	s_or_b32 exec_lo, exec_lo, s23
.LBB321_330:                            ;   in Loop: Header=BB321_11 Depth=1
	s_or_b32 exec_lo, exec_lo, s22
.LBB321_331:                            ;   in Loop: Header=BB321_11 Depth=1
	s_or_b32 exec_lo, exec_lo, s21
	flat_load_dwordx2 v[30:31], v[28:29] offset:1032
	s_waitcnt vmcnt(0) lgkmcnt(0)
	v_cmp_ne_u16_sdwa s5, v30, v9 src0_sel:BYTE_0 src1_sel:DWORD
	s_and_saveexec_b32 s21, s5
	s_cbranch_execz .LBB321_339
; %bb.332:                              ;   in Loop: Header=BB321_11 Depth=1
	v_cmp_ne_u16_sdwa s5, v30, v51 src0_sel:BYTE_0 src1_sel:DWORD
	v_mov_b32_e32 v57, 0x8000
	s_and_saveexec_b32 s22, s5
	s_cbranch_execz .LBB321_338
; %bb.333:                              ;   in Loop: Header=BB321_11 Depth=1
	v_and_b32_e32 v2, 0x7f, v30
	v_mov_b32_e32 v57, 0x7c01
	s_mov_b32 s23, exec_lo
	v_cmpx_ne_u32_e32 0x7f, v2
	s_cbranch_execz .LBB321_337
; %bb.334:                              ;   in Loop: Header=BB321_11 Depth=1
	v_and_b32_e32 v0, 7, v30
	v_lshrrev_b32_e32 v1, 3, v2
	s_mov_b32 s24, exec_lo
	v_cmpx_gt_u32_e32 8, v2
; %bb.335:                              ;   in Loop: Header=BB321_11 Depth=1
	v_ffbh_u32_e32 v0, v0
	v_min_u32_e32 v2, 32, v0
	v_subrev_nc_u32_e32 v0, 28, v2
	v_lshlrev_b64 v[0:1], v0, v[30:31]
	v_sub_nc_u32_e32 v1, 29, v2
	v_and_b32_e32 v0, 7, v0
; %bb.336:                              ;   in Loop: Header=BB321_11 Depth=1
	s_or_b32 exec_lo, exec_lo, s24
	v_lshlrev_b32_e32 v2, 8, v30
	v_lshl_add_u32 v1, v1, 10, 0x2000
	v_lshlrev_b32_e32 v0, 7, v0
	v_and_b32_e32 v2, 0x8000, v2
	v_and_b32_e32 v1, 0xfc00, v1
	v_or3_b32 v57, v2, v1, v0
.LBB321_337:                            ;   in Loop: Header=BB321_11 Depth=1
	s_or_b32 exec_lo, exec_lo, s23
.LBB321_338:                            ;   in Loop: Header=BB321_11 Depth=1
	s_or_b32 exec_lo, exec_lo, s22
.LBB321_339:                            ;   in Loop: Header=BB321_11 Depth=1
	s_or_b32 exec_lo, exec_lo, s21
	v_lshrrev_b16 v8, 8, v30
	v_mov_b32_e32 v59, 0
	v_mov_b32_e32 v58, 0
	s_mov_b32 s21, exec_lo
	v_cmpx_ne_u16_e32 0, v8
	s_cbranch_execz .LBB321_347
; %bb.340:                              ;   in Loop: Header=BB321_11 Depth=1
	v_bfrev_b32_e32 v58, 1
	s_mov_b32 s22, exec_lo
	v_cmpx_ne_u16_e32 0x80, v8
	s_cbranch_execz .LBB321_346
; %bb.341:                              ;   in Loop: Header=BB321_11 Depth=1
	v_mov_b32_e32 v0, 0x7f
	v_mov_b32_e32 v58, 0x7c010000
	s_mov_b32 s23, exec_lo
	v_and_b32_sdwa v2, v8, v0 dst_sel:DWORD dst_unused:UNUSED_PAD src0_sel:WORD_0 src1_sel:DWORD
	v_cmpx_ne_u32_e32 0x7f, v2
	s_cbranch_execz .LBB321_345
; %bb.342:                              ;   in Loop: Header=BB321_11 Depth=1
	v_mov_b32_e32 v0, 7
	v_lshrrev_b32_e32 v1, 3, v2
	s_mov_b32 s24, exec_lo
	v_and_b32_sdwa v0, v8, v0 dst_sel:DWORD dst_unused:UNUSED_PAD src0_sel:WORD_0 src1_sel:DWORD
	v_cmpx_gt_u32_e32 8, v2
; %bb.343:                              ;   in Loop: Header=BB321_11 Depth=1
	v_ffbh_u32_e32 v0, v0
	v_min_u32_e32 v2, 32, v0
	v_subrev_nc_u32_e32 v0, 28, v2
	v_lshlrev_b64 v[0:1], v0, v[8:9]
	v_sub_nc_u32_e32 v1, 29, v2
	v_and_b32_e32 v0, 7, v0
; %bb.344:                              ;   in Loop: Header=BB321_11 Depth=1
	s_or_b32 exec_lo, exec_lo, s24
	v_mov_b32_e32 v2, 8
	v_lshl_add_u32 v1, v1, 10, 0x2000
	v_lshlrev_b32_e32 v0, 23, v0
	v_lshlrev_b32_sdwa v2, v2, v8 dst_sel:DWORD dst_unused:UNUSED_PAD src0_sel:DWORD src1_sel:WORD_0
	v_and_or_b32 v1, 0x8000, v2, v1
	v_lshl_or_b32 v58, v1, 16, v0
.LBB321_345:                            ;   in Loop: Header=BB321_11 Depth=1
	s_or_b32 exec_lo, exec_lo, s23
.LBB321_346:                            ;   in Loop: Header=BB321_11 Depth=1
	s_or_b32 exec_lo, exec_lo, s22
.LBB321_347:                            ;   in Loop: Header=BB321_11 Depth=1
	s_or_b32 exec_lo, exec_lo, s21
	v_lshrrev_b32_e32 v8, 16, v30
	v_cmp_ne_u16_sdwa s5, v8, v9 src0_sel:BYTE_0 src1_sel:DWORD
	s_and_saveexec_b32 s21, s5
	s_cbranch_execz .LBB321_355
; %bb.348:                              ;   in Loop: Header=BB321_11 Depth=1
	v_cmp_ne_u16_sdwa s5, v8, v51 src0_sel:BYTE_0 src1_sel:DWORD
	v_mov_b32_e32 v59, 0x8000
	s_and_saveexec_b32 s22, s5
	s_cbranch_execz .LBB321_354
; %bb.349:                              ;   in Loop: Header=BB321_11 Depth=1
	v_bfe_u32 v2, v30, 16, 7
	v_mov_b32_e32 v59, 0x7c01
	s_mov_b32 s23, exec_lo
	v_cmpx_ne_u32_e32 0x7f, v2
	s_cbranch_execz .LBB321_353
; %bb.350:                              ;   in Loop: Header=BB321_11 Depth=1
	v_and_b32_e32 v0, 7, v8
	v_lshrrev_b32_e32 v1, 3, v2
	s_mov_b32 s24, exec_lo
	v_cmpx_gt_u32_e32 8, v2
; %bb.351:                              ;   in Loop: Header=BB321_11 Depth=1
	v_ffbh_u32_e32 v0, v0
	v_min_u32_e32 v2, 32, v0
	v_subrev_nc_u32_e32 v0, 28, v2
	v_lshlrev_b64 v[0:1], v0, v[8:9]
	v_sub_nc_u32_e32 v1, 29, v2
	v_and_b32_e32 v0, 7, v0
; %bb.352:                              ;   in Loop: Header=BB321_11 Depth=1
	s_or_b32 exec_lo, exec_lo, s24
	v_lshlrev_b32_e32 v2, 8, v8
	v_lshl_add_u32 v1, v1, 10, 0x2000
	v_lshlrev_b32_e32 v0, 7, v0
	v_and_b32_e32 v2, 0x8000, v2
	v_and_b32_e32 v1, 0xfc00, v1
	v_or3_b32 v59, v2, v1, v0
.LBB321_353:                            ;   in Loop: Header=BB321_11 Depth=1
	s_or_b32 exec_lo, exec_lo, s23
.LBB321_354:                            ;   in Loop: Header=BB321_11 Depth=1
	s_or_b32 exec_lo, exec_lo, s22
.LBB321_355:                            ;   in Loop: Header=BB321_11 Depth=1
	s_or_b32 exec_lo, exec_lo, s21
	v_mov_b32_e32 v60, 0
	v_mov_b32_e32 v61, 0
	s_mov_b32 s21, exec_lo
	v_cmpx_lt_u32_e32 0xffffff, v30
	s_cbranch_execz .LBB321_363
; %bb.356:                              ;   in Loop: Header=BB321_11 Depth=1
	v_lshrrev_b32_e32 v8, 24, v30
	v_bfrev_b32_e32 v61, 1
	s_mov_b32 s22, exec_lo
	v_cmpx_ne_u32_e32 0x80, v8
	s_cbranch_execz .LBB321_362
; %bb.357:                              ;   in Loop: Header=BB321_11 Depth=1
	v_and_b32_e32 v2, 0x7f, v8
	v_mov_b32_e32 v61, 0x7c010000
	s_mov_b32 s23, exec_lo
	v_cmpx_ne_u32_e32 0x7f, v2
	s_cbranch_execz .LBB321_361
; %bb.358:                              ;   in Loop: Header=BB321_11 Depth=1
	v_and_b32_e32 v0, 7, v8
	v_lshrrev_b32_e32 v1, 3, v2
	s_mov_b32 s24, exec_lo
	v_cmpx_gt_u32_e32 8, v2
; %bb.359:                              ;   in Loop: Header=BB321_11 Depth=1
	v_ffbh_u32_e32 v0, v0
	v_min_u32_e32 v2, 32, v0
	v_subrev_nc_u32_e32 v0, 28, v2
	v_lshlrev_b64 v[0:1], v0, v[8:9]
	v_sub_nc_u32_e32 v1, 29, v2
	v_and_b32_e32 v0, 7, v0
; %bb.360:                              ;   in Loop: Header=BB321_11 Depth=1
	s_or_b32 exec_lo, exec_lo, s24
	v_lshlrev_b32_e32 v2, 8, v8
	v_lshl_add_u32 v1, v1, 10, 0x2000
	v_lshlrev_b32_e32 v0, 23, v0
	v_and_or_b32 v1, 0x8000, v2, v1
	v_lshl_or_b32 v61, v1, 16, v0
.LBB321_361:                            ;   in Loop: Header=BB321_11 Depth=1
	s_or_b32 exec_lo, exec_lo, s23
.LBB321_362:                            ;   in Loop: Header=BB321_11 Depth=1
	s_or_b32 exec_lo, exec_lo, s22
.LBB321_363:                            ;   in Loop: Header=BB321_11 Depth=1
	s_or_b32 exec_lo, exec_lo, s21
	v_mov_b32_e32 v8, v31
	v_cmp_ne_u16_sdwa s5, v31, v9 src0_sel:BYTE_0 src1_sel:DWORD
	s_and_saveexec_b32 s21, s5
	s_cbranch_execz .LBB321_371
; %bb.364:                              ;   in Loop: Header=BB321_11 Depth=1
	v_cmp_ne_u16_sdwa s5, v31, v51 src0_sel:BYTE_0 src1_sel:DWORD
	v_mov_b32_e32 v60, 0x8000
	s_and_saveexec_b32 s22, s5
	s_cbranch_execz .LBB321_370
; %bb.365:                              ;   in Loop: Header=BB321_11 Depth=1
	v_and_b32_e32 v2, 0x7f, v31
	v_mov_b32_e32 v60, 0x7c01
	s_mov_b32 s23, exec_lo
	v_cmpx_ne_u32_e32 0x7f, v2
	s_cbranch_execz .LBB321_369
; %bb.366:                              ;   in Loop: Header=BB321_11 Depth=1
	v_and_b32_e32 v0, 7, v31
	v_lshrrev_b32_e32 v1, 3, v2
	s_mov_b32 s24, exec_lo
	v_cmpx_gt_u32_e32 8, v2
; %bb.367:                              ;   in Loop: Header=BB321_11 Depth=1
	v_ffbh_u32_e32 v0, v0
	v_min_u32_e32 v2, 32, v0
	v_subrev_nc_u32_e32 v0, 28, v2
	v_lshlrev_b64 v[0:1], v0, v[8:9]
	v_sub_nc_u32_e32 v1, 29, v2
	v_and_b32_e32 v0, 7, v0
; %bb.368:                              ;   in Loop: Header=BB321_11 Depth=1
	s_or_b32 exec_lo, exec_lo, s24
	v_lshlrev_b32_e32 v2, 8, v31
	v_lshl_add_u32 v1, v1, 10, 0x2000
	v_lshlrev_b32_e32 v0, 7, v0
	v_and_b32_e32 v2, 0x8000, v2
	v_and_b32_e32 v1, 0xfc00, v1
	v_or3_b32 v60, v2, v1, v0
.LBB321_369:                            ;   in Loop: Header=BB321_11 Depth=1
	s_or_b32 exec_lo, exec_lo, s23
.LBB321_370:                            ;   in Loop: Header=BB321_11 Depth=1
	s_or_b32 exec_lo, exec_lo, s22
.LBB321_371:                            ;   in Loop: Header=BB321_11 Depth=1
	s_or_b32 exec_lo, exec_lo, s21
	v_lshrrev_b16 v8, 8, v8
	v_mov_b32_e32 v62, 0
	v_mov_b32_e32 v72, 0
	s_mov_b32 s21, exec_lo
	v_cmpx_ne_u16_e32 0, v8
	s_cbranch_execz .LBB321_379
; %bb.372:                              ;   in Loop: Header=BB321_11 Depth=1
	v_bfrev_b32_e32 v72, 1
	s_mov_b32 s22, exec_lo
	v_cmpx_ne_u16_e32 0x80, v8
	s_cbranch_execz .LBB321_378
; %bb.373:                              ;   in Loop: Header=BB321_11 Depth=1
	v_mov_b32_e32 v0, 0x7f
	v_mov_b32_e32 v72, 0x7c010000
	s_mov_b32 s23, exec_lo
	v_and_b32_sdwa v2, v8, v0 dst_sel:DWORD dst_unused:UNUSED_PAD src0_sel:WORD_0 src1_sel:DWORD
	v_cmpx_ne_u32_e32 0x7f, v2
	s_cbranch_execz .LBB321_377
; %bb.374:                              ;   in Loop: Header=BB321_11 Depth=1
	v_mov_b32_e32 v0, 7
	v_lshrrev_b32_e32 v1, 3, v2
	s_mov_b32 s24, exec_lo
	v_and_b32_sdwa v0, v8, v0 dst_sel:DWORD dst_unused:UNUSED_PAD src0_sel:WORD_0 src1_sel:DWORD
	v_cmpx_gt_u32_e32 8, v2
; %bb.375:                              ;   in Loop: Header=BB321_11 Depth=1
	v_ffbh_u32_e32 v0, v0
	v_min_u32_e32 v2, 32, v0
	v_subrev_nc_u32_e32 v0, 28, v2
	v_lshlrev_b64 v[0:1], v0, v[8:9]
	v_sub_nc_u32_e32 v1, 29, v2
	v_and_b32_e32 v0, 7, v0
; %bb.376:                              ;   in Loop: Header=BB321_11 Depth=1
	s_or_b32 exec_lo, exec_lo, s24
	v_mov_b32_e32 v2, 8
	v_lshl_add_u32 v1, v1, 10, 0x2000
	v_lshlrev_b32_e32 v0, 23, v0
	v_lshlrev_b32_sdwa v2, v2, v8 dst_sel:DWORD dst_unused:UNUSED_PAD src0_sel:DWORD src1_sel:WORD_0
	v_and_or_b32 v1, 0x8000, v2, v1
	v_lshl_or_b32 v72, v1, 16, v0
.LBB321_377:                            ;   in Loop: Header=BB321_11 Depth=1
	s_or_b32 exec_lo, exec_lo, s23
.LBB321_378:                            ;   in Loop: Header=BB321_11 Depth=1
	s_or_b32 exec_lo, exec_lo, s22
.LBB321_379:                            ;   in Loop: Header=BB321_11 Depth=1
	s_or_b32 exec_lo, exec_lo, s21
	v_lshrrev_b32_e32 v8, 16, v31
	v_cmp_ne_u16_sdwa s5, v8, v9 src0_sel:BYTE_0 src1_sel:DWORD
	s_and_saveexec_b32 s21, s5
	s_cbranch_execz .LBB321_387
; %bb.380:                              ;   in Loop: Header=BB321_11 Depth=1
	v_cmp_ne_u16_sdwa s5, v8, v51 src0_sel:BYTE_0 src1_sel:DWORD
	v_mov_b32_e32 v62, 0x8000
	s_and_saveexec_b32 s22, s5
	s_cbranch_execz .LBB321_386
; %bb.381:                              ;   in Loop: Header=BB321_11 Depth=1
	v_bfe_u32 v2, v31, 16, 7
	v_mov_b32_e32 v62, 0x7c01
	s_mov_b32 s23, exec_lo
	v_cmpx_ne_u32_e32 0x7f, v2
	s_cbranch_execz .LBB321_385
; %bb.382:                              ;   in Loop: Header=BB321_11 Depth=1
	v_and_b32_e32 v0, 7, v8
	v_lshrrev_b32_e32 v1, 3, v2
	s_mov_b32 s24, exec_lo
	v_cmpx_gt_u32_e32 8, v2
; %bb.383:                              ;   in Loop: Header=BB321_11 Depth=1
	v_ffbh_u32_e32 v0, v0
	v_min_u32_e32 v2, 32, v0
	v_subrev_nc_u32_e32 v0, 28, v2
	v_lshlrev_b64 v[0:1], v0, v[8:9]
	v_sub_nc_u32_e32 v1, 29, v2
	v_and_b32_e32 v0, 7, v0
; %bb.384:                              ;   in Loop: Header=BB321_11 Depth=1
	s_or_b32 exec_lo, exec_lo, s24
	v_lshlrev_b32_e32 v2, 8, v8
	v_lshl_add_u32 v1, v1, 10, 0x2000
	v_lshlrev_b32_e32 v0, 7, v0
	v_and_b32_e32 v2, 0x8000, v2
	v_and_b32_e32 v1, 0xfc00, v1
	v_or3_b32 v62, v2, v1, v0
.LBB321_385:                            ;   in Loop: Header=BB321_11 Depth=1
	s_or_b32 exec_lo, exec_lo, s23
.LBB321_386:                            ;   in Loop: Header=BB321_11 Depth=1
	s_or_b32 exec_lo, exec_lo, s22
.LBB321_387:                            ;   in Loop: Header=BB321_11 Depth=1
	s_or_b32 exec_lo, exec_lo, s21
	v_mov_b32_e32 v75, 0
	v_mov_b32_e32 v74, 0
	s_mov_b32 s21, exec_lo
	v_cmpx_lt_u64_e64 s[6:7], v[30:31]
	s_cbranch_execz .LBB321_395
; %bb.388:                              ;   in Loop: Header=BB321_11 Depth=1
	v_lshrrev_b32_e32 v8, 24, v31
	v_bfrev_b32_e32 v74, 1
	s_mov_b32 s22, exec_lo
	v_cmpx_ne_u32_e32 0x80, v8
	s_cbranch_execz .LBB321_394
; %bb.389:                              ;   in Loop: Header=BB321_11 Depth=1
	v_and_b32_e32 v2, 0x7f, v8
	v_mov_b32_e32 v74, 0x7c010000
	s_mov_b32 s23, exec_lo
	v_cmpx_ne_u32_e32 0x7f, v2
	s_cbranch_execz .LBB321_393
; %bb.390:                              ;   in Loop: Header=BB321_11 Depth=1
	v_and_b32_e32 v0, 7, v8
	v_lshrrev_b32_e32 v1, 3, v2
	s_mov_b32 s24, exec_lo
	v_cmpx_gt_u32_e32 8, v2
; %bb.391:                              ;   in Loop: Header=BB321_11 Depth=1
	v_ffbh_u32_e32 v0, v0
	v_min_u32_e32 v2, 32, v0
	v_subrev_nc_u32_e32 v0, 28, v2
	v_lshlrev_b64 v[0:1], v0, v[8:9]
	v_sub_nc_u32_e32 v1, 29, v2
	v_and_b32_e32 v0, 7, v0
; %bb.392:                              ;   in Loop: Header=BB321_11 Depth=1
	s_or_b32 exec_lo, exec_lo, s24
	v_lshlrev_b32_e32 v2, 8, v8
	v_lshl_add_u32 v1, v1, 10, 0x2000
	v_lshlrev_b32_e32 v0, 23, v0
	v_and_or_b32 v1, 0x8000, v2, v1
	v_lshl_or_b32 v74, v1, 16, v0
.LBB321_393:                            ;   in Loop: Header=BB321_11 Depth=1
	s_or_b32 exec_lo, exec_lo, s23
.LBB321_394:                            ;   in Loop: Header=BB321_11 Depth=1
	s_or_b32 exec_lo, exec_lo, s22
.LBB321_395:                            ;   in Loop: Header=BB321_11 Depth=1
	s_or_b32 exec_lo, exec_lo, s21
	flat_load_dwordx2 v[30:31], v[28:29] offset:1536
	s_waitcnt vmcnt(0) lgkmcnt(0)
	v_cmp_ne_u16_sdwa s5, v30, v9 src0_sel:BYTE_0 src1_sel:DWORD
	s_and_saveexec_b32 s21, s5
	s_cbranch_execz .LBB321_403
; %bb.396:                              ;   in Loop: Header=BB321_11 Depth=1
	v_cmp_ne_u16_sdwa s5, v30, v51 src0_sel:BYTE_0 src1_sel:DWORD
	v_mov_b32_e32 v75, 0x8000
	s_and_saveexec_b32 s22, s5
	s_cbranch_execz .LBB321_402
; %bb.397:                              ;   in Loop: Header=BB321_11 Depth=1
	v_and_b32_e32 v2, 0x7f, v30
	v_mov_b32_e32 v75, 0x7c01
	s_mov_b32 s23, exec_lo
	v_cmpx_ne_u32_e32 0x7f, v2
	s_cbranch_execz .LBB321_401
; %bb.398:                              ;   in Loop: Header=BB321_11 Depth=1
	v_and_b32_e32 v0, 7, v30
	v_lshrrev_b32_e32 v1, 3, v2
	s_mov_b32 s24, exec_lo
	v_cmpx_gt_u32_e32 8, v2
; %bb.399:                              ;   in Loop: Header=BB321_11 Depth=1
	v_ffbh_u32_e32 v0, v0
	v_min_u32_e32 v2, 32, v0
	v_subrev_nc_u32_e32 v0, 28, v2
	v_lshlrev_b64 v[0:1], v0, v[30:31]
	v_sub_nc_u32_e32 v1, 29, v2
	v_and_b32_e32 v0, 7, v0
; %bb.400:                              ;   in Loop: Header=BB321_11 Depth=1
	s_or_b32 exec_lo, exec_lo, s24
	v_lshlrev_b32_e32 v2, 8, v30
	v_lshl_add_u32 v1, v1, 10, 0x2000
	v_lshlrev_b32_e32 v0, 7, v0
	v_and_b32_e32 v2, 0x8000, v2
	v_and_b32_e32 v1, 0xfc00, v1
	v_or3_b32 v75, v2, v1, v0
.LBB321_401:                            ;   in Loop: Header=BB321_11 Depth=1
	s_or_b32 exec_lo, exec_lo, s23
.LBB321_402:                            ;   in Loop: Header=BB321_11 Depth=1
	s_or_b32 exec_lo, exec_lo, s22
.LBB321_403:                            ;   in Loop: Header=BB321_11 Depth=1
	s_or_b32 exec_lo, exec_lo, s21
	v_lshrrev_b16 v8, 8, v30
	v_mov_b32_e32 v91, 0
	v_mov_b32_e32 v90, 0
	s_mov_b32 s21, exec_lo
	v_cmpx_ne_u16_e32 0, v8
	s_cbranch_execz .LBB321_411
; %bb.404:                              ;   in Loop: Header=BB321_11 Depth=1
	v_bfrev_b32_e32 v90, 1
	s_mov_b32 s22, exec_lo
	v_cmpx_ne_u16_e32 0x80, v8
	s_cbranch_execz .LBB321_410
; %bb.405:                              ;   in Loop: Header=BB321_11 Depth=1
	v_mov_b32_e32 v0, 0x7f
	v_mov_b32_e32 v90, 0x7c010000
	s_mov_b32 s23, exec_lo
	v_and_b32_sdwa v2, v8, v0 dst_sel:DWORD dst_unused:UNUSED_PAD src0_sel:WORD_0 src1_sel:DWORD
	v_cmpx_ne_u32_e32 0x7f, v2
	s_cbranch_execz .LBB321_409
; %bb.406:                              ;   in Loop: Header=BB321_11 Depth=1
	v_mov_b32_e32 v0, 7
	v_lshrrev_b32_e32 v1, 3, v2
	s_mov_b32 s24, exec_lo
	v_and_b32_sdwa v0, v8, v0 dst_sel:DWORD dst_unused:UNUSED_PAD src0_sel:WORD_0 src1_sel:DWORD
	v_cmpx_gt_u32_e32 8, v2
; %bb.407:                              ;   in Loop: Header=BB321_11 Depth=1
	v_ffbh_u32_e32 v0, v0
	v_min_u32_e32 v2, 32, v0
	v_subrev_nc_u32_e32 v0, 28, v2
	v_lshlrev_b64 v[0:1], v0, v[8:9]
	v_sub_nc_u32_e32 v1, 29, v2
	v_and_b32_e32 v0, 7, v0
; %bb.408:                              ;   in Loop: Header=BB321_11 Depth=1
	s_or_b32 exec_lo, exec_lo, s24
	v_mov_b32_e32 v2, 8
	v_lshl_add_u32 v1, v1, 10, 0x2000
	v_lshlrev_b32_e32 v0, 23, v0
	v_lshlrev_b32_sdwa v2, v2, v8 dst_sel:DWORD dst_unused:UNUSED_PAD src0_sel:DWORD src1_sel:WORD_0
	v_and_or_b32 v1, 0x8000, v2, v1
	v_lshl_or_b32 v90, v1, 16, v0
.LBB321_409:                            ;   in Loop: Header=BB321_11 Depth=1
	s_or_b32 exec_lo, exec_lo, s23
.LBB321_410:                            ;   in Loop: Header=BB321_11 Depth=1
	s_or_b32 exec_lo, exec_lo, s22
.LBB321_411:                            ;   in Loop: Header=BB321_11 Depth=1
	s_or_b32 exec_lo, exec_lo, s21
	v_lshrrev_b32_e32 v8, 16, v30
	v_cmp_ne_u16_sdwa s5, v8, v9 src0_sel:BYTE_0 src1_sel:DWORD
	s_and_saveexec_b32 s21, s5
	s_cbranch_execz .LBB321_419
; %bb.412:                              ;   in Loop: Header=BB321_11 Depth=1
	v_cmp_ne_u16_sdwa s5, v8, v51 src0_sel:BYTE_0 src1_sel:DWORD
	v_mov_b32_e32 v91, 0x8000
	s_and_saveexec_b32 s22, s5
	s_cbranch_execz .LBB321_418
; %bb.413:                              ;   in Loop: Header=BB321_11 Depth=1
	v_bfe_u32 v2, v30, 16, 7
	v_mov_b32_e32 v91, 0x7c01
	s_mov_b32 s23, exec_lo
	v_cmpx_ne_u32_e32 0x7f, v2
	s_cbranch_execz .LBB321_417
; %bb.414:                              ;   in Loop: Header=BB321_11 Depth=1
	v_and_b32_e32 v0, 7, v8
	v_lshrrev_b32_e32 v1, 3, v2
	s_mov_b32 s24, exec_lo
	v_cmpx_gt_u32_e32 8, v2
; %bb.415:                              ;   in Loop: Header=BB321_11 Depth=1
	v_ffbh_u32_e32 v0, v0
	v_min_u32_e32 v2, 32, v0
	v_subrev_nc_u32_e32 v0, 28, v2
	v_lshlrev_b64 v[0:1], v0, v[8:9]
	v_sub_nc_u32_e32 v1, 29, v2
	v_and_b32_e32 v0, 7, v0
; %bb.416:                              ;   in Loop: Header=BB321_11 Depth=1
	s_or_b32 exec_lo, exec_lo, s24
	v_lshlrev_b32_e32 v2, 8, v8
	v_lshl_add_u32 v1, v1, 10, 0x2000
	v_lshlrev_b32_e32 v0, 7, v0
	v_and_b32_e32 v2, 0x8000, v2
	v_and_b32_e32 v1, 0xfc00, v1
	v_or3_b32 v91, v2, v1, v0
.LBB321_417:                            ;   in Loop: Header=BB321_11 Depth=1
	s_or_b32 exec_lo, exec_lo, s23
.LBB321_418:                            ;   in Loop: Header=BB321_11 Depth=1
	s_or_b32 exec_lo, exec_lo, s22
.LBB321_419:                            ;   in Loop: Header=BB321_11 Depth=1
	s_or_b32 exec_lo, exec_lo, s21
	v_mov_b32_e32 v94, 0
	v_mov_b32_e32 v95, 0
	s_mov_b32 s21, exec_lo
	v_cmpx_lt_u32_e32 0xffffff, v30
	s_cbranch_execz .LBB321_427
; %bb.420:                              ;   in Loop: Header=BB321_11 Depth=1
	v_lshrrev_b32_e32 v8, 24, v30
	v_bfrev_b32_e32 v95, 1
	s_mov_b32 s22, exec_lo
	v_cmpx_ne_u32_e32 0x80, v8
	s_cbranch_execz .LBB321_426
; %bb.421:                              ;   in Loop: Header=BB321_11 Depth=1
	v_and_b32_e32 v2, 0x7f, v8
	v_mov_b32_e32 v95, 0x7c010000
	s_mov_b32 s23, exec_lo
	v_cmpx_ne_u32_e32 0x7f, v2
	s_cbranch_execz .LBB321_425
; %bb.422:                              ;   in Loop: Header=BB321_11 Depth=1
	v_and_b32_e32 v0, 7, v8
	v_lshrrev_b32_e32 v1, 3, v2
	s_mov_b32 s24, exec_lo
	v_cmpx_gt_u32_e32 8, v2
; %bb.423:                              ;   in Loop: Header=BB321_11 Depth=1
	v_ffbh_u32_e32 v0, v0
	v_min_u32_e32 v2, 32, v0
	v_subrev_nc_u32_e32 v0, 28, v2
	v_lshlrev_b64 v[0:1], v0, v[8:9]
	v_sub_nc_u32_e32 v1, 29, v2
	v_and_b32_e32 v0, 7, v0
; %bb.424:                              ;   in Loop: Header=BB321_11 Depth=1
	s_or_b32 exec_lo, exec_lo, s24
	v_lshlrev_b32_e32 v2, 8, v8
	v_lshl_add_u32 v1, v1, 10, 0x2000
	v_lshlrev_b32_e32 v0, 23, v0
	v_and_or_b32 v1, 0x8000, v2, v1
	v_lshl_or_b32 v95, v1, 16, v0
.LBB321_425:                            ;   in Loop: Header=BB321_11 Depth=1
	s_or_b32 exec_lo, exec_lo, s23
.LBB321_426:                            ;   in Loop: Header=BB321_11 Depth=1
	s_or_b32 exec_lo, exec_lo, s22
.LBB321_427:                            ;   in Loop: Header=BB321_11 Depth=1
	s_or_b32 exec_lo, exec_lo, s21
	v_mov_b32_e32 v8, v31
	v_cmp_ne_u16_sdwa s5, v31, v9 src0_sel:BYTE_0 src1_sel:DWORD
	s_and_saveexec_b32 s21, s5
	s_cbranch_execz .LBB321_435
; %bb.428:                              ;   in Loop: Header=BB321_11 Depth=1
	v_cmp_ne_u16_sdwa s5, v31, v51 src0_sel:BYTE_0 src1_sel:DWORD
	v_mov_b32_e32 v94, 0x8000
	s_and_saveexec_b32 s22, s5
	s_cbranch_execz .LBB321_434
; %bb.429:                              ;   in Loop: Header=BB321_11 Depth=1
	v_and_b32_e32 v2, 0x7f, v31
	v_mov_b32_e32 v94, 0x7c01
	s_mov_b32 s23, exec_lo
	v_cmpx_ne_u32_e32 0x7f, v2
	s_cbranch_execz .LBB321_433
; %bb.430:                              ;   in Loop: Header=BB321_11 Depth=1
	v_and_b32_e32 v0, 7, v31
	v_lshrrev_b32_e32 v1, 3, v2
	s_mov_b32 s24, exec_lo
	v_cmpx_gt_u32_e32 8, v2
; %bb.431:                              ;   in Loop: Header=BB321_11 Depth=1
	v_ffbh_u32_e32 v0, v0
	v_min_u32_e32 v2, 32, v0
	v_subrev_nc_u32_e32 v0, 28, v2
	v_lshlrev_b64 v[0:1], v0, v[8:9]
	v_sub_nc_u32_e32 v1, 29, v2
	v_and_b32_e32 v0, 7, v0
; %bb.432:                              ;   in Loop: Header=BB321_11 Depth=1
	s_or_b32 exec_lo, exec_lo, s24
	v_lshlrev_b32_e32 v2, 8, v31
	v_lshl_add_u32 v1, v1, 10, 0x2000
	v_lshlrev_b32_e32 v0, 7, v0
	v_and_b32_e32 v2, 0x8000, v2
	v_and_b32_e32 v1, 0xfc00, v1
	v_or3_b32 v94, v2, v1, v0
.LBB321_433:                            ;   in Loop: Header=BB321_11 Depth=1
	s_or_b32 exec_lo, exec_lo, s23
.LBB321_434:                            ;   in Loop: Header=BB321_11 Depth=1
	s_or_b32 exec_lo, exec_lo, s22
.LBB321_435:                            ;   in Loop: Header=BB321_11 Depth=1
	s_or_b32 exec_lo, exec_lo, s21
	v_lshrrev_b16 v8, 8, v8
	v_mov_b32_e32 v104, 0
	v_mov_b32_e32 v105, 0
	s_mov_b32 s21, exec_lo
	v_cmpx_ne_u16_e32 0, v8
	s_cbranch_execz .LBB321_443
; %bb.436:                              ;   in Loop: Header=BB321_11 Depth=1
	v_bfrev_b32_e32 v105, 1
	s_mov_b32 s22, exec_lo
	v_cmpx_ne_u16_e32 0x80, v8
	s_cbranch_execz .LBB321_442
; %bb.437:                              ;   in Loop: Header=BB321_11 Depth=1
	v_mov_b32_e32 v0, 0x7f
	v_mov_b32_e32 v105, 0x7c010000
	s_mov_b32 s23, exec_lo
	v_and_b32_sdwa v2, v8, v0 dst_sel:DWORD dst_unused:UNUSED_PAD src0_sel:WORD_0 src1_sel:DWORD
	v_cmpx_ne_u32_e32 0x7f, v2
	s_cbranch_execz .LBB321_441
; %bb.438:                              ;   in Loop: Header=BB321_11 Depth=1
	v_mov_b32_e32 v0, 7
	v_lshrrev_b32_e32 v1, 3, v2
	s_mov_b32 s24, exec_lo
	v_and_b32_sdwa v0, v8, v0 dst_sel:DWORD dst_unused:UNUSED_PAD src0_sel:WORD_0 src1_sel:DWORD
	v_cmpx_gt_u32_e32 8, v2
; %bb.439:                              ;   in Loop: Header=BB321_11 Depth=1
	v_ffbh_u32_e32 v0, v0
	v_min_u32_e32 v2, 32, v0
	v_subrev_nc_u32_e32 v0, 28, v2
	v_lshlrev_b64 v[0:1], v0, v[8:9]
	v_sub_nc_u32_e32 v1, 29, v2
	v_and_b32_e32 v0, 7, v0
; %bb.440:                              ;   in Loop: Header=BB321_11 Depth=1
	s_or_b32 exec_lo, exec_lo, s24
	v_mov_b32_e32 v2, 8
	v_lshl_add_u32 v1, v1, 10, 0x2000
	v_lshlrev_b32_e32 v0, 23, v0
	v_lshlrev_b32_sdwa v2, v2, v8 dst_sel:DWORD dst_unused:UNUSED_PAD src0_sel:DWORD src1_sel:WORD_0
	v_and_or_b32 v1, 0x8000, v2, v1
	v_lshl_or_b32 v105, v1, 16, v0
.LBB321_441:                            ;   in Loop: Header=BB321_11 Depth=1
	s_or_b32 exec_lo, exec_lo, s23
.LBB321_442:                            ;   in Loop: Header=BB321_11 Depth=1
	s_or_b32 exec_lo, exec_lo, s22
.LBB321_443:                            ;   in Loop: Header=BB321_11 Depth=1
	s_or_b32 exec_lo, exec_lo, s21
	v_lshrrev_b32_e32 v8, 16, v31
	v_cmp_ne_u16_sdwa s5, v8, v9 src0_sel:BYTE_0 src1_sel:DWORD
	s_and_saveexec_b32 s21, s5
	s_cbranch_execz .LBB321_451
; %bb.444:                              ;   in Loop: Header=BB321_11 Depth=1
	v_cmp_ne_u16_sdwa s5, v8, v51 src0_sel:BYTE_0 src1_sel:DWORD
	v_mov_b32_e32 v104, 0x8000
	s_and_saveexec_b32 s22, s5
	s_cbranch_execz .LBB321_450
; %bb.445:                              ;   in Loop: Header=BB321_11 Depth=1
	v_bfe_u32 v2, v31, 16, 7
	v_mov_b32_e32 v104, 0x7c01
	s_mov_b32 s23, exec_lo
	v_cmpx_ne_u32_e32 0x7f, v2
	s_cbranch_execz .LBB321_449
; %bb.446:                              ;   in Loop: Header=BB321_11 Depth=1
	v_and_b32_e32 v0, 7, v8
	v_lshrrev_b32_e32 v1, 3, v2
	s_mov_b32 s24, exec_lo
	v_cmpx_gt_u32_e32 8, v2
; %bb.447:                              ;   in Loop: Header=BB321_11 Depth=1
	v_ffbh_u32_e32 v0, v0
	v_min_u32_e32 v2, 32, v0
	v_subrev_nc_u32_e32 v0, 28, v2
	v_lshlrev_b64 v[0:1], v0, v[8:9]
	v_sub_nc_u32_e32 v1, 29, v2
	v_and_b32_e32 v0, 7, v0
; %bb.448:                              ;   in Loop: Header=BB321_11 Depth=1
	s_or_b32 exec_lo, exec_lo, s24
	v_lshlrev_b32_e32 v2, 8, v8
	v_lshl_add_u32 v1, v1, 10, 0x2000
	v_lshlrev_b32_e32 v0, 7, v0
	v_and_b32_e32 v2, 0x8000, v2
	v_and_b32_e32 v1, 0xfc00, v1
	v_or3_b32 v104, v2, v1, v0
.LBB321_449:                            ;   in Loop: Header=BB321_11 Depth=1
	s_or_b32 exec_lo, exec_lo, s23
.LBB321_450:                            ;   in Loop: Header=BB321_11 Depth=1
	s_or_b32 exec_lo, exec_lo, s22
.LBB321_451:                            ;   in Loop: Header=BB321_11 Depth=1
	s_or_b32 exec_lo, exec_lo, s21
	v_mov_b32_e32 v109, 0
	v_mov_b32_e32 v108, 0
	s_mov_b32 s21, exec_lo
	v_cmpx_lt_u64_e64 s[6:7], v[30:31]
	s_cbranch_execz .LBB321_459
; %bb.452:                              ;   in Loop: Header=BB321_11 Depth=1
	v_lshrrev_b32_e32 v8, 24, v31
	v_bfrev_b32_e32 v108, 1
	s_mov_b32 s22, exec_lo
	v_cmpx_ne_u32_e32 0x80, v8
	s_cbranch_execz .LBB321_458
; %bb.453:                              ;   in Loop: Header=BB321_11 Depth=1
	v_and_b32_e32 v2, 0x7f, v8
	v_mov_b32_e32 v108, 0x7c010000
	s_mov_b32 s23, exec_lo
	v_cmpx_ne_u32_e32 0x7f, v2
	s_cbranch_execz .LBB321_457
; %bb.454:                              ;   in Loop: Header=BB321_11 Depth=1
	v_and_b32_e32 v0, 7, v8
	v_lshrrev_b32_e32 v1, 3, v2
	s_mov_b32 s24, exec_lo
	v_cmpx_gt_u32_e32 8, v2
; %bb.455:                              ;   in Loop: Header=BB321_11 Depth=1
	v_ffbh_u32_e32 v0, v0
	v_min_u32_e32 v2, 32, v0
	v_subrev_nc_u32_e32 v0, 28, v2
	v_lshlrev_b64 v[0:1], v0, v[8:9]
	v_sub_nc_u32_e32 v1, 29, v2
	v_and_b32_e32 v0, 7, v0
; %bb.456:                              ;   in Loop: Header=BB321_11 Depth=1
	s_or_b32 exec_lo, exec_lo, s24
	v_lshlrev_b32_e32 v2, 8, v8
	v_lshl_add_u32 v1, v1, 10, 0x2000
	v_lshlrev_b32_e32 v0, 23, v0
	v_and_or_b32 v1, 0x8000, v2, v1
	v_lshl_or_b32 v108, v1, 16, v0
.LBB321_457:                            ;   in Loop: Header=BB321_11 Depth=1
	s_or_b32 exec_lo, exec_lo, s23
.LBB321_458:                            ;   in Loop: Header=BB321_11 Depth=1
	s_or_b32 exec_lo, exec_lo, s22
.LBB321_459:                            ;   in Loop: Header=BB321_11 Depth=1
	s_or_b32 exec_lo, exec_lo, s21
	flat_load_dwordx2 v[30:31], v[28:29] offset:1544
	s_waitcnt vmcnt(0) lgkmcnt(0)
	v_cmp_ne_u16_sdwa s5, v30, v9 src0_sel:BYTE_0 src1_sel:DWORD
	s_and_saveexec_b32 s21, s5
	s_cbranch_execz .LBB321_467
; %bb.460:                              ;   in Loop: Header=BB321_11 Depth=1
	v_cmp_ne_u16_sdwa s5, v30, v51 src0_sel:BYTE_0 src1_sel:DWORD
	v_mov_b32_e32 v109, 0x8000
	s_and_saveexec_b32 s22, s5
	s_cbranch_execz .LBB321_466
; %bb.461:                              ;   in Loop: Header=BB321_11 Depth=1
	v_and_b32_e32 v2, 0x7f, v30
	v_mov_b32_e32 v109, 0x7c01
	s_mov_b32 s23, exec_lo
	v_cmpx_ne_u32_e32 0x7f, v2
	s_cbranch_execz .LBB321_465
; %bb.462:                              ;   in Loop: Header=BB321_11 Depth=1
	v_and_b32_e32 v0, 7, v30
	v_lshrrev_b32_e32 v1, 3, v2
	s_mov_b32 s24, exec_lo
	v_cmpx_gt_u32_e32 8, v2
; %bb.463:                              ;   in Loop: Header=BB321_11 Depth=1
	v_ffbh_u32_e32 v0, v0
	v_min_u32_e32 v2, 32, v0
	v_subrev_nc_u32_e32 v0, 28, v2
	v_lshlrev_b64 v[0:1], v0, v[30:31]
	v_sub_nc_u32_e32 v1, 29, v2
	v_and_b32_e32 v0, 7, v0
; %bb.464:                              ;   in Loop: Header=BB321_11 Depth=1
	s_or_b32 exec_lo, exec_lo, s24
	v_lshlrev_b32_e32 v2, 8, v30
	v_lshl_add_u32 v1, v1, 10, 0x2000
	v_lshlrev_b32_e32 v0, 7, v0
	v_and_b32_e32 v2, 0x8000, v2
	v_and_b32_e32 v1, 0xfc00, v1
	v_or3_b32 v109, v2, v1, v0
.LBB321_465:                            ;   in Loop: Header=BB321_11 Depth=1
	s_or_b32 exec_lo, exec_lo, s23
.LBB321_466:                            ;   in Loop: Header=BB321_11 Depth=1
	s_or_b32 exec_lo, exec_lo, s22
.LBB321_467:                            ;   in Loop: Header=BB321_11 Depth=1
	s_or_b32 exec_lo, exec_lo, s21
	v_lshrrev_b16 v8, 8, v30
	v_mov_b32_e32 v125, 0
	v_mov_b32_e32 v124, 0
	s_mov_b32 s21, exec_lo
	v_cmpx_ne_u16_e32 0, v8
	s_cbranch_execz .LBB321_475
; %bb.468:                              ;   in Loop: Header=BB321_11 Depth=1
	v_bfrev_b32_e32 v124, 1
	s_mov_b32 s22, exec_lo
	v_cmpx_ne_u16_e32 0x80, v8
	s_cbranch_execz .LBB321_474
; %bb.469:                              ;   in Loop: Header=BB321_11 Depth=1
	v_mov_b32_e32 v0, 0x7f
	v_mov_b32_e32 v124, 0x7c010000
	s_mov_b32 s23, exec_lo
	v_and_b32_sdwa v2, v8, v0 dst_sel:DWORD dst_unused:UNUSED_PAD src0_sel:WORD_0 src1_sel:DWORD
	v_cmpx_ne_u32_e32 0x7f, v2
	s_cbranch_execz .LBB321_473
; %bb.470:                              ;   in Loop: Header=BB321_11 Depth=1
	v_mov_b32_e32 v0, 7
	v_lshrrev_b32_e32 v1, 3, v2
	s_mov_b32 s24, exec_lo
	v_and_b32_sdwa v0, v8, v0 dst_sel:DWORD dst_unused:UNUSED_PAD src0_sel:WORD_0 src1_sel:DWORD
	v_cmpx_gt_u32_e32 8, v2
; %bb.471:                              ;   in Loop: Header=BB321_11 Depth=1
	v_ffbh_u32_e32 v0, v0
	v_min_u32_e32 v2, 32, v0
	v_subrev_nc_u32_e32 v0, 28, v2
	v_lshlrev_b64 v[0:1], v0, v[8:9]
	v_sub_nc_u32_e32 v1, 29, v2
	v_and_b32_e32 v0, 7, v0
; %bb.472:                              ;   in Loop: Header=BB321_11 Depth=1
	s_or_b32 exec_lo, exec_lo, s24
	v_mov_b32_e32 v2, 8
	v_lshl_add_u32 v1, v1, 10, 0x2000
	v_lshlrev_b32_e32 v0, 23, v0
	v_lshlrev_b32_sdwa v2, v2, v8 dst_sel:DWORD dst_unused:UNUSED_PAD src0_sel:DWORD src1_sel:WORD_0
	v_and_or_b32 v1, 0x8000, v2, v1
	v_lshl_or_b32 v124, v1, 16, v0
.LBB321_473:                            ;   in Loop: Header=BB321_11 Depth=1
	s_or_b32 exec_lo, exec_lo, s23
.LBB321_474:                            ;   in Loop: Header=BB321_11 Depth=1
	s_or_b32 exec_lo, exec_lo, s22
.LBB321_475:                            ;   in Loop: Header=BB321_11 Depth=1
	s_or_b32 exec_lo, exec_lo, s21
	v_lshrrev_b32_e32 v8, 16, v30
	v_cmp_ne_u16_sdwa s5, v8, v9 src0_sel:BYTE_0 src1_sel:DWORD
	s_and_saveexec_b32 s21, s5
	s_cbranch_execz .LBB321_483
; %bb.476:                              ;   in Loop: Header=BB321_11 Depth=1
	v_cmp_ne_u16_sdwa s5, v8, v51 src0_sel:BYTE_0 src1_sel:DWORD
	v_mov_b32_e32 v125, 0x8000
	s_and_saveexec_b32 s22, s5
	s_cbranch_execz .LBB321_482
; %bb.477:                              ;   in Loop: Header=BB321_11 Depth=1
	v_bfe_u32 v2, v30, 16, 7
	v_mov_b32_e32 v125, 0x7c01
	s_mov_b32 s23, exec_lo
	v_cmpx_ne_u32_e32 0x7f, v2
	s_cbranch_execz .LBB321_481
; %bb.478:                              ;   in Loop: Header=BB321_11 Depth=1
	v_and_b32_e32 v0, 7, v8
	v_lshrrev_b32_e32 v1, 3, v2
	s_mov_b32 s24, exec_lo
	v_cmpx_gt_u32_e32 8, v2
; %bb.479:                              ;   in Loop: Header=BB321_11 Depth=1
	v_ffbh_u32_e32 v0, v0
	v_min_u32_e32 v2, 32, v0
	v_subrev_nc_u32_e32 v0, 28, v2
	v_lshlrev_b64 v[0:1], v0, v[8:9]
	v_sub_nc_u32_e32 v1, 29, v2
	v_and_b32_e32 v0, 7, v0
; %bb.480:                              ;   in Loop: Header=BB321_11 Depth=1
	s_or_b32 exec_lo, exec_lo, s24
	v_lshlrev_b32_e32 v2, 8, v8
	v_lshl_add_u32 v1, v1, 10, 0x2000
	v_lshlrev_b32_e32 v0, 7, v0
	v_and_b32_e32 v2, 0x8000, v2
	v_and_b32_e32 v1, 0xfc00, v1
	v_or3_b32 v125, v2, v1, v0
.LBB321_481:                            ;   in Loop: Header=BB321_11 Depth=1
	s_or_b32 exec_lo, exec_lo, s23
.LBB321_482:                            ;   in Loop: Header=BB321_11 Depth=1
	s_or_b32 exec_lo, exec_lo, s22
.LBB321_483:                            ;   in Loop: Header=BB321_11 Depth=1
	s_or_b32 exec_lo, exec_lo, s21
	v_mov_b32_e32 v38, 0
	v_mov_b32_e32 v34, 0
	s_mov_b32 s21, exec_lo
	v_cmpx_lt_u32_e32 0xffffff, v30
	s_cbranch_execz .LBB321_491
; %bb.484:                              ;   in Loop: Header=BB321_11 Depth=1
	v_lshrrev_b32_e32 v8, 24, v30
	v_bfrev_b32_e32 v34, 1
	s_mov_b32 s22, exec_lo
	v_cmpx_ne_u32_e32 0x80, v8
	s_cbranch_execz .LBB321_490
; %bb.485:                              ;   in Loop: Header=BB321_11 Depth=1
	v_and_b32_e32 v2, 0x7f, v8
	v_mov_b32_e32 v34, 0x7c010000
	s_mov_b32 s23, exec_lo
	v_cmpx_ne_u32_e32 0x7f, v2
	s_cbranch_execz .LBB321_489
; %bb.486:                              ;   in Loop: Header=BB321_11 Depth=1
	v_and_b32_e32 v0, 7, v8
	v_lshrrev_b32_e32 v1, 3, v2
	s_mov_b32 s24, exec_lo
	v_cmpx_gt_u32_e32 8, v2
; %bb.487:                              ;   in Loop: Header=BB321_11 Depth=1
	v_ffbh_u32_e32 v0, v0
	v_min_u32_e32 v2, 32, v0
	v_subrev_nc_u32_e32 v0, 28, v2
	v_lshlrev_b64 v[0:1], v0, v[8:9]
	v_sub_nc_u32_e32 v1, 29, v2
	v_and_b32_e32 v0, 7, v0
; %bb.488:                              ;   in Loop: Header=BB321_11 Depth=1
	s_or_b32 exec_lo, exec_lo, s24
	v_lshlrev_b32_e32 v2, 8, v8
	v_lshl_add_u32 v1, v1, 10, 0x2000
	v_lshlrev_b32_e32 v0, 23, v0
	v_and_or_b32 v1, 0x8000, v2, v1
	v_lshl_or_b32 v34, v1, 16, v0
.LBB321_489:                            ;   in Loop: Header=BB321_11 Depth=1
	s_or_b32 exec_lo, exec_lo, s23
.LBB321_490:                            ;   in Loop: Header=BB321_11 Depth=1
	s_or_b32 exec_lo, exec_lo, s22
.LBB321_491:                            ;   in Loop: Header=BB321_11 Depth=1
	s_or_b32 exec_lo, exec_lo, s21
	v_mov_b32_e32 v8, v31
	v_cmp_ne_u16_sdwa s5, v31, v9 src0_sel:BYTE_0 src1_sel:DWORD
	s_and_saveexec_b32 s21, s5
	s_cbranch_execz .LBB321_499
; %bb.492:                              ;   in Loop: Header=BB321_11 Depth=1
	v_cmp_ne_u16_sdwa s5, v31, v51 src0_sel:BYTE_0 src1_sel:DWORD
	v_mov_b32_e32 v38, 0x8000
	s_and_saveexec_b32 s22, s5
	s_cbranch_execz .LBB321_498
; %bb.493:                              ;   in Loop: Header=BB321_11 Depth=1
	v_and_b32_e32 v2, 0x7f, v31
	v_mov_b32_e32 v38, 0x7c01
	s_mov_b32 s23, exec_lo
	v_cmpx_ne_u32_e32 0x7f, v2
	s_cbranch_execz .LBB321_497
; %bb.494:                              ;   in Loop: Header=BB321_11 Depth=1
	v_and_b32_e32 v0, 7, v31
	v_lshrrev_b32_e32 v1, 3, v2
	s_mov_b32 s24, exec_lo
	v_cmpx_gt_u32_e32 8, v2
; %bb.495:                              ;   in Loop: Header=BB321_11 Depth=1
	v_ffbh_u32_e32 v0, v0
	v_min_u32_e32 v2, 32, v0
	v_subrev_nc_u32_e32 v0, 28, v2
	v_lshlrev_b64 v[0:1], v0, v[8:9]
	v_sub_nc_u32_e32 v1, 29, v2
	v_and_b32_e32 v0, 7, v0
; %bb.496:                              ;   in Loop: Header=BB321_11 Depth=1
	s_or_b32 exec_lo, exec_lo, s24
	v_lshlrev_b32_e32 v2, 8, v31
	v_lshl_add_u32 v1, v1, 10, 0x2000
	v_lshlrev_b32_e32 v0, 7, v0
	v_and_b32_e32 v2, 0x8000, v2
	v_and_b32_e32 v1, 0xfc00, v1
	v_or3_b32 v38, v2, v1, v0
.LBB321_497:                            ;   in Loop: Header=BB321_11 Depth=1
	s_or_b32 exec_lo, exec_lo, s23
.LBB321_498:                            ;   in Loop: Header=BB321_11 Depth=1
	s_or_b32 exec_lo, exec_lo, s22
.LBB321_499:                            ;   in Loop: Header=BB321_11 Depth=1
	s_or_b32 exec_lo, exec_lo, s21
	v_lshrrev_b16 v8, 8, v8
	v_mov_b32_e32 v12, 0
	v_mov_b32_e32 v11, 0
	s_mov_b32 s21, exec_lo
	v_cmpx_ne_u16_e32 0, v8
	s_cbranch_execz .LBB321_507
; %bb.500:                              ;   in Loop: Header=BB321_11 Depth=1
	v_bfrev_b32_e32 v11, 1
	s_mov_b32 s22, exec_lo
	v_cmpx_ne_u16_e32 0x80, v8
	s_cbranch_execz .LBB321_506
; %bb.501:                              ;   in Loop: Header=BB321_11 Depth=1
	v_mov_b32_e32 v0, 0x7f
	v_mov_b32_e32 v11, 0x7c010000
	s_mov_b32 s23, exec_lo
	v_and_b32_sdwa v2, v8, v0 dst_sel:DWORD dst_unused:UNUSED_PAD src0_sel:WORD_0 src1_sel:DWORD
	v_cmpx_ne_u32_e32 0x7f, v2
	s_cbranch_execz .LBB321_505
; %bb.502:                              ;   in Loop: Header=BB321_11 Depth=1
	v_mov_b32_e32 v0, 7
	v_lshrrev_b32_e32 v1, 3, v2
	s_mov_b32 s24, exec_lo
	v_and_b32_sdwa v0, v8, v0 dst_sel:DWORD dst_unused:UNUSED_PAD src0_sel:WORD_0 src1_sel:DWORD
	v_cmpx_gt_u32_e32 8, v2
; %bb.503:                              ;   in Loop: Header=BB321_11 Depth=1
	v_ffbh_u32_e32 v0, v0
	v_min_u32_e32 v2, 32, v0
	v_subrev_nc_u32_e32 v0, 28, v2
	v_lshlrev_b64 v[0:1], v0, v[8:9]
	v_sub_nc_u32_e32 v1, 29, v2
	v_and_b32_e32 v0, 7, v0
; %bb.504:                              ;   in Loop: Header=BB321_11 Depth=1
	s_or_b32 exec_lo, exec_lo, s24
	v_mov_b32_e32 v2, 8
	v_lshl_add_u32 v1, v1, 10, 0x2000
	v_lshlrev_b32_e32 v0, 23, v0
	v_lshlrev_b32_sdwa v2, v2, v8 dst_sel:DWORD dst_unused:UNUSED_PAD src0_sel:DWORD src1_sel:WORD_0
	v_and_or_b32 v1, 0x8000, v2, v1
	v_lshl_or_b32 v11, v1, 16, v0
.LBB321_505:                            ;   in Loop: Header=BB321_11 Depth=1
	s_or_b32 exec_lo, exec_lo, s23
.LBB321_506:                            ;   in Loop: Header=BB321_11 Depth=1
	s_or_b32 exec_lo, exec_lo, s22
.LBB321_507:                            ;   in Loop: Header=BB321_11 Depth=1
	s_or_b32 exec_lo, exec_lo, s21
	v_lshrrev_b32_e32 v8, 16, v31
	v_cmp_ne_u16_sdwa s5, v8, v9 src0_sel:BYTE_0 src1_sel:DWORD
	s_and_saveexec_b32 s21, s5
	s_cbranch_execz .LBB321_515
; %bb.508:                              ;   in Loop: Header=BB321_11 Depth=1
	v_cmp_ne_u16_sdwa s5, v8, v51 src0_sel:BYTE_0 src1_sel:DWORD
	v_mov_b32_e32 v12, 0x8000
	s_and_saveexec_b32 s22, s5
	s_cbranch_execz .LBB321_514
; %bb.509:                              ;   in Loop: Header=BB321_11 Depth=1
	v_bfe_u32 v2, v31, 16, 7
	v_mov_b32_e32 v12, 0x7c01
	s_mov_b32 s23, exec_lo
	v_cmpx_ne_u32_e32 0x7f, v2
	s_cbranch_execz .LBB321_513
; %bb.510:                              ;   in Loop: Header=BB321_11 Depth=1
	v_and_b32_e32 v0, 7, v8
	v_lshrrev_b32_e32 v1, 3, v2
	s_mov_b32 s24, exec_lo
	v_cmpx_gt_u32_e32 8, v2
; %bb.511:                              ;   in Loop: Header=BB321_11 Depth=1
	v_ffbh_u32_e32 v0, v0
	v_min_u32_e32 v2, 32, v0
	v_subrev_nc_u32_e32 v0, 28, v2
	v_lshlrev_b64 v[0:1], v0, v[8:9]
	v_sub_nc_u32_e32 v1, 29, v2
	v_and_b32_e32 v0, 7, v0
; %bb.512:                              ;   in Loop: Header=BB321_11 Depth=1
	s_or_b32 exec_lo, exec_lo, s24
	v_lshlrev_b32_e32 v2, 8, v8
	v_lshl_add_u32 v1, v1, 10, 0x2000
	v_lshlrev_b32_e32 v0, 7, v0
	v_and_b32_e32 v2, 0x8000, v2
	v_and_b32_e32 v1, 0xfc00, v1
	v_or3_b32 v12, v2, v1, v0
.LBB321_513:                            ;   in Loop: Header=BB321_11 Depth=1
	s_or_b32 exec_lo, exec_lo, s23
.LBB321_514:                            ;   in Loop: Header=BB321_11 Depth=1
	s_or_b32 exec_lo, exec_lo, s22
.LBB321_515:                            ;   in Loop: Header=BB321_11 Depth=1
	s_or_b32 exec_lo, exec_lo, s21
	v_mov_b32_e32 v15, 0
	v_mov_b32_e32 v17, 0
	s_mov_b32 s21, exec_lo
	v_cmpx_lt_u64_e64 s[6:7], v[30:31]
	s_cbranch_execz .LBB321_523
; %bb.516:                              ;   in Loop: Header=BB321_11 Depth=1
	v_lshrrev_b32_e32 v8, 24, v31
	v_bfrev_b32_e32 v17, 1
	s_mov_b32 s22, exec_lo
	v_cmpx_ne_u32_e32 0x80, v8
	s_cbranch_execz .LBB321_522
; %bb.517:                              ;   in Loop: Header=BB321_11 Depth=1
	v_and_b32_e32 v2, 0x7f, v8
	v_mov_b32_e32 v17, 0x7c010000
	s_mov_b32 s23, exec_lo
	v_cmpx_ne_u32_e32 0x7f, v2
	s_cbranch_execz .LBB321_521
; %bb.518:                              ;   in Loop: Header=BB321_11 Depth=1
	v_and_b32_e32 v0, 7, v8
	v_lshrrev_b32_e32 v1, 3, v2
	s_mov_b32 s24, exec_lo
	v_cmpx_gt_u32_e32 8, v2
; %bb.519:                              ;   in Loop: Header=BB321_11 Depth=1
	v_ffbh_u32_e32 v0, v0
	v_min_u32_e32 v2, 32, v0
	v_subrev_nc_u32_e32 v0, 28, v2
	v_lshlrev_b64 v[0:1], v0, v[8:9]
	v_sub_nc_u32_e32 v1, 29, v2
	v_and_b32_e32 v0, 7, v0
; %bb.520:                              ;   in Loop: Header=BB321_11 Depth=1
	s_or_b32 exec_lo, exec_lo, s24
	v_lshlrev_b32_e32 v2, 8, v8
	v_lshl_add_u32 v1, v1, 10, 0x2000
	v_lshlrev_b32_e32 v0, 23, v0
	v_and_or_b32 v1, 0x8000, v2, v1
	v_lshl_or_b32 v17, v1, 16, v0
.LBB321_521:                            ;   in Loop: Header=BB321_11 Depth=1
	s_or_b32 exec_lo, exec_lo, s23
.LBB321_522:                            ;   in Loop: Header=BB321_11 Depth=1
	s_or_b32 exec_lo, exec_lo, s22
.LBB321_523:                            ;   in Loop: Header=BB321_11 Depth=1
	s_or_b32 exec_lo, exec_lo, s21
	v_add_co_u32 v28, s5, 0x800, v28
	v_add_co_ci_u32_e64 v29, null, 0, v29, s5
	flat_load_dwordx2 v[30:31], v[28:29]
	s_waitcnt vmcnt(0) lgkmcnt(0)
	v_cmp_ne_u16_sdwa s5, v30, v9 src0_sel:BYTE_0 src1_sel:DWORD
	s_and_saveexec_b32 s21, s5
	s_cbranch_execz .LBB321_531
; %bb.524:                              ;   in Loop: Header=BB321_11 Depth=1
	v_cmp_ne_u16_sdwa s5, v30, v51 src0_sel:BYTE_0 src1_sel:DWORD
	v_mov_b32_e32 v15, 0x8000
	s_and_saveexec_b32 s22, s5
	s_cbranch_execz .LBB321_530
; %bb.525:                              ;   in Loop: Header=BB321_11 Depth=1
	v_and_b32_e32 v2, 0x7f, v30
	v_mov_b32_e32 v15, 0x7c01
	s_mov_b32 s23, exec_lo
	v_cmpx_ne_u32_e32 0x7f, v2
	s_cbranch_execz .LBB321_529
; %bb.526:                              ;   in Loop: Header=BB321_11 Depth=1
	v_and_b32_e32 v0, 7, v30
	v_lshrrev_b32_e32 v1, 3, v2
	s_mov_b32 s24, exec_lo
	v_cmpx_gt_u32_e32 8, v2
; %bb.527:                              ;   in Loop: Header=BB321_11 Depth=1
	v_ffbh_u32_e32 v0, v0
	v_min_u32_e32 v2, 32, v0
	v_subrev_nc_u32_e32 v0, 28, v2
	v_lshlrev_b64 v[0:1], v0, v[30:31]
	v_sub_nc_u32_e32 v1, 29, v2
	v_and_b32_e32 v0, 7, v0
; %bb.528:                              ;   in Loop: Header=BB321_11 Depth=1
	s_or_b32 exec_lo, exec_lo, s24
	v_lshlrev_b32_e32 v2, 8, v30
	v_lshl_add_u32 v1, v1, 10, 0x2000
	v_lshlrev_b32_e32 v0, 7, v0
	v_and_b32_e32 v2, 0x8000, v2
	v_and_b32_e32 v1, 0xfc00, v1
	v_or3_b32 v15, v2, v1, v0
.LBB321_529:                            ;   in Loop: Header=BB321_11 Depth=1
	s_or_b32 exec_lo, exec_lo, s23
.LBB321_530:                            ;   in Loop: Header=BB321_11 Depth=1
	s_or_b32 exec_lo, exec_lo, s22
.LBB321_531:                            ;   in Loop: Header=BB321_11 Depth=1
	s_or_b32 exec_lo, exec_lo, s21
	v_lshrrev_b16 v8, 8, v30
	v_mov_b32_e32 v0, 0
	v_mov_b32_e32 v19, 0
	s_mov_b32 s21, exec_lo
	v_cmpx_ne_u16_e32 0, v8
	s_cbranch_execz .LBB321_539
; %bb.532:                              ;   in Loop: Header=BB321_11 Depth=1
	v_bfrev_b32_e32 v19, 1
	s_mov_b32 s22, exec_lo
	v_cmpx_ne_u16_e32 0x80, v8
	s_cbranch_execz .LBB321_538
; %bb.533:                              ;   in Loop: Header=BB321_11 Depth=1
	v_mov_b32_e32 v1, 0x7f
	v_mov_b32_e32 v19, 0x7c010000
	s_mov_b32 s23, exec_lo
	v_and_b32_sdwa v3, v8, v1 dst_sel:DWORD dst_unused:UNUSED_PAD src0_sel:WORD_0 src1_sel:DWORD
	v_cmpx_ne_u32_e32 0x7f, v3
	s_cbranch_execz .LBB321_537
; %bb.534:                              ;   in Loop: Header=BB321_11 Depth=1
	v_mov_b32_e32 v1, 7
	v_lshrrev_b32_e32 v2, 3, v3
	s_mov_b32 s24, exec_lo
	v_and_b32_sdwa v1, v8, v1 dst_sel:DWORD dst_unused:UNUSED_PAD src0_sel:WORD_0 src1_sel:DWORD
	v_cmpx_gt_u32_e32 8, v3
; %bb.535:                              ;   in Loop: Header=BB321_11 Depth=1
	v_ffbh_u32_e32 v1, v1
	v_min_u32_e32 v3, 32, v1
	v_subrev_nc_u32_e32 v1, 28, v3
	v_lshlrev_b64 v[1:2], v1, v[8:9]
	v_sub_nc_u32_e32 v2, 29, v3
	v_and_b32_e32 v1, 7, v1
; %bb.536:                              ;   in Loop: Header=BB321_11 Depth=1
	s_or_b32 exec_lo, exec_lo, s24
	v_mov_b32_e32 v3, 8
	v_lshl_add_u32 v2, v2, 10, 0x2000
	v_lshlrev_b32_e32 v1, 23, v1
	v_lshlrev_b32_sdwa v3, v3, v8 dst_sel:DWORD dst_unused:UNUSED_PAD src0_sel:DWORD src1_sel:WORD_0
	v_and_or_b32 v2, 0x8000, v3, v2
	v_lshl_or_b32 v19, v2, 16, v1
.LBB321_537:                            ;   in Loop: Header=BB321_11 Depth=1
	s_or_b32 exec_lo, exec_lo, s23
.LBB321_538:                            ;   in Loop: Header=BB321_11 Depth=1
	s_or_b32 exec_lo, exec_lo, s22
.LBB321_539:                            ;   in Loop: Header=BB321_11 Depth=1
	s_or_b32 exec_lo, exec_lo, s21
	v_lshrrev_b32_e32 v8, 16, v30
	v_cmp_ne_u16_sdwa s5, v8, v9 src0_sel:BYTE_0 src1_sel:DWORD
	s_and_saveexec_b32 s21, s5
	s_cbranch_execz .LBB321_547
; %bb.540:                              ;   in Loop: Header=BB321_11 Depth=1
	v_cmp_ne_u16_sdwa s5, v8, v51 src0_sel:BYTE_0 src1_sel:DWORD
	v_mov_b32_e32 v0, 0x8000
	s_and_saveexec_b32 s22, s5
	s_cbranch_execz .LBB321_546
; %bb.541:                              ;   in Loop: Header=BB321_11 Depth=1
	v_bfe_u32 v2, v30, 16, 7
	v_mov_b32_e32 v0, 0x7c01
	s_mov_b32 s23, exec_lo
	v_cmpx_ne_u32_e32 0x7f, v2
	s_cbranch_execz .LBB321_545
; %bb.542:                              ;   in Loop: Header=BB321_11 Depth=1
	v_and_b32_e32 v0, 7, v8
	v_lshrrev_b32_e32 v1, 3, v2
	s_mov_b32 s24, exec_lo
	v_cmpx_gt_u32_e32 8, v2
; %bb.543:                              ;   in Loop: Header=BB321_11 Depth=1
	v_ffbh_u32_e32 v0, v0
	v_min_u32_e32 v2, 32, v0
	v_subrev_nc_u32_e32 v0, 28, v2
	v_lshlrev_b64 v[0:1], v0, v[8:9]
	v_sub_nc_u32_e32 v1, 29, v2
	v_and_b32_e32 v0, 7, v0
; %bb.544:                              ;   in Loop: Header=BB321_11 Depth=1
	s_or_b32 exec_lo, exec_lo, s24
	v_lshlrev_b32_e32 v2, 8, v8
	v_lshl_add_u32 v1, v1, 10, 0x2000
	v_lshlrev_b32_e32 v0, 7, v0
	v_and_b32_e32 v2, 0x8000, v2
	v_and_b32_e32 v1, 0xfc00, v1
	v_or3_b32 v0, v2, v1, v0
.LBB321_545:                            ;   in Loop: Header=BB321_11 Depth=1
	s_or_b32 exec_lo, exec_lo, s23
.LBB321_546:                            ;   in Loop: Header=BB321_11 Depth=1
	s_or_b32 exec_lo, exec_lo, s22
.LBB321_547:                            ;   in Loop: Header=BB321_11 Depth=1
	s_or_b32 exec_lo, exec_lo, s21
	v_mov_b32_e32 v1, 0
	v_mov_b32_e32 v39, 0
	s_mov_b32 s21, exec_lo
	v_cmpx_lt_u32_e32 0xffffff, v30
	s_cbranch_execz .LBB321_555
; %bb.548:                              ;   in Loop: Header=BB321_11 Depth=1
	v_lshrrev_b32_e32 v8, 24, v30
	v_bfrev_b32_e32 v39, 1
	s_mov_b32 s22, exec_lo
	v_cmpx_ne_u32_e32 0x80, v8
	s_cbranch_execz .LBB321_554
; %bb.549:                              ;   in Loop: Header=BB321_11 Depth=1
	v_and_b32_e32 v4, 0x7f, v8
	v_mov_b32_e32 v39, 0x7c010000
	s_mov_b32 s23, exec_lo
	v_cmpx_ne_u32_e32 0x7f, v4
	s_cbranch_execz .LBB321_553
; %bb.550:                              ;   in Loop: Header=BB321_11 Depth=1
	v_and_b32_e32 v2, 7, v8
	v_lshrrev_b32_e32 v3, 3, v4
	s_mov_b32 s24, exec_lo
	v_cmpx_gt_u32_e32 8, v4
; %bb.551:                              ;   in Loop: Header=BB321_11 Depth=1
	v_ffbh_u32_e32 v2, v2
	v_min_u32_e32 v4, 32, v2
	v_subrev_nc_u32_e32 v2, 28, v4
	v_lshlrev_b64 v[2:3], v2, v[8:9]
	v_sub_nc_u32_e32 v3, 29, v4
	v_and_b32_e32 v2, 7, v2
; %bb.552:                              ;   in Loop: Header=BB321_11 Depth=1
	s_or_b32 exec_lo, exec_lo, s24
	v_lshlrev_b32_e32 v4, 8, v8
	v_lshl_add_u32 v3, v3, 10, 0x2000
	v_lshlrev_b32_e32 v2, 23, v2
	v_and_or_b32 v3, 0x8000, v4, v3
	v_lshl_or_b32 v39, v3, 16, v2
.LBB321_553:                            ;   in Loop: Header=BB321_11 Depth=1
	s_or_b32 exec_lo, exec_lo, s23
.LBB321_554:                            ;   in Loop: Header=BB321_11 Depth=1
	s_or_b32 exec_lo, exec_lo, s22
.LBB321_555:                            ;   in Loop: Header=BB321_11 Depth=1
	s_or_b32 exec_lo, exec_lo, s21
	v_mov_b32_e32 v8, v31
	v_cmp_ne_u16_sdwa s5, v31, v9 src0_sel:BYTE_0 src1_sel:DWORD
	s_and_saveexec_b32 s21, s5
	s_cbranch_execz .LBB321_563
; %bb.556:                              ;   in Loop: Header=BB321_11 Depth=1
	v_cmp_ne_u16_sdwa s5, v31, v51 src0_sel:BYTE_0 src1_sel:DWORD
	v_mov_b32_e32 v1, 0x8000
	s_and_saveexec_b32 s22, s5
	s_cbranch_execz .LBB321_562
; %bb.557:                              ;   in Loop: Header=BB321_11 Depth=1
	v_and_b32_e32 v3, 0x7f, v31
	v_mov_b32_e32 v1, 0x7c01
	s_mov_b32 s23, exec_lo
	v_cmpx_ne_u32_e32 0x7f, v3
	s_cbranch_execz .LBB321_561
; %bb.558:                              ;   in Loop: Header=BB321_11 Depth=1
	v_and_b32_e32 v1, 7, v31
	v_lshrrev_b32_e32 v2, 3, v3
	s_mov_b32 s24, exec_lo
	v_cmpx_gt_u32_e32 8, v3
; %bb.559:                              ;   in Loop: Header=BB321_11 Depth=1
	v_ffbh_u32_e32 v1, v1
	v_min_u32_e32 v3, 32, v1
	v_subrev_nc_u32_e32 v1, 28, v3
	v_lshlrev_b64 v[1:2], v1, v[8:9]
	v_sub_nc_u32_e32 v2, 29, v3
	v_and_b32_e32 v1, 7, v1
; %bb.560:                              ;   in Loop: Header=BB321_11 Depth=1
	s_or_b32 exec_lo, exec_lo, s24
	v_lshlrev_b32_e32 v3, 8, v31
	v_lshl_add_u32 v2, v2, 10, 0x2000
	v_lshlrev_b32_e32 v1, 7, v1
	v_and_b32_e32 v3, 0x8000, v3
	v_and_b32_e32 v2, 0xfc00, v2
	v_or3_b32 v1, v3, v2, v1
.LBB321_561:                            ;   in Loop: Header=BB321_11 Depth=1
	s_or_b32 exec_lo, exec_lo, s23
.LBB321_562:                            ;   in Loop: Header=BB321_11 Depth=1
	s_or_b32 exec_lo, exec_lo, s22
.LBB321_563:                            ;   in Loop: Header=BB321_11 Depth=1
	s_or_b32 exec_lo, exec_lo, s21
	v_lshrrev_b16 v8, 8, v8
	v_mov_b32_e32 v13, 0
	v_mov_b32_e32 v25, 0
	s_mov_b32 s21, exec_lo
	v_cmpx_ne_u16_e32 0, v8
	s_cbranch_execz .LBB321_571
; %bb.564:                              ;   in Loop: Header=BB321_11 Depth=1
	v_bfrev_b32_e32 v25, 1
	s_mov_b32 s22, exec_lo
	v_cmpx_ne_u16_e32 0x80, v8
	s_cbranch_execz .LBB321_570
; %bb.565:                              ;   in Loop: Header=BB321_11 Depth=1
	v_mov_b32_e32 v2, 0x7f
	v_mov_b32_e32 v25, 0x7c010000
	s_mov_b32 s23, exec_lo
	v_and_b32_sdwa v4, v8, v2 dst_sel:DWORD dst_unused:UNUSED_PAD src0_sel:WORD_0 src1_sel:DWORD
	v_cmpx_ne_u32_e32 0x7f, v4
	s_cbranch_execz .LBB321_569
; %bb.566:                              ;   in Loop: Header=BB321_11 Depth=1
	v_mov_b32_e32 v2, 7
	v_lshrrev_b32_e32 v3, 3, v4
	s_mov_b32 s24, exec_lo
	v_and_b32_sdwa v2, v8, v2 dst_sel:DWORD dst_unused:UNUSED_PAD src0_sel:WORD_0 src1_sel:DWORD
	v_cmpx_gt_u32_e32 8, v4
; %bb.567:                              ;   in Loop: Header=BB321_11 Depth=1
	v_ffbh_u32_e32 v2, v2
	v_min_u32_e32 v4, 32, v2
	v_subrev_nc_u32_e32 v2, 28, v4
	v_lshlrev_b64 v[2:3], v2, v[8:9]
	v_sub_nc_u32_e32 v3, 29, v4
	v_and_b32_e32 v2, 7, v2
; %bb.568:                              ;   in Loop: Header=BB321_11 Depth=1
	s_or_b32 exec_lo, exec_lo, s24
	v_mov_b32_e32 v4, 8
	v_lshl_add_u32 v3, v3, 10, 0x2000
	v_lshlrev_b32_e32 v2, 23, v2
	v_lshlrev_b32_sdwa v4, v4, v8 dst_sel:DWORD dst_unused:UNUSED_PAD src0_sel:DWORD src1_sel:WORD_0
	v_and_or_b32 v3, 0x8000, v4, v3
	v_lshl_or_b32 v25, v3, 16, v2
.LBB321_569:                            ;   in Loop: Header=BB321_11 Depth=1
	s_or_b32 exec_lo, exec_lo, s23
.LBB321_570:                            ;   in Loop: Header=BB321_11 Depth=1
	s_or_b32 exec_lo, exec_lo, s22
.LBB321_571:                            ;   in Loop: Header=BB321_11 Depth=1
	s_or_b32 exec_lo, exec_lo, s21
	v_lshrrev_b32_e32 v8, 16, v31
	v_cmp_ne_u16_sdwa s5, v8, v9 src0_sel:BYTE_0 src1_sel:DWORD
	s_and_saveexec_b32 s21, s5
	s_cbranch_execz .LBB321_579
; %bb.572:                              ;   in Loop: Header=BB321_11 Depth=1
	v_cmp_ne_u16_sdwa s5, v8, v51 src0_sel:BYTE_0 src1_sel:DWORD
	v_mov_b32_e32 v13, 0x8000
	s_and_saveexec_b32 s22, s5
	s_cbranch_execz .LBB321_578
; %bb.573:                              ;   in Loop: Header=BB321_11 Depth=1
	v_bfe_u32 v4, v31, 16, 7
	v_mov_b32_e32 v13, 0x7c01
	s_mov_b32 s23, exec_lo
	v_cmpx_ne_u32_e32 0x7f, v4
	s_cbranch_execz .LBB321_577
; %bb.574:                              ;   in Loop: Header=BB321_11 Depth=1
	v_and_b32_e32 v2, 7, v8
	v_lshrrev_b32_e32 v3, 3, v4
	s_mov_b32 s24, exec_lo
	v_cmpx_gt_u32_e32 8, v4
; %bb.575:                              ;   in Loop: Header=BB321_11 Depth=1
	v_ffbh_u32_e32 v2, v2
	v_min_u32_e32 v4, 32, v2
	v_subrev_nc_u32_e32 v2, 28, v4
	v_lshlrev_b64 v[2:3], v2, v[8:9]
	v_sub_nc_u32_e32 v3, 29, v4
	v_and_b32_e32 v2, 7, v2
; %bb.576:                              ;   in Loop: Header=BB321_11 Depth=1
	s_or_b32 exec_lo, exec_lo, s24
	v_lshlrev_b32_e32 v4, 8, v8
	v_lshl_add_u32 v3, v3, 10, 0x2000
	v_lshlrev_b32_e32 v2, 7, v2
	v_and_b32_e32 v4, 0x8000, v4
	v_and_b32_e32 v3, 0xfc00, v3
	v_or3_b32 v13, v4, v3, v2
.LBB321_577:                            ;   in Loop: Header=BB321_11 Depth=1
	s_or_b32 exec_lo, exec_lo, s23
.LBB321_578:                            ;   in Loop: Header=BB321_11 Depth=1
	s_or_b32 exec_lo, exec_lo, s22
.LBB321_579:                            ;   in Loop: Header=BB321_11 Depth=1
	s_or_b32 exec_lo, exec_lo, s21
	v_mov_b32_e32 v10, 0
	v_mov_b32_e32 v24, 0
	s_mov_b32 s21, exec_lo
	v_cmpx_lt_u64_e64 s[6:7], v[30:31]
	s_cbranch_execz .LBB321_587
; %bb.580:                              ;   in Loop: Header=BB321_11 Depth=1
	v_lshrrev_b32_e32 v8, 24, v31
	v_bfrev_b32_e32 v24, 1
	s_mov_b32 s22, exec_lo
	v_cmpx_ne_u32_e32 0x80, v8
	s_cbranch_execz .LBB321_586
; %bb.581:                              ;   in Loop: Header=BB321_11 Depth=1
	v_and_b32_e32 v4, 0x7f, v8
	v_mov_b32_e32 v24, 0x7c010000
	s_mov_b32 s23, exec_lo
	v_cmpx_ne_u32_e32 0x7f, v4
	s_cbranch_execz .LBB321_585
; %bb.582:                              ;   in Loop: Header=BB321_11 Depth=1
	v_and_b32_e32 v2, 7, v8
	v_lshrrev_b32_e32 v3, 3, v4
	s_mov_b32 s24, exec_lo
	v_cmpx_gt_u32_e32 8, v4
; %bb.583:                              ;   in Loop: Header=BB321_11 Depth=1
	v_ffbh_u32_e32 v2, v2
	v_min_u32_e32 v4, 32, v2
	v_subrev_nc_u32_e32 v2, 28, v4
	v_lshlrev_b64 v[2:3], v2, v[8:9]
	v_sub_nc_u32_e32 v3, 29, v4
	v_and_b32_e32 v2, 7, v2
; %bb.584:                              ;   in Loop: Header=BB321_11 Depth=1
	s_or_b32 exec_lo, exec_lo, s24
	v_lshlrev_b32_e32 v4, 8, v8
	v_lshl_add_u32 v3, v3, 10, 0x2000
	v_lshlrev_b32_e32 v2, 23, v2
	v_and_or_b32 v3, 0x8000, v4, v3
	v_lshl_or_b32 v24, v3, 16, v2
.LBB321_585:                            ;   in Loop: Header=BB321_11 Depth=1
	s_or_b32 exec_lo, exec_lo, s23
.LBB321_586:                            ;   in Loop: Header=BB321_11 Depth=1
	s_or_b32 exec_lo, exec_lo, s22
.LBB321_587:                            ;   in Loop: Header=BB321_11 Depth=1
	s_or_b32 exec_lo, exec_lo, s21
	flat_load_dwordx2 v[30:31], v[28:29] offset:8
	s_waitcnt vmcnt(0) lgkmcnt(0)
	v_cmp_ne_u16_sdwa s5, v30, v9 src0_sel:BYTE_0 src1_sel:DWORD
	s_and_saveexec_b32 s21, s5
	s_cbranch_execz .LBB321_595
; %bb.588:                              ;   in Loop: Header=BB321_11 Depth=1
	v_cmp_ne_u16_sdwa s5, v30, v51 src0_sel:BYTE_0 src1_sel:DWORD
	v_mov_b32_e32 v10, 0x8000
	s_and_saveexec_b32 s22, s5
	s_cbranch_execz .LBB321_594
; %bb.589:                              ;   in Loop: Header=BB321_11 Depth=1
	v_and_b32_e32 v4, 0x7f, v30
	v_mov_b32_e32 v10, 0x7c01
	s_mov_b32 s23, exec_lo
	v_cmpx_ne_u32_e32 0x7f, v4
	s_cbranch_execz .LBB321_593
; %bb.590:                              ;   in Loop: Header=BB321_11 Depth=1
	v_and_b32_e32 v2, 7, v30
	v_lshrrev_b32_e32 v3, 3, v4
	s_mov_b32 s24, exec_lo
	v_cmpx_gt_u32_e32 8, v4
; %bb.591:                              ;   in Loop: Header=BB321_11 Depth=1
	v_ffbh_u32_e32 v2, v2
	v_min_u32_e32 v4, 32, v2
	v_subrev_nc_u32_e32 v2, 28, v4
	v_lshlrev_b64 v[2:3], v2, v[30:31]
	v_sub_nc_u32_e32 v3, 29, v4
	v_and_b32_e32 v2, 7, v2
; %bb.592:                              ;   in Loop: Header=BB321_11 Depth=1
	s_or_b32 exec_lo, exec_lo, s24
	v_lshlrev_b32_e32 v4, 8, v30
	v_lshl_add_u32 v3, v3, 10, 0x2000
	v_lshlrev_b32_e32 v2, 7, v2
	v_and_b32_e32 v4, 0x8000, v4
	v_and_b32_e32 v3, 0xfc00, v3
	v_or3_b32 v10, v4, v3, v2
.LBB321_593:                            ;   in Loop: Header=BB321_11 Depth=1
	s_or_b32 exec_lo, exec_lo, s23
.LBB321_594:                            ;   in Loop: Header=BB321_11 Depth=1
	s_or_b32 exec_lo, exec_lo, s22
.LBB321_595:                            ;   in Loop: Header=BB321_11 Depth=1
	s_or_b32 exec_lo, exec_lo, s21
	v_lshrrev_b16 v8, 8, v30
	v_mov_b32_e32 v2, 0
	v_mov_b32_e32 v14, 0
	s_mov_b32 s21, exec_lo
	v_cmpx_ne_u16_e32 0, v8
	s_cbranch_execz .LBB321_603
; %bb.596:                              ;   in Loop: Header=BB321_11 Depth=1
	v_bfrev_b32_e32 v14, 1
	s_mov_b32 s22, exec_lo
	v_cmpx_ne_u16_e32 0x80, v8
	s_cbranch_execz .LBB321_602
; %bb.597:                              ;   in Loop: Header=BB321_11 Depth=1
	v_mov_b32_e32 v3, 0x7f
	v_mov_b32_e32 v14, 0x7c010000
	s_mov_b32 s23, exec_lo
	v_and_b32_sdwa v5, v8, v3 dst_sel:DWORD dst_unused:UNUSED_PAD src0_sel:WORD_0 src1_sel:DWORD
	v_cmpx_ne_u32_e32 0x7f, v5
	s_cbranch_execz .LBB321_601
; %bb.598:                              ;   in Loop: Header=BB321_11 Depth=1
	v_mov_b32_e32 v3, 7
	v_lshrrev_b32_e32 v4, 3, v5
	s_mov_b32 s24, exec_lo
	v_and_b32_sdwa v3, v8, v3 dst_sel:DWORD dst_unused:UNUSED_PAD src0_sel:WORD_0 src1_sel:DWORD
	v_cmpx_gt_u32_e32 8, v5
; %bb.599:                              ;   in Loop: Header=BB321_11 Depth=1
	v_ffbh_u32_e32 v3, v3
	v_min_u32_e32 v5, 32, v3
	v_subrev_nc_u32_e32 v3, 28, v5
	v_lshlrev_b64 v[3:4], v3, v[8:9]
	v_sub_nc_u32_e32 v4, 29, v5
	v_and_b32_e32 v3, 7, v3
; %bb.600:                              ;   in Loop: Header=BB321_11 Depth=1
	s_or_b32 exec_lo, exec_lo, s24
	v_mov_b32_e32 v5, 8
	v_lshl_add_u32 v4, v4, 10, 0x2000
	v_lshlrev_b32_e32 v3, 23, v3
	v_lshlrev_b32_sdwa v5, v5, v8 dst_sel:DWORD dst_unused:UNUSED_PAD src0_sel:DWORD src1_sel:WORD_0
	v_and_or_b32 v4, 0x8000, v5, v4
	v_lshl_or_b32 v14, v4, 16, v3
.LBB321_601:                            ;   in Loop: Header=BB321_11 Depth=1
	s_or_b32 exec_lo, exec_lo, s23
.LBB321_602:                            ;   in Loop: Header=BB321_11 Depth=1
	s_or_b32 exec_lo, exec_lo, s22
.LBB321_603:                            ;   in Loop: Header=BB321_11 Depth=1
	s_or_b32 exec_lo, exec_lo, s21
	v_lshrrev_b32_e32 v8, 16, v30
	v_cmp_ne_u16_sdwa s5, v8, v9 src0_sel:BYTE_0 src1_sel:DWORD
	s_and_saveexec_b32 s21, s5
	s_cbranch_execz .LBB321_611
; %bb.604:                              ;   in Loop: Header=BB321_11 Depth=1
	v_cmp_ne_u16_sdwa s5, v8, v51 src0_sel:BYTE_0 src1_sel:DWORD
	v_mov_b32_e32 v2, 0x8000
	s_and_saveexec_b32 s22, s5
	s_cbranch_execz .LBB321_610
; %bb.605:                              ;   in Loop: Header=BB321_11 Depth=1
	v_bfe_u32 v4, v30, 16, 7
	v_mov_b32_e32 v2, 0x7c01
	s_mov_b32 s23, exec_lo
	v_cmpx_ne_u32_e32 0x7f, v4
	s_cbranch_execz .LBB321_609
; %bb.606:                              ;   in Loop: Header=BB321_11 Depth=1
	v_and_b32_e32 v2, 7, v8
	v_lshrrev_b32_e32 v3, 3, v4
	s_mov_b32 s24, exec_lo
	v_cmpx_gt_u32_e32 8, v4
; %bb.607:                              ;   in Loop: Header=BB321_11 Depth=1
	v_ffbh_u32_e32 v2, v2
	v_min_u32_e32 v4, 32, v2
	v_subrev_nc_u32_e32 v2, 28, v4
	v_lshlrev_b64 v[2:3], v2, v[8:9]
	v_sub_nc_u32_e32 v3, 29, v4
	v_and_b32_e32 v2, 7, v2
; %bb.608:                              ;   in Loop: Header=BB321_11 Depth=1
	s_or_b32 exec_lo, exec_lo, s24
	v_lshlrev_b32_e32 v4, 8, v8
	v_lshl_add_u32 v3, v3, 10, 0x2000
	v_lshlrev_b32_e32 v2, 7, v2
	v_and_b32_e32 v4, 0x8000, v4
	v_and_b32_e32 v3, 0xfc00, v3
	v_or3_b32 v2, v4, v3, v2
.LBB321_609:                            ;   in Loop: Header=BB321_11 Depth=1
	s_or_b32 exec_lo, exec_lo, s23
.LBB321_610:                            ;   in Loop: Header=BB321_11 Depth=1
	s_or_b32 exec_lo, exec_lo, s22
.LBB321_611:                            ;   in Loop: Header=BB321_11 Depth=1
	s_or_b32 exec_lo, exec_lo, s21
	v_mov_b32_e32 v16, 0
	v_mov_b32_e32 v3, 0
	s_mov_b32 s21, exec_lo
	v_cmpx_lt_u32_e32 0xffffff, v30
	s_cbranch_execz .LBB321_619
; %bb.612:                              ;   in Loop: Header=BB321_11 Depth=1
	v_lshrrev_b32_e32 v8, 24, v30
	v_bfrev_b32_e32 v3, 1
	s_mov_b32 s22, exec_lo
	v_cmpx_ne_u32_e32 0x80, v8
	s_cbranch_execz .LBB321_618
; %bb.613:                              ;   in Loop: Header=BB321_11 Depth=1
	v_and_b32_e32 v5, 0x7f, v8
	v_mov_b32_e32 v3, 0x7c010000
	s_mov_b32 s23, exec_lo
	v_cmpx_ne_u32_e32 0x7f, v5
	s_cbranch_execz .LBB321_617
; %bb.614:                              ;   in Loop: Header=BB321_11 Depth=1
	v_and_b32_e32 v3, 7, v8
	v_lshrrev_b32_e32 v4, 3, v5
	s_mov_b32 s24, exec_lo
	v_cmpx_gt_u32_e32 8, v5
; %bb.615:                              ;   in Loop: Header=BB321_11 Depth=1
	v_ffbh_u32_e32 v3, v3
	v_min_u32_e32 v5, 32, v3
	v_subrev_nc_u32_e32 v3, 28, v5
	v_lshlrev_b64 v[3:4], v3, v[8:9]
	v_sub_nc_u32_e32 v4, 29, v5
	v_and_b32_e32 v3, 7, v3
; %bb.616:                              ;   in Loop: Header=BB321_11 Depth=1
	s_or_b32 exec_lo, exec_lo, s24
	v_lshlrev_b32_e32 v5, 8, v8
	v_lshl_add_u32 v4, v4, 10, 0x2000
	v_lshlrev_b32_e32 v3, 23, v3
	v_and_or_b32 v4, 0x8000, v5, v4
	v_lshl_or_b32 v3, v4, 16, v3
.LBB321_617:                            ;   in Loop: Header=BB321_11 Depth=1
	s_or_b32 exec_lo, exec_lo, s23
.LBB321_618:                            ;   in Loop: Header=BB321_11 Depth=1
	s_or_b32 exec_lo, exec_lo, s22
.LBB321_619:                            ;   in Loop: Header=BB321_11 Depth=1
	s_or_b32 exec_lo, exec_lo, s21
	v_mov_b32_e32 v8, v31
	v_cmp_ne_u16_sdwa s5, v31, v9 src0_sel:BYTE_0 src1_sel:DWORD
	s_and_saveexec_b32 s21, s5
	s_cbranch_execz .LBB321_627
; %bb.620:                              ;   in Loop: Header=BB321_11 Depth=1
	v_cmp_ne_u16_sdwa s5, v31, v51 src0_sel:BYTE_0 src1_sel:DWORD
	v_mov_b32_e32 v16, 0x8000
	s_and_saveexec_b32 s22, s5
	s_cbranch_execz .LBB321_626
; %bb.621:                              ;   in Loop: Header=BB321_11 Depth=1
	v_and_b32_e32 v6, 0x7f, v31
	v_mov_b32_e32 v16, 0x7c01
	s_mov_b32 s23, exec_lo
	v_cmpx_ne_u32_e32 0x7f, v6
	s_cbranch_execz .LBB321_625
; %bb.622:                              ;   in Loop: Header=BB321_11 Depth=1
	v_and_b32_e32 v4, 7, v31
	v_lshrrev_b32_e32 v5, 3, v6
	s_mov_b32 s24, exec_lo
	v_cmpx_gt_u32_e32 8, v6
; %bb.623:                              ;   in Loop: Header=BB321_11 Depth=1
	v_ffbh_u32_e32 v4, v4
	v_min_u32_e32 v6, 32, v4
	v_subrev_nc_u32_e32 v4, 28, v6
	v_lshlrev_b64 v[4:5], v4, v[8:9]
	v_sub_nc_u32_e32 v5, 29, v6
	v_and_b32_e32 v4, 7, v4
; %bb.624:                              ;   in Loop: Header=BB321_11 Depth=1
	s_or_b32 exec_lo, exec_lo, s24
	v_lshlrev_b32_e32 v6, 8, v31
	v_lshl_add_u32 v5, v5, 10, 0x2000
	v_lshlrev_b32_e32 v4, 7, v4
	v_and_b32_e32 v6, 0x8000, v6
	v_and_b32_e32 v5, 0xfc00, v5
	v_or3_b32 v16, v6, v5, v4
.LBB321_625:                            ;   in Loop: Header=BB321_11 Depth=1
	s_or_b32 exec_lo, exec_lo, s23
.LBB321_626:                            ;   in Loop: Header=BB321_11 Depth=1
	s_or_b32 exec_lo, exec_lo, s22
.LBB321_627:                            ;   in Loop: Header=BB321_11 Depth=1
	s_or_b32 exec_lo, exec_lo, s21
	v_lshrrev_b16 v8, 8, v8
	v_mov_b32_e32 v22, 0
	v_mov_b32_e32 v35, 0
	s_mov_b32 s21, exec_lo
	v_cmpx_ne_u16_e32 0, v8
	s_cbranch_execz .LBB321_635
; %bb.628:                              ;   in Loop: Header=BB321_11 Depth=1
	v_bfrev_b32_e32 v35, 1
	s_mov_b32 s22, exec_lo
	v_cmpx_ne_u16_e32 0x80, v8
	s_cbranch_execz .LBB321_634
; %bb.629:                              ;   in Loop: Header=BB321_11 Depth=1
	v_mov_b32_e32 v4, 0x7f
	v_mov_b32_e32 v35, 0x7c010000
	s_mov_b32 s23, exec_lo
	v_and_b32_sdwa v6, v8, v4 dst_sel:DWORD dst_unused:UNUSED_PAD src0_sel:WORD_0 src1_sel:DWORD
	v_cmpx_ne_u32_e32 0x7f, v6
	s_cbranch_execz .LBB321_633
; %bb.630:                              ;   in Loop: Header=BB321_11 Depth=1
	v_mov_b32_e32 v4, 7
	v_lshrrev_b32_e32 v5, 3, v6
	s_mov_b32 s24, exec_lo
	v_and_b32_sdwa v4, v8, v4 dst_sel:DWORD dst_unused:UNUSED_PAD src0_sel:WORD_0 src1_sel:DWORD
	v_cmpx_gt_u32_e32 8, v6
; %bb.631:                              ;   in Loop: Header=BB321_11 Depth=1
	v_ffbh_u32_e32 v4, v4
	v_min_u32_e32 v6, 32, v4
	v_subrev_nc_u32_e32 v4, 28, v6
	v_lshlrev_b64 v[4:5], v4, v[8:9]
	v_sub_nc_u32_e32 v5, 29, v6
	v_and_b32_e32 v4, 7, v4
; %bb.632:                              ;   in Loop: Header=BB321_11 Depth=1
	s_or_b32 exec_lo, exec_lo, s24
	v_mov_b32_e32 v6, 8
	v_lshl_add_u32 v5, v5, 10, 0x2000
	v_lshlrev_b32_e32 v4, 23, v4
	v_lshlrev_b32_sdwa v6, v6, v8 dst_sel:DWORD dst_unused:UNUSED_PAD src0_sel:DWORD src1_sel:WORD_0
	v_and_or_b32 v5, 0x8000, v6, v5
	v_lshl_or_b32 v35, v5, 16, v4
.LBB321_633:                            ;   in Loop: Header=BB321_11 Depth=1
	s_or_b32 exec_lo, exec_lo, s23
.LBB321_634:                            ;   in Loop: Header=BB321_11 Depth=1
	s_or_b32 exec_lo, exec_lo, s22
.LBB321_635:                            ;   in Loop: Header=BB321_11 Depth=1
	s_or_b32 exec_lo, exec_lo, s21
	v_lshrrev_b32_e32 v8, 16, v31
	v_cmp_ne_u16_sdwa s5, v8, v9 src0_sel:BYTE_0 src1_sel:DWORD
	s_and_saveexec_b32 s21, s5
	s_cbranch_execz .LBB321_643
; %bb.636:                              ;   in Loop: Header=BB321_11 Depth=1
	v_cmp_ne_u16_sdwa s5, v8, v51 src0_sel:BYTE_0 src1_sel:DWORD
	v_mov_b32_e32 v22, 0x8000
	s_and_saveexec_b32 s22, s5
	s_cbranch_execz .LBB321_642
; %bb.637:                              ;   in Loop: Header=BB321_11 Depth=1
	v_bfe_u32 v6, v31, 16, 7
	v_mov_b32_e32 v22, 0x7c01
	s_mov_b32 s23, exec_lo
	v_cmpx_ne_u32_e32 0x7f, v6
	s_cbranch_execz .LBB321_641
; %bb.638:                              ;   in Loop: Header=BB321_11 Depth=1
	v_and_b32_e32 v4, 7, v8
	v_lshrrev_b32_e32 v5, 3, v6
	s_mov_b32 s24, exec_lo
	v_cmpx_gt_u32_e32 8, v6
; %bb.639:                              ;   in Loop: Header=BB321_11 Depth=1
	v_ffbh_u32_e32 v4, v4
	v_min_u32_e32 v6, 32, v4
	v_subrev_nc_u32_e32 v4, 28, v6
	v_lshlrev_b64 v[4:5], v4, v[8:9]
	v_sub_nc_u32_e32 v5, 29, v6
	v_and_b32_e32 v4, 7, v4
; %bb.640:                              ;   in Loop: Header=BB321_11 Depth=1
	s_or_b32 exec_lo, exec_lo, s24
	v_lshlrev_b32_e32 v6, 8, v8
	v_lshl_add_u32 v5, v5, 10, 0x2000
	v_lshlrev_b32_e32 v4, 7, v4
	v_and_b32_e32 v6, 0x8000, v6
	v_and_b32_e32 v5, 0xfc00, v5
	v_or3_b32 v22, v6, v5, v4
.LBB321_641:                            ;   in Loop: Header=BB321_11 Depth=1
	s_or_b32 exec_lo, exec_lo, s23
.LBB321_642:                            ;   in Loop: Header=BB321_11 Depth=1
	s_or_b32 exec_lo, exec_lo, s22
.LBB321_643:                            ;   in Loop: Header=BB321_11 Depth=1
	s_or_b32 exec_lo, exec_lo, s21
	v_mov_b32_e32 v18, 0
	v_mov_b32_e32 v53, 0
	s_mov_b32 s21, exec_lo
	v_cmpx_lt_u64_e64 s[6:7], v[30:31]
	s_cbranch_execz .LBB321_651
; %bb.644:                              ;   in Loop: Header=BB321_11 Depth=1
	v_lshrrev_b32_e32 v8, 24, v31
	v_bfrev_b32_e32 v53, 1
	s_mov_b32 s22, exec_lo
	v_cmpx_ne_u32_e32 0x80, v8
	s_cbranch_execz .LBB321_650
; %bb.645:                              ;   in Loop: Header=BB321_11 Depth=1
	v_and_b32_e32 v6, 0x7f, v8
	v_mov_b32_e32 v53, 0x7c010000
	s_mov_b32 s23, exec_lo
	v_cmpx_ne_u32_e32 0x7f, v6
	s_cbranch_execz .LBB321_649
; %bb.646:                              ;   in Loop: Header=BB321_11 Depth=1
	v_and_b32_e32 v4, 7, v8
	v_lshrrev_b32_e32 v5, 3, v6
	s_mov_b32 s24, exec_lo
	v_cmpx_gt_u32_e32 8, v6
; %bb.647:                              ;   in Loop: Header=BB321_11 Depth=1
	v_ffbh_u32_e32 v4, v4
	v_min_u32_e32 v6, 32, v4
	v_subrev_nc_u32_e32 v4, 28, v6
	v_lshlrev_b64 v[4:5], v4, v[8:9]
	v_sub_nc_u32_e32 v5, 29, v6
	v_and_b32_e32 v4, 7, v4
; %bb.648:                              ;   in Loop: Header=BB321_11 Depth=1
	s_or_b32 exec_lo, exec_lo, s24
	v_lshlrev_b32_e32 v6, 8, v8
	v_lshl_add_u32 v5, v5, 10, 0x2000
	v_lshlrev_b32_e32 v4, 23, v4
	v_and_or_b32 v5, 0x8000, v6, v5
	v_lshl_or_b32 v53, v5, 16, v4
.LBB321_649:                            ;   in Loop: Header=BB321_11 Depth=1
	s_or_b32 exec_lo, exec_lo, s23
.LBB321_650:                            ;   in Loop: Header=BB321_11 Depth=1
	s_or_b32 exec_lo, exec_lo, s22
.LBB321_651:                            ;   in Loop: Header=BB321_11 Depth=1
	s_or_b32 exec_lo, exec_lo, s21
	flat_load_dwordx2 v[30:31], v[28:29] offset:512
	s_waitcnt vmcnt(0) lgkmcnt(0)
	v_cmp_ne_u16_sdwa s5, v30, v9 src0_sel:BYTE_0 src1_sel:DWORD
	s_and_saveexec_b32 s21, s5
	s_cbranch_execz .LBB321_659
; %bb.652:                              ;   in Loop: Header=BB321_11 Depth=1
	v_cmp_ne_u16_sdwa s5, v30, v51 src0_sel:BYTE_0 src1_sel:DWORD
	v_mov_b32_e32 v18, 0x8000
	s_and_saveexec_b32 s22, s5
	s_cbranch_execz .LBB321_658
; %bb.653:                              ;   in Loop: Header=BB321_11 Depth=1
	v_and_b32_e32 v6, 0x7f, v30
	v_mov_b32_e32 v18, 0x7c01
	s_mov_b32 s23, exec_lo
	v_cmpx_ne_u32_e32 0x7f, v6
	s_cbranch_execz .LBB321_657
; %bb.654:                              ;   in Loop: Header=BB321_11 Depth=1
	v_and_b32_e32 v4, 7, v30
	v_lshrrev_b32_e32 v5, 3, v6
	s_mov_b32 s24, exec_lo
	v_cmpx_gt_u32_e32 8, v6
; %bb.655:                              ;   in Loop: Header=BB321_11 Depth=1
	v_ffbh_u32_e32 v4, v4
	v_min_u32_e32 v6, 32, v4
	v_subrev_nc_u32_e32 v4, 28, v6
	v_lshlrev_b64 v[4:5], v4, v[30:31]
	v_sub_nc_u32_e32 v5, 29, v6
	v_and_b32_e32 v4, 7, v4
; %bb.656:                              ;   in Loop: Header=BB321_11 Depth=1
	s_or_b32 exec_lo, exec_lo, s24
	v_lshlrev_b32_e32 v6, 8, v30
	v_lshl_add_u32 v5, v5, 10, 0x2000
	v_lshlrev_b32_e32 v4, 7, v4
	v_and_b32_e32 v6, 0x8000, v6
	v_and_b32_e32 v5, 0xfc00, v5
	v_or3_b32 v18, v6, v5, v4
.LBB321_657:                            ;   in Loop: Header=BB321_11 Depth=1
	s_or_b32 exec_lo, exec_lo, s23
.LBB321_658:                            ;   in Loop: Header=BB321_11 Depth=1
	s_or_b32 exec_lo, exec_lo, s22
.LBB321_659:                            ;   in Loop: Header=BB321_11 Depth=1
	s_or_b32 exec_lo, exec_lo, s21
	v_lshrrev_b16 v8, 8, v30
	v_mov_b32_e32 v4, 0
	v_mov_b32_e32 v23, 0
	s_mov_b32 s21, exec_lo
	v_cmpx_ne_u16_e32 0, v8
	s_cbranch_execz .LBB321_667
; %bb.660:                              ;   in Loop: Header=BB321_11 Depth=1
	v_bfrev_b32_e32 v23, 1
	s_mov_b32 s22, exec_lo
	v_cmpx_ne_u16_e32 0x80, v8
	s_cbranch_execz .LBB321_666
; %bb.661:                              ;   in Loop: Header=BB321_11 Depth=1
	v_mov_b32_e32 v5, 0x7f
	v_mov_b32_e32 v23, 0x7c010000
	s_mov_b32 s23, exec_lo
	v_and_b32_sdwa v7, v8, v5 dst_sel:DWORD dst_unused:UNUSED_PAD src0_sel:WORD_0 src1_sel:DWORD
	v_cmpx_ne_u32_e32 0x7f, v7
	s_cbranch_execz .LBB321_665
; %bb.662:                              ;   in Loop: Header=BB321_11 Depth=1
	v_mov_b32_e32 v5, 7
	v_lshrrev_b32_e32 v6, 3, v7
	s_mov_b32 s24, exec_lo
	v_and_b32_sdwa v5, v8, v5 dst_sel:DWORD dst_unused:UNUSED_PAD src0_sel:WORD_0 src1_sel:DWORD
	v_cmpx_gt_u32_e32 8, v7
; %bb.663:                              ;   in Loop: Header=BB321_11 Depth=1
	v_ffbh_u32_e32 v5, v5
	v_min_u32_e32 v7, 32, v5
	v_subrev_nc_u32_e32 v5, 28, v7
	v_lshlrev_b64 v[5:6], v5, v[8:9]
	v_sub_nc_u32_e32 v6, 29, v7
	v_and_b32_e32 v5, 7, v5
; %bb.664:                              ;   in Loop: Header=BB321_11 Depth=1
	s_or_b32 exec_lo, exec_lo, s24
	v_mov_b32_e32 v7, 8
	v_lshl_add_u32 v6, v6, 10, 0x2000
	v_lshlrev_b32_e32 v5, 23, v5
	v_lshlrev_b32_sdwa v7, v7, v8 dst_sel:DWORD dst_unused:UNUSED_PAD src0_sel:DWORD src1_sel:WORD_0
	v_and_or_b32 v6, 0x8000, v7, v6
	v_lshl_or_b32 v23, v6, 16, v5
.LBB321_665:                            ;   in Loop: Header=BB321_11 Depth=1
	s_or_b32 exec_lo, exec_lo, s23
.LBB321_666:                            ;   in Loop: Header=BB321_11 Depth=1
	s_or_b32 exec_lo, exec_lo, s22
.LBB321_667:                            ;   in Loop: Header=BB321_11 Depth=1
	s_or_b32 exec_lo, exec_lo, s21
	v_lshrrev_b32_e32 v8, 16, v30
	v_cmp_ne_u16_sdwa s5, v8, v9 src0_sel:BYTE_0 src1_sel:DWORD
	s_and_saveexec_b32 s21, s5
	s_cbranch_execz .LBB321_675
; %bb.668:                              ;   in Loop: Header=BB321_11 Depth=1
	v_cmp_ne_u16_sdwa s5, v8, v51 src0_sel:BYTE_0 src1_sel:DWORD
	v_mov_b32_e32 v4, 0x8000
	s_and_saveexec_b32 s22, s5
	s_cbranch_execz .LBB321_674
; %bb.669:                              ;   in Loop: Header=BB321_11 Depth=1
	v_bfe_u32 v6, v30, 16, 7
	v_mov_b32_e32 v4, 0x7c01
	s_mov_b32 s23, exec_lo
	v_cmpx_ne_u32_e32 0x7f, v6
	s_cbranch_execz .LBB321_673
; %bb.670:                              ;   in Loop: Header=BB321_11 Depth=1
	v_and_b32_e32 v4, 7, v8
	v_lshrrev_b32_e32 v5, 3, v6
	s_mov_b32 s24, exec_lo
	v_cmpx_gt_u32_e32 8, v6
; %bb.671:                              ;   in Loop: Header=BB321_11 Depth=1
	v_ffbh_u32_e32 v4, v4
	v_min_u32_e32 v6, 32, v4
	v_subrev_nc_u32_e32 v4, 28, v6
	v_lshlrev_b64 v[4:5], v4, v[8:9]
	v_sub_nc_u32_e32 v5, 29, v6
	v_and_b32_e32 v4, 7, v4
; %bb.672:                              ;   in Loop: Header=BB321_11 Depth=1
	s_or_b32 exec_lo, exec_lo, s24
	v_lshlrev_b32_e32 v6, 8, v8
	v_lshl_add_u32 v5, v5, 10, 0x2000
	v_lshlrev_b32_e32 v4, 7, v4
	v_and_b32_e32 v6, 0x8000, v6
	v_and_b32_e32 v5, 0xfc00, v5
	v_or3_b32 v4, v6, v5, v4
.LBB321_673:                            ;   in Loop: Header=BB321_11 Depth=1
	s_or_b32 exec_lo, exec_lo, s23
.LBB321_674:                            ;   in Loop: Header=BB321_11 Depth=1
	s_or_b32 exec_lo, exec_lo, s22
.LBB321_675:                            ;   in Loop: Header=BB321_11 Depth=1
	s_or_b32 exec_lo, exec_lo, s21
	v_mov_b32_e32 v32, 0
	v_mov_b32_e32 v5, 0
	s_mov_b32 s21, exec_lo
	v_cmpx_lt_u32_e32 0xffffff, v30
	s_cbranch_execz .LBB321_683
; %bb.676:                              ;   in Loop: Header=BB321_11 Depth=1
	v_lshrrev_b32_e32 v8, 24, v30
	v_bfrev_b32_e32 v5, 1
	s_mov_b32 s22, exec_lo
	v_cmpx_ne_u32_e32 0x80, v8
	s_cbranch_execz .LBB321_682
; %bb.677:                              ;   in Loop: Header=BB321_11 Depth=1
	v_and_b32_e32 v7, 0x7f, v8
	v_mov_b32_e32 v5, 0x7c010000
	s_mov_b32 s23, exec_lo
	v_cmpx_ne_u32_e32 0x7f, v7
	s_cbranch_execz .LBB321_681
; %bb.678:                              ;   in Loop: Header=BB321_11 Depth=1
	v_and_b32_e32 v5, 7, v8
	v_lshrrev_b32_e32 v6, 3, v7
	s_mov_b32 s24, exec_lo
	v_cmpx_gt_u32_e32 8, v7
; %bb.679:                              ;   in Loop: Header=BB321_11 Depth=1
	v_ffbh_u32_e32 v5, v5
	v_min_u32_e32 v7, 32, v5
	v_subrev_nc_u32_e32 v5, 28, v7
	v_lshlrev_b64 v[5:6], v5, v[8:9]
	v_sub_nc_u32_e32 v6, 29, v7
	v_and_b32_e32 v5, 7, v5
; %bb.680:                              ;   in Loop: Header=BB321_11 Depth=1
	s_or_b32 exec_lo, exec_lo, s24
	v_lshlrev_b32_e32 v7, 8, v8
	v_lshl_add_u32 v6, v6, 10, 0x2000
	v_lshlrev_b32_e32 v5, 23, v5
	v_and_or_b32 v6, 0x8000, v7, v6
	v_lshl_or_b32 v5, v6, 16, v5
.LBB321_681:                            ;   in Loop: Header=BB321_11 Depth=1
	s_or_b32 exec_lo, exec_lo, s23
.LBB321_682:                            ;   in Loop: Header=BB321_11 Depth=1
	s_or_b32 exec_lo, exec_lo, s22
.LBB321_683:                            ;   in Loop: Header=BB321_11 Depth=1
	s_or_b32 exec_lo, exec_lo, s21
	v_mov_b32_e32 v8, v31
	v_cmp_ne_u16_sdwa s5, v31, v9 src0_sel:BYTE_0 src1_sel:DWORD
	s_and_saveexec_b32 s21, s5
	s_cbranch_execz .LBB321_691
; %bb.684:                              ;   in Loop: Header=BB321_11 Depth=1
	v_cmp_ne_u16_sdwa s5, v31, v51 src0_sel:BYTE_0 src1_sel:DWORD
	v_mov_b32_e32 v32, 0x8000
	s_and_saveexec_b32 s22, s5
	s_cbranch_execz .LBB321_690
; %bb.685:                              ;   in Loop: Header=BB321_11 Depth=1
	v_and_b32_e32 v36, 0x7f, v31
	v_mov_b32_e32 v32, 0x7c01
	s_mov_b32 s23, exec_lo
	v_cmpx_ne_u32_e32 0x7f, v36
	s_cbranch_execz .LBB321_689
; %bb.686:                              ;   in Loop: Header=BB321_11 Depth=1
	v_and_b32_e32 v6, 7, v31
	v_lshrrev_b32_e32 v7, 3, v36
	s_mov_b32 s24, exec_lo
	v_cmpx_gt_u32_e32 8, v36
; %bb.687:                              ;   in Loop: Header=BB321_11 Depth=1
	v_ffbh_u32_e32 v6, v6
	v_min_u32_e32 v32, 32, v6
	v_subrev_nc_u32_e32 v6, 28, v32
	v_lshlrev_b64 v[6:7], v6, v[8:9]
	v_sub_nc_u32_e32 v7, 29, v32
	v_and_b32_e32 v6, 7, v6
; %bb.688:                              ;   in Loop: Header=BB321_11 Depth=1
	s_or_b32 exec_lo, exec_lo, s24
	v_lshlrev_b32_e32 v32, 8, v31
	v_lshl_add_u32 v7, v7, 10, 0x2000
	v_lshlrev_b32_e32 v6, 7, v6
	v_and_b32_e32 v32, 0x8000, v32
	v_and_b32_e32 v7, 0xfc00, v7
	v_or3_b32 v32, v32, v7, v6
.LBB321_689:                            ;   in Loop: Header=BB321_11 Depth=1
	s_or_b32 exec_lo, exec_lo, s23
.LBB321_690:                            ;   in Loop: Header=BB321_11 Depth=1
	s_or_b32 exec_lo, exec_lo, s22
.LBB321_691:                            ;   in Loop: Header=BB321_11 Depth=1
	s_or_b32 exec_lo, exec_lo, s21
	v_lshrrev_b16 v8, 8, v8
	v_mov_b32_e32 v36, 0
	v_mov_b32_e32 v54, 0
	s_mov_b32 s21, exec_lo
	v_cmpx_ne_u16_e32 0, v8
	s_cbranch_execz .LBB321_699
; %bb.692:                              ;   in Loop: Header=BB321_11 Depth=1
	v_bfrev_b32_e32 v54, 1
	s_mov_b32 s22, exec_lo
	v_cmpx_ne_u16_e32 0x80, v8
	s_cbranch_execz .LBB321_698
; %bb.693:                              ;   in Loop: Header=BB321_11 Depth=1
	v_mov_b32_e32 v6, 0x7f
	v_mov_b32_e32 v54, 0x7c010000
	s_mov_b32 s23, exec_lo
	v_and_b32_sdwa v37, v8, v6 dst_sel:DWORD dst_unused:UNUSED_PAD src0_sel:WORD_0 src1_sel:DWORD
	v_cmpx_ne_u32_e32 0x7f, v37
	s_cbranch_execz .LBB321_697
; %bb.694:                              ;   in Loop: Header=BB321_11 Depth=1
	v_mov_b32_e32 v6, 7
	v_lshrrev_b32_e32 v7, 3, v37
	s_mov_b32 s24, exec_lo
	v_and_b32_sdwa v6, v8, v6 dst_sel:DWORD dst_unused:UNUSED_PAD src0_sel:WORD_0 src1_sel:DWORD
	v_cmpx_gt_u32_e32 8, v37
; %bb.695:                              ;   in Loop: Header=BB321_11 Depth=1
	v_ffbh_u32_e32 v6, v6
	v_min_u32_e32 v37, 32, v6
	v_subrev_nc_u32_e32 v6, 28, v37
	v_lshlrev_b64 v[6:7], v6, v[8:9]
	v_sub_nc_u32_e32 v7, 29, v37
	v_and_b32_e32 v6, 7, v6
; %bb.696:                              ;   in Loop: Header=BB321_11 Depth=1
	s_or_b32 exec_lo, exec_lo, s24
	v_mov_b32_e32 v37, 8
	v_lshl_add_u32 v7, v7, 10, 0x2000
	v_lshlrev_b32_e32 v6, 23, v6
	v_lshlrev_b32_sdwa v8, v37, v8 dst_sel:DWORD dst_unused:UNUSED_PAD src0_sel:DWORD src1_sel:WORD_0
	v_and_or_b32 v7, 0x8000, v8, v7
	v_lshl_or_b32 v54, v7, 16, v6
.LBB321_697:                            ;   in Loop: Header=BB321_11 Depth=1
	s_or_b32 exec_lo, exec_lo, s23
.LBB321_698:                            ;   in Loop: Header=BB321_11 Depth=1
	s_or_b32 exec_lo, exec_lo, s22
.LBB321_699:                            ;   in Loop: Header=BB321_11 Depth=1
	s_or_b32 exec_lo, exec_lo, s21
	v_lshrrev_b32_e32 v8, 16, v31
	v_cmp_ne_u16_sdwa s5, v8, v9 src0_sel:BYTE_0 src1_sel:DWORD
	s_and_saveexec_b32 s21, s5
	s_cbranch_execz .LBB321_707
; %bb.700:                              ;   in Loop: Header=BB321_11 Depth=1
	v_cmp_ne_u16_sdwa s5, v8, v51 src0_sel:BYTE_0 src1_sel:DWORD
	v_mov_b32_e32 v36, 0x8000
	s_and_saveexec_b32 s22, s5
	s_cbranch_execz .LBB321_706
; %bb.701:                              ;   in Loop: Header=BB321_11 Depth=1
	v_bfe_u32 v37, v31, 16, 7
	v_mov_b32_e32 v36, 0x7c01
	s_mov_b32 s23, exec_lo
	v_cmpx_ne_u32_e32 0x7f, v37
	s_cbranch_execz .LBB321_705
; %bb.702:                              ;   in Loop: Header=BB321_11 Depth=1
	v_and_b32_e32 v6, 7, v8
	v_lshrrev_b32_e32 v7, 3, v37
	s_mov_b32 s24, exec_lo
	v_cmpx_gt_u32_e32 8, v37
; %bb.703:                              ;   in Loop: Header=BB321_11 Depth=1
	v_ffbh_u32_e32 v6, v6
	v_min_u32_e32 v36, 32, v6
	v_subrev_nc_u32_e32 v6, 28, v36
	v_lshlrev_b64 v[6:7], v6, v[8:9]
	v_sub_nc_u32_e32 v7, 29, v36
	v_and_b32_e32 v6, 7, v6
; %bb.704:                              ;   in Loop: Header=BB321_11 Depth=1
	s_or_b32 exec_lo, exec_lo, s24
	v_lshlrev_b32_e32 v8, 8, v8
	v_lshl_add_u32 v7, v7, 10, 0x2000
	v_lshlrev_b32_e32 v6, 7, v6
	v_and_b32_e32 v8, 0x8000, v8
	v_and_b32_e32 v7, 0xfc00, v7
	v_or3_b32 v36, v8, v7, v6
.LBB321_705:                            ;   in Loop: Header=BB321_11 Depth=1
	s_or_b32 exec_lo, exec_lo, s23
.LBB321_706:                            ;   in Loop: Header=BB321_11 Depth=1
	s_or_b32 exec_lo, exec_lo, s22
.LBB321_707:                            ;   in Loop: Header=BB321_11 Depth=1
	s_or_b32 exec_lo, exec_lo, s21
	v_mov_b32_e32 v37, 0
	v_mov_b32_e32 v122, 0
	s_mov_b32 s21, exec_lo
	v_cmpx_lt_u64_e64 s[6:7], v[30:31]
	s_cbranch_execz .LBB321_715
; %bb.708:                              ;   in Loop: Header=BB321_11 Depth=1
	v_lshrrev_b32_e32 v8, 24, v31
	v_bfrev_b32_e32 v122, 1
	s_mov_b32 s22, exec_lo
	v_cmpx_ne_u32_e32 0x80, v8
	s_cbranch_execz .LBB321_714
; %bb.709:                              ;   in Loop: Header=BB321_11 Depth=1
	v_and_b32_e32 v30, 0x7f, v8
	v_mov_b32_e32 v122, 0x7c010000
	s_mov_b32 s23, exec_lo
	v_cmpx_ne_u32_e32 0x7f, v30
	s_cbranch_execz .LBB321_713
; %bb.710:                              ;   in Loop: Header=BB321_11 Depth=1
	v_and_b32_e32 v6, 7, v8
	v_lshrrev_b32_e32 v7, 3, v30
	s_mov_b32 s24, exec_lo
	v_cmpx_gt_u32_e32 8, v30
; %bb.711:                              ;   in Loop: Header=BB321_11 Depth=1
	v_ffbh_u32_e32 v6, v6
	v_min_u32_e32 v30, 32, v6
	v_subrev_nc_u32_e32 v6, 28, v30
	v_lshlrev_b64 v[6:7], v6, v[8:9]
	v_sub_nc_u32_e32 v7, 29, v30
	v_and_b32_e32 v6, 7, v6
; %bb.712:                              ;   in Loop: Header=BB321_11 Depth=1
	s_or_b32 exec_lo, exec_lo, s24
	v_lshlrev_b32_e32 v8, 8, v8
	v_lshl_add_u32 v7, v7, 10, 0x2000
	v_lshlrev_b32_e32 v6, 23, v6
	v_and_or_b32 v7, 0x8000, v8, v7
	v_lshl_or_b32 v122, v7, 16, v6
.LBB321_713:                            ;   in Loop: Header=BB321_11 Depth=1
	s_or_b32 exec_lo, exec_lo, s23
.LBB321_714:                            ;   in Loop: Header=BB321_11 Depth=1
	s_or_b32 exec_lo, exec_lo, s22
.LBB321_715:                            ;   in Loop: Header=BB321_11 Depth=1
	s_or_b32 exec_lo, exec_lo, s21
	flat_load_dwordx2 v[30:31], v[28:29] offset:520
	s_waitcnt vmcnt(0) lgkmcnt(0)
	v_cmp_ne_u16_sdwa s5, v30, v9 src0_sel:BYTE_0 src1_sel:DWORD
	s_and_saveexec_b32 s21, s5
	s_cbranch_execz .LBB321_723
; %bb.716:                              ;   in Loop: Header=BB321_11 Depth=1
	v_cmp_ne_u16_sdwa s5, v30, v51 src0_sel:BYTE_0 src1_sel:DWORD
	v_mov_b32_e32 v37, 0x8000
	s_and_saveexec_b32 s22, s5
	s_cbranch_execz .LBB321_722
; %bb.717:                              ;   in Loop: Header=BB321_11 Depth=1
	v_and_b32_e32 v8, 0x7f, v30
	v_mov_b32_e32 v37, 0x7c01
	s_mov_b32 s23, exec_lo
	v_cmpx_ne_u32_e32 0x7f, v8
	s_cbranch_execz .LBB321_721
; %bb.718:                              ;   in Loop: Header=BB321_11 Depth=1
	v_and_b32_e32 v6, 7, v30
	v_lshrrev_b32_e32 v7, 3, v8
	s_mov_b32 s24, exec_lo
	v_cmpx_gt_u32_e32 8, v8
; %bb.719:                              ;   in Loop: Header=BB321_11 Depth=1
	v_ffbh_u32_e32 v6, v6
	v_min_u32_e32 v8, 32, v6
	v_subrev_nc_u32_e32 v6, 28, v8
	v_lshlrev_b64 v[6:7], v6, v[30:31]
	v_sub_nc_u32_e32 v7, 29, v8
	v_and_b32_e32 v6, 7, v6
; %bb.720:                              ;   in Loop: Header=BB321_11 Depth=1
	s_or_b32 exec_lo, exec_lo, s24
	v_lshlrev_b32_e32 v8, 8, v30
	v_lshl_add_u32 v7, v7, 10, 0x2000
	v_lshlrev_b32_e32 v6, 7, v6
	v_and_b32_e32 v8, 0x8000, v8
	v_and_b32_e32 v7, 0xfc00, v7
	v_or3_b32 v37, v8, v7, v6
.LBB321_721:                            ;   in Loop: Header=BB321_11 Depth=1
	s_or_b32 exec_lo, exec_lo, s23
.LBB321_722:                            ;   in Loop: Header=BB321_11 Depth=1
	s_or_b32 exec_lo, exec_lo, s22
.LBB321_723:                            ;   in Loop: Header=BB321_11 Depth=1
	s_or_b32 exec_lo, exec_lo, s21
	v_lshrrev_b16 v8, 8, v30
	v_mov_b32_e32 v93, 0
	v_mov_b32_e32 v92, 0
	s_mov_b32 s21, exec_lo
	v_cmpx_ne_u16_e32 0, v8
	s_cbranch_execz .LBB321_731
; %bb.724:                              ;   in Loop: Header=BB321_11 Depth=1
	v_bfrev_b32_e32 v92, 1
	s_mov_b32 s22, exec_lo
	v_cmpx_ne_u16_e32 0x80, v8
	s_cbranch_execz .LBB321_730
; %bb.725:                              ;   in Loop: Header=BB321_11 Depth=1
	v_mov_b32_e32 v6, 0x7f
	v_mov_b32_e32 v92, 0x7c010000
	s_mov_b32 s23, exec_lo
	v_and_b32_sdwa v48, v8, v6 dst_sel:DWORD dst_unused:UNUSED_PAD src0_sel:WORD_0 src1_sel:DWORD
	v_cmpx_ne_u32_e32 0x7f, v48
	s_cbranch_execz .LBB321_729
; %bb.726:                              ;   in Loop: Header=BB321_11 Depth=1
	v_mov_b32_e32 v6, 7
	v_lshrrev_b32_e32 v7, 3, v48
	s_mov_b32 s24, exec_lo
	v_and_b32_sdwa v6, v8, v6 dst_sel:DWORD dst_unused:UNUSED_PAD src0_sel:WORD_0 src1_sel:DWORD
	v_cmpx_gt_u32_e32 8, v48
; %bb.727:                              ;   in Loop: Header=BB321_11 Depth=1
	v_ffbh_u32_e32 v6, v6
	v_min_u32_e32 v48, 32, v6
	v_subrev_nc_u32_e32 v6, 28, v48
	v_lshlrev_b64 v[6:7], v6, v[8:9]
	v_sub_nc_u32_e32 v7, 29, v48
	v_and_b32_e32 v6, 7, v6
; %bb.728:                              ;   in Loop: Header=BB321_11 Depth=1
	s_or_b32 exec_lo, exec_lo, s24
	v_mov_b32_e32 v48, 8
	v_lshl_add_u32 v7, v7, 10, 0x2000
	v_lshlrev_b32_e32 v6, 23, v6
	v_lshlrev_b32_sdwa v8, v48, v8 dst_sel:DWORD dst_unused:UNUSED_PAD src0_sel:DWORD src1_sel:WORD_0
	v_and_or_b32 v7, 0x8000, v8, v7
	v_lshl_or_b32 v92, v7, 16, v6
.LBB321_729:                            ;   in Loop: Header=BB321_11 Depth=1
	s_or_b32 exec_lo, exec_lo, s23
.LBB321_730:                            ;   in Loop: Header=BB321_11 Depth=1
	s_or_b32 exec_lo, exec_lo, s22
.LBB321_731:                            ;   in Loop: Header=BB321_11 Depth=1
	s_or_b32 exec_lo, exec_lo, s21
	v_lshrrev_b32_e32 v8, 16, v30
	v_cmp_ne_u16_sdwa s5, v8, v9 src0_sel:BYTE_0 src1_sel:DWORD
	s_and_saveexec_b32 s21, s5
	s_cbranch_execz .LBB321_739
; %bb.732:                              ;   in Loop: Header=BB321_11 Depth=1
	v_cmp_ne_u16_sdwa s5, v8, v51 src0_sel:BYTE_0 src1_sel:DWORD
	v_mov_b32_e32 v93, 0x8000
	s_and_saveexec_b32 s22, s5
	s_cbranch_execz .LBB321_738
; %bb.733:                              ;   in Loop: Header=BB321_11 Depth=1
	v_bfe_u32 v48, v30, 16, 7
	v_mov_b32_e32 v93, 0x7c01
	s_mov_b32 s23, exec_lo
	v_cmpx_ne_u32_e32 0x7f, v48
	s_cbranch_execz .LBB321_737
; %bb.734:                              ;   in Loop: Header=BB321_11 Depth=1
	v_and_b32_e32 v6, 7, v8
	v_lshrrev_b32_e32 v7, 3, v48
	s_mov_b32 s24, exec_lo
	v_cmpx_gt_u32_e32 8, v48
; %bb.735:                              ;   in Loop: Header=BB321_11 Depth=1
	v_ffbh_u32_e32 v6, v6
	v_min_u32_e32 v48, 32, v6
	v_subrev_nc_u32_e32 v6, 28, v48
	v_lshlrev_b64 v[6:7], v6, v[8:9]
	v_sub_nc_u32_e32 v7, 29, v48
	v_and_b32_e32 v6, 7, v6
; %bb.736:                              ;   in Loop: Header=BB321_11 Depth=1
	s_or_b32 exec_lo, exec_lo, s24
	v_lshlrev_b32_e32 v8, 8, v8
	v_lshl_add_u32 v7, v7, 10, 0x2000
	v_lshlrev_b32_e32 v6, 7, v6
	v_and_b32_e32 v8, 0x8000, v8
	v_and_b32_e32 v7, 0xfc00, v7
	v_or3_b32 v93, v8, v7, v6
.LBB321_737:                            ;   in Loop: Header=BB321_11 Depth=1
	s_or_b32 exec_lo, exec_lo, s23
.LBB321_738:                            ;   in Loop: Header=BB321_11 Depth=1
	s_or_b32 exec_lo, exec_lo, s22
.LBB321_739:                            ;   in Loop: Header=BB321_11 Depth=1
	s_or_b32 exec_lo, exec_lo, s21
	v_mov_b32_e32 v106, 0
	v_mov_b32_e32 v107, 0
	s_mov_b32 s21, exec_lo
	v_cmpx_lt_u32_e32 0xffffff, v30
	s_cbranch_execz .LBB321_747
; %bb.740:                              ;   in Loop: Header=BB321_11 Depth=1
	v_lshrrev_b32_e32 v8, 24, v30
	v_bfrev_b32_e32 v107, 1
	s_mov_b32 s22, exec_lo
	v_cmpx_ne_u32_e32 0x80, v8
	s_cbranch_execz .LBB321_746
; %bb.741:                              ;   in Loop: Header=BB321_11 Depth=1
	v_and_b32_e32 v48, 0x7f, v8
	v_mov_b32_e32 v107, 0x7c010000
	s_mov_b32 s23, exec_lo
	v_cmpx_ne_u32_e32 0x7f, v48
	s_cbranch_execz .LBB321_745
; %bb.742:                              ;   in Loop: Header=BB321_11 Depth=1
	v_and_b32_e32 v6, 7, v8
	v_lshrrev_b32_e32 v7, 3, v48
	s_mov_b32 s24, exec_lo
	v_cmpx_gt_u32_e32 8, v48
; %bb.743:                              ;   in Loop: Header=BB321_11 Depth=1
	v_ffbh_u32_e32 v6, v6
	v_min_u32_e32 v48, 32, v6
	v_subrev_nc_u32_e32 v6, 28, v48
	v_lshlrev_b64 v[6:7], v6, v[8:9]
	v_sub_nc_u32_e32 v7, 29, v48
	v_and_b32_e32 v6, 7, v6
; %bb.744:                              ;   in Loop: Header=BB321_11 Depth=1
	s_or_b32 exec_lo, exec_lo, s24
	v_lshlrev_b32_e32 v8, 8, v8
	v_lshl_add_u32 v7, v7, 10, 0x2000
	v_lshlrev_b32_e32 v6, 23, v6
	v_and_or_b32 v7, 0x8000, v8, v7
	v_lshl_or_b32 v107, v7, 16, v6
.LBB321_745:                            ;   in Loop: Header=BB321_11 Depth=1
	s_or_b32 exec_lo, exec_lo, s23
.LBB321_746:                            ;   in Loop: Header=BB321_11 Depth=1
	s_or_b32 exec_lo, exec_lo, s22
.LBB321_747:                            ;   in Loop: Header=BB321_11 Depth=1
	s_or_b32 exec_lo, exec_lo, s21
	v_mov_b32_e32 v8, v31
	v_cmp_ne_u16_sdwa s5, v31, v9 src0_sel:BYTE_0 src1_sel:DWORD
	s_and_saveexec_b32 s21, s5
	s_cbranch_execz .LBB321_755
; %bb.748:                              ;   in Loop: Header=BB321_11 Depth=1
	v_cmp_ne_u16_sdwa s5, v31, v51 src0_sel:BYTE_0 src1_sel:DWORD
	v_mov_b32_e32 v106, 0x8000
	s_and_saveexec_b32 s22, s5
	s_cbranch_execz .LBB321_754
; %bb.749:                              ;   in Loop: Header=BB321_11 Depth=1
	v_and_b32_e32 v48, 0x7f, v31
	v_mov_b32_e32 v106, 0x7c01
	s_mov_b32 s23, exec_lo
	v_cmpx_ne_u32_e32 0x7f, v48
	s_cbranch_execz .LBB321_753
; %bb.750:                              ;   in Loop: Header=BB321_11 Depth=1
	v_and_b32_e32 v6, 7, v31
	v_lshrrev_b32_e32 v7, 3, v48
	s_mov_b32 s24, exec_lo
	v_cmpx_gt_u32_e32 8, v48
; %bb.751:                              ;   in Loop: Header=BB321_11 Depth=1
	v_ffbh_u32_e32 v6, v6
	v_min_u32_e32 v48, 32, v6
	v_subrev_nc_u32_e32 v6, 28, v48
	v_lshlrev_b64 v[6:7], v6, v[8:9]
	v_sub_nc_u32_e32 v7, 29, v48
	v_and_b32_e32 v6, 7, v6
; %bb.752:                              ;   in Loop: Header=BB321_11 Depth=1
	s_or_b32 exec_lo, exec_lo, s24
	v_lshlrev_b32_e32 v48, 8, v31
	v_lshl_add_u32 v7, v7, 10, 0x2000
	v_lshlrev_b32_e32 v6, 7, v6
	v_and_b32_e32 v48, 0x8000, v48
	v_and_b32_e32 v7, 0xfc00, v7
	v_or3_b32 v106, v48, v7, v6
.LBB321_753:                            ;   in Loop: Header=BB321_11 Depth=1
	s_or_b32 exec_lo, exec_lo, s23
.LBB321_754:                            ;   in Loop: Header=BB321_11 Depth=1
	s_or_b32 exec_lo, exec_lo, s22
.LBB321_755:                            ;   in Loop: Header=BB321_11 Depth=1
	s_or_b32 exec_lo, exec_lo, s21
	v_lshrrev_b16 v8, 8, v8
	v_mov_b32_e32 v123, 0
	v_mov_b32_e32 v126, 0
	s_mov_b32 s21, exec_lo
	v_cmpx_ne_u16_e32 0, v8
	s_cbranch_execz .LBB321_763
; %bb.756:                              ;   in Loop: Header=BB321_11 Depth=1
	v_bfrev_b32_e32 v126, 1
	s_mov_b32 s22, exec_lo
	v_cmpx_ne_u16_e32 0x80, v8
	s_cbranch_execz .LBB321_762
; %bb.757:                              ;   in Loop: Header=BB321_11 Depth=1
	v_mov_b32_e32 v6, 0x7f
	v_mov_b32_e32 v126, 0x7c010000
	s_mov_b32 s23, exec_lo
	v_and_b32_sdwa v48, v8, v6 dst_sel:DWORD dst_unused:UNUSED_PAD src0_sel:WORD_0 src1_sel:DWORD
	v_cmpx_ne_u32_e32 0x7f, v48
	s_cbranch_execz .LBB321_761
; %bb.758:                              ;   in Loop: Header=BB321_11 Depth=1
	v_mov_b32_e32 v6, 7
	v_lshrrev_b32_e32 v7, 3, v48
	s_mov_b32 s24, exec_lo
	v_and_b32_sdwa v6, v8, v6 dst_sel:DWORD dst_unused:UNUSED_PAD src0_sel:WORD_0 src1_sel:DWORD
	v_cmpx_gt_u32_e32 8, v48
; %bb.759:                              ;   in Loop: Header=BB321_11 Depth=1
	v_ffbh_u32_e32 v6, v6
	v_min_u32_e32 v48, 32, v6
	v_subrev_nc_u32_e32 v6, 28, v48
	v_lshlrev_b64 v[6:7], v6, v[8:9]
	v_sub_nc_u32_e32 v7, 29, v48
	v_and_b32_e32 v6, 7, v6
; %bb.760:                              ;   in Loop: Header=BB321_11 Depth=1
	s_or_b32 exec_lo, exec_lo, s24
	v_mov_b32_e32 v48, 8
	v_lshl_add_u32 v7, v7, 10, 0x2000
	v_lshlrev_b32_e32 v6, 23, v6
	v_lshlrev_b32_sdwa v8, v48, v8 dst_sel:DWORD dst_unused:UNUSED_PAD src0_sel:DWORD src1_sel:WORD_0
	v_and_or_b32 v7, 0x8000, v8, v7
	v_lshl_or_b32 v126, v7, 16, v6
.LBB321_761:                            ;   in Loop: Header=BB321_11 Depth=1
	s_or_b32 exec_lo, exec_lo, s23
.LBB321_762:                            ;   in Loop: Header=BB321_11 Depth=1
	s_or_b32 exec_lo, exec_lo, s22
.LBB321_763:                            ;   in Loop: Header=BB321_11 Depth=1
	s_or_b32 exec_lo, exec_lo, s21
	v_lshrrev_b32_e32 v8, 16, v31
	v_cmp_ne_u16_sdwa s5, v8, v9 src0_sel:BYTE_0 src1_sel:DWORD
	s_and_saveexec_b32 s21, s5
	s_cbranch_execz .LBB321_771
; %bb.764:                              ;   in Loop: Header=BB321_11 Depth=1
	v_cmp_ne_u16_sdwa s5, v8, v51 src0_sel:BYTE_0 src1_sel:DWORD
	v_mov_b32_e32 v123, 0x8000
	s_and_saveexec_b32 s22, s5
	s_cbranch_execz .LBB321_770
; %bb.765:                              ;   in Loop: Header=BB321_11 Depth=1
	v_bfe_u32 v48, v31, 16, 7
	v_mov_b32_e32 v123, 0x7c01
	s_mov_b32 s23, exec_lo
	v_cmpx_ne_u32_e32 0x7f, v48
	s_cbranch_execz .LBB321_769
; %bb.766:                              ;   in Loop: Header=BB321_11 Depth=1
	v_and_b32_e32 v6, 7, v8
	v_lshrrev_b32_e32 v7, 3, v48
	s_mov_b32 s24, exec_lo
	v_cmpx_gt_u32_e32 8, v48
; %bb.767:                              ;   in Loop: Header=BB321_11 Depth=1
	v_ffbh_u32_e32 v6, v6
	v_min_u32_e32 v48, 32, v6
	v_subrev_nc_u32_e32 v6, 28, v48
	v_lshlrev_b64 v[6:7], v6, v[8:9]
	v_sub_nc_u32_e32 v7, 29, v48
	v_and_b32_e32 v6, 7, v6
; %bb.768:                              ;   in Loop: Header=BB321_11 Depth=1
	s_or_b32 exec_lo, exec_lo, s24
	v_lshlrev_b32_e32 v8, 8, v8
	v_lshl_add_u32 v7, v7, 10, 0x2000
	v_lshlrev_b32_e32 v6, 7, v6
	v_and_b32_e32 v8, 0x8000, v8
	v_and_b32_e32 v7, 0xfc00, v7
	v_or3_b32 v123, v8, v7, v6
.LBB321_769:                            ;   in Loop: Header=BB321_11 Depth=1
	s_or_b32 exec_lo, exec_lo, s23
.LBB321_770:                            ;   in Loop: Header=BB321_11 Depth=1
	s_or_b32 exec_lo, exec_lo, s22
.LBB321_771:                            ;   in Loop: Header=BB321_11 Depth=1
	s_or_b32 exec_lo, exec_lo, s21
	v_mov_b32_e32 v63, 0
	v_mov_b32_e32 v127, 0
	s_mov_b32 s21, exec_lo
	v_cmpx_lt_u64_e64 s[6:7], v[30:31]
	s_cbranch_execz .LBB321_779
; %bb.772:                              ;   in Loop: Header=BB321_11 Depth=1
	v_lshrrev_b32_e32 v8, 24, v31
	v_bfrev_b32_e32 v127, 1
	s_mov_b32 s22, exec_lo
	v_cmpx_ne_u32_e32 0x80, v8
	s_cbranch_execz .LBB321_778
; %bb.773:                              ;   in Loop: Header=BB321_11 Depth=1
	v_and_b32_e32 v30, 0x7f, v8
	v_mov_b32_e32 v127, 0x7c010000
	s_mov_b32 s23, exec_lo
	v_cmpx_ne_u32_e32 0x7f, v30
	s_cbranch_execz .LBB321_777
; %bb.774:                              ;   in Loop: Header=BB321_11 Depth=1
	v_and_b32_e32 v6, 7, v8
	v_lshrrev_b32_e32 v7, 3, v30
	s_mov_b32 s24, exec_lo
	v_cmpx_gt_u32_e32 8, v30
; %bb.775:                              ;   in Loop: Header=BB321_11 Depth=1
	v_ffbh_u32_e32 v6, v6
	v_min_u32_e32 v30, 32, v6
	v_subrev_nc_u32_e32 v6, 28, v30
	v_lshlrev_b64 v[6:7], v6, v[8:9]
	v_sub_nc_u32_e32 v7, 29, v30
	v_and_b32_e32 v6, 7, v6
; %bb.776:                              ;   in Loop: Header=BB321_11 Depth=1
	s_or_b32 exec_lo, exec_lo, s24
	v_lshlrev_b32_e32 v8, 8, v8
	v_lshl_add_u32 v7, v7, 10, 0x2000
	v_lshlrev_b32_e32 v6, 23, v6
	v_and_or_b32 v7, 0x8000, v8, v7
	v_lshl_or_b32 v127, v7, 16, v6
.LBB321_777:                            ;   in Loop: Header=BB321_11 Depth=1
	s_or_b32 exec_lo, exec_lo, s23
.LBB321_778:                            ;   in Loop: Header=BB321_11 Depth=1
	s_or_b32 exec_lo, exec_lo, s22
.LBB321_779:                            ;   in Loop: Header=BB321_11 Depth=1
	s_or_b32 exec_lo, exec_lo, s21
	flat_load_dwordx2 v[30:31], v[28:29] offset:1024
	s_waitcnt vmcnt(0) lgkmcnt(0)
	v_cmp_ne_u16_sdwa s5, v30, v9 src0_sel:BYTE_0 src1_sel:DWORD
	s_and_saveexec_b32 s21, s5
	s_cbranch_execz .LBB321_787
; %bb.780:                              ;   in Loop: Header=BB321_11 Depth=1
	v_cmp_ne_u16_sdwa s5, v30, v51 src0_sel:BYTE_0 src1_sel:DWORD
	v_mov_b32_e32 v63, 0x8000
	s_and_saveexec_b32 s22, s5
	s_cbranch_execz .LBB321_786
; %bb.781:                              ;   in Loop: Header=BB321_11 Depth=1
	v_and_b32_e32 v8, 0x7f, v30
	v_mov_b32_e32 v63, 0x7c01
	s_mov_b32 s23, exec_lo
	v_cmpx_ne_u32_e32 0x7f, v8
	s_cbranch_execz .LBB321_785
; %bb.782:                              ;   in Loop: Header=BB321_11 Depth=1
	v_and_b32_e32 v6, 7, v30
	v_lshrrev_b32_e32 v7, 3, v8
	s_mov_b32 s24, exec_lo
	v_cmpx_gt_u32_e32 8, v8
; %bb.783:                              ;   in Loop: Header=BB321_11 Depth=1
	v_ffbh_u32_e32 v6, v6
	v_min_u32_e32 v8, 32, v6
	v_subrev_nc_u32_e32 v6, 28, v8
	v_lshlrev_b64 v[6:7], v6, v[30:31]
	v_sub_nc_u32_e32 v7, 29, v8
	v_and_b32_e32 v6, 7, v6
; %bb.784:                              ;   in Loop: Header=BB321_11 Depth=1
	s_or_b32 exec_lo, exec_lo, s24
	v_lshlrev_b32_e32 v8, 8, v30
	v_lshl_add_u32 v7, v7, 10, 0x2000
	v_lshlrev_b32_e32 v6, 7, v6
	v_and_b32_e32 v8, 0x8000, v8
	v_and_b32_e32 v7, 0xfc00, v7
	v_or3_b32 v63, v8, v7, v6
.LBB321_785:                            ;   in Loop: Header=BB321_11 Depth=1
	s_or_b32 exec_lo, exec_lo, s23
.LBB321_786:                            ;   in Loop: Header=BB321_11 Depth=1
	s_or_b32 exec_lo, exec_lo, s22
.LBB321_787:                            ;   in Loop: Header=BB321_11 Depth=1
	s_or_b32 exec_lo, exec_lo, s21
	v_lshrrev_b16 v8, 8, v30
	v_mov_b32_e32 v76, 0
	v_mov_b32_e32 v73, 0
	s_mov_b32 s21, exec_lo
	v_cmpx_ne_u16_e32 0, v8
	s_cbranch_execz .LBB321_795
; %bb.788:                              ;   in Loop: Header=BB321_11 Depth=1
	v_bfrev_b32_e32 v73, 1
	s_mov_b32 s22, exec_lo
	v_cmpx_ne_u16_e32 0x80, v8
	s_cbranch_execz .LBB321_794
; %bb.789:                              ;   in Loop: Header=BB321_11 Depth=1
	v_mov_b32_e32 v6, 0x7f
	v_mov_b32_e32 v73, 0x7c010000
	s_mov_b32 s23, exec_lo
	v_and_b32_sdwa v48, v8, v6 dst_sel:DWORD dst_unused:UNUSED_PAD src0_sel:WORD_0 src1_sel:DWORD
	v_cmpx_ne_u32_e32 0x7f, v48
	s_cbranch_execz .LBB321_793
; %bb.790:                              ;   in Loop: Header=BB321_11 Depth=1
	v_mov_b32_e32 v6, 7
	v_lshrrev_b32_e32 v7, 3, v48
	s_mov_b32 s24, exec_lo
	v_and_b32_sdwa v6, v8, v6 dst_sel:DWORD dst_unused:UNUSED_PAD src0_sel:WORD_0 src1_sel:DWORD
	v_cmpx_gt_u32_e32 8, v48
; %bb.791:                              ;   in Loop: Header=BB321_11 Depth=1
	v_ffbh_u32_e32 v6, v6
	v_min_u32_e32 v48, 32, v6
	v_subrev_nc_u32_e32 v6, 28, v48
	v_lshlrev_b64 v[6:7], v6, v[8:9]
	v_sub_nc_u32_e32 v7, 29, v48
	v_and_b32_e32 v6, 7, v6
; %bb.792:                              ;   in Loop: Header=BB321_11 Depth=1
	s_or_b32 exec_lo, exec_lo, s24
	v_mov_b32_e32 v48, 8
	v_lshl_add_u32 v7, v7, 10, 0x2000
	v_lshlrev_b32_e32 v6, 23, v6
	v_lshlrev_b32_sdwa v8, v48, v8 dst_sel:DWORD dst_unused:UNUSED_PAD src0_sel:DWORD src1_sel:WORD_0
	v_and_or_b32 v7, 0x8000, v8, v7
	v_lshl_or_b32 v73, v7, 16, v6
.LBB321_793:                            ;   in Loop: Header=BB321_11 Depth=1
	s_or_b32 exec_lo, exec_lo, s23
.LBB321_794:                            ;   in Loop: Header=BB321_11 Depth=1
	s_or_b32 exec_lo, exec_lo, s22
.LBB321_795:                            ;   in Loop: Header=BB321_11 Depth=1
	s_or_b32 exec_lo, exec_lo, s21
	v_lshrrev_b32_e32 v8, 16, v30
	v_cmp_ne_u16_sdwa s5, v8, v9 src0_sel:BYTE_0 src1_sel:DWORD
	s_and_saveexec_b32 s21, s5
	s_cbranch_execz .LBB321_803
; %bb.796:                              ;   in Loop: Header=BB321_11 Depth=1
	v_cmp_ne_u16_sdwa s5, v8, v51 src0_sel:BYTE_0 src1_sel:DWORD
	v_mov_b32_e32 v76, 0x8000
	s_and_saveexec_b32 s22, s5
	s_cbranch_execz .LBB321_802
; %bb.797:                              ;   in Loop: Header=BB321_11 Depth=1
	v_bfe_u32 v48, v30, 16, 7
	v_mov_b32_e32 v76, 0x7c01
	s_mov_b32 s23, exec_lo
	v_cmpx_ne_u32_e32 0x7f, v48
	s_cbranch_execz .LBB321_801
; %bb.798:                              ;   in Loop: Header=BB321_11 Depth=1
	v_and_b32_e32 v6, 7, v8
	v_lshrrev_b32_e32 v7, 3, v48
	s_mov_b32 s24, exec_lo
	v_cmpx_gt_u32_e32 8, v48
; %bb.799:                              ;   in Loop: Header=BB321_11 Depth=1
	v_ffbh_u32_e32 v6, v6
	v_min_u32_e32 v48, 32, v6
	v_subrev_nc_u32_e32 v6, 28, v48
	v_lshlrev_b64 v[6:7], v6, v[8:9]
	v_sub_nc_u32_e32 v7, 29, v48
	v_and_b32_e32 v6, 7, v6
; %bb.800:                              ;   in Loop: Header=BB321_11 Depth=1
	s_or_b32 exec_lo, exec_lo, s24
	v_lshlrev_b32_e32 v8, 8, v8
	v_lshl_add_u32 v7, v7, 10, 0x2000
	v_lshlrev_b32_e32 v6, 7, v6
	v_and_b32_e32 v8, 0x8000, v8
	v_and_b32_e32 v7, 0xfc00, v7
	v_or3_b32 v76, v8, v7, v6
.LBB321_801:                            ;   in Loop: Header=BB321_11 Depth=1
	s_or_b32 exec_lo, exec_lo, s23
.LBB321_802:                            ;   in Loop: Header=BB321_11 Depth=1
	s_or_b32 exec_lo, exec_lo, s22
.LBB321_803:                            ;   in Loop: Header=BB321_11 Depth=1
	s_or_b32 exec_lo, exec_lo, s21
	v_mov_b32_e32 v77, 0
	v_mov_b32_e32 v78, 0
	s_mov_b32 s21, exec_lo
	v_cmpx_lt_u32_e32 0xffffff, v30
	s_cbranch_execz .LBB321_811
; %bb.804:                              ;   in Loop: Header=BB321_11 Depth=1
	v_lshrrev_b32_e32 v8, 24, v30
	v_bfrev_b32_e32 v78, 1
	s_mov_b32 s22, exec_lo
	v_cmpx_ne_u32_e32 0x80, v8
	s_cbranch_execz .LBB321_810
; %bb.805:                              ;   in Loop: Header=BB321_11 Depth=1
	v_and_b32_e32 v48, 0x7f, v8
	v_mov_b32_e32 v78, 0x7c010000
	s_mov_b32 s23, exec_lo
	v_cmpx_ne_u32_e32 0x7f, v48
	s_cbranch_execz .LBB321_809
; %bb.806:                              ;   in Loop: Header=BB321_11 Depth=1
	v_and_b32_e32 v6, 7, v8
	v_lshrrev_b32_e32 v7, 3, v48
	s_mov_b32 s24, exec_lo
	v_cmpx_gt_u32_e32 8, v48
; %bb.807:                              ;   in Loop: Header=BB321_11 Depth=1
	v_ffbh_u32_e32 v6, v6
	v_min_u32_e32 v48, 32, v6
	v_subrev_nc_u32_e32 v6, 28, v48
	v_lshlrev_b64 v[6:7], v6, v[8:9]
	v_sub_nc_u32_e32 v7, 29, v48
	v_and_b32_e32 v6, 7, v6
; %bb.808:                              ;   in Loop: Header=BB321_11 Depth=1
	s_or_b32 exec_lo, exec_lo, s24
	v_lshlrev_b32_e32 v8, 8, v8
	v_lshl_add_u32 v7, v7, 10, 0x2000
	v_lshlrev_b32_e32 v6, 23, v6
	v_and_or_b32 v7, 0x8000, v8, v7
	v_lshl_or_b32 v78, v7, 16, v6
.LBB321_809:                            ;   in Loop: Header=BB321_11 Depth=1
	s_or_b32 exec_lo, exec_lo, s23
.LBB321_810:                            ;   in Loop: Header=BB321_11 Depth=1
	s_or_b32 exec_lo, exec_lo, s22
.LBB321_811:                            ;   in Loop: Header=BB321_11 Depth=1
	s_or_b32 exec_lo, exec_lo, s21
	v_mov_b32_e32 v8, v31
	v_cmp_ne_u16_sdwa s5, v31, v9 src0_sel:BYTE_0 src1_sel:DWORD
	s_and_saveexec_b32 s21, s5
	s_cbranch_execz .LBB321_819
; %bb.812:                              ;   in Loop: Header=BB321_11 Depth=1
	v_cmp_ne_u16_sdwa s5, v31, v51 src0_sel:BYTE_0 src1_sel:DWORD
	v_mov_b32_e32 v77, 0x8000
	s_and_saveexec_b32 s22, s5
	s_cbranch_execz .LBB321_818
; %bb.813:                              ;   in Loop: Header=BB321_11 Depth=1
	v_and_b32_e32 v48, 0x7f, v31
	v_mov_b32_e32 v77, 0x7c01
	s_mov_b32 s23, exec_lo
	v_cmpx_ne_u32_e32 0x7f, v48
	s_cbranch_execz .LBB321_817
; %bb.814:                              ;   in Loop: Header=BB321_11 Depth=1
	v_and_b32_e32 v6, 7, v31
	v_lshrrev_b32_e32 v7, 3, v48
	s_mov_b32 s24, exec_lo
	v_cmpx_gt_u32_e32 8, v48
; %bb.815:                              ;   in Loop: Header=BB321_11 Depth=1
	v_ffbh_u32_e32 v6, v6
	v_min_u32_e32 v48, 32, v6
	v_subrev_nc_u32_e32 v6, 28, v48
	v_lshlrev_b64 v[6:7], v6, v[8:9]
	v_sub_nc_u32_e32 v7, 29, v48
	v_and_b32_e32 v6, 7, v6
; %bb.816:                              ;   in Loop: Header=BB321_11 Depth=1
	s_or_b32 exec_lo, exec_lo, s24
	v_lshlrev_b32_e32 v48, 8, v31
	v_lshl_add_u32 v7, v7, 10, 0x2000
	v_lshlrev_b32_e32 v6, 7, v6
	v_and_b32_e32 v48, 0x8000, v48
	v_and_b32_e32 v7, 0xfc00, v7
	v_or3_b32 v77, v48, v7, v6
.LBB321_817:                            ;   in Loop: Header=BB321_11 Depth=1
	s_or_b32 exec_lo, exec_lo, s23
.LBB321_818:                            ;   in Loop: Header=BB321_11 Depth=1
	s_or_b32 exec_lo, exec_lo, s22
.LBB321_819:                            ;   in Loop: Header=BB321_11 Depth=1
	s_or_b32 exec_lo, exec_lo, s21
	v_lshrrev_b16 v8, 8, v8
	v_mov_b32_e32 v110, 0
	v_mov_b32_e32 v111, 0
	s_mov_b32 s21, exec_lo
	v_cmpx_ne_u16_e32 0, v8
	s_cbranch_execz .LBB321_827
; %bb.820:                              ;   in Loop: Header=BB321_11 Depth=1
	v_bfrev_b32_e32 v111, 1
	s_mov_b32 s22, exec_lo
	v_cmpx_ne_u16_e32 0x80, v8
	s_cbranch_execz .LBB321_826
; %bb.821:                              ;   in Loop: Header=BB321_11 Depth=1
	v_mov_b32_e32 v6, 0x7f
	v_mov_b32_e32 v111, 0x7c010000
	s_mov_b32 s23, exec_lo
	v_and_b32_sdwa v48, v8, v6 dst_sel:DWORD dst_unused:UNUSED_PAD src0_sel:WORD_0 src1_sel:DWORD
	v_cmpx_ne_u32_e32 0x7f, v48
	s_cbranch_execz .LBB321_825
; %bb.822:                              ;   in Loop: Header=BB321_11 Depth=1
	v_mov_b32_e32 v6, 7
	v_lshrrev_b32_e32 v7, 3, v48
	s_mov_b32 s24, exec_lo
	v_and_b32_sdwa v6, v8, v6 dst_sel:DWORD dst_unused:UNUSED_PAD src0_sel:WORD_0 src1_sel:DWORD
	v_cmpx_gt_u32_e32 8, v48
; %bb.823:                              ;   in Loop: Header=BB321_11 Depth=1
	v_ffbh_u32_e32 v6, v6
	v_min_u32_e32 v48, 32, v6
	v_subrev_nc_u32_e32 v6, 28, v48
	v_lshlrev_b64 v[6:7], v6, v[8:9]
	v_sub_nc_u32_e32 v7, 29, v48
	v_and_b32_e32 v6, 7, v6
; %bb.824:                              ;   in Loop: Header=BB321_11 Depth=1
	s_or_b32 exec_lo, exec_lo, s24
	v_mov_b32_e32 v48, 8
	v_lshl_add_u32 v7, v7, 10, 0x2000
	v_lshlrev_b32_e32 v6, 23, v6
	v_lshlrev_b32_sdwa v8, v48, v8 dst_sel:DWORD dst_unused:UNUSED_PAD src0_sel:DWORD src1_sel:WORD_0
	v_and_or_b32 v7, 0x8000, v8, v7
	v_lshl_or_b32 v111, v7, 16, v6
.LBB321_825:                            ;   in Loop: Header=BB321_11 Depth=1
	s_or_b32 exec_lo, exec_lo, s23
.LBB321_826:                            ;   in Loop: Header=BB321_11 Depth=1
	s_or_b32 exec_lo, exec_lo, s22
.LBB321_827:                            ;   in Loop: Header=BB321_11 Depth=1
	s_or_b32 exec_lo, exec_lo, s21
	v_lshrrev_b32_e32 v8, 16, v31
	v_cmp_ne_u16_sdwa s5, v8, v9 src0_sel:BYTE_0 src1_sel:DWORD
	s_and_saveexec_b32 s21, s5
	s_cbranch_execz .LBB321_835
; %bb.828:                              ;   in Loop: Header=BB321_11 Depth=1
	v_cmp_ne_u16_sdwa s5, v8, v51 src0_sel:BYTE_0 src1_sel:DWORD
	v_mov_b32_e32 v110, 0x8000
	s_and_saveexec_b32 s22, s5
	s_cbranch_execz .LBB321_834
; %bb.829:                              ;   in Loop: Header=BB321_11 Depth=1
	v_bfe_u32 v48, v31, 16, 7
	v_mov_b32_e32 v110, 0x7c01
	s_mov_b32 s23, exec_lo
	v_cmpx_ne_u32_e32 0x7f, v48
	s_cbranch_execz .LBB321_833
; %bb.830:                              ;   in Loop: Header=BB321_11 Depth=1
	v_and_b32_e32 v6, 7, v8
	v_lshrrev_b32_e32 v7, 3, v48
	s_mov_b32 s24, exec_lo
	v_cmpx_gt_u32_e32 8, v48
; %bb.831:                              ;   in Loop: Header=BB321_11 Depth=1
	v_ffbh_u32_e32 v6, v6
	v_min_u32_e32 v48, 32, v6
	v_subrev_nc_u32_e32 v6, 28, v48
	v_lshlrev_b64 v[6:7], v6, v[8:9]
	v_sub_nc_u32_e32 v7, 29, v48
	v_and_b32_e32 v6, 7, v6
; %bb.832:                              ;   in Loop: Header=BB321_11 Depth=1
	s_or_b32 exec_lo, exec_lo, s24
	v_lshlrev_b32_e32 v8, 8, v8
	v_lshl_add_u32 v7, v7, 10, 0x2000
	v_lshlrev_b32_e32 v6, 7, v6
	v_and_b32_e32 v8, 0x8000, v8
	v_and_b32_e32 v7, 0xfc00, v7
	v_or3_b32 v110, v8, v7, v6
.LBB321_833:                            ;   in Loop: Header=BB321_11 Depth=1
	s_or_b32 exec_lo, exec_lo, s23
.LBB321_834:                            ;   in Loop: Header=BB321_11 Depth=1
	s_or_b32 exec_lo, exec_lo, s22
.LBB321_835:                            ;   in Loop: Header=BB321_11 Depth=1
	s_or_b32 exec_lo, exec_lo, s21
	v_cmp_lt_u64_e64 s5, s[6:7], v[30:31]
	v_mov_b32_e32 v30, 0
	v_mov_b32_e32 v120, 0
	s_and_saveexec_b32 s21, s5
	s_cbranch_execz .LBB321_843
; %bb.836:                              ;   in Loop: Header=BB321_11 Depth=1
	v_lshrrev_b32_e32 v8, 24, v31
	v_bfrev_b32_e32 v120, 1
	s_mov_b32 s22, exec_lo
	v_cmpx_ne_u32_e32 0x80, v8
	s_cbranch_execz .LBB321_842
; %bb.837:                              ;   in Loop: Header=BB321_11 Depth=1
	v_and_b32_e32 v31, 0x7f, v8
	v_mov_b32_e32 v120, 0x7c010000
	s_mov_b32 s23, exec_lo
	v_cmpx_ne_u32_e32 0x7f, v31
	s_cbranch_execz .LBB321_841
; %bb.838:                              ;   in Loop: Header=BB321_11 Depth=1
	v_and_b32_e32 v6, 7, v8
	v_lshrrev_b32_e32 v7, 3, v31
	s_mov_b32 s24, exec_lo
	v_cmpx_gt_u32_e32 8, v31
; %bb.839:                              ;   in Loop: Header=BB321_11 Depth=1
	v_ffbh_u32_e32 v6, v6
	v_min_u32_e32 v31, 32, v6
	v_subrev_nc_u32_e32 v6, 28, v31
	v_lshlrev_b64 v[6:7], v6, v[8:9]
	v_sub_nc_u32_e32 v7, 29, v31
	v_and_b32_e32 v6, 7, v6
; %bb.840:                              ;   in Loop: Header=BB321_11 Depth=1
	s_or_b32 exec_lo, exec_lo, s24
	v_lshlrev_b32_e32 v8, 8, v8
	v_lshl_add_u32 v7, v7, 10, 0x2000
	v_lshlrev_b32_e32 v6, 23, v6
	v_and_or_b32 v7, 0x8000, v8, v7
	v_lshl_or_b32 v120, v7, 16, v6
.LBB321_841:                            ;   in Loop: Header=BB321_11 Depth=1
	s_or_b32 exec_lo, exec_lo, s23
.LBB321_842:                            ;   in Loop: Header=BB321_11 Depth=1
	s_or_b32 exec_lo, exec_lo, s22
.LBB321_843:                            ;   in Loop: Header=BB321_11 Depth=1
	s_or_b32 exec_lo, exec_lo, s21
	flat_load_dwordx2 v[28:29], v[28:29] offset:1032
	s_waitcnt vmcnt(0) lgkmcnt(0)
	v_cmp_ne_u16_sdwa s5, v28, v9 src0_sel:BYTE_0 src1_sel:DWORD
	s_and_saveexec_b32 s21, s5
	s_cbranch_execz .LBB321_851
; %bb.844:                              ;   in Loop: Header=BB321_11 Depth=1
	v_cmp_ne_u16_sdwa s5, v28, v51 src0_sel:BYTE_0 src1_sel:DWORD
	v_mov_b32_e32 v30, 0x8000
	s_and_saveexec_b32 s22, s5
	s_cbranch_execz .LBB321_850
; %bb.845:                              ;   in Loop: Header=BB321_11 Depth=1
	v_and_b32_e32 v8, 0x7f, v28
	v_mov_b32_e32 v30, 0x7c01
	s_mov_b32 s23, exec_lo
	v_cmpx_ne_u32_e32 0x7f, v8
	s_cbranch_execz .LBB321_849
; %bb.846:                              ;   in Loop: Header=BB321_11 Depth=1
	v_and_b32_e32 v6, 7, v28
	v_lshrrev_b32_e32 v7, 3, v8
	s_mov_b32 s24, exec_lo
	v_cmpx_gt_u32_e32 8, v8
; %bb.847:                              ;   in Loop: Header=BB321_11 Depth=1
	v_ffbh_u32_e32 v6, v6
	v_min_u32_e32 v8, 32, v6
	v_subrev_nc_u32_e32 v6, 28, v8
	v_lshlrev_b64 v[6:7], v6, v[28:29]
	v_sub_nc_u32_e32 v7, 29, v8
	v_and_b32_e32 v6, 7, v6
; %bb.848:                              ;   in Loop: Header=BB321_11 Depth=1
	s_or_b32 exec_lo, exec_lo, s24
	v_lshlrev_b32_e32 v8, 8, v28
	v_lshl_add_u32 v7, v7, 10, 0x2000
	v_lshlrev_b32_e32 v6, 7, v6
	v_and_b32_e32 v8, 0x8000, v8
	v_and_b32_e32 v7, 0xfc00, v7
	v_or3_b32 v30, v8, v7, v6
.LBB321_849:                            ;   in Loop: Header=BB321_11 Depth=1
	s_or_b32 exec_lo, exec_lo, s23
.LBB321_850:                            ;   in Loop: Header=BB321_11 Depth=1
	s_or_b32 exec_lo, exec_lo, s22
.LBB321_851:                            ;   in Loop: Header=BB321_11 Depth=1
	s_or_b32 exec_lo, exec_lo, s21
	v_lshrrev_b16 v8, 8, v28
	v_mov_b32_e32 v65, 0
	v_mov_b32_e32 v31, 0
	s_mov_b32 s21, exec_lo
	v_cmpx_ne_u16_e32 0, v8
	s_cbranch_execz .LBB321_859
; %bb.852:                              ;   in Loop: Header=BB321_11 Depth=1
	v_bfrev_b32_e32 v31, 1
	s_mov_b32 s22, exec_lo
	v_cmpx_ne_u16_e32 0x80, v8
	s_cbranch_execz .LBB321_858
; %bb.853:                              ;   in Loop: Header=BB321_11 Depth=1
	v_mov_b32_e32 v6, 0x7f
	v_mov_b32_e32 v31, 0x7c010000
	s_mov_b32 s23, exec_lo
	v_and_b32_sdwa v48, v8, v6 dst_sel:DWORD dst_unused:UNUSED_PAD src0_sel:WORD_0 src1_sel:DWORD
	v_cmpx_ne_u32_e32 0x7f, v48
	s_cbranch_execz .LBB321_857
; %bb.854:                              ;   in Loop: Header=BB321_11 Depth=1
	v_mov_b32_e32 v6, 7
	v_lshrrev_b32_e32 v7, 3, v48
	s_mov_b32 s24, exec_lo
	v_and_b32_sdwa v6, v8, v6 dst_sel:DWORD dst_unused:UNUSED_PAD src0_sel:WORD_0 src1_sel:DWORD
	v_cmpx_gt_u32_e32 8, v48
; %bb.855:                              ;   in Loop: Header=BB321_11 Depth=1
	v_ffbh_u32_e32 v6, v6
	v_min_u32_e32 v31, 32, v6
	v_subrev_nc_u32_e32 v6, 28, v31
	v_lshlrev_b64 v[6:7], v6, v[8:9]
	v_sub_nc_u32_e32 v7, 29, v31
	v_and_b32_e32 v6, 7, v6
; %bb.856:                              ;   in Loop: Header=BB321_11 Depth=1
	s_or_b32 exec_lo, exec_lo, s24
	v_mov_b32_e32 v31, 8
	v_lshl_add_u32 v7, v7, 10, 0x2000
	v_lshlrev_b32_e32 v6, 23, v6
	v_lshlrev_b32_sdwa v8, v31, v8 dst_sel:DWORD dst_unused:UNUSED_PAD src0_sel:DWORD src1_sel:WORD_0
	v_and_or_b32 v7, 0x8000, v8, v7
	v_lshl_or_b32 v31, v7, 16, v6
.LBB321_857:                            ;   in Loop: Header=BB321_11 Depth=1
	s_or_b32 exec_lo, exec_lo, s23
.LBB321_858:                            ;   in Loop: Header=BB321_11 Depth=1
	s_or_b32 exec_lo, exec_lo, s22
.LBB321_859:                            ;   in Loop: Header=BB321_11 Depth=1
	s_or_b32 exec_lo, exec_lo, s21
	v_lshrrev_b32_e32 v8, 16, v28
	v_cmp_ne_u16_sdwa s5, v8, v9 src0_sel:BYTE_0 src1_sel:DWORD
	s_and_saveexec_b32 s21, s5
	s_cbranch_execz .LBB321_867
; %bb.860:                              ;   in Loop: Header=BB321_11 Depth=1
	v_cmp_ne_u16_sdwa s5, v8, v51 src0_sel:BYTE_0 src1_sel:DWORD
	v_mov_b32_e32 v65, 0x8000
	s_and_saveexec_b32 s22, s5
	s_cbranch_execz .LBB321_866
; %bb.861:                              ;   in Loop: Header=BB321_11 Depth=1
	v_bfe_u32 v48, v28, 16, 7
	v_mov_b32_e32 v65, 0x7c01
	s_mov_b32 s23, exec_lo
	v_cmpx_ne_u32_e32 0x7f, v48
	s_cbranch_execz .LBB321_865
; %bb.862:                              ;   in Loop: Header=BB321_11 Depth=1
	v_and_b32_e32 v6, 7, v8
	v_lshrrev_b32_e32 v7, 3, v48
	s_mov_b32 s24, exec_lo
	v_cmpx_gt_u32_e32 8, v48
; %bb.863:                              ;   in Loop: Header=BB321_11 Depth=1
	v_ffbh_u32_e32 v6, v6
	v_min_u32_e32 v48, 32, v6
	v_subrev_nc_u32_e32 v6, 28, v48
	v_lshlrev_b64 v[6:7], v6, v[8:9]
	v_sub_nc_u32_e32 v7, 29, v48
	v_and_b32_e32 v6, 7, v6
; %bb.864:                              ;   in Loop: Header=BB321_11 Depth=1
	s_or_b32 exec_lo, exec_lo, s24
	v_lshlrev_b32_e32 v8, 8, v8
	v_lshl_add_u32 v7, v7, 10, 0x2000
	v_lshlrev_b32_e32 v6, 7, v6
	v_and_b32_e32 v8, 0x8000, v8
	v_and_b32_e32 v7, 0xfc00, v7
	v_or3_b32 v65, v8, v7, v6
.LBB321_865:                            ;   in Loop: Header=BB321_11 Depth=1
	s_or_b32 exec_lo, exec_lo, s23
.LBB321_866:                            ;   in Loop: Header=BB321_11 Depth=1
	s_or_b32 exec_lo, exec_lo, s22
.LBB321_867:                            ;   in Loop: Header=BB321_11 Depth=1
	s_or_b32 exec_lo, exec_lo, s21
	v_mov_b32_e32 v6, 0
	v_mov_b32_e32 v7, 0
	s_mov_b32 s21, exec_lo
	v_cmpx_lt_u32_e32 0xffffff, v28
	s_cbranch_execz .LBB321_875
; %bb.868:                              ;   in Loop: Header=BB321_11 Depth=1
	v_lshrrev_b32_e32 v8, 24, v28
	v_bfrev_b32_e32 v7, 1
	s_mov_b32 s22, exec_lo
	v_cmpx_ne_u32_e32 0x80, v8
	s_cbranch_execz .LBB321_874
; %bb.869:                              ;   in Loop: Header=BB321_11 Depth=1
	v_and_b32_e32 v55, 0x7f, v8
	v_mov_b32_e32 v7, 0x7c010000
	s_mov_b32 s23, exec_lo
	v_cmpx_ne_u32_e32 0x7f, v55
	s_cbranch_execz .LBB321_873
; %bb.870:                              ;   in Loop: Header=BB321_11 Depth=1
	v_and_b32_e32 v7, 7, v8
	v_lshrrev_b32_e32 v48, 3, v55
	s_mov_b32 s24, exec_lo
	v_cmpx_gt_u32_e32 8, v55
; %bb.871:                              ;   in Loop: Header=BB321_11 Depth=1
	v_ffbh_u32_e32 v7, v7
	v_min_u32_e32 v7, 32, v7
	v_subrev_nc_u32_e32 v48, 28, v7
	v_lshlrev_b64 v[66:67], v48, v[8:9]
	v_sub_nc_u32_e32 v48, 29, v7
	v_and_b32_e32 v7, 7, v66
; %bb.872:                              ;   in Loop: Header=BB321_11 Depth=1
	s_or_b32 exec_lo, exec_lo, s24
	v_lshlrev_b32_e32 v8, 8, v8
	v_lshl_add_u32 v48, v48, 10, 0x2000
	v_lshlrev_b32_e32 v7, 23, v7
	v_and_or_b32 v8, 0x8000, v8, v48
	v_lshl_or_b32 v7, v8, 16, v7
.LBB321_873:                            ;   in Loop: Header=BB321_11 Depth=1
	s_or_b32 exec_lo, exec_lo, s23
.LBB321_874:                            ;   in Loop: Header=BB321_11 Depth=1
	s_or_b32 exec_lo, exec_lo, s22
.LBB321_875:                            ;   in Loop: Header=BB321_11 Depth=1
	s_or_b32 exec_lo, exec_lo, s21
	v_mov_b32_e32 v8, v29
	v_cmp_ne_u16_sdwa s5, v29, v9 src0_sel:BYTE_0 src1_sel:DWORD
	s_and_saveexec_b32 s21, s5
	s_cbranch_execz .LBB321_883
; %bb.876:                              ;   in Loop: Header=BB321_11 Depth=1
	v_cmp_ne_u16_sdwa s5, v29, v51 src0_sel:BYTE_0 src1_sel:DWORD
	v_mov_b32_e32 v6, 0x8000
	s_and_saveexec_b32 s22, s5
	s_cbranch_execz .LBB321_882
; %bb.877:                              ;   in Loop: Header=BB321_11 Depth=1
	v_and_b32_e32 v55, 0x7f, v29
	v_mov_b32_e32 v6, 0x7c01
	s_mov_b32 s23, exec_lo
	v_cmpx_ne_u32_e32 0x7f, v55
	s_cbranch_execz .LBB321_881
; %bb.878:                              ;   in Loop: Header=BB321_11 Depth=1
	v_and_b32_e32 v6, 7, v29
	v_lshrrev_b32_e32 v48, 3, v55
	s_mov_b32 s24, exec_lo
	v_cmpx_gt_u32_e32 8, v55
; %bb.879:                              ;   in Loop: Header=BB321_11 Depth=1
	v_ffbh_u32_e32 v6, v6
	v_min_u32_e32 v6, 32, v6
	v_subrev_nc_u32_e32 v48, 28, v6
	v_lshlrev_b64 v[66:67], v48, v[8:9]
	v_sub_nc_u32_e32 v48, 29, v6
	v_and_b32_e32 v6, 7, v66
; %bb.880:                              ;   in Loop: Header=BB321_11 Depth=1
	s_or_b32 exec_lo, exec_lo, s24
	v_lshlrev_b32_e32 v55, 8, v29
	v_lshl_add_u32 v48, v48, 10, 0x2000
	v_lshlrev_b32_e32 v6, 7, v6
	v_and_b32_e32 v55, 0x8000, v55
	v_and_b32_e32 v48, 0xfc00, v48
	v_or3_b32 v6, v55, v48, v6
.LBB321_881:                            ;   in Loop: Header=BB321_11 Depth=1
	s_or_b32 exec_lo, exec_lo, s23
.LBB321_882:                            ;   in Loop: Header=BB321_11 Depth=1
	s_or_b32 exec_lo, exec_lo, s22
.LBB321_883:                            ;   in Loop: Header=BB321_11 Depth=1
	s_or_b32 exec_lo, exec_lo, s21
	v_lshrrev_b16 v8, 8, v8
	v_mov_b32_e32 v67, 0
	v_mov_b32_e32 v68, 0
	s_mov_b32 s21, exec_lo
	v_cmpx_ne_u16_e32 0, v8
	s_cbranch_execz .LBB321_891
; %bb.884:                              ;   in Loop: Header=BB321_11 Depth=1
	v_bfrev_b32_e32 v68, 1
	s_mov_b32 s22, exec_lo
	v_cmpx_ne_u16_e32 0x80, v8
	s_cbranch_execz .LBB321_890
; %bb.885:                              ;   in Loop: Header=BB321_11 Depth=1
	v_mov_b32_e32 v48, 0x7f
	v_mov_b32_e32 v68, 0x7c010000
	s_mov_b32 s23, exec_lo
	v_and_b32_sdwa v66, v8, v48 dst_sel:DWORD dst_unused:UNUSED_PAD src0_sel:WORD_0 src1_sel:DWORD
	v_cmpx_ne_u32_e32 0x7f, v66
	s_cbranch_execz .LBB321_889
; %bb.886:                              ;   in Loop: Header=BB321_11 Depth=1
	v_mov_b32_e32 v48, 7
	v_lshrrev_b32_e32 v55, 3, v66
	s_mov_b32 s24, exec_lo
	v_and_b32_sdwa v48, v8, v48 dst_sel:DWORD dst_unused:UNUSED_PAD src0_sel:WORD_0 src1_sel:DWORD
	v_cmpx_gt_u32_e32 8, v66
	s_cbranch_execz .LBB321_888
; %bb.887:                              ;   in Loop: Header=BB321_11 Depth=1
	v_ffbh_u32_e32 v48, v48
	v_mov_b32_e32 v49, v88
	v_mov_b32_e32 v66, v89
	v_min_u32_e32 v48, 32, v48
	v_subrev_nc_u32_e32 v55, 28, v48
	v_lshlrev_b64 v[88:89], v55, v[8:9]
	v_mov_b32_e32 v89, v66
	v_sub_nc_u32_e32 v55, 29, v48
	v_and_b32_e32 v48, 7, v88
	v_mov_b32_e32 v88, v49
.LBB321_888:                            ;   in Loop: Header=BB321_11 Depth=1
	s_or_b32 exec_lo, exec_lo, s24
	v_mov_b32_e32 v66, 8
	v_lshl_add_u32 v55, v55, 10, 0x2000
	v_lshlrev_b32_e32 v48, 23, v48
	v_lshlrev_b32_sdwa v8, v66, v8 dst_sel:DWORD dst_unused:UNUSED_PAD src0_sel:DWORD src1_sel:WORD_0
	v_and_or_b32 v8, 0x8000, v8, v55
	v_lshl_or_b32 v68, v8, 16, v48
.LBB321_889:                            ;   in Loop: Header=BB321_11 Depth=1
	s_or_b32 exec_lo, exec_lo, s23
.LBB321_890:                            ;   in Loop: Header=BB321_11 Depth=1
	s_or_b32 exec_lo, exec_lo, s22
.LBB321_891:                            ;   in Loop: Header=BB321_11 Depth=1
	s_or_b32 exec_lo, exec_lo, s21
	v_lshrrev_b32_e32 v8, 16, v29
	v_cmp_ne_u16_sdwa s5, v8, v9 src0_sel:BYTE_0 src1_sel:DWORD
	s_and_saveexec_b32 s21, s5
	s_cbranch_execz .LBB321_899
; %bb.892:                              ;   in Loop: Header=BB321_11 Depth=1
	v_cmp_ne_u16_sdwa s5, v8, v51 src0_sel:BYTE_0 src1_sel:DWORD
	v_mov_b32_e32 v67, 0x8000
	s_and_saveexec_b32 s22, s5
	s_cbranch_execz .LBB321_898
; %bb.893:                              ;   in Loop: Header=BB321_11 Depth=1
	v_bfe_u32 v66, v29, 16, 7
	v_mov_b32_e32 v67, 0x7c01
	s_mov_b32 s23, exec_lo
	v_cmpx_ne_u32_e32 0x7f, v66
	s_cbranch_execz .LBB321_897
; %bb.894:                              ;   in Loop: Header=BB321_11 Depth=1
	v_and_b32_e32 v48, 7, v8
	v_lshrrev_b32_e32 v55, 3, v66
	s_mov_b32 s24, exec_lo
	v_cmpx_gt_u32_e32 8, v66
; %bb.895:                              ;   in Loop: Header=BB321_11 Depth=1
	v_ffbh_u32_e32 v48, v48
	v_min_u32_e32 v48, 32, v48
	v_subrev_nc_u32_e32 v55, 28, v48
	v_lshlrev_b64 v[66:67], v55, v[8:9]
	v_sub_nc_u32_e32 v55, 29, v48
	v_and_b32_e32 v48, 7, v66
; %bb.896:                              ;   in Loop: Header=BB321_11 Depth=1
	s_or_b32 exec_lo, exec_lo, s24
	v_lshlrev_b32_e32 v8, 8, v8
	v_lshl_add_u32 v55, v55, 10, 0x2000
	v_lshlrev_b32_e32 v48, 7, v48
	v_and_b32_e32 v8, 0x8000, v8
	v_and_b32_e32 v55, 0xfc00, v55
	v_or3_b32 v67, v8, v55, v48
.LBB321_897:                            ;   in Loop: Header=BB321_11 Depth=1
	s_or_b32 exec_lo, exec_lo, s23
.LBB321_898:                            ;   in Loop: Header=BB321_11 Depth=1
	s_or_b32 exec_lo, exec_lo, s22
.LBB321_899:                            ;   in Loop: Header=BB321_11 Depth=1
	s_or_b32 exec_lo, exec_lo, s21
	v_mov_b32_e32 v48, 0
	v_cmp_lt_u64_e64 s5, s[6:7], v[28:29]
	s_mov_b32 s21, exec_lo
	s_clause 0x1
	buffer_load_dword v28, off, s[0:3], s32 offset:204
	buffer_load_dword v49, off, s[0:3], s32 offset:200
	s_and_b32 s5, s21, s5
	s_mov_b32 exec_lo, s5
	s_cbranch_execz .LBB321_10
; %bb.900:                              ;   in Loop: Header=BB321_11 Depth=1
	v_lshrrev_b32_e32 v8, 24, v29
	v_bfrev_b32_e32 v48, 1
	s_mov_b32 s22, exec_lo
	v_cmpx_ne_u32_e32 0x80, v8
	s_cbranch_execz .LBB321_9
; %bb.901:                              ;   in Loop: Header=BB321_11 Depth=1
	v_and_b32_e32 v55, 0x7f, v8
	v_mov_b32_e32 v48, 0x7c010000
	s_mov_b32 s23, exec_lo
	v_cmpx_ne_u32_e32 0x7f, v55
	s_cbranch_execz .LBB321_8
; %bb.902:                              ;   in Loop: Header=BB321_11 Depth=1
	s_waitcnt vmcnt(1)
	v_and_b32_e32 v28, 7, v8
	v_lshrrev_b32_e32 v29, 3, v55
	s_mov_b32 s24, exec_lo
	v_cmpx_gt_u32_e32 8, v55
	s_cbranch_execz .LBB321_7
; %bb.903:                              ;   in Loop: Header=BB321_11 Depth=1
	v_ffbh_u32_e32 v28, v28
	v_min_u32_e32 v48, 32, v28
	v_subrev_nc_u32_e32 v28, 28, v48
	v_lshlrev_b64 v[28:29], v28, v[8:9]
	v_sub_nc_u32_e32 v29, 29, v48
	v_and_b32_e32 v28, 7, v28
	s_branch .LBB321_7
.LBB321_904:
	s_or_b32 exec_lo, exec_lo, s17
	s_clause 0x5
	buffer_load_dword v11, off, s[0:3], s32 offset:340
	buffer_load_dword v14, off, s[0:3], s32 offset:344
	;; [unrolled: 1-line block ×6, first 2 shown]
.LBB321_905:
	s_or_b32 exec_lo, exec_lo, s13
	v_mbcnt_lo_u32_b32 v0, -1, 0
	v_max_f32_e32 v4, v5, v5
	s_lshr_b32 s11, s11, 16
	v_xor_b32_e32 v1, 16, v0
	v_xor_b32_e32 v3, 8, v0
	v_cmp_gt_i32_e32 vcc_lo, 32, v1
	v_cndmask_b32_e32 v1, v0, v1, vcc_lo
	v_cmp_gt_i32_e32 vcc_lo, 32, v3
	v_lshlrev_b32_e32 v2, 2, v1
	v_cndmask_b32_e32 v3, v0, v3, vcc_lo
	ds_bpermute_b32 v1, v2, v5
	v_lshlrev_b32_e32 v3, 2, v3
	v_xor_b32_e32 v5, 4, v0
	v_cmp_gt_i32_e32 vcc_lo, 32, v5
	v_cndmask_b32_e32 v5, v0, v5, vcc_lo
	s_waitcnt lgkmcnt(0)
	v_max_f32_e32 v1, v1, v1
	v_max_f32_e32 v1, v4, v1
	ds_bpermute_b32 v4, v3, v1
	s_waitcnt lgkmcnt(0)
	v_max_f32_e32 v6, v4, v4
	v_lshlrev_b32_e32 v4, 2, v5
	v_max_f32_e32 v1, v1, v6
	v_xor_b32_e32 v6, 2, v0
	ds_bpermute_b32 v5, v4, v1
	v_cmp_gt_i32_e32 vcc_lo, 32, v6
	v_cndmask_b32_e32 v6, v0, v6, vcc_lo
	v_lshlrev_b32_e32 v18, 2, v6
	v_xor_b32_e32 v6, 1, v0
	v_cmp_gt_i32_e32 vcc_lo, 32, v6
	s_waitcnt lgkmcnt(0)
	v_max_f32_e32 v5, v5, v5
	v_cndmask_b32_e32 v6, v0, v6, vcc_lo
	v_max_f32_e32 v1, v1, v5
	v_lshlrev_b32_e32 v13, 2, v6
	ds_bpermute_b32 v5, v18, v1
	s_waitcnt lgkmcnt(0)
	v_max_f32_e32 v5, v5, v5
	v_max_f32_e32 v0, v1, v5
	buffer_load_dword v5, off, s[0:3], s32 offset:288 ; 4-byte Folded Reload
	ds_bpermute_b32 v1, v13, v0
	s_waitcnt vmcnt(0)
	v_cmp_eq_u32_e32 vcc_lo, 0, v5
	buffer_load_dword v5, off, s[0:3], s32 offset:292 ; 4-byte Folded Reload
	s_waitcnt vmcnt(0)
	v_lshlrev_b32_e32 v5, 2, v5
	s_and_saveexec_b32 s5, vcc_lo
	s_cbranch_execz .LBB321_907
; %bb.906:
	s_waitcnt lgkmcnt(0)
	v_max_f32_e32 v1, v1, v1
	v_max_f32_e32 v0, v0, v0
	;; [unrolled: 1-line block ×3, first 2 shown]
	ds_write_b32 v5, v0 offset:224
.LBB321_907:
	s_or_b32 exec_lo, exec_lo, s5
	buffer_load_dword v0, off, s[0:3], s32 offset:288 ; 4-byte Folded Reload
	s_waitcnt vmcnt(0) lgkmcnt(0)
	s_waitcnt_vscnt null, 0x0
	s_barrier
	buffer_gl0_inv
	v_cmp_gt_u32_e64 s5, 4, v0
	v_mov_b32_e32 v0, 0xff7fffff
	s_and_saveexec_b32 s6, s5
; %bb.908:
	ds_read_b32 v0, v10 offset:224
; %bb.909:
	s_or_b32 exec_lo, exec_lo, s6
	s_waitcnt lgkmcnt(0)
	ds_bpermute_b32 v1, v18, v0
	v_max_f32_e32 v0, v0, v0
	v_subrev_nc_u32_e32 v7, s9, v79
	v_mov_b32_e32 v6, 0
	s_waitcnt lgkmcnt(0)
	v_max_f32_e32 v1, v1, v1
	v_max_f32_e32 v0, v0, v1
	ds_bpermute_b32 v1, v13, v0
	s_waitcnt lgkmcnt(0)
	v_max_f32_e32 v1, v1, v1
	v_max_f32_e32 v0, v0, v1
	v_lshl_add_u32 v1, v7, 5, s20
	ds_bpermute_b32 v0, v6, v0
	v_min_i32_e32 v1, v1, v33
	v_subrev_nc_u32_e32 v1, s20, v1
	v_cmp_lt_i32_e64 s6, v11, v1
	s_and_saveexec_b32 s9, s6
	s_cbranch_execz .LBB321_913
; %bb.910:
	s_getpc_b64 s[22:23]
	s_add_u32 s22, s22, llvm.amdgcn.dynlds.offset.table@rel32@lo+4
	s_addc_u32 s23, s23, llvm.amdgcn.dynlds.offset.table@rel32@hi+12
	s_ashr_i32 s17, s16, 31
	v_mov_b32_e32 v6, 0
	s_lshl_b64 s[24:25], s[16:17], 2
	v_mov_b32_e32 v8, v11
	s_add_u32 s22, s22, s24
	s_addc_u32 s23, s23, s25
	s_mov_b32 s13, 0
	s_load_dword s7, s[22:23], 0x0
	s_waitcnt lgkmcnt(0)
	v_lshl_add_u32 v7, v11, 2, s7
	.p2align	6
.LBB321_911:                            ; =>This Inner Loop Header: Depth=1
	ds_read_b32 v9, v7
	v_add_nc_u32_e32 v8, 0x80, v8
	v_cmp_ge_i32_e64 s7, v8, v1
	s_or_b32 s13, s7, s13
	s_waitcnt lgkmcnt(0)
	v_sub_f32_e32 v9, v9, v0
	v_mul_f32_e32 v9, 0x3fb8aa3b, v9
	v_exp_f32_e32 v9, v9
	ds_write_b32 v7, v9
	v_add_f32_e32 v6, v6, v9
	v_add_nc_u32_e32 v7, 0x200, v7
	s_andn2_b32 exec_lo, exec_lo, s13
	s_cbranch_execnz .LBB321_911
; %bb.912:
	s_or_b32 exec_lo, exec_lo, s13
.LBB321_913:
	s_or_b32 exec_lo, exec_lo, s9
	ds_bpermute_b32 v2, v2, v6
	s_waitcnt lgkmcnt(0)
	v_add_f32_e32 v2, v6, v2
	ds_bpermute_b32 v3, v3, v2
	s_waitcnt lgkmcnt(0)
	v_add_f32_e32 v2, v2, v3
	;; [unrolled: 3-line block ×5, first 2 shown]
	s_and_saveexec_b32 s7, vcc_lo
; %bb.914:
	ds_write_b32 v5, v2 offset:240
; %bb.915:
	s_or_b32 exec_lo, exec_lo, s7
	s_waitcnt lgkmcnt(0)
	s_barrier
	buffer_gl0_inv
	s_and_saveexec_b32 s7, s5
; %bb.916:
	ds_read_b32 v2, v10 offset:240
; %bb.917:
	s_or_b32 exec_lo, exec_lo, s7
	s_waitcnt lgkmcnt(0)
	ds_bpermute_b32 v3, v18, v2
	s_waitcnt lgkmcnt(0)
	v_add_f32_e32 v2, v2, v3
	ds_bpermute_b32 v3, v13, v2
	s_waitcnt lgkmcnt(0)
	v_add_f32_e32 v2, v2, v3
	v_mov_b32_e32 v3, 0
	ds_bpermute_b32 v2, v3, v2
	s_and_saveexec_b32 s5, s6
	s_cbranch_execz .LBB321_920
; %bb.918:
	s_waitcnt lgkmcnt(0)
	v_add_f32_e32 v4, 0x358637bd, v2
	s_getpc_b64 s[6:7]
	s_add_u32 s6, s6, llvm.amdgcn.dynlds.offset.table@rel32@lo+4
	s_addc_u32 s7, s7, llvm.amdgcn.dynlds.offset.table@rel32@hi+12
	s_ashr_i32 s17, s16, 31
	s_lshl_b64 s[22:23], s[16:17], 2
	v_div_scale_f32 v3, null, v4, v4, 1.0
	v_div_scale_f32 v7, vcc_lo, 1.0, v4, 1.0
	s_add_u32 s6, s6, s22
	v_rcp_f32_e32 v5, v3
	s_addc_u32 s7, s7, s23
	s_load_dword s6, s[6:7], 0x0
	v_fma_f32 v6, -v3, v5, 1.0
	v_fmac_f32_e32 v5, v6, v5
	v_mul_f32_e32 v6, v7, v5
	v_fma_f32 v8, -v3, v6, v7
	v_fmac_f32_e32 v6, v8, v5
	v_fma_f32 v3, -v3, v6, v7
	v_div_fmas_f32 v5, v3, v5, v6
	s_waitcnt lgkmcnt(0)
	v_lshl_add_u32 v3, v11, 2, s6
	s_mov_b32 s6, 0
	v_div_fixup_f32 v4, v5, v4, 1.0
	v_mov_b32_e32 v5, v11
.LBB321_919:                            ; =>This Inner Loop Header: Depth=1
	ds_read_b32 v6, v3
	v_add_nc_u32_e32 v5, 0x80, v5
	v_cmp_ge_i32_e32 vcc_lo, v5, v1
	s_or_b32 s6, vcc_lo, s6
	s_waitcnt lgkmcnt(0)
	v_mul_f32_e32 v6, v4, v6
	ds_write_b32 v3, v6
	v_add_nc_u32_e32 v3, 0x200, v3
	s_andn2_b32 exec_lo, exec_lo, s6
	s_cbranch_execnz .LBB321_919
.LBB321_920:
	s_or_b32 exec_lo, exec_lo, s5
	s_and_b32 s5, 0xffff, s11
	s_waitcnt lgkmcnt(0)
	s_cmp_lg_u32 s5, 0
	s_barrier
	s_cselect_b32 s5, -1, 0
	buffer_gl0_inv
	s_cmp_lg_u32 s5, 0
	s_addc_u32 s5, s8, 0
	s_mov_b32 s8, exec_lo
	s_mul_i32 s6, s5, s18
	s_mul_i32 s6, s6, s15
	v_cmpx_eq_u32_e32 0, v11
	s_cbranch_execz .LBB321_922
; %bb.921:
	s_ashr_i32 s7, s6, 31
	s_mul_i32 s12, s5, s12
	s_lshl_b64 s[22:23], s[6:7], 2
	s_ashr_i32 s13, s12, 31
	v_add_co_u32 v1, vcc_lo, v24, s22
	v_add_co_ci_u32_e64 v3, null, s23, v22, vcc_lo
	s_lshl_b64 s[12:13], s[12:13], 2
	s_ashr_i32 s15, s14, 31
	v_add_co_u32 v1, vcc_lo, v1, s12
	v_add_co_ci_u32_e64 v4, null, s13, v3, vcc_lo
	v_add_co_u32 v3, vcc_lo, v15, s22
	v_add_co_ci_u32_e64 v5, null, s23, v14, vcc_lo
	s_lshl_b64 s[22:23], s[14:15], 2
	v_add_co_u32 v6, vcc_lo, v3, s12
	v_add_co_ci_u32_e64 v7, null, s13, v5, vcc_lo
	v_add_co_u32 v3, vcc_lo, v1, s22
	v_add_co_ci_u32_e64 v4, null, s23, v4, vcc_lo
	;; [unrolled: 2-line block ×3, first 2 shown]
	flat_store_dword v[3:4], v0
	flat_store_dword v[5:6], v2
.LBB321_922:
	s_or_b32 exec_lo, exec_lo, s8
	s_and_saveexec_b32 s7, s4
	s_xor_b32 s4, exec_lo, s7
	s_cbranch_execz .LBB321_924
; %bb.923:
                                        ; implicit-def: $vgpr0
                                        ; kill: killed $vgpr0
	s_ashr_i32 s17, s16, 31
                                        ; implicit-def: $vgpr0
                                        ; implicit-def: $vgpr33
                                        ; implicit-def: $vgpr79
                                        ; implicit-def: $vgpr26_vgpr27
	buffer_store_dword v0, off, s[0:3], s32 offset:192 ; 4-byte Folded Spill
	buffer_store_dword v1, off, s[0:3], s32 offset:196 ; 4-byte Folded Spill
                                        ; implicit-def: $vgpr0
                                        ; kill: killed $vgpr0
                                        ; implicit-def: $vgpr0
                                        ; kill: killed $vgpr0
	;; [unrolled: 2-line block ×7, first 2 shown]
                                        ; implicit-def: $vgpr0_vgpr1
                                        ; kill: killed $vgpr0_vgpr1
.LBB321_924:
	s_or_saveexec_b32 s7, s4
	v_mov_b32_e32 v0, s16
	v_mov_b32_e32 v48, 0
	;; [unrolled: 1-line block ×4, first 2 shown]
	v_and_b32_e32 v19, 3, v11
	v_mov_b32_e32 v51, 0
	v_mov_b32_e32 v50, 0
	;; [unrolled: 1-line block ×13, first 2 shown]
	s_xor_b32 exec_lo, exec_lo, s7
	s_cbranch_execz .LBB321_1852
; %bb.925:
	s_getpc_b64 s[8:9]
	s_add_u32 s8, s8, llvm.amdgcn.dynlds.offset.table@rel32@lo+4
	s_addc_u32 s9, s9, llvm.amdgcn.dynlds.offset.table@rel32@hi+12
	s_ashr_i32 s17, s16, 31
	v_lshlrev_b32_e32 v0, 3, v43
	s_lshl_b64 s[12:13], s[16:17], 2
	v_mov_b32_e32 v16, 0x80
	s_add_u32 s8, s8, s12
	s_addc_u32 s9, s9, s13
	v_and_b32_e32 v6, 24, v0
	s_load_dword s4, s[8:9], 0x0
	s_clause 0x1
	buffer_load_dword v1, off, s[0:3], s32 offset:316
	buffer_load_dword v2, off, s[0:3], s32 offset:328
	v_and_b32_e32 v0, 0xf8, v0
	v_mov_b32_e32 v17, 0x7f
	v_mov_b32_e32 v37, 7
	;; [unrolled: 1-line block ×17, first 2 shown]
	s_mov_b32 s8, -1
	s_mov_b32 s9, 0xffffff
	s_mov_b32 s11, 0
	s_waitcnt vmcnt(0)
	v_add_co_u32 v2, vcc_lo, v1, v2
	s_clause 0x1
	buffer_load_dword v1, off, s[0:3], s32 offset:312
	buffer_load_dword v3, off, s[0:3], s32 offset:332
	s_waitcnt vmcnt(0)
	v_add_co_ci_u32_e64 v3, null, v1, v3, vcc_lo
	s_clause 0x4
	buffer_load_dword v1, off, s[0:3], s32 offset:336
	buffer_load_dword v4, off, s[0:3], s32 offset:192
	;; [unrolled: 1-line block ×5, first 2 shown]
	v_add_co_u32 v2, vcc_lo, v2, v0
	v_add_co_ci_u32_e64 v3, null, 0, v3, vcc_lo
	v_lshlrev_b32_e32 v0, 5, v19
	s_waitcnt vmcnt(4)
	v_add_nc_u32_e32 v36, -1, v1
	s_waitcnt vmcnt(2)
	v_lshlrev_b64 v[4:5], 2, v[4:5]
	v_mov_b32_e32 v1, 0
	s_waitcnt vmcnt(1)
	v_add_co_u32 v4, vcc_lo, v7, v4
	buffer_load_dword v7, off, s[0:3], s32 offset:292 ; 4-byte Folded Reload
	s_waitcnt vmcnt(1)
	v_add_co_ci_u32_e64 v5, null, v8, v5, vcc_lo
	s_waitcnt vmcnt(0)
	v_lshl_add_u32 v9, v7, 5, s20
	v_lshl_or_b32 v0, v7, 7, v0
	buffer_load_dword v7, off, s[0:3], s32 offset:300 ; 4-byte Folded Reload
	v_add3_u32 v14, v9, v6, 7
	s_waitcnt lgkmcnt(0)
	v_add_nc_u32_e32 v15, s4, v0
	s_waitcnt vmcnt(0)
	v_add_co_u32 v7, vcc_lo, v7, v4
	buffer_load_dword v4, off, s[0:3], s32 offset:296 ; 4-byte Folded Reload
	s_waitcnt vmcnt(0)
	v_add_co_ci_u32_e64 v8, null, v4, v5, vcc_lo
	s_branch .LBB321_927
.LBB321_926:                            ;   in Loop: Header=BB321_927 Depth=1
	s_or_b32 exec_lo, exec_lo, s4
	v_add_f32_e32 v4, v4, v5
	v_add_f32_e32 v5, v100, v101
	;; [unrolled: 1-line block ×12, first 2 shown]
	;;#ASMSTART
	v_pk_mul_f16 v4, v66, v10;

	;;#ASMEND
	;;#ASMSTART
	v_pk_mul_f16 v0, v64, v0;

	;;#ASMEND
	;; [unrolled: 4-line block ×4, first 2 shown]
	;;#ASMSTART
	v_pk_add_f16 v0, v4, v0;

	;;#ASMEND
	;;#ASMSTART
	v_pk_add_f16 v0, v0, v5;

	;;#ASMEND
	;; [unrolled: 4-line block ×3, first 2 shown]
	v_and_b32_e32 v6, 0xffff, v0
	v_lshrrev_b32_e32 v9, 16, v0
	;;#ASMSTART
	v_cvt_f32_f16 v6, v6;
	;;#ASMEND
	;;#ASMSTART
	v_cvt_f32_f16 v9, v9;
	;;#ASMEND
	v_add_f32_e32 v6, v6, v9
	s_clause 0x1
	buffer_load_dword v9, off, s[0:3], s32 offset:192
	buffer_load_dword v10, off, s[0:3], s32 offset:196
	v_add_f32_e32 v28, v28, v22
	v_add_f32_e32 v11, v98, v99
	;; [unrolled: 1-line block ×7, first 2 shown]
	v_add_co_u32 v7, s4, v7, 16
	v_add_f32_e32 v25, v25, v32
	v_add_f32_e32 v38, v38, v11
	;; [unrolled: 1-line block ×8, first 2 shown]
	v_add_co_ci_u32_e64 v8, null, 0, v8, s4
	v_add_nc_u32_e32 v14, 0x80, v14
	v_add_nc_u32_e32 v15, 0x200, v15
	s_waitcnt vmcnt(1)
	v_add_nc_u32_e32 v9, 4, v9
	v_cmp_ge_i32_e32 vcc_lo, v9, v79
	v_mov_b32_e32 v0, v9
	buffer_store_dword v0, off, s[0:3], s32 offset:192 ; 4-byte Folded Spill
	buffer_store_dword v1, off, s[0:3], s32 offset:196 ; 4-byte Folded Spill
	s_or_b32 s11, vcc_lo, s11
	s_andn2_b32 exec_lo, exec_lo, s11
	s_cbranch_execz .LBB321_1851
.LBB321_927:                            ; =>This Inner Loop Header: Depth=1
	flat_load_dword v0, v[7:8]
	ds_read2_b64 v[64:67], v15 offset1:1
	ds_read2_b64 v[68:71], v15 offset0:2 offset1:3
	s_waitcnt lgkmcnt(1)
	;;#ASMSTART
	v_cvt_f16_f32 v4, v64;

	;;#ASMEND
	buffer_load_dword v5, off, s[0:3], s32 offset:208 ; 4-byte Folded Reload
	v_mov_b32_e32 v64, 0
	s_waitcnt vmcnt(0)
	v_mad_i64_i32 v[9:10], null, v0, v5, v[2:3]
	;;#ASMSTART
	v_cvt_f16_f32 v5, v65;

	;;#ASMEND
	;;#ASMSTART
	v_cvt_f16_f32 v34, v66;

	;;#ASMEND
	;; [unrolled: 4-line block ×3, first 2 shown]
	s_waitcnt lgkmcnt(0)
	;;#ASMSTART
	v_cvt_f16_f32 v35, v68;

	;;#ASMEND
	;;#ASMSTART
	v_cvt_f16_f32 v23, v69;

	;;#ASMEND
	;; [unrolled: 4-line block ×4, first 2 shown]
	flat_load_dwordx2 v[11:12], v[9:10]
	flat_load_dword v55, v[26:27]
	s_waitcnt vmcnt(1) lgkmcnt(1)
	v_cmp_ne_u16_sdwa s12, v11, v1 src0_sel:BYTE_0 src1_sel:DWORD
	s_and_saveexec_b32 s4, s12
	s_cbranch_execz .LBB321_935
; %bb.928:                              ;   in Loop: Header=BB321_927 Depth=1
	v_cmp_ne_u16_sdwa s13, v11, v16 src0_sel:BYTE_0 src1_sel:DWORD
	v_mov_b32_e32 v64, 0x8000
	s_and_saveexec_b32 s12, s13
	s_cbranch_execz .LBB321_934
; %bb.929:                              ;   in Loop: Header=BB321_927 Depth=1
	v_and_b32_e32 v53, 0x7f, v11
	v_mov_b32_e32 v64, 0x7c01
	s_mov_b32 s13, exec_lo
	v_cmpx_ne_u32_e32 0x7f, v53
	s_cbranch_execz .LBB321_933
; %bb.930:                              ;   in Loop: Header=BB321_927 Depth=1
	v_and_b32_e32 v0, 7, v11
	v_lshrrev_b32_e32 v6, 3, v53
	s_mov_b32 s15, exec_lo
	v_cmpx_gt_u32_e32 8, v53
; %bb.931:                              ;   in Loop: Header=BB321_927 Depth=1
	v_ffbh_u32_e32 v0, v0
	v_min_u32_e32 v0, 32, v0
	v_subrev_nc_u32_e32 v6, 28, v0
	v_lshlrev_b64 v[64:65], v6, v[11:12]
	v_sub_nc_u32_e32 v6, 29, v0
	v_and_b32_e32 v0, 7, v64
; %bb.932:                              ;   in Loop: Header=BB321_927 Depth=1
	s_or_b32 exec_lo, exec_lo, s15
	v_lshlrev_b32_e32 v53, 8, v11
	v_lshl_add_u32 v6, v6, 10, 0x2000
	v_lshlrev_b32_e32 v0, 7, v0
	v_and_b32_e32 v53, 0x8000, v53
	v_and_b32_e32 v6, 0xfc00, v6
	v_or3_b32 v64, v53, v6, v0
.LBB321_933:                            ;   in Loop: Header=BB321_927 Depth=1
	s_or_b32 exec_lo, exec_lo, s13
.LBB321_934:                            ;   in Loop: Header=BB321_927 Depth=1
	s_or_b32 exec_lo, exec_lo, s12
.LBB321_935:                            ;   in Loop: Header=BB321_927 Depth=1
	s_or_b32 exec_lo, exec_lo, s4
	v_lshrrev_b16 v0, 8, v11
	v_mov_b32_e32 v53, 0
	v_mov_b32_e32 v6, 0
	s_mov_b32 s4, exec_lo
	v_cmpx_ne_u16_e32 0, v0
	s_cbranch_execz .LBB321_943
; %bb.936:                              ;   in Loop: Header=BB321_927 Depth=1
	v_bfrev_b32_e32 v6, 1
	s_mov_b32 s12, exec_lo
	v_cmpx_ne_u16_e32 0x80, v0
	s_cbranch_execz .LBB321_942
; %bb.937:                              ;   in Loop: Header=BB321_927 Depth=1
	v_and_b32_sdwa v66, v0, v17 dst_sel:DWORD dst_unused:UNUSED_PAD src0_sel:WORD_0 src1_sel:DWORD
	v_mov_b32_e32 v6, 0x7c010000
	s_mov_b32 s13, exec_lo
	v_cmpx_ne_u32_e32 0x7f, v66
	s_cbranch_execz .LBB321_941
; %bb.938:                              ;   in Loop: Header=BB321_927 Depth=1
	v_and_b32_sdwa v6, v0, v37 dst_sel:DWORD dst_unused:UNUSED_PAD src0_sel:WORD_0 src1_sel:DWORD
	v_lshrrev_b32_e32 v65, 3, v66
	s_mov_b32 s15, exec_lo
	v_cmpx_gt_u32_e32 8, v66
; %bb.939:                              ;   in Loop: Header=BB321_927 Depth=1
	v_ffbh_u32_e32 v6, v6
	v_min_u32_e32 v6, 32, v6
	v_subrev_nc_u32_e32 v65, 28, v6
	v_lshlrev_b64 v[66:67], v65, v[0:1]
	v_sub_nc_u32_e32 v65, 29, v6
	v_and_b32_e32 v6, 7, v66
; %bb.940:                              ;   in Loop: Header=BB321_927 Depth=1
	s_or_b32 exec_lo, exec_lo, s15
	v_lshlrev_b32_sdwa v0, v52, v0 dst_sel:DWORD dst_unused:UNUSED_PAD src0_sel:DWORD src1_sel:WORD_0
	v_lshl_add_u32 v65, v65, 10, 0x2000
	v_lshlrev_b32_e32 v6, 23, v6
	v_and_or_b32 v0, 0x8000, v0, v65
	v_lshl_or_b32 v6, v0, 16, v6
.LBB321_941:                            ;   in Loop: Header=BB321_927 Depth=1
	s_or_b32 exec_lo, exec_lo, s13
.LBB321_942:                            ;   in Loop: Header=BB321_927 Depth=1
	s_or_b32 exec_lo, exec_lo, s12
.LBB321_943:                            ;   in Loop: Header=BB321_927 Depth=1
	s_or_b32 exec_lo, exec_lo, s4
	v_lshrrev_b32_e32 v0, 16, v11
	v_cmp_ne_u16_sdwa s12, v0, v1 src0_sel:BYTE_0 src1_sel:DWORD
	s_and_saveexec_b32 s4, s12
	s_cbranch_execz .LBB321_951
; %bb.944:                              ;   in Loop: Header=BB321_927 Depth=1
	v_cmp_ne_u16_sdwa s13, v0, v16 src0_sel:BYTE_0 src1_sel:DWORD
	v_mov_b32_e32 v53, 0x8000
	s_and_saveexec_b32 s12, s13
	s_cbranch_execz .LBB321_950
; %bb.945:                              ;   in Loop: Header=BB321_927 Depth=1
	v_bfe_u32 v66, v11, 16, 7
	v_mov_b32_e32 v53, 0x7c01
	s_mov_b32 s13, exec_lo
	v_cmpx_ne_u32_e32 0x7f, v66
	s_cbranch_execz .LBB321_949
; %bb.946:                              ;   in Loop: Header=BB321_927 Depth=1
	v_and_b32_e32 v53, 7, v0
	v_lshrrev_b32_e32 v65, 3, v66
	s_mov_b32 s15, exec_lo
	v_cmpx_gt_u32_e32 8, v66
; %bb.947:                              ;   in Loop: Header=BB321_927 Depth=1
	v_ffbh_u32_e32 v53, v53
	v_min_u32_e32 v53, 32, v53
	v_subrev_nc_u32_e32 v65, 28, v53
	v_lshlrev_b64 v[66:67], v65, v[0:1]
	v_sub_nc_u32_e32 v65, 29, v53
	v_and_b32_e32 v53, 7, v66
; %bb.948:                              ;   in Loop: Header=BB321_927 Depth=1
	s_or_b32 exec_lo, exec_lo, s15
	v_lshlrev_b32_e32 v0, 8, v0
	v_lshl_add_u32 v65, v65, 10, 0x2000
	v_lshlrev_b32_e32 v53, 7, v53
	v_and_b32_e32 v0, 0x8000, v0
	v_and_b32_e32 v65, 0xfc00, v65
	v_or3_b32 v53, v0, v65, v53
.LBB321_949:                            ;   in Loop: Header=BB321_927 Depth=1
	s_or_b32 exec_lo, exec_lo, s13
.LBB321_950:                            ;   in Loop: Header=BB321_927 Depth=1
	s_or_b32 exec_lo, exec_lo, s12
.LBB321_951:                            ;   in Loop: Header=BB321_927 Depth=1
	s_or_b32 exec_lo, exec_lo, s4
	v_mov_b32_e32 v65, 0
	v_mov_b32_e32 v66, 0
	s_mov_b32 s4, exec_lo
	v_cmpx_lt_u32_e32 0xffffff, v11
	s_cbranch_execz .LBB321_959
; %bb.952:                              ;   in Loop: Header=BB321_927 Depth=1
	v_lshrrev_b32_e32 v0, 24, v11
	v_bfrev_b32_e32 v66, 1
	s_mov_b32 s12, exec_lo
	v_cmpx_ne_u32_e32 0x80, v0
	s_cbranch_execz .LBB321_958
; %bb.953:                              ;   in Loop: Header=BB321_927 Depth=1
	v_and_b32_e32 v68, 0x7f, v0
	v_mov_b32_e32 v66, 0x7c010000
	s_mov_b32 s13, exec_lo
	v_cmpx_ne_u32_e32 0x7f, v68
	s_cbranch_execz .LBB321_957
; %bb.954:                              ;   in Loop: Header=BB321_927 Depth=1
	v_and_b32_e32 v66, 7, v0
	v_lshrrev_b32_e32 v67, 3, v68
	s_mov_b32 s15, exec_lo
	v_cmpx_gt_u32_e32 8, v68
; %bb.955:                              ;   in Loop: Header=BB321_927 Depth=1
	v_ffbh_u32_e32 v66, v66
	v_min_u32_e32 v68, 32, v66
	v_subrev_nc_u32_e32 v66, 28, v68
	v_lshlrev_b64 v[66:67], v66, v[0:1]
	v_sub_nc_u32_e32 v67, 29, v68
	v_and_b32_e32 v66, 7, v66
; %bb.956:                              ;   in Loop: Header=BB321_927 Depth=1
	s_or_b32 exec_lo, exec_lo, s15
	v_lshlrev_b32_e32 v0, 8, v0
	v_lshl_add_u32 v67, v67, 10, 0x2000
	v_lshlrev_b32_e32 v66, 23, v66
	v_and_or_b32 v0, 0x8000, v0, v67
	v_lshl_or_b32 v66, v0, 16, v66
.LBB321_957:                            ;   in Loop: Header=BB321_927 Depth=1
	s_or_b32 exec_lo, exec_lo, s13
.LBB321_958:                            ;   in Loop: Header=BB321_927 Depth=1
	s_or_b32 exec_lo, exec_lo, s12
.LBB321_959:                            ;   in Loop: Header=BB321_927 Depth=1
	s_or_b32 exec_lo, exec_lo, s4
	v_mov_b32_e32 v0, v12
	v_cmp_ne_u16_sdwa s12, v12, v1 src0_sel:BYTE_0 src1_sel:DWORD
	s_and_saveexec_b32 s4, s12
	s_cbranch_execz .LBB321_967
; %bb.960:                              ;   in Loop: Header=BB321_927 Depth=1
	v_cmp_ne_u16_sdwa s13, v12, v16 src0_sel:BYTE_0 src1_sel:DWORD
	v_mov_b32_e32 v65, 0x8000
	s_and_saveexec_b32 s12, s13
	s_cbranch_execz .LBB321_966
; %bb.961:                              ;   in Loop: Header=BB321_927 Depth=1
	v_and_b32_e32 v68, 0x7f, v12
	v_mov_b32_e32 v65, 0x7c01
	s_mov_b32 s13, exec_lo
	v_cmpx_ne_u32_e32 0x7f, v68
	s_cbranch_execz .LBB321_965
; %bb.962:                              ;   in Loop: Header=BB321_927 Depth=1
	v_and_b32_e32 v65, 7, v12
	v_lshrrev_b32_e32 v67, 3, v68
	s_mov_b32 s15, exec_lo
	v_cmpx_gt_u32_e32 8, v68
; %bb.963:                              ;   in Loop: Header=BB321_927 Depth=1
	v_ffbh_u32_e32 v65, v65
	v_min_u32_e32 v65, 32, v65
	v_subrev_nc_u32_e32 v67, 28, v65
	v_lshlrev_b64 v[68:69], v67, v[0:1]
	v_sub_nc_u32_e32 v67, 29, v65
	v_and_b32_e32 v65, 7, v68
; %bb.964:                              ;   in Loop: Header=BB321_927 Depth=1
	s_or_b32 exec_lo, exec_lo, s15
	v_lshlrev_b32_e32 v68, 8, v12
	v_lshl_add_u32 v67, v67, 10, 0x2000
	v_lshlrev_b32_e32 v65, 7, v65
	v_and_b32_e32 v68, 0x8000, v68
	v_and_b32_e32 v67, 0xfc00, v67
	v_or3_b32 v65, v68, v67, v65
.LBB321_965:                            ;   in Loop: Header=BB321_927 Depth=1
	s_or_b32 exec_lo, exec_lo, s13
.LBB321_966:                            ;   in Loop: Header=BB321_927 Depth=1
	s_or_b32 exec_lo, exec_lo, s12
.LBB321_967:                            ;   in Loop: Header=BB321_927 Depth=1
	s_or_b32 exec_lo, exec_lo, s4
	v_lshrrev_b16 v0, 8, v0
	v_mov_b32_e32 v68, 0
	v_mov_b32_e32 v67, 0
	s_mov_b32 s4, exec_lo
	v_cmpx_ne_u16_e32 0, v0
	s_cbranch_execz .LBB321_975
; %bb.968:                              ;   in Loop: Header=BB321_927 Depth=1
	v_bfrev_b32_e32 v67, 1
	s_mov_b32 s12, exec_lo
	v_cmpx_ne_u16_e32 0x80, v0
	s_cbranch_execz .LBB321_974
; %bb.969:                              ;   in Loop: Header=BB321_927 Depth=1
	v_and_b32_sdwa v70, v0, v17 dst_sel:DWORD dst_unused:UNUSED_PAD src0_sel:WORD_0 src1_sel:DWORD
	v_mov_b32_e32 v67, 0x7c010000
	s_mov_b32 s13, exec_lo
	v_cmpx_ne_u32_e32 0x7f, v70
	s_cbranch_execz .LBB321_973
; %bb.970:                              ;   in Loop: Header=BB321_927 Depth=1
	v_and_b32_sdwa v67, v0, v37 dst_sel:DWORD dst_unused:UNUSED_PAD src0_sel:WORD_0 src1_sel:DWORD
	v_lshrrev_b32_e32 v69, 3, v70
	s_mov_b32 s15, exec_lo
	v_cmpx_gt_u32_e32 8, v70
; %bb.971:                              ;   in Loop: Header=BB321_927 Depth=1
	v_ffbh_u32_e32 v67, v67
	v_min_u32_e32 v67, 32, v67
	v_subrev_nc_u32_e32 v69, 28, v67
	v_lshlrev_b64 v[70:71], v69, v[0:1]
	v_sub_nc_u32_e32 v69, 29, v67
	v_and_b32_e32 v67, 7, v70
; %bb.972:                              ;   in Loop: Header=BB321_927 Depth=1
	s_or_b32 exec_lo, exec_lo, s15
	v_lshlrev_b32_sdwa v0, v52, v0 dst_sel:DWORD dst_unused:UNUSED_PAD src0_sel:DWORD src1_sel:WORD_0
	v_lshl_add_u32 v69, v69, 10, 0x2000
	v_lshlrev_b32_e32 v67, 23, v67
	v_and_or_b32 v0, 0x8000, v0, v69
	v_lshl_or_b32 v67, v0, 16, v67
.LBB321_973:                            ;   in Loop: Header=BB321_927 Depth=1
	s_or_b32 exec_lo, exec_lo, s13
.LBB321_974:                            ;   in Loop: Header=BB321_927 Depth=1
	s_or_b32 exec_lo, exec_lo, s12
.LBB321_975:                            ;   in Loop: Header=BB321_927 Depth=1
	s_or_b32 exec_lo, exec_lo, s4
	v_lshrrev_b32_e32 v0, 16, v12
	v_cmp_ne_u16_sdwa s12, v0, v1 src0_sel:BYTE_0 src1_sel:DWORD
	s_and_saveexec_b32 s4, s12
	s_cbranch_execz .LBB321_983
; %bb.976:                              ;   in Loop: Header=BB321_927 Depth=1
	v_cmp_ne_u16_sdwa s13, v0, v16 src0_sel:BYTE_0 src1_sel:DWORD
	v_mov_b32_e32 v68, 0x8000
	s_and_saveexec_b32 s12, s13
	s_cbranch_execz .LBB321_982
; %bb.977:                              ;   in Loop: Header=BB321_927 Depth=1
	v_bfe_u32 v70, v12, 16, 7
	v_mov_b32_e32 v68, 0x7c01
	s_mov_b32 s13, exec_lo
	v_cmpx_ne_u32_e32 0x7f, v70
	s_cbranch_execz .LBB321_981
; %bb.978:                              ;   in Loop: Header=BB321_927 Depth=1
	v_and_b32_e32 v68, 7, v0
	v_lshrrev_b32_e32 v69, 3, v70
	s_mov_b32 s15, exec_lo
	v_cmpx_gt_u32_e32 8, v70
; %bb.979:                              ;   in Loop: Header=BB321_927 Depth=1
	v_ffbh_u32_e32 v68, v68
	v_min_u32_e32 v70, 32, v68
	v_subrev_nc_u32_e32 v68, 28, v70
	v_lshlrev_b64 v[68:69], v68, v[0:1]
	v_sub_nc_u32_e32 v69, 29, v70
	v_and_b32_e32 v68, 7, v68
; %bb.980:                              ;   in Loop: Header=BB321_927 Depth=1
	s_or_b32 exec_lo, exec_lo, s15
	v_lshlrev_b32_e32 v0, 8, v0
	v_lshl_add_u32 v69, v69, 10, 0x2000
	v_lshlrev_b32_e32 v68, 7, v68
	v_and_b32_e32 v0, 0x8000, v0
	v_and_b32_e32 v69, 0xfc00, v69
	v_or3_b32 v68, v0, v69, v68
.LBB321_981:                            ;   in Loop: Header=BB321_927 Depth=1
	s_or_b32 exec_lo, exec_lo, s13
.LBB321_982:                            ;   in Loop: Header=BB321_927 Depth=1
	s_or_b32 exec_lo, exec_lo, s12
.LBB321_983:                            ;   in Loop: Header=BB321_927 Depth=1
	s_or_b32 exec_lo, exec_lo, s4
	v_cmp_lt_u64_e32 vcc_lo, s[8:9], v[11:12]
	v_mov_b32_e32 v11, 0
	s_and_saveexec_b32 s4, vcc_lo
	s_cbranch_execz .LBB321_991
; %bb.984:                              ;   in Loop: Header=BB321_927 Depth=1
	v_lshrrev_b32_e32 v0, 24, v12
	v_bfrev_b32_e32 v11, 1
	s_mov_b32 s12, exec_lo
	v_cmpx_ne_u32_e32 0x80, v0
	s_cbranch_execz .LBB321_990
; %bb.985:                              ;   in Loop: Header=BB321_927 Depth=1
	v_and_b32_e32 v69, 0x7f, v0
	v_mov_b32_e32 v11, 0x7c010000
	s_mov_b32 s13, exec_lo
	v_cmpx_ne_u32_e32 0x7f, v69
	s_cbranch_execz .LBB321_989
; %bb.986:                              ;   in Loop: Header=BB321_927 Depth=1
	v_and_b32_e32 v11, 7, v0
	v_lshrrev_b32_e32 v12, 3, v69
	s_mov_b32 s15, exec_lo
	v_cmpx_gt_u32_e32 8, v69
; %bb.987:                              ;   in Loop: Header=BB321_927 Depth=1
	v_ffbh_u32_e32 v11, v11
	v_min_u32_e32 v69, 32, v11
	v_subrev_nc_u32_e32 v11, 28, v69
	v_lshlrev_b64 v[11:12], v11, v[0:1]
	v_sub_nc_u32_e32 v12, 29, v69
	v_and_b32_e32 v11, 7, v11
; %bb.988:                              ;   in Loop: Header=BB321_927 Depth=1
	s_or_b32 exec_lo, exec_lo, s15
	v_lshlrev_b32_e32 v0, 8, v0
	v_lshl_add_u32 v12, v12, 10, 0x2000
	v_lshlrev_b32_e32 v11, 23, v11
	v_and_or_b32 v0, 0x8000, v0, v12
	v_lshl_or_b32 v11, v0, 16, v11
.LBB321_989:                            ;   in Loop: Header=BB321_927 Depth=1
	s_or_b32 exec_lo, exec_lo, s13
.LBB321_990:                            ;   in Loop: Header=BB321_927 Depth=1
	s_or_b32 exec_lo, exec_lo, s12
.LBB321_991:                            ;   in Loop: Header=BB321_927 Depth=1
	s_or_b32 exec_lo, exec_lo, s4
	v_or_b32_e32 v0, v66, v53
	s_waitcnt vmcnt(0) lgkmcnt(0)
	v_fma_mixlo_f16 v12, v55, v66, 0 op_sel:[0,1,0] op_sel_hi:[0,1,0]
	v_or_b32_e32 v66, v6, v64
	v_fma_mixlo_f16 v64, v55, v6, 0 op_sel:[0,1,0] op_sel_hi:[0,1,0]
	v_or_b32_e32 v65, v67, v65
	v_fma_mixlo_f16 v0, v55, v0, 0 op_sel_hi:[0,1,0]
	v_or_b32_e32 v68, v11, v68
	v_lshlrev_b32_e32 v6, 16, v12
	v_fma_mixlo_f16 v12, v55, v67, 0 op_sel:[0,1,0] op_sel_hi:[0,1,0]
	v_fma_mixlo_f16 v11, v55, v11, 0 op_sel:[0,1,0] op_sel_hi:[0,1,0]
	v_lshlrev_b32_e32 v82, 16, v64
	v_and_b32_e32 v64, 0xffff, v0
	v_fma_mixlo_f16 v0, v55, v66, 0 op_sel_hi:[0,1,0]
	v_fma_mixlo_f16 v65, v55, v65, 0 op_sel_hi:[0,1,0]
	;; [unrolled: 1-line block ×3, first 2 shown]
	v_lshlrev_b32_e32 v66, 16, v12
	v_lshlrev_b32_e32 v55, 16, v11
	s_clause 0x1
	buffer_load_dword v11, off, s[0:3], s32 offset:192
	buffer_load_dword v12, off, s[0:3], s32 offset:196
	v_and_b32_e32 v84, 0xffff, v0
	v_and_b32_e32 v83, 0xffff, v65
	;; [unrolled: 1-line block ×3, first 2 shown]
	v_add_nc_u32_e32 v53, -7, v14
	v_or_b32_e32 v0, v6, v64
	v_add_nc_u32_e32 v81, -6, v14
	s_waitcnt vmcnt(0)
	v_or_b32_e32 v12, v66, v83
	v_or_b32_e32 v65, v55, v67
	v_add_nc_u32_e32 v80, -5, v14
	v_add_nc_u32_e32 v71, -4, v14
	;; [unrolled: 1-line block ×5, first 2 shown]
	v_cmp_eq_u32_e32 vcc_lo, v36, v11
	v_or_b32_e32 v11, v82, v84
	s_and_saveexec_b32 s12, vcc_lo
	s_cbranch_execz .LBB321_993
; %bb.992:                              ;   in Loop: Header=BB321_927 Depth=1
	v_cmp_lt_i32_e64 s4, v53, v33
	v_cndmask_b32_e64 v0, 0, v84, s4
	v_cmp_lt_i32_e64 s4, v81, v33
	v_cndmask_b32_e64 v11, 0, v82, s4
	v_cmp_lt_i32_e64 s4, v80, v33
	v_or_b32_e32 v11, v0, v11
	v_cndmask_b32_e64 v12, 0, v64, s4
	v_cmp_lt_i32_e64 s4, v71, v33
	v_cndmask_b32_e64 v6, 0, v6, s4
	v_cmp_lt_i32_e64 s4, v70, v33
	v_or_b32_e32 v0, v12, v6
	;; [unrolled: 5-line block ×3, first 2 shown]
	v_cndmask_b32_e64 v66, 0, v67, s4
	v_cmp_lt_i32_e64 s4, v14, v33
	v_cndmask_b32_e64 v55, 0, v55, s4
	v_or_b32_e32 v65, v66, v55
.LBB321_993:                            ;   in Loop: Header=BB321_927 Depth=1
	s_or_b32 exec_lo, exec_lo, s12
	v_and_b32_e32 v4, 0xffff, v4
	v_and_b32_e32 v6, 0xffff, v34
	;; [unrolled: 1-line block ×4, first 2 shown]
	v_lshl_or_b32 v66, v5, 16, v4
	v_lshl_or_b32 v64, v22, 16, v6
	;;#ASMSTART
	v_pk_mul_f16 v4, v66, v11;

	;;#ASMEND
	;;#ASMSTART
	v_pk_mul_f16 v0, v64, v0;

	;;#ASMEND
	v_lshl_or_b32 v55, v23, 16, v34
	v_lshl_or_b32 v54, v32, 16, v35
	;;#ASMSTART
	v_pk_mul_f16 v5, v55, v12;

	;;#ASMEND
	;;#ASMSTART
	v_pk_mul_f16 v6, v54, v65;

	;;#ASMEND
	;;#ASMSTART
	v_pk_add_f16 v0, v4, v0;

	;;#ASMEND
	;;#ASMSTART
	v_pk_add_f16 v0, v0, v5;
	;; [unrolled: 4-line block ×3, first 2 shown]

	;;#ASMEND
	v_and_b32_e32 v4, 0xffff, v0
	v_lshrrev_b32_e32 v0, 16, v0
	;;#ASMSTART
	v_cvt_f32_f16 v65, v4;
	;;#ASMEND
	;;#ASMSTART
	v_cvt_f32_f16 v67, v0;
	;;#ASMEND
	flat_load_dwordx2 v[11:12], v[9:10] offset:256
	flat_load_dword v4, v[26:27]
	v_mov_b32_e32 v5, 0
	v_mov_b32_e32 v22, 0
	s_waitcnt vmcnt(1) lgkmcnt(1)
	v_cmp_ne_u16_sdwa s4, v11, v1 src0_sel:BYTE_0 src1_sel:DWORD
	s_and_saveexec_b32 s12, s4
	s_cbranch_execz .LBB321_1001
; %bb.994:                              ;   in Loop: Header=BB321_927 Depth=1
	v_cmp_ne_u16_sdwa s4, v11, v16 src0_sel:BYTE_0 src1_sel:DWORD
	v_mov_b32_e32 v22, 0x8000
	s_and_saveexec_b32 s13, s4
	s_cbranch_execz .LBB321_1000
; %bb.995:                              ;   in Loop: Header=BB321_927 Depth=1
	v_and_b32_e32 v23, 0x7f, v11
	v_mov_b32_e32 v22, 0x7c01
	s_mov_b32 s15, exec_lo
	v_cmpx_ne_u32_e32 0x7f, v23
	s_cbranch_execz .LBB321_999
; %bb.996:                              ;   in Loop: Header=BB321_927 Depth=1
	v_and_b32_e32 v0, 7, v11
	v_lshrrev_b32_e32 v6, 3, v23
	s_mov_b32 s18, exec_lo
	v_cmpx_gt_u32_e32 8, v23
; %bb.997:                              ;   in Loop: Header=BB321_927 Depth=1
	v_ffbh_u32_e32 v0, v0
	v_min_u32_e32 v0, 32, v0
	v_subrev_nc_u32_e32 v6, 28, v0
	v_lshlrev_b64 v[22:23], v6, v[11:12]
	v_sub_nc_u32_e32 v6, 29, v0
	v_and_b32_e32 v0, 7, v22
; %bb.998:                              ;   in Loop: Header=BB321_927 Depth=1
	s_or_b32 exec_lo, exec_lo, s18
	v_lshlrev_b32_e32 v22, 8, v11
	v_lshl_add_u32 v6, v6, 10, 0x2000
	v_lshlrev_b32_e32 v0, 7, v0
	v_and_b32_e32 v22, 0x8000, v22
	v_and_b32_e32 v6, 0xfc00, v6
	v_or3_b32 v22, v22, v6, v0
.LBB321_999:                            ;   in Loop: Header=BB321_927 Depth=1
	s_or_b32 exec_lo, exec_lo, s15
.LBB321_1000:                           ;   in Loop: Header=BB321_927 Depth=1
	s_or_b32 exec_lo, exec_lo, s13
.LBB321_1001:                           ;   in Loop: Header=BB321_927 Depth=1
	s_or_b32 exec_lo, exec_lo, s12
	v_lshrrev_b16 v0, 8, v11
	s_mov_b32 s12, exec_lo
	v_cmpx_ne_u16_e32 0, v0
	s_cbranch_execz .LBB321_1009
; %bb.1002:                             ;   in Loop: Header=BB321_927 Depth=1
	v_bfrev_b32_e32 v5, 1
	s_mov_b32 s13, exec_lo
	v_cmpx_ne_u16_e32 0x80, v0
	s_cbranch_execz .LBB321_1008
; %bb.1003:                             ;   in Loop: Header=BB321_927 Depth=1
	v_and_b32_sdwa v23, v0, v17 dst_sel:DWORD dst_unused:UNUSED_PAD src0_sel:WORD_0 src1_sel:DWORD
	v_mov_b32_e32 v5, 0x7c010000
	s_mov_b32 s15, exec_lo
	v_cmpx_ne_u32_e32 0x7f, v23
	s_cbranch_execz .LBB321_1007
; %bb.1004:                             ;   in Loop: Header=BB321_927 Depth=1
	v_and_b32_sdwa v5, v0, v37 dst_sel:DWORD dst_unused:UNUSED_PAD src0_sel:WORD_0 src1_sel:DWORD
	v_lshrrev_b32_e32 v6, 3, v23
	s_mov_b32 s18, exec_lo
	v_cmpx_gt_u32_e32 8, v23
; %bb.1005:                             ;   in Loop: Header=BB321_927 Depth=1
	v_ffbh_u32_e32 v5, v5
	v_min_u32_e32 v23, 32, v5
	v_subrev_nc_u32_e32 v5, 28, v23
	v_lshlrev_b64 v[5:6], v5, v[0:1]
	v_sub_nc_u32_e32 v6, 29, v23
	v_and_b32_e32 v5, 7, v5
; %bb.1006:                             ;   in Loop: Header=BB321_927 Depth=1
	s_or_b32 exec_lo, exec_lo, s18
	v_lshlrev_b32_sdwa v0, v52, v0 dst_sel:DWORD dst_unused:UNUSED_PAD src0_sel:DWORD src1_sel:WORD_0
	v_lshl_add_u32 v6, v6, 10, 0x2000
	v_lshlrev_b32_e32 v5, 23, v5
	v_and_or_b32 v0, 0x8000, v0, v6
	v_lshl_or_b32 v5, v0, 16, v5
.LBB321_1007:                           ;   in Loop: Header=BB321_927 Depth=1
	s_or_b32 exec_lo, exec_lo, s15
.LBB321_1008:                           ;   in Loop: Header=BB321_927 Depth=1
	s_or_b32 exec_lo, exec_lo, s13
.LBB321_1009:                           ;   in Loop: Header=BB321_927 Depth=1
	s_or_b32 exec_lo, exec_lo, s12
	v_lshrrev_b32_e32 v0, 16, v11
	v_mov_b32_e32 v6, 0
	v_mov_b32_e32 v23, 0
	v_cmp_ne_u16_sdwa s4, v0, v1 src0_sel:BYTE_0 src1_sel:DWORD
	s_and_saveexec_b32 s12, s4
	s_cbranch_execz .LBB321_1017
; %bb.1010:                             ;   in Loop: Header=BB321_927 Depth=1
	v_cmp_ne_u16_sdwa s4, v0, v16 src0_sel:BYTE_0 src1_sel:DWORD
	v_mov_b32_e32 v23, 0x8000
	s_and_saveexec_b32 s13, s4
	s_cbranch_execz .LBB321_1016
; %bb.1011:                             ;   in Loop: Header=BB321_927 Depth=1
	v_bfe_u32 v34, v11, 16, 7
	v_mov_b32_e32 v23, 0x7c01
	s_mov_b32 s15, exec_lo
	v_cmpx_ne_u32_e32 0x7f, v34
	s_cbranch_execz .LBB321_1015
; %bb.1012:                             ;   in Loop: Header=BB321_927 Depth=1
	v_and_b32_e32 v23, 7, v0
	v_lshrrev_b32_e32 v32, 3, v34
	s_mov_b32 s18, exec_lo
	v_cmpx_gt_u32_e32 8, v34
; %bb.1013:                             ;   in Loop: Header=BB321_927 Depth=1
	v_ffbh_u32_e32 v23, v23
	v_min_u32_e32 v23, 32, v23
	v_subrev_nc_u32_e32 v32, 28, v23
	v_lshlrev_b64 v[34:35], v32, v[0:1]
	v_sub_nc_u32_e32 v32, 29, v23
	v_and_b32_e32 v23, 7, v34
; %bb.1014:                             ;   in Loop: Header=BB321_927 Depth=1
	s_or_b32 exec_lo, exec_lo, s18
	v_lshlrev_b32_e32 v0, 8, v0
	v_lshl_add_u32 v32, v32, 10, 0x2000
	v_lshlrev_b32_e32 v23, 7, v23
	v_and_b32_e32 v0, 0x8000, v0
	v_and_b32_e32 v32, 0xfc00, v32
	v_or3_b32 v23, v0, v32, v23
.LBB321_1015:                           ;   in Loop: Header=BB321_927 Depth=1
	s_or_b32 exec_lo, exec_lo, s15
.LBB321_1016:                           ;   in Loop: Header=BB321_927 Depth=1
	s_or_b32 exec_lo, exec_lo, s13
.LBB321_1017:                           ;   in Loop: Header=BB321_927 Depth=1
	s_or_b32 exec_lo, exec_lo, s12
	s_mov_b32 s12, exec_lo
	v_cmpx_lt_u32_e32 0xffffff, v11
	s_cbranch_execz .LBB321_1025
; %bb.1018:                             ;   in Loop: Header=BB321_927 Depth=1
	v_lshrrev_b32_e32 v0, 24, v11
	v_bfrev_b32_e32 v6, 1
	s_mov_b32 s13, exec_lo
	v_cmpx_ne_u32_e32 0x80, v0
	s_cbranch_execz .LBB321_1024
; %bb.1019:                             ;   in Loop: Header=BB321_927 Depth=1
	v_and_b32_e32 v34, 0x7f, v0
	v_mov_b32_e32 v6, 0x7c010000
	s_mov_b32 s15, exec_lo
	v_cmpx_ne_u32_e32 0x7f, v34
	s_cbranch_execz .LBB321_1023
; %bb.1020:                             ;   in Loop: Header=BB321_927 Depth=1
	v_and_b32_e32 v6, 7, v0
	v_lshrrev_b32_e32 v32, 3, v34
	s_mov_b32 s18, exec_lo
	v_cmpx_gt_u32_e32 8, v34
; %bb.1021:                             ;   in Loop: Header=BB321_927 Depth=1
	v_ffbh_u32_e32 v6, v6
	v_min_u32_e32 v6, 32, v6
	v_subrev_nc_u32_e32 v32, 28, v6
	v_lshlrev_b64 v[34:35], v32, v[0:1]
	v_sub_nc_u32_e32 v32, 29, v6
	v_and_b32_e32 v6, 7, v34
; %bb.1022:                             ;   in Loop: Header=BB321_927 Depth=1
	s_or_b32 exec_lo, exec_lo, s18
	v_lshlrev_b32_e32 v0, 8, v0
	v_lshl_add_u32 v32, v32, 10, 0x2000
	v_lshlrev_b32_e32 v6, 23, v6
	v_and_or_b32 v0, 0x8000, v0, v32
	v_lshl_or_b32 v6, v0, 16, v6
.LBB321_1023:                           ;   in Loop: Header=BB321_927 Depth=1
	s_or_b32 exec_lo, exec_lo, s15
.LBB321_1024:                           ;   in Loop: Header=BB321_927 Depth=1
	s_or_b32 exec_lo, exec_lo, s13
.LBB321_1025:                           ;   in Loop: Header=BB321_927 Depth=1
	s_or_b32 exec_lo, exec_lo, s12
	v_mov_b32_e32 v0, v12
	v_cmp_ne_u16_sdwa s4, v12, v1 src0_sel:BYTE_0 src1_sel:DWORD
	v_mov_b32_e32 v32, 0
	v_mov_b32_e32 v34, 0
	s_and_saveexec_b32 s12, s4
	s_cbranch_execz .LBB321_1033
; %bb.1026:                             ;   in Loop: Header=BB321_927 Depth=1
	v_cmp_ne_u16_sdwa s4, v12, v16 src0_sel:BYTE_0 src1_sel:DWORD
	v_mov_b32_e32 v34, 0x8000
	s_and_saveexec_b32 s13, s4
	s_cbranch_execz .LBB321_1032
; %bb.1027:                             ;   in Loop: Header=BB321_927 Depth=1
	v_and_b32_e32 v82, 0x7f, v12
	v_mov_b32_e32 v34, 0x7c01
	s_mov_b32 s15, exec_lo
	v_cmpx_ne_u32_e32 0x7f, v82
	s_cbranch_execz .LBB321_1031
; %bb.1028:                             ;   in Loop: Header=BB321_927 Depth=1
	v_and_b32_e32 v34, 7, v12
	v_lshrrev_b32_e32 v35, 3, v82
	s_mov_b32 s18, exec_lo
	v_cmpx_gt_u32_e32 8, v82
; %bb.1029:                             ;   in Loop: Header=BB321_927 Depth=1
	v_ffbh_u32_e32 v34, v34
	v_min_u32_e32 v82, 32, v34
	v_subrev_nc_u32_e32 v34, 28, v82
	v_lshlrev_b64 v[34:35], v34, v[0:1]
	v_sub_nc_u32_e32 v35, 29, v82
	v_and_b32_e32 v34, 7, v34
; %bb.1030:                             ;   in Loop: Header=BB321_927 Depth=1
	s_or_b32 exec_lo, exec_lo, s18
	v_lshlrev_b32_e32 v82, 8, v12
	v_lshl_add_u32 v35, v35, 10, 0x2000
	v_lshlrev_b32_e32 v34, 7, v34
	v_and_b32_e32 v82, 0x8000, v82
	v_and_b32_e32 v35, 0xfc00, v35
	v_or3_b32 v34, v82, v35, v34
.LBB321_1031:                           ;   in Loop: Header=BB321_927 Depth=1
	s_or_b32 exec_lo, exec_lo, s15
.LBB321_1032:                           ;   in Loop: Header=BB321_927 Depth=1
	s_or_b32 exec_lo, exec_lo, s13
.LBB321_1033:                           ;   in Loop: Header=BB321_927 Depth=1
	s_or_b32 exec_lo, exec_lo, s12
	v_lshrrev_b16 v0, 8, v0
	v_mov_b32_e32 v35, 0
	s_mov_b32 s12, exec_lo
	v_cmpx_ne_u16_e32 0, v0
	s_cbranch_execz .LBB321_1041
; %bb.1034:                             ;   in Loop: Header=BB321_927 Depth=1
	v_bfrev_b32_e32 v35, 1
	s_mov_b32 s13, exec_lo
	v_cmpx_ne_u16_e32 0x80, v0
	s_cbranch_execz .LBB321_1040
; %bb.1035:                             ;   in Loop: Header=BB321_927 Depth=1
	v_and_b32_sdwa v83, v0, v17 dst_sel:DWORD dst_unused:UNUSED_PAD src0_sel:WORD_0 src1_sel:DWORD
	v_mov_b32_e32 v35, 0x7c010000
	s_mov_b32 s15, exec_lo
	v_cmpx_ne_u32_e32 0x7f, v83
	s_cbranch_execz .LBB321_1039
; %bb.1036:                             ;   in Loop: Header=BB321_927 Depth=1
	v_and_b32_sdwa v35, v0, v37 dst_sel:DWORD dst_unused:UNUSED_PAD src0_sel:WORD_0 src1_sel:DWORD
	v_lshrrev_b32_e32 v82, 3, v83
	s_mov_b32 s18, exec_lo
	v_cmpx_gt_u32_e32 8, v83
; %bb.1037:                             ;   in Loop: Header=BB321_927 Depth=1
	v_ffbh_u32_e32 v35, v35
	v_min_u32_e32 v35, 32, v35
	v_subrev_nc_u32_e32 v82, 28, v35
	v_lshlrev_b64 v[83:84], v82, v[0:1]
	v_sub_nc_u32_e32 v82, 29, v35
	v_and_b32_e32 v35, 7, v83
; %bb.1038:                             ;   in Loop: Header=BB321_927 Depth=1
	s_or_b32 exec_lo, exec_lo, s18
	v_lshlrev_b32_sdwa v0, v52, v0 dst_sel:DWORD dst_unused:UNUSED_PAD src0_sel:DWORD src1_sel:WORD_0
	v_lshl_add_u32 v82, v82, 10, 0x2000
	v_lshlrev_b32_e32 v35, 23, v35
	v_and_or_b32 v0, 0x8000, v0, v82
	v_lshl_or_b32 v35, v0, 16, v35
.LBB321_1039:                           ;   in Loop: Header=BB321_927 Depth=1
	s_or_b32 exec_lo, exec_lo, s15
.LBB321_1040:                           ;   in Loop: Header=BB321_927 Depth=1
	s_or_b32 exec_lo, exec_lo, s13
.LBB321_1041:                           ;   in Loop: Header=BB321_927 Depth=1
	s_or_b32 exec_lo, exec_lo, s12
	v_lshrrev_b32_e32 v0, 16, v12
	v_cmp_ne_u16_sdwa s4, v0, v1 src0_sel:BYTE_0 src1_sel:DWORD
	s_and_saveexec_b32 s12, s4
	s_cbranch_execz .LBB321_1049
; %bb.1042:                             ;   in Loop: Header=BB321_927 Depth=1
	v_cmp_ne_u16_sdwa s4, v0, v16 src0_sel:BYTE_0 src1_sel:DWORD
	v_mov_b32_e32 v32, 0x8000
	s_and_saveexec_b32 s13, s4
	s_cbranch_execz .LBB321_1048
; %bb.1043:                             ;   in Loop: Header=BB321_927 Depth=1
	v_bfe_u32 v83, v12, 16, 7
	v_mov_b32_e32 v32, 0x7c01
	s_mov_b32 s15, exec_lo
	v_cmpx_ne_u32_e32 0x7f, v83
	s_cbranch_execz .LBB321_1047
; %bb.1044:                             ;   in Loop: Header=BB321_927 Depth=1
	v_and_b32_e32 v32, 7, v0
	v_lshrrev_b32_e32 v82, 3, v83
	s_mov_b32 s18, exec_lo
	v_cmpx_gt_u32_e32 8, v83
; %bb.1045:                             ;   in Loop: Header=BB321_927 Depth=1
	v_ffbh_u32_e32 v32, v32
	v_min_u32_e32 v32, 32, v32
	v_subrev_nc_u32_e32 v82, 28, v32
	v_lshlrev_b64 v[83:84], v82, v[0:1]
	v_sub_nc_u32_e32 v82, 29, v32
	v_and_b32_e32 v32, 7, v83
; %bb.1046:                             ;   in Loop: Header=BB321_927 Depth=1
	s_or_b32 exec_lo, exec_lo, s18
	v_lshlrev_b32_e32 v0, 8, v0
	v_lshl_add_u32 v82, v82, 10, 0x2000
	v_lshlrev_b32_e32 v32, 7, v32
	v_and_b32_e32 v0, 0x8000, v0
	v_and_b32_e32 v82, 0xfc00, v82
	v_or3_b32 v32, v0, v82, v32
.LBB321_1047:                           ;   in Loop: Header=BB321_927 Depth=1
	s_or_b32 exec_lo, exec_lo, s15
.LBB321_1048:                           ;   in Loop: Header=BB321_927 Depth=1
	s_or_b32 exec_lo, exec_lo, s13
.LBB321_1049:                           ;   in Loop: Header=BB321_927 Depth=1
	s_or_b32 exec_lo, exec_lo, s12
	v_cmp_lt_u64_e64 s4, s[8:9], v[11:12]
	v_mov_b32_e32 v11, 0
	s_and_saveexec_b32 s12, s4
	s_cbranch_execz .LBB321_1057
; %bb.1050:                             ;   in Loop: Header=BB321_927 Depth=1
	v_lshrrev_b32_e32 v0, 24, v12
	v_bfrev_b32_e32 v11, 1
	s_mov_b32 s13, exec_lo
	v_cmpx_ne_u32_e32 0x80, v0
	s_cbranch_execz .LBB321_1056
; %bb.1051:                             ;   in Loop: Header=BB321_927 Depth=1
	v_and_b32_e32 v82, 0x7f, v0
	v_mov_b32_e32 v11, 0x7c010000
	s_mov_b32 s15, exec_lo
	v_cmpx_ne_u32_e32 0x7f, v82
	s_cbranch_execz .LBB321_1055
; %bb.1052:                             ;   in Loop: Header=BB321_927 Depth=1
	v_and_b32_e32 v11, 7, v0
	v_lshrrev_b32_e32 v12, 3, v82
	s_mov_b32 s18, exec_lo
	v_cmpx_gt_u32_e32 8, v82
; %bb.1053:                             ;   in Loop: Header=BB321_927 Depth=1
	v_ffbh_u32_e32 v11, v11
	v_min_u32_e32 v82, 32, v11
	v_subrev_nc_u32_e32 v11, 28, v82
	v_lshlrev_b64 v[11:12], v11, v[0:1]
	v_sub_nc_u32_e32 v12, 29, v82
	v_and_b32_e32 v11, 7, v11
; %bb.1054:                             ;   in Loop: Header=BB321_927 Depth=1
	s_or_b32 exec_lo, exec_lo, s18
	v_lshlrev_b32_e32 v0, 8, v0
	v_lshl_add_u32 v12, v12, 10, 0x2000
	v_lshlrev_b32_e32 v11, 23, v11
	v_and_or_b32 v0, 0x8000, v0, v12
	v_lshl_or_b32 v11, v0, 16, v11
.LBB321_1055:                           ;   in Loop: Header=BB321_927 Depth=1
	s_or_b32 exec_lo, exec_lo, s15
.LBB321_1056:                           ;   in Loop: Header=BB321_927 Depth=1
	s_or_b32 exec_lo, exec_lo, s13
.LBB321_1057:                           ;   in Loop: Header=BB321_927 Depth=1
	s_or_b32 exec_lo, exec_lo, s12
	v_or_b32_e32 v0, v6, v23
	s_waitcnt vmcnt(0) lgkmcnt(0)
	v_fma_mixlo_f16 v6, v4, v6, 0 op_sel:[0,1,0] op_sel_hi:[0,1,0]
	v_or_b32_e32 v22, v5, v22
	v_or_b32_e32 v23, v35, v34
	;; [unrolled: 1-line block ×3, first 2 shown]
	v_fma_mixlo_f16 v5, v4, v5, 0 op_sel:[0,1,0] op_sel_hi:[0,1,0]
	v_fma_mixlo_f16 v34, v4, v0, 0 op_sel_hi:[0,1,0]
	v_lshlrev_b32_e32 v0, 16, v6
	v_fma_mixlo_f16 v6, v4, v22, 0 op_sel_hi:[0,1,0]
	v_fma_mixlo_f16 v22, v4, v35, 0 op_sel:[0,1,0] op_sel_hi:[0,1,0]
	v_fma_mixlo_f16 v23, v4, v23, 0 op_sel_hi:[0,1,0]
	v_fma_mixlo_f16 v11, v4, v11, 0 op_sel:[0,1,0] op_sel_hi:[0,1,0]
	v_fma_mixlo_f16 v32, v4, v32, 0 op_sel_hi:[0,1,0]
	v_lshlrev_b32_e32 v12, 16, v5
	v_and_b32_e32 v5, 0xffff, v34
	v_and_b32_e32 v82, 0xffff, v6
	v_lshlrev_b32_e32 v6, 16, v22
	v_and_b32_e32 v23, 0xffff, v23
	v_lshlrev_b32_e32 v4, 16, v11
	v_and_b32_e32 v11, 0xffff, v32
	v_or_b32_e32 v22, v0, v5
	v_or_b32_e32 v35, v12, v82
	;; [unrolled: 1-line block ×4, first 2 shown]
	s_and_saveexec_b32 s12, vcc_lo
	s_cbranch_execz .LBB321_1059
; %bb.1058:                             ;   in Loop: Header=BB321_927 Depth=1
	v_cmp_lt_i32_e64 s4, v53, v33
	v_cndmask_b32_e64 v22, 0, v82, s4
	v_cmp_lt_i32_e64 s4, v81, v33
	v_cndmask_b32_e64 v12, 0, v12, s4
	v_cmp_lt_i32_e64 s4, v80, v33
	v_or_b32_e32 v35, v22, v12
	v_cndmask_b32_e64 v5, 0, v5, s4
	v_cmp_lt_i32_e64 s4, v71, v33
	v_cndmask_b32_e64 v0, 0, v0, s4
	v_cmp_lt_i32_e64 s4, v70, v33
	v_or_b32_e32 v22, v5, v0
	;; [unrolled: 5-line block ×3, first 2 shown]
	v_cndmask_b32_e64 v11, 0, v11, s4
	v_cmp_lt_i32_e64 s4, v14, v33
	v_cndmask_b32_e64 v4, 0, v4, s4
	v_or_b32_e32 v32, v11, v4
.LBB321_1059:                           ;   in Loop: Header=BB321_927 Depth=1
	s_or_b32 exec_lo, exec_lo, s12
	;;#ASMSTART
	v_pk_mul_f16 v0, v66, v35;

	;;#ASMEND
	;;#ASMSTART
	v_pk_mul_f16 v4, v64, v22;

	;;#ASMEND
	;; [unrolled: 4-line block ×4, first 2 shown]
	;;#ASMSTART
	v_pk_add_f16 v0, v0, v4;

	;;#ASMEND
	;;#ASMSTART
	v_pk_add_f16 v0, v0, v5;

	;;#ASMEND
	;; [unrolled: 4-line block ×3, first 2 shown]
	v_and_b32_e32 v4, 0xffff, v0
	v_lshrrev_b32_e32 v0, 16, v0
	;;#ASMSTART
	v_cvt_f32_f16 v82, v4;
	;;#ASMEND
	;;#ASMSTART
	v_cvt_f32_f16 v83, v0;
	;;#ASMEND
	flat_load_dwordx2 v[11:12], v[9:10] offset:512
	flat_load_dword v4, v[26:27]
	v_mov_b32_e32 v5, 0
	v_mov_b32_e32 v22, 0
	s_waitcnt vmcnt(1) lgkmcnt(1)
	v_cmp_ne_u16_sdwa s4, v11, v1 src0_sel:BYTE_0 src1_sel:DWORD
	s_and_saveexec_b32 s12, s4
	s_cbranch_execz .LBB321_1067
; %bb.1060:                             ;   in Loop: Header=BB321_927 Depth=1
	v_cmp_ne_u16_sdwa s4, v11, v16 src0_sel:BYTE_0 src1_sel:DWORD
	v_mov_b32_e32 v22, 0x8000
	s_and_saveexec_b32 s13, s4
	s_cbranch_execz .LBB321_1066
; %bb.1061:                             ;   in Loop: Header=BB321_927 Depth=1
	v_and_b32_e32 v23, 0x7f, v11
	v_mov_b32_e32 v22, 0x7c01
	s_mov_b32 s15, exec_lo
	v_cmpx_ne_u32_e32 0x7f, v23
	s_cbranch_execz .LBB321_1065
; %bb.1062:                             ;   in Loop: Header=BB321_927 Depth=1
	v_and_b32_e32 v0, 7, v11
	v_lshrrev_b32_e32 v6, 3, v23
	s_mov_b32 s18, exec_lo
	v_cmpx_gt_u32_e32 8, v23
; %bb.1063:                             ;   in Loop: Header=BB321_927 Depth=1
	v_ffbh_u32_e32 v0, v0
	v_min_u32_e32 v0, 32, v0
	v_subrev_nc_u32_e32 v6, 28, v0
	v_lshlrev_b64 v[22:23], v6, v[11:12]
	v_sub_nc_u32_e32 v6, 29, v0
	v_and_b32_e32 v0, 7, v22
; %bb.1064:                             ;   in Loop: Header=BB321_927 Depth=1
	s_or_b32 exec_lo, exec_lo, s18
	v_lshlrev_b32_e32 v22, 8, v11
	v_lshl_add_u32 v6, v6, 10, 0x2000
	v_lshlrev_b32_e32 v0, 7, v0
	v_and_b32_e32 v22, 0x8000, v22
	v_and_b32_e32 v6, 0xfc00, v6
	v_or3_b32 v22, v22, v6, v0
.LBB321_1065:                           ;   in Loop: Header=BB321_927 Depth=1
	s_or_b32 exec_lo, exec_lo, s15
.LBB321_1066:                           ;   in Loop: Header=BB321_927 Depth=1
	s_or_b32 exec_lo, exec_lo, s13
.LBB321_1067:                           ;   in Loop: Header=BB321_927 Depth=1
	s_or_b32 exec_lo, exec_lo, s12
	v_lshrrev_b16 v0, 8, v11
	s_mov_b32 s12, exec_lo
	v_cmpx_ne_u16_e32 0, v0
	s_cbranch_execz .LBB321_1075
; %bb.1068:                             ;   in Loop: Header=BB321_927 Depth=1
	v_bfrev_b32_e32 v5, 1
	s_mov_b32 s13, exec_lo
	v_cmpx_ne_u16_e32 0x80, v0
	s_cbranch_execz .LBB321_1074
; %bb.1069:                             ;   in Loop: Header=BB321_927 Depth=1
	v_and_b32_sdwa v23, v0, v17 dst_sel:DWORD dst_unused:UNUSED_PAD src0_sel:WORD_0 src1_sel:DWORD
	v_mov_b32_e32 v5, 0x7c010000
	s_mov_b32 s15, exec_lo
	v_cmpx_ne_u32_e32 0x7f, v23
	s_cbranch_execz .LBB321_1073
; %bb.1070:                             ;   in Loop: Header=BB321_927 Depth=1
	v_and_b32_sdwa v5, v0, v37 dst_sel:DWORD dst_unused:UNUSED_PAD src0_sel:WORD_0 src1_sel:DWORD
	v_lshrrev_b32_e32 v6, 3, v23
	s_mov_b32 s18, exec_lo
	v_cmpx_gt_u32_e32 8, v23
; %bb.1071:                             ;   in Loop: Header=BB321_927 Depth=1
	v_ffbh_u32_e32 v5, v5
	v_min_u32_e32 v23, 32, v5
	v_subrev_nc_u32_e32 v5, 28, v23
	v_lshlrev_b64 v[5:6], v5, v[0:1]
	v_sub_nc_u32_e32 v6, 29, v23
	v_and_b32_e32 v5, 7, v5
; %bb.1072:                             ;   in Loop: Header=BB321_927 Depth=1
	s_or_b32 exec_lo, exec_lo, s18
	v_lshlrev_b32_sdwa v0, v52, v0 dst_sel:DWORD dst_unused:UNUSED_PAD src0_sel:DWORD src1_sel:WORD_0
	v_lshl_add_u32 v6, v6, 10, 0x2000
	v_lshlrev_b32_e32 v5, 23, v5
	v_and_or_b32 v0, 0x8000, v0, v6
	v_lshl_or_b32 v5, v0, 16, v5
.LBB321_1073:                           ;   in Loop: Header=BB321_927 Depth=1
	s_or_b32 exec_lo, exec_lo, s15
.LBB321_1074:                           ;   in Loop: Header=BB321_927 Depth=1
	s_or_b32 exec_lo, exec_lo, s13
.LBB321_1075:                           ;   in Loop: Header=BB321_927 Depth=1
	s_or_b32 exec_lo, exec_lo, s12
	v_lshrrev_b32_e32 v0, 16, v11
	v_mov_b32_e32 v6, 0
	v_mov_b32_e32 v23, 0
	v_cmp_ne_u16_sdwa s4, v0, v1 src0_sel:BYTE_0 src1_sel:DWORD
	s_and_saveexec_b32 s12, s4
	s_cbranch_execz .LBB321_1083
; %bb.1076:                             ;   in Loop: Header=BB321_927 Depth=1
	v_cmp_ne_u16_sdwa s4, v0, v16 src0_sel:BYTE_0 src1_sel:DWORD
	v_mov_b32_e32 v23, 0x8000
	s_and_saveexec_b32 s13, s4
	s_cbranch_execz .LBB321_1082
; %bb.1077:                             ;   in Loop: Header=BB321_927 Depth=1
	v_bfe_u32 v34, v11, 16, 7
	v_mov_b32_e32 v23, 0x7c01
	s_mov_b32 s15, exec_lo
	v_cmpx_ne_u32_e32 0x7f, v34
	s_cbranch_execz .LBB321_1081
; %bb.1078:                             ;   in Loop: Header=BB321_927 Depth=1
	v_and_b32_e32 v23, 7, v0
	v_lshrrev_b32_e32 v32, 3, v34
	s_mov_b32 s18, exec_lo
	v_cmpx_gt_u32_e32 8, v34
; %bb.1079:                             ;   in Loop: Header=BB321_927 Depth=1
	v_ffbh_u32_e32 v23, v23
	v_min_u32_e32 v23, 32, v23
	v_subrev_nc_u32_e32 v32, 28, v23
	v_lshlrev_b64 v[34:35], v32, v[0:1]
	v_sub_nc_u32_e32 v32, 29, v23
	v_and_b32_e32 v23, 7, v34
; %bb.1080:                             ;   in Loop: Header=BB321_927 Depth=1
	s_or_b32 exec_lo, exec_lo, s18
	v_lshlrev_b32_e32 v0, 8, v0
	v_lshl_add_u32 v32, v32, 10, 0x2000
	v_lshlrev_b32_e32 v23, 7, v23
	v_and_b32_e32 v0, 0x8000, v0
	v_and_b32_e32 v32, 0xfc00, v32
	v_or3_b32 v23, v0, v32, v23
.LBB321_1081:                           ;   in Loop: Header=BB321_927 Depth=1
	s_or_b32 exec_lo, exec_lo, s15
.LBB321_1082:                           ;   in Loop: Header=BB321_927 Depth=1
	s_or_b32 exec_lo, exec_lo, s13
.LBB321_1083:                           ;   in Loop: Header=BB321_927 Depth=1
	s_or_b32 exec_lo, exec_lo, s12
	s_mov_b32 s12, exec_lo
	v_cmpx_lt_u32_e32 0xffffff, v11
	s_cbranch_execz .LBB321_1091
; %bb.1084:                             ;   in Loop: Header=BB321_927 Depth=1
	v_lshrrev_b32_e32 v0, 24, v11
	v_bfrev_b32_e32 v6, 1
	s_mov_b32 s13, exec_lo
	v_cmpx_ne_u32_e32 0x80, v0
	s_cbranch_execz .LBB321_1090
; %bb.1085:                             ;   in Loop: Header=BB321_927 Depth=1
	v_and_b32_e32 v34, 0x7f, v0
	v_mov_b32_e32 v6, 0x7c010000
	s_mov_b32 s15, exec_lo
	v_cmpx_ne_u32_e32 0x7f, v34
	s_cbranch_execz .LBB321_1089
; %bb.1086:                             ;   in Loop: Header=BB321_927 Depth=1
	v_and_b32_e32 v6, 7, v0
	v_lshrrev_b32_e32 v32, 3, v34
	s_mov_b32 s18, exec_lo
	v_cmpx_gt_u32_e32 8, v34
; %bb.1087:                             ;   in Loop: Header=BB321_927 Depth=1
	v_ffbh_u32_e32 v6, v6
	v_min_u32_e32 v6, 32, v6
	v_subrev_nc_u32_e32 v32, 28, v6
	v_lshlrev_b64 v[34:35], v32, v[0:1]
	v_sub_nc_u32_e32 v32, 29, v6
	v_and_b32_e32 v6, 7, v34
; %bb.1088:                             ;   in Loop: Header=BB321_927 Depth=1
	s_or_b32 exec_lo, exec_lo, s18
	v_lshlrev_b32_e32 v0, 8, v0
	v_lshl_add_u32 v32, v32, 10, 0x2000
	v_lshlrev_b32_e32 v6, 23, v6
	v_and_or_b32 v0, 0x8000, v0, v32
	v_lshl_or_b32 v6, v0, 16, v6
.LBB321_1089:                           ;   in Loop: Header=BB321_927 Depth=1
	s_or_b32 exec_lo, exec_lo, s15
.LBB321_1090:                           ;   in Loop: Header=BB321_927 Depth=1
	s_or_b32 exec_lo, exec_lo, s13
.LBB321_1091:                           ;   in Loop: Header=BB321_927 Depth=1
	s_or_b32 exec_lo, exec_lo, s12
	v_mov_b32_e32 v0, v12
	v_cmp_ne_u16_sdwa s4, v12, v1 src0_sel:BYTE_0 src1_sel:DWORD
	v_mov_b32_e32 v32, 0
	v_mov_b32_e32 v34, 0
	s_and_saveexec_b32 s12, s4
	s_cbranch_execz .LBB321_1099
; %bb.1092:                             ;   in Loop: Header=BB321_927 Depth=1
	v_cmp_ne_u16_sdwa s4, v12, v16 src0_sel:BYTE_0 src1_sel:DWORD
	v_mov_b32_e32 v34, 0x8000
	s_and_saveexec_b32 s13, s4
	s_cbranch_execz .LBB321_1098
; %bb.1093:                             ;   in Loop: Header=BB321_927 Depth=1
	v_and_b32_e32 v84, 0x7f, v12
	v_mov_b32_e32 v34, 0x7c01
	s_mov_b32 s15, exec_lo
	v_cmpx_ne_u32_e32 0x7f, v84
	s_cbranch_execz .LBB321_1097
; %bb.1094:                             ;   in Loop: Header=BB321_927 Depth=1
	v_and_b32_e32 v34, 7, v12
	v_lshrrev_b32_e32 v35, 3, v84
	s_mov_b32 s18, exec_lo
	v_cmpx_gt_u32_e32 8, v84
; %bb.1095:                             ;   in Loop: Header=BB321_927 Depth=1
	v_ffbh_u32_e32 v34, v34
	v_min_u32_e32 v84, 32, v34
	v_subrev_nc_u32_e32 v34, 28, v84
	v_lshlrev_b64 v[34:35], v34, v[0:1]
	v_sub_nc_u32_e32 v35, 29, v84
	v_and_b32_e32 v34, 7, v34
; %bb.1096:                             ;   in Loop: Header=BB321_927 Depth=1
	s_or_b32 exec_lo, exec_lo, s18
	v_lshlrev_b32_e32 v84, 8, v12
	v_lshl_add_u32 v35, v35, 10, 0x2000
	v_lshlrev_b32_e32 v34, 7, v34
	v_and_b32_e32 v84, 0x8000, v84
	v_and_b32_e32 v35, 0xfc00, v35
	v_or3_b32 v34, v84, v35, v34
.LBB321_1097:                           ;   in Loop: Header=BB321_927 Depth=1
	s_or_b32 exec_lo, exec_lo, s15
.LBB321_1098:                           ;   in Loop: Header=BB321_927 Depth=1
	s_or_b32 exec_lo, exec_lo, s13
.LBB321_1099:                           ;   in Loop: Header=BB321_927 Depth=1
	s_or_b32 exec_lo, exec_lo, s12
	v_lshrrev_b16 v0, 8, v0
	v_mov_b32_e32 v35, 0
	s_mov_b32 s12, exec_lo
	v_cmpx_ne_u16_e32 0, v0
	s_cbranch_execz .LBB321_1107
; %bb.1100:                             ;   in Loop: Header=BB321_927 Depth=1
	v_bfrev_b32_e32 v35, 1
	s_mov_b32 s13, exec_lo
	v_cmpx_ne_u16_e32 0x80, v0
	s_cbranch_execz .LBB321_1106
; %bb.1101:                             ;   in Loop: Header=BB321_927 Depth=1
	v_and_b32_sdwa v85, v0, v17 dst_sel:DWORD dst_unused:UNUSED_PAD src0_sel:WORD_0 src1_sel:DWORD
	v_mov_b32_e32 v35, 0x7c010000
	s_mov_b32 s15, exec_lo
	v_cmpx_ne_u32_e32 0x7f, v85
	s_cbranch_execz .LBB321_1105
; %bb.1102:                             ;   in Loop: Header=BB321_927 Depth=1
	v_and_b32_sdwa v35, v0, v37 dst_sel:DWORD dst_unused:UNUSED_PAD src0_sel:WORD_0 src1_sel:DWORD
	v_lshrrev_b32_e32 v84, 3, v85
	s_mov_b32 s18, exec_lo
	v_cmpx_gt_u32_e32 8, v85
; %bb.1103:                             ;   in Loop: Header=BB321_927 Depth=1
	v_ffbh_u32_e32 v35, v35
	v_min_u32_e32 v35, 32, v35
	v_subrev_nc_u32_e32 v84, 28, v35
	v_lshlrev_b64 v[85:86], v84, v[0:1]
	v_sub_nc_u32_e32 v84, 29, v35
	v_and_b32_e32 v35, 7, v85
; %bb.1104:                             ;   in Loop: Header=BB321_927 Depth=1
	s_or_b32 exec_lo, exec_lo, s18
	v_lshlrev_b32_sdwa v0, v52, v0 dst_sel:DWORD dst_unused:UNUSED_PAD src0_sel:DWORD src1_sel:WORD_0
	v_lshl_add_u32 v84, v84, 10, 0x2000
	v_lshlrev_b32_e32 v35, 23, v35
	v_and_or_b32 v0, 0x8000, v0, v84
	v_lshl_or_b32 v35, v0, 16, v35
.LBB321_1105:                           ;   in Loop: Header=BB321_927 Depth=1
	s_or_b32 exec_lo, exec_lo, s15
.LBB321_1106:                           ;   in Loop: Header=BB321_927 Depth=1
	s_or_b32 exec_lo, exec_lo, s13
.LBB321_1107:                           ;   in Loop: Header=BB321_927 Depth=1
	s_or_b32 exec_lo, exec_lo, s12
	v_lshrrev_b32_e32 v0, 16, v12
	v_cmp_ne_u16_sdwa s4, v0, v1 src0_sel:BYTE_0 src1_sel:DWORD
	s_and_saveexec_b32 s12, s4
	s_cbranch_execz .LBB321_1115
; %bb.1108:                             ;   in Loop: Header=BB321_927 Depth=1
	v_cmp_ne_u16_sdwa s4, v0, v16 src0_sel:BYTE_0 src1_sel:DWORD
	v_mov_b32_e32 v32, 0x8000
	s_and_saveexec_b32 s13, s4
	s_cbranch_execz .LBB321_1114
; %bb.1109:                             ;   in Loop: Header=BB321_927 Depth=1
	v_bfe_u32 v85, v12, 16, 7
	v_mov_b32_e32 v32, 0x7c01
	s_mov_b32 s15, exec_lo
	v_cmpx_ne_u32_e32 0x7f, v85
	s_cbranch_execz .LBB321_1113
; %bb.1110:                             ;   in Loop: Header=BB321_927 Depth=1
	v_and_b32_e32 v32, 7, v0
	v_lshrrev_b32_e32 v84, 3, v85
	s_mov_b32 s18, exec_lo
	v_cmpx_gt_u32_e32 8, v85
; %bb.1111:                             ;   in Loop: Header=BB321_927 Depth=1
	v_ffbh_u32_e32 v32, v32
	v_min_u32_e32 v32, 32, v32
	v_subrev_nc_u32_e32 v84, 28, v32
	v_lshlrev_b64 v[85:86], v84, v[0:1]
	v_sub_nc_u32_e32 v84, 29, v32
	v_and_b32_e32 v32, 7, v85
; %bb.1112:                             ;   in Loop: Header=BB321_927 Depth=1
	s_or_b32 exec_lo, exec_lo, s18
	v_lshlrev_b32_e32 v0, 8, v0
	v_lshl_add_u32 v84, v84, 10, 0x2000
	v_lshlrev_b32_e32 v32, 7, v32
	v_and_b32_e32 v0, 0x8000, v0
	v_and_b32_e32 v84, 0xfc00, v84
	v_or3_b32 v32, v0, v84, v32
.LBB321_1113:                           ;   in Loop: Header=BB321_927 Depth=1
	s_or_b32 exec_lo, exec_lo, s15
.LBB321_1114:                           ;   in Loop: Header=BB321_927 Depth=1
	s_or_b32 exec_lo, exec_lo, s13
.LBB321_1115:                           ;   in Loop: Header=BB321_927 Depth=1
	s_or_b32 exec_lo, exec_lo, s12
	v_cmp_lt_u64_e64 s4, s[8:9], v[11:12]
	v_mov_b32_e32 v11, 0
	s_and_saveexec_b32 s12, s4
	s_cbranch_execz .LBB321_1123
; %bb.1116:                             ;   in Loop: Header=BB321_927 Depth=1
	v_lshrrev_b32_e32 v0, 24, v12
	v_bfrev_b32_e32 v11, 1
	s_mov_b32 s13, exec_lo
	v_cmpx_ne_u32_e32 0x80, v0
	s_cbranch_execz .LBB321_1122
; %bb.1117:                             ;   in Loop: Header=BB321_927 Depth=1
	v_and_b32_e32 v84, 0x7f, v0
	v_mov_b32_e32 v11, 0x7c010000
	s_mov_b32 s15, exec_lo
	v_cmpx_ne_u32_e32 0x7f, v84
	s_cbranch_execz .LBB321_1121
; %bb.1118:                             ;   in Loop: Header=BB321_927 Depth=1
	v_and_b32_e32 v11, 7, v0
	v_lshrrev_b32_e32 v12, 3, v84
	s_mov_b32 s18, exec_lo
	v_cmpx_gt_u32_e32 8, v84
; %bb.1119:                             ;   in Loop: Header=BB321_927 Depth=1
	v_ffbh_u32_e32 v11, v11
	v_min_u32_e32 v84, 32, v11
	v_subrev_nc_u32_e32 v11, 28, v84
	v_lshlrev_b64 v[11:12], v11, v[0:1]
	v_sub_nc_u32_e32 v12, 29, v84
	v_and_b32_e32 v11, 7, v11
; %bb.1120:                             ;   in Loop: Header=BB321_927 Depth=1
	s_or_b32 exec_lo, exec_lo, s18
	v_lshlrev_b32_e32 v0, 8, v0
	v_lshl_add_u32 v12, v12, 10, 0x2000
	v_lshlrev_b32_e32 v11, 23, v11
	v_and_or_b32 v0, 0x8000, v0, v12
	v_lshl_or_b32 v11, v0, 16, v11
.LBB321_1121:                           ;   in Loop: Header=BB321_927 Depth=1
	s_or_b32 exec_lo, exec_lo, s15
.LBB321_1122:                           ;   in Loop: Header=BB321_927 Depth=1
	s_or_b32 exec_lo, exec_lo, s13
.LBB321_1123:                           ;   in Loop: Header=BB321_927 Depth=1
	s_or_b32 exec_lo, exec_lo, s12
	v_or_b32_e32 v0, v6, v23
	s_waitcnt vmcnt(0) lgkmcnt(0)
	v_fma_mixlo_f16 v6, v4, v6, 0 op_sel:[0,1,0] op_sel_hi:[0,1,0]
	v_or_b32_e32 v22, v5, v22
	v_or_b32_e32 v23, v35, v34
	;; [unrolled: 1-line block ×3, first 2 shown]
	v_fma_mixlo_f16 v5, v4, v5, 0 op_sel:[0,1,0] op_sel_hi:[0,1,0]
	v_fma_mixlo_f16 v34, v4, v0, 0 op_sel_hi:[0,1,0]
	v_lshlrev_b32_e32 v0, 16, v6
	v_fma_mixlo_f16 v6, v4, v22, 0 op_sel_hi:[0,1,0]
	v_fma_mixlo_f16 v22, v4, v35, 0 op_sel:[0,1,0] op_sel_hi:[0,1,0]
	v_fma_mixlo_f16 v23, v4, v23, 0 op_sel_hi:[0,1,0]
	v_fma_mixlo_f16 v11, v4, v11, 0 op_sel:[0,1,0] op_sel_hi:[0,1,0]
	v_fma_mixlo_f16 v32, v4, v32, 0 op_sel_hi:[0,1,0]
	v_lshlrev_b32_e32 v12, 16, v5
	v_and_b32_e32 v5, 0xffff, v34
	v_and_b32_e32 v84, 0xffff, v6
	v_lshlrev_b32_e32 v6, 16, v22
	v_and_b32_e32 v23, 0xffff, v23
	v_lshlrev_b32_e32 v4, 16, v11
	v_and_b32_e32 v11, 0xffff, v32
	v_or_b32_e32 v22, v0, v5
	v_or_b32_e32 v35, v12, v84
	;; [unrolled: 1-line block ×4, first 2 shown]
	s_and_saveexec_b32 s12, vcc_lo
	s_cbranch_execz .LBB321_1125
; %bb.1124:                             ;   in Loop: Header=BB321_927 Depth=1
	v_cmp_lt_i32_e64 s4, v53, v33
	v_cndmask_b32_e64 v22, 0, v84, s4
	v_cmp_lt_i32_e64 s4, v81, v33
	v_cndmask_b32_e64 v12, 0, v12, s4
	v_cmp_lt_i32_e64 s4, v80, v33
	v_or_b32_e32 v35, v22, v12
	v_cndmask_b32_e64 v5, 0, v5, s4
	v_cmp_lt_i32_e64 s4, v71, v33
	v_cndmask_b32_e64 v0, 0, v0, s4
	v_cmp_lt_i32_e64 s4, v70, v33
	v_or_b32_e32 v22, v5, v0
	;; [unrolled: 5-line block ×3, first 2 shown]
	v_cndmask_b32_e64 v11, 0, v11, s4
	v_cmp_lt_i32_e64 s4, v14, v33
	v_cndmask_b32_e64 v4, 0, v4, s4
	v_or_b32_e32 v32, v11, v4
.LBB321_1125:                           ;   in Loop: Header=BB321_927 Depth=1
	s_or_b32 exec_lo, exec_lo, s12
	;;#ASMSTART
	v_pk_mul_f16 v0, v66, v35;

	;;#ASMEND
	;;#ASMSTART
	v_pk_mul_f16 v4, v64, v22;

	;;#ASMEND
	;; [unrolled: 4-line block ×4, first 2 shown]
	;;#ASMSTART
	v_pk_add_f16 v0, v0, v4;

	;;#ASMEND
	;;#ASMSTART
	v_pk_add_f16 v0, v0, v5;

	;;#ASMEND
	;; [unrolled: 4-line block ×3, first 2 shown]
	v_and_b32_e32 v4, 0xffff, v0
	v_lshrrev_b32_e32 v0, 16, v0
	;;#ASMSTART
	v_cvt_f32_f16 v84, v4;
	;;#ASMEND
	;;#ASMSTART
	v_cvt_f32_f16 v85, v0;
	;;#ASMEND
	flat_load_dwordx2 v[11:12], v[9:10] offset:768
	flat_load_dword v4, v[26:27]
	v_mov_b32_e32 v5, 0
	v_mov_b32_e32 v22, 0
	s_waitcnt vmcnt(1) lgkmcnt(1)
	v_cmp_ne_u16_sdwa s4, v11, v1 src0_sel:BYTE_0 src1_sel:DWORD
	s_and_saveexec_b32 s12, s4
	s_cbranch_execz .LBB321_1133
; %bb.1126:                             ;   in Loop: Header=BB321_927 Depth=1
	v_cmp_ne_u16_sdwa s4, v11, v16 src0_sel:BYTE_0 src1_sel:DWORD
	v_mov_b32_e32 v22, 0x8000
	s_and_saveexec_b32 s13, s4
	s_cbranch_execz .LBB321_1132
; %bb.1127:                             ;   in Loop: Header=BB321_927 Depth=1
	v_and_b32_e32 v23, 0x7f, v11
	v_mov_b32_e32 v22, 0x7c01
	s_mov_b32 s15, exec_lo
	v_cmpx_ne_u32_e32 0x7f, v23
	s_cbranch_execz .LBB321_1131
; %bb.1128:                             ;   in Loop: Header=BB321_927 Depth=1
	v_and_b32_e32 v0, 7, v11
	v_lshrrev_b32_e32 v6, 3, v23
	s_mov_b32 s18, exec_lo
	v_cmpx_gt_u32_e32 8, v23
; %bb.1129:                             ;   in Loop: Header=BB321_927 Depth=1
	v_ffbh_u32_e32 v0, v0
	v_min_u32_e32 v0, 32, v0
	v_subrev_nc_u32_e32 v6, 28, v0
	v_lshlrev_b64 v[22:23], v6, v[11:12]
	v_sub_nc_u32_e32 v6, 29, v0
	v_and_b32_e32 v0, 7, v22
; %bb.1130:                             ;   in Loop: Header=BB321_927 Depth=1
	s_or_b32 exec_lo, exec_lo, s18
	v_lshlrev_b32_e32 v22, 8, v11
	v_lshl_add_u32 v6, v6, 10, 0x2000
	v_lshlrev_b32_e32 v0, 7, v0
	v_and_b32_e32 v22, 0x8000, v22
	v_and_b32_e32 v6, 0xfc00, v6
	v_or3_b32 v22, v22, v6, v0
.LBB321_1131:                           ;   in Loop: Header=BB321_927 Depth=1
	s_or_b32 exec_lo, exec_lo, s15
.LBB321_1132:                           ;   in Loop: Header=BB321_927 Depth=1
	s_or_b32 exec_lo, exec_lo, s13
.LBB321_1133:                           ;   in Loop: Header=BB321_927 Depth=1
	s_or_b32 exec_lo, exec_lo, s12
	v_lshrrev_b16 v0, 8, v11
	s_mov_b32 s12, exec_lo
	v_cmpx_ne_u16_e32 0, v0
	s_cbranch_execz .LBB321_1141
; %bb.1134:                             ;   in Loop: Header=BB321_927 Depth=1
	v_bfrev_b32_e32 v5, 1
	s_mov_b32 s13, exec_lo
	v_cmpx_ne_u16_e32 0x80, v0
	s_cbranch_execz .LBB321_1140
; %bb.1135:                             ;   in Loop: Header=BB321_927 Depth=1
	v_and_b32_sdwa v23, v0, v17 dst_sel:DWORD dst_unused:UNUSED_PAD src0_sel:WORD_0 src1_sel:DWORD
	v_mov_b32_e32 v5, 0x7c010000
	s_mov_b32 s15, exec_lo
	v_cmpx_ne_u32_e32 0x7f, v23
	s_cbranch_execz .LBB321_1139
; %bb.1136:                             ;   in Loop: Header=BB321_927 Depth=1
	v_and_b32_sdwa v5, v0, v37 dst_sel:DWORD dst_unused:UNUSED_PAD src0_sel:WORD_0 src1_sel:DWORD
	v_lshrrev_b32_e32 v6, 3, v23
	s_mov_b32 s18, exec_lo
	v_cmpx_gt_u32_e32 8, v23
; %bb.1137:                             ;   in Loop: Header=BB321_927 Depth=1
	v_ffbh_u32_e32 v5, v5
	v_min_u32_e32 v23, 32, v5
	v_subrev_nc_u32_e32 v5, 28, v23
	v_lshlrev_b64 v[5:6], v5, v[0:1]
	v_sub_nc_u32_e32 v6, 29, v23
	v_and_b32_e32 v5, 7, v5
; %bb.1138:                             ;   in Loop: Header=BB321_927 Depth=1
	s_or_b32 exec_lo, exec_lo, s18
	v_lshlrev_b32_sdwa v0, v52, v0 dst_sel:DWORD dst_unused:UNUSED_PAD src0_sel:DWORD src1_sel:WORD_0
	v_lshl_add_u32 v6, v6, 10, 0x2000
	v_lshlrev_b32_e32 v5, 23, v5
	v_and_or_b32 v0, 0x8000, v0, v6
	v_lshl_or_b32 v5, v0, 16, v5
.LBB321_1139:                           ;   in Loop: Header=BB321_927 Depth=1
	s_or_b32 exec_lo, exec_lo, s15
.LBB321_1140:                           ;   in Loop: Header=BB321_927 Depth=1
	s_or_b32 exec_lo, exec_lo, s13
.LBB321_1141:                           ;   in Loop: Header=BB321_927 Depth=1
	s_or_b32 exec_lo, exec_lo, s12
	v_lshrrev_b32_e32 v0, 16, v11
	v_mov_b32_e32 v6, 0
	v_mov_b32_e32 v23, 0
	v_cmp_ne_u16_sdwa s4, v0, v1 src0_sel:BYTE_0 src1_sel:DWORD
	s_and_saveexec_b32 s12, s4
	s_cbranch_execz .LBB321_1149
; %bb.1142:                             ;   in Loop: Header=BB321_927 Depth=1
	v_cmp_ne_u16_sdwa s4, v0, v16 src0_sel:BYTE_0 src1_sel:DWORD
	v_mov_b32_e32 v23, 0x8000
	s_and_saveexec_b32 s13, s4
	s_cbranch_execz .LBB321_1148
; %bb.1143:                             ;   in Loop: Header=BB321_927 Depth=1
	v_bfe_u32 v34, v11, 16, 7
	v_mov_b32_e32 v23, 0x7c01
	s_mov_b32 s15, exec_lo
	v_cmpx_ne_u32_e32 0x7f, v34
	s_cbranch_execz .LBB321_1147
; %bb.1144:                             ;   in Loop: Header=BB321_927 Depth=1
	v_and_b32_e32 v23, 7, v0
	v_lshrrev_b32_e32 v32, 3, v34
	s_mov_b32 s18, exec_lo
	v_cmpx_gt_u32_e32 8, v34
; %bb.1145:                             ;   in Loop: Header=BB321_927 Depth=1
	v_ffbh_u32_e32 v23, v23
	v_min_u32_e32 v23, 32, v23
	v_subrev_nc_u32_e32 v32, 28, v23
	v_lshlrev_b64 v[34:35], v32, v[0:1]
	v_sub_nc_u32_e32 v32, 29, v23
	v_and_b32_e32 v23, 7, v34
; %bb.1146:                             ;   in Loop: Header=BB321_927 Depth=1
	s_or_b32 exec_lo, exec_lo, s18
	v_lshlrev_b32_e32 v0, 8, v0
	v_lshl_add_u32 v32, v32, 10, 0x2000
	v_lshlrev_b32_e32 v23, 7, v23
	v_and_b32_e32 v0, 0x8000, v0
	v_and_b32_e32 v32, 0xfc00, v32
	v_or3_b32 v23, v0, v32, v23
.LBB321_1147:                           ;   in Loop: Header=BB321_927 Depth=1
	s_or_b32 exec_lo, exec_lo, s15
.LBB321_1148:                           ;   in Loop: Header=BB321_927 Depth=1
	s_or_b32 exec_lo, exec_lo, s13
.LBB321_1149:                           ;   in Loop: Header=BB321_927 Depth=1
	s_or_b32 exec_lo, exec_lo, s12
	s_mov_b32 s12, exec_lo
	v_cmpx_lt_u32_e32 0xffffff, v11
	s_cbranch_execz .LBB321_1157
; %bb.1150:                             ;   in Loop: Header=BB321_927 Depth=1
	v_lshrrev_b32_e32 v0, 24, v11
	v_bfrev_b32_e32 v6, 1
	s_mov_b32 s13, exec_lo
	v_cmpx_ne_u32_e32 0x80, v0
	s_cbranch_execz .LBB321_1156
; %bb.1151:                             ;   in Loop: Header=BB321_927 Depth=1
	v_and_b32_e32 v34, 0x7f, v0
	v_mov_b32_e32 v6, 0x7c010000
	s_mov_b32 s15, exec_lo
	v_cmpx_ne_u32_e32 0x7f, v34
	s_cbranch_execz .LBB321_1155
; %bb.1152:                             ;   in Loop: Header=BB321_927 Depth=1
	v_and_b32_e32 v6, 7, v0
	v_lshrrev_b32_e32 v32, 3, v34
	s_mov_b32 s18, exec_lo
	v_cmpx_gt_u32_e32 8, v34
; %bb.1153:                             ;   in Loop: Header=BB321_927 Depth=1
	v_ffbh_u32_e32 v6, v6
	v_min_u32_e32 v6, 32, v6
	v_subrev_nc_u32_e32 v32, 28, v6
	v_lshlrev_b64 v[34:35], v32, v[0:1]
	v_sub_nc_u32_e32 v32, 29, v6
	v_and_b32_e32 v6, 7, v34
; %bb.1154:                             ;   in Loop: Header=BB321_927 Depth=1
	s_or_b32 exec_lo, exec_lo, s18
	v_lshlrev_b32_e32 v0, 8, v0
	v_lshl_add_u32 v32, v32, 10, 0x2000
	v_lshlrev_b32_e32 v6, 23, v6
	v_and_or_b32 v0, 0x8000, v0, v32
	v_lshl_or_b32 v6, v0, 16, v6
.LBB321_1155:                           ;   in Loop: Header=BB321_927 Depth=1
	s_or_b32 exec_lo, exec_lo, s15
.LBB321_1156:                           ;   in Loop: Header=BB321_927 Depth=1
	s_or_b32 exec_lo, exec_lo, s13
.LBB321_1157:                           ;   in Loop: Header=BB321_927 Depth=1
	s_or_b32 exec_lo, exec_lo, s12
	v_mov_b32_e32 v0, v12
	v_cmp_ne_u16_sdwa s4, v12, v1 src0_sel:BYTE_0 src1_sel:DWORD
	v_mov_b32_e32 v32, 0
	v_mov_b32_e32 v34, 0
	s_and_saveexec_b32 s12, s4
	s_cbranch_execz .LBB321_1165
; %bb.1158:                             ;   in Loop: Header=BB321_927 Depth=1
	v_cmp_ne_u16_sdwa s4, v12, v16 src0_sel:BYTE_0 src1_sel:DWORD
	v_mov_b32_e32 v34, 0x8000
	s_and_saveexec_b32 s13, s4
	s_cbranch_execz .LBB321_1164
; %bb.1159:                             ;   in Loop: Header=BB321_927 Depth=1
	v_and_b32_e32 v86, 0x7f, v12
	v_mov_b32_e32 v34, 0x7c01
	s_mov_b32 s15, exec_lo
	v_cmpx_ne_u32_e32 0x7f, v86
	s_cbranch_execz .LBB321_1163
; %bb.1160:                             ;   in Loop: Header=BB321_927 Depth=1
	v_and_b32_e32 v34, 7, v12
	v_lshrrev_b32_e32 v35, 3, v86
	s_mov_b32 s18, exec_lo
	v_cmpx_gt_u32_e32 8, v86
; %bb.1161:                             ;   in Loop: Header=BB321_927 Depth=1
	v_ffbh_u32_e32 v34, v34
	v_min_u32_e32 v86, 32, v34
	v_subrev_nc_u32_e32 v34, 28, v86
	v_lshlrev_b64 v[34:35], v34, v[0:1]
	v_sub_nc_u32_e32 v35, 29, v86
	v_and_b32_e32 v34, 7, v34
; %bb.1162:                             ;   in Loop: Header=BB321_927 Depth=1
	s_or_b32 exec_lo, exec_lo, s18
	v_lshlrev_b32_e32 v86, 8, v12
	v_lshl_add_u32 v35, v35, 10, 0x2000
	v_lshlrev_b32_e32 v34, 7, v34
	v_and_b32_e32 v86, 0x8000, v86
	v_and_b32_e32 v35, 0xfc00, v35
	v_or3_b32 v34, v86, v35, v34
.LBB321_1163:                           ;   in Loop: Header=BB321_927 Depth=1
	s_or_b32 exec_lo, exec_lo, s15
.LBB321_1164:                           ;   in Loop: Header=BB321_927 Depth=1
	s_or_b32 exec_lo, exec_lo, s13
.LBB321_1165:                           ;   in Loop: Header=BB321_927 Depth=1
	s_or_b32 exec_lo, exec_lo, s12
	v_lshrrev_b16 v0, 8, v0
	v_mov_b32_e32 v35, 0
	s_mov_b32 s12, exec_lo
	v_cmpx_ne_u16_e32 0, v0
	s_cbranch_execz .LBB321_1173
; %bb.1166:                             ;   in Loop: Header=BB321_927 Depth=1
	v_bfrev_b32_e32 v35, 1
	s_mov_b32 s13, exec_lo
	v_cmpx_ne_u16_e32 0x80, v0
	s_cbranch_execz .LBB321_1172
; %bb.1167:                             ;   in Loop: Header=BB321_927 Depth=1
	v_and_b32_sdwa v87, v0, v17 dst_sel:DWORD dst_unused:UNUSED_PAD src0_sel:WORD_0 src1_sel:DWORD
	v_mov_b32_e32 v35, 0x7c010000
	s_mov_b32 s15, exec_lo
	v_cmpx_ne_u32_e32 0x7f, v87
	s_cbranch_execz .LBB321_1171
; %bb.1168:                             ;   in Loop: Header=BB321_927 Depth=1
	v_and_b32_sdwa v35, v0, v37 dst_sel:DWORD dst_unused:UNUSED_PAD src0_sel:WORD_0 src1_sel:DWORD
	v_lshrrev_b32_e32 v86, 3, v87
	s_mov_b32 s18, exec_lo
	v_cmpx_gt_u32_e32 8, v87
; %bb.1169:                             ;   in Loop: Header=BB321_927 Depth=1
	v_ffbh_u32_e32 v35, v35
	v_min_u32_e32 v35, 32, v35
	v_subrev_nc_u32_e32 v86, 28, v35
	v_lshlrev_b64 v[96:97], v86, v[0:1]
	v_sub_nc_u32_e32 v86, 29, v35
	v_and_b32_e32 v35, 7, v96
; %bb.1170:                             ;   in Loop: Header=BB321_927 Depth=1
	s_or_b32 exec_lo, exec_lo, s18
	v_lshlrev_b32_sdwa v0, v52, v0 dst_sel:DWORD dst_unused:UNUSED_PAD src0_sel:DWORD src1_sel:WORD_0
	v_lshl_add_u32 v86, v86, 10, 0x2000
	v_lshlrev_b32_e32 v35, 23, v35
	v_and_or_b32 v0, 0x8000, v0, v86
	v_lshl_or_b32 v35, v0, 16, v35
.LBB321_1171:                           ;   in Loop: Header=BB321_927 Depth=1
	s_or_b32 exec_lo, exec_lo, s15
.LBB321_1172:                           ;   in Loop: Header=BB321_927 Depth=1
	s_or_b32 exec_lo, exec_lo, s13
.LBB321_1173:                           ;   in Loop: Header=BB321_927 Depth=1
	s_or_b32 exec_lo, exec_lo, s12
	v_lshrrev_b32_e32 v0, 16, v12
	v_cmp_ne_u16_sdwa s4, v0, v1 src0_sel:BYTE_0 src1_sel:DWORD
	s_and_saveexec_b32 s12, s4
	s_cbranch_execz .LBB321_1181
; %bb.1174:                             ;   in Loop: Header=BB321_927 Depth=1
	v_cmp_ne_u16_sdwa s4, v0, v16 src0_sel:BYTE_0 src1_sel:DWORD
	v_mov_b32_e32 v32, 0x8000
	s_and_saveexec_b32 s13, s4
	s_cbranch_execz .LBB321_1180
; %bb.1175:                             ;   in Loop: Header=BB321_927 Depth=1
	v_bfe_u32 v87, v12, 16, 7
	v_mov_b32_e32 v32, 0x7c01
	s_mov_b32 s15, exec_lo
	v_cmpx_ne_u32_e32 0x7f, v87
	s_cbranch_execz .LBB321_1179
; %bb.1176:                             ;   in Loop: Header=BB321_927 Depth=1
	v_and_b32_e32 v32, 7, v0
	v_lshrrev_b32_e32 v86, 3, v87
	s_mov_b32 s18, exec_lo
	v_cmpx_gt_u32_e32 8, v87
; %bb.1177:                             ;   in Loop: Header=BB321_927 Depth=1
	v_ffbh_u32_e32 v32, v32
	v_min_u32_e32 v32, 32, v32
	v_subrev_nc_u32_e32 v86, 28, v32
	v_lshlrev_b64 v[96:97], v86, v[0:1]
	v_sub_nc_u32_e32 v86, 29, v32
	v_and_b32_e32 v32, 7, v96
; %bb.1178:                             ;   in Loop: Header=BB321_927 Depth=1
	s_or_b32 exec_lo, exec_lo, s18
	v_lshlrev_b32_e32 v0, 8, v0
	v_lshl_add_u32 v86, v86, 10, 0x2000
	v_lshlrev_b32_e32 v32, 7, v32
	v_and_b32_e32 v0, 0x8000, v0
	v_and_b32_e32 v86, 0xfc00, v86
	v_or3_b32 v32, v0, v86, v32
.LBB321_1179:                           ;   in Loop: Header=BB321_927 Depth=1
	s_or_b32 exec_lo, exec_lo, s15
.LBB321_1180:                           ;   in Loop: Header=BB321_927 Depth=1
	s_or_b32 exec_lo, exec_lo, s13
.LBB321_1181:                           ;   in Loop: Header=BB321_927 Depth=1
	s_or_b32 exec_lo, exec_lo, s12
	v_cmp_lt_u64_e64 s4, s[8:9], v[11:12]
	v_mov_b32_e32 v11, 0
	s_and_saveexec_b32 s12, s4
	s_cbranch_execz .LBB321_1189
; %bb.1182:                             ;   in Loop: Header=BB321_927 Depth=1
	v_lshrrev_b32_e32 v0, 24, v12
	v_bfrev_b32_e32 v11, 1
	s_mov_b32 s13, exec_lo
	v_cmpx_ne_u32_e32 0x80, v0
	s_cbranch_execz .LBB321_1188
; %bb.1183:                             ;   in Loop: Header=BB321_927 Depth=1
	v_and_b32_e32 v86, 0x7f, v0
	v_mov_b32_e32 v11, 0x7c010000
	s_mov_b32 s15, exec_lo
	v_cmpx_ne_u32_e32 0x7f, v86
	s_cbranch_execz .LBB321_1187
; %bb.1184:                             ;   in Loop: Header=BB321_927 Depth=1
	v_and_b32_e32 v11, 7, v0
	v_lshrrev_b32_e32 v12, 3, v86
	s_mov_b32 s18, exec_lo
	v_cmpx_gt_u32_e32 8, v86
; %bb.1185:                             ;   in Loop: Header=BB321_927 Depth=1
	v_ffbh_u32_e32 v11, v11
	v_min_u32_e32 v86, 32, v11
	v_subrev_nc_u32_e32 v11, 28, v86
	v_lshlrev_b64 v[11:12], v11, v[0:1]
	v_sub_nc_u32_e32 v12, 29, v86
	v_and_b32_e32 v11, 7, v11
; %bb.1186:                             ;   in Loop: Header=BB321_927 Depth=1
	s_or_b32 exec_lo, exec_lo, s18
	v_lshlrev_b32_e32 v0, 8, v0
	v_lshl_add_u32 v12, v12, 10, 0x2000
	v_lshlrev_b32_e32 v11, 23, v11
	v_and_or_b32 v0, 0x8000, v0, v12
	v_lshl_or_b32 v11, v0, 16, v11
.LBB321_1187:                           ;   in Loop: Header=BB321_927 Depth=1
	s_or_b32 exec_lo, exec_lo, s15
.LBB321_1188:                           ;   in Loop: Header=BB321_927 Depth=1
	s_or_b32 exec_lo, exec_lo, s13
.LBB321_1189:                           ;   in Loop: Header=BB321_927 Depth=1
	s_or_b32 exec_lo, exec_lo, s12
	v_or_b32_e32 v0, v6, v23
	s_waitcnt vmcnt(0) lgkmcnt(0)
	v_fma_mixlo_f16 v6, v4, v6, 0 op_sel:[0,1,0] op_sel_hi:[0,1,0]
	v_or_b32_e32 v22, v5, v22
	v_or_b32_e32 v23, v35, v34
	;; [unrolled: 1-line block ×3, first 2 shown]
	v_fma_mixlo_f16 v5, v4, v5, 0 op_sel:[0,1,0] op_sel_hi:[0,1,0]
	v_fma_mixlo_f16 v34, v4, v0, 0 op_sel_hi:[0,1,0]
	v_lshlrev_b32_e32 v0, 16, v6
	v_fma_mixlo_f16 v6, v4, v22, 0 op_sel_hi:[0,1,0]
	v_fma_mixlo_f16 v22, v4, v35, 0 op_sel:[0,1,0] op_sel_hi:[0,1,0]
	v_fma_mixlo_f16 v23, v4, v23, 0 op_sel_hi:[0,1,0]
	v_fma_mixlo_f16 v11, v4, v11, 0 op_sel:[0,1,0] op_sel_hi:[0,1,0]
	v_fma_mixlo_f16 v32, v4, v32, 0 op_sel_hi:[0,1,0]
	v_lshlrev_b32_e32 v12, 16, v5
	v_and_b32_e32 v5, 0xffff, v34
	v_and_b32_e32 v86, 0xffff, v6
	v_lshlrev_b32_e32 v6, 16, v22
	v_and_b32_e32 v23, 0xffff, v23
	v_lshlrev_b32_e32 v4, 16, v11
	v_and_b32_e32 v11, 0xffff, v32
	v_or_b32_e32 v22, v0, v5
	v_or_b32_e32 v35, v12, v86
	;; [unrolled: 1-line block ×4, first 2 shown]
	s_and_saveexec_b32 s12, vcc_lo
	s_cbranch_execz .LBB321_1191
; %bb.1190:                             ;   in Loop: Header=BB321_927 Depth=1
	v_cmp_lt_i32_e64 s4, v53, v33
	v_cndmask_b32_e64 v22, 0, v86, s4
	v_cmp_lt_i32_e64 s4, v81, v33
	v_cndmask_b32_e64 v12, 0, v12, s4
	v_cmp_lt_i32_e64 s4, v80, v33
	v_or_b32_e32 v35, v22, v12
	v_cndmask_b32_e64 v5, 0, v5, s4
	v_cmp_lt_i32_e64 s4, v71, v33
	v_cndmask_b32_e64 v0, 0, v0, s4
	v_cmp_lt_i32_e64 s4, v70, v33
	v_or_b32_e32 v22, v5, v0
	;; [unrolled: 5-line block ×3, first 2 shown]
	v_cndmask_b32_e64 v11, 0, v11, s4
	v_cmp_lt_i32_e64 s4, v14, v33
	v_cndmask_b32_e64 v4, 0, v4, s4
	v_or_b32_e32 v32, v11, v4
.LBB321_1191:                           ;   in Loop: Header=BB321_927 Depth=1
	s_or_b32 exec_lo, exec_lo, s12
	;;#ASMSTART
	v_pk_mul_f16 v0, v66, v35;

	;;#ASMEND
	;;#ASMSTART
	v_pk_mul_f16 v4, v64, v22;

	;;#ASMEND
	;; [unrolled: 4-line block ×4, first 2 shown]
	;;#ASMSTART
	v_pk_add_f16 v0, v0, v4;

	;;#ASMEND
	;;#ASMSTART
	v_pk_add_f16 v0, v0, v5;

	;;#ASMEND
	;; [unrolled: 4-line block ×3, first 2 shown]
	v_and_b32_e32 v4, 0xffff, v0
	v_lshrrev_b32_e32 v0, 16, v0
	;;#ASMSTART
	v_cvt_f32_f16 v86, v4;
	;;#ASMEND
	;;#ASMSTART
	v_cvt_f32_f16 v87, v0;
	;;#ASMEND
	flat_load_dwordx2 v[11:12], v[9:10] offset:1024
	flat_load_dword v4, v[26:27]
	v_mov_b32_e32 v5, 0
	v_mov_b32_e32 v22, 0
	s_waitcnt vmcnt(1) lgkmcnt(1)
	v_cmp_ne_u16_sdwa s4, v11, v1 src0_sel:BYTE_0 src1_sel:DWORD
	s_and_saveexec_b32 s12, s4
	s_cbranch_execz .LBB321_1199
; %bb.1192:                             ;   in Loop: Header=BB321_927 Depth=1
	v_cmp_ne_u16_sdwa s4, v11, v16 src0_sel:BYTE_0 src1_sel:DWORD
	v_mov_b32_e32 v22, 0x8000
	s_and_saveexec_b32 s13, s4
	s_cbranch_execz .LBB321_1198
; %bb.1193:                             ;   in Loop: Header=BB321_927 Depth=1
	v_and_b32_e32 v23, 0x7f, v11
	v_mov_b32_e32 v22, 0x7c01
	s_mov_b32 s15, exec_lo
	v_cmpx_ne_u32_e32 0x7f, v23
	s_cbranch_execz .LBB321_1197
; %bb.1194:                             ;   in Loop: Header=BB321_927 Depth=1
	v_and_b32_e32 v0, 7, v11
	v_lshrrev_b32_e32 v6, 3, v23
	s_mov_b32 s18, exec_lo
	v_cmpx_gt_u32_e32 8, v23
; %bb.1195:                             ;   in Loop: Header=BB321_927 Depth=1
	v_ffbh_u32_e32 v0, v0
	v_min_u32_e32 v0, 32, v0
	v_subrev_nc_u32_e32 v6, 28, v0
	v_lshlrev_b64 v[22:23], v6, v[11:12]
	v_sub_nc_u32_e32 v6, 29, v0
	v_and_b32_e32 v0, 7, v22
; %bb.1196:                             ;   in Loop: Header=BB321_927 Depth=1
	s_or_b32 exec_lo, exec_lo, s18
	v_lshlrev_b32_e32 v22, 8, v11
	v_lshl_add_u32 v6, v6, 10, 0x2000
	v_lshlrev_b32_e32 v0, 7, v0
	v_and_b32_e32 v22, 0x8000, v22
	v_and_b32_e32 v6, 0xfc00, v6
	v_or3_b32 v22, v22, v6, v0
.LBB321_1197:                           ;   in Loop: Header=BB321_927 Depth=1
	s_or_b32 exec_lo, exec_lo, s15
.LBB321_1198:                           ;   in Loop: Header=BB321_927 Depth=1
	s_or_b32 exec_lo, exec_lo, s13
.LBB321_1199:                           ;   in Loop: Header=BB321_927 Depth=1
	s_or_b32 exec_lo, exec_lo, s12
	v_lshrrev_b16 v0, 8, v11
	s_mov_b32 s12, exec_lo
	v_cmpx_ne_u16_e32 0, v0
	s_cbranch_execz .LBB321_1207
; %bb.1200:                             ;   in Loop: Header=BB321_927 Depth=1
	v_bfrev_b32_e32 v5, 1
	s_mov_b32 s13, exec_lo
	v_cmpx_ne_u16_e32 0x80, v0
	s_cbranch_execz .LBB321_1206
; %bb.1201:                             ;   in Loop: Header=BB321_927 Depth=1
	v_and_b32_sdwa v23, v0, v17 dst_sel:DWORD dst_unused:UNUSED_PAD src0_sel:WORD_0 src1_sel:DWORD
	v_mov_b32_e32 v5, 0x7c010000
	s_mov_b32 s15, exec_lo
	v_cmpx_ne_u32_e32 0x7f, v23
	s_cbranch_execz .LBB321_1205
; %bb.1202:                             ;   in Loop: Header=BB321_927 Depth=1
	v_and_b32_sdwa v5, v0, v37 dst_sel:DWORD dst_unused:UNUSED_PAD src0_sel:WORD_0 src1_sel:DWORD
	v_lshrrev_b32_e32 v6, 3, v23
	s_mov_b32 s18, exec_lo
	v_cmpx_gt_u32_e32 8, v23
; %bb.1203:                             ;   in Loop: Header=BB321_927 Depth=1
	v_ffbh_u32_e32 v5, v5
	v_min_u32_e32 v23, 32, v5
	v_subrev_nc_u32_e32 v5, 28, v23
	v_lshlrev_b64 v[5:6], v5, v[0:1]
	v_sub_nc_u32_e32 v6, 29, v23
	v_and_b32_e32 v5, 7, v5
; %bb.1204:                             ;   in Loop: Header=BB321_927 Depth=1
	s_or_b32 exec_lo, exec_lo, s18
	v_lshlrev_b32_sdwa v0, v52, v0 dst_sel:DWORD dst_unused:UNUSED_PAD src0_sel:DWORD src1_sel:WORD_0
	v_lshl_add_u32 v6, v6, 10, 0x2000
	v_lshlrev_b32_e32 v5, 23, v5
	v_and_or_b32 v0, 0x8000, v0, v6
	v_lshl_or_b32 v5, v0, 16, v5
.LBB321_1205:                           ;   in Loop: Header=BB321_927 Depth=1
	s_or_b32 exec_lo, exec_lo, s15
.LBB321_1206:                           ;   in Loop: Header=BB321_927 Depth=1
	s_or_b32 exec_lo, exec_lo, s13
.LBB321_1207:                           ;   in Loop: Header=BB321_927 Depth=1
	s_or_b32 exec_lo, exec_lo, s12
	v_lshrrev_b32_e32 v0, 16, v11
	v_mov_b32_e32 v6, 0
	v_mov_b32_e32 v23, 0
	v_cmp_ne_u16_sdwa s4, v0, v1 src0_sel:BYTE_0 src1_sel:DWORD
	s_and_saveexec_b32 s12, s4
	s_cbranch_execz .LBB321_1215
; %bb.1208:                             ;   in Loop: Header=BB321_927 Depth=1
	v_cmp_ne_u16_sdwa s4, v0, v16 src0_sel:BYTE_0 src1_sel:DWORD
	v_mov_b32_e32 v23, 0x8000
	s_and_saveexec_b32 s13, s4
	s_cbranch_execz .LBB321_1214
; %bb.1209:                             ;   in Loop: Header=BB321_927 Depth=1
	v_bfe_u32 v34, v11, 16, 7
	v_mov_b32_e32 v23, 0x7c01
	s_mov_b32 s15, exec_lo
	v_cmpx_ne_u32_e32 0x7f, v34
	s_cbranch_execz .LBB321_1213
; %bb.1210:                             ;   in Loop: Header=BB321_927 Depth=1
	v_and_b32_e32 v23, 7, v0
	v_lshrrev_b32_e32 v32, 3, v34
	s_mov_b32 s18, exec_lo
	v_cmpx_gt_u32_e32 8, v34
; %bb.1211:                             ;   in Loop: Header=BB321_927 Depth=1
	v_ffbh_u32_e32 v23, v23
	v_min_u32_e32 v23, 32, v23
	v_subrev_nc_u32_e32 v32, 28, v23
	v_lshlrev_b64 v[34:35], v32, v[0:1]
	v_sub_nc_u32_e32 v32, 29, v23
	v_and_b32_e32 v23, 7, v34
; %bb.1212:                             ;   in Loop: Header=BB321_927 Depth=1
	s_or_b32 exec_lo, exec_lo, s18
	v_lshlrev_b32_e32 v0, 8, v0
	v_lshl_add_u32 v32, v32, 10, 0x2000
	v_lshlrev_b32_e32 v23, 7, v23
	v_and_b32_e32 v0, 0x8000, v0
	v_and_b32_e32 v32, 0xfc00, v32
	v_or3_b32 v23, v0, v32, v23
.LBB321_1213:                           ;   in Loop: Header=BB321_927 Depth=1
	s_or_b32 exec_lo, exec_lo, s15
.LBB321_1214:                           ;   in Loop: Header=BB321_927 Depth=1
	s_or_b32 exec_lo, exec_lo, s13
.LBB321_1215:                           ;   in Loop: Header=BB321_927 Depth=1
	s_or_b32 exec_lo, exec_lo, s12
	s_mov_b32 s12, exec_lo
	v_cmpx_lt_u32_e32 0xffffff, v11
	s_cbranch_execz .LBB321_1223
; %bb.1216:                             ;   in Loop: Header=BB321_927 Depth=1
	v_lshrrev_b32_e32 v0, 24, v11
	v_bfrev_b32_e32 v6, 1
	s_mov_b32 s13, exec_lo
	v_cmpx_ne_u32_e32 0x80, v0
	s_cbranch_execz .LBB321_1222
; %bb.1217:                             ;   in Loop: Header=BB321_927 Depth=1
	v_and_b32_e32 v34, 0x7f, v0
	v_mov_b32_e32 v6, 0x7c010000
	s_mov_b32 s15, exec_lo
	v_cmpx_ne_u32_e32 0x7f, v34
	s_cbranch_execz .LBB321_1221
; %bb.1218:                             ;   in Loop: Header=BB321_927 Depth=1
	v_and_b32_e32 v6, 7, v0
	v_lshrrev_b32_e32 v32, 3, v34
	s_mov_b32 s18, exec_lo
	v_cmpx_gt_u32_e32 8, v34
; %bb.1219:                             ;   in Loop: Header=BB321_927 Depth=1
	v_ffbh_u32_e32 v6, v6
	v_min_u32_e32 v6, 32, v6
	v_subrev_nc_u32_e32 v32, 28, v6
	v_lshlrev_b64 v[34:35], v32, v[0:1]
	v_sub_nc_u32_e32 v32, 29, v6
	v_and_b32_e32 v6, 7, v34
; %bb.1220:                             ;   in Loop: Header=BB321_927 Depth=1
	s_or_b32 exec_lo, exec_lo, s18
	v_lshlrev_b32_e32 v0, 8, v0
	v_lshl_add_u32 v32, v32, 10, 0x2000
	v_lshlrev_b32_e32 v6, 23, v6
	v_and_or_b32 v0, 0x8000, v0, v32
	v_lshl_or_b32 v6, v0, 16, v6
.LBB321_1221:                           ;   in Loop: Header=BB321_927 Depth=1
	s_or_b32 exec_lo, exec_lo, s15
.LBB321_1222:                           ;   in Loop: Header=BB321_927 Depth=1
	s_or_b32 exec_lo, exec_lo, s13
.LBB321_1223:                           ;   in Loop: Header=BB321_927 Depth=1
	s_or_b32 exec_lo, exec_lo, s12
	v_mov_b32_e32 v0, v12
	v_cmp_ne_u16_sdwa s4, v12, v1 src0_sel:BYTE_0 src1_sel:DWORD
	v_mov_b32_e32 v32, 0
	v_mov_b32_e32 v34, 0
	s_and_saveexec_b32 s12, s4
	s_cbranch_execz .LBB321_1231
; %bb.1224:                             ;   in Loop: Header=BB321_927 Depth=1
	v_cmp_ne_u16_sdwa s4, v12, v16 src0_sel:BYTE_0 src1_sel:DWORD
	v_mov_b32_e32 v34, 0x8000
	s_and_saveexec_b32 s13, s4
	s_cbranch_execz .LBB321_1230
; %bb.1225:                             ;   in Loop: Header=BB321_927 Depth=1
	v_and_b32_e32 v96, 0x7f, v12
	v_mov_b32_e32 v34, 0x7c01
	s_mov_b32 s15, exec_lo
	v_cmpx_ne_u32_e32 0x7f, v96
	s_cbranch_execz .LBB321_1229
; %bb.1226:                             ;   in Loop: Header=BB321_927 Depth=1
	v_and_b32_e32 v34, 7, v12
	v_lshrrev_b32_e32 v35, 3, v96
	s_mov_b32 s18, exec_lo
	v_cmpx_gt_u32_e32 8, v96
; %bb.1227:                             ;   in Loop: Header=BB321_927 Depth=1
	v_ffbh_u32_e32 v34, v34
	v_min_u32_e32 v96, 32, v34
	v_subrev_nc_u32_e32 v34, 28, v96
	v_lshlrev_b64 v[34:35], v34, v[0:1]
	v_sub_nc_u32_e32 v35, 29, v96
	v_and_b32_e32 v34, 7, v34
; %bb.1228:                             ;   in Loop: Header=BB321_927 Depth=1
	s_or_b32 exec_lo, exec_lo, s18
	v_lshlrev_b32_e32 v96, 8, v12
	v_lshl_add_u32 v35, v35, 10, 0x2000
	v_lshlrev_b32_e32 v34, 7, v34
	v_and_b32_e32 v96, 0x8000, v96
	v_and_b32_e32 v35, 0xfc00, v35
	v_or3_b32 v34, v96, v35, v34
.LBB321_1229:                           ;   in Loop: Header=BB321_927 Depth=1
	s_or_b32 exec_lo, exec_lo, s15
.LBB321_1230:                           ;   in Loop: Header=BB321_927 Depth=1
	s_or_b32 exec_lo, exec_lo, s13
.LBB321_1231:                           ;   in Loop: Header=BB321_927 Depth=1
	s_or_b32 exec_lo, exec_lo, s12
	v_lshrrev_b16 v0, 8, v0
	v_mov_b32_e32 v35, 0
	s_mov_b32 s12, exec_lo
	v_cmpx_ne_u16_e32 0, v0
	s_cbranch_execz .LBB321_1239
; %bb.1232:                             ;   in Loop: Header=BB321_927 Depth=1
	v_bfrev_b32_e32 v35, 1
	s_mov_b32 s13, exec_lo
	v_cmpx_ne_u16_e32 0x80, v0
	s_cbranch_execz .LBB321_1238
; %bb.1233:                             ;   in Loop: Header=BB321_927 Depth=1
	v_and_b32_sdwa v97, v0, v17 dst_sel:DWORD dst_unused:UNUSED_PAD src0_sel:WORD_0 src1_sel:DWORD
	v_mov_b32_e32 v35, 0x7c010000
	s_mov_b32 s15, exec_lo
	v_cmpx_ne_u32_e32 0x7f, v97
	s_cbranch_execz .LBB321_1237
; %bb.1234:                             ;   in Loop: Header=BB321_927 Depth=1
	v_and_b32_sdwa v35, v0, v37 dst_sel:DWORD dst_unused:UNUSED_PAD src0_sel:WORD_0 src1_sel:DWORD
	v_lshrrev_b32_e32 v96, 3, v97
	s_mov_b32 s18, exec_lo
	v_cmpx_gt_u32_e32 8, v97
; %bb.1235:                             ;   in Loop: Header=BB321_927 Depth=1
	v_ffbh_u32_e32 v35, v35
	v_min_u32_e32 v35, 32, v35
	v_subrev_nc_u32_e32 v96, 28, v35
	v_lshlrev_b64 v[97:98], v96, v[0:1]
	v_sub_nc_u32_e32 v96, 29, v35
	v_and_b32_e32 v35, 7, v97
; %bb.1236:                             ;   in Loop: Header=BB321_927 Depth=1
	s_or_b32 exec_lo, exec_lo, s18
	v_lshlrev_b32_sdwa v0, v52, v0 dst_sel:DWORD dst_unused:UNUSED_PAD src0_sel:DWORD src1_sel:WORD_0
	v_lshl_add_u32 v96, v96, 10, 0x2000
	v_lshlrev_b32_e32 v35, 23, v35
	v_and_or_b32 v0, 0x8000, v0, v96
	v_lshl_or_b32 v35, v0, 16, v35
.LBB321_1237:                           ;   in Loop: Header=BB321_927 Depth=1
	s_or_b32 exec_lo, exec_lo, s15
.LBB321_1238:                           ;   in Loop: Header=BB321_927 Depth=1
	s_or_b32 exec_lo, exec_lo, s13
.LBB321_1239:                           ;   in Loop: Header=BB321_927 Depth=1
	s_or_b32 exec_lo, exec_lo, s12
	v_lshrrev_b32_e32 v0, 16, v12
	v_cmp_ne_u16_sdwa s4, v0, v1 src0_sel:BYTE_0 src1_sel:DWORD
	s_and_saveexec_b32 s12, s4
	s_cbranch_execz .LBB321_1247
; %bb.1240:                             ;   in Loop: Header=BB321_927 Depth=1
	v_cmp_ne_u16_sdwa s4, v0, v16 src0_sel:BYTE_0 src1_sel:DWORD
	v_mov_b32_e32 v32, 0x8000
	s_and_saveexec_b32 s13, s4
	s_cbranch_execz .LBB321_1246
; %bb.1241:                             ;   in Loop: Header=BB321_927 Depth=1
	v_bfe_u32 v97, v12, 16, 7
	v_mov_b32_e32 v32, 0x7c01
	s_mov_b32 s15, exec_lo
	v_cmpx_ne_u32_e32 0x7f, v97
	s_cbranch_execz .LBB321_1245
; %bb.1242:                             ;   in Loop: Header=BB321_927 Depth=1
	v_and_b32_e32 v32, 7, v0
	v_lshrrev_b32_e32 v96, 3, v97
	s_mov_b32 s18, exec_lo
	v_cmpx_gt_u32_e32 8, v97
; %bb.1243:                             ;   in Loop: Header=BB321_927 Depth=1
	v_ffbh_u32_e32 v32, v32
	v_min_u32_e32 v32, 32, v32
	v_subrev_nc_u32_e32 v96, 28, v32
	v_lshlrev_b64 v[97:98], v96, v[0:1]
	v_sub_nc_u32_e32 v96, 29, v32
	v_and_b32_e32 v32, 7, v97
; %bb.1244:                             ;   in Loop: Header=BB321_927 Depth=1
	s_or_b32 exec_lo, exec_lo, s18
	v_lshlrev_b32_e32 v0, 8, v0
	v_lshl_add_u32 v96, v96, 10, 0x2000
	v_lshlrev_b32_e32 v32, 7, v32
	v_and_b32_e32 v0, 0x8000, v0
	v_and_b32_e32 v96, 0xfc00, v96
	v_or3_b32 v32, v0, v96, v32
.LBB321_1245:                           ;   in Loop: Header=BB321_927 Depth=1
	s_or_b32 exec_lo, exec_lo, s15
.LBB321_1246:                           ;   in Loop: Header=BB321_927 Depth=1
	s_or_b32 exec_lo, exec_lo, s13
.LBB321_1247:                           ;   in Loop: Header=BB321_927 Depth=1
	s_or_b32 exec_lo, exec_lo, s12
	v_cmp_lt_u64_e64 s4, s[8:9], v[11:12]
	v_mov_b32_e32 v11, 0
	s_and_saveexec_b32 s12, s4
	s_cbranch_execz .LBB321_1255
; %bb.1248:                             ;   in Loop: Header=BB321_927 Depth=1
	v_lshrrev_b32_e32 v0, 24, v12
	v_bfrev_b32_e32 v11, 1
	s_mov_b32 s13, exec_lo
	v_cmpx_ne_u32_e32 0x80, v0
	s_cbranch_execz .LBB321_1254
; %bb.1249:                             ;   in Loop: Header=BB321_927 Depth=1
	v_and_b32_e32 v96, 0x7f, v0
	v_mov_b32_e32 v11, 0x7c010000
	s_mov_b32 s15, exec_lo
	v_cmpx_ne_u32_e32 0x7f, v96
	s_cbranch_execz .LBB321_1253
; %bb.1250:                             ;   in Loop: Header=BB321_927 Depth=1
	v_and_b32_e32 v11, 7, v0
	v_lshrrev_b32_e32 v12, 3, v96
	s_mov_b32 s18, exec_lo
	v_cmpx_gt_u32_e32 8, v96
; %bb.1251:                             ;   in Loop: Header=BB321_927 Depth=1
	v_ffbh_u32_e32 v11, v11
	v_min_u32_e32 v96, 32, v11
	v_subrev_nc_u32_e32 v11, 28, v96
	v_lshlrev_b64 v[11:12], v11, v[0:1]
	v_sub_nc_u32_e32 v12, 29, v96
	v_and_b32_e32 v11, 7, v11
; %bb.1252:                             ;   in Loop: Header=BB321_927 Depth=1
	s_or_b32 exec_lo, exec_lo, s18
	v_lshlrev_b32_e32 v0, 8, v0
	v_lshl_add_u32 v12, v12, 10, 0x2000
	v_lshlrev_b32_e32 v11, 23, v11
	v_and_or_b32 v0, 0x8000, v0, v12
	v_lshl_or_b32 v11, v0, 16, v11
.LBB321_1253:                           ;   in Loop: Header=BB321_927 Depth=1
	s_or_b32 exec_lo, exec_lo, s15
.LBB321_1254:                           ;   in Loop: Header=BB321_927 Depth=1
	s_or_b32 exec_lo, exec_lo, s13
.LBB321_1255:                           ;   in Loop: Header=BB321_927 Depth=1
	s_or_b32 exec_lo, exec_lo, s12
	v_or_b32_e32 v0, v6, v23
	s_waitcnt vmcnt(0) lgkmcnt(0)
	v_fma_mixlo_f16 v6, v4, v6, 0 op_sel:[0,1,0] op_sel_hi:[0,1,0]
	v_or_b32_e32 v22, v5, v22
	v_or_b32_e32 v23, v35, v34
	v_or_b32_e32 v32, v11, v32
	v_fma_mixlo_f16 v5, v4, v5, 0 op_sel:[0,1,0] op_sel_hi:[0,1,0]
	v_fma_mixlo_f16 v34, v4, v0, 0 op_sel_hi:[0,1,0]
	v_lshlrev_b32_e32 v0, 16, v6
	v_fma_mixlo_f16 v6, v4, v22, 0 op_sel_hi:[0,1,0]
	v_fma_mixlo_f16 v22, v4, v35, 0 op_sel:[0,1,0] op_sel_hi:[0,1,0]
	v_fma_mixlo_f16 v23, v4, v23, 0 op_sel_hi:[0,1,0]
	v_fma_mixlo_f16 v11, v4, v11, 0 op_sel:[0,1,0] op_sel_hi:[0,1,0]
	v_fma_mixlo_f16 v32, v4, v32, 0 op_sel_hi:[0,1,0]
	v_lshlrev_b32_e32 v12, 16, v5
	v_and_b32_e32 v5, 0xffff, v34
	v_and_b32_e32 v96, 0xffff, v6
	v_lshlrev_b32_e32 v6, 16, v22
	v_and_b32_e32 v23, 0xffff, v23
	v_lshlrev_b32_e32 v4, 16, v11
	v_and_b32_e32 v11, 0xffff, v32
	v_or_b32_e32 v22, v0, v5
	v_or_b32_e32 v35, v12, v96
	;; [unrolled: 1-line block ×4, first 2 shown]
	s_and_saveexec_b32 s12, vcc_lo
	s_cbranch_execz .LBB321_1257
; %bb.1256:                             ;   in Loop: Header=BB321_927 Depth=1
	v_cmp_lt_i32_e64 s4, v53, v33
	v_cndmask_b32_e64 v22, 0, v96, s4
	v_cmp_lt_i32_e64 s4, v81, v33
	v_cndmask_b32_e64 v12, 0, v12, s4
	v_cmp_lt_i32_e64 s4, v80, v33
	v_or_b32_e32 v35, v22, v12
	v_cndmask_b32_e64 v5, 0, v5, s4
	v_cmp_lt_i32_e64 s4, v71, v33
	v_cndmask_b32_e64 v0, 0, v0, s4
	v_cmp_lt_i32_e64 s4, v70, v33
	v_or_b32_e32 v22, v5, v0
	;; [unrolled: 5-line block ×3, first 2 shown]
	v_cndmask_b32_e64 v11, 0, v11, s4
	v_cmp_lt_i32_e64 s4, v14, v33
	v_cndmask_b32_e64 v4, 0, v4, s4
	v_or_b32_e32 v32, v11, v4
.LBB321_1257:                           ;   in Loop: Header=BB321_927 Depth=1
	s_or_b32 exec_lo, exec_lo, s12
	;;#ASMSTART
	v_pk_mul_f16 v0, v66, v35;

	;;#ASMEND
	;;#ASMSTART
	v_pk_mul_f16 v4, v64, v22;

	;;#ASMEND
	;; [unrolled: 4-line block ×4, first 2 shown]
	;;#ASMSTART
	v_pk_add_f16 v0, v0, v4;

	;;#ASMEND
	;;#ASMSTART
	v_pk_add_f16 v0, v0, v5;

	;;#ASMEND
	;; [unrolled: 4-line block ×3, first 2 shown]
	v_and_b32_e32 v4, 0xffff, v0
	v_lshrrev_b32_e32 v0, 16, v0
	;;#ASMSTART
	v_cvt_f32_f16 v96, v4;
	;;#ASMEND
	;;#ASMSTART
	v_cvt_f32_f16 v97, v0;
	;;#ASMEND
	flat_load_dwordx2 v[11:12], v[9:10] offset:1280
	flat_load_dword v4, v[26:27]
	v_mov_b32_e32 v5, 0
	v_mov_b32_e32 v22, 0
	s_waitcnt vmcnt(1) lgkmcnt(1)
	v_cmp_ne_u16_sdwa s4, v11, v1 src0_sel:BYTE_0 src1_sel:DWORD
	s_and_saveexec_b32 s12, s4
	s_cbranch_execz .LBB321_1265
; %bb.1258:                             ;   in Loop: Header=BB321_927 Depth=1
	v_cmp_ne_u16_sdwa s4, v11, v16 src0_sel:BYTE_0 src1_sel:DWORD
	v_mov_b32_e32 v22, 0x8000
	s_and_saveexec_b32 s13, s4
	s_cbranch_execz .LBB321_1264
; %bb.1259:                             ;   in Loop: Header=BB321_927 Depth=1
	v_and_b32_e32 v23, 0x7f, v11
	v_mov_b32_e32 v22, 0x7c01
	s_mov_b32 s15, exec_lo
	v_cmpx_ne_u32_e32 0x7f, v23
	s_cbranch_execz .LBB321_1263
; %bb.1260:                             ;   in Loop: Header=BB321_927 Depth=1
	v_and_b32_e32 v0, 7, v11
	v_lshrrev_b32_e32 v6, 3, v23
	s_mov_b32 s18, exec_lo
	v_cmpx_gt_u32_e32 8, v23
; %bb.1261:                             ;   in Loop: Header=BB321_927 Depth=1
	v_ffbh_u32_e32 v0, v0
	v_min_u32_e32 v0, 32, v0
	v_subrev_nc_u32_e32 v6, 28, v0
	v_lshlrev_b64 v[22:23], v6, v[11:12]
	v_sub_nc_u32_e32 v6, 29, v0
	v_and_b32_e32 v0, 7, v22
; %bb.1262:                             ;   in Loop: Header=BB321_927 Depth=1
	s_or_b32 exec_lo, exec_lo, s18
	v_lshlrev_b32_e32 v22, 8, v11
	v_lshl_add_u32 v6, v6, 10, 0x2000
	v_lshlrev_b32_e32 v0, 7, v0
	v_and_b32_e32 v22, 0x8000, v22
	v_and_b32_e32 v6, 0xfc00, v6
	v_or3_b32 v22, v22, v6, v0
.LBB321_1263:                           ;   in Loop: Header=BB321_927 Depth=1
	s_or_b32 exec_lo, exec_lo, s15
.LBB321_1264:                           ;   in Loop: Header=BB321_927 Depth=1
	s_or_b32 exec_lo, exec_lo, s13
.LBB321_1265:                           ;   in Loop: Header=BB321_927 Depth=1
	s_or_b32 exec_lo, exec_lo, s12
	v_lshrrev_b16 v0, 8, v11
	s_mov_b32 s12, exec_lo
	v_cmpx_ne_u16_e32 0, v0
	s_cbranch_execz .LBB321_1273
; %bb.1266:                             ;   in Loop: Header=BB321_927 Depth=1
	v_bfrev_b32_e32 v5, 1
	s_mov_b32 s13, exec_lo
	v_cmpx_ne_u16_e32 0x80, v0
	s_cbranch_execz .LBB321_1272
; %bb.1267:                             ;   in Loop: Header=BB321_927 Depth=1
	v_and_b32_sdwa v23, v0, v17 dst_sel:DWORD dst_unused:UNUSED_PAD src0_sel:WORD_0 src1_sel:DWORD
	v_mov_b32_e32 v5, 0x7c010000
	s_mov_b32 s15, exec_lo
	v_cmpx_ne_u32_e32 0x7f, v23
	s_cbranch_execz .LBB321_1271
; %bb.1268:                             ;   in Loop: Header=BB321_927 Depth=1
	v_and_b32_sdwa v5, v0, v37 dst_sel:DWORD dst_unused:UNUSED_PAD src0_sel:WORD_0 src1_sel:DWORD
	v_lshrrev_b32_e32 v6, 3, v23
	s_mov_b32 s18, exec_lo
	v_cmpx_gt_u32_e32 8, v23
; %bb.1269:                             ;   in Loop: Header=BB321_927 Depth=1
	v_ffbh_u32_e32 v5, v5
	v_min_u32_e32 v23, 32, v5
	v_subrev_nc_u32_e32 v5, 28, v23
	v_lshlrev_b64 v[5:6], v5, v[0:1]
	v_sub_nc_u32_e32 v6, 29, v23
	v_and_b32_e32 v5, 7, v5
; %bb.1270:                             ;   in Loop: Header=BB321_927 Depth=1
	s_or_b32 exec_lo, exec_lo, s18
	v_lshlrev_b32_sdwa v0, v52, v0 dst_sel:DWORD dst_unused:UNUSED_PAD src0_sel:DWORD src1_sel:WORD_0
	v_lshl_add_u32 v6, v6, 10, 0x2000
	v_lshlrev_b32_e32 v5, 23, v5
	v_and_or_b32 v0, 0x8000, v0, v6
	v_lshl_or_b32 v5, v0, 16, v5
.LBB321_1271:                           ;   in Loop: Header=BB321_927 Depth=1
	s_or_b32 exec_lo, exec_lo, s15
.LBB321_1272:                           ;   in Loop: Header=BB321_927 Depth=1
	s_or_b32 exec_lo, exec_lo, s13
.LBB321_1273:                           ;   in Loop: Header=BB321_927 Depth=1
	s_or_b32 exec_lo, exec_lo, s12
	v_lshrrev_b32_e32 v0, 16, v11
	v_mov_b32_e32 v6, 0
	v_mov_b32_e32 v23, 0
	v_cmp_ne_u16_sdwa s4, v0, v1 src0_sel:BYTE_0 src1_sel:DWORD
	s_and_saveexec_b32 s12, s4
	s_cbranch_execz .LBB321_1281
; %bb.1274:                             ;   in Loop: Header=BB321_927 Depth=1
	v_cmp_ne_u16_sdwa s4, v0, v16 src0_sel:BYTE_0 src1_sel:DWORD
	v_mov_b32_e32 v23, 0x8000
	s_and_saveexec_b32 s13, s4
	s_cbranch_execz .LBB321_1280
; %bb.1275:                             ;   in Loop: Header=BB321_927 Depth=1
	v_bfe_u32 v34, v11, 16, 7
	v_mov_b32_e32 v23, 0x7c01
	s_mov_b32 s15, exec_lo
	v_cmpx_ne_u32_e32 0x7f, v34
	s_cbranch_execz .LBB321_1279
; %bb.1276:                             ;   in Loop: Header=BB321_927 Depth=1
	v_and_b32_e32 v23, 7, v0
	v_lshrrev_b32_e32 v32, 3, v34
	s_mov_b32 s18, exec_lo
	v_cmpx_gt_u32_e32 8, v34
; %bb.1277:                             ;   in Loop: Header=BB321_927 Depth=1
	v_ffbh_u32_e32 v23, v23
	v_min_u32_e32 v23, 32, v23
	v_subrev_nc_u32_e32 v32, 28, v23
	v_lshlrev_b64 v[34:35], v32, v[0:1]
	v_sub_nc_u32_e32 v32, 29, v23
	v_and_b32_e32 v23, 7, v34
; %bb.1278:                             ;   in Loop: Header=BB321_927 Depth=1
	s_or_b32 exec_lo, exec_lo, s18
	v_lshlrev_b32_e32 v0, 8, v0
	v_lshl_add_u32 v32, v32, 10, 0x2000
	v_lshlrev_b32_e32 v23, 7, v23
	v_and_b32_e32 v0, 0x8000, v0
	v_and_b32_e32 v32, 0xfc00, v32
	v_or3_b32 v23, v0, v32, v23
.LBB321_1279:                           ;   in Loop: Header=BB321_927 Depth=1
	s_or_b32 exec_lo, exec_lo, s15
.LBB321_1280:                           ;   in Loop: Header=BB321_927 Depth=1
	s_or_b32 exec_lo, exec_lo, s13
.LBB321_1281:                           ;   in Loop: Header=BB321_927 Depth=1
	s_or_b32 exec_lo, exec_lo, s12
	s_mov_b32 s12, exec_lo
	v_cmpx_lt_u32_e32 0xffffff, v11
	s_cbranch_execz .LBB321_1289
; %bb.1282:                             ;   in Loop: Header=BB321_927 Depth=1
	v_lshrrev_b32_e32 v0, 24, v11
	v_bfrev_b32_e32 v6, 1
	s_mov_b32 s13, exec_lo
	v_cmpx_ne_u32_e32 0x80, v0
	s_cbranch_execz .LBB321_1288
; %bb.1283:                             ;   in Loop: Header=BB321_927 Depth=1
	v_and_b32_e32 v34, 0x7f, v0
	v_mov_b32_e32 v6, 0x7c010000
	s_mov_b32 s15, exec_lo
	v_cmpx_ne_u32_e32 0x7f, v34
	s_cbranch_execz .LBB321_1287
; %bb.1284:                             ;   in Loop: Header=BB321_927 Depth=1
	v_and_b32_e32 v6, 7, v0
	v_lshrrev_b32_e32 v32, 3, v34
	s_mov_b32 s18, exec_lo
	v_cmpx_gt_u32_e32 8, v34
; %bb.1285:                             ;   in Loop: Header=BB321_927 Depth=1
	v_ffbh_u32_e32 v6, v6
	v_min_u32_e32 v6, 32, v6
	v_subrev_nc_u32_e32 v32, 28, v6
	v_lshlrev_b64 v[34:35], v32, v[0:1]
	v_sub_nc_u32_e32 v32, 29, v6
	v_and_b32_e32 v6, 7, v34
; %bb.1286:                             ;   in Loop: Header=BB321_927 Depth=1
	s_or_b32 exec_lo, exec_lo, s18
	v_lshlrev_b32_e32 v0, 8, v0
	v_lshl_add_u32 v32, v32, 10, 0x2000
	v_lshlrev_b32_e32 v6, 23, v6
	v_and_or_b32 v0, 0x8000, v0, v32
	v_lshl_or_b32 v6, v0, 16, v6
.LBB321_1287:                           ;   in Loop: Header=BB321_927 Depth=1
	s_or_b32 exec_lo, exec_lo, s15
.LBB321_1288:                           ;   in Loop: Header=BB321_927 Depth=1
	s_or_b32 exec_lo, exec_lo, s13
.LBB321_1289:                           ;   in Loop: Header=BB321_927 Depth=1
	s_or_b32 exec_lo, exec_lo, s12
	v_mov_b32_e32 v0, v12
	v_cmp_ne_u16_sdwa s4, v12, v1 src0_sel:BYTE_0 src1_sel:DWORD
	v_mov_b32_e32 v32, 0
	v_mov_b32_e32 v34, 0
	s_and_saveexec_b32 s12, s4
	s_cbranch_execz .LBB321_1297
; %bb.1290:                             ;   in Loop: Header=BB321_927 Depth=1
	v_cmp_ne_u16_sdwa s4, v12, v16 src0_sel:BYTE_0 src1_sel:DWORD
	v_mov_b32_e32 v34, 0x8000
	s_and_saveexec_b32 s13, s4
	s_cbranch_execz .LBB321_1296
; %bb.1291:                             ;   in Loop: Header=BB321_927 Depth=1
	v_and_b32_e32 v98, 0x7f, v12
	v_mov_b32_e32 v34, 0x7c01
	s_mov_b32 s15, exec_lo
	v_cmpx_ne_u32_e32 0x7f, v98
	s_cbranch_execz .LBB321_1295
; %bb.1292:                             ;   in Loop: Header=BB321_927 Depth=1
	v_and_b32_e32 v34, 7, v12
	v_lshrrev_b32_e32 v35, 3, v98
	s_mov_b32 s18, exec_lo
	v_cmpx_gt_u32_e32 8, v98
; %bb.1293:                             ;   in Loop: Header=BB321_927 Depth=1
	v_ffbh_u32_e32 v34, v34
	v_min_u32_e32 v98, 32, v34
	v_subrev_nc_u32_e32 v34, 28, v98
	v_lshlrev_b64 v[34:35], v34, v[0:1]
	v_sub_nc_u32_e32 v35, 29, v98
	v_and_b32_e32 v34, 7, v34
; %bb.1294:                             ;   in Loop: Header=BB321_927 Depth=1
	s_or_b32 exec_lo, exec_lo, s18
	v_lshlrev_b32_e32 v98, 8, v12
	v_lshl_add_u32 v35, v35, 10, 0x2000
	v_lshlrev_b32_e32 v34, 7, v34
	v_and_b32_e32 v98, 0x8000, v98
	v_and_b32_e32 v35, 0xfc00, v35
	v_or3_b32 v34, v98, v35, v34
.LBB321_1295:                           ;   in Loop: Header=BB321_927 Depth=1
	s_or_b32 exec_lo, exec_lo, s15
.LBB321_1296:                           ;   in Loop: Header=BB321_927 Depth=1
	s_or_b32 exec_lo, exec_lo, s13
.LBB321_1297:                           ;   in Loop: Header=BB321_927 Depth=1
	s_or_b32 exec_lo, exec_lo, s12
	v_lshrrev_b16 v0, 8, v0
	v_mov_b32_e32 v35, 0
	s_mov_b32 s12, exec_lo
	v_cmpx_ne_u16_e32 0, v0
	s_cbranch_execz .LBB321_1305
; %bb.1298:                             ;   in Loop: Header=BB321_927 Depth=1
	v_bfrev_b32_e32 v35, 1
	s_mov_b32 s13, exec_lo
	v_cmpx_ne_u16_e32 0x80, v0
	s_cbranch_execz .LBB321_1304
; %bb.1299:                             ;   in Loop: Header=BB321_927 Depth=1
	v_and_b32_sdwa v99, v0, v17 dst_sel:DWORD dst_unused:UNUSED_PAD src0_sel:WORD_0 src1_sel:DWORD
	v_mov_b32_e32 v35, 0x7c010000
	s_mov_b32 s15, exec_lo
	v_cmpx_ne_u32_e32 0x7f, v99
	s_cbranch_execz .LBB321_1303
; %bb.1300:                             ;   in Loop: Header=BB321_927 Depth=1
	v_and_b32_sdwa v35, v0, v37 dst_sel:DWORD dst_unused:UNUSED_PAD src0_sel:WORD_0 src1_sel:DWORD
	v_lshrrev_b32_e32 v98, 3, v99
	s_mov_b32 s18, exec_lo
	v_cmpx_gt_u32_e32 8, v99
; %bb.1301:                             ;   in Loop: Header=BB321_927 Depth=1
	v_ffbh_u32_e32 v35, v35
	v_min_u32_e32 v35, 32, v35
	v_subrev_nc_u32_e32 v98, 28, v35
	v_lshlrev_b64 v[99:100], v98, v[0:1]
	v_sub_nc_u32_e32 v98, 29, v35
	v_and_b32_e32 v35, 7, v99
; %bb.1302:                             ;   in Loop: Header=BB321_927 Depth=1
	s_or_b32 exec_lo, exec_lo, s18
	v_lshlrev_b32_sdwa v0, v52, v0 dst_sel:DWORD dst_unused:UNUSED_PAD src0_sel:DWORD src1_sel:WORD_0
	v_lshl_add_u32 v98, v98, 10, 0x2000
	v_lshlrev_b32_e32 v35, 23, v35
	v_and_or_b32 v0, 0x8000, v0, v98
	v_lshl_or_b32 v35, v0, 16, v35
.LBB321_1303:                           ;   in Loop: Header=BB321_927 Depth=1
	s_or_b32 exec_lo, exec_lo, s15
.LBB321_1304:                           ;   in Loop: Header=BB321_927 Depth=1
	s_or_b32 exec_lo, exec_lo, s13
.LBB321_1305:                           ;   in Loop: Header=BB321_927 Depth=1
	s_or_b32 exec_lo, exec_lo, s12
	v_lshrrev_b32_e32 v0, 16, v12
	v_cmp_ne_u16_sdwa s4, v0, v1 src0_sel:BYTE_0 src1_sel:DWORD
	s_and_saveexec_b32 s12, s4
	s_cbranch_execz .LBB321_1313
; %bb.1306:                             ;   in Loop: Header=BB321_927 Depth=1
	v_cmp_ne_u16_sdwa s4, v0, v16 src0_sel:BYTE_0 src1_sel:DWORD
	v_mov_b32_e32 v32, 0x8000
	s_and_saveexec_b32 s13, s4
	s_cbranch_execz .LBB321_1312
; %bb.1307:                             ;   in Loop: Header=BB321_927 Depth=1
	v_bfe_u32 v99, v12, 16, 7
	v_mov_b32_e32 v32, 0x7c01
	s_mov_b32 s15, exec_lo
	v_cmpx_ne_u32_e32 0x7f, v99
	s_cbranch_execz .LBB321_1311
; %bb.1308:                             ;   in Loop: Header=BB321_927 Depth=1
	v_and_b32_e32 v32, 7, v0
	v_lshrrev_b32_e32 v98, 3, v99
	s_mov_b32 s18, exec_lo
	v_cmpx_gt_u32_e32 8, v99
; %bb.1309:                             ;   in Loop: Header=BB321_927 Depth=1
	v_ffbh_u32_e32 v32, v32
	v_min_u32_e32 v32, 32, v32
	v_subrev_nc_u32_e32 v98, 28, v32
	v_lshlrev_b64 v[99:100], v98, v[0:1]
	v_sub_nc_u32_e32 v98, 29, v32
	v_and_b32_e32 v32, 7, v99
; %bb.1310:                             ;   in Loop: Header=BB321_927 Depth=1
	s_or_b32 exec_lo, exec_lo, s18
	v_lshlrev_b32_e32 v0, 8, v0
	v_lshl_add_u32 v98, v98, 10, 0x2000
	v_lshlrev_b32_e32 v32, 7, v32
	v_and_b32_e32 v0, 0x8000, v0
	v_and_b32_e32 v98, 0xfc00, v98
	v_or3_b32 v32, v0, v98, v32
.LBB321_1311:                           ;   in Loop: Header=BB321_927 Depth=1
	s_or_b32 exec_lo, exec_lo, s15
.LBB321_1312:                           ;   in Loop: Header=BB321_927 Depth=1
	s_or_b32 exec_lo, exec_lo, s13
.LBB321_1313:                           ;   in Loop: Header=BB321_927 Depth=1
	s_or_b32 exec_lo, exec_lo, s12
	v_cmp_lt_u64_e64 s4, s[8:9], v[11:12]
	v_mov_b32_e32 v11, 0
	s_and_saveexec_b32 s12, s4
	s_cbranch_execz .LBB321_1321
; %bb.1314:                             ;   in Loop: Header=BB321_927 Depth=1
	v_lshrrev_b32_e32 v0, 24, v12
	v_bfrev_b32_e32 v11, 1
	s_mov_b32 s13, exec_lo
	v_cmpx_ne_u32_e32 0x80, v0
	s_cbranch_execz .LBB321_1320
; %bb.1315:                             ;   in Loop: Header=BB321_927 Depth=1
	v_and_b32_e32 v98, 0x7f, v0
	v_mov_b32_e32 v11, 0x7c010000
	s_mov_b32 s15, exec_lo
	v_cmpx_ne_u32_e32 0x7f, v98
	s_cbranch_execz .LBB321_1319
; %bb.1316:                             ;   in Loop: Header=BB321_927 Depth=1
	v_and_b32_e32 v11, 7, v0
	v_lshrrev_b32_e32 v12, 3, v98
	s_mov_b32 s18, exec_lo
	v_cmpx_gt_u32_e32 8, v98
; %bb.1317:                             ;   in Loop: Header=BB321_927 Depth=1
	v_ffbh_u32_e32 v11, v11
	v_min_u32_e32 v98, 32, v11
	v_subrev_nc_u32_e32 v11, 28, v98
	v_lshlrev_b64 v[11:12], v11, v[0:1]
	v_sub_nc_u32_e32 v12, 29, v98
	v_and_b32_e32 v11, 7, v11
; %bb.1318:                             ;   in Loop: Header=BB321_927 Depth=1
	s_or_b32 exec_lo, exec_lo, s18
	v_lshlrev_b32_e32 v0, 8, v0
	v_lshl_add_u32 v12, v12, 10, 0x2000
	v_lshlrev_b32_e32 v11, 23, v11
	v_and_or_b32 v0, 0x8000, v0, v12
	v_lshl_or_b32 v11, v0, 16, v11
.LBB321_1319:                           ;   in Loop: Header=BB321_927 Depth=1
	s_or_b32 exec_lo, exec_lo, s15
.LBB321_1320:                           ;   in Loop: Header=BB321_927 Depth=1
	s_or_b32 exec_lo, exec_lo, s13
.LBB321_1321:                           ;   in Loop: Header=BB321_927 Depth=1
	s_or_b32 exec_lo, exec_lo, s12
	v_or_b32_e32 v0, v6, v23
	s_waitcnt vmcnt(0) lgkmcnt(0)
	v_fma_mixlo_f16 v6, v4, v6, 0 op_sel:[0,1,0] op_sel_hi:[0,1,0]
	v_or_b32_e32 v22, v5, v22
	v_or_b32_e32 v23, v35, v34
	;; [unrolled: 1-line block ×3, first 2 shown]
	v_fma_mixlo_f16 v5, v4, v5, 0 op_sel:[0,1,0] op_sel_hi:[0,1,0]
	v_fma_mixlo_f16 v34, v4, v0, 0 op_sel_hi:[0,1,0]
	v_lshlrev_b32_e32 v0, 16, v6
	v_fma_mixlo_f16 v6, v4, v22, 0 op_sel_hi:[0,1,0]
	v_fma_mixlo_f16 v22, v4, v35, 0 op_sel:[0,1,0] op_sel_hi:[0,1,0]
	v_fma_mixlo_f16 v23, v4, v23, 0 op_sel_hi:[0,1,0]
	v_fma_mixlo_f16 v11, v4, v11, 0 op_sel:[0,1,0] op_sel_hi:[0,1,0]
	v_fma_mixlo_f16 v32, v4, v32, 0 op_sel_hi:[0,1,0]
	v_lshlrev_b32_e32 v12, 16, v5
	v_and_b32_e32 v5, 0xffff, v34
	v_and_b32_e32 v98, 0xffff, v6
	v_lshlrev_b32_e32 v6, 16, v22
	v_and_b32_e32 v23, 0xffff, v23
	v_lshlrev_b32_e32 v4, 16, v11
	v_and_b32_e32 v11, 0xffff, v32
	v_or_b32_e32 v22, v0, v5
	v_or_b32_e32 v35, v12, v98
	v_or_b32_e32 v34, v6, v23
	v_or_b32_e32 v32, v4, v11
	s_and_saveexec_b32 s12, vcc_lo
	s_cbranch_execz .LBB321_1323
; %bb.1322:                             ;   in Loop: Header=BB321_927 Depth=1
	v_cmp_lt_i32_e64 s4, v53, v33
	v_cndmask_b32_e64 v22, 0, v98, s4
	v_cmp_lt_i32_e64 s4, v81, v33
	v_cndmask_b32_e64 v12, 0, v12, s4
	v_cmp_lt_i32_e64 s4, v80, v33
	v_or_b32_e32 v35, v22, v12
	v_cndmask_b32_e64 v5, 0, v5, s4
	v_cmp_lt_i32_e64 s4, v71, v33
	v_cndmask_b32_e64 v0, 0, v0, s4
	v_cmp_lt_i32_e64 s4, v70, v33
	v_or_b32_e32 v22, v5, v0
	;; [unrolled: 5-line block ×3, first 2 shown]
	v_cndmask_b32_e64 v11, 0, v11, s4
	v_cmp_lt_i32_e64 s4, v14, v33
	v_cndmask_b32_e64 v4, 0, v4, s4
	v_or_b32_e32 v32, v11, v4
.LBB321_1323:                           ;   in Loop: Header=BB321_927 Depth=1
	s_or_b32 exec_lo, exec_lo, s12
	;;#ASMSTART
	v_pk_mul_f16 v0, v66, v35;

	;;#ASMEND
	;;#ASMSTART
	v_pk_mul_f16 v4, v64, v22;

	;;#ASMEND
	;; [unrolled: 4-line block ×4, first 2 shown]
	;;#ASMSTART
	v_pk_add_f16 v0, v0, v4;

	;;#ASMEND
	;;#ASMSTART
	v_pk_add_f16 v0, v0, v5;

	;;#ASMEND
	;; [unrolled: 4-line block ×3, first 2 shown]
	v_and_b32_e32 v4, 0xffff, v0
	v_lshrrev_b32_e32 v0, 16, v0
	;;#ASMSTART
	v_cvt_f32_f16 v98, v4;
	;;#ASMEND
	;;#ASMSTART
	v_cvt_f32_f16 v99, v0;
	;;#ASMEND
	flat_load_dwordx2 v[11:12], v[9:10] offset:1536
	flat_load_dword v4, v[26:27]
	v_mov_b32_e32 v5, 0
	v_mov_b32_e32 v22, 0
	s_waitcnt vmcnt(1) lgkmcnt(1)
	v_cmp_ne_u16_sdwa s4, v11, v1 src0_sel:BYTE_0 src1_sel:DWORD
	s_and_saveexec_b32 s12, s4
	s_cbranch_execz .LBB321_1331
; %bb.1324:                             ;   in Loop: Header=BB321_927 Depth=1
	v_cmp_ne_u16_sdwa s4, v11, v16 src0_sel:BYTE_0 src1_sel:DWORD
	v_mov_b32_e32 v22, 0x8000
	s_and_saveexec_b32 s13, s4
	s_cbranch_execz .LBB321_1330
; %bb.1325:                             ;   in Loop: Header=BB321_927 Depth=1
	v_and_b32_e32 v23, 0x7f, v11
	v_mov_b32_e32 v22, 0x7c01
	s_mov_b32 s15, exec_lo
	v_cmpx_ne_u32_e32 0x7f, v23
	s_cbranch_execz .LBB321_1329
; %bb.1326:                             ;   in Loop: Header=BB321_927 Depth=1
	v_and_b32_e32 v0, 7, v11
	v_lshrrev_b32_e32 v6, 3, v23
	s_mov_b32 s18, exec_lo
	v_cmpx_gt_u32_e32 8, v23
; %bb.1327:                             ;   in Loop: Header=BB321_927 Depth=1
	v_ffbh_u32_e32 v0, v0
	v_min_u32_e32 v0, 32, v0
	v_subrev_nc_u32_e32 v6, 28, v0
	v_lshlrev_b64 v[22:23], v6, v[11:12]
	v_sub_nc_u32_e32 v6, 29, v0
	v_and_b32_e32 v0, 7, v22
; %bb.1328:                             ;   in Loop: Header=BB321_927 Depth=1
	s_or_b32 exec_lo, exec_lo, s18
	v_lshlrev_b32_e32 v22, 8, v11
	v_lshl_add_u32 v6, v6, 10, 0x2000
	v_lshlrev_b32_e32 v0, 7, v0
	v_and_b32_e32 v22, 0x8000, v22
	v_and_b32_e32 v6, 0xfc00, v6
	v_or3_b32 v22, v22, v6, v0
.LBB321_1329:                           ;   in Loop: Header=BB321_927 Depth=1
	s_or_b32 exec_lo, exec_lo, s15
.LBB321_1330:                           ;   in Loop: Header=BB321_927 Depth=1
	s_or_b32 exec_lo, exec_lo, s13
.LBB321_1331:                           ;   in Loop: Header=BB321_927 Depth=1
	s_or_b32 exec_lo, exec_lo, s12
	v_lshrrev_b16 v0, 8, v11
	s_mov_b32 s12, exec_lo
	v_cmpx_ne_u16_e32 0, v0
	s_cbranch_execz .LBB321_1339
; %bb.1332:                             ;   in Loop: Header=BB321_927 Depth=1
	v_bfrev_b32_e32 v5, 1
	s_mov_b32 s13, exec_lo
	v_cmpx_ne_u16_e32 0x80, v0
	s_cbranch_execz .LBB321_1338
; %bb.1333:                             ;   in Loop: Header=BB321_927 Depth=1
	v_and_b32_sdwa v23, v0, v17 dst_sel:DWORD dst_unused:UNUSED_PAD src0_sel:WORD_0 src1_sel:DWORD
	v_mov_b32_e32 v5, 0x7c010000
	s_mov_b32 s15, exec_lo
	v_cmpx_ne_u32_e32 0x7f, v23
	s_cbranch_execz .LBB321_1337
; %bb.1334:                             ;   in Loop: Header=BB321_927 Depth=1
	v_and_b32_sdwa v5, v0, v37 dst_sel:DWORD dst_unused:UNUSED_PAD src0_sel:WORD_0 src1_sel:DWORD
	v_lshrrev_b32_e32 v6, 3, v23
	s_mov_b32 s18, exec_lo
	v_cmpx_gt_u32_e32 8, v23
; %bb.1335:                             ;   in Loop: Header=BB321_927 Depth=1
	v_ffbh_u32_e32 v5, v5
	v_min_u32_e32 v23, 32, v5
	v_subrev_nc_u32_e32 v5, 28, v23
	v_lshlrev_b64 v[5:6], v5, v[0:1]
	v_sub_nc_u32_e32 v6, 29, v23
	v_and_b32_e32 v5, 7, v5
; %bb.1336:                             ;   in Loop: Header=BB321_927 Depth=1
	s_or_b32 exec_lo, exec_lo, s18
	v_lshlrev_b32_sdwa v0, v52, v0 dst_sel:DWORD dst_unused:UNUSED_PAD src0_sel:DWORD src1_sel:WORD_0
	v_lshl_add_u32 v6, v6, 10, 0x2000
	v_lshlrev_b32_e32 v5, 23, v5
	v_and_or_b32 v0, 0x8000, v0, v6
	v_lshl_or_b32 v5, v0, 16, v5
.LBB321_1337:                           ;   in Loop: Header=BB321_927 Depth=1
	s_or_b32 exec_lo, exec_lo, s15
.LBB321_1338:                           ;   in Loop: Header=BB321_927 Depth=1
	s_or_b32 exec_lo, exec_lo, s13
.LBB321_1339:                           ;   in Loop: Header=BB321_927 Depth=1
	s_or_b32 exec_lo, exec_lo, s12
	v_lshrrev_b32_e32 v0, 16, v11
	v_mov_b32_e32 v6, 0
	v_mov_b32_e32 v23, 0
	v_cmp_ne_u16_sdwa s4, v0, v1 src0_sel:BYTE_0 src1_sel:DWORD
	s_and_saveexec_b32 s12, s4
	s_cbranch_execz .LBB321_1347
; %bb.1340:                             ;   in Loop: Header=BB321_927 Depth=1
	v_cmp_ne_u16_sdwa s4, v0, v16 src0_sel:BYTE_0 src1_sel:DWORD
	v_mov_b32_e32 v23, 0x8000
	s_and_saveexec_b32 s13, s4
	s_cbranch_execz .LBB321_1346
; %bb.1341:                             ;   in Loop: Header=BB321_927 Depth=1
	v_bfe_u32 v34, v11, 16, 7
	v_mov_b32_e32 v23, 0x7c01
	s_mov_b32 s15, exec_lo
	v_cmpx_ne_u32_e32 0x7f, v34
	s_cbranch_execz .LBB321_1345
; %bb.1342:                             ;   in Loop: Header=BB321_927 Depth=1
	v_and_b32_e32 v23, 7, v0
	v_lshrrev_b32_e32 v32, 3, v34
	s_mov_b32 s18, exec_lo
	v_cmpx_gt_u32_e32 8, v34
; %bb.1343:                             ;   in Loop: Header=BB321_927 Depth=1
	v_ffbh_u32_e32 v23, v23
	v_min_u32_e32 v23, 32, v23
	v_subrev_nc_u32_e32 v32, 28, v23
	v_lshlrev_b64 v[34:35], v32, v[0:1]
	v_sub_nc_u32_e32 v32, 29, v23
	v_and_b32_e32 v23, 7, v34
; %bb.1344:                             ;   in Loop: Header=BB321_927 Depth=1
	s_or_b32 exec_lo, exec_lo, s18
	v_lshlrev_b32_e32 v0, 8, v0
	v_lshl_add_u32 v32, v32, 10, 0x2000
	v_lshlrev_b32_e32 v23, 7, v23
	v_and_b32_e32 v0, 0x8000, v0
	v_and_b32_e32 v32, 0xfc00, v32
	v_or3_b32 v23, v0, v32, v23
.LBB321_1345:                           ;   in Loop: Header=BB321_927 Depth=1
	s_or_b32 exec_lo, exec_lo, s15
.LBB321_1346:                           ;   in Loop: Header=BB321_927 Depth=1
	s_or_b32 exec_lo, exec_lo, s13
.LBB321_1347:                           ;   in Loop: Header=BB321_927 Depth=1
	s_or_b32 exec_lo, exec_lo, s12
	s_mov_b32 s12, exec_lo
	v_cmpx_lt_u32_e32 0xffffff, v11
	s_cbranch_execz .LBB321_1355
; %bb.1348:                             ;   in Loop: Header=BB321_927 Depth=1
	v_lshrrev_b32_e32 v0, 24, v11
	v_bfrev_b32_e32 v6, 1
	s_mov_b32 s13, exec_lo
	v_cmpx_ne_u32_e32 0x80, v0
	s_cbranch_execz .LBB321_1354
; %bb.1349:                             ;   in Loop: Header=BB321_927 Depth=1
	v_and_b32_e32 v34, 0x7f, v0
	v_mov_b32_e32 v6, 0x7c010000
	s_mov_b32 s15, exec_lo
	v_cmpx_ne_u32_e32 0x7f, v34
	s_cbranch_execz .LBB321_1353
; %bb.1350:                             ;   in Loop: Header=BB321_927 Depth=1
	v_and_b32_e32 v6, 7, v0
	v_lshrrev_b32_e32 v32, 3, v34
	s_mov_b32 s18, exec_lo
	v_cmpx_gt_u32_e32 8, v34
; %bb.1351:                             ;   in Loop: Header=BB321_927 Depth=1
	v_ffbh_u32_e32 v6, v6
	v_min_u32_e32 v6, 32, v6
	v_subrev_nc_u32_e32 v32, 28, v6
	v_lshlrev_b64 v[34:35], v32, v[0:1]
	v_sub_nc_u32_e32 v32, 29, v6
	v_and_b32_e32 v6, 7, v34
; %bb.1352:                             ;   in Loop: Header=BB321_927 Depth=1
	s_or_b32 exec_lo, exec_lo, s18
	v_lshlrev_b32_e32 v0, 8, v0
	v_lshl_add_u32 v32, v32, 10, 0x2000
	v_lshlrev_b32_e32 v6, 23, v6
	v_and_or_b32 v0, 0x8000, v0, v32
	v_lshl_or_b32 v6, v0, 16, v6
.LBB321_1353:                           ;   in Loop: Header=BB321_927 Depth=1
	s_or_b32 exec_lo, exec_lo, s15
.LBB321_1354:                           ;   in Loop: Header=BB321_927 Depth=1
	s_or_b32 exec_lo, exec_lo, s13
.LBB321_1355:                           ;   in Loop: Header=BB321_927 Depth=1
	s_or_b32 exec_lo, exec_lo, s12
	v_mov_b32_e32 v0, v12
	v_cmp_ne_u16_sdwa s4, v12, v1 src0_sel:BYTE_0 src1_sel:DWORD
	v_mov_b32_e32 v32, 0
	v_mov_b32_e32 v34, 0
	s_and_saveexec_b32 s12, s4
	s_cbranch_execz .LBB321_1363
; %bb.1356:                             ;   in Loop: Header=BB321_927 Depth=1
	v_cmp_ne_u16_sdwa s4, v12, v16 src0_sel:BYTE_0 src1_sel:DWORD
	v_mov_b32_e32 v34, 0x8000
	s_and_saveexec_b32 s13, s4
	s_cbranch_execz .LBB321_1362
; %bb.1357:                             ;   in Loop: Header=BB321_927 Depth=1
	v_and_b32_e32 v100, 0x7f, v12
	v_mov_b32_e32 v34, 0x7c01
	s_mov_b32 s15, exec_lo
	v_cmpx_ne_u32_e32 0x7f, v100
	s_cbranch_execz .LBB321_1361
; %bb.1358:                             ;   in Loop: Header=BB321_927 Depth=1
	v_and_b32_e32 v34, 7, v12
	v_lshrrev_b32_e32 v35, 3, v100
	s_mov_b32 s18, exec_lo
	v_cmpx_gt_u32_e32 8, v100
; %bb.1359:                             ;   in Loop: Header=BB321_927 Depth=1
	v_ffbh_u32_e32 v34, v34
	v_min_u32_e32 v100, 32, v34
	v_subrev_nc_u32_e32 v34, 28, v100
	v_lshlrev_b64 v[34:35], v34, v[0:1]
	v_sub_nc_u32_e32 v35, 29, v100
	v_and_b32_e32 v34, 7, v34
; %bb.1360:                             ;   in Loop: Header=BB321_927 Depth=1
	s_or_b32 exec_lo, exec_lo, s18
	v_lshlrev_b32_e32 v100, 8, v12
	v_lshl_add_u32 v35, v35, 10, 0x2000
	v_lshlrev_b32_e32 v34, 7, v34
	v_and_b32_e32 v100, 0x8000, v100
	v_and_b32_e32 v35, 0xfc00, v35
	v_or3_b32 v34, v100, v35, v34
.LBB321_1361:                           ;   in Loop: Header=BB321_927 Depth=1
	s_or_b32 exec_lo, exec_lo, s15
.LBB321_1362:                           ;   in Loop: Header=BB321_927 Depth=1
	s_or_b32 exec_lo, exec_lo, s13
.LBB321_1363:                           ;   in Loop: Header=BB321_927 Depth=1
	s_or_b32 exec_lo, exec_lo, s12
	v_lshrrev_b16 v0, 8, v0
	v_mov_b32_e32 v35, 0
	s_mov_b32 s12, exec_lo
	v_cmpx_ne_u16_e32 0, v0
	s_cbranch_execz .LBB321_1371
; %bb.1364:                             ;   in Loop: Header=BB321_927 Depth=1
	v_bfrev_b32_e32 v35, 1
	s_mov_b32 s13, exec_lo
	v_cmpx_ne_u16_e32 0x80, v0
	s_cbranch_execz .LBB321_1370
; %bb.1365:                             ;   in Loop: Header=BB321_927 Depth=1
	v_and_b32_sdwa v101, v0, v17 dst_sel:DWORD dst_unused:UNUSED_PAD src0_sel:WORD_0 src1_sel:DWORD
	v_mov_b32_e32 v35, 0x7c010000
	s_mov_b32 s15, exec_lo
	v_cmpx_ne_u32_e32 0x7f, v101
	s_cbranch_execz .LBB321_1369
; %bb.1366:                             ;   in Loop: Header=BB321_927 Depth=1
	v_and_b32_sdwa v35, v0, v37 dst_sel:DWORD dst_unused:UNUSED_PAD src0_sel:WORD_0 src1_sel:DWORD
	v_lshrrev_b32_e32 v100, 3, v101
	s_mov_b32 s18, exec_lo
	v_cmpx_gt_u32_e32 8, v101
; %bb.1367:                             ;   in Loop: Header=BB321_927 Depth=1
	v_ffbh_u32_e32 v35, v35
	v_min_u32_e32 v35, 32, v35
	v_subrev_nc_u32_e32 v100, 28, v35
	v_lshlrev_b64 v[101:102], v100, v[0:1]
	v_sub_nc_u32_e32 v100, 29, v35
	v_and_b32_e32 v35, 7, v101
; %bb.1368:                             ;   in Loop: Header=BB321_927 Depth=1
	s_or_b32 exec_lo, exec_lo, s18
	v_lshlrev_b32_sdwa v0, v52, v0 dst_sel:DWORD dst_unused:UNUSED_PAD src0_sel:DWORD src1_sel:WORD_0
	v_lshl_add_u32 v100, v100, 10, 0x2000
	v_lshlrev_b32_e32 v35, 23, v35
	v_and_or_b32 v0, 0x8000, v0, v100
	v_lshl_or_b32 v35, v0, 16, v35
.LBB321_1369:                           ;   in Loop: Header=BB321_927 Depth=1
	s_or_b32 exec_lo, exec_lo, s15
.LBB321_1370:                           ;   in Loop: Header=BB321_927 Depth=1
	s_or_b32 exec_lo, exec_lo, s13
.LBB321_1371:                           ;   in Loop: Header=BB321_927 Depth=1
	s_or_b32 exec_lo, exec_lo, s12
	v_lshrrev_b32_e32 v0, 16, v12
	v_cmp_ne_u16_sdwa s4, v0, v1 src0_sel:BYTE_0 src1_sel:DWORD
	s_and_saveexec_b32 s12, s4
	s_cbranch_execz .LBB321_1379
; %bb.1372:                             ;   in Loop: Header=BB321_927 Depth=1
	v_cmp_ne_u16_sdwa s4, v0, v16 src0_sel:BYTE_0 src1_sel:DWORD
	v_mov_b32_e32 v32, 0x8000
	s_and_saveexec_b32 s13, s4
	s_cbranch_execz .LBB321_1378
; %bb.1373:                             ;   in Loop: Header=BB321_927 Depth=1
	v_bfe_u32 v101, v12, 16, 7
	v_mov_b32_e32 v32, 0x7c01
	s_mov_b32 s15, exec_lo
	v_cmpx_ne_u32_e32 0x7f, v101
	s_cbranch_execz .LBB321_1377
; %bb.1374:                             ;   in Loop: Header=BB321_927 Depth=1
	v_and_b32_e32 v32, 7, v0
	v_lshrrev_b32_e32 v100, 3, v101
	s_mov_b32 s18, exec_lo
	v_cmpx_gt_u32_e32 8, v101
; %bb.1375:                             ;   in Loop: Header=BB321_927 Depth=1
	v_ffbh_u32_e32 v32, v32
	v_min_u32_e32 v32, 32, v32
	v_subrev_nc_u32_e32 v100, 28, v32
	v_lshlrev_b64 v[101:102], v100, v[0:1]
	v_sub_nc_u32_e32 v100, 29, v32
	v_and_b32_e32 v32, 7, v101
; %bb.1376:                             ;   in Loop: Header=BB321_927 Depth=1
	s_or_b32 exec_lo, exec_lo, s18
	v_lshlrev_b32_e32 v0, 8, v0
	v_lshl_add_u32 v100, v100, 10, 0x2000
	v_lshlrev_b32_e32 v32, 7, v32
	v_and_b32_e32 v0, 0x8000, v0
	v_and_b32_e32 v100, 0xfc00, v100
	v_or3_b32 v32, v0, v100, v32
.LBB321_1377:                           ;   in Loop: Header=BB321_927 Depth=1
	s_or_b32 exec_lo, exec_lo, s15
.LBB321_1378:                           ;   in Loop: Header=BB321_927 Depth=1
	s_or_b32 exec_lo, exec_lo, s13
.LBB321_1379:                           ;   in Loop: Header=BB321_927 Depth=1
	s_or_b32 exec_lo, exec_lo, s12
	v_cmp_lt_u64_e64 s4, s[8:9], v[11:12]
	v_mov_b32_e32 v11, 0
	s_and_saveexec_b32 s12, s4
	s_cbranch_execz .LBB321_1387
; %bb.1380:                             ;   in Loop: Header=BB321_927 Depth=1
	v_lshrrev_b32_e32 v0, 24, v12
	v_bfrev_b32_e32 v11, 1
	s_mov_b32 s13, exec_lo
	v_cmpx_ne_u32_e32 0x80, v0
	s_cbranch_execz .LBB321_1386
; %bb.1381:                             ;   in Loop: Header=BB321_927 Depth=1
	v_and_b32_e32 v100, 0x7f, v0
	v_mov_b32_e32 v11, 0x7c010000
	s_mov_b32 s15, exec_lo
	v_cmpx_ne_u32_e32 0x7f, v100
	s_cbranch_execz .LBB321_1385
; %bb.1382:                             ;   in Loop: Header=BB321_927 Depth=1
	v_and_b32_e32 v11, 7, v0
	v_lshrrev_b32_e32 v12, 3, v100
	s_mov_b32 s18, exec_lo
	v_cmpx_gt_u32_e32 8, v100
; %bb.1383:                             ;   in Loop: Header=BB321_927 Depth=1
	v_ffbh_u32_e32 v11, v11
	v_min_u32_e32 v100, 32, v11
	v_subrev_nc_u32_e32 v11, 28, v100
	v_lshlrev_b64 v[11:12], v11, v[0:1]
	v_sub_nc_u32_e32 v12, 29, v100
	v_and_b32_e32 v11, 7, v11
; %bb.1384:                             ;   in Loop: Header=BB321_927 Depth=1
	s_or_b32 exec_lo, exec_lo, s18
	v_lshlrev_b32_e32 v0, 8, v0
	v_lshl_add_u32 v12, v12, 10, 0x2000
	v_lshlrev_b32_e32 v11, 23, v11
	v_and_or_b32 v0, 0x8000, v0, v12
	v_lshl_or_b32 v11, v0, 16, v11
.LBB321_1385:                           ;   in Loop: Header=BB321_927 Depth=1
	s_or_b32 exec_lo, exec_lo, s15
.LBB321_1386:                           ;   in Loop: Header=BB321_927 Depth=1
	s_or_b32 exec_lo, exec_lo, s13
.LBB321_1387:                           ;   in Loop: Header=BB321_927 Depth=1
	s_or_b32 exec_lo, exec_lo, s12
	v_or_b32_e32 v0, v6, v23
	s_waitcnt vmcnt(0) lgkmcnt(0)
	v_fma_mixlo_f16 v6, v4, v6, 0 op_sel:[0,1,0] op_sel_hi:[0,1,0]
	v_or_b32_e32 v22, v5, v22
	v_or_b32_e32 v23, v35, v34
	;; [unrolled: 1-line block ×3, first 2 shown]
	v_fma_mixlo_f16 v5, v4, v5, 0 op_sel:[0,1,0] op_sel_hi:[0,1,0]
	v_fma_mixlo_f16 v34, v4, v0, 0 op_sel_hi:[0,1,0]
	v_lshlrev_b32_e32 v0, 16, v6
	v_fma_mixlo_f16 v6, v4, v22, 0 op_sel_hi:[0,1,0]
	v_fma_mixlo_f16 v22, v4, v35, 0 op_sel:[0,1,0] op_sel_hi:[0,1,0]
	v_fma_mixlo_f16 v23, v4, v23, 0 op_sel_hi:[0,1,0]
	v_fma_mixlo_f16 v11, v4, v11, 0 op_sel:[0,1,0] op_sel_hi:[0,1,0]
	v_fma_mixlo_f16 v32, v4, v32, 0 op_sel_hi:[0,1,0]
	v_lshlrev_b32_e32 v12, 16, v5
	v_and_b32_e32 v5, 0xffff, v34
	v_and_b32_e32 v100, 0xffff, v6
	v_lshlrev_b32_e32 v6, 16, v22
	v_and_b32_e32 v23, 0xffff, v23
	v_lshlrev_b32_e32 v4, 16, v11
	v_and_b32_e32 v11, 0xffff, v32
	v_or_b32_e32 v22, v0, v5
	v_or_b32_e32 v35, v12, v100
	;; [unrolled: 1-line block ×4, first 2 shown]
	s_and_saveexec_b32 s12, vcc_lo
	s_cbranch_execz .LBB321_1389
; %bb.1388:                             ;   in Loop: Header=BB321_927 Depth=1
	v_cmp_lt_i32_e64 s4, v53, v33
	v_cndmask_b32_e64 v22, 0, v100, s4
	v_cmp_lt_i32_e64 s4, v81, v33
	v_cndmask_b32_e64 v12, 0, v12, s4
	v_cmp_lt_i32_e64 s4, v80, v33
	v_or_b32_e32 v35, v22, v12
	v_cndmask_b32_e64 v5, 0, v5, s4
	v_cmp_lt_i32_e64 s4, v71, v33
	v_cndmask_b32_e64 v0, 0, v0, s4
	v_cmp_lt_i32_e64 s4, v70, v33
	v_or_b32_e32 v22, v5, v0
	;; [unrolled: 5-line block ×3, first 2 shown]
	v_cndmask_b32_e64 v11, 0, v11, s4
	v_cmp_lt_i32_e64 s4, v14, v33
	v_cndmask_b32_e64 v4, 0, v4, s4
	v_or_b32_e32 v32, v11, v4
.LBB321_1389:                           ;   in Loop: Header=BB321_927 Depth=1
	s_or_b32 exec_lo, exec_lo, s12
	;;#ASMSTART
	v_pk_mul_f16 v0, v66, v35;

	;;#ASMEND
	;;#ASMSTART
	v_pk_mul_f16 v4, v64, v22;

	;;#ASMEND
	;; [unrolled: 4-line block ×4, first 2 shown]
	;;#ASMSTART
	v_pk_add_f16 v0, v0, v4;

	;;#ASMEND
	;;#ASMSTART
	v_pk_add_f16 v0, v0, v5;

	;;#ASMEND
	;; [unrolled: 4-line block ×3, first 2 shown]
	v_and_b32_e32 v4, 0xffff, v0
	v_lshrrev_b32_e32 v0, 16, v0
	;;#ASMSTART
	v_cvt_f32_f16 v100, v4;
	;;#ASMEND
	;;#ASMSTART
	v_cvt_f32_f16 v101, v0;
	;;#ASMEND
	flat_load_dwordx2 v[11:12], v[9:10] offset:1792
	flat_load_dword v4, v[26:27]
	v_mov_b32_e32 v5, 0
	v_mov_b32_e32 v22, 0
	s_waitcnt vmcnt(1) lgkmcnt(1)
	v_cmp_ne_u16_sdwa s4, v11, v1 src0_sel:BYTE_0 src1_sel:DWORD
	s_and_saveexec_b32 s12, s4
	s_cbranch_execz .LBB321_1397
; %bb.1390:                             ;   in Loop: Header=BB321_927 Depth=1
	v_cmp_ne_u16_sdwa s4, v11, v16 src0_sel:BYTE_0 src1_sel:DWORD
	v_mov_b32_e32 v22, 0x8000
	s_and_saveexec_b32 s13, s4
	s_cbranch_execz .LBB321_1396
; %bb.1391:                             ;   in Loop: Header=BB321_927 Depth=1
	v_and_b32_e32 v23, 0x7f, v11
	v_mov_b32_e32 v22, 0x7c01
	s_mov_b32 s15, exec_lo
	v_cmpx_ne_u32_e32 0x7f, v23
	s_cbranch_execz .LBB321_1395
; %bb.1392:                             ;   in Loop: Header=BB321_927 Depth=1
	v_and_b32_e32 v0, 7, v11
	v_lshrrev_b32_e32 v6, 3, v23
	s_mov_b32 s18, exec_lo
	v_cmpx_gt_u32_e32 8, v23
; %bb.1393:                             ;   in Loop: Header=BB321_927 Depth=1
	v_ffbh_u32_e32 v0, v0
	v_min_u32_e32 v0, 32, v0
	v_subrev_nc_u32_e32 v6, 28, v0
	v_lshlrev_b64 v[22:23], v6, v[11:12]
	v_sub_nc_u32_e32 v6, 29, v0
	v_and_b32_e32 v0, 7, v22
; %bb.1394:                             ;   in Loop: Header=BB321_927 Depth=1
	s_or_b32 exec_lo, exec_lo, s18
	v_lshlrev_b32_e32 v22, 8, v11
	v_lshl_add_u32 v6, v6, 10, 0x2000
	v_lshlrev_b32_e32 v0, 7, v0
	v_and_b32_e32 v22, 0x8000, v22
	v_and_b32_e32 v6, 0xfc00, v6
	v_or3_b32 v22, v22, v6, v0
.LBB321_1395:                           ;   in Loop: Header=BB321_927 Depth=1
	s_or_b32 exec_lo, exec_lo, s15
.LBB321_1396:                           ;   in Loop: Header=BB321_927 Depth=1
	s_or_b32 exec_lo, exec_lo, s13
.LBB321_1397:                           ;   in Loop: Header=BB321_927 Depth=1
	s_or_b32 exec_lo, exec_lo, s12
	v_lshrrev_b16 v0, 8, v11
	s_mov_b32 s12, exec_lo
	v_cmpx_ne_u16_e32 0, v0
	s_cbranch_execz .LBB321_1405
; %bb.1398:                             ;   in Loop: Header=BB321_927 Depth=1
	v_bfrev_b32_e32 v5, 1
	s_mov_b32 s13, exec_lo
	v_cmpx_ne_u16_e32 0x80, v0
	s_cbranch_execz .LBB321_1404
; %bb.1399:                             ;   in Loop: Header=BB321_927 Depth=1
	v_and_b32_sdwa v23, v0, v17 dst_sel:DWORD dst_unused:UNUSED_PAD src0_sel:WORD_0 src1_sel:DWORD
	v_mov_b32_e32 v5, 0x7c010000
	s_mov_b32 s15, exec_lo
	v_cmpx_ne_u32_e32 0x7f, v23
	s_cbranch_execz .LBB321_1403
; %bb.1400:                             ;   in Loop: Header=BB321_927 Depth=1
	v_and_b32_sdwa v5, v0, v37 dst_sel:DWORD dst_unused:UNUSED_PAD src0_sel:WORD_0 src1_sel:DWORD
	v_lshrrev_b32_e32 v6, 3, v23
	s_mov_b32 s18, exec_lo
	v_cmpx_gt_u32_e32 8, v23
; %bb.1401:                             ;   in Loop: Header=BB321_927 Depth=1
	v_ffbh_u32_e32 v5, v5
	v_min_u32_e32 v23, 32, v5
	v_subrev_nc_u32_e32 v5, 28, v23
	v_lshlrev_b64 v[5:6], v5, v[0:1]
	v_sub_nc_u32_e32 v6, 29, v23
	v_and_b32_e32 v5, 7, v5
; %bb.1402:                             ;   in Loop: Header=BB321_927 Depth=1
	s_or_b32 exec_lo, exec_lo, s18
	v_lshlrev_b32_sdwa v0, v52, v0 dst_sel:DWORD dst_unused:UNUSED_PAD src0_sel:DWORD src1_sel:WORD_0
	v_lshl_add_u32 v6, v6, 10, 0x2000
	v_lshlrev_b32_e32 v5, 23, v5
	v_and_or_b32 v0, 0x8000, v0, v6
	v_lshl_or_b32 v5, v0, 16, v5
.LBB321_1403:                           ;   in Loop: Header=BB321_927 Depth=1
	s_or_b32 exec_lo, exec_lo, s15
.LBB321_1404:                           ;   in Loop: Header=BB321_927 Depth=1
	s_or_b32 exec_lo, exec_lo, s13
.LBB321_1405:                           ;   in Loop: Header=BB321_927 Depth=1
	s_or_b32 exec_lo, exec_lo, s12
	v_lshrrev_b32_e32 v0, 16, v11
	v_mov_b32_e32 v6, 0
	v_mov_b32_e32 v23, 0
	v_cmp_ne_u16_sdwa s4, v0, v1 src0_sel:BYTE_0 src1_sel:DWORD
	s_and_saveexec_b32 s12, s4
	s_cbranch_execz .LBB321_1413
; %bb.1406:                             ;   in Loop: Header=BB321_927 Depth=1
	v_cmp_ne_u16_sdwa s4, v0, v16 src0_sel:BYTE_0 src1_sel:DWORD
	v_mov_b32_e32 v23, 0x8000
	s_and_saveexec_b32 s13, s4
	s_cbranch_execz .LBB321_1412
; %bb.1407:                             ;   in Loop: Header=BB321_927 Depth=1
	v_bfe_u32 v34, v11, 16, 7
	v_mov_b32_e32 v23, 0x7c01
	s_mov_b32 s15, exec_lo
	v_cmpx_ne_u32_e32 0x7f, v34
	s_cbranch_execz .LBB321_1411
; %bb.1408:                             ;   in Loop: Header=BB321_927 Depth=1
	v_and_b32_e32 v23, 7, v0
	v_lshrrev_b32_e32 v32, 3, v34
	s_mov_b32 s18, exec_lo
	v_cmpx_gt_u32_e32 8, v34
; %bb.1409:                             ;   in Loop: Header=BB321_927 Depth=1
	v_ffbh_u32_e32 v23, v23
	v_min_u32_e32 v23, 32, v23
	v_subrev_nc_u32_e32 v32, 28, v23
	v_lshlrev_b64 v[34:35], v32, v[0:1]
	v_sub_nc_u32_e32 v32, 29, v23
	v_and_b32_e32 v23, 7, v34
; %bb.1410:                             ;   in Loop: Header=BB321_927 Depth=1
	s_or_b32 exec_lo, exec_lo, s18
	v_lshlrev_b32_e32 v0, 8, v0
	v_lshl_add_u32 v32, v32, 10, 0x2000
	v_lshlrev_b32_e32 v23, 7, v23
	v_and_b32_e32 v0, 0x8000, v0
	v_and_b32_e32 v32, 0xfc00, v32
	v_or3_b32 v23, v0, v32, v23
.LBB321_1411:                           ;   in Loop: Header=BB321_927 Depth=1
	s_or_b32 exec_lo, exec_lo, s15
.LBB321_1412:                           ;   in Loop: Header=BB321_927 Depth=1
	s_or_b32 exec_lo, exec_lo, s13
.LBB321_1413:                           ;   in Loop: Header=BB321_927 Depth=1
	s_or_b32 exec_lo, exec_lo, s12
	s_mov_b32 s12, exec_lo
	v_cmpx_lt_u32_e32 0xffffff, v11
	s_cbranch_execz .LBB321_1421
; %bb.1414:                             ;   in Loop: Header=BB321_927 Depth=1
	v_lshrrev_b32_e32 v0, 24, v11
	v_bfrev_b32_e32 v6, 1
	s_mov_b32 s13, exec_lo
	v_cmpx_ne_u32_e32 0x80, v0
	s_cbranch_execz .LBB321_1420
; %bb.1415:                             ;   in Loop: Header=BB321_927 Depth=1
	v_and_b32_e32 v34, 0x7f, v0
	v_mov_b32_e32 v6, 0x7c010000
	s_mov_b32 s15, exec_lo
	v_cmpx_ne_u32_e32 0x7f, v34
	s_cbranch_execz .LBB321_1419
; %bb.1416:                             ;   in Loop: Header=BB321_927 Depth=1
	v_and_b32_e32 v6, 7, v0
	v_lshrrev_b32_e32 v32, 3, v34
	s_mov_b32 s18, exec_lo
	v_cmpx_gt_u32_e32 8, v34
; %bb.1417:                             ;   in Loop: Header=BB321_927 Depth=1
	v_ffbh_u32_e32 v6, v6
	v_min_u32_e32 v6, 32, v6
	v_subrev_nc_u32_e32 v32, 28, v6
	v_lshlrev_b64 v[34:35], v32, v[0:1]
	v_sub_nc_u32_e32 v32, 29, v6
	v_and_b32_e32 v6, 7, v34
; %bb.1418:                             ;   in Loop: Header=BB321_927 Depth=1
	s_or_b32 exec_lo, exec_lo, s18
	v_lshlrev_b32_e32 v0, 8, v0
	v_lshl_add_u32 v32, v32, 10, 0x2000
	v_lshlrev_b32_e32 v6, 23, v6
	v_and_or_b32 v0, 0x8000, v0, v32
	v_lshl_or_b32 v6, v0, 16, v6
.LBB321_1419:                           ;   in Loop: Header=BB321_927 Depth=1
	s_or_b32 exec_lo, exec_lo, s15
.LBB321_1420:                           ;   in Loop: Header=BB321_927 Depth=1
	s_or_b32 exec_lo, exec_lo, s13
.LBB321_1421:                           ;   in Loop: Header=BB321_927 Depth=1
	s_or_b32 exec_lo, exec_lo, s12
	v_mov_b32_e32 v0, v12
	v_cmp_ne_u16_sdwa s4, v12, v1 src0_sel:BYTE_0 src1_sel:DWORD
	v_mov_b32_e32 v32, 0
	v_mov_b32_e32 v34, 0
	s_and_saveexec_b32 s12, s4
	s_cbranch_execz .LBB321_1429
; %bb.1422:                             ;   in Loop: Header=BB321_927 Depth=1
	v_cmp_ne_u16_sdwa s4, v12, v16 src0_sel:BYTE_0 src1_sel:DWORD
	v_mov_b32_e32 v34, 0x8000
	s_and_saveexec_b32 s13, s4
	s_cbranch_execz .LBB321_1428
; %bb.1423:                             ;   in Loop: Header=BB321_927 Depth=1
	v_and_b32_e32 v102, 0x7f, v12
	v_mov_b32_e32 v34, 0x7c01
	s_mov_b32 s15, exec_lo
	v_cmpx_ne_u32_e32 0x7f, v102
	s_cbranch_execz .LBB321_1427
; %bb.1424:                             ;   in Loop: Header=BB321_927 Depth=1
	v_and_b32_e32 v34, 7, v12
	v_lshrrev_b32_e32 v35, 3, v102
	s_mov_b32 s18, exec_lo
	v_cmpx_gt_u32_e32 8, v102
; %bb.1425:                             ;   in Loop: Header=BB321_927 Depth=1
	v_ffbh_u32_e32 v34, v34
	v_min_u32_e32 v102, 32, v34
	v_subrev_nc_u32_e32 v34, 28, v102
	v_lshlrev_b64 v[34:35], v34, v[0:1]
	v_sub_nc_u32_e32 v35, 29, v102
	v_and_b32_e32 v34, 7, v34
; %bb.1426:                             ;   in Loop: Header=BB321_927 Depth=1
	s_or_b32 exec_lo, exec_lo, s18
	v_lshlrev_b32_e32 v102, 8, v12
	v_lshl_add_u32 v35, v35, 10, 0x2000
	v_lshlrev_b32_e32 v34, 7, v34
	v_and_b32_e32 v102, 0x8000, v102
	v_and_b32_e32 v35, 0xfc00, v35
	v_or3_b32 v34, v102, v35, v34
.LBB321_1427:                           ;   in Loop: Header=BB321_927 Depth=1
	s_or_b32 exec_lo, exec_lo, s15
.LBB321_1428:                           ;   in Loop: Header=BB321_927 Depth=1
	s_or_b32 exec_lo, exec_lo, s13
.LBB321_1429:                           ;   in Loop: Header=BB321_927 Depth=1
	s_or_b32 exec_lo, exec_lo, s12
	v_lshrrev_b16 v0, 8, v0
	v_mov_b32_e32 v35, 0
	s_mov_b32 s12, exec_lo
	v_cmpx_ne_u16_e32 0, v0
	s_cbranch_execz .LBB321_1437
; %bb.1430:                             ;   in Loop: Header=BB321_927 Depth=1
	v_bfrev_b32_e32 v35, 1
	s_mov_b32 s13, exec_lo
	v_cmpx_ne_u16_e32 0x80, v0
	s_cbranch_execz .LBB321_1436
; %bb.1431:                             ;   in Loop: Header=BB321_927 Depth=1
	v_and_b32_sdwa v103, v0, v17 dst_sel:DWORD dst_unused:UNUSED_PAD src0_sel:WORD_0 src1_sel:DWORD
	v_mov_b32_e32 v35, 0x7c010000
	s_mov_b32 s15, exec_lo
	v_cmpx_ne_u32_e32 0x7f, v103
	s_cbranch_execz .LBB321_1435
; %bb.1432:                             ;   in Loop: Header=BB321_927 Depth=1
	v_and_b32_sdwa v35, v0, v37 dst_sel:DWORD dst_unused:UNUSED_PAD src0_sel:WORD_0 src1_sel:DWORD
	v_lshrrev_b32_e32 v102, 3, v103
	s_mov_b32 s18, exec_lo
	v_cmpx_gt_u32_e32 8, v103
; %bb.1433:                             ;   in Loop: Header=BB321_927 Depth=1
	v_ffbh_u32_e32 v35, v35
	v_min_u32_e32 v35, 32, v35
	v_subrev_nc_u32_e32 v102, 28, v35
	v_lshlrev_b64 v[112:113], v102, v[0:1]
	v_sub_nc_u32_e32 v102, 29, v35
	v_and_b32_e32 v35, 7, v112
; %bb.1434:                             ;   in Loop: Header=BB321_927 Depth=1
	s_or_b32 exec_lo, exec_lo, s18
	v_lshlrev_b32_sdwa v0, v52, v0 dst_sel:DWORD dst_unused:UNUSED_PAD src0_sel:DWORD src1_sel:WORD_0
	v_lshl_add_u32 v102, v102, 10, 0x2000
	v_lshlrev_b32_e32 v35, 23, v35
	v_and_or_b32 v0, 0x8000, v0, v102
	v_lshl_or_b32 v35, v0, 16, v35
.LBB321_1435:                           ;   in Loop: Header=BB321_927 Depth=1
	s_or_b32 exec_lo, exec_lo, s15
.LBB321_1436:                           ;   in Loop: Header=BB321_927 Depth=1
	s_or_b32 exec_lo, exec_lo, s13
.LBB321_1437:                           ;   in Loop: Header=BB321_927 Depth=1
	s_or_b32 exec_lo, exec_lo, s12
	v_lshrrev_b32_e32 v0, 16, v12
	v_cmp_ne_u16_sdwa s4, v0, v1 src0_sel:BYTE_0 src1_sel:DWORD
	s_and_saveexec_b32 s12, s4
	s_cbranch_execz .LBB321_1445
; %bb.1438:                             ;   in Loop: Header=BB321_927 Depth=1
	v_cmp_ne_u16_sdwa s4, v0, v16 src0_sel:BYTE_0 src1_sel:DWORD
	v_mov_b32_e32 v32, 0x8000
	s_and_saveexec_b32 s13, s4
	s_cbranch_execz .LBB321_1444
; %bb.1439:                             ;   in Loop: Header=BB321_927 Depth=1
	v_bfe_u32 v103, v12, 16, 7
	v_mov_b32_e32 v32, 0x7c01
	s_mov_b32 s15, exec_lo
	v_cmpx_ne_u32_e32 0x7f, v103
	s_cbranch_execz .LBB321_1443
; %bb.1440:                             ;   in Loop: Header=BB321_927 Depth=1
	v_and_b32_e32 v32, 7, v0
	v_lshrrev_b32_e32 v102, 3, v103
	s_mov_b32 s18, exec_lo
	v_cmpx_gt_u32_e32 8, v103
; %bb.1441:                             ;   in Loop: Header=BB321_927 Depth=1
	v_ffbh_u32_e32 v32, v32
	v_min_u32_e32 v32, 32, v32
	v_subrev_nc_u32_e32 v102, 28, v32
	v_lshlrev_b64 v[112:113], v102, v[0:1]
	v_sub_nc_u32_e32 v102, 29, v32
	v_and_b32_e32 v32, 7, v112
; %bb.1442:                             ;   in Loop: Header=BB321_927 Depth=1
	s_or_b32 exec_lo, exec_lo, s18
	v_lshlrev_b32_e32 v0, 8, v0
	v_lshl_add_u32 v102, v102, 10, 0x2000
	v_lshlrev_b32_e32 v32, 7, v32
	v_and_b32_e32 v0, 0x8000, v0
	v_and_b32_e32 v102, 0xfc00, v102
	v_or3_b32 v32, v0, v102, v32
.LBB321_1443:                           ;   in Loop: Header=BB321_927 Depth=1
	s_or_b32 exec_lo, exec_lo, s15
.LBB321_1444:                           ;   in Loop: Header=BB321_927 Depth=1
	s_or_b32 exec_lo, exec_lo, s13
.LBB321_1445:                           ;   in Loop: Header=BB321_927 Depth=1
	s_or_b32 exec_lo, exec_lo, s12
	v_cmp_lt_u64_e64 s4, s[8:9], v[11:12]
	v_mov_b32_e32 v11, 0
	s_and_saveexec_b32 s12, s4
	s_cbranch_execz .LBB321_1453
; %bb.1446:                             ;   in Loop: Header=BB321_927 Depth=1
	v_lshrrev_b32_e32 v0, 24, v12
	v_bfrev_b32_e32 v11, 1
	s_mov_b32 s13, exec_lo
	v_cmpx_ne_u32_e32 0x80, v0
	s_cbranch_execz .LBB321_1452
; %bb.1447:                             ;   in Loop: Header=BB321_927 Depth=1
	v_and_b32_e32 v102, 0x7f, v0
	v_mov_b32_e32 v11, 0x7c010000
	s_mov_b32 s15, exec_lo
	v_cmpx_ne_u32_e32 0x7f, v102
	s_cbranch_execz .LBB321_1451
; %bb.1448:                             ;   in Loop: Header=BB321_927 Depth=1
	v_and_b32_e32 v11, 7, v0
	v_lshrrev_b32_e32 v12, 3, v102
	s_mov_b32 s18, exec_lo
	v_cmpx_gt_u32_e32 8, v102
; %bb.1449:                             ;   in Loop: Header=BB321_927 Depth=1
	v_ffbh_u32_e32 v11, v11
	v_min_u32_e32 v102, 32, v11
	v_subrev_nc_u32_e32 v11, 28, v102
	v_lshlrev_b64 v[11:12], v11, v[0:1]
	v_sub_nc_u32_e32 v12, 29, v102
	v_and_b32_e32 v11, 7, v11
; %bb.1450:                             ;   in Loop: Header=BB321_927 Depth=1
	s_or_b32 exec_lo, exec_lo, s18
	v_lshlrev_b32_e32 v0, 8, v0
	v_lshl_add_u32 v12, v12, 10, 0x2000
	v_lshlrev_b32_e32 v11, 23, v11
	v_and_or_b32 v0, 0x8000, v0, v12
	v_lshl_or_b32 v11, v0, 16, v11
.LBB321_1451:                           ;   in Loop: Header=BB321_927 Depth=1
	s_or_b32 exec_lo, exec_lo, s15
.LBB321_1452:                           ;   in Loop: Header=BB321_927 Depth=1
	s_or_b32 exec_lo, exec_lo, s13
.LBB321_1453:                           ;   in Loop: Header=BB321_927 Depth=1
	s_or_b32 exec_lo, exec_lo, s12
	v_or_b32_e32 v0, v6, v23
	s_waitcnt vmcnt(0) lgkmcnt(0)
	v_fma_mixlo_f16 v6, v4, v6, 0 op_sel:[0,1,0] op_sel_hi:[0,1,0]
	v_or_b32_e32 v22, v5, v22
	v_or_b32_e32 v23, v35, v34
	;; [unrolled: 1-line block ×3, first 2 shown]
	v_fma_mixlo_f16 v5, v4, v5, 0 op_sel:[0,1,0] op_sel_hi:[0,1,0]
	v_fma_mixlo_f16 v34, v4, v0, 0 op_sel_hi:[0,1,0]
	v_lshlrev_b32_e32 v0, 16, v6
	v_fma_mixlo_f16 v6, v4, v22, 0 op_sel_hi:[0,1,0]
	v_fma_mixlo_f16 v22, v4, v35, 0 op_sel:[0,1,0] op_sel_hi:[0,1,0]
	v_fma_mixlo_f16 v23, v4, v23, 0 op_sel_hi:[0,1,0]
	v_fma_mixlo_f16 v11, v4, v11, 0 op_sel:[0,1,0] op_sel_hi:[0,1,0]
	v_fma_mixlo_f16 v32, v4, v32, 0 op_sel_hi:[0,1,0]
	v_lshlrev_b32_e32 v12, 16, v5
	v_and_b32_e32 v5, 0xffff, v34
	v_and_b32_e32 v102, 0xffff, v6
	v_lshlrev_b32_e32 v6, 16, v22
	v_and_b32_e32 v23, 0xffff, v23
	v_lshlrev_b32_e32 v4, 16, v11
	v_and_b32_e32 v11, 0xffff, v32
	v_or_b32_e32 v22, v0, v5
	v_or_b32_e32 v35, v12, v102
	;; [unrolled: 1-line block ×4, first 2 shown]
	s_and_saveexec_b32 s12, vcc_lo
	s_cbranch_execz .LBB321_1455
; %bb.1454:                             ;   in Loop: Header=BB321_927 Depth=1
	v_cmp_lt_i32_e64 s4, v53, v33
	v_cndmask_b32_e64 v22, 0, v102, s4
	v_cmp_lt_i32_e64 s4, v81, v33
	v_cndmask_b32_e64 v12, 0, v12, s4
	v_cmp_lt_i32_e64 s4, v80, v33
	v_or_b32_e32 v35, v22, v12
	v_cndmask_b32_e64 v5, 0, v5, s4
	v_cmp_lt_i32_e64 s4, v71, v33
	v_cndmask_b32_e64 v0, 0, v0, s4
	v_cmp_lt_i32_e64 s4, v70, v33
	v_or_b32_e32 v22, v5, v0
	;; [unrolled: 5-line block ×3, first 2 shown]
	v_cndmask_b32_e64 v11, 0, v11, s4
	v_cmp_lt_i32_e64 s4, v14, v33
	v_cndmask_b32_e64 v4, 0, v4, s4
	v_or_b32_e32 v32, v11, v4
.LBB321_1455:                           ;   in Loop: Header=BB321_927 Depth=1
	s_or_b32 exec_lo, exec_lo, s12
	v_add_co_u32 v9, s4, 0x800, v9
	v_add_co_ci_u32_e64 v10, null, 0, v10, s4
	;;#ASMSTART
	v_pk_mul_f16 v0, v66, v35;

	;;#ASMEND
	;;#ASMSTART
	v_pk_mul_f16 v4, v64, v22;

	;;#ASMEND
	;; [unrolled: 4-line block ×4, first 2 shown]
	;;#ASMSTART
	v_pk_add_f16 v0, v0, v4;

	;;#ASMEND
	;;#ASMSTART
	v_pk_add_f16 v0, v0, v5;

	;;#ASMEND
	;; [unrolled: 4-line block ×3, first 2 shown]
	v_lshrrev_b32_e32 v4, 16, v0
	v_and_b32_e32 v0, 0xffff, v0
	;;#ASMSTART
	v_cvt_f32_f16 v102, v0;
	;;#ASMEND
	;;#ASMSTART
	v_cvt_f32_f16 v103, v4;
	;;#ASMEND
	flat_load_dwordx2 v[11:12], v[9:10]
	flat_load_dword v4, v[26:27]
	v_mov_b32_e32 v5, 0
	v_mov_b32_e32 v22, 0
	s_waitcnt vmcnt(1) lgkmcnt(1)
	v_cmp_ne_u16_sdwa s4, v11, v1 src0_sel:BYTE_0 src1_sel:DWORD
	s_and_saveexec_b32 s12, s4
	s_cbranch_execz .LBB321_1463
; %bb.1456:                             ;   in Loop: Header=BB321_927 Depth=1
	v_cmp_ne_u16_sdwa s4, v11, v16 src0_sel:BYTE_0 src1_sel:DWORD
	v_mov_b32_e32 v22, 0x8000
	s_and_saveexec_b32 s13, s4
	s_cbranch_execz .LBB321_1462
; %bb.1457:                             ;   in Loop: Header=BB321_927 Depth=1
	v_and_b32_e32 v23, 0x7f, v11
	v_mov_b32_e32 v22, 0x7c01
	s_mov_b32 s15, exec_lo
	v_cmpx_ne_u32_e32 0x7f, v23
	s_cbranch_execz .LBB321_1461
; %bb.1458:                             ;   in Loop: Header=BB321_927 Depth=1
	v_and_b32_e32 v0, 7, v11
	v_lshrrev_b32_e32 v6, 3, v23
	s_mov_b32 s18, exec_lo
	v_cmpx_gt_u32_e32 8, v23
; %bb.1459:                             ;   in Loop: Header=BB321_927 Depth=1
	v_ffbh_u32_e32 v0, v0
	v_min_u32_e32 v0, 32, v0
	v_subrev_nc_u32_e32 v6, 28, v0
	v_lshlrev_b64 v[22:23], v6, v[11:12]
	v_sub_nc_u32_e32 v6, 29, v0
	v_and_b32_e32 v0, 7, v22
; %bb.1460:                             ;   in Loop: Header=BB321_927 Depth=1
	s_or_b32 exec_lo, exec_lo, s18
	v_lshlrev_b32_e32 v22, 8, v11
	v_lshl_add_u32 v6, v6, 10, 0x2000
	v_lshlrev_b32_e32 v0, 7, v0
	v_and_b32_e32 v22, 0x8000, v22
	v_and_b32_e32 v6, 0xfc00, v6
	v_or3_b32 v22, v22, v6, v0
.LBB321_1461:                           ;   in Loop: Header=BB321_927 Depth=1
	s_or_b32 exec_lo, exec_lo, s15
.LBB321_1462:                           ;   in Loop: Header=BB321_927 Depth=1
	s_or_b32 exec_lo, exec_lo, s13
.LBB321_1463:                           ;   in Loop: Header=BB321_927 Depth=1
	s_or_b32 exec_lo, exec_lo, s12
	v_lshrrev_b16 v0, 8, v11
	s_mov_b32 s12, exec_lo
	v_cmpx_ne_u16_e32 0, v0
	s_cbranch_execz .LBB321_1471
; %bb.1464:                             ;   in Loop: Header=BB321_927 Depth=1
	v_bfrev_b32_e32 v5, 1
	s_mov_b32 s13, exec_lo
	v_cmpx_ne_u16_e32 0x80, v0
	s_cbranch_execz .LBB321_1470
; %bb.1465:                             ;   in Loop: Header=BB321_927 Depth=1
	v_and_b32_sdwa v23, v0, v17 dst_sel:DWORD dst_unused:UNUSED_PAD src0_sel:WORD_0 src1_sel:DWORD
	v_mov_b32_e32 v5, 0x7c010000
	s_mov_b32 s15, exec_lo
	v_cmpx_ne_u32_e32 0x7f, v23
	s_cbranch_execz .LBB321_1469
; %bb.1466:                             ;   in Loop: Header=BB321_927 Depth=1
	v_and_b32_sdwa v5, v0, v37 dst_sel:DWORD dst_unused:UNUSED_PAD src0_sel:WORD_0 src1_sel:DWORD
	v_lshrrev_b32_e32 v6, 3, v23
	s_mov_b32 s18, exec_lo
	v_cmpx_gt_u32_e32 8, v23
; %bb.1467:                             ;   in Loop: Header=BB321_927 Depth=1
	v_ffbh_u32_e32 v5, v5
	v_min_u32_e32 v23, 32, v5
	v_subrev_nc_u32_e32 v5, 28, v23
	v_lshlrev_b64 v[5:6], v5, v[0:1]
	v_sub_nc_u32_e32 v6, 29, v23
	v_and_b32_e32 v5, 7, v5
; %bb.1468:                             ;   in Loop: Header=BB321_927 Depth=1
	s_or_b32 exec_lo, exec_lo, s18
	v_lshlrev_b32_sdwa v0, v52, v0 dst_sel:DWORD dst_unused:UNUSED_PAD src0_sel:DWORD src1_sel:WORD_0
	v_lshl_add_u32 v6, v6, 10, 0x2000
	v_lshlrev_b32_e32 v5, 23, v5
	v_and_or_b32 v0, 0x8000, v0, v6
	v_lshl_or_b32 v5, v0, 16, v5
.LBB321_1469:                           ;   in Loop: Header=BB321_927 Depth=1
	s_or_b32 exec_lo, exec_lo, s15
.LBB321_1470:                           ;   in Loop: Header=BB321_927 Depth=1
	s_or_b32 exec_lo, exec_lo, s13
.LBB321_1471:                           ;   in Loop: Header=BB321_927 Depth=1
	s_or_b32 exec_lo, exec_lo, s12
	v_lshrrev_b32_e32 v0, 16, v11
	v_mov_b32_e32 v6, 0
	v_mov_b32_e32 v23, 0
	v_cmp_ne_u16_sdwa s4, v0, v1 src0_sel:BYTE_0 src1_sel:DWORD
	s_and_saveexec_b32 s12, s4
	s_cbranch_execz .LBB321_1479
; %bb.1472:                             ;   in Loop: Header=BB321_927 Depth=1
	v_cmp_ne_u16_sdwa s4, v0, v16 src0_sel:BYTE_0 src1_sel:DWORD
	v_mov_b32_e32 v23, 0x8000
	s_and_saveexec_b32 s13, s4
	s_cbranch_execz .LBB321_1478
; %bb.1473:                             ;   in Loop: Header=BB321_927 Depth=1
	v_bfe_u32 v34, v11, 16, 7
	v_mov_b32_e32 v23, 0x7c01
	s_mov_b32 s15, exec_lo
	v_cmpx_ne_u32_e32 0x7f, v34
	s_cbranch_execz .LBB321_1477
; %bb.1474:                             ;   in Loop: Header=BB321_927 Depth=1
	v_and_b32_e32 v23, 7, v0
	v_lshrrev_b32_e32 v32, 3, v34
	s_mov_b32 s18, exec_lo
	v_cmpx_gt_u32_e32 8, v34
; %bb.1475:                             ;   in Loop: Header=BB321_927 Depth=1
	v_ffbh_u32_e32 v23, v23
	v_min_u32_e32 v23, 32, v23
	v_subrev_nc_u32_e32 v32, 28, v23
	v_lshlrev_b64 v[34:35], v32, v[0:1]
	v_sub_nc_u32_e32 v32, 29, v23
	v_and_b32_e32 v23, 7, v34
; %bb.1476:                             ;   in Loop: Header=BB321_927 Depth=1
	s_or_b32 exec_lo, exec_lo, s18
	v_lshlrev_b32_e32 v0, 8, v0
	v_lshl_add_u32 v32, v32, 10, 0x2000
	v_lshlrev_b32_e32 v23, 7, v23
	v_and_b32_e32 v0, 0x8000, v0
	v_and_b32_e32 v32, 0xfc00, v32
	v_or3_b32 v23, v0, v32, v23
.LBB321_1477:                           ;   in Loop: Header=BB321_927 Depth=1
	s_or_b32 exec_lo, exec_lo, s15
.LBB321_1478:                           ;   in Loop: Header=BB321_927 Depth=1
	s_or_b32 exec_lo, exec_lo, s13
.LBB321_1479:                           ;   in Loop: Header=BB321_927 Depth=1
	s_or_b32 exec_lo, exec_lo, s12
	s_mov_b32 s12, exec_lo
	v_cmpx_lt_u32_e32 0xffffff, v11
	s_cbranch_execz .LBB321_1487
; %bb.1480:                             ;   in Loop: Header=BB321_927 Depth=1
	v_lshrrev_b32_e32 v0, 24, v11
	v_bfrev_b32_e32 v6, 1
	s_mov_b32 s13, exec_lo
	v_cmpx_ne_u32_e32 0x80, v0
	s_cbranch_execz .LBB321_1486
; %bb.1481:                             ;   in Loop: Header=BB321_927 Depth=1
	v_and_b32_e32 v34, 0x7f, v0
	v_mov_b32_e32 v6, 0x7c010000
	s_mov_b32 s15, exec_lo
	v_cmpx_ne_u32_e32 0x7f, v34
	s_cbranch_execz .LBB321_1485
; %bb.1482:                             ;   in Loop: Header=BB321_927 Depth=1
	v_and_b32_e32 v6, 7, v0
	v_lshrrev_b32_e32 v32, 3, v34
	s_mov_b32 s18, exec_lo
	v_cmpx_gt_u32_e32 8, v34
; %bb.1483:                             ;   in Loop: Header=BB321_927 Depth=1
	v_ffbh_u32_e32 v6, v6
	v_min_u32_e32 v6, 32, v6
	v_subrev_nc_u32_e32 v32, 28, v6
	v_lshlrev_b64 v[34:35], v32, v[0:1]
	v_sub_nc_u32_e32 v32, 29, v6
	v_and_b32_e32 v6, 7, v34
; %bb.1484:                             ;   in Loop: Header=BB321_927 Depth=1
	s_or_b32 exec_lo, exec_lo, s18
	v_lshlrev_b32_e32 v0, 8, v0
	v_lshl_add_u32 v32, v32, 10, 0x2000
	v_lshlrev_b32_e32 v6, 23, v6
	v_and_or_b32 v0, 0x8000, v0, v32
	v_lshl_or_b32 v6, v0, 16, v6
.LBB321_1485:                           ;   in Loop: Header=BB321_927 Depth=1
	s_or_b32 exec_lo, exec_lo, s15
.LBB321_1486:                           ;   in Loop: Header=BB321_927 Depth=1
	s_or_b32 exec_lo, exec_lo, s13
.LBB321_1487:                           ;   in Loop: Header=BB321_927 Depth=1
	s_or_b32 exec_lo, exec_lo, s12
	v_mov_b32_e32 v0, v12
	v_cmp_ne_u16_sdwa s4, v12, v1 src0_sel:BYTE_0 src1_sel:DWORD
	v_mov_b32_e32 v32, 0
	v_mov_b32_e32 v34, 0
	s_and_saveexec_b32 s12, s4
	s_cbranch_execz .LBB321_1495
; %bb.1488:                             ;   in Loop: Header=BB321_927 Depth=1
	v_cmp_ne_u16_sdwa s4, v12, v16 src0_sel:BYTE_0 src1_sel:DWORD
	v_mov_b32_e32 v34, 0x8000
	s_and_saveexec_b32 s13, s4
	s_cbranch_execz .LBB321_1494
; %bb.1489:                             ;   in Loop: Header=BB321_927 Depth=1
	v_and_b32_e32 v112, 0x7f, v12
	v_mov_b32_e32 v34, 0x7c01
	s_mov_b32 s15, exec_lo
	v_cmpx_ne_u32_e32 0x7f, v112
	s_cbranch_execz .LBB321_1493
; %bb.1490:                             ;   in Loop: Header=BB321_927 Depth=1
	v_and_b32_e32 v34, 7, v12
	v_lshrrev_b32_e32 v35, 3, v112
	s_mov_b32 s18, exec_lo
	v_cmpx_gt_u32_e32 8, v112
; %bb.1491:                             ;   in Loop: Header=BB321_927 Depth=1
	v_ffbh_u32_e32 v34, v34
	v_min_u32_e32 v112, 32, v34
	v_subrev_nc_u32_e32 v34, 28, v112
	v_lshlrev_b64 v[34:35], v34, v[0:1]
	v_sub_nc_u32_e32 v35, 29, v112
	v_and_b32_e32 v34, 7, v34
; %bb.1492:                             ;   in Loop: Header=BB321_927 Depth=1
	s_or_b32 exec_lo, exec_lo, s18
	v_lshlrev_b32_e32 v112, 8, v12
	v_lshl_add_u32 v35, v35, 10, 0x2000
	v_lshlrev_b32_e32 v34, 7, v34
	v_and_b32_e32 v112, 0x8000, v112
	v_and_b32_e32 v35, 0xfc00, v35
	v_or3_b32 v34, v112, v35, v34
.LBB321_1493:                           ;   in Loop: Header=BB321_927 Depth=1
	s_or_b32 exec_lo, exec_lo, s15
.LBB321_1494:                           ;   in Loop: Header=BB321_927 Depth=1
	s_or_b32 exec_lo, exec_lo, s13
.LBB321_1495:                           ;   in Loop: Header=BB321_927 Depth=1
	s_or_b32 exec_lo, exec_lo, s12
	v_lshrrev_b16 v0, 8, v0
	v_mov_b32_e32 v35, 0
	s_mov_b32 s12, exec_lo
	v_cmpx_ne_u16_e32 0, v0
	s_cbranch_execz .LBB321_1503
; %bb.1496:                             ;   in Loop: Header=BB321_927 Depth=1
	v_bfrev_b32_e32 v35, 1
	s_mov_b32 s13, exec_lo
	v_cmpx_ne_u16_e32 0x80, v0
	s_cbranch_execz .LBB321_1502
; %bb.1497:                             ;   in Loop: Header=BB321_927 Depth=1
	v_and_b32_sdwa v113, v0, v17 dst_sel:DWORD dst_unused:UNUSED_PAD src0_sel:WORD_0 src1_sel:DWORD
	v_mov_b32_e32 v35, 0x7c010000
	s_mov_b32 s15, exec_lo
	v_cmpx_ne_u32_e32 0x7f, v113
	s_cbranch_execz .LBB321_1501
; %bb.1498:                             ;   in Loop: Header=BB321_927 Depth=1
	v_and_b32_sdwa v35, v0, v37 dst_sel:DWORD dst_unused:UNUSED_PAD src0_sel:WORD_0 src1_sel:DWORD
	v_lshrrev_b32_e32 v112, 3, v113
	s_mov_b32 s18, exec_lo
	v_cmpx_gt_u32_e32 8, v113
; %bb.1499:                             ;   in Loop: Header=BB321_927 Depth=1
	v_ffbh_u32_e32 v35, v35
	v_min_u32_e32 v35, 32, v35
	v_subrev_nc_u32_e32 v112, 28, v35
	v_lshlrev_b64 v[113:114], v112, v[0:1]
	v_sub_nc_u32_e32 v112, 29, v35
	v_and_b32_e32 v35, 7, v113
; %bb.1500:                             ;   in Loop: Header=BB321_927 Depth=1
	s_or_b32 exec_lo, exec_lo, s18
	v_lshlrev_b32_sdwa v0, v52, v0 dst_sel:DWORD dst_unused:UNUSED_PAD src0_sel:DWORD src1_sel:WORD_0
	v_lshl_add_u32 v112, v112, 10, 0x2000
	v_lshlrev_b32_e32 v35, 23, v35
	v_and_or_b32 v0, 0x8000, v0, v112
	v_lshl_or_b32 v35, v0, 16, v35
.LBB321_1501:                           ;   in Loop: Header=BB321_927 Depth=1
	s_or_b32 exec_lo, exec_lo, s15
.LBB321_1502:                           ;   in Loop: Header=BB321_927 Depth=1
	s_or_b32 exec_lo, exec_lo, s13
.LBB321_1503:                           ;   in Loop: Header=BB321_927 Depth=1
	s_or_b32 exec_lo, exec_lo, s12
	v_lshrrev_b32_e32 v0, 16, v12
	v_cmp_ne_u16_sdwa s4, v0, v1 src0_sel:BYTE_0 src1_sel:DWORD
	s_and_saveexec_b32 s12, s4
	s_cbranch_execz .LBB321_1511
; %bb.1504:                             ;   in Loop: Header=BB321_927 Depth=1
	v_cmp_ne_u16_sdwa s4, v0, v16 src0_sel:BYTE_0 src1_sel:DWORD
	v_mov_b32_e32 v32, 0x8000
	s_and_saveexec_b32 s13, s4
	s_cbranch_execz .LBB321_1510
; %bb.1505:                             ;   in Loop: Header=BB321_927 Depth=1
	v_bfe_u32 v113, v12, 16, 7
	v_mov_b32_e32 v32, 0x7c01
	s_mov_b32 s15, exec_lo
	v_cmpx_ne_u32_e32 0x7f, v113
	s_cbranch_execz .LBB321_1509
; %bb.1506:                             ;   in Loop: Header=BB321_927 Depth=1
	v_and_b32_e32 v32, 7, v0
	v_lshrrev_b32_e32 v112, 3, v113
	s_mov_b32 s18, exec_lo
	v_cmpx_gt_u32_e32 8, v113
; %bb.1507:                             ;   in Loop: Header=BB321_927 Depth=1
	v_ffbh_u32_e32 v32, v32
	v_min_u32_e32 v32, 32, v32
	v_subrev_nc_u32_e32 v112, 28, v32
	v_lshlrev_b64 v[113:114], v112, v[0:1]
	v_sub_nc_u32_e32 v112, 29, v32
	v_and_b32_e32 v32, 7, v113
; %bb.1508:                             ;   in Loop: Header=BB321_927 Depth=1
	s_or_b32 exec_lo, exec_lo, s18
	v_lshlrev_b32_e32 v0, 8, v0
	v_lshl_add_u32 v112, v112, 10, 0x2000
	v_lshlrev_b32_e32 v32, 7, v32
	v_and_b32_e32 v0, 0x8000, v0
	v_and_b32_e32 v112, 0xfc00, v112
	v_or3_b32 v32, v0, v112, v32
.LBB321_1509:                           ;   in Loop: Header=BB321_927 Depth=1
	s_or_b32 exec_lo, exec_lo, s15
.LBB321_1510:                           ;   in Loop: Header=BB321_927 Depth=1
	s_or_b32 exec_lo, exec_lo, s13
.LBB321_1511:                           ;   in Loop: Header=BB321_927 Depth=1
	s_or_b32 exec_lo, exec_lo, s12
	v_cmp_lt_u64_e64 s4, s[8:9], v[11:12]
	v_mov_b32_e32 v11, 0
	s_and_saveexec_b32 s12, s4
	s_cbranch_execz .LBB321_1519
; %bb.1512:                             ;   in Loop: Header=BB321_927 Depth=1
	v_lshrrev_b32_e32 v0, 24, v12
	v_bfrev_b32_e32 v11, 1
	s_mov_b32 s13, exec_lo
	v_cmpx_ne_u32_e32 0x80, v0
	s_cbranch_execz .LBB321_1518
; %bb.1513:                             ;   in Loop: Header=BB321_927 Depth=1
	v_and_b32_e32 v112, 0x7f, v0
	v_mov_b32_e32 v11, 0x7c010000
	s_mov_b32 s15, exec_lo
	v_cmpx_ne_u32_e32 0x7f, v112
	s_cbranch_execz .LBB321_1517
; %bb.1514:                             ;   in Loop: Header=BB321_927 Depth=1
	v_and_b32_e32 v11, 7, v0
	v_lshrrev_b32_e32 v12, 3, v112
	s_mov_b32 s18, exec_lo
	v_cmpx_gt_u32_e32 8, v112
; %bb.1515:                             ;   in Loop: Header=BB321_927 Depth=1
	v_ffbh_u32_e32 v11, v11
	v_min_u32_e32 v112, 32, v11
	v_subrev_nc_u32_e32 v11, 28, v112
	v_lshlrev_b64 v[11:12], v11, v[0:1]
	v_sub_nc_u32_e32 v12, 29, v112
	v_and_b32_e32 v11, 7, v11
; %bb.1516:                             ;   in Loop: Header=BB321_927 Depth=1
	s_or_b32 exec_lo, exec_lo, s18
	v_lshlrev_b32_e32 v0, 8, v0
	v_lshl_add_u32 v12, v12, 10, 0x2000
	v_lshlrev_b32_e32 v11, 23, v11
	v_and_or_b32 v0, 0x8000, v0, v12
	v_lshl_or_b32 v11, v0, 16, v11
.LBB321_1517:                           ;   in Loop: Header=BB321_927 Depth=1
	s_or_b32 exec_lo, exec_lo, s15
.LBB321_1518:                           ;   in Loop: Header=BB321_927 Depth=1
	s_or_b32 exec_lo, exec_lo, s13
.LBB321_1519:                           ;   in Loop: Header=BB321_927 Depth=1
	s_or_b32 exec_lo, exec_lo, s12
	v_or_b32_e32 v0, v6, v23
	s_waitcnt vmcnt(0) lgkmcnt(0)
	v_fma_mixlo_f16 v6, v4, v6, 0 op_sel:[0,1,0] op_sel_hi:[0,1,0]
	v_or_b32_e32 v22, v5, v22
	v_or_b32_e32 v23, v35, v34
	;; [unrolled: 1-line block ×3, first 2 shown]
	v_fma_mixlo_f16 v5, v4, v5, 0 op_sel:[0,1,0] op_sel_hi:[0,1,0]
	v_fma_mixlo_f16 v34, v4, v0, 0 op_sel_hi:[0,1,0]
	v_lshlrev_b32_e32 v0, 16, v6
	v_fma_mixlo_f16 v6, v4, v22, 0 op_sel_hi:[0,1,0]
	v_fma_mixlo_f16 v22, v4, v35, 0 op_sel:[0,1,0] op_sel_hi:[0,1,0]
	v_fma_mixlo_f16 v23, v4, v23, 0 op_sel_hi:[0,1,0]
	v_fma_mixlo_f16 v11, v4, v11, 0 op_sel:[0,1,0] op_sel_hi:[0,1,0]
	v_fma_mixlo_f16 v32, v4, v32, 0 op_sel_hi:[0,1,0]
	v_lshlrev_b32_e32 v12, 16, v5
	v_and_b32_e32 v5, 0xffff, v34
	v_and_b32_e32 v112, 0xffff, v6
	v_lshlrev_b32_e32 v6, 16, v22
	v_and_b32_e32 v23, 0xffff, v23
	v_lshlrev_b32_e32 v4, 16, v11
	v_and_b32_e32 v11, 0xffff, v32
	v_or_b32_e32 v22, v0, v5
	v_or_b32_e32 v35, v12, v112
	;; [unrolled: 1-line block ×4, first 2 shown]
	s_and_saveexec_b32 s12, vcc_lo
	s_cbranch_execz .LBB321_1521
; %bb.1520:                             ;   in Loop: Header=BB321_927 Depth=1
	v_cmp_lt_i32_e64 s4, v53, v33
	v_cndmask_b32_e64 v22, 0, v112, s4
	v_cmp_lt_i32_e64 s4, v81, v33
	v_cndmask_b32_e64 v12, 0, v12, s4
	v_cmp_lt_i32_e64 s4, v80, v33
	v_or_b32_e32 v35, v22, v12
	v_cndmask_b32_e64 v5, 0, v5, s4
	v_cmp_lt_i32_e64 s4, v71, v33
	v_cndmask_b32_e64 v0, 0, v0, s4
	v_cmp_lt_i32_e64 s4, v70, v33
	v_or_b32_e32 v22, v5, v0
	;; [unrolled: 5-line block ×3, first 2 shown]
	v_cndmask_b32_e64 v11, 0, v11, s4
	v_cmp_lt_i32_e64 s4, v14, v33
	v_cndmask_b32_e64 v4, 0, v4, s4
	v_or_b32_e32 v32, v11, v4
.LBB321_1521:                           ;   in Loop: Header=BB321_927 Depth=1
	s_or_b32 exec_lo, exec_lo, s12
	;;#ASMSTART
	v_pk_mul_f16 v0, v66, v35;

	;;#ASMEND
	;;#ASMSTART
	v_pk_mul_f16 v4, v64, v22;

	;;#ASMEND
	;; [unrolled: 4-line block ×4, first 2 shown]
	;;#ASMSTART
	v_pk_add_f16 v0, v0, v4;

	;;#ASMEND
	;;#ASMSTART
	v_pk_add_f16 v0, v0, v5;

	;;#ASMEND
	;; [unrolled: 4-line block ×3, first 2 shown]
	v_and_b32_e32 v4, 0xffff, v0
	v_lshrrev_b32_e32 v0, 16, v0
	;;#ASMSTART
	v_cvt_f32_f16 v4, v4;
	;;#ASMEND
	;;#ASMSTART
	v_cvt_f32_f16 v5, v0;
	;;#ASMEND
	flat_load_dwordx2 v[11:12], v[9:10] offset:256
	flat_load_dword v22, v[26:27]
	v_mov_b32_e32 v23, 0
	v_mov_b32_e32 v32, 0
	s_waitcnt vmcnt(1) lgkmcnt(1)
	v_cmp_ne_u16_sdwa s4, v11, v1 src0_sel:BYTE_0 src1_sel:DWORD
	s_and_saveexec_b32 s12, s4
	s_cbranch_execz .LBB321_1529
; %bb.1522:                             ;   in Loop: Header=BB321_927 Depth=1
	v_cmp_ne_u16_sdwa s4, v11, v16 src0_sel:BYTE_0 src1_sel:DWORD
	v_mov_b32_e32 v32, 0x8000
	s_and_saveexec_b32 s13, s4
	s_cbranch_execz .LBB321_1528
; %bb.1523:                             ;   in Loop: Header=BB321_927 Depth=1
	v_and_b32_e32 v34, 0x7f, v11
	v_mov_b32_e32 v32, 0x7c01
	s_mov_b32 s15, exec_lo
	v_cmpx_ne_u32_e32 0x7f, v34
	s_cbranch_execz .LBB321_1527
; %bb.1524:                             ;   in Loop: Header=BB321_927 Depth=1
	v_and_b32_e32 v0, 7, v11
	v_lshrrev_b32_e32 v6, 3, v34
	s_mov_b32 s18, exec_lo
	v_cmpx_gt_u32_e32 8, v34
; %bb.1525:                             ;   in Loop: Header=BB321_927 Depth=1
	v_ffbh_u32_e32 v0, v0
	v_min_u32_e32 v0, 32, v0
	v_subrev_nc_u32_e32 v6, 28, v0
	v_lshlrev_b64 v[34:35], v6, v[11:12]
	v_sub_nc_u32_e32 v6, 29, v0
	v_and_b32_e32 v0, 7, v34
; %bb.1526:                             ;   in Loop: Header=BB321_927 Depth=1
	s_or_b32 exec_lo, exec_lo, s18
	v_lshlrev_b32_e32 v32, 8, v11
	v_lshl_add_u32 v6, v6, 10, 0x2000
	v_lshlrev_b32_e32 v0, 7, v0
	v_and_b32_e32 v32, 0x8000, v32
	v_and_b32_e32 v6, 0xfc00, v6
	v_or3_b32 v32, v32, v6, v0
.LBB321_1527:                           ;   in Loop: Header=BB321_927 Depth=1
	s_or_b32 exec_lo, exec_lo, s15
.LBB321_1528:                           ;   in Loop: Header=BB321_927 Depth=1
	s_or_b32 exec_lo, exec_lo, s13
.LBB321_1529:                           ;   in Loop: Header=BB321_927 Depth=1
	s_or_b32 exec_lo, exec_lo, s12
	v_lshrrev_b16 v0, 8, v11
	s_mov_b32 s12, exec_lo
	v_cmpx_ne_u16_e32 0, v0
	s_cbranch_execz .LBB321_1537
; %bb.1530:                             ;   in Loop: Header=BB321_927 Depth=1
	v_bfrev_b32_e32 v23, 1
	s_mov_b32 s13, exec_lo
	v_cmpx_ne_u16_e32 0x80, v0
	s_cbranch_execz .LBB321_1536
; %bb.1531:                             ;   in Loop: Header=BB321_927 Depth=1
	v_and_b32_sdwa v34, v0, v17 dst_sel:DWORD dst_unused:UNUSED_PAD src0_sel:WORD_0 src1_sel:DWORD
	v_mov_b32_e32 v23, 0x7c010000
	s_mov_b32 s15, exec_lo
	v_cmpx_ne_u32_e32 0x7f, v34
	s_cbranch_execz .LBB321_1535
; %bb.1532:                             ;   in Loop: Header=BB321_927 Depth=1
	v_and_b32_sdwa v6, v0, v37 dst_sel:DWORD dst_unused:UNUSED_PAD src0_sel:WORD_0 src1_sel:DWORD
	v_lshrrev_b32_e32 v23, 3, v34
	s_mov_b32 s18, exec_lo
	v_cmpx_gt_u32_e32 8, v34
; %bb.1533:                             ;   in Loop: Header=BB321_927 Depth=1
	v_ffbh_u32_e32 v6, v6
	v_min_u32_e32 v6, 32, v6
	v_subrev_nc_u32_e32 v23, 28, v6
	v_lshlrev_b64 v[34:35], v23, v[0:1]
	v_sub_nc_u32_e32 v23, 29, v6
	v_and_b32_e32 v6, 7, v34
; %bb.1534:                             ;   in Loop: Header=BB321_927 Depth=1
	s_or_b32 exec_lo, exec_lo, s18
	v_lshlrev_b32_sdwa v0, v52, v0 dst_sel:DWORD dst_unused:UNUSED_PAD src0_sel:DWORD src1_sel:WORD_0
	v_lshl_add_u32 v23, v23, 10, 0x2000
	v_lshlrev_b32_e32 v6, 23, v6
	v_and_or_b32 v0, 0x8000, v0, v23
	v_lshl_or_b32 v23, v0, 16, v6
.LBB321_1535:                           ;   in Loop: Header=BB321_927 Depth=1
	s_or_b32 exec_lo, exec_lo, s15
.LBB321_1536:                           ;   in Loop: Header=BB321_927 Depth=1
	s_or_b32 exec_lo, exec_lo, s13
.LBB321_1537:                           ;   in Loop: Header=BB321_927 Depth=1
	s_or_b32 exec_lo, exec_lo, s12
	v_lshrrev_b32_e32 v0, 16, v11
	v_mov_b32_e32 v6, 0
	v_mov_b32_e32 v34, 0
	v_cmp_ne_u16_sdwa s4, v0, v1 src0_sel:BYTE_0 src1_sel:DWORD
	s_and_saveexec_b32 s12, s4
	s_cbranch_execz .LBB321_1545
; %bb.1538:                             ;   in Loop: Header=BB321_927 Depth=1
	v_cmp_ne_u16_sdwa s4, v0, v16 src0_sel:BYTE_0 src1_sel:DWORD
	v_mov_b32_e32 v34, 0x8000
	s_and_saveexec_b32 s13, s4
	s_cbranch_execz .LBB321_1544
; %bb.1539:                             ;   in Loop: Header=BB321_927 Depth=1
	v_bfe_u32 v112, v11, 16, 7
	v_mov_b32_e32 v34, 0x7c01
	s_mov_b32 s15, exec_lo
	v_cmpx_ne_u32_e32 0x7f, v112
	s_cbranch_execz .LBB321_1543
; %bb.1540:                             ;   in Loop: Header=BB321_927 Depth=1
	v_and_b32_e32 v34, 7, v0
	v_lshrrev_b32_e32 v35, 3, v112
	s_mov_b32 s18, exec_lo
	v_cmpx_gt_u32_e32 8, v112
; %bb.1541:                             ;   in Loop: Header=BB321_927 Depth=1
	v_ffbh_u32_e32 v34, v34
	v_min_u32_e32 v112, 32, v34
	v_subrev_nc_u32_e32 v34, 28, v112
	v_lshlrev_b64 v[34:35], v34, v[0:1]
	v_sub_nc_u32_e32 v35, 29, v112
	v_and_b32_e32 v34, 7, v34
; %bb.1542:                             ;   in Loop: Header=BB321_927 Depth=1
	s_or_b32 exec_lo, exec_lo, s18
	v_lshlrev_b32_e32 v0, 8, v0
	v_lshl_add_u32 v35, v35, 10, 0x2000
	v_lshlrev_b32_e32 v34, 7, v34
	v_and_b32_e32 v0, 0x8000, v0
	v_and_b32_e32 v35, 0xfc00, v35
	v_or3_b32 v34, v0, v35, v34
.LBB321_1543:                           ;   in Loop: Header=BB321_927 Depth=1
	s_or_b32 exec_lo, exec_lo, s15
.LBB321_1544:                           ;   in Loop: Header=BB321_927 Depth=1
	s_or_b32 exec_lo, exec_lo, s13
.LBB321_1545:                           ;   in Loop: Header=BB321_927 Depth=1
	s_or_b32 exec_lo, exec_lo, s12
	s_mov_b32 s12, exec_lo
	v_cmpx_lt_u32_e32 0xffffff, v11
	s_cbranch_execz .LBB321_1553
; %bb.1546:                             ;   in Loop: Header=BB321_927 Depth=1
	v_lshrrev_b32_e32 v0, 24, v11
	v_bfrev_b32_e32 v6, 1
	s_mov_b32 s13, exec_lo
	v_cmpx_ne_u32_e32 0x80, v0
	s_cbranch_execz .LBB321_1552
; %bb.1547:                             ;   in Loop: Header=BB321_927 Depth=1
	v_and_b32_e32 v112, 0x7f, v0
	v_mov_b32_e32 v6, 0x7c010000
	s_mov_b32 s15, exec_lo
	v_cmpx_ne_u32_e32 0x7f, v112
	s_cbranch_execz .LBB321_1551
; %bb.1548:                             ;   in Loop: Header=BB321_927 Depth=1
	v_and_b32_e32 v6, 7, v0
	v_lshrrev_b32_e32 v35, 3, v112
	s_mov_b32 s18, exec_lo
	v_cmpx_gt_u32_e32 8, v112
; %bb.1549:                             ;   in Loop: Header=BB321_927 Depth=1
	v_ffbh_u32_e32 v6, v6
	v_min_u32_e32 v6, 32, v6
	v_subrev_nc_u32_e32 v35, 28, v6
	v_lshlrev_b64 v[112:113], v35, v[0:1]
	v_sub_nc_u32_e32 v35, 29, v6
	v_and_b32_e32 v6, 7, v112
; %bb.1550:                             ;   in Loop: Header=BB321_927 Depth=1
	s_or_b32 exec_lo, exec_lo, s18
	v_lshlrev_b32_e32 v0, 8, v0
	v_lshl_add_u32 v35, v35, 10, 0x2000
	v_lshlrev_b32_e32 v6, 23, v6
	v_and_or_b32 v0, 0x8000, v0, v35
	v_lshl_or_b32 v6, v0, 16, v6
.LBB321_1551:                           ;   in Loop: Header=BB321_927 Depth=1
	s_or_b32 exec_lo, exec_lo, s15
.LBB321_1552:                           ;   in Loop: Header=BB321_927 Depth=1
	s_or_b32 exec_lo, exec_lo, s13
.LBB321_1553:                           ;   in Loop: Header=BB321_927 Depth=1
	s_or_b32 exec_lo, exec_lo, s12
	v_mov_b32_e32 v0, v12
	v_cmp_ne_u16_sdwa s4, v12, v1 src0_sel:BYTE_0 src1_sel:DWORD
	v_mov_b32_e32 v35, 0
	v_mov_b32_e32 v112, 0
	s_and_saveexec_b32 s12, s4
	s_cbranch_execz .LBB321_1561
; %bb.1554:                             ;   in Loop: Header=BB321_927 Depth=1
	v_cmp_ne_u16_sdwa s4, v12, v16 src0_sel:BYTE_0 src1_sel:DWORD
	v_mov_b32_e32 v112, 0x8000
	s_and_saveexec_b32 s13, s4
	s_cbranch_execz .LBB321_1560
; %bb.1555:                             ;   in Loop: Header=BB321_927 Depth=1
	v_and_b32_e32 v114, 0x7f, v12
	v_mov_b32_e32 v112, 0x7c01
	s_mov_b32 s15, exec_lo
	v_cmpx_ne_u32_e32 0x7f, v114
	s_cbranch_execz .LBB321_1559
; %bb.1556:                             ;   in Loop: Header=BB321_927 Depth=1
	v_and_b32_e32 v112, 7, v12
	v_lshrrev_b32_e32 v113, 3, v114
	s_mov_b32 s18, exec_lo
	v_cmpx_gt_u32_e32 8, v114
; %bb.1557:                             ;   in Loop: Header=BB321_927 Depth=1
	v_ffbh_u32_e32 v112, v112
	v_min_u32_e32 v114, 32, v112
	v_subrev_nc_u32_e32 v112, 28, v114
	v_lshlrev_b64 v[112:113], v112, v[0:1]
	v_sub_nc_u32_e32 v113, 29, v114
	v_and_b32_e32 v112, 7, v112
; %bb.1558:                             ;   in Loop: Header=BB321_927 Depth=1
	s_or_b32 exec_lo, exec_lo, s18
	v_lshlrev_b32_e32 v114, 8, v12
	v_lshl_add_u32 v113, v113, 10, 0x2000
	v_lshlrev_b32_e32 v112, 7, v112
	v_and_b32_e32 v114, 0x8000, v114
	v_and_b32_e32 v113, 0xfc00, v113
	v_or3_b32 v112, v114, v113, v112
.LBB321_1559:                           ;   in Loop: Header=BB321_927 Depth=1
	s_or_b32 exec_lo, exec_lo, s15
.LBB321_1560:                           ;   in Loop: Header=BB321_927 Depth=1
	s_or_b32 exec_lo, exec_lo, s13
.LBB321_1561:                           ;   in Loop: Header=BB321_927 Depth=1
	s_or_b32 exec_lo, exec_lo, s12
	v_lshrrev_b16 v0, 8, v0
	v_mov_b32_e32 v113, 0
	s_mov_b32 s12, exec_lo
	v_cmpx_ne_u16_e32 0, v0
	s_cbranch_execz .LBB321_1569
; %bb.1562:                             ;   in Loop: Header=BB321_927 Depth=1
	v_bfrev_b32_e32 v113, 1
	s_mov_b32 s13, exec_lo
	v_cmpx_ne_u16_e32 0x80, v0
	s_cbranch_execz .LBB321_1568
; %bb.1563:                             ;   in Loop: Header=BB321_927 Depth=1
	v_and_b32_sdwa v115, v0, v17 dst_sel:DWORD dst_unused:UNUSED_PAD src0_sel:WORD_0 src1_sel:DWORD
	v_mov_b32_e32 v113, 0x7c010000
	s_mov_b32 s15, exec_lo
	v_cmpx_ne_u32_e32 0x7f, v115
	s_cbranch_execz .LBB321_1567
; %bb.1564:                             ;   in Loop: Header=BB321_927 Depth=1
	v_and_b32_sdwa v113, v0, v37 dst_sel:DWORD dst_unused:UNUSED_PAD src0_sel:WORD_0 src1_sel:DWORD
	v_lshrrev_b32_e32 v114, 3, v115
	s_mov_b32 s18, exec_lo
	v_cmpx_gt_u32_e32 8, v115
; %bb.1565:                             ;   in Loop: Header=BB321_927 Depth=1
	v_ffbh_u32_e32 v113, v113
	v_min_u32_e32 v115, 32, v113
	v_subrev_nc_u32_e32 v113, 28, v115
	v_lshlrev_b64 v[113:114], v113, v[0:1]
	v_sub_nc_u32_e32 v114, 29, v115
	v_and_b32_e32 v113, 7, v113
; %bb.1566:                             ;   in Loop: Header=BB321_927 Depth=1
	s_or_b32 exec_lo, exec_lo, s18
	v_lshlrev_b32_sdwa v0, v52, v0 dst_sel:DWORD dst_unused:UNUSED_PAD src0_sel:DWORD src1_sel:WORD_0
	v_lshl_add_u32 v114, v114, 10, 0x2000
	v_lshlrev_b32_e32 v113, 23, v113
	v_and_or_b32 v0, 0x8000, v0, v114
	v_lshl_or_b32 v113, v0, 16, v113
.LBB321_1567:                           ;   in Loop: Header=BB321_927 Depth=1
	s_or_b32 exec_lo, exec_lo, s15
.LBB321_1568:                           ;   in Loop: Header=BB321_927 Depth=1
	s_or_b32 exec_lo, exec_lo, s13
.LBB321_1569:                           ;   in Loop: Header=BB321_927 Depth=1
	s_or_b32 exec_lo, exec_lo, s12
	v_lshrrev_b32_e32 v0, 16, v12
	v_cmp_ne_u16_sdwa s4, v0, v1 src0_sel:BYTE_0 src1_sel:DWORD
	s_and_saveexec_b32 s12, s4
	s_cbranch_execz .LBB321_1577
; %bb.1570:                             ;   in Loop: Header=BB321_927 Depth=1
	v_cmp_ne_u16_sdwa s4, v0, v16 src0_sel:BYTE_0 src1_sel:DWORD
	v_mov_b32_e32 v35, 0x8000
	s_and_saveexec_b32 s13, s4
	s_cbranch_execz .LBB321_1576
; %bb.1571:                             ;   in Loop: Header=BB321_927 Depth=1
	v_bfe_u32 v115, v12, 16, 7
	v_mov_b32_e32 v35, 0x7c01
	s_mov_b32 s15, exec_lo
	v_cmpx_ne_u32_e32 0x7f, v115
	s_cbranch_execz .LBB321_1575
; %bb.1572:                             ;   in Loop: Header=BB321_927 Depth=1
	v_and_b32_e32 v35, 7, v0
	v_lshrrev_b32_e32 v114, 3, v115
	s_mov_b32 s18, exec_lo
	v_cmpx_gt_u32_e32 8, v115
; %bb.1573:                             ;   in Loop: Header=BB321_927 Depth=1
	v_ffbh_u32_e32 v35, v35
	v_min_u32_e32 v35, 32, v35
	v_subrev_nc_u32_e32 v114, 28, v35
	v_lshlrev_b64 v[115:116], v114, v[0:1]
	v_sub_nc_u32_e32 v114, 29, v35
	v_and_b32_e32 v35, 7, v115
; %bb.1574:                             ;   in Loop: Header=BB321_927 Depth=1
	s_or_b32 exec_lo, exec_lo, s18
	v_lshlrev_b32_e32 v0, 8, v0
	v_lshl_add_u32 v114, v114, 10, 0x2000
	v_lshlrev_b32_e32 v35, 7, v35
	v_and_b32_e32 v0, 0x8000, v0
	v_and_b32_e32 v114, 0xfc00, v114
	v_or3_b32 v35, v0, v114, v35
.LBB321_1575:                           ;   in Loop: Header=BB321_927 Depth=1
	s_or_b32 exec_lo, exec_lo, s15
.LBB321_1576:                           ;   in Loop: Header=BB321_927 Depth=1
	s_or_b32 exec_lo, exec_lo, s13
.LBB321_1577:                           ;   in Loop: Header=BB321_927 Depth=1
	s_or_b32 exec_lo, exec_lo, s12
	v_cmp_lt_u64_e64 s4, s[8:9], v[11:12]
	v_mov_b32_e32 v11, 0
	s_and_saveexec_b32 s12, s4
	s_cbranch_execz .LBB321_1585
; %bb.1578:                             ;   in Loop: Header=BB321_927 Depth=1
	v_lshrrev_b32_e32 v0, 24, v12
	v_bfrev_b32_e32 v11, 1
	s_mov_b32 s13, exec_lo
	v_cmpx_ne_u32_e32 0x80, v0
	s_cbranch_execz .LBB321_1584
; %bb.1579:                             ;   in Loop: Header=BB321_927 Depth=1
	v_and_b32_e32 v114, 0x7f, v0
	v_mov_b32_e32 v11, 0x7c010000
	s_mov_b32 s15, exec_lo
	v_cmpx_ne_u32_e32 0x7f, v114
	s_cbranch_execz .LBB321_1583
; %bb.1580:                             ;   in Loop: Header=BB321_927 Depth=1
	v_and_b32_e32 v11, 7, v0
	v_lshrrev_b32_e32 v12, 3, v114
	s_mov_b32 s18, exec_lo
	v_cmpx_gt_u32_e32 8, v114
; %bb.1581:                             ;   in Loop: Header=BB321_927 Depth=1
	v_ffbh_u32_e32 v11, v11
	v_min_u32_e32 v114, 32, v11
	v_subrev_nc_u32_e32 v11, 28, v114
	v_lshlrev_b64 v[11:12], v11, v[0:1]
	v_sub_nc_u32_e32 v12, 29, v114
	v_and_b32_e32 v11, 7, v11
; %bb.1582:                             ;   in Loop: Header=BB321_927 Depth=1
	s_or_b32 exec_lo, exec_lo, s18
	v_lshlrev_b32_e32 v0, 8, v0
	v_lshl_add_u32 v12, v12, 10, 0x2000
	v_lshlrev_b32_e32 v11, 23, v11
	v_and_or_b32 v0, 0x8000, v0, v12
	v_lshl_or_b32 v11, v0, 16, v11
.LBB321_1583:                           ;   in Loop: Header=BB321_927 Depth=1
	s_or_b32 exec_lo, exec_lo, s15
.LBB321_1584:                           ;   in Loop: Header=BB321_927 Depth=1
	s_or_b32 exec_lo, exec_lo, s13
.LBB321_1585:                           ;   in Loop: Header=BB321_927 Depth=1
	s_or_b32 exec_lo, exec_lo, s12
	v_or_b32_e32 v0, v6, v34
	s_waitcnt vmcnt(0) lgkmcnt(0)
	v_fma_mixlo_f16 v6, v22, v6, 0 op_sel:[0,1,0] op_sel_hi:[0,1,0]
	v_or_b32_e32 v12, v23, v32
	v_or_b32_e32 v32, v113, v112
	;; [unrolled: 1-line block ×3, first 2 shown]
	v_fma_mixlo_f16 v34, v22, v0, 0 op_sel_hi:[0,1,0]
	v_fma_mixlo_f16 v23, v22, v23, 0 op_sel:[0,1,0] op_sel_hi:[0,1,0]
	v_lshlrev_b32_e32 v0, 16, v6
	v_fma_mixlo_f16 v6, v22, v12, 0 op_sel_hi:[0,1,0]
	v_fma_mixlo_f16 v32, v22, v32, 0 op_sel_hi:[0,1,0]
	v_and_b32_e32 v12, 0xffff, v34
	v_fma_mixlo_f16 v34, v22, v113, 0 op_sel:[0,1,0] op_sel_hi:[0,1,0]
	v_fma_mixlo_f16 v112, v22, v11, 0 op_sel:[0,1,0] op_sel_hi:[0,1,0]
	v_fma_mixlo_f16 v22, v22, v35, 0 op_sel_hi:[0,1,0]
	v_lshlrev_b32_e32 v23, 16, v23
	v_and_b32_e32 v114, 0xffff, v6
	v_lshlrev_b32_e32 v11, 16, v34
	v_and_b32_e32 v34, 0xffff, v32
	;; [unrolled: 2-line block ×3, first 2 shown]
	v_or_b32_e32 v32, v0, v12
	v_or_b32_e32 v113, v23, v114
	;; [unrolled: 1-line block ×4, first 2 shown]
	s_and_saveexec_b32 s12, vcc_lo
	s_cbranch_execz .LBB321_1587
; %bb.1586:                             ;   in Loop: Header=BB321_927 Depth=1
	v_cmp_lt_i32_e64 s4, v53, v33
	v_cndmask_b32_e64 v32, 0, v114, s4
	v_cmp_lt_i32_e64 s4, v81, v33
	v_cndmask_b32_e64 v23, 0, v23, s4
	v_cmp_lt_i32_e64 s4, v80, v33
	v_or_b32_e32 v113, v32, v23
	v_cndmask_b32_e64 v12, 0, v12, s4
	v_cmp_lt_i32_e64 s4, v71, v33
	v_cndmask_b32_e64 v0, 0, v0, s4
	v_cmp_lt_i32_e64 s4, v70, v33
	v_or_b32_e32 v32, v12, v0
	;; [unrolled: 5-line block ×3, first 2 shown]
	v_cndmask_b32_e64 v22, 0, v22, s4
	v_cmp_lt_i32_e64 s4, v14, v33
	v_cndmask_b32_e64 v6, 0, v6, s4
	v_or_b32_e32 v35, v22, v6
.LBB321_1587:                           ;   in Loop: Header=BB321_927 Depth=1
	s_or_b32 exec_lo, exec_lo, s12
	;;#ASMSTART
	v_pk_mul_f16 v0, v66, v113;

	;;#ASMEND
	;;#ASMSTART
	v_pk_mul_f16 v6, v64, v32;

	;;#ASMEND
	;; [unrolled: 4-line block ×4, first 2 shown]
	;;#ASMSTART
	v_pk_add_f16 v0, v0, v6;

	;;#ASMEND
	;;#ASMSTART
	v_pk_add_f16 v0, v0, v11;

	;;#ASMEND
	;; [unrolled: 4-line block ×3, first 2 shown]
	v_and_b32_e32 v6, 0xffff, v0
	v_lshrrev_b32_e32 v0, 16, v0
	;;#ASMSTART
	v_cvt_f32_f16 v22, v6;
	;;#ASMEND
	;;#ASMSTART
	v_cvt_f32_f16 v23, v0;
	;;#ASMEND
	flat_load_dwordx2 v[11:12], v[9:10] offset:512
	flat_load_dword v32, v[26:27]
	v_mov_b32_e32 v34, 0
	v_mov_b32_e32 v35, 0
	s_waitcnt vmcnt(1) lgkmcnt(1)
	v_cmp_ne_u16_sdwa s4, v11, v1 src0_sel:BYTE_0 src1_sel:DWORD
	s_and_saveexec_b32 s12, s4
	s_cbranch_execz .LBB321_1595
; %bb.1588:                             ;   in Loop: Header=BB321_927 Depth=1
	v_cmp_ne_u16_sdwa s4, v11, v16 src0_sel:BYTE_0 src1_sel:DWORD
	v_mov_b32_e32 v35, 0x8000
	s_and_saveexec_b32 s13, s4
	s_cbranch_execz .LBB321_1594
; %bb.1589:                             ;   in Loop: Header=BB321_927 Depth=1
	v_and_b32_e32 v112, 0x7f, v11
	v_mov_b32_e32 v35, 0x7c01
	s_mov_b32 s15, exec_lo
	v_cmpx_ne_u32_e32 0x7f, v112
	s_cbranch_execz .LBB321_1593
; %bb.1590:                             ;   in Loop: Header=BB321_927 Depth=1
	v_and_b32_e32 v0, 7, v11
	v_lshrrev_b32_e32 v6, 3, v112
	s_mov_b32 s18, exec_lo
	v_cmpx_gt_u32_e32 8, v112
; %bb.1591:                             ;   in Loop: Header=BB321_927 Depth=1
	v_ffbh_u32_e32 v0, v0
	v_min_u32_e32 v0, 32, v0
	v_subrev_nc_u32_e32 v6, 28, v0
	v_lshlrev_b64 v[112:113], v6, v[11:12]
	v_sub_nc_u32_e32 v6, 29, v0
	v_and_b32_e32 v0, 7, v112
; %bb.1592:                             ;   in Loop: Header=BB321_927 Depth=1
	s_or_b32 exec_lo, exec_lo, s18
	v_lshlrev_b32_e32 v35, 8, v11
	v_lshl_add_u32 v6, v6, 10, 0x2000
	v_lshlrev_b32_e32 v0, 7, v0
	v_and_b32_e32 v35, 0x8000, v35
	v_and_b32_e32 v6, 0xfc00, v6
	v_or3_b32 v35, v35, v6, v0
.LBB321_1593:                           ;   in Loop: Header=BB321_927 Depth=1
	s_or_b32 exec_lo, exec_lo, s15
.LBB321_1594:                           ;   in Loop: Header=BB321_927 Depth=1
	s_or_b32 exec_lo, exec_lo, s13
.LBB321_1595:                           ;   in Loop: Header=BB321_927 Depth=1
	s_or_b32 exec_lo, exec_lo, s12
	v_lshrrev_b16 v0, 8, v11
	s_mov_b32 s12, exec_lo
	v_cmpx_ne_u16_e32 0, v0
	s_cbranch_execz .LBB321_1603
; %bb.1596:                             ;   in Loop: Header=BB321_927 Depth=1
	v_bfrev_b32_e32 v34, 1
	s_mov_b32 s13, exec_lo
	v_cmpx_ne_u16_e32 0x80, v0
	s_cbranch_execz .LBB321_1602
; %bb.1597:                             ;   in Loop: Header=BB321_927 Depth=1
	v_and_b32_sdwa v112, v0, v17 dst_sel:DWORD dst_unused:UNUSED_PAD src0_sel:WORD_0 src1_sel:DWORD
	v_mov_b32_e32 v34, 0x7c010000
	s_mov_b32 s15, exec_lo
	v_cmpx_ne_u32_e32 0x7f, v112
	s_cbranch_execz .LBB321_1601
; %bb.1598:                             ;   in Loop: Header=BB321_927 Depth=1
	v_and_b32_sdwa v6, v0, v37 dst_sel:DWORD dst_unused:UNUSED_PAD src0_sel:WORD_0 src1_sel:DWORD
	v_lshrrev_b32_e32 v34, 3, v112
	s_mov_b32 s18, exec_lo
	v_cmpx_gt_u32_e32 8, v112
; %bb.1599:                             ;   in Loop: Header=BB321_927 Depth=1
	v_ffbh_u32_e32 v6, v6
	v_min_u32_e32 v6, 32, v6
	v_subrev_nc_u32_e32 v34, 28, v6
	v_lshlrev_b64 v[112:113], v34, v[0:1]
	v_sub_nc_u32_e32 v34, 29, v6
	v_and_b32_e32 v6, 7, v112
; %bb.1600:                             ;   in Loop: Header=BB321_927 Depth=1
	s_or_b32 exec_lo, exec_lo, s18
	v_lshlrev_b32_sdwa v0, v52, v0 dst_sel:DWORD dst_unused:UNUSED_PAD src0_sel:DWORD src1_sel:WORD_0
	v_lshl_add_u32 v34, v34, 10, 0x2000
	v_lshlrev_b32_e32 v6, 23, v6
	v_and_or_b32 v0, 0x8000, v0, v34
	v_lshl_or_b32 v34, v0, 16, v6
.LBB321_1601:                           ;   in Loop: Header=BB321_927 Depth=1
	s_or_b32 exec_lo, exec_lo, s15
.LBB321_1602:                           ;   in Loop: Header=BB321_927 Depth=1
	s_or_b32 exec_lo, exec_lo, s13
.LBB321_1603:                           ;   in Loop: Header=BB321_927 Depth=1
	s_or_b32 exec_lo, exec_lo, s12
	v_lshrrev_b32_e32 v0, 16, v11
	v_mov_b32_e32 v6, 0
	v_mov_b32_e32 v112, 0
	v_cmp_ne_u16_sdwa s4, v0, v1 src0_sel:BYTE_0 src1_sel:DWORD
	s_and_saveexec_b32 s12, s4
	s_cbranch_execz .LBB321_1611
; %bb.1604:                             ;   in Loop: Header=BB321_927 Depth=1
	v_cmp_ne_u16_sdwa s4, v0, v16 src0_sel:BYTE_0 src1_sel:DWORD
	v_mov_b32_e32 v112, 0x8000
	s_and_saveexec_b32 s13, s4
	s_cbranch_execz .LBB321_1610
; %bb.1605:                             ;   in Loop: Header=BB321_927 Depth=1
	v_bfe_u32 v114, v11, 16, 7
	v_mov_b32_e32 v112, 0x7c01
	s_mov_b32 s15, exec_lo
	v_cmpx_ne_u32_e32 0x7f, v114
	s_cbranch_execz .LBB321_1609
; %bb.1606:                             ;   in Loop: Header=BB321_927 Depth=1
	v_and_b32_e32 v112, 7, v0
	v_lshrrev_b32_e32 v113, 3, v114
	s_mov_b32 s18, exec_lo
	v_cmpx_gt_u32_e32 8, v114
; %bb.1607:                             ;   in Loop: Header=BB321_927 Depth=1
	v_ffbh_u32_e32 v112, v112
	v_min_u32_e32 v114, 32, v112
	v_subrev_nc_u32_e32 v112, 28, v114
	v_lshlrev_b64 v[112:113], v112, v[0:1]
	v_sub_nc_u32_e32 v113, 29, v114
	v_and_b32_e32 v112, 7, v112
; %bb.1608:                             ;   in Loop: Header=BB321_927 Depth=1
	s_or_b32 exec_lo, exec_lo, s18
	v_lshlrev_b32_e32 v0, 8, v0
	v_lshl_add_u32 v113, v113, 10, 0x2000
	v_lshlrev_b32_e32 v112, 7, v112
	v_and_b32_e32 v0, 0x8000, v0
	v_and_b32_e32 v113, 0xfc00, v113
	v_or3_b32 v112, v0, v113, v112
.LBB321_1609:                           ;   in Loop: Header=BB321_927 Depth=1
	s_or_b32 exec_lo, exec_lo, s15
.LBB321_1610:                           ;   in Loop: Header=BB321_927 Depth=1
	s_or_b32 exec_lo, exec_lo, s13
.LBB321_1611:                           ;   in Loop: Header=BB321_927 Depth=1
	s_or_b32 exec_lo, exec_lo, s12
	s_mov_b32 s12, exec_lo
	v_cmpx_lt_u32_e32 0xffffff, v11
	s_cbranch_execz .LBB321_1619
; %bb.1612:                             ;   in Loop: Header=BB321_927 Depth=1
	v_lshrrev_b32_e32 v0, 24, v11
	v_bfrev_b32_e32 v6, 1
	s_mov_b32 s13, exec_lo
	v_cmpx_ne_u32_e32 0x80, v0
	s_cbranch_execz .LBB321_1618
; %bb.1613:                             ;   in Loop: Header=BB321_927 Depth=1
	v_and_b32_e32 v114, 0x7f, v0
	v_mov_b32_e32 v6, 0x7c010000
	s_mov_b32 s15, exec_lo
	v_cmpx_ne_u32_e32 0x7f, v114
	s_cbranch_execz .LBB321_1617
; %bb.1614:                             ;   in Loop: Header=BB321_927 Depth=1
	v_and_b32_e32 v6, 7, v0
	v_lshrrev_b32_e32 v113, 3, v114
	s_mov_b32 s18, exec_lo
	v_cmpx_gt_u32_e32 8, v114
; %bb.1615:                             ;   in Loop: Header=BB321_927 Depth=1
	v_ffbh_u32_e32 v6, v6
	v_min_u32_e32 v6, 32, v6
	v_subrev_nc_u32_e32 v113, 28, v6
	v_lshlrev_b64 v[114:115], v113, v[0:1]
	v_sub_nc_u32_e32 v113, 29, v6
	v_and_b32_e32 v6, 7, v114
; %bb.1616:                             ;   in Loop: Header=BB321_927 Depth=1
	s_or_b32 exec_lo, exec_lo, s18
	v_lshlrev_b32_e32 v0, 8, v0
	v_lshl_add_u32 v113, v113, 10, 0x2000
	v_lshlrev_b32_e32 v6, 23, v6
	v_and_or_b32 v0, 0x8000, v0, v113
	v_lshl_or_b32 v6, v0, 16, v6
.LBB321_1617:                           ;   in Loop: Header=BB321_927 Depth=1
	s_or_b32 exec_lo, exec_lo, s15
.LBB321_1618:                           ;   in Loop: Header=BB321_927 Depth=1
	s_or_b32 exec_lo, exec_lo, s13
.LBB321_1619:                           ;   in Loop: Header=BB321_927 Depth=1
	s_or_b32 exec_lo, exec_lo, s12
	v_mov_b32_e32 v0, v12
	v_cmp_ne_u16_sdwa s4, v12, v1 src0_sel:BYTE_0 src1_sel:DWORD
	v_mov_b32_e32 v113, 0
	v_mov_b32_e32 v114, 0
	s_and_saveexec_b32 s12, s4
	s_cbranch_execz .LBB321_1627
; %bb.1620:                             ;   in Loop: Header=BB321_927 Depth=1
	v_cmp_ne_u16_sdwa s4, v12, v16 src0_sel:BYTE_0 src1_sel:DWORD
	v_mov_b32_e32 v114, 0x8000
	s_and_saveexec_b32 s13, s4
	s_cbranch_execz .LBB321_1626
; %bb.1621:                             ;   in Loop: Header=BB321_927 Depth=1
	v_and_b32_e32 v116, 0x7f, v12
	v_mov_b32_e32 v114, 0x7c01
	s_mov_b32 s15, exec_lo
	v_cmpx_ne_u32_e32 0x7f, v116
	s_cbranch_execz .LBB321_1625
; %bb.1622:                             ;   in Loop: Header=BB321_927 Depth=1
	v_and_b32_e32 v114, 7, v12
	v_lshrrev_b32_e32 v115, 3, v116
	s_mov_b32 s18, exec_lo
	v_cmpx_gt_u32_e32 8, v116
; %bb.1623:                             ;   in Loop: Header=BB321_927 Depth=1
	v_ffbh_u32_e32 v114, v114
	v_min_u32_e32 v116, 32, v114
	v_subrev_nc_u32_e32 v114, 28, v116
	v_lshlrev_b64 v[114:115], v114, v[0:1]
	v_sub_nc_u32_e32 v115, 29, v116
	v_and_b32_e32 v114, 7, v114
; %bb.1624:                             ;   in Loop: Header=BB321_927 Depth=1
	s_or_b32 exec_lo, exec_lo, s18
	v_lshlrev_b32_e32 v116, 8, v12
	v_lshl_add_u32 v115, v115, 10, 0x2000
	v_lshlrev_b32_e32 v114, 7, v114
	v_and_b32_e32 v116, 0x8000, v116
	v_and_b32_e32 v115, 0xfc00, v115
	v_or3_b32 v114, v116, v115, v114
.LBB321_1625:                           ;   in Loop: Header=BB321_927 Depth=1
	s_or_b32 exec_lo, exec_lo, s15
.LBB321_1626:                           ;   in Loop: Header=BB321_927 Depth=1
	s_or_b32 exec_lo, exec_lo, s13
.LBB321_1627:                           ;   in Loop: Header=BB321_927 Depth=1
	s_or_b32 exec_lo, exec_lo, s12
	v_lshrrev_b16 v0, 8, v0
	v_mov_b32_e32 v115, 0
	s_mov_b32 s12, exec_lo
	v_cmpx_ne_u16_e32 0, v0
	s_cbranch_execz .LBB321_1635
; %bb.1628:                             ;   in Loop: Header=BB321_927 Depth=1
	v_bfrev_b32_e32 v115, 1
	s_mov_b32 s13, exec_lo
	v_cmpx_ne_u16_e32 0x80, v0
	s_cbranch_execz .LBB321_1634
; %bb.1629:                             ;   in Loop: Header=BB321_927 Depth=1
	v_and_b32_sdwa v117, v0, v17 dst_sel:DWORD dst_unused:UNUSED_PAD src0_sel:WORD_0 src1_sel:DWORD
	v_mov_b32_e32 v115, 0x7c010000
	s_mov_b32 s15, exec_lo
	v_cmpx_ne_u32_e32 0x7f, v117
	s_cbranch_execz .LBB321_1633
; %bb.1630:                             ;   in Loop: Header=BB321_927 Depth=1
	v_and_b32_sdwa v115, v0, v37 dst_sel:DWORD dst_unused:UNUSED_PAD src0_sel:WORD_0 src1_sel:DWORD
	v_lshrrev_b32_e32 v116, 3, v117
	s_mov_b32 s18, exec_lo
	v_cmpx_gt_u32_e32 8, v117
; %bb.1631:                             ;   in Loop: Header=BB321_927 Depth=1
	v_ffbh_u32_e32 v115, v115
	v_min_u32_e32 v117, 32, v115
	v_subrev_nc_u32_e32 v115, 28, v117
	v_lshlrev_b64 v[115:116], v115, v[0:1]
	v_sub_nc_u32_e32 v116, 29, v117
	v_and_b32_e32 v115, 7, v115
; %bb.1632:                             ;   in Loop: Header=BB321_927 Depth=1
	s_or_b32 exec_lo, exec_lo, s18
	v_lshlrev_b32_sdwa v0, v52, v0 dst_sel:DWORD dst_unused:UNUSED_PAD src0_sel:DWORD src1_sel:WORD_0
	v_lshl_add_u32 v116, v116, 10, 0x2000
	v_lshlrev_b32_e32 v115, 23, v115
	v_and_or_b32 v0, 0x8000, v0, v116
	v_lshl_or_b32 v115, v0, 16, v115
.LBB321_1633:                           ;   in Loop: Header=BB321_927 Depth=1
	s_or_b32 exec_lo, exec_lo, s15
.LBB321_1634:                           ;   in Loop: Header=BB321_927 Depth=1
	s_or_b32 exec_lo, exec_lo, s13
.LBB321_1635:                           ;   in Loop: Header=BB321_927 Depth=1
	s_or_b32 exec_lo, exec_lo, s12
	v_lshrrev_b32_e32 v0, 16, v12
	v_cmp_ne_u16_sdwa s4, v0, v1 src0_sel:BYTE_0 src1_sel:DWORD
	s_and_saveexec_b32 s12, s4
	s_cbranch_execz .LBB321_1643
; %bb.1636:                             ;   in Loop: Header=BB321_927 Depth=1
	v_cmp_ne_u16_sdwa s4, v0, v16 src0_sel:BYTE_0 src1_sel:DWORD
	v_mov_b32_e32 v113, 0x8000
	s_and_saveexec_b32 s13, s4
	s_cbranch_execz .LBB321_1642
; %bb.1637:                             ;   in Loop: Header=BB321_927 Depth=1
	v_bfe_u32 v117, v12, 16, 7
	v_mov_b32_e32 v113, 0x7c01
	s_mov_b32 s15, exec_lo
	v_cmpx_ne_u32_e32 0x7f, v117
	s_cbranch_execz .LBB321_1641
; %bb.1638:                             ;   in Loop: Header=BB321_927 Depth=1
	v_and_b32_e32 v113, 7, v0
	v_lshrrev_b32_e32 v116, 3, v117
	s_mov_b32 s18, exec_lo
	v_cmpx_gt_u32_e32 8, v117
; %bb.1639:                             ;   in Loop: Header=BB321_927 Depth=1
	v_ffbh_u32_e32 v113, v113
	v_min_u32_e32 v113, 32, v113
	v_subrev_nc_u32_e32 v116, 28, v113
	v_lshlrev_b64 v[117:118], v116, v[0:1]
	v_sub_nc_u32_e32 v116, 29, v113
	v_and_b32_e32 v113, 7, v117
; %bb.1640:                             ;   in Loop: Header=BB321_927 Depth=1
	s_or_b32 exec_lo, exec_lo, s18
	v_lshlrev_b32_e32 v0, 8, v0
	v_lshl_add_u32 v116, v116, 10, 0x2000
	v_lshlrev_b32_e32 v113, 7, v113
	v_and_b32_e32 v0, 0x8000, v0
	v_and_b32_e32 v116, 0xfc00, v116
	v_or3_b32 v113, v0, v116, v113
.LBB321_1641:                           ;   in Loop: Header=BB321_927 Depth=1
	s_or_b32 exec_lo, exec_lo, s15
.LBB321_1642:                           ;   in Loop: Header=BB321_927 Depth=1
	s_or_b32 exec_lo, exec_lo, s13
.LBB321_1643:                           ;   in Loop: Header=BB321_927 Depth=1
	s_or_b32 exec_lo, exec_lo, s12
	v_cmp_lt_u64_e64 s4, s[8:9], v[11:12]
	v_mov_b32_e32 v11, 0
	s_and_saveexec_b32 s12, s4
	s_cbranch_execz .LBB321_1651
; %bb.1644:                             ;   in Loop: Header=BB321_927 Depth=1
	v_lshrrev_b32_e32 v0, 24, v12
	v_bfrev_b32_e32 v11, 1
	s_mov_b32 s13, exec_lo
	v_cmpx_ne_u32_e32 0x80, v0
	s_cbranch_execz .LBB321_1650
; %bb.1645:                             ;   in Loop: Header=BB321_927 Depth=1
	v_and_b32_e32 v116, 0x7f, v0
	v_mov_b32_e32 v11, 0x7c010000
	s_mov_b32 s15, exec_lo
	v_cmpx_ne_u32_e32 0x7f, v116
	s_cbranch_execz .LBB321_1649
; %bb.1646:                             ;   in Loop: Header=BB321_927 Depth=1
	v_and_b32_e32 v11, 7, v0
	v_lshrrev_b32_e32 v12, 3, v116
	s_mov_b32 s18, exec_lo
	v_cmpx_gt_u32_e32 8, v116
; %bb.1647:                             ;   in Loop: Header=BB321_927 Depth=1
	v_ffbh_u32_e32 v11, v11
	v_min_u32_e32 v116, 32, v11
	v_subrev_nc_u32_e32 v11, 28, v116
	v_lshlrev_b64 v[11:12], v11, v[0:1]
	v_sub_nc_u32_e32 v12, 29, v116
	v_and_b32_e32 v11, 7, v11
; %bb.1648:                             ;   in Loop: Header=BB321_927 Depth=1
	s_or_b32 exec_lo, exec_lo, s18
	v_lshlrev_b32_e32 v0, 8, v0
	v_lshl_add_u32 v12, v12, 10, 0x2000
	v_lshlrev_b32_e32 v11, 23, v11
	v_and_or_b32 v0, 0x8000, v0, v12
	v_lshl_or_b32 v11, v0, 16, v11
.LBB321_1649:                           ;   in Loop: Header=BB321_927 Depth=1
	s_or_b32 exec_lo, exec_lo, s15
.LBB321_1650:                           ;   in Loop: Header=BB321_927 Depth=1
	s_or_b32 exec_lo, exec_lo, s13
.LBB321_1651:                           ;   in Loop: Header=BB321_927 Depth=1
	s_or_b32 exec_lo, exec_lo, s12
	v_or_b32_e32 v0, v6, v112
	s_waitcnt vmcnt(0) lgkmcnt(0)
	v_fma_mixlo_f16 v6, v32, v6, 0 op_sel:[0,1,0] op_sel_hi:[0,1,0]
	v_or_b32_e32 v12, v34, v35
	v_or_b32_e32 v35, v115, v114
	;; [unrolled: 1-line block ×3, first 2 shown]
	v_fma_mixlo_f16 v112, v32, v0, 0 op_sel_hi:[0,1,0]
	v_fma_mixlo_f16 v34, v32, v34, 0 op_sel:[0,1,0] op_sel_hi:[0,1,0]
	v_lshlrev_b32_e32 v0, 16, v6
	v_fma_mixlo_f16 v6, v32, v12, 0 op_sel_hi:[0,1,0]
	v_fma_mixlo_f16 v35, v32, v35, 0 op_sel_hi:[0,1,0]
	v_and_b32_e32 v12, 0xffff, v112
	v_fma_mixlo_f16 v112, v32, v115, 0 op_sel:[0,1,0] op_sel_hi:[0,1,0]
	v_fma_mixlo_f16 v114, v32, v11, 0 op_sel:[0,1,0] op_sel_hi:[0,1,0]
	v_fma_mixlo_f16 v32, v32, v113, 0 op_sel_hi:[0,1,0]
	v_lshlrev_b32_e32 v34, 16, v34
	v_and_b32_e32 v116, 0xffff, v6
	v_lshlrev_b32_e32 v11, 16, v112
	v_and_b32_e32 v112, 0xffff, v35
	;; [unrolled: 2-line block ×3, first 2 shown]
	v_or_b32_e32 v35, v0, v12
	v_or_b32_e32 v115, v34, v116
	;; [unrolled: 1-line block ×4, first 2 shown]
	s_and_saveexec_b32 s12, vcc_lo
	s_cbranch_execz .LBB321_1653
; %bb.1652:                             ;   in Loop: Header=BB321_927 Depth=1
	v_cmp_lt_i32_e64 s4, v53, v33
	v_cndmask_b32_e64 v35, 0, v116, s4
	v_cmp_lt_i32_e64 s4, v81, v33
	v_cndmask_b32_e64 v34, 0, v34, s4
	v_cmp_lt_i32_e64 s4, v80, v33
	v_or_b32_e32 v115, v35, v34
	v_cndmask_b32_e64 v12, 0, v12, s4
	v_cmp_lt_i32_e64 s4, v71, v33
	v_cndmask_b32_e64 v0, 0, v0, s4
	v_cmp_lt_i32_e64 s4, v70, v33
	v_or_b32_e32 v35, v12, v0
	;; [unrolled: 5-line block ×3, first 2 shown]
	v_cndmask_b32_e64 v32, 0, v32, s4
	v_cmp_lt_i32_e64 s4, v14, v33
	v_cndmask_b32_e64 v6, 0, v6, s4
	v_or_b32_e32 v113, v32, v6
.LBB321_1653:                           ;   in Loop: Header=BB321_927 Depth=1
	s_or_b32 exec_lo, exec_lo, s12
	;;#ASMSTART
	v_pk_mul_f16 v0, v66, v115;

	;;#ASMEND
	;;#ASMSTART
	v_pk_mul_f16 v6, v64, v35;

	;;#ASMEND
	;;#ASMSTART
	v_pk_mul_f16 v11, v55, v114;

	;;#ASMEND
	;;#ASMSTART
	v_pk_mul_f16 v12, v54, v113;

	;;#ASMEND
	;;#ASMSTART
	v_pk_add_f16 v0, v0, v6;

	;;#ASMEND
	;;#ASMSTART
	v_pk_add_f16 v0, v0, v11;

	;;#ASMEND
	;; [unrolled: 4-line block ×3, first 2 shown]
	v_and_b32_e32 v6, 0xffff, v0
	v_lshrrev_b32_e32 v0, 16, v0
	;;#ASMSTART
	v_cvt_f32_f16 v32, v6;
	;;#ASMEND
	;;#ASMSTART
	v_cvt_f32_f16 v34, v0;
	;;#ASMEND
	flat_load_dwordx2 v[11:12], v[9:10] offset:768
	flat_load_dword v35, v[26:27]
	v_mov_b32_e32 v112, 0
	v_mov_b32_e32 v113, 0
	s_waitcnt vmcnt(1) lgkmcnt(1)
	v_cmp_ne_u16_sdwa s4, v11, v1 src0_sel:BYTE_0 src1_sel:DWORD
	s_and_saveexec_b32 s12, s4
	s_cbranch_execz .LBB321_1661
; %bb.1654:                             ;   in Loop: Header=BB321_927 Depth=1
	v_cmp_ne_u16_sdwa s4, v11, v16 src0_sel:BYTE_0 src1_sel:DWORD
	v_mov_b32_e32 v113, 0x8000
	s_and_saveexec_b32 s13, s4
	s_cbranch_execz .LBB321_1660
; %bb.1655:                             ;   in Loop: Header=BB321_927 Depth=1
	v_and_b32_e32 v114, 0x7f, v11
	v_mov_b32_e32 v113, 0x7c01
	s_mov_b32 s15, exec_lo
	v_cmpx_ne_u32_e32 0x7f, v114
	s_cbranch_execz .LBB321_1659
; %bb.1656:                             ;   in Loop: Header=BB321_927 Depth=1
	v_and_b32_e32 v0, 7, v11
	v_lshrrev_b32_e32 v6, 3, v114
	s_mov_b32 s18, exec_lo
	v_cmpx_gt_u32_e32 8, v114
; %bb.1657:                             ;   in Loop: Header=BB321_927 Depth=1
	v_ffbh_u32_e32 v0, v0
	v_min_u32_e32 v0, 32, v0
	v_subrev_nc_u32_e32 v6, 28, v0
	v_lshlrev_b64 v[113:114], v6, v[11:12]
	v_sub_nc_u32_e32 v6, 29, v0
	v_and_b32_e32 v0, 7, v113
; %bb.1658:                             ;   in Loop: Header=BB321_927 Depth=1
	s_or_b32 exec_lo, exec_lo, s18
	v_lshlrev_b32_e32 v113, 8, v11
	v_lshl_add_u32 v6, v6, 10, 0x2000
	v_lshlrev_b32_e32 v0, 7, v0
	v_and_b32_e32 v113, 0x8000, v113
	v_and_b32_e32 v6, 0xfc00, v6
	v_or3_b32 v113, v113, v6, v0
.LBB321_1659:                           ;   in Loop: Header=BB321_927 Depth=1
	s_or_b32 exec_lo, exec_lo, s15
.LBB321_1660:                           ;   in Loop: Header=BB321_927 Depth=1
	s_or_b32 exec_lo, exec_lo, s13
.LBB321_1661:                           ;   in Loop: Header=BB321_927 Depth=1
	s_or_b32 exec_lo, exec_lo, s12
	v_lshrrev_b16 v0, 8, v11
	s_mov_b32 s12, exec_lo
	v_cmpx_ne_u16_e32 0, v0
	s_cbranch_execz .LBB321_1669
; %bb.1662:                             ;   in Loop: Header=BB321_927 Depth=1
	v_bfrev_b32_e32 v112, 1
	s_mov_b32 s13, exec_lo
	v_cmpx_ne_u16_e32 0x80, v0
	s_cbranch_execz .LBB321_1668
; %bb.1663:                             ;   in Loop: Header=BB321_927 Depth=1
	v_and_b32_sdwa v114, v0, v17 dst_sel:DWORD dst_unused:UNUSED_PAD src0_sel:WORD_0 src1_sel:DWORD
	v_mov_b32_e32 v112, 0x7c010000
	s_mov_b32 s15, exec_lo
	v_cmpx_ne_u32_e32 0x7f, v114
	s_cbranch_execz .LBB321_1667
; %bb.1664:                             ;   in Loop: Header=BB321_927 Depth=1
	v_and_b32_sdwa v6, v0, v37 dst_sel:DWORD dst_unused:UNUSED_PAD src0_sel:WORD_0 src1_sel:DWORD
	v_lshrrev_b32_e32 v112, 3, v114
	s_mov_b32 s18, exec_lo
	v_cmpx_gt_u32_e32 8, v114
; %bb.1665:                             ;   in Loop: Header=BB321_927 Depth=1
	v_ffbh_u32_e32 v6, v6
	v_min_u32_e32 v6, 32, v6
	v_subrev_nc_u32_e32 v112, 28, v6
	v_lshlrev_b64 v[114:115], v112, v[0:1]
	v_sub_nc_u32_e32 v112, 29, v6
	v_and_b32_e32 v6, 7, v114
; %bb.1666:                             ;   in Loop: Header=BB321_927 Depth=1
	s_or_b32 exec_lo, exec_lo, s18
	v_lshlrev_b32_sdwa v0, v52, v0 dst_sel:DWORD dst_unused:UNUSED_PAD src0_sel:DWORD src1_sel:WORD_0
	v_lshl_add_u32 v112, v112, 10, 0x2000
	v_lshlrev_b32_e32 v6, 23, v6
	v_and_or_b32 v0, 0x8000, v0, v112
	v_lshl_or_b32 v112, v0, 16, v6
.LBB321_1667:                           ;   in Loop: Header=BB321_927 Depth=1
	s_or_b32 exec_lo, exec_lo, s15
.LBB321_1668:                           ;   in Loop: Header=BB321_927 Depth=1
	s_or_b32 exec_lo, exec_lo, s13
.LBB321_1669:                           ;   in Loop: Header=BB321_927 Depth=1
	s_or_b32 exec_lo, exec_lo, s12
	v_lshrrev_b32_e32 v0, 16, v11
	v_mov_b32_e32 v6, 0
	v_mov_b32_e32 v114, 0
	v_cmp_ne_u16_sdwa s4, v0, v1 src0_sel:BYTE_0 src1_sel:DWORD
	s_and_saveexec_b32 s12, s4
	s_cbranch_execz .LBB321_1677
; %bb.1670:                             ;   in Loop: Header=BB321_927 Depth=1
	v_cmp_ne_u16_sdwa s4, v0, v16 src0_sel:BYTE_0 src1_sel:DWORD
	v_mov_b32_e32 v114, 0x8000
	s_and_saveexec_b32 s13, s4
	s_cbranch_execz .LBB321_1676
; %bb.1671:                             ;   in Loop: Header=BB321_927 Depth=1
	v_bfe_u32 v116, v11, 16, 7
	v_mov_b32_e32 v114, 0x7c01
	s_mov_b32 s15, exec_lo
	v_cmpx_ne_u32_e32 0x7f, v116
	s_cbranch_execz .LBB321_1675
; %bb.1672:                             ;   in Loop: Header=BB321_927 Depth=1
	v_and_b32_e32 v114, 7, v0
	v_lshrrev_b32_e32 v115, 3, v116
	s_mov_b32 s18, exec_lo
	v_cmpx_gt_u32_e32 8, v116
; %bb.1673:                             ;   in Loop: Header=BB321_927 Depth=1
	v_ffbh_u32_e32 v114, v114
	v_min_u32_e32 v116, 32, v114
	v_subrev_nc_u32_e32 v114, 28, v116
	v_lshlrev_b64 v[114:115], v114, v[0:1]
	v_sub_nc_u32_e32 v115, 29, v116
	v_and_b32_e32 v114, 7, v114
; %bb.1674:                             ;   in Loop: Header=BB321_927 Depth=1
	s_or_b32 exec_lo, exec_lo, s18
	v_lshlrev_b32_e32 v0, 8, v0
	v_lshl_add_u32 v115, v115, 10, 0x2000
	v_lshlrev_b32_e32 v114, 7, v114
	v_and_b32_e32 v0, 0x8000, v0
	v_and_b32_e32 v115, 0xfc00, v115
	v_or3_b32 v114, v0, v115, v114
.LBB321_1675:                           ;   in Loop: Header=BB321_927 Depth=1
	s_or_b32 exec_lo, exec_lo, s15
.LBB321_1676:                           ;   in Loop: Header=BB321_927 Depth=1
	s_or_b32 exec_lo, exec_lo, s13
.LBB321_1677:                           ;   in Loop: Header=BB321_927 Depth=1
	s_or_b32 exec_lo, exec_lo, s12
	s_mov_b32 s12, exec_lo
	v_cmpx_lt_u32_e32 0xffffff, v11
	s_cbranch_execz .LBB321_1685
; %bb.1678:                             ;   in Loop: Header=BB321_927 Depth=1
	v_lshrrev_b32_e32 v0, 24, v11
	v_bfrev_b32_e32 v6, 1
	s_mov_b32 s13, exec_lo
	v_cmpx_ne_u32_e32 0x80, v0
	s_cbranch_execz .LBB321_1684
; %bb.1679:                             ;   in Loop: Header=BB321_927 Depth=1
	v_and_b32_e32 v116, 0x7f, v0
	v_mov_b32_e32 v6, 0x7c010000
	s_mov_b32 s15, exec_lo
	v_cmpx_ne_u32_e32 0x7f, v116
	s_cbranch_execz .LBB321_1683
; %bb.1680:                             ;   in Loop: Header=BB321_927 Depth=1
	v_and_b32_e32 v6, 7, v0
	v_lshrrev_b32_e32 v115, 3, v116
	s_mov_b32 s18, exec_lo
	v_cmpx_gt_u32_e32 8, v116
; %bb.1681:                             ;   in Loop: Header=BB321_927 Depth=1
	v_ffbh_u32_e32 v6, v6
	v_min_u32_e32 v6, 32, v6
	v_subrev_nc_u32_e32 v115, 28, v6
	v_lshlrev_b64 v[116:117], v115, v[0:1]
	v_sub_nc_u32_e32 v115, 29, v6
	v_and_b32_e32 v6, 7, v116
; %bb.1682:                             ;   in Loop: Header=BB321_927 Depth=1
	s_or_b32 exec_lo, exec_lo, s18
	v_lshlrev_b32_e32 v0, 8, v0
	v_lshl_add_u32 v115, v115, 10, 0x2000
	v_lshlrev_b32_e32 v6, 23, v6
	v_and_or_b32 v0, 0x8000, v0, v115
	v_lshl_or_b32 v6, v0, 16, v6
.LBB321_1683:                           ;   in Loop: Header=BB321_927 Depth=1
	s_or_b32 exec_lo, exec_lo, s15
.LBB321_1684:                           ;   in Loop: Header=BB321_927 Depth=1
	s_or_b32 exec_lo, exec_lo, s13
.LBB321_1685:                           ;   in Loop: Header=BB321_927 Depth=1
	s_or_b32 exec_lo, exec_lo, s12
	v_mov_b32_e32 v0, v12
	v_cmp_ne_u16_sdwa s4, v12, v1 src0_sel:BYTE_0 src1_sel:DWORD
	v_mov_b32_e32 v115, 0
	v_mov_b32_e32 v116, 0
	s_and_saveexec_b32 s12, s4
	s_cbranch_execz .LBB321_1693
; %bb.1686:                             ;   in Loop: Header=BB321_927 Depth=1
	v_cmp_ne_u16_sdwa s4, v12, v16 src0_sel:BYTE_0 src1_sel:DWORD
	v_mov_b32_e32 v116, 0x8000
	s_and_saveexec_b32 s13, s4
	s_cbranch_execz .LBB321_1692
; %bb.1687:                             ;   in Loop: Header=BB321_927 Depth=1
	v_and_b32_e32 v118, 0x7f, v12
	v_mov_b32_e32 v116, 0x7c01
	s_mov_b32 s15, exec_lo
	v_cmpx_ne_u32_e32 0x7f, v118
	s_cbranch_execz .LBB321_1691
; %bb.1688:                             ;   in Loop: Header=BB321_927 Depth=1
	v_and_b32_e32 v116, 7, v12
	v_lshrrev_b32_e32 v117, 3, v118
	s_mov_b32 s18, exec_lo
	v_cmpx_gt_u32_e32 8, v118
; %bb.1689:                             ;   in Loop: Header=BB321_927 Depth=1
	v_ffbh_u32_e32 v116, v116
	v_min_u32_e32 v118, 32, v116
	v_subrev_nc_u32_e32 v116, 28, v118
	v_lshlrev_b64 v[116:117], v116, v[0:1]
	v_sub_nc_u32_e32 v117, 29, v118
	v_and_b32_e32 v116, 7, v116
; %bb.1690:                             ;   in Loop: Header=BB321_927 Depth=1
	s_or_b32 exec_lo, exec_lo, s18
	v_lshlrev_b32_e32 v118, 8, v12
	v_lshl_add_u32 v117, v117, 10, 0x2000
	v_lshlrev_b32_e32 v116, 7, v116
	v_and_b32_e32 v118, 0x8000, v118
	v_and_b32_e32 v117, 0xfc00, v117
	v_or3_b32 v116, v118, v117, v116
.LBB321_1691:                           ;   in Loop: Header=BB321_927 Depth=1
	s_or_b32 exec_lo, exec_lo, s15
.LBB321_1692:                           ;   in Loop: Header=BB321_927 Depth=1
	s_or_b32 exec_lo, exec_lo, s13
.LBB321_1693:                           ;   in Loop: Header=BB321_927 Depth=1
	s_or_b32 exec_lo, exec_lo, s12
	v_lshrrev_b16 v0, 8, v0
	v_mov_b32_e32 v117, 0
	s_mov_b32 s12, exec_lo
	v_cmpx_ne_u16_e32 0, v0
	s_cbranch_execz .LBB321_1701
; %bb.1694:                             ;   in Loop: Header=BB321_927 Depth=1
	v_bfrev_b32_e32 v117, 1
	s_mov_b32 s13, exec_lo
	v_cmpx_ne_u16_e32 0x80, v0
	s_cbranch_execz .LBB321_1700
; %bb.1695:                             ;   in Loop: Header=BB321_927 Depth=1
	v_and_b32_sdwa v119, v0, v17 dst_sel:DWORD dst_unused:UNUSED_PAD src0_sel:WORD_0 src1_sel:DWORD
	v_mov_b32_e32 v117, 0x7c010000
	s_mov_b32 s15, exec_lo
	v_cmpx_ne_u32_e32 0x7f, v119
	s_cbranch_execz .LBB321_1699
; %bb.1696:                             ;   in Loop: Header=BB321_927 Depth=1
	v_and_b32_sdwa v117, v0, v37 dst_sel:DWORD dst_unused:UNUSED_PAD src0_sel:WORD_0 src1_sel:DWORD
	v_lshrrev_b32_e32 v118, 3, v119
	s_mov_b32 s18, exec_lo
	v_cmpx_gt_u32_e32 8, v119
; %bb.1697:                             ;   in Loop: Header=BB321_927 Depth=1
	v_ffbh_u32_e32 v117, v117
	v_min_u32_e32 v119, 32, v117
	v_subrev_nc_u32_e32 v117, 28, v119
	v_lshlrev_b64 v[117:118], v117, v[0:1]
	v_sub_nc_u32_e32 v118, 29, v119
	v_and_b32_e32 v117, 7, v117
; %bb.1698:                             ;   in Loop: Header=BB321_927 Depth=1
	s_or_b32 exec_lo, exec_lo, s18
	v_lshlrev_b32_sdwa v0, v52, v0 dst_sel:DWORD dst_unused:UNUSED_PAD src0_sel:DWORD src1_sel:WORD_0
	v_lshl_add_u32 v118, v118, 10, 0x2000
	v_lshlrev_b32_e32 v117, 23, v117
	v_and_or_b32 v0, 0x8000, v0, v118
	v_lshl_or_b32 v117, v0, 16, v117
.LBB321_1699:                           ;   in Loop: Header=BB321_927 Depth=1
	s_or_b32 exec_lo, exec_lo, s15
.LBB321_1700:                           ;   in Loop: Header=BB321_927 Depth=1
	s_or_b32 exec_lo, exec_lo, s13
.LBB321_1701:                           ;   in Loop: Header=BB321_927 Depth=1
	s_or_b32 exec_lo, exec_lo, s12
	v_lshrrev_b32_e32 v0, 16, v12
	v_cmp_ne_u16_sdwa s4, v0, v1 src0_sel:BYTE_0 src1_sel:DWORD
	s_and_saveexec_b32 s12, s4
	s_cbranch_execz .LBB321_1709
; %bb.1702:                             ;   in Loop: Header=BB321_927 Depth=1
	v_cmp_ne_u16_sdwa s4, v0, v16 src0_sel:BYTE_0 src1_sel:DWORD
	v_mov_b32_e32 v115, 0x8000
	s_and_saveexec_b32 s13, s4
	s_cbranch_execz .LBB321_1708
; %bb.1703:                             ;   in Loop: Header=BB321_927 Depth=1
	v_bfe_u32 v119, v12, 16, 7
	v_mov_b32_e32 v115, 0x7c01
	s_mov_b32 s15, exec_lo
	v_cmpx_ne_u32_e32 0x7f, v119
	s_cbranch_execz .LBB321_1707
; %bb.1704:                             ;   in Loop: Header=BB321_927 Depth=1
	v_and_b32_e32 v115, 7, v0
	v_lshrrev_b32_e32 v118, 3, v119
	s_mov_b32 s18, exec_lo
	v_cmpx_gt_u32_e32 8, v119
; %bb.1705:                             ;   in Loop: Header=BB321_927 Depth=1
	v_ffbh_u32_e32 v115, v115
	v_min_u32_e32 v115, 32, v115
	v_subrev_nc_u32_e32 v118, 28, v115
	v_lshlrev_b64 v[40:41], v118, v[0:1]
	v_sub_nc_u32_e32 v118, 29, v115
	v_and_b32_e32 v115, 7, v40
; %bb.1706:                             ;   in Loop: Header=BB321_927 Depth=1
	s_or_b32 exec_lo, exec_lo, s18
	v_lshlrev_b32_e32 v0, 8, v0
	v_lshl_add_u32 v118, v118, 10, 0x2000
	v_lshlrev_b32_e32 v115, 7, v115
	v_and_b32_e32 v0, 0x8000, v0
	v_and_b32_e32 v118, 0xfc00, v118
	v_or3_b32 v115, v0, v118, v115
.LBB321_1707:                           ;   in Loop: Header=BB321_927 Depth=1
	s_or_b32 exec_lo, exec_lo, s15
.LBB321_1708:                           ;   in Loop: Header=BB321_927 Depth=1
	s_or_b32 exec_lo, exec_lo, s13
.LBB321_1709:                           ;   in Loop: Header=BB321_927 Depth=1
	s_or_b32 exec_lo, exec_lo, s12
	v_cmp_lt_u64_e64 s4, s[8:9], v[11:12]
	v_mov_b32_e32 v11, 0
	s_and_saveexec_b32 s12, s4
	s_cbranch_execz .LBB321_1717
; %bb.1710:                             ;   in Loop: Header=BB321_927 Depth=1
	v_lshrrev_b32_e32 v0, 24, v12
	v_bfrev_b32_e32 v11, 1
	s_mov_b32 s13, exec_lo
	v_cmpx_ne_u32_e32 0x80, v0
	s_cbranch_execz .LBB321_1716
; %bb.1711:                             ;   in Loop: Header=BB321_927 Depth=1
	v_and_b32_e32 v118, 0x7f, v0
	v_mov_b32_e32 v11, 0x7c010000
	s_mov_b32 s15, exec_lo
	v_cmpx_ne_u32_e32 0x7f, v118
	s_cbranch_execz .LBB321_1715
; %bb.1712:                             ;   in Loop: Header=BB321_927 Depth=1
	v_and_b32_e32 v11, 7, v0
	v_lshrrev_b32_e32 v12, 3, v118
	s_mov_b32 s18, exec_lo
	v_cmpx_gt_u32_e32 8, v118
; %bb.1713:                             ;   in Loop: Header=BB321_927 Depth=1
	v_ffbh_u32_e32 v11, v11
	v_min_u32_e32 v118, 32, v11
	v_subrev_nc_u32_e32 v11, 28, v118
	v_lshlrev_b64 v[11:12], v11, v[0:1]
	v_sub_nc_u32_e32 v12, 29, v118
	v_and_b32_e32 v11, 7, v11
; %bb.1714:                             ;   in Loop: Header=BB321_927 Depth=1
	s_or_b32 exec_lo, exec_lo, s18
	v_lshlrev_b32_e32 v0, 8, v0
	v_lshl_add_u32 v12, v12, 10, 0x2000
	v_lshlrev_b32_e32 v11, 23, v11
	v_and_or_b32 v0, 0x8000, v0, v12
	v_lshl_or_b32 v11, v0, 16, v11
.LBB321_1715:                           ;   in Loop: Header=BB321_927 Depth=1
	s_or_b32 exec_lo, exec_lo, s15
.LBB321_1716:                           ;   in Loop: Header=BB321_927 Depth=1
	s_or_b32 exec_lo, exec_lo, s13
.LBB321_1717:                           ;   in Loop: Header=BB321_927 Depth=1
	s_or_b32 exec_lo, exec_lo, s12
	v_or_b32_e32 v0, v6, v114
	s_waitcnt vmcnt(0) lgkmcnt(0)
	v_fma_mixlo_f16 v6, v35, v6, 0 op_sel:[0,1,0] op_sel_hi:[0,1,0]
	v_or_b32_e32 v12, v112, v113
	v_or_b32_e32 v113, v117, v116
	;; [unrolled: 1-line block ×3, first 2 shown]
	v_fma_mixlo_f16 v114, v35, v0, 0 op_sel_hi:[0,1,0]
	v_fma_mixlo_f16 v112, v35, v112, 0 op_sel:[0,1,0] op_sel_hi:[0,1,0]
	v_lshlrev_b32_e32 v0, 16, v6
	v_fma_mixlo_f16 v6, v35, v12, 0 op_sel_hi:[0,1,0]
	v_fma_mixlo_f16 v113, v35, v113, 0 op_sel_hi:[0,1,0]
	v_and_b32_e32 v12, 0xffff, v114
	v_fma_mixlo_f16 v114, v35, v117, 0 op_sel:[0,1,0] op_sel_hi:[0,1,0]
	v_fma_mixlo_f16 v116, v35, v11, 0 op_sel:[0,1,0] op_sel_hi:[0,1,0]
	v_fma_mixlo_f16 v35, v35, v115, 0 op_sel_hi:[0,1,0]
	v_lshlrev_b32_e32 v112, 16, v112
	v_and_b32_e32 v118, 0xffff, v6
	v_lshlrev_b32_e32 v11, 16, v114
	v_and_b32_e32 v114, 0xffff, v113
	v_lshlrev_b32_e32 v6, 16, v116
	v_and_b32_e32 v35, 0xffff, v35
	v_or_b32_e32 v113, v0, v12
	v_or_b32_e32 v117, v112, v118
	;; [unrolled: 1-line block ×4, first 2 shown]
	s_and_saveexec_b32 s12, vcc_lo
	s_cbranch_execz .LBB321_1719
; %bb.1718:                             ;   in Loop: Header=BB321_927 Depth=1
	v_cmp_lt_i32_e64 s4, v53, v33
	v_cndmask_b32_e64 v113, 0, v118, s4
	v_cmp_lt_i32_e64 s4, v81, v33
	v_cndmask_b32_e64 v112, 0, v112, s4
	v_cmp_lt_i32_e64 s4, v80, v33
	v_or_b32_e32 v117, v113, v112
	v_cndmask_b32_e64 v12, 0, v12, s4
	v_cmp_lt_i32_e64 s4, v71, v33
	v_cndmask_b32_e64 v0, 0, v0, s4
	v_cmp_lt_i32_e64 s4, v70, v33
	v_or_b32_e32 v113, v12, v0
	v_cndmask_b32_e64 v114, 0, v114, s4
	v_cmp_lt_i32_e64 s4, v69, v33
	v_cndmask_b32_e64 v11, 0, v11, s4
	v_cmp_lt_i32_e64 s4, v68, v33
	v_or_b32_e32 v116, v114, v11
	v_cndmask_b32_e64 v35, 0, v35, s4
	v_cmp_lt_i32_e64 s4, v14, v33
	v_cndmask_b32_e64 v6, 0, v6, s4
	v_or_b32_e32 v115, v35, v6
.LBB321_1719:                           ;   in Loop: Header=BB321_927 Depth=1
	s_or_b32 exec_lo, exec_lo, s12
	;;#ASMSTART
	v_pk_mul_f16 v0, v66, v117;

	;;#ASMEND
	;;#ASMSTART
	v_pk_mul_f16 v6, v64, v113;

	;;#ASMEND
	;; [unrolled: 4-line block ×4, first 2 shown]
	;;#ASMSTART
	v_pk_add_f16 v0, v0, v6;

	;;#ASMEND
	;;#ASMSTART
	v_pk_add_f16 v0, v0, v11;

	;;#ASMEND
	;; [unrolled: 4-line block ×3, first 2 shown]
	v_and_b32_e32 v6, 0xffff, v0
	v_lshrrev_b32_e32 v0, 16, v0
	;;#ASMSTART
	v_cvt_f32_f16 v35, v6;
	;;#ASMEND
	;;#ASMSTART
	v_cvt_f32_f16 v112, v0;
	;;#ASMEND
	flat_load_dwordx2 v[11:12], v[9:10] offset:1024
	flat_load_dword v113, v[26:27]
	v_mov_b32_e32 v114, 0
	v_mov_b32_e32 v115, 0
	s_waitcnt vmcnt(1) lgkmcnt(1)
	v_cmp_ne_u16_sdwa s4, v11, v1 src0_sel:BYTE_0 src1_sel:DWORD
	s_and_saveexec_b32 s12, s4
	s_cbranch_execz .LBB321_1727
; %bb.1720:                             ;   in Loop: Header=BB321_927 Depth=1
	v_cmp_ne_u16_sdwa s4, v11, v16 src0_sel:BYTE_0 src1_sel:DWORD
	v_mov_b32_e32 v115, 0x8000
	s_and_saveexec_b32 s13, s4
	s_cbranch_execz .LBB321_1726
; %bb.1721:                             ;   in Loop: Header=BB321_927 Depth=1
	v_and_b32_e32 v116, 0x7f, v11
	v_mov_b32_e32 v115, 0x7c01
	s_mov_b32 s15, exec_lo
	v_cmpx_ne_u32_e32 0x7f, v116
	s_cbranch_execz .LBB321_1725
; %bb.1722:                             ;   in Loop: Header=BB321_927 Depth=1
	v_and_b32_e32 v0, 7, v11
	v_lshrrev_b32_e32 v6, 3, v116
	s_mov_b32 s18, exec_lo
	v_cmpx_gt_u32_e32 8, v116
; %bb.1723:                             ;   in Loop: Header=BB321_927 Depth=1
	v_ffbh_u32_e32 v0, v0
	v_min_u32_e32 v0, 32, v0
	v_subrev_nc_u32_e32 v6, 28, v0
	v_lshlrev_b64 v[115:116], v6, v[11:12]
	v_sub_nc_u32_e32 v6, 29, v0
	v_and_b32_e32 v0, 7, v115
; %bb.1724:                             ;   in Loop: Header=BB321_927 Depth=1
	s_or_b32 exec_lo, exec_lo, s18
	v_lshlrev_b32_e32 v115, 8, v11
	v_lshl_add_u32 v6, v6, 10, 0x2000
	v_lshlrev_b32_e32 v0, 7, v0
	v_and_b32_e32 v115, 0x8000, v115
	v_and_b32_e32 v6, 0xfc00, v6
	v_or3_b32 v115, v115, v6, v0
.LBB321_1725:                           ;   in Loop: Header=BB321_927 Depth=1
	s_or_b32 exec_lo, exec_lo, s15
.LBB321_1726:                           ;   in Loop: Header=BB321_927 Depth=1
	s_or_b32 exec_lo, exec_lo, s13
.LBB321_1727:                           ;   in Loop: Header=BB321_927 Depth=1
	s_or_b32 exec_lo, exec_lo, s12
	v_lshrrev_b16 v0, 8, v11
	s_mov_b32 s12, exec_lo
	v_cmpx_ne_u16_e32 0, v0
	s_cbranch_execz .LBB321_1735
; %bb.1728:                             ;   in Loop: Header=BB321_927 Depth=1
	v_bfrev_b32_e32 v114, 1
	s_mov_b32 s13, exec_lo
	v_cmpx_ne_u16_e32 0x80, v0
	s_cbranch_execz .LBB321_1734
; %bb.1729:                             ;   in Loop: Header=BB321_927 Depth=1
	v_and_b32_sdwa v116, v0, v17 dst_sel:DWORD dst_unused:UNUSED_PAD src0_sel:WORD_0 src1_sel:DWORD
	v_mov_b32_e32 v114, 0x7c010000
	s_mov_b32 s15, exec_lo
	v_cmpx_ne_u32_e32 0x7f, v116
	s_cbranch_execz .LBB321_1733
; %bb.1730:                             ;   in Loop: Header=BB321_927 Depth=1
	v_and_b32_sdwa v6, v0, v37 dst_sel:DWORD dst_unused:UNUSED_PAD src0_sel:WORD_0 src1_sel:DWORD
	v_lshrrev_b32_e32 v114, 3, v116
	s_mov_b32 s18, exec_lo
	v_cmpx_gt_u32_e32 8, v116
; %bb.1731:                             ;   in Loop: Header=BB321_927 Depth=1
	v_ffbh_u32_e32 v6, v6
	v_min_u32_e32 v6, 32, v6
	v_subrev_nc_u32_e32 v114, 28, v6
	v_lshlrev_b64 v[116:117], v114, v[0:1]
	v_sub_nc_u32_e32 v114, 29, v6
	v_and_b32_e32 v6, 7, v116
; %bb.1732:                             ;   in Loop: Header=BB321_927 Depth=1
	s_or_b32 exec_lo, exec_lo, s18
	v_lshlrev_b32_sdwa v0, v52, v0 dst_sel:DWORD dst_unused:UNUSED_PAD src0_sel:DWORD src1_sel:WORD_0
	v_lshl_add_u32 v114, v114, 10, 0x2000
	v_lshlrev_b32_e32 v6, 23, v6
	v_and_or_b32 v0, 0x8000, v0, v114
	v_lshl_or_b32 v114, v0, 16, v6
.LBB321_1733:                           ;   in Loop: Header=BB321_927 Depth=1
	s_or_b32 exec_lo, exec_lo, s15
.LBB321_1734:                           ;   in Loop: Header=BB321_927 Depth=1
	s_or_b32 exec_lo, exec_lo, s13
.LBB321_1735:                           ;   in Loop: Header=BB321_927 Depth=1
	s_or_b32 exec_lo, exec_lo, s12
	v_lshrrev_b32_e32 v0, 16, v11
	v_mov_b32_e32 v6, 0
	v_mov_b32_e32 v116, 0
	v_cmp_ne_u16_sdwa s4, v0, v1 src0_sel:BYTE_0 src1_sel:DWORD
	s_and_saveexec_b32 s12, s4
	s_cbranch_execz .LBB321_1743
; %bb.1736:                             ;   in Loop: Header=BB321_927 Depth=1
	v_cmp_ne_u16_sdwa s4, v0, v16 src0_sel:BYTE_0 src1_sel:DWORD
	v_mov_b32_e32 v116, 0x8000
	s_and_saveexec_b32 s13, s4
	s_cbranch_execz .LBB321_1742
; %bb.1737:                             ;   in Loop: Header=BB321_927 Depth=1
	v_bfe_u32 v118, v11, 16, 7
	v_mov_b32_e32 v116, 0x7c01
	s_mov_b32 s15, exec_lo
	v_cmpx_ne_u32_e32 0x7f, v118
	s_cbranch_execz .LBB321_1741
; %bb.1738:                             ;   in Loop: Header=BB321_927 Depth=1
	v_and_b32_e32 v116, 7, v0
	v_lshrrev_b32_e32 v117, 3, v118
	s_mov_b32 s18, exec_lo
	v_cmpx_gt_u32_e32 8, v118
; %bb.1739:                             ;   in Loop: Header=BB321_927 Depth=1
	v_ffbh_u32_e32 v116, v116
	v_min_u32_e32 v118, 32, v116
	v_subrev_nc_u32_e32 v116, 28, v118
	v_lshlrev_b64 v[116:117], v116, v[0:1]
	v_sub_nc_u32_e32 v117, 29, v118
	v_and_b32_e32 v116, 7, v116
; %bb.1740:                             ;   in Loop: Header=BB321_927 Depth=1
	s_or_b32 exec_lo, exec_lo, s18
	v_lshlrev_b32_e32 v0, 8, v0
	v_lshl_add_u32 v117, v117, 10, 0x2000
	v_lshlrev_b32_e32 v116, 7, v116
	v_and_b32_e32 v0, 0x8000, v0
	v_and_b32_e32 v117, 0xfc00, v117
	v_or3_b32 v116, v0, v117, v116
.LBB321_1741:                           ;   in Loop: Header=BB321_927 Depth=1
	s_or_b32 exec_lo, exec_lo, s15
.LBB321_1742:                           ;   in Loop: Header=BB321_927 Depth=1
	s_or_b32 exec_lo, exec_lo, s13
.LBB321_1743:                           ;   in Loop: Header=BB321_927 Depth=1
	s_or_b32 exec_lo, exec_lo, s12
	s_mov_b32 s12, exec_lo
	v_cmpx_lt_u32_e32 0xffffff, v11
	s_cbranch_execz .LBB321_1751
; %bb.1744:                             ;   in Loop: Header=BB321_927 Depth=1
	v_lshrrev_b32_e32 v0, 24, v11
	v_bfrev_b32_e32 v6, 1
	s_mov_b32 s13, exec_lo
	v_cmpx_ne_u32_e32 0x80, v0
	s_cbranch_execz .LBB321_1750
; %bb.1745:                             ;   in Loop: Header=BB321_927 Depth=1
	v_and_b32_e32 v118, 0x7f, v0
	v_mov_b32_e32 v6, 0x7c010000
	s_mov_b32 s15, exec_lo
	v_cmpx_ne_u32_e32 0x7f, v118
	s_cbranch_execz .LBB321_1749
; %bb.1746:                             ;   in Loop: Header=BB321_927 Depth=1
	v_and_b32_e32 v6, 7, v0
	v_lshrrev_b32_e32 v117, 3, v118
	s_mov_b32 s18, exec_lo
	v_cmpx_gt_u32_e32 8, v118
; %bb.1747:                             ;   in Loop: Header=BB321_927 Depth=1
	v_ffbh_u32_e32 v6, v6
	v_min_u32_e32 v6, 32, v6
	v_subrev_nc_u32_e32 v117, 28, v6
	v_lshlrev_b64 v[118:119], v117, v[0:1]
	v_sub_nc_u32_e32 v117, 29, v6
	v_and_b32_e32 v6, 7, v118
; %bb.1748:                             ;   in Loop: Header=BB321_927 Depth=1
	s_or_b32 exec_lo, exec_lo, s18
	v_lshlrev_b32_e32 v0, 8, v0
	v_lshl_add_u32 v117, v117, 10, 0x2000
	v_lshlrev_b32_e32 v6, 23, v6
	v_and_or_b32 v0, 0x8000, v0, v117
	v_lshl_or_b32 v6, v0, 16, v6
.LBB321_1749:                           ;   in Loop: Header=BB321_927 Depth=1
	s_or_b32 exec_lo, exec_lo, s15
.LBB321_1750:                           ;   in Loop: Header=BB321_927 Depth=1
	s_or_b32 exec_lo, exec_lo, s13
.LBB321_1751:                           ;   in Loop: Header=BB321_927 Depth=1
	s_or_b32 exec_lo, exec_lo, s12
	v_mov_b32_e32 v0, v12
	v_cmp_ne_u16_sdwa s4, v12, v1 src0_sel:BYTE_0 src1_sel:DWORD
	v_mov_b32_e32 v117, 0
	v_mov_b32_e32 v118, 0
	s_and_saveexec_b32 s12, s4
	s_cbranch_execz .LBB321_1759
; %bb.1752:                             ;   in Loop: Header=BB321_927 Depth=1
	v_cmp_ne_u16_sdwa s4, v12, v16 src0_sel:BYTE_0 src1_sel:DWORD
	v_mov_b32_e32 v118, 0x8000
	s_and_saveexec_b32 s13, s4
	s_cbranch_execz .LBB321_1758
; %bb.1753:                             ;   in Loop: Header=BB321_927 Depth=1
	v_and_b32_e32 v40, 0x7f, v12
	v_mov_b32_e32 v118, 0x7c01
	s_mov_b32 s15, exec_lo
	v_cmpx_ne_u32_e32 0x7f, v40
	s_cbranch_execz .LBB321_1757
; %bb.1754:                             ;   in Loop: Header=BB321_927 Depth=1
	v_and_b32_e32 v118, 7, v12
	v_lshrrev_b32_e32 v119, 3, v40
	s_mov_b32 s18, exec_lo
	v_cmpx_gt_u32_e32 8, v40
; %bb.1755:                             ;   in Loop: Header=BB321_927 Depth=1
	v_ffbh_u32_e32 v118, v118
	v_min_u32_e32 v40, 32, v118
	v_subrev_nc_u32_e32 v118, 28, v40
	v_lshlrev_b64 v[118:119], v118, v[0:1]
	v_sub_nc_u32_e32 v119, 29, v40
	v_and_b32_e32 v118, 7, v118
; %bb.1756:                             ;   in Loop: Header=BB321_927 Depth=1
	s_or_b32 exec_lo, exec_lo, s18
	v_lshlrev_b32_e32 v40, 8, v12
	v_lshl_add_u32 v119, v119, 10, 0x2000
	v_lshlrev_b32_e32 v118, 7, v118
	v_and_b32_e32 v40, 0x8000, v40
	v_and_b32_e32 v119, 0xfc00, v119
	v_or3_b32 v118, v40, v119, v118
.LBB321_1757:                           ;   in Loop: Header=BB321_927 Depth=1
	s_or_b32 exec_lo, exec_lo, s15
.LBB321_1758:                           ;   in Loop: Header=BB321_927 Depth=1
	s_or_b32 exec_lo, exec_lo, s13
.LBB321_1759:                           ;   in Loop: Header=BB321_927 Depth=1
	s_or_b32 exec_lo, exec_lo, s12
	v_lshrrev_b16 v0, 8, v0
	v_mov_b32_e32 v119, 0
	s_mov_b32 s12, exec_lo
	v_cmpx_ne_u16_e32 0, v0
	s_cbranch_execz .LBB321_1767
; %bb.1760:                             ;   in Loop: Header=BB321_927 Depth=1
	v_bfrev_b32_e32 v119, 1
	s_mov_b32 s13, exec_lo
	v_cmpx_ne_u16_e32 0x80, v0
	s_cbranch_execz .LBB321_1766
; %bb.1761:                             ;   in Loop: Header=BB321_927 Depth=1
	v_and_b32_sdwa v41, v0, v17 dst_sel:DWORD dst_unused:UNUSED_PAD src0_sel:WORD_0 src1_sel:DWORD
	v_mov_b32_e32 v119, 0x7c010000
	s_mov_b32 s15, exec_lo
	v_cmpx_ne_u32_e32 0x7f, v41
	s_cbranch_execz .LBB321_1765
; %bb.1762:                             ;   in Loop: Header=BB321_927 Depth=1
	v_and_b32_sdwa v119, v0, v37 dst_sel:DWORD dst_unused:UNUSED_PAD src0_sel:WORD_0 src1_sel:DWORD
	v_lshrrev_b32_e32 v40, 3, v41
	s_mov_b32 s18, exec_lo
	v_cmpx_gt_u32_e32 8, v41
; %bb.1763:                             ;   in Loop: Header=BB321_927 Depth=1
	v_ffbh_u32_e32 v119, v119
	v_min_u32_e32 v119, 32, v119
	v_subrev_nc_u32_e32 v40, 28, v119
	v_lshlrev_b64 v[41:42], v40, v[0:1]
	v_sub_nc_u32_e32 v40, 29, v119
	v_and_b32_e32 v119, 7, v41
; %bb.1764:                             ;   in Loop: Header=BB321_927 Depth=1
	s_or_b32 exec_lo, exec_lo, s18
	v_lshlrev_b32_sdwa v0, v52, v0 dst_sel:DWORD dst_unused:UNUSED_PAD src0_sel:DWORD src1_sel:WORD_0
	v_lshl_add_u32 v40, v40, 10, 0x2000
	v_lshlrev_b32_e32 v119, 23, v119
	v_and_or_b32 v0, 0x8000, v0, v40
	v_lshl_or_b32 v119, v0, 16, v119
.LBB321_1765:                           ;   in Loop: Header=BB321_927 Depth=1
	s_or_b32 exec_lo, exec_lo, s15
.LBB321_1766:                           ;   in Loop: Header=BB321_927 Depth=1
	s_or_b32 exec_lo, exec_lo, s13
.LBB321_1767:                           ;   in Loop: Header=BB321_927 Depth=1
	s_or_b32 exec_lo, exec_lo, s12
	v_lshrrev_b32_e32 v0, 16, v12
	v_cmp_ne_u16_sdwa s4, v0, v1 src0_sel:BYTE_0 src1_sel:DWORD
	s_and_saveexec_b32 s12, s4
	s_cbranch_execz .LBB321_1775
; %bb.1768:                             ;   in Loop: Header=BB321_927 Depth=1
	v_cmp_ne_u16_sdwa s4, v0, v16 src0_sel:BYTE_0 src1_sel:DWORD
	v_mov_b32_e32 v117, 0x8000
	s_and_saveexec_b32 s13, s4
	s_cbranch_execz .LBB321_1774
; %bb.1769:                             ;   in Loop: Header=BB321_927 Depth=1
	v_bfe_u32 v41, v12, 16, 7
	v_mov_b32_e32 v117, 0x7c01
	s_mov_b32 s15, exec_lo
	v_cmpx_ne_u32_e32 0x7f, v41
	s_cbranch_execz .LBB321_1773
; %bb.1770:                             ;   in Loop: Header=BB321_927 Depth=1
	v_and_b32_e32 v117, 7, v0
	v_lshrrev_b32_e32 v40, 3, v41
	s_mov_b32 s18, exec_lo
	v_cmpx_gt_u32_e32 8, v41
; %bb.1771:                             ;   in Loop: Header=BB321_927 Depth=1
	v_ffbh_u32_e32 v117, v117
	v_min_u32_e32 v117, 32, v117
	v_subrev_nc_u32_e32 v40, 28, v117
	v_lshlrev_b64 v[41:42], v40, v[0:1]
	v_sub_nc_u32_e32 v40, 29, v117
	v_and_b32_e32 v117, 7, v41
; %bb.1772:                             ;   in Loop: Header=BB321_927 Depth=1
	s_or_b32 exec_lo, exec_lo, s18
	v_lshlrev_b32_e32 v0, 8, v0
	v_lshl_add_u32 v40, v40, 10, 0x2000
	v_lshlrev_b32_e32 v117, 7, v117
	v_and_b32_e32 v0, 0x8000, v0
	v_and_b32_e32 v40, 0xfc00, v40
	v_or3_b32 v117, v0, v40, v117
.LBB321_1773:                           ;   in Loop: Header=BB321_927 Depth=1
	s_or_b32 exec_lo, exec_lo, s15
.LBB321_1774:                           ;   in Loop: Header=BB321_927 Depth=1
	s_or_b32 exec_lo, exec_lo, s13
.LBB321_1775:                           ;   in Loop: Header=BB321_927 Depth=1
	s_or_b32 exec_lo, exec_lo, s12
	v_cmp_lt_u64_e64 s4, s[8:9], v[11:12]
	v_mov_b32_e32 v11, 0
	s_and_saveexec_b32 s12, s4
	s_cbranch_execz .LBB321_1783
; %bb.1776:                             ;   in Loop: Header=BB321_927 Depth=1
	v_lshrrev_b32_e32 v0, 24, v12
	v_bfrev_b32_e32 v11, 1
	s_mov_b32 s13, exec_lo
	v_cmpx_ne_u32_e32 0x80, v0
	s_cbranch_execz .LBB321_1782
; %bb.1777:                             ;   in Loop: Header=BB321_927 Depth=1
	v_and_b32_e32 v40, 0x7f, v0
	v_mov_b32_e32 v11, 0x7c010000
	s_mov_b32 s15, exec_lo
	v_cmpx_ne_u32_e32 0x7f, v40
	s_cbranch_execz .LBB321_1781
; %bb.1778:                             ;   in Loop: Header=BB321_927 Depth=1
	v_and_b32_e32 v11, 7, v0
	v_lshrrev_b32_e32 v12, 3, v40
	s_mov_b32 s18, exec_lo
	v_cmpx_gt_u32_e32 8, v40
; %bb.1779:                             ;   in Loop: Header=BB321_927 Depth=1
	v_ffbh_u32_e32 v11, v11
	v_min_u32_e32 v40, 32, v11
	v_subrev_nc_u32_e32 v11, 28, v40
	v_lshlrev_b64 v[11:12], v11, v[0:1]
	v_sub_nc_u32_e32 v12, 29, v40
	v_and_b32_e32 v11, 7, v11
; %bb.1780:                             ;   in Loop: Header=BB321_927 Depth=1
	s_or_b32 exec_lo, exec_lo, s18
	v_lshlrev_b32_e32 v0, 8, v0
	v_lshl_add_u32 v12, v12, 10, 0x2000
	v_lshlrev_b32_e32 v11, 23, v11
	v_and_or_b32 v0, 0x8000, v0, v12
	v_lshl_or_b32 v11, v0, 16, v11
.LBB321_1781:                           ;   in Loop: Header=BB321_927 Depth=1
	s_or_b32 exec_lo, exec_lo, s15
.LBB321_1782:                           ;   in Loop: Header=BB321_927 Depth=1
	s_or_b32 exec_lo, exec_lo, s13
.LBB321_1783:                           ;   in Loop: Header=BB321_927 Depth=1
	s_or_b32 exec_lo, exec_lo, s12
	v_or_b32_e32 v0, v6, v116
	s_waitcnt vmcnt(0) lgkmcnt(0)
	v_fma_mixlo_f16 v6, v113, v6, 0 op_sel:[0,1,0] op_sel_hi:[0,1,0]
	v_or_b32_e32 v12, v114, v115
	v_or_b32_e32 v115, v119, v118
	;; [unrolled: 1-line block ×3, first 2 shown]
	v_fma_mixlo_f16 v116, v113, v0, 0 op_sel_hi:[0,1,0]
	v_fma_mixlo_f16 v114, v113, v114, 0 op_sel:[0,1,0] op_sel_hi:[0,1,0]
	v_lshlrev_b32_e32 v0, 16, v6
	v_fma_mixlo_f16 v6, v113, v12, 0 op_sel_hi:[0,1,0]
	v_fma_mixlo_f16 v115, v113, v115, 0 op_sel_hi:[0,1,0]
	v_and_b32_e32 v12, 0xffff, v116
	v_fma_mixlo_f16 v116, v113, v119, 0 op_sel:[0,1,0] op_sel_hi:[0,1,0]
	v_fma_mixlo_f16 v118, v113, v11, 0 op_sel:[0,1,0] op_sel_hi:[0,1,0]
	v_fma_mixlo_f16 v113, v113, v117, 0 op_sel_hi:[0,1,0]
	v_lshlrev_b32_e32 v114, 16, v114
	v_and_b32_e32 v40, 0xffff, v6
	v_lshlrev_b32_e32 v11, 16, v116
	v_and_b32_e32 v116, 0xffff, v115
	;; [unrolled: 2-line block ×3, first 2 shown]
	v_or_b32_e32 v115, v0, v12
	v_or_b32_e32 v119, v114, v40
	v_or_b32_e32 v118, v11, v116
	v_or_b32_e32 v117, v6, v113
	s_and_saveexec_b32 s12, vcc_lo
	s_cbranch_execz .LBB321_1785
; %bb.1784:                             ;   in Loop: Header=BB321_927 Depth=1
	v_cmp_lt_i32_e64 s4, v53, v33
	v_cndmask_b32_e64 v115, 0, v40, s4
	v_cmp_lt_i32_e64 s4, v81, v33
	v_cndmask_b32_e64 v114, 0, v114, s4
	v_cmp_lt_i32_e64 s4, v80, v33
	v_or_b32_e32 v119, v115, v114
	v_cndmask_b32_e64 v12, 0, v12, s4
	v_cmp_lt_i32_e64 s4, v71, v33
	v_cndmask_b32_e64 v0, 0, v0, s4
	v_cmp_lt_i32_e64 s4, v70, v33
	v_or_b32_e32 v115, v12, v0
	;; [unrolled: 5-line block ×3, first 2 shown]
	v_cndmask_b32_e64 v113, 0, v113, s4
	v_cmp_lt_i32_e64 s4, v14, v33
	v_cndmask_b32_e64 v6, 0, v6, s4
	v_or_b32_e32 v117, v113, v6
.LBB321_1785:                           ;   in Loop: Header=BB321_927 Depth=1
	s_or_b32 exec_lo, exec_lo, s12
	;;#ASMSTART
	v_pk_mul_f16 v0, v66, v119;

	;;#ASMEND
	;;#ASMSTART
	v_pk_mul_f16 v6, v64, v115;

	;;#ASMEND
	;; [unrolled: 4-line block ×4, first 2 shown]
	;;#ASMSTART
	v_pk_add_f16 v0, v0, v6;

	;;#ASMEND
	;;#ASMSTART
	v_pk_add_f16 v0, v0, v11;

	;;#ASMEND
	;; [unrolled: 4-line block ×3, first 2 shown]
	v_and_b32_e32 v6, 0xffff, v0
	v_lshrrev_b32_e32 v0, 16, v0
	;;#ASMSTART
	v_cvt_f32_f16 v11, v6;
	;;#ASMEND
	;;#ASMSTART
	v_cvt_f32_f16 v12, v0;
	;;#ASMEND
	flat_load_dwordx2 v[9:10], v[9:10] offset:1280
	flat_load_dword v113, v[26:27]
	v_mov_b32_e32 v114, 0
	v_mov_b32_e32 v115, 0
	s_waitcnt vmcnt(1) lgkmcnt(1)
	v_cmp_ne_u16_sdwa s4, v9, v1 src0_sel:BYTE_0 src1_sel:DWORD
	s_and_saveexec_b32 s12, s4
	s_cbranch_execz .LBB321_1793
; %bb.1786:                             ;   in Loop: Header=BB321_927 Depth=1
	v_cmp_ne_u16_sdwa s4, v9, v16 src0_sel:BYTE_0 src1_sel:DWORD
	v_mov_b32_e32 v115, 0x8000
	s_and_saveexec_b32 s13, s4
	s_cbranch_execz .LBB321_1792
; %bb.1787:                             ;   in Loop: Header=BB321_927 Depth=1
	v_and_b32_e32 v116, 0x7f, v9
	v_mov_b32_e32 v115, 0x7c01
	s_mov_b32 s15, exec_lo
	v_cmpx_ne_u32_e32 0x7f, v116
	s_cbranch_execz .LBB321_1791
; %bb.1788:                             ;   in Loop: Header=BB321_927 Depth=1
	v_and_b32_e32 v0, 7, v9
	v_lshrrev_b32_e32 v6, 3, v116
	s_mov_b32 s18, exec_lo
	v_cmpx_gt_u32_e32 8, v116
; %bb.1789:                             ;   in Loop: Header=BB321_927 Depth=1
	v_ffbh_u32_e32 v0, v0
	v_min_u32_e32 v0, 32, v0
	v_subrev_nc_u32_e32 v6, 28, v0
	v_lshlrev_b64 v[115:116], v6, v[9:10]
	v_sub_nc_u32_e32 v6, 29, v0
	v_and_b32_e32 v0, 7, v115
; %bb.1790:                             ;   in Loop: Header=BB321_927 Depth=1
	s_or_b32 exec_lo, exec_lo, s18
	v_lshlrev_b32_e32 v115, 8, v9
	v_lshl_add_u32 v6, v6, 10, 0x2000
	v_lshlrev_b32_e32 v0, 7, v0
	v_and_b32_e32 v115, 0x8000, v115
	v_and_b32_e32 v6, 0xfc00, v6
	v_or3_b32 v115, v115, v6, v0
.LBB321_1791:                           ;   in Loop: Header=BB321_927 Depth=1
	s_or_b32 exec_lo, exec_lo, s15
.LBB321_1792:                           ;   in Loop: Header=BB321_927 Depth=1
	s_or_b32 exec_lo, exec_lo, s13
.LBB321_1793:                           ;   in Loop: Header=BB321_927 Depth=1
	s_or_b32 exec_lo, exec_lo, s12
	v_lshrrev_b16 v0, 8, v9
	s_mov_b32 s12, exec_lo
	v_cmpx_ne_u16_e32 0, v0
	s_cbranch_execz .LBB321_1801
; %bb.1794:                             ;   in Loop: Header=BB321_927 Depth=1
	v_bfrev_b32_e32 v114, 1
	s_mov_b32 s13, exec_lo
	v_cmpx_ne_u16_e32 0x80, v0
	s_cbranch_execz .LBB321_1800
; %bb.1795:                             ;   in Loop: Header=BB321_927 Depth=1
	v_and_b32_sdwa v116, v0, v17 dst_sel:DWORD dst_unused:UNUSED_PAD src0_sel:WORD_0 src1_sel:DWORD
	v_mov_b32_e32 v114, 0x7c010000
	s_mov_b32 s15, exec_lo
	v_cmpx_ne_u32_e32 0x7f, v116
	s_cbranch_execz .LBB321_1799
; %bb.1796:                             ;   in Loop: Header=BB321_927 Depth=1
	v_and_b32_sdwa v6, v0, v37 dst_sel:DWORD dst_unused:UNUSED_PAD src0_sel:WORD_0 src1_sel:DWORD
	v_lshrrev_b32_e32 v114, 3, v116
	s_mov_b32 s18, exec_lo
	v_cmpx_gt_u32_e32 8, v116
; %bb.1797:                             ;   in Loop: Header=BB321_927 Depth=1
	v_ffbh_u32_e32 v6, v6
	v_min_u32_e32 v6, 32, v6
	v_subrev_nc_u32_e32 v114, 28, v6
	v_lshlrev_b64 v[116:117], v114, v[0:1]
	v_sub_nc_u32_e32 v114, 29, v6
	v_and_b32_e32 v6, 7, v116
; %bb.1798:                             ;   in Loop: Header=BB321_927 Depth=1
	s_or_b32 exec_lo, exec_lo, s18
	v_lshlrev_b32_sdwa v0, v52, v0 dst_sel:DWORD dst_unused:UNUSED_PAD src0_sel:DWORD src1_sel:WORD_0
	v_lshl_add_u32 v114, v114, 10, 0x2000
	v_lshlrev_b32_e32 v6, 23, v6
	v_and_or_b32 v0, 0x8000, v0, v114
	v_lshl_or_b32 v114, v0, 16, v6
.LBB321_1799:                           ;   in Loop: Header=BB321_927 Depth=1
	s_or_b32 exec_lo, exec_lo, s15
.LBB321_1800:                           ;   in Loop: Header=BB321_927 Depth=1
	s_or_b32 exec_lo, exec_lo, s13
.LBB321_1801:                           ;   in Loop: Header=BB321_927 Depth=1
	s_or_b32 exec_lo, exec_lo, s12
	v_lshrrev_b32_e32 v0, 16, v9
	v_mov_b32_e32 v6, 0
	v_mov_b32_e32 v116, 0
	v_cmp_ne_u16_sdwa s4, v0, v1 src0_sel:BYTE_0 src1_sel:DWORD
	s_and_saveexec_b32 s12, s4
	s_cbranch_execz .LBB321_1809
; %bb.1802:                             ;   in Loop: Header=BB321_927 Depth=1
	v_cmp_ne_u16_sdwa s4, v0, v16 src0_sel:BYTE_0 src1_sel:DWORD
	v_mov_b32_e32 v116, 0x8000
	s_and_saveexec_b32 s13, s4
	s_cbranch_execz .LBB321_1808
; %bb.1803:                             ;   in Loop: Header=BB321_927 Depth=1
	v_bfe_u32 v118, v9, 16, 7
	v_mov_b32_e32 v116, 0x7c01
	s_mov_b32 s15, exec_lo
	v_cmpx_ne_u32_e32 0x7f, v118
	s_cbranch_execz .LBB321_1807
; %bb.1804:                             ;   in Loop: Header=BB321_927 Depth=1
	v_and_b32_e32 v116, 7, v0
	v_lshrrev_b32_e32 v117, 3, v118
	s_mov_b32 s18, exec_lo
	v_cmpx_gt_u32_e32 8, v118
; %bb.1805:                             ;   in Loop: Header=BB321_927 Depth=1
	v_ffbh_u32_e32 v116, v116
	v_min_u32_e32 v118, 32, v116
	v_subrev_nc_u32_e32 v116, 28, v118
	v_lshlrev_b64 v[116:117], v116, v[0:1]
	v_sub_nc_u32_e32 v117, 29, v118
	v_and_b32_e32 v116, 7, v116
; %bb.1806:                             ;   in Loop: Header=BB321_927 Depth=1
	s_or_b32 exec_lo, exec_lo, s18
	v_lshlrev_b32_e32 v0, 8, v0
	v_lshl_add_u32 v117, v117, 10, 0x2000
	v_lshlrev_b32_e32 v116, 7, v116
	v_and_b32_e32 v0, 0x8000, v0
	v_and_b32_e32 v117, 0xfc00, v117
	v_or3_b32 v116, v0, v117, v116
.LBB321_1807:                           ;   in Loop: Header=BB321_927 Depth=1
	s_or_b32 exec_lo, exec_lo, s15
.LBB321_1808:                           ;   in Loop: Header=BB321_927 Depth=1
	s_or_b32 exec_lo, exec_lo, s13
.LBB321_1809:                           ;   in Loop: Header=BB321_927 Depth=1
	s_or_b32 exec_lo, exec_lo, s12
	s_mov_b32 s12, exec_lo
	v_cmpx_lt_u32_e32 0xffffff, v9
	s_cbranch_execz .LBB321_1817
; %bb.1810:                             ;   in Loop: Header=BB321_927 Depth=1
	v_lshrrev_b32_e32 v0, 24, v9
	v_bfrev_b32_e32 v6, 1
	s_mov_b32 s13, exec_lo
	v_cmpx_ne_u32_e32 0x80, v0
	s_cbranch_execz .LBB321_1816
; %bb.1811:                             ;   in Loop: Header=BB321_927 Depth=1
	v_and_b32_e32 v118, 0x7f, v0
	v_mov_b32_e32 v6, 0x7c010000
	s_mov_b32 s15, exec_lo
	v_cmpx_ne_u32_e32 0x7f, v118
	s_cbranch_execz .LBB321_1815
; %bb.1812:                             ;   in Loop: Header=BB321_927 Depth=1
	v_and_b32_e32 v6, 7, v0
	v_lshrrev_b32_e32 v117, 3, v118
	s_mov_b32 s18, exec_lo
	v_cmpx_gt_u32_e32 8, v118
; %bb.1813:                             ;   in Loop: Header=BB321_927 Depth=1
	v_ffbh_u32_e32 v6, v6
	v_min_u32_e32 v6, 32, v6
	v_subrev_nc_u32_e32 v117, 28, v6
	v_lshlrev_b64 v[118:119], v117, v[0:1]
	v_sub_nc_u32_e32 v117, 29, v6
	v_and_b32_e32 v6, 7, v118
; %bb.1814:                             ;   in Loop: Header=BB321_927 Depth=1
	s_or_b32 exec_lo, exec_lo, s18
	v_lshlrev_b32_e32 v0, 8, v0
	v_lshl_add_u32 v117, v117, 10, 0x2000
	v_lshlrev_b32_e32 v6, 23, v6
	v_and_or_b32 v0, 0x8000, v0, v117
	v_lshl_or_b32 v6, v0, 16, v6
.LBB321_1815:                           ;   in Loop: Header=BB321_927 Depth=1
	s_or_b32 exec_lo, exec_lo, s15
.LBB321_1816:                           ;   in Loop: Header=BB321_927 Depth=1
	s_or_b32 exec_lo, exec_lo, s13
.LBB321_1817:                           ;   in Loop: Header=BB321_927 Depth=1
	s_or_b32 exec_lo, exec_lo, s12
	v_mov_b32_e32 v0, v10
	v_cmp_ne_u16_sdwa s4, v10, v1 src0_sel:BYTE_0 src1_sel:DWORD
	v_mov_b32_e32 v117, 0
	v_mov_b32_e32 v118, 0
	s_and_saveexec_b32 s12, s4
	s_cbranch_execz .LBB321_1825
; %bb.1818:                             ;   in Loop: Header=BB321_927 Depth=1
	v_cmp_ne_u16_sdwa s4, v10, v16 src0_sel:BYTE_0 src1_sel:DWORD
	v_mov_b32_e32 v118, 0x8000
	s_and_saveexec_b32 s13, s4
	s_cbranch_execz .LBB321_1824
; %bb.1819:                             ;   in Loop: Header=BB321_927 Depth=1
	v_and_b32_e32 v40, 0x7f, v10
	v_mov_b32_e32 v118, 0x7c01
	s_mov_b32 s15, exec_lo
	v_cmpx_ne_u32_e32 0x7f, v40
	s_cbranch_execz .LBB321_1823
; %bb.1820:                             ;   in Loop: Header=BB321_927 Depth=1
	v_and_b32_e32 v118, 7, v10
	v_lshrrev_b32_e32 v119, 3, v40
	s_mov_b32 s18, exec_lo
	v_cmpx_gt_u32_e32 8, v40
; %bb.1821:                             ;   in Loop: Header=BB321_927 Depth=1
	v_ffbh_u32_e32 v118, v118
	v_min_u32_e32 v40, 32, v118
	v_subrev_nc_u32_e32 v118, 28, v40
	v_lshlrev_b64 v[118:119], v118, v[0:1]
	v_sub_nc_u32_e32 v119, 29, v40
	v_and_b32_e32 v118, 7, v118
; %bb.1822:                             ;   in Loop: Header=BB321_927 Depth=1
	s_or_b32 exec_lo, exec_lo, s18
	v_lshlrev_b32_e32 v40, 8, v10
	v_lshl_add_u32 v119, v119, 10, 0x2000
	v_lshlrev_b32_e32 v118, 7, v118
	v_and_b32_e32 v40, 0x8000, v40
	v_and_b32_e32 v119, 0xfc00, v119
	v_or3_b32 v118, v40, v119, v118
.LBB321_1823:                           ;   in Loop: Header=BB321_927 Depth=1
	s_or_b32 exec_lo, exec_lo, s15
.LBB321_1824:                           ;   in Loop: Header=BB321_927 Depth=1
	s_or_b32 exec_lo, exec_lo, s13
.LBB321_1825:                           ;   in Loop: Header=BB321_927 Depth=1
	s_or_b32 exec_lo, exec_lo, s12
	v_lshrrev_b16 v0, 8, v0
	v_mov_b32_e32 v119, 0
	s_mov_b32 s12, exec_lo
	v_cmpx_ne_u16_e32 0, v0
	s_cbranch_execz .LBB321_1833
; %bb.1826:                             ;   in Loop: Header=BB321_927 Depth=1
	v_bfrev_b32_e32 v119, 1
	s_mov_b32 s13, exec_lo
	v_cmpx_ne_u16_e32 0x80, v0
	s_cbranch_execz .LBB321_1832
; %bb.1827:                             ;   in Loop: Header=BB321_927 Depth=1
	v_and_b32_sdwa v41, v0, v17 dst_sel:DWORD dst_unused:UNUSED_PAD src0_sel:WORD_0 src1_sel:DWORD
	v_mov_b32_e32 v119, 0x7c010000
	s_mov_b32 s15, exec_lo
	v_cmpx_ne_u32_e32 0x7f, v41
	s_cbranch_execz .LBB321_1831
; %bb.1828:                             ;   in Loop: Header=BB321_927 Depth=1
	v_and_b32_sdwa v119, v0, v37 dst_sel:DWORD dst_unused:UNUSED_PAD src0_sel:WORD_0 src1_sel:DWORD
	v_lshrrev_b32_e32 v40, 3, v41
	s_mov_b32 s18, exec_lo
	v_cmpx_gt_u32_e32 8, v41
; %bb.1829:                             ;   in Loop: Header=BB321_927 Depth=1
	v_ffbh_u32_e32 v119, v119
	v_min_u32_e32 v119, 32, v119
	v_subrev_nc_u32_e32 v40, 28, v119
	v_lshlrev_b64 v[41:42], v40, v[0:1]
	v_sub_nc_u32_e32 v40, 29, v119
	v_and_b32_e32 v119, 7, v41
; %bb.1830:                             ;   in Loop: Header=BB321_927 Depth=1
	s_or_b32 exec_lo, exec_lo, s18
	v_lshlrev_b32_sdwa v0, v52, v0 dst_sel:DWORD dst_unused:UNUSED_PAD src0_sel:DWORD src1_sel:WORD_0
	v_lshl_add_u32 v40, v40, 10, 0x2000
	v_lshlrev_b32_e32 v119, 23, v119
	v_and_or_b32 v0, 0x8000, v0, v40
	v_lshl_or_b32 v119, v0, 16, v119
.LBB321_1831:                           ;   in Loop: Header=BB321_927 Depth=1
	s_or_b32 exec_lo, exec_lo, s15
.LBB321_1832:                           ;   in Loop: Header=BB321_927 Depth=1
	s_or_b32 exec_lo, exec_lo, s13
.LBB321_1833:                           ;   in Loop: Header=BB321_927 Depth=1
	s_or_b32 exec_lo, exec_lo, s12
	v_lshrrev_b32_e32 v0, 16, v10
	v_cmp_ne_u16_sdwa s4, v0, v1 src0_sel:BYTE_0 src1_sel:DWORD
	s_and_saveexec_b32 s12, s4
	s_cbranch_execz .LBB321_1841
; %bb.1834:                             ;   in Loop: Header=BB321_927 Depth=1
	v_cmp_ne_u16_sdwa s4, v0, v16 src0_sel:BYTE_0 src1_sel:DWORD
	v_mov_b32_e32 v117, 0x8000
	s_and_saveexec_b32 s13, s4
	s_cbranch_execz .LBB321_1840
; %bb.1835:                             ;   in Loop: Header=BB321_927 Depth=1
	v_bfe_u32 v41, v10, 16, 7
	v_mov_b32_e32 v117, 0x7c01
	s_mov_b32 s15, exec_lo
	v_cmpx_ne_u32_e32 0x7f, v41
	s_cbranch_execz .LBB321_1839
; %bb.1836:                             ;   in Loop: Header=BB321_927 Depth=1
	v_and_b32_e32 v117, 7, v0
	v_lshrrev_b32_e32 v40, 3, v41
	s_mov_b32 s18, exec_lo
	v_cmpx_gt_u32_e32 8, v41
; %bb.1837:                             ;   in Loop: Header=BB321_927 Depth=1
	v_ffbh_u32_e32 v117, v117
	v_min_u32_e32 v117, 32, v117
	v_subrev_nc_u32_e32 v40, 28, v117
	v_lshlrev_b64 v[41:42], v40, v[0:1]
	v_sub_nc_u32_e32 v40, 29, v117
	v_and_b32_e32 v117, 7, v41
; %bb.1838:                             ;   in Loop: Header=BB321_927 Depth=1
	s_or_b32 exec_lo, exec_lo, s18
	v_lshlrev_b32_e32 v0, 8, v0
	v_lshl_add_u32 v40, v40, 10, 0x2000
	v_lshlrev_b32_e32 v117, 7, v117
	v_and_b32_e32 v0, 0x8000, v0
	v_and_b32_e32 v40, 0xfc00, v40
	v_or3_b32 v117, v0, v40, v117
.LBB321_1839:                           ;   in Loop: Header=BB321_927 Depth=1
	s_or_b32 exec_lo, exec_lo, s15
.LBB321_1840:                           ;   in Loop: Header=BB321_927 Depth=1
	s_or_b32 exec_lo, exec_lo, s13
.LBB321_1841:                           ;   in Loop: Header=BB321_927 Depth=1
	s_or_b32 exec_lo, exec_lo, s12
	v_cmp_lt_u64_e64 s4, s[8:9], v[9:10]
	v_mov_b32_e32 v9, 0
	s_and_saveexec_b32 s12, s4
	s_cbranch_execz .LBB321_1849
; %bb.1842:                             ;   in Loop: Header=BB321_927 Depth=1
	v_lshrrev_b32_e32 v0, 24, v10
	v_bfrev_b32_e32 v9, 1
	s_mov_b32 s13, exec_lo
	v_cmpx_ne_u32_e32 0x80, v0
	s_cbranch_execz .LBB321_1848
; %bb.1843:                             ;   in Loop: Header=BB321_927 Depth=1
	v_and_b32_e32 v40, 0x7f, v0
	v_mov_b32_e32 v9, 0x7c010000
	s_mov_b32 s15, exec_lo
	v_cmpx_ne_u32_e32 0x7f, v40
	s_cbranch_execz .LBB321_1847
; %bb.1844:                             ;   in Loop: Header=BB321_927 Depth=1
	v_and_b32_e32 v9, 7, v0
	v_lshrrev_b32_e32 v10, 3, v40
	s_mov_b32 s18, exec_lo
	v_cmpx_gt_u32_e32 8, v40
; %bb.1845:                             ;   in Loop: Header=BB321_927 Depth=1
	v_ffbh_u32_e32 v9, v9
	v_min_u32_e32 v40, 32, v9
	v_subrev_nc_u32_e32 v9, 28, v40
	v_lshlrev_b64 v[9:10], v9, v[0:1]
	v_sub_nc_u32_e32 v10, 29, v40
	v_and_b32_e32 v9, 7, v9
; %bb.1846:                             ;   in Loop: Header=BB321_927 Depth=1
	s_or_b32 exec_lo, exec_lo, s18
	v_lshlrev_b32_e32 v0, 8, v0
	v_lshl_add_u32 v10, v10, 10, 0x2000
	v_lshlrev_b32_e32 v9, 23, v9
	v_and_or_b32 v0, 0x8000, v0, v10
	v_lshl_or_b32 v9, v0, 16, v9
.LBB321_1847:                           ;   in Loop: Header=BB321_927 Depth=1
	s_or_b32 exec_lo, exec_lo, s15
.LBB321_1848:                           ;   in Loop: Header=BB321_927 Depth=1
	s_or_b32 exec_lo, exec_lo, s13
.LBB321_1849:                           ;   in Loop: Header=BB321_927 Depth=1
	s_or_b32 exec_lo, exec_lo, s12
	v_or_b32_e32 v0, v6, v116
	s_waitcnt vmcnt(0) lgkmcnt(0)
	v_fma_mixlo_f16 v6, v113, v6, 0 op_sel:[0,1,0] op_sel_hi:[0,1,0]
	v_or_b32_e32 v10, v114, v115
	v_fma_mixlo_f16 v115, v113, v114, 0 op_sel:[0,1,0] op_sel_hi:[0,1,0]
	v_or_b32_e32 v116, v119, v118
	v_fma_mixlo_f16 v0, v113, v0, 0 op_sel_hi:[0,1,0]
	v_or_b32_e32 v117, v9, v117
	v_lshlrev_b32_e32 v114, 16, v6
	v_lshlrev_b32_e32 v118, 16, v115
	v_fma_mixlo_f16 v6, v113, v10, 0 op_sel_hi:[0,1,0]
	v_and_b32_e32 v115, 0xffff, v0
	v_fma_mixlo_f16 v0, v113, v119, 0 op_sel:[0,1,0] op_sel_hi:[0,1,0]
	v_fma_mixlo_f16 v10, v113, v116, 0 op_sel_hi:[0,1,0]
	v_fma_mixlo_f16 v9, v113, v9, 0 op_sel:[0,1,0] op_sel_hi:[0,1,0]
	v_fma_mixlo_f16 v117, v113, v117, 0 op_sel_hi:[0,1,0]
	v_and_b32_e32 v40, 0xffff, v6
	v_lshlrev_b32_e32 v116, 16, v0
	v_and_b32_e32 v119, 0xffff, v10
	v_lshlrev_b32_e32 v113, 16, v9
	v_and_b32_e32 v117, 0xffff, v117
	v_or_b32_e32 v0, v114, v115
	v_or_b32_e32 v10, v118, v40
	;; [unrolled: 1-line block ×4, first 2 shown]
	s_and_saveexec_b32 s4, vcc_lo
	s_cbranch_execz .LBB321_926
; %bb.1850:                             ;   in Loop: Header=BB321_927 Depth=1
	v_cmp_lt_i32_e32 vcc_lo, v53, v33
	v_cndmask_b32_e32 v0, 0, v40, vcc_lo
	v_cmp_lt_i32_e32 vcc_lo, v81, v33
	v_cndmask_b32_e32 v6, 0, v118, vcc_lo
	v_cmp_lt_i32_e32 vcc_lo, v80, v33
	v_or_b32_e32 v10, v0, v6
	v_cndmask_b32_e32 v9, 0, v115, vcc_lo
	v_cmp_lt_i32_e32 vcc_lo, v71, v33
	v_cndmask_b32_e32 v53, 0, v114, vcc_lo
	v_cmp_lt_i32_e32 vcc_lo, v70, v33
	v_or_b32_e32 v0, v9, v53
	;; [unrolled: 5-line block ×3, first 2 shown]
	v_cndmask_b32_e32 v68, 0, v117, vcc_lo
	v_cmp_lt_i32_e32 vcc_lo, v14, v33
	v_cndmask_b32_e32 v71, 0, v113, vcc_lo
	v_or_b32_e32 v6, v68, v71
	s_branch .LBB321_926
.LBB321_1851:
	s_or_b32 exec_lo, exec_lo, s11
	v_mov_b32_e32 v0, s16
	v_mov_b32_e32 v1, s17
.LBB321_1852:
	s_or_b32 exec_lo, exec_lo, s7
	ds_bpermute_b32 v11, v18, v24
	s_waitcnt vmcnt(0) lgkmcnt(0)
	s_waitcnt_vscnt null, 0x0
	s_barrier
	buffer_gl0_inv
	v_lshlrev_b64 v[0:1], 2, v[0:1]
	s_getpc_b64 s[8:9]
	s_add_u32 s8, s8, llvm.amdgcn.dynlds.offset.table@rel32@lo+4
	s_addc_u32 s9, s9, llvm.amdgcn.dynlds.offset.table@rel32@hi+12
	ds_bpermute_b32 v2, v18, v50
	ds_bpermute_b32 v3, v18, v49
	;; [unrolled: 1-line block ×4, first 2 shown]
	v_add_co_u32 v0, vcc_lo, s8, v0
	v_add_co_ci_u32_e64 v1, null, s9, v1, vcc_lo
	ds_bpermute_b32 v6, v18, v31
	ds_bpermute_b32 v7, v18, v30
	;; [unrolled: 1-line block ×3, first 2 shown]
	global_load_dword v14, v[0:1], off
	ds_bpermute_b32 v0, v18, v48
	ds_bpermute_b32 v1, v18, v51
	v_add_f32_e32 v24, v24, v11
	buffer_load_dword v11, off, s[0:3], s32 offset:288 ; 4-byte Folded Reload
	ds_bpermute_b32 v9, v18, v28
	ds_bpermute_b32 v10, v18, v25
	ds_bpermute_b32 v12, v18, v21
	ds_bpermute_b32 v15, v18, v20
	s_waitcnt lgkmcnt(12)
	v_add_f32_e32 v2, v50, v2
	s_waitcnt lgkmcnt(11)
	v_add_f32_e32 v3, v49, v3
	;; [unrolled: 2-line block ×4, first 2 shown]
	ds_bpermute_b32 v32, v13, v24
	v_and_b32_e32 v36, 0x3c3, v43
	s_mov_b32 s4, exec_lo
	s_waitcnt lgkmcnt(9)
	v_add_f32_e32 v6, v31, v6
	s_waitcnt lgkmcnt(8)
	v_add_f32_e32 v18, v30, v7
	;; [unrolled: 2-line block ×3, first 2 shown]
	ds_bpermute_b32 v26, v13, v5
	s_waitcnt lgkmcnt(7)
	v_add_f32_e32 v0, v48, v0
	s_waitcnt lgkmcnt(6)
	v_add_f32_e32 v1, v51, v1
	ds_bpermute_b32 v27, v13, v6
	ds_bpermute_b32 v29, v13, v22
	s_waitcnt lgkmcnt(7)
	v_add_f32_e32 v23, v28, v9
	s_waitcnt lgkmcnt(6)
	v_add_f32_e32 v25, v25, v10
	;; [unrolled: 2-line block ×4, first 2 shown]
	ds_bpermute_b32 v7, v13, v0
	ds_bpermute_b32 v8, v13, v1
	;; [unrolled: 1-line block ×10, first 2 shown]
	s_waitcnt lgkmcnt(9)
	v_add_f32_e32 v13, v0, v7
	s_waitcnt lgkmcnt(8)
	v_add_f32_e32 v12, v1, v8
	v_add_f32_e32 v8, v5, v26
	s_waitcnt lgkmcnt(6)
	v_add_f32_e32 v10, v3, v10
	;; [unrolled: 3-line block ×4, first 2 shown]
	s_waitcnt lgkmcnt(1)
	v_add_f32_e32 v1, v21, v33
	s_waitcnt lgkmcnt(0)
	v_add_f32_e32 v0, v15, v34
	s_waitcnt vmcnt(0)
	v_lshrrev_b32_e32 v16, 2, v11
	v_and_b32_e32 v35, 28, v11
	buffer_load_dword v11, off, s[0:3], s32 offset:292 ; 4-byte Folded Reload
	v_add_nc_u32_e32 v15, v14, v35
	s_waitcnt vmcnt(0)
	v_mul_u32_u24_e32 v17, 0x1c0, v11
	v_add_f32_e32 v11, v2, v9
	v_add_f32_e32 v9, v4, v20
	;; [unrolled: 1-line block ×4, first 2 shown]
	v_cmpx_eq_u32_e32 64, v36
	s_cbranch_execz .LBB321_1854
; %bb.1853:
	v_add_nc_u32_e32 v18, v15, v17
	v_add_nc_u32_e32 v20, 0xfffffc80, v18
	;; [unrolled: 1-line block ×7, first 2 shown]
	ds_write_b32 v20, v13
	ds_write_b32 v21, v12
	ds_write_b32 v22, v11
	ds_write_b32 v23, v10
	v_add_nc_u32_e32 v20, 0xfffffd40, v18
	v_add_nc_u32_e32 v21, 0xfffffd60, v18
	;; [unrolled: 1-line block ×3, first 2 shown]
	ds_write_b32 v24, v9
	ds_write_b32 v25, v8
	;; [unrolled: 1-line block ×5, first 2 shown]
	v_add_nc_u32_e32 v20, 0xfffffda0, v18
	v_add_nc_u32_e32 v21, 0xfffffdc0, v18
	;; [unrolled: 1-line block ×5, first 2 shown]
	ds_write_b32 v20, v4
	ds_write_b32 v21, v3
	;; [unrolled: 1-line block ×5, first 2 shown]
.LBB321_1854:
	s_or_b32 exec_lo, exec_lo, s4
	v_lshlrev_b32_e32 v16, 2, v16
	s_mov_b32 s7, exec_lo
	v_cmp_eq_u32_e32 vcc_lo, 0, v19
	s_waitcnt lgkmcnt(0)
	s_barrier
	v_add3_u32 v14, v14, v17, v16
	buffer_gl0_inv
	v_cmpx_gt_u32_e32 64, v43
	s_cbranch_execz .LBB321_1871
; %bb.1855:
	s_and_saveexec_b32 s4, vcc_lo
	s_cbranch_execnz .LBB321_1893
; %bb.1856:
	s_or_b32 exec_lo, exec_lo, s4
	s_and_saveexec_b32 s4, vcc_lo
	s_cbranch_execnz .LBB321_1894
.LBB321_1857:
	s_or_b32 exec_lo, exec_lo, s4
	s_and_saveexec_b32 s4, vcc_lo
	s_cbranch_execnz .LBB321_1895
.LBB321_1858:
	s_or_b32 exec_lo, exec_lo, s4
	s_and_saveexec_b32 s4, vcc_lo
	s_cbranch_execnz .LBB321_1896
.LBB321_1859:
	s_or_b32 exec_lo, exec_lo, s4
	s_and_saveexec_b32 s4, vcc_lo
	s_cbranch_execnz .LBB321_1897
.LBB321_1860:
	s_or_b32 exec_lo, exec_lo, s4
	s_and_saveexec_b32 s4, vcc_lo
	s_cbranch_execnz .LBB321_1898
.LBB321_1861:
	s_or_b32 exec_lo, exec_lo, s4
	s_and_saveexec_b32 s4, vcc_lo
	s_cbranch_execnz .LBB321_1899
.LBB321_1862:
	s_or_b32 exec_lo, exec_lo, s4
	s_and_saveexec_b32 s4, vcc_lo
	s_cbranch_execnz .LBB321_1900
.LBB321_1863:
	s_or_b32 exec_lo, exec_lo, s4
	s_and_saveexec_b32 s4, vcc_lo
	s_cbranch_execnz .LBB321_1901
.LBB321_1864:
	s_or_b32 exec_lo, exec_lo, s4
	s_and_saveexec_b32 s4, vcc_lo
	s_cbranch_execnz .LBB321_1902
.LBB321_1865:
	s_or_b32 exec_lo, exec_lo, s4
	s_and_saveexec_b32 s4, vcc_lo
	s_cbranch_execnz .LBB321_1903
.LBB321_1866:
	s_or_b32 exec_lo, exec_lo, s4
	s_and_saveexec_b32 s4, vcc_lo
	s_cbranch_execnz .LBB321_1904
.LBB321_1867:
	s_or_b32 exec_lo, exec_lo, s4
	s_and_saveexec_b32 s4, vcc_lo
	s_cbranch_execnz .LBB321_1905
.LBB321_1868:
	s_or_b32 exec_lo, exec_lo, s4
	s_and_saveexec_b32 s4, vcc_lo
	s_cbranch_execz .LBB321_1870
.LBB321_1869:
	ds_read_b32 v16, v14 offset:416
	s_waitcnt lgkmcnt(0)
	v_add_f32_e32 v0, v16, v0
.LBB321_1870:
	s_or_b32 exec_lo, exec_lo, s4
.LBB321_1871:
	s_or_b32 exec_lo, exec_lo, s7
	v_and_b32_e32 v16, 0x3e3, v43
	s_mov_b32 s7, exec_lo
	s_barrier
	buffer_gl0_inv
	v_cmpx_eq_u32_e32 32, v16
	s_cbranch_execz .LBB321_1873
; %bb.1872:
	ds_write2_b32 v15, v13, v12 offset1:8
	ds_write2_b32 v15, v11, v10 offset0:16 offset1:24
	ds_write2_b32 v15, v9, v8 offset0:32 offset1:40
	;; [unrolled: 1-line block ×6, first 2 shown]
.LBB321_1873:
	s_or_b32 exec_lo, exec_lo, s7
	s_mov_b32 s7, exec_lo
	s_waitcnt lgkmcnt(0)
	s_barrier
	buffer_gl0_inv
	v_cmpx_gt_u32_e32 32, v43
	s_cbranch_execz .LBB321_1890
; %bb.1874:
	s_and_saveexec_b32 s4, vcc_lo
	s_cbranch_execnz .LBB321_1906
; %bb.1875:
	s_or_b32 exec_lo, exec_lo, s4
	s_and_saveexec_b32 s4, vcc_lo
	s_cbranch_execnz .LBB321_1907
.LBB321_1876:
	s_or_b32 exec_lo, exec_lo, s4
	s_and_saveexec_b32 s4, vcc_lo
	s_cbranch_execnz .LBB321_1908
.LBB321_1877:
	s_or_b32 exec_lo, exec_lo, s4
	s_and_saveexec_b32 s4, vcc_lo
	s_cbranch_execnz .LBB321_1909
.LBB321_1878:
	s_or_b32 exec_lo, exec_lo, s4
	s_and_saveexec_b32 s4, vcc_lo
	s_cbranch_execnz .LBB321_1910
.LBB321_1879:
	s_or_b32 exec_lo, exec_lo, s4
	s_and_saveexec_b32 s4, vcc_lo
	s_cbranch_execnz .LBB321_1911
.LBB321_1880:
	s_or_b32 exec_lo, exec_lo, s4
	s_and_saveexec_b32 s4, vcc_lo
	s_cbranch_execnz .LBB321_1912
.LBB321_1881:
	s_or_b32 exec_lo, exec_lo, s4
	s_and_saveexec_b32 s4, vcc_lo
	s_cbranch_execnz .LBB321_1913
.LBB321_1882:
	s_or_b32 exec_lo, exec_lo, s4
	s_and_saveexec_b32 s4, vcc_lo
	s_cbranch_execnz .LBB321_1914
.LBB321_1883:
	s_or_b32 exec_lo, exec_lo, s4
	s_and_saveexec_b32 s4, vcc_lo
	s_cbranch_execnz .LBB321_1915
.LBB321_1884:
	s_or_b32 exec_lo, exec_lo, s4
	s_and_saveexec_b32 s4, vcc_lo
	s_cbranch_execnz .LBB321_1916
.LBB321_1885:
	s_or_b32 exec_lo, exec_lo, s4
	s_and_saveexec_b32 s4, vcc_lo
	s_cbranch_execnz .LBB321_1917
.LBB321_1886:
	s_or_b32 exec_lo, exec_lo, s4
	s_and_saveexec_b32 s4, vcc_lo
	s_cbranch_execnz .LBB321_1918
.LBB321_1887:
	s_or_b32 exec_lo, exec_lo, s4
	s_and_saveexec_b32 s4, vcc_lo
	s_cbranch_execz .LBB321_1889
.LBB321_1888:
	ds_read_b32 v14, v14 offset:416
	s_waitcnt lgkmcnt(0)
	v_add_f32_e32 v0, v14, v0
.LBB321_1889:
	s_or_b32 exec_lo, exec_lo, s4
.LBB321_1890:
	s_or_b32 exec_lo, exec_lo, s7
	v_cmp_eq_u32_e32 vcc_lo, 0, v16
	s_barrier
	buffer_gl0_inv
	s_and_b32 exec_lo, exec_lo, vcc_lo
	s_cbranch_execz .LBB321_1892
; %bb.1891:
	s_clause 0x1
	buffer_load_dword v14, off, s[0:3], s32 offset:308
	buffer_load_dword v15, off, s[0:3], s32 offset:304
	s_mulk_i32 s6, 0x70
	s_mul_i32 s4, s10, s5
	s_ashr_i32 s7, s6, 31
	s_ashr_i32 s5, s4, 31
	s_lshl_b64 s[6:7], s[6:7], 1
	s_lshl_b64 s[4:5], s[4:5], 1
	v_lshrrev_b32_e32 v16, 1, v43
	;;#ASMSTART
	v_cvt_f16_f32 v13, v13;

	;;#ASMEND
	s_waitcnt vmcnt(1)
	v_add_co_u32 v14, vcc_lo, v14, s6
	s_waitcnt vmcnt(0)
	v_add_co_ci_u32_e64 v15, null, s7, v15, vcc_lo
	s_mul_i32 s6, s14, 0x70
	v_add_co_u32 v14, vcc_lo, v14, s4
	s_ashr_i32 s7, s6, 31
	v_add_co_ci_u32_e64 v15, null, s5, v15, vcc_lo
	s_lshl_b64 s[4:5], s[6:7], 1
	v_add_co_u32 v14, vcc_lo, v14, s4
	v_add_co_ci_u32_e64 v15, null, s5, v15, vcc_lo
	v_add_co_u32 v14, vcc_lo, v14, v16
	v_add_co_ci_u32_e64 v15, null, 0, v15, vcc_lo
	flat_store_short v[14:15], v13
	;;#ASMSTART
	v_cvt_f16_f32 v12, v12;

	;;#ASMEND
	flat_store_short v[14:15], v12 offset:16
	;;#ASMSTART
	v_cvt_f16_f32 v11, v11;

	;;#ASMEND
	flat_store_short v[14:15], v11 offset:32
	;; [unrolled: 5-line block ×13, first 2 shown]
.LBB321_1892:
	s_or_b32 exec_lo, exec_lo, s19
	s_clause 0x2f
	buffer_load_dword v127, off, s[0:3], s32
	buffer_load_dword v126, off, s[0:3], s32 offset:4
	buffer_load_dword v125, off, s[0:3], s32 offset:8
	;; [unrolled: 1-line block ×47, first 2 shown]
	s_waitcnt vmcnt(0) lgkmcnt(0)
	s_setpc_b64 s[30:31]
.LBB321_1893:
	ds_read_b32 v16, v14
	s_waitcnt lgkmcnt(0)
	v_add_f32_e32 v13, v16, v13
	s_or_b32 exec_lo, exec_lo, s4
	s_and_saveexec_b32 s4, vcc_lo
	s_cbranch_execz .LBB321_1857
.LBB321_1894:
	ds_read_b32 v16, v14 offset:32
	s_waitcnt lgkmcnt(0)
	v_add_f32_e32 v12, v16, v12
	s_or_b32 exec_lo, exec_lo, s4
	s_and_saveexec_b32 s4, vcc_lo
	s_cbranch_execz .LBB321_1858
.LBB321_1895:
	ds_read_b32 v16, v14 offset:64
	s_waitcnt lgkmcnt(0)
	v_add_f32_e32 v11, v16, v11
	s_or_b32 exec_lo, exec_lo, s4
	s_and_saveexec_b32 s4, vcc_lo
	s_cbranch_execz .LBB321_1859
.LBB321_1896:
	ds_read_b32 v16, v14 offset:96
	s_waitcnt lgkmcnt(0)
	v_add_f32_e32 v10, v16, v10
	s_or_b32 exec_lo, exec_lo, s4
	s_and_saveexec_b32 s4, vcc_lo
	s_cbranch_execz .LBB321_1860
.LBB321_1897:
	ds_read_b32 v16, v14 offset:128
	s_waitcnt lgkmcnt(0)
	v_add_f32_e32 v9, v16, v9
	s_or_b32 exec_lo, exec_lo, s4
	s_and_saveexec_b32 s4, vcc_lo
	s_cbranch_execz .LBB321_1861
.LBB321_1898:
	ds_read_b32 v16, v14 offset:160
	s_waitcnt lgkmcnt(0)
	v_add_f32_e32 v8, v16, v8
	s_or_b32 exec_lo, exec_lo, s4
	s_and_saveexec_b32 s4, vcc_lo
	s_cbranch_execz .LBB321_1862
.LBB321_1899:
	ds_read_b32 v16, v14 offset:192
	s_waitcnt lgkmcnt(0)
	v_add_f32_e32 v7, v16, v7
	s_or_b32 exec_lo, exec_lo, s4
	s_and_saveexec_b32 s4, vcc_lo
	s_cbranch_execz .LBB321_1863
.LBB321_1900:
	ds_read_b32 v16, v14 offset:224
	s_waitcnt lgkmcnt(0)
	v_add_f32_e32 v6, v16, v6
	s_or_b32 exec_lo, exec_lo, s4
	s_and_saveexec_b32 s4, vcc_lo
	s_cbranch_execz .LBB321_1864
.LBB321_1901:
	ds_read_b32 v16, v14 offset:256
	s_waitcnt lgkmcnt(0)
	v_add_f32_e32 v5, v16, v5
	s_or_b32 exec_lo, exec_lo, s4
	s_and_saveexec_b32 s4, vcc_lo
	s_cbranch_execz .LBB321_1865
.LBB321_1902:
	ds_read_b32 v16, v14 offset:288
	s_waitcnt lgkmcnt(0)
	v_add_f32_e32 v4, v16, v4
	s_or_b32 exec_lo, exec_lo, s4
	s_and_saveexec_b32 s4, vcc_lo
	s_cbranch_execz .LBB321_1866
.LBB321_1903:
	ds_read_b32 v16, v14 offset:320
	s_waitcnt lgkmcnt(0)
	v_add_f32_e32 v3, v16, v3
	s_or_b32 exec_lo, exec_lo, s4
	s_and_saveexec_b32 s4, vcc_lo
	s_cbranch_execz .LBB321_1867
.LBB321_1904:
	ds_read_b32 v16, v14 offset:352
	s_waitcnt lgkmcnt(0)
	v_add_f32_e32 v2, v16, v2
	s_or_b32 exec_lo, exec_lo, s4
	s_and_saveexec_b32 s4, vcc_lo
	s_cbranch_execz .LBB321_1868
.LBB321_1905:
	ds_read_b32 v16, v14 offset:384
	s_waitcnt lgkmcnt(0)
	v_add_f32_e32 v1, v16, v1
	s_or_b32 exec_lo, exec_lo, s4
	s_and_saveexec_b32 s4, vcc_lo
	s_cbranch_execnz .LBB321_1869
	s_branch .LBB321_1870
.LBB321_1906:
	ds_read_b32 v15, v14
	s_waitcnt lgkmcnt(0)
	v_add_f32_e32 v13, v15, v13
	s_or_b32 exec_lo, exec_lo, s4
	s_and_saveexec_b32 s4, vcc_lo
	s_cbranch_execz .LBB321_1876
.LBB321_1907:
	ds_read_b32 v15, v14 offset:32
	s_waitcnt lgkmcnt(0)
	v_add_f32_e32 v12, v15, v12
	s_or_b32 exec_lo, exec_lo, s4
	s_and_saveexec_b32 s4, vcc_lo
	s_cbranch_execz .LBB321_1877
.LBB321_1908:
	ds_read_b32 v15, v14 offset:64
	s_waitcnt lgkmcnt(0)
	v_add_f32_e32 v11, v15, v11
	s_or_b32 exec_lo, exec_lo, s4
	s_and_saveexec_b32 s4, vcc_lo
	s_cbranch_execz .LBB321_1878
.LBB321_1909:
	ds_read_b32 v15, v14 offset:96
	s_waitcnt lgkmcnt(0)
	v_add_f32_e32 v10, v15, v10
	s_or_b32 exec_lo, exec_lo, s4
	s_and_saveexec_b32 s4, vcc_lo
	s_cbranch_execz .LBB321_1879
.LBB321_1910:
	ds_read_b32 v15, v14 offset:128
	s_waitcnt lgkmcnt(0)
	v_add_f32_e32 v9, v15, v9
	s_or_b32 exec_lo, exec_lo, s4
	s_and_saveexec_b32 s4, vcc_lo
	s_cbranch_execz .LBB321_1880
.LBB321_1911:
	ds_read_b32 v15, v14 offset:160
	s_waitcnt lgkmcnt(0)
	v_add_f32_e32 v8, v15, v8
	s_or_b32 exec_lo, exec_lo, s4
	s_and_saveexec_b32 s4, vcc_lo
	s_cbranch_execz .LBB321_1881
.LBB321_1912:
	ds_read_b32 v15, v14 offset:192
	s_waitcnt lgkmcnt(0)
	v_add_f32_e32 v7, v15, v7
	s_or_b32 exec_lo, exec_lo, s4
	s_and_saveexec_b32 s4, vcc_lo
	s_cbranch_execz .LBB321_1882
.LBB321_1913:
	ds_read_b32 v15, v14 offset:224
	s_waitcnt lgkmcnt(0)
	v_add_f32_e32 v6, v15, v6
	s_or_b32 exec_lo, exec_lo, s4
	s_and_saveexec_b32 s4, vcc_lo
	s_cbranch_execz .LBB321_1883
.LBB321_1914:
	ds_read_b32 v15, v14 offset:256
	s_waitcnt lgkmcnt(0)
	v_add_f32_e32 v5, v15, v5
	s_or_b32 exec_lo, exec_lo, s4
	s_and_saveexec_b32 s4, vcc_lo
	s_cbranch_execz .LBB321_1884
.LBB321_1915:
	ds_read_b32 v15, v14 offset:288
	s_waitcnt lgkmcnt(0)
	v_add_f32_e32 v4, v15, v4
	s_or_b32 exec_lo, exec_lo, s4
	s_and_saveexec_b32 s4, vcc_lo
	s_cbranch_execz .LBB321_1885
.LBB321_1916:
	ds_read_b32 v15, v14 offset:320
	s_waitcnt lgkmcnt(0)
	v_add_f32_e32 v3, v15, v3
	s_or_b32 exec_lo, exec_lo, s4
	s_and_saveexec_b32 s4, vcc_lo
	s_cbranch_execz .LBB321_1886
.LBB321_1917:
	ds_read_b32 v15, v14 offset:352
	s_waitcnt lgkmcnt(0)
	v_add_f32_e32 v2, v15, v2
	s_or_b32 exec_lo, exec_lo, s4
	s_and_saveexec_b32 s4, vcc_lo
	s_cbranch_execz .LBB321_1887
.LBB321_1918:
	ds_read_b32 v15, v14 offset:384
	s_waitcnt lgkmcnt(0)
	v_add_f32_e32 v1, v15, v1
	s_or_b32 exec_lo, exec_lo, s4
	s_and_saveexec_b32 s4, vcc_lo
	s_cbranch_execnz .LBB321_1888
	s_branch .LBB321_1889
.Lfunc_end321:
	.size	_ZN4vllm22paged_attention_kernelIthLi112ELi32ELi128ELNS_18Fp8KVCacheDataTypeE1ELb0ELi512EEEvPfS2_PT_PKS3_PKT0_S9_ifPKiSB_iPKfiiiSD_SD_iiiii, .Lfunc_end321-_ZN4vllm22paged_attention_kernelIthLi112ELi32ELi128ELNS_18Fp8KVCacheDataTypeE1ELb0ELi512EEEvPfS2_PT_PKS3_PKT0_S9_ifPKiSB_iPKfiiiSD_SD_iiiii
                                        ; -- End function
	.set .L_ZN4vllm22paged_attention_kernelIthLi112ELi32ELi128ELNS_18Fp8KVCacheDataTypeE1ELb0ELi512EEEvPfS2_PT_PKS3_PKT0_S9_ifPKiSB_iPKfiiiSD_SD_iiiii.num_vgpr, 128
	.set .L_ZN4vllm22paged_attention_kernelIthLi112ELi32ELi128ELNS_18Fp8KVCacheDataTypeE1ELb0ELi512EEEvPfS2_PT_PKS3_PKT0_S9_ifPKiSB_iPKfiiiSD_SD_iiiii.num_agpr, 0
	.set .L_ZN4vllm22paged_attention_kernelIthLi112ELi32ELi128ELNS_18Fp8KVCacheDataTypeE1ELb0ELi512EEEvPfS2_PT_PKS3_PKT0_S9_ifPKiSB_iPKfiiiSD_SD_iiiii.numbered_sgpr, 33
	.set .L_ZN4vllm22paged_attention_kernelIthLi112ELi32ELi128ELNS_18Fp8KVCacheDataTypeE1ELb0ELi512EEEvPfS2_PT_PKS3_PKT0_S9_ifPKiSB_iPKfiiiSD_SD_iiiii.num_named_barrier, 0
	.set .L_ZN4vllm22paged_attention_kernelIthLi112ELi32ELi128ELNS_18Fp8KVCacheDataTypeE1ELb0ELi512EEEvPfS2_PT_PKS3_PKT0_S9_ifPKiSB_iPKfiiiSD_SD_iiiii.private_seg_size, 368
	.set .L_ZN4vllm22paged_attention_kernelIthLi112ELi32ELi128ELNS_18Fp8KVCacheDataTypeE1ELb0ELi512EEEvPfS2_PT_PKS3_PKT0_S9_ifPKiSB_iPKfiiiSD_SD_iiiii.uses_vcc, 1
	.set .L_ZN4vllm22paged_attention_kernelIthLi112ELi32ELi128ELNS_18Fp8KVCacheDataTypeE1ELb0ELi512EEEvPfS2_PT_PKS3_PKT0_S9_ifPKiSB_iPKfiiiSD_SD_iiiii.uses_flat_scratch, 0
	.set .L_ZN4vllm22paged_attention_kernelIthLi112ELi32ELi128ELNS_18Fp8KVCacheDataTypeE1ELb0ELi512EEEvPfS2_PT_PKS3_PKT0_S9_ifPKiSB_iPKfiiiSD_SD_iiiii.has_dyn_sized_stack, 0
	.set .L_ZN4vllm22paged_attention_kernelIthLi112ELi32ELi128ELNS_18Fp8KVCacheDataTypeE1ELb0ELi512EEEvPfS2_PT_PKS3_PKT0_S9_ifPKiSB_iPKfiiiSD_SD_iiiii.has_recursion, 0
	.set .L_ZN4vllm22paged_attention_kernelIthLi112ELi32ELi128ELNS_18Fp8KVCacheDataTypeE1ELb0ELi512EEEvPfS2_PT_PKS3_PKT0_S9_ifPKiSB_iPKfiiiSD_SD_iiiii.has_indirect_call, 0
	.section	.AMDGPU.csdata,"",@progbits
; Function info:
; codeLenInByte = 63908
; TotalNumSgprs: 35
; NumVgprs: 128
; ScratchSize: 368
; MemoryBound: 0
	.section	.text._ZN4vllm25paged_attention_v2_kernelIthLi112ELi32ELi128ELNS_18Fp8KVCacheDataTypeE1ELb0ELi512EEEvPfS2_PT_PKS3_PKT0_S9_ifPKiSB_iPKfiiiSD_SD_iiiii,"axG",@progbits,_ZN4vllm25paged_attention_v2_kernelIthLi112ELi32ELi128ELNS_18Fp8KVCacheDataTypeE1ELb0ELi512EEEvPfS2_PT_PKS3_PKT0_S9_ifPKiSB_iPKfiiiSD_SD_iiiii,comdat
	.protected	_ZN4vllm25paged_attention_v2_kernelIthLi112ELi32ELi128ELNS_18Fp8KVCacheDataTypeE1ELb0ELi512EEEvPfS2_PT_PKS3_PKT0_S9_ifPKiSB_iPKfiiiSD_SD_iiiii ; -- Begin function _ZN4vllm25paged_attention_v2_kernelIthLi112ELi32ELi128ELNS_18Fp8KVCacheDataTypeE1ELb0ELi512EEEvPfS2_PT_PKS3_PKT0_S9_ifPKiSB_iPKfiiiSD_SD_iiiii
	.globl	_ZN4vllm25paged_attention_v2_kernelIthLi112ELi32ELi128ELNS_18Fp8KVCacheDataTypeE1ELb0ELi512EEEvPfS2_PT_PKS3_PKT0_S9_ifPKiSB_iPKfiiiSD_SD_iiiii
	.p2align	8
	.type	_ZN4vllm25paged_attention_v2_kernelIthLi112ELi32ELi128ELNS_18Fp8KVCacheDataTypeE1ELb0ELi512EEEvPfS2_PT_PKS3_PKT0_S9_ifPKiSB_iPKfiiiSD_SD_iiiii,@function
_ZN4vllm25paged_attention_v2_kernelIthLi112ELi32ELi128ELNS_18Fp8KVCacheDataTypeE1ELb0ELi512EEEvPfS2_PT_PKS3_PKT0_S9_ifPKiSB_iPKfiiiSD_SD_iiiii: ; @_ZN4vllm25paged_attention_v2_kernelIthLi112ELi32ELi128ELNS_18Fp8KVCacheDataTypeE1ELb0ELi512EEEvPfS2_PT_PKS3_PKT0_S9_ifPKiSB_iPKfiiiSD_SD_iiiii
; %bb.0:
	s_clause 0x5
	s_load_dwordx8 s[24:31], s[4:5], 0x0
	s_load_dwordx8 s[16:23], s[4:5], 0x20
	s_load_dwordx2 s[10:11], s[4:5], 0x40
	s_load_dwordx2 s[34:35], s[4:5], 0x50
	s_load_dword s13, s[4:5], 0x48
	s_load_dwordx8 s[36:43], s[4:5], 0x58
	s_add_u32 s0, s0, s9
	s_addc_u32 s1, s1, 0
	v_mov_b32_e32 v31, v0
	s_mov_b32 s14, s8
	s_add_u32 s8, s4, 0x90
	s_addc_u32 s9, s5, 0
	s_getpc_b64 s[4:5]
	s_add_u32 s4, s4, _ZN4vllm22paged_attention_kernelIthLi112ELi32ELi128ELNS_18Fp8KVCacheDataTypeE1ELb0ELi512EEEvPfS2_PT_PKS3_PKT0_S9_ifPKiSB_iPKfiiiSD_SD_iiiii@rel32@lo+4
	s_addc_u32 s5, s5, _ZN4vllm22paged_attention_kernelIthLi112ELi32ELi128ELNS_18Fp8KVCacheDataTypeE1ELb0ELi512EEEvPfS2_PT_PKS3_PKT0_S9_ifPKiSB_iPKfiiiSD_SD_iiiii@rel32@hi+12
	s_mov_b32 s12, s6
	s_mov_b32 s15, 34
	;; [unrolled: 1-line block ×3, first 2 shown]
	s_waitcnt lgkmcnt(0)
	v_mov_b32_e32 v0, s24
	v_mov_b32_e32 v1, s25
	;; [unrolled: 1-line block ×28, first 2 shown]
	s_mov_b32 s13, s7
	s_swappc_b64 s[30:31], s[4:5]
	s_endpgm
	.section	.rodata,"a",@progbits
	.p2align	6, 0x0
	.amdhsa_kernel _ZN4vllm25paged_attention_v2_kernelIthLi112ELi32ELi128ELNS_18Fp8KVCacheDataTypeE1ELb0ELi512EEEvPfS2_PT_PKS3_PKT0_S9_ifPKiSB_iPKfiiiSD_SD_iiiii
		.amdhsa_group_segment_fixed_size 256
		.amdhsa_private_segment_fixed_size 368
		.amdhsa_kernarg_size 400
		.amdhsa_user_sgpr_count 6
		.amdhsa_user_sgpr_private_segment_buffer 1
		.amdhsa_user_sgpr_dispatch_ptr 0
		.amdhsa_user_sgpr_queue_ptr 0
		.amdhsa_user_sgpr_kernarg_segment_ptr 1
		.amdhsa_user_sgpr_dispatch_id 0
		.amdhsa_user_sgpr_flat_scratch_init 0
		.amdhsa_user_sgpr_private_segment_size 0
		.amdhsa_wavefront_size32 1
		.amdhsa_uses_dynamic_stack 0
		.amdhsa_system_sgpr_private_segment_wavefront_offset 1
		.amdhsa_system_sgpr_workgroup_id_x 1
		.amdhsa_system_sgpr_workgroup_id_y 1
		.amdhsa_system_sgpr_workgroup_id_z 1
		.amdhsa_system_sgpr_workgroup_info 0
		.amdhsa_system_vgpr_workitem_id 0
		.amdhsa_next_free_vgpr 128
		.amdhsa_next_free_sgpr 44
		.amdhsa_reserve_vcc 1
		.amdhsa_reserve_flat_scratch 0
		.amdhsa_float_round_mode_32 0
		.amdhsa_float_round_mode_16_64 0
		.amdhsa_float_denorm_mode_32 3
		.amdhsa_float_denorm_mode_16_64 3
		.amdhsa_dx10_clamp 1
		.amdhsa_ieee_mode 1
		.amdhsa_fp16_overflow 0
		.amdhsa_workgroup_processor_mode 1
		.amdhsa_memory_ordered 1
		.amdhsa_forward_progress 1
		.amdhsa_shared_vgpr_count 0
		.amdhsa_exception_fp_ieee_invalid_op 0
		.amdhsa_exception_fp_denorm_src 0
		.amdhsa_exception_fp_ieee_div_zero 0
		.amdhsa_exception_fp_ieee_overflow 0
		.amdhsa_exception_fp_ieee_underflow 0
		.amdhsa_exception_fp_ieee_inexact 0
		.amdhsa_exception_int_div_zero 0
	.end_amdhsa_kernel
	.section	.text._ZN4vllm25paged_attention_v2_kernelIthLi112ELi32ELi128ELNS_18Fp8KVCacheDataTypeE1ELb0ELi512EEEvPfS2_PT_PKS3_PKT0_S9_ifPKiSB_iPKfiiiSD_SD_iiiii,"axG",@progbits,_ZN4vllm25paged_attention_v2_kernelIthLi112ELi32ELi128ELNS_18Fp8KVCacheDataTypeE1ELb0ELi512EEEvPfS2_PT_PKS3_PKT0_S9_ifPKiSB_iPKfiiiSD_SD_iiiii,comdat
.Lfunc_end322:
	.size	_ZN4vllm25paged_attention_v2_kernelIthLi112ELi32ELi128ELNS_18Fp8KVCacheDataTypeE1ELb0ELi512EEEvPfS2_PT_PKS3_PKT0_S9_ifPKiSB_iPKfiiiSD_SD_iiiii, .Lfunc_end322-_ZN4vllm25paged_attention_v2_kernelIthLi112ELi32ELi128ELNS_18Fp8KVCacheDataTypeE1ELb0ELi512EEEvPfS2_PT_PKS3_PKT0_S9_ifPKiSB_iPKfiiiSD_SD_iiiii
                                        ; -- End function
	.set _ZN4vllm25paged_attention_v2_kernelIthLi112ELi32ELi128ELNS_18Fp8KVCacheDataTypeE1ELb0ELi512EEEvPfS2_PT_PKS3_PKT0_S9_ifPKiSB_iPKfiiiSD_SD_iiiii.num_vgpr, max(32, .L_ZN4vllm22paged_attention_kernelIthLi112ELi32ELi128ELNS_18Fp8KVCacheDataTypeE1ELb0ELi512EEEvPfS2_PT_PKS3_PKT0_S9_ifPKiSB_iPKfiiiSD_SD_iiiii.num_vgpr)
	.set _ZN4vllm25paged_attention_v2_kernelIthLi112ELi32ELi128ELNS_18Fp8KVCacheDataTypeE1ELb0ELi512EEEvPfS2_PT_PKS3_PKT0_S9_ifPKiSB_iPKfiiiSD_SD_iiiii.num_agpr, max(0, .L_ZN4vllm22paged_attention_kernelIthLi112ELi32ELi128ELNS_18Fp8KVCacheDataTypeE1ELb0ELi512EEEvPfS2_PT_PKS3_PKT0_S9_ifPKiSB_iPKfiiiSD_SD_iiiii.num_agpr)
	.set _ZN4vllm25paged_attention_v2_kernelIthLi112ELi32ELi128ELNS_18Fp8KVCacheDataTypeE1ELb0ELi512EEEvPfS2_PT_PKS3_PKT0_S9_ifPKiSB_iPKfiiiSD_SD_iiiii.numbered_sgpr, max(44, .L_ZN4vllm22paged_attention_kernelIthLi112ELi32ELi128ELNS_18Fp8KVCacheDataTypeE1ELb0ELi512EEEvPfS2_PT_PKS3_PKT0_S9_ifPKiSB_iPKfiiiSD_SD_iiiii.numbered_sgpr)
	.set _ZN4vllm25paged_attention_v2_kernelIthLi112ELi32ELi128ELNS_18Fp8KVCacheDataTypeE1ELb0ELi512EEEvPfS2_PT_PKS3_PKT0_S9_ifPKiSB_iPKfiiiSD_SD_iiiii.num_named_barrier, max(0, .L_ZN4vllm22paged_attention_kernelIthLi112ELi32ELi128ELNS_18Fp8KVCacheDataTypeE1ELb0ELi512EEEvPfS2_PT_PKS3_PKT0_S9_ifPKiSB_iPKfiiiSD_SD_iiiii.num_named_barrier)
	.set _ZN4vllm25paged_attention_v2_kernelIthLi112ELi32ELi128ELNS_18Fp8KVCacheDataTypeE1ELb0ELi512EEEvPfS2_PT_PKS3_PKT0_S9_ifPKiSB_iPKfiiiSD_SD_iiiii.private_seg_size, 0+max(.L_ZN4vllm22paged_attention_kernelIthLi112ELi32ELi128ELNS_18Fp8KVCacheDataTypeE1ELb0ELi512EEEvPfS2_PT_PKS3_PKT0_S9_ifPKiSB_iPKfiiiSD_SD_iiiii.private_seg_size)
	.set _ZN4vllm25paged_attention_v2_kernelIthLi112ELi32ELi128ELNS_18Fp8KVCacheDataTypeE1ELb0ELi512EEEvPfS2_PT_PKS3_PKT0_S9_ifPKiSB_iPKfiiiSD_SD_iiiii.uses_vcc, or(1, .L_ZN4vllm22paged_attention_kernelIthLi112ELi32ELi128ELNS_18Fp8KVCacheDataTypeE1ELb0ELi512EEEvPfS2_PT_PKS3_PKT0_S9_ifPKiSB_iPKfiiiSD_SD_iiiii.uses_vcc)
	.set _ZN4vllm25paged_attention_v2_kernelIthLi112ELi32ELi128ELNS_18Fp8KVCacheDataTypeE1ELb0ELi512EEEvPfS2_PT_PKS3_PKT0_S9_ifPKiSB_iPKfiiiSD_SD_iiiii.uses_flat_scratch, or(0, .L_ZN4vllm22paged_attention_kernelIthLi112ELi32ELi128ELNS_18Fp8KVCacheDataTypeE1ELb0ELi512EEEvPfS2_PT_PKS3_PKT0_S9_ifPKiSB_iPKfiiiSD_SD_iiiii.uses_flat_scratch)
	.set _ZN4vllm25paged_attention_v2_kernelIthLi112ELi32ELi128ELNS_18Fp8KVCacheDataTypeE1ELb0ELi512EEEvPfS2_PT_PKS3_PKT0_S9_ifPKiSB_iPKfiiiSD_SD_iiiii.has_dyn_sized_stack, or(0, .L_ZN4vllm22paged_attention_kernelIthLi112ELi32ELi128ELNS_18Fp8KVCacheDataTypeE1ELb0ELi512EEEvPfS2_PT_PKS3_PKT0_S9_ifPKiSB_iPKfiiiSD_SD_iiiii.has_dyn_sized_stack)
	.set _ZN4vllm25paged_attention_v2_kernelIthLi112ELi32ELi128ELNS_18Fp8KVCacheDataTypeE1ELb0ELi512EEEvPfS2_PT_PKS3_PKT0_S9_ifPKiSB_iPKfiiiSD_SD_iiiii.has_recursion, or(0, .L_ZN4vllm22paged_attention_kernelIthLi112ELi32ELi128ELNS_18Fp8KVCacheDataTypeE1ELb0ELi512EEEvPfS2_PT_PKS3_PKT0_S9_ifPKiSB_iPKfiiiSD_SD_iiiii.has_recursion)
	.set _ZN4vllm25paged_attention_v2_kernelIthLi112ELi32ELi128ELNS_18Fp8KVCacheDataTypeE1ELb0ELi512EEEvPfS2_PT_PKS3_PKT0_S9_ifPKiSB_iPKfiiiSD_SD_iiiii.has_indirect_call, or(0, .L_ZN4vllm22paged_attention_kernelIthLi112ELi32ELi128ELNS_18Fp8KVCacheDataTypeE1ELb0ELi512EEEvPfS2_PT_PKS3_PKT0_S9_ifPKiSB_iPKfiiiSD_SD_iiiii.has_indirect_call)
	.section	.AMDGPU.csdata,"",@progbits
; Kernel info:
; codeLenInByte = 240
; TotalNumSgprs: 46
; NumVgprs: 128
; ScratchSize: 368
; MemoryBound: 0
; FloatMode: 240
; IeeeMode: 1
; LDSByteSize: 256 bytes/workgroup (compile time only)
; SGPRBlocks: 0
; VGPRBlocks: 15
; NumSGPRsForWavesPerEU: 46
; NumVGPRsForWavesPerEU: 128
; Occupancy: 8
; WaveLimiterHint : 1
; COMPUTE_PGM_RSRC2:SCRATCH_EN: 1
; COMPUTE_PGM_RSRC2:USER_SGPR: 6
; COMPUTE_PGM_RSRC2:TRAP_HANDLER: 0
; COMPUTE_PGM_RSRC2:TGID_X_EN: 1
; COMPUTE_PGM_RSRC2:TGID_Y_EN: 1
; COMPUTE_PGM_RSRC2:TGID_Z_EN: 1
; COMPUTE_PGM_RSRC2:TIDIG_COMP_CNT: 0
	.text
	.p2align	2                               ; -- Begin function _ZN4vllm22paged_attention_kernelIthLi120ELi32ELi128ELNS_18Fp8KVCacheDataTypeE1ELb0ELi512EEEvPfS2_PT_PKS3_PKT0_S9_ifPKiSB_iPKfiiiSD_SD_iiiii
	.type	_ZN4vllm22paged_attention_kernelIthLi120ELi32ELi128ELNS_18Fp8KVCacheDataTypeE1ELb0ELi512EEEvPfS2_PT_PKS3_PKT0_S9_ifPKiSB_iPKfiiiSD_SD_iiiii,@function
_ZN4vllm22paged_attention_kernelIthLi120ELi32ELi128ELNS_18Fp8KVCacheDataTypeE1ELb0ELi512EEEvPfS2_PT_PKS3_PKT0_S9_ifPKiSB_iPKfiiiSD_SD_iiiii: ; @_ZN4vllm22paged_attention_kernelIthLi120ELi32ELi128ELNS_18Fp8KVCacheDataTypeE1ELb0ELi512EEEvPfS2_PT_PKS3_PKT0_S9_ifPKiSB_iPKfiiiSD_SD_iiiii
; %bb.0:
	s_waitcnt vmcnt(0) expcnt(0) lgkmcnt(0)
	buffer_store_dword v40, off, s[0:3], s32 offset:188 ; 4-byte Folded Spill
	buffer_store_dword v41, off, s[0:3], s32 offset:184 ; 4-byte Folded Spill
	;; [unrolled: 1-line block ×47, first 2 shown]
	buffer_store_dword v127, off, s[0:3], s32 ; 4-byte Folded Spill
	s_mov_b32 s18, s13
	s_ashr_i32 s19, s13, 31
	buffer_store_dword v24, off, s[0:3], s32 offset:324 ; 4-byte Folded Spill
	buffer_store_dword v25, off, s[0:3], s32 offset:328 ; 4-byte Folded Spill
	;; [unrolled: 1-line block ×10, first 2 shown]
	s_lshl_b64 s[4:5], s[18:19], 2
	v_mov_b32_e32 v15, v0
	v_add_co_u32 v0, vcc_lo, v16, s4
	v_mov_b32_e32 v14, v1
	v_add_co_ci_u32_e64 v1, null, s5, v17, vcc_lo
	v_mov_b32_e32 v22, v3
	v_mov_b32_e32 v24, v2
	s_lshl_b32 s20, s14, 9
	flat_load_dword v33, v[0:1]
	s_mov_b32 s19, exec_lo
	s_waitcnt vmcnt(0) lgkmcnt(0)
	v_cmpx_lt_i32_e64 s20, v33
	s_cbranch_execz .LBB323_2024
; %bb.1:
	v_sub_nc_u32_e32 v0, 0, v12
	s_clause 0x1
	s_load_dword s4, s[8:9], 0x10
	s_load_dword s5, s[8:9], 0x0
	s_mov_b32 s16, s15
	v_max_i32_e32 v0, v12, v0
	v_cvt_f32_u32_e32 v1, v0
	v_sub_nc_u32_e32 v2, 0, v0
	v_rcp_iflag_f32_e32 v1, v1
	s_waitcnt lgkmcnt(0)
	s_lshr_b32 s4, s4, 16
	s_cmp_lg_u32 s4, 0
	s_cselect_b32 s4, -1, 0
	v_mul_f32_e32 v1, 0x4f7ffffe, v1
	s_cmp_lg_u32 s4, 0
	s_addc_u32 s15, s5, 0
	s_mov_b32 s5, exec_lo
	v_cvt_u32_f32_e32 v1, v1
	s_abs_i32 s4, s15
	v_mul_lo_u32 v2, v2, v1
	v_mul_hi_u32 v2, v1, v2
	v_add_nc_u32_e32 v1, v1, v2
	v_mul_hi_u32 v1, s4, v1
	v_mul_lo_u32 v2, v1, v0
	v_add_nc_u32_e32 v3, 1, v1
	v_sub_nc_u32_e32 v2, s4, v2
	s_abs_i32 s4, s12
	v_sub_nc_u32_e32 v4, v2, v0
	v_cmp_ge_u32_e32 vcc_lo, v2, v0
	v_cndmask_b32_e32 v1, v1, v3, vcc_lo
	v_cndmask_b32_e32 v2, v2, v4, vcc_lo
	v_xor_b32_e32 v3, s15, v12
	v_add_nc_u32_e32 v4, 1, v1
	v_cmp_ge_u32_e32 vcc_lo, v2, v0
	v_ashrrev_i32_e32 v3, 31, v3
	v_cndmask_b32_e32 v0, v1, v4, vcc_lo
	v_xor_b32_e32 v0, v0, v3
	v_sub_nc_u32_e32 v1, v0, v3
	v_sub_nc_u32_e32 v0, 0, v1
	v_max_i32_e32 v0, v1, v0
	v_cvt_f32_u32_e32 v2, v0
	v_sub_nc_u32_e32 v3, 0, v0
	v_rcp_iflag_f32_e32 v2, v2
	v_mul_f32_e32 v2, 0x4f7ffffe, v2
	v_cvt_u32_f32_e32 v2, v2
	v_mul_lo_u32 v3, v3, v2
	v_mul_hi_u32 v3, v2, v3
	v_add_nc_u32_e32 v2, v2, v3
	v_mad_u64_u32 v[16:17], null, s4, v2, 0
	v_mov_b32_e32 v2, 0
	buffer_store_dword v2, off, s[0:3], s32 offset:336 ; 4-byte Folded Spill
	v_cmpx_ne_u64_e32 0, v[19:20]
	s_cbranch_execz .LBB323_3
; %bb.2:
	s_ashr_i32 s13, s12, 31
	s_lshl_b64 s[6:7], s[12:13], 2
	v_add_co_u32 v2, vcc_lo, v19, s6
	v_add_co_ci_u32_e64 v3, null, s7, v20, vcc_lo
	flat_load_dword v2, v[2:3]
	s_waitcnt vmcnt(0) lgkmcnt(0)
	buffer_store_dword v2, off, s[0:3], s32 offset:336 ; 4-byte Folded Spill
.LBB323_3:
	s_or_b32 exec_lo, exec_lo, s5
	v_and_b32_e32 v11, 0x3ff, v31
	v_ashrrev_i32_e32 v1, 31, v1
	s_ashr_i32 s5, s12, 31
	s_mul_i32 s10, s12, 0x78
	s_mov_b32 s6, exec_lo
	v_cmpx_gt_u32_e32 15, v11
	s_cbranch_execz .LBB323_5
; %bb.4:
	v_mul_lo_u32 v2, v21, s18
	s_ashr_i32 s11, s10, 31
	v_lshlrev_b32_e32 v10, 4, v11
	s_lshl_b64 s[22:23], s[10:11], 1
	v_ashrrev_i32_e32 v3, 31, v2
	v_lshlrev_b64 v[2:3], 1, v[2:3]
	v_add_co_u32 v2, vcc_lo, v6, v2
	v_add_co_ci_u32_e64 v3, null, v7, v3, vcc_lo
	v_add_co_u32 v2, vcc_lo, v2, s22
	v_add_co_ci_u32_e64 v3, null, s23, v3, vcc_lo
	;; [unrolled: 2-line block ×3, first 2 shown]
	flat_load_dwordx4 v[2:5], v[2:3]
	s_waitcnt vmcnt(0) lgkmcnt(0)
	ds_write_b128 v10, v[2:5]
.LBB323_5:
	s_or_b32 exec_lo, exec_lo, s6
	v_mul_lo_u32 v2, v17, v0
	v_add_nc_u32_e32 v3, 1, v17
	v_add_nc_u32_e32 v4, 31, v33
	v_xor_b32_e32 v1, s5, v1
	s_clause 0x1
	s_load_dword s11, s[8:9], 0x14
	s_load_dword s8, s[8:9], 0x8
	s_lshl_b32 s9, s14, 4
	v_mov_b32_e32 v7, 0xff7fffff
	v_ashrrev_i32_e32 v6, 31, v4
	v_sub_nc_u32_e32 v2, s4, v2
	s_add_i32 s4, s9, 16
	s_mov_b32 s13, exec_lo
	v_lshrrev_b32_e32 v6, 27, v6
	v_sub_nc_u32_e32 v5, v2, v0
	v_cmp_ge_u32_e32 vcc_lo, v2, v0
	v_cndmask_b32_e32 v3, v17, v3, vcc_lo
	v_cndmask_b32_e32 v2, v2, v5, vcc_lo
	v_add_nc_u32_e32 v5, 1, v3
	v_cmp_ge_u32_e32 vcc_lo, v2, v0
	v_mul_lo_u32 v0, v18, s18
	v_cndmask_b32_e32 v2, v3, v5, vcc_lo
	v_add_nc_u32_e32 v3, v4, v6
	v_lshrrev_b32_e32 v4, 5, v11
	v_xor_b32_e32 v2, v2, v1
	v_ashrrev_i32_e32 v5, 5, v3
	v_add_nc_u32_e32 v3, s9, v4
	buffer_store_dword v4, off, s[0:3], s32 offset:352 ; 4-byte Folded Spill
	v_sub_nc_u32_e32 v2, v2, v1
	v_ashrrev_i32_e32 v1, 31, v0
	buffer_store_dword v5, off, s[0:3], s32 offset:396 ; 4-byte Folded Spill
	v_min_i32_e32 v5, s4, v5
	v_ashrrev_i32_e32 v4, 31, v3
	v_mul_lo_u32 v6, v2, v23
	v_lshlrev_b64 v[0:1], 2, v[0:1]
	v_and_b32_e32 v2, 31, v11
	v_cmp_ge_i32_e64 s4, v3, v5
	buffer_store_dword v0, off, s[0:3], s32 offset:380 ; 4-byte Folded Spill
	buffer_store_dword v1, off, s[0:3], s32 offset:384 ; 4-byte Folded Spill
	;; [unrolled: 1-line block ×6, first 2 shown]
	v_ashrrev_i32_e32 v0, 31, v6
	v_lshlrev_b32_e32 v10, 2, v2
	buffer_store_dword v0, off, s[0:3], s32 offset:392 ; 4-byte Folded Spill
	buffer_store_dword v2, off, s[0:3], s32 offset:348 ; 4-byte Folded Spill
	s_waitcnt lgkmcnt(0)
	s_waitcnt_vscnt null, 0x0
	s_barrier
	buffer_gl0_inv
	v_cmpx_lt_i32_e64 v3, v5
	s_cbranch_execz .LBB323_969
; %bb.6:
	buffer_store_dword v24, off, s[0:3], s32 offset:416 ; 4-byte Folded Spill
	buffer_store_dword v22, off, s[0:3], s32 offset:412 ; 4-byte Folded Spill
	;; [unrolled: 1-line block ×5, first 2 shown]
	s_clause 0x1
	buffer_load_dword v5, off, s[0:3], s32 offset:348
	buffer_load_dword v0, off, s[0:3], s32 offset:388
	s_getpc_b64 s[6:7]
	s_add_u32 s6, s6, llvm.amdgcn.dynlds.offset.table@rel32@lo+4
	s_addc_u32 s7, s7, llvm.amdgcn.dynlds.offset.table@rel32@hi+12
	s_ashr_i32 s17, s16, 31
	v_mov_b32_e32 v51, 0x80
	s_lshl_b64 s[22:23], s[16:17], 2
	s_mov_b32 s17, 0
	s_add_u32 s6, s6, s22
	s_addc_u32 s7, s7, s23
	s_load_dword s6, s[6:7], 0x0
	s_waitcnt vmcnt(1)
	v_lshlrev_b32_e32 v2, 4, v5
	s_waitcnt vmcnt(0)
	v_add_co_u32 v3, vcc_lo, v8, v0
	s_clause 0x2
	buffer_load_dword v0, off, s[0:3], s32 offset:392
	buffer_load_dword v6, off, s[0:3], s32 offset:192
	;; [unrolled: 1-line block ×3, first 2 shown]
	s_waitcnt vmcnt(1)
	v_mov_b32_e32 v73, v6
	v_add_co_ci_u32_e64 v4, null, v9, v0, vcc_lo
	v_add_co_u32 v2, vcc_lo, v3, v2
	s_waitcnt vmcnt(0)
	v_lshlrev_b64 v[0:1], 2, v[6:7]
	v_add_co_ci_u32_e64 v3, null, 0, v4, vcc_lo
	buffer_store_dword v2, off, s[0:3], s32 offset:340 ; 4-byte Folded Spill
	buffer_store_dword v3, off, s[0:3], s32 offset:344 ; 4-byte Folded Spill
	buffer_load_dword v2, off, s[0:3], s32 offset:336 ; 4-byte Folded Reload
	v_mov_b32_e32 v9, 0
	v_mov_b32_e32 v7, 0xff7fffff
	s_waitcnt vmcnt(0)
	v_cmp_neq_f32_e32 vcc_lo, 0, v2
	s_clause 0x2
	buffer_load_dword v2, off, s[0:3], s32 offset:380
	buffer_load_dword v3, off, s[0:3], s32 offset:384
	;; [unrolled: 1-line block ×3, first 2 shown]
	buffer_store_dword v10, off, s[0:3], s32 offset:420 ; 4-byte Folded Spill
	s_waitcnt vmcnt(2)
	v_add_co_u32 v0, s5, v2, v0
	s_waitcnt vmcnt(1)
	v_add_co_ci_u32_e64 v1, null, v3, v1, s5
	buffer_load_dword v3, off, s[0:3], s32 offset:352 ; 4-byte Folded Reload
	s_waitcnt vmcnt(1)
	v_add_co_u32 v20, s5, v4, v0
	buffer_load_dword v0, off, s[0:3], s32 offset:356 ; 4-byte Folded Reload
	s_waitcnt vmcnt(1)
	v_lshlrev_b32_e32 v2, 5, v3
	v_lshl_or_b32 v3, v3, 7, v10
	s_waitcnt vmcnt(0)
	v_add_co_ci_u32_e64 v21, null, v0, v1, s5
	v_add3_u32 v107, s20, v2, v5
	s_waitcnt lgkmcnt(0)
	v_add_nc_u32_e32 v109, s6, v3
	s_mov_b32 s6, -1
	s_mov_b32 s7, 0xffffff
	s_branch .LBB323_11
.LBB323_7:                              ;   in Loop: Header=BB323_11 Depth=1
	s_or_b32 exec_lo, exec_lo, s24
	v_lshlrev_b32_e32 v8, 8, v8
	v_lshl_add_u32 v29, v29, 10, 0x2000
	v_lshlrev_b32_e32 v28, 23, v28
	v_and_or_b32 v8, 0x8000, v8, v29
	v_lshl_or_b32 v49, v8, 16, v28
.LBB323_8:                              ;   in Loop: Header=BB323_11 Depth=1
	s_or_b32 exec_lo, exec_lo, s23
.LBB323_9:                              ;   in Loop: Header=BB323_11 Depth=1
	s_or_b32 exec_lo, exec_lo, s22
	s_clause 0x2
	buffer_load_dword v107, off, s[0:3], s32 offset:240
	buffer_load_dword v109, off, s[0:3], s32 offset:244
	;; [unrolled: 1-line block ×3, first 2 shown]
.LBB323_10:                             ;   in Loop: Header=BB323_11 Depth=1
	s_or_b32 exec_lo, exec_lo, s21
	v_or_b32_e32 v8, v88, v78
	v_fma_mixlo_f16 v28, v64, v88, 0 op_sel:[0,1,0] op_sel_hi:[0,1,0]
	v_or_b32_e32 v4, v5, v4
	v_or_b32_e32 v1, v2, v1
	v_fma_mixlo_f16 v78, v64, v5, 0 op_sel:[0,1,0] op_sel_hi:[0,1,0]
	v_fma_mixlo_f16 v8, v64, v8, 0 op_sel_hi:[0,1,0]
	buffer_store_dword v28, off, s[0:3], s32 offset:280 ; 4-byte Folded Spill
	v_fma_mixlo_f16 v28, v64, v75, 0 op_sel:[0,1,0] op_sel_hi:[0,1,0]
	v_fma_mixlo_f16 v5, v64, v106, 0 op_sel:[0,1,0] op_sel_hi:[0,1,0]
	v_or_b32_e32 v3, v17, v3
	buffer_store_dword v8, off, s[0:3], s32 offset:284 ; 4-byte Folded Spill
	v_or_b32_e32 v8, v75, v74
	buffer_store_dword v28, off, s[0:3], s32 offset:288 ; 4-byte Folded Spill
	v_fma_mixlo_f16 v28, v64, v90, 0 op_sel:[0,1,0] op_sel_hi:[0,1,0]
	v_fma_mixlo_f16 v75, v64, v86, 0 op_sel:[0,1,0] op_sel_hi:[0,1,0]
	;; [unrolled: 1-line block ×3, first 2 shown]
	v_fma_mixlo_f16 v8, v64, v8, 0 op_sel_hi:[0,1,0]
	s_waitcnt vmcnt(2)
	v_cmp_lt_i32_e64 s5, v107, v33
	buffer_store_dword v28, off, s[0:3], s32 offset:272 ; 4-byte Folded Spill
	v_fma_mixlo_f16 v28, v64, v110, 0 op_sel:[0,1,0] op_sel_hi:[0,1,0]
	s_waitcnt vmcnt(0)
	v_add_nc_u32_e32 v73, 4, v73
	buffer_store_dword v8, off, s[0:3], s32 offset:292 ; 4-byte Folded Spill
	v_or_b32_e32 v8, v90, v79
	buffer_store_dword v28, off, s[0:3], s32 offset:308 ; 4-byte Folded Spill
	v_fma_mixlo_f16 v28, v64, v76, 0 op_sel:[0,1,0] op_sel_hi:[0,1,0]
	v_fma_mixlo_f16 v8, v64, v8, 0 op_sel_hi:[0,1,0]
	buffer_store_dword v8, off, s[0:3], s32 offset:276 ; 4-byte Folded Spill
	v_or_b32_e32 v8, v30, v67
	v_fma_mixlo_f16 v8, v64, v8, 0 op_sel_hi:[0,1,0]
	buffer_store_dword v8, off, s[0:3], s32 offset:268 ; 4-byte Folded Spill
	v_fma_mixlo_f16 v8, v64, v30, 0 op_sel:[0,1,0] op_sel_hi:[0,1,0]
	buffer_store_dword v8, off, s[0:3], s32 offset:264 ; 4-byte Folded Spill
	v_or_b32_e32 v8, v110, v104
	v_fma_mixlo_f16 v110, v64, v4, 0 op_sel_hi:[0,1,0]
	v_or_b32_e32 v4, v39, v18
	v_fma_mixlo_f16 v104, v64, v39, 0 op_sel:[0,1,0] op_sel_hi:[0,1,0]
	v_fma_mixlo_f16 v39, v64, v1, 0 op_sel_hi:[0,1,0]
	v_fma_mixlo_f16 v8, v64, v8, 0 op_sel_hi:[0,1,0]
	v_or_b32_e32 v1, v54, v14
	v_fma_mixlo_f16 v88, v64, v4, 0 op_sel_hi:[0,1,0]
	v_or_b32_e32 v4, v97, v32
	v_fma_mixlo_f16 v32, v64, v17, 0 op_sel:[0,1,0] op_sel_hi:[0,1,0]
	buffer_store_dword v8, off, s[0:3], s32 offset:312 ; 4-byte Folded Spill
	v_or_b32_e32 v8, v37, v23
	v_fma_mixlo_f16 v23, v64, v37, 0 op_sel:[0,1,0] op_sel_hi:[0,1,0]
	v_fma_mixlo_f16 v37, v64, v54, 0 op_sel:[0,1,0] op_sel_hi:[0,1,0]
	v_fma_mixlo_f16 v54, v64, v25, 0 op_sel:[0,1,0] op_sel_hi:[0,1,0]
	v_fma_mixlo_f16 v18, v64, v3, 0 op_sel_hi:[0,1,0]
	v_fma_mixlo_f16 v8, v64, v8, 0 op_sel_hi:[0,1,0]
	buffer_store_dword v23, off, s[0:3], s32 offset:316 ; 4-byte Folded Spill
	v_fma_mixlo_f16 v23, v64, v111, 0 op_sel:[0,1,0] op_sel_hi:[0,1,0]
	v_fma_mixlo_f16 v17, v64, v2, 0 op_sel:[0,1,0] op_sel_hi:[0,1,0]
	buffer_store_dword v8, off, s[0:3], s32 offset:320 ; 4-byte Folded Spill
	v_or_b32_e32 v8, v111, v105
	buffer_store_dword v23, off, s[0:3], s32 offset:304 ; 4-byte Folded Spill
	v_fma_mixlo_f16 v23, v64, v1, 0 op_sel_hi:[0,1,0]
	v_or_b32_e32 v1, v86, v52
	v_fma_mixlo_f16 v105, v64, v16, 0 op_sel:[0,1,0] op_sel_hi:[0,1,0]
	v_fma_mixlo_f16 v111, v64, v8, 0 op_sel_hi:[0,1,0]
	v_or_b32_e32 v8, v127, v126
	v_fma_mixlo_f16 v126, v64, v97, 0 op_sel:[0,1,0] op_sel_hi:[0,1,0]
	;; [unrolled: 3-line block ×3, first 2 shown]
	v_fma_mixlo_f16 v8, v64, v8, 0 op_sel_hi:[0,1,0]
	v_fma_mixlo_f16 v52, v64, v1, 0 op_sel_hi:[0,1,0]
	v_or_b32_e32 v1, v6, v22
	buffer_store_dword v8, off, s[0:3], s32 offset:300 ; 4-byte Folded Spill
	v_fma_mixlo_f16 v8, v64, v127, 0 op_sel:[0,1,0] op_sel_hi:[0,1,0]
	v_fma_mixlo_f16 v127, v64, v4, 0 op_sel_hi:[0,1,0]
	v_fma_mixlo_f16 v14, v64, v1, 0 op_sel_hi:[0,1,0]
	v_or_b32_e32 v1, v83, v24
	buffer_store_dword v8, off, s[0:3], s32 offset:296 ; 4-byte Folded Spill
	v_or_b32_e32 v8, v16, v10
	v_fma_mixlo_f16 v16, v64, v6, 0 op_sel:[0,1,0] op_sel_hi:[0,1,0]
	v_fma_mixlo_f16 v6, v64, v124, 0 op_sel:[0,1,0] op_sel_hi:[0,1,0]
	v_fma_mixlo_f16 v24, v64, v1, 0 op_sel_hi:[0,1,0]
	v_or_b32_e32 v1, v84, v35
	v_fma_mixlo_f16 v35, v64, v84, 0 op_sel:[0,1,0] op_sel_hi:[0,1,0]
	v_fma_mixlo_f16 v84, v64, v15, 0 op_sel:[0,1,0] op_sel_hi:[0,1,0]
	v_fma_mixlo_f16 v79, v64, v8, 0 op_sel_hi:[0,1,0]
	v_fma_mixlo_f16 v10, v64, v65, 0 op_sel:[0,1,0] op_sel_hi:[0,1,0]
	v_fma_mixlo_f16 v22, v64, v1, 0 op_sel_hi:[0,1,0]
	v_or_b32_e32 v1, v0, v36
	v_fma_mixlo_f16 v36, v64, v0, 0 op_sel:[0,1,0] op_sel_hi:[0,1,0]
	v_or_b32_e32 v0, v15, v11
	v_fma_mixlo_f16 v83, v64, v1, 0 op_sel_hi:[0,1,0]
	buffer_load_dword v1, off, s[0:3], s32 offset:200 ; 4-byte Folded Reload
	v_fma_mixlo_f16 v86, v64, v0, 0 op_sel_hi:[0,1,0]
	v_or_b32_e32 v0, v13, v19
	v_fma_mixlo_f16 v13, v64, v13, 0 op_sel:[0,1,0] op_sel_hi:[0,1,0]
	v_fma_mixlo_f16 v15, v64, v0, 0 op_sel_hi:[0,1,0]
	v_or_b32_e32 v0, v65, v53
	v_fma_mixlo_f16 v53, v64, v34, 0 op_sel:[0,1,0] op_sel_hi:[0,1,0]
	v_fma_mixlo_f16 v65, v64, v31, 0 op_sel:[0,1,0] op_sel_hi:[0,1,0]
	v_fma_mixlo_f16 v11, v64, v0, 0 op_sel_hi:[0,1,0]
	v_or_b32_e32 v0, v124, v70
	v_fma_mixlo_f16 v70, v64, v82, 0 op_sel:[0,1,0] op_sel_hi:[0,1,0]
	v_fma_mixlo_f16 v124, v64, v0, 0 op_sel_hi:[0,1,0]
	v_or_b32_e32 v0, v108, v81
	v_fma_mixlo_f16 v81, v64, v48, 0 op_sel:[0,1,0] op_sel_hi:[0,1,0]
	v_fma_mixlo_f16 v108, v64, v108, 0 op_sel:[0,1,0] op_sel_hi:[0,1,0]
	v_and_b32_e32 v70, 0xffff, v70
	v_fma_mixlo_f16 v97, v64, v0, 0 op_sel_hi:[0,1,0]
	v_or_b32_e32 v0, v34, v122
	v_fma_mixlo_f16 v34, v64, v96, 0 op_sel:[0,1,0] op_sel_hi:[0,1,0]
	v_fma_mixlo_f16 v7, v64, v0, 0 op_sel_hi:[0,1,0]
	v_or_b32_e32 v0, v12, v38
	v_fma_mixlo_f16 v12, v64, v12, 0 op_sel:[0,1,0] op_sel_hi:[0,1,0]
	v_and_b32_e32 v34, 0xffff, v34
	v_fma_mixlo_f16 v19, v64, v0, 0 op_sel_hi:[0,1,0]
	v_or_b32_e32 v0, v91, v77
	v_fma_mixlo_f16 v77, v64, v95, 0 op_sel:[0,1,0] op_sel_hi:[0,1,0]
	v_fma_mixlo_f16 v91, v64, v91, 0 op_sel:[0,1,0] op_sel_hi:[0,1,0]
	v_fma_mixlo_f16 v122, v64, v0, 0 op_sel_hi:[0,1,0]
	v_or_b32_e32 v0, v76, v87
	v_fma_mixlo_f16 v29, v64, v0, 0 op_sel_hi:[0,1,0]
	v_or_b32_e32 v0, v95, v89
	v_fma_mixlo_f16 v95, v64, v58, 0 op_sel:[0,1,0] op_sel_hi:[0,1,0]
	v_fma_mixlo_f16 v89, v64, v0, 0 op_sel_hi:[0,1,0]
	v_or_b32_e32 v0, v106, v94
	v_fma_mixlo_f16 v76, v64, v0, 0 op_sel_hi:[0,1,0]
	v_or_b32_e32 v0, v61, v59
	v_fma_mixlo_f16 v59, v64, v63, 0 op_sel:[0,1,0] op_sel_hi:[0,1,0]
	v_fma_mixlo_f16 v61, v64, v61, 0 op_sel:[0,1,0] op_sel_hi:[0,1,0]
	v_fma_mixlo_f16 v94, v64, v0, 0 op_sel_hi:[0,1,0]
	v_or_b32_e32 v0, v58, v57
	v_fma_mixlo_f16 v57, v64, v72, 0 op_sel:[0,1,0] op_sel_hi:[0,1,0]
	v_fma_mixlo_f16 v106, v64, v0, 0 op_sel_hi:[0,1,0]
	v_or_b32_e32 v0, v63, v60
	v_fma_mixlo_f16 v63, v64, v42, 0 op_sel:[0,1,0] op_sel_hi:[0,1,0]
	v_fma_mixlo_f16 v60, v64, v0, 0 op_sel_hi:[0,1,0]
	v_or_b32_e32 v0, v72, v62
	v_fma_mixlo_f16 v58, v64, v0, 0 op_sel_hi:[0,1,0]
	v_or_b32_e32 v0, v45, v43
	v_fma_mixlo_f16 v43, v64, v47, 0 op_sel:[0,1,0] op_sel_hi:[0,1,0]
	v_fma_mixlo_f16 v45, v64, v45, 0 op_sel:[0,1,0] op_sel_hi:[0,1,0]
	v_fma_mixlo_f16 v62, v64, v0, 0 op_sel_hi:[0,1,0]
	v_or_b32_e32 v0, v42, v41
	v_fma_mixlo_f16 v41, v64, v56, 0 op_sel:[0,1,0] op_sel_hi:[0,1,0]
	;; [unrolled: 12-line block ×3, first 2 shown]
	v_fma_mixlo_f16 v56, v64, v0, 0 op_sel_hi:[0,1,0]
	v_or_b32_e32 v0, v119, v116
	v_fma_mixlo_f16 v116, v64, v0, 0 op_sel_hi:[0,1,0]
	v_or_b32_e32 v0, v40, v118
	v_fma_mixlo_f16 v118, v64, v101, 0 op_sel:[0,1,0] op_sel_hi:[0,1,0]
	v_fma_mixlo_f16 v40, v64, v98, 0 op_sel:[0,1,0] op_sel_hi:[0,1,0]
	v_fma_mixlo_f16 v114, v64, v0, 0 op_sel_hi:[0,1,0]
	buffer_load_dword v0, off, s[0:3], s32 offset:232 ; 4-byte Folded Reload
	s_waitcnt vmcnt(1)
	v_fma_mixlo_f16 v67, v64, v1, 0 op_sel:[0,1,0] op_sel_hi:[0,1,0]
	s_waitcnt vmcnt(0)
	v_or_b32_e32 v0, v101, v0
	v_fma_mixlo_f16 v119, v64, v0, 0 op_sel_hi:[0,1,0]
	buffer_load_dword v0, off, s[0:3], s32 offset:228 ; 4-byte Folded Reload
	s_waitcnt vmcnt(0)
	v_or_b32_e32 v0, v98, v0
	v_fma_mixlo_f16 v98, v64, v112, 0 op_sel:[0,1,0] op_sel_hi:[0,1,0]
	v_fma_mixlo_f16 v30, v64, v0, 0 op_sel_hi:[0,1,0]
	buffer_load_dword v0, off, s[0:3], s32 offset:236 ; 4-byte Folded Reload
	s_waitcnt vmcnt(0)
	v_or_b32_e32 v0, v103, v0
	v_fma_mixlo_f16 v103, v64, v120, 0 op_sel:[0,1,0] op_sel_hi:[0,1,0]
	v_fma_mixlo_f16 v101, v64, v0, 0 op_sel_hi:[0,1,0]
	v_or_b32_e32 v0, v112, v102
	v_fma_mixlo_f16 v99, v64, v0, 0 op_sel_hi:[0,1,0]
	buffer_load_dword v0, off, s[0:3], s32 offset:216 ; 4-byte Folded Reload
	s_waitcnt vmcnt(0)
	v_or_b32_e32 v0, v120, v0
	v_fma_mixlo_f16 v112, v64, v0, 0 op_sel_hi:[0,1,0]
	buffer_load_dword v0, off, s[0:3], s32 offset:212 ; 4-byte Folded Reload
	s_waitcnt vmcnt(0)
	;; [unrolled: 4-line block ×4, first 2 shown]
	v_or_b32_e32 v0, v96, v0
	v_fma_mixlo_f16 v96, v64, v80, 0 op_sel:[0,1,0] op_sel_hi:[0,1,0]
	v_fma_mixlo_f16 v38, v64, v0, 0 op_sel_hi:[0,1,0]
	v_or_b32_e32 v0, v1, v92
	buffer_load_dword v1, off, s[0:3], s32 offset:208 ; 4-byte Folded Reload
	v_and_b32_e32 v38, 0xffff, v38
	v_fma_mixlo_f16 v90, v64, v0, 0 op_sel_hi:[0,1,0]
	v_or_b32_e32 v0, v80, v85
	v_fma_mixlo_f16 v92, v64, v0, 0 op_sel_hi:[0,1,0]
	s_waitcnt vmcnt(0)
	v_or_b32_e32 v0, v1, v71
	v_fma_mixlo_f16 v80, v64, v1, 0 op_sel:[0,1,0] op_sel_hi:[0,1,0]
	buffer_load_dword v1, off, s[0:3], s32 offset:336 ; 4-byte Folded Reload
	v_fma_mixlo_f16 v50, v64, v0, 0 op_sel_hi:[0,1,0]
	buffer_load_dword v0, off, s[0:3], s32 offset:204 ; 4-byte Folded Reload
	s_waitcnt vmcnt(0)
	v_or_b32_e32 v0, v69, v0
	v_fma_mixlo_f16 v69, v64, v69, 0 op_sel:[0,1,0] op_sel_hi:[0,1,0]
	v_fma_mixlo_f16 v71, v64, v0, 0 op_sel_hi:[0,1,0]
	v_sub_nc_u32_e32 v0, 1, v33
	v_add_nc_u32_e32 v0, v0, v107
	v_add_nc_u32_e32 v107, 0x80, v107
	v_cvt_f32_i32_e32 v0, v0
	v_mul_f32_e32 v0, v1, v0
	v_fma_mixlo_f16 v1, v64, v123, 0 op_sel:[0,1,0] op_sel_hi:[0,1,0]
	v_cndmask_b32_e32 v8, 0, v0, vcc_lo
	v_or_b32_e32 v0, v123, v121
	buffer_store_dword v1, off, s[0:3], s32 offset:212 ; 4-byte Folded Spill
	v_fma_mixlo_f16 v1, v64, v68, 0 op_sel:[0,1,0] op_sel_hi:[0,1,0]
	v_fma_mixlo_f16 v121, v64, v0, 0 op_sel_hi:[0,1,0]
	v_or_b32_e32 v0, v31, v93
	buffer_store_dword v1, off, s[0:3], s32 offset:208 ; 4-byte Folded Spill
	v_fma_mixlo_f16 v123, v64, v0, 0 op_sel_hi:[0,1,0]
	v_or_b32_e32 v0, v68, v66
	v_fma_mixlo_f16 v93, v64, v0, 0 op_sel_hi:[0,1,0]
	v_or_b32_e32 v0, v49, v125
	v_fma_mixlo_f16 v0, v64, v0, 0 op_sel_hi:[0,1,0]
	buffer_store_dword v0, off, s[0:3], s32 offset:204 ; 4-byte Folded Spill
	v_fma_mixlo_f16 v0, v64, v49, 0 op_sel:[0,1,0] op_sel_hi:[0,1,0]
	buffer_store_dword v0, off, s[0:3], s32 offset:200 ; 4-byte Folded Spill
	ds_read_b128 v[0:3], v9
	s_waitcnt lgkmcnt(0)
	v_lshrrev_b32_e32 v4, 16, v0
	v_and_b32_e32 v0, 0xffff, v0
	;;#ASMSTART
	v_cvt_f32_f16 v87, v0;
	;;#ASMEND
	v_and_b32_e32 v0, 0xffff, v92
	;;#ASMSTART
	v_cvt_f32_f16 v48, v4;
	;;#ASMEND
	;;#ASMSTART
	v_cvt_f32_f16 v49, v0;
	;;#ASMEND
	v_and_b32_e32 v0, 0xffff, v96
	v_lshrrev_b32_e32 v4, 16, v1
	v_and_b32_e32 v1, 0xffff, v1
	;;#ASMSTART
	v_cvt_f32_f16 v0, v0;
	;;#ASMEND
	;;#ASMSTART
	v_cvt_f32_f16 v120, v1;
	;;#ASMEND
	v_and_b32_e32 v1, 0xffff, v90
	;;#ASMSTART
	v_cvt_f32_f16 v125, v4;
	;;#ASMEND
	;;#ASMSTART
	v_cvt_f32_f16 v85, v1;
	;;#ASMEND
	v_and_b32_e32 v1, 0xffff, v67
	;;#ASMSTART
	v_cvt_f32_f16 v55, v1;
	;;#ASMEND
	v_lshrrev_b32_e32 v1, 16, v2
	v_and_b32_e32 v2, 0xffff, v2
	;;#ASMSTART
	v_cvt_f32_f16 v96, v2;
	;;#ASMEND
	;;#ASMSTART
	v_cvt_f32_f16 v4, v1;
	;;#ASMEND
	v_and_b32_e32 v1, 0xffff, v50
	;;#ASMSTART
	v_cvt_f32_f16 v90, v1;
	;;#ASMEND
	v_and_b32_e32 v1, 0xffff, v80
	;;#ASMSTART
	v_cvt_f32_f16 v92, v1;
	;;#ASMEND
	v_lshrrev_b32_e32 v1, 16, v3
	v_and_b32_e32 v2, 0xffff, v3
	;;#ASMSTART
	v_cvt_f32_f16 v50, v2;
	;;#ASMEND
	;;#ASMSTART
	v_cvt_f32_f16 v31, v1;
	;;#ASMEND
	v_and_b32_e32 v1, 0xffff, v71
	;;#ASMSTART
	v_cvt_f32_f16 v1, v1;
	;;#ASMEND
	v_and_b32_e32 v2, 0xffff, v69
	;;#ASMSTART
	v_cvt_f32_f16 v3, v2;
	;;#ASMEND
	ds_read_b128 v[66:69], v9 offset:16
	s_waitcnt lgkmcnt(0)
	v_lshrrev_b32_e32 v64, 16, v66
	v_and_b32_e32 v2, 0xffff, v66
	;;#ASMSTART
	v_cvt_f32_f16 v2, v2;
	;;#ASMEND
	;;#ASMSTART
	v_cvt_f32_f16 v66, v64;
	;;#ASMEND
	v_and_b32_e32 v64, 0xffff, v82
	;;#ASMSTART
	v_cvt_f32_f16 v64, v64;
	;;#ASMEND
	;;#ASMSTART
	v_cvt_f32_f16 v70, v70;
	;;#ASMEND
	v_mul_f32_e32 v64, v2, v64
	v_mul_f32_e32 v2, v66, v70
	v_and_b32_e32 v66, 0xffff, v103
	v_fmac_f32_e32 v64, v87, v49
	v_fmac_f32_e32 v2, v48, v0
	v_lshrrev_b32_e32 v48, 16, v67
	v_and_b32_e32 v0, 0xffff, v67
	v_and_b32_e32 v49, 0xffff, v112
	;;#ASMSTART
	v_cvt_f32_f16 v0, v0;
	;;#ASMEND
	;;#ASMSTART
	v_cvt_f32_f16 v48, v48;
	;;#ASMEND
	;; [unrolled: 3-line block ×4, first 2 shown]
	v_mul_f32_e32 v70, v48, v66
	v_mul_f32_e32 v71, v0, v49
	v_lshrrev_b32_e32 v48, 16, v68
	v_and_b32_e32 v0, 0xffff, v68
	v_and_b32_e32 v49, 0xffff, v102
	v_fmac_f32_e32 v70, v125, v55
	v_and_b32_e32 v55, 0xffff, v81
	;;#ASMSTART
	v_cvt_f32_f16 v0, v0;
	;;#ASMEND
	;;#ASMSTART
	v_cvt_f32_f16 v48, v48;
	;;#ASMEND
	;; [unrolled: 3-line block ×4, first 2 shown]
	v_mul_f32_e32 v80, v48, v55
	v_mul_f32_e32 v81, v0, v49
	v_and_b32_e32 v0, 0xffff, v69
	;;#ASMSTART
	v_cvt_f32_f16 v0, v0;
	;;#ASMEND
	v_fmac_f32_e32 v71, v120, v85
	v_fmac_f32_e32 v80, v4, v92
	v_lshrrev_b32_e32 v4, 16, v69
	;;#ASMSTART
	v_cvt_f32_f16 v4, v4;
	;;#ASMEND
	;;#ASMSTART
	v_cvt_f32_f16 v38, v38;
	;;#ASMEND
	;; [unrolled: 3-line block ×3, first 2 shown]
	ds_read_b128 v[66:69], v9 offset:32
	v_mul_f32_e32 v38, v0, v38
	v_mul_f32_e32 v34, v4, v34
	v_and_b32_e32 v4, 0xffff, v40
	v_fmac_f32_e32 v81, v96, v90
	v_fmac_f32_e32 v38, v50, v1
	v_fmac_f32_e32 v34, v31, v3
	v_and_b32_e32 v3, 0xffff, v30
	s_waitcnt lgkmcnt(0)
	v_lshrrev_b32_e32 v1, 16, v66
	v_and_b32_e32 v0, 0xffff, v66
	;;#ASMSTART
	v_cvt_f32_f16 v0, v0;
	;;#ASMEND
	;;#ASMSTART
	v_cvt_f32_f16 v1, v1;
	;;#ASMEND
	;;#ASMSTART
	v_cvt_f32_f16 v3, v3;
	;;#ASMEND
	;;#ASMSTART
	v_cvt_f32_f16 v4, v4;
	;;#ASMEND
	v_fmac_f32_e32 v64, v0, v3
	v_fmac_f32_e32 v2, v1, v4
	v_lshrrev_b32_e32 v1, 16, v67
	v_and_b32_e32 v0, 0xffff, v67
	v_and_b32_e32 v3, 0xffff, v119
	v_and_b32_e32 v4, 0xffff, v118
	;;#ASMSTART
	v_cvt_f32_f16 v0, v0;
	;;#ASMEND
	;;#ASMSTART
	v_cvt_f32_f16 v1, v1;
	;;#ASMEND
	;;#ASMSTART
	v_cvt_f32_f16 v3, v3;
	;;#ASMEND
	;;#ASMSTART
	v_cvt_f32_f16 v4, v4;
	;;#ASMEND
	v_fmac_f32_e32 v71, v0, v3
	v_fmac_f32_e32 v70, v1, v4
	v_lshrrev_b32_e32 v1, 16, v68
	v_and_b32_e32 v0, 0xffff, v68
	v_and_b32_e32 v3, 0xffff, v101
	;; [unrolled: 18-line block ×3, first 2 shown]
	v_and_b32_e32 v4, 0xffff, v98
	;;#ASMSTART
	v_cvt_f32_f16 v0, v0;
	;;#ASMEND
	;;#ASMSTART
	v_cvt_f32_f16 v1, v1;
	;;#ASMEND
	;; [unrolled: 3-line block ×4, first 2 shown]
	ds_read_b128 v[66:69], v9 offset:48
	v_fmac_f32_e32 v38, v0, v3
	v_fmac_f32_e32 v34, v1, v4
	v_and_b32_e32 v3, 0xffff, v56
	v_and_b32_e32 v4, 0xffff, v47
	s_waitcnt lgkmcnt(0)
	v_lshrrev_b32_e32 v1, 16, v66
	v_and_b32_e32 v0, 0xffff, v66
	;;#ASMSTART
	v_cvt_f32_f16 v0, v0;
	;;#ASMEND
	;;#ASMSTART
	v_cvt_f32_f16 v1, v1;
	;;#ASMEND
	;;#ASMSTART
	v_cvt_f32_f16 v3, v3;
	;;#ASMEND
	;;#ASMSTART
	v_cvt_f32_f16 v4, v4;
	;;#ASMEND
	v_fmac_f32_e32 v64, v0, v3
	v_fmac_f32_e32 v2, v1, v4
	v_lshrrev_b32_e32 v1, 16, v67
	v_and_b32_e32 v0, 0xffff, v67
	v_and_b32_e32 v3, 0xffff, v46
	v_and_b32_e32 v4, 0xffff, v117
	;;#ASMSTART
	v_cvt_f32_f16 v0, v0;
	;;#ASMEND
	;;#ASMSTART
	v_cvt_f32_f16 v1, v1;
	;;#ASMEND
	;;#ASMSTART
	v_cvt_f32_f16 v3, v3;
	;;#ASMEND
	;;#ASMSTART
	v_cvt_f32_f16 v4, v4;
	;;#ASMEND
	v_fmac_f32_e32 v71, v0, v3
	v_fmac_f32_e32 v70, v1, v4
	v_lshrrev_b32_e32 v1, 16, v68
	v_and_b32_e32 v0, 0xffff, v68
	v_and_b32_e32 v3, 0xffff, v116
	;; [unrolled: 18-line block ×3, first 2 shown]
	v_and_b32_e32 v4, 0xffff, v113
	;;#ASMSTART
	v_cvt_f32_f16 v0, v0;
	;;#ASMEND
	;;#ASMSTART
	v_cvt_f32_f16 v1, v1;
	;;#ASMEND
	;; [unrolled: 3-line block ×4, first 2 shown]
	ds_read_b128 v[66:69], v9 offset:64
	v_fmac_f32_e32 v38, v0, v3
	v_fmac_f32_e32 v34, v1, v4
	v_and_b32_e32 v3, 0xffff, v72
	v_and_b32_e32 v4, 0xffff, v63
	s_waitcnt lgkmcnt(0)
	v_lshrrev_b32_e32 v1, 16, v66
	v_and_b32_e32 v0, 0xffff, v66
	;;#ASMSTART
	v_cvt_f32_f16 v0, v0;
	;;#ASMEND
	;;#ASMSTART
	v_cvt_f32_f16 v1, v1;
	;;#ASMEND
	;;#ASMSTART
	v_cvt_f32_f16 v3, v3;
	;;#ASMEND
	;;#ASMSTART
	v_cvt_f32_f16 v4, v4;
	;;#ASMEND
	v_fmac_f32_e32 v64, v0, v3
	v_fmac_f32_e32 v2, v1, v4
	v_lshrrev_b32_e32 v1, 16, v67
	v_and_b32_e32 v0, 0xffff, v67
	v_and_b32_e32 v3, 0xffff, v62
	v_and_b32_e32 v4, 0xffff, v45
	;;#ASMSTART
	v_cvt_f32_f16 v0, v0;
	;;#ASMEND
	;;#ASMSTART
	v_cvt_f32_f16 v1, v1;
	;;#ASMEND
	;;#ASMSTART
	v_cvt_f32_f16 v3, v3;
	;;#ASMEND
	;;#ASMSTART
	v_cvt_f32_f16 v4, v4;
	;;#ASMEND
	v_fmac_f32_e32 v71, v0, v3
	v_fmac_f32_e32 v70, v1, v4
	v_lshrrev_b32_e32 v1, 16, v68
	v_and_b32_e32 v0, 0xffff, v68
	v_and_b32_e32 v3, 0xffff, v44
	;; [unrolled: 18-line block ×3, first 2 shown]
	v_and_b32_e32 v4, 0xffff, v41
	;;#ASMSTART
	v_cvt_f32_f16 v0, v0;
	;;#ASMEND
	;;#ASMSTART
	v_cvt_f32_f16 v1, v1;
	;;#ASMEND
	;; [unrolled: 3-line block ×4, first 2 shown]
	ds_read_b128 v[66:69], v9 offset:80
	v_fmac_f32_e32 v38, v0, v3
	v_fmac_f32_e32 v34, v1, v4
	v_and_b32_e32 v3, 0xffff, v106
	v_and_b32_e32 v4, 0xffff, v95
	s_waitcnt lgkmcnt(0)
	v_lshrrev_b32_e32 v1, 16, v66
	v_and_b32_e32 v0, 0xffff, v66
	;;#ASMSTART
	v_cvt_f32_f16 v0, v0;
	;;#ASMEND
	;;#ASMSTART
	v_cvt_f32_f16 v1, v1;
	;;#ASMEND
	;;#ASMSTART
	v_cvt_f32_f16 v3, v3;
	;;#ASMEND
	;;#ASMSTART
	v_cvt_f32_f16 v4, v4;
	;;#ASMEND
	v_fmac_f32_e32 v64, v0, v3
	v_fmac_f32_e32 v2, v1, v4
	v_lshrrev_b32_e32 v1, 16, v67
	v_and_b32_e32 v0, 0xffff, v67
	v_and_b32_e32 v3, 0xffff, v94
	v_and_b32_e32 v4, 0xffff, v61
	;;#ASMSTART
	v_cvt_f32_f16 v0, v0;
	;;#ASMEND
	;;#ASMSTART
	v_cvt_f32_f16 v1, v1;
	;;#ASMEND
	;;#ASMSTART
	v_cvt_f32_f16 v3, v3;
	;;#ASMEND
	;;#ASMSTART
	v_cvt_f32_f16 v4, v4;
	;;#ASMEND
	v_fmac_f32_e32 v71, v0, v3
	v_fmac_f32_e32 v70, v1, v4
	v_lshrrev_b32_e32 v1, 16, v68
	v_and_b32_e32 v0, 0xffff, v68
	v_and_b32_e32 v3, 0xffff, v60
	;; [unrolled: 18-line block ×3, first 2 shown]
	v_and_b32_e32 v4, 0xffff, v57
	;;#ASMSTART
	v_cvt_f32_f16 v0, v0;
	;;#ASMEND
	;;#ASMSTART
	v_cvt_f32_f16 v1, v1;
	;;#ASMEND
	;; [unrolled: 3-line block ×4, first 2 shown]
	ds_read_b128 v[66:69], v9 offset:96
	v_fmac_f32_e32 v38, v0, v3
	v_fmac_f32_e32 v34, v1, v4
	v_and_b32_e32 v3, 0xffff, v29
	v_and_b32_e32 v4, 0xffff, v28
	s_waitcnt lgkmcnt(0)
	v_lshrrev_b32_e32 v1, 16, v66
	v_and_b32_e32 v0, 0xffff, v66
	;;#ASMSTART
	v_cvt_f32_f16 v0, v0;
	;;#ASMEND
	;;#ASMSTART
	v_cvt_f32_f16 v1, v1;
	;;#ASMEND
	;;#ASMSTART
	v_cvt_f32_f16 v3, v3;
	;;#ASMEND
	;;#ASMSTART
	v_cvt_f32_f16 v4, v4;
	;;#ASMEND
	v_fmac_f32_e32 v64, v0, v3
	v_fmac_f32_e32 v2, v1, v4
	v_lshrrev_b32_e32 v1, 16, v67
	v_and_b32_e32 v0, 0xffff, v67
	v_and_b32_e32 v3, 0xffff, v122
	v_and_b32_e32 v4, 0xffff, v91
	;;#ASMSTART
	v_cvt_f32_f16 v0, v0;
	;;#ASMEND
	;;#ASMSTART
	v_cvt_f32_f16 v1, v1;
	;;#ASMEND
	;;#ASMSTART
	v_cvt_f32_f16 v3, v3;
	;;#ASMEND
	;;#ASMSTART
	v_cvt_f32_f16 v4, v4;
	;;#ASMEND
	v_fmac_f32_e32 v71, v0, v3
	v_fmac_f32_e32 v70, v1, v4
	v_lshrrev_b32_e32 v1, 16, v68
	v_and_b32_e32 v0, 0xffff, v68
	v_and_b32_e32 v3, 0xffff, v89
	;; [unrolled: 18-line block ×3, first 2 shown]
	v_and_b32_e32 v4, 0xffff, v5
	;;#ASMSTART
	v_cvt_f32_f16 v0, v0;
	;;#ASMEND
	;;#ASMSTART
	v_cvt_f32_f16 v1, v1;
	;;#ASMEND
	;; [unrolled: 3-line block ×4, first 2 shown]
	ds_read_b128 v[28:31], v9 offset:112
	v_fmac_f32_e32 v38, v0, v3
	v_fmac_f32_e32 v34, v1, v4
	v_and_b32_e32 v3, 0xffff, v97
	v_and_b32_e32 v4, 0xffff, v108
	s_waitcnt lgkmcnt(0)
	v_lshrrev_b32_e32 v1, 16, v28
	v_and_b32_e32 v0, 0xffff, v28
	;;#ASMSTART
	v_cvt_f32_f16 v0, v0;
	;;#ASMEND
	;;#ASMSTART
	v_cvt_f32_f16 v1, v1;
	;;#ASMEND
	;;#ASMSTART
	v_cvt_f32_f16 v3, v3;
	;;#ASMEND
	;;#ASMSTART
	v_cvt_f32_f16 v4, v4;
	;;#ASMEND
	v_fmac_f32_e32 v64, v0, v3
	v_fmac_f32_e32 v2, v1, v4
	v_lshrrev_b32_e32 v1, 16, v29
	v_and_b32_e32 v0, 0xffff, v29
	v_and_b32_e32 v3, 0xffff, v124
	v_and_b32_e32 v4, 0xffff, v6
	;;#ASMSTART
	v_cvt_f32_f16 v0, v0;
	;;#ASMEND
	;;#ASMSTART
	v_cvt_f32_f16 v1, v1;
	;;#ASMEND
	;;#ASMSTART
	v_cvt_f32_f16 v3, v3;
	;;#ASMEND
	;;#ASMSTART
	v_cvt_f32_f16 v4, v4;
	;;#ASMEND
	v_fmac_f32_e32 v71, v0, v3
	v_fmac_f32_e32 v70, v1, v4
	v_lshrrev_b32_e32 v1, 16, v30
	v_and_b32_e32 v0, 0xffff, v30
	v_and_b32_e32 v3, 0xffff, v7
	;; [unrolled: 18-line block ×3, first 2 shown]
	v_and_b32_e32 v4, 0xffff, v12
	;;#ASMSTART
	v_cvt_f32_f16 v0, v0;
	;;#ASMEND
	;;#ASMSTART
	v_cvt_f32_f16 v1, v1;
	;;#ASMEND
	;; [unrolled: 3-line block ×4, first 2 shown]
	ds_read_b128 v[28:31], v9 offset:128
	v_fmac_f32_e32 v38, v0, v3
	v_fmac_f32_e32 v34, v1, v4
	v_and_b32_e32 v3, 0xffff, v86
	v_and_b32_e32 v4, 0xffff, v84
	v_and_b32_e32 v7, 0xffff, v78
	s_waitcnt lgkmcnt(0)
	v_lshrrev_b32_e32 v1, 16, v28
	v_and_b32_e32 v0, 0xffff, v28
	;;#ASMSTART
	v_cvt_f32_f16 v0, v0;
	;;#ASMEND
	;;#ASMSTART
	v_cvt_f32_f16 v1, v1;
	;;#ASMEND
	;;#ASMSTART
	v_cvt_f32_f16 v3, v3;
	;;#ASMEND
	;;#ASMSTART
	v_cvt_f32_f16 v4, v4;
	;;#ASMEND
	v_fmac_f32_e32 v64, v0, v3
	v_fmac_f32_e32 v2, v1, v4
	v_lshrrev_b32_e32 v1, 16, v29
	v_and_b32_e32 v0, 0xffff, v29
	v_and_b32_e32 v3, 0xffff, v83
	v_and_b32_e32 v4, 0xffff, v36
	;;#ASMSTART
	v_cvt_f32_f16 v0, v0;
	;;#ASMEND
	;;#ASMSTART
	v_cvt_f32_f16 v1, v1;
	;;#ASMEND
	;;#ASMSTART
	v_cvt_f32_f16 v3, v3;
	;;#ASMEND
	;;#ASMSTART
	v_cvt_f32_f16 v4, v4;
	;;#ASMEND
	v_fmac_f32_e32 v71, v0, v3
	v_fmac_f32_e32 v70, v1, v4
	v_lshrrev_b32_e32 v1, 16, v30
	v_and_b32_e32 v0, 0xffff, v30
	v_and_b32_e32 v3, 0xffff, v15
	v_and_b32_e32 v4, 0xffff, v13
	;;#ASMSTART
	v_cvt_f32_f16 v0, v0;
	;;#ASMEND
	;;#ASMSTART
	v_cvt_f32_f16 v1, v1;
	;;#ASMEND
	;;#ASMSTART
	v_cvt_f32_f16 v3, v3;
	;;#ASMEND
	;;#ASMSTART
	v_cvt_f32_f16 v4, v4;
	;;#ASMEND
	v_fmac_f32_e32 v81, v0, v3
	v_fmac_f32_e32 v80, v1, v4
	v_lshrrev_b32_e32 v1, 16, v31
	v_and_b32_e32 v0, 0xffff, v31
	v_and_b32_e32 v3, 0xffff, v11
	v_and_b32_e32 v4, 0xffff, v10
	;;#ASMSTART
	v_cvt_f32_f16 v0, v0;
	;;#ASMEND
	;;#ASMSTART
	v_cvt_f32_f16 v1, v1;
	;;#ASMEND
	;; [unrolled: 3-line block ×4, first 2 shown]
	ds_read_b128 v[28:31], v9 offset:144
	v_fmac_f32_e32 v38, v0, v3
	v_fmac_f32_e32 v34, v1, v4
	v_and_b32_e32 v3, 0xffff, v14
	v_and_b32_e32 v4, 0xffff, v16
	s_waitcnt lgkmcnt(0)
	v_lshrrev_b32_e32 v1, 16, v28
	v_and_b32_e32 v0, 0xffff, v28
	;;#ASMSTART
	v_cvt_f32_f16 v0, v0;
	;;#ASMEND
	;;#ASMSTART
	v_cvt_f32_f16 v1, v1;
	;;#ASMEND
	;;#ASMSTART
	v_cvt_f32_f16 v3, v3;
	;;#ASMEND
	;;#ASMSTART
	v_cvt_f32_f16 v4, v4;
	;;#ASMEND
	v_fmac_f32_e32 v64, v0, v3
	v_fmac_f32_e32 v2, v1, v4
	v_lshrrev_b32_e32 v1, 16, v29
	v_and_b32_e32 v0, 0xffff, v29
	v_and_b32_e32 v3, 0xffff, v52
	v_and_b32_e32 v4, 0xffff, v54
	;;#ASMSTART
	v_cvt_f32_f16 v0, v0;
	;;#ASMEND
	;;#ASMSTART
	v_cvt_f32_f16 v1, v1;
	;;#ASMEND
	;;#ASMSTART
	v_cvt_f32_f16 v3, v3;
	;;#ASMEND
	;;#ASMSTART
	v_cvt_f32_f16 v4, v4;
	;;#ASMEND
	v_fmac_f32_e32 v71, v0, v3
	v_fmac_f32_e32 v70, v1, v4
	v_lshrrev_b32_e32 v1, 16, v30
	v_and_b32_e32 v0, 0xffff, v30
	v_and_b32_e32 v3, 0xffff, v24
	;; [unrolled: 18-line block ×3, first 2 shown]
	v_and_b32_e32 v4, 0xffff, v35
	;;#ASMSTART
	v_cvt_f32_f16 v0, v0;
	;;#ASMEND
	;;#ASMSTART
	v_cvt_f32_f16 v1, v1;
	;;#ASMEND
	;; [unrolled: 3-line block ×4, first 2 shown]
	ds_read_b128 v[11:14], v9 offset:160
	v_fmac_f32_e32 v38, v0, v3
	v_fmac_f32_e32 v34, v1, v4
	v_and_b32_e32 v3, 0xffff, v39
	v_and_b32_e32 v4, 0xffff, v17
	s_waitcnt lgkmcnt(0)
	v_lshrrev_b32_e32 v1, 16, v11
	v_and_b32_e32 v0, 0xffff, v11
	;;#ASMSTART
	v_cvt_f32_f16 v0, v0;
	;;#ASMEND
	;;#ASMSTART
	v_cvt_f32_f16 v1, v1;
	;;#ASMEND
	;;#ASMSTART
	v_cvt_f32_f16 v3, v3;
	;;#ASMEND
	;;#ASMSTART
	v_cvt_f32_f16 v4, v4;
	;;#ASMEND
	v_fmac_f32_e32 v64, v0, v3
	v_fmac_f32_e32 v2, v1, v4
	v_lshrrev_b32_e32 v1, 16, v12
	v_and_b32_e32 v0, 0xffff, v12
	v_and_b32_e32 v3, 0xffff, v18
	v_and_b32_e32 v4, 0xffff, v32
	;;#ASMSTART
	v_cvt_f32_f16 v0, v0;
	;;#ASMEND
	;;#ASMSTART
	v_cvt_f32_f16 v1, v1;
	;;#ASMEND
	;;#ASMSTART
	v_cvt_f32_f16 v3, v3;
	;;#ASMEND
	;;#ASMSTART
	v_cvt_f32_f16 v4, v4;
	;;#ASMEND
	v_fmac_f32_e32 v71, v0, v3
	v_fmac_f32_e32 v70, v1, v4
	v_lshrrev_b32_e32 v1, 16, v13
	v_and_b32_e32 v0, 0xffff, v13
	v_and_b32_e32 v3, 0xffff, v23
	;; [unrolled: 18-line block ×3, first 2 shown]
	v_and_b32_e32 v4, 0xffff, v75
	;;#ASMSTART
	v_cvt_f32_f16 v0, v0;
	;;#ASMEND
	;;#ASMSTART
	v_cvt_f32_f16 v1, v1;
	;;#ASMEND
	;; [unrolled: 3-line block ×4, first 2 shown]
	v_fmac_f32_e32 v38, v0, v3
	v_fmac_f32_e32 v34, v1, v4
	ds_read_b128 v[3:6], v9 offset:176
	s_waitcnt lgkmcnt(0)
	v_lshrrev_b32_e32 v1, 16, v3
	v_and_b32_e32 v0, 0xffff, v3
	v_and_b32_e32 v3, 0xffff, v110
	;;#ASMSTART
	v_cvt_f32_f16 v0, v0;
	;;#ASMEND
	;;#ASMSTART
	v_cvt_f32_f16 v1, v1;
	;;#ASMEND
	;;#ASMSTART
	v_cvt_f32_f16 v3, v3;
	;;#ASMEND
	;;#ASMSTART
	v_cvt_f32_f16 v7, v7;
	;;#ASMEND
	v_fmac_f32_e32 v64, v0, v3
	v_fmac_f32_e32 v2, v1, v7
	v_lshrrev_b32_e32 v1, 16, v4
	v_and_b32_e32 v0, 0xffff, v4
	v_and_b32_e32 v3, 0xffff, v79
	v_and_b32_e32 v4, 0xffff, v105
	;;#ASMSTART
	v_cvt_f32_f16 v0, v0;
	;;#ASMEND
	;;#ASMSTART
	v_cvt_f32_f16 v1, v1;
	;;#ASMEND
	;;#ASMSTART
	v_cvt_f32_f16 v3, v3;
	;;#ASMEND
	;;#ASMSTART
	v_cvt_f32_f16 v4, v4;
	;;#ASMEND
	v_fmac_f32_e32 v71, v0, v3
	v_fmac_f32_e32 v70, v1, v4
	v_lshrrev_b32_e32 v1, 16, v5
	v_and_b32_e32 v0, 0xffff, v5
	;; [unrolled: 18-line block ×3, first 2 shown]
	v_and_b32_e32 v3, 0xffff, v127
	v_and_b32_e32 v4, 0xffff, v126
	;;#ASMSTART
	v_cvt_f32_f16 v0, v0;
	;;#ASMEND
	;;#ASMSTART
	v_cvt_f32_f16 v1, v1;
	;;#ASMEND
	;;#ASMSTART
	v_cvt_f32_f16 v3, v3;
	;;#ASMEND
	;;#ASMSTART
	v_cvt_f32_f16 v4, v4;
	;;#ASMEND
	v_fmac_f32_e32 v38, v0, v3
	v_fmac_f32_e32 v34, v1, v4
	ds_read_b128 v[3:6], v9 offset:192
	s_waitcnt lgkmcnt(0)
	v_lshrrev_b32_e32 v1, 16, v3
	v_and_b32_e32 v0, 0xffff, v3
	;;#ASMSTART
	v_cvt_f32_f16 v0, v0;
	;;#ASMEND
	;;#ASMSTART
	v_cvt_f32_f16 v1, v1;
	;;#ASMEND
	buffer_load_dword v3, off, s[0:3], s32 offset:320 ; 4-byte Folded Reload
	s_waitcnt vmcnt(0)
	v_and_b32_e32 v3, 0xffff, v3
	;;#ASMSTART
	v_cvt_f32_f16 v3, v3;
	;;#ASMEND
	buffer_load_dword v7, off, s[0:3], s32 offset:316 ; 4-byte Folded Reload
	v_fmac_f32_e32 v64, v0, v3
	v_and_b32_e32 v0, 0xffff, v4
	s_waitcnt vmcnt(0)
	v_and_b32_e32 v7, 0xffff, v7
	;;#ASMSTART
	v_cvt_f32_f16 v7, v7;
	;;#ASMEND
	v_fmac_f32_e32 v2, v1, v7
	v_lshrrev_b32_e32 v1, 16, v4
	;;#ASMSTART
	v_cvt_f32_f16 v0, v0;
	;;#ASMEND
	;;#ASMSTART
	v_cvt_f32_f16 v1, v1;
	;;#ASMEND
	buffer_load_dword v3, off, s[0:3], s32 offset:312 ; 4-byte Folded Reload
	s_waitcnt vmcnt(0)
	v_and_b32_e32 v3, 0xffff, v3
	;;#ASMSTART
	v_cvt_f32_f16 v3, v3;
	;;#ASMEND
	buffer_load_dword v4, off, s[0:3], s32 offset:308 ; 4-byte Folded Reload
	v_fmac_f32_e32 v71, v0, v3
	v_and_b32_e32 v0, 0xffff, v5
	v_and_b32_e32 v3, 0xffff, v111
	s_waitcnt vmcnt(0)
	v_and_b32_e32 v4, 0xffff, v4
	;;#ASMSTART
	v_cvt_f32_f16 v4, v4;
	;;#ASMEND
	v_fmac_f32_e32 v70, v1, v4
	v_lshrrev_b32_e32 v1, 16, v5
	;;#ASMSTART
	v_cvt_f32_f16 v0, v0;
	;;#ASMEND
	;;#ASMSTART
	v_cvt_f32_f16 v1, v1;
	;;#ASMEND
	;; [unrolled: 3-line block ×3, first 2 shown]
	buffer_load_dword v4, off, s[0:3], s32 offset:304 ; 4-byte Folded Reload
	v_fmac_f32_e32 v81, v0, v3
	v_and_b32_e32 v0, 0xffff, v6
	s_waitcnt vmcnt(0)
	v_and_b32_e32 v4, 0xffff, v4
	;;#ASMSTART
	v_cvt_f32_f16 v4, v4;
	;;#ASMEND
	v_fmac_f32_e32 v80, v1, v4
	v_lshrrev_b32_e32 v1, 16, v6
	;;#ASMSTART
	v_cvt_f32_f16 v0, v0;
	;;#ASMEND
	;;#ASMSTART
	v_cvt_f32_f16 v1, v1;
	;;#ASMEND
	buffer_load_dword v3, off, s[0:3], s32 offset:300 ; 4-byte Folded Reload
	s_waitcnt vmcnt(0)
	v_and_b32_e32 v3, 0xffff, v3
	;;#ASMSTART
	v_cvt_f32_f16 v3, v3;
	;;#ASMEND
	buffer_load_dword v4, off, s[0:3], s32 offset:296 ; 4-byte Folded Reload
	v_fmac_f32_e32 v38, v0, v3
	s_waitcnt vmcnt(0)
	v_and_b32_e32 v4, 0xffff, v4
	;;#ASMSTART
	v_cvt_f32_f16 v4, v4;
	;;#ASMEND
	v_fmac_f32_e32 v34, v1, v4
	ds_read_b128 v[3:6], v9 offset:208
	s_waitcnt lgkmcnt(0)
	v_lshrrev_b32_e32 v1, 16, v3
	v_and_b32_e32 v0, 0xffff, v3
	;;#ASMSTART
	v_cvt_f32_f16 v0, v0;
	;;#ASMEND
	;;#ASMSTART
	v_cvt_f32_f16 v1, v1;
	;;#ASMEND
	buffer_load_dword v3, off, s[0:3], s32 offset:292 ; 4-byte Folded Reload
	s_waitcnt vmcnt(0)
	v_and_b32_e32 v3, 0xffff, v3
	;;#ASMSTART
	v_cvt_f32_f16 v3, v3;
	;;#ASMEND
	buffer_load_dword v7, off, s[0:3], s32 offset:288 ; 4-byte Folded Reload
	v_fmac_f32_e32 v64, v0, v3
	v_and_b32_e32 v0, 0xffff, v4
	s_waitcnt vmcnt(0)
	v_and_b32_e32 v7, 0xffff, v7
	;;#ASMSTART
	v_cvt_f32_f16 v7, v7;
	;;#ASMEND
	v_fmac_f32_e32 v2, v1, v7
	v_lshrrev_b32_e32 v1, 16, v4
	;;#ASMSTART
	v_cvt_f32_f16 v0, v0;
	;;#ASMEND
	;;#ASMSTART
	v_cvt_f32_f16 v1, v1;
	;;#ASMEND
	buffer_load_dword v3, off, s[0:3], s32 offset:284 ; 4-byte Folded Reload
	v_and_b32_e32 v7, 0xffff, v65
	s_waitcnt vmcnt(0)
	v_and_b32_e32 v3, 0xffff, v3
	;;#ASMSTART
	v_cvt_f32_f16 v3, v3;
	;;#ASMEND
	buffer_load_dword v4, off, s[0:3], s32 offset:280 ; 4-byte Folded Reload
	v_fmac_f32_e32 v71, v0, v3
	v_and_b32_e32 v0, 0xffff, v5
	s_waitcnt vmcnt(0)
	v_and_b32_e32 v4, 0xffff, v4
	;;#ASMSTART
	v_cvt_f32_f16 v4, v4;
	;;#ASMEND
	v_fmac_f32_e32 v70, v1, v4
	v_lshrrev_b32_e32 v1, 16, v5
	;;#ASMSTART
	v_cvt_f32_f16 v0, v0;
	;;#ASMEND
	;;#ASMSTART
	v_cvt_f32_f16 v1, v1;
	;;#ASMEND
	buffer_load_dword v3, off, s[0:3], s32 offset:276 ; 4-byte Folded Reload
	s_waitcnt vmcnt(0)
	v_and_b32_e32 v3, 0xffff, v3
	;;#ASMSTART
	v_cvt_f32_f16 v3, v3;
	;;#ASMEND
	buffer_load_dword v4, off, s[0:3], s32 offset:272 ; 4-byte Folded Reload
	v_fmac_f32_e32 v81, v0, v3
	v_and_b32_e32 v0, 0xffff, v6
	s_waitcnt vmcnt(0)
	v_and_b32_e32 v4, 0xffff, v4
	;;#ASMSTART
	v_cvt_f32_f16 v4, v4;
	;;#ASMEND
	v_fmac_f32_e32 v80, v1, v4
	v_lshrrev_b32_e32 v1, 16, v6
	;;#ASMSTART
	v_cvt_f32_f16 v0, v0;
	;;#ASMEND
	;;#ASMSTART
	v_cvt_f32_f16 v1, v1;
	;;#ASMEND
	buffer_load_dword v3, off, s[0:3], s32 offset:268 ; 4-byte Folded Reload
	s_waitcnt vmcnt(0)
	v_and_b32_e32 v3, 0xffff, v3
	;;#ASMSTART
	v_cvt_f32_f16 v3, v3;
	;;#ASMEND
	buffer_load_dword v4, off, s[0:3], s32 offset:264 ; 4-byte Folded Reload
	v_fmac_f32_e32 v38, v0, v3
	s_waitcnt vmcnt(0)
	v_and_b32_e32 v4, 0xffff, v4
	;;#ASMSTART
	v_cvt_f32_f16 v4, v4;
	;;#ASMEND
	v_fmac_f32_e32 v34, v1, v4
	ds_read_b128 v[3:6], v9 offset:224
	s_waitcnt lgkmcnt(0)
	v_lshrrev_b32_e32 v1, 16, v3
	v_and_b32_e32 v0, 0xffff, v3
	v_and_b32_e32 v3, 0xffff, v123
	;;#ASMSTART
	v_cvt_f32_f16 v0, v0;
	;;#ASMEND
	;;#ASMSTART
	v_cvt_f32_f16 v1, v1;
	;;#ASMEND
	;; [unrolled: 3-line block ×4, first 2 shown]
	v_fmac_f32_e32 v64, v0, v3
	v_fmac_f32_e32 v2, v1, v7
	v_lshrrev_b32_e32 v1, 16, v4
	v_and_b32_e32 v0, 0xffff, v4
	v_and_b32_e32 v3, 0xffff, v121
	;;#ASMSTART
	v_cvt_f32_f16 v0, v0;
	;;#ASMEND
	;;#ASMSTART
	v_cvt_f32_f16 v1, v1;
	;;#ASMEND
	;; [unrolled: 3-line block ×3, first 2 shown]
	buffer_load_dword v4, off, s[0:3], s32 offset:212 ; 4-byte Folded Reload
	v_fmac_f32_e32 v71, v0, v3
	v_and_b32_e32 v0, 0xffff, v5
	v_and_b32_e32 v3, 0xffff, v93
	s_waitcnt vmcnt(0)
	v_and_b32_e32 v4, 0xffff, v4
	;;#ASMSTART
	v_cvt_f32_f16 v4, v4;
	;;#ASMEND
	v_fmac_f32_e32 v70, v1, v4
	v_lshrrev_b32_e32 v1, 16, v5
	;;#ASMSTART
	v_cvt_f32_f16 v0, v0;
	;;#ASMEND
	;;#ASMSTART
	v_cvt_f32_f16 v1, v1;
	;;#ASMEND
	;; [unrolled: 3-line block ×3, first 2 shown]
	buffer_load_dword v4, off, s[0:3], s32 offset:208 ; 4-byte Folded Reload
	v_fmac_f32_e32 v81, v0, v3
	v_and_b32_e32 v0, 0xffff, v6
	s_waitcnt vmcnt(0)
	v_and_b32_e32 v4, 0xffff, v4
	;;#ASMSTART
	v_cvt_f32_f16 v4, v4;
	;;#ASMEND
	v_fmac_f32_e32 v80, v1, v4
	v_lshrrev_b32_e32 v1, 16, v6
	;;#ASMSTART
	v_cvt_f32_f16 v0, v0;
	;;#ASMEND
	;;#ASMSTART
	v_cvt_f32_f16 v1, v1;
	;;#ASMEND
	buffer_load_dword v3, off, s[0:3], s32 offset:204 ; 4-byte Folded Reload
	s_waitcnt vmcnt(0)
	v_and_b32_e32 v3, 0xffff, v3
	;;#ASMSTART
	v_cvt_f32_f16 v3, v3;
	;;#ASMEND
	buffer_load_dword v4, off, s[0:3], s32 offset:200 ; 4-byte Folded Reload
	v_fmac_f32_e32 v38, v0, v3
	v_add_f32_e32 v0, v64, v2
	v_add_f32_e32 v0, v0, v71
	;; [unrolled: 1-line block ×6, first 2 shown]
	s_waitcnt vmcnt(0)
	v_and_b32_e32 v4, 0xffff, v4
	;;#ASMSTART
	v_cvt_f32_f16 v4, v4;
	;;#ASMEND
	v_fmac_f32_e32 v34, v1, v4
	s_clause 0x1
	buffer_load_dword v1, off, s[0:3], s32 offset:332
	buffer_load_dword v7, off, s[0:3], s32 offset:260
	v_add_f32_e32 v0, v34, v0
	s_waitcnt vmcnt(1)
	v_fmac_f32_e32 v8, v1, v0
	v_cndmask_b32_e64 v0, 0, v8, s5
	ds_write_b32 v109, v0
	s_waitcnt vmcnt(0)
	v_max_f32_e32 v0, v7, v7
	v_add_nc_u32_e32 v109, 0x200, v109
	v_max_f32_e32 v0, v0, v8
	v_cndmask_b32_e64 v7, v7, v0, s5
	buffer_load_dword v0, off, s[0:3], s32 offset:256 ; 4-byte Folded Reload
	v_add_co_u32 v20, s5, v20, 16
	v_add_co_ci_u32_e64 v21, null, 0, v21, s5
	s_waitcnt vmcnt(0)
	v_cmp_ge_i32_e64 s5, v73, v0
	s_or_b32 s17, s5, s17
	s_andn2_b32 exec_lo, exec_lo, s17
	s_cbranch_execz .LBB323_968
.LBB323_11:                             ; =>This Inner Loop Header: Depth=1
	buffer_store_dword v73, off, s[0:3], s32 offset:248 ; 4-byte Folded Spill
	buffer_store_dword v109, off, s[0:3], s32 offset:244 ; 4-byte Folded Spill
	;; [unrolled: 1-line block ×4, first 2 shown]
	flat_load_dword v0, v[20:21]
	s_clause 0x2
	buffer_load_dword v1, off, s[0:3], s32 offset:252
	buffer_load_dword v2, off, s[0:3], s32 offset:340
	;; [unrolled: 1-line block ×3, first 2 shown]
	v_mov_b32_e32 v85, 0
	s_waitcnt vmcnt(0) lgkmcnt(0)
	v_mad_i64_i32 v[28:29], null, v0, v1, v[2:3]
	flat_load_dwordx2 v[30:31], v[28:29]
	s_clause 0x1
	buffer_load_dword v0, off, s[0:3], s32 offset:324
	buffer_load_dword v1, off, s[0:3], s32 offset:328
	s_waitcnt vmcnt(2) lgkmcnt(0)
	v_cmp_ne_u16_sdwa s5, v30, v9 src0_sel:BYTE_0 src1_sel:DWORD
	s_waitcnt vmcnt(0)
	flat_load_dword v64, v[0:1]
	s_and_saveexec_b32 s21, s5
	s_cbranch_execz .LBB323_19
; %bb.12:                               ;   in Loop: Header=BB323_11 Depth=1
	v_cmp_ne_u16_sdwa s5, v30, v51 src0_sel:BYTE_0 src1_sel:DWORD
	v_mov_b32_e32 v85, 0x8000
	s_and_saveexec_b32 s22, s5
	s_cbranch_execz .LBB323_18
; %bb.13:                               ;   in Loop: Header=BB323_11 Depth=1
	v_and_b32_e32 v2, 0x7f, v30
	v_mov_b32_e32 v85, 0x7c01
	s_mov_b32 s23, exec_lo
	v_cmpx_ne_u32_e32 0x7f, v2
	s_cbranch_execz .LBB323_17
; %bb.14:                               ;   in Loop: Header=BB323_11 Depth=1
	v_and_b32_e32 v0, 7, v30
	v_lshrrev_b32_e32 v1, 3, v2
	s_mov_b32 s24, exec_lo
	v_cmpx_gt_u32_e32 8, v2
; %bb.15:                               ;   in Loop: Header=BB323_11 Depth=1
	v_ffbh_u32_e32 v0, v0
	v_min_u32_e32 v2, 32, v0
	v_subrev_nc_u32_e32 v0, 28, v2
	v_lshlrev_b64 v[0:1], v0, v[30:31]
	v_sub_nc_u32_e32 v1, 29, v2
	v_and_b32_e32 v0, 7, v0
; %bb.16:                               ;   in Loop: Header=BB323_11 Depth=1
	s_or_b32 exec_lo, exec_lo, s24
	v_lshlrev_b32_e32 v2, 8, v30
	v_lshl_add_u32 v1, v1, 10, 0x2000
	v_lshlrev_b32_e32 v0, 7, v0
	v_and_b32_e32 v2, 0x8000, v2
	v_and_b32_e32 v1, 0xfc00, v1
	v_or3_b32 v85, v2, v1, v0
.LBB323_17:                             ;   in Loop: Header=BB323_11 Depth=1
	s_or_b32 exec_lo, exec_lo, s23
.LBB323_18:                             ;   in Loop: Header=BB323_11 Depth=1
	s_or_b32 exec_lo, exec_lo, s22
.LBB323_19:                             ;   in Loop: Header=BB323_11 Depth=1
	s_or_b32 exec_lo, exec_lo, s21
	v_lshrrev_b16 v8, 8, v30
	v_mov_b32_e32 v92, 0
	v_mov_b32_e32 v80, 0
	s_mov_b32 s21, exec_lo
	v_cmpx_ne_u16_e32 0, v8
	s_cbranch_execz .LBB323_27
; %bb.20:                               ;   in Loop: Header=BB323_11 Depth=1
	v_bfrev_b32_e32 v80, 1
	s_mov_b32 s22, exec_lo
	v_cmpx_ne_u16_e32 0x80, v8
	s_cbranch_execz .LBB323_26
; %bb.21:                               ;   in Loop: Header=BB323_11 Depth=1
	v_mov_b32_e32 v0, 0x7f
	v_mov_b32_e32 v80, 0x7c010000
	s_mov_b32 s23, exec_lo
	v_and_b32_sdwa v2, v8, v0 dst_sel:DWORD dst_unused:UNUSED_PAD src0_sel:WORD_0 src1_sel:DWORD
	v_cmpx_ne_u32_e32 0x7f, v2
	s_cbranch_execz .LBB323_25
; %bb.22:                               ;   in Loop: Header=BB323_11 Depth=1
	v_mov_b32_e32 v0, 7
	v_lshrrev_b32_e32 v1, 3, v2
	s_mov_b32 s24, exec_lo
	v_and_b32_sdwa v0, v8, v0 dst_sel:DWORD dst_unused:UNUSED_PAD src0_sel:WORD_0 src1_sel:DWORD
	v_cmpx_gt_u32_e32 8, v2
; %bb.23:                               ;   in Loop: Header=BB323_11 Depth=1
	v_ffbh_u32_e32 v0, v0
	v_min_u32_e32 v2, 32, v0
	v_subrev_nc_u32_e32 v0, 28, v2
	v_lshlrev_b64 v[0:1], v0, v[8:9]
	v_sub_nc_u32_e32 v1, 29, v2
	v_and_b32_e32 v0, 7, v0
; %bb.24:                               ;   in Loop: Header=BB323_11 Depth=1
	s_or_b32 exec_lo, exec_lo, s24
	v_mov_b32_e32 v2, 8
	v_lshl_add_u32 v1, v1, 10, 0x2000
	v_lshlrev_b32_e32 v0, 23, v0
	v_lshlrev_b32_sdwa v2, v2, v8 dst_sel:DWORD dst_unused:UNUSED_PAD src0_sel:DWORD src1_sel:WORD_0
	v_and_or_b32 v1, 0x8000, v2, v1
	v_lshl_or_b32 v80, v1, 16, v0
.LBB323_25:                             ;   in Loop: Header=BB323_11 Depth=1
	s_or_b32 exec_lo, exec_lo, s23
.LBB323_26:                             ;   in Loop: Header=BB323_11 Depth=1
	s_or_b32 exec_lo, exec_lo, s22
.LBB323_27:                             ;   in Loop: Header=BB323_11 Depth=1
	s_or_b32 exec_lo, exec_lo, s21
	v_lshrrev_b32_e32 v8, 16, v30
	v_cmp_ne_u16_sdwa s5, v8, v9 src0_sel:BYTE_0 src1_sel:DWORD
	s_and_saveexec_b32 s21, s5
	s_cbranch_execz .LBB323_35
; %bb.28:                               ;   in Loop: Header=BB323_11 Depth=1
	v_cmp_ne_u16_sdwa s5, v8, v51 src0_sel:BYTE_0 src1_sel:DWORD
	v_mov_b32_e32 v92, 0x8000
	s_and_saveexec_b32 s22, s5
	s_cbranch_execz .LBB323_34
; %bb.29:                               ;   in Loop: Header=BB323_11 Depth=1
	v_bfe_u32 v2, v30, 16, 7
	v_mov_b32_e32 v92, 0x7c01
	s_mov_b32 s23, exec_lo
	v_cmpx_ne_u32_e32 0x7f, v2
	s_cbranch_execz .LBB323_33
; %bb.30:                               ;   in Loop: Header=BB323_11 Depth=1
	v_and_b32_e32 v0, 7, v8
	v_lshrrev_b32_e32 v1, 3, v2
	s_mov_b32 s24, exec_lo
	v_cmpx_gt_u32_e32 8, v2
; %bb.31:                               ;   in Loop: Header=BB323_11 Depth=1
	v_ffbh_u32_e32 v0, v0
	v_min_u32_e32 v2, 32, v0
	v_subrev_nc_u32_e32 v0, 28, v2
	v_lshlrev_b64 v[0:1], v0, v[8:9]
	v_sub_nc_u32_e32 v1, 29, v2
	v_and_b32_e32 v0, 7, v0
; %bb.32:                               ;   in Loop: Header=BB323_11 Depth=1
	s_or_b32 exec_lo, exec_lo, s24
	v_lshlrev_b32_e32 v2, 8, v8
	v_lshl_add_u32 v1, v1, 10, 0x2000
	v_lshlrev_b32_e32 v0, 7, v0
	v_and_b32_e32 v2, 0x8000, v2
	v_and_b32_e32 v1, 0xfc00, v1
	v_or3_b32 v92, v2, v1, v0
.LBB323_33:                             ;   in Loop: Header=BB323_11 Depth=1
	s_or_b32 exec_lo, exec_lo, s23
.LBB323_34:                             ;   in Loop: Header=BB323_11 Depth=1
	s_or_b32 exec_lo, exec_lo, s22
.LBB323_35:                             ;   in Loop: Header=BB323_11 Depth=1
	s_or_b32 exec_lo, exec_lo, s21
	v_mov_b32_e32 v71, 0
	v_mov_b32_e32 v0, 0
	s_mov_b32 s21, exec_lo
	buffer_store_dword v0, off, s[0:3], s32 offset:200 ; 4-byte Folded Spill
	v_cmpx_lt_u32_e32 0xffffff, v30
	s_cbranch_execz .LBB323_43
; %bb.36:                               ;   in Loop: Header=BB323_11 Depth=1
	v_lshrrev_b32_e32 v8, 24, v30
	v_bfrev_b32_e32 v0, 1
	s_mov_b32 s22, exec_lo
	buffer_store_dword v0, off, s[0:3], s32 offset:200 ; 4-byte Folded Spill
	v_cmpx_ne_u32_e32 0x80, v8
	s_cbranch_execz .LBB323_42
; %bb.37:                               ;   in Loop: Header=BB323_11 Depth=1
	v_and_b32_e32 v2, 0x7f, v8
	v_mov_b32_e32 v0, 0x7c010000
	s_mov_b32 s23, exec_lo
	buffer_store_dword v0, off, s[0:3], s32 offset:200 ; 4-byte Folded Spill
	v_cmpx_ne_u32_e32 0x7f, v2
	s_cbranch_execz .LBB323_41
; %bb.38:                               ;   in Loop: Header=BB323_11 Depth=1
	v_and_b32_e32 v0, 7, v8
	v_lshrrev_b32_e32 v1, 3, v2
	s_mov_b32 s24, exec_lo
	v_cmpx_gt_u32_e32 8, v2
; %bb.39:                               ;   in Loop: Header=BB323_11 Depth=1
	v_ffbh_u32_e32 v0, v0
	v_min_u32_e32 v2, 32, v0
	v_subrev_nc_u32_e32 v0, 28, v2
	v_lshlrev_b64 v[0:1], v0, v[8:9]
	v_sub_nc_u32_e32 v1, 29, v2
	v_and_b32_e32 v0, 7, v0
; %bb.40:                               ;   in Loop: Header=BB323_11 Depth=1
	s_or_b32 exec_lo, exec_lo, s24
	v_lshlrev_b32_e32 v2, 8, v8
	v_lshl_add_u32 v1, v1, 10, 0x2000
	v_lshlrev_b32_e32 v0, 23, v0
	v_and_or_b32 v1, 0x8000, v2, v1
	v_lshl_or_b32 v0, v1, 16, v0
	buffer_store_dword v0, off, s[0:3], s32 offset:200 ; 4-byte Folded Spill
.LBB323_41:                             ;   in Loop: Header=BB323_11 Depth=1
	s_or_b32 exec_lo, exec_lo, s23
.LBB323_42:                             ;   in Loop: Header=BB323_11 Depth=1
	s_or_b32 exec_lo, exec_lo, s22
.LBB323_43:                             ;   in Loop: Header=BB323_11 Depth=1
	s_or_b32 exec_lo, exec_lo, s21
	v_mov_b32_e32 v8, v31
	v_cmp_ne_u16_sdwa s5, v31, v9 src0_sel:BYTE_0 src1_sel:DWORD
	s_and_saveexec_b32 s21, s5
	s_cbranch_execz .LBB323_51
; %bb.44:                               ;   in Loop: Header=BB323_11 Depth=1
	v_cmp_ne_u16_sdwa s5, v31, v51 src0_sel:BYTE_0 src1_sel:DWORD
	v_mov_b32_e32 v71, 0x8000
	s_and_saveexec_b32 s22, s5
	s_cbranch_execz .LBB323_50
; %bb.45:                               ;   in Loop: Header=BB323_11 Depth=1
	v_and_b32_e32 v2, 0x7f, v31
	v_mov_b32_e32 v71, 0x7c01
	s_mov_b32 s23, exec_lo
	v_cmpx_ne_u32_e32 0x7f, v2
	s_cbranch_execz .LBB323_49
; %bb.46:                               ;   in Loop: Header=BB323_11 Depth=1
	v_and_b32_e32 v0, 7, v31
	v_lshrrev_b32_e32 v1, 3, v2
	s_mov_b32 s24, exec_lo
	v_cmpx_gt_u32_e32 8, v2
; %bb.47:                               ;   in Loop: Header=BB323_11 Depth=1
	v_ffbh_u32_e32 v0, v0
	v_min_u32_e32 v2, 32, v0
	v_subrev_nc_u32_e32 v0, 28, v2
	v_lshlrev_b64 v[0:1], v0, v[8:9]
	v_sub_nc_u32_e32 v1, 29, v2
	v_and_b32_e32 v0, 7, v0
; %bb.48:                               ;   in Loop: Header=BB323_11 Depth=1
	s_or_b32 exec_lo, exec_lo, s24
	v_lshlrev_b32_e32 v2, 8, v31
	v_lshl_add_u32 v1, v1, 10, 0x2000
	v_lshlrev_b32_e32 v0, 7, v0
	v_and_b32_e32 v2, 0x8000, v2
	v_and_b32_e32 v1, 0xfc00, v1
	v_or3_b32 v71, v2, v1, v0
.LBB323_49:                             ;   in Loop: Header=BB323_11 Depth=1
	s_or_b32 exec_lo, exec_lo, s23
.LBB323_50:                             ;   in Loop: Header=BB323_11 Depth=1
	s_or_b32 exec_lo, exec_lo, s22
.LBB323_51:                             ;   in Loop: Header=BB323_11 Depth=1
	s_or_b32 exec_lo, exec_lo, s21
	v_mov_b32_e32 v0, 0
	v_lshrrev_b16 v8, 8, v8
	s_mov_b32 s21, exec_lo
	buffer_store_dword v0, off, s[0:3], s32 offset:204 ; 4-byte Folded Spill
	v_mov_b32_e32 v0, 0
	buffer_store_dword v0, off, s[0:3], s32 offset:208 ; 4-byte Folded Spill
	v_cmpx_ne_u16_e32 0, v8
	s_cbranch_execz .LBB323_59
; %bb.52:                               ;   in Loop: Header=BB323_11 Depth=1
	v_bfrev_b32_e32 v0, 1
	s_mov_b32 s22, exec_lo
	buffer_store_dword v0, off, s[0:3], s32 offset:208 ; 4-byte Folded Spill
	v_cmpx_ne_u16_e32 0x80, v8
	s_cbranch_execz .LBB323_58
; %bb.53:                               ;   in Loop: Header=BB323_11 Depth=1
	v_mov_b32_e32 v0, 0x7f
	s_mov_b32 s23, exec_lo
	v_and_b32_sdwa v2, v8, v0 dst_sel:DWORD dst_unused:UNUSED_PAD src0_sel:WORD_0 src1_sel:DWORD
	v_mov_b32_e32 v0, 0x7c010000
	buffer_store_dword v0, off, s[0:3], s32 offset:208 ; 4-byte Folded Spill
	v_cmpx_ne_u32_e32 0x7f, v2
	s_cbranch_execz .LBB323_57
; %bb.54:                               ;   in Loop: Header=BB323_11 Depth=1
	v_mov_b32_e32 v0, 7
	v_lshrrev_b32_e32 v1, 3, v2
	s_mov_b32 s24, exec_lo
	v_and_b32_sdwa v0, v8, v0 dst_sel:DWORD dst_unused:UNUSED_PAD src0_sel:WORD_0 src1_sel:DWORD
	v_cmpx_gt_u32_e32 8, v2
; %bb.55:                               ;   in Loop: Header=BB323_11 Depth=1
	v_ffbh_u32_e32 v0, v0
	v_min_u32_e32 v2, 32, v0
	v_subrev_nc_u32_e32 v0, 28, v2
	v_lshlrev_b64 v[0:1], v0, v[8:9]
	v_sub_nc_u32_e32 v1, 29, v2
	v_and_b32_e32 v0, 7, v0
; %bb.56:                               ;   in Loop: Header=BB323_11 Depth=1
	s_or_b32 exec_lo, exec_lo, s24
	v_mov_b32_e32 v2, 8
	v_lshl_add_u32 v1, v1, 10, 0x2000
	v_lshlrev_b32_e32 v0, 23, v0
	v_lshlrev_b32_sdwa v2, v2, v8 dst_sel:DWORD dst_unused:UNUSED_PAD src0_sel:DWORD src1_sel:WORD_0
	v_and_or_b32 v1, 0x8000, v2, v1
	v_lshl_or_b32 v0, v1, 16, v0
	buffer_store_dword v0, off, s[0:3], s32 offset:208 ; 4-byte Folded Spill
.LBB323_57:                             ;   in Loop: Header=BB323_11 Depth=1
	s_or_b32 exec_lo, exec_lo, s23
.LBB323_58:                             ;   in Loop: Header=BB323_11 Depth=1
	s_or_b32 exec_lo, exec_lo, s22
.LBB323_59:                             ;   in Loop: Header=BB323_11 Depth=1
	s_or_b32 exec_lo, exec_lo, s21
	v_lshrrev_b32_e32 v8, 16, v31
	v_cmp_ne_u16_sdwa s5, v8, v9 src0_sel:BYTE_0 src1_sel:DWORD
	s_and_saveexec_b32 s21, s5
	s_cbranch_execz .LBB323_67
; %bb.60:                               ;   in Loop: Header=BB323_11 Depth=1
	v_cmp_ne_u16_sdwa s5, v8, v51 src0_sel:BYTE_0 src1_sel:DWORD
	v_mov_b32_e32 v0, 0x8000
	buffer_store_dword v0, off, s[0:3], s32 offset:204 ; 4-byte Folded Spill
	s_and_saveexec_b32 s22, s5
	s_cbranch_execz .LBB323_66
; %bb.61:                               ;   in Loop: Header=BB323_11 Depth=1
	v_bfe_u32 v2, v31, 16, 7
	v_mov_b32_e32 v0, 0x7c01
	s_mov_b32 s23, exec_lo
	buffer_store_dword v0, off, s[0:3], s32 offset:204 ; 4-byte Folded Spill
	v_cmpx_ne_u32_e32 0x7f, v2
	s_cbranch_execz .LBB323_65
; %bb.62:                               ;   in Loop: Header=BB323_11 Depth=1
	v_and_b32_e32 v0, 7, v8
	v_lshrrev_b32_e32 v1, 3, v2
	s_mov_b32 s24, exec_lo
	v_cmpx_gt_u32_e32 8, v2
; %bb.63:                               ;   in Loop: Header=BB323_11 Depth=1
	v_ffbh_u32_e32 v0, v0
	v_min_u32_e32 v2, 32, v0
	v_subrev_nc_u32_e32 v0, 28, v2
	v_lshlrev_b64 v[0:1], v0, v[8:9]
	v_sub_nc_u32_e32 v1, 29, v2
	v_and_b32_e32 v0, 7, v0
; %bb.64:                               ;   in Loop: Header=BB323_11 Depth=1
	s_or_b32 exec_lo, exec_lo, s24
	v_lshlrev_b32_e32 v2, 8, v8
	v_lshl_add_u32 v1, v1, 10, 0x2000
	v_lshlrev_b32_e32 v0, 7, v0
	v_and_b32_e32 v2, 0x8000, v2
	v_and_b32_e32 v1, 0xfc00, v1
	v_or3_b32 v0, v2, v1, v0
	buffer_store_dword v0, off, s[0:3], s32 offset:204 ; 4-byte Folded Spill
.LBB323_65:                             ;   in Loop: Header=BB323_11 Depth=1
	s_or_b32 exec_lo, exec_lo, s23
.LBB323_66:                             ;   in Loop: Header=BB323_11 Depth=1
	s_or_b32 exec_lo, exec_lo, s22
.LBB323_67:                             ;   in Loop: Header=BB323_11 Depth=1
	s_or_b32 exec_lo, exec_lo, s21
	v_mov_b32_e32 v0, 0
	v_mov_b32_e32 v69, 0
	s_mov_b32 s21, exec_lo
	buffer_store_dword v0, off, s[0:3], s32 offset:212 ; 4-byte Folded Spill
	v_cmpx_lt_u64_e64 s[6:7], v[30:31]
	s_cbranch_execz .LBB323_75
; %bb.68:                               ;   in Loop: Header=BB323_11 Depth=1
	v_lshrrev_b32_e32 v8, 24, v31
	v_bfrev_b32_e32 v69, 1
	s_mov_b32 s22, exec_lo
	v_cmpx_ne_u32_e32 0x80, v8
	s_cbranch_execz .LBB323_74
; %bb.69:                               ;   in Loop: Header=BB323_11 Depth=1
	v_and_b32_e32 v2, 0x7f, v8
	v_mov_b32_e32 v69, 0x7c010000
	s_mov_b32 s23, exec_lo
	v_cmpx_ne_u32_e32 0x7f, v2
	s_cbranch_execz .LBB323_73
; %bb.70:                               ;   in Loop: Header=BB323_11 Depth=1
	v_and_b32_e32 v0, 7, v8
	v_lshrrev_b32_e32 v1, 3, v2
	s_mov_b32 s24, exec_lo
	v_cmpx_gt_u32_e32 8, v2
; %bb.71:                               ;   in Loop: Header=BB323_11 Depth=1
	v_ffbh_u32_e32 v0, v0
	v_min_u32_e32 v2, 32, v0
	v_subrev_nc_u32_e32 v0, 28, v2
	v_lshlrev_b64 v[0:1], v0, v[8:9]
	v_sub_nc_u32_e32 v1, 29, v2
	v_and_b32_e32 v0, 7, v0
; %bb.72:                               ;   in Loop: Header=BB323_11 Depth=1
	s_or_b32 exec_lo, exec_lo, s24
	v_lshlrev_b32_e32 v2, 8, v8
	v_lshl_add_u32 v1, v1, 10, 0x2000
	v_lshlrev_b32_e32 v0, 23, v0
	v_and_or_b32 v1, 0x8000, v2, v1
	v_lshl_or_b32 v69, v1, 16, v0
.LBB323_73:                             ;   in Loop: Header=BB323_11 Depth=1
	s_or_b32 exec_lo, exec_lo, s23
.LBB323_74:                             ;   in Loop: Header=BB323_11 Depth=1
	s_or_b32 exec_lo, exec_lo, s22
.LBB323_75:                             ;   in Loop: Header=BB323_11 Depth=1
	s_or_b32 exec_lo, exec_lo, s21
	flat_load_dwordx2 v[30:31], v[28:29] offset:8
	s_waitcnt vmcnt(0) lgkmcnt(0)
	v_cmp_ne_u16_sdwa s5, v30, v9 src0_sel:BYTE_0 src1_sel:DWORD
	s_and_saveexec_b32 s21, s5
	s_cbranch_execz .LBB323_83
; %bb.76:                               ;   in Loop: Header=BB323_11 Depth=1
	v_cmp_ne_u16_sdwa s5, v30, v51 src0_sel:BYTE_0 src1_sel:DWORD
	v_mov_b32_e32 v0, 0x8000
	buffer_store_dword v0, off, s[0:3], s32 offset:212 ; 4-byte Folded Spill
	s_and_saveexec_b32 s22, s5
	s_cbranch_execz .LBB323_82
; %bb.77:                               ;   in Loop: Header=BB323_11 Depth=1
	v_and_b32_e32 v2, 0x7f, v30
	v_mov_b32_e32 v0, 0x7c01
	s_mov_b32 s23, exec_lo
	buffer_store_dword v0, off, s[0:3], s32 offset:212 ; 4-byte Folded Spill
	v_cmpx_ne_u32_e32 0x7f, v2
	s_cbranch_execz .LBB323_81
; %bb.78:                               ;   in Loop: Header=BB323_11 Depth=1
	v_and_b32_e32 v0, 7, v30
	v_lshrrev_b32_e32 v1, 3, v2
	s_mov_b32 s24, exec_lo
	v_cmpx_gt_u32_e32 8, v2
; %bb.79:                               ;   in Loop: Header=BB323_11 Depth=1
	v_ffbh_u32_e32 v0, v0
	v_min_u32_e32 v2, 32, v0
	v_subrev_nc_u32_e32 v0, 28, v2
	v_lshlrev_b64 v[0:1], v0, v[30:31]
	v_sub_nc_u32_e32 v1, 29, v2
	v_and_b32_e32 v0, 7, v0
; %bb.80:                               ;   in Loop: Header=BB323_11 Depth=1
	s_or_b32 exec_lo, exec_lo, s24
	v_lshlrev_b32_e32 v2, 8, v30
	v_lshl_add_u32 v1, v1, 10, 0x2000
	v_lshlrev_b32_e32 v0, 7, v0
	v_and_b32_e32 v2, 0x8000, v2
	v_and_b32_e32 v1, 0xfc00, v1
	v_or3_b32 v0, v2, v1, v0
	buffer_store_dword v0, off, s[0:3], s32 offset:212 ; 4-byte Folded Spill
.LBB323_81:                             ;   in Loop: Header=BB323_11 Depth=1
	s_or_b32 exec_lo, exec_lo, s23
.LBB323_82:                             ;   in Loop: Header=BB323_11 Depth=1
	s_or_b32 exec_lo, exec_lo, s22
.LBB323_83:                             ;   in Loop: Header=BB323_11 Depth=1
	s_or_b32 exec_lo, exec_lo, s21
	v_lshrrev_b16 v8, 8, v30
	v_mov_b32_e32 v0, 0
	v_mov_b32_e32 v82, 0
	s_mov_b32 s21, exec_lo
	buffer_store_dword v0, off, s[0:3], s32 offset:216 ; 4-byte Folded Spill
	v_cmpx_ne_u16_e32 0, v8
	s_cbranch_execz .LBB323_91
; %bb.84:                               ;   in Loop: Header=BB323_11 Depth=1
	v_bfrev_b32_e32 v82, 1
	s_mov_b32 s22, exec_lo
	v_cmpx_ne_u16_e32 0x80, v8
	s_cbranch_execz .LBB323_90
; %bb.85:                               ;   in Loop: Header=BB323_11 Depth=1
	v_mov_b32_e32 v0, 0x7f
	v_mov_b32_e32 v82, 0x7c010000
	s_mov_b32 s23, exec_lo
	v_and_b32_sdwa v2, v8, v0 dst_sel:DWORD dst_unused:UNUSED_PAD src0_sel:WORD_0 src1_sel:DWORD
	v_cmpx_ne_u32_e32 0x7f, v2
	s_cbranch_execz .LBB323_89
; %bb.86:                               ;   in Loop: Header=BB323_11 Depth=1
	v_mov_b32_e32 v0, 7
	v_lshrrev_b32_e32 v1, 3, v2
	s_mov_b32 s24, exec_lo
	v_and_b32_sdwa v0, v8, v0 dst_sel:DWORD dst_unused:UNUSED_PAD src0_sel:WORD_0 src1_sel:DWORD
	v_cmpx_gt_u32_e32 8, v2
; %bb.87:                               ;   in Loop: Header=BB323_11 Depth=1
	v_ffbh_u32_e32 v0, v0
	v_min_u32_e32 v2, 32, v0
	v_subrev_nc_u32_e32 v0, 28, v2
	v_lshlrev_b64 v[0:1], v0, v[8:9]
	v_sub_nc_u32_e32 v1, 29, v2
	v_and_b32_e32 v0, 7, v0
; %bb.88:                               ;   in Loop: Header=BB323_11 Depth=1
	s_or_b32 exec_lo, exec_lo, s24
	v_mov_b32_e32 v2, 8
	v_lshl_add_u32 v1, v1, 10, 0x2000
	v_lshlrev_b32_e32 v0, 23, v0
	v_lshlrev_b32_sdwa v2, v2, v8 dst_sel:DWORD dst_unused:UNUSED_PAD src0_sel:DWORD src1_sel:WORD_0
	v_and_or_b32 v1, 0x8000, v2, v1
	v_lshl_or_b32 v82, v1, 16, v0
.LBB323_89:                             ;   in Loop: Header=BB323_11 Depth=1
	s_or_b32 exec_lo, exec_lo, s23
.LBB323_90:                             ;   in Loop: Header=BB323_11 Depth=1
	s_or_b32 exec_lo, exec_lo, s22
.LBB323_91:                             ;   in Loop: Header=BB323_11 Depth=1
	s_or_b32 exec_lo, exec_lo, s21
	v_lshrrev_b32_e32 v8, 16, v30
	v_cmp_ne_u16_sdwa s5, v8, v9 src0_sel:BYTE_0 src1_sel:DWORD
	s_and_saveexec_b32 s21, s5
	s_cbranch_execz .LBB323_99
; %bb.92:                               ;   in Loop: Header=BB323_11 Depth=1
	v_cmp_ne_u16_sdwa s5, v8, v51 src0_sel:BYTE_0 src1_sel:DWORD
	v_mov_b32_e32 v0, 0x8000
	buffer_store_dword v0, off, s[0:3], s32 offset:216 ; 4-byte Folded Spill
	s_and_saveexec_b32 s22, s5
	s_cbranch_execz .LBB323_98
; %bb.93:                               ;   in Loop: Header=BB323_11 Depth=1
	v_bfe_u32 v2, v30, 16, 7
	v_mov_b32_e32 v0, 0x7c01
	s_mov_b32 s23, exec_lo
	buffer_store_dword v0, off, s[0:3], s32 offset:216 ; 4-byte Folded Spill
	v_cmpx_ne_u32_e32 0x7f, v2
	s_cbranch_execz .LBB323_97
; %bb.94:                               ;   in Loop: Header=BB323_11 Depth=1
	v_and_b32_e32 v0, 7, v8
	v_lshrrev_b32_e32 v1, 3, v2
	s_mov_b32 s24, exec_lo
	v_cmpx_gt_u32_e32 8, v2
; %bb.95:                               ;   in Loop: Header=BB323_11 Depth=1
	v_ffbh_u32_e32 v0, v0
	v_min_u32_e32 v2, 32, v0
	v_subrev_nc_u32_e32 v0, 28, v2
	v_lshlrev_b64 v[0:1], v0, v[8:9]
	v_sub_nc_u32_e32 v1, 29, v2
	v_and_b32_e32 v0, 7, v0
; %bb.96:                               ;   in Loop: Header=BB323_11 Depth=1
	s_or_b32 exec_lo, exec_lo, s24
	v_lshlrev_b32_e32 v2, 8, v8
	v_lshl_add_u32 v1, v1, 10, 0x2000
	v_lshlrev_b32_e32 v0, 7, v0
	v_and_b32_e32 v2, 0x8000, v2
	v_and_b32_e32 v1, 0xfc00, v1
	v_or3_b32 v0, v2, v1, v0
	buffer_store_dword v0, off, s[0:3], s32 offset:216 ; 4-byte Folded Spill
.LBB323_97:                             ;   in Loop: Header=BB323_11 Depth=1
	s_or_b32 exec_lo, exec_lo, s23
.LBB323_98:                             ;   in Loop: Header=BB323_11 Depth=1
	s_or_b32 exec_lo, exec_lo, s22
.LBB323_99:                             ;   in Loop: Header=BB323_11 Depth=1
	s_or_b32 exec_lo, exec_lo, s21
	v_mov_b32_e32 v0, 0
	v_mov_b32_e32 v120, 0
	s_mov_b32 s21, exec_lo
	buffer_store_dword v0, off, s[0:3], s32 offset:220 ; 4-byte Folded Spill
	v_cmpx_lt_u32_e32 0xffffff, v30
	s_cbranch_execz .LBB323_107
; %bb.100:                              ;   in Loop: Header=BB323_11 Depth=1
	v_lshrrev_b32_e32 v8, 24, v30
	v_bfrev_b32_e32 v120, 1
	s_mov_b32 s22, exec_lo
	v_cmpx_ne_u32_e32 0x80, v8
	s_cbranch_execz .LBB323_106
; %bb.101:                              ;   in Loop: Header=BB323_11 Depth=1
	v_and_b32_e32 v2, 0x7f, v8
	v_mov_b32_e32 v120, 0x7c010000
	s_mov_b32 s23, exec_lo
	v_cmpx_ne_u32_e32 0x7f, v2
	s_cbranch_execz .LBB323_105
; %bb.102:                              ;   in Loop: Header=BB323_11 Depth=1
	v_and_b32_e32 v0, 7, v8
	v_lshrrev_b32_e32 v1, 3, v2
	s_mov_b32 s24, exec_lo
	v_cmpx_gt_u32_e32 8, v2
; %bb.103:                              ;   in Loop: Header=BB323_11 Depth=1
	v_ffbh_u32_e32 v0, v0
	v_min_u32_e32 v2, 32, v0
	v_subrev_nc_u32_e32 v0, 28, v2
	v_lshlrev_b64 v[0:1], v0, v[8:9]
	v_sub_nc_u32_e32 v1, 29, v2
	v_and_b32_e32 v0, 7, v0
; %bb.104:                              ;   in Loop: Header=BB323_11 Depth=1
	s_or_b32 exec_lo, exec_lo, s24
	v_lshlrev_b32_e32 v2, 8, v8
	v_lshl_add_u32 v1, v1, 10, 0x2000
	v_lshlrev_b32_e32 v0, 23, v0
	v_and_or_b32 v1, 0x8000, v2, v1
	v_lshl_or_b32 v120, v1, 16, v0
.LBB323_105:                            ;   in Loop: Header=BB323_11 Depth=1
	s_or_b32 exec_lo, exec_lo, s23
.LBB323_106:                            ;   in Loop: Header=BB323_11 Depth=1
	s_or_b32 exec_lo, exec_lo, s22
.LBB323_107:                            ;   in Loop: Header=BB323_11 Depth=1
	s_or_b32 exec_lo, exec_lo, s21
	v_mov_b32_e32 v8, v31
	v_cmp_ne_u16_sdwa s5, v31, v9 src0_sel:BYTE_0 src1_sel:DWORD
	s_and_saveexec_b32 s21, s5
	s_cbranch_execz .LBB323_115
; %bb.108:                              ;   in Loop: Header=BB323_11 Depth=1
	v_cmp_ne_u16_sdwa s5, v31, v51 src0_sel:BYTE_0 src1_sel:DWORD
	v_mov_b32_e32 v0, 0x8000
	buffer_store_dword v0, off, s[0:3], s32 offset:220 ; 4-byte Folded Spill
	s_and_saveexec_b32 s22, s5
	s_cbranch_execz .LBB323_114
; %bb.109:                              ;   in Loop: Header=BB323_11 Depth=1
	v_and_b32_e32 v2, 0x7f, v31
	v_mov_b32_e32 v0, 0x7c01
	s_mov_b32 s23, exec_lo
	buffer_store_dword v0, off, s[0:3], s32 offset:220 ; 4-byte Folded Spill
	v_cmpx_ne_u32_e32 0x7f, v2
	s_cbranch_execz .LBB323_113
; %bb.110:                              ;   in Loop: Header=BB323_11 Depth=1
	v_and_b32_e32 v0, 7, v31
	v_lshrrev_b32_e32 v1, 3, v2
	s_mov_b32 s24, exec_lo
	v_cmpx_gt_u32_e32 8, v2
; %bb.111:                              ;   in Loop: Header=BB323_11 Depth=1
	v_ffbh_u32_e32 v0, v0
	v_min_u32_e32 v2, 32, v0
	v_subrev_nc_u32_e32 v0, 28, v2
	v_lshlrev_b64 v[0:1], v0, v[8:9]
	v_sub_nc_u32_e32 v1, 29, v2
	v_and_b32_e32 v0, 7, v0
; %bb.112:                              ;   in Loop: Header=BB323_11 Depth=1
	s_or_b32 exec_lo, exec_lo, s24
	v_lshlrev_b32_e32 v2, 8, v31
	v_lshl_add_u32 v1, v1, 10, 0x2000
	v_lshlrev_b32_e32 v0, 7, v0
	v_and_b32_e32 v2, 0x8000, v2
	v_and_b32_e32 v1, 0xfc00, v1
	v_or3_b32 v0, v2, v1, v0
	buffer_store_dword v0, off, s[0:3], s32 offset:220 ; 4-byte Folded Spill
.LBB323_113:                            ;   in Loop: Header=BB323_11 Depth=1
	s_or_b32 exec_lo, exec_lo, s23
.LBB323_114:                            ;   in Loop: Header=BB323_11 Depth=1
	s_or_b32 exec_lo, exec_lo, s22
.LBB323_115:                            ;   in Loop: Header=BB323_11 Depth=1
	s_or_b32 exec_lo, exec_lo, s21
	v_lshrrev_b16 v8, 8, v8
	v_mov_b32_e32 v0, 0
	v_mov_b32_e32 v48, 0
	s_mov_b32 s21, exec_lo
	buffer_store_dword v0, off, s[0:3], s32 offset:224 ; 4-byte Folded Spill
	v_cmpx_ne_u16_e32 0, v8
	s_cbranch_execz .LBB323_123
; %bb.116:                              ;   in Loop: Header=BB323_11 Depth=1
	v_bfrev_b32_e32 v48, 1
	s_mov_b32 s22, exec_lo
	v_cmpx_ne_u16_e32 0x80, v8
	s_cbranch_execz .LBB323_122
; %bb.117:                              ;   in Loop: Header=BB323_11 Depth=1
	v_mov_b32_e32 v0, 0x7f
	v_mov_b32_e32 v48, 0x7c010000
	s_mov_b32 s23, exec_lo
	v_and_b32_sdwa v2, v8, v0 dst_sel:DWORD dst_unused:UNUSED_PAD src0_sel:WORD_0 src1_sel:DWORD
	v_cmpx_ne_u32_e32 0x7f, v2
	s_cbranch_execz .LBB323_121
; %bb.118:                              ;   in Loop: Header=BB323_11 Depth=1
	v_mov_b32_e32 v0, 7
	v_lshrrev_b32_e32 v1, 3, v2
	s_mov_b32 s24, exec_lo
	v_and_b32_sdwa v0, v8, v0 dst_sel:DWORD dst_unused:UNUSED_PAD src0_sel:WORD_0 src1_sel:DWORD
	v_cmpx_gt_u32_e32 8, v2
; %bb.119:                              ;   in Loop: Header=BB323_11 Depth=1
	v_ffbh_u32_e32 v0, v0
	v_min_u32_e32 v2, 32, v0
	v_subrev_nc_u32_e32 v0, 28, v2
	v_lshlrev_b64 v[0:1], v0, v[8:9]
	v_sub_nc_u32_e32 v1, 29, v2
	v_and_b32_e32 v0, 7, v0
; %bb.120:                              ;   in Loop: Header=BB323_11 Depth=1
	s_or_b32 exec_lo, exec_lo, s24
	v_mov_b32_e32 v2, 8
	v_lshl_add_u32 v1, v1, 10, 0x2000
	v_lshlrev_b32_e32 v0, 23, v0
	v_lshlrev_b32_sdwa v2, v2, v8 dst_sel:DWORD dst_unused:UNUSED_PAD src0_sel:DWORD src1_sel:WORD_0
	v_and_or_b32 v1, 0x8000, v2, v1
	v_lshl_or_b32 v48, v1, 16, v0
.LBB323_121:                            ;   in Loop: Header=BB323_11 Depth=1
	s_or_b32 exec_lo, exec_lo, s23
.LBB323_122:                            ;   in Loop: Header=BB323_11 Depth=1
	s_or_b32 exec_lo, exec_lo, s22
.LBB323_123:                            ;   in Loop: Header=BB323_11 Depth=1
	s_or_b32 exec_lo, exec_lo, s21
	v_lshrrev_b32_e32 v8, 16, v31
	v_cmp_ne_u16_sdwa s5, v8, v9 src0_sel:BYTE_0 src1_sel:DWORD
	s_and_saveexec_b32 s21, s5
	s_cbranch_execz .LBB323_131
; %bb.124:                              ;   in Loop: Header=BB323_11 Depth=1
	v_cmp_ne_u16_sdwa s5, v8, v51 src0_sel:BYTE_0 src1_sel:DWORD
	v_mov_b32_e32 v0, 0x8000
	buffer_store_dword v0, off, s[0:3], s32 offset:224 ; 4-byte Folded Spill
	s_and_saveexec_b32 s22, s5
	s_cbranch_execz .LBB323_130
; %bb.125:                              ;   in Loop: Header=BB323_11 Depth=1
	v_bfe_u32 v2, v31, 16, 7
	v_mov_b32_e32 v0, 0x7c01
	s_mov_b32 s23, exec_lo
	buffer_store_dword v0, off, s[0:3], s32 offset:224 ; 4-byte Folded Spill
	v_cmpx_ne_u32_e32 0x7f, v2
	s_cbranch_execz .LBB323_129
; %bb.126:                              ;   in Loop: Header=BB323_11 Depth=1
	v_and_b32_e32 v0, 7, v8
	v_lshrrev_b32_e32 v1, 3, v2
	s_mov_b32 s24, exec_lo
	v_cmpx_gt_u32_e32 8, v2
; %bb.127:                              ;   in Loop: Header=BB323_11 Depth=1
	v_ffbh_u32_e32 v0, v0
	v_min_u32_e32 v2, 32, v0
	v_subrev_nc_u32_e32 v0, 28, v2
	v_lshlrev_b64 v[0:1], v0, v[8:9]
	v_sub_nc_u32_e32 v1, 29, v2
	v_and_b32_e32 v0, 7, v0
; %bb.128:                              ;   in Loop: Header=BB323_11 Depth=1
	s_or_b32 exec_lo, exec_lo, s24
	v_lshlrev_b32_e32 v2, 8, v8
	v_lshl_add_u32 v1, v1, 10, 0x2000
	v_lshlrev_b32_e32 v0, 7, v0
	v_and_b32_e32 v2, 0x8000, v2
	v_and_b32_e32 v1, 0xfc00, v1
	v_or3_b32 v0, v2, v1, v0
	buffer_store_dword v0, off, s[0:3], s32 offset:224 ; 4-byte Folded Spill
.LBB323_129:                            ;   in Loop: Header=BB323_11 Depth=1
	s_or_b32 exec_lo, exec_lo, s23
.LBB323_130:                            ;   in Loop: Header=BB323_11 Depth=1
	s_or_b32 exec_lo, exec_lo, s22
.LBB323_131:                            ;   in Loop: Header=BB323_11 Depth=1
	s_or_b32 exec_lo, exec_lo, s21
	v_mov_b32_e32 v0, 0
	v_mov_b32_e32 v96, 0
	s_mov_b32 s21, exec_lo
	buffer_store_dword v0, off, s[0:3], s32 offset:228 ; 4-byte Folded Spill
	v_cmpx_lt_u64_e64 s[6:7], v[30:31]
	s_cbranch_execz .LBB323_139
; %bb.132:                              ;   in Loop: Header=BB323_11 Depth=1
	v_lshrrev_b32_e32 v8, 24, v31
	v_bfrev_b32_e32 v96, 1
	s_mov_b32 s22, exec_lo
	v_cmpx_ne_u32_e32 0x80, v8
	s_cbranch_execz .LBB323_138
; %bb.133:                              ;   in Loop: Header=BB323_11 Depth=1
	v_and_b32_e32 v2, 0x7f, v8
	v_mov_b32_e32 v96, 0x7c010000
	s_mov_b32 s23, exec_lo
	v_cmpx_ne_u32_e32 0x7f, v2
	s_cbranch_execz .LBB323_137
; %bb.134:                              ;   in Loop: Header=BB323_11 Depth=1
	v_and_b32_e32 v0, 7, v8
	v_lshrrev_b32_e32 v1, 3, v2
	s_mov_b32 s24, exec_lo
	v_cmpx_gt_u32_e32 8, v2
; %bb.135:                              ;   in Loop: Header=BB323_11 Depth=1
	v_ffbh_u32_e32 v0, v0
	v_min_u32_e32 v2, 32, v0
	v_subrev_nc_u32_e32 v0, 28, v2
	v_lshlrev_b64 v[0:1], v0, v[8:9]
	v_sub_nc_u32_e32 v1, 29, v2
	v_and_b32_e32 v0, 7, v0
; %bb.136:                              ;   in Loop: Header=BB323_11 Depth=1
	s_or_b32 exec_lo, exec_lo, s24
	v_lshlrev_b32_e32 v2, 8, v8
	v_lshl_add_u32 v1, v1, 10, 0x2000
	v_lshlrev_b32_e32 v0, 23, v0
	v_and_or_b32 v1, 0x8000, v2, v1
	v_lshl_or_b32 v96, v1, 16, v0
.LBB323_137:                            ;   in Loop: Header=BB323_11 Depth=1
	s_or_b32 exec_lo, exec_lo, s23
.LBB323_138:                            ;   in Loop: Header=BB323_11 Depth=1
	s_or_b32 exec_lo, exec_lo, s22
.LBB323_139:                            ;   in Loop: Header=BB323_11 Depth=1
	s_or_b32 exec_lo, exec_lo, s21
	flat_load_dwordx2 v[30:31], v[28:29] offset:512
	s_waitcnt vmcnt(0) lgkmcnt(0)
	v_cmp_ne_u16_sdwa s5, v30, v9 src0_sel:BYTE_0 src1_sel:DWORD
	s_and_saveexec_b32 s21, s5
	s_cbranch_execz .LBB323_147
; %bb.140:                              ;   in Loop: Header=BB323_11 Depth=1
	v_cmp_ne_u16_sdwa s5, v30, v51 src0_sel:BYTE_0 src1_sel:DWORD
	v_mov_b32_e32 v0, 0x8000
	buffer_store_dword v0, off, s[0:3], s32 offset:228 ; 4-byte Folded Spill
	s_and_saveexec_b32 s22, s5
	s_cbranch_execz .LBB323_146
; %bb.141:                              ;   in Loop: Header=BB323_11 Depth=1
	v_and_b32_e32 v2, 0x7f, v30
	v_mov_b32_e32 v0, 0x7c01
	s_mov_b32 s23, exec_lo
	buffer_store_dword v0, off, s[0:3], s32 offset:228 ; 4-byte Folded Spill
	v_cmpx_ne_u32_e32 0x7f, v2
	s_cbranch_execz .LBB323_145
; %bb.142:                              ;   in Loop: Header=BB323_11 Depth=1
	v_and_b32_e32 v0, 7, v30
	v_lshrrev_b32_e32 v1, 3, v2
	s_mov_b32 s24, exec_lo
	v_cmpx_gt_u32_e32 8, v2
; %bb.143:                              ;   in Loop: Header=BB323_11 Depth=1
	v_ffbh_u32_e32 v0, v0
	v_min_u32_e32 v2, 32, v0
	v_subrev_nc_u32_e32 v0, 28, v2
	v_lshlrev_b64 v[0:1], v0, v[30:31]
	v_sub_nc_u32_e32 v1, 29, v2
	v_and_b32_e32 v0, 7, v0
; %bb.144:                              ;   in Loop: Header=BB323_11 Depth=1
	s_or_b32 exec_lo, exec_lo, s24
	v_lshlrev_b32_e32 v2, 8, v30
	v_lshl_add_u32 v1, v1, 10, 0x2000
	v_lshlrev_b32_e32 v0, 7, v0
	v_and_b32_e32 v2, 0x8000, v2
	v_and_b32_e32 v1, 0xfc00, v1
	v_or3_b32 v0, v2, v1, v0
	buffer_store_dword v0, off, s[0:3], s32 offset:228 ; 4-byte Folded Spill
.LBB323_145:                            ;   in Loop: Header=BB323_11 Depth=1
	s_or_b32 exec_lo, exec_lo, s23
.LBB323_146:                            ;   in Loop: Header=BB323_11 Depth=1
	s_or_b32 exec_lo, exec_lo, s22
.LBB323_147:                            ;   in Loop: Header=BB323_11 Depth=1
	s_or_b32 exec_lo, exec_lo, s21
	v_lshrrev_b16 v8, 8, v30
	v_mov_b32_e32 v0, 0
	v_mov_b32_e32 v98, 0
	s_mov_b32 s21, exec_lo
	buffer_store_dword v0, off, s[0:3], s32 offset:232 ; 4-byte Folded Spill
	v_cmpx_ne_u16_e32 0, v8
	s_cbranch_execz .LBB323_155
; %bb.148:                              ;   in Loop: Header=BB323_11 Depth=1
	v_bfrev_b32_e32 v98, 1
	s_mov_b32 s22, exec_lo
	v_cmpx_ne_u16_e32 0x80, v8
	s_cbranch_execz .LBB323_154
; %bb.149:                              ;   in Loop: Header=BB323_11 Depth=1
	v_mov_b32_e32 v0, 0x7f
	v_mov_b32_e32 v98, 0x7c010000
	s_mov_b32 s23, exec_lo
	v_and_b32_sdwa v2, v8, v0 dst_sel:DWORD dst_unused:UNUSED_PAD src0_sel:WORD_0 src1_sel:DWORD
	v_cmpx_ne_u32_e32 0x7f, v2
	s_cbranch_execz .LBB323_153
; %bb.150:                              ;   in Loop: Header=BB323_11 Depth=1
	v_mov_b32_e32 v0, 7
	v_lshrrev_b32_e32 v1, 3, v2
	s_mov_b32 s24, exec_lo
	v_and_b32_sdwa v0, v8, v0 dst_sel:DWORD dst_unused:UNUSED_PAD src0_sel:WORD_0 src1_sel:DWORD
	v_cmpx_gt_u32_e32 8, v2
; %bb.151:                              ;   in Loop: Header=BB323_11 Depth=1
	v_ffbh_u32_e32 v0, v0
	v_min_u32_e32 v2, 32, v0
	v_subrev_nc_u32_e32 v0, 28, v2
	v_lshlrev_b64 v[0:1], v0, v[8:9]
	v_sub_nc_u32_e32 v1, 29, v2
	v_and_b32_e32 v0, 7, v0
; %bb.152:                              ;   in Loop: Header=BB323_11 Depth=1
	s_or_b32 exec_lo, exec_lo, s24
	v_mov_b32_e32 v2, 8
	v_lshl_add_u32 v1, v1, 10, 0x2000
	v_lshlrev_b32_e32 v0, 23, v0
	v_lshlrev_b32_sdwa v2, v2, v8 dst_sel:DWORD dst_unused:UNUSED_PAD src0_sel:DWORD src1_sel:WORD_0
	v_and_or_b32 v1, 0x8000, v2, v1
	v_lshl_or_b32 v98, v1, 16, v0
.LBB323_153:                            ;   in Loop: Header=BB323_11 Depth=1
	s_or_b32 exec_lo, exec_lo, s23
.LBB323_154:                            ;   in Loop: Header=BB323_11 Depth=1
	s_or_b32 exec_lo, exec_lo, s22
.LBB323_155:                            ;   in Loop: Header=BB323_11 Depth=1
	s_or_b32 exec_lo, exec_lo, s21
	v_lshrrev_b32_e32 v8, 16, v30
	v_cmp_ne_u16_sdwa s5, v8, v9 src0_sel:BYTE_0 src1_sel:DWORD
	s_and_saveexec_b32 s21, s5
	s_cbranch_execz .LBB323_163
; %bb.156:                              ;   in Loop: Header=BB323_11 Depth=1
	v_cmp_ne_u16_sdwa s5, v8, v51 src0_sel:BYTE_0 src1_sel:DWORD
	v_mov_b32_e32 v0, 0x8000
	buffer_store_dword v0, off, s[0:3], s32 offset:232 ; 4-byte Folded Spill
	s_and_saveexec_b32 s22, s5
	s_cbranch_execz .LBB323_162
; %bb.157:                              ;   in Loop: Header=BB323_11 Depth=1
	v_bfe_u32 v2, v30, 16, 7
	v_mov_b32_e32 v0, 0x7c01
	s_mov_b32 s23, exec_lo
	buffer_store_dword v0, off, s[0:3], s32 offset:232 ; 4-byte Folded Spill
	v_cmpx_ne_u32_e32 0x7f, v2
	s_cbranch_execz .LBB323_161
; %bb.158:                              ;   in Loop: Header=BB323_11 Depth=1
	v_and_b32_e32 v0, 7, v8
	v_lshrrev_b32_e32 v1, 3, v2
	s_mov_b32 s24, exec_lo
	v_cmpx_gt_u32_e32 8, v2
; %bb.159:                              ;   in Loop: Header=BB323_11 Depth=1
	v_ffbh_u32_e32 v0, v0
	v_min_u32_e32 v2, 32, v0
	v_subrev_nc_u32_e32 v0, 28, v2
	v_lshlrev_b64 v[0:1], v0, v[8:9]
	v_sub_nc_u32_e32 v1, 29, v2
	v_and_b32_e32 v0, 7, v0
; %bb.160:                              ;   in Loop: Header=BB323_11 Depth=1
	s_or_b32 exec_lo, exec_lo, s24
	v_lshlrev_b32_e32 v2, 8, v8
	v_lshl_add_u32 v1, v1, 10, 0x2000
	v_lshlrev_b32_e32 v0, 7, v0
	v_and_b32_e32 v2, 0x8000, v2
	v_and_b32_e32 v1, 0xfc00, v1
	v_or3_b32 v0, v2, v1, v0
	buffer_store_dword v0, off, s[0:3], s32 offset:232 ; 4-byte Folded Spill
.LBB323_161:                            ;   in Loop: Header=BB323_11 Depth=1
	s_or_b32 exec_lo, exec_lo, s23
.LBB323_162:                            ;   in Loop: Header=BB323_11 Depth=1
	s_or_b32 exec_lo, exec_lo, s22
.LBB323_163:                            ;   in Loop: Header=BB323_11 Depth=1
	s_or_b32 exec_lo, exec_lo, s21
	v_mov_b32_e32 v0, 0
	v_mov_b32_e32 v101, 0
	s_mov_b32 s21, exec_lo
	buffer_store_dword v0, off, s[0:3], s32 offset:236 ; 4-byte Folded Spill
	v_cmpx_lt_u32_e32 0xffffff, v30
	s_cbranch_execz .LBB323_171
; %bb.164:                              ;   in Loop: Header=BB323_11 Depth=1
	v_lshrrev_b32_e32 v8, 24, v30
	v_bfrev_b32_e32 v101, 1
	s_mov_b32 s22, exec_lo
	v_cmpx_ne_u32_e32 0x80, v8
	s_cbranch_execz .LBB323_170
; %bb.165:                              ;   in Loop: Header=BB323_11 Depth=1
	v_and_b32_e32 v2, 0x7f, v8
	v_mov_b32_e32 v101, 0x7c010000
	s_mov_b32 s23, exec_lo
	v_cmpx_ne_u32_e32 0x7f, v2
	s_cbranch_execz .LBB323_169
; %bb.166:                              ;   in Loop: Header=BB323_11 Depth=1
	v_and_b32_e32 v0, 7, v8
	v_lshrrev_b32_e32 v1, 3, v2
	s_mov_b32 s24, exec_lo
	v_cmpx_gt_u32_e32 8, v2
; %bb.167:                              ;   in Loop: Header=BB323_11 Depth=1
	v_ffbh_u32_e32 v0, v0
	v_min_u32_e32 v2, 32, v0
	v_subrev_nc_u32_e32 v0, 28, v2
	v_lshlrev_b64 v[0:1], v0, v[8:9]
	v_sub_nc_u32_e32 v1, 29, v2
	v_and_b32_e32 v0, 7, v0
; %bb.168:                              ;   in Loop: Header=BB323_11 Depth=1
	s_or_b32 exec_lo, exec_lo, s24
	v_lshlrev_b32_e32 v2, 8, v8
	v_lshl_add_u32 v1, v1, 10, 0x2000
	v_lshlrev_b32_e32 v0, 23, v0
	v_and_or_b32 v1, 0x8000, v2, v1
	v_lshl_or_b32 v101, v1, 16, v0
.LBB323_169:                            ;   in Loop: Header=BB323_11 Depth=1
	s_or_b32 exec_lo, exec_lo, s23
.LBB323_170:                            ;   in Loop: Header=BB323_11 Depth=1
	s_or_b32 exec_lo, exec_lo, s22
.LBB323_171:                            ;   in Loop: Header=BB323_11 Depth=1
	s_or_b32 exec_lo, exec_lo, s21
	v_mov_b32_e32 v8, v31
	v_cmp_ne_u16_sdwa s5, v31, v9 src0_sel:BYTE_0 src1_sel:DWORD
	s_and_saveexec_b32 s21, s5
	s_cbranch_execz .LBB323_179
; %bb.172:                              ;   in Loop: Header=BB323_11 Depth=1
	v_cmp_ne_u16_sdwa s5, v31, v51 src0_sel:BYTE_0 src1_sel:DWORD
	v_mov_b32_e32 v0, 0x8000
	buffer_store_dword v0, off, s[0:3], s32 offset:236 ; 4-byte Folded Spill
	s_and_saveexec_b32 s22, s5
	s_cbranch_execz .LBB323_178
; %bb.173:                              ;   in Loop: Header=BB323_11 Depth=1
	v_and_b32_e32 v2, 0x7f, v31
	v_mov_b32_e32 v0, 0x7c01
	s_mov_b32 s23, exec_lo
	buffer_store_dword v0, off, s[0:3], s32 offset:236 ; 4-byte Folded Spill
	v_cmpx_ne_u32_e32 0x7f, v2
	s_cbranch_execz .LBB323_177
; %bb.174:                              ;   in Loop: Header=BB323_11 Depth=1
	v_and_b32_e32 v0, 7, v31
	v_lshrrev_b32_e32 v1, 3, v2
	s_mov_b32 s24, exec_lo
	v_cmpx_gt_u32_e32 8, v2
; %bb.175:                              ;   in Loop: Header=BB323_11 Depth=1
	v_ffbh_u32_e32 v0, v0
	v_min_u32_e32 v2, 32, v0
	v_subrev_nc_u32_e32 v0, 28, v2
	v_lshlrev_b64 v[0:1], v0, v[8:9]
	v_sub_nc_u32_e32 v1, 29, v2
	v_and_b32_e32 v0, 7, v0
; %bb.176:                              ;   in Loop: Header=BB323_11 Depth=1
	s_or_b32 exec_lo, exec_lo, s24
	v_lshlrev_b32_e32 v2, 8, v31
	v_lshl_add_u32 v1, v1, 10, 0x2000
	v_lshlrev_b32_e32 v0, 7, v0
	v_and_b32_e32 v2, 0x8000, v2
	v_and_b32_e32 v1, 0xfc00, v1
	v_or3_b32 v0, v2, v1, v0
	buffer_store_dword v0, off, s[0:3], s32 offset:236 ; 4-byte Folded Spill
.LBB323_177:                            ;   in Loop: Header=BB323_11 Depth=1
	s_or_b32 exec_lo, exec_lo, s23
.LBB323_178:                            ;   in Loop: Header=BB323_11 Depth=1
	s_or_b32 exec_lo, exec_lo, s22
.LBB323_179:                            ;   in Loop: Header=BB323_11 Depth=1
	s_or_b32 exec_lo, exec_lo, s21
	v_lshrrev_b16 v8, 8, v8
	v_mov_b32_e32 v102, 0
	v_mov_b32_e32 v103, 0
	s_mov_b32 s21, exec_lo
	v_cmpx_ne_u16_e32 0, v8
	s_cbranch_execz .LBB323_187
; %bb.180:                              ;   in Loop: Header=BB323_11 Depth=1
	v_bfrev_b32_e32 v103, 1
	s_mov_b32 s22, exec_lo
	v_cmpx_ne_u16_e32 0x80, v8
	s_cbranch_execz .LBB323_186
; %bb.181:                              ;   in Loop: Header=BB323_11 Depth=1
	v_mov_b32_e32 v0, 0x7f
	v_mov_b32_e32 v103, 0x7c010000
	s_mov_b32 s23, exec_lo
	v_and_b32_sdwa v2, v8, v0 dst_sel:DWORD dst_unused:UNUSED_PAD src0_sel:WORD_0 src1_sel:DWORD
	v_cmpx_ne_u32_e32 0x7f, v2
	s_cbranch_execz .LBB323_185
; %bb.182:                              ;   in Loop: Header=BB323_11 Depth=1
	v_mov_b32_e32 v0, 7
	v_lshrrev_b32_e32 v1, 3, v2
	s_mov_b32 s24, exec_lo
	v_and_b32_sdwa v0, v8, v0 dst_sel:DWORD dst_unused:UNUSED_PAD src0_sel:WORD_0 src1_sel:DWORD
	v_cmpx_gt_u32_e32 8, v2
; %bb.183:                              ;   in Loop: Header=BB323_11 Depth=1
	v_ffbh_u32_e32 v0, v0
	v_min_u32_e32 v2, 32, v0
	v_subrev_nc_u32_e32 v0, 28, v2
	v_lshlrev_b64 v[0:1], v0, v[8:9]
	v_sub_nc_u32_e32 v1, 29, v2
	v_and_b32_e32 v0, 7, v0
; %bb.184:                              ;   in Loop: Header=BB323_11 Depth=1
	s_or_b32 exec_lo, exec_lo, s24
	v_mov_b32_e32 v2, 8
	v_lshl_add_u32 v1, v1, 10, 0x2000
	v_lshlrev_b32_e32 v0, 23, v0
	v_lshlrev_b32_sdwa v2, v2, v8 dst_sel:DWORD dst_unused:UNUSED_PAD src0_sel:DWORD src1_sel:WORD_0
	v_and_or_b32 v1, 0x8000, v2, v1
	v_lshl_or_b32 v103, v1, 16, v0
.LBB323_185:                            ;   in Loop: Header=BB323_11 Depth=1
	s_or_b32 exec_lo, exec_lo, s23
.LBB323_186:                            ;   in Loop: Header=BB323_11 Depth=1
	s_or_b32 exec_lo, exec_lo, s22
.LBB323_187:                            ;   in Loop: Header=BB323_11 Depth=1
	s_or_b32 exec_lo, exec_lo, s21
	v_lshrrev_b32_e32 v8, 16, v31
	v_cmp_ne_u16_sdwa s5, v8, v9 src0_sel:BYTE_0 src1_sel:DWORD
	s_and_saveexec_b32 s21, s5
	s_cbranch_execz .LBB323_195
; %bb.188:                              ;   in Loop: Header=BB323_11 Depth=1
	v_cmp_ne_u16_sdwa s5, v8, v51 src0_sel:BYTE_0 src1_sel:DWORD
	v_mov_b32_e32 v102, 0x8000
	s_and_saveexec_b32 s22, s5
	s_cbranch_execz .LBB323_194
; %bb.189:                              ;   in Loop: Header=BB323_11 Depth=1
	v_bfe_u32 v2, v31, 16, 7
	v_mov_b32_e32 v102, 0x7c01
	s_mov_b32 s23, exec_lo
	v_cmpx_ne_u32_e32 0x7f, v2
	s_cbranch_execz .LBB323_193
; %bb.190:                              ;   in Loop: Header=BB323_11 Depth=1
	v_and_b32_e32 v0, 7, v8
	v_lshrrev_b32_e32 v1, 3, v2
	s_mov_b32 s24, exec_lo
	v_cmpx_gt_u32_e32 8, v2
; %bb.191:                              ;   in Loop: Header=BB323_11 Depth=1
	v_ffbh_u32_e32 v0, v0
	v_min_u32_e32 v2, 32, v0
	v_subrev_nc_u32_e32 v0, 28, v2
	v_lshlrev_b64 v[0:1], v0, v[8:9]
	v_sub_nc_u32_e32 v1, 29, v2
	v_and_b32_e32 v0, 7, v0
; %bb.192:                              ;   in Loop: Header=BB323_11 Depth=1
	s_or_b32 exec_lo, exec_lo, s24
	v_lshlrev_b32_e32 v2, 8, v8
	v_lshl_add_u32 v1, v1, 10, 0x2000
	v_lshlrev_b32_e32 v0, 7, v0
	v_and_b32_e32 v2, 0x8000, v2
	v_and_b32_e32 v1, 0xfc00, v1
	v_or3_b32 v102, v2, v1, v0
.LBB323_193:                            ;   in Loop: Header=BB323_11 Depth=1
	s_or_b32 exec_lo, exec_lo, s23
.LBB323_194:                            ;   in Loop: Header=BB323_11 Depth=1
	s_or_b32 exec_lo, exec_lo, s22
.LBB323_195:                            ;   in Loop: Header=BB323_11 Depth=1
	s_or_b32 exec_lo, exec_lo, s21
	v_mov_b32_e32 v113, 0
	v_mov_b32_e32 v112, 0
	s_mov_b32 s21, exec_lo
	v_cmpx_lt_u64_e64 s[6:7], v[30:31]
	s_cbranch_execz .LBB323_203
; %bb.196:                              ;   in Loop: Header=BB323_11 Depth=1
	v_lshrrev_b32_e32 v8, 24, v31
	v_bfrev_b32_e32 v112, 1
	s_mov_b32 s22, exec_lo
	v_cmpx_ne_u32_e32 0x80, v8
	s_cbranch_execz .LBB323_202
; %bb.197:                              ;   in Loop: Header=BB323_11 Depth=1
	v_and_b32_e32 v2, 0x7f, v8
	v_mov_b32_e32 v112, 0x7c010000
	s_mov_b32 s23, exec_lo
	v_cmpx_ne_u32_e32 0x7f, v2
	s_cbranch_execz .LBB323_201
; %bb.198:                              ;   in Loop: Header=BB323_11 Depth=1
	v_and_b32_e32 v0, 7, v8
	v_lshrrev_b32_e32 v1, 3, v2
	s_mov_b32 s24, exec_lo
	v_cmpx_gt_u32_e32 8, v2
; %bb.199:                              ;   in Loop: Header=BB323_11 Depth=1
	v_ffbh_u32_e32 v0, v0
	v_min_u32_e32 v2, 32, v0
	v_subrev_nc_u32_e32 v0, 28, v2
	v_lshlrev_b64 v[0:1], v0, v[8:9]
	v_sub_nc_u32_e32 v1, 29, v2
	v_and_b32_e32 v0, 7, v0
; %bb.200:                              ;   in Loop: Header=BB323_11 Depth=1
	s_or_b32 exec_lo, exec_lo, s24
	v_lshlrev_b32_e32 v2, 8, v8
	v_lshl_add_u32 v1, v1, 10, 0x2000
	v_lshlrev_b32_e32 v0, 23, v0
	v_and_or_b32 v1, 0x8000, v2, v1
	v_lshl_or_b32 v112, v1, 16, v0
.LBB323_201:                            ;   in Loop: Header=BB323_11 Depth=1
	s_or_b32 exec_lo, exec_lo, s23
.LBB323_202:                            ;   in Loop: Header=BB323_11 Depth=1
	s_or_b32 exec_lo, exec_lo, s22
.LBB323_203:                            ;   in Loop: Header=BB323_11 Depth=1
	s_or_b32 exec_lo, exec_lo, s21
	flat_load_dwordx2 v[30:31], v[28:29] offset:520
	s_waitcnt vmcnt(0) lgkmcnt(0)
	v_cmp_ne_u16_sdwa s5, v30, v9 src0_sel:BYTE_0 src1_sel:DWORD
	s_and_saveexec_b32 s21, s5
	s_cbranch_execz .LBB323_211
; %bb.204:                              ;   in Loop: Header=BB323_11 Depth=1
	v_cmp_ne_u16_sdwa s5, v30, v51 src0_sel:BYTE_0 src1_sel:DWORD
	v_mov_b32_e32 v113, 0x8000
	s_and_saveexec_b32 s22, s5
	s_cbranch_execz .LBB323_210
; %bb.205:                              ;   in Loop: Header=BB323_11 Depth=1
	v_and_b32_e32 v2, 0x7f, v30
	v_mov_b32_e32 v113, 0x7c01
	s_mov_b32 s23, exec_lo
	v_cmpx_ne_u32_e32 0x7f, v2
	s_cbranch_execz .LBB323_209
; %bb.206:                              ;   in Loop: Header=BB323_11 Depth=1
	v_and_b32_e32 v0, 7, v30
	v_lshrrev_b32_e32 v1, 3, v2
	s_mov_b32 s24, exec_lo
	v_cmpx_gt_u32_e32 8, v2
; %bb.207:                              ;   in Loop: Header=BB323_11 Depth=1
	v_ffbh_u32_e32 v0, v0
	v_min_u32_e32 v2, 32, v0
	v_subrev_nc_u32_e32 v0, 28, v2
	v_lshlrev_b64 v[0:1], v0, v[30:31]
	v_sub_nc_u32_e32 v1, 29, v2
	v_and_b32_e32 v0, 7, v0
; %bb.208:                              ;   in Loop: Header=BB323_11 Depth=1
	s_or_b32 exec_lo, exec_lo, s24
	v_lshlrev_b32_e32 v2, 8, v30
	v_lshl_add_u32 v1, v1, 10, 0x2000
	v_lshlrev_b32_e32 v0, 7, v0
	v_and_b32_e32 v2, 0x8000, v2
	v_and_b32_e32 v1, 0xfc00, v1
	v_or3_b32 v113, v2, v1, v0
.LBB323_209:                            ;   in Loop: Header=BB323_11 Depth=1
	s_or_b32 exec_lo, exec_lo, s23
.LBB323_210:                            ;   in Loop: Header=BB323_11 Depth=1
	s_or_b32 exec_lo, exec_lo, s22
.LBB323_211:                            ;   in Loop: Header=BB323_11 Depth=1
	s_or_b32 exec_lo, exec_lo, s21
	v_lshrrev_b16 v8, 8, v30
	v_mov_b32_e32 v115, 0
	v_mov_b32_e32 v114, 0
	s_mov_b32 s21, exec_lo
	v_cmpx_ne_u16_e32 0, v8
	s_cbranch_execz .LBB323_219
; %bb.212:                              ;   in Loop: Header=BB323_11 Depth=1
	v_bfrev_b32_e32 v114, 1
	s_mov_b32 s22, exec_lo
	v_cmpx_ne_u16_e32 0x80, v8
	s_cbranch_execz .LBB323_218
; %bb.213:                              ;   in Loop: Header=BB323_11 Depth=1
	v_mov_b32_e32 v0, 0x7f
	v_mov_b32_e32 v114, 0x7c010000
	s_mov_b32 s23, exec_lo
	v_and_b32_sdwa v2, v8, v0 dst_sel:DWORD dst_unused:UNUSED_PAD src0_sel:WORD_0 src1_sel:DWORD
	v_cmpx_ne_u32_e32 0x7f, v2
	s_cbranch_execz .LBB323_217
; %bb.214:                              ;   in Loop: Header=BB323_11 Depth=1
	v_mov_b32_e32 v0, 7
	v_lshrrev_b32_e32 v1, 3, v2
	s_mov_b32 s24, exec_lo
	v_and_b32_sdwa v0, v8, v0 dst_sel:DWORD dst_unused:UNUSED_PAD src0_sel:WORD_0 src1_sel:DWORD
	v_cmpx_gt_u32_e32 8, v2
; %bb.215:                              ;   in Loop: Header=BB323_11 Depth=1
	v_ffbh_u32_e32 v0, v0
	v_min_u32_e32 v2, 32, v0
	v_subrev_nc_u32_e32 v0, 28, v2
	v_lshlrev_b64 v[0:1], v0, v[8:9]
	v_sub_nc_u32_e32 v1, 29, v2
	v_and_b32_e32 v0, 7, v0
; %bb.216:                              ;   in Loop: Header=BB323_11 Depth=1
	s_or_b32 exec_lo, exec_lo, s24
	v_mov_b32_e32 v2, 8
	v_lshl_add_u32 v1, v1, 10, 0x2000
	v_lshlrev_b32_e32 v0, 23, v0
	v_lshlrev_b32_sdwa v2, v2, v8 dst_sel:DWORD dst_unused:UNUSED_PAD src0_sel:DWORD src1_sel:WORD_0
	v_and_or_b32 v1, 0x8000, v2, v1
	v_lshl_or_b32 v114, v1, 16, v0
.LBB323_217:                            ;   in Loop: Header=BB323_11 Depth=1
	s_or_b32 exec_lo, exec_lo, s23
.LBB323_218:                            ;   in Loop: Header=BB323_11 Depth=1
	s_or_b32 exec_lo, exec_lo, s22
.LBB323_219:                            ;   in Loop: Header=BB323_11 Depth=1
	s_or_b32 exec_lo, exec_lo, s21
	v_lshrrev_b32_e32 v8, 16, v30
	v_cmp_ne_u16_sdwa s5, v8, v9 src0_sel:BYTE_0 src1_sel:DWORD
	s_and_saveexec_b32 s21, s5
	s_cbranch_execz .LBB323_227
; %bb.220:                              ;   in Loop: Header=BB323_11 Depth=1
	v_cmp_ne_u16_sdwa s5, v8, v51 src0_sel:BYTE_0 src1_sel:DWORD
	v_mov_b32_e32 v115, 0x8000
	s_and_saveexec_b32 s22, s5
	s_cbranch_execz .LBB323_226
; %bb.221:                              ;   in Loop: Header=BB323_11 Depth=1
	v_bfe_u32 v2, v30, 16, 7
	v_mov_b32_e32 v115, 0x7c01
	s_mov_b32 s23, exec_lo
	v_cmpx_ne_u32_e32 0x7f, v2
	s_cbranch_execz .LBB323_225
; %bb.222:                              ;   in Loop: Header=BB323_11 Depth=1
	v_and_b32_e32 v0, 7, v8
	v_lshrrev_b32_e32 v1, 3, v2
	s_mov_b32 s24, exec_lo
	v_cmpx_gt_u32_e32 8, v2
; %bb.223:                              ;   in Loop: Header=BB323_11 Depth=1
	v_ffbh_u32_e32 v0, v0
	v_min_u32_e32 v2, 32, v0
	v_subrev_nc_u32_e32 v0, 28, v2
	v_lshlrev_b64 v[0:1], v0, v[8:9]
	v_sub_nc_u32_e32 v1, 29, v2
	v_and_b32_e32 v0, 7, v0
; %bb.224:                              ;   in Loop: Header=BB323_11 Depth=1
	s_or_b32 exec_lo, exec_lo, s24
	v_lshlrev_b32_e32 v2, 8, v8
	v_lshl_add_u32 v1, v1, 10, 0x2000
	v_lshlrev_b32_e32 v0, 7, v0
	v_and_b32_e32 v2, 0x8000, v2
	v_and_b32_e32 v1, 0xfc00, v1
	v_or3_b32 v115, v2, v1, v0
.LBB323_225:                            ;   in Loop: Header=BB323_11 Depth=1
	s_or_b32 exec_lo, exec_lo, s23
.LBB323_226:                            ;   in Loop: Header=BB323_11 Depth=1
	s_or_b32 exec_lo, exec_lo, s22
.LBB323_227:                            ;   in Loop: Header=BB323_11 Depth=1
	s_or_b32 exec_lo, exec_lo, s21
	v_mov_b32_e32 v116, 0
	v_mov_b32_e32 v117, 0
	s_mov_b32 s21, exec_lo
	v_cmpx_lt_u32_e32 0xffffff, v30
	s_cbranch_execz .LBB323_235
; %bb.228:                              ;   in Loop: Header=BB323_11 Depth=1
	v_lshrrev_b32_e32 v8, 24, v30
	v_bfrev_b32_e32 v117, 1
	s_mov_b32 s22, exec_lo
	v_cmpx_ne_u32_e32 0x80, v8
	s_cbranch_execz .LBB323_234
; %bb.229:                              ;   in Loop: Header=BB323_11 Depth=1
	v_and_b32_e32 v2, 0x7f, v8
	v_mov_b32_e32 v117, 0x7c010000
	s_mov_b32 s23, exec_lo
	v_cmpx_ne_u32_e32 0x7f, v2
	s_cbranch_execz .LBB323_233
; %bb.230:                              ;   in Loop: Header=BB323_11 Depth=1
	v_and_b32_e32 v0, 7, v8
	v_lshrrev_b32_e32 v1, 3, v2
	s_mov_b32 s24, exec_lo
	v_cmpx_gt_u32_e32 8, v2
; %bb.231:                              ;   in Loop: Header=BB323_11 Depth=1
	v_ffbh_u32_e32 v0, v0
	v_min_u32_e32 v2, 32, v0
	v_subrev_nc_u32_e32 v0, 28, v2
	v_lshlrev_b64 v[0:1], v0, v[8:9]
	v_sub_nc_u32_e32 v1, 29, v2
	v_and_b32_e32 v0, 7, v0
; %bb.232:                              ;   in Loop: Header=BB323_11 Depth=1
	s_or_b32 exec_lo, exec_lo, s24
	v_lshlrev_b32_e32 v2, 8, v8
	v_lshl_add_u32 v1, v1, 10, 0x2000
	v_lshlrev_b32_e32 v0, 23, v0
	v_and_or_b32 v1, 0x8000, v2, v1
	v_lshl_or_b32 v117, v1, 16, v0
.LBB323_233:                            ;   in Loop: Header=BB323_11 Depth=1
	s_or_b32 exec_lo, exec_lo, s23
.LBB323_234:                            ;   in Loop: Header=BB323_11 Depth=1
	s_or_b32 exec_lo, exec_lo, s22
.LBB323_235:                            ;   in Loop: Header=BB323_11 Depth=1
	s_or_b32 exec_lo, exec_lo, s21
	v_mov_b32_e32 v8, v31
	v_cmp_ne_u16_sdwa s5, v31, v9 src0_sel:BYTE_0 src1_sel:DWORD
	s_and_saveexec_b32 s21, s5
	s_cbranch_execz .LBB323_243
; %bb.236:                              ;   in Loop: Header=BB323_11 Depth=1
	v_cmp_ne_u16_sdwa s5, v31, v51 src0_sel:BYTE_0 src1_sel:DWORD
	v_mov_b32_e32 v116, 0x8000
	s_and_saveexec_b32 s22, s5
	s_cbranch_execz .LBB323_242
; %bb.237:                              ;   in Loop: Header=BB323_11 Depth=1
	v_and_b32_e32 v2, 0x7f, v31
	v_mov_b32_e32 v116, 0x7c01
	s_mov_b32 s23, exec_lo
	v_cmpx_ne_u32_e32 0x7f, v2
	s_cbranch_execz .LBB323_241
; %bb.238:                              ;   in Loop: Header=BB323_11 Depth=1
	v_and_b32_e32 v0, 7, v31
	v_lshrrev_b32_e32 v1, 3, v2
	s_mov_b32 s24, exec_lo
	v_cmpx_gt_u32_e32 8, v2
; %bb.239:                              ;   in Loop: Header=BB323_11 Depth=1
	v_ffbh_u32_e32 v0, v0
	v_min_u32_e32 v2, 32, v0
	v_subrev_nc_u32_e32 v0, 28, v2
	v_lshlrev_b64 v[0:1], v0, v[8:9]
	v_sub_nc_u32_e32 v1, 29, v2
	v_and_b32_e32 v0, 7, v0
; %bb.240:                              ;   in Loop: Header=BB323_11 Depth=1
	s_or_b32 exec_lo, exec_lo, s24
	v_lshlrev_b32_e32 v2, 8, v31
	v_lshl_add_u32 v1, v1, 10, 0x2000
	v_lshlrev_b32_e32 v0, 7, v0
	v_and_b32_e32 v2, 0x8000, v2
	v_and_b32_e32 v1, 0xfc00, v1
	v_or3_b32 v116, v2, v1, v0
.LBB323_241:                            ;   in Loop: Header=BB323_11 Depth=1
	s_or_b32 exec_lo, exec_lo, s23
.LBB323_242:                            ;   in Loop: Header=BB323_11 Depth=1
	s_or_b32 exec_lo, exec_lo, s22
.LBB323_243:                            ;   in Loop: Header=BB323_11 Depth=1
	s_or_b32 exec_lo, exec_lo, s21
	v_lshrrev_b16 v8, 8, v8
	v_mov_b32_e32 v118, 0
	v_mov_b32_e32 v119, 0
	s_mov_b32 s21, exec_lo
	v_cmpx_ne_u16_e32 0, v8
	s_cbranch_execz .LBB323_251
; %bb.244:                              ;   in Loop: Header=BB323_11 Depth=1
	v_bfrev_b32_e32 v119, 1
	s_mov_b32 s22, exec_lo
	v_cmpx_ne_u16_e32 0x80, v8
	s_cbranch_execz .LBB323_250
; %bb.245:                              ;   in Loop: Header=BB323_11 Depth=1
	v_mov_b32_e32 v0, 0x7f
	v_mov_b32_e32 v119, 0x7c010000
	s_mov_b32 s23, exec_lo
	v_and_b32_sdwa v2, v8, v0 dst_sel:DWORD dst_unused:UNUSED_PAD src0_sel:WORD_0 src1_sel:DWORD
	v_cmpx_ne_u32_e32 0x7f, v2
	s_cbranch_execz .LBB323_249
; %bb.246:                              ;   in Loop: Header=BB323_11 Depth=1
	v_mov_b32_e32 v0, 7
	v_lshrrev_b32_e32 v1, 3, v2
	s_mov_b32 s24, exec_lo
	v_and_b32_sdwa v0, v8, v0 dst_sel:DWORD dst_unused:UNUSED_PAD src0_sel:WORD_0 src1_sel:DWORD
	v_cmpx_gt_u32_e32 8, v2
; %bb.247:                              ;   in Loop: Header=BB323_11 Depth=1
	v_ffbh_u32_e32 v0, v0
	v_min_u32_e32 v2, 32, v0
	v_subrev_nc_u32_e32 v0, 28, v2
	v_lshlrev_b64 v[0:1], v0, v[8:9]
	v_sub_nc_u32_e32 v1, 29, v2
	v_and_b32_e32 v0, 7, v0
; %bb.248:                              ;   in Loop: Header=BB323_11 Depth=1
	s_or_b32 exec_lo, exec_lo, s24
	v_mov_b32_e32 v2, 8
	v_lshl_add_u32 v1, v1, 10, 0x2000
	v_lshlrev_b32_e32 v0, 23, v0
	v_lshlrev_b32_sdwa v2, v2, v8 dst_sel:DWORD dst_unused:UNUSED_PAD src0_sel:DWORD src1_sel:WORD_0
	v_and_or_b32 v1, 0x8000, v2, v1
	v_lshl_or_b32 v119, v1, 16, v0
.LBB323_249:                            ;   in Loop: Header=BB323_11 Depth=1
	s_or_b32 exec_lo, exec_lo, s23
.LBB323_250:                            ;   in Loop: Header=BB323_11 Depth=1
	s_or_b32 exec_lo, exec_lo, s22
.LBB323_251:                            ;   in Loop: Header=BB323_11 Depth=1
	s_or_b32 exec_lo, exec_lo, s21
	v_lshrrev_b32_e32 v8, 16, v31
	v_cmp_ne_u16_sdwa s5, v8, v9 src0_sel:BYTE_0 src1_sel:DWORD
	s_and_saveexec_b32 s21, s5
	s_cbranch_execz .LBB323_259
; %bb.252:                              ;   in Loop: Header=BB323_11 Depth=1
	v_cmp_ne_u16_sdwa s5, v8, v51 src0_sel:BYTE_0 src1_sel:DWORD
	v_mov_b32_e32 v118, 0x8000
	s_and_saveexec_b32 s22, s5
	s_cbranch_execz .LBB323_258
; %bb.253:                              ;   in Loop: Header=BB323_11 Depth=1
	v_bfe_u32 v2, v31, 16, 7
	v_mov_b32_e32 v118, 0x7c01
	s_mov_b32 s23, exec_lo
	v_cmpx_ne_u32_e32 0x7f, v2
	s_cbranch_execz .LBB323_257
; %bb.254:                              ;   in Loop: Header=BB323_11 Depth=1
	v_and_b32_e32 v0, 7, v8
	v_lshrrev_b32_e32 v1, 3, v2
	s_mov_b32 s24, exec_lo
	v_cmpx_gt_u32_e32 8, v2
; %bb.255:                              ;   in Loop: Header=BB323_11 Depth=1
	v_ffbh_u32_e32 v0, v0
	v_min_u32_e32 v2, 32, v0
	v_subrev_nc_u32_e32 v0, 28, v2
	v_lshlrev_b64 v[0:1], v0, v[8:9]
	v_sub_nc_u32_e32 v1, 29, v2
	v_and_b32_e32 v0, 7, v0
; %bb.256:                              ;   in Loop: Header=BB323_11 Depth=1
	s_or_b32 exec_lo, exec_lo, s24
	v_lshlrev_b32_e32 v2, 8, v8
	v_lshl_add_u32 v1, v1, 10, 0x2000
	v_lshlrev_b32_e32 v0, 7, v0
	v_and_b32_e32 v2, 0x8000, v2
	v_and_b32_e32 v1, 0xfc00, v1
	v_or3_b32 v118, v2, v1, v0
.LBB323_257:                            ;   in Loop: Header=BB323_11 Depth=1
	s_or_b32 exec_lo, exec_lo, s23
.LBB323_258:                            ;   in Loop: Header=BB323_11 Depth=1
	s_or_b32 exec_lo, exec_lo, s22
.LBB323_259:                            ;   in Loop: Header=BB323_11 Depth=1
	s_or_b32 exec_lo, exec_lo, s21
	v_mov_b32_e32 v41, 0
	v_mov_b32_e32 v40, 0
	s_mov_b32 s21, exec_lo
	v_cmpx_lt_u64_e64 s[6:7], v[30:31]
	s_cbranch_execz .LBB323_267
; %bb.260:                              ;   in Loop: Header=BB323_11 Depth=1
	v_lshrrev_b32_e32 v8, 24, v31
	v_bfrev_b32_e32 v40, 1
	s_mov_b32 s22, exec_lo
	v_cmpx_ne_u32_e32 0x80, v8
	s_cbranch_execz .LBB323_266
; %bb.261:                              ;   in Loop: Header=BB323_11 Depth=1
	v_and_b32_e32 v2, 0x7f, v8
	v_mov_b32_e32 v40, 0x7c010000
	s_mov_b32 s23, exec_lo
	v_cmpx_ne_u32_e32 0x7f, v2
	s_cbranch_execz .LBB323_265
; %bb.262:                              ;   in Loop: Header=BB323_11 Depth=1
	v_and_b32_e32 v0, 7, v8
	v_lshrrev_b32_e32 v1, 3, v2
	s_mov_b32 s24, exec_lo
	v_cmpx_gt_u32_e32 8, v2
; %bb.263:                              ;   in Loop: Header=BB323_11 Depth=1
	v_ffbh_u32_e32 v0, v0
	v_min_u32_e32 v2, 32, v0
	v_subrev_nc_u32_e32 v0, 28, v2
	v_lshlrev_b64 v[0:1], v0, v[8:9]
	v_sub_nc_u32_e32 v1, 29, v2
	v_and_b32_e32 v0, 7, v0
; %bb.264:                              ;   in Loop: Header=BB323_11 Depth=1
	s_or_b32 exec_lo, exec_lo, s24
	v_lshlrev_b32_e32 v2, 8, v8
	v_lshl_add_u32 v1, v1, 10, 0x2000
	v_lshlrev_b32_e32 v0, 23, v0
	v_and_or_b32 v1, 0x8000, v2, v1
	v_lshl_or_b32 v40, v1, 16, v0
.LBB323_265:                            ;   in Loop: Header=BB323_11 Depth=1
	s_or_b32 exec_lo, exec_lo, s23
.LBB323_266:                            ;   in Loop: Header=BB323_11 Depth=1
	s_or_b32 exec_lo, exec_lo, s22
.LBB323_267:                            ;   in Loop: Header=BB323_11 Depth=1
	s_or_b32 exec_lo, exec_lo, s21
	flat_load_dwordx2 v[30:31], v[28:29] offset:1024
	s_waitcnt vmcnt(0) lgkmcnt(0)
	v_cmp_ne_u16_sdwa s5, v30, v9 src0_sel:BYTE_0 src1_sel:DWORD
	s_and_saveexec_b32 s21, s5
	s_cbranch_execz .LBB323_275
; %bb.268:                              ;   in Loop: Header=BB323_11 Depth=1
	v_cmp_ne_u16_sdwa s5, v30, v51 src0_sel:BYTE_0 src1_sel:DWORD
	v_mov_b32_e32 v41, 0x8000
	s_and_saveexec_b32 s22, s5
	s_cbranch_execz .LBB323_274
; %bb.269:                              ;   in Loop: Header=BB323_11 Depth=1
	v_and_b32_e32 v2, 0x7f, v30
	v_mov_b32_e32 v41, 0x7c01
	s_mov_b32 s23, exec_lo
	v_cmpx_ne_u32_e32 0x7f, v2
	s_cbranch_execz .LBB323_273
; %bb.270:                              ;   in Loop: Header=BB323_11 Depth=1
	v_and_b32_e32 v0, 7, v30
	v_lshrrev_b32_e32 v1, 3, v2
	s_mov_b32 s24, exec_lo
	v_cmpx_gt_u32_e32 8, v2
; %bb.271:                              ;   in Loop: Header=BB323_11 Depth=1
	v_ffbh_u32_e32 v0, v0
	v_min_u32_e32 v2, 32, v0
	v_subrev_nc_u32_e32 v0, 28, v2
	v_lshlrev_b64 v[0:1], v0, v[30:31]
	v_sub_nc_u32_e32 v1, 29, v2
	v_and_b32_e32 v0, 7, v0
; %bb.272:                              ;   in Loop: Header=BB323_11 Depth=1
	s_or_b32 exec_lo, exec_lo, s24
	v_lshlrev_b32_e32 v2, 8, v30
	v_lshl_add_u32 v1, v1, 10, 0x2000
	v_lshlrev_b32_e32 v0, 7, v0
	v_and_b32_e32 v2, 0x8000, v2
	v_and_b32_e32 v1, 0xfc00, v1
	v_or3_b32 v41, v2, v1, v0
.LBB323_273:                            ;   in Loop: Header=BB323_11 Depth=1
	s_or_b32 exec_lo, exec_lo, s23
.LBB323_274:                            ;   in Loop: Header=BB323_11 Depth=1
	s_or_b32 exec_lo, exec_lo, s22
.LBB323_275:                            ;   in Loop: Header=BB323_11 Depth=1
	s_or_b32 exec_lo, exec_lo, s21
	v_lshrrev_b16 v8, 8, v30
	v_mov_b32_e32 v43, 0
	v_mov_b32_e32 v42, 0
	s_mov_b32 s21, exec_lo
	v_cmpx_ne_u16_e32 0, v8
	s_cbranch_execz .LBB323_283
; %bb.276:                              ;   in Loop: Header=BB323_11 Depth=1
	v_bfrev_b32_e32 v42, 1
	s_mov_b32 s22, exec_lo
	v_cmpx_ne_u16_e32 0x80, v8
	s_cbranch_execz .LBB323_282
; %bb.277:                              ;   in Loop: Header=BB323_11 Depth=1
	v_mov_b32_e32 v0, 0x7f
	v_mov_b32_e32 v42, 0x7c010000
	s_mov_b32 s23, exec_lo
	v_and_b32_sdwa v2, v8, v0 dst_sel:DWORD dst_unused:UNUSED_PAD src0_sel:WORD_0 src1_sel:DWORD
	v_cmpx_ne_u32_e32 0x7f, v2
	s_cbranch_execz .LBB323_281
; %bb.278:                              ;   in Loop: Header=BB323_11 Depth=1
	v_mov_b32_e32 v0, 7
	v_lshrrev_b32_e32 v1, 3, v2
	s_mov_b32 s24, exec_lo
	v_and_b32_sdwa v0, v8, v0 dst_sel:DWORD dst_unused:UNUSED_PAD src0_sel:WORD_0 src1_sel:DWORD
	v_cmpx_gt_u32_e32 8, v2
; %bb.279:                              ;   in Loop: Header=BB323_11 Depth=1
	v_ffbh_u32_e32 v0, v0
	v_min_u32_e32 v2, 32, v0
	v_subrev_nc_u32_e32 v0, 28, v2
	v_lshlrev_b64 v[0:1], v0, v[8:9]
	v_sub_nc_u32_e32 v1, 29, v2
	v_and_b32_e32 v0, 7, v0
; %bb.280:                              ;   in Loop: Header=BB323_11 Depth=1
	s_or_b32 exec_lo, exec_lo, s24
	v_mov_b32_e32 v2, 8
	v_lshl_add_u32 v1, v1, 10, 0x2000
	v_lshlrev_b32_e32 v0, 23, v0
	v_lshlrev_b32_sdwa v2, v2, v8 dst_sel:DWORD dst_unused:UNUSED_PAD src0_sel:DWORD src1_sel:WORD_0
	v_and_or_b32 v1, 0x8000, v2, v1
	v_lshl_or_b32 v42, v1, 16, v0
.LBB323_281:                            ;   in Loop: Header=BB323_11 Depth=1
	s_or_b32 exec_lo, exec_lo, s23
.LBB323_282:                            ;   in Loop: Header=BB323_11 Depth=1
	s_or_b32 exec_lo, exec_lo, s22
.LBB323_283:                            ;   in Loop: Header=BB323_11 Depth=1
	s_or_b32 exec_lo, exec_lo, s21
	v_lshrrev_b32_e32 v8, 16, v30
	v_cmp_ne_u16_sdwa s5, v8, v9 src0_sel:BYTE_0 src1_sel:DWORD
	s_and_saveexec_b32 s21, s5
	s_cbranch_execz .LBB323_291
; %bb.284:                              ;   in Loop: Header=BB323_11 Depth=1
	v_cmp_ne_u16_sdwa s5, v8, v51 src0_sel:BYTE_0 src1_sel:DWORD
	v_mov_b32_e32 v43, 0x8000
	s_and_saveexec_b32 s22, s5
	s_cbranch_execz .LBB323_290
; %bb.285:                              ;   in Loop: Header=BB323_11 Depth=1
	v_bfe_u32 v2, v30, 16, 7
	v_mov_b32_e32 v43, 0x7c01
	s_mov_b32 s23, exec_lo
	v_cmpx_ne_u32_e32 0x7f, v2
	s_cbranch_execz .LBB323_289
; %bb.286:                              ;   in Loop: Header=BB323_11 Depth=1
	v_and_b32_e32 v0, 7, v8
	v_lshrrev_b32_e32 v1, 3, v2
	s_mov_b32 s24, exec_lo
	v_cmpx_gt_u32_e32 8, v2
; %bb.287:                              ;   in Loop: Header=BB323_11 Depth=1
	v_ffbh_u32_e32 v0, v0
	v_min_u32_e32 v2, 32, v0
	v_subrev_nc_u32_e32 v0, 28, v2
	v_lshlrev_b64 v[0:1], v0, v[8:9]
	v_sub_nc_u32_e32 v1, 29, v2
	v_and_b32_e32 v0, 7, v0
; %bb.288:                              ;   in Loop: Header=BB323_11 Depth=1
	s_or_b32 exec_lo, exec_lo, s24
	v_lshlrev_b32_e32 v2, 8, v8
	v_lshl_add_u32 v1, v1, 10, 0x2000
	v_lshlrev_b32_e32 v0, 7, v0
	v_and_b32_e32 v2, 0x8000, v2
	v_and_b32_e32 v1, 0xfc00, v1
	v_or3_b32 v43, v2, v1, v0
.LBB323_289:                            ;   in Loop: Header=BB323_11 Depth=1
	s_or_b32 exec_lo, exec_lo, s23
.LBB323_290:                            ;   in Loop: Header=BB323_11 Depth=1
	s_or_b32 exec_lo, exec_lo, s22
.LBB323_291:                            ;   in Loop: Header=BB323_11 Depth=1
	s_or_b32 exec_lo, exec_lo, s21
	v_mov_b32_e32 v44, 0
	v_mov_b32_e32 v45, 0
	s_mov_b32 s21, exec_lo
	v_cmpx_lt_u32_e32 0xffffff, v30
	s_cbranch_execz .LBB323_299
; %bb.292:                              ;   in Loop: Header=BB323_11 Depth=1
	v_lshrrev_b32_e32 v8, 24, v30
	v_bfrev_b32_e32 v45, 1
	s_mov_b32 s22, exec_lo
	v_cmpx_ne_u32_e32 0x80, v8
	s_cbranch_execz .LBB323_298
; %bb.293:                              ;   in Loop: Header=BB323_11 Depth=1
	v_and_b32_e32 v2, 0x7f, v8
	v_mov_b32_e32 v45, 0x7c010000
	s_mov_b32 s23, exec_lo
	v_cmpx_ne_u32_e32 0x7f, v2
	s_cbranch_execz .LBB323_297
; %bb.294:                              ;   in Loop: Header=BB323_11 Depth=1
	v_and_b32_e32 v0, 7, v8
	v_lshrrev_b32_e32 v1, 3, v2
	s_mov_b32 s24, exec_lo
	v_cmpx_gt_u32_e32 8, v2
; %bb.295:                              ;   in Loop: Header=BB323_11 Depth=1
	v_ffbh_u32_e32 v0, v0
	v_min_u32_e32 v2, 32, v0
	v_subrev_nc_u32_e32 v0, 28, v2
	v_lshlrev_b64 v[0:1], v0, v[8:9]
	v_sub_nc_u32_e32 v1, 29, v2
	v_and_b32_e32 v0, 7, v0
; %bb.296:                              ;   in Loop: Header=BB323_11 Depth=1
	s_or_b32 exec_lo, exec_lo, s24
	v_lshlrev_b32_e32 v2, 8, v8
	v_lshl_add_u32 v1, v1, 10, 0x2000
	v_lshlrev_b32_e32 v0, 23, v0
	v_and_or_b32 v1, 0x8000, v2, v1
	v_lshl_or_b32 v45, v1, 16, v0
.LBB323_297:                            ;   in Loop: Header=BB323_11 Depth=1
	s_or_b32 exec_lo, exec_lo, s23
.LBB323_298:                            ;   in Loop: Header=BB323_11 Depth=1
	s_or_b32 exec_lo, exec_lo, s22
.LBB323_299:                            ;   in Loop: Header=BB323_11 Depth=1
	s_or_b32 exec_lo, exec_lo, s21
	v_mov_b32_e32 v8, v31
	v_cmp_ne_u16_sdwa s5, v31, v9 src0_sel:BYTE_0 src1_sel:DWORD
	s_and_saveexec_b32 s21, s5
	s_cbranch_execz .LBB323_307
; %bb.300:                              ;   in Loop: Header=BB323_11 Depth=1
	v_cmp_ne_u16_sdwa s5, v31, v51 src0_sel:BYTE_0 src1_sel:DWORD
	v_mov_b32_e32 v44, 0x8000
	s_and_saveexec_b32 s22, s5
	s_cbranch_execz .LBB323_306
; %bb.301:                              ;   in Loop: Header=BB323_11 Depth=1
	v_and_b32_e32 v2, 0x7f, v31
	v_mov_b32_e32 v44, 0x7c01
	s_mov_b32 s23, exec_lo
	v_cmpx_ne_u32_e32 0x7f, v2
	s_cbranch_execz .LBB323_305
; %bb.302:                              ;   in Loop: Header=BB323_11 Depth=1
	v_and_b32_e32 v0, 7, v31
	v_lshrrev_b32_e32 v1, 3, v2
	s_mov_b32 s24, exec_lo
	v_cmpx_gt_u32_e32 8, v2
; %bb.303:                              ;   in Loop: Header=BB323_11 Depth=1
	v_ffbh_u32_e32 v0, v0
	v_min_u32_e32 v2, 32, v0
	v_subrev_nc_u32_e32 v0, 28, v2
	v_lshlrev_b64 v[0:1], v0, v[8:9]
	v_sub_nc_u32_e32 v1, 29, v2
	v_and_b32_e32 v0, 7, v0
; %bb.304:                              ;   in Loop: Header=BB323_11 Depth=1
	s_or_b32 exec_lo, exec_lo, s24
	v_lshlrev_b32_e32 v2, 8, v31
	v_lshl_add_u32 v1, v1, 10, 0x2000
	v_lshlrev_b32_e32 v0, 7, v0
	v_and_b32_e32 v2, 0x8000, v2
	v_and_b32_e32 v1, 0xfc00, v1
	v_or3_b32 v44, v2, v1, v0
.LBB323_305:                            ;   in Loop: Header=BB323_11 Depth=1
	s_or_b32 exec_lo, exec_lo, s23
.LBB323_306:                            ;   in Loop: Header=BB323_11 Depth=1
	s_or_b32 exec_lo, exec_lo, s22
.LBB323_307:                            ;   in Loop: Header=BB323_11 Depth=1
	s_or_b32 exec_lo, exec_lo, s21
	v_lshrrev_b16 v8, 8, v8
	v_mov_b32_e32 v46, 0
	v_mov_b32_e32 v47, 0
	s_mov_b32 s21, exec_lo
	v_cmpx_ne_u16_e32 0, v8
	s_cbranch_execz .LBB323_315
; %bb.308:                              ;   in Loop: Header=BB323_11 Depth=1
	v_bfrev_b32_e32 v47, 1
	s_mov_b32 s22, exec_lo
	v_cmpx_ne_u16_e32 0x80, v8
	s_cbranch_execz .LBB323_314
; %bb.309:                              ;   in Loop: Header=BB323_11 Depth=1
	v_mov_b32_e32 v0, 0x7f
	v_mov_b32_e32 v47, 0x7c010000
	s_mov_b32 s23, exec_lo
	v_and_b32_sdwa v2, v8, v0 dst_sel:DWORD dst_unused:UNUSED_PAD src0_sel:WORD_0 src1_sel:DWORD
	v_cmpx_ne_u32_e32 0x7f, v2
	s_cbranch_execz .LBB323_313
; %bb.310:                              ;   in Loop: Header=BB323_11 Depth=1
	v_mov_b32_e32 v0, 7
	v_lshrrev_b32_e32 v1, 3, v2
	s_mov_b32 s24, exec_lo
	v_and_b32_sdwa v0, v8, v0 dst_sel:DWORD dst_unused:UNUSED_PAD src0_sel:WORD_0 src1_sel:DWORD
	v_cmpx_gt_u32_e32 8, v2
; %bb.311:                              ;   in Loop: Header=BB323_11 Depth=1
	v_ffbh_u32_e32 v0, v0
	v_min_u32_e32 v2, 32, v0
	v_subrev_nc_u32_e32 v0, 28, v2
	v_lshlrev_b64 v[0:1], v0, v[8:9]
	v_sub_nc_u32_e32 v1, 29, v2
	v_and_b32_e32 v0, 7, v0
; %bb.312:                              ;   in Loop: Header=BB323_11 Depth=1
	s_or_b32 exec_lo, exec_lo, s24
	v_mov_b32_e32 v2, 8
	v_lshl_add_u32 v1, v1, 10, 0x2000
	v_lshlrev_b32_e32 v0, 23, v0
	v_lshlrev_b32_sdwa v2, v2, v8 dst_sel:DWORD dst_unused:UNUSED_PAD src0_sel:DWORD src1_sel:WORD_0
	v_and_or_b32 v1, 0x8000, v2, v1
	v_lshl_or_b32 v47, v1, 16, v0
.LBB323_313:                            ;   in Loop: Header=BB323_11 Depth=1
	s_or_b32 exec_lo, exec_lo, s23
.LBB323_314:                            ;   in Loop: Header=BB323_11 Depth=1
	s_or_b32 exec_lo, exec_lo, s22
.LBB323_315:                            ;   in Loop: Header=BB323_11 Depth=1
	s_or_b32 exec_lo, exec_lo, s21
	v_lshrrev_b32_e32 v8, 16, v31
	v_cmp_ne_u16_sdwa s5, v8, v9 src0_sel:BYTE_0 src1_sel:DWORD
	s_and_saveexec_b32 s21, s5
	s_cbranch_execz .LBB323_323
; %bb.316:                              ;   in Loop: Header=BB323_11 Depth=1
	v_cmp_ne_u16_sdwa s5, v8, v51 src0_sel:BYTE_0 src1_sel:DWORD
	v_mov_b32_e32 v46, 0x8000
	s_and_saveexec_b32 s22, s5
	s_cbranch_execz .LBB323_322
; %bb.317:                              ;   in Loop: Header=BB323_11 Depth=1
	v_bfe_u32 v2, v31, 16, 7
	v_mov_b32_e32 v46, 0x7c01
	s_mov_b32 s23, exec_lo
	v_cmpx_ne_u32_e32 0x7f, v2
	s_cbranch_execz .LBB323_321
; %bb.318:                              ;   in Loop: Header=BB323_11 Depth=1
	v_and_b32_e32 v0, 7, v8
	v_lshrrev_b32_e32 v1, 3, v2
	s_mov_b32 s24, exec_lo
	v_cmpx_gt_u32_e32 8, v2
; %bb.319:                              ;   in Loop: Header=BB323_11 Depth=1
	v_ffbh_u32_e32 v0, v0
	v_min_u32_e32 v2, 32, v0
	v_subrev_nc_u32_e32 v0, 28, v2
	v_lshlrev_b64 v[0:1], v0, v[8:9]
	v_sub_nc_u32_e32 v1, 29, v2
	v_and_b32_e32 v0, 7, v0
; %bb.320:                              ;   in Loop: Header=BB323_11 Depth=1
	s_or_b32 exec_lo, exec_lo, s24
	v_lshlrev_b32_e32 v2, 8, v8
	v_lshl_add_u32 v1, v1, 10, 0x2000
	v_lshlrev_b32_e32 v0, 7, v0
	v_and_b32_e32 v2, 0x8000, v2
	v_and_b32_e32 v1, 0xfc00, v1
	v_or3_b32 v46, v2, v1, v0
.LBB323_321:                            ;   in Loop: Header=BB323_11 Depth=1
	s_or_b32 exec_lo, exec_lo, s23
.LBB323_322:                            ;   in Loop: Header=BB323_11 Depth=1
	s_or_b32 exec_lo, exec_lo, s22
.LBB323_323:                            ;   in Loop: Header=BB323_11 Depth=1
	s_or_b32 exec_lo, exec_lo, s21
	v_mov_b32_e32 v57, 0
	v_mov_b32_e32 v56, 0
	s_mov_b32 s21, exec_lo
	v_cmpx_lt_u64_e64 s[6:7], v[30:31]
	s_cbranch_execz .LBB323_331
; %bb.324:                              ;   in Loop: Header=BB323_11 Depth=1
	v_lshrrev_b32_e32 v8, 24, v31
	v_bfrev_b32_e32 v56, 1
	s_mov_b32 s22, exec_lo
	v_cmpx_ne_u32_e32 0x80, v8
	s_cbranch_execz .LBB323_330
; %bb.325:                              ;   in Loop: Header=BB323_11 Depth=1
	v_and_b32_e32 v2, 0x7f, v8
	v_mov_b32_e32 v56, 0x7c010000
	s_mov_b32 s23, exec_lo
	v_cmpx_ne_u32_e32 0x7f, v2
	s_cbranch_execz .LBB323_329
; %bb.326:                              ;   in Loop: Header=BB323_11 Depth=1
	v_and_b32_e32 v0, 7, v8
	v_lshrrev_b32_e32 v1, 3, v2
	s_mov_b32 s24, exec_lo
	v_cmpx_gt_u32_e32 8, v2
; %bb.327:                              ;   in Loop: Header=BB323_11 Depth=1
	v_ffbh_u32_e32 v0, v0
	v_min_u32_e32 v2, 32, v0
	v_subrev_nc_u32_e32 v0, 28, v2
	v_lshlrev_b64 v[0:1], v0, v[8:9]
	v_sub_nc_u32_e32 v1, 29, v2
	v_and_b32_e32 v0, 7, v0
; %bb.328:                              ;   in Loop: Header=BB323_11 Depth=1
	s_or_b32 exec_lo, exec_lo, s24
	v_lshlrev_b32_e32 v2, 8, v8
	v_lshl_add_u32 v1, v1, 10, 0x2000
	v_lshlrev_b32_e32 v0, 23, v0
	v_and_or_b32 v1, 0x8000, v2, v1
	v_lshl_or_b32 v56, v1, 16, v0
.LBB323_329:                            ;   in Loop: Header=BB323_11 Depth=1
	s_or_b32 exec_lo, exec_lo, s23
.LBB323_330:                            ;   in Loop: Header=BB323_11 Depth=1
	s_or_b32 exec_lo, exec_lo, s22
.LBB323_331:                            ;   in Loop: Header=BB323_11 Depth=1
	s_or_b32 exec_lo, exec_lo, s21
	flat_load_dwordx2 v[30:31], v[28:29] offset:1032
	s_waitcnt vmcnt(0) lgkmcnt(0)
	v_cmp_ne_u16_sdwa s5, v30, v9 src0_sel:BYTE_0 src1_sel:DWORD
	s_and_saveexec_b32 s21, s5
	s_cbranch_execz .LBB323_339
; %bb.332:                              ;   in Loop: Header=BB323_11 Depth=1
	v_cmp_ne_u16_sdwa s5, v30, v51 src0_sel:BYTE_0 src1_sel:DWORD
	v_mov_b32_e32 v57, 0x8000
	s_and_saveexec_b32 s22, s5
	s_cbranch_execz .LBB323_338
; %bb.333:                              ;   in Loop: Header=BB323_11 Depth=1
	v_and_b32_e32 v2, 0x7f, v30
	v_mov_b32_e32 v57, 0x7c01
	s_mov_b32 s23, exec_lo
	v_cmpx_ne_u32_e32 0x7f, v2
	s_cbranch_execz .LBB323_337
; %bb.334:                              ;   in Loop: Header=BB323_11 Depth=1
	v_and_b32_e32 v0, 7, v30
	v_lshrrev_b32_e32 v1, 3, v2
	s_mov_b32 s24, exec_lo
	v_cmpx_gt_u32_e32 8, v2
; %bb.335:                              ;   in Loop: Header=BB323_11 Depth=1
	v_ffbh_u32_e32 v0, v0
	v_min_u32_e32 v2, 32, v0
	v_subrev_nc_u32_e32 v0, 28, v2
	v_lshlrev_b64 v[0:1], v0, v[30:31]
	v_sub_nc_u32_e32 v1, 29, v2
	v_and_b32_e32 v0, 7, v0
; %bb.336:                              ;   in Loop: Header=BB323_11 Depth=1
	s_or_b32 exec_lo, exec_lo, s24
	v_lshlrev_b32_e32 v2, 8, v30
	v_lshl_add_u32 v1, v1, 10, 0x2000
	v_lshlrev_b32_e32 v0, 7, v0
	v_and_b32_e32 v2, 0x8000, v2
	v_and_b32_e32 v1, 0xfc00, v1
	v_or3_b32 v57, v2, v1, v0
.LBB323_337:                            ;   in Loop: Header=BB323_11 Depth=1
	s_or_b32 exec_lo, exec_lo, s23
.LBB323_338:                            ;   in Loop: Header=BB323_11 Depth=1
	s_or_b32 exec_lo, exec_lo, s22
.LBB323_339:                            ;   in Loop: Header=BB323_11 Depth=1
	s_or_b32 exec_lo, exec_lo, s21
	v_lshrrev_b16 v8, 8, v30
	v_mov_b32_e32 v59, 0
	v_mov_b32_e32 v58, 0
	s_mov_b32 s21, exec_lo
	v_cmpx_ne_u16_e32 0, v8
	s_cbranch_execz .LBB323_347
; %bb.340:                              ;   in Loop: Header=BB323_11 Depth=1
	v_bfrev_b32_e32 v58, 1
	s_mov_b32 s22, exec_lo
	v_cmpx_ne_u16_e32 0x80, v8
	s_cbranch_execz .LBB323_346
; %bb.341:                              ;   in Loop: Header=BB323_11 Depth=1
	v_mov_b32_e32 v0, 0x7f
	v_mov_b32_e32 v58, 0x7c010000
	s_mov_b32 s23, exec_lo
	v_and_b32_sdwa v2, v8, v0 dst_sel:DWORD dst_unused:UNUSED_PAD src0_sel:WORD_0 src1_sel:DWORD
	v_cmpx_ne_u32_e32 0x7f, v2
	s_cbranch_execz .LBB323_345
; %bb.342:                              ;   in Loop: Header=BB323_11 Depth=1
	v_mov_b32_e32 v0, 7
	v_lshrrev_b32_e32 v1, 3, v2
	s_mov_b32 s24, exec_lo
	v_and_b32_sdwa v0, v8, v0 dst_sel:DWORD dst_unused:UNUSED_PAD src0_sel:WORD_0 src1_sel:DWORD
	v_cmpx_gt_u32_e32 8, v2
; %bb.343:                              ;   in Loop: Header=BB323_11 Depth=1
	v_ffbh_u32_e32 v0, v0
	v_min_u32_e32 v2, 32, v0
	v_subrev_nc_u32_e32 v0, 28, v2
	v_lshlrev_b64 v[0:1], v0, v[8:9]
	v_sub_nc_u32_e32 v1, 29, v2
	v_and_b32_e32 v0, 7, v0
; %bb.344:                              ;   in Loop: Header=BB323_11 Depth=1
	s_or_b32 exec_lo, exec_lo, s24
	v_mov_b32_e32 v2, 8
	v_lshl_add_u32 v1, v1, 10, 0x2000
	v_lshlrev_b32_e32 v0, 23, v0
	v_lshlrev_b32_sdwa v2, v2, v8 dst_sel:DWORD dst_unused:UNUSED_PAD src0_sel:DWORD src1_sel:WORD_0
	v_and_or_b32 v1, 0x8000, v2, v1
	v_lshl_or_b32 v58, v1, 16, v0
.LBB323_345:                            ;   in Loop: Header=BB323_11 Depth=1
	s_or_b32 exec_lo, exec_lo, s23
.LBB323_346:                            ;   in Loop: Header=BB323_11 Depth=1
	s_or_b32 exec_lo, exec_lo, s22
.LBB323_347:                            ;   in Loop: Header=BB323_11 Depth=1
	s_or_b32 exec_lo, exec_lo, s21
	v_lshrrev_b32_e32 v8, 16, v30
	v_cmp_ne_u16_sdwa s5, v8, v9 src0_sel:BYTE_0 src1_sel:DWORD
	s_and_saveexec_b32 s21, s5
	s_cbranch_execz .LBB323_355
; %bb.348:                              ;   in Loop: Header=BB323_11 Depth=1
	v_cmp_ne_u16_sdwa s5, v8, v51 src0_sel:BYTE_0 src1_sel:DWORD
	v_mov_b32_e32 v59, 0x8000
	s_and_saveexec_b32 s22, s5
	s_cbranch_execz .LBB323_354
; %bb.349:                              ;   in Loop: Header=BB323_11 Depth=1
	v_bfe_u32 v2, v30, 16, 7
	v_mov_b32_e32 v59, 0x7c01
	s_mov_b32 s23, exec_lo
	v_cmpx_ne_u32_e32 0x7f, v2
	s_cbranch_execz .LBB323_353
; %bb.350:                              ;   in Loop: Header=BB323_11 Depth=1
	v_and_b32_e32 v0, 7, v8
	v_lshrrev_b32_e32 v1, 3, v2
	s_mov_b32 s24, exec_lo
	v_cmpx_gt_u32_e32 8, v2
; %bb.351:                              ;   in Loop: Header=BB323_11 Depth=1
	v_ffbh_u32_e32 v0, v0
	v_min_u32_e32 v2, 32, v0
	v_subrev_nc_u32_e32 v0, 28, v2
	v_lshlrev_b64 v[0:1], v0, v[8:9]
	v_sub_nc_u32_e32 v1, 29, v2
	v_and_b32_e32 v0, 7, v0
; %bb.352:                              ;   in Loop: Header=BB323_11 Depth=1
	s_or_b32 exec_lo, exec_lo, s24
	v_lshlrev_b32_e32 v2, 8, v8
	v_lshl_add_u32 v1, v1, 10, 0x2000
	v_lshlrev_b32_e32 v0, 7, v0
	v_and_b32_e32 v2, 0x8000, v2
	v_and_b32_e32 v1, 0xfc00, v1
	v_or3_b32 v59, v2, v1, v0
.LBB323_353:                            ;   in Loop: Header=BB323_11 Depth=1
	s_or_b32 exec_lo, exec_lo, s23
.LBB323_354:                            ;   in Loop: Header=BB323_11 Depth=1
	s_or_b32 exec_lo, exec_lo, s22
.LBB323_355:                            ;   in Loop: Header=BB323_11 Depth=1
	s_or_b32 exec_lo, exec_lo, s21
	v_mov_b32_e32 v60, 0
	v_mov_b32_e32 v61, 0
	s_mov_b32 s21, exec_lo
	v_cmpx_lt_u32_e32 0xffffff, v30
	s_cbranch_execz .LBB323_363
; %bb.356:                              ;   in Loop: Header=BB323_11 Depth=1
	v_lshrrev_b32_e32 v8, 24, v30
	v_bfrev_b32_e32 v61, 1
	s_mov_b32 s22, exec_lo
	v_cmpx_ne_u32_e32 0x80, v8
	s_cbranch_execz .LBB323_362
; %bb.357:                              ;   in Loop: Header=BB323_11 Depth=1
	v_and_b32_e32 v2, 0x7f, v8
	v_mov_b32_e32 v61, 0x7c010000
	s_mov_b32 s23, exec_lo
	v_cmpx_ne_u32_e32 0x7f, v2
	s_cbranch_execz .LBB323_361
; %bb.358:                              ;   in Loop: Header=BB323_11 Depth=1
	v_and_b32_e32 v0, 7, v8
	v_lshrrev_b32_e32 v1, 3, v2
	s_mov_b32 s24, exec_lo
	v_cmpx_gt_u32_e32 8, v2
; %bb.359:                              ;   in Loop: Header=BB323_11 Depth=1
	v_ffbh_u32_e32 v0, v0
	v_min_u32_e32 v2, 32, v0
	v_subrev_nc_u32_e32 v0, 28, v2
	v_lshlrev_b64 v[0:1], v0, v[8:9]
	v_sub_nc_u32_e32 v1, 29, v2
	v_and_b32_e32 v0, 7, v0
; %bb.360:                              ;   in Loop: Header=BB323_11 Depth=1
	s_or_b32 exec_lo, exec_lo, s24
	v_lshlrev_b32_e32 v2, 8, v8
	v_lshl_add_u32 v1, v1, 10, 0x2000
	v_lshlrev_b32_e32 v0, 23, v0
	v_and_or_b32 v1, 0x8000, v2, v1
	v_lshl_or_b32 v61, v1, 16, v0
.LBB323_361:                            ;   in Loop: Header=BB323_11 Depth=1
	s_or_b32 exec_lo, exec_lo, s23
.LBB323_362:                            ;   in Loop: Header=BB323_11 Depth=1
	s_or_b32 exec_lo, exec_lo, s22
.LBB323_363:                            ;   in Loop: Header=BB323_11 Depth=1
	s_or_b32 exec_lo, exec_lo, s21
	v_mov_b32_e32 v8, v31
	v_cmp_ne_u16_sdwa s5, v31, v9 src0_sel:BYTE_0 src1_sel:DWORD
	s_and_saveexec_b32 s21, s5
	s_cbranch_execz .LBB323_371
; %bb.364:                              ;   in Loop: Header=BB323_11 Depth=1
	v_cmp_ne_u16_sdwa s5, v31, v51 src0_sel:BYTE_0 src1_sel:DWORD
	v_mov_b32_e32 v60, 0x8000
	s_and_saveexec_b32 s22, s5
	s_cbranch_execz .LBB323_370
; %bb.365:                              ;   in Loop: Header=BB323_11 Depth=1
	v_and_b32_e32 v2, 0x7f, v31
	v_mov_b32_e32 v60, 0x7c01
	s_mov_b32 s23, exec_lo
	v_cmpx_ne_u32_e32 0x7f, v2
	s_cbranch_execz .LBB323_369
; %bb.366:                              ;   in Loop: Header=BB323_11 Depth=1
	v_and_b32_e32 v0, 7, v31
	v_lshrrev_b32_e32 v1, 3, v2
	s_mov_b32 s24, exec_lo
	v_cmpx_gt_u32_e32 8, v2
; %bb.367:                              ;   in Loop: Header=BB323_11 Depth=1
	v_ffbh_u32_e32 v0, v0
	v_min_u32_e32 v2, 32, v0
	v_subrev_nc_u32_e32 v0, 28, v2
	v_lshlrev_b64 v[0:1], v0, v[8:9]
	v_sub_nc_u32_e32 v1, 29, v2
	v_and_b32_e32 v0, 7, v0
; %bb.368:                              ;   in Loop: Header=BB323_11 Depth=1
	s_or_b32 exec_lo, exec_lo, s24
	v_lshlrev_b32_e32 v2, 8, v31
	v_lshl_add_u32 v1, v1, 10, 0x2000
	v_lshlrev_b32_e32 v0, 7, v0
	v_and_b32_e32 v2, 0x8000, v2
	v_and_b32_e32 v1, 0xfc00, v1
	v_or3_b32 v60, v2, v1, v0
.LBB323_369:                            ;   in Loop: Header=BB323_11 Depth=1
	s_or_b32 exec_lo, exec_lo, s23
.LBB323_370:                            ;   in Loop: Header=BB323_11 Depth=1
	s_or_b32 exec_lo, exec_lo, s22
.LBB323_371:                            ;   in Loop: Header=BB323_11 Depth=1
	s_or_b32 exec_lo, exec_lo, s21
	v_lshrrev_b16 v8, 8, v8
	v_mov_b32_e32 v62, 0
	v_mov_b32_e32 v63, 0
	s_mov_b32 s21, exec_lo
	v_cmpx_ne_u16_e32 0, v8
	s_cbranch_execz .LBB323_379
; %bb.372:                              ;   in Loop: Header=BB323_11 Depth=1
	v_bfrev_b32_e32 v63, 1
	s_mov_b32 s22, exec_lo
	v_cmpx_ne_u16_e32 0x80, v8
	s_cbranch_execz .LBB323_378
; %bb.373:                              ;   in Loop: Header=BB323_11 Depth=1
	v_mov_b32_e32 v0, 0x7f
	v_mov_b32_e32 v63, 0x7c010000
	s_mov_b32 s23, exec_lo
	v_and_b32_sdwa v2, v8, v0 dst_sel:DWORD dst_unused:UNUSED_PAD src0_sel:WORD_0 src1_sel:DWORD
	v_cmpx_ne_u32_e32 0x7f, v2
	s_cbranch_execz .LBB323_377
; %bb.374:                              ;   in Loop: Header=BB323_11 Depth=1
	v_mov_b32_e32 v0, 7
	v_lshrrev_b32_e32 v1, 3, v2
	s_mov_b32 s24, exec_lo
	v_and_b32_sdwa v0, v8, v0 dst_sel:DWORD dst_unused:UNUSED_PAD src0_sel:WORD_0 src1_sel:DWORD
	v_cmpx_gt_u32_e32 8, v2
; %bb.375:                              ;   in Loop: Header=BB323_11 Depth=1
	v_ffbh_u32_e32 v0, v0
	v_min_u32_e32 v2, 32, v0
	v_subrev_nc_u32_e32 v0, 28, v2
	v_lshlrev_b64 v[0:1], v0, v[8:9]
	v_sub_nc_u32_e32 v1, 29, v2
	v_and_b32_e32 v0, 7, v0
; %bb.376:                              ;   in Loop: Header=BB323_11 Depth=1
	s_or_b32 exec_lo, exec_lo, s24
	v_mov_b32_e32 v2, 8
	v_lshl_add_u32 v1, v1, 10, 0x2000
	v_lshlrev_b32_e32 v0, 23, v0
	v_lshlrev_b32_sdwa v2, v2, v8 dst_sel:DWORD dst_unused:UNUSED_PAD src0_sel:DWORD src1_sel:WORD_0
	v_and_or_b32 v1, 0x8000, v2, v1
	v_lshl_or_b32 v63, v1, 16, v0
.LBB323_377:                            ;   in Loop: Header=BB323_11 Depth=1
	s_or_b32 exec_lo, exec_lo, s23
.LBB323_378:                            ;   in Loop: Header=BB323_11 Depth=1
	s_or_b32 exec_lo, exec_lo, s22
.LBB323_379:                            ;   in Loop: Header=BB323_11 Depth=1
	s_or_b32 exec_lo, exec_lo, s21
	v_lshrrev_b32_e32 v8, 16, v31
	v_cmp_ne_u16_sdwa s5, v8, v9 src0_sel:BYTE_0 src1_sel:DWORD
	s_and_saveexec_b32 s21, s5
	s_cbranch_execz .LBB323_387
; %bb.380:                              ;   in Loop: Header=BB323_11 Depth=1
	v_cmp_ne_u16_sdwa s5, v8, v51 src0_sel:BYTE_0 src1_sel:DWORD
	v_mov_b32_e32 v62, 0x8000
	s_and_saveexec_b32 s22, s5
	s_cbranch_execz .LBB323_386
; %bb.381:                              ;   in Loop: Header=BB323_11 Depth=1
	v_bfe_u32 v2, v31, 16, 7
	v_mov_b32_e32 v62, 0x7c01
	s_mov_b32 s23, exec_lo
	v_cmpx_ne_u32_e32 0x7f, v2
	s_cbranch_execz .LBB323_385
; %bb.382:                              ;   in Loop: Header=BB323_11 Depth=1
	v_and_b32_e32 v0, 7, v8
	v_lshrrev_b32_e32 v1, 3, v2
	s_mov_b32 s24, exec_lo
	v_cmpx_gt_u32_e32 8, v2
; %bb.383:                              ;   in Loop: Header=BB323_11 Depth=1
	v_ffbh_u32_e32 v0, v0
	v_min_u32_e32 v2, 32, v0
	v_subrev_nc_u32_e32 v0, 28, v2
	v_lshlrev_b64 v[0:1], v0, v[8:9]
	v_sub_nc_u32_e32 v1, 29, v2
	v_and_b32_e32 v0, 7, v0
; %bb.384:                              ;   in Loop: Header=BB323_11 Depth=1
	s_or_b32 exec_lo, exec_lo, s24
	v_lshlrev_b32_e32 v2, 8, v8
	v_lshl_add_u32 v1, v1, 10, 0x2000
	v_lshlrev_b32_e32 v0, 7, v0
	v_and_b32_e32 v2, 0x8000, v2
	v_and_b32_e32 v1, 0xfc00, v1
	v_or3_b32 v62, v2, v1, v0
.LBB323_385:                            ;   in Loop: Header=BB323_11 Depth=1
	s_or_b32 exec_lo, exec_lo, s23
.LBB323_386:                            ;   in Loop: Header=BB323_11 Depth=1
	s_or_b32 exec_lo, exec_lo, s22
.LBB323_387:                            ;   in Loop: Header=BB323_11 Depth=1
	s_or_b32 exec_lo, exec_lo, s21
	v_mov_b32_e32 v87, 0
	v_mov_b32_e32 v72, 0
	s_mov_b32 s21, exec_lo
	v_cmpx_lt_u64_e64 s[6:7], v[30:31]
	s_cbranch_execz .LBB323_395
; %bb.388:                              ;   in Loop: Header=BB323_11 Depth=1
	v_lshrrev_b32_e32 v8, 24, v31
	v_bfrev_b32_e32 v72, 1
	s_mov_b32 s22, exec_lo
	v_cmpx_ne_u32_e32 0x80, v8
	s_cbranch_execz .LBB323_394
; %bb.389:                              ;   in Loop: Header=BB323_11 Depth=1
	v_and_b32_e32 v2, 0x7f, v8
	v_mov_b32_e32 v72, 0x7c010000
	s_mov_b32 s23, exec_lo
	v_cmpx_ne_u32_e32 0x7f, v2
	s_cbranch_execz .LBB323_393
; %bb.390:                              ;   in Loop: Header=BB323_11 Depth=1
	v_and_b32_e32 v0, 7, v8
	v_lshrrev_b32_e32 v1, 3, v2
	s_mov_b32 s24, exec_lo
	v_cmpx_gt_u32_e32 8, v2
; %bb.391:                              ;   in Loop: Header=BB323_11 Depth=1
	v_ffbh_u32_e32 v0, v0
	v_min_u32_e32 v2, 32, v0
	v_subrev_nc_u32_e32 v0, 28, v2
	v_lshlrev_b64 v[0:1], v0, v[8:9]
	v_sub_nc_u32_e32 v1, 29, v2
	v_and_b32_e32 v0, 7, v0
; %bb.392:                              ;   in Loop: Header=BB323_11 Depth=1
	s_or_b32 exec_lo, exec_lo, s24
	v_lshlrev_b32_e32 v2, 8, v8
	v_lshl_add_u32 v1, v1, 10, 0x2000
	v_lshlrev_b32_e32 v0, 23, v0
	v_and_or_b32 v1, 0x8000, v2, v1
	v_lshl_or_b32 v72, v1, 16, v0
.LBB323_393:                            ;   in Loop: Header=BB323_11 Depth=1
	s_or_b32 exec_lo, exec_lo, s23
.LBB323_394:                            ;   in Loop: Header=BB323_11 Depth=1
	s_or_b32 exec_lo, exec_lo, s22
.LBB323_395:                            ;   in Loop: Header=BB323_11 Depth=1
	s_or_b32 exec_lo, exec_lo, s21
	flat_load_dwordx2 v[30:31], v[28:29] offset:1536
	s_waitcnt vmcnt(0) lgkmcnt(0)
	v_cmp_ne_u16_sdwa s5, v30, v9 src0_sel:BYTE_0 src1_sel:DWORD
	s_and_saveexec_b32 s21, s5
	s_cbranch_execz .LBB323_403
; %bb.396:                              ;   in Loop: Header=BB323_11 Depth=1
	v_cmp_ne_u16_sdwa s5, v30, v51 src0_sel:BYTE_0 src1_sel:DWORD
	v_mov_b32_e32 v87, 0x8000
	s_and_saveexec_b32 s22, s5
	s_cbranch_execz .LBB323_402
; %bb.397:                              ;   in Loop: Header=BB323_11 Depth=1
	v_and_b32_e32 v2, 0x7f, v30
	v_mov_b32_e32 v87, 0x7c01
	s_mov_b32 s23, exec_lo
	v_cmpx_ne_u32_e32 0x7f, v2
	s_cbranch_execz .LBB323_401
; %bb.398:                              ;   in Loop: Header=BB323_11 Depth=1
	v_and_b32_e32 v0, 7, v30
	v_lshrrev_b32_e32 v1, 3, v2
	s_mov_b32 s24, exec_lo
	v_cmpx_gt_u32_e32 8, v2
; %bb.399:                              ;   in Loop: Header=BB323_11 Depth=1
	v_ffbh_u32_e32 v0, v0
	v_min_u32_e32 v2, 32, v0
	v_subrev_nc_u32_e32 v0, 28, v2
	v_lshlrev_b64 v[0:1], v0, v[30:31]
	v_sub_nc_u32_e32 v1, 29, v2
	v_and_b32_e32 v0, 7, v0
; %bb.400:                              ;   in Loop: Header=BB323_11 Depth=1
	s_or_b32 exec_lo, exec_lo, s24
	v_lshlrev_b32_e32 v2, 8, v30
	v_lshl_add_u32 v1, v1, 10, 0x2000
	v_lshlrev_b32_e32 v0, 7, v0
	v_and_b32_e32 v2, 0x8000, v2
	v_and_b32_e32 v1, 0xfc00, v1
	v_or3_b32 v87, v2, v1, v0
.LBB323_401:                            ;   in Loop: Header=BB323_11 Depth=1
	s_or_b32 exec_lo, exec_lo, s23
.LBB323_402:                            ;   in Loop: Header=BB323_11 Depth=1
	s_or_b32 exec_lo, exec_lo, s22
.LBB323_403:                            ;   in Loop: Header=BB323_11 Depth=1
	s_or_b32 exec_lo, exec_lo, s21
	v_lshrrev_b16 v8, 8, v30
	v_mov_b32_e32 v77, 0
	v_mov_b32_e32 v76, 0
	s_mov_b32 s21, exec_lo
	v_cmpx_ne_u16_e32 0, v8
	s_cbranch_execz .LBB323_411
; %bb.404:                              ;   in Loop: Header=BB323_11 Depth=1
	v_bfrev_b32_e32 v76, 1
	s_mov_b32 s22, exec_lo
	v_cmpx_ne_u16_e32 0x80, v8
	s_cbranch_execz .LBB323_410
; %bb.405:                              ;   in Loop: Header=BB323_11 Depth=1
	v_mov_b32_e32 v0, 0x7f
	v_mov_b32_e32 v76, 0x7c010000
	s_mov_b32 s23, exec_lo
	v_and_b32_sdwa v2, v8, v0 dst_sel:DWORD dst_unused:UNUSED_PAD src0_sel:WORD_0 src1_sel:DWORD
	v_cmpx_ne_u32_e32 0x7f, v2
	s_cbranch_execz .LBB323_409
; %bb.406:                              ;   in Loop: Header=BB323_11 Depth=1
	v_mov_b32_e32 v0, 7
	v_lshrrev_b32_e32 v1, 3, v2
	s_mov_b32 s24, exec_lo
	v_and_b32_sdwa v0, v8, v0 dst_sel:DWORD dst_unused:UNUSED_PAD src0_sel:WORD_0 src1_sel:DWORD
	v_cmpx_gt_u32_e32 8, v2
; %bb.407:                              ;   in Loop: Header=BB323_11 Depth=1
	v_ffbh_u32_e32 v0, v0
	v_min_u32_e32 v2, 32, v0
	v_subrev_nc_u32_e32 v0, 28, v2
	v_lshlrev_b64 v[0:1], v0, v[8:9]
	v_sub_nc_u32_e32 v1, 29, v2
	v_and_b32_e32 v0, 7, v0
; %bb.408:                              ;   in Loop: Header=BB323_11 Depth=1
	s_or_b32 exec_lo, exec_lo, s24
	v_mov_b32_e32 v2, 8
	v_lshl_add_u32 v1, v1, 10, 0x2000
	v_lshlrev_b32_e32 v0, 23, v0
	v_lshlrev_b32_sdwa v2, v2, v8 dst_sel:DWORD dst_unused:UNUSED_PAD src0_sel:DWORD src1_sel:WORD_0
	v_and_or_b32 v1, 0x8000, v2, v1
	v_lshl_or_b32 v76, v1, 16, v0
.LBB323_409:                            ;   in Loop: Header=BB323_11 Depth=1
	s_or_b32 exec_lo, exec_lo, s23
.LBB323_410:                            ;   in Loop: Header=BB323_11 Depth=1
	s_or_b32 exec_lo, exec_lo, s22
.LBB323_411:                            ;   in Loop: Header=BB323_11 Depth=1
	s_or_b32 exec_lo, exec_lo, s21
	v_lshrrev_b32_e32 v8, 16, v30
	v_cmp_ne_u16_sdwa s5, v8, v9 src0_sel:BYTE_0 src1_sel:DWORD
	s_and_saveexec_b32 s21, s5
	s_cbranch_execz .LBB323_419
; %bb.412:                              ;   in Loop: Header=BB323_11 Depth=1
	v_cmp_ne_u16_sdwa s5, v8, v51 src0_sel:BYTE_0 src1_sel:DWORD
	v_mov_b32_e32 v77, 0x8000
	s_and_saveexec_b32 s22, s5
	s_cbranch_execz .LBB323_418
; %bb.413:                              ;   in Loop: Header=BB323_11 Depth=1
	v_bfe_u32 v2, v30, 16, 7
	v_mov_b32_e32 v77, 0x7c01
	s_mov_b32 s23, exec_lo
	v_cmpx_ne_u32_e32 0x7f, v2
	s_cbranch_execz .LBB323_417
; %bb.414:                              ;   in Loop: Header=BB323_11 Depth=1
	v_and_b32_e32 v0, 7, v8
	v_lshrrev_b32_e32 v1, 3, v2
	s_mov_b32 s24, exec_lo
	v_cmpx_gt_u32_e32 8, v2
; %bb.415:                              ;   in Loop: Header=BB323_11 Depth=1
	v_ffbh_u32_e32 v0, v0
	v_min_u32_e32 v2, 32, v0
	v_subrev_nc_u32_e32 v0, 28, v2
	v_lshlrev_b64 v[0:1], v0, v[8:9]
	v_sub_nc_u32_e32 v1, 29, v2
	v_and_b32_e32 v0, 7, v0
; %bb.416:                              ;   in Loop: Header=BB323_11 Depth=1
	s_or_b32 exec_lo, exec_lo, s24
	v_lshlrev_b32_e32 v2, 8, v8
	v_lshl_add_u32 v1, v1, 10, 0x2000
	v_lshlrev_b32_e32 v0, 7, v0
	v_and_b32_e32 v2, 0x8000, v2
	v_and_b32_e32 v1, 0xfc00, v1
	v_or3_b32 v77, v2, v1, v0
.LBB323_417:                            ;   in Loop: Header=BB323_11 Depth=1
	s_or_b32 exec_lo, exec_lo, s23
.LBB323_418:                            ;   in Loop: Header=BB323_11 Depth=1
	s_or_b32 exec_lo, exec_lo, s22
.LBB323_419:                            ;   in Loop: Header=BB323_11 Depth=1
	s_or_b32 exec_lo, exec_lo, s21
	v_mov_b32_e32 v89, 0
	v_mov_b32_e32 v91, 0
	s_mov_b32 s21, exec_lo
	v_cmpx_lt_u32_e32 0xffffff, v30
	s_cbranch_execz .LBB323_427
; %bb.420:                              ;   in Loop: Header=BB323_11 Depth=1
	v_lshrrev_b32_e32 v8, 24, v30
	v_bfrev_b32_e32 v91, 1
	s_mov_b32 s22, exec_lo
	v_cmpx_ne_u32_e32 0x80, v8
	s_cbranch_execz .LBB323_426
; %bb.421:                              ;   in Loop: Header=BB323_11 Depth=1
	v_and_b32_e32 v2, 0x7f, v8
	v_mov_b32_e32 v91, 0x7c010000
	s_mov_b32 s23, exec_lo
	v_cmpx_ne_u32_e32 0x7f, v2
	s_cbranch_execz .LBB323_425
; %bb.422:                              ;   in Loop: Header=BB323_11 Depth=1
	v_and_b32_e32 v0, 7, v8
	v_lshrrev_b32_e32 v1, 3, v2
	s_mov_b32 s24, exec_lo
	v_cmpx_gt_u32_e32 8, v2
; %bb.423:                              ;   in Loop: Header=BB323_11 Depth=1
	v_ffbh_u32_e32 v0, v0
	v_min_u32_e32 v2, 32, v0
	v_subrev_nc_u32_e32 v0, 28, v2
	v_lshlrev_b64 v[0:1], v0, v[8:9]
	v_sub_nc_u32_e32 v1, 29, v2
	v_and_b32_e32 v0, 7, v0
; %bb.424:                              ;   in Loop: Header=BB323_11 Depth=1
	s_or_b32 exec_lo, exec_lo, s24
	v_lshlrev_b32_e32 v2, 8, v8
	v_lshl_add_u32 v1, v1, 10, 0x2000
	v_lshlrev_b32_e32 v0, 23, v0
	v_and_or_b32 v1, 0x8000, v2, v1
	v_lshl_or_b32 v91, v1, 16, v0
.LBB323_425:                            ;   in Loop: Header=BB323_11 Depth=1
	s_or_b32 exec_lo, exec_lo, s23
.LBB323_426:                            ;   in Loop: Header=BB323_11 Depth=1
	s_or_b32 exec_lo, exec_lo, s22
.LBB323_427:                            ;   in Loop: Header=BB323_11 Depth=1
	s_or_b32 exec_lo, exec_lo, s21
	v_mov_b32_e32 v8, v31
	v_cmp_ne_u16_sdwa s5, v31, v9 src0_sel:BYTE_0 src1_sel:DWORD
	s_and_saveexec_b32 s21, s5
	s_cbranch_execz .LBB323_435
; %bb.428:                              ;   in Loop: Header=BB323_11 Depth=1
	v_cmp_ne_u16_sdwa s5, v31, v51 src0_sel:BYTE_0 src1_sel:DWORD
	v_mov_b32_e32 v89, 0x8000
	s_and_saveexec_b32 s22, s5
	s_cbranch_execz .LBB323_434
; %bb.429:                              ;   in Loop: Header=BB323_11 Depth=1
	v_and_b32_e32 v2, 0x7f, v31
	v_mov_b32_e32 v89, 0x7c01
	s_mov_b32 s23, exec_lo
	v_cmpx_ne_u32_e32 0x7f, v2
	s_cbranch_execz .LBB323_433
; %bb.430:                              ;   in Loop: Header=BB323_11 Depth=1
	v_and_b32_e32 v0, 7, v31
	v_lshrrev_b32_e32 v1, 3, v2
	s_mov_b32 s24, exec_lo
	v_cmpx_gt_u32_e32 8, v2
; %bb.431:                              ;   in Loop: Header=BB323_11 Depth=1
	v_ffbh_u32_e32 v0, v0
	v_min_u32_e32 v2, 32, v0
	v_subrev_nc_u32_e32 v0, 28, v2
	v_lshlrev_b64 v[0:1], v0, v[8:9]
	v_sub_nc_u32_e32 v1, 29, v2
	v_and_b32_e32 v0, 7, v0
; %bb.432:                              ;   in Loop: Header=BB323_11 Depth=1
	s_or_b32 exec_lo, exec_lo, s24
	v_lshlrev_b32_e32 v2, 8, v31
	v_lshl_add_u32 v1, v1, 10, 0x2000
	v_lshlrev_b32_e32 v0, 7, v0
	v_and_b32_e32 v2, 0x8000, v2
	v_and_b32_e32 v1, 0xfc00, v1
	v_or3_b32 v89, v2, v1, v0
.LBB323_433:                            ;   in Loop: Header=BB323_11 Depth=1
	s_or_b32 exec_lo, exec_lo, s23
.LBB323_434:                            ;   in Loop: Header=BB323_11 Depth=1
	s_or_b32 exec_lo, exec_lo, s22
.LBB323_435:                            ;   in Loop: Header=BB323_11 Depth=1
	s_or_b32 exec_lo, exec_lo, s21
	v_lshrrev_b16 v8, 8, v8
	v_mov_b32_e32 v94, 0
	v_mov_b32_e32 v95, 0
	s_mov_b32 s21, exec_lo
	v_cmpx_ne_u16_e32 0, v8
	s_cbranch_execz .LBB323_443
; %bb.436:                              ;   in Loop: Header=BB323_11 Depth=1
	v_bfrev_b32_e32 v95, 1
	s_mov_b32 s22, exec_lo
	v_cmpx_ne_u16_e32 0x80, v8
	s_cbranch_execz .LBB323_442
; %bb.437:                              ;   in Loop: Header=BB323_11 Depth=1
	v_mov_b32_e32 v0, 0x7f
	v_mov_b32_e32 v95, 0x7c010000
	s_mov_b32 s23, exec_lo
	v_and_b32_sdwa v2, v8, v0 dst_sel:DWORD dst_unused:UNUSED_PAD src0_sel:WORD_0 src1_sel:DWORD
	v_cmpx_ne_u32_e32 0x7f, v2
	s_cbranch_execz .LBB323_441
; %bb.438:                              ;   in Loop: Header=BB323_11 Depth=1
	v_mov_b32_e32 v0, 7
	v_lshrrev_b32_e32 v1, 3, v2
	s_mov_b32 s24, exec_lo
	v_and_b32_sdwa v0, v8, v0 dst_sel:DWORD dst_unused:UNUSED_PAD src0_sel:WORD_0 src1_sel:DWORD
	v_cmpx_gt_u32_e32 8, v2
; %bb.439:                              ;   in Loop: Header=BB323_11 Depth=1
	v_ffbh_u32_e32 v0, v0
	v_min_u32_e32 v2, 32, v0
	v_subrev_nc_u32_e32 v0, 28, v2
	v_lshlrev_b64 v[0:1], v0, v[8:9]
	v_sub_nc_u32_e32 v1, 29, v2
	v_and_b32_e32 v0, 7, v0
; %bb.440:                              ;   in Loop: Header=BB323_11 Depth=1
	s_or_b32 exec_lo, exec_lo, s24
	v_mov_b32_e32 v2, 8
	v_lshl_add_u32 v1, v1, 10, 0x2000
	v_lshlrev_b32_e32 v0, 23, v0
	v_lshlrev_b32_sdwa v2, v2, v8 dst_sel:DWORD dst_unused:UNUSED_PAD src0_sel:DWORD src1_sel:WORD_0
	v_and_or_b32 v1, 0x8000, v2, v1
	v_lshl_or_b32 v95, v1, 16, v0
.LBB323_441:                            ;   in Loop: Header=BB323_11 Depth=1
	s_or_b32 exec_lo, exec_lo, s23
.LBB323_442:                            ;   in Loop: Header=BB323_11 Depth=1
	s_or_b32 exec_lo, exec_lo, s22
.LBB323_443:                            ;   in Loop: Header=BB323_11 Depth=1
	s_or_b32 exec_lo, exec_lo, s21
	v_lshrrev_b32_e32 v8, 16, v31
	v_cmp_ne_u16_sdwa s5, v8, v9 src0_sel:BYTE_0 src1_sel:DWORD
	s_and_saveexec_b32 s21, s5
	s_cbranch_execz .LBB323_451
; %bb.444:                              ;   in Loop: Header=BB323_11 Depth=1
	v_cmp_ne_u16_sdwa s5, v8, v51 src0_sel:BYTE_0 src1_sel:DWORD
	v_mov_b32_e32 v94, 0x8000
	s_and_saveexec_b32 s22, s5
	s_cbranch_execz .LBB323_450
; %bb.445:                              ;   in Loop: Header=BB323_11 Depth=1
	v_bfe_u32 v2, v31, 16, 7
	v_mov_b32_e32 v94, 0x7c01
	s_mov_b32 s23, exec_lo
	v_cmpx_ne_u32_e32 0x7f, v2
	s_cbranch_execz .LBB323_449
; %bb.446:                              ;   in Loop: Header=BB323_11 Depth=1
	v_and_b32_e32 v0, 7, v8
	v_lshrrev_b32_e32 v1, 3, v2
	s_mov_b32 s24, exec_lo
	v_cmpx_gt_u32_e32 8, v2
; %bb.447:                              ;   in Loop: Header=BB323_11 Depth=1
	v_ffbh_u32_e32 v0, v0
	v_min_u32_e32 v2, 32, v0
	v_subrev_nc_u32_e32 v0, 28, v2
	v_lshlrev_b64 v[0:1], v0, v[8:9]
	v_sub_nc_u32_e32 v1, 29, v2
	v_and_b32_e32 v0, 7, v0
; %bb.448:                              ;   in Loop: Header=BB323_11 Depth=1
	s_or_b32 exec_lo, exec_lo, s24
	v_lshlrev_b32_e32 v2, 8, v8
	v_lshl_add_u32 v1, v1, 10, 0x2000
	v_lshlrev_b32_e32 v0, 7, v0
	v_and_b32_e32 v2, 0x8000, v2
	v_and_b32_e32 v1, 0xfc00, v1
	v_or3_b32 v94, v2, v1, v0
.LBB323_449:                            ;   in Loop: Header=BB323_11 Depth=1
	s_or_b32 exec_lo, exec_lo, s23
.LBB323_450:                            ;   in Loop: Header=BB323_11 Depth=1
	s_or_b32 exec_lo, exec_lo, s22
.LBB323_451:                            ;   in Loop: Header=BB323_11 Depth=1
	s_or_b32 exec_lo, exec_lo, s21
	v_mov_b32_e32 v81, 0
	v_mov_b32_e32 v106, 0
	s_mov_b32 s21, exec_lo
	v_cmpx_lt_u64_e64 s[6:7], v[30:31]
	s_cbranch_execz .LBB323_459
; %bb.452:                              ;   in Loop: Header=BB323_11 Depth=1
	v_lshrrev_b32_e32 v8, 24, v31
	v_bfrev_b32_e32 v106, 1
	s_mov_b32 s22, exec_lo
	v_cmpx_ne_u32_e32 0x80, v8
	s_cbranch_execz .LBB323_458
; %bb.453:                              ;   in Loop: Header=BB323_11 Depth=1
	v_and_b32_e32 v2, 0x7f, v8
	v_mov_b32_e32 v106, 0x7c010000
	s_mov_b32 s23, exec_lo
	v_cmpx_ne_u32_e32 0x7f, v2
	s_cbranch_execz .LBB323_457
; %bb.454:                              ;   in Loop: Header=BB323_11 Depth=1
	v_and_b32_e32 v0, 7, v8
	v_lshrrev_b32_e32 v1, 3, v2
	s_mov_b32 s24, exec_lo
	v_cmpx_gt_u32_e32 8, v2
; %bb.455:                              ;   in Loop: Header=BB323_11 Depth=1
	v_ffbh_u32_e32 v0, v0
	v_min_u32_e32 v2, 32, v0
	v_subrev_nc_u32_e32 v0, 28, v2
	v_lshlrev_b64 v[0:1], v0, v[8:9]
	v_sub_nc_u32_e32 v1, 29, v2
	v_and_b32_e32 v0, 7, v0
; %bb.456:                              ;   in Loop: Header=BB323_11 Depth=1
	s_or_b32 exec_lo, exec_lo, s24
	v_lshlrev_b32_e32 v2, 8, v8
	v_lshl_add_u32 v1, v1, 10, 0x2000
	v_lshlrev_b32_e32 v0, 23, v0
	v_and_or_b32 v1, 0x8000, v2, v1
	v_lshl_or_b32 v106, v1, 16, v0
.LBB323_457:                            ;   in Loop: Header=BB323_11 Depth=1
	s_or_b32 exec_lo, exec_lo, s23
.LBB323_458:                            ;   in Loop: Header=BB323_11 Depth=1
	s_or_b32 exec_lo, exec_lo, s22
.LBB323_459:                            ;   in Loop: Header=BB323_11 Depth=1
	s_or_b32 exec_lo, exec_lo, s21
	flat_load_dwordx2 v[30:31], v[28:29] offset:1544
	s_waitcnt vmcnt(0) lgkmcnt(0)
	v_cmp_ne_u16_sdwa s5, v30, v9 src0_sel:BYTE_0 src1_sel:DWORD
	s_and_saveexec_b32 s21, s5
	s_cbranch_execz .LBB323_467
; %bb.460:                              ;   in Loop: Header=BB323_11 Depth=1
	v_cmp_ne_u16_sdwa s5, v30, v51 src0_sel:BYTE_0 src1_sel:DWORD
	v_mov_b32_e32 v81, 0x8000
	s_and_saveexec_b32 s22, s5
	s_cbranch_execz .LBB323_466
; %bb.461:                              ;   in Loop: Header=BB323_11 Depth=1
	v_and_b32_e32 v2, 0x7f, v30
	v_mov_b32_e32 v81, 0x7c01
	s_mov_b32 s23, exec_lo
	v_cmpx_ne_u32_e32 0x7f, v2
	s_cbranch_execz .LBB323_465
; %bb.462:                              ;   in Loop: Header=BB323_11 Depth=1
	v_and_b32_e32 v0, 7, v30
	v_lshrrev_b32_e32 v1, 3, v2
	s_mov_b32 s24, exec_lo
	v_cmpx_gt_u32_e32 8, v2
; %bb.463:                              ;   in Loop: Header=BB323_11 Depth=1
	v_ffbh_u32_e32 v0, v0
	v_min_u32_e32 v2, 32, v0
	v_subrev_nc_u32_e32 v0, 28, v2
	v_lshlrev_b64 v[0:1], v0, v[30:31]
	v_sub_nc_u32_e32 v1, 29, v2
	v_and_b32_e32 v0, 7, v0
; %bb.464:                              ;   in Loop: Header=BB323_11 Depth=1
	s_or_b32 exec_lo, exec_lo, s24
	v_lshlrev_b32_e32 v2, 8, v30
	v_lshl_add_u32 v1, v1, 10, 0x2000
	v_lshlrev_b32_e32 v0, 7, v0
	v_and_b32_e32 v2, 0x8000, v2
	v_and_b32_e32 v1, 0xfc00, v1
	v_or3_b32 v81, v2, v1, v0
.LBB323_465:                            ;   in Loop: Header=BB323_11 Depth=1
	s_or_b32 exec_lo, exec_lo, s23
.LBB323_466:                            ;   in Loop: Header=BB323_11 Depth=1
	s_or_b32 exec_lo, exec_lo, s22
.LBB323_467:                            ;   in Loop: Header=BB323_11 Depth=1
	s_or_b32 exec_lo, exec_lo, s21
	v_lshrrev_b16 v8, 8, v30
	v_mov_b32_e32 v70, 0
	v_mov_b32_e32 v108, 0
	s_mov_b32 s21, exec_lo
	v_cmpx_ne_u16_e32 0, v8
	s_cbranch_execz .LBB323_475
; %bb.468:                              ;   in Loop: Header=BB323_11 Depth=1
	v_bfrev_b32_e32 v108, 1
	s_mov_b32 s22, exec_lo
	v_cmpx_ne_u16_e32 0x80, v8
	s_cbranch_execz .LBB323_474
; %bb.469:                              ;   in Loop: Header=BB323_11 Depth=1
	v_mov_b32_e32 v0, 0x7f
	v_mov_b32_e32 v108, 0x7c010000
	s_mov_b32 s23, exec_lo
	v_and_b32_sdwa v2, v8, v0 dst_sel:DWORD dst_unused:UNUSED_PAD src0_sel:WORD_0 src1_sel:DWORD
	v_cmpx_ne_u32_e32 0x7f, v2
	s_cbranch_execz .LBB323_473
; %bb.470:                              ;   in Loop: Header=BB323_11 Depth=1
	v_mov_b32_e32 v0, 7
	v_lshrrev_b32_e32 v1, 3, v2
	s_mov_b32 s24, exec_lo
	v_and_b32_sdwa v0, v8, v0 dst_sel:DWORD dst_unused:UNUSED_PAD src0_sel:WORD_0 src1_sel:DWORD
	v_cmpx_gt_u32_e32 8, v2
; %bb.471:                              ;   in Loop: Header=BB323_11 Depth=1
	v_ffbh_u32_e32 v0, v0
	v_min_u32_e32 v2, 32, v0
	v_subrev_nc_u32_e32 v0, 28, v2
	v_lshlrev_b64 v[0:1], v0, v[8:9]
	v_sub_nc_u32_e32 v1, 29, v2
	v_and_b32_e32 v0, 7, v0
; %bb.472:                              ;   in Loop: Header=BB323_11 Depth=1
	s_or_b32 exec_lo, exec_lo, s24
	v_mov_b32_e32 v2, 8
	v_lshl_add_u32 v1, v1, 10, 0x2000
	v_lshlrev_b32_e32 v0, 23, v0
	v_lshlrev_b32_sdwa v2, v2, v8 dst_sel:DWORD dst_unused:UNUSED_PAD src0_sel:DWORD src1_sel:WORD_0
	v_and_or_b32 v1, 0x8000, v2, v1
	v_lshl_or_b32 v108, v1, 16, v0
.LBB323_473:                            ;   in Loop: Header=BB323_11 Depth=1
	s_or_b32 exec_lo, exec_lo, s23
.LBB323_474:                            ;   in Loop: Header=BB323_11 Depth=1
	s_or_b32 exec_lo, exec_lo, s22
.LBB323_475:                            ;   in Loop: Header=BB323_11 Depth=1
	s_or_b32 exec_lo, exec_lo, s21
	v_lshrrev_b32_e32 v8, 16, v30
	v_cmp_ne_u16_sdwa s5, v8, v9 src0_sel:BYTE_0 src1_sel:DWORD
	s_and_saveexec_b32 s21, s5
	s_cbranch_execz .LBB323_483
; %bb.476:                              ;   in Loop: Header=BB323_11 Depth=1
	v_cmp_ne_u16_sdwa s5, v8, v51 src0_sel:BYTE_0 src1_sel:DWORD
	v_mov_b32_e32 v70, 0x8000
	s_and_saveexec_b32 s22, s5
	s_cbranch_execz .LBB323_482
; %bb.477:                              ;   in Loop: Header=BB323_11 Depth=1
	v_bfe_u32 v2, v30, 16, 7
	v_mov_b32_e32 v70, 0x7c01
	s_mov_b32 s23, exec_lo
	v_cmpx_ne_u32_e32 0x7f, v2
	s_cbranch_execz .LBB323_481
; %bb.478:                              ;   in Loop: Header=BB323_11 Depth=1
	v_and_b32_e32 v0, 7, v8
	v_lshrrev_b32_e32 v1, 3, v2
	s_mov_b32 s24, exec_lo
	v_cmpx_gt_u32_e32 8, v2
; %bb.479:                              ;   in Loop: Header=BB323_11 Depth=1
	v_ffbh_u32_e32 v0, v0
	v_min_u32_e32 v2, 32, v0
	v_subrev_nc_u32_e32 v0, 28, v2
	v_lshlrev_b64 v[0:1], v0, v[8:9]
	v_sub_nc_u32_e32 v1, 29, v2
	v_and_b32_e32 v0, 7, v0
; %bb.480:                              ;   in Loop: Header=BB323_11 Depth=1
	s_or_b32 exec_lo, exec_lo, s24
	v_lshlrev_b32_e32 v2, 8, v8
	v_lshl_add_u32 v1, v1, 10, 0x2000
	v_lshlrev_b32_e32 v0, 7, v0
	v_and_b32_e32 v2, 0x8000, v2
	v_and_b32_e32 v1, 0xfc00, v1
	v_or3_b32 v70, v2, v1, v0
.LBB323_481:                            ;   in Loop: Header=BB323_11 Depth=1
	s_or_b32 exec_lo, exec_lo, s23
.LBB323_482:                            ;   in Loop: Header=BB323_11 Depth=1
	s_or_b32 exec_lo, exec_lo, s22
.LBB323_483:                            ;   in Loop: Header=BB323_11 Depth=1
	s_or_b32 exec_lo, exec_lo, s21
	v_mov_b32_e32 v122, 0
	v_mov_b32_e32 v124, 0
	s_mov_b32 s21, exec_lo
	v_cmpx_lt_u32_e32 0xffffff, v30
	s_cbranch_execz .LBB323_491
; %bb.484:                              ;   in Loop: Header=BB323_11 Depth=1
	v_lshrrev_b32_e32 v8, 24, v30
	v_bfrev_b32_e32 v124, 1
	s_mov_b32 s22, exec_lo
	v_cmpx_ne_u32_e32 0x80, v8
	s_cbranch_execz .LBB323_490
; %bb.485:                              ;   in Loop: Header=BB323_11 Depth=1
	v_and_b32_e32 v2, 0x7f, v8
	v_mov_b32_e32 v124, 0x7c010000
	s_mov_b32 s23, exec_lo
	v_cmpx_ne_u32_e32 0x7f, v2
	s_cbranch_execz .LBB323_489
; %bb.486:                              ;   in Loop: Header=BB323_11 Depth=1
	v_and_b32_e32 v0, 7, v8
	v_lshrrev_b32_e32 v1, 3, v2
	s_mov_b32 s24, exec_lo
	v_cmpx_gt_u32_e32 8, v2
; %bb.487:                              ;   in Loop: Header=BB323_11 Depth=1
	v_ffbh_u32_e32 v0, v0
	v_min_u32_e32 v2, 32, v0
	v_subrev_nc_u32_e32 v0, 28, v2
	v_lshlrev_b64 v[0:1], v0, v[8:9]
	v_sub_nc_u32_e32 v1, 29, v2
	v_and_b32_e32 v0, 7, v0
; %bb.488:                              ;   in Loop: Header=BB323_11 Depth=1
	s_or_b32 exec_lo, exec_lo, s24
	v_lshlrev_b32_e32 v2, 8, v8
	v_lshl_add_u32 v1, v1, 10, 0x2000
	v_lshlrev_b32_e32 v0, 23, v0
	v_and_or_b32 v1, 0x8000, v2, v1
	v_lshl_or_b32 v124, v1, 16, v0
.LBB323_489:                            ;   in Loop: Header=BB323_11 Depth=1
	s_or_b32 exec_lo, exec_lo, s23
.LBB323_490:                            ;   in Loop: Header=BB323_11 Depth=1
	s_or_b32 exec_lo, exec_lo, s22
.LBB323_491:                            ;   in Loop: Header=BB323_11 Depth=1
	s_or_b32 exec_lo, exec_lo, s21
	v_mov_b32_e32 v8, v31
	v_cmp_ne_u16_sdwa s5, v31, v9 src0_sel:BYTE_0 src1_sel:DWORD
	s_and_saveexec_b32 s21, s5
	s_cbranch_execz .LBB323_499
; %bb.492:                              ;   in Loop: Header=BB323_11 Depth=1
	v_cmp_ne_u16_sdwa s5, v31, v51 src0_sel:BYTE_0 src1_sel:DWORD
	v_mov_b32_e32 v122, 0x8000
	s_and_saveexec_b32 s22, s5
	s_cbranch_execz .LBB323_498
; %bb.493:                              ;   in Loop: Header=BB323_11 Depth=1
	v_and_b32_e32 v2, 0x7f, v31
	v_mov_b32_e32 v122, 0x7c01
	s_mov_b32 s23, exec_lo
	v_cmpx_ne_u32_e32 0x7f, v2
	s_cbranch_execz .LBB323_497
; %bb.494:                              ;   in Loop: Header=BB323_11 Depth=1
	v_and_b32_e32 v0, 7, v31
	v_lshrrev_b32_e32 v1, 3, v2
	s_mov_b32 s24, exec_lo
	v_cmpx_gt_u32_e32 8, v2
; %bb.495:                              ;   in Loop: Header=BB323_11 Depth=1
	v_ffbh_u32_e32 v0, v0
	v_min_u32_e32 v2, 32, v0
	v_subrev_nc_u32_e32 v0, 28, v2
	v_lshlrev_b64 v[0:1], v0, v[8:9]
	v_sub_nc_u32_e32 v1, 29, v2
	v_and_b32_e32 v0, 7, v0
; %bb.496:                              ;   in Loop: Header=BB323_11 Depth=1
	s_or_b32 exec_lo, exec_lo, s24
	v_lshlrev_b32_e32 v2, 8, v31
	v_lshl_add_u32 v1, v1, 10, 0x2000
	v_lshlrev_b32_e32 v0, 7, v0
	v_and_b32_e32 v2, 0x8000, v2
	v_and_b32_e32 v1, 0xfc00, v1
	v_or3_b32 v122, v2, v1, v0
.LBB323_497:                            ;   in Loop: Header=BB323_11 Depth=1
	s_or_b32 exec_lo, exec_lo, s23
.LBB323_498:                            ;   in Loop: Header=BB323_11 Depth=1
	s_or_b32 exec_lo, exec_lo, s22
.LBB323_499:                            ;   in Loop: Header=BB323_11 Depth=1
	s_or_b32 exec_lo, exec_lo, s21
	v_lshrrev_b16 v8, 8, v8
	v_mov_b32_e32 v38, 0
	v_mov_b32_e32 v34, 0
	s_mov_b32 s21, exec_lo
	v_cmpx_ne_u16_e32 0, v8
	s_cbranch_execz .LBB323_507
; %bb.500:                              ;   in Loop: Header=BB323_11 Depth=1
	v_bfrev_b32_e32 v34, 1
	s_mov_b32 s22, exec_lo
	v_cmpx_ne_u16_e32 0x80, v8
	s_cbranch_execz .LBB323_506
; %bb.501:                              ;   in Loop: Header=BB323_11 Depth=1
	v_mov_b32_e32 v0, 0x7f
	v_mov_b32_e32 v34, 0x7c010000
	s_mov_b32 s23, exec_lo
	v_and_b32_sdwa v2, v8, v0 dst_sel:DWORD dst_unused:UNUSED_PAD src0_sel:WORD_0 src1_sel:DWORD
	v_cmpx_ne_u32_e32 0x7f, v2
	s_cbranch_execz .LBB323_505
; %bb.502:                              ;   in Loop: Header=BB323_11 Depth=1
	v_mov_b32_e32 v0, 7
	v_lshrrev_b32_e32 v1, 3, v2
	s_mov_b32 s24, exec_lo
	v_and_b32_sdwa v0, v8, v0 dst_sel:DWORD dst_unused:UNUSED_PAD src0_sel:WORD_0 src1_sel:DWORD
	v_cmpx_gt_u32_e32 8, v2
; %bb.503:                              ;   in Loop: Header=BB323_11 Depth=1
	v_ffbh_u32_e32 v0, v0
	v_min_u32_e32 v2, 32, v0
	v_subrev_nc_u32_e32 v0, 28, v2
	v_lshlrev_b64 v[0:1], v0, v[8:9]
	v_sub_nc_u32_e32 v1, 29, v2
	v_and_b32_e32 v0, 7, v0
; %bb.504:                              ;   in Loop: Header=BB323_11 Depth=1
	s_or_b32 exec_lo, exec_lo, s24
	v_mov_b32_e32 v2, 8
	v_lshl_add_u32 v1, v1, 10, 0x2000
	v_lshlrev_b32_e32 v0, 23, v0
	v_lshlrev_b32_sdwa v2, v2, v8 dst_sel:DWORD dst_unused:UNUSED_PAD src0_sel:DWORD src1_sel:WORD_0
	v_and_or_b32 v1, 0x8000, v2, v1
	v_lshl_or_b32 v34, v1, 16, v0
.LBB323_505:                            ;   in Loop: Header=BB323_11 Depth=1
	s_or_b32 exec_lo, exec_lo, s23
.LBB323_506:                            ;   in Loop: Header=BB323_11 Depth=1
	s_or_b32 exec_lo, exec_lo, s22
.LBB323_507:                            ;   in Loop: Header=BB323_11 Depth=1
	s_or_b32 exec_lo, exec_lo, s21
	v_lshrrev_b32_e32 v8, 16, v31
	v_cmp_ne_u16_sdwa s5, v8, v9 src0_sel:BYTE_0 src1_sel:DWORD
	s_and_saveexec_b32 s21, s5
	s_cbranch_execz .LBB323_515
; %bb.508:                              ;   in Loop: Header=BB323_11 Depth=1
	v_cmp_ne_u16_sdwa s5, v8, v51 src0_sel:BYTE_0 src1_sel:DWORD
	v_mov_b32_e32 v38, 0x8000
	s_and_saveexec_b32 s22, s5
	s_cbranch_execz .LBB323_514
; %bb.509:                              ;   in Loop: Header=BB323_11 Depth=1
	v_bfe_u32 v2, v31, 16, 7
	v_mov_b32_e32 v38, 0x7c01
	s_mov_b32 s23, exec_lo
	v_cmpx_ne_u32_e32 0x7f, v2
	s_cbranch_execz .LBB323_513
; %bb.510:                              ;   in Loop: Header=BB323_11 Depth=1
	v_and_b32_e32 v0, 7, v8
	v_lshrrev_b32_e32 v1, 3, v2
	s_mov_b32 s24, exec_lo
	v_cmpx_gt_u32_e32 8, v2
; %bb.511:                              ;   in Loop: Header=BB323_11 Depth=1
	v_ffbh_u32_e32 v0, v0
	v_min_u32_e32 v2, 32, v0
	v_subrev_nc_u32_e32 v0, 28, v2
	v_lshlrev_b64 v[0:1], v0, v[8:9]
	v_sub_nc_u32_e32 v1, 29, v2
	v_and_b32_e32 v0, 7, v0
; %bb.512:                              ;   in Loop: Header=BB323_11 Depth=1
	s_or_b32 exec_lo, exec_lo, s24
	v_lshlrev_b32_e32 v2, 8, v8
	v_lshl_add_u32 v1, v1, 10, 0x2000
	v_lshlrev_b32_e32 v0, 7, v0
	v_and_b32_e32 v2, 0x8000, v2
	v_and_b32_e32 v1, 0xfc00, v1
	v_or3_b32 v38, v2, v1, v0
.LBB323_513:                            ;   in Loop: Header=BB323_11 Depth=1
	s_or_b32 exec_lo, exec_lo, s23
.LBB323_514:                            ;   in Loop: Header=BB323_11 Depth=1
	s_or_b32 exec_lo, exec_lo, s22
.LBB323_515:                            ;   in Loop: Header=BB323_11 Depth=1
	s_or_b32 exec_lo, exec_lo, s21
	v_mov_b32_e32 v11, 0
	v_mov_b32_e32 v12, 0
	s_mov_b32 s21, exec_lo
	v_cmpx_lt_u64_e64 s[6:7], v[30:31]
	s_cbranch_execz .LBB323_523
; %bb.516:                              ;   in Loop: Header=BB323_11 Depth=1
	v_lshrrev_b32_e32 v8, 24, v31
	v_bfrev_b32_e32 v12, 1
	s_mov_b32 s22, exec_lo
	v_cmpx_ne_u32_e32 0x80, v8
	s_cbranch_execz .LBB323_522
; %bb.517:                              ;   in Loop: Header=BB323_11 Depth=1
	v_and_b32_e32 v2, 0x7f, v8
	v_mov_b32_e32 v12, 0x7c010000
	s_mov_b32 s23, exec_lo
	v_cmpx_ne_u32_e32 0x7f, v2
	s_cbranch_execz .LBB323_521
; %bb.518:                              ;   in Loop: Header=BB323_11 Depth=1
	v_and_b32_e32 v0, 7, v8
	v_lshrrev_b32_e32 v1, 3, v2
	s_mov_b32 s24, exec_lo
	v_cmpx_gt_u32_e32 8, v2
; %bb.519:                              ;   in Loop: Header=BB323_11 Depth=1
	v_ffbh_u32_e32 v0, v0
	v_min_u32_e32 v2, 32, v0
	v_subrev_nc_u32_e32 v0, 28, v2
	v_lshlrev_b64 v[0:1], v0, v[8:9]
	v_sub_nc_u32_e32 v1, 29, v2
	v_and_b32_e32 v0, 7, v0
; %bb.520:                              ;   in Loop: Header=BB323_11 Depth=1
	s_or_b32 exec_lo, exec_lo, s24
	v_lshlrev_b32_e32 v2, 8, v8
	v_lshl_add_u32 v1, v1, 10, 0x2000
	v_lshlrev_b32_e32 v0, 23, v0
	v_and_or_b32 v1, 0x8000, v2, v1
	v_lshl_or_b32 v12, v1, 16, v0
.LBB323_521:                            ;   in Loop: Header=BB323_11 Depth=1
	s_or_b32 exec_lo, exec_lo, s23
.LBB323_522:                            ;   in Loop: Header=BB323_11 Depth=1
	s_or_b32 exec_lo, exec_lo, s22
.LBB323_523:                            ;   in Loop: Header=BB323_11 Depth=1
	s_or_b32 exec_lo, exec_lo, s21
	v_add_co_u32 v28, s5, 0x800, v28
	v_add_co_ci_u32_e64 v29, null, 0, v29, s5
	flat_load_dwordx2 v[30:31], v[28:29]
	s_waitcnt vmcnt(0) lgkmcnt(0)
	v_cmp_ne_u16_sdwa s5, v30, v9 src0_sel:BYTE_0 src1_sel:DWORD
	s_and_saveexec_b32 s21, s5
	s_cbranch_execz .LBB323_531
; %bb.524:                              ;   in Loop: Header=BB323_11 Depth=1
	v_cmp_ne_u16_sdwa s5, v30, v51 src0_sel:BYTE_0 src1_sel:DWORD
	v_mov_b32_e32 v11, 0x8000
	s_and_saveexec_b32 s22, s5
	s_cbranch_execz .LBB323_530
; %bb.525:                              ;   in Loop: Header=BB323_11 Depth=1
	v_and_b32_e32 v2, 0x7f, v30
	v_mov_b32_e32 v11, 0x7c01
	s_mov_b32 s23, exec_lo
	v_cmpx_ne_u32_e32 0x7f, v2
	s_cbranch_execz .LBB323_529
; %bb.526:                              ;   in Loop: Header=BB323_11 Depth=1
	v_and_b32_e32 v0, 7, v30
	v_lshrrev_b32_e32 v1, 3, v2
	s_mov_b32 s24, exec_lo
	v_cmpx_gt_u32_e32 8, v2
; %bb.527:                              ;   in Loop: Header=BB323_11 Depth=1
	v_ffbh_u32_e32 v0, v0
	v_min_u32_e32 v2, 32, v0
	v_subrev_nc_u32_e32 v0, 28, v2
	v_lshlrev_b64 v[0:1], v0, v[30:31]
	v_sub_nc_u32_e32 v1, 29, v2
	v_and_b32_e32 v0, 7, v0
; %bb.528:                              ;   in Loop: Header=BB323_11 Depth=1
	s_or_b32 exec_lo, exec_lo, s24
	v_lshlrev_b32_e32 v2, 8, v30
	v_lshl_add_u32 v1, v1, 10, 0x2000
	v_lshlrev_b32_e32 v0, 7, v0
	v_and_b32_e32 v2, 0x8000, v2
	v_and_b32_e32 v1, 0xfc00, v1
	v_or3_b32 v11, v2, v1, v0
.LBB323_529:                            ;   in Loop: Header=BB323_11 Depth=1
	s_or_b32 exec_lo, exec_lo, s23
.LBB323_530:                            ;   in Loop: Header=BB323_11 Depth=1
	s_or_b32 exec_lo, exec_lo, s22
.LBB323_531:                            ;   in Loop: Header=BB323_11 Depth=1
	s_or_b32 exec_lo, exec_lo, s21
	v_lshrrev_b16 v8, 8, v30
	v_mov_b32_e32 v36, 0
	v_mov_b32_e32 v15, 0
	s_mov_b32 s21, exec_lo
	v_cmpx_ne_u16_e32 0, v8
	s_cbranch_execz .LBB323_539
; %bb.532:                              ;   in Loop: Header=BB323_11 Depth=1
	v_bfrev_b32_e32 v15, 1
	s_mov_b32 s22, exec_lo
	v_cmpx_ne_u16_e32 0x80, v8
	s_cbranch_execz .LBB323_538
; %bb.533:                              ;   in Loop: Header=BB323_11 Depth=1
	v_mov_b32_e32 v0, 0x7f
	v_mov_b32_e32 v15, 0x7c010000
	s_mov_b32 s23, exec_lo
	v_and_b32_sdwa v2, v8, v0 dst_sel:DWORD dst_unused:UNUSED_PAD src0_sel:WORD_0 src1_sel:DWORD
	v_cmpx_ne_u32_e32 0x7f, v2
	s_cbranch_execz .LBB323_537
; %bb.534:                              ;   in Loop: Header=BB323_11 Depth=1
	v_mov_b32_e32 v0, 7
	v_lshrrev_b32_e32 v1, 3, v2
	s_mov_b32 s24, exec_lo
	v_and_b32_sdwa v0, v8, v0 dst_sel:DWORD dst_unused:UNUSED_PAD src0_sel:WORD_0 src1_sel:DWORD
	v_cmpx_gt_u32_e32 8, v2
; %bb.535:                              ;   in Loop: Header=BB323_11 Depth=1
	v_ffbh_u32_e32 v0, v0
	v_min_u32_e32 v2, 32, v0
	v_subrev_nc_u32_e32 v0, 28, v2
	v_lshlrev_b64 v[0:1], v0, v[8:9]
	v_sub_nc_u32_e32 v1, 29, v2
	v_and_b32_e32 v0, 7, v0
; %bb.536:                              ;   in Loop: Header=BB323_11 Depth=1
	s_or_b32 exec_lo, exec_lo, s24
	v_mov_b32_e32 v2, 8
	v_lshl_add_u32 v1, v1, 10, 0x2000
	v_lshlrev_b32_e32 v0, 23, v0
	v_lshlrev_b32_sdwa v2, v2, v8 dst_sel:DWORD dst_unused:UNUSED_PAD src0_sel:DWORD src1_sel:WORD_0
	v_and_or_b32 v1, 0x8000, v2, v1
	v_lshl_or_b32 v15, v1, 16, v0
.LBB323_537:                            ;   in Loop: Header=BB323_11 Depth=1
	s_or_b32 exec_lo, exec_lo, s23
.LBB323_538:                            ;   in Loop: Header=BB323_11 Depth=1
	s_or_b32 exec_lo, exec_lo, s22
.LBB323_539:                            ;   in Loop: Header=BB323_11 Depth=1
	s_or_b32 exec_lo, exec_lo, s21
	v_lshrrev_b32_e32 v8, 16, v30
	v_cmp_ne_u16_sdwa s5, v8, v9 src0_sel:BYTE_0 src1_sel:DWORD
	s_and_saveexec_b32 s21, s5
	s_cbranch_execz .LBB323_547
; %bb.540:                              ;   in Loop: Header=BB323_11 Depth=1
	v_cmp_ne_u16_sdwa s5, v8, v51 src0_sel:BYTE_0 src1_sel:DWORD
	v_mov_b32_e32 v36, 0x8000
	s_and_saveexec_b32 s22, s5
	s_cbranch_execz .LBB323_546
; %bb.541:                              ;   in Loop: Header=BB323_11 Depth=1
	v_bfe_u32 v2, v30, 16, 7
	v_mov_b32_e32 v36, 0x7c01
	s_mov_b32 s23, exec_lo
	v_cmpx_ne_u32_e32 0x7f, v2
	s_cbranch_execz .LBB323_545
; %bb.542:                              ;   in Loop: Header=BB323_11 Depth=1
	v_and_b32_e32 v0, 7, v8
	v_lshrrev_b32_e32 v1, 3, v2
	s_mov_b32 s24, exec_lo
	v_cmpx_gt_u32_e32 8, v2
; %bb.543:                              ;   in Loop: Header=BB323_11 Depth=1
	v_ffbh_u32_e32 v0, v0
	v_min_u32_e32 v2, 32, v0
	v_subrev_nc_u32_e32 v0, 28, v2
	v_lshlrev_b64 v[0:1], v0, v[8:9]
	v_sub_nc_u32_e32 v1, 29, v2
	v_and_b32_e32 v0, 7, v0
; %bb.544:                              ;   in Loop: Header=BB323_11 Depth=1
	s_or_b32 exec_lo, exec_lo, s24
	v_lshlrev_b32_e32 v2, 8, v8
	v_lshl_add_u32 v1, v1, 10, 0x2000
	v_lshlrev_b32_e32 v0, 7, v0
	v_and_b32_e32 v2, 0x8000, v2
	v_and_b32_e32 v1, 0xfc00, v1
	v_or3_b32 v36, v2, v1, v0
.LBB323_545:                            ;   in Loop: Header=BB323_11 Depth=1
	s_or_b32 exec_lo, exec_lo, s23
.LBB323_546:                            ;   in Loop: Header=BB323_11 Depth=1
	s_or_b32 exec_lo, exec_lo, s22
.LBB323_547:                            ;   in Loop: Header=BB323_11 Depth=1
	s_or_b32 exec_lo, exec_lo, s21
	v_mov_b32_e32 v19, 0
	v_mov_b32_e32 v0, 0
	s_mov_b32 s21, exec_lo
	v_cmpx_lt_u32_e32 0xffffff, v30
	s_cbranch_execz .LBB323_555
; %bb.548:                              ;   in Loop: Header=BB323_11 Depth=1
	v_lshrrev_b32_e32 v8, 24, v30
	v_bfrev_b32_e32 v0, 1
	s_mov_b32 s22, exec_lo
	v_cmpx_ne_u32_e32 0x80, v8
	s_cbranch_execz .LBB323_554
; %bb.549:                              ;   in Loop: Header=BB323_11 Depth=1
	v_and_b32_e32 v2, 0x7f, v8
	v_mov_b32_e32 v0, 0x7c010000
	s_mov_b32 s23, exec_lo
	v_cmpx_ne_u32_e32 0x7f, v2
	s_cbranch_execz .LBB323_553
; %bb.550:                              ;   in Loop: Header=BB323_11 Depth=1
	v_and_b32_e32 v0, 7, v8
	v_lshrrev_b32_e32 v1, 3, v2
	s_mov_b32 s24, exec_lo
	v_cmpx_gt_u32_e32 8, v2
; %bb.551:                              ;   in Loop: Header=BB323_11 Depth=1
	v_ffbh_u32_e32 v0, v0
	v_min_u32_e32 v2, 32, v0
	v_subrev_nc_u32_e32 v0, 28, v2
	v_lshlrev_b64 v[0:1], v0, v[8:9]
	v_sub_nc_u32_e32 v1, 29, v2
	v_and_b32_e32 v0, 7, v0
; %bb.552:                              ;   in Loop: Header=BB323_11 Depth=1
	s_or_b32 exec_lo, exec_lo, s24
	v_lshlrev_b32_e32 v2, 8, v8
	v_lshl_add_u32 v1, v1, 10, 0x2000
	v_lshlrev_b32_e32 v0, 23, v0
	v_and_or_b32 v1, 0x8000, v2, v1
	v_lshl_or_b32 v0, v1, 16, v0
.LBB323_553:                            ;   in Loop: Header=BB323_11 Depth=1
	s_or_b32 exec_lo, exec_lo, s23
.LBB323_554:                            ;   in Loop: Header=BB323_11 Depth=1
	s_or_b32 exec_lo, exec_lo, s22
.LBB323_555:                            ;   in Loop: Header=BB323_11 Depth=1
	s_or_b32 exec_lo, exec_lo, s21
	v_mov_b32_e32 v8, v31
	v_cmp_ne_u16_sdwa s5, v31, v9 src0_sel:BYTE_0 src1_sel:DWORD
	s_and_saveexec_b32 s21, s5
	s_cbranch_execz .LBB323_563
; %bb.556:                              ;   in Loop: Header=BB323_11 Depth=1
	v_cmp_ne_u16_sdwa s5, v31, v51 src0_sel:BYTE_0 src1_sel:DWORD
	v_mov_b32_e32 v19, 0x8000
	s_and_saveexec_b32 s22, s5
	s_cbranch_execz .LBB323_562
; %bb.557:                              ;   in Loop: Header=BB323_11 Depth=1
	v_and_b32_e32 v3, 0x7f, v31
	v_mov_b32_e32 v19, 0x7c01
	s_mov_b32 s23, exec_lo
	v_cmpx_ne_u32_e32 0x7f, v3
	s_cbranch_execz .LBB323_561
; %bb.558:                              ;   in Loop: Header=BB323_11 Depth=1
	v_and_b32_e32 v1, 7, v31
	v_lshrrev_b32_e32 v2, 3, v3
	s_mov_b32 s24, exec_lo
	v_cmpx_gt_u32_e32 8, v3
; %bb.559:                              ;   in Loop: Header=BB323_11 Depth=1
	v_ffbh_u32_e32 v1, v1
	v_min_u32_e32 v3, 32, v1
	v_subrev_nc_u32_e32 v1, 28, v3
	v_lshlrev_b64 v[1:2], v1, v[8:9]
	v_sub_nc_u32_e32 v2, 29, v3
	v_and_b32_e32 v1, 7, v1
; %bb.560:                              ;   in Loop: Header=BB323_11 Depth=1
	s_or_b32 exec_lo, exec_lo, s24
	v_lshlrev_b32_e32 v3, 8, v31
	v_lshl_add_u32 v2, v2, 10, 0x2000
	v_lshlrev_b32_e32 v1, 7, v1
	v_and_b32_e32 v3, 0x8000, v3
	v_and_b32_e32 v2, 0xfc00, v2
	v_or3_b32 v19, v3, v2, v1
.LBB323_561:                            ;   in Loop: Header=BB323_11 Depth=1
	s_or_b32 exec_lo, exec_lo, s23
.LBB323_562:                            ;   in Loop: Header=BB323_11 Depth=1
	s_or_b32 exec_lo, exec_lo, s22
.LBB323_563:                            ;   in Loop: Header=BB323_11 Depth=1
	s_or_b32 exec_lo, exec_lo, s21
	v_lshrrev_b16 v8, 8, v8
	v_mov_b32_e32 v53, 0
	v_mov_b32_e32 v13, 0
	s_mov_b32 s21, exec_lo
	v_cmpx_ne_u16_e32 0, v8
	s_cbranch_execz .LBB323_571
; %bb.564:                              ;   in Loop: Header=BB323_11 Depth=1
	v_bfrev_b32_e32 v13, 1
	s_mov_b32 s22, exec_lo
	v_cmpx_ne_u16_e32 0x80, v8
	s_cbranch_execz .LBB323_570
; %bb.565:                              ;   in Loop: Header=BB323_11 Depth=1
	v_mov_b32_e32 v1, 0x7f
	v_mov_b32_e32 v13, 0x7c010000
	s_mov_b32 s23, exec_lo
	v_and_b32_sdwa v3, v8, v1 dst_sel:DWORD dst_unused:UNUSED_PAD src0_sel:WORD_0 src1_sel:DWORD
	v_cmpx_ne_u32_e32 0x7f, v3
	s_cbranch_execz .LBB323_569
; %bb.566:                              ;   in Loop: Header=BB323_11 Depth=1
	v_mov_b32_e32 v1, 7
	v_lshrrev_b32_e32 v2, 3, v3
	s_mov_b32 s24, exec_lo
	v_and_b32_sdwa v1, v8, v1 dst_sel:DWORD dst_unused:UNUSED_PAD src0_sel:WORD_0 src1_sel:DWORD
	v_cmpx_gt_u32_e32 8, v3
; %bb.567:                              ;   in Loop: Header=BB323_11 Depth=1
	v_ffbh_u32_e32 v1, v1
	v_min_u32_e32 v3, 32, v1
	v_subrev_nc_u32_e32 v1, 28, v3
	v_lshlrev_b64 v[1:2], v1, v[8:9]
	v_sub_nc_u32_e32 v2, 29, v3
	v_and_b32_e32 v1, 7, v1
; %bb.568:                              ;   in Loop: Header=BB323_11 Depth=1
	s_or_b32 exec_lo, exec_lo, s24
	v_mov_b32_e32 v3, 8
	v_lshl_add_u32 v2, v2, 10, 0x2000
	v_lshlrev_b32_e32 v1, 23, v1
	v_lshlrev_b32_sdwa v3, v3, v8 dst_sel:DWORD dst_unused:UNUSED_PAD src0_sel:DWORD src1_sel:WORD_0
	v_and_or_b32 v2, 0x8000, v3, v2
	v_lshl_or_b32 v13, v2, 16, v1
.LBB323_569:                            ;   in Loop: Header=BB323_11 Depth=1
	s_or_b32 exec_lo, exec_lo, s23
.LBB323_570:                            ;   in Loop: Header=BB323_11 Depth=1
	s_or_b32 exec_lo, exec_lo, s22
.LBB323_571:                            ;   in Loop: Header=BB323_11 Depth=1
	s_or_b32 exec_lo, exec_lo, s21
	v_lshrrev_b32_e32 v8, 16, v31
	v_cmp_ne_u16_sdwa s5, v8, v9 src0_sel:BYTE_0 src1_sel:DWORD
	s_and_saveexec_b32 s21, s5
	s_cbranch_execz .LBB323_579
; %bb.572:                              ;   in Loop: Header=BB323_11 Depth=1
	v_cmp_ne_u16_sdwa s5, v8, v51 src0_sel:BYTE_0 src1_sel:DWORD
	v_mov_b32_e32 v53, 0x8000
	s_and_saveexec_b32 s22, s5
	s_cbranch_execz .LBB323_578
; %bb.573:                              ;   in Loop: Header=BB323_11 Depth=1
	v_bfe_u32 v3, v31, 16, 7
	v_mov_b32_e32 v53, 0x7c01
	s_mov_b32 s23, exec_lo
	v_cmpx_ne_u32_e32 0x7f, v3
	s_cbranch_execz .LBB323_577
; %bb.574:                              ;   in Loop: Header=BB323_11 Depth=1
	v_and_b32_e32 v1, 7, v8
	v_lshrrev_b32_e32 v2, 3, v3
	s_mov_b32 s24, exec_lo
	v_cmpx_gt_u32_e32 8, v3
; %bb.575:                              ;   in Loop: Header=BB323_11 Depth=1
	v_ffbh_u32_e32 v1, v1
	v_min_u32_e32 v3, 32, v1
	v_subrev_nc_u32_e32 v1, 28, v3
	v_lshlrev_b64 v[1:2], v1, v[8:9]
	v_sub_nc_u32_e32 v2, 29, v3
	v_and_b32_e32 v1, 7, v1
; %bb.576:                              ;   in Loop: Header=BB323_11 Depth=1
	s_or_b32 exec_lo, exec_lo, s24
	v_lshlrev_b32_e32 v3, 8, v8
	v_lshl_add_u32 v2, v2, 10, 0x2000
	v_lshlrev_b32_e32 v1, 7, v1
	v_and_b32_e32 v3, 0x8000, v3
	v_and_b32_e32 v2, 0xfc00, v2
	v_or3_b32 v53, v3, v2, v1
.LBB323_577:                            ;   in Loop: Header=BB323_11 Depth=1
	s_or_b32 exec_lo, exec_lo, s23
.LBB323_578:                            ;   in Loop: Header=BB323_11 Depth=1
	s_or_b32 exec_lo, exec_lo, s22
.LBB323_579:                            ;   in Loop: Header=BB323_11 Depth=1
	s_or_b32 exec_lo, exec_lo, s21
	v_mov_b32_e32 v22, 0
	v_mov_b32_e32 v65, 0
	s_mov_b32 s21, exec_lo
	v_cmpx_lt_u64_e64 s[6:7], v[30:31]
	s_cbranch_execz .LBB323_587
; %bb.580:                              ;   in Loop: Header=BB323_11 Depth=1
	v_lshrrev_b32_e32 v8, 24, v31
	v_bfrev_b32_e32 v65, 1
	s_mov_b32 s22, exec_lo
	v_cmpx_ne_u32_e32 0x80, v8
	s_cbranch_execz .LBB323_586
; %bb.581:                              ;   in Loop: Header=BB323_11 Depth=1
	v_and_b32_e32 v3, 0x7f, v8
	v_mov_b32_e32 v65, 0x7c010000
	s_mov_b32 s23, exec_lo
	v_cmpx_ne_u32_e32 0x7f, v3
	s_cbranch_execz .LBB323_585
; %bb.582:                              ;   in Loop: Header=BB323_11 Depth=1
	v_and_b32_e32 v1, 7, v8
	v_lshrrev_b32_e32 v2, 3, v3
	s_mov_b32 s24, exec_lo
	v_cmpx_gt_u32_e32 8, v3
; %bb.583:                              ;   in Loop: Header=BB323_11 Depth=1
	v_ffbh_u32_e32 v1, v1
	v_min_u32_e32 v3, 32, v1
	v_subrev_nc_u32_e32 v1, 28, v3
	v_lshlrev_b64 v[1:2], v1, v[8:9]
	v_sub_nc_u32_e32 v2, 29, v3
	v_and_b32_e32 v1, 7, v1
; %bb.584:                              ;   in Loop: Header=BB323_11 Depth=1
	s_or_b32 exec_lo, exec_lo, s24
	v_lshlrev_b32_e32 v3, 8, v8
	v_lshl_add_u32 v2, v2, 10, 0x2000
	v_lshlrev_b32_e32 v1, 23, v1
	v_and_or_b32 v2, 0x8000, v3, v2
	v_lshl_or_b32 v65, v2, 16, v1
.LBB323_585:                            ;   in Loop: Header=BB323_11 Depth=1
	s_or_b32 exec_lo, exec_lo, s23
.LBB323_586:                            ;   in Loop: Header=BB323_11 Depth=1
	s_or_b32 exec_lo, exec_lo, s22
.LBB323_587:                            ;   in Loop: Header=BB323_11 Depth=1
	s_or_b32 exec_lo, exec_lo, s21
	flat_load_dwordx2 v[30:31], v[28:29] offset:8
	s_waitcnt vmcnt(0) lgkmcnt(0)
	v_cmp_ne_u16_sdwa s5, v30, v9 src0_sel:BYTE_0 src1_sel:DWORD
	s_and_saveexec_b32 s21, s5
	s_cbranch_execz .LBB323_595
; %bb.588:                              ;   in Loop: Header=BB323_11 Depth=1
	v_cmp_ne_u16_sdwa s5, v30, v51 src0_sel:BYTE_0 src1_sel:DWORD
	v_mov_b32_e32 v22, 0x8000
	s_and_saveexec_b32 s22, s5
	s_cbranch_execz .LBB323_594
; %bb.589:                              ;   in Loop: Header=BB323_11 Depth=1
	v_and_b32_e32 v3, 0x7f, v30
	v_mov_b32_e32 v22, 0x7c01
	s_mov_b32 s23, exec_lo
	v_cmpx_ne_u32_e32 0x7f, v3
	s_cbranch_execz .LBB323_593
; %bb.590:                              ;   in Loop: Header=BB323_11 Depth=1
	v_and_b32_e32 v1, 7, v30
	v_lshrrev_b32_e32 v2, 3, v3
	s_mov_b32 s24, exec_lo
	v_cmpx_gt_u32_e32 8, v3
; %bb.591:                              ;   in Loop: Header=BB323_11 Depth=1
	v_ffbh_u32_e32 v1, v1
	v_min_u32_e32 v3, 32, v1
	v_subrev_nc_u32_e32 v1, 28, v3
	v_lshlrev_b64 v[1:2], v1, v[30:31]
	v_sub_nc_u32_e32 v2, 29, v3
	v_and_b32_e32 v1, 7, v1
; %bb.592:                              ;   in Loop: Header=BB323_11 Depth=1
	s_or_b32 exec_lo, exec_lo, s24
	v_lshlrev_b32_e32 v3, 8, v30
	v_lshl_add_u32 v2, v2, 10, 0x2000
	v_lshlrev_b32_e32 v1, 7, v1
	v_and_b32_e32 v3, 0x8000, v3
	v_and_b32_e32 v2, 0xfc00, v2
	v_or3_b32 v22, v3, v2, v1
.LBB323_593:                            ;   in Loop: Header=BB323_11 Depth=1
	s_or_b32 exec_lo, exec_lo, s23
.LBB323_594:                            ;   in Loop: Header=BB323_11 Depth=1
	s_or_b32 exec_lo, exec_lo, s22
.LBB323_595:                            ;   in Loop: Header=BB323_11 Depth=1
	s_or_b32 exec_lo, exec_lo, s21
	v_lshrrev_b16 v8, 8, v30
	v_mov_b32_e32 v7, 0
	v_mov_b32_e32 v6, 0
	s_mov_b32 s21, exec_lo
	v_cmpx_ne_u16_e32 0, v8
	s_cbranch_execz .LBB323_603
; %bb.596:                              ;   in Loop: Header=BB323_11 Depth=1
	v_bfrev_b32_e32 v6, 1
	s_mov_b32 s22, exec_lo
	v_cmpx_ne_u16_e32 0x80, v8
	s_cbranch_execz .LBB323_602
; %bb.597:                              ;   in Loop: Header=BB323_11 Depth=1
	v_mov_b32_e32 v1, 0x7f
	v_mov_b32_e32 v6, 0x7c010000
	s_mov_b32 s23, exec_lo
	v_and_b32_sdwa v3, v8, v1 dst_sel:DWORD dst_unused:UNUSED_PAD src0_sel:WORD_0 src1_sel:DWORD
	v_cmpx_ne_u32_e32 0x7f, v3
	s_cbranch_execz .LBB323_601
; %bb.598:                              ;   in Loop: Header=BB323_11 Depth=1
	v_mov_b32_e32 v1, 7
	v_lshrrev_b32_e32 v2, 3, v3
	s_mov_b32 s24, exec_lo
	v_and_b32_sdwa v1, v8, v1 dst_sel:DWORD dst_unused:UNUSED_PAD src0_sel:WORD_0 src1_sel:DWORD
	v_cmpx_gt_u32_e32 8, v3
; %bb.599:                              ;   in Loop: Header=BB323_11 Depth=1
	v_ffbh_u32_e32 v1, v1
	v_min_u32_e32 v3, 32, v1
	v_subrev_nc_u32_e32 v1, 28, v3
	v_lshlrev_b64 v[1:2], v1, v[8:9]
	v_sub_nc_u32_e32 v2, 29, v3
	v_and_b32_e32 v1, 7, v1
; %bb.600:                              ;   in Loop: Header=BB323_11 Depth=1
	s_or_b32 exec_lo, exec_lo, s24
	v_mov_b32_e32 v3, 8
	v_lshl_add_u32 v2, v2, 10, 0x2000
	v_lshlrev_b32_e32 v1, 23, v1
	v_lshlrev_b32_sdwa v3, v3, v8 dst_sel:DWORD dst_unused:UNUSED_PAD src0_sel:DWORD src1_sel:WORD_0
	v_and_or_b32 v2, 0x8000, v3, v2
	v_lshl_or_b32 v6, v2, 16, v1
.LBB323_601:                            ;   in Loop: Header=BB323_11 Depth=1
	s_or_b32 exec_lo, exec_lo, s23
.LBB323_602:                            ;   in Loop: Header=BB323_11 Depth=1
	s_or_b32 exec_lo, exec_lo, s22
.LBB323_603:                            ;   in Loop: Header=BB323_11 Depth=1
	s_or_b32 exec_lo, exec_lo, s21
	v_lshrrev_b32_e32 v8, 16, v30
	v_cmp_ne_u16_sdwa s5, v8, v9 src0_sel:BYTE_0 src1_sel:DWORD
	s_and_saveexec_b32 s21, s5
	s_cbranch_execz .LBB323_611
; %bb.604:                              ;   in Loop: Header=BB323_11 Depth=1
	v_cmp_ne_u16_sdwa s5, v8, v51 src0_sel:BYTE_0 src1_sel:DWORD
	v_mov_b32_e32 v7, 0x8000
	s_and_saveexec_b32 s22, s5
	s_cbranch_execz .LBB323_610
; %bb.605:                              ;   in Loop: Header=BB323_11 Depth=1
	v_bfe_u32 v3, v30, 16, 7
	v_mov_b32_e32 v7, 0x7c01
	s_mov_b32 s23, exec_lo
	v_cmpx_ne_u32_e32 0x7f, v3
	s_cbranch_execz .LBB323_609
; %bb.606:                              ;   in Loop: Header=BB323_11 Depth=1
	v_and_b32_e32 v1, 7, v8
	v_lshrrev_b32_e32 v2, 3, v3
	s_mov_b32 s24, exec_lo
	v_cmpx_gt_u32_e32 8, v3
; %bb.607:                              ;   in Loop: Header=BB323_11 Depth=1
	v_ffbh_u32_e32 v1, v1
	v_min_u32_e32 v3, 32, v1
	v_subrev_nc_u32_e32 v1, 28, v3
	v_lshlrev_b64 v[1:2], v1, v[8:9]
	v_sub_nc_u32_e32 v2, 29, v3
	v_and_b32_e32 v1, 7, v1
; %bb.608:                              ;   in Loop: Header=BB323_11 Depth=1
	s_or_b32 exec_lo, exec_lo, s24
	v_lshlrev_b32_e32 v3, 8, v8
	v_lshl_add_u32 v2, v2, 10, 0x2000
	v_lshlrev_b32_e32 v1, 7, v1
	v_and_b32_e32 v3, 0x8000, v3
	v_and_b32_e32 v2, 0xfc00, v2
	v_or3_b32 v7, v3, v2, v1
.LBB323_609:                            ;   in Loop: Header=BB323_11 Depth=1
	s_or_b32 exec_lo, exec_lo, s23
.LBB323_610:                            ;   in Loop: Header=BB323_11 Depth=1
	s_or_b32 exec_lo, exec_lo, s22
.LBB323_611:                            ;   in Loop: Header=BB323_11 Depth=1
	s_or_b32 exec_lo, exec_lo, s21
	v_mov_b32_e32 v24, 0
	v_mov_b32_e32 v25, 0
	s_mov_b32 s21, exec_lo
	v_cmpx_lt_u32_e32 0xffffff, v30
	s_cbranch_execz .LBB323_619
; %bb.612:                              ;   in Loop: Header=BB323_11 Depth=1
	v_lshrrev_b32_e32 v8, 24, v30
	v_bfrev_b32_e32 v25, 1
	s_mov_b32 s22, exec_lo
	v_cmpx_ne_u32_e32 0x80, v8
	s_cbranch_execz .LBB323_618
; %bb.613:                              ;   in Loop: Header=BB323_11 Depth=1
	v_and_b32_e32 v3, 0x7f, v8
	v_mov_b32_e32 v25, 0x7c010000
	s_mov_b32 s23, exec_lo
	v_cmpx_ne_u32_e32 0x7f, v3
	s_cbranch_execz .LBB323_617
; %bb.614:                              ;   in Loop: Header=BB323_11 Depth=1
	v_and_b32_e32 v1, 7, v8
	v_lshrrev_b32_e32 v2, 3, v3
	s_mov_b32 s24, exec_lo
	v_cmpx_gt_u32_e32 8, v3
; %bb.615:                              ;   in Loop: Header=BB323_11 Depth=1
	v_ffbh_u32_e32 v1, v1
	v_min_u32_e32 v3, 32, v1
	v_subrev_nc_u32_e32 v1, 28, v3
	v_lshlrev_b64 v[1:2], v1, v[8:9]
	v_sub_nc_u32_e32 v2, 29, v3
	v_and_b32_e32 v1, 7, v1
; %bb.616:                              ;   in Loop: Header=BB323_11 Depth=1
	s_or_b32 exec_lo, exec_lo, s24
	v_lshlrev_b32_e32 v3, 8, v8
	v_lshl_add_u32 v2, v2, 10, 0x2000
	v_lshlrev_b32_e32 v1, 23, v1
	v_and_or_b32 v2, 0x8000, v3, v2
	v_lshl_or_b32 v25, v2, 16, v1
.LBB323_617:                            ;   in Loop: Header=BB323_11 Depth=1
	s_or_b32 exec_lo, exec_lo, s23
.LBB323_618:                            ;   in Loop: Header=BB323_11 Depth=1
	s_or_b32 exec_lo, exec_lo, s22
.LBB323_619:                            ;   in Loop: Header=BB323_11 Depth=1
	s_or_b32 exec_lo, exec_lo, s21
	v_mov_b32_e32 v8, v31
	v_cmp_ne_u16_sdwa s5, v31, v9 src0_sel:BYTE_0 src1_sel:DWORD
	s_and_saveexec_b32 s21, s5
	s_cbranch_execz .LBB323_627
; %bb.620:                              ;   in Loop: Header=BB323_11 Depth=1
	v_cmp_ne_u16_sdwa s5, v31, v51 src0_sel:BYTE_0 src1_sel:DWORD
	v_mov_b32_e32 v24, 0x8000
	s_and_saveexec_b32 s22, s5
	s_cbranch_execz .LBB323_626
; %bb.621:                              ;   in Loop: Header=BB323_11 Depth=1
	v_and_b32_e32 v3, 0x7f, v31
	v_mov_b32_e32 v24, 0x7c01
	s_mov_b32 s23, exec_lo
	v_cmpx_ne_u32_e32 0x7f, v3
	s_cbranch_execz .LBB323_625
; %bb.622:                              ;   in Loop: Header=BB323_11 Depth=1
	v_and_b32_e32 v1, 7, v31
	v_lshrrev_b32_e32 v2, 3, v3
	s_mov_b32 s24, exec_lo
	v_cmpx_gt_u32_e32 8, v3
; %bb.623:                              ;   in Loop: Header=BB323_11 Depth=1
	v_ffbh_u32_e32 v1, v1
	v_min_u32_e32 v3, 32, v1
	v_subrev_nc_u32_e32 v1, 28, v3
	v_lshlrev_b64 v[1:2], v1, v[8:9]
	v_sub_nc_u32_e32 v2, 29, v3
	v_and_b32_e32 v1, 7, v1
; %bb.624:                              ;   in Loop: Header=BB323_11 Depth=1
	s_or_b32 exec_lo, exec_lo, s24
	v_lshlrev_b32_e32 v3, 8, v31
	v_lshl_add_u32 v2, v2, 10, 0x2000
	v_lshlrev_b32_e32 v1, 7, v1
	v_and_b32_e32 v3, 0x8000, v3
	v_and_b32_e32 v2, 0xfc00, v2
	v_or3_b32 v24, v3, v2, v1
.LBB323_625:                            ;   in Loop: Header=BB323_11 Depth=1
	s_or_b32 exec_lo, exec_lo, s23
.LBB323_626:                            ;   in Loop: Header=BB323_11 Depth=1
	s_or_b32 exec_lo, exec_lo, s22
.LBB323_627:                            ;   in Loop: Header=BB323_11 Depth=1
	s_or_b32 exec_lo, exec_lo, s21
	v_lshrrev_b16 v8, 8, v8
	v_mov_b32_e32 v35, 0
	v_mov_b32_e32 v83, 0
	s_mov_b32 s21, exec_lo
	v_cmpx_ne_u16_e32 0, v8
	s_cbranch_execz .LBB323_635
; %bb.628:                              ;   in Loop: Header=BB323_11 Depth=1
	v_bfrev_b32_e32 v83, 1
	s_mov_b32 s22, exec_lo
	v_cmpx_ne_u16_e32 0x80, v8
	s_cbranch_execz .LBB323_634
; %bb.629:                              ;   in Loop: Header=BB323_11 Depth=1
	v_mov_b32_e32 v1, 0x7f
	v_mov_b32_e32 v83, 0x7c010000
	s_mov_b32 s23, exec_lo
	v_and_b32_sdwa v3, v8, v1 dst_sel:DWORD dst_unused:UNUSED_PAD src0_sel:WORD_0 src1_sel:DWORD
	v_cmpx_ne_u32_e32 0x7f, v3
	s_cbranch_execz .LBB323_633
; %bb.630:                              ;   in Loop: Header=BB323_11 Depth=1
	v_mov_b32_e32 v1, 7
	v_lshrrev_b32_e32 v2, 3, v3
	s_mov_b32 s24, exec_lo
	v_and_b32_sdwa v1, v8, v1 dst_sel:DWORD dst_unused:UNUSED_PAD src0_sel:WORD_0 src1_sel:DWORD
	v_cmpx_gt_u32_e32 8, v3
; %bb.631:                              ;   in Loop: Header=BB323_11 Depth=1
	v_ffbh_u32_e32 v1, v1
	v_min_u32_e32 v3, 32, v1
	v_subrev_nc_u32_e32 v1, 28, v3
	v_lshlrev_b64 v[1:2], v1, v[8:9]
	v_sub_nc_u32_e32 v2, 29, v3
	v_and_b32_e32 v1, 7, v1
; %bb.632:                              ;   in Loop: Header=BB323_11 Depth=1
	s_or_b32 exec_lo, exec_lo, s24
	v_mov_b32_e32 v3, 8
	v_lshl_add_u32 v2, v2, 10, 0x2000
	v_lshlrev_b32_e32 v1, 23, v1
	v_lshlrev_b32_sdwa v3, v3, v8 dst_sel:DWORD dst_unused:UNUSED_PAD src0_sel:DWORD src1_sel:WORD_0
	v_and_or_b32 v2, 0x8000, v3, v2
	v_lshl_or_b32 v83, v2, 16, v1
.LBB323_633:                            ;   in Loop: Header=BB323_11 Depth=1
	s_or_b32 exec_lo, exec_lo, s23
.LBB323_634:                            ;   in Loop: Header=BB323_11 Depth=1
	s_or_b32 exec_lo, exec_lo, s22
.LBB323_635:                            ;   in Loop: Header=BB323_11 Depth=1
	s_or_b32 exec_lo, exec_lo, s21
	v_lshrrev_b32_e32 v8, 16, v31
	v_cmp_ne_u16_sdwa s5, v8, v9 src0_sel:BYTE_0 src1_sel:DWORD
	s_and_saveexec_b32 s21, s5
	s_cbranch_execz .LBB323_643
; %bb.636:                              ;   in Loop: Header=BB323_11 Depth=1
	v_cmp_ne_u16_sdwa s5, v8, v51 src0_sel:BYTE_0 src1_sel:DWORD
	v_mov_b32_e32 v35, 0x8000
	s_and_saveexec_b32 s22, s5
	s_cbranch_execz .LBB323_642
; %bb.637:                              ;   in Loop: Header=BB323_11 Depth=1
	v_bfe_u32 v3, v31, 16, 7
	v_mov_b32_e32 v35, 0x7c01
	s_mov_b32 s23, exec_lo
	v_cmpx_ne_u32_e32 0x7f, v3
	s_cbranch_execz .LBB323_641
; %bb.638:                              ;   in Loop: Header=BB323_11 Depth=1
	v_and_b32_e32 v1, 7, v8
	v_lshrrev_b32_e32 v2, 3, v3
	s_mov_b32 s24, exec_lo
	v_cmpx_gt_u32_e32 8, v3
; %bb.639:                              ;   in Loop: Header=BB323_11 Depth=1
	v_ffbh_u32_e32 v1, v1
	v_min_u32_e32 v3, 32, v1
	v_subrev_nc_u32_e32 v1, 28, v3
	v_lshlrev_b64 v[1:2], v1, v[8:9]
	v_sub_nc_u32_e32 v2, 29, v3
	v_and_b32_e32 v1, 7, v1
; %bb.640:                              ;   in Loop: Header=BB323_11 Depth=1
	s_or_b32 exec_lo, exec_lo, s24
	v_lshlrev_b32_e32 v3, 8, v8
	v_lshl_add_u32 v2, v2, 10, 0x2000
	v_lshlrev_b32_e32 v1, 7, v1
	v_and_b32_e32 v3, 0x8000, v3
	v_and_b32_e32 v2, 0xfc00, v2
	v_or3_b32 v35, v3, v2, v1
.LBB323_641:                            ;   in Loop: Header=BB323_11 Depth=1
	s_or_b32 exec_lo, exec_lo, s23
.LBB323_642:                            ;   in Loop: Header=BB323_11 Depth=1
	s_or_b32 exec_lo, exec_lo, s22
.LBB323_643:                            ;   in Loop: Header=BB323_11 Depth=1
	s_or_b32 exec_lo, exec_lo, s21
	v_mov_b32_e32 v1, 0
	v_mov_b32_e32 v84, 0
	s_mov_b32 s21, exec_lo
	v_cmpx_lt_u64_e64 s[6:7], v[30:31]
	s_cbranch_execz .LBB323_651
; %bb.644:                              ;   in Loop: Header=BB323_11 Depth=1
	v_lshrrev_b32_e32 v8, 24, v31
	v_bfrev_b32_e32 v84, 1
	s_mov_b32 s22, exec_lo
	v_cmpx_ne_u32_e32 0x80, v8
	s_cbranch_execz .LBB323_650
; %bb.645:                              ;   in Loop: Header=BB323_11 Depth=1
	v_and_b32_e32 v4, 0x7f, v8
	v_mov_b32_e32 v84, 0x7c010000
	s_mov_b32 s23, exec_lo
	v_cmpx_ne_u32_e32 0x7f, v4
	s_cbranch_execz .LBB323_649
; %bb.646:                              ;   in Loop: Header=BB323_11 Depth=1
	v_and_b32_e32 v2, 7, v8
	v_lshrrev_b32_e32 v3, 3, v4
	s_mov_b32 s24, exec_lo
	v_cmpx_gt_u32_e32 8, v4
; %bb.647:                              ;   in Loop: Header=BB323_11 Depth=1
	v_ffbh_u32_e32 v2, v2
	v_min_u32_e32 v4, 32, v2
	v_subrev_nc_u32_e32 v2, 28, v4
	v_lshlrev_b64 v[2:3], v2, v[8:9]
	v_sub_nc_u32_e32 v3, 29, v4
	v_and_b32_e32 v2, 7, v2
; %bb.648:                              ;   in Loop: Header=BB323_11 Depth=1
	s_or_b32 exec_lo, exec_lo, s24
	v_lshlrev_b32_e32 v4, 8, v8
	v_lshl_add_u32 v3, v3, 10, 0x2000
	v_lshlrev_b32_e32 v2, 23, v2
	v_and_or_b32 v3, 0x8000, v4, v3
	v_lshl_or_b32 v84, v3, 16, v2
.LBB323_649:                            ;   in Loop: Header=BB323_11 Depth=1
	s_or_b32 exec_lo, exec_lo, s23
.LBB323_650:                            ;   in Loop: Header=BB323_11 Depth=1
	s_or_b32 exec_lo, exec_lo, s22
.LBB323_651:                            ;   in Loop: Header=BB323_11 Depth=1
	s_or_b32 exec_lo, exec_lo, s21
	flat_load_dwordx2 v[30:31], v[28:29] offset:512
	s_waitcnt vmcnt(0) lgkmcnt(0)
	v_cmp_ne_u16_sdwa s5, v30, v9 src0_sel:BYTE_0 src1_sel:DWORD
	s_and_saveexec_b32 s21, s5
	s_cbranch_execz .LBB323_659
; %bb.652:                              ;   in Loop: Header=BB323_11 Depth=1
	v_cmp_ne_u16_sdwa s5, v30, v51 src0_sel:BYTE_0 src1_sel:DWORD
	v_mov_b32_e32 v1, 0x8000
	s_and_saveexec_b32 s22, s5
	s_cbranch_execz .LBB323_658
; %bb.653:                              ;   in Loop: Header=BB323_11 Depth=1
	v_and_b32_e32 v3, 0x7f, v30
	v_mov_b32_e32 v1, 0x7c01
	s_mov_b32 s23, exec_lo
	v_cmpx_ne_u32_e32 0x7f, v3
	s_cbranch_execz .LBB323_657
; %bb.654:                              ;   in Loop: Header=BB323_11 Depth=1
	v_and_b32_e32 v1, 7, v30
	v_lshrrev_b32_e32 v2, 3, v3
	s_mov_b32 s24, exec_lo
	v_cmpx_gt_u32_e32 8, v3
; %bb.655:                              ;   in Loop: Header=BB323_11 Depth=1
	v_ffbh_u32_e32 v1, v1
	v_min_u32_e32 v3, 32, v1
	v_subrev_nc_u32_e32 v1, 28, v3
	v_lshlrev_b64 v[1:2], v1, v[30:31]
	v_sub_nc_u32_e32 v2, 29, v3
	v_and_b32_e32 v1, 7, v1
; %bb.656:                              ;   in Loop: Header=BB323_11 Depth=1
	s_or_b32 exec_lo, exec_lo, s24
	v_lshlrev_b32_e32 v3, 8, v30
	v_lshl_add_u32 v2, v2, 10, 0x2000
	v_lshlrev_b32_e32 v1, 7, v1
	v_and_b32_e32 v3, 0x8000, v3
	v_and_b32_e32 v2, 0xfc00, v2
	v_or3_b32 v1, v3, v2, v1
.LBB323_657:                            ;   in Loop: Header=BB323_11 Depth=1
	s_or_b32 exec_lo, exec_lo, s23
.LBB323_658:                            ;   in Loop: Header=BB323_11 Depth=1
	s_or_b32 exec_lo, exec_lo, s22
.LBB323_659:                            ;   in Loop: Header=BB323_11 Depth=1
	s_or_b32 exec_lo, exec_lo, s21
	v_lshrrev_b16 v8, 8, v30
	v_mov_b32_e32 v3, 0
	v_mov_b32_e32 v2, 0
	s_mov_b32 s21, exec_lo
	v_cmpx_ne_u16_e32 0, v8
	s_cbranch_execz .LBB323_667
; %bb.660:                              ;   in Loop: Header=BB323_11 Depth=1
	v_bfrev_b32_e32 v2, 1
	s_mov_b32 s22, exec_lo
	v_cmpx_ne_u16_e32 0x80, v8
	s_cbranch_execz .LBB323_666
; %bb.661:                              ;   in Loop: Header=BB323_11 Depth=1
	v_mov_b32_e32 v2, 0x7f
	s_mov_b32 s23, exec_lo
	v_and_b32_sdwa v5, v8, v2 dst_sel:DWORD dst_unused:UNUSED_PAD src0_sel:WORD_0 src1_sel:DWORD
	v_mov_b32_e32 v2, 0x7c010000
	v_cmpx_ne_u32_e32 0x7f, v5
	s_cbranch_execz .LBB323_665
; %bb.662:                              ;   in Loop: Header=BB323_11 Depth=1
	v_mov_b32_e32 v2, 7
	v_lshrrev_b32_e32 v4, 3, v5
	s_mov_b32 s24, exec_lo
	v_and_b32_sdwa v2, v8, v2 dst_sel:DWORD dst_unused:UNUSED_PAD src0_sel:WORD_0 src1_sel:DWORD
	v_cmpx_gt_u32_e32 8, v5
; %bb.663:                              ;   in Loop: Header=BB323_11 Depth=1
	v_ffbh_u32_e32 v2, v2
	v_min_u32_e32 v2, 32, v2
	v_subrev_nc_u32_e32 v4, 28, v2
	v_lshlrev_b64 v[16:17], v4, v[8:9]
	v_sub_nc_u32_e32 v4, 29, v2
	v_and_b32_e32 v2, 7, v16
; %bb.664:                              ;   in Loop: Header=BB323_11 Depth=1
	s_or_b32 exec_lo, exec_lo, s24
	v_mov_b32_e32 v5, 8
	v_lshl_add_u32 v4, v4, 10, 0x2000
	v_lshlrev_b32_e32 v2, 23, v2
	v_lshlrev_b32_sdwa v5, v5, v8 dst_sel:DWORD dst_unused:UNUSED_PAD src0_sel:DWORD src1_sel:WORD_0
	v_and_or_b32 v4, 0x8000, v5, v4
	v_lshl_or_b32 v2, v4, 16, v2
.LBB323_665:                            ;   in Loop: Header=BB323_11 Depth=1
	s_or_b32 exec_lo, exec_lo, s23
.LBB323_666:                            ;   in Loop: Header=BB323_11 Depth=1
	s_or_b32 exec_lo, exec_lo, s22
.LBB323_667:                            ;   in Loop: Header=BB323_11 Depth=1
	s_or_b32 exec_lo, exec_lo, s21
	v_lshrrev_b32_e32 v8, 16, v30
	v_cmp_ne_u16_sdwa s5, v8, v9 src0_sel:BYTE_0 src1_sel:DWORD
	s_and_saveexec_b32 s21, s5
	s_cbranch_execz .LBB323_675
; %bb.668:                              ;   in Loop: Header=BB323_11 Depth=1
	v_cmp_ne_u16_sdwa s5, v8, v51 src0_sel:BYTE_0 src1_sel:DWORD
	v_mov_b32_e32 v3, 0x8000
	s_and_saveexec_b32 s22, s5
	s_cbranch_execz .LBB323_674
; %bb.669:                              ;   in Loop: Header=BB323_11 Depth=1
	v_bfe_u32 v5, v30, 16, 7
	v_mov_b32_e32 v3, 0x7c01
	s_mov_b32 s23, exec_lo
	v_cmpx_ne_u32_e32 0x7f, v5
	s_cbranch_execz .LBB323_673
; %bb.670:                              ;   in Loop: Header=BB323_11 Depth=1
	v_and_b32_e32 v3, 7, v8
	v_lshrrev_b32_e32 v4, 3, v5
	s_mov_b32 s24, exec_lo
	v_cmpx_gt_u32_e32 8, v5
; %bb.671:                              ;   in Loop: Header=BB323_11 Depth=1
	v_ffbh_u32_e32 v3, v3
	v_min_u32_e32 v5, 32, v3
	v_subrev_nc_u32_e32 v3, 28, v5
	v_lshlrev_b64 v[3:4], v3, v[8:9]
	v_sub_nc_u32_e32 v4, 29, v5
	v_and_b32_e32 v3, 7, v3
; %bb.672:                              ;   in Loop: Header=BB323_11 Depth=1
	s_or_b32 exec_lo, exec_lo, s24
	v_lshlrev_b32_e32 v5, 8, v8
	v_lshl_add_u32 v4, v4, 10, 0x2000
	v_lshlrev_b32_e32 v3, 7, v3
	v_and_b32_e32 v5, 0x8000, v5
	v_and_b32_e32 v4, 0xfc00, v4
	v_or3_b32 v3, v5, v4, v3
.LBB323_673:                            ;   in Loop: Header=BB323_11 Depth=1
	s_or_b32 exec_lo, exec_lo, s23
.LBB323_674:                            ;   in Loop: Header=BB323_11 Depth=1
	s_or_b32 exec_lo, exec_lo, s22
.LBB323_675:                            ;   in Loop: Header=BB323_11 Depth=1
	s_or_b32 exec_lo, exec_lo, s21
	v_mov_b32_e32 v14, 0
	v_mov_b32_e32 v17, 0
	s_mov_b32 s21, exec_lo
	v_cmpx_lt_u32_e32 0xffffff, v30
	s_cbranch_execz .LBB323_683
; %bb.676:                              ;   in Loop: Header=BB323_11 Depth=1
	v_lshrrev_b32_e32 v8, 24, v30
	v_bfrev_b32_e32 v17, 1
	s_mov_b32 s22, exec_lo
	v_cmpx_ne_u32_e32 0x80, v8
	s_cbranch_execz .LBB323_682
; %bb.677:                              ;   in Loop: Header=BB323_11 Depth=1
	v_and_b32_e32 v10, 0x7f, v8
	v_mov_b32_e32 v17, 0x7c010000
	s_mov_b32 s23, exec_lo
	v_cmpx_ne_u32_e32 0x7f, v10
	s_cbranch_execz .LBB323_681
; %bb.678:                              ;   in Loop: Header=BB323_11 Depth=1
	v_and_b32_e32 v4, 7, v8
	v_lshrrev_b32_e32 v5, 3, v10
	s_mov_b32 s24, exec_lo
	v_cmpx_gt_u32_e32 8, v10
; %bb.679:                              ;   in Loop: Header=BB323_11 Depth=1
	v_ffbh_u32_e32 v4, v4
	v_min_u32_e32 v10, 32, v4
	v_subrev_nc_u32_e32 v4, 28, v10
	v_lshlrev_b64 v[4:5], v4, v[8:9]
	v_sub_nc_u32_e32 v5, 29, v10
	v_and_b32_e32 v4, 7, v4
; %bb.680:                              ;   in Loop: Header=BB323_11 Depth=1
	s_or_b32 exec_lo, exec_lo, s24
	v_lshlrev_b32_e32 v8, 8, v8
	v_lshl_add_u32 v5, v5, 10, 0x2000
	v_lshlrev_b32_e32 v4, 23, v4
	v_and_or_b32 v5, 0x8000, v8, v5
	v_lshl_or_b32 v17, v5, 16, v4
.LBB323_681:                            ;   in Loop: Header=BB323_11 Depth=1
	s_or_b32 exec_lo, exec_lo, s23
.LBB323_682:                            ;   in Loop: Header=BB323_11 Depth=1
	s_or_b32 exec_lo, exec_lo, s22
.LBB323_683:                            ;   in Loop: Header=BB323_11 Depth=1
	s_or_b32 exec_lo, exec_lo, s21
	v_mov_b32_e32 v8, v31
	v_cmp_ne_u16_sdwa s5, v31, v9 src0_sel:BYTE_0 src1_sel:DWORD
	s_and_saveexec_b32 s21, s5
	s_cbranch_execz .LBB323_691
; %bb.684:                              ;   in Loop: Header=BB323_11 Depth=1
	v_cmp_ne_u16_sdwa s5, v31, v51 src0_sel:BYTE_0 src1_sel:DWORD
	v_mov_b32_e32 v14, 0x8000
	s_and_saveexec_b32 s22, s5
	s_cbranch_execz .LBB323_690
; %bb.685:                              ;   in Loop: Header=BB323_11 Depth=1
	v_and_b32_e32 v10, 0x7f, v31
	v_mov_b32_e32 v14, 0x7c01
	s_mov_b32 s23, exec_lo
	v_cmpx_ne_u32_e32 0x7f, v10
	s_cbranch_execz .LBB323_689
; %bb.686:                              ;   in Loop: Header=BB323_11 Depth=1
	v_and_b32_e32 v4, 7, v31
	v_lshrrev_b32_e32 v5, 3, v10
	s_mov_b32 s24, exec_lo
	v_cmpx_gt_u32_e32 8, v10
; %bb.687:                              ;   in Loop: Header=BB323_11 Depth=1
	v_ffbh_u32_e32 v4, v4
	v_min_u32_e32 v10, 32, v4
	v_subrev_nc_u32_e32 v4, 28, v10
	v_lshlrev_b64 v[4:5], v4, v[8:9]
	v_sub_nc_u32_e32 v5, 29, v10
	v_and_b32_e32 v4, 7, v4
; %bb.688:                              ;   in Loop: Header=BB323_11 Depth=1
	s_or_b32 exec_lo, exec_lo, s24
	v_lshlrev_b32_e32 v10, 8, v31
	v_lshl_add_u32 v5, v5, 10, 0x2000
	v_lshlrev_b32_e32 v4, 7, v4
	v_and_b32_e32 v10, 0x8000, v10
	v_and_b32_e32 v5, 0xfc00, v5
	v_or3_b32 v14, v10, v5, v4
.LBB323_689:                            ;   in Loop: Header=BB323_11 Depth=1
	s_or_b32 exec_lo, exec_lo, s23
.LBB323_690:                            ;   in Loop: Header=BB323_11 Depth=1
	s_or_b32 exec_lo, exec_lo, s22
.LBB323_691:                            ;   in Loop: Header=BB323_11 Depth=1
	s_or_b32 exec_lo, exec_lo, s21
	v_lshrrev_b16 v8, 8, v8
	v_mov_b32_e32 v52, 0
	v_mov_b32_e32 v54, 0
	s_mov_b32 s21, exec_lo
	v_cmpx_ne_u16_e32 0, v8
	s_cbranch_execz .LBB323_699
; %bb.692:                              ;   in Loop: Header=BB323_11 Depth=1
	v_bfrev_b32_e32 v54, 1
	s_mov_b32 s22, exec_lo
	v_cmpx_ne_u16_e32 0x80, v8
	s_cbranch_execz .LBB323_698
; %bb.693:                              ;   in Loop: Header=BB323_11 Depth=1
	v_mov_b32_e32 v4, 0x7f
	v_mov_b32_e32 v54, 0x7c010000
	s_mov_b32 s23, exec_lo
	v_and_b32_sdwa v10, v8, v4 dst_sel:DWORD dst_unused:UNUSED_PAD src0_sel:WORD_0 src1_sel:DWORD
	v_cmpx_ne_u32_e32 0x7f, v10
	s_cbranch_execz .LBB323_697
; %bb.694:                              ;   in Loop: Header=BB323_11 Depth=1
	v_mov_b32_e32 v4, 7
	v_lshrrev_b32_e32 v5, 3, v10
	s_mov_b32 s24, exec_lo
	v_and_b32_sdwa v4, v8, v4 dst_sel:DWORD dst_unused:UNUSED_PAD src0_sel:WORD_0 src1_sel:DWORD
	v_cmpx_gt_u32_e32 8, v10
; %bb.695:                              ;   in Loop: Header=BB323_11 Depth=1
	v_ffbh_u32_e32 v4, v4
	v_min_u32_e32 v10, 32, v4
	v_subrev_nc_u32_e32 v4, 28, v10
	v_lshlrev_b64 v[4:5], v4, v[8:9]
	v_sub_nc_u32_e32 v5, 29, v10
	v_and_b32_e32 v4, 7, v4
; %bb.696:                              ;   in Loop: Header=BB323_11 Depth=1
	s_or_b32 exec_lo, exec_lo, s24
	v_mov_b32_e32 v10, 8
	v_lshl_add_u32 v5, v5, 10, 0x2000
	v_lshlrev_b32_e32 v4, 23, v4
	v_lshlrev_b32_sdwa v8, v10, v8 dst_sel:DWORD dst_unused:UNUSED_PAD src0_sel:DWORD src1_sel:WORD_0
	v_and_or_b32 v5, 0x8000, v8, v5
	v_lshl_or_b32 v54, v5, 16, v4
.LBB323_697:                            ;   in Loop: Header=BB323_11 Depth=1
	s_or_b32 exec_lo, exec_lo, s23
.LBB323_698:                            ;   in Loop: Header=BB323_11 Depth=1
	s_or_b32 exec_lo, exec_lo, s22
.LBB323_699:                            ;   in Loop: Header=BB323_11 Depth=1
	s_or_b32 exec_lo, exec_lo, s21
	v_lshrrev_b32_e32 v8, 16, v31
	v_cmp_ne_u16_sdwa s5, v8, v9 src0_sel:BYTE_0 src1_sel:DWORD
	s_and_saveexec_b32 s21, s5
	s_cbranch_execz .LBB323_707
; %bb.700:                              ;   in Loop: Header=BB323_11 Depth=1
	v_cmp_ne_u16_sdwa s5, v8, v51 src0_sel:BYTE_0 src1_sel:DWORD
	v_mov_b32_e32 v52, 0x8000
	s_and_saveexec_b32 s22, s5
	s_cbranch_execz .LBB323_706
; %bb.701:                              ;   in Loop: Header=BB323_11 Depth=1
	v_bfe_u32 v10, v31, 16, 7
	v_mov_b32_e32 v52, 0x7c01
	s_mov_b32 s23, exec_lo
	v_cmpx_ne_u32_e32 0x7f, v10
	s_cbranch_execz .LBB323_705
; %bb.702:                              ;   in Loop: Header=BB323_11 Depth=1
	v_and_b32_e32 v4, 7, v8
	v_lshrrev_b32_e32 v5, 3, v10
	s_mov_b32 s24, exec_lo
	v_cmpx_gt_u32_e32 8, v10
; %bb.703:                              ;   in Loop: Header=BB323_11 Depth=1
	v_ffbh_u32_e32 v4, v4
	v_min_u32_e32 v10, 32, v4
	v_subrev_nc_u32_e32 v4, 28, v10
	v_lshlrev_b64 v[4:5], v4, v[8:9]
	v_sub_nc_u32_e32 v5, 29, v10
	v_and_b32_e32 v4, 7, v4
; %bb.704:                              ;   in Loop: Header=BB323_11 Depth=1
	s_or_b32 exec_lo, exec_lo, s24
	v_lshlrev_b32_e32 v8, 8, v8
	v_lshl_add_u32 v5, v5, 10, 0x2000
	v_lshlrev_b32_e32 v4, 7, v4
	v_and_b32_e32 v8, 0x8000, v8
	v_and_b32_e32 v5, 0xfc00, v5
	v_or3_b32 v52, v8, v5, v4
.LBB323_705:                            ;   in Loop: Header=BB323_11 Depth=1
	s_or_b32 exec_lo, exec_lo, s23
.LBB323_706:                            ;   in Loop: Header=BB323_11 Depth=1
	s_or_b32 exec_lo, exec_lo, s22
.LBB323_707:                            ;   in Loop: Header=BB323_11 Depth=1
	s_or_b32 exec_lo, exec_lo, s21
	v_mov_b32_e32 v4, 0
	v_mov_b32_e32 v86, 0
	s_mov_b32 s21, exec_lo
	v_cmpx_lt_u64_e64 s[6:7], v[30:31]
	s_cbranch_execz .LBB323_715
; %bb.708:                              ;   in Loop: Header=BB323_11 Depth=1
	v_lshrrev_b32_e32 v8, 24, v31
	v_bfrev_b32_e32 v86, 1
	s_mov_b32 s22, exec_lo
	v_cmpx_ne_u32_e32 0x80, v8
	s_cbranch_execz .LBB323_714
; %bb.709:                              ;   in Loop: Header=BB323_11 Depth=1
	v_and_b32_e32 v16, 0x7f, v8
	v_mov_b32_e32 v86, 0x7c010000
	s_mov_b32 s23, exec_lo
	v_cmpx_ne_u32_e32 0x7f, v16
	s_cbranch_execz .LBB323_713
; %bb.710:                              ;   in Loop: Header=BB323_11 Depth=1
	v_and_b32_e32 v5, 7, v8
	v_lshrrev_b32_e32 v10, 3, v16
	s_mov_b32 s24, exec_lo
	v_cmpx_gt_u32_e32 8, v16
; %bb.711:                              ;   in Loop: Header=BB323_11 Depth=1
	v_ffbh_u32_e32 v5, v5
	v_min_u32_e32 v5, 32, v5
	v_subrev_nc_u32_e32 v10, 28, v5
	v_lshlrev_b64 v[30:31], v10, v[8:9]
	v_sub_nc_u32_e32 v10, 29, v5
	v_and_b32_e32 v5, 7, v30
; %bb.712:                              ;   in Loop: Header=BB323_11 Depth=1
	s_or_b32 exec_lo, exec_lo, s24
	v_lshlrev_b32_e32 v8, 8, v8
	v_lshl_add_u32 v10, v10, 10, 0x2000
	v_lshlrev_b32_e32 v5, 23, v5
	v_and_or_b32 v8, 0x8000, v8, v10
	v_lshl_or_b32 v86, v8, 16, v5
.LBB323_713:                            ;   in Loop: Header=BB323_11 Depth=1
	s_or_b32 exec_lo, exec_lo, s23
.LBB323_714:                            ;   in Loop: Header=BB323_11 Depth=1
	s_or_b32 exec_lo, exec_lo, s22
.LBB323_715:                            ;   in Loop: Header=BB323_11 Depth=1
	s_or_b32 exec_lo, exec_lo, s21
	flat_load_dwordx2 v[30:31], v[28:29] offset:520
	s_waitcnt vmcnt(0) lgkmcnt(0)
	v_cmp_ne_u16_sdwa s5, v30, v9 src0_sel:BYTE_0 src1_sel:DWORD
	s_and_saveexec_b32 s21, s5
	s_cbranch_execz .LBB323_723
; %bb.716:                              ;   in Loop: Header=BB323_11 Depth=1
	v_cmp_ne_u16_sdwa s5, v30, v51 src0_sel:BYTE_0 src1_sel:DWORD
	v_mov_b32_e32 v4, 0x8000
	s_and_saveexec_b32 s22, s5
	s_cbranch_execz .LBB323_722
; %bb.717:                              ;   in Loop: Header=BB323_11 Depth=1
	v_and_b32_e32 v8, 0x7f, v30
	v_mov_b32_e32 v4, 0x7c01
	s_mov_b32 s23, exec_lo
	v_cmpx_ne_u32_e32 0x7f, v8
	s_cbranch_execz .LBB323_721
; %bb.718:                              ;   in Loop: Header=BB323_11 Depth=1
	v_and_b32_e32 v4, 7, v30
	v_lshrrev_b32_e32 v5, 3, v8
	s_mov_b32 s24, exec_lo
	v_cmpx_gt_u32_e32 8, v8
; %bb.719:                              ;   in Loop: Header=BB323_11 Depth=1
	v_ffbh_u32_e32 v4, v4
	v_min_u32_e32 v8, 32, v4
	v_subrev_nc_u32_e32 v4, 28, v8
	v_lshlrev_b64 v[4:5], v4, v[30:31]
	v_sub_nc_u32_e32 v5, 29, v8
	v_and_b32_e32 v4, 7, v4
; %bb.720:                              ;   in Loop: Header=BB323_11 Depth=1
	s_or_b32 exec_lo, exec_lo, s24
	v_lshlrev_b32_e32 v8, 8, v30
	v_lshl_add_u32 v5, v5, 10, 0x2000
	v_lshlrev_b32_e32 v4, 7, v4
	v_and_b32_e32 v8, 0x8000, v8
	v_and_b32_e32 v5, 0xfc00, v5
	v_or3_b32 v4, v8, v5, v4
.LBB323_721:                            ;   in Loop: Header=BB323_11 Depth=1
	s_or_b32 exec_lo, exec_lo, s23
.LBB323_722:                            ;   in Loop: Header=BB323_11 Depth=1
	s_or_b32 exec_lo, exec_lo, s22
.LBB323_723:                            ;   in Loop: Header=BB323_11 Depth=1
	s_or_b32 exec_lo, exec_lo, s21
	v_lshrrev_b16 v8, 8, v30
	v_mov_b32_e32 v10, 0
	v_mov_b32_e32 v5, 0
	s_mov_b32 s21, exec_lo
	v_cmpx_ne_u16_e32 0, v8
	s_cbranch_execz .LBB323_731
; %bb.724:                              ;   in Loop: Header=BB323_11 Depth=1
	v_bfrev_b32_e32 v5, 1
	s_mov_b32 s22, exec_lo
	v_cmpx_ne_u16_e32 0x80, v8
	s_cbranch_execz .LBB323_730
; %bb.725:                              ;   in Loop: Header=BB323_11 Depth=1
	v_mov_b32_e32 v5, 0x7f
	s_mov_b32 s23, exec_lo
	v_and_b32_sdwa v18, v8, v5 dst_sel:DWORD dst_unused:UNUSED_PAD src0_sel:WORD_0 src1_sel:DWORD
	v_mov_b32_e32 v5, 0x7c010000
	v_cmpx_ne_u32_e32 0x7f, v18
	s_cbranch_execz .LBB323_729
; %bb.726:                              ;   in Loop: Header=BB323_11 Depth=1
	v_mov_b32_e32 v5, 7
	v_lshrrev_b32_e32 v16, 3, v18
	s_mov_b32 s24, exec_lo
	v_and_b32_sdwa v5, v8, v5 dst_sel:DWORD dst_unused:UNUSED_PAD src0_sel:WORD_0 src1_sel:DWORD
	v_cmpx_gt_u32_e32 8, v18
; %bb.727:                              ;   in Loop: Header=BB323_11 Depth=1
	v_ffbh_u32_e32 v5, v5
	v_min_u32_e32 v5, 32, v5
	v_subrev_nc_u32_e32 v16, 28, v5
	v_lshlrev_b64 v[66:67], v16, v[8:9]
	v_sub_nc_u32_e32 v16, 29, v5
	v_and_b32_e32 v5, 7, v66
; %bb.728:                              ;   in Loop: Header=BB323_11 Depth=1
	s_or_b32 exec_lo, exec_lo, s24
	v_mov_b32_e32 v18, 8
	v_lshl_add_u32 v16, v16, 10, 0x2000
	v_lshlrev_b32_e32 v5, 23, v5
	v_lshlrev_b32_sdwa v8, v18, v8 dst_sel:DWORD dst_unused:UNUSED_PAD src0_sel:DWORD src1_sel:WORD_0
	v_and_or_b32 v8, 0x8000, v8, v16
	v_lshl_or_b32 v5, v8, 16, v5
.LBB323_729:                            ;   in Loop: Header=BB323_11 Depth=1
	s_or_b32 exec_lo, exec_lo, s23
.LBB323_730:                            ;   in Loop: Header=BB323_11 Depth=1
	s_or_b32 exec_lo, exec_lo, s22
.LBB323_731:                            ;   in Loop: Header=BB323_11 Depth=1
	s_or_b32 exec_lo, exec_lo, s21
	v_lshrrev_b32_e32 v8, 16, v30
	v_cmp_ne_u16_sdwa s5, v8, v9 src0_sel:BYTE_0 src1_sel:DWORD
	s_and_saveexec_b32 s21, s5
	s_cbranch_execz .LBB323_739
; %bb.732:                              ;   in Loop: Header=BB323_11 Depth=1
	v_cmp_ne_u16_sdwa s5, v8, v51 src0_sel:BYTE_0 src1_sel:DWORD
	v_mov_b32_e32 v10, 0x8000
	s_and_saveexec_b32 s22, s5
	s_cbranch_execz .LBB323_738
; %bb.733:                              ;   in Loop: Header=BB323_11 Depth=1
	v_bfe_u32 v18, v30, 16, 7
	v_mov_b32_e32 v10, 0x7c01
	s_mov_b32 s23, exec_lo
	v_cmpx_ne_u32_e32 0x7f, v18
	s_cbranch_execz .LBB323_737
; %bb.734:                              ;   in Loop: Header=BB323_11 Depth=1
	v_and_b32_e32 v10, 7, v8
	v_lshrrev_b32_e32 v16, 3, v18
	s_mov_b32 s24, exec_lo
	v_cmpx_gt_u32_e32 8, v18
; %bb.735:                              ;   in Loop: Header=BB323_11 Depth=1
	v_ffbh_u32_e32 v10, v10
	v_min_u32_e32 v10, 32, v10
	v_subrev_nc_u32_e32 v16, 28, v10
	v_lshlrev_b64 v[66:67], v16, v[8:9]
	v_sub_nc_u32_e32 v16, 29, v10
	v_and_b32_e32 v10, 7, v66
; %bb.736:                              ;   in Loop: Header=BB323_11 Depth=1
	s_or_b32 exec_lo, exec_lo, s24
	v_lshlrev_b32_e32 v8, 8, v8
	v_lshl_add_u32 v16, v16, 10, 0x2000
	v_lshlrev_b32_e32 v10, 7, v10
	v_and_b32_e32 v8, 0x8000, v8
	v_and_b32_e32 v16, 0xfc00, v16
	v_or3_b32 v10, v8, v16, v10
.LBB323_737:                            ;   in Loop: Header=BB323_11 Depth=1
	s_or_b32 exec_lo, exec_lo, s23
.LBB323_738:                            ;   in Loop: Header=BB323_11 Depth=1
	s_or_b32 exec_lo, exec_lo, s22
.LBB323_739:                            ;   in Loop: Header=BB323_11 Depth=1
	s_or_b32 exec_lo, exec_lo, s21
	v_mov_b32_e32 v18, 0
	v_mov_b32_e32 v16, 0
	s_mov_b32 s21, exec_lo
	v_cmpx_lt_u32_e32 0xffffff, v30
	s_cbranch_execz .LBB323_747
; %bb.740:                              ;   in Loop: Header=BB323_11 Depth=1
	v_lshrrev_b32_e32 v8, 24, v30
	v_bfrev_b32_e32 v16, 1
	s_mov_b32 s22, exec_lo
	v_cmpx_ne_u32_e32 0x80, v8
	s_cbranch_execz .LBB323_746
; %bb.741:                              ;   in Loop: Header=BB323_11 Depth=1
	v_and_b32_e32 v32, 0x7f, v8
	v_mov_b32_e32 v16, 0x7c010000
	s_mov_b32 s23, exec_lo
	v_cmpx_ne_u32_e32 0x7f, v32
	s_cbranch_execz .LBB323_745
; %bb.742:                              ;   in Loop: Header=BB323_11 Depth=1
	v_and_b32_e32 v16, 7, v8
	v_lshrrev_b32_e32 v23, 3, v32
	s_mov_b32 s24, exec_lo
	v_cmpx_gt_u32_e32 8, v32
; %bb.743:                              ;   in Loop: Header=BB323_11 Depth=1
	v_ffbh_u32_e32 v16, v16
	v_min_u32_e32 v16, 32, v16
	v_subrev_nc_u32_e32 v23, 28, v16
	v_lshlrev_b64 v[66:67], v23, v[8:9]
	v_sub_nc_u32_e32 v23, 29, v16
	v_and_b32_e32 v16, 7, v66
; %bb.744:                              ;   in Loop: Header=BB323_11 Depth=1
	s_or_b32 exec_lo, exec_lo, s24
	v_lshlrev_b32_e32 v8, 8, v8
	v_lshl_add_u32 v23, v23, 10, 0x2000
	v_lshlrev_b32_e32 v16, 23, v16
	v_and_or_b32 v8, 0x8000, v8, v23
	v_lshl_or_b32 v16, v8, 16, v16
.LBB323_745:                            ;   in Loop: Header=BB323_11 Depth=1
	s_or_b32 exec_lo, exec_lo, s23
.LBB323_746:                            ;   in Loop: Header=BB323_11 Depth=1
	s_or_b32 exec_lo, exec_lo, s22
.LBB323_747:                            ;   in Loop: Header=BB323_11 Depth=1
	s_or_b32 exec_lo, exec_lo, s21
	v_mov_b32_e32 v8, v31
	v_cmp_ne_u16_sdwa s5, v31, v9 src0_sel:BYTE_0 src1_sel:DWORD
	s_and_saveexec_b32 s21, s5
	s_cbranch_execz .LBB323_755
; %bb.748:                              ;   in Loop: Header=BB323_11 Depth=1
	v_cmp_ne_u16_sdwa s5, v31, v51 src0_sel:BYTE_0 src1_sel:DWORD
	v_mov_b32_e32 v18, 0x8000
	s_and_saveexec_b32 s22, s5
	s_cbranch_execz .LBB323_754
; %bb.749:                              ;   in Loop: Header=BB323_11 Depth=1
	v_and_b32_e32 v32, 0x7f, v31
	v_mov_b32_e32 v18, 0x7c01
	s_mov_b32 s23, exec_lo
	v_cmpx_ne_u32_e32 0x7f, v32
	s_cbranch_execz .LBB323_753
; %bb.750:                              ;   in Loop: Header=BB323_11 Depth=1
	v_and_b32_e32 v18, 7, v31
	v_lshrrev_b32_e32 v23, 3, v32
	s_mov_b32 s24, exec_lo
	v_cmpx_gt_u32_e32 8, v32
; %bb.751:                              ;   in Loop: Header=BB323_11 Depth=1
	v_ffbh_u32_e32 v18, v18
	v_min_u32_e32 v18, 32, v18
	v_subrev_nc_u32_e32 v23, 28, v18
	v_lshlrev_b64 v[66:67], v23, v[8:9]
	v_sub_nc_u32_e32 v23, 29, v18
	v_and_b32_e32 v18, 7, v66
; %bb.752:                              ;   in Loop: Header=BB323_11 Depth=1
	s_or_b32 exec_lo, exec_lo, s24
	v_lshlrev_b32_e32 v32, 8, v31
	v_lshl_add_u32 v23, v23, 10, 0x2000
	v_lshlrev_b32_e32 v18, 7, v18
	v_and_b32_e32 v32, 0x8000, v32
	v_and_b32_e32 v23, 0xfc00, v23
	v_or3_b32 v18, v32, v23, v18
.LBB323_753:                            ;   in Loop: Header=BB323_11 Depth=1
	s_or_b32 exec_lo, exec_lo, s23
.LBB323_754:                            ;   in Loop: Header=BB323_11 Depth=1
	s_or_b32 exec_lo, exec_lo, s22
.LBB323_755:                            ;   in Loop: Header=BB323_11 Depth=1
	s_or_b32 exec_lo, exec_lo, s21
	v_lshrrev_b16 v8, 8, v8
	v_mov_b32_e32 v32, 0
	v_mov_b32_e32 v39, 0
	s_mov_b32 s21, exec_lo
	v_cmpx_ne_u16_e32 0, v8
	s_cbranch_execz .LBB323_763
; %bb.756:                              ;   in Loop: Header=BB323_11 Depth=1
	v_bfrev_b32_e32 v39, 1
	s_mov_b32 s22, exec_lo
	v_cmpx_ne_u16_e32 0x80, v8
	s_cbranch_execz .LBB323_762
; %bb.757:                              ;   in Loop: Header=BB323_11 Depth=1
	v_mov_b32_e32 v23, 0x7f
	v_mov_b32_e32 v39, 0x7c010000
	s_mov_b32 s23, exec_lo
	v_and_b32_sdwa v49, v8, v23 dst_sel:DWORD dst_unused:UNUSED_PAD src0_sel:WORD_0 src1_sel:DWORD
	v_cmpx_ne_u32_e32 0x7f, v49
	s_cbranch_execz .LBB323_761
; %bb.758:                              ;   in Loop: Header=BB323_11 Depth=1
	v_mov_b32_e32 v23, 7
	v_lshrrev_b32_e32 v37, 3, v49
	s_mov_b32 s24, exec_lo
	v_and_b32_sdwa v23, v8, v23 dst_sel:DWORD dst_unused:UNUSED_PAD src0_sel:WORD_0 src1_sel:DWORD
	v_cmpx_gt_u32_e32 8, v49
; %bb.759:                              ;   in Loop: Header=BB323_11 Depth=1
	v_ffbh_u32_e32 v23, v23
	v_min_u32_e32 v23, 32, v23
	v_subrev_nc_u32_e32 v37, 28, v23
	v_lshlrev_b64 v[66:67], v37, v[8:9]
	v_sub_nc_u32_e32 v37, 29, v23
	v_and_b32_e32 v23, 7, v66
; %bb.760:                              ;   in Loop: Header=BB323_11 Depth=1
	s_or_b32 exec_lo, exec_lo, s24
	v_mov_b32_e32 v39, 8
	v_lshl_add_u32 v37, v37, 10, 0x2000
	v_lshlrev_b32_e32 v23, 23, v23
	v_lshlrev_b32_sdwa v8, v39, v8 dst_sel:DWORD dst_unused:UNUSED_PAD src0_sel:DWORD src1_sel:WORD_0
	v_and_or_b32 v8, 0x8000, v8, v37
	v_lshl_or_b32 v39, v8, 16, v23
.LBB323_761:                            ;   in Loop: Header=BB323_11 Depth=1
	s_or_b32 exec_lo, exec_lo, s23
.LBB323_762:                            ;   in Loop: Header=BB323_11 Depth=1
	s_or_b32 exec_lo, exec_lo, s22
.LBB323_763:                            ;   in Loop: Header=BB323_11 Depth=1
	s_or_b32 exec_lo, exec_lo, s21
	v_lshrrev_b32_e32 v8, 16, v31
	v_cmp_ne_u16_sdwa s5, v8, v9 src0_sel:BYTE_0 src1_sel:DWORD
	s_and_saveexec_b32 s21, s5
	s_cbranch_execz .LBB323_771
; %bb.764:                              ;   in Loop: Header=BB323_11 Depth=1
	v_cmp_ne_u16_sdwa s5, v8, v51 src0_sel:BYTE_0 src1_sel:DWORD
	v_mov_b32_e32 v32, 0x8000
	s_and_saveexec_b32 s22, s5
	s_cbranch_execz .LBB323_770
; %bb.765:                              ;   in Loop: Header=BB323_11 Depth=1
	v_bfe_u32 v37, v31, 16, 7
	v_mov_b32_e32 v32, 0x7c01
	s_mov_b32 s23, exec_lo
	v_cmpx_ne_u32_e32 0x7f, v37
	s_cbranch_execz .LBB323_769
; %bb.766:                              ;   in Loop: Header=BB323_11 Depth=1
	v_and_b32_e32 v23, 7, v8
	v_lshrrev_b32_e32 v32, 3, v37
	s_mov_b32 s24, exec_lo
	v_cmpx_gt_u32_e32 8, v37
; %bb.767:                              ;   in Loop: Header=BB323_11 Depth=1
	v_ffbh_u32_e32 v23, v23
	v_min_u32_e32 v23, 32, v23
	v_subrev_nc_u32_e32 v32, 28, v23
	v_lshlrev_b64 v[66:67], v32, v[8:9]
	v_sub_nc_u32_e32 v32, 29, v23
	v_and_b32_e32 v23, 7, v66
; %bb.768:                              ;   in Loop: Header=BB323_11 Depth=1
	s_or_b32 exec_lo, exec_lo, s24
	v_lshlrev_b32_e32 v8, 8, v8
	v_lshl_add_u32 v32, v32, 10, 0x2000
	v_lshlrev_b32_e32 v23, 7, v23
	v_and_b32_e32 v8, 0x8000, v8
	v_and_b32_e32 v32, 0xfc00, v32
	v_or3_b32 v32, v8, v32, v23
.LBB323_769:                            ;   in Loop: Header=BB323_11 Depth=1
	s_or_b32 exec_lo, exec_lo, s23
.LBB323_770:                            ;   in Loop: Header=BB323_11 Depth=1
	s_or_b32 exec_lo, exec_lo, s22
.LBB323_771:                            ;   in Loop: Header=BB323_11 Depth=1
	s_or_b32 exec_lo, exec_lo, s21
	v_mov_b32_e32 v23, 0
	v_mov_b32_e32 v97, 0
	s_mov_b32 s21, exec_lo
	v_cmpx_lt_u64_e64 s[6:7], v[30:31]
	s_cbranch_execz .LBB323_779
; %bb.772:                              ;   in Loop: Header=BB323_11 Depth=1
	v_lshrrev_b32_e32 v8, 24, v31
	v_bfrev_b32_e32 v97, 1
	s_mov_b32 s22, exec_lo
	v_cmpx_ne_u32_e32 0x80, v8
	s_cbranch_execz .LBB323_778
; %bb.773:                              ;   in Loop: Header=BB323_11 Depth=1
	v_and_b32_e32 v37, 0x7f, v8
	v_mov_b32_e32 v97, 0x7c010000
	s_mov_b32 s23, exec_lo
	v_cmpx_ne_u32_e32 0x7f, v37
	s_cbranch_execz .LBB323_777
; %bb.774:                              ;   in Loop: Header=BB323_11 Depth=1
	v_and_b32_e32 v30, 7, v8
	v_lshrrev_b32_e32 v31, 3, v37
	s_mov_b32 s24, exec_lo
	v_cmpx_gt_u32_e32 8, v37
; %bb.775:                              ;   in Loop: Header=BB323_11 Depth=1
	v_ffbh_u32_e32 v30, v30
	v_min_u32_e32 v37, 32, v30
	v_subrev_nc_u32_e32 v30, 28, v37
	v_lshlrev_b64 v[30:31], v30, v[8:9]
	v_sub_nc_u32_e32 v31, 29, v37
	v_and_b32_e32 v30, 7, v30
; %bb.776:                              ;   in Loop: Header=BB323_11 Depth=1
	s_or_b32 exec_lo, exec_lo, s24
	v_lshlrev_b32_e32 v8, 8, v8
	v_lshl_add_u32 v31, v31, 10, 0x2000
	v_lshlrev_b32_e32 v30, 23, v30
	v_and_or_b32 v8, 0x8000, v8, v31
	v_lshl_or_b32 v97, v8, 16, v30
.LBB323_777:                            ;   in Loop: Header=BB323_11 Depth=1
	s_or_b32 exec_lo, exec_lo, s23
.LBB323_778:                            ;   in Loop: Header=BB323_11 Depth=1
	s_or_b32 exec_lo, exec_lo, s22
.LBB323_779:                            ;   in Loop: Header=BB323_11 Depth=1
	s_or_b32 exec_lo, exec_lo, s21
	flat_load_dwordx2 v[30:31], v[28:29] offset:1024
	s_waitcnt vmcnt(0) lgkmcnt(0)
	v_cmp_ne_u16_sdwa s5, v30, v9 src0_sel:BYTE_0 src1_sel:DWORD
	s_and_saveexec_b32 s21, s5
	s_cbranch_execz .LBB323_787
; %bb.780:                              ;   in Loop: Header=BB323_11 Depth=1
	v_cmp_ne_u16_sdwa s5, v30, v51 src0_sel:BYTE_0 src1_sel:DWORD
	v_mov_b32_e32 v23, 0x8000
	s_and_saveexec_b32 s22, s5
	s_cbranch_execz .LBB323_786
; %bb.781:                              ;   in Loop: Header=BB323_11 Depth=1
	v_and_b32_e32 v37, 0x7f, v30
	v_mov_b32_e32 v23, 0x7c01
	s_mov_b32 s23, exec_lo
	v_cmpx_ne_u32_e32 0x7f, v37
	s_cbranch_execz .LBB323_785
; %bb.782:                              ;   in Loop: Header=BB323_11 Depth=1
	v_and_b32_e32 v8, 7, v30
	v_lshrrev_b32_e32 v23, 3, v37
	s_mov_b32 s24, exec_lo
	v_cmpx_gt_u32_e32 8, v37
; %bb.783:                              ;   in Loop: Header=BB323_11 Depth=1
	v_ffbh_u32_e32 v8, v8
	v_min_u32_e32 v8, 32, v8
	v_subrev_nc_u32_e32 v23, 28, v8
	v_lshlrev_b64 v[66:67], v23, v[30:31]
	v_sub_nc_u32_e32 v23, 29, v8
	v_and_b32_e32 v8, 7, v66
; %bb.784:                              ;   in Loop: Header=BB323_11 Depth=1
	s_or_b32 exec_lo, exec_lo, s24
	v_lshlrev_b32_e32 v37, 8, v30
	v_lshl_add_u32 v23, v23, 10, 0x2000
	v_lshlrev_b32_e32 v8, 7, v8
	v_and_b32_e32 v37, 0x8000, v37
	v_and_b32_e32 v23, 0xfc00, v23
	v_or3_b32 v23, v37, v23, v8
.LBB323_785:                            ;   in Loop: Header=BB323_11 Depth=1
	s_or_b32 exec_lo, exec_lo, s23
.LBB323_786:                            ;   in Loop: Header=BB323_11 Depth=1
	s_or_b32 exec_lo, exec_lo, s22
.LBB323_787:                            ;   in Loop: Header=BB323_11 Depth=1
	s_or_b32 exec_lo, exec_lo, s21
	v_lshrrev_b16 v8, 8, v30
	v_mov_b32_e32 v104, 0
	v_mov_b32_e32 v37, 0
	s_mov_b32 s21, exec_lo
	v_cmpx_ne_u16_e32 0, v8
	s_cbranch_execz .LBB323_795
; %bb.788:                              ;   in Loop: Header=BB323_11 Depth=1
	v_bfrev_b32_e32 v37, 1
	s_mov_b32 s22, exec_lo
	v_cmpx_ne_u16_e32 0x80, v8
	s_cbranch_execz .LBB323_794
; %bb.789:                              ;   in Loop: Header=BB323_11 Depth=1
	v_mov_b32_e32 v37, 0x7f
	s_mov_b32 s23, exec_lo
	v_and_b32_sdwa v55, v8, v37 dst_sel:DWORD dst_unused:UNUSED_PAD src0_sel:WORD_0 src1_sel:DWORD
	v_mov_b32_e32 v37, 0x7c010000
	v_cmpx_ne_u32_e32 0x7f, v55
	s_cbranch_execz .LBB323_793
; %bb.790:                              ;   in Loop: Header=BB323_11 Depth=1
	v_mov_b32_e32 v37, 7
	v_lshrrev_b32_e32 v49, 3, v55
	s_mov_b32 s24, exec_lo
	v_and_b32_sdwa v37, v8, v37 dst_sel:DWORD dst_unused:UNUSED_PAD src0_sel:WORD_0 src1_sel:DWORD
	v_cmpx_gt_u32_e32 8, v55
; %bb.791:                              ;   in Loop: Header=BB323_11 Depth=1
	v_ffbh_u32_e32 v37, v37
	v_min_u32_e32 v37, 32, v37
	v_subrev_nc_u32_e32 v49, 28, v37
	v_lshlrev_b64 v[66:67], v49, v[8:9]
	v_sub_nc_u32_e32 v49, 29, v37
	v_and_b32_e32 v37, 7, v66
; %bb.792:                              ;   in Loop: Header=BB323_11 Depth=1
	s_or_b32 exec_lo, exec_lo, s24
	v_mov_b32_e32 v50, 8
	v_lshl_add_u32 v49, v49, 10, 0x2000
	v_lshlrev_b32_e32 v37, 23, v37
	v_lshlrev_b32_sdwa v8, v50, v8 dst_sel:DWORD dst_unused:UNUSED_PAD src0_sel:DWORD src1_sel:WORD_0
	v_and_or_b32 v8, 0x8000, v8, v49
	v_lshl_or_b32 v37, v8, 16, v37
.LBB323_793:                            ;   in Loop: Header=BB323_11 Depth=1
	s_or_b32 exec_lo, exec_lo, s23
.LBB323_794:                            ;   in Loop: Header=BB323_11 Depth=1
	s_or_b32 exec_lo, exec_lo, s22
.LBB323_795:                            ;   in Loop: Header=BB323_11 Depth=1
	s_or_b32 exec_lo, exec_lo, s21
	v_lshrrev_b32_e32 v8, 16, v30
	v_cmp_ne_u16_sdwa s5, v8, v9 src0_sel:BYTE_0 src1_sel:DWORD
	s_and_saveexec_b32 s21, s5
	s_cbranch_execz .LBB323_803
; %bb.796:                              ;   in Loop: Header=BB323_11 Depth=1
	v_cmp_ne_u16_sdwa s5, v8, v51 src0_sel:BYTE_0 src1_sel:DWORD
	v_mov_b32_e32 v104, 0x8000
	s_and_saveexec_b32 s22, s5
	s_cbranch_execz .LBB323_802
; %bb.797:                              ;   in Loop: Header=BB323_11 Depth=1
	v_bfe_u32 v66, v30, 16, 7
	v_mov_b32_e32 v104, 0x7c01
	s_mov_b32 s23, exec_lo
	v_cmpx_ne_u32_e32 0x7f, v66
	s_cbranch_execz .LBB323_801
; %bb.798:                              ;   in Loop: Header=BB323_11 Depth=1
	v_and_b32_e32 v49, 7, v8
	v_lshrrev_b32_e32 v55, 3, v66
	s_mov_b32 s24, exec_lo
	v_cmpx_gt_u32_e32 8, v66
; %bb.799:                              ;   in Loop: Header=BB323_11 Depth=1
	v_ffbh_u32_e32 v49, v49
	v_min_u32_e32 v49, 32, v49
	v_subrev_nc_u32_e32 v50, 28, v49
	v_sub_nc_u32_e32 v55, 29, v49
	v_lshlrev_b64 v[66:67], v50, v[8:9]
	v_and_b32_e32 v49, 7, v66
; %bb.800:                              ;   in Loop: Header=BB323_11 Depth=1
	s_or_b32 exec_lo, exec_lo, s24
	v_lshlrev_b32_e32 v8, 8, v8
	v_lshl_add_u32 v50, v55, 10, 0x2000
	v_lshlrev_b32_e32 v49, 7, v49
	v_and_b32_e32 v8, 0x8000, v8
	v_and_b32_e32 v50, 0xfc00, v50
	v_or3_b32 v104, v8, v50, v49
.LBB323_801:                            ;   in Loop: Header=BB323_11 Depth=1
	s_or_b32 exec_lo, exec_lo, s23
.LBB323_802:                            ;   in Loop: Header=BB323_11 Depth=1
	s_or_b32 exec_lo, exec_lo, s22
.LBB323_803:                            ;   in Loop: Header=BB323_11 Depth=1
	s_or_b32 exec_lo, exec_lo, s21
	v_mov_b32_e32 v105, 0
	v_mov_b32_e32 v110, 0
	s_mov_b32 s21, exec_lo
	v_cmpx_lt_u32_e32 0xffffff, v30
	s_cbranch_execz .LBB323_811
; %bb.804:                              ;   in Loop: Header=BB323_11 Depth=1
	v_lshrrev_b32_e32 v8, 24, v30
	v_bfrev_b32_e32 v110, 1
	s_mov_b32 s22, exec_lo
	v_cmpx_ne_u32_e32 0x80, v8
	s_cbranch_execz .LBB323_810
; %bb.805:                              ;   in Loop: Header=BB323_11 Depth=1
	v_and_b32_e32 v66, 0x7f, v8
	v_mov_b32_e32 v110, 0x7c010000
	s_mov_b32 s23, exec_lo
	v_cmpx_ne_u32_e32 0x7f, v66
	s_cbranch_execz .LBB323_809
; %bb.806:                              ;   in Loop: Header=BB323_11 Depth=1
	v_and_b32_e32 v49, 7, v8
	v_lshrrev_b32_e32 v55, 3, v66
	s_mov_b32 s24, exec_lo
	v_cmpx_gt_u32_e32 8, v66
; %bb.807:                              ;   in Loop: Header=BB323_11 Depth=1
	v_ffbh_u32_e32 v49, v49
	v_min_u32_e32 v49, 32, v49
	v_subrev_nc_u32_e32 v50, 28, v49
	v_sub_nc_u32_e32 v55, 29, v49
	v_lshlrev_b64 v[66:67], v50, v[8:9]
	v_and_b32_e32 v49, 7, v66
; %bb.808:                              ;   in Loop: Header=BB323_11 Depth=1
	s_or_b32 exec_lo, exec_lo, s24
	v_lshlrev_b32_e32 v8, 8, v8
	v_lshl_add_u32 v50, v55, 10, 0x2000
	v_lshlrev_b32_e32 v49, 23, v49
	v_and_or_b32 v8, 0x8000, v8, v50
	v_lshl_or_b32 v110, v8, 16, v49
.LBB323_809:                            ;   in Loop: Header=BB323_11 Depth=1
	s_or_b32 exec_lo, exec_lo, s23
.LBB323_810:                            ;   in Loop: Header=BB323_11 Depth=1
	s_or_b32 exec_lo, exec_lo, s22
.LBB323_811:                            ;   in Loop: Header=BB323_11 Depth=1
	s_or_b32 exec_lo, exec_lo, s21
	v_mov_b32_e32 v8, v31
	v_cmp_ne_u16_sdwa s5, v31, v9 src0_sel:BYTE_0 src1_sel:DWORD
	s_and_saveexec_b32 s21, s5
	s_cbranch_execz .LBB323_819
; %bb.812:                              ;   in Loop: Header=BB323_11 Depth=1
	v_cmp_ne_u16_sdwa s5, v31, v51 src0_sel:BYTE_0 src1_sel:DWORD
	v_mov_b32_e32 v105, 0x8000
	s_and_saveexec_b32 s22, s5
	s_cbranch_execz .LBB323_818
; %bb.813:                              ;   in Loop: Header=BB323_11 Depth=1
	v_and_b32_e32 v66, 0x7f, v31
	v_mov_b32_e32 v105, 0x7c01
	s_mov_b32 s23, exec_lo
	v_cmpx_ne_u32_e32 0x7f, v66
	s_cbranch_execz .LBB323_817
; %bb.814:                              ;   in Loop: Header=BB323_11 Depth=1
	v_and_b32_e32 v49, 7, v31
	v_lshrrev_b32_e32 v55, 3, v66
	s_mov_b32 s24, exec_lo
	v_cmpx_gt_u32_e32 8, v66
; %bb.815:                              ;   in Loop: Header=BB323_11 Depth=1
	v_ffbh_u32_e32 v49, v49
	v_min_u32_e32 v49, 32, v49
	v_subrev_nc_u32_e32 v50, 28, v49
	v_sub_nc_u32_e32 v55, 29, v49
	v_lshlrev_b64 v[66:67], v50, v[8:9]
	v_and_b32_e32 v49, 7, v66
; %bb.816:                              ;   in Loop: Header=BB323_11 Depth=1
	s_or_b32 exec_lo, exec_lo, s24
	v_lshlrev_b32_e32 v50, 8, v31
	v_lshl_add_u32 v55, v55, 10, 0x2000
	v_lshlrev_b32_e32 v49, 7, v49
	v_and_b32_e32 v50, 0x8000, v50
	v_and_b32_e32 v55, 0xfc00, v55
	v_or3_b32 v105, v50, v55, v49
.LBB323_817:                            ;   in Loop: Header=BB323_11 Depth=1
	s_or_b32 exec_lo, exec_lo, s23
.LBB323_818:                            ;   in Loop: Header=BB323_11 Depth=1
	s_or_b32 exec_lo, exec_lo, s22
.LBB323_819:                            ;   in Loop: Header=BB323_11 Depth=1
	s_or_b32 exec_lo, exec_lo, s21
	v_lshrrev_b16 v8, 8, v8
	v_mov_b32_e32 v126, 0
	v_mov_b32_e32 v111, 0
	s_mov_b32 s21, exec_lo
	v_cmpx_ne_u16_e32 0, v8
	s_cbranch_execz .LBB323_827
; %bb.820:                              ;   in Loop: Header=BB323_11 Depth=1
	v_bfrev_b32_e32 v111, 1
	s_mov_b32 s22, exec_lo
	v_cmpx_ne_u16_e32 0x80, v8
	s_cbranch_execz .LBB323_826
; %bb.821:                              ;   in Loop: Header=BB323_11 Depth=1
	v_mov_b32_e32 v49, 0x7f
	v_mov_b32_e32 v111, 0x7c010000
	s_mov_b32 s23, exec_lo
	v_and_b32_sdwa v66, v8, v49 dst_sel:DWORD dst_unused:UNUSED_PAD src0_sel:WORD_0 src1_sel:DWORD
	v_cmpx_ne_u32_e32 0x7f, v66
	s_cbranch_execz .LBB323_825
; %bb.822:                              ;   in Loop: Header=BB323_11 Depth=1
	v_mov_b32_e32 v49, 7
	v_lshrrev_b32_e32 v55, 3, v66
	s_mov_b32 s24, exec_lo
	v_and_b32_sdwa v49, v8, v49 dst_sel:DWORD dst_unused:UNUSED_PAD src0_sel:WORD_0 src1_sel:DWORD
	v_cmpx_gt_u32_e32 8, v66
; %bb.823:                              ;   in Loop: Header=BB323_11 Depth=1
	v_ffbh_u32_e32 v49, v49
	v_min_u32_e32 v49, 32, v49
	v_subrev_nc_u32_e32 v50, 28, v49
	v_sub_nc_u32_e32 v55, 29, v49
	v_lshlrev_b64 v[66:67], v50, v[8:9]
	v_and_b32_e32 v49, 7, v66
; %bb.824:                              ;   in Loop: Header=BB323_11 Depth=1
	s_or_b32 exec_lo, exec_lo, s24
	v_mov_b32_e32 v50, 8
	v_lshlrev_b32_e32 v49, 23, v49
	v_lshlrev_b32_sdwa v8, v50, v8 dst_sel:DWORD dst_unused:UNUSED_PAD src0_sel:DWORD src1_sel:WORD_0
	v_lshl_add_u32 v50, v55, 10, 0x2000
	v_and_or_b32 v8, 0x8000, v8, v50
	v_lshl_or_b32 v111, v8, 16, v49
.LBB323_825:                            ;   in Loop: Header=BB323_11 Depth=1
	s_or_b32 exec_lo, exec_lo, s23
.LBB323_826:                            ;   in Loop: Header=BB323_11 Depth=1
	s_or_b32 exec_lo, exec_lo, s22
.LBB323_827:                            ;   in Loop: Header=BB323_11 Depth=1
	s_or_b32 exec_lo, exec_lo, s21
	v_lshrrev_b32_e32 v8, 16, v31
	v_cmp_ne_u16_sdwa s5, v8, v9 src0_sel:BYTE_0 src1_sel:DWORD
	s_and_saveexec_b32 s21, s5
	s_cbranch_execz .LBB323_835
; %bb.828:                              ;   in Loop: Header=BB323_11 Depth=1
	v_cmp_ne_u16_sdwa s5, v8, v51 src0_sel:BYTE_0 src1_sel:DWORD
	v_mov_b32_e32 v126, 0x8000
	s_and_saveexec_b32 s22, s5
	s_cbranch_execz .LBB323_834
; %bb.829:                              ;   in Loop: Header=BB323_11 Depth=1
	v_bfe_u32 v66, v31, 16, 7
	v_mov_b32_e32 v126, 0x7c01
	s_mov_b32 s23, exec_lo
	v_cmpx_ne_u32_e32 0x7f, v66
	s_cbranch_execz .LBB323_833
; %bb.830:                              ;   in Loop: Header=BB323_11 Depth=1
	v_and_b32_e32 v49, 7, v8
	v_lshrrev_b32_e32 v55, 3, v66
	s_mov_b32 s24, exec_lo
	v_cmpx_gt_u32_e32 8, v66
; %bb.831:                              ;   in Loop: Header=BB323_11 Depth=1
	v_ffbh_u32_e32 v49, v49
	v_min_u32_e32 v49, 32, v49
	v_subrev_nc_u32_e32 v50, 28, v49
	v_sub_nc_u32_e32 v55, 29, v49
	v_lshlrev_b64 v[66:67], v50, v[8:9]
	v_and_b32_e32 v49, 7, v66
; %bb.832:                              ;   in Loop: Header=BB323_11 Depth=1
	s_or_b32 exec_lo, exec_lo, s24
	v_lshlrev_b32_e32 v8, 8, v8
	v_lshl_add_u32 v50, v55, 10, 0x2000
	v_lshlrev_b32_e32 v49, 7, v49
	v_and_b32_e32 v8, 0x8000, v8
	v_and_b32_e32 v50, 0xfc00, v50
	v_or3_b32 v126, v8, v50, v49
.LBB323_833:                            ;   in Loop: Header=BB323_11 Depth=1
	s_or_b32 exec_lo, exec_lo, s23
.LBB323_834:                            ;   in Loop: Header=BB323_11 Depth=1
	s_or_b32 exec_lo, exec_lo, s22
.LBB323_835:                            ;   in Loop: Header=BB323_11 Depth=1
	s_or_b32 exec_lo, exec_lo, s21
	v_mov_b32_e32 v74, 0
	v_mov_b32_e32 v127, 0
	s_mov_b32 s21, exec_lo
	v_cmpx_lt_u64_e64 s[6:7], v[30:31]
	s_cbranch_execz .LBB323_843
; %bb.836:                              ;   in Loop: Header=BB323_11 Depth=1
	v_lshrrev_b32_e32 v8, 24, v31
	v_bfrev_b32_e32 v127, 1
	s_mov_b32 s22, exec_lo
	v_cmpx_ne_u32_e32 0x80, v8
	s_cbranch_execz .LBB323_842
; %bb.837:                              ;   in Loop: Header=BB323_11 Depth=1
	v_and_b32_e32 v49, 0x7f, v8
	v_mov_b32_e32 v127, 0x7c010000
	s_mov_b32 s23, exec_lo
	v_cmpx_ne_u32_e32 0x7f, v49
	s_cbranch_execz .LBB323_841
; %bb.838:                              ;   in Loop: Header=BB323_11 Depth=1
	v_and_b32_e32 v30, 7, v8
	v_lshrrev_b32_e32 v31, 3, v49
	s_mov_b32 s24, exec_lo
	v_cmpx_gt_u32_e32 8, v49
; %bb.839:                              ;   in Loop: Header=BB323_11 Depth=1
	v_ffbh_u32_e32 v30, v30
	v_min_u32_e32 v49, 32, v30
	v_subrev_nc_u32_e32 v30, 28, v49
	v_lshlrev_b64 v[30:31], v30, v[8:9]
	v_sub_nc_u32_e32 v31, 29, v49
	v_and_b32_e32 v30, 7, v30
; %bb.840:                              ;   in Loop: Header=BB323_11 Depth=1
	s_or_b32 exec_lo, exec_lo, s24
	v_lshlrev_b32_e32 v8, 8, v8
	v_lshl_add_u32 v31, v31, 10, 0x2000
	v_lshlrev_b32_e32 v30, 23, v30
	v_and_or_b32 v8, 0x8000, v8, v31
	v_lshl_or_b32 v127, v8, 16, v30
.LBB323_841:                            ;   in Loop: Header=BB323_11 Depth=1
	s_or_b32 exec_lo, exec_lo, s23
.LBB323_842:                            ;   in Loop: Header=BB323_11 Depth=1
	s_or_b32 exec_lo, exec_lo, s22
.LBB323_843:                            ;   in Loop: Header=BB323_11 Depth=1
	s_or_b32 exec_lo, exec_lo, s21
	flat_load_dwordx2 v[30:31], v[28:29] offset:1032
	s_waitcnt vmcnt(0) lgkmcnt(0)
	v_cmp_ne_u16_sdwa s5, v30, v9 src0_sel:BYTE_0 src1_sel:DWORD
	s_and_saveexec_b32 s21, s5
	s_cbranch_execz .LBB323_851
; %bb.844:                              ;   in Loop: Header=BB323_11 Depth=1
	v_cmp_ne_u16_sdwa s5, v30, v51 src0_sel:BYTE_0 src1_sel:DWORD
	v_mov_b32_e32 v74, 0x8000
	s_and_saveexec_b32 s22, s5
	s_cbranch_execz .LBB323_850
; %bb.845:                              ;   in Loop: Header=BB323_11 Depth=1
	v_and_b32_e32 v55, 0x7f, v30
	v_mov_b32_e32 v74, 0x7c01
	s_mov_b32 s23, exec_lo
	v_cmpx_ne_u32_e32 0x7f, v55
	s_cbranch_execz .LBB323_849
; %bb.846:                              ;   in Loop: Header=BB323_11 Depth=1
	v_and_b32_e32 v8, 7, v30
	v_lshrrev_b32_e32 v49, 3, v55
	s_mov_b32 s24, exec_lo
	v_cmpx_gt_u32_e32 8, v55
; %bb.847:                              ;   in Loop: Header=BB323_11 Depth=1
	v_ffbh_u32_e32 v8, v8
	v_min_u32_e32 v8, 32, v8
	v_subrev_nc_u32_e32 v49, 28, v8
	v_lshlrev_b64 v[66:67], v49, v[30:31]
	v_sub_nc_u32_e32 v49, 29, v8
	v_and_b32_e32 v8, 7, v66
; %bb.848:                              ;   in Loop: Header=BB323_11 Depth=1
	s_or_b32 exec_lo, exec_lo, s24
	v_lshlrev_b32_e32 v50, 8, v30
	v_lshl_add_u32 v49, v49, 10, 0x2000
	v_lshlrev_b32_e32 v8, 7, v8
	v_and_b32_e32 v50, 0x8000, v50
	v_and_b32_e32 v49, 0xfc00, v49
	v_or3_b32 v74, v50, v49, v8
.LBB323_849:                            ;   in Loop: Header=BB323_11 Depth=1
	s_or_b32 exec_lo, exec_lo, s23
.LBB323_850:                            ;   in Loop: Header=BB323_11 Depth=1
	s_or_b32 exec_lo, exec_lo, s22
.LBB323_851:                            ;   in Loop: Header=BB323_11 Depth=1
	s_or_b32 exec_lo, exec_lo, s21
	v_lshrrev_b16 v8, 8, v30
	v_mov_b32_e32 v78, 0
	v_mov_b32_e32 v75, 0
	s_mov_b32 s21, exec_lo
	v_cmpx_ne_u16_e32 0, v8
	s_cbranch_execz .LBB323_859
; %bb.852:                              ;   in Loop: Header=BB323_11 Depth=1
	v_bfrev_b32_e32 v75, 1
	s_mov_b32 s22, exec_lo
	v_cmpx_ne_u16_e32 0x80, v8
	s_cbranch_execz .LBB323_858
; %bb.853:                              ;   in Loop: Header=BB323_11 Depth=1
	v_mov_b32_e32 v49, 0x7f
	v_mov_b32_e32 v75, 0x7c010000
	s_mov_b32 s23, exec_lo
	v_and_b32_sdwa v66, v8, v49 dst_sel:DWORD dst_unused:UNUSED_PAD src0_sel:WORD_0 src1_sel:DWORD
	v_cmpx_ne_u32_e32 0x7f, v66
	s_cbranch_execz .LBB323_857
; %bb.854:                              ;   in Loop: Header=BB323_11 Depth=1
	v_mov_b32_e32 v49, 7
	v_lshrrev_b32_e32 v55, 3, v66
	s_mov_b32 s24, exec_lo
	v_and_b32_sdwa v49, v8, v49 dst_sel:DWORD dst_unused:UNUSED_PAD src0_sel:WORD_0 src1_sel:DWORD
	v_cmpx_gt_u32_e32 8, v66
; %bb.855:                              ;   in Loop: Header=BB323_11 Depth=1
	v_ffbh_u32_e32 v49, v49
	v_min_u32_e32 v49, 32, v49
	v_subrev_nc_u32_e32 v50, 28, v49
	v_sub_nc_u32_e32 v55, 29, v49
	v_lshlrev_b64 v[66:67], v50, v[8:9]
	v_and_b32_e32 v49, 7, v66
; %bb.856:                              ;   in Loop: Header=BB323_11 Depth=1
	s_or_b32 exec_lo, exec_lo, s24
	v_mov_b32_e32 v50, 8
	v_lshlrev_b32_e32 v49, 23, v49
	v_lshlrev_b32_sdwa v8, v50, v8 dst_sel:DWORD dst_unused:UNUSED_PAD src0_sel:DWORD src1_sel:WORD_0
	v_lshl_add_u32 v50, v55, 10, 0x2000
	v_and_or_b32 v8, 0x8000, v8, v50
	v_lshl_or_b32 v75, v8, 16, v49
.LBB323_857:                            ;   in Loop: Header=BB323_11 Depth=1
	s_or_b32 exec_lo, exec_lo, s23
.LBB323_858:                            ;   in Loop: Header=BB323_11 Depth=1
	s_or_b32 exec_lo, exec_lo, s22
.LBB323_859:                            ;   in Loop: Header=BB323_11 Depth=1
	s_or_b32 exec_lo, exec_lo, s21
	v_lshrrev_b32_e32 v8, 16, v30
	v_cmp_ne_u16_sdwa s5, v8, v9 src0_sel:BYTE_0 src1_sel:DWORD
	s_and_saveexec_b32 s21, s5
	s_cbranch_execz .LBB323_867
; %bb.860:                              ;   in Loop: Header=BB323_11 Depth=1
	v_cmp_ne_u16_sdwa s5, v8, v51 src0_sel:BYTE_0 src1_sel:DWORD
	v_mov_b32_e32 v78, 0x8000
	s_and_saveexec_b32 s22, s5
	s_cbranch_execz .LBB323_866
; %bb.861:                              ;   in Loop: Header=BB323_11 Depth=1
	v_bfe_u32 v66, v30, 16, 7
	v_mov_b32_e32 v78, 0x7c01
	s_mov_b32 s23, exec_lo
	v_cmpx_ne_u32_e32 0x7f, v66
	s_cbranch_execz .LBB323_865
; %bb.862:                              ;   in Loop: Header=BB323_11 Depth=1
	v_and_b32_e32 v49, 7, v8
	v_lshrrev_b32_e32 v55, 3, v66
	s_mov_b32 s24, exec_lo
	v_cmpx_gt_u32_e32 8, v66
; %bb.863:                              ;   in Loop: Header=BB323_11 Depth=1
	v_ffbh_u32_e32 v49, v49
	v_min_u32_e32 v49, 32, v49
	v_subrev_nc_u32_e32 v50, 28, v49
	v_sub_nc_u32_e32 v55, 29, v49
	v_lshlrev_b64 v[66:67], v50, v[8:9]
	v_and_b32_e32 v49, 7, v66
; %bb.864:                              ;   in Loop: Header=BB323_11 Depth=1
	s_or_b32 exec_lo, exec_lo, s24
	v_lshlrev_b32_e32 v8, 8, v8
	v_lshl_add_u32 v50, v55, 10, 0x2000
	v_lshlrev_b32_e32 v49, 7, v49
	v_and_b32_e32 v8, 0x8000, v8
	v_and_b32_e32 v50, 0xfc00, v50
	v_or3_b32 v78, v8, v50, v49
.LBB323_865:                            ;   in Loop: Header=BB323_11 Depth=1
	s_or_b32 exec_lo, exec_lo, s23
.LBB323_866:                            ;   in Loop: Header=BB323_11 Depth=1
	s_or_b32 exec_lo, exec_lo, s22
.LBB323_867:                            ;   in Loop: Header=BB323_11 Depth=1
	s_or_b32 exec_lo, exec_lo, s21
	v_mov_b32_e32 v79, 0
	v_mov_b32_e32 v88, 0
	s_mov_b32 s21, exec_lo
	v_cmpx_lt_u32_e32 0xffffff, v30
	s_cbranch_execz .LBB323_875
; %bb.868:                              ;   in Loop: Header=BB323_11 Depth=1
	v_lshrrev_b32_e32 v8, 24, v30
	v_bfrev_b32_e32 v88, 1
	s_mov_b32 s22, exec_lo
	v_cmpx_ne_u32_e32 0x80, v8
	s_cbranch_execz .LBB323_874
; %bb.869:                              ;   in Loop: Header=BB323_11 Depth=1
	v_and_b32_e32 v66, 0x7f, v8
	v_mov_b32_e32 v88, 0x7c010000
	s_mov_b32 s23, exec_lo
	v_cmpx_ne_u32_e32 0x7f, v66
	s_cbranch_execz .LBB323_873
; %bb.870:                              ;   in Loop: Header=BB323_11 Depth=1
	v_and_b32_e32 v49, 7, v8
	v_lshrrev_b32_e32 v55, 3, v66
	s_mov_b32 s24, exec_lo
	v_cmpx_gt_u32_e32 8, v66
; %bb.871:                              ;   in Loop: Header=BB323_11 Depth=1
	v_ffbh_u32_e32 v49, v49
	v_min_u32_e32 v49, 32, v49
	v_subrev_nc_u32_e32 v50, 28, v49
	v_sub_nc_u32_e32 v55, 29, v49
	v_lshlrev_b64 v[66:67], v50, v[8:9]
	v_and_b32_e32 v49, 7, v66
; %bb.872:                              ;   in Loop: Header=BB323_11 Depth=1
	s_or_b32 exec_lo, exec_lo, s24
	v_lshlrev_b32_e32 v8, 8, v8
	v_lshl_add_u32 v50, v55, 10, 0x2000
	v_lshlrev_b32_e32 v49, 23, v49
	v_and_or_b32 v8, 0x8000, v8, v50
	v_lshl_or_b32 v88, v8, 16, v49
.LBB323_873:                            ;   in Loop: Header=BB323_11 Depth=1
	s_or_b32 exec_lo, exec_lo, s23
.LBB323_874:                            ;   in Loop: Header=BB323_11 Depth=1
	s_or_b32 exec_lo, exec_lo, s22
.LBB323_875:                            ;   in Loop: Header=BB323_11 Depth=1
	s_or_b32 exec_lo, exec_lo, s21
	v_mov_b32_e32 v8, v31
	v_cmp_ne_u16_sdwa s5, v31, v9 src0_sel:BYTE_0 src1_sel:DWORD
	s_and_saveexec_b32 s21, s5
	s_cbranch_execz .LBB323_883
; %bb.876:                              ;   in Loop: Header=BB323_11 Depth=1
	v_cmp_ne_u16_sdwa s5, v31, v51 src0_sel:BYTE_0 src1_sel:DWORD
	v_mov_b32_e32 v79, 0x8000
	s_and_saveexec_b32 s22, s5
	s_cbranch_execz .LBB323_882
; %bb.877:                              ;   in Loop: Header=BB323_11 Depth=1
	v_and_b32_e32 v66, 0x7f, v31
	v_mov_b32_e32 v79, 0x7c01
	s_mov_b32 s23, exec_lo
	v_cmpx_ne_u32_e32 0x7f, v66
	s_cbranch_execz .LBB323_881
; %bb.878:                              ;   in Loop: Header=BB323_11 Depth=1
	v_and_b32_e32 v49, 7, v31
	v_lshrrev_b32_e32 v55, 3, v66
	s_mov_b32 s24, exec_lo
	v_cmpx_gt_u32_e32 8, v66
; %bb.879:                              ;   in Loop: Header=BB323_11 Depth=1
	v_ffbh_u32_e32 v49, v49
	v_min_u32_e32 v49, 32, v49
	v_subrev_nc_u32_e32 v50, 28, v49
	v_sub_nc_u32_e32 v55, 29, v49
	v_lshlrev_b64 v[66:67], v50, v[8:9]
	v_and_b32_e32 v49, 7, v66
; %bb.880:                              ;   in Loop: Header=BB323_11 Depth=1
	s_or_b32 exec_lo, exec_lo, s24
	v_lshlrev_b32_e32 v50, 8, v31
	v_lshl_add_u32 v55, v55, 10, 0x2000
	v_lshlrev_b32_e32 v49, 7, v49
	v_and_b32_e32 v50, 0x8000, v50
	v_and_b32_e32 v55, 0xfc00, v55
	v_or3_b32 v79, v50, v55, v49
.LBB323_881:                            ;   in Loop: Header=BB323_11 Depth=1
	s_or_b32 exec_lo, exec_lo, s23
.LBB323_882:                            ;   in Loop: Header=BB323_11 Depth=1
	s_or_b32 exec_lo, exec_lo, s22
.LBB323_883:                            ;   in Loop: Header=BB323_11 Depth=1
	s_or_b32 exec_lo, exec_lo, s21
	v_lshrrev_b16 v8, 8, v8
	v_mov_b32_e32 v67, 0
	v_mov_b32_e32 v90, 0
	s_mov_b32 s21, exec_lo
	v_cmpx_ne_u16_e32 0, v8
	s_cbranch_execz .LBB323_891
; %bb.884:                              ;   in Loop: Header=BB323_11 Depth=1
	v_bfrev_b32_e32 v90, 1
	s_mov_b32 s22, exec_lo
	v_cmpx_ne_u16_e32 0x80, v8
	s_cbranch_execz .LBB323_890
; %bb.885:                              ;   in Loop: Header=BB323_11 Depth=1
	v_mov_b32_e32 v49, 0x7f
	v_mov_b32_e32 v90, 0x7c010000
	s_mov_b32 s23, exec_lo
	v_and_b32_sdwa v66, v8, v49 dst_sel:DWORD dst_unused:UNUSED_PAD src0_sel:WORD_0 src1_sel:DWORD
	v_cmpx_ne_u32_e32 0x7f, v66
	s_cbranch_execz .LBB323_889
; %bb.886:                              ;   in Loop: Header=BB323_11 Depth=1
	v_mov_b32_e32 v49, 7
	v_lshrrev_b32_e32 v55, 3, v66
	s_mov_b32 s24, exec_lo
	v_and_b32_sdwa v49, v8, v49 dst_sel:DWORD dst_unused:UNUSED_PAD src0_sel:WORD_0 src1_sel:DWORD
	v_cmpx_gt_u32_e32 8, v66
; %bb.887:                              ;   in Loop: Header=BB323_11 Depth=1
	v_ffbh_u32_e32 v49, v49
	v_min_u32_e32 v55, 32, v49
	v_subrev_nc_u32_e32 v49, 28, v55
	v_sub_nc_u32_e32 v55, 29, v55
	v_lshlrev_b64 v[49:50], v49, v[8:9]
	v_and_b32_e32 v49, 7, v49
; %bb.888:                              ;   in Loop: Header=BB323_11 Depth=1
	s_or_b32 exec_lo, exec_lo, s24
	v_mov_b32_e32 v50, 8
	v_lshlrev_b32_e32 v49, 23, v49
	v_lshlrev_b32_sdwa v8, v50, v8 dst_sel:DWORD dst_unused:UNUSED_PAD src0_sel:DWORD src1_sel:WORD_0
	v_lshl_add_u32 v50, v55, 10, 0x2000
	v_and_or_b32 v8, 0x8000, v8, v50
	v_lshl_or_b32 v90, v8, 16, v49
.LBB323_889:                            ;   in Loop: Header=BB323_11 Depth=1
	s_or_b32 exec_lo, exec_lo, s23
.LBB323_890:                            ;   in Loop: Header=BB323_11 Depth=1
	s_or_b32 exec_lo, exec_lo, s22
.LBB323_891:                            ;   in Loop: Header=BB323_11 Depth=1
	s_or_b32 exec_lo, exec_lo, s21
	v_lshrrev_b32_e32 v8, 16, v31
	v_cmp_ne_u16_sdwa s5, v8, v9 src0_sel:BYTE_0 src1_sel:DWORD
	s_and_saveexec_b32 s21, s5
	s_cbranch_execz .LBB323_899
; %bb.892:                              ;   in Loop: Header=BB323_11 Depth=1
	v_cmp_ne_u16_sdwa s5, v8, v51 src0_sel:BYTE_0 src1_sel:DWORD
	v_mov_b32_e32 v67, 0x8000
	s_and_saveexec_b32 s22, s5
	s_cbranch_execz .LBB323_898
; %bb.893:                              ;   in Loop: Header=BB323_11 Depth=1
	v_bfe_u32 v66, v31, 16, 7
	v_mov_b32_e32 v67, 0x7c01
	s_mov_b32 s23, exec_lo
	v_cmpx_ne_u32_e32 0x7f, v66
	s_cbranch_execz .LBB323_897
; %bb.894:                              ;   in Loop: Header=BB323_11 Depth=1
	v_and_b32_e32 v49, 7, v8
	v_lshrrev_b32_e32 v55, 3, v66
	s_mov_b32 s24, exec_lo
	v_cmpx_gt_u32_e32 8, v66
; %bb.895:                              ;   in Loop: Header=BB323_11 Depth=1
	v_ffbh_u32_e32 v49, v49
	v_min_u32_e32 v55, 32, v49
	v_subrev_nc_u32_e32 v49, 28, v55
	v_sub_nc_u32_e32 v55, 29, v55
	v_lshlrev_b64 v[49:50], v49, v[8:9]
	v_and_b32_e32 v49, 7, v49
; %bb.896:                              ;   in Loop: Header=BB323_11 Depth=1
	s_or_b32 exec_lo, exec_lo, s24
	v_lshlrev_b32_e32 v8, 8, v8
	v_lshl_add_u32 v50, v55, 10, 0x2000
	v_lshlrev_b32_e32 v49, 7, v49
	v_and_b32_e32 v8, 0x8000, v8
	v_and_b32_e32 v50, 0xfc00, v50
	v_or3_b32 v67, v8, v50, v49
.LBB323_897:                            ;   in Loop: Header=BB323_11 Depth=1
	s_or_b32 exec_lo, exec_lo, s23
.LBB323_898:                            ;   in Loop: Header=BB323_11 Depth=1
	s_or_b32 exec_lo, exec_lo, s22
.LBB323_899:                            ;   in Loop: Header=BB323_11 Depth=1
	s_or_b32 exec_lo, exec_lo, s21
	v_cmp_lt_u64_e64 s5, s[6:7], v[30:31]
	v_mov_b32_e32 v93, 0
	v_mov_b32_e32 v30, 0
	s_and_saveexec_b32 s21, s5
	s_cbranch_execz .LBB323_907
; %bb.900:                              ;   in Loop: Header=BB323_11 Depth=1
	v_lshrrev_b32_e32 v8, 24, v31
	v_bfrev_b32_e32 v30, 1
	s_mov_b32 s22, exec_lo
	v_cmpx_ne_u32_e32 0x80, v8
	s_cbranch_execz .LBB323_906
; %bb.901:                              ;   in Loop: Header=BB323_11 Depth=1
	v_and_b32_e32 v49, 0x7f, v8
	v_mov_b32_e32 v30, 0x7c010000
	s_mov_b32 s23, exec_lo
	v_cmpx_ne_u32_e32 0x7f, v49
	s_cbranch_execz .LBB323_905
; %bb.902:                              ;   in Loop: Header=BB323_11 Depth=1
	v_and_b32_e32 v30, 7, v8
	v_lshrrev_b32_e32 v31, 3, v49
	s_mov_b32 s24, exec_lo
	v_cmpx_gt_u32_e32 8, v49
; %bb.903:                              ;   in Loop: Header=BB323_11 Depth=1
	v_ffbh_u32_e32 v30, v30
	v_min_u32_e32 v49, 32, v30
	v_subrev_nc_u32_e32 v30, 28, v49
	v_lshlrev_b64 v[30:31], v30, v[8:9]
	v_sub_nc_u32_e32 v31, 29, v49
	v_and_b32_e32 v30, 7, v30
; %bb.904:                              ;   in Loop: Header=BB323_11 Depth=1
	s_or_b32 exec_lo, exec_lo, s24
	v_lshlrev_b32_e32 v8, 8, v8
	v_lshl_add_u32 v31, v31, 10, 0x2000
	v_lshlrev_b32_e32 v30, 23, v30
	v_and_or_b32 v8, 0x8000, v8, v31
	v_lshl_or_b32 v30, v8, 16, v30
.LBB323_905:                            ;   in Loop: Header=BB323_11 Depth=1
	s_or_b32 exec_lo, exec_lo, s23
.LBB323_906:                            ;   in Loop: Header=BB323_11 Depth=1
	s_or_b32 exec_lo, exec_lo, s22
.LBB323_907:                            ;   in Loop: Header=BB323_11 Depth=1
	s_or_b32 exec_lo, exec_lo, s21
	flat_load_dwordx2 v[28:29], v[28:29] offset:1536
	s_waitcnt vmcnt(0) lgkmcnt(0)
	v_cmp_ne_u16_sdwa s5, v28, v9 src0_sel:BYTE_0 src1_sel:DWORD
	s_and_saveexec_b32 s21, s5
	s_cbranch_execz .LBB323_915
; %bb.908:                              ;   in Loop: Header=BB323_11 Depth=1
	v_cmp_ne_u16_sdwa s5, v28, v51 src0_sel:BYTE_0 src1_sel:DWORD
	v_mov_b32_e32 v93, 0x8000
	s_and_saveexec_b32 s22, s5
	s_cbranch_execz .LBB323_914
; %bb.909:                              ;   in Loop: Header=BB323_11 Depth=1
	v_and_b32_e32 v49, 0x7f, v28
	v_mov_b32_e32 v93, 0x7c01
	s_mov_b32 s23, exec_lo
	v_cmpx_ne_u32_e32 0x7f, v49
	s_cbranch_execz .LBB323_913
; %bb.910:                              ;   in Loop: Header=BB323_11 Depth=1
	v_and_b32_e32 v8, 7, v28
	v_lshrrev_b32_e32 v31, 3, v49
	s_mov_b32 s24, exec_lo
	v_cmpx_gt_u32_e32 8, v49
; %bb.911:                              ;   in Loop: Header=BB323_11 Depth=1
	v_ffbh_u32_e32 v8, v8
	v_min_u32_e32 v8, 32, v8
	v_subrev_nc_u32_e32 v31, 28, v8
	v_lshlrev_b64 v[49:50], v31, v[28:29]
	v_sub_nc_u32_e32 v31, 29, v8
	v_and_b32_e32 v8, 7, v49
; %bb.912:                              ;   in Loop: Header=BB323_11 Depth=1
	s_or_b32 exec_lo, exec_lo, s24
	v_lshlrev_b32_e32 v49, 8, v28
	v_lshl_add_u32 v31, v31, 10, 0x2000
	v_lshlrev_b32_e32 v8, 7, v8
	v_and_b32_e32 v49, 0x8000, v49
	v_and_b32_e32 v31, 0xfc00, v31
	v_or3_b32 v93, v49, v31, v8
.LBB323_913:                            ;   in Loop: Header=BB323_11 Depth=1
	s_or_b32 exec_lo, exec_lo, s23
.LBB323_914:                            ;   in Loop: Header=BB323_11 Depth=1
	s_or_b32 exec_lo, exec_lo, s22
.LBB323_915:                            ;   in Loop: Header=BB323_11 Depth=1
	s_or_b32 exec_lo, exec_lo, s21
	v_lshrrev_b16 v8, 8, v28
	v_mov_b32_e32 v121, 0
	v_mov_b32_e32 v31, 0
	s_mov_b32 s21, exec_lo
	v_cmpx_ne_u16_e32 0, v8
	s_cbranch_execz .LBB323_923
; %bb.916:                              ;   in Loop: Header=BB323_11 Depth=1
	v_bfrev_b32_e32 v31, 1
	s_mov_b32 s22, exec_lo
	v_cmpx_ne_u16_e32 0x80, v8
	s_cbranch_execz .LBB323_922
; %bb.917:                              ;   in Loop: Header=BB323_11 Depth=1
	v_mov_b32_e32 v31, 0x7f
	s_mov_b32 s23, exec_lo
	v_and_b32_sdwa v55, v8, v31 dst_sel:DWORD dst_unused:UNUSED_PAD src0_sel:WORD_0 src1_sel:DWORD
	v_mov_b32_e32 v31, 0x7c010000
	v_cmpx_ne_u32_e32 0x7f, v55
	s_cbranch_execz .LBB323_921
; %bb.918:                              ;   in Loop: Header=BB323_11 Depth=1
	v_mov_b32_e32 v31, 7
	v_lshrrev_b32_e32 v49, 3, v55
	s_mov_b32 s24, exec_lo
	v_and_b32_sdwa v31, v8, v31 dst_sel:DWORD dst_unused:UNUSED_PAD src0_sel:WORD_0 src1_sel:DWORD
	v_cmpx_gt_u32_e32 8, v55
; %bb.919:                              ;   in Loop: Header=BB323_11 Depth=1
	v_ffbh_u32_e32 v31, v31
	v_min_u32_e32 v31, 32, v31
	v_subrev_nc_u32_e32 v49, 28, v31
	v_lshlrev_b64 v[99:100], v49, v[8:9]
	v_sub_nc_u32_e32 v49, 29, v31
	v_and_b32_e32 v31, 7, v99
; %bb.920:                              ;   in Loop: Header=BB323_11 Depth=1
	s_or_b32 exec_lo, exec_lo, s24
	v_mov_b32_e32 v50, 8
	v_lshl_add_u32 v49, v49, 10, 0x2000
	v_lshlrev_b32_e32 v31, 23, v31
	v_lshlrev_b32_sdwa v8, v50, v8 dst_sel:DWORD dst_unused:UNUSED_PAD src0_sel:DWORD src1_sel:WORD_0
	v_and_or_b32 v8, 0x8000, v8, v49
	v_lshl_or_b32 v31, v8, 16, v31
.LBB323_921:                            ;   in Loop: Header=BB323_11 Depth=1
	s_or_b32 exec_lo, exec_lo, s23
.LBB323_922:                            ;   in Loop: Header=BB323_11 Depth=1
	s_or_b32 exec_lo, exec_lo, s22
.LBB323_923:                            ;   in Loop: Header=BB323_11 Depth=1
	s_or_b32 exec_lo, exec_lo, s21
	v_lshrrev_b32_e32 v8, 16, v28
	v_cmp_ne_u16_sdwa s5, v8, v9 src0_sel:BYTE_0 src1_sel:DWORD
	s_and_saveexec_b32 s21, s5
	s_cbranch_execz .LBB323_931
; %bb.924:                              ;   in Loop: Header=BB323_11 Depth=1
	v_cmp_ne_u16_sdwa s5, v8, v51 src0_sel:BYTE_0 src1_sel:DWORD
	v_mov_b32_e32 v121, 0x8000
	s_and_saveexec_b32 s22, s5
	s_cbranch_execz .LBB323_930
; %bb.925:                              ;   in Loop: Header=BB323_11 Depth=1
	v_bfe_u32 v66, v28, 16, 7
	v_mov_b32_e32 v121, 0x7c01
	s_mov_b32 s23, exec_lo
	v_cmpx_ne_u32_e32 0x7f, v66
	s_cbranch_execz .LBB323_929
; %bb.926:                              ;   in Loop: Header=BB323_11 Depth=1
	v_and_b32_e32 v49, 7, v8
	v_lshrrev_b32_e32 v55, 3, v66
	s_mov_b32 s24, exec_lo
	v_cmpx_gt_u32_e32 8, v66
; %bb.927:                              ;   in Loop: Header=BB323_11 Depth=1
	v_ffbh_u32_e32 v49, v49
	v_min_u32_e32 v55, 32, v49
	v_subrev_nc_u32_e32 v49, 28, v55
	v_sub_nc_u32_e32 v55, 29, v55
	v_lshlrev_b64 v[49:50], v49, v[8:9]
	v_and_b32_e32 v49, 7, v49
; %bb.928:                              ;   in Loop: Header=BB323_11 Depth=1
	s_or_b32 exec_lo, exec_lo, s24
	v_lshlrev_b32_e32 v8, 8, v8
	v_lshl_add_u32 v50, v55, 10, 0x2000
	v_lshlrev_b32_e32 v49, 7, v49
	v_and_b32_e32 v8, 0x8000, v8
	v_and_b32_e32 v50, 0xfc00, v50
	v_or3_b32 v121, v8, v50, v49
.LBB323_929:                            ;   in Loop: Header=BB323_11 Depth=1
	s_or_b32 exec_lo, exec_lo, s23
.LBB323_930:                            ;   in Loop: Header=BB323_11 Depth=1
	s_or_b32 exec_lo, exec_lo, s22
.LBB323_931:                            ;   in Loop: Header=BB323_11 Depth=1
	s_or_b32 exec_lo, exec_lo, s21
	v_mov_b32_e32 v66, 0
	v_mov_b32_e32 v123, 0
	s_mov_b32 s21, exec_lo
	v_cmpx_lt_u32_e32 0xffffff, v28
	s_cbranch_execz .LBB323_939
; %bb.932:                              ;   in Loop: Header=BB323_11 Depth=1
	v_lshrrev_b32_e32 v8, 24, v28
	v_bfrev_b32_e32 v123, 1
	s_mov_b32 s22, exec_lo
	v_cmpx_ne_u32_e32 0x80, v8
	s_cbranch_execz .LBB323_938
; %bb.933:                              ;   in Loop: Header=BB323_11 Depth=1
	v_and_b32_e32 v68, 0x7f, v8
	v_mov_b32_e32 v123, 0x7c010000
	s_mov_b32 s23, exec_lo
	v_cmpx_ne_u32_e32 0x7f, v68
	s_cbranch_execz .LBB323_937
; %bb.934:                              ;   in Loop: Header=BB323_11 Depth=1
	v_and_b32_e32 v49, 7, v8
	v_lshrrev_b32_e32 v55, 3, v68
	s_mov_b32 s24, exec_lo
	v_cmpx_gt_u32_e32 8, v68
; %bb.935:                              ;   in Loop: Header=BB323_11 Depth=1
	v_ffbh_u32_e32 v49, v49
	v_min_u32_e32 v55, 32, v49
	v_subrev_nc_u32_e32 v49, 28, v55
	v_sub_nc_u32_e32 v55, 29, v55
	v_lshlrev_b64 v[49:50], v49, v[8:9]
	v_and_b32_e32 v49, 7, v49
; %bb.936:                              ;   in Loop: Header=BB323_11 Depth=1
	s_or_b32 exec_lo, exec_lo, s24
	v_lshlrev_b32_e32 v8, 8, v8
	v_lshl_add_u32 v50, v55, 10, 0x2000
	v_lshlrev_b32_e32 v49, 23, v49
	v_and_or_b32 v8, 0x8000, v8, v50
	v_lshl_or_b32 v123, v8, 16, v49
.LBB323_937:                            ;   in Loop: Header=BB323_11 Depth=1
	s_or_b32 exec_lo, exec_lo, s23
.LBB323_938:                            ;   in Loop: Header=BB323_11 Depth=1
	s_or_b32 exec_lo, exec_lo, s22
.LBB323_939:                            ;   in Loop: Header=BB323_11 Depth=1
	s_or_b32 exec_lo, exec_lo, s21
	v_mov_b32_e32 v8, v29
	v_cmp_ne_u16_sdwa s5, v29, v9 src0_sel:BYTE_0 src1_sel:DWORD
	s_and_saveexec_b32 s21, s5
	s_cbranch_execz .LBB323_947
; %bb.940:                              ;   in Loop: Header=BB323_11 Depth=1
	v_cmp_ne_u16_sdwa s5, v29, v51 src0_sel:BYTE_0 src1_sel:DWORD
	v_mov_b32_e32 v66, 0x8000
	s_and_saveexec_b32 s22, s5
	s_cbranch_execz .LBB323_946
; %bb.941:                              ;   in Loop: Header=BB323_11 Depth=1
	v_and_b32_e32 v68, 0x7f, v29
	v_mov_b32_e32 v66, 0x7c01
	s_mov_b32 s23, exec_lo
	v_cmpx_ne_u32_e32 0x7f, v68
	s_cbranch_execz .LBB323_945
; %bb.942:                              ;   in Loop: Header=BB323_11 Depth=1
	v_and_b32_e32 v49, 7, v29
	v_lshrrev_b32_e32 v55, 3, v68
	s_mov_b32 s24, exec_lo
	v_cmpx_gt_u32_e32 8, v68
; %bb.943:                              ;   in Loop: Header=BB323_11 Depth=1
	v_ffbh_u32_e32 v49, v49
	v_min_u32_e32 v55, 32, v49
	v_subrev_nc_u32_e32 v49, 28, v55
	v_sub_nc_u32_e32 v55, 29, v55
	v_lshlrev_b64 v[49:50], v49, v[8:9]
	v_and_b32_e32 v49, 7, v49
; %bb.944:                              ;   in Loop: Header=BB323_11 Depth=1
	s_or_b32 exec_lo, exec_lo, s24
	v_lshlrev_b32_e32 v50, 8, v29
	v_lshl_add_u32 v55, v55, 10, 0x2000
	v_lshlrev_b32_e32 v49, 7, v49
	v_and_b32_e32 v50, 0x8000, v50
	v_and_b32_e32 v55, 0xfc00, v55
	v_or3_b32 v66, v50, v55, v49
.LBB323_945:                            ;   in Loop: Header=BB323_11 Depth=1
	s_or_b32 exec_lo, exec_lo, s23
.LBB323_946:                            ;   in Loop: Header=BB323_11 Depth=1
	s_or_b32 exec_lo, exec_lo, s22
.LBB323_947:                            ;   in Loop: Header=BB323_11 Depth=1
	s_or_b32 exec_lo, exec_lo, s21
	v_lshrrev_b16 v8, 8, v8
	v_mov_b32_e32 v125, 0
	v_mov_b32_e32 v68, 0
	s_mov_b32 s21, exec_lo
	v_cmpx_ne_u16_e32 0, v8
	s_cbranch_execz .LBB323_955
; %bb.948:                              ;   in Loop: Header=BB323_11 Depth=1
	v_bfrev_b32_e32 v68, 1
	s_mov_b32 s22, exec_lo
	v_cmpx_ne_u16_e32 0x80, v8
	s_cbranch_execz .LBB323_954
; %bb.949:                              ;   in Loop: Header=BB323_11 Depth=1
	v_mov_b32_e32 v49, 0x7f
	v_mov_b32_e32 v99, v85
	;; [unrolled: 1-line block ×3, first 2 shown]
	s_mov_b32 s23, exec_lo
	v_and_b32_sdwa v85, v8, v49 dst_sel:DWORD dst_unused:UNUSED_PAD src0_sel:WORD_0 src1_sel:DWORD
	v_cmpx_ne_u32_e32 0x7f, v85
	s_cbranch_execz .LBB323_953
; %bb.950:                              ;   in Loop: Header=BB323_11 Depth=1
	v_mov_b32_e32 v49, 7
	v_lshrrev_b32_e32 v55, 3, v85
	s_mov_b32 s24, exec_lo
	v_and_b32_sdwa v49, v8, v49 dst_sel:DWORD dst_unused:UNUSED_PAD src0_sel:WORD_0 src1_sel:DWORD
	v_cmpx_gt_u32_e32 8, v85
; %bb.951:                              ;   in Loop: Header=BB323_11 Depth=1
	v_ffbh_u32_e32 v49, v49
	v_min_u32_e32 v55, 32, v49
	v_subrev_nc_u32_e32 v49, 28, v55
	v_sub_nc_u32_e32 v55, 29, v55
	v_lshlrev_b64 v[49:50], v49, v[8:9]
	v_and_b32_e32 v49, 7, v49
; %bb.952:                              ;   in Loop: Header=BB323_11 Depth=1
	s_or_b32 exec_lo, exec_lo, s24
	v_mov_b32_e32 v50, 8
	v_lshlrev_b32_e32 v49, 23, v49
	v_lshlrev_b32_sdwa v8, v50, v8 dst_sel:DWORD dst_unused:UNUSED_PAD src0_sel:DWORD src1_sel:WORD_0
	v_lshl_add_u32 v50, v55, 10, 0x2000
	v_and_or_b32 v8, 0x8000, v8, v50
	v_lshl_or_b32 v68, v8, 16, v49
.LBB323_953:                            ;   in Loop: Header=BB323_11 Depth=1
	s_or_b32 exec_lo, exec_lo, s23
	v_mov_b32_e32 v85, v99
.LBB323_954:                            ;   in Loop: Header=BB323_11 Depth=1
	s_or_b32 exec_lo, exec_lo, s22
.LBB323_955:                            ;   in Loop: Header=BB323_11 Depth=1
	s_or_b32 exec_lo, exec_lo, s21
	v_lshrrev_b32_e32 v8, 16, v29
	v_cmp_ne_u16_sdwa s5, v8, v9 src0_sel:BYTE_0 src1_sel:DWORD
	s_and_saveexec_b32 s21, s5
	s_cbranch_execz .LBB323_963
; %bb.956:                              ;   in Loop: Header=BB323_11 Depth=1
	v_cmp_ne_u16_sdwa s5, v8, v51 src0_sel:BYTE_0 src1_sel:DWORD
	v_mov_b32_e32 v125, 0x8000
	s_and_saveexec_b32 s22, s5
	s_cbranch_execz .LBB323_962
; %bb.957:                              ;   in Loop: Header=BB323_11 Depth=1
	v_mov_b32_e32 v99, v85
	v_bfe_u32 v85, v29, 16, 7
	v_mov_b32_e32 v125, 0x7c01
	s_mov_b32 s23, exec_lo
	v_cmpx_ne_u32_e32 0x7f, v85
	s_cbranch_execz .LBB323_961
; %bb.958:                              ;   in Loop: Header=BB323_11 Depth=1
	v_and_b32_e32 v49, 7, v8
	v_lshrrev_b32_e32 v55, 3, v85
	s_mov_b32 s24, exec_lo
	v_cmpx_gt_u32_e32 8, v85
; %bb.959:                              ;   in Loop: Header=BB323_11 Depth=1
	v_ffbh_u32_e32 v49, v49
	v_min_u32_e32 v55, 32, v49
	v_subrev_nc_u32_e32 v49, 28, v55
	v_sub_nc_u32_e32 v55, 29, v55
	v_lshlrev_b64 v[49:50], v49, v[8:9]
	v_and_b32_e32 v49, 7, v49
; %bb.960:                              ;   in Loop: Header=BB323_11 Depth=1
	s_or_b32 exec_lo, exec_lo, s24
	v_lshlrev_b32_e32 v8, 8, v8
	v_lshl_add_u32 v50, v55, 10, 0x2000
	v_lshlrev_b32_e32 v49, 7, v49
	v_and_b32_e32 v8, 0x8000, v8
	v_and_b32_e32 v50, 0xfc00, v50
	v_or3_b32 v125, v8, v50, v49
.LBB323_961:                            ;   in Loop: Header=BB323_11 Depth=1
	s_or_b32 exec_lo, exec_lo, s23
	v_mov_b32_e32 v85, v99
.LBB323_962:                            ;   in Loop: Header=BB323_11 Depth=1
	s_or_b32 exec_lo, exec_lo, s22
.LBB323_963:                            ;   in Loop: Header=BB323_11 Depth=1
	s_or_b32 exec_lo, exec_lo, s21
	v_mov_b32_e32 v49, 0
	v_cmp_lt_u64_e64 s5, s[6:7], v[28:29]
	s_mov_b32 s21, exec_lo
	s_clause 0x2
	buffer_load_dword v107, off, s[0:3], s32 offset:240
	buffer_load_dword v109, off, s[0:3], s32 offset:244
	;; [unrolled: 1-line block ×3, first 2 shown]
	s_and_b32 s5, s21, s5
	s_mov_b32 exec_lo, s5
	s_cbranch_execz .LBB323_10
; %bb.964:                              ;   in Loop: Header=BB323_11 Depth=1
	v_lshrrev_b32_e32 v8, 24, v29
	v_bfrev_b32_e32 v49, 1
	s_mov_b32 s22, exec_lo
	v_cmpx_ne_u32_e32 0x80, v8
	s_cbranch_execz .LBB323_9
; %bb.965:                              ;   in Loop: Header=BB323_11 Depth=1
	v_and_b32_e32 v55, 0x7f, v8
	v_mov_b32_e32 v49, 0x7c010000
	s_mov_b32 s23, exec_lo
	v_cmpx_ne_u32_e32 0x7f, v55
	s_cbranch_execz .LBB323_8
; %bb.966:                              ;   in Loop: Header=BB323_11 Depth=1
	v_and_b32_e32 v28, 7, v8
	v_lshrrev_b32_e32 v29, 3, v55
	s_mov_b32 s24, exec_lo
	v_cmpx_gt_u32_e32 8, v55
	s_cbranch_execz .LBB323_7
; %bb.967:                              ;   in Loop: Header=BB323_11 Depth=1
	v_ffbh_u32_e32 v28, v28
	v_min_u32_e32 v49, 32, v28
	v_subrev_nc_u32_e32 v28, 28, v49
	v_lshlrev_b64 v[28:29], v28, v[8:9]
	v_sub_nc_u32_e32 v29, 29, v49
	v_and_b32_e32 v28, 7, v28
	s_branch .LBB323_7
.LBB323_968:
	s_or_b32 exec_lo, exec_lo, s17
	s_clause 0x5
	buffer_load_dword v11, off, s[0:3], s32 offset:400
	buffer_load_dword v14, off, s[0:3], s32 offset:404
	;; [unrolled: 1-line block ×6, first 2 shown]
.LBB323_969:
	s_or_b32 exec_lo, exec_lo, s13
	v_mbcnt_lo_u32_b32 v0, -1, 0
	v_max_f32_e32 v4, v7, v7
	s_lshr_b32 s11, s11, 16
	v_xor_b32_e32 v1, 16, v0
	v_xor_b32_e32 v3, 8, v0
	;; [unrolled: 1-line block ×3, first 2 shown]
	v_cmp_gt_i32_e32 vcc_lo, 32, v1
	v_cndmask_b32_e32 v1, v0, v1, vcc_lo
	v_cmp_gt_i32_e32 vcc_lo, 32, v3
	v_lshlrev_b32_e32 v2, 2, v1
	v_cndmask_b32_e32 v3, v0, v3, vcc_lo
	v_cmp_gt_i32_e32 vcc_lo, 32, v5
	ds_bpermute_b32 v1, v2, v7
	v_lshlrev_b32_e32 v3, 2, v3
	v_cndmask_b32_e32 v5, v0, v5, vcc_lo
	s_waitcnt lgkmcnt(0)
	v_max_f32_e32 v1, v1, v1
	v_max_f32_e32 v1, v4, v1
	ds_bpermute_b32 v4, v3, v1
	s_waitcnt lgkmcnt(0)
	v_max_f32_e32 v6, v4, v4
	v_lshlrev_b32_e32 v4, 2, v5
	v_max_f32_e32 v1, v1, v6
	v_xor_b32_e32 v6, 2, v0
	ds_bpermute_b32 v5, v4, v1
	v_cmp_gt_i32_e32 vcc_lo, 32, v6
	v_cndmask_b32_e32 v6, v0, v6, vcc_lo
	v_lshlrev_b32_e32 v18, 2, v6
	v_xor_b32_e32 v6, 1, v0
	v_cmp_gt_i32_e32 vcc_lo, 32, v6
	s_waitcnt lgkmcnt(0)
	v_max_f32_e32 v5, v5, v5
	v_cndmask_b32_e32 v6, v0, v6, vcc_lo
	v_max_f32_e32 v1, v1, v5
	v_lshlrev_b32_e32 v13, 2, v6
	ds_bpermute_b32 v5, v18, v1
	s_waitcnt lgkmcnt(0)
	v_max_f32_e32 v5, v5, v5
	v_max_f32_e32 v0, v1, v5
	buffer_load_dword v5, off, s[0:3], s32 offset:348 ; 4-byte Folded Reload
	ds_bpermute_b32 v1, v13, v0
	s_waitcnt vmcnt(0)
	v_cmp_eq_u32_e32 vcc_lo, 0, v5
	buffer_load_dword v5, off, s[0:3], s32 offset:352 ; 4-byte Folded Reload
	s_waitcnt vmcnt(0)
	v_lshlrev_b32_e32 v5, 2, v5
	s_and_saveexec_b32 s5, vcc_lo
	s_cbranch_execz .LBB323_971
; %bb.970:
	s_waitcnt lgkmcnt(0)
	v_max_f32_e32 v1, v1, v1
	v_max_f32_e32 v0, v0, v0
	v_max_f32_e32 v0, v0, v1
	ds_write_b32 v5, v0 offset:240
.LBB323_971:
	s_or_b32 exec_lo, exec_lo, s5
	buffer_load_dword v0, off, s[0:3], s32 offset:348 ; 4-byte Folded Reload
	s_waitcnt vmcnt(0) lgkmcnt(0)
	s_waitcnt_vscnt null, 0x0
	s_barrier
	buffer_gl0_inv
	v_cmp_gt_u32_e64 s5, 4, v0
	v_mov_b32_e32 v0, 0xff7fffff
	s_and_saveexec_b32 s6, s5
; %bb.972:
	ds_read_b32 v0, v10 offset:240
; %bb.973:
	s_or_b32 exec_lo, exec_lo, s6
	buffer_load_dword v6, off, s[0:3], s32 offset:256 ; 4-byte Folded Reload
	s_waitcnt lgkmcnt(0)
	ds_bpermute_b32 v1, v18, v0
	v_max_f32_e32 v0, v0, v0
	s_waitcnt lgkmcnt(0)
	v_max_f32_e32 v1, v1, v1
	v_max_f32_e32 v0, v0, v1
	ds_bpermute_b32 v1, v13, v0
	s_waitcnt lgkmcnt(0)
	v_max_f32_e32 v1, v1, v1
	v_max_f32_e32 v0, v0, v1
	s_waitcnt vmcnt(0)
	v_subrev_nc_u32_e32 v7, s9, v6
	v_mov_b32_e32 v6, 0
	v_lshl_add_u32 v1, v7, 5, s20
	ds_bpermute_b32 v0, v6, v0
	v_min_i32_e32 v1, v1, v33
	v_subrev_nc_u32_e32 v1, s20, v1
	v_cmp_lt_i32_e64 s6, v11, v1
	s_and_saveexec_b32 s9, s6
	s_cbranch_execz .LBB323_977
; %bb.974:
	s_getpc_b64 s[22:23]
	s_add_u32 s22, s22, llvm.amdgcn.dynlds.offset.table@rel32@lo+4
	s_addc_u32 s23, s23, llvm.amdgcn.dynlds.offset.table@rel32@hi+12
	s_ashr_i32 s17, s16, 31
	v_mov_b32_e32 v6, 0
	s_lshl_b64 s[24:25], s[16:17], 2
	v_mov_b32_e32 v8, v11
	s_add_u32 s22, s22, s24
	s_addc_u32 s23, s23, s25
	s_mov_b32 s13, 0
	s_load_dword s7, s[22:23], 0x0
	s_waitcnt lgkmcnt(0)
	v_lshl_add_u32 v7, v11, 2, s7
	.p2align	6
.LBB323_975:                            ; =>This Inner Loop Header: Depth=1
	ds_read_b32 v9, v7
	v_add_nc_u32_e32 v8, 0x80, v8
	v_cmp_ge_i32_e64 s7, v8, v1
	s_or_b32 s13, s7, s13
	s_waitcnt lgkmcnt(0)
	v_sub_f32_e32 v9, v9, v0
	v_mul_f32_e32 v9, 0x3fb8aa3b, v9
	v_exp_f32_e32 v9, v9
	ds_write_b32 v7, v9
	v_add_f32_e32 v6, v6, v9
	v_add_nc_u32_e32 v7, 0x200, v7
	s_andn2_b32 exec_lo, exec_lo, s13
	s_cbranch_execnz .LBB323_975
; %bb.976:
	s_or_b32 exec_lo, exec_lo, s13
.LBB323_977:
	s_or_b32 exec_lo, exec_lo, s9
	ds_bpermute_b32 v2, v2, v6
	s_waitcnt lgkmcnt(0)
	v_add_f32_e32 v2, v6, v2
	ds_bpermute_b32 v3, v3, v2
	s_waitcnt lgkmcnt(0)
	v_add_f32_e32 v2, v2, v3
	;; [unrolled: 3-line block ×5, first 2 shown]
	s_and_saveexec_b32 s7, vcc_lo
; %bb.978:
	ds_write_b32 v5, v2 offset:256
; %bb.979:
	s_or_b32 exec_lo, exec_lo, s7
	s_waitcnt lgkmcnt(0)
	s_barrier
	buffer_gl0_inv
	s_and_saveexec_b32 s7, s5
; %bb.980:
	ds_read_b32 v2, v10 offset:256
; %bb.981:
	s_or_b32 exec_lo, exec_lo, s7
	s_waitcnt lgkmcnt(0)
	ds_bpermute_b32 v3, v18, v2
	s_waitcnt lgkmcnt(0)
	v_add_f32_e32 v2, v2, v3
	ds_bpermute_b32 v3, v13, v2
	s_waitcnt lgkmcnt(0)
	v_add_f32_e32 v2, v2, v3
	v_mov_b32_e32 v3, 0
	ds_bpermute_b32 v2, v3, v2
	s_and_saveexec_b32 s5, s6
	s_cbranch_execz .LBB323_984
; %bb.982:
	s_waitcnt lgkmcnt(0)
	v_add_f32_e32 v4, 0x358637bd, v2
	s_getpc_b64 s[6:7]
	s_add_u32 s6, s6, llvm.amdgcn.dynlds.offset.table@rel32@lo+4
	s_addc_u32 s7, s7, llvm.amdgcn.dynlds.offset.table@rel32@hi+12
	s_ashr_i32 s17, s16, 31
	s_lshl_b64 s[22:23], s[16:17], 2
	v_div_scale_f32 v3, null, v4, v4, 1.0
	v_div_scale_f32 v7, vcc_lo, 1.0, v4, 1.0
	s_add_u32 s6, s6, s22
	v_rcp_f32_e32 v5, v3
	s_addc_u32 s7, s7, s23
	s_load_dword s6, s[6:7], 0x0
	v_fma_f32 v6, -v3, v5, 1.0
	v_fmac_f32_e32 v5, v6, v5
	v_mul_f32_e32 v6, v7, v5
	v_fma_f32 v8, -v3, v6, v7
	v_fmac_f32_e32 v6, v8, v5
	v_fma_f32 v3, -v3, v6, v7
	v_div_fmas_f32 v5, v3, v5, v6
	s_waitcnt lgkmcnt(0)
	v_lshl_add_u32 v3, v11, 2, s6
	s_mov_b32 s6, 0
	v_div_fixup_f32 v4, v5, v4, 1.0
	v_mov_b32_e32 v5, v11
.LBB323_983:                            ; =>This Inner Loop Header: Depth=1
	ds_read_b32 v6, v3
	v_add_nc_u32_e32 v5, 0x80, v5
	v_cmp_ge_i32_e32 vcc_lo, v5, v1
	s_or_b32 s6, vcc_lo, s6
	s_waitcnt lgkmcnt(0)
	v_mul_f32_e32 v6, v4, v6
	ds_write_b32 v3, v6
	v_add_nc_u32_e32 v3, 0x200, v3
	s_andn2_b32 exec_lo, exec_lo, s6
	s_cbranch_execnz .LBB323_983
.LBB323_984:
	s_or_b32 exec_lo, exec_lo, s5
	s_and_b32 s5, 0xffff, s11
	s_waitcnt lgkmcnt(0)
	s_cmp_lg_u32 s5, 0
	s_barrier
	s_cselect_b32 s5, -1, 0
	buffer_gl0_inv
	s_cmp_lg_u32 s5, 0
	s_addc_u32 s5, s8, 0
	s_mov_b32 s8, exec_lo
	s_mul_i32 s6, s5, s18
	s_mul_i32 s6, s6, s15
	v_cmpx_eq_u32_e32 0, v11
	s_cbranch_execz .LBB323_986
; %bb.985:
	s_ashr_i32 s7, s6, 31
	s_mul_i32 s12, s5, s12
	s_lshl_b64 s[22:23], s[6:7], 2
	s_ashr_i32 s13, s12, 31
	v_add_co_u32 v1, vcc_lo, v24, s22
	v_add_co_ci_u32_e64 v3, null, s23, v22, vcc_lo
	s_lshl_b64 s[12:13], s[12:13], 2
	s_ashr_i32 s15, s14, 31
	v_add_co_u32 v1, vcc_lo, v1, s12
	v_add_co_ci_u32_e64 v4, null, s13, v3, vcc_lo
	v_add_co_u32 v3, vcc_lo, v15, s22
	v_add_co_ci_u32_e64 v5, null, s23, v14, vcc_lo
	s_lshl_b64 s[22:23], s[14:15], 2
	v_add_co_u32 v6, vcc_lo, v3, s12
	v_add_co_ci_u32_e64 v7, null, s13, v5, vcc_lo
	v_add_co_u32 v3, vcc_lo, v1, s22
	v_add_co_ci_u32_e64 v4, null, s23, v4, vcc_lo
	;; [unrolled: 2-line block ×3, first 2 shown]
	flat_store_dword v[3:4], v0
	flat_store_dword v[5:6], v2
.LBB323_986:
	s_or_b32 exec_lo, exec_lo, s8
	s_and_saveexec_b32 s7, s4
	s_xor_b32 s4, exec_lo, s7
	s_cbranch_execz .LBB323_988
; %bb.987:
                                        ; implicit-def: $vgpr0
                                        ; kill: killed $vgpr0
	s_ashr_i32 s17, s16, 31
                                        ; implicit-def: $vgpr0
                                        ; kill: killed $vgpr0
                                        ; implicit-def: $vgpr33
                                        ; implicit-def: $vgpr26_vgpr27
                                        ; implicit-def: $vgpr0
	buffer_store_dword v0, off, s[0:3], s32 offset:192 ; 4-byte Folded Spill
	buffer_store_dword v1, off, s[0:3], s32 offset:196 ; 4-byte Folded Spill
                                        ; implicit-def: $vgpr0
                                        ; kill: killed $vgpr0
                                        ; implicit-def: $vgpr0
                                        ; kill: killed $vgpr0
	;; [unrolled: 2-line block ×7, first 2 shown]
                                        ; implicit-def: $vgpr0_vgpr1
                                        ; kill: killed $vgpr0_vgpr1
.LBB323_988:
	s_or_saveexec_b32 s7, s4
	v_mov_b32_e32 v0, s16
	v_mov_b32_e32 v49, 0
	;; [unrolled: 1-line block ×4, first 2 shown]
	v_and_b32_e32 v19, 3, v11
	v_mov_b32_e32 v52, 0
	v_mov_b32_e32 v51, 0
	;; [unrolled: 1-line block ×14, first 2 shown]
	s_xor_b32 exec_lo, exec_lo, s7
	s_cbranch_execz .LBB323_1982
; %bb.989:
	s_getpc_b64 s[8:9]
	s_add_u32 s8, s8, llvm.amdgcn.dynlds.offset.table@rel32@lo+4
	s_addc_u32 s9, s9, llvm.amdgcn.dynlds.offset.table@rel32@hi+12
	s_ashr_i32 s17, s16, 31
	v_lshlrev_b32_e32 v0, 3, v46
	s_lshl_b64 s[12:13], s[16:17], 2
	v_mov_b32_e32 v16, 0x80
	s_add_u32 s8, s8, s12
	s_addc_u32 s9, s9, s13
	v_and_b32_e32 v6, 24, v0
	s_load_dword s4, s[8:9], 0x0
	s_clause 0x1
	buffer_load_dword v1, off, s[0:3], s32 offset:376
	buffer_load_dword v2, off, s[0:3], s32 offset:388
	v_and_b32_e32 v0, 0xf8, v0
	v_mov_b32_e32 v17, 0x7f
	v_mov_b32_e32 v37, 7
	;; [unrolled: 1-line block ×18, first 2 shown]
	s_mov_b32 s8, -1
	s_mov_b32 s9, 0xffffff
	s_mov_b32 s11, 0
	s_waitcnt vmcnt(0)
	v_add_co_u32 v2, vcc_lo, v1, v2
	s_clause 0x1
	buffer_load_dword v1, off, s[0:3], s32 offset:372
	buffer_load_dword v3, off, s[0:3], s32 offset:392
	s_waitcnt vmcnt(0)
	v_add_co_ci_u32_e64 v3, null, v1, v3, vcc_lo
	s_clause 0x4
	buffer_load_dword v1, off, s[0:3], s32 offset:396
	buffer_load_dword v4, off, s[0:3], s32 offset:192
	;; [unrolled: 1-line block ×5, first 2 shown]
	v_add_co_u32 v2, vcc_lo, v2, v0
	v_add_co_ci_u32_e64 v3, null, 0, v3, vcc_lo
	v_lshlrev_b32_e32 v0, 5, v19
	s_waitcnt vmcnt(4)
	v_add_nc_u32_e32 v36, -1, v1
	s_waitcnt vmcnt(2)
	v_lshlrev_b64 v[4:5], 2, v[4:5]
	v_mov_b32_e32 v1, 0
	s_waitcnt vmcnt(1)
	v_add_co_u32 v4, vcc_lo, v7, v4
	buffer_load_dword v7, off, s[0:3], s32 offset:352 ; 4-byte Folded Reload
	s_waitcnt vmcnt(1)
	v_add_co_ci_u32_e64 v5, null, v8, v5, vcc_lo
	s_waitcnt vmcnt(0)
	v_lshl_add_u32 v9, v7, 5, s20
	v_lshl_or_b32 v0, v7, 7, v0
	buffer_load_dword v7, off, s[0:3], s32 offset:360 ; 4-byte Folded Reload
	v_add3_u32 v14, v9, v6, 7
	s_waitcnt lgkmcnt(0)
	v_add_nc_u32_e32 v15, s4, v0
	s_waitcnt vmcnt(0)
	v_add_co_u32 v7, vcc_lo, v7, v4
	buffer_load_dword v4, off, s[0:3], s32 offset:356 ; 4-byte Folded Reload
	s_waitcnt vmcnt(0)
	v_add_co_ci_u32_e64 v8, null, v4, v5, vcc_lo
	s_branch .LBB323_991
.LBB323_990:                            ;   in Loop: Header=BB323_991 Depth=1
	s_or_b32 exec_lo, exec_lo, s4
	v_add_f32_e32 v4, v4, v5
	v_add_f32_e32 v6, v6, v22
	;; [unrolled: 1-line block ×12, first 2 shown]
	;;#ASMSTART
	v_pk_mul_f16 v4, v67, v115;

	;;#ASMEND
	;;#ASMSTART
	v_pk_mul_f16 v0, v65, v0;

	;;#ASMEND
	v_add_f32_e32 v39, v39, v6
	;;#ASMSTART
	v_pk_mul_f16 v5, v64, v10;

	;;#ASMEND
	;;#ASMSTART
	v_pk_mul_f16 v6, v55, v9;

	;;#ASMEND
	;;#ASMSTART
	v_pk_add_f16 v0, v4, v0;

	;;#ASMEND
	;;#ASMSTART
	v_pk_add_f16 v0, v0, v5;
	;; [unrolled: 4-line block ×3, first 2 shown]

	;;#ASMEND
	v_and_b32_e32 v6, 0xffff, v0
	v_lshrrev_b32_e32 v9, 16, v0
	;;#ASMSTART
	v_cvt_f32_f16 v6, v6;
	;;#ASMEND
	;;#ASMSTART
	v_cvt_f32_f16 v9, v9;
	;;#ASMEND
	v_add_f32_e32 v6, v6, v9
	s_clause 0x1
	buffer_load_dword v9, off, s[0:3], s32 offset:192
	buffer_load_dword v10, off, s[0:3], s32 offset:196
	v_add_f32_e32 v0, v85, v86
	v_add_f32_e32 v23, v23, v32
	;; [unrolled: 1-line block ×9, first 2 shown]
	v_add_co_u32 v7, s4, v7, 16
	v_add_f32_e32 v25, v25, v34
	v_add_f32_e32 v28, v28, v23
	;; [unrolled: 1-line block ×7, first 2 shown]
	v_add_co_ci_u32_e64 v8, null, 0, v8, s4
	v_add_nc_u32_e32 v14, 0x80, v14
	v_add_nc_u32_e32 v15, 0x200, v15
	s_waitcnt vmcnt(1)
	v_add_nc_u32_e32 v9, 4, v9
	v_mov_b32_e32 v0, v9
	buffer_store_dword v0, off, s[0:3], s32 offset:192 ; 4-byte Folded Spill
	buffer_store_dword v1, off, s[0:3], s32 offset:196 ; 4-byte Folded Spill
	buffer_load_dword v0, off, s[0:3], s32 offset:256 ; 4-byte Folded Reload
	s_waitcnt vmcnt(0)
	v_cmp_ge_i32_e32 vcc_lo, v9, v0
	s_or_b32 s11, vcc_lo, s11
	s_andn2_b32 exec_lo, exec_lo, s11
	s_cbranch_execz .LBB323_1981
.LBB323_991:                            ; =>This Inner Loop Header: Depth=1
	flat_load_dword v0, v[7:8]
	ds_read2_b64 v[64:67], v15 offset1:1
	ds_read2_b64 v[68:71], v15 offset0:2 offset1:3
	s_waitcnt lgkmcnt(1)
	;;#ASMSTART
	v_cvt_f16_f32 v4, v64;

	;;#ASMEND
	buffer_load_dword v5, off, s[0:3], s32 offset:252 ; 4-byte Folded Reload
	v_mov_b32_e32 v64, 0
	s_waitcnt vmcnt(0)
	v_mad_i64_i32 v[9:10], null, v0, v5, v[2:3]
	;;#ASMSTART
	v_cvt_f16_f32 v5, v65;

	;;#ASMEND
	;;#ASMSTART
	v_cvt_f16_f32 v32, v66;

	;;#ASMEND
	;; [unrolled: 4-line block ×3, first 2 shown]
	s_waitcnt lgkmcnt(0)
	;;#ASMSTART
	v_cvt_f16_f32 v34, v68;

	;;#ASMEND
	;;#ASMSTART
	v_cvt_f16_f32 v22, v69;

	;;#ASMEND
	;; [unrolled: 4-line block ×4, first 2 shown]
	flat_load_dwordx2 v[11:12], v[9:10]
	flat_load_dword v55, v[26:27]
	s_waitcnt vmcnt(1) lgkmcnt(1)
	v_cmp_ne_u16_sdwa s12, v11, v1 src0_sel:BYTE_0 src1_sel:DWORD
	s_and_saveexec_b32 s4, s12
	s_cbranch_execz .LBB323_999
; %bb.992:                              ;   in Loop: Header=BB323_991 Depth=1
	v_cmp_ne_u16_sdwa s13, v11, v16 src0_sel:BYTE_0 src1_sel:DWORD
	v_mov_b32_e32 v64, 0x8000
	s_and_saveexec_b32 s12, s13
	s_cbranch_execz .LBB323_998
; %bb.993:                              ;   in Loop: Header=BB323_991 Depth=1
	v_and_b32_e32 v65, 0x7f, v11
	v_mov_b32_e32 v64, 0x7c01
	s_mov_b32 s13, exec_lo
	v_cmpx_ne_u32_e32 0x7f, v65
	s_cbranch_execz .LBB323_997
; %bb.994:                              ;   in Loop: Header=BB323_991 Depth=1
	v_and_b32_e32 v0, 7, v11
	v_lshrrev_b32_e32 v54, 3, v65
	s_mov_b32 s15, exec_lo
	v_cmpx_gt_u32_e32 8, v65
; %bb.995:                              ;   in Loop: Header=BB323_991 Depth=1
	v_ffbh_u32_e32 v0, v0
	v_min_u32_e32 v0, 32, v0
	v_subrev_nc_u32_e32 v54, 28, v0
	v_lshlrev_b64 v[64:65], v54, v[11:12]
	v_sub_nc_u32_e32 v54, 29, v0
	v_and_b32_e32 v0, 7, v64
; %bb.996:                              ;   in Loop: Header=BB323_991 Depth=1
	s_or_b32 exec_lo, exec_lo, s15
	v_lshlrev_b32_e32 v64, 8, v11
	v_lshl_add_u32 v54, v54, 10, 0x2000
	v_lshlrev_b32_e32 v0, 7, v0
	v_and_b32_e32 v64, 0x8000, v64
	v_and_b32_e32 v54, 0xfc00, v54
	v_or3_b32 v64, v64, v54, v0
.LBB323_997:                            ;   in Loop: Header=BB323_991 Depth=1
	s_or_b32 exec_lo, exec_lo, s13
.LBB323_998:                            ;   in Loop: Header=BB323_991 Depth=1
	s_or_b32 exec_lo, exec_lo, s12
.LBB323_999:                            ;   in Loop: Header=BB323_991 Depth=1
	s_or_b32 exec_lo, exec_lo, s4
	v_lshrrev_b16 v0, 8, v11
	v_mov_b32_e32 v54, 0
	v_mov_b32_e32 v65, 0
	s_mov_b32 s4, exec_lo
	v_cmpx_ne_u16_e32 0, v0
	s_cbranch_execz .LBB323_1007
; %bb.1000:                             ;   in Loop: Header=BB323_991 Depth=1
	v_bfrev_b32_e32 v65, 1
	s_mov_b32 s12, exec_lo
	v_cmpx_ne_u16_e32 0x80, v0
	s_cbranch_execz .LBB323_1006
; %bb.1001:                             ;   in Loop: Header=BB323_991 Depth=1
	v_and_b32_sdwa v67, v0, v17 dst_sel:DWORD dst_unused:UNUSED_PAD src0_sel:WORD_0 src1_sel:DWORD
	v_mov_b32_e32 v65, 0x7c010000
	s_mov_b32 s13, exec_lo
	v_cmpx_ne_u32_e32 0x7f, v67
	s_cbranch_execz .LBB323_1005
; %bb.1002:                             ;   in Loop: Header=BB323_991 Depth=1
	v_and_b32_sdwa v65, v0, v37 dst_sel:DWORD dst_unused:UNUSED_PAD src0_sel:WORD_0 src1_sel:DWORD
	v_lshrrev_b32_e32 v66, 3, v67
	s_mov_b32 s15, exec_lo
	v_cmpx_gt_u32_e32 8, v67
; %bb.1003:                             ;   in Loop: Header=BB323_991 Depth=1
	v_ffbh_u32_e32 v65, v65
	v_min_u32_e32 v67, 32, v65
	v_subrev_nc_u32_e32 v65, 28, v67
	v_lshlrev_b64 v[65:66], v65, v[0:1]
	v_sub_nc_u32_e32 v66, 29, v67
	v_and_b32_e32 v65, 7, v65
; %bb.1004:                             ;   in Loop: Header=BB323_991 Depth=1
	s_or_b32 exec_lo, exec_lo, s15
	v_lshlrev_b32_sdwa v0, v53, v0 dst_sel:DWORD dst_unused:UNUSED_PAD src0_sel:DWORD src1_sel:WORD_0
	v_lshl_add_u32 v66, v66, 10, 0x2000
	v_lshlrev_b32_e32 v65, 23, v65
	v_and_or_b32 v0, 0x8000, v0, v66
	v_lshl_or_b32 v65, v0, 16, v65
.LBB323_1005:                           ;   in Loop: Header=BB323_991 Depth=1
	s_or_b32 exec_lo, exec_lo, s13
.LBB323_1006:                           ;   in Loop: Header=BB323_991 Depth=1
	s_or_b32 exec_lo, exec_lo, s12
.LBB323_1007:                           ;   in Loop: Header=BB323_991 Depth=1
	s_or_b32 exec_lo, exec_lo, s4
	v_lshrrev_b32_e32 v0, 16, v11
	v_cmp_ne_u16_sdwa s12, v0, v1 src0_sel:BYTE_0 src1_sel:DWORD
	s_and_saveexec_b32 s4, s12
	s_cbranch_execz .LBB323_1015
; %bb.1008:                             ;   in Loop: Header=BB323_991 Depth=1
	v_cmp_ne_u16_sdwa s13, v0, v16 src0_sel:BYTE_0 src1_sel:DWORD
	v_mov_b32_e32 v54, 0x8000
	s_and_saveexec_b32 s12, s13
	s_cbranch_execz .LBB323_1014
; %bb.1009:                             ;   in Loop: Header=BB323_991 Depth=1
	v_bfe_u32 v67, v11, 16, 7
	v_mov_b32_e32 v54, 0x7c01
	s_mov_b32 s13, exec_lo
	v_cmpx_ne_u32_e32 0x7f, v67
	s_cbranch_execz .LBB323_1013
; %bb.1010:                             ;   in Loop: Header=BB323_991 Depth=1
	v_and_b32_e32 v54, 7, v0
	v_lshrrev_b32_e32 v66, 3, v67
	s_mov_b32 s15, exec_lo
	v_cmpx_gt_u32_e32 8, v67
; %bb.1011:                             ;   in Loop: Header=BB323_991 Depth=1
	v_ffbh_u32_e32 v54, v54
	v_min_u32_e32 v54, 32, v54
	v_subrev_nc_u32_e32 v66, 28, v54
	v_lshlrev_b64 v[67:68], v66, v[0:1]
	v_sub_nc_u32_e32 v66, 29, v54
	v_and_b32_e32 v54, 7, v67
; %bb.1012:                             ;   in Loop: Header=BB323_991 Depth=1
	s_or_b32 exec_lo, exec_lo, s15
	v_lshlrev_b32_e32 v0, 8, v0
	v_lshl_add_u32 v66, v66, 10, 0x2000
	v_lshlrev_b32_e32 v54, 7, v54
	v_and_b32_e32 v0, 0x8000, v0
	v_and_b32_e32 v66, 0xfc00, v66
	v_or3_b32 v54, v0, v66, v54
.LBB323_1013:                           ;   in Loop: Header=BB323_991 Depth=1
	s_or_b32 exec_lo, exec_lo, s13
.LBB323_1014:                           ;   in Loop: Header=BB323_991 Depth=1
	s_or_b32 exec_lo, exec_lo, s12
.LBB323_1015:                           ;   in Loop: Header=BB323_991 Depth=1
	s_or_b32 exec_lo, exec_lo, s4
	v_mov_b32_e32 v66, 0
	v_mov_b32_e32 v67, 0
	s_mov_b32 s4, exec_lo
	v_cmpx_lt_u32_e32 0xffffff, v11
	s_cbranch_execz .LBB323_1023
; %bb.1016:                             ;   in Loop: Header=BB323_991 Depth=1
	v_lshrrev_b32_e32 v0, 24, v11
	v_bfrev_b32_e32 v67, 1
	s_mov_b32 s12, exec_lo
	v_cmpx_ne_u32_e32 0x80, v0
	s_cbranch_execz .LBB323_1022
; %bb.1017:                             ;   in Loop: Header=BB323_991 Depth=1
	v_and_b32_e32 v69, 0x7f, v0
	v_mov_b32_e32 v67, 0x7c010000
	s_mov_b32 s13, exec_lo
	v_cmpx_ne_u32_e32 0x7f, v69
	s_cbranch_execz .LBB323_1021
; %bb.1018:                             ;   in Loop: Header=BB323_991 Depth=1
	v_and_b32_e32 v67, 7, v0
	v_lshrrev_b32_e32 v68, 3, v69
	s_mov_b32 s15, exec_lo
	v_cmpx_gt_u32_e32 8, v69
; %bb.1019:                             ;   in Loop: Header=BB323_991 Depth=1
	v_ffbh_u32_e32 v67, v67
	v_min_u32_e32 v69, 32, v67
	v_subrev_nc_u32_e32 v67, 28, v69
	v_lshlrev_b64 v[67:68], v67, v[0:1]
	v_sub_nc_u32_e32 v68, 29, v69
	v_and_b32_e32 v67, 7, v67
; %bb.1020:                             ;   in Loop: Header=BB323_991 Depth=1
	s_or_b32 exec_lo, exec_lo, s15
	v_lshlrev_b32_e32 v0, 8, v0
	v_lshl_add_u32 v68, v68, 10, 0x2000
	v_lshlrev_b32_e32 v67, 23, v67
	v_and_or_b32 v0, 0x8000, v0, v68
	v_lshl_or_b32 v67, v0, 16, v67
.LBB323_1021:                           ;   in Loop: Header=BB323_991 Depth=1
	s_or_b32 exec_lo, exec_lo, s13
.LBB323_1022:                           ;   in Loop: Header=BB323_991 Depth=1
	s_or_b32 exec_lo, exec_lo, s12
.LBB323_1023:                           ;   in Loop: Header=BB323_991 Depth=1
	s_or_b32 exec_lo, exec_lo, s4
	v_mov_b32_e32 v0, v12
	v_cmp_ne_u16_sdwa s12, v12, v1 src0_sel:BYTE_0 src1_sel:DWORD
	s_and_saveexec_b32 s4, s12
	s_cbranch_execz .LBB323_1031
; %bb.1024:                             ;   in Loop: Header=BB323_991 Depth=1
	v_cmp_ne_u16_sdwa s13, v12, v16 src0_sel:BYTE_0 src1_sel:DWORD
	v_mov_b32_e32 v66, 0x8000
	s_and_saveexec_b32 s12, s13
	s_cbranch_execz .LBB323_1030
; %bb.1025:                             ;   in Loop: Header=BB323_991 Depth=1
	v_and_b32_e32 v69, 0x7f, v12
	v_mov_b32_e32 v66, 0x7c01
	s_mov_b32 s13, exec_lo
	v_cmpx_ne_u32_e32 0x7f, v69
	s_cbranch_execz .LBB323_1029
; %bb.1026:                             ;   in Loop: Header=BB323_991 Depth=1
	v_and_b32_e32 v66, 7, v12
	v_lshrrev_b32_e32 v68, 3, v69
	s_mov_b32 s15, exec_lo
	v_cmpx_gt_u32_e32 8, v69
; %bb.1027:                             ;   in Loop: Header=BB323_991 Depth=1
	v_ffbh_u32_e32 v66, v66
	v_min_u32_e32 v66, 32, v66
	v_subrev_nc_u32_e32 v68, 28, v66
	v_lshlrev_b64 v[69:70], v68, v[0:1]
	v_sub_nc_u32_e32 v68, 29, v66
	v_and_b32_e32 v66, 7, v69
; %bb.1028:                             ;   in Loop: Header=BB323_991 Depth=1
	s_or_b32 exec_lo, exec_lo, s15
	v_lshlrev_b32_e32 v69, 8, v12
	v_lshl_add_u32 v68, v68, 10, 0x2000
	v_lshlrev_b32_e32 v66, 7, v66
	v_and_b32_e32 v69, 0x8000, v69
	v_and_b32_e32 v68, 0xfc00, v68
	v_or3_b32 v66, v69, v68, v66
.LBB323_1029:                           ;   in Loop: Header=BB323_991 Depth=1
	s_or_b32 exec_lo, exec_lo, s13
.LBB323_1030:                           ;   in Loop: Header=BB323_991 Depth=1
	s_or_b32 exec_lo, exec_lo, s12
.LBB323_1031:                           ;   in Loop: Header=BB323_991 Depth=1
	s_or_b32 exec_lo, exec_lo, s4
	v_lshrrev_b16 v0, 8, v0
	v_mov_b32_e32 v69, 0
	v_mov_b32_e32 v68, 0
	s_mov_b32 s4, exec_lo
	v_cmpx_ne_u16_e32 0, v0
	s_cbranch_execz .LBB323_1039
; %bb.1032:                             ;   in Loop: Header=BB323_991 Depth=1
	v_bfrev_b32_e32 v68, 1
	s_mov_b32 s12, exec_lo
	v_cmpx_ne_u16_e32 0x80, v0
	s_cbranch_execz .LBB323_1038
; %bb.1033:                             ;   in Loop: Header=BB323_991 Depth=1
	v_and_b32_sdwa v71, v0, v17 dst_sel:DWORD dst_unused:UNUSED_PAD src0_sel:WORD_0 src1_sel:DWORD
	v_mov_b32_e32 v68, 0x7c010000
	s_mov_b32 s13, exec_lo
	v_cmpx_ne_u32_e32 0x7f, v71
	s_cbranch_execz .LBB323_1037
; %bb.1034:                             ;   in Loop: Header=BB323_991 Depth=1
	v_and_b32_sdwa v68, v0, v37 dst_sel:DWORD dst_unused:UNUSED_PAD src0_sel:WORD_0 src1_sel:DWORD
	v_lshrrev_b32_e32 v70, 3, v71
	s_mov_b32 s15, exec_lo
	v_cmpx_gt_u32_e32 8, v71
; %bb.1035:                             ;   in Loop: Header=BB323_991 Depth=1
	v_ffbh_u32_e32 v68, v68
	v_min_u32_e32 v68, 32, v68
	v_subrev_nc_u32_e32 v70, 28, v68
	v_lshlrev_b64 v[80:81], v70, v[0:1]
	v_sub_nc_u32_e32 v70, 29, v68
	v_and_b32_e32 v68, 7, v80
; %bb.1036:                             ;   in Loop: Header=BB323_991 Depth=1
	s_or_b32 exec_lo, exec_lo, s15
	v_lshlrev_b32_sdwa v0, v53, v0 dst_sel:DWORD dst_unused:UNUSED_PAD src0_sel:DWORD src1_sel:WORD_0
	v_lshl_add_u32 v70, v70, 10, 0x2000
	v_lshlrev_b32_e32 v68, 23, v68
	v_and_or_b32 v0, 0x8000, v0, v70
	v_lshl_or_b32 v68, v0, 16, v68
.LBB323_1037:                           ;   in Loop: Header=BB323_991 Depth=1
	s_or_b32 exec_lo, exec_lo, s13
.LBB323_1038:                           ;   in Loop: Header=BB323_991 Depth=1
	s_or_b32 exec_lo, exec_lo, s12
.LBB323_1039:                           ;   in Loop: Header=BB323_991 Depth=1
	s_or_b32 exec_lo, exec_lo, s4
	v_lshrrev_b32_e32 v0, 16, v12
	v_cmp_ne_u16_sdwa s12, v0, v1 src0_sel:BYTE_0 src1_sel:DWORD
	s_and_saveexec_b32 s4, s12
	s_cbranch_execz .LBB323_1047
; %bb.1040:                             ;   in Loop: Header=BB323_991 Depth=1
	v_cmp_ne_u16_sdwa s13, v0, v16 src0_sel:BYTE_0 src1_sel:DWORD
	v_mov_b32_e32 v69, 0x8000
	s_and_saveexec_b32 s12, s13
	s_cbranch_execz .LBB323_1046
; %bb.1041:                             ;   in Loop: Header=BB323_991 Depth=1
	v_bfe_u32 v71, v12, 16, 7
	v_mov_b32_e32 v69, 0x7c01
	s_mov_b32 s13, exec_lo
	v_cmpx_ne_u32_e32 0x7f, v71
	s_cbranch_execz .LBB323_1045
; %bb.1042:                             ;   in Loop: Header=BB323_991 Depth=1
	v_and_b32_e32 v69, 7, v0
	v_lshrrev_b32_e32 v70, 3, v71
	s_mov_b32 s15, exec_lo
	v_cmpx_gt_u32_e32 8, v71
; %bb.1043:                             ;   in Loop: Header=BB323_991 Depth=1
	v_ffbh_u32_e32 v69, v69
	v_min_u32_e32 v71, 32, v69
	v_subrev_nc_u32_e32 v69, 28, v71
	v_lshlrev_b64 v[69:70], v69, v[0:1]
	v_sub_nc_u32_e32 v70, 29, v71
	v_and_b32_e32 v69, 7, v69
; %bb.1044:                             ;   in Loop: Header=BB323_991 Depth=1
	s_or_b32 exec_lo, exec_lo, s15
	v_lshlrev_b32_e32 v0, 8, v0
	v_lshl_add_u32 v70, v70, 10, 0x2000
	v_lshlrev_b32_e32 v69, 7, v69
	v_and_b32_e32 v0, 0x8000, v0
	v_and_b32_e32 v70, 0xfc00, v70
	v_or3_b32 v69, v0, v70, v69
.LBB323_1045:                           ;   in Loop: Header=BB323_991 Depth=1
	s_or_b32 exec_lo, exec_lo, s13
.LBB323_1046:                           ;   in Loop: Header=BB323_991 Depth=1
	s_or_b32 exec_lo, exec_lo, s12
.LBB323_1047:                           ;   in Loop: Header=BB323_991 Depth=1
	s_or_b32 exec_lo, exec_lo, s4
	v_cmp_lt_u64_e32 vcc_lo, s[8:9], v[11:12]
	v_mov_b32_e32 v11, 0
	s_and_saveexec_b32 s4, vcc_lo
	s_cbranch_execz .LBB323_1055
; %bb.1048:                             ;   in Loop: Header=BB323_991 Depth=1
	v_lshrrev_b32_e32 v0, 24, v12
	v_bfrev_b32_e32 v11, 1
	s_mov_b32 s12, exec_lo
	v_cmpx_ne_u32_e32 0x80, v0
	s_cbranch_execz .LBB323_1054
; %bb.1049:                             ;   in Loop: Header=BB323_991 Depth=1
	v_and_b32_e32 v70, 0x7f, v0
	v_mov_b32_e32 v11, 0x7c010000
	s_mov_b32 s13, exec_lo
	v_cmpx_ne_u32_e32 0x7f, v70
	s_cbranch_execz .LBB323_1053
; %bb.1050:                             ;   in Loop: Header=BB323_991 Depth=1
	v_and_b32_e32 v11, 7, v0
	v_lshrrev_b32_e32 v12, 3, v70
	s_mov_b32 s15, exec_lo
	v_cmpx_gt_u32_e32 8, v70
; %bb.1051:                             ;   in Loop: Header=BB323_991 Depth=1
	v_ffbh_u32_e32 v11, v11
	v_min_u32_e32 v70, 32, v11
	v_subrev_nc_u32_e32 v11, 28, v70
	v_lshlrev_b64 v[11:12], v11, v[0:1]
	v_sub_nc_u32_e32 v12, 29, v70
	v_and_b32_e32 v11, 7, v11
; %bb.1052:                             ;   in Loop: Header=BB323_991 Depth=1
	s_or_b32 exec_lo, exec_lo, s15
	v_lshlrev_b32_e32 v0, 8, v0
	v_lshl_add_u32 v12, v12, 10, 0x2000
	v_lshlrev_b32_e32 v11, 23, v11
	v_and_or_b32 v0, 0x8000, v0, v12
	v_lshl_or_b32 v11, v0, 16, v11
.LBB323_1053:                           ;   in Loop: Header=BB323_991 Depth=1
	s_or_b32 exec_lo, exec_lo, s13
.LBB323_1054:                           ;   in Loop: Header=BB323_991 Depth=1
	s_or_b32 exec_lo, exec_lo, s12
.LBB323_1055:                           ;   in Loop: Header=BB323_991 Depth=1
	s_or_b32 exec_lo, exec_lo, s4
	v_or_b32_e32 v0, v67, v54
	s_waitcnt vmcnt(0) lgkmcnt(0)
	v_fma_mixlo_f16 v12, v55, v67, 0 op_sel:[0,1,0] op_sel_hi:[0,1,0]
	v_or_b32_e32 v67, v65, v64
	v_fma_mixlo_f16 v64, v55, v65, 0 op_sel:[0,1,0] op_sel_hi:[0,1,0]
	v_or_b32_e32 v65, v68, v66
	v_fma_mixlo_f16 v0, v55, v0, 0 op_sel_hi:[0,1,0]
	v_or_b32_e32 v66, v11, v69
	v_fma_mixlo_f16 v11, v55, v11, 0 op_sel:[0,1,0] op_sel_hi:[0,1,0]
	v_lshlrev_b32_e32 v83, 16, v64
	v_lshlrev_b32_e32 v12, 16, v12
	v_and_b32_e32 v64, 0xffff, v0
	v_fma_mixlo_f16 v0, v55, v67, 0 op_sel_hi:[0,1,0]
	v_fma_mixlo_f16 v67, v55, v68, 0 op_sel:[0,1,0] op_sel_hi:[0,1,0]
	v_fma_mixlo_f16 v68, v55, v65, 0 op_sel_hi:[0,1,0]
	v_fma_mixlo_f16 v66, v55, v66, 0 op_sel_hi:[0,1,0]
	v_lshlrev_b32_e32 v55, 16, v11
	v_and_b32_e32 v85, 0xffff, v0
	v_lshlrev_b32_e32 v65, 16, v67
	v_and_b32_e32 v84, 0xffff, v68
	s_clause 0x1
	buffer_load_dword v68, off, s[0:3], s32 offset:192
	buffer_load_dword v69, off, s[0:3], s32 offset:196
	v_and_b32_e32 v67, 0xffff, v66
	v_add_nc_u32_e32 v54, -7, v14
	v_or_b32_e32 v0, v12, v64
	v_or_b32_e32 v11, v83, v85
	;; [unrolled: 1-line block ×3, first 2 shown]
	v_add_nc_u32_e32 v82, -6, v14
	v_add_nc_u32_e32 v81, -5, v14
	v_add_nc_u32_e32 v80, -4, v14
	v_add_nc_u32_e32 v71, -3, v14
	v_add_nc_u32_e32 v70, -2, v14
	s_waitcnt vmcnt(0)
	v_add_nc_u32_e32 v69, -1, v14
	v_cmp_eq_u32_e32 vcc_lo, v36, v68
	v_or_b32_e32 v68, v55, v67
	s_and_saveexec_b32 s12, vcc_lo
	s_cbranch_execz .LBB323_1057
; %bb.1056:                             ;   in Loop: Header=BB323_991 Depth=1
	v_cmp_lt_i32_e64 s4, v54, v33
	v_cndmask_b32_e64 v0, 0, v85, s4
	v_cmp_lt_i32_e64 s4, v82, v33
	v_cndmask_b32_e64 v11, 0, v83, s4
	v_cmp_lt_i32_e64 s4, v81, v33
	v_or_b32_e32 v11, v0, v11
	v_cndmask_b32_e64 v64, 0, v64, s4
	v_cmp_lt_i32_e64 s4, v80, v33
	v_cndmask_b32_e64 v12, 0, v12, s4
	v_cmp_lt_i32_e64 s4, v71, v33
	v_or_b32_e32 v0, v64, v12
	;; [unrolled: 5-line block ×3, first 2 shown]
	v_cndmask_b32_e64 v67, 0, v67, s4
	v_cmp_lt_i32_e64 s4, v14, v33
	v_cndmask_b32_e64 v55, 0, v55, s4
	v_or_b32_e32 v68, v67, v55
.LBB323_1057:                           ;   in Loop: Header=BB323_991 Depth=1
	s_or_b32 exec_lo, exec_lo, s12
	v_and_b32_e32 v4, 0xffff, v4
	v_and_b32_e32 v12, 0xffff, v32
	v_and_b32_e32 v32, 0xffff, v34
	v_and_b32_e32 v34, 0xffff, v35
	v_lshl_or_b32 v67, v5, 16, v4
	v_lshl_or_b32 v65, v6, 16, v12
	;;#ASMSTART
	v_pk_mul_f16 v4, v67, v11;

	;;#ASMEND
	;;#ASMSTART
	v_pk_mul_f16 v0, v65, v0;

	;;#ASMEND
	v_lshl_or_b32 v64, v22, 16, v32
	v_lshl_or_b32 v55, v23, 16, v34
	;;#ASMSTART
	v_pk_mul_f16 v5, v64, v66;

	;;#ASMEND
	;;#ASMSTART
	v_pk_mul_f16 v6, v55, v68;

	;;#ASMEND
	;;#ASMSTART
	v_pk_add_f16 v0, v4, v0;

	;;#ASMEND
	;;#ASMSTART
	v_pk_add_f16 v0, v0, v5;
	;; [unrolled: 4-line block ×3, first 2 shown]

	;;#ASMEND
	v_and_b32_e32 v4, 0xffff, v0
	v_lshrrev_b32_e32 v0, 16, v0
	;;#ASMSTART
	v_cvt_f32_f16 v66, v4;
	;;#ASMEND
	;;#ASMSTART
	v_cvt_f32_f16 v68, v0;
	;;#ASMEND
	flat_load_dwordx2 v[11:12], v[9:10] offset:256
	flat_load_dword v4, v[26:27]
	v_mov_b32_e32 v5, 0
	v_mov_b32_e32 v6, 0
	s_waitcnt vmcnt(1) lgkmcnt(1)
	v_cmp_ne_u16_sdwa s4, v11, v1 src0_sel:BYTE_0 src1_sel:DWORD
	s_and_saveexec_b32 s12, s4
	s_cbranch_execz .LBB323_1065
; %bb.1058:                             ;   in Loop: Header=BB323_991 Depth=1
	v_cmp_ne_u16_sdwa s4, v11, v16 src0_sel:BYTE_0 src1_sel:DWORD
	v_mov_b32_e32 v6, 0x8000
	s_and_saveexec_b32 s13, s4
	s_cbranch_execz .LBB323_1064
; %bb.1059:                             ;   in Loop: Header=BB323_991 Depth=1
	v_and_b32_e32 v22, 0x7f, v11
	v_mov_b32_e32 v6, 0x7c01
	s_mov_b32 s15, exec_lo
	v_cmpx_ne_u32_e32 0x7f, v22
	s_cbranch_execz .LBB323_1063
; %bb.1060:                             ;   in Loop: Header=BB323_991 Depth=1
	v_and_b32_e32 v0, 7, v11
	v_lshrrev_b32_e32 v6, 3, v22
	s_mov_b32 s18, exec_lo
	v_cmpx_gt_u32_e32 8, v22
; %bb.1061:                             ;   in Loop: Header=BB323_991 Depth=1
	v_ffbh_u32_e32 v0, v0
	v_min_u32_e32 v0, 32, v0
	v_subrev_nc_u32_e32 v6, 28, v0
	v_lshlrev_b64 v[22:23], v6, v[11:12]
	v_sub_nc_u32_e32 v6, 29, v0
	v_and_b32_e32 v0, 7, v22
; %bb.1062:                             ;   in Loop: Header=BB323_991 Depth=1
	s_or_b32 exec_lo, exec_lo, s18
	v_lshlrev_b32_e32 v22, 8, v11
	v_lshl_add_u32 v6, v6, 10, 0x2000
	v_lshlrev_b32_e32 v0, 7, v0
	v_and_b32_e32 v22, 0x8000, v22
	v_and_b32_e32 v6, 0xfc00, v6
	v_or3_b32 v6, v22, v6, v0
.LBB323_1063:                           ;   in Loop: Header=BB323_991 Depth=1
	s_or_b32 exec_lo, exec_lo, s15
.LBB323_1064:                           ;   in Loop: Header=BB323_991 Depth=1
	s_or_b32 exec_lo, exec_lo, s13
.LBB323_1065:                           ;   in Loop: Header=BB323_991 Depth=1
	s_or_b32 exec_lo, exec_lo, s12
	v_lshrrev_b16 v0, 8, v11
	s_mov_b32 s12, exec_lo
	v_cmpx_ne_u16_e32 0, v0
	s_cbranch_execz .LBB323_1073
; %bb.1066:                             ;   in Loop: Header=BB323_991 Depth=1
	v_bfrev_b32_e32 v5, 1
	s_mov_b32 s13, exec_lo
	v_cmpx_ne_u16_e32 0x80, v0
	s_cbranch_execz .LBB323_1072
; %bb.1067:                             ;   in Loop: Header=BB323_991 Depth=1
	v_and_b32_sdwa v23, v0, v17 dst_sel:DWORD dst_unused:UNUSED_PAD src0_sel:WORD_0 src1_sel:DWORD
	v_mov_b32_e32 v5, 0x7c010000
	s_mov_b32 s15, exec_lo
	v_cmpx_ne_u32_e32 0x7f, v23
	s_cbranch_execz .LBB323_1071
; %bb.1068:                             ;   in Loop: Header=BB323_991 Depth=1
	v_and_b32_sdwa v5, v0, v37 dst_sel:DWORD dst_unused:UNUSED_PAD src0_sel:WORD_0 src1_sel:DWORD
	v_lshrrev_b32_e32 v22, 3, v23
	s_mov_b32 s18, exec_lo
	v_cmpx_gt_u32_e32 8, v23
; %bb.1069:                             ;   in Loop: Header=BB323_991 Depth=1
	v_ffbh_u32_e32 v5, v5
	v_min_u32_e32 v5, 32, v5
	v_subrev_nc_u32_e32 v22, 28, v5
	v_lshlrev_b64 v[34:35], v22, v[0:1]
	v_sub_nc_u32_e32 v22, 29, v5
	v_and_b32_e32 v5, 7, v34
; %bb.1070:                             ;   in Loop: Header=BB323_991 Depth=1
	s_or_b32 exec_lo, exec_lo, s18
	v_lshlrev_b32_sdwa v0, v53, v0 dst_sel:DWORD dst_unused:UNUSED_PAD src0_sel:DWORD src1_sel:WORD_0
	v_lshl_add_u32 v22, v22, 10, 0x2000
	v_lshlrev_b32_e32 v5, 23, v5
	v_and_or_b32 v0, 0x8000, v0, v22
	v_lshl_or_b32 v5, v0, 16, v5
.LBB323_1071:                           ;   in Loop: Header=BB323_991 Depth=1
	s_or_b32 exec_lo, exec_lo, s15
.LBB323_1072:                           ;   in Loop: Header=BB323_991 Depth=1
	s_or_b32 exec_lo, exec_lo, s13
.LBB323_1073:                           ;   in Loop: Header=BB323_991 Depth=1
	s_or_b32 exec_lo, exec_lo, s12
	v_lshrrev_b32_e32 v0, 16, v11
	v_mov_b32_e32 v22, 0
	v_mov_b32_e32 v23, 0
	v_cmp_ne_u16_sdwa s4, v0, v1 src0_sel:BYTE_0 src1_sel:DWORD
	s_and_saveexec_b32 s12, s4
	s_cbranch_execz .LBB323_1081
; %bb.1074:                             ;   in Loop: Header=BB323_991 Depth=1
	v_cmp_ne_u16_sdwa s4, v0, v16 src0_sel:BYTE_0 src1_sel:DWORD
	v_mov_b32_e32 v23, 0x8000
	s_and_saveexec_b32 s13, s4
	s_cbranch_execz .LBB323_1080
; %bb.1075:                             ;   in Loop: Header=BB323_991 Depth=1
	v_bfe_u32 v34, v11, 16, 7
	v_mov_b32_e32 v23, 0x7c01
	s_mov_b32 s15, exec_lo
	v_cmpx_ne_u32_e32 0x7f, v34
	s_cbranch_execz .LBB323_1079
; %bb.1076:                             ;   in Loop: Header=BB323_991 Depth=1
	v_and_b32_e32 v23, 7, v0
	v_lshrrev_b32_e32 v32, 3, v34
	s_mov_b32 s18, exec_lo
	v_cmpx_gt_u32_e32 8, v34
; %bb.1077:                             ;   in Loop: Header=BB323_991 Depth=1
	v_ffbh_u32_e32 v23, v23
	v_min_u32_e32 v23, 32, v23
	v_subrev_nc_u32_e32 v32, 28, v23
	v_lshlrev_b64 v[34:35], v32, v[0:1]
	v_sub_nc_u32_e32 v32, 29, v23
	v_and_b32_e32 v23, 7, v34
; %bb.1078:                             ;   in Loop: Header=BB323_991 Depth=1
	s_or_b32 exec_lo, exec_lo, s18
	v_lshlrev_b32_e32 v0, 8, v0
	v_lshl_add_u32 v32, v32, 10, 0x2000
	v_lshlrev_b32_e32 v23, 7, v23
	v_and_b32_e32 v0, 0x8000, v0
	v_and_b32_e32 v32, 0xfc00, v32
	v_or3_b32 v23, v0, v32, v23
.LBB323_1079:                           ;   in Loop: Header=BB323_991 Depth=1
	s_or_b32 exec_lo, exec_lo, s15
.LBB323_1080:                           ;   in Loop: Header=BB323_991 Depth=1
	s_or_b32 exec_lo, exec_lo, s13
.LBB323_1081:                           ;   in Loop: Header=BB323_991 Depth=1
	s_or_b32 exec_lo, exec_lo, s12
	s_mov_b32 s12, exec_lo
	v_cmpx_lt_u32_e32 0xffffff, v11
	s_cbranch_execz .LBB323_1089
; %bb.1082:                             ;   in Loop: Header=BB323_991 Depth=1
	v_lshrrev_b32_e32 v0, 24, v11
	v_bfrev_b32_e32 v22, 1
	s_mov_b32 s13, exec_lo
	v_cmpx_ne_u32_e32 0x80, v0
	s_cbranch_execz .LBB323_1088
; %bb.1083:                             ;   in Loop: Header=BB323_991 Depth=1
	v_and_b32_e32 v34, 0x7f, v0
	v_mov_b32_e32 v22, 0x7c010000
	s_mov_b32 s15, exec_lo
	v_cmpx_ne_u32_e32 0x7f, v34
	s_cbranch_execz .LBB323_1087
; %bb.1084:                             ;   in Loop: Header=BB323_991 Depth=1
	v_and_b32_e32 v22, 7, v0
	v_lshrrev_b32_e32 v32, 3, v34
	s_mov_b32 s18, exec_lo
	v_cmpx_gt_u32_e32 8, v34
; %bb.1085:                             ;   in Loop: Header=BB323_991 Depth=1
	v_ffbh_u32_e32 v22, v22
	v_min_u32_e32 v22, 32, v22
	v_subrev_nc_u32_e32 v32, 28, v22
	v_lshlrev_b64 v[34:35], v32, v[0:1]
	v_sub_nc_u32_e32 v32, 29, v22
	v_and_b32_e32 v22, 7, v34
; %bb.1086:                             ;   in Loop: Header=BB323_991 Depth=1
	s_or_b32 exec_lo, exec_lo, s18
	v_lshlrev_b32_e32 v0, 8, v0
	v_lshl_add_u32 v32, v32, 10, 0x2000
	v_lshlrev_b32_e32 v22, 23, v22
	v_and_or_b32 v0, 0x8000, v0, v32
	v_lshl_or_b32 v22, v0, 16, v22
.LBB323_1087:                           ;   in Loop: Header=BB323_991 Depth=1
	s_or_b32 exec_lo, exec_lo, s15
.LBB323_1088:                           ;   in Loop: Header=BB323_991 Depth=1
	s_or_b32 exec_lo, exec_lo, s13
.LBB323_1089:                           ;   in Loop: Header=BB323_991 Depth=1
	s_or_b32 exec_lo, exec_lo, s12
	v_mov_b32_e32 v0, v12
	v_cmp_ne_u16_sdwa s4, v12, v1 src0_sel:BYTE_0 src1_sel:DWORD
	v_mov_b32_e32 v32, 0
	v_mov_b32_e32 v34, 0
	s_and_saveexec_b32 s12, s4
	s_cbranch_execz .LBB323_1097
; %bb.1090:                             ;   in Loop: Header=BB323_991 Depth=1
	v_cmp_ne_u16_sdwa s4, v12, v16 src0_sel:BYTE_0 src1_sel:DWORD
	v_mov_b32_e32 v34, 0x8000
	s_and_saveexec_b32 s13, s4
	s_cbranch_execz .LBB323_1096
; %bb.1091:                             ;   in Loop: Header=BB323_991 Depth=1
	v_and_b32_e32 v83, 0x7f, v12
	v_mov_b32_e32 v34, 0x7c01
	s_mov_b32 s15, exec_lo
	v_cmpx_ne_u32_e32 0x7f, v83
	s_cbranch_execz .LBB323_1095
; %bb.1092:                             ;   in Loop: Header=BB323_991 Depth=1
	v_and_b32_e32 v34, 7, v12
	v_lshrrev_b32_e32 v35, 3, v83
	s_mov_b32 s18, exec_lo
	v_cmpx_gt_u32_e32 8, v83
; %bb.1093:                             ;   in Loop: Header=BB323_991 Depth=1
	v_ffbh_u32_e32 v34, v34
	v_min_u32_e32 v83, 32, v34
	v_subrev_nc_u32_e32 v34, 28, v83
	v_lshlrev_b64 v[34:35], v34, v[0:1]
	v_sub_nc_u32_e32 v35, 29, v83
	v_and_b32_e32 v34, 7, v34
; %bb.1094:                             ;   in Loop: Header=BB323_991 Depth=1
	s_or_b32 exec_lo, exec_lo, s18
	v_lshlrev_b32_e32 v83, 8, v12
	v_lshl_add_u32 v35, v35, 10, 0x2000
	v_lshlrev_b32_e32 v34, 7, v34
	v_and_b32_e32 v83, 0x8000, v83
	v_and_b32_e32 v35, 0xfc00, v35
	v_or3_b32 v34, v83, v35, v34
.LBB323_1095:                           ;   in Loop: Header=BB323_991 Depth=1
	s_or_b32 exec_lo, exec_lo, s15
.LBB323_1096:                           ;   in Loop: Header=BB323_991 Depth=1
	s_or_b32 exec_lo, exec_lo, s13
.LBB323_1097:                           ;   in Loop: Header=BB323_991 Depth=1
	s_or_b32 exec_lo, exec_lo, s12
	v_lshrrev_b16 v0, 8, v0
	v_mov_b32_e32 v35, 0
	s_mov_b32 s12, exec_lo
	v_cmpx_ne_u16_e32 0, v0
	s_cbranch_execz .LBB323_1105
; %bb.1098:                             ;   in Loop: Header=BB323_991 Depth=1
	v_bfrev_b32_e32 v35, 1
	s_mov_b32 s13, exec_lo
	v_cmpx_ne_u16_e32 0x80, v0
	s_cbranch_execz .LBB323_1104
; %bb.1099:                             ;   in Loop: Header=BB323_991 Depth=1
	v_and_b32_sdwa v84, v0, v17 dst_sel:DWORD dst_unused:UNUSED_PAD src0_sel:WORD_0 src1_sel:DWORD
	v_mov_b32_e32 v35, 0x7c010000
	s_mov_b32 s15, exec_lo
	v_cmpx_ne_u32_e32 0x7f, v84
	s_cbranch_execz .LBB323_1103
; %bb.1100:                             ;   in Loop: Header=BB323_991 Depth=1
	v_and_b32_sdwa v35, v0, v37 dst_sel:DWORD dst_unused:UNUSED_PAD src0_sel:WORD_0 src1_sel:DWORD
	v_lshrrev_b32_e32 v83, 3, v84
	s_mov_b32 s18, exec_lo
	v_cmpx_gt_u32_e32 8, v84
; %bb.1101:                             ;   in Loop: Header=BB323_991 Depth=1
	v_ffbh_u32_e32 v35, v35
	v_min_u32_e32 v35, 32, v35
	v_subrev_nc_u32_e32 v83, 28, v35
	v_lshlrev_b64 v[84:85], v83, v[0:1]
	v_sub_nc_u32_e32 v83, 29, v35
	v_and_b32_e32 v35, 7, v84
; %bb.1102:                             ;   in Loop: Header=BB323_991 Depth=1
	s_or_b32 exec_lo, exec_lo, s18
	v_lshlrev_b32_sdwa v0, v53, v0 dst_sel:DWORD dst_unused:UNUSED_PAD src0_sel:DWORD src1_sel:WORD_0
	v_lshl_add_u32 v83, v83, 10, 0x2000
	v_lshlrev_b32_e32 v35, 23, v35
	v_and_or_b32 v0, 0x8000, v0, v83
	v_lshl_or_b32 v35, v0, 16, v35
.LBB323_1103:                           ;   in Loop: Header=BB323_991 Depth=1
	s_or_b32 exec_lo, exec_lo, s15
.LBB323_1104:                           ;   in Loop: Header=BB323_991 Depth=1
	s_or_b32 exec_lo, exec_lo, s13
.LBB323_1105:                           ;   in Loop: Header=BB323_991 Depth=1
	s_or_b32 exec_lo, exec_lo, s12
	v_lshrrev_b32_e32 v0, 16, v12
	v_cmp_ne_u16_sdwa s4, v0, v1 src0_sel:BYTE_0 src1_sel:DWORD
	s_and_saveexec_b32 s12, s4
	s_cbranch_execz .LBB323_1113
; %bb.1106:                             ;   in Loop: Header=BB323_991 Depth=1
	v_cmp_ne_u16_sdwa s4, v0, v16 src0_sel:BYTE_0 src1_sel:DWORD
	v_mov_b32_e32 v32, 0x8000
	s_and_saveexec_b32 s13, s4
	s_cbranch_execz .LBB323_1112
; %bb.1107:                             ;   in Loop: Header=BB323_991 Depth=1
	v_bfe_u32 v84, v12, 16, 7
	v_mov_b32_e32 v32, 0x7c01
	s_mov_b32 s15, exec_lo
	v_cmpx_ne_u32_e32 0x7f, v84
	s_cbranch_execz .LBB323_1111
; %bb.1108:                             ;   in Loop: Header=BB323_991 Depth=1
	v_and_b32_e32 v32, 7, v0
	v_lshrrev_b32_e32 v83, 3, v84
	s_mov_b32 s18, exec_lo
	v_cmpx_gt_u32_e32 8, v84
; %bb.1109:                             ;   in Loop: Header=BB323_991 Depth=1
	v_ffbh_u32_e32 v32, v32
	v_min_u32_e32 v32, 32, v32
	v_subrev_nc_u32_e32 v83, 28, v32
	v_lshlrev_b64 v[84:85], v83, v[0:1]
	v_sub_nc_u32_e32 v83, 29, v32
	v_and_b32_e32 v32, 7, v84
; %bb.1110:                             ;   in Loop: Header=BB323_991 Depth=1
	s_or_b32 exec_lo, exec_lo, s18
	v_lshlrev_b32_e32 v0, 8, v0
	v_lshl_add_u32 v83, v83, 10, 0x2000
	v_lshlrev_b32_e32 v32, 7, v32
	v_and_b32_e32 v0, 0x8000, v0
	v_and_b32_e32 v83, 0xfc00, v83
	v_or3_b32 v32, v0, v83, v32
.LBB323_1111:                           ;   in Loop: Header=BB323_991 Depth=1
	s_or_b32 exec_lo, exec_lo, s15
.LBB323_1112:                           ;   in Loop: Header=BB323_991 Depth=1
	s_or_b32 exec_lo, exec_lo, s13
.LBB323_1113:                           ;   in Loop: Header=BB323_991 Depth=1
	s_or_b32 exec_lo, exec_lo, s12
	v_cmp_lt_u64_e64 s4, s[8:9], v[11:12]
	v_mov_b32_e32 v11, 0
	s_and_saveexec_b32 s12, s4
	s_cbranch_execz .LBB323_1121
; %bb.1114:                             ;   in Loop: Header=BB323_991 Depth=1
	v_lshrrev_b32_e32 v0, 24, v12
	v_bfrev_b32_e32 v11, 1
	s_mov_b32 s13, exec_lo
	v_cmpx_ne_u32_e32 0x80, v0
	s_cbranch_execz .LBB323_1120
; %bb.1115:                             ;   in Loop: Header=BB323_991 Depth=1
	v_and_b32_e32 v83, 0x7f, v0
	v_mov_b32_e32 v11, 0x7c010000
	s_mov_b32 s15, exec_lo
	v_cmpx_ne_u32_e32 0x7f, v83
	s_cbranch_execz .LBB323_1119
; %bb.1116:                             ;   in Loop: Header=BB323_991 Depth=1
	v_and_b32_e32 v11, 7, v0
	v_lshrrev_b32_e32 v12, 3, v83
	s_mov_b32 s18, exec_lo
	v_cmpx_gt_u32_e32 8, v83
; %bb.1117:                             ;   in Loop: Header=BB323_991 Depth=1
	v_ffbh_u32_e32 v11, v11
	v_min_u32_e32 v83, 32, v11
	v_subrev_nc_u32_e32 v11, 28, v83
	v_lshlrev_b64 v[11:12], v11, v[0:1]
	v_sub_nc_u32_e32 v12, 29, v83
	v_and_b32_e32 v11, 7, v11
; %bb.1118:                             ;   in Loop: Header=BB323_991 Depth=1
	s_or_b32 exec_lo, exec_lo, s18
	v_lshlrev_b32_e32 v0, 8, v0
	v_lshl_add_u32 v12, v12, 10, 0x2000
	v_lshlrev_b32_e32 v11, 23, v11
	v_and_or_b32 v0, 0x8000, v0, v12
	v_lshl_or_b32 v11, v0, 16, v11
.LBB323_1119:                           ;   in Loop: Header=BB323_991 Depth=1
	s_or_b32 exec_lo, exec_lo, s15
.LBB323_1120:                           ;   in Loop: Header=BB323_991 Depth=1
	s_or_b32 exec_lo, exec_lo, s13
.LBB323_1121:                           ;   in Loop: Header=BB323_991 Depth=1
	s_or_b32 exec_lo, exec_lo, s12
	v_or_b32_e32 v0, v22, v23
	s_waitcnt vmcnt(0) lgkmcnt(0)
	v_fma_mixlo_f16 v12, v4, v22, 0 op_sel:[0,1,0] op_sel_hi:[0,1,0]
	v_or_b32_e32 v6, v5, v6
	v_fma_mixlo_f16 v5, v4, v5, 0 op_sel:[0,1,0] op_sel_hi:[0,1,0]
	v_or_b32_e32 v22, v35, v34
	v_fma_mixlo_f16 v23, v4, v0, 0 op_sel_hi:[0,1,0]
	v_or_b32_e32 v32, v11, v32
	v_lshlrev_b32_e32 v0, 16, v12
	v_lshlrev_b32_e32 v12, 16, v5
	v_fma_mixlo_f16 v6, v4, v6, 0 op_sel_hi:[0,1,0]
	v_and_b32_e32 v5, 0xffff, v23
	v_fma_mixlo_f16 v23, v4, v35, 0 op_sel:[0,1,0] op_sel_hi:[0,1,0]
	v_fma_mixlo_f16 v22, v4, v22, 0 op_sel_hi:[0,1,0]
	v_fma_mixlo_f16 v11, v4, v11, 0 op_sel:[0,1,0] op_sel_hi:[0,1,0]
	v_fma_mixlo_f16 v32, v4, v32, 0 op_sel_hi:[0,1,0]
	v_and_b32_e32 v83, 0xffff, v6
	v_lshlrev_b32_e32 v6, 16, v23
	v_and_b32_e32 v23, 0xffff, v22
	v_lshlrev_b32_e32 v4, 16, v11
	v_and_b32_e32 v11, 0xffff, v32
	v_or_b32_e32 v22, v0, v5
	v_or_b32_e32 v35, v12, v83
	;; [unrolled: 1-line block ×4, first 2 shown]
	s_and_saveexec_b32 s12, vcc_lo
	s_cbranch_execz .LBB323_1123
; %bb.1122:                             ;   in Loop: Header=BB323_991 Depth=1
	v_cmp_lt_i32_e64 s4, v54, v33
	v_cndmask_b32_e64 v22, 0, v83, s4
	v_cmp_lt_i32_e64 s4, v82, v33
	v_cndmask_b32_e64 v12, 0, v12, s4
	v_cmp_lt_i32_e64 s4, v81, v33
	v_or_b32_e32 v35, v22, v12
	v_cndmask_b32_e64 v5, 0, v5, s4
	v_cmp_lt_i32_e64 s4, v80, v33
	v_cndmask_b32_e64 v0, 0, v0, s4
	v_cmp_lt_i32_e64 s4, v71, v33
	v_or_b32_e32 v22, v5, v0
	;; [unrolled: 5-line block ×3, first 2 shown]
	v_cndmask_b32_e64 v11, 0, v11, s4
	v_cmp_lt_i32_e64 s4, v14, v33
	v_cndmask_b32_e64 v4, 0, v4, s4
	v_or_b32_e32 v32, v11, v4
.LBB323_1123:                           ;   in Loop: Header=BB323_991 Depth=1
	s_or_b32 exec_lo, exec_lo, s12
	;;#ASMSTART
	v_pk_mul_f16 v0, v67, v35;

	;;#ASMEND
	;;#ASMSTART
	v_pk_mul_f16 v4, v65, v22;

	;;#ASMEND
	;; [unrolled: 4-line block ×4, first 2 shown]
	;;#ASMSTART
	v_pk_add_f16 v0, v0, v4;

	;;#ASMEND
	;;#ASMSTART
	v_pk_add_f16 v0, v0, v5;

	;;#ASMEND
	;; [unrolled: 4-line block ×3, first 2 shown]
	v_and_b32_e32 v4, 0xffff, v0
	v_lshrrev_b32_e32 v0, 16, v0
	;;#ASMSTART
	v_cvt_f32_f16 v83, v4;
	;;#ASMEND
	;;#ASMSTART
	v_cvt_f32_f16 v84, v0;
	;;#ASMEND
	flat_load_dwordx2 v[11:12], v[9:10] offset:512
	flat_load_dword v4, v[26:27]
	v_mov_b32_e32 v5, 0
	v_mov_b32_e32 v6, 0
	s_waitcnt vmcnt(1) lgkmcnt(1)
	v_cmp_ne_u16_sdwa s4, v11, v1 src0_sel:BYTE_0 src1_sel:DWORD
	s_and_saveexec_b32 s12, s4
	s_cbranch_execz .LBB323_1131
; %bb.1124:                             ;   in Loop: Header=BB323_991 Depth=1
	v_cmp_ne_u16_sdwa s4, v11, v16 src0_sel:BYTE_0 src1_sel:DWORD
	v_mov_b32_e32 v6, 0x8000
	s_and_saveexec_b32 s13, s4
	s_cbranch_execz .LBB323_1130
; %bb.1125:                             ;   in Loop: Header=BB323_991 Depth=1
	v_and_b32_e32 v22, 0x7f, v11
	v_mov_b32_e32 v6, 0x7c01
	s_mov_b32 s15, exec_lo
	v_cmpx_ne_u32_e32 0x7f, v22
	s_cbranch_execz .LBB323_1129
; %bb.1126:                             ;   in Loop: Header=BB323_991 Depth=1
	v_and_b32_e32 v0, 7, v11
	v_lshrrev_b32_e32 v6, 3, v22
	s_mov_b32 s18, exec_lo
	v_cmpx_gt_u32_e32 8, v22
; %bb.1127:                             ;   in Loop: Header=BB323_991 Depth=1
	v_ffbh_u32_e32 v0, v0
	v_min_u32_e32 v0, 32, v0
	v_subrev_nc_u32_e32 v6, 28, v0
	v_lshlrev_b64 v[22:23], v6, v[11:12]
	v_sub_nc_u32_e32 v6, 29, v0
	v_and_b32_e32 v0, 7, v22
; %bb.1128:                             ;   in Loop: Header=BB323_991 Depth=1
	s_or_b32 exec_lo, exec_lo, s18
	v_lshlrev_b32_e32 v22, 8, v11
	v_lshl_add_u32 v6, v6, 10, 0x2000
	v_lshlrev_b32_e32 v0, 7, v0
	v_and_b32_e32 v22, 0x8000, v22
	v_and_b32_e32 v6, 0xfc00, v6
	v_or3_b32 v6, v22, v6, v0
.LBB323_1129:                           ;   in Loop: Header=BB323_991 Depth=1
	s_or_b32 exec_lo, exec_lo, s15
.LBB323_1130:                           ;   in Loop: Header=BB323_991 Depth=1
	s_or_b32 exec_lo, exec_lo, s13
.LBB323_1131:                           ;   in Loop: Header=BB323_991 Depth=1
	s_or_b32 exec_lo, exec_lo, s12
	v_lshrrev_b16 v0, 8, v11
	s_mov_b32 s12, exec_lo
	v_cmpx_ne_u16_e32 0, v0
	s_cbranch_execz .LBB323_1139
; %bb.1132:                             ;   in Loop: Header=BB323_991 Depth=1
	v_bfrev_b32_e32 v5, 1
	s_mov_b32 s13, exec_lo
	v_cmpx_ne_u16_e32 0x80, v0
	s_cbranch_execz .LBB323_1138
; %bb.1133:                             ;   in Loop: Header=BB323_991 Depth=1
	v_and_b32_sdwa v23, v0, v17 dst_sel:DWORD dst_unused:UNUSED_PAD src0_sel:WORD_0 src1_sel:DWORD
	v_mov_b32_e32 v5, 0x7c010000
	s_mov_b32 s15, exec_lo
	v_cmpx_ne_u32_e32 0x7f, v23
	s_cbranch_execz .LBB323_1137
; %bb.1134:                             ;   in Loop: Header=BB323_991 Depth=1
	v_and_b32_sdwa v5, v0, v37 dst_sel:DWORD dst_unused:UNUSED_PAD src0_sel:WORD_0 src1_sel:DWORD
	v_lshrrev_b32_e32 v22, 3, v23
	s_mov_b32 s18, exec_lo
	v_cmpx_gt_u32_e32 8, v23
; %bb.1135:                             ;   in Loop: Header=BB323_991 Depth=1
	v_ffbh_u32_e32 v5, v5
	v_min_u32_e32 v5, 32, v5
	v_subrev_nc_u32_e32 v22, 28, v5
	v_lshlrev_b64 v[34:35], v22, v[0:1]
	v_sub_nc_u32_e32 v22, 29, v5
	v_and_b32_e32 v5, 7, v34
; %bb.1136:                             ;   in Loop: Header=BB323_991 Depth=1
	s_or_b32 exec_lo, exec_lo, s18
	v_lshlrev_b32_sdwa v0, v53, v0 dst_sel:DWORD dst_unused:UNUSED_PAD src0_sel:DWORD src1_sel:WORD_0
	v_lshl_add_u32 v22, v22, 10, 0x2000
	v_lshlrev_b32_e32 v5, 23, v5
	v_and_or_b32 v0, 0x8000, v0, v22
	v_lshl_or_b32 v5, v0, 16, v5
.LBB323_1137:                           ;   in Loop: Header=BB323_991 Depth=1
	s_or_b32 exec_lo, exec_lo, s15
.LBB323_1138:                           ;   in Loop: Header=BB323_991 Depth=1
	s_or_b32 exec_lo, exec_lo, s13
.LBB323_1139:                           ;   in Loop: Header=BB323_991 Depth=1
	s_or_b32 exec_lo, exec_lo, s12
	v_lshrrev_b32_e32 v0, 16, v11
	v_mov_b32_e32 v22, 0
	v_mov_b32_e32 v23, 0
	v_cmp_ne_u16_sdwa s4, v0, v1 src0_sel:BYTE_0 src1_sel:DWORD
	s_and_saveexec_b32 s12, s4
	s_cbranch_execz .LBB323_1147
; %bb.1140:                             ;   in Loop: Header=BB323_991 Depth=1
	v_cmp_ne_u16_sdwa s4, v0, v16 src0_sel:BYTE_0 src1_sel:DWORD
	v_mov_b32_e32 v23, 0x8000
	s_and_saveexec_b32 s13, s4
	s_cbranch_execz .LBB323_1146
; %bb.1141:                             ;   in Loop: Header=BB323_991 Depth=1
	v_bfe_u32 v34, v11, 16, 7
	v_mov_b32_e32 v23, 0x7c01
	s_mov_b32 s15, exec_lo
	v_cmpx_ne_u32_e32 0x7f, v34
	s_cbranch_execz .LBB323_1145
; %bb.1142:                             ;   in Loop: Header=BB323_991 Depth=1
	v_and_b32_e32 v23, 7, v0
	v_lshrrev_b32_e32 v32, 3, v34
	s_mov_b32 s18, exec_lo
	v_cmpx_gt_u32_e32 8, v34
; %bb.1143:                             ;   in Loop: Header=BB323_991 Depth=1
	v_ffbh_u32_e32 v23, v23
	v_min_u32_e32 v23, 32, v23
	v_subrev_nc_u32_e32 v32, 28, v23
	v_lshlrev_b64 v[34:35], v32, v[0:1]
	v_sub_nc_u32_e32 v32, 29, v23
	v_and_b32_e32 v23, 7, v34
; %bb.1144:                             ;   in Loop: Header=BB323_991 Depth=1
	s_or_b32 exec_lo, exec_lo, s18
	v_lshlrev_b32_e32 v0, 8, v0
	v_lshl_add_u32 v32, v32, 10, 0x2000
	v_lshlrev_b32_e32 v23, 7, v23
	v_and_b32_e32 v0, 0x8000, v0
	v_and_b32_e32 v32, 0xfc00, v32
	v_or3_b32 v23, v0, v32, v23
.LBB323_1145:                           ;   in Loop: Header=BB323_991 Depth=1
	s_or_b32 exec_lo, exec_lo, s15
.LBB323_1146:                           ;   in Loop: Header=BB323_991 Depth=1
	s_or_b32 exec_lo, exec_lo, s13
.LBB323_1147:                           ;   in Loop: Header=BB323_991 Depth=1
	s_or_b32 exec_lo, exec_lo, s12
	s_mov_b32 s12, exec_lo
	v_cmpx_lt_u32_e32 0xffffff, v11
	s_cbranch_execz .LBB323_1155
; %bb.1148:                             ;   in Loop: Header=BB323_991 Depth=1
	v_lshrrev_b32_e32 v0, 24, v11
	v_bfrev_b32_e32 v22, 1
	s_mov_b32 s13, exec_lo
	v_cmpx_ne_u32_e32 0x80, v0
	s_cbranch_execz .LBB323_1154
; %bb.1149:                             ;   in Loop: Header=BB323_991 Depth=1
	v_and_b32_e32 v34, 0x7f, v0
	v_mov_b32_e32 v22, 0x7c010000
	s_mov_b32 s15, exec_lo
	v_cmpx_ne_u32_e32 0x7f, v34
	s_cbranch_execz .LBB323_1153
; %bb.1150:                             ;   in Loop: Header=BB323_991 Depth=1
	v_and_b32_e32 v22, 7, v0
	v_lshrrev_b32_e32 v32, 3, v34
	s_mov_b32 s18, exec_lo
	v_cmpx_gt_u32_e32 8, v34
; %bb.1151:                             ;   in Loop: Header=BB323_991 Depth=1
	v_ffbh_u32_e32 v22, v22
	v_min_u32_e32 v22, 32, v22
	v_subrev_nc_u32_e32 v32, 28, v22
	v_lshlrev_b64 v[34:35], v32, v[0:1]
	v_sub_nc_u32_e32 v32, 29, v22
	v_and_b32_e32 v22, 7, v34
; %bb.1152:                             ;   in Loop: Header=BB323_991 Depth=1
	s_or_b32 exec_lo, exec_lo, s18
	v_lshlrev_b32_e32 v0, 8, v0
	v_lshl_add_u32 v32, v32, 10, 0x2000
	v_lshlrev_b32_e32 v22, 23, v22
	v_and_or_b32 v0, 0x8000, v0, v32
	v_lshl_or_b32 v22, v0, 16, v22
.LBB323_1153:                           ;   in Loop: Header=BB323_991 Depth=1
	s_or_b32 exec_lo, exec_lo, s15
.LBB323_1154:                           ;   in Loop: Header=BB323_991 Depth=1
	s_or_b32 exec_lo, exec_lo, s13
.LBB323_1155:                           ;   in Loop: Header=BB323_991 Depth=1
	s_or_b32 exec_lo, exec_lo, s12
	v_mov_b32_e32 v0, v12
	v_cmp_ne_u16_sdwa s4, v12, v1 src0_sel:BYTE_0 src1_sel:DWORD
	v_mov_b32_e32 v32, 0
	v_mov_b32_e32 v34, 0
	s_and_saveexec_b32 s12, s4
	s_cbranch_execz .LBB323_1163
; %bb.1156:                             ;   in Loop: Header=BB323_991 Depth=1
	v_cmp_ne_u16_sdwa s4, v12, v16 src0_sel:BYTE_0 src1_sel:DWORD
	v_mov_b32_e32 v34, 0x8000
	s_and_saveexec_b32 s13, s4
	s_cbranch_execz .LBB323_1162
; %bb.1157:                             ;   in Loop: Header=BB323_991 Depth=1
	v_and_b32_e32 v85, 0x7f, v12
	v_mov_b32_e32 v34, 0x7c01
	s_mov_b32 s15, exec_lo
	v_cmpx_ne_u32_e32 0x7f, v85
	s_cbranch_execz .LBB323_1161
; %bb.1158:                             ;   in Loop: Header=BB323_991 Depth=1
	v_and_b32_e32 v34, 7, v12
	v_lshrrev_b32_e32 v35, 3, v85
	s_mov_b32 s18, exec_lo
	v_cmpx_gt_u32_e32 8, v85
; %bb.1159:                             ;   in Loop: Header=BB323_991 Depth=1
	v_ffbh_u32_e32 v34, v34
	v_min_u32_e32 v85, 32, v34
	v_subrev_nc_u32_e32 v34, 28, v85
	v_lshlrev_b64 v[34:35], v34, v[0:1]
	v_sub_nc_u32_e32 v35, 29, v85
	v_and_b32_e32 v34, 7, v34
; %bb.1160:                             ;   in Loop: Header=BB323_991 Depth=1
	s_or_b32 exec_lo, exec_lo, s18
	v_lshlrev_b32_e32 v85, 8, v12
	v_lshl_add_u32 v35, v35, 10, 0x2000
	v_lshlrev_b32_e32 v34, 7, v34
	v_and_b32_e32 v85, 0x8000, v85
	v_and_b32_e32 v35, 0xfc00, v35
	v_or3_b32 v34, v85, v35, v34
.LBB323_1161:                           ;   in Loop: Header=BB323_991 Depth=1
	s_or_b32 exec_lo, exec_lo, s15
.LBB323_1162:                           ;   in Loop: Header=BB323_991 Depth=1
	s_or_b32 exec_lo, exec_lo, s13
.LBB323_1163:                           ;   in Loop: Header=BB323_991 Depth=1
	s_or_b32 exec_lo, exec_lo, s12
	v_lshrrev_b16 v0, 8, v0
	v_mov_b32_e32 v35, 0
	s_mov_b32 s12, exec_lo
	v_cmpx_ne_u16_e32 0, v0
	s_cbranch_execz .LBB323_1171
; %bb.1164:                             ;   in Loop: Header=BB323_991 Depth=1
	v_bfrev_b32_e32 v35, 1
	s_mov_b32 s13, exec_lo
	v_cmpx_ne_u16_e32 0x80, v0
	s_cbranch_execz .LBB323_1170
; %bb.1165:                             ;   in Loop: Header=BB323_991 Depth=1
	v_and_b32_sdwa v86, v0, v17 dst_sel:DWORD dst_unused:UNUSED_PAD src0_sel:WORD_0 src1_sel:DWORD
	v_mov_b32_e32 v35, 0x7c010000
	s_mov_b32 s15, exec_lo
	v_cmpx_ne_u32_e32 0x7f, v86
	s_cbranch_execz .LBB323_1169
; %bb.1166:                             ;   in Loop: Header=BB323_991 Depth=1
	v_and_b32_sdwa v35, v0, v37 dst_sel:DWORD dst_unused:UNUSED_PAD src0_sel:WORD_0 src1_sel:DWORD
	v_lshrrev_b32_e32 v85, 3, v86
	s_mov_b32 s18, exec_lo
	v_cmpx_gt_u32_e32 8, v86
; %bb.1167:                             ;   in Loop: Header=BB323_991 Depth=1
	v_ffbh_u32_e32 v35, v35
	v_min_u32_e32 v35, 32, v35
	v_subrev_nc_u32_e32 v85, 28, v35
	v_lshlrev_b64 v[86:87], v85, v[0:1]
	v_sub_nc_u32_e32 v85, 29, v35
	v_and_b32_e32 v35, 7, v86
; %bb.1168:                             ;   in Loop: Header=BB323_991 Depth=1
	s_or_b32 exec_lo, exec_lo, s18
	v_lshlrev_b32_sdwa v0, v53, v0 dst_sel:DWORD dst_unused:UNUSED_PAD src0_sel:DWORD src1_sel:WORD_0
	v_lshl_add_u32 v85, v85, 10, 0x2000
	v_lshlrev_b32_e32 v35, 23, v35
	v_and_or_b32 v0, 0x8000, v0, v85
	v_lshl_or_b32 v35, v0, 16, v35
.LBB323_1169:                           ;   in Loop: Header=BB323_991 Depth=1
	s_or_b32 exec_lo, exec_lo, s15
.LBB323_1170:                           ;   in Loop: Header=BB323_991 Depth=1
	s_or_b32 exec_lo, exec_lo, s13
.LBB323_1171:                           ;   in Loop: Header=BB323_991 Depth=1
	s_or_b32 exec_lo, exec_lo, s12
	v_lshrrev_b32_e32 v0, 16, v12
	v_cmp_ne_u16_sdwa s4, v0, v1 src0_sel:BYTE_0 src1_sel:DWORD
	s_and_saveexec_b32 s12, s4
	s_cbranch_execz .LBB323_1179
; %bb.1172:                             ;   in Loop: Header=BB323_991 Depth=1
	v_cmp_ne_u16_sdwa s4, v0, v16 src0_sel:BYTE_0 src1_sel:DWORD
	v_mov_b32_e32 v32, 0x8000
	s_and_saveexec_b32 s13, s4
	s_cbranch_execz .LBB323_1178
; %bb.1173:                             ;   in Loop: Header=BB323_991 Depth=1
	v_bfe_u32 v86, v12, 16, 7
	v_mov_b32_e32 v32, 0x7c01
	s_mov_b32 s15, exec_lo
	v_cmpx_ne_u32_e32 0x7f, v86
	s_cbranch_execz .LBB323_1177
; %bb.1174:                             ;   in Loop: Header=BB323_991 Depth=1
	v_and_b32_e32 v32, 7, v0
	v_lshrrev_b32_e32 v85, 3, v86
	s_mov_b32 s18, exec_lo
	v_cmpx_gt_u32_e32 8, v86
; %bb.1175:                             ;   in Loop: Header=BB323_991 Depth=1
	v_ffbh_u32_e32 v32, v32
	v_min_u32_e32 v32, 32, v32
	v_subrev_nc_u32_e32 v85, 28, v32
	v_lshlrev_b64 v[86:87], v85, v[0:1]
	v_sub_nc_u32_e32 v85, 29, v32
	v_and_b32_e32 v32, 7, v86
; %bb.1176:                             ;   in Loop: Header=BB323_991 Depth=1
	s_or_b32 exec_lo, exec_lo, s18
	v_lshlrev_b32_e32 v0, 8, v0
	v_lshl_add_u32 v85, v85, 10, 0x2000
	v_lshlrev_b32_e32 v32, 7, v32
	v_and_b32_e32 v0, 0x8000, v0
	v_and_b32_e32 v85, 0xfc00, v85
	v_or3_b32 v32, v0, v85, v32
.LBB323_1177:                           ;   in Loop: Header=BB323_991 Depth=1
	s_or_b32 exec_lo, exec_lo, s15
.LBB323_1178:                           ;   in Loop: Header=BB323_991 Depth=1
	s_or_b32 exec_lo, exec_lo, s13
.LBB323_1179:                           ;   in Loop: Header=BB323_991 Depth=1
	s_or_b32 exec_lo, exec_lo, s12
	v_cmp_lt_u64_e64 s4, s[8:9], v[11:12]
	v_mov_b32_e32 v11, 0
	s_and_saveexec_b32 s12, s4
	s_cbranch_execz .LBB323_1187
; %bb.1180:                             ;   in Loop: Header=BB323_991 Depth=1
	v_lshrrev_b32_e32 v0, 24, v12
	v_bfrev_b32_e32 v11, 1
	s_mov_b32 s13, exec_lo
	v_cmpx_ne_u32_e32 0x80, v0
	s_cbranch_execz .LBB323_1186
; %bb.1181:                             ;   in Loop: Header=BB323_991 Depth=1
	v_and_b32_e32 v85, 0x7f, v0
	v_mov_b32_e32 v11, 0x7c010000
	s_mov_b32 s15, exec_lo
	v_cmpx_ne_u32_e32 0x7f, v85
	s_cbranch_execz .LBB323_1185
; %bb.1182:                             ;   in Loop: Header=BB323_991 Depth=1
	v_and_b32_e32 v11, 7, v0
	v_lshrrev_b32_e32 v12, 3, v85
	s_mov_b32 s18, exec_lo
	v_cmpx_gt_u32_e32 8, v85
; %bb.1183:                             ;   in Loop: Header=BB323_991 Depth=1
	v_ffbh_u32_e32 v11, v11
	v_min_u32_e32 v85, 32, v11
	v_subrev_nc_u32_e32 v11, 28, v85
	v_lshlrev_b64 v[11:12], v11, v[0:1]
	v_sub_nc_u32_e32 v12, 29, v85
	v_and_b32_e32 v11, 7, v11
; %bb.1184:                             ;   in Loop: Header=BB323_991 Depth=1
	s_or_b32 exec_lo, exec_lo, s18
	v_lshlrev_b32_e32 v0, 8, v0
	v_lshl_add_u32 v12, v12, 10, 0x2000
	v_lshlrev_b32_e32 v11, 23, v11
	v_and_or_b32 v0, 0x8000, v0, v12
	v_lshl_or_b32 v11, v0, 16, v11
.LBB323_1185:                           ;   in Loop: Header=BB323_991 Depth=1
	s_or_b32 exec_lo, exec_lo, s15
.LBB323_1186:                           ;   in Loop: Header=BB323_991 Depth=1
	s_or_b32 exec_lo, exec_lo, s13
.LBB323_1187:                           ;   in Loop: Header=BB323_991 Depth=1
	s_or_b32 exec_lo, exec_lo, s12
	v_or_b32_e32 v0, v22, v23
	s_waitcnt vmcnt(0) lgkmcnt(0)
	v_fma_mixlo_f16 v12, v4, v22, 0 op_sel:[0,1,0] op_sel_hi:[0,1,0]
	v_or_b32_e32 v6, v5, v6
	v_fma_mixlo_f16 v5, v4, v5, 0 op_sel:[0,1,0] op_sel_hi:[0,1,0]
	v_or_b32_e32 v22, v35, v34
	v_fma_mixlo_f16 v23, v4, v0, 0 op_sel_hi:[0,1,0]
	v_or_b32_e32 v32, v11, v32
	v_lshlrev_b32_e32 v0, 16, v12
	v_lshlrev_b32_e32 v12, 16, v5
	v_fma_mixlo_f16 v6, v4, v6, 0 op_sel_hi:[0,1,0]
	v_and_b32_e32 v5, 0xffff, v23
	v_fma_mixlo_f16 v23, v4, v35, 0 op_sel:[0,1,0] op_sel_hi:[0,1,0]
	v_fma_mixlo_f16 v22, v4, v22, 0 op_sel_hi:[0,1,0]
	v_fma_mixlo_f16 v11, v4, v11, 0 op_sel:[0,1,0] op_sel_hi:[0,1,0]
	v_fma_mixlo_f16 v32, v4, v32, 0 op_sel_hi:[0,1,0]
	v_and_b32_e32 v85, 0xffff, v6
	v_lshlrev_b32_e32 v6, 16, v23
	v_and_b32_e32 v23, 0xffff, v22
	v_lshlrev_b32_e32 v4, 16, v11
	v_and_b32_e32 v11, 0xffff, v32
	v_or_b32_e32 v22, v0, v5
	v_or_b32_e32 v35, v12, v85
	;; [unrolled: 1-line block ×4, first 2 shown]
	s_and_saveexec_b32 s12, vcc_lo
	s_cbranch_execz .LBB323_1189
; %bb.1188:                             ;   in Loop: Header=BB323_991 Depth=1
	v_cmp_lt_i32_e64 s4, v54, v33
	v_cndmask_b32_e64 v22, 0, v85, s4
	v_cmp_lt_i32_e64 s4, v82, v33
	v_cndmask_b32_e64 v12, 0, v12, s4
	v_cmp_lt_i32_e64 s4, v81, v33
	v_or_b32_e32 v35, v22, v12
	v_cndmask_b32_e64 v5, 0, v5, s4
	v_cmp_lt_i32_e64 s4, v80, v33
	v_cndmask_b32_e64 v0, 0, v0, s4
	v_cmp_lt_i32_e64 s4, v71, v33
	v_or_b32_e32 v22, v5, v0
	;; [unrolled: 5-line block ×3, first 2 shown]
	v_cndmask_b32_e64 v11, 0, v11, s4
	v_cmp_lt_i32_e64 s4, v14, v33
	v_cndmask_b32_e64 v4, 0, v4, s4
	v_or_b32_e32 v32, v11, v4
.LBB323_1189:                           ;   in Loop: Header=BB323_991 Depth=1
	s_or_b32 exec_lo, exec_lo, s12
	;;#ASMSTART
	v_pk_mul_f16 v0, v67, v35;

	;;#ASMEND
	;;#ASMSTART
	v_pk_mul_f16 v4, v65, v22;

	;;#ASMEND
	;; [unrolled: 4-line block ×4, first 2 shown]
	;;#ASMSTART
	v_pk_add_f16 v0, v0, v4;

	;;#ASMEND
	;;#ASMSTART
	v_pk_add_f16 v0, v0, v5;

	;;#ASMEND
	;; [unrolled: 4-line block ×3, first 2 shown]
	v_and_b32_e32 v4, 0xffff, v0
	v_lshrrev_b32_e32 v0, 16, v0
	;;#ASMSTART
	v_cvt_f32_f16 v85, v4;
	;;#ASMEND
	;;#ASMSTART
	v_cvt_f32_f16 v86, v0;
	;;#ASMEND
	flat_load_dwordx2 v[11:12], v[9:10] offset:768
	flat_load_dword v4, v[26:27]
	v_mov_b32_e32 v5, 0
	v_mov_b32_e32 v6, 0
	s_waitcnt vmcnt(1) lgkmcnt(1)
	v_cmp_ne_u16_sdwa s4, v11, v1 src0_sel:BYTE_0 src1_sel:DWORD
	s_and_saveexec_b32 s12, s4
	s_cbranch_execz .LBB323_1197
; %bb.1190:                             ;   in Loop: Header=BB323_991 Depth=1
	v_cmp_ne_u16_sdwa s4, v11, v16 src0_sel:BYTE_0 src1_sel:DWORD
	v_mov_b32_e32 v6, 0x8000
	s_and_saveexec_b32 s13, s4
	s_cbranch_execz .LBB323_1196
; %bb.1191:                             ;   in Loop: Header=BB323_991 Depth=1
	v_and_b32_e32 v22, 0x7f, v11
	v_mov_b32_e32 v6, 0x7c01
	s_mov_b32 s15, exec_lo
	v_cmpx_ne_u32_e32 0x7f, v22
	s_cbranch_execz .LBB323_1195
; %bb.1192:                             ;   in Loop: Header=BB323_991 Depth=1
	v_and_b32_e32 v0, 7, v11
	v_lshrrev_b32_e32 v6, 3, v22
	s_mov_b32 s18, exec_lo
	v_cmpx_gt_u32_e32 8, v22
; %bb.1193:                             ;   in Loop: Header=BB323_991 Depth=1
	v_ffbh_u32_e32 v0, v0
	v_min_u32_e32 v0, 32, v0
	v_subrev_nc_u32_e32 v6, 28, v0
	v_lshlrev_b64 v[22:23], v6, v[11:12]
	v_sub_nc_u32_e32 v6, 29, v0
	v_and_b32_e32 v0, 7, v22
; %bb.1194:                             ;   in Loop: Header=BB323_991 Depth=1
	s_or_b32 exec_lo, exec_lo, s18
	v_lshlrev_b32_e32 v22, 8, v11
	v_lshl_add_u32 v6, v6, 10, 0x2000
	v_lshlrev_b32_e32 v0, 7, v0
	v_and_b32_e32 v22, 0x8000, v22
	v_and_b32_e32 v6, 0xfc00, v6
	v_or3_b32 v6, v22, v6, v0
.LBB323_1195:                           ;   in Loop: Header=BB323_991 Depth=1
	s_or_b32 exec_lo, exec_lo, s15
.LBB323_1196:                           ;   in Loop: Header=BB323_991 Depth=1
	s_or_b32 exec_lo, exec_lo, s13
.LBB323_1197:                           ;   in Loop: Header=BB323_991 Depth=1
	s_or_b32 exec_lo, exec_lo, s12
	v_lshrrev_b16 v0, 8, v11
	s_mov_b32 s12, exec_lo
	v_cmpx_ne_u16_e32 0, v0
	s_cbranch_execz .LBB323_1205
; %bb.1198:                             ;   in Loop: Header=BB323_991 Depth=1
	v_bfrev_b32_e32 v5, 1
	s_mov_b32 s13, exec_lo
	v_cmpx_ne_u16_e32 0x80, v0
	s_cbranch_execz .LBB323_1204
; %bb.1199:                             ;   in Loop: Header=BB323_991 Depth=1
	v_and_b32_sdwa v23, v0, v17 dst_sel:DWORD dst_unused:UNUSED_PAD src0_sel:WORD_0 src1_sel:DWORD
	v_mov_b32_e32 v5, 0x7c010000
	s_mov_b32 s15, exec_lo
	v_cmpx_ne_u32_e32 0x7f, v23
	s_cbranch_execz .LBB323_1203
; %bb.1200:                             ;   in Loop: Header=BB323_991 Depth=1
	v_and_b32_sdwa v5, v0, v37 dst_sel:DWORD dst_unused:UNUSED_PAD src0_sel:WORD_0 src1_sel:DWORD
	v_lshrrev_b32_e32 v22, 3, v23
	s_mov_b32 s18, exec_lo
	v_cmpx_gt_u32_e32 8, v23
; %bb.1201:                             ;   in Loop: Header=BB323_991 Depth=1
	v_ffbh_u32_e32 v5, v5
	v_min_u32_e32 v5, 32, v5
	v_subrev_nc_u32_e32 v22, 28, v5
	v_lshlrev_b64 v[34:35], v22, v[0:1]
	v_sub_nc_u32_e32 v22, 29, v5
	v_and_b32_e32 v5, 7, v34
; %bb.1202:                             ;   in Loop: Header=BB323_991 Depth=1
	s_or_b32 exec_lo, exec_lo, s18
	v_lshlrev_b32_sdwa v0, v53, v0 dst_sel:DWORD dst_unused:UNUSED_PAD src0_sel:DWORD src1_sel:WORD_0
	v_lshl_add_u32 v22, v22, 10, 0x2000
	v_lshlrev_b32_e32 v5, 23, v5
	v_and_or_b32 v0, 0x8000, v0, v22
	v_lshl_or_b32 v5, v0, 16, v5
.LBB323_1203:                           ;   in Loop: Header=BB323_991 Depth=1
	s_or_b32 exec_lo, exec_lo, s15
.LBB323_1204:                           ;   in Loop: Header=BB323_991 Depth=1
	s_or_b32 exec_lo, exec_lo, s13
.LBB323_1205:                           ;   in Loop: Header=BB323_991 Depth=1
	s_or_b32 exec_lo, exec_lo, s12
	v_lshrrev_b32_e32 v0, 16, v11
	v_mov_b32_e32 v22, 0
	v_mov_b32_e32 v23, 0
	v_cmp_ne_u16_sdwa s4, v0, v1 src0_sel:BYTE_0 src1_sel:DWORD
	s_and_saveexec_b32 s12, s4
	s_cbranch_execz .LBB323_1213
; %bb.1206:                             ;   in Loop: Header=BB323_991 Depth=1
	v_cmp_ne_u16_sdwa s4, v0, v16 src0_sel:BYTE_0 src1_sel:DWORD
	v_mov_b32_e32 v23, 0x8000
	s_and_saveexec_b32 s13, s4
	s_cbranch_execz .LBB323_1212
; %bb.1207:                             ;   in Loop: Header=BB323_991 Depth=1
	v_bfe_u32 v34, v11, 16, 7
	v_mov_b32_e32 v23, 0x7c01
	s_mov_b32 s15, exec_lo
	v_cmpx_ne_u32_e32 0x7f, v34
	s_cbranch_execz .LBB323_1211
; %bb.1208:                             ;   in Loop: Header=BB323_991 Depth=1
	v_and_b32_e32 v23, 7, v0
	v_lshrrev_b32_e32 v32, 3, v34
	s_mov_b32 s18, exec_lo
	v_cmpx_gt_u32_e32 8, v34
; %bb.1209:                             ;   in Loop: Header=BB323_991 Depth=1
	v_ffbh_u32_e32 v23, v23
	v_min_u32_e32 v23, 32, v23
	v_subrev_nc_u32_e32 v32, 28, v23
	v_lshlrev_b64 v[34:35], v32, v[0:1]
	v_sub_nc_u32_e32 v32, 29, v23
	v_and_b32_e32 v23, 7, v34
; %bb.1210:                             ;   in Loop: Header=BB323_991 Depth=1
	s_or_b32 exec_lo, exec_lo, s18
	v_lshlrev_b32_e32 v0, 8, v0
	v_lshl_add_u32 v32, v32, 10, 0x2000
	v_lshlrev_b32_e32 v23, 7, v23
	v_and_b32_e32 v0, 0x8000, v0
	v_and_b32_e32 v32, 0xfc00, v32
	v_or3_b32 v23, v0, v32, v23
.LBB323_1211:                           ;   in Loop: Header=BB323_991 Depth=1
	s_or_b32 exec_lo, exec_lo, s15
.LBB323_1212:                           ;   in Loop: Header=BB323_991 Depth=1
	s_or_b32 exec_lo, exec_lo, s13
.LBB323_1213:                           ;   in Loop: Header=BB323_991 Depth=1
	s_or_b32 exec_lo, exec_lo, s12
	s_mov_b32 s12, exec_lo
	v_cmpx_lt_u32_e32 0xffffff, v11
	s_cbranch_execz .LBB323_1221
; %bb.1214:                             ;   in Loop: Header=BB323_991 Depth=1
	v_lshrrev_b32_e32 v0, 24, v11
	v_bfrev_b32_e32 v22, 1
	s_mov_b32 s13, exec_lo
	v_cmpx_ne_u32_e32 0x80, v0
	s_cbranch_execz .LBB323_1220
; %bb.1215:                             ;   in Loop: Header=BB323_991 Depth=1
	v_and_b32_e32 v34, 0x7f, v0
	v_mov_b32_e32 v22, 0x7c010000
	s_mov_b32 s15, exec_lo
	v_cmpx_ne_u32_e32 0x7f, v34
	s_cbranch_execz .LBB323_1219
; %bb.1216:                             ;   in Loop: Header=BB323_991 Depth=1
	v_and_b32_e32 v22, 7, v0
	v_lshrrev_b32_e32 v32, 3, v34
	s_mov_b32 s18, exec_lo
	v_cmpx_gt_u32_e32 8, v34
; %bb.1217:                             ;   in Loop: Header=BB323_991 Depth=1
	v_ffbh_u32_e32 v22, v22
	v_min_u32_e32 v22, 32, v22
	v_subrev_nc_u32_e32 v32, 28, v22
	v_lshlrev_b64 v[34:35], v32, v[0:1]
	v_sub_nc_u32_e32 v32, 29, v22
	v_and_b32_e32 v22, 7, v34
; %bb.1218:                             ;   in Loop: Header=BB323_991 Depth=1
	s_or_b32 exec_lo, exec_lo, s18
	v_lshlrev_b32_e32 v0, 8, v0
	v_lshl_add_u32 v32, v32, 10, 0x2000
	v_lshlrev_b32_e32 v22, 23, v22
	v_and_or_b32 v0, 0x8000, v0, v32
	v_lshl_or_b32 v22, v0, 16, v22
.LBB323_1219:                           ;   in Loop: Header=BB323_991 Depth=1
	s_or_b32 exec_lo, exec_lo, s15
.LBB323_1220:                           ;   in Loop: Header=BB323_991 Depth=1
	s_or_b32 exec_lo, exec_lo, s13
.LBB323_1221:                           ;   in Loop: Header=BB323_991 Depth=1
	s_or_b32 exec_lo, exec_lo, s12
	v_mov_b32_e32 v0, v12
	v_cmp_ne_u16_sdwa s4, v12, v1 src0_sel:BYTE_0 src1_sel:DWORD
	v_mov_b32_e32 v32, 0
	v_mov_b32_e32 v34, 0
	s_and_saveexec_b32 s12, s4
	s_cbranch_execz .LBB323_1229
; %bb.1222:                             ;   in Loop: Header=BB323_991 Depth=1
	v_cmp_ne_u16_sdwa s4, v12, v16 src0_sel:BYTE_0 src1_sel:DWORD
	v_mov_b32_e32 v34, 0x8000
	s_and_saveexec_b32 s13, s4
	s_cbranch_execz .LBB323_1228
; %bb.1223:                             ;   in Loop: Header=BB323_991 Depth=1
	v_and_b32_e32 v87, 0x7f, v12
	v_mov_b32_e32 v34, 0x7c01
	s_mov_b32 s15, exec_lo
	v_cmpx_ne_u32_e32 0x7f, v87
	s_cbranch_execz .LBB323_1227
; %bb.1224:                             ;   in Loop: Header=BB323_991 Depth=1
	v_and_b32_e32 v34, 7, v12
	v_lshrrev_b32_e32 v35, 3, v87
	s_mov_b32 s18, exec_lo
	v_cmpx_gt_u32_e32 8, v87
; %bb.1225:                             ;   in Loop: Header=BB323_991 Depth=1
	v_ffbh_u32_e32 v34, v34
	v_min_u32_e32 v87, 32, v34
	v_subrev_nc_u32_e32 v34, 28, v87
	v_lshlrev_b64 v[34:35], v34, v[0:1]
	v_sub_nc_u32_e32 v35, 29, v87
	v_and_b32_e32 v34, 7, v34
; %bb.1226:                             ;   in Loop: Header=BB323_991 Depth=1
	s_or_b32 exec_lo, exec_lo, s18
	v_lshlrev_b32_e32 v87, 8, v12
	v_lshl_add_u32 v35, v35, 10, 0x2000
	v_lshlrev_b32_e32 v34, 7, v34
	v_and_b32_e32 v87, 0x8000, v87
	v_and_b32_e32 v35, 0xfc00, v35
	v_or3_b32 v34, v87, v35, v34
.LBB323_1227:                           ;   in Loop: Header=BB323_991 Depth=1
	s_or_b32 exec_lo, exec_lo, s15
.LBB323_1228:                           ;   in Loop: Header=BB323_991 Depth=1
	s_or_b32 exec_lo, exec_lo, s13
.LBB323_1229:                           ;   in Loop: Header=BB323_991 Depth=1
	s_or_b32 exec_lo, exec_lo, s12
	v_lshrrev_b16 v0, 8, v0
	v_mov_b32_e32 v35, 0
	s_mov_b32 s12, exec_lo
	v_cmpx_ne_u16_e32 0, v0
	s_cbranch_execz .LBB323_1237
; %bb.1230:                             ;   in Loop: Header=BB323_991 Depth=1
	v_bfrev_b32_e32 v35, 1
	s_mov_b32 s13, exec_lo
	v_cmpx_ne_u16_e32 0x80, v0
	s_cbranch_execz .LBB323_1236
; %bb.1231:                             ;   in Loop: Header=BB323_991 Depth=1
	v_and_b32_sdwa v96, v0, v17 dst_sel:DWORD dst_unused:UNUSED_PAD src0_sel:WORD_0 src1_sel:DWORD
	v_mov_b32_e32 v35, 0x7c010000
	s_mov_b32 s15, exec_lo
	v_cmpx_ne_u32_e32 0x7f, v96
	s_cbranch_execz .LBB323_1235
; %bb.1232:                             ;   in Loop: Header=BB323_991 Depth=1
	v_and_b32_sdwa v35, v0, v37 dst_sel:DWORD dst_unused:UNUSED_PAD src0_sel:WORD_0 src1_sel:DWORD
	v_lshrrev_b32_e32 v87, 3, v96
	s_mov_b32 s18, exec_lo
	v_cmpx_gt_u32_e32 8, v96
; %bb.1233:                             ;   in Loop: Header=BB323_991 Depth=1
	v_ffbh_u32_e32 v35, v35
	v_min_u32_e32 v35, 32, v35
	v_subrev_nc_u32_e32 v87, 28, v35
	v_lshlrev_b64 v[96:97], v87, v[0:1]
	v_sub_nc_u32_e32 v87, 29, v35
	v_and_b32_e32 v35, 7, v96
; %bb.1234:                             ;   in Loop: Header=BB323_991 Depth=1
	s_or_b32 exec_lo, exec_lo, s18
	v_lshlrev_b32_sdwa v0, v53, v0 dst_sel:DWORD dst_unused:UNUSED_PAD src0_sel:DWORD src1_sel:WORD_0
	v_lshl_add_u32 v87, v87, 10, 0x2000
	v_lshlrev_b32_e32 v35, 23, v35
	v_and_or_b32 v0, 0x8000, v0, v87
	v_lshl_or_b32 v35, v0, 16, v35
.LBB323_1235:                           ;   in Loop: Header=BB323_991 Depth=1
	s_or_b32 exec_lo, exec_lo, s15
.LBB323_1236:                           ;   in Loop: Header=BB323_991 Depth=1
	s_or_b32 exec_lo, exec_lo, s13
.LBB323_1237:                           ;   in Loop: Header=BB323_991 Depth=1
	s_or_b32 exec_lo, exec_lo, s12
	v_lshrrev_b32_e32 v0, 16, v12
	v_cmp_ne_u16_sdwa s4, v0, v1 src0_sel:BYTE_0 src1_sel:DWORD
	s_and_saveexec_b32 s12, s4
	s_cbranch_execz .LBB323_1245
; %bb.1238:                             ;   in Loop: Header=BB323_991 Depth=1
	v_cmp_ne_u16_sdwa s4, v0, v16 src0_sel:BYTE_0 src1_sel:DWORD
	v_mov_b32_e32 v32, 0x8000
	s_and_saveexec_b32 s13, s4
	s_cbranch_execz .LBB323_1244
; %bb.1239:                             ;   in Loop: Header=BB323_991 Depth=1
	v_bfe_u32 v96, v12, 16, 7
	v_mov_b32_e32 v32, 0x7c01
	s_mov_b32 s15, exec_lo
	v_cmpx_ne_u32_e32 0x7f, v96
	s_cbranch_execz .LBB323_1243
; %bb.1240:                             ;   in Loop: Header=BB323_991 Depth=1
	v_and_b32_e32 v32, 7, v0
	v_lshrrev_b32_e32 v87, 3, v96
	s_mov_b32 s18, exec_lo
	v_cmpx_gt_u32_e32 8, v96
; %bb.1241:                             ;   in Loop: Header=BB323_991 Depth=1
	v_ffbh_u32_e32 v32, v32
	v_min_u32_e32 v32, 32, v32
	v_subrev_nc_u32_e32 v87, 28, v32
	v_lshlrev_b64 v[96:97], v87, v[0:1]
	v_sub_nc_u32_e32 v87, 29, v32
	v_and_b32_e32 v32, 7, v96
; %bb.1242:                             ;   in Loop: Header=BB323_991 Depth=1
	s_or_b32 exec_lo, exec_lo, s18
	v_lshlrev_b32_e32 v0, 8, v0
	v_lshl_add_u32 v87, v87, 10, 0x2000
	v_lshlrev_b32_e32 v32, 7, v32
	v_and_b32_e32 v0, 0x8000, v0
	v_and_b32_e32 v87, 0xfc00, v87
	v_or3_b32 v32, v0, v87, v32
.LBB323_1243:                           ;   in Loop: Header=BB323_991 Depth=1
	s_or_b32 exec_lo, exec_lo, s15
.LBB323_1244:                           ;   in Loop: Header=BB323_991 Depth=1
	s_or_b32 exec_lo, exec_lo, s13
.LBB323_1245:                           ;   in Loop: Header=BB323_991 Depth=1
	s_or_b32 exec_lo, exec_lo, s12
	v_cmp_lt_u64_e64 s4, s[8:9], v[11:12]
	v_mov_b32_e32 v11, 0
	s_and_saveexec_b32 s12, s4
	s_cbranch_execz .LBB323_1253
; %bb.1246:                             ;   in Loop: Header=BB323_991 Depth=1
	v_lshrrev_b32_e32 v0, 24, v12
	v_bfrev_b32_e32 v11, 1
	s_mov_b32 s13, exec_lo
	v_cmpx_ne_u32_e32 0x80, v0
	s_cbranch_execz .LBB323_1252
; %bb.1247:                             ;   in Loop: Header=BB323_991 Depth=1
	v_and_b32_e32 v87, 0x7f, v0
	v_mov_b32_e32 v11, 0x7c010000
	s_mov_b32 s15, exec_lo
	v_cmpx_ne_u32_e32 0x7f, v87
	s_cbranch_execz .LBB323_1251
; %bb.1248:                             ;   in Loop: Header=BB323_991 Depth=1
	v_and_b32_e32 v11, 7, v0
	v_lshrrev_b32_e32 v12, 3, v87
	s_mov_b32 s18, exec_lo
	v_cmpx_gt_u32_e32 8, v87
; %bb.1249:                             ;   in Loop: Header=BB323_991 Depth=1
	v_ffbh_u32_e32 v11, v11
	v_min_u32_e32 v87, 32, v11
	v_subrev_nc_u32_e32 v11, 28, v87
	v_lshlrev_b64 v[11:12], v11, v[0:1]
	v_sub_nc_u32_e32 v12, 29, v87
	v_and_b32_e32 v11, 7, v11
; %bb.1250:                             ;   in Loop: Header=BB323_991 Depth=1
	s_or_b32 exec_lo, exec_lo, s18
	v_lshlrev_b32_e32 v0, 8, v0
	v_lshl_add_u32 v12, v12, 10, 0x2000
	v_lshlrev_b32_e32 v11, 23, v11
	v_and_or_b32 v0, 0x8000, v0, v12
	v_lshl_or_b32 v11, v0, 16, v11
.LBB323_1251:                           ;   in Loop: Header=BB323_991 Depth=1
	s_or_b32 exec_lo, exec_lo, s15
.LBB323_1252:                           ;   in Loop: Header=BB323_991 Depth=1
	s_or_b32 exec_lo, exec_lo, s13
.LBB323_1253:                           ;   in Loop: Header=BB323_991 Depth=1
	s_or_b32 exec_lo, exec_lo, s12
	v_or_b32_e32 v0, v22, v23
	s_waitcnt vmcnt(0) lgkmcnt(0)
	v_fma_mixlo_f16 v12, v4, v22, 0 op_sel:[0,1,0] op_sel_hi:[0,1,0]
	v_or_b32_e32 v6, v5, v6
	v_fma_mixlo_f16 v5, v4, v5, 0 op_sel:[0,1,0] op_sel_hi:[0,1,0]
	v_or_b32_e32 v22, v35, v34
	v_fma_mixlo_f16 v23, v4, v0, 0 op_sel_hi:[0,1,0]
	v_or_b32_e32 v32, v11, v32
	v_lshlrev_b32_e32 v0, 16, v12
	v_lshlrev_b32_e32 v12, 16, v5
	v_fma_mixlo_f16 v6, v4, v6, 0 op_sel_hi:[0,1,0]
	v_and_b32_e32 v5, 0xffff, v23
	v_fma_mixlo_f16 v23, v4, v35, 0 op_sel:[0,1,0] op_sel_hi:[0,1,0]
	v_fma_mixlo_f16 v22, v4, v22, 0 op_sel_hi:[0,1,0]
	v_fma_mixlo_f16 v11, v4, v11, 0 op_sel:[0,1,0] op_sel_hi:[0,1,0]
	v_fma_mixlo_f16 v32, v4, v32, 0 op_sel_hi:[0,1,0]
	v_and_b32_e32 v87, 0xffff, v6
	v_lshlrev_b32_e32 v6, 16, v23
	v_and_b32_e32 v23, 0xffff, v22
	v_lshlrev_b32_e32 v4, 16, v11
	v_and_b32_e32 v11, 0xffff, v32
	v_or_b32_e32 v22, v0, v5
	v_or_b32_e32 v35, v12, v87
	;; [unrolled: 1-line block ×4, first 2 shown]
	s_and_saveexec_b32 s12, vcc_lo
	s_cbranch_execz .LBB323_1255
; %bb.1254:                             ;   in Loop: Header=BB323_991 Depth=1
	v_cmp_lt_i32_e64 s4, v54, v33
	v_cndmask_b32_e64 v22, 0, v87, s4
	v_cmp_lt_i32_e64 s4, v82, v33
	v_cndmask_b32_e64 v12, 0, v12, s4
	v_cmp_lt_i32_e64 s4, v81, v33
	v_or_b32_e32 v35, v22, v12
	v_cndmask_b32_e64 v5, 0, v5, s4
	v_cmp_lt_i32_e64 s4, v80, v33
	v_cndmask_b32_e64 v0, 0, v0, s4
	v_cmp_lt_i32_e64 s4, v71, v33
	v_or_b32_e32 v22, v5, v0
	;; [unrolled: 5-line block ×3, first 2 shown]
	v_cndmask_b32_e64 v11, 0, v11, s4
	v_cmp_lt_i32_e64 s4, v14, v33
	v_cndmask_b32_e64 v4, 0, v4, s4
	v_or_b32_e32 v32, v11, v4
.LBB323_1255:                           ;   in Loop: Header=BB323_991 Depth=1
	s_or_b32 exec_lo, exec_lo, s12
	;;#ASMSTART
	v_pk_mul_f16 v0, v67, v35;

	;;#ASMEND
	;;#ASMSTART
	v_pk_mul_f16 v4, v65, v22;

	;;#ASMEND
	;; [unrolled: 4-line block ×4, first 2 shown]
	;;#ASMSTART
	v_pk_add_f16 v0, v0, v4;

	;;#ASMEND
	;;#ASMSTART
	v_pk_add_f16 v0, v0, v5;

	;;#ASMEND
	;; [unrolled: 4-line block ×3, first 2 shown]
	v_and_b32_e32 v4, 0xffff, v0
	v_lshrrev_b32_e32 v0, 16, v0
	;;#ASMSTART
	v_cvt_f32_f16 v87, v4;
	;;#ASMEND
	;;#ASMSTART
	v_cvt_f32_f16 v96, v0;
	;;#ASMEND
	flat_load_dwordx2 v[11:12], v[9:10] offset:1024
	flat_load_dword v4, v[26:27]
	v_mov_b32_e32 v5, 0
	v_mov_b32_e32 v6, 0
	s_waitcnt vmcnt(1) lgkmcnt(1)
	v_cmp_ne_u16_sdwa s4, v11, v1 src0_sel:BYTE_0 src1_sel:DWORD
	s_and_saveexec_b32 s12, s4
	s_cbranch_execz .LBB323_1263
; %bb.1256:                             ;   in Loop: Header=BB323_991 Depth=1
	v_cmp_ne_u16_sdwa s4, v11, v16 src0_sel:BYTE_0 src1_sel:DWORD
	v_mov_b32_e32 v6, 0x8000
	s_and_saveexec_b32 s13, s4
	s_cbranch_execz .LBB323_1262
; %bb.1257:                             ;   in Loop: Header=BB323_991 Depth=1
	v_and_b32_e32 v22, 0x7f, v11
	v_mov_b32_e32 v6, 0x7c01
	s_mov_b32 s15, exec_lo
	v_cmpx_ne_u32_e32 0x7f, v22
	s_cbranch_execz .LBB323_1261
; %bb.1258:                             ;   in Loop: Header=BB323_991 Depth=1
	v_and_b32_e32 v0, 7, v11
	v_lshrrev_b32_e32 v6, 3, v22
	s_mov_b32 s18, exec_lo
	v_cmpx_gt_u32_e32 8, v22
; %bb.1259:                             ;   in Loop: Header=BB323_991 Depth=1
	v_ffbh_u32_e32 v0, v0
	v_min_u32_e32 v0, 32, v0
	v_subrev_nc_u32_e32 v6, 28, v0
	v_lshlrev_b64 v[22:23], v6, v[11:12]
	v_sub_nc_u32_e32 v6, 29, v0
	v_and_b32_e32 v0, 7, v22
; %bb.1260:                             ;   in Loop: Header=BB323_991 Depth=1
	s_or_b32 exec_lo, exec_lo, s18
	v_lshlrev_b32_e32 v22, 8, v11
	v_lshl_add_u32 v6, v6, 10, 0x2000
	v_lshlrev_b32_e32 v0, 7, v0
	v_and_b32_e32 v22, 0x8000, v22
	v_and_b32_e32 v6, 0xfc00, v6
	v_or3_b32 v6, v22, v6, v0
.LBB323_1261:                           ;   in Loop: Header=BB323_991 Depth=1
	s_or_b32 exec_lo, exec_lo, s15
.LBB323_1262:                           ;   in Loop: Header=BB323_991 Depth=1
	s_or_b32 exec_lo, exec_lo, s13
.LBB323_1263:                           ;   in Loop: Header=BB323_991 Depth=1
	s_or_b32 exec_lo, exec_lo, s12
	v_lshrrev_b16 v0, 8, v11
	s_mov_b32 s12, exec_lo
	v_cmpx_ne_u16_e32 0, v0
	s_cbranch_execz .LBB323_1271
; %bb.1264:                             ;   in Loop: Header=BB323_991 Depth=1
	v_bfrev_b32_e32 v5, 1
	s_mov_b32 s13, exec_lo
	v_cmpx_ne_u16_e32 0x80, v0
	s_cbranch_execz .LBB323_1270
; %bb.1265:                             ;   in Loop: Header=BB323_991 Depth=1
	v_and_b32_sdwa v23, v0, v17 dst_sel:DWORD dst_unused:UNUSED_PAD src0_sel:WORD_0 src1_sel:DWORD
	v_mov_b32_e32 v5, 0x7c010000
	s_mov_b32 s15, exec_lo
	v_cmpx_ne_u32_e32 0x7f, v23
	s_cbranch_execz .LBB323_1269
; %bb.1266:                             ;   in Loop: Header=BB323_991 Depth=1
	v_and_b32_sdwa v5, v0, v37 dst_sel:DWORD dst_unused:UNUSED_PAD src0_sel:WORD_0 src1_sel:DWORD
	v_lshrrev_b32_e32 v22, 3, v23
	s_mov_b32 s18, exec_lo
	v_cmpx_gt_u32_e32 8, v23
; %bb.1267:                             ;   in Loop: Header=BB323_991 Depth=1
	v_ffbh_u32_e32 v5, v5
	v_min_u32_e32 v5, 32, v5
	v_subrev_nc_u32_e32 v22, 28, v5
	v_lshlrev_b64 v[34:35], v22, v[0:1]
	v_sub_nc_u32_e32 v22, 29, v5
	v_and_b32_e32 v5, 7, v34
; %bb.1268:                             ;   in Loop: Header=BB323_991 Depth=1
	s_or_b32 exec_lo, exec_lo, s18
	v_lshlrev_b32_sdwa v0, v53, v0 dst_sel:DWORD dst_unused:UNUSED_PAD src0_sel:DWORD src1_sel:WORD_0
	v_lshl_add_u32 v22, v22, 10, 0x2000
	v_lshlrev_b32_e32 v5, 23, v5
	v_and_or_b32 v0, 0x8000, v0, v22
	v_lshl_or_b32 v5, v0, 16, v5
.LBB323_1269:                           ;   in Loop: Header=BB323_991 Depth=1
	s_or_b32 exec_lo, exec_lo, s15
.LBB323_1270:                           ;   in Loop: Header=BB323_991 Depth=1
	s_or_b32 exec_lo, exec_lo, s13
.LBB323_1271:                           ;   in Loop: Header=BB323_991 Depth=1
	s_or_b32 exec_lo, exec_lo, s12
	v_lshrrev_b32_e32 v0, 16, v11
	v_mov_b32_e32 v22, 0
	v_mov_b32_e32 v23, 0
	v_cmp_ne_u16_sdwa s4, v0, v1 src0_sel:BYTE_0 src1_sel:DWORD
	s_and_saveexec_b32 s12, s4
	s_cbranch_execz .LBB323_1279
; %bb.1272:                             ;   in Loop: Header=BB323_991 Depth=1
	v_cmp_ne_u16_sdwa s4, v0, v16 src0_sel:BYTE_0 src1_sel:DWORD
	v_mov_b32_e32 v23, 0x8000
	s_and_saveexec_b32 s13, s4
	s_cbranch_execz .LBB323_1278
; %bb.1273:                             ;   in Loop: Header=BB323_991 Depth=1
	v_bfe_u32 v34, v11, 16, 7
	v_mov_b32_e32 v23, 0x7c01
	s_mov_b32 s15, exec_lo
	v_cmpx_ne_u32_e32 0x7f, v34
	s_cbranch_execz .LBB323_1277
; %bb.1274:                             ;   in Loop: Header=BB323_991 Depth=1
	v_and_b32_e32 v23, 7, v0
	v_lshrrev_b32_e32 v32, 3, v34
	s_mov_b32 s18, exec_lo
	v_cmpx_gt_u32_e32 8, v34
; %bb.1275:                             ;   in Loop: Header=BB323_991 Depth=1
	v_ffbh_u32_e32 v23, v23
	v_min_u32_e32 v23, 32, v23
	v_subrev_nc_u32_e32 v32, 28, v23
	v_lshlrev_b64 v[34:35], v32, v[0:1]
	v_sub_nc_u32_e32 v32, 29, v23
	v_and_b32_e32 v23, 7, v34
; %bb.1276:                             ;   in Loop: Header=BB323_991 Depth=1
	s_or_b32 exec_lo, exec_lo, s18
	v_lshlrev_b32_e32 v0, 8, v0
	v_lshl_add_u32 v32, v32, 10, 0x2000
	v_lshlrev_b32_e32 v23, 7, v23
	v_and_b32_e32 v0, 0x8000, v0
	v_and_b32_e32 v32, 0xfc00, v32
	v_or3_b32 v23, v0, v32, v23
.LBB323_1277:                           ;   in Loop: Header=BB323_991 Depth=1
	s_or_b32 exec_lo, exec_lo, s15
.LBB323_1278:                           ;   in Loop: Header=BB323_991 Depth=1
	s_or_b32 exec_lo, exec_lo, s13
.LBB323_1279:                           ;   in Loop: Header=BB323_991 Depth=1
	s_or_b32 exec_lo, exec_lo, s12
	s_mov_b32 s12, exec_lo
	v_cmpx_lt_u32_e32 0xffffff, v11
	s_cbranch_execz .LBB323_1287
; %bb.1280:                             ;   in Loop: Header=BB323_991 Depth=1
	v_lshrrev_b32_e32 v0, 24, v11
	v_bfrev_b32_e32 v22, 1
	s_mov_b32 s13, exec_lo
	v_cmpx_ne_u32_e32 0x80, v0
	s_cbranch_execz .LBB323_1286
; %bb.1281:                             ;   in Loop: Header=BB323_991 Depth=1
	v_and_b32_e32 v34, 0x7f, v0
	v_mov_b32_e32 v22, 0x7c010000
	s_mov_b32 s15, exec_lo
	v_cmpx_ne_u32_e32 0x7f, v34
	s_cbranch_execz .LBB323_1285
; %bb.1282:                             ;   in Loop: Header=BB323_991 Depth=1
	v_and_b32_e32 v22, 7, v0
	v_lshrrev_b32_e32 v32, 3, v34
	s_mov_b32 s18, exec_lo
	v_cmpx_gt_u32_e32 8, v34
; %bb.1283:                             ;   in Loop: Header=BB323_991 Depth=1
	v_ffbh_u32_e32 v22, v22
	v_min_u32_e32 v22, 32, v22
	v_subrev_nc_u32_e32 v32, 28, v22
	v_lshlrev_b64 v[34:35], v32, v[0:1]
	v_sub_nc_u32_e32 v32, 29, v22
	v_and_b32_e32 v22, 7, v34
; %bb.1284:                             ;   in Loop: Header=BB323_991 Depth=1
	s_or_b32 exec_lo, exec_lo, s18
	v_lshlrev_b32_e32 v0, 8, v0
	v_lshl_add_u32 v32, v32, 10, 0x2000
	v_lshlrev_b32_e32 v22, 23, v22
	v_and_or_b32 v0, 0x8000, v0, v32
	v_lshl_or_b32 v22, v0, 16, v22
.LBB323_1285:                           ;   in Loop: Header=BB323_991 Depth=1
	s_or_b32 exec_lo, exec_lo, s15
.LBB323_1286:                           ;   in Loop: Header=BB323_991 Depth=1
	s_or_b32 exec_lo, exec_lo, s13
.LBB323_1287:                           ;   in Loop: Header=BB323_991 Depth=1
	s_or_b32 exec_lo, exec_lo, s12
	v_mov_b32_e32 v0, v12
	v_cmp_ne_u16_sdwa s4, v12, v1 src0_sel:BYTE_0 src1_sel:DWORD
	v_mov_b32_e32 v32, 0
	v_mov_b32_e32 v34, 0
	s_and_saveexec_b32 s12, s4
	s_cbranch_execz .LBB323_1295
; %bb.1288:                             ;   in Loop: Header=BB323_991 Depth=1
	v_cmp_ne_u16_sdwa s4, v12, v16 src0_sel:BYTE_0 src1_sel:DWORD
	v_mov_b32_e32 v34, 0x8000
	s_and_saveexec_b32 s13, s4
	s_cbranch_execz .LBB323_1294
; %bb.1289:                             ;   in Loop: Header=BB323_991 Depth=1
	v_and_b32_e32 v97, 0x7f, v12
	v_mov_b32_e32 v34, 0x7c01
	s_mov_b32 s15, exec_lo
	v_cmpx_ne_u32_e32 0x7f, v97
	s_cbranch_execz .LBB323_1293
; %bb.1290:                             ;   in Loop: Header=BB323_991 Depth=1
	v_and_b32_e32 v34, 7, v12
	v_lshrrev_b32_e32 v35, 3, v97
	s_mov_b32 s18, exec_lo
	v_cmpx_gt_u32_e32 8, v97
; %bb.1291:                             ;   in Loop: Header=BB323_991 Depth=1
	v_ffbh_u32_e32 v34, v34
	v_min_u32_e32 v97, 32, v34
	v_subrev_nc_u32_e32 v34, 28, v97
	v_lshlrev_b64 v[34:35], v34, v[0:1]
	v_sub_nc_u32_e32 v35, 29, v97
	v_and_b32_e32 v34, 7, v34
; %bb.1292:                             ;   in Loop: Header=BB323_991 Depth=1
	s_or_b32 exec_lo, exec_lo, s18
	v_lshlrev_b32_e32 v97, 8, v12
	v_lshl_add_u32 v35, v35, 10, 0x2000
	v_lshlrev_b32_e32 v34, 7, v34
	v_and_b32_e32 v97, 0x8000, v97
	v_and_b32_e32 v35, 0xfc00, v35
	v_or3_b32 v34, v97, v35, v34
.LBB323_1293:                           ;   in Loop: Header=BB323_991 Depth=1
	s_or_b32 exec_lo, exec_lo, s15
.LBB323_1294:                           ;   in Loop: Header=BB323_991 Depth=1
	s_or_b32 exec_lo, exec_lo, s13
.LBB323_1295:                           ;   in Loop: Header=BB323_991 Depth=1
	s_or_b32 exec_lo, exec_lo, s12
	v_lshrrev_b16 v0, 8, v0
	v_mov_b32_e32 v35, 0
	s_mov_b32 s12, exec_lo
	v_cmpx_ne_u16_e32 0, v0
	s_cbranch_execz .LBB323_1303
; %bb.1296:                             ;   in Loop: Header=BB323_991 Depth=1
	v_bfrev_b32_e32 v35, 1
	s_mov_b32 s13, exec_lo
	v_cmpx_ne_u16_e32 0x80, v0
	s_cbranch_execz .LBB323_1302
; %bb.1297:                             ;   in Loop: Header=BB323_991 Depth=1
	v_and_b32_sdwa v98, v0, v17 dst_sel:DWORD dst_unused:UNUSED_PAD src0_sel:WORD_0 src1_sel:DWORD
	v_mov_b32_e32 v35, 0x7c010000
	s_mov_b32 s15, exec_lo
	v_cmpx_ne_u32_e32 0x7f, v98
	s_cbranch_execz .LBB323_1301
; %bb.1298:                             ;   in Loop: Header=BB323_991 Depth=1
	v_and_b32_sdwa v35, v0, v37 dst_sel:DWORD dst_unused:UNUSED_PAD src0_sel:WORD_0 src1_sel:DWORD
	v_lshrrev_b32_e32 v97, 3, v98
	s_mov_b32 s18, exec_lo
	v_cmpx_gt_u32_e32 8, v98
; %bb.1299:                             ;   in Loop: Header=BB323_991 Depth=1
	v_ffbh_u32_e32 v35, v35
	v_min_u32_e32 v35, 32, v35
	v_subrev_nc_u32_e32 v97, 28, v35
	v_lshlrev_b64 v[98:99], v97, v[0:1]
	v_sub_nc_u32_e32 v97, 29, v35
	v_and_b32_e32 v35, 7, v98
; %bb.1300:                             ;   in Loop: Header=BB323_991 Depth=1
	s_or_b32 exec_lo, exec_lo, s18
	v_lshlrev_b32_sdwa v0, v53, v0 dst_sel:DWORD dst_unused:UNUSED_PAD src0_sel:DWORD src1_sel:WORD_0
	v_lshl_add_u32 v97, v97, 10, 0x2000
	v_lshlrev_b32_e32 v35, 23, v35
	v_and_or_b32 v0, 0x8000, v0, v97
	v_lshl_or_b32 v35, v0, 16, v35
.LBB323_1301:                           ;   in Loop: Header=BB323_991 Depth=1
	s_or_b32 exec_lo, exec_lo, s15
.LBB323_1302:                           ;   in Loop: Header=BB323_991 Depth=1
	s_or_b32 exec_lo, exec_lo, s13
.LBB323_1303:                           ;   in Loop: Header=BB323_991 Depth=1
	s_or_b32 exec_lo, exec_lo, s12
	v_lshrrev_b32_e32 v0, 16, v12
	v_cmp_ne_u16_sdwa s4, v0, v1 src0_sel:BYTE_0 src1_sel:DWORD
	s_and_saveexec_b32 s12, s4
	s_cbranch_execz .LBB323_1311
; %bb.1304:                             ;   in Loop: Header=BB323_991 Depth=1
	v_cmp_ne_u16_sdwa s4, v0, v16 src0_sel:BYTE_0 src1_sel:DWORD
	v_mov_b32_e32 v32, 0x8000
	s_and_saveexec_b32 s13, s4
	s_cbranch_execz .LBB323_1310
; %bb.1305:                             ;   in Loop: Header=BB323_991 Depth=1
	v_bfe_u32 v98, v12, 16, 7
	v_mov_b32_e32 v32, 0x7c01
	s_mov_b32 s15, exec_lo
	v_cmpx_ne_u32_e32 0x7f, v98
	s_cbranch_execz .LBB323_1309
; %bb.1306:                             ;   in Loop: Header=BB323_991 Depth=1
	v_and_b32_e32 v32, 7, v0
	v_lshrrev_b32_e32 v97, 3, v98
	s_mov_b32 s18, exec_lo
	v_cmpx_gt_u32_e32 8, v98
; %bb.1307:                             ;   in Loop: Header=BB323_991 Depth=1
	v_ffbh_u32_e32 v32, v32
	v_min_u32_e32 v32, 32, v32
	v_subrev_nc_u32_e32 v97, 28, v32
	v_lshlrev_b64 v[98:99], v97, v[0:1]
	v_sub_nc_u32_e32 v97, 29, v32
	v_and_b32_e32 v32, 7, v98
; %bb.1308:                             ;   in Loop: Header=BB323_991 Depth=1
	s_or_b32 exec_lo, exec_lo, s18
	v_lshlrev_b32_e32 v0, 8, v0
	v_lshl_add_u32 v97, v97, 10, 0x2000
	v_lshlrev_b32_e32 v32, 7, v32
	v_and_b32_e32 v0, 0x8000, v0
	v_and_b32_e32 v97, 0xfc00, v97
	v_or3_b32 v32, v0, v97, v32
.LBB323_1309:                           ;   in Loop: Header=BB323_991 Depth=1
	s_or_b32 exec_lo, exec_lo, s15
.LBB323_1310:                           ;   in Loop: Header=BB323_991 Depth=1
	s_or_b32 exec_lo, exec_lo, s13
.LBB323_1311:                           ;   in Loop: Header=BB323_991 Depth=1
	s_or_b32 exec_lo, exec_lo, s12
	v_cmp_lt_u64_e64 s4, s[8:9], v[11:12]
	v_mov_b32_e32 v11, 0
	s_and_saveexec_b32 s12, s4
	s_cbranch_execz .LBB323_1319
; %bb.1312:                             ;   in Loop: Header=BB323_991 Depth=1
	v_lshrrev_b32_e32 v0, 24, v12
	v_bfrev_b32_e32 v11, 1
	s_mov_b32 s13, exec_lo
	v_cmpx_ne_u32_e32 0x80, v0
	s_cbranch_execz .LBB323_1318
; %bb.1313:                             ;   in Loop: Header=BB323_991 Depth=1
	v_and_b32_e32 v97, 0x7f, v0
	v_mov_b32_e32 v11, 0x7c010000
	s_mov_b32 s15, exec_lo
	v_cmpx_ne_u32_e32 0x7f, v97
	s_cbranch_execz .LBB323_1317
; %bb.1314:                             ;   in Loop: Header=BB323_991 Depth=1
	v_and_b32_e32 v11, 7, v0
	v_lshrrev_b32_e32 v12, 3, v97
	s_mov_b32 s18, exec_lo
	v_cmpx_gt_u32_e32 8, v97
; %bb.1315:                             ;   in Loop: Header=BB323_991 Depth=1
	v_ffbh_u32_e32 v11, v11
	v_min_u32_e32 v97, 32, v11
	v_subrev_nc_u32_e32 v11, 28, v97
	v_lshlrev_b64 v[11:12], v11, v[0:1]
	v_sub_nc_u32_e32 v12, 29, v97
	v_and_b32_e32 v11, 7, v11
; %bb.1316:                             ;   in Loop: Header=BB323_991 Depth=1
	s_or_b32 exec_lo, exec_lo, s18
	v_lshlrev_b32_e32 v0, 8, v0
	v_lshl_add_u32 v12, v12, 10, 0x2000
	v_lshlrev_b32_e32 v11, 23, v11
	v_and_or_b32 v0, 0x8000, v0, v12
	v_lshl_or_b32 v11, v0, 16, v11
.LBB323_1317:                           ;   in Loop: Header=BB323_991 Depth=1
	s_or_b32 exec_lo, exec_lo, s15
.LBB323_1318:                           ;   in Loop: Header=BB323_991 Depth=1
	s_or_b32 exec_lo, exec_lo, s13
.LBB323_1319:                           ;   in Loop: Header=BB323_991 Depth=1
	s_or_b32 exec_lo, exec_lo, s12
	v_or_b32_e32 v0, v22, v23
	s_waitcnt vmcnt(0) lgkmcnt(0)
	v_fma_mixlo_f16 v12, v4, v22, 0 op_sel:[0,1,0] op_sel_hi:[0,1,0]
	v_or_b32_e32 v6, v5, v6
	v_fma_mixlo_f16 v5, v4, v5, 0 op_sel:[0,1,0] op_sel_hi:[0,1,0]
	v_or_b32_e32 v22, v35, v34
	v_fma_mixlo_f16 v23, v4, v0, 0 op_sel_hi:[0,1,0]
	v_or_b32_e32 v32, v11, v32
	v_lshlrev_b32_e32 v0, 16, v12
	v_lshlrev_b32_e32 v12, 16, v5
	v_fma_mixlo_f16 v6, v4, v6, 0 op_sel_hi:[0,1,0]
	v_and_b32_e32 v5, 0xffff, v23
	v_fma_mixlo_f16 v23, v4, v35, 0 op_sel:[0,1,0] op_sel_hi:[0,1,0]
	v_fma_mixlo_f16 v22, v4, v22, 0 op_sel_hi:[0,1,0]
	v_fma_mixlo_f16 v11, v4, v11, 0 op_sel:[0,1,0] op_sel_hi:[0,1,0]
	v_fma_mixlo_f16 v32, v4, v32, 0 op_sel_hi:[0,1,0]
	v_and_b32_e32 v97, 0xffff, v6
	v_lshlrev_b32_e32 v6, 16, v23
	v_and_b32_e32 v23, 0xffff, v22
	v_lshlrev_b32_e32 v4, 16, v11
	v_and_b32_e32 v11, 0xffff, v32
	v_or_b32_e32 v22, v0, v5
	v_or_b32_e32 v35, v12, v97
	;; [unrolled: 1-line block ×4, first 2 shown]
	s_and_saveexec_b32 s12, vcc_lo
	s_cbranch_execz .LBB323_1321
; %bb.1320:                             ;   in Loop: Header=BB323_991 Depth=1
	v_cmp_lt_i32_e64 s4, v54, v33
	v_cndmask_b32_e64 v22, 0, v97, s4
	v_cmp_lt_i32_e64 s4, v82, v33
	v_cndmask_b32_e64 v12, 0, v12, s4
	v_cmp_lt_i32_e64 s4, v81, v33
	v_or_b32_e32 v35, v22, v12
	v_cndmask_b32_e64 v5, 0, v5, s4
	v_cmp_lt_i32_e64 s4, v80, v33
	v_cndmask_b32_e64 v0, 0, v0, s4
	v_cmp_lt_i32_e64 s4, v71, v33
	v_or_b32_e32 v22, v5, v0
	v_cndmask_b32_e64 v23, 0, v23, s4
	v_cmp_lt_i32_e64 s4, v70, v33
	v_cndmask_b32_e64 v6, 0, v6, s4
	v_cmp_lt_i32_e64 s4, v69, v33
	v_or_b32_e32 v34, v23, v6
	v_cndmask_b32_e64 v11, 0, v11, s4
	v_cmp_lt_i32_e64 s4, v14, v33
	v_cndmask_b32_e64 v4, 0, v4, s4
	v_or_b32_e32 v32, v11, v4
.LBB323_1321:                           ;   in Loop: Header=BB323_991 Depth=1
	s_or_b32 exec_lo, exec_lo, s12
	;;#ASMSTART
	v_pk_mul_f16 v0, v67, v35;

	;;#ASMEND
	;;#ASMSTART
	v_pk_mul_f16 v4, v65, v22;

	;;#ASMEND
	;; [unrolled: 4-line block ×4, first 2 shown]
	;;#ASMSTART
	v_pk_add_f16 v0, v0, v4;

	;;#ASMEND
	;;#ASMSTART
	v_pk_add_f16 v0, v0, v5;

	;;#ASMEND
	;; [unrolled: 4-line block ×3, first 2 shown]
	v_and_b32_e32 v4, 0xffff, v0
	v_lshrrev_b32_e32 v0, 16, v0
	;;#ASMSTART
	v_cvt_f32_f16 v97, v4;
	;;#ASMEND
	;;#ASMSTART
	v_cvt_f32_f16 v98, v0;
	;;#ASMEND
	flat_load_dwordx2 v[11:12], v[9:10] offset:1280
	flat_load_dword v4, v[26:27]
	v_mov_b32_e32 v5, 0
	v_mov_b32_e32 v6, 0
	s_waitcnt vmcnt(1) lgkmcnt(1)
	v_cmp_ne_u16_sdwa s4, v11, v1 src0_sel:BYTE_0 src1_sel:DWORD
	s_and_saveexec_b32 s12, s4
	s_cbranch_execz .LBB323_1329
; %bb.1322:                             ;   in Loop: Header=BB323_991 Depth=1
	v_cmp_ne_u16_sdwa s4, v11, v16 src0_sel:BYTE_0 src1_sel:DWORD
	v_mov_b32_e32 v6, 0x8000
	s_and_saveexec_b32 s13, s4
	s_cbranch_execz .LBB323_1328
; %bb.1323:                             ;   in Loop: Header=BB323_991 Depth=1
	v_and_b32_e32 v22, 0x7f, v11
	v_mov_b32_e32 v6, 0x7c01
	s_mov_b32 s15, exec_lo
	v_cmpx_ne_u32_e32 0x7f, v22
	s_cbranch_execz .LBB323_1327
; %bb.1324:                             ;   in Loop: Header=BB323_991 Depth=1
	v_and_b32_e32 v0, 7, v11
	v_lshrrev_b32_e32 v6, 3, v22
	s_mov_b32 s18, exec_lo
	v_cmpx_gt_u32_e32 8, v22
; %bb.1325:                             ;   in Loop: Header=BB323_991 Depth=1
	v_ffbh_u32_e32 v0, v0
	v_min_u32_e32 v0, 32, v0
	v_subrev_nc_u32_e32 v6, 28, v0
	v_lshlrev_b64 v[22:23], v6, v[11:12]
	v_sub_nc_u32_e32 v6, 29, v0
	v_and_b32_e32 v0, 7, v22
; %bb.1326:                             ;   in Loop: Header=BB323_991 Depth=1
	s_or_b32 exec_lo, exec_lo, s18
	v_lshlrev_b32_e32 v22, 8, v11
	v_lshl_add_u32 v6, v6, 10, 0x2000
	v_lshlrev_b32_e32 v0, 7, v0
	v_and_b32_e32 v22, 0x8000, v22
	v_and_b32_e32 v6, 0xfc00, v6
	v_or3_b32 v6, v22, v6, v0
.LBB323_1327:                           ;   in Loop: Header=BB323_991 Depth=1
	s_or_b32 exec_lo, exec_lo, s15
.LBB323_1328:                           ;   in Loop: Header=BB323_991 Depth=1
	s_or_b32 exec_lo, exec_lo, s13
.LBB323_1329:                           ;   in Loop: Header=BB323_991 Depth=1
	s_or_b32 exec_lo, exec_lo, s12
	v_lshrrev_b16 v0, 8, v11
	s_mov_b32 s12, exec_lo
	v_cmpx_ne_u16_e32 0, v0
	s_cbranch_execz .LBB323_1337
; %bb.1330:                             ;   in Loop: Header=BB323_991 Depth=1
	v_bfrev_b32_e32 v5, 1
	s_mov_b32 s13, exec_lo
	v_cmpx_ne_u16_e32 0x80, v0
	s_cbranch_execz .LBB323_1336
; %bb.1331:                             ;   in Loop: Header=BB323_991 Depth=1
	v_and_b32_sdwa v23, v0, v17 dst_sel:DWORD dst_unused:UNUSED_PAD src0_sel:WORD_0 src1_sel:DWORD
	v_mov_b32_e32 v5, 0x7c010000
	s_mov_b32 s15, exec_lo
	v_cmpx_ne_u32_e32 0x7f, v23
	s_cbranch_execz .LBB323_1335
; %bb.1332:                             ;   in Loop: Header=BB323_991 Depth=1
	v_and_b32_sdwa v5, v0, v37 dst_sel:DWORD dst_unused:UNUSED_PAD src0_sel:WORD_0 src1_sel:DWORD
	v_lshrrev_b32_e32 v22, 3, v23
	s_mov_b32 s18, exec_lo
	v_cmpx_gt_u32_e32 8, v23
; %bb.1333:                             ;   in Loop: Header=BB323_991 Depth=1
	v_ffbh_u32_e32 v5, v5
	v_min_u32_e32 v5, 32, v5
	v_subrev_nc_u32_e32 v22, 28, v5
	v_lshlrev_b64 v[34:35], v22, v[0:1]
	v_sub_nc_u32_e32 v22, 29, v5
	v_and_b32_e32 v5, 7, v34
; %bb.1334:                             ;   in Loop: Header=BB323_991 Depth=1
	s_or_b32 exec_lo, exec_lo, s18
	v_lshlrev_b32_sdwa v0, v53, v0 dst_sel:DWORD dst_unused:UNUSED_PAD src0_sel:DWORD src1_sel:WORD_0
	v_lshl_add_u32 v22, v22, 10, 0x2000
	v_lshlrev_b32_e32 v5, 23, v5
	v_and_or_b32 v0, 0x8000, v0, v22
	v_lshl_or_b32 v5, v0, 16, v5
.LBB323_1335:                           ;   in Loop: Header=BB323_991 Depth=1
	s_or_b32 exec_lo, exec_lo, s15
.LBB323_1336:                           ;   in Loop: Header=BB323_991 Depth=1
	s_or_b32 exec_lo, exec_lo, s13
.LBB323_1337:                           ;   in Loop: Header=BB323_991 Depth=1
	s_or_b32 exec_lo, exec_lo, s12
	v_lshrrev_b32_e32 v0, 16, v11
	v_mov_b32_e32 v22, 0
	v_mov_b32_e32 v23, 0
	v_cmp_ne_u16_sdwa s4, v0, v1 src0_sel:BYTE_0 src1_sel:DWORD
	s_and_saveexec_b32 s12, s4
	s_cbranch_execz .LBB323_1345
; %bb.1338:                             ;   in Loop: Header=BB323_991 Depth=1
	v_cmp_ne_u16_sdwa s4, v0, v16 src0_sel:BYTE_0 src1_sel:DWORD
	v_mov_b32_e32 v23, 0x8000
	s_and_saveexec_b32 s13, s4
	s_cbranch_execz .LBB323_1344
; %bb.1339:                             ;   in Loop: Header=BB323_991 Depth=1
	v_bfe_u32 v34, v11, 16, 7
	v_mov_b32_e32 v23, 0x7c01
	s_mov_b32 s15, exec_lo
	v_cmpx_ne_u32_e32 0x7f, v34
	s_cbranch_execz .LBB323_1343
; %bb.1340:                             ;   in Loop: Header=BB323_991 Depth=1
	v_and_b32_e32 v23, 7, v0
	v_lshrrev_b32_e32 v32, 3, v34
	s_mov_b32 s18, exec_lo
	v_cmpx_gt_u32_e32 8, v34
; %bb.1341:                             ;   in Loop: Header=BB323_991 Depth=1
	v_ffbh_u32_e32 v23, v23
	v_min_u32_e32 v23, 32, v23
	v_subrev_nc_u32_e32 v32, 28, v23
	v_lshlrev_b64 v[34:35], v32, v[0:1]
	v_sub_nc_u32_e32 v32, 29, v23
	v_and_b32_e32 v23, 7, v34
; %bb.1342:                             ;   in Loop: Header=BB323_991 Depth=1
	s_or_b32 exec_lo, exec_lo, s18
	v_lshlrev_b32_e32 v0, 8, v0
	v_lshl_add_u32 v32, v32, 10, 0x2000
	v_lshlrev_b32_e32 v23, 7, v23
	v_and_b32_e32 v0, 0x8000, v0
	v_and_b32_e32 v32, 0xfc00, v32
	v_or3_b32 v23, v0, v32, v23
.LBB323_1343:                           ;   in Loop: Header=BB323_991 Depth=1
	s_or_b32 exec_lo, exec_lo, s15
.LBB323_1344:                           ;   in Loop: Header=BB323_991 Depth=1
	s_or_b32 exec_lo, exec_lo, s13
.LBB323_1345:                           ;   in Loop: Header=BB323_991 Depth=1
	s_or_b32 exec_lo, exec_lo, s12
	s_mov_b32 s12, exec_lo
	v_cmpx_lt_u32_e32 0xffffff, v11
	s_cbranch_execz .LBB323_1353
; %bb.1346:                             ;   in Loop: Header=BB323_991 Depth=1
	v_lshrrev_b32_e32 v0, 24, v11
	v_bfrev_b32_e32 v22, 1
	s_mov_b32 s13, exec_lo
	v_cmpx_ne_u32_e32 0x80, v0
	s_cbranch_execz .LBB323_1352
; %bb.1347:                             ;   in Loop: Header=BB323_991 Depth=1
	v_and_b32_e32 v34, 0x7f, v0
	v_mov_b32_e32 v22, 0x7c010000
	s_mov_b32 s15, exec_lo
	v_cmpx_ne_u32_e32 0x7f, v34
	s_cbranch_execz .LBB323_1351
; %bb.1348:                             ;   in Loop: Header=BB323_991 Depth=1
	v_and_b32_e32 v22, 7, v0
	v_lshrrev_b32_e32 v32, 3, v34
	s_mov_b32 s18, exec_lo
	v_cmpx_gt_u32_e32 8, v34
; %bb.1349:                             ;   in Loop: Header=BB323_991 Depth=1
	v_ffbh_u32_e32 v22, v22
	v_min_u32_e32 v22, 32, v22
	v_subrev_nc_u32_e32 v32, 28, v22
	v_lshlrev_b64 v[34:35], v32, v[0:1]
	v_sub_nc_u32_e32 v32, 29, v22
	v_and_b32_e32 v22, 7, v34
; %bb.1350:                             ;   in Loop: Header=BB323_991 Depth=1
	s_or_b32 exec_lo, exec_lo, s18
	v_lshlrev_b32_e32 v0, 8, v0
	v_lshl_add_u32 v32, v32, 10, 0x2000
	v_lshlrev_b32_e32 v22, 23, v22
	v_and_or_b32 v0, 0x8000, v0, v32
	v_lshl_or_b32 v22, v0, 16, v22
.LBB323_1351:                           ;   in Loop: Header=BB323_991 Depth=1
	s_or_b32 exec_lo, exec_lo, s15
.LBB323_1352:                           ;   in Loop: Header=BB323_991 Depth=1
	s_or_b32 exec_lo, exec_lo, s13
.LBB323_1353:                           ;   in Loop: Header=BB323_991 Depth=1
	s_or_b32 exec_lo, exec_lo, s12
	v_mov_b32_e32 v0, v12
	v_cmp_ne_u16_sdwa s4, v12, v1 src0_sel:BYTE_0 src1_sel:DWORD
	v_mov_b32_e32 v32, 0
	v_mov_b32_e32 v34, 0
	s_and_saveexec_b32 s12, s4
	s_cbranch_execz .LBB323_1361
; %bb.1354:                             ;   in Loop: Header=BB323_991 Depth=1
	v_cmp_ne_u16_sdwa s4, v12, v16 src0_sel:BYTE_0 src1_sel:DWORD
	v_mov_b32_e32 v34, 0x8000
	s_and_saveexec_b32 s13, s4
	s_cbranch_execz .LBB323_1360
; %bb.1355:                             ;   in Loop: Header=BB323_991 Depth=1
	v_and_b32_e32 v99, 0x7f, v12
	v_mov_b32_e32 v34, 0x7c01
	s_mov_b32 s15, exec_lo
	v_cmpx_ne_u32_e32 0x7f, v99
	s_cbranch_execz .LBB323_1359
; %bb.1356:                             ;   in Loop: Header=BB323_991 Depth=1
	v_and_b32_e32 v34, 7, v12
	v_lshrrev_b32_e32 v35, 3, v99
	s_mov_b32 s18, exec_lo
	v_cmpx_gt_u32_e32 8, v99
; %bb.1357:                             ;   in Loop: Header=BB323_991 Depth=1
	v_ffbh_u32_e32 v34, v34
	v_min_u32_e32 v99, 32, v34
	v_subrev_nc_u32_e32 v34, 28, v99
	v_lshlrev_b64 v[34:35], v34, v[0:1]
	v_sub_nc_u32_e32 v35, 29, v99
	v_and_b32_e32 v34, 7, v34
; %bb.1358:                             ;   in Loop: Header=BB323_991 Depth=1
	s_or_b32 exec_lo, exec_lo, s18
	v_lshlrev_b32_e32 v99, 8, v12
	v_lshl_add_u32 v35, v35, 10, 0x2000
	v_lshlrev_b32_e32 v34, 7, v34
	v_and_b32_e32 v99, 0x8000, v99
	v_and_b32_e32 v35, 0xfc00, v35
	v_or3_b32 v34, v99, v35, v34
.LBB323_1359:                           ;   in Loop: Header=BB323_991 Depth=1
	s_or_b32 exec_lo, exec_lo, s15
.LBB323_1360:                           ;   in Loop: Header=BB323_991 Depth=1
	s_or_b32 exec_lo, exec_lo, s13
.LBB323_1361:                           ;   in Loop: Header=BB323_991 Depth=1
	s_or_b32 exec_lo, exec_lo, s12
	v_lshrrev_b16 v0, 8, v0
	v_mov_b32_e32 v35, 0
	s_mov_b32 s12, exec_lo
	v_cmpx_ne_u16_e32 0, v0
	s_cbranch_execz .LBB323_1369
; %bb.1362:                             ;   in Loop: Header=BB323_991 Depth=1
	v_bfrev_b32_e32 v35, 1
	s_mov_b32 s13, exec_lo
	v_cmpx_ne_u16_e32 0x80, v0
	s_cbranch_execz .LBB323_1368
; %bb.1363:                             ;   in Loop: Header=BB323_991 Depth=1
	v_and_b32_sdwa v100, v0, v17 dst_sel:DWORD dst_unused:UNUSED_PAD src0_sel:WORD_0 src1_sel:DWORD
	v_mov_b32_e32 v35, 0x7c010000
	s_mov_b32 s15, exec_lo
	v_cmpx_ne_u32_e32 0x7f, v100
	s_cbranch_execz .LBB323_1367
; %bb.1364:                             ;   in Loop: Header=BB323_991 Depth=1
	v_and_b32_sdwa v35, v0, v37 dst_sel:DWORD dst_unused:UNUSED_PAD src0_sel:WORD_0 src1_sel:DWORD
	v_lshrrev_b32_e32 v99, 3, v100
	s_mov_b32 s18, exec_lo
	v_cmpx_gt_u32_e32 8, v100
; %bb.1365:                             ;   in Loop: Header=BB323_991 Depth=1
	v_ffbh_u32_e32 v35, v35
	v_min_u32_e32 v35, 32, v35
	v_subrev_nc_u32_e32 v99, 28, v35
	v_lshlrev_b64 v[100:101], v99, v[0:1]
	v_sub_nc_u32_e32 v99, 29, v35
	v_and_b32_e32 v35, 7, v100
; %bb.1366:                             ;   in Loop: Header=BB323_991 Depth=1
	s_or_b32 exec_lo, exec_lo, s18
	v_lshlrev_b32_sdwa v0, v53, v0 dst_sel:DWORD dst_unused:UNUSED_PAD src0_sel:DWORD src1_sel:WORD_0
	v_lshl_add_u32 v99, v99, 10, 0x2000
	v_lshlrev_b32_e32 v35, 23, v35
	v_and_or_b32 v0, 0x8000, v0, v99
	v_lshl_or_b32 v35, v0, 16, v35
.LBB323_1367:                           ;   in Loop: Header=BB323_991 Depth=1
	s_or_b32 exec_lo, exec_lo, s15
.LBB323_1368:                           ;   in Loop: Header=BB323_991 Depth=1
	s_or_b32 exec_lo, exec_lo, s13
.LBB323_1369:                           ;   in Loop: Header=BB323_991 Depth=1
	s_or_b32 exec_lo, exec_lo, s12
	v_lshrrev_b32_e32 v0, 16, v12
	v_cmp_ne_u16_sdwa s4, v0, v1 src0_sel:BYTE_0 src1_sel:DWORD
	s_and_saveexec_b32 s12, s4
	s_cbranch_execz .LBB323_1377
; %bb.1370:                             ;   in Loop: Header=BB323_991 Depth=1
	v_cmp_ne_u16_sdwa s4, v0, v16 src0_sel:BYTE_0 src1_sel:DWORD
	v_mov_b32_e32 v32, 0x8000
	s_and_saveexec_b32 s13, s4
	s_cbranch_execz .LBB323_1376
; %bb.1371:                             ;   in Loop: Header=BB323_991 Depth=1
	v_bfe_u32 v100, v12, 16, 7
	v_mov_b32_e32 v32, 0x7c01
	s_mov_b32 s15, exec_lo
	v_cmpx_ne_u32_e32 0x7f, v100
	s_cbranch_execz .LBB323_1375
; %bb.1372:                             ;   in Loop: Header=BB323_991 Depth=1
	v_and_b32_e32 v32, 7, v0
	v_lshrrev_b32_e32 v99, 3, v100
	s_mov_b32 s18, exec_lo
	v_cmpx_gt_u32_e32 8, v100
; %bb.1373:                             ;   in Loop: Header=BB323_991 Depth=1
	v_ffbh_u32_e32 v32, v32
	v_min_u32_e32 v32, 32, v32
	v_subrev_nc_u32_e32 v99, 28, v32
	v_lshlrev_b64 v[100:101], v99, v[0:1]
	v_sub_nc_u32_e32 v99, 29, v32
	v_and_b32_e32 v32, 7, v100
; %bb.1374:                             ;   in Loop: Header=BB323_991 Depth=1
	s_or_b32 exec_lo, exec_lo, s18
	v_lshlrev_b32_e32 v0, 8, v0
	v_lshl_add_u32 v99, v99, 10, 0x2000
	v_lshlrev_b32_e32 v32, 7, v32
	v_and_b32_e32 v0, 0x8000, v0
	v_and_b32_e32 v99, 0xfc00, v99
	v_or3_b32 v32, v0, v99, v32
.LBB323_1375:                           ;   in Loop: Header=BB323_991 Depth=1
	s_or_b32 exec_lo, exec_lo, s15
.LBB323_1376:                           ;   in Loop: Header=BB323_991 Depth=1
	s_or_b32 exec_lo, exec_lo, s13
.LBB323_1377:                           ;   in Loop: Header=BB323_991 Depth=1
	s_or_b32 exec_lo, exec_lo, s12
	v_cmp_lt_u64_e64 s4, s[8:9], v[11:12]
	v_mov_b32_e32 v11, 0
	s_and_saveexec_b32 s12, s4
	s_cbranch_execz .LBB323_1385
; %bb.1378:                             ;   in Loop: Header=BB323_991 Depth=1
	v_lshrrev_b32_e32 v0, 24, v12
	v_bfrev_b32_e32 v11, 1
	s_mov_b32 s13, exec_lo
	v_cmpx_ne_u32_e32 0x80, v0
	s_cbranch_execz .LBB323_1384
; %bb.1379:                             ;   in Loop: Header=BB323_991 Depth=1
	v_and_b32_e32 v99, 0x7f, v0
	v_mov_b32_e32 v11, 0x7c010000
	s_mov_b32 s15, exec_lo
	v_cmpx_ne_u32_e32 0x7f, v99
	s_cbranch_execz .LBB323_1383
; %bb.1380:                             ;   in Loop: Header=BB323_991 Depth=1
	v_and_b32_e32 v11, 7, v0
	v_lshrrev_b32_e32 v12, 3, v99
	s_mov_b32 s18, exec_lo
	v_cmpx_gt_u32_e32 8, v99
; %bb.1381:                             ;   in Loop: Header=BB323_991 Depth=1
	v_ffbh_u32_e32 v11, v11
	v_min_u32_e32 v99, 32, v11
	v_subrev_nc_u32_e32 v11, 28, v99
	v_lshlrev_b64 v[11:12], v11, v[0:1]
	v_sub_nc_u32_e32 v12, 29, v99
	v_and_b32_e32 v11, 7, v11
; %bb.1382:                             ;   in Loop: Header=BB323_991 Depth=1
	s_or_b32 exec_lo, exec_lo, s18
	v_lshlrev_b32_e32 v0, 8, v0
	v_lshl_add_u32 v12, v12, 10, 0x2000
	v_lshlrev_b32_e32 v11, 23, v11
	v_and_or_b32 v0, 0x8000, v0, v12
	v_lshl_or_b32 v11, v0, 16, v11
.LBB323_1383:                           ;   in Loop: Header=BB323_991 Depth=1
	s_or_b32 exec_lo, exec_lo, s15
.LBB323_1384:                           ;   in Loop: Header=BB323_991 Depth=1
	s_or_b32 exec_lo, exec_lo, s13
.LBB323_1385:                           ;   in Loop: Header=BB323_991 Depth=1
	s_or_b32 exec_lo, exec_lo, s12
	v_or_b32_e32 v0, v22, v23
	s_waitcnt vmcnt(0) lgkmcnt(0)
	v_fma_mixlo_f16 v12, v4, v22, 0 op_sel:[0,1,0] op_sel_hi:[0,1,0]
	v_or_b32_e32 v6, v5, v6
	v_fma_mixlo_f16 v5, v4, v5, 0 op_sel:[0,1,0] op_sel_hi:[0,1,0]
	v_or_b32_e32 v22, v35, v34
	v_fma_mixlo_f16 v23, v4, v0, 0 op_sel_hi:[0,1,0]
	v_or_b32_e32 v32, v11, v32
	v_lshlrev_b32_e32 v0, 16, v12
	v_lshlrev_b32_e32 v12, 16, v5
	v_fma_mixlo_f16 v6, v4, v6, 0 op_sel_hi:[0,1,0]
	v_and_b32_e32 v5, 0xffff, v23
	v_fma_mixlo_f16 v23, v4, v35, 0 op_sel:[0,1,0] op_sel_hi:[0,1,0]
	v_fma_mixlo_f16 v22, v4, v22, 0 op_sel_hi:[0,1,0]
	v_fma_mixlo_f16 v11, v4, v11, 0 op_sel:[0,1,0] op_sel_hi:[0,1,0]
	v_fma_mixlo_f16 v32, v4, v32, 0 op_sel_hi:[0,1,0]
	v_and_b32_e32 v99, 0xffff, v6
	v_lshlrev_b32_e32 v6, 16, v23
	v_and_b32_e32 v23, 0xffff, v22
	v_lshlrev_b32_e32 v4, 16, v11
	v_and_b32_e32 v11, 0xffff, v32
	v_or_b32_e32 v22, v0, v5
	v_or_b32_e32 v35, v12, v99
	;; [unrolled: 1-line block ×4, first 2 shown]
	s_and_saveexec_b32 s12, vcc_lo
	s_cbranch_execz .LBB323_1387
; %bb.1386:                             ;   in Loop: Header=BB323_991 Depth=1
	v_cmp_lt_i32_e64 s4, v54, v33
	v_cndmask_b32_e64 v22, 0, v99, s4
	v_cmp_lt_i32_e64 s4, v82, v33
	v_cndmask_b32_e64 v12, 0, v12, s4
	v_cmp_lt_i32_e64 s4, v81, v33
	v_or_b32_e32 v35, v22, v12
	v_cndmask_b32_e64 v5, 0, v5, s4
	v_cmp_lt_i32_e64 s4, v80, v33
	v_cndmask_b32_e64 v0, 0, v0, s4
	v_cmp_lt_i32_e64 s4, v71, v33
	v_or_b32_e32 v22, v5, v0
	;; [unrolled: 5-line block ×3, first 2 shown]
	v_cndmask_b32_e64 v11, 0, v11, s4
	v_cmp_lt_i32_e64 s4, v14, v33
	v_cndmask_b32_e64 v4, 0, v4, s4
	v_or_b32_e32 v32, v11, v4
.LBB323_1387:                           ;   in Loop: Header=BB323_991 Depth=1
	s_or_b32 exec_lo, exec_lo, s12
	;;#ASMSTART
	v_pk_mul_f16 v0, v67, v35;

	;;#ASMEND
	;;#ASMSTART
	v_pk_mul_f16 v4, v65, v22;

	;;#ASMEND
	;; [unrolled: 4-line block ×4, first 2 shown]
	;;#ASMSTART
	v_pk_add_f16 v0, v0, v4;

	;;#ASMEND
	;;#ASMSTART
	v_pk_add_f16 v0, v0, v5;

	;;#ASMEND
	;; [unrolled: 4-line block ×3, first 2 shown]
	v_and_b32_e32 v4, 0xffff, v0
	v_lshrrev_b32_e32 v0, 16, v0
	;;#ASMSTART
	v_cvt_f32_f16 v99, v4;
	;;#ASMEND
	;;#ASMSTART
	v_cvt_f32_f16 v100, v0;
	;;#ASMEND
	flat_load_dwordx2 v[11:12], v[9:10] offset:1536
	flat_load_dword v4, v[26:27]
	v_mov_b32_e32 v5, 0
	v_mov_b32_e32 v6, 0
	s_waitcnt vmcnt(1) lgkmcnt(1)
	v_cmp_ne_u16_sdwa s4, v11, v1 src0_sel:BYTE_0 src1_sel:DWORD
	s_and_saveexec_b32 s12, s4
	s_cbranch_execz .LBB323_1395
; %bb.1388:                             ;   in Loop: Header=BB323_991 Depth=1
	v_cmp_ne_u16_sdwa s4, v11, v16 src0_sel:BYTE_0 src1_sel:DWORD
	v_mov_b32_e32 v6, 0x8000
	s_and_saveexec_b32 s13, s4
	s_cbranch_execz .LBB323_1394
; %bb.1389:                             ;   in Loop: Header=BB323_991 Depth=1
	v_and_b32_e32 v22, 0x7f, v11
	v_mov_b32_e32 v6, 0x7c01
	s_mov_b32 s15, exec_lo
	v_cmpx_ne_u32_e32 0x7f, v22
	s_cbranch_execz .LBB323_1393
; %bb.1390:                             ;   in Loop: Header=BB323_991 Depth=1
	v_and_b32_e32 v0, 7, v11
	v_lshrrev_b32_e32 v6, 3, v22
	s_mov_b32 s18, exec_lo
	v_cmpx_gt_u32_e32 8, v22
; %bb.1391:                             ;   in Loop: Header=BB323_991 Depth=1
	v_ffbh_u32_e32 v0, v0
	v_min_u32_e32 v0, 32, v0
	v_subrev_nc_u32_e32 v6, 28, v0
	v_lshlrev_b64 v[22:23], v6, v[11:12]
	v_sub_nc_u32_e32 v6, 29, v0
	v_and_b32_e32 v0, 7, v22
; %bb.1392:                             ;   in Loop: Header=BB323_991 Depth=1
	s_or_b32 exec_lo, exec_lo, s18
	v_lshlrev_b32_e32 v22, 8, v11
	v_lshl_add_u32 v6, v6, 10, 0x2000
	v_lshlrev_b32_e32 v0, 7, v0
	v_and_b32_e32 v22, 0x8000, v22
	v_and_b32_e32 v6, 0xfc00, v6
	v_or3_b32 v6, v22, v6, v0
.LBB323_1393:                           ;   in Loop: Header=BB323_991 Depth=1
	s_or_b32 exec_lo, exec_lo, s15
.LBB323_1394:                           ;   in Loop: Header=BB323_991 Depth=1
	s_or_b32 exec_lo, exec_lo, s13
.LBB323_1395:                           ;   in Loop: Header=BB323_991 Depth=1
	s_or_b32 exec_lo, exec_lo, s12
	v_lshrrev_b16 v0, 8, v11
	s_mov_b32 s12, exec_lo
	v_cmpx_ne_u16_e32 0, v0
	s_cbranch_execz .LBB323_1403
; %bb.1396:                             ;   in Loop: Header=BB323_991 Depth=1
	v_bfrev_b32_e32 v5, 1
	s_mov_b32 s13, exec_lo
	v_cmpx_ne_u16_e32 0x80, v0
	s_cbranch_execz .LBB323_1402
; %bb.1397:                             ;   in Loop: Header=BB323_991 Depth=1
	v_and_b32_sdwa v23, v0, v17 dst_sel:DWORD dst_unused:UNUSED_PAD src0_sel:WORD_0 src1_sel:DWORD
	v_mov_b32_e32 v5, 0x7c010000
	s_mov_b32 s15, exec_lo
	v_cmpx_ne_u32_e32 0x7f, v23
	s_cbranch_execz .LBB323_1401
; %bb.1398:                             ;   in Loop: Header=BB323_991 Depth=1
	v_and_b32_sdwa v5, v0, v37 dst_sel:DWORD dst_unused:UNUSED_PAD src0_sel:WORD_0 src1_sel:DWORD
	v_lshrrev_b32_e32 v22, 3, v23
	s_mov_b32 s18, exec_lo
	v_cmpx_gt_u32_e32 8, v23
; %bb.1399:                             ;   in Loop: Header=BB323_991 Depth=1
	v_ffbh_u32_e32 v5, v5
	v_min_u32_e32 v5, 32, v5
	v_subrev_nc_u32_e32 v22, 28, v5
	v_lshlrev_b64 v[34:35], v22, v[0:1]
	v_sub_nc_u32_e32 v22, 29, v5
	v_and_b32_e32 v5, 7, v34
; %bb.1400:                             ;   in Loop: Header=BB323_991 Depth=1
	s_or_b32 exec_lo, exec_lo, s18
	v_lshlrev_b32_sdwa v0, v53, v0 dst_sel:DWORD dst_unused:UNUSED_PAD src0_sel:DWORD src1_sel:WORD_0
	v_lshl_add_u32 v22, v22, 10, 0x2000
	v_lshlrev_b32_e32 v5, 23, v5
	v_and_or_b32 v0, 0x8000, v0, v22
	v_lshl_or_b32 v5, v0, 16, v5
.LBB323_1401:                           ;   in Loop: Header=BB323_991 Depth=1
	s_or_b32 exec_lo, exec_lo, s15
.LBB323_1402:                           ;   in Loop: Header=BB323_991 Depth=1
	s_or_b32 exec_lo, exec_lo, s13
.LBB323_1403:                           ;   in Loop: Header=BB323_991 Depth=1
	s_or_b32 exec_lo, exec_lo, s12
	v_lshrrev_b32_e32 v0, 16, v11
	v_mov_b32_e32 v22, 0
	v_mov_b32_e32 v23, 0
	v_cmp_ne_u16_sdwa s4, v0, v1 src0_sel:BYTE_0 src1_sel:DWORD
	s_and_saveexec_b32 s12, s4
	s_cbranch_execz .LBB323_1411
; %bb.1404:                             ;   in Loop: Header=BB323_991 Depth=1
	v_cmp_ne_u16_sdwa s4, v0, v16 src0_sel:BYTE_0 src1_sel:DWORD
	v_mov_b32_e32 v23, 0x8000
	s_and_saveexec_b32 s13, s4
	s_cbranch_execz .LBB323_1410
; %bb.1405:                             ;   in Loop: Header=BB323_991 Depth=1
	v_bfe_u32 v34, v11, 16, 7
	v_mov_b32_e32 v23, 0x7c01
	s_mov_b32 s15, exec_lo
	v_cmpx_ne_u32_e32 0x7f, v34
	s_cbranch_execz .LBB323_1409
; %bb.1406:                             ;   in Loop: Header=BB323_991 Depth=1
	v_and_b32_e32 v23, 7, v0
	v_lshrrev_b32_e32 v32, 3, v34
	s_mov_b32 s18, exec_lo
	v_cmpx_gt_u32_e32 8, v34
; %bb.1407:                             ;   in Loop: Header=BB323_991 Depth=1
	v_ffbh_u32_e32 v23, v23
	v_min_u32_e32 v23, 32, v23
	v_subrev_nc_u32_e32 v32, 28, v23
	v_lshlrev_b64 v[34:35], v32, v[0:1]
	v_sub_nc_u32_e32 v32, 29, v23
	v_and_b32_e32 v23, 7, v34
; %bb.1408:                             ;   in Loop: Header=BB323_991 Depth=1
	s_or_b32 exec_lo, exec_lo, s18
	v_lshlrev_b32_e32 v0, 8, v0
	v_lshl_add_u32 v32, v32, 10, 0x2000
	v_lshlrev_b32_e32 v23, 7, v23
	v_and_b32_e32 v0, 0x8000, v0
	v_and_b32_e32 v32, 0xfc00, v32
	v_or3_b32 v23, v0, v32, v23
.LBB323_1409:                           ;   in Loop: Header=BB323_991 Depth=1
	s_or_b32 exec_lo, exec_lo, s15
.LBB323_1410:                           ;   in Loop: Header=BB323_991 Depth=1
	s_or_b32 exec_lo, exec_lo, s13
.LBB323_1411:                           ;   in Loop: Header=BB323_991 Depth=1
	s_or_b32 exec_lo, exec_lo, s12
	s_mov_b32 s12, exec_lo
	v_cmpx_lt_u32_e32 0xffffff, v11
	s_cbranch_execz .LBB323_1419
; %bb.1412:                             ;   in Loop: Header=BB323_991 Depth=1
	v_lshrrev_b32_e32 v0, 24, v11
	v_bfrev_b32_e32 v22, 1
	s_mov_b32 s13, exec_lo
	v_cmpx_ne_u32_e32 0x80, v0
	s_cbranch_execz .LBB323_1418
; %bb.1413:                             ;   in Loop: Header=BB323_991 Depth=1
	v_and_b32_e32 v34, 0x7f, v0
	v_mov_b32_e32 v22, 0x7c010000
	s_mov_b32 s15, exec_lo
	v_cmpx_ne_u32_e32 0x7f, v34
	s_cbranch_execz .LBB323_1417
; %bb.1414:                             ;   in Loop: Header=BB323_991 Depth=1
	v_and_b32_e32 v22, 7, v0
	v_lshrrev_b32_e32 v32, 3, v34
	s_mov_b32 s18, exec_lo
	v_cmpx_gt_u32_e32 8, v34
; %bb.1415:                             ;   in Loop: Header=BB323_991 Depth=1
	v_ffbh_u32_e32 v22, v22
	v_min_u32_e32 v22, 32, v22
	v_subrev_nc_u32_e32 v32, 28, v22
	v_lshlrev_b64 v[34:35], v32, v[0:1]
	v_sub_nc_u32_e32 v32, 29, v22
	v_and_b32_e32 v22, 7, v34
; %bb.1416:                             ;   in Loop: Header=BB323_991 Depth=1
	s_or_b32 exec_lo, exec_lo, s18
	v_lshlrev_b32_e32 v0, 8, v0
	v_lshl_add_u32 v32, v32, 10, 0x2000
	v_lshlrev_b32_e32 v22, 23, v22
	v_and_or_b32 v0, 0x8000, v0, v32
	v_lshl_or_b32 v22, v0, 16, v22
.LBB323_1417:                           ;   in Loop: Header=BB323_991 Depth=1
	s_or_b32 exec_lo, exec_lo, s15
.LBB323_1418:                           ;   in Loop: Header=BB323_991 Depth=1
	s_or_b32 exec_lo, exec_lo, s13
.LBB323_1419:                           ;   in Loop: Header=BB323_991 Depth=1
	s_or_b32 exec_lo, exec_lo, s12
	v_mov_b32_e32 v0, v12
	v_cmp_ne_u16_sdwa s4, v12, v1 src0_sel:BYTE_0 src1_sel:DWORD
	v_mov_b32_e32 v32, 0
	v_mov_b32_e32 v34, 0
	s_and_saveexec_b32 s12, s4
	s_cbranch_execz .LBB323_1427
; %bb.1420:                             ;   in Loop: Header=BB323_991 Depth=1
	v_cmp_ne_u16_sdwa s4, v12, v16 src0_sel:BYTE_0 src1_sel:DWORD
	v_mov_b32_e32 v34, 0x8000
	s_and_saveexec_b32 s13, s4
	s_cbranch_execz .LBB323_1426
; %bb.1421:                             ;   in Loop: Header=BB323_991 Depth=1
	v_and_b32_e32 v101, 0x7f, v12
	v_mov_b32_e32 v34, 0x7c01
	s_mov_b32 s15, exec_lo
	v_cmpx_ne_u32_e32 0x7f, v101
	s_cbranch_execz .LBB323_1425
; %bb.1422:                             ;   in Loop: Header=BB323_991 Depth=1
	v_and_b32_e32 v34, 7, v12
	v_lshrrev_b32_e32 v35, 3, v101
	s_mov_b32 s18, exec_lo
	v_cmpx_gt_u32_e32 8, v101
; %bb.1423:                             ;   in Loop: Header=BB323_991 Depth=1
	v_ffbh_u32_e32 v34, v34
	v_min_u32_e32 v101, 32, v34
	v_subrev_nc_u32_e32 v34, 28, v101
	v_lshlrev_b64 v[34:35], v34, v[0:1]
	v_sub_nc_u32_e32 v35, 29, v101
	v_and_b32_e32 v34, 7, v34
; %bb.1424:                             ;   in Loop: Header=BB323_991 Depth=1
	s_or_b32 exec_lo, exec_lo, s18
	v_lshlrev_b32_e32 v101, 8, v12
	v_lshl_add_u32 v35, v35, 10, 0x2000
	v_lshlrev_b32_e32 v34, 7, v34
	v_and_b32_e32 v101, 0x8000, v101
	v_and_b32_e32 v35, 0xfc00, v35
	v_or3_b32 v34, v101, v35, v34
.LBB323_1425:                           ;   in Loop: Header=BB323_991 Depth=1
	s_or_b32 exec_lo, exec_lo, s15
.LBB323_1426:                           ;   in Loop: Header=BB323_991 Depth=1
	s_or_b32 exec_lo, exec_lo, s13
.LBB323_1427:                           ;   in Loop: Header=BB323_991 Depth=1
	s_or_b32 exec_lo, exec_lo, s12
	v_lshrrev_b16 v0, 8, v0
	v_mov_b32_e32 v35, 0
	s_mov_b32 s12, exec_lo
	v_cmpx_ne_u16_e32 0, v0
	s_cbranch_execz .LBB323_1435
; %bb.1428:                             ;   in Loop: Header=BB323_991 Depth=1
	v_bfrev_b32_e32 v35, 1
	s_mov_b32 s13, exec_lo
	v_cmpx_ne_u16_e32 0x80, v0
	s_cbranch_execz .LBB323_1434
; %bb.1429:                             ;   in Loop: Header=BB323_991 Depth=1
	v_and_b32_sdwa v102, v0, v17 dst_sel:DWORD dst_unused:UNUSED_PAD src0_sel:WORD_0 src1_sel:DWORD
	v_mov_b32_e32 v35, 0x7c010000
	s_mov_b32 s15, exec_lo
	v_cmpx_ne_u32_e32 0x7f, v102
	s_cbranch_execz .LBB323_1433
; %bb.1430:                             ;   in Loop: Header=BB323_991 Depth=1
	v_and_b32_sdwa v35, v0, v37 dst_sel:DWORD dst_unused:UNUSED_PAD src0_sel:WORD_0 src1_sel:DWORD
	v_lshrrev_b32_e32 v101, 3, v102
	s_mov_b32 s18, exec_lo
	v_cmpx_gt_u32_e32 8, v102
; %bb.1431:                             ;   in Loop: Header=BB323_991 Depth=1
	v_ffbh_u32_e32 v35, v35
	v_min_u32_e32 v35, 32, v35
	v_subrev_nc_u32_e32 v101, 28, v35
	v_lshlrev_b64 v[102:103], v101, v[0:1]
	v_sub_nc_u32_e32 v101, 29, v35
	v_and_b32_e32 v35, 7, v102
; %bb.1432:                             ;   in Loop: Header=BB323_991 Depth=1
	s_or_b32 exec_lo, exec_lo, s18
	v_lshlrev_b32_sdwa v0, v53, v0 dst_sel:DWORD dst_unused:UNUSED_PAD src0_sel:DWORD src1_sel:WORD_0
	v_lshl_add_u32 v101, v101, 10, 0x2000
	v_lshlrev_b32_e32 v35, 23, v35
	v_and_or_b32 v0, 0x8000, v0, v101
	v_lshl_or_b32 v35, v0, 16, v35
.LBB323_1433:                           ;   in Loop: Header=BB323_991 Depth=1
	s_or_b32 exec_lo, exec_lo, s15
.LBB323_1434:                           ;   in Loop: Header=BB323_991 Depth=1
	s_or_b32 exec_lo, exec_lo, s13
.LBB323_1435:                           ;   in Loop: Header=BB323_991 Depth=1
	s_or_b32 exec_lo, exec_lo, s12
	v_lshrrev_b32_e32 v0, 16, v12
	v_cmp_ne_u16_sdwa s4, v0, v1 src0_sel:BYTE_0 src1_sel:DWORD
	s_and_saveexec_b32 s12, s4
	s_cbranch_execz .LBB323_1443
; %bb.1436:                             ;   in Loop: Header=BB323_991 Depth=1
	v_cmp_ne_u16_sdwa s4, v0, v16 src0_sel:BYTE_0 src1_sel:DWORD
	v_mov_b32_e32 v32, 0x8000
	s_and_saveexec_b32 s13, s4
	s_cbranch_execz .LBB323_1442
; %bb.1437:                             ;   in Loop: Header=BB323_991 Depth=1
	v_bfe_u32 v102, v12, 16, 7
	v_mov_b32_e32 v32, 0x7c01
	s_mov_b32 s15, exec_lo
	v_cmpx_ne_u32_e32 0x7f, v102
	s_cbranch_execz .LBB323_1441
; %bb.1438:                             ;   in Loop: Header=BB323_991 Depth=1
	v_and_b32_e32 v32, 7, v0
	v_lshrrev_b32_e32 v101, 3, v102
	s_mov_b32 s18, exec_lo
	v_cmpx_gt_u32_e32 8, v102
; %bb.1439:                             ;   in Loop: Header=BB323_991 Depth=1
	v_ffbh_u32_e32 v32, v32
	v_min_u32_e32 v32, 32, v32
	v_subrev_nc_u32_e32 v101, 28, v32
	v_lshlrev_b64 v[102:103], v101, v[0:1]
	v_sub_nc_u32_e32 v101, 29, v32
	v_and_b32_e32 v32, 7, v102
; %bb.1440:                             ;   in Loop: Header=BB323_991 Depth=1
	s_or_b32 exec_lo, exec_lo, s18
	v_lshlrev_b32_e32 v0, 8, v0
	v_lshl_add_u32 v101, v101, 10, 0x2000
	v_lshlrev_b32_e32 v32, 7, v32
	v_and_b32_e32 v0, 0x8000, v0
	v_and_b32_e32 v101, 0xfc00, v101
	v_or3_b32 v32, v0, v101, v32
.LBB323_1441:                           ;   in Loop: Header=BB323_991 Depth=1
	s_or_b32 exec_lo, exec_lo, s15
.LBB323_1442:                           ;   in Loop: Header=BB323_991 Depth=1
	s_or_b32 exec_lo, exec_lo, s13
.LBB323_1443:                           ;   in Loop: Header=BB323_991 Depth=1
	s_or_b32 exec_lo, exec_lo, s12
	v_cmp_lt_u64_e64 s4, s[8:9], v[11:12]
	v_mov_b32_e32 v11, 0
	s_and_saveexec_b32 s12, s4
	s_cbranch_execz .LBB323_1451
; %bb.1444:                             ;   in Loop: Header=BB323_991 Depth=1
	v_lshrrev_b32_e32 v0, 24, v12
	v_bfrev_b32_e32 v11, 1
	s_mov_b32 s13, exec_lo
	v_cmpx_ne_u32_e32 0x80, v0
	s_cbranch_execz .LBB323_1450
; %bb.1445:                             ;   in Loop: Header=BB323_991 Depth=1
	v_and_b32_e32 v101, 0x7f, v0
	v_mov_b32_e32 v11, 0x7c010000
	s_mov_b32 s15, exec_lo
	v_cmpx_ne_u32_e32 0x7f, v101
	s_cbranch_execz .LBB323_1449
; %bb.1446:                             ;   in Loop: Header=BB323_991 Depth=1
	v_and_b32_e32 v11, 7, v0
	v_lshrrev_b32_e32 v12, 3, v101
	s_mov_b32 s18, exec_lo
	v_cmpx_gt_u32_e32 8, v101
; %bb.1447:                             ;   in Loop: Header=BB323_991 Depth=1
	v_ffbh_u32_e32 v11, v11
	v_min_u32_e32 v101, 32, v11
	v_subrev_nc_u32_e32 v11, 28, v101
	v_lshlrev_b64 v[11:12], v11, v[0:1]
	v_sub_nc_u32_e32 v12, 29, v101
	v_and_b32_e32 v11, 7, v11
; %bb.1448:                             ;   in Loop: Header=BB323_991 Depth=1
	s_or_b32 exec_lo, exec_lo, s18
	v_lshlrev_b32_e32 v0, 8, v0
	v_lshl_add_u32 v12, v12, 10, 0x2000
	v_lshlrev_b32_e32 v11, 23, v11
	v_and_or_b32 v0, 0x8000, v0, v12
	v_lshl_or_b32 v11, v0, 16, v11
.LBB323_1449:                           ;   in Loop: Header=BB323_991 Depth=1
	s_or_b32 exec_lo, exec_lo, s15
.LBB323_1450:                           ;   in Loop: Header=BB323_991 Depth=1
	s_or_b32 exec_lo, exec_lo, s13
.LBB323_1451:                           ;   in Loop: Header=BB323_991 Depth=1
	s_or_b32 exec_lo, exec_lo, s12
	v_or_b32_e32 v0, v22, v23
	s_waitcnt vmcnt(0) lgkmcnt(0)
	v_fma_mixlo_f16 v12, v4, v22, 0 op_sel:[0,1,0] op_sel_hi:[0,1,0]
	v_or_b32_e32 v6, v5, v6
	v_fma_mixlo_f16 v5, v4, v5, 0 op_sel:[0,1,0] op_sel_hi:[0,1,0]
	v_or_b32_e32 v22, v35, v34
	v_fma_mixlo_f16 v23, v4, v0, 0 op_sel_hi:[0,1,0]
	v_or_b32_e32 v32, v11, v32
	v_lshlrev_b32_e32 v0, 16, v12
	v_lshlrev_b32_e32 v12, 16, v5
	v_fma_mixlo_f16 v6, v4, v6, 0 op_sel_hi:[0,1,0]
	v_and_b32_e32 v5, 0xffff, v23
	v_fma_mixlo_f16 v23, v4, v35, 0 op_sel:[0,1,0] op_sel_hi:[0,1,0]
	v_fma_mixlo_f16 v22, v4, v22, 0 op_sel_hi:[0,1,0]
	v_fma_mixlo_f16 v11, v4, v11, 0 op_sel:[0,1,0] op_sel_hi:[0,1,0]
	v_fma_mixlo_f16 v32, v4, v32, 0 op_sel_hi:[0,1,0]
	v_and_b32_e32 v101, 0xffff, v6
	v_lshlrev_b32_e32 v6, 16, v23
	v_and_b32_e32 v23, 0xffff, v22
	v_lshlrev_b32_e32 v4, 16, v11
	v_and_b32_e32 v11, 0xffff, v32
	v_or_b32_e32 v22, v0, v5
	v_or_b32_e32 v35, v12, v101
	;; [unrolled: 1-line block ×4, first 2 shown]
	s_and_saveexec_b32 s12, vcc_lo
	s_cbranch_execz .LBB323_1453
; %bb.1452:                             ;   in Loop: Header=BB323_991 Depth=1
	v_cmp_lt_i32_e64 s4, v54, v33
	v_cndmask_b32_e64 v22, 0, v101, s4
	v_cmp_lt_i32_e64 s4, v82, v33
	v_cndmask_b32_e64 v12, 0, v12, s4
	v_cmp_lt_i32_e64 s4, v81, v33
	v_or_b32_e32 v35, v22, v12
	v_cndmask_b32_e64 v5, 0, v5, s4
	v_cmp_lt_i32_e64 s4, v80, v33
	v_cndmask_b32_e64 v0, 0, v0, s4
	v_cmp_lt_i32_e64 s4, v71, v33
	v_or_b32_e32 v22, v5, v0
	;; [unrolled: 5-line block ×3, first 2 shown]
	v_cndmask_b32_e64 v11, 0, v11, s4
	v_cmp_lt_i32_e64 s4, v14, v33
	v_cndmask_b32_e64 v4, 0, v4, s4
	v_or_b32_e32 v32, v11, v4
.LBB323_1453:                           ;   in Loop: Header=BB323_991 Depth=1
	s_or_b32 exec_lo, exec_lo, s12
	;;#ASMSTART
	v_pk_mul_f16 v0, v67, v35;

	;;#ASMEND
	;;#ASMSTART
	v_pk_mul_f16 v4, v65, v22;

	;;#ASMEND
	;; [unrolled: 4-line block ×4, first 2 shown]
	;;#ASMSTART
	v_pk_add_f16 v0, v0, v4;

	;;#ASMEND
	;;#ASMSTART
	v_pk_add_f16 v0, v0, v5;

	;;#ASMEND
	;;#ASMSTART
	v_pk_add_f16 v0, v0, v6;

	;;#ASMEND
	v_and_b32_e32 v4, 0xffff, v0
	v_lshrrev_b32_e32 v0, 16, v0
	;;#ASMSTART
	v_cvt_f32_f16 v101, v4;
	;;#ASMEND
	;;#ASMSTART
	v_cvt_f32_f16 v102, v0;
	;;#ASMEND
	flat_load_dwordx2 v[11:12], v[9:10] offset:1792
	flat_load_dword v4, v[26:27]
	v_mov_b32_e32 v5, 0
	v_mov_b32_e32 v6, 0
	s_waitcnt vmcnt(1) lgkmcnt(1)
	v_cmp_ne_u16_sdwa s4, v11, v1 src0_sel:BYTE_0 src1_sel:DWORD
	s_and_saveexec_b32 s12, s4
	s_cbranch_execz .LBB323_1461
; %bb.1454:                             ;   in Loop: Header=BB323_991 Depth=1
	v_cmp_ne_u16_sdwa s4, v11, v16 src0_sel:BYTE_0 src1_sel:DWORD
	v_mov_b32_e32 v6, 0x8000
	s_and_saveexec_b32 s13, s4
	s_cbranch_execz .LBB323_1460
; %bb.1455:                             ;   in Loop: Header=BB323_991 Depth=1
	v_and_b32_e32 v22, 0x7f, v11
	v_mov_b32_e32 v6, 0x7c01
	s_mov_b32 s15, exec_lo
	v_cmpx_ne_u32_e32 0x7f, v22
	s_cbranch_execz .LBB323_1459
; %bb.1456:                             ;   in Loop: Header=BB323_991 Depth=1
	v_and_b32_e32 v0, 7, v11
	v_lshrrev_b32_e32 v6, 3, v22
	s_mov_b32 s18, exec_lo
	v_cmpx_gt_u32_e32 8, v22
; %bb.1457:                             ;   in Loop: Header=BB323_991 Depth=1
	v_ffbh_u32_e32 v0, v0
	v_min_u32_e32 v0, 32, v0
	v_subrev_nc_u32_e32 v6, 28, v0
	v_lshlrev_b64 v[22:23], v6, v[11:12]
	v_sub_nc_u32_e32 v6, 29, v0
	v_and_b32_e32 v0, 7, v22
; %bb.1458:                             ;   in Loop: Header=BB323_991 Depth=1
	s_or_b32 exec_lo, exec_lo, s18
	v_lshlrev_b32_e32 v22, 8, v11
	v_lshl_add_u32 v6, v6, 10, 0x2000
	v_lshlrev_b32_e32 v0, 7, v0
	v_and_b32_e32 v22, 0x8000, v22
	v_and_b32_e32 v6, 0xfc00, v6
	v_or3_b32 v6, v22, v6, v0
.LBB323_1459:                           ;   in Loop: Header=BB323_991 Depth=1
	s_or_b32 exec_lo, exec_lo, s15
.LBB323_1460:                           ;   in Loop: Header=BB323_991 Depth=1
	s_or_b32 exec_lo, exec_lo, s13
.LBB323_1461:                           ;   in Loop: Header=BB323_991 Depth=1
	s_or_b32 exec_lo, exec_lo, s12
	v_lshrrev_b16 v0, 8, v11
	s_mov_b32 s12, exec_lo
	v_cmpx_ne_u16_e32 0, v0
	s_cbranch_execz .LBB323_1469
; %bb.1462:                             ;   in Loop: Header=BB323_991 Depth=1
	v_bfrev_b32_e32 v5, 1
	s_mov_b32 s13, exec_lo
	v_cmpx_ne_u16_e32 0x80, v0
	s_cbranch_execz .LBB323_1468
; %bb.1463:                             ;   in Loop: Header=BB323_991 Depth=1
	v_and_b32_sdwa v23, v0, v17 dst_sel:DWORD dst_unused:UNUSED_PAD src0_sel:WORD_0 src1_sel:DWORD
	v_mov_b32_e32 v5, 0x7c010000
	s_mov_b32 s15, exec_lo
	v_cmpx_ne_u32_e32 0x7f, v23
	s_cbranch_execz .LBB323_1467
; %bb.1464:                             ;   in Loop: Header=BB323_991 Depth=1
	v_and_b32_sdwa v5, v0, v37 dst_sel:DWORD dst_unused:UNUSED_PAD src0_sel:WORD_0 src1_sel:DWORD
	v_lshrrev_b32_e32 v22, 3, v23
	s_mov_b32 s18, exec_lo
	v_cmpx_gt_u32_e32 8, v23
; %bb.1465:                             ;   in Loop: Header=BB323_991 Depth=1
	v_ffbh_u32_e32 v5, v5
	v_min_u32_e32 v5, 32, v5
	v_subrev_nc_u32_e32 v22, 28, v5
	v_lshlrev_b64 v[34:35], v22, v[0:1]
	v_sub_nc_u32_e32 v22, 29, v5
	v_and_b32_e32 v5, 7, v34
; %bb.1466:                             ;   in Loop: Header=BB323_991 Depth=1
	s_or_b32 exec_lo, exec_lo, s18
	v_lshlrev_b32_sdwa v0, v53, v0 dst_sel:DWORD dst_unused:UNUSED_PAD src0_sel:DWORD src1_sel:WORD_0
	v_lshl_add_u32 v22, v22, 10, 0x2000
	v_lshlrev_b32_e32 v5, 23, v5
	v_and_or_b32 v0, 0x8000, v0, v22
	v_lshl_or_b32 v5, v0, 16, v5
.LBB323_1467:                           ;   in Loop: Header=BB323_991 Depth=1
	s_or_b32 exec_lo, exec_lo, s15
.LBB323_1468:                           ;   in Loop: Header=BB323_991 Depth=1
	s_or_b32 exec_lo, exec_lo, s13
.LBB323_1469:                           ;   in Loop: Header=BB323_991 Depth=1
	s_or_b32 exec_lo, exec_lo, s12
	v_lshrrev_b32_e32 v0, 16, v11
	v_mov_b32_e32 v22, 0
	v_mov_b32_e32 v23, 0
	v_cmp_ne_u16_sdwa s4, v0, v1 src0_sel:BYTE_0 src1_sel:DWORD
	s_and_saveexec_b32 s12, s4
	s_cbranch_execz .LBB323_1477
; %bb.1470:                             ;   in Loop: Header=BB323_991 Depth=1
	v_cmp_ne_u16_sdwa s4, v0, v16 src0_sel:BYTE_0 src1_sel:DWORD
	v_mov_b32_e32 v23, 0x8000
	s_and_saveexec_b32 s13, s4
	s_cbranch_execz .LBB323_1476
; %bb.1471:                             ;   in Loop: Header=BB323_991 Depth=1
	v_bfe_u32 v34, v11, 16, 7
	v_mov_b32_e32 v23, 0x7c01
	s_mov_b32 s15, exec_lo
	v_cmpx_ne_u32_e32 0x7f, v34
	s_cbranch_execz .LBB323_1475
; %bb.1472:                             ;   in Loop: Header=BB323_991 Depth=1
	v_and_b32_e32 v23, 7, v0
	v_lshrrev_b32_e32 v32, 3, v34
	s_mov_b32 s18, exec_lo
	v_cmpx_gt_u32_e32 8, v34
; %bb.1473:                             ;   in Loop: Header=BB323_991 Depth=1
	v_ffbh_u32_e32 v23, v23
	v_min_u32_e32 v23, 32, v23
	v_subrev_nc_u32_e32 v32, 28, v23
	v_lshlrev_b64 v[34:35], v32, v[0:1]
	v_sub_nc_u32_e32 v32, 29, v23
	v_and_b32_e32 v23, 7, v34
; %bb.1474:                             ;   in Loop: Header=BB323_991 Depth=1
	s_or_b32 exec_lo, exec_lo, s18
	v_lshlrev_b32_e32 v0, 8, v0
	v_lshl_add_u32 v32, v32, 10, 0x2000
	v_lshlrev_b32_e32 v23, 7, v23
	v_and_b32_e32 v0, 0x8000, v0
	v_and_b32_e32 v32, 0xfc00, v32
	v_or3_b32 v23, v0, v32, v23
.LBB323_1475:                           ;   in Loop: Header=BB323_991 Depth=1
	s_or_b32 exec_lo, exec_lo, s15
.LBB323_1476:                           ;   in Loop: Header=BB323_991 Depth=1
	s_or_b32 exec_lo, exec_lo, s13
.LBB323_1477:                           ;   in Loop: Header=BB323_991 Depth=1
	s_or_b32 exec_lo, exec_lo, s12
	s_mov_b32 s12, exec_lo
	v_cmpx_lt_u32_e32 0xffffff, v11
	s_cbranch_execz .LBB323_1485
; %bb.1478:                             ;   in Loop: Header=BB323_991 Depth=1
	v_lshrrev_b32_e32 v0, 24, v11
	v_bfrev_b32_e32 v22, 1
	s_mov_b32 s13, exec_lo
	v_cmpx_ne_u32_e32 0x80, v0
	s_cbranch_execz .LBB323_1484
; %bb.1479:                             ;   in Loop: Header=BB323_991 Depth=1
	v_and_b32_e32 v34, 0x7f, v0
	v_mov_b32_e32 v22, 0x7c010000
	s_mov_b32 s15, exec_lo
	v_cmpx_ne_u32_e32 0x7f, v34
	s_cbranch_execz .LBB323_1483
; %bb.1480:                             ;   in Loop: Header=BB323_991 Depth=1
	v_and_b32_e32 v22, 7, v0
	v_lshrrev_b32_e32 v32, 3, v34
	s_mov_b32 s18, exec_lo
	v_cmpx_gt_u32_e32 8, v34
; %bb.1481:                             ;   in Loop: Header=BB323_991 Depth=1
	v_ffbh_u32_e32 v22, v22
	v_min_u32_e32 v22, 32, v22
	v_subrev_nc_u32_e32 v32, 28, v22
	v_lshlrev_b64 v[34:35], v32, v[0:1]
	v_sub_nc_u32_e32 v32, 29, v22
	v_and_b32_e32 v22, 7, v34
; %bb.1482:                             ;   in Loop: Header=BB323_991 Depth=1
	s_or_b32 exec_lo, exec_lo, s18
	v_lshlrev_b32_e32 v0, 8, v0
	v_lshl_add_u32 v32, v32, 10, 0x2000
	v_lshlrev_b32_e32 v22, 23, v22
	v_and_or_b32 v0, 0x8000, v0, v32
	v_lshl_or_b32 v22, v0, 16, v22
.LBB323_1483:                           ;   in Loop: Header=BB323_991 Depth=1
	s_or_b32 exec_lo, exec_lo, s15
.LBB323_1484:                           ;   in Loop: Header=BB323_991 Depth=1
	s_or_b32 exec_lo, exec_lo, s13
.LBB323_1485:                           ;   in Loop: Header=BB323_991 Depth=1
	s_or_b32 exec_lo, exec_lo, s12
	v_mov_b32_e32 v0, v12
	v_cmp_ne_u16_sdwa s4, v12, v1 src0_sel:BYTE_0 src1_sel:DWORD
	v_mov_b32_e32 v32, 0
	v_mov_b32_e32 v34, 0
	s_and_saveexec_b32 s12, s4
	s_cbranch_execz .LBB323_1493
; %bb.1486:                             ;   in Loop: Header=BB323_991 Depth=1
	v_cmp_ne_u16_sdwa s4, v12, v16 src0_sel:BYTE_0 src1_sel:DWORD
	v_mov_b32_e32 v34, 0x8000
	s_and_saveexec_b32 s13, s4
	s_cbranch_execz .LBB323_1492
; %bb.1487:                             ;   in Loop: Header=BB323_991 Depth=1
	v_and_b32_e32 v103, 0x7f, v12
	v_mov_b32_e32 v34, 0x7c01
	s_mov_b32 s15, exec_lo
	v_cmpx_ne_u32_e32 0x7f, v103
	s_cbranch_execz .LBB323_1491
; %bb.1488:                             ;   in Loop: Header=BB323_991 Depth=1
	v_and_b32_e32 v34, 7, v12
	v_lshrrev_b32_e32 v35, 3, v103
	s_mov_b32 s18, exec_lo
	v_cmpx_gt_u32_e32 8, v103
; %bb.1489:                             ;   in Loop: Header=BB323_991 Depth=1
	v_ffbh_u32_e32 v34, v34
	v_min_u32_e32 v103, 32, v34
	v_subrev_nc_u32_e32 v34, 28, v103
	v_lshlrev_b64 v[34:35], v34, v[0:1]
	v_sub_nc_u32_e32 v35, 29, v103
	v_and_b32_e32 v34, 7, v34
; %bb.1490:                             ;   in Loop: Header=BB323_991 Depth=1
	s_or_b32 exec_lo, exec_lo, s18
	v_lshlrev_b32_e32 v103, 8, v12
	v_lshl_add_u32 v35, v35, 10, 0x2000
	v_lshlrev_b32_e32 v34, 7, v34
	v_and_b32_e32 v103, 0x8000, v103
	v_and_b32_e32 v35, 0xfc00, v35
	v_or3_b32 v34, v103, v35, v34
.LBB323_1491:                           ;   in Loop: Header=BB323_991 Depth=1
	s_or_b32 exec_lo, exec_lo, s15
.LBB323_1492:                           ;   in Loop: Header=BB323_991 Depth=1
	s_or_b32 exec_lo, exec_lo, s13
.LBB323_1493:                           ;   in Loop: Header=BB323_991 Depth=1
	s_or_b32 exec_lo, exec_lo, s12
	v_lshrrev_b16 v0, 8, v0
	v_mov_b32_e32 v35, 0
	s_mov_b32 s12, exec_lo
	v_cmpx_ne_u16_e32 0, v0
	s_cbranch_execz .LBB323_1501
; %bb.1494:                             ;   in Loop: Header=BB323_991 Depth=1
	v_bfrev_b32_e32 v35, 1
	s_mov_b32 s13, exec_lo
	v_cmpx_ne_u16_e32 0x80, v0
	s_cbranch_execz .LBB323_1500
; %bb.1495:                             ;   in Loop: Header=BB323_991 Depth=1
	v_and_b32_sdwa v112, v0, v17 dst_sel:DWORD dst_unused:UNUSED_PAD src0_sel:WORD_0 src1_sel:DWORD
	v_mov_b32_e32 v35, 0x7c010000
	s_mov_b32 s15, exec_lo
	v_cmpx_ne_u32_e32 0x7f, v112
	s_cbranch_execz .LBB323_1499
; %bb.1496:                             ;   in Loop: Header=BB323_991 Depth=1
	v_and_b32_sdwa v35, v0, v37 dst_sel:DWORD dst_unused:UNUSED_PAD src0_sel:WORD_0 src1_sel:DWORD
	v_lshrrev_b32_e32 v103, 3, v112
	s_mov_b32 s18, exec_lo
	v_cmpx_gt_u32_e32 8, v112
; %bb.1497:                             ;   in Loop: Header=BB323_991 Depth=1
	v_ffbh_u32_e32 v35, v35
	v_min_u32_e32 v35, 32, v35
	v_subrev_nc_u32_e32 v103, 28, v35
	v_lshlrev_b64 v[112:113], v103, v[0:1]
	v_sub_nc_u32_e32 v103, 29, v35
	v_and_b32_e32 v35, 7, v112
; %bb.1498:                             ;   in Loop: Header=BB323_991 Depth=1
	s_or_b32 exec_lo, exec_lo, s18
	v_lshlrev_b32_sdwa v0, v53, v0 dst_sel:DWORD dst_unused:UNUSED_PAD src0_sel:DWORD src1_sel:WORD_0
	v_lshl_add_u32 v103, v103, 10, 0x2000
	v_lshlrev_b32_e32 v35, 23, v35
	v_and_or_b32 v0, 0x8000, v0, v103
	v_lshl_or_b32 v35, v0, 16, v35
.LBB323_1499:                           ;   in Loop: Header=BB323_991 Depth=1
	s_or_b32 exec_lo, exec_lo, s15
.LBB323_1500:                           ;   in Loop: Header=BB323_991 Depth=1
	s_or_b32 exec_lo, exec_lo, s13
.LBB323_1501:                           ;   in Loop: Header=BB323_991 Depth=1
	s_or_b32 exec_lo, exec_lo, s12
	v_lshrrev_b32_e32 v0, 16, v12
	v_cmp_ne_u16_sdwa s4, v0, v1 src0_sel:BYTE_0 src1_sel:DWORD
	s_and_saveexec_b32 s12, s4
	s_cbranch_execz .LBB323_1509
; %bb.1502:                             ;   in Loop: Header=BB323_991 Depth=1
	v_cmp_ne_u16_sdwa s4, v0, v16 src0_sel:BYTE_0 src1_sel:DWORD
	v_mov_b32_e32 v32, 0x8000
	s_and_saveexec_b32 s13, s4
	s_cbranch_execz .LBB323_1508
; %bb.1503:                             ;   in Loop: Header=BB323_991 Depth=1
	v_bfe_u32 v112, v12, 16, 7
	v_mov_b32_e32 v32, 0x7c01
	s_mov_b32 s15, exec_lo
	v_cmpx_ne_u32_e32 0x7f, v112
	s_cbranch_execz .LBB323_1507
; %bb.1504:                             ;   in Loop: Header=BB323_991 Depth=1
	v_and_b32_e32 v32, 7, v0
	v_lshrrev_b32_e32 v103, 3, v112
	s_mov_b32 s18, exec_lo
	v_cmpx_gt_u32_e32 8, v112
; %bb.1505:                             ;   in Loop: Header=BB323_991 Depth=1
	v_ffbh_u32_e32 v32, v32
	v_min_u32_e32 v32, 32, v32
	v_subrev_nc_u32_e32 v103, 28, v32
	v_lshlrev_b64 v[112:113], v103, v[0:1]
	v_sub_nc_u32_e32 v103, 29, v32
	v_and_b32_e32 v32, 7, v112
; %bb.1506:                             ;   in Loop: Header=BB323_991 Depth=1
	s_or_b32 exec_lo, exec_lo, s18
	v_lshlrev_b32_e32 v0, 8, v0
	v_lshl_add_u32 v103, v103, 10, 0x2000
	v_lshlrev_b32_e32 v32, 7, v32
	v_and_b32_e32 v0, 0x8000, v0
	v_and_b32_e32 v103, 0xfc00, v103
	v_or3_b32 v32, v0, v103, v32
.LBB323_1507:                           ;   in Loop: Header=BB323_991 Depth=1
	s_or_b32 exec_lo, exec_lo, s15
.LBB323_1508:                           ;   in Loop: Header=BB323_991 Depth=1
	s_or_b32 exec_lo, exec_lo, s13
.LBB323_1509:                           ;   in Loop: Header=BB323_991 Depth=1
	s_or_b32 exec_lo, exec_lo, s12
	v_cmp_lt_u64_e64 s4, s[8:9], v[11:12]
	v_mov_b32_e32 v11, 0
	s_and_saveexec_b32 s12, s4
	s_cbranch_execz .LBB323_1517
; %bb.1510:                             ;   in Loop: Header=BB323_991 Depth=1
	v_lshrrev_b32_e32 v0, 24, v12
	v_bfrev_b32_e32 v11, 1
	s_mov_b32 s13, exec_lo
	v_cmpx_ne_u32_e32 0x80, v0
	s_cbranch_execz .LBB323_1516
; %bb.1511:                             ;   in Loop: Header=BB323_991 Depth=1
	v_and_b32_e32 v103, 0x7f, v0
	v_mov_b32_e32 v11, 0x7c010000
	s_mov_b32 s15, exec_lo
	v_cmpx_ne_u32_e32 0x7f, v103
	s_cbranch_execz .LBB323_1515
; %bb.1512:                             ;   in Loop: Header=BB323_991 Depth=1
	v_and_b32_e32 v11, 7, v0
	v_lshrrev_b32_e32 v12, 3, v103
	s_mov_b32 s18, exec_lo
	v_cmpx_gt_u32_e32 8, v103
; %bb.1513:                             ;   in Loop: Header=BB323_991 Depth=1
	v_ffbh_u32_e32 v11, v11
	v_min_u32_e32 v103, 32, v11
	v_subrev_nc_u32_e32 v11, 28, v103
	v_lshlrev_b64 v[11:12], v11, v[0:1]
	v_sub_nc_u32_e32 v12, 29, v103
	v_and_b32_e32 v11, 7, v11
; %bb.1514:                             ;   in Loop: Header=BB323_991 Depth=1
	s_or_b32 exec_lo, exec_lo, s18
	v_lshlrev_b32_e32 v0, 8, v0
	v_lshl_add_u32 v12, v12, 10, 0x2000
	v_lshlrev_b32_e32 v11, 23, v11
	v_and_or_b32 v0, 0x8000, v0, v12
	v_lshl_or_b32 v11, v0, 16, v11
.LBB323_1515:                           ;   in Loop: Header=BB323_991 Depth=1
	s_or_b32 exec_lo, exec_lo, s15
.LBB323_1516:                           ;   in Loop: Header=BB323_991 Depth=1
	s_or_b32 exec_lo, exec_lo, s13
.LBB323_1517:                           ;   in Loop: Header=BB323_991 Depth=1
	s_or_b32 exec_lo, exec_lo, s12
	v_or_b32_e32 v0, v22, v23
	s_waitcnt vmcnt(0) lgkmcnt(0)
	v_fma_mixlo_f16 v12, v4, v22, 0 op_sel:[0,1,0] op_sel_hi:[0,1,0]
	v_or_b32_e32 v6, v5, v6
	v_fma_mixlo_f16 v5, v4, v5, 0 op_sel:[0,1,0] op_sel_hi:[0,1,0]
	v_or_b32_e32 v22, v35, v34
	v_fma_mixlo_f16 v23, v4, v0, 0 op_sel_hi:[0,1,0]
	v_or_b32_e32 v32, v11, v32
	v_lshlrev_b32_e32 v0, 16, v12
	v_lshlrev_b32_e32 v12, 16, v5
	v_fma_mixlo_f16 v6, v4, v6, 0 op_sel_hi:[0,1,0]
	v_and_b32_e32 v5, 0xffff, v23
	v_fma_mixlo_f16 v23, v4, v35, 0 op_sel:[0,1,0] op_sel_hi:[0,1,0]
	v_fma_mixlo_f16 v22, v4, v22, 0 op_sel_hi:[0,1,0]
	v_fma_mixlo_f16 v11, v4, v11, 0 op_sel:[0,1,0] op_sel_hi:[0,1,0]
	v_fma_mixlo_f16 v32, v4, v32, 0 op_sel_hi:[0,1,0]
	v_and_b32_e32 v103, 0xffff, v6
	v_lshlrev_b32_e32 v6, 16, v23
	v_and_b32_e32 v23, 0xffff, v22
	v_lshlrev_b32_e32 v4, 16, v11
	v_and_b32_e32 v11, 0xffff, v32
	v_or_b32_e32 v22, v0, v5
	v_or_b32_e32 v35, v12, v103
	;; [unrolled: 1-line block ×4, first 2 shown]
	s_and_saveexec_b32 s12, vcc_lo
	s_cbranch_execz .LBB323_1519
; %bb.1518:                             ;   in Loop: Header=BB323_991 Depth=1
	v_cmp_lt_i32_e64 s4, v54, v33
	v_cndmask_b32_e64 v22, 0, v103, s4
	v_cmp_lt_i32_e64 s4, v82, v33
	v_cndmask_b32_e64 v12, 0, v12, s4
	v_cmp_lt_i32_e64 s4, v81, v33
	v_or_b32_e32 v35, v22, v12
	v_cndmask_b32_e64 v5, 0, v5, s4
	v_cmp_lt_i32_e64 s4, v80, v33
	v_cndmask_b32_e64 v0, 0, v0, s4
	v_cmp_lt_i32_e64 s4, v71, v33
	v_or_b32_e32 v22, v5, v0
	v_cndmask_b32_e64 v23, 0, v23, s4
	v_cmp_lt_i32_e64 s4, v70, v33
	v_cndmask_b32_e64 v6, 0, v6, s4
	v_cmp_lt_i32_e64 s4, v69, v33
	v_or_b32_e32 v34, v23, v6
	v_cndmask_b32_e64 v11, 0, v11, s4
	v_cmp_lt_i32_e64 s4, v14, v33
	v_cndmask_b32_e64 v4, 0, v4, s4
	v_or_b32_e32 v32, v11, v4
.LBB323_1519:                           ;   in Loop: Header=BB323_991 Depth=1
	s_or_b32 exec_lo, exec_lo, s12
	v_add_co_u32 v9, s4, 0x800, v9
	v_add_co_ci_u32_e64 v10, null, 0, v10, s4
	;;#ASMSTART
	v_pk_mul_f16 v0, v67, v35;

	;;#ASMEND
	;;#ASMSTART
	v_pk_mul_f16 v4, v65, v22;

	;;#ASMEND
	;; [unrolled: 4-line block ×4, first 2 shown]
	;;#ASMSTART
	v_pk_add_f16 v0, v0, v4;

	;;#ASMEND
	;;#ASMSTART
	v_pk_add_f16 v0, v0, v5;

	;;#ASMEND
	;; [unrolled: 4-line block ×3, first 2 shown]
	v_lshrrev_b32_e32 v4, 16, v0
	v_and_b32_e32 v0, 0xffff, v0
	;;#ASMSTART
	v_cvt_f32_f16 v103, v0;
	;;#ASMEND
	;;#ASMSTART
	v_cvt_f32_f16 v112, v4;
	;;#ASMEND
	flat_load_dwordx2 v[11:12], v[9:10]
	flat_load_dword v4, v[26:27]
	v_mov_b32_e32 v5, 0
	v_mov_b32_e32 v6, 0
	s_waitcnt vmcnt(1) lgkmcnt(1)
	v_cmp_ne_u16_sdwa s4, v11, v1 src0_sel:BYTE_0 src1_sel:DWORD
	s_and_saveexec_b32 s12, s4
	s_cbranch_execz .LBB323_1527
; %bb.1520:                             ;   in Loop: Header=BB323_991 Depth=1
	v_cmp_ne_u16_sdwa s4, v11, v16 src0_sel:BYTE_0 src1_sel:DWORD
	v_mov_b32_e32 v6, 0x8000
	s_and_saveexec_b32 s13, s4
	s_cbranch_execz .LBB323_1526
; %bb.1521:                             ;   in Loop: Header=BB323_991 Depth=1
	v_and_b32_e32 v22, 0x7f, v11
	v_mov_b32_e32 v6, 0x7c01
	s_mov_b32 s15, exec_lo
	v_cmpx_ne_u32_e32 0x7f, v22
	s_cbranch_execz .LBB323_1525
; %bb.1522:                             ;   in Loop: Header=BB323_991 Depth=1
	v_and_b32_e32 v0, 7, v11
	v_lshrrev_b32_e32 v6, 3, v22
	s_mov_b32 s18, exec_lo
	v_cmpx_gt_u32_e32 8, v22
; %bb.1523:                             ;   in Loop: Header=BB323_991 Depth=1
	v_ffbh_u32_e32 v0, v0
	v_min_u32_e32 v0, 32, v0
	v_subrev_nc_u32_e32 v6, 28, v0
	v_lshlrev_b64 v[22:23], v6, v[11:12]
	v_sub_nc_u32_e32 v6, 29, v0
	v_and_b32_e32 v0, 7, v22
; %bb.1524:                             ;   in Loop: Header=BB323_991 Depth=1
	s_or_b32 exec_lo, exec_lo, s18
	v_lshlrev_b32_e32 v22, 8, v11
	v_lshl_add_u32 v6, v6, 10, 0x2000
	v_lshlrev_b32_e32 v0, 7, v0
	v_and_b32_e32 v22, 0x8000, v22
	v_and_b32_e32 v6, 0xfc00, v6
	v_or3_b32 v6, v22, v6, v0
.LBB323_1525:                           ;   in Loop: Header=BB323_991 Depth=1
	s_or_b32 exec_lo, exec_lo, s15
.LBB323_1526:                           ;   in Loop: Header=BB323_991 Depth=1
	s_or_b32 exec_lo, exec_lo, s13
.LBB323_1527:                           ;   in Loop: Header=BB323_991 Depth=1
	s_or_b32 exec_lo, exec_lo, s12
	v_lshrrev_b16 v0, 8, v11
	s_mov_b32 s12, exec_lo
	v_cmpx_ne_u16_e32 0, v0
	s_cbranch_execz .LBB323_1535
; %bb.1528:                             ;   in Loop: Header=BB323_991 Depth=1
	v_bfrev_b32_e32 v5, 1
	s_mov_b32 s13, exec_lo
	v_cmpx_ne_u16_e32 0x80, v0
	s_cbranch_execz .LBB323_1534
; %bb.1529:                             ;   in Loop: Header=BB323_991 Depth=1
	v_and_b32_sdwa v23, v0, v17 dst_sel:DWORD dst_unused:UNUSED_PAD src0_sel:WORD_0 src1_sel:DWORD
	v_mov_b32_e32 v5, 0x7c010000
	s_mov_b32 s15, exec_lo
	v_cmpx_ne_u32_e32 0x7f, v23
	s_cbranch_execz .LBB323_1533
; %bb.1530:                             ;   in Loop: Header=BB323_991 Depth=1
	v_and_b32_sdwa v5, v0, v37 dst_sel:DWORD dst_unused:UNUSED_PAD src0_sel:WORD_0 src1_sel:DWORD
	v_lshrrev_b32_e32 v22, 3, v23
	s_mov_b32 s18, exec_lo
	v_cmpx_gt_u32_e32 8, v23
; %bb.1531:                             ;   in Loop: Header=BB323_991 Depth=1
	v_ffbh_u32_e32 v5, v5
	v_min_u32_e32 v5, 32, v5
	v_subrev_nc_u32_e32 v22, 28, v5
	v_lshlrev_b64 v[34:35], v22, v[0:1]
	v_sub_nc_u32_e32 v22, 29, v5
	v_and_b32_e32 v5, 7, v34
; %bb.1532:                             ;   in Loop: Header=BB323_991 Depth=1
	s_or_b32 exec_lo, exec_lo, s18
	v_lshlrev_b32_sdwa v0, v53, v0 dst_sel:DWORD dst_unused:UNUSED_PAD src0_sel:DWORD src1_sel:WORD_0
	v_lshl_add_u32 v22, v22, 10, 0x2000
	v_lshlrev_b32_e32 v5, 23, v5
	v_and_or_b32 v0, 0x8000, v0, v22
	v_lshl_or_b32 v5, v0, 16, v5
.LBB323_1533:                           ;   in Loop: Header=BB323_991 Depth=1
	s_or_b32 exec_lo, exec_lo, s15
.LBB323_1534:                           ;   in Loop: Header=BB323_991 Depth=1
	s_or_b32 exec_lo, exec_lo, s13
.LBB323_1535:                           ;   in Loop: Header=BB323_991 Depth=1
	s_or_b32 exec_lo, exec_lo, s12
	v_lshrrev_b32_e32 v0, 16, v11
	v_mov_b32_e32 v22, 0
	v_mov_b32_e32 v23, 0
	v_cmp_ne_u16_sdwa s4, v0, v1 src0_sel:BYTE_0 src1_sel:DWORD
	s_and_saveexec_b32 s12, s4
	s_cbranch_execz .LBB323_1543
; %bb.1536:                             ;   in Loop: Header=BB323_991 Depth=1
	v_cmp_ne_u16_sdwa s4, v0, v16 src0_sel:BYTE_0 src1_sel:DWORD
	v_mov_b32_e32 v23, 0x8000
	s_and_saveexec_b32 s13, s4
	s_cbranch_execz .LBB323_1542
; %bb.1537:                             ;   in Loop: Header=BB323_991 Depth=1
	v_bfe_u32 v34, v11, 16, 7
	v_mov_b32_e32 v23, 0x7c01
	s_mov_b32 s15, exec_lo
	v_cmpx_ne_u32_e32 0x7f, v34
	s_cbranch_execz .LBB323_1541
; %bb.1538:                             ;   in Loop: Header=BB323_991 Depth=1
	v_and_b32_e32 v23, 7, v0
	v_lshrrev_b32_e32 v32, 3, v34
	s_mov_b32 s18, exec_lo
	v_cmpx_gt_u32_e32 8, v34
; %bb.1539:                             ;   in Loop: Header=BB323_991 Depth=1
	v_ffbh_u32_e32 v23, v23
	v_min_u32_e32 v23, 32, v23
	v_subrev_nc_u32_e32 v32, 28, v23
	v_lshlrev_b64 v[34:35], v32, v[0:1]
	v_sub_nc_u32_e32 v32, 29, v23
	v_and_b32_e32 v23, 7, v34
; %bb.1540:                             ;   in Loop: Header=BB323_991 Depth=1
	s_or_b32 exec_lo, exec_lo, s18
	v_lshlrev_b32_e32 v0, 8, v0
	v_lshl_add_u32 v32, v32, 10, 0x2000
	v_lshlrev_b32_e32 v23, 7, v23
	v_and_b32_e32 v0, 0x8000, v0
	v_and_b32_e32 v32, 0xfc00, v32
	v_or3_b32 v23, v0, v32, v23
.LBB323_1541:                           ;   in Loop: Header=BB323_991 Depth=1
	s_or_b32 exec_lo, exec_lo, s15
.LBB323_1542:                           ;   in Loop: Header=BB323_991 Depth=1
	s_or_b32 exec_lo, exec_lo, s13
.LBB323_1543:                           ;   in Loop: Header=BB323_991 Depth=1
	s_or_b32 exec_lo, exec_lo, s12
	s_mov_b32 s12, exec_lo
	v_cmpx_lt_u32_e32 0xffffff, v11
	s_cbranch_execz .LBB323_1551
; %bb.1544:                             ;   in Loop: Header=BB323_991 Depth=1
	v_lshrrev_b32_e32 v0, 24, v11
	v_bfrev_b32_e32 v22, 1
	s_mov_b32 s13, exec_lo
	v_cmpx_ne_u32_e32 0x80, v0
	s_cbranch_execz .LBB323_1550
; %bb.1545:                             ;   in Loop: Header=BB323_991 Depth=1
	v_and_b32_e32 v34, 0x7f, v0
	v_mov_b32_e32 v22, 0x7c010000
	s_mov_b32 s15, exec_lo
	v_cmpx_ne_u32_e32 0x7f, v34
	s_cbranch_execz .LBB323_1549
; %bb.1546:                             ;   in Loop: Header=BB323_991 Depth=1
	v_and_b32_e32 v22, 7, v0
	v_lshrrev_b32_e32 v32, 3, v34
	s_mov_b32 s18, exec_lo
	v_cmpx_gt_u32_e32 8, v34
; %bb.1547:                             ;   in Loop: Header=BB323_991 Depth=1
	v_ffbh_u32_e32 v22, v22
	v_min_u32_e32 v22, 32, v22
	v_subrev_nc_u32_e32 v32, 28, v22
	v_lshlrev_b64 v[34:35], v32, v[0:1]
	v_sub_nc_u32_e32 v32, 29, v22
	v_and_b32_e32 v22, 7, v34
; %bb.1548:                             ;   in Loop: Header=BB323_991 Depth=1
	s_or_b32 exec_lo, exec_lo, s18
	v_lshlrev_b32_e32 v0, 8, v0
	v_lshl_add_u32 v32, v32, 10, 0x2000
	v_lshlrev_b32_e32 v22, 23, v22
	v_and_or_b32 v0, 0x8000, v0, v32
	v_lshl_or_b32 v22, v0, 16, v22
.LBB323_1549:                           ;   in Loop: Header=BB323_991 Depth=1
	s_or_b32 exec_lo, exec_lo, s15
.LBB323_1550:                           ;   in Loop: Header=BB323_991 Depth=1
	s_or_b32 exec_lo, exec_lo, s13
.LBB323_1551:                           ;   in Loop: Header=BB323_991 Depth=1
	s_or_b32 exec_lo, exec_lo, s12
	v_mov_b32_e32 v0, v12
	v_cmp_ne_u16_sdwa s4, v12, v1 src0_sel:BYTE_0 src1_sel:DWORD
	v_mov_b32_e32 v32, 0
	v_mov_b32_e32 v34, 0
	s_and_saveexec_b32 s12, s4
	s_cbranch_execz .LBB323_1559
; %bb.1552:                             ;   in Loop: Header=BB323_991 Depth=1
	v_cmp_ne_u16_sdwa s4, v12, v16 src0_sel:BYTE_0 src1_sel:DWORD
	v_mov_b32_e32 v34, 0x8000
	s_and_saveexec_b32 s13, s4
	s_cbranch_execz .LBB323_1558
; %bb.1553:                             ;   in Loop: Header=BB323_991 Depth=1
	v_and_b32_e32 v113, 0x7f, v12
	v_mov_b32_e32 v34, 0x7c01
	s_mov_b32 s15, exec_lo
	v_cmpx_ne_u32_e32 0x7f, v113
	s_cbranch_execz .LBB323_1557
; %bb.1554:                             ;   in Loop: Header=BB323_991 Depth=1
	v_and_b32_e32 v34, 7, v12
	v_lshrrev_b32_e32 v35, 3, v113
	s_mov_b32 s18, exec_lo
	v_cmpx_gt_u32_e32 8, v113
; %bb.1555:                             ;   in Loop: Header=BB323_991 Depth=1
	v_ffbh_u32_e32 v34, v34
	v_min_u32_e32 v113, 32, v34
	v_subrev_nc_u32_e32 v34, 28, v113
	v_lshlrev_b64 v[34:35], v34, v[0:1]
	v_sub_nc_u32_e32 v35, 29, v113
	v_and_b32_e32 v34, 7, v34
; %bb.1556:                             ;   in Loop: Header=BB323_991 Depth=1
	s_or_b32 exec_lo, exec_lo, s18
	v_lshlrev_b32_e32 v113, 8, v12
	v_lshl_add_u32 v35, v35, 10, 0x2000
	v_lshlrev_b32_e32 v34, 7, v34
	v_and_b32_e32 v113, 0x8000, v113
	v_and_b32_e32 v35, 0xfc00, v35
	v_or3_b32 v34, v113, v35, v34
.LBB323_1557:                           ;   in Loop: Header=BB323_991 Depth=1
	s_or_b32 exec_lo, exec_lo, s15
.LBB323_1558:                           ;   in Loop: Header=BB323_991 Depth=1
	s_or_b32 exec_lo, exec_lo, s13
.LBB323_1559:                           ;   in Loop: Header=BB323_991 Depth=1
	s_or_b32 exec_lo, exec_lo, s12
	v_lshrrev_b16 v0, 8, v0
	v_mov_b32_e32 v35, 0
	s_mov_b32 s12, exec_lo
	v_cmpx_ne_u16_e32 0, v0
	s_cbranch_execz .LBB323_1567
; %bb.1560:                             ;   in Loop: Header=BB323_991 Depth=1
	v_bfrev_b32_e32 v35, 1
	s_mov_b32 s13, exec_lo
	v_cmpx_ne_u16_e32 0x80, v0
	s_cbranch_execz .LBB323_1566
; %bb.1561:                             ;   in Loop: Header=BB323_991 Depth=1
	v_and_b32_sdwa v114, v0, v17 dst_sel:DWORD dst_unused:UNUSED_PAD src0_sel:WORD_0 src1_sel:DWORD
	v_mov_b32_e32 v35, 0x7c010000
	s_mov_b32 s15, exec_lo
	v_cmpx_ne_u32_e32 0x7f, v114
	s_cbranch_execz .LBB323_1565
; %bb.1562:                             ;   in Loop: Header=BB323_991 Depth=1
	v_and_b32_sdwa v35, v0, v37 dst_sel:DWORD dst_unused:UNUSED_PAD src0_sel:WORD_0 src1_sel:DWORD
	v_lshrrev_b32_e32 v113, 3, v114
	s_mov_b32 s18, exec_lo
	v_cmpx_gt_u32_e32 8, v114
; %bb.1563:                             ;   in Loop: Header=BB323_991 Depth=1
	v_ffbh_u32_e32 v35, v35
	v_min_u32_e32 v35, 32, v35
	v_subrev_nc_u32_e32 v113, 28, v35
	v_lshlrev_b64 v[114:115], v113, v[0:1]
	v_sub_nc_u32_e32 v113, 29, v35
	v_and_b32_e32 v35, 7, v114
; %bb.1564:                             ;   in Loop: Header=BB323_991 Depth=1
	s_or_b32 exec_lo, exec_lo, s18
	v_lshlrev_b32_sdwa v0, v53, v0 dst_sel:DWORD dst_unused:UNUSED_PAD src0_sel:DWORD src1_sel:WORD_0
	v_lshl_add_u32 v113, v113, 10, 0x2000
	v_lshlrev_b32_e32 v35, 23, v35
	v_and_or_b32 v0, 0x8000, v0, v113
	v_lshl_or_b32 v35, v0, 16, v35
.LBB323_1565:                           ;   in Loop: Header=BB323_991 Depth=1
	s_or_b32 exec_lo, exec_lo, s15
.LBB323_1566:                           ;   in Loop: Header=BB323_991 Depth=1
	s_or_b32 exec_lo, exec_lo, s13
.LBB323_1567:                           ;   in Loop: Header=BB323_991 Depth=1
	s_or_b32 exec_lo, exec_lo, s12
	v_lshrrev_b32_e32 v0, 16, v12
	v_cmp_ne_u16_sdwa s4, v0, v1 src0_sel:BYTE_0 src1_sel:DWORD
	s_and_saveexec_b32 s12, s4
	s_cbranch_execz .LBB323_1575
; %bb.1568:                             ;   in Loop: Header=BB323_991 Depth=1
	v_cmp_ne_u16_sdwa s4, v0, v16 src0_sel:BYTE_0 src1_sel:DWORD
	v_mov_b32_e32 v32, 0x8000
	s_and_saveexec_b32 s13, s4
	s_cbranch_execz .LBB323_1574
; %bb.1569:                             ;   in Loop: Header=BB323_991 Depth=1
	v_bfe_u32 v114, v12, 16, 7
	v_mov_b32_e32 v32, 0x7c01
	s_mov_b32 s15, exec_lo
	v_cmpx_ne_u32_e32 0x7f, v114
	s_cbranch_execz .LBB323_1573
; %bb.1570:                             ;   in Loop: Header=BB323_991 Depth=1
	v_and_b32_e32 v32, 7, v0
	v_lshrrev_b32_e32 v113, 3, v114
	s_mov_b32 s18, exec_lo
	v_cmpx_gt_u32_e32 8, v114
; %bb.1571:                             ;   in Loop: Header=BB323_991 Depth=1
	v_ffbh_u32_e32 v32, v32
	v_min_u32_e32 v32, 32, v32
	v_subrev_nc_u32_e32 v113, 28, v32
	v_lshlrev_b64 v[114:115], v113, v[0:1]
	v_sub_nc_u32_e32 v113, 29, v32
	v_and_b32_e32 v32, 7, v114
; %bb.1572:                             ;   in Loop: Header=BB323_991 Depth=1
	s_or_b32 exec_lo, exec_lo, s18
	v_lshlrev_b32_e32 v0, 8, v0
	v_lshl_add_u32 v113, v113, 10, 0x2000
	v_lshlrev_b32_e32 v32, 7, v32
	v_and_b32_e32 v0, 0x8000, v0
	v_and_b32_e32 v113, 0xfc00, v113
	v_or3_b32 v32, v0, v113, v32
.LBB323_1573:                           ;   in Loop: Header=BB323_991 Depth=1
	s_or_b32 exec_lo, exec_lo, s15
.LBB323_1574:                           ;   in Loop: Header=BB323_991 Depth=1
	s_or_b32 exec_lo, exec_lo, s13
.LBB323_1575:                           ;   in Loop: Header=BB323_991 Depth=1
	s_or_b32 exec_lo, exec_lo, s12
	v_cmp_lt_u64_e64 s4, s[8:9], v[11:12]
	v_mov_b32_e32 v11, 0
	s_and_saveexec_b32 s12, s4
	s_cbranch_execz .LBB323_1583
; %bb.1576:                             ;   in Loop: Header=BB323_991 Depth=1
	v_lshrrev_b32_e32 v0, 24, v12
	v_bfrev_b32_e32 v11, 1
	s_mov_b32 s13, exec_lo
	v_cmpx_ne_u32_e32 0x80, v0
	s_cbranch_execz .LBB323_1582
; %bb.1577:                             ;   in Loop: Header=BB323_991 Depth=1
	v_and_b32_e32 v113, 0x7f, v0
	v_mov_b32_e32 v11, 0x7c010000
	s_mov_b32 s15, exec_lo
	v_cmpx_ne_u32_e32 0x7f, v113
	s_cbranch_execz .LBB323_1581
; %bb.1578:                             ;   in Loop: Header=BB323_991 Depth=1
	v_and_b32_e32 v11, 7, v0
	v_lshrrev_b32_e32 v12, 3, v113
	s_mov_b32 s18, exec_lo
	v_cmpx_gt_u32_e32 8, v113
; %bb.1579:                             ;   in Loop: Header=BB323_991 Depth=1
	v_ffbh_u32_e32 v11, v11
	v_min_u32_e32 v113, 32, v11
	v_subrev_nc_u32_e32 v11, 28, v113
	v_lshlrev_b64 v[11:12], v11, v[0:1]
	v_sub_nc_u32_e32 v12, 29, v113
	v_and_b32_e32 v11, 7, v11
; %bb.1580:                             ;   in Loop: Header=BB323_991 Depth=1
	s_or_b32 exec_lo, exec_lo, s18
	v_lshlrev_b32_e32 v0, 8, v0
	v_lshl_add_u32 v12, v12, 10, 0x2000
	v_lshlrev_b32_e32 v11, 23, v11
	v_and_or_b32 v0, 0x8000, v0, v12
	v_lshl_or_b32 v11, v0, 16, v11
.LBB323_1581:                           ;   in Loop: Header=BB323_991 Depth=1
	s_or_b32 exec_lo, exec_lo, s15
.LBB323_1582:                           ;   in Loop: Header=BB323_991 Depth=1
	s_or_b32 exec_lo, exec_lo, s13
.LBB323_1583:                           ;   in Loop: Header=BB323_991 Depth=1
	s_or_b32 exec_lo, exec_lo, s12
	v_or_b32_e32 v0, v22, v23
	s_waitcnt vmcnt(0) lgkmcnt(0)
	v_fma_mixlo_f16 v12, v4, v22, 0 op_sel:[0,1,0] op_sel_hi:[0,1,0]
	v_or_b32_e32 v6, v5, v6
	v_fma_mixlo_f16 v5, v4, v5, 0 op_sel:[0,1,0] op_sel_hi:[0,1,0]
	v_or_b32_e32 v22, v35, v34
	v_fma_mixlo_f16 v23, v4, v0, 0 op_sel_hi:[0,1,0]
	v_or_b32_e32 v32, v11, v32
	v_lshlrev_b32_e32 v0, 16, v12
	v_lshlrev_b32_e32 v12, 16, v5
	v_fma_mixlo_f16 v6, v4, v6, 0 op_sel_hi:[0,1,0]
	v_and_b32_e32 v5, 0xffff, v23
	v_fma_mixlo_f16 v23, v4, v35, 0 op_sel:[0,1,0] op_sel_hi:[0,1,0]
	v_fma_mixlo_f16 v22, v4, v22, 0 op_sel_hi:[0,1,0]
	v_fma_mixlo_f16 v11, v4, v11, 0 op_sel:[0,1,0] op_sel_hi:[0,1,0]
	v_fma_mixlo_f16 v32, v4, v32, 0 op_sel_hi:[0,1,0]
	v_and_b32_e32 v113, 0xffff, v6
	v_lshlrev_b32_e32 v6, 16, v23
	v_and_b32_e32 v23, 0xffff, v22
	v_lshlrev_b32_e32 v4, 16, v11
	v_and_b32_e32 v11, 0xffff, v32
	v_or_b32_e32 v22, v0, v5
	v_or_b32_e32 v35, v12, v113
	;; [unrolled: 1-line block ×4, first 2 shown]
	s_and_saveexec_b32 s12, vcc_lo
	s_cbranch_execz .LBB323_1585
; %bb.1584:                             ;   in Loop: Header=BB323_991 Depth=1
	v_cmp_lt_i32_e64 s4, v54, v33
	v_cndmask_b32_e64 v22, 0, v113, s4
	v_cmp_lt_i32_e64 s4, v82, v33
	v_cndmask_b32_e64 v12, 0, v12, s4
	v_cmp_lt_i32_e64 s4, v81, v33
	v_or_b32_e32 v35, v22, v12
	v_cndmask_b32_e64 v5, 0, v5, s4
	v_cmp_lt_i32_e64 s4, v80, v33
	v_cndmask_b32_e64 v0, 0, v0, s4
	v_cmp_lt_i32_e64 s4, v71, v33
	v_or_b32_e32 v22, v5, v0
	;; [unrolled: 5-line block ×3, first 2 shown]
	v_cndmask_b32_e64 v11, 0, v11, s4
	v_cmp_lt_i32_e64 s4, v14, v33
	v_cndmask_b32_e64 v4, 0, v4, s4
	v_or_b32_e32 v32, v11, v4
.LBB323_1585:                           ;   in Loop: Header=BB323_991 Depth=1
	s_or_b32 exec_lo, exec_lo, s12
	;;#ASMSTART
	v_pk_mul_f16 v0, v67, v35;

	;;#ASMEND
	;;#ASMSTART
	v_pk_mul_f16 v4, v65, v22;

	;;#ASMEND
	;; [unrolled: 4-line block ×4, first 2 shown]
	;;#ASMSTART
	v_pk_add_f16 v0, v0, v4;

	;;#ASMEND
	;;#ASMSTART
	v_pk_add_f16 v0, v0, v5;

	;;#ASMEND
	;; [unrolled: 4-line block ×3, first 2 shown]
	v_and_b32_e32 v4, 0xffff, v0
	v_lshrrev_b32_e32 v0, 16, v0
	;;#ASMSTART
	v_cvt_f32_f16 v4, v4;
	;;#ASMEND
	;;#ASMSTART
	v_cvt_f32_f16 v5, v0;
	;;#ASMEND
	flat_load_dwordx2 v[11:12], v[9:10] offset:256
	flat_load_dword v6, v[26:27]
	v_mov_b32_e32 v22, 0
	v_mov_b32_e32 v23, 0
	s_waitcnt vmcnt(1) lgkmcnt(1)
	v_cmp_ne_u16_sdwa s4, v11, v1 src0_sel:BYTE_0 src1_sel:DWORD
	s_and_saveexec_b32 s12, s4
	s_cbranch_execz .LBB323_1593
; %bb.1586:                             ;   in Loop: Header=BB323_991 Depth=1
	v_cmp_ne_u16_sdwa s4, v11, v16 src0_sel:BYTE_0 src1_sel:DWORD
	v_mov_b32_e32 v23, 0x8000
	s_and_saveexec_b32 s13, s4
	s_cbranch_execz .LBB323_1592
; %bb.1587:                             ;   in Loop: Header=BB323_991 Depth=1
	v_and_b32_e32 v32, 0x7f, v11
	v_mov_b32_e32 v23, 0x7c01
	s_mov_b32 s15, exec_lo
	v_cmpx_ne_u32_e32 0x7f, v32
	s_cbranch_execz .LBB323_1591
; %bb.1588:                             ;   in Loop: Header=BB323_991 Depth=1
	v_and_b32_e32 v0, 7, v11
	v_lshrrev_b32_e32 v23, 3, v32
	s_mov_b32 s18, exec_lo
	v_cmpx_gt_u32_e32 8, v32
; %bb.1589:                             ;   in Loop: Header=BB323_991 Depth=1
	v_ffbh_u32_e32 v0, v0
	v_min_u32_e32 v0, 32, v0
	v_subrev_nc_u32_e32 v23, 28, v0
	v_lshlrev_b64 v[34:35], v23, v[11:12]
	v_sub_nc_u32_e32 v23, 29, v0
	v_and_b32_e32 v0, 7, v34
; %bb.1590:                             ;   in Loop: Header=BB323_991 Depth=1
	s_or_b32 exec_lo, exec_lo, s18
	v_lshlrev_b32_e32 v32, 8, v11
	v_lshl_add_u32 v23, v23, 10, 0x2000
	v_lshlrev_b32_e32 v0, 7, v0
	v_and_b32_e32 v32, 0x8000, v32
	v_and_b32_e32 v23, 0xfc00, v23
	v_or3_b32 v23, v32, v23, v0
.LBB323_1591:                           ;   in Loop: Header=BB323_991 Depth=1
	s_or_b32 exec_lo, exec_lo, s15
.LBB323_1592:                           ;   in Loop: Header=BB323_991 Depth=1
	s_or_b32 exec_lo, exec_lo, s13
.LBB323_1593:                           ;   in Loop: Header=BB323_991 Depth=1
	s_or_b32 exec_lo, exec_lo, s12
	v_lshrrev_b16 v0, 8, v11
	s_mov_b32 s12, exec_lo
	v_cmpx_ne_u16_e32 0, v0
	s_cbranch_execz .LBB323_1601
; %bb.1594:                             ;   in Loop: Header=BB323_991 Depth=1
	v_bfrev_b32_e32 v22, 1
	s_mov_b32 s13, exec_lo
	v_cmpx_ne_u16_e32 0x80, v0
	s_cbranch_execz .LBB323_1600
; %bb.1595:                             ;   in Loop: Header=BB323_991 Depth=1
	v_and_b32_sdwa v34, v0, v17 dst_sel:DWORD dst_unused:UNUSED_PAD src0_sel:WORD_0 src1_sel:DWORD
	v_mov_b32_e32 v22, 0x7c010000
	s_mov_b32 s15, exec_lo
	v_cmpx_ne_u32_e32 0x7f, v34
	s_cbranch_execz .LBB323_1599
; %bb.1596:                             ;   in Loop: Header=BB323_991 Depth=1
	v_and_b32_sdwa v22, v0, v37 dst_sel:DWORD dst_unused:UNUSED_PAD src0_sel:WORD_0 src1_sel:DWORD
	v_lshrrev_b32_e32 v32, 3, v34
	s_mov_b32 s18, exec_lo
	v_cmpx_gt_u32_e32 8, v34
; %bb.1597:                             ;   in Loop: Header=BB323_991 Depth=1
	v_ffbh_u32_e32 v22, v22
	v_min_u32_e32 v22, 32, v22
	v_subrev_nc_u32_e32 v32, 28, v22
	v_lshlrev_b64 v[34:35], v32, v[0:1]
	v_sub_nc_u32_e32 v32, 29, v22
	v_and_b32_e32 v22, 7, v34
; %bb.1598:                             ;   in Loop: Header=BB323_991 Depth=1
	s_or_b32 exec_lo, exec_lo, s18
	v_lshlrev_b32_sdwa v0, v53, v0 dst_sel:DWORD dst_unused:UNUSED_PAD src0_sel:DWORD src1_sel:WORD_0
	v_lshl_add_u32 v32, v32, 10, 0x2000
	v_lshlrev_b32_e32 v22, 23, v22
	v_and_or_b32 v0, 0x8000, v0, v32
	v_lshl_or_b32 v22, v0, 16, v22
.LBB323_1599:                           ;   in Loop: Header=BB323_991 Depth=1
	s_or_b32 exec_lo, exec_lo, s15
.LBB323_1600:                           ;   in Loop: Header=BB323_991 Depth=1
	s_or_b32 exec_lo, exec_lo, s13
.LBB323_1601:                           ;   in Loop: Header=BB323_991 Depth=1
	s_or_b32 exec_lo, exec_lo, s12
	v_lshrrev_b32_e32 v0, 16, v11
	v_mov_b32_e32 v32, 0
	v_mov_b32_e32 v34, 0
	v_cmp_ne_u16_sdwa s4, v0, v1 src0_sel:BYTE_0 src1_sel:DWORD
	s_and_saveexec_b32 s12, s4
	s_cbranch_execz .LBB323_1609
; %bb.1602:                             ;   in Loop: Header=BB323_991 Depth=1
	v_cmp_ne_u16_sdwa s4, v0, v16 src0_sel:BYTE_0 src1_sel:DWORD
	v_mov_b32_e32 v34, 0x8000
	s_and_saveexec_b32 s13, s4
	s_cbranch_execz .LBB323_1608
; %bb.1603:                             ;   in Loop: Header=BB323_991 Depth=1
	v_bfe_u32 v113, v11, 16, 7
	v_mov_b32_e32 v34, 0x7c01
	s_mov_b32 s15, exec_lo
	v_cmpx_ne_u32_e32 0x7f, v113
	s_cbranch_execz .LBB323_1607
; %bb.1604:                             ;   in Loop: Header=BB323_991 Depth=1
	v_and_b32_e32 v34, 7, v0
	v_lshrrev_b32_e32 v35, 3, v113
	s_mov_b32 s18, exec_lo
	v_cmpx_gt_u32_e32 8, v113
; %bb.1605:                             ;   in Loop: Header=BB323_991 Depth=1
	v_ffbh_u32_e32 v34, v34
	v_min_u32_e32 v113, 32, v34
	v_subrev_nc_u32_e32 v34, 28, v113
	v_lshlrev_b64 v[34:35], v34, v[0:1]
	v_sub_nc_u32_e32 v35, 29, v113
	v_and_b32_e32 v34, 7, v34
; %bb.1606:                             ;   in Loop: Header=BB323_991 Depth=1
	s_or_b32 exec_lo, exec_lo, s18
	v_lshlrev_b32_e32 v0, 8, v0
	v_lshl_add_u32 v35, v35, 10, 0x2000
	v_lshlrev_b32_e32 v34, 7, v34
	v_and_b32_e32 v0, 0x8000, v0
	v_and_b32_e32 v35, 0xfc00, v35
	v_or3_b32 v34, v0, v35, v34
.LBB323_1607:                           ;   in Loop: Header=BB323_991 Depth=1
	s_or_b32 exec_lo, exec_lo, s15
.LBB323_1608:                           ;   in Loop: Header=BB323_991 Depth=1
	s_or_b32 exec_lo, exec_lo, s13
.LBB323_1609:                           ;   in Loop: Header=BB323_991 Depth=1
	s_or_b32 exec_lo, exec_lo, s12
	s_mov_b32 s12, exec_lo
	v_cmpx_lt_u32_e32 0xffffff, v11
	s_cbranch_execz .LBB323_1617
; %bb.1610:                             ;   in Loop: Header=BB323_991 Depth=1
	v_lshrrev_b32_e32 v0, 24, v11
	v_bfrev_b32_e32 v32, 1
	s_mov_b32 s13, exec_lo
	v_cmpx_ne_u32_e32 0x80, v0
	s_cbranch_execz .LBB323_1616
; %bb.1611:                             ;   in Loop: Header=BB323_991 Depth=1
	v_and_b32_e32 v113, 0x7f, v0
	v_mov_b32_e32 v32, 0x7c010000
	s_mov_b32 s15, exec_lo
	v_cmpx_ne_u32_e32 0x7f, v113
	s_cbranch_execz .LBB323_1615
; %bb.1612:                             ;   in Loop: Header=BB323_991 Depth=1
	v_and_b32_e32 v32, 7, v0
	v_lshrrev_b32_e32 v35, 3, v113
	s_mov_b32 s18, exec_lo
	v_cmpx_gt_u32_e32 8, v113
; %bb.1613:                             ;   in Loop: Header=BB323_991 Depth=1
	v_ffbh_u32_e32 v32, v32
	v_min_u32_e32 v32, 32, v32
	v_subrev_nc_u32_e32 v35, 28, v32
	v_lshlrev_b64 v[113:114], v35, v[0:1]
	v_sub_nc_u32_e32 v35, 29, v32
	v_and_b32_e32 v32, 7, v113
; %bb.1614:                             ;   in Loop: Header=BB323_991 Depth=1
	s_or_b32 exec_lo, exec_lo, s18
	v_lshlrev_b32_e32 v0, 8, v0
	v_lshl_add_u32 v35, v35, 10, 0x2000
	v_lshlrev_b32_e32 v32, 23, v32
	v_and_or_b32 v0, 0x8000, v0, v35
	v_lshl_or_b32 v32, v0, 16, v32
.LBB323_1615:                           ;   in Loop: Header=BB323_991 Depth=1
	s_or_b32 exec_lo, exec_lo, s15
.LBB323_1616:                           ;   in Loop: Header=BB323_991 Depth=1
	s_or_b32 exec_lo, exec_lo, s13
.LBB323_1617:                           ;   in Loop: Header=BB323_991 Depth=1
	s_or_b32 exec_lo, exec_lo, s12
	v_mov_b32_e32 v0, v12
	v_cmp_ne_u16_sdwa s4, v12, v1 src0_sel:BYTE_0 src1_sel:DWORD
	v_mov_b32_e32 v35, 0
	v_mov_b32_e32 v113, 0
	s_and_saveexec_b32 s12, s4
	s_cbranch_execz .LBB323_1625
; %bb.1618:                             ;   in Loop: Header=BB323_991 Depth=1
	v_cmp_ne_u16_sdwa s4, v12, v16 src0_sel:BYTE_0 src1_sel:DWORD
	v_mov_b32_e32 v113, 0x8000
	s_and_saveexec_b32 s13, s4
	s_cbranch_execz .LBB323_1624
; %bb.1619:                             ;   in Loop: Header=BB323_991 Depth=1
	v_and_b32_e32 v115, 0x7f, v12
	v_mov_b32_e32 v113, 0x7c01
	s_mov_b32 s15, exec_lo
	v_cmpx_ne_u32_e32 0x7f, v115
	s_cbranch_execz .LBB323_1623
; %bb.1620:                             ;   in Loop: Header=BB323_991 Depth=1
	v_and_b32_e32 v113, 7, v12
	v_lshrrev_b32_e32 v114, 3, v115
	s_mov_b32 s18, exec_lo
	v_cmpx_gt_u32_e32 8, v115
; %bb.1621:                             ;   in Loop: Header=BB323_991 Depth=1
	v_ffbh_u32_e32 v113, v113
	v_min_u32_e32 v115, 32, v113
	v_subrev_nc_u32_e32 v113, 28, v115
	v_lshlrev_b64 v[113:114], v113, v[0:1]
	v_sub_nc_u32_e32 v114, 29, v115
	v_and_b32_e32 v113, 7, v113
; %bb.1622:                             ;   in Loop: Header=BB323_991 Depth=1
	s_or_b32 exec_lo, exec_lo, s18
	v_lshlrev_b32_e32 v115, 8, v12
	v_lshl_add_u32 v114, v114, 10, 0x2000
	v_lshlrev_b32_e32 v113, 7, v113
	v_and_b32_e32 v115, 0x8000, v115
	v_and_b32_e32 v114, 0xfc00, v114
	v_or3_b32 v113, v115, v114, v113
.LBB323_1623:                           ;   in Loop: Header=BB323_991 Depth=1
	s_or_b32 exec_lo, exec_lo, s15
.LBB323_1624:                           ;   in Loop: Header=BB323_991 Depth=1
	s_or_b32 exec_lo, exec_lo, s13
.LBB323_1625:                           ;   in Loop: Header=BB323_991 Depth=1
	s_or_b32 exec_lo, exec_lo, s12
	v_lshrrev_b16 v0, 8, v0
	v_mov_b32_e32 v114, 0
	s_mov_b32 s12, exec_lo
	v_cmpx_ne_u16_e32 0, v0
	s_cbranch_execz .LBB323_1633
; %bb.1626:                             ;   in Loop: Header=BB323_991 Depth=1
	v_bfrev_b32_e32 v114, 1
	s_mov_b32 s13, exec_lo
	v_cmpx_ne_u16_e32 0x80, v0
	s_cbranch_execz .LBB323_1632
; %bb.1627:                             ;   in Loop: Header=BB323_991 Depth=1
	v_and_b32_sdwa v116, v0, v17 dst_sel:DWORD dst_unused:UNUSED_PAD src0_sel:WORD_0 src1_sel:DWORD
	v_mov_b32_e32 v114, 0x7c010000
	s_mov_b32 s15, exec_lo
	v_cmpx_ne_u32_e32 0x7f, v116
	s_cbranch_execz .LBB323_1631
; %bb.1628:                             ;   in Loop: Header=BB323_991 Depth=1
	v_and_b32_sdwa v114, v0, v37 dst_sel:DWORD dst_unused:UNUSED_PAD src0_sel:WORD_0 src1_sel:DWORD
	v_lshrrev_b32_e32 v115, 3, v116
	s_mov_b32 s18, exec_lo
	v_cmpx_gt_u32_e32 8, v116
; %bb.1629:                             ;   in Loop: Header=BB323_991 Depth=1
	v_ffbh_u32_e32 v114, v114
	v_min_u32_e32 v116, 32, v114
	v_subrev_nc_u32_e32 v114, 28, v116
	v_lshlrev_b64 v[114:115], v114, v[0:1]
	v_sub_nc_u32_e32 v115, 29, v116
	v_and_b32_e32 v114, 7, v114
; %bb.1630:                             ;   in Loop: Header=BB323_991 Depth=1
	s_or_b32 exec_lo, exec_lo, s18
	v_lshlrev_b32_sdwa v0, v53, v0 dst_sel:DWORD dst_unused:UNUSED_PAD src0_sel:DWORD src1_sel:WORD_0
	v_lshl_add_u32 v115, v115, 10, 0x2000
	v_lshlrev_b32_e32 v114, 23, v114
	v_and_or_b32 v0, 0x8000, v0, v115
	v_lshl_or_b32 v114, v0, 16, v114
.LBB323_1631:                           ;   in Loop: Header=BB323_991 Depth=1
	s_or_b32 exec_lo, exec_lo, s15
.LBB323_1632:                           ;   in Loop: Header=BB323_991 Depth=1
	s_or_b32 exec_lo, exec_lo, s13
.LBB323_1633:                           ;   in Loop: Header=BB323_991 Depth=1
	s_or_b32 exec_lo, exec_lo, s12
	v_lshrrev_b32_e32 v0, 16, v12
	v_cmp_ne_u16_sdwa s4, v0, v1 src0_sel:BYTE_0 src1_sel:DWORD
	s_and_saveexec_b32 s12, s4
	s_cbranch_execz .LBB323_1641
; %bb.1634:                             ;   in Loop: Header=BB323_991 Depth=1
	v_cmp_ne_u16_sdwa s4, v0, v16 src0_sel:BYTE_0 src1_sel:DWORD
	v_mov_b32_e32 v35, 0x8000
	s_and_saveexec_b32 s13, s4
	s_cbranch_execz .LBB323_1640
; %bb.1635:                             ;   in Loop: Header=BB323_991 Depth=1
	v_bfe_u32 v116, v12, 16, 7
	v_mov_b32_e32 v35, 0x7c01
	s_mov_b32 s15, exec_lo
	v_cmpx_ne_u32_e32 0x7f, v116
	s_cbranch_execz .LBB323_1639
; %bb.1636:                             ;   in Loop: Header=BB323_991 Depth=1
	v_and_b32_e32 v35, 7, v0
	v_lshrrev_b32_e32 v115, 3, v116
	s_mov_b32 s18, exec_lo
	v_cmpx_gt_u32_e32 8, v116
; %bb.1637:                             ;   in Loop: Header=BB323_991 Depth=1
	v_ffbh_u32_e32 v35, v35
	v_min_u32_e32 v35, 32, v35
	v_subrev_nc_u32_e32 v115, 28, v35
	v_lshlrev_b64 v[116:117], v115, v[0:1]
	v_sub_nc_u32_e32 v115, 29, v35
	v_and_b32_e32 v35, 7, v116
; %bb.1638:                             ;   in Loop: Header=BB323_991 Depth=1
	s_or_b32 exec_lo, exec_lo, s18
	v_lshlrev_b32_e32 v0, 8, v0
	v_lshl_add_u32 v115, v115, 10, 0x2000
	v_lshlrev_b32_e32 v35, 7, v35
	v_and_b32_e32 v0, 0x8000, v0
	v_and_b32_e32 v115, 0xfc00, v115
	v_or3_b32 v35, v0, v115, v35
.LBB323_1639:                           ;   in Loop: Header=BB323_991 Depth=1
	s_or_b32 exec_lo, exec_lo, s15
.LBB323_1640:                           ;   in Loop: Header=BB323_991 Depth=1
	s_or_b32 exec_lo, exec_lo, s13
.LBB323_1641:                           ;   in Loop: Header=BB323_991 Depth=1
	s_or_b32 exec_lo, exec_lo, s12
	v_cmp_lt_u64_e64 s4, s[8:9], v[11:12]
	v_mov_b32_e32 v11, 0
	s_and_saveexec_b32 s12, s4
	s_cbranch_execz .LBB323_1649
; %bb.1642:                             ;   in Loop: Header=BB323_991 Depth=1
	v_lshrrev_b32_e32 v0, 24, v12
	v_bfrev_b32_e32 v11, 1
	s_mov_b32 s13, exec_lo
	v_cmpx_ne_u32_e32 0x80, v0
	s_cbranch_execz .LBB323_1648
; %bb.1643:                             ;   in Loop: Header=BB323_991 Depth=1
	v_and_b32_e32 v115, 0x7f, v0
	v_mov_b32_e32 v11, 0x7c010000
	s_mov_b32 s15, exec_lo
	v_cmpx_ne_u32_e32 0x7f, v115
	s_cbranch_execz .LBB323_1647
; %bb.1644:                             ;   in Loop: Header=BB323_991 Depth=1
	v_and_b32_e32 v11, 7, v0
	v_lshrrev_b32_e32 v12, 3, v115
	s_mov_b32 s18, exec_lo
	v_cmpx_gt_u32_e32 8, v115
; %bb.1645:                             ;   in Loop: Header=BB323_991 Depth=1
	v_ffbh_u32_e32 v11, v11
	v_min_u32_e32 v115, 32, v11
	v_subrev_nc_u32_e32 v11, 28, v115
	v_lshlrev_b64 v[11:12], v11, v[0:1]
	v_sub_nc_u32_e32 v12, 29, v115
	v_and_b32_e32 v11, 7, v11
; %bb.1646:                             ;   in Loop: Header=BB323_991 Depth=1
	s_or_b32 exec_lo, exec_lo, s18
	v_lshlrev_b32_e32 v0, 8, v0
	v_lshl_add_u32 v12, v12, 10, 0x2000
	v_lshlrev_b32_e32 v11, 23, v11
	v_and_or_b32 v0, 0x8000, v0, v12
	v_lshl_or_b32 v11, v0, 16, v11
.LBB323_1647:                           ;   in Loop: Header=BB323_991 Depth=1
	s_or_b32 exec_lo, exec_lo, s15
.LBB323_1648:                           ;   in Loop: Header=BB323_991 Depth=1
	s_or_b32 exec_lo, exec_lo, s13
.LBB323_1649:                           ;   in Loop: Header=BB323_991 Depth=1
	s_or_b32 exec_lo, exec_lo, s12
	v_or_b32_e32 v0, v32, v34
	s_waitcnt vmcnt(0) lgkmcnt(0)
	v_fma_mixlo_f16 v12, v6, v32, 0 op_sel:[0,1,0] op_sel_hi:[0,1,0]
	v_or_b32_e32 v32, v22, v23
	v_fma_mixlo_f16 v22, v6, v22, 0 op_sel:[0,1,0] op_sel_hi:[0,1,0]
	v_or_b32_e32 v34, v114, v113
	v_fma_mixlo_f16 v113, v6, v0, 0 op_sel_hi:[0,1,0]
	v_or_b32_e32 v35, v11, v35
	v_lshlrev_b32_e32 v0, 16, v12
	v_lshlrev_b32_e32 v23, 16, v22
	v_fma_mixlo_f16 v22, v6, v32, 0 op_sel_hi:[0,1,0]
	v_and_b32_e32 v12, 0xffff, v113
	v_fma_mixlo_f16 v32, v6, v114, 0 op_sel:[0,1,0] op_sel_hi:[0,1,0]
	v_fma_mixlo_f16 v34, v6, v34, 0 op_sel_hi:[0,1,0]
	v_fma_mixlo_f16 v113, v6, v11, 0 op_sel:[0,1,0] op_sel_hi:[0,1,0]
	v_fma_mixlo_f16 v35, v6, v35, 0 op_sel_hi:[0,1,0]
	v_and_b32_e32 v115, 0xffff, v22
	v_lshlrev_b32_e32 v11, 16, v32
	v_and_b32_e32 v34, 0xffff, v34
	v_lshlrev_b32_e32 v6, 16, v113
	v_and_b32_e32 v22, 0xffff, v35
	v_or_b32_e32 v32, v0, v12
	v_or_b32_e32 v114, v23, v115
	;; [unrolled: 1-line block ×4, first 2 shown]
	s_and_saveexec_b32 s12, vcc_lo
	s_cbranch_execz .LBB323_1651
; %bb.1650:                             ;   in Loop: Header=BB323_991 Depth=1
	v_cmp_lt_i32_e64 s4, v54, v33
	v_cndmask_b32_e64 v32, 0, v115, s4
	v_cmp_lt_i32_e64 s4, v82, v33
	v_cndmask_b32_e64 v23, 0, v23, s4
	v_cmp_lt_i32_e64 s4, v81, v33
	v_or_b32_e32 v114, v32, v23
	v_cndmask_b32_e64 v12, 0, v12, s4
	v_cmp_lt_i32_e64 s4, v80, v33
	v_cndmask_b32_e64 v0, 0, v0, s4
	v_cmp_lt_i32_e64 s4, v71, v33
	v_or_b32_e32 v32, v12, v0
	;; [unrolled: 5-line block ×3, first 2 shown]
	v_cndmask_b32_e64 v22, 0, v22, s4
	v_cmp_lt_i32_e64 s4, v14, v33
	v_cndmask_b32_e64 v6, 0, v6, s4
	v_or_b32_e32 v35, v22, v6
.LBB323_1651:                           ;   in Loop: Header=BB323_991 Depth=1
	s_or_b32 exec_lo, exec_lo, s12
	;;#ASMSTART
	v_pk_mul_f16 v0, v67, v114;

	;;#ASMEND
	;;#ASMSTART
	v_pk_mul_f16 v6, v65, v32;

	;;#ASMEND
	;; [unrolled: 4-line block ×4, first 2 shown]
	;;#ASMSTART
	v_pk_add_f16 v0, v0, v6;

	;;#ASMEND
	;;#ASMSTART
	v_pk_add_f16 v0, v0, v11;

	;;#ASMEND
	;; [unrolled: 4-line block ×3, first 2 shown]
	v_and_b32_e32 v6, 0xffff, v0
	v_lshrrev_b32_e32 v0, 16, v0
	;;#ASMSTART
	v_cvt_f32_f16 v6, v6;
	;;#ASMEND
	;;#ASMSTART
	v_cvt_f32_f16 v22, v0;
	;;#ASMEND
	flat_load_dwordx2 v[11:12], v[9:10] offset:512
	flat_load_dword v23, v[26:27]
	v_mov_b32_e32 v32, 0
	v_mov_b32_e32 v34, 0
	s_waitcnt vmcnt(1) lgkmcnt(1)
	v_cmp_ne_u16_sdwa s4, v11, v1 src0_sel:BYTE_0 src1_sel:DWORD
	s_and_saveexec_b32 s12, s4
	s_cbranch_execz .LBB323_1659
; %bb.1652:                             ;   in Loop: Header=BB323_991 Depth=1
	v_cmp_ne_u16_sdwa s4, v11, v16 src0_sel:BYTE_0 src1_sel:DWORD
	v_mov_b32_e32 v34, 0x8000
	s_and_saveexec_b32 s13, s4
	s_cbranch_execz .LBB323_1658
; %bb.1653:                             ;   in Loop: Header=BB323_991 Depth=1
	v_and_b32_e32 v35, 0x7f, v11
	v_mov_b32_e32 v34, 0x7c01
	s_mov_b32 s15, exec_lo
	v_cmpx_ne_u32_e32 0x7f, v35
	s_cbranch_execz .LBB323_1657
; %bb.1654:                             ;   in Loop: Header=BB323_991 Depth=1
	v_and_b32_e32 v0, 7, v11
	v_lshrrev_b32_e32 v34, 3, v35
	s_mov_b32 s18, exec_lo
	v_cmpx_gt_u32_e32 8, v35
; %bb.1655:                             ;   in Loop: Header=BB323_991 Depth=1
	v_ffbh_u32_e32 v0, v0
	v_min_u32_e32 v0, 32, v0
	v_subrev_nc_u32_e32 v34, 28, v0
	v_lshlrev_b64 v[113:114], v34, v[11:12]
	v_sub_nc_u32_e32 v34, 29, v0
	v_and_b32_e32 v0, 7, v113
; %bb.1656:                             ;   in Loop: Header=BB323_991 Depth=1
	s_or_b32 exec_lo, exec_lo, s18
	v_lshlrev_b32_e32 v35, 8, v11
	v_lshl_add_u32 v34, v34, 10, 0x2000
	v_lshlrev_b32_e32 v0, 7, v0
	v_and_b32_e32 v35, 0x8000, v35
	v_and_b32_e32 v34, 0xfc00, v34
	v_or3_b32 v34, v35, v34, v0
.LBB323_1657:                           ;   in Loop: Header=BB323_991 Depth=1
	s_or_b32 exec_lo, exec_lo, s15
.LBB323_1658:                           ;   in Loop: Header=BB323_991 Depth=1
	s_or_b32 exec_lo, exec_lo, s13
.LBB323_1659:                           ;   in Loop: Header=BB323_991 Depth=1
	s_or_b32 exec_lo, exec_lo, s12
	v_lshrrev_b16 v0, 8, v11
	s_mov_b32 s12, exec_lo
	v_cmpx_ne_u16_e32 0, v0
	s_cbranch_execz .LBB323_1667
; %bb.1660:                             ;   in Loop: Header=BB323_991 Depth=1
	v_bfrev_b32_e32 v32, 1
	s_mov_b32 s13, exec_lo
	v_cmpx_ne_u16_e32 0x80, v0
	s_cbranch_execz .LBB323_1666
; %bb.1661:                             ;   in Loop: Header=BB323_991 Depth=1
	v_and_b32_sdwa v113, v0, v17 dst_sel:DWORD dst_unused:UNUSED_PAD src0_sel:WORD_0 src1_sel:DWORD
	v_mov_b32_e32 v32, 0x7c010000
	s_mov_b32 s15, exec_lo
	v_cmpx_ne_u32_e32 0x7f, v113
	s_cbranch_execz .LBB323_1665
; %bb.1662:                             ;   in Loop: Header=BB323_991 Depth=1
	v_and_b32_sdwa v32, v0, v37 dst_sel:DWORD dst_unused:UNUSED_PAD src0_sel:WORD_0 src1_sel:DWORD
	v_lshrrev_b32_e32 v35, 3, v113
	s_mov_b32 s18, exec_lo
	v_cmpx_gt_u32_e32 8, v113
; %bb.1663:                             ;   in Loop: Header=BB323_991 Depth=1
	v_ffbh_u32_e32 v32, v32
	v_min_u32_e32 v32, 32, v32
	v_subrev_nc_u32_e32 v35, 28, v32
	v_lshlrev_b64 v[113:114], v35, v[0:1]
	v_sub_nc_u32_e32 v35, 29, v32
	v_and_b32_e32 v32, 7, v113
; %bb.1664:                             ;   in Loop: Header=BB323_991 Depth=1
	s_or_b32 exec_lo, exec_lo, s18
	v_lshlrev_b32_sdwa v0, v53, v0 dst_sel:DWORD dst_unused:UNUSED_PAD src0_sel:DWORD src1_sel:WORD_0
	v_lshl_add_u32 v35, v35, 10, 0x2000
	v_lshlrev_b32_e32 v32, 23, v32
	v_and_or_b32 v0, 0x8000, v0, v35
	v_lshl_or_b32 v32, v0, 16, v32
.LBB323_1665:                           ;   in Loop: Header=BB323_991 Depth=1
	s_or_b32 exec_lo, exec_lo, s15
.LBB323_1666:                           ;   in Loop: Header=BB323_991 Depth=1
	s_or_b32 exec_lo, exec_lo, s13
.LBB323_1667:                           ;   in Loop: Header=BB323_991 Depth=1
	s_or_b32 exec_lo, exec_lo, s12
	v_lshrrev_b32_e32 v0, 16, v11
	v_mov_b32_e32 v35, 0
	v_mov_b32_e32 v113, 0
	v_cmp_ne_u16_sdwa s4, v0, v1 src0_sel:BYTE_0 src1_sel:DWORD
	s_and_saveexec_b32 s12, s4
	s_cbranch_execz .LBB323_1675
; %bb.1668:                             ;   in Loop: Header=BB323_991 Depth=1
	v_cmp_ne_u16_sdwa s4, v0, v16 src0_sel:BYTE_0 src1_sel:DWORD
	v_mov_b32_e32 v113, 0x8000
	s_and_saveexec_b32 s13, s4
	s_cbranch_execz .LBB323_1674
; %bb.1669:                             ;   in Loop: Header=BB323_991 Depth=1
	v_bfe_u32 v115, v11, 16, 7
	v_mov_b32_e32 v113, 0x7c01
	s_mov_b32 s15, exec_lo
	v_cmpx_ne_u32_e32 0x7f, v115
	s_cbranch_execz .LBB323_1673
; %bb.1670:                             ;   in Loop: Header=BB323_991 Depth=1
	v_and_b32_e32 v113, 7, v0
	v_lshrrev_b32_e32 v114, 3, v115
	s_mov_b32 s18, exec_lo
	v_cmpx_gt_u32_e32 8, v115
; %bb.1671:                             ;   in Loop: Header=BB323_991 Depth=1
	v_ffbh_u32_e32 v113, v113
	v_min_u32_e32 v115, 32, v113
	v_subrev_nc_u32_e32 v113, 28, v115
	v_lshlrev_b64 v[113:114], v113, v[0:1]
	v_sub_nc_u32_e32 v114, 29, v115
	v_and_b32_e32 v113, 7, v113
; %bb.1672:                             ;   in Loop: Header=BB323_991 Depth=1
	s_or_b32 exec_lo, exec_lo, s18
	v_lshlrev_b32_e32 v0, 8, v0
	v_lshl_add_u32 v114, v114, 10, 0x2000
	v_lshlrev_b32_e32 v113, 7, v113
	v_and_b32_e32 v0, 0x8000, v0
	v_and_b32_e32 v114, 0xfc00, v114
	v_or3_b32 v113, v0, v114, v113
.LBB323_1673:                           ;   in Loop: Header=BB323_991 Depth=1
	s_or_b32 exec_lo, exec_lo, s15
.LBB323_1674:                           ;   in Loop: Header=BB323_991 Depth=1
	s_or_b32 exec_lo, exec_lo, s13
.LBB323_1675:                           ;   in Loop: Header=BB323_991 Depth=1
	s_or_b32 exec_lo, exec_lo, s12
	s_mov_b32 s12, exec_lo
	v_cmpx_lt_u32_e32 0xffffff, v11
	s_cbranch_execz .LBB323_1683
; %bb.1676:                             ;   in Loop: Header=BB323_991 Depth=1
	v_lshrrev_b32_e32 v0, 24, v11
	v_bfrev_b32_e32 v35, 1
	s_mov_b32 s13, exec_lo
	v_cmpx_ne_u32_e32 0x80, v0
	s_cbranch_execz .LBB323_1682
; %bb.1677:                             ;   in Loop: Header=BB323_991 Depth=1
	v_and_b32_e32 v115, 0x7f, v0
	v_mov_b32_e32 v35, 0x7c010000
	s_mov_b32 s15, exec_lo
	v_cmpx_ne_u32_e32 0x7f, v115
	s_cbranch_execz .LBB323_1681
; %bb.1678:                             ;   in Loop: Header=BB323_991 Depth=1
	v_and_b32_e32 v35, 7, v0
	v_lshrrev_b32_e32 v114, 3, v115
	s_mov_b32 s18, exec_lo
	v_cmpx_gt_u32_e32 8, v115
; %bb.1679:                             ;   in Loop: Header=BB323_991 Depth=1
	v_ffbh_u32_e32 v35, v35
	v_min_u32_e32 v35, 32, v35
	v_subrev_nc_u32_e32 v114, 28, v35
	v_lshlrev_b64 v[115:116], v114, v[0:1]
	v_sub_nc_u32_e32 v114, 29, v35
	v_and_b32_e32 v35, 7, v115
; %bb.1680:                             ;   in Loop: Header=BB323_991 Depth=1
	s_or_b32 exec_lo, exec_lo, s18
	v_lshlrev_b32_e32 v0, 8, v0
	v_lshl_add_u32 v114, v114, 10, 0x2000
	v_lshlrev_b32_e32 v35, 23, v35
	v_and_or_b32 v0, 0x8000, v0, v114
	v_lshl_or_b32 v35, v0, 16, v35
.LBB323_1681:                           ;   in Loop: Header=BB323_991 Depth=1
	s_or_b32 exec_lo, exec_lo, s15
.LBB323_1682:                           ;   in Loop: Header=BB323_991 Depth=1
	s_or_b32 exec_lo, exec_lo, s13
.LBB323_1683:                           ;   in Loop: Header=BB323_991 Depth=1
	s_or_b32 exec_lo, exec_lo, s12
	v_mov_b32_e32 v0, v12
	v_cmp_ne_u16_sdwa s4, v12, v1 src0_sel:BYTE_0 src1_sel:DWORD
	v_mov_b32_e32 v114, 0
	v_mov_b32_e32 v115, 0
	s_and_saveexec_b32 s12, s4
	s_cbranch_execz .LBB323_1691
; %bb.1684:                             ;   in Loop: Header=BB323_991 Depth=1
	v_cmp_ne_u16_sdwa s4, v12, v16 src0_sel:BYTE_0 src1_sel:DWORD
	v_mov_b32_e32 v115, 0x8000
	s_and_saveexec_b32 s13, s4
	s_cbranch_execz .LBB323_1690
; %bb.1685:                             ;   in Loop: Header=BB323_991 Depth=1
	v_and_b32_e32 v117, 0x7f, v12
	v_mov_b32_e32 v115, 0x7c01
	s_mov_b32 s15, exec_lo
	v_cmpx_ne_u32_e32 0x7f, v117
	s_cbranch_execz .LBB323_1689
; %bb.1686:                             ;   in Loop: Header=BB323_991 Depth=1
	v_and_b32_e32 v115, 7, v12
	v_lshrrev_b32_e32 v116, 3, v117
	s_mov_b32 s18, exec_lo
	v_cmpx_gt_u32_e32 8, v117
; %bb.1687:                             ;   in Loop: Header=BB323_991 Depth=1
	v_ffbh_u32_e32 v115, v115
	v_min_u32_e32 v117, 32, v115
	v_subrev_nc_u32_e32 v115, 28, v117
	v_lshlrev_b64 v[115:116], v115, v[0:1]
	v_sub_nc_u32_e32 v116, 29, v117
	v_and_b32_e32 v115, 7, v115
; %bb.1688:                             ;   in Loop: Header=BB323_991 Depth=1
	s_or_b32 exec_lo, exec_lo, s18
	v_lshlrev_b32_e32 v117, 8, v12
	v_lshl_add_u32 v116, v116, 10, 0x2000
	v_lshlrev_b32_e32 v115, 7, v115
	v_and_b32_e32 v117, 0x8000, v117
	v_and_b32_e32 v116, 0xfc00, v116
	v_or3_b32 v115, v117, v116, v115
.LBB323_1689:                           ;   in Loop: Header=BB323_991 Depth=1
	s_or_b32 exec_lo, exec_lo, s15
.LBB323_1690:                           ;   in Loop: Header=BB323_991 Depth=1
	s_or_b32 exec_lo, exec_lo, s13
.LBB323_1691:                           ;   in Loop: Header=BB323_991 Depth=1
	s_or_b32 exec_lo, exec_lo, s12
	v_lshrrev_b16 v0, 8, v0
	v_mov_b32_e32 v116, 0
	s_mov_b32 s12, exec_lo
	v_cmpx_ne_u16_e32 0, v0
	s_cbranch_execz .LBB323_1699
; %bb.1692:                             ;   in Loop: Header=BB323_991 Depth=1
	v_bfrev_b32_e32 v116, 1
	s_mov_b32 s13, exec_lo
	v_cmpx_ne_u16_e32 0x80, v0
	s_cbranch_execz .LBB323_1698
; %bb.1693:                             ;   in Loop: Header=BB323_991 Depth=1
	v_and_b32_sdwa v118, v0, v17 dst_sel:DWORD dst_unused:UNUSED_PAD src0_sel:WORD_0 src1_sel:DWORD
	v_mov_b32_e32 v116, 0x7c010000
	s_mov_b32 s15, exec_lo
	v_cmpx_ne_u32_e32 0x7f, v118
	s_cbranch_execz .LBB323_1697
; %bb.1694:                             ;   in Loop: Header=BB323_991 Depth=1
	v_and_b32_sdwa v116, v0, v37 dst_sel:DWORD dst_unused:UNUSED_PAD src0_sel:WORD_0 src1_sel:DWORD
	v_lshrrev_b32_e32 v117, 3, v118
	s_mov_b32 s18, exec_lo
	v_cmpx_gt_u32_e32 8, v118
; %bb.1695:                             ;   in Loop: Header=BB323_991 Depth=1
	v_ffbh_u32_e32 v116, v116
	v_min_u32_e32 v118, 32, v116
	v_subrev_nc_u32_e32 v116, 28, v118
	v_lshlrev_b64 v[116:117], v116, v[0:1]
	v_sub_nc_u32_e32 v117, 29, v118
	v_and_b32_e32 v116, 7, v116
; %bb.1696:                             ;   in Loop: Header=BB323_991 Depth=1
	s_or_b32 exec_lo, exec_lo, s18
	v_lshlrev_b32_sdwa v0, v53, v0 dst_sel:DWORD dst_unused:UNUSED_PAD src0_sel:DWORD src1_sel:WORD_0
	v_lshl_add_u32 v117, v117, 10, 0x2000
	v_lshlrev_b32_e32 v116, 23, v116
	v_and_or_b32 v0, 0x8000, v0, v117
	v_lshl_or_b32 v116, v0, 16, v116
.LBB323_1697:                           ;   in Loop: Header=BB323_991 Depth=1
	s_or_b32 exec_lo, exec_lo, s15
.LBB323_1698:                           ;   in Loop: Header=BB323_991 Depth=1
	s_or_b32 exec_lo, exec_lo, s13
.LBB323_1699:                           ;   in Loop: Header=BB323_991 Depth=1
	s_or_b32 exec_lo, exec_lo, s12
	v_lshrrev_b32_e32 v0, 16, v12
	v_cmp_ne_u16_sdwa s4, v0, v1 src0_sel:BYTE_0 src1_sel:DWORD
	s_and_saveexec_b32 s12, s4
	s_cbranch_execz .LBB323_1707
; %bb.1700:                             ;   in Loop: Header=BB323_991 Depth=1
	v_cmp_ne_u16_sdwa s4, v0, v16 src0_sel:BYTE_0 src1_sel:DWORD
	v_mov_b32_e32 v114, 0x8000
	s_and_saveexec_b32 s13, s4
	s_cbranch_execz .LBB323_1706
; %bb.1701:                             ;   in Loop: Header=BB323_991 Depth=1
	v_bfe_u32 v118, v12, 16, 7
	v_mov_b32_e32 v114, 0x7c01
	s_mov_b32 s15, exec_lo
	v_cmpx_ne_u32_e32 0x7f, v118
	s_cbranch_execz .LBB323_1705
; %bb.1702:                             ;   in Loop: Header=BB323_991 Depth=1
	v_and_b32_e32 v114, 7, v0
	v_lshrrev_b32_e32 v117, 3, v118
	s_mov_b32 s18, exec_lo
	v_cmpx_gt_u32_e32 8, v118
; %bb.1703:                             ;   in Loop: Header=BB323_991 Depth=1
	v_ffbh_u32_e32 v114, v114
	v_min_u32_e32 v114, 32, v114
	v_subrev_nc_u32_e32 v117, 28, v114
	v_lshlrev_b64 v[118:119], v117, v[0:1]
	v_sub_nc_u32_e32 v117, 29, v114
	v_and_b32_e32 v114, 7, v118
; %bb.1704:                             ;   in Loop: Header=BB323_991 Depth=1
	s_or_b32 exec_lo, exec_lo, s18
	v_lshlrev_b32_e32 v0, 8, v0
	v_lshl_add_u32 v117, v117, 10, 0x2000
	v_lshlrev_b32_e32 v114, 7, v114
	v_and_b32_e32 v0, 0x8000, v0
	v_and_b32_e32 v117, 0xfc00, v117
	v_or3_b32 v114, v0, v117, v114
.LBB323_1705:                           ;   in Loop: Header=BB323_991 Depth=1
	s_or_b32 exec_lo, exec_lo, s15
.LBB323_1706:                           ;   in Loop: Header=BB323_991 Depth=1
	s_or_b32 exec_lo, exec_lo, s13
.LBB323_1707:                           ;   in Loop: Header=BB323_991 Depth=1
	s_or_b32 exec_lo, exec_lo, s12
	v_cmp_lt_u64_e64 s4, s[8:9], v[11:12]
	v_mov_b32_e32 v11, 0
	s_and_saveexec_b32 s12, s4
	s_cbranch_execz .LBB323_1715
; %bb.1708:                             ;   in Loop: Header=BB323_991 Depth=1
	v_lshrrev_b32_e32 v0, 24, v12
	v_bfrev_b32_e32 v11, 1
	s_mov_b32 s13, exec_lo
	v_cmpx_ne_u32_e32 0x80, v0
	s_cbranch_execz .LBB323_1714
; %bb.1709:                             ;   in Loop: Header=BB323_991 Depth=1
	v_and_b32_e32 v117, 0x7f, v0
	v_mov_b32_e32 v11, 0x7c010000
	s_mov_b32 s15, exec_lo
	v_cmpx_ne_u32_e32 0x7f, v117
	s_cbranch_execz .LBB323_1713
; %bb.1710:                             ;   in Loop: Header=BB323_991 Depth=1
	v_and_b32_e32 v11, 7, v0
	v_lshrrev_b32_e32 v12, 3, v117
	s_mov_b32 s18, exec_lo
	v_cmpx_gt_u32_e32 8, v117
; %bb.1711:                             ;   in Loop: Header=BB323_991 Depth=1
	v_ffbh_u32_e32 v11, v11
	v_min_u32_e32 v117, 32, v11
	v_subrev_nc_u32_e32 v11, 28, v117
	v_lshlrev_b64 v[11:12], v11, v[0:1]
	v_sub_nc_u32_e32 v12, 29, v117
	v_and_b32_e32 v11, 7, v11
; %bb.1712:                             ;   in Loop: Header=BB323_991 Depth=1
	s_or_b32 exec_lo, exec_lo, s18
	v_lshlrev_b32_e32 v0, 8, v0
	v_lshl_add_u32 v12, v12, 10, 0x2000
	v_lshlrev_b32_e32 v11, 23, v11
	v_and_or_b32 v0, 0x8000, v0, v12
	v_lshl_or_b32 v11, v0, 16, v11
.LBB323_1713:                           ;   in Loop: Header=BB323_991 Depth=1
	s_or_b32 exec_lo, exec_lo, s15
.LBB323_1714:                           ;   in Loop: Header=BB323_991 Depth=1
	s_or_b32 exec_lo, exec_lo, s13
.LBB323_1715:                           ;   in Loop: Header=BB323_991 Depth=1
	s_or_b32 exec_lo, exec_lo, s12
	v_or_b32_e32 v0, v35, v113
	s_waitcnt vmcnt(0) lgkmcnt(0)
	v_fma_mixlo_f16 v12, v23, v35, 0 op_sel:[0,1,0] op_sel_hi:[0,1,0]
	v_or_b32_e32 v35, v32, v34
	v_fma_mixlo_f16 v32, v23, v32, 0 op_sel:[0,1,0] op_sel_hi:[0,1,0]
	v_or_b32_e32 v113, v116, v115
	v_or_b32_e32 v114, v11, v114
	v_fma_mixlo_f16 v115, v23, v0, 0 op_sel_hi:[0,1,0]
	v_fma_mixlo_f16 v11, v23, v11, 0 op_sel:[0,1,0] op_sel_hi:[0,1,0]
	v_lshlrev_b32_e32 v34, 16, v32
	v_fma_mixlo_f16 v32, v23, v35, 0 op_sel_hi:[0,1,0]
	v_fma_mixlo_f16 v35, v23, v116, 0 op_sel:[0,1,0] op_sel_hi:[0,1,0]
	v_fma_mixlo_f16 v113, v23, v113, 0 op_sel_hi:[0,1,0]
	v_fma_mixlo_f16 v114, v23, v114, 0 op_sel_hi:[0,1,0]
	v_lshlrev_b32_e32 v0, 16, v12
	v_and_b32_e32 v12, 0xffff, v115
	v_and_b32_e32 v117, 0xffff, v32
	v_lshlrev_b32_e32 v23, 16, v35
	v_and_b32_e32 v113, 0xffff, v113
	v_lshlrev_b32_e32 v11, 16, v11
	v_and_b32_e32 v32, 0xffff, v114
	v_or_b32_e32 v35, v0, v12
	v_or_b32_e32 v116, v34, v117
	;; [unrolled: 1-line block ×4, first 2 shown]
	s_and_saveexec_b32 s12, vcc_lo
	s_cbranch_execz .LBB323_1717
; %bb.1716:                             ;   in Loop: Header=BB323_991 Depth=1
	v_cmp_lt_i32_e64 s4, v54, v33
	v_cndmask_b32_e64 v35, 0, v117, s4
	v_cmp_lt_i32_e64 s4, v82, v33
	v_cndmask_b32_e64 v34, 0, v34, s4
	v_cmp_lt_i32_e64 s4, v81, v33
	v_or_b32_e32 v116, v35, v34
	v_cndmask_b32_e64 v12, 0, v12, s4
	v_cmp_lt_i32_e64 s4, v80, v33
	v_cndmask_b32_e64 v0, 0, v0, s4
	v_cmp_lt_i32_e64 s4, v71, v33
	v_or_b32_e32 v35, v12, v0
	;; [unrolled: 5-line block ×3, first 2 shown]
	v_cndmask_b32_e64 v32, 0, v32, s4
	v_cmp_lt_i32_e64 s4, v14, v33
	v_cndmask_b32_e64 v11, 0, v11, s4
	v_or_b32_e32 v114, v32, v11
.LBB323_1717:                           ;   in Loop: Header=BB323_991 Depth=1
	s_or_b32 exec_lo, exec_lo, s12
	;;#ASMSTART
	v_pk_mul_f16 v0, v67, v116;

	;;#ASMEND
	;;#ASMSTART
	v_pk_mul_f16 v11, v65, v35;

	;;#ASMEND
	;; [unrolled: 4-line block ×4, first 2 shown]
	;;#ASMSTART
	v_pk_add_f16 v0, v0, v11;

	;;#ASMEND
	;;#ASMSTART
	v_pk_add_f16 v0, v0, v12;

	;;#ASMEND
	;; [unrolled: 4-line block ×3, first 2 shown]
	v_and_b32_e32 v11, 0xffff, v0
	v_lshrrev_b32_e32 v0, 16, v0
	;;#ASMSTART
	v_cvt_f32_f16 v23, v11;
	;;#ASMEND
	;;#ASMSTART
	v_cvt_f32_f16 v32, v0;
	;;#ASMEND
	flat_load_dwordx2 v[11:12], v[9:10] offset:768
	flat_load_dword v34, v[26:27]
	v_mov_b32_e32 v35, 0
	v_mov_b32_e32 v113, 0
	s_waitcnt vmcnt(1) lgkmcnt(1)
	v_cmp_ne_u16_sdwa s4, v11, v1 src0_sel:BYTE_0 src1_sel:DWORD
	s_and_saveexec_b32 s12, s4
	s_cbranch_execz .LBB323_1725
; %bb.1718:                             ;   in Loop: Header=BB323_991 Depth=1
	v_cmp_ne_u16_sdwa s4, v11, v16 src0_sel:BYTE_0 src1_sel:DWORD
	v_mov_b32_e32 v113, 0x8000
	s_and_saveexec_b32 s13, s4
	s_cbranch_execz .LBB323_1724
; %bb.1719:                             ;   in Loop: Header=BB323_991 Depth=1
	v_and_b32_e32 v114, 0x7f, v11
	v_mov_b32_e32 v113, 0x7c01
	s_mov_b32 s15, exec_lo
	v_cmpx_ne_u32_e32 0x7f, v114
	s_cbranch_execz .LBB323_1723
; %bb.1720:                             ;   in Loop: Header=BB323_991 Depth=1
	v_and_b32_e32 v0, 7, v11
	v_lshrrev_b32_e32 v113, 3, v114
	s_mov_b32 s18, exec_lo
	v_cmpx_gt_u32_e32 8, v114
; %bb.1721:                             ;   in Loop: Header=BB323_991 Depth=1
	v_ffbh_u32_e32 v0, v0
	v_min_u32_e32 v0, 32, v0
	v_subrev_nc_u32_e32 v113, 28, v0
	v_lshlrev_b64 v[114:115], v113, v[11:12]
	v_sub_nc_u32_e32 v113, 29, v0
	v_and_b32_e32 v0, 7, v114
; %bb.1722:                             ;   in Loop: Header=BB323_991 Depth=1
	s_or_b32 exec_lo, exec_lo, s18
	v_lshlrev_b32_e32 v114, 8, v11
	v_lshl_add_u32 v113, v113, 10, 0x2000
	v_lshlrev_b32_e32 v0, 7, v0
	v_and_b32_e32 v114, 0x8000, v114
	v_and_b32_e32 v113, 0xfc00, v113
	v_or3_b32 v113, v114, v113, v0
.LBB323_1723:                           ;   in Loop: Header=BB323_991 Depth=1
	s_or_b32 exec_lo, exec_lo, s15
.LBB323_1724:                           ;   in Loop: Header=BB323_991 Depth=1
	s_or_b32 exec_lo, exec_lo, s13
.LBB323_1725:                           ;   in Loop: Header=BB323_991 Depth=1
	s_or_b32 exec_lo, exec_lo, s12
	v_lshrrev_b16 v0, 8, v11
	s_mov_b32 s12, exec_lo
	v_cmpx_ne_u16_e32 0, v0
	s_cbranch_execz .LBB323_1733
; %bb.1726:                             ;   in Loop: Header=BB323_991 Depth=1
	v_bfrev_b32_e32 v35, 1
	s_mov_b32 s13, exec_lo
	v_cmpx_ne_u16_e32 0x80, v0
	s_cbranch_execz .LBB323_1732
; %bb.1727:                             ;   in Loop: Header=BB323_991 Depth=1
	v_and_b32_sdwa v115, v0, v17 dst_sel:DWORD dst_unused:UNUSED_PAD src0_sel:WORD_0 src1_sel:DWORD
	v_mov_b32_e32 v35, 0x7c010000
	s_mov_b32 s15, exec_lo
	v_cmpx_ne_u32_e32 0x7f, v115
	s_cbranch_execz .LBB323_1731
; %bb.1728:                             ;   in Loop: Header=BB323_991 Depth=1
	v_and_b32_sdwa v35, v0, v37 dst_sel:DWORD dst_unused:UNUSED_PAD src0_sel:WORD_0 src1_sel:DWORD
	v_lshrrev_b32_e32 v114, 3, v115
	s_mov_b32 s18, exec_lo
	v_cmpx_gt_u32_e32 8, v115
; %bb.1729:                             ;   in Loop: Header=BB323_991 Depth=1
	v_ffbh_u32_e32 v35, v35
	v_min_u32_e32 v35, 32, v35
	v_subrev_nc_u32_e32 v114, 28, v35
	v_lshlrev_b64 v[115:116], v114, v[0:1]
	v_sub_nc_u32_e32 v114, 29, v35
	v_and_b32_e32 v35, 7, v115
; %bb.1730:                             ;   in Loop: Header=BB323_991 Depth=1
	s_or_b32 exec_lo, exec_lo, s18
	v_lshlrev_b32_sdwa v0, v53, v0 dst_sel:DWORD dst_unused:UNUSED_PAD src0_sel:DWORD src1_sel:WORD_0
	v_lshl_add_u32 v114, v114, 10, 0x2000
	v_lshlrev_b32_e32 v35, 23, v35
	v_and_or_b32 v0, 0x8000, v0, v114
	v_lshl_or_b32 v35, v0, 16, v35
.LBB323_1731:                           ;   in Loop: Header=BB323_991 Depth=1
	s_or_b32 exec_lo, exec_lo, s15
.LBB323_1732:                           ;   in Loop: Header=BB323_991 Depth=1
	s_or_b32 exec_lo, exec_lo, s13
.LBB323_1733:                           ;   in Loop: Header=BB323_991 Depth=1
	s_or_b32 exec_lo, exec_lo, s12
	v_lshrrev_b32_e32 v0, 16, v11
	v_mov_b32_e32 v114, 0
	v_mov_b32_e32 v115, 0
	v_cmp_ne_u16_sdwa s4, v0, v1 src0_sel:BYTE_0 src1_sel:DWORD
	s_and_saveexec_b32 s12, s4
	s_cbranch_execz .LBB323_1741
; %bb.1734:                             ;   in Loop: Header=BB323_991 Depth=1
	v_cmp_ne_u16_sdwa s4, v0, v16 src0_sel:BYTE_0 src1_sel:DWORD
	v_mov_b32_e32 v115, 0x8000
	s_and_saveexec_b32 s13, s4
	s_cbranch_execz .LBB323_1740
; %bb.1735:                             ;   in Loop: Header=BB323_991 Depth=1
	v_bfe_u32 v117, v11, 16, 7
	v_mov_b32_e32 v115, 0x7c01
	s_mov_b32 s15, exec_lo
	v_cmpx_ne_u32_e32 0x7f, v117
	s_cbranch_execz .LBB323_1739
; %bb.1736:                             ;   in Loop: Header=BB323_991 Depth=1
	v_and_b32_e32 v115, 7, v0
	v_lshrrev_b32_e32 v116, 3, v117
	s_mov_b32 s18, exec_lo
	v_cmpx_gt_u32_e32 8, v117
; %bb.1737:                             ;   in Loop: Header=BB323_991 Depth=1
	v_ffbh_u32_e32 v115, v115
	v_min_u32_e32 v117, 32, v115
	v_subrev_nc_u32_e32 v115, 28, v117
	v_lshlrev_b64 v[115:116], v115, v[0:1]
	v_sub_nc_u32_e32 v116, 29, v117
	v_and_b32_e32 v115, 7, v115
; %bb.1738:                             ;   in Loop: Header=BB323_991 Depth=1
	s_or_b32 exec_lo, exec_lo, s18
	v_lshlrev_b32_e32 v0, 8, v0
	v_lshl_add_u32 v116, v116, 10, 0x2000
	v_lshlrev_b32_e32 v115, 7, v115
	v_and_b32_e32 v0, 0x8000, v0
	v_and_b32_e32 v116, 0xfc00, v116
	v_or3_b32 v115, v0, v116, v115
.LBB323_1739:                           ;   in Loop: Header=BB323_991 Depth=1
	s_or_b32 exec_lo, exec_lo, s15
.LBB323_1740:                           ;   in Loop: Header=BB323_991 Depth=1
	s_or_b32 exec_lo, exec_lo, s13
.LBB323_1741:                           ;   in Loop: Header=BB323_991 Depth=1
	s_or_b32 exec_lo, exec_lo, s12
	s_mov_b32 s12, exec_lo
	v_cmpx_lt_u32_e32 0xffffff, v11
	s_cbranch_execz .LBB323_1749
; %bb.1742:                             ;   in Loop: Header=BB323_991 Depth=1
	v_lshrrev_b32_e32 v0, 24, v11
	v_bfrev_b32_e32 v114, 1
	s_mov_b32 s13, exec_lo
	v_cmpx_ne_u32_e32 0x80, v0
	s_cbranch_execz .LBB323_1748
; %bb.1743:                             ;   in Loop: Header=BB323_991 Depth=1
	v_and_b32_e32 v117, 0x7f, v0
	v_mov_b32_e32 v114, 0x7c010000
	s_mov_b32 s15, exec_lo
	v_cmpx_ne_u32_e32 0x7f, v117
	s_cbranch_execz .LBB323_1747
; %bb.1744:                             ;   in Loop: Header=BB323_991 Depth=1
	v_and_b32_e32 v114, 7, v0
	v_lshrrev_b32_e32 v116, 3, v117
	s_mov_b32 s18, exec_lo
	v_cmpx_gt_u32_e32 8, v117
; %bb.1745:                             ;   in Loop: Header=BB323_991 Depth=1
	v_ffbh_u32_e32 v114, v114
	v_min_u32_e32 v114, 32, v114
	v_subrev_nc_u32_e32 v116, 28, v114
	v_lshlrev_b64 v[117:118], v116, v[0:1]
	v_sub_nc_u32_e32 v116, 29, v114
	v_and_b32_e32 v114, 7, v117
; %bb.1746:                             ;   in Loop: Header=BB323_991 Depth=1
	s_or_b32 exec_lo, exec_lo, s18
	v_lshlrev_b32_e32 v0, 8, v0
	v_lshl_add_u32 v116, v116, 10, 0x2000
	v_lshlrev_b32_e32 v114, 23, v114
	v_and_or_b32 v0, 0x8000, v0, v116
	v_lshl_or_b32 v114, v0, 16, v114
.LBB323_1747:                           ;   in Loop: Header=BB323_991 Depth=1
	s_or_b32 exec_lo, exec_lo, s15
.LBB323_1748:                           ;   in Loop: Header=BB323_991 Depth=1
	s_or_b32 exec_lo, exec_lo, s13
.LBB323_1749:                           ;   in Loop: Header=BB323_991 Depth=1
	s_or_b32 exec_lo, exec_lo, s12
	v_mov_b32_e32 v0, v12
	v_cmp_ne_u16_sdwa s4, v12, v1 src0_sel:BYTE_0 src1_sel:DWORD
	v_mov_b32_e32 v116, 0
	v_mov_b32_e32 v117, 0
	s_and_saveexec_b32 s12, s4
	s_cbranch_execz .LBB323_1757
; %bb.1750:                             ;   in Loop: Header=BB323_991 Depth=1
	v_cmp_ne_u16_sdwa s4, v12, v16 src0_sel:BYTE_0 src1_sel:DWORD
	v_mov_b32_e32 v117, 0x8000
	s_and_saveexec_b32 s13, s4
	s_cbranch_execz .LBB323_1756
; %bb.1751:                             ;   in Loop: Header=BB323_991 Depth=1
	v_and_b32_e32 v119, 0x7f, v12
	v_mov_b32_e32 v117, 0x7c01
	s_mov_b32 s15, exec_lo
	v_cmpx_ne_u32_e32 0x7f, v119
	s_cbranch_execz .LBB323_1755
; %bb.1752:                             ;   in Loop: Header=BB323_991 Depth=1
	v_and_b32_e32 v117, 7, v12
	v_lshrrev_b32_e32 v118, 3, v119
	s_mov_b32 s18, exec_lo
	v_cmpx_gt_u32_e32 8, v119
; %bb.1753:                             ;   in Loop: Header=BB323_991 Depth=1
	v_ffbh_u32_e32 v117, v117
	v_min_u32_e32 v119, 32, v117
	v_subrev_nc_u32_e32 v117, 28, v119
	v_lshlrev_b64 v[117:118], v117, v[0:1]
	v_sub_nc_u32_e32 v118, 29, v119
	v_and_b32_e32 v117, 7, v117
; %bb.1754:                             ;   in Loop: Header=BB323_991 Depth=1
	s_or_b32 exec_lo, exec_lo, s18
	v_lshlrev_b32_e32 v119, 8, v12
	v_lshl_add_u32 v118, v118, 10, 0x2000
	v_lshlrev_b32_e32 v117, 7, v117
	v_and_b32_e32 v119, 0x8000, v119
	v_and_b32_e32 v118, 0xfc00, v118
	v_or3_b32 v117, v119, v118, v117
.LBB323_1755:                           ;   in Loop: Header=BB323_991 Depth=1
	s_or_b32 exec_lo, exec_lo, s15
.LBB323_1756:                           ;   in Loop: Header=BB323_991 Depth=1
	s_or_b32 exec_lo, exec_lo, s13
.LBB323_1757:                           ;   in Loop: Header=BB323_991 Depth=1
	s_or_b32 exec_lo, exec_lo, s12
	v_lshrrev_b16 v0, 8, v0
	v_mov_b32_e32 v118, 0
	s_mov_b32 s12, exec_lo
	v_cmpx_ne_u16_e32 0, v0
	s_cbranch_execz .LBB323_1765
; %bb.1758:                             ;   in Loop: Header=BB323_991 Depth=1
	v_bfrev_b32_e32 v118, 1
	s_mov_b32 s13, exec_lo
	v_cmpx_ne_u16_e32 0x80, v0
	s_cbranch_execz .LBB323_1764
; %bb.1759:                             ;   in Loop: Header=BB323_991 Depth=1
	v_and_b32_sdwa v40, v0, v17 dst_sel:DWORD dst_unused:UNUSED_PAD src0_sel:WORD_0 src1_sel:DWORD
	v_mov_b32_e32 v118, 0x7c010000
	s_mov_b32 s15, exec_lo
	v_cmpx_ne_u32_e32 0x7f, v40
	s_cbranch_execz .LBB323_1763
; %bb.1760:                             ;   in Loop: Header=BB323_991 Depth=1
	v_and_b32_sdwa v118, v0, v37 dst_sel:DWORD dst_unused:UNUSED_PAD src0_sel:WORD_0 src1_sel:DWORD
	v_lshrrev_b32_e32 v119, 3, v40
	s_mov_b32 s18, exec_lo
	v_cmpx_gt_u32_e32 8, v40
; %bb.1761:                             ;   in Loop: Header=BB323_991 Depth=1
	v_ffbh_u32_e32 v118, v118
	v_min_u32_e32 v40, 32, v118
	v_subrev_nc_u32_e32 v118, 28, v40
	v_lshlrev_b64 v[118:119], v118, v[0:1]
	v_sub_nc_u32_e32 v119, 29, v40
	v_and_b32_e32 v118, 7, v118
; %bb.1762:                             ;   in Loop: Header=BB323_991 Depth=1
	s_or_b32 exec_lo, exec_lo, s18
	v_lshlrev_b32_sdwa v0, v53, v0 dst_sel:DWORD dst_unused:UNUSED_PAD src0_sel:DWORD src1_sel:WORD_0
	v_lshl_add_u32 v119, v119, 10, 0x2000
	v_lshlrev_b32_e32 v118, 23, v118
	v_and_or_b32 v0, 0x8000, v0, v119
	v_lshl_or_b32 v118, v0, 16, v118
.LBB323_1763:                           ;   in Loop: Header=BB323_991 Depth=1
	s_or_b32 exec_lo, exec_lo, s15
.LBB323_1764:                           ;   in Loop: Header=BB323_991 Depth=1
	s_or_b32 exec_lo, exec_lo, s13
.LBB323_1765:                           ;   in Loop: Header=BB323_991 Depth=1
	s_or_b32 exec_lo, exec_lo, s12
	v_lshrrev_b32_e32 v0, 16, v12
	v_cmp_ne_u16_sdwa s4, v0, v1 src0_sel:BYTE_0 src1_sel:DWORD
	s_and_saveexec_b32 s12, s4
	s_cbranch_execz .LBB323_1773
; %bb.1766:                             ;   in Loop: Header=BB323_991 Depth=1
	v_cmp_ne_u16_sdwa s4, v0, v16 src0_sel:BYTE_0 src1_sel:DWORD
	v_mov_b32_e32 v116, 0x8000
	s_and_saveexec_b32 s13, s4
	s_cbranch_execz .LBB323_1772
; %bb.1767:                             ;   in Loop: Header=BB323_991 Depth=1
	v_bfe_u32 v40, v12, 16, 7
	v_mov_b32_e32 v116, 0x7c01
	s_mov_b32 s15, exec_lo
	v_cmpx_ne_u32_e32 0x7f, v40
	s_cbranch_execz .LBB323_1771
; %bb.1768:                             ;   in Loop: Header=BB323_991 Depth=1
	v_and_b32_e32 v116, 7, v0
	v_lshrrev_b32_e32 v119, 3, v40
	s_mov_b32 s18, exec_lo
	v_cmpx_gt_u32_e32 8, v40
; %bb.1769:                             ;   in Loop: Header=BB323_991 Depth=1
	v_ffbh_u32_e32 v116, v116
	v_min_u32_e32 v116, 32, v116
	v_subrev_nc_u32_e32 v119, 28, v116
	v_lshlrev_b64 v[40:41], v119, v[0:1]
	v_sub_nc_u32_e32 v119, 29, v116
	v_and_b32_e32 v116, 7, v40
; %bb.1770:                             ;   in Loop: Header=BB323_991 Depth=1
	s_or_b32 exec_lo, exec_lo, s18
	v_lshlrev_b32_e32 v0, 8, v0
	v_lshl_add_u32 v119, v119, 10, 0x2000
	v_lshlrev_b32_e32 v116, 7, v116
	v_and_b32_e32 v0, 0x8000, v0
	v_and_b32_e32 v119, 0xfc00, v119
	v_or3_b32 v116, v0, v119, v116
.LBB323_1771:                           ;   in Loop: Header=BB323_991 Depth=1
	s_or_b32 exec_lo, exec_lo, s15
.LBB323_1772:                           ;   in Loop: Header=BB323_991 Depth=1
	s_or_b32 exec_lo, exec_lo, s13
.LBB323_1773:                           ;   in Loop: Header=BB323_991 Depth=1
	s_or_b32 exec_lo, exec_lo, s12
	v_cmp_lt_u64_e64 s4, s[8:9], v[11:12]
	v_mov_b32_e32 v11, 0
	s_and_saveexec_b32 s12, s4
	s_cbranch_execz .LBB323_1781
; %bb.1774:                             ;   in Loop: Header=BB323_991 Depth=1
	v_lshrrev_b32_e32 v0, 24, v12
	v_bfrev_b32_e32 v11, 1
	s_mov_b32 s13, exec_lo
	v_cmpx_ne_u32_e32 0x80, v0
	s_cbranch_execz .LBB323_1780
; %bb.1775:                             ;   in Loop: Header=BB323_991 Depth=1
	v_and_b32_e32 v119, 0x7f, v0
	v_mov_b32_e32 v11, 0x7c010000
	s_mov_b32 s15, exec_lo
	v_cmpx_ne_u32_e32 0x7f, v119
	s_cbranch_execz .LBB323_1779
; %bb.1776:                             ;   in Loop: Header=BB323_991 Depth=1
	v_and_b32_e32 v11, 7, v0
	v_lshrrev_b32_e32 v12, 3, v119
	s_mov_b32 s18, exec_lo
	v_cmpx_gt_u32_e32 8, v119
; %bb.1777:                             ;   in Loop: Header=BB323_991 Depth=1
	v_ffbh_u32_e32 v11, v11
	v_min_u32_e32 v119, 32, v11
	v_subrev_nc_u32_e32 v11, 28, v119
	v_lshlrev_b64 v[11:12], v11, v[0:1]
	v_sub_nc_u32_e32 v12, 29, v119
	v_and_b32_e32 v11, 7, v11
; %bb.1778:                             ;   in Loop: Header=BB323_991 Depth=1
	s_or_b32 exec_lo, exec_lo, s18
	v_lshlrev_b32_e32 v0, 8, v0
	v_lshl_add_u32 v12, v12, 10, 0x2000
	v_lshlrev_b32_e32 v11, 23, v11
	v_and_or_b32 v0, 0x8000, v0, v12
	v_lshl_or_b32 v11, v0, 16, v11
.LBB323_1779:                           ;   in Loop: Header=BB323_991 Depth=1
	s_or_b32 exec_lo, exec_lo, s15
.LBB323_1780:                           ;   in Loop: Header=BB323_991 Depth=1
	s_or_b32 exec_lo, exec_lo, s13
.LBB323_1781:                           ;   in Loop: Header=BB323_991 Depth=1
	s_or_b32 exec_lo, exec_lo, s12
	v_or_b32_e32 v0, v114, v115
	s_waitcnt vmcnt(0) lgkmcnt(0)
	v_fma_mixlo_f16 v12, v34, v114, 0 op_sel:[0,1,0] op_sel_hi:[0,1,0]
	v_or_b32_e32 v114, v35, v113
	v_fma_mixlo_f16 v35, v34, v35, 0 op_sel:[0,1,0] op_sel_hi:[0,1,0]
	v_or_b32_e32 v115, v118, v117
	v_or_b32_e32 v116, v11, v116
	v_fma_mixlo_f16 v117, v34, v0, 0 op_sel_hi:[0,1,0]
	v_fma_mixlo_f16 v11, v34, v11, 0 op_sel:[0,1,0] op_sel_hi:[0,1,0]
	v_lshlrev_b32_e32 v113, 16, v35
	v_fma_mixlo_f16 v35, v34, v114, 0 op_sel_hi:[0,1,0]
	v_fma_mixlo_f16 v114, v34, v118, 0 op_sel:[0,1,0] op_sel_hi:[0,1,0]
	v_fma_mixlo_f16 v115, v34, v115, 0 op_sel_hi:[0,1,0]
	v_fma_mixlo_f16 v116, v34, v116, 0 op_sel_hi:[0,1,0]
	v_lshlrev_b32_e32 v0, 16, v12
	v_and_b32_e32 v12, 0xffff, v117
	v_and_b32_e32 v119, 0xffff, v35
	v_lshlrev_b32_e32 v34, 16, v114
	v_and_b32_e32 v115, 0xffff, v115
	v_lshlrev_b32_e32 v11, 16, v11
	v_and_b32_e32 v35, 0xffff, v116
	v_or_b32_e32 v114, v0, v12
	v_or_b32_e32 v118, v113, v119
	;; [unrolled: 1-line block ×4, first 2 shown]
	s_and_saveexec_b32 s12, vcc_lo
	s_cbranch_execz .LBB323_1783
; %bb.1782:                             ;   in Loop: Header=BB323_991 Depth=1
	v_cmp_lt_i32_e64 s4, v54, v33
	v_cndmask_b32_e64 v114, 0, v119, s4
	v_cmp_lt_i32_e64 s4, v82, v33
	v_cndmask_b32_e64 v113, 0, v113, s4
	v_cmp_lt_i32_e64 s4, v81, v33
	v_or_b32_e32 v118, v114, v113
	v_cndmask_b32_e64 v12, 0, v12, s4
	v_cmp_lt_i32_e64 s4, v80, v33
	v_cndmask_b32_e64 v0, 0, v0, s4
	v_cmp_lt_i32_e64 s4, v71, v33
	v_or_b32_e32 v114, v12, v0
	;; [unrolled: 5-line block ×3, first 2 shown]
	v_cndmask_b32_e64 v35, 0, v35, s4
	v_cmp_lt_i32_e64 s4, v14, v33
	v_cndmask_b32_e64 v11, 0, v11, s4
	v_or_b32_e32 v116, v35, v11
.LBB323_1783:                           ;   in Loop: Header=BB323_991 Depth=1
	s_or_b32 exec_lo, exec_lo, s12
	;;#ASMSTART
	v_pk_mul_f16 v0, v67, v118;

	;;#ASMEND
	;;#ASMSTART
	v_pk_mul_f16 v11, v65, v114;

	;;#ASMEND
	;; [unrolled: 4-line block ×4, first 2 shown]
	;;#ASMSTART
	v_pk_add_f16 v0, v0, v11;

	;;#ASMEND
	;;#ASMSTART
	v_pk_add_f16 v0, v0, v12;

	;;#ASMEND
	;; [unrolled: 4-line block ×3, first 2 shown]
	v_and_b32_e32 v11, 0xffff, v0
	v_lshrrev_b32_e32 v0, 16, v0
	;;#ASMSTART
	v_cvt_f32_f16 v34, v11;
	;;#ASMEND
	;;#ASMSTART
	v_cvt_f32_f16 v35, v0;
	;;#ASMEND
	flat_load_dwordx2 v[11:12], v[9:10] offset:1024
	flat_load_dword v113, v[26:27]
	v_mov_b32_e32 v114, 0
	v_mov_b32_e32 v115, 0
	s_waitcnt vmcnt(1) lgkmcnt(1)
	v_cmp_ne_u16_sdwa s4, v11, v1 src0_sel:BYTE_0 src1_sel:DWORD
	s_and_saveexec_b32 s12, s4
	s_cbranch_execz .LBB323_1791
; %bb.1784:                             ;   in Loop: Header=BB323_991 Depth=1
	v_cmp_ne_u16_sdwa s4, v11, v16 src0_sel:BYTE_0 src1_sel:DWORD
	v_mov_b32_e32 v115, 0x8000
	s_and_saveexec_b32 s13, s4
	s_cbranch_execz .LBB323_1790
; %bb.1785:                             ;   in Loop: Header=BB323_991 Depth=1
	v_and_b32_e32 v116, 0x7f, v11
	v_mov_b32_e32 v115, 0x7c01
	s_mov_b32 s15, exec_lo
	v_cmpx_ne_u32_e32 0x7f, v116
	s_cbranch_execz .LBB323_1789
; %bb.1786:                             ;   in Loop: Header=BB323_991 Depth=1
	v_and_b32_e32 v0, 7, v11
	v_lshrrev_b32_e32 v115, 3, v116
	s_mov_b32 s18, exec_lo
	v_cmpx_gt_u32_e32 8, v116
; %bb.1787:                             ;   in Loop: Header=BB323_991 Depth=1
	v_ffbh_u32_e32 v0, v0
	v_min_u32_e32 v0, 32, v0
	v_subrev_nc_u32_e32 v115, 28, v0
	v_lshlrev_b64 v[116:117], v115, v[11:12]
	v_sub_nc_u32_e32 v115, 29, v0
	v_and_b32_e32 v0, 7, v116
; %bb.1788:                             ;   in Loop: Header=BB323_991 Depth=1
	s_or_b32 exec_lo, exec_lo, s18
	v_lshlrev_b32_e32 v116, 8, v11
	v_lshl_add_u32 v115, v115, 10, 0x2000
	v_lshlrev_b32_e32 v0, 7, v0
	v_and_b32_e32 v116, 0x8000, v116
	v_and_b32_e32 v115, 0xfc00, v115
	v_or3_b32 v115, v116, v115, v0
.LBB323_1789:                           ;   in Loop: Header=BB323_991 Depth=1
	s_or_b32 exec_lo, exec_lo, s15
.LBB323_1790:                           ;   in Loop: Header=BB323_991 Depth=1
	s_or_b32 exec_lo, exec_lo, s13
.LBB323_1791:                           ;   in Loop: Header=BB323_991 Depth=1
	s_or_b32 exec_lo, exec_lo, s12
	v_lshrrev_b16 v0, 8, v11
	s_mov_b32 s12, exec_lo
	v_cmpx_ne_u16_e32 0, v0
	s_cbranch_execz .LBB323_1799
; %bb.1792:                             ;   in Loop: Header=BB323_991 Depth=1
	v_bfrev_b32_e32 v114, 1
	s_mov_b32 s13, exec_lo
	v_cmpx_ne_u16_e32 0x80, v0
	s_cbranch_execz .LBB323_1798
; %bb.1793:                             ;   in Loop: Header=BB323_991 Depth=1
	v_and_b32_sdwa v117, v0, v17 dst_sel:DWORD dst_unused:UNUSED_PAD src0_sel:WORD_0 src1_sel:DWORD
	v_mov_b32_e32 v114, 0x7c010000
	s_mov_b32 s15, exec_lo
	v_cmpx_ne_u32_e32 0x7f, v117
	s_cbranch_execz .LBB323_1797
; %bb.1794:                             ;   in Loop: Header=BB323_991 Depth=1
	v_and_b32_sdwa v114, v0, v37 dst_sel:DWORD dst_unused:UNUSED_PAD src0_sel:WORD_0 src1_sel:DWORD
	v_lshrrev_b32_e32 v116, 3, v117
	s_mov_b32 s18, exec_lo
	v_cmpx_gt_u32_e32 8, v117
; %bb.1795:                             ;   in Loop: Header=BB323_991 Depth=1
	v_ffbh_u32_e32 v114, v114
	v_min_u32_e32 v114, 32, v114
	v_subrev_nc_u32_e32 v116, 28, v114
	v_lshlrev_b64 v[117:118], v116, v[0:1]
	v_sub_nc_u32_e32 v116, 29, v114
	v_and_b32_e32 v114, 7, v117
; %bb.1796:                             ;   in Loop: Header=BB323_991 Depth=1
	s_or_b32 exec_lo, exec_lo, s18
	v_lshlrev_b32_sdwa v0, v53, v0 dst_sel:DWORD dst_unused:UNUSED_PAD src0_sel:DWORD src1_sel:WORD_0
	v_lshl_add_u32 v116, v116, 10, 0x2000
	v_lshlrev_b32_e32 v114, 23, v114
	v_and_or_b32 v0, 0x8000, v0, v116
	v_lshl_or_b32 v114, v0, 16, v114
.LBB323_1797:                           ;   in Loop: Header=BB323_991 Depth=1
	s_or_b32 exec_lo, exec_lo, s15
.LBB323_1798:                           ;   in Loop: Header=BB323_991 Depth=1
	s_or_b32 exec_lo, exec_lo, s13
.LBB323_1799:                           ;   in Loop: Header=BB323_991 Depth=1
	s_or_b32 exec_lo, exec_lo, s12
	v_lshrrev_b32_e32 v0, 16, v11
	v_mov_b32_e32 v116, 0
	v_mov_b32_e32 v117, 0
	v_cmp_ne_u16_sdwa s4, v0, v1 src0_sel:BYTE_0 src1_sel:DWORD
	s_and_saveexec_b32 s12, s4
	s_cbranch_execz .LBB323_1807
; %bb.1800:                             ;   in Loop: Header=BB323_991 Depth=1
	v_cmp_ne_u16_sdwa s4, v0, v16 src0_sel:BYTE_0 src1_sel:DWORD
	v_mov_b32_e32 v117, 0x8000
	s_and_saveexec_b32 s13, s4
	s_cbranch_execz .LBB323_1806
; %bb.1801:                             ;   in Loop: Header=BB323_991 Depth=1
	v_bfe_u32 v119, v11, 16, 7
	v_mov_b32_e32 v117, 0x7c01
	s_mov_b32 s15, exec_lo
	v_cmpx_ne_u32_e32 0x7f, v119
	s_cbranch_execz .LBB323_1805
; %bb.1802:                             ;   in Loop: Header=BB323_991 Depth=1
	v_and_b32_e32 v117, 7, v0
	v_lshrrev_b32_e32 v118, 3, v119
	s_mov_b32 s18, exec_lo
	v_cmpx_gt_u32_e32 8, v119
; %bb.1803:                             ;   in Loop: Header=BB323_991 Depth=1
	v_ffbh_u32_e32 v117, v117
	v_min_u32_e32 v119, 32, v117
	v_subrev_nc_u32_e32 v117, 28, v119
	v_lshlrev_b64 v[117:118], v117, v[0:1]
	v_sub_nc_u32_e32 v118, 29, v119
	v_and_b32_e32 v117, 7, v117
; %bb.1804:                             ;   in Loop: Header=BB323_991 Depth=1
	s_or_b32 exec_lo, exec_lo, s18
	v_lshlrev_b32_e32 v0, 8, v0
	v_lshl_add_u32 v118, v118, 10, 0x2000
	v_lshlrev_b32_e32 v117, 7, v117
	v_and_b32_e32 v0, 0x8000, v0
	v_and_b32_e32 v118, 0xfc00, v118
	v_or3_b32 v117, v0, v118, v117
.LBB323_1805:                           ;   in Loop: Header=BB323_991 Depth=1
	s_or_b32 exec_lo, exec_lo, s15
.LBB323_1806:                           ;   in Loop: Header=BB323_991 Depth=1
	s_or_b32 exec_lo, exec_lo, s13
.LBB323_1807:                           ;   in Loop: Header=BB323_991 Depth=1
	s_or_b32 exec_lo, exec_lo, s12
	s_mov_b32 s12, exec_lo
	v_cmpx_lt_u32_e32 0xffffff, v11
	s_cbranch_execz .LBB323_1815
; %bb.1808:                             ;   in Loop: Header=BB323_991 Depth=1
	v_lshrrev_b32_e32 v0, 24, v11
	v_bfrev_b32_e32 v116, 1
	s_mov_b32 s13, exec_lo
	v_cmpx_ne_u32_e32 0x80, v0
	s_cbranch_execz .LBB323_1814
; %bb.1809:                             ;   in Loop: Header=BB323_991 Depth=1
	v_and_b32_e32 v119, 0x7f, v0
	v_mov_b32_e32 v116, 0x7c010000
	s_mov_b32 s15, exec_lo
	v_cmpx_ne_u32_e32 0x7f, v119
	s_cbranch_execz .LBB323_1813
; %bb.1810:                             ;   in Loop: Header=BB323_991 Depth=1
	v_and_b32_e32 v116, 7, v0
	v_lshrrev_b32_e32 v118, 3, v119
	s_mov_b32 s18, exec_lo
	v_cmpx_gt_u32_e32 8, v119
; %bb.1811:                             ;   in Loop: Header=BB323_991 Depth=1
	v_ffbh_u32_e32 v116, v116
	v_min_u32_e32 v116, 32, v116
	v_subrev_nc_u32_e32 v118, 28, v116
	v_lshlrev_b64 v[40:41], v118, v[0:1]
	v_sub_nc_u32_e32 v118, 29, v116
	v_and_b32_e32 v116, 7, v40
; %bb.1812:                             ;   in Loop: Header=BB323_991 Depth=1
	s_or_b32 exec_lo, exec_lo, s18
	v_lshlrev_b32_e32 v0, 8, v0
	v_lshl_add_u32 v118, v118, 10, 0x2000
	v_lshlrev_b32_e32 v116, 23, v116
	v_and_or_b32 v0, 0x8000, v0, v118
	v_lshl_or_b32 v116, v0, 16, v116
.LBB323_1813:                           ;   in Loop: Header=BB323_991 Depth=1
	s_or_b32 exec_lo, exec_lo, s15
.LBB323_1814:                           ;   in Loop: Header=BB323_991 Depth=1
	s_or_b32 exec_lo, exec_lo, s13
.LBB323_1815:                           ;   in Loop: Header=BB323_991 Depth=1
	s_or_b32 exec_lo, exec_lo, s12
	v_mov_b32_e32 v0, v12
	v_cmp_ne_u16_sdwa s4, v12, v1 src0_sel:BYTE_0 src1_sel:DWORD
	v_mov_b32_e32 v118, 0
	v_mov_b32_e32 v119, 0
	s_and_saveexec_b32 s12, s4
	s_cbranch_execz .LBB323_1823
; %bb.1816:                             ;   in Loop: Header=BB323_991 Depth=1
	v_cmp_ne_u16_sdwa s4, v12, v16 src0_sel:BYTE_0 src1_sel:DWORD
	v_mov_b32_e32 v119, 0x8000
	s_and_saveexec_b32 s13, s4
	s_cbranch_execz .LBB323_1822
; %bb.1817:                             ;   in Loop: Header=BB323_991 Depth=1
	v_and_b32_e32 v41, 0x7f, v12
	v_mov_b32_e32 v119, 0x7c01
	s_mov_b32 s15, exec_lo
	v_cmpx_ne_u32_e32 0x7f, v41
	s_cbranch_execz .LBB323_1821
; %bb.1818:                             ;   in Loop: Header=BB323_991 Depth=1
	v_and_b32_e32 v119, 7, v12
	v_lshrrev_b32_e32 v40, 3, v41
	s_mov_b32 s18, exec_lo
	v_cmpx_gt_u32_e32 8, v41
; %bb.1819:                             ;   in Loop: Header=BB323_991 Depth=1
	v_ffbh_u32_e32 v119, v119
	v_min_u32_e32 v119, 32, v119
	v_subrev_nc_u32_e32 v40, 28, v119
	v_lshlrev_b64 v[41:42], v40, v[0:1]
	v_sub_nc_u32_e32 v40, 29, v119
	v_and_b32_e32 v119, 7, v41
; %bb.1820:                             ;   in Loop: Header=BB323_991 Depth=1
	s_or_b32 exec_lo, exec_lo, s18
	v_lshlrev_b32_e32 v41, 8, v12
	v_lshl_add_u32 v40, v40, 10, 0x2000
	v_lshlrev_b32_e32 v119, 7, v119
	v_and_b32_e32 v41, 0x8000, v41
	v_and_b32_e32 v40, 0xfc00, v40
	v_or3_b32 v119, v41, v40, v119
.LBB323_1821:                           ;   in Loop: Header=BB323_991 Depth=1
	s_or_b32 exec_lo, exec_lo, s15
.LBB323_1822:                           ;   in Loop: Header=BB323_991 Depth=1
	s_or_b32 exec_lo, exec_lo, s13
.LBB323_1823:                           ;   in Loop: Header=BB323_991 Depth=1
	s_or_b32 exec_lo, exec_lo, s12
	v_lshrrev_b16 v0, 8, v0
	v_mov_b32_e32 v40, 0
	s_mov_b32 s12, exec_lo
	v_cmpx_ne_u16_e32 0, v0
	s_cbranch_execz .LBB323_1831
; %bb.1824:                             ;   in Loop: Header=BB323_991 Depth=1
	v_bfrev_b32_e32 v40, 1
	s_mov_b32 s13, exec_lo
	v_cmpx_ne_u16_e32 0x80, v0
	s_cbranch_execz .LBB323_1830
; %bb.1825:                             ;   in Loop: Header=BB323_991 Depth=1
	v_and_b32_sdwa v42, v0, v17 dst_sel:DWORD dst_unused:UNUSED_PAD src0_sel:WORD_0 src1_sel:DWORD
	v_mov_b32_e32 v40, 0x7c010000
	s_mov_b32 s15, exec_lo
	v_cmpx_ne_u32_e32 0x7f, v42
	s_cbranch_execz .LBB323_1829
; %bb.1826:                             ;   in Loop: Header=BB323_991 Depth=1
	v_and_b32_sdwa v40, v0, v37 dst_sel:DWORD dst_unused:UNUSED_PAD src0_sel:WORD_0 src1_sel:DWORD
	v_lshrrev_b32_e32 v41, 3, v42
	s_mov_b32 s18, exec_lo
	v_cmpx_gt_u32_e32 8, v42
; %bb.1827:                             ;   in Loop: Header=BB323_991 Depth=1
	v_ffbh_u32_e32 v40, v40
	v_min_u32_e32 v42, 32, v40
	v_subrev_nc_u32_e32 v40, 28, v42
	v_lshlrev_b64 v[40:41], v40, v[0:1]
	v_sub_nc_u32_e32 v41, 29, v42
	v_and_b32_e32 v40, 7, v40
; %bb.1828:                             ;   in Loop: Header=BB323_991 Depth=1
	s_or_b32 exec_lo, exec_lo, s18
	v_lshlrev_b32_sdwa v0, v53, v0 dst_sel:DWORD dst_unused:UNUSED_PAD src0_sel:DWORD src1_sel:WORD_0
	v_lshl_add_u32 v41, v41, 10, 0x2000
	v_lshlrev_b32_e32 v40, 23, v40
	v_and_or_b32 v0, 0x8000, v0, v41
	v_lshl_or_b32 v40, v0, 16, v40
.LBB323_1829:                           ;   in Loop: Header=BB323_991 Depth=1
	s_or_b32 exec_lo, exec_lo, s15
.LBB323_1830:                           ;   in Loop: Header=BB323_991 Depth=1
	s_or_b32 exec_lo, exec_lo, s13
.LBB323_1831:                           ;   in Loop: Header=BB323_991 Depth=1
	s_or_b32 exec_lo, exec_lo, s12
	v_lshrrev_b32_e32 v0, 16, v12
	v_cmp_ne_u16_sdwa s4, v0, v1 src0_sel:BYTE_0 src1_sel:DWORD
	s_and_saveexec_b32 s12, s4
	s_cbranch_execz .LBB323_1839
; %bb.1832:                             ;   in Loop: Header=BB323_991 Depth=1
	v_cmp_ne_u16_sdwa s4, v0, v16 src0_sel:BYTE_0 src1_sel:DWORD
	v_mov_b32_e32 v118, 0x8000
	s_and_saveexec_b32 s13, s4
	s_cbranch_execz .LBB323_1838
; %bb.1833:                             ;   in Loop: Header=BB323_991 Depth=1
	v_bfe_u32 v42, v12, 16, 7
	v_mov_b32_e32 v118, 0x7c01
	s_mov_b32 s15, exec_lo
	v_cmpx_ne_u32_e32 0x7f, v42
	s_cbranch_execz .LBB323_1837
; %bb.1834:                             ;   in Loop: Header=BB323_991 Depth=1
	v_and_b32_e32 v118, 7, v0
	v_lshrrev_b32_e32 v41, 3, v42
	s_mov_b32 s18, exec_lo
	v_cmpx_gt_u32_e32 8, v42
; %bb.1835:                             ;   in Loop: Header=BB323_991 Depth=1
	v_ffbh_u32_e32 v118, v118
	v_min_u32_e32 v118, 32, v118
	v_subrev_nc_u32_e32 v41, 28, v118
	v_lshlrev_b64 v[42:43], v41, v[0:1]
	v_sub_nc_u32_e32 v41, 29, v118
	v_and_b32_e32 v118, 7, v42
; %bb.1836:                             ;   in Loop: Header=BB323_991 Depth=1
	s_or_b32 exec_lo, exec_lo, s18
	v_lshlrev_b32_e32 v0, 8, v0
	v_lshl_add_u32 v41, v41, 10, 0x2000
	v_lshlrev_b32_e32 v118, 7, v118
	v_and_b32_e32 v0, 0x8000, v0
	v_and_b32_e32 v41, 0xfc00, v41
	v_or3_b32 v118, v0, v41, v118
.LBB323_1837:                           ;   in Loop: Header=BB323_991 Depth=1
	s_or_b32 exec_lo, exec_lo, s15
.LBB323_1838:                           ;   in Loop: Header=BB323_991 Depth=1
	s_or_b32 exec_lo, exec_lo, s13
.LBB323_1839:                           ;   in Loop: Header=BB323_991 Depth=1
	s_or_b32 exec_lo, exec_lo, s12
	v_cmp_lt_u64_e64 s4, s[8:9], v[11:12]
	v_mov_b32_e32 v11, 0
	s_and_saveexec_b32 s12, s4
	s_cbranch_execz .LBB323_1847
; %bb.1840:                             ;   in Loop: Header=BB323_991 Depth=1
	v_lshrrev_b32_e32 v0, 24, v12
	v_bfrev_b32_e32 v11, 1
	s_mov_b32 s13, exec_lo
	v_cmpx_ne_u32_e32 0x80, v0
	s_cbranch_execz .LBB323_1846
; %bb.1841:                             ;   in Loop: Header=BB323_991 Depth=1
	v_and_b32_e32 v41, 0x7f, v0
	v_mov_b32_e32 v11, 0x7c010000
	s_mov_b32 s15, exec_lo
	v_cmpx_ne_u32_e32 0x7f, v41
	s_cbranch_execz .LBB323_1845
; %bb.1842:                             ;   in Loop: Header=BB323_991 Depth=1
	v_and_b32_e32 v11, 7, v0
	v_lshrrev_b32_e32 v12, 3, v41
	s_mov_b32 s18, exec_lo
	v_cmpx_gt_u32_e32 8, v41
; %bb.1843:                             ;   in Loop: Header=BB323_991 Depth=1
	v_ffbh_u32_e32 v11, v11
	v_min_u32_e32 v41, 32, v11
	v_subrev_nc_u32_e32 v11, 28, v41
	v_lshlrev_b64 v[11:12], v11, v[0:1]
	v_sub_nc_u32_e32 v12, 29, v41
	v_and_b32_e32 v11, 7, v11
; %bb.1844:                             ;   in Loop: Header=BB323_991 Depth=1
	s_or_b32 exec_lo, exec_lo, s18
	v_lshlrev_b32_e32 v0, 8, v0
	v_lshl_add_u32 v12, v12, 10, 0x2000
	v_lshlrev_b32_e32 v11, 23, v11
	v_and_or_b32 v0, 0x8000, v0, v12
	v_lshl_or_b32 v11, v0, 16, v11
.LBB323_1845:                           ;   in Loop: Header=BB323_991 Depth=1
	s_or_b32 exec_lo, exec_lo, s15
.LBB323_1846:                           ;   in Loop: Header=BB323_991 Depth=1
	s_or_b32 exec_lo, exec_lo, s13
.LBB323_1847:                           ;   in Loop: Header=BB323_991 Depth=1
	s_or_b32 exec_lo, exec_lo, s12
	v_or_b32_e32 v0, v116, v117
	s_waitcnt vmcnt(0) lgkmcnt(0)
	v_fma_mixlo_f16 v12, v113, v116, 0 op_sel:[0,1,0] op_sel_hi:[0,1,0]
	v_or_b32_e32 v116, v114, v115
	v_fma_mixlo_f16 v114, v113, v114, 0 op_sel:[0,1,0] op_sel_hi:[0,1,0]
	v_or_b32_e32 v117, v40, v119
	v_or_b32_e32 v118, v11, v118
	v_fma_mixlo_f16 v119, v113, v0, 0 op_sel_hi:[0,1,0]
	v_fma_mixlo_f16 v11, v113, v11, 0 op_sel:[0,1,0] op_sel_hi:[0,1,0]
	v_lshlrev_b32_e32 v115, 16, v114
	v_fma_mixlo_f16 v114, v113, v116, 0 op_sel_hi:[0,1,0]
	v_fma_mixlo_f16 v116, v113, v40, 0 op_sel:[0,1,0] op_sel_hi:[0,1,0]
	v_fma_mixlo_f16 v117, v113, v117, 0 op_sel_hi:[0,1,0]
	v_fma_mixlo_f16 v118, v113, v118, 0 op_sel_hi:[0,1,0]
	v_lshlrev_b32_e32 v0, 16, v12
	v_and_b32_e32 v12, 0xffff, v119
	v_and_b32_e32 v41, 0xffff, v114
	v_lshlrev_b32_e32 v113, 16, v116
	v_and_b32_e32 v117, 0xffff, v117
	v_lshlrev_b32_e32 v11, 16, v11
	v_and_b32_e32 v114, 0xffff, v118
	v_or_b32_e32 v116, v0, v12
	v_or_b32_e32 v40, v115, v41
	v_or_b32_e32 v119, v113, v117
	v_or_b32_e32 v118, v11, v114
	s_and_saveexec_b32 s12, vcc_lo
	s_cbranch_execz .LBB323_1849
; %bb.1848:                             ;   in Loop: Header=BB323_991 Depth=1
	v_cmp_lt_i32_e64 s4, v54, v33
	v_cndmask_b32_e64 v116, 0, v41, s4
	v_cmp_lt_i32_e64 s4, v82, v33
	v_cndmask_b32_e64 v115, 0, v115, s4
	v_cmp_lt_i32_e64 s4, v81, v33
	v_or_b32_e32 v40, v116, v115
	v_cndmask_b32_e64 v12, 0, v12, s4
	v_cmp_lt_i32_e64 s4, v80, v33
	v_cndmask_b32_e64 v0, 0, v0, s4
	v_cmp_lt_i32_e64 s4, v71, v33
	v_or_b32_e32 v116, v12, v0
	;; [unrolled: 5-line block ×3, first 2 shown]
	v_cndmask_b32_e64 v114, 0, v114, s4
	v_cmp_lt_i32_e64 s4, v14, v33
	v_cndmask_b32_e64 v11, 0, v11, s4
	v_or_b32_e32 v118, v114, v11
.LBB323_1849:                           ;   in Loop: Header=BB323_991 Depth=1
	s_or_b32 exec_lo, exec_lo, s12
	;;#ASMSTART
	v_pk_mul_f16 v0, v67, v40;

	;;#ASMEND
	;;#ASMSTART
	v_pk_mul_f16 v11, v65, v116;

	;;#ASMEND
	;; [unrolled: 4-line block ×4, first 2 shown]
	;;#ASMSTART
	v_pk_add_f16 v0, v0, v11;

	;;#ASMEND
	;;#ASMSTART
	v_pk_add_f16 v0, v0, v12;

	;;#ASMEND
	;; [unrolled: 4-line block ×3, first 2 shown]
	v_and_b32_e32 v11, 0xffff, v0
	v_lshrrev_b32_e32 v0, 16, v0
	;;#ASMSTART
	v_cvt_f32_f16 v113, v11;
	;;#ASMEND
	;;#ASMSTART
	v_cvt_f32_f16 v114, v0;
	;;#ASMEND
	flat_load_dwordx2 v[11:12], v[9:10] offset:1280
	flat_load_dword v115, v[26:27]
	v_mov_b32_e32 v116, 0
	v_mov_b32_e32 v117, 0
	s_waitcnt vmcnt(1) lgkmcnt(1)
	v_cmp_ne_u16_sdwa s4, v11, v1 src0_sel:BYTE_0 src1_sel:DWORD
	s_and_saveexec_b32 s12, s4
	s_cbranch_execz .LBB323_1857
; %bb.1850:                             ;   in Loop: Header=BB323_991 Depth=1
	v_cmp_ne_u16_sdwa s4, v11, v16 src0_sel:BYTE_0 src1_sel:DWORD
	v_mov_b32_e32 v117, 0x8000
	s_and_saveexec_b32 s13, s4
	s_cbranch_execz .LBB323_1856
; %bb.1851:                             ;   in Loop: Header=BB323_991 Depth=1
	v_and_b32_e32 v118, 0x7f, v11
	v_mov_b32_e32 v117, 0x7c01
	s_mov_b32 s15, exec_lo
	v_cmpx_ne_u32_e32 0x7f, v118
	s_cbranch_execz .LBB323_1855
; %bb.1852:                             ;   in Loop: Header=BB323_991 Depth=1
	v_and_b32_e32 v0, 7, v11
	v_lshrrev_b32_e32 v117, 3, v118
	s_mov_b32 s18, exec_lo
	v_cmpx_gt_u32_e32 8, v118
; %bb.1853:                             ;   in Loop: Header=BB323_991 Depth=1
	v_ffbh_u32_e32 v0, v0
	v_min_u32_e32 v0, 32, v0
	v_subrev_nc_u32_e32 v117, 28, v0
	v_lshlrev_b64 v[118:119], v117, v[11:12]
	v_sub_nc_u32_e32 v117, 29, v0
	v_and_b32_e32 v0, 7, v118
; %bb.1854:                             ;   in Loop: Header=BB323_991 Depth=1
	s_or_b32 exec_lo, exec_lo, s18
	v_lshlrev_b32_e32 v118, 8, v11
	v_lshl_add_u32 v117, v117, 10, 0x2000
	v_lshlrev_b32_e32 v0, 7, v0
	v_and_b32_e32 v118, 0x8000, v118
	v_and_b32_e32 v117, 0xfc00, v117
	v_or3_b32 v117, v118, v117, v0
.LBB323_1855:                           ;   in Loop: Header=BB323_991 Depth=1
	s_or_b32 exec_lo, exec_lo, s15
.LBB323_1856:                           ;   in Loop: Header=BB323_991 Depth=1
	s_or_b32 exec_lo, exec_lo, s13
.LBB323_1857:                           ;   in Loop: Header=BB323_991 Depth=1
	s_or_b32 exec_lo, exec_lo, s12
	v_lshrrev_b16 v0, 8, v11
	s_mov_b32 s12, exec_lo
	v_cmpx_ne_u16_e32 0, v0
	s_cbranch_execz .LBB323_1865
; %bb.1858:                             ;   in Loop: Header=BB323_991 Depth=1
	v_bfrev_b32_e32 v116, 1
	s_mov_b32 s13, exec_lo
	v_cmpx_ne_u16_e32 0x80, v0
	s_cbranch_execz .LBB323_1864
; %bb.1859:                             ;   in Loop: Header=BB323_991 Depth=1
	v_and_b32_sdwa v119, v0, v17 dst_sel:DWORD dst_unused:UNUSED_PAD src0_sel:WORD_0 src1_sel:DWORD
	v_mov_b32_e32 v116, 0x7c010000
	s_mov_b32 s15, exec_lo
	v_cmpx_ne_u32_e32 0x7f, v119
	s_cbranch_execz .LBB323_1863
; %bb.1860:                             ;   in Loop: Header=BB323_991 Depth=1
	v_and_b32_sdwa v116, v0, v37 dst_sel:DWORD dst_unused:UNUSED_PAD src0_sel:WORD_0 src1_sel:DWORD
	v_lshrrev_b32_e32 v118, 3, v119
	s_mov_b32 s18, exec_lo
	v_cmpx_gt_u32_e32 8, v119
; %bb.1861:                             ;   in Loop: Header=BB323_991 Depth=1
	v_ffbh_u32_e32 v116, v116
	v_min_u32_e32 v116, 32, v116
	v_subrev_nc_u32_e32 v118, 28, v116
	v_lshlrev_b64 v[40:41], v118, v[0:1]
	v_sub_nc_u32_e32 v118, 29, v116
	v_and_b32_e32 v116, 7, v40
; %bb.1862:                             ;   in Loop: Header=BB323_991 Depth=1
	s_or_b32 exec_lo, exec_lo, s18
	v_lshlrev_b32_sdwa v0, v53, v0 dst_sel:DWORD dst_unused:UNUSED_PAD src0_sel:DWORD src1_sel:WORD_0
	v_lshl_add_u32 v118, v118, 10, 0x2000
	v_lshlrev_b32_e32 v116, 23, v116
	v_and_or_b32 v0, 0x8000, v0, v118
	v_lshl_or_b32 v116, v0, 16, v116
.LBB323_1863:                           ;   in Loop: Header=BB323_991 Depth=1
	s_or_b32 exec_lo, exec_lo, s15
.LBB323_1864:                           ;   in Loop: Header=BB323_991 Depth=1
	s_or_b32 exec_lo, exec_lo, s13
.LBB323_1865:                           ;   in Loop: Header=BB323_991 Depth=1
	s_or_b32 exec_lo, exec_lo, s12
	v_lshrrev_b32_e32 v0, 16, v11
	v_mov_b32_e32 v118, 0
	v_mov_b32_e32 v119, 0
	v_cmp_ne_u16_sdwa s4, v0, v1 src0_sel:BYTE_0 src1_sel:DWORD
	s_and_saveexec_b32 s12, s4
	s_cbranch_execz .LBB323_1873
; %bb.1866:                             ;   in Loop: Header=BB323_991 Depth=1
	v_cmp_ne_u16_sdwa s4, v0, v16 src0_sel:BYTE_0 src1_sel:DWORD
	v_mov_b32_e32 v119, 0x8000
	s_and_saveexec_b32 s13, s4
	s_cbranch_execz .LBB323_1872
; %bb.1867:                             ;   in Loop: Header=BB323_991 Depth=1
	v_bfe_u32 v41, v11, 16, 7
	v_mov_b32_e32 v119, 0x7c01
	s_mov_b32 s15, exec_lo
	v_cmpx_ne_u32_e32 0x7f, v41
	s_cbranch_execz .LBB323_1871
; %bb.1868:                             ;   in Loop: Header=BB323_991 Depth=1
	v_and_b32_e32 v119, 7, v0
	v_lshrrev_b32_e32 v40, 3, v41
	s_mov_b32 s18, exec_lo
	v_cmpx_gt_u32_e32 8, v41
; %bb.1869:                             ;   in Loop: Header=BB323_991 Depth=1
	v_ffbh_u32_e32 v119, v119
	v_min_u32_e32 v119, 32, v119
	v_subrev_nc_u32_e32 v40, 28, v119
	v_lshlrev_b64 v[41:42], v40, v[0:1]
	v_sub_nc_u32_e32 v40, 29, v119
	v_and_b32_e32 v119, 7, v41
; %bb.1870:                             ;   in Loop: Header=BB323_991 Depth=1
	s_or_b32 exec_lo, exec_lo, s18
	v_lshlrev_b32_e32 v0, 8, v0
	v_lshl_add_u32 v40, v40, 10, 0x2000
	v_lshlrev_b32_e32 v119, 7, v119
	v_and_b32_e32 v0, 0x8000, v0
	v_and_b32_e32 v40, 0xfc00, v40
	v_or3_b32 v119, v0, v40, v119
.LBB323_1871:                           ;   in Loop: Header=BB323_991 Depth=1
	s_or_b32 exec_lo, exec_lo, s15
.LBB323_1872:                           ;   in Loop: Header=BB323_991 Depth=1
	s_or_b32 exec_lo, exec_lo, s13
.LBB323_1873:                           ;   in Loop: Header=BB323_991 Depth=1
	s_or_b32 exec_lo, exec_lo, s12
	s_mov_b32 s12, exec_lo
	v_cmpx_lt_u32_e32 0xffffff, v11
	s_cbranch_execz .LBB323_1881
; %bb.1874:                             ;   in Loop: Header=BB323_991 Depth=1
	v_lshrrev_b32_e32 v0, 24, v11
	v_bfrev_b32_e32 v118, 1
	s_mov_b32 s13, exec_lo
	v_cmpx_ne_u32_e32 0x80, v0
	s_cbranch_execz .LBB323_1880
; %bb.1875:                             ;   in Loop: Header=BB323_991 Depth=1
	v_and_b32_e32 v41, 0x7f, v0
	v_mov_b32_e32 v118, 0x7c010000
	s_mov_b32 s15, exec_lo
	v_cmpx_ne_u32_e32 0x7f, v41
	s_cbranch_execz .LBB323_1879
; %bb.1876:                             ;   in Loop: Header=BB323_991 Depth=1
	v_and_b32_e32 v118, 7, v0
	v_lshrrev_b32_e32 v40, 3, v41
	s_mov_b32 s18, exec_lo
	v_cmpx_gt_u32_e32 8, v41
; %bb.1877:                             ;   in Loop: Header=BB323_991 Depth=1
	v_ffbh_u32_e32 v118, v118
	v_min_u32_e32 v118, 32, v118
	v_subrev_nc_u32_e32 v40, 28, v118
	v_lshlrev_b64 v[41:42], v40, v[0:1]
	v_sub_nc_u32_e32 v40, 29, v118
	v_and_b32_e32 v118, 7, v41
; %bb.1878:                             ;   in Loop: Header=BB323_991 Depth=1
	s_or_b32 exec_lo, exec_lo, s18
	v_lshlrev_b32_e32 v0, 8, v0
	v_lshl_add_u32 v40, v40, 10, 0x2000
	v_lshlrev_b32_e32 v118, 23, v118
	v_and_or_b32 v0, 0x8000, v0, v40
	v_lshl_or_b32 v118, v0, 16, v118
.LBB323_1879:                           ;   in Loop: Header=BB323_991 Depth=1
	s_or_b32 exec_lo, exec_lo, s15
.LBB323_1880:                           ;   in Loop: Header=BB323_991 Depth=1
	s_or_b32 exec_lo, exec_lo, s13
.LBB323_1881:                           ;   in Loop: Header=BB323_991 Depth=1
	s_or_b32 exec_lo, exec_lo, s12
	v_mov_b32_e32 v0, v12
	v_cmp_ne_u16_sdwa s4, v12, v1 src0_sel:BYTE_0 src1_sel:DWORD
	v_mov_b32_e32 v40, 0
	v_mov_b32_e32 v41, 0
	s_and_saveexec_b32 s12, s4
	s_cbranch_execz .LBB323_1889
; %bb.1882:                             ;   in Loop: Header=BB323_991 Depth=1
	v_cmp_ne_u16_sdwa s4, v12, v16 src0_sel:BYTE_0 src1_sel:DWORD
	v_mov_b32_e32 v41, 0x8000
	s_and_saveexec_b32 s13, s4
	s_cbranch_execz .LBB323_1888
; %bb.1883:                             ;   in Loop: Header=BB323_991 Depth=1
	v_and_b32_e32 v43, 0x7f, v12
	v_mov_b32_e32 v41, 0x7c01
	s_mov_b32 s15, exec_lo
	v_cmpx_ne_u32_e32 0x7f, v43
	s_cbranch_execz .LBB323_1887
; %bb.1884:                             ;   in Loop: Header=BB323_991 Depth=1
	v_and_b32_e32 v41, 7, v12
	v_lshrrev_b32_e32 v42, 3, v43
	s_mov_b32 s18, exec_lo
	v_cmpx_gt_u32_e32 8, v43
; %bb.1885:                             ;   in Loop: Header=BB323_991 Depth=1
	v_ffbh_u32_e32 v41, v41
	v_min_u32_e32 v43, 32, v41
	v_subrev_nc_u32_e32 v41, 28, v43
	v_lshlrev_b64 v[41:42], v41, v[0:1]
	v_sub_nc_u32_e32 v42, 29, v43
	v_and_b32_e32 v41, 7, v41
; %bb.1886:                             ;   in Loop: Header=BB323_991 Depth=1
	s_or_b32 exec_lo, exec_lo, s18
	v_lshlrev_b32_e32 v43, 8, v12
	v_lshl_add_u32 v42, v42, 10, 0x2000
	v_lshlrev_b32_e32 v41, 7, v41
	v_and_b32_e32 v43, 0x8000, v43
	v_and_b32_e32 v42, 0xfc00, v42
	v_or3_b32 v41, v43, v42, v41
.LBB323_1887:                           ;   in Loop: Header=BB323_991 Depth=1
	s_or_b32 exec_lo, exec_lo, s15
.LBB323_1888:                           ;   in Loop: Header=BB323_991 Depth=1
	s_or_b32 exec_lo, exec_lo, s13
.LBB323_1889:                           ;   in Loop: Header=BB323_991 Depth=1
	s_or_b32 exec_lo, exec_lo, s12
	v_lshrrev_b16 v0, 8, v0
	v_mov_b32_e32 v42, 0
	s_mov_b32 s12, exec_lo
	v_cmpx_ne_u16_e32 0, v0
	s_cbranch_execz .LBB323_1897
; %bb.1890:                             ;   in Loop: Header=BB323_991 Depth=1
	v_bfrev_b32_e32 v42, 1
	s_mov_b32 s13, exec_lo
	v_cmpx_ne_u16_e32 0x80, v0
	s_cbranch_execz .LBB323_1896
; %bb.1891:                             ;   in Loop: Header=BB323_991 Depth=1
	v_and_b32_sdwa v44, v0, v17 dst_sel:DWORD dst_unused:UNUSED_PAD src0_sel:WORD_0 src1_sel:DWORD
	v_mov_b32_e32 v42, 0x7c010000
	s_mov_b32 s15, exec_lo
	v_cmpx_ne_u32_e32 0x7f, v44
	s_cbranch_execz .LBB323_1895
; %bb.1892:                             ;   in Loop: Header=BB323_991 Depth=1
	v_and_b32_sdwa v42, v0, v37 dst_sel:DWORD dst_unused:UNUSED_PAD src0_sel:WORD_0 src1_sel:DWORD
	v_lshrrev_b32_e32 v43, 3, v44
	s_mov_b32 s18, exec_lo
	v_cmpx_gt_u32_e32 8, v44
; %bb.1893:                             ;   in Loop: Header=BB323_991 Depth=1
	v_ffbh_u32_e32 v42, v42
	v_min_u32_e32 v44, 32, v42
	v_subrev_nc_u32_e32 v42, 28, v44
	v_lshlrev_b64 v[42:43], v42, v[0:1]
	v_sub_nc_u32_e32 v43, 29, v44
	v_and_b32_e32 v42, 7, v42
; %bb.1894:                             ;   in Loop: Header=BB323_991 Depth=1
	s_or_b32 exec_lo, exec_lo, s18
	v_lshlrev_b32_sdwa v0, v53, v0 dst_sel:DWORD dst_unused:UNUSED_PAD src0_sel:DWORD src1_sel:WORD_0
	v_lshl_add_u32 v43, v43, 10, 0x2000
	v_lshlrev_b32_e32 v42, 23, v42
	v_and_or_b32 v0, 0x8000, v0, v43
	v_lshl_or_b32 v42, v0, 16, v42
.LBB323_1895:                           ;   in Loop: Header=BB323_991 Depth=1
	s_or_b32 exec_lo, exec_lo, s15
.LBB323_1896:                           ;   in Loop: Header=BB323_991 Depth=1
	s_or_b32 exec_lo, exec_lo, s13
.LBB323_1897:                           ;   in Loop: Header=BB323_991 Depth=1
	s_or_b32 exec_lo, exec_lo, s12
	v_lshrrev_b32_e32 v0, 16, v12
	v_cmp_ne_u16_sdwa s4, v0, v1 src0_sel:BYTE_0 src1_sel:DWORD
	s_and_saveexec_b32 s12, s4
	s_cbranch_execz .LBB323_1905
; %bb.1898:                             ;   in Loop: Header=BB323_991 Depth=1
	v_cmp_ne_u16_sdwa s4, v0, v16 src0_sel:BYTE_0 src1_sel:DWORD
	v_mov_b32_e32 v40, 0x8000
	s_and_saveexec_b32 s13, s4
	s_cbranch_execz .LBB323_1904
; %bb.1899:                             ;   in Loop: Header=BB323_991 Depth=1
	v_bfe_u32 v44, v12, 16, 7
	v_mov_b32_e32 v40, 0x7c01
	s_mov_b32 s15, exec_lo
	v_cmpx_ne_u32_e32 0x7f, v44
	s_cbranch_execz .LBB323_1903
; %bb.1900:                             ;   in Loop: Header=BB323_991 Depth=1
	v_and_b32_e32 v40, 7, v0
	v_lshrrev_b32_e32 v43, 3, v44
	s_mov_b32 s18, exec_lo
	v_cmpx_gt_u32_e32 8, v44
; %bb.1901:                             ;   in Loop: Header=BB323_991 Depth=1
	v_ffbh_u32_e32 v40, v40
	v_min_u32_e32 v40, 32, v40
	v_subrev_nc_u32_e32 v43, 28, v40
	v_lshlrev_b64 v[44:45], v43, v[0:1]
	v_sub_nc_u32_e32 v43, 29, v40
	v_and_b32_e32 v40, 7, v44
; %bb.1902:                             ;   in Loop: Header=BB323_991 Depth=1
	s_or_b32 exec_lo, exec_lo, s18
	v_lshlrev_b32_e32 v0, 8, v0
	v_lshl_add_u32 v43, v43, 10, 0x2000
	v_lshlrev_b32_e32 v40, 7, v40
	v_and_b32_e32 v0, 0x8000, v0
	v_and_b32_e32 v43, 0xfc00, v43
	v_or3_b32 v40, v0, v43, v40
.LBB323_1903:                           ;   in Loop: Header=BB323_991 Depth=1
	s_or_b32 exec_lo, exec_lo, s15
.LBB323_1904:                           ;   in Loop: Header=BB323_991 Depth=1
	s_or_b32 exec_lo, exec_lo, s13
.LBB323_1905:                           ;   in Loop: Header=BB323_991 Depth=1
	s_or_b32 exec_lo, exec_lo, s12
	v_cmp_lt_u64_e64 s4, s[8:9], v[11:12]
	v_mov_b32_e32 v11, 0
	s_and_saveexec_b32 s12, s4
	s_cbranch_execz .LBB323_1913
; %bb.1906:                             ;   in Loop: Header=BB323_991 Depth=1
	v_lshrrev_b32_e32 v0, 24, v12
	v_bfrev_b32_e32 v11, 1
	s_mov_b32 s13, exec_lo
	v_cmpx_ne_u32_e32 0x80, v0
	s_cbranch_execz .LBB323_1912
; %bb.1907:                             ;   in Loop: Header=BB323_991 Depth=1
	v_and_b32_e32 v43, 0x7f, v0
	v_mov_b32_e32 v11, 0x7c010000
	s_mov_b32 s15, exec_lo
	v_cmpx_ne_u32_e32 0x7f, v43
	s_cbranch_execz .LBB323_1911
; %bb.1908:                             ;   in Loop: Header=BB323_991 Depth=1
	v_and_b32_e32 v11, 7, v0
	v_lshrrev_b32_e32 v12, 3, v43
	s_mov_b32 s18, exec_lo
	v_cmpx_gt_u32_e32 8, v43
; %bb.1909:                             ;   in Loop: Header=BB323_991 Depth=1
	v_ffbh_u32_e32 v11, v11
	v_min_u32_e32 v43, 32, v11
	v_subrev_nc_u32_e32 v11, 28, v43
	v_lshlrev_b64 v[11:12], v11, v[0:1]
	v_sub_nc_u32_e32 v12, 29, v43
	v_and_b32_e32 v11, 7, v11
; %bb.1910:                             ;   in Loop: Header=BB323_991 Depth=1
	s_or_b32 exec_lo, exec_lo, s18
	v_lshlrev_b32_e32 v0, 8, v0
	v_lshl_add_u32 v12, v12, 10, 0x2000
	v_lshlrev_b32_e32 v11, 23, v11
	v_and_or_b32 v0, 0x8000, v0, v12
	v_lshl_or_b32 v11, v0, 16, v11
.LBB323_1911:                           ;   in Loop: Header=BB323_991 Depth=1
	s_or_b32 exec_lo, exec_lo, s15
.LBB323_1912:                           ;   in Loop: Header=BB323_991 Depth=1
	s_or_b32 exec_lo, exec_lo, s13
.LBB323_1913:                           ;   in Loop: Header=BB323_991 Depth=1
	s_or_b32 exec_lo, exec_lo, s12
	v_or_b32_e32 v0, v118, v119
	s_waitcnt vmcnt(0) lgkmcnt(0)
	v_fma_mixlo_f16 v12, v115, v118, 0 op_sel:[0,1,0] op_sel_hi:[0,1,0]
	v_or_b32_e32 v118, v116, v117
	v_fma_mixlo_f16 v116, v115, v116, 0 op_sel:[0,1,0] op_sel_hi:[0,1,0]
	v_or_b32_e32 v119, v42, v41
	v_or_b32_e32 v40, v11, v40
	v_fma_mixlo_f16 v41, v115, v0, 0 op_sel_hi:[0,1,0]
	v_fma_mixlo_f16 v11, v115, v11, 0 op_sel:[0,1,0] op_sel_hi:[0,1,0]
	v_lshlrev_b32_e32 v117, 16, v116
	v_fma_mixlo_f16 v116, v115, v118, 0 op_sel_hi:[0,1,0]
	v_fma_mixlo_f16 v118, v115, v42, 0 op_sel:[0,1,0] op_sel_hi:[0,1,0]
	v_fma_mixlo_f16 v119, v115, v119, 0 op_sel_hi:[0,1,0]
	v_fma_mixlo_f16 v40, v115, v40, 0 op_sel_hi:[0,1,0]
	v_lshlrev_b32_e32 v0, 16, v12
	v_and_b32_e32 v12, 0xffff, v41
	v_and_b32_e32 v43, 0xffff, v116
	v_lshlrev_b32_e32 v115, 16, v118
	v_and_b32_e32 v119, 0xffff, v119
	v_lshlrev_b32_e32 v11, 16, v11
	v_and_b32_e32 v116, 0xffff, v40
	v_or_b32_e32 v118, v0, v12
	v_or_b32_e32 v42, v117, v43
	;; [unrolled: 1-line block ×4, first 2 shown]
	s_and_saveexec_b32 s12, vcc_lo
	s_cbranch_execz .LBB323_1915
; %bb.1914:                             ;   in Loop: Header=BB323_991 Depth=1
	v_cmp_lt_i32_e64 s4, v54, v33
	v_cndmask_b32_e64 v118, 0, v43, s4
	v_cmp_lt_i32_e64 s4, v82, v33
	v_cndmask_b32_e64 v117, 0, v117, s4
	v_cmp_lt_i32_e64 s4, v81, v33
	v_or_b32_e32 v42, v118, v117
	v_cndmask_b32_e64 v12, 0, v12, s4
	v_cmp_lt_i32_e64 s4, v80, v33
	v_cndmask_b32_e64 v0, 0, v0, s4
	v_cmp_lt_i32_e64 s4, v71, v33
	v_or_b32_e32 v118, v12, v0
	;; [unrolled: 5-line block ×3, first 2 shown]
	v_cndmask_b32_e64 v116, 0, v116, s4
	v_cmp_lt_i32_e64 s4, v14, v33
	v_cndmask_b32_e64 v11, 0, v11, s4
	v_or_b32_e32 v40, v116, v11
.LBB323_1915:                           ;   in Loop: Header=BB323_991 Depth=1
	s_or_b32 exec_lo, exec_lo, s12
	;;#ASMSTART
	v_pk_mul_f16 v0, v67, v42;

	;;#ASMEND
	;;#ASMSTART
	v_pk_mul_f16 v11, v65, v118;

	;;#ASMEND
	;; [unrolled: 4-line block ×4, first 2 shown]
	;;#ASMSTART
	v_pk_add_f16 v0, v0, v11;

	;;#ASMEND
	;;#ASMSTART
	v_pk_add_f16 v0, v0, v12;

	;;#ASMEND
	;; [unrolled: 4-line block ×3, first 2 shown]
	v_and_b32_e32 v11, 0xffff, v0
	v_lshrrev_b32_e32 v0, 16, v0
	;;#ASMSTART
	v_cvt_f32_f16 v11, v11;
	;;#ASMEND
	;;#ASMSTART
	v_cvt_f32_f16 v12, v0;
	;;#ASMEND
	flat_load_dwordx2 v[9:10], v[9:10] offset:1536
	flat_load_dword v115, v[26:27]
	v_mov_b32_e32 v116, 0
	v_mov_b32_e32 v117, 0
	s_waitcnt vmcnt(1) lgkmcnt(1)
	v_cmp_ne_u16_sdwa s4, v9, v1 src0_sel:BYTE_0 src1_sel:DWORD
	s_and_saveexec_b32 s12, s4
	s_cbranch_execz .LBB323_1923
; %bb.1916:                             ;   in Loop: Header=BB323_991 Depth=1
	v_cmp_ne_u16_sdwa s4, v9, v16 src0_sel:BYTE_0 src1_sel:DWORD
	v_mov_b32_e32 v117, 0x8000
	s_and_saveexec_b32 s13, s4
	s_cbranch_execz .LBB323_1922
; %bb.1917:                             ;   in Loop: Header=BB323_991 Depth=1
	v_and_b32_e32 v118, 0x7f, v9
	v_mov_b32_e32 v117, 0x7c01
	s_mov_b32 s15, exec_lo
	v_cmpx_ne_u32_e32 0x7f, v118
	s_cbranch_execz .LBB323_1921
; %bb.1918:                             ;   in Loop: Header=BB323_991 Depth=1
	v_and_b32_e32 v0, 7, v9
	v_lshrrev_b32_e32 v117, 3, v118
	s_mov_b32 s18, exec_lo
	v_cmpx_gt_u32_e32 8, v118
; %bb.1919:                             ;   in Loop: Header=BB323_991 Depth=1
	v_ffbh_u32_e32 v0, v0
	v_min_u32_e32 v0, 32, v0
	v_subrev_nc_u32_e32 v117, 28, v0
	v_lshlrev_b64 v[118:119], v117, v[9:10]
	v_sub_nc_u32_e32 v117, 29, v0
	v_and_b32_e32 v0, 7, v118
; %bb.1920:                             ;   in Loop: Header=BB323_991 Depth=1
	s_or_b32 exec_lo, exec_lo, s18
	v_lshlrev_b32_e32 v118, 8, v9
	v_lshl_add_u32 v117, v117, 10, 0x2000
	v_lshlrev_b32_e32 v0, 7, v0
	v_and_b32_e32 v118, 0x8000, v118
	v_and_b32_e32 v117, 0xfc00, v117
	v_or3_b32 v117, v118, v117, v0
.LBB323_1921:                           ;   in Loop: Header=BB323_991 Depth=1
	s_or_b32 exec_lo, exec_lo, s15
.LBB323_1922:                           ;   in Loop: Header=BB323_991 Depth=1
	s_or_b32 exec_lo, exec_lo, s13
.LBB323_1923:                           ;   in Loop: Header=BB323_991 Depth=1
	s_or_b32 exec_lo, exec_lo, s12
	v_lshrrev_b16 v0, 8, v9
	s_mov_b32 s12, exec_lo
	v_cmpx_ne_u16_e32 0, v0
	s_cbranch_execz .LBB323_1931
; %bb.1924:                             ;   in Loop: Header=BB323_991 Depth=1
	v_bfrev_b32_e32 v116, 1
	s_mov_b32 s13, exec_lo
	v_cmpx_ne_u16_e32 0x80, v0
	s_cbranch_execz .LBB323_1930
; %bb.1925:                             ;   in Loop: Header=BB323_991 Depth=1
	v_and_b32_sdwa v119, v0, v17 dst_sel:DWORD dst_unused:UNUSED_PAD src0_sel:WORD_0 src1_sel:DWORD
	v_mov_b32_e32 v116, 0x7c010000
	s_mov_b32 s15, exec_lo
	v_cmpx_ne_u32_e32 0x7f, v119
	s_cbranch_execz .LBB323_1929
; %bb.1926:                             ;   in Loop: Header=BB323_991 Depth=1
	v_and_b32_sdwa v116, v0, v37 dst_sel:DWORD dst_unused:UNUSED_PAD src0_sel:WORD_0 src1_sel:DWORD
	v_lshrrev_b32_e32 v118, 3, v119
	s_mov_b32 s18, exec_lo
	v_cmpx_gt_u32_e32 8, v119
; %bb.1927:                             ;   in Loop: Header=BB323_991 Depth=1
	v_ffbh_u32_e32 v116, v116
	v_min_u32_e32 v116, 32, v116
	v_subrev_nc_u32_e32 v118, 28, v116
	v_lshlrev_b64 v[40:41], v118, v[0:1]
	v_sub_nc_u32_e32 v118, 29, v116
	v_and_b32_e32 v116, 7, v40
; %bb.1928:                             ;   in Loop: Header=BB323_991 Depth=1
	s_or_b32 exec_lo, exec_lo, s18
	v_lshlrev_b32_sdwa v0, v53, v0 dst_sel:DWORD dst_unused:UNUSED_PAD src0_sel:DWORD src1_sel:WORD_0
	v_lshl_add_u32 v118, v118, 10, 0x2000
	v_lshlrev_b32_e32 v116, 23, v116
	v_and_or_b32 v0, 0x8000, v0, v118
	v_lshl_or_b32 v116, v0, 16, v116
.LBB323_1929:                           ;   in Loop: Header=BB323_991 Depth=1
	s_or_b32 exec_lo, exec_lo, s15
.LBB323_1930:                           ;   in Loop: Header=BB323_991 Depth=1
	s_or_b32 exec_lo, exec_lo, s13
.LBB323_1931:                           ;   in Loop: Header=BB323_991 Depth=1
	s_or_b32 exec_lo, exec_lo, s12
	v_lshrrev_b32_e32 v0, 16, v9
	v_mov_b32_e32 v118, 0
	v_mov_b32_e32 v119, 0
	v_cmp_ne_u16_sdwa s4, v0, v1 src0_sel:BYTE_0 src1_sel:DWORD
	s_and_saveexec_b32 s12, s4
	s_cbranch_execz .LBB323_1939
; %bb.1932:                             ;   in Loop: Header=BB323_991 Depth=1
	v_cmp_ne_u16_sdwa s4, v0, v16 src0_sel:BYTE_0 src1_sel:DWORD
	v_mov_b32_e32 v119, 0x8000
	s_and_saveexec_b32 s13, s4
	s_cbranch_execz .LBB323_1938
; %bb.1933:                             ;   in Loop: Header=BB323_991 Depth=1
	v_bfe_u32 v41, v9, 16, 7
	v_mov_b32_e32 v119, 0x7c01
	s_mov_b32 s15, exec_lo
	v_cmpx_ne_u32_e32 0x7f, v41
	s_cbranch_execz .LBB323_1937
; %bb.1934:                             ;   in Loop: Header=BB323_991 Depth=1
	v_and_b32_e32 v119, 7, v0
	v_lshrrev_b32_e32 v40, 3, v41
	s_mov_b32 s18, exec_lo
	v_cmpx_gt_u32_e32 8, v41
; %bb.1935:                             ;   in Loop: Header=BB323_991 Depth=1
	v_ffbh_u32_e32 v119, v119
	v_min_u32_e32 v119, 32, v119
	v_subrev_nc_u32_e32 v40, 28, v119
	v_lshlrev_b64 v[41:42], v40, v[0:1]
	v_sub_nc_u32_e32 v40, 29, v119
	v_and_b32_e32 v119, 7, v41
; %bb.1936:                             ;   in Loop: Header=BB323_991 Depth=1
	s_or_b32 exec_lo, exec_lo, s18
	v_lshlrev_b32_e32 v0, 8, v0
	v_lshl_add_u32 v40, v40, 10, 0x2000
	v_lshlrev_b32_e32 v119, 7, v119
	v_and_b32_e32 v0, 0x8000, v0
	v_and_b32_e32 v40, 0xfc00, v40
	v_or3_b32 v119, v0, v40, v119
.LBB323_1937:                           ;   in Loop: Header=BB323_991 Depth=1
	s_or_b32 exec_lo, exec_lo, s15
.LBB323_1938:                           ;   in Loop: Header=BB323_991 Depth=1
	s_or_b32 exec_lo, exec_lo, s13
.LBB323_1939:                           ;   in Loop: Header=BB323_991 Depth=1
	s_or_b32 exec_lo, exec_lo, s12
	s_mov_b32 s12, exec_lo
	v_cmpx_lt_u32_e32 0xffffff, v9
	s_cbranch_execz .LBB323_1947
; %bb.1940:                             ;   in Loop: Header=BB323_991 Depth=1
	v_lshrrev_b32_e32 v0, 24, v9
	v_bfrev_b32_e32 v118, 1
	s_mov_b32 s13, exec_lo
	v_cmpx_ne_u32_e32 0x80, v0
	s_cbranch_execz .LBB323_1946
; %bb.1941:                             ;   in Loop: Header=BB323_991 Depth=1
	v_and_b32_e32 v41, 0x7f, v0
	v_mov_b32_e32 v118, 0x7c010000
	s_mov_b32 s15, exec_lo
	v_cmpx_ne_u32_e32 0x7f, v41
	s_cbranch_execz .LBB323_1945
; %bb.1942:                             ;   in Loop: Header=BB323_991 Depth=1
	v_and_b32_e32 v118, 7, v0
	v_lshrrev_b32_e32 v40, 3, v41
	s_mov_b32 s18, exec_lo
	v_cmpx_gt_u32_e32 8, v41
; %bb.1943:                             ;   in Loop: Header=BB323_991 Depth=1
	v_ffbh_u32_e32 v118, v118
	v_min_u32_e32 v118, 32, v118
	v_subrev_nc_u32_e32 v40, 28, v118
	v_lshlrev_b64 v[41:42], v40, v[0:1]
	v_sub_nc_u32_e32 v40, 29, v118
	v_and_b32_e32 v118, 7, v41
; %bb.1944:                             ;   in Loop: Header=BB323_991 Depth=1
	s_or_b32 exec_lo, exec_lo, s18
	v_lshlrev_b32_e32 v0, 8, v0
	v_lshl_add_u32 v40, v40, 10, 0x2000
	v_lshlrev_b32_e32 v118, 23, v118
	v_and_or_b32 v0, 0x8000, v0, v40
	v_lshl_or_b32 v118, v0, 16, v118
.LBB323_1945:                           ;   in Loop: Header=BB323_991 Depth=1
	s_or_b32 exec_lo, exec_lo, s15
.LBB323_1946:                           ;   in Loop: Header=BB323_991 Depth=1
	s_or_b32 exec_lo, exec_lo, s13
.LBB323_1947:                           ;   in Loop: Header=BB323_991 Depth=1
	s_or_b32 exec_lo, exec_lo, s12
	v_mov_b32_e32 v0, v10
	v_cmp_ne_u16_sdwa s4, v10, v1 src0_sel:BYTE_0 src1_sel:DWORD
	v_mov_b32_e32 v40, 0
	v_mov_b32_e32 v41, 0
	s_and_saveexec_b32 s12, s4
	s_cbranch_execz .LBB323_1955
; %bb.1948:                             ;   in Loop: Header=BB323_991 Depth=1
	v_cmp_ne_u16_sdwa s4, v10, v16 src0_sel:BYTE_0 src1_sel:DWORD
	v_mov_b32_e32 v41, 0x8000
	s_and_saveexec_b32 s13, s4
	s_cbranch_execz .LBB323_1954
; %bb.1949:                             ;   in Loop: Header=BB323_991 Depth=1
	v_and_b32_e32 v43, 0x7f, v10
	v_mov_b32_e32 v41, 0x7c01
	s_mov_b32 s15, exec_lo
	v_cmpx_ne_u32_e32 0x7f, v43
	s_cbranch_execz .LBB323_1953
; %bb.1950:                             ;   in Loop: Header=BB323_991 Depth=1
	v_and_b32_e32 v41, 7, v10
	v_lshrrev_b32_e32 v42, 3, v43
	s_mov_b32 s18, exec_lo
	v_cmpx_gt_u32_e32 8, v43
; %bb.1951:                             ;   in Loop: Header=BB323_991 Depth=1
	v_ffbh_u32_e32 v41, v41
	v_min_u32_e32 v43, 32, v41
	v_subrev_nc_u32_e32 v41, 28, v43
	v_lshlrev_b64 v[41:42], v41, v[0:1]
	v_sub_nc_u32_e32 v42, 29, v43
	v_and_b32_e32 v41, 7, v41
; %bb.1952:                             ;   in Loop: Header=BB323_991 Depth=1
	s_or_b32 exec_lo, exec_lo, s18
	v_lshlrev_b32_e32 v43, 8, v10
	v_lshl_add_u32 v42, v42, 10, 0x2000
	v_lshlrev_b32_e32 v41, 7, v41
	v_and_b32_e32 v43, 0x8000, v43
	v_and_b32_e32 v42, 0xfc00, v42
	v_or3_b32 v41, v43, v42, v41
.LBB323_1953:                           ;   in Loop: Header=BB323_991 Depth=1
	s_or_b32 exec_lo, exec_lo, s15
.LBB323_1954:                           ;   in Loop: Header=BB323_991 Depth=1
	s_or_b32 exec_lo, exec_lo, s13
.LBB323_1955:                           ;   in Loop: Header=BB323_991 Depth=1
	s_or_b32 exec_lo, exec_lo, s12
	v_lshrrev_b16 v0, 8, v0
	v_mov_b32_e32 v42, 0
	s_mov_b32 s12, exec_lo
	v_cmpx_ne_u16_e32 0, v0
	s_cbranch_execz .LBB323_1963
; %bb.1956:                             ;   in Loop: Header=BB323_991 Depth=1
	v_bfrev_b32_e32 v42, 1
	s_mov_b32 s13, exec_lo
	v_cmpx_ne_u16_e32 0x80, v0
	s_cbranch_execz .LBB323_1962
; %bb.1957:                             ;   in Loop: Header=BB323_991 Depth=1
	v_and_b32_sdwa v44, v0, v17 dst_sel:DWORD dst_unused:UNUSED_PAD src0_sel:WORD_0 src1_sel:DWORD
	v_mov_b32_e32 v42, 0x7c010000
	s_mov_b32 s15, exec_lo
	v_cmpx_ne_u32_e32 0x7f, v44
	s_cbranch_execz .LBB323_1961
; %bb.1958:                             ;   in Loop: Header=BB323_991 Depth=1
	v_and_b32_sdwa v42, v0, v37 dst_sel:DWORD dst_unused:UNUSED_PAD src0_sel:WORD_0 src1_sel:DWORD
	v_lshrrev_b32_e32 v43, 3, v44
	s_mov_b32 s18, exec_lo
	v_cmpx_gt_u32_e32 8, v44
; %bb.1959:                             ;   in Loop: Header=BB323_991 Depth=1
	v_ffbh_u32_e32 v42, v42
	v_min_u32_e32 v44, 32, v42
	v_subrev_nc_u32_e32 v42, 28, v44
	v_lshlrev_b64 v[42:43], v42, v[0:1]
	v_sub_nc_u32_e32 v43, 29, v44
	v_and_b32_e32 v42, 7, v42
; %bb.1960:                             ;   in Loop: Header=BB323_991 Depth=1
	s_or_b32 exec_lo, exec_lo, s18
	v_lshlrev_b32_sdwa v0, v53, v0 dst_sel:DWORD dst_unused:UNUSED_PAD src0_sel:DWORD src1_sel:WORD_0
	v_lshl_add_u32 v43, v43, 10, 0x2000
	v_lshlrev_b32_e32 v42, 23, v42
	v_and_or_b32 v0, 0x8000, v0, v43
	v_lshl_or_b32 v42, v0, 16, v42
.LBB323_1961:                           ;   in Loop: Header=BB323_991 Depth=1
	s_or_b32 exec_lo, exec_lo, s15
.LBB323_1962:                           ;   in Loop: Header=BB323_991 Depth=1
	s_or_b32 exec_lo, exec_lo, s13
.LBB323_1963:                           ;   in Loop: Header=BB323_991 Depth=1
	s_or_b32 exec_lo, exec_lo, s12
	v_lshrrev_b32_e32 v0, 16, v10
	v_cmp_ne_u16_sdwa s4, v0, v1 src0_sel:BYTE_0 src1_sel:DWORD
	s_and_saveexec_b32 s12, s4
	s_cbranch_execz .LBB323_1971
; %bb.1964:                             ;   in Loop: Header=BB323_991 Depth=1
	v_cmp_ne_u16_sdwa s4, v0, v16 src0_sel:BYTE_0 src1_sel:DWORD
	v_mov_b32_e32 v40, 0x8000
	s_and_saveexec_b32 s13, s4
	s_cbranch_execz .LBB323_1970
; %bb.1965:                             ;   in Loop: Header=BB323_991 Depth=1
	v_bfe_u32 v44, v10, 16, 7
	v_mov_b32_e32 v40, 0x7c01
	s_mov_b32 s15, exec_lo
	v_cmpx_ne_u32_e32 0x7f, v44
	s_cbranch_execz .LBB323_1969
; %bb.1966:                             ;   in Loop: Header=BB323_991 Depth=1
	v_and_b32_e32 v40, 7, v0
	v_lshrrev_b32_e32 v43, 3, v44
	s_mov_b32 s18, exec_lo
	v_cmpx_gt_u32_e32 8, v44
; %bb.1967:                             ;   in Loop: Header=BB323_991 Depth=1
	v_ffbh_u32_e32 v40, v40
	v_min_u32_e32 v40, 32, v40
	v_subrev_nc_u32_e32 v43, 28, v40
	v_lshlrev_b64 v[44:45], v43, v[0:1]
	v_sub_nc_u32_e32 v43, 29, v40
	v_and_b32_e32 v40, 7, v44
; %bb.1968:                             ;   in Loop: Header=BB323_991 Depth=1
	s_or_b32 exec_lo, exec_lo, s18
	v_lshlrev_b32_e32 v0, 8, v0
	v_lshl_add_u32 v43, v43, 10, 0x2000
	v_lshlrev_b32_e32 v40, 7, v40
	v_and_b32_e32 v0, 0x8000, v0
	v_and_b32_e32 v43, 0xfc00, v43
	v_or3_b32 v40, v0, v43, v40
.LBB323_1969:                           ;   in Loop: Header=BB323_991 Depth=1
	s_or_b32 exec_lo, exec_lo, s15
.LBB323_1970:                           ;   in Loop: Header=BB323_991 Depth=1
	s_or_b32 exec_lo, exec_lo, s13
.LBB323_1971:                           ;   in Loop: Header=BB323_991 Depth=1
	s_or_b32 exec_lo, exec_lo, s12
	v_cmp_lt_u64_e64 s4, s[8:9], v[9:10]
	v_mov_b32_e32 v9, 0
	s_and_saveexec_b32 s12, s4
	s_cbranch_execz .LBB323_1979
; %bb.1972:                             ;   in Loop: Header=BB323_991 Depth=1
	v_lshrrev_b32_e32 v0, 24, v10
	v_bfrev_b32_e32 v9, 1
	s_mov_b32 s13, exec_lo
	v_cmpx_ne_u32_e32 0x80, v0
	s_cbranch_execz .LBB323_1978
; %bb.1973:                             ;   in Loop: Header=BB323_991 Depth=1
	v_and_b32_e32 v43, 0x7f, v0
	v_mov_b32_e32 v9, 0x7c010000
	s_mov_b32 s15, exec_lo
	v_cmpx_ne_u32_e32 0x7f, v43
	s_cbranch_execz .LBB323_1977
; %bb.1974:                             ;   in Loop: Header=BB323_991 Depth=1
	v_and_b32_e32 v9, 7, v0
	v_lshrrev_b32_e32 v10, 3, v43
	s_mov_b32 s18, exec_lo
	v_cmpx_gt_u32_e32 8, v43
; %bb.1975:                             ;   in Loop: Header=BB323_991 Depth=1
	v_ffbh_u32_e32 v9, v9
	v_min_u32_e32 v43, 32, v9
	v_subrev_nc_u32_e32 v9, 28, v43
	v_lshlrev_b64 v[9:10], v9, v[0:1]
	v_sub_nc_u32_e32 v10, 29, v43
	v_and_b32_e32 v9, 7, v9
; %bb.1976:                             ;   in Loop: Header=BB323_991 Depth=1
	s_or_b32 exec_lo, exec_lo, s18
	v_lshlrev_b32_e32 v0, 8, v0
	v_lshl_add_u32 v10, v10, 10, 0x2000
	v_lshlrev_b32_e32 v9, 23, v9
	v_and_or_b32 v0, 0x8000, v0, v10
	v_lshl_or_b32 v9, v0, 16, v9
.LBB323_1977:                           ;   in Loop: Header=BB323_991 Depth=1
	s_or_b32 exec_lo, exec_lo, s15
.LBB323_1978:                           ;   in Loop: Header=BB323_991 Depth=1
	s_or_b32 exec_lo, exec_lo, s13
.LBB323_1979:                           ;   in Loop: Header=BB323_991 Depth=1
	s_or_b32 exec_lo, exec_lo, s12
	v_or_b32_e32 v0, v118, v119
	s_waitcnt vmcnt(0) lgkmcnt(0)
	v_fma_mixlo_f16 v10, v115, v118, 0 op_sel:[0,1,0] op_sel_hi:[0,1,0]
	v_or_b32_e32 v117, v116, v117
	v_fma_mixlo_f16 v118, v115, v116, 0 op_sel:[0,1,0] op_sel_hi:[0,1,0]
	v_or_b32_e32 v119, v42, v41
	v_fma_mixlo_f16 v0, v115, v0, 0 op_sel_hi:[0,1,0]
	v_or_b32_e32 v40, v9, v40
	v_lshlrev_b32_e32 v116, 16, v10
	v_lshlrev_b32_e32 v41, 16, v118
	v_fma_mixlo_f16 v10, v115, v117, 0 op_sel_hi:[0,1,0]
	v_and_b32_e32 v118, 0xffff, v0
	v_fma_mixlo_f16 v0, v115, v42, 0 op_sel:[0,1,0] op_sel_hi:[0,1,0]
	v_fma_mixlo_f16 v117, v115, v119, 0 op_sel_hi:[0,1,0]
	v_fma_mixlo_f16 v9, v115, v9, 0 op_sel:[0,1,0] op_sel_hi:[0,1,0]
	v_fma_mixlo_f16 v115, v115, v40, 0 op_sel_hi:[0,1,0]
	v_and_b32_e32 v43, 0xffff, v10
	v_lshlrev_b32_e32 v119, 16, v0
	v_and_b32_e32 v42, 0xffff, v117
	v_lshlrev_b32_e32 v117, 16, v9
	v_and_b32_e32 v40, 0xffff, v115
	v_or_b32_e32 v0, v116, v118
	v_or_b32_e32 v115, v41, v43
	;; [unrolled: 1-line block ×4, first 2 shown]
	s_and_saveexec_b32 s4, vcc_lo
	s_cbranch_execz .LBB323_990
; %bb.1980:                             ;   in Loop: Header=BB323_991 Depth=1
	v_cmp_lt_i32_e32 vcc_lo, v54, v33
	v_cndmask_b32_e32 v0, 0, v43, vcc_lo
	v_cmp_lt_i32_e32 vcc_lo, v82, v33
	v_cndmask_b32_e32 v9, 0, v41, vcc_lo
	v_cmp_lt_i32_e32 vcc_lo, v81, v33
	v_or_b32_e32 v115, v0, v9
	v_cndmask_b32_e32 v10, 0, v118, vcc_lo
	v_cmp_lt_i32_e32 vcc_lo, v80, v33
	v_cndmask_b32_e32 v54, 0, v116, vcc_lo
	v_cmp_lt_i32_e32 vcc_lo, v71, v33
	v_or_b32_e32 v0, v10, v54
	;; [unrolled: 5-line block ×3, first 2 shown]
	v_cndmask_b32_e32 v69, 0, v40, vcc_lo
	v_cmp_lt_i32_e32 vcc_lo, v14, v33
	v_cndmask_b32_e32 v80, 0, v117, vcc_lo
	v_or_b32_e32 v9, v69, v80
	s_branch .LBB323_990
.LBB323_1981:
	s_or_b32 exec_lo, exec_lo, s11
	v_mov_b32_e32 v0, s16
	v_mov_b32_e32 v1, s17
.LBB323_1982:
	s_or_b32 exec_lo, exec_lo, s7
	ds_bpermute_b32 v12, v18, v24
	s_waitcnt lgkmcnt(0)
	s_waitcnt_vscnt null, 0x0
	s_barrier
	buffer_gl0_inv
	v_lshlrev_b64 v[0:1], 2, v[0:1]
	s_getpc_b64 s[8:9]
	s_add_u32 s8, s8, llvm.amdgcn.dynlds.offset.table@rel32@lo+4
	s_addc_u32 s9, s9, llvm.amdgcn.dynlds.offset.table@rel32@hi+12
	ds_bpermute_b32 v2, v18, v51
	ds_bpermute_b32 v3, v18, v50
	;; [unrolled: 1-line block ×4, first 2 shown]
	v_add_co_u32 v0, vcc_lo, s8, v0
	v_add_co_ci_u32_e64 v1, null, s9, v1, vcc_lo
	ds_bpermute_b32 v6, v18, v38
	ds_bpermute_b32 v7, v18, v31
	;; [unrolled: 1-line block ×3, first 2 shown]
	global_load_dword v15, v[0:1], off
	ds_bpermute_b32 v0, v18, v49
	ds_bpermute_b32 v1, v18, v52
	v_add_f32_e32 v24, v24, v12
	buffer_load_dword v12, off, s[0:3], s32 offset:348 ; 4-byte Folded Reload
	ds_bpermute_b32 v9, v18, v29
	ds_bpermute_b32 v10, v18, v28
	;; [unrolled: 1-line block ×5, first 2 shown]
	s_waitcnt lgkmcnt(13)
	v_add_f32_e32 v2, v51, v2
	s_waitcnt lgkmcnt(12)
	v_add_f32_e32 v3, v50, v3
	;; [unrolled: 2-line block ×4, first 2 shown]
	ds_bpermute_b32 v34, v13, v24
	s_mov_b32 s4, exec_lo
	s_waitcnt lgkmcnt(10)
	v_add_f32_e32 v6, v38, v6
	s_waitcnt lgkmcnt(9)
	v_add_f32_e32 v7, v31, v7
	;; [unrolled: 2-line block ×3, first 2 shown]
	ds_bpermute_b32 v27, v13, v5
	s_waitcnt lgkmcnt(8)
	v_add_f32_e32 v0, v49, v0
	s_waitcnt lgkmcnt(7)
	v_add_f32_e32 v1, v52, v1
	v_and_b32_e32 v38, 0x3c3, v46
	ds_bpermute_b32 v30, v13, v22
	s_waitcnt lgkmcnt(7)
	v_add_f32_e32 v23, v29, v9
	s_waitcnt lgkmcnt(6)
	v_add_f32_e32 v26, v28, v10
	s_waitcnt lgkmcnt(5)
	v_add_f32_e32 v25, v25, v11
	s_waitcnt lgkmcnt(4)
	v_add_f32_e32 v21, v21, v14
	s_waitcnt lgkmcnt(3)
	v_add_f32_e32 v16, v20, v16
	ds_bpermute_b32 v8, v13, v0
	ds_bpermute_b32 v9, v13, v1
	;; [unrolled: 1-line block ×12, first 2 shown]
	s_waitcnt lgkmcnt(11)
	v_add_f32_e32 v14, v0, v8
	s_waitcnt lgkmcnt(10)
	v_add_f32_e32 v13, v1, v9
	v_add_f32_e32 v9, v5, v27
	s_waitcnt lgkmcnt(8)
	v_add_f32_e32 v11, v3, v11
	s_waitcnt lgkmcnt(6)
	;; [unrolled: 2-line block ×3, first 2 shown]
	v_add_f32_e32 v7, v7, v29
	v_add_f32_e32 v6, v22, v30
	s_waitcnt lgkmcnt(4)
	v_add_f32_e32 v5, v23, v31
	s_waitcnt lgkmcnt(2)
	v_add_f32_e32 v3, v25, v33
	s_waitcnt lgkmcnt(1)
	v_add_f32_e32 v1, v21, v35
	s_waitcnt lgkmcnt(0)
	v_add_f32_e32 v0, v16, v36
	s_waitcnt vmcnt(0)
	v_lshrrev_b32_e32 v17, 2, v12
	v_and_b32_e32 v37, 28, v12
	buffer_load_dword v12, off, s[0:3], s32 offset:352 ; 4-byte Folded Reload
	v_add_nc_u32_e32 v16, v15, v37
	s_waitcnt vmcnt(0)
	v_mul_u32_u24_e32 v18, 0x1e0, v12
	v_add_f32_e32 v12, v2, v10
	v_add_f32_e32 v10, v4, v20
	;; [unrolled: 1-line block ×4, first 2 shown]
	v_cmpx_eq_u32_e32 64, v38
	s_cbranch_execz .LBB323_1984
; %bb.1983:
	v_add_nc_u32_e32 v20, v16, v18
	v_add_nc_u32_e32 v21, 0xfffffc40, v20
	;; [unrolled: 1-line block ×6, first 2 shown]
	ds_write_b32 v21, v14
	ds_write_b32 v22, v13
	;; [unrolled: 1-line block ×5, first 2 shown]
	v_add_nc_u32_e32 v21, 0xfffffce0, v20
	v_add_nc_u32_e32 v22, 0xfffffd00, v20
	;; [unrolled: 1-line block ×5, first 2 shown]
	ds_write_b32 v21, v9
	ds_write_b32 v22, v8
	;; [unrolled: 1-line block ×5, first 2 shown]
	v_add_nc_u32_e32 v21, 0xfffffd80, v20
	v_add_nc_u32_e32 v22, 0xfffffda0, v20
	v_add_nc_u32_e32 v23, 0xfffffdc0, v20
	v_add_nc_u32_e32 v24, 0xfffffde0, v20
	v_add_nc_u32_e32 v20, 0xfffffe00, v20
	ds_write_b32 v21, v4
	ds_write_b32 v22, v3
	;; [unrolled: 1-line block ×5, first 2 shown]
.LBB323_1984:
	s_or_b32 exec_lo, exec_lo, s4
	v_lshlrev_b32_e32 v17, 2, v17
	s_mov_b32 s7, exec_lo
	v_cmp_eq_u32_e32 vcc_lo, 0, v19
	s_waitcnt lgkmcnt(0)
	s_barrier
	v_add3_u32 v15, v15, v18, v17
	buffer_gl0_inv
	v_cmpx_gt_u32_e32 64, v46
	s_cbranch_execz .LBB323_2002
; %bb.1985:
	s_and_saveexec_b32 s4, vcc_lo
	s_cbranch_execnz .LBB323_2025
; %bb.1986:
	s_or_b32 exec_lo, exec_lo, s4
	s_and_saveexec_b32 s4, vcc_lo
	s_cbranch_execnz .LBB323_2026
.LBB323_1987:
	s_or_b32 exec_lo, exec_lo, s4
	s_and_saveexec_b32 s4, vcc_lo
	s_cbranch_execnz .LBB323_2027
.LBB323_1988:
	s_or_b32 exec_lo, exec_lo, s4
	s_and_saveexec_b32 s4, vcc_lo
	s_cbranch_execnz .LBB323_2028
.LBB323_1989:
	s_or_b32 exec_lo, exec_lo, s4
	s_and_saveexec_b32 s4, vcc_lo
	s_cbranch_execnz .LBB323_2029
.LBB323_1990:
	s_or_b32 exec_lo, exec_lo, s4
	s_and_saveexec_b32 s4, vcc_lo
	s_cbranch_execnz .LBB323_2030
.LBB323_1991:
	s_or_b32 exec_lo, exec_lo, s4
	s_and_saveexec_b32 s4, vcc_lo
	s_cbranch_execnz .LBB323_2031
.LBB323_1992:
	s_or_b32 exec_lo, exec_lo, s4
	s_and_saveexec_b32 s4, vcc_lo
	s_cbranch_execnz .LBB323_2032
.LBB323_1993:
	s_or_b32 exec_lo, exec_lo, s4
	s_and_saveexec_b32 s4, vcc_lo
	s_cbranch_execnz .LBB323_2033
.LBB323_1994:
	s_or_b32 exec_lo, exec_lo, s4
	s_and_saveexec_b32 s4, vcc_lo
	s_cbranch_execnz .LBB323_2034
.LBB323_1995:
	s_or_b32 exec_lo, exec_lo, s4
	s_and_saveexec_b32 s4, vcc_lo
	s_cbranch_execnz .LBB323_2035
.LBB323_1996:
	s_or_b32 exec_lo, exec_lo, s4
	s_and_saveexec_b32 s4, vcc_lo
	s_cbranch_execnz .LBB323_2036
.LBB323_1997:
	s_or_b32 exec_lo, exec_lo, s4
	s_and_saveexec_b32 s4, vcc_lo
	s_cbranch_execnz .LBB323_2037
.LBB323_1998:
	s_or_b32 exec_lo, exec_lo, s4
	s_and_saveexec_b32 s4, vcc_lo
	s_cbranch_execnz .LBB323_2038
.LBB323_1999:
	s_or_b32 exec_lo, exec_lo, s4
	s_and_saveexec_b32 s4, vcc_lo
	s_cbranch_execz .LBB323_2001
.LBB323_2000:
	ds_read_b32 v17, v15 offset:448
	s_waitcnt lgkmcnt(0)
	v_add_f32_e32 v0, v17, v0
.LBB323_2001:
	s_or_b32 exec_lo, exec_lo, s4
.LBB323_2002:
	s_or_b32 exec_lo, exec_lo, s7
	v_and_b32_e32 v17, 0x3e3, v46
	s_mov_b32 s7, exec_lo
	s_barrier
	buffer_gl0_inv
	v_cmpx_eq_u32_e32 32, v17
	s_cbranch_execz .LBB323_2004
; %bb.2003:
	ds_write2_b32 v16, v14, v13 offset1:8
	ds_write2_b32 v16, v12, v11 offset0:16 offset1:24
	ds_write2_b32 v16, v10, v9 offset0:32 offset1:40
	ds_write2_b32 v16, v8, v7 offset0:48 offset1:56
	ds_write2_b32 v16, v6, v5 offset0:64 offset1:72
	ds_write2_b32 v16, v4, v3 offset0:80 offset1:88
	ds_write2_b32 v16, v2, v1 offset0:96 offset1:104
	ds_write_b32 v16, v0 offset:448
.LBB323_2004:
	s_or_b32 exec_lo, exec_lo, s7
	s_mov_b32 s7, exec_lo
	s_waitcnt lgkmcnt(0)
	s_barrier
	buffer_gl0_inv
	v_cmpx_gt_u32_e32 32, v46
	s_cbranch_execz .LBB323_2022
; %bb.2005:
	s_and_saveexec_b32 s4, vcc_lo
	s_cbranch_execnz .LBB323_2039
; %bb.2006:
	s_or_b32 exec_lo, exec_lo, s4
	s_and_saveexec_b32 s4, vcc_lo
	s_cbranch_execnz .LBB323_2040
.LBB323_2007:
	s_or_b32 exec_lo, exec_lo, s4
	s_and_saveexec_b32 s4, vcc_lo
	s_cbranch_execnz .LBB323_2041
.LBB323_2008:
	s_or_b32 exec_lo, exec_lo, s4
	s_and_saveexec_b32 s4, vcc_lo
	s_cbranch_execnz .LBB323_2042
.LBB323_2009:
	s_or_b32 exec_lo, exec_lo, s4
	s_and_saveexec_b32 s4, vcc_lo
	s_cbranch_execnz .LBB323_2043
.LBB323_2010:
	s_or_b32 exec_lo, exec_lo, s4
	s_and_saveexec_b32 s4, vcc_lo
	s_cbranch_execnz .LBB323_2044
.LBB323_2011:
	s_or_b32 exec_lo, exec_lo, s4
	s_and_saveexec_b32 s4, vcc_lo
	s_cbranch_execnz .LBB323_2045
.LBB323_2012:
	s_or_b32 exec_lo, exec_lo, s4
	s_and_saveexec_b32 s4, vcc_lo
	s_cbranch_execnz .LBB323_2046
.LBB323_2013:
	s_or_b32 exec_lo, exec_lo, s4
	s_and_saveexec_b32 s4, vcc_lo
	s_cbranch_execnz .LBB323_2047
.LBB323_2014:
	s_or_b32 exec_lo, exec_lo, s4
	s_and_saveexec_b32 s4, vcc_lo
	s_cbranch_execnz .LBB323_2048
.LBB323_2015:
	s_or_b32 exec_lo, exec_lo, s4
	s_and_saveexec_b32 s4, vcc_lo
	s_cbranch_execnz .LBB323_2049
.LBB323_2016:
	s_or_b32 exec_lo, exec_lo, s4
	s_and_saveexec_b32 s4, vcc_lo
	s_cbranch_execnz .LBB323_2050
.LBB323_2017:
	s_or_b32 exec_lo, exec_lo, s4
	s_and_saveexec_b32 s4, vcc_lo
	s_cbranch_execnz .LBB323_2051
.LBB323_2018:
	s_or_b32 exec_lo, exec_lo, s4
	s_and_saveexec_b32 s4, vcc_lo
	s_cbranch_execnz .LBB323_2052
.LBB323_2019:
	s_or_b32 exec_lo, exec_lo, s4
	s_and_saveexec_b32 s4, vcc_lo
	s_cbranch_execz .LBB323_2021
.LBB323_2020:
	ds_read_b32 v15, v15 offset:448
	s_waitcnt lgkmcnt(0)
	v_add_f32_e32 v0, v15, v0
.LBB323_2021:
	s_or_b32 exec_lo, exec_lo, s4
.LBB323_2022:
	s_or_b32 exec_lo, exec_lo, s7
	v_cmp_eq_u32_e32 vcc_lo, 0, v17
	s_barrier
	buffer_gl0_inv
	s_and_b32 exec_lo, exec_lo, vcc_lo
	s_cbranch_execz .LBB323_2024
; %bb.2023:
	s_clause 0x1
	buffer_load_dword v15, off, s[0:3], s32 offset:368
	buffer_load_dword v16, off, s[0:3], s32 offset:364
	s_mulk_i32 s6, 0x78
	s_mul_i32 s4, s10, s5
	s_ashr_i32 s7, s6, 31
	s_ashr_i32 s5, s4, 31
	s_lshl_b64 s[6:7], s[6:7], 1
	s_lshl_b64 s[4:5], s[4:5], 1
	v_lshrrev_b32_e32 v17, 1, v46
	;;#ASMSTART
	v_cvt_f16_f32 v14, v14;

	;;#ASMEND
	s_waitcnt vmcnt(1)
	v_add_co_u32 v15, vcc_lo, v15, s6
	s_waitcnt vmcnt(0)
	v_add_co_ci_u32_e64 v16, null, s7, v16, vcc_lo
	s_mul_i32 s6, s14, 0x78
	v_add_co_u32 v15, vcc_lo, v15, s4
	s_ashr_i32 s7, s6, 31
	v_add_co_ci_u32_e64 v16, null, s5, v16, vcc_lo
	s_lshl_b64 s[4:5], s[6:7], 1
	v_add_co_u32 v15, vcc_lo, v15, s4
	v_add_co_ci_u32_e64 v16, null, s5, v16, vcc_lo
	v_add_co_u32 v15, vcc_lo, v15, v17
	v_add_co_ci_u32_e64 v16, null, 0, v16, vcc_lo
	flat_store_short v[15:16], v14
	;;#ASMSTART
	v_cvt_f16_f32 v13, v13;

	;;#ASMEND
	flat_store_short v[15:16], v13 offset:16
	;;#ASMSTART
	v_cvt_f16_f32 v12, v12;

	;;#ASMEND
	flat_store_short v[15:16], v12 offset:32
	;; [unrolled: 5-line block ×14, first 2 shown]
.LBB323_2024:
	s_or_b32 exec_lo, exec_lo, s19
	s_clause 0x2f
	buffer_load_dword v127, off, s[0:3], s32
	buffer_load_dword v126, off, s[0:3], s32 offset:4
	buffer_load_dword v125, off, s[0:3], s32 offset:8
	;; [unrolled: 1-line block ×47, first 2 shown]
	s_waitcnt vmcnt(0) lgkmcnt(0)
	s_setpc_b64 s[30:31]
.LBB323_2025:
	ds_read_b32 v17, v15
	s_waitcnt lgkmcnt(0)
	v_add_f32_e32 v14, v17, v14
	s_or_b32 exec_lo, exec_lo, s4
	s_and_saveexec_b32 s4, vcc_lo
	s_cbranch_execz .LBB323_1987
.LBB323_2026:
	ds_read_b32 v17, v15 offset:32
	s_waitcnt lgkmcnt(0)
	v_add_f32_e32 v13, v17, v13
	s_or_b32 exec_lo, exec_lo, s4
	s_and_saveexec_b32 s4, vcc_lo
	s_cbranch_execz .LBB323_1988
.LBB323_2027:
	ds_read_b32 v17, v15 offset:64
	s_waitcnt lgkmcnt(0)
	v_add_f32_e32 v12, v17, v12
	s_or_b32 exec_lo, exec_lo, s4
	s_and_saveexec_b32 s4, vcc_lo
	s_cbranch_execz .LBB323_1989
.LBB323_2028:
	ds_read_b32 v17, v15 offset:96
	s_waitcnt lgkmcnt(0)
	v_add_f32_e32 v11, v17, v11
	s_or_b32 exec_lo, exec_lo, s4
	s_and_saveexec_b32 s4, vcc_lo
	s_cbranch_execz .LBB323_1990
.LBB323_2029:
	ds_read_b32 v17, v15 offset:128
	s_waitcnt lgkmcnt(0)
	v_add_f32_e32 v10, v17, v10
	s_or_b32 exec_lo, exec_lo, s4
	s_and_saveexec_b32 s4, vcc_lo
	s_cbranch_execz .LBB323_1991
.LBB323_2030:
	ds_read_b32 v17, v15 offset:160
	s_waitcnt lgkmcnt(0)
	v_add_f32_e32 v9, v17, v9
	s_or_b32 exec_lo, exec_lo, s4
	s_and_saveexec_b32 s4, vcc_lo
	s_cbranch_execz .LBB323_1992
.LBB323_2031:
	ds_read_b32 v17, v15 offset:192
	s_waitcnt lgkmcnt(0)
	v_add_f32_e32 v8, v17, v8
	s_or_b32 exec_lo, exec_lo, s4
	s_and_saveexec_b32 s4, vcc_lo
	s_cbranch_execz .LBB323_1993
.LBB323_2032:
	ds_read_b32 v17, v15 offset:224
	s_waitcnt lgkmcnt(0)
	v_add_f32_e32 v7, v17, v7
	s_or_b32 exec_lo, exec_lo, s4
	s_and_saveexec_b32 s4, vcc_lo
	s_cbranch_execz .LBB323_1994
.LBB323_2033:
	ds_read_b32 v17, v15 offset:256
	s_waitcnt lgkmcnt(0)
	v_add_f32_e32 v6, v17, v6
	s_or_b32 exec_lo, exec_lo, s4
	s_and_saveexec_b32 s4, vcc_lo
	s_cbranch_execz .LBB323_1995
.LBB323_2034:
	ds_read_b32 v17, v15 offset:288
	s_waitcnt lgkmcnt(0)
	v_add_f32_e32 v5, v17, v5
	s_or_b32 exec_lo, exec_lo, s4
	s_and_saveexec_b32 s4, vcc_lo
	s_cbranch_execz .LBB323_1996
.LBB323_2035:
	ds_read_b32 v17, v15 offset:320
	s_waitcnt lgkmcnt(0)
	v_add_f32_e32 v4, v17, v4
	s_or_b32 exec_lo, exec_lo, s4
	s_and_saveexec_b32 s4, vcc_lo
	s_cbranch_execz .LBB323_1997
.LBB323_2036:
	ds_read_b32 v17, v15 offset:352
	s_waitcnt lgkmcnt(0)
	v_add_f32_e32 v3, v17, v3
	s_or_b32 exec_lo, exec_lo, s4
	s_and_saveexec_b32 s4, vcc_lo
	s_cbranch_execz .LBB323_1998
.LBB323_2037:
	ds_read_b32 v17, v15 offset:384
	s_waitcnt lgkmcnt(0)
	v_add_f32_e32 v2, v17, v2
	s_or_b32 exec_lo, exec_lo, s4
	s_and_saveexec_b32 s4, vcc_lo
	s_cbranch_execz .LBB323_1999
.LBB323_2038:
	ds_read_b32 v17, v15 offset:416
	s_waitcnt lgkmcnt(0)
	v_add_f32_e32 v1, v17, v1
	s_or_b32 exec_lo, exec_lo, s4
	s_and_saveexec_b32 s4, vcc_lo
	s_cbranch_execnz .LBB323_2000
	s_branch .LBB323_2001
.LBB323_2039:
	ds_read_b32 v16, v15
	s_waitcnt lgkmcnt(0)
	v_add_f32_e32 v14, v16, v14
	s_or_b32 exec_lo, exec_lo, s4
	s_and_saveexec_b32 s4, vcc_lo
	s_cbranch_execz .LBB323_2007
.LBB323_2040:
	ds_read_b32 v16, v15 offset:32
	s_waitcnt lgkmcnt(0)
	v_add_f32_e32 v13, v16, v13
	s_or_b32 exec_lo, exec_lo, s4
	s_and_saveexec_b32 s4, vcc_lo
	s_cbranch_execz .LBB323_2008
.LBB323_2041:
	ds_read_b32 v16, v15 offset:64
	s_waitcnt lgkmcnt(0)
	v_add_f32_e32 v12, v16, v12
	s_or_b32 exec_lo, exec_lo, s4
	s_and_saveexec_b32 s4, vcc_lo
	s_cbranch_execz .LBB323_2009
.LBB323_2042:
	ds_read_b32 v16, v15 offset:96
	s_waitcnt lgkmcnt(0)
	v_add_f32_e32 v11, v16, v11
	s_or_b32 exec_lo, exec_lo, s4
	s_and_saveexec_b32 s4, vcc_lo
	s_cbranch_execz .LBB323_2010
.LBB323_2043:
	ds_read_b32 v16, v15 offset:128
	s_waitcnt lgkmcnt(0)
	v_add_f32_e32 v10, v16, v10
	s_or_b32 exec_lo, exec_lo, s4
	s_and_saveexec_b32 s4, vcc_lo
	s_cbranch_execz .LBB323_2011
.LBB323_2044:
	ds_read_b32 v16, v15 offset:160
	s_waitcnt lgkmcnt(0)
	v_add_f32_e32 v9, v16, v9
	s_or_b32 exec_lo, exec_lo, s4
	s_and_saveexec_b32 s4, vcc_lo
	s_cbranch_execz .LBB323_2012
.LBB323_2045:
	ds_read_b32 v16, v15 offset:192
	s_waitcnt lgkmcnt(0)
	v_add_f32_e32 v8, v16, v8
	s_or_b32 exec_lo, exec_lo, s4
	s_and_saveexec_b32 s4, vcc_lo
	s_cbranch_execz .LBB323_2013
.LBB323_2046:
	ds_read_b32 v16, v15 offset:224
	s_waitcnt lgkmcnt(0)
	v_add_f32_e32 v7, v16, v7
	s_or_b32 exec_lo, exec_lo, s4
	s_and_saveexec_b32 s4, vcc_lo
	s_cbranch_execz .LBB323_2014
.LBB323_2047:
	ds_read_b32 v16, v15 offset:256
	s_waitcnt lgkmcnt(0)
	v_add_f32_e32 v6, v16, v6
	s_or_b32 exec_lo, exec_lo, s4
	s_and_saveexec_b32 s4, vcc_lo
	s_cbranch_execz .LBB323_2015
.LBB323_2048:
	ds_read_b32 v16, v15 offset:288
	s_waitcnt lgkmcnt(0)
	v_add_f32_e32 v5, v16, v5
	s_or_b32 exec_lo, exec_lo, s4
	s_and_saveexec_b32 s4, vcc_lo
	s_cbranch_execz .LBB323_2016
.LBB323_2049:
	ds_read_b32 v16, v15 offset:320
	s_waitcnt lgkmcnt(0)
	v_add_f32_e32 v4, v16, v4
	s_or_b32 exec_lo, exec_lo, s4
	s_and_saveexec_b32 s4, vcc_lo
	s_cbranch_execz .LBB323_2017
.LBB323_2050:
	ds_read_b32 v16, v15 offset:352
	s_waitcnt lgkmcnt(0)
	v_add_f32_e32 v3, v16, v3
	s_or_b32 exec_lo, exec_lo, s4
	s_and_saveexec_b32 s4, vcc_lo
	s_cbranch_execz .LBB323_2018
.LBB323_2051:
	ds_read_b32 v16, v15 offset:384
	s_waitcnt lgkmcnt(0)
	v_add_f32_e32 v2, v16, v2
	s_or_b32 exec_lo, exec_lo, s4
	s_and_saveexec_b32 s4, vcc_lo
	s_cbranch_execz .LBB323_2019
.LBB323_2052:
	ds_read_b32 v16, v15 offset:416
	s_waitcnt lgkmcnt(0)
	v_add_f32_e32 v1, v16, v1
	s_or_b32 exec_lo, exec_lo, s4
	s_and_saveexec_b32 s4, vcc_lo
	s_cbranch_execnz .LBB323_2020
	s_branch .LBB323_2021
.Lfunc_end323:
	.size	_ZN4vllm22paged_attention_kernelIthLi120ELi32ELi128ELNS_18Fp8KVCacheDataTypeE1ELb0ELi512EEEvPfS2_PT_PKS3_PKT0_S9_ifPKiSB_iPKfiiiSD_SD_iiiii, .Lfunc_end323-_ZN4vllm22paged_attention_kernelIthLi120ELi32ELi128ELNS_18Fp8KVCacheDataTypeE1ELb0ELi512EEEvPfS2_PT_PKS3_PKT0_S9_ifPKiSB_iPKfiiiSD_SD_iiiii
                                        ; -- End function
	.set .L_ZN4vllm22paged_attention_kernelIthLi120ELi32ELi128ELNS_18Fp8KVCacheDataTypeE1ELb0ELi512EEEvPfS2_PT_PKS3_PKT0_S9_ifPKiSB_iPKfiiiSD_SD_iiiii.num_vgpr, 128
	.set .L_ZN4vllm22paged_attention_kernelIthLi120ELi32ELi128ELNS_18Fp8KVCacheDataTypeE1ELb0ELi512EEEvPfS2_PT_PKS3_PKT0_S9_ifPKiSB_iPKfiiiSD_SD_iiiii.num_agpr, 0
	.set .L_ZN4vllm22paged_attention_kernelIthLi120ELi32ELi128ELNS_18Fp8KVCacheDataTypeE1ELb0ELi512EEEvPfS2_PT_PKS3_PKT0_S9_ifPKiSB_iPKfiiiSD_SD_iiiii.numbered_sgpr, 33
	.set .L_ZN4vllm22paged_attention_kernelIthLi120ELi32ELi128ELNS_18Fp8KVCacheDataTypeE1ELb0ELi512EEEvPfS2_PT_PKS3_PKT0_S9_ifPKiSB_iPKfiiiSD_SD_iiiii.num_named_barrier, 0
	.set .L_ZN4vllm22paged_attention_kernelIthLi120ELi32ELi128ELNS_18Fp8KVCacheDataTypeE1ELb0ELi512EEEvPfS2_PT_PKS3_PKT0_S9_ifPKiSB_iPKfiiiSD_SD_iiiii.private_seg_size, 428
	.set .L_ZN4vllm22paged_attention_kernelIthLi120ELi32ELi128ELNS_18Fp8KVCacheDataTypeE1ELb0ELi512EEEvPfS2_PT_PKS3_PKT0_S9_ifPKiSB_iPKfiiiSD_SD_iiiii.uses_vcc, 1
	.set .L_ZN4vllm22paged_attention_kernelIthLi120ELi32ELi128ELNS_18Fp8KVCacheDataTypeE1ELb0ELi512EEEvPfS2_PT_PKS3_PKT0_S9_ifPKiSB_iPKfiiiSD_SD_iiiii.uses_flat_scratch, 0
	.set .L_ZN4vllm22paged_attention_kernelIthLi120ELi32ELi128ELNS_18Fp8KVCacheDataTypeE1ELb0ELi512EEEvPfS2_PT_PKS3_PKT0_S9_ifPKiSB_iPKfiiiSD_SD_iiiii.has_dyn_sized_stack, 0
	.set .L_ZN4vllm22paged_attention_kernelIthLi120ELi32ELi128ELNS_18Fp8KVCacheDataTypeE1ELb0ELi512EEEvPfS2_PT_PKS3_PKT0_S9_ifPKiSB_iPKfiiiSD_SD_iiiii.has_recursion, 0
	.set .L_ZN4vllm22paged_attention_kernelIthLi120ELi32ELi128ELNS_18Fp8KVCacheDataTypeE1ELb0ELi512EEEvPfS2_PT_PKS3_PKT0_S9_ifPKiSB_iPKfiiiSD_SD_iiiii.has_indirect_call, 0
	.section	.AMDGPU.csdata,"",@progbits
; Function info:
; codeLenInByte = 68760
; TotalNumSgprs: 35
; NumVgprs: 128
; ScratchSize: 428
; MemoryBound: 0
	.section	.text._ZN4vllm25paged_attention_v2_kernelIthLi120ELi32ELi128ELNS_18Fp8KVCacheDataTypeE1ELb0ELi512EEEvPfS2_PT_PKS3_PKT0_S9_ifPKiSB_iPKfiiiSD_SD_iiiii,"axG",@progbits,_ZN4vllm25paged_attention_v2_kernelIthLi120ELi32ELi128ELNS_18Fp8KVCacheDataTypeE1ELb0ELi512EEEvPfS2_PT_PKS3_PKT0_S9_ifPKiSB_iPKfiiiSD_SD_iiiii,comdat
	.protected	_ZN4vllm25paged_attention_v2_kernelIthLi120ELi32ELi128ELNS_18Fp8KVCacheDataTypeE1ELb0ELi512EEEvPfS2_PT_PKS3_PKT0_S9_ifPKiSB_iPKfiiiSD_SD_iiiii ; -- Begin function _ZN4vllm25paged_attention_v2_kernelIthLi120ELi32ELi128ELNS_18Fp8KVCacheDataTypeE1ELb0ELi512EEEvPfS2_PT_PKS3_PKT0_S9_ifPKiSB_iPKfiiiSD_SD_iiiii
	.globl	_ZN4vllm25paged_attention_v2_kernelIthLi120ELi32ELi128ELNS_18Fp8KVCacheDataTypeE1ELb0ELi512EEEvPfS2_PT_PKS3_PKT0_S9_ifPKiSB_iPKfiiiSD_SD_iiiii
	.p2align	8
	.type	_ZN4vllm25paged_attention_v2_kernelIthLi120ELi32ELi128ELNS_18Fp8KVCacheDataTypeE1ELb0ELi512EEEvPfS2_PT_PKS3_PKT0_S9_ifPKiSB_iPKfiiiSD_SD_iiiii,@function
_ZN4vllm25paged_attention_v2_kernelIthLi120ELi32ELi128ELNS_18Fp8KVCacheDataTypeE1ELb0ELi512EEEvPfS2_PT_PKS3_PKT0_S9_ifPKiSB_iPKfiiiSD_SD_iiiii: ; @_ZN4vllm25paged_attention_v2_kernelIthLi120ELi32ELi128ELNS_18Fp8KVCacheDataTypeE1ELb0ELi512EEEvPfS2_PT_PKS3_PKT0_S9_ifPKiSB_iPKfiiiSD_SD_iiiii
; %bb.0:
	s_clause 0x5
	s_load_dwordx8 s[24:31], s[4:5], 0x0
	s_load_dwordx8 s[16:23], s[4:5], 0x20
	s_load_dwordx2 s[10:11], s[4:5], 0x40
	s_load_dwordx2 s[34:35], s[4:5], 0x50
	s_load_dword s13, s[4:5], 0x48
	s_load_dwordx8 s[36:43], s[4:5], 0x58
	s_add_u32 s0, s0, s9
	s_addc_u32 s1, s1, 0
	v_mov_b32_e32 v31, v0
	s_mov_b32 s14, s8
	s_add_u32 s8, s4, 0x90
	s_addc_u32 s9, s5, 0
	s_getpc_b64 s[4:5]
	s_add_u32 s4, s4, _ZN4vllm22paged_attention_kernelIthLi120ELi32ELi128ELNS_18Fp8KVCacheDataTypeE1ELb0ELi512EEEvPfS2_PT_PKS3_PKT0_S9_ifPKiSB_iPKfiiiSD_SD_iiiii@rel32@lo+4
	s_addc_u32 s5, s5, _ZN4vllm22paged_attention_kernelIthLi120ELi32ELi128ELNS_18Fp8KVCacheDataTypeE1ELb0ELi512EEEvPfS2_PT_PKS3_PKT0_S9_ifPKiSB_iPKfiiiSD_SD_iiiii@rel32@hi+12
	s_mov_b32 s12, s6
	s_mov_b32 s15, 36
	s_mov_b32 s32, 0
	s_waitcnt lgkmcnt(0)
	v_mov_b32_e32 v0, s24
	v_mov_b32_e32 v1, s25
	;; [unrolled: 1-line block ×28, first 2 shown]
	s_mov_b32 s13, s7
	s_swappc_b64 s[30:31], s[4:5]
	s_endpgm
	.section	.rodata,"a",@progbits
	.p2align	6, 0x0
	.amdhsa_kernel _ZN4vllm25paged_attention_v2_kernelIthLi120ELi32ELi128ELNS_18Fp8KVCacheDataTypeE1ELb0ELi512EEEvPfS2_PT_PKS3_PKT0_S9_ifPKiSB_iPKfiiiSD_SD_iiiii
		.amdhsa_group_segment_fixed_size 272
		.amdhsa_private_segment_fixed_size 428
		.amdhsa_kernarg_size 400
		.amdhsa_user_sgpr_count 6
		.amdhsa_user_sgpr_private_segment_buffer 1
		.amdhsa_user_sgpr_dispatch_ptr 0
		.amdhsa_user_sgpr_queue_ptr 0
		.amdhsa_user_sgpr_kernarg_segment_ptr 1
		.amdhsa_user_sgpr_dispatch_id 0
		.amdhsa_user_sgpr_flat_scratch_init 0
		.amdhsa_user_sgpr_private_segment_size 0
		.amdhsa_wavefront_size32 1
		.amdhsa_uses_dynamic_stack 0
		.amdhsa_system_sgpr_private_segment_wavefront_offset 1
		.amdhsa_system_sgpr_workgroup_id_x 1
		.amdhsa_system_sgpr_workgroup_id_y 1
		.amdhsa_system_sgpr_workgroup_id_z 1
		.amdhsa_system_sgpr_workgroup_info 0
		.amdhsa_system_vgpr_workitem_id 0
		.amdhsa_next_free_vgpr 128
		.amdhsa_next_free_sgpr 44
		.amdhsa_reserve_vcc 1
		.amdhsa_reserve_flat_scratch 0
		.amdhsa_float_round_mode_32 0
		.amdhsa_float_round_mode_16_64 0
		.amdhsa_float_denorm_mode_32 3
		.amdhsa_float_denorm_mode_16_64 3
		.amdhsa_dx10_clamp 1
		.amdhsa_ieee_mode 1
		.amdhsa_fp16_overflow 0
		.amdhsa_workgroup_processor_mode 1
		.amdhsa_memory_ordered 1
		.amdhsa_forward_progress 1
		.amdhsa_shared_vgpr_count 0
		.amdhsa_exception_fp_ieee_invalid_op 0
		.amdhsa_exception_fp_denorm_src 0
		.amdhsa_exception_fp_ieee_div_zero 0
		.amdhsa_exception_fp_ieee_overflow 0
		.amdhsa_exception_fp_ieee_underflow 0
		.amdhsa_exception_fp_ieee_inexact 0
		.amdhsa_exception_int_div_zero 0
	.end_amdhsa_kernel
	.section	.text._ZN4vllm25paged_attention_v2_kernelIthLi120ELi32ELi128ELNS_18Fp8KVCacheDataTypeE1ELb0ELi512EEEvPfS2_PT_PKS3_PKT0_S9_ifPKiSB_iPKfiiiSD_SD_iiiii,"axG",@progbits,_ZN4vllm25paged_attention_v2_kernelIthLi120ELi32ELi128ELNS_18Fp8KVCacheDataTypeE1ELb0ELi512EEEvPfS2_PT_PKS3_PKT0_S9_ifPKiSB_iPKfiiiSD_SD_iiiii,comdat
.Lfunc_end324:
	.size	_ZN4vllm25paged_attention_v2_kernelIthLi120ELi32ELi128ELNS_18Fp8KVCacheDataTypeE1ELb0ELi512EEEvPfS2_PT_PKS3_PKT0_S9_ifPKiSB_iPKfiiiSD_SD_iiiii, .Lfunc_end324-_ZN4vllm25paged_attention_v2_kernelIthLi120ELi32ELi128ELNS_18Fp8KVCacheDataTypeE1ELb0ELi512EEEvPfS2_PT_PKS3_PKT0_S9_ifPKiSB_iPKfiiiSD_SD_iiiii
                                        ; -- End function
	.set _ZN4vllm25paged_attention_v2_kernelIthLi120ELi32ELi128ELNS_18Fp8KVCacheDataTypeE1ELb0ELi512EEEvPfS2_PT_PKS3_PKT0_S9_ifPKiSB_iPKfiiiSD_SD_iiiii.num_vgpr, max(32, .L_ZN4vllm22paged_attention_kernelIthLi120ELi32ELi128ELNS_18Fp8KVCacheDataTypeE1ELb0ELi512EEEvPfS2_PT_PKS3_PKT0_S9_ifPKiSB_iPKfiiiSD_SD_iiiii.num_vgpr)
	.set _ZN4vllm25paged_attention_v2_kernelIthLi120ELi32ELi128ELNS_18Fp8KVCacheDataTypeE1ELb0ELi512EEEvPfS2_PT_PKS3_PKT0_S9_ifPKiSB_iPKfiiiSD_SD_iiiii.num_agpr, max(0, .L_ZN4vllm22paged_attention_kernelIthLi120ELi32ELi128ELNS_18Fp8KVCacheDataTypeE1ELb0ELi512EEEvPfS2_PT_PKS3_PKT0_S9_ifPKiSB_iPKfiiiSD_SD_iiiii.num_agpr)
	.set _ZN4vllm25paged_attention_v2_kernelIthLi120ELi32ELi128ELNS_18Fp8KVCacheDataTypeE1ELb0ELi512EEEvPfS2_PT_PKS3_PKT0_S9_ifPKiSB_iPKfiiiSD_SD_iiiii.numbered_sgpr, max(44, .L_ZN4vllm22paged_attention_kernelIthLi120ELi32ELi128ELNS_18Fp8KVCacheDataTypeE1ELb0ELi512EEEvPfS2_PT_PKS3_PKT0_S9_ifPKiSB_iPKfiiiSD_SD_iiiii.numbered_sgpr)
	.set _ZN4vllm25paged_attention_v2_kernelIthLi120ELi32ELi128ELNS_18Fp8KVCacheDataTypeE1ELb0ELi512EEEvPfS2_PT_PKS3_PKT0_S9_ifPKiSB_iPKfiiiSD_SD_iiiii.num_named_barrier, max(0, .L_ZN4vllm22paged_attention_kernelIthLi120ELi32ELi128ELNS_18Fp8KVCacheDataTypeE1ELb0ELi512EEEvPfS2_PT_PKS3_PKT0_S9_ifPKiSB_iPKfiiiSD_SD_iiiii.num_named_barrier)
	.set _ZN4vllm25paged_attention_v2_kernelIthLi120ELi32ELi128ELNS_18Fp8KVCacheDataTypeE1ELb0ELi512EEEvPfS2_PT_PKS3_PKT0_S9_ifPKiSB_iPKfiiiSD_SD_iiiii.private_seg_size, 0+max(.L_ZN4vllm22paged_attention_kernelIthLi120ELi32ELi128ELNS_18Fp8KVCacheDataTypeE1ELb0ELi512EEEvPfS2_PT_PKS3_PKT0_S9_ifPKiSB_iPKfiiiSD_SD_iiiii.private_seg_size)
	.set _ZN4vllm25paged_attention_v2_kernelIthLi120ELi32ELi128ELNS_18Fp8KVCacheDataTypeE1ELb0ELi512EEEvPfS2_PT_PKS3_PKT0_S9_ifPKiSB_iPKfiiiSD_SD_iiiii.uses_vcc, or(1, .L_ZN4vllm22paged_attention_kernelIthLi120ELi32ELi128ELNS_18Fp8KVCacheDataTypeE1ELb0ELi512EEEvPfS2_PT_PKS3_PKT0_S9_ifPKiSB_iPKfiiiSD_SD_iiiii.uses_vcc)
	.set _ZN4vllm25paged_attention_v2_kernelIthLi120ELi32ELi128ELNS_18Fp8KVCacheDataTypeE1ELb0ELi512EEEvPfS2_PT_PKS3_PKT0_S9_ifPKiSB_iPKfiiiSD_SD_iiiii.uses_flat_scratch, or(0, .L_ZN4vllm22paged_attention_kernelIthLi120ELi32ELi128ELNS_18Fp8KVCacheDataTypeE1ELb0ELi512EEEvPfS2_PT_PKS3_PKT0_S9_ifPKiSB_iPKfiiiSD_SD_iiiii.uses_flat_scratch)
	.set _ZN4vllm25paged_attention_v2_kernelIthLi120ELi32ELi128ELNS_18Fp8KVCacheDataTypeE1ELb0ELi512EEEvPfS2_PT_PKS3_PKT0_S9_ifPKiSB_iPKfiiiSD_SD_iiiii.has_dyn_sized_stack, or(0, .L_ZN4vllm22paged_attention_kernelIthLi120ELi32ELi128ELNS_18Fp8KVCacheDataTypeE1ELb0ELi512EEEvPfS2_PT_PKS3_PKT0_S9_ifPKiSB_iPKfiiiSD_SD_iiiii.has_dyn_sized_stack)
	.set _ZN4vllm25paged_attention_v2_kernelIthLi120ELi32ELi128ELNS_18Fp8KVCacheDataTypeE1ELb0ELi512EEEvPfS2_PT_PKS3_PKT0_S9_ifPKiSB_iPKfiiiSD_SD_iiiii.has_recursion, or(0, .L_ZN4vllm22paged_attention_kernelIthLi120ELi32ELi128ELNS_18Fp8KVCacheDataTypeE1ELb0ELi512EEEvPfS2_PT_PKS3_PKT0_S9_ifPKiSB_iPKfiiiSD_SD_iiiii.has_recursion)
	.set _ZN4vllm25paged_attention_v2_kernelIthLi120ELi32ELi128ELNS_18Fp8KVCacheDataTypeE1ELb0ELi512EEEvPfS2_PT_PKS3_PKT0_S9_ifPKiSB_iPKfiiiSD_SD_iiiii.has_indirect_call, or(0, .L_ZN4vllm22paged_attention_kernelIthLi120ELi32ELi128ELNS_18Fp8KVCacheDataTypeE1ELb0ELi512EEEvPfS2_PT_PKS3_PKT0_S9_ifPKiSB_iPKfiiiSD_SD_iiiii.has_indirect_call)
	.section	.AMDGPU.csdata,"",@progbits
; Kernel info:
; codeLenInByte = 240
; TotalNumSgprs: 46
; NumVgprs: 128
; ScratchSize: 428
; MemoryBound: 0
; FloatMode: 240
; IeeeMode: 1
; LDSByteSize: 272 bytes/workgroup (compile time only)
; SGPRBlocks: 0
; VGPRBlocks: 15
; NumSGPRsForWavesPerEU: 46
; NumVGPRsForWavesPerEU: 128
; Occupancy: 8
; WaveLimiterHint : 1
; COMPUTE_PGM_RSRC2:SCRATCH_EN: 1
; COMPUTE_PGM_RSRC2:USER_SGPR: 6
; COMPUTE_PGM_RSRC2:TRAP_HANDLER: 0
; COMPUTE_PGM_RSRC2:TGID_X_EN: 1
; COMPUTE_PGM_RSRC2:TGID_Y_EN: 1
; COMPUTE_PGM_RSRC2:TGID_Z_EN: 1
; COMPUTE_PGM_RSRC2:TIDIG_COMP_CNT: 0
	.text
	.p2align	2                               ; -- Begin function _ZN4vllm22paged_attention_kernelIthLi128ELi32ELi128ELNS_18Fp8KVCacheDataTypeE1ELb0ELi512EEEvPfS2_PT_PKS3_PKT0_S9_ifPKiSB_iPKfiiiSD_SD_iiiii
	.type	_ZN4vllm22paged_attention_kernelIthLi128ELi32ELi128ELNS_18Fp8KVCacheDataTypeE1ELb0ELi512EEEvPfS2_PT_PKS3_PKT0_S9_ifPKiSB_iPKfiiiSD_SD_iiiii,@function
_ZN4vllm22paged_attention_kernelIthLi128ELi32ELi128ELNS_18Fp8KVCacheDataTypeE1ELb0ELi512EEEvPfS2_PT_PKS3_PKT0_S9_ifPKiSB_iPKfiiiSD_SD_iiiii: ; @_ZN4vllm22paged_attention_kernelIthLi128ELi32ELi128ELNS_18Fp8KVCacheDataTypeE1ELb0ELi512EEEvPfS2_PT_PKS3_PKT0_S9_ifPKiSB_iPKfiiiSD_SD_iiiii
; %bb.0:
	s_waitcnt vmcnt(0) expcnt(0) lgkmcnt(0)
	buffer_store_dword v40, off, s[0:3], s32 offset:188 ; 4-byte Folded Spill
	buffer_store_dword v41, off, s[0:3], s32 offset:184 ; 4-byte Folded Spill
	;; [unrolled: 1-line block ×47, first 2 shown]
	buffer_store_dword v127, off, s[0:3], s32 ; 4-byte Folded Spill
	s_mov_b32 s18, s13
	s_ashr_i32 s19, s13, 31
	buffer_store_dword v24, off, s[0:3], s32 offset:360 ; 4-byte Folded Spill
	buffer_store_dword v25, off, s[0:3], s32 offset:364 ; 4-byte Folded Spill
	s_lshl_b64 s[4:5], s[18:19], 2
	buffer_store_dword v15, off, s[0:3], s32 offset:392 ; 4-byte Folded Spill
	buffer_store_dword v14, off, s[0:3], s32 offset:396 ; 4-byte Folded Spill
	;; [unrolled: 1-line block ×5, first 2 shown]
	v_mov_b32_e32 v14, v0
	v_add_co_u32 v0, vcc_lo, v16, s4
	v_mov_b32_e32 v11, v1
	v_add_co_ci_u32_e64 v1, null, s5, v17, vcc_lo
	v_mov_b32_e32 v61, v22
	v_mov_b32_e32 v58, v5
	;; [unrolled: 1-line block ×3, first 2 shown]
	flat_load_dword v34, v[0:1]
	v_mov_b32_e32 v15, v3
	v_mov_b32_e32 v22, v2
	s_lshl_b32 s20, s14, 9
	s_mov_b32 s19, exec_lo
	s_waitcnt vmcnt(0) lgkmcnt(0)
	v_cmpx_lt_i32_e64 s20, v34
	s_cbranch_execz .LBB325_2156
; %bb.1:
	v_sub_nc_u32_e32 v0, 0, v12
	s_clause 0x1
	s_load_dword s4, s[8:9], 0x10
	s_load_dword s5, s[8:9], 0x0
	s_mov_b32 s16, s15
	v_max_i32_e32 v0, v12, v0
	v_cvt_f32_u32_e32 v1, v0
	v_sub_nc_u32_e32 v2, 0, v0
	v_rcp_iflag_f32_e32 v1, v1
	s_waitcnt lgkmcnt(0)
	s_lshr_b32 s4, s4, 16
	s_cmp_lg_u32 s4, 0
	s_cselect_b32 s4, -1, 0
	v_mul_f32_e32 v1, 0x4f7ffffe, v1
	s_cmp_lg_u32 s4, 0
	s_addc_u32 s15, s5, 0
	s_mov_b32 s5, exec_lo
	v_cvt_u32_f32_e32 v1, v1
	s_abs_i32 s4, s15
	v_mul_lo_u32 v2, v2, v1
	v_mul_hi_u32 v2, v1, v2
	v_add_nc_u32_e32 v1, v1, v2
	v_mul_hi_u32 v1, s4, v1
	v_mul_lo_u32 v2, v1, v0
	v_add_nc_u32_e32 v3, 1, v1
	v_sub_nc_u32_e32 v2, s4, v2
	s_abs_i32 s4, s12
	v_sub_nc_u32_e32 v4, v2, v0
	v_cmp_ge_u32_e32 vcc_lo, v2, v0
	v_cndmask_b32_e32 v1, v1, v3, vcc_lo
	v_cndmask_b32_e32 v2, v2, v4, vcc_lo
	v_xor_b32_e32 v3, s15, v12
	v_add_nc_u32_e32 v4, 1, v1
	v_cmp_ge_u32_e32 vcc_lo, v2, v0
	v_ashrrev_i32_e32 v3, 31, v3
	v_cndmask_b32_e32 v0, v1, v4, vcc_lo
	v_xor_b32_e32 v0, v0, v3
	v_sub_nc_u32_e32 v1, v0, v3
	v_sub_nc_u32_e32 v0, 0, v1
	v_max_i32_e32 v0, v1, v0
	v_cvt_f32_u32_e32 v2, v0
	v_sub_nc_u32_e32 v3, 0, v0
	v_rcp_iflag_f32_e32 v2, v2
	v_mul_f32_e32 v2, 0x4f7ffffe, v2
	v_cvt_u32_f32_e32 v2, v2
	v_mul_lo_u32 v3, v3, v2
	v_mul_hi_u32 v3, v2, v3
	v_add_nc_u32_e32 v2, v2, v3
	v_mad_u64_u32 v[16:17], null, s4, v2, 0
	v_mov_b32_e32 v2, 0
	buffer_store_dword v2, off, s[0:3], s32 offset:372 ; 4-byte Folded Spill
	v_cmpx_ne_u64_e32 0, v[19:20]
	s_cbranch_execz .LBB325_3
; %bb.2:
	s_ashr_i32 s13, s12, 31
	s_lshl_b64 s[6:7], s[12:13], 2
	v_add_co_u32 v2, vcc_lo, v19, s6
	v_add_co_ci_u32_e64 v3, null, s7, v20, vcc_lo
	flat_load_dword v2, v[2:3]
	s_waitcnt vmcnt(0) lgkmcnt(0)
	buffer_store_dword v2, off, s[0:3], s32 offset:372 ; 4-byte Folded Spill
.LBB325_3:
	s_or_b32 exec_lo, exec_lo, s5
	v_and_b32_e32 v60, 0x3ff, v31
	v_ashrrev_i32_e32 v1, 31, v1
	s_ashr_i32 s5, s12, 31
	s_lshl_b32 s10, s12, 7
	s_mov_b32 s6, exec_lo
	v_cmpx_gt_u32_e32 16, v60
	s_cbranch_execz .LBB325_5
; %bb.4:
	v_mul_lo_u32 v2, v21, s18
	s_ashr_i32 s11, s10, 31
	v_lshlrev_b32_e32 v10, 4, v60
	s_lshl_b64 s[22:23], s[10:11], 1
	v_ashrrev_i32_e32 v3, 31, v2
	v_lshlrev_b64 v[2:3], 1, v[2:3]
	v_add_co_u32 v2, vcc_lo, v6, v2
	v_add_co_ci_u32_e64 v3, null, v7, v3, vcc_lo
	v_add_co_u32 v2, vcc_lo, v2, s22
	v_add_co_ci_u32_e64 v3, null, s23, v3, vcc_lo
	;; [unrolled: 2-line block ×3, first 2 shown]
	flat_load_dwordx4 v[2:5], v[2:3]
	s_waitcnt vmcnt(0) lgkmcnt(0)
	ds_write_b128 v10, v[2:5]
.LBB325_5:
	s_or_b32 exec_lo, exec_lo, s6
	v_mul_lo_u32 v2, v17, v0
	v_add_nc_u32_e32 v3, 1, v17
	v_add_nc_u32_e32 v4, 31, v34
	v_xor_b32_e32 v1, s5, v1
	s_clause 0x1
	s_load_dword s11, s[8:9], 0x14
	s_load_dword s8, s[8:9], 0x8
	v_lshrrev_b32_e32 v62, 5, v60
	s_lshl_b32 s9, s14, 4
	v_ashrrev_i32_e32 v6, 31, v4
	v_sub_nc_u32_e32 v2, s4, v2
	s_add_i32 s4, s9, 16
	v_add_nc_u32_e32 v72, s9, v62
	v_and_b32_e32 v63, 31, v60
	v_lshrrev_b32_e32 v6, 27, v6
	v_sub_nc_u32_e32 v5, v2, v0
	v_cmp_ge_u32_e32 vcc_lo, v2, v0
	v_ashrrev_i32_e32 v73, 31, v72
	v_lshlrev_b32_e32 v10, 2, v63
	s_mov_b32 s13, exec_lo
	v_cndmask_b32_e32 v3, v17, v3, vcc_lo
	v_cndmask_b32_e32 v2, v2, v5, vcc_lo
	v_add_nc_u32_e32 v5, 1, v3
	v_cmp_ge_u32_e32 vcc_lo, v2, v0
	v_mul_lo_u32 v0, v18, s18
	v_cndmask_b32_e32 v2, v3, v5, vcc_lo
	v_add_nc_u32_e32 v3, v4, v6
	v_mov_b32_e32 v6, 0xff7fffff
	v_xor_b32_e32 v2, v2, v1
	v_ashrrev_i32_e32 v3, 5, v3
	v_sub_nc_u32_e32 v2, v2, v1
	v_ashrrev_i32_e32 v1, 31, v0
	v_min_i32_e32 v74, s4, v3
	buffer_store_dword v3, off, s[0:3], s32 offset:424 ; 4-byte Folded Spill
	v_mul_lo_u32 v2, v2, v23
	v_lshlrev_b64 v[0:1], 2, v[0:1]
	v_cmp_ge_i32_e64 s4, v72, v74
	buffer_store_dword v0, off, s[0:3], s32 offset:408 ; 4-byte Folded Spill
	buffer_store_dword v1, off, s[0:3], s32 offset:412 ; 4-byte Folded Spill
	v_ashrrev_i32_e32 v0, 31, v2
	buffer_store_dword v2, off, s[0:3], s32 offset:416 ; 4-byte Folded Spill
	buffer_store_dword v0, off, s[0:3], s32 offset:420 ; 4-byte Folded Spill
	s_waitcnt lgkmcnt(0)
	s_waitcnt_vscnt null, 0x0
	s_barrier
	buffer_gl0_inv
	v_cmpx_lt_i32_e64 v72, v74
	s_cbranch_execz .LBB325_1033
; %bb.6:
	buffer_store_dword v22, off, s[0:3], s32 offset:468 ; 4-byte Folded Spill
	buffer_store_dword v15, off, s[0:3], s32 offset:464 ; 4-byte Folded Spill
	;; [unrolled: 1-line block ×9, first 2 shown]
	buffer_load_dword v0, off, s[0:3], s32 offset:416 ; 4-byte Folded Reload
	v_lshlrev_b32_e32 v2, 4, v63
	s_getpc_b64 s[6:7]
	s_add_u32 s6, s6, llvm.amdgcn.dynlds.offset.table@rel32@lo+4
	s_addc_u32 s7, s7, llvm.amdgcn.dynlds.offset.table@rel32@hi+12
	s_ashr_i32 s17, s16, 31
	v_mov_b32_e32 v51, 0x80
	s_lshl_b64 s[22:23], s[16:17], 2
	s_mov_b32 s17, 0
	s_add_u32 s6, s6, s22
	s_addc_u32 s7, s7, s23
	s_load_dword s6, s[6:7], 0x0
	s_waitcnt vmcnt(0)
	v_add_co_u32 v3, vcc_lo, v8, v0
	buffer_load_dword v0, off, s[0:3], s32 offset:420 ; 4-byte Folded Reload
	s_waitcnt vmcnt(0)
	v_add_co_ci_u32_e64 v4, null, v9, v0, vcc_lo
	v_add_co_u32 v2, vcc_lo, v3, v2
	v_lshlrev_b64 v[0:1], 2, v[72:73]
	v_add_co_ci_u32_e64 v3, null, 0, v4, vcc_lo
	v_mov_b32_e32 v4, v72
	buffer_store_dword v2, off, s[0:3], s32 offset:384 ; 4-byte Folded Spill
	buffer_store_dword v3, off, s[0:3], s32 offset:388 ; 4-byte Folded Spill
	buffer_load_dword v2, off, s[0:3], s32 offset:372 ; 4-byte Folded Reload
	v_mov_b32_e32 v5, v73
	v_mov_b32_e32 v9, 0
	s_waitcnt vmcnt(0)
	v_cmp_neq_f32_e32 vcc_lo, 0, v2
	s_clause 0x1
	buffer_load_dword v2, off, s[0:3], s32 offset:408
	buffer_load_dword v3, off, s[0:3], s32 offset:412
	buffer_store_dword v62, off, s[0:3], s32 offset:440 ; 4-byte Folded Spill
	buffer_store_dword v10, off, s[0:3], s32 offset:472 ; 4-byte Folded Spill
	buffer_load_dword v6, off, s[0:3], s32 offset:396 ; 4-byte Folded Reload
	buffer_store_dword v63, off, s[0:3], s32 offset:444 ; 4-byte Folded Spill
	s_waitcnt vmcnt(2)
	v_add_co_u32 v0, s5, v2, v0
	s_waitcnt vmcnt(1)
	v_add_co_ci_u32_e64 v1, null, v3, v1, s5
	v_lshlrev_b32_e32 v2, 5, v62
	s_waitcnt vmcnt(0)
	v_add_co_u32 v73, s5, v6, v0
	buffer_load_dword v0, off, s[0:3], s32 offset:392 ; 4-byte Folded Reload
	buffer_store_dword v4, off, s[0:3], s32 offset:448 ; 4-byte Folded Spill
	buffer_store_dword v5, off, s[0:3], s32 offset:452 ; 4-byte Folded Spill
	v_lshl_or_b32 v3, v62, 7, v10
	v_add3_u32 v28, s20, v2, v63
	v_mov_b32_e32 v6, 0xff7fffff
	s_waitcnt lgkmcnt(0)
	v_add_nc_u32_e32 v31, s6, v3
	s_mov_b32 s6, -1
	s_mov_b32 s7, 0xffffff
	v_mov_b32_e32 v105, v4
	s_waitcnt vmcnt(0)
	v_add_co_ci_u32_e64 v74, null, v0, v1, s5
	s_branch .LBB325_11
.LBB325_7:                              ;   in Loop: Header=BB325_11 Depth=1
	s_or_b32 exec_lo, exec_lo, s24
	v_lshlrev_b32_e32 v8, 8, v8
	v_lshl_add_u32 v29, v29, 10, 0x2000
	v_lshlrev_b32_e32 v28, 23, v28
	v_and_or_b32 v8, 0x8000, v8, v29
	v_lshl_or_b32 v109, v8, 16, v28
.LBB325_8:                              ;   in Loop: Header=BB325_11 Depth=1
	s_or_b32 exec_lo, exec_lo, s23
.LBB325_9:                              ;   in Loop: Header=BB325_11 Depth=1
	s_or_b32 exec_lo, exec_lo, s22
	s_clause 0x2
	buffer_load_dword v28, off, s[0:3], s32 offset:248
	buffer_load_dword v31, off, s[0:3], s32 offset:252
	;; [unrolled: 1-line block ×3, first 2 shown]
.LBB325_10:                             ;   in Loop: Header=BB325_11 Depth=1
	s_or_b32 exec_lo, exec_lo, s21
	v_or_b32_e32 v8, v107, v71
	v_or_b32_e32 v4, v5, v4
	;; [unrolled: 1-line block ×3, first 2 shown]
	v_fma_mixlo_f16 v29, v64, v107, 0 op_sel:[0,1,0] op_sel_hi:[0,1,0]
	v_fma_mixlo_f16 v5, v64, v5, 0 op_sel:[0,1,0] op_sel_hi:[0,1,0]
	v_fma_mixlo_f16 v8, v64, v8, 0 op_sel_hi:[0,1,0]
	v_fma_mixlo_f16 v107, v64, v4, 0 op_sel_hi:[0,1,0]
	v_or_b32_e32 v4, v23, v22
	v_fma_mixlo_f16 v22, v64, v0, 0 op_sel_hi:[0,1,0]
	v_or_b32_e32 v0, v84, v3
	buffer_store_dword v8, off, s[0:3], s32 offset:284 ; 4-byte Folded Spill
	v_or_b32_e32 v8, v69, v94
	buffer_store_dword v29, off, s[0:3], s32 offset:280 ; 4-byte Folded Spill
	v_fma_mixlo_f16 v29, v64, v69, 0 op_sel:[0,1,0] op_sel_hi:[0,1,0]
	buffer_store_dword v5, off, s[0:3], s32 offset:352 ; 4-byte Folded Spill
	v_fma_mixlo_f16 v5, v64, v23, 0 op_sel:[0,1,0] op_sel_hi:[0,1,0]
	v_fma_mixlo_f16 v8, v64, v8, 0 op_sel_hi:[0,1,0]
	v_fma_mixlo_f16 v4, v64, v4, 0 op_sel_hi:[0,1,0]
	buffer_store_dword v29, off, s[0:3], s32 offset:288 ; 4-byte Folded Spill
	v_fma_mixlo_f16 v29, v64, v123, 0 op_sel:[0,1,0] op_sel_hi:[0,1,0]
	buffer_store_dword v5, off, s[0:3], s32 offset:336 ; 4-byte Folded Spill
	buffer_store_dword v8, off, s[0:3], s32 offset:292 ; 4-byte Folded Spill
	v_or_b32_e32 v8, v123, v91
	buffer_store_dword v4, off, s[0:3], s32 offset:340 ; 4-byte Folded Spill
	buffer_store_dword v29, off, s[0:3], s32 offset:272 ; 4-byte Folded Spill
	v_fma_mixlo_f16 v29, v64, v106, 0 op_sel:[0,1,0] op_sel_hi:[0,1,0]
	v_or_b32_e32 v4, v39, v35
	v_fma_mixlo_f16 v8, v64, v8, 0 op_sel_hi:[0,1,0]
	v_or_b32_e32 v1, v19, v1
	v_fma_mixlo_f16 v110, v64, v104, 0 op_sel:[0,1,0] op_sel_hi:[0,1,0]
	buffer_store_dword v29, off, s[0:3], s32 offset:312 ; 4-byte Folded Spill
	v_fma_mixlo_f16 v4, v64, v4, 0 op_sel_hi:[0,1,0]
	buffer_store_dword v8, off, s[0:3], s32 offset:276 ; 4-byte Folded Spill
	v_or_b32_e32 v8, v30, v121
	v_fma_mixlo_f16 v23, v64, v19, 0 op_sel:[0,1,0] op_sel_hi:[0,1,0]
	v_fma_mixlo_f16 v19, v64, v99, 0 op_sel:[0,1,0] op_sel_hi:[0,1,0]
	buffer_store_dword v4, off, s[0:3], s32 offset:332 ; 4-byte Folded Spill
	v_fma_mixlo_f16 v4, v64, v39, 0 op_sel:[0,1,0] op_sel_hi:[0,1,0]
	v_fma_mixlo_f16 v8, v64, v8, 0 op_sel_hi:[0,1,0]
	v_fma_mixlo_f16 v39, v64, v1, 0 op_sel_hi:[0,1,0]
	v_fma_mixlo_f16 v1, v64, v84, 0 op_sel:[0,1,0] op_sel_hi:[0,1,0]
	v_fma_mixlo_f16 v84, v64, v7, 0 op_sel:[0,1,0] op_sel_hi:[0,1,0]
	buffer_store_dword v4, off, s[0:3], s32 offset:328 ; 4-byte Folded Spill
	buffer_store_dword v8, off, s[0:3], s32 offset:268 ; 4-byte Folded Spill
	v_fma_mixlo_f16 v8, v64, v30, 0 op_sel:[0,1,0] op_sel_hi:[0,1,0]
	buffer_store_dword v1, off, s[0:3], s32 offset:356 ; 4-byte Folded Spill
	v_fma_mixlo_f16 v123, v64, v124, 0 op_sel:[0,1,0] op_sel_hi:[0,1,0]
	v_fma_mixlo_f16 v30, v64, v54, 0 op_sel:[0,1,0] op_sel_hi:[0,1,0]
	;; [unrolled: 1-line block ×3, first 2 shown]
	buffer_store_dword v8, off, s[0:3], s32 offset:264 ; 4-byte Folded Spill
	v_or_b32_e32 v8, v106, v37
	v_fma_mixlo_f16 v37, v64, v0, 0 op_sel_hi:[0,1,0]
	v_or_b32_e32 v0, v86, v83
	v_fma_mixlo_f16 v106, v64, v86, 0 op_sel:[0,1,0] op_sel_hi:[0,1,0]
	s_waitcnt vmcnt(2)
	v_cmp_lt_i32_e64 s5, v28, v34
	v_fma_mixlo_f16 v8, v64, v8, 0 op_sel_hi:[0,1,0]
	s_waitcnt vmcnt(0)
	v_add_nc_u32_e32 v105, 4, v105
	v_fma_mixlo_f16 v94, v64, v0, 0 op_sel_hi:[0,1,0]
	v_or_b32_e32 v0, v81, v24
	v_fma_mixlo_f16 v81, v64, v81, 0 op_sel:[0,1,0] op_sel_hi:[0,1,0]
	buffer_store_dword v8, off, s[0:3], s32 offset:316 ; 4-byte Folded Spill
	v_or_b32_e32 v8, v17, v16
	v_fma_mixlo_f16 v16, v64, v17, 0 op_sel:[0,1,0] op_sel_hi:[0,1,0]
	v_fma_mixlo_f16 v83, v64, v0, 0 op_sel_hi:[0,1,0]
	v_or_b32_e32 v0, v7, v6
	v_fma_mixlo_f16 v8, v64, v8, 0 op_sel_hi:[0,1,0]
	buffer_store_dword v16, off, s[0:3], s32 offset:320 ; 4-byte Folded Spill
	v_fma_mixlo_f16 v16, v64, v90, 0 op_sel:[0,1,0] op_sel_hi:[0,1,0]
	v_fma_mixlo_f16 v86, v64, v0, 0 op_sel_hi:[0,1,0]
	v_or_b32_e32 v0, v99, v25
	v_fma_mixlo_f16 v25, v64, v77, 0 op_sel:[0,1,0] op_sel_hi:[0,1,0]
	buffer_store_dword v8, off, s[0:3], s32 offset:324 ; 4-byte Folded Spill
	v_or_b32_e32 v8, v90, v100
	buffer_store_dword v16, off, s[0:3], s32 offset:304 ; 4-byte Folded Spill
	v_fma_mixlo_f16 v17, v64, v0, 0 op_sel_hi:[0,1,0]
	v_or_b32_e32 v0, v77, v97
	v_fma_mixlo_f16 v16, v64, v76, 0 op_sel:[0,1,0] op_sel_hi:[0,1,0]
	v_fma_mixlo_f16 v8, v64, v8, 0 op_sel_hi:[0,1,0]
	v_fma_mixlo_f16 v99, v64, v12, 0 op_sel:[0,1,0] op_sel_hi:[0,1,0]
	v_fma_mixlo_f16 v24, v64, v0, 0 op_sel_hi:[0,1,0]
	v_or_b32_e32 v0, v67, v52
	buffer_store_dword v8, off, s[0:3], s32 offset:308 ; 4-byte Folded Spill
	v_or_b32_e32 v8, v102, v50
	v_fma_mixlo_f16 v50, v64, v49, 0 op_sel:[0,1,0] op_sel_hi:[0,1,0]
	v_fma_mixlo_f16 v29, v64, v0, 0 op_sel_hi:[0,1,0]
	v_or_b32_e32 v0, v54, v13
	v_fma_mixlo_f16 v8, v64, v8, 0 op_sel_hi:[0,1,0]
	v_fma_mixlo_f16 v54, v64, v70, 0 op_sel:[0,1,0] op_sel_hi:[0,1,0]
	v_fma_mixlo_f16 v13, v64, v0, 0 op_sel_hi:[0,1,0]
	v_or_b32_e32 v0, v70, v65
	buffer_store_dword v8, off, s[0:3], s32 offset:300 ; 4-byte Folded Spill
	v_fma_mixlo_f16 v8, v64, v102, 0 op_sel:[0,1,0] op_sel_hi:[0,1,0]
	v_fma_mixlo_f16 v70, v64, v125, 0 op_sel:[0,1,0] op_sel_hi:[0,1,0]
	;; [unrolled: 1-line block ×3, first 2 shown]
	v_fma_mixlo_f16 v97, v64, v0, 0 op_sel_hi:[0,1,0]
	v_or_b32_e32 v0, v76, v68
	buffer_store_dword v8, off, s[0:3], s32 offset:296 ; 4-byte Folded Spill
	v_or_b32_e32 v8, v14, v10
	v_fma_mixlo_f16 v10, v64, v14, 0 op_sel:[0,1,0] op_sel_hi:[0,1,0]
	v_fma_mixlo_f16 v14, v64, v67, 0 op_sel:[0,1,0] op_sel_hi:[0,1,0]
	v_fma_mixlo_f16 v52, v64, v0, 0 op_sel_hi:[0,1,0]
	v_or_b32_e32 v0, v36, v11
	v_fma_mixlo_f16 v67, v64, v108, 0 op_sel:[0,1,0] op_sel_hi:[0,1,0]
	buffer_store_dword v10, off, s[0:3], s32 offset:344 ; 4-byte Folded Spill
	v_fma_mixlo_f16 v10, v64, v38, 0 op_sel:[0,1,0] op_sel_hi:[0,1,0]
	v_fma_mixlo_f16 v8, v64, v8, 0 op_sel_hi:[0,1,0]
	v_fma_mixlo_f16 v65, v64, v0, 0 op_sel_hi:[0,1,0]
	v_or_b32_e32 v0, v12, v33
	v_fma_mixlo_f16 v33, v64, v126, 0 op_sel:[0,1,0] op_sel_hi:[0,1,0]
	v_fma_mixlo_f16 v11, v64, v48, 0 op_sel:[0,1,0] op_sel_hi:[0,1,0]
	buffer_store_dword v8, off, s[0:3], s32 offset:348 ; 4-byte Folded Spill
	v_fma_mixlo_f16 v36, v64, v36, 0 op_sel:[0,1,0] op_sel_hi:[0,1,0]
	v_fma_mixlo_f16 v77, v64, v0, 0 op_sel_hi:[0,1,0]
	v_or_b32_e32 v0, v18, v15
	v_fma_mixlo_f16 v15, v64, v18, 0 op_sel:[0,1,0] op_sel_hi:[0,1,0]
	v_and_b32_e32 v33, 0xffff, v33
	v_fma_mixlo_f16 v18, v64, v0, 0 op_sel_hi:[0,1,0]
	v_or_b32_e32 v0, v53, v32
	v_fma_mixlo_f16 v53, v64, v53, 0 op_sel:[0,1,0] op_sel_hi:[0,1,0]
	v_fma_mixlo_f16 v76, v64, v0, 0 op_sel_hi:[0,1,0]
	v_or_b32_e32 v0, v111, v20
	v_fma_mixlo_f16 v111, v64, v111, 0 op_sel:[0,1,0] op_sel_hi:[0,1,0]
	;; [unrolled: 3-line block ×4, first 2 shown]
	v_fma_mixlo_f16 v122, v64, v112, 0 op_sel:[0,1,0] op_sel_hi:[0,1,0]
	v_fma_mixlo_f16 v5, v64, v0, 0 op_sel_hi:[0,1,0]
	v_or_b32_e32 v0, v38, v120
	v_fma_mixlo_f16 v108, v64, v0, 0 op_sel_hi:[0,1,0]
	v_or_b32_e32 v0, v79, v75
	v_fma_mixlo_f16 v75, v64, v89, 0 op_sel:[0,1,0] op_sel_hi:[0,1,0]
	v_fma_mixlo_f16 v79, v64, v79, 0 op_sel:[0,1,0] op_sel_hi:[0,1,0]
	v_fma_mixlo_f16 v120, v64, v0, 0 op_sel_hi:[0,1,0]
	v_or_b32_e32 v0, v112, v98
	v_fma_mixlo_f16 v100, v64, v0, 0 op_sel_hi:[0,1,0]
	v_or_b32_e32 v0, v89, v78
	v_fma_mixlo_f16 v89, v64, v58, 0 op_sel:[0,1,0] op_sel_hi:[0,1,0]
	v_fma_mixlo_f16 v78, v64, v0, 0 op_sel_hi:[0,1,0]
	v_or_b32_e32 v0, v104, v88
	v_fma_mixlo_f16 v7, v64, v0, 0 op_sel_hi:[0,1,0]
	v_or_b32_e32 v0, v61, v59
	v_fma_mixlo_f16 v59, v64, v63, 0 op_sel:[0,1,0] op_sel_hi:[0,1,0]
	v_fma_mixlo_f16 v61, v64, v61, 0 op_sel:[0,1,0] op_sel_hi:[0,1,0]
	v_fma_mixlo_f16 v88, v64, v0, 0 op_sel_hi:[0,1,0]
	v_or_b32_e32 v0, v58, v57
	v_fma_mixlo_f16 v57, v64, v72, 0 op_sel:[0,1,0] op_sel_hi:[0,1,0]
	v_fma_mixlo_f16 v104, v64, v0, 0 op_sel_hi:[0,1,0]
	v_or_b32_e32 v0, v63, v60
	;; [unrolled: 3-line block ×3, first 2 shown]
	v_fma_mixlo_f16 v58, v64, v0, 0 op_sel_hi:[0,1,0]
	v_or_b32_e32 v0, v45, v43
	v_fma_mixlo_f16 v43, v64, v47, 0 op_sel:[0,1,0] op_sel_hi:[0,1,0]
	v_fma_mixlo_f16 v45, v64, v45, 0 op_sel:[0,1,0] op_sel_hi:[0,1,0]
	v_fma_mixlo_f16 v62, v64, v0, 0 op_sel_hi:[0,1,0]
	v_or_b32_e32 v0, v42, v41
	v_fma_mixlo_f16 v41, v64, v56, 0 op_sel:[0,1,0] op_sel_hi:[0,1,0]
	v_fma_mixlo_f16 v72, v64, v0, 0 op_sel_hi:[0,1,0]
	v_or_b32_e32 v0, v47, v44
	;; [unrolled: 3-line block ×3, first 2 shown]
	v_fma_mixlo_f16 v42, v64, v0, 0 op_sel_hi:[0,1,0]
	v_or_b32_e32 v0, v117, v115
	v_fma_mixlo_f16 v115, v64, v119, 0 op_sel:[0,1,0] op_sel_hi:[0,1,0]
	v_fma_mixlo_f16 v117, v64, v117, 0 op_sel:[0,1,0] op_sel_hi:[0,1,0]
	v_fma_mixlo_f16 v46, v64, v0, 0 op_sel_hi:[0,1,0]
	buffer_load_dword v0, off, s[0:3], s32 offset:244 ; 4-byte Folded Reload
	s_waitcnt vmcnt(0)
	v_or_b32_e32 v0, v114, v0
	v_fma_mixlo_f16 v56, v64, v0, 0 op_sel_hi:[0,1,0]
	v_or_b32_e32 v0, v119, v116
	v_fma_mixlo_f16 v116, v64, v0, 0 op_sel_hi:[0,1,0]
	v_or_b32_e32 v0, v40, v118
	v_fma_mixlo_f16 v40, v64, v101, 0 op_sel:[0,1,0] op_sel_hi:[0,1,0]
	v_fma_mixlo_f16 v118, v64, v103, 0 op_sel:[0,1,0] op_sel_hi:[0,1,0]
	v_fma_mixlo_f16 v114, v64, v0, 0 op_sel_hi:[0,1,0]
	buffer_load_dword v0, off, s[0:3], s32 offset:232 ; 4-byte Folded Reload
	s_waitcnt vmcnt(0)
	v_or_b32_e32 v0, v101, v0
	v_fma_mixlo_f16 v101, v64, v0, 0 op_sel_hi:[0,1,0]
	buffer_load_dword v0, off, s[0:3], s32 offset:228 ; 4-byte Folded Reload
	s_waitcnt vmcnt(0)
	v_or_b32_e32 v0, v49, v0
	;; [unrolled: 4-line block ×5, first 2 shown]
	v_fma_mixlo_f16 v38, v64, v0, 0 op_sel_hi:[0,1,0]
	buffer_load_dword v0, off, s[0:3], s32 offset:212 ; 4-byte Folded Reload
	v_and_b32_e32 v38, 0xffff, v38
	s_waitcnt vmcnt(0)
	v_or_b32_e32 v0, v82, v0
	v_fma_mixlo_f16 v82, v64, v82, 0 op_sel:[0,1,0] op_sel_hi:[0,1,0]
	v_fma_mixlo_f16 v69, v64, v0, 0 op_sel_hi:[0,1,0]
	buffer_load_dword v0, off, s[0:3], s32 offset:220 ; 4-byte Folded Reload
	s_waitcnt vmcnt(0)
	v_or_b32_e32 v0, v125, v0
	v_fma_mixlo_f16 v71, v64, v0, 0 op_sel_hi:[0,1,0]
	buffer_load_dword v0, off, s[0:3], s32 offset:224 ; 4-byte Folded Reload
	s_waitcnt vmcnt(0)
	v_or_b32_e32 v0, v48, v0
	;; [unrolled: 4-line block ×3, first 2 shown]
	v_fma_mixlo_f16 v124, v64, v0, 0 op_sel_hi:[0,1,0]
	s_clause 0x1
	buffer_load_dword v0, off, s[0:3], s32 offset:192
	buffer_load_dword v1, off, s[0:3], s32 offset:196
	s_waitcnt vmcnt(0)
	v_or_b32_e32 v0, v1, v0
	v_fma_mixlo_f16 v125, v64, v1, 0 op_sel:[0,1,0] op_sel_hi:[0,1,0]
	buffer_load_dword v1, off, s[0:3], s32 offset:372 ; 4-byte Folded Reload
	v_fma_mixlo_f16 v126, v64, v0, 0 op_sel_hi:[0,1,0]
	buffer_load_dword v0, off, s[0:3], s32 offset:204 ; 4-byte Folded Reload
	s_waitcnt vmcnt(0)
	v_or_b32_e32 v0, v95, v0
	v_fma_mixlo_f16 v95, v64, v95, 0 op_sel:[0,1,0] op_sel_hi:[0,1,0]
	v_fma_mixlo_f16 v121, v64, v0, 0 op_sel_hi:[0,1,0]
	buffer_load_dword v0, off, s[0:3], s32 offset:208 ; 4-byte Folded Reload
	v_and_b32_e32 v6, 0xffff, v95
	s_waitcnt vmcnt(0)
	v_or_b32_e32 v0, v93, v0
	v_fma_mixlo_f16 v93, v64, v93, 0 op_sel:[0,1,0] op_sel_hi:[0,1,0]
	v_fma_mixlo_f16 v91, v64, v0, 0 op_sel_hi:[0,1,0]
	v_sub_nc_u32_e32 v0, 1, v34
	v_add_nc_u32_e32 v0, v0, v28
	v_add_nc_u32_e32 v28, 0x80, v28
	v_cvt_f32_i32_e32 v0, v0
	v_mul_f32_e32 v0, v1, v0
	v_fma_mixlo_f16 v1, v64, v127, 0 op_sel:[0,1,0] op_sel_hi:[0,1,0]
	v_cndmask_b32_e32 v8, 0, v0, vcc_lo
	v_or_b32_e32 v0, v127, v80
	buffer_store_dword v1, off, s[0:3], s32 offset:200 ; 4-byte Folded Spill
	v_fma_mixlo_f16 v80, v64, v92, 0 op_sel:[0,1,0] op_sel_hi:[0,1,0]
	v_fma_mixlo_f16 v127, v64, v0, 0 op_sel_hi:[0,1,0]
	v_or_b32_e32 v0, v92, v66
	v_fma_mixlo_f16 v92, v64, v87, 0 op_sel:[0,1,0] op_sel_hi:[0,1,0]
	v_fma_mixlo_f16 v66, v64, v0, 0 op_sel_hi:[0,1,0]
	v_or_b32_e32 v0, v87, v85
	v_fma_mixlo_f16 v85, v64, v0, 0 op_sel_hi:[0,1,0]
	v_or_b32_e32 v0, v109, v55
	v_fma_mixlo_f16 v0, v64, v0, 0 op_sel_hi:[0,1,0]
	buffer_store_dword v0, off, s[0:3], s32 offset:196 ; 4-byte Folded Spill
	v_fma_mixlo_f16 v0, v64, v109, 0 op_sel:[0,1,0] op_sel_hi:[0,1,0]
	buffer_store_dword v0, off, s[0:3], s32 offset:192 ; 4-byte Folded Spill
	ds_read_b128 v[0:3], v9
	s_waitcnt lgkmcnt(0)
	v_lshrrev_b32_e32 v4, 16, v0
	v_and_b32_e32 v0, 0xffff, v0
	;;#ASMSTART
	v_cvt_f32_f16 v112, v0;
	;;#ASMEND
	v_and_b32_e32 v0, 0xffff, v126
	;;#ASMSTART
	v_cvt_f32_f16 v98, v4;
	;;#ASMEND
	;;#ASMSTART
	v_cvt_f32_f16 v20, v0;
	;;#ASMEND
	v_and_b32_e32 v0, 0xffff, v125
	;;#ASMSTART
	v_cvt_f32_f16 v109, v0;
	;;#ASMEND
	v_lshrrev_b32_e32 v0, 16, v1
	v_and_b32_e32 v1, 0xffff, v1
	;;#ASMSTART
	v_cvt_f32_f16 v48, v1;
	;;#ASMEND
	v_and_b32_e32 v1, 0xffff, v124
	;;#ASMSTART
	v_cvt_f32_f16 v0, v0;
	;;#ASMEND
	;;#ASMSTART
	v_cvt_f32_f16 v96, v1;
	;;#ASMEND
	v_and_b32_e32 v1, 0xffff, v123
	;;#ASMSTART
	v_cvt_f32_f16 v49, v1;
	;;#ASMEND
	v_lshrrev_b32_e32 v1, 16, v2
	v_and_b32_e32 v2, 0xffff, v2
	v_and_b32_e32 v4, 0xffff, v121
	v_lshrrev_b32_e32 v55, 16, v3
	v_and_b32_e32 v3, 0xffff, v3
	;;#ASMSTART
	v_cvt_f32_f16 v2, v2;
	;;#ASMEND
	;;#ASMSTART
	v_cvt_f32_f16 v1, v1;
	;;#ASMEND
	;;#ASMSTART
	v_cvt_f32_f16 v4, v4;
	;;#ASMEND
	;;#ASMSTART
	v_cvt_f32_f16 v6, v6;
	;;#ASMEND
	;;#ASMSTART
	v_cvt_f32_f16 v121, v3;
	;;#ASMEND
	v_and_b32_e32 v3, 0xffff, v91
	;;#ASMSTART
	v_cvt_f32_f16 v95, v55;
	;;#ASMEND
	;;#ASMSTART
	v_cvt_f32_f16 v55, v3;
	;;#ASMEND
	v_and_b32_e32 v3, 0xffff, v93
	;;#ASMSTART
	v_cvt_f32_f16 v87, v3;
	;;#ASMEND
	ds_read_b128 v[123:126], v9 offset:16
	s_waitcnt lgkmcnt(0)
	v_lshrrev_b32_e32 v64, 16, v123
	v_and_b32_e32 v3, 0xffff, v123
	;;#ASMSTART
	v_cvt_f32_f16 v3, v3;
	;;#ASMEND
	;;#ASMSTART
	v_cvt_f32_f16 v91, v64;
	;;#ASMEND
	v_and_b32_e32 v64, 0xffff, v69
	;;#ASMSTART
	v_cvt_f32_f16 v64, v64;
	;;#ASMEND
	v_mul_f32_e32 v64, v3, v64
	v_and_b32_e32 v69, 0xffff, v82
	v_and_b32_e32 v3, 0xffff, v124
	;;#ASMSTART
	v_cvt_f32_f16 v69, v69;
	;;#ASMEND
	;;#ASMSTART
	v_cvt_f32_f16 v3, v3;
	;;#ASMEND
	v_fmac_f32_e32 v64, v112, v20
	v_lshrrev_b32_e32 v20, 16, v124
	;;#ASMSTART
	v_cvt_f32_f16 v20, v20;
	;;#ASMEND
	;;#ASMSTART
	v_cvt_f32_f16 v38, v38;
	;;#ASMEND
	;; [unrolled: 3-line block ×3, first 2 shown]
	v_mul_f32_e32 v38, v3, v38
	v_mul_f32_e32 v33, v20, v33
	v_lshrrev_b32_e32 v3, 16, v125
	v_and_b32_e32 v20, 0xffff, v71
	v_mul_f32_e32 v69, v91, v69
	v_fmac_f32_e32 v38, v48, v96
	v_fmac_f32_e32 v33, v0, v49
	v_and_b32_e32 v0, 0xffff, v125
	v_and_b32_e32 v48, 0xffff, v70
	;;#ASMSTART
	v_cvt_f32_f16 v0, v0;
	;;#ASMEND
	;;#ASMSTART
	v_cvt_f32_f16 v3, v3;
	;;#ASMEND
	;; [unrolled: 3-line block ×4, first 2 shown]
	v_mul_f32_e32 v71, v0, v20
	v_mul_f32_e32 v70, v3, v48
	v_and_b32_e32 v0, 0xffff, v126
	v_and_b32_e32 v3, 0xffff, v11
	;;#ASMSTART
	v_cvt_f32_f16 v0, v0;
	;;#ASMEND
	v_fmac_f32_e32 v71, v2, v4
	v_fmac_f32_e32 v70, v1, v6
	v_lshrrev_b32_e32 v1, 16, v126
	v_and_b32_e32 v2, 0xffff, v12
	;;#ASMSTART
	v_cvt_f32_f16 v1, v1;
	;;#ASMEND
	;;#ASMSTART
	v_cvt_f32_f16 v2, v2;
	;;#ASMEND
	;; [unrolled: 3-line block ×3, first 2 shown]
	v_mul_f32_e32 v12, v0, v2
	v_mul_f32_e32 v11, v1, v3
	ds_read_b128 v[0:3], v9 offset:32
	v_fmac_f32_e32 v69, v98, v109
	v_and_b32_e32 v6, 0xffff, v90
	v_and_b32_e32 v20, 0xffff, v50
	v_fmac_f32_e32 v12, v121, v55
	v_fmac_f32_e32 v11, v95, v87
	s_waitcnt lgkmcnt(0)
	v_lshrrev_b32_e32 v4, 16, v0
	v_and_b32_e32 v0, 0xffff, v0
	;;#ASMSTART
	v_cvt_f32_f16 v0, v0;
	;;#ASMEND
	;;#ASMSTART
	v_cvt_f32_f16 v4, v4;
	;;#ASMEND
	;; [unrolled: 3-line block ×4, first 2 shown]
	v_fmac_f32_e32 v64, v0, v6
	v_fmac_f32_e32 v69, v4, v20
	v_lshrrev_b32_e32 v4, 16, v1
	v_and_b32_e32 v0, 0xffff, v1
	;;#ASMSTART
	v_cvt_f32_f16 v0, v0;
	;;#ASMEND
	;;#ASMSTART
	v_cvt_f32_f16 v1, v4;
	;;#ASMEND
	v_and_b32_e32 v4, 0xffff, v101
	v_and_b32_e32 v6, 0xffff, v40
	;;#ASMSTART
	v_cvt_f32_f16 v4, v4;
	;;#ASMEND
	;;#ASMSTART
	v_cvt_f32_f16 v6, v6;
	;;#ASMEND
	v_fmac_f32_e32 v38, v0, v4
	v_fmac_f32_e32 v33, v1, v6
	v_lshrrev_b32_e32 v1, 16, v2
	v_and_b32_e32 v0, 0xffff, v2
	v_and_b32_e32 v2, 0xffff, v119
	;;#ASMSTART
	v_cvt_f32_f16 v0, v0;
	;;#ASMEND
	;;#ASMSTART
	v_cvt_f32_f16 v1, v1;
	;;#ASMEND
	;; [unrolled: 3-line block ×3, first 2 shown]
	v_and_b32_e32 v4, 0xffff, v118
	;;#ASMSTART
	v_cvt_f32_f16 v4, v4;
	;;#ASMEND
	v_fmac_f32_e32 v71, v0, v2
	v_fmac_f32_e32 v70, v1, v4
	v_lshrrev_b32_e32 v1, 16, v3
	v_and_b32_e32 v0, 0xffff, v3
	v_and_b32_e32 v2, 0xffff, v103
	;; [unrolled: 1-line block ×3, first 2 shown]
	;;#ASMSTART
	v_cvt_f32_f16 v0, v0;
	;;#ASMEND
	;;#ASMSTART
	v_cvt_f32_f16 v1, v1;
	;;#ASMEND
	;; [unrolled: 3-line block ×4, first 2 shown]
	v_fmac_f32_e32 v12, v0, v2
	v_fmac_f32_e32 v11, v1, v3
	ds_read_b128 v[0:3], v9 offset:48
	v_and_b32_e32 v6, 0xffff, v56
	v_and_b32_e32 v20, 0xffff, v47
	s_waitcnt lgkmcnt(0)
	v_lshrrev_b32_e32 v4, 16, v0
	v_and_b32_e32 v0, 0xffff, v0
	;;#ASMSTART
	v_cvt_f32_f16 v0, v0;
	;;#ASMEND
	;;#ASMSTART
	v_cvt_f32_f16 v4, v4;
	;;#ASMEND
	;; [unrolled: 3-line block ×4, first 2 shown]
	v_fmac_f32_e32 v64, v0, v6
	v_fmac_f32_e32 v69, v4, v20
	v_lshrrev_b32_e32 v4, 16, v1
	v_and_b32_e32 v0, 0xffff, v1
	;;#ASMSTART
	v_cvt_f32_f16 v0, v0;
	;;#ASMEND
	;;#ASMSTART
	v_cvt_f32_f16 v1, v4;
	;;#ASMEND
	v_and_b32_e32 v4, 0xffff, v46
	v_and_b32_e32 v6, 0xffff, v117
	;;#ASMSTART
	v_cvt_f32_f16 v4, v4;
	;;#ASMEND
	;;#ASMSTART
	v_cvt_f32_f16 v6, v6;
	;;#ASMEND
	v_fmac_f32_e32 v38, v0, v4
	v_fmac_f32_e32 v33, v1, v6
	v_lshrrev_b32_e32 v1, 16, v2
	v_and_b32_e32 v0, 0xffff, v2
	v_and_b32_e32 v2, 0xffff, v116
	;;#ASMSTART
	v_cvt_f32_f16 v0, v0;
	;;#ASMEND
	;;#ASMSTART
	v_cvt_f32_f16 v1, v1;
	;;#ASMEND
	;; [unrolled: 3-line block ×3, first 2 shown]
	v_and_b32_e32 v4, 0xffff, v115
	;;#ASMSTART
	v_cvt_f32_f16 v4, v4;
	;;#ASMEND
	v_fmac_f32_e32 v71, v0, v2
	v_fmac_f32_e32 v70, v1, v4
	v_lshrrev_b32_e32 v1, 16, v3
	v_and_b32_e32 v0, 0xffff, v3
	v_and_b32_e32 v2, 0xffff, v114
	v_and_b32_e32 v3, 0xffff, v113
	;;#ASMSTART
	v_cvt_f32_f16 v0, v0;
	;;#ASMEND
	;;#ASMSTART
	v_cvt_f32_f16 v1, v1;
	;;#ASMEND
	;; [unrolled: 3-line block ×4, first 2 shown]
	v_fmac_f32_e32 v12, v0, v2
	v_fmac_f32_e32 v11, v1, v3
	ds_read_b128 v[0:3], v9 offset:64
	v_and_b32_e32 v6, 0xffff, v72
	v_and_b32_e32 v20, 0xffff, v63
	s_waitcnt lgkmcnt(0)
	v_lshrrev_b32_e32 v4, 16, v0
	v_and_b32_e32 v0, 0xffff, v0
	;;#ASMSTART
	v_cvt_f32_f16 v0, v0;
	;;#ASMEND
	;;#ASMSTART
	v_cvt_f32_f16 v4, v4;
	;;#ASMEND
	;; [unrolled: 3-line block ×4, first 2 shown]
	v_fmac_f32_e32 v64, v0, v6
	v_fmac_f32_e32 v69, v4, v20
	v_lshrrev_b32_e32 v4, 16, v1
	v_and_b32_e32 v0, 0xffff, v1
	;;#ASMSTART
	v_cvt_f32_f16 v0, v0;
	;;#ASMEND
	;;#ASMSTART
	v_cvt_f32_f16 v1, v4;
	;;#ASMEND
	v_and_b32_e32 v4, 0xffff, v62
	v_and_b32_e32 v6, 0xffff, v45
	;;#ASMSTART
	v_cvt_f32_f16 v4, v4;
	;;#ASMEND
	;;#ASMSTART
	v_cvt_f32_f16 v6, v6;
	;;#ASMEND
	v_fmac_f32_e32 v38, v0, v4
	v_fmac_f32_e32 v33, v1, v6
	v_lshrrev_b32_e32 v1, 16, v2
	v_and_b32_e32 v0, 0xffff, v2
	v_and_b32_e32 v2, 0xffff, v44
	;;#ASMSTART
	v_cvt_f32_f16 v0, v0;
	;;#ASMEND
	;;#ASMSTART
	v_cvt_f32_f16 v1, v1;
	;;#ASMEND
	;; [unrolled: 3-line block ×3, first 2 shown]
	v_and_b32_e32 v4, 0xffff, v43
	;;#ASMSTART
	v_cvt_f32_f16 v4, v4;
	;;#ASMEND
	v_fmac_f32_e32 v71, v0, v2
	v_fmac_f32_e32 v70, v1, v4
	v_lshrrev_b32_e32 v1, 16, v3
	v_and_b32_e32 v0, 0xffff, v3
	v_and_b32_e32 v2, 0xffff, v42
	;; [unrolled: 1-line block ×3, first 2 shown]
	;;#ASMSTART
	v_cvt_f32_f16 v0, v0;
	;;#ASMEND
	;;#ASMSTART
	v_cvt_f32_f16 v1, v1;
	;;#ASMEND
	;; [unrolled: 3-line block ×4, first 2 shown]
	v_fmac_f32_e32 v12, v0, v2
	v_fmac_f32_e32 v11, v1, v3
	ds_read_b128 v[0:3], v9 offset:80
	v_and_b32_e32 v6, 0xffff, v104
	v_and_b32_e32 v20, 0xffff, v89
	s_waitcnt lgkmcnt(0)
	v_lshrrev_b32_e32 v4, 16, v0
	v_and_b32_e32 v0, 0xffff, v0
	;;#ASMSTART
	v_cvt_f32_f16 v0, v0;
	;;#ASMEND
	;;#ASMSTART
	v_cvt_f32_f16 v4, v4;
	;;#ASMEND
	;; [unrolled: 3-line block ×4, first 2 shown]
	v_fmac_f32_e32 v64, v0, v6
	v_fmac_f32_e32 v69, v4, v20
	v_lshrrev_b32_e32 v4, 16, v1
	v_and_b32_e32 v0, 0xffff, v1
	;;#ASMSTART
	v_cvt_f32_f16 v0, v0;
	;;#ASMEND
	;;#ASMSTART
	v_cvt_f32_f16 v1, v4;
	;;#ASMEND
	v_and_b32_e32 v4, 0xffff, v88
	v_and_b32_e32 v6, 0xffff, v61
	;;#ASMSTART
	v_cvt_f32_f16 v4, v4;
	;;#ASMEND
	;;#ASMSTART
	v_cvt_f32_f16 v6, v6;
	;;#ASMEND
	v_fmac_f32_e32 v38, v0, v4
	v_fmac_f32_e32 v33, v1, v6
	v_lshrrev_b32_e32 v1, 16, v2
	v_and_b32_e32 v0, 0xffff, v2
	v_and_b32_e32 v2, 0xffff, v60
	;;#ASMSTART
	v_cvt_f32_f16 v0, v0;
	;;#ASMEND
	;;#ASMSTART
	v_cvt_f32_f16 v1, v1;
	;;#ASMEND
	;; [unrolled: 3-line block ×3, first 2 shown]
	v_and_b32_e32 v4, 0xffff, v59
	;;#ASMSTART
	v_cvt_f32_f16 v4, v4;
	;;#ASMEND
	v_fmac_f32_e32 v71, v0, v2
	v_fmac_f32_e32 v70, v1, v4
	v_lshrrev_b32_e32 v1, 16, v3
	v_and_b32_e32 v0, 0xffff, v3
	v_and_b32_e32 v2, 0xffff, v58
	;; [unrolled: 1-line block ×3, first 2 shown]
	;;#ASMSTART
	v_cvt_f32_f16 v0, v0;
	;;#ASMEND
	;;#ASMSTART
	v_cvt_f32_f16 v1, v1;
	;;#ASMEND
	;; [unrolled: 3-line block ×4, first 2 shown]
	v_fmac_f32_e32 v12, v0, v2
	v_fmac_f32_e32 v11, v1, v3
	ds_read_b128 v[0:3], v9 offset:96
	v_and_b32_e32 v6, 0xffff, v100
	v_and_b32_e32 v20, 0xffff, v122
	s_waitcnt lgkmcnt(0)
	v_lshrrev_b32_e32 v4, 16, v0
	v_and_b32_e32 v0, 0xffff, v0
	;;#ASMSTART
	v_cvt_f32_f16 v0, v0;
	;;#ASMEND
	;;#ASMSTART
	v_cvt_f32_f16 v4, v4;
	;;#ASMEND
	;; [unrolled: 3-line block ×4, first 2 shown]
	v_fmac_f32_e32 v64, v0, v6
	v_fmac_f32_e32 v69, v4, v20
	v_lshrrev_b32_e32 v4, 16, v1
	v_and_b32_e32 v0, 0xffff, v1
	;;#ASMSTART
	v_cvt_f32_f16 v0, v0;
	;;#ASMEND
	;;#ASMSTART
	v_cvt_f32_f16 v1, v4;
	;;#ASMEND
	v_and_b32_e32 v4, 0xffff, v120
	v_and_b32_e32 v6, 0xffff, v79
	;;#ASMSTART
	v_cvt_f32_f16 v4, v4;
	;;#ASMEND
	;;#ASMSTART
	v_cvt_f32_f16 v6, v6;
	;;#ASMEND
	v_fmac_f32_e32 v38, v0, v4
	v_fmac_f32_e32 v33, v1, v6
	v_lshrrev_b32_e32 v1, 16, v2
	v_and_b32_e32 v0, 0xffff, v2
	v_and_b32_e32 v2, 0xffff, v78
	;;#ASMSTART
	v_cvt_f32_f16 v0, v0;
	;;#ASMEND
	;;#ASMSTART
	v_cvt_f32_f16 v1, v1;
	;;#ASMEND
	;;#ASMSTART
	v_cvt_f32_f16 v2, v2;
	;;#ASMEND
	v_and_b32_e32 v4, 0xffff, v75
	;;#ASMSTART
	v_cvt_f32_f16 v4, v4;
	;;#ASMEND
	v_fmac_f32_e32 v71, v0, v2
	v_fmac_f32_e32 v70, v1, v4
	v_lshrrev_b32_e32 v1, 16, v3
	v_and_b32_e32 v0, 0xffff, v3
	v_and_b32_e32 v2, 0xffff, v7
	v_and_b32_e32 v3, 0xffff, v110
	;;#ASMSTART
	v_cvt_f32_f16 v0, v0;
	;;#ASMEND
	;;#ASMSTART
	v_cvt_f32_f16 v1, v1;
	;;#ASMEND
	;; [unrolled: 3-line block ×4, first 2 shown]
	v_fmac_f32_e32 v12, v0, v2
	v_fmac_f32_e32 v11, v1, v3
	ds_read_b128 v[0:3], v9 offset:112
	v_and_b32_e32 v6, 0xffff, v68
	v_and_b32_e32 v7, 0xffff, v67
	s_waitcnt lgkmcnt(0)
	v_lshrrev_b32_e32 v4, 16, v0
	v_and_b32_e32 v0, 0xffff, v0
	;;#ASMSTART
	v_cvt_f32_f16 v0, v0;
	;;#ASMEND
	;;#ASMSTART
	v_cvt_f32_f16 v4, v4;
	;;#ASMEND
	;; [unrolled: 3-line block ×4, first 2 shown]
	v_fmac_f32_e32 v64, v0, v6
	v_fmac_f32_e32 v69, v4, v7
	v_lshrrev_b32_e32 v4, 16, v1
	v_and_b32_e32 v0, 0xffff, v1
	;;#ASMSTART
	v_cvt_f32_f16 v0, v0;
	;;#ASMEND
	;;#ASMSTART
	v_cvt_f32_f16 v1, v4;
	;;#ASMEND
	v_and_b32_e32 v4, 0xffff, v32
	v_and_b32_e32 v6, 0xffff, v111
	;;#ASMSTART
	v_cvt_f32_f16 v4, v4;
	;;#ASMEND
	;;#ASMSTART
	v_cvt_f32_f16 v6, v6;
	;;#ASMEND
	v_fmac_f32_e32 v38, v0, v4
	v_fmac_f32_e32 v33, v1, v6
	v_lshrrev_b32_e32 v1, 16, v2
	v_and_b32_e32 v0, 0xffff, v2
	v_and_b32_e32 v2, 0xffff, v5
	;;#ASMSTART
	v_cvt_f32_f16 v0, v0;
	;;#ASMEND
	;;#ASMSTART
	v_cvt_f32_f16 v1, v1;
	;;#ASMEND
	;; [unrolled: 3-line block ×3, first 2 shown]
	v_and_b32_e32 v4, 0xffff, v21
	;;#ASMSTART
	v_cvt_f32_f16 v4, v4;
	;;#ASMEND
	v_fmac_f32_e32 v71, v0, v2
	v_fmac_f32_e32 v70, v1, v4
	v_lshrrev_b32_e32 v1, 16, v3
	v_and_b32_e32 v0, 0xffff, v3
	v_and_b32_e32 v2, 0xffff, v108
	;; [unrolled: 1-line block ×3, first 2 shown]
	;;#ASMSTART
	v_cvt_f32_f16 v0, v0;
	;;#ASMEND
	;;#ASMSTART
	v_cvt_f32_f16 v1, v1;
	;;#ASMEND
	;; [unrolled: 3-line block ×4, first 2 shown]
	v_fmac_f32_e32 v12, v0, v2
	v_fmac_f32_e32 v11, v1, v3
	ds_read_b128 v[0:3], v9 offset:128
	v_and_b32_e32 v5, 0xffff, v77
	v_and_b32_e32 v6, 0xffff, v99
	s_waitcnt lgkmcnt(0)
	v_lshrrev_b32_e32 v4, 16, v0
	v_and_b32_e32 v0, 0xffff, v0
	;;#ASMSTART
	v_cvt_f32_f16 v0, v0;
	;;#ASMEND
	;;#ASMSTART
	v_cvt_f32_f16 v4, v4;
	;;#ASMEND
	;; [unrolled: 3-line block ×4, first 2 shown]
	v_fmac_f32_e32 v64, v0, v5
	v_fmac_f32_e32 v69, v4, v6
	v_lshrrev_b32_e32 v4, 16, v1
	v_and_b32_e32 v0, 0xffff, v1
	;;#ASMSTART
	v_cvt_f32_f16 v0, v0;
	;;#ASMEND
	;;#ASMSTART
	v_cvt_f32_f16 v1, v4;
	;;#ASMEND
	v_and_b32_e32 v4, 0xffff, v65
	v_and_b32_e32 v5, 0xffff, v36
	;;#ASMSTART
	v_cvt_f32_f16 v4, v4;
	;;#ASMEND
	;;#ASMSTART
	v_cvt_f32_f16 v5, v5;
	;;#ASMEND
	v_fmac_f32_e32 v38, v0, v4
	v_fmac_f32_e32 v33, v1, v5
	v_lshrrev_b32_e32 v1, 16, v2
	v_and_b32_e32 v0, 0xffff, v2
	v_and_b32_e32 v2, 0xffff, v18
	;;#ASMSTART
	v_cvt_f32_f16 v0, v0;
	;;#ASMEND
	;;#ASMSTART
	v_cvt_f32_f16 v1, v1;
	;;#ASMEND
	;; [unrolled: 3-line block ×3, first 2 shown]
	v_and_b32_e32 v4, 0xffff, v15
	;;#ASMSTART
	v_cvt_f32_f16 v4, v4;
	;;#ASMEND
	v_fmac_f32_e32 v71, v0, v2
	v_fmac_f32_e32 v70, v1, v4
	v_lshrrev_b32_e32 v1, 16, v3
	v_and_b32_e32 v0, 0xffff, v3
	v_and_b32_e32 v2, 0xffff, v76
	;; [unrolled: 1-line block ×3, first 2 shown]
	;;#ASMSTART
	v_cvt_f32_f16 v0, v0;
	;;#ASMEND
	;;#ASMSTART
	v_cvt_f32_f16 v1, v1;
	;;#ASMEND
	;; [unrolled: 3-line block ×4, first 2 shown]
	v_fmac_f32_e32 v12, v0, v2
	v_fmac_f32_e32 v11, v1, v3
	ds_read_b128 v[0:3], v9 offset:144
	v_and_b32_e32 v5, 0xffff, v13
	v_and_b32_e32 v6, 0xffff, v30
	s_waitcnt lgkmcnt(0)
	v_lshrrev_b32_e32 v4, 16, v0
	v_and_b32_e32 v0, 0xffff, v0
	;;#ASMSTART
	v_cvt_f32_f16 v0, v0;
	;;#ASMEND
	;;#ASMSTART
	v_cvt_f32_f16 v4, v4;
	;;#ASMEND
	;; [unrolled: 3-line block ×4, first 2 shown]
	v_fmac_f32_e32 v64, v0, v5
	v_fmac_f32_e32 v69, v4, v6
	v_lshrrev_b32_e32 v4, 16, v1
	v_and_b32_e32 v0, 0xffff, v1
	;;#ASMSTART
	v_cvt_f32_f16 v0, v0;
	;;#ASMEND
	;;#ASMSTART
	v_cvt_f32_f16 v1, v4;
	;;#ASMEND
	v_and_b32_e32 v4, 0xffff, v29
	v_and_b32_e32 v5, 0xffff, v14
	;;#ASMSTART
	v_cvt_f32_f16 v4, v4;
	;;#ASMEND
	;;#ASMSTART
	v_cvt_f32_f16 v5, v5;
	;;#ASMEND
	v_fmac_f32_e32 v38, v0, v4
	v_fmac_f32_e32 v33, v1, v5
	v_lshrrev_b32_e32 v1, 16, v2
	v_and_b32_e32 v0, 0xffff, v2
	v_and_b32_e32 v2, 0xffff, v97
	;;#ASMSTART
	v_cvt_f32_f16 v0, v0;
	;;#ASMEND
	;;#ASMSTART
	v_cvt_f32_f16 v1, v1;
	;;#ASMEND
	;;#ASMSTART
	v_cvt_f32_f16 v2, v2;
	;;#ASMEND
	v_and_b32_e32 v4, 0xffff, v54
	;;#ASMSTART
	v_cvt_f32_f16 v4, v4;
	;;#ASMEND
	v_fmac_f32_e32 v71, v0, v2
	v_fmac_f32_e32 v70, v1, v4
	v_lshrrev_b32_e32 v1, 16, v3
	v_and_b32_e32 v0, 0xffff, v3
	v_and_b32_e32 v2, 0xffff, v52
	;; [unrolled: 1-line block ×3, first 2 shown]
	;;#ASMSTART
	v_cvt_f32_f16 v0, v0;
	;;#ASMEND
	;;#ASMSTART
	v_cvt_f32_f16 v1, v1;
	;;#ASMEND
	;; [unrolled: 3-line block ×4, first 2 shown]
	v_fmac_f32_e32 v12, v0, v2
	v_fmac_f32_e32 v11, v1, v3
	ds_read_b128 v[0:3], v9 offset:160
	v_and_b32_e32 v5, 0xffff, v86
	v_and_b32_e32 v6, 0xffff, v84
	s_waitcnt lgkmcnt(0)
	v_lshrrev_b32_e32 v4, 16, v0
	v_and_b32_e32 v0, 0xffff, v0
	;;#ASMSTART
	v_cvt_f32_f16 v0, v0;
	;;#ASMEND
	;;#ASMSTART
	v_cvt_f32_f16 v4, v4;
	;;#ASMEND
	;; [unrolled: 3-line block ×4, first 2 shown]
	v_fmac_f32_e32 v64, v0, v5
	v_fmac_f32_e32 v69, v4, v6
	v_lshrrev_b32_e32 v4, 16, v1
	v_and_b32_e32 v0, 0xffff, v1
	;;#ASMSTART
	v_cvt_f32_f16 v0, v0;
	;;#ASMEND
	;;#ASMSTART
	v_cvt_f32_f16 v1, v4;
	;;#ASMEND
	v_and_b32_e32 v4, 0xffff, v83
	v_and_b32_e32 v5, 0xffff, v81
	;;#ASMSTART
	v_cvt_f32_f16 v4, v4;
	;;#ASMEND
	;;#ASMSTART
	v_cvt_f32_f16 v5, v5;
	;;#ASMEND
	v_fmac_f32_e32 v38, v0, v4
	v_fmac_f32_e32 v33, v1, v5
	v_lshrrev_b32_e32 v1, 16, v2
	v_and_b32_e32 v0, 0xffff, v2
	v_and_b32_e32 v2, 0xffff, v17
	;;#ASMSTART
	v_cvt_f32_f16 v0, v0;
	;;#ASMEND
	;;#ASMSTART
	v_cvt_f32_f16 v1, v1;
	;;#ASMEND
	;; [unrolled: 3-line block ×3, first 2 shown]
	v_and_b32_e32 v4, 0xffff, v19
	;;#ASMSTART
	v_cvt_f32_f16 v4, v4;
	;;#ASMEND
	v_fmac_f32_e32 v71, v0, v2
	v_fmac_f32_e32 v70, v1, v4
	v_lshrrev_b32_e32 v1, 16, v3
	v_and_b32_e32 v0, 0xffff, v3
	v_and_b32_e32 v2, 0xffff, v24
	;; [unrolled: 1-line block ×3, first 2 shown]
	;;#ASMSTART
	v_cvt_f32_f16 v0, v0;
	;;#ASMEND
	;;#ASMSTART
	v_cvt_f32_f16 v1, v1;
	;;#ASMEND
	;;#ASMSTART
	v_cvt_f32_f16 v2, v2;
	;;#ASMEND
	;;#ASMSTART
	v_cvt_f32_f16 v3, v3;
	;;#ASMEND
	v_fmac_f32_e32 v12, v0, v2
	v_fmac_f32_e32 v11, v1, v3
	ds_read_b128 v[0:3], v9 offset:176
	v_and_b32_e32 v5, 0xffff, v22
	v_and_b32_e32 v6, 0xffff, v35
	s_waitcnt lgkmcnt(0)
	v_lshrrev_b32_e32 v4, 16, v0
	v_and_b32_e32 v0, 0xffff, v0
	;;#ASMSTART
	v_cvt_f32_f16 v0, v0;
	;;#ASMEND
	;;#ASMSTART
	v_cvt_f32_f16 v4, v4;
	;;#ASMEND
	;; [unrolled: 3-line block ×4, first 2 shown]
	v_fmac_f32_e32 v64, v0, v5
	v_fmac_f32_e32 v69, v4, v6
	v_lshrrev_b32_e32 v4, 16, v1
	v_and_b32_e32 v0, 0xffff, v1
	;;#ASMSTART
	v_cvt_f32_f16 v0, v0;
	;;#ASMEND
	;;#ASMSTART
	v_cvt_f32_f16 v1, v4;
	;;#ASMEND
	v_and_b32_e32 v4, 0xffff, v39
	v_and_b32_e32 v5, 0xffff, v23
	;;#ASMSTART
	v_cvt_f32_f16 v4, v4;
	;;#ASMEND
	;;#ASMSTART
	v_cvt_f32_f16 v5, v5;
	;;#ASMEND
	v_fmac_f32_e32 v38, v0, v4
	v_fmac_f32_e32 v33, v1, v5
	v_lshrrev_b32_e32 v1, 16, v2
	v_and_b32_e32 v0, 0xffff, v2
	v_and_b32_e32 v2, 0xffff, v37
	;;#ASMSTART
	v_cvt_f32_f16 v0, v0;
	;;#ASMEND
	;;#ASMSTART
	v_cvt_f32_f16 v1, v1;
	;;#ASMEND
	;; [unrolled: 3-line block ×3, first 2 shown]
	buffer_load_dword v4, off, s[0:3], s32 offset:356 ; 4-byte Folded Reload
	v_fmac_f32_e32 v71, v0, v2
	v_and_b32_e32 v0, 0xffff, v3
	v_and_b32_e32 v2, 0xffff, v94
	v_and_b32_e32 v5, 0xffff, v107
	s_waitcnt vmcnt(0)
	v_and_b32_e32 v4, 0xffff, v4
	;;#ASMSTART
	v_cvt_f32_f16 v4, v4;
	;;#ASMEND
	v_fmac_f32_e32 v70, v1, v4
	v_lshrrev_b32_e32 v1, 16, v3
	v_and_b32_e32 v3, 0xffff, v106
	;;#ASMSTART
	v_cvt_f32_f16 v0, v0;
	;;#ASMEND
	;;#ASMSTART
	v_cvt_f32_f16 v1, v1;
	;;#ASMEND
	;; [unrolled: 3-line block ×4, first 2 shown]
	v_fmac_f32_e32 v12, v0, v2
	v_fmac_f32_e32 v11, v1, v3
	ds_read_b128 v[0:3], v9 offset:192
	s_waitcnt lgkmcnt(0)
	v_lshrrev_b32_e32 v4, 16, v0
	v_and_b32_e32 v0, 0xffff, v0
	;;#ASMSTART
	v_cvt_f32_f16 v0, v0;
	;;#ASMEND
	;;#ASMSTART
	v_cvt_f32_f16 v4, v4;
	;;#ASMEND
	;; [unrolled: 3-line block ×3, first 2 shown]
	buffer_load_dword v6, off, s[0:3], s32 offset:352 ; 4-byte Folded Reload
	v_fmac_f32_e32 v64, v0, v5
	v_and_b32_e32 v0, 0xffff, v1
	s_waitcnt vmcnt(0)
	v_and_b32_e32 v6, 0xffff, v6
	;;#ASMSTART
	v_cvt_f32_f16 v6, v6;
	;;#ASMEND
	v_fmac_f32_e32 v69, v4, v6
	v_lshrrev_b32_e32 v4, 16, v1
	;;#ASMSTART
	v_cvt_f32_f16 v0, v0;
	;;#ASMEND
	;;#ASMSTART
	v_cvt_f32_f16 v1, v4;
	;;#ASMEND
	buffer_load_dword v4, off, s[0:3], s32 offset:348 ; 4-byte Folded Reload
	s_waitcnt vmcnt(0)
	v_and_b32_e32 v4, 0xffff, v4
	;;#ASMSTART
	v_cvt_f32_f16 v4, v4;
	;;#ASMEND
	buffer_load_dword v5, off, s[0:3], s32 offset:344 ; 4-byte Folded Reload
	v_fmac_f32_e32 v38, v0, v4
	v_and_b32_e32 v0, 0xffff, v2
	s_waitcnt vmcnt(0)
	v_and_b32_e32 v5, 0xffff, v5
	;;#ASMSTART
	v_cvt_f32_f16 v5, v5;
	;;#ASMEND
	v_fmac_f32_e32 v33, v1, v5
	v_lshrrev_b32_e32 v1, 16, v2
	;;#ASMSTART
	v_cvt_f32_f16 v0, v0;
	;;#ASMEND
	;;#ASMSTART
	v_cvt_f32_f16 v1, v1;
	;;#ASMEND
	buffer_load_dword v2, off, s[0:3], s32 offset:340 ; 4-byte Folded Reload
	s_waitcnt vmcnt(0)
	v_and_b32_e32 v2, 0xffff, v2
	;;#ASMSTART
	v_cvt_f32_f16 v2, v2;
	;;#ASMEND
	buffer_load_dword v4, off, s[0:3], s32 offset:336 ; 4-byte Folded Reload
	v_fmac_f32_e32 v71, v0, v2
	v_and_b32_e32 v0, 0xffff, v3
	s_waitcnt vmcnt(0)
	v_and_b32_e32 v4, 0xffff, v4
	;;#ASMSTART
	v_cvt_f32_f16 v4, v4;
	;;#ASMEND
	v_fmac_f32_e32 v70, v1, v4
	v_lshrrev_b32_e32 v1, 16, v3
	;;#ASMSTART
	v_cvt_f32_f16 v0, v0;
	;;#ASMEND
	;;#ASMSTART
	v_cvt_f32_f16 v1, v1;
	;;#ASMEND
	buffer_load_dword v2, off, s[0:3], s32 offset:332 ; 4-byte Folded Reload
	s_waitcnt vmcnt(0)
	v_and_b32_e32 v2, 0xffff, v2
	;;#ASMSTART
	v_cvt_f32_f16 v2, v2;
	;;#ASMEND
	buffer_load_dword v3, off, s[0:3], s32 offset:328 ; 4-byte Folded Reload
	v_fmac_f32_e32 v12, v0, v2
	s_waitcnt vmcnt(0)
	v_and_b32_e32 v3, 0xffff, v3
	;;#ASMSTART
	v_cvt_f32_f16 v3, v3;
	;;#ASMEND
	v_fmac_f32_e32 v11, v1, v3
	ds_read_b128 v[0:3], v9 offset:208
	s_waitcnt lgkmcnt(0)
	v_lshrrev_b32_e32 v4, 16, v0
	v_and_b32_e32 v0, 0xffff, v0
	;;#ASMSTART
	v_cvt_f32_f16 v0, v0;
	;;#ASMEND
	;;#ASMSTART
	v_cvt_f32_f16 v4, v4;
	;;#ASMEND
	buffer_load_dword v5, off, s[0:3], s32 offset:324 ; 4-byte Folded Reload
	s_waitcnt vmcnt(0)
	v_and_b32_e32 v5, 0xffff, v5
	;;#ASMSTART
	v_cvt_f32_f16 v5, v5;
	;;#ASMEND
	buffer_load_dword v6, off, s[0:3], s32 offset:320 ; 4-byte Folded Reload
	v_fmac_f32_e32 v64, v0, v5
	v_and_b32_e32 v0, 0xffff, v1
	s_waitcnt vmcnt(0)
	v_and_b32_e32 v6, 0xffff, v6
	;;#ASMSTART
	v_cvt_f32_f16 v6, v6;
	;;#ASMEND
	v_fmac_f32_e32 v69, v4, v6
	v_lshrrev_b32_e32 v4, 16, v1
	;;#ASMSTART
	v_cvt_f32_f16 v0, v0;
	;;#ASMEND
	;;#ASMSTART
	v_cvt_f32_f16 v1, v4;
	;;#ASMEND
	buffer_load_dword v4, off, s[0:3], s32 offset:316 ; 4-byte Folded Reload
	s_waitcnt vmcnt(0)
	v_and_b32_e32 v4, 0xffff, v4
	;;#ASMSTART
	v_cvt_f32_f16 v4, v4;
	;;#ASMEND
	buffer_load_dword v5, off, s[0:3], s32 offset:312 ; 4-byte Folded Reload
	v_fmac_f32_e32 v38, v0, v4
	v_and_b32_e32 v0, 0xffff, v2
	s_waitcnt vmcnt(0)
	v_and_b32_e32 v5, 0xffff, v5
	;;#ASMSTART
	v_cvt_f32_f16 v5, v5;
	;;#ASMEND
	v_fmac_f32_e32 v33, v1, v5
	v_lshrrev_b32_e32 v1, 16, v2
	;; [unrolled: 22-line block ×3, first 2 shown]
	;;#ASMSTART
	v_cvt_f32_f16 v0, v0;
	;;#ASMEND
	;;#ASMSTART
	v_cvt_f32_f16 v1, v1;
	;;#ASMEND
	buffer_load_dword v2, off, s[0:3], s32 offset:300 ; 4-byte Folded Reload
	s_waitcnt vmcnt(0)
	v_and_b32_e32 v2, 0xffff, v2
	;;#ASMSTART
	v_cvt_f32_f16 v2, v2;
	;;#ASMEND
	buffer_load_dword v3, off, s[0:3], s32 offset:296 ; 4-byte Folded Reload
	v_fmac_f32_e32 v12, v0, v2
	s_waitcnt vmcnt(0)
	v_and_b32_e32 v3, 0xffff, v3
	;;#ASMSTART
	v_cvt_f32_f16 v3, v3;
	;;#ASMEND
	v_fmac_f32_e32 v11, v1, v3
	ds_read_b128 v[0:3], v9 offset:224
	s_waitcnt lgkmcnt(0)
	v_lshrrev_b32_e32 v4, 16, v0
	v_and_b32_e32 v0, 0xffff, v0
	;;#ASMSTART
	v_cvt_f32_f16 v0, v0;
	;;#ASMEND
	;;#ASMSTART
	v_cvt_f32_f16 v4, v4;
	;;#ASMEND
	buffer_load_dword v5, off, s[0:3], s32 offset:292 ; 4-byte Folded Reload
	s_waitcnt vmcnt(0)
	v_and_b32_e32 v5, 0xffff, v5
	;;#ASMSTART
	v_cvt_f32_f16 v5, v5;
	;;#ASMEND
	buffer_load_dword v6, off, s[0:3], s32 offset:288 ; 4-byte Folded Reload
	v_fmac_f32_e32 v64, v0, v5
	v_and_b32_e32 v0, 0xffff, v1
	s_waitcnt vmcnt(0)
	v_and_b32_e32 v6, 0xffff, v6
	;;#ASMSTART
	v_cvt_f32_f16 v6, v6;
	;;#ASMEND
	v_fmac_f32_e32 v69, v4, v6
	v_lshrrev_b32_e32 v4, 16, v1
	;;#ASMSTART
	v_cvt_f32_f16 v0, v0;
	;;#ASMEND
	;;#ASMSTART
	v_cvt_f32_f16 v1, v4;
	;;#ASMEND
	buffer_load_dword v4, off, s[0:3], s32 offset:284 ; 4-byte Folded Reload
	v_and_b32_e32 v6, 0xffff, v80
	s_waitcnt vmcnt(0)
	v_and_b32_e32 v4, 0xffff, v4
	;;#ASMSTART
	v_cvt_f32_f16 v4, v4;
	;;#ASMEND
	buffer_load_dword v5, off, s[0:3], s32 offset:280 ; 4-byte Folded Reload
	v_fmac_f32_e32 v38, v0, v4
	v_and_b32_e32 v0, 0xffff, v2
	s_waitcnt vmcnt(0)
	v_and_b32_e32 v5, 0xffff, v5
	;;#ASMSTART
	v_cvt_f32_f16 v5, v5;
	;;#ASMEND
	v_fmac_f32_e32 v33, v1, v5
	v_lshrrev_b32_e32 v1, 16, v2
	;;#ASMSTART
	v_cvt_f32_f16 v0, v0;
	;;#ASMEND
	;;#ASMSTART
	v_cvt_f32_f16 v1, v1;
	;;#ASMEND
	buffer_load_dword v2, off, s[0:3], s32 offset:276 ; 4-byte Folded Reload
	v_and_b32_e32 v5, 0xffff, v66
	s_waitcnt vmcnt(0)
	v_and_b32_e32 v2, 0xffff, v2
	;;#ASMSTART
	v_cvt_f32_f16 v2, v2;
	;;#ASMEND
	buffer_load_dword v4, off, s[0:3], s32 offset:272 ; 4-byte Folded Reload
	v_fmac_f32_e32 v71, v0, v2
	v_and_b32_e32 v0, 0xffff, v3
	s_waitcnt vmcnt(0)
	v_and_b32_e32 v4, 0xffff, v4
	;;#ASMSTART
	v_cvt_f32_f16 v4, v4;
	;;#ASMEND
	v_fmac_f32_e32 v70, v1, v4
	v_lshrrev_b32_e32 v1, 16, v3
	;;#ASMSTART
	v_cvt_f32_f16 v0, v0;
	;;#ASMEND
	;;#ASMSTART
	v_cvt_f32_f16 v1, v1;
	;;#ASMEND
	buffer_load_dword v2, off, s[0:3], s32 offset:268 ; 4-byte Folded Reload
	s_waitcnt vmcnt(0)
	v_and_b32_e32 v2, 0xffff, v2
	;;#ASMSTART
	v_cvt_f32_f16 v2, v2;
	;;#ASMEND
	buffer_load_dword v3, off, s[0:3], s32 offset:264 ; 4-byte Folded Reload
	v_fmac_f32_e32 v12, v0, v2
	s_waitcnt vmcnt(0)
	v_and_b32_e32 v3, 0xffff, v3
	;;#ASMSTART
	v_cvt_f32_f16 v3, v3;
	;;#ASMEND
	v_fmac_f32_e32 v11, v1, v3
	ds_read_b128 v[0:3], v9 offset:240
	s_waitcnt lgkmcnt(0)
	v_lshrrev_b32_e32 v4, 16, v0
	v_and_b32_e32 v0, 0xffff, v0
	;;#ASMSTART
	v_cvt_f32_f16 v0, v0;
	;;#ASMEND
	;;#ASMSTART
	v_cvt_f32_f16 v4, v4;
	;;#ASMEND
	;; [unrolled: 3-line block ×4, first 2 shown]
	v_fmac_f32_e32 v64, v0, v5
	v_fmac_f32_e32 v69, v4, v6
	v_lshrrev_b32_e32 v4, 16, v1
	v_and_b32_e32 v0, 0xffff, v1
	;;#ASMSTART
	v_cvt_f32_f16 v0, v0;
	;;#ASMEND
	;;#ASMSTART
	v_cvt_f32_f16 v1, v4;
	;;#ASMEND
	v_and_b32_e32 v4, 0xffff, v127
	;;#ASMSTART
	v_cvt_f32_f16 v4, v4;
	;;#ASMEND
	buffer_load_dword v5, off, s[0:3], s32 offset:200 ; 4-byte Folded Reload
	v_fmac_f32_e32 v38, v0, v4
	v_and_b32_e32 v0, 0xffff, v2
	v_and_b32_e32 v4, 0xffff, v92
	s_waitcnt vmcnt(0)
	v_and_b32_e32 v5, 0xffff, v5
	;;#ASMSTART
	v_cvt_f32_f16 v5, v5;
	;;#ASMEND
	v_fmac_f32_e32 v33, v1, v5
	v_lshrrev_b32_e32 v1, 16, v2
	;;#ASMSTART
	v_cvt_f32_f16 v0, v0;
	;;#ASMEND
	;;#ASMSTART
	v_cvt_f32_f16 v1, v1;
	;;#ASMEND
	v_and_b32_e32 v2, 0xffff, v85
	;;#ASMSTART
	v_cvt_f32_f16 v2, v2;
	;;#ASMEND
	;;#ASMSTART
	v_cvt_f32_f16 v4, v4;
	;;#ASMEND
	v_fmac_f32_e32 v71, v0, v2
	v_fmac_f32_e32 v70, v1, v4
	v_lshrrev_b32_e32 v1, 16, v3
	v_and_b32_e32 v0, 0xffff, v3
	;;#ASMSTART
	v_cvt_f32_f16 v0, v0;
	;;#ASMEND
	;;#ASMSTART
	v_cvt_f32_f16 v1, v1;
	;;#ASMEND
	buffer_load_dword v2, off, s[0:3], s32 offset:196 ; 4-byte Folded Reload
	s_waitcnt vmcnt(0)
	v_and_b32_e32 v2, 0xffff, v2
	;;#ASMSTART
	v_cvt_f32_f16 v2, v2;
	;;#ASMEND
	buffer_load_dword v3, off, s[0:3], s32 offset:192 ; 4-byte Folded Reload
	v_fmac_f32_e32 v12, v0, v2
	v_add_f32_e32 v0, v64, v69
	v_add_f32_e32 v0, v0, v38
	v_add_f32_e32 v0, v33, v0
	v_add_f32_e32 v0, v0, v71
	v_add_f32_e32 v0, v70, v0
	v_add_f32_e32 v0, v0, v12
	s_waitcnt vmcnt(0)
	v_and_b32_e32 v3, 0xffff, v3
	;;#ASMSTART
	v_cvt_f32_f16 v3, v3;
	;;#ASMEND
	v_fmac_f32_e32 v11, v1, v3
	s_clause 0x1
	buffer_load_dword v1, off, s[0:3], s32 offset:368
	buffer_load_dword v6, off, s[0:3], s32 offset:260
	v_add_f32_e32 v0, v11, v0
	s_waitcnt vmcnt(1)
	v_fmac_f32_e32 v8, v1, v0
	v_cndmask_b32_e64 v0, 0, v8, s5
	ds_write_b32 v31, v0
	s_waitcnt vmcnt(0)
	v_max_f32_e32 v0, v6, v6
	v_add_nc_u32_e32 v31, 0x200, v31
	v_max_f32_e32 v0, v0, v8
	v_cndmask_b32_e64 v6, v6, v0, s5
	buffer_load_dword v0, off, s[0:3], s32 offset:380 ; 4-byte Folded Reload
	v_add_co_u32 v73, s5, v73, 16
	v_add_co_ci_u32_e64 v74, null, 0, v74, s5
	s_waitcnt vmcnt(0)
	v_cmp_ge_i32_e64 s5, v105, v0
	s_or_b32 s17, s5, s17
	s_andn2_b32 exec_lo, exec_lo, s17
	s_cbranch_execz .LBB325_1032
.LBB325_11:                             ; =>This Inner Loop Header: Depth=1
	buffer_store_dword v105, off, s[0:3], s32 offset:256 ; 4-byte Folded Spill
	buffer_store_dword v31, off, s[0:3], s32 offset:252 ; 4-byte Folded Spill
	;; [unrolled: 1-line block ×4, first 2 shown]
	flat_load_dword v0, v[73:74]
	s_clause 0x2
	buffer_load_dword v1, off, s[0:3], s32 offset:376
	buffer_load_dword v2, off, s[0:3], s32 offset:384
	;; [unrolled: 1-line block ×3, first 2 shown]
	s_waitcnt vmcnt(0) lgkmcnt(0)
	v_mad_i64_i32 v[28:29], null, v0, v1, v[2:3]
	flat_load_dwordx2 v[30:31], v[28:29]
	s_clause 0x1
	buffer_load_dword v0, off, s[0:3], s32 offset:360
	buffer_load_dword v1, off, s[0:3], s32 offset:364
	s_waitcnt vmcnt(2) lgkmcnt(0)
	v_cmp_ne_u16_sdwa s5, v30, v9 src0_sel:BYTE_0 src1_sel:DWORD
	s_waitcnt vmcnt(0)
	flat_load_dword v64, v[0:1]
	v_mov_b32_e32 v0, 0
	buffer_store_dword v0, off, s[0:3], s32 offset:192 ; 4-byte Folded Spill
	s_and_saveexec_b32 s21, s5
	s_cbranch_execz .LBB325_19
; %bb.12:                               ;   in Loop: Header=BB325_11 Depth=1
	v_cmp_ne_u16_sdwa s5, v30, v51 src0_sel:BYTE_0 src1_sel:DWORD
	v_mov_b32_e32 v0, 0x8000
	buffer_store_dword v0, off, s[0:3], s32 offset:192 ; 4-byte Folded Spill
	s_and_saveexec_b32 s22, s5
	s_cbranch_execz .LBB325_18
; %bb.13:                               ;   in Loop: Header=BB325_11 Depth=1
	v_and_b32_e32 v2, 0x7f, v30
	v_mov_b32_e32 v0, 0x7c01
	s_mov_b32 s23, exec_lo
	buffer_store_dword v0, off, s[0:3], s32 offset:192 ; 4-byte Folded Spill
	v_cmpx_ne_u32_e32 0x7f, v2
	s_cbranch_execz .LBB325_17
; %bb.14:                               ;   in Loop: Header=BB325_11 Depth=1
	v_and_b32_e32 v0, 7, v30
	v_lshrrev_b32_e32 v1, 3, v2
	s_mov_b32 s24, exec_lo
	v_cmpx_gt_u32_e32 8, v2
; %bb.15:                               ;   in Loop: Header=BB325_11 Depth=1
	v_ffbh_u32_e32 v0, v0
	v_min_u32_e32 v2, 32, v0
	v_subrev_nc_u32_e32 v0, 28, v2
	v_lshlrev_b64 v[0:1], v0, v[30:31]
	v_sub_nc_u32_e32 v1, 29, v2
	v_and_b32_e32 v0, 7, v0
; %bb.16:                               ;   in Loop: Header=BB325_11 Depth=1
	s_or_b32 exec_lo, exec_lo, s24
	v_lshlrev_b32_e32 v2, 8, v30
	v_lshl_add_u32 v1, v1, 10, 0x2000
	v_lshlrev_b32_e32 v0, 7, v0
	v_and_b32_e32 v2, 0x8000, v2
	v_and_b32_e32 v1, 0xfc00, v1
	v_or3_b32 v0, v2, v1, v0
	buffer_store_dword v0, off, s[0:3], s32 offset:192 ; 4-byte Folded Spill
.LBB325_17:                             ;   in Loop: Header=BB325_11 Depth=1
	s_or_b32 exec_lo, exec_lo, s23
.LBB325_18:                             ;   in Loop: Header=BB325_11 Depth=1
	s_or_b32 exec_lo, exec_lo, s22
.LBB325_19:                             ;   in Loop: Header=BB325_11 Depth=1
	s_or_b32 exec_lo, exec_lo, s21
	v_mov_b32_e32 v0, 0
	v_lshrrev_b16 v8, 8, v30
	s_mov_b32 s21, exec_lo
	buffer_store_dword v0, off, s[0:3], s32 offset:200 ; 4-byte Folded Spill
	v_mov_b32_e32 v0, 0
	buffer_store_dword v0, off, s[0:3], s32 offset:196 ; 4-byte Folded Spill
	v_cmpx_ne_u16_e32 0, v8
	s_cbranch_execz .LBB325_27
; %bb.20:                               ;   in Loop: Header=BB325_11 Depth=1
	v_bfrev_b32_e32 v0, 1
	s_mov_b32 s22, exec_lo
	buffer_store_dword v0, off, s[0:3], s32 offset:196 ; 4-byte Folded Spill
	v_cmpx_ne_u16_e32 0x80, v8
	s_cbranch_execz .LBB325_26
; %bb.21:                               ;   in Loop: Header=BB325_11 Depth=1
	v_mov_b32_e32 v0, 0x7f
	s_mov_b32 s23, exec_lo
	v_and_b32_sdwa v2, v8, v0 dst_sel:DWORD dst_unused:UNUSED_PAD src0_sel:WORD_0 src1_sel:DWORD
	v_mov_b32_e32 v0, 0x7c010000
	buffer_store_dword v0, off, s[0:3], s32 offset:196 ; 4-byte Folded Spill
	v_cmpx_ne_u32_e32 0x7f, v2
	s_cbranch_execz .LBB325_25
; %bb.22:                               ;   in Loop: Header=BB325_11 Depth=1
	v_mov_b32_e32 v0, 7
	v_lshrrev_b32_e32 v1, 3, v2
	s_mov_b32 s24, exec_lo
	v_and_b32_sdwa v0, v8, v0 dst_sel:DWORD dst_unused:UNUSED_PAD src0_sel:WORD_0 src1_sel:DWORD
	v_cmpx_gt_u32_e32 8, v2
; %bb.23:                               ;   in Loop: Header=BB325_11 Depth=1
	v_ffbh_u32_e32 v0, v0
	v_min_u32_e32 v2, 32, v0
	v_subrev_nc_u32_e32 v0, 28, v2
	v_lshlrev_b64 v[0:1], v0, v[8:9]
	v_sub_nc_u32_e32 v1, 29, v2
	v_and_b32_e32 v0, 7, v0
; %bb.24:                               ;   in Loop: Header=BB325_11 Depth=1
	s_or_b32 exec_lo, exec_lo, s24
	v_mov_b32_e32 v2, 8
	v_lshl_add_u32 v1, v1, 10, 0x2000
	v_lshlrev_b32_e32 v0, 23, v0
	v_lshlrev_b32_sdwa v2, v2, v8 dst_sel:DWORD dst_unused:UNUSED_PAD src0_sel:DWORD src1_sel:WORD_0
	v_and_or_b32 v1, 0x8000, v2, v1
	v_lshl_or_b32 v0, v1, 16, v0
	buffer_store_dword v0, off, s[0:3], s32 offset:196 ; 4-byte Folded Spill
.LBB325_25:                             ;   in Loop: Header=BB325_11 Depth=1
	s_or_b32 exec_lo, exec_lo, s23
.LBB325_26:                             ;   in Loop: Header=BB325_11 Depth=1
	s_or_b32 exec_lo, exec_lo, s22
.LBB325_27:                             ;   in Loop: Header=BB325_11 Depth=1
	s_or_b32 exec_lo, exec_lo, s21
	v_lshrrev_b32_e32 v8, 16, v30
	v_cmp_ne_u16_sdwa s5, v8, v9 src0_sel:BYTE_0 src1_sel:DWORD
	s_and_saveexec_b32 s21, s5
	s_cbranch_execz .LBB325_35
; %bb.28:                               ;   in Loop: Header=BB325_11 Depth=1
	v_cmp_ne_u16_sdwa s5, v8, v51 src0_sel:BYTE_0 src1_sel:DWORD
	v_mov_b32_e32 v0, 0x8000
	buffer_store_dword v0, off, s[0:3], s32 offset:200 ; 4-byte Folded Spill
	s_and_saveexec_b32 s22, s5
	s_cbranch_execz .LBB325_34
; %bb.29:                               ;   in Loop: Header=BB325_11 Depth=1
	v_bfe_u32 v2, v30, 16, 7
	v_mov_b32_e32 v0, 0x7c01
	s_mov_b32 s23, exec_lo
	buffer_store_dword v0, off, s[0:3], s32 offset:200 ; 4-byte Folded Spill
	v_cmpx_ne_u32_e32 0x7f, v2
	s_cbranch_execz .LBB325_33
; %bb.30:                               ;   in Loop: Header=BB325_11 Depth=1
	v_and_b32_e32 v0, 7, v8
	v_lshrrev_b32_e32 v1, 3, v2
	s_mov_b32 s24, exec_lo
	v_cmpx_gt_u32_e32 8, v2
; %bb.31:                               ;   in Loop: Header=BB325_11 Depth=1
	v_ffbh_u32_e32 v0, v0
	v_min_u32_e32 v2, 32, v0
	v_subrev_nc_u32_e32 v0, 28, v2
	v_lshlrev_b64 v[0:1], v0, v[8:9]
	v_sub_nc_u32_e32 v1, 29, v2
	v_and_b32_e32 v0, 7, v0
; %bb.32:                               ;   in Loop: Header=BB325_11 Depth=1
	s_or_b32 exec_lo, exec_lo, s24
	v_lshlrev_b32_e32 v2, 8, v8
	v_lshl_add_u32 v1, v1, 10, 0x2000
	v_lshlrev_b32_e32 v0, 7, v0
	v_and_b32_e32 v2, 0x8000, v2
	v_and_b32_e32 v1, 0xfc00, v1
	v_or3_b32 v0, v2, v1, v0
	buffer_store_dword v0, off, s[0:3], s32 offset:200 ; 4-byte Folded Spill
.LBB325_33:                             ;   in Loop: Header=BB325_11 Depth=1
	s_or_b32 exec_lo, exec_lo, s23
.LBB325_34:                             ;   in Loop: Header=BB325_11 Depth=1
	s_or_b32 exec_lo, exec_lo, s22
.LBB325_35:                             ;   in Loop: Header=BB325_11 Depth=1
	s_or_b32 exec_lo, exec_lo, s21
	v_mov_b32_e32 v0, 0
	v_mov_b32_e32 v124, 0
	s_mov_b32 s21, exec_lo
	buffer_store_dword v0, off, s[0:3], s32 offset:204 ; 4-byte Folded Spill
	v_cmpx_lt_u32_e32 0xffffff, v30
	s_cbranch_execz .LBB325_43
; %bb.36:                               ;   in Loop: Header=BB325_11 Depth=1
	v_lshrrev_b32_e32 v8, 24, v30
	v_bfrev_b32_e32 v124, 1
	s_mov_b32 s22, exec_lo
	v_cmpx_ne_u32_e32 0x80, v8
	s_cbranch_execz .LBB325_42
; %bb.37:                               ;   in Loop: Header=BB325_11 Depth=1
	v_and_b32_e32 v2, 0x7f, v8
	v_mov_b32_e32 v124, 0x7c010000
	s_mov_b32 s23, exec_lo
	v_cmpx_ne_u32_e32 0x7f, v2
	s_cbranch_execz .LBB325_41
; %bb.38:                               ;   in Loop: Header=BB325_11 Depth=1
	v_and_b32_e32 v0, 7, v8
	v_lshrrev_b32_e32 v1, 3, v2
	s_mov_b32 s24, exec_lo
	v_cmpx_gt_u32_e32 8, v2
; %bb.39:                               ;   in Loop: Header=BB325_11 Depth=1
	v_ffbh_u32_e32 v0, v0
	v_min_u32_e32 v2, 32, v0
	v_subrev_nc_u32_e32 v0, 28, v2
	v_lshlrev_b64 v[0:1], v0, v[8:9]
	v_sub_nc_u32_e32 v1, 29, v2
	v_and_b32_e32 v0, 7, v0
; %bb.40:                               ;   in Loop: Header=BB325_11 Depth=1
	s_or_b32 exec_lo, exec_lo, s24
	v_lshlrev_b32_e32 v2, 8, v8
	v_lshl_add_u32 v1, v1, 10, 0x2000
	v_lshlrev_b32_e32 v0, 23, v0
	v_and_or_b32 v1, 0x8000, v2, v1
	v_lshl_or_b32 v124, v1, 16, v0
.LBB325_41:                             ;   in Loop: Header=BB325_11 Depth=1
	s_or_b32 exec_lo, exec_lo, s23
.LBB325_42:                             ;   in Loop: Header=BB325_11 Depth=1
	s_or_b32 exec_lo, exec_lo, s22
.LBB325_43:                             ;   in Loop: Header=BB325_11 Depth=1
	s_or_b32 exec_lo, exec_lo, s21
	v_mov_b32_e32 v8, v31
	v_cmp_ne_u16_sdwa s5, v31, v9 src0_sel:BYTE_0 src1_sel:DWORD
	s_and_saveexec_b32 s21, s5
	s_cbranch_execz .LBB325_51
; %bb.44:                               ;   in Loop: Header=BB325_11 Depth=1
	v_cmp_ne_u16_sdwa s5, v31, v51 src0_sel:BYTE_0 src1_sel:DWORD
	v_mov_b32_e32 v0, 0x8000
	buffer_store_dword v0, off, s[0:3], s32 offset:204 ; 4-byte Folded Spill
	s_and_saveexec_b32 s22, s5
	s_cbranch_execz .LBB325_50
; %bb.45:                               ;   in Loop: Header=BB325_11 Depth=1
	v_and_b32_e32 v2, 0x7f, v31
	v_mov_b32_e32 v0, 0x7c01
	s_mov_b32 s23, exec_lo
	buffer_store_dword v0, off, s[0:3], s32 offset:204 ; 4-byte Folded Spill
	v_cmpx_ne_u32_e32 0x7f, v2
	s_cbranch_execz .LBB325_49
; %bb.46:                               ;   in Loop: Header=BB325_11 Depth=1
	v_and_b32_e32 v0, 7, v31
	v_lshrrev_b32_e32 v1, 3, v2
	s_mov_b32 s24, exec_lo
	v_cmpx_gt_u32_e32 8, v2
; %bb.47:                               ;   in Loop: Header=BB325_11 Depth=1
	v_ffbh_u32_e32 v0, v0
	v_min_u32_e32 v2, 32, v0
	v_subrev_nc_u32_e32 v0, 28, v2
	v_lshlrev_b64 v[0:1], v0, v[8:9]
	v_sub_nc_u32_e32 v1, 29, v2
	v_and_b32_e32 v0, 7, v0
; %bb.48:                               ;   in Loop: Header=BB325_11 Depth=1
	s_or_b32 exec_lo, exec_lo, s24
	v_lshlrev_b32_e32 v2, 8, v31
	v_lshl_add_u32 v1, v1, 10, 0x2000
	v_lshlrev_b32_e32 v0, 7, v0
	v_and_b32_e32 v2, 0x8000, v2
	v_and_b32_e32 v1, 0xfc00, v1
	v_or3_b32 v0, v2, v1, v0
	buffer_store_dword v0, off, s[0:3], s32 offset:204 ; 4-byte Folded Spill
.LBB325_49:                             ;   in Loop: Header=BB325_11 Depth=1
	s_or_b32 exec_lo, exec_lo, s23
.LBB325_50:                             ;   in Loop: Header=BB325_11 Depth=1
	s_or_b32 exec_lo, exec_lo, s22
.LBB325_51:                             ;   in Loop: Header=BB325_11 Depth=1
	s_or_b32 exec_lo, exec_lo, s21
	v_lshrrev_b16 v8, 8, v8
	v_mov_b32_e32 v0, 0
	v_mov_b32_e32 v95, 0
	s_mov_b32 s21, exec_lo
	buffer_store_dword v0, off, s[0:3], s32 offset:208 ; 4-byte Folded Spill
	v_cmpx_ne_u16_e32 0, v8
	s_cbranch_execz .LBB325_59
; %bb.52:                               ;   in Loop: Header=BB325_11 Depth=1
	v_bfrev_b32_e32 v95, 1
	s_mov_b32 s22, exec_lo
	v_cmpx_ne_u16_e32 0x80, v8
	s_cbranch_execz .LBB325_58
; %bb.53:                               ;   in Loop: Header=BB325_11 Depth=1
	v_mov_b32_e32 v0, 0x7f
	v_mov_b32_e32 v95, 0x7c010000
	s_mov_b32 s23, exec_lo
	v_and_b32_sdwa v2, v8, v0 dst_sel:DWORD dst_unused:UNUSED_PAD src0_sel:WORD_0 src1_sel:DWORD
	v_cmpx_ne_u32_e32 0x7f, v2
	s_cbranch_execz .LBB325_57
; %bb.54:                               ;   in Loop: Header=BB325_11 Depth=1
	v_mov_b32_e32 v0, 7
	v_lshrrev_b32_e32 v1, 3, v2
	s_mov_b32 s24, exec_lo
	v_and_b32_sdwa v0, v8, v0 dst_sel:DWORD dst_unused:UNUSED_PAD src0_sel:WORD_0 src1_sel:DWORD
	v_cmpx_gt_u32_e32 8, v2
; %bb.55:                               ;   in Loop: Header=BB325_11 Depth=1
	v_ffbh_u32_e32 v0, v0
	v_min_u32_e32 v2, 32, v0
	v_subrev_nc_u32_e32 v0, 28, v2
	v_lshlrev_b64 v[0:1], v0, v[8:9]
	v_sub_nc_u32_e32 v1, 29, v2
	v_and_b32_e32 v0, 7, v0
; %bb.56:                               ;   in Loop: Header=BB325_11 Depth=1
	s_or_b32 exec_lo, exec_lo, s24
	v_mov_b32_e32 v2, 8
	v_lshl_add_u32 v1, v1, 10, 0x2000
	v_lshlrev_b32_e32 v0, 23, v0
	v_lshlrev_b32_sdwa v2, v2, v8 dst_sel:DWORD dst_unused:UNUSED_PAD src0_sel:DWORD src1_sel:WORD_0
	v_and_or_b32 v1, 0x8000, v2, v1
	v_lshl_or_b32 v95, v1, 16, v0
.LBB325_57:                             ;   in Loop: Header=BB325_11 Depth=1
	s_or_b32 exec_lo, exec_lo, s23
.LBB325_58:                             ;   in Loop: Header=BB325_11 Depth=1
	s_or_b32 exec_lo, exec_lo, s22
.LBB325_59:                             ;   in Loop: Header=BB325_11 Depth=1
	s_or_b32 exec_lo, exec_lo, s21
	v_lshrrev_b32_e32 v8, 16, v31
	v_cmp_ne_u16_sdwa s5, v8, v9 src0_sel:BYTE_0 src1_sel:DWORD
	s_and_saveexec_b32 s21, s5
	s_cbranch_execz .LBB325_67
; %bb.60:                               ;   in Loop: Header=BB325_11 Depth=1
	v_cmp_ne_u16_sdwa s5, v8, v51 src0_sel:BYTE_0 src1_sel:DWORD
	v_mov_b32_e32 v0, 0x8000
	buffer_store_dword v0, off, s[0:3], s32 offset:208 ; 4-byte Folded Spill
	s_and_saveexec_b32 s22, s5
	s_cbranch_execz .LBB325_66
; %bb.61:                               ;   in Loop: Header=BB325_11 Depth=1
	v_bfe_u32 v2, v31, 16, 7
	v_mov_b32_e32 v0, 0x7c01
	s_mov_b32 s23, exec_lo
	buffer_store_dword v0, off, s[0:3], s32 offset:208 ; 4-byte Folded Spill
	v_cmpx_ne_u32_e32 0x7f, v2
	s_cbranch_execz .LBB325_65
; %bb.62:                               ;   in Loop: Header=BB325_11 Depth=1
	v_and_b32_e32 v0, 7, v8
	v_lshrrev_b32_e32 v1, 3, v2
	s_mov_b32 s24, exec_lo
	v_cmpx_gt_u32_e32 8, v2
; %bb.63:                               ;   in Loop: Header=BB325_11 Depth=1
	v_ffbh_u32_e32 v0, v0
	v_min_u32_e32 v2, 32, v0
	v_subrev_nc_u32_e32 v0, 28, v2
	v_lshlrev_b64 v[0:1], v0, v[8:9]
	v_sub_nc_u32_e32 v1, 29, v2
	v_and_b32_e32 v0, 7, v0
; %bb.64:                               ;   in Loop: Header=BB325_11 Depth=1
	s_or_b32 exec_lo, exec_lo, s24
	v_lshlrev_b32_e32 v2, 8, v8
	v_lshl_add_u32 v1, v1, 10, 0x2000
	v_lshlrev_b32_e32 v0, 7, v0
	v_and_b32_e32 v2, 0x8000, v2
	v_and_b32_e32 v1, 0xfc00, v1
	v_or3_b32 v0, v2, v1, v0
	buffer_store_dword v0, off, s[0:3], s32 offset:208 ; 4-byte Folded Spill
.LBB325_65:                             ;   in Loop: Header=BB325_11 Depth=1
	s_or_b32 exec_lo, exec_lo, s23
.LBB325_66:                             ;   in Loop: Header=BB325_11 Depth=1
	s_or_b32 exec_lo, exec_lo, s22
.LBB325_67:                             ;   in Loop: Header=BB325_11 Depth=1
	s_or_b32 exec_lo, exec_lo, s21
	v_mov_b32_e32 v0, 0
	v_mov_b32_e32 v93, 0
	s_mov_b32 s21, exec_lo
	buffer_store_dword v0, off, s[0:3], s32 offset:212 ; 4-byte Folded Spill
	v_cmpx_lt_u64_e64 s[6:7], v[30:31]
	s_cbranch_execz .LBB325_75
; %bb.68:                               ;   in Loop: Header=BB325_11 Depth=1
	v_lshrrev_b32_e32 v8, 24, v31
	v_bfrev_b32_e32 v93, 1
	s_mov_b32 s22, exec_lo
	v_cmpx_ne_u32_e32 0x80, v8
	s_cbranch_execz .LBB325_74
; %bb.69:                               ;   in Loop: Header=BB325_11 Depth=1
	v_and_b32_e32 v2, 0x7f, v8
	v_mov_b32_e32 v93, 0x7c010000
	s_mov_b32 s23, exec_lo
	v_cmpx_ne_u32_e32 0x7f, v2
	s_cbranch_execz .LBB325_73
; %bb.70:                               ;   in Loop: Header=BB325_11 Depth=1
	v_and_b32_e32 v0, 7, v8
	v_lshrrev_b32_e32 v1, 3, v2
	s_mov_b32 s24, exec_lo
	v_cmpx_gt_u32_e32 8, v2
; %bb.71:                               ;   in Loop: Header=BB325_11 Depth=1
	v_ffbh_u32_e32 v0, v0
	v_min_u32_e32 v2, 32, v0
	v_subrev_nc_u32_e32 v0, 28, v2
	v_lshlrev_b64 v[0:1], v0, v[8:9]
	v_sub_nc_u32_e32 v1, 29, v2
	v_and_b32_e32 v0, 7, v0
; %bb.72:                               ;   in Loop: Header=BB325_11 Depth=1
	s_or_b32 exec_lo, exec_lo, s24
	v_lshlrev_b32_e32 v2, 8, v8
	v_lshl_add_u32 v1, v1, 10, 0x2000
	v_lshlrev_b32_e32 v0, 23, v0
	v_and_or_b32 v1, 0x8000, v2, v1
	v_lshl_or_b32 v93, v1, 16, v0
.LBB325_73:                             ;   in Loop: Header=BB325_11 Depth=1
	s_or_b32 exec_lo, exec_lo, s23
.LBB325_74:                             ;   in Loop: Header=BB325_11 Depth=1
	s_or_b32 exec_lo, exec_lo, s22
.LBB325_75:                             ;   in Loop: Header=BB325_11 Depth=1
	s_or_b32 exec_lo, exec_lo, s21
	flat_load_dwordx2 v[30:31], v[28:29] offset:8
	s_waitcnt vmcnt(0) lgkmcnt(0)
	v_cmp_ne_u16_sdwa s5, v30, v9 src0_sel:BYTE_0 src1_sel:DWORD
	s_and_saveexec_b32 s21, s5
	s_cbranch_execz .LBB325_83
; %bb.76:                               ;   in Loop: Header=BB325_11 Depth=1
	v_cmp_ne_u16_sdwa s5, v30, v51 src0_sel:BYTE_0 src1_sel:DWORD
	v_mov_b32_e32 v0, 0x8000
	buffer_store_dword v0, off, s[0:3], s32 offset:212 ; 4-byte Folded Spill
	s_and_saveexec_b32 s22, s5
	s_cbranch_execz .LBB325_82
; %bb.77:                               ;   in Loop: Header=BB325_11 Depth=1
	v_and_b32_e32 v2, 0x7f, v30
	v_mov_b32_e32 v0, 0x7c01
	s_mov_b32 s23, exec_lo
	buffer_store_dword v0, off, s[0:3], s32 offset:212 ; 4-byte Folded Spill
	v_cmpx_ne_u32_e32 0x7f, v2
	s_cbranch_execz .LBB325_81
; %bb.78:                               ;   in Loop: Header=BB325_11 Depth=1
	v_and_b32_e32 v0, 7, v30
	v_lshrrev_b32_e32 v1, 3, v2
	s_mov_b32 s24, exec_lo
	v_cmpx_gt_u32_e32 8, v2
; %bb.79:                               ;   in Loop: Header=BB325_11 Depth=1
	v_ffbh_u32_e32 v0, v0
	v_min_u32_e32 v2, 32, v0
	v_subrev_nc_u32_e32 v0, 28, v2
	v_lshlrev_b64 v[0:1], v0, v[30:31]
	v_sub_nc_u32_e32 v1, 29, v2
	v_and_b32_e32 v0, 7, v0
; %bb.80:                               ;   in Loop: Header=BB325_11 Depth=1
	s_or_b32 exec_lo, exec_lo, s24
	v_lshlrev_b32_e32 v2, 8, v30
	v_lshl_add_u32 v1, v1, 10, 0x2000
	v_lshlrev_b32_e32 v0, 7, v0
	v_and_b32_e32 v2, 0x8000, v2
	v_and_b32_e32 v1, 0xfc00, v1
	v_or3_b32 v0, v2, v1, v0
	buffer_store_dword v0, off, s[0:3], s32 offset:212 ; 4-byte Folded Spill
.LBB325_81:                             ;   in Loop: Header=BB325_11 Depth=1
	s_or_b32 exec_lo, exec_lo, s23
.LBB325_82:                             ;   in Loop: Header=BB325_11 Depth=1
	s_or_b32 exec_lo, exec_lo, s22
.LBB325_83:                             ;   in Loop: Header=BB325_11 Depth=1
	s_or_b32 exec_lo, exec_lo, s21
	v_lshrrev_b16 v8, 8, v30
	v_mov_b32_e32 v0, 0
	v_mov_b32_e32 v82, 0
	s_mov_b32 s21, exec_lo
	buffer_store_dword v0, off, s[0:3], s32 offset:216 ; 4-byte Folded Spill
	v_cmpx_ne_u16_e32 0, v8
	s_cbranch_execz .LBB325_91
; %bb.84:                               ;   in Loop: Header=BB325_11 Depth=1
	v_bfrev_b32_e32 v82, 1
	s_mov_b32 s22, exec_lo
	v_cmpx_ne_u16_e32 0x80, v8
	s_cbranch_execz .LBB325_90
; %bb.85:                               ;   in Loop: Header=BB325_11 Depth=1
	v_mov_b32_e32 v0, 0x7f
	v_mov_b32_e32 v82, 0x7c010000
	s_mov_b32 s23, exec_lo
	v_and_b32_sdwa v2, v8, v0 dst_sel:DWORD dst_unused:UNUSED_PAD src0_sel:WORD_0 src1_sel:DWORD
	v_cmpx_ne_u32_e32 0x7f, v2
	s_cbranch_execz .LBB325_89
; %bb.86:                               ;   in Loop: Header=BB325_11 Depth=1
	v_mov_b32_e32 v0, 7
	v_lshrrev_b32_e32 v1, 3, v2
	s_mov_b32 s24, exec_lo
	v_and_b32_sdwa v0, v8, v0 dst_sel:DWORD dst_unused:UNUSED_PAD src0_sel:WORD_0 src1_sel:DWORD
	v_cmpx_gt_u32_e32 8, v2
; %bb.87:                               ;   in Loop: Header=BB325_11 Depth=1
	v_ffbh_u32_e32 v0, v0
	v_min_u32_e32 v2, 32, v0
	v_subrev_nc_u32_e32 v0, 28, v2
	v_lshlrev_b64 v[0:1], v0, v[8:9]
	v_sub_nc_u32_e32 v1, 29, v2
	v_and_b32_e32 v0, 7, v0
; %bb.88:                               ;   in Loop: Header=BB325_11 Depth=1
	s_or_b32 exec_lo, exec_lo, s24
	v_mov_b32_e32 v2, 8
	v_lshl_add_u32 v1, v1, 10, 0x2000
	v_lshlrev_b32_e32 v0, 23, v0
	v_lshlrev_b32_sdwa v2, v2, v8 dst_sel:DWORD dst_unused:UNUSED_PAD src0_sel:DWORD src1_sel:WORD_0
	v_and_or_b32 v1, 0x8000, v2, v1
	v_lshl_or_b32 v82, v1, 16, v0
.LBB325_89:                             ;   in Loop: Header=BB325_11 Depth=1
	s_or_b32 exec_lo, exec_lo, s23
.LBB325_90:                             ;   in Loop: Header=BB325_11 Depth=1
	s_or_b32 exec_lo, exec_lo, s22
.LBB325_91:                             ;   in Loop: Header=BB325_11 Depth=1
	s_or_b32 exec_lo, exec_lo, s21
	v_lshrrev_b32_e32 v8, 16, v30
	v_cmp_ne_u16_sdwa s5, v8, v9 src0_sel:BYTE_0 src1_sel:DWORD
	s_and_saveexec_b32 s21, s5
	s_cbranch_execz .LBB325_99
; %bb.92:                               ;   in Loop: Header=BB325_11 Depth=1
	v_cmp_ne_u16_sdwa s5, v8, v51 src0_sel:BYTE_0 src1_sel:DWORD
	v_mov_b32_e32 v0, 0x8000
	buffer_store_dword v0, off, s[0:3], s32 offset:216 ; 4-byte Folded Spill
	s_and_saveexec_b32 s22, s5
	s_cbranch_execz .LBB325_98
; %bb.93:                               ;   in Loop: Header=BB325_11 Depth=1
	v_bfe_u32 v2, v30, 16, 7
	v_mov_b32_e32 v0, 0x7c01
	s_mov_b32 s23, exec_lo
	buffer_store_dword v0, off, s[0:3], s32 offset:216 ; 4-byte Folded Spill
	v_cmpx_ne_u32_e32 0x7f, v2
	s_cbranch_execz .LBB325_97
; %bb.94:                               ;   in Loop: Header=BB325_11 Depth=1
	v_and_b32_e32 v0, 7, v8
	v_lshrrev_b32_e32 v1, 3, v2
	s_mov_b32 s24, exec_lo
	v_cmpx_gt_u32_e32 8, v2
; %bb.95:                               ;   in Loop: Header=BB325_11 Depth=1
	v_ffbh_u32_e32 v0, v0
	v_min_u32_e32 v2, 32, v0
	v_subrev_nc_u32_e32 v0, 28, v2
	v_lshlrev_b64 v[0:1], v0, v[8:9]
	v_sub_nc_u32_e32 v1, 29, v2
	v_and_b32_e32 v0, 7, v0
; %bb.96:                               ;   in Loop: Header=BB325_11 Depth=1
	s_or_b32 exec_lo, exec_lo, s24
	v_lshlrev_b32_e32 v2, 8, v8
	v_lshl_add_u32 v1, v1, 10, 0x2000
	v_lshlrev_b32_e32 v0, 7, v0
	v_and_b32_e32 v2, 0x8000, v2
	v_and_b32_e32 v1, 0xfc00, v1
	v_or3_b32 v0, v2, v1, v0
	buffer_store_dword v0, off, s[0:3], s32 offset:216 ; 4-byte Folded Spill
.LBB325_97:                             ;   in Loop: Header=BB325_11 Depth=1
	s_or_b32 exec_lo, exec_lo, s23
.LBB325_98:                             ;   in Loop: Header=BB325_11 Depth=1
	s_or_b32 exec_lo, exec_lo, s22
.LBB325_99:                             ;   in Loop: Header=BB325_11 Depth=1
	s_or_b32 exec_lo, exec_lo, s21
	v_mov_b32_e32 v0, 0
	v_mov_b32_e32 v126, 0
	s_mov_b32 s21, exec_lo
	buffer_store_dword v0, off, s[0:3], s32 offset:220 ; 4-byte Folded Spill
	v_cmpx_lt_u32_e32 0xffffff, v30
	s_cbranch_execz .LBB325_107
; %bb.100:                              ;   in Loop: Header=BB325_11 Depth=1
	v_lshrrev_b32_e32 v8, 24, v30
	v_bfrev_b32_e32 v126, 1
	s_mov_b32 s22, exec_lo
	v_cmpx_ne_u32_e32 0x80, v8
	s_cbranch_execz .LBB325_106
; %bb.101:                              ;   in Loop: Header=BB325_11 Depth=1
	v_and_b32_e32 v2, 0x7f, v8
	v_mov_b32_e32 v126, 0x7c010000
	s_mov_b32 s23, exec_lo
	v_cmpx_ne_u32_e32 0x7f, v2
	s_cbranch_execz .LBB325_105
; %bb.102:                              ;   in Loop: Header=BB325_11 Depth=1
	v_and_b32_e32 v0, 7, v8
	v_lshrrev_b32_e32 v1, 3, v2
	s_mov_b32 s24, exec_lo
	v_cmpx_gt_u32_e32 8, v2
; %bb.103:                              ;   in Loop: Header=BB325_11 Depth=1
	v_ffbh_u32_e32 v0, v0
	v_min_u32_e32 v2, 32, v0
	v_subrev_nc_u32_e32 v0, 28, v2
	v_lshlrev_b64 v[0:1], v0, v[8:9]
	v_sub_nc_u32_e32 v1, 29, v2
	v_and_b32_e32 v0, 7, v0
; %bb.104:                              ;   in Loop: Header=BB325_11 Depth=1
	s_or_b32 exec_lo, exec_lo, s24
	v_lshlrev_b32_e32 v2, 8, v8
	v_lshl_add_u32 v1, v1, 10, 0x2000
	v_lshlrev_b32_e32 v0, 23, v0
	v_and_or_b32 v1, 0x8000, v2, v1
	v_lshl_or_b32 v126, v1, 16, v0
.LBB325_105:                            ;   in Loop: Header=BB325_11 Depth=1
	s_or_b32 exec_lo, exec_lo, s23
.LBB325_106:                            ;   in Loop: Header=BB325_11 Depth=1
	s_or_b32 exec_lo, exec_lo, s22
.LBB325_107:                            ;   in Loop: Header=BB325_11 Depth=1
	s_or_b32 exec_lo, exec_lo, s21
	v_mov_b32_e32 v8, v31
	v_cmp_ne_u16_sdwa s5, v31, v9 src0_sel:BYTE_0 src1_sel:DWORD
	s_and_saveexec_b32 s21, s5
	s_cbranch_execz .LBB325_115
; %bb.108:                              ;   in Loop: Header=BB325_11 Depth=1
	v_cmp_ne_u16_sdwa s5, v31, v51 src0_sel:BYTE_0 src1_sel:DWORD
	v_mov_b32_e32 v0, 0x8000
	buffer_store_dword v0, off, s[0:3], s32 offset:220 ; 4-byte Folded Spill
	s_and_saveexec_b32 s22, s5
	s_cbranch_execz .LBB325_114
; %bb.109:                              ;   in Loop: Header=BB325_11 Depth=1
	v_and_b32_e32 v2, 0x7f, v31
	v_mov_b32_e32 v0, 0x7c01
	s_mov_b32 s23, exec_lo
	buffer_store_dword v0, off, s[0:3], s32 offset:220 ; 4-byte Folded Spill
	v_cmpx_ne_u32_e32 0x7f, v2
	s_cbranch_execz .LBB325_113
; %bb.110:                              ;   in Loop: Header=BB325_11 Depth=1
	v_and_b32_e32 v0, 7, v31
	v_lshrrev_b32_e32 v1, 3, v2
	s_mov_b32 s24, exec_lo
	v_cmpx_gt_u32_e32 8, v2
; %bb.111:                              ;   in Loop: Header=BB325_11 Depth=1
	v_ffbh_u32_e32 v0, v0
	v_min_u32_e32 v2, 32, v0
	v_subrev_nc_u32_e32 v0, 28, v2
	v_lshlrev_b64 v[0:1], v0, v[8:9]
	v_sub_nc_u32_e32 v1, 29, v2
	v_and_b32_e32 v0, 7, v0
; %bb.112:                              ;   in Loop: Header=BB325_11 Depth=1
	s_or_b32 exec_lo, exec_lo, s24
	v_lshlrev_b32_e32 v2, 8, v31
	v_lshl_add_u32 v1, v1, 10, 0x2000
	v_lshlrev_b32_e32 v0, 7, v0
	v_and_b32_e32 v2, 0x8000, v2
	v_and_b32_e32 v1, 0xfc00, v1
	v_or3_b32 v0, v2, v1, v0
	buffer_store_dword v0, off, s[0:3], s32 offset:220 ; 4-byte Folded Spill
.LBB325_113:                            ;   in Loop: Header=BB325_11 Depth=1
	s_or_b32 exec_lo, exec_lo, s23
.LBB325_114:                            ;   in Loop: Header=BB325_11 Depth=1
	s_or_b32 exec_lo, exec_lo, s22
.LBB325_115:                            ;   in Loop: Header=BB325_11 Depth=1
	s_or_b32 exec_lo, exec_lo, s21
	v_lshrrev_b16 v8, 8, v8
	v_mov_b32_e32 v0, 0
	v_mov_b32_e32 v125, 0
	s_mov_b32 s21, exec_lo
	buffer_store_dword v0, off, s[0:3], s32 offset:224 ; 4-byte Folded Spill
	v_cmpx_ne_u16_e32 0, v8
	s_cbranch_execz .LBB325_123
; %bb.116:                              ;   in Loop: Header=BB325_11 Depth=1
	v_bfrev_b32_e32 v125, 1
	s_mov_b32 s22, exec_lo
	v_cmpx_ne_u16_e32 0x80, v8
	s_cbranch_execz .LBB325_122
; %bb.117:                              ;   in Loop: Header=BB325_11 Depth=1
	v_mov_b32_e32 v0, 0x7f
	v_mov_b32_e32 v125, 0x7c010000
	s_mov_b32 s23, exec_lo
	v_and_b32_sdwa v2, v8, v0 dst_sel:DWORD dst_unused:UNUSED_PAD src0_sel:WORD_0 src1_sel:DWORD
	v_cmpx_ne_u32_e32 0x7f, v2
	s_cbranch_execz .LBB325_121
; %bb.118:                              ;   in Loop: Header=BB325_11 Depth=1
	v_mov_b32_e32 v0, 7
	v_lshrrev_b32_e32 v1, 3, v2
	s_mov_b32 s24, exec_lo
	v_and_b32_sdwa v0, v8, v0 dst_sel:DWORD dst_unused:UNUSED_PAD src0_sel:WORD_0 src1_sel:DWORD
	v_cmpx_gt_u32_e32 8, v2
; %bb.119:                              ;   in Loop: Header=BB325_11 Depth=1
	v_ffbh_u32_e32 v0, v0
	v_min_u32_e32 v2, 32, v0
	v_subrev_nc_u32_e32 v0, 28, v2
	v_lshlrev_b64 v[0:1], v0, v[8:9]
	v_sub_nc_u32_e32 v1, 29, v2
	v_and_b32_e32 v0, 7, v0
; %bb.120:                              ;   in Loop: Header=BB325_11 Depth=1
	s_or_b32 exec_lo, exec_lo, s24
	v_mov_b32_e32 v2, 8
	v_lshl_add_u32 v1, v1, 10, 0x2000
	v_lshlrev_b32_e32 v0, 23, v0
	v_lshlrev_b32_sdwa v2, v2, v8 dst_sel:DWORD dst_unused:UNUSED_PAD src0_sel:DWORD src1_sel:WORD_0
	v_and_or_b32 v1, 0x8000, v2, v1
	v_lshl_or_b32 v125, v1, 16, v0
.LBB325_121:                            ;   in Loop: Header=BB325_11 Depth=1
	s_or_b32 exec_lo, exec_lo, s23
.LBB325_122:                            ;   in Loop: Header=BB325_11 Depth=1
	s_or_b32 exec_lo, exec_lo, s22
.LBB325_123:                            ;   in Loop: Header=BB325_11 Depth=1
	s_or_b32 exec_lo, exec_lo, s21
	v_lshrrev_b32_e32 v8, 16, v31
	v_cmp_ne_u16_sdwa s5, v8, v9 src0_sel:BYTE_0 src1_sel:DWORD
	s_and_saveexec_b32 s21, s5
	s_cbranch_execz .LBB325_131
; %bb.124:                              ;   in Loop: Header=BB325_11 Depth=1
	v_cmp_ne_u16_sdwa s5, v8, v51 src0_sel:BYTE_0 src1_sel:DWORD
	v_mov_b32_e32 v0, 0x8000
	buffer_store_dword v0, off, s[0:3], s32 offset:224 ; 4-byte Folded Spill
	s_and_saveexec_b32 s22, s5
	s_cbranch_execz .LBB325_130
; %bb.125:                              ;   in Loop: Header=BB325_11 Depth=1
	v_bfe_u32 v2, v31, 16, 7
	v_mov_b32_e32 v0, 0x7c01
	s_mov_b32 s23, exec_lo
	buffer_store_dword v0, off, s[0:3], s32 offset:224 ; 4-byte Folded Spill
	v_cmpx_ne_u32_e32 0x7f, v2
	s_cbranch_execz .LBB325_129
; %bb.126:                              ;   in Loop: Header=BB325_11 Depth=1
	v_and_b32_e32 v0, 7, v8
	v_lshrrev_b32_e32 v1, 3, v2
	s_mov_b32 s24, exec_lo
	v_cmpx_gt_u32_e32 8, v2
; %bb.127:                              ;   in Loop: Header=BB325_11 Depth=1
	v_ffbh_u32_e32 v0, v0
	v_min_u32_e32 v2, 32, v0
	v_subrev_nc_u32_e32 v0, 28, v2
	v_lshlrev_b64 v[0:1], v0, v[8:9]
	v_sub_nc_u32_e32 v1, 29, v2
	v_and_b32_e32 v0, 7, v0
; %bb.128:                              ;   in Loop: Header=BB325_11 Depth=1
	s_or_b32 exec_lo, exec_lo, s24
	v_lshlrev_b32_e32 v2, 8, v8
	v_lshl_add_u32 v1, v1, 10, 0x2000
	v_lshlrev_b32_e32 v0, 7, v0
	v_and_b32_e32 v2, 0x8000, v2
	v_and_b32_e32 v1, 0xfc00, v1
	v_or3_b32 v0, v2, v1, v0
	buffer_store_dword v0, off, s[0:3], s32 offset:224 ; 4-byte Folded Spill
.LBB325_129:                            ;   in Loop: Header=BB325_11 Depth=1
	s_or_b32 exec_lo, exec_lo, s23
.LBB325_130:                            ;   in Loop: Header=BB325_11 Depth=1
	s_or_b32 exec_lo, exec_lo, s22
.LBB325_131:                            ;   in Loop: Header=BB325_11 Depth=1
	s_or_b32 exec_lo, exec_lo, s21
	v_mov_b32_e32 v0, 0
	v_mov_b32_e32 v48, 0
	s_mov_b32 s21, exec_lo
	buffer_store_dword v0, off, s[0:3], s32 offset:228 ; 4-byte Folded Spill
	v_cmpx_lt_u64_e64 s[6:7], v[30:31]
	s_cbranch_execz .LBB325_139
; %bb.132:                              ;   in Loop: Header=BB325_11 Depth=1
	v_lshrrev_b32_e32 v8, 24, v31
	v_bfrev_b32_e32 v48, 1
	s_mov_b32 s22, exec_lo
	v_cmpx_ne_u32_e32 0x80, v8
	s_cbranch_execz .LBB325_138
; %bb.133:                              ;   in Loop: Header=BB325_11 Depth=1
	v_and_b32_e32 v2, 0x7f, v8
	v_mov_b32_e32 v48, 0x7c010000
	s_mov_b32 s23, exec_lo
	v_cmpx_ne_u32_e32 0x7f, v2
	s_cbranch_execz .LBB325_137
; %bb.134:                              ;   in Loop: Header=BB325_11 Depth=1
	v_and_b32_e32 v0, 7, v8
	v_lshrrev_b32_e32 v1, 3, v2
	s_mov_b32 s24, exec_lo
	v_cmpx_gt_u32_e32 8, v2
; %bb.135:                              ;   in Loop: Header=BB325_11 Depth=1
	v_ffbh_u32_e32 v0, v0
	v_min_u32_e32 v2, 32, v0
	v_subrev_nc_u32_e32 v0, 28, v2
	v_lshlrev_b64 v[0:1], v0, v[8:9]
	v_sub_nc_u32_e32 v1, 29, v2
	v_and_b32_e32 v0, 7, v0
; %bb.136:                              ;   in Loop: Header=BB325_11 Depth=1
	s_or_b32 exec_lo, exec_lo, s24
	v_lshlrev_b32_e32 v2, 8, v8
	v_lshl_add_u32 v1, v1, 10, 0x2000
	v_lshlrev_b32_e32 v0, 23, v0
	v_and_or_b32 v1, 0x8000, v2, v1
	v_lshl_or_b32 v48, v1, 16, v0
.LBB325_137:                            ;   in Loop: Header=BB325_11 Depth=1
	s_or_b32 exec_lo, exec_lo, s23
.LBB325_138:                            ;   in Loop: Header=BB325_11 Depth=1
	s_or_b32 exec_lo, exec_lo, s22
.LBB325_139:                            ;   in Loop: Header=BB325_11 Depth=1
	s_or_b32 exec_lo, exec_lo, s21
	flat_load_dwordx2 v[30:31], v[28:29] offset:512
	s_waitcnt vmcnt(0) lgkmcnt(0)
	v_cmp_ne_u16_sdwa s5, v30, v9 src0_sel:BYTE_0 src1_sel:DWORD
	s_and_saveexec_b32 s21, s5
	s_cbranch_execz .LBB325_147
; %bb.140:                              ;   in Loop: Header=BB325_11 Depth=1
	v_cmp_ne_u16_sdwa s5, v30, v51 src0_sel:BYTE_0 src1_sel:DWORD
	v_mov_b32_e32 v0, 0x8000
	buffer_store_dword v0, off, s[0:3], s32 offset:228 ; 4-byte Folded Spill
	s_and_saveexec_b32 s22, s5
	s_cbranch_execz .LBB325_146
; %bb.141:                              ;   in Loop: Header=BB325_11 Depth=1
	v_and_b32_e32 v2, 0x7f, v30
	v_mov_b32_e32 v0, 0x7c01
	s_mov_b32 s23, exec_lo
	buffer_store_dword v0, off, s[0:3], s32 offset:228 ; 4-byte Folded Spill
	v_cmpx_ne_u32_e32 0x7f, v2
	s_cbranch_execz .LBB325_145
; %bb.142:                              ;   in Loop: Header=BB325_11 Depth=1
	v_and_b32_e32 v0, 7, v30
	v_lshrrev_b32_e32 v1, 3, v2
	s_mov_b32 s24, exec_lo
	v_cmpx_gt_u32_e32 8, v2
; %bb.143:                              ;   in Loop: Header=BB325_11 Depth=1
	v_ffbh_u32_e32 v0, v0
	v_min_u32_e32 v2, 32, v0
	v_subrev_nc_u32_e32 v0, 28, v2
	v_lshlrev_b64 v[0:1], v0, v[30:31]
	v_sub_nc_u32_e32 v1, 29, v2
	v_and_b32_e32 v0, 7, v0
; %bb.144:                              ;   in Loop: Header=BB325_11 Depth=1
	s_or_b32 exec_lo, exec_lo, s24
	v_lshlrev_b32_e32 v2, 8, v30
	v_lshl_add_u32 v1, v1, 10, 0x2000
	v_lshlrev_b32_e32 v0, 7, v0
	v_and_b32_e32 v2, 0x8000, v2
	v_and_b32_e32 v1, 0xfc00, v1
	v_or3_b32 v0, v2, v1, v0
	buffer_store_dword v0, off, s[0:3], s32 offset:228 ; 4-byte Folded Spill
.LBB325_145:                            ;   in Loop: Header=BB325_11 Depth=1
	s_or_b32 exec_lo, exec_lo, s23
.LBB325_146:                            ;   in Loop: Header=BB325_11 Depth=1
	s_or_b32 exec_lo, exec_lo, s22
.LBB325_147:                            ;   in Loop: Header=BB325_11 Depth=1
	s_or_b32 exec_lo, exec_lo, s21
	v_lshrrev_b16 v8, 8, v30
	v_mov_b32_e32 v0, 0
	v_mov_b32_e32 v49, 0
	s_mov_b32 s21, exec_lo
	buffer_store_dword v0, off, s[0:3], s32 offset:232 ; 4-byte Folded Spill
	v_cmpx_ne_u16_e32 0, v8
	s_cbranch_execz .LBB325_155
; %bb.148:                              ;   in Loop: Header=BB325_11 Depth=1
	v_bfrev_b32_e32 v49, 1
	s_mov_b32 s22, exec_lo
	v_cmpx_ne_u16_e32 0x80, v8
	s_cbranch_execz .LBB325_154
; %bb.149:                              ;   in Loop: Header=BB325_11 Depth=1
	v_mov_b32_e32 v0, 0x7f
	v_mov_b32_e32 v49, 0x7c010000
	s_mov_b32 s23, exec_lo
	v_and_b32_sdwa v2, v8, v0 dst_sel:DWORD dst_unused:UNUSED_PAD src0_sel:WORD_0 src1_sel:DWORD
	v_cmpx_ne_u32_e32 0x7f, v2
	s_cbranch_execz .LBB325_153
; %bb.150:                              ;   in Loop: Header=BB325_11 Depth=1
	v_mov_b32_e32 v0, 7
	v_lshrrev_b32_e32 v1, 3, v2
	s_mov_b32 s24, exec_lo
	v_and_b32_sdwa v0, v8, v0 dst_sel:DWORD dst_unused:UNUSED_PAD src0_sel:WORD_0 src1_sel:DWORD
	v_cmpx_gt_u32_e32 8, v2
; %bb.151:                              ;   in Loop: Header=BB325_11 Depth=1
	v_ffbh_u32_e32 v0, v0
	v_min_u32_e32 v2, 32, v0
	v_subrev_nc_u32_e32 v0, 28, v2
	v_lshlrev_b64 v[0:1], v0, v[8:9]
	v_sub_nc_u32_e32 v1, 29, v2
	v_and_b32_e32 v0, 7, v0
; %bb.152:                              ;   in Loop: Header=BB325_11 Depth=1
	s_or_b32 exec_lo, exec_lo, s24
	v_mov_b32_e32 v2, 8
	v_lshl_add_u32 v1, v1, 10, 0x2000
	v_lshlrev_b32_e32 v0, 23, v0
	v_lshlrev_b32_sdwa v2, v2, v8 dst_sel:DWORD dst_unused:UNUSED_PAD src0_sel:DWORD src1_sel:WORD_0
	v_and_or_b32 v1, 0x8000, v2, v1
	v_lshl_or_b32 v49, v1, 16, v0
.LBB325_153:                            ;   in Loop: Header=BB325_11 Depth=1
	s_or_b32 exec_lo, exec_lo, s23
.LBB325_154:                            ;   in Loop: Header=BB325_11 Depth=1
	s_or_b32 exec_lo, exec_lo, s22
.LBB325_155:                            ;   in Loop: Header=BB325_11 Depth=1
	s_or_b32 exec_lo, exec_lo, s21
	v_lshrrev_b32_e32 v8, 16, v30
	v_cmp_ne_u16_sdwa s5, v8, v9 src0_sel:BYTE_0 src1_sel:DWORD
	s_and_saveexec_b32 s21, s5
	s_cbranch_execz .LBB325_163
; %bb.156:                              ;   in Loop: Header=BB325_11 Depth=1
	v_cmp_ne_u16_sdwa s5, v8, v51 src0_sel:BYTE_0 src1_sel:DWORD
	v_mov_b32_e32 v0, 0x8000
	buffer_store_dword v0, off, s[0:3], s32 offset:232 ; 4-byte Folded Spill
	s_and_saveexec_b32 s22, s5
	s_cbranch_execz .LBB325_162
; %bb.157:                              ;   in Loop: Header=BB325_11 Depth=1
	v_bfe_u32 v2, v30, 16, 7
	v_mov_b32_e32 v0, 0x7c01
	s_mov_b32 s23, exec_lo
	buffer_store_dword v0, off, s[0:3], s32 offset:232 ; 4-byte Folded Spill
	v_cmpx_ne_u32_e32 0x7f, v2
	s_cbranch_execz .LBB325_161
; %bb.158:                              ;   in Loop: Header=BB325_11 Depth=1
	v_and_b32_e32 v0, 7, v8
	v_lshrrev_b32_e32 v1, 3, v2
	s_mov_b32 s24, exec_lo
	v_cmpx_gt_u32_e32 8, v2
; %bb.159:                              ;   in Loop: Header=BB325_11 Depth=1
	v_ffbh_u32_e32 v0, v0
	v_min_u32_e32 v2, 32, v0
	v_subrev_nc_u32_e32 v0, 28, v2
	v_lshlrev_b64 v[0:1], v0, v[8:9]
	v_sub_nc_u32_e32 v1, 29, v2
	v_and_b32_e32 v0, 7, v0
; %bb.160:                              ;   in Loop: Header=BB325_11 Depth=1
	s_or_b32 exec_lo, exec_lo, s24
	v_lshlrev_b32_e32 v2, 8, v8
	v_lshl_add_u32 v1, v1, 10, 0x2000
	v_lshlrev_b32_e32 v0, 7, v0
	v_and_b32_e32 v2, 0x8000, v2
	v_and_b32_e32 v1, 0xfc00, v1
	v_or3_b32 v0, v2, v1, v0
	buffer_store_dword v0, off, s[0:3], s32 offset:232 ; 4-byte Folded Spill
.LBB325_161:                            ;   in Loop: Header=BB325_11 Depth=1
	s_or_b32 exec_lo, exec_lo, s23
.LBB325_162:                            ;   in Loop: Header=BB325_11 Depth=1
	s_or_b32 exec_lo, exec_lo, s22
.LBB325_163:                            ;   in Loop: Header=BB325_11 Depth=1
	s_or_b32 exec_lo, exec_lo, s21
	v_mov_b32_e32 v0, 0
	v_mov_b32_e32 v101, 0
	s_mov_b32 s21, exec_lo
	buffer_store_dword v0, off, s[0:3], s32 offset:236 ; 4-byte Folded Spill
	v_cmpx_lt_u32_e32 0xffffff, v30
	s_cbranch_execz .LBB325_171
; %bb.164:                              ;   in Loop: Header=BB325_11 Depth=1
	v_lshrrev_b32_e32 v8, 24, v30
	v_bfrev_b32_e32 v101, 1
	s_mov_b32 s22, exec_lo
	v_cmpx_ne_u32_e32 0x80, v8
	s_cbranch_execz .LBB325_170
; %bb.165:                              ;   in Loop: Header=BB325_11 Depth=1
	v_and_b32_e32 v2, 0x7f, v8
	v_mov_b32_e32 v101, 0x7c010000
	s_mov_b32 s23, exec_lo
	v_cmpx_ne_u32_e32 0x7f, v2
	s_cbranch_execz .LBB325_169
; %bb.166:                              ;   in Loop: Header=BB325_11 Depth=1
	v_and_b32_e32 v0, 7, v8
	v_lshrrev_b32_e32 v1, 3, v2
	s_mov_b32 s24, exec_lo
	v_cmpx_gt_u32_e32 8, v2
; %bb.167:                              ;   in Loop: Header=BB325_11 Depth=1
	v_ffbh_u32_e32 v0, v0
	v_min_u32_e32 v2, 32, v0
	v_subrev_nc_u32_e32 v0, 28, v2
	v_lshlrev_b64 v[0:1], v0, v[8:9]
	v_sub_nc_u32_e32 v1, 29, v2
	v_and_b32_e32 v0, 7, v0
; %bb.168:                              ;   in Loop: Header=BB325_11 Depth=1
	s_or_b32 exec_lo, exec_lo, s24
	v_lshlrev_b32_e32 v2, 8, v8
	v_lshl_add_u32 v1, v1, 10, 0x2000
	v_lshlrev_b32_e32 v0, 23, v0
	v_and_or_b32 v1, 0x8000, v2, v1
	v_lshl_or_b32 v101, v1, 16, v0
.LBB325_169:                            ;   in Loop: Header=BB325_11 Depth=1
	s_or_b32 exec_lo, exec_lo, s23
.LBB325_170:                            ;   in Loop: Header=BB325_11 Depth=1
	s_or_b32 exec_lo, exec_lo, s22
.LBB325_171:                            ;   in Loop: Header=BB325_11 Depth=1
	s_or_b32 exec_lo, exec_lo, s21
	v_mov_b32_e32 v8, v31
	v_cmp_ne_u16_sdwa s5, v31, v9 src0_sel:BYTE_0 src1_sel:DWORD
	s_and_saveexec_b32 s21, s5
	s_cbranch_execz .LBB325_179
; %bb.172:                              ;   in Loop: Header=BB325_11 Depth=1
	v_cmp_ne_u16_sdwa s5, v31, v51 src0_sel:BYTE_0 src1_sel:DWORD
	v_mov_b32_e32 v0, 0x8000
	buffer_store_dword v0, off, s[0:3], s32 offset:236 ; 4-byte Folded Spill
	s_and_saveexec_b32 s22, s5
	s_cbranch_execz .LBB325_178
; %bb.173:                              ;   in Loop: Header=BB325_11 Depth=1
	v_and_b32_e32 v2, 0x7f, v31
	v_mov_b32_e32 v0, 0x7c01
	s_mov_b32 s23, exec_lo
	buffer_store_dword v0, off, s[0:3], s32 offset:236 ; 4-byte Folded Spill
	v_cmpx_ne_u32_e32 0x7f, v2
	s_cbranch_execz .LBB325_177
; %bb.174:                              ;   in Loop: Header=BB325_11 Depth=1
	v_and_b32_e32 v0, 7, v31
	v_lshrrev_b32_e32 v1, 3, v2
	s_mov_b32 s24, exec_lo
	v_cmpx_gt_u32_e32 8, v2
; %bb.175:                              ;   in Loop: Header=BB325_11 Depth=1
	v_ffbh_u32_e32 v0, v0
	v_min_u32_e32 v2, 32, v0
	v_subrev_nc_u32_e32 v0, 28, v2
	v_lshlrev_b64 v[0:1], v0, v[8:9]
	v_sub_nc_u32_e32 v1, 29, v2
	v_and_b32_e32 v0, 7, v0
; %bb.176:                              ;   in Loop: Header=BB325_11 Depth=1
	s_or_b32 exec_lo, exec_lo, s24
	v_lshlrev_b32_e32 v2, 8, v31
	v_lshl_add_u32 v1, v1, 10, 0x2000
	v_lshlrev_b32_e32 v0, 7, v0
	v_and_b32_e32 v2, 0x8000, v2
	v_and_b32_e32 v1, 0xfc00, v1
	v_or3_b32 v0, v2, v1, v0
	buffer_store_dword v0, off, s[0:3], s32 offset:236 ; 4-byte Folded Spill
.LBB325_177:                            ;   in Loop: Header=BB325_11 Depth=1
	s_or_b32 exec_lo, exec_lo, s23
.LBB325_178:                            ;   in Loop: Header=BB325_11 Depth=1
	s_or_b32 exec_lo, exec_lo, s22
.LBB325_179:                            ;   in Loop: Header=BB325_11 Depth=1
	s_or_b32 exec_lo, exec_lo, s21
	v_lshrrev_b16 v8, 8, v8
	v_mov_b32_e32 v0, 0
	v_mov_b32_e32 v103, 0
	s_mov_b32 s21, exec_lo
	buffer_store_dword v0, off, s[0:3], s32 offset:240 ; 4-byte Folded Spill
	v_cmpx_ne_u16_e32 0, v8
	s_cbranch_execz .LBB325_187
; %bb.180:                              ;   in Loop: Header=BB325_11 Depth=1
	v_bfrev_b32_e32 v103, 1
	s_mov_b32 s22, exec_lo
	v_cmpx_ne_u16_e32 0x80, v8
	s_cbranch_execz .LBB325_186
; %bb.181:                              ;   in Loop: Header=BB325_11 Depth=1
	v_mov_b32_e32 v0, 0x7f
	v_mov_b32_e32 v103, 0x7c010000
	s_mov_b32 s23, exec_lo
	v_and_b32_sdwa v2, v8, v0 dst_sel:DWORD dst_unused:UNUSED_PAD src0_sel:WORD_0 src1_sel:DWORD
	v_cmpx_ne_u32_e32 0x7f, v2
	s_cbranch_execz .LBB325_185
; %bb.182:                              ;   in Loop: Header=BB325_11 Depth=1
	v_mov_b32_e32 v0, 7
	v_lshrrev_b32_e32 v1, 3, v2
	s_mov_b32 s24, exec_lo
	v_and_b32_sdwa v0, v8, v0 dst_sel:DWORD dst_unused:UNUSED_PAD src0_sel:WORD_0 src1_sel:DWORD
	v_cmpx_gt_u32_e32 8, v2
; %bb.183:                              ;   in Loop: Header=BB325_11 Depth=1
	v_ffbh_u32_e32 v0, v0
	v_min_u32_e32 v2, 32, v0
	v_subrev_nc_u32_e32 v0, 28, v2
	v_lshlrev_b64 v[0:1], v0, v[8:9]
	v_sub_nc_u32_e32 v1, 29, v2
	v_and_b32_e32 v0, 7, v0
; %bb.184:                              ;   in Loop: Header=BB325_11 Depth=1
	s_or_b32 exec_lo, exec_lo, s24
	v_mov_b32_e32 v2, 8
	v_lshl_add_u32 v1, v1, 10, 0x2000
	v_lshlrev_b32_e32 v0, 23, v0
	v_lshlrev_b32_sdwa v2, v2, v8 dst_sel:DWORD dst_unused:UNUSED_PAD src0_sel:DWORD src1_sel:WORD_0
	v_and_or_b32 v1, 0x8000, v2, v1
	v_lshl_or_b32 v103, v1, 16, v0
.LBB325_185:                            ;   in Loop: Header=BB325_11 Depth=1
	s_or_b32 exec_lo, exec_lo, s23
.LBB325_186:                            ;   in Loop: Header=BB325_11 Depth=1
	s_or_b32 exec_lo, exec_lo, s22
.LBB325_187:                            ;   in Loop: Header=BB325_11 Depth=1
	s_or_b32 exec_lo, exec_lo, s21
	v_lshrrev_b32_e32 v8, 16, v31
	v_cmp_ne_u16_sdwa s5, v8, v9 src0_sel:BYTE_0 src1_sel:DWORD
	s_and_saveexec_b32 s21, s5
	s_cbranch_execz .LBB325_195
; %bb.188:                              ;   in Loop: Header=BB325_11 Depth=1
	v_cmp_ne_u16_sdwa s5, v8, v51 src0_sel:BYTE_0 src1_sel:DWORD
	v_mov_b32_e32 v0, 0x8000
	buffer_store_dword v0, off, s[0:3], s32 offset:240 ; 4-byte Folded Spill
	s_and_saveexec_b32 s22, s5
	s_cbranch_execz .LBB325_194
; %bb.189:                              ;   in Loop: Header=BB325_11 Depth=1
	v_bfe_u32 v2, v31, 16, 7
	v_mov_b32_e32 v0, 0x7c01
	s_mov_b32 s23, exec_lo
	buffer_store_dword v0, off, s[0:3], s32 offset:240 ; 4-byte Folded Spill
	v_cmpx_ne_u32_e32 0x7f, v2
	s_cbranch_execz .LBB325_193
; %bb.190:                              ;   in Loop: Header=BB325_11 Depth=1
	v_and_b32_e32 v0, 7, v8
	v_lshrrev_b32_e32 v1, 3, v2
	s_mov_b32 s24, exec_lo
	v_cmpx_gt_u32_e32 8, v2
; %bb.191:                              ;   in Loop: Header=BB325_11 Depth=1
	v_ffbh_u32_e32 v0, v0
	v_min_u32_e32 v2, 32, v0
	v_subrev_nc_u32_e32 v0, 28, v2
	v_lshlrev_b64 v[0:1], v0, v[8:9]
	v_sub_nc_u32_e32 v1, 29, v2
	v_and_b32_e32 v0, 7, v0
; %bb.192:                              ;   in Loop: Header=BB325_11 Depth=1
	s_or_b32 exec_lo, exec_lo, s24
	v_lshlrev_b32_e32 v2, 8, v8
	v_lshl_add_u32 v1, v1, 10, 0x2000
	v_lshlrev_b32_e32 v0, 7, v0
	v_and_b32_e32 v2, 0x8000, v2
	v_and_b32_e32 v1, 0xfc00, v1
	v_or3_b32 v0, v2, v1, v0
	buffer_store_dword v0, off, s[0:3], s32 offset:240 ; 4-byte Folded Spill
.LBB325_193:                            ;   in Loop: Header=BB325_11 Depth=1
	s_or_b32 exec_lo, exec_lo, s23
.LBB325_194:                            ;   in Loop: Header=BB325_11 Depth=1
	s_or_b32 exec_lo, exec_lo, s22
.LBB325_195:                            ;   in Loop: Header=BB325_11 Depth=1
	s_or_b32 exec_lo, exec_lo, s21
	v_mov_b32_e32 v0, 0
	v_mov_b32_e32 v96, 0
	s_mov_b32 s21, exec_lo
	buffer_store_dword v0, off, s[0:3], s32 offset:244 ; 4-byte Folded Spill
	v_cmpx_lt_u64_e64 s[6:7], v[30:31]
	s_cbranch_execz .LBB325_203
; %bb.196:                              ;   in Loop: Header=BB325_11 Depth=1
	v_lshrrev_b32_e32 v8, 24, v31
	v_bfrev_b32_e32 v96, 1
	s_mov_b32 s22, exec_lo
	v_cmpx_ne_u32_e32 0x80, v8
	s_cbranch_execz .LBB325_202
; %bb.197:                              ;   in Loop: Header=BB325_11 Depth=1
	v_and_b32_e32 v2, 0x7f, v8
	v_mov_b32_e32 v96, 0x7c010000
	s_mov_b32 s23, exec_lo
	v_cmpx_ne_u32_e32 0x7f, v2
	s_cbranch_execz .LBB325_201
; %bb.198:                              ;   in Loop: Header=BB325_11 Depth=1
	v_and_b32_e32 v0, 7, v8
	v_lshrrev_b32_e32 v1, 3, v2
	s_mov_b32 s24, exec_lo
	v_cmpx_gt_u32_e32 8, v2
; %bb.199:                              ;   in Loop: Header=BB325_11 Depth=1
	v_ffbh_u32_e32 v0, v0
	v_min_u32_e32 v2, 32, v0
	v_subrev_nc_u32_e32 v0, 28, v2
	v_lshlrev_b64 v[0:1], v0, v[8:9]
	v_sub_nc_u32_e32 v1, 29, v2
	v_and_b32_e32 v0, 7, v0
; %bb.200:                              ;   in Loop: Header=BB325_11 Depth=1
	s_or_b32 exec_lo, exec_lo, s24
	v_lshlrev_b32_e32 v2, 8, v8
	v_lshl_add_u32 v1, v1, 10, 0x2000
	v_lshlrev_b32_e32 v0, 23, v0
	v_and_or_b32 v1, 0x8000, v2, v1
	v_lshl_or_b32 v96, v1, 16, v0
.LBB325_201:                            ;   in Loop: Header=BB325_11 Depth=1
	s_or_b32 exec_lo, exec_lo, s23
.LBB325_202:                            ;   in Loop: Header=BB325_11 Depth=1
	s_or_b32 exec_lo, exec_lo, s22
.LBB325_203:                            ;   in Loop: Header=BB325_11 Depth=1
	s_or_b32 exec_lo, exec_lo, s21
	flat_load_dwordx2 v[30:31], v[28:29] offset:520
	s_waitcnt vmcnt(0) lgkmcnt(0)
	v_cmp_ne_u16_sdwa s5, v30, v9 src0_sel:BYTE_0 src1_sel:DWORD
	s_and_saveexec_b32 s21, s5
	s_cbranch_execz .LBB325_211
; %bb.204:                              ;   in Loop: Header=BB325_11 Depth=1
	v_cmp_ne_u16_sdwa s5, v30, v51 src0_sel:BYTE_0 src1_sel:DWORD
	v_mov_b32_e32 v0, 0x8000
	buffer_store_dword v0, off, s[0:3], s32 offset:244 ; 4-byte Folded Spill
	s_and_saveexec_b32 s22, s5
	s_cbranch_execz .LBB325_210
; %bb.205:                              ;   in Loop: Header=BB325_11 Depth=1
	v_and_b32_e32 v2, 0x7f, v30
	v_mov_b32_e32 v0, 0x7c01
	s_mov_b32 s23, exec_lo
	buffer_store_dword v0, off, s[0:3], s32 offset:244 ; 4-byte Folded Spill
	v_cmpx_ne_u32_e32 0x7f, v2
	s_cbranch_execz .LBB325_209
; %bb.206:                              ;   in Loop: Header=BB325_11 Depth=1
	v_and_b32_e32 v0, 7, v30
	v_lshrrev_b32_e32 v1, 3, v2
	s_mov_b32 s24, exec_lo
	v_cmpx_gt_u32_e32 8, v2
; %bb.207:                              ;   in Loop: Header=BB325_11 Depth=1
	v_ffbh_u32_e32 v0, v0
	v_min_u32_e32 v2, 32, v0
	v_subrev_nc_u32_e32 v0, 28, v2
	v_lshlrev_b64 v[0:1], v0, v[30:31]
	v_sub_nc_u32_e32 v1, 29, v2
	v_and_b32_e32 v0, 7, v0
; %bb.208:                              ;   in Loop: Header=BB325_11 Depth=1
	s_or_b32 exec_lo, exec_lo, s24
	v_lshlrev_b32_e32 v2, 8, v30
	v_lshl_add_u32 v1, v1, 10, 0x2000
	v_lshlrev_b32_e32 v0, 7, v0
	v_and_b32_e32 v2, 0x8000, v2
	v_and_b32_e32 v1, 0xfc00, v1
	v_or3_b32 v0, v2, v1, v0
	buffer_store_dword v0, off, s[0:3], s32 offset:244 ; 4-byte Folded Spill
.LBB325_209:                            ;   in Loop: Header=BB325_11 Depth=1
	s_or_b32 exec_lo, exec_lo, s23
.LBB325_210:                            ;   in Loop: Header=BB325_11 Depth=1
	s_or_b32 exec_lo, exec_lo, s22
.LBB325_211:                            ;   in Loop: Header=BB325_11 Depth=1
	s_or_b32 exec_lo, exec_lo, s21
	v_lshrrev_b16 v8, 8, v30
	v_mov_b32_e32 v115, 0
	v_mov_b32_e32 v114, 0
	s_mov_b32 s21, exec_lo
	v_cmpx_ne_u16_e32 0, v8
	s_cbranch_execz .LBB325_219
; %bb.212:                              ;   in Loop: Header=BB325_11 Depth=1
	v_bfrev_b32_e32 v114, 1
	s_mov_b32 s22, exec_lo
	v_cmpx_ne_u16_e32 0x80, v8
	s_cbranch_execz .LBB325_218
; %bb.213:                              ;   in Loop: Header=BB325_11 Depth=1
	v_mov_b32_e32 v0, 0x7f
	v_mov_b32_e32 v114, 0x7c010000
	s_mov_b32 s23, exec_lo
	v_and_b32_sdwa v2, v8, v0 dst_sel:DWORD dst_unused:UNUSED_PAD src0_sel:WORD_0 src1_sel:DWORD
	v_cmpx_ne_u32_e32 0x7f, v2
	s_cbranch_execz .LBB325_217
; %bb.214:                              ;   in Loop: Header=BB325_11 Depth=1
	v_mov_b32_e32 v0, 7
	v_lshrrev_b32_e32 v1, 3, v2
	s_mov_b32 s24, exec_lo
	v_and_b32_sdwa v0, v8, v0 dst_sel:DWORD dst_unused:UNUSED_PAD src0_sel:WORD_0 src1_sel:DWORD
	v_cmpx_gt_u32_e32 8, v2
; %bb.215:                              ;   in Loop: Header=BB325_11 Depth=1
	v_ffbh_u32_e32 v0, v0
	v_min_u32_e32 v2, 32, v0
	v_subrev_nc_u32_e32 v0, 28, v2
	v_lshlrev_b64 v[0:1], v0, v[8:9]
	v_sub_nc_u32_e32 v1, 29, v2
	v_and_b32_e32 v0, 7, v0
; %bb.216:                              ;   in Loop: Header=BB325_11 Depth=1
	s_or_b32 exec_lo, exec_lo, s24
	v_mov_b32_e32 v2, 8
	v_lshl_add_u32 v1, v1, 10, 0x2000
	v_lshlrev_b32_e32 v0, 23, v0
	v_lshlrev_b32_sdwa v2, v2, v8 dst_sel:DWORD dst_unused:UNUSED_PAD src0_sel:DWORD src1_sel:WORD_0
	v_and_or_b32 v1, 0x8000, v2, v1
	v_lshl_or_b32 v114, v1, 16, v0
.LBB325_217:                            ;   in Loop: Header=BB325_11 Depth=1
	s_or_b32 exec_lo, exec_lo, s23
.LBB325_218:                            ;   in Loop: Header=BB325_11 Depth=1
	s_or_b32 exec_lo, exec_lo, s22
.LBB325_219:                            ;   in Loop: Header=BB325_11 Depth=1
	s_or_b32 exec_lo, exec_lo, s21
	v_lshrrev_b32_e32 v8, 16, v30
	v_cmp_ne_u16_sdwa s5, v8, v9 src0_sel:BYTE_0 src1_sel:DWORD
	s_and_saveexec_b32 s21, s5
	s_cbranch_execz .LBB325_227
; %bb.220:                              ;   in Loop: Header=BB325_11 Depth=1
	v_cmp_ne_u16_sdwa s5, v8, v51 src0_sel:BYTE_0 src1_sel:DWORD
	v_mov_b32_e32 v115, 0x8000
	s_and_saveexec_b32 s22, s5
	s_cbranch_execz .LBB325_226
; %bb.221:                              ;   in Loop: Header=BB325_11 Depth=1
	v_bfe_u32 v2, v30, 16, 7
	v_mov_b32_e32 v115, 0x7c01
	s_mov_b32 s23, exec_lo
	v_cmpx_ne_u32_e32 0x7f, v2
	s_cbranch_execz .LBB325_225
; %bb.222:                              ;   in Loop: Header=BB325_11 Depth=1
	v_and_b32_e32 v0, 7, v8
	v_lshrrev_b32_e32 v1, 3, v2
	s_mov_b32 s24, exec_lo
	v_cmpx_gt_u32_e32 8, v2
; %bb.223:                              ;   in Loop: Header=BB325_11 Depth=1
	v_ffbh_u32_e32 v0, v0
	v_min_u32_e32 v2, 32, v0
	v_subrev_nc_u32_e32 v0, 28, v2
	v_lshlrev_b64 v[0:1], v0, v[8:9]
	v_sub_nc_u32_e32 v1, 29, v2
	v_and_b32_e32 v0, 7, v0
; %bb.224:                              ;   in Loop: Header=BB325_11 Depth=1
	s_or_b32 exec_lo, exec_lo, s24
	v_lshlrev_b32_e32 v2, 8, v8
	v_lshl_add_u32 v1, v1, 10, 0x2000
	v_lshlrev_b32_e32 v0, 7, v0
	v_and_b32_e32 v2, 0x8000, v2
	v_and_b32_e32 v1, 0xfc00, v1
	v_or3_b32 v115, v2, v1, v0
.LBB325_225:                            ;   in Loop: Header=BB325_11 Depth=1
	s_or_b32 exec_lo, exec_lo, s23
.LBB325_226:                            ;   in Loop: Header=BB325_11 Depth=1
	s_or_b32 exec_lo, exec_lo, s22
.LBB325_227:                            ;   in Loop: Header=BB325_11 Depth=1
	s_or_b32 exec_lo, exec_lo, s21
	v_mov_b32_e32 v116, 0
	v_mov_b32_e32 v117, 0
	s_mov_b32 s21, exec_lo
	v_cmpx_lt_u32_e32 0xffffff, v30
	s_cbranch_execz .LBB325_235
; %bb.228:                              ;   in Loop: Header=BB325_11 Depth=1
	v_lshrrev_b32_e32 v8, 24, v30
	v_bfrev_b32_e32 v117, 1
	s_mov_b32 s22, exec_lo
	v_cmpx_ne_u32_e32 0x80, v8
	s_cbranch_execz .LBB325_234
; %bb.229:                              ;   in Loop: Header=BB325_11 Depth=1
	v_and_b32_e32 v2, 0x7f, v8
	v_mov_b32_e32 v117, 0x7c010000
	s_mov_b32 s23, exec_lo
	v_cmpx_ne_u32_e32 0x7f, v2
	s_cbranch_execz .LBB325_233
; %bb.230:                              ;   in Loop: Header=BB325_11 Depth=1
	v_and_b32_e32 v0, 7, v8
	v_lshrrev_b32_e32 v1, 3, v2
	s_mov_b32 s24, exec_lo
	v_cmpx_gt_u32_e32 8, v2
; %bb.231:                              ;   in Loop: Header=BB325_11 Depth=1
	v_ffbh_u32_e32 v0, v0
	v_min_u32_e32 v2, 32, v0
	v_subrev_nc_u32_e32 v0, 28, v2
	v_lshlrev_b64 v[0:1], v0, v[8:9]
	v_sub_nc_u32_e32 v1, 29, v2
	v_and_b32_e32 v0, 7, v0
; %bb.232:                              ;   in Loop: Header=BB325_11 Depth=1
	s_or_b32 exec_lo, exec_lo, s24
	v_lshlrev_b32_e32 v2, 8, v8
	v_lshl_add_u32 v1, v1, 10, 0x2000
	v_lshlrev_b32_e32 v0, 23, v0
	v_and_or_b32 v1, 0x8000, v2, v1
	v_lshl_or_b32 v117, v1, 16, v0
.LBB325_233:                            ;   in Loop: Header=BB325_11 Depth=1
	s_or_b32 exec_lo, exec_lo, s23
.LBB325_234:                            ;   in Loop: Header=BB325_11 Depth=1
	s_or_b32 exec_lo, exec_lo, s22
.LBB325_235:                            ;   in Loop: Header=BB325_11 Depth=1
	s_or_b32 exec_lo, exec_lo, s21
	v_mov_b32_e32 v8, v31
	v_cmp_ne_u16_sdwa s5, v31, v9 src0_sel:BYTE_0 src1_sel:DWORD
	s_and_saveexec_b32 s21, s5
	s_cbranch_execz .LBB325_243
; %bb.236:                              ;   in Loop: Header=BB325_11 Depth=1
	v_cmp_ne_u16_sdwa s5, v31, v51 src0_sel:BYTE_0 src1_sel:DWORD
	v_mov_b32_e32 v116, 0x8000
	s_and_saveexec_b32 s22, s5
	s_cbranch_execz .LBB325_242
; %bb.237:                              ;   in Loop: Header=BB325_11 Depth=1
	v_and_b32_e32 v2, 0x7f, v31
	v_mov_b32_e32 v116, 0x7c01
	s_mov_b32 s23, exec_lo
	v_cmpx_ne_u32_e32 0x7f, v2
	s_cbranch_execz .LBB325_241
; %bb.238:                              ;   in Loop: Header=BB325_11 Depth=1
	v_and_b32_e32 v0, 7, v31
	v_lshrrev_b32_e32 v1, 3, v2
	s_mov_b32 s24, exec_lo
	v_cmpx_gt_u32_e32 8, v2
; %bb.239:                              ;   in Loop: Header=BB325_11 Depth=1
	v_ffbh_u32_e32 v0, v0
	v_min_u32_e32 v2, 32, v0
	v_subrev_nc_u32_e32 v0, 28, v2
	v_lshlrev_b64 v[0:1], v0, v[8:9]
	v_sub_nc_u32_e32 v1, 29, v2
	v_and_b32_e32 v0, 7, v0
; %bb.240:                              ;   in Loop: Header=BB325_11 Depth=1
	s_or_b32 exec_lo, exec_lo, s24
	v_lshlrev_b32_e32 v2, 8, v31
	v_lshl_add_u32 v1, v1, 10, 0x2000
	v_lshlrev_b32_e32 v0, 7, v0
	v_and_b32_e32 v2, 0x8000, v2
	v_and_b32_e32 v1, 0xfc00, v1
	v_or3_b32 v116, v2, v1, v0
.LBB325_241:                            ;   in Loop: Header=BB325_11 Depth=1
	s_or_b32 exec_lo, exec_lo, s23
.LBB325_242:                            ;   in Loop: Header=BB325_11 Depth=1
	s_or_b32 exec_lo, exec_lo, s22
.LBB325_243:                            ;   in Loop: Header=BB325_11 Depth=1
	s_or_b32 exec_lo, exec_lo, s21
	v_lshrrev_b16 v8, 8, v8
	v_mov_b32_e32 v118, 0
	v_mov_b32_e32 v119, 0
	s_mov_b32 s21, exec_lo
	v_cmpx_ne_u16_e32 0, v8
	s_cbranch_execz .LBB325_251
; %bb.244:                              ;   in Loop: Header=BB325_11 Depth=1
	v_bfrev_b32_e32 v119, 1
	s_mov_b32 s22, exec_lo
	v_cmpx_ne_u16_e32 0x80, v8
	s_cbranch_execz .LBB325_250
; %bb.245:                              ;   in Loop: Header=BB325_11 Depth=1
	v_mov_b32_e32 v0, 0x7f
	v_mov_b32_e32 v119, 0x7c010000
	s_mov_b32 s23, exec_lo
	v_and_b32_sdwa v2, v8, v0 dst_sel:DWORD dst_unused:UNUSED_PAD src0_sel:WORD_0 src1_sel:DWORD
	v_cmpx_ne_u32_e32 0x7f, v2
	s_cbranch_execz .LBB325_249
; %bb.246:                              ;   in Loop: Header=BB325_11 Depth=1
	v_mov_b32_e32 v0, 7
	v_lshrrev_b32_e32 v1, 3, v2
	s_mov_b32 s24, exec_lo
	v_and_b32_sdwa v0, v8, v0 dst_sel:DWORD dst_unused:UNUSED_PAD src0_sel:WORD_0 src1_sel:DWORD
	v_cmpx_gt_u32_e32 8, v2
; %bb.247:                              ;   in Loop: Header=BB325_11 Depth=1
	v_ffbh_u32_e32 v0, v0
	v_min_u32_e32 v2, 32, v0
	v_subrev_nc_u32_e32 v0, 28, v2
	v_lshlrev_b64 v[0:1], v0, v[8:9]
	v_sub_nc_u32_e32 v1, 29, v2
	v_and_b32_e32 v0, 7, v0
; %bb.248:                              ;   in Loop: Header=BB325_11 Depth=1
	s_or_b32 exec_lo, exec_lo, s24
	v_mov_b32_e32 v2, 8
	v_lshl_add_u32 v1, v1, 10, 0x2000
	v_lshlrev_b32_e32 v0, 23, v0
	v_lshlrev_b32_sdwa v2, v2, v8 dst_sel:DWORD dst_unused:UNUSED_PAD src0_sel:DWORD src1_sel:WORD_0
	v_and_or_b32 v1, 0x8000, v2, v1
	v_lshl_or_b32 v119, v1, 16, v0
.LBB325_249:                            ;   in Loop: Header=BB325_11 Depth=1
	s_or_b32 exec_lo, exec_lo, s23
.LBB325_250:                            ;   in Loop: Header=BB325_11 Depth=1
	s_or_b32 exec_lo, exec_lo, s22
.LBB325_251:                            ;   in Loop: Header=BB325_11 Depth=1
	s_or_b32 exec_lo, exec_lo, s21
	v_lshrrev_b32_e32 v8, 16, v31
	v_cmp_ne_u16_sdwa s5, v8, v9 src0_sel:BYTE_0 src1_sel:DWORD
	s_and_saveexec_b32 s21, s5
	s_cbranch_execz .LBB325_259
; %bb.252:                              ;   in Loop: Header=BB325_11 Depth=1
	v_cmp_ne_u16_sdwa s5, v8, v51 src0_sel:BYTE_0 src1_sel:DWORD
	v_mov_b32_e32 v118, 0x8000
	s_and_saveexec_b32 s22, s5
	s_cbranch_execz .LBB325_258
; %bb.253:                              ;   in Loop: Header=BB325_11 Depth=1
	v_bfe_u32 v2, v31, 16, 7
	v_mov_b32_e32 v118, 0x7c01
	s_mov_b32 s23, exec_lo
	v_cmpx_ne_u32_e32 0x7f, v2
	s_cbranch_execz .LBB325_257
; %bb.254:                              ;   in Loop: Header=BB325_11 Depth=1
	v_and_b32_e32 v0, 7, v8
	v_lshrrev_b32_e32 v1, 3, v2
	s_mov_b32 s24, exec_lo
	v_cmpx_gt_u32_e32 8, v2
; %bb.255:                              ;   in Loop: Header=BB325_11 Depth=1
	v_ffbh_u32_e32 v0, v0
	v_min_u32_e32 v2, 32, v0
	v_subrev_nc_u32_e32 v0, 28, v2
	v_lshlrev_b64 v[0:1], v0, v[8:9]
	v_sub_nc_u32_e32 v1, 29, v2
	v_and_b32_e32 v0, 7, v0
; %bb.256:                              ;   in Loop: Header=BB325_11 Depth=1
	s_or_b32 exec_lo, exec_lo, s24
	v_lshlrev_b32_e32 v2, 8, v8
	v_lshl_add_u32 v1, v1, 10, 0x2000
	v_lshlrev_b32_e32 v0, 7, v0
	v_and_b32_e32 v2, 0x8000, v2
	v_and_b32_e32 v1, 0xfc00, v1
	v_or3_b32 v118, v2, v1, v0
.LBB325_257:                            ;   in Loop: Header=BB325_11 Depth=1
	s_or_b32 exec_lo, exec_lo, s23
.LBB325_258:                            ;   in Loop: Header=BB325_11 Depth=1
	s_or_b32 exec_lo, exec_lo, s22
.LBB325_259:                            ;   in Loop: Header=BB325_11 Depth=1
	s_or_b32 exec_lo, exec_lo, s21
	v_mov_b32_e32 v41, 0
	v_mov_b32_e32 v40, 0
	s_mov_b32 s21, exec_lo
	v_cmpx_lt_u64_e64 s[6:7], v[30:31]
	s_cbranch_execz .LBB325_267
; %bb.260:                              ;   in Loop: Header=BB325_11 Depth=1
	v_lshrrev_b32_e32 v8, 24, v31
	v_bfrev_b32_e32 v40, 1
	s_mov_b32 s22, exec_lo
	v_cmpx_ne_u32_e32 0x80, v8
	s_cbranch_execz .LBB325_266
; %bb.261:                              ;   in Loop: Header=BB325_11 Depth=1
	v_and_b32_e32 v2, 0x7f, v8
	v_mov_b32_e32 v40, 0x7c010000
	s_mov_b32 s23, exec_lo
	v_cmpx_ne_u32_e32 0x7f, v2
	s_cbranch_execz .LBB325_265
; %bb.262:                              ;   in Loop: Header=BB325_11 Depth=1
	v_and_b32_e32 v0, 7, v8
	v_lshrrev_b32_e32 v1, 3, v2
	s_mov_b32 s24, exec_lo
	v_cmpx_gt_u32_e32 8, v2
; %bb.263:                              ;   in Loop: Header=BB325_11 Depth=1
	v_ffbh_u32_e32 v0, v0
	v_min_u32_e32 v2, 32, v0
	v_subrev_nc_u32_e32 v0, 28, v2
	v_lshlrev_b64 v[0:1], v0, v[8:9]
	v_sub_nc_u32_e32 v1, 29, v2
	v_and_b32_e32 v0, 7, v0
; %bb.264:                              ;   in Loop: Header=BB325_11 Depth=1
	s_or_b32 exec_lo, exec_lo, s24
	v_lshlrev_b32_e32 v2, 8, v8
	v_lshl_add_u32 v1, v1, 10, 0x2000
	v_lshlrev_b32_e32 v0, 23, v0
	v_and_or_b32 v1, 0x8000, v2, v1
	v_lshl_or_b32 v40, v1, 16, v0
.LBB325_265:                            ;   in Loop: Header=BB325_11 Depth=1
	s_or_b32 exec_lo, exec_lo, s23
.LBB325_266:                            ;   in Loop: Header=BB325_11 Depth=1
	s_or_b32 exec_lo, exec_lo, s22
.LBB325_267:                            ;   in Loop: Header=BB325_11 Depth=1
	s_or_b32 exec_lo, exec_lo, s21
	flat_load_dwordx2 v[30:31], v[28:29] offset:1024
	s_waitcnt vmcnt(0) lgkmcnt(0)
	v_cmp_ne_u16_sdwa s5, v30, v9 src0_sel:BYTE_0 src1_sel:DWORD
	s_and_saveexec_b32 s21, s5
	s_cbranch_execz .LBB325_275
; %bb.268:                              ;   in Loop: Header=BB325_11 Depth=1
	v_cmp_ne_u16_sdwa s5, v30, v51 src0_sel:BYTE_0 src1_sel:DWORD
	v_mov_b32_e32 v41, 0x8000
	s_and_saveexec_b32 s22, s5
	s_cbranch_execz .LBB325_274
; %bb.269:                              ;   in Loop: Header=BB325_11 Depth=1
	v_and_b32_e32 v2, 0x7f, v30
	v_mov_b32_e32 v41, 0x7c01
	s_mov_b32 s23, exec_lo
	v_cmpx_ne_u32_e32 0x7f, v2
	s_cbranch_execz .LBB325_273
; %bb.270:                              ;   in Loop: Header=BB325_11 Depth=1
	v_and_b32_e32 v0, 7, v30
	v_lshrrev_b32_e32 v1, 3, v2
	s_mov_b32 s24, exec_lo
	v_cmpx_gt_u32_e32 8, v2
; %bb.271:                              ;   in Loop: Header=BB325_11 Depth=1
	v_ffbh_u32_e32 v0, v0
	v_min_u32_e32 v2, 32, v0
	v_subrev_nc_u32_e32 v0, 28, v2
	v_lshlrev_b64 v[0:1], v0, v[30:31]
	v_sub_nc_u32_e32 v1, 29, v2
	v_and_b32_e32 v0, 7, v0
; %bb.272:                              ;   in Loop: Header=BB325_11 Depth=1
	s_or_b32 exec_lo, exec_lo, s24
	v_lshlrev_b32_e32 v2, 8, v30
	v_lshl_add_u32 v1, v1, 10, 0x2000
	v_lshlrev_b32_e32 v0, 7, v0
	v_and_b32_e32 v2, 0x8000, v2
	v_and_b32_e32 v1, 0xfc00, v1
	v_or3_b32 v41, v2, v1, v0
.LBB325_273:                            ;   in Loop: Header=BB325_11 Depth=1
	s_or_b32 exec_lo, exec_lo, s23
.LBB325_274:                            ;   in Loop: Header=BB325_11 Depth=1
	s_or_b32 exec_lo, exec_lo, s22
.LBB325_275:                            ;   in Loop: Header=BB325_11 Depth=1
	s_or_b32 exec_lo, exec_lo, s21
	v_lshrrev_b16 v8, 8, v30
	v_mov_b32_e32 v43, 0
	v_mov_b32_e32 v42, 0
	s_mov_b32 s21, exec_lo
	v_cmpx_ne_u16_e32 0, v8
	s_cbranch_execz .LBB325_283
; %bb.276:                              ;   in Loop: Header=BB325_11 Depth=1
	v_bfrev_b32_e32 v42, 1
	s_mov_b32 s22, exec_lo
	v_cmpx_ne_u16_e32 0x80, v8
	s_cbranch_execz .LBB325_282
; %bb.277:                              ;   in Loop: Header=BB325_11 Depth=1
	v_mov_b32_e32 v0, 0x7f
	v_mov_b32_e32 v42, 0x7c010000
	s_mov_b32 s23, exec_lo
	v_and_b32_sdwa v2, v8, v0 dst_sel:DWORD dst_unused:UNUSED_PAD src0_sel:WORD_0 src1_sel:DWORD
	v_cmpx_ne_u32_e32 0x7f, v2
	s_cbranch_execz .LBB325_281
; %bb.278:                              ;   in Loop: Header=BB325_11 Depth=1
	v_mov_b32_e32 v0, 7
	v_lshrrev_b32_e32 v1, 3, v2
	s_mov_b32 s24, exec_lo
	v_and_b32_sdwa v0, v8, v0 dst_sel:DWORD dst_unused:UNUSED_PAD src0_sel:WORD_0 src1_sel:DWORD
	v_cmpx_gt_u32_e32 8, v2
; %bb.279:                              ;   in Loop: Header=BB325_11 Depth=1
	v_ffbh_u32_e32 v0, v0
	v_min_u32_e32 v2, 32, v0
	v_subrev_nc_u32_e32 v0, 28, v2
	v_lshlrev_b64 v[0:1], v0, v[8:9]
	v_sub_nc_u32_e32 v1, 29, v2
	v_and_b32_e32 v0, 7, v0
; %bb.280:                              ;   in Loop: Header=BB325_11 Depth=1
	s_or_b32 exec_lo, exec_lo, s24
	v_mov_b32_e32 v2, 8
	v_lshl_add_u32 v1, v1, 10, 0x2000
	v_lshlrev_b32_e32 v0, 23, v0
	v_lshlrev_b32_sdwa v2, v2, v8 dst_sel:DWORD dst_unused:UNUSED_PAD src0_sel:DWORD src1_sel:WORD_0
	v_and_or_b32 v1, 0x8000, v2, v1
	v_lshl_or_b32 v42, v1, 16, v0
.LBB325_281:                            ;   in Loop: Header=BB325_11 Depth=1
	s_or_b32 exec_lo, exec_lo, s23
.LBB325_282:                            ;   in Loop: Header=BB325_11 Depth=1
	s_or_b32 exec_lo, exec_lo, s22
.LBB325_283:                            ;   in Loop: Header=BB325_11 Depth=1
	s_or_b32 exec_lo, exec_lo, s21
	v_lshrrev_b32_e32 v8, 16, v30
	v_cmp_ne_u16_sdwa s5, v8, v9 src0_sel:BYTE_0 src1_sel:DWORD
	s_and_saveexec_b32 s21, s5
	s_cbranch_execz .LBB325_291
; %bb.284:                              ;   in Loop: Header=BB325_11 Depth=1
	v_cmp_ne_u16_sdwa s5, v8, v51 src0_sel:BYTE_0 src1_sel:DWORD
	v_mov_b32_e32 v43, 0x8000
	s_and_saveexec_b32 s22, s5
	s_cbranch_execz .LBB325_290
; %bb.285:                              ;   in Loop: Header=BB325_11 Depth=1
	v_bfe_u32 v2, v30, 16, 7
	v_mov_b32_e32 v43, 0x7c01
	s_mov_b32 s23, exec_lo
	v_cmpx_ne_u32_e32 0x7f, v2
	s_cbranch_execz .LBB325_289
; %bb.286:                              ;   in Loop: Header=BB325_11 Depth=1
	v_and_b32_e32 v0, 7, v8
	v_lshrrev_b32_e32 v1, 3, v2
	s_mov_b32 s24, exec_lo
	v_cmpx_gt_u32_e32 8, v2
; %bb.287:                              ;   in Loop: Header=BB325_11 Depth=1
	v_ffbh_u32_e32 v0, v0
	v_min_u32_e32 v2, 32, v0
	v_subrev_nc_u32_e32 v0, 28, v2
	v_lshlrev_b64 v[0:1], v0, v[8:9]
	v_sub_nc_u32_e32 v1, 29, v2
	v_and_b32_e32 v0, 7, v0
; %bb.288:                              ;   in Loop: Header=BB325_11 Depth=1
	s_or_b32 exec_lo, exec_lo, s24
	v_lshlrev_b32_e32 v2, 8, v8
	v_lshl_add_u32 v1, v1, 10, 0x2000
	v_lshlrev_b32_e32 v0, 7, v0
	v_and_b32_e32 v2, 0x8000, v2
	v_and_b32_e32 v1, 0xfc00, v1
	v_or3_b32 v43, v2, v1, v0
.LBB325_289:                            ;   in Loop: Header=BB325_11 Depth=1
	s_or_b32 exec_lo, exec_lo, s23
.LBB325_290:                            ;   in Loop: Header=BB325_11 Depth=1
	s_or_b32 exec_lo, exec_lo, s22
.LBB325_291:                            ;   in Loop: Header=BB325_11 Depth=1
	s_or_b32 exec_lo, exec_lo, s21
	v_mov_b32_e32 v44, 0
	v_mov_b32_e32 v45, 0
	s_mov_b32 s21, exec_lo
	v_cmpx_lt_u32_e32 0xffffff, v30
	s_cbranch_execz .LBB325_299
; %bb.292:                              ;   in Loop: Header=BB325_11 Depth=1
	v_lshrrev_b32_e32 v8, 24, v30
	v_bfrev_b32_e32 v45, 1
	s_mov_b32 s22, exec_lo
	v_cmpx_ne_u32_e32 0x80, v8
	s_cbranch_execz .LBB325_298
; %bb.293:                              ;   in Loop: Header=BB325_11 Depth=1
	v_and_b32_e32 v2, 0x7f, v8
	v_mov_b32_e32 v45, 0x7c010000
	s_mov_b32 s23, exec_lo
	v_cmpx_ne_u32_e32 0x7f, v2
	s_cbranch_execz .LBB325_297
; %bb.294:                              ;   in Loop: Header=BB325_11 Depth=1
	v_and_b32_e32 v0, 7, v8
	v_lshrrev_b32_e32 v1, 3, v2
	s_mov_b32 s24, exec_lo
	v_cmpx_gt_u32_e32 8, v2
; %bb.295:                              ;   in Loop: Header=BB325_11 Depth=1
	v_ffbh_u32_e32 v0, v0
	v_min_u32_e32 v2, 32, v0
	v_subrev_nc_u32_e32 v0, 28, v2
	v_lshlrev_b64 v[0:1], v0, v[8:9]
	v_sub_nc_u32_e32 v1, 29, v2
	v_and_b32_e32 v0, 7, v0
; %bb.296:                              ;   in Loop: Header=BB325_11 Depth=1
	s_or_b32 exec_lo, exec_lo, s24
	v_lshlrev_b32_e32 v2, 8, v8
	v_lshl_add_u32 v1, v1, 10, 0x2000
	v_lshlrev_b32_e32 v0, 23, v0
	v_and_or_b32 v1, 0x8000, v2, v1
	v_lshl_or_b32 v45, v1, 16, v0
.LBB325_297:                            ;   in Loop: Header=BB325_11 Depth=1
	s_or_b32 exec_lo, exec_lo, s23
.LBB325_298:                            ;   in Loop: Header=BB325_11 Depth=1
	s_or_b32 exec_lo, exec_lo, s22
.LBB325_299:                            ;   in Loop: Header=BB325_11 Depth=1
	s_or_b32 exec_lo, exec_lo, s21
	v_mov_b32_e32 v8, v31
	v_cmp_ne_u16_sdwa s5, v31, v9 src0_sel:BYTE_0 src1_sel:DWORD
	s_and_saveexec_b32 s21, s5
	s_cbranch_execz .LBB325_307
; %bb.300:                              ;   in Loop: Header=BB325_11 Depth=1
	v_cmp_ne_u16_sdwa s5, v31, v51 src0_sel:BYTE_0 src1_sel:DWORD
	v_mov_b32_e32 v44, 0x8000
	s_and_saveexec_b32 s22, s5
	s_cbranch_execz .LBB325_306
; %bb.301:                              ;   in Loop: Header=BB325_11 Depth=1
	v_and_b32_e32 v2, 0x7f, v31
	v_mov_b32_e32 v44, 0x7c01
	s_mov_b32 s23, exec_lo
	v_cmpx_ne_u32_e32 0x7f, v2
	s_cbranch_execz .LBB325_305
; %bb.302:                              ;   in Loop: Header=BB325_11 Depth=1
	v_and_b32_e32 v0, 7, v31
	v_lshrrev_b32_e32 v1, 3, v2
	s_mov_b32 s24, exec_lo
	v_cmpx_gt_u32_e32 8, v2
; %bb.303:                              ;   in Loop: Header=BB325_11 Depth=1
	v_ffbh_u32_e32 v0, v0
	v_min_u32_e32 v2, 32, v0
	v_subrev_nc_u32_e32 v0, 28, v2
	v_lshlrev_b64 v[0:1], v0, v[8:9]
	v_sub_nc_u32_e32 v1, 29, v2
	v_and_b32_e32 v0, 7, v0
; %bb.304:                              ;   in Loop: Header=BB325_11 Depth=1
	s_or_b32 exec_lo, exec_lo, s24
	v_lshlrev_b32_e32 v2, 8, v31
	v_lshl_add_u32 v1, v1, 10, 0x2000
	v_lshlrev_b32_e32 v0, 7, v0
	v_and_b32_e32 v2, 0x8000, v2
	v_and_b32_e32 v1, 0xfc00, v1
	v_or3_b32 v44, v2, v1, v0
.LBB325_305:                            ;   in Loop: Header=BB325_11 Depth=1
	s_or_b32 exec_lo, exec_lo, s23
.LBB325_306:                            ;   in Loop: Header=BB325_11 Depth=1
	s_or_b32 exec_lo, exec_lo, s22
.LBB325_307:                            ;   in Loop: Header=BB325_11 Depth=1
	s_or_b32 exec_lo, exec_lo, s21
	v_lshrrev_b16 v8, 8, v8
	v_mov_b32_e32 v46, 0
	v_mov_b32_e32 v47, 0
	s_mov_b32 s21, exec_lo
	v_cmpx_ne_u16_e32 0, v8
	s_cbranch_execz .LBB325_315
; %bb.308:                              ;   in Loop: Header=BB325_11 Depth=1
	v_bfrev_b32_e32 v47, 1
	s_mov_b32 s22, exec_lo
	v_cmpx_ne_u16_e32 0x80, v8
	s_cbranch_execz .LBB325_314
; %bb.309:                              ;   in Loop: Header=BB325_11 Depth=1
	v_mov_b32_e32 v0, 0x7f
	v_mov_b32_e32 v47, 0x7c010000
	s_mov_b32 s23, exec_lo
	v_and_b32_sdwa v2, v8, v0 dst_sel:DWORD dst_unused:UNUSED_PAD src0_sel:WORD_0 src1_sel:DWORD
	v_cmpx_ne_u32_e32 0x7f, v2
	s_cbranch_execz .LBB325_313
; %bb.310:                              ;   in Loop: Header=BB325_11 Depth=1
	v_mov_b32_e32 v0, 7
	v_lshrrev_b32_e32 v1, 3, v2
	s_mov_b32 s24, exec_lo
	v_and_b32_sdwa v0, v8, v0 dst_sel:DWORD dst_unused:UNUSED_PAD src0_sel:WORD_0 src1_sel:DWORD
	v_cmpx_gt_u32_e32 8, v2
; %bb.311:                              ;   in Loop: Header=BB325_11 Depth=1
	v_ffbh_u32_e32 v0, v0
	v_min_u32_e32 v2, 32, v0
	v_subrev_nc_u32_e32 v0, 28, v2
	v_lshlrev_b64 v[0:1], v0, v[8:9]
	v_sub_nc_u32_e32 v1, 29, v2
	v_and_b32_e32 v0, 7, v0
; %bb.312:                              ;   in Loop: Header=BB325_11 Depth=1
	s_or_b32 exec_lo, exec_lo, s24
	v_mov_b32_e32 v2, 8
	v_lshl_add_u32 v1, v1, 10, 0x2000
	v_lshlrev_b32_e32 v0, 23, v0
	v_lshlrev_b32_sdwa v2, v2, v8 dst_sel:DWORD dst_unused:UNUSED_PAD src0_sel:DWORD src1_sel:WORD_0
	v_and_or_b32 v1, 0x8000, v2, v1
	v_lshl_or_b32 v47, v1, 16, v0
.LBB325_313:                            ;   in Loop: Header=BB325_11 Depth=1
	s_or_b32 exec_lo, exec_lo, s23
.LBB325_314:                            ;   in Loop: Header=BB325_11 Depth=1
	s_or_b32 exec_lo, exec_lo, s22
.LBB325_315:                            ;   in Loop: Header=BB325_11 Depth=1
	s_or_b32 exec_lo, exec_lo, s21
	v_lshrrev_b32_e32 v8, 16, v31
	v_cmp_ne_u16_sdwa s5, v8, v9 src0_sel:BYTE_0 src1_sel:DWORD
	s_and_saveexec_b32 s21, s5
	s_cbranch_execz .LBB325_323
; %bb.316:                              ;   in Loop: Header=BB325_11 Depth=1
	v_cmp_ne_u16_sdwa s5, v8, v51 src0_sel:BYTE_0 src1_sel:DWORD
	v_mov_b32_e32 v46, 0x8000
	s_and_saveexec_b32 s22, s5
	s_cbranch_execz .LBB325_322
; %bb.317:                              ;   in Loop: Header=BB325_11 Depth=1
	v_bfe_u32 v2, v31, 16, 7
	v_mov_b32_e32 v46, 0x7c01
	s_mov_b32 s23, exec_lo
	v_cmpx_ne_u32_e32 0x7f, v2
	s_cbranch_execz .LBB325_321
; %bb.318:                              ;   in Loop: Header=BB325_11 Depth=1
	v_and_b32_e32 v0, 7, v8
	v_lshrrev_b32_e32 v1, 3, v2
	s_mov_b32 s24, exec_lo
	v_cmpx_gt_u32_e32 8, v2
; %bb.319:                              ;   in Loop: Header=BB325_11 Depth=1
	v_ffbh_u32_e32 v0, v0
	v_min_u32_e32 v2, 32, v0
	v_subrev_nc_u32_e32 v0, 28, v2
	v_lshlrev_b64 v[0:1], v0, v[8:9]
	v_sub_nc_u32_e32 v1, 29, v2
	v_and_b32_e32 v0, 7, v0
; %bb.320:                              ;   in Loop: Header=BB325_11 Depth=1
	s_or_b32 exec_lo, exec_lo, s24
	v_lshlrev_b32_e32 v2, 8, v8
	v_lshl_add_u32 v1, v1, 10, 0x2000
	v_lshlrev_b32_e32 v0, 7, v0
	v_and_b32_e32 v2, 0x8000, v2
	v_and_b32_e32 v1, 0xfc00, v1
	v_or3_b32 v46, v2, v1, v0
.LBB325_321:                            ;   in Loop: Header=BB325_11 Depth=1
	s_or_b32 exec_lo, exec_lo, s23
.LBB325_322:                            ;   in Loop: Header=BB325_11 Depth=1
	s_or_b32 exec_lo, exec_lo, s22
.LBB325_323:                            ;   in Loop: Header=BB325_11 Depth=1
	s_or_b32 exec_lo, exec_lo, s21
	v_mov_b32_e32 v57, 0
	v_mov_b32_e32 v56, 0
	s_mov_b32 s21, exec_lo
	v_cmpx_lt_u64_e64 s[6:7], v[30:31]
	s_cbranch_execz .LBB325_331
; %bb.324:                              ;   in Loop: Header=BB325_11 Depth=1
	v_lshrrev_b32_e32 v8, 24, v31
	v_bfrev_b32_e32 v56, 1
	s_mov_b32 s22, exec_lo
	v_cmpx_ne_u32_e32 0x80, v8
	s_cbranch_execz .LBB325_330
; %bb.325:                              ;   in Loop: Header=BB325_11 Depth=1
	v_and_b32_e32 v2, 0x7f, v8
	v_mov_b32_e32 v56, 0x7c010000
	s_mov_b32 s23, exec_lo
	v_cmpx_ne_u32_e32 0x7f, v2
	s_cbranch_execz .LBB325_329
; %bb.326:                              ;   in Loop: Header=BB325_11 Depth=1
	v_and_b32_e32 v0, 7, v8
	v_lshrrev_b32_e32 v1, 3, v2
	s_mov_b32 s24, exec_lo
	v_cmpx_gt_u32_e32 8, v2
; %bb.327:                              ;   in Loop: Header=BB325_11 Depth=1
	v_ffbh_u32_e32 v0, v0
	v_min_u32_e32 v2, 32, v0
	v_subrev_nc_u32_e32 v0, 28, v2
	v_lshlrev_b64 v[0:1], v0, v[8:9]
	v_sub_nc_u32_e32 v1, 29, v2
	v_and_b32_e32 v0, 7, v0
; %bb.328:                              ;   in Loop: Header=BB325_11 Depth=1
	s_or_b32 exec_lo, exec_lo, s24
	v_lshlrev_b32_e32 v2, 8, v8
	v_lshl_add_u32 v1, v1, 10, 0x2000
	v_lshlrev_b32_e32 v0, 23, v0
	v_and_or_b32 v1, 0x8000, v2, v1
	v_lshl_or_b32 v56, v1, 16, v0
.LBB325_329:                            ;   in Loop: Header=BB325_11 Depth=1
	s_or_b32 exec_lo, exec_lo, s23
.LBB325_330:                            ;   in Loop: Header=BB325_11 Depth=1
	s_or_b32 exec_lo, exec_lo, s22
.LBB325_331:                            ;   in Loop: Header=BB325_11 Depth=1
	s_or_b32 exec_lo, exec_lo, s21
	flat_load_dwordx2 v[30:31], v[28:29] offset:1032
	s_waitcnt vmcnt(0) lgkmcnt(0)
	v_cmp_ne_u16_sdwa s5, v30, v9 src0_sel:BYTE_0 src1_sel:DWORD
	s_and_saveexec_b32 s21, s5
	s_cbranch_execz .LBB325_339
; %bb.332:                              ;   in Loop: Header=BB325_11 Depth=1
	v_cmp_ne_u16_sdwa s5, v30, v51 src0_sel:BYTE_0 src1_sel:DWORD
	v_mov_b32_e32 v57, 0x8000
	s_and_saveexec_b32 s22, s5
	s_cbranch_execz .LBB325_338
; %bb.333:                              ;   in Loop: Header=BB325_11 Depth=1
	v_and_b32_e32 v2, 0x7f, v30
	v_mov_b32_e32 v57, 0x7c01
	s_mov_b32 s23, exec_lo
	v_cmpx_ne_u32_e32 0x7f, v2
	s_cbranch_execz .LBB325_337
; %bb.334:                              ;   in Loop: Header=BB325_11 Depth=1
	v_and_b32_e32 v0, 7, v30
	v_lshrrev_b32_e32 v1, 3, v2
	s_mov_b32 s24, exec_lo
	v_cmpx_gt_u32_e32 8, v2
; %bb.335:                              ;   in Loop: Header=BB325_11 Depth=1
	v_ffbh_u32_e32 v0, v0
	v_min_u32_e32 v2, 32, v0
	v_subrev_nc_u32_e32 v0, 28, v2
	v_lshlrev_b64 v[0:1], v0, v[30:31]
	v_sub_nc_u32_e32 v1, 29, v2
	v_and_b32_e32 v0, 7, v0
; %bb.336:                              ;   in Loop: Header=BB325_11 Depth=1
	s_or_b32 exec_lo, exec_lo, s24
	v_lshlrev_b32_e32 v2, 8, v30
	v_lshl_add_u32 v1, v1, 10, 0x2000
	v_lshlrev_b32_e32 v0, 7, v0
	v_and_b32_e32 v2, 0x8000, v2
	v_and_b32_e32 v1, 0xfc00, v1
	v_or3_b32 v57, v2, v1, v0
.LBB325_337:                            ;   in Loop: Header=BB325_11 Depth=1
	s_or_b32 exec_lo, exec_lo, s23
.LBB325_338:                            ;   in Loop: Header=BB325_11 Depth=1
	s_or_b32 exec_lo, exec_lo, s22
.LBB325_339:                            ;   in Loop: Header=BB325_11 Depth=1
	s_or_b32 exec_lo, exec_lo, s21
	v_lshrrev_b16 v8, 8, v30
	v_mov_b32_e32 v59, 0
	v_mov_b32_e32 v58, 0
	s_mov_b32 s21, exec_lo
	v_cmpx_ne_u16_e32 0, v8
	s_cbranch_execz .LBB325_347
; %bb.340:                              ;   in Loop: Header=BB325_11 Depth=1
	v_bfrev_b32_e32 v58, 1
	s_mov_b32 s22, exec_lo
	v_cmpx_ne_u16_e32 0x80, v8
	s_cbranch_execz .LBB325_346
; %bb.341:                              ;   in Loop: Header=BB325_11 Depth=1
	v_mov_b32_e32 v0, 0x7f
	v_mov_b32_e32 v58, 0x7c010000
	s_mov_b32 s23, exec_lo
	v_and_b32_sdwa v2, v8, v0 dst_sel:DWORD dst_unused:UNUSED_PAD src0_sel:WORD_0 src1_sel:DWORD
	v_cmpx_ne_u32_e32 0x7f, v2
	s_cbranch_execz .LBB325_345
; %bb.342:                              ;   in Loop: Header=BB325_11 Depth=1
	v_mov_b32_e32 v0, 7
	v_lshrrev_b32_e32 v1, 3, v2
	s_mov_b32 s24, exec_lo
	v_and_b32_sdwa v0, v8, v0 dst_sel:DWORD dst_unused:UNUSED_PAD src0_sel:WORD_0 src1_sel:DWORD
	v_cmpx_gt_u32_e32 8, v2
; %bb.343:                              ;   in Loop: Header=BB325_11 Depth=1
	v_ffbh_u32_e32 v0, v0
	v_min_u32_e32 v2, 32, v0
	v_subrev_nc_u32_e32 v0, 28, v2
	v_lshlrev_b64 v[0:1], v0, v[8:9]
	v_sub_nc_u32_e32 v1, 29, v2
	v_and_b32_e32 v0, 7, v0
; %bb.344:                              ;   in Loop: Header=BB325_11 Depth=1
	s_or_b32 exec_lo, exec_lo, s24
	v_mov_b32_e32 v2, 8
	v_lshl_add_u32 v1, v1, 10, 0x2000
	v_lshlrev_b32_e32 v0, 23, v0
	v_lshlrev_b32_sdwa v2, v2, v8 dst_sel:DWORD dst_unused:UNUSED_PAD src0_sel:DWORD src1_sel:WORD_0
	v_and_or_b32 v1, 0x8000, v2, v1
	v_lshl_or_b32 v58, v1, 16, v0
.LBB325_345:                            ;   in Loop: Header=BB325_11 Depth=1
	s_or_b32 exec_lo, exec_lo, s23
.LBB325_346:                            ;   in Loop: Header=BB325_11 Depth=1
	s_or_b32 exec_lo, exec_lo, s22
.LBB325_347:                            ;   in Loop: Header=BB325_11 Depth=1
	s_or_b32 exec_lo, exec_lo, s21
	v_lshrrev_b32_e32 v8, 16, v30
	v_cmp_ne_u16_sdwa s5, v8, v9 src0_sel:BYTE_0 src1_sel:DWORD
	s_and_saveexec_b32 s21, s5
	s_cbranch_execz .LBB325_355
; %bb.348:                              ;   in Loop: Header=BB325_11 Depth=1
	v_cmp_ne_u16_sdwa s5, v8, v51 src0_sel:BYTE_0 src1_sel:DWORD
	v_mov_b32_e32 v59, 0x8000
	s_and_saveexec_b32 s22, s5
	s_cbranch_execz .LBB325_354
; %bb.349:                              ;   in Loop: Header=BB325_11 Depth=1
	v_bfe_u32 v2, v30, 16, 7
	v_mov_b32_e32 v59, 0x7c01
	s_mov_b32 s23, exec_lo
	v_cmpx_ne_u32_e32 0x7f, v2
	s_cbranch_execz .LBB325_353
; %bb.350:                              ;   in Loop: Header=BB325_11 Depth=1
	v_and_b32_e32 v0, 7, v8
	v_lshrrev_b32_e32 v1, 3, v2
	s_mov_b32 s24, exec_lo
	v_cmpx_gt_u32_e32 8, v2
; %bb.351:                              ;   in Loop: Header=BB325_11 Depth=1
	v_ffbh_u32_e32 v0, v0
	v_min_u32_e32 v2, 32, v0
	v_subrev_nc_u32_e32 v0, 28, v2
	v_lshlrev_b64 v[0:1], v0, v[8:9]
	v_sub_nc_u32_e32 v1, 29, v2
	v_and_b32_e32 v0, 7, v0
; %bb.352:                              ;   in Loop: Header=BB325_11 Depth=1
	s_or_b32 exec_lo, exec_lo, s24
	v_lshlrev_b32_e32 v2, 8, v8
	v_lshl_add_u32 v1, v1, 10, 0x2000
	v_lshlrev_b32_e32 v0, 7, v0
	v_and_b32_e32 v2, 0x8000, v2
	v_and_b32_e32 v1, 0xfc00, v1
	v_or3_b32 v59, v2, v1, v0
.LBB325_353:                            ;   in Loop: Header=BB325_11 Depth=1
	s_or_b32 exec_lo, exec_lo, s23
.LBB325_354:                            ;   in Loop: Header=BB325_11 Depth=1
	s_or_b32 exec_lo, exec_lo, s22
.LBB325_355:                            ;   in Loop: Header=BB325_11 Depth=1
	s_or_b32 exec_lo, exec_lo, s21
	v_mov_b32_e32 v60, 0
	v_mov_b32_e32 v61, 0
	s_mov_b32 s21, exec_lo
	v_cmpx_lt_u32_e32 0xffffff, v30
	s_cbranch_execz .LBB325_363
; %bb.356:                              ;   in Loop: Header=BB325_11 Depth=1
	v_lshrrev_b32_e32 v8, 24, v30
	v_bfrev_b32_e32 v61, 1
	s_mov_b32 s22, exec_lo
	v_cmpx_ne_u32_e32 0x80, v8
	s_cbranch_execz .LBB325_362
; %bb.357:                              ;   in Loop: Header=BB325_11 Depth=1
	v_and_b32_e32 v2, 0x7f, v8
	v_mov_b32_e32 v61, 0x7c010000
	s_mov_b32 s23, exec_lo
	v_cmpx_ne_u32_e32 0x7f, v2
	s_cbranch_execz .LBB325_361
; %bb.358:                              ;   in Loop: Header=BB325_11 Depth=1
	v_and_b32_e32 v0, 7, v8
	v_lshrrev_b32_e32 v1, 3, v2
	s_mov_b32 s24, exec_lo
	v_cmpx_gt_u32_e32 8, v2
; %bb.359:                              ;   in Loop: Header=BB325_11 Depth=1
	v_ffbh_u32_e32 v0, v0
	v_min_u32_e32 v2, 32, v0
	v_subrev_nc_u32_e32 v0, 28, v2
	v_lshlrev_b64 v[0:1], v0, v[8:9]
	v_sub_nc_u32_e32 v1, 29, v2
	v_and_b32_e32 v0, 7, v0
; %bb.360:                              ;   in Loop: Header=BB325_11 Depth=1
	s_or_b32 exec_lo, exec_lo, s24
	v_lshlrev_b32_e32 v2, 8, v8
	v_lshl_add_u32 v1, v1, 10, 0x2000
	v_lshlrev_b32_e32 v0, 23, v0
	v_and_or_b32 v1, 0x8000, v2, v1
	v_lshl_or_b32 v61, v1, 16, v0
.LBB325_361:                            ;   in Loop: Header=BB325_11 Depth=1
	s_or_b32 exec_lo, exec_lo, s23
.LBB325_362:                            ;   in Loop: Header=BB325_11 Depth=1
	s_or_b32 exec_lo, exec_lo, s22
.LBB325_363:                            ;   in Loop: Header=BB325_11 Depth=1
	s_or_b32 exec_lo, exec_lo, s21
	v_mov_b32_e32 v8, v31
	v_cmp_ne_u16_sdwa s5, v31, v9 src0_sel:BYTE_0 src1_sel:DWORD
	s_and_saveexec_b32 s21, s5
	s_cbranch_execz .LBB325_371
; %bb.364:                              ;   in Loop: Header=BB325_11 Depth=1
	v_cmp_ne_u16_sdwa s5, v31, v51 src0_sel:BYTE_0 src1_sel:DWORD
	v_mov_b32_e32 v60, 0x8000
	s_and_saveexec_b32 s22, s5
	s_cbranch_execz .LBB325_370
; %bb.365:                              ;   in Loop: Header=BB325_11 Depth=1
	v_and_b32_e32 v2, 0x7f, v31
	v_mov_b32_e32 v60, 0x7c01
	s_mov_b32 s23, exec_lo
	v_cmpx_ne_u32_e32 0x7f, v2
	s_cbranch_execz .LBB325_369
; %bb.366:                              ;   in Loop: Header=BB325_11 Depth=1
	v_and_b32_e32 v0, 7, v31
	v_lshrrev_b32_e32 v1, 3, v2
	s_mov_b32 s24, exec_lo
	v_cmpx_gt_u32_e32 8, v2
; %bb.367:                              ;   in Loop: Header=BB325_11 Depth=1
	v_ffbh_u32_e32 v0, v0
	v_min_u32_e32 v2, 32, v0
	v_subrev_nc_u32_e32 v0, 28, v2
	v_lshlrev_b64 v[0:1], v0, v[8:9]
	v_sub_nc_u32_e32 v1, 29, v2
	v_and_b32_e32 v0, 7, v0
; %bb.368:                              ;   in Loop: Header=BB325_11 Depth=1
	s_or_b32 exec_lo, exec_lo, s24
	v_lshlrev_b32_e32 v2, 8, v31
	v_lshl_add_u32 v1, v1, 10, 0x2000
	v_lshlrev_b32_e32 v0, 7, v0
	v_and_b32_e32 v2, 0x8000, v2
	v_and_b32_e32 v1, 0xfc00, v1
	v_or3_b32 v60, v2, v1, v0
.LBB325_369:                            ;   in Loop: Header=BB325_11 Depth=1
	s_or_b32 exec_lo, exec_lo, s23
.LBB325_370:                            ;   in Loop: Header=BB325_11 Depth=1
	s_or_b32 exec_lo, exec_lo, s22
.LBB325_371:                            ;   in Loop: Header=BB325_11 Depth=1
	s_or_b32 exec_lo, exec_lo, s21
	v_lshrrev_b16 v8, 8, v8
	v_mov_b32_e32 v62, 0
	v_mov_b32_e32 v63, 0
	s_mov_b32 s21, exec_lo
	v_cmpx_ne_u16_e32 0, v8
	s_cbranch_execz .LBB325_379
; %bb.372:                              ;   in Loop: Header=BB325_11 Depth=1
	v_bfrev_b32_e32 v63, 1
	s_mov_b32 s22, exec_lo
	v_cmpx_ne_u16_e32 0x80, v8
	s_cbranch_execz .LBB325_378
; %bb.373:                              ;   in Loop: Header=BB325_11 Depth=1
	v_mov_b32_e32 v0, 0x7f
	v_mov_b32_e32 v63, 0x7c010000
	s_mov_b32 s23, exec_lo
	v_and_b32_sdwa v2, v8, v0 dst_sel:DWORD dst_unused:UNUSED_PAD src0_sel:WORD_0 src1_sel:DWORD
	v_cmpx_ne_u32_e32 0x7f, v2
	s_cbranch_execz .LBB325_377
; %bb.374:                              ;   in Loop: Header=BB325_11 Depth=1
	v_mov_b32_e32 v0, 7
	v_lshrrev_b32_e32 v1, 3, v2
	s_mov_b32 s24, exec_lo
	v_and_b32_sdwa v0, v8, v0 dst_sel:DWORD dst_unused:UNUSED_PAD src0_sel:WORD_0 src1_sel:DWORD
	v_cmpx_gt_u32_e32 8, v2
; %bb.375:                              ;   in Loop: Header=BB325_11 Depth=1
	v_ffbh_u32_e32 v0, v0
	v_min_u32_e32 v2, 32, v0
	v_subrev_nc_u32_e32 v0, 28, v2
	v_lshlrev_b64 v[0:1], v0, v[8:9]
	v_sub_nc_u32_e32 v1, 29, v2
	v_and_b32_e32 v0, 7, v0
; %bb.376:                              ;   in Loop: Header=BB325_11 Depth=1
	s_or_b32 exec_lo, exec_lo, s24
	v_mov_b32_e32 v2, 8
	v_lshl_add_u32 v1, v1, 10, 0x2000
	v_lshlrev_b32_e32 v0, 23, v0
	v_lshlrev_b32_sdwa v2, v2, v8 dst_sel:DWORD dst_unused:UNUSED_PAD src0_sel:DWORD src1_sel:WORD_0
	v_and_or_b32 v1, 0x8000, v2, v1
	v_lshl_or_b32 v63, v1, 16, v0
.LBB325_377:                            ;   in Loop: Header=BB325_11 Depth=1
	s_or_b32 exec_lo, exec_lo, s23
.LBB325_378:                            ;   in Loop: Header=BB325_11 Depth=1
	s_or_b32 exec_lo, exec_lo, s22
.LBB325_379:                            ;   in Loop: Header=BB325_11 Depth=1
	s_or_b32 exec_lo, exec_lo, s21
	v_lshrrev_b32_e32 v8, 16, v31
	v_cmp_ne_u16_sdwa s5, v8, v9 src0_sel:BYTE_0 src1_sel:DWORD
	s_and_saveexec_b32 s21, s5
	s_cbranch_execz .LBB325_387
; %bb.380:                              ;   in Loop: Header=BB325_11 Depth=1
	v_cmp_ne_u16_sdwa s5, v8, v51 src0_sel:BYTE_0 src1_sel:DWORD
	v_mov_b32_e32 v62, 0x8000
	s_and_saveexec_b32 s22, s5
	s_cbranch_execz .LBB325_386
; %bb.381:                              ;   in Loop: Header=BB325_11 Depth=1
	v_bfe_u32 v2, v31, 16, 7
	v_mov_b32_e32 v62, 0x7c01
	s_mov_b32 s23, exec_lo
	v_cmpx_ne_u32_e32 0x7f, v2
	s_cbranch_execz .LBB325_385
; %bb.382:                              ;   in Loop: Header=BB325_11 Depth=1
	v_and_b32_e32 v0, 7, v8
	v_lshrrev_b32_e32 v1, 3, v2
	s_mov_b32 s24, exec_lo
	v_cmpx_gt_u32_e32 8, v2
; %bb.383:                              ;   in Loop: Header=BB325_11 Depth=1
	v_ffbh_u32_e32 v0, v0
	v_min_u32_e32 v2, 32, v0
	v_subrev_nc_u32_e32 v0, 28, v2
	v_lshlrev_b64 v[0:1], v0, v[8:9]
	v_sub_nc_u32_e32 v1, 29, v2
	v_and_b32_e32 v0, 7, v0
; %bb.384:                              ;   in Loop: Header=BB325_11 Depth=1
	s_or_b32 exec_lo, exec_lo, s24
	v_lshlrev_b32_e32 v2, 8, v8
	v_lshl_add_u32 v1, v1, 10, 0x2000
	v_lshlrev_b32_e32 v0, 7, v0
	v_and_b32_e32 v2, 0x8000, v2
	v_and_b32_e32 v1, 0xfc00, v1
	v_or3_b32 v62, v2, v1, v0
.LBB325_385:                            ;   in Loop: Header=BB325_11 Depth=1
	s_or_b32 exec_lo, exec_lo, s23
.LBB325_386:                            ;   in Loop: Header=BB325_11 Depth=1
	s_or_b32 exec_lo, exec_lo, s22
.LBB325_387:                            ;   in Loop: Header=BB325_11 Depth=1
	s_or_b32 exec_lo, exec_lo, s21
	v_mov_b32_e32 v98, 0
	v_mov_b32_e32 v72, 0
	s_mov_b32 s21, exec_lo
	v_cmpx_lt_u64_e64 s[6:7], v[30:31]
	s_cbranch_execz .LBB325_395
; %bb.388:                              ;   in Loop: Header=BB325_11 Depth=1
	v_lshrrev_b32_e32 v8, 24, v31
	v_bfrev_b32_e32 v72, 1
	s_mov_b32 s22, exec_lo
	v_cmpx_ne_u32_e32 0x80, v8
	s_cbranch_execz .LBB325_394
; %bb.389:                              ;   in Loop: Header=BB325_11 Depth=1
	v_and_b32_e32 v2, 0x7f, v8
	v_mov_b32_e32 v72, 0x7c010000
	s_mov_b32 s23, exec_lo
	v_cmpx_ne_u32_e32 0x7f, v2
	s_cbranch_execz .LBB325_393
; %bb.390:                              ;   in Loop: Header=BB325_11 Depth=1
	v_and_b32_e32 v0, 7, v8
	v_lshrrev_b32_e32 v1, 3, v2
	s_mov_b32 s24, exec_lo
	v_cmpx_gt_u32_e32 8, v2
; %bb.391:                              ;   in Loop: Header=BB325_11 Depth=1
	v_ffbh_u32_e32 v0, v0
	v_min_u32_e32 v2, 32, v0
	v_subrev_nc_u32_e32 v0, 28, v2
	v_lshlrev_b64 v[0:1], v0, v[8:9]
	v_sub_nc_u32_e32 v1, 29, v2
	v_and_b32_e32 v0, 7, v0
; %bb.392:                              ;   in Loop: Header=BB325_11 Depth=1
	s_or_b32 exec_lo, exec_lo, s24
	v_lshlrev_b32_e32 v2, 8, v8
	v_lshl_add_u32 v1, v1, 10, 0x2000
	v_lshlrev_b32_e32 v0, 23, v0
	v_and_or_b32 v1, 0x8000, v2, v1
	v_lshl_or_b32 v72, v1, 16, v0
.LBB325_393:                            ;   in Loop: Header=BB325_11 Depth=1
	s_or_b32 exec_lo, exec_lo, s23
.LBB325_394:                            ;   in Loop: Header=BB325_11 Depth=1
	s_or_b32 exec_lo, exec_lo, s22
.LBB325_395:                            ;   in Loop: Header=BB325_11 Depth=1
	s_or_b32 exec_lo, exec_lo, s21
	flat_load_dwordx2 v[30:31], v[28:29] offset:1536
	s_waitcnt vmcnt(0) lgkmcnt(0)
	v_cmp_ne_u16_sdwa s5, v30, v9 src0_sel:BYTE_0 src1_sel:DWORD
	s_and_saveexec_b32 s21, s5
	s_cbranch_execz .LBB325_403
; %bb.396:                              ;   in Loop: Header=BB325_11 Depth=1
	v_cmp_ne_u16_sdwa s5, v30, v51 src0_sel:BYTE_0 src1_sel:DWORD
	v_mov_b32_e32 v98, 0x8000
	s_and_saveexec_b32 s22, s5
	s_cbranch_execz .LBB325_402
; %bb.397:                              ;   in Loop: Header=BB325_11 Depth=1
	v_and_b32_e32 v2, 0x7f, v30
	v_mov_b32_e32 v98, 0x7c01
	s_mov_b32 s23, exec_lo
	v_cmpx_ne_u32_e32 0x7f, v2
	s_cbranch_execz .LBB325_401
; %bb.398:                              ;   in Loop: Header=BB325_11 Depth=1
	v_and_b32_e32 v0, 7, v30
	v_lshrrev_b32_e32 v1, 3, v2
	s_mov_b32 s24, exec_lo
	v_cmpx_gt_u32_e32 8, v2
; %bb.399:                              ;   in Loop: Header=BB325_11 Depth=1
	v_ffbh_u32_e32 v0, v0
	v_min_u32_e32 v2, 32, v0
	v_subrev_nc_u32_e32 v0, 28, v2
	v_lshlrev_b64 v[0:1], v0, v[30:31]
	v_sub_nc_u32_e32 v1, 29, v2
	v_and_b32_e32 v0, 7, v0
; %bb.400:                              ;   in Loop: Header=BB325_11 Depth=1
	s_or_b32 exec_lo, exec_lo, s24
	v_lshlrev_b32_e32 v2, 8, v30
	v_lshl_add_u32 v1, v1, 10, 0x2000
	v_lshlrev_b32_e32 v0, 7, v0
	v_and_b32_e32 v2, 0x8000, v2
	v_and_b32_e32 v1, 0xfc00, v1
	v_or3_b32 v98, v2, v1, v0
.LBB325_401:                            ;   in Loop: Header=BB325_11 Depth=1
	s_or_b32 exec_lo, exec_lo, s23
.LBB325_402:                            ;   in Loop: Header=BB325_11 Depth=1
	s_or_b32 exec_lo, exec_lo, s22
.LBB325_403:                            ;   in Loop: Header=BB325_11 Depth=1
	s_or_b32 exec_lo, exec_lo, s21
	v_lshrrev_b16 v8, 8, v30
	v_mov_b32_e32 v75, 0
	v_mov_b32_e32 v112, 0
	s_mov_b32 s21, exec_lo
	v_cmpx_ne_u16_e32 0, v8
	s_cbranch_execz .LBB325_411
; %bb.404:                              ;   in Loop: Header=BB325_11 Depth=1
	v_bfrev_b32_e32 v112, 1
	s_mov_b32 s22, exec_lo
	v_cmpx_ne_u16_e32 0x80, v8
	s_cbranch_execz .LBB325_410
; %bb.405:                              ;   in Loop: Header=BB325_11 Depth=1
	v_mov_b32_e32 v0, 0x7f
	v_mov_b32_e32 v112, 0x7c010000
	s_mov_b32 s23, exec_lo
	v_and_b32_sdwa v2, v8, v0 dst_sel:DWORD dst_unused:UNUSED_PAD src0_sel:WORD_0 src1_sel:DWORD
	v_cmpx_ne_u32_e32 0x7f, v2
	s_cbranch_execz .LBB325_409
; %bb.406:                              ;   in Loop: Header=BB325_11 Depth=1
	v_mov_b32_e32 v0, 7
	v_lshrrev_b32_e32 v1, 3, v2
	s_mov_b32 s24, exec_lo
	v_and_b32_sdwa v0, v8, v0 dst_sel:DWORD dst_unused:UNUSED_PAD src0_sel:WORD_0 src1_sel:DWORD
	v_cmpx_gt_u32_e32 8, v2
; %bb.407:                              ;   in Loop: Header=BB325_11 Depth=1
	v_ffbh_u32_e32 v0, v0
	v_min_u32_e32 v2, 32, v0
	v_subrev_nc_u32_e32 v0, 28, v2
	v_lshlrev_b64 v[0:1], v0, v[8:9]
	v_sub_nc_u32_e32 v1, 29, v2
	v_and_b32_e32 v0, 7, v0
; %bb.408:                              ;   in Loop: Header=BB325_11 Depth=1
	s_or_b32 exec_lo, exec_lo, s24
	v_mov_b32_e32 v2, 8
	v_lshl_add_u32 v1, v1, 10, 0x2000
	v_lshlrev_b32_e32 v0, 23, v0
	v_lshlrev_b32_sdwa v2, v2, v8 dst_sel:DWORD dst_unused:UNUSED_PAD src0_sel:DWORD src1_sel:WORD_0
	v_and_or_b32 v1, 0x8000, v2, v1
	v_lshl_or_b32 v112, v1, 16, v0
.LBB325_409:                            ;   in Loop: Header=BB325_11 Depth=1
	s_or_b32 exec_lo, exec_lo, s23
.LBB325_410:                            ;   in Loop: Header=BB325_11 Depth=1
	s_or_b32 exec_lo, exec_lo, s22
.LBB325_411:                            ;   in Loop: Header=BB325_11 Depth=1
	s_or_b32 exec_lo, exec_lo, s21
	v_lshrrev_b32_e32 v8, 16, v30
	v_cmp_ne_u16_sdwa s5, v8, v9 src0_sel:BYTE_0 src1_sel:DWORD
	s_and_saveexec_b32 s21, s5
	s_cbranch_execz .LBB325_419
; %bb.412:                              ;   in Loop: Header=BB325_11 Depth=1
	v_cmp_ne_u16_sdwa s5, v8, v51 src0_sel:BYTE_0 src1_sel:DWORD
	v_mov_b32_e32 v75, 0x8000
	s_and_saveexec_b32 s22, s5
	s_cbranch_execz .LBB325_418
; %bb.413:                              ;   in Loop: Header=BB325_11 Depth=1
	v_bfe_u32 v2, v30, 16, 7
	v_mov_b32_e32 v75, 0x7c01
	s_mov_b32 s23, exec_lo
	v_cmpx_ne_u32_e32 0x7f, v2
	s_cbranch_execz .LBB325_417
; %bb.414:                              ;   in Loop: Header=BB325_11 Depth=1
	v_and_b32_e32 v0, 7, v8
	v_lshrrev_b32_e32 v1, 3, v2
	s_mov_b32 s24, exec_lo
	v_cmpx_gt_u32_e32 8, v2
; %bb.415:                              ;   in Loop: Header=BB325_11 Depth=1
	v_ffbh_u32_e32 v0, v0
	v_min_u32_e32 v2, 32, v0
	v_subrev_nc_u32_e32 v0, 28, v2
	v_lshlrev_b64 v[0:1], v0, v[8:9]
	v_sub_nc_u32_e32 v1, 29, v2
	v_and_b32_e32 v0, 7, v0
; %bb.416:                              ;   in Loop: Header=BB325_11 Depth=1
	s_or_b32 exec_lo, exec_lo, s24
	v_lshlrev_b32_e32 v2, 8, v8
	v_lshl_add_u32 v1, v1, 10, 0x2000
	v_lshlrev_b32_e32 v0, 7, v0
	v_and_b32_e32 v2, 0x8000, v2
	v_and_b32_e32 v1, 0xfc00, v1
	v_or3_b32 v75, v2, v1, v0
.LBB325_417:                            ;   in Loop: Header=BB325_11 Depth=1
	s_or_b32 exec_lo, exec_lo, s23
.LBB325_418:                            ;   in Loop: Header=BB325_11 Depth=1
	s_or_b32 exec_lo, exec_lo, s22
.LBB325_419:                            ;   in Loop: Header=BB325_11 Depth=1
	s_or_b32 exec_lo, exec_lo, s21
	v_mov_b32_e32 v78, 0
	v_mov_b32_e32 v79, 0
	s_mov_b32 s21, exec_lo
	v_cmpx_lt_u32_e32 0xffffff, v30
	s_cbranch_execz .LBB325_427
; %bb.420:                              ;   in Loop: Header=BB325_11 Depth=1
	v_lshrrev_b32_e32 v8, 24, v30
	v_bfrev_b32_e32 v79, 1
	s_mov_b32 s22, exec_lo
	v_cmpx_ne_u32_e32 0x80, v8
	s_cbranch_execz .LBB325_426
; %bb.421:                              ;   in Loop: Header=BB325_11 Depth=1
	v_and_b32_e32 v2, 0x7f, v8
	v_mov_b32_e32 v79, 0x7c010000
	s_mov_b32 s23, exec_lo
	v_cmpx_ne_u32_e32 0x7f, v2
	s_cbranch_execz .LBB325_425
; %bb.422:                              ;   in Loop: Header=BB325_11 Depth=1
	v_and_b32_e32 v0, 7, v8
	v_lshrrev_b32_e32 v1, 3, v2
	s_mov_b32 s24, exec_lo
	v_cmpx_gt_u32_e32 8, v2
; %bb.423:                              ;   in Loop: Header=BB325_11 Depth=1
	v_ffbh_u32_e32 v0, v0
	v_min_u32_e32 v2, 32, v0
	v_subrev_nc_u32_e32 v0, 28, v2
	v_lshlrev_b64 v[0:1], v0, v[8:9]
	v_sub_nc_u32_e32 v1, 29, v2
	v_and_b32_e32 v0, 7, v0
; %bb.424:                              ;   in Loop: Header=BB325_11 Depth=1
	s_or_b32 exec_lo, exec_lo, s24
	v_lshlrev_b32_e32 v2, 8, v8
	v_lshl_add_u32 v1, v1, 10, 0x2000
	v_lshlrev_b32_e32 v0, 23, v0
	v_and_or_b32 v1, 0x8000, v2, v1
	v_lshl_or_b32 v79, v1, 16, v0
.LBB325_425:                            ;   in Loop: Header=BB325_11 Depth=1
	s_or_b32 exec_lo, exec_lo, s23
.LBB325_426:                            ;   in Loop: Header=BB325_11 Depth=1
	s_or_b32 exec_lo, exec_lo, s22
.LBB325_427:                            ;   in Loop: Header=BB325_11 Depth=1
	s_or_b32 exec_lo, exec_lo, s21
	v_mov_b32_e32 v8, v31
	v_cmp_ne_u16_sdwa s5, v31, v9 src0_sel:BYTE_0 src1_sel:DWORD
	s_and_saveexec_b32 s21, s5
	s_cbranch_execz .LBB325_435
; %bb.428:                              ;   in Loop: Header=BB325_11 Depth=1
	v_cmp_ne_u16_sdwa s5, v31, v51 src0_sel:BYTE_0 src1_sel:DWORD
	v_mov_b32_e32 v78, 0x8000
	s_and_saveexec_b32 s22, s5
	s_cbranch_execz .LBB325_434
; %bb.429:                              ;   in Loop: Header=BB325_11 Depth=1
	v_and_b32_e32 v2, 0x7f, v31
	v_mov_b32_e32 v78, 0x7c01
	s_mov_b32 s23, exec_lo
	v_cmpx_ne_u32_e32 0x7f, v2
	s_cbranch_execz .LBB325_433
; %bb.430:                              ;   in Loop: Header=BB325_11 Depth=1
	v_and_b32_e32 v0, 7, v31
	v_lshrrev_b32_e32 v1, 3, v2
	s_mov_b32 s24, exec_lo
	v_cmpx_gt_u32_e32 8, v2
; %bb.431:                              ;   in Loop: Header=BB325_11 Depth=1
	v_ffbh_u32_e32 v0, v0
	v_min_u32_e32 v2, 32, v0
	v_subrev_nc_u32_e32 v0, 28, v2
	v_lshlrev_b64 v[0:1], v0, v[8:9]
	v_sub_nc_u32_e32 v1, 29, v2
	v_and_b32_e32 v0, 7, v0
; %bb.432:                              ;   in Loop: Header=BB325_11 Depth=1
	s_or_b32 exec_lo, exec_lo, s24
	v_lshlrev_b32_e32 v2, 8, v31
	v_lshl_add_u32 v1, v1, 10, 0x2000
	v_lshlrev_b32_e32 v0, 7, v0
	v_and_b32_e32 v2, 0x8000, v2
	v_and_b32_e32 v1, 0xfc00, v1
	v_or3_b32 v78, v2, v1, v0
.LBB325_433:                            ;   in Loop: Header=BB325_11 Depth=1
	s_or_b32 exec_lo, exec_lo, s23
.LBB325_434:                            ;   in Loop: Header=BB325_11 Depth=1
	s_or_b32 exec_lo, exec_lo, s22
.LBB325_435:                            ;   in Loop: Header=BB325_11 Depth=1
	s_or_b32 exec_lo, exec_lo, s21
	v_lshrrev_b16 v8, 8, v8
	v_mov_b32_e32 v88, 0
	v_mov_b32_e32 v89, 0
	s_mov_b32 s21, exec_lo
	v_cmpx_ne_u16_e32 0, v8
	s_cbranch_execz .LBB325_443
; %bb.436:                              ;   in Loop: Header=BB325_11 Depth=1
	v_bfrev_b32_e32 v89, 1
	s_mov_b32 s22, exec_lo
	v_cmpx_ne_u16_e32 0x80, v8
	s_cbranch_execz .LBB325_442
; %bb.437:                              ;   in Loop: Header=BB325_11 Depth=1
	v_mov_b32_e32 v0, 0x7f
	v_mov_b32_e32 v89, 0x7c010000
	s_mov_b32 s23, exec_lo
	v_and_b32_sdwa v2, v8, v0 dst_sel:DWORD dst_unused:UNUSED_PAD src0_sel:WORD_0 src1_sel:DWORD
	v_cmpx_ne_u32_e32 0x7f, v2
	s_cbranch_execz .LBB325_441
; %bb.438:                              ;   in Loop: Header=BB325_11 Depth=1
	v_mov_b32_e32 v0, 7
	v_lshrrev_b32_e32 v1, 3, v2
	s_mov_b32 s24, exec_lo
	v_and_b32_sdwa v0, v8, v0 dst_sel:DWORD dst_unused:UNUSED_PAD src0_sel:WORD_0 src1_sel:DWORD
	v_cmpx_gt_u32_e32 8, v2
; %bb.439:                              ;   in Loop: Header=BB325_11 Depth=1
	v_ffbh_u32_e32 v0, v0
	v_min_u32_e32 v2, 32, v0
	v_subrev_nc_u32_e32 v0, 28, v2
	v_lshlrev_b64 v[0:1], v0, v[8:9]
	v_sub_nc_u32_e32 v1, 29, v2
	v_and_b32_e32 v0, 7, v0
; %bb.440:                              ;   in Loop: Header=BB325_11 Depth=1
	s_or_b32 exec_lo, exec_lo, s24
	v_mov_b32_e32 v2, 8
	v_lshl_add_u32 v1, v1, 10, 0x2000
	v_lshlrev_b32_e32 v0, 23, v0
	v_lshlrev_b32_sdwa v2, v2, v8 dst_sel:DWORD dst_unused:UNUSED_PAD src0_sel:DWORD src1_sel:WORD_0
	v_and_or_b32 v1, 0x8000, v2, v1
	v_lshl_or_b32 v89, v1, 16, v0
.LBB325_441:                            ;   in Loop: Header=BB325_11 Depth=1
	s_or_b32 exec_lo, exec_lo, s23
.LBB325_442:                            ;   in Loop: Header=BB325_11 Depth=1
	s_or_b32 exec_lo, exec_lo, s22
.LBB325_443:                            ;   in Loop: Header=BB325_11 Depth=1
	s_or_b32 exec_lo, exec_lo, s21
	v_lshrrev_b32_e32 v8, 16, v31
	v_cmp_ne_u16_sdwa s5, v8, v9 src0_sel:BYTE_0 src1_sel:DWORD
	s_and_saveexec_b32 s21, s5
	s_cbranch_execz .LBB325_451
; %bb.444:                              ;   in Loop: Header=BB325_11 Depth=1
	v_cmp_ne_u16_sdwa s5, v8, v51 src0_sel:BYTE_0 src1_sel:DWORD
	v_mov_b32_e32 v88, 0x8000
	s_and_saveexec_b32 s22, s5
	s_cbranch_execz .LBB325_450
; %bb.445:                              ;   in Loop: Header=BB325_11 Depth=1
	v_bfe_u32 v2, v31, 16, 7
	v_mov_b32_e32 v88, 0x7c01
	s_mov_b32 s23, exec_lo
	v_cmpx_ne_u32_e32 0x7f, v2
	s_cbranch_execz .LBB325_449
; %bb.446:                              ;   in Loop: Header=BB325_11 Depth=1
	v_and_b32_e32 v0, 7, v8
	v_lshrrev_b32_e32 v1, 3, v2
	s_mov_b32 s24, exec_lo
	v_cmpx_gt_u32_e32 8, v2
; %bb.447:                              ;   in Loop: Header=BB325_11 Depth=1
	v_ffbh_u32_e32 v0, v0
	v_min_u32_e32 v2, 32, v0
	v_subrev_nc_u32_e32 v0, 28, v2
	v_lshlrev_b64 v[0:1], v0, v[8:9]
	v_sub_nc_u32_e32 v1, 29, v2
	v_and_b32_e32 v0, 7, v0
; %bb.448:                              ;   in Loop: Header=BB325_11 Depth=1
	s_or_b32 exec_lo, exec_lo, s24
	v_lshlrev_b32_e32 v2, 8, v8
	v_lshl_add_u32 v1, v1, 10, 0x2000
	v_lshlrev_b32_e32 v0, 7, v0
	v_and_b32_e32 v2, 0x8000, v2
	v_and_b32_e32 v1, 0xfc00, v1
	v_or3_b32 v88, v2, v1, v0
.LBB325_449:                            ;   in Loop: Header=BB325_11 Depth=1
	s_or_b32 exec_lo, exec_lo, s23
.LBB325_450:                            ;   in Loop: Header=BB325_11 Depth=1
	s_or_b32 exec_lo, exec_lo, s22
.LBB325_451:                            ;   in Loop: Header=BB325_11 Depth=1
	s_or_b32 exec_lo, exec_lo, s21
	v_mov_b32_e32 v113, 0
	v_mov_b32_e32 v104, 0
	s_mov_b32 s21, exec_lo
	v_cmpx_lt_u64_e64 s[6:7], v[30:31]
	s_cbranch_execz .LBB325_459
; %bb.452:                              ;   in Loop: Header=BB325_11 Depth=1
	v_lshrrev_b32_e32 v8, 24, v31
	v_bfrev_b32_e32 v104, 1
	s_mov_b32 s22, exec_lo
	v_cmpx_ne_u32_e32 0x80, v8
	s_cbranch_execz .LBB325_458
; %bb.453:                              ;   in Loop: Header=BB325_11 Depth=1
	v_and_b32_e32 v2, 0x7f, v8
	v_mov_b32_e32 v104, 0x7c010000
	s_mov_b32 s23, exec_lo
	v_cmpx_ne_u32_e32 0x7f, v2
	s_cbranch_execz .LBB325_457
; %bb.454:                              ;   in Loop: Header=BB325_11 Depth=1
	v_and_b32_e32 v0, 7, v8
	v_lshrrev_b32_e32 v1, 3, v2
	s_mov_b32 s24, exec_lo
	v_cmpx_gt_u32_e32 8, v2
; %bb.455:                              ;   in Loop: Header=BB325_11 Depth=1
	v_ffbh_u32_e32 v0, v0
	v_min_u32_e32 v2, 32, v0
	v_subrev_nc_u32_e32 v0, 28, v2
	v_lshlrev_b64 v[0:1], v0, v[8:9]
	v_sub_nc_u32_e32 v1, 29, v2
	v_and_b32_e32 v0, 7, v0
; %bb.456:                              ;   in Loop: Header=BB325_11 Depth=1
	s_or_b32 exec_lo, exec_lo, s24
	v_lshlrev_b32_e32 v2, 8, v8
	v_lshl_add_u32 v1, v1, 10, 0x2000
	v_lshlrev_b32_e32 v0, 23, v0
	v_and_or_b32 v1, 0x8000, v2, v1
	v_lshl_or_b32 v104, v1, 16, v0
.LBB325_457:                            ;   in Loop: Header=BB325_11 Depth=1
	s_or_b32 exec_lo, exec_lo, s23
.LBB325_458:                            ;   in Loop: Header=BB325_11 Depth=1
	s_or_b32 exec_lo, exec_lo, s22
.LBB325_459:                            ;   in Loop: Header=BB325_11 Depth=1
	s_or_b32 exec_lo, exec_lo, s21
	flat_load_dwordx2 v[30:31], v[28:29] offset:1544
	s_waitcnt vmcnt(0) lgkmcnt(0)
	v_cmp_ne_u16_sdwa s5, v30, v9 src0_sel:BYTE_0 src1_sel:DWORD
	s_and_saveexec_b32 s21, s5
	s_cbranch_execz .LBB325_467
; %bb.460:                              ;   in Loop: Header=BB325_11 Depth=1
	v_cmp_ne_u16_sdwa s5, v30, v51 src0_sel:BYTE_0 src1_sel:DWORD
	v_mov_b32_e32 v113, 0x8000
	s_and_saveexec_b32 s22, s5
	s_cbranch_execz .LBB325_466
; %bb.461:                              ;   in Loop: Header=BB325_11 Depth=1
	v_and_b32_e32 v2, 0x7f, v30
	v_mov_b32_e32 v113, 0x7c01
	s_mov_b32 s23, exec_lo
	v_cmpx_ne_u32_e32 0x7f, v2
	s_cbranch_execz .LBB325_465
; %bb.462:                              ;   in Loop: Header=BB325_11 Depth=1
	v_and_b32_e32 v0, 7, v30
	v_lshrrev_b32_e32 v1, 3, v2
	s_mov_b32 s24, exec_lo
	v_cmpx_gt_u32_e32 8, v2
; %bb.463:                              ;   in Loop: Header=BB325_11 Depth=1
	v_ffbh_u32_e32 v0, v0
	v_min_u32_e32 v2, 32, v0
	v_subrev_nc_u32_e32 v0, 28, v2
	v_lshlrev_b64 v[0:1], v0, v[30:31]
	v_sub_nc_u32_e32 v1, 29, v2
	v_and_b32_e32 v0, 7, v0
; %bb.464:                              ;   in Loop: Header=BB325_11 Depth=1
	s_or_b32 exec_lo, exec_lo, s24
	v_lshlrev_b32_e32 v2, 8, v30
	v_lshl_add_u32 v1, v1, 10, 0x2000
	v_lshlrev_b32_e32 v0, 7, v0
	v_and_b32_e32 v2, 0x8000, v2
	v_and_b32_e32 v1, 0xfc00, v1
	v_or3_b32 v113, v2, v1, v0
.LBB325_465:                            ;   in Loop: Header=BB325_11 Depth=1
	s_or_b32 exec_lo, exec_lo, s23
.LBB325_466:                            ;   in Loop: Header=BB325_11 Depth=1
	s_or_b32 exec_lo, exec_lo, s22
.LBB325_467:                            ;   in Loop: Header=BB325_11 Depth=1
	s_or_b32 exec_lo, exec_lo, s21
	v_lshrrev_b16 v8, 8, v30
	v_mov_b32_e32 v20, 0
	v_mov_b32_e32 v108, 0
	s_mov_b32 s21, exec_lo
	v_cmpx_ne_u16_e32 0, v8
	s_cbranch_execz .LBB325_475
; %bb.468:                              ;   in Loop: Header=BB325_11 Depth=1
	v_bfrev_b32_e32 v108, 1
	s_mov_b32 s22, exec_lo
	v_cmpx_ne_u16_e32 0x80, v8
	s_cbranch_execz .LBB325_474
; %bb.469:                              ;   in Loop: Header=BB325_11 Depth=1
	v_mov_b32_e32 v0, 0x7f
	v_mov_b32_e32 v108, 0x7c010000
	s_mov_b32 s23, exec_lo
	v_and_b32_sdwa v2, v8, v0 dst_sel:DWORD dst_unused:UNUSED_PAD src0_sel:WORD_0 src1_sel:DWORD
	v_cmpx_ne_u32_e32 0x7f, v2
	s_cbranch_execz .LBB325_473
; %bb.470:                              ;   in Loop: Header=BB325_11 Depth=1
	v_mov_b32_e32 v0, 7
	v_lshrrev_b32_e32 v1, 3, v2
	s_mov_b32 s24, exec_lo
	v_and_b32_sdwa v0, v8, v0 dst_sel:DWORD dst_unused:UNUSED_PAD src0_sel:WORD_0 src1_sel:DWORD
	v_cmpx_gt_u32_e32 8, v2
; %bb.471:                              ;   in Loop: Header=BB325_11 Depth=1
	v_ffbh_u32_e32 v0, v0
	v_min_u32_e32 v2, 32, v0
	v_subrev_nc_u32_e32 v0, 28, v2
	v_lshlrev_b64 v[0:1], v0, v[8:9]
	v_sub_nc_u32_e32 v1, 29, v2
	v_and_b32_e32 v0, 7, v0
; %bb.472:                              ;   in Loop: Header=BB325_11 Depth=1
	s_or_b32 exec_lo, exec_lo, s24
	v_mov_b32_e32 v2, 8
	v_lshl_add_u32 v1, v1, 10, 0x2000
	v_lshlrev_b32_e32 v0, 23, v0
	v_lshlrev_b32_sdwa v2, v2, v8 dst_sel:DWORD dst_unused:UNUSED_PAD src0_sel:DWORD src1_sel:WORD_0
	v_and_or_b32 v1, 0x8000, v2, v1
	v_lshl_or_b32 v108, v1, 16, v0
.LBB325_473:                            ;   in Loop: Header=BB325_11 Depth=1
	s_or_b32 exec_lo, exec_lo, s23
.LBB325_474:                            ;   in Loop: Header=BB325_11 Depth=1
	s_or_b32 exec_lo, exec_lo, s22
.LBB325_475:                            ;   in Loop: Header=BB325_11 Depth=1
	s_or_b32 exec_lo, exec_lo, s21
	v_lshrrev_b32_e32 v8, 16, v30
	v_cmp_ne_u16_sdwa s5, v8, v9 src0_sel:BYTE_0 src1_sel:DWORD
	s_and_saveexec_b32 s21, s5
	s_cbranch_execz .LBB325_483
; %bb.476:                              ;   in Loop: Header=BB325_11 Depth=1
	v_cmp_ne_u16_sdwa s5, v8, v51 src0_sel:BYTE_0 src1_sel:DWORD
	v_mov_b32_e32 v20, 0x8000
	s_and_saveexec_b32 s22, s5
	s_cbranch_execz .LBB325_482
; %bb.477:                              ;   in Loop: Header=BB325_11 Depth=1
	v_bfe_u32 v2, v30, 16, 7
	v_mov_b32_e32 v20, 0x7c01
	s_mov_b32 s23, exec_lo
	v_cmpx_ne_u32_e32 0x7f, v2
	s_cbranch_execz .LBB325_481
; %bb.478:                              ;   in Loop: Header=BB325_11 Depth=1
	v_and_b32_e32 v0, 7, v8
	v_lshrrev_b32_e32 v1, 3, v2
	s_mov_b32 s24, exec_lo
	v_cmpx_gt_u32_e32 8, v2
; %bb.479:                              ;   in Loop: Header=BB325_11 Depth=1
	v_ffbh_u32_e32 v0, v0
	v_min_u32_e32 v2, 32, v0
	v_subrev_nc_u32_e32 v0, 28, v2
	v_lshlrev_b64 v[0:1], v0, v[8:9]
	v_sub_nc_u32_e32 v1, 29, v2
	v_and_b32_e32 v0, 7, v0
; %bb.480:                              ;   in Loop: Header=BB325_11 Depth=1
	s_or_b32 exec_lo, exec_lo, s24
	v_lshlrev_b32_e32 v2, 8, v8
	v_lshl_add_u32 v1, v1, 10, 0x2000
	v_lshlrev_b32_e32 v0, 7, v0
	v_and_b32_e32 v2, 0x8000, v2
	v_and_b32_e32 v1, 0xfc00, v1
	v_or3_b32 v20, v2, v1, v0
.LBB325_481:                            ;   in Loop: Header=BB325_11 Depth=1
	s_or_b32 exec_lo, exec_lo, s23
.LBB325_482:                            ;   in Loop: Header=BB325_11 Depth=1
	s_or_b32 exec_lo, exec_lo, s22
.LBB325_483:                            ;   in Loop: Header=BB325_11 Depth=1
	s_or_b32 exec_lo, exec_lo, s21
	v_mov_b32_e32 v21, 0
	v_mov_b32_e32 v111, 0
	s_mov_b32 s21, exec_lo
	v_cmpx_lt_u32_e32 0xffffff, v30
	s_cbranch_execz .LBB325_491
; %bb.484:                              ;   in Loop: Header=BB325_11 Depth=1
	v_lshrrev_b32_e32 v8, 24, v30
	v_bfrev_b32_e32 v111, 1
	s_mov_b32 s22, exec_lo
	v_cmpx_ne_u32_e32 0x80, v8
	s_cbranch_execz .LBB325_490
; %bb.485:                              ;   in Loop: Header=BB325_11 Depth=1
	v_and_b32_e32 v2, 0x7f, v8
	v_mov_b32_e32 v111, 0x7c010000
	s_mov_b32 s23, exec_lo
	v_cmpx_ne_u32_e32 0x7f, v2
	s_cbranch_execz .LBB325_489
; %bb.486:                              ;   in Loop: Header=BB325_11 Depth=1
	v_and_b32_e32 v0, 7, v8
	v_lshrrev_b32_e32 v1, 3, v2
	s_mov_b32 s24, exec_lo
	v_cmpx_gt_u32_e32 8, v2
; %bb.487:                              ;   in Loop: Header=BB325_11 Depth=1
	v_ffbh_u32_e32 v0, v0
	v_min_u32_e32 v2, 32, v0
	v_subrev_nc_u32_e32 v0, 28, v2
	v_lshlrev_b64 v[0:1], v0, v[8:9]
	v_sub_nc_u32_e32 v1, 29, v2
	v_and_b32_e32 v0, 7, v0
; %bb.488:                              ;   in Loop: Header=BB325_11 Depth=1
	s_or_b32 exec_lo, exec_lo, s24
	v_lshlrev_b32_e32 v2, 8, v8
	v_lshl_add_u32 v1, v1, 10, 0x2000
	v_lshlrev_b32_e32 v0, 23, v0
	v_and_or_b32 v1, 0x8000, v2, v1
	v_lshl_or_b32 v111, v1, 16, v0
.LBB325_489:                            ;   in Loop: Header=BB325_11 Depth=1
	s_or_b32 exec_lo, exec_lo, s23
.LBB325_490:                            ;   in Loop: Header=BB325_11 Depth=1
	s_or_b32 exec_lo, exec_lo, s22
.LBB325_491:                            ;   in Loop: Header=BB325_11 Depth=1
	s_or_b32 exec_lo, exec_lo, s21
	v_mov_b32_e32 v8, v31
	v_cmp_ne_u16_sdwa s5, v31, v9 src0_sel:BYTE_0 src1_sel:DWORD
	s_and_saveexec_b32 s21, s5
	s_cbranch_execz .LBB325_499
; %bb.492:                              ;   in Loop: Header=BB325_11 Depth=1
	v_cmp_ne_u16_sdwa s5, v31, v51 src0_sel:BYTE_0 src1_sel:DWORD
	v_mov_b32_e32 v21, 0x8000
	s_and_saveexec_b32 s22, s5
	s_cbranch_execz .LBB325_498
; %bb.493:                              ;   in Loop: Header=BB325_11 Depth=1
	v_and_b32_e32 v2, 0x7f, v31
	v_mov_b32_e32 v21, 0x7c01
	s_mov_b32 s23, exec_lo
	v_cmpx_ne_u32_e32 0x7f, v2
	s_cbranch_execz .LBB325_497
; %bb.494:                              ;   in Loop: Header=BB325_11 Depth=1
	v_and_b32_e32 v0, 7, v31
	v_lshrrev_b32_e32 v1, 3, v2
	s_mov_b32 s24, exec_lo
	v_cmpx_gt_u32_e32 8, v2
; %bb.495:                              ;   in Loop: Header=BB325_11 Depth=1
	v_ffbh_u32_e32 v0, v0
	v_min_u32_e32 v2, 32, v0
	v_subrev_nc_u32_e32 v0, 28, v2
	v_lshlrev_b64 v[0:1], v0, v[8:9]
	v_sub_nc_u32_e32 v1, 29, v2
	v_and_b32_e32 v0, 7, v0
; %bb.496:                              ;   in Loop: Header=BB325_11 Depth=1
	s_or_b32 exec_lo, exec_lo, s24
	v_lshlrev_b32_e32 v2, 8, v31
	v_lshl_add_u32 v1, v1, 10, 0x2000
	v_lshlrev_b32_e32 v0, 7, v0
	v_and_b32_e32 v2, 0x8000, v2
	v_and_b32_e32 v1, 0xfc00, v1
	v_or3_b32 v21, v2, v1, v0
.LBB325_497:                            ;   in Loop: Header=BB325_11 Depth=1
	s_or_b32 exec_lo, exec_lo, s23
.LBB325_498:                            ;   in Loop: Header=BB325_11 Depth=1
	s_or_b32 exec_lo, exec_lo, s22
.LBB325_499:                            ;   in Loop: Header=BB325_11 Depth=1
	s_or_b32 exec_lo, exec_lo, s21
	v_lshrrev_b16 v8, 8, v8
	v_mov_b32_e32 v120, 0
	v_mov_b32_e32 v122, 0
	s_mov_b32 s21, exec_lo
	v_cmpx_ne_u16_e32 0, v8
	s_cbranch_execz .LBB325_507
; %bb.500:                              ;   in Loop: Header=BB325_11 Depth=1
	v_bfrev_b32_e32 v122, 1
	s_mov_b32 s22, exec_lo
	v_cmpx_ne_u16_e32 0x80, v8
	s_cbranch_execz .LBB325_506
; %bb.501:                              ;   in Loop: Header=BB325_11 Depth=1
	v_mov_b32_e32 v0, 0x7f
	v_mov_b32_e32 v122, 0x7c010000
	s_mov_b32 s23, exec_lo
	v_and_b32_sdwa v2, v8, v0 dst_sel:DWORD dst_unused:UNUSED_PAD src0_sel:WORD_0 src1_sel:DWORD
	v_cmpx_ne_u32_e32 0x7f, v2
	s_cbranch_execz .LBB325_505
; %bb.502:                              ;   in Loop: Header=BB325_11 Depth=1
	v_mov_b32_e32 v0, 7
	v_lshrrev_b32_e32 v1, 3, v2
	s_mov_b32 s24, exec_lo
	v_and_b32_sdwa v0, v8, v0 dst_sel:DWORD dst_unused:UNUSED_PAD src0_sel:WORD_0 src1_sel:DWORD
	v_cmpx_gt_u32_e32 8, v2
; %bb.503:                              ;   in Loop: Header=BB325_11 Depth=1
	v_ffbh_u32_e32 v0, v0
	v_min_u32_e32 v2, 32, v0
	v_subrev_nc_u32_e32 v0, 28, v2
	v_lshlrev_b64 v[0:1], v0, v[8:9]
	v_sub_nc_u32_e32 v1, 29, v2
	v_and_b32_e32 v0, 7, v0
; %bb.504:                              ;   in Loop: Header=BB325_11 Depth=1
	s_or_b32 exec_lo, exec_lo, s24
	v_mov_b32_e32 v2, 8
	v_lshl_add_u32 v1, v1, 10, 0x2000
	v_lshlrev_b32_e32 v0, 23, v0
	v_lshlrev_b32_sdwa v2, v2, v8 dst_sel:DWORD dst_unused:UNUSED_PAD src0_sel:DWORD src1_sel:WORD_0
	v_and_or_b32 v1, 0x8000, v2, v1
	v_lshl_or_b32 v122, v1, 16, v0
.LBB325_505:                            ;   in Loop: Header=BB325_11 Depth=1
	s_or_b32 exec_lo, exec_lo, s23
.LBB325_506:                            ;   in Loop: Header=BB325_11 Depth=1
	s_or_b32 exec_lo, exec_lo, s22
.LBB325_507:                            ;   in Loop: Header=BB325_11 Depth=1
	s_or_b32 exec_lo, exec_lo, s21
	v_lshrrev_b32_e32 v8, 16, v31
	v_cmp_ne_u16_sdwa s5, v8, v9 src0_sel:BYTE_0 src1_sel:DWORD
	s_and_saveexec_b32 s21, s5
	s_cbranch_execz .LBB325_515
; %bb.508:                              ;   in Loop: Header=BB325_11 Depth=1
	v_cmp_ne_u16_sdwa s5, v8, v51 src0_sel:BYTE_0 src1_sel:DWORD
	v_mov_b32_e32 v120, 0x8000
	s_and_saveexec_b32 s22, s5
	s_cbranch_execz .LBB325_514
; %bb.509:                              ;   in Loop: Header=BB325_11 Depth=1
	v_bfe_u32 v2, v31, 16, 7
	v_mov_b32_e32 v120, 0x7c01
	s_mov_b32 s23, exec_lo
	v_cmpx_ne_u32_e32 0x7f, v2
	s_cbranch_execz .LBB325_513
; %bb.510:                              ;   in Loop: Header=BB325_11 Depth=1
	v_and_b32_e32 v0, 7, v8
	v_lshrrev_b32_e32 v1, 3, v2
	s_mov_b32 s24, exec_lo
	v_cmpx_gt_u32_e32 8, v2
; %bb.511:                              ;   in Loop: Header=BB325_11 Depth=1
	v_ffbh_u32_e32 v0, v0
	v_min_u32_e32 v2, 32, v0
	v_subrev_nc_u32_e32 v0, 28, v2
	v_lshlrev_b64 v[0:1], v0, v[8:9]
	v_sub_nc_u32_e32 v1, 29, v2
	v_and_b32_e32 v0, 7, v0
; %bb.512:                              ;   in Loop: Header=BB325_11 Depth=1
	s_or_b32 exec_lo, exec_lo, s24
	v_lshlrev_b32_e32 v2, 8, v8
	v_lshl_add_u32 v1, v1, 10, 0x2000
	v_lshlrev_b32_e32 v0, 7, v0
	v_and_b32_e32 v2, 0x8000, v2
	v_and_b32_e32 v1, 0xfc00, v1
	v_or3_b32 v120, v2, v1, v0
.LBB325_513:                            ;   in Loop: Header=BB325_11 Depth=1
	s_or_b32 exec_lo, exec_lo, s23
.LBB325_514:                            ;   in Loop: Header=BB325_11 Depth=1
	s_or_b32 exec_lo, exec_lo, s22
.LBB325_515:                            ;   in Loop: Header=BB325_11 Depth=1
	s_or_b32 exec_lo, exec_lo, s21
	v_mov_b32_e32 v33, 0
	v_mov_b32_e32 v38, 0
	s_mov_b32 s21, exec_lo
	v_cmpx_lt_u64_e64 s[6:7], v[30:31]
	s_cbranch_execz .LBB325_523
; %bb.516:                              ;   in Loop: Header=BB325_11 Depth=1
	v_lshrrev_b32_e32 v8, 24, v31
	v_bfrev_b32_e32 v38, 1
	s_mov_b32 s22, exec_lo
	v_cmpx_ne_u32_e32 0x80, v8
	s_cbranch_execz .LBB325_522
; %bb.517:                              ;   in Loop: Header=BB325_11 Depth=1
	v_and_b32_e32 v2, 0x7f, v8
	v_mov_b32_e32 v38, 0x7c010000
	s_mov_b32 s23, exec_lo
	v_cmpx_ne_u32_e32 0x7f, v2
	s_cbranch_execz .LBB325_521
; %bb.518:                              ;   in Loop: Header=BB325_11 Depth=1
	v_and_b32_e32 v0, 7, v8
	v_lshrrev_b32_e32 v1, 3, v2
	s_mov_b32 s24, exec_lo
	v_cmpx_gt_u32_e32 8, v2
; %bb.519:                              ;   in Loop: Header=BB325_11 Depth=1
	v_ffbh_u32_e32 v0, v0
	v_min_u32_e32 v2, 32, v0
	v_subrev_nc_u32_e32 v0, 28, v2
	v_lshlrev_b64 v[0:1], v0, v[8:9]
	v_sub_nc_u32_e32 v1, 29, v2
	v_and_b32_e32 v0, 7, v0
; %bb.520:                              ;   in Loop: Header=BB325_11 Depth=1
	s_or_b32 exec_lo, exec_lo, s24
	v_lshlrev_b32_e32 v2, 8, v8
	v_lshl_add_u32 v1, v1, 10, 0x2000
	v_lshlrev_b32_e32 v0, 23, v0
	v_and_or_b32 v1, 0x8000, v2, v1
	v_lshl_or_b32 v38, v1, 16, v0
.LBB325_521:                            ;   in Loop: Header=BB325_11 Depth=1
	s_or_b32 exec_lo, exec_lo, s23
.LBB325_522:                            ;   in Loop: Header=BB325_11 Depth=1
	s_or_b32 exec_lo, exec_lo, s22
.LBB325_523:                            ;   in Loop: Header=BB325_11 Depth=1
	s_or_b32 exec_lo, exec_lo, s21
	v_add_co_u32 v28, s5, 0x800, v28
	v_add_co_ci_u32_e64 v29, null, 0, v29, s5
	flat_load_dwordx2 v[30:31], v[28:29]
	s_waitcnt vmcnt(0) lgkmcnt(0)
	v_cmp_ne_u16_sdwa s5, v30, v9 src0_sel:BYTE_0 src1_sel:DWORD
	s_and_saveexec_b32 s21, s5
	s_cbranch_execz .LBB325_531
; %bb.524:                              ;   in Loop: Header=BB325_11 Depth=1
	v_cmp_ne_u16_sdwa s5, v30, v51 src0_sel:BYTE_0 src1_sel:DWORD
	v_mov_b32_e32 v33, 0x8000
	s_and_saveexec_b32 s22, s5
	s_cbranch_execz .LBB325_530
; %bb.525:                              ;   in Loop: Header=BB325_11 Depth=1
	v_and_b32_e32 v2, 0x7f, v30
	v_mov_b32_e32 v33, 0x7c01
	s_mov_b32 s23, exec_lo
	v_cmpx_ne_u32_e32 0x7f, v2
	s_cbranch_execz .LBB325_529
; %bb.526:                              ;   in Loop: Header=BB325_11 Depth=1
	v_and_b32_e32 v0, 7, v30
	v_lshrrev_b32_e32 v1, 3, v2
	s_mov_b32 s24, exec_lo
	v_cmpx_gt_u32_e32 8, v2
; %bb.527:                              ;   in Loop: Header=BB325_11 Depth=1
	v_ffbh_u32_e32 v0, v0
	v_min_u32_e32 v2, 32, v0
	v_subrev_nc_u32_e32 v0, 28, v2
	v_lshlrev_b64 v[0:1], v0, v[30:31]
	v_sub_nc_u32_e32 v1, 29, v2
	v_and_b32_e32 v0, 7, v0
; %bb.528:                              ;   in Loop: Header=BB325_11 Depth=1
	s_or_b32 exec_lo, exec_lo, s24
	v_lshlrev_b32_e32 v2, 8, v30
	v_lshl_add_u32 v1, v1, 10, 0x2000
	v_lshlrev_b32_e32 v0, 7, v0
	v_and_b32_e32 v2, 0x8000, v2
	v_and_b32_e32 v1, 0xfc00, v1
	v_or3_b32 v33, v2, v1, v0
.LBB325_529:                            ;   in Loop: Header=BB325_11 Depth=1
	s_or_b32 exec_lo, exec_lo, s23
.LBB325_530:                            ;   in Loop: Header=BB325_11 Depth=1
	s_or_b32 exec_lo, exec_lo, s22
.LBB325_531:                            ;   in Loop: Header=BB325_11 Depth=1
	s_or_b32 exec_lo, exec_lo, s21
	v_lshrrev_b16 v8, 8, v30
	v_mov_b32_e32 v11, 0
	v_mov_b32_e32 v12, 0
	s_mov_b32 s21, exec_lo
	v_cmpx_ne_u16_e32 0, v8
	s_cbranch_execz .LBB325_539
; %bb.532:                              ;   in Loop: Header=BB325_11 Depth=1
	v_bfrev_b32_e32 v12, 1
	s_mov_b32 s22, exec_lo
	v_cmpx_ne_u16_e32 0x80, v8
	s_cbranch_execz .LBB325_538
; %bb.533:                              ;   in Loop: Header=BB325_11 Depth=1
	v_mov_b32_e32 v0, 0x7f
	v_mov_b32_e32 v12, 0x7c010000
	s_mov_b32 s23, exec_lo
	v_and_b32_sdwa v2, v8, v0 dst_sel:DWORD dst_unused:UNUSED_PAD src0_sel:WORD_0 src1_sel:DWORD
	v_cmpx_ne_u32_e32 0x7f, v2
	s_cbranch_execz .LBB325_537
; %bb.534:                              ;   in Loop: Header=BB325_11 Depth=1
	v_mov_b32_e32 v0, 7
	v_lshrrev_b32_e32 v1, 3, v2
	s_mov_b32 s24, exec_lo
	v_and_b32_sdwa v0, v8, v0 dst_sel:DWORD dst_unused:UNUSED_PAD src0_sel:WORD_0 src1_sel:DWORD
	v_cmpx_gt_u32_e32 8, v2
; %bb.535:                              ;   in Loop: Header=BB325_11 Depth=1
	v_ffbh_u32_e32 v0, v0
	v_min_u32_e32 v2, 32, v0
	v_subrev_nc_u32_e32 v0, 28, v2
	v_lshlrev_b64 v[0:1], v0, v[8:9]
	v_sub_nc_u32_e32 v1, 29, v2
	v_and_b32_e32 v0, 7, v0
; %bb.536:                              ;   in Loop: Header=BB325_11 Depth=1
	s_or_b32 exec_lo, exec_lo, s24
	v_mov_b32_e32 v2, 8
	v_lshl_add_u32 v1, v1, 10, 0x2000
	v_lshlrev_b32_e32 v0, 23, v0
	v_lshlrev_b32_sdwa v2, v2, v8 dst_sel:DWORD dst_unused:UNUSED_PAD src0_sel:DWORD src1_sel:WORD_0
	v_and_or_b32 v1, 0x8000, v2, v1
	v_lshl_or_b32 v12, v1, 16, v0
.LBB325_537:                            ;   in Loop: Header=BB325_11 Depth=1
	s_or_b32 exec_lo, exec_lo, s23
.LBB325_538:                            ;   in Loop: Header=BB325_11 Depth=1
	s_or_b32 exec_lo, exec_lo, s22
.LBB325_539:                            ;   in Loop: Header=BB325_11 Depth=1
	s_or_b32 exec_lo, exec_lo, s21
	v_lshrrev_b32_e32 v8, 16, v30
	v_cmp_ne_u16_sdwa s5, v8, v9 src0_sel:BYTE_0 src1_sel:DWORD
	s_and_saveexec_b32 s21, s5
	s_cbranch_execz .LBB325_547
; %bb.540:                              ;   in Loop: Header=BB325_11 Depth=1
	v_cmp_ne_u16_sdwa s5, v8, v51 src0_sel:BYTE_0 src1_sel:DWORD
	v_mov_b32_e32 v11, 0x8000
	s_and_saveexec_b32 s22, s5
	s_cbranch_execz .LBB325_546
; %bb.541:                              ;   in Loop: Header=BB325_11 Depth=1
	v_bfe_u32 v2, v30, 16, 7
	v_mov_b32_e32 v11, 0x7c01
	s_mov_b32 s23, exec_lo
	v_cmpx_ne_u32_e32 0x7f, v2
	s_cbranch_execz .LBB325_545
; %bb.542:                              ;   in Loop: Header=BB325_11 Depth=1
	v_and_b32_e32 v0, 7, v8
	v_lshrrev_b32_e32 v1, 3, v2
	s_mov_b32 s24, exec_lo
	v_cmpx_gt_u32_e32 8, v2
; %bb.543:                              ;   in Loop: Header=BB325_11 Depth=1
	v_ffbh_u32_e32 v0, v0
	v_min_u32_e32 v2, 32, v0
	v_subrev_nc_u32_e32 v0, 28, v2
	v_lshlrev_b64 v[0:1], v0, v[8:9]
	v_sub_nc_u32_e32 v1, 29, v2
	v_and_b32_e32 v0, 7, v0
; %bb.544:                              ;   in Loop: Header=BB325_11 Depth=1
	s_or_b32 exec_lo, exec_lo, s24
	v_lshlrev_b32_e32 v2, 8, v8
	v_lshl_add_u32 v1, v1, 10, 0x2000
	v_lshlrev_b32_e32 v0, 7, v0
	v_and_b32_e32 v2, 0x8000, v2
	v_and_b32_e32 v1, 0xfc00, v1
	v_or3_b32 v11, v2, v1, v0
.LBB325_545:                            ;   in Loop: Header=BB325_11 Depth=1
	s_or_b32 exec_lo, exec_lo, s23
.LBB325_546:                            ;   in Loop: Header=BB325_11 Depth=1
	s_or_b32 exec_lo, exec_lo, s22
.LBB325_547:                            ;   in Loop: Header=BB325_11 Depth=1
	s_or_b32 exec_lo, exec_lo, s21
	v_mov_b32_e32 v15, 0
	v_mov_b32_e32 v36, 0
	s_mov_b32 s21, exec_lo
	v_cmpx_lt_u32_e32 0xffffff, v30
	s_cbranch_execz .LBB325_555
; %bb.548:                              ;   in Loop: Header=BB325_11 Depth=1
	v_lshrrev_b32_e32 v8, 24, v30
	v_bfrev_b32_e32 v36, 1
	s_mov_b32 s22, exec_lo
	v_cmpx_ne_u32_e32 0x80, v8
	s_cbranch_execz .LBB325_554
; %bb.549:                              ;   in Loop: Header=BB325_11 Depth=1
	v_and_b32_e32 v2, 0x7f, v8
	v_mov_b32_e32 v36, 0x7c010000
	s_mov_b32 s23, exec_lo
	v_cmpx_ne_u32_e32 0x7f, v2
	s_cbranch_execz .LBB325_553
; %bb.550:                              ;   in Loop: Header=BB325_11 Depth=1
	v_and_b32_e32 v0, 7, v8
	v_lshrrev_b32_e32 v1, 3, v2
	s_mov_b32 s24, exec_lo
	v_cmpx_gt_u32_e32 8, v2
; %bb.551:                              ;   in Loop: Header=BB325_11 Depth=1
	v_ffbh_u32_e32 v0, v0
	v_min_u32_e32 v2, 32, v0
	v_subrev_nc_u32_e32 v0, 28, v2
	v_lshlrev_b64 v[0:1], v0, v[8:9]
	v_sub_nc_u32_e32 v1, 29, v2
	v_and_b32_e32 v0, 7, v0
; %bb.552:                              ;   in Loop: Header=BB325_11 Depth=1
	s_or_b32 exec_lo, exec_lo, s24
	v_lshlrev_b32_e32 v2, 8, v8
	v_lshl_add_u32 v1, v1, 10, 0x2000
	v_lshlrev_b32_e32 v0, 23, v0
	v_and_or_b32 v1, 0x8000, v2, v1
	v_lshl_or_b32 v36, v1, 16, v0
.LBB325_553:                            ;   in Loop: Header=BB325_11 Depth=1
	s_or_b32 exec_lo, exec_lo, s23
.LBB325_554:                            ;   in Loop: Header=BB325_11 Depth=1
	s_or_b32 exec_lo, exec_lo, s22
.LBB325_555:                            ;   in Loop: Header=BB325_11 Depth=1
	s_or_b32 exec_lo, exec_lo, s21
	v_mov_b32_e32 v8, v31
	v_cmp_ne_u16_sdwa s5, v31, v9 src0_sel:BYTE_0 src1_sel:DWORD
	s_and_saveexec_b32 s21, s5
	s_cbranch_execz .LBB325_563
; %bb.556:                              ;   in Loop: Header=BB325_11 Depth=1
	v_cmp_ne_u16_sdwa s5, v31, v51 src0_sel:BYTE_0 src1_sel:DWORD
	v_mov_b32_e32 v15, 0x8000
	s_and_saveexec_b32 s22, s5
	s_cbranch_execz .LBB325_562
; %bb.557:                              ;   in Loop: Header=BB325_11 Depth=1
	v_and_b32_e32 v2, 0x7f, v31
	v_mov_b32_e32 v15, 0x7c01
	s_mov_b32 s23, exec_lo
	v_cmpx_ne_u32_e32 0x7f, v2
	s_cbranch_execz .LBB325_561
; %bb.558:                              ;   in Loop: Header=BB325_11 Depth=1
	v_and_b32_e32 v0, 7, v31
	v_lshrrev_b32_e32 v1, 3, v2
	s_mov_b32 s24, exec_lo
	v_cmpx_gt_u32_e32 8, v2
; %bb.559:                              ;   in Loop: Header=BB325_11 Depth=1
	v_ffbh_u32_e32 v0, v0
	v_min_u32_e32 v2, 32, v0
	v_subrev_nc_u32_e32 v0, 28, v2
	v_lshlrev_b64 v[0:1], v0, v[8:9]
	v_sub_nc_u32_e32 v1, 29, v2
	v_and_b32_e32 v0, 7, v0
; %bb.560:                              ;   in Loop: Header=BB325_11 Depth=1
	s_or_b32 exec_lo, exec_lo, s24
	v_lshlrev_b32_e32 v2, 8, v31
	v_lshl_add_u32 v1, v1, 10, 0x2000
	v_lshlrev_b32_e32 v0, 7, v0
	v_and_b32_e32 v2, 0x8000, v2
	v_and_b32_e32 v1, 0xfc00, v1
	v_or3_b32 v15, v2, v1, v0
.LBB325_561:                            ;   in Loop: Header=BB325_11 Depth=1
	s_or_b32 exec_lo, exec_lo, s23
.LBB325_562:                            ;   in Loop: Header=BB325_11 Depth=1
	s_or_b32 exec_lo, exec_lo, s22
.LBB325_563:                            ;   in Loop: Header=BB325_11 Depth=1
	s_or_b32 exec_lo, exec_lo, s21
	v_lshrrev_b16 v8, 8, v8
	v_mov_b32_e32 v32, 0
	v_mov_b32_e32 v18, 0
	s_mov_b32 s21, exec_lo
	v_cmpx_ne_u16_e32 0, v8
	s_cbranch_execz .LBB325_571
; %bb.564:                              ;   in Loop: Header=BB325_11 Depth=1
	v_bfrev_b32_e32 v18, 1
	s_mov_b32 s22, exec_lo
	v_cmpx_ne_u16_e32 0x80, v8
	s_cbranch_execz .LBB325_570
; %bb.565:                              ;   in Loop: Header=BB325_11 Depth=1
	v_mov_b32_e32 v0, 0x7f
	v_mov_b32_e32 v18, 0x7c010000
	s_mov_b32 s23, exec_lo
	v_and_b32_sdwa v2, v8, v0 dst_sel:DWORD dst_unused:UNUSED_PAD src0_sel:WORD_0 src1_sel:DWORD
	v_cmpx_ne_u32_e32 0x7f, v2
	s_cbranch_execz .LBB325_569
; %bb.566:                              ;   in Loop: Header=BB325_11 Depth=1
	v_mov_b32_e32 v0, 7
	v_lshrrev_b32_e32 v1, 3, v2
	s_mov_b32 s24, exec_lo
	v_and_b32_sdwa v0, v8, v0 dst_sel:DWORD dst_unused:UNUSED_PAD src0_sel:WORD_0 src1_sel:DWORD
	v_cmpx_gt_u32_e32 8, v2
; %bb.567:                              ;   in Loop: Header=BB325_11 Depth=1
	v_ffbh_u32_e32 v0, v0
	v_min_u32_e32 v2, 32, v0
	v_subrev_nc_u32_e32 v0, 28, v2
	v_lshlrev_b64 v[0:1], v0, v[8:9]
	v_sub_nc_u32_e32 v1, 29, v2
	v_and_b32_e32 v0, 7, v0
; %bb.568:                              ;   in Loop: Header=BB325_11 Depth=1
	s_or_b32 exec_lo, exec_lo, s24
	v_mov_b32_e32 v2, 8
	v_lshl_add_u32 v1, v1, 10, 0x2000
	v_lshlrev_b32_e32 v0, 23, v0
	v_lshlrev_b32_sdwa v2, v2, v8 dst_sel:DWORD dst_unused:UNUSED_PAD src0_sel:DWORD src1_sel:WORD_0
	v_and_or_b32 v1, 0x8000, v2, v1
	v_lshl_or_b32 v18, v1, 16, v0
.LBB325_569:                            ;   in Loop: Header=BB325_11 Depth=1
	s_or_b32 exec_lo, exec_lo, s23
.LBB325_570:                            ;   in Loop: Header=BB325_11 Depth=1
	s_or_b32 exec_lo, exec_lo, s22
.LBB325_571:                            ;   in Loop: Header=BB325_11 Depth=1
	s_or_b32 exec_lo, exec_lo, s21
	v_lshrrev_b32_e32 v8, 16, v31
	v_cmp_ne_u16_sdwa s5, v8, v9 src0_sel:BYTE_0 src1_sel:DWORD
	s_and_saveexec_b32 s21, s5
	s_cbranch_execz .LBB325_579
; %bb.572:                              ;   in Loop: Header=BB325_11 Depth=1
	v_cmp_ne_u16_sdwa s5, v8, v51 src0_sel:BYTE_0 src1_sel:DWORD
	v_mov_b32_e32 v32, 0x8000
	s_and_saveexec_b32 s22, s5
	s_cbranch_execz .LBB325_578
; %bb.573:                              ;   in Loop: Header=BB325_11 Depth=1
	v_bfe_u32 v2, v31, 16, 7
	v_mov_b32_e32 v32, 0x7c01
	s_mov_b32 s23, exec_lo
	v_cmpx_ne_u32_e32 0x7f, v2
	s_cbranch_execz .LBB325_577
; %bb.574:                              ;   in Loop: Header=BB325_11 Depth=1
	v_and_b32_e32 v0, 7, v8
	v_lshrrev_b32_e32 v1, 3, v2
	s_mov_b32 s24, exec_lo
	v_cmpx_gt_u32_e32 8, v2
; %bb.575:                              ;   in Loop: Header=BB325_11 Depth=1
	v_ffbh_u32_e32 v0, v0
	v_min_u32_e32 v2, 32, v0
	v_subrev_nc_u32_e32 v0, 28, v2
	v_lshlrev_b64 v[0:1], v0, v[8:9]
	v_sub_nc_u32_e32 v1, 29, v2
	v_and_b32_e32 v0, 7, v0
; %bb.576:                              ;   in Loop: Header=BB325_11 Depth=1
	s_or_b32 exec_lo, exec_lo, s24
	v_lshlrev_b32_e32 v2, 8, v8
	v_lshl_add_u32 v1, v1, 10, 0x2000
	v_lshlrev_b32_e32 v0, 7, v0
	v_and_b32_e32 v2, 0x8000, v2
	v_and_b32_e32 v1, 0xfc00, v1
	v_or3_b32 v32, v2, v1, v0
.LBB325_577:                            ;   in Loop: Header=BB325_11 Depth=1
	s_or_b32 exec_lo, exec_lo, s23
.LBB325_578:                            ;   in Loop: Header=BB325_11 Depth=1
	s_or_b32 exec_lo, exec_lo, s22
.LBB325_579:                            ;   in Loop: Header=BB325_11 Depth=1
	s_or_b32 exec_lo, exec_lo, s21
	v_mov_b32_e32 v13, 0
	v_mov_b32_e32 v53, 0
	s_mov_b32 s21, exec_lo
	v_cmpx_lt_u64_e64 s[6:7], v[30:31]
	s_cbranch_execz .LBB325_587
; %bb.580:                              ;   in Loop: Header=BB325_11 Depth=1
	v_lshrrev_b32_e32 v8, 24, v31
	v_bfrev_b32_e32 v53, 1
	s_mov_b32 s22, exec_lo
	v_cmpx_ne_u32_e32 0x80, v8
	s_cbranch_execz .LBB325_586
; %bb.581:                              ;   in Loop: Header=BB325_11 Depth=1
	v_and_b32_e32 v2, 0x7f, v8
	v_mov_b32_e32 v53, 0x7c010000
	s_mov_b32 s23, exec_lo
	v_cmpx_ne_u32_e32 0x7f, v2
	s_cbranch_execz .LBB325_585
; %bb.582:                              ;   in Loop: Header=BB325_11 Depth=1
	v_and_b32_e32 v0, 7, v8
	v_lshrrev_b32_e32 v1, 3, v2
	s_mov_b32 s24, exec_lo
	v_cmpx_gt_u32_e32 8, v2
; %bb.583:                              ;   in Loop: Header=BB325_11 Depth=1
	v_ffbh_u32_e32 v0, v0
	v_min_u32_e32 v2, 32, v0
	v_subrev_nc_u32_e32 v0, 28, v2
	v_lshlrev_b64 v[0:1], v0, v[8:9]
	v_sub_nc_u32_e32 v1, 29, v2
	v_and_b32_e32 v0, 7, v0
; %bb.584:                              ;   in Loop: Header=BB325_11 Depth=1
	s_or_b32 exec_lo, exec_lo, s24
	v_lshlrev_b32_e32 v2, 8, v8
	v_lshl_add_u32 v1, v1, 10, 0x2000
	v_lshlrev_b32_e32 v0, 23, v0
	v_and_or_b32 v1, 0x8000, v2, v1
	v_lshl_or_b32 v53, v1, 16, v0
.LBB325_585:                            ;   in Loop: Header=BB325_11 Depth=1
	s_or_b32 exec_lo, exec_lo, s23
.LBB325_586:                            ;   in Loop: Header=BB325_11 Depth=1
	s_or_b32 exec_lo, exec_lo, s22
.LBB325_587:                            ;   in Loop: Header=BB325_11 Depth=1
	s_or_b32 exec_lo, exec_lo, s21
	flat_load_dwordx2 v[30:31], v[28:29] offset:8
	s_waitcnt vmcnt(0) lgkmcnt(0)
	v_cmp_ne_u16_sdwa s5, v30, v9 src0_sel:BYTE_0 src1_sel:DWORD
	s_and_saveexec_b32 s21, s5
	s_cbranch_execz .LBB325_595
; %bb.588:                              ;   in Loop: Header=BB325_11 Depth=1
	v_cmp_ne_u16_sdwa s5, v30, v51 src0_sel:BYTE_0 src1_sel:DWORD
	v_mov_b32_e32 v13, 0x8000
	s_and_saveexec_b32 s22, s5
	s_cbranch_execz .LBB325_594
; %bb.589:                              ;   in Loop: Header=BB325_11 Depth=1
	v_and_b32_e32 v2, 0x7f, v30
	v_mov_b32_e32 v13, 0x7c01
	s_mov_b32 s23, exec_lo
	v_cmpx_ne_u32_e32 0x7f, v2
	s_cbranch_execz .LBB325_593
; %bb.590:                              ;   in Loop: Header=BB325_11 Depth=1
	v_and_b32_e32 v0, 7, v30
	v_lshrrev_b32_e32 v1, 3, v2
	s_mov_b32 s24, exec_lo
	v_cmpx_gt_u32_e32 8, v2
; %bb.591:                              ;   in Loop: Header=BB325_11 Depth=1
	v_ffbh_u32_e32 v0, v0
	v_min_u32_e32 v2, 32, v0
	v_subrev_nc_u32_e32 v0, 28, v2
	v_lshlrev_b64 v[0:1], v0, v[30:31]
	v_sub_nc_u32_e32 v1, 29, v2
	v_and_b32_e32 v0, 7, v0
; %bb.592:                              ;   in Loop: Header=BB325_11 Depth=1
	s_or_b32 exec_lo, exec_lo, s24
	v_lshlrev_b32_e32 v2, 8, v30
	v_lshl_add_u32 v1, v1, 10, 0x2000
	v_lshlrev_b32_e32 v0, 7, v0
	v_and_b32_e32 v2, 0x8000, v2
	v_and_b32_e32 v1, 0xfc00, v1
	v_or3_b32 v13, v2, v1, v0
.LBB325_593:                            ;   in Loop: Header=BB325_11 Depth=1
	s_or_b32 exec_lo, exec_lo, s23
.LBB325_594:                            ;   in Loop: Header=BB325_11 Depth=1
	s_or_b32 exec_lo, exec_lo, s22
.LBB325_595:                            ;   in Loop: Header=BB325_11 Depth=1
	s_or_b32 exec_lo, exec_lo, s21
	v_lshrrev_b16 v8, 8, v30
	v_mov_b32_e32 v52, 0
	v_mov_b32_e32 v54, 0
	s_mov_b32 s21, exec_lo
	v_cmpx_ne_u16_e32 0, v8
	s_cbranch_execz .LBB325_603
; %bb.596:                              ;   in Loop: Header=BB325_11 Depth=1
	v_bfrev_b32_e32 v54, 1
	s_mov_b32 s22, exec_lo
	v_cmpx_ne_u16_e32 0x80, v8
	s_cbranch_execz .LBB325_602
; %bb.597:                              ;   in Loop: Header=BB325_11 Depth=1
	v_mov_b32_e32 v0, 0x7f
	v_mov_b32_e32 v54, 0x7c010000
	s_mov_b32 s23, exec_lo
	v_and_b32_sdwa v2, v8, v0 dst_sel:DWORD dst_unused:UNUSED_PAD src0_sel:WORD_0 src1_sel:DWORD
	v_cmpx_ne_u32_e32 0x7f, v2
	s_cbranch_execz .LBB325_601
; %bb.598:                              ;   in Loop: Header=BB325_11 Depth=1
	v_mov_b32_e32 v0, 7
	v_lshrrev_b32_e32 v1, 3, v2
	s_mov_b32 s24, exec_lo
	v_and_b32_sdwa v0, v8, v0 dst_sel:DWORD dst_unused:UNUSED_PAD src0_sel:WORD_0 src1_sel:DWORD
	v_cmpx_gt_u32_e32 8, v2
; %bb.599:                              ;   in Loop: Header=BB325_11 Depth=1
	v_ffbh_u32_e32 v0, v0
	v_min_u32_e32 v2, 32, v0
	v_subrev_nc_u32_e32 v0, 28, v2
	v_lshlrev_b64 v[0:1], v0, v[8:9]
	v_sub_nc_u32_e32 v1, 29, v2
	v_and_b32_e32 v0, 7, v0
; %bb.600:                              ;   in Loop: Header=BB325_11 Depth=1
	s_or_b32 exec_lo, exec_lo, s24
	v_mov_b32_e32 v2, 8
	v_lshl_add_u32 v1, v1, 10, 0x2000
	v_lshlrev_b32_e32 v0, 23, v0
	v_lshlrev_b32_sdwa v2, v2, v8 dst_sel:DWORD dst_unused:UNUSED_PAD src0_sel:DWORD src1_sel:WORD_0
	v_and_or_b32 v1, 0x8000, v2, v1
	v_lshl_or_b32 v54, v1, 16, v0
.LBB325_601:                            ;   in Loop: Header=BB325_11 Depth=1
	s_or_b32 exec_lo, exec_lo, s23
.LBB325_602:                            ;   in Loop: Header=BB325_11 Depth=1
	s_or_b32 exec_lo, exec_lo, s22
.LBB325_603:                            ;   in Loop: Header=BB325_11 Depth=1
	s_or_b32 exec_lo, exec_lo, s21
	v_lshrrev_b32_e32 v8, 16, v30
	v_cmp_ne_u16_sdwa s5, v8, v9 src0_sel:BYTE_0 src1_sel:DWORD
	s_and_saveexec_b32 s21, s5
	s_cbranch_execz .LBB325_611
; %bb.604:                              ;   in Loop: Header=BB325_11 Depth=1
	v_cmp_ne_u16_sdwa s5, v8, v51 src0_sel:BYTE_0 src1_sel:DWORD
	v_mov_b32_e32 v52, 0x8000
	s_and_saveexec_b32 s22, s5
	s_cbranch_execz .LBB325_610
; %bb.605:                              ;   in Loop: Header=BB325_11 Depth=1
	v_bfe_u32 v2, v30, 16, 7
	v_mov_b32_e32 v52, 0x7c01
	s_mov_b32 s23, exec_lo
	v_cmpx_ne_u32_e32 0x7f, v2
	s_cbranch_execz .LBB325_609
; %bb.606:                              ;   in Loop: Header=BB325_11 Depth=1
	v_and_b32_e32 v0, 7, v8
	v_lshrrev_b32_e32 v1, 3, v2
	s_mov_b32 s24, exec_lo
	v_cmpx_gt_u32_e32 8, v2
; %bb.607:                              ;   in Loop: Header=BB325_11 Depth=1
	v_ffbh_u32_e32 v0, v0
	v_min_u32_e32 v2, 32, v0
	v_subrev_nc_u32_e32 v0, 28, v2
	v_lshlrev_b64 v[0:1], v0, v[8:9]
	v_sub_nc_u32_e32 v1, 29, v2
	v_and_b32_e32 v0, 7, v0
; %bb.608:                              ;   in Loop: Header=BB325_11 Depth=1
	s_or_b32 exec_lo, exec_lo, s24
	v_lshlrev_b32_e32 v2, 8, v8
	v_lshl_add_u32 v1, v1, 10, 0x2000
	v_lshlrev_b32_e32 v0, 7, v0
	v_and_b32_e32 v2, 0x8000, v2
	v_and_b32_e32 v1, 0xfc00, v1
	v_or3_b32 v52, v2, v1, v0
.LBB325_609:                            ;   in Loop: Header=BB325_11 Depth=1
	s_or_b32 exec_lo, exec_lo, s23
.LBB325_610:                            ;   in Loop: Header=BB325_11 Depth=1
	s_or_b32 exec_lo, exec_lo, s22
.LBB325_611:                            ;   in Loop: Header=BB325_11 Depth=1
	s_or_b32 exec_lo, exec_lo, s21
	v_mov_b32_e32 v65, 0
	v_mov_b32_e32 v67, 0
	s_mov_b32 s21, exec_lo
	v_cmpx_lt_u32_e32 0xffffff, v30
	s_cbranch_execz .LBB325_619
; %bb.612:                              ;   in Loop: Header=BB325_11 Depth=1
	v_lshrrev_b32_e32 v8, 24, v30
	v_bfrev_b32_e32 v67, 1
	s_mov_b32 s22, exec_lo
	v_cmpx_ne_u32_e32 0x80, v8
	s_cbranch_execz .LBB325_618
; %bb.613:                              ;   in Loop: Header=BB325_11 Depth=1
	v_and_b32_e32 v2, 0x7f, v8
	v_mov_b32_e32 v67, 0x7c010000
	s_mov_b32 s23, exec_lo
	v_cmpx_ne_u32_e32 0x7f, v2
	s_cbranch_execz .LBB325_617
; %bb.614:                              ;   in Loop: Header=BB325_11 Depth=1
	v_and_b32_e32 v0, 7, v8
	v_lshrrev_b32_e32 v1, 3, v2
	s_mov_b32 s24, exec_lo
	v_cmpx_gt_u32_e32 8, v2
; %bb.615:                              ;   in Loop: Header=BB325_11 Depth=1
	v_ffbh_u32_e32 v0, v0
	v_min_u32_e32 v2, 32, v0
	v_subrev_nc_u32_e32 v0, 28, v2
	v_lshlrev_b64 v[0:1], v0, v[8:9]
	v_sub_nc_u32_e32 v1, 29, v2
	v_and_b32_e32 v0, 7, v0
; %bb.616:                              ;   in Loop: Header=BB325_11 Depth=1
	s_or_b32 exec_lo, exec_lo, s24
	v_lshlrev_b32_e32 v2, 8, v8
	v_lshl_add_u32 v1, v1, 10, 0x2000
	v_lshlrev_b32_e32 v0, 23, v0
	v_and_or_b32 v1, 0x8000, v2, v1
	v_lshl_or_b32 v67, v1, 16, v0
.LBB325_617:                            ;   in Loop: Header=BB325_11 Depth=1
	s_or_b32 exec_lo, exec_lo, s23
.LBB325_618:                            ;   in Loop: Header=BB325_11 Depth=1
	s_or_b32 exec_lo, exec_lo, s22
.LBB325_619:                            ;   in Loop: Header=BB325_11 Depth=1
	s_or_b32 exec_lo, exec_lo, s21
	v_mov_b32_e32 v8, v31
	v_cmp_ne_u16_sdwa s5, v31, v9 src0_sel:BYTE_0 src1_sel:DWORD
	s_and_saveexec_b32 s21, s5
	s_cbranch_execz .LBB325_627
; %bb.620:                              ;   in Loop: Header=BB325_11 Depth=1
	v_cmp_ne_u16_sdwa s5, v31, v51 src0_sel:BYTE_0 src1_sel:DWORD
	v_mov_b32_e32 v65, 0x8000
	s_and_saveexec_b32 s22, s5
	s_cbranch_execz .LBB325_626
; %bb.621:                              ;   in Loop: Header=BB325_11 Depth=1
	v_and_b32_e32 v2, 0x7f, v31
	v_mov_b32_e32 v65, 0x7c01
	s_mov_b32 s23, exec_lo
	v_cmpx_ne_u32_e32 0x7f, v2
	s_cbranch_execz .LBB325_625
; %bb.622:                              ;   in Loop: Header=BB325_11 Depth=1
	v_and_b32_e32 v0, 7, v31
	v_lshrrev_b32_e32 v1, 3, v2
	s_mov_b32 s24, exec_lo
	v_cmpx_gt_u32_e32 8, v2
; %bb.623:                              ;   in Loop: Header=BB325_11 Depth=1
	v_ffbh_u32_e32 v0, v0
	v_min_u32_e32 v2, 32, v0
	v_subrev_nc_u32_e32 v0, 28, v2
	v_lshlrev_b64 v[0:1], v0, v[8:9]
	v_sub_nc_u32_e32 v1, 29, v2
	v_and_b32_e32 v0, 7, v0
; %bb.624:                              ;   in Loop: Header=BB325_11 Depth=1
	s_or_b32 exec_lo, exec_lo, s24
	v_lshlrev_b32_e32 v2, 8, v31
	v_lshl_add_u32 v1, v1, 10, 0x2000
	v_lshlrev_b32_e32 v0, 7, v0
	v_and_b32_e32 v2, 0x8000, v2
	v_and_b32_e32 v1, 0xfc00, v1
	v_or3_b32 v65, v2, v1, v0
.LBB325_625:                            ;   in Loop: Header=BB325_11 Depth=1
	s_or_b32 exec_lo, exec_lo, s23
.LBB325_626:                            ;   in Loop: Header=BB325_11 Depth=1
	s_or_b32 exec_lo, exec_lo, s22
.LBB325_627:                            ;   in Loop: Header=BB325_11 Depth=1
	s_or_b32 exec_lo, exec_lo, s21
	v_lshrrev_b16 v8, 8, v8
	v_mov_b32_e32 v68, 0
	v_mov_b32_e32 v70, 0
	s_mov_b32 s21, exec_lo
	v_cmpx_ne_u16_e32 0, v8
	s_cbranch_execz .LBB325_635
; %bb.628:                              ;   in Loop: Header=BB325_11 Depth=1
	v_bfrev_b32_e32 v70, 1
	s_mov_b32 s22, exec_lo
	v_cmpx_ne_u16_e32 0x80, v8
	s_cbranch_execz .LBB325_634
; %bb.629:                              ;   in Loop: Header=BB325_11 Depth=1
	v_mov_b32_e32 v0, 0x7f
	v_mov_b32_e32 v70, 0x7c010000
	s_mov_b32 s23, exec_lo
	v_and_b32_sdwa v2, v8, v0 dst_sel:DWORD dst_unused:UNUSED_PAD src0_sel:WORD_0 src1_sel:DWORD
	v_cmpx_ne_u32_e32 0x7f, v2
	s_cbranch_execz .LBB325_633
; %bb.630:                              ;   in Loop: Header=BB325_11 Depth=1
	v_mov_b32_e32 v0, 7
	v_lshrrev_b32_e32 v1, 3, v2
	s_mov_b32 s24, exec_lo
	v_and_b32_sdwa v0, v8, v0 dst_sel:DWORD dst_unused:UNUSED_PAD src0_sel:WORD_0 src1_sel:DWORD
	v_cmpx_gt_u32_e32 8, v2
; %bb.631:                              ;   in Loop: Header=BB325_11 Depth=1
	v_ffbh_u32_e32 v0, v0
	v_min_u32_e32 v2, 32, v0
	v_subrev_nc_u32_e32 v0, 28, v2
	v_lshlrev_b64 v[0:1], v0, v[8:9]
	v_sub_nc_u32_e32 v1, 29, v2
	v_and_b32_e32 v0, 7, v0
; %bb.632:                              ;   in Loop: Header=BB325_11 Depth=1
	s_or_b32 exec_lo, exec_lo, s24
	v_mov_b32_e32 v2, 8
	v_lshl_add_u32 v1, v1, 10, 0x2000
	v_lshlrev_b32_e32 v0, 23, v0
	v_lshlrev_b32_sdwa v2, v2, v8 dst_sel:DWORD dst_unused:UNUSED_PAD src0_sel:DWORD src1_sel:WORD_0
	v_and_or_b32 v1, 0x8000, v2, v1
	v_lshl_or_b32 v70, v1, 16, v0
.LBB325_633:                            ;   in Loop: Header=BB325_11 Depth=1
	s_or_b32 exec_lo, exec_lo, s23
.LBB325_634:                            ;   in Loop: Header=BB325_11 Depth=1
	s_or_b32 exec_lo, exec_lo, s22
.LBB325_635:                            ;   in Loop: Header=BB325_11 Depth=1
	s_or_b32 exec_lo, exec_lo, s21
	v_lshrrev_b32_e32 v8, 16, v31
	v_cmp_ne_u16_sdwa s5, v8, v9 src0_sel:BYTE_0 src1_sel:DWORD
	s_and_saveexec_b32 s21, s5
	s_cbranch_execz .LBB325_643
; %bb.636:                              ;   in Loop: Header=BB325_11 Depth=1
	v_cmp_ne_u16_sdwa s5, v8, v51 src0_sel:BYTE_0 src1_sel:DWORD
	v_mov_b32_e32 v68, 0x8000
	s_and_saveexec_b32 s22, s5
	s_cbranch_execz .LBB325_642
; %bb.637:                              ;   in Loop: Header=BB325_11 Depth=1
	v_bfe_u32 v2, v31, 16, 7
	v_mov_b32_e32 v68, 0x7c01
	s_mov_b32 s23, exec_lo
	v_cmpx_ne_u32_e32 0x7f, v2
	s_cbranch_execz .LBB325_641
; %bb.638:                              ;   in Loop: Header=BB325_11 Depth=1
	v_and_b32_e32 v0, 7, v8
	v_lshrrev_b32_e32 v1, 3, v2
	s_mov_b32 s24, exec_lo
	v_cmpx_gt_u32_e32 8, v2
; %bb.639:                              ;   in Loop: Header=BB325_11 Depth=1
	v_ffbh_u32_e32 v0, v0
	v_min_u32_e32 v2, 32, v0
	v_subrev_nc_u32_e32 v0, 28, v2
	v_lshlrev_b64 v[0:1], v0, v[8:9]
	v_sub_nc_u32_e32 v1, 29, v2
	v_and_b32_e32 v0, 7, v0
; %bb.640:                              ;   in Loop: Header=BB325_11 Depth=1
	s_or_b32 exec_lo, exec_lo, s24
	v_lshlrev_b32_e32 v2, 8, v8
	v_lshl_add_u32 v1, v1, 10, 0x2000
	v_lshlrev_b32_e32 v0, 7, v0
	v_and_b32_e32 v2, 0x8000, v2
	v_and_b32_e32 v1, 0xfc00, v1
	v_or3_b32 v68, v2, v1, v0
.LBB325_641:                            ;   in Loop: Header=BB325_11 Depth=1
	s_or_b32 exec_lo, exec_lo, s23
.LBB325_642:                            ;   in Loop: Header=BB325_11 Depth=1
	s_or_b32 exec_lo, exec_lo, s22
.LBB325_643:                            ;   in Loop: Header=BB325_11 Depth=1
	s_or_b32 exec_lo, exec_lo, s21
	v_mov_b32_e32 v6, 0
	v_mov_b32_e32 v76, 0
	s_mov_b32 s21, exec_lo
	v_cmpx_lt_u64_e64 s[6:7], v[30:31]
	s_cbranch_execz .LBB325_651
; %bb.644:                              ;   in Loop: Header=BB325_11 Depth=1
	v_lshrrev_b32_e32 v8, 24, v31
	v_bfrev_b32_e32 v76, 1
	s_mov_b32 s22, exec_lo
	v_cmpx_ne_u32_e32 0x80, v8
	s_cbranch_execz .LBB325_650
; %bb.645:                              ;   in Loop: Header=BB325_11 Depth=1
	v_and_b32_e32 v2, 0x7f, v8
	v_mov_b32_e32 v76, 0x7c010000
	s_mov_b32 s23, exec_lo
	v_cmpx_ne_u32_e32 0x7f, v2
	s_cbranch_execz .LBB325_649
; %bb.646:                              ;   in Loop: Header=BB325_11 Depth=1
	v_and_b32_e32 v0, 7, v8
	v_lshrrev_b32_e32 v1, 3, v2
	s_mov_b32 s24, exec_lo
	v_cmpx_gt_u32_e32 8, v2
; %bb.647:                              ;   in Loop: Header=BB325_11 Depth=1
	v_ffbh_u32_e32 v0, v0
	v_min_u32_e32 v2, 32, v0
	v_subrev_nc_u32_e32 v0, 28, v2
	v_lshlrev_b64 v[0:1], v0, v[8:9]
	v_sub_nc_u32_e32 v1, 29, v2
	v_and_b32_e32 v0, 7, v0
; %bb.648:                              ;   in Loop: Header=BB325_11 Depth=1
	s_or_b32 exec_lo, exec_lo, s24
	v_lshlrev_b32_e32 v2, 8, v8
	v_lshl_add_u32 v1, v1, 10, 0x2000
	v_lshlrev_b32_e32 v0, 23, v0
	v_and_or_b32 v1, 0x8000, v2, v1
	v_lshl_or_b32 v76, v1, 16, v0
.LBB325_649:                            ;   in Loop: Header=BB325_11 Depth=1
	s_or_b32 exec_lo, exec_lo, s23
.LBB325_650:                            ;   in Loop: Header=BB325_11 Depth=1
	s_or_b32 exec_lo, exec_lo, s22
.LBB325_651:                            ;   in Loop: Header=BB325_11 Depth=1
	s_or_b32 exec_lo, exec_lo, s21
	flat_load_dwordx2 v[30:31], v[28:29] offset:512
	s_waitcnt vmcnt(0) lgkmcnt(0)
	v_cmp_ne_u16_sdwa s5, v30, v9 src0_sel:BYTE_0 src1_sel:DWORD
	s_and_saveexec_b32 s21, s5
	s_cbranch_execz .LBB325_659
; %bb.652:                              ;   in Loop: Header=BB325_11 Depth=1
	v_cmp_ne_u16_sdwa s5, v30, v51 src0_sel:BYTE_0 src1_sel:DWORD
	v_mov_b32_e32 v6, 0x8000
	s_and_saveexec_b32 s22, s5
	s_cbranch_execz .LBB325_658
; %bb.653:                              ;   in Loop: Header=BB325_11 Depth=1
	v_and_b32_e32 v2, 0x7f, v30
	v_mov_b32_e32 v6, 0x7c01
	s_mov_b32 s23, exec_lo
	v_cmpx_ne_u32_e32 0x7f, v2
	s_cbranch_execz .LBB325_657
; %bb.654:                              ;   in Loop: Header=BB325_11 Depth=1
	v_and_b32_e32 v0, 7, v30
	v_lshrrev_b32_e32 v1, 3, v2
	s_mov_b32 s24, exec_lo
	v_cmpx_gt_u32_e32 8, v2
; %bb.655:                              ;   in Loop: Header=BB325_11 Depth=1
	v_ffbh_u32_e32 v0, v0
	v_min_u32_e32 v2, 32, v0
	v_subrev_nc_u32_e32 v0, 28, v2
	v_lshlrev_b64 v[0:1], v0, v[30:31]
	v_sub_nc_u32_e32 v1, 29, v2
	v_and_b32_e32 v0, 7, v0
; %bb.656:                              ;   in Loop: Header=BB325_11 Depth=1
	s_or_b32 exec_lo, exec_lo, s24
	v_lshlrev_b32_e32 v2, 8, v30
	v_lshl_add_u32 v1, v1, 10, 0x2000
	v_lshlrev_b32_e32 v0, 7, v0
	v_and_b32_e32 v2, 0x8000, v2
	v_and_b32_e32 v1, 0xfc00, v1
	v_or3_b32 v6, v2, v1, v0
.LBB325_657:                            ;   in Loop: Header=BB325_11 Depth=1
	s_or_b32 exec_lo, exec_lo, s23
.LBB325_658:                            ;   in Loop: Header=BB325_11 Depth=1
	s_or_b32 exec_lo, exec_lo, s22
.LBB325_659:                            ;   in Loop: Header=BB325_11 Depth=1
	s_or_b32 exec_lo, exec_lo, s21
	v_lshrrev_b16 v8, 8, v30
	v_mov_b32_e32 v24, 0
	v_mov_b32_e32 v7, 0
	s_mov_b32 s21, exec_lo
	v_cmpx_ne_u16_e32 0, v8
	s_cbranch_execz .LBB325_667
; %bb.660:                              ;   in Loop: Header=BB325_11 Depth=1
	v_bfrev_b32_e32 v7, 1
	s_mov_b32 s22, exec_lo
	v_cmpx_ne_u16_e32 0x80, v8
	s_cbranch_execz .LBB325_666
; %bb.661:                              ;   in Loop: Header=BB325_11 Depth=1
	v_mov_b32_e32 v0, 0x7f
	v_mov_b32_e32 v7, 0x7c010000
	s_mov_b32 s23, exec_lo
	v_and_b32_sdwa v2, v8, v0 dst_sel:DWORD dst_unused:UNUSED_PAD src0_sel:WORD_0 src1_sel:DWORD
	v_cmpx_ne_u32_e32 0x7f, v2
	s_cbranch_execz .LBB325_665
; %bb.662:                              ;   in Loop: Header=BB325_11 Depth=1
	v_mov_b32_e32 v0, 7
	v_lshrrev_b32_e32 v1, 3, v2
	s_mov_b32 s24, exec_lo
	v_and_b32_sdwa v0, v8, v0 dst_sel:DWORD dst_unused:UNUSED_PAD src0_sel:WORD_0 src1_sel:DWORD
	v_cmpx_gt_u32_e32 8, v2
; %bb.663:                              ;   in Loop: Header=BB325_11 Depth=1
	v_ffbh_u32_e32 v0, v0
	v_min_u32_e32 v2, 32, v0
	v_subrev_nc_u32_e32 v0, 28, v2
	v_lshlrev_b64 v[0:1], v0, v[8:9]
	v_sub_nc_u32_e32 v1, 29, v2
	v_and_b32_e32 v0, 7, v0
; %bb.664:                              ;   in Loop: Header=BB325_11 Depth=1
	s_or_b32 exec_lo, exec_lo, s24
	v_mov_b32_e32 v2, 8
	v_lshl_add_u32 v1, v1, 10, 0x2000
	v_lshlrev_b32_e32 v0, 23, v0
	v_lshlrev_b32_sdwa v2, v2, v8 dst_sel:DWORD dst_unused:UNUSED_PAD src0_sel:DWORD src1_sel:WORD_0
	v_and_or_b32 v1, 0x8000, v2, v1
	v_lshl_or_b32 v7, v1, 16, v0
.LBB325_665:                            ;   in Loop: Header=BB325_11 Depth=1
	s_or_b32 exec_lo, exec_lo, s23
.LBB325_666:                            ;   in Loop: Header=BB325_11 Depth=1
	s_or_b32 exec_lo, exec_lo, s22
.LBB325_667:                            ;   in Loop: Header=BB325_11 Depth=1
	s_or_b32 exec_lo, exec_lo, s21
	v_lshrrev_b32_e32 v8, 16, v30
	v_cmp_ne_u16_sdwa s5, v8, v9 src0_sel:BYTE_0 src1_sel:DWORD
	s_and_saveexec_b32 s21, s5
	s_cbranch_execz .LBB325_675
; %bb.668:                              ;   in Loop: Header=BB325_11 Depth=1
	v_cmp_ne_u16_sdwa s5, v8, v51 src0_sel:BYTE_0 src1_sel:DWORD
	v_mov_b32_e32 v24, 0x8000
	s_and_saveexec_b32 s22, s5
	s_cbranch_execz .LBB325_674
; %bb.669:                              ;   in Loop: Header=BB325_11 Depth=1
	v_bfe_u32 v2, v30, 16, 7
	v_mov_b32_e32 v24, 0x7c01
	s_mov_b32 s23, exec_lo
	v_cmpx_ne_u32_e32 0x7f, v2
	s_cbranch_execz .LBB325_673
; %bb.670:                              ;   in Loop: Header=BB325_11 Depth=1
	v_and_b32_e32 v0, 7, v8
	v_lshrrev_b32_e32 v1, 3, v2
	s_mov_b32 s24, exec_lo
	v_cmpx_gt_u32_e32 8, v2
; %bb.671:                              ;   in Loop: Header=BB325_11 Depth=1
	v_ffbh_u32_e32 v0, v0
	v_min_u32_e32 v2, 32, v0
	v_subrev_nc_u32_e32 v0, 28, v2
	v_lshlrev_b64 v[0:1], v0, v[8:9]
	v_sub_nc_u32_e32 v1, 29, v2
	v_and_b32_e32 v0, 7, v0
; %bb.672:                              ;   in Loop: Header=BB325_11 Depth=1
	s_or_b32 exec_lo, exec_lo, s24
	v_lshlrev_b32_e32 v2, 8, v8
	v_lshl_add_u32 v1, v1, 10, 0x2000
	v_lshlrev_b32_e32 v0, 7, v0
	v_and_b32_e32 v2, 0x8000, v2
	v_and_b32_e32 v1, 0xfc00, v1
	v_or3_b32 v24, v2, v1, v0
.LBB325_673:                            ;   in Loop: Header=BB325_11 Depth=1
	s_or_b32 exec_lo, exec_lo, s23
.LBB325_674:                            ;   in Loop: Header=BB325_11 Depth=1
	s_or_b32 exec_lo, exec_lo, s22
.LBB325_675:                            ;   in Loop: Header=BB325_11 Depth=1
	s_or_b32 exec_lo, exec_lo, s21
	v_mov_b32_e32 v25, 0
	v_mov_b32_e32 v81, 0
	s_mov_b32 s21, exec_lo
	v_cmpx_lt_u32_e32 0xffffff, v30
	s_cbranch_execz .LBB325_683
; %bb.676:                              ;   in Loop: Header=BB325_11 Depth=1
	v_lshrrev_b32_e32 v8, 24, v30
	v_bfrev_b32_e32 v81, 1
	s_mov_b32 s22, exec_lo
	v_cmpx_ne_u32_e32 0x80, v8
	s_cbranch_execz .LBB325_682
; %bb.677:                              ;   in Loop: Header=BB325_11 Depth=1
	v_and_b32_e32 v2, 0x7f, v8
	v_mov_b32_e32 v81, 0x7c010000
	s_mov_b32 s23, exec_lo
	v_cmpx_ne_u32_e32 0x7f, v2
	s_cbranch_execz .LBB325_681
; %bb.678:                              ;   in Loop: Header=BB325_11 Depth=1
	v_and_b32_e32 v0, 7, v8
	v_lshrrev_b32_e32 v1, 3, v2
	s_mov_b32 s24, exec_lo
	v_cmpx_gt_u32_e32 8, v2
; %bb.679:                              ;   in Loop: Header=BB325_11 Depth=1
	v_ffbh_u32_e32 v0, v0
	v_min_u32_e32 v2, 32, v0
	v_subrev_nc_u32_e32 v0, 28, v2
	v_lshlrev_b64 v[0:1], v0, v[8:9]
	v_sub_nc_u32_e32 v1, 29, v2
	v_and_b32_e32 v0, 7, v0
; %bb.680:                              ;   in Loop: Header=BB325_11 Depth=1
	s_or_b32 exec_lo, exec_lo, s24
	v_lshlrev_b32_e32 v2, 8, v8
	v_lshl_add_u32 v1, v1, 10, 0x2000
	v_lshlrev_b32_e32 v0, 23, v0
	v_and_or_b32 v1, 0x8000, v2, v1
	v_lshl_or_b32 v81, v1, 16, v0
.LBB325_681:                            ;   in Loop: Header=BB325_11 Depth=1
	s_or_b32 exec_lo, exec_lo, s23
.LBB325_682:                            ;   in Loop: Header=BB325_11 Depth=1
	s_or_b32 exec_lo, exec_lo, s22
.LBB325_683:                            ;   in Loop: Header=BB325_11 Depth=1
	s_or_b32 exec_lo, exec_lo, s21
	v_mov_b32_e32 v8, v31
	v_cmp_ne_u16_sdwa s5, v31, v9 src0_sel:BYTE_0 src1_sel:DWORD
	s_and_saveexec_b32 s21, s5
	s_cbranch_execz .LBB325_691
; %bb.684:                              ;   in Loop: Header=BB325_11 Depth=1
	v_cmp_ne_u16_sdwa s5, v31, v51 src0_sel:BYTE_0 src1_sel:DWORD
	v_mov_b32_e32 v25, 0x8000
	s_and_saveexec_b32 s22, s5
	s_cbranch_execz .LBB325_690
; %bb.685:                              ;   in Loop: Header=BB325_11 Depth=1
	v_and_b32_e32 v2, 0x7f, v31
	v_mov_b32_e32 v25, 0x7c01
	s_mov_b32 s23, exec_lo
	v_cmpx_ne_u32_e32 0x7f, v2
	s_cbranch_execz .LBB325_689
; %bb.686:                              ;   in Loop: Header=BB325_11 Depth=1
	v_and_b32_e32 v0, 7, v31
	v_lshrrev_b32_e32 v1, 3, v2
	s_mov_b32 s24, exec_lo
	v_cmpx_gt_u32_e32 8, v2
; %bb.687:                              ;   in Loop: Header=BB325_11 Depth=1
	v_ffbh_u32_e32 v0, v0
	v_min_u32_e32 v2, 32, v0
	v_subrev_nc_u32_e32 v0, 28, v2
	v_lshlrev_b64 v[0:1], v0, v[8:9]
	v_sub_nc_u32_e32 v1, 29, v2
	v_and_b32_e32 v0, 7, v0
; %bb.688:                              ;   in Loop: Header=BB325_11 Depth=1
	s_or_b32 exec_lo, exec_lo, s24
	v_lshlrev_b32_e32 v2, 8, v31
	v_lshl_add_u32 v1, v1, 10, 0x2000
	v_lshlrev_b32_e32 v0, 7, v0
	v_and_b32_e32 v2, 0x8000, v2
	v_and_b32_e32 v1, 0xfc00, v1
	v_or3_b32 v25, v2, v1, v0
.LBB325_689:                            ;   in Loop: Header=BB325_11 Depth=1
	s_or_b32 exec_lo, exec_lo, s23
.LBB325_690:                            ;   in Loop: Header=BB325_11 Depth=1
	s_or_b32 exec_lo, exec_lo, s22
.LBB325_691:                            ;   in Loop: Header=BB325_11 Depth=1
	s_or_b32 exec_lo, exec_lo, s21
	v_lshrrev_b16 v8, 8, v8
	v_mov_b32_e32 v97, 0
	v_mov_b32_e32 v99, 0
	s_mov_b32 s21, exec_lo
	v_cmpx_ne_u16_e32 0, v8
	s_cbranch_execz .LBB325_699
; %bb.692:                              ;   in Loop: Header=BB325_11 Depth=1
	v_bfrev_b32_e32 v99, 1
	s_mov_b32 s22, exec_lo
	v_cmpx_ne_u16_e32 0x80, v8
	s_cbranch_execz .LBB325_698
; %bb.693:                              ;   in Loop: Header=BB325_11 Depth=1
	v_mov_b32_e32 v0, 0x7f
	v_mov_b32_e32 v99, 0x7c010000
	s_mov_b32 s23, exec_lo
	v_and_b32_sdwa v2, v8, v0 dst_sel:DWORD dst_unused:UNUSED_PAD src0_sel:WORD_0 src1_sel:DWORD
	v_cmpx_ne_u32_e32 0x7f, v2
	s_cbranch_execz .LBB325_697
; %bb.694:                              ;   in Loop: Header=BB325_11 Depth=1
	v_mov_b32_e32 v0, 7
	v_lshrrev_b32_e32 v1, 3, v2
	s_mov_b32 s24, exec_lo
	v_and_b32_sdwa v0, v8, v0 dst_sel:DWORD dst_unused:UNUSED_PAD src0_sel:WORD_0 src1_sel:DWORD
	v_cmpx_gt_u32_e32 8, v2
; %bb.695:                              ;   in Loop: Header=BB325_11 Depth=1
	v_ffbh_u32_e32 v0, v0
	v_min_u32_e32 v2, 32, v0
	v_subrev_nc_u32_e32 v0, 28, v2
	v_lshlrev_b64 v[0:1], v0, v[8:9]
	v_sub_nc_u32_e32 v1, 29, v2
	v_and_b32_e32 v0, 7, v0
; %bb.696:                              ;   in Loop: Header=BB325_11 Depth=1
	s_or_b32 exec_lo, exec_lo, s24
	v_mov_b32_e32 v2, 8
	v_lshl_add_u32 v1, v1, 10, 0x2000
	v_lshlrev_b32_e32 v0, 23, v0
	v_lshlrev_b32_sdwa v2, v2, v8 dst_sel:DWORD dst_unused:UNUSED_PAD src0_sel:DWORD src1_sel:WORD_0
	v_and_or_b32 v1, 0x8000, v2, v1
	v_lshl_or_b32 v99, v1, 16, v0
.LBB325_697:                            ;   in Loop: Header=BB325_11 Depth=1
	s_or_b32 exec_lo, exec_lo, s23
.LBB325_698:                            ;   in Loop: Header=BB325_11 Depth=1
	s_or_b32 exec_lo, exec_lo, s22
.LBB325_699:                            ;   in Loop: Header=BB325_11 Depth=1
	s_or_b32 exec_lo, exec_lo, s21
	v_lshrrev_b32_e32 v8, 16, v31
	v_cmp_ne_u16_sdwa s5, v8, v9 src0_sel:BYTE_0 src1_sel:DWORD
	s_and_saveexec_b32 s21, s5
	s_cbranch_execz .LBB325_707
; %bb.700:                              ;   in Loop: Header=BB325_11 Depth=1
	v_cmp_ne_u16_sdwa s5, v8, v51 src0_sel:BYTE_0 src1_sel:DWORD
	v_mov_b32_e32 v97, 0x8000
	s_and_saveexec_b32 s22, s5
	s_cbranch_execz .LBB325_706
; %bb.701:                              ;   in Loop: Header=BB325_11 Depth=1
	v_bfe_u32 v2, v31, 16, 7
	v_mov_b32_e32 v97, 0x7c01
	s_mov_b32 s23, exec_lo
	v_cmpx_ne_u32_e32 0x7f, v2
	s_cbranch_execz .LBB325_705
; %bb.702:                              ;   in Loop: Header=BB325_11 Depth=1
	v_and_b32_e32 v0, 7, v8
	v_lshrrev_b32_e32 v1, 3, v2
	s_mov_b32 s24, exec_lo
	v_cmpx_gt_u32_e32 8, v2
; %bb.703:                              ;   in Loop: Header=BB325_11 Depth=1
	v_ffbh_u32_e32 v0, v0
	v_min_u32_e32 v2, 32, v0
	v_subrev_nc_u32_e32 v0, 28, v2
	v_lshlrev_b64 v[0:1], v0, v[8:9]
	v_sub_nc_u32_e32 v1, 29, v2
	v_and_b32_e32 v0, 7, v0
; %bb.704:                              ;   in Loop: Header=BB325_11 Depth=1
	s_or_b32 exec_lo, exec_lo, s24
	v_lshlrev_b32_e32 v2, 8, v8
	v_lshl_add_u32 v1, v1, 10, 0x2000
	v_lshlrev_b32_e32 v0, 7, v0
	v_and_b32_e32 v2, 0x8000, v2
	v_and_b32_e32 v1, 0xfc00, v1
	v_or3_b32 v97, v2, v1, v0
.LBB325_705:                            ;   in Loop: Header=BB325_11 Depth=1
	s_or_b32 exec_lo, exec_lo, s23
.LBB325_706:                            ;   in Loop: Header=BB325_11 Depth=1
	s_or_b32 exec_lo, exec_lo, s22
.LBB325_707:                            ;   in Loop: Header=BB325_11 Depth=1
	s_or_b32 exec_lo, exec_lo, s21
	v_mov_b32_e32 v0, 0
	v_mov_b32_e32 v77, 0
	s_mov_b32 s21, exec_lo
	v_cmpx_lt_u64_e64 s[6:7], v[30:31]
	s_cbranch_execz .LBB325_715
; %bb.708:                              ;   in Loop: Header=BB325_11 Depth=1
	v_lshrrev_b32_e32 v8, 24, v31
	v_bfrev_b32_e32 v77, 1
	s_mov_b32 s22, exec_lo
	v_cmpx_ne_u32_e32 0x80, v8
	s_cbranch_execz .LBB325_714
; %bb.709:                              ;   in Loop: Header=BB325_11 Depth=1
	v_and_b32_e32 v3, 0x7f, v8
	v_mov_b32_e32 v77, 0x7c010000
	s_mov_b32 s23, exec_lo
	v_cmpx_ne_u32_e32 0x7f, v3
	s_cbranch_execz .LBB325_713
; %bb.710:                              ;   in Loop: Header=BB325_11 Depth=1
	v_and_b32_e32 v1, 7, v8
	v_lshrrev_b32_e32 v2, 3, v3
	s_mov_b32 s24, exec_lo
	v_cmpx_gt_u32_e32 8, v3
; %bb.711:                              ;   in Loop: Header=BB325_11 Depth=1
	v_ffbh_u32_e32 v1, v1
	v_min_u32_e32 v3, 32, v1
	v_subrev_nc_u32_e32 v1, 28, v3
	v_lshlrev_b64 v[1:2], v1, v[8:9]
	v_sub_nc_u32_e32 v2, 29, v3
	v_and_b32_e32 v1, 7, v1
; %bb.712:                              ;   in Loop: Header=BB325_11 Depth=1
	s_or_b32 exec_lo, exec_lo, s24
	v_lshlrev_b32_e32 v3, 8, v8
	v_lshl_add_u32 v2, v2, 10, 0x2000
	v_lshlrev_b32_e32 v1, 23, v1
	v_and_or_b32 v2, 0x8000, v3, v2
	v_lshl_or_b32 v77, v2, 16, v1
.LBB325_713:                            ;   in Loop: Header=BB325_11 Depth=1
	s_or_b32 exec_lo, exec_lo, s23
.LBB325_714:                            ;   in Loop: Header=BB325_11 Depth=1
	s_or_b32 exec_lo, exec_lo, s22
.LBB325_715:                            ;   in Loop: Header=BB325_11 Depth=1
	s_or_b32 exec_lo, exec_lo, s21
	flat_load_dwordx2 v[30:31], v[28:29] offset:520
	s_waitcnt vmcnt(0) lgkmcnt(0)
	v_cmp_ne_u16_sdwa s5, v30, v9 src0_sel:BYTE_0 src1_sel:DWORD
	s_and_saveexec_b32 s21, s5
	s_cbranch_execz .LBB325_723
; %bb.716:                              ;   in Loop: Header=BB325_11 Depth=1
	v_cmp_ne_u16_sdwa s5, v30, v51 src0_sel:BYTE_0 src1_sel:DWORD
	v_mov_b32_e32 v0, 0x8000
	s_and_saveexec_b32 s22, s5
	s_cbranch_execz .LBB325_722
; %bb.717:                              ;   in Loop: Header=BB325_11 Depth=1
	v_and_b32_e32 v2, 0x7f, v30
	v_mov_b32_e32 v0, 0x7c01
	s_mov_b32 s23, exec_lo
	v_cmpx_ne_u32_e32 0x7f, v2
	s_cbranch_execz .LBB325_721
; %bb.718:                              ;   in Loop: Header=BB325_11 Depth=1
	v_and_b32_e32 v0, 7, v30
	v_lshrrev_b32_e32 v1, 3, v2
	s_mov_b32 s24, exec_lo
	v_cmpx_gt_u32_e32 8, v2
; %bb.719:                              ;   in Loop: Header=BB325_11 Depth=1
	v_ffbh_u32_e32 v0, v0
	v_min_u32_e32 v2, 32, v0
	v_subrev_nc_u32_e32 v0, 28, v2
	v_lshlrev_b64 v[0:1], v0, v[30:31]
	v_sub_nc_u32_e32 v1, 29, v2
	v_and_b32_e32 v0, 7, v0
; %bb.720:                              ;   in Loop: Header=BB325_11 Depth=1
	s_or_b32 exec_lo, exec_lo, s24
	v_lshlrev_b32_e32 v2, 8, v30
	v_lshl_add_u32 v1, v1, 10, 0x2000
	v_lshlrev_b32_e32 v0, 7, v0
	v_and_b32_e32 v2, 0x8000, v2
	v_and_b32_e32 v1, 0xfc00, v1
	v_or3_b32 v0, v2, v1, v0
.LBB325_721:                            ;   in Loop: Header=BB325_11 Depth=1
	s_or_b32 exec_lo, exec_lo, s23
.LBB325_722:                            ;   in Loop: Header=BB325_11 Depth=1
	s_or_b32 exec_lo, exec_lo, s22
.LBB325_723:                            ;   in Loop: Header=BB325_11 Depth=1
	s_or_b32 exec_lo, exec_lo, s21
	v_lshrrev_b16 v8, 8, v30
	v_mov_b32_e32 v1, 0
	v_mov_b32_e32 v2, 0
	s_mov_b32 s21, exec_lo
	v_cmpx_ne_u16_e32 0, v8
	s_cbranch_execz .LBB325_731
; %bb.724:                              ;   in Loop: Header=BB325_11 Depth=1
	v_bfrev_b32_e32 v2, 1
	s_mov_b32 s22, exec_lo
	v_cmpx_ne_u16_e32 0x80, v8
	s_cbranch_execz .LBB325_730
; %bb.725:                              ;   in Loop: Header=BB325_11 Depth=1
	v_mov_b32_e32 v2, 0x7f
	s_mov_b32 s23, exec_lo
	v_and_b32_sdwa v4, v8, v2 dst_sel:DWORD dst_unused:UNUSED_PAD src0_sel:WORD_0 src1_sel:DWORD
	v_mov_b32_e32 v2, 0x7c010000
	v_cmpx_ne_u32_e32 0x7f, v4
	s_cbranch_execz .LBB325_729
; %bb.726:                              ;   in Loop: Header=BB325_11 Depth=1
	v_mov_b32_e32 v2, 7
	v_lshrrev_b32_e32 v3, 3, v4
	s_mov_b32 s24, exec_lo
	v_and_b32_sdwa v2, v8, v2 dst_sel:DWORD dst_unused:UNUSED_PAD src0_sel:WORD_0 src1_sel:DWORD
	v_cmpx_gt_u32_e32 8, v4
; %bb.727:                              ;   in Loop: Header=BB325_11 Depth=1
	v_ffbh_u32_e32 v2, v2
	v_min_u32_e32 v4, 32, v2
	v_subrev_nc_u32_e32 v2, 28, v4
	v_lshlrev_b64 v[2:3], v2, v[8:9]
	v_sub_nc_u32_e32 v3, 29, v4
	v_and_b32_e32 v2, 7, v2
; %bb.728:                              ;   in Loop: Header=BB325_11 Depth=1
	s_or_b32 exec_lo, exec_lo, s24
	v_mov_b32_e32 v4, 8
	v_lshl_add_u32 v3, v3, 10, 0x2000
	v_lshlrev_b32_e32 v2, 23, v2
	v_lshlrev_b32_sdwa v4, v4, v8 dst_sel:DWORD dst_unused:UNUSED_PAD src0_sel:DWORD src1_sel:WORD_0
	v_and_or_b32 v3, 0x8000, v4, v3
	v_lshl_or_b32 v2, v3, 16, v2
.LBB325_729:                            ;   in Loop: Header=BB325_11 Depth=1
	s_or_b32 exec_lo, exec_lo, s23
.LBB325_730:                            ;   in Loop: Header=BB325_11 Depth=1
	s_or_b32 exec_lo, exec_lo, s22
.LBB325_731:                            ;   in Loop: Header=BB325_11 Depth=1
	s_or_b32 exec_lo, exec_lo, s21
	v_lshrrev_b32_e32 v8, 16, v30
	v_cmp_ne_u16_sdwa s5, v8, v9 src0_sel:BYTE_0 src1_sel:DWORD
	s_and_saveexec_b32 s21, s5
	s_cbranch_execz .LBB325_739
; %bb.732:                              ;   in Loop: Header=BB325_11 Depth=1
	v_cmp_ne_u16_sdwa s5, v8, v51 src0_sel:BYTE_0 src1_sel:DWORD
	v_mov_b32_e32 v1, 0x8000
	s_and_saveexec_b32 s22, s5
	s_cbranch_execz .LBB325_738
; %bb.733:                              ;   in Loop: Header=BB325_11 Depth=1
	v_bfe_u32 v4, v30, 16, 7
	v_mov_b32_e32 v1, 0x7c01
	s_mov_b32 s23, exec_lo
	v_cmpx_ne_u32_e32 0x7f, v4
	s_cbranch_execz .LBB325_737
; %bb.734:                              ;   in Loop: Header=BB325_11 Depth=1
	v_and_b32_e32 v1, 7, v8
	v_lshrrev_b32_e32 v3, 3, v4
	s_mov_b32 s24, exec_lo
	v_cmpx_gt_u32_e32 8, v4
; %bb.735:                              ;   in Loop: Header=BB325_11 Depth=1
	v_ffbh_u32_e32 v1, v1
	v_min_u32_e32 v1, 32, v1
	v_subrev_nc_u32_e32 v3, 28, v1
	v_lshlrev_b64 v[4:5], v3, v[8:9]
	v_sub_nc_u32_e32 v3, 29, v1
	v_and_b32_e32 v1, 7, v4
; %bb.736:                              ;   in Loop: Header=BB325_11 Depth=1
	s_or_b32 exec_lo, exec_lo, s24
	v_lshlrev_b32_e32 v4, 8, v8
	v_lshl_add_u32 v3, v3, 10, 0x2000
	v_lshlrev_b32_e32 v1, 7, v1
	v_and_b32_e32 v4, 0x8000, v4
	v_and_b32_e32 v3, 0xfc00, v3
	v_or3_b32 v1, v4, v3, v1
.LBB325_737:                            ;   in Loop: Header=BB325_11 Depth=1
	s_or_b32 exec_lo, exec_lo, s23
.LBB325_738:                            ;   in Loop: Header=BB325_11 Depth=1
	s_or_b32 exec_lo, exec_lo, s22
.LBB325_739:                            ;   in Loop: Header=BB325_11 Depth=1
	s_or_b32 exec_lo, exec_lo, s21
	v_mov_b32_e32 v3, 0
	v_mov_b32_e32 v19, 0
	s_mov_b32 s21, exec_lo
	v_cmpx_lt_u32_e32 0xffffff, v30
	s_cbranch_execz .LBB325_747
; %bb.740:                              ;   in Loop: Header=BB325_11 Depth=1
	v_lshrrev_b32_e32 v8, 24, v30
	v_bfrev_b32_e32 v19, 1
	s_mov_b32 s22, exec_lo
	v_cmpx_ne_u32_e32 0x80, v8
	s_cbranch_execz .LBB325_746
; %bb.741:                              ;   in Loop: Header=BB325_11 Depth=1
	v_and_b32_e32 v10, 0x7f, v8
	v_mov_b32_e32 v19, 0x7c010000
	s_mov_b32 s23, exec_lo
	v_cmpx_ne_u32_e32 0x7f, v10
	s_cbranch_execz .LBB325_745
; %bb.742:                              ;   in Loop: Header=BB325_11 Depth=1
	v_and_b32_e32 v4, 7, v8
	v_lshrrev_b32_e32 v5, 3, v10
	s_mov_b32 s24, exec_lo
	v_cmpx_gt_u32_e32 8, v10
; %bb.743:                              ;   in Loop: Header=BB325_11 Depth=1
	v_ffbh_u32_e32 v4, v4
	v_min_u32_e32 v10, 32, v4
	v_subrev_nc_u32_e32 v4, 28, v10
	v_lshlrev_b64 v[4:5], v4, v[8:9]
	v_sub_nc_u32_e32 v5, 29, v10
	v_and_b32_e32 v4, 7, v4
; %bb.744:                              ;   in Loop: Header=BB325_11 Depth=1
	s_or_b32 exec_lo, exec_lo, s24
	v_lshlrev_b32_e32 v8, 8, v8
	v_lshl_add_u32 v5, v5, 10, 0x2000
	v_lshlrev_b32_e32 v4, 23, v4
	v_and_or_b32 v5, 0x8000, v8, v5
	v_lshl_or_b32 v19, v5, 16, v4
.LBB325_745:                            ;   in Loop: Header=BB325_11 Depth=1
	s_or_b32 exec_lo, exec_lo, s23
.LBB325_746:                            ;   in Loop: Header=BB325_11 Depth=1
	s_or_b32 exec_lo, exec_lo, s22
.LBB325_747:                            ;   in Loop: Header=BB325_11 Depth=1
	s_or_b32 exec_lo, exec_lo, s21
	v_mov_b32_e32 v8, v31
	v_cmp_ne_u16_sdwa s5, v31, v9 src0_sel:BYTE_0 src1_sel:DWORD
	s_and_saveexec_b32 s21, s5
	s_cbranch_execz .LBB325_755
; %bb.748:                              ;   in Loop: Header=BB325_11 Depth=1
	v_cmp_ne_u16_sdwa s5, v31, v51 src0_sel:BYTE_0 src1_sel:DWORD
	v_mov_b32_e32 v3, 0x8000
	s_and_saveexec_b32 s22, s5
	s_cbranch_execz .LBB325_754
; %bb.749:                              ;   in Loop: Header=BB325_11 Depth=1
	v_and_b32_e32 v5, 0x7f, v31
	v_mov_b32_e32 v3, 0x7c01
	s_mov_b32 s23, exec_lo
	v_cmpx_ne_u32_e32 0x7f, v5
	s_cbranch_execz .LBB325_753
; %bb.750:                              ;   in Loop: Header=BB325_11 Depth=1
	v_and_b32_e32 v3, 7, v31
	v_lshrrev_b32_e32 v4, 3, v5
	s_mov_b32 s24, exec_lo
	v_cmpx_gt_u32_e32 8, v5
; %bb.751:                              ;   in Loop: Header=BB325_11 Depth=1
	v_ffbh_u32_e32 v3, v3
	v_min_u32_e32 v5, 32, v3
	v_subrev_nc_u32_e32 v3, 28, v5
	v_lshlrev_b64 v[3:4], v3, v[8:9]
	v_sub_nc_u32_e32 v4, 29, v5
	v_and_b32_e32 v3, 7, v3
; %bb.752:                              ;   in Loop: Header=BB325_11 Depth=1
	s_or_b32 exec_lo, exec_lo, s24
	v_lshlrev_b32_e32 v5, 8, v31
	v_lshl_add_u32 v4, v4, 10, 0x2000
	v_lshlrev_b32_e32 v3, 7, v3
	v_and_b32_e32 v5, 0x8000, v5
	v_and_b32_e32 v4, 0xfc00, v4
	v_or3_b32 v3, v5, v4, v3
.LBB325_753:                            ;   in Loop: Header=BB325_11 Depth=1
	s_or_b32 exec_lo, exec_lo, s23
.LBB325_754:                            ;   in Loop: Header=BB325_11 Depth=1
	s_or_b32 exec_lo, exec_lo, s22
.LBB325_755:                            ;   in Loop: Header=BB325_11 Depth=1
	s_or_b32 exec_lo, exec_lo, s21
	v_lshrrev_b16 v8, 8, v8
	v_mov_b32_e32 v83, 0
	v_mov_b32_e32 v84, 0
	s_mov_b32 s21, exec_lo
	v_cmpx_ne_u16_e32 0, v8
	s_cbranch_execz .LBB325_763
; %bb.756:                              ;   in Loop: Header=BB325_11 Depth=1
	v_bfrev_b32_e32 v84, 1
	s_mov_b32 s22, exec_lo
	v_cmpx_ne_u16_e32 0x80, v8
	s_cbranch_execz .LBB325_762
; %bb.757:                              ;   in Loop: Header=BB325_11 Depth=1
	v_mov_b32_e32 v4, 0x7f
	v_mov_b32_e32 v84, 0x7c010000
	s_mov_b32 s23, exec_lo
	v_and_b32_sdwa v10, v8, v4 dst_sel:DWORD dst_unused:UNUSED_PAD src0_sel:WORD_0 src1_sel:DWORD
	v_cmpx_ne_u32_e32 0x7f, v10
	s_cbranch_execz .LBB325_761
; %bb.758:                              ;   in Loop: Header=BB325_11 Depth=1
	v_mov_b32_e32 v4, 7
	v_lshrrev_b32_e32 v5, 3, v10
	s_mov_b32 s24, exec_lo
	v_and_b32_sdwa v4, v8, v4 dst_sel:DWORD dst_unused:UNUSED_PAD src0_sel:WORD_0 src1_sel:DWORD
	v_cmpx_gt_u32_e32 8, v10
; %bb.759:                              ;   in Loop: Header=BB325_11 Depth=1
	v_ffbh_u32_e32 v4, v4
	v_min_u32_e32 v10, 32, v4
	v_subrev_nc_u32_e32 v4, 28, v10
	v_lshlrev_b64 v[4:5], v4, v[8:9]
	v_sub_nc_u32_e32 v5, 29, v10
	v_and_b32_e32 v4, 7, v4
; %bb.760:                              ;   in Loop: Header=BB325_11 Depth=1
	s_or_b32 exec_lo, exec_lo, s24
	v_mov_b32_e32 v10, 8
	v_lshl_add_u32 v5, v5, 10, 0x2000
	v_lshlrev_b32_e32 v4, 23, v4
	v_lshlrev_b32_sdwa v8, v10, v8 dst_sel:DWORD dst_unused:UNUSED_PAD src0_sel:DWORD src1_sel:WORD_0
	v_and_or_b32 v5, 0x8000, v8, v5
	v_lshl_or_b32 v84, v5, 16, v4
.LBB325_761:                            ;   in Loop: Header=BB325_11 Depth=1
	s_or_b32 exec_lo, exec_lo, s23
.LBB325_762:                            ;   in Loop: Header=BB325_11 Depth=1
	s_or_b32 exec_lo, exec_lo, s22
.LBB325_763:                            ;   in Loop: Header=BB325_11 Depth=1
	s_or_b32 exec_lo, exec_lo, s21
	v_lshrrev_b32_e32 v8, 16, v31
	v_cmp_ne_u16_sdwa s5, v8, v9 src0_sel:BYTE_0 src1_sel:DWORD
	s_and_saveexec_b32 s21, s5
	s_cbranch_execz .LBB325_771
; %bb.764:                              ;   in Loop: Header=BB325_11 Depth=1
	v_cmp_ne_u16_sdwa s5, v8, v51 src0_sel:BYTE_0 src1_sel:DWORD
	v_mov_b32_e32 v83, 0x8000
	s_and_saveexec_b32 s22, s5
	s_cbranch_execz .LBB325_770
; %bb.765:                              ;   in Loop: Header=BB325_11 Depth=1
	v_bfe_u32 v10, v31, 16, 7
	v_mov_b32_e32 v83, 0x7c01
	s_mov_b32 s23, exec_lo
	v_cmpx_ne_u32_e32 0x7f, v10
	s_cbranch_execz .LBB325_769
; %bb.766:                              ;   in Loop: Header=BB325_11 Depth=1
	v_and_b32_e32 v4, 7, v8
	v_lshrrev_b32_e32 v5, 3, v10
	s_mov_b32 s24, exec_lo
	v_cmpx_gt_u32_e32 8, v10
; %bb.767:                              ;   in Loop: Header=BB325_11 Depth=1
	v_ffbh_u32_e32 v4, v4
	v_min_u32_e32 v10, 32, v4
	v_subrev_nc_u32_e32 v4, 28, v10
	v_lshlrev_b64 v[4:5], v4, v[8:9]
	v_sub_nc_u32_e32 v5, 29, v10
	v_and_b32_e32 v4, 7, v4
; %bb.768:                              ;   in Loop: Header=BB325_11 Depth=1
	s_or_b32 exec_lo, exec_lo, s24
	v_lshlrev_b32_e32 v8, 8, v8
	v_lshl_add_u32 v5, v5, 10, 0x2000
	v_lshlrev_b32_e32 v4, 7, v4
	v_and_b32_e32 v8, 0x8000, v8
	v_and_b32_e32 v5, 0xfc00, v5
	v_or3_b32 v83, v8, v5, v4
.LBB325_769:                            ;   in Loop: Header=BB325_11 Depth=1
	s_or_b32 exec_lo, exec_lo, s23
.LBB325_770:                            ;   in Loop: Header=BB325_11 Depth=1
	s_or_b32 exec_lo, exec_lo, s22
.LBB325_771:                            ;   in Loop: Header=BB325_11 Depth=1
	s_or_b32 exec_lo, exec_lo, s21
	v_mov_b32_e32 v4, 0
	v_mov_b32_e32 v86, 0
	s_mov_b32 s21, exec_lo
	v_cmpx_lt_u64_e64 s[6:7], v[30:31]
	s_cbranch_execz .LBB325_779
; %bb.772:                              ;   in Loop: Header=BB325_11 Depth=1
	v_lshrrev_b32_e32 v8, 24, v31
	v_bfrev_b32_e32 v86, 1
	s_mov_b32 s22, exec_lo
	v_cmpx_ne_u32_e32 0x80, v8
	s_cbranch_execz .LBB325_778
; %bb.773:                              ;   in Loop: Header=BB325_11 Depth=1
	v_and_b32_e32 v14, 0x7f, v8
	v_mov_b32_e32 v86, 0x7c010000
	s_mov_b32 s23, exec_lo
	v_cmpx_ne_u32_e32 0x7f, v14
	s_cbranch_execz .LBB325_777
; %bb.774:                              ;   in Loop: Header=BB325_11 Depth=1
	v_and_b32_e32 v5, 7, v8
	v_lshrrev_b32_e32 v10, 3, v14
	s_mov_b32 s24, exec_lo
	v_cmpx_gt_u32_e32 8, v14
; %bb.775:                              ;   in Loop: Header=BB325_11 Depth=1
	v_ffbh_u32_e32 v5, v5
	v_min_u32_e32 v5, 32, v5
	v_subrev_nc_u32_e32 v10, 28, v5
	v_lshlrev_b64 v[16:17], v10, v[8:9]
	v_sub_nc_u32_e32 v10, 29, v5
	v_and_b32_e32 v5, 7, v16
; %bb.776:                              ;   in Loop: Header=BB325_11 Depth=1
	s_or_b32 exec_lo, exec_lo, s24
	v_lshlrev_b32_e32 v8, 8, v8
	v_lshl_add_u32 v10, v10, 10, 0x2000
	v_lshlrev_b32_e32 v5, 23, v5
	v_and_or_b32 v8, 0x8000, v8, v10
	v_lshl_or_b32 v86, v8, 16, v5
.LBB325_777:                            ;   in Loop: Header=BB325_11 Depth=1
	s_or_b32 exec_lo, exec_lo, s23
.LBB325_778:                            ;   in Loop: Header=BB325_11 Depth=1
	s_or_b32 exec_lo, exec_lo, s22
.LBB325_779:                            ;   in Loop: Header=BB325_11 Depth=1
	s_or_b32 exec_lo, exec_lo, s21
	flat_load_dwordx2 v[30:31], v[28:29] offset:1024
	s_waitcnt vmcnt(0) lgkmcnt(0)
	v_cmp_ne_u16_sdwa s5, v30, v9 src0_sel:BYTE_0 src1_sel:DWORD
	s_and_saveexec_b32 s21, s5
	s_cbranch_execz .LBB325_787
; %bb.780:                              ;   in Loop: Header=BB325_11 Depth=1
	v_cmp_ne_u16_sdwa s5, v30, v51 src0_sel:BYTE_0 src1_sel:DWORD
	v_mov_b32_e32 v4, 0x8000
	s_and_saveexec_b32 s22, s5
	s_cbranch_execz .LBB325_786
; %bb.781:                              ;   in Loop: Header=BB325_11 Depth=1
	v_and_b32_e32 v8, 0x7f, v30
	v_mov_b32_e32 v4, 0x7c01
	s_mov_b32 s23, exec_lo
	v_cmpx_ne_u32_e32 0x7f, v8
	s_cbranch_execz .LBB325_785
; %bb.782:                              ;   in Loop: Header=BB325_11 Depth=1
	v_and_b32_e32 v4, 7, v30
	v_lshrrev_b32_e32 v5, 3, v8
	s_mov_b32 s24, exec_lo
	v_cmpx_gt_u32_e32 8, v8
; %bb.783:                              ;   in Loop: Header=BB325_11 Depth=1
	v_ffbh_u32_e32 v4, v4
	v_min_u32_e32 v8, 32, v4
	v_subrev_nc_u32_e32 v4, 28, v8
	v_lshlrev_b64 v[4:5], v4, v[30:31]
	v_sub_nc_u32_e32 v5, 29, v8
	v_and_b32_e32 v4, 7, v4
; %bb.784:                              ;   in Loop: Header=BB325_11 Depth=1
	s_or_b32 exec_lo, exec_lo, s24
	v_lshlrev_b32_e32 v8, 8, v30
	v_lshl_add_u32 v5, v5, 10, 0x2000
	v_lshlrev_b32_e32 v4, 7, v4
	v_and_b32_e32 v8, 0x8000, v8
	v_and_b32_e32 v5, 0xfc00, v5
	v_or3_b32 v4, v8, v5, v4
.LBB325_785:                            ;   in Loop: Header=BB325_11 Depth=1
	s_or_b32 exec_lo, exec_lo, s23
.LBB325_786:                            ;   in Loop: Header=BB325_11 Depth=1
	s_or_b32 exec_lo, exec_lo, s22
.LBB325_787:                            ;   in Loop: Header=BB325_11 Depth=1
	s_or_b32 exec_lo, exec_lo, s21
	v_lshrrev_b16 v8, 8, v30
	v_mov_b32_e32 v10, 0
	v_mov_b32_e32 v5, 0
	s_mov_b32 s21, exec_lo
	v_cmpx_ne_u16_e32 0, v8
	s_cbranch_execz .LBB325_795
; %bb.788:                              ;   in Loop: Header=BB325_11 Depth=1
	v_bfrev_b32_e32 v5, 1
	s_mov_b32 s22, exec_lo
	v_cmpx_ne_u16_e32 0x80, v8
	s_cbranch_execz .LBB325_794
; %bb.789:                              ;   in Loop: Header=BB325_11 Depth=1
	v_mov_b32_e32 v5, 0x7f
	s_mov_b32 s23, exec_lo
	v_and_b32_sdwa v16, v8, v5 dst_sel:DWORD dst_unused:UNUSED_PAD src0_sel:WORD_0 src1_sel:DWORD
	v_mov_b32_e32 v5, 0x7c010000
	v_cmpx_ne_u32_e32 0x7f, v16
	s_cbranch_execz .LBB325_793
; %bb.790:                              ;   in Loop: Header=BB325_11 Depth=1
	v_mov_b32_e32 v5, 7
	v_lshrrev_b32_e32 v14, 3, v16
	s_mov_b32 s24, exec_lo
	v_and_b32_sdwa v5, v8, v5 dst_sel:DWORD dst_unused:UNUSED_PAD src0_sel:WORD_0 src1_sel:DWORD
	v_cmpx_gt_u32_e32 8, v16
; %bb.791:                              ;   in Loop: Header=BB325_11 Depth=1
	v_ffbh_u32_e32 v5, v5
	v_min_u32_e32 v5, 32, v5
	v_subrev_nc_u32_e32 v14, 28, v5
	v_lshlrev_b64 v[16:17], v14, v[8:9]
	v_sub_nc_u32_e32 v14, 29, v5
	v_and_b32_e32 v5, 7, v16
; %bb.792:                              ;   in Loop: Header=BB325_11 Depth=1
	s_or_b32 exec_lo, exec_lo, s24
	v_mov_b32_e32 v16, 8
	v_lshl_add_u32 v14, v14, 10, 0x2000
	v_lshlrev_b32_e32 v5, 23, v5
	v_lshlrev_b32_sdwa v8, v16, v8 dst_sel:DWORD dst_unused:UNUSED_PAD src0_sel:DWORD src1_sel:WORD_0
	v_and_or_b32 v8, 0x8000, v8, v14
	v_lshl_or_b32 v5, v8, 16, v5
.LBB325_793:                            ;   in Loop: Header=BB325_11 Depth=1
	s_or_b32 exec_lo, exec_lo, s23
.LBB325_794:                            ;   in Loop: Header=BB325_11 Depth=1
	s_or_b32 exec_lo, exec_lo, s22
.LBB325_795:                            ;   in Loop: Header=BB325_11 Depth=1
	s_or_b32 exec_lo, exec_lo, s21
	v_lshrrev_b32_e32 v8, 16, v30
	v_cmp_ne_u16_sdwa s5, v8, v9 src0_sel:BYTE_0 src1_sel:DWORD
	s_and_saveexec_b32 s21, s5
	s_cbranch_execz .LBB325_803
; %bb.796:                              ;   in Loop: Header=BB325_11 Depth=1
	v_cmp_ne_u16_sdwa s5, v8, v51 src0_sel:BYTE_0 src1_sel:DWORD
	v_mov_b32_e32 v10, 0x8000
	s_and_saveexec_b32 s22, s5
	s_cbranch_execz .LBB325_802
; %bb.797:                              ;   in Loop: Header=BB325_11 Depth=1
	v_bfe_u32 v16, v30, 16, 7
	v_mov_b32_e32 v10, 0x7c01
	s_mov_b32 s23, exec_lo
	v_cmpx_ne_u32_e32 0x7f, v16
	s_cbranch_execz .LBB325_801
; %bb.798:                              ;   in Loop: Header=BB325_11 Depth=1
	v_and_b32_e32 v10, 7, v8
	v_lshrrev_b32_e32 v14, 3, v16
	s_mov_b32 s24, exec_lo
	v_cmpx_gt_u32_e32 8, v16
; %bb.799:                              ;   in Loop: Header=BB325_11 Depth=1
	v_ffbh_u32_e32 v10, v10
	v_min_u32_e32 v10, 32, v10
	v_subrev_nc_u32_e32 v14, 28, v10
	v_lshlrev_b64 v[16:17], v14, v[8:9]
	v_sub_nc_u32_e32 v14, 29, v10
	v_and_b32_e32 v10, 7, v16
; %bb.800:                              ;   in Loop: Header=BB325_11 Depth=1
	s_or_b32 exec_lo, exec_lo, s24
	v_lshlrev_b32_e32 v8, 8, v8
	v_lshl_add_u32 v14, v14, 10, 0x2000
	v_lshlrev_b32_e32 v10, 7, v10
	v_and_b32_e32 v8, 0x8000, v8
	v_and_b32_e32 v14, 0xfc00, v14
	v_or3_b32 v10, v8, v14, v10
.LBB325_801:                            ;   in Loop: Header=BB325_11 Depth=1
	s_or_b32 exec_lo, exec_lo, s23
.LBB325_802:                            ;   in Loop: Header=BB325_11 Depth=1
	s_or_b32 exec_lo, exec_lo, s22
.LBB325_803:                            ;   in Loop: Header=BB325_11 Depth=1
	s_or_b32 exec_lo, exec_lo, s21
	v_mov_b32_e32 v22, 0
	v_mov_b32_e32 v14, 0
	s_mov_b32 s21, exec_lo
	v_cmpx_lt_u32_e32 0xffffff, v30
	s_cbranch_execz .LBB325_811
; %bb.804:                              ;   in Loop: Header=BB325_11 Depth=1
	v_lshrrev_b32_e32 v8, 24, v30
	v_bfrev_b32_e32 v14, 1
	s_mov_b32 s22, exec_lo
	v_cmpx_ne_u32_e32 0x80, v8
	s_cbranch_execz .LBB325_810
; %bb.805:                              ;   in Loop: Header=BB325_11 Depth=1
	v_and_b32_e32 v17, 0x7f, v8
	v_mov_b32_e32 v14, 0x7c010000
	s_mov_b32 s23, exec_lo
	v_cmpx_ne_u32_e32 0x7f, v17
	s_cbranch_execz .LBB325_809
; %bb.806:                              ;   in Loop: Header=BB325_11 Depth=1
	v_and_b32_e32 v14, 7, v8
	v_lshrrev_b32_e32 v16, 3, v17
	s_mov_b32 s24, exec_lo
	v_cmpx_gt_u32_e32 8, v17
; %bb.807:                              ;   in Loop: Header=BB325_11 Depth=1
	v_ffbh_u32_e32 v14, v14
	v_min_u32_e32 v14, 32, v14
	v_subrev_nc_u32_e32 v16, 28, v14
	v_lshlrev_b64 v[90:91], v16, v[8:9]
	v_sub_nc_u32_e32 v16, 29, v14
	v_and_b32_e32 v14, 7, v90
; %bb.808:                              ;   in Loop: Header=BB325_11 Depth=1
	s_or_b32 exec_lo, exec_lo, s24
	v_lshlrev_b32_e32 v8, 8, v8
	v_lshl_add_u32 v16, v16, 10, 0x2000
	v_lshlrev_b32_e32 v14, 23, v14
	v_and_or_b32 v8, 0x8000, v8, v16
	v_lshl_or_b32 v14, v8, 16, v14
.LBB325_809:                            ;   in Loop: Header=BB325_11 Depth=1
	s_or_b32 exec_lo, exec_lo, s23
.LBB325_810:                            ;   in Loop: Header=BB325_11 Depth=1
	s_or_b32 exec_lo, exec_lo, s22
.LBB325_811:                            ;   in Loop: Header=BB325_11 Depth=1
	s_or_b32 exec_lo, exec_lo, s21
	v_mov_b32_e32 v8, v31
	v_cmp_ne_u16_sdwa s5, v31, v9 src0_sel:BYTE_0 src1_sel:DWORD
	s_and_saveexec_b32 s21, s5
	s_cbranch_execz .LBB325_819
; %bb.812:                              ;   in Loop: Header=BB325_11 Depth=1
	v_cmp_ne_u16_sdwa s5, v31, v51 src0_sel:BYTE_0 src1_sel:DWORD
	v_mov_b32_e32 v22, 0x8000
	s_and_saveexec_b32 s22, s5
	s_cbranch_execz .LBB325_818
; %bb.813:                              ;   in Loop: Header=BB325_11 Depth=1
	v_and_b32_e32 v23, 0x7f, v31
	v_mov_b32_e32 v22, 0x7c01
	s_mov_b32 s23, exec_lo
	v_cmpx_ne_u32_e32 0x7f, v23
	s_cbranch_execz .LBB325_817
; %bb.814:                              ;   in Loop: Header=BB325_11 Depth=1
	v_and_b32_e32 v16, 7, v31
	v_lshrrev_b32_e32 v17, 3, v23
	s_mov_b32 s24, exec_lo
	v_cmpx_gt_u32_e32 8, v23
; %bb.815:                              ;   in Loop: Header=BB325_11 Depth=1
	v_ffbh_u32_e32 v16, v16
	v_min_u32_e32 v22, 32, v16
	v_subrev_nc_u32_e32 v16, 28, v22
	v_lshlrev_b64 v[16:17], v16, v[8:9]
	v_sub_nc_u32_e32 v17, 29, v22
	v_and_b32_e32 v16, 7, v16
; %bb.816:                              ;   in Loop: Header=BB325_11 Depth=1
	s_or_b32 exec_lo, exec_lo, s24
	v_lshlrev_b32_e32 v22, 8, v31
	v_lshl_add_u32 v17, v17, 10, 0x2000
	v_lshlrev_b32_e32 v16, 7, v16
	v_and_b32_e32 v22, 0x8000, v22
	v_and_b32_e32 v17, 0xfc00, v17
	v_or3_b32 v22, v22, v17, v16
.LBB325_817:                            ;   in Loop: Header=BB325_11 Depth=1
	s_or_b32 exec_lo, exec_lo, s23
.LBB325_818:                            ;   in Loop: Header=BB325_11 Depth=1
	s_or_b32 exec_lo, exec_lo, s22
.LBB325_819:                            ;   in Loop: Header=BB325_11 Depth=1
	s_or_b32 exec_lo, exec_lo, s21
	v_lshrrev_b16 v8, 8, v8
	v_mov_b32_e32 v35, 0
	v_mov_b32_e32 v23, 0
	s_mov_b32 s21, exec_lo
	v_cmpx_ne_u16_e32 0, v8
	s_cbranch_execz .LBB325_827
; %bb.820:                              ;   in Loop: Header=BB325_11 Depth=1
	v_bfrev_b32_e32 v23, 1
	s_mov_b32 s22, exec_lo
	v_cmpx_ne_u16_e32 0x80, v8
	s_cbranch_execz .LBB325_826
; %bb.821:                              ;   in Loop: Header=BB325_11 Depth=1
	v_mov_b32_e32 v16, 0x7f
	v_mov_b32_e32 v23, 0x7c010000
	s_mov_b32 s23, exec_lo
	v_and_b32_sdwa v37, v8, v16 dst_sel:DWORD dst_unused:UNUSED_PAD src0_sel:WORD_0 src1_sel:DWORD
	v_cmpx_ne_u32_e32 0x7f, v37
	s_cbranch_execz .LBB325_825
; %bb.822:                              ;   in Loop: Header=BB325_11 Depth=1
	v_mov_b32_e32 v16, 7
	v_lshrrev_b32_e32 v17, 3, v37
	s_mov_b32 s24, exec_lo
	v_and_b32_sdwa v16, v8, v16 dst_sel:DWORD dst_unused:UNUSED_PAD src0_sel:WORD_0 src1_sel:DWORD
	v_cmpx_gt_u32_e32 8, v37
; %bb.823:                              ;   in Loop: Header=BB325_11 Depth=1
	v_ffbh_u32_e32 v16, v16
	v_min_u32_e32 v23, 32, v16
	v_subrev_nc_u32_e32 v16, 28, v23
	v_lshlrev_b64 v[16:17], v16, v[8:9]
	v_sub_nc_u32_e32 v17, 29, v23
	v_and_b32_e32 v16, 7, v16
; %bb.824:                              ;   in Loop: Header=BB325_11 Depth=1
	s_or_b32 exec_lo, exec_lo, s24
	v_mov_b32_e32 v23, 8
	v_lshl_add_u32 v17, v17, 10, 0x2000
	v_lshlrev_b32_e32 v16, 23, v16
	v_lshlrev_b32_sdwa v8, v23, v8 dst_sel:DWORD dst_unused:UNUSED_PAD src0_sel:DWORD src1_sel:WORD_0
	v_and_or_b32 v8, 0x8000, v8, v17
	v_lshl_or_b32 v23, v8, 16, v16
.LBB325_825:                            ;   in Loop: Header=BB325_11 Depth=1
	s_or_b32 exec_lo, exec_lo, s23
.LBB325_826:                            ;   in Loop: Header=BB325_11 Depth=1
	s_or_b32 exec_lo, exec_lo, s22
.LBB325_827:                            ;   in Loop: Header=BB325_11 Depth=1
	s_or_b32 exec_lo, exec_lo, s21
	v_lshrrev_b32_e32 v8, 16, v31
	v_cmp_ne_u16_sdwa s5, v8, v9 src0_sel:BYTE_0 src1_sel:DWORD
	s_and_saveexec_b32 s21, s5
	s_cbranch_execz .LBB325_835
; %bb.828:                              ;   in Loop: Header=BB325_11 Depth=1
	v_cmp_ne_u16_sdwa s5, v8, v51 src0_sel:BYTE_0 src1_sel:DWORD
	v_mov_b32_e32 v35, 0x8000
	s_and_saveexec_b32 s22, s5
	s_cbranch_execz .LBB325_834
; %bb.829:                              ;   in Loop: Header=BB325_11 Depth=1
	v_bfe_u32 v37, v31, 16, 7
	v_mov_b32_e32 v35, 0x7c01
	s_mov_b32 s23, exec_lo
	v_cmpx_ne_u32_e32 0x7f, v37
	s_cbranch_execz .LBB325_833
; %bb.830:                              ;   in Loop: Header=BB325_11 Depth=1
	v_and_b32_e32 v16, 7, v8
	v_lshrrev_b32_e32 v17, 3, v37
	s_mov_b32 s24, exec_lo
	v_cmpx_gt_u32_e32 8, v37
; %bb.831:                              ;   in Loop: Header=BB325_11 Depth=1
	v_ffbh_u32_e32 v16, v16
	v_min_u32_e32 v35, 32, v16
	v_subrev_nc_u32_e32 v16, 28, v35
	v_lshlrev_b64 v[16:17], v16, v[8:9]
	v_sub_nc_u32_e32 v17, 29, v35
	v_and_b32_e32 v16, 7, v16
; %bb.832:                              ;   in Loop: Header=BB325_11 Depth=1
	s_or_b32 exec_lo, exec_lo, s24
	v_lshlrev_b32_e32 v8, 8, v8
	v_lshl_add_u32 v17, v17, 10, 0x2000
	v_lshlrev_b32_e32 v16, 7, v16
	v_and_b32_e32 v8, 0x8000, v8
	v_and_b32_e32 v17, 0xfc00, v17
	v_or3_b32 v35, v8, v17, v16
.LBB325_833:                            ;   in Loop: Header=BB325_11 Depth=1
	s_or_b32 exec_lo, exec_lo, s23
.LBB325_834:                            ;   in Loop: Header=BB325_11 Depth=1
	s_or_b32 exec_lo, exec_lo, s22
.LBB325_835:                            ;   in Loop: Header=BB325_11 Depth=1
	s_or_b32 exec_lo, exec_lo, s21
	v_mov_b32_e32 v16, 0
	v_mov_b32_e32 v39, 0
	s_mov_b32 s21, exec_lo
	v_cmpx_lt_u64_e64 s[6:7], v[30:31]
	s_cbranch_execz .LBB325_843
; %bb.836:                              ;   in Loop: Header=BB325_11 Depth=1
	v_lshrrev_b32_e32 v8, 24, v31
	v_bfrev_b32_e32 v39, 1
	s_mov_b32 s22, exec_lo
	v_cmpx_ne_u32_e32 0x80, v8
	s_cbranch_execz .LBB325_842
; %bb.837:                              ;   in Loop: Header=BB325_11 Depth=1
	v_and_b32_e32 v31, 0x7f, v8
	v_mov_b32_e32 v39, 0x7c010000
	s_mov_b32 s23, exec_lo
	v_cmpx_ne_u32_e32 0x7f, v31
	s_cbranch_execz .LBB325_841
; %bb.838:                              ;   in Loop: Header=BB325_11 Depth=1
	v_and_b32_e32 v17, 7, v8
	v_lshrrev_b32_e32 v30, 3, v31
	s_mov_b32 s24, exec_lo
	v_cmpx_gt_u32_e32 8, v31
; %bb.839:                              ;   in Loop: Header=BB325_11 Depth=1
	v_ffbh_u32_e32 v17, v17
	v_min_u32_e32 v17, 32, v17
	v_subrev_nc_u32_e32 v30, 28, v17
	v_lshlrev_b64 v[90:91], v30, v[8:9]
	v_sub_nc_u32_e32 v30, 29, v17
	v_and_b32_e32 v17, 7, v90
; %bb.840:                              ;   in Loop: Header=BB325_11 Depth=1
	s_or_b32 exec_lo, exec_lo, s24
	v_lshlrev_b32_e32 v8, 8, v8
	v_lshl_add_u32 v30, v30, 10, 0x2000
	v_lshlrev_b32_e32 v17, 23, v17
	v_and_or_b32 v8, 0x8000, v8, v30
	v_lshl_or_b32 v39, v8, 16, v17
.LBB325_841:                            ;   in Loop: Header=BB325_11 Depth=1
	s_or_b32 exec_lo, exec_lo, s23
.LBB325_842:                            ;   in Loop: Header=BB325_11 Depth=1
	s_or_b32 exec_lo, exec_lo, s22
.LBB325_843:                            ;   in Loop: Header=BB325_11 Depth=1
	s_or_b32 exec_lo, exec_lo, s21
	flat_load_dwordx2 v[30:31], v[28:29] offset:1032
	s_waitcnt vmcnt(0) lgkmcnt(0)
	v_cmp_ne_u16_sdwa s5, v30, v9 src0_sel:BYTE_0 src1_sel:DWORD
	s_and_saveexec_b32 s21, s5
	s_cbranch_execz .LBB325_851
; %bb.844:                              ;   in Loop: Header=BB325_11 Depth=1
	v_cmp_ne_u16_sdwa s5, v30, v51 src0_sel:BYTE_0 src1_sel:DWORD
	v_mov_b32_e32 v16, 0x8000
	s_and_saveexec_b32 s22, s5
	s_cbranch_execz .LBB325_850
; %bb.845:                              ;   in Loop: Header=BB325_11 Depth=1
	v_and_b32_e32 v17, 0x7f, v30
	v_mov_b32_e32 v16, 0x7c01
	s_mov_b32 s23, exec_lo
	v_cmpx_ne_u32_e32 0x7f, v17
	s_cbranch_execz .LBB325_849
; %bb.846:                              ;   in Loop: Header=BB325_11 Depth=1
	v_and_b32_e32 v8, 7, v30
	v_lshrrev_b32_e32 v16, 3, v17
	s_mov_b32 s24, exec_lo
	v_cmpx_gt_u32_e32 8, v17
; %bb.847:                              ;   in Loop: Header=BB325_11 Depth=1
	v_ffbh_u32_e32 v8, v8
	v_min_u32_e32 v8, 32, v8
	v_subrev_nc_u32_e32 v16, 28, v8
	v_lshlrev_b64 v[90:91], v16, v[30:31]
	v_sub_nc_u32_e32 v16, 29, v8
	v_and_b32_e32 v8, 7, v90
; %bb.848:                              ;   in Loop: Header=BB325_11 Depth=1
	s_or_b32 exec_lo, exec_lo, s24
	v_lshlrev_b32_e32 v17, 8, v30
	v_lshl_add_u32 v16, v16, 10, 0x2000
	v_lshlrev_b32_e32 v8, 7, v8
	v_and_b32_e32 v17, 0x8000, v17
	v_and_b32_e32 v16, 0xfc00, v16
	v_or3_b32 v16, v17, v16, v8
.LBB325_849:                            ;   in Loop: Header=BB325_11 Depth=1
	s_or_b32 exec_lo, exec_lo, s23
.LBB325_850:                            ;   in Loop: Header=BB325_11 Depth=1
	s_or_b32 exec_lo, exec_lo, s22
.LBB325_851:                            ;   in Loop: Header=BB325_11 Depth=1
	s_or_b32 exec_lo, exec_lo, s21
	v_lshrrev_b16 v8, 8, v30
	v_mov_b32_e32 v37, 0
	v_mov_b32_e32 v17, 0
	s_mov_b32 s21, exec_lo
	v_cmpx_ne_u16_e32 0, v8
	s_cbranch_execz .LBB325_859
; %bb.852:                              ;   in Loop: Header=BB325_11 Depth=1
	v_bfrev_b32_e32 v17, 1
	s_mov_b32 s22, exec_lo
	v_cmpx_ne_u16_e32 0x80, v8
	s_cbranch_execz .LBB325_858
; %bb.853:                              ;   in Loop: Header=BB325_11 Depth=1
	v_mov_b32_e32 v17, 0x7f
	s_mov_b32 s23, exec_lo
	v_and_b32_sdwa v55, v8, v17 dst_sel:DWORD dst_unused:UNUSED_PAD src0_sel:WORD_0 src1_sel:DWORD
	v_mov_b32_e32 v17, 0x7c010000
	v_cmpx_ne_u32_e32 0x7f, v55
	s_cbranch_execz .LBB325_857
; %bb.854:                              ;   in Loop: Header=BB325_11 Depth=1
	v_mov_b32_e32 v17, 7
	v_lshrrev_b32_e32 v50, 3, v55
	s_mov_b32 s24, exec_lo
	v_and_b32_sdwa v17, v8, v17 dst_sel:DWORD dst_unused:UNUSED_PAD src0_sel:WORD_0 src1_sel:DWORD
	v_cmpx_gt_u32_e32 8, v55
; %bb.855:                              ;   in Loop: Header=BB325_11 Depth=1
	v_ffbh_u32_e32 v17, v17
	v_min_u32_e32 v17, 32, v17
	v_subrev_nc_u32_e32 v50, 28, v17
	v_lshlrev_b64 v[90:91], v50, v[8:9]
	v_sub_nc_u32_e32 v50, 29, v17
	v_and_b32_e32 v17, 7, v90
; %bb.856:                              ;   in Loop: Header=BB325_11 Depth=1
	s_or_b32 exec_lo, exec_lo, s24
	v_mov_b32_e32 v55, 8
	v_lshl_add_u32 v50, v50, 10, 0x2000
	v_lshlrev_b32_e32 v17, 23, v17
	v_lshlrev_b32_sdwa v8, v55, v8 dst_sel:DWORD dst_unused:UNUSED_PAD src0_sel:DWORD src1_sel:WORD_0
	v_and_or_b32 v8, 0x8000, v8, v50
	v_lshl_or_b32 v17, v8, 16, v17
.LBB325_857:                            ;   in Loop: Header=BB325_11 Depth=1
	s_or_b32 exec_lo, exec_lo, s23
.LBB325_858:                            ;   in Loop: Header=BB325_11 Depth=1
	s_or_b32 exec_lo, exec_lo, s22
.LBB325_859:                            ;   in Loop: Header=BB325_11 Depth=1
	s_or_b32 exec_lo, exec_lo, s21
	v_lshrrev_b32_e32 v8, 16, v30
	v_cmp_ne_u16_sdwa s5, v8, v9 src0_sel:BYTE_0 src1_sel:DWORD
	s_and_saveexec_b32 s21, s5
	s_cbranch_execz .LBB325_867
; %bb.860:                              ;   in Loop: Header=BB325_11 Depth=1
	v_cmp_ne_u16_sdwa s5, v8, v51 src0_sel:BYTE_0 src1_sel:DWORD
	v_mov_b32_e32 v37, 0x8000
	s_and_saveexec_b32 s22, s5
	s_cbranch_execz .LBB325_866
; %bb.861:                              ;   in Loop: Header=BB325_11 Depth=1
	v_bfe_u32 v55, v30, 16, 7
	v_mov_b32_e32 v37, 0x7c01
	s_mov_b32 s23, exec_lo
	v_cmpx_ne_u32_e32 0x7f, v55
	s_cbranch_execz .LBB325_865
; %bb.862:                              ;   in Loop: Header=BB325_11 Depth=1
	v_and_b32_e32 v37, 7, v8
	v_lshrrev_b32_e32 v50, 3, v55
	s_mov_b32 s24, exec_lo
	v_cmpx_gt_u32_e32 8, v55
; %bb.863:                              ;   in Loop: Header=BB325_11 Depth=1
	v_ffbh_u32_e32 v37, v37
	v_min_u32_e32 v37, 32, v37
	v_subrev_nc_u32_e32 v50, 28, v37
	v_lshlrev_b64 v[90:91], v50, v[8:9]
	v_sub_nc_u32_e32 v50, 29, v37
	v_and_b32_e32 v37, 7, v90
; %bb.864:                              ;   in Loop: Header=BB325_11 Depth=1
	s_or_b32 exec_lo, exec_lo, s24
	v_lshlrev_b32_e32 v8, 8, v8
	v_lshl_add_u32 v50, v50, 10, 0x2000
	v_lshlrev_b32_e32 v37, 7, v37
	v_and_b32_e32 v8, 0x8000, v8
	v_and_b32_e32 v50, 0xfc00, v50
	v_or3_b32 v37, v8, v50, v37
.LBB325_865:                            ;   in Loop: Header=BB325_11 Depth=1
	s_or_b32 exec_lo, exec_lo, s23
.LBB325_866:                            ;   in Loop: Header=BB325_11 Depth=1
	s_or_b32 exec_lo, exec_lo, s22
.LBB325_867:                            ;   in Loop: Header=BB325_11 Depth=1
	s_or_b32 exec_lo, exec_lo, s21
	v_mov_b32_e32 v100, 0
	v_mov_b32_e32 v106, 0
	s_mov_b32 s21, exec_lo
	v_cmpx_lt_u32_e32 0xffffff, v30
	s_cbranch_execz .LBB325_875
; %bb.868:                              ;   in Loop: Header=BB325_11 Depth=1
	v_lshrrev_b32_e32 v8, 24, v30
	v_bfrev_b32_e32 v106, 1
	s_mov_b32 s22, exec_lo
	v_cmpx_ne_u32_e32 0x80, v8
	s_cbranch_execz .LBB325_874
; %bb.869:                              ;   in Loop: Header=BB325_11 Depth=1
	v_and_b32_e32 v66, 0x7f, v8
	v_mov_b32_e32 v106, 0x7c010000
	s_mov_b32 s23, exec_lo
	v_cmpx_ne_u32_e32 0x7f, v66
	s_cbranch_execz .LBB325_873
; %bb.870:                              ;   in Loop: Header=BB325_11 Depth=1
	v_and_b32_e32 v50, 7, v8
	v_lshrrev_b32_e32 v55, 3, v66
	s_mov_b32 s24, exec_lo
	v_cmpx_gt_u32_e32 8, v66
; %bb.871:                              ;   in Loop: Header=BB325_11 Depth=1
	v_ffbh_u32_e32 v50, v50
	v_min_u32_e32 v50, 32, v50
	v_subrev_nc_u32_e32 v55, 28, v50
	v_lshlrev_b64 v[90:91], v55, v[8:9]
	v_sub_nc_u32_e32 v55, 29, v50
	v_and_b32_e32 v50, 7, v90
; %bb.872:                              ;   in Loop: Header=BB325_11 Depth=1
	s_or_b32 exec_lo, exec_lo, s24
	v_lshlrev_b32_e32 v8, 8, v8
	v_lshl_add_u32 v55, v55, 10, 0x2000
	v_lshlrev_b32_e32 v50, 23, v50
	v_and_or_b32 v8, 0x8000, v8, v55
	v_lshl_or_b32 v106, v8, 16, v50
.LBB325_873:                            ;   in Loop: Header=BB325_11 Depth=1
	s_or_b32 exec_lo, exec_lo, s23
.LBB325_874:                            ;   in Loop: Header=BB325_11 Depth=1
	s_or_b32 exec_lo, exec_lo, s22
.LBB325_875:                            ;   in Loop: Header=BB325_11 Depth=1
	s_or_b32 exec_lo, exec_lo, s21
	v_mov_b32_e32 v8, v31
	v_cmp_ne_u16_sdwa s5, v31, v9 src0_sel:BYTE_0 src1_sel:DWORD
	s_and_saveexec_b32 s21, s5
	s_cbranch_execz .LBB325_883
; %bb.876:                              ;   in Loop: Header=BB325_11 Depth=1
	v_cmp_ne_u16_sdwa s5, v31, v51 src0_sel:BYTE_0 src1_sel:DWORD
	v_mov_b32_e32 v100, 0x8000
	s_and_saveexec_b32 s22, s5
	s_cbranch_execz .LBB325_882
; %bb.877:                              ;   in Loop: Header=BB325_11 Depth=1
	v_and_b32_e32 v66, 0x7f, v31
	v_mov_b32_e32 v100, 0x7c01
	s_mov_b32 s23, exec_lo
	v_cmpx_ne_u32_e32 0x7f, v66
	s_cbranch_execz .LBB325_881
; %bb.878:                              ;   in Loop: Header=BB325_11 Depth=1
	v_and_b32_e32 v50, 7, v31
	v_lshrrev_b32_e32 v55, 3, v66
	s_mov_b32 s24, exec_lo
	v_cmpx_gt_u32_e32 8, v66
; %bb.879:                              ;   in Loop: Header=BB325_11 Depth=1
	v_ffbh_u32_e32 v50, v50
	v_min_u32_e32 v50, 32, v50
	v_subrev_nc_u32_e32 v55, 28, v50
	v_lshlrev_b64 v[90:91], v55, v[8:9]
	v_sub_nc_u32_e32 v55, 29, v50
	v_and_b32_e32 v50, 7, v90
; %bb.880:                              ;   in Loop: Header=BB325_11 Depth=1
	s_or_b32 exec_lo, exec_lo, s24
	v_lshlrev_b32_e32 v66, 8, v31
	v_lshl_add_u32 v55, v55, 10, 0x2000
	v_lshlrev_b32_e32 v50, 7, v50
	v_and_b32_e32 v66, 0x8000, v66
	v_and_b32_e32 v55, 0xfc00, v55
	v_or3_b32 v100, v66, v55, v50
.LBB325_881:                            ;   in Loop: Header=BB325_11 Depth=1
	s_or_b32 exec_lo, exec_lo, s23
.LBB325_882:                            ;   in Loop: Header=BB325_11 Depth=1
	s_or_b32 exec_lo, exec_lo, s22
.LBB325_883:                            ;   in Loop: Header=BB325_11 Depth=1
	s_or_b32 exec_lo, exec_lo, s21
	v_lshrrev_b16 v8, 8, v8
	v_mov_b32_e32 v50, 0
	v_mov_b32_e32 v90, 0
	s_mov_b32 s21, exec_lo
	v_cmpx_ne_u16_e32 0, v8
	s_cbranch_execz .LBB325_891
; %bb.884:                              ;   in Loop: Header=BB325_11 Depth=1
	v_bfrev_b32_e32 v90, 1
	s_mov_b32 s22, exec_lo
	v_cmpx_ne_u16_e32 0x80, v8
	s_cbranch_execz .LBB325_890
; %bb.885:                              ;   in Loop: Header=BB325_11 Depth=1
	v_mov_b32_e32 v55, 0x7f
	v_mov_b32_e32 v90, 0x7c010000
	s_mov_b32 s23, exec_lo
	v_and_b32_sdwa v69, v8, v55 dst_sel:DWORD dst_unused:UNUSED_PAD src0_sel:WORD_0 src1_sel:DWORD
	v_cmpx_ne_u32_e32 0x7f, v69
	s_cbranch_execz .LBB325_889
; %bb.886:                              ;   in Loop: Header=BB325_11 Depth=1
	v_mov_b32_e32 v55, 7
	v_lshrrev_b32_e32 v66, 3, v69
	s_mov_b32 s24, exec_lo
	v_and_b32_sdwa v55, v8, v55 dst_sel:DWORD dst_unused:UNUSED_PAD src0_sel:WORD_0 src1_sel:DWORD
	v_cmpx_gt_u32_e32 8, v69
; %bb.887:                              ;   in Loop: Header=BB325_11 Depth=1
	v_ffbh_u32_e32 v55, v55
	v_min_u32_e32 v55, 32, v55
	v_subrev_nc_u32_e32 v66, 28, v55
	v_lshlrev_b64 v[90:91], v66, v[8:9]
	v_sub_nc_u32_e32 v66, 29, v55
	v_and_b32_e32 v55, 7, v90
; %bb.888:                              ;   in Loop: Header=BB325_11 Depth=1
	s_or_b32 exec_lo, exec_lo, s24
	v_mov_b32_e32 v69, 8
	v_lshl_add_u32 v66, v66, 10, 0x2000
	v_lshlrev_b32_e32 v55, 23, v55
	v_lshlrev_b32_sdwa v8, v69, v8 dst_sel:DWORD dst_unused:UNUSED_PAD src0_sel:DWORD src1_sel:WORD_0
	v_and_or_b32 v8, 0x8000, v8, v66
	v_lshl_or_b32 v90, v8, 16, v55
.LBB325_889:                            ;   in Loop: Header=BB325_11 Depth=1
	s_or_b32 exec_lo, exec_lo, s23
.LBB325_890:                            ;   in Loop: Header=BB325_11 Depth=1
	s_or_b32 exec_lo, exec_lo, s22
.LBB325_891:                            ;   in Loop: Header=BB325_11 Depth=1
	s_or_b32 exec_lo, exec_lo, s21
	v_lshrrev_b32_e32 v8, 16, v31
	v_cmp_ne_u16_sdwa s5, v8, v9 src0_sel:BYTE_0 src1_sel:DWORD
	s_and_saveexec_b32 s21, s5
	s_cbranch_execz .LBB325_899
; %bb.892:                              ;   in Loop: Header=BB325_11 Depth=1
	v_cmp_ne_u16_sdwa s5, v8, v51 src0_sel:BYTE_0 src1_sel:DWORD
	v_mov_b32_e32 v50, 0x8000
	s_and_saveexec_b32 s22, s5
	s_cbranch_execz .LBB325_898
; %bb.893:                              ;   in Loop: Header=BB325_11 Depth=1
	v_bfe_u32 v66, v31, 16, 7
	v_mov_b32_e32 v50, 0x7c01
	s_mov_b32 s23, exec_lo
	v_cmpx_ne_u32_e32 0x7f, v66
	s_cbranch_execz .LBB325_897
; %bb.894:                              ;   in Loop: Header=BB325_11 Depth=1
	v_and_b32_e32 v50, 7, v8
	v_lshrrev_b32_e32 v55, 3, v66
	s_mov_b32 s24, exec_lo
	v_cmpx_gt_u32_e32 8, v66
; %bb.895:                              ;   in Loop: Header=BB325_11 Depth=1
	v_ffbh_u32_e32 v50, v50
	v_min_u32_e32 v50, 32, v50
	v_subrev_nc_u32_e32 v55, 28, v50
	v_lshlrev_b64 v[91:92], v55, v[8:9]
	v_sub_nc_u32_e32 v55, 29, v50
	v_and_b32_e32 v50, 7, v91
; %bb.896:                              ;   in Loop: Header=BB325_11 Depth=1
	s_or_b32 exec_lo, exec_lo, s24
	v_lshlrev_b32_e32 v8, 8, v8
	v_lshl_add_u32 v55, v55, 10, 0x2000
	v_lshlrev_b32_e32 v50, 7, v50
	v_and_b32_e32 v8, 0x8000, v8
	v_and_b32_e32 v55, 0xfc00, v55
	v_or3_b32 v50, v8, v55, v50
.LBB325_897:                            ;   in Loop: Header=BB325_11 Depth=1
	s_or_b32 exec_lo, exec_lo, s23
.LBB325_898:                            ;   in Loop: Header=BB325_11 Depth=1
	s_or_b32 exec_lo, exec_lo, s22
.LBB325_899:                            ;   in Loop: Header=BB325_11 Depth=1
	s_or_b32 exec_lo, exec_lo, s21
	v_mov_b32_e32 v94, 0
	v_mov_b32_e32 v102, 0
	s_mov_b32 s21, exec_lo
	v_cmpx_lt_u64_e64 s[6:7], v[30:31]
	s_cbranch_execz .LBB325_907
; %bb.900:                              ;   in Loop: Header=BB325_11 Depth=1
	v_lshrrev_b32_e32 v8, 24, v31
	v_bfrev_b32_e32 v102, 1
	s_mov_b32 s22, exec_lo
	v_cmpx_ne_u32_e32 0x80, v8
	s_cbranch_execz .LBB325_906
; %bb.901:                              ;   in Loop: Header=BB325_11 Depth=1
	v_and_b32_e32 v55, 0x7f, v8
	v_mov_b32_e32 v102, 0x7c010000
	s_mov_b32 s23, exec_lo
	v_cmpx_ne_u32_e32 0x7f, v55
	s_cbranch_execz .LBB325_905
; %bb.902:                              ;   in Loop: Header=BB325_11 Depth=1
	v_and_b32_e32 v30, 7, v8
	v_lshrrev_b32_e32 v31, 3, v55
	s_mov_b32 s24, exec_lo
	v_cmpx_gt_u32_e32 8, v55
; %bb.903:                              ;   in Loop: Header=BB325_11 Depth=1
	v_ffbh_u32_e32 v30, v30
	v_min_u32_e32 v55, 32, v30
	v_subrev_nc_u32_e32 v30, 28, v55
	v_lshlrev_b64 v[30:31], v30, v[8:9]
	v_sub_nc_u32_e32 v31, 29, v55
	v_and_b32_e32 v30, 7, v30
; %bb.904:                              ;   in Loop: Header=BB325_11 Depth=1
	s_or_b32 exec_lo, exec_lo, s24
	v_lshlrev_b32_e32 v8, 8, v8
	v_lshl_add_u32 v31, v31, 10, 0x2000
	v_lshlrev_b32_e32 v30, 23, v30
	v_and_or_b32 v8, 0x8000, v8, v31
	v_lshl_or_b32 v102, v8, 16, v30
.LBB325_905:                            ;   in Loop: Header=BB325_11 Depth=1
	s_or_b32 exec_lo, exec_lo, s23
.LBB325_906:                            ;   in Loop: Header=BB325_11 Depth=1
	s_or_b32 exec_lo, exec_lo, s22
.LBB325_907:                            ;   in Loop: Header=BB325_11 Depth=1
	s_or_b32 exec_lo, exec_lo, s21
	flat_load_dwordx2 v[30:31], v[28:29] offset:1536
	s_waitcnt vmcnt(0) lgkmcnt(0)
	v_cmp_ne_u16_sdwa s5, v30, v9 src0_sel:BYTE_0 src1_sel:DWORD
	s_and_saveexec_b32 s21, s5
	s_cbranch_execz .LBB325_915
; %bb.908:                              ;   in Loop: Header=BB325_11 Depth=1
	v_cmp_ne_u16_sdwa s5, v30, v51 src0_sel:BYTE_0 src1_sel:DWORD
	v_mov_b32_e32 v94, 0x8000
	s_and_saveexec_b32 s22, s5
	s_cbranch_execz .LBB325_914
; %bb.909:                              ;   in Loop: Header=BB325_11 Depth=1
	v_and_b32_e32 v66, 0x7f, v30
	v_mov_b32_e32 v94, 0x7c01
	s_mov_b32 s23, exec_lo
	v_cmpx_ne_u32_e32 0x7f, v66
	s_cbranch_execz .LBB325_913
; %bb.910:                              ;   in Loop: Header=BB325_11 Depth=1
	v_and_b32_e32 v8, 7, v30
	v_lshrrev_b32_e32 v55, 3, v66
	s_mov_b32 s24, exec_lo
	v_cmpx_gt_u32_e32 8, v66
; %bb.911:                              ;   in Loop: Header=BB325_11 Depth=1
	v_ffbh_u32_e32 v8, v8
	v_min_u32_e32 v8, 32, v8
	v_subrev_nc_u32_e32 v55, 28, v8
	v_lshlrev_b64 v[91:92], v55, v[30:31]
	v_sub_nc_u32_e32 v55, 29, v8
	v_and_b32_e32 v8, 7, v91
; %bb.912:                              ;   in Loop: Header=BB325_11 Depth=1
	s_or_b32 exec_lo, exec_lo, s24
	v_lshlrev_b32_e32 v66, 8, v30
	v_lshl_add_u32 v55, v55, 10, 0x2000
	v_lshlrev_b32_e32 v8, 7, v8
	v_and_b32_e32 v66, 0x8000, v66
	v_and_b32_e32 v55, 0xfc00, v55
	v_or3_b32 v94, v66, v55, v8
.LBB325_913:                            ;   in Loop: Header=BB325_11 Depth=1
	s_or_b32 exec_lo, exec_lo, s23
.LBB325_914:                            ;   in Loop: Header=BB325_11 Depth=1
	s_or_b32 exec_lo, exec_lo, s22
.LBB325_915:                            ;   in Loop: Header=BB325_11 Depth=1
	s_or_b32 exec_lo, exec_lo, s21
	v_lshrrev_b16 v8, 8, v30
	v_mov_b32_e32 v71, 0
	v_mov_b32_e32 v69, 0
	s_mov_b32 s21, exec_lo
	v_cmpx_ne_u16_e32 0, v8
	s_cbranch_execz .LBB325_923
; %bb.916:                              ;   in Loop: Header=BB325_11 Depth=1
	v_bfrev_b32_e32 v69, 1
	s_mov_b32 s22, exec_lo
	v_cmpx_ne_u16_e32 0x80, v8
	s_cbranch_execz .LBB325_922
; %bb.917:                              ;   in Loop: Header=BB325_11 Depth=1
	v_mov_b32_e32 v55, 0x7f
	v_mov_b32_e32 v69, 0x7c010000
	s_mov_b32 s23, exec_lo
	v_and_b32_sdwa v80, v8, v55 dst_sel:DWORD dst_unused:UNUSED_PAD src0_sel:WORD_0 src1_sel:DWORD
	v_cmpx_ne_u32_e32 0x7f, v80
	s_cbranch_execz .LBB325_921
; %bb.918:                              ;   in Loop: Header=BB325_11 Depth=1
	v_mov_b32_e32 v55, 7
	v_lshrrev_b32_e32 v66, 3, v80
	s_mov_b32 s24, exec_lo
	v_and_b32_sdwa v55, v8, v55 dst_sel:DWORD dst_unused:UNUSED_PAD src0_sel:WORD_0 src1_sel:DWORD
	v_cmpx_gt_u32_e32 8, v80
; %bb.919:                              ;   in Loop: Header=BB325_11 Depth=1
	v_ffbh_u32_e32 v55, v55
	v_min_u32_e32 v55, 32, v55
	v_subrev_nc_u32_e32 v66, 28, v55
	v_lshlrev_b64 v[91:92], v66, v[8:9]
	v_sub_nc_u32_e32 v66, 29, v55
	v_and_b32_e32 v55, 7, v91
; %bb.920:                              ;   in Loop: Header=BB325_11 Depth=1
	s_or_b32 exec_lo, exec_lo, s24
	v_mov_b32_e32 v69, 8
	v_lshl_add_u32 v66, v66, 10, 0x2000
	v_lshlrev_b32_e32 v55, 23, v55
	v_lshlrev_b32_sdwa v8, v69, v8 dst_sel:DWORD dst_unused:UNUSED_PAD src0_sel:DWORD src1_sel:WORD_0
	v_and_or_b32 v8, 0x8000, v8, v66
	v_lshl_or_b32 v69, v8, 16, v55
.LBB325_921:                            ;   in Loop: Header=BB325_11 Depth=1
	s_or_b32 exec_lo, exec_lo, s23
.LBB325_922:                            ;   in Loop: Header=BB325_11 Depth=1
	s_or_b32 exec_lo, exec_lo, s22
.LBB325_923:                            ;   in Loop: Header=BB325_11 Depth=1
	s_or_b32 exec_lo, exec_lo, s21
	v_lshrrev_b32_e32 v8, 16, v30
	v_cmp_ne_u16_sdwa s5, v8, v9 src0_sel:BYTE_0 src1_sel:DWORD
	s_and_saveexec_b32 s21, s5
	s_cbranch_execz .LBB325_931
; %bb.924:                              ;   in Loop: Header=BB325_11 Depth=1
	v_cmp_ne_u16_sdwa s5, v8, v51 src0_sel:BYTE_0 src1_sel:DWORD
	v_mov_b32_e32 v71, 0x8000
	s_and_saveexec_b32 s22, s5
	s_cbranch_execz .LBB325_930
; %bb.925:                              ;   in Loop: Header=BB325_11 Depth=1
	v_bfe_u32 v80, v30, 16, 7
	v_mov_b32_e32 v71, 0x7c01
	s_mov_b32 s23, exec_lo
	v_cmpx_ne_u32_e32 0x7f, v80
	s_cbranch_execz .LBB325_929
; %bb.926:                              ;   in Loop: Header=BB325_11 Depth=1
	v_and_b32_e32 v55, 7, v8
	v_lshrrev_b32_e32 v66, 3, v80
	s_mov_b32 s24, exec_lo
	v_cmpx_gt_u32_e32 8, v80
; %bb.927:                              ;   in Loop: Header=BB325_11 Depth=1
	v_ffbh_u32_e32 v55, v55
	v_min_u32_e32 v55, 32, v55
	v_subrev_nc_u32_e32 v66, 28, v55
	v_lshlrev_b64 v[91:92], v66, v[8:9]
	v_sub_nc_u32_e32 v66, 29, v55
	v_and_b32_e32 v55, 7, v91
; %bb.928:                              ;   in Loop: Header=BB325_11 Depth=1
	s_or_b32 exec_lo, exec_lo, s24
	v_lshlrev_b32_e32 v8, 8, v8
	v_lshl_add_u32 v66, v66, 10, 0x2000
	v_lshlrev_b32_e32 v55, 7, v55
	v_and_b32_e32 v8, 0x8000, v8
	v_and_b32_e32 v66, 0xfc00, v66
	v_or3_b32 v71, v8, v66, v55
.LBB325_929:                            ;   in Loop: Header=BB325_11 Depth=1
	s_or_b32 exec_lo, exec_lo, s23
.LBB325_930:                            ;   in Loop: Header=BB325_11 Depth=1
	s_or_b32 exec_lo, exec_lo, s22
.LBB325_931:                            ;   in Loop: Header=BB325_11 Depth=1
	s_or_b32 exec_lo, exec_lo, s21
	v_mov_b32_e32 v91, 0
	v_mov_b32_e32 v107, 0
	s_mov_b32 s21, exec_lo
	v_cmpx_lt_u32_e32 0xffffff, v30
	s_cbranch_execz .LBB325_939
; %bb.932:                              ;   in Loop: Header=BB325_11 Depth=1
	v_lshrrev_b32_e32 v8, 24, v30
	v_bfrev_b32_e32 v107, 1
	s_mov_b32 s22, exec_lo
	v_cmpx_ne_u32_e32 0x80, v8
	s_cbranch_execz .LBB325_938
; %bb.933:                              ;   in Loop: Header=BB325_11 Depth=1
	v_and_b32_e32 v80, 0x7f, v8
	v_mov_b32_e32 v107, 0x7c010000
	s_mov_b32 s23, exec_lo
	v_cmpx_ne_u32_e32 0x7f, v80
	s_cbranch_execz .LBB325_937
; %bb.934:                              ;   in Loop: Header=BB325_11 Depth=1
	v_and_b32_e32 v55, 7, v8
	v_lshrrev_b32_e32 v66, 3, v80
	s_mov_b32 s24, exec_lo
	v_cmpx_gt_u32_e32 8, v80
; %bb.935:                              ;   in Loop: Header=BB325_11 Depth=1
	v_ffbh_u32_e32 v55, v55
	v_min_u32_e32 v55, 32, v55
	v_subrev_nc_u32_e32 v66, 28, v55
	v_lshlrev_b64 v[109:110], v66, v[8:9]
	v_sub_nc_u32_e32 v66, 29, v55
	v_and_b32_e32 v55, 7, v109
; %bb.936:                              ;   in Loop: Header=BB325_11 Depth=1
	s_or_b32 exec_lo, exec_lo, s24
	v_lshlrev_b32_e32 v8, 8, v8
	v_lshl_add_u32 v66, v66, 10, 0x2000
	v_lshlrev_b32_e32 v55, 23, v55
	v_and_or_b32 v8, 0x8000, v8, v66
	v_lshl_or_b32 v107, v8, 16, v55
.LBB325_937:                            ;   in Loop: Header=BB325_11 Depth=1
	s_or_b32 exec_lo, exec_lo, s23
.LBB325_938:                            ;   in Loop: Header=BB325_11 Depth=1
	s_or_b32 exec_lo, exec_lo, s22
.LBB325_939:                            ;   in Loop: Header=BB325_11 Depth=1
	s_or_b32 exec_lo, exec_lo, s21
	v_mov_b32_e32 v8, v31
	v_cmp_ne_u16_sdwa s5, v31, v9 src0_sel:BYTE_0 src1_sel:DWORD
	s_and_saveexec_b32 s21, s5
	s_cbranch_execz .LBB325_947
; %bb.940:                              ;   in Loop: Header=BB325_11 Depth=1
	v_cmp_ne_u16_sdwa s5, v31, v51 src0_sel:BYTE_0 src1_sel:DWORD
	v_mov_b32_e32 v91, 0x8000
	s_and_saveexec_b32 s22, s5
	s_cbranch_execz .LBB325_946
; %bb.941:                              ;   in Loop: Header=BB325_11 Depth=1
	v_and_b32_e32 v80, 0x7f, v31
	v_mov_b32_e32 v91, 0x7c01
	s_mov_b32 s23, exec_lo
	v_cmpx_ne_u32_e32 0x7f, v80
	s_cbranch_execz .LBB325_945
; %bb.942:                              ;   in Loop: Header=BB325_11 Depth=1
	v_and_b32_e32 v55, 7, v31
	v_lshrrev_b32_e32 v66, 3, v80
	s_mov_b32 s24, exec_lo
	v_cmpx_gt_u32_e32 8, v80
; %bb.943:                              ;   in Loop: Header=BB325_11 Depth=1
	v_ffbh_u32_e32 v55, v55
	v_min_u32_e32 v55, 32, v55
	v_subrev_nc_u32_e32 v66, 28, v55
	v_lshlrev_b64 v[91:92], v66, v[8:9]
	v_sub_nc_u32_e32 v66, 29, v55
	v_and_b32_e32 v55, 7, v91
; %bb.944:                              ;   in Loop: Header=BB325_11 Depth=1
	s_or_b32 exec_lo, exec_lo, s24
	v_lshlrev_b32_e32 v80, 8, v31
	v_lshl_add_u32 v66, v66, 10, 0x2000
	v_lshlrev_b32_e32 v55, 7, v55
	v_and_b32_e32 v80, 0x8000, v80
	v_and_b32_e32 v66, 0xfc00, v66
	v_or3_b32 v91, v80, v66, v55
.LBB325_945:                            ;   in Loop: Header=BB325_11 Depth=1
	s_or_b32 exec_lo, exec_lo, s23
.LBB325_946:                            ;   in Loop: Header=BB325_11 Depth=1
	s_or_b32 exec_lo, exec_lo, s22
.LBB325_947:                            ;   in Loop: Header=BB325_11 Depth=1
	s_or_b32 exec_lo, exec_lo, s21
	v_lshrrev_b16 v8, 8, v8
	v_mov_b32_e32 v121, 0
	v_mov_b32_e32 v123, 0
	s_mov_b32 s21, exec_lo
	v_cmpx_ne_u16_e32 0, v8
	s_cbranch_execz .LBB325_955
; %bb.948:                              ;   in Loop: Header=BB325_11 Depth=1
	v_bfrev_b32_e32 v123, 1
	s_mov_b32 s22, exec_lo
	v_cmpx_ne_u16_e32 0x80, v8
	s_cbranch_execz .LBB325_954
; %bb.949:                              ;   in Loop: Header=BB325_11 Depth=1
	v_mov_b32_e32 v55, 0x7f
	v_mov_b32_e32 v123, 0x7c010000
	s_mov_b32 s23, exec_lo
	v_and_b32_sdwa v80, v8, v55 dst_sel:DWORD dst_unused:UNUSED_PAD src0_sel:WORD_0 src1_sel:DWORD
	v_cmpx_ne_u32_e32 0x7f, v80
	s_cbranch_execz .LBB325_953
; %bb.950:                              ;   in Loop: Header=BB325_11 Depth=1
	v_mov_b32_e32 v55, 7
	v_lshrrev_b32_e32 v66, 3, v80
	s_mov_b32 s24, exec_lo
	v_and_b32_sdwa v55, v8, v55 dst_sel:DWORD dst_unused:UNUSED_PAD src0_sel:WORD_0 src1_sel:DWORD
	v_cmpx_gt_u32_e32 8, v80
; %bb.951:                              ;   in Loop: Header=BB325_11 Depth=1
	v_ffbh_u32_e32 v55, v55
	v_min_u32_e32 v55, 32, v55
	v_subrev_nc_u32_e32 v66, 28, v55
	v_lshlrev_b64 v[109:110], v66, v[8:9]
	v_sub_nc_u32_e32 v66, 29, v55
	v_and_b32_e32 v55, 7, v109
; %bb.952:                              ;   in Loop: Header=BB325_11 Depth=1
	s_or_b32 exec_lo, exec_lo, s24
	v_mov_b32_e32 v80, 8
	v_lshl_add_u32 v66, v66, 10, 0x2000
	v_lshlrev_b32_e32 v55, 23, v55
	v_lshlrev_b32_sdwa v8, v80, v8 dst_sel:DWORD dst_unused:UNUSED_PAD src0_sel:DWORD src1_sel:WORD_0
	v_and_or_b32 v8, 0x8000, v8, v66
	v_lshl_or_b32 v123, v8, 16, v55
.LBB325_953:                            ;   in Loop: Header=BB325_11 Depth=1
	s_or_b32 exec_lo, exec_lo, s23
.LBB325_954:                            ;   in Loop: Header=BB325_11 Depth=1
	s_or_b32 exec_lo, exec_lo, s22
.LBB325_955:                            ;   in Loop: Header=BB325_11 Depth=1
	s_or_b32 exec_lo, exec_lo, s21
	v_lshrrev_b32_e32 v8, 16, v31
	v_cmp_ne_u16_sdwa s5, v8, v9 src0_sel:BYTE_0 src1_sel:DWORD
	s_and_saveexec_b32 s21, s5
	s_cbranch_execz .LBB325_963
; %bb.956:                              ;   in Loop: Header=BB325_11 Depth=1
	v_cmp_ne_u16_sdwa s5, v8, v51 src0_sel:BYTE_0 src1_sel:DWORD
	v_mov_b32_e32 v121, 0x8000
	s_and_saveexec_b32 s22, s5
	s_cbranch_execz .LBB325_962
; %bb.957:                              ;   in Loop: Header=BB325_11 Depth=1
	v_bfe_u32 v80, v31, 16, 7
	v_mov_b32_e32 v121, 0x7c01
	s_mov_b32 s23, exec_lo
	v_cmpx_ne_u32_e32 0x7f, v80
	s_cbranch_execz .LBB325_961
; %bb.958:                              ;   in Loop: Header=BB325_11 Depth=1
	v_and_b32_e32 v55, 7, v8
	v_lshrrev_b32_e32 v66, 3, v80
	s_mov_b32 s24, exec_lo
	v_cmpx_gt_u32_e32 8, v80
; %bb.959:                              ;   in Loop: Header=BB325_11 Depth=1
	v_ffbh_u32_e32 v55, v55
	v_min_u32_e32 v55, 32, v55
	v_subrev_nc_u32_e32 v66, 28, v55
	v_lshlrev_b64 v[109:110], v66, v[8:9]
	v_sub_nc_u32_e32 v66, 29, v55
	v_and_b32_e32 v55, 7, v109
; %bb.960:                              ;   in Loop: Header=BB325_11 Depth=1
	s_or_b32 exec_lo, exec_lo, s24
	v_lshlrev_b32_e32 v8, 8, v8
	v_lshl_add_u32 v66, v66, 10, 0x2000
	v_lshlrev_b32_e32 v55, 7, v55
	v_and_b32_e32 v8, 0x8000, v8
	v_and_b32_e32 v66, 0xfc00, v66
	v_or3_b32 v121, v8, v66, v55
.LBB325_961:                            ;   in Loop: Header=BB325_11 Depth=1
	s_or_b32 exec_lo, exec_lo, s23
.LBB325_962:                            ;   in Loop: Header=BB325_11 Depth=1
	s_or_b32 exec_lo, exec_lo, s22
.LBB325_963:                            ;   in Loop: Header=BB325_11 Depth=1
	s_or_b32 exec_lo, exec_lo, s21
	v_cmp_lt_u64_e64 s5, s[6:7], v[30:31]
	v_mov_b32_e32 v66, 0
	v_mov_b32_e32 v30, 0
	s_and_saveexec_b32 s21, s5
	s_cbranch_execz .LBB325_971
; %bb.964:                              ;   in Loop: Header=BB325_11 Depth=1
	v_lshrrev_b32_e32 v8, 24, v31
	v_bfrev_b32_e32 v30, 1
	s_mov_b32 s22, exec_lo
	v_cmpx_ne_u32_e32 0x80, v8
	s_cbranch_execz .LBB325_970
; %bb.965:                              ;   in Loop: Header=BB325_11 Depth=1
	v_and_b32_e32 v55, 0x7f, v8
	v_mov_b32_e32 v30, 0x7c010000
	s_mov_b32 s23, exec_lo
	v_cmpx_ne_u32_e32 0x7f, v55
	s_cbranch_execz .LBB325_969
; %bb.966:                              ;   in Loop: Header=BB325_11 Depth=1
	v_and_b32_e32 v30, 7, v8
	v_lshrrev_b32_e32 v31, 3, v55
	s_mov_b32 s24, exec_lo
	v_cmpx_gt_u32_e32 8, v55
; %bb.967:                              ;   in Loop: Header=BB325_11 Depth=1
	v_ffbh_u32_e32 v30, v30
	v_min_u32_e32 v55, 32, v30
	v_subrev_nc_u32_e32 v30, 28, v55
	v_lshlrev_b64 v[30:31], v30, v[8:9]
	v_sub_nc_u32_e32 v31, 29, v55
	v_and_b32_e32 v30, 7, v30
; %bb.968:                              ;   in Loop: Header=BB325_11 Depth=1
	s_or_b32 exec_lo, exec_lo, s24
	v_lshlrev_b32_e32 v8, 8, v8
	v_lshl_add_u32 v31, v31, 10, 0x2000
	v_lshlrev_b32_e32 v30, 23, v30
	v_and_or_b32 v8, 0x8000, v8, v31
	v_lshl_or_b32 v30, v8, 16, v30
.LBB325_969:                            ;   in Loop: Header=BB325_11 Depth=1
	s_or_b32 exec_lo, exec_lo, s23
.LBB325_970:                            ;   in Loop: Header=BB325_11 Depth=1
	s_or_b32 exec_lo, exec_lo, s22
.LBB325_971:                            ;   in Loop: Header=BB325_11 Depth=1
	s_or_b32 exec_lo, exec_lo, s21
	flat_load_dwordx2 v[28:29], v[28:29] offset:1544
	s_waitcnt vmcnt(0) lgkmcnt(0)
	v_cmp_ne_u16_sdwa s5, v28, v9 src0_sel:BYTE_0 src1_sel:DWORD
	s_and_saveexec_b32 s21, s5
	s_cbranch_execz .LBB325_979
; %bb.972:                              ;   in Loop: Header=BB325_11 Depth=1
	v_cmp_ne_u16_sdwa s5, v28, v51 src0_sel:BYTE_0 src1_sel:DWORD
	v_mov_b32_e32 v66, 0x8000
	s_and_saveexec_b32 s22, s5
	s_cbranch_execz .LBB325_978
; %bb.973:                              ;   in Loop: Header=BB325_11 Depth=1
	v_and_b32_e32 v55, 0x7f, v28
	v_mov_b32_e32 v66, 0x7c01
	s_mov_b32 s23, exec_lo
	v_cmpx_ne_u32_e32 0x7f, v55
	s_cbranch_execz .LBB325_977
; %bb.974:                              ;   in Loop: Header=BB325_11 Depth=1
	v_and_b32_e32 v8, 7, v28
	v_lshrrev_b32_e32 v31, 3, v55
	s_mov_b32 s24, exec_lo
	v_cmpx_gt_u32_e32 8, v55
; %bb.975:                              ;   in Loop: Header=BB325_11 Depth=1
	v_ffbh_u32_e32 v8, v8
	v_min_u32_e32 v8, 32, v8
	v_subrev_nc_u32_e32 v31, 28, v8
	v_lshlrev_b64 v[109:110], v31, v[28:29]
	v_sub_nc_u32_e32 v31, 29, v8
	v_and_b32_e32 v8, 7, v109
; %bb.976:                              ;   in Loop: Header=BB325_11 Depth=1
	s_or_b32 exec_lo, exec_lo, s24
	v_lshlrev_b32_e32 v55, 8, v28
	v_lshl_add_u32 v31, v31, 10, 0x2000
	v_lshlrev_b32_e32 v8, 7, v8
	v_and_b32_e32 v55, 0x8000, v55
	v_and_b32_e32 v31, 0xfc00, v31
	v_or3_b32 v66, v55, v31, v8
.LBB325_977:                            ;   in Loop: Header=BB325_11 Depth=1
	s_or_b32 exec_lo, exec_lo, s23
.LBB325_978:                            ;   in Loop: Header=BB325_11 Depth=1
	s_or_b32 exec_lo, exec_lo, s22
.LBB325_979:                            ;   in Loop: Header=BB325_11 Depth=1
	s_or_b32 exec_lo, exec_lo, s21
	v_lshrrev_b16 v8, 8, v28
	v_mov_b32_e32 v80, 0
	v_mov_b32_e32 v92, 0
	s_mov_b32 s21, exec_lo
	v_cmpx_ne_u16_e32 0, v8
	s_cbranch_execz .LBB325_987
; %bb.980:                              ;   in Loop: Header=BB325_11 Depth=1
	v_bfrev_b32_e32 v92, 1
	s_mov_b32 s22, exec_lo
	v_cmpx_ne_u16_e32 0x80, v8
	s_cbranch_execz .LBB325_986
; %bb.981:                              ;   in Loop: Header=BB325_11 Depth=1
	v_mov_b32_e32 v31, 0x7f
	v_mov_b32_e32 v92, 0x7c010000
	s_mov_b32 s23, exec_lo
	v_and_b32_sdwa v85, v8, v31 dst_sel:DWORD dst_unused:UNUSED_PAD src0_sel:WORD_0 src1_sel:DWORD
	v_cmpx_ne_u32_e32 0x7f, v85
	s_cbranch_execz .LBB325_985
; %bb.982:                              ;   in Loop: Header=BB325_11 Depth=1
	v_mov_b32_e32 v31, 7
	v_lshrrev_b32_e32 v55, 3, v85
	s_mov_b32 s24, exec_lo
	v_and_b32_sdwa v31, v8, v31 dst_sel:DWORD dst_unused:UNUSED_PAD src0_sel:WORD_0 src1_sel:DWORD
	v_cmpx_gt_u32_e32 8, v85
; %bb.983:                              ;   in Loop: Header=BB325_11 Depth=1
	v_ffbh_u32_e32 v31, v31
	v_min_u32_e32 v31, 32, v31
	v_subrev_nc_u32_e32 v55, 28, v31
	v_lshlrev_b64 v[109:110], v55, v[8:9]
	v_sub_nc_u32_e32 v55, 29, v31
	v_and_b32_e32 v31, 7, v109
; %bb.984:                              ;   in Loop: Header=BB325_11 Depth=1
	s_or_b32 exec_lo, exec_lo, s24
	v_mov_b32_e32 v85, 8
	v_lshl_add_u32 v55, v55, 10, 0x2000
	v_lshlrev_b32_e32 v31, 23, v31
	v_lshlrev_b32_sdwa v8, v85, v8 dst_sel:DWORD dst_unused:UNUSED_PAD src0_sel:DWORD src1_sel:WORD_0
	v_and_or_b32 v8, 0x8000, v8, v55
	v_lshl_or_b32 v92, v8, 16, v31
.LBB325_985:                            ;   in Loop: Header=BB325_11 Depth=1
	s_or_b32 exec_lo, exec_lo, s23
.LBB325_986:                            ;   in Loop: Header=BB325_11 Depth=1
	s_or_b32 exec_lo, exec_lo, s22
.LBB325_987:                            ;   in Loop: Header=BB325_11 Depth=1
	s_or_b32 exec_lo, exec_lo, s21
	v_lshrrev_b32_e32 v8, 16, v28
	v_cmp_ne_u16_sdwa s5, v8, v9 src0_sel:BYTE_0 src1_sel:DWORD
	s_and_saveexec_b32 s21, s5
	s_cbranch_execz .LBB325_995
; %bb.988:                              ;   in Loop: Header=BB325_11 Depth=1
	v_cmp_ne_u16_sdwa s5, v8, v51 src0_sel:BYTE_0 src1_sel:DWORD
	v_mov_b32_e32 v80, 0x8000
	s_and_saveexec_b32 s22, s5
	s_cbranch_execz .LBB325_994
; %bb.989:                              ;   in Loop: Header=BB325_11 Depth=1
	v_bfe_u32 v85, v28, 16, 7
	v_mov_b32_e32 v80, 0x7c01
	s_mov_b32 s23, exec_lo
	v_cmpx_ne_u32_e32 0x7f, v85
	s_cbranch_execz .LBB325_993
; %bb.990:                              ;   in Loop: Header=BB325_11 Depth=1
	v_and_b32_e32 v31, 7, v8
	v_lshrrev_b32_e32 v55, 3, v85
	s_mov_b32 s24, exec_lo
	v_cmpx_gt_u32_e32 8, v85
; %bb.991:                              ;   in Loop: Header=BB325_11 Depth=1
	v_ffbh_u32_e32 v31, v31
	v_min_u32_e32 v31, 32, v31
	v_subrev_nc_u32_e32 v55, 28, v31
	v_lshlrev_b64 v[109:110], v55, v[8:9]
	v_sub_nc_u32_e32 v55, 29, v31
	v_and_b32_e32 v31, 7, v109
; %bb.992:                              ;   in Loop: Header=BB325_11 Depth=1
	s_or_b32 exec_lo, exec_lo, s24
	v_lshlrev_b32_e32 v8, 8, v8
	v_lshl_add_u32 v55, v55, 10, 0x2000
	v_lshlrev_b32_e32 v31, 7, v31
	v_and_b32_e32 v8, 0x8000, v8
	v_and_b32_e32 v55, 0xfc00, v55
	v_or3_b32 v80, v8, v55, v31
.LBB325_993:                            ;   in Loop: Header=BB325_11 Depth=1
	s_or_b32 exec_lo, exec_lo, s23
.LBB325_994:                            ;   in Loop: Header=BB325_11 Depth=1
	s_or_b32 exec_lo, exec_lo, s22
.LBB325_995:                            ;   in Loop: Header=BB325_11 Depth=1
	s_or_b32 exec_lo, exec_lo, s21
	v_mov_b32_e32 v85, 0
	v_mov_b32_e32 v127, 0
	s_mov_b32 s21, exec_lo
	v_cmpx_lt_u32_e32 0xffffff, v28
	s_cbranch_execz .LBB325_1003
; %bb.996:                              ;   in Loop: Header=BB325_11 Depth=1
	v_lshrrev_b32_e32 v8, 24, v28
	v_bfrev_b32_e32 v127, 1
	s_mov_b32 s22, exec_lo
	v_cmpx_ne_u32_e32 0x80, v8
	s_cbranch_execz .LBB325_1002
; %bb.997:                              ;   in Loop: Header=BB325_11 Depth=1
	v_and_b32_e32 v87, 0x7f, v8
	v_mov_b32_e32 v127, 0x7c010000
	s_mov_b32 s23, exec_lo
	v_cmpx_ne_u32_e32 0x7f, v87
	s_cbranch_execz .LBB325_1001
; %bb.998:                              ;   in Loop: Header=BB325_11 Depth=1
	v_and_b32_e32 v31, 7, v8
	v_lshrrev_b32_e32 v55, 3, v87
	s_mov_b32 s24, exec_lo
	v_cmpx_gt_u32_e32 8, v87
; %bb.999:                              ;   in Loop: Header=BB325_11 Depth=1
	v_ffbh_u32_e32 v31, v31
	v_min_u32_e32 v31, 32, v31
	v_subrev_nc_u32_e32 v55, 28, v31
	v_lshlrev_b64 v[109:110], v55, v[8:9]
	v_sub_nc_u32_e32 v55, 29, v31
	v_and_b32_e32 v31, 7, v109
; %bb.1000:                             ;   in Loop: Header=BB325_11 Depth=1
	s_or_b32 exec_lo, exec_lo, s24
	v_lshlrev_b32_e32 v8, 8, v8
	v_lshl_add_u32 v55, v55, 10, 0x2000
	v_lshlrev_b32_e32 v31, 23, v31
	v_and_or_b32 v8, 0x8000, v8, v55
	v_lshl_or_b32 v127, v8, 16, v31
.LBB325_1001:                           ;   in Loop: Header=BB325_11 Depth=1
	s_or_b32 exec_lo, exec_lo, s23
.LBB325_1002:                           ;   in Loop: Header=BB325_11 Depth=1
	s_or_b32 exec_lo, exec_lo, s22
.LBB325_1003:                           ;   in Loop: Header=BB325_11 Depth=1
	s_or_b32 exec_lo, exec_lo, s21
	v_mov_b32_e32 v8, v29
	v_cmp_ne_u16_sdwa s5, v29, v9 src0_sel:BYTE_0 src1_sel:DWORD
	s_and_saveexec_b32 s21, s5
	s_cbranch_execz .LBB325_1011
; %bb.1004:                             ;   in Loop: Header=BB325_11 Depth=1
	v_cmp_ne_u16_sdwa s5, v29, v51 src0_sel:BYTE_0 src1_sel:DWORD
	v_mov_b32_e32 v85, 0x8000
	s_and_saveexec_b32 s22, s5
	s_cbranch_execz .LBB325_1010
; %bb.1005:                             ;   in Loop: Header=BB325_11 Depth=1
	v_and_b32_e32 v87, 0x7f, v29
	v_mov_b32_e32 v85, 0x7c01
	s_mov_b32 s23, exec_lo
	v_cmpx_ne_u32_e32 0x7f, v87
	s_cbranch_execz .LBB325_1009
; %bb.1006:                             ;   in Loop: Header=BB325_11 Depth=1
	v_and_b32_e32 v31, 7, v29
	v_lshrrev_b32_e32 v55, 3, v87
	s_mov_b32 s24, exec_lo
	v_cmpx_gt_u32_e32 8, v87
; %bb.1007:                             ;   in Loop: Header=BB325_11 Depth=1
	v_ffbh_u32_e32 v31, v31
	v_min_u32_e32 v31, 32, v31
	v_subrev_nc_u32_e32 v55, 28, v31
	v_lshlrev_b64 v[109:110], v55, v[8:9]
	v_sub_nc_u32_e32 v55, 29, v31
	v_and_b32_e32 v31, 7, v109
; %bb.1008:                             ;   in Loop: Header=BB325_11 Depth=1
	s_or_b32 exec_lo, exec_lo, s24
	v_lshlrev_b32_e32 v85, 8, v29
	v_lshl_add_u32 v55, v55, 10, 0x2000
	v_lshlrev_b32_e32 v31, 7, v31
	v_and_b32_e32 v85, 0x8000, v85
	v_and_b32_e32 v55, 0xfc00, v55
	v_or3_b32 v85, v85, v55, v31
.LBB325_1009:                           ;   in Loop: Header=BB325_11 Depth=1
	s_or_b32 exec_lo, exec_lo, s23
.LBB325_1010:                           ;   in Loop: Header=BB325_11 Depth=1
	s_or_b32 exec_lo, exec_lo, s22
.LBB325_1011:                           ;   in Loop: Header=BB325_11 Depth=1
	s_or_b32 exec_lo, exec_lo, s21
	v_lshrrev_b16 v8, 8, v8
	v_mov_b32_e32 v55, 0
	v_mov_b32_e32 v87, 0
	s_mov_b32 s21, exec_lo
	v_cmpx_ne_u16_e32 0, v8
	s_cbranch_execz .LBB325_1019
; %bb.1012:                             ;   in Loop: Header=BB325_11 Depth=1
	v_bfrev_b32_e32 v87, 1
	s_mov_b32 s22, exec_lo
	v_cmpx_ne_u16_e32 0x80, v8
	s_cbranch_execz .LBB325_1018
; %bb.1013:                             ;   in Loop: Header=BB325_11 Depth=1
	v_mov_b32_e32 v31, 0x7f
	v_mov_b32_e32 v87, 0x7c010000
	s_mov_b32 s23, exec_lo
	v_and_b32_sdwa v109, v8, v31 dst_sel:DWORD dst_unused:UNUSED_PAD src0_sel:WORD_0 src1_sel:DWORD
	v_cmpx_ne_u32_e32 0x7f, v109
	s_cbranch_execz .LBB325_1017
; %bb.1014:                             ;   in Loop: Header=BB325_11 Depth=1
	v_mov_b32_e32 v31, 7
	v_lshrrev_b32_e32 v87, 3, v109
	s_mov_b32 s24, exec_lo
	v_and_b32_sdwa v31, v8, v31 dst_sel:DWORD dst_unused:UNUSED_PAD src0_sel:WORD_0 src1_sel:DWORD
	v_cmpx_gt_u32_e32 8, v109
; %bb.1015:                             ;   in Loop: Header=BB325_11 Depth=1
	v_ffbh_u32_e32 v31, v31
	v_min_u32_e32 v31, 32, v31
	v_subrev_nc_u32_e32 v87, 28, v31
	v_lshlrev_b64 v[109:110], v87, v[8:9]
	v_sub_nc_u32_e32 v87, 29, v31
	v_and_b32_e32 v31, 7, v109
; %bb.1016:                             ;   in Loop: Header=BB325_11 Depth=1
	s_or_b32 exec_lo, exec_lo, s24
	v_mov_b32_e32 v109, 8
	v_lshl_add_u32 v87, v87, 10, 0x2000
	v_lshlrev_b32_e32 v31, 23, v31
	v_lshlrev_b32_sdwa v8, v109, v8 dst_sel:DWORD dst_unused:UNUSED_PAD src0_sel:DWORD src1_sel:WORD_0
	v_and_or_b32 v8, 0x8000, v8, v87
	v_lshl_or_b32 v87, v8, 16, v31
.LBB325_1017:                           ;   in Loop: Header=BB325_11 Depth=1
	s_or_b32 exec_lo, exec_lo, s23
.LBB325_1018:                           ;   in Loop: Header=BB325_11 Depth=1
	s_or_b32 exec_lo, exec_lo, s22
.LBB325_1019:                           ;   in Loop: Header=BB325_11 Depth=1
	s_or_b32 exec_lo, exec_lo, s21
	v_lshrrev_b32_e32 v8, 16, v29
	v_cmp_ne_u16_sdwa s5, v8, v9 src0_sel:BYTE_0 src1_sel:DWORD
	s_and_saveexec_b32 s21, s5
	s_cbranch_execz .LBB325_1027
; %bb.1020:                             ;   in Loop: Header=BB325_11 Depth=1
	v_cmp_ne_u16_sdwa s5, v8, v51 src0_sel:BYTE_0 src1_sel:DWORD
	v_mov_b32_e32 v55, 0x8000
	s_and_saveexec_b32 s22, s5
	s_cbranch_execz .LBB325_1026
; %bb.1021:                             ;   in Loop: Header=BB325_11 Depth=1
	v_bfe_u32 v109, v29, 16, 7
	v_mov_b32_e32 v55, 0x7c01
	s_mov_b32 s23, exec_lo
	v_cmpx_ne_u32_e32 0x7f, v109
	s_cbranch_execz .LBB325_1025
; %bb.1022:                             ;   in Loop: Header=BB325_11 Depth=1
	v_and_b32_e32 v31, 7, v8
	v_lshrrev_b32_e32 v55, 3, v109
	s_mov_b32 s24, exec_lo
	v_cmpx_gt_u32_e32 8, v109
; %bb.1023:                             ;   in Loop: Header=BB325_11 Depth=1
	v_ffbh_u32_e32 v31, v31
	v_min_u32_e32 v31, 32, v31
	v_subrev_nc_u32_e32 v55, 28, v31
	v_lshlrev_b64 v[109:110], v55, v[8:9]
	v_sub_nc_u32_e32 v55, 29, v31
	v_and_b32_e32 v31, 7, v109
; %bb.1024:                             ;   in Loop: Header=BB325_11 Depth=1
	s_or_b32 exec_lo, exec_lo, s24
	v_lshlrev_b32_e32 v8, 8, v8
	v_lshl_add_u32 v55, v55, 10, 0x2000
	v_lshlrev_b32_e32 v31, 7, v31
	v_and_b32_e32 v8, 0x8000, v8
	v_and_b32_e32 v55, 0xfc00, v55
	v_or3_b32 v55, v8, v55, v31
.LBB325_1025:                           ;   in Loop: Header=BB325_11 Depth=1
	s_or_b32 exec_lo, exec_lo, s23
.LBB325_1026:                           ;   in Loop: Header=BB325_11 Depth=1
	s_or_b32 exec_lo, exec_lo, s22
.LBB325_1027:                           ;   in Loop: Header=BB325_11 Depth=1
	s_or_b32 exec_lo, exec_lo, s21
	v_mov_b32_e32 v109, 0
	v_cmp_lt_u64_e64 s5, s[6:7], v[28:29]
	s_mov_b32 s21, exec_lo
	s_clause 0x2
	buffer_load_dword v28, off, s[0:3], s32 offset:248
	buffer_load_dword v31, off, s[0:3], s32 offset:252
	;; [unrolled: 1-line block ×3, first 2 shown]
	s_and_b32 s5, s21, s5
	s_mov_b32 exec_lo, s5
	s_cbranch_execz .LBB325_10
; %bb.1028:                             ;   in Loop: Header=BB325_11 Depth=1
	v_lshrrev_b32_e32 v8, 24, v29
	v_bfrev_b32_e32 v109, 1
	s_mov_b32 s22, exec_lo
	v_cmpx_ne_u32_e32 0x80, v8
	s_cbranch_execz .LBB325_9
; %bb.1029:                             ;   in Loop: Header=BB325_11 Depth=1
	s_waitcnt vmcnt(1)
	v_and_b32_e32 v31, 0x7f, v8
	v_mov_b32_e32 v109, 0x7c010000
	s_mov_b32 s23, exec_lo
	v_cmpx_ne_u32_e32 0x7f, v31
	s_cbranch_execz .LBB325_8
; %bb.1030:                             ;   in Loop: Header=BB325_11 Depth=1
	v_and_b32_e32 v28, 7, v8
	v_lshrrev_b32_e32 v29, 3, v31
	s_mov_b32 s24, exec_lo
	v_cmpx_gt_u32_e32 8, v31
	s_cbranch_execz .LBB325_7
; %bb.1031:                             ;   in Loop: Header=BB325_11 Depth=1
	v_ffbh_u32_e32 v28, v28
	v_min_u32_e32 v31, 32, v28
	v_subrev_nc_u32_e32 v28, 28, v31
	v_lshlrev_b64 v[28:29], v28, v[8:9]
	v_sub_nc_u32_e32 v29, 29, v31
	v_and_b32_e32 v28, 7, v28
	s_branch .LBB325_7
.LBB325_1032:
	s_or_b32 exec_lo, exec_lo, s17
	s_clause 0xd
	buffer_load_dword v58, off, s[0:3], s32 offset:428
	buffer_load_dword v59, off, s[0:3], s32 offset:432
	buffer_load_dword v60, off, s[0:3], s32 offset:436
	buffer_load_dword v61, off, s[0:3], s32 offset:376
	buffer_load_dword v62, off, s[0:3], s32 offset:440
	buffer_load_dword v63, off, s[0:3], s32 offset:444
	buffer_load_dword v72, off, s[0:3], s32 offset:448
	buffer_load_dword v73, off, s[0:3], s32 offset:452
	buffer_load_dword v74, off, s[0:3], s32 offset:380
	buffer_load_dword v11, off, s[0:3], s32 offset:456
	buffer_load_dword v14, off, s[0:3], s32 offset:460
	buffer_load_dword v15, off, s[0:3], s32 offset:464
	buffer_load_dword v22, off, s[0:3], s32 offset:468
	buffer_load_dword v10, off, s[0:3], s32 offset:472
.LBB325_1033:
	s_or_b32 exec_lo, exec_lo, s13
	v_mbcnt_lo_u32_b32 v0, -1, 0
	v_max_f32_e32 v4, v6, v6
	s_lshr_b32 s11, s11, 16
	v_xor_b32_e32 v1, 16, v0
	v_xor_b32_e32 v3, 8, v0
	;; [unrolled: 1-line block ×3, first 2 shown]
	v_cmp_gt_i32_e32 vcc_lo, 32, v1
	v_cndmask_b32_e32 v1, v0, v1, vcc_lo
	v_cmp_gt_i32_e32 vcc_lo, 32, v3
	v_lshlrev_b32_e32 v2, 2, v1
	v_cndmask_b32_e32 v3, v0, v3, vcc_lo
	v_cmp_gt_i32_e32 vcc_lo, 32, v5
	ds_bpermute_b32 v1, v2, v6
	v_lshlrev_b32_e32 v3, 2, v3
	v_cndmask_b32_e32 v5, v0, v5, vcc_lo
	s_waitcnt lgkmcnt(0)
	v_max_f32_e32 v1, v1, v1
	v_max_f32_e32 v1, v4, v1
	ds_bpermute_b32 v4, v3, v1
	s_waitcnt lgkmcnt(0)
	v_max_f32_e32 v6, v4, v4
	v_lshlrev_b32_e32 v4, 2, v5
	v_max_f32_e32 v1, v1, v6
	v_xor_b32_e32 v6, 2, v0
	ds_bpermute_b32 v5, v4, v1
	v_cmp_gt_i32_e32 vcc_lo, 32, v6
	v_cndmask_b32_e32 v6, v0, v6, vcc_lo
	v_lshlrev_b32_e32 v18, 2, v6
	v_xor_b32_e32 v6, 1, v0
	v_cmp_gt_i32_e32 vcc_lo, 32, v6
	s_waitcnt lgkmcnt(0)
	v_max_f32_e32 v5, v5, v5
	v_cndmask_b32_e32 v6, v0, v6, vcc_lo
	s_waitcnt vmcnt(8)
	v_cmp_eq_u32_e32 vcc_lo, 0, v63
	v_max_f32_e32 v1, v1, v5
	v_lshlrev_b32_e32 v13, 2, v6
	ds_bpermute_b32 v5, v18, v1
	s_waitcnt lgkmcnt(0)
	v_max_f32_e32 v5, v5, v5
	v_max_f32_e32 v0, v1, v5
	v_lshlrev_b32_e32 v5, 2, v62
	ds_bpermute_b32 v1, v13, v0
	s_and_saveexec_b32 s5, vcc_lo
	s_cbranch_execz .LBB325_1035
; %bb.1034:
	s_waitcnt lgkmcnt(0)
	v_max_f32_e32 v1, v1, v1
	v_max_f32_e32 v0, v0, v0
	;; [unrolled: 1-line block ×3, first 2 shown]
	ds_write_b32 v5, v0 offset:256
.LBB325_1035:
	s_or_b32 exec_lo, exec_lo, s5
	v_cmp_gt_u32_e64 s5, 4, v63
	v_mov_b32_e32 v0, 0xff7fffff
	s_waitcnt vmcnt(0) lgkmcnt(0)
	s_waitcnt_vscnt null, 0x0
	s_barrier
	buffer_gl0_inv
	s_and_saveexec_b32 s6, s5
; %bb.1036:
	ds_read_b32 v0, v10 offset:256
; %bb.1037:
	s_or_b32 exec_lo, exec_lo, s6
	s_waitcnt lgkmcnt(0)
	ds_bpermute_b32 v1, v18, v0
	v_max_f32_e32 v0, v0, v0
	v_subrev_nc_u32_e32 v7, s9, v74
	v_mov_b32_e32 v6, 0
	s_waitcnt lgkmcnt(0)
	v_max_f32_e32 v1, v1, v1
	v_max_f32_e32 v0, v0, v1
	ds_bpermute_b32 v1, v13, v0
	s_waitcnt lgkmcnt(0)
	v_max_f32_e32 v1, v1, v1
	v_max_f32_e32 v0, v0, v1
	v_lshl_add_u32 v1, v7, 5, s20
	ds_bpermute_b32 v0, v6, v0
	v_min_i32_e32 v1, v1, v34
	v_subrev_nc_u32_e32 v1, s20, v1
	v_cmp_lt_i32_e64 s6, v60, v1
	s_and_saveexec_b32 s9, s6
	s_cbranch_execz .LBB325_1041
; %bb.1038:
	s_getpc_b64 s[22:23]
	s_add_u32 s22, s22, llvm.amdgcn.dynlds.offset.table@rel32@lo+4
	s_addc_u32 s23, s23, llvm.amdgcn.dynlds.offset.table@rel32@hi+12
	s_ashr_i32 s17, s16, 31
	v_mov_b32_e32 v6, 0
	s_lshl_b64 s[24:25], s[16:17], 2
	v_mov_b32_e32 v8, v60
	s_add_u32 s22, s22, s24
	s_addc_u32 s23, s23, s25
	s_mov_b32 s13, 0
	s_load_dword s7, s[22:23], 0x0
	s_waitcnt lgkmcnt(0)
	v_lshl_add_u32 v7, v60, 2, s7
	.p2align	6
.LBB325_1039:                           ; =>This Inner Loop Header: Depth=1
	ds_read_b32 v9, v7
	v_add_nc_u32_e32 v8, 0x80, v8
	v_cmp_ge_i32_e64 s7, v8, v1
	s_or_b32 s13, s7, s13
	s_waitcnt lgkmcnt(0)
	v_sub_f32_e32 v9, v9, v0
	v_mul_f32_e32 v9, 0x3fb8aa3b, v9
	v_exp_f32_e32 v9, v9
	ds_write_b32 v7, v9
	v_add_f32_e32 v6, v6, v9
	v_add_nc_u32_e32 v7, 0x200, v7
	s_andn2_b32 exec_lo, exec_lo, s13
	s_cbranch_execnz .LBB325_1039
; %bb.1040:
	s_or_b32 exec_lo, exec_lo, s13
.LBB325_1041:
	s_or_b32 exec_lo, exec_lo, s9
	ds_bpermute_b32 v2, v2, v6
	s_waitcnt lgkmcnt(0)
	v_add_f32_e32 v2, v6, v2
	ds_bpermute_b32 v3, v3, v2
	s_waitcnt lgkmcnt(0)
	v_add_f32_e32 v2, v2, v3
	;; [unrolled: 3-line block ×5, first 2 shown]
	s_and_saveexec_b32 s7, vcc_lo
; %bb.1042:
	ds_write_b32 v5, v2 offset:272
; %bb.1043:
	s_or_b32 exec_lo, exec_lo, s7
	s_waitcnt lgkmcnt(0)
	s_barrier
	buffer_gl0_inv
	s_and_saveexec_b32 s7, s5
; %bb.1044:
	ds_read_b32 v2, v10 offset:272
; %bb.1045:
	s_or_b32 exec_lo, exec_lo, s7
	s_waitcnt lgkmcnt(0)
	ds_bpermute_b32 v3, v18, v2
	s_waitcnt lgkmcnt(0)
	v_add_f32_e32 v2, v2, v3
	ds_bpermute_b32 v3, v13, v2
	s_waitcnt lgkmcnt(0)
	v_add_f32_e32 v2, v2, v3
	v_mov_b32_e32 v3, 0
	ds_bpermute_b32 v2, v3, v2
	s_and_saveexec_b32 s5, s6
	s_cbranch_execz .LBB325_1048
; %bb.1046:
	s_waitcnt lgkmcnt(0)
	v_add_f32_e32 v4, 0x358637bd, v2
	s_getpc_b64 s[6:7]
	s_add_u32 s6, s6, llvm.amdgcn.dynlds.offset.table@rel32@lo+4
	s_addc_u32 s7, s7, llvm.amdgcn.dynlds.offset.table@rel32@hi+12
	s_ashr_i32 s17, s16, 31
	s_lshl_b64 s[22:23], s[16:17], 2
	v_div_scale_f32 v3, null, v4, v4, 1.0
	v_div_scale_f32 v7, vcc_lo, 1.0, v4, 1.0
	s_add_u32 s6, s6, s22
	v_rcp_f32_e32 v5, v3
	s_addc_u32 s7, s7, s23
	s_load_dword s6, s[6:7], 0x0
	v_fma_f32 v6, -v3, v5, 1.0
	v_fmac_f32_e32 v5, v6, v5
	v_mul_f32_e32 v6, v7, v5
	v_fma_f32 v8, -v3, v6, v7
	v_fmac_f32_e32 v6, v8, v5
	v_fma_f32 v3, -v3, v6, v7
	v_div_fmas_f32 v5, v3, v5, v6
	s_waitcnt lgkmcnt(0)
	v_lshl_add_u32 v3, v60, 2, s6
	s_mov_b32 s6, 0
	v_div_fixup_f32 v4, v5, v4, 1.0
	v_mov_b32_e32 v5, v60
.LBB325_1047:                           ; =>This Inner Loop Header: Depth=1
	ds_read_b32 v6, v3
	v_add_nc_u32_e32 v5, 0x80, v5
	v_cmp_ge_i32_e32 vcc_lo, v5, v1
	s_or_b32 s6, vcc_lo, s6
	s_waitcnt lgkmcnt(0)
	v_mul_f32_e32 v6, v4, v6
	ds_write_b32 v3, v6
	v_add_nc_u32_e32 v3, 0x200, v3
	s_andn2_b32 exec_lo, exec_lo, s6
	s_cbranch_execnz .LBB325_1047
.LBB325_1048:
	s_or_b32 exec_lo, exec_lo, s5
	s_and_b32 s5, 0xffff, s11
	s_waitcnt lgkmcnt(0)
	s_cmp_lg_u32 s5, 0
	s_barrier
	s_cselect_b32 s5, -1, 0
	buffer_gl0_inv
	s_cmp_lg_u32 s5, 0
	s_addc_u32 s5, s8, 0
	s_mov_b32 s8, exec_lo
	s_mul_i32 s6, s5, s18
	s_mul_i32 s6, s6, s15
	v_cmpx_eq_u32_e32 0, v60
	s_cbranch_execz .LBB325_1050
; %bb.1049:
	s_ashr_i32 s7, s6, 31
	s_mul_i32 s12, s5, s12
	s_lshl_b64 s[22:23], s[6:7], 2
	s_ashr_i32 s13, s12, 31
	v_add_co_u32 v1, vcc_lo, v22, s22
	v_add_co_ci_u32_e64 v3, null, s23, v15, vcc_lo
	s_lshl_b64 s[12:13], s[12:13], 2
	s_ashr_i32 s15, s14, 31
	v_add_co_u32 v1, vcc_lo, v1, s12
	v_add_co_ci_u32_e64 v4, null, s13, v3, vcc_lo
	v_add_co_u32 v3, vcc_lo, v14, s22
	v_add_co_ci_u32_e64 v5, null, s23, v11, vcc_lo
	s_lshl_b64 s[22:23], s[14:15], 2
	v_add_co_u32 v6, vcc_lo, v3, s12
	v_add_co_ci_u32_e64 v7, null, s13, v5, vcc_lo
	v_add_co_u32 v3, vcc_lo, v1, s22
	v_add_co_ci_u32_e64 v4, null, s23, v4, vcc_lo
	;; [unrolled: 2-line block ×3, first 2 shown]
	flat_store_dword v[3:4], v0
	flat_store_dword v[5:6], v2
.LBB325_1050:
	s_or_b32 exec_lo, exec_lo, s8
	s_and_saveexec_b32 s7, s4
	s_xor_b32 s4, exec_lo, s7
; %bb.1051:
                                        ; implicit-def: $vgpr0
                                        ; kill: killed $vgpr0
	s_ashr_i32 s17, s16, 31
                                        ; implicit-def: $vgpr0
                                        ; kill: killed $vgpr0
                                        ; implicit-def: $vgpr34
                                        ; implicit-def: $vgpr74
                                        ; implicit-def: $vgpr72
                                        ; implicit-def: $vgpr61
                                        ; implicit-def: $vgpr26_vgpr27
                                        ; implicit-def: $vgpr0
                                        ; kill: killed $vgpr0
                                        ; implicit-def: $vgpr0
                                        ; kill: killed $vgpr0
                                        ; implicit-def: $vgpr0
                                        ; kill: killed $vgpr0
                                        ; implicit-def: $vgpr0
                                        ; kill: killed $vgpr0
                                        ; implicit-def: $vgpr0
                                        ; kill: killed $vgpr0
                                        ; implicit-def: $vgpr0_vgpr1
                                        ; kill: killed $vgpr0_vgpr1
; %bb.1052:
	s_or_saveexec_b32 s7, s4
	v_mov_b32_e32 v0, s16
	v_mov_b32_e32 v50, 0
	;; [unrolled: 1-line block ×3, first 2 shown]
	v_and_b32_e32 v19, 3, v60
	v_mov_b32_e32 v53, 0
	v_mov_b32_e32 v52, 0
	;; [unrolled: 1-line block ×15, first 2 shown]
	s_xor_b32 exec_lo, exec_lo, s7
	s_cbranch_execz .LBB325_2112
; %bb.1053:
	s_getpc_b64 s[8:9]
	s_add_u32 s8, s8, llvm.amdgcn.dynlds.offset.table@rel32@lo+4
	s_addc_u32 s9, s9, llvm.amdgcn.dynlds.offset.table@rel32@hi+12
	s_ashr_i32 s17, s16, 31
	v_lshlrev_b32_e32 v0, 3, v60
	s_lshl_b64 s[12:13], s[16:17], 2
	v_lshlrev_b64 v[4:5], 2, v[72:73]
	s_add_u32 s8, s8, s12
	s_addc_u32 s9, s9, s13
	v_and_b32_e32 v6, 24, v0
	s_load_dword s4, s[8:9], 0x0
	s_clause 0x1
	buffer_load_dword v1, off, s[0:3], s32 offset:404
	buffer_load_dword v2, off, s[0:3], s32 offset:416
	v_and_b32_e32 v0, 0xf8, v0
	v_lshl_add_u32 v9, v62, 5, s20
	v_mov_b32_e32 v16, 0x80
	v_mov_b32_e32 v17, 0x7f
	;; [unrolled: 1-line block ×4, first 2 shown]
	v_add3_u32 v14, v9, v6, 7
	v_mov_b32_e32 v20, 0
	v_mov_b32_e32 v21, 0
	;; [unrolled: 1-line block ×16, first 2 shown]
	s_mov_b32 s8, -1
	s_mov_b32 s9, 0xffffff
	s_mov_b32 s11, 0
	s_waitcnt vmcnt(0)
	v_add_co_u32 v2, vcc_lo, v1, v2
	s_clause 0x1
	buffer_load_dword v1, off, s[0:3], s32 offset:400
	buffer_load_dword v3, off, s[0:3], s32 offset:420
	s_waitcnt vmcnt(0)
	v_add_co_ci_u32_e64 v3, null, v1, v3, vcc_lo
	s_clause 0x2
	buffer_load_dword v1, off, s[0:3], s32 offset:424
	buffer_load_dword v7, off, s[0:3], s32 offset:408
	;; [unrolled: 1-line block ×3, first 2 shown]
	v_add_co_u32 v2, vcc_lo, v2, v0
	v_add_co_ci_u32_e64 v3, null, 0, v3, vcc_lo
	v_lshlrev_b32_e32 v0, 5, v19
	v_lshl_or_b32 v0, v62, 7, v0
	s_waitcnt lgkmcnt(0)
	v_add_nc_u32_e32 v15, s4, v0
	s_waitcnt vmcnt(1)
	v_add_co_u32 v4, vcc_lo, v7, v4
	buffer_load_dword v7, off, s[0:3], s32 offset:396 ; 4-byte Folded Reload
	s_waitcnt vmcnt(1)
	v_add_co_ci_u32_e64 v5, null, v8, v5, vcc_lo
	v_add_nc_u32_e32 v36, -1, v1
	v_mov_b32_e32 v1, 0
	s_waitcnt vmcnt(0)
	v_add_co_u32 v7, vcc_lo, v7, v4
	buffer_load_dword v4, off, s[0:3], s32 offset:392 ; 4-byte Folded Reload
	s_waitcnt vmcnt(0)
	v_add_co_ci_u32_e64 v8, null, v4, v5, vcc_lo
	s_branch .LBB325_1055
.LBB325_1054:                           ;   in Loop: Header=BB325_1055 Depth=1
	s_or_b32 exec_lo, exec_lo, s4
	v_add_f32_e32 v4, v4, v5
	v_add_f32_e32 v6, v6, v32
	;; [unrolled: 1-line block ×12, first 2 shown]
	;;#ASMSTART
	v_pk_mul_f16 v4, v68, v118;

	;;#ASMEND
	;;#ASMSTART
	v_pk_mul_f16 v0, v66, v0;

	;;#ASMEND
	v_add_f32_e32 v39, v39, v5
	v_add_f32_e32 v48, v48, v6
	;;#ASMSTART
	v_pk_mul_f16 v5, v65, v10;

	;;#ASMEND
	;;#ASMSTART
	v_pk_mul_f16 v6, v64, v9;

	;;#ASMEND
	;;#ASMSTART
	v_pk_add_f16 v0, v4, v0;

	;;#ASMEND
	;;#ASMSTART
	v_pk_add_f16 v0, v0, v5;
	;; [unrolled: 4-line block ×3, first 2 shown]

	;;#ASMEND
	v_and_b32_e32 v6, 0xffff, v0
	v_add_nc_u32_e32 v72, 4, v72
	v_lshrrev_b32_e32 v9, 16, v0
	;;#ASMSTART
	v_cvt_f32_f16 v6, v6;
	;;#ASMEND
	v_add_f32_e32 v55, v114, v115
	v_add_f32_e32 v33, v33, v35
	;; [unrolled: 1-line block ×9, first 2 shown]
	;;#ASMSTART
	v_cvt_f32_f16 v9, v9;
	;;#ASMEND
	v_add_f32_e32 v6, v6, v9
	v_cmp_ge_i32_e32 vcc_lo, v72, v74
	v_add_co_u32 v7, s4, v7, 16
	v_add_f32_e32 v25, v25, v55
	v_add_f32_e32 v28, v28, v33
	;; [unrolled: 1-line block ×8, first 2 shown]
	v_add_co_ci_u32_e64 v8, null, 0, v8, s4
	v_add_nc_u32_e32 v14, 0x80, v14
	v_add_nc_u32_e32 v15, 0x200, v15
	s_or_b32 s11, vcc_lo, s11
	s_andn2_b32 exec_lo, exec_lo, s11
	s_cbranch_execz .LBB325_2111
.LBB325_1055:                           ; =>This Inner Loop Header: Depth=1
	flat_load_dword v0, v[7:8]
	ds_read2_b64 v[64:67], v15 offset1:1
	ds_read2_b64 v[68:71], v15 offset0:2 offset1:3
	s_waitcnt lgkmcnt(1)
	;;#ASMSTART
	v_cvt_f16_f32 v4, v64;

	;;#ASMEND
	;;#ASMSTART
	v_cvt_f16_f32 v5, v65;

	;;#ASMEND
	;;#ASMSTART
	v_cvt_f16_f32 v32, v66;

	;;#ASMEND
	;;#ASMSTART
	v_cvt_f16_f32 v6, v67;

	;;#ASMEND
	s_waitcnt lgkmcnt(0)
	;;#ASMSTART
	v_cvt_f16_f32 v33, v68;

	;;#ASMEND
	;;#ASMSTART
	v_cvt_f16_f32 v22, v69;

	;;#ASMEND
	;; [unrolled: 4-line block ×4, first 2 shown]
	v_mov_b32_e32 v65, 0
	s_waitcnt vmcnt(0)
	v_mad_i64_i32 v[9:10], null, v0, v61, v[2:3]
	flat_load_dwordx2 v[11:12], v[9:10]
	flat_load_dword v64, v[26:27]
	s_waitcnt vmcnt(1) lgkmcnt(1)
	v_cmp_ne_u16_sdwa s12, v11, v1 src0_sel:BYTE_0 src1_sel:DWORD
	s_and_saveexec_b32 s4, s12
	s_cbranch_execz .LBB325_1063
; %bb.1056:                             ;   in Loop: Header=BB325_1055 Depth=1
	v_cmp_ne_u16_sdwa s13, v11, v16 src0_sel:BYTE_0 src1_sel:DWORD
	v_mov_b32_e32 v65, 0x8000
	s_and_saveexec_b32 s12, s13
	s_cbranch_execz .LBB325_1062
; %bb.1057:                             ;   in Loop: Header=BB325_1055 Depth=1
	v_and_b32_e32 v66, 0x7f, v11
	v_mov_b32_e32 v65, 0x7c01
	s_mov_b32 s13, exec_lo
	v_cmpx_ne_u32_e32 0x7f, v66
	s_cbranch_execz .LBB325_1061
; %bb.1058:                             ;   in Loop: Header=BB325_1055 Depth=1
	v_and_b32_e32 v0, 7, v11
	v_lshrrev_b32_e32 v55, 3, v66
	s_mov_b32 s15, exec_lo
	v_cmpx_gt_u32_e32 8, v66
; %bb.1059:                             ;   in Loop: Header=BB325_1055 Depth=1
	v_ffbh_u32_e32 v0, v0
	v_min_u32_e32 v0, 32, v0
	v_subrev_nc_u32_e32 v55, 28, v0
	v_lshlrev_b64 v[65:66], v55, v[11:12]
	v_sub_nc_u32_e32 v55, 29, v0
	v_and_b32_e32 v0, 7, v65
; %bb.1060:                             ;   in Loop: Header=BB325_1055 Depth=1
	s_or_b32 exec_lo, exec_lo, s15
	v_lshlrev_b32_e32 v65, 8, v11
	v_lshl_add_u32 v55, v55, 10, 0x2000
	v_lshlrev_b32_e32 v0, 7, v0
	v_and_b32_e32 v65, 0x8000, v65
	v_and_b32_e32 v55, 0xfc00, v55
	v_or3_b32 v65, v65, v55, v0
.LBB325_1061:                           ;   in Loop: Header=BB325_1055 Depth=1
	s_or_b32 exec_lo, exec_lo, s13
.LBB325_1062:                           ;   in Loop: Header=BB325_1055 Depth=1
	s_or_b32 exec_lo, exec_lo, s12
.LBB325_1063:                           ;   in Loop: Header=BB325_1055 Depth=1
	s_or_b32 exec_lo, exec_lo, s4
	v_lshrrev_b16 v0, 8, v11
	v_mov_b32_e32 v55, 0
	v_mov_b32_e32 v66, 0
	s_mov_b32 s4, exec_lo
	v_cmpx_ne_u16_e32 0, v0
	s_cbranch_execz .LBB325_1071
; %bb.1064:                             ;   in Loop: Header=BB325_1055 Depth=1
	v_bfrev_b32_e32 v66, 1
	s_mov_b32 s12, exec_lo
	v_cmpx_ne_u16_e32 0x80, v0
	s_cbranch_execz .LBB325_1070
; %bb.1065:                             ;   in Loop: Header=BB325_1055 Depth=1
	v_and_b32_sdwa v68, v0, v17 dst_sel:DWORD dst_unused:UNUSED_PAD src0_sel:WORD_0 src1_sel:DWORD
	v_mov_b32_e32 v66, 0x7c010000
	s_mov_b32 s13, exec_lo
	v_cmpx_ne_u32_e32 0x7f, v68
	s_cbranch_execz .LBB325_1069
; %bb.1066:                             ;   in Loop: Header=BB325_1055 Depth=1
	v_and_b32_sdwa v66, v0, v37 dst_sel:DWORD dst_unused:UNUSED_PAD src0_sel:WORD_0 src1_sel:DWORD
	v_lshrrev_b32_e32 v67, 3, v68
	s_mov_b32 s15, exec_lo
	v_cmpx_gt_u32_e32 8, v68
; %bb.1067:                             ;   in Loop: Header=BB325_1055 Depth=1
	v_ffbh_u32_e32 v66, v66
	v_min_u32_e32 v68, 32, v66
	v_subrev_nc_u32_e32 v66, 28, v68
	v_lshlrev_b64 v[66:67], v66, v[0:1]
	v_sub_nc_u32_e32 v67, 29, v68
	v_and_b32_e32 v66, 7, v66
; %bb.1068:                             ;   in Loop: Header=BB325_1055 Depth=1
	s_or_b32 exec_lo, exec_lo, s15
	v_lshlrev_b32_sdwa v0, v54, v0 dst_sel:DWORD dst_unused:UNUSED_PAD src0_sel:DWORD src1_sel:WORD_0
	v_lshl_add_u32 v67, v67, 10, 0x2000
	v_lshlrev_b32_e32 v66, 23, v66
	v_and_or_b32 v0, 0x8000, v0, v67
	v_lshl_or_b32 v66, v0, 16, v66
.LBB325_1069:                           ;   in Loop: Header=BB325_1055 Depth=1
	s_or_b32 exec_lo, exec_lo, s13
.LBB325_1070:                           ;   in Loop: Header=BB325_1055 Depth=1
	s_or_b32 exec_lo, exec_lo, s12
.LBB325_1071:                           ;   in Loop: Header=BB325_1055 Depth=1
	s_or_b32 exec_lo, exec_lo, s4
	v_lshrrev_b32_e32 v0, 16, v11
	v_cmp_ne_u16_sdwa s12, v0, v1 src0_sel:BYTE_0 src1_sel:DWORD
	s_and_saveexec_b32 s4, s12
	s_cbranch_execz .LBB325_1079
; %bb.1072:                             ;   in Loop: Header=BB325_1055 Depth=1
	v_cmp_ne_u16_sdwa s13, v0, v16 src0_sel:BYTE_0 src1_sel:DWORD
	v_mov_b32_e32 v55, 0x8000
	s_and_saveexec_b32 s12, s13
	s_cbranch_execz .LBB325_1078
; %bb.1073:                             ;   in Loop: Header=BB325_1055 Depth=1
	v_bfe_u32 v68, v11, 16, 7
	v_mov_b32_e32 v55, 0x7c01
	s_mov_b32 s13, exec_lo
	v_cmpx_ne_u32_e32 0x7f, v68
	s_cbranch_execz .LBB325_1077
; %bb.1074:                             ;   in Loop: Header=BB325_1055 Depth=1
	v_and_b32_e32 v55, 7, v0
	v_lshrrev_b32_e32 v67, 3, v68
	s_mov_b32 s15, exec_lo
	v_cmpx_gt_u32_e32 8, v68
; %bb.1075:                             ;   in Loop: Header=BB325_1055 Depth=1
	v_ffbh_u32_e32 v55, v55
	v_min_u32_e32 v55, 32, v55
	v_subrev_nc_u32_e32 v67, 28, v55
	v_lshlrev_b64 v[68:69], v67, v[0:1]
	v_sub_nc_u32_e32 v67, 29, v55
	v_and_b32_e32 v55, 7, v68
; %bb.1076:                             ;   in Loop: Header=BB325_1055 Depth=1
	s_or_b32 exec_lo, exec_lo, s15
	v_lshlrev_b32_e32 v0, 8, v0
	v_lshl_add_u32 v67, v67, 10, 0x2000
	v_lshlrev_b32_e32 v55, 7, v55
	v_and_b32_e32 v0, 0x8000, v0
	v_and_b32_e32 v67, 0xfc00, v67
	v_or3_b32 v55, v0, v67, v55
.LBB325_1077:                           ;   in Loop: Header=BB325_1055 Depth=1
	s_or_b32 exec_lo, exec_lo, s13
.LBB325_1078:                           ;   in Loop: Header=BB325_1055 Depth=1
	s_or_b32 exec_lo, exec_lo, s12
.LBB325_1079:                           ;   in Loop: Header=BB325_1055 Depth=1
	s_or_b32 exec_lo, exec_lo, s4
	v_mov_b32_e32 v67, 0
	v_mov_b32_e32 v68, 0
	s_mov_b32 s4, exec_lo
	v_cmpx_lt_u32_e32 0xffffff, v11
	s_cbranch_execz .LBB325_1087
; %bb.1080:                             ;   in Loop: Header=BB325_1055 Depth=1
	v_lshrrev_b32_e32 v0, 24, v11
	v_bfrev_b32_e32 v68, 1
	s_mov_b32 s12, exec_lo
	v_cmpx_ne_u32_e32 0x80, v0
	s_cbranch_execz .LBB325_1086
; %bb.1081:                             ;   in Loop: Header=BB325_1055 Depth=1
	v_and_b32_e32 v70, 0x7f, v0
	v_mov_b32_e32 v68, 0x7c010000
	s_mov_b32 s13, exec_lo
	v_cmpx_ne_u32_e32 0x7f, v70
	s_cbranch_execz .LBB325_1085
; %bb.1082:                             ;   in Loop: Header=BB325_1055 Depth=1
	v_and_b32_e32 v68, 7, v0
	v_lshrrev_b32_e32 v69, 3, v70
	s_mov_b32 s15, exec_lo
	v_cmpx_gt_u32_e32 8, v70
; %bb.1083:                             ;   in Loop: Header=BB325_1055 Depth=1
	v_ffbh_u32_e32 v68, v68
	v_min_u32_e32 v70, 32, v68
	v_subrev_nc_u32_e32 v68, 28, v70
	v_lshlrev_b64 v[68:69], v68, v[0:1]
	v_sub_nc_u32_e32 v69, 29, v70
	v_and_b32_e32 v68, 7, v68
; %bb.1084:                             ;   in Loop: Header=BB325_1055 Depth=1
	s_or_b32 exec_lo, exec_lo, s15
	v_lshlrev_b32_e32 v0, 8, v0
	v_lshl_add_u32 v69, v69, 10, 0x2000
	v_lshlrev_b32_e32 v68, 23, v68
	v_and_or_b32 v0, 0x8000, v0, v69
	v_lshl_or_b32 v68, v0, 16, v68
.LBB325_1085:                           ;   in Loop: Header=BB325_1055 Depth=1
	s_or_b32 exec_lo, exec_lo, s13
.LBB325_1086:                           ;   in Loop: Header=BB325_1055 Depth=1
	s_or_b32 exec_lo, exec_lo, s12
.LBB325_1087:                           ;   in Loop: Header=BB325_1055 Depth=1
	s_or_b32 exec_lo, exec_lo, s4
	v_mov_b32_e32 v0, v12
	v_cmp_ne_u16_sdwa s12, v12, v1 src0_sel:BYTE_0 src1_sel:DWORD
	s_and_saveexec_b32 s4, s12
	s_cbranch_execz .LBB325_1095
; %bb.1088:                             ;   in Loop: Header=BB325_1055 Depth=1
	v_cmp_ne_u16_sdwa s13, v12, v16 src0_sel:BYTE_0 src1_sel:DWORD
	v_mov_b32_e32 v67, 0x8000
	s_and_saveexec_b32 s12, s13
	s_cbranch_execz .LBB325_1094
; %bb.1089:                             ;   in Loop: Header=BB325_1055 Depth=1
	v_and_b32_e32 v70, 0x7f, v12
	v_mov_b32_e32 v67, 0x7c01
	s_mov_b32 s13, exec_lo
	v_cmpx_ne_u32_e32 0x7f, v70
	s_cbranch_execz .LBB325_1093
; %bb.1090:                             ;   in Loop: Header=BB325_1055 Depth=1
	v_and_b32_e32 v67, 7, v12
	v_lshrrev_b32_e32 v69, 3, v70
	s_mov_b32 s15, exec_lo
	v_cmpx_gt_u32_e32 8, v70
; %bb.1091:                             ;   in Loop: Header=BB325_1055 Depth=1
	v_ffbh_u32_e32 v67, v67
	v_min_u32_e32 v67, 32, v67
	v_subrev_nc_u32_e32 v69, 28, v67
	v_lshlrev_b64 v[70:71], v69, v[0:1]
	v_sub_nc_u32_e32 v69, 29, v67
	v_and_b32_e32 v67, 7, v70
; %bb.1092:                             ;   in Loop: Header=BB325_1055 Depth=1
	s_or_b32 exec_lo, exec_lo, s15
	v_lshlrev_b32_e32 v70, 8, v12
	v_lshl_add_u32 v69, v69, 10, 0x2000
	v_lshlrev_b32_e32 v67, 7, v67
	v_and_b32_e32 v70, 0x8000, v70
	v_and_b32_e32 v69, 0xfc00, v69
	v_or3_b32 v67, v70, v69, v67
.LBB325_1093:                           ;   in Loop: Header=BB325_1055 Depth=1
	s_or_b32 exec_lo, exec_lo, s13
.LBB325_1094:                           ;   in Loop: Header=BB325_1055 Depth=1
	s_or_b32 exec_lo, exec_lo, s12
.LBB325_1095:                           ;   in Loop: Header=BB325_1055 Depth=1
	s_or_b32 exec_lo, exec_lo, s4
	v_lshrrev_b16 v0, 8, v0
	v_mov_b32_e32 v70, 0
	v_mov_b32_e32 v69, 0
	s_mov_b32 s4, exec_lo
	v_cmpx_ne_u16_e32 0, v0
	s_cbranch_execz .LBB325_1103
; %bb.1096:                             ;   in Loop: Header=BB325_1055 Depth=1
	v_bfrev_b32_e32 v69, 1
	s_mov_b32 s12, exec_lo
	v_cmpx_ne_u16_e32 0x80, v0
	s_cbranch_execz .LBB325_1102
; %bb.1097:                             ;   in Loop: Header=BB325_1055 Depth=1
	v_and_b32_sdwa v80, v0, v17 dst_sel:DWORD dst_unused:UNUSED_PAD src0_sel:WORD_0 src1_sel:DWORD
	v_mov_b32_e32 v69, 0x7c010000
	s_mov_b32 s13, exec_lo
	v_cmpx_ne_u32_e32 0x7f, v80
	s_cbranch_execz .LBB325_1101
; %bb.1098:                             ;   in Loop: Header=BB325_1055 Depth=1
	v_and_b32_sdwa v69, v0, v37 dst_sel:DWORD dst_unused:UNUSED_PAD src0_sel:WORD_0 src1_sel:DWORD
	v_lshrrev_b32_e32 v71, 3, v80
	s_mov_b32 s15, exec_lo
	v_cmpx_gt_u32_e32 8, v80
; %bb.1099:                             ;   in Loop: Header=BB325_1055 Depth=1
	v_ffbh_u32_e32 v69, v69
	v_min_u32_e32 v69, 32, v69
	v_subrev_nc_u32_e32 v71, 28, v69
	v_lshlrev_b64 v[80:81], v71, v[0:1]
	v_sub_nc_u32_e32 v71, 29, v69
	v_and_b32_e32 v69, 7, v80
; %bb.1100:                             ;   in Loop: Header=BB325_1055 Depth=1
	s_or_b32 exec_lo, exec_lo, s15
	v_lshlrev_b32_sdwa v0, v54, v0 dst_sel:DWORD dst_unused:UNUSED_PAD src0_sel:DWORD src1_sel:WORD_0
	v_lshl_add_u32 v71, v71, 10, 0x2000
	v_lshlrev_b32_e32 v69, 23, v69
	v_and_or_b32 v0, 0x8000, v0, v71
	v_lshl_or_b32 v69, v0, 16, v69
.LBB325_1101:                           ;   in Loop: Header=BB325_1055 Depth=1
	s_or_b32 exec_lo, exec_lo, s13
.LBB325_1102:                           ;   in Loop: Header=BB325_1055 Depth=1
	s_or_b32 exec_lo, exec_lo, s12
.LBB325_1103:                           ;   in Loop: Header=BB325_1055 Depth=1
	s_or_b32 exec_lo, exec_lo, s4
	v_lshrrev_b32_e32 v0, 16, v12
	v_cmp_ne_u16_sdwa s12, v0, v1 src0_sel:BYTE_0 src1_sel:DWORD
	s_and_saveexec_b32 s4, s12
	s_cbranch_execz .LBB325_1111
; %bb.1104:                             ;   in Loop: Header=BB325_1055 Depth=1
	v_cmp_ne_u16_sdwa s13, v0, v16 src0_sel:BYTE_0 src1_sel:DWORD
	v_mov_b32_e32 v70, 0x8000
	s_and_saveexec_b32 s12, s13
	s_cbranch_execz .LBB325_1110
; %bb.1105:                             ;   in Loop: Header=BB325_1055 Depth=1
	v_bfe_u32 v80, v12, 16, 7
	v_mov_b32_e32 v70, 0x7c01
	s_mov_b32 s13, exec_lo
	v_cmpx_ne_u32_e32 0x7f, v80
	s_cbranch_execz .LBB325_1109
; %bb.1106:                             ;   in Loop: Header=BB325_1055 Depth=1
	v_and_b32_e32 v70, 7, v0
	v_lshrrev_b32_e32 v71, 3, v80
	s_mov_b32 s15, exec_lo
	v_cmpx_gt_u32_e32 8, v80
; %bb.1107:                             ;   in Loop: Header=BB325_1055 Depth=1
	v_ffbh_u32_e32 v70, v70
	v_min_u32_e32 v80, 32, v70
	v_subrev_nc_u32_e32 v70, 28, v80
	v_lshlrev_b64 v[70:71], v70, v[0:1]
	v_sub_nc_u32_e32 v71, 29, v80
	v_and_b32_e32 v70, 7, v70
; %bb.1108:                             ;   in Loop: Header=BB325_1055 Depth=1
	s_or_b32 exec_lo, exec_lo, s15
	v_lshlrev_b32_e32 v0, 8, v0
	v_lshl_add_u32 v71, v71, 10, 0x2000
	v_lshlrev_b32_e32 v70, 7, v70
	v_and_b32_e32 v0, 0x8000, v0
	v_and_b32_e32 v71, 0xfc00, v71
	v_or3_b32 v70, v0, v71, v70
.LBB325_1109:                           ;   in Loop: Header=BB325_1055 Depth=1
	s_or_b32 exec_lo, exec_lo, s13
.LBB325_1110:                           ;   in Loop: Header=BB325_1055 Depth=1
	s_or_b32 exec_lo, exec_lo, s12
.LBB325_1111:                           ;   in Loop: Header=BB325_1055 Depth=1
	s_or_b32 exec_lo, exec_lo, s4
	v_cmp_lt_u64_e32 vcc_lo, s[8:9], v[11:12]
	v_mov_b32_e32 v11, 0
	s_and_saveexec_b32 s4, vcc_lo
	s_cbranch_execz .LBB325_1119
; %bb.1112:                             ;   in Loop: Header=BB325_1055 Depth=1
	v_lshrrev_b32_e32 v0, 24, v12
	v_bfrev_b32_e32 v11, 1
	s_mov_b32 s12, exec_lo
	v_cmpx_ne_u32_e32 0x80, v0
	s_cbranch_execz .LBB325_1118
; %bb.1113:                             ;   in Loop: Header=BB325_1055 Depth=1
	v_and_b32_e32 v71, 0x7f, v0
	v_mov_b32_e32 v11, 0x7c010000
	s_mov_b32 s13, exec_lo
	v_cmpx_ne_u32_e32 0x7f, v71
	s_cbranch_execz .LBB325_1117
; %bb.1114:                             ;   in Loop: Header=BB325_1055 Depth=1
	v_and_b32_e32 v11, 7, v0
	v_lshrrev_b32_e32 v12, 3, v71
	s_mov_b32 s15, exec_lo
	v_cmpx_gt_u32_e32 8, v71
; %bb.1115:                             ;   in Loop: Header=BB325_1055 Depth=1
	v_ffbh_u32_e32 v11, v11
	v_min_u32_e32 v71, 32, v11
	v_subrev_nc_u32_e32 v11, 28, v71
	v_lshlrev_b64 v[11:12], v11, v[0:1]
	v_sub_nc_u32_e32 v12, 29, v71
	v_and_b32_e32 v11, 7, v11
; %bb.1116:                             ;   in Loop: Header=BB325_1055 Depth=1
	s_or_b32 exec_lo, exec_lo, s15
	v_lshlrev_b32_e32 v0, 8, v0
	v_lshl_add_u32 v12, v12, 10, 0x2000
	v_lshlrev_b32_e32 v11, 23, v11
	v_and_or_b32 v0, 0x8000, v0, v12
	v_lshl_or_b32 v11, v0, 16, v11
.LBB325_1117:                           ;   in Loop: Header=BB325_1055 Depth=1
	s_or_b32 exec_lo, exec_lo, s13
.LBB325_1118:                           ;   in Loop: Header=BB325_1055 Depth=1
	s_or_b32 exec_lo, exec_lo, s12
.LBB325_1119:                           ;   in Loop: Header=BB325_1055 Depth=1
	s_or_b32 exec_lo, exec_lo, s4
	v_or_b32_e32 v0, v68, v55
	s_waitcnt vmcnt(0) lgkmcnt(0)
	v_fma_mixlo_f16 v12, v64, v68, 0 op_sel:[0,1,0] op_sel_hi:[0,1,0]
	v_or_b32_e32 v68, v66, v65
	v_fma_mixlo_f16 v65, v64, v66, 0 op_sel:[0,1,0] op_sel_hi:[0,1,0]
	v_or_b32_e32 v66, v69, v67
	v_fma_mixlo_f16 v0, v64, v0, 0 op_sel_hi:[0,1,0]
	v_or_b32_e32 v67, v11, v70
	v_fma_mixlo_f16 v11, v64, v11, 0 op_sel:[0,1,0] op_sel_hi:[0,1,0]
	v_lshlrev_b32_e32 v84, 16, v65
	v_lshlrev_b32_e32 v12, 16, v12
	v_and_b32_e32 v65, 0xffff, v0
	v_fma_mixlo_f16 v0, v64, v68, 0 op_sel_hi:[0,1,0]
	v_fma_mixlo_f16 v68, v64, v69, 0 op_sel:[0,1,0] op_sel_hi:[0,1,0]
	v_fma_mixlo_f16 v69, v64, v66, 0 op_sel_hi:[0,1,0]
	v_fma_mixlo_f16 v67, v64, v67, 0 op_sel_hi:[0,1,0]
	v_lshlrev_b32_e32 v64, 16, v11
	v_and_b32_e32 v86, 0xffff, v0
	v_lshlrev_b32_e32 v66, 16, v68
	v_and_b32_e32 v85, 0xffff, v69
	v_and_b32_e32 v68, 0xffff, v67
	v_add_nc_u32_e32 v55, -7, v14
	v_cmp_eq_u32_e32 vcc_lo, v36, v72
	v_or_b32_e32 v0, v12, v65
	v_or_b32_e32 v11, v84, v86
	;; [unrolled: 1-line block ×4, first 2 shown]
	v_add_nc_u32_e32 v83, -6, v14
	v_add_nc_u32_e32 v82, -5, v14
	;; [unrolled: 1-line block ×6, first 2 shown]
	s_and_saveexec_b32 s12, vcc_lo
	s_cbranch_execz .LBB325_1121
; %bb.1120:                             ;   in Loop: Header=BB325_1055 Depth=1
	v_cmp_lt_i32_e64 s4, v55, v34
	v_cndmask_b32_e64 v0, 0, v86, s4
	v_cmp_lt_i32_e64 s4, v83, v34
	v_cndmask_b32_e64 v11, 0, v84, s4
	v_cmp_lt_i32_e64 s4, v82, v34
	v_or_b32_e32 v11, v0, v11
	v_cndmask_b32_e64 v65, 0, v65, s4
	v_cmp_lt_i32_e64 s4, v81, v34
	v_cndmask_b32_e64 v12, 0, v12, s4
	v_cmp_lt_i32_e64 s4, v80, v34
	v_or_b32_e32 v0, v65, v12
	;; [unrolled: 5-line block ×3, first 2 shown]
	v_cndmask_b32_e64 v68, 0, v68, s4
	v_cmp_lt_i32_e64 s4, v14, v34
	v_cndmask_b32_e64 v64, 0, v64, s4
	v_or_b32_e32 v69, v68, v64
.LBB325_1121:                           ;   in Loop: Header=BB325_1055 Depth=1
	s_or_b32 exec_lo, exec_lo, s12
	v_and_b32_e32 v4, 0xffff, v4
	v_and_b32_e32 v12, 0xffff, v32
	;; [unrolled: 1-line block ×4, first 2 shown]
	v_lshl_or_b32 v68, v5, 16, v4
	v_lshl_or_b32 v66, v6, 16, v12
	;;#ASMSTART
	v_pk_mul_f16 v4, v68, v11;

	;;#ASMEND
	;;#ASMSTART
	v_pk_mul_f16 v0, v66, v0;

	;;#ASMEND
	v_lshl_or_b32 v65, v22, 16, v32
	v_lshl_or_b32 v64, v23, 16, v33
	;;#ASMSTART
	v_pk_mul_f16 v5, v65, v67;

	;;#ASMEND
	;;#ASMSTART
	v_pk_mul_f16 v6, v64, v69;

	;;#ASMEND
	;;#ASMSTART
	v_pk_add_f16 v0, v4, v0;

	;;#ASMEND
	;;#ASMSTART
	v_pk_add_f16 v0, v0, v5;
	;; [unrolled: 4-line block ×3, first 2 shown]

	;;#ASMEND
	v_and_b32_e32 v4, 0xffff, v0
	v_lshrrev_b32_e32 v0, 16, v0
	;;#ASMSTART
	v_cvt_f32_f16 v67, v4;
	;;#ASMEND
	;;#ASMSTART
	v_cvt_f32_f16 v69, v0;
	;;#ASMEND
	flat_load_dwordx2 v[11:12], v[9:10] offset:256
	flat_load_dword v4, v[26:27]
	v_mov_b32_e32 v5, 0
	v_mov_b32_e32 v6, 0
	s_waitcnt vmcnt(1) lgkmcnt(1)
	v_cmp_ne_u16_sdwa s4, v11, v1 src0_sel:BYTE_0 src1_sel:DWORD
	s_and_saveexec_b32 s12, s4
	s_cbranch_execz .LBB325_1129
; %bb.1122:                             ;   in Loop: Header=BB325_1055 Depth=1
	v_cmp_ne_u16_sdwa s4, v11, v16 src0_sel:BYTE_0 src1_sel:DWORD
	v_mov_b32_e32 v6, 0x8000
	s_and_saveexec_b32 s13, s4
	s_cbranch_execz .LBB325_1128
; %bb.1123:                             ;   in Loop: Header=BB325_1055 Depth=1
	v_and_b32_e32 v22, 0x7f, v11
	v_mov_b32_e32 v6, 0x7c01
	s_mov_b32 s15, exec_lo
	v_cmpx_ne_u32_e32 0x7f, v22
	s_cbranch_execz .LBB325_1127
; %bb.1124:                             ;   in Loop: Header=BB325_1055 Depth=1
	v_and_b32_e32 v0, 7, v11
	v_lshrrev_b32_e32 v6, 3, v22
	s_mov_b32 s18, exec_lo
	v_cmpx_gt_u32_e32 8, v22
; %bb.1125:                             ;   in Loop: Header=BB325_1055 Depth=1
	v_ffbh_u32_e32 v0, v0
	v_min_u32_e32 v0, 32, v0
	v_subrev_nc_u32_e32 v6, 28, v0
	v_lshlrev_b64 v[22:23], v6, v[11:12]
	v_sub_nc_u32_e32 v6, 29, v0
	v_and_b32_e32 v0, 7, v22
; %bb.1126:                             ;   in Loop: Header=BB325_1055 Depth=1
	s_or_b32 exec_lo, exec_lo, s18
	v_lshlrev_b32_e32 v22, 8, v11
	v_lshl_add_u32 v6, v6, 10, 0x2000
	v_lshlrev_b32_e32 v0, 7, v0
	v_and_b32_e32 v22, 0x8000, v22
	v_and_b32_e32 v6, 0xfc00, v6
	v_or3_b32 v6, v22, v6, v0
.LBB325_1127:                           ;   in Loop: Header=BB325_1055 Depth=1
	s_or_b32 exec_lo, exec_lo, s15
.LBB325_1128:                           ;   in Loop: Header=BB325_1055 Depth=1
	s_or_b32 exec_lo, exec_lo, s13
.LBB325_1129:                           ;   in Loop: Header=BB325_1055 Depth=1
	s_or_b32 exec_lo, exec_lo, s12
	v_lshrrev_b16 v0, 8, v11
	s_mov_b32 s12, exec_lo
	v_cmpx_ne_u16_e32 0, v0
	s_cbranch_execz .LBB325_1137
; %bb.1130:                             ;   in Loop: Header=BB325_1055 Depth=1
	v_bfrev_b32_e32 v5, 1
	s_mov_b32 s13, exec_lo
	v_cmpx_ne_u16_e32 0x80, v0
	s_cbranch_execz .LBB325_1136
; %bb.1131:                             ;   in Loop: Header=BB325_1055 Depth=1
	v_and_b32_sdwa v23, v0, v17 dst_sel:DWORD dst_unused:UNUSED_PAD src0_sel:WORD_0 src1_sel:DWORD
	v_mov_b32_e32 v5, 0x7c010000
	s_mov_b32 s15, exec_lo
	v_cmpx_ne_u32_e32 0x7f, v23
	s_cbranch_execz .LBB325_1135
; %bb.1132:                             ;   in Loop: Header=BB325_1055 Depth=1
	v_and_b32_sdwa v5, v0, v37 dst_sel:DWORD dst_unused:UNUSED_PAD src0_sel:WORD_0 src1_sel:DWORD
	v_lshrrev_b32_e32 v22, 3, v23
	s_mov_b32 s18, exec_lo
	v_cmpx_gt_u32_e32 8, v23
; %bb.1133:                             ;   in Loop: Header=BB325_1055 Depth=1
	v_ffbh_u32_e32 v5, v5
	v_min_u32_e32 v5, 32, v5
	v_subrev_nc_u32_e32 v22, 28, v5
	v_lshlrev_b64 v[32:33], v22, v[0:1]
	v_sub_nc_u32_e32 v22, 29, v5
	v_and_b32_e32 v5, 7, v32
; %bb.1134:                             ;   in Loop: Header=BB325_1055 Depth=1
	s_or_b32 exec_lo, exec_lo, s18
	v_lshlrev_b32_sdwa v0, v54, v0 dst_sel:DWORD dst_unused:UNUSED_PAD src0_sel:DWORD src1_sel:WORD_0
	v_lshl_add_u32 v22, v22, 10, 0x2000
	v_lshlrev_b32_e32 v5, 23, v5
	v_and_or_b32 v0, 0x8000, v0, v22
	v_lshl_or_b32 v5, v0, 16, v5
.LBB325_1135:                           ;   in Loop: Header=BB325_1055 Depth=1
	s_or_b32 exec_lo, exec_lo, s15
.LBB325_1136:                           ;   in Loop: Header=BB325_1055 Depth=1
	s_or_b32 exec_lo, exec_lo, s13
.LBB325_1137:                           ;   in Loop: Header=BB325_1055 Depth=1
	s_or_b32 exec_lo, exec_lo, s12
	v_lshrrev_b32_e32 v0, 16, v11
	v_mov_b32_e32 v22, 0
	v_mov_b32_e32 v23, 0
	v_cmp_ne_u16_sdwa s4, v0, v1 src0_sel:BYTE_0 src1_sel:DWORD
	s_and_saveexec_b32 s12, s4
	s_cbranch_execz .LBB325_1145
; %bb.1138:                             ;   in Loop: Header=BB325_1055 Depth=1
	v_cmp_ne_u16_sdwa s4, v0, v16 src0_sel:BYTE_0 src1_sel:DWORD
	v_mov_b32_e32 v23, 0x8000
	s_and_saveexec_b32 s13, s4
	s_cbranch_execz .LBB325_1144
; %bb.1139:                             ;   in Loop: Header=BB325_1055 Depth=1
	v_bfe_u32 v33, v11, 16, 7
	v_mov_b32_e32 v23, 0x7c01
	s_mov_b32 s15, exec_lo
	v_cmpx_ne_u32_e32 0x7f, v33
	s_cbranch_execz .LBB325_1143
; %bb.1140:                             ;   in Loop: Header=BB325_1055 Depth=1
	v_and_b32_e32 v23, 7, v0
	v_lshrrev_b32_e32 v32, 3, v33
	s_mov_b32 s18, exec_lo
	v_cmpx_gt_u32_e32 8, v33
; %bb.1141:                             ;   in Loop: Header=BB325_1055 Depth=1
	v_ffbh_u32_e32 v23, v23
	v_min_u32_e32 v23, 32, v23
	v_subrev_nc_u32_e32 v32, 28, v23
	v_lshlrev_b64 v[84:85], v32, v[0:1]
	v_sub_nc_u32_e32 v32, 29, v23
	v_and_b32_e32 v23, 7, v84
; %bb.1142:                             ;   in Loop: Header=BB325_1055 Depth=1
	s_or_b32 exec_lo, exec_lo, s18
	v_lshlrev_b32_e32 v0, 8, v0
	v_lshl_add_u32 v32, v32, 10, 0x2000
	v_lshlrev_b32_e32 v23, 7, v23
	v_and_b32_e32 v0, 0x8000, v0
	v_and_b32_e32 v32, 0xfc00, v32
	v_or3_b32 v23, v0, v32, v23
.LBB325_1143:                           ;   in Loop: Header=BB325_1055 Depth=1
	s_or_b32 exec_lo, exec_lo, s15
.LBB325_1144:                           ;   in Loop: Header=BB325_1055 Depth=1
	s_or_b32 exec_lo, exec_lo, s13
.LBB325_1145:                           ;   in Loop: Header=BB325_1055 Depth=1
	s_or_b32 exec_lo, exec_lo, s12
	s_mov_b32 s12, exec_lo
	v_cmpx_lt_u32_e32 0xffffff, v11
	s_cbranch_execz .LBB325_1153
; %bb.1146:                             ;   in Loop: Header=BB325_1055 Depth=1
	v_lshrrev_b32_e32 v0, 24, v11
	v_bfrev_b32_e32 v22, 1
	s_mov_b32 s13, exec_lo
	v_cmpx_ne_u32_e32 0x80, v0
	s_cbranch_execz .LBB325_1152
; %bb.1147:                             ;   in Loop: Header=BB325_1055 Depth=1
	v_and_b32_e32 v33, 0x7f, v0
	v_mov_b32_e32 v22, 0x7c010000
	s_mov_b32 s15, exec_lo
	v_cmpx_ne_u32_e32 0x7f, v33
	s_cbranch_execz .LBB325_1151
; %bb.1148:                             ;   in Loop: Header=BB325_1055 Depth=1
	v_and_b32_e32 v22, 7, v0
	v_lshrrev_b32_e32 v32, 3, v33
	s_mov_b32 s18, exec_lo
	v_cmpx_gt_u32_e32 8, v33
; %bb.1149:                             ;   in Loop: Header=BB325_1055 Depth=1
	v_ffbh_u32_e32 v22, v22
	v_min_u32_e32 v22, 32, v22
	v_subrev_nc_u32_e32 v32, 28, v22
	v_lshlrev_b64 v[84:85], v32, v[0:1]
	v_sub_nc_u32_e32 v32, 29, v22
	v_and_b32_e32 v22, 7, v84
; %bb.1150:                             ;   in Loop: Header=BB325_1055 Depth=1
	s_or_b32 exec_lo, exec_lo, s18
	v_lshlrev_b32_e32 v0, 8, v0
	v_lshl_add_u32 v32, v32, 10, 0x2000
	v_lshlrev_b32_e32 v22, 23, v22
	v_and_or_b32 v0, 0x8000, v0, v32
	v_lshl_or_b32 v22, v0, 16, v22
.LBB325_1151:                           ;   in Loop: Header=BB325_1055 Depth=1
	s_or_b32 exec_lo, exec_lo, s15
.LBB325_1152:                           ;   in Loop: Header=BB325_1055 Depth=1
	s_or_b32 exec_lo, exec_lo, s13
.LBB325_1153:                           ;   in Loop: Header=BB325_1055 Depth=1
	s_or_b32 exec_lo, exec_lo, s12
	v_mov_b32_e32 v0, v12
	v_cmp_ne_u16_sdwa s4, v12, v1 src0_sel:BYTE_0 src1_sel:DWORD
	v_mov_b32_e32 v32, 0
	v_mov_b32_e32 v33, 0
	s_and_saveexec_b32 s12, s4
	s_cbranch_execz .LBB325_1161
; %bb.1154:                             ;   in Loop: Header=BB325_1055 Depth=1
	v_cmp_ne_u16_sdwa s4, v12, v16 src0_sel:BYTE_0 src1_sel:DWORD
	v_mov_b32_e32 v33, 0x8000
	s_and_saveexec_b32 s13, s4
	s_cbranch_execz .LBB325_1160
; %bb.1155:                             ;   in Loop: Header=BB325_1055 Depth=1
	v_and_b32_e32 v84, 0x7f, v12
	v_mov_b32_e32 v33, 0x7c01
	s_mov_b32 s15, exec_lo
	v_cmpx_ne_u32_e32 0x7f, v84
	s_cbranch_execz .LBB325_1159
; %bb.1156:                             ;   in Loop: Header=BB325_1055 Depth=1
	v_and_b32_e32 v33, 7, v12
	v_lshrrev_b32_e32 v35, 3, v84
	s_mov_b32 s18, exec_lo
	v_cmpx_gt_u32_e32 8, v84
; %bb.1157:                             ;   in Loop: Header=BB325_1055 Depth=1
	v_ffbh_u32_e32 v33, v33
	v_min_u32_e32 v33, 32, v33
	v_subrev_nc_u32_e32 v35, 28, v33
	v_lshlrev_b64 v[84:85], v35, v[0:1]
	v_sub_nc_u32_e32 v35, 29, v33
	v_and_b32_e32 v33, 7, v84
; %bb.1158:                             ;   in Loop: Header=BB325_1055 Depth=1
	s_or_b32 exec_lo, exec_lo, s18
	v_lshlrev_b32_e32 v84, 8, v12
	v_lshl_add_u32 v35, v35, 10, 0x2000
	v_lshlrev_b32_e32 v33, 7, v33
	v_and_b32_e32 v84, 0x8000, v84
	v_and_b32_e32 v35, 0xfc00, v35
	v_or3_b32 v33, v84, v35, v33
.LBB325_1159:                           ;   in Loop: Header=BB325_1055 Depth=1
	s_or_b32 exec_lo, exec_lo, s15
.LBB325_1160:                           ;   in Loop: Header=BB325_1055 Depth=1
	s_or_b32 exec_lo, exec_lo, s13
.LBB325_1161:                           ;   in Loop: Header=BB325_1055 Depth=1
	s_or_b32 exec_lo, exec_lo, s12
	v_lshrrev_b16 v0, 8, v0
	v_mov_b32_e32 v35, 0
	s_mov_b32 s12, exec_lo
	v_cmpx_ne_u16_e32 0, v0
	s_cbranch_execz .LBB325_1169
; %bb.1162:                             ;   in Loop: Header=BB325_1055 Depth=1
	v_bfrev_b32_e32 v35, 1
	s_mov_b32 s13, exec_lo
	v_cmpx_ne_u16_e32 0x80, v0
	s_cbranch_execz .LBB325_1168
; %bb.1163:                             ;   in Loop: Header=BB325_1055 Depth=1
	v_and_b32_sdwa v85, v0, v17 dst_sel:DWORD dst_unused:UNUSED_PAD src0_sel:WORD_0 src1_sel:DWORD
	v_mov_b32_e32 v35, 0x7c010000
	s_mov_b32 s15, exec_lo
	v_cmpx_ne_u32_e32 0x7f, v85
	s_cbranch_execz .LBB325_1167
; %bb.1164:                             ;   in Loop: Header=BB325_1055 Depth=1
	v_and_b32_sdwa v35, v0, v37 dst_sel:DWORD dst_unused:UNUSED_PAD src0_sel:WORD_0 src1_sel:DWORD
	v_lshrrev_b32_e32 v84, 3, v85
	s_mov_b32 s18, exec_lo
	v_cmpx_gt_u32_e32 8, v85
; %bb.1165:                             ;   in Loop: Header=BB325_1055 Depth=1
	v_ffbh_u32_e32 v35, v35
	v_min_u32_e32 v35, 32, v35
	v_subrev_nc_u32_e32 v84, 28, v35
	v_lshlrev_b64 v[85:86], v84, v[0:1]
	v_sub_nc_u32_e32 v84, 29, v35
	v_and_b32_e32 v35, 7, v85
; %bb.1166:                             ;   in Loop: Header=BB325_1055 Depth=1
	s_or_b32 exec_lo, exec_lo, s18
	v_lshlrev_b32_sdwa v0, v54, v0 dst_sel:DWORD dst_unused:UNUSED_PAD src0_sel:DWORD src1_sel:WORD_0
	v_lshl_add_u32 v84, v84, 10, 0x2000
	v_lshlrev_b32_e32 v35, 23, v35
	v_and_or_b32 v0, 0x8000, v0, v84
	v_lshl_or_b32 v35, v0, 16, v35
.LBB325_1167:                           ;   in Loop: Header=BB325_1055 Depth=1
	s_or_b32 exec_lo, exec_lo, s15
.LBB325_1168:                           ;   in Loop: Header=BB325_1055 Depth=1
	s_or_b32 exec_lo, exec_lo, s13
.LBB325_1169:                           ;   in Loop: Header=BB325_1055 Depth=1
	s_or_b32 exec_lo, exec_lo, s12
	v_lshrrev_b32_e32 v0, 16, v12
	v_cmp_ne_u16_sdwa s4, v0, v1 src0_sel:BYTE_0 src1_sel:DWORD
	s_and_saveexec_b32 s12, s4
	s_cbranch_execz .LBB325_1177
; %bb.1170:                             ;   in Loop: Header=BB325_1055 Depth=1
	v_cmp_ne_u16_sdwa s4, v0, v16 src0_sel:BYTE_0 src1_sel:DWORD
	v_mov_b32_e32 v32, 0x8000
	s_and_saveexec_b32 s13, s4
	s_cbranch_execz .LBB325_1176
; %bb.1171:                             ;   in Loop: Header=BB325_1055 Depth=1
	v_bfe_u32 v85, v12, 16, 7
	v_mov_b32_e32 v32, 0x7c01
	s_mov_b32 s15, exec_lo
	v_cmpx_ne_u32_e32 0x7f, v85
	s_cbranch_execz .LBB325_1175
; %bb.1172:                             ;   in Loop: Header=BB325_1055 Depth=1
	v_and_b32_e32 v32, 7, v0
	v_lshrrev_b32_e32 v84, 3, v85
	s_mov_b32 s18, exec_lo
	v_cmpx_gt_u32_e32 8, v85
; %bb.1173:                             ;   in Loop: Header=BB325_1055 Depth=1
	v_ffbh_u32_e32 v32, v32
	v_min_u32_e32 v32, 32, v32
	v_subrev_nc_u32_e32 v84, 28, v32
	v_lshlrev_b64 v[85:86], v84, v[0:1]
	v_sub_nc_u32_e32 v84, 29, v32
	v_and_b32_e32 v32, 7, v85
; %bb.1174:                             ;   in Loop: Header=BB325_1055 Depth=1
	s_or_b32 exec_lo, exec_lo, s18
	v_lshlrev_b32_e32 v0, 8, v0
	v_lshl_add_u32 v84, v84, 10, 0x2000
	v_lshlrev_b32_e32 v32, 7, v32
	v_and_b32_e32 v0, 0x8000, v0
	v_and_b32_e32 v84, 0xfc00, v84
	v_or3_b32 v32, v0, v84, v32
.LBB325_1175:                           ;   in Loop: Header=BB325_1055 Depth=1
	s_or_b32 exec_lo, exec_lo, s15
.LBB325_1176:                           ;   in Loop: Header=BB325_1055 Depth=1
	s_or_b32 exec_lo, exec_lo, s13
.LBB325_1177:                           ;   in Loop: Header=BB325_1055 Depth=1
	s_or_b32 exec_lo, exec_lo, s12
	v_cmp_lt_u64_e64 s4, s[8:9], v[11:12]
	v_mov_b32_e32 v11, 0
	s_and_saveexec_b32 s12, s4
	s_cbranch_execz .LBB325_1185
; %bb.1178:                             ;   in Loop: Header=BB325_1055 Depth=1
	v_lshrrev_b32_e32 v0, 24, v12
	v_bfrev_b32_e32 v11, 1
	s_mov_b32 s13, exec_lo
	v_cmpx_ne_u32_e32 0x80, v0
	s_cbranch_execz .LBB325_1184
; %bb.1179:                             ;   in Loop: Header=BB325_1055 Depth=1
	v_and_b32_e32 v84, 0x7f, v0
	v_mov_b32_e32 v11, 0x7c010000
	s_mov_b32 s15, exec_lo
	v_cmpx_ne_u32_e32 0x7f, v84
	s_cbranch_execz .LBB325_1183
; %bb.1180:                             ;   in Loop: Header=BB325_1055 Depth=1
	v_and_b32_e32 v11, 7, v0
	v_lshrrev_b32_e32 v12, 3, v84
	s_mov_b32 s18, exec_lo
	v_cmpx_gt_u32_e32 8, v84
; %bb.1181:                             ;   in Loop: Header=BB325_1055 Depth=1
	v_ffbh_u32_e32 v11, v11
	v_min_u32_e32 v84, 32, v11
	v_subrev_nc_u32_e32 v11, 28, v84
	v_lshlrev_b64 v[11:12], v11, v[0:1]
	v_sub_nc_u32_e32 v12, 29, v84
	v_and_b32_e32 v11, 7, v11
; %bb.1182:                             ;   in Loop: Header=BB325_1055 Depth=1
	s_or_b32 exec_lo, exec_lo, s18
	v_lshlrev_b32_e32 v0, 8, v0
	v_lshl_add_u32 v12, v12, 10, 0x2000
	v_lshlrev_b32_e32 v11, 23, v11
	v_and_or_b32 v0, 0x8000, v0, v12
	v_lshl_or_b32 v11, v0, 16, v11
.LBB325_1183:                           ;   in Loop: Header=BB325_1055 Depth=1
	s_or_b32 exec_lo, exec_lo, s15
.LBB325_1184:                           ;   in Loop: Header=BB325_1055 Depth=1
	s_or_b32 exec_lo, exec_lo, s13
.LBB325_1185:                           ;   in Loop: Header=BB325_1055 Depth=1
	s_or_b32 exec_lo, exec_lo, s12
	v_or_b32_e32 v0, v22, v23
	s_waitcnt vmcnt(0) lgkmcnt(0)
	v_fma_mixlo_f16 v12, v4, v22, 0 op_sel:[0,1,0] op_sel_hi:[0,1,0]
	v_or_b32_e32 v6, v5, v6
	v_fma_mixlo_f16 v5, v4, v5, 0 op_sel:[0,1,0] op_sel_hi:[0,1,0]
	v_or_b32_e32 v22, v35, v33
	v_fma_mixlo_f16 v23, v4, v0, 0 op_sel_hi:[0,1,0]
	v_or_b32_e32 v32, v11, v32
	v_lshlrev_b32_e32 v0, 16, v12
	v_lshlrev_b32_e32 v12, 16, v5
	v_fma_mixlo_f16 v6, v4, v6, 0 op_sel_hi:[0,1,0]
	v_and_b32_e32 v5, 0xffff, v23
	v_fma_mixlo_f16 v23, v4, v35, 0 op_sel:[0,1,0] op_sel_hi:[0,1,0]
	v_fma_mixlo_f16 v22, v4, v22, 0 op_sel_hi:[0,1,0]
	v_fma_mixlo_f16 v11, v4, v11, 0 op_sel:[0,1,0] op_sel_hi:[0,1,0]
	v_fma_mixlo_f16 v32, v4, v32, 0 op_sel_hi:[0,1,0]
	v_and_b32_e32 v84, 0xffff, v6
	v_lshlrev_b32_e32 v6, 16, v23
	v_and_b32_e32 v23, 0xffff, v22
	v_lshlrev_b32_e32 v4, 16, v11
	v_and_b32_e32 v11, 0xffff, v32
	v_or_b32_e32 v22, v0, v5
	v_or_b32_e32 v35, v12, v84
	;; [unrolled: 1-line block ×4, first 2 shown]
	s_and_saveexec_b32 s12, vcc_lo
	s_cbranch_execz .LBB325_1187
; %bb.1186:                             ;   in Loop: Header=BB325_1055 Depth=1
	v_cmp_lt_i32_e64 s4, v55, v34
	v_cndmask_b32_e64 v22, 0, v84, s4
	v_cmp_lt_i32_e64 s4, v83, v34
	v_cndmask_b32_e64 v12, 0, v12, s4
	v_cmp_lt_i32_e64 s4, v82, v34
	v_or_b32_e32 v35, v22, v12
	v_cndmask_b32_e64 v5, 0, v5, s4
	v_cmp_lt_i32_e64 s4, v81, v34
	v_cndmask_b32_e64 v0, 0, v0, s4
	v_cmp_lt_i32_e64 s4, v80, v34
	v_or_b32_e32 v22, v5, v0
	;; [unrolled: 5-line block ×3, first 2 shown]
	v_cndmask_b32_e64 v11, 0, v11, s4
	v_cmp_lt_i32_e64 s4, v14, v34
	v_cndmask_b32_e64 v4, 0, v4, s4
	v_or_b32_e32 v32, v11, v4
.LBB325_1187:                           ;   in Loop: Header=BB325_1055 Depth=1
	s_or_b32 exec_lo, exec_lo, s12
	;;#ASMSTART
	v_pk_mul_f16 v0, v68, v35;

	;;#ASMEND
	;;#ASMSTART
	v_pk_mul_f16 v4, v66, v22;

	;;#ASMEND
	;;#ASMSTART
	v_pk_mul_f16 v5, v65, v33;

	;;#ASMEND
	;;#ASMSTART
	v_pk_mul_f16 v6, v64, v32;

	;;#ASMEND
	;;#ASMSTART
	v_pk_add_f16 v0, v0, v4;

	;;#ASMEND
	;;#ASMSTART
	v_pk_add_f16 v0, v0, v5;

	;;#ASMEND
	;; [unrolled: 4-line block ×3, first 2 shown]
	v_and_b32_e32 v4, 0xffff, v0
	v_lshrrev_b32_e32 v0, 16, v0
	;;#ASMSTART
	v_cvt_f32_f16 v84, v4;
	;;#ASMEND
	;;#ASMSTART
	v_cvt_f32_f16 v85, v0;
	;;#ASMEND
	flat_load_dwordx2 v[11:12], v[9:10] offset:512
	flat_load_dword v4, v[26:27]
	v_mov_b32_e32 v5, 0
	v_mov_b32_e32 v6, 0
	s_waitcnt vmcnt(1) lgkmcnt(1)
	v_cmp_ne_u16_sdwa s4, v11, v1 src0_sel:BYTE_0 src1_sel:DWORD
	s_and_saveexec_b32 s12, s4
	s_cbranch_execz .LBB325_1195
; %bb.1188:                             ;   in Loop: Header=BB325_1055 Depth=1
	v_cmp_ne_u16_sdwa s4, v11, v16 src0_sel:BYTE_0 src1_sel:DWORD
	v_mov_b32_e32 v6, 0x8000
	s_and_saveexec_b32 s13, s4
	s_cbranch_execz .LBB325_1194
; %bb.1189:                             ;   in Loop: Header=BB325_1055 Depth=1
	v_and_b32_e32 v22, 0x7f, v11
	v_mov_b32_e32 v6, 0x7c01
	s_mov_b32 s15, exec_lo
	v_cmpx_ne_u32_e32 0x7f, v22
	s_cbranch_execz .LBB325_1193
; %bb.1190:                             ;   in Loop: Header=BB325_1055 Depth=1
	v_and_b32_e32 v0, 7, v11
	v_lshrrev_b32_e32 v6, 3, v22
	s_mov_b32 s18, exec_lo
	v_cmpx_gt_u32_e32 8, v22
; %bb.1191:                             ;   in Loop: Header=BB325_1055 Depth=1
	v_ffbh_u32_e32 v0, v0
	v_min_u32_e32 v0, 32, v0
	v_subrev_nc_u32_e32 v6, 28, v0
	v_lshlrev_b64 v[22:23], v6, v[11:12]
	v_sub_nc_u32_e32 v6, 29, v0
	v_and_b32_e32 v0, 7, v22
; %bb.1192:                             ;   in Loop: Header=BB325_1055 Depth=1
	s_or_b32 exec_lo, exec_lo, s18
	v_lshlrev_b32_e32 v22, 8, v11
	v_lshl_add_u32 v6, v6, 10, 0x2000
	v_lshlrev_b32_e32 v0, 7, v0
	v_and_b32_e32 v22, 0x8000, v22
	v_and_b32_e32 v6, 0xfc00, v6
	v_or3_b32 v6, v22, v6, v0
.LBB325_1193:                           ;   in Loop: Header=BB325_1055 Depth=1
	s_or_b32 exec_lo, exec_lo, s15
.LBB325_1194:                           ;   in Loop: Header=BB325_1055 Depth=1
	s_or_b32 exec_lo, exec_lo, s13
.LBB325_1195:                           ;   in Loop: Header=BB325_1055 Depth=1
	s_or_b32 exec_lo, exec_lo, s12
	v_lshrrev_b16 v0, 8, v11
	s_mov_b32 s12, exec_lo
	v_cmpx_ne_u16_e32 0, v0
	s_cbranch_execz .LBB325_1203
; %bb.1196:                             ;   in Loop: Header=BB325_1055 Depth=1
	v_bfrev_b32_e32 v5, 1
	s_mov_b32 s13, exec_lo
	v_cmpx_ne_u16_e32 0x80, v0
	s_cbranch_execz .LBB325_1202
; %bb.1197:                             ;   in Loop: Header=BB325_1055 Depth=1
	v_and_b32_sdwa v23, v0, v17 dst_sel:DWORD dst_unused:UNUSED_PAD src0_sel:WORD_0 src1_sel:DWORD
	v_mov_b32_e32 v5, 0x7c010000
	s_mov_b32 s15, exec_lo
	v_cmpx_ne_u32_e32 0x7f, v23
	s_cbranch_execz .LBB325_1201
; %bb.1198:                             ;   in Loop: Header=BB325_1055 Depth=1
	v_and_b32_sdwa v5, v0, v37 dst_sel:DWORD dst_unused:UNUSED_PAD src0_sel:WORD_0 src1_sel:DWORD
	v_lshrrev_b32_e32 v22, 3, v23
	s_mov_b32 s18, exec_lo
	v_cmpx_gt_u32_e32 8, v23
; %bb.1199:                             ;   in Loop: Header=BB325_1055 Depth=1
	v_ffbh_u32_e32 v5, v5
	v_min_u32_e32 v5, 32, v5
	v_subrev_nc_u32_e32 v22, 28, v5
	v_lshlrev_b64 v[32:33], v22, v[0:1]
	v_sub_nc_u32_e32 v22, 29, v5
	v_and_b32_e32 v5, 7, v32
; %bb.1200:                             ;   in Loop: Header=BB325_1055 Depth=1
	s_or_b32 exec_lo, exec_lo, s18
	v_lshlrev_b32_sdwa v0, v54, v0 dst_sel:DWORD dst_unused:UNUSED_PAD src0_sel:DWORD src1_sel:WORD_0
	v_lshl_add_u32 v22, v22, 10, 0x2000
	v_lshlrev_b32_e32 v5, 23, v5
	v_and_or_b32 v0, 0x8000, v0, v22
	v_lshl_or_b32 v5, v0, 16, v5
.LBB325_1201:                           ;   in Loop: Header=BB325_1055 Depth=1
	s_or_b32 exec_lo, exec_lo, s15
.LBB325_1202:                           ;   in Loop: Header=BB325_1055 Depth=1
	s_or_b32 exec_lo, exec_lo, s13
.LBB325_1203:                           ;   in Loop: Header=BB325_1055 Depth=1
	s_or_b32 exec_lo, exec_lo, s12
	v_lshrrev_b32_e32 v0, 16, v11
	v_mov_b32_e32 v22, 0
	v_mov_b32_e32 v23, 0
	v_cmp_ne_u16_sdwa s4, v0, v1 src0_sel:BYTE_0 src1_sel:DWORD
	s_and_saveexec_b32 s12, s4
	s_cbranch_execz .LBB325_1211
; %bb.1204:                             ;   in Loop: Header=BB325_1055 Depth=1
	v_cmp_ne_u16_sdwa s4, v0, v16 src0_sel:BYTE_0 src1_sel:DWORD
	v_mov_b32_e32 v23, 0x8000
	s_and_saveexec_b32 s13, s4
	s_cbranch_execz .LBB325_1210
; %bb.1205:                             ;   in Loop: Header=BB325_1055 Depth=1
	v_bfe_u32 v33, v11, 16, 7
	v_mov_b32_e32 v23, 0x7c01
	s_mov_b32 s15, exec_lo
	v_cmpx_ne_u32_e32 0x7f, v33
	s_cbranch_execz .LBB325_1209
; %bb.1206:                             ;   in Loop: Header=BB325_1055 Depth=1
	v_and_b32_e32 v23, 7, v0
	v_lshrrev_b32_e32 v32, 3, v33
	s_mov_b32 s18, exec_lo
	v_cmpx_gt_u32_e32 8, v33
; %bb.1207:                             ;   in Loop: Header=BB325_1055 Depth=1
	v_ffbh_u32_e32 v23, v23
	v_min_u32_e32 v23, 32, v23
	v_subrev_nc_u32_e32 v32, 28, v23
	v_lshlrev_b64 v[86:87], v32, v[0:1]
	v_sub_nc_u32_e32 v32, 29, v23
	v_and_b32_e32 v23, 7, v86
; %bb.1208:                             ;   in Loop: Header=BB325_1055 Depth=1
	s_or_b32 exec_lo, exec_lo, s18
	v_lshlrev_b32_e32 v0, 8, v0
	v_lshl_add_u32 v32, v32, 10, 0x2000
	v_lshlrev_b32_e32 v23, 7, v23
	v_and_b32_e32 v0, 0x8000, v0
	v_and_b32_e32 v32, 0xfc00, v32
	v_or3_b32 v23, v0, v32, v23
.LBB325_1209:                           ;   in Loop: Header=BB325_1055 Depth=1
	s_or_b32 exec_lo, exec_lo, s15
.LBB325_1210:                           ;   in Loop: Header=BB325_1055 Depth=1
	s_or_b32 exec_lo, exec_lo, s13
.LBB325_1211:                           ;   in Loop: Header=BB325_1055 Depth=1
	s_or_b32 exec_lo, exec_lo, s12
	s_mov_b32 s12, exec_lo
	v_cmpx_lt_u32_e32 0xffffff, v11
	s_cbranch_execz .LBB325_1219
; %bb.1212:                             ;   in Loop: Header=BB325_1055 Depth=1
	v_lshrrev_b32_e32 v0, 24, v11
	v_bfrev_b32_e32 v22, 1
	s_mov_b32 s13, exec_lo
	v_cmpx_ne_u32_e32 0x80, v0
	s_cbranch_execz .LBB325_1218
; %bb.1213:                             ;   in Loop: Header=BB325_1055 Depth=1
	v_and_b32_e32 v33, 0x7f, v0
	v_mov_b32_e32 v22, 0x7c010000
	s_mov_b32 s15, exec_lo
	v_cmpx_ne_u32_e32 0x7f, v33
	s_cbranch_execz .LBB325_1217
; %bb.1214:                             ;   in Loop: Header=BB325_1055 Depth=1
	v_and_b32_e32 v22, 7, v0
	v_lshrrev_b32_e32 v32, 3, v33
	s_mov_b32 s18, exec_lo
	v_cmpx_gt_u32_e32 8, v33
; %bb.1215:                             ;   in Loop: Header=BB325_1055 Depth=1
	v_ffbh_u32_e32 v22, v22
	v_min_u32_e32 v22, 32, v22
	v_subrev_nc_u32_e32 v32, 28, v22
	v_lshlrev_b64 v[86:87], v32, v[0:1]
	v_sub_nc_u32_e32 v32, 29, v22
	v_and_b32_e32 v22, 7, v86
; %bb.1216:                             ;   in Loop: Header=BB325_1055 Depth=1
	s_or_b32 exec_lo, exec_lo, s18
	v_lshlrev_b32_e32 v0, 8, v0
	v_lshl_add_u32 v32, v32, 10, 0x2000
	v_lshlrev_b32_e32 v22, 23, v22
	v_and_or_b32 v0, 0x8000, v0, v32
	v_lshl_or_b32 v22, v0, 16, v22
.LBB325_1217:                           ;   in Loop: Header=BB325_1055 Depth=1
	s_or_b32 exec_lo, exec_lo, s15
.LBB325_1218:                           ;   in Loop: Header=BB325_1055 Depth=1
	s_or_b32 exec_lo, exec_lo, s13
.LBB325_1219:                           ;   in Loop: Header=BB325_1055 Depth=1
	s_or_b32 exec_lo, exec_lo, s12
	v_mov_b32_e32 v0, v12
	v_cmp_ne_u16_sdwa s4, v12, v1 src0_sel:BYTE_0 src1_sel:DWORD
	v_mov_b32_e32 v32, 0
	v_mov_b32_e32 v33, 0
	s_and_saveexec_b32 s12, s4
	s_cbranch_execz .LBB325_1227
; %bb.1220:                             ;   in Loop: Header=BB325_1055 Depth=1
	v_cmp_ne_u16_sdwa s4, v12, v16 src0_sel:BYTE_0 src1_sel:DWORD
	v_mov_b32_e32 v33, 0x8000
	s_and_saveexec_b32 s13, s4
	s_cbranch_execz .LBB325_1226
; %bb.1221:                             ;   in Loop: Header=BB325_1055 Depth=1
	v_and_b32_e32 v86, 0x7f, v12
	v_mov_b32_e32 v33, 0x7c01
	s_mov_b32 s15, exec_lo
	v_cmpx_ne_u32_e32 0x7f, v86
	s_cbranch_execz .LBB325_1225
; %bb.1222:                             ;   in Loop: Header=BB325_1055 Depth=1
	v_and_b32_e32 v33, 7, v12
	v_lshrrev_b32_e32 v35, 3, v86
	s_mov_b32 s18, exec_lo
	v_cmpx_gt_u32_e32 8, v86
; %bb.1223:                             ;   in Loop: Header=BB325_1055 Depth=1
	v_ffbh_u32_e32 v33, v33
	v_min_u32_e32 v33, 32, v33
	v_subrev_nc_u32_e32 v35, 28, v33
	v_lshlrev_b64 v[86:87], v35, v[0:1]
	v_sub_nc_u32_e32 v35, 29, v33
	v_and_b32_e32 v33, 7, v86
; %bb.1224:                             ;   in Loop: Header=BB325_1055 Depth=1
	s_or_b32 exec_lo, exec_lo, s18
	v_lshlrev_b32_e32 v86, 8, v12
	v_lshl_add_u32 v35, v35, 10, 0x2000
	v_lshlrev_b32_e32 v33, 7, v33
	v_and_b32_e32 v86, 0x8000, v86
	v_and_b32_e32 v35, 0xfc00, v35
	v_or3_b32 v33, v86, v35, v33
.LBB325_1225:                           ;   in Loop: Header=BB325_1055 Depth=1
	s_or_b32 exec_lo, exec_lo, s15
.LBB325_1226:                           ;   in Loop: Header=BB325_1055 Depth=1
	s_or_b32 exec_lo, exec_lo, s13
.LBB325_1227:                           ;   in Loop: Header=BB325_1055 Depth=1
	s_or_b32 exec_lo, exec_lo, s12
	v_lshrrev_b16 v0, 8, v0
	v_mov_b32_e32 v35, 0
	s_mov_b32 s12, exec_lo
	v_cmpx_ne_u16_e32 0, v0
	s_cbranch_execz .LBB325_1235
; %bb.1228:                             ;   in Loop: Header=BB325_1055 Depth=1
	v_bfrev_b32_e32 v35, 1
	s_mov_b32 s13, exec_lo
	v_cmpx_ne_u16_e32 0x80, v0
	s_cbranch_execz .LBB325_1234
; %bb.1229:                             ;   in Loop: Header=BB325_1055 Depth=1
	v_and_b32_sdwa v87, v0, v17 dst_sel:DWORD dst_unused:UNUSED_PAD src0_sel:WORD_0 src1_sel:DWORD
	v_mov_b32_e32 v35, 0x7c010000
	s_mov_b32 s15, exec_lo
	v_cmpx_ne_u32_e32 0x7f, v87
	s_cbranch_execz .LBB325_1233
; %bb.1230:                             ;   in Loop: Header=BB325_1055 Depth=1
	v_and_b32_sdwa v35, v0, v37 dst_sel:DWORD dst_unused:UNUSED_PAD src0_sel:WORD_0 src1_sel:DWORD
	v_lshrrev_b32_e32 v86, 3, v87
	s_mov_b32 s18, exec_lo
	v_cmpx_gt_u32_e32 8, v87
; %bb.1231:                             ;   in Loop: Header=BB325_1055 Depth=1
	v_ffbh_u32_e32 v35, v35
	v_min_u32_e32 v35, 32, v35
	v_subrev_nc_u32_e32 v86, 28, v35
	v_lshlrev_b64 v[96:97], v86, v[0:1]
	v_sub_nc_u32_e32 v86, 29, v35
	v_and_b32_e32 v35, 7, v96
; %bb.1232:                             ;   in Loop: Header=BB325_1055 Depth=1
	s_or_b32 exec_lo, exec_lo, s18
	v_lshlrev_b32_sdwa v0, v54, v0 dst_sel:DWORD dst_unused:UNUSED_PAD src0_sel:DWORD src1_sel:WORD_0
	v_lshl_add_u32 v86, v86, 10, 0x2000
	v_lshlrev_b32_e32 v35, 23, v35
	v_and_or_b32 v0, 0x8000, v0, v86
	v_lshl_or_b32 v35, v0, 16, v35
.LBB325_1233:                           ;   in Loop: Header=BB325_1055 Depth=1
	s_or_b32 exec_lo, exec_lo, s15
.LBB325_1234:                           ;   in Loop: Header=BB325_1055 Depth=1
	s_or_b32 exec_lo, exec_lo, s13
.LBB325_1235:                           ;   in Loop: Header=BB325_1055 Depth=1
	s_or_b32 exec_lo, exec_lo, s12
	v_lshrrev_b32_e32 v0, 16, v12
	v_cmp_ne_u16_sdwa s4, v0, v1 src0_sel:BYTE_0 src1_sel:DWORD
	s_and_saveexec_b32 s12, s4
	s_cbranch_execz .LBB325_1243
; %bb.1236:                             ;   in Loop: Header=BB325_1055 Depth=1
	v_cmp_ne_u16_sdwa s4, v0, v16 src0_sel:BYTE_0 src1_sel:DWORD
	v_mov_b32_e32 v32, 0x8000
	s_and_saveexec_b32 s13, s4
	s_cbranch_execz .LBB325_1242
; %bb.1237:                             ;   in Loop: Header=BB325_1055 Depth=1
	v_bfe_u32 v87, v12, 16, 7
	v_mov_b32_e32 v32, 0x7c01
	s_mov_b32 s15, exec_lo
	v_cmpx_ne_u32_e32 0x7f, v87
	s_cbranch_execz .LBB325_1241
; %bb.1238:                             ;   in Loop: Header=BB325_1055 Depth=1
	v_and_b32_e32 v32, 7, v0
	v_lshrrev_b32_e32 v86, 3, v87
	s_mov_b32 s18, exec_lo
	v_cmpx_gt_u32_e32 8, v87
; %bb.1239:                             ;   in Loop: Header=BB325_1055 Depth=1
	v_ffbh_u32_e32 v32, v32
	v_min_u32_e32 v32, 32, v32
	v_subrev_nc_u32_e32 v86, 28, v32
	v_lshlrev_b64 v[96:97], v86, v[0:1]
	v_sub_nc_u32_e32 v86, 29, v32
	v_and_b32_e32 v32, 7, v96
; %bb.1240:                             ;   in Loop: Header=BB325_1055 Depth=1
	s_or_b32 exec_lo, exec_lo, s18
	v_lshlrev_b32_e32 v0, 8, v0
	v_lshl_add_u32 v86, v86, 10, 0x2000
	v_lshlrev_b32_e32 v32, 7, v32
	v_and_b32_e32 v0, 0x8000, v0
	v_and_b32_e32 v86, 0xfc00, v86
	v_or3_b32 v32, v0, v86, v32
.LBB325_1241:                           ;   in Loop: Header=BB325_1055 Depth=1
	s_or_b32 exec_lo, exec_lo, s15
.LBB325_1242:                           ;   in Loop: Header=BB325_1055 Depth=1
	s_or_b32 exec_lo, exec_lo, s13
.LBB325_1243:                           ;   in Loop: Header=BB325_1055 Depth=1
	s_or_b32 exec_lo, exec_lo, s12
	v_cmp_lt_u64_e64 s4, s[8:9], v[11:12]
	v_mov_b32_e32 v11, 0
	s_and_saveexec_b32 s12, s4
	s_cbranch_execz .LBB325_1251
; %bb.1244:                             ;   in Loop: Header=BB325_1055 Depth=1
	v_lshrrev_b32_e32 v0, 24, v12
	v_bfrev_b32_e32 v11, 1
	s_mov_b32 s13, exec_lo
	v_cmpx_ne_u32_e32 0x80, v0
	s_cbranch_execz .LBB325_1250
; %bb.1245:                             ;   in Loop: Header=BB325_1055 Depth=1
	v_and_b32_e32 v86, 0x7f, v0
	v_mov_b32_e32 v11, 0x7c010000
	s_mov_b32 s15, exec_lo
	v_cmpx_ne_u32_e32 0x7f, v86
	s_cbranch_execz .LBB325_1249
; %bb.1246:                             ;   in Loop: Header=BB325_1055 Depth=1
	v_and_b32_e32 v11, 7, v0
	v_lshrrev_b32_e32 v12, 3, v86
	s_mov_b32 s18, exec_lo
	v_cmpx_gt_u32_e32 8, v86
; %bb.1247:                             ;   in Loop: Header=BB325_1055 Depth=1
	v_ffbh_u32_e32 v11, v11
	v_min_u32_e32 v86, 32, v11
	v_subrev_nc_u32_e32 v11, 28, v86
	v_lshlrev_b64 v[11:12], v11, v[0:1]
	v_sub_nc_u32_e32 v12, 29, v86
	v_and_b32_e32 v11, 7, v11
; %bb.1248:                             ;   in Loop: Header=BB325_1055 Depth=1
	s_or_b32 exec_lo, exec_lo, s18
	v_lshlrev_b32_e32 v0, 8, v0
	v_lshl_add_u32 v12, v12, 10, 0x2000
	v_lshlrev_b32_e32 v11, 23, v11
	v_and_or_b32 v0, 0x8000, v0, v12
	v_lshl_or_b32 v11, v0, 16, v11
.LBB325_1249:                           ;   in Loop: Header=BB325_1055 Depth=1
	s_or_b32 exec_lo, exec_lo, s15
.LBB325_1250:                           ;   in Loop: Header=BB325_1055 Depth=1
	s_or_b32 exec_lo, exec_lo, s13
.LBB325_1251:                           ;   in Loop: Header=BB325_1055 Depth=1
	s_or_b32 exec_lo, exec_lo, s12
	v_or_b32_e32 v0, v22, v23
	s_waitcnt vmcnt(0) lgkmcnt(0)
	v_fma_mixlo_f16 v12, v4, v22, 0 op_sel:[0,1,0] op_sel_hi:[0,1,0]
	v_or_b32_e32 v6, v5, v6
	v_fma_mixlo_f16 v5, v4, v5, 0 op_sel:[0,1,0] op_sel_hi:[0,1,0]
	v_or_b32_e32 v22, v35, v33
	v_fma_mixlo_f16 v23, v4, v0, 0 op_sel_hi:[0,1,0]
	v_or_b32_e32 v32, v11, v32
	v_lshlrev_b32_e32 v0, 16, v12
	v_lshlrev_b32_e32 v12, 16, v5
	v_fma_mixlo_f16 v6, v4, v6, 0 op_sel_hi:[0,1,0]
	v_and_b32_e32 v5, 0xffff, v23
	v_fma_mixlo_f16 v23, v4, v35, 0 op_sel:[0,1,0] op_sel_hi:[0,1,0]
	v_fma_mixlo_f16 v22, v4, v22, 0 op_sel_hi:[0,1,0]
	v_fma_mixlo_f16 v11, v4, v11, 0 op_sel:[0,1,0] op_sel_hi:[0,1,0]
	v_fma_mixlo_f16 v32, v4, v32, 0 op_sel_hi:[0,1,0]
	v_and_b32_e32 v86, 0xffff, v6
	v_lshlrev_b32_e32 v6, 16, v23
	v_and_b32_e32 v23, 0xffff, v22
	v_lshlrev_b32_e32 v4, 16, v11
	v_and_b32_e32 v11, 0xffff, v32
	v_or_b32_e32 v22, v0, v5
	v_or_b32_e32 v35, v12, v86
	;; [unrolled: 1-line block ×4, first 2 shown]
	s_and_saveexec_b32 s12, vcc_lo
	s_cbranch_execz .LBB325_1253
; %bb.1252:                             ;   in Loop: Header=BB325_1055 Depth=1
	v_cmp_lt_i32_e64 s4, v55, v34
	v_cndmask_b32_e64 v22, 0, v86, s4
	v_cmp_lt_i32_e64 s4, v83, v34
	v_cndmask_b32_e64 v12, 0, v12, s4
	v_cmp_lt_i32_e64 s4, v82, v34
	v_or_b32_e32 v35, v22, v12
	v_cndmask_b32_e64 v5, 0, v5, s4
	v_cmp_lt_i32_e64 s4, v81, v34
	v_cndmask_b32_e64 v0, 0, v0, s4
	v_cmp_lt_i32_e64 s4, v80, v34
	v_or_b32_e32 v22, v5, v0
	;; [unrolled: 5-line block ×3, first 2 shown]
	v_cndmask_b32_e64 v11, 0, v11, s4
	v_cmp_lt_i32_e64 s4, v14, v34
	v_cndmask_b32_e64 v4, 0, v4, s4
	v_or_b32_e32 v32, v11, v4
.LBB325_1253:                           ;   in Loop: Header=BB325_1055 Depth=1
	s_or_b32 exec_lo, exec_lo, s12
	;;#ASMSTART
	v_pk_mul_f16 v0, v68, v35;

	;;#ASMEND
	;;#ASMSTART
	v_pk_mul_f16 v4, v66, v22;

	;;#ASMEND
	;; [unrolled: 4-line block ×4, first 2 shown]
	;;#ASMSTART
	v_pk_add_f16 v0, v0, v4;

	;;#ASMEND
	;;#ASMSTART
	v_pk_add_f16 v0, v0, v5;

	;;#ASMEND
	;; [unrolled: 4-line block ×3, first 2 shown]
	v_and_b32_e32 v4, 0xffff, v0
	v_lshrrev_b32_e32 v0, 16, v0
	;;#ASMSTART
	v_cvt_f32_f16 v86, v4;
	;;#ASMEND
	;;#ASMSTART
	v_cvt_f32_f16 v87, v0;
	;;#ASMEND
	flat_load_dwordx2 v[11:12], v[9:10] offset:768
	flat_load_dword v4, v[26:27]
	v_mov_b32_e32 v5, 0
	v_mov_b32_e32 v6, 0
	s_waitcnt vmcnt(1) lgkmcnt(1)
	v_cmp_ne_u16_sdwa s4, v11, v1 src0_sel:BYTE_0 src1_sel:DWORD
	s_and_saveexec_b32 s12, s4
	s_cbranch_execz .LBB325_1261
; %bb.1254:                             ;   in Loop: Header=BB325_1055 Depth=1
	v_cmp_ne_u16_sdwa s4, v11, v16 src0_sel:BYTE_0 src1_sel:DWORD
	v_mov_b32_e32 v6, 0x8000
	s_and_saveexec_b32 s13, s4
	s_cbranch_execz .LBB325_1260
; %bb.1255:                             ;   in Loop: Header=BB325_1055 Depth=1
	v_and_b32_e32 v22, 0x7f, v11
	v_mov_b32_e32 v6, 0x7c01
	s_mov_b32 s15, exec_lo
	v_cmpx_ne_u32_e32 0x7f, v22
	s_cbranch_execz .LBB325_1259
; %bb.1256:                             ;   in Loop: Header=BB325_1055 Depth=1
	v_and_b32_e32 v0, 7, v11
	v_lshrrev_b32_e32 v6, 3, v22
	s_mov_b32 s18, exec_lo
	v_cmpx_gt_u32_e32 8, v22
; %bb.1257:                             ;   in Loop: Header=BB325_1055 Depth=1
	v_ffbh_u32_e32 v0, v0
	v_min_u32_e32 v0, 32, v0
	v_subrev_nc_u32_e32 v6, 28, v0
	v_lshlrev_b64 v[22:23], v6, v[11:12]
	v_sub_nc_u32_e32 v6, 29, v0
	v_and_b32_e32 v0, 7, v22
; %bb.1258:                             ;   in Loop: Header=BB325_1055 Depth=1
	s_or_b32 exec_lo, exec_lo, s18
	v_lshlrev_b32_e32 v22, 8, v11
	v_lshl_add_u32 v6, v6, 10, 0x2000
	v_lshlrev_b32_e32 v0, 7, v0
	v_and_b32_e32 v22, 0x8000, v22
	v_and_b32_e32 v6, 0xfc00, v6
	v_or3_b32 v6, v22, v6, v0
.LBB325_1259:                           ;   in Loop: Header=BB325_1055 Depth=1
	s_or_b32 exec_lo, exec_lo, s15
.LBB325_1260:                           ;   in Loop: Header=BB325_1055 Depth=1
	s_or_b32 exec_lo, exec_lo, s13
.LBB325_1261:                           ;   in Loop: Header=BB325_1055 Depth=1
	s_or_b32 exec_lo, exec_lo, s12
	v_lshrrev_b16 v0, 8, v11
	s_mov_b32 s12, exec_lo
	v_cmpx_ne_u16_e32 0, v0
	s_cbranch_execz .LBB325_1269
; %bb.1262:                             ;   in Loop: Header=BB325_1055 Depth=1
	v_bfrev_b32_e32 v5, 1
	s_mov_b32 s13, exec_lo
	v_cmpx_ne_u16_e32 0x80, v0
	s_cbranch_execz .LBB325_1268
; %bb.1263:                             ;   in Loop: Header=BB325_1055 Depth=1
	v_and_b32_sdwa v23, v0, v17 dst_sel:DWORD dst_unused:UNUSED_PAD src0_sel:WORD_0 src1_sel:DWORD
	v_mov_b32_e32 v5, 0x7c010000
	s_mov_b32 s15, exec_lo
	v_cmpx_ne_u32_e32 0x7f, v23
	s_cbranch_execz .LBB325_1267
; %bb.1264:                             ;   in Loop: Header=BB325_1055 Depth=1
	v_and_b32_sdwa v5, v0, v37 dst_sel:DWORD dst_unused:UNUSED_PAD src0_sel:WORD_0 src1_sel:DWORD
	v_lshrrev_b32_e32 v22, 3, v23
	s_mov_b32 s18, exec_lo
	v_cmpx_gt_u32_e32 8, v23
; %bb.1265:                             ;   in Loop: Header=BB325_1055 Depth=1
	v_ffbh_u32_e32 v5, v5
	v_min_u32_e32 v5, 32, v5
	v_subrev_nc_u32_e32 v22, 28, v5
	v_lshlrev_b64 v[32:33], v22, v[0:1]
	v_sub_nc_u32_e32 v22, 29, v5
	v_and_b32_e32 v5, 7, v32
; %bb.1266:                             ;   in Loop: Header=BB325_1055 Depth=1
	s_or_b32 exec_lo, exec_lo, s18
	v_lshlrev_b32_sdwa v0, v54, v0 dst_sel:DWORD dst_unused:UNUSED_PAD src0_sel:DWORD src1_sel:WORD_0
	v_lshl_add_u32 v22, v22, 10, 0x2000
	v_lshlrev_b32_e32 v5, 23, v5
	v_and_or_b32 v0, 0x8000, v0, v22
	v_lshl_or_b32 v5, v0, 16, v5
.LBB325_1267:                           ;   in Loop: Header=BB325_1055 Depth=1
	s_or_b32 exec_lo, exec_lo, s15
.LBB325_1268:                           ;   in Loop: Header=BB325_1055 Depth=1
	s_or_b32 exec_lo, exec_lo, s13
.LBB325_1269:                           ;   in Loop: Header=BB325_1055 Depth=1
	s_or_b32 exec_lo, exec_lo, s12
	v_lshrrev_b32_e32 v0, 16, v11
	v_mov_b32_e32 v22, 0
	v_mov_b32_e32 v23, 0
	v_cmp_ne_u16_sdwa s4, v0, v1 src0_sel:BYTE_0 src1_sel:DWORD
	s_and_saveexec_b32 s12, s4
	s_cbranch_execz .LBB325_1277
; %bb.1270:                             ;   in Loop: Header=BB325_1055 Depth=1
	v_cmp_ne_u16_sdwa s4, v0, v16 src0_sel:BYTE_0 src1_sel:DWORD
	v_mov_b32_e32 v23, 0x8000
	s_and_saveexec_b32 s13, s4
	s_cbranch_execz .LBB325_1276
; %bb.1271:                             ;   in Loop: Header=BB325_1055 Depth=1
	v_bfe_u32 v33, v11, 16, 7
	v_mov_b32_e32 v23, 0x7c01
	s_mov_b32 s15, exec_lo
	v_cmpx_ne_u32_e32 0x7f, v33
	s_cbranch_execz .LBB325_1275
; %bb.1272:                             ;   in Loop: Header=BB325_1055 Depth=1
	v_and_b32_e32 v23, 7, v0
	v_lshrrev_b32_e32 v32, 3, v33
	s_mov_b32 s18, exec_lo
	v_cmpx_gt_u32_e32 8, v33
; %bb.1273:                             ;   in Loop: Header=BB325_1055 Depth=1
	v_ffbh_u32_e32 v23, v23
	v_min_u32_e32 v23, 32, v23
	v_subrev_nc_u32_e32 v32, 28, v23
	v_lshlrev_b64 v[96:97], v32, v[0:1]
	v_sub_nc_u32_e32 v32, 29, v23
	v_and_b32_e32 v23, 7, v96
; %bb.1274:                             ;   in Loop: Header=BB325_1055 Depth=1
	s_or_b32 exec_lo, exec_lo, s18
	v_lshlrev_b32_e32 v0, 8, v0
	v_lshl_add_u32 v32, v32, 10, 0x2000
	v_lshlrev_b32_e32 v23, 7, v23
	v_and_b32_e32 v0, 0x8000, v0
	v_and_b32_e32 v32, 0xfc00, v32
	v_or3_b32 v23, v0, v32, v23
.LBB325_1275:                           ;   in Loop: Header=BB325_1055 Depth=1
	s_or_b32 exec_lo, exec_lo, s15
.LBB325_1276:                           ;   in Loop: Header=BB325_1055 Depth=1
	s_or_b32 exec_lo, exec_lo, s13
.LBB325_1277:                           ;   in Loop: Header=BB325_1055 Depth=1
	s_or_b32 exec_lo, exec_lo, s12
	s_mov_b32 s12, exec_lo
	v_cmpx_lt_u32_e32 0xffffff, v11
	s_cbranch_execz .LBB325_1285
; %bb.1278:                             ;   in Loop: Header=BB325_1055 Depth=1
	v_lshrrev_b32_e32 v0, 24, v11
	v_bfrev_b32_e32 v22, 1
	s_mov_b32 s13, exec_lo
	v_cmpx_ne_u32_e32 0x80, v0
	s_cbranch_execz .LBB325_1284
; %bb.1279:                             ;   in Loop: Header=BB325_1055 Depth=1
	v_and_b32_e32 v33, 0x7f, v0
	v_mov_b32_e32 v22, 0x7c010000
	s_mov_b32 s15, exec_lo
	v_cmpx_ne_u32_e32 0x7f, v33
	s_cbranch_execz .LBB325_1283
; %bb.1280:                             ;   in Loop: Header=BB325_1055 Depth=1
	v_and_b32_e32 v22, 7, v0
	v_lshrrev_b32_e32 v32, 3, v33
	s_mov_b32 s18, exec_lo
	v_cmpx_gt_u32_e32 8, v33
; %bb.1281:                             ;   in Loop: Header=BB325_1055 Depth=1
	v_ffbh_u32_e32 v22, v22
	v_min_u32_e32 v22, 32, v22
	v_subrev_nc_u32_e32 v32, 28, v22
	v_lshlrev_b64 v[96:97], v32, v[0:1]
	v_sub_nc_u32_e32 v32, 29, v22
	v_and_b32_e32 v22, 7, v96
; %bb.1282:                             ;   in Loop: Header=BB325_1055 Depth=1
	s_or_b32 exec_lo, exec_lo, s18
	v_lshlrev_b32_e32 v0, 8, v0
	v_lshl_add_u32 v32, v32, 10, 0x2000
	v_lshlrev_b32_e32 v22, 23, v22
	v_and_or_b32 v0, 0x8000, v0, v32
	v_lshl_or_b32 v22, v0, 16, v22
.LBB325_1283:                           ;   in Loop: Header=BB325_1055 Depth=1
	s_or_b32 exec_lo, exec_lo, s15
.LBB325_1284:                           ;   in Loop: Header=BB325_1055 Depth=1
	s_or_b32 exec_lo, exec_lo, s13
.LBB325_1285:                           ;   in Loop: Header=BB325_1055 Depth=1
	s_or_b32 exec_lo, exec_lo, s12
	v_mov_b32_e32 v0, v12
	v_cmp_ne_u16_sdwa s4, v12, v1 src0_sel:BYTE_0 src1_sel:DWORD
	v_mov_b32_e32 v32, 0
	v_mov_b32_e32 v33, 0
	s_and_saveexec_b32 s12, s4
	s_cbranch_execz .LBB325_1293
; %bb.1286:                             ;   in Loop: Header=BB325_1055 Depth=1
	v_cmp_ne_u16_sdwa s4, v12, v16 src0_sel:BYTE_0 src1_sel:DWORD
	v_mov_b32_e32 v33, 0x8000
	s_and_saveexec_b32 s13, s4
	s_cbranch_execz .LBB325_1292
; %bb.1287:                             ;   in Loop: Header=BB325_1055 Depth=1
	v_and_b32_e32 v96, 0x7f, v12
	v_mov_b32_e32 v33, 0x7c01
	s_mov_b32 s15, exec_lo
	v_cmpx_ne_u32_e32 0x7f, v96
	s_cbranch_execz .LBB325_1291
; %bb.1288:                             ;   in Loop: Header=BB325_1055 Depth=1
	v_and_b32_e32 v33, 7, v12
	v_lshrrev_b32_e32 v35, 3, v96
	s_mov_b32 s18, exec_lo
	v_cmpx_gt_u32_e32 8, v96
; %bb.1289:                             ;   in Loop: Header=BB325_1055 Depth=1
	v_ffbh_u32_e32 v33, v33
	v_min_u32_e32 v33, 32, v33
	v_subrev_nc_u32_e32 v35, 28, v33
	v_lshlrev_b64 v[96:97], v35, v[0:1]
	v_sub_nc_u32_e32 v35, 29, v33
	v_and_b32_e32 v33, 7, v96
; %bb.1290:                             ;   in Loop: Header=BB325_1055 Depth=1
	s_or_b32 exec_lo, exec_lo, s18
	v_lshlrev_b32_e32 v96, 8, v12
	v_lshl_add_u32 v35, v35, 10, 0x2000
	v_lshlrev_b32_e32 v33, 7, v33
	v_and_b32_e32 v96, 0x8000, v96
	v_and_b32_e32 v35, 0xfc00, v35
	v_or3_b32 v33, v96, v35, v33
.LBB325_1291:                           ;   in Loop: Header=BB325_1055 Depth=1
	s_or_b32 exec_lo, exec_lo, s15
.LBB325_1292:                           ;   in Loop: Header=BB325_1055 Depth=1
	s_or_b32 exec_lo, exec_lo, s13
.LBB325_1293:                           ;   in Loop: Header=BB325_1055 Depth=1
	s_or_b32 exec_lo, exec_lo, s12
	v_lshrrev_b16 v0, 8, v0
	v_mov_b32_e32 v35, 0
	s_mov_b32 s12, exec_lo
	v_cmpx_ne_u16_e32 0, v0
	s_cbranch_execz .LBB325_1301
; %bb.1294:                             ;   in Loop: Header=BB325_1055 Depth=1
	v_bfrev_b32_e32 v35, 1
	s_mov_b32 s13, exec_lo
	v_cmpx_ne_u16_e32 0x80, v0
	s_cbranch_execz .LBB325_1300
; %bb.1295:                             ;   in Loop: Header=BB325_1055 Depth=1
	v_and_b32_sdwa v97, v0, v17 dst_sel:DWORD dst_unused:UNUSED_PAD src0_sel:WORD_0 src1_sel:DWORD
	v_mov_b32_e32 v35, 0x7c010000
	s_mov_b32 s15, exec_lo
	v_cmpx_ne_u32_e32 0x7f, v97
	s_cbranch_execz .LBB325_1299
; %bb.1296:                             ;   in Loop: Header=BB325_1055 Depth=1
	v_and_b32_sdwa v35, v0, v37 dst_sel:DWORD dst_unused:UNUSED_PAD src0_sel:WORD_0 src1_sel:DWORD
	v_lshrrev_b32_e32 v96, 3, v97
	s_mov_b32 s18, exec_lo
	v_cmpx_gt_u32_e32 8, v97
; %bb.1297:                             ;   in Loop: Header=BB325_1055 Depth=1
	v_ffbh_u32_e32 v35, v35
	v_min_u32_e32 v35, 32, v35
	v_subrev_nc_u32_e32 v96, 28, v35
	v_lshlrev_b64 v[97:98], v96, v[0:1]
	v_sub_nc_u32_e32 v96, 29, v35
	v_and_b32_e32 v35, 7, v97
; %bb.1298:                             ;   in Loop: Header=BB325_1055 Depth=1
	s_or_b32 exec_lo, exec_lo, s18
	v_lshlrev_b32_sdwa v0, v54, v0 dst_sel:DWORD dst_unused:UNUSED_PAD src0_sel:DWORD src1_sel:WORD_0
	v_lshl_add_u32 v96, v96, 10, 0x2000
	v_lshlrev_b32_e32 v35, 23, v35
	v_and_or_b32 v0, 0x8000, v0, v96
	v_lshl_or_b32 v35, v0, 16, v35
.LBB325_1299:                           ;   in Loop: Header=BB325_1055 Depth=1
	s_or_b32 exec_lo, exec_lo, s15
.LBB325_1300:                           ;   in Loop: Header=BB325_1055 Depth=1
	s_or_b32 exec_lo, exec_lo, s13
.LBB325_1301:                           ;   in Loop: Header=BB325_1055 Depth=1
	s_or_b32 exec_lo, exec_lo, s12
	v_lshrrev_b32_e32 v0, 16, v12
	v_cmp_ne_u16_sdwa s4, v0, v1 src0_sel:BYTE_0 src1_sel:DWORD
	s_and_saveexec_b32 s12, s4
	s_cbranch_execz .LBB325_1309
; %bb.1302:                             ;   in Loop: Header=BB325_1055 Depth=1
	v_cmp_ne_u16_sdwa s4, v0, v16 src0_sel:BYTE_0 src1_sel:DWORD
	v_mov_b32_e32 v32, 0x8000
	s_and_saveexec_b32 s13, s4
	s_cbranch_execz .LBB325_1308
; %bb.1303:                             ;   in Loop: Header=BB325_1055 Depth=1
	v_bfe_u32 v97, v12, 16, 7
	v_mov_b32_e32 v32, 0x7c01
	s_mov_b32 s15, exec_lo
	v_cmpx_ne_u32_e32 0x7f, v97
	s_cbranch_execz .LBB325_1307
; %bb.1304:                             ;   in Loop: Header=BB325_1055 Depth=1
	v_and_b32_e32 v32, 7, v0
	v_lshrrev_b32_e32 v96, 3, v97
	s_mov_b32 s18, exec_lo
	v_cmpx_gt_u32_e32 8, v97
; %bb.1305:                             ;   in Loop: Header=BB325_1055 Depth=1
	v_ffbh_u32_e32 v32, v32
	v_min_u32_e32 v32, 32, v32
	v_subrev_nc_u32_e32 v96, 28, v32
	v_lshlrev_b64 v[97:98], v96, v[0:1]
	v_sub_nc_u32_e32 v96, 29, v32
	v_and_b32_e32 v32, 7, v97
; %bb.1306:                             ;   in Loop: Header=BB325_1055 Depth=1
	s_or_b32 exec_lo, exec_lo, s18
	v_lshlrev_b32_e32 v0, 8, v0
	v_lshl_add_u32 v96, v96, 10, 0x2000
	v_lshlrev_b32_e32 v32, 7, v32
	v_and_b32_e32 v0, 0x8000, v0
	v_and_b32_e32 v96, 0xfc00, v96
	v_or3_b32 v32, v0, v96, v32
.LBB325_1307:                           ;   in Loop: Header=BB325_1055 Depth=1
	s_or_b32 exec_lo, exec_lo, s15
.LBB325_1308:                           ;   in Loop: Header=BB325_1055 Depth=1
	s_or_b32 exec_lo, exec_lo, s13
.LBB325_1309:                           ;   in Loop: Header=BB325_1055 Depth=1
	s_or_b32 exec_lo, exec_lo, s12
	v_cmp_lt_u64_e64 s4, s[8:9], v[11:12]
	v_mov_b32_e32 v11, 0
	s_and_saveexec_b32 s12, s4
	s_cbranch_execz .LBB325_1317
; %bb.1310:                             ;   in Loop: Header=BB325_1055 Depth=1
	v_lshrrev_b32_e32 v0, 24, v12
	v_bfrev_b32_e32 v11, 1
	s_mov_b32 s13, exec_lo
	v_cmpx_ne_u32_e32 0x80, v0
	s_cbranch_execz .LBB325_1316
; %bb.1311:                             ;   in Loop: Header=BB325_1055 Depth=1
	v_and_b32_e32 v96, 0x7f, v0
	v_mov_b32_e32 v11, 0x7c010000
	s_mov_b32 s15, exec_lo
	v_cmpx_ne_u32_e32 0x7f, v96
	s_cbranch_execz .LBB325_1315
; %bb.1312:                             ;   in Loop: Header=BB325_1055 Depth=1
	v_and_b32_e32 v11, 7, v0
	v_lshrrev_b32_e32 v12, 3, v96
	s_mov_b32 s18, exec_lo
	v_cmpx_gt_u32_e32 8, v96
; %bb.1313:                             ;   in Loop: Header=BB325_1055 Depth=1
	v_ffbh_u32_e32 v11, v11
	v_min_u32_e32 v96, 32, v11
	v_subrev_nc_u32_e32 v11, 28, v96
	v_lshlrev_b64 v[11:12], v11, v[0:1]
	v_sub_nc_u32_e32 v12, 29, v96
	v_and_b32_e32 v11, 7, v11
; %bb.1314:                             ;   in Loop: Header=BB325_1055 Depth=1
	s_or_b32 exec_lo, exec_lo, s18
	v_lshlrev_b32_e32 v0, 8, v0
	v_lshl_add_u32 v12, v12, 10, 0x2000
	v_lshlrev_b32_e32 v11, 23, v11
	v_and_or_b32 v0, 0x8000, v0, v12
	v_lshl_or_b32 v11, v0, 16, v11
.LBB325_1315:                           ;   in Loop: Header=BB325_1055 Depth=1
	s_or_b32 exec_lo, exec_lo, s15
.LBB325_1316:                           ;   in Loop: Header=BB325_1055 Depth=1
	s_or_b32 exec_lo, exec_lo, s13
.LBB325_1317:                           ;   in Loop: Header=BB325_1055 Depth=1
	s_or_b32 exec_lo, exec_lo, s12
	v_or_b32_e32 v0, v22, v23
	s_waitcnt vmcnt(0) lgkmcnt(0)
	v_fma_mixlo_f16 v12, v4, v22, 0 op_sel:[0,1,0] op_sel_hi:[0,1,0]
	v_or_b32_e32 v6, v5, v6
	v_fma_mixlo_f16 v5, v4, v5, 0 op_sel:[0,1,0] op_sel_hi:[0,1,0]
	v_or_b32_e32 v22, v35, v33
	v_fma_mixlo_f16 v23, v4, v0, 0 op_sel_hi:[0,1,0]
	v_or_b32_e32 v32, v11, v32
	v_lshlrev_b32_e32 v0, 16, v12
	v_lshlrev_b32_e32 v12, 16, v5
	v_fma_mixlo_f16 v6, v4, v6, 0 op_sel_hi:[0,1,0]
	v_and_b32_e32 v5, 0xffff, v23
	v_fma_mixlo_f16 v23, v4, v35, 0 op_sel:[0,1,0] op_sel_hi:[0,1,0]
	v_fma_mixlo_f16 v22, v4, v22, 0 op_sel_hi:[0,1,0]
	v_fma_mixlo_f16 v11, v4, v11, 0 op_sel:[0,1,0] op_sel_hi:[0,1,0]
	v_fma_mixlo_f16 v32, v4, v32, 0 op_sel_hi:[0,1,0]
	v_and_b32_e32 v96, 0xffff, v6
	v_lshlrev_b32_e32 v6, 16, v23
	v_and_b32_e32 v23, 0xffff, v22
	v_lshlrev_b32_e32 v4, 16, v11
	v_and_b32_e32 v11, 0xffff, v32
	v_or_b32_e32 v22, v0, v5
	v_or_b32_e32 v35, v12, v96
	;; [unrolled: 1-line block ×4, first 2 shown]
	s_and_saveexec_b32 s12, vcc_lo
	s_cbranch_execz .LBB325_1319
; %bb.1318:                             ;   in Loop: Header=BB325_1055 Depth=1
	v_cmp_lt_i32_e64 s4, v55, v34
	v_cndmask_b32_e64 v22, 0, v96, s4
	v_cmp_lt_i32_e64 s4, v83, v34
	v_cndmask_b32_e64 v12, 0, v12, s4
	v_cmp_lt_i32_e64 s4, v82, v34
	v_or_b32_e32 v35, v22, v12
	v_cndmask_b32_e64 v5, 0, v5, s4
	v_cmp_lt_i32_e64 s4, v81, v34
	v_cndmask_b32_e64 v0, 0, v0, s4
	v_cmp_lt_i32_e64 s4, v80, v34
	v_or_b32_e32 v22, v5, v0
	;; [unrolled: 5-line block ×3, first 2 shown]
	v_cndmask_b32_e64 v11, 0, v11, s4
	v_cmp_lt_i32_e64 s4, v14, v34
	v_cndmask_b32_e64 v4, 0, v4, s4
	v_or_b32_e32 v32, v11, v4
.LBB325_1319:                           ;   in Loop: Header=BB325_1055 Depth=1
	s_or_b32 exec_lo, exec_lo, s12
	;;#ASMSTART
	v_pk_mul_f16 v0, v68, v35;

	;;#ASMEND
	;;#ASMSTART
	v_pk_mul_f16 v4, v66, v22;

	;;#ASMEND
	;; [unrolled: 4-line block ×4, first 2 shown]
	;;#ASMSTART
	v_pk_add_f16 v0, v0, v4;

	;;#ASMEND
	;;#ASMSTART
	v_pk_add_f16 v0, v0, v5;

	;;#ASMEND
	;; [unrolled: 4-line block ×3, first 2 shown]
	v_and_b32_e32 v4, 0xffff, v0
	v_lshrrev_b32_e32 v0, 16, v0
	;;#ASMSTART
	v_cvt_f32_f16 v96, v4;
	;;#ASMEND
	;;#ASMSTART
	v_cvt_f32_f16 v97, v0;
	;;#ASMEND
	flat_load_dwordx2 v[11:12], v[9:10] offset:1024
	flat_load_dword v4, v[26:27]
	v_mov_b32_e32 v5, 0
	v_mov_b32_e32 v6, 0
	s_waitcnt vmcnt(1) lgkmcnt(1)
	v_cmp_ne_u16_sdwa s4, v11, v1 src0_sel:BYTE_0 src1_sel:DWORD
	s_and_saveexec_b32 s12, s4
	s_cbranch_execz .LBB325_1327
; %bb.1320:                             ;   in Loop: Header=BB325_1055 Depth=1
	v_cmp_ne_u16_sdwa s4, v11, v16 src0_sel:BYTE_0 src1_sel:DWORD
	v_mov_b32_e32 v6, 0x8000
	s_and_saveexec_b32 s13, s4
	s_cbranch_execz .LBB325_1326
; %bb.1321:                             ;   in Loop: Header=BB325_1055 Depth=1
	v_and_b32_e32 v22, 0x7f, v11
	v_mov_b32_e32 v6, 0x7c01
	s_mov_b32 s15, exec_lo
	v_cmpx_ne_u32_e32 0x7f, v22
	s_cbranch_execz .LBB325_1325
; %bb.1322:                             ;   in Loop: Header=BB325_1055 Depth=1
	v_and_b32_e32 v0, 7, v11
	v_lshrrev_b32_e32 v6, 3, v22
	s_mov_b32 s18, exec_lo
	v_cmpx_gt_u32_e32 8, v22
; %bb.1323:                             ;   in Loop: Header=BB325_1055 Depth=1
	v_ffbh_u32_e32 v0, v0
	v_min_u32_e32 v0, 32, v0
	v_subrev_nc_u32_e32 v6, 28, v0
	v_lshlrev_b64 v[22:23], v6, v[11:12]
	v_sub_nc_u32_e32 v6, 29, v0
	v_and_b32_e32 v0, 7, v22
; %bb.1324:                             ;   in Loop: Header=BB325_1055 Depth=1
	s_or_b32 exec_lo, exec_lo, s18
	v_lshlrev_b32_e32 v22, 8, v11
	v_lshl_add_u32 v6, v6, 10, 0x2000
	v_lshlrev_b32_e32 v0, 7, v0
	v_and_b32_e32 v22, 0x8000, v22
	v_and_b32_e32 v6, 0xfc00, v6
	v_or3_b32 v6, v22, v6, v0
.LBB325_1325:                           ;   in Loop: Header=BB325_1055 Depth=1
	s_or_b32 exec_lo, exec_lo, s15
.LBB325_1326:                           ;   in Loop: Header=BB325_1055 Depth=1
	s_or_b32 exec_lo, exec_lo, s13
.LBB325_1327:                           ;   in Loop: Header=BB325_1055 Depth=1
	s_or_b32 exec_lo, exec_lo, s12
	v_lshrrev_b16 v0, 8, v11
	s_mov_b32 s12, exec_lo
	v_cmpx_ne_u16_e32 0, v0
	s_cbranch_execz .LBB325_1335
; %bb.1328:                             ;   in Loop: Header=BB325_1055 Depth=1
	v_bfrev_b32_e32 v5, 1
	s_mov_b32 s13, exec_lo
	v_cmpx_ne_u16_e32 0x80, v0
	s_cbranch_execz .LBB325_1334
; %bb.1329:                             ;   in Loop: Header=BB325_1055 Depth=1
	v_and_b32_sdwa v23, v0, v17 dst_sel:DWORD dst_unused:UNUSED_PAD src0_sel:WORD_0 src1_sel:DWORD
	v_mov_b32_e32 v5, 0x7c010000
	s_mov_b32 s15, exec_lo
	v_cmpx_ne_u32_e32 0x7f, v23
	s_cbranch_execz .LBB325_1333
; %bb.1330:                             ;   in Loop: Header=BB325_1055 Depth=1
	v_and_b32_sdwa v5, v0, v37 dst_sel:DWORD dst_unused:UNUSED_PAD src0_sel:WORD_0 src1_sel:DWORD
	v_lshrrev_b32_e32 v22, 3, v23
	s_mov_b32 s18, exec_lo
	v_cmpx_gt_u32_e32 8, v23
; %bb.1331:                             ;   in Loop: Header=BB325_1055 Depth=1
	v_ffbh_u32_e32 v5, v5
	v_min_u32_e32 v5, 32, v5
	v_subrev_nc_u32_e32 v22, 28, v5
	v_lshlrev_b64 v[32:33], v22, v[0:1]
	v_sub_nc_u32_e32 v22, 29, v5
	v_and_b32_e32 v5, 7, v32
; %bb.1332:                             ;   in Loop: Header=BB325_1055 Depth=1
	s_or_b32 exec_lo, exec_lo, s18
	v_lshlrev_b32_sdwa v0, v54, v0 dst_sel:DWORD dst_unused:UNUSED_PAD src0_sel:DWORD src1_sel:WORD_0
	v_lshl_add_u32 v22, v22, 10, 0x2000
	v_lshlrev_b32_e32 v5, 23, v5
	v_and_or_b32 v0, 0x8000, v0, v22
	v_lshl_or_b32 v5, v0, 16, v5
.LBB325_1333:                           ;   in Loop: Header=BB325_1055 Depth=1
	s_or_b32 exec_lo, exec_lo, s15
.LBB325_1334:                           ;   in Loop: Header=BB325_1055 Depth=1
	s_or_b32 exec_lo, exec_lo, s13
.LBB325_1335:                           ;   in Loop: Header=BB325_1055 Depth=1
	s_or_b32 exec_lo, exec_lo, s12
	v_lshrrev_b32_e32 v0, 16, v11
	v_mov_b32_e32 v22, 0
	v_mov_b32_e32 v23, 0
	v_cmp_ne_u16_sdwa s4, v0, v1 src0_sel:BYTE_0 src1_sel:DWORD
	s_and_saveexec_b32 s12, s4
	s_cbranch_execz .LBB325_1343
; %bb.1336:                             ;   in Loop: Header=BB325_1055 Depth=1
	v_cmp_ne_u16_sdwa s4, v0, v16 src0_sel:BYTE_0 src1_sel:DWORD
	v_mov_b32_e32 v23, 0x8000
	s_and_saveexec_b32 s13, s4
	s_cbranch_execz .LBB325_1342
; %bb.1337:                             ;   in Loop: Header=BB325_1055 Depth=1
	v_bfe_u32 v33, v11, 16, 7
	v_mov_b32_e32 v23, 0x7c01
	s_mov_b32 s15, exec_lo
	v_cmpx_ne_u32_e32 0x7f, v33
	s_cbranch_execz .LBB325_1341
; %bb.1338:                             ;   in Loop: Header=BB325_1055 Depth=1
	v_and_b32_e32 v23, 7, v0
	v_lshrrev_b32_e32 v32, 3, v33
	s_mov_b32 s18, exec_lo
	v_cmpx_gt_u32_e32 8, v33
; %bb.1339:                             ;   in Loop: Header=BB325_1055 Depth=1
	v_ffbh_u32_e32 v23, v23
	v_min_u32_e32 v23, 32, v23
	v_subrev_nc_u32_e32 v32, 28, v23
	v_lshlrev_b64 v[98:99], v32, v[0:1]
	v_sub_nc_u32_e32 v32, 29, v23
	v_and_b32_e32 v23, 7, v98
; %bb.1340:                             ;   in Loop: Header=BB325_1055 Depth=1
	s_or_b32 exec_lo, exec_lo, s18
	v_lshlrev_b32_e32 v0, 8, v0
	v_lshl_add_u32 v32, v32, 10, 0x2000
	v_lshlrev_b32_e32 v23, 7, v23
	v_and_b32_e32 v0, 0x8000, v0
	v_and_b32_e32 v32, 0xfc00, v32
	v_or3_b32 v23, v0, v32, v23
.LBB325_1341:                           ;   in Loop: Header=BB325_1055 Depth=1
	s_or_b32 exec_lo, exec_lo, s15
.LBB325_1342:                           ;   in Loop: Header=BB325_1055 Depth=1
	s_or_b32 exec_lo, exec_lo, s13
.LBB325_1343:                           ;   in Loop: Header=BB325_1055 Depth=1
	s_or_b32 exec_lo, exec_lo, s12
	s_mov_b32 s12, exec_lo
	v_cmpx_lt_u32_e32 0xffffff, v11
	s_cbranch_execz .LBB325_1351
; %bb.1344:                             ;   in Loop: Header=BB325_1055 Depth=1
	v_lshrrev_b32_e32 v0, 24, v11
	v_bfrev_b32_e32 v22, 1
	s_mov_b32 s13, exec_lo
	v_cmpx_ne_u32_e32 0x80, v0
	s_cbranch_execz .LBB325_1350
; %bb.1345:                             ;   in Loop: Header=BB325_1055 Depth=1
	v_and_b32_e32 v33, 0x7f, v0
	v_mov_b32_e32 v22, 0x7c010000
	s_mov_b32 s15, exec_lo
	v_cmpx_ne_u32_e32 0x7f, v33
	s_cbranch_execz .LBB325_1349
; %bb.1346:                             ;   in Loop: Header=BB325_1055 Depth=1
	v_and_b32_e32 v22, 7, v0
	v_lshrrev_b32_e32 v32, 3, v33
	s_mov_b32 s18, exec_lo
	v_cmpx_gt_u32_e32 8, v33
; %bb.1347:                             ;   in Loop: Header=BB325_1055 Depth=1
	v_ffbh_u32_e32 v22, v22
	v_min_u32_e32 v22, 32, v22
	v_subrev_nc_u32_e32 v32, 28, v22
	v_lshlrev_b64 v[98:99], v32, v[0:1]
	v_sub_nc_u32_e32 v32, 29, v22
	v_and_b32_e32 v22, 7, v98
; %bb.1348:                             ;   in Loop: Header=BB325_1055 Depth=1
	s_or_b32 exec_lo, exec_lo, s18
	v_lshlrev_b32_e32 v0, 8, v0
	v_lshl_add_u32 v32, v32, 10, 0x2000
	v_lshlrev_b32_e32 v22, 23, v22
	v_and_or_b32 v0, 0x8000, v0, v32
	v_lshl_or_b32 v22, v0, 16, v22
.LBB325_1349:                           ;   in Loop: Header=BB325_1055 Depth=1
	s_or_b32 exec_lo, exec_lo, s15
.LBB325_1350:                           ;   in Loop: Header=BB325_1055 Depth=1
	s_or_b32 exec_lo, exec_lo, s13
.LBB325_1351:                           ;   in Loop: Header=BB325_1055 Depth=1
	s_or_b32 exec_lo, exec_lo, s12
	v_mov_b32_e32 v0, v12
	v_cmp_ne_u16_sdwa s4, v12, v1 src0_sel:BYTE_0 src1_sel:DWORD
	v_mov_b32_e32 v32, 0
	v_mov_b32_e32 v33, 0
	s_and_saveexec_b32 s12, s4
	s_cbranch_execz .LBB325_1359
; %bb.1352:                             ;   in Loop: Header=BB325_1055 Depth=1
	v_cmp_ne_u16_sdwa s4, v12, v16 src0_sel:BYTE_0 src1_sel:DWORD
	v_mov_b32_e32 v33, 0x8000
	s_and_saveexec_b32 s13, s4
	s_cbranch_execz .LBB325_1358
; %bb.1353:                             ;   in Loop: Header=BB325_1055 Depth=1
	v_and_b32_e32 v98, 0x7f, v12
	v_mov_b32_e32 v33, 0x7c01
	s_mov_b32 s15, exec_lo
	v_cmpx_ne_u32_e32 0x7f, v98
	s_cbranch_execz .LBB325_1357
; %bb.1354:                             ;   in Loop: Header=BB325_1055 Depth=1
	v_and_b32_e32 v33, 7, v12
	v_lshrrev_b32_e32 v35, 3, v98
	s_mov_b32 s18, exec_lo
	v_cmpx_gt_u32_e32 8, v98
; %bb.1355:                             ;   in Loop: Header=BB325_1055 Depth=1
	v_ffbh_u32_e32 v33, v33
	v_min_u32_e32 v33, 32, v33
	v_subrev_nc_u32_e32 v35, 28, v33
	v_lshlrev_b64 v[98:99], v35, v[0:1]
	v_sub_nc_u32_e32 v35, 29, v33
	v_and_b32_e32 v33, 7, v98
; %bb.1356:                             ;   in Loop: Header=BB325_1055 Depth=1
	s_or_b32 exec_lo, exec_lo, s18
	v_lshlrev_b32_e32 v98, 8, v12
	v_lshl_add_u32 v35, v35, 10, 0x2000
	v_lshlrev_b32_e32 v33, 7, v33
	v_and_b32_e32 v98, 0x8000, v98
	v_and_b32_e32 v35, 0xfc00, v35
	v_or3_b32 v33, v98, v35, v33
.LBB325_1357:                           ;   in Loop: Header=BB325_1055 Depth=1
	s_or_b32 exec_lo, exec_lo, s15
.LBB325_1358:                           ;   in Loop: Header=BB325_1055 Depth=1
	s_or_b32 exec_lo, exec_lo, s13
.LBB325_1359:                           ;   in Loop: Header=BB325_1055 Depth=1
	s_or_b32 exec_lo, exec_lo, s12
	v_lshrrev_b16 v0, 8, v0
	v_mov_b32_e32 v35, 0
	s_mov_b32 s12, exec_lo
	v_cmpx_ne_u16_e32 0, v0
	s_cbranch_execz .LBB325_1367
; %bb.1360:                             ;   in Loop: Header=BB325_1055 Depth=1
	v_bfrev_b32_e32 v35, 1
	s_mov_b32 s13, exec_lo
	v_cmpx_ne_u16_e32 0x80, v0
	s_cbranch_execz .LBB325_1366
; %bb.1361:                             ;   in Loop: Header=BB325_1055 Depth=1
	v_and_b32_sdwa v99, v0, v17 dst_sel:DWORD dst_unused:UNUSED_PAD src0_sel:WORD_0 src1_sel:DWORD
	v_mov_b32_e32 v35, 0x7c010000
	s_mov_b32 s15, exec_lo
	v_cmpx_ne_u32_e32 0x7f, v99
	s_cbranch_execz .LBB325_1365
; %bb.1362:                             ;   in Loop: Header=BB325_1055 Depth=1
	v_and_b32_sdwa v35, v0, v37 dst_sel:DWORD dst_unused:UNUSED_PAD src0_sel:WORD_0 src1_sel:DWORD
	v_lshrrev_b32_e32 v98, 3, v99
	s_mov_b32 s18, exec_lo
	v_cmpx_gt_u32_e32 8, v99
; %bb.1363:                             ;   in Loop: Header=BB325_1055 Depth=1
	v_ffbh_u32_e32 v35, v35
	v_min_u32_e32 v35, 32, v35
	v_subrev_nc_u32_e32 v98, 28, v35
	v_lshlrev_b64 v[99:100], v98, v[0:1]
	v_sub_nc_u32_e32 v98, 29, v35
	v_and_b32_e32 v35, 7, v99
; %bb.1364:                             ;   in Loop: Header=BB325_1055 Depth=1
	s_or_b32 exec_lo, exec_lo, s18
	v_lshlrev_b32_sdwa v0, v54, v0 dst_sel:DWORD dst_unused:UNUSED_PAD src0_sel:DWORD src1_sel:WORD_0
	v_lshl_add_u32 v98, v98, 10, 0x2000
	v_lshlrev_b32_e32 v35, 23, v35
	v_and_or_b32 v0, 0x8000, v0, v98
	v_lshl_or_b32 v35, v0, 16, v35
.LBB325_1365:                           ;   in Loop: Header=BB325_1055 Depth=1
	s_or_b32 exec_lo, exec_lo, s15
.LBB325_1366:                           ;   in Loop: Header=BB325_1055 Depth=1
	s_or_b32 exec_lo, exec_lo, s13
.LBB325_1367:                           ;   in Loop: Header=BB325_1055 Depth=1
	s_or_b32 exec_lo, exec_lo, s12
	v_lshrrev_b32_e32 v0, 16, v12
	v_cmp_ne_u16_sdwa s4, v0, v1 src0_sel:BYTE_0 src1_sel:DWORD
	s_and_saveexec_b32 s12, s4
	s_cbranch_execz .LBB325_1375
; %bb.1368:                             ;   in Loop: Header=BB325_1055 Depth=1
	v_cmp_ne_u16_sdwa s4, v0, v16 src0_sel:BYTE_0 src1_sel:DWORD
	v_mov_b32_e32 v32, 0x8000
	s_and_saveexec_b32 s13, s4
	s_cbranch_execz .LBB325_1374
; %bb.1369:                             ;   in Loop: Header=BB325_1055 Depth=1
	v_bfe_u32 v99, v12, 16, 7
	v_mov_b32_e32 v32, 0x7c01
	s_mov_b32 s15, exec_lo
	v_cmpx_ne_u32_e32 0x7f, v99
	s_cbranch_execz .LBB325_1373
; %bb.1370:                             ;   in Loop: Header=BB325_1055 Depth=1
	v_and_b32_e32 v32, 7, v0
	v_lshrrev_b32_e32 v98, 3, v99
	s_mov_b32 s18, exec_lo
	v_cmpx_gt_u32_e32 8, v99
; %bb.1371:                             ;   in Loop: Header=BB325_1055 Depth=1
	v_ffbh_u32_e32 v32, v32
	v_min_u32_e32 v32, 32, v32
	v_subrev_nc_u32_e32 v98, 28, v32
	v_lshlrev_b64 v[99:100], v98, v[0:1]
	v_sub_nc_u32_e32 v98, 29, v32
	v_and_b32_e32 v32, 7, v99
; %bb.1372:                             ;   in Loop: Header=BB325_1055 Depth=1
	s_or_b32 exec_lo, exec_lo, s18
	v_lshlrev_b32_e32 v0, 8, v0
	v_lshl_add_u32 v98, v98, 10, 0x2000
	v_lshlrev_b32_e32 v32, 7, v32
	v_and_b32_e32 v0, 0x8000, v0
	v_and_b32_e32 v98, 0xfc00, v98
	v_or3_b32 v32, v0, v98, v32
.LBB325_1373:                           ;   in Loop: Header=BB325_1055 Depth=1
	s_or_b32 exec_lo, exec_lo, s15
.LBB325_1374:                           ;   in Loop: Header=BB325_1055 Depth=1
	s_or_b32 exec_lo, exec_lo, s13
.LBB325_1375:                           ;   in Loop: Header=BB325_1055 Depth=1
	s_or_b32 exec_lo, exec_lo, s12
	v_cmp_lt_u64_e64 s4, s[8:9], v[11:12]
	v_mov_b32_e32 v11, 0
	s_and_saveexec_b32 s12, s4
	s_cbranch_execz .LBB325_1383
; %bb.1376:                             ;   in Loop: Header=BB325_1055 Depth=1
	v_lshrrev_b32_e32 v0, 24, v12
	v_bfrev_b32_e32 v11, 1
	s_mov_b32 s13, exec_lo
	v_cmpx_ne_u32_e32 0x80, v0
	s_cbranch_execz .LBB325_1382
; %bb.1377:                             ;   in Loop: Header=BB325_1055 Depth=1
	v_and_b32_e32 v98, 0x7f, v0
	v_mov_b32_e32 v11, 0x7c010000
	s_mov_b32 s15, exec_lo
	v_cmpx_ne_u32_e32 0x7f, v98
	s_cbranch_execz .LBB325_1381
; %bb.1378:                             ;   in Loop: Header=BB325_1055 Depth=1
	v_and_b32_e32 v11, 7, v0
	v_lshrrev_b32_e32 v12, 3, v98
	s_mov_b32 s18, exec_lo
	v_cmpx_gt_u32_e32 8, v98
; %bb.1379:                             ;   in Loop: Header=BB325_1055 Depth=1
	v_ffbh_u32_e32 v11, v11
	v_min_u32_e32 v98, 32, v11
	v_subrev_nc_u32_e32 v11, 28, v98
	v_lshlrev_b64 v[11:12], v11, v[0:1]
	v_sub_nc_u32_e32 v12, 29, v98
	v_and_b32_e32 v11, 7, v11
; %bb.1380:                             ;   in Loop: Header=BB325_1055 Depth=1
	s_or_b32 exec_lo, exec_lo, s18
	v_lshlrev_b32_e32 v0, 8, v0
	v_lshl_add_u32 v12, v12, 10, 0x2000
	v_lshlrev_b32_e32 v11, 23, v11
	v_and_or_b32 v0, 0x8000, v0, v12
	v_lshl_or_b32 v11, v0, 16, v11
.LBB325_1381:                           ;   in Loop: Header=BB325_1055 Depth=1
	s_or_b32 exec_lo, exec_lo, s15
.LBB325_1382:                           ;   in Loop: Header=BB325_1055 Depth=1
	s_or_b32 exec_lo, exec_lo, s13
.LBB325_1383:                           ;   in Loop: Header=BB325_1055 Depth=1
	s_or_b32 exec_lo, exec_lo, s12
	v_or_b32_e32 v0, v22, v23
	s_waitcnt vmcnt(0) lgkmcnt(0)
	v_fma_mixlo_f16 v12, v4, v22, 0 op_sel:[0,1,0] op_sel_hi:[0,1,0]
	v_or_b32_e32 v6, v5, v6
	v_fma_mixlo_f16 v5, v4, v5, 0 op_sel:[0,1,0] op_sel_hi:[0,1,0]
	v_or_b32_e32 v22, v35, v33
	v_fma_mixlo_f16 v23, v4, v0, 0 op_sel_hi:[0,1,0]
	v_or_b32_e32 v32, v11, v32
	v_lshlrev_b32_e32 v0, 16, v12
	v_lshlrev_b32_e32 v12, 16, v5
	v_fma_mixlo_f16 v6, v4, v6, 0 op_sel_hi:[0,1,0]
	v_and_b32_e32 v5, 0xffff, v23
	v_fma_mixlo_f16 v23, v4, v35, 0 op_sel:[0,1,0] op_sel_hi:[0,1,0]
	v_fma_mixlo_f16 v22, v4, v22, 0 op_sel_hi:[0,1,0]
	v_fma_mixlo_f16 v11, v4, v11, 0 op_sel:[0,1,0] op_sel_hi:[0,1,0]
	v_fma_mixlo_f16 v32, v4, v32, 0 op_sel_hi:[0,1,0]
	v_and_b32_e32 v98, 0xffff, v6
	v_lshlrev_b32_e32 v6, 16, v23
	v_and_b32_e32 v23, 0xffff, v22
	v_lshlrev_b32_e32 v4, 16, v11
	v_and_b32_e32 v11, 0xffff, v32
	v_or_b32_e32 v22, v0, v5
	v_or_b32_e32 v35, v12, v98
	;; [unrolled: 1-line block ×4, first 2 shown]
	s_and_saveexec_b32 s12, vcc_lo
	s_cbranch_execz .LBB325_1385
; %bb.1384:                             ;   in Loop: Header=BB325_1055 Depth=1
	v_cmp_lt_i32_e64 s4, v55, v34
	v_cndmask_b32_e64 v22, 0, v98, s4
	v_cmp_lt_i32_e64 s4, v83, v34
	v_cndmask_b32_e64 v12, 0, v12, s4
	v_cmp_lt_i32_e64 s4, v82, v34
	v_or_b32_e32 v35, v22, v12
	v_cndmask_b32_e64 v5, 0, v5, s4
	v_cmp_lt_i32_e64 s4, v81, v34
	v_cndmask_b32_e64 v0, 0, v0, s4
	v_cmp_lt_i32_e64 s4, v80, v34
	v_or_b32_e32 v22, v5, v0
	;; [unrolled: 5-line block ×3, first 2 shown]
	v_cndmask_b32_e64 v11, 0, v11, s4
	v_cmp_lt_i32_e64 s4, v14, v34
	v_cndmask_b32_e64 v4, 0, v4, s4
	v_or_b32_e32 v32, v11, v4
.LBB325_1385:                           ;   in Loop: Header=BB325_1055 Depth=1
	s_or_b32 exec_lo, exec_lo, s12
	;;#ASMSTART
	v_pk_mul_f16 v0, v68, v35;

	;;#ASMEND
	;;#ASMSTART
	v_pk_mul_f16 v4, v66, v22;

	;;#ASMEND
	;; [unrolled: 4-line block ×4, first 2 shown]
	;;#ASMSTART
	v_pk_add_f16 v0, v0, v4;

	;;#ASMEND
	;;#ASMSTART
	v_pk_add_f16 v0, v0, v5;

	;;#ASMEND
	;; [unrolled: 4-line block ×3, first 2 shown]
	v_and_b32_e32 v4, 0xffff, v0
	v_lshrrev_b32_e32 v0, 16, v0
	;;#ASMSTART
	v_cvt_f32_f16 v98, v4;
	;;#ASMEND
	;;#ASMSTART
	v_cvt_f32_f16 v99, v0;
	;;#ASMEND
	flat_load_dwordx2 v[11:12], v[9:10] offset:1280
	flat_load_dword v4, v[26:27]
	v_mov_b32_e32 v5, 0
	v_mov_b32_e32 v6, 0
	s_waitcnt vmcnt(1) lgkmcnt(1)
	v_cmp_ne_u16_sdwa s4, v11, v1 src0_sel:BYTE_0 src1_sel:DWORD
	s_and_saveexec_b32 s12, s4
	s_cbranch_execz .LBB325_1393
; %bb.1386:                             ;   in Loop: Header=BB325_1055 Depth=1
	v_cmp_ne_u16_sdwa s4, v11, v16 src0_sel:BYTE_0 src1_sel:DWORD
	v_mov_b32_e32 v6, 0x8000
	s_and_saveexec_b32 s13, s4
	s_cbranch_execz .LBB325_1392
; %bb.1387:                             ;   in Loop: Header=BB325_1055 Depth=1
	v_and_b32_e32 v22, 0x7f, v11
	v_mov_b32_e32 v6, 0x7c01
	s_mov_b32 s15, exec_lo
	v_cmpx_ne_u32_e32 0x7f, v22
	s_cbranch_execz .LBB325_1391
; %bb.1388:                             ;   in Loop: Header=BB325_1055 Depth=1
	v_and_b32_e32 v0, 7, v11
	v_lshrrev_b32_e32 v6, 3, v22
	s_mov_b32 s18, exec_lo
	v_cmpx_gt_u32_e32 8, v22
; %bb.1389:                             ;   in Loop: Header=BB325_1055 Depth=1
	v_ffbh_u32_e32 v0, v0
	v_min_u32_e32 v0, 32, v0
	v_subrev_nc_u32_e32 v6, 28, v0
	v_lshlrev_b64 v[22:23], v6, v[11:12]
	v_sub_nc_u32_e32 v6, 29, v0
	v_and_b32_e32 v0, 7, v22
; %bb.1390:                             ;   in Loop: Header=BB325_1055 Depth=1
	s_or_b32 exec_lo, exec_lo, s18
	v_lshlrev_b32_e32 v22, 8, v11
	v_lshl_add_u32 v6, v6, 10, 0x2000
	v_lshlrev_b32_e32 v0, 7, v0
	v_and_b32_e32 v22, 0x8000, v22
	v_and_b32_e32 v6, 0xfc00, v6
	v_or3_b32 v6, v22, v6, v0
.LBB325_1391:                           ;   in Loop: Header=BB325_1055 Depth=1
	s_or_b32 exec_lo, exec_lo, s15
.LBB325_1392:                           ;   in Loop: Header=BB325_1055 Depth=1
	s_or_b32 exec_lo, exec_lo, s13
.LBB325_1393:                           ;   in Loop: Header=BB325_1055 Depth=1
	s_or_b32 exec_lo, exec_lo, s12
	v_lshrrev_b16 v0, 8, v11
	s_mov_b32 s12, exec_lo
	v_cmpx_ne_u16_e32 0, v0
	s_cbranch_execz .LBB325_1401
; %bb.1394:                             ;   in Loop: Header=BB325_1055 Depth=1
	v_bfrev_b32_e32 v5, 1
	s_mov_b32 s13, exec_lo
	v_cmpx_ne_u16_e32 0x80, v0
	s_cbranch_execz .LBB325_1400
; %bb.1395:                             ;   in Loop: Header=BB325_1055 Depth=1
	v_and_b32_sdwa v23, v0, v17 dst_sel:DWORD dst_unused:UNUSED_PAD src0_sel:WORD_0 src1_sel:DWORD
	v_mov_b32_e32 v5, 0x7c010000
	s_mov_b32 s15, exec_lo
	v_cmpx_ne_u32_e32 0x7f, v23
	s_cbranch_execz .LBB325_1399
; %bb.1396:                             ;   in Loop: Header=BB325_1055 Depth=1
	v_and_b32_sdwa v5, v0, v37 dst_sel:DWORD dst_unused:UNUSED_PAD src0_sel:WORD_0 src1_sel:DWORD
	v_lshrrev_b32_e32 v22, 3, v23
	s_mov_b32 s18, exec_lo
	v_cmpx_gt_u32_e32 8, v23
; %bb.1397:                             ;   in Loop: Header=BB325_1055 Depth=1
	v_ffbh_u32_e32 v5, v5
	v_min_u32_e32 v5, 32, v5
	v_subrev_nc_u32_e32 v22, 28, v5
	v_lshlrev_b64 v[32:33], v22, v[0:1]
	v_sub_nc_u32_e32 v22, 29, v5
	v_and_b32_e32 v5, 7, v32
; %bb.1398:                             ;   in Loop: Header=BB325_1055 Depth=1
	s_or_b32 exec_lo, exec_lo, s18
	v_lshlrev_b32_sdwa v0, v54, v0 dst_sel:DWORD dst_unused:UNUSED_PAD src0_sel:DWORD src1_sel:WORD_0
	v_lshl_add_u32 v22, v22, 10, 0x2000
	v_lshlrev_b32_e32 v5, 23, v5
	v_and_or_b32 v0, 0x8000, v0, v22
	v_lshl_or_b32 v5, v0, 16, v5
.LBB325_1399:                           ;   in Loop: Header=BB325_1055 Depth=1
	s_or_b32 exec_lo, exec_lo, s15
.LBB325_1400:                           ;   in Loop: Header=BB325_1055 Depth=1
	s_or_b32 exec_lo, exec_lo, s13
.LBB325_1401:                           ;   in Loop: Header=BB325_1055 Depth=1
	s_or_b32 exec_lo, exec_lo, s12
	v_lshrrev_b32_e32 v0, 16, v11
	v_mov_b32_e32 v22, 0
	v_mov_b32_e32 v23, 0
	v_cmp_ne_u16_sdwa s4, v0, v1 src0_sel:BYTE_0 src1_sel:DWORD
	s_and_saveexec_b32 s12, s4
	s_cbranch_execz .LBB325_1409
; %bb.1402:                             ;   in Loop: Header=BB325_1055 Depth=1
	v_cmp_ne_u16_sdwa s4, v0, v16 src0_sel:BYTE_0 src1_sel:DWORD
	v_mov_b32_e32 v23, 0x8000
	s_and_saveexec_b32 s13, s4
	s_cbranch_execz .LBB325_1408
; %bb.1403:                             ;   in Loop: Header=BB325_1055 Depth=1
	v_bfe_u32 v33, v11, 16, 7
	v_mov_b32_e32 v23, 0x7c01
	s_mov_b32 s15, exec_lo
	v_cmpx_ne_u32_e32 0x7f, v33
	s_cbranch_execz .LBB325_1407
; %bb.1404:                             ;   in Loop: Header=BB325_1055 Depth=1
	v_and_b32_e32 v23, 7, v0
	v_lshrrev_b32_e32 v32, 3, v33
	s_mov_b32 s18, exec_lo
	v_cmpx_gt_u32_e32 8, v33
; %bb.1405:                             ;   in Loop: Header=BB325_1055 Depth=1
	v_ffbh_u32_e32 v23, v23
	v_min_u32_e32 v23, 32, v23
	v_subrev_nc_u32_e32 v32, 28, v23
	v_lshlrev_b64 v[100:101], v32, v[0:1]
	v_sub_nc_u32_e32 v32, 29, v23
	v_and_b32_e32 v23, 7, v100
; %bb.1406:                             ;   in Loop: Header=BB325_1055 Depth=1
	s_or_b32 exec_lo, exec_lo, s18
	v_lshlrev_b32_e32 v0, 8, v0
	v_lshl_add_u32 v32, v32, 10, 0x2000
	v_lshlrev_b32_e32 v23, 7, v23
	v_and_b32_e32 v0, 0x8000, v0
	v_and_b32_e32 v32, 0xfc00, v32
	v_or3_b32 v23, v0, v32, v23
.LBB325_1407:                           ;   in Loop: Header=BB325_1055 Depth=1
	s_or_b32 exec_lo, exec_lo, s15
.LBB325_1408:                           ;   in Loop: Header=BB325_1055 Depth=1
	s_or_b32 exec_lo, exec_lo, s13
.LBB325_1409:                           ;   in Loop: Header=BB325_1055 Depth=1
	s_or_b32 exec_lo, exec_lo, s12
	s_mov_b32 s12, exec_lo
	v_cmpx_lt_u32_e32 0xffffff, v11
	s_cbranch_execz .LBB325_1417
; %bb.1410:                             ;   in Loop: Header=BB325_1055 Depth=1
	v_lshrrev_b32_e32 v0, 24, v11
	v_bfrev_b32_e32 v22, 1
	s_mov_b32 s13, exec_lo
	v_cmpx_ne_u32_e32 0x80, v0
	s_cbranch_execz .LBB325_1416
; %bb.1411:                             ;   in Loop: Header=BB325_1055 Depth=1
	v_and_b32_e32 v33, 0x7f, v0
	v_mov_b32_e32 v22, 0x7c010000
	s_mov_b32 s15, exec_lo
	v_cmpx_ne_u32_e32 0x7f, v33
	s_cbranch_execz .LBB325_1415
; %bb.1412:                             ;   in Loop: Header=BB325_1055 Depth=1
	v_and_b32_e32 v22, 7, v0
	v_lshrrev_b32_e32 v32, 3, v33
	s_mov_b32 s18, exec_lo
	v_cmpx_gt_u32_e32 8, v33
; %bb.1413:                             ;   in Loop: Header=BB325_1055 Depth=1
	v_ffbh_u32_e32 v22, v22
	v_min_u32_e32 v22, 32, v22
	v_subrev_nc_u32_e32 v32, 28, v22
	v_lshlrev_b64 v[100:101], v32, v[0:1]
	v_sub_nc_u32_e32 v32, 29, v22
	v_and_b32_e32 v22, 7, v100
; %bb.1414:                             ;   in Loop: Header=BB325_1055 Depth=1
	s_or_b32 exec_lo, exec_lo, s18
	v_lshlrev_b32_e32 v0, 8, v0
	v_lshl_add_u32 v32, v32, 10, 0x2000
	v_lshlrev_b32_e32 v22, 23, v22
	v_and_or_b32 v0, 0x8000, v0, v32
	v_lshl_or_b32 v22, v0, 16, v22
.LBB325_1415:                           ;   in Loop: Header=BB325_1055 Depth=1
	s_or_b32 exec_lo, exec_lo, s15
.LBB325_1416:                           ;   in Loop: Header=BB325_1055 Depth=1
	s_or_b32 exec_lo, exec_lo, s13
.LBB325_1417:                           ;   in Loop: Header=BB325_1055 Depth=1
	s_or_b32 exec_lo, exec_lo, s12
	v_mov_b32_e32 v0, v12
	v_cmp_ne_u16_sdwa s4, v12, v1 src0_sel:BYTE_0 src1_sel:DWORD
	v_mov_b32_e32 v32, 0
	v_mov_b32_e32 v33, 0
	s_and_saveexec_b32 s12, s4
	s_cbranch_execz .LBB325_1425
; %bb.1418:                             ;   in Loop: Header=BB325_1055 Depth=1
	v_cmp_ne_u16_sdwa s4, v12, v16 src0_sel:BYTE_0 src1_sel:DWORD
	v_mov_b32_e32 v33, 0x8000
	s_and_saveexec_b32 s13, s4
	s_cbranch_execz .LBB325_1424
; %bb.1419:                             ;   in Loop: Header=BB325_1055 Depth=1
	v_and_b32_e32 v100, 0x7f, v12
	v_mov_b32_e32 v33, 0x7c01
	s_mov_b32 s15, exec_lo
	v_cmpx_ne_u32_e32 0x7f, v100
	s_cbranch_execz .LBB325_1423
; %bb.1420:                             ;   in Loop: Header=BB325_1055 Depth=1
	v_and_b32_e32 v33, 7, v12
	v_lshrrev_b32_e32 v35, 3, v100
	s_mov_b32 s18, exec_lo
	v_cmpx_gt_u32_e32 8, v100
; %bb.1421:                             ;   in Loop: Header=BB325_1055 Depth=1
	v_ffbh_u32_e32 v33, v33
	v_min_u32_e32 v33, 32, v33
	v_subrev_nc_u32_e32 v35, 28, v33
	v_lshlrev_b64 v[100:101], v35, v[0:1]
	v_sub_nc_u32_e32 v35, 29, v33
	v_and_b32_e32 v33, 7, v100
; %bb.1422:                             ;   in Loop: Header=BB325_1055 Depth=1
	s_or_b32 exec_lo, exec_lo, s18
	v_lshlrev_b32_e32 v100, 8, v12
	v_lshl_add_u32 v35, v35, 10, 0x2000
	v_lshlrev_b32_e32 v33, 7, v33
	v_and_b32_e32 v100, 0x8000, v100
	v_and_b32_e32 v35, 0xfc00, v35
	v_or3_b32 v33, v100, v35, v33
.LBB325_1423:                           ;   in Loop: Header=BB325_1055 Depth=1
	s_or_b32 exec_lo, exec_lo, s15
.LBB325_1424:                           ;   in Loop: Header=BB325_1055 Depth=1
	s_or_b32 exec_lo, exec_lo, s13
.LBB325_1425:                           ;   in Loop: Header=BB325_1055 Depth=1
	s_or_b32 exec_lo, exec_lo, s12
	v_lshrrev_b16 v0, 8, v0
	v_mov_b32_e32 v35, 0
	s_mov_b32 s12, exec_lo
	v_cmpx_ne_u16_e32 0, v0
	s_cbranch_execz .LBB325_1433
; %bb.1426:                             ;   in Loop: Header=BB325_1055 Depth=1
	v_bfrev_b32_e32 v35, 1
	s_mov_b32 s13, exec_lo
	v_cmpx_ne_u16_e32 0x80, v0
	s_cbranch_execz .LBB325_1432
; %bb.1427:                             ;   in Loop: Header=BB325_1055 Depth=1
	v_and_b32_sdwa v101, v0, v17 dst_sel:DWORD dst_unused:UNUSED_PAD src0_sel:WORD_0 src1_sel:DWORD
	v_mov_b32_e32 v35, 0x7c010000
	s_mov_b32 s15, exec_lo
	v_cmpx_ne_u32_e32 0x7f, v101
	s_cbranch_execz .LBB325_1431
; %bb.1428:                             ;   in Loop: Header=BB325_1055 Depth=1
	v_and_b32_sdwa v35, v0, v37 dst_sel:DWORD dst_unused:UNUSED_PAD src0_sel:WORD_0 src1_sel:DWORD
	v_lshrrev_b32_e32 v100, 3, v101
	s_mov_b32 s18, exec_lo
	v_cmpx_gt_u32_e32 8, v101
; %bb.1429:                             ;   in Loop: Header=BB325_1055 Depth=1
	v_ffbh_u32_e32 v35, v35
	v_min_u32_e32 v35, 32, v35
	v_subrev_nc_u32_e32 v100, 28, v35
	v_lshlrev_b64 v[101:102], v100, v[0:1]
	v_sub_nc_u32_e32 v100, 29, v35
	v_and_b32_e32 v35, 7, v101
; %bb.1430:                             ;   in Loop: Header=BB325_1055 Depth=1
	s_or_b32 exec_lo, exec_lo, s18
	v_lshlrev_b32_sdwa v0, v54, v0 dst_sel:DWORD dst_unused:UNUSED_PAD src0_sel:DWORD src1_sel:WORD_0
	v_lshl_add_u32 v100, v100, 10, 0x2000
	v_lshlrev_b32_e32 v35, 23, v35
	v_and_or_b32 v0, 0x8000, v0, v100
	v_lshl_or_b32 v35, v0, 16, v35
.LBB325_1431:                           ;   in Loop: Header=BB325_1055 Depth=1
	s_or_b32 exec_lo, exec_lo, s15
.LBB325_1432:                           ;   in Loop: Header=BB325_1055 Depth=1
	s_or_b32 exec_lo, exec_lo, s13
.LBB325_1433:                           ;   in Loop: Header=BB325_1055 Depth=1
	s_or_b32 exec_lo, exec_lo, s12
	v_lshrrev_b32_e32 v0, 16, v12
	v_cmp_ne_u16_sdwa s4, v0, v1 src0_sel:BYTE_0 src1_sel:DWORD
	s_and_saveexec_b32 s12, s4
	s_cbranch_execz .LBB325_1441
; %bb.1434:                             ;   in Loop: Header=BB325_1055 Depth=1
	v_cmp_ne_u16_sdwa s4, v0, v16 src0_sel:BYTE_0 src1_sel:DWORD
	v_mov_b32_e32 v32, 0x8000
	s_and_saveexec_b32 s13, s4
	s_cbranch_execz .LBB325_1440
; %bb.1435:                             ;   in Loop: Header=BB325_1055 Depth=1
	v_bfe_u32 v101, v12, 16, 7
	v_mov_b32_e32 v32, 0x7c01
	s_mov_b32 s15, exec_lo
	v_cmpx_ne_u32_e32 0x7f, v101
	s_cbranch_execz .LBB325_1439
; %bb.1436:                             ;   in Loop: Header=BB325_1055 Depth=1
	v_and_b32_e32 v32, 7, v0
	v_lshrrev_b32_e32 v100, 3, v101
	s_mov_b32 s18, exec_lo
	v_cmpx_gt_u32_e32 8, v101
; %bb.1437:                             ;   in Loop: Header=BB325_1055 Depth=1
	v_ffbh_u32_e32 v32, v32
	v_min_u32_e32 v32, 32, v32
	v_subrev_nc_u32_e32 v100, 28, v32
	v_lshlrev_b64 v[101:102], v100, v[0:1]
	v_sub_nc_u32_e32 v100, 29, v32
	v_and_b32_e32 v32, 7, v101
; %bb.1438:                             ;   in Loop: Header=BB325_1055 Depth=1
	s_or_b32 exec_lo, exec_lo, s18
	v_lshlrev_b32_e32 v0, 8, v0
	v_lshl_add_u32 v100, v100, 10, 0x2000
	v_lshlrev_b32_e32 v32, 7, v32
	v_and_b32_e32 v0, 0x8000, v0
	v_and_b32_e32 v100, 0xfc00, v100
	v_or3_b32 v32, v0, v100, v32
.LBB325_1439:                           ;   in Loop: Header=BB325_1055 Depth=1
	s_or_b32 exec_lo, exec_lo, s15
.LBB325_1440:                           ;   in Loop: Header=BB325_1055 Depth=1
	s_or_b32 exec_lo, exec_lo, s13
.LBB325_1441:                           ;   in Loop: Header=BB325_1055 Depth=1
	s_or_b32 exec_lo, exec_lo, s12
	v_cmp_lt_u64_e64 s4, s[8:9], v[11:12]
	v_mov_b32_e32 v11, 0
	s_and_saveexec_b32 s12, s4
	s_cbranch_execz .LBB325_1449
; %bb.1442:                             ;   in Loop: Header=BB325_1055 Depth=1
	v_lshrrev_b32_e32 v0, 24, v12
	v_bfrev_b32_e32 v11, 1
	s_mov_b32 s13, exec_lo
	v_cmpx_ne_u32_e32 0x80, v0
	s_cbranch_execz .LBB325_1448
; %bb.1443:                             ;   in Loop: Header=BB325_1055 Depth=1
	v_and_b32_e32 v100, 0x7f, v0
	v_mov_b32_e32 v11, 0x7c010000
	s_mov_b32 s15, exec_lo
	v_cmpx_ne_u32_e32 0x7f, v100
	s_cbranch_execz .LBB325_1447
; %bb.1444:                             ;   in Loop: Header=BB325_1055 Depth=1
	v_and_b32_e32 v11, 7, v0
	v_lshrrev_b32_e32 v12, 3, v100
	s_mov_b32 s18, exec_lo
	v_cmpx_gt_u32_e32 8, v100
; %bb.1445:                             ;   in Loop: Header=BB325_1055 Depth=1
	v_ffbh_u32_e32 v11, v11
	v_min_u32_e32 v100, 32, v11
	v_subrev_nc_u32_e32 v11, 28, v100
	v_lshlrev_b64 v[11:12], v11, v[0:1]
	v_sub_nc_u32_e32 v12, 29, v100
	v_and_b32_e32 v11, 7, v11
; %bb.1446:                             ;   in Loop: Header=BB325_1055 Depth=1
	s_or_b32 exec_lo, exec_lo, s18
	v_lshlrev_b32_e32 v0, 8, v0
	v_lshl_add_u32 v12, v12, 10, 0x2000
	v_lshlrev_b32_e32 v11, 23, v11
	v_and_or_b32 v0, 0x8000, v0, v12
	v_lshl_or_b32 v11, v0, 16, v11
.LBB325_1447:                           ;   in Loop: Header=BB325_1055 Depth=1
	s_or_b32 exec_lo, exec_lo, s15
.LBB325_1448:                           ;   in Loop: Header=BB325_1055 Depth=1
	s_or_b32 exec_lo, exec_lo, s13
.LBB325_1449:                           ;   in Loop: Header=BB325_1055 Depth=1
	s_or_b32 exec_lo, exec_lo, s12
	v_or_b32_e32 v0, v22, v23
	s_waitcnt vmcnt(0) lgkmcnt(0)
	v_fma_mixlo_f16 v12, v4, v22, 0 op_sel:[0,1,0] op_sel_hi:[0,1,0]
	v_or_b32_e32 v6, v5, v6
	v_fma_mixlo_f16 v5, v4, v5, 0 op_sel:[0,1,0] op_sel_hi:[0,1,0]
	v_or_b32_e32 v22, v35, v33
	v_fma_mixlo_f16 v23, v4, v0, 0 op_sel_hi:[0,1,0]
	v_or_b32_e32 v32, v11, v32
	v_lshlrev_b32_e32 v0, 16, v12
	v_lshlrev_b32_e32 v12, 16, v5
	v_fma_mixlo_f16 v6, v4, v6, 0 op_sel_hi:[0,1,0]
	v_and_b32_e32 v5, 0xffff, v23
	v_fma_mixlo_f16 v23, v4, v35, 0 op_sel:[0,1,0] op_sel_hi:[0,1,0]
	v_fma_mixlo_f16 v22, v4, v22, 0 op_sel_hi:[0,1,0]
	v_fma_mixlo_f16 v11, v4, v11, 0 op_sel:[0,1,0] op_sel_hi:[0,1,0]
	v_fma_mixlo_f16 v32, v4, v32, 0 op_sel_hi:[0,1,0]
	v_and_b32_e32 v100, 0xffff, v6
	v_lshlrev_b32_e32 v6, 16, v23
	v_and_b32_e32 v23, 0xffff, v22
	v_lshlrev_b32_e32 v4, 16, v11
	v_and_b32_e32 v11, 0xffff, v32
	v_or_b32_e32 v22, v0, v5
	v_or_b32_e32 v35, v12, v100
	;; [unrolled: 1-line block ×4, first 2 shown]
	s_and_saveexec_b32 s12, vcc_lo
	s_cbranch_execz .LBB325_1451
; %bb.1450:                             ;   in Loop: Header=BB325_1055 Depth=1
	v_cmp_lt_i32_e64 s4, v55, v34
	v_cndmask_b32_e64 v22, 0, v100, s4
	v_cmp_lt_i32_e64 s4, v83, v34
	v_cndmask_b32_e64 v12, 0, v12, s4
	v_cmp_lt_i32_e64 s4, v82, v34
	v_or_b32_e32 v35, v22, v12
	v_cndmask_b32_e64 v5, 0, v5, s4
	v_cmp_lt_i32_e64 s4, v81, v34
	v_cndmask_b32_e64 v0, 0, v0, s4
	v_cmp_lt_i32_e64 s4, v80, v34
	v_or_b32_e32 v22, v5, v0
	;; [unrolled: 5-line block ×3, first 2 shown]
	v_cndmask_b32_e64 v11, 0, v11, s4
	v_cmp_lt_i32_e64 s4, v14, v34
	v_cndmask_b32_e64 v4, 0, v4, s4
	v_or_b32_e32 v32, v11, v4
.LBB325_1451:                           ;   in Loop: Header=BB325_1055 Depth=1
	s_or_b32 exec_lo, exec_lo, s12
	;;#ASMSTART
	v_pk_mul_f16 v0, v68, v35;

	;;#ASMEND
	;;#ASMSTART
	v_pk_mul_f16 v4, v66, v22;

	;;#ASMEND
	;; [unrolled: 4-line block ×4, first 2 shown]
	;;#ASMSTART
	v_pk_add_f16 v0, v0, v4;

	;;#ASMEND
	;;#ASMSTART
	v_pk_add_f16 v0, v0, v5;

	;;#ASMEND
	;; [unrolled: 4-line block ×3, first 2 shown]
	v_and_b32_e32 v4, 0xffff, v0
	v_lshrrev_b32_e32 v0, 16, v0
	;;#ASMSTART
	v_cvt_f32_f16 v100, v4;
	;;#ASMEND
	;;#ASMSTART
	v_cvt_f32_f16 v101, v0;
	;;#ASMEND
	flat_load_dwordx2 v[11:12], v[9:10] offset:1536
	flat_load_dword v4, v[26:27]
	v_mov_b32_e32 v5, 0
	v_mov_b32_e32 v6, 0
	s_waitcnt vmcnt(1) lgkmcnt(1)
	v_cmp_ne_u16_sdwa s4, v11, v1 src0_sel:BYTE_0 src1_sel:DWORD
	s_and_saveexec_b32 s12, s4
	s_cbranch_execz .LBB325_1459
; %bb.1452:                             ;   in Loop: Header=BB325_1055 Depth=1
	v_cmp_ne_u16_sdwa s4, v11, v16 src0_sel:BYTE_0 src1_sel:DWORD
	v_mov_b32_e32 v6, 0x8000
	s_and_saveexec_b32 s13, s4
	s_cbranch_execz .LBB325_1458
; %bb.1453:                             ;   in Loop: Header=BB325_1055 Depth=1
	v_and_b32_e32 v22, 0x7f, v11
	v_mov_b32_e32 v6, 0x7c01
	s_mov_b32 s15, exec_lo
	v_cmpx_ne_u32_e32 0x7f, v22
	s_cbranch_execz .LBB325_1457
; %bb.1454:                             ;   in Loop: Header=BB325_1055 Depth=1
	v_and_b32_e32 v0, 7, v11
	v_lshrrev_b32_e32 v6, 3, v22
	s_mov_b32 s18, exec_lo
	v_cmpx_gt_u32_e32 8, v22
; %bb.1455:                             ;   in Loop: Header=BB325_1055 Depth=1
	v_ffbh_u32_e32 v0, v0
	v_min_u32_e32 v0, 32, v0
	v_subrev_nc_u32_e32 v6, 28, v0
	v_lshlrev_b64 v[22:23], v6, v[11:12]
	v_sub_nc_u32_e32 v6, 29, v0
	v_and_b32_e32 v0, 7, v22
; %bb.1456:                             ;   in Loop: Header=BB325_1055 Depth=1
	s_or_b32 exec_lo, exec_lo, s18
	v_lshlrev_b32_e32 v22, 8, v11
	v_lshl_add_u32 v6, v6, 10, 0x2000
	v_lshlrev_b32_e32 v0, 7, v0
	v_and_b32_e32 v22, 0x8000, v22
	v_and_b32_e32 v6, 0xfc00, v6
	v_or3_b32 v6, v22, v6, v0
.LBB325_1457:                           ;   in Loop: Header=BB325_1055 Depth=1
	s_or_b32 exec_lo, exec_lo, s15
.LBB325_1458:                           ;   in Loop: Header=BB325_1055 Depth=1
	s_or_b32 exec_lo, exec_lo, s13
.LBB325_1459:                           ;   in Loop: Header=BB325_1055 Depth=1
	s_or_b32 exec_lo, exec_lo, s12
	v_lshrrev_b16 v0, 8, v11
	s_mov_b32 s12, exec_lo
	v_cmpx_ne_u16_e32 0, v0
	s_cbranch_execz .LBB325_1467
; %bb.1460:                             ;   in Loop: Header=BB325_1055 Depth=1
	v_bfrev_b32_e32 v5, 1
	s_mov_b32 s13, exec_lo
	v_cmpx_ne_u16_e32 0x80, v0
	s_cbranch_execz .LBB325_1466
; %bb.1461:                             ;   in Loop: Header=BB325_1055 Depth=1
	v_and_b32_sdwa v23, v0, v17 dst_sel:DWORD dst_unused:UNUSED_PAD src0_sel:WORD_0 src1_sel:DWORD
	v_mov_b32_e32 v5, 0x7c010000
	s_mov_b32 s15, exec_lo
	v_cmpx_ne_u32_e32 0x7f, v23
	s_cbranch_execz .LBB325_1465
; %bb.1462:                             ;   in Loop: Header=BB325_1055 Depth=1
	v_and_b32_sdwa v5, v0, v37 dst_sel:DWORD dst_unused:UNUSED_PAD src0_sel:WORD_0 src1_sel:DWORD
	v_lshrrev_b32_e32 v22, 3, v23
	s_mov_b32 s18, exec_lo
	v_cmpx_gt_u32_e32 8, v23
; %bb.1463:                             ;   in Loop: Header=BB325_1055 Depth=1
	v_ffbh_u32_e32 v5, v5
	v_min_u32_e32 v5, 32, v5
	v_subrev_nc_u32_e32 v22, 28, v5
	v_lshlrev_b64 v[32:33], v22, v[0:1]
	v_sub_nc_u32_e32 v22, 29, v5
	v_and_b32_e32 v5, 7, v32
; %bb.1464:                             ;   in Loop: Header=BB325_1055 Depth=1
	s_or_b32 exec_lo, exec_lo, s18
	v_lshlrev_b32_sdwa v0, v54, v0 dst_sel:DWORD dst_unused:UNUSED_PAD src0_sel:DWORD src1_sel:WORD_0
	v_lshl_add_u32 v22, v22, 10, 0x2000
	v_lshlrev_b32_e32 v5, 23, v5
	v_and_or_b32 v0, 0x8000, v0, v22
	v_lshl_or_b32 v5, v0, 16, v5
.LBB325_1465:                           ;   in Loop: Header=BB325_1055 Depth=1
	s_or_b32 exec_lo, exec_lo, s15
.LBB325_1466:                           ;   in Loop: Header=BB325_1055 Depth=1
	s_or_b32 exec_lo, exec_lo, s13
.LBB325_1467:                           ;   in Loop: Header=BB325_1055 Depth=1
	s_or_b32 exec_lo, exec_lo, s12
	v_lshrrev_b32_e32 v0, 16, v11
	v_mov_b32_e32 v22, 0
	v_mov_b32_e32 v23, 0
	v_cmp_ne_u16_sdwa s4, v0, v1 src0_sel:BYTE_0 src1_sel:DWORD
	s_and_saveexec_b32 s12, s4
	s_cbranch_execz .LBB325_1475
; %bb.1468:                             ;   in Loop: Header=BB325_1055 Depth=1
	v_cmp_ne_u16_sdwa s4, v0, v16 src0_sel:BYTE_0 src1_sel:DWORD
	v_mov_b32_e32 v23, 0x8000
	s_and_saveexec_b32 s13, s4
	s_cbranch_execz .LBB325_1474
; %bb.1469:                             ;   in Loop: Header=BB325_1055 Depth=1
	v_bfe_u32 v33, v11, 16, 7
	v_mov_b32_e32 v23, 0x7c01
	s_mov_b32 s15, exec_lo
	v_cmpx_ne_u32_e32 0x7f, v33
	s_cbranch_execz .LBB325_1473
; %bb.1470:                             ;   in Loop: Header=BB325_1055 Depth=1
	v_and_b32_e32 v23, 7, v0
	v_lshrrev_b32_e32 v32, 3, v33
	s_mov_b32 s18, exec_lo
	v_cmpx_gt_u32_e32 8, v33
; %bb.1471:                             ;   in Loop: Header=BB325_1055 Depth=1
	v_ffbh_u32_e32 v23, v23
	v_min_u32_e32 v23, 32, v23
	v_subrev_nc_u32_e32 v32, 28, v23
	v_lshlrev_b64 v[102:103], v32, v[0:1]
	v_sub_nc_u32_e32 v32, 29, v23
	v_and_b32_e32 v23, 7, v102
; %bb.1472:                             ;   in Loop: Header=BB325_1055 Depth=1
	s_or_b32 exec_lo, exec_lo, s18
	v_lshlrev_b32_e32 v0, 8, v0
	v_lshl_add_u32 v32, v32, 10, 0x2000
	v_lshlrev_b32_e32 v23, 7, v23
	v_and_b32_e32 v0, 0x8000, v0
	v_and_b32_e32 v32, 0xfc00, v32
	v_or3_b32 v23, v0, v32, v23
.LBB325_1473:                           ;   in Loop: Header=BB325_1055 Depth=1
	s_or_b32 exec_lo, exec_lo, s15
.LBB325_1474:                           ;   in Loop: Header=BB325_1055 Depth=1
	s_or_b32 exec_lo, exec_lo, s13
.LBB325_1475:                           ;   in Loop: Header=BB325_1055 Depth=1
	s_or_b32 exec_lo, exec_lo, s12
	s_mov_b32 s12, exec_lo
	v_cmpx_lt_u32_e32 0xffffff, v11
	s_cbranch_execz .LBB325_1483
; %bb.1476:                             ;   in Loop: Header=BB325_1055 Depth=1
	v_lshrrev_b32_e32 v0, 24, v11
	v_bfrev_b32_e32 v22, 1
	s_mov_b32 s13, exec_lo
	v_cmpx_ne_u32_e32 0x80, v0
	s_cbranch_execz .LBB325_1482
; %bb.1477:                             ;   in Loop: Header=BB325_1055 Depth=1
	v_and_b32_e32 v33, 0x7f, v0
	v_mov_b32_e32 v22, 0x7c010000
	s_mov_b32 s15, exec_lo
	v_cmpx_ne_u32_e32 0x7f, v33
	s_cbranch_execz .LBB325_1481
; %bb.1478:                             ;   in Loop: Header=BB325_1055 Depth=1
	v_and_b32_e32 v22, 7, v0
	v_lshrrev_b32_e32 v32, 3, v33
	s_mov_b32 s18, exec_lo
	v_cmpx_gt_u32_e32 8, v33
; %bb.1479:                             ;   in Loop: Header=BB325_1055 Depth=1
	v_ffbh_u32_e32 v22, v22
	v_min_u32_e32 v22, 32, v22
	v_subrev_nc_u32_e32 v32, 28, v22
	v_lshlrev_b64 v[102:103], v32, v[0:1]
	v_sub_nc_u32_e32 v32, 29, v22
	v_and_b32_e32 v22, 7, v102
; %bb.1480:                             ;   in Loop: Header=BB325_1055 Depth=1
	s_or_b32 exec_lo, exec_lo, s18
	v_lshlrev_b32_e32 v0, 8, v0
	v_lshl_add_u32 v32, v32, 10, 0x2000
	v_lshlrev_b32_e32 v22, 23, v22
	v_and_or_b32 v0, 0x8000, v0, v32
	v_lshl_or_b32 v22, v0, 16, v22
.LBB325_1481:                           ;   in Loop: Header=BB325_1055 Depth=1
	s_or_b32 exec_lo, exec_lo, s15
.LBB325_1482:                           ;   in Loop: Header=BB325_1055 Depth=1
	s_or_b32 exec_lo, exec_lo, s13
.LBB325_1483:                           ;   in Loop: Header=BB325_1055 Depth=1
	s_or_b32 exec_lo, exec_lo, s12
	v_mov_b32_e32 v0, v12
	v_cmp_ne_u16_sdwa s4, v12, v1 src0_sel:BYTE_0 src1_sel:DWORD
	v_mov_b32_e32 v32, 0
	v_mov_b32_e32 v33, 0
	s_and_saveexec_b32 s12, s4
	s_cbranch_execz .LBB325_1491
; %bb.1484:                             ;   in Loop: Header=BB325_1055 Depth=1
	v_cmp_ne_u16_sdwa s4, v12, v16 src0_sel:BYTE_0 src1_sel:DWORD
	v_mov_b32_e32 v33, 0x8000
	s_and_saveexec_b32 s13, s4
	s_cbranch_execz .LBB325_1490
; %bb.1485:                             ;   in Loop: Header=BB325_1055 Depth=1
	v_and_b32_e32 v102, 0x7f, v12
	v_mov_b32_e32 v33, 0x7c01
	s_mov_b32 s15, exec_lo
	v_cmpx_ne_u32_e32 0x7f, v102
	s_cbranch_execz .LBB325_1489
; %bb.1486:                             ;   in Loop: Header=BB325_1055 Depth=1
	v_and_b32_e32 v33, 7, v12
	v_lshrrev_b32_e32 v35, 3, v102
	s_mov_b32 s18, exec_lo
	v_cmpx_gt_u32_e32 8, v102
; %bb.1487:                             ;   in Loop: Header=BB325_1055 Depth=1
	v_ffbh_u32_e32 v33, v33
	v_min_u32_e32 v33, 32, v33
	v_subrev_nc_u32_e32 v35, 28, v33
	v_lshlrev_b64 v[102:103], v35, v[0:1]
	v_sub_nc_u32_e32 v35, 29, v33
	v_and_b32_e32 v33, 7, v102
; %bb.1488:                             ;   in Loop: Header=BB325_1055 Depth=1
	s_or_b32 exec_lo, exec_lo, s18
	v_lshlrev_b32_e32 v102, 8, v12
	v_lshl_add_u32 v35, v35, 10, 0x2000
	v_lshlrev_b32_e32 v33, 7, v33
	v_and_b32_e32 v102, 0x8000, v102
	v_and_b32_e32 v35, 0xfc00, v35
	v_or3_b32 v33, v102, v35, v33
.LBB325_1489:                           ;   in Loop: Header=BB325_1055 Depth=1
	s_or_b32 exec_lo, exec_lo, s15
.LBB325_1490:                           ;   in Loop: Header=BB325_1055 Depth=1
	s_or_b32 exec_lo, exec_lo, s13
.LBB325_1491:                           ;   in Loop: Header=BB325_1055 Depth=1
	s_or_b32 exec_lo, exec_lo, s12
	v_lshrrev_b16 v0, 8, v0
	v_mov_b32_e32 v35, 0
	s_mov_b32 s12, exec_lo
	v_cmpx_ne_u16_e32 0, v0
	s_cbranch_execz .LBB325_1499
; %bb.1492:                             ;   in Loop: Header=BB325_1055 Depth=1
	v_bfrev_b32_e32 v35, 1
	s_mov_b32 s13, exec_lo
	v_cmpx_ne_u16_e32 0x80, v0
	s_cbranch_execz .LBB325_1498
; %bb.1493:                             ;   in Loop: Header=BB325_1055 Depth=1
	v_and_b32_sdwa v103, v0, v17 dst_sel:DWORD dst_unused:UNUSED_PAD src0_sel:WORD_0 src1_sel:DWORD
	v_mov_b32_e32 v35, 0x7c010000
	s_mov_b32 s15, exec_lo
	v_cmpx_ne_u32_e32 0x7f, v103
	s_cbranch_execz .LBB325_1497
; %bb.1494:                             ;   in Loop: Header=BB325_1055 Depth=1
	v_and_b32_sdwa v35, v0, v37 dst_sel:DWORD dst_unused:UNUSED_PAD src0_sel:WORD_0 src1_sel:DWORD
	v_lshrrev_b32_e32 v102, 3, v103
	s_mov_b32 s18, exec_lo
	v_cmpx_gt_u32_e32 8, v103
; %bb.1495:                             ;   in Loop: Header=BB325_1055 Depth=1
	v_ffbh_u32_e32 v35, v35
	v_min_u32_e32 v35, 32, v35
	v_subrev_nc_u32_e32 v102, 28, v35
	v_lshlrev_b64 v[112:113], v102, v[0:1]
	v_sub_nc_u32_e32 v102, 29, v35
	v_and_b32_e32 v35, 7, v112
; %bb.1496:                             ;   in Loop: Header=BB325_1055 Depth=1
	s_or_b32 exec_lo, exec_lo, s18
	v_lshlrev_b32_sdwa v0, v54, v0 dst_sel:DWORD dst_unused:UNUSED_PAD src0_sel:DWORD src1_sel:WORD_0
	v_lshl_add_u32 v102, v102, 10, 0x2000
	v_lshlrev_b32_e32 v35, 23, v35
	v_and_or_b32 v0, 0x8000, v0, v102
	v_lshl_or_b32 v35, v0, 16, v35
.LBB325_1497:                           ;   in Loop: Header=BB325_1055 Depth=1
	s_or_b32 exec_lo, exec_lo, s15
.LBB325_1498:                           ;   in Loop: Header=BB325_1055 Depth=1
	s_or_b32 exec_lo, exec_lo, s13
.LBB325_1499:                           ;   in Loop: Header=BB325_1055 Depth=1
	s_or_b32 exec_lo, exec_lo, s12
	v_lshrrev_b32_e32 v0, 16, v12
	v_cmp_ne_u16_sdwa s4, v0, v1 src0_sel:BYTE_0 src1_sel:DWORD
	s_and_saveexec_b32 s12, s4
	s_cbranch_execz .LBB325_1507
; %bb.1500:                             ;   in Loop: Header=BB325_1055 Depth=1
	v_cmp_ne_u16_sdwa s4, v0, v16 src0_sel:BYTE_0 src1_sel:DWORD
	v_mov_b32_e32 v32, 0x8000
	s_and_saveexec_b32 s13, s4
	s_cbranch_execz .LBB325_1506
; %bb.1501:                             ;   in Loop: Header=BB325_1055 Depth=1
	v_bfe_u32 v103, v12, 16, 7
	v_mov_b32_e32 v32, 0x7c01
	s_mov_b32 s15, exec_lo
	v_cmpx_ne_u32_e32 0x7f, v103
	s_cbranch_execz .LBB325_1505
; %bb.1502:                             ;   in Loop: Header=BB325_1055 Depth=1
	v_and_b32_e32 v32, 7, v0
	v_lshrrev_b32_e32 v102, 3, v103
	s_mov_b32 s18, exec_lo
	v_cmpx_gt_u32_e32 8, v103
; %bb.1503:                             ;   in Loop: Header=BB325_1055 Depth=1
	v_ffbh_u32_e32 v32, v32
	v_min_u32_e32 v32, 32, v32
	v_subrev_nc_u32_e32 v102, 28, v32
	v_lshlrev_b64 v[112:113], v102, v[0:1]
	v_sub_nc_u32_e32 v102, 29, v32
	v_and_b32_e32 v32, 7, v112
; %bb.1504:                             ;   in Loop: Header=BB325_1055 Depth=1
	s_or_b32 exec_lo, exec_lo, s18
	v_lshlrev_b32_e32 v0, 8, v0
	v_lshl_add_u32 v102, v102, 10, 0x2000
	v_lshlrev_b32_e32 v32, 7, v32
	v_and_b32_e32 v0, 0x8000, v0
	v_and_b32_e32 v102, 0xfc00, v102
	v_or3_b32 v32, v0, v102, v32
.LBB325_1505:                           ;   in Loop: Header=BB325_1055 Depth=1
	s_or_b32 exec_lo, exec_lo, s15
.LBB325_1506:                           ;   in Loop: Header=BB325_1055 Depth=1
	s_or_b32 exec_lo, exec_lo, s13
.LBB325_1507:                           ;   in Loop: Header=BB325_1055 Depth=1
	s_or_b32 exec_lo, exec_lo, s12
	v_cmp_lt_u64_e64 s4, s[8:9], v[11:12]
	v_mov_b32_e32 v11, 0
	s_and_saveexec_b32 s12, s4
	s_cbranch_execz .LBB325_1515
; %bb.1508:                             ;   in Loop: Header=BB325_1055 Depth=1
	v_lshrrev_b32_e32 v0, 24, v12
	v_bfrev_b32_e32 v11, 1
	s_mov_b32 s13, exec_lo
	v_cmpx_ne_u32_e32 0x80, v0
	s_cbranch_execz .LBB325_1514
; %bb.1509:                             ;   in Loop: Header=BB325_1055 Depth=1
	v_and_b32_e32 v102, 0x7f, v0
	v_mov_b32_e32 v11, 0x7c010000
	s_mov_b32 s15, exec_lo
	v_cmpx_ne_u32_e32 0x7f, v102
	s_cbranch_execz .LBB325_1513
; %bb.1510:                             ;   in Loop: Header=BB325_1055 Depth=1
	v_and_b32_e32 v11, 7, v0
	v_lshrrev_b32_e32 v12, 3, v102
	s_mov_b32 s18, exec_lo
	v_cmpx_gt_u32_e32 8, v102
; %bb.1511:                             ;   in Loop: Header=BB325_1055 Depth=1
	v_ffbh_u32_e32 v11, v11
	v_min_u32_e32 v102, 32, v11
	v_subrev_nc_u32_e32 v11, 28, v102
	v_lshlrev_b64 v[11:12], v11, v[0:1]
	v_sub_nc_u32_e32 v12, 29, v102
	v_and_b32_e32 v11, 7, v11
; %bb.1512:                             ;   in Loop: Header=BB325_1055 Depth=1
	s_or_b32 exec_lo, exec_lo, s18
	v_lshlrev_b32_e32 v0, 8, v0
	v_lshl_add_u32 v12, v12, 10, 0x2000
	v_lshlrev_b32_e32 v11, 23, v11
	v_and_or_b32 v0, 0x8000, v0, v12
	v_lshl_or_b32 v11, v0, 16, v11
.LBB325_1513:                           ;   in Loop: Header=BB325_1055 Depth=1
	s_or_b32 exec_lo, exec_lo, s15
.LBB325_1514:                           ;   in Loop: Header=BB325_1055 Depth=1
	s_or_b32 exec_lo, exec_lo, s13
.LBB325_1515:                           ;   in Loop: Header=BB325_1055 Depth=1
	s_or_b32 exec_lo, exec_lo, s12
	v_or_b32_e32 v0, v22, v23
	s_waitcnt vmcnt(0) lgkmcnt(0)
	v_fma_mixlo_f16 v12, v4, v22, 0 op_sel:[0,1,0] op_sel_hi:[0,1,0]
	v_or_b32_e32 v6, v5, v6
	v_fma_mixlo_f16 v5, v4, v5, 0 op_sel:[0,1,0] op_sel_hi:[0,1,0]
	v_or_b32_e32 v22, v35, v33
	v_fma_mixlo_f16 v23, v4, v0, 0 op_sel_hi:[0,1,0]
	v_or_b32_e32 v32, v11, v32
	v_lshlrev_b32_e32 v0, 16, v12
	v_lshlrev_b32_e32 v12, 16, v5
	v_fma_mixlo_f16 v6, v4, v6, 0 op_sel_hi:[0,1,0]
	v_and_b32_e32 v5, 0xffff, v23
	v_fma_mixlo_f16 v23, v4, v35, 0 op_sel:[0,1,0] op_sel_hi:[0,1,0]
	v_fma_mixlo_f16 v22, v4, v22, 0 op_sel_hi:[0,1,0]
	v_fma_mixlo_f16 v11, v4, v11, 0 op_sel:[0,1,0] op_sel_hi:[0,1,0]
	v_fma_mixlo_f16 v32, v4, v32, 0 op_sel_hi:[0,1,0]
	v_and_b32_e32 v102, 0xffff, v6
	v_lshlrev_b32_e32 v6, 16, v23
	v_and_b32_e32 v23, 0xffff, v22
	v_lshlrev_b32_e32 v4, 16, v11
	v_and_b32_e32 v11, 0xffff, v32
	v_or_b32_e32 v22, v0, v5
	v_or_b32_e32 v35, v12, v102
	;; [unrolled: 1-line block ×4, first 2 shown]
	s_and_saveexec_b32 s12, vcc_lo
	s_cbranch_execz .LBB325_1517
; %bb.1516:                             ;   in Loop: Header=BB325_1055 Depth=1
	v_cmp_lt_i32_e64 s4, v55, v34
	v_cndmask_b32_e64 v22, 0, v102, s4
	v_cmp_lt_i32_e64 s4, v83, v34
	v_cndmask_b32_e64 v12, 0, v12, s4
	v_cmp_lt_i32_e64 s4, v82, v34
	v_or_b32_e32 v35, v22, v12
	v_cndmask_b32_e64 v5, 0, v5, s4
	v_cmp_lt_i32_e64 s4, v81, v34
	v_cndmask_b32_e64 v0, 0, v0, s4
	v_cmp_lt_i32_e64 s4, v80, v34
	v_or_b32_e32 v22, v5, v0
	;; [unrolled: 5-line block ×3, first 2 shown]
	v_cndmask_b32_e64 v11, 0, v11, s4
	v_cmp_lt_i32_e64 s4, v14, v34
	v_cndmask_b32_e64 v4, 0, v4, s4
	v_or_b32_e32 v32, v11, v4
.LBB325_1517:                           ;   in Loop: Header=BB325_1055 Depth=1
	s_or_b32 exec_lo, exec_lo, s12
	;;#ASMSTART
	v_pk_mul_f16 v0, v68, v35;

	;;#ASMEND
	;;#ASMSTART
	v_pk_mul_f16 v4, v66, v22;

	;;#ASMEND
	;; [unrolled: 4-line block ×4, first 2 shown]
	;;#ASMSTART
	v_pk_add_f16 v0, v0, v4;

	;;#ASMEND
	;;#ASMSTART
	v_pk_add_f16 v0, v0, v5;

	;;#ASMEND
	;; [unrolled: 4-line block ×3, first 2 shown]
	v_and_b32_e32 v4, 0xffff, v0
	v_lshrrev_b32_e32 v0, 16, v0
	;;#ASMSTART
	v_cvt_f32_f16 v102, v4;
	;;#ASMEND
	;;#ASMSTART
	v_cvt_f32_f16 v103, v0;
	;;#ASMEND
	flat_load_dwordx2 v[11:12], v[9:10] offset:1792
	flat_load_dword v4, v[26:27]
	v_mov_b32_e32 v5, 0
	v_mov_b32_e32 v6, 0
	s_waitcnt vmcnt(1) lgkmcnt(1)
	v_cmp_ne_u16_sdwa s4, v11, v1 src0_sel:BYTE_0 src1_sel:DWORD
	s_and_saveexec_b32 s12, s4
	s_cbranch_execz .LBB325_1525
; %bb.1518:                             ;   in Loop: Header=BB325_1055 Depth=1
	v_cmp_ne_u16_sdwa s4, v11, v16 src0_sel:BYTE_0 src1_sel:DWORD
	v_mov_b32_e32 v6, 0x8000
	s_and_saveexec_b32 s13, s4
	s_cbranch_execz .LBB325_1524
; %bb.1519:                             ;   in Loop: Header=BB325_1055 Depth=1
	v_and_b32_e32 v22, 0x7f, v11
	v_mov_b32_e32 v6, 0x7c01
	s_mov_b32 s15, exec_lo
	v_cmpx_ne_u32_e32 0x7f, v22
	s_cbranch_execz .LBB325_1523
; %bb.1520:                             ;   in Loop: Header=BB325_1055 Depth=1
	v_and_b32_e32 v0, 7, v11
	v_lshrrev_b32_e32 v6, 3, v22
	s_mov_b32 s18, exec_lo
	v_cmpx_gt_u32_e32 8, v22
; %bb.1521:                             ;   in Loop: Header=BB325_1055 Depth=1
	v_ffbh_u32_e32 v0, v0
	v_min_u32_e32 v0, 32, v0
	v_subrev_nc_u32_e32 v6, 28, v0
	v_lshlrev_b64 v[22:23], v6, v[11:12]
	v_sub_nc_u32_e32 v6, 29, v0
	v_and_b32_e32 v0, 7, v22
; %bb.1522:                             ;   in Loop: Header=BB325_1055 Depth=1
	s_or_b32 exec_lo, exec_lo, s18
	v_lshlrev_b32_e32 v22, 8, v11
	v_lshl_add_u32 v6, v6, 10, 0x2000
	v_lshlrev_b32_e32 v0, 7, v0
	v_and_b32_e32 v22, 0x8000, v22
	v_and_b32_e32 v6, 0xfc00, v6
	v_or3_b32 v6, v22, v6, v0
.LBB325_1523:                           ;   in Loop: Header=BB325_1055 Depth=1
	s_or_b32 exec_lo, exec_lo, s15
.LBB325_1524:                           ;   in Loop: Header=BB325_1055 Depth=1
	s_or_b32 exec_lo, exec_lo, s13
.LBB325_1525:                           ;   in Loop: Header=BB325_1055 Depth=1
	s_or_b32 exec_lo, exec_lo, s12
	v_lshrrev_b16 v0, 8, v11
	s_mov_b32 s12, exec_lo
	v_cmpx_ne_u16_e32 0, v0
	s_cbranch_execz .LBB325_1533
; %bb.1526:                             ;   in Loop: Header=BB325_1055 Depth=1
	v_bfrev_b32_e32 v5, 1
	s_mov_b32 s13, exec_lo
	v_cmpx_ne_u16_e32 0x80, v0
	s_cbranch_execz .LBB325_1532
; %bb.1527:                             ;   in Loop: Header=BB325_1055 Depth=1
	v_and_b32_sdwa v23, v0, v17 dst_sel:DWORD dst_unused:UNUSED_PAD src0_sel:WORD_0 src1_sel:DWORD
	v_mov_b32_e32 v5, 0x7c010000
	s_mov_b32 s15, exec_lo
	v_cmpx_ne_u32_e32 0x7f, v23
	s_cbranch_execz .LBB325_1531
; %bb.1528:                             ;   in Loop: Header=BB325_1055 Depth=1
	v_and_b32_sdwa v5, v0, v37 dst_sel:DWORD dst_unused:UNUSED_PAD src0_sel:WORD_0 src1_sel:DWORD
	v_lshrrev_b32_e32 v22, 3, v23
	s_mov_b32 s18, exec_lo
	v_cmpx_gt_u32_e32 8, v23
; %bb.1529:                             ;   in Loop: Header=BB325_1055 Depth=1
	v_ffbh_u32_e32 v5, v5
	v_min_u32_e32 v5, 32, v5
	v_subrev_nc_u32_e32 v22, 28, v5
	v_lshlrev_b64 v[32:33], v22, v[0:1]
	v_sub_nc_u32_e32 v22, 29, v5
	v_and_b32_e32 v5, 7, v32
; %bb.1530:                             ;   in Loop: Header=BB325_1055 Depth=1
	s_or_b32 exec_lo, exec_lo, s18
	v_lshlrev_b32_sdwa v0, v54, v0 dst_sel:DWORD dst_unused:UNUSED_PAD src0_sel:DWORD src1_sel:WORD_0
	v_lshl_add_u32 v22, v22, 10, 0x2000
	v_lshlrev_b32_e32 v5, 23, v5
	v_and_or_b32 v0, 0x8000, v0, v22
	v_lshl_or_b32 v5, v0, 16, v5
.LBB325_1531:                           ;   in Loop: Header=BB325_1055 Depth=1
	s_or_b32 exec_lo, exec_lo, s15
.LBB325_1532:                           ;   in Loop: Header=BB325_1055 Depth=1
	s_or_b32 exec_lo, exec_lo, s13
.LBB325_1533:                           ;   in Loop: Header=BB325_1055 Depth=1
	s_or_b32 exec_lo, exec_lo, s12
	v_lshrrev_b32_e32 v0, 16, v11
	v_mov_b32_e32 v22, 0
	v_mov_b32_e32 v23, 0
	v_cmp_ne_u16_sdwa s4, v0, v1 src0_sel:BYTE_0 src1_sel:DWORD
	s_and_saveexec_b32 s12, s4
	s_cbranch_execz .LBB325_1541
; %bb.1534:                             ;   in Loop: Header=BB325_1055 Depth=1
	v_cmp_ne_u16_sdwa s4, v0, v16 src0_sel:BYTE_0 src1_sel:DWORD
	v_mov_b32_e32 v23, 0x8000
	s_and_saveexec_b32 s13, s4
	s_cbranch_execz .LBB325_1540
; %bb.1535:                             ;   in Loop: Header=BB325_1055 Depth=1
	v_bfe_u32 v33, v11, 16, 7
	v_mov_b32_e32 v23, 0x7c01
	s_mov_b32 s15, exec_lo
	v_cmpx_ne_u32_e32 0x7f, v33
	s_cbranch_execz .LBB325_1539
; %bb.1536:                             ;   in Loop: Header=BB325_1055 Depth=1
	v_and_b32_e32 v23, 7, v0
	v_lshrrev_b32_e32 v32, 3, v33
	s_mov_b32 s18, exec_lo
	v_cmpx_gt_u32_e32 8, v33
; %bb.1537:                             ;   in Loop: Header=BB325_1055 Depth=1
	v_ffbh_u32_e32 v23, v23
	v_min_u32_e32 v23, 32, v23
	v_subrev_nc_u32_e32 v32, 28, v23
	v_lshlrev_b64 v[112:113], v32, v[0:1]
	v_sub_nc_u32_e32 v32, 29, v23
	v_and_b32_e32 v23, 7, v112
; %bb.1538:                             ;   in Loop: Header=BB325_1055 Depth=1
	s_or_b32 exec_lo, exec_lo, s18
	v_lshlrev_b32_e32 v0, 8, v0
	v_lshl_add_u32 v32, v32, 10, 0x2000
	v_lshlrev_b32_e32 v23, 7, v23
	v_and_b32_e32 v0, 0x8000, v0
	v_and_b32_e32 v32, 0xfc00, v32
	v_or3_b32 v23, v0, v32, v23
.LBB325_1539:                           ;   in Loop: Header=BB325_1055 Depth=1
	s_or_b32 exec_lo, exec_lo, s15
.LBB325_1540:                           ;   in Loop: Header=BB325_1055 Depth=1
	s_or_b32 exec_lo, exec_lo, s13
.LBB325_1541:                           ;   in Loop: Header=BB325_1055 Depth=1
	s_or_b32 exec_lo, exec_lo, s12
	s_mov_b32 s12, exec_lo
	v_cmpx_lt_u32_e32 0xffffff, v11
	s_cbranch_execz .LBB325_1549
; %bb.1542:                             ;   in Loop: Header=BB325_1055 Depth=1
	v_lshrrev_b32_e32 v0, 24, v11
	v_bfrev_b32_e32 v22, 1
	s_mov_b32 s13, exec_lo
	v_cmpx_ne_u32_e32 0x80, v0
	s_cbranch_execz .LBB325_1548
; %bb.1543:                             ;   in Loop: Header=BB325_1055 Depth=1
	v_and_b32_e32 v33, 0x7f, v0
	v_mov_b32_e32 v22, 0x7c010000
	s_mov_b32 s15, exec_lo
	v_cmpx_ne_u32_e32 0x7f, v33
	s_cbranch_execz .LBB325_1547
; %bb.1544:                             ;   in Loop: Header=BB325_1055 Depth=1
	v_and_b32_e32 v22, 7, v0
	v_lshrrev_b32_e32 v32, 3, v33
	s_mov_b32 s18, exec_lo
	v_cmpx_gt_u32_e32 8, v33
; %bb.1545:                             ;   in Loop: Header=BB325_1055 Depth=1
	v_ffbh_u32_e32 v22, v22
	v_min_u32_e32 v22, 32, v22
	v_subrev_nc_u32_e32 v32, 28, v22
	v_lshlrev_b64 v[112:113], v32, v[0:1]
	v_sub_nc_u32_e32 v32, 29, v22
	v_and_b32_e32 v22, 7, v112
; %bb.1546:                             ;   in Loop: Header=BB325_1055 Depth=1
	s_or_b32 exec_lo, exec_lo, s18
	v_lshlrev_b32_e32 v0, 8, v0
	v_lshl_add_u32 v32, v32, 10, 0x2000
	v_lshlrev_b32_e32 v22, 23, v22
	v_and_or_b32 v0, 0x8000, v0, v32
	v_lshl_or_b32 v22, v0, 16, v22
.LBB325_1547:                           ;   in Loop: Header=BB325_1055 Depth=1
	s_or_b32 exec_lo, exec_lo, s15
.LBB325_1548:                           ;   in Loop: Header=BB325_1055 Depth=1
	s_or_b32 exec_lo, exec_lo, s13
.LBB325_1549:                           ;   in Loop: Header=BB325_1055 Depth=1
	s_or_b32 exec_lo, exec_lo, s12
	v_mov_b32_e32 v0, v12
	v_cmp_ne_u16_sdwa s4, v12, v1 src0_sel:BYTE_0 src1_sel:DWORD
	v_mov_b32_e32 v32, 0
	v_mov_b32_e32 v33, 0
	s_and_saveexec_b32 s12, s4
	s_cbranch_execz .LBB325_1557
; %bb.1550:                             ;   in Loop: Header=BB325_1055 Depth=1
	v_cmp_ne_u16_sdwa s4, v12, v16 src0_sel:BYTE_0 src1_sel:DWORD
	v_mov_b32_e32 v33, 0x8000
	s_and_saveexec_b32 s13, s4
	s_cbranch_execz .LBB325_1556
; %bb.1551:                             ;   in Loop: Header=BB325_1055 Depth=1
	v_and_b32_e32 v112, 0x7f, v12
	v_mov_b32_e32 v33, 0x7c01
	s_mov_b32 s15, exec_lo
	v_cmpx_ne_u32_e32 0x7f, v112
	s_cbranch_execz .LBB325_1555
; %bb.1552:                             ;   in Loop: Header=BB325_1055 Depth=1
	v_and_b32_e32 v33, 7, v12
	v_lshrrev_b32_e32 v35, 3, v112
	s_mov_b32 s18, exec_lo
	v_cmpx_gt_u32_e32 8, v112
; %bb.1553:                             ;   in Loop: Header=BB325_1055 Depth=1
	v_ffbh_u32_e32 v33, v33
	v_min_u32_e32 v33, 32, v33
	v_subrev_nc_u32_e32 v35, 28, v33
	v_lshlrev_b64 v[112:113], v35, v[0:1]
	v_sub_nc_u32_e32 v35, 29, v33
	v_and_b32_e32 v33, 7, v112
; %bb.1554:                             ;   in Loop: Header=BB325_1055 Depth=1
	s_or_b32 exec_lo, exec_lo, s18
	v_lshlrev_b32_e32 v112, 8, v12
	v_lshl_add_u32 v35, v35, 10, 0x2000
	v_lshlrev_b32_e32 v33, 7, v33
	v_and_b32_e32 v112, 0x8000, v112
	v_and_b32_e32 v35, 0xfc00, v35
	v_or3_b32 v33, v112, v35, v33
.LBB325_1555:                           ;   in Loop: Header=BB325_1055 Depth=1
	s_or_b32 exec_lo, exec_lo, s15
.LBB325_1556:                           ;   in Loop: Header=BB325_1055 Depth=1
	s_or_b32 exec_lo, exec_lo, s13
.LBB325_1557:                           ;   in Loop: Header=BB325_1055 Depth=1
	s_or_b32 exec_lo, exec_lo, s12
	v_lshrrev_b16 v0, 8, v0
	v_mov_b32_e32 v35, 0
	s_mov_b32 s12, exec_lo
	v_cmpx_ne_u16_e32 0, v0
	s_cbranch_execz .LBB325_1565
; %bb.1558:                             ;   in Loop: Header=BB325_1055 Depth=1
	v_bfrev_b32_e32 v35, 1
	s_mov_b32 s13, exec_lo
	v_cmpx_ne_u16_e32 0x80, v0
	s_cbranch_execz .LBB325_1564
; %bb.1559:                             ;   in Loop: Header=BB325_1055 Depth=1
	v_and_b32_sdwa v113, v0, v17 dst_sel:DWORD dst_unused:UNUSED_PAD src0_sel:WORD_0 src1_sel:DWORD
	v_mov_b32_e32 v35, 0x7c010000
	s_mov_b32 s15, exec_lo
	v_cmpx_ne_u32_e32 0x7f, v113
	s_cbranch_execz .LBB325_1563
; %bb.1560:                             ;   in Loop: Header=BB325_1055 Depth=1
	v_and_b32_sdwa v35, v0, v37 dst_sel:DWORD dst_unused:UNUSED_PAD src0_sel:WORD_0 src1_sel:DWORD
	v_lshrrev_b32_e32 v112, 3, v113
	s_mov_b32 s18, exec_lo
	v_cmpx_gt_u32_e32 8, v113
; %bb.1561:                             ;   in Loop: Header=BB325_1055 Depth=1
	v_ffbh_u32_e32 v35, v35
	v_min_u32_e32 v35, 32, v35
	v_subrev_nc_u32_e32 v112, 28, v35
	v_lshlrev_b64 v[113:114], v112, v[0:1]
	v_sub_nc_u32_e32 v112, 29, v35
	v_and_b32_e32 v35, 7, v113
; %bb.1562:                             ;   in Loop: Header=BB325_1055 Depth=1
	s_or_b32 exec_lo, exec_lo, s18
	v_lshlrev_b32_sdwa v0, v54, v0 dst_sel:DWORD dst_unused:UNUSED_PAD src0_sel:DWORD src1_sel:WORD_0
	v_lshl_add_u32 v112, v112, 10, 0x2000
	v_lshlrev_b32_e32 v35, 23, v35
	v_and_or_b32 v0, 0x8000, v0, v112
	v_lshl_or_b32 v35, v0, 16, v35
.LBB325_1563:                           ;   in Loop: Header=BB325_1055 Depth=1
	s_or_b32 exec_lo, exec_lo, s15
.LBB325_1564:                           ;   in Loop: Header=BB325_1055 Depth=1
	s_or_b32 exec_lo, exec_lo, s13
.LBB325_1565:                           ;   in Loop: Header=BB325_1055 Depth=1
	s_or_b32 exec_lo, exec_lo, s12
	v_lshrrev_b32_e32 v0, 16, v12
	v_cmp_ne_u16_sdwa s4, v0, v1 src0_sel:BYTE_0 src1_sel:DWORD
	s_and_saveexec_b32 s12, s4
	s_cbranch_execz .LBB325_1573
; %bb.1566:                             ;   in Loop: Header=BB325_1055 Depth=1
	v_cmp_ne_u16_sdwa s4, v0, v16 src0_sel:BYTE_0 src1_sel:DWORD
	v_mov_b32_e32 v32, 0x8000
	s_and_saveexec_b32 s13, s4
	s_cbranch_execz .LBB325_1572
; %bb.1567:                             ;   in Loop: Header=BB325_1055 Depth=1
	v_bfe_u32 v113, v12, 16, 7
	v_mov_b32_e32 v32, 0x7c01
	s_mov_b32 s15, exec_lo
	v_cmpx_ne_u32_e32 0x7f, v113
	s_cbranch_execz .LBB325_1571
; %bb.1568:                             ;   in Loop: Header=BB325_1055 Depth=1
	v_and_b32_e32 v32, 7, v0
	v_lshrrev_b32_e32 v112, 3, v113
	s_mov_b32 s18, exec_lo
	v_cmpx_gt_u32_e32 8, v113
; %bb.1569:                             ;   in Loop: Header=BB325_1055 Depth=1
	v_ffbh_u32_e32 v32, v32
	v_min_u32_e32 v32, 32, v32
	v_subrev_nc_u32_e32 v112, 28, v32
	v_lshlrev_b64 v[113:114], v112, v[0:1]
	v_sub_nc_u32_e32 v112, 29, v32
	v_and_b32_e32 v32, 7, v113
; %bb.1570:                             ;   in Loop: Header=BB325_1055 Depth=1
	s_or_b32 exec_lo, exec_lo, s18
	v_lshlrev_b32_e32 v0, 8, v0
	v_lshl_add_u32 v112, v112, 10, 0x2000
	v_lshlrev_b32_e32 v32, 7, v32
	v_and_b32_e32 v0, 0x8000, v0
	v_and_b32_e32 v112, 0xfc00, v112
	v_or3_b32 v32, v0, v112, v32
.LBB325_1571:                           ;   in Loop: Header=BB325_1055 Depth=1
	s_or_b32 exec_lo, exec_lo, s15
.LBB325_1572:                           ;   in Loop: Header=BB325_1055 Depth=1
	s_or_b32 exec_lo, exec_lo, s13
.LBB325_1573:                           ;   in Loop: Header=BB325_1055 Depth=1
	s_or_b32 exec_lo, exec_lo, s12
	v_cmp_lt_u64_e64 s4, s[8:9], v[11:12]
	v_mov_b32_e32 v11, 0
	s_and_saveexec_b32 s12, s4
	s_cbranch_execz .LBB325_1581
; %bb.1574:                             ;   in Loop: Header=BB325_1055 Depth=1
	v_lshrrev_b32_e32 v0, 24, v12
	v_bfrev_b32_e32 v11, 1
	s_mov_b32 s13, exec_lo
	v_cmpx_ne_u32_e32 0x80, v0
	s_cbranch_execz .LBB325_1580
; %bb.1575:                             ;   in Loop: Header=BB325_1055 Depth=1
	v_and_b32_e32 v112, 0x7f, v0
	v_mov_b32_e32 v11, 0x7c010000
	s_mov_b32 s15, exec_lo
	v_cmpx_ne_u32_e32 0x7f, v112
	s_cbranch_execz .LBB325_1579
; %bb.1576:                             ;   in Loop: Header=BB325_1055 Depth=1
	v_and_b32_e32 v11, 7, v0
	v_lshrrev_b32_e32 v12, 3, v112
	s_mov_b32 s18, exec_lo
	v_cmpx_gt_u32_e32 8, v112
; %bb.1577:                             ;   in Loop: Header=BB325_1055 Depth=1
	v_ffbh_u32_e32 v11, v11
	v_min_u32_e32 v112, 32, v11
	v_subrev_nc_u32_e32 v11, 28, v112
	v_lshlrev_b64 v[11:12], v11, v[0:1]
	v_sub_nc_u32_e32 v12, 29, v112
	v_and_b32_e32 v11, 7, v11
; %bb.1578:                             ;   in Loop: Header=BB325_1055 Depth=1
	s_or_b32 exec_lo, exec_lo, s18
	v_lshlrev_b32_e32 v0, 8, v0
	v_lshl_add_u32 v12, v12, 10, 0x2000
	v_lshlrev_b32_e32 v11, 23, v11
	v_and_or_b32 v0, 0x8000, v0, v12
	v_lshl_or_b32 v11, v0, 16, v11
.LBB325_1579:                           ;   in Loop: Header=BB325_1055 Depth=1
	s_or_b32 exec_lo, exec_lo, s15
.LBB325_1580:                           ;   in Loop: Header=BB325_1055 Depth=1
	s_or_b32 exec_lo, exec_lo, s13
.LBB325_1581:                           ;   in Loop: Header=BB325_1055 Depth=1
	s_or_b32 exec_lo, exec_lo, s12
	v_or_b32_e32 v0, v22, v23
	s_waitcnt vmcnt(0) lgkmcnt(0)
	v_fma_mixlo_f16 v12, v4, v22, 0 op_sel:[0,1,0] op_sel_hi:[0,1,0]
	v_or_b32_e32 v6, v5, v6
	v_fma_mixlo_f16 v5, v4, v5, 0 op_sel:[0,1,0] op_sel_hi:[0,1,0]
	v_or_b32_e32 v22, v35, v33
	v_fma_mixlo_f16 v23, v4, v0, 0 op_sel_hi:[0,1,0]
	v_or_b32_e32 v32, v11, v32
	v_lshlrev_b32_e32 v0, 16, v12
	v_lshlrev_b32_e32 v12, 16, v5
	v_fma_mixlo_f16 v6, v4, v6, 0 op_sel_hi:[0,1,0]
	v_and_b32_e32 v5, 0xffff, v23
	v_fma_mixlo_f16 v23, v4, v35, 0 op_sel:[0,1,0] op_sel_hi:[0,1,0]
	v_fma_mixlo_f16 v22, v4, v22, 0 op_sel_hi:[0,1,0]
	v_fma_mixlo_f16 v11, v4, v11, 0 op_sel:[0,1,0] op_sel_hi:[0,1,0]
	v_fma_mixlo_f16 v32, v4, v32, 0 op_sel_hi:[0,1,0]
	v_and_b32_e32 v112, 0xffff, v6
	v_lshlrev_b32_e32 v6, 16, v23
	v_and_b32_e32 v23, 0xffff, v22
	v_lshlrev_b32_e32 v4, 16, v11
	v_and_b32_e32 v11, 0xffff, v32
	v_or_b32_e32 v22, v0, v5
	v_or_b32_e32 v35, v12, v112
	;; [unrolled: 1-line block ×4, first 2 shown]
	s_and_saveexec_b32 s12, vcc_lo
	s_cbranch_execz .LBB325_1583
; %bb.1582:                             ;   in Loop: Header=BB325_1055 Depth=1
	v_cmp_lt_i32_e64 s4, v55, v34
	v_cndmask_b32_e64 v22, 0, v112, s4
	v_cmp_lt_i32_e64 s4, v83, v34
	v_cndmask_b32_e64 v12, 0, v12, s4
	v_cmp_lt_i32_e64 s4, v82, v34
	v_or_b32_e32 v35, v22, v12
	v_cndmask_b32_e64 v5, 0, v5, s4
	v_cmp_lt_i32_e64 s4, v81, v34
	v_cndmask_b32_e64 v0, 0, v0, s4
	v_cmp_lt_i32_e64 s4, v80, v34
	v_or_b32_e32 v22, v5, v0
	;; [unrolled: 5-line block ×3, first 2 shown]
	v_cndmask_b32_e64 v11, 0, v11, s4
	v_cmp_lt_i32_e64 s4, v14, v34
	v_cndmask_b32_e64 v4, 0, v4, s4
	v_or_b32_e32 v32, v11, v4
.LBB325_1583:                           ;   in Loop: Header=BB325_1055 Depth=1
	s_or_b32 exec_lo, exec_lo, s12
	v_add_co_u32 v9, s4, 0x800, v9
	v_add_co_ci_u32_e64 v10, null, 0, v10, s4
	;;#ASMSTART
	v_pk_mul_f16 v0, v68, v35;

	;;#ASMEND
	;;#ASMSTART
	v_pk_mul_f16 v4, v66, v22;

	;;#ASMEND
	;; [unrolled: 4-line block ×4, first 2 shown]
	;;#ASMSTART
	v_pk_add_f16 v0, v0, v4;

	;;#ASMEND
	;;#ASMSTART
	v_pk_add_f16 v0, v0, v5;

	;;#ASMEND
	;; [unrolled: 4-line block ×3, first 2 shown]
	v_lshrrev_b32_e32 v4, 16, v0
	v_and_b32_e32 v0, 0xffff, v0
	;;#ASMSTART
	v_cvt_f32_f16 v112, v0;
	;;#ASMEND
	;;#ASMSTART
	v_cvt_f32_f16 v113, v4;
	;;#ASMEND
	flat_load_dwordx2 v[11:12], v[9:10]
	flat_load_dword v4, v[26:27]
	v_mov_b32_e32 v5, 0
	v_mov_b32_e32 v6, 0
	s_waitcnt vmcnt(1) lgkmcnt(1)
	v_cmp_ne_u16_sdwa s4, v11, v1 src0_sel:BYTE_0 src1_sel:DWORD
	s_and_saveexec_b32 s12, s4
	s_cbranch_execz .LBB325_1591
; %bb.1584:                             ;   in Loop: Header=BB325_1055 Depth=1
	v_cmp_ne_u16_sdwa s4, v11, v16 src0_sel:BYTE_0 src1_sel:DWORD
	v_mov_b32_e32 v6, 0x8000
	s_and_saveexec_b32 s13, s4
	s_cbranch_execz .LBB325_1590
; %bb.1585:                             ;   in Loop: Header=BB325_1055 Depth=1
	v_and_b32_e32 v22, 0x7f, v11
	v_mov_b32_e32 v6, 0x7c01
	s_mov_b32 s15, exec_lo
	v_cmpx_ne_u32_e32 0x7f, v22
	s_cbranch_execz .LBB325_1589
; %bb.1586:                             ;   in Loop: Header=BB325_1055 Depth=1
	v_and_b32_e32 v0, 7, v11
	v_lshrrev_b32_e32 v6, 3, v22
	s_mov_b32 s18, exec_lo
	v_cmpx_gt_u32_e32 8, v22
; %bb.1587:                             ;   in Loop: Header=BB325_1055 Depth=1
	v_ffbh_u32_e32 v0, v0
	v_min_u32_e32 v0, 32, v0
	v_subrev_nc_u32_e32 v6, 28, v0
	v_lshlrev_b64 v[22:23], v6, v[11:12]
	v_sub_nc_u32_e32 v6, 29, v0
	v_and_b32_e32 v0, 7, v22
; %bb.1588:                             ;   in Loop: Header=BB325_1055 Depth=1
	s_or_b32 exec_lo, exec_lo, s18
	v_lshlrev_b32_e32 v22, 8, v11
	v_lshl_add_u32 v6, v6, 10, 0x2000
	v_lshlrev_b32_e32 v0, 7, v0
	v_and_b32_e32 v22, 0x8000, v22
	v_and_b32_e32 v6, 0xfc00, v6
	v_or3_b32 v6, v22, v6, v0
.LBB325_1589:                           ;   in Loop: Header=BB325_1055 Depth=1
	s_or_b32 exec_lo, exec_lo, s15
.LBB325_1590:                           ;   in Loop: Header=BB325_1055 Depth=1
	s_or_b32 exec_lo, exec_lo, s13
.LBB325_1591:                           ;   in Loop: Header=BB325_1055 Depth=1
	s_or_b32 exec_lo, exec_lo, s12
	v_lshrrev_b16 v0, 8, v11
	s_mov_b32 s12, exec_lo
	v_cmpx_ne_u16_e32 0, v0
	s_cbranch_execz .LBB325_1599
; %bb.1592:                             ;   in Loop: Header=BB325_1055 Depth=1
	v_bfrev_b32_e32 v5, 1
	s_mov_b32 s13, exec_lo
	v_cmpx_ne_u16_e32 0x80, v0
	s_cbranch_execz .LBB325_1598
; %bb.1593:                             ;   in Loop: Header=BB325_1055 Depth=1
	v_and_b32_sdwa v23, v0, v17 dst_sel:DWORD dst_unused:UNUSED_PAD src0_sel:WORD_0 src1_sel:DWORD
	v_mov_b32_e32 v5, 0x7c010000
	s_mov_b32 s15, exec_lo
	v_cmpx_ne_u32_e32 0x7f, v23
	s_cbranch_execz .LBB325_1597
; %bb.1594:                             ;   in Loop: Header=BB325_1055 Depth=1
	v_and_b32_sdwa v5, v0, v37 dst_sel:DWORD dst_unused:UNUSED_PAD src0_sel:WORD_0 src1_sel:DWORD
	v_lshrrev_b32_e32 v22, 3, v23
	s_mov_b32 s18, exec_lo
	v_cmpx_gt_u32_e32 8, v23
; %bb.1595:                             ;   in Loop: Header=BB325_1055 Depth=1
	v_ffbh_u32_e32 v5, v5
	v_min_u32_e32 v5, 32, v5
	v_subrev_nc_u32_e32 v22, 28, v5
	v_lshlrev_b64 v[32:33], v22, v[0:1]
	v_sub_nc_u32_e32 v22, 29, v5
	v_and_b32_e32 v5, 7, v32
; %bb.1596:                             ;   in Loop: Header=BB325_1055 Depth=1
	s_or_b32 exec_lo, exec_lo, s18
	v_lshlrev_b32_sdwa v0, v54, v0 dst_sel:DWORD dst_unused:UNUSED_PAD src0_sel:DWORD src1_sel:WORD_0
	v_lshl_add_u32 v22, v22, 10, 0x2000
	v_lshlrev_b32_e32 v5, 23, v5
	v_and_or_b32 v0, 0x8000, v0, v22
	v_lshl_or_b32 v5, v0, 16, v5
.LBB325_1597:                           ;   in Loop: Header=BB325_1055 Depth=1
	s_or_b32 exec_lo, exec_lo, s15
.LBB325_1598:                           ;   in Loop: Header=BB325_1055 Depth=1
	s_or_b32 exec_lo, exec_lo, s13
.LBB325_1599:                           ;   in Loop: Header=BB325_1055 Depth=1
	s_or_b32 exec_lo, exec_lo, s12
	v_lshrrev_b32_e32 v0, 16, v11
	v_mov_b32_e32 v22, 0
	v_mov_b32_e32 v23, 0
	v_cmp_ne_u16_sdwa s4, v0, v1 src0_sel:BYTE_0 src1_sel:DWORD
	s_and_saveexec_b32 s12, s4
	s_cbranch_execz .LBB325_1607
; %bb.1600:                             ;   in Loop: Header=BB325_1055 Depth=1
	v_cmp_ne_u16_sdwa s4, v0, v16 src0_sel:BYTE_0 src1_sel:DWORD
	v_mov_b32_e32 v23, 0x8000
	s_and_saveexec_b32 s13, s4
	s_cbranch_execz .LBB325_1606
; %bb.1601:                             ;   in Loop: Header=BB325_1055 Depth=1
	v_bfe_u32 v33, v11, 16, 7
	v_mov_b32_e32 v23, 0x7c01
	s_mov_b32 s15, exec_lo
	v_cmpx_ne_u32_e32 0x7f, v33
	s_cbranch_execz .LBB325_1605
; %bb.1602:                             ;   in Loop: Header=BB325_1055 Depth=1
	v_and_b32_e32 v23, 7, v0
	v_lshrrev_b32_e32 v32, 3, v33
	s_mov_b32 s18, exec_lo
	v_cmpx_gt_u32_e32 8, v33
; %bb.1603:                             ;   in Loop: Header=BB325_1055 Depth=1
	v_ffbh_u32_e32 v23, v23
	v_min_u32_e32 v23, 32, v23
	v_subrev_nc_u32_e32 v32, 28, v23
	v_lshlrev_b64 v[114:115], v32, v[0:1]
	v_sub_nc_u32_e32 v32, 29, v23
	v_and_b32_e32 v23, 7, v114
; %bb.1604:                             ;   in Loop: Header=BB325_1055 Depth=1
	s_or_b32 exec_lo, exec_lo, s18
	v_lshlrev_b32_e32 v0, 8, v0
	v_lshl_add_u32 v32, v32, 10, 0x2000
	v_lshlrev_b32_e32 v23, 7, v23
	v_and_b32_e32 v0, 0x8000, v0
	v_and_b32_e32 v32, 0xfc00, v32
	v_or3_b32 v23, v0, v32, v23
.LBB325_1605:                           ;   in Loop: Header=BB325_1055 Depth=1
	s_or_b32 exec_lo, exec_lo, s15
.LBB325_1606:                           ;   in Loop: Header=BB325_1055 Depth=1
	s_or_b32 exec_lo, exec_lo, s13
.LBB325_1607:                           ;   in Loop: Header=BB325_1055 Depth=1
	s_or_b32 exec_lo, exec_lo, s12
	s_mov_b32 s12, exec_lo
	v_cmpx_lt_u32_e32 0xffffff, v11
	s_cbranch_execz .LBB325_1615
; %bb.1608:                             ;   in Loop: Header=BB325_1055 Depth=1
	v_lshrrev_b32_e32 v0, 24, v11
	v_bfrev_b32_e32 v22, 1
	s_mov_b32 s13, exec_lo
	v_cmpx_ne_u32_e32 0x80, v0
	s_cbranch_execz .LBB325_1614
; %bb.1609:                             ;   in Loop: Header=BB325_1055 Depth=1
	v_and_b32_e32 v33, 0x7f, v0
	v_mov_b32_e32 v22, 0x7c010000
	s_mov_b32 s15, exec_lo
	v_cmpx_ne_u32_e32 0x7f, v33
	s_cbranch_execz .LBB325_1613
; %bb.1610:                             ;   in Loop: Header=BB325_1055 Depth=1
	v_and_b32_e32 v22, 7, v0
	v_lshrrev_b32_e32 v32, 3, v33
	s_mov_b32 s18, exec_lo
	v_cmpx_gt_u32_e32 8, v33
; %bb.1611:                             ;   in Loop: Header=BB325_1055 Depth=1
	v_ffbh_u32_e32 v22, v22
	v_min_u32_e32 v22, 32, v22
	v_subrev_nc_u32_e32 v32, 28, v22
	v_lshlrev_b64 v[114:115], v32, v[0:1]
	v_sub_nc_u32_e32 v32, 29, v22
	v_and_b32_e32 v22, 7, v114
; %bb.1612:                             ;   in Loop: Header=BB325_1055 Depth=1
	s_or_b32 exec_lo, exec_lo, s18
	v_lshlrev_b32_e32 v0, 8, v0
	v_lshl_add_u32 v32, v32, 10, 0x2000
	v_lshlrev_b32_e32 v22, 23, v22
	v_and_or_b32 v0, 0x8000, v0, v32
	v_lshl_or_b32 v22, v0, 16, v22
.LBB325_1613:                           ;   in Loop: Header=BB325_1055 Depth=1
	s_or_b32 exec_lo, exec_lo, s15
.LBB325_1614:                           ;   in Loop: Header=BB325_1055 Depth=1
	s_or_b32 exec_lo, exec_lo, s13
.LBB325_1615:                           ;   in Loop: Header=BB325_1055 Depth=1
	s_or_b32 exec_lo, exec_lo, s12
	v_mov_b32_e32 v0, v12
	v_cmp_ne_u16_sdwa s4, v12, v1 src0_sel:BYTE_0 src1_sel:DWORD
	v_mov_b32_e32 v32, 0
	v_mov_b32_e32 v33, 0
	s_and_saveexec_b32 s12, s4
	s_cbranch_execz .LBB325_1623
; %bb.1616:                             ;   in Loop: Header=BB325_1055 Depth=1
	v_cmp_ne_u16_sdwa s4, v12, v16 src0_sel:BYTE_0 src1_sel:DWORD
	v_mov_b32_e32 v33, 0x8000
	s_and_saveexec_b32 s13, s4
	s_cbranch_execz .LBB325_1622
; %bb.1617:                             ;   in Loop: Header=BB325_1055 Depth=1
	v_and_b32_e32 v114, 0x7f, v12
	v_mov_b32_e32 v33, 0x7c01
	s_mov_b32 s15, exec_lo
	v_cmpx_ne_u32_e32 0x7f, v114
	s_cbranch_execz .LBB325_1621
; %bb.1618:                             ;   in Loop: Header=BB325_1055 Depth=1
	v_and_b32_e32 v33, 7, v12
	v_lshrrev_b32_e32 v35, 3, v114
	s_mov_b32 s18, exec_lo
	v_cmpx_gt_u32_e32 8, v114
; %bb.1619:                             ;   in Loop: Header=BB325_1055 Depth=1
	v_ffbh_u32_e32 v33, v33
	v_min_u32_e32 v33, 32, v33
	v_subrev_nc_u32_e32 v35, 28, v33
	v_lshlrev_b64 v[114:115], v35, v[0:1]
	v_sub_nc_u32_e32 v35, 29, v33
	v_and_b32_e32 v33, 7, v114
; %bb.1620:                             ;   in Loop: Header=BB325_1055 Depth=1
	s_or_b32 exec_lo, exec_lo, s18
	v_lshlrev_b32_e32 v114, 8, v12
	v_lshl_add_u32 v35, v35, 10, 0x2000
	v_lshlrev_b32_e32 v33, 7, v33
	v_and_b32_e32 v114, 0x8000, v114
	v_and_b32_e32 v35, 0xfc00, v35
	v_or3_b32 v33, v114, v35, v33
.LBB325_1621:                           ;   in Loop: Header=BB325_1055 Depth=1
	s_or_b32 exec_lo, exec_lo, s15
.LBB325_1622:                           ;   in Loop: Header=BB325_1055 Depth=1
	s_or_b32 exec_lo, exec_lo, s13
.LBB325_1623:                           ;   in Loop: Header=BB325_1055 Depth=1
	s_or_b32 exec_lo, exec_lo, s12
	v_lshrrev_b16 v0, 8, v0
	v_mov_b32_e32 v35, 0
	s_mov_b32 s12, exec_lo
	v_cmpx_ne_u16_e32 0, v0
	s_cbranch_execz .LBB325_1631
; %bb.1624:                             ;   in Loop: Header=BB325_1055 Depth=1
	v_bfrev_b32_e32 v35, 1
	s_mov_b32 s13, exec_lo
	v_cmpx_ne_u16_e32 0x80, v0
	s_cbranch_execz .LBB325_1630
; %bb.1625:                             ;   in Loop: Header=BB325_1055 Depth=1
	v_and_b32_sdwa v115, v0, v17 dst_sel:DWORD dst_unused:UNUSED_PAD src0_sel:WORD_0 src1_sel:DWORD
	v_mov_b32_e32 v35, 0x7c010000
	s_mov_b32 s15, exec_lo
	v_cmpx_ne_u32_e32 0x7f, v115
	s_cbranch_execz .LBB325_1629
; %bb.1626:                             ;   in Loop: Header=BB325_1055 Depth=1
	v_and_b32_sdwa v35, v0, v37 dst_sel:DWORD dst_unused:UNUSED_PAD src0_sel:WORD_0 src1_sel:DWORD
	v_lshrrev_b32_e32 v114, 3, v115
	s_mov_b32 s18, exec_lo
	v_cmpx_gt_u32_e32 8, v115
; %bb.1627:                             ;   in Loop: Header=BB325_1055 Depth=1
	v_ffbh_u32_e32 v35, v35
	v_min_u32_e32 v35, 32, v35
	v_subrev_nc_u32_e32 v114, 28, v35
	v_lshlrev_b64 v[115:116], v114, v[0:1]
	v_sub_nc_u32_e32 v114, 29, v35
	v_and_b32_e32 v35, 7, v115
; %bb.1628:                             ;   in Loop: Header=BB325_1055 Depth=1
	s_or_b32 exec_lo, exec_lo, s18
	v_lshlrev_b32_sdwa v0, v54, v0 dst_sel:DWORD dst_unused:UNUSED_PAD src0_sel:DWORD src1_sel:WORD_0
	v_lshl_add_u32 v114, v114, 10, 0x2000
	v_lshlrev_b32_e32 v35, 23, v35
	v_and_or_b32 v0, 0x8000, v0, v114
	v_lshl_or_b32 v35, v0, 16, v35
.LBB325_1629:                           ;   in Loop: Header=BB325_1055 Depth=1
	s_or_b32 exec_lo, exec_lo, s15
.LBB325_1630:                           ;   in Loop: Header=BB325_1055 Depth=1
	s_or_b32 exec_lo, exec_lo, s13
.LBB325_1631:                           ;   in Loop: Header=BB325_1055 Depth=1
	s_or_b32 exec_lo, exec_lo, s12
	v_lshrrev_b32_e32 v0, 16, v12
	v_cmp_ne_u16_sdwa s4, v0, v1 src0_sel:BYTE_0 src1_sel:DWORD
	s_and_saveexec_b32 s12, s4
	s_cbranch_execz .LBB325_1639
; %bb.1632:                             ;   in Loop: Header=BB325_1055 Depth=1
	v_cmp_ne_u16_sdwa s4, v0, v16 src0_sel:BYTE_0 src1_sel:DWORD
	v_mov_b32_e32 v32, 0x8000
	s_and_saveexec_b32 s13, s4
	s_cbranch_execz .LBB325_1638
; %bb.1633:                             ;   in Loop: Header=BB325_1055 Depth=1
	v_bfe_u32 v115, v12, 16, 7
	v_mov_b32_e32 v32, 0x7c01
	s_mov_b32 s15, exec_lo
	v_cmpx_ne_u32_e32 0x7f, v115
	s_cbranch_execz .LBB325_1637
; %bb.1634:                             ;   in Loop: Header=BB325_1055 Depth=1
	v_and_b32_e32 v32, 7, v0
	v_lshrrev_b32_e32 v114, 3, v115
	s_mov_b32 s18, exec_lo
	v_cmpx_gt_u32_e32 8, v115
; %bb.1635:                             ;   in Loop: Header=BB325_1055 Depth=1
	v_ffbh_u32_e32 v32, v32
	v_min_u32_e32 v32, 32, v32
	v_subrev_nc_u32_e32 v114, 28, v32
	v_lshlrev_b64 v[115:116], v114, v[0:1]
	v_sub_nc_u32_e32 v114, 29, v32
	v_and_b32_e32 v32, 7, v115
; %bb.1636:                             ;   in Loop: Header=BB325_1055 Depth=1
	s_or_b32 exec_lo, exec_lo, s18
	v_lshlrev_b32_e32 v0, 8, v0
	v_lshl_add_u32 v114, v114, 10, 0x2000
	v_lshlrev_b32_e32 v32, 7, v32
	v_and_b32_e32 v0, 0x8000, v0
	v_and_b32_e32 v114, 0xfc00, v114
	v_or3_b32 v32, v0, v114, v32
.LBB325_1637:                           ;   in Loop: Header=BB325_1055 Depth=1
	s_or_b32 exec_lo, exec_lo, s15
.LBB325_1638:                           ;   in Loop: Header=BB325_1055 Depth=1
	s_or_b32 exec_lo, exec_lo, s13
.LBB325_1639:                           ;   in Loop: Header=BB325_1055 Depth=1
	s_or_b32 exec_lo, exec_lo, s12
	v_cmp_lt_u64_e64 s4, s[8:9], v[11:12]
	v_mov_b32_e32 v11, 0
	s_and_saveexec_b32 s12, s4
	s_cbranch_execz .LBB325_1647
; %bb.1640:                             ;   in Loop: Header=BB325_1055 Depth=1
	v_lshrrev_b32_e32 v0, 24, v12
	v_bfrev_b32_e32 v11, 1
	s_mov_b32 s13, exec_lo
	v_cmpx_ne_u32_e32 0x80, v0
	s_cbranch_execz .LBB325_1646
; %bb.1641:                             ;   in Loop: Header=BB325_1055 Depth=1
	v_and_b32_e32 v114, 0x7f, v0
	v_mov_b32_e32 v11, 0x7c010000
	s_mov_b32 s15, exec_lo
	v_cmpx_ne_u32_e32 0x7f, v114
	s_cbranch_execz .LBB325_1645
; %bb.1642:                             ;   in Loop: Header=BB325_1055 Depth=1
	v_and_b32_e32 v11, 7, v0
	v_lshrrev_b32_e32 v12, 3, v114
	s_mov_b32 s18, exec_lo
	v_cmpx_gt_u32_e32 8, v114
; %bb.1643:                             ;   in Loop: Header=BB325_1055 Depth=1
	v_ffbh_u32_e32 v11, v11
	v_min_u32_e32 v114, 32, v11
	v_subrev_nc_u32_e32 v11, 28, v114
	v_lshlrev_b64 v[11:12], v11, v[0:1]
	v_sub_nc_u32_e32 v12, 29, v114
	v_and_b32_e32 v11, 7, v11
; %bb.1644:                             ;   in Loop: Header=BB325_1055 Depth=1
	s_or_b32 exec_lo, exec_lo, s18
	v_lshlrev_b32_e32 v0, 8, v0
	v_lshl_add_u32 v12, v12, 10, 0x2000
	v_lshlrev_b32_e32 v11, 23, v11
	v_and_or_b32 v0, 0x8000, v0, v12
	v_lshl_or_b32 v11, v0, 16, v11
.LBB325_1645:                           ;   in Loop: Header=BB325_1055 Depth=1
	s_or_b32 exec_lo, exec_lo, s15
.LBB325_1646:                           ;   in Loop: Header=BB325_1055 Depth=1
	s_or_b32 exec_lo, exec_lo, s13
.LBB325_1647:                           ;   in Loop: Header=BB325_1055 Depth=1
	s_or_b32 exec_lo, exec_lo, s12
	v_or_b32_e32 v0, v22, v23
	s_waitcnt vmcnt(0) lgkmcnt(0)
	v_fma_mixlo_f16 v12, v4, v22, 0 op_sel:[0,1,0] op_sel_hi:[0,1,0]
	v_or_b32_e32 v6, v5, v6
	v_fma_mixlo_f16 v5, v4, v5, 0 op_sel:[0,1,0] op_sel_hi:[0,1,0]
	v_or_b32_e32 v22, v35, v33
	v_fma_mixlo_f16 v23, v4, v0, 0 op_sel_hi:[0,1,0]
	v_or_b32_e32 v32, v11, v32
	v_lshlrev_b32_e32 v0, 16, v12
	v_lshlrev_b32_e32 v12, 16, v5
	v_fma_mixlo_f16 v6, v4, v6, 0 op_sel_hi:[0,1,0]
	v_and_b32_e32 v5, 0xffff, v23
	v_fma_mixlo_f16 v23, v4, v35, 0 op_sel:[0,1,0] op_sel_hi:[0,1,0]
	v_fma_mixlo_f16 v22, v4, v22, 0 op_sel_hi:[0,1,0]
	v_fma_mixlo_f16 v11, v4, v11, 0 op_sel:[0,1,0] op_sel_hi:[0,1,0]
	v_fma_mixlo_f16 v32, v4, v32, 0 op_sel_hi:[0,1,0]
	v_and_b32_e32 v114, 0xffff, v6
	v_lshlrev_b32_e32 v6, 16, v23
	v_and_b32_e32 v23, 0xffff, v22
	v_lshlrev_b32_e32 v4, 16, v11
	v_and_b32_e32 v11, 0xffff, v32
	v_or_b32_e32 v22, v0, v5
	v_or_b32_e32 v35, v12, v114
	;; [unrolled: 1-line block ×4, first 2 shown]
	s_and_saveexec_b32 s12, vcc_lo
	s_cbranch_execz .LBB325_1649
; %bb.1648:                             ;   in Loop: Header=BB325_1055 Depth=1
	v_cmp_lt_i32_e64 s4, v55, v34
	v_cndmask_b32_e64 v22, 0, v114, s4
	v_cmp_lt_i32_e64 s4, v83, v34
	v_cndmask_b32_e64 v12, 0, v12, s4
	v_cmp_lt_i32_e64 s4, v82, v34
	v_or_b32_e32 v35, v22, v12
	v_cndmask_b32_e64 v5, 0, v5, s4
	v_cmp_lt_i32_e64 s4, v81, v34
	v_cndmask_b32_e64 v0, 0, v0, s4
	v_cmp_lt_i32_e64 s4, v80, v34
	v_or_b32_e32 v22, v5, v0
	;; [unrolled: 5-line block ×3, first 2 shown]
	v_cndmask_b32_e64 v11, 0, v11, s4
	v_cmp_lt_i32_e64 s4, v14, v34
	v_cndmask_b32_e64 v4, 0, v4, s4
	v_or_b32_e32 v32, v11, v4
.LBB325_1649:                           ;   in Loop: Header=BB325_1055 Depth=1
	s_or_b32 exec_lo, exec_lo, s12
	;;#ASMSTART
	v_pk_mul_f16 v0, v68, v35;

	;;#ASMEND
	;;#ASMSTART
	v_pk_mul_f16 v4, v66, v22;

	;;#ASMEND
	;; [unrolled: 4-line block ×4, first 2 shown]
	;;#ASMSTART
	v_pk_add_f16 v0, v0, v4;

	;;#ASMEND
	;;#ASMSTART
	v_pk_add_f16 v0, v0, v5;

	;;#ASMEND
	;; [unrolled: 4-line block ×3, first 2 shown]
	v_and_b32_e32 v4, 0xffff, v0
	v_lshrrev_b32_e32 v0, 16, v0
	;;#ASMSTART
	v_cvt_f32_f16 v4, v4;
	;;#ASMEND
	;;#ASMSTART
	v_cvt_f32_f16 v5, v0;
	;;#ASMEND
	flat_load_dwordx2 v[11:12], v[9:10] offset:256
	flat_load_dword v6, v[26:27]
	v_mov_b32_e32 v22, 0
	v_mov_b32_e32 v23, 0
	s_waitcnt vmcnt(1) lgkmcnt(1)
	v_cmp_ne_u16_sdwa s4, v11, v1 src0_sel:BYTE_0 src1_sel:DWORD
	s_and_saveexec_b32 s12, s4
	s_cbranch_execz .LBB325_1657
; %bb.1650:                             ;   in Loop: Header=BB325_1055 Depth=1
	v_cmp_ne_u16_sdwa s4, v11, v16 src0_sel:BYTE_0 src1_sel:DWORD
	v_mov_b32_e32 v23, 0x8000
	s_and_saveexec_b32 s13, s4
	s_cbranch_execz .LBB325_1656
; %bb.1651:                             ;   in Loop: Header=BB325_1055 Depth=1
	v_and_b32_e32 v32, 0x7f, v11
	v_mov_b32_e32 v23, 0x7c01
	s_mov_b32 s15, exec_lo
	v_cmpx_ne_u32_e32 0x7f, v32
	s_cbranch_execz .LBB325_1655
; %bb.1652:                             ;   in Loop: Header=BB325_1055 Depth=1
	v_and_b32_e32 v0, 7, v11
	v_lshrrev_b32_e32 v23, 3, v32
	s_mov_b32 s18, exec_lo
	v_cmpx_gt_u32_e32 8, v32
; %bb.1653:                             ;   in Loop: Header=BB325_1055 Depth=1
	v_ffbh_u32_e32 v0, v0
	v_min_u32_e32 v0, 32, v0
	v_subrev_nc_u32_e32 v23, 28, v0
	v_lshlrev_b64 v[32:33], v23, v[11:12]
	v_sub_nc_u32_e32 v23, 29, v0
	v_and_b32_e32 v0, 7, v32
; %bb.1654:                             ;   in Loop: Header=BB325_1055 Depth=1
	s_or_b32 exec_lo, exec_lo, s18
	v_lshlrev_b32_e32 v32, 8, v11
	v_lshl_add_u32 v23, v23, 10, 0x2000
	v_lshlrev_b32_e32 v0, 7, v0
	v_and_b32_e32 v32, 0x8000, v32
	v_and_b32_e32 v23, 0xfc00, v23
	v_or3_b32 v23, v32, v23, v0
.LBB325_1655:                           ;   in Loop: Header=BB325_1055 Depth=1
	s_or_b32 exec_lo, exec_lo, s15
.LBB325_1656:                           ;   in Loop: Header=BB325_1055 Depth=1
	s_or_b32 exec_lo, exec_lo, s13
.LBB325_1657:                           ;   in Loop: Header=BB325_1055 Depth=1
	s_or_b32 exec_lo, exec_lo, s12
	v_lshrrev_b16 v0, 8, v11
	s_mov_b32 s12, exec_lo
	v_cmpx_ne_u16_e32 0, v0
	s_cbranch_execz .LBB325_1665
; %bb.1658:                             ;   in Loop: Header=BB325_1055 Depth=1
	v_bfrev_b32_e32 v22, 1
	s_mov_b32 s13, exec_lo
	v_cmpx_ne_u16_e32 0x80, v0
	s_cbranch_execz .LBB325_1664
; %bb.1659:                             ;   in Loop: Header=BB325_1055 Depth=1
	v_and_b32_sdwa v33, v0, v17 dst_sel:DWORD dst_unused:UNUSED_PAD src0_sel:WORD_0 src1_sel:DWORD
	v_mov_b32_e32 v22, 0x7c010000
	s_mov_b32 s15, exec_lo
	v_cmpx_ne_u32_e32 0x7f, v33
	s_cbranch_execz .LBB325_1663
; %bb.1660:                             ;   in Loop: Header=BB325_1055 Depth=1
	v_and_b32_sdwa v22, v0, v37 dst_sel:DWORD dst_unused:UNUSED_PAD src0_sel:WORD_0 src1_sel:DWORD
	v_lshrrev_b32_e32 v32, 3, v33
	s_mov_b32 s18, exec_lo
	v_cmpx_gt_u32_e32 8, v33
; %bb.1661:                             ;   in Loop: Header=BB325_1055 Depth=1
	v_ffbh_u32_e32 v22, v22
	v_min_u32_e32 v22, 32, v22
	v_subrev_nc_u32_e32 v32, 28, v22
	v_lshlrev_b64 v[114:115], v32, v[0:1]
	v_sub_nc_u32_e32 v32, 29, v22
	v_and_b32_e32 v22, 7, v114
; %bb.1662:                             ;   in Loop: Header=BB325_1055 Depth=1
	s_or_b32 exec_lo, exec_lo, s18
	v_lshlrev_b32_sdwa v0, v54, v0 dst_sel:DWORD dst_unused:UNUSED_PAD src0_sel:DWORD src1_sel:WORD_0
	v_lshl_add_u32 v32, v32, 10, 0x2000
	v_lshlrev_b32_e32 v22, 23, v22
	v_and_or_b32 v0, 0x8000, v0, v32
	v_lshl_or_b32 v22, v0, 16, v22
.LBB325_1663:                           ;   in Loop: Header=BB325_1055 Depth=1
	s_or_b32 exec_lo, exec_lo, s15
.LBB325_1664:                           ;   in Loop: Header=BB325_1055 Depth=1
	s_or_b32 exec_lo, exec_lo, s13
.LBB325_1665:                           ;   in Loop: Header=BB325_1055 Depth=1
	s_or_b32 exec_lo, exec_lo, s12
	v_lshrrev_b32_e32 v0, 16, v11
	v_mov_b32_e32 v32, 0
	v_mov_b32_e32 v33, 0
	v_cmp_ne_u16_sdwa s4, v0, v1 src0_sel:BYTE_0 src1_sel:DWORD
	s_and_saveexec_b32 s12, s4
	s_cbranch_execz .LBB325_1673
; %bb.1666:                             ;   in Loop: Header=BB325_1055 Depth=1
	v_cmp_ne_u16_sdwa s4, v0, v16 src0_sel:BYTE_0 src1_sel:DWORD
	v_mov_b32_e32 v33, 0x8000
	s_and_saveexec_b32 s13, s4
	s_cbranch_execz .LBB325_1672
; %bb.1667:                             ;   in Loop: Header=BB325_1055 Depth=1
	v_bfe_u32 v114, v11, 16, 7
	v_mov_b32_e32 v33, 0x7c01
	s_mov_b32 s15, exec_lo
	v_cmpx_ne_u32_e32 0x7f, v114
	s_cbranch_execz .LBB325_1671
; %bb.1668:                             ;   in Loop: Header=BB325_1055 Depth=1
	v_and_b32_e32 v33, 7, v0
	v_lshrrev_b32_e32 v35, 3, v114
	s_mov_b32 s18, exec_lo
	v_cmpx_gt_u32_e32 8, v114
; %bb.1669:                             ;   in Loop: Header=BB325_1055 Depth=1
	v_ffbh_u32_e32 v33, v33
	v_min_u32_e32 v33, 32, v33
	v_subrev_nc_u32_e32 v35, 28, v33
	v_lshlrev_b64 v[114:115], v35, v[0:1]
	v_sub_nc_u32_e32 v35, 29, v33
	v_and_b32_e32 v33, 7, v114
; %bb.1670:                             ;   in Loop: Header=BB325_1055 Depth=1
	s_or_b32 exec_lo, exec_lo, s18
	v_lshlrev_b32_e32 v0, 8, v0
	v_lshl_add_u32 v35, v35, 10, 0x2000
	v_lshlrev_b32_e32 v33, 7, v33
	v_and_b32_e32 v0, 0x8000, v0
	v_and_b32_e32 v35, 0xfc00, v35
	v_or3_b32 v33, v0, v35, v33
.LBB325_1671:                           ;   in Loop: Header=BB325_1055 Depth=1
	s_or_b32 exec_lo, exec_lo, s15
.LBB325_1672:                           ;   in Loop: Header=BB325_1055 Depth=1
	s_or_b32 exec_lo, exec_lo, s13
.LBB325_1673:                           ;   in Loop: Header=BB325_1055 Depth=1
	s_or_b32 exec_lo, exec_lo, s12
	s_mov_b32 s12, exec_lo
	v_cmpx_lt_u32_e32 0xffffff, v11
	s_cbranch_execz .LBB325_1681
; %bb.1674:                             ;   in Loop: Header=BB325_1055 Depth=1
	v_lshrrev_b32_e32 v0, 24, v11
	v_bfrev_b32_e32 v32, 1
	s_mov_b32 s13, exec_lo
	v_cmpx_ne_u32_e32 0x80, v0
	s_cbranch_execz .LBB325_1680
; %bb.1675:                             ;   in Loop: Header=BB325_1055 Depth=1
	v_and_b32_e32 v114, 0x7f, v0
	v_mov_b32_e32 v32, 0x7c010000
	s_mov_b32 s15, exec_lo
	v_cmpx_ne_u32_e32 0x7f, v114
	s_cbranch_execz .LBB325_1679
; %bb.1676:                             ;   in Loop: Header=BB325_1055 Depth=1
	v_and_b32_e32 v32, 7, v0
	v_lshrrev_b32_e32 v35, 3, v114
	s_mov_b32 s18, exec_lo
	v_cmpx_gt_u32_e32 8, v114
; %bb.1677:                             ;   in Loop: Header=BB325_1055 Depth=1
	v_ffbh_u32_e32 v32, v32
	v_min_u32_e32 v32, 32, v32
	v_subrev_nc_u32_e32 v35, 28, v32
	v_lshlrev_b64 v[114:115], v35, v[0:1]
	v_sub_nc_u32_e32 v35, 29, v32
	v_and_b32_e32 v32, 7, v114
; %bb.1678:                             ;   in Loop: Header=BB325_1055 Depth=1
	s_or_b32 exec_lo, exec_lo, s18
	v_lshlrev_b32_e32 v0, 8, v0
	v_lshl_add_u32 v35, v35, 10, 0x2000
	v_lshlrev_b32_e32 v32, 23, v32
	v_and_or_b32 v0, 0x8000, v0, v35
	v_lshl_or_b32 v32, v0, 16, v32
.LBB325_1679:                           ;   in Loop: Header=BB325_1055 Depth=1
	s_or_b32 exec_lo, exec_lo, s15
.LBB325_1680:                           ;   in Loop: Header=BB325_1055 Depth=1
	s_or_b32 exec_lo, exec_lo, s13
.LBB325_1681:                           ;   in Loop: Header=BB325_1055 Depth=1
	s_or_b32 exec_lo, exec_lo, s12
	v_mov_b32_e32 v0, v12
	v_cmp_ne_u16_sdwa s4, v12, v1 src0_sel:BYTE_0 src1_sel:DWORD
	v_mov_b32_e32 v35, 0
	v_mov_b32_e32 v114, 0
	s_and_saveexec_b32 s12, s4
	s_cbranch_execz .LBB325_1689
; %bb.1682:                             ;   in Loop: Header=BB325_1055 Depth=1
	v_cmp_ne_u16_sdwa s4, v12, v16 src0_sel:BYTE_0 src1_sel:DWORD
	v_mov_b32_e32 v114, 0x8000
	s_and_saveexec_b32 s13, s4
	s_cbranch_execz .LBB325_1688
; %bb.1683:                             ;   in Loop: Header=BB325_1055 Depth=1
	v_and_b32_e32 v116, 0x7f, v12
	v_mov_b32_e32 v114, 0x7c01
	s_mov_b32 s15, exec_lo
	v_cmpx_ne_u32_e32 0x7f, v116
	s_cbranch_execz .LBB325_1687
; %bb.1684:                             ;   in Loop: Header=BB325_1055 Depth=1
	v_and_b32_e32 v114, 7, v12
	v_lshrrev_b32_e32 v115, 3, v116
	s_mov_b32 s18, exec_lo
	v_cmpx_gt_u32_e32 8, v116
; %bb.1685:                             ;   in Loop: Header=BB325_1055 Depth=1
	v_ffbh_u32_e32 v114, v114
	v_min_u32_e32 v116, 32, v114
	v_subrev_nc_u32_e32 v114, 28, v116
	v_lshlrev_b64 v[114:115], v114, v[0:1]
	v_sub_nc_u32_e32 v115, 29, v116
	v_and_b32_e32 v114, 7, v114
; %bb.1686:                             ;   in Loop: Header=BB325_1055 Depth=1
	s_or_b32 exec_lo, exec_lo, s18
	v_lshlrev_b32_e32 v116, 8, v12
	v_lshl_add_u32 v115, v115, 10, 0x2000
	v_lshlrev_b32_e32 v114, 7, v114
	v_and_b32_e32 v116, 0x8000, v116
	v_and_b32_e32 v115, 0xfc00, v115
	v_or3_b32 v114, v116, v115, v114
.LBB325_1687:                           ;   in Loop: Header=BB325_1055 Depth=1
	s_or_b32 exec_lo, exec_lo, s15
.LBB325_1688:                           ;   in Loop: Header=BB325_1055 Depth=1
	s_or_b32 exec_lo, exec_lo, s13
.LBB325_1689:                           ;   in Loop: Header=BB325_1055 Depth=1
	s_or_b32 exec_lo, exec_lo, s12
	v_lshrrev_b16 v0, 8, v0
	v_mov_b32_e32 v115, 0
	s_mov_b32 s12, exec_lo
	v_cmpx_ne_u16_e32 0, v0
	s_cbranch_execz .LBB325_1697
; %bb.1690:                             ;   in Loop: Header=BB325_1055 Depth=1
	v_bfrev_b32_e32 v115, 1
	s_mov_b32 s13, exec_lo
	v_cmpx_ne_u16_e32 0x80, v0
	s_cbranch_execz .LBB325_1696
; %bb.1691:                             ;   in Loop: Header=BB325_1055 Depth=1
	v_and_b32_sdwa v117, v0, v17 dst_sel:DWORD dst_unused:UNUSED_PAD src0_sel:WORD_0 src1_sel:DWORD
	v_mov_b32_e32 v115, 0x7c010000
	s_mov_b32 s15, exec_lo
	v_cmpx_ne_u32_e32 0x7f, v117
	s_cbranch_execz .LBB325_1695
; %bb.1692:                             ;   in Loop: Header=BB325_1055 Depth=1
	v_and_b32_sdwa v115, v0, v37 dst_sel:DWORD dst_unused:UNUSED_PAD src0_sel:WORD_0 src1_sel:DWORD
	v_lshrrev_b32_e32 v116, 3, v117
	s_mov_b32 s18, exec_lo
	v_cmpx_gt_u32_e32 8, v117
; %bb.1693:                             ;   in Loop: Header=BB325_1055 Depth=1
	v_ffbh_u32_e32 v115, v115
	v_min_u32_e32 v117, 32, v115
	v_subrev_nc_u32_e32 v115, 28, v117
	v_lshlrev_b64 v[115:116], v115, v[0:1]
	v_sub_nc_u32_e32 v116, 29, v117
	v_and_b32_e32 v115, 7, v115
; %bb.1694:                             ;   in Loop: Header=BB325_1055 Depth=1
	s_or_b32 exec_lo, exec_lo, s18
	v_lshlrev_b32_sdwa v0, v54, v0 dst_sel:DWORD dst_unused:UNUSED_PAD src0_sel:DWORD src1_sel:WORD_0
	v_lshl_add_u32 v116, v116, 10, 0x2000
	v_lshlrev_b32_e32 v115, 23, v115
	v_and_or_b32 v0, 0x8000, v0, v116
	v_lshl_or_b32 v115, v0, 16, v115
.LBB325_1695:                           ;   in Loop: Header=BB325_1055 Depth=1
	s_or_b32 exec_lo, exec_lo, s15
.LBB325_1696:                           ;   in Loop: Header=BB325_1055 Depth=1
	s_or_b32 exec_lo, exec_lo, s13
.LBB325_1697:                           ;   in Loop: Header=BB325_1055 Depth=1
	s_or_b32 exec_lo, exec_lo, s12
	v_lshrrev_b32_e32 v0, 16, v12
	v_cmp_ne_u16_sdwa s4, v0, v1 src0_sel:BYTE_0 src1_sel:DWORD
	s_and_saveexec_b32 s12, s4
	s_cbranch_execz .LBB325_1705
; %bb.1698:                             ;   in Loop: Header=BB325_1055 Depth=1
	v_cmp_ne_u16_sdwa s4, v0, v16 src0_sel:BYTE_0 src1_sel:DWORD
	v_mov_b32_e32 v35, 0x8000
	s_and_saveexec_b32 s13, s4
	s_cbranch_execz .LBB325_1704
; %bb.1699:                             ;   in Loop: Header=BB325_1055 Depth=1
	v_bfe_u32 v117, v12, 16, 7
	v_mov_b32_e32 v35, 0x7c01
	s_mov_b32 s15, exec_lo
	v_cmpx_ne_u32_e32 0x7f, v117
	s_cbranch_execz .LBB325_1703
; %bb.1700:                             ;   in Loop: Header=BB325_1055 Depth=1
	v_and_b32_e32 v35, 7, v0
	v_lshrrev_b32_e32 v116, 3, v117
	s_mov_b32 s18, exec_lo
	v_cmpx_gt_u32_e32 8, v117
; %bb.1701:                             ;   in Loop: Header=BB325_1055 Depth=1
	v_ffbh_u32_e32 v35, v35
	v_min_u32_e32 v35, 32, v35
	v_subrev_nc_u32_e32 v116, 28, v35
	v_lshlrev_b64 v[117:118], v116, v[0:1]
	v_sub_nc_u32_e32 v116, 29, v35
	v_and_b32_e32 v35, 7, v117
; %bb.1702:                             ;   in Loop: Header=BB325_1055 Depth=1
	s_or_b32 exec_lo, exec_lo, s18
	v_lshlrev_b32_e32 v0, 8, v0
	v_lshl_add_u32 v116, v116, 10, 0x2000
	v_lshlrev_b32_e32 v35, 7, v35
	v_and_b32_e32 v0, 0x8000, v0
	v_and_b32_e32 v116, 0xfc00, v116
	v_or3_b32 v35, v0, v116, v35
.LBB325_1703:                           ;   in Loop: Header=BB325_1055 Depth=1
	s_or_b32 exec_lo, exec_lo, s15
.LBB325_1704:                           ;   in Loop: Header=BB325_1055 Depth=1
	s_or_b32 exec_lo, exec_lo, s13
.LBB325_1705:                           ;   in Loop: Header=BB325_1055 Depth=1
	s_or_b32 exec_lo, exec_lo, s12
	v_cmp_lt_u64_e64 s4, s[8:9], v[11:12]
	v_mov_b32_e32 v11, 0
	s_and_saveexec_b32 s12, s4
	s_cbranch_execz .LBB325_1713
; %bb.1706:                             ;   in Loop: Header=BB325_1055 Depth=1
	v_lshrrev_b32_e32 v0, 24, v12
	v_bfrev_b32_e32 v11, 1
	s_mov_b32 s13, exec_lo
	v_cmpx_ne_u32_e32 0x80, v0
	s_cbranch_execz .LBB325_1712
; %bb.1707:                             ;   in Loop: Header=BB325_1055 Depth=1
	v_and_b32_e32 v116, 0x7f, v0
	v_mov_b32_e32 v11, 0x7c010000
	s_mov_b32 s15, exec_lo
	v_cmpx_ne_u32_e32 0x7f, v116
	s_cbranch_execz .LBB325_1711
; %bb.1708:                             ;   in Loop: Header=BB325_1055 Depth=1
	v_and_b32_e32 v11, 7, v0
	v_lshrrev_b32_e32 v12, 3, v116
	s_mov_b32 s18, exec_lo
	v_cmpx_gt_u32_e32 8, v116
; %bb.1709:                             ;   in Loop: Header=BB325_1055 Depth=1
	v_ffbh_u32_e32 v11, v11
	v_min_u32_e32 v116, 32, v11
	v_subrev_nc_u32_e32 v11, 28, v116
	v_lshlrev_b64 v[11:12], v11, v[0:1]
	v_sub_nc_u32_e32 v12, 29, v116
	v_and_b32_e32 v11, 7, v11
; %bb.1710:                             ;   in Loop: Header=BB325_1055 Depth=1
	s_or_b32 exec_lo, exec_lo, s18
	v_lshlrev_b32_e32 v0, 8, v0
	v_lshl_add_u32 v12, v12, 10, 0x2000
	v_lshlrev_b32_e32 v11, 23, v11
	v_and_or_b32 v0, 0x8000, v0, v12
	v_lshl_or_b32 v11, v0, 16, v11
.LBB325_1711:                           ;   in Loop: Header=BB325_1055 Depth=1
	s_or_b32 exec_lo, exec_lo, s15
.LBB325_1712:                           ;   in Loop: Header=BB325_1055 Depth=1
	s_or_b32 exec_lo, exec_lo, s13
.LBB325_1713:                           ;   in Loop: Header=BB325_1055 Depth=1
	s_or_b32 exec_lo, exec_lo, s12
	v_or_b32_e32 v0, v32, v33
	s_waitcnt vmcnt(0) lgkmcnt(0)
	v_fma_mixlo_f16 v12, v6, v32, 0 op_sel:[0,1,0] op_sel_hi:[0,1,0]
	v_or_b32_e32 v32, v22, v23
	v_fma_mixlo_f16 v22, v6, v22, 0 op_sel:[0,1,0] op_sel_hi:[0,1,0]
	v_or_b32_e32 v33, v115, v114
	v_fma_mixlo_f16 v114, v6, v0, 0 op_sel_hi:[0,1,0]
	v_or_b32_e32 v35, v11, v35
	v_lshlrev_b32_e32 v0, 16, v12
	v_lshlrev_b32_e32 v23, 16, v22
	v_fma_mixlo_f16 v22, v6, v32, 0 op_sel_hi:[0,1,0]
	v_and_b32_e32 v12, 0xffff, v114
	v_fma_mixlo_f16 v32, v6, v115, 0 op_sel:[0,1,0] op_sel_hi:[0,1,0]
	v_fma_mixlo_f16 v33, v6, v33, 0 op_sel_hi:[0,1,0]
	v_fma_mixlo_f16 v114, v6, v11, 0 op_sel:[0,1,0] op_sel_hi:[0,1,0]
	v_fma_mixlo_f16 v35, v6, v35, 0 op_sel_hi:[0,1,0]
	v_and_b32_e32 v116, 0xffff, v22
	v_lshlrev_b32_e32 v11, 16, v32
	v_and_b32_e32 v33, 0xffff, v33
	v_lshlrev_b32_e32 v6, 16, v114
	v_and_b32_e32 v22, 0xffff, v35
	v_or_b32_e32 v32, v0, v12
	v_or_b32_e32 v115, v23, v116
	;; [unrolled: 1-line block ×4, first 2 shown]
	s_and_saveexec_b32 s12, vcc_lo
	s_cbranch_execz .LBB325_1715
; %bb.1714:                             ;   in Loop: Header=BB325_1055 Depth=1
	v_cmp_lt_i32_e64 s4, v55, v34
	v_cndmask_b32_e64 v32, 0, v116, s4
	v_cmp_lt_i32_e64 s4, v83, v34
	v_cndmask_b32_e64 v23, 0, v23, s4
	v_cmp_lt_i32_e64 s4, v82, v34
	v_or_b32_e32 v115, v32, v23
	v_cndmask_b32_e64 v12, 0, v12, s4
	v_cmp_lt_i32_e64 s4, v81, v34
	v_cndmask_b32_e64 v0, 0, v0, s4
	v_cmp_lt_i32_e64 s4, v80, v34
	v_or_b32_e32 v32, v12, v0
	;; [unrolled: 5-line block ×3, first 2 shown]
	v_cndmask_b32_e64 v22, 0, v22, s4
	v_cmp_lt_i32_e64 s4, v14, v34
	v_cndmask_b32_e64 v6, 0, v6, s4
	v_or_b32_e32 v35, v22, v6
.LBB325_1715:                           ;   in Loop: Header=BB325_1055 Depth=1
	s_or_b32 exec_lo, exec_lo, s12
	;;#ASMSTART
	v_pk_mul_f16 v0, v68, v115;

	;;#ASMEND
	;;#ASMSTART
	v_pk_mul_f16 v6, v66, v32;

	;;#ASMEND
	;; [unrolled: 4-line block ×4, first 2 shown]
	;;#ASMSTART
	v_pk_add_f16 v0, v0, v6;

	;;#ASMEND
	;;#ASMSTART
	v_pk_add_f16 v0, v0, v11;

	;;#ASMEND
	;; [unrolled: 4-line block ×3, first 2 shown]
	v_and_b32_e32 v6, 0xffff, v0
	v_lshrrev_b32_e32 v0, 16, v0
	;;#ASMSTART
	v_cvt_f32_f16 v22, v6;
	;;#ASMEND
	;;#ASMSTART
	v_cvt_f32_f16 v23, v0;
	;;#ASMEND
	flat_load_dwordx2 v[11:12], v[9:10] offset:512
	flat_load_dword v6, v[26:27]
	v_mov_b32_e32 v32, 0
	v_mov_b32_e32 v33, 0
	s_waitcnt vmcnt(1) lgkmcnt(1)
	v_cmp_ne_u16_sdwa s4, v11, v1 src0_sel:BYTE_0 src1_sel:DWORD
	s_and_saveexec_b32 s12, s4
	s_cbranch_execz .LBB325_1723
; %bb.1716:                             ;   in Loop: Header=BB325_1055 Depth=1
	v_cmp_ne_u16_sdwa s4, v11, v16 src0_sel:BYTE_0 src1_sel:DWORD
	v_mov_b32_e32 v33, 0x8000
	s_and_saveexec_b32 s13, s4
	s_cbranch_execz .LBB325_1722
; %bb.1717:                             ;   in Loop: Header=BB325_1055 Depth=1
	v_and_b32_e32 v35, 0x7f, v11
	v_mov_b32_e32 v33, 0x7c01
	s_mov_b32 s15, exec_lo
	v_cmpx_ne_u32_e32 0x7f, v35
	s_cbranch_execz .LBB325_1721
; %bb.1718:                             ;   in Loop: Header=BB325_1055 Depth=1
	v_and_b32_e32 v0, 7, v11
	v_lshrrev_b32_e32 v33, 3, v35
	s_mov_b32 s18, exec_lo
	v_cmpx_gt_u32_e32 8, v35
; %bb.1719:                             ;   in Loop: Header=BB325_1055 Depth=1
	v_ffbh_u32_e32 v0, v0
	v_min_u32_e32 v0, 32, v0
	v_subrev_nc_u32_e32 v33, 28, v0
	v_lshlrev_b64 v[114:115], v33, v[11:12]
	v_sub_nc_u32_e32 v33, 29, v0
	v_and_b32_e32 v0, 7, v114
; %bb.1720:                             ;   in Loop: Header=BB325_1055 Depth=1
	s_or_b32 exec_lo, exec_lo, s18
	v_lshlrev_b32_e32 v35, 8, v11
	v_lshl_add_u32 v33, v33, 10, 0x2000
	v_lshlrev_b32_e32 v0, 7, v0
	v_and_b32_e32 v35, 0x8000, v35
	v_and_b32_e32 v33, 0xfc00, v33
	v_or3_b32 v33, v35, v33, v0
.LBB325_1721:                           ;   in Loop: Header=BB325_1055 Depth=1
	s_or_b32 exec_lo, exec_lo, s15
.LBB325_1722:                           ;   in Loop: Header=BB325_1055 Depth=1
	s_or_b32 exec_lo, exec_lo, s13
.LBB325_1723:                           ;   in Loop: Header=BB325_1055 Depth=1
	s_or_b32 exec_lo, exec_lo, s12
	v_lshrrev_b16 v0, 8, v11
	s_mov_b32 s12, exec_lo
	v_cmpx_ne_u16_e32 0, v0
	s_cbranch_execz .LBB325_1731
; %bb.1724:                             ;   in Loop: Header=BB325_1055 Depth=1
	v_bfrev_b32_e32 v32, 1
	s_mov_b32 s13, exec_lo
	v_cmpx_ne_u16_e32 0x80, v0
	s_cbranch_execz .LBB325_1730
; %bb.1725:                             ;   in Loop: Header=BB325_1055 Depth=1
	v_and_b32_sdwa v114, v0, v17 dst_sel:DWORD dst_unused:UNUSED_PAD src0_sel:WORD_0 src1_sel:DWORD
	v_mov_b32_e32 v32, 0x7c010000
	s_mov_b32 s15, exec_lo
	v_cmpx_ne_u32_e32 0x7f, v114
	s_cbranch_execz .LBB325_1729
; %bb.1726:                             ;   in Loop: Header=BB325_1055 Depth=1
	v_and_b32_sdwa v32, v0, v37 dst_sel:DWORD dst_unused:UNUSED_PAD src0_sel:WORD_0 src1_sel:DWORD
	v_lshrrev_b32_e32 v35, 3, v114
	s_mov_b32 s18, exec_lo
	v_cmpx_gt_u32_e32 8, v114
; %bb.1727:                             ;   in Loop: Header=BB325_1055 Depth=1
	v_ffbh_u32_e32 v32, v32
	v_min_u32_e32 v32, 32, v32
	v_subrev_nc_u32_e32 v35, 28, v32
	v_lshlrev_b64 v[114:115], v35, v[0:1]
	v_sub_nc_u32_e32 v35, 29, v32
	v_and_b32_e32 v32, 7, v114
; %bb.1728:                             ;   in Loop: Header=BB325_1055 Depth=1
	s_or_b32 exec_lo, exec_lo, s18
	v_lshlrev_b32_sdwa v0, v54, v0 dst_sel:DWORD dst_unused:UNUSED_PAD src0_sel:DWORD src1_sel:WORD_0
	v_lshl_add_u32 v35, v35, 10, 0x2000
	v_lshlrev_b32_e32 v32, 23, v32
	v_and_or_b32 v0, 0x8000, v0, v35
	v_lshl_or_b32 v32, v0, 16, v32
.LBB325_1729:                           ;   in Loop: Header=BB325_1055 Depth=1
	s_or_b32 exec_lo, exec_lo, s15
.LBB325_1730:                           ;   in Loop: Header=BB325_1055 Depth=1
	s_or_b32 exec_lo, exec_lo, s13
.LBB325_1731:                           ;   in Loop: Header=BB325_1055 Depth=1
	s_or_b32 exec_lo, exec_lo, s12
	v_lshrrev_b32_e32 v0, 16, v11
	v_mov_b32_e32 v35, 0
	v_mov_b32_e32 v114, 0
	v_cmp_ne_u16_sdwa s4, v0, v1 src0_sel:BYTE_0 src1_sel:DWORD
	s_and_saveexec_b32 s12, s4
	s_cbranch_execz .LBB325_1739
; %bb.1732:                             ;   in Loop: Header=BB325_1055 Depth=1
	v_cmp_ne_u16_sdwa s4, v0, v16 src0_sel:BYTE_0 src1_sel:DWORD
	v_mov_b32_e32 v114, 0x8000
	s_and_saveexec_b32 s13, s4
	s_cbranch_execz .LBB325_1738
; %bb.1733:                             ;   in Loop: Header=BB325_1055 Depth=1
	v_bfe_u32 v116, v11, 16, 7
	v_mov_b32_e32 v114, 0x7c01
	s_mov_b32 s15, exec_lo
	v_cmpx_ne_u32_e32 0x7f, v116
	s_cbranch_execz .LBB325_1737
; %bb.1734:                             ;   in Loop: Header=BB325_1055 Depth=1
	v_and_b32_e32 v114, 7, v0
	v_lshrrev_b32_e32 v115, 3, v116
	s_mov_b32 s18, exec_lo
	v_cmpx_gt_u32_e32 8, v116
; %bb.1735:                             ;   in Loop: Header=BB325_1055 Depth=1
	v_ffbh_u32_e32 v114, v114
	v_min_u32_e32 v116, 32, v114
	v_subrev_nc_u32_e32 v114, 28, v116
	v_lshlrev_b64 v[114:115], v114, v[0:1]
	v_sub_nc_u32_e32 v115, 29, v116
	v_and_b32_e32 v114, 7, v114
; %bb.1736:                             ;   in Loop: Header=BB325_1055 Depth=1
	s_or_b32 exec_lo, exec_lo, s18
	v_lshlrev_b32_e32 v0, 8, v0
	v_lshl_add_u32 v115, v115, 10, 0x2000
	v_lshlrev_b32_e32 v114, 7, v114
	v_and_b32_e32 v0, 0x8000, v0
	v_and_b32_e32 v115, 0xfc00, v115
	v_or3_b32 v114, v0, v115, v114
.LBB325_1737:                           ;   in Loop: Header=BB325_1055 Depth=1
	s_or_b32 exec_lo, exec_lo, s15
.LBB325_1738:                           ;   in Loop: Header=BB325_1055 Depth=1
	s_or_b32 exec_lo, exec_lo, s13
.LBB325_1739:                           ;   in Loop: Header=BB325_1055 Depth=1
	s_or_b32 exec_lo, exec_lo, s12
	s_mov_b32 s12, exec_lo
	v_cmpx_lt_u32_e32 0xffffff, v11
	s_cbranch_execz .LBB325_1747
; %bb.1740:                             ;   in Loop: Header=BB325_1055 Depth=1
	v_lshrrev_b32_e32 v0, 24, v11
	v_bfrev_b32_e32 v35, 1
	s_mov_b32 s13, exec_lo
	v_cmpx_ne_u32_e32 0x80, v0
	s_cbranch_execz .LBB325_1746
; %bb.1741:                             ;   in Loop: Header=BB325_1055 Depth=1
	v_and_b32_e32 v116, 0x7f, v0
	v_mov_b32_e32 v35, 0x7c010000
	s_mov_b32 s15, exec_lo
	v_cmpx_ne_u32_e32 0x7f, v116
	s_cbranch_execz .LBB325_1745
; %bb.1742:                             ;   in Loop: Header=BB325_1055 Depth=1
	v_and_b32_e32 v35, 7, v0
	v_lshrrev_b32_e32 v115, 3, v116
	s_mov_b32 s18, exec_lo
	v_cmpx_gt_u32_e32 8, v116
; %bb.1743:                             ;   in Loop: Header=BB325_1055 Depth=1
	v_ffbh_u32_e32 v35, v35
	v_min_u32_e32 v35, 32, v35
	v_subrev_nc_u32_e32 v115, 28, v35
	v_lshlrev_b64 v[116:117], v115, v[0:1]
	v_sub_nc_u32_e32 v115, 29, v35
	v_and_b32_e32 v35, 7, v116
; %bb.1744:                             ;   in Loop: Header=BB325_1055 Depth=1
	s_or_b32 exec_lo, exec_lo, s18
	v_lshlrev_b32_e32 v0, 8, v0
	v_lshl_add_u32 v115, v115, 10, 0x2000
	v_lshlrev_b32_e32 v35, 23, v35
	v_and_or_b32 v0, 0x8000, v0, v115
	v_lshl_or_b32 v35, v0, 16, v35
.LBB325_1745:                           ;   in Loop: Header=BB325_1055 Depth=1
	s_or_b32 exec_lo, exec_lo, s15
.LBB325_1746:                           ;   in Loop: Header=BB325_1055 Depth=1
	s_or_b32 exec_lo, exec_lo, s13
.LBB325_1747:                           ;   in Loop: Header=BB325_1055 Depth=1
	s_or_b32 exec_lo, exec_lo, s12
	v_mov_b32_e32 v0, v12
	v_cmp_ne_u16_sdwa s4, v12, v1 src0_sel:BYTE_0 src1_sel:DWORD
	v_mov_b32_e32 v115, 0
	v_mov_b32_e32 v116, 0
	s_and_saveexec_b32 s12, s4
	s_cbranch_execz .LBB325_1755
; %bb.1748:                             ;   in Loop: Header=BB325_1055 Depth=1
	v_cmp_ne_u16_sdwa s4, v12, v16 src0_sel:BYTE_0 src1_sel:DWORD
	v_mov_b32_e32 v116, 0x8000
	s_and_saveexec_b32 s13, s4
	s_cbranch_execz .LBB325_1754
; %bb.1749:                             ;   in Loop: Header=BB325_1055 Depth=1
	v_and_b32_e32 v118, 0x7f, v12
	v_mov_b32_e32 v116, 0x7c01
	s_mov_b32 s15, exec_lo
	v_cmpx_ne_u32_e32 0x7f, v118
	s_cbranch_execz .LBB325_1753
; %bb.1750:                             ;   in Loop: Header=BB325_1055 Depth=1
	v_and_b32_e32 v116, 7, v12
	v_lshrrev_b32_e32 v117, 3, v118
	s_mov_b32 s18, exec_lo
	v_cmpx_gt_u32_e32 8, v118
; %bb.1751:                             ;   in Loop: Header=BB325_1055 Depth=1
	v_ffbh_u32_e32 v116, v116
	v_min_u32_e32 v118, 32, v116
	v_subrev_nc_u32_e32 v116, 28, v118
	v_lshlrev_b64 v[116:117], v116, v[0:1]
	v_sub_nc_u32_e32 v117, 29, v118
	v_and_b32_e32 v116, 7, v116
; %bb.1752:                             ;   in Loop: Header=BB325_1055 Depth=1
	s_or_b32 exec_lo, exec_lo, s18
	v_lshlrev_b32_e32 v118, 8, v12
	v_lshl_add_u32 v117, v117, 10, 0x2000
	v_lshlrev_b32_e32 v116, 7, v116
	v_and_b32_e32 v118, 0x8000, v118
	v_and_b32_e32 v117, 0xfc00, v117
	v_or3_b32 v116, v118, v117, v116
.LBB325_1753:                           ;   in Loop: Header=BB325_1055 Depth=1
	s_or_b32 exec_lo, exec_lo, s15
.LBB325_1754:                           ;   in Loop: Header=BB325_1055 Depth=1
	s_or_b32 exec_lo, exec_lo, s13
.LBB325_1755:                           ;   in Loop: Header=BB325_1055 Depth=1
	s_or_b32 exec_lo, exec_lo, s12
	v_lshrrev_b16 v0, 8, v0
	v_mov_b32_e32 v117, 0
	s_mov_b32 s12, exec_lo
	v_cmpx_ne_u16_e32 0, v0
	s_cbranch_execz .LBB325_1763
; %bb.1756:                             ;   in Loop: Header=BB325_1055 Depth=1
	v_bfrev_b32_e32 v117, 1
	s_mov_b32 s13, exec_lo
	v_cmpx_ne_u16_e32 0x80, v0
	s_cbranch_execz .LBB325_1762
; %bb.1757:                             ;   in Loop: Header=BB325_1055 Depth=1
	v_and_b32_sdwa v119, v0, v17 dst_sel:DWORD dst_unused:UNUSED_PAD src0_sel:WORD_0 src1_sel:DWORD
	v_mov_b32_e32 v117, 0x7c010000
	s_mov_b32 s15, exec_lo
	v_cmpx_ne_u32_e32 0x7f, v119
	s_cbranch_execz .LBB325_1761
; %bb.1758:                             ;   in Loop: Header=BB325_1055 Depth=1
	v_and_b32_sdwa v117, v0, v37 dst_sel:DWORD dst_unused:UNUSED_PAD src0_sel:WORD_0 src1_sel:DWORD
	v_lshrrev_b32_e32 v118, 3, v119
	s_mov_b32 s18, exec_lo
	v_cmpx_gt_u32_e32 8, v119
; %bb.1759:                             ;   in Loop: Header=BB325_1055 Depth=1
	v_ffbh_u32_e32 v117, v117
	v_min_u32_e32 v119, 32, v117
	v_subrev_nc_u32_e32 v117, 28, v119
	v_lshlrev_b64 v[117:118], v117, v[0:1]
	v_sub_nc_u32_e32 v118, 29, v119
	v_and_b32_e32 v117, 7, v117
; %bb.1760:                             ;   in Loop: Header=BB325_1055 Depth=1
	s_or_b32 exec_lo, exec_lo, s18
	v_lshlrev_b32_sdwa v0, v54, v0 dst_sel:DWORD dst_unused:UNUSED_PAD src0_sel:DWORD src1_sel:WORD_0
	v_lshl_add_u32 v118, v118, 10, 0x2000
	v_lshlrev_b32_e32 v117, 23, v117
	v_and_or_b32 v0, 0x8000, v0, v118
	v_lshl_or_b32 v117, v0, 16, v117
.LBB325_1761:                           ;   in Loop: Header=BB325_1055 Depth=1
	s_or_b32 exec_lo, exec_lo, s15
.LBB325_1762:                           ;   in Loop: Header=BB325_1055 Depth=1
	s_or_b32 exec_lo, exec_lo, s13
.LBB325_1763:                           ;   in Loop: Header=BB325_1055 Depth=1
	s_or_b32 exec_lo, exec_lo, s12
	v_lshrrev_b32_e32 v0, 16, v12
	v_cmp_ne_u16_sdwa s4, v0, v1 src0_sel:BYTE_0 src1_sel:DWORD
	s_and_saveexec_b32 s12, s4
	s_cbranch_execz .LBB325_1771
; %bb.1764:                             ;   in Loop: Header=BB325_1055 Depth=1
	v_cmp_ne_u16_sdwa s4, v0, v16 src0_sel:BYTE_0 src1_sel:DWORD
	v_mov_b32_e32 v115, 0x8000
	s_and_saveexec_b32 s13, s4
	s_cbranch_execz .LBB325_1770
; %bb.1765:                             ;   in Loop: Header=BB325_1055 Depth=1
	v_bfe_u32 v119, v12, 16, 7
	v_mov_b32_e32 v115, 0x7c01
	s_mov_b32 s15, exec_lo
	v_cmpx_ne_u32_e32 0x7f, v119
	s_cbranch_execz .LBB325_1769
; %bb.1766:                             ;   in Loop: Header=BB325_1055 Depth=1
	v_and_b32_e32 v115, 7, v0
	v_lshrrev_b32_e32 v118, 3, v119
	s_mov_b32 s18, exec_lo
	v_cmpx_gt_u32_e32 8, v119
; %bb.1767:                             ;   in Loop: Header=BB325_1055 Depth=1
	v_ffbh_u32_e32 v115, v115
	v_min_u32_e32 v115, 32, v115
	v_subrev_nc_u32_e32 v118, 28, v115
	v_lshlrev_b64 v[40:41], v118, v[0:1]
	v_sub_nc_u32_e32 v118, 29, v115
	v_and_b32_e32 v115, 7, v40
; %bb.1768:                             ;   in Loop: Header=BB325_1055 Depth=1
	s_or_b32 exec_lo, exec_lo, s18
	v_lshlrev_b32_e32 v0, 8, v0
	v_lshl_add_u32 v118, v118, 10, 0x2000
	v_lshlrev_b32_e32 v115, 7, v115
	v_and_b32_e32 v0, 0x8000, v0
	v_and_b32_e32 v118, 0xfc00, v118
	v_or3_b32 v115, v0, v118, v115
.LBB325_1769:                           ;   in Loop: Header=BB325_1055 Depth=1
	s_or_b32 exec_lo, exec_lo, s15
.LBB325_1770:                           ;   in Loop: Header=BB325_1055 Depth=1
	s_or_b32 exec_lo, exec_lo, s13
.LBB325_1771:                           ;   in Loop: Header=BB325_1055 Depth=1
	s_or_b32 exec_lo, exec_lo, s12
	v_cmp_lt_u64_e64 s4, s[8:9], v[11:12]
	v_mov_b32_e32 v11, 0
	s_and_saveexec_b32 s12, s4
	s_cbranch_execz .LBB325_1779
; %bb.1772:                             ;   in Loop: Header=BB325_1055 Depth=1
	v_lshrrev_b32_e32 v0, 24, v12
	v_bfrev_b32_e32 v11, 1
	s_mov_b32 s13, exec_lo
	v_cmpx_ne_u32_e32 0x80, v0
	s_cbranch_execz .LBB325_1778
; %bb.1773:                             ;   in Loop: Header=BB325_1055 Depth=1
	v_and_b32_e32 v118, 0x7f, v0
	v_mov_b32_e32 v11, 0x7c010000
	s_mov_b32 s15, exec_lo
	v_cmpx_ne_u32_e32 0x7f, v118
	s_cbranch_execz .LBB325_1777
; %bb.1774:                             ;   in Loop: Header=BB325_1055 Depth=1
	v_and_b32_e32 v11, 7, v0
	v_lshrrev_b32_e32 v12, 3, v118
	s_mov_b32 s18, exec_lo
	v_cmpx_gt_u32_e32 8, v118
; %bb.1775:                             ;   in Loop: Header=BB325_1055 Depth=1
	v_ffbh_u32_e32 v11, v11
	v_min_u32_e32 v118, 32, v11
	v_subrev_nc_u32_e32 v11, 28, v118
	v_lshlrev_b64 v[11:12], v11, v[0:1]
	v_sub_nc_u32_e32 v12, 29, v118
	v_and_b32_e32 v11, 7, v11
; %bb.1776:                             ;   in Loop: Header=BB325_1055 Depth=1
	s_or_b32 exec_lo, exec_lo, s18
	v_lshlrev_b32_e32 v0, 8, v0
	v_lshl_add_u32 v12, v12, 10, 0x2000
	v_lshlrev_b32_e32 v11, 23, v11
	v_and_or_b32 v0, 0x8000, v0, v12
	v_lshl_or_b32 v11, v0, 16, v11
.LBB325_1777:                           ;   in Loop: Header=BB325_1055 Depth=1
	s_or_b32 exec_lo, exec_lo, s15
.LBB325_1778:                           ;   in Loop: Header=BB325_1055 Depth=1
	s_or_b32 exec_lo, exec_lo, s13
.LBB325_1779:                           ;   in Loop: Header=BB325_1055 Depth=1
	s_or_b32 exec_lo, exec_lo, s12
	v_or_b32_e32 v0, v35, v114
	s_waitcnt vmcnt(0) lgkmcnt(0)
	v_fma_mixlo_f16 v12, v6, v35, 0 op_sel:[0,1,0] op_sel_hi:[0,1,0]
	v_or_b32_e32 v35, v32, v33
	v_fma_mixlo_f16 v32, v6, v32, 0 op_sel:[0,1,0] op_sel_hi:[0,1,0]
	v_or_b32_e32 v114, v117, v116
	v_fma_mixlo_f16 v116, v6, v0, 0 op_sel_hi:[0,1,0]
	v_or_b32_e32 v115, v11, v115
	v_lshlrev_b32_e32 v0, 16, v12
	v_lshlrev_b32_e32 v33, 16, v32
	v_fma_mixlo_f16 v32, v6, v35, 0 op_sel_hi:[0,1,0]
	v_and_b32_e32 v12, 0xffff, v116
	v_fma_mixlo_f16 v35, v6, v117, 0 op_sel:[0,1,0] op_sel_hi:[0,1,0]
	v_fma_mixlo_f16 v114, v6, v114, 0 op_sel_hi:[0,1,0]
	v_fma_mixlo_f16 v116, v6, v11, 0 op_sel:[0,1,0] op_sel_hi:[0,1,0]
	v_fma_mixlo_f16 v115, v6, v115, 0 op_sel_hi:[0,1,0]
	v_and_b32_e32 v118, 0xffff, v32
	v_lshlrev_b32_e32 v11, 16, v35
	v_and_b32_e32 v114, 0xffff, v114
	v_lshlrev_b32_e32 v6, 16, v116
	v_and_b32_e32 v32, 0xffff, v115
	v_or_b32_e32 v35, v0, v12
	v_or_b32_e32 v117, v33, v118
	;; [unrolled: 1-line block ×4, first 2 shown]
	s_and_saveexec_b32 s12, vcc_lo
	s_cbranch_execz .LBB325_1781
; %bb.1780:                             ;   in Loop: Header=BB325_1055 Depth=1
	v_cmp_lt_i32_e64 s4, v55, v34
	v_cndmask_b32_e64 v35, 0, v118, s4
	v_cmp_lt_i32_e64 s4, v83, v34
	v_cndmask_b32_e64 v33, 0, v33, s4
	v_cmp_lt_i32_e64 s4, v82, v34
	v_or_b32_e32 v117, v35, v33
	v_cndmask_b32_e64 v12, 0, v12, s4
	v_cmp_lt_i32_e64 s4, v81, v34
	v_cndmask_b32_e64 v0, 0, v0, s4
	v_cmp_lt_i32_e64 s4, v80, v34
	v_or_b32_e32 v35, v12, v0
	;; [unrolled: 5-line block ×3, first 2 shown]
	v_cndmask_b32_e64 v32, 0, v32, s4
	v_cmp_lt_i32_e64 s4, v14, v34
	v_cndmask_b32_e64 v6, 0, v6, s4
	v_or_b32_e32 v115, v32, v6
.LBB325_1781:                           ;   in Loop: Header=BB325_1055 Depth=1
	s_or_b32 exec_lo, exec_lo, s12
	;;#ASMSTART
	v_pk_mul_f16 v0, v68, v117;

	;;#ASMEND
	;;#ASMSTART
	v_pk_mul_f16 v6, v66, v35;

	;;#ASMEND
	;; [unrolled: 4-line block ×4, first 2 shown]
	;;#ASMSTART
	v_pk_add_f16 v0, v0, v6;

	;;#ASMEND
	;;#ASMSTART
	v_pk_add_f16 v0, v0, v11;

	;;#ASMEND
	;; [unrolled: 4-line block ×3, first 2 shown]
	v_and_b32_e32 v6, 0xffff, v0
	v_lshrrev_b32_e32 v0, 16, v0
	;;#ASMSTART
	v_cvt_f32_f16 v6, v6;
	;;#ASMEND
	;;#ASMSTART
	v_cvt_f32_f16 v32, v0;
	;;#ASMEND
	flat_load_dwordx2 v[11:12], v[9:10] offset:768
	flat_load_dword v33, v[26:27]
	v_mov_b32_e32 v35, 0
	v_mov_b32_e32 v114, 0
	s_waitcnt vmcnt(1) lgkmcnt(1)
	v_cmp_ne_u16_sdwa s4, v11, v1 src0_sel:BYTE_0 src1_sel:DWORD
	s_and_saveexec_b32 s12, s4
	s_cbranch_execz .LBB325_1789
; %bb.1782:                             ;   in Loop: Header=BB325_1055 Depth=1
	v_cmp_ne_u16_sdwa s4, v11, v16 src0_sel:BYTE_0 src1_sel:DWORD
	v_mov_b32_e32 v114, 0x8000
	s_and_saveexec_b32 s13, s4
	s_cbranch_execz .LBB325_1788
; %bb.1783:                             ;   in Loop: Header=BB325_1055 Depth=1
	v_and_b32_e32 v115, 0x7f, v11
	v_mov_b32_e32 v114, 0x7c01
	s_mov_b32 s15, exec_lo
	v_cmpx_ne_u32_e32 0x7f, v115
	s_cbranch_execz .LBB325_1787
; %bb.1784:                             ;   in Loop: Header=BB325_1055 Depth=1
	v_and_b32_e32 v0, 7, v11
	v_lshrrev_b32_e32 v114, 3, v115
	s_mov_b32 s18, exec_lo
	v_cmpx_gt_u32_e32 8, v115
; %bb.1785:                             ;   in Loop: Header=BB325_1055 Depth=1
	v_ffbh_u32_e32 v0, v0
	v_min_u32_e32 v0, 32, v0
	v_subrev_nc_u32_e32 v114, 28, v0
	v_lshlrev_b64 v[115:116], v114, v[11:12]
	v_sub_nc_u32_e32 v114, 29, v0
	v_and_b32_e32 v0, 7, v115
; %bb.1786:                             ;   in Loop: Header=BB325_1055 Depth=1
	s_or_b32 exec_lo, exec_lo, s18
	v_lshlrev_b32_e32 v115, 8, v11
	v_lshl_add_u32 v114, v114, 10, 0x2000
	v_lshlrev_b32_e32 v0, 7, v0
	v_and_b32_e32 v115, 0x8000, v115
	v_and_b32_e32 v114, 0xfc00, v114
	v_or3_b32 v114, v115, v114, v0
.LBB325_1787:                           ;   in Loop: Header=BB325_1055 Depth=1
	s_or_b32 exec_lo, exec_lo, s15
.LBB325_1788:                           ;   in Loop: Header=BB325_1055 Depth=1
	s_or_b32 exec_lo, exec_lo, s13
.LBB325_1789:                           ;   in Loop: Header=BB325_1055 Depth=1
	s_or_b32 exec_lo, exec_lo, s12
	v_lshrrev_b16 v0, 8, v11
	s_mov_b32 s12, exec_lo
	v_cmpx_ne_u16_e32 0, v0
	s_cbranch_execz .LBB325_1797
; %bb.1790:                             ;   in Loop: Header=BB325_1055 Depth=1
	v_bfrev_b32_e32 v35, 1
	s_mov_b32 s13, exec_lo
	v_cmpx_ne_u16_e32 0x80, v0
	s_cbranch_execz .LBB325_1796
; %bb.1791:                             ;   in Loop: Header=BB325_1055 Depth=1
	v_and_b32_sdwa v116, v0, v17 dst_sel:DWORD dst_unused:UNUSED_PAD src0_sel:WORD_0 src1_sel:DWORD
	v_mov_b32_e32 v35, 0x7c010000
	s_mov_b32 s15, exec_lo
	v_cmpx_ne_u32_e32 0x7f, v116
	s_cbranch_execz .LBB325_1795
; %bb.1792:                             ;   in Loop: Header=BB325_1055 Depth=1
	v_and_b32_sdwa v35, v0, v37 dst_sel:DWORD dst_unused:UNUSED_PAD src0_sel:WORD_0 src1_sel:DWORD
	v_lshrrev_b32_e32 v115, 3, v116
	s_mov_b32 s18, exec_lo
	v_cmpx_gt_u32_e32 8, v116
; %bb.1793:                             ;   in Loop: Header=BB325_1055 Depth=1
	v_ffbh_u32_e32 v35, v35
	v_min_u32_e32 v35, 32, v35
	v_subrev_nc_u32_e32 v115, 28, v35
	v_lshlrev_b64 v[116:117], v115, v[0:1]
	v_sub_nc_u32_e32 v115, 29, v35
	v_and_b32_e32 v35, 7, v116
; %bb.1794:                             ;   in Loop: Header=BB325_1055 Depth=1
	s_or_b32 exec_lo, exec_lo, s18
	v_lshlrev_b32_sdwa v0, v54, v0 dst_sel:DWORD dst_unused:UNUSED_PAD src0_sel:DWORD src1_sel:WORD_0
	v_lshl_add_u32 v115, v115, 10, 0x2000
	v_lshlrev_b32_e32 v35, 23, v35
	v_and_or_b32 v0, 0x8000, v0, v115
	v_lshl_or_b32 v35, v0, 16, v35
.LBB325_1795:                           ;   in Loop: Header=BB325_1055 Depth=1
	s_or_b32 exec_lo, exec_lo, s15
.LBB325_1796:                           ;   in Loop: Header=BB325_1055 Depth=1
	s_or_b32 exec_lo, exec_lo, s13
.LBB325_1797:                           ;   in Loop: Header=BB325_1055 Depth=1
	s_or_b32 exec_lo, exec_lo, s12
	v_lshrrev_b32_e32 v0, 16, v11
	v_mov_b32_e32 v115, 0
	v_mov_b32_e32 v116, 0
	v_cmp_ne_u16_sdwa s4, v0, v1 src0_sel:BYTE_0 src1_sel:DWORD
	s_and_saveexec_b32 s12, s4
	s_cbranch_execz .LBB325_1805
; %bb.1798:                             ;   in Loop: Header=BB325_1055 Depth=1
	v_cmp_ne_u16_sdwa s4, v0, v16 src0_sel:BYTE_0 src1_sel:DWORD
	v_mov_b32_e32 v116, 0x8000
	s_and_saveexec_b32 s13, s4
	s_cbranch_execz .LBB325_1804
; %bb.1799:                             ;   in Loop: Header=BB325_1055 Depth=1
	v_bfe_u32 v118, v11, 16, 7
	v_mov_b32_e32 v116, 0x7c01
	s_mov_b32 s15, exec_lo
	v_cmpx_ne_u32_e32 0x7f, v118
	s_cbranch_execz .LBB325_1803
; %bb.1800:                             ;   in Loop: Header=BB325_1055 Depth=1
	v_and_b32_e32 v116, 7, v0
	v_lshrrev_b32_e32 v117, 3, v118
	s_mov_b32 s18, exec_lo
	v_cmpx_gt_u32_e32 8, v118
; %bb.1801:                             ;   in Loop: Header=BB325_1055 Depth=1
	v_ffbh_u32_e32 v116, v116
	v_min_u32_e32 v118, 32, v116
	v_subrev_nc_u32_e32 v116, 28, v118
	v_lshlrev_b64 v[116:117], v116, v[0:1]
	v_sub_nc_u32_e32 v117, 29, v118
	v_and_b32_e32 v116, 7, v116
; %bb.1802:                             ;   in Loop: Header=BB325_1055 Depth=1
	s_or_b32 exec_lo, exec_lo, s18
	v_lshlrev_b32_e32 v0, 8, v0
	v_lshl_add_u32 v117, v117, 10, 0x2000
	v_lshlrev_b32_e32 v116, 7, v116
	v_and_b32_e32 v0, 0x8000, v0
	v_and_b32_e32 v117, 0xfc00, v117
	v_or3_b32 v116, v0, v117, v116
.LBB325_1803:                           ;   in Loop: Header=BB325_1055 Depth=1
	s_or_b32 exec_lo, exec_lo, s15
.LBB325_1804:                           ;   in Loop: Header=BB325_1055 Depth=1
	s_or_b32 exec_lo, exec_lo, s13
.LBB325_1805:                           ;   in Loop: Header=BB325_1055 Depth=1
	s_or_b32 exec_lo, exec_lo, s12
	s_mov_b32 s12, exec_lo
	v_cmpx_lt_u32_e32 0xffffff, v11
	s_cbranch_execz .LBB325_1813
; %bb.1806:                             ;   in Loop: Header=BB325_1055 Depth=1
	v_lshrrev_b32_e32 v0, 24, v11
	v_bfrev_b32_e32 v115, 1
	s_mov_b32 s13, exec_lo
	v_cmpx_ne_u32_e32 0x80, v0
	s_cbranch_execz .LBB325_1812
; %bb.1807:                             ;   in Loop: Header=BB325_1055 Depth=1
	v_and_b32_e32 v118, 0x7f, v0
	v_mov_b32_e32 v115, 0x7c010000
	s_mov_b32 s15, exec_lo
	v_cmpx_ne_u32_e32 0x7f, v118
	s_cbranch_execz .LBB325_1811
; %bb.1808:                             ;   in Loop: Header=BB325_1055 Depth=1
	v_and_b32_e32 v115, 7, v0
	v_lshrrev_b32_e32 v117, 3, v118
	s_mov_b32 s18, exec_lo
	v_cmpx_gt_u32_e32 8, v118
; %bb.1809:                             ;   in Loop: Header=BB325_1055 Depth=1
	v_ffbh_u32_e32 v115, v115
	v_min_u32_e32 v115, 32, v115
	v_subrev_nc_u32_e32 v117, 28, v115
	v_lshlrev_b64 v[118:119], v117, v[0:1]
	v_sub_nc_u32_e32 v117, 29, v115
	v_and_b32_e32 v115, 7, v118
; %bb.1810:                             ;   in Loop: Header=BB325_1055 Depth=1
	s_or_b32 exec_lo, exec_lo, s18
	v_lshlrev_b32_e32 v0, 8, v0
	v_lshl_add_u32 v117, v117, 10, 0x2000
	v_lshlrev_b32_e32 v115, 23, v115
	v_and_or_b32 v0, 0x8000, v0, v117
	v_lshl_or_b32 v115, v0, 16, v115
.LBB325_1811:                           ;   in Loop: Header=BB325_1055 Depth=1
	s_or_b32 exec_lo, exec_lo, s15
.LBB325_1812:                           ;   in Loop: Header=BB325_1055 Depth=1
	s_or_b32 exec_lo, exec_lo, s13
.LBB325_1813:                           ;   in Loop: Header=BB325_1055 Depth=1
	s_or_b32 exec_lo, exec_lo, s12
	v_mov_b32_e32 v0, v12
	v_cmp_ne_u16_sdwa s4, v12, v1 src0_sel:BYTE_0 src1_sel:DWORD
	v_mov_b32_e32 v117, 0
	v_mov_b32_e32 v118, 0
	s_and_saveexec_b32 s12, s4
	s_cbranch_execz .LBB325_1821
; %bb.1814:                             ;   in Loop: Header=BB325_1055 Depth=1
	v_cmp_ne_u16_sdwa s4, v12, v16 src0_sel:BYTE_0 src1_sel:DWORD
	v_mov_b32_e32 v118, 0x8000
	s_and_saveexec_b32 s13, s4
	s_cbranch_execz .LBB325_1820
; %bb.1815:                             ;   in Loop: Header=BB325_1055 Depth=1
	v_and_b32_e32 v40, 0x7f, v12
	v_mov_b32_e32 v118, 0x7c01
	s_mov_b32 s15, exec_lo
	v_cmpx_ne_u32_e32 0x7f, v40
	s_cbranch_execz .LBB325_1819
; %bb.1816:                             ;   in Loop: Header=BB325_1055 Depth=1
	v_and_b32_e32 v118, 7, v12
	v_lshrrev_b32_e32 v119, 3, v40
	s_mov_b32 s18, exec_lo
	v_cmpx_gt_u32_e32 8, v40
; %bb.1817:                             ;   in Loop: Header=BB325_1055 Depth=1
	v_ffbh_u32_e32 v118, v118
	v_min_u32_e32 v40, 32, v118
	v_subrev_nc_u32_e32 v118, 28, v40
	v_lshlrev_b64 v[118:119], v118, v[0:1]
	v_sub_nc_u32_e32 v119, 29, v40
	v_and_b32_e32 v118, 7, v118
; %bb.1818:                             ;   in Loop: Header=BB325_1055 Depth=1
	s_or_b32 exec_lo, exec_lo, s18
	v_lshlrev_b32_e32 v40, 8, v12
	v_lshl_add_u32 v119, v119, 10, 0x2000
	v_lshlrev_b32_e32 v118, 7, v118
	v_and_b32_e32 v40, 0x8000, v40
	v_and_b32_e32 v119, 0xfc00, v119
	v_or3_b32 v118, v40, v119, v118
.LBB325_1819:                           ;   in Loop: Header=BB325_1055 Depth=1
	s_or_b32 exec_lo, exec_lo, s15
.LBB325_1820:                           ;   in Loop: Header=BB325_1055 Depth=1
	s_or_b32 exec_lo, exec_lo, s13
.LBB325_1821:                           ;   in Loop: Header=BB325_1055 Depth=1
	s_or_b32 exec_lo, exec_lo, s12
	v_lshrrev_b16 v0, 8, v0
	v_mov_b32_e32 v119, 0
	s_mov_b32 s12, exec_lo
	v_cmpx_ne_u16_e32 0, v0
	s_cbranch_execz .LBB325_1829
; %bb.1822:                             ;   in Loop: Header=BB325_1055 Depth=1
	v_bfrev_b32_e32 v119, 1
	s_mov_b32 s13, exec_lo
	v_cmpx_ne_u16_e32 0x80, v0
	s_cbranch_execz .LBB325_1828
; %bb.1823:                             ;   in Loop: Header=BB325_1055 Depth=1
	v_and_b32_sdwa v41, v0, v17 dst_sel:DWORD dst_unused:UNUSED_PAD src0_sel:WORD_0 src1_sel:DWORD
	v_mov_b32_e32 v119, 0x7c010000
	s_mov_b32 s15, exec_lo
	v_cmpx_ne_u32_e32 0x7f, v41
	s_cbranch_execz .LBB325_1827
; %bb.1824:                             ;   in Loop: Header=BB325_1055 Depth=1
	v_and_b32_sdwa v119, v0, v37 dst_sel:DWORD dst_unused:UNUSED_PAD src0_sel:WORD_0 src1_sel:DWORD
	v_lshrrev_b32_e32 v40, 3, v41
	s_mov_b32 s18, exec_lo
	v_cmpx_gt_u32_e32 8, v41
; %bb.1825:                             ;   in Loop: Header=BB325_1055 Depth=1
	v_ffbh_u32_e32 v119, v119
	v_min_u32_e32 v119, 32, v119
	v_subrev_nc_u32_e32 v40, 28, v119
	v_lshlrev_b64 v[41:42], v40, v[0:1]
	v_sub_nc_u32_e32 v40, 29, v119
	v_and_b32_e32 v119, 7, v41
; %bb.1826:                             ;   in Loop: Header=BB325_1055 Depth=1
	s_or_b32 exec_lo, exec_lo, s18
	v_lshlrev_b32_sdwa v0, v54, v0 dst_sel:DWORD dst_unused:UNUSED_PAD src0_sel:DWORD src1_sel:WORD_0
	v_lshl_add_u32 v40, v40, 10, 0x2000
	v_lshlrev_b32_e32 v119, 23, v119
	v_and_or_b32 v0, 0x8000, v0, v40
	v_lshl_or_b32 v119, v0, 16, v119
.LBB325_1827:                           ;   in Loop: Header=BB325_1055 Depth=1
	s_or_b32 exec_lo, exec_lo, s15
.LBB325_1828:                           ;   in Loop: Header=BB325_1055 Depth=1
	s_or_b32 exec_lo, exec_lo, s13
.LBB325_1829:                           ;   in Loop: Header=BB325_1055 Depth=1
	s_or_b32 exec_lo, exec_lo, s12
	v_lshrrev_b32_e32 v0, 16, v12
	v_cmp_ne_u16_sdwa s4, v0, v1 src0_sel:BYTE_0 src1_sel:DWORD
	s_and_saveexec_b32 s12, s4
	s_cbranch_execz .LBB325_1837
; %bb.1830:                             ;   in Loop: Header=BB325_1055 Depth=1
	v_cmp_ne_u16_sdwa s4, v0, v16 src0_sel:BYTE_0 src1_sel:DWORD
	v_mov_b32_e32 v117, 0x8000
	s_and_saveexec_b32 s13, s4
	s_cbranch_execz .LBB325_1836
; %bb.1831:                             ;   in Loop: Header=BB325_1055 Depth=1
	v_bfe_u32 v41, v12, 16, 7
	v_mov_b32_e32 v117, 0x7c01
	s_mov_b32 s15, exec_lo
	v_cmpx_ne_u32_e32 0x7f, v41
	s_cbranch_execz .LBB325_1835
; %bb.1832:                             ;   in Loop: Header=BB325_1055 Depth=1
	v_and_b32_e32 v117, 7, v0
	v_lshrrev_b32_e32 v40, 3, v41
	s_mov_b32 s18, exec_lo
	v_cmpx_gt_u32_e32 8, v41
; %bb.1833:                             ;   in Loop: Header=BB325_1055 Depth=1
	v_ffbh_u32_e32 v117, v117
	v_min_u32_e32 v117, 32, v117
	v_subrev_nc_u32_e32 v40, 28, v117
	v_lshlrev_b64 v[41:42], v40, v[0:1]
	v_sub_nc_u32_e32 v40, 29, v117
	v_and_b32_e32 v117, 7, v41
; %bb.1834:                             ;   in Loop: Header=BB325_1055 Depth=1
	s_or_b32 exec_lo, exec_lo, s18
	v_lshlrev_b32_e32 v0, 8, v0
	v_lshl_add_u32 v40, v40, 10, 0x2000
	v_lshlrev_b32_e32 v117, 7, v117
	v_and_b32_e32 v0, 0x8000, v0
	v_and_b32_e32 v40, 0xfc00, v40
	v_or3_b32 v117, v0, v40, v117
.LBB325_1835:                           ;   in Loop: Header=BB325_1055 Depth=1
	s_or_b32 exec_lo, exec_lo, s15
.LBB325_1836:                           ;   in Loop: Header=BB325_1055 Depth=1
	s_or_b32 exec_lo, exec_lo, s13
.LBB325_1837:                           ;   in Loop: Header=BB325_1055 Depth=1
	s_or_b32 exec_lo, exec_lo, s12
	v_cmp_lt_u64_e64 s4, s[8:9], v[11:12]
	v_mov_b32_e32 v11, 0
	s_and_saveexec_b32 s12, s4
	s_cbranch_execz .LBB325_1845
; %bb.1838:                             ;   in Loop: Header=BB325_1055 Depth=1
	v_lshrrev_b32_e32 v0, 24, v12
	v_bfrev_b32_e32 v11, 1
	s_mov_b32 s13, exec_lo
	v_cmpx_ne_u32_e32 0x80, v0
	s_cbranch_execz .LBB325_1844
; %bb.1839:                             ;   in Loop: Header=BB325_1055 Depth=1
	v_and_b32_e32 v40, 0x7f, v0
	v_mov_b32_e32 v11, 0x7c010000
	s_mov_b32 s15, exec_lo
	v_cmpx_ne_u32_e32 0x7f, v40
	s_cbranch_execz .LBB325_1843
; %bb.1840:                             ;   in Loop: Header=BB325_1055 Depth=1
	v_and_b32_e32 v11, 7, v0
	v_lshrrev_b32_e32 v12, 3, v40
	s_mov_b32 s18, exec_lo
	v_cmpx_gt_u32_e32 8, v40
; %bb.1841:                             ;   in Loop: Header=BB325_1055 Depth=1
	v_ffbh_u32_e32 v11, v11
	v_min_u32_e32 v40, 32, v11
	v_subrev_nc_u32_e32 v11, 28, v40
	v_lshlrev_b64 v[11:12], v11, v[0:1]
	v_sub_nc_u32_e32 v12, 29, v40
	v_and_b32_e32 v11, 7, v11
; %bb.1842:                             ;   in Loop: Header=BB325_1055 Depth=1
	s_or_b32 exec_lo, exec_lo, s18
	v_lshlrev_b32_e32 v0, 8, v0
	v_lshl_add_u32 v12, v12, 10, 0x2000
	v_lshlrev_b32_e32 v11, 23, v11
	v_and_or_b32 v0, 0x8000, v0, v12
	v_lshl_or_b32 v11, v0, 16, v11
.LBB325_1843:                           ;   in Loop: Header=BB325_1055 Depth=1
	s_or_b32 exec_lo, exec_lo, s15
.LBB325_1844:                           ;   in Loop: Header=BB325_1055 Depth=1
	s_or_b32 exec_lo, exec_lo, s13
.LBB325_1845:                           ;   in Loop: Header=BB325_1055 Depth=1
	s_or_b32 exec_lo, exec_lo, s12
	v_or_b32_e32 v0, v115, v116
	s_waitcnt vmcnt(0) lgkmcnt(0)
	v_fma_mixlo_f16 v12, v33, v115, 0 op_sel:[0,1,0] op_sel_hi:[0,1,0]
	v_or_b32_e32 v115, v35, v114
	v_fma_mixlo_f16 v35, v33, v35, 0 op_sel:[0,1,0] op_sel_hi:[0,1,0]
	v_or_b32_e32 v116, v119, v118
	v_or_b32_e32 v117, v11, v117
	v_fma_mixlo_f16 v118, v33, v0, 0 op_sel_hi:[0,1,0]
	v_fma_mixlo_f16 v11, v33, v11, 0 op_sel:[0,1,0] op_sel_hi:[0,1,0]
	v_lshlrev_b32_e32 v114, 16, v35
	v_fma_mixlo_f16 v35, v33, v115, 0 op_sel_hi:[0,1,0]
	v_fma_mixlo_f16 v115, v33, v119, 0 op_sel:[0,1,0] op_sel_hi:[0,1,0]
	v_fma_mixlo_f16 v116, v33, v116, 0 op_sel_hi:[0,1,0]
	v_fma_mixlo_f16 v117, v33, v117, 0 op_sel_hi:[0,1,0]
	v_lshlrev_b32_e32 v0, 16, v12
	v_and_b32_e32 v12, 0xffff, v118
	v_and_b32_e32 v40, 0xffff, v35
	v_lshlrev_b32_e32 v33, 16, v115
	v_and_b32_e32 v116, 0xffff, v116
	v_lshlrev_b32_e32 v11, 16, v11
	v_and_b32_e32 v35, 0xffff, v117
	v_or_b32_e32 v115, v0, v12
	v_or_b32_e32 v119, v114, v40
	;; [unrolled: 1-line block ×4, first 2 shown]
	s_and_saveexec_b32 s12, vcc_lo
	s_cbranch_execz .LBB325_1847
; %bb.1846:                             ;   in Loop: Header=BB325_1055 Depth=1
	v_cmp_lt_i32_e64 s4, v55, v34
	v_cndmask_b32_e64 v115, 0, v40, s4
	v_cmp_lt_i32_e64 s4, v83, v34
	v_cndmask_b32_e64 v114, 0, v114, s4
	v_cmp_lt_i32_e64 s4, v82, v34
	v_or_b32_e32 v119, v115, v114
	v_cndmask_b32_e64 v12, 0, v12, s4
	v_cmp_lt_i32_e64 s4, v81, v34
	v_cndmask_b32_e64 v0, 0, v0, s4
	v_cmp_lt_i32_e64 s4, v80, v34
	v_or_b32_e32 v115, v12, v0
	;; [unrolled: 5-line block ×3, first 2 shown]
	v_cndmask_b32_e64 v35, 0, v35, s4
	v_cmp_lt_i32_e64 s4, v14, v34
	v_cndmask_b32_e64 v11, 0, v11, s4
	v_or_b32_e32 v117, v35, v11
.LBB325_1847:                           ;   in Loop: Header=BB325_1055 Depth=1
	s_or_b32 exec_lo, exec_lo, s12
	;;#ASMSTART
	v_pk_mul_f16 v0, v68, v119;

	;;#ASMEND
	;;#ASMSTART
	v_pk_mul_f16 v11, v66, v115;

	;;#ASMEND
	;; [unrolled: 4-line block ×4, first 2 shown]
	;;#ASMSTART
	v_pk_add_f16 v0, v0, v11;

	;;#ASMEND
	;;#ASMSTART
	v_pk_add_f16 v0, v0, v12;

	;;#ASMEND
	;; [unrolled: 4-line block ×3, first 2 shown]
	v_and_b32_e32 v11, 0xffff, v0
	v_lshrrev_b32_e32 v0, 16, v0
	;;#ASMSTART
	v_cvt_f32_f16 v33, v11;
	;;#ASMEND
	;;#ASMSTART
	v_cvt_f32_f16 v35, v0;
	;;#ASMEND
	flat_load_dwordx2 v[11:12], v[9:10] offset:1024
	flat_load_dword v114, v[26:27]
	v_mov_b32_e32 v115, 0
	v_mov_b32_e32 v116, 0
	s_waitcnt vmcnt(1) lgkmcnt(1)
	v_cmp_ne_u16_sdwa s4, v11, v1 src0_sel:BYTE_0 src1_sel:DWORD
	s_and_saveexec_b32 s12, s4
	s_cbranch_execz .LBB325_1855
; %bb.1848:                             ;   in Loop: Header=BB325_1055 Depth=1
	v_cmp_ne_u16_sdwa s4, v11, v16 src0_sel:BYTE_0 src1_sel:DWORD
	v_mov_b32_e32 v116, 0x8000
	s_and_saveexec_b32 s13, s4
	s_cbranch_execz .LBB325_1854
; %bb.1849:                             ;   in Loop: Header=BB325_1055 Depth=1
	v_and_b32_e32 v117, 0x7f, v11
	v_mov_b32_e32 v116, 0x7c01
	s_mov_b32 s15, exec_lo
	v_cmpx_ne_u32_e32 0x7f, v117
	s_cbranch_execz .LBB325_1853
; %bb.1850:                             ;   in Loop: Header=BB325_1055 Depth=1
	v_and_b32_e32 v0, 7, v11
	v_lshrrev_b32_e32 v116, 3, v117
	s_mov_b32 s18, exec_lo
	v_cmpx_gt_u32_e32 8, v117
; %bb.1851:                             ;   in Loop: Header=BB325_1055 Depth=1
	v_ffbh_u32_e32 v0, v0
	v_min_u32_e32 v0, 32, v0
	v_subrev_nc_u32_e32 v116, 28, v0
	v_lshlrev_b64 v[117:118], v116, v[11:12]
	v_sub_nc_u32_e32 v116, 29, v0
	v_and_b32_e32 v0, 7, v117
; %bb.1852:                             ;   in Loop: Header=BB325_1055 Depth=1
	s_or_b32 exec_lo, exec_lo, s18
	v_lshlrev_b32_e32 v117, 8, v11
	v_lshl_add_u32 v116, v116, 10, 0x2000
	v_lshlrev_b32_e32 v0, 7, v0
	v_and_b32_e32 v117, 0x8000, v117
	v_and_b32_e32 v116, 0xfc00, v116
	v_or3_b32 v116, v117, v116, v0
.LBB325_1853:                           ;   in Loop: Header=BB325_1055 Depth=1
	s_or_b32 exec_lo, exec_lo, s15
.LBB325_1854:                           ;   in Loop: Header=BB325_1055 Depth=1
	s_or_b32 exec_lo, exec_lo, s13
.LBB325_1855:                           ;   in Loop: Header=BB325_1055 Depth=1
	s_or_b32 exec_lo, exec_lo, s12
	v_lshrrev_b16 v0, 8, v11
	s_mov_b32 s12, exec_lo
	v_cmpx_ne_u16_e32 0, v0
	s_cbranch_execz .LBB325_1863
; %bb.1856:                             ;   in Loop: Header=BB325_1055 Depth=1
	v_bfrev_b32_e32 v115, 1
	s_mov_b32 s13, exec_lo
	v_cmpx_ne_u16_e32 0x80, v0
	s_cbranch_execz .LBB325_1862
; %bb.1857:                             ;   in Loop: Header=BB325_1055 Depth=1
	v_and_b32_sdwa v118, v0, v17 dst_sel:DWORD dst_unused:UNUSED_PAD src0_sel:WORD_0 src1_sel:DWORD
	v_mov_b32_e32 v115, 0x7c010000
	s_mov_b32 s15, exec_lo
	v_cmpx_ne_u32_e32 0x7f, v118
	s_cbranch_execz .LBB325_1861
; %bb.1858:                             ;   in Loop: Header=BB325_1055 Depth=1
	v_and_b32_sdwa v115, v0, v37 dst_sel:DWORD dst_unused:UNUSED_PAD src0_sel:WORD_0 src1_sel:DWORD
	v_lshrrev_b32_e32 v117, 3, v118
	s_mov_b32 s18, exec_lo
	v_cmpx_gt_u32_e32 8, v118
; %bb.1859:                             ;   in Loop: Header=BB325_1055 Depth=1
	v_ffbh_u32_e32 v115, v115
	v_min_u32_e32 v115, 32, v115
	v_subrev_nc_u32_e32 v117, 28, v115
	v_lshlrev_b64 v[118:119], v117, v[0:1]
	v_sub_nc_u32_e32 v117, 29, v115
	v_and_b32_e32 v115, 7, v118
; %bb.1860:                             ;   in Loop: Header=BB325_1055 Depth=1
	s_or_b32 exec_lo, exec_lo, s18
	v_lshlrev_b32_sdwa v0, v54, v0 dst_sel:DWORD dst_unused:UNUSED_PAD src0_sel:DWORD src1_sel:WORD_0
	v_lshl_add_u32 v117, v117, 10, 0x2000
	v_lshlrev_b32_e32 v115, 23, v115
	v_and_or_b32 v0, 0x8000, v0, v117
	v_lshl_or_b32 v115, v0, 16, v115
.LBB325_1861:                           ;   in Loop: Header=BB325_1055 Depth=1
	s_or_b32 exec_lo, exec_lo, s15
.LBB325_1862:                           ;   in Loop: Header=BB325_1055 Depth=1
	s_or_b32 exec_lo, exec_lo, s13
.LBB325_1863:                           ;   in Loop: Header=BB325_1055 Depth=1
	s_or_b32 exec_lo, exec_lo, s12
	v_lshrrev_b32_e32 v0, 16, v11
	v_mov_b32_e32 v117, 0
	v_mov_b32_e32 v118, 0
	v_cmp_ne_u16_sdwa s4, v0, v1 src0_sel:BYTE_0 src1_sel:DWORD
	s_and_saveexec_b32 s12, s4
	s_cbranch_execz .LBB325_1871
; %bb.1864:                             ;   in Loop: Header=BB325_1055 Depth=1
	v_cmp_ne_u16_sdwa s4, v0, v16 src0_sel:BYTE_0 src1_sel:DWORD
	v_mov_b32_e32 v118, 0x8000
	s_and_saveexec_b32 s13, s4
	s_cbranch_execz .LBB325_1870
; %bb.1865:                             ;   in Loop: Header=BB325_1055 Depth=1
	v_bfe_u32 v40, v11, 16, 7
	v_mov_b32_e32 v118, 0x7c01
	s_mov_b32 s15, exec_lo
	v_cmpx_ne_u32_e32 0x7f, v40
	s_cbranch_execz .LBB325_1869
; %bb.1866:                             ;   in Loop: Header=BB325_1055 Depth=1
	v_and_b32_e32 v118, 7, v0
	v_lshrrev_b32_e32 v119, 3, v40
	s_mov_b32 s18, exec_lo
	v_cmpx_gt_u32_e32 8, v40
; %bb.1867:                             ;   in Loop: Header=BB325_1055 Depth=1
	v_ffbh_u32_e32 v118, v118
	v_min_u32_e32 v40, 32, v118
	v_subrev_nc_u32_e32 v118, 28, v40
	v_lshlrev_b64 v[118:119], v118, v[0:1]
	v_sub_nc_u32_e32 v119, 29, v40
	v_and_b32_e32 v118, 7, v118
; %bb.1868:                             ;   in Loop: Header=BB325_1055 Depth=1
	s_or_b32 exec_lo, exec_lo, s18
	v_lshlrev_b32_e32 v0, 8, v0
	v_lshl_add_u32 v119, v119, 10, 0x2000
	v_lshlrev_b32_e32 v118, 7, v118
	v_and_b32_e32 v0, 0x8000, v0
	v_and_b32_e32 v119, 0xfc00, v119
	v_or3_b32 v118, v0, v119, v118
.LBB325_1869:                           ;   in Loop: Header=BB325_1055 Depth=1
	s_or_b32 exec_lo, exec_lo, s15
.LBB325_1870:                           ;   in Loop: Header=BB325_1055 Depth=1
	s_or_b32 exec_lo, exec_lo, s13
.LBB325_1871:                           ;   in Loop: Header=BB325_1055 Depth=1
	s_or_b32 exec_lo, exec_lo, s12
	s_mov_b32 s12, exec_lo
	v_cmpx_lt_u32_e32 0xffffff, v11
	s_cbranch_execz .LBB325_1879
; %bb.1872:                             ;   in Loop: Header=BB325_1055 Depth=1
	v_lshrrev_b32_e32 v0, 24, v11
	v_bfrev_b32_e32 v117, 1
	s_mov_b32 s13, exec_lo
	v_cmpx_ne_u32_e32 0x80, v0
	s_cbranch_execz .LBB325_1878
; %bb.1873:                             ;   in Loop: Header=BB325_1055 Depth=1
	v_and_b32_e32 v40, 0x7f, v0
	v_mov_b32_e32 v117, 0x7c010000
	s_mov_b32 s15, exec_lo
	v_cmpx_ne_u32_e32 0x7f, v40
	s_cbranch_execz .LBB325_1877
; %bb.1874:                             ;   in Loop: Header=BB325_1055 Depth=1
	v_and_b32_e32 v117, 7, v0
	v_lshrrev_b32_e32 v119, 3, v40
	s_mov_b32 s18, exec_lo
	v_cmpx_gt_u32_e32 8, v40
; %bb.1875:                             ;   in Loop: Header=BB325_1055 Depth=1
	v_ffbh_u32_e32 v117, v117
	v_min_u32_e32 v117, 32, v117
	v_subrev_nc_u32_e32 v119, 28, v117
	v_lshlrev_b64 v[40:41], v119, v[0:1]
	v_sub_nc_u32_e32 v119, 29, v117
	v_and_b32_e32 v117, 7, v40
; %bb.1876:                             ;   in Loop: Header=BB325_1055 Depth=1
	s_or_b32 exec_lo, exec_lo, s18
	v_lshlrev_b32_e32 v0, 8, v0
	v_lshl_add_u32 v119, v119, 10, 0x2000
	v_lshlrev_b32_e32 v117, 23, v117
	v_and_or_b32 v0, 0x8000, v0, v119
	v_lshl_or_b32 v117, v0, 16, v117
.LBB325_1877:                           ;   in Loop: Header=BB325_1055 Depth=1
	s_or_b32 exec_lo, exec_lo, s15
.LBB325_1878:                           ;   in Loop: Header=BB325_1055 Depth=1
	s_or_b32 exec_lo, exec_lo, s13
.LBB325_1879:                           ;   in Loop: Header=BB325_1055 Depth=1
	s_or_b32 exec_lo, exec_lo, s12
	v_mov_b32_e32 v0, v12
	v_cmp_ne_u16_sdwa s4, v12, v1 src0_sel:BYTE_0 src1_sel:DWORD
	v_mov_b32_e32 v119, 0
	v_mov_b32_e32 v40, 0
	s_and_saveexec_b32 s12, s4
	s_cbranch_execz .LBB325_1887
; %bb.1880:                             ;   in Loop: Header=BB325_1055 Depth=1
	v_cmp_ne_u16_sdwa s4, v12, v16 src0_sel:BYTE_0 src1_sel:DWORD
	v_mov_b32_e32 v40, 0x8000
	s_and_saveexec_b32 s13, s4
	s_cbranch_execz .LBB325_1886
; %bb.1881:                             ;   in Loop: Header=BB325_1055 Depth=1
	v_and_b32_e32 v42, 0x7f, v12
	v_mov_b32_e32 v40, 0x7c01
	s_mov_b32 s15, exec_lo
	v_cmpx_ne_u32_e32 0x7f, v42
	s_cbranch_execz .LBB325_1885
; %bb.1882:                             ;   in Loop: Header=BB325_1055 Depth=1
	v_and_b32_e32 v40, 7, v12
	v_lshrrev_b32_e32 v41, 3, v42
	s_mov_b32 s18, exec_lo
	v_cmpx_gt_u32_e32 8, v42
; %bb.1883:                             ;   in Loop: Header=BB325_1055 Depth=1
	v_ffbh_u32_e32 v40, v40
	v_min_u32_e32 v42, 32, v40
	v_subrev_nc_u32_e32 v40, 28, v42
	v_lshlrev_b64 v[40:41], v40, v[0:1]
	v_sub_nc_u32_e32 v41, 29, v42
	v_and_b32_e32 v40, 7, v40
; %bb.1884:                             ;   in Loop: Header=BB325_1055 Depth=1
	s_or_b32 exec_lo, exec_lo, s18
	v_lshlrev_b32_e32 v42, 8, v12
	v_lshl_add_u32 v41, v41, 10, 0x2000
	v_lshlrev_b32_e32 v40, 7, v40
	v_and_b32_e32 v42, 0x8000, v42
	v_and_b32_e32 v41, 0xfc00, v41
	v_or3_b32 v40, v42, v41, v40
.LBB325_1885:                           ;   in Loop: Header=BB325_1055 Depth=1
	s_or_b32 exec_lo, exec_lo, s15
.LBB325_1886:                           ;   in Loop: Header=BB325_1055 Depth=1
	s_or_b32 exec_lo, exec_lo, s13
.LBB325_1887:                           ;   in Loop: Header=BB325_1055 Depth=1
	s_or_b32 exec_lo, exec_lo, s12
	v_lshrrev_b16 v0, 8, v0
	v_mov_b32_e32 v41, 0
	s_mov_b32 s12, exec_lo
	v_cmpx_ne_u16_e32 0, v0
	s_cbranch_execz .LBB325_1895
; %bb.1888:                             ;   in Loop: Header=BB325_1055 Depth=1
	v_bfrev_b32_e32 v41, 1
	s_mov_b32 s13, exec_lo
	v_cmpx_ne_u16_e32 0x80, v0
	s_cbranch_execz .LBB325_1894
; %bb.1889:                             ;   in Loop: Header=BB325_1055 Depth=1
	v_and_b32_sdwa v43, v0, v17 dst_sel:DWORD dst_unused:UNUSED_PAD src0_sel:WORD_0 src1_sel:DWORD
	v_mov_b32_e32 v41, 0x7c010000
	s_mov_b32 s15, exec_lo
	v_cmpx_ne_u32_e32 0x7f, v43
	s_cbranch_execz .LBB325_1893
; %bb.1890:                             ;   in Loop: Header=BB325_1055 Depth=1
	v_and_b32_sdwa v41, v0, v37 dst_sel:DWORD dst_unused:UNUSED_PAD src0_sel:WORD_0 src1_sel:DWORD
	v_lshrrev_b32_e32 v42, 3, v43
	s_mov_b32 s18, exec_lo
	v_cmpx_gt_u32_e32 8, v43
; %bb.1891:                             ;   in Loop: Header=BB325_1055 Depth=1
	v_ffbh_u32_e32 v41, v41
	v_min_u32_e32 v43, 32, v41
	v_subrev_nc_u32_e32 v41, 28, v43
	v_lshlrev_b64 v[41:42], v41, v[0:1]
	v_sub_nc_u32_e32 v42, 29, v43
	v_and_b32_e32 v41, 7, v41
; %bb.1892:                             ;   in Loop: Header=BB325_1055 Depth=1
	s_or_b32 exec_lo, exec_lo, s18
	v_lshlrev_b32_sdwa v0, v54, v0 dst_sel:DWORD dst_unused:UNUSED_PAD src0_sel:DWORD src1_sel:WORD_0
	v_lshl_add_u32 v42, v42, 10, 0x2000
	v_lshlrev_b32_e32 v41, 23, v41
	v_and_or_b32 v0, 0x8000, v0, v42
	v_lshl_or_b32 v41, v0, 16, v41
.LBB325_1893:                           ;   in Loop: Header=BB325_1055 Depth=1
	s_or_b32 exec_lo, exec_lo, s15
.LBB325_1894:                           ;   in Loop: Header=BB325_1055 Depth=1
	s_or_b32 exec_lo, exec_lo, s13
.LBB325_1895:                           ;   in Loop: Header=BB325_1055 Depth=1
	s_or_b32 exec_lo, exec_lo, s12
	v_lshrrev_b32_e32 v0, 16, v12
	v_cmp_ne_u16_sdwa s4, v0, v1 src0_sel:BYTE_0 src1_sel:DWORD
	s_and_saveexec_b32 s12, s4
	s_cbranch_execz .LBB325_1903
; %bb.1896:                             ;   in Loop: Header=BB325_1055 Depth=1
	v_cmp_ne_u16_sdwa s4, v0, v16 src0_sel:BYTE_0 src1_sel:DWORD
	v_mov_b32_e32 v119, 0x8000
	s_and_saveexec_b32 s13, s4
	s_cbranch_execz .LBB325_1902
; %bb.1897:                             ;   in Loop: Header=BB325_1055 Depth=1
	v_bfe_u32 v43, v12, 16, 7
	v_mov_b32_e32 v119, 0x7c01
	s_mov_b32 s15, exec_lo
	v_cmpx_ne_u32_e32 0x7f, v43
	s_cbranch_execz .LBB325_1901
; %bb.1898:                             ;   in Loop: Header=BB325_1055 Depth=1
	v_and_b32_e32 v119, 7, v0
	v_lshrrev_b32_e32 v42, 3, v43
	s_mov_b32 s18, exec_lo
	v_cmpx_gt_u32_e32 8, v43
; %bb.1899:                             ;   in Loop: Header=BB325_1055 Depth=1
	v_ffbh_u32_e32 v119, v119
	v_min_u32_e32 v119, 32, v119
	v_subrev_nc_u32_e32 v42, 28, v119
	v_lshlrev_b64 v[43:44], v42, v[0:1]
	v_sub_nc_u32_e32 v42, 29, v119
	v_and_b32_e32 v119, 7, v43
; %bb.1900:                             ;   in Loop: Header=BB325_1055 Depth=1
	s_or_b32 exec_lo, exec_lo, s18
	v_lshlrev_b32_e32 v0, 8, v0
	v_lshl_add_u32 v42, v42, 10, 0x2000
	v_lshlrev_b32_e32 v119, 7, v119
	v_and_b32_e32 v0, 0x8000, v0
	v_and_b32_e32 v42, 0xfc00, v42
	v_or3_b32 v119, v0, v42, v119
.LBB325_1901:                           ;   in Loop: Header=BB325_1055 Depth=1
	s_or_b32 exec_lo, exec_lo, s15
.LBB325_1902:                           ;   in Loop: Header=BB325_1055 Depth=1
	s_or_b32 exec_lo, exec_lo, s13
.LBB325_1903:                           ;   in Loop: Header=BB325_1055 Depth=1
	s_or_b32 exec_lo, exec_lo, s12
	v_cmp_lt_u64_e64 s4, s[8:9], v[11:12]
	v_mov_b32_e32 v11, 0
	s_and_saveexec_b32 s12, s4
	s_cbranch_execz .LBB325_1911
; %bb.1904:                             ;   in Loop: Header=BB325_1055 Depth=1
	v_lshrrev_b32_e32 v0, 24, v12
	v_bfrev_b32_e32 v11, 1
	s_mov_b32 s13, exec_lo
	v_cmpx_ne_u32_e32 0x80, v0
	s_cbranch_execz .LBB325_1910
; %bb.1905:                             ;   in Loop: Header=BB325_1055 Depth=1
	v_and_b32_e32 v42, 0x7f, v0
	v_mov_b32_e32 v11, 0x7c010000
	s_mov_b32 s15, exec_lo
	v_cmpx_ne_u32_e32 0x7f, v42
	s_cbranch_execz .LBB325_1909
; %bb.1906:                             ;   in Loop: Header=BB325_1055 Depth=1
	v_and_b32_e32 v11, 7, v0
	v_lshrrev_b32_e32 v12, 3, v42
	s_mov_b32 s18, exec_lo
	v_cmpx_gt_u32_e32 8, v42
; %bb.1907:                             ;   in Loop: Header=BB325_1055 Depth=1
	v_ffbh_u32_e32 v11, v11
	v_min_u32_e32 v42, 32, v11
	v_subrev_nc_u32_e32 v11, 28, v42
	v_lshlrev_b64 v[11:12], v11, v[0:1]
	v_sub_nc_u32_e32 v12, 29, v42
	v_and_b32_e32 v11, 7, v11
; %bb.1908:                             ;   in Loop: Header=BB325_1055 Depth=1
	s_or_b32 exec_lo, exec_lo, s18
	v_lshlrev_b32_e32 v0, 8, v0
	v_lshl_add_u32 v12, v12, 10, 0x2000
	v_lshlrev_b32_e32 v11, 23, v11
	v_and_or_b32 v0, 0x8000, v0, v12
	v_lshl_or_b32 v11, v0, 16, v11
.LBB325_1909:                           ;   in Loop: Header=BB325_1055 Depth=1
	s_or_b32 exec_lo, exec_lo, s15
.LBB325_1910:                           ;   in Loop: Header=BB325_1055 Depth=1
	s_or_b32 exec_lo, exec_lo, s13
.LBB325_1911:                           ;   in Loop: Header=BB325_1055 Depth=1
	s_or_b32 exec_lo, exec_lo, s12
	v_or_b32_e32 v0, v117, v118
	s_waitcnt vmcnt(0) lgkmcnt(0)
	v_fma_mixlo_f16 v12, v114, v117, 0 op_sel:[0,1,0] op_sel_hi:[0,1,0]
	v_or_b32_e32 v117, v115, v116
	v_fma_mixlo_f16 v115, v114, v115, 0 op_sel:[0,1,0] op_sel_hi:[0,1,0]
	v_or_b32_e32 v118, v41, v40
	v_or_b32_e32 v119, v11, v119
	v_fma_mixlo_f16 v40, v114, v0, 0 op_sel_hi:[0,1,0]
	v_fma_mixlo_f16 v11, v114, v11, 0 op_sel:[0,1,0] op_sel_hi:[0,1,0]
	v_lshlrev_b32_e32 v116, 16, v115
	v_fma_mixlo_f16 v115, v114, v117, 0 op_sel_hi:[0,1,0]
	v_fma_mixlo_f16 v117, v114, v41, 0 op_sel:[0,1,0] op_sel_hi:[0,1,0]
	v_fma_mixlo_f16 v118, v114, v118, 0 op_sel_hi:[0,1,0]
	v_fma_mixlo_f16 v119, v114, v119, 0 op_sel_hi:[0,1,0]
	v_lshlrev_b32_e32 v0, 16, v12
	v_and_b32_e32 v12, 0xffff, v40
	v_and_b32_e32 v42, 0xffff, v115
	v_lshlrev_b32_e32 v114, 16, v117
	v_and_b32_e32 v118, 0xffff, v118
	v_lshlrev_b32_e32 v11, 16, v11
	v_and_b32_e32 v115, 0xffff, v119
	v_or_b32_e32 v117, v0, v12
	v_or_b32_e32 v41, v116, v42
	;; [unrolled: 1-line block ×4, first 2 shown]
	s_and_saveexec_b32 s12, vcc_lo
	s_cbranch_execz .LBB325_1913
; %bb.1912:                             ;   in Loop: Header=BB325_1055 Depth=1
	v_cmp_lt_i32_e64 s4, v55, v34
	v_cndmask_b32_e64 v117, 0, v42, s4
	v_cmp_lt_i32_e64 s4, v83, v34
	v_cndmask_b32_e64 v116, 0, v116, s4
	v_cmp_lt_i32_e64 s4, v82, v34
	v_or_b32_e32 v41, v117, v116
	v_cndmask_b32_e64 v12, 0, v12, s4
	v_cmp_lt_i32_e64 s4, v81, v34
	v_cndmask_b32_e64 v0, 0, v0, s4
	v_cmp_lt_i32_e64 s4, v80, v34
	v_or_b32_e32 v117, v12, v0
	;; [unrolled: 5-line block ×3, first 2 shown]
	v_cndmask_b32_e64 v115, 0, v115, s4
	v_cmp_lt_i32_e64 s4, v14, v34
	v_cndmask_b32_e64 v11, 0, v11, s4
	v_or_b32_e32 v119, v115, v11
.LBB325_1913:                           ;   in Loop: Header=BB325_1055 Depth=1
	s_or_b32 exec_lo, exec_lo, s12
	;;#ASMSTART
	v_pk_mul_f16 v0, v68, v41;

	;;#ASMEND
	;;#ASMSTART
	v_pk_mul_f16 v11, v66, v117;

	;;#ASMEND
	;; [unrolled: 4-line block ×4, first 2 shown]
	;;#ASMSTART
	v_pk_add_f16 v0, v0, v11;

	;;#ASMEND
	;;#ASMSTART
	v_pk_add_f16 v0, v0, v12;

	;;#ASMEND
	;; [unrolled: 4-line block ×3, first 2 shown]
	v_and_b32_e32 v11, 0xffff, v0
	v_lshrrev_b32_e32 v0, 16, v0
	;;#ASMSTART
	v_cvt_f32_f16 v114, v11;
	;;#ASMEND
	;;#ASMSTART
	v_cvt_f32_f16 v115, v0;
	;;#ASMEND
	flat_load_dwordx2 v[11:12], v[9:10] offset:1280
	flat_load_dword v116, v[26:27]
	v_mov_b32_e32 v117, 0
	v_mov_b32_e32 v118, 0
	s_waitcnt vmcnt(1) lgkmcnt(1)
	v_cmp_ne_u16_sdwa s4, v11, v1 src0_sel:BYTE_0 src1_sel:DWORD
	s_and_saveexec_b32 s12, s4
	s_cbranch_execz .LBB325_1921
; %bb.1914:                             ;   in Loop: Header=BB325_1055 Depth=1
	v_cmp_ne_u16_sdwa s4, v11, v16 src0_sel:BYTE_0 src1_sel:DWORD
	v_mov_b32_e32 v118, 0x8000
	s_and_saveexec_b32 s13, s4
	s_cbranch_execz .LBB325_1920
; %bb.1915:                             ;   in Loop: Header=BB325_1055 Depth=1
	v_and_b32_e32 v119, 0x7f, v11
	v_mov_b32_e32 v118, 0x7c01
	s_mov_b32 s15, exec_lo
	v_cmpx_ne_u32_e32 0x7f, v119
	s_cbranch_execz .LBB325_1919
; %bb.1916:                             ;   in Loop: Header=BB325_1055 Depth=1
	v_and_b32_e32 v0, 7, v11
	v_lshrrev_b32_e32 v118, 3, v119
	s_mov_b32 s18, exec_lo
	v_cmpx_gt_u32_e32 8, v119
; %bb.1917:                             ;   in Loop: Header=BB325_1055 Depth=1
	v_ffbh_u32_e32 v0, v0
	v_min_u32_e32 v0, 32, v0
	v_subrev_nc_u32_e32 v118, 28, v0
	v_lshlrev_b64 v[40:41], v118, v[11:12]
	v_sub_nc_u32_e32 v118, 29, v0
	v_and_b32_e32 v0, 7, v40
; %bb.1918:                             ;   in Loop: Header=BB325_1055 Depth=1
	s_or_b32 exec_lo, exec_lo, s18
	v_lshlrev_b32_e32 v119, 8, v11
	v_lshl_add_u32 v118, v118, 10, 0x2000
	v_lshlrev_b32_e32 v0, 7, v0
	v_and_b32_e32 v119, 0x8000, v119
	v_and_b32_e32 v118, 0xfc00, v118
	v_or3_b32 v118, v119, v118, v0
.LBB325_1919:                           ;   in Loop: Header=BB325_1055 Depth=1
	s_or_b32 exec_lo, exec_lo, s15
.LBB325_1920:                           ;   in Loop: Header=BB325_1055 Depth=1
	s_or_b32 exec_lo, exec_lo, s13
.LBB325_1921:                           ;   in Loop: Header=BB325_1055 Depth=1
	s_or_b32 exec_lo, exec_lo, s12
	v_lshrrev_b16 v0, 8, v11
	s_mov_b32 s12, exec_lo
	v_cmpx_ne_u16_e32 0, v0
	s_cbranch_execz .LBB325_1929
; %bb.1922:                             ;   in Loop: Header=BB325_1055 Depth=1
	v_bfrev_b32_e32 v117, 1
	s_mov_b32 s13, exec_lo
	v_cmpx_ne_u16_e32 0x80, v0
	s_cbranch_execz .LBB325_1928
; %bb.1923:                             ;   in Loop: Header=BB325_1055 Depth=1
	v_and_b32_sdwa v40, v0, v17 dst_sel:DWORD dst_unused:UNUSED_PAD src0_sel:WORD_0 src1_sel:DWORD
	v_mov_b32_e32 v117, 0x7c010000
	s_mov_b32 s15, exec_lo
	v_cmpx_ne_u32_e32 0x7f, v40
	s_cbranch_execz .LBB325_1927
; %bb.1924:                             ;   in Loop: Header=BB325_1055 Depth=1
	v_and_b32_sdwa v117, v0, v37 dst_sel:DWORD dst_unused:UNUSED_PAD src0_sel:WORD_0 src1_sel:DWORD
	v_lshrrev_b32_e32 v119, 3, v40
	s_mov_b32 s18, exec_lo
	v_cmpx_gt_u32_e32 8, v40
; %bb.1925:                             ;   in Loop: Header=BB325_1055 Depth=1
	v_ffbh_u32_e32 v117, v117
	v_min_u32_e32 v117, 32, v117
	v_subrev_nc_u32_e32 v119, 28, v117
	v_lshlrev_b64 v[40:41], v119, v[0:1]
	v_sub_nc_u32_e32 v119, 29, v117
	v_and_b32_e32 v117, 7, v40
; %bb.1926:                             ;   in Loop: Header=BB325_1055 Depth=1
	s_or_b32 exec_lo, exec_lo, s18
	v_lshlrev_b32_sdwa v0, v54, v0 dst_sel:DWORD dst_unused:UNUSED_PAD src0_sel:DWORD src1_sel:WORD_0
	v_lshl_add_u32 v119, v119, 10, 0x2000
	v_lshlrev_b32_e32 v117, 23, v117
	v_and_or_b32 v0, 0x8000, v0, v119
	v_lshl_or_b32 v117, v0, 16, v117
.LBB325_1927:                           ;   in Loop: Header=BB325_1055 Depth=1
	s_or_b32 exec_lo, exec_lo, s15
.LBB325_1928:                           ;   in Loop: Header=BB325_1055 Depth=1
	s_or_b32 exec_lo, exec_lo, s13
.LBB325_1929:                           ;   in Loop: Header=BB325_1055 Depth=1
	s_or_b32 exec_lo, exec_lo, s12
	v_lshrrev_b32_e32 v0, 16, v11
	v_mov_b32_e32 v119, 0
	v_mov_b32_e32 v40, 0
	v_cmp_ne_u16_sdwa s4, v0, v1 src0_sel:BYTE_0 src1_sel:DWORD
	s_and_saveexec_b32 s12, s4
	s_cbranch_execz .LBB325_1937
; %bb.1930:                             ;   in Loop: Header=BB325_1055 Depth=1
	v_cmp_ne_u16_sdwa s4, v0, v16 src0_sel:BYTE_0 src1_sel:DWORD
	v_mov_b32_e32 v40, 0x8000
	s_and_saveexec_b32 s13, s4
	s_cbranch_execz .LBB325_1936
; %bb.1931:                             ;   in Loop: Header=BB325_1055 Depth=1
	v_bfe_u32 v42, v11, 16, 7
	v_mov_b32_e32 v40, 0x7c01
	s_mov_b32 s15, exec_lo
	v_cmpx_ne_u32_e32 0x7f, v42
	s_cbranch_execz .LBB325_1935
; %bb.1932:                             ;   in Loop: Header=BB325_1055 Depth=1
	v_and_b32_e32 v40, 7, v0
	v_lshrrev_b32_e32 v41, 3, v42
	s_mov_b32 s18, exec_lo
	v_cmpx_gt_u32_e32 8, v42
; %bb.1933:                             ;   in Loop: Header=BB325_1055 Depth=1
	v_ffbh_u32_e32 v40, v40
	v_min_u32_e32 v42, 32, v40
	v_subrev_nc_u32_e32 v40, 28, v42
	v_lshlrev_b64 v[40:41], v40, v[0:1]
	v_sub_nc_u32_e32 v41, 29, v42
	v_and_b32_e32 v40, 7, v40
; %bb.1934:                             ;   in Loop: Header=BB325_1055 Depth=1
	s_or_b32 exec_lo, exec_lo, s18
	v_lshlrev_b32_e32 v0, 8, v0
	v_lshl_add_u32 v41, v41, 10, 0x2000
	v_lshlrev_b32_e32 v40, 7, v40
	v_and_b32_e32 v0, 0x8000, v0
	v_and_b32_e32 v41, 0xfc00, v41
	v_or3_b32 v40, v0, v41, v40
.LBB325_1935:                           ;   in Loop: Header=BB325_1055 Depth=1
	s_or_b32 exec_lo, exec_lo, s15
.LBB325_1936:                           ;   in Loop: Header=BB325_1055 Depth=1
	s_or_b32 exec_lo, exec_lo, s13
.LBB325_1937:                           ;   in Loop: Header=BB325_1055 Depth=1
	s_or_b32 exec_lo, exec_lo, s12
	s_mov_b32 s12, exec_lo
	v_cmpx_lt_u32_e32 0xffffff, v11
	s_cbranch_execz .LBB325_1945
; %bb.1938:                             ;   in Loop: Header=BB325_1055 Depth=1
	v_lshrrev_b32_e32 v0, 24, v11
	v_bfrev_b32_e32 v119, 1
	s_mov_b32 s13, exec_lo
	v_cmpx_ne_u32_e32 0x80, v0
	s_cbranch_execz .LBB325_1944
; %bb.1939:                             ;   in Loop: Header=BB325_1055 Depth=1
	v_and_b32_e32 v42, 0x7f, v0
	v_mov_b32_e32 v119, 0x7c010000
	s_mov_b32 s15, exec_lo
	v_cmpx_ne_u32_e32 0x7f, v42
	s_cbranch_execz .LBB325_1943
; %bb.1940:                             ;   in Loop: Header=BB325_1055 Depth=1
	v_and_b32_e32 v119, 7, v0
	v_lshrrev_b32_e32 v41, 3, v42
	s_mov_b32 s18, exec_lo
	v_cmpx_gt_u32_e32 8, v42
; %bb.1941:                             ;   in Loop: Header=BB325_1055 Depth=1
	v_ffbh_u32_e32 v119, v119
	v_min_u32_e32 v119, 32, v119
	v_subrev_nc_u32_e32 v41, 28, v119
	v_lshlrev_b64 v[42:43], v41, v[0:1]
	v_sub_nc_u32_e32 v41, 29, v119
	v_and_b32_e32 v119, 7, v42
; %bb.1942:                             ;   in Loop: Header=BB325_1055 Depth=1
	s_or_b32 exec_lo, exec_lo, s18
	v_lshlrev_b32_e32 v0, 8, v0
	v_lshl_add_u32 v41, v41, 10, 0x2000
	v_lshlrev_b32_e32 v119, 23, v119
	v_and_or_b32 v0, 0x8000, v0, v41
	v_lshl_or_b32 v119, v0, 16, v119
.LBB325_1943:                           ;   in Loop: Header=BB325_1055 Depth=1
	s_or_b32 exec_lo, exec_lo, s15
.LBB325_1944:                           ;   in Loop: Header=BB325_1055 Depth=1
	s_or_b32 exec_lo, exec_lo, s13
.LBB325_1945:                           ;   in Loop: Header=BB325_1055 Depth=1
	s_or_b32 exec_lo, exec_lo, s12
	v_mov_b32_e32 v0, v12
	v_cmp_ne_u16_sdwa s4, v12, v1 src0_sel:BYTE_0 src1_sel:DWORD
	v_mov_b32_e32 v41, 0
	v_mov_b32_e32 v42, 0
	s_and_saveexec_b32 s12, s4
	s_cbranch_execz .LBB325_1953
; %bb.1946:                             ;   in Loop: Header=BB325_1055 Depth=1
	v_cmp_ne_u16_sdwa s4, v12, v16 src0_sel:BYTE_0 src1_sel:DWORD
	v_mov_b32_e32 v42, 0x8000
	s_and_saveexec_b32 s13, s4
	s_cbranch_execz .LBB325_1952
; %bb.1947:                             ;   in Loop: Header=BB325_1055 Depth=1
	v_and_b32_e32 v44, 0x7f, v12
	v_mov_b32_e32 v42, 0x7c01
	s_mov_b32 s15, exec_lo
	v_cmpx_ne_u32_e32 0x7f, v44
	s_cbranch_execz .LBB325_1951
; %bb.1948:                             ;   in Loop: Header=BB325_1055 Depth=1
	v_and_b32_e32 v42, 7, v12
	v_lshrrev_b32_e32 v43, 3, v44
	s_mov_b32 s18, exec_lo
	v_cmpx_gt_u32_e32 8, v44
; %bb.1949:                             ;   in Loop: Header=BB325_1055 Depth=1
	v_ffbh_u32_e32 v42, v42
	v_min_u32_e32 v44, 32, v42
	v_subrev_nc_u32_e32 v42, 28, v44
	v_lshlrev_b64 v[42:43], v42, v[0:1]
	v_sub_nc_u32_e32 v43, 29, v44
	v_and_b32_e32 v42, 7, v42
; %bb.1950:                             ;   in Loop: Header=BB325_1055 Depth=1
	s_or_b32 exec_lo, exec_lo, s18
	v_lshlrev_b32_e32 v44, 8, v12
	v_lshl_add_u32 v43, v43, 10, 0x2000
	v_lshlrev_b32_e32 v42, 7, v42
	v_and_b32_e32 v44, 0x8000, v44
	v_and_b32_e32 v43, 0xfc00, v43
	v_or3_b32 v42, v44, v43, v42
.LBB325_1951:                           ;   in Loop: Header=BB325_1055 Depth=1
	s_or_b32 exec_lo, exec_lo, s15
.LBB325_1952:                           ;   in Loop: Header=BB325_1055 Depth=1
	s_or_b32 exec_lo, exec_lo, s13
.LBB325_1953:                           ;   in Loop: Header=BB325_1055 Depth=1
	s_or_b32 exec_lo, exec_lo, s12
	v_lshrrev_b16 v0, 8, v0
	v_mov_b32_e32 v43, 0
	s_mov_b32 s12, exec_lo
	v_cmpx_ne_u16_e32 0, v0
	s_cbranch_execz .LBB325_1961
; %bb.1954:                             ;   in Loop: Header=BB325_1055 Depth=1
	v_bfrev_b32_e32 v43, 1
	s_mov_b32 s13, exec_lo
	v_cmpx_ne_u16_e32 0x80, v0
	s_cbranch_execz .LBB325_1960
; %bb.1955:                             ;   in Loop: Header=BB325_1055 Depth=1
	v_and_b32_sdwa v45, v0, v17 dst_sel:DWORD dst_unused:UNUSED_PAD src0_sel:WORD_0 src1_sel:DWORD
	v_mov_b32_e32 v43, 0x7c010000
	s_mov_b32 s15, exec_lo
	v_cmpx_ne_u32_e32 0x7f, v45
	s_cbranch_execz .LBB325_1959
; %bb.1956:                             ;   in Loop: Header=BB325_1055 Depth=1
	v_and_b32_sdwa v43, v0, v37 dst_sel:DWORD dst_unused:UNUSED_PAD src0_sel:WORD_0 src1_sel:DWORD
	v_lshrrev_b32_e32 v44, 3, v45
	s_mov_b32 s18, exec_lo
	v_cmpx_gt_u32_e32 8, v45
; %bb.1957:                             ;   in Loop: Header=BB325_1055 Depth=1
	v_ffbh_u32_e32 v43, v43
	v_min_u32_e32 v45, 32, v43
	v_subrev_nc_u32_e32 v43, 28, v45
	v_lshlrev_b64 v[43:44], v43, v[0:1]
	v_sub_nc_u32_e32 v44, 29, v45
	v_and_b32_e32 v43, 7, v43
; %bb.1958:                             ;   in Loop: Header=BB325_1055 Depth=1
	s_or_b32 exec_lo, exec_lo, s18
	v_lshlrev_b32_sdwa v0, v54, v0 dst_sel:DWORD dst_unused:UNUSED_PAD src0_sel:DWORD src1_sel:WORD_0
	v_lshl_add_u32 v44, v44, 10, 0x2000
	v_lshlrev_b32_e32 v43, 23, v43
	v_and_or_b32 v0, 0x8000, v0, v44
	v_lshl_or_b32 v43, v0, 16, v43
.LBB325_1959:                           ;   in Loop: Header=BB325_1055 Depth=1
	s_or_b32 exec_lo, exec_lo, s15
.LBB325_1960:                           ;   in Loop: Header=BB325_1055 Depth=1
	s_or_b32 exec_lo, exec_lo, s13
.LBB325_1961:                           ;   in Loop: Header=BB325_1055 Depth=1
	s_or_b32 exec_lo, exec_lo, s12
	v_lshrrev_b32_e32 v0, 16, v12
	v_cmp_ne_u16_sdwa s4, v0, v1 src0_sel:BYTE_0 src1_sel:DWORD
	s_and_saveexec_b32 s12, s4
	s_cbranch_execz .LBB325_1969
; %bb.1962:                             ;   in Loop: Header=BB325_1055 Depth=1
	v_cmp_ne_u16_sdwa s4, v0, v16 src0_sel:BYTE_0 src1_sel:DWORD
	v_mov_b32_e32 v41, 0x8000
	s_and_saveexec_b32 s13, s4
	s_cbranch_execz .LBB325_1968
; %bb.1963:                             ;   in Loop: Header=BB325_1055 Depth=1
	v_bfe_u32 v45, v12, 16, 7
	v_mov_b32_e32 v41, 0x7c01
	s_mov_b32 s15, exec_lo
	v_cmpx_ne_u32_e32 0x7f, v45
	s_cbranch_execz .LBB325_1967
; %bb.1964:                             ;   in Loop: Header=BB325_1055 Depth=1
	v_and_b32_e32 v41, 7, v0
	v_lshrrev_b32_e32 v44, 3, v45
	s_mov_b32 s18, exec_lo
	v_cmpx_gt_u32_e32 8, v45
; %bb.1965:                             ;   in Loop: Header=BB325_1055 Depth=1
	v_ffbh_u32_e32 v41, v41
	v_min_u32_e32 v41, 32, v41
	v_subrev_nc_u32_e32 v44, 28, v41
	v_lshlrev_b64 v[45:46], v44, v[0:1]
	v_sub_nc_u32_e32 v44, 29, v41
	v_and_b32_e32 v41, 7, v45
; %bb.1966:                             ;   in Loop: Header=BB325_1055 Depth=1
	s_or_b32 exec_lo, exec_lo, s18
	v_lshlrev_b32_e32 v0, 8, v0
	v_lshl_add_u32 v44, v44, 10, 0x2000
	v_lshlrev_b32_e32 v41, 7, v41
	v_and_b32_e32 v0, 0x8000, v0
	v_and_b32_e32 v44, 0xfc00, v44
	v_or3_b32 v41, v0, v44, v41
.LBB325_1967:                           ;   in Loop: Header=BB325_1055 Depth=1
	s_or_b32 exec_lo, exec_lo, s15
.LBB325_1968:                           ;   in Loop: Header=BB325_1055 Depth=1
	s_or_b32 exec_lo, exec_lo, s13
.LBB325_1969:                           ;   in Loop: Header=BB325_1055 Depth=1
	s_or_b32 exec_lo, exec_lo, s12
	v_cmp_lt_u64_e64 s4, s[8:9], v[11:12]
	v_mov_b32_e32 v11, 0
	s_and_saveexec_b32 s12, s4
	s_cbranch_execz .LBB325_1977
; %bb.1970:                             ;   in Loop: Header=BB325_1055 Depth=1
	v_lshrrev_b32_e32 v0, 24, v12
	v_bfrev_b32_e32 v11, 1
	s_mov_b32 s13, exec_lo
	v_cmpx_ne_u32_e32 0x80, v0
	s_cbranch_execz .LBB325_1976
; %bb.1971:                             ;   in Loop: Header=BB325_1055 Depth=1
	v_and_b32_e32 v44, 0x7f, v0
	v_mov_b32_e32 v11, 0x7c010000
	s_mov_b32 s15, exec_lo
	v_cmpx_ne_u32_e32 0x7f, v44
	s_cbranch_execz .LBB325_1975
; %bb.1972:                             ;   in Loop: Header=BB325_1055 Depth=1
	v_and_b32_e32 v11, 7, v0
	v_lshrrev_b32_e32 v12, 3, v44
	s_mov_b32 s18, exec_lo
	v_cmpx_gt_u32_e32 8, v44
; %bb.1973:                             ;   in Loop: Header=BB325_1055 Depth=1
	v_ffbh_u32_e32 v11, v11
	v_min_u32_e32 v44, 32, v11
	v_subrev_nc_u32_e32 v11, 28, v44
	v_lshlrev_b64 v[11:12], v11, v[0:1]
	v_sub_nc_u32_e32 v12, 29, v44
	v_and_b32_e32 v11, 7, v11
; %bb.1974:                             ;   in Loop: Header=BB325_1055 Depth=1
	s_or_b32 exec_lo, exec_lo, s18
	v_lshlrev_b32_e32 v0, 8, v0
	v_lshl_add_u32 v12, v12, 10, 0x2000
	v_lshlrev_b32_e32 v11, 23, v11
	v_and_or_b32 v0, 0x8000, v0, v12
	v_lshl_or_b32 v11, v0, 16, v11
.LBB325_1975:                           ;   in Loop: Header=BB325_1055 Depth=1
	s_or_b32 exec_lo, exec_lo, s15
.LBB325_1976:                           ;   in Loop: Header=BB325_1055 Depth=1
	s_or_b32 exec_lo, exec_lo, s13
.LBB325_1977:                           ;   in Loop: Header=BB325_1055 Depth=1
	s_or_b32 exec_lo, exec_lo, s12
	v_or_b32_e32 v0, v119, v40
	s_waitcnt vmcnt(0) lgkmcnt(0)
	v_fma_mixlo_f16 v12, v116, v119, 0 op_sel:[0,1,0] op_sel_hi:[0,1,0]
	v_or_b32_e32 v119, v117, v118
	v_fma_mixlo_f16 v117, v116, v117, 0 op_sel:[0,1,0] op_sel_hi:[0,1,0]
	v_or_b32_e32 v40, v43, v42
	v_or_b32_e32 v41, v11, v41
	v_fma_mixlo_f16 v42, v116, v0, 0 op_sel_hi:[0,1,0]
	v_fma_mixlo_f16 v11, v116, v11, 0 op_sel:[0,1,0] op_sel_hi:[0,1,0]
	v_lshlrev_b32_e32 v118, 16, v117
	v_fma_mixlo_f16 v117, v116, v119, 0 op_sel_hi:[0,1,0]
	v_fma_mixlo_f16 v119, v116, v43, 0 op_sel:[0,1,0] op_sel_hi:[0,1,0]
	v_fma_mixlo_f16 v40, v116, v40, 0 op_sel_hi:[0,1,0]
	v_fma_mixlo_f16 v41, v116, v41, 0 op_sel_hi:[0,1,0]
	v_lshlrev_b32_e32 v0, 16, v12
	v_and_b32_e32 v12, 0xffff, v42
	v_and_b32_e32 v44, 0xffff, v117
	v_lshlrev_b32_e32 v116, 16, v119
	v_and_b32_e32 v40, 0xffff, v40
	v_lshlrev_b32_e32 v11, 16, v11
	v_and_b32_e32 v117, 0xffff, v41
	v_or_b32_e32 v119, v0, v12
	v_or_b32_e32 v43, v118, v44
	;; [unrolled: 1-line block ×4, first 2 shown]
	s_and_saveexec_b32 s12, vcc_lo
	s_cbranch_execz .LBB325_1979
; %bb.1978:                             ;   in Loop: Header=BB325_1055 Depth=1
	v_cmp_lt_i32_e64 s4, v55, v34
	v_cndmask_b32_e64 v119, 0, v44, s4
	v_cmp_lt_i32_e64 s4, v83, v34
	v_cndmask_b32_e64 v118, 0, v118, s4
	v_cmp_lt_i32_e64 s4, v82, v34
	v_or_b32_e32 v43, v119, v118
	v_cndmask_b32_e64 v12, 0, v12, s4
	v_cmp_lt_i32_e64 s4, v81, v34
	v_cndmask_b32_e64 v0, 0, v0, s4
	v_cmp_lt_i32_e64 s4, v80, v34
	v_or_b32_e32 v119, v12, v0
	v_cndmask_b32_e64 v40, 0, v40, s4
	v_cmp_lt_i32_e64 s4, v71, v34
	v_cndmask_b32_e64 v116, 0, v116, s4
	v_cmp_lt_i32_e64 s4, v70, v34
	v_or_b32_e32 v42, v40, v116
	v_cndmask_b32_e64 v117, 0, v117, s4
	v_cmp_lt_i32_e64 s4, v14, v34
	v_cndmask_b32_e64 v11, 0, v11, s4
	v_or_b32_e32 v41, v117, v11
.LBB325_1979:                           ;   in Loop: Header=BB325_1055 Depth=1
	s_or_b32 exec_lo, exec_lo, s12
	;;#ASMSTART
	v_pk_mul_f16 v0, v68, v43;

	;;#ASMEND
	;;#ASMSTART
	v_pk_mul_f16 v11, v66, v119;

	;;#ASMEND
	;; [unrolled: 4-line block ×4, first 2 shown]
	;;#ASMSTART
	v_pk_add_f16 v0, v0, v11;

	;;#ASMEND
	;;#ASMSTART
	v_pk_add_f16 v0, v0, v12;

	;;#ASMEND
	;; [unrolled: 4-line block ×3, first 2 shown]
	v_and_b32_e32 v11, 0xffff, v0
	v_lshrrev_b32_e32 v0, 16, v0
	;;#ASMSTART
	v_cvt_f32_f16 v116, v11;
	;;#ASMEND
	;;#ASMSTART
	v_cvt_f32_f16 v117, v0;
	;;#ASMEND
	flat_load_dwordx2 v[11:12], v[9:10] offset:1536
	flat_load_dword v118, v[26:27]
	v_mov_b32_e32 v119, 0
	v_mov_b32_e32 v40, 0
	s_waitcnt vmcnt(1) lgkmcnt(1)
	v_cmp_ne_u16_sdwa s4, v11, v1 src0_sel:BYTE_0 src1_sel:DWORD
	s_and_saveexec_b32 s12, s4
	s_cbranch_execz .LBB325_1987
; %bb.1980:                             ;   in Loop: Header=BB325_1055 Depth=1
	v_cmp_ne_u16_sdwa s4, v11, v16 src0_sel:BYTE_0 src1_sel:DWORD
	v_mov_b32_e32 v40, 0x8000
	s_and_saveexec_b32 s13, s4
	s_cbranch_execz .LBB325_1986
; %bb.1981:                             ;   in Loop: Header=BB325_1055 Depth=1
	v_and_b32_e32 v41, 0x7f, v11
	v_mov_b32_e32 v40, 0x7c01
	s_mov_b32 s15, exec_lo
	v_cmpx_ne_u32_e32 0x7f, v41
	s_cbranch_execz .LBB325_1985
; %bb.1982:                             ;   in Loop: Header=BB325_1055 Depth=1
	v_and_b32_e32 v0, 7, v11
	v_lshrrev_b32_e32 v40, 3, v41
	s_mov_b32 s18, exec_lo
	v_cmpx_gt_u32_e32 8, v41
; %bb.1983:                             ;   in Loop: Header=BB325_1055 Depth=1
	v_ffbh_u32_e32 v0, v0
	v_min_u32_e32 v0, 32, v0
	v_subrev_nc_u32_e32 v40, 28, v0
	v_lshlrev_b64 v[41:42], v40, v[11:12]
	v_sub_nc_u32_e32 v40, 29, v0
	v_and_b32_e32 v0, 7, v41
; %bb.1984:                             ;   in Loop: Header=BB325_1055 Depth=1
	s_or_b32 exec_lo, exec_lo, s18
	v_lshlrev_b32_e32 v41, 8, v11
	v_lshl_add_u32 v40, v40, 10, 0x2000
	v_lshlrev_b32_e32 v0, 7, v0
	v_and_b32_e32 v41, 0x8000, v41
	v_and_b32_e32 v40, 0xfc00, v40
	v_or3_b32 v40, v41, v40, v0
.LBB325_1985:                           ;   in Loop: Header=BB325_1055 Depth=1
	s_or_b32 exec_lo, exec_lo, s15
.LBB325_1986:                           ;   in Loop: Header=BB325_1055 Depth=1
	s_or_b32 exec_lo, exec_lo, s13
.LBB325_1987:                           ;   in Loop: Header=BB325_1055 Depth=1
	s_or_b32 exec_lo, exec_lo, s12
	v_lshrrev_b16 v0, 8, v11
	s_mov_b32 s12, exec_lo
	v_cmpx_ne_u16_e32 0, v0
	s_cbranch_execz .LBB325_1995
; %bb.1988:                             ;   in Loop: Header=BB325_1055 Depth=1
	v_bfrev_b32_e32 v119, 1
	s_mov_b32 s13, exec_lo
	v_cmpx_ne_u16_e32 0x80, v0
	s_cbranch_execz .LBB325_1994
; %bb.1989:                             ;   in Loop: Header=BB325_1055 Depth=1
	v_and_b32_sdwa v42, v0, v17 dst_sel:DWORD dst_unused:UNUSED_PAD src0_sel:WORD_0 src1_sel:DWORD
	v_mov_b32_e32 v119, 0x7c010000
	s_mov_b32 s15, exec_lo
	v_cmpx_ne_u32_e32 0x7f, v42
	s_cbranch_execz .LBB325_1993
; %bb.1990:                             ;   in Loop: Header=BB325_1055 Depth=1
	v_and_b32_sdwa v119, v0, v37 dst_sel:DWORD dst_unused:UNUSED_PAD src0_sel:WORD_0 src1_sel:DWORD
	v_lshrrev_b32_e32 v41, 3, v42
	s_mov_b32 s18, exec_lo
	v_cmpx_gt_u32_e32 8, v42
; %bb.1991:                             ;   in Loop: Header=BB325_1055 Depth=1
	v_ffbh_u32_e32 v119, v119
	v_min_u32_e32 v119, 32, v119
	v_subrev_nc_u32_e32 v41, 28, v119
	v_lshlrev_b64 v[42:43], v41, v[0:1]
	v_sub_nc_u32_e32 v41, 29, v119
	v_and_b32_e32 v119, 7, v42
; %bb.1992:                             ;   in Loop: Header=BB325_1055 Depth=1
	s_or_b32 exec_lo, exec_lo, s18
	v_lshlrev_b32_sdwa v0, v54, v0 dst_sel:DWORD dst_unused:UNUSED_PAD src0_sel:DWORD src1_sel:WORD_0
	v_lshl_add_u32 v41, v41, 10, 0x2000
	v_lshlrev_b32_e32 v119, 23, v119
	v_and_or_b32 v0, 0x8000, v0, v41
	v_lshl_or_b32 v119, v0, 16, v119
.LBB325_1993:                           ;   in Loop: Header=BB325_1055 Depth=1
	s_or_b32 exec_lo, exec_lo, s15
.LBB325_1994:                           ;   in Loop: Header=BB325_1055 Depth=1
	s_or_b32 exec_lo, exec_lo, s13
.LBB325_1995:                           ;   in Loop: Header=BB325_1055 Depth=1
	s_or_b32 exec_lo, exec_lo, s12
	v_lshrrev_b32_e32 v0, 16, v11
	v_mov_b32_e32 v41, 0
	v_mov_b32_e32 v42, 0
	v_cmp_ne_u16_sdwa s4, v0, v1 src0_sel:BYTE_0 src1_sel:DWORD
	s_and_saveexec_b32 s12, s4
	s_cbranch_execz .LBB325_2003
; %bb.1996:                             ;   in Loop: Header=BB325_1055 Depth=1
	v_cmp_ne_u16_sdwa s4, v0, v16 src0_sel:BYTE_0 src1_sel:DWORD
	v_mov_b32_e32 v42, 0x8000
	s_and_saveexec_b32 s13, s4
	s_cbranch_execz .LBB325_2002
; %bb.1997:                             ;   in Loop: Header=BB325_1055 Depth=1
	v_bfe_u32 v44, v11, 16, 7
	v_mov_b32_e32 v42, 0x7c01
	s_mov_b32 s15, exec_lo
	v_cmpx_ne_u32_e32 0x7f, v44
	s_cbranch_execz .LBB325_2001
; %bb.1998:                             ;   in Loop: Header=BB325_1055 Depth=1
	v_and_b32_e32 v42, 7, v0
	v_lshrrev_b32_e32 v43, 3, v44
	s_mov_b32 s18, exec_lo
	v_cmpx_gt_u32_e32 8, v44
; %bb.1999:                             ;   in Loop: Header=BB325_1055 Depth=1
	v_ffbh_u32_e32 v42, v42
	v_min_u32_e32 v44, 32, v42
	v_subrev_nc_u32_e32 v42, 28, v44
	v_lshlrev_b64 v[42:43], v42, v[0:1]
	v_sub_nc_u32_e32 v43, 29, v44
	v_and_b32_e32 v42, 7, v42
; %bb.2000:                             ;   in Loop: Header=BB325_1055 Depth=1
	s_or_b32 exec_lo, exec_lo, s18
	v_lshlrev_b32_e32 v0, 8, v0
	v_lshl_add_u32 v43, v43, 10, 0x2000
	v_lshlrev_b32_e32 v42, 7, v42
	v_and_b32_e32 v0, 0x8000, v0
	v_and_b32_e32 v43, 0xfc00, v43
	v_or3_b32 v42, v0, v43, v42
.LBB325_2001:                           ;   in Loop: Header=BB325_1055 Depth=1
	s_or_b32 exec_lo, exec_lo, s15
.LBB325_2002:                           ;   in Loop: Header=BB325_1055 Depth=1
	s_or_b32 exec_lo, exec_lo, s13
.LBB325_2003:                           ;   in Loop: Header=BB325_1055 Depth=1
	s_or_b32 exec_lo, exec_lo, s12
	s_mov_b32 s12, exec_lo
	v_cmpx_lt_u32_e32 0xffffff, v11
	s_cbranch_execz .LBB325_2011
; %bb.2004:                             ;   in Loop: Header=BB325_1055 Depth=1
	v_lshrrev_b32_e32 v0, 24, v11
	v_bfrev_b32_e32 v41, 1
	s_mov_b32 s13, exec_lo
	v_cmpx_ne_u32_e32 0x80, v0
	s_cbranch_execz .LBB325_2010
; %bb.2005:                             ;   in Loop: Header=BB325_1055 Depth=1
	v_and_b32_e32 v44, 0x7f, v0
	v_mov_b32_e32 v41, 0x7c010000
	s_mov_b32 s15, exec_lo
	v_cmpx_ne_u32_e32 0x7f, v44
	s_cbranch_execz .LBB325_2009
; %bb.2006:                             ;   in Loop: Header=BB325_1055 Depth=1
	v_and_b32_e32 v41, 7, v0
	v_lshrrev_b32_e32 v43, 3, v44
	s_mov_b32 s18, exec_lo
	v_cmpx_gt_u32_e32 8, v44
; %bb.2007:                             ;   in Loop: Header=BB325_1055 Depth=1
	v_ffbh_u32_e32 v41, v41
	v_min_u32_e32 v41, 32, v41
	v_subrev_nc_u32_e32 v43, 28, v41
	v_lshlrev_b64 v[44:45], v43, v[0:1]
	v_sub_nc_u32_e32 v43, 29, v41
	v_and_b32_e32 v41, 7, v44
; %bb.2008:                             ;   in Loop: Header=BB325_1055 Depth=1
	s_or_b32 exec_lo, exec_lo, s18
	v_lshlrev_b32_e32 v0, 8, v0
	v_lshl_add_u32 v43, v43, 10, 0x2000
	v_lshlrev_b32_e32 v41, 23, v41
	v_and_or_b32 v0, 0x8000, v0, v43
	v_lshl_or_b32 v41, v0, 16, v41
.LBB325_2009:                           ;   in Loop: Header=BB325_1055 Depth=1
	s_or_b32 exec_lo, exec_lo, s15
.LBB325_2010:                           ;   in Loop: Header=BB325_1055 Depth=1
	s_or_b32 exec_lo, exec_lo, s13
.LBB325_2011:                           ;   in Loop: Header=BB325_1055 Depth=1
	s_or_b32 exec_lo, exec_lo, s12
	v_mov_b32_e32 v0, v12
	v_cmp_ne_u16_sdwa s4, v12, v1 src0_sel:BYTE_0 src1_sel:DWORD
	v_mov_b32_e32 v43, 0
	v_mov_b32_e32 v44, 0
	s_and_saveexec_b32 s12, s4
	s_cbranch_execz .LBB325_2019
; %bb.2012:                             ;   in Loop: Header=BB325_1055 Depth=1
	v_cmp_ne_u16_sdwa s4, v12, v16 src0_sel:BYTE_0 src1_sel:DWORD
	v_mov_b32_e32 v44, 0x8000
	s_and_saveexec_b32 s13, s4
	s_cbranch_execz .LBB325_2018
; %bb.2013:                             ;   in Loop: Header=BB325_1055 Depth=1
	v_and_b32_e32 v46, 0x7f, v12
	v_mov_b32_e32 v44, 0x7c01
	s_mov_b32 s15, exec_lo
	v_cmpx_ne_u32_e32 0x7f, v46
	s_cbranch_execz .LBB325_2017
; %bb.2014:                             ;   in Loop: Header=BB325_1055 Depth=1
	v_and_b32_e32 v44, 7, v12
	v_lshrrev_b32_e32 v45, 3, v46
	s_mov_b32 s18, exec_lo
	v_cmpx_gt_u32_e32 8, v46
; %bb.2015:                             ;   in Loop: Header=BB325_1055 Depth=1
	v_ffbh_u32_e32 v44, v44
	v_min_u32_e32 v46, 32, v44
	v_subrev_nc_u32_e32 v44, 28, v46
	v_lshlrev_b64 v[44:45], v44, v[0:1]
	v_sub_nc_u32_e32 v45, 29, v46
	v_and_b32_e32 v44, 7, v44
; %bb.2016:                             ;   in Loop: Header=BB325_1055 Depth=1
	s_or_b32 exec_lo, exec_lo, s18
	v_lshlrev_b32_e32 v46, 8, v12
	v_lshl_add_u32 v45, v45, 10, 0x2000
	v_lshlrev_b32_e32 v44, 7, v44
	v_and_b32_e32 v46, 0x8000, v46
	v_and_b32_e32 v45, 0xfc00, v45
	v_or3_b32 v44, v46, v45, v44
.LBB325_2017:                           ;   in Loop: Header=BB325_1055 Depth=1
	s_or_b32 exec_lo, exec_lo, s15
.LBB325_2018:                           ;   in Loop: Header=BB325_1055 Depth=1
	s_or_b32 exec_lo, exec_lo, s13
.LBB325_2019:                           ;   in Loop: Header=BB325_1055 Depth=1
	s_or_b32 exec_lo, exec_lo, s12
	v_lshrrev_b16 v0, 8, v0
	v_mov_b32_e32 v45, 0
	s_mov_b32 s12, exec_lo
	v_cmpx_ne_u16_e32 0, v0
	s_cbranch_execz .LBB325_2027
; %bb.2020:                             ;   in Loop: Header=BB325_1055 Depth=1
	v_bfrev_b32_e32 v45, 1
	s_mov_b32 s13, exec_lo
	v_cmpx_ne_u16_e32 0x80, v0
	s_cbranch_execz .LBB325_2026
; %bb.2021:                             ;   in Loop: Header=BB325_1055 Depth=1
	v_and_b32_sdwa v47, v0, v17 dst_sel:DWORD dst_unused:UNUSED_PAD src0_sel:WORD_0 src1_sel:DWORD
	v_mov_b32_e32 v45, 0x7c010000
	s_mov_b32 s15, exec_lo
	v_cmpx_ne_u32_e32 0x7f, v47
	s_cbranch_execz .LBB325_2025
; %bb.2022:                             ;   in Loop: Header=BB325_1055 Depth=1
	v_and_b32_sdwa v45, v0, v37 dst_sel:DWORD dst_unused:UNUSED_PAD src0_sel:WORD_0 src1_sel:DWORD
	v_lshrrev_b32_e32 v46, 3, v47
	s_mov_b32 s18, exec_lo
	v_cmpx_gt_u32_e32 8, v47
; %bb.2023:                             ;   in Loop: Header=BB325_1055 Depth=1
	v_ffbh_u32_e32 v45, v45
	v_min_u32_e32 v47, 32, v45
	v_subrev_nc_u32_e32 v45, 28, v47
	v_lshlrev_b64 v[45:46], v45, v[0:1]
	v_sub_nc_u32_e32 v46, 29, v47
	v_and_b32_e32 v45, 7, v45
; %bb.2024:                             ;   in Loop: Header=BB325_1055 Depth=1
	s_or_b32 exec_lo, exec_lo, s18
	v_lshlrev_b32_sdwa v0, v54, v0 dst_sel:DWORD dst_unused:UNUSED_PAD src0_sel:DWORD src1_sel:WORD_0
	v_lshl_add_u32 v46, v46, 10, 0x2000
	v_lshlrev_b32_e32 v45, 23, v45
	v_and_or_b32 v0, 0x8000, v0, v46
	v_lshl_or_b32 v45, v0, 16, v45
.LBB325_2025:                           ;   in Loop: Header=BB325_1055 Depth=1
	s_or_b32 exec_lo, exec_lo, s15
.LBB325_2026:                           ;   in Loop: Header=BB325_1055 Depth=1
	s_or_b32 exec_lo, exec_lo, s13
.LBB325_2027:                           ;   in Loop: Header=BB325_1055 Depth=1
	s_or_b32 exec_lo, exec_lo, s12
	v_lshrrev_b32_e32 v0, 16, v12
	v_cmp_ne_u16_sdwa s4, v0, v1 src0_sel:BYTE_0 src1_sel:DWORD
	s_and_saveexec_b32 s12, s4
	s_cbranch_execz .LBB325_2035
; %bb.2028:                             ;   in Loop: Header=BB325_1055 Depth=1
	v_cmp_ne_u16_sdwa s4, v0, v16 src0_sel:BYTE_0 src1_sel:DWORD
	v_mov_b32_e32 v43, 0x8000
	s_and_saveexec_b32 s13, s4
	s_cbranch_execz .LBB325_2034
; %bb.2029:                             ;   in Loop: Header=BB325_1055 Depth=1
	v_bfe_u32 v47, v12, 16, 7
	v_mov_b32_e32 v43, 0x7c01
	s_mov_b32 s15, exec_lo
	v_cmpx_ne_u32_e32 0x7f, v47
	s_cbranch_execz .LBB325_2033
; %bb.2030:                             ;   in Loop: Header=BB325_1055 Depth=1
	v_and_b32_e32 v43, 7, v0
	v_lshrrev_b32_e32 v46, 3, v47
	s_mov_b32 s18, exec_lo
	v_cmpx_gt_u32_e32 8, v47
; %bb.2031:                             ;   in Loop: Header=BB325_1055 Depth=1
	v_ffbh_u32_e32 v43, v43
	v_min_u32_e32 v43, 32, v43
	v_subrev_nc_u32_e32 v46, 28, v43
	v_lshlrev_b64 v[56:57], v46, v[0:1]
	v_sub_nc_u32_e32 v46, 29, v43
	v_and_b32_e32 v43, 7, v56
; %bb.2032:                             ;   in Loop: Header=BB325_1055 Depth=1
	s_or_b32 exec_lo, exec_lo, s18
	v_lshlrev_b32_e32 v0, 8, v0
	v_lshl_add_u32 v46, v46, 10, 0x2000
	v_lshlrev_b32_e32 v43, 7, v43
	v_and_b32_e32 v0, 0x8000, v0
	v_and_b32_e32 v46, 0xfc00, v46
	v_or3_b32 v43, v0, v46, v43
.LBB325_2033:                           ;   in Loop: Header=BB325_1055 Depth=1
	s_or_b32 exec_lo, exec_lo, s15
.LBB325_2034:                           ;   in Loop: Header=BB325_1055 Depth=1
	s_or_b32 exec_lo, exec_lo, s13
.LBB325_2035:                           ;   in Loop: Header=BB325_1055 Depth=1
	s_or_b32 exec_lo, exec_lo, s12
	v_cmp_lt_u64_e64 s4, s[8:9], v[11:12]
	v_mov_b32_e32 v11, 0
	s_and_saveexec_b32 s12, s4
	s_cbranch_execz .LBB325_2043
; %bb.2036:                             ;   in Loop: Header=BB325_1055 Depth=1
	v_lshrrev_b32_e32 v0, 24, v12
	v_bfrev_b32_e32 v11, 1
	s_mov_b32 s13, exec_lo
	v_cmpx_ne_u32_e32 0x80, v0
	s_cbranch_execz .LBB325_2042
; %bb.2037:                             ;   in Loop: Header=BB325_1055 Depth=1
	v_and_b32_e32 v46, 0x7f, v0
	v_mov_b32_e32 v11, 0x7c010000
	s_mov_b32 s15, exec_lo
	v_cmpx_ne_u32_e32 0x7f, v46
	s_cbranch_execz .LBB325_2041
; %bb.2038:                             ;   in Loop: Header=BB325_1055 Depth=1
	v_and_b32_e32 v11, 7, v0
	v_lshrrev_b32_e32 v12, 3, v46
	s_mov_b32 s18, exec_lo
	v_cmpx_gt_u32_e32 8, v46
; %bb.2039:                             ;   in Loop: Header=BB325_1055 Depth=1
	v_ffbh_u32_e32 v11, v11
	v_min_u32_e32 v46, 32, v11
	v_subrev_nc_u32_e32 v11, 28, v46
	v_lshlrev_b64 v[11:12], v11, v[0:1]
	v_sub_nc_u32_e32 v12, 29, v46
	v_and_b32_e32 v11, 7, v11
; %bb.2040:                             ;   in Loop: Header=BB325_1055 Depth=1
	s_or_b32 exec_lo, exec_lo, s18
	v_lshlrev_b32_e32 v0, 8, v0
	v_lshl_add_u32 v12, v12, 10, 0x2000
	v_lshlrev_b32_e32 v11, 23, v11
	v_and_or_b32 v0, 0x8000, v0, v12
	v_lshl_or_b32 v11, v0, 16, v11
.LBB325_2041:                           ;   in Loop: Header=BB325_1055 Depth=1
	s_or_b32 exec_lo, exec_lo, s15
.LBB325_2042:                           ;   in Loop: Header=BB325_1055 Depth=1
	s_or_b32 exec_lo, exec_lo, s13
.LBB325_2043:                           ;   in Loop: Header=BB325_1055 Depth=1
	s_or_b32 exec_lo, exec_lo, s12
	v_or_b32_e32 v0, v41, v42
	s_waitcnt vmcnt(0) lgkmcnt(0)
	v_fma_mixlo_f16 v12, v118, v41, 0 op_sel:[0,1,0] op_sel_hi:[0,1,0]
	v_or_b32_e32 v41, v119, v40
	v_fma_mixlo_f16 v119, v118, v119, 0 op_sel:[0,1,0] op_sel_hi:[0,1,0]
	v_or_b32_e32 v42, v45, v44
	v_or_b32_e32 v43, v11, v43
	v_fma_mixlo_f16 v44, v118, v0, 0 op_sel_hi:[0,1,0]
	v_fma_mixlo_f16 v11, v118, v11, 0 op_sel:[0,1,0] op_sel_hi:[0,1,0]
	v_lshlrev_b32_e32 v40, 16, v119
	v_fma_mixlo_f16 v119, v118, v41, 0 op_sel_hi:[0,1,0]
	v_fma_mixlo_f16 v41, v118, v45, 0 op_sel:[0,1,0] op_sel_hi:[0,1,0]
	v_fma_mixlo_f16 v42, v118, v42, 0 op_sel_hi:[0,1,0]
	v_fma_mixlo_f16 v43, v118, v43, 0 op_sel_hi:[0,1,0]
	v_lshlrev_b32_e32 v0, 16, v12
	v_and_b32_e32 v12, 0xffff, v44
	v_and_b32_e32 v46, 0xffff, v119
	v_lshlrev_b32_e32 v118, 16, v41
	v_and_b32_e32 v42, 0xffff, v42
	v_lshlrev_b32_e32 v11, 16, v11
	v_and_b32_e32 v119, 0xffff, v43
	v_or_b32_e32 v41, v0, v12
	v_or_b32_e32 v45, v40, v46
	;; [unrolled: 1-line block ×4, first 2 shown]
	s_and_saveexec_b32 s12, vcc_lo
	s_cbranch_execz .LBB325_2045
; %bb.2044:                             ;   in Loop: Header=BB325_1055 Depth=1
	v_cmp_lt_i32_e64 s4, v55, v34
	v_cndmask_b32_e64 v41, 0, v46, s4
	v_cmp_lt_i32_e64 s4, v83, v34
	v_cndmask_b32_e64 v40, 0, v40, s4
	v_cmp_lt_i32_e64 s4, v82, v34
	v_or_b32_e32 v45, v41, v40
	v_cndmask_b32_e64 v12, 0, v12, s4
	v_cmp_lt_i32_e64 s4, v81, v34
	v_cndmask_b32_e64 v0, 0, v0, s4
	v_cmp_lt_i32_e64 s4, v80, v34
	v_or_b32_e32 v41, v12, v0
	;; [unrolled: 5-line block ×3, first 2 shown]
	v_cndmask_b32_e64 v119, 0, v119, s4
	v_cmp_lt_i32_e64 s4, v14, v34
	v_cndmask_b32_e64 v11, 0, v11, s4
	v_or_b32_e32 v43, v119, v11
.LBB325_2045:                           ;   in Loop: Header=BB325_1055 Depth=1
	s_or_b32 exec_lo, exec_lo, s12
	;;#ASMSTART
	v_pk_mul_f16 v0, v68, v45;

	;;#ASMEND
	;;#ASMSTART
	v_pk_mul_f16 v11, v66, v41;

	;;#ASMEND
	;; [unrolled: 4-line block ×4, first 2 shown]
	;;#ASMSTART
	v_pk_add_f16 v0, v0, v11;

	;;#ASMEND
	;;#ASMSTART
	v_pk_add_f16 v0, v0, v12;

	;;#ASMEND
	;; [unrolled: 4-line block ×3, first 2 shown]
	v_and_b32_e32 v11, 0xffff, v0
	v_lshrrev_b32_e32 v0, 16, v0
	;;#ASMSTART
	v_cvt_f32_f16 v11, v11;
	;;#ASMEND
	;;#ASMSTART
	v_cvt_f32_f16 v12, v0;
	;;#ASMEND
	flat_load_dwordx2 v[9:10], v[9:10] offset:1792
	flat_load_dword v118, v[26:27]
	v_mov_b32_e32 v119, 0
	v_mov_b32_e32 v40, 0
	s_waitcnt vmcnt(1) lgkmcnt(1)
	v_cmp_ne_u16_sdwa s4, v9, v1 src0_sel:BYTE_0 src1_sel:DWORD
	s_and_saveexec_b32 s12, s4
	s_cbranch_execz .LBB325_2053
; %bb.2046:                             ;   in Loop: Header=BB325_1055 Depth=1
	v_cmp_ne_u16_sdwa s4, v9, v16 src0_sel:BYTE_0 src1_sel:DWORD
	v_mov_b32_e32 v40, 0x8000
	s_and_saveexec_b32 s13, s4
	s_cbranch_execz .LBB325_2052
; %bb.2047:                             ;   in Loop: Header=BB325_1055 Depth=1
	v_and_b32_e32 v41, 0x7f, v9
	v_mov_b32_e32 v40, 0x7c01
	s_mov_b32 s15, exec_lo
	v_cmpx_ne_u32_e32 0x7f, v41
	s_cbranch_execz .LBB325_2051
; %bb.2048:                             ;   in Loop: Header=BB325_1055 Depth=1
	v_and_b32_e32 v0, 7, v9
	v_lshrrev_b32_e32 v40, 3, v41
	s_mov_b32 s18, exec_lo
	v_cmpx_gt_u32_e32 8, v41
; %bb.2049:                             ;   in Loop: Header=BB325_1055 Depth=1
	v_ffbh_u32_e32 v0, v0
	v_min_u32_e32 v0, 32, v0
	v_subrev_nc_u32_e32 v40, 28, v0
	v_lshlrev_b64 v[41:42], v40, v[9:10]
	v_sub_nc_u32_e32 v40, 29, v0
	v_and_b32_e32 v0, 7, v41
; %bb.2050:                             ;   in Loop: Header=BB325_1055 Depth=1
	s_or_b32 exec_lo, exec_lo, s18
	v_lshlrev_b32_e32 v41, 8, v9
	v_lshl_add_u32 v40, v40, 10, 0x2000
	v_lshlrev_b32_e32 v0, 7, v0
	v_and_b32_e32 v41, 0x8000, v41
	v_and_b32_e32 v40, 0xfc00, v40
	v_or3_b32 v40, v41, v40, v0
.LBB325_2051:                           ;   in Loop: Header=BB325_1055 Depth=1
	s_or_b32 exec_lo, exec_lo, s15
.LBB325_2052:                           ;   in Loop: Header=BB325_1055 Depth=1
	s_or_b32 exec_lo, exec_lo, s13
.LBB325_2053:                           ;   in Loop: Header=BB325_1055 Depth=1
	s_or_b32 exec_lo, exec_lo, s12
	v_lshrrev_b16 v0, 8, v9
	s_mov_b32 s12, exec_lo
	v_cmpx_ne_u16_e32 0, v0
	s_cbranch_execz .LBB325_2061
; %bb.2054:                             ;   in Loop: Header=BB325_1055 Depth=1
	v_bfrev_b32_e32 v119, 1
	s_mov_b32 s13, exec_lo
	v_cmpx_ne_u16_e32 0x80, v0
	s_cbranch_execz .LBB325_2060
; %bb.2055:                             ;   in Loop: Header=BB325_1055 Depth=1
	v_and_b32_sdwa v42, v0, v17 dst_sel:DWORD dst_unused:UNUSED_PAD src0_sel:WORD_0 src1_sel:DWORD
	v_mov_b32_e32 v119, 0x7c010000
	s_mov_b32 s15, exec_lo
	v_cmpx_ne_u32_e32 0x7f, v42
	s_cbranch_execz .LBB325_2059
; %bb.2056:                             ;   in Loop: Header=BB325_1055 Depth=1
	v_and_b32_sdwa v119, v0, v37 dst_sel:DWORD dst_unused:UNUSED_PAD src0_sel:WORD_0 src1_sel:DWORD
	v_lshrrev_b32_e32 v41, 3, v42
	s_mov_b32 s18, exec_lo
	v_cmpx_gt_u32_e32 8, v42
; %bb.2057:                             ;   in Loop: Header=BB325_1055 Depth=1
	v_ffbh_u32_e32 v119, v119
	v_min_u32_e32 v119, 32, v119
	v_subrev_nc_u32_e32 v41, 28, v119
	v_lshlrev_b64 v[42:43], v41, v[0:1]
	v_sub_nc_u32_e32 v41, 29, v119
	v_and_b32_e32 v119, 7, v42
; %bb.2058:                             ;   in Loop: Header=BB325_1055 Depth=1
	s_or_b32 exec_lo, exec_lo, s18
	v_lshlrev_b32_sdwa v0, v54, v0 dst_sel:DWORD dst_unused:UNUSED_PAD src0_sel:DWORD src1_sel:WORD_0
	v_lshl_add_u32 v41, v41, 10, 0x2000
	v_lshlrev_b32_e32 v119, 23, v119
	v_and_or_b32 v0, 0x8000, v0, v41
	v_lshl_or_b32 v119, v0, 16, v119
.LBB325_2059:                           ;   in Loop: Header=BB325_1055 Depth=1
	s_or_b32 exec_lo, exec_lo, s15
.LBB325_2060:                           ;   in Loop: Header=BB325_1055 Depth=1
	s_or_b32 exec_lo, exec_lo, s13
.LBB325_2061:                           ;   in Loop: Header=BB325_1055 Depth=1
	s_or_b32 exec_lo, exec_lo, s12
	v_lshrrev_b32_e32 v0, 16, v9
	v_mov_b32_e32 v41, 0
	v_mov_b32_e32 v42, 0
	v_cmp_ne_u16_sdwa s4, v0, v1 src0_sel:BYTE_0 src1_sel:DWORD
	s_and_saveexec_b32 s12, s4
	s_cbranch_execz .LBB325_2069
; %bb.2062:                             ;   in Loop: Header=BB325_1055 Depth=1
	v_cmp_ne_u16_sdwa s4, v0, v16 src0_sel:BYTE_0 src1_sel:DWORD
	v_mov_b32_e32 v42, 0x8000
	s_and_saveexec_b32 s13, s4
	s_cbranch_execz .LBB325_2068
; %bb.2063:                             ;   in Loop: Header=BB325_1055 Depth=1
	v_bfe_u32 v44, v9, 16, 7
	v_mov_b32_e32 v42, 0x7c01
	s_mov_b32 s15, exec_lo
	v_cmpx_ne_u32_e32 0x7f, v44
	s_cbranch_execz .LBB325_2067
; %bb.2064:                             ;   in Loop: Header=BB325_1055 Depth=1
	v_and_b32_e32 v42, 7, v0
	v_lshrrev_b32_e32 v43, 3, v44
	s_mov_b32 s18, exec_lo
	v_cmpx_gt_u32_e32 8, v44
; %bb.2065:                             ;   in Loop: Header=BB325_1055 Depth=1
	v_ffbh_u32_e32 v42, v42
	v_min_u32_e32 v44, 32, v42
	v_subrev_nc_u32_e32 v42, 28, v44
	v_lshlrev_b64 v[42:43], v42, v[0:1]
	v_sub_nc_u32_e32 v43, 29, v44
	v_and_b32_e32 v42, 7, v42
; %bb.2066:                             ;   in Loop: Header=BB325_1055 Depth=1
	s_or_b32 exec_lo, exec_lo, s18
	v_lshlrev_b32_e32 v0, 8, v0
	v_lshl_add_u32 v43, v43, 10, 0x2000
	v_lshlrev_b32_e32 v42, 7, v42
	v_and_b32_e32 v0, 0x8000, v0
	v_and_b32_e32 v43, 0xfc00, v43
	v_or3_b32 v42, v0, v43, v42
.LBB325_2067:                           ;   in Loop: Header=BB325_1055 Depth=1
	s_or_b32 exec_lo, exec_lo, s15
.LBB325_2068:                           ;   in Loop: Header=BB325_1055 Depth=1
	s_or_b32 exec_lo, exec_lo, s13
.LBB325_2069:                           ;   in Loop: Header=BB325_1055 Depth=1
	s_or_b32 exec_lo, exec_lo, s12
	s_mov_b32 s12, exec_lo
	v_cmpx_lt_u32_e32 0xffffff, v9
	s_cbranch_execz .LBB325_2077
; %bb.2070:                             ;   in Loop: Header=BB325_1055 Depth=1
	v_lshrrev_b32_e32 v0, 24, v9
	v_bfrev_b32_e32 v41, 1
	s_mov_b32 s13, exec_lo
	v_cmpx_ne_u32_e32 0x80, v0
	s_cbranch_execz .LBB325_2076
; %bb.2071:                             ;   in Loop: Header=BB325_1055 Depth=1
	v_and_b32_e32 v44, 0x7f, v0
	v_mov_b32_e32 v41, 0x7c010000
	s_mov_b32 s15, exec_lo
	v_cmpx_ne_u32_e32 0x7f, v44
	s_cbranch_execz .LBB325_2075
; %bb.2072:                             ;   in Loop: Header=BB325_1055 Depth=1
	v_and_b32_e32 v41, 7, v0
	v_lshrrev_b32_e32 v43, 3, v44
	s_mov_b32 s18, exec_lo
	v_cmpx_gt_u32_e32 8, v44
; %bb.2073:                             ;   in Loop: Header=BB325_1055 Depth=1
	v_ffbh_u32_e32 v41, v41
	v_min_u32_e32 v41, 32, v41
	v_subrev_nc_u32_e32 v43, 28, v41
	v_lshlrev_b64 v[44:45], v43, v[0:1]
	v_sub_nc_u32_e32 v43, 29, v41
	v_and_b32_e32 v41, 7, v44
; %bb.2074:                             ;   in Loop: Header=BB325_1055 Depth=1
	s_or_b32 exec_lo, exec_lo, s18
	v_lshlrev_b32_e32 v0, 8, v0
	v_lshl_add_u32 v43, v43, 10, 0x2000
	v_lshlrev_b32_e32 v41, 23, v41
	v_and_or_b32 v0, 0x8000, v0, v43
	v_lshl_or_b32 v41, v0, 16, v41
.LBB325_2075:                           ;   in Loop: Header=BB325_1055 Depth=1
	s_or_b32 exec_lo, exec_lo, s15
.LBB325_2076:                           ;   in Loop: Header=BB325_1055 Depth=1
	s_or_b32 exec_lo, exec_lo, s13
.LBB325_2077:                           ;   in Loop: Header=BB325_1055 Depth=1
	s_or_b32 exec_lo, exec_lo, s12
	v_mov_b32_e32 v0, v10
	v_cmp_ne_u16_sdwa s4, v10, v1 src0_sel:BYTE_0 src1_sel:DWORD
	v_mov_b32_e32 v43, 0
	v_mov_b32_e32 v44, 0
	s_and_saveexec_b32 s12, s4
	s_cbranch_execz .LBB325_2085
; %bb.2078:                             ;   in Loop: Header=BB325_1055 Depth=1
	v_cmp_ne_u16_sdwa s4, v10, v16 src0_sel:BYTE_0 src1_sel:DWORD
	v_mov_b32_e32 v44, 0x8000
	s_and_saveexec_b32 s13, s4
	s_cbranch_execz .LBB325_2084
; %bb.2079:                             ;   in Loop: Header=BB325_1055 Depth=1
	v_and_b32_e32 v46, 0x7f, v10
	v_mov_b32_e32 v44, 0x7c01
	s_mov_b32 s15, exec_lo
	v_cmpx_ne_u32_e32 0x7f, v46
	s_cbranch_execz .LBB325_2083
; %bb.2080:                             ;   in Loop: Header=BB325_1055 Depth=1
	v_and_b32_e32 v44, 7, v10
	v_lshrrev_b32_e32 v45, 3, v46
	s_mov_b32 s18, exec_lo
	v_cmpx_gt_u32_e32 8, v46
; %bb.2081:                             ;   in Loop: Header=BB325_1055 Depth=1
	v_ffbh_u32_e32 v44, v44
	v_min_u32_e32 v46, 32, v44
	v_subrev_nc_u32_e32 v44, 28, v46
	v_lshlrev_b64 v[44:45], v44, v[0:1]
	v_sub_nc_u32_e32 v45, 29, v46
	v_and_b32_e32 v44, 7, v44
; %bb.2082:                             ;   in Loop: Header=BB325_1055 Depth=1
	s_or_b32 exec_lo, exec_lo, s18
	v_lshlrev_b32_e32 v46, 8, v10
	v_lshl_add_u32 v45, v45, 10, 0x2000
	v_lshlrev_b32_e32 v44, 7, v44
	v_and_b32_e32 v46, 0x8000, v46
	v_and_b32_e32 v45, 0xfc00, v45
	v_or3_b32 v44, v46, v45, v44
.LBB325_2083:                           ;   in Loop: Header=BB325_1055 Depth=1
	s_or_b32 exec_lo, exec_lo, s15
.LBB325_2084:                           ;   in Loop: Header=BB325_1055 Depth=1
	s_or_b32 exec_lo, exec_lo, s13
.LBB325_2085:                           ;   in Loop: Header=BB325_1055 Depth=1
	s_or_b32 exec_lo, exec_lo, s12
	v_lshrrev_b16 v0, 8, v0
	v_mov_b32_e32 v45, 0
	s_mov_b32 s12, exec_lo
	v_cmpx_ne_u16_e32 0, v0
	s_cbranch_execz .LBB325_2093
; %bb.2086:                             ;   in Loop: Header=BB325_1055 Depth=1
	v_bfrev_b32_e32 v45, 1
	s_mov_b32 s13, exec_lo
	v_cmpx_ne_u16_e32 0x80, v0
	s_cbranch_execz .LBB325_2092
; %bb.2087:                             ;   in Loop: Header=BB325_1055 Depth=1
	v_and_b32_sdwa v47, v0, v17 dst_sel:DWORD dst_unused:UNUSED_PAD src0_sel:WORD_0 src1_sel:DWORD
	v_mov_b32_e32 v45, 0x7c010000
	s_mov_b32 s15, exec_lo
	v_cmpx_ne_u32_e32 0x7f, v47
	s_cbranch_execz .LBB325_2091
; %bb.2088:                             ;   in Loop: Header=BB325_1055 Depth=1
	v_and_b32_sdwa v45, v0, v37 dst_sel:DWORD dst_unused:UNUSED_PAD src0_sel:WORD_0 src1_sel:DWORD
	v_lshrrev_b32_e32 v46, 3, v47
	s_mov_b32 s18, exec_lo
	v_cmpx_gt_u32_e32 8, v47
; %bb.2089:                             ;   in Loop: Header=BB325_1055 Depth=1
	v_ffbh_u32_e32 v45, v45
	v_min_u32_e32 v47, 32, v45
	v_subrev_nc_u32_e32 v45, 28, v47
	v_lshlrev_b64 v[45:46], v45, v[0:1]
	v_sub_nc_u32_e32 v46, 29, v47
	v_and_b32_e32 v45, 7, v45
; %bb.2090:                             ;   in Loop: Header=BB325_1055 Depth=1
	s_or_b32 exec_lo, exec_lo, s18
	v_lshlrev_b32_sdwa v0, v54, v0 dst_sel:DWORD dst_unused:UNUSED_PAD src0_sel:DWORD src1_sel:WORD_0
	v_lshl_add_u32 v46, v46, 10, 0x2000
	v_lshlrev_b32_e32 v45, 23, v45
	v_and_or_b32 v0, 0x8000, v0, v46
	v_lshl_or_b32 v45, v0, 16, v45
.LBB325_2091:                           ;   in Loop: Header=BB325_1055 Depth=1
	s_or_b32 exec_lo, exec_lo, s15
.LBB325_2092:                           ;   in Loop: Header=BB325_1055 Depth=1
	s_or_b32 exec_lo, exec_lo, s13
.LBB325_2093:                           ;   in Loop: Header=BB325_1055 Depth=1
	s_or_b32 exec_lo, exec_lo, s12
	v_lshrrev_b32_e32 v0, 16, v10
	v_cmp_ne_u16_sdwa s4, v0, v1 src0_sel:BYTE_0 src1_sel:DWORD
	s_and_saveexec_b32 s12, s4
	s_cbranch_execz .LBB325_2101
; %bb.2094:                             ;   in Loop: Header=BB325_1055 Depth=1
	v_cmp_ne_u16_sdwa s4, v0, v16 src0_sel:BYTE_0 src1_sel:DWORD
	v_mov_b32_e32 v43, 0x8000
	s_and_saveexec_b32 s13, s4
	s_cbranch_execz .LBB325_2100
; %bb.2095:                             ;   in Loop: Header=BB325_1055 Depth=1
	v_bfe_u32 v47, v10, 16, 7
	v_mov_b32_e32 v43, 0x7c01
	s_mov_b32 s15, exec_lo
	v_cmpx_ne_u32_e32 0x7f, v47
	s_cbranch_execz .LBB325_2099
; %bb.2096:                             ;   in Loop: Header=BB325_1055 Depth=1
	v_and_b32_e32 v43, 7, v0
	v_lshrrev_b32_e32 v46, 3, v47
	s_mov_b32 s18, exec_lo
	v_cmpx_gt_u32_e32 8, v47
; %bb.2097:                             ;   in Loop: Header=BB325_1055 Depth=1
	v_ffbh_u32_e32 v43, v43
	v_min_u32_e32 v43, 32, v43
	v_subrev_nc_u32_e32 v46, 28, v43
	v_lshlrev_b64 v[56:57], v46, v[0:1]
	v_sub_nc_u32_e32 v46, 29, v43
	v_and_b32_e32 v43, 7, v56
; %bb.2098:                             ;   in Loop: Header=BB325_1055 Depth=1
	s_or_b32 exec_lo, exec_lo, s18
	v_lshlrev_b32_e32 v0, 8, v0
	v_lshl_add_u32 v46, v46, 10, 0x2000
	v_lshlrev_b32_e32 v43, 7, v43
	v_and_b32_e32 v0, 0x8000, v0
	v_and_b32_e32 v46, 0xfc00, v46
	v_or3_b32 v43, v0, v46, v43
.LBB325_2099:                           ;   in Loop: Header=BB325_1055 Depth=1
	s_or_b32 exec_lo, exec_lo, s15
.LBB325_2100:                           ;   in Loop: Header=BB325_1055 Depth=1
	s_or_b32 exec_lo, exec_lo, s13
.LBB325_2101:                           ;   in Loop: Header=BB325_1055 Depth=1
	s_or_b32 exec_lo, exec_lo, s12
	v_cmp_lt_u64_e64 s4, s[8:9], v[9:10]
	v_mov_b32_e32 v9, 0
	s_and_saveexec_b32 s12, s4
	s_cbranch_execz .LBB325_2109
; %bb.2102:                             ;   in Loop: Header=BB325_1055 Depth=1
	v_lshrrev_b32_e32 v0, 24, v10
	v_bfrev_b32_e32 v9, 1
	s_mov_b32 s13, exec_lo
	v_cmpx_ne_u32_e32 0x80, v0
	s_cbranch_execz .LBB325_2108
; %bb.2103:                             ;   in Loop: Header=BB325_1055 Depth=1
	v_and_b32_e32 v46, 0x7f, v0
	v_mov_b32_e32 v9, 0x7c010000
	s_mov_b32 s15, exec_lo
	v_cmpx_ne_u32_e32 0x7f, v46
	s_cbranch_execz .LBB325_2107
; %bb.2104:                             ;   in Loop: Header=BB325_1055 Depth=1
	v_and_b32_e32 v9, 7, v0
	v_lshrrev_b32_e32 v10, 3, v46
	s_mov_b32 s18, exec_lo
	v_cmpx_gt_u32_e32 8, v46
; %bb.2105:                             ;   in Loop: Header=BB325_1055 Depth=1
	v_ffbh_u32_e32 v9, v9
	v_min_u32_e32 v46, 32, v9
	v_subrev_nc_u32_e32 v9, 28, v46
	v_lshlrev_b64 v[9:10], v9, v[0:1]
	v_sub_nc_u32_e32 v10, 29, v46
	v_and_b32_e32 v9, 7, v9
; %bb.2106:                             ;   in Loop: Header=BB325_1055 Depth=1
	s_or_b32 exec_lo, exec_lo, s18
	v_lshlrev_b32_e32 v0, 8, v0
	v_lshl_add_u32 v10, v10, 10, 0x2000
	v_lshlrev_b32_e32 v9, 23, v9
	v_and_or_b32 v0, 0x8000, v0, v10
	v_lshl_or_b32 v9, v0, 16, v9
.LBB325_2107:                           ;   in Loop: Header=BB325_1055 Depth=1
	s_or_b32 exec_lo, exec_lo, s15
.LBB325_2108:                           ;   in Loop: Header=BB325_1055 Depth=1
	s_or_b32 exec_lo, exec_lo, s13
.LBB325_2109:                           ;   in Loop: Header=BB325_1055 Depth=1
	s_or_b32 exec_lo, exec_lo, s12
	v_or_b32_e32 v0, v41, v42
	s_waitcnt vmcnt(0) lgkmcnt(0)
	v_fma_mixlo_f16 v10, v118, v41, 0 op_sel:[0,1,0] op_sel_hi:[0,1,0]
	v_or_b32_e32 v40, v119, v40
	v_fma_mixlo_f16 v41, v118, v119, 0 op_sel:[0,1,0] op_sel_hi:[0,1,0]
	v_or_b32_e32 v42, v45, v44
	v_fma_mixlo_f16 v0, v118, v0, 0 op_sel_hi:[0,1,0]
	v_or_b32_e32 v43, v9, v43
	v_lshlrev_b32_e32 v119, 16, v10
	v_lshlrev_b32_e32 v44, 16, v41
	v_fma_mixlo_f16 v10, v118, v40, 0 op_sel_hi:[0,1,0]
	v_and_b32_e32 v41, 0xffff, v0
	v_fma_mixlo_f16 v0, v118, v45, 0 op_sel:[0,1,0] op_sel_hi:[0,1,0]
	v_fma_mixlo_f16 v40, v118, v42, 0 op_sel_hi:[0,1,0]
	v_fma_mixlo_f16 v9, v118, v9, 0 op_sel:[0,1,0] op_sel_hi:[0,1,0]
	v_fma_mixlo_f16 v118, v118, v43, 0 op_sel_hi:[0,1,0]
	v_and_b32_e32 v46, 0xffff, v10
	v_lshlrev_b32_e32 v42, 16, v0
	v_and_b32_e32 v45, 0xffff, v40
	v_lshlrev_b32_e32 v40, 16, v9
	v_and_b32_e32 v43, 0xffff, v118
	v_or_b32_e32 v0, v119, v41
	v_or_b32_e32 v118, v44, v46
	;; [unrolled: 1-line block ×4, first 2 shown]
	s_and_saveexec_b32 s4, vcc_lo
	s_cbranch_execz .LBB325_1054
; %bb.2110:                             ;   in Loop: Header=BB325_1055 Depth=1
	v_cmp_lt_i32_e32 vcc_lo, v55, v34
	v_cndmask_b32_e32 v0, 0, v46, vcc_lo
	v_cmp_lt_i32_e32 vcc_lo, v83, v34
	v_cndmask_b32_e32 v9, 0, v44, vcc_lo
	v_cmp_lt_i32_e32 vcc_lo, v82, v34
	v_or_b32_e32 v118, v0, v9
	v_cndmask_b32_e32 v10, 0, v41, vcc_lo
	v_cmp_lt_i32_e32 vcc_lo, v81, v34
	v_cndmask_b32_e32 v55, 0, v119, vcc_lo
	v_cmp_lt_i32_e32 vcc_lo, v80, v34
	v_or_b32_e32 v0, v10, v55
	;; [unrolled: 5-line block ×3, first 2 shown]
	v_cndmask_b32_e32 v70, 0, v43, vcc_lo
	v_cmp_lt_i32_e32 vcc_lo, v14, v34
	v_cndmask_b32_e32 v81, 0, v40, vcc_lo
	v_or_b32_e32 v9, v70, v81
	s_branch .LBB325_1054
.LBB325_2111:
	s_or_b32 exec_lo, exec_lo, s11
	v_mov_b32_e32 v0, s16
	v_mov_b32_e32 v1, s17
.LBB325_2112:
	s_or_b32 exec_lo, exec_lo, s7
	v_lshlrev_b64 v[0:1], 2, v[0:1]
	s_getpc_b64 s[8:9]
	s_add_u32 s8, s8, llvm.amdgcn.dynlds.offset.table@rel32@lo+4
	s_addc_u32 s9, s9, llvm.amdgcn.dynlds.offset.table@rel32@hi+12
	s_waitcnt lgkmcnt(0)
	s_waitcnt_vscnt null, 0x0
	s_barrier
	buffer_gl0_inv
	ds_bpermute_b32 v2, v18, v52
	v_add_co_u32 v0, vcc_lo, s8, v0
	v_add_co_ci_u32_e64 v1, null, s9, v1, vcc_lo
	ds_bpermute_b32 v3, v18, v51
	ds_bpermute_b32 v4, v18, v49
	;; [unrolled: 1-line block ×3, first 2 shown]
	global_load_dword v16, v[0:1], off
	ds_bpermute_b32 v0, v18, v50
	ds_bpermute_b32 v1, v18, v53
	;; [unrolled: 1-line block ×12, first 2 shown]
	s_waitcnt lgkmcnt(15)
	v_add_f32_e32 v2, v52, v2
	v_lshrrev_b32_e32 v18, 2, v63
	s_mov_b32 s4, exec_lo
	s_waitcnt lgkmcnt(14)
	v_add_f32_e32 v3, v51, v3
	s_waitcnt lgkmcnt(13)
	v_add_f32_e32 v4, v49, v4
	s_waitcnt lgkmcnt(12)
	v_add_f32_e32 v5, v48, v5
	v_and_b32_e32 v48, 28, v63
	s_waitcnt lgkmcnt(11)
	v_add_f32_e32 v0, v50, v0
	s_waitcnt lgkmcnt(10)
	v_add_f32_e32 v1, v53, v1
	;; [unrolled: 2-line block ×12, first 2 shown]
	ds_bpermute_b32 v8, v13, v0
	ds_bpermute_b32 v9, v13, v1
	;; [unrolled: 1-line block ×16, first 2 shown]
	v_lshlrev_b32_e32 v20, 9, v62
	v_and_b32_e32 v49, 0x3c3, v60
	s_waitcnt lgkmcnt(15)
	v_add_f32_e32 v15, v0, v8
	s_waitcnt lgkmcnt(14)
	v_add_f32_e32 v14, v1, v9
	;; [unrolled: 2-line block ×16, first 2 shown]
	s_waitcnt vmcnt(0)
	v_add_nc_u32_e32 v17, v16, v48
	v_cmpx_eq_u32_e32 64, v49
	s_cbranch_execz .LBB325_2114
; %bb.2113:
	v_add_nc_u32_e32 v21, v17, v20
	v_add_nc_u32_e32 v22, 0xfffffc00, v21
	;; [unrolled: 1-line block ×7, first 2 shown]
	ds_write_b32 v22, v15
	ds_write_b32 v23, v14
	;; [unrolled: 1-line block ×6, first 2 shown]
	v_add_nc_u32_e32 v22, 0xfffffcc0, v21
	v_add_nc_u32_e32 v23, 0xfffffce0, v21
	;; [unrolled: 1-line block ×5, first 2 shown]
	ds_write_b32 v22, v9
	ds_write_b32 v23, v8
	;; [unrolled: 1-line block ×5, first 2 shown]
	v_add_nc_u32_e32 v22, 0xfffffd60, v21
	v_add_nc_u32_e32 v23, 0xfffffd80, v21
	v_add_nc_u32_e32 v24, 0xfffffda0, v21
	v_add_nc_u32_e32 v25, 0xfffffdc0, v21
	v_add_nc_u32_e32 v21, 0xfffffde0, v21
	ds_write_b32 v22, v4
	ds_write_b32 v23, v3
	;; [unrolled: 1-line block ×5, first 2 shown]
.LBB325_2114:
	s_or_b32 exec_lo, exec_lo, s4
	v_lshlrev_b32_e32 v18, 2, v18
	s_mov_b32 s7, exec_lo
	v_cmp_eq_u32_e32 vcc_lo, 0, v19
	s_waitcnt lgkmcnt(0)
	s_barrier
	v_add3_u32 v16, v16, v20, v18
	buffer_gl0_inv
	v_cmpx_gt_u32_e32 64, v60
	s_cbranch_execz .LBB325_2133
; %bb.2115:
	s_and_saveexec_b32 s4, vcc_lo
	s_cbranch_execnz .LBB325_2157
; %bb.2116:
	s_or_b32 exec_lo, exec_lo, s4
	s_and_saveexec_b32 s4, vcc_lo
	s_cbranch_execnz .LBB325_2158
.LBB325_2117:
	s_or_b32 exec_lo, exec_lo, s4
	s_and_saveexec_b32 s4, vcc_lo
	s_cbranch_execnz .LBB325_2159
.LBB325_2118:
	s_or_b32 exec_lo, exec_lo, s4
	s_and_saveexec_b32 s4, vcc_lo
	s_cbranch_execnz .LBB325_2160
.LBB325_2119:
	s_or_b32 exec_lo, exec_lo, s4
	s_and_saveexec_b32 s4, vcc_lo
	s_cbranch_execnz .LBB325_2161
.LBB325_2120:
	s_or_b32 exec_lo, exec_lo, s4
	s_and_saveexec_b32 s4, vcc_lo
	s_cbranch_execnz .LBB325_2162
.LBB325_2121:
	s_or_b32 exec_lo, exec_lo, s4
	s_and_saveexec_b32 s4, vcc_lo
	s_cbranch_execnz .LBB325_2163
.LBB325_2122:
	s_or_b32 exec_lo, exec_lo, s4
	s_and_saveexec_b32 s4, vcc_lo
	s_cbranch_execnz .LBB325_2164
.LBB325_2123:
	s_or_b32 exec_lo, exec_lo, s4
	s_and_saveexec_b32 s4, vcc_lo
	s_cbranch_execnz .LBB325_2165
.LBB325_2124:
	s_or_b32 exec_lo, exec_lo, s4
	s_and_saveexec_b32 s4, vcc_lo
	s_cbranch_execnz .LBB325_2166
.LBB325_2125:
	s_or_b32 exec_lo, exec_lo, s4
	s_and_saveexec_b32 s4, vcc_lo
	s_cbranch_execnz .LBB325_2167
.LBB325_2126:
	s_or_b32 exec_lo, exec_lo, s4
	s_and_saveexec_b32 s4, vcc_lo
	s_cbranch_execnz .LBB325_2168
.LBB325_2127:
	s_or_b32 exec_lo, exec_lo, s4
	s_and_saveexec_b32 s4, vcc_lo
	s_cbranch_execnz .LBB325_2169
.LBB325_2128:
	s_or_b32 exec_lo, exec_lo, s4
	s_and_saveexec_b32 s4, vcc_lo
	s_cbranch_execnz .LBB325_2170
.LBB325_2129:
	s_or_b32 exec_lo, exec_lo, s4
	s_and_saveexec_b32 s4, vcc_lo
	s_cbranch_execnz .LBB325_2171
.LBB325_2130:
	s_or_b32 exec_lo, exec_lo, s4
	s_and_saveexec_b32 s4, vcc_lo
	s_cbranch_execz .LBB325_2132
.LBB325_2131:
	ds_read_b32 v18, v16 offset:480
	s_waitcnt lgkmcnt(0)
	v_add_f32_e32 v0, v18, v0
.LBB325_2132:
	s_or_b32 exec_lo, exec_lo, s4
.LBB325_2133:
	s_or_b32 exec_lo, exec_lo, s7
	v_and_b32_e32 v18, 0x3e3, v60
	s_mov_b32 s7, exec_lo
	s_barrier
	buffer_gl0_inv
	v_cmpx_eq_u32_e32 32, v18
	s_cbranch_execz .LBB325_2135
; %bb.2134:
	ds_write2_b32 v17, v15, v14 offset1:8
	ds_write2_b32 v17, v13, v12 offset0:16 offset1:24
	ds_write2_b32 v17, v11, v10 offset0:32 offset1:40
	;; [unrolled: 1-line block ×7, first 2 shown]
.LBB325_2135:
	s_or_b32 exec_lo, exec_lo, s7
	s_mov_b32 s7, exec_lo
	s_waitcnt lgkmcnt(0)
	s_barrier
	buffer_gl0_inv
	v_cmpx_gt_u32_e32 32, v60
	s_cbranch_execz .LBB325_2154
; %bb.2136:
	s_and_saveexec_b32 s4, vcc_lo
	s_cbranch_execnz .LBB325_2172
; %bb.2137:
	s_or_b32 exec_lo, exec_lo, s4
	s_and_saveexec_b32 s4, vcc_lo
	s_cbranch_execnz .LBB325_2173
.LBB325_2138:
	s_or_b32 exec_lo, exec_lo, s4
	s_and_saveexec_b32 s4, vcc_lo
	s_cbranch_execnz .LBB325_2174
.LBB325_2139:
	s_or_b32 exec_lo, exec_lo, s4
	s_and_saveexec_b32 s4, vcc_lo
	s_cbranch_execnz .LBB325_2175
.LBB325_2140:
	s_or_b32 exec_lo, exec_lo, s4
	s_and_saveexec_b32 s4, vcc_lo
	s_cbranch_execnz .LBB325_2176
.LBB325_2141:
	s_or_b32 exec_lo, exec_lo, s4
	s_and_saveexec_b32 s4, vcc_lo
	s_cbranch_execnz .LBB325_2177
.LBB325_2142:
	s_or_b32 exec_lo, exec_lo, s4
	s_and_saveexec_b32 s4, vcc_lo
	s_cbranch_execnz .LBB325_2178
.LBB325_2143:
	s_or_b32 exec_lo, exec_lo, s4
	s_and_saveexec_b32 s4, vcc_lo
	s_cbranch_execnz .LBB325_2179
.LBB325_2144:
	s_or_b32 exec_lo, exec_lo, s4
	s_and_saveexec_b32 s4, vcc_lo
	s_cbranch_execnz .LBB325_2180
.LBB325_2145:
	s_or_b32 exec_lo, exec_lo, s4
	s_and_saveexec_b32 s4, vcc_lo
	s_cbranch_execnz .LBB325_2181
.LBB325_2146:
	s_or_b32 exec_lo, exec_lo, s4
	s_and_saveexec_b32 s4, vcc_lo
	s_cbranch_execnz .LBB325_2182
.LBB325_2147:
	s_or_b32 exec_lo, exec_lo, s4
	s_and_saveexec_b32 s4, vcc_lo
	s_cbranch_execnz .LBB325_2183
.LBB325_2148:
	s_or_b32 exec_lo, exec_lo, s4
	s_and_saveexec_b32 s4, vcc_lo
	s_cbranch_execnz .LBB325_2184
.LBB325_2149:
	s_or_b32 exec_lo, exec_lo, s4
	s_and_saveexec_b32 s4, vcc_lo
	s_cbranch_execnz .LBB325_2185
.LBB325_2150:
	s_or_b32 exec_lo, exec_lo, s4
	s_and_saveexec_b32 s4, vcc_lo
	s_cbranch_execnz .LBB325_2186
.LBB325_2151:
	s_or_b32 exec_lo, exec_lo, s4
	s_and_saveexec_b32 s4, vcc_lo
	s_cbranch_execz .LBB325_2153
.LBB325_2152:
	ds_read_b32 v16, v16 offset:480
	s_waitcnt lgkmcnt(0)
	v_add_f32_e32 v0, v16, v0
.LBB325_2153:
	s_or_b32 exec_lo, exec_lo, s4
.LBB325_2154:
	s_or_b32 exec_lo, exec_lo, s7
	v_cmp_eq_u32_e32 vcc_lo, 0, v18
	s_barrier
	buffer_gl0_inv
	s_and_b32 exec_lo, exec_lo, vcc_lo
	s_cbranch_execz .LBB325_2156
; %bb.2155:
	s_lshl_b32 s6, s6, 7
	s_mul_i32 s4, s10, s5
	s_ashr_i32 s7, s6, 31
	s_ashr_i32 s5, s4, 31
	s_lshl_b64 s[6:7], s[6:7], 1
	s_lshl_b64 s[4:5], s[4:5], 1
	v_add_co_u32 v16, vcc_lo, v59, s6
	v_add_co_ci_u32_e64 v17, null, s7, v58, vcc_lo
	s_lshl_b32 s6, s14, 7
	v_add_co_u32 v16, vcc_lo, v16, s4
	s_ashr_i32 s7, s6, 31
	v_add_co_ci_u32_e64 v17, null, s5, v17, vcc_lo
	s_lshl_b64 s[4:5], s[6:7], 1
	v_lshrrev_b32_e32 v18, 1, v60
	v_add_co_u32 v16, vcc_lo, v16, s4
	v_add_co_ci_u32_e64 v17, null, s5, v17, vcc_lo
	;;#ASMSTART
	v_cvt_f16_f32 v15, v15;

	;;#ASMEND
	v_add_co_u32 v16, vcc_lo, v16, v18
	v_add_co_ci_u32_e64 v17, null, 0, v17, vcc_lo
	flat_store_short v[16:17], v15
	;;#ASMSTART
	v_cvt_f16_f32 v14, v14;

	;;#ASMEND
	flat_store_short v[16:17], v14 offset:16
	;;#ASMSTART
	v_cvt_f16_f32 v13, v13;

	;;#ASMEND
	flat_store_short v[16:17], v13 offset:32
	;; [unrolled: 5-line block ×15, first 2 shown]
.LBB325_2156:
	s_or_b32 exec_lo, exec_lo, s19
	s_clause 0x2f
	buffer_load_dword v127, off, s[0:3], s32
	buffer_load_dword v126, off, s[0:3], s32 offset:4
	buffer_load_dword v125, off, s[0:3], s32 offset:8
	;; [unrolled: 1-line block ×47, first 2 shown]
	s_waitcnt vmcnt(0) lgkmcnt(0)
	s_setpc_b64 s[30:31]
.LBB325_2157:
	ds_read_b32 v18, v16
	s_waitcnt lgkmcnt(0)
	v_add_f32_e32 v15, v18, v15
	s_or_b32 exec_lo, exec_lo, s4
	s_and_saveexec_b32 s4, vcc_lo
	s_cbranch_execz .LBB325_2117
.LBB325_2158:
	ds_read_b32 v18, v16 offset:32
	s_waitcnt lgkmcnt(0)
	v_add_f32_e32 v14, v18, v14
	s_or_b32 exec_lo, exec_lo, s4
	s_and_saveexec_b32 s4, vcc_lo
	s_cbranch_execz .LBB325_2118
.LBB325_2159:
	ds_read_b32 v18, v16 offset:64
	s_waitcnt lgkmcnt(0)
	v_add_f32_e32 v13, v18, v13
	s_or_b32 exec_lo, exec_lo, s4
	s_and_saveexec_b32 s4, vcc_lo
	s_cbranch_execz .LBB325_2119
.LBB325_2160:
	ds_read_b32 v18, v16 offset:96
	s_waitcnt lgkmcnt(0)
	v_add_f32_e32 v12, v18, v12
	s_or_b32 exec_lo, exec_lo, s4
	s_and_saveexec_b32 s4, vcc_lo
	s_cbranch_execz .LBB325_2120
.LBB325_2161:
	ds_read_b32 v18, v16 offset:128
	s_waitcnt lgkmcnt(0)
	v_add_f32_e32 v11, v18, v11
	s_or_b32 exec_lo, exec_lo, s4
	s_and_saveexec_b32 s4, vcc_lo
	s_cbranch_execz .LBB325_2121
.LBB325_2162:
	ds_read_b32 v18, v16 offset:160
	s_waitcnt lgkmcnt(0)
	v_add_f32_e32 v10, v18, v10
	s_or_b32 exec_lo, exec_lo, s4
	s_and_saveexec_b32 s4, vcc_lo
	s_cbranch_execz .LBB325_2122
.LBB325_2163:
	ds_read_b32 v18, v16 offset:192
	s_waitcnt lgkmcnt(0)
	v_add_f32_e32 v9, v18, v9
	s_or_b32 exec_lo, exec_lo, s4
	s_and_saveexec_b32 s4, vcc_lo
	s_cbranch_execz .LBB325_2123
.LBB325_2164:
	ds_read_b32 v18, v16 offset:224
	s_waitcnt lgkmcnt(0)
	v_add_f32_e32 v8, v18, v8
	s_or_b32 exec_lo, exec_lo, s4
	s_and_saveexec_b32 s4, vcc_lo
	s_cbranch_execz .LBB325_2124
.LBB325_2165:
	ds_read_b32 v18, v16 offset:256
	s_waitcnt lgkmcnt(0)
	v_add_f32_e32 v7, v18, v7
	s_or_b32 exec_lo, exec_lo, s4
	s_and_saveexec_b32 s4, vcc_lo
	s_cbranch_execz .LBB325_2125
.LBB325_2166:
	ds_read_b32 v18, v16 offset:288
	s_waitcnt lgkmcnt(0)
	v_add_f32_e32 v6, v18, v6
	s_or_b32 exec_lo, exec_lo, s4
	s_and_saveexec_b32 s4, vcc_lo
	s_cbranch_execz .LBB325_2126
.LBB325_2167:
	ds_read_b32 v18, v16 offset:320
	s_waitcnt lgkmcnt(0)
	v_add_f32_e32 v5, v18, v5
	s_or_b32 exec_lo, exec_lo, s4
	s_and_saveexec_b32 s4, vcc_lo
	s_cbranch_execz .LBB325_2127
.LBB325_2168:
	ds_read_b32 v18, v16 offset:352
	s_waitcnt lgkmcnt(0)
	v_add_f32_e32 v4, v18, v4
	s_or_b32 exec_lo, exec_lo, s4
	s_and_saveexec_b32 s4, vcc_lo
	s_cbranch_execz .LBB325_2128
.LBB325_2169:
	ds_read_b32 v18, v16 offset:384
	s_waitcnt lgkmcnt(0)
	v_add_f32_e32 v3, v18, v3
	s_or_b32 exec_lo, exec_lo, s4
	s_and_saveexec_b32 s4, vcc_lo
	s_cbranch_execz .LBB325_2129
.LBB325_2170:
	ds_read_b32 v18, v16 offset:416
	s_waitcnt lgkmcnt(0)
	v_add_f32_e32 v2, v18, v2
	s_or_b32 exec_lo, exec_lo, s4
	s_and_saveexec_b32 s4, vcc_lo
	s_cbranch_execz .LBB325_2130
.LBB325_2171:
	ds_read_b32 v18, v16 offset:448
	s_waitcnt lgkmcnt(0)
	v_add_f32_e32 v1, v18, v1
	s_or_b32 exec_lo, exec_lo, s4
	s_and_saveexec_b32 s4, vcc_lo
	s_cbranch_execnz .LBB325_2131
	s_branch .LBB325_2132
.LBB325_2172:
	ds_read_b32 v17, v16
	s_waitcnt lgkmcnt(0)
	v_add_f32_e32 v15, v17, v15
	s_or_b32 exec_lo, exec_lo, s4
	s_and_saveexec_b32 s4, vcc_lo
	s_cbranch_execz .LBB325_2138
.LBB325_2173:
	ds_read_b32 v17, v16 offset:32
	s_waitcnt lgkmcnt(0)
	v_add_f32_e32 v14, v17, v14
	s_or_b32 exec_lo, exec_lo, s4
	s_and_saveexec_b32 s4, vcc_lo
	s_cbranch_execz .LBB325_2139
.LBB325_2174:
	ds_read_b32 v17, v16 offset:64
	s_waitcnt lgkmcnt(0)
	v_add_f32_e32 v13, v17, v13
	s_or_b32 exec_lo, exec_lo, s4
	s_and_saveexec_b32 s4, vcc_lo
	s_cbranch_execz .LBB325_2140
.LBB325_2175:
	ds_read_b32 v17, v16 offset:96
	s_waitcnt lgkmcnt(0)
	v_add_f32_e32 v12, v17, v12
	s_or_b32 exec_lo, exec_lo, s4
	s_and_saveexec_b32 s4, vcc_lo
	s_cbranch_execz .LBB325_2141
.LBB325_2176:
	ds_read_b32 v17, v16 offset:128
	s_waitcnt lgkmcnt(0)
	v_add_f32_e32 v11, v17, v11
	s_or_b32 exec_lo, exec_lo, s4
	s_and_saveexec_b32 s4, vcc_lo
	s_cbranch_execz .LBB325_2142
.LBB325_2177:
	ds_read_b32 v17, v16 offset:160
	s_waitcnt lgkmcnt(0)
	v_add_f32_e32 v10, v17, v10
	s_or_b32 exec_lo, exec_lo, s4
	s_and_saveexec_b32 s4, vcc_lo
	s_cbranch_execz .LBB325_2143
.LBB325_2178:
	ds_read_b32 v17, v16 offset:192
	s_waitcnt lgkmcnt(0)
	v_add_f32_e32 v9, v17, v9
	s_or_b32 exec_lo, exec_lo, s4
	s_and_saveexec_b32 s4, vcc_lo
	s_cbranch_execz .LBB325_2144
.LBB325_2179:
	ds_read_b32 v17, v16 offset:224
	s_waitcnt lgkmcnt(0)
	v_add_f32_e32 v8, v17, v8
	s_or_b32 exec_lo, exec_lo, s4
	s_and_saveexec_b32 s4, vcc_lo
	s_cbranch_execz .LBB325_2145
.LBB325_2180:
	ds_read_b32 v17, v16 offset:256
	s_waitcnt lgkmcnt(0)
	v_add_f32_e32 v7, v17, v7
	s_or_b32 exec_lo, exec_lo, s4
	s_and_saveexec_b32 s4, vcc_lo
	s_cbranch_execz .LBB325_2146
.LBB325_2181:
	ds_read_b32 v17, v16 offset:288
	s_waitcnt lgkmcnt(0)
	v_add_f32_e32 v6, v17, v6
	s_or_b32 exec_lo, exec_lo, s4
	s_and_saveexec_b32 s4, vcc_lo
	s_cbranch_execz .LBB325_2147
.LBB325_2182:
	ds_read_b32 v17, v16 offset:320
	s_waitcnt lgkmcnt(0)
	v_add_f32_e32 v5, v17, v5
	s_or_b32 exec_lo, exec_lo, s4
	s_and_saveexec_b32 s4, vcc_lo
	s_cbranch_execz .LBB325_2148
.LBB325_2183:
	ds_read_b32 v17, v16 offset:352
	s_waitcnt lgkmcnt(0)
	v_add_f32_e32 v4, v17, v4
	s_or_b32 exec_lo, exec_lo, s4
	s_and_saveexec_b32 s4, vcc_lo
	s_cbranch_execz .LBB325_2149
.LBB325_2184:
	ds_read_b32 v17, v16 offset:384
	s_waitcnt lgkmcnt(0)
	v_add_f32_e32 v3, v17, v3
	s_or_b32 exec_lo, exec_lo, s4
	s_and_saveexec_b32 s4, vcc_lo
	s_cbranch_execz .LBB325_2150
.LBB325_2185:
	ds_read_b32 v17, v16 offset:416
	s_waitcnt lgkmcnt(0)
	v_add_f32_e32 v2, v17, v2
	s_or_b32 exec_lo, exec_lo, s4
	s_and_saveexec_b32 s4, vcc_lo
	s_cbranch_execz .LBB325_2151
.LBB325_2186:
	ds_read_b32 v17, v16 offset:448
	s_waitcnt lgkmcnt(0)
	v_add_f32_e32 v1, v17, v1
	s_or_b32 exec_lo, exec_lo, s4
	s_and_saveexec_b32 s4, vcc_lo
	s_cbranch_execnz .LBB325_2152
	s_branch .LBB325_2153
.Lfunc_end325:
	.size	_ZN4vllm22paged_attention_kernelIthLi128ELi32ELi128ELNS_18Fp8KVCacheDataTypeE1ELb0ELi512EEEvPfS2_PT_PKS3_PKT0_S9_ifPKiSB_iPKfiiiSD_SD_iiiii, .Lfunc_end325-_ZN4vllm22paged_attention_kernelIthLi128ELi32ELi128ELNS_18Fp8KVCacheDataTypeE1ELb0ELi512EEEvPfS2_PT_PKS3_PKT0_S9_ifPKiSB_iPKfiiiSD_SD_iiiii
                                        ; -- End function
	.set .L_ZN4vllm22paged_attention_kernelIthLi128ELi32ELi128ELNS_18Fp8KVCacheDataTypeE1ELb0ELi512EEEvPfS2_PT_PKS3_PKT0_S9_ifPKiSB_iPKfiiiSD_SD_iiiii.num_vgpr, 128
	.set .L_ZN4vllm22paged_attention_kernelIthLi128ELi32ELi128ELNS_18Fp8KVCacheDataTypeE1ELb0ELi512EEEvPfS2_PT_PKS3_PKT0_S9_ifPKiSB_iPKfiiiSD_SD_iiiii.num_agpr, 0
	.set .L_ZN4vllm22paged_attention_kernelIthLi128ELi32ELi128ELNS_18Fp8KVCacheDataTypeE1ELb0ELi512EEEvPfS2_PT_PKS3_PKT0_S9_ifPKiSB_iPKfiiiSD_SD_iiiii.numbered_sgpr, 33
	.set .L_ZN4vllm22paged_attention_kernelIthLi128ELi32ELi128ELNS_18Fp8KVCacheDataTypeE1ELb0ELi512EEEvPfS2_PT_PKS3_PKT0_S9_ifPKiSB_iPKfiiiSD_SD_iiiii.num_named_barrier, 0
	.set .L_ZN4vllm22paged_attention_kernelIthLi128ELi32ELi128ELNS_18Fp8KVCacheDataTypeE1ELb0ELi512EEEvPfS2_PT_PKS3_PKT0_S9_ifPKiSB_iPKfiiiSD_SD_iiiii.private_seg_size, 480
	.set .L_ZN4vllm22paged_attention_kernelIthLi128ELi32ELi128ELNS_18Fp8KVCacheDataTypeE1ELb0ELi512EEEvPfS2_PT_PKS3_PKT0_S9_ifPKiSB_iPKfiiiSD_SD_iiiii.uses_vcc, 1
	.set .L_ZN4vllm22paged_attention_kernelIthLi128ELi32ELi128ELNS_18Fp8KVCacheDataTypeE1ELb0ELi512EEEvPfS2_PT_PKS3_PKT0_S9_ifPKiSB_iPKfiiiSD_SD_iiiii.uses_flat_scratch, 0
	.set .L_ZN4vllm22paged_attention_kernelIthLi128ELi32ELi128ELNS_18Fp8KVCacheDataTypeE1ELb0ELi512EEEvPfS2_PT_PKS3_PKT0_S9_ifPKiSB_iPKfiiiSD_SD_iiiii.has_dyn_sized_stack, 0
	.set .L_ZN4vllm22paged_attention_kernelIthLi128ELi32ELi128ELNS_18Fp8KVCacheDataTypeE1ELb0ELi512EEEvPfS2_PT_PKS3_PKT0_S9_ifPKiSB_iPKfiiiSD_SD_iiiii.has_recursion, 0
	.set .L_ZN4vllm22paged_attention_kernelIthLi128ELi32ELi128ELNS_18Fp8KVCacheDataTypeE1ELb0ELi512EEEvPfS2_PT_PKS3_PKT0_S9_ifPKiSB_iPKfiiiSD_SD_iiiii.has_indirect_call, 0
	.section	.AMDGPU.csdata,"",@progbits
; Function info:
; codeLenInByte = 73092
; TotalNumSgprs: 35
; NumVgprs: 128
; ScratchSize: 480
; MemoryBound: 0
	.section	.text._ZN4vllm25paged_attention_v2_kernelIthLi128ELi32ELi128ELNS_18Fp8KVCacheDataTypeE1ELb0ELi512EEEvPfS2_PT_PKS3_PKT0_S9_ifPKiSB_iPKfiiiSD_SD_iiiii,"axG",@progbits,_ZN4vllm25paged_attention_v2_kernelIthLi128ELi32ELi128ELNS_18Fp8KVCacheDataTypeE1ELb0ELi512EEEvPfS2_PT_PKS3_PKT0_S9_ifPKiSB_iPKfiiiSD_SD_iiiii,comdat
	.protected	_ZN4vllm25paged_attention_v2_kernelIthLi128ELi32ELi128ELNS_18Fp8KVCacheDataTypeE1ELb0ELi512EEEvPfS2_PT_PKS3_PKT0_S9_ifPKiSB_iPKfiiiSD_SD_iiiii ; -- Begin function _ZN4vllm25paged_attention_v2_kernelIthLi128ELi32ELi128ELNS_18Fp8KVCacheDataTypeE1ELb0ELi512EEEvPfS2_PT_PKS3_PKT0_S9_ifPKiSB_iPKfiiiSD_SD_iiiii
	.globl	_ZN4vllm25paged_attention_v2_kernelIthLi128ELi32ELi128ELNS_18Fp8KVCacheDataTypeE1ELb0ELi512EEEvPfS2_PT_PKS3_PKT0_S9_ifPKiSB_iPKfiiiSD_SD_iiiii
	.p2align	8
	.type	_ZN4vllm25paged_attention_v2_kernelIthLi128ELi32ELi128ELNS_18Fp8KVCacheDataTypeE1ELb0ELi512EEEvPfS2_PT_PKS3_PKT0_S9_ifPKiSB_iPKfiiiSD_SD_iiiii,@function
_ZN4vllm25paged_attention_v2_kernelIthLi128ELi32ELi128ELNS_18Fp8KVCacheDataTypeE1ELb0ELi512EEEvPfS2_PT_PKS3_PKT0_S9_ifPKiSB_iPKfiiiSD_SD_iiiii: ; @_ZN4vllm25paged_attention_v2_kernelIthLi128ELi32ELi128ELNS_18Fp8KVCacheDataTypeE1ELb0ELi512EEEvPfS2_PT_PKS3_PKT0_S9_ifPKiSB_iPKfiiiSD_SD_iiiii
; %bb.0:
	s_clause 0x5
	s_load_dwordx8 s[24:31], s[4:5], 0x0
	s_load_dwordx8 s[16:23], s[4:5], 0x20
	s_load_dwordx2 s[10:11], s[4:5], 0x40
	s_load_dwordx2 s[34:35], s[4:5], 0x50
	s_load_dword s13, s[4:5], 0x48
	s_load_dwordx8 s[36:43], s[4:5], 0x58
	s_add_u32 s0, s0, s9
	s_addc_u32 s1, s1, 0
	v_mov_b32_e32 v31, v0
	s_mov_b32 s14, s8
	s_add_u32 s8, s4, 0x90
	s_addc_u32 s9, s5, 0
	s_getpc_b64 s[4:5]
	s_add_u32 s4, s4, _ZN4vllm22paged_attention_kernelIthLi128ELi32ELi128ELNS_18Fp8KVCacheDataTypeE1ELb0ELi512EEEvPfS2_PT_PKS3_PKT0_S9_ifPKiSB_iPKfiiiSD_SD_iiiii@rel32@lo+4
	s_addc_u32 s5, s5, _ZN4vllm22paged_attention_kernelIthLi128ELi32ELi128ELNS_18Fp8KVCacheDataTypeE1ELb0ELi512EEEvPfS2_PT_PKS3_PKT0_S9_ifPKiSB_iPKfiiiSD_SD_iiiii@rel32@hi+12
	s_mov_b32 s12, s6
	s_mov_b32 s15, 38
	;; [unrolled: 1-line block ×3, first 2 shown]
	s_waitcnt lgkmcnt(0)
	v_mov_b32_e32 v0, s24
	v_mov_b32_e32 v1, s25
	;; [unrolled: 1-line block ×28, first 2 shown]
	s_mov_b32 s13, s7
	s_swappc_b64 s[30:31], s[4:5]
	s_endpgm
	.section	.rodata,"a",@progbits
	.p2align	6, 0x0
	.amdhsa_kernel _ZN4vllm25paged_attention_v2_kernelIthLi128ELi32ELi128ELNS_18Fp8KVCacheDataTypeE1ELb0ELi512EEEvPfS2_PT_PKS3_PKT0_S9_ifPKiSB_iPKfiiiSD_SD_iiiii
		.amdhsa_group_segment_fixed_size 288
		.amdhsa_private_segment_fixed_size 480
		.amdhsa_kernarg_size 400
		.amdhsa_user_sgpr_count 6
		.amdhsa_user_sgpr_private_segment_buffer 1
		.amdhsa_user_sgpr_dispatch_ptr 0
		.amdhsa_user_sgpr_queue_ptr 0
		.amdhsa_user_sgpr_kernarg_segment_ptr 1
		.amdhsa_user_sgpr_dispatch_id 0
		.amdhsa_user_sgpr_flat_scratch_init 0
		.amdhsa_user_sgpr_private_segment_size 0
		.amdhsa_wavefront_size32 1
		.amdhsa_uses_dynamic_stack 0
		.amdhsa_system_sgpr_private_segment_wavefront_offset 1
		.amdhsa_system_sgpr_workgroup_id_x 1
		.amdhsa_system_sgpr_workgroup_id_y 1
		.amdhsa_system_sgpr_workgroup_id_z 1
		.amdhsa_system_sgpr_workgroup_info 0
		.amdhsa_system_vgpr_workitem_id 0
		.amdhsa_next_free_vgpr 128
		.amdhsa_next_free_sgpr 44
		.amdhsa_reserve_vcc 1
		.amdhsa_reserve_flat_scratch 0
		.amdhsa_float_round_mode_32 0
		.amdhsa_float_round_mode_16_64 0
		.amdhsa_float_denorm_mode_32 3
		.amdhsa_float_denorm_mode_16_64 3
		.amdhsa_dx10_clamp 1
		.amdhsa_ieee_mode 1
		.amdhsa_fp16_overflow 0
		.amdhsa_workgroup_processor_mode 1
		.amdhsa_memory_ordered 1
		.amdhsa_forward_progress 1
		.amdhsa_shared_vgpr_count 0
		.amdhsa_exception_fp_ieee_invalid_op 0
		.amdhsa_exception_fp_denorm_src 0
		.amdhsa_exception_fp_ieee_div_zero 0
		.amdhsa_exception_fp_ieee_overflow 0
		.amdhsa_exception_fp_ieee_underflow 0
		.amdhsa_exception_fp_ieee_inexact 0
		.amdhsa_exception_int_div_zero 0
	.end_amdhsa_kernel
	.section	.text._ZN4vllm25paged_attention_v2_kernelIthLi128ELi32ELi128ELNS_18Fp8KVCacheDataTypeE1ELb0ELi512EEEvPfS2_PT_PKS3_PKT0_S9_ifPKiSB_iPKfiiiSD_SD_iiiii,"axG",@progbits,_ZN4vllm25paged_attention_v2_kernelIthLi128ELi32ELi128ELNS_18Fp8KVCacheDataTypeE1ELb0ELi512EEEvPfS2_PT_PKS3_PKT0_S9_ifPKiSB_iPKfiiiSD_SD_iiiii,comdat
.Lfunc_end326:
	.size	_ZN4vllm25paged_attention_v2_kernelIthLi128ELi32ELi128ELNS_18Fp8KVCacheDataTypeE1ELb0ELi512EEEvPfS2_PT_PKS3_PKT0_S9_ifPKiSB_iPKfiiiSD_SD_iiiii, .Lfunc_end326-_ZN4vllm25paged_attention_v2_kernelIthLi128ELi32ELi128ELNS_18Fp8KVCacheDataTypeE1ELb0ELi512EEEvPfS2_PT_PKS3_PKT0_S9_ifPKiSB_iPKfiiiSD_SD_iiiii
                                        ; -- End function
	.set _ZN4vllm25paged_attention_v2_kernelIthLi128ELi32ELi128ELNS_18Fp8KVCacheDataTypeE1ELb0ELi512EEEvPfS2_PT_PKS3_PKT0_S9_ifPKiSB_iPKfiiiSD_SD_iiiii.num_vgpr, max(32, .L_ZN4vllm22paged_attention_kernelIthLi128ELi32ELi128ELNS_18Fp8KVCacheDataTypeE1ELb0ELi512EEEvPfS2_PT_PKS3_PKT0_S9_ifPKiSB_iPKfiiiSD_SD_iiiii.num_vgpr)
	.set _ZN4vllm25paged_attention_v2_kernelIthLi128ELi32ELi128ELNS_18Fp8KVCacheDataTypeE1ELb0ELi512EEEvPfS2_PT_PKS3_PKT0_S9_ifPKiSB_iPKfiiiSD_SD_iiiii.num_agpr, max(0, .L_ZN4vllm22paged_attention_kernelIthLi128ELi32ELi128ELNS_18Fp8KVCacheDataTypeE1ELb0ELi512EEEvPfS2_PT_PKS3_PKT0_S9_ifPKiSB_iPKfiiiSD_SD_iiiii.num_agpr)
	.set _ZN4vllm25paged_attention_v2_kernelIthLi128ELi32ELi128ELNS_18Fp8KVCacheDataTypeE1ELb0ELi512EEEvPfS2_PT_PKS3_PKT0_S9_ifPKiSB_iPKfiiiSD_SD_iiiii.numbered_sgpr, max(44, .L_ZN4vllm22paged_attention_kernelIthLi128ELi32ELi128ELNS_18Fp8KVCacheDataTypeE1ELb0ELi512EEEvPfS2_PT_PKS3_PKT0_S9_ifPKiSB_iPKfiiiSD_SD_iiiii.numbered_sgpr)
	.set _ZN4vllm25paged_attention_v2_kernelIthLi128ELi32ELi128ELNS_18Fp8KVCacheDataTypeE1ELb0ELi512EEEvPfS2_PT_PKS3_PKT0_S9_ifPKiSB_iPKfiiiSD_SD_iiiii.num_named_barrier, max(0, .L_ZN4vllm22paged_attention_kernelIthLi128ELi32ELi128ELNS_18Fp8KVCacheDataTypeE1ELb0ELi512EEEvPfS2_PT_PKS3_PKT0_S9_ifPKiSB_iPKfiiiSD_SD_iiiii.num_named_barrier)
	.set _ZN4vllm25paged_attention_v2_kernelIthLi128ELi32ELi128ELNS_18Fp8KVCacheDataTypeE1ELb0ELi512EEEvPfS2_PT_PKS3_PKT0_S9_ifPKiSB_iPKfiiiSD_SD_iiiii.private_seg_size, 0+max(.L_ZN4vllm22paged_attention_kernelIthLi128ELi32ELi128ELNS_18Fp8KVCacheDataTypeE1ELb0ELi512EEEvPfS2_PT_PKS3_PKT0_S9_ifPKiSB_iPKfiiiSD_SD_iiiii.private_seg_size)
	.set _ZN4vllm25paged_attention_v2_kernelIthLi128ELi32ELi128ELNS_18Fp8KVCacheDataTypeE1ELb0ELi512EEEvPfS2_PT_PKS3_PKT0_S9_ifPKiSB_iPKfiiiSD_SD_iiiii.uses_vcc, or(1, .L_ZN4vllm22paged_attention_kernelIthLi128ELi32ELi128ELNS_18Fp8KVCacheDataTypeE1ELb0ELi512EEEvPfS2_PT_PKS3_PKT0_S9_ifPKiSB_iPKfiiiSD_SD_iiiii.uses_vcc)
	.set _ZN4vllm25paged_attention_v2_kernelIthLi128ELi32ELi128ELNS_18Fp8KVCacheDataTypeE1ELb0ELi512EEEvPfS2_PT_PKS3_PKT0_S9_ifPKiSB_iPKfiiiSD_SD_iiiii.uses_flat_scratch, or(0, .L_ZN4vllm22paged_attention_kernelIthLi128ELi32ELi128ELNS_18Fp8KVCacheDataTypeE1ELb0ELi512EEEvPfS2_PT_PKS3_PKT0_S9_ifPKiSB_iPKfiiiSD_SD_iiiii.uses_flat_scratch)
	.set _ZN4vllm25paged_attention_v2_kernelIthLi128ELi32ELi128ELNS_18Fp8KVCacheDataTypeE1ELb0ELi512EEEvPfS2_PT_PKS3_PKT0_S9_ifPKiSB_iPKfiiiSD_SD_iiiii.has_dyn_sized_stack, or(0, .L_ZN4vllm22paged_attention_kernelIthLi128ELi32ELi128ELNS_18Fp8KVCacheDataTypeE1ELb0ELi512EEEvPfS2_PT_PKS3_PKT0_S9_ifPKiSB_iPKfiiiSD_SD_iiiii.has_dyn_sized_stack)
	.set _ZN4vllm25paged_attention_v2_kernelIthLi128ELi32ELi128ELNS_18Fp8KVCacheDataTypeE1ELb0ELi512EEEvPfS2_PT_PKS3_PKT0_S9_ifPKiSB_iPKfiiiSD_SD_iiiii.has_recursion, or(0, .L_ZN4vllm22paged_attention_kernelIthLi128ELi32ELi128ELNS_18Fp8KVCacheDataTypeE1ELb0ELi512EEEvPfS2_PT_PKS3_PKT0_S9_ifPKiSB_iPKfiiiSD_SD_iiiii.has_recursion)
	.set _ZN4vllm25paged_attention_v2_kernelIthLi128ELi32ELi128ELNS_18Fp8KVCacheDataTypeE1ELb0ELi512EEEvPfS2_PT_PKS3_PKT0_S9_ifPKiSB_iPKfiiiSD_SD_iiiii.has_indirect_call, or(0, .L_ZN4vllm22paged_attention_kernelIthLi128ELi32ELi128ELNS_18Fp8KVCacheDataTypeE1ELb0ELi512EEEvPfS2_PT_PKS3_PKT0_S9_ifPKiSB_iPKfiiiSD_SD_iiiii.has_indirect_call)
	.section	.AMDGPU.csdata,"",@progbits
; Kernel info:
; codeLenInByte = 240
; TotalNumSgprs: 46
; NumVgprs: 128
; ScratchSize: 480
; MemoryBound: 0
; FloatMode: 240
; IeeeMode: 1
; LDSByteSize: 288 bytes/workgroup (compile time only)
; SGPRBlocks: 0
; VGPRBlocks: 15
; NumSGPRsForWavesPerEU: 46
; NumVGPRsForWavesPerEU: 128
; Occupancy: 8
; WaveLimiterHint : 1
; COMPUTE_PGM_RSRC2:SCRATCH_EN: 1
; COMPUTE_PGM_RSRC2:USER_SGPR: 6
; COMPUTE_PGM_RSRC2:TRAP_HANDLER: 0
; COMPUTE_PGM_RSRC2:TGID_X_EN: 1
; COMPUTE_PGM_RSRC2:TGID_Y_EN: 1
; COMPUTE_PGM_RSRC2:TGID_Z_EN: 1
; COMPUTE_PGM_RSRC2:TIDIG_COMP_CNT: 0
	.text
	.p2align	2                               ; -- Begin function _ZN4vllm22paged_attention_kernelIthLi192ELi32ELi128ELNS_18Fp8KVCacheDataTypeE1ELb0ELi512EEEvPfS2_PT_PKS3_PKT0_S9_ifPKiSB_iPKfiiiSD_SD_iiiii
	.type	_ZN4vllm22paged_attention_kernelIthLi192ELi32ELi128ELNS_18Fp8KVCacheDataTypeE1ELb0ELi512EEEvPfS2_PT_PKS3_PKT0_S9_ifPKiSB_iPKfiiiSD_SD_iiiii,@function
_ZN4vllm22paged_attention_kernelIthLi192ELi32ELi128ELNS_18Fp8KVCacheDataTypeE1ELb0ELi512EEEvPfS2_PT_PKS3_PKT0_S9_ifPKiSB_iPKfiiiSD_SD_iiiii: ; @_ZN4vllm22paged_attention_kernelIthLi192ELi32ELi128ELNS_18Fp8KVCacheDataTypeE1ELb0ELi512EEEvPfS2_PT_PKS3_PKT0_S9_ifPKiSB_iPKfiiiSD_SD_iiiii
; %bb.0:
	s_waitcnt vmcnt(0) expcnt(0) lgkmcnt(0)
	buffer_store_dword v40, off, s[0:3], s32 offset:188 ; 4-byte Folded Spill
	buffer_store_dword v41, off, s[0:3], s32 offset:184 ; 4-byte Folded Spill
	;; [unrolled: 1-line block ×47, first 2 shown]
	buffer_store_dword v127, off, s[0:3], s32 ; 4-byte Folded Spill
	s_mov_b32 s18, s13
	s_ashr_i32 s19, s13, 31
	buffer_store_dword v24, off, s[0:3], s32 offset:852 ; 4-byte Folded Spill
	buffer_store_dword v25, off, s[0:3], s32 offset:856 ; 4-byte Folded Spill
	;; [unrolled: 1-line block ×6, first 2 shown]
	s_lshl_b64 s[4:5], s[18:19], 2
	v_mov_b32_e32 v24, v0
	v_add_co_u32 v0, vcc_lo, v16, s4
	v_mov_b32_e32 v22, v1
	v_add_co_ci_u32_e64 v1, null, s5, v17, vcc_lo
	v_mov_b32_e32 v121, v27
	v_mov_b32_e32 v120, v26
	;; [unrolled: 1-line block ×3, first 2 shown]
	flat_load_dword v36, v[0:1]
	v_mov_b32_e32 v26, v2
	s_lshl_b32 s20, s14, 9
	s_mov_b32 s19, exec_lo
	s_waitcnt vmcnt(0) lgkmcnt(0)
	v_cmpx_lt_i32_e64 s20, v36
	s_cbranch_execz .LBB327_3212
; %bb.1:
	v_sub_nc_u32_e32 v0, 0, v12
	s_clause 0x1
	s_load_dword s4, s[8:9], 0x10
	s_load_dword s5, s[8:9], 0x0
	s_mov_b32 s16, s15
	v_max_i32_e32 v0, v12, v0
	v_cvt_f32_u32_e32 v1, v0
	v_sub_nc_u32_e32 v2, 0, v0
	v_rcp_iflag_f32_e32 v1, v1
	s_waitcnt lgkmcnt(0)
	s_lshr_b32 s4, s4, 16
	s_cmp_lg_u32 s4, 0
	s_cselect_b32 s4, -1, 0
	v_mul_f32_e32 v1, 0x4f7ffffe, v1
	s_cmp_lg_u32 s4, 0
	s_addc_u32 s15, s5, 0
	s_mov_b32 s5, exec_lo
	v_cvt_u32_f32_e32 v1, v1
	s_abs_i32 s4, s15
	v_mul_lo_u32 v2, v2, v1
	v_mul_hi_u32 v2, v1, v2
	v_add_nc_u32_e32 v1, v1, v2
	v_mul_hi_u32 v1, s4, v1
	v_mul_lo_u32 v2, v1, v0
	v_add_nc_u32_e32 v3, 1, v1
	v_sub_nc_u32_e32 v2, s4, v2
	s_abs_i32 s4, s12
	v_sub_nc_u32_e32 v4, v2, v0
	v_cmp_ge_u32_e32 vcc_lo, v2, v0
	v_cndmask_b32_e32 v1, v1, v3, vcc_lo
	v_cndmask_b32_e32 v2, v2, v4, vcc_lo
	v_xor_b32_e32 v3, s15, v12
	v_add_nc_u32_e32 v4, 1, v1
	v_cmp_ge_u32_e32 vcc_lo, v2, v0
	v_ashrrev_i32_e32 v3, 31, v3
	v_cndmask_b32_e32 v0, v1, v4, vcc_lo
	v_xor_b32_e32 v0, v0, v3
	v_sub_nc_u32_e32 v1, v0, v3
	v_sub_nc_u32_e32 v0, 0, v1
	v_max_i32_e32 v0, v1, v0
	v_cvt_f32_u32_e32 v2, v0
	v_sub_nc_u32_e32 v3, 0, v0
	v_rcp_iflag_f32_e32 v2, v2
	v_mul_f32_e32 v2, 0x4f7ffffe, v2
	v_cvt_u32_f32_e32 v2, v2
	v_mul_lo_u32 v3, v3, v2
	v_mul_hi_u32 v3, v2, v3
	v_add_nc_u32_e32 v2, v2, v3
	v_mad_u64_u32 v[16:17], null, s4, v2, 0
	v_mov_b32_e32 v2, 0
	buffer_store_dword v2, off, s[0:3], s32 offset:864 ; 4-byte Folded Spill
	v_cmpx_ne_u64_e32 0, v[19:20]
	s_cbranch_execz .LBB327_3
; %bb.2:
	s_ashr_i32 s13, s12, 31
	s_lshl_b64 s[6:7], s[12:13], 2
	v_add_co_u32 v2, vcc_lo, v19, s6
	v_add_co_ci_u32_e64 v3, null, s7, v20, vcc_lo
	flat_load_dword v2, v[2:3]
	s_waitcnt vmcnt(0) lgkmcnt(0)
	buffer_store_dword v2, off, s[0:3], s32 offset:864 ; 4-byte Folded Spill
.LBB327_3:
	s_or_b32 exec_lo, exec_lo, s5
	v_and_b32_e32 v12, 0x3ff, v31
	v_ashrrev_i32_e32 v1, 31, v1
	s_ashr_i32 s5, s12, 31
	s_mul_i32 s10, s12, 0xc0
	s_mov_b32 s6, exec_lo
	v_cmpx_gt_u32_e32 24, v12
	s_cbranch_execz .LBB327_5
; %bb.4:
	v_mul_lo_u32 v2, v21, s18
	s_ashr_i32 s11, s10, 31
	v_lshlrev_b32_e32 v13, 4, v12
	s_lshl_b64 s[22:23], s[10:11], 1
	v_ashrrev_i32_e32 v3, 31, v2
	v_lshlrev_b64 v[2:3], 1, v[2:3]
	v_add_co_u32 v2, vcc_lo, v6, v2
	v_add_co_ci_u32_e64 v3, null, v7, v3, vcc_lo
	v_add_co_u32 v2, vcc_lo, v2, s22
	v_add_co_ci_u32_e64 v3, null, s23, v3, vcc_lo
	;; [unrolled: 2-line block ×3, first 2 shown]
	flat_load_dwordx4 v[2:5], v[2:3]
	s_waitcnt vmcnt(0) lgkmcnt(0)
	ds_write_b128 v13, v[2:5]
.LBB327_5:
	s_or_b32 exec_lo, exec_lo, s6
	v_mul_lo_u32 v2, v17, v0
	v_add_nc_u32_e32 v3, 1, v17
	v_add_nc_u32_e32 v4, 31, v36
	v_xor_b32_e32 v1, s5, v1
	s_clause 0x1
	s_load_dword s11, s[8:9], 0x14
	s_load_dword s8, s[8:9], 0x8
	s_lshl_b32 s9, s14, 4
	buffer_store_dword v12, off, s[0:3], s32 offset:876 ; 4-byte Folded Spill
	v_ashrrev_i32_e32 v6, 31, v4
	v_sub_nc_u32_e32 v2, s4, v2
	s_add_i32 s4, s9, 16
	s_mov_b32 s13, exec_lo
	v_lshrrev_b32_e32 v6, 27, v6
	v_sub_nc_u32_e32 v5, v2, v0
	v_cmp_ge_u32_e32 vcc_lo, v2, v0
	v_cndmask_b32_e32 v3, v17, v3, vcc_lo
	v_cndmask_b32_e32 v2, v2, v5, vcc_lo
	v_add_nc_u32_e32 v5, 1, v3
	v_cmp_ge_u32_e32 vcc_lo, v2, v0
	v_mul_lo_u32 v0, v18, s18
	v_cndmask_b32_e32 v2, v3, v5, vcc_lo
	v_add_nc_u32_e32 v3, v4, v6
	v_lshrrev_b32_e32 v4, 5, v12
	v_xor_b32_e32 v2, v2, v1
	v_ashrrev_i32_e32 v16, 5, v3
	v_add_nc_u32_e32 v95, s9, v4
	buffer_store_dword v4, off, s[0:3], s32 offset:884 ; 4-byte Folded Spill
	v_mov_b32_e32 v4, 0xff7fffff
	v_sub_nc_u32_e32 v2, v2, v1
	v_ashrrev_i32_e32 v1, 31, v0
	v_min_i32_e32 v3, s4, v16
	v_mul_lo_u32 v17, v2, v23
	v_and_b32_e32 v2, 31, v12
	v_lshlrev_b64 v[34:35], 2, v[0:1]
	v_cmp_ge_i32_e64 s4, v95, v3
	buffer_store_dword v3, off, s[0:3], s32 offset:516 ; 4-byte Folded Spill
	v_lshlrev_b32_e32 v19, 2, v2
	buffer_store_dword v2, off, s[0:3], s32 offset:880 ; 4-byte Folded Spill
	v_ashrrev_i32_e32 v12, 31, v17
	s_waitcnt lgkmcnt(0)
	s_waitcnt_vscnt null, 0x0
	s_barrier
	buffer_gl0_inv
	v_cmpx_lt_i32_e64 v95, v3
	s_cbranch_execz .LBB327_1545
; %bb.6:
	buffer_store_dword v16, off, s[0:3], s32 offset:936 ; 4-byte Folded Spill
	buffer_store_dword v26, off, s[0:3], s32 offset:932 ; 4-byte Folded Spill
	;; [unrolled: 1-line block ×7, first 2 shown]
	buffer_load_dword v5, off, s[0:3], s32 offset:880 ; 4-byte Folded Reload
	v_add_co_u32 v3, vcc_lo, v8, v17
	v_ashrrev_i32_e32 v96, 31, v95
	v_add_co_ci_u32_e64 v4, null, v9, v12, vcc_lo
	s_getpc_b64 s[6:7]
	s_add_u32 s6, s6, llvm.amdgcn.dynlds.offset.table@rel32@lo+4
	s_addc_u32 s7, s7, llvm.amdgcn.dynlds.offset.table@rel32@hi+12
	s_ashr_i32 s17, s16, 31
	v_lshlrev_b64 v[0:1], 2, v[95:96]
	s_lshl_b64 s[22:23], s[16:17], 2
	buffer_store_dword v17, off, s[0:3], s32 offset:940 ; 4-byte Folded Spill
	s_add_u32 s6, s6, s22
	s_addc_u32 s7, s7, s23
	buffer_store_dword v12, off, s[0:3], s32 offset:944 ; 4-byte Folded Spill
	s_load_dword s6, s[6:7], 0x0
	v_add_co_u32 v0, s5, v34, v0
	v_mov_b32_e32 v8, 0
	v_mov_b32_e32 v101, 0x80
	;; [unrolled: 1-line block ×3, first 2 shown]
	s_mov_b32 s17, 0
	s_waitcnt vmcnt(0)
	v_lshlrev_b32_e32 v2, 4, v5
	v_add_co_u32 v2, vcc_lo, v3, v2
	v_add_co_ci_u32_e64 v3, null, 0, v4, vcc_lo
	v_mov_b32_e32 v4, 0xff7fffff
	buffer_store_dword v2, off, s[0:3], s32 offset:868 ; 4-byte Folded Spill
	buffer_store_dword v3, off, s[0:3], s32 offset:872 ; 4-byte Folded Spill
	buffer_load_dword v2, off, s[0:3], s32 offset:864 ; 4-byte Folded Reload
	buffer_store_dword v34, off, s[0:3], s32 offset:948 ; 4-byte Folded Spill
	buffer_store_dword v35, off, s[0:3], s32 offset:952 ; 4-byte Folded Spill
	buffer_load_dword v3, off, s[0:3], s32 offset:884 ; 4-byte Folded Reload
	buffer_store_dword v19, off, s[0:3], s32 offset:956 ; 4-byte Folded Spill
	buffer_store_dword v14, off, s[0:3], s32 offset:916 ; 4-byte Folded Spill
	;; [unrolled: 1-line block ×3, first 2 shown]
	v_add_co_ci_u32_e64 v1, null, v35, v1, s5
	s_waitcnt vmcnt(1)
	v_cmp_neq_f32_e32 vcc_lo, 0, v2
	s_waitcnt vmcnt(0)
	v_lshlrev_b32_e32 v2, 5, v3
	v_lshl_or_b32 v3, v3, 7, v19
	v_add_co_u32 v6, s5, v14, v0
	v_add_co_ci_u32_e64 v7, null, v15, v1, s5
	v_add3_u32 v98, s20, v2, v5
	s_waitcnt lgkmcnt(0)
	v_add_nc_u32_e32 v29, s6, v3
	v_mov_b32_e32 v0, v95
	s_mov_b32 s6, -1
	s_mov_b32 s7, 0xffffff
	buffer_store_dword v0, off, s[0:3], s32 offset:896 ; 4-byte Folded Spill
	buffer_store_dword v1, off, s[0:3], s32 offset:900 ; 4-byte Folded Spill
	s_branch .LBB327_11
.LBB327_7:                              ;   in Loop: Header=BB327_11 Depth=1
	s_or_b32 exec_lo, exec_lo, s24
	v_lshlrev_b32_e32 v7, 8, v7
	v_lshl_add_u32 v25, v25, 10, 0x2000
	v_and_or_b32 v7, 0x8000, v7, v25
	v_lshlrev_b32_e32 v25, 23, v28
	v_lshl_or_b32 v28, v7, 16, v25
.LBB327_8:                              ;   in Loop: Header=BB327_11 Depth=1
	s_or_b32 exec_lo, exec_lo, s23
.LBB327_9:                              ;   in Loop: Header=BB327_11 Depth=1
	s_or_b32 exec_lo, exec_lo, s22
	s_clause 0x2
	buffer_load_dword v49, off, s[0:3], s32 offset:464
	buffer_load_dword v7, off, s[0:3], s32 offset:468
	;; [unrolled: 1-line block ×3, first 2 shown]
.LBB327_10:                             ;   in Loop: Header=BB327_11 Depth=1
	s_or_b32 exec_lo, exec_lo, s21
	v_or_b32_e32 v0, v15, v0
	s_waitcnt vmcnt(1)
	v_mov_b32_e32 v29, v7
	v_or_b32_e32 v7, v62, v59
	v_fma_mixlo_f16 v25, v65, v62, 0 op_sel:[0,1,0] op_sel_hi:[0,1,0]
	v_cmp_lt_i32_e64 s5, v49, v36
	v_fma_mixlo_f16 v0, v65, v0, 0 op_sel_hi:[0,1,0]
	s_waitcnt vmcnt(0)
	v_add_nc_u32_e32 v104, 4, v104
	v_fma_mixlo_f16 v7, v65, v7, 0 op_sel_hi:[0,1,0]
	buffer_store_dword v25, off, s[0:3], s32 offset:548 ; 4-byte Folded Spill
	buffer_store_dword v0, off, s[0:3], s32 offset:544 ; 4-byte Folded Spill
	v_or_b32_e32 v0, v22, v72
	buffer_store_dword v7, off, s[0:3], s32 offset:552 ; 4-byte Folded Spill
	v_or_b32_e32 v7, v17, v41
	v_fma_mixlo_f16 v17, v65, v17, 0 op_sel:[0,1,0] op_sel_hi:[0,1,0]
	v_fma_mixlo_f16 v0, v65, v0, 0 op_sel_hi:[0,1,0]
	v_fma_mixlo_f16 v7, v65, v7, 0 op_sel_hi:[0,1,0]
	buffer_store_dword v17, off, s[0:3], s32 offset:556 ; 4-byte Folded Spill
	buffer_store_dword v0, off, s[0:3], s32 offset:536 ; 4-byte Folded Spill
	v_fma_mixlo_f16 v0, v65, v22, 0 op_sel:[0,1,0] op_sel_hi:[0,1,0]
	buffer_store_dword v7, off, s[0:3], s32 offset:560 ; 4-byte Folded Spill
	v_fma_mixlo_f16 v7, v65, v15, 0 op_sel:[0,1,0] op_sel_hi:[0,1,0]
	v_fma_mixlo_f16 v15, v65, v66, 0 op_sel:[0,1,0] op_sel_hi:[0,1,0]
	buffer_store_dword v0, off, s[0:3], s32 offset:532 ; 4-byte Folded Spill
	v_or_b32_e32 v0, v125, v95
	buffer_store_dword v7, off, s[0:3], s32 offset:540 ; 4-byte Folded Spill
	v_fma_mixlo_f16 v7, v65, v125, 0 op_sel:[0,1,0] op_sel_hi:[0,1,0]
	v_and_b32_e32 v15, 0xffff, v15
	v_fma_mixlo_f16 v0, v65, v0, 0 op_sel_hi:[0,1,0]
	buffer_store_dword v7, off, s[0:3], s32 offset:580 ; 4-byte Folded Spill
	v_fma_mixlo_f16 v7, v65, v94, 0 op_sel:[0,1,0] op_sel_hi:[0,1,0]
	buffer_store_dword v0, off, s[0:3], s32 offset:584 ; 4-byte Folded Spill
	v_or_b32_e32 v0, v94, v45
	buffer_store_dword v7, off, s[0:3], s32 offset:588 ; 4-byte Folded Spill
	v_fma_mixlo_f16 v7, v65, v46, 0 op_sel:[0,1,0] op_sel_hi:[0,1,0]
	v_fma_mixlo_f16 v0, v65, v0, 0 op_sel_hi:[0,1,0]
	buffer_store_dword v7, off, s[0:3], s32 offset:572 ; 4-byte Folded Spill
	v_fma_mixlo_f16 v7, v65, v100, 0 op_sel:[0,1,0] op_sel_hi:[0,1,0]
	buffer_store_dword v0, off, s[0:3], s32 offset:592 ; 4-byte Folded Spill
	v_or_b32_e32 v0, v46, v56
	buffer_store_dword v7, off, s[0:3], s32 offset:612 ; 4-byte Folded Spill
	v_fma_mixlo_f16 v7, v65, v123, 0 op_sel:[0,1,0] op_sel_hi:[0,1,0]
	v_fma_mixlo_f16 v0, v65, v0, 0 op_sel_hi:[0,1,0]
	buffer_store_dword v7, off, s[0:3], s32 offset:620 ; 4-byte Folded Spill
	buffer_store_dword v0, off, s[0:3], s32 offset:576 ; 4-byte Folded Spill
	v_or_b32_e32 v0, v39, v43
	v_fma_mixlo_f16 v7, v65, v111, 0 op_sel:[0,1,0] op_sel_hi:[0,1,0]
	v_fma_mixlo_f16 v0, v65, v0, 0 op_sel_hi:[0,1,0]
	buffer_store_dword v7, off, s[0:3], s32 offset:604 ; 4-byte Folded Spill
	v_fma_mixlo_f16 v7, v65, v115, 0 op_sel:[0,1,0] op_sel_hi:[0,1,0]
	buffer_store_dword v0, off, s[0:3], s32 offset:568 ; 4-byte Folded Spill
	v_fma_mixlo_f16 v0, v65, v39, 0 op_sel:[0,1,0] op_sel_hi:[0,1,0]
	;; [unrolled: 2-line block ×3, first 2 shown]
	buffer_store_dword v0, off, s[0:3], s32 offset:564 ; 4-byte Folded Spill
	v_or_b32_e32 v0, v100, v124
	buffer_store_dword v7, off, s[0:3], s32 offset:652 ; 4-byte Folded Spill
	v_fma_mixlo_f16 v7, v65, v40, 0 op_sel:[0,1,0] op_sel_hi:[0,1,0]
	v_fma_mixlo_f16 v124, v65, v2, 0 op_sel:[0,1,0] op_sel_hi:[0,1,0]
	v_fma_mixlo_f16 v0, v65, v0, 0 op_sel_hi:[0,1,0]
	buffer_store_dword v7, off, s[0:3], s32 offset:636 ; 4-byte Folded Spill
	v_fma_mixlo_f16 v7, v65, v102, 0 op_sel:[0,1,0] op_sel_hi:[0,1,0]
	buffer_store_dword v0, off, s[0:3], s32 offset:616 ; 4-byte Folded Spill
	v_or_b32_e32 v0, v123, v93
	buffer_store_dword v7, off, s[0:3], s32 offset:676 ; 4-byte Folded Spill
	v_fma_mixlo_f16 v7, v65, v58, 0 op_sel:[0,1,0] op_sel_hi:[0,1,0]
	v_fma_mixlo_f16 v0, v65, v0, 0 op_sel_hi:[0,1,0]
	buffer_store_dword v7, off, s[0:3], s32 offset:684 ; 4-byte Folded Spill
	v_fma_mixlo_f16 v7, v65, v92, 0 op_sel:[0,1,0] op_sel_hi:[0,1,0]
	buffer_store_dword v0, off, s[0:3], s32 offset:624 ; 4-byte Folded Spill
	v_or_b32_e32 v0, v111, v86
	buffer_store_dword v7, off, s[0:3], s32 offset:668 ; 4-byte Folded Spill
	v_fma_mixlo_f16 v0, v65, v0, 0 op_sel_hi:[0,1,0]
	buffer_store_dword v0, off, s[0:3], s32 offset:608 ; 4-byte Folded Spill
	v_or_b32_e32 v0, v57, v107
	v_fma_mixlo_f16 v0, v65, v0, 0 op_sel_hi:[0,1,0]
	buffer_store_dword v0, off, s[0:3], s32 offset:600 ; 4-byte Folded Spill
	v_fma_mixlo_f16 v0, v65, v57, 0 op_sel:[0,1,0] op_sel_hi:[0,1,0]
	buffer_store_dword v0, off, s[0:3], s32 offset:596 ; 4-byte Folded Spill
	v_or_b32_e32 v0, v115, v113
	v_fma_mixlo_f16 v0, v65, v0, 0 op_sel_hi:[0,1,0]
	buffer_store_dword v0, off, s[0:3], s32 offset:648 ; 4-byte Folded Spill
	v_or_b32_e32 v0, v112, v50
	v_fma_mixlo_f16 v0, v65, v0, 0 op_sel_hi:[0,1,0]
	;; [unrolled: 3-line block ×4, first 2 shown]
	buffer_store_dword v0, off, s[0:3], s32 offset:632 ; 4-byte Folded Spill
	v_fma_mixlo_f16 v0, v65, v74, 0 op_sel:[0,1,0] op_sel_hi:[0,1,0]
	v_fma_mixlo_f16 v74, v65, v73, 0 op_sel:[0,1,0] op_sel_hi:[0,1,0]
	buffer_store_dword v0, off, s[0:3], s32 offset:628 ; 4-byte Folded Spill
	v_or_b32_e32 v0, v102, v60
	v_fma_mixlo_f16 v0, v65, v0, 0 op_sel_hi:[0,1,0]
	buffer_store_dword v0, off, s[0:3], s32 offset:680 ; 4-byte Folded Spill
	v_or_b32_e32 v0, v58, v33
	v_fma_mixlo_f16 v0, v65, v0, 0 op_sel_hi:[0,1,0]
	buffer_store_dword v0, off, s[0:3], s32 offset:688 ; 4-byte Folded Spill
	v_or_b32_e32 v0, v92, v64
	v_fma_mixlo_f16 v92, v65, v48, 0 op_sel:[0,1,0] op_sel_hi:[0,1,0]
	v_fma_mixlo_f16 v0, v65, v0, 0 op_sel_hi:[0,1,0]
	buffer_store_dword v0, off, s[0:3], s32 offset:672 ; 4-byte Folded Spill
	v_or_b32_e32 v0, v6, v79
	v_fma_mixlo_f16 v0, v65, v0, 0 op_sel_hi:[0,1,0]
	buffer_store_dword v0, off, s[0:3], s32 offset:664 ; 4-byte Folded Spill
	v_fma_mixlo_f16 v0, v65, v6, 0 op_sel:[0,1,0] op_sel_hi:[0,1,0]
	v_fma_mixlo_f16 v6, v65, v47, 0 op_sel:[0,1,0] op_sel_hi:[0,1,0]
	buffer_store_dword v0, off, s[0:3], s32 offset:660 ; 4-byte Folded Spill
	v_or_b32_e32 v0, v47, v37
	buffer_store_dword v6, off, s[0:3], s32 offset:708 ; 4-byte Folded Spill
	v_fma_mixlo_f16 v6, v65, v34, 0 op_sel:[0,1,0] op_sel_hi:[0,1,0]
	v_fma_mixlo_f16 v0, v65, v0, 0 op_sel_hi:[0,1,0]
	buffer_store_dword v6, off, s[0:3], s32 offset:716 ; 4-byte Folded Spill
	v_fma_mixlo_f16 v6, v65, v77, 0 op_sel:[0,1,0] op_sel_hi:[0,1,0]
	buffer_store_dword v0, off, s[0:3], s32 offset:712 ; 4-byte Folded Spill
	v_or_b32_e32 v0, v34, v14
	buffer_store_dword v6, off, s[0:3], s32 offset:700 ; 4-byte Folded Spill
	v_fma_mixlo_f16 v6, v65, v82, 0 op_sel:[0,1,0] op_sel_hi:[0,1,0]
	v_fma_mixlo_f16 v0, v65, v0, 0 op_sel_hi:[0,1,0]
	buffer_store_dword v6, off, s[0:3], s32 offset:740 ; 4-byte Folded Spill
	v_fma_mixlo_f16 v6, v65, v55, 0 op_sel:[0,1,0] op_sel_hi:[0,1,0]
	buffer_store_dword v0, off, s[0:3], s32 offset:720 ; 4-byte Folded Spill
	v_or_b32_e32 v0, v77, v99
	v_fma_mixlo_f16 v77, v65, v109, 0 op_sel:[0,1,0] op_sel_hi:[0,1,0]
	buffer_store_dword v6, off, s[0:3], s32 offset:748 ; 4-byte Folded Spill
	v_fma_mixlo_f16 v6, v65, v61, 0 op_sel:[0,1,0] op_sel_hi:[0,1,0]
	v_fma_mixlo_f16 v0, v65, v0, 0 op_sel_hi:[0,1,0]
	buffer_store_dword v6, off, s[0:3], s32 offset:732 ; 4-byte Folded Spill
	buffer_store_dword v0, off, s[0:3], s32 offset:704 ; 4-byte Folded Spill
	v_or_b32_e32 v0, v51, v63
	v_fma_mixlo_f16 v6, v65, v81, 0 op_sel:[0,1,0] op_sel_hi:[0,1,0]
	v_fma_mixlo_f16 v63, v65, v16, 0 op_sel:[0,1,0] op_sel_hi:[0,1,0]
	v_fma_mixlo_f16 v0, v65, v0, 0 op_sel_hi:[0,1,0]
	buffer_store_dword v6, off, s[0:3], s32 offset:772 ; 4-byte Folded Spill
	v_fma_mixlo_f16 v6, v65, v70, 0 op_sel:[0,1,0] op_sel_hi:[0,1,0]
	buffer_store_dword v0, off, s[0:3], s32 offset:696 ; 4-byte Folded Spill
	v_fma_mixlo_f16 v0, v65, v51, 0 op_sel:[0,1,0] op_sel_hi:[0,1,0]
	;; [unrolled: 2-line block ×3, first 2 shown]
	buffer_store_dword v0, off, s[0:3], s32 offset:692 ; 4-byte Folded Spill
	v_or_b32_e32 v0, v82, v67
	buffer_store_dword v6, off, s[0:3], s32 offset:764 ; 4-byte Folded Spill
	v_fma_mixlo_f16 v6, v65, v38, 0 op_sel:[0,1,0] op_sel_hi:[0,1,0]
	v_fma_mixlo_f16 v0, v65, v0, 0 op_sel_hi:[0,1,0]
	buffer_store_dword v6, off, s[0:3], s32 offset:804 ; 4-byte Folded Spill
	buffer_store_dword v0, off, s[0:3], s32 offset:744 ; 4-byte Folded Spill
	v_or_b32_e32 v0, v55, v105
	v_fma_mixlo_f16 v0, v65, v0, 0 op_sel_hi:[0,1,0]
	buffer_store_dword v0, off, s[0:3], s32 offset:752 ; 4-byte Folded Spill
	v_or_b32_e32 v0, v61, v71
	v_fma_mixlo_f16 v0, v65, v0, 0 op_sel_hi:[0,1,0]
	;; [unrolled: 3-line block ×3, first 2 shown]
	buffer_store_dword v0, off, s[0:3], s32 offset:728 ; 4-byte Folded Spill
	v_fma_mixlo_f16 v0, v65, v18, 0 op_sel:[0,1,0] op_sel_hi:[0,1,0]
	buffer_store_dword v0, off, s[0:3], s32 offset:724 ; 4-byte Folded Spill
	v_or_b32_e32 v0, v81, v106
	v_fma_mixlo_f16 v81, v65, v78, 0 op_sel:[0,1,0] op_sel_hi:[0,1,0]
	v_fma_mixlo_f16 v0, v65, v0, 0 op_sel_hi:[0,1,0]
	buffer_store_dword v0, off, s[0:3], s32 offset:776 ; 4-byte Folded Spill
	v_or_b32_e32 v0, v70, v85
	v_fma_mixlo_f16 v70, v65, v88, 0 op_sel:[0,1,0] op_sel_hi:[0,1,0]
	v_fma_mixlo_f16 v0, v65, v0, 0 op_sel_hi:[0,1,0]
	buffer_store_dword v0, off, s[0:3], s32 offset:784 ; 4-byte Folded Spill
	v_or_b32_e32 v0, v103, v44
	v_fma_mixlo_f16 v0, v65, v0, 0 op_sel_hi:[0,1,0]
	buffer_store_dword v0, off, s[0:3], s32 offset:768 ; 4-byte Folded Spill
	v_or_b32_e32 v0, v42, v108
	v_fma_mixlo_f16 v0, v65, v0, 0 op_sel_hi:[0,1,0]
	buffer_store_dword v0, off, s[0:3], s32 offset:760 ; 4-byte Folded Spill
	v_fma_mixlo_f16 v0, v65, v42, 0 op_sel:[0,1,0] op_sel_hi:[0,1,0]
	v_fma_mixlo_f16 v42, v65, v54, 0 op_sel:[0,1,0] op_sel_hi:[0,1,0]
	buffer_store_dword v0, off, s[0:3], s32 offset:756 ; 4-byte Folded Spill
	v_or_b32_e32 v0, v38, v10
	v_fma_mixlo_f16 v0, v65, v0, 0 op_sel_hi:[0,1,0]
	buffer_store_dword v0, off, s[0:3], s32 offset:808 ; 4-byte Folded Spill
	v_or_b32_e32 v0, v119, v5
	v_fma_mixlo_f16 v5, v65, v119, 0 op_sel:[0,1,0] op_sel_hi:[0,1,0]
	v_fma_mixlo_f16 v0, v65, v0, 0 op_sel_hi:[0,1,0]
	buffer_store_dword v5, off, s[0:3], s32 offset:812 ; 4-byte Folded Spill
	v_fma_mixlo_f16 v5, v65, v96, 0 op_sel:[0,1,0] op_sel_hi:[0,1,0]
	buffer_store_dword v0, off, s[0:3], s32 offset:816 ; 4-byte Folded Spill
	v_or_b32_e32 v0, v96, v122
	buffer_store_dword v5, off, s[0:3], s32 offset:796 ; 4-byte Folded Spill
	v_fma_mixlo_f16 v5, v65, v76, 0 op_sel:[0,1,0] op_sel_hi:[0,1,0]
	v_fma_mixlo_f16 v96, v65, v19, 0 op_sel:[0,1,0] op_sel_hi:[0,1,0]
	v_fma_mixlo_f16 v0, v65, v0, 0 op_sel_hi:[0,1,0]
	buffer_store_dword v5, off, s[0:3], s32 offset:832 ; 4-byte Folded Spill
	v_fma_mixlo_f16 v5, v65, v69, 0 op_sel:[0,1,0] op_sel_hi:[0,1,0]
	buffer_store_dword v0, off, s[0:3], s32 offset:800 ; 4-byte Folded Spill
	v_or_b32_e32 v0, v32, v84
	buffer_store_dword v5, off, s[0:3], s32 offset:840 ; 4-byte Folded Spill
	v_fma_mixlo_f16 v5, v65, v116, 0 op_sel:[0,1,0] op_sel_hi:[0,1,0]
	v_fma_mixlo_f16 v0, v65, v0, 0 op_sel_hi:[0,1,0]
	buffer_store_dword v5, off, s[0:3], s32 offset:824 ; 4-byte Folded Spill
	buffer_store_dword v0, off, s[0:3], s32 offset:792 ; 4-byte Folded Spill
	v_fma_mixlo_f16 v0, v65, v32, 0 op_sel:[0,1,0] op_sel_hi:[0,1,0]
	buffer_store_dword v0, off, s[0:3], s32 offset:788 ; 4-byte Folded Spill
	v_or_b32_e32 v0, v76, v11
	v_fma_mixlo_f16 v0, v65, v0, 0 op_sel_hi:[0,1,0]
	buffer_store_dword v0, off, s[0:3], s32 offset:836 ; 4-byte Folded Spill
	buffer_load_dword v0, off, s[0:3], s32 offset:460 ; 4-byte Folded Reload
	s_waitcnt vmcnt(0)
	v_or_b32_e32 v0, v69, v0
	v_fma_mixlo_f16 v0, v65, v0, 0 op_sel_hi:[0,1,0]
	buffer_store_dword v0, off, s[0:3], s32 offset:844 ; 4-byte Folded Spill
	v_or_b32_e32 v0, v116, v87
	v_fma_mixlo_f16 v116, v65, v75, 0 op_sel:[0,1,0] op_sel_hi:[0,1,0]
	v_fma_mixlo_f16 v87, v65, v80, 0 op_sel:[0,1,0] op_sel_hi:[0,1,0]
	v_fma_mixlo_f16 v0, v65, v0, 0 op_sel_hi:[0,1,0]
	buffer_store_dword v0, off, s[0:3], s32 offset:828 ; 4-byte Folded Spill
	v_or_b32_e32 v0, v127, v20
	v_fma_mixlo_f16 v0, v65, v0, 0 op_sel_hi:[0,1,0]
	buffer_store_dword v0, off, s[0:3], s32 offset:820 ; 4-byte Folded Spill
	v_fma_mixlo_f16 v0, v65, v127, 0 op_sel:[0,1,0] op_sel_hi:[0,1,0]
	v_fma_mixlo_f16 v127, v65, v91, 0 op_sel:[0,1,0] op_sel_hi:[0,1,0]
	buffer_store_dword v0, off, s[0:3], s32 offset:460 ; 4-byte Folded Spill
	buffer_load_dword v0, off, s[0:3], s32 offset:448 ; 4-byte Folded Reload
	s_waitcnt vmcnt(0)
	v_or_b32_e32 v0, v2, v0
	v_fma_mixlo_f16 v93, v65, v0, 0 op_sel_hi:[0,1,0]
	buffer_load_dword v0, off, s[0:3], s32 offset:444 ; 4-byte Folded Reload
	s_waitcnt vmcnt(0)
	v_or_b32_e32 v0, v48, v0
	v_fma_mixlo_f16 v79, v65, v0, 0 op_sel_hi:[0,1,0]
	buffer_load_dword v0, off, s[0:3], s32 offset:452 ; 4-byte Folded Reload
	s_waitcnt vmcnt(0)
	v_or_b32_e32 v0, v1, v0
	v_fma_mixlo_f16 v1, v65, v1, 0 op_sel:[0,1,0] op_sel_hi:[0,1,0]
	v_fma_mixlo_f16 v0, v65, v0, 0 op_sel_hi:[0,1,0]
	buffer_store_dword v1, off, s[0:3], s32 offset:452 ; 4-byte Folded Spill
	v_fma_mixlo_f16 v1, v65, v4, 0 op_sel:[0,1,0] op_sel_hi:[0,1,0]
	buffer_store_dword v0, off, s[0:3], s32 offset:848 ; 4-byte Folded Spill
	buffer_load_dword v0, off, s[0:3], s32 offset:456 ; 4-byte Folded Reload
	s_waitcnt vmcnt(0)
	v_or_b32_e32 v0, v26, v0
	v_fma_mixlo_f16 v0, v65, v0, 0 op_sel_hi:[0,1,0]
	buffer_store_dword v0, off, s[0:3], s32 offset:448 ; 4-byte Folded Spill
	v_fma_mixlo_f16 v0, v65, v26, 0 op_sel:[0,1,0] op_sel_hi:[0,1,0]
	buffer_store_dword v0, off, s[0:3], s32 offset:444 ; 4-byte Folded Spill
	buffer_load_dword v0, off, s[0:3], s32 offset:432 ; 4-byte Folded Reload
	buffer_store_dword v1, off, s[0:3], s32 offset:432 ; 4-byte Folded Spill
	v_fma_mixlo_f16 v1, v65, v68, 0 op_sel:[0,1,0] op_sel_hi:[0,1,0]
	s_waitcnt vmcnt(0)
	v_or_b32_e32 v0, v4, v0
	v_fma_mixlo_f16 v60, v65, v0, 0 op_sel_hi:[0,1,0]
	buffer_load_dword v0, off, s[0:3], s32 offset:428 ; 4-byte Folded Reload
	buffer_store_dword v1, off, s[0:3], s32 offset:428 ; 4-byte Folded Spill
	s_waitcnt vmcnt(0)
	v_or_b32_e32 v0, v68, v0
	v_fma_mixlo_f16 v58, v65, v0, 0 op_sel_hi:[0,1,0]
	buffer_load_dword v0, off, s[0:3], s32 offset:436 ; 4-byte Folded Reload
	s_waitcnt vmcnt(0)
	v_or_b32_e32 v0, v16, v0
	v_fma_mixlo_f16 v16, v65, v13, 0 op_sel:[0,1,0] op_sel_hi:[0,1,0]
	v_fma_mixlo_f16 v61, v65, v0, 0 op_sel_hi:[0,1,0]
	buffer_load_dword v0, off, s[0:3], s32 offset:440 ; 4-byte Folded Reload
	v_and_b32_e32 v16, 0xffff, v16
	s_waitcnt vmcnt(0)
	v_or_b32_e32 v0, v109, v0
	v_fma_mixlo_f16 v76, v65, v0, 0 op_sel_hi:[0,1,0]
	buffer_load_dword v0, off, s[0:3], s32 offset:416 ; 4-byte Folded Reload
	s_waitcnt vmcnt(0)
	v_or_b32_e32 v0, v75, v0
	v_fma_mixlo_f16 v103, v65, v0, 0 op_sel_hi:[0,1,0]
	buffer_load_dword v0, off, s[0:3], s32 offset:412 ; 4-byte Folded Reload
	;; [unrolled: 4-line block ×8, first 2 shown]
	s_waitcnt vmcnt(0)
	v_or_b32_e32 v0, v3, v0
	v_fma_mixlo_f16 v82, v65, v0, 0 op_sel_hi:[0,1,0]
	v_fma_mixlo_f16 v0, v65, v3, 0 op_sel:[0,1,0] op_sel_hi:[0,1,0]
	buffer_store_dword v0, off, s[0:3], s32 offset:396 ; 4-byte Folded Spill
	s_clause 0x1
	buffer_load_dword v0, off, s[0:3], s32 offset:376
	buffer_load_dword v1, off, s[0:3], s32 offset:384
	s_waitcnt vmcnt(0)
	v_or_b32_e32 v0, v1, v0
	v_fma_mixlo_f16 v34, v65, v1, 0 op_sel:[0,1,0] op_sel_hi:[0,1,0]
	v_fma_mixlo_f16 v33, v65, v0, 0 op_sel_hi:[0,1,0]
	s_clause 0x1
	buffer_load_dword v0, off, s[0:3], s32 offset:368
	buffer_load_dword v1, off, s[0:3], s32 offset:372
	s_waitcnt vmcnt(0)
	v_or_b32_e32 v0, v1, v0
	v_fma_mixlo_f16 v32, v65, v1, 0 op_sel:[0,1,0] op_sel_hi:[0,1,0]
	v_fma_mixlo_f16 v99, v65, v0, 0 op_sel_hi:[0,1,0]
	;; [unrolled: 7-line block ×9, first 2 shown]
	s_clause 0x1
	buffer_load_dword v0, off, s[0:3], s32 offset:312
	buffer_load_dword v1, off, s[0:3], s32 offset:316
	v_and_b32_e32 v7, 0xffff, v7
	s_waitcnt vmcnt(0)
	v_or_b32_e32 v0, v1, v0
	v_fma_mixlo_f16 v113, v65, v1, 0 op_sel:[0,1,0] op_sel_hi:[0,1,0]
	v_fma_mixlo_f16 v50, v65, v0, 0 op_sel_hi:[0,1,0]
	s_clause 0x1
	buffer_load_dword v0, off, s[0:3], s32 offset:324
	buffer_load_dword v1, off, s[0:3], s32 offset:336
	s_waitcnt vmcnt(0)
	v_or_b32_e32 v0, v1, v0
	v_fma_mixlo_f16 v88, v65, v1, 0 op_sel:[0,1,0] op_sel_hi:[0,1,0]
	v_fma_mixlo_f16 v105, v65, v0, 0 op_sel_hi:[0,1,0]
	s_clause 0x1
	buffer_load_dword v0, off, s[0:3], s32 offset:332
	buffer_load_dword v1, off, s[0:3], s32 offset:500
	;; [unrolled: 7-line block ×8, first 2 shown]
	v_and_b32_e32 v6, 0xffff, v6
	s_waitcnt vmcnt(0)
	v_or_b32_e32 v0, v1, v0
	v_fma_mixlo_f16 v20, v65, v1, 0 op_sel:[0,1,0] op_sel_hi:[0,1,0]
	v_fma_mixlo_f16 v73, v65, v0, 0 op_sel_hi:[0,1,0]
	s_clause 0x1
	buffer_load_dword v0, off, s[0:3], s32 offset:268
	buffer_load_dword v1, off, s[0:3], s32 offset:280
	s_waitcnt vmcnt(0)
	v_or_b32_e32 v0, v1, v0
	v_fma_mixlo_f16 v46, v65, v1, 0 op_sel:[0,1,0] op_sel_hi:[0,1,0]
	v_fma_mixlo_f16 v56, v65, v0, 0 op_sel_hi:[0,1,0]
	s_clause 0x1
	buffer_load_dword v0, off, s[0:3], s32 offset:276
	buffer_load_dword v1, off, s[0:3], s32 offset:492
	;; [unrolled: 7-line block ×9, first 2 shown]
	v_and_b32_e32 v9, 0xffff, v9
	s_waitcnt vmcnt(0)
	v_or_b32_e32 v0, v1, v0
	v_fma_mixlo_f16 v11, v65, v1, 0 op_sel:[0,1,0] op_sel_hi:[0,1,0]
	v_fma_mixlo_f16 v109, v65, v0, 0 op_sel_hi:[0,1,0]
	s_clause 0x1
	buffer_load_dword v0, off, s[0:3], s32 offset:220
	buffer_load_dword v1, off, s[0:3], s32 offset:484
	s_waitcnt vmcnt(0)
	v_or_b32_e32 v0, v1, v0
	v_fma_mixlo_f16 v108, v65, v1, 0 op_sel:[0,1,0] op_sel_hi:[0,1,0]
	buffer_load_dword v1, off, s[0:3], s32 offset:196 ; 4-byte Folded Reload
	v_fma_mixlo_f16 v10, v65, v0, 0 op_sel_hi:[0,1,0]
	v_or_b32_e32 v0, v66, v24
	v_fma_mixlo_f16 v17, v65, v0, 0 op_sel_hi:[0,1,0]
	v_or_b32_e32 v0, v13, v27
	v_fma_mixlo_f16 v27, v65, v35, 0 op_sel:[0,1,0] op_sel_hi:[0,1,0]
	v_fma_mixlo_f16 v13, v65, v28, 0 op_sel:[0,1,0] op_sel_hi:[0,1,0]
	v_and_b32_e32 v17, 0xffff, v17
	v_fma_mixlo_f16 v4, v65, v0, 0 op_sel_hi:[0,1,0]
	v_and_b32_e32 v4, 0xffff, v4
	s_waitcnt vmcnt(0)
	v_or_b32_e32 v0, v1, v53
	v_fma_mixlo_f16 v19, v65, v1, 0 op_sel:[0,1,0] op_sel_hi:[0,1,0]
	v_fma_mixlo_f16 v53, v65, v52, 0 op_sel:[0,1,0] op_sel_hi:[0,1,0]
	v_fma_mixlo_f16 v22, v65, v0, 0 op_sel_hi:[0,1,0]
	s_clause 0x1
	buffer_load_dword v0, off, s[0:3], s32 offset:192
	buffer_load_dword v1, off, s[0:3], s32 offset:480
	v_and_b32_e32 v19, 0xffff, v19
	s_waitcnt vmcnt(0)
	v_or_b32_e32 v0, v1, v0
	v_fma_mixlo_f16 v54, v65, v1, 0 op_sel:[0,1,0] op_sel_hi:[0,1,0]
	buffer_load_dword v1, off, s[0:3], s32 offset:476 ; 4-byte Folded Reload
	v_fma_mixlo_f16 v94, v65, v0, 0 op_sel_hi:[0,1,0]
	v_or_b32_e32 v0, v80, v110
	v_fma_mixlo_f16 v110, v65, v97, 0 op_sel:[0,1,0] op_sel_hi:[0,1,0]
	v_fma_mixlo_f16 v66, v65, v0, 0 op_sel_hi:[0,1,0]
	v_or_b32_e32 v0, v52, v12
	v_fma_mixlo_f16 v25, v65, v0, 0 op_sel_hi:[0,1,0]
	v_or_b32_e32 v0, v97, v117
	v_fma_mixlo_f16 v97, v65, v21, 0 op_sel:[0,1,0] op_sel_hi:[0,1,0]
	v_fma_mixlo_f16 v117, v65, v0, 0 op_sel_hi:[0,1,0]
	s_waitcnt vmcnt(0)
	v_or_b32_e32 v0, v1, v98
	v_fma_mixlo_f16 v95, v65, v1, 0 op_sel:[0,1,0] op_sel_hi:[0,1,0]
	buffer_load_dword v1, off, s[0:3], s32 offset:864 ; 4-byte Folded Reload
	v_fma_mixlo_f16 v52, v65, v0, 0 op_sel_hi:[0,1,0]
	v_sub_nc_u32_e32 v0, 1, v36
	v_add_nc_u32_e32 v0, v0, v49
	v_cvt_f32_i32_e32 v0, v0
	s_waitcnt vmcnt(0)
	v_mul_f32_e32 v0, v1, v0
	v_fma_mixlo_f16 v1, v65, v31, 0 op_sel:[0,1,0] op_sel_hi:[0,1,0]
	v_cndmask_b32_e32 v12, 0, v0, vcc_lo
	v_or_b32_e32 v0, v21, v114
	buffer_store_dword v1, off, s[0:3], s32 offset:192 ; 4-byte Folded Spill
	v_fma_mixlo_f16 v98, v65, v0, 0 op_sel_hi:[0,1,0]
	v_or_b32_e32 v0, v31, v30
	v_fma_mixlo_f16 v0, v65, v0, 0 op_sel_hi:[0,1,0]
	buffer_store_dword v0, off, s[0:3], s32 offset:196 ; 4-byte Folded Spill
	v_or_b32_e32 v0, v35, v126
	v_fma_mixlo_f16 v80, v65, v0, 0 op_sel_hi:[0,1,0]
	v_or_b32_e32 v0, v28, v23
	v_fma_mixlo_f16 v24, v65, v0, 0 op_sel_hi:[0,1,0]
	ds_read_b128 v[0:3], v8
	s_waitcnt lgkmcnt(0)
	v_lshrrev_b32_e32 v21, 16, v0
	v_and_b32_e32 v0, 0xffff, v0
	;;#ASMSTART
	v_cvt_f32_f16 v91, v0;
	;;#ASMEND
	v_and_b32_e32 v0, 0xffff, v25
	;;#ASMSTART
	v_cvt_f32_f16 v126, v21;
	;;#ASMEND
	;;#ASMSTART
	v_cvt_f32_f16 v68, v0;
	;;#ASMEND
	v_and_b32_e32 v0, 0xffff, v53
	;;#ASMSTART
	v_cvt_f32_f16 v84, v0;
	;;#ASMEND
	v_lshrrev_b32_e32 v0, 16, v1
	v_and_b32_e32 v1, 0xffff, v1
	;;#ASMSTART
	v_cvt_f32_f16 v114, v1;
	;;#ASMEND
	;;#ASMSTART
	v_cvt_f32_f16 v65, v0;
	;;#ASMEND
	v_and_b32_e32 v0, 0xffff, v66
	;;#ASMSTART
	v_cvt_f32_f16 v66, v0;
	;;#ASMEND
	v_and_b32_e32 v0, 0xffff, v87
	;;#ASMSTART
	v_cvt_f32_f16 v87, v0;
	;;#ASMEND
	v_lshrrev_b32_e32 v0, 16, v2
	v_and_b32_e32 v1, 0xffff, v2
	;;#ASMSTART
	v_cvt_f32_f16 v31, v1;
	;;#ASMEND
	;;#ASMSTART
	v_cvt_f32_f16 v28, v0;
	;;#ASMEND
	v_and_b32_e32 v0, 0xffff, v117
	;; [unrolled: 16-line block ×3, first 2 shown]
	;;#ASMSTART
	v_cvt_f32_f16 v23, v0;
	;;#ASMEND
	v_and_b32_e32 v0, 0xffff, v95
	;;#ASMSTART
	v_cvt_f32_f16 v30, v0;
	;;#ASMEND
	ds_read_b128 v[0:3], v8 offset:16
	s_waitcnt lgkmcnt(0)
	v_lshrrev_b32_e32 v52, 16, v0
	v_and_b32_e32 v0, 0xffff, v0
	;;#ASMSTART
	v_cvt_f32_f16 v0, v0;
	;;#ASMEND
	;;#ASMSTART
	v_cvt_f32_f16 v52, v52;
	;;#ASMEND
	;; [unrolled: 3-line block ×4, first 2 shown]
	v_mul_f32_e32 v16, v0, v4
	v_and_b32_e32 v0, 0xffff, v1
	v_mul_f32_e32 v4, v52, v117
	v_lshrrev_b32_e32 v52, 16, v1
	;;#ASMSTART
	v_cvt_f32_f16 v0, v0;
	;;#ASMEND
	;;#ASMSTART
	v_cvt_f32_f16 v1, v52;
	;;#ASMEND
	;; [unrolled: 3-line block ×4, first 2 shown]
	v_mul_f32_e32 v15, v1, v15
	v_mul_f32_e32 v17, v0, v17
	v_lshrrev_b32_e32 v1, 16, v2
	v_and_b32_e32 v0, 0xffff, v2
	v_and_b32_e32 v2, 0xffff, v22
	;;#ASMSTART
	v_cvt_f32_f16 v0, v0;
	;;#ASMEND
	;;#ASMSTART
	v_cvt_f32_f16 v1, v1;
	;;#ASMEND
	;; [unrolled: 3-line block ×4, first 2 shown]
	v_mul_f32_e32 v22, v0, v2
	v_mul_f32_e32 v19, v1, v19
	v_lshrrev_b32_e32 v1, 16, v3
	v_and_b32_e32 v0, 0xffff, v3
	v_and_b32_e32 v2, 0xffff, v94
	;; [unrolled: 1-line block ×3, first 2 shown]
	;;#ASMSTART
	v_cvt_f32_f16 v0, v0;
	;;#ASMEND
	;;#ASMSTART
	v_cvt_f32_f16 v1, v1;
	;;#ASMEND
	;; [unrolled: 3-line block ×4, first 2 shown]
	v_fmac_f32_e32 v15, v65, v87
	v_mul_f32_e32 v65, v0, v2
	v_mul_f32_e32 v54, v1, v3
	ds_read_b128 v[0:3], v8 offset:32
	v_fmac_f32_e32 v16, v91, v68
	v_fmac_f32_e32 v4, v126, v84
	;; [unrolled: 1-line block ×5, first 2 shown]
	v_and_b32_e32 v23, 0xffff, v90
	v_fmac_f32_e32 v22, v31, v35
	v_fmac_f32_e32 v19, v28, v53
	s_waitcnt lgkmcnt(0)
	v_lshrrev_b32_e32 v21, 16, v0
	v_and_b32_e32 v0, 0xffff, v0
	;;#ASMSTART
	v_cvt_f32_f16 v0, v0;
	;;#ASMEND
	;;#ASMSTART
	v_cvt_f32_f16 v21, v21;
	;;#ASMEND
	;; [unrolled: 3-line block ×4, first 2 shown]
	v_fmac_f32_e32 v16, v0, v23
	v_fmac_f32_e32 v4, v21, v9
	v_lshrrev_b32_e32 v9, 16, v1
	v_and_b32_e32 v0, 0xffff, v1
	;;#ASMSTART
	v_cvt_f32_f16 v0, v0;
	;;#ASMEND
	;;#ASMSTART
	v_cvt_f32_f16 v1, v9;
	;;#ASMEND
	v_and_b32_e32 v9, 0xffff, v48
	v_and_b32_e32 v21, 0xffff, v125
	;;#ASMSTART
	v_cvt_f32_f16 v9, v9;
	;;#ASMEND
	;;#ASMSTART
	v_cvt_f32_f16 v21, v21;
	;;#ASMEND
	v_fmac_f32_e32 v17, v0, v9
	v_fmac_f32_e32 v15, v1, v21
	v_lshrrev_b32_e32 v1, 16, v2
	v_and_b32_e32 v0, 0xffff, v2
	v_and_b32_e32 v2, 0xffff, v109
	;;#ASMSTART
	v_cvt_f32_f16 v0, v0;
	;;#ASMEND
	;;#ASMSTART
	v_cvt_f32_f16 v1, v1;
	;;#ASMEND
	;; [unrolled: 3-line block ×3, first 2 shown]
	v_and_b32_e32 v9, 0xffff, v11
	;;#ASMSTART
	v_cvt_f32_f16 v9, v9;
	;;#ASMEND
	v_fmac_f32_e32 v22, v0, v2
	v_fmac_f32_e32 v19, v1, v9
	v_lshrrev_b32_e32 v1, 16, v3
	v_and_b32_e32 v0, 0xffff, v3
	v_and_b32_e32 v2, 0xffff, v10
	;; [unrolled: 1-line block ×3, first 2 shown]
	;;#ASMSTART
	v_cvt_f32_f16 v0, v0;
	;;#ASMEND
	;;#ASMSTART
	v_cvt_f32_f16 v1, v1;
	;;#ASMEND
	;; [unrolled: 3-line block ×4, first 2 shown]
	v_fmac_f32_e32 v65, v0, v2
	v_fmac_f32_e32 v54, v1, v3
	ds_read_b128 v[0:3], v8 offset:48
	v_and_b32_e32 v10, 0xffff, v107
	v_and_b32_e32 v11, 0xffff, v100
	s_waitcnt lgkmcnt(0)
	v_lshrrev_b32_e32 v9, 16, v0
	v_and_b32_e32 v0, 0xffff, v0
	;;#ASMSTART
	v_cvt_f32_f16 v0, v0;
	;;#ASMEND
	;;#ASMSTART
	v_cvt_f32_f16 v9, v9;
	;;#ASMEND
	;;#ASMSTART
	v_cvt_f32_f16 v10, v10;
	;;#ASMEND
	;;#ASMSTART
	v_cvt_f32_f16 v11, v11;
	;;#ASMEND
	v_fmac_f32_e32 v16, v0, v10
	v_fmac_f32_e32 v4, v9, v11
	v_lshrrev_b32_e32 v9, 16, v1
	v_and_b32_e32 v0, 0xffff, v1
	;;#ASMSTART
	v_cvt_f32_f16 v0, v0;
	;;#ASMEND
	;;#ASMSTART
	v_cvt_f32_f16 v1, v9;
	;;#ASMEND
	v_and_b32_e32 v9, 0xffff, v106
	v_and_b32_e32 v10, 0xffff, v44
	;;#ASMSTART
	v_cvt_f32_f16 v9, v9;
	;;#ASMEND
	;;#ASMSTART
	v_cvt_f32_f16 v10, v10;
	;;#ASMEND
	v_fmac_f32_e32 v17, v0, v9
	v_fmac_f32_e32 v15, v1, v10
	v_lshrrev_b32_e32 v1, 16, v2
	v_and_b32_e32 v0, 0xffff, v2
	v_and_b32_e32 v2, 0xffff, v86
	;;#ASMSTART
	v_cvt_f32_f16 v0, v0;
	;;#ASMEND
	;;#ASMSTART
	v_cvt_f32_f16 v1, v1;
	;;#ASMEND
	;; [unrolled: 3-line block ×3, first 2 shown]
	v_and_b32_e32 v9, 0xffff, v85
	;;#ASMSTART
	v_cvt_f32_f16 v9, v9;
	;;#ASMEND
	v_fmac_f32_e32 v22, v0, v2
	v_fmac_f32_e32 v19, v1, v9
	v_lshrrev_b32_e32 v1, 16, v3
	v_and_b32_e32 v0, 0xffff, v3
	v_and_b32_e32 v2, 0xffff, v123
	;; [unrolled: 1-line block ×3, first 2 shown]
	;;#ASMSTART
	v_cvt_f32_f16 v0, v0;
	;;#ASMEND
	;;#ASMSTART
	v_cvt_f32_f16 v1, v1;
	;;#ASMEND
	;; [unrolled: 3-line block ×4, first 2 shown]
	v_fmac_f32_e32 v65, v0, v2
	v_fmac_f32_e32 v54, v1, v3
	ds_read_b128 v[0:3], v8 offset:64
	v_and_b32_e32 v10, 0xffff, v73
	v_and_b32_e32 v11, 0xffff, v20
	s_waitcnt lgkmcnt(0)
	v_lshrrev_b32_e32 v9, 16, v0
	v_and_b32_e32 v0, 0xffff, v0
	;;#ASMSTART
	v_cvt_f32_f16 v0, v0;
	;;#ASMEND
	;;#ASMSTART
	v_cvt_f32_f16 v9, v9;
	;;#ASMEND
	;;#ASMSTART
	v_cvt_f32_f16 v10, v10;
	;;#ASMEND
	;;#ASMSTART
	v_cvt_f32_f16 v11, v11;
	;;#ASMEND
	v_fmac_f32_e32 v16, v0, v10
	v_fmac_f32_e32 v4, v9, v11
	v_lshrrev_b32_e32 v9, 16, v1
	v_and_b32_e32 v0, 0xffff, v1
	;;#ASMSTART
	v_cvt_f32_f16 v0, v0;
	;;#ASMEND
	;;#ASMSTART
	v_cvt_f32_f16 v1, v9;
	;;#ASMEND
	v_and_b32_e32 v9, 0xffff, v57
	;;#ASMSTART
	v_cvt_f32_f16 v6, v6;
	;;#ASMEND
	;;#ASMSTART
	v_cvt_f32_f16 v9, v9;
	;;#ASMEND
	v_fmac_f32_e32 v17, v0, v6
	v_fmac_f32_e32 v15, v1, v9
	v_lshrrev_b32_e32 v1, 16, v2
	v_and_b32_e32 v0, 0xffff, v2
	v_and_b32_e32 v2, 0xffff, v56
	;;#ASMSTART
	v_cvt_f32_f16 v0, v0;
	;;#ASMEND
	;;#ASMSTART
	v_cvt_f32_f16 v1, v1;
	;;#ASMEND
	;; [unrolled: 3-line block ×3, first 2 shown]
	v_and_b32_e32 v6, 0xffff, v46
	;;#ASMSTART
	v_cvt_f32_f16 v6, v6;
	;;#ASMEND
	v_fmac_f32_e32 v22, v0, v2
	v_fmac_f32_e32 v19, v1, v6
	v_lshrrev_b32_e32 v1, 16, v3
	v_and_b32_e32 v0, 0xffff, v3
	v_and_b32_e32 v2, 0xffff, v43
	;; [unrolled: 1-line block ×3, first 2 shown]
	;;#ASMSTART
	v_cvt_f32_f16 v0, v0;
	;;#ASMEND
	;;#ASMSTART
	v_cvt_f32_f16 v1, v1;
	;;#ASMEND
	;; [unrolled: 3-line block ×4, first 2 shown]
	v_fmac_f32_e32 v65, v0, v2
	v_fmac_f32_e32 v54, v1, v3
	ds_read_b128 v[0:3], v8 offset:80
	v_and_b32_e32 v9, 0xffff, v40
	v_and_b32_e32 v10, 0xffff, v118
	s_waitcnt lgkmcnt(0)
	v_lshrrev_b32_e32 v6, 16, v0
	v_and_b32_e32 v0, 0xffff, v0
	;;#ASMSTART
	v_cvt_f32_f16 v0, v0;
	;;#ASMEND
	;;#ASMSTART
	v_cvt_f32_f16 v6, v6;
	;;#ASMEND
	;; [unrolled: 3-line block ×4, first 2 shown]
	v_fmac_f32_e32 v16, v0, v9
	v_fmac_f32_e32 v4, v6, v10
	v_lshrrev_b32_e32 v6, 16, v1
	v_and_b32_e32 v0, 0xffff, v1
	;;#ASMSTART
	v_cvt_f32_f16 v0, v0;
	;;#ASMEND
	;;#ASMSTART
	v_cvt_f32_f16 v1, v6;
	;;#ASMEND
	v_and_b32_e32 v6, 0xffff, v26
	v_and_b32_e32 v9, 0xffff, v115
	;;#ASMSTART
	v_cvt_f32_f16 v6, v6;
	;;#ASMEND
	;;#ASMSTART
	v_cvt_f32_f16 v9, v9;
	;;#ASMEND
	v_fmac_f32_e32 v17, v0, v6
	v_fmac_f32_e32 v15, v1, v9
	v_lshrrev_b32_e32 v1, 16, v2
	v_and_b32_e32 v0, 0xffff, v2
	v_and_b32_e32 v2, 0xffff, v89
	;;#ASMSTART
	v_cvt_f32_f16 v0, v0;
	;;#ASMEND
	;;#ASMSTART
	v_cvt_f32_f16 v1, v1;
	;;#ASMEND
	;; [unrolled: 3-line block ×3, first 2 shown]
	v_and_b32_e32 v6, 0xffff, v72
	;;#ASMSTART
	v_cvt_f32_f16 v6, v6;
	;;#ASMEND
	v_fmac_f32_e32 v22, v0, v2
	v_fmac_f32_e32 v19, v1, v6
	v_lshrrev_b32_e32 v1, 16, v3
	v_and_b32_e32 v0, 0xffff, v3
	v_and_b32_e32 v2, 0xffff, v62
	;; [unrolled: 1-line block ×3, first 2 shown]
	;;#ASMSTART
	v_cvt_f32_f16 v0, v0;
	;;#ASMEND
	;;#ASMSTART
	v_cvt_f32_f16 v1, v1;
	;;#ASMEND
	;; [unrolled: 3-line block ×4, first 2 shown]
	v_fmac_f32_e32 v65, v0, v2
	v_fmac_f32_e32 v54, v1, v3
	ds_read_b128 v[0:3], v8 offset:96
	v_and_b32_e32 v9, 0xffff, v50
	v_and_b32_e32 v10, 0xffff, v113
	s_waitcnt lgkmcnt(0)
	v_lshrrev_b32_e32 v6, 16, v0
	v_and_b32_e32 v0, 0xffff, v0
	;;#ASMSTART
	v_cvt_f32_f16 v0, v0;
	;;#ASMEND
	;;#ASMSTART
	v_cvt_f32_f16 v6, v6;
	;;#ASMEND
	;; [unrolled: 3-line block ×4, first 2 shown]
	v_fmac_f32_e32 v16, v0, v9
	v_fmac_f32_e32 v4, v6, v10
	v_lshrrev_b32_e32 v6, 16, v1
	v_and_b32_e32 v0, 0xffff, v1
	;;#ASMSTART
	v_cvt_f32_f16 v0, v0;
	;;#ASMEND
	;;#ASMSTART
	v_cvt_f32_f16 v1, v6;
	;;#ASMEND
	v_and_b32_e32 v6, 0xffff, v112
	;;#ASMSTART
	v_cvt_f32_f16 v6, v6;
	;;#ASMEND
	;;#ASMSTART
	v_cvt_f32_f16 v7, v7;
	;;#ASMEND
	v_fmac_f32_e32 v17, v0, v6
	v_fmac_f32_e32 v15, v1, v7
	v_lshrrev_b32_e32 v1, 16, v2
	v_and_b32_e32 v0, 0xffff, v2
	v_and_b32_e32 v2, 0xffff, v105
	;;#ASMSTART
	v_cvt_f32_f16 v0, v0;
	;;#ASMEND
	;;#ASMSTART
	v_cvt_f32_f16 v1, v1;
	;;#ASMEND
	;; [unrolled: 3-line block ×3, first 2 shown]
	v_and_b32_e32 v6, 0xffff, v88
	;;#ASMSTART
	v_cvt_f32_f16 v6, v6;
	;;#ASMEND
	v_fmac_f32_e32 v22, v0, v2
	v_fmac_f32_e32 v19, v1, v6
	v_lshrrev_b32_e32 v1, 16, v3
	v_and_b32_e32 v0, 0xffff, v3
	v_and_b32_e32 v2, 0xffff, v78
	;; [unrolled: 1-line block ×3, first 2 shown]
	;;#ASMSTART
	v_cvt_f32_f16 v0, v0;
	;;#ASMEND
	;;#ASMSTART
	v_cvt_f32_f16 v1, v1;
	;;#ASMEND
	;; [unrolled: 3-line block ×4, first 2 shown]
	v_fmac_f32_e32 v65, v0, v2
	v_fmac_f32_e32 v54, v1, v3
	ds_read_b128 v[0:3], v8 offset:112
	v_and_b32_e32 v7, 0xffff, v64
	v_and_b32_e32 v9, 0xffff, v102
	s_waitcnt lgkmcnt(0)
	v_lshrrev_b32_e32 v6, 16, v0
	v_and_b32_e32 v0, 0xffff, v0
	;;#ASMSTART
	v_cvt_f32_f16 v0, v0;
	;;#ASMEND
	;;#ASMSTART
	v_cvt_f32_f16 v6, v6;
	;;#ASMEND
	;; [unrolled: 3-line block ×4, first 2 shown]
	v_fmac_f32_e32 v16, v0, v7
	v_fmac_f32_e32 v4, v6, v9
	v_lshrrev_b32_e32 v6, 16, v1
	v_and_b32_e32 v0, 0xffff, v1
	;;#ASMSTART
	v_cvt_f32_f16 v0, v0;
	;;#ASMEND
	;;#ASMSTART
	v_cvt_f32_f16 v1, v6;
	;;#ASMEND
	v_and_b32_e32 v6, 0xffff, v51
	v_and_b32_e32 v7, 0xffff, v39
	;;#ASMSTART
	v_cvt_f32_f16 v6, v6;
	;;#ASMEND
	;;#ASMSTART
	v_cvt_f32_f16 v7, v7;
	;;#ASMEND
	v_fmac_f32_e32 v17, v0, v6
	v_fmac_f32_e32 v15, v1, v7
	v_lshrrev_b32_e32 v1, 16, v2
	v_and_b32_e32 v0, 0xffff, v2
	v_and_b32_e32 v2, 0xffff, v111
	;;#ASMSTART
	v_cvt_f32_f16 v0, v0;
	;;#ASMEND
	;;#ASMSTART
	v_cvt_f32_f16 v1, v1;
	;;#ASMEND
	;; [unrolled: 3-line block ×3, first 2 shown]
	v_and_b32_e32 v6, 0xffff, v5
	;;#ASMSTART
	v_cvt_f32_f16 v6, v6;
	;;#ASMEND
	v_fmac_f32_e32 v22, v0, v2
	v_fmac_f32_e32 v19, v1, v6
	v_lshrrev_b32_e32 v1, 16, v3
	v_and_b32_e32 v0, 0xffff, v3
	v_and_b32_e32 v2, 0xffff, v14
	;; [unrolled: 1-line block ×3, first 2 shown]
	;;#ASMSTART
	v_cvt_f32_f16 v0, v0;
	;;#ASMEND
	;;#ASMSTART
	v_cvt_f32_f16 v1, v1;
	;;#ASMEND
	;; [unrolled: 3-line block ×4, first 2 shown]
	v_fmac_f32_e32 v65, v0, v2
	v_fmac_f32_e32 v54, v1, v3
	ds_read_b128 v[0:3], v8 offset:128
	v_and_b32_e32 v6, 0xffff, v99
	v_and_b32_e32 v7, 0xffff, v32
	s_waitcnt lgkmcnt(0)
	v_lshrrev_b32_e32 v5, 16, v0
	v_and_b32_e32 v0, 0xffff, v0
	;;#ASMSTART
	v_cvt_f32_f16 v0, v0;
	;;#ASMEND
	;;#ASMSTART
	v_cvt_f32_f16 v5, v5;
	;;#ASMEND
	;; [unrolled: 3-line block ×4, first 2 shown]
	v_fmac_f32_e32 v16, v0, v6
	v_fmac_f32_e32 v4, v5, v7
	v_lshrrev_b32_e32 v5, 16, v1
	v_and_b32_e32 v0, 0xffff, v1
	;;#ASMSTART
	v_cvt_f32_f16 v0, v0;
	;;#ASMEND
	;;#ASMSTART
	v_cvt_f32_f16 v1, v5;
	;;#ASMEND
	v_and_b32_e32 v5, 0xffff, v33
	v_and_b32_e32 v6, 0xffff, v34
	;;#ASMSTART
	v_cvt_f32_f16 v5, v5;
	;;#ASMEND
	;;#ASMSTART
	v_cvt_f32_f16 v6, v6;
	;;#ASMEND
	v_fmac_f32_e32 v17, v0, v5
	v_fmac_f32_e32 v15, v1, v6
	v_lshrrev_b32_e32 v1, 16, v2
	v_and_b32_e32 v0, 0xffff, v2
	v_and_b32_e32 v2, 0xffff, v37
	;;#ASMSTART
	v_cvt_f32_f16 v0, v0;
	;;#ASMEND
	;;#ASMSTART
	v_cvt_f32_f16 v1, v1;
	;;#ASMEND
	;; [unrolled: 3-line block ×3, first 2 shown]
	v_and_b32_e32 v5, 0xffff, v38
	;;#ASMSTART
	v_cvt_f32_f16 v5, v5;
	;;#ASMEND
	v_fmac_f32_e32 v22, v0, v2
	v_fmac_f32_e32 v19, v1, v5
	v_lshrrev_b32_e32 v1, 16, v3
	v_and_b32_e32 v0, 0xffff, v3
	v_and_b32_e32 v2, 0xffff, v55
	;; [unrolled: 1-line block ×3, first 2 shown]
	;;#ASMSTART
	v_cvt_f32_f16 v0, v0;
	;;#ASMEND
	;;#ASMSTART
	v_cvt_f32_f16 v1, v1;
	;;#ASMEND
	;; [unrolled: 3-line block ×4, first 2 shown]
	v_fmac_f32_e32 v65, v0, v2
	v_fmac_f32_e32 v54, v1, v3
	ds_read_b128 v[0:3], v8 offset:144
	v_and_b32_e32 v6, 0xffff, v45
	v_and_b32_e32 v7, 0xffff, v74
	s_waitcnt lgkmcnt(0)
	v_lshrrev_b32_e32 v5, 16, v0
	v_and_b32_e32 v0, 0xffff, v0
	;;#ASMSTART
	v_cvt_f32_f16 v0, v0;
	;;#ASMEND
	;;#ASMSTART
	v_cvt_f32_f16 v5, v5;
	;;#ASMEND
	;;#ASMSTART
	v_cvt_f32_f16 v6, v6;
	;;#ASMEND
	;;#ASMSTART
	v_cvt_f32_f16 v7, v7;
	;;#ASMEND
	v_fmac_f32_e32 v16, v0, v6
	v_fmac_f32_e32 v4, v5, v7
	v_lshrrev_b32_e32 v5, 16, v1
	v_and_b32_e32 v0, 0xffff, v1
	;;#ASMSTART
	v_cvt_f32_f16 v0, v0;
	;;#ASMEND
	;;#ASMSTART
	v_cvt_f32_f16 v1, v5;
	;;#ASMEND
	v_and_b32_e32 v5, 0xffff, v69
	v_and_b32_e32 v6, 0xffff, v70
	;;#ASMSTART
	v_cvt_f32_f16 v5, v5;
	;;#ASMEND
	;;#ASMSTART
	v_cvt_f32_f16 v6, v6;
	;;#ASMEND
	v_fmac_f32_e32 v17, v0, v5
	v_fmac_f32_e32 v15, v1, v6
	v_lshrrev_b32_e32 v1, 16, v2
	v_and_b32_e32 v0, 0xffff, v2
	v_and_b32_e32 v2, 0xffff, v71
	;;#ASMSTART
	v_cvt_f32_f16 v0, v0;
	;;#ASMEND
	;;#ASMSTART
	v_cvt_f32_f16 v1, v1;
	;;#ASMEND
	;; [unrolled: 3-line block ×3, first 2 shown]
	v_and_b32_e32 v5, 0xffff, v81
	;;#ASMSTART
	v_cvt_f32_f16 v5, v5;
	;;#ASMEND
	v_fmac_f32_e32 v22, v0, v2
	v_fmac_f32_e32 v19, v1, v5
	v_lshrrev_b32_e32 v1, 16, v3
	v_and_b32_e32 v0, 0xffff, v3
	v_and_b32_e32 v2, 0xffff, v82
	;;#ASMSTART
	v_cvt_f32_f16 v0, v0;
	;;#ASMEND
	;;#ASMSTART
	v_cvt_f32_f16 v1, v1;
	;;#ASMEND
	;; [unrolled: 3-line block ×3, first 2 shown]
	buffer_load_dword v3, off, s[0:3], s32 offset:396 ; 4-byte Folded Reload
	v_fmac_f32_e32 v65, v0, v2
	v_and_b32_e32 v6, 0xffff, v83
	v_and_b32_e32 v7, 0xffff, v96
	s_waitcnt vmcnt(0)
	v_and_b32_e32 v3, 0xffff, v3
	;;#ASMSTART
	v_cvt_f32_f16 v3, v3;
	;;#ASMEND
	v_fmac_f32_e32 v54, v1, v3
	ds_read_b128 v[0:3], v8 offset:160
	s_waitcnt lgkmcnt(0)
	v_lshrrev_b32_e32 v5, 16, v0
	v_and_b32_e32 v0, 0xffff, v0
	;;#ASMSTART
	v_cvt_f32_f16 v0, v0;
	;;#ASMEND
	;;#ASMSTART
	v_cvt_f32_f16 v5, v5;
	;;#ASMEND
	;; [unrolled: 3-line block ×4, first 2 shown]
	v_fmac_f32_e32 v16, v0, v6
	v_fmac_f32_e32 v4, v5, v7
	v_lshrrev_b32_e32 v5, 16, v1
	v_and_b32_e32 v0, 0xffff, v1
	;;#ASMSTART
	v_cvt_f32_f16 v0, v0;
	;;#ASMEND
	;;#ASMSTART
	v_cvt_f32_f16 v1, v5;
	;;#ASMEND
	v_and_b32_e32 v5, 0xffff, v103
	v_and_b32_e32 v6, 0xffff, v116
	;;#ASMSTART
	v_cvt_f32_f16 v5, v5;
	;;#ASMEND
	;;#ASMSTART
	v_cvt_f32_f16 v6, v6;
	;;#ASMEND
	v_fmac_f32_e32 v17, v0, v5
	v_fmac_f32_e32 v15, v1, v6
	v_lshrrev_b32_e32 v1, 16, v2
	v_and_b32_e32 v0, 0xffff, v2
	v_and_b32_e32 v2, 0xffff, v119
	;;#ASMSTART
	v_cvt_f32_f16 v0, v0;
	;;#ASMEND
	;;#ASMSTART
	v_cvt_f32_f16 v1, v1;
	;;#ASMEND
	;; [unrolled: 3-line block ×3, first 2 shown]
	v_and_b32_e32 v5, 0xffff, v42
	;;#ASMSTART
	v_cvt_f32_f16 v5, v5;
	;;#ASMEND
	v_fmac_f32_e32 v22, v0, v2
	v_fmac_f32_e32 v19, v1, v5
	v_lshrrev_b32_e32 v1, 16, v3
	v_and_b32_e32 v0, 0xffff, v3
	v_and_b32_e32 v2, 0xffff, v47
	;; [unrolled: 1-line block ×3, first 2 shown]
	;;#ASMSTART
	v_cvt_f32_f16 v0, v0;
	;;#ASMEND
	;;#ASMSTART
	v_cvt_f32_f16 v1, v1;
	;;#ASMEND
	;; [unrolled: 3-line block ×4, first 2 shown]
	v_fmac_f32_e32 v65, v0, v2
	v_fmac_f32_e32 v54, v1, v3
	ds_read_b128 v[0:3], v8 offset:176
	v_and_b32_e32 v6, 0xffff, v58
	s_waitcnt lgkmcnt(0)
	v_lshrrev_b32_e32 v5, 16, v0
	v_and_b32_e32 v0, 0xffff, v0
	;;#ASMSTART
	v_cvt_f32_f16 v0, v0;
	;;#ASMEND
	;;#ASMSTART
	v_cvt_f32_f16 v5, v5;
	;;#ASMEND
	;; [unrolled: 3-line block ×3, first 2 shown]
	buffer_load_dword v7, off, s[0:3], s32 offset:428 ; 4-byte Folded Reload
	v_fmac_f32_e32 v16, v0, v6
	v_and_b32_e32 v0, 0xffff, v1
	s_waitcnt vmcnt(0)
	v_and_b32_e32 v7, 0xffff, v7
	;;#ASMSTART
	v_cvt_f32_f16 v7, v7;
	;;#ASMEND
	v_fmac_f32_e32 v4, v5, v7
	v_lshrrev_b32_e32 v5, 16, v1
	;;#ASMSTART
	v_cvt_f32_f16 v0, v0;
	;;#ASMEND
	;;#ASMSTART
	v_cvt_f32_f16 v1, v5;
	;;#ASMEND
	v_and_b32_e32 v5, 0xffff, v60
	;;#ASMSTART
	v_cvt_f32_f16 v5, v5;
	;;#ASMEND
	buffer_load_dword v6, off, s[0:3], s32 offset:432 ; 4-byte Folded Reload
	v_fmac_f32_e32 v17, v0, v5
	v_and_b32_e32 v0, 0xffff, v2
	v_and_b32_e32 v5, 0xffff, v63
	;; [unrolled: 1-line block ×3, first 2 shown]
	s_waitcnt vmcnt(0)
	v_and_b32_e32 v6, 0xffff, v6
	;;#ASMSTART
	v_cvt_f32_f16 v6, v6;
	;;#ASMEND
	v_fmac_f32_e32 v15, v1, v6
	v_lshrrev_b32_e32 v1, 16, v2
	v_and_b32_e32 v2, 0xffff, v61
	;;#ASMSTART
	v_cvt_f32_f16 v0, v0;
	;;#ASMEND
	;;#ASMSTART
	v_cvt_f32_f16 v1, v1;
	;;#ASMEND
	;;#ASMSTART
	v_cvt_f32_f16 v2, v2;
	;;#ASMEND
	;;#ASMSTART
	v_cvt_f32_f16 v5, v5;
	;;#ASMEND
	v_fmac_f32_e32 v22, v0, v2
	v_fmac_f32_e32 v19, v1, v5
	v_lshrrev_b32_e32 v1, 16, v3
	v_and_b32_e32 v0, 0xffff, v3
	v_and_b32_e32 v2, 0xffff, v76
	;; [unrolled: 1-line block ×3, first 2 shown]
	;;#ASMSTART
	v_cvt_f32_f16 v0, v0;
	;;#ASMEND
	;;#ASMSTART
	v_cvt_f32_f16 v1, v1;
	;;#ASMEND
	;; [unrolled: 3-line block ×4, first 2 shown]
	v_fmac_f32_e32 v65, v0, v2
	v_fmac_f32_e32 v54, v1, v3
	ds_read_b128 v[0:3], v8 offset:192
	v_and_b32_e32 v6, 0xffff, v79
	s_waitcnt lgkmcnt(0)
	v_lshrrev_b32_e32 v5, 16, v0
	v_and_b32_e32 v0, 0xffff, v0
	;;#ASMSTART
	v_cvt_f32_f16 v0, v0;
	;;#ASMEND
	;;#ASMSTART
	v_cvt_f32_f16 v5, v5;
	;;#ASMEND
	;; [unrolled: 3-line block ×4, first 2 shown]
	v_fmac_f32_e32 v16, v0, v6
	v_fmac_f32_e32 v4, v5, v7
	v_lshrrev_b32_e32 v5, 16, v1
	v_and_b32_e32 v0, 0xffff, v1
	;;#ASMSTART
	v_cvt_f32_f16 v0, v0;
	;;#ASMEND
	;;#ASMSTART
	v_cvt_f32_f16 v1, v5;
	;;#ASMEND
	v_and_b32_e32 v5, 0xffff, v93
	v_and_b32_e32 v6, 0xffff, v124
	;;#ASMSTART
	v_cvt_f32_f16 v5, v5;
	;;#ASMEND
	;;#ASMSTART
	v_cvt_f32_f16 v6, v6;
	;;#ASMEND
	v_fmac_f32_e32 v17, v0, v5
	v_fmac_f32_e32 v15, v1, v6
	v_lshrrev_b32_e32 v1, 16, v2
	v_and_b32_e32 v0, 0xffff, v2
	;;#ASMSTART
	v_cvt_f32_f16 v0, v0;
	;;#ASMEND
	;;#ASMSTART
	v_cvt_f32_f16 v1, v1;
	;;#ASMEND
	buffer_load_dword v2, off, s[0:3], s32 offset:848 ; 4-byte Folded Reload
	s_waitcnt vmcnt(0)
	v_and_b32_e32 v2, 0xffff, v2
	;;#ASMSTART
	v_cvt_f32_f16 v2, v2;
	;;#ASMEND
	buffer_load_dword v5, off, s[0:3], s32 offset:452 ; 4-byte Folded Reload
	v_fmac_f32_e32 v22, v0, v2
	v_and_b32_e32 v0, 0xffff, v3
	s_waitcnt vmcnt(0)
	v_and_b32_e32 v5, 0xffff, v5
	;;#ASMSTART
	v_cvt_f32_f16 v5, v5;
	;;#ASMEND
	v_fmac_f32_e32 v19, v1, v5
	v_lshrrev_b32_e32 v1, 16, v3
	;;#ASMSTART
	v_cvt_f32_f16 v0, v0;
	;;#ASMEND
	;;#ASMSTART
	v_cvt_f32_f16 v1, v1;
	;;#ASMEND
	buffer_load_dword v2, off, s[0:3], s32 offset:448 ; 4-byte Folded Reload
	s_waitcnt vmcnt(0)
	v_and_b32_e32 v2, 0xffff, v2
	;;#ASMSTART
	v_cvt_f32_f16 v2, v2;
	;;#ASMEND
	buffer_load_dword v3, off, s[0:3], s32 offset:444 ; 4-byte Folded Reload
	v_fmac_f32_e32 v65, v0, v2
	s_waitcnt vmcnt(0)
	v_and_b32_e32 v3, 0xffff, v3
	;;#ASMSTART
	v_cvt_f32_f16 v3, v3;
	;;#ASMEND
	v_fmac_f32_e32 v54, v1, v3
	ds_read_b128 v[0:3], v8 offset:208
	s_waitcnt lgkmcnt(0)
	v_lshrrev_b32_e32 v5, 16, v0
	v_and_b32_e32 v0, 0xffff, v0
	;;#ASMSTART
	v_cvt_f32_f16 v0, v0;
	;;#ASMEND
	;;#ASMSTART
	v_cvt_f32_f16 v5, v5;
	;;#ASMEND
	buffer_load_dword v6, off, s[0:3], s32 offset:844 ; 4-byte Folded Reload
	s_waitcnt vmcnt(0)
	v_and_b32_e32 v6, 0xffff, v6
	;;#ASMSTART
	v_cvt_f32_f16 v6, v6;
	;;#ASMEND
	buffer_load_dword v7, off, s[0:3], s32 offset:840 ; 4-byte Folded Reload
	v_fmac_f32_e32 v16, v0, v6
	v_and_b32_e32 v0, 0xffff, v1
	s_waitcnt vmcnt(0)
	v_and_b32_e32 v7, 0xffff, v7
	;;#ASMSTART
	v_cvt_f32_f16 v7, v7;
	;;#ASMEND
	v_fmac_f32_e32 v4, v5, v7
	v_lshrrev_b32_e32 v5, 16, v1
	;;#ASMSTART
	v_cvt_f32_f16 v0, v0;
	;;#ASMEND
	;;#ASMSTART
	v_cvt_f32_f16 v1, v5;
	;;#ASMEND
	buffer_load_dword v5, off, s[0:3], s32 offset:836 ; 4-byte Folded Reload
	s_waitcnt vmcnt(0)
	v_and_b32_e32 v5, 0xffff, v5
	;;#ASMSTART
	v_cvt_f32_f16 v5, v5;
	;;#ASMEND
	buffer_load_dword v6, off, s[0:3], s32 offset:832 ; 4-byte Folded Reload
	v_fmac_f32_e32 v17, v0, v5
	v_and_b32_e32 v0, 0xffff, v2
	s_waitcnt vmcnt(0)
	v_and_b32_e32 v6, 0xffff, v6
	;;#ASMSTART
	v_cvt_f32_f16 v6, v6;
	;;#ASMEND
	v_fmac_f32_e32 v15, v1, v6
	v_lshrrev_b32_e32 v1, 16, v2
	;; [unrolled: 22-line block ×3, first 2 shown]
	;;#ASMSTART
	v_cvt_f32_f16 v0, v0;
	;;#ASMEND
	;;#ASMSTART
	v_cvt_f32_f16 v1, v1;
	;;#ASMEND
	buffer_load_dword v2, off, s[0:3], s32 offset:820 ; 4-byte Folded Reload
	s_waitcnt vmcnt(0)
	v_and_b32_e32 v2, 0xffff, v2
	;;#ASMSTART
	v_cvt_f32_f16 v2, v2;
	;;#ASMEND
	buffer_load_dword v3, off, s[0:3], s32 offset:460 ; 4-byte Folded Reload
	v_fmac_f32_e32 v65, v0, v2
	s_waitcnt vmcnt(0)
	v_and_b32_e32 v3, 0xffff, v3
	;;#ASMSTART
	v_cvt_f32_f16 v3, v3;
	;;#ASMEND
	v_fmac_f32_e32 v54, v1, v3
	ds_read_b128 v[0:3], v8 offset:224
	s_waitcnt lgkmcnt(0)
	v_lshrrev_b32_e32 v5, 16, v0
	v_and_b32_e32 v0, 0xffff, v0
	;;#ASMSTART
	v_cvt_f32_f16 v0, v0;
	;;#ASMEND
	;;#ASMSTART
	v_cvt_f32_f16 v5, v5;
	;;#ASMEND
	buffer_load_dword v6, off, s[0:3], s32 offset:816 ; 4-byte Folded Reload
	s_waitcnt vmcnt(0)
	v_and_b32_e32 v6, 0xffff, v6
	;;#ASMSTART
	v_cvt_f32_f16 v6, v6;
	;;#ASMEND
	buffer_load_dword v7, off, s[0:3], s32 offset:812 ; 4-byte Folded Reload
	v_fmac_f32_e32 v16, v0, v6
	v_and_b32_e32 v0, 0xffff, v1
	s_waitcnt vmcnt(0)
	v_and_b32_e32 v7, 0xffff, v7
	;;#ASMSTART
	v_cvt_f32_f16 v7, v7;
	;;#ASMEND
	v_fmac_f32_e32 v4, v5, v7
	v_lshrrev_b32_e32 v5, 16, v1
	;;#ASMSTART
	v_cvt_f32_f16 v0, v0;
	;;#ASMEND
	;;#ASMSTART
	v_cvt_f32_f16 v1, v5;
	;;#ASMEND
	buffer_load_dword v5, off, s[0:3], s32 offset:808 ; 4-byte Folded Reload
	s_waitcnt vmcnt(0)
	v_and_b32_e32 v5, 0xffff, v5
	;;#ASMSTART
	v_cvt_f32_f16 v5, v5;
	;;#ASMEND
	buffer_load_dword v6, off, s[0:3], s32 offset:804 ; 4-byte Folded Reload
	v_fmac_f32_e32 v17, v0, v5
	v_and_b32_e32 v0, 0xffff, v2
	s_waitcnt vmcnt(0)
	v_and_b32_e32 v6, 0xffff, v6
	;;#ASMSTART
	v_cvt_f32_f16 v6, v6;
	;;#ASMEND
	v_fmac_f32_e32 v15, v1, v6
	v_lshrrev_b32_e32 v1, 16, v2
	;; [unrolled: 22-line block ×3, first 2 shown]
	;;#ASMSTART
	v_cvt_f32_f16 v0, v0;
	;;#ASMEND
	;;#ASMSTART
	v_cvt_f32_f16 v1, v1;
	;;#ASMEND
	buffer_load_dword v2, off, s[0:3], s32 offset:792 ; 4-byte Folded Reload
	s_waitcnt vmcnt(0)
	v_and_b32_e32 v2, 0xffff, v2
	;;#ASMSTART
	v_cvt_f32_f16 v2, v2;
	;;#ASMEND
	buffer_load_dword v3, off, s[0:3], s32 offset:788 ; 4-byte Folded Reload
	v_fmac_f32_e32 v65, v0, v2
	s_waitcnt vmcnt(0)
	v_and_b32_e32 v3, 0xffff, v3
	;;#ASMSTART
	v_cvt_f32_f16 v3, v3;
	;;#ASMEND
	v_fmac_f32_e32 v54, v1, v3
	ds_read_b128 v[0:3], v8 offset:240
	s_waitcnt lgkmcnt(0)
	v_lshrrev_b32_e32 v5, 16, v0
	v_and_b32_e32 v0, 0xffff, v0
	;;#ASMSTART
	v_cvt_f32_f16 v0, v0;
	;;#ASMEND
	;;#ASMSTART
	v_cvt_f32_f16 v5, v5;
	;;#ASMEND
	buffer_load_dword v6, off, s[0:3], s32 offset:784 ; 4-byte Folded Reload
	s_waitcnt vmcnt(0)
	v_and_b32_e32 v6, 0xffff, v6
	;;#ASMSTART
	v_cvt_f32_f16 v6, v6;
	;;#ASMEND
	buffer_load_dword v7, off, s[0:3], s32 offset:780 ; 4-byte Folded Reload
	v_fmac_f32_e32 v16, v0, v6
	v_and_b32_e32 v0, 0xffff, v1
	s_waitcnt vmcnt(0)
	v_and_b32_e32 v7, 0xffff, v7
	;;#ASMSTART
	v_cvt_f32_f16 v7, v7;
	;;#ASMEND
	v_fmac_f32_e32 v4, v5, v7
	v_lshrrev_b32_e32 v5, 16, v1
	;;#ASMSTART
	v_cvt_f32_f16 v0, v0;
	;;#ASMEND
	;;#ASMSTART
	v_cvt_f32_f16 v1, v5;
	;;#ASMEND
	buffer_load_dword v5, off, s[0:3], s32 offset:776 ; 4-byte Folded Reload
	s_waitcnt vmcnt(0)
	v_and_b32_e32 v5, 0xffff, v5
	;;#ASMSTART
	v_cvt_f32_f16 v5, v5;
	;;#ASMEND
	buffer_load_dword v6, off, s[0:3], s32 offset:772 ; 4-byte Folded Reload
	v_fmac_f32_e32 v17, v0, v5
	v_and_b32_e32 v0, 0xffff, v2
	s_waitcnt vmcnt(0)
	v_and_b32_e32 v6, 0xffff, v6
	;;#ASMSTART
	v_cvt_f32_f16 v6, v6;
	;;#ASMEND
	v_fmac_f32_e32 v15, v1, v6
	v_lshrrev_b32_e32 v1, 16, v2
	;; [unrolled: 22-line block ×3, first 2 shown]
	;;#ASMSTART
	v_cvt_f32_f16 v0, v0;
	;;#ASMEND
	;;#ASMSTART
	v_cvt_f32_f16 v1, v1;
	;;#ASMEND
	buffer_load_dword v2, off, s[0:3], s32 offset:760 ; 4-byte Folded Reload
	s_waitcnt vmcnt(0)
	v_and_b32_e32 v2, 0xffff, v2
	;;#ASMSTART
	v_cvt_f32_f16 v2, v2;
	;;#ASMEND
	buffer_load_dword v3, off, s[0:3], s32 offset:756 ; 4-byte Folded Reload
	v_fmac_f32_e32 v65, v0, v2
	s_waitcnt vmcnt(0)
	v_and_b32_e32 v3, 0xffff, v3
	;;#ASMSTART
	v_cvt_f32_f16 v3, v3;
	;;#ASMEND
	v_fmac_f32_e32 v54, v1, v3
	ds_read_b128 v[0:3], v8 offset:256
	s_waitcnt lgkmcnt(0)
	v_lshrrev_b32_e32 v5, 16, v0
	v_and_b32_e32 v0, 0xffff, v0
	;;#ASMSTART
	v_cvt_f32_f16 v0, v0;
	;;#ASMEND
	;;#ASMSTART
	v_cvt_f32_f16 v5, v5;
	;;#ASMEND
	buffer_load_dword v6, off, s[0:3], s32 offset:752 ; 4-byte Folded Reload
	s_waitcnt vmcnt(0)
	v_and_b32_e32 v6, 0xffff, v6
	;;#ASMSTART
	v_cvt_f32_f16 v6, v6;
	;;#ASMEND
	buffer_load_dword v7, off, s[0:3], s32 offset:748 ; 4-byte Folded Reload
	v_fmac_f32_e32 v16, v0, v6
	v_and_b32_e32 v0, 0xffff, v1
	s_waitcnt vmcnt(0)
	v_and_b32_e32 v7, 0xffff, v7
	;;#ASMSTART
	v_cvt_f32_f16 v7, v7;
	;;#ASMEND
	v_fmac_f32_e32 v4, v5, v7
	v_lshrrev_b32_e32 v5, 16, v1
	;;#ASMSTART
	v_cvt_f32_f16 v0, v0;
	;;#ASMEND
	;;#ASMSTART
	v_cvt_f32_f16 v1, v5;
	;;#ASMEND
	buffer_load_dword v5, off, s[0:3], s32 offset:744 ; 4-byte Folded Reload
	s_waitcnt vmcnt(0)
	v_and_b32_e32 v5, 0xffff, v5
	;;#ASMSTART
	v_cvt_f32_f16 v5, v5;
	;;#ASMEND
	buffer_load_dword v6, off, s[0:3], s32 offset:740 ; 4-byte Folded Reload
	v_fmac_f32_e32 v17, v0, v5
	v_and_b32_e32 v0, 0xffff, v2
	s_waitcnt vmcnt(0)
	v_and_b32_e32 v6, 0xffff, v6
	;;#ASMSTART
	v_cvt_f32_f16 v6, v6;
	;;#ASMEND
	v_fmac_f32_e32 v15, v1, v6
	v_lshrrev_b32_e32 v1, 16, v2
	;; [unrolled: 22-line block ×3, first 2 shown]
	;;#ASMSTART
	v_cvt_f32_f16 v0, v0;
	;;#ASMEND
	;;#ASMSTART
	v_cvt_f32_f16 v1, v1;
	;;#ASMEND
	buffer_load_dword v2, off, s[0:3], s32 offset:728 ; 4-byte Folded Reload
	s_waitcnt vmcnt(0)
	v_and_b32_e32 v2, 0xffff, v2
	;;#ASMSTART
	v_cvt_f32_f16 v2, v2;
	;;#ASMEND
	buffer_load_dword v3, off, s[0:3], s32 offset:724 ; 4-byte Folded Reload
	v_fmac_f32_e32 v65, v0, v2
	s_waitcnt vmcnt(0)
	v_and_b32_e32 v3, 0xffff, v3
	;;#ASMSTART
	v_cvt_f32_f16 v3, v3;
	;;#ASMEND
	v_fmac_f32_e32 v54, v1, v3
	ds_read_b128 v[0:3], v8 offset:272
	s_waitcnt lgkmcnt(0)
	v_lshrrev_b32_e32 v5, 16, v0
	v_and_b32_e32 v0, 0xffff, v0
	;;#ASMSTART
	v_cvt_f32_f16 v0, v0;
	;;#ASMEND
	;;#ASMSTART
	v_cvt_f32_f16 v5, v5;
	;;#ASMEND
	buffer_load_dword v6, off, s[0:3], s32 offset:720 ; 4-byte Folded Reload
	s_waitcnt vmcnt(0)
	v_and_b32_e32 v6, 0xffff, v6
	;;#ASMSTART
	v_cvt_f32_f16 v6, v6;
	;;#ASMEND
	buffer_load_dword v7, off, s[0:3], s32 offset:716 ; 4-byte Folded Reload
	v_fmac_f32_e32 v16, v0, v6
	v_and_b32_e32 v0, 0xffff, v1
	s_waitcnt vmcnt(0)
	v_and_b32_e32 v7, 0xffff, v7
	;;#ASMSTART
	v_cvt_f32_f16 v7, v7;
	;;#ASMEND
	v_fmac_f32_e32 v4, v5, v7
	v_lshrrev_b32_e32 v5, 16, v1
	;;#ASMSTART
	v_cvt_f32_f16 v0, v0;
	;;#ASMEND
	;;#ASMSTART
	v_cvt_f32_f16 v1, v5;
	;;#ASMEND
	buffer_load_dword v5, off, s[0:3], s32 offset:712 ; 4-byte Folded Reload
	s_waitcnt vmcnt(0)
	v_and_b32_e32 v5, 0xffff, v5
	;;#ASMSTART
	v_cvt_f32_f16 v5, v5;
	;;#ASMEND
	buffer_load_dword v6, off, s[0:3], s32 offset:708 ; 4-byte Folded Reload
	v_fmac_f32_e32 v17, v0, v5
	v_and_b32_e32 v0, 0xffff, v2
	s_waitcnt vmcnt(0)
	v_and_b32_e32 v6, 0xffff, v6
	;;#ASMSTART
	v_cvt_f32_f16 v6, v6;
	;;#ASMEND
	v_fmac_f32_e32 v15, v1, v6
	v_lshrrev_b32_e32 v1, 16, v2
	;; [unrolled: 22-line block ×3, first 2 shown]
	;;#ASMSTART
	v_cvt_f32_f16 v0, v0;
	;;#ASMEND
	;;#ASMSTART
	v_cvt_f32_f16 v1, v1;
	;;#ASMEND
	buffer_load_dword v2, off, s[0:3], s32 offset:696 ; 4-byte Folded Reload
	s_waitcnt vmcnt(0)
	v_and_b32_e32 v2, 0xffff, v2
	;;#ASMSTART
	v_cvt_f32_f16 v2, v2;
	;;#ASMEND
	buffer_load_dword v3, off, s[0:3], s32 offset:692 ; 4-byte Folded Reload
	v_fmac_f32_e32 v65, v0, v2
	s_waitcnt vmcnt(0)
	v_and_b32_e32 v3, 0xffff, v3
	;;#ASMSTART
	v_cvt_f32_f16 v3, v3;
	;;#ASMEND
	v_fmac_f32_e32 v54, v1, v3
	ds_read_b128 v[0:3], v8 offset:288
	s_waitcnt lgkmcnt(0)
	v_lshrrev_b32_e32 v5, 16, v0
	v_and_b32_e32 v0, 0xffff, v0
	;;#ASMSTART
	v_cvt_f32_f16 v0, v0;
	;;#ASMEND
	;;#ASMSTART
	v_cvt_f32_f16 v5, v5;
	;;#ASMEND
	buffer_load_dword v6, off, s[0:3], s32 offset:688 ; 4-byte Folded Reload
	s_waitcnt vmcnt(0)
	v_and_b32_e32 v6, 0xffff, v6
	;;#ASMSTART
	v_cvt_f32_f16 v6, v6;
	;;#ASMEND
	buffer_load_dword v7, off, s[0:3], s32 offset:684 ; 4-byte Folded Reload
	v_fmac_f32_e32 v16, v0, v6
	v_and_b32_e32 v0, 0xffff, v1
	s_waitcnt vmcnt(0)
	v_and_b32_e32 v7, 0xffff, v7
	;;#ASMSTART
	v_cvt_f32_f16 v7, v7;
	;;#ASMEND
	v_fmac_f32_e32 v4, v5, v7
	v_lshrrev_b32_e32 v5, 16, v1
	;;#ASMSTART
	v_cvt_f32_f16 v0, v0;
	;;#ASMEND
	;;#ASMSTART
	v_cvt_f32_f16 v1, v5;
	;;#ASMEND
	buffer_load_dword v5, off, s[0:3], s32 offset:680 ; 4-byte Folded Reload
	s_waitcnt vmcnt(0)
	v_and_b32_e32 v5, 0xffff, v5
	;;#ASMSTART
	v_cvt_f32_f16 v5, v5;
	;;#ASMEND
	buffer_load_dword v6, off, s[0:3], s32 offset:676 ; 4-byte Folded Reload
	v_fmac_f32_e32 v17, v0, v5
	v_and_b32_e32 v0, 0xffff, v2
	s_waitcnt vmcnt(0)
	v_and_b32_e32 v6, 0xffff, v6
	;;#ASMSTART
	v_cvt_f32_f16 v6, v6;
	;;#ASMEND
	v_fmac_f32_e32 v15, v1, v6
	v_lshrrev_b32_e32 v1, 16, v2
	;; [unrolled: 22-line block ×3, first 2 shown]
	;;#ASMSTART
	v_cvt_f32_f16 v0, v0;
	;;#ASMEND
	;;#ASMSTART
	v_cvt_f32_f16 v1, v1;
	;;#ASMEND
	buffer_load_dword v2, off, s[0:3], s32 offset:664 ; 4-byte Folded Reload
	s_waitcnt vmcnt(0)
	v_and_b32_e32 v2, 0xffff, v2
	;;#ASMSTART
	v_cvt_f32_f16 v2, v2;
	;;#ASMEND
	buffer_load_dword v3, off, s[0:3], s32 offset:660 ; 4-byte Folded Reload
	v_fmac_f32_e32 v65, v0, v2
	s_waitcnt vmcnt(0)
	v_and_b32_e32 v3, 0xffff, v3
	;;#ASMSTART
	v_cvt_f32_f16 v3, v3;
	;;#ASMEND
	v_fmac_f32_e32 v54, v1, v3
	ds_read_b128 v[0:3], v8 offset:304
	s_waitcnt lgkmcnt(0)
	v_lshrrev_b32_e32 v5, 16, v0
	v_and_b32_e32 v0, 0xffff, v0
	;;#ASMSTART
	v_cvt_f32_f16 v0, v0;
	;;#ASMEND
	;;#ASMSTART
	v_cvt_f32_f16 v5, v5;
	;;#ASMEND
	buffer_load_dword v6, off, s[0:3], s32 offset:656 ; 4-byte Folded Reload
	s_waitcnt vmcnt(0)
	v_and_b32_e32 v6, 0xffff, v6
	;;#ASMSTART
	v_cvt_f32_f16 v6, v6;
	;;#ASMEND
	buffer_load_dword v7, off, s[0:3], s32 offset:652 ; 4-byte Folded Reload
	v_fmac_f32_e32 v16, v0, v6
	v_and_b32_e32 v0, 0xffff, v1
	s_waitcnt vmcnt(0)
	v_and_b32_e32 v7, 0xffff, v7
	;;#ASMSTART
	v_cvt_f32_f16 v7, v7;
	;;#ASMEND
	v_fmac_f32_e32 v4, v5, v7
	v_lshrrev_b32_e32 v5, 16, v1
	;;#ASMSTART
	v_cvt_f32_f16 v0, v0;
	;;#ASMEND
	;;#ASMSTART
	v_cvt_f32_f16 v1, v5;
	;;#ASMEND
	buffer_load_dword v5, off, s[0:3], s32 offset:648 ; 4-byte Folded Reload
	s_waitcnt vmcnt(0)
	v_and_b32_e32 v5, 0xffff, v5
	;;#ASMSTART
	v_cvt_f32_f16 v5, v5;
	;;#ASMEND
	buffer_load_dword v6, off, s[0:3], s32 offset:644 ; 4-byte Folded Reload
	v_fmac_f32_e32 v17, v0, v5
	v_and_b32_e32 v0, 0xffff, v2
	s_waitcnt vmcnt(0)
	v_and_b32_e32 v6, 0xffff, v6
	;;#ASMSTART
	v_cvt_f32_f16 v6, v6;
	;;#ASMEND
	v_fmac_f32_e32 v15, v1, v6
	v_lshrrev_b32_e32 v1, 16, v2
	;;#ASMSTART
	v_cvt_f32_f16 v0, v0;
	;;#ASMEND
	;;#ASMSTART
	v_cvt_f32_f16 v1, v1;
	;;#ASMEND
	buffer_load_dword v2, off, s[0:3], s32 offset:640 ; 4-byte Folded Reload
	s_waitcnt vmcnt(0)
	v_and_b32_e32 v2, 0xffff, v2
	;;#ASMSTART
	v_cvt_f32_f16 v2, v2;
	;;#ASMEND
	buffer_load_dword v5, off, s[0:3], s32 offset:636 ; 4-byte Folded Reload
	v_fmac_f32_e32 v22, v0, v2
	v_lshrrev_b32_e32 v0, 16, v3
	s_waitcnt vmcnt(0)
	v_and_b32_e32 v5, 0xffff, v5
	;;#ASMSTART
	v_cvt_f32_f16 v5, v5;
	;;#ASMEND
	v_fmac_f32_e32 v19, v1, v5
	v_and_b32_e32 v1, 0xffff, v3
	;;#ASMSTART
	v_cvt_f32_f16 v1, v1;
	;;#ASMEND
	;;#ASMSTART
	v_cvt_f32_f16 v2, v0;
	;;#ASMEND
	buffer_load_dword v0, off, s[0:3], s32 offset:632 ; 4-byte Folded Reload
	s_waitcnt vmcnt(0)
	v_and_b32_e32 v0, 0xffff, v0
	;;#ASMSTART
	v_cvt_f32_f16 v0, v0;
	;;#ASMEND
	buffer_load_dword v3, off, s[0:3], s32 offset:628 ; 4-byte Folded Reload
	v_fmac_f32_e32 v65, v1, v0
	s_waitcnt vmcnt(0)
	v_and_b32_e32 v3, 0xffff, v3
	;;#ASMSTART
	v_cvt_f32_f16 v3, v3;
	;;#ASMEND
	v_fmac_f32_e32 v54, v2, v3
	ds_read_b128 v[0:3], v8 offset:320
	s_waitcnt lgkmcnt(0)
	v_lshrrev_b32_e32 v5, 16, v0
	v_and_b32_e32 v0, 0xffff, v0
	;;#ASMSTART
	v_cvt_f32_f16 v0, v0;
	;;#ASMEND
	;;#ASMSTART
	v_cvt_f32_f16 v5, v5;
	;;#ASMEND
	buffer_load_dword v6, off, s[0:3], s32 offset:624 ; 4-byte Folded Reload
	s_waitcnt vmcnt(0)
	v_and_b32_e32 v6, 0xffff, v6
	;;#ASMSTART
	v_cvt_f32_f16 v6, v6;
	;;#ASMEND
	buffer_load_dword v7, off, s[0:3], s32 offset:620 ; 4-byte Folded Reload
	v_fmac_f32_e32 v16, v0, v6
	v_and_b32_e32 v0, 0xffff, v1
	s_waitcnt vmcnt(0)
	v_and_b32_e32 v7, 0xffff, v7
	;;#ASMSTART
	v_cvt_f32_f16 v7, v7;
	;;#ASMEND
	v_fmac_f32_e32 v4, v5, v7
	v_lshrrev_b32_e32 v5, 16, v1
	;;#ASMSTART
	v_cvt_f32_f16 v0, v0;
	;;#ASMEND
	;;#ASMSTART
	v_cvt_f32_f16 v1, v5;
	;;#ASMEND
	buffer_load_dword v5, off, s[0:3], s32 offset:616 ; 4-byte Folded Reload
	s_waitcnt vmcnt(0)
	v_and_b32_e32 v5, 0xffff, v5
	;;#ASMSTART
	v_cvt_f32_f16 v5, v5;
	;;#ASMEND
	buffer_load_dword v6, off, s[0:3], s32 offset:612 ; 4-byte Folded Reload
	v_fmac_f32_e32 v17, v0, v5
	v_and_b32_e32 v0, 0xffff, v2
	s_waitcnt vmcnt(0)
	v_and_b32_e32 v6, 0xffff, v6
	;;#ASMSTART
	v_cvt_f32_f16 v6, v6;
	;;#ASMEND
	v_fmac_f32_e32 v15, v1, v6
	v_lshrrev_b32_e32 v1, 16, v2
	;; [unrolled: 22-line block ×3, first 2 shown]
	;;#ASMSTART
	v_cvt_f32_f16 v0, v0;
	;;#ASMEND
	;;#ASMSTART
	v_cvt_f32_f16 v1, v1;
	;;#ASMEND
	buffer_load_dword v2, off, s[0:3], s32 offset:600 ; 4-byte Folded Reload
	s_waitcnt vmcnt(0)
	v_and_b32_e32 v2, 0xffff, v2
	;;#ASMSTART
	v_cvt_f32_f16 v2, v2;
	;;#ASMEND
	buffer_load_dword v3, off, s[0:3], s32 offset:596 ; 4-byte Folded Reload
	v_fmac_f32_e32 v65, v0, v2
	s_waitcnt vmcnt(0)
	v_and_b32_e32 v3, 0xffff, v3
	;;#ASMSTART
	v_cvt_f32_f16 v3, v3;
	;;#ASMEND
	v_fmac_f32_e32 v54, v1, v3
	ds_read_b128 v[0:3], v8 offset:336
	s_waitcnt lgkmcnt(0)
	v_lshrrev_b32_e32 v5, 16, v0
	v_and_b32_e32 v0, 0xffff, v0
	;;#ASMSTART
	v_cvt_f32_f16 v0, v0;
	;;#ASMEND
	;;#ASMSTART
	v_cvt_f32_f16 v5, v5;
	;;#ASMEND
	buffer_load_dword v6, off, s[0:3], s32 offset:592 ; 4-byte Folded Reload
	s_waitcnt vmcnt(0)
	v_and_b32_e32 v6, 0xffff, v6
	;;#ASMSTART
	v_cvt_f32_f16 v6, v6;
	;;#ASMEND
	buffer_load_dword v7, off, s[0:3], s32 offset:588 ; 4-byte Folded Reload
	v_fmac_f32_e32 v16, v0, v6
	v_and_b32_e32 v0, 0xffff, v1
	s_waitcnt vmcnt(0)
	v_and_b32_e32 v7, 0xffff, v7
	;;#ASMSTART
	v_cvt_f32_f16 v7, v7;
	;;#ASMEND
	v_fmac_f32_e32 v4, v5, v7
	v_lshrrev_b32_e32 v5, 16, v1
	;;#ASMSTART
	v_cvt_f32_f16 v0, v0;
	;;#ASMEND
	;;#ASMSTART
	v_cvt_f32_f16 v1, v5;
	;;#ASMEND
	buffer_load_dword v5, off, s[0:3], s32 offset:584 ; 4-byte Folded Reload
	s_waitcnt vmcnt(0)
	v_and_b32_e32 v5, 0xffff, v5
	;;#ASMSTART
	v_cvt_f32_f16 v5, v5;
	;;#ASMEND
	buffer_load_dword v6, off, s[0:3], s32 offset:580 ; 4-byte Folded Reload
	v_fmac_f32_e32 v17, v0, v5
	v_and_b32_e32 v0, 0xffff, v2
	s_waitcnt vmcnt(0)
	v_and_b32_e32 v6, 0xffff, v6
	;;#ASMSTART
	v_cvt_f32_f16 v6, v6;
	;;#ASMEND
	v_fmac_f32_e32 v15, v1, v6
	v_lshrrev_b32_e32 v1, 16, v2
	;; [unrolled: 22-line block ×3, first 2 shown]
	;;#ASMSTART
	v_cvt_f32_f16 v0, v0;
	;;#ASMEND
	;;#ASMSTART
	v_cvt_f32_f16 v1, v1;
	;;#ASMEND
	buffer_load_dword v2, off, s[0:3], s32 offset:568 ; 4-byte Folded Reload
	s_waitcnt vmcnt(0)
	v_and_b32_e32 v2, 0xffff, v2
	;;#ASMSTART
	v_cvt_f32_f16 v2, v2;
	;;#ASMEND
	buffer_load_dword v3, off, s[0:3], s32 offset:564 ; 4-byte Folded Reload
	v_fmac_f32_e32 v65, v0, v2
	s_waitcnt vmcnt(0)
	v_and_b32_e32 v3, 0xffff, v3
	;;#ASMSTART
	v_cvt_f32_f16 v3, v3;
	;;#ASMEND
	v_fmac_f32_e32 v54, v1, v3
	ds_read_b128 v[0:3], v8 offset:352
	s_waitcnt lgkmcnt(0)
	v_lshrrev_b32_e32 v5, 16, v0
	v_and_b32_e32 v0, 0xffff, v0
	;;#ASMSTART
	v_cvt_f32_f16 v0, v0;
	;;#ASMEND
	;;#ASMSTART
	v_cvt_f32_f16 v5, v5;
	;;#ASMEND
	buffer_load_dword v6, off, s[0:3], s32 offset:560 ; 4-byte Folded Reload
	s_waitcnt vmcnt(0)
	v_and_b32_e32 v6, 0xffff, v6
	;;#ASMSTART
	v_cvt_f32_f16 v6, v6;
	;;#ASMEND
	buffer_load_dword v7, off, s[0:3], s32 offset:556 ; 4-byte Folded Reload
	v_fmac_f32_e32 v16, v0, v6
	v_and_b32_e32 v0, 0xffff, v1
	s_waitcnt vmcnt(0)
	v_and_b32_e32 v7, 0xffff, v7
	;;#ASMSTART
	v_cvt_f32_f16 v7, v7;
	;;#ASMEND
	v_fmac_f32_e32 v4, v5, v7
	v_lshrrev_b32_e32 v5, 16, v1
	;;#ASMSTART
	v_cvt_f32_f16 v0, v0;
	;;#ASMEND
	;;#ASMSTART
	v_cvt_f32_f16 v1, v5;
	;;#ASMEND
	buffer_load_dword v5, off, s[0:3], s32 offset:552 ; 4-byte Folded Reload
	s_waitcnt vmcnt(0)
	v_and_b32_e32 v5, 0xffff, v5
	;;#ASMSTART
	v_cvt_f32_f16 v5, v5;
	;;#ASMEND
	buffer_load_dword v6, off, s[0:3], s32 offset:548 ; 4-byte Folded Reload
	v_fmac_f32_e32 v17, v0, v5
	v_and_b32_e32 v0, 0xffff, v2
	s_waitcnt vmcnt(0)
	v_and_b32_e32 v6, 0xffff, v6
	;;#ASMSTART
	v_cvt_f32_f16 v6, v6;
	;;#ASMEND
	v_fmac_f32_e32 v15, v1, v6
	v_lshrrev_b32_e32 v1, 16, v2
	;; [unrolled: 22-line block ×3, first 2 shown]
	;;#ASMSTART
	v_cvt_f32_f16 v0, v0;
	;;#ASMEND
	;;#ASMSTART
	v_cvt_f32_f16 v1, v1;
	;;#ASMEND
	buffer_load_dword v2, off, s[0:3], s32 offset:536 ; 4-byte Folded Reload
	s_waitcnt vmcnt(0)
	v_and_b32_e32 v2, 0xffff, v2
	;;#ASMSTART
	v_cvt_f32_f16 v2, v2;
	;;#ASMEND
	buffer_load_dword v3, off, s[0:3], s32 offset:532 ; 4-byte Folded Reload
	v_fmac_f32_e32 v65, v0, v2
	s_waitcnt vmcnt(0)
	v_and_b32_e32 v3, 0xffff, v3
	;;#ASMSTART
	v_cvt_f32_f16 v3, v3;
	;;#ASMEND
	v_fmac_f32_e32 v54, v1, v3
	ds_read_b128 v[0:3], v8 offset:368
	s_waitcnt lgkmcnt(0)
	v_lshrrev_b32_e32 v5, 16, v0
	v_and_b32_e32 v0, 0xffff, v0
	;;#ASMSTART
	v_cvt_f32_f16 v0, v0;
	;;#ASMEND
	;;#ASMSTART
	v_cvt_f32_f16 v5, v5;
	;;#ASMEND
	buffer_load_dword v6, off, s[0:3], s32 offset:196 ; 4-byte Folded Reload
	s_waitcnt vmcnt(0)
	v_and_b32_e32 v6, 0xffff, v6
	;;#ASMSTART
	v_cvt_f32_f16 v6, v6;
	;;#ASMEND
	buffer_load_dword v7, off, s[0:3], s32 offset:192 ; 4-byte Folded Reload
	v_fmac_f32_e32 v16, v0, v6
	v_and_b32_e32 v0, 0xffff, v1
	v_and_b32_e32 v6, 0xffff, v97
	s_waitcnt vmcnt(0)
	v_and_b32_e32 v7, 0xffff, v7
	;;#ASMSTART
	v_cvt_f32_f16 v7, v7;
	;;#ASMEND
	v_fmac_f32_e32 v4, v5, v7
	v_lshrrev_b32_e32 v5, 16, v1
	;;#ASMSTART
	v_cvt_f32_f16 v0, v0;
	;;#ASMEND
	;;#ASMSTART
	v_cvt_f32_f16 v1, v5;
	;;#ASMEND
	v_and_b32_e32 v5, 0xffff, v98
	;;#ASMSTART
	v_cvt_f32_f16 v5, v5;
	;;#ASMEND
	;;#ASMSTART
	v_cvt_f32_f16 v6, v6;
	;;#ASMEND
	v_fmac_f32_e32 v17, v0, v5
	v_fmac_f32_e32 v15, v1, v6
	v_lshrrev_b32_e32 v1, 16, v2
	v_and_b32_e32 v0, 0xffff, v2
	;;#ASMSTART
	v_cvt_f32_f16 v0, v0;
	;;#ASMEND
	;;#ASMSTART
	v_cvt_f32_f16 v1, v1;
	;;#ASMEND
	v_and_b32_e32 v2, 0xffff, v80
	v_and_b32_e32 v5, 0xffff, v27
	;;#ASMSTART
	v_cvt_f32_f16 v2, v2;
	;;#ASMEND
	;;#ASMSTART
	v_cvt_f32_f16 v5, v5;
	;;#ASMEND
	v_fmac_f32_e32 v22, v0, v2
	v_fmac_f32_e32 v19, v1, v5
	v_lshrrev_b32_e32 v1, 16, v3
	v_and_b32_e32 v0, 0xffff, v3
	;;#ASMSTART
	v_cvt_f32_f16 v0, v0;
	;;#ASMEND
	;;#ASMSTART
	v_cvt_f32_f16 v1, v1;
	;;#ASMEND
	v_and_b32_e32 v2, 0xffff, v24
	v_and_b32_e32 v3, 0xffff, v13
	;;#ASMSTART
	v_cvt_f32_f16 v2, v2;
	;;#ASMEND
	;;#ASMSTART
	v_cvt_f32_f16 v3, v3;
	;;#ASMEND
	v_fmac_f32_e32 v54, v1, v3
	buffer_load_dword v1, off, s[0:3], s32 offset:860 ; 4-byte Folded Reload
	v_fmac_f32_e32 v65, v0, v2
	v_add_f32_e32 v0, v16, v4
	buffer_load_dword v4, off, s[0:3], s32 offset:520 ; 4-byte Folded Reload
	v_add_nc_u32_e32 v98, 0x80, v49
	v_add_f32_e32 v0, v0, v17
	v_add_f32_e32 v0, v15, v0
	;; [unrolled: 1-line block ×6, first 2 shown]
	s_waitcnt vmcnt(1)
	v_fmac_f32_e32 v12, v1, v0
	v_cndmask_b32_e64 v0, 0, v12, s5
	ds_write_b32 v29, v0
	s_waitcnt vmcnt(0)
	v_max_f32_e32 v0, v4, v4
	s_clause 0x1
	buffer_load_dword v6, off, s[0:3], s32 offset:524
	buffer_load_dword v7, off, s[0:3], s32 offset:528
	v_add_nc_u32_e32 v29, 0x200, v29
	v_max_f32_e32 v0, v0, v12
	v_cndmask_b32_e64 v4, v4, v0, s5
	buffer_load_dword v0, off, s[0:3], s32 offset:516 ; 4-byte Folded Reload
	s_waitcnt vmcnt(2)
	v_add_co_u32 v6, s5, v6, 16
	s_waitcnt vmcnt(1)
	v_add_co_ci_u32_e64 v7, null, 0, v7, s5
	s_waitcnt vmcnt(0)
	v_cmp_ge_i32_e64 s5, v104, v0
	s_or_b32 s17, s5, s17
	s_andn2_b32 exec_lo, exec_lo, s17
	s_cbranch_execz .LBB327_1544
.LBB327_11:                             ; =>This Inner Loop Header: Depth=1
	buffer_store_dword v104, off, s[0:3], s32 offset:472 ; 4-byte Folded Spill
	buffer_store_dword v29, off, s[0:3], s32 offset:468 ; 4-byte Folded Spill
	;; [unrolled: 1-line block ×6, first 2 shown]
	v_mov_b32_e32 v12, 0
	flat_load_dword v0, v[6:7]
	s_clause 0x2
	buffer_load_dword v1, off, s[0:3], s32 offset:512
	buffer_load_dword v2, off, s[0:3], s32 offset:868
	;; [unrolled: 1-line block ×3, first 2 shown]
	s_waitcnt vmcnt(0) lgkmcnt(0)
	v_mad_i64_i32 v[28:29], null, v0, v1, v[2:3]
	flat_load_dwordx2 v[30:31], v[28:29]
	s_clause 0x1
	buffer_load_dword v0, off, s[0:3], s32 offset:852
	buffer_load_dword v1, off, s[0:3], s32 offset:856
	s_waitcnt vmcnt(2) lgkmcnt(0)
	v_cmp_ne_u16_sdwa s5, v30, v8 src0_sel:BYTE_0 src1_sel:DWORD
	s_waitcnt vmcnt(0)
	flat_load_dword v65, v[0:1]
	s_and_saveexec_b32 s21, s5
	s_cbranch_execz .LBB327_19
; %bb.12:                               ;   in Loop: Header=BB327_11 Depth=1
	v_cmp_ne_u16_sdwa s5, v30, v101 src0_sel:BYTE_0 src1_sel:DWORD
	v_mov_b32_e32 v12, 0x8000
	s_and_saveexec_b32 s22, s5
	s_cbranch_execz .LBB327_18
; %bb.13:                               ;   in Loop: Header=BB327_11 Depth=1
	v_and_b32_e32 v2, 0x7f, v30
	v_mov_b32_e32 v12, 0x7c01
	s_mov_b32 s23, exec_lo
	v_cmpx_ne_u32_e32 0x7f, v2
	s_cbranch_execz .LBB327_17
; %bb.14:                               ;   in Loop: Header=BB327_11 Depth=1
	v_and_b32_e32 v0, 7, v30
	v_lshrrev_b32_e32 v1, 3, v2
	s_mov_b32 s24, exec_lo
	v_cmpx_gt_u32_e32 8, v2
; %bb.15:                               ;   in Loop: Header=BB327_11 Depth=1
	v_ffbh_u32_e32 v0, v0
	v_min_u32_e32 v2, 32, v0
	v_subrev_nc_u32_e32 v0, 28, v2
	v_lshlrev_b64 v[0:1], v0, v[30:31]
	v_sub_nc_u32_e32 v1, 29, v2
	v_and_b32_e32 v0, 7, v0
; %bb.16:                               ;   in Loop: Header=BB327_11 Depth=1
	s_or_b32 exec_lo, exec_lo, s24
	v_lshlrev_b32_e32 v2, 8, v30
	v_lshl_add_u32 v1, v1, 10, 0x2000
	v_lshlrev_b32_e32 v0, 7, v0
	v_and_b32_e32 v2, 0x8000, v2
	v_and_b32_e32 v1, 0xfc00, v1
	v_or3_b32 v12, v2, v1, v0
.LBB327_17:                             ;   in Loop: Header=BB327_11 Depth=1
	s_or_b32 exec_lo, exec_lo, s23
.LBB327_18:                             ;   in Loop: Header=BB327_11 Depth=1
	s_or_b32 exec_lo, exec_lo, s22
.LBB327_19:                             ;   in Loop: Header=BB327_11 Depth=1
	s_or_b32 exec_lo, exec_lo, s21
	v_lshrrev_b16 v7, 8, v30
	v_mov_b32_e32 v110, 0
	v_mov_b32_e32 v52, 0
	s_mov_b32 s21, exec_lo
	v_cmpx_ne_u16_e32 0, v7
	s_cbranch_execz .LBB327_27
; %bb.20:                               ;   in Loop: Header=BB327_11 Depth=1
	v_bfrev_b32_e32 v52, 1
	s_mov_b32 s22, exec_lo
	v_cmpx_ne_u16_e32 0x80, v7
	s_cbranch_execz .LBB327_26
; %bb.21:                               ;   in Loop: Header=BB327_11 Depth=1
	v_mov_b32_e32 v0, 0x7f
	v_mov_b32_e32 v52, 0x7c010000
	s_mov_b32 s23, exec_lo
	v_and_b32_sdwa v2, v7, v0 dst_sel:DWORD dst_unused:UNUSED_PAD src0_sel:WORD_0 src1_sel:DWORD
	v_cmpx_ne_u32_e32 0x7f, v2
	s_cbranch_execz .LBB327_25
; %bb.22:                               ;   in Loop: Header=BB327_11 Depth=1
	v_mov_b32_e32 v0, 7
	v_lshrrev_b32_e32 v1, 3, v2
	s_mov_b32 s24, exec_lo
	v_and_b32_sdwa v0, v7, v0 dst_sel:DWORD dst_unused:UNUSED_PAD src0_sel:WORD_0 src1_sel:DWORD
	v_cmpx_gt_u32_e32 8, v2
; %bb.23:                               ;   in Loop: Header=BB327_11 Depth=1
	v_ffbh_u32_e32 v0, v0
	v_min_u32_e32 v2, 32, v0
	v_subrev_nc_u32_e32 v0, 28, v2
	v_lshlrev_b64 v[0:1], v0, v[7:8]
	v_sub_nc_u32_e32 v1, 29, v2
	v_and_b32_e32 v0, 7, v0
; %bb.24:                               ;   in Loop: Header=BB327_11 Depth=1
	s_or_b32 exec_lo, exec_lo, s24
	v_mov_b32_e32 v2, 8
	v_lshl_add_u32 v1, v1, 10, 0x2000
	v_lshlrev_b32_e32 v0, 23, v0
	v_lshlrev_b32_sdwa v2, v2, v7 dst_sel:DWORD dst_unused:UNUSED_PAD src0_sel:DWORD src1_sel:WORD_0
	v_and_or_b32 v1, 0x8000, v2, v1
	v_lshl_or_b32 v52, v1, 16, v0
.LBB327_25:                             ;   in Loop: Header=BB327_11 Depth=1
	s_or_b32 exec_lo, exec_lo, s23
.LBB327_26:                             ;   in Loop: Header=BB327_11 Depth=1
	s_or_b32 exec_lo, exec_lo, s22
.LBB327_27:                             ;   in Loop: Header=BB327_11 Depth=1
	s_or_b32 exec_lo, exec_lo, s21
	v_lshrrev_b32_e32 v7, 16, v30
	v_cmp_ne_u16_sdwa s5, v7, v8 src0_sel:BYTE_0 src1_sel:DWORD
	s_and_saveexec_b32 s21, s5
	s_cbranch_execz .LBB327_35
; %bb.28:                               ;   in Loop: Header=BB327_11 Depth=1
	v_cmp_ne_u16_sdwa s5, v7, v101 src0_sel:BYTE_0 src1_sel:DWORD
	v_mov_b32_e32 v110, 0x8000
	s_and_saveexec_b32 s22, s5
	s_cbranch_execz .LBB327_34
; %bb.29:                               ;   in Loop: Header=BB327_11 Depth=1
	v_bfe_u32 v2, v30, 16, 7
	v_mov_b32_e32 v110, 0x7c01
	s_mov_b32 s23, exec_lo
	v_cmpx_ne_u32_e32 0x7f, v2
	s_cbranch_execz .LBB327_33
; %bb.30:                               ;   in Loop: Header=BB327_11 Depth=1
	v_and_b32_e32 v0, 7, v7
	v_lshrrev_b32_e32 v1, 3, v2
	s_mov_b32 s24, exec_lo
	v_cmpx_gt_u32_e32 8, v2
; %bb.31:                               ;   in Loop: Header=BB327_11 Depth=1
	v_ffbh_u32_e32 v0, v0
	v_min_u32_e32 v2, 32, v0
	v_subrev_nc_u32_e32 v0, 28, v2
	v_lshlrev_b64 v[0:1], v0, v[7:8]
	v_sub_nc_u32_e32 v1, 29, v2
	v_and_b32_e32 v0, 7, v0
; %bb.32:                               ;   in Loop: Header=BB327_11 Depth=1
	s_or_b32 exec_lo, exec_lo, s24
	v_lshlrev_b32_e32 v2, 8, v7
	v_lshl_add_u32 v1, v1, 10, 0x2000
	v_lshlrev_b32_e32 v0, 7, v0
	v_and_b32_e32 v2, 0x8000, v2
	v_and_b32_e32 v1, 0xfc00, v1
	v_or3_b32 v110, v2, v1, v0
.LBB327_33:                             ;   in Loop: Header=BB327_11 Depth=1
	s_or_b32 exec_lo, exec_lo, s23
.LBB327_34:                             ;   in Loop: Header=BB327_11 Depth=1
	s_or_b32 exec_lo, exec_lo, s22
.LBB327_35:                             ;   in Loop: Header=BB327_11 Depth=1
	s_or_b32 exec_lo, exec_lo, s21
	v_mov_b32_e32 v117, 0
	v_mov_b32_e32 v80, 0
	s_mov_b32 s21, exec_lo
	v_cmpx_lt_u32_e32 0xffffff, v30
	s_cbranch_execz .LBB327_43
; %bb.36:                               ;   in Loop: Header=BB327_11 Depth=1
	v_lshrrev_b32_e32 v7, 24, v30
	v_bfrev_b32_e32 v80, 1
	s_mov_b32 s22, exec_lo
	v_cmpx_ne_u32_e32 0x80, v7
	s_cbranch_execz .LBB327_42
; %bb.37:                               ;   in Loop: Header=BB327_11 Depth=1
	v_and_b32_e32 v2, 0x7f, v7
	v_mov_b32_e32 v80, 0x7c010000
	s_mov_b32 s23, exec_lo
	v_cmpx_ne_u32_e32 0x7f, v2
	s_cbranch_execz .LBB327_41
; %bb.38:                               ;   in Loop: Header=BB327_11 Depth=1
	v_and_b32_e32 v0, 7, v7
	v_lshrrev_b32_e32 v1, 3, v2
	s_mov_b32 s24, exec_lo
	v_cmpx_gt_u32_e32 8, v2
; %bb.39:                               ;   in Loop: Header=BB327_11 Depth=1
	v_ffbh_u32_e32 v0, v0
	v_min_u32_e32 v2, 32, v0
	v_subrev_nc_u32_e32 v0, 28, v2
	v_lshlrev_b64 v[0:1], v0, v[7:8]
	v_sub_nc_u32_e32 v1, 29, v2
	v_and_b32_e32 v0, 7, v0
; %bb.40:                               ;   in Loop: Header=BB327_11 Depth=1
	s_or_b32 exec_lo, exec_lo, s24
	v_lshlrev_b32_e32 v2, 8, v7
	v_lshl_add_u32 v1, v1, 10, 0x2000
	v_lshlrev_b32_e32 v0, 23, v0
	v_and_or_b32 v1, 0x8000, v2, v1
	v_lshl_or_b32 v80, v1, 16, v0
.LBB327_41:                             ;   in Loop: Header=BB327_11 Depth=1
	s_or_b32 exec_lo, exec_lo, s23
.LBB327_42:                             ;   in Loop: Header=BB327_11 Depth=1
	s_or_b32 exec_lo, exec_lo, s22
.LBB327_43:                             ;   in Loop: Header=BB327_11 Depth=1
	s_or_b32 exec_lo, exec_lo, s21
	v_mov_b32_e32 v7, v31
	v_cmp_ne_u16_sdwa s5, v31, v8 src0_sel:BYTE_0 src1_sel:DWORD
	s_and_saveexec_b32 s21, s5
	s_cbranch_execz .LBB327_51
; %bb.44:                               ;   in Loop: Header=BB327_11 Depth=1
	v_cmp_ne_u16_sdwa s5, v31, v101 src0_sel:BYTE_0 src1_sel:DWORD
	v_mov_b32_e32 v117, 0x8000
	s_and_saveexec_b32 s22, s5
	s_cbranch_execz .LBB327_50
; %bb.45:                               ;   in Loop: Header=BB327_11 Depth=1
	v_and_b32_e32 v2, 0x7f, v31
	v_mov_b32_e32 v117, 0x7c01
	s_mov_b32 s23, exec_lo
	v_cmpx_ne_u32_e32 0x7f, v2
	s_cbranch_execz .LBB327_49
; %bb.46:                               ;   in Loop: Header=BB327_11 Depth=1
	v_and_b32_e32 v0, 7, v31
	v_lshrrev_b32_e32 v1, 3, v2
	s_mov_b32 s24, exec_lo
	v_cmpx_gt_u32_e32 8, v2
; %bb.47:                               ;   in Loop: Header=BB327_11 Depth=1
	v_ffbh_u32_e32 v0, v0
	v_min_u32_e32 v2, 32, v0
	v_subrev_nc_u32_e32 v0, 28, v2
	v_lshlrev_b64 v[0:1], v0, v[7:8]
	v_sub_nc_u32_e32 v1, 29, v2
	v_and_b32_e32 v0, 7, v0
; %bb.48:                               ;   in Loop: Header=BB327_11 Depth=1
	s_or_b32 exec_lo, exec_lo, s24
	v_lshlrev_b32_e32 v2, 8, v31
	v_lshl_add_u32 v1, v1, 10, 0x2000
	v_lshlrev_b32_e32 v0, 7, v0
	v_and_b32_e32 v2, 0x8000, v2
	v_and_b32_e32 v1, 0xfc00, v1
	v_or3_b32 v117, v2, v1, v0
.LBB327_49:                             ;   in Loop: Header=BB327_11 Depth=1
	s_or_b32 exec_lo, exec_lo, s23
.LBB327_50:                             ;   in Loop: Header=BB327_11 Depth=1
	s_or_b32 exec_lo, exec_lo, s22
.LBB327_51:                             ;   in Loop: Header=BB327_11 Depth=1
	s_or_b32 exec_lo, exec_lo, s21
	v_lshrrev_b16 v7, 8, v7
	v_mov_b32_e32 v98, 0
	v_mov_b32_e32 v97, 0
	s_mov_b32 s21, exec_lo
	v_cmpx_ne_u16_e32 0, v7
	s_cbranch_execz .LBB327_59
; %bb.52:                               ;   in Loop: Header=BB327_11 Depth=1
	v_bfrev_b32_e32 v97, 1
	s_mov_b32 s22, exec_lo
	v_cmpx_ne_u16_e32 0x80, v7
	s_cbranch_execz .LBB327_58
; %bb.53:                               ;   in Loop: Header=BB327_11 Depth=1
	v_mov_b32_e32 v0, 0x7f
	v_mov_b32_e32 v97, 0x7c010000
	s_mov_b32 s23, exec_lo
	v_and_b32_sdwa v2, v7, v0 dst_sel:DWORD dst_unused:UNUSED_PAD src0_sel:WORD_0 src1_sel:DWORD
	v_cmpx_ne_u32_e32 0x7f, v2
	s_cbranch_execz .LBB327_57
; %bb.54:                               ;   in Loop: Header=BB327_11 Depth=1
	v_mov_b32_e32 v0, 7
	v_lshrrev_b32_e32 v1, 3, v2
	s_mov_b32 s24, exec_lo
	v_and_b32_sdwa v0, v7, v0 dst_sel:DWORD dst_unused:UNUSED_PAD src0_sel:WORD_0 src1_sel:DWORD
	v_cmpx_gt_u32_e32 8, v2
; %bb.55:                               ;   in Loop: Header=BB327_11 Depth=1
	v_ffbh_u32_e32 v0, v0
	v_min_u32_e32 v2, 32, v0
	v_subrev_nc_u32_e32 v0, 28, v2
	v_lshlrev_b64 v[0:1], v0, v[7:8]
	v_sub_nc_u32_e32 v1, 29, v2
	v_and_b32_e32 v0, 7, v0
; %bb.56:                               ;   in Loop: Header=BB327_11 Depth=1
	s_or_b32 exec_lo, exec_lo, s24
	v_mov_b32_e32 v2, 8
	v_lshl_add_u32 v1, v1, 10, 0x2000
	v_lshlrev_b32_e32 v0, 23, v0
	v_lshlrev_b32_sdwa v2, v2, v7 dst_sel:DWORD dst_unused:UNUSED_PAD src0_sel:DWORD src1_sel:WORD_0
	v_and_or_b32 v1, 0x8000, v2, v1
	v_lshl_or_b32 v97, v1, 16, v0
.LBB327_57:                             ;   in Loop: Header=BB327_11 Depth=1
	s_or_b32 exec_lo, exec_lo, s23
.LBB327_58:                             ;   in Loop: Header=BB327_11 Depth=1
	s_or_b32 exec_lo, exec_lo, s22
.LBB327_59:                             ;   in Loop: Header=BB327_11 Depth=1
	s_or_b32 exec_lo, exec_lo, s21
	v_lshrrev_b32_e32 v7, 16, v31
	v_cmp_ne_u16_sdwa s5, v7, v8 src0_sel:BYTE_0 src1_sel:DWORD
	s_and_saveexec_b32 s21, s5
	s_cbranch_execz .LBB327_67
; %bb.60:                               ;   in Loop: Header=BB327_11 Depth=1
	v_cmp_ne_u16_sdwa s5, v7, v101 src0_sel:BYTE_0 src1_sel:DWORD
	v_mov_b32_e32 v98, 0x8000
	s_and_saveexec_b32 s22, s5
	s_cbranch_execz .LBB327_66
; %bb.61:                               ;   in Loop: Header=BB327_11 Depth=1
	v_bfe_u32 v2, v31, 16, 7
	v_mov_b32_e32 v98, 0x7c01
	s_mov_b32 s23, exec_lo
	v_cmpx_ne_u32_e32 0x7f, v2
	s_cbranch_execz .LBB327_65
; %bb.62:                               ;   in Loop: Header=BB327_11 Depth=1
	v_and_b32_e32 v0, 7, v7
	v_lshrrev_b32_e32 v1, 3, v2
	s_mov_b32 s24, exec_lo
	v_cmpx_gt_u32_e32 8, v2
; %bb.63:                               ;   in Loop: Header=BB327_11 Depth=1
	v_ffbh_u32_e32 v0, v0
	v_min_u32_e32 v2, 32, v0
	v_subrev_nc_u32_e32 v0, 28, v2
	v_lshlrev_b64 v[0:1], v0, v[7:8]
	v_sub_nc_u32_e32 v1, 29, v2
	v_and_b32_e32 v0, 7, v0
; %bb.64:                               ;   in Loop: Header=BB327_11 Depth=1
	s_or_b32 exec_lo, exec_lo, s24
	v_lshlrev_b32_e32 v2, 8, v7
	v_lshl_add_u32 v1, v1, 10, 0x2000
	v_lshlrev_b32_e32 v0, 7, v0
	v_and_b32_e32 v2, 0x8000, v2
	v_and_b32_e32 v1, 0xfc00, v1
	v_or3_b32 v98, v2, v1, v0
.LBB327_65:                             ;   in Loop: Header=BB327_11 Depth=1
	s_or_b32 exec_lo, exec_lo, s23
.LBB327_66:                             ;   in Loop: Header=BB327_11 Depth=1
	s_or_b32 exec_lo, exec_lo, s22
.LBB327_67:                             ;   in Loop: Header=BB327_11 Depth=1
	s_or_b32 exec_lo, exec_lo, s21
	v_mov_b32_e32 v27, 0
	v_mov_b32_e32 v0, 0
	s_mov_b32 s21, exec_lo
	buffer_store_dword v0, off, s[0:3], s32 offset:476 ; 4-byte Folded Spill
	v_cmpx_lt_u64_e64 s[6:7], v[30:31]
	s_cbranch_execz .LBB327_75
; %bb.68:                               ;   in Loop: Header=BB327_11 Depth=1
	v_lshrrev_b32_e32 v7, 24, v31
	v_bfrev_b32_e32 v0, 1
	s_mov_b32 s22, exec_lo
	v_cmpx_ne_u32_e32 0x80, v7
	s_cbranch_execz .LBB327_74
; %bb.69:                               ;   in Loop: Header=BB327_11 Depth=1
	v_and_b32_e32 v2, 0x7f, v7
	v_mov_b32_e32 v0, 0x7c010000
	s_mov_b32 s23, exec_lo
	v_cmpx_ne_u32_e32 0x7f, v2
	s_cbranch_execz .LBB327_73
; %bb.70:                               ;   in Loop: Header=BB327_11 Depth=1
	v_and_b32_e32 v0, 7, v7
	v_lshrrev_b32_e32 v1, 3, v2
	s_mov_b32 s24, exec_lo
	v_cmpx_gt_u32_e32 8, v2
; %bb.71:                               ;   in Loop: Header=BB327_11 Depth=1
	v_ffbh_u32_e32 v0, v0
	v_min_u32_e32 v2, 32, v0
	v_subrev_nc_u32_e32 v0, 28, v2
	v_lshlrev_b64 v[0:1], v0, v[7:8]
	v_sub_nc_u32_e32 v1, 29, v2
	v_and_b32_e32 v0, 7, v0
; %bb.72:                               ;   in Loop: Header=BB327_11 Depth=1
	s_or_b32 exec_lo, exec_lo, s24
	v_lshlrev_b32_e32 v2, 8, v7
	v_lshl_add_u32 v1, v1, 10, 0x2000
	v_lshlrev_b32_e32 v0, 23, v0
	v_and_or_b32 v1, 0x8000, v2, v1
	v_lshl_or_b32 v0, v1, 16, v0
.LBB327_73:                             ;   in Loop: Header=BB327_11 Depth=1
	s_or_b32 exec_lo, exec_lo, s23
.LBB327_74:                             ;   in Loop: Header=BB327_11 Depth=1
	s_or_b32 exec_lo, exec_lo, s22
	buffer_store_dword v0, off, s[0:3], s32 offset:476 ; 4-byte Folded Spill
.LBB327_75:                             ;   in Loop: Header=BB327_11 Depth=1
	s_or_b32 exec_lo, exec_lo, s21
	flat_load_dwordx2 v[30:31], v[28:29] offset:8
	s_waitcnt vmcnt(0) lgkmcnt(0)
	v_cmp_ne_u16_sdwa s5, v30, v8 src0_sel:BYTE_0 src1_sel:DWORD
	s_and_saveexec_b32 s21, s5
	s_cbranch_execz .LBB327_83
; %bb.76:                               ;   in Loop: Header=BB327_11 Depth=1
	v_cmp_ne_u16_sdwa s5, v30, v101 src0_sel:BYTE_0 src1_sel:DWORD
	v_mov_b32_e32 v27, 0x8000
	s_and_saveexec_b32 s22, s5
	s_cbranch_execz .LBB327_82
; %bb.77:                               ;   in Loop: Header=BB327_11 Depth=1
	v_and_b32_e32 v2, 0x7f, v30
	v_mov_b32_e32 v27, 0x7c01
	s_mov_b32 s23, exec_lo
	v_cmpx_ne_u32_e32 0x7f, v2
	s_cbranch_execz .LBB327_81
; %bb.78:                               ;   in Loop: Header=BB327_11 Depth=1
	v_and_b32_e32 v0, 7, v30
	v_lshrrev_b32_e32 v1, 3, v2
	s_mov_b32 s24, exec_lo
	v_cmpx_gt_u32_e32 8, v2
; %bb.79:                               ;   in Loop: Header=BB327_11 Depth=1
	v_ffbh_u32_e32 v0, v0
	v_min_u32_e32 v2, 32, v0
	v_subrev_nc_u32_e32 v0, 28, v2
	v_lshlrev_b64 v[0:1], v0, v[30:31]
	v_sub_nc_u32_e32 v1, 29, v2
	v_and_b32_e32 v0, 7, v0
; %bb.80:                               ;   in Loop: Header=BB327_11 Depth=1
	s_or_b32 exec_lo, exec_lo, s24
	v_lshlrev_b32_e32 v2, 8, v30
	v_lshl_add_u32 v1, v1, 10, 0x2000
	v_lshlrev_b32_e32 v0, 7, v0
	v_and_b32_e32 v2, 0x8000, v2
	v_and_b32_e32 v1, 0xfc00, v1
	v_or3_b32 v27, v2, v1, v0
.LBB327_81:                             ;   in Loop: Header=BB327_11 Depth=1
	s_or_b32 exec_lo, exec_lo, s23
.LBB327_82:                             ;   in Loop: Header=BB327_11 Depth=1
	s_or_b32 exec_lo, exec_lo, s22
.LBB327_83:                             ;   in Loop: Header=BB327_11 Depth=1
	s_or_b32 exec_lo, exec_lo, s21
	v_lshrrev_b16 v7, 8, v30
	v_mov_b32_e32 v24, 0
	v_mov_b32_e32 v13, 0
	s_mov_b32 s21, exec_lo
	v_cmpx_ne_u16_e32 0, v7
	s_cbranch_execz .LBB327_91
; %bb.84:                               ;   in Loop: Header=BB327_11 Depth=1
	v_bfrev_b32_e32 v13, 1
	s_mov_b32 s22, exec_lo
	v_cmpx_ne_u16_e32 0x80, v7
	s_cbranch_execz .LBB327_90
; %bb.85:                               ;   in Loop: Header=BB327_11 Depth=1
	v_mov_b32_e32 v0, 0x7f
	v_mov_b32_e32 v13, 0x7c010000
	s_mov_b32 s23, exec_lo
	v_and_b32_sdwa v2, v7, v0 dst_sel:DWORD dst_unused:UNUSED_PAD src0_sel:WORD_0 src1_sel:DWORD
	v_cmpx_ne_u32_e32 0x7f, v2
	s_cbranch_execz .LBB327_89
; %bb.86:                               ;   in Loop: Header=BB327_11 Depth=1
	v_mov_b32_e32 v0, 7
	v_lshrrev_b32_e32 v1, 3, v2
	s_mov_b32 s24, exec_lo
	v_and_b32_sdwa v0, v7, v0 dst_sel:DWORD dst_unused:UNUSED_PAD src0_sel:WORD_0 src1_sel:DWORD
	v_cmpx_gt_u32_e32 8, v2
; %bb.87:                               ;   in Loop: Header=BB327_11 Depth=1
	v_ffbh_u32_e32 v0, v0
	v_min_u32_e32 v2, 32, v0
	v_subrev_nc_u32_e32 v0, 28, v2
	v_lshlrev_b64 v[0:1], v0, v[7:8]
	v_sub_nc_u32_e32 v1, 29, v2
	v_and_b32_e32 v0, 7, v0
; %bb.88:                               ;   in Loop: Header=BB327_11 Depth=1
	s_or_b32 exec_lo, exec_lo, s24
	v_mov_b32_e32 v2, 8
	v_lshl_add_u32 v1, v1, 10, 0x2000
	v_lshlrev_b32_e32 v0, 23, v0
	v_lshlrev_b32_sdwa v2, v2, v7 dst_sel:DWORD dst_unused:UNUSED_PAD src0_sel:DWORD src1_sel:WORD_0
	v_and_or_b32 v1, 0x8000, v2, v1
	v_lshl_or_b32 v13, v1, 16, v0
.LBB327_89:                             ;   in Loop: Header=BB327_11 Depth=1
	s_or_b32 exec_lo, exec_lo, s23
.LBB327_90:                             ;   in Loop: Header=BB327_11 Depth=1
	s_or_b32 exec_lo, exec_lo, s22
.LBB327_91:                             ;   in Loop: Header=BB327_11 Depth=1
	s_or_b32 exec_lo, exec_lo, s21
	v_lshrrev_b32_e32 v7, 16, v30
	v_cmp_ne_u16_sdwa s5, v7, v8 src0_sel:BYTE_0 src1_sel:DWORD
	s_and_saveexec_b32 s21, s5
	s_cbranch_execz .LBB327_99
; %bb.92:                               ;   in Loop: Header=BB327_11 Depth=1
	v_cmp_ne_u16_sdwa s5, v7, v101 src0_sel:BYTE_0 src1_sel:DWORD
	v_mov_b32_e32 v24, 0x8000
	s_and_saveexec_b32 s22, s5
	s_cbranch_execz .LBB327_98
; %bb.93:                               ;   in Loop: Header=BB327_11 Depth=1
	v_bfe_u32 v2, v30, 16, 7
	v_mov_b32_e32 v24, 0x7c01
	s_mov_b32 s23, exec_lo
	v_cmpx_ne_u32_e32 0x7f, v2
	s_cbranch_execz .LBB327_97
; %bb.94:                               ;   in Loop: Header=BB327_11 Depth=1
	v_and_b32_e32 v0, 7, v7
	v_lshrrev_b32_e32 v1, 3, v2
	s_mov_b32 s24, exec_lo
	v_cmpx_gt_u32_e32 8, v2
; %bb.95:                               ;   in Loop: Header=BB327_11 Depth=1
	v_ffbh_u32_e32 v0, v0
	v_min_u32_e32 v2, 32, v0
	v_subrev_nc_u32_e32 v0, 28, v2
	v_lshlrev_b64 v[0:1], v0, v[7:8]
	v_sub_nc_u32_e32 v1, 29, v2
	v_and_b32_e32 v0, 7, v0
; %bb.96:                               ;   in Loop: Header=BB327_11 Depth=1
	s_or_b32 exec_lo, exec_lo, s24
	v_lshlrev_b32_e32 v2, 8, v7
	v_lshl_add_u32 v1, v1, 10, 0x2000
	v_lshlrev_b32_e32 v0, 7, v0
	v_and_b32_e32 v2, 0x8000, v2
	v_and_b32_e32 v1, 0xfc00, v1
	v_or3_b32 v24, v2, v1, v0
.LBB327_97:                             ;   in Loop: Header=BB327_11 Depth=1
	s_or_b32 exec_lo, exec_lo, s23
.LBB327_98:                             ;   in Loop: Header=BB327_11 Depth=1
	s_or_b32 exec_lo, exec_lo, s22
.LBB327_99:                             ;   in Loop: Header=BB327_11 Depth=1
	s_or_b32 exec_lo, exec_lo, s21
	v_mov_b32_e32 v53, 0
	v_mov_b32_e32 v66, 0
	s_mov_b32 s21, exec_lo
	v_cmpx_lt_u32_e32 0xffffff, v30
	s_cbranch_execz .LBB327_107
; %bb.100:                              ;   in Loop: Header=BB327_11 Depth=1
	v_lshrrev_b32_e32 v7, 24, v30
	v_bfrev_b32_e32 v66, 1
	s_mov_b32 s22, exec_lo
	v_cmpx_ne_u32_e32 0x80, v7
	s_cbranch_execz .LBB327_106
; %bb.101:                              ;   in Loop: Header=BB327_11 Depth=1
	v_and_b32_e32 v2, 0x7f, v7
	v_mov_b32_e32 v66, 0x7c010000
	s_mov_b32 s23, exec_lo
	v_cmpx_ne_u32_e32 0x7f, v2
	s_cbranch_execz .LBB327_105
; %bb.102:                              ;   in Loop: Header=BB327_11 Depth=1
	v_and_b32_e32 v0, 7, v7
	v_lshrrev_b32_e32 v1, 3, v2
	s_mov_b32 s24, exec_lo
	v_cmpx_gt_u32_e32 8, v2
; %bb.103:                              ;   in Loop: Header=BB327_11 Depth=1
	v_ffbh_u32_e32 v0, v0
	v_min_u32_e32 v2, 32, v0
	v_subrev_nc_u32_e32 v0, 28, v2
	v_lshlrev_b64 v[0:1], v0, v[7:8]
	v_sub_nc_u32_e32 v1, 29, v2
	v_and_b32_e32 v0, 7, v0
; %bb.104:                              ;   in Loop: Header=BB327_11 Depth=1
	s_or_b32 exec_lo, exec_lo, s24
	v_lshlrev_b32_e32 v2, 8, v7
	v_lshl_add_u32 v1, v1, 10, 0x2000
	v_lshlrev_b32_e32 v0, 23, v0
	v_and_or_b32 v1, 0x8000, v2, v1
	v_lshl_or_b32 v66, v1, 16, v0
.LBB327_105:                            ;   in Loop: Header=BB327_11 Depth=1
	s_or_b32 exec_lo, exec_lo, s23
.LBB327_106:                            ;   in Loop: Header=BB327_11 Depth=1
	s_or_b32 exec_lo, exec_lo, s22
.LBB327_107:                            ;   in Loop: Header=BB327_11 Depth=1
	s_or_b32 exec_lo, exec_lo, s21
	v_mov_b32_e32 v7, v31
	v_cmp_ne_u16_sdwa s5, v31, v8 src0_sel:BYTE_0 src1_sel:DWORD
	s_and_saveexec_b32 s21, s5
	s_cbranch_execz .LBB327_115
; %bb.108:                              ;   in Loop: Header=BB327_11 Depth=1
	v_cmp_ne_u16_sdwa s5, v31, v101 src0_sel:BYTE_0 src1_sel:DWORD
	v_mov_b32_e32 v53, 0x8000
	s_and_saveexec_b32 s22, s5
	s_cbranch_execz .LBB327_114
; %bb.109:                              ;   in Loop: Header=BB327_11 Depth=1
	v_and_b32_e32 v2, 0x7f, v31
	v_mov_b32_e32 v53, 0x7c01
	s_mov_b32 s23, exec_lo
	v_cmpx_ne_u32_e32 0x7f, v2
	s_cbranch_execz .LBB327_113
; %bb.110:                              ;   in Loop: Header=BB327_11 Depth=1
	v_and_b32_e32 v0, 7, v31
	v_lshrrev_b32_e32 v1, 3, v2
	s_mov_b32 s24, exec_lo
	v_cmpx_gt_u32_e32 8, v2
; %bb.111:                              ;   in Loop: Header=BB327_11 Depth=1
	v_ffbh_u32_e32 v0, v0
	v_min_u32_e32 v2, 32, v0
	v_subrev_nc_u32_e32 v0, 28, v2
	v_lshlrev_b64 v[0:1], v0, v[7:8]
	v_sub_nc_u32_e32 v1, 29, v2
	v_and_b32_e32 v0, 7, v0
; %bb.112:                              ;   in Loop: Header=BB327_11 Depth=1
	s_or_b32 exec_lo, exec_lo, s24
	v_lshlrev_b32_e32 v2, 8, v31
	v_lshl_add_u32 v1, v1, 10, 0x2000
	v_lshlrev_b32_e32 v0, 7, v0
	v_and_b32_e32 v2, 0x8000, v2
	v_and_b32_e32 v1, 0xfc00, v1
	v_or3_b32 v53, v2, v1, v0
.LBB327_113:                            ;   in Loop: Header=BB327_11 Depth=1
	s_or_b32 exec_lo, exec_lo, s23
.LBB327_114:                            ;   in Loop: Header=BB327_11 Depth=1
	s_or_b32 exec_lo, exec_lo, s22
.LBB327_115:                            ;   in Loop: Header=BB327_11 Depth=1
	s_or_b32 exec_lo, exec_lo, s21
	v_mov_b32_e32 v0, 0
	v_lshrrev_b16 v7, 8, v7
	s_mov_b32 s21, exec_lo
	buffer_store_dword v0, off, s[0:3], s32 offset:192 ; 4-byte Folded Spill
	v_mov_b32_e32 v0, 0
	buffer_store_dword v0, off, s[0:3], s32 offset:196 ; 4-byte Folded Spill
	v_cmpx_ne_u16_e32 0, v7
	s_cbranch_execz .LBB327_123
; %bb.116:                              ;   in Loop: Header=BB327_11 Depth=1
	v_bfrev_b32_e32 v0, 1
	s_mov_b32 s22, exec_lo
	buffer_store_dword v0, off, s[0:3], s32 offset:196 ; 4-byte Folded Spill
	v_cmpx_ne_u16_e32 0x80, v7
	s_cbranch_execz .LBB327_122
; %bb.117:                              ;   in Loop: Header=BB327_11 Depth=1
	v_mov_b32_e32 v0, 0x7f
	s_mov_b32 s23, exec_lo
	v_and_b32_sdwa v2, v7, v0 dst_sel:DWORD dst_unused:UNUSED_PAD src0_sel:WORD_0 src1_sel:DWORD
	v_mov_b32_e32 v0, 0x7c010000
	buffer_store_dword v0, off, s[0:3], s32 offset:196 ; 4-byte Folded Spill
	v_cmpx_ne_u32_e32 0x7f, v2
	s_cbranch_execz .LBB327_121
; %bb.118:                              ;   in Loop: Header=BB327_11 Depth=1
	v_mov_b32_e32 v0, 7
	v_lshrrev_b32_e32 v1, 3, v2
	s_mov_b32 s24, exec_lo
	v_and_b32_sdwa v0, v7, v0 dst_sel:DWORD dst_unused:UNUSED_PAD src0_sel:WORD_0 src1_sel:DWORD
	v_cmpx_gt_u32_e32 8, v2
; %bb.119:                              ;   in Loop: Header=BB327_11 Depth=1
	v_ffbh_u32_e32 v0, v0
	v_min_u32_e32 v2, 32, v0
	v_subrev_nc_u32_e32 v0, 28, v2
	v_lshlrev_b64 v[0:1], v0, v[7:8]
	v_sub_nc_u32_e32 v1, 29, v2
	v_and_b32_e32 v0, 7, v0
; %bb.120:                              ;   in Loop: Header=BB327_11 Depth=1
	s_or_b32 exec_lo, exec_lo, s24
	v_mov_b32_e32 v2, 8
	v_lshl_add_u32 v1, v1, 10, 0x2000
	v_lshlrev_b32_e32 v0, 23, v0
	v_lshlrev_b32_sdwa v2, v2, v7 dst_sel:DWORD dst_unused:UNUSED_PAD src0_sel:DWORD src1_sel:WORD_0
	v_and_or_b32 v1, 0x8000, v2, v1
	v_lshl_or_b32 v0, v1, 16, v0
	buffer_store_dword v0, off, s[0:3], s32 offset:196 ; 4-byte Folded Spill
.LBB327_121:                            ;   in Loop: Header=BB327_11 Depth=1
	s_or_b32 exec_lo, exec_lo, s23
.LBB327_122:                            ;   in Loop: Header=BB327_11 Depth=1
	s_or_b32 exec_lo, exec_lo, s22
.LBB327_123:                            ;   in Loop: Header=BB327_11 Depth=1
	s_or_b32 exec_lo, exec_lo, s21
	v_lshrrev_b32_e32 v7, 16, v31
	v_cmp_ne_u16_sdwa s5, v7, v8 src0_sel:BYTE_0 src1_sel:DWORD
	s_and_saveexec_b32 s21, s5
	s_cbranch_execz .LBB327_131
; %bb.124:                              ;   in Loop: Header=BB327_11 Depth=1
	v_cmp_ne_u16_sdwa s5, v7, v101 src0_sel:BYTE_0 src1_sel:DWORD
	v_mov_b32_e32 v0, 0x8000
	buffer_store_dword v0, off, s[0:3], s32 offset:192 ; 4-byte Folded Spill
	s_and_saveexec_b32 s22, s5
	s_cbranch_execz .LBB327_130
; %bb.125:                              ;   in Loop: Header=BB327_11 Depth=1
	v_bfe_u32 v2, v31, 16, 7
	v_mov_b32_e32 v0, 0x7c01
	s_mov_b32 s23, exec_lo
	buffer_store_dword v0, off, s[0:3], s32 offset:192 ; 4-byte Folded Spill
	v_cmpx_ne_u32_e32 0x7f, v2
	s_cbranch_execz .LBB327_129
; %bb.126:                              ;   in Loop: Header=BB327_11 Depth=1
	v_and_b32_e32 v0, 7, v7
	v_lshrrev_b32_e32 v1, 3, v2
	s_mov_b32 s24, exec_lo
	v_cmpx_gt_u32_e32 8, v2
; %bb.127:                              ;   in Loop: Header=BB327_11 Depth=1
	v_ffbh_u32_e32 v0, v0
	v_min_u32_e32 v2, 32, v0
	v_subrev_nc_u32_e32 v0, 28, v2
	v_lshlrev_b64 v[0:1], v0, v[7:8]
	v_sub_nc_u32_e32 v1, 29, v2
	v_and_b32_e32 v0, 7, v0
; %bb.128:                              ;   in Loop: Header=BB327_11 Depth=1
	s_or_b32 exec_lo, exec_lo, s24
	v_lshlrev_b32_e32 v2, 8, v7
	v_lshl_add_u32 v1, v1, 10, 0x2000
	v_lshlrev_b32_e32 v0, 7, v0
	v_and_b32_e32 v2, 0x8000, v2
	v_and_b32_e32 v1, 0xfc00, v1
	v_or3_b32 v0, v2, v1, v0
	buffer_store_dword v0, off, s[0:3], s32 offset:192 ; 4-byte Folded Spill
.LBB327_129:                            ;   in Loop: Header=BB327_11 Depth=1
	s_or_b32 exec_lo, exec_lo, s23
.LBB327_130:                            ;   in Loop: Header=BB327_11 Depth=1
	s_or_b32 exec_lo, exec_lo, s22
.LBB327_131:                            ;   in Loop: Header=BB327_11 Depth=1
	s_or_b32 exec_lo, exec_lo, s21
	v_mov_b32_e32 v0, 0
	s_mov_b32 s21, exec_lo
	buffer_store_dword v0, off, s[0:3], s32 offset:200 ; 4-byte Folded Spill
	v_mov_b32_e32 v0, 0
	buffer_store_dword v0, off, s[0:3], s32 offset:480 ; 4-byte Folded Spill
	v_cmpx_lt_u64_e64 s[6:7], v[30:31]
	s_cbranch_execz .LBB327_139
; %bb.132:                              ;   in Loop: Header=BB327_11 Depth=1
	v_lshrrev_b32_e32 v7, 24, v31
	v_bfrev_b32_e32 v0, 1
	s_mov_b32 s22, exec_lo
	v_cmpx_ne_u32_e32 0x80, v7
	s_cbranch_execz .LBB327_138
; %bb.133:                              ;   in Loop: Header=BB327_11 Depth=1
	v_and_b32_e32 v2, 0x7f, v7
	v_mov_b32_e32 v0, 0x7c010000
	s_mov_b32 s23, exec_lo
	v_cmpx_ne_u32_e32 0x7f, v2
	s_cbranch_execz .LBB327_137
; %bb.134:                              ;   in Loop: Header=BB327_11 Depth=1
	v_and_b32_e32 v0, 7, v7
	v_lshrrev_b32_e32 v1, 3, v2
	s_mov_b32 s24, exec_lo
	v_cmpx_gt_u32_e32 8, v2
; %bb.135:                              ;   in Loop: Header=BB327_11 Depth=1
	v_ffbh_u32_e32 v0, v0
	v_min_u32_e32 v2, 32, v0
	v_subrev_nc_u32_e32 v0, 28, v2
	v_lshlrev_b64 v[0:1], v0, v[7:8]
	v_sub_nc_u32_e32 v1, 29, v2
	v_and_b32_e32 v0, 7, v0
; %bb.136:                              ;   in Loop: Header=BB327_11 Depth=1
	s_or_b32 exec_lo, exec_lo, s24
	v_lshlrev_b32_e32 v2, 8, v7
	v_lshl_add_u32 v1, v1, 10, 0x2000
	v_lshlrev_b32_e32 v0, 23, v0
	v_and_or_b32 v1, 0x8000, v2, v1
	v_lshl_or_b32 v0, v1, 16, v0
.LBB327_137:                            ;   in Loop: Header=BB327_11 Depth=1
	s_or_b32 exec_lo, exec_lo, s23
.LBB327_138:                            ;   in Loop: Header=BB327_11 Depth=1
	s_or_b32 exec_lo, exec_lo, s22
	buffer_store_dword v0, off, s[0:3], s32 offset:480 ; 4-byte Folded Spill
.LBB327_139:                            ;   in Loop: Header=BB327_11 Depth=1
	s_or_b32 exec_lo, exec_lo, s21
	flat_load_dwordx2 v[30:31], v[28:29] offset:512
	s_waitcnt vmcnt(0) lgkmcnt(0)
	v_cmp_ne_u16_sdwa s5, v30, v8 src0_sel:BYTE_0 src1_sel:DWORD
	s_and_saveexec_b32 s21, s5
	s_cbranch_execz .LBB327_147
; %bb.140:                              ;   in Loop: Header=BB327_11 Depth=1
	v_cmp_ne_u16_sdwa s5, v30, v101 src0_sel:BYTE_0 src1_sel:DWORD
	v_mov_b32_e32 v0, 0x8000
	buffer_store_dword v0, off, s[0:3], s32 offset:200 ; 4-byte Folded Spill
	s_and_saveexec_b32 s22, s5
	s_cbranch_execz .LBB327_146
; %bb.141:                              ;   in Loop: Header=BB327_11 Depth=1
	v_and_b32_e32 v2, 0x7f, v30
	v_mov_b32_e32 v0, 0x7c01
	s_mov_b32 s23, exec_lo
	buffer_store_dword v0, off, s[0:3], s32 offset:200 ; 4-byte Folded Spill
	v_cmpx_ne_u32_e32 0x7f, v2
	s_cbranch_execz .LBB327_145
; %bb.142:                              ;   in Loop: Header=BB327_11 Depth=1
	v_and_b32_e32 v0, 7, v30
	v_lshrrev_b32_e32 v1, 3, v2
	s_mov_b32 s24, exec_lo
	v_cmpx_gt_u32_e32 8, v2
; %bb.143:                              ;   in Loop: Header=BB327_11 Depth=1
	v_ffbh_u32_e32 v0, v0
	v_min_u32_e32 v2, 32, v0
	v_subrev_nc_u32_e32 v0, 28, v2
	v_lshlrev_b64 v[0:1], v0, v[30:31]
	v_sub_nc_u32_e32 v1, 29, v2
	v_and_b32_e32 v0, 7, v0
; %bb.144:                              ;   in Loop: Header=BB327_11 Depth=1
	s_or_b32 exec_lo, exec_lo, s24
	v_lshlrev_b32_e32 v2, 8, v30
	v_lshl_add_u32 v1, v1, 10, 0x2000
	v_lshlrev_b32_e32 v0, 7, v0
	v_and_b32_e32 v2, 0x8000, v2
	v_and_b32_e32 v1, 0xfc00, v1
	v_or3_b32 v0, v2, v1, v0
	buffer_store_dword v0, off, s[0:3], s32 offset:200 ; 4-byte Folded Spill
.LBB327_145:                            ;   in Loop: Header=BB327_11 Depth=1
	s_or_b32 exec_lo, exec_lo, s23
.LBB327_146:                            ;   in Loop: Header=BB327_11 Depth=1
	s_or_b32 exec_lo, exec_lo, s22
.LBB327_147:                            ;   in Loop: Header=BB327_11 Depth=1
	s_or_b32 exec_lo, exec_lo, s21
	v_mov_b32_e32 v0, 0
	v_lshrrev_b16 v7, 8, v30
	s_mov_b32 s21, exec_lo
	buffer_store_dword v0, off, s[0:3], s32 offset:208 ; 4-byte Folded Spill
	v_mov_b32_e32 v0, 0
	buffer_store_dword v0, off, s[0:3], s32 offset:204 ; 4-byte Folded Spill
	v_cmpx_ne_u16_e32 0, v7
	s_cbranch_execz .LBB327_155
; %bb.148:                              ;   in Loop: Header=BB327_11 Depth=1
	v_bfrev_b32_e32 v0, 1
	s_mov_b32 s22, exec_lo
	buffer_store_dword v0, off, s[0:3], s32 offset:204 ; 4-byte Folded Spill
	v_cmpx_ne_u16_e32 0x80, v7
	s_cbranch_execz .LBB327_154
; %bb.149:                              ;   in Loop: Header=BB327_11 Depth=1
	v_mov_b32_e32 v0, 0x7f
	s_mov_b32 s23, exec_lo
	v_and_b32_sdwa v2, v7, v0 dst_sel:DWORD dst_unused:UNUSED_PAD src0_sel:WORD_0 src1_sel:DWORD
	v_mov_b32_e32 v0, 0x7c010000
	buffer_store_dword v0, off, s[0:3], s32 offset:204 ; 4-byte Folded Spill
	v_cmpx_ne_u32_e32 0x7f, v2
	s_cbranch_execz .LBB327_153
; %bb.150:                              ;   in Loop: Header=BB327_11 Depth=1
	v_mov_b32_e32 v0, 7
	v_lshrrev_b32_e32 v1, 3, v2
	s_mov_b32 s24, exec_lo
	v_and_b32_sdwa v0, v7, v0 dst_sel:DWORD dst_unused:UNUSED_PAD src0_sel:WORD_0 src1_sel:DWORD
	v_cmpx_gt_u32_e32 8, v2
; %bb.151:                              ;   in Loop: Header=BB327_11 Depth=1
	v_ffbh_u32_e32 v0, v0
	v_min_u32_e32 v2, 32, v0
	v_subrev_nc_u32_e32 v0, 28, v2
	v_lshlrev_b64 v[0:1], v0, v[7:8]
	v_sub_nc_u32_e32 v1, 29, v2
	v_and_b32_e32 v0, 7, v0
; %bb.152:                              ;   in Loop: Header=BB327_11 Depth=1
	s_or_b32 exec_lo, exec_lo, s24
	v_mov_b32_e32 v2, 8
	v_lshl_add_u32 v1, v1, 10, 0x2000
	v_lshlrev_b32_e32 v0, 23, v0
	v_lshlrev_b32_sdwa v2, v2, v7 dst_sel:DWORD dst_unused:UNUSED_PAD src0_sel:DWORD src1_sel:WORD_0
	v_and_or_b32 v1, 0x8000, v2, v1
	v_lshl_or_b32 v0, v1, 16, v0
	buffer_store_dword v0, off, s[0:3], s32 offset:204 ; 4-byte Folded Spill
.LBB327_153:                            ;   in Loop: Header=BB327_11 Depth=1
	s_or_b32 exec_lo, exec_lo, s23
.LBB327_154:                            ;   in Loop: Header=BB327_11 Depth=1
	s_or_b32 exec_lo, exec_lo, s22
.LBB327_155:                            ;   in Loop: Header=BB327_11 Depth=1
	s_or_b32 exec_lo, exec_lo, s21
	v_lshrrev_b32_e32 v7, 16, v30
	v_cmp_ne_u16_sdwa s5, v7, v8 src0_sel:BYTE_0 src1_sel:DWORD
	s_and_saveexec_b32 s21, s5
	s_cbranch_execz .LBB327_163
; %bb.156:                              ;   in Loop: Header=BB327_11 Depth=1
	v_cmp_ne_u16_sdwa s5, v7, v101 src0_sel:BYTE_0 src1_sel:DWORD
	v_mov_b32_e32 v0, 0x8000
	buffer_store_dword v0, off, s[0:3], s32 offset:208 ; 4-byte Folded Spill
	s_and_saveexec_b32 s22, s5
	s_cbranch_execz .LBB327_162
; %bb.157:                              ;   in Loop: Header=BB327_11 Depth=1
	v_bfe_u32 v2, v30, 16, 7
	v_mov_b32_e32 v0, 0x7c01
	s_mov_b32 s23, exec_lo
	buffer_store_dword v0, off, s[0:3], s32 offset:208 ; 4-byte Folded Spill
	v_cmpx_ne_u32_e32 0x7f, v2
	s_cbranch_execz .LBB327_161
; %bb.158:                              ;   in Loop: Header=BB327_11 Depth=1
	v_and_b32_e32 v0, 7, v7
	v_lshrrev_b32_e32 v1, 3, v2
	s_mov_b32 s24, exec_lo
	v_cmpx_gt_u32_e32 8, v2
; %bb.159:                              ;   in Loop: Header=BB327_11 Depth=1
	v_ffbh_u32_e32 v0, v0
	v_min_u32_e32 v2, 32, v0
	v_subrev_nc_u32_e32 v0, 28, v2
	v_lshlrev_b64 v[0:1], v0, v[7:8]
	v_sub_nc_u32_e32 v1, 29, v2
	v_and_b32_e32 v0, 7, v0
; %bb.160:                              ;   in Loop: Header=BB327_11 Depth=1
	s_or_b32 exec_lo, exec_lo, s24
	v_lshlrev_b32_e32 v2, 8, v7
	v_lshl_add_u32 v1, v1, 10, 0x2000
	v_lshlrev_b32_e32 v0, 7, v0
	v_and_b32_e32 v2, 0x8000, v2
	v_and_b32_e32 v1, 0xfc00, v1
	v_or3_b32 v0, v2, v1, v0
	buffer_store_dword v0, off, s[0:3], s32 offset:208 ; 4-byte Folded Spill
.LBB327_161:                            ;   in Loop: Header=BB327_11 Depth=1
	s_or_b32 exec_lo, exec_lo, s23
.LBB327_162:                            ;   in Loop: Header=BB327_11 Depth=1
	s_or_b32 exec_lo, exec_lo, s22
.LBB327_163:                            ;   in Loop: Header=BB327_11 Depth=1
	s_or_b32 exec_lo, exec_lo, s21
	v_mov_b32_e32 v0, 0
	s_mov_b32 s21, exec_lo
	buffer_store_dword v0, off, s[0:3], s32 offset:212 ; 4-byte Folded Spill
	v_mov_b32_e32 v0, 0
	buffer_store_dword v0, off, s[0:3], s32 offset:216 ; 4-byte Folded Spill
	v_cmpx_lt_u32_e32 0xffffff, v30
	s_cbranch_execz .LBB327_171
; %bb.164:                              ;   in Loop: Header=BB327_11 Depth=1
	v_lshrrev_b32_e32 v7, 24, v30
	v_bfrev_b32_e32 v0, 1
	s_mov_b32 s22, exec_lo
	buffer_store_dword v0, off, s[0:3], s32 offset:216 ; 4-byte Folded Spill
	v_cmpx_ne_u32_e32 0x80, v7
	s_cbranch_execz .LBB327_170
; %bb.165:                              ;   in Loop: Header=BB327_11 Depth=1
	v_and_b32_e32 v2, 0x7f, v7
	v_mov_b32_e32 v0, 0x7c010000
	s_mov_b32 s23, exec_lo
	buffer_store_dword v0, off, s[0:3], s32 offset:216 ; 4-byte Folded Spill
	v_cmpx_ne_u32_e32 0x7f, v2
	s_cbranch_execz .LBB327_169
; %bb.166:                              ;   in Loop: Header=BB327_11 Depth=1
	v_and_b32_e32 v0, 7, v7
	v_lshrrev_b32_e32 v1, 3, v2
	s_mov_b32 s24, exec_lo
	v_cmpx_gt_u32_e32 8, v2
; %bb.167:                              ;   in Loop: Header=BB327_11 Depth=1
	v_ffbh_u32_e32 v0, v0
	v_min_u32_e32 v2, 32, v0
	v_subrev_nc_u32_e32 v0, 28, v2
	v_lshlrev_b64 v[0:1], v0, v[7:8]
	v_sub_nc_u32_e32 v1, 29, v2
	v_and_b32_e32 v0, 7, v0
; %bb.168:                              ;   in Loop: Header=BB327_11 Depth=1
	s_or_b32 exec_lo, exec_lo, s24
	v_lshlrev_b32_e32 v2, 8, v7
	v_lshl_add_u32 v1, v1, 10, 0x2000
	v_lshlrev_b32_e32 v0, 23, v0
	v_and_or_b32 v1, 0x8000, v2, v1
	v_lshl_or_b32 v0, v1, 16, v0
	buffer_store_dword v0, off, s[0:3], s32 offset:216 ; 4-byte Folded Spill
.LBB327_169:                            ;   in Loop: Header=BB327_11 Depth=1
	s_or_b32 exec_lo, exec_lo, s23
.LBB327_170:                            ;   in Loop: Header=BB327_11 Depth=1
	s_or_b32 exec_lo, exec_lo, s22
.LBB327_171:                            ;   in Loop: Header=BB327_11 Depth=1
	s_or_b32 exec_lo, exec_lo, s21
	v_mov_b32_e32 v7, v31
	v_cmp_ne_u16_sdwa s5, v31, v8 src0_sel:BYTE_0 src1_sel:DWORD
	s_and_saveexec_b32 s21, s5
	s_cbranch_execz .LBB327_179
; %bb.172:                              ;   in Loop: Header=BB327_11 Depth=1
	v_cmp_ne_u16_sdwa s5, v31, v101 src0_sel:BYTE_0 src1_sel:DWORD
	v_mov_b32_e32 v0, 0x8000
	buffer_store_dword v0, off, s[0:3], s32 offset:212 ; 4-byte Folded Spill
	s_and_saveexec_b32 s22, s5
	s_cbranch_execz .LBB327_178
; %bb.173:                              ;   in Loop: Header=BB327_11 Depth=1
	v_and_b32_e32 v2, 0x7f, v31
	v_mov_b32_e32 v0, 0x7c01
	s_mov_b32 s23, exec_lo
	buffer_store_dword v0, off, s[0:3], s32 offset:212 ; 4-byte Folded Spill
	v_cmpx_ne_u32_e32 0x7f, v2
	s_cbranch_execz .LBB327_177
; %bb.174:                              ;   in Loop: Header=BB327_11 Depth=1
	v_and_b32_e32 v0, 7, v31
	v_lshrrev_b32_e32 v1, 3, v2
	s_mov_b32 s24, exec_lo
	v_cmpx_gt_u32_e32 8, v2
; %bb.175:                              ;   in Loop: Header=BB327_11 Depth=1
	v_ffbh_u32_e32 v0, v0
	v_min_u32_e32 v2, 32, v0
	v_subrev_nc_u32_e32 v0, 28, v2
	v_lshlrev_b64 v[0:1], v0, v[7:8]
	v_sub_nc_u32_e32 v1, 29, v2
	v_and_b32_e32 v0, 7, v0
; %bb.176:                              ;   in Loop: Header=BB327_11 Depth=1
	s_or_b32 exec_lo, exec_lo, s24
	v_lshlrev_b32_e32 v2, 8, v31
	v_lshl_add_u32 v1, v1, 10, 0x2000
	v_lshlrev_b32_e32 v0, 7, v0
	v_and_b32_e32 v2, 0x8000, v2
	v_and_b32_e32 v1, 0xfc00, v1
	v_or3_b32 v0, v2, v1, v0
	buffer_store_dword v0, off, s[0:3], s32 offset:212 ; 4-byte Folded Spill
.LBB327_177:                            ;   in Loop: Header=BB327_11 Depth=1
	s_or_b32 exec_lo, exec_lo, s23
.LBB327_178:                            ;   in Loop: Header=BB327_11 Depth=1
	s_or_b32 exec_lo, exec_lo, s22
.LBB327_179:                            ;   in Loop: Header=BB327_11 Depth=1
	s_or_b32 exec_lo, exec_lo, s21
	v_mov_b32_e32 v0, 0
	v_lshrrev_b16 v7, 8, v7
	s_mov_b32 s21, exec_lo
	buffer_store_dword v0, off, s[0:3], s32 offset:220 ; 4-byte Folded Spill
	v_mov_b32_e32 v0, 0
	buffer_store_dword v0, off, s[0:3], s32 offset:224 ; 4-byte Folded Spill
	v_cmpx_ne_u16_e32 0, v7
	s_cbranch_execz .LBB327_187
; %bb.180:                              ;   in Loop: Header=BB327_11 Depth=1
	v_bfrev_b32_e32 v0, 1
	s_mov_b32 s22, exec_lo
	buffer_store_dword v0, off, s[0:3], s32 offset:224 ; 4-byte Folded Spill
	v_cmpx_ne_u16_e32 0x80, v7
	s_cbranch_execz .LBB327_186
; %bb.181:                              ;   in Loop: Header=BB327_11 Depth=1
	v_mov_b32_e32 v0, 0x7f
	s_mov_b32 s23, exec_lo
	v_and_b32_sdwa v2, v7, v0 dst_sel:DWORD dst_unused:UNUSED_PAD src0_sel:WORD_0 src1_sel:DWORD
	v_mov_b32_e32 v0, 0x7c010000
	buffer_store_dword v0, off, s[0:3], s32 offset:224 ; 4-byte Folded Spill
	v_cmpx_ne_u32_e32 0x7f, v2
	s_cbranch_execz .LBB327_185
; %bb.182:                              ;   in Loop: Header=BB327_11 Depth=1
	v_mov_b32_e32 v0, 7
	v_lshrrev_b32_e32 v1, 3, v2
	s_mov_b32 s24, exec_lo
	v_and_b32_sdwa v0, v7, v0 dst_sel:DWORD dst_unused:UNUSED_PAD src0_sel:WORD_0 src1_sel:DWORD
	v_cmpx_gt_u32_e32 8, v2
; %bb.183:                              ;   in Loop: Header=BB327_11 Depth=1
	v_ffbh_u32_e32 v0, v0
	v_min_u32_e32 v2, 32, v0
	v_subrev_nc_u32_e32 v0, 28, v2
	v_lshlrev_b64 v[0:1], v0, v[7:8]
	v_sub_nc_u32_e32 v1, 29, v2
	v_and_b32_e32 v0, 7, v0
; %bb.184:                              ;   in Loop: Header=BB327_11 Depth=1
	s_or_b32 exec_lo, exec_lo, s24
	v_mov_b32_e32 v2, 8
	v_lshl_add_u32 v1, v1, 10, 0x2000
	v_lshlrev_b32_e32 v0, 23, v0
	v_lshlrev_b32_sdwa v2, v2, v7 dst_sel:DWORD dst_unused:UNUSED_PAD src0_sel:DWORD src1_sel:WORD_0
	v_and_or_b32 v1, 0x8000, v2, v1
	v_lshl_or_b32 v0, v1, 16, v0
	buffer_store_dword v0, off, s[0:3], s32 offset:224 ; 4-byte Folded Spill
.LBB327_185:                            ;   in Loop: Header=BB327_11 Depth=1
	s_or_b32 exec_lo, exec_lo, s23
.LBB327_186:                            ;   in Loop: Header=BB327_11 Depth=1
	s_or_b32 exec_lo, exec_lo, s22
.LBB327_187:                            ;   in Loop: Header=BB327_11 Depth=1
	s_or_b32 exec_lo, exec_lo, s21
	v_lshrrev_b32_e32 v7, 16, v31
	v_cmp_ne_u16_sdwa s5, v7, v8 src0_sel:BYTE_0 src1_sel:DWORD
	s_and_saveexec_b32 s21, s5
	s_cbranch_execz .LBB327_195
; %bb.188:                              ;   in Loop: Header=BB327_11 Depth=1
	v_cmp_ne_u16_sdwa s5, v7, v101 src0_sel:BYTE_0 src1_sel:DWORD
	v_mov_b32_e32 v0, 0x8000
	buffer_store_dword v0, off, s[0:3], s32 offset:220 ; 4-byte Folded Spill
	s_and_saveexec_b32 s22, s5
	s_cbranch_execz .LBB327_194
; %bb.189:                              ;   in Loop: Header=BB327_11 Depth=1
	v_bfe_u32 v2, v31, 16, 7
	v_mov_b32_e32 v0, 0x7c01
	s_mov_b32 s23, exec_lo
	buffer_store_dword v0, off, s[0:3], s32 offset:220 ; 4-byte Folded Spill
	v_cmpx_ne_u32_e32 0x7f, v2
	s_cbranch_execz .LBB327_193
; %bb.190:                              ;   in Loop: Header=BB327_11 Depth=1
	v_and_b32_e32 v0, 7, v7
	v_lshrrev_b32_e32 v1, 3, v2
	s_mov_b32 s24, exec_lo
	v_cmpx_gt_u32_e32 8, v2
; %bb.191:                              ;   in Loop: Header=BB327_11 Depth=1
	v_ffbh_u32_e32 v0, v0
	v_min_u32_e32 v2, 32, v0
	v_subrev_nc_u32_e32 v0, 28, v2
	v_lshlrev_b64 v[0:1], v0, v[7:8]
	v_sub_nc_u32_e32 v1, 29, v2
	v_and_b32_e32 v0, 7, v0
; %bb.192:                              ;   in Loop: Header=BB327_11 Depth=1
	s_or_b32 exec_lo, exec_lo, s24
	v_lshlrev_b32_e32 v2, 8, v7
	v_lshl_add_u32 v1, v1, 10, 0x2000
	v_lshlrev_b32_e32 v0, 7, v0
	v_and_b32_e32 v2, 0x8000, v2
	v_and_b32_e32 v1, 0xfc00, v1
	v_or3_b32 v0, v2, v1, v0
	buffer_store_dword v0, off, s[0:3], s32 offset:220 ; 4-byte Folded Spill
.LBB327_193:                            ;   in Loop: Header=BB327_11 Depth=1
	s_or_b32 exec_lo, exec_lo, s23
.LBB327_194:                            ;   in Loop: Header=BB327_11 Depth=1
	s_or_b32 exec_lo, exec_lo, s22
.LBB327_195:                            ;   in Loop: Header=BB327_11 Depth=1
	s_or_b32 exec_lo, exec_lo, s21
	v_mov_b32_e32 v0, 0
	s_mov_b32 s21, exec_lo
	buffer_store_dword v0, off, s[0:3], s32 offset:228 ; 4-byte Folded Spill
	v_mov_b32_e32 v0, 0
	buffer_store_dword v0, off, s[0:3], s32 offset:484 ; 4-byte Folded Spill
	v_cmpx_lt_u64_e64 s[6:7], v[30:31]
	s_cbranch_execz .LBB327_203
; %bb.196:                              ;   in Loop: Header=BB327_11 Depth=1
	v_lshrrev_b32_e32 v7, 24, v31
	v_bfrev_b32_e32 v0, 1
	s_mov_b32 s22, exec_lo
	v_cmpx_ne_u32_e32 0x80, v7
	s_cbranch_execz .LBB327_202
; %bb.197:                              ;   in Loop: Header=BB327_11 Depth=1
	v_and_b32_e32 v2, 0x7f, v7
	v_mov_b32_e32 v0, 0x7c010000
	s_mov_b32 s23, exec_lo
	v_cmpx_ne_u32_e32 0x7f, v2
	s_cbranch_execz .LBB327_201
; %bb.198:                              ;   in Loop: Header=BB327_11 Depth=1
	v_and_b32_e32 v0, 7, v7
	v_lshrrev_b32_e32 v1, 3, v2
	s_mov_b32 s24, exec_lo
	v_cmpx_gt_u32_e32 8, v2
; %bb.199:                              ;   in Loop: Header=BB327_11 Depth=1
	v_ffbh_u32_e32 v0, v0
	v_min_u32_e32 v2, 32, v0
	v_subrev_nc_u32_e32 v0, 28, v2
	v_lshlrev_b64 v[0:1], v0, v[7:8]
	v_sub_nc_u32_e32 v1, 29, v2
	v_and_b32_e32 v0, 7, v0
; %bb.200:                              ;   in Loop: Header=BB327_11 Depth=1
	s_or_b32 exec_lo, exec_lo, s24
	v_lshlrev_b32_e32 v2, 8, v7
	v_lshl_add_u32 v1, v1, 10, 0x2000
	v_lshlrev_b32_e32 v0, 23, v0
	v_and_or_b32 v1, 0x8000, v2, v1
	v_lshl_or_b32 v0, v1, 16, v0
.LBB327_201:                            ;   in Loop: Header=BB327_11 Depth=1
	s_or_b32 exec_lo, exec_lo, s23
.LBB327_202:                            ;   in Loop: Header=BB327_11 Depth=1
	s_or_b32 exec_lo, exec_lo, s22
	buffer_store_dword v0, off, s[0:3], s32 offset:484 ; 4-byte Folded Spill
.LBB327_203:                            ;   in Loop: Header=BB327_11 Depth=1
	s_or_b32 exec_lo, exec_lo, s21
	flat_load_dwordx2 v[30:31], v[28:29] offset:520
	s_waitcnt vmcnt(0) lgkmcnt(0)
	v_cmp_ne_u16_sdwa s5, v30, v8 src0_sel:BYTE_0 src1_sel:DWORD
	s_and_saveexec_b32 s21, s5
	s_cbranch_execz .LBB327_211
; %bb.204:                              ;   in Loop: Header=BB327_11 Depth=1
	v_cmp_ne_u16_sdwa s5, v30, v101 src0_sel:BYTE_0 src1_sel:DWORD
	v_mov_b32_e32 v0, 0x8000
	buffer_store_dword v0, off, s[0:3], s32 offset:228 ; 4-byte Folded Spill
	s_and_saveexec_b32 s22, s5
	s_cbranch_execz .LBB327_210
; %bb.205:                              ;   in Loop: Header=BB327_11 Depth=1
	v_and_b32_e32 v2, 0x7f, v30
	v_mov_b32_e32 v0, 0x7c01
	s_mov_b32 s23, exec_lo
	buffer_store_dword v0, off, s[0:3], s32 offset:228 ; 4-byte Folded Spill
	v_cmpx_ne_u32_e32 0x7f, v2
	s_cbranch_execz .LBB327_209
; %bb.206:                              ;   in Loop: Header=BB327_11 Depth=1
	v_and_b32_e32 v0, 7, v30
	v_lshrrev_b32_e32 v1, 3, v2
	s_mov_b32 s24, exec_lo
	v_cmpx_gt_u32_e32 8, v2
; %bb.207:                              ;   in Loop: Header=BB327_11 Depth=1
	v_ffbh_u32_e32 v0, v0
	v_min_u32_e32 v2, 32, v0
	v_subrev_nc_u32_e32 v0, 28, v2
	v_lshlrev_b64 v[0:1], v0, v[30:31]
	v_sub_nc_u32_e32 v1, 29, v2
	v_and_b32_e32 v0, 7, v0
; %bb.208:                              ;   in Loop: Header=BB327_11 Depth=1
	s_or_b32 exec_lo, exec_lo, s24
	v_lshlrev_b32_e32 v2, 8, v30
	v_lshl_add_u32 v1, v1, 10, 0x2000
	v_lshlrev_b32_e32 v0, 7, v0
	v_and_b32_e32 v2, 0x8000, v2
	v_and_b32_e32 v1, 0xfc00, v1
	v_or3_b32 v0, v2, v1, v0
	buffer_store_dword v0, off, s[0:3], s32 offset:228 ; 4-byte Folded Spill
.LBB327_209:                            ;   in Loop: Header=BB327_11 Depth=1
	s_or_b32 exec_lo, exec_lo, s23
.LBB327_210:                            ;   in Loop: Header=BB327_11 Depth=1
	s_or_b32 exec_lo, exec_lo, s22
.LBB327_211:                            ;   in Loop: Header=BB327_11 Depth=1
	s_or_b32 exec_lo, exec_lo, s21
	v_mov_b32_e32 v0, 0
	v_lshrrev_b16 v7, 8, v30
	s_mov_b32 s21, exec_lo
	buffer_store_dword v0, off, s[0:3], s32 offset:236 ; 4-byte Folded Spill
	v_mov_b32_e32 v0, 0
	buffer_store_dword v0, off, s[0:3], s32 offset:232 ; 4-byte Folded Spill
	v_cmpx_ne_u16_e32 0, v7
	s_cbranch_execz .LBB327_219
; %bb.212:                              ;   in Loop: Header=BB327_11 Depth=1
	v_bfrev_b32_e32 v0, 1
	s_mov_b32 s22, exec_lo
	buffer_store_dword v0, off, s[0:3], s32 offset:232 ; 4-byte Folded Spill
	v_cmpx_ne_u16_e32 0x80, v7
	s_cbranch_execz .LBB327_218
; %bb.213:                              ;   in Loop: Header=BB327_11 Depth=1
	v_mov_b32_e32 v0, 0x7f
	s_mov_b32 s23, exec_lo
	v_and_b32_sdwa v2, v7, v0 dst_sel:DWORD dst_unused:UNUSED_PAD src0_sel:WORD_0 src1_sel:DWORD
	v_mov_b32_e32 v0, 0x7c010000
	buffer_store_dword v0, off, s[0:3], s32 offset:232 ; 4-byte Folded Spill
	v_cmpx_ne_u32_e32 0x7f, v2
	s_cbranch_execz .LBB327_217
; %bb.214:                              ;   in Loop: Header=BB327_11 Depth=1
	v_mov_b32_e32 v0, 7
	v_lshrrev_b32_e32 v1, 3, v2
	s_mov_b32 s24, exec_lo
	v_and_b32_sdwa v0, v7, v0 dst_sel:DWORD dst_unused:UNUSED_PAD src0_sel:WORD_0 src1_sel:DWORD
	v_cmpx_gt_u32_e32 8, v2
; %bb.215:                              ;   in Loop: Header=BB327_11 Depth=1
	v_ffbh_u32_e32 v0, v0
	v_min_u32_e32 v2, 32, v0
	v_subrev_nc_u32_e32 v0, 28, v2
	v_lshlrev_b64 v[0:1], v0, v[7:8]
	v_sub_nc_u32_e32 v1, 29, v2
	v_and_b32_e32 v0, 7, v0
; %bb.216:                              ;   in Loop: Header=BB327_11 Depth=1
	s_or_b32 exec_lo, exec_lo, s24
	v_mov_b32_e32 v2, 8
	v_lshl_add_u32 v1, v1, 10, 0x2000
	v_lshlrev_b32_e32 v0, 23, v0
	v_lshlrev_b32_sdwa v2, v2, v7 dst_sel:DWORD dst_unused:UNUSED_PAD src0_sel:DWORD src1_sel:WORD_0
	v_and_or_b32 v1, 0x8000, v2, v1
	v_lshl_or_b32 v0, v1, 16, v0
	buffer_store_dword v0, off, s[0:3], s32 offset:232 ; 4-byte Folded Spill
.LBB327_217:                            ;   in Loop: Header=BB327_11 Depth=1
	s_or_b32 exec_lo, exec_lo, s23
.LBB327_218:                            ;   in Loop: Header=BB327_11 Depth=1
	s_or_b32 exec_lo, exec_lo, s22
.LBB327_219:                            ;   in Loop: Header=BB327_11 Depth=1
	s_or_b32 exec_lo, exec_lo, s21
	v_lshrrev_b32_e32 v7, 16, v30
	v_cmp_ne_u16_sdwa s5, v7, v8 src0_sel:BYTE_0 src1_sel:DWORD
	s_and_saveexec_b32 s21, s5
	s_cbranch_execz .LBB327_227
; %bb.220:                              ;   in Loop: Header=BB327_11 Depth=1
	v_cmp_ne_u16_sdwa s5, v7, v101 src0_sel:BYTE_0 src1_sel:DWORD
	v_mov_b32_e32 v0, 0x8000
	buffer_store_dword v0, off, s[0:3], s32 offset:236 ; 4-byte Folded Spill
	s_and_saveexec_b32 s22, s5
	s_cbranch_execz .LBB327_226
; %bb.221:                              ;   in Loop: Header=BB327_11 Depth=1
	v_bfe_u32 v2, v30, 16, 7
	v_mov_b32_e32 v0, 0x7c01
	s_mov_b32 s23, exec_lo
	buffer_store_dword v0, off, s[0:3], s32 offset:236 ; 4-byte Folded Spill
	v_cmpx_ne_u32_e32 0x7f, v2
	s_cbranch_execz .LBB327_225
; %bb.222:                              ;   in Loop: Header=BB327_11 Depth=1
	v_and_b32_e32 v0, 7, v7
	v_lshrrev_b32_e32 v1, 3, v2
	s_mov_b32 s24, exec_lo
	v_cmpx_gt_u32_e32 8, v2
; %bb.223:                              ;   in Loop: Header=BB327_11 Depth=1
	v_ffbh_u32_e32 v0, v0
	v_min_u32_e32 v2, 32, v0
	v_subrev_nc_u32_e32 v0, 28, v2
	v_lshlrev_b64 v[0:1], v0, v[7:8]
	v_sub_nc_u32_e32 v1, 29, v2
	v_and_b32_e32 v0, 7, v0
; %bb.224:                              ;   in Loop: Header=BB327_11 Depth=1
	s_or_b32 exec_lo, exec_lo, s24
	v_lshlrev_b32_e32 v2, 8, v7
	v_lshl_add_u32 v1, v1, 10, 0x2000
	v_lshlrev_b32_e32 v0, 7, v0
	v_and_b32_e32 v2, 0x8000, v2
	v_and_b32_e32 v1, 0xfc00, v1
	v_or3_b32 v0, v2, v1, v0
	buffer_store_dword v0, off, s[0:3], s32 offset:236 ; 4-byte Folded Spill
.LBB327_225:                            ;   in Loop: Header=BB327_11 Depth=1
	s_or_b32 exec_lo, exec_lo, s23
.LBB327_226:                            ;   in Loop: Header=BB327_11 Depth=1
	s_or_b32 exec_lo, exec_lo, s22
.LBB327_227:                            ;   in Loop: Header=BB327_11 Depth=1
	s_or_b32 exec_lo, exec_lo, s21
	v_mov_b32_e32 v0, 0
	s_mov_b32 s21, exec_lo
	buffer_store_dword v0, off, s[0:3], s32 offset:240 ; 4-byte Folded Spill
	v_mov_b32_e32 v0, 0
	buffer_store_dword v0, off, s[0:3], s32 offset:244 ; 4-byte Folded Spill
	v_cmpx_lt_u32_e32 0xffffff, v30
	s_cbranch_execz .LBB327_235
; %bb.228:                              ;   in Loop: Header=BB327_11 Depth=1
	v_lshrrev_b32_e32 v7, 24, v30
	v_bfrev_b32_e32 v0, 1
	s_mov_b32 s22, exec_lo
	buffer_store_dword v0, off, s[0:3], s32 offset:244 ; 4-byte Folded Spill
	v_cmpx_ne_u32_e32 0x80, v7
	s_cbranch_execz .LBB327_234
; %bb.229:                              ;   in Loop: Header=BB327_11 Depth=1
	v_and_b32_e32 v2, 0x7f, v7
	v_mov_b32_e32 v0, 0x7c010000
	s_mov_b32 s23, exec_lo
	buffer_store_dword v0, off, s[0:3], s32 offset:244 ; 4-byte Folded Spill
	v_cmpx_ne_u32_e32 0x7f, v2
	s_cbranch_execz .LBB327_233
; %bb.230:                              ;   in Loop: Header=BB327_11 Depth=1
	v_and_b32_e32 v0, 7, v7
	v_lshrrev_b32_e32 v1, 3, v2
	s_mov_b32 s24, exec_lo
	v_cmpx_gt_u32_e32 8, v2
; %bb.231:                              ;   in Loop: Header=BB327_11 Depth=1
	v_ffbh_u32_e32 v0, v0
	v_min_u32_e32 v2, 32, v0
	v_subrev_nc_u32_e32 v0, 28, v2
	v_lshlrev_b64 v[0:1], v0, v[7:8]
	v_sub_nc_u32_e32 v1, 29, v2
	v_and_b32_e32 v0, 7, v0
; %bb.232:                              ;   in Loop: Header=BB327_11 Depth=1
	s_or_b32 exec_lo, exec_lo, s24
	v_lshlrev_b32_e32 v2, 8, v7
	v_lshl_add_u32 v1, v1, 10, 0x2000
	v_lshlrev_b32_e32 v0, 23, v0
	v_and_or_b32 v1, 0x8000, v2, v1
	v_lshl_or_b32 v0, v1, 16, v0
	buffer_store_dword v0, off, s[0:3], s32 offset:244 ; 4-byte Folded Spill
.LBB327_233:                            ;   in Loop: Header=BB327_11 Depth=1
	s_or_b32 exec_lo, exec_lo, s23
.LBB327_234:                            ;   in Loop: Header=BB327_11 Depth=1
	s_or_b32 exec_lo, exec_lo, s22
.LBB327_235:                            ;   in Loop: Header=BB327_11 Depth=1
	s_or_b32 exec_lo, exec_lo, s21
	v_mov_b32_e32 v7, v31
	v_cmp_ne_u16_sdwa s5, v31, v8 src0_sel:BYTE_0 src1_sel:DWORD
	s_and_saveexec_b32 s21, s5
	s_cbranch_execz .LBB327_243
; %bb.236:                              ;   in Loop: Header=BB327_11 Depth=1
	v_cmp_ne_u16_sdwa s5, v31, v101 src0_sel:BYTE_0 src1_sel:DWORD
	v_mov_b32_e32 v0, 0x8000
	buffer_store_dword v0, off, s[0:3], s32 offset:240 ; 4-byte Folded Spill
	s_and_saveexec_b32 s22, s5
	s_cbranch_execz .LBB327_242
; %bb.237:                              ;   in Loop: Header=BB327_11 Depth=1
	v_and_b32_e32 v2, 0x7f, v31
	v_mov_b32_e32 v0, 0x7c01
	s_mov_b32 s23, exec_lo
	buffer_store_dword v0, off, s[0:3], s32 offset:240 ; 4-byte Folded Spill
	v_cmpx_ne_u32_e32 0x7f, v2
	s_cbranch_execz .LBB327_241
; %bb.238:                              ;   in Loop: Header=BB327_11 Depth=1
	v_and_b32_e32 v0, 7, v31
	v_lshrrev_b32_e32 v1, 3, v2
	s_mov_b32 s24, exec_lo
	v_cmpx_gt_u32_e32 8, v2
; %bb.239:                              ;   in Loop: Header=BB327_11 Depth=1
	v_ffbh_u32_e32 v0, v0
	v_min_u32_e32 v2, 32, v0
	v_subrev_nc_u32_e32 v0, 28, v2
	v_lshlrev_b64 v[0:1], v0, v[7:8]
	v_sub_nc_u32_e32 v1, 29, v2
	v_and_b32_e32 v0, 7, v0
; %bb.240:                              ;   in Loop: Header=BB327_11 Depth=1
	s_or_b32 exec_lo, exec_lo, s24
	v_lshlrev_b32_e32 v2, 8, v31
	v_lshl_add_u32 v1, v1, 10, 0x2000
	v_lshlrev_b32_e32 v0, 7, v0
	v_and_b32_e32 v2, 0x8000, v2
	v_and_b32_e32 v1, 0xfc00, v1
	v_or3_b32 v0, v2, v1, v0
	buffer_store_dword v0, off, s[0:3], s32 offset:240 ; 4-byte Folded Spill
.LBB327_241:                            ;   in Loop: Header=BB327_11 Depth=1
	s_or_b32 exec_lo, exec_lo, s23
.LBB327_242:                            ;   in Loop: Header=BB327_11 Depth=1
	s_or_b32 exec_lo, exec_lo, s22
.LBB327_243:                            ;   in Loop: Header=BB327_11 Depth=1
	s_or_b32 exec_lo, exec_lo, s21
	v_mov_b32_e32 v0, 0
	v_lshrrev_b16 v7, 8, v7
	s_mov_b32 s21, exec_lo
	buffer_store_dword v0, off, s[0:3], s32 offset:248 ; 4-byte Folded Spill
	v_mov_b32_e32 v0, 0
	buffer_store_dword v0, off, s[0:3], s32 offset:252 ; 4-byte Folded Spill
	v_cmpx_ne_u16_e32 0, v7
	s_cbranch_execz .LBB327_251
; %bb.244:                              ;   in Loop: Header=BB327_11 Depth=1
	v_bfrev_b32_e32 v0, 1
	s_mov_b32 s22, exec_lo
	buffer_store_dword v0, off, s[0:3], s32 offset:252 ; 4-byte Folded Spill
	v_cmpx_ne_u16_e32 0x80, v7
	s_cbranch_execz .LBB327_250
; %bb.245:                              ;   in Loop: Header=BB327_11 Depth=1
	v_mov_b32_e32 v0, 0x7f
	s_mov_b32 s23, exec_lo
	v_and_b32_sdwa v2, v7, v0 dst_sel:DWORD dst_unused:UNUSED_PAD src0_sel:WORD_0 src1_sel:DWORD
	v_mov_b32_e32 v0, 0x7c010000
	buffer_store_dword v0, off, s[0:3], s32 offset:252 ; 4-byte Folded Spill
	v_cmpx_ne_u32_e32 0x7f, v2
	s_cbranch_execz .LBB327_249
; %bb.246:                              ;   in Loop: Header=BB327_11 Depth=1
	v_mov_b32_e32 v0, 7
	v_lshrrev_b32_e32 v1, 3, v2
	s_mov_b32 s24, exec_lo
	v_and_b32_sdwa v0, v7, v0 dst_sel:DWORD dst_unused:UNUSED_PAD src0_sel:WORD_0 src1_sel:DWORD
	v_cmpx_gt_u32_e32 8, v2
; %bb.247:                              ;   in Loop: Header=BB327_11 Depth=1
	v_ffbh_u32_e32 v0, v0
	v_min_u32_e32 v2, 32, v0
	v_subrev_nc_u32_e32 v0, 28, v2
	v_lshlrev_b64 v[0:1], v0, v[7:8]
	v_sub_nc_u32_e32 v1, 29, v2
	v_and_b32_e32 v0, 7, v0
; %bb.248:                              ;   in Loop: Header=BB327_11 Depth=1
	s_or_b32 exec_lo, exec_lo, s24
	v_mov_b32_e32 v2, 8
	v_lshl_add_u32 v1, v1, 10, 0x2000
	v_lshlrev_b32_e32 v0, 23, v0
	v_lshlrev_b32_sdwa v2, v2, v7 dst_sel:DWORD dst_unused:UNUSED_PAD src0_sel:DWORD src1_sel:WORD_0
	v_and_or_b32 v1, 0x8000, v2, v1
	v_lshl_or_b32 v0, v1, 16, v0
	buffer_store_dword v0, off, s[0:3], s32 offset:252 ; 4-byte Folded Spill
.LBB327_249:                            ;   in Loop: Header=BB327_11 Depth=1
	s_or_b32 exec_lo, exec_lo, s23
.LBB327_250:                            ;   in Loop: Header=BB327_11 Depth=1
	s_or_b32 exec_lo, exec_lo, s22
.LBB327_251:                            ;   in Loop: Header=BB327_11 Depth=1
	s_or_b32 exec_lo, exec_lo, s21
	v_lshrrev_b32_e32 v7, 16, v31
	v_cmp_ne_u16_sdwa s5, v7, v8 src0_sel:BYTE_0 src1_sel:DWORD
	s_and_saveexec_b32 s21, s5
	s_cbranch_execz .LBB327_259
; %bb.252:                              ;   in Loop: Header=BB327_11 Depth=1
	v_cmp_ne_u16_sdwa s5, v7, v101 src0_sel:BYTE_0 src1_sel:DWORD
	v_mov_b32_e32 v0, 0x8000
	buffer_store_dword v0, off, s[0:3], s32 offset:248 ; 4-byte Folded Spill
	s_and_saveexec_b32 s22, s5
	s_cbranch_execz .LBB327_258
; %bb.253:                              ;   in Loop: Header=BB327_11 Depth=1
	v_bfe_u32 v2, v31, 16, 7
	v_mov_b32_e32 v0, 0x7c01
	s_mov_b32 s23, exec_lo
	buffer_store_dword v0, off, s[0:3], s32 offset:248 ; 4-byte Folded Spill
	v_cmpx_ne_u32_e32 0x7f, v2
	s_cbranch_execz .LBB327_257
; %bb.254:                              ;   in Loop: Header=BB327_11 Depth=1
	v_and_b32_e32 v0, 7, v7
	v_lshrrev_b32_e32 v1, 3, v2
	s_mov_b32 s24, exec_lo
	v_cmpx_gt_u32_e32 8, v2
; %bb.255:                              ;   in Loop: Header=BB327_11 Depth=1
	v_ffbh_u32_e32 v0, v0
	v_min_u32_e32 v2, 32, v0
	v_subrev_nc_u32_e32 v0, 28, v2
	v_lshlrev_b64 v[0:1], v0, v[7:8]
	v_sub_nc_u32_e32 v1, 29, v2
	v_and_b32_e32 v0, 7, v0
; %bb.256:                              ;   in Loop: Header=BB327_11 Depth=1
	s_or_b32 exec_lo, exec_lo, s24
	v_lshlrev_b32_e32 v2, 8, v7
	v_lshl_add_u32 v1, v1, 10, 0x2000
	v_lshlrev_b32_e32 v0, 7, v0
	v_and_b32_e32 v2, 0x8000, v2
	v_and_b32_e32 v1, 0xfc00, v1
	v_or3_b32 v0, v2, v1, v0
	buffer_store_dword v0, off, s[0:3], s32 offset:248 ; 4-byte Folded Spill
.LBB327_257:                            ;   in Loop: Header=BB327_11 Depth=1
	s_or_b32 exec_lo, exec_lo, s23
.LBB327_258:                            ;   in Loop: Header=BB327_11 Depth=1
	s_or_b32 exec_lo, exec_lo, s22
.LBB327_259:                            ;   in Loop: Header=BB327_11 Depth=1
	s_or_b32 exec_lo, exec_lo, s21
	v_mov_b32_e32 v0, 0
	s_mov_b32 s21, exec_lo
	buffer_store_dword v0, off, s[0:3], s32 offset:256 ; 4-byte Folded Spill
	v_mov_b32_e32 v0, 0
	buffer_store_dword v0, off, s[0:3], s32 offset:488 ; 4-byte Folded Spill
	v_cmpx_lt_u64_e64 s[6:7], v[30:31]
	s_cbranch_execz .LBB327_267
; %bb.260:                              ;   in Loop: Header=BB327_11 Depth=1
	v_lshrrev_b32_e32 v7, 24, v31
	v_bfrev_b32_e32 v0, 1
	s_mov_b32 s22, exec_lo
	v_cmpx_ne_u32_e32 0x80, v7
	s_cbranch_execz .LBB327_266
; %bb.261:                              ;   in Loop: Header=BB327_11 Depth=1
	v_and_b32_e32 v2, 0x7f, v7
	v_mov_b32_e32 v0, 0x7c010000
	s_mov_b32 s23, exec_lo
	v_cmpx_ne_u32_e32 0x7f, v2
	s_cbranch_execz .LBB327_265
; %bb.262:                              ;   in Loop: Header=BB327_11 Depth=1
	v_and_b32_e32 v0, 7, v7
	v_lshrrev_b32_e32 v1, 3, v2
	s_mov_b32 s24, exec_lo
	v_cmpx_gt_u32_e32 8, v2
; %bb.263:                              ;   in Loop: Header=BB327_11 Depth=1
	v_ffbh_u32_e32 v0, v0
	v_min_u32_e32 v2, 32, v0
	v_subrev_nc_u32_e32 v0, 28, v2
	v_lshlrev_b64 v[0:1], v0, v[7:8]
	v_sub_nc_u32_e32 v1, 29, v2
	v_and_b32_e32 v0, 7, v0
; %bb.264:                              ;   in Loop: Header=BB327_11 Depth=1
	s_or_b32 exec_lo, exec_lo, s24
	v_lshlrev_b32_e32 v2, 8, v7
	v_lshl_add_u32 v1, v1, 10, 0x2000
	v_lshlrev_b32_e32 v0, 23, v0
	v_and_or_b32 v1, 0x8000, v2, v1
	v_lshl_or_b32 v0, v1, 16, v0
.LBB327_265:                            ;   in Loop: Header=BB327_11 Depth=1
	s_or_b32 exec_lo, exec_lo, s23
.LBB327_266:                            ;   in Loop: Header=BB327_11 Depth=1
	s_or_b32 exec_lo, exec_lo, s22
	buffer_store_dword v0, off, s[0:3], s32 offset:488 ; 4-byte Folded Spill
.LBB327_267:                            ;   in Loop: Header=BB327_11 Depth=1
	s_or_b32 exec_lo, exec_lo, s21
	flat_load_dwordx2 v[30:31], v[28:29] offset:1024
	s_waitcnt vmcnt(0) lgkmcnt(0)
	v_cmp_ne_u16_sdwa s5, v30, v8 src0_sel:BYTE_0 src1_sel:DWORD
	s_and_saveexec_b32 s21, s5
	s_cbranch_execz .LBB327_275
; %bb.268:                              ;   in Loop: Header=BB327_11 Depth=1
	v_cmp_ne_u16_sdwa s5, v30, v101 src0_sel:BYTE_0 src1_sel:DWORD
	v_mov_b32_e32 v0, 0x8000
	buffer_store_dword v0, off, s[0:3], s32 offset:256 ; 4-byte Folded Spill
	s_and_saveexec_b32 s22, s5
	s_cbranch_execz .LBB327_274
; %bb.269:                              ;   in Loop: Header=BB327_11 Depth=1
	v_and_b32_e32 v2, 0x7f, v30
	v_mov_b32_e32 v0, 0x7c01
	s_mov_b32 s23, exec_lo
	buffer_store_dword v0, off, s[0:3], s32 offset:256 ; 4-byte Folded Spill
	v_cmpx_ne_u32_e32 0x7f, v2
	s_cbranch_execz .LBB327_273
; %bb.270:                              ;   in Loop: Header=BB327_11 Depth=1
	v_and_b32_e32 v0, 7, v30
	v_lshrrev_b32_e32 v1, 3, v2
	s_mov_b32 s24, exec_lo
	v_cmpx_gt_u32_e32 8, v2
; %bb.271:                              ;   in Loop: Header=BB327_11 Depth=1
	v_ffbh_u32_e32 v0, v0
	v_min_u32_e32 v2, 32, v0
	v_subrev_nc_u32_e32 v0, 28, v2
	v_lshlrev_b64 v[0:1], v0, v[30:31]
	v_sub_nc_u32_e32 v1, 29, v2
	v_and_b32_e32 v0, 7, v0
; %bb.272:                              ;   in Loop: Header=BB327_11 Depth=1
	s_or_b32 exec_lo, exec_lo, s24
	v_lshlrev_b32_e32 v2, 8, v30
	v_lshl_add_u32 v1, v1, 10, 0x2000
	v_lshlrev_b32_e32 v0, 7, v0
	v_and_b32_e32 v2, 0x8000, v2
	v_and_b32_e32 v1, 0xfc00, v1
	v_or3_b32 v0, v2, v1, v0
	buffer_store_dword v0, off, s[0:3], s32 offset:256 ; 4-byte Folded Spill
.LBB327_273:                            ;   in Loop: Header=BB327_11 Depth=1
	s_or_b32 exec_lo, exec_lo, s23
.LBB327_274:                            ;   in Loop: Header=BB327_11 Depth=1
	s_or_b32 exec_lo, exec_lo, s22
.LBB327_275:                            ;   in Loop: Header=BB327_11 Depth=1
	s_or_b32 exec_lo, exec_lo, s21
	v_mov_b32_e32 v0, 0
	v_lshrrev_b16 v7, 8, v30
	s_mov_b32 s21, exec_lo
	buffer_store_dword v0, off, s[0:3], s32 offset:264 ; 4-byte Folded Spill
	v_mov_b32_e32 v0, 0
	buffer_store_dword v0, off, s[0:3], s32 offset:260 ; 4-byte Folded Spill
	v_cmpx_ne_u16_e32 0, v7
	s_cbranch_execz .LBB327_283
; %bb.276:                              ;   in Loop: Header=BB327_11 Depth=1
	v_bfrev_b32_e32 v0, 1
	s_mov_b32 s22, exec_lo
	buffer_store_dword v0, off, s[0:3], s32 offset:260 ; 4-byte Folded Spill
	v_cmpx_ne_u16_e32 0x80, v7
	s_cbranch_execz .LBB327_282
; %bb.277:                              ;   in Loop: Header=BB327_11 Depth=1
	v_mov_b32_e32 v0, 0x7f
	s_mov_b32 s23, exec_lo
	v_and_b32_sdwa v2, v7, v0 dst_sel:DWORD dst_unused:UNUSED_PAD src0_sel:WORD_0 src1_sel:DWORD
	v_mov_b32_e32 v0, 0x7c010000
	buffer_store_dword v0, off, s[0:3], s32 offset:260 ; 4-byte Folded Spill
	v_cmpx_ne_u32_e32 0x7f, v2
	s_cbranch_execz .LBB327_281
; %bb.278:                              ;   in Loop: Header=BB327_11 Depth=1
	v_mov_b32_e32 v0, 7
	v_lshrrev_b32_e32 v1, 3, v2
	s_mov_b32 s24, exec_lo
	v_and_b32_sdwa v0, v7, v0 dst_sel:DWORD dst_unused:UNUSED_PAD src0_sel:WORD_0 src1_sel:DWORD
	v_cmpx_gt_u32_e32 8, v2
; %bb.279:                              ;   in Loop: Header=BB327_11 Depth=1
	v_ffbh_u32_e32 v0, v0
	v_min_u32_e32 v2, 32, v0
	v_subrev_nc_u32_e32 v0, 28, v2
	v_lshlrev_b64 v[0:1], v0, v[7:8]
	v_sub_nc_u32_e32 v1, 29, v2
	v_and_b32_e32 v0, 7, v0
; %bb.280:                              ;   in Loop: Header=BB327_11 Depth=1
	s_or_b32 exec_lo, exec_lo, s24
	v_mov_b32_e32 v2, 8
	v_lshl_add_u32 v1, v1, 10, 0x2000
	v_lshlrev_b32_e32 v0, 23, v0
	v_lshlrev_b32_sdwa v2, v2, v7 dst_sel:DWORD dst_unused:UNUSED_PAD src0_sel:DWORD src1_sel:WORD_0
	v_and_or_b32 v1, 0x8000, v2, v1
	v_lshl_or_b32 v0, v1, 16, v0
	buffer_store_dword v0, off, s[0:3], s32 offset:260 ; 4-byte Folded Spill
.LBB327_281:                            ;   in Loop: Header=BB327_11 Depth=1
	s_or_b32 exec_lo, exec_lo, s23
.LBB327_282:                            ;   in Loop: Header=BB327_11 Depth=1
	s_or_b32 exec_lo, exec_lo, s22
.LBB327_283:                            ;   in Loop: Header=BB327_11 Depth=1
	s_or_b32 exec_lo, exec_lo, s21
	v_lshrrev_b32_e32 v7, 16, v30
	v_cmp_ne_u16_sdwa s5, v7, v8 src0_sel:BYTE_0 src1_sel:DWORD
	s_and_saveexec_b32 s21, s5
	s_cbranch_execz .LBB327_291
; %bb.284:                              ;   in Loop: Header=BB327_11 Depth=1
	v_cmp_ne_u16_sdwa s5, v7, v101 src0_sel:BYTE_0 src1_sel:DWORD
	v_mov_b32_e32 v0, 0x8000
	buffer_store_dword v0, off, s[0:3], s32 offset:264 ; 4-byte Folded Spill
	s_and_saveexec_b32 s22, s5
	s_cbranch_execz .LBB327_290
; %bb.285:                              ;   in Loop: Header=BB327_11 Depth=1
	v_bfe_u32 v2, v30, 16, 7
	v_mov_b32_e32 v0, 0x7c01
	s_mov_b32 s23, exec_lo
	buffer_store_dword v0, off, s[0:3], s32 offset:264 ; 4-byte Folded Spill
	v_cmpx_ne_u32_e32 0x7f, v2
	s_cbranch_execz .LBB327_289
; %bb.286:                              ;   in Loop: Header=BB327_11 Depth=1
	v_and_b32_e32 v0, 7, v7
	v_lshrrev_b32_e32 v1, 3, v2
	s_mov_b32 s24, exec_lo
	v_cmpx_gt_u32_e32 8, v2
; %bb.287:                              ;   in Loop: Header=BB327_11 Depth=1
	v_ffbh_u32_e32 v0, v0
	v_min_u32_e32 v2, 32, v0
	v_subrev_nc_u32_e32 v0, 28, v2
	v_lshlrev_b64 v[0:1], v0, v[7:8]
	v_sub_nc_u32_e32 v1, 29, v2
	v_and_b32_e32 v0, 7, v0
; %bb.288:                              ;   in Loop: Header=BB327_11 Depth=1
	s_or_b32 exec_lo, exec_lo, s24
	v_lshlrev_b32_e32 v2, 8, v7
	v_lshl_add_u32 v1, v1, 10, 0x2000
	v_lshlrev_b32_e32 v0, 7, v0
	v_and_b32_e32 v2, 0x8000, v2
	v_and_b32_e32 v1, 0xfc00, v1
	v_or3_b32 v0, v2, v1, v0
	buffer_store_dword v0, off, s[0:3], s32 offset:264 ; 4-byte Folded Spill
.LBB327_289:                            ;   in Loop: Header=BB327_11 Depth=1
	s_or_b32 exec_lo, exec_lo, s23
.LBB327_290:                            ;   in Loop: Header=BB327_11 Depth=1
	s_or_b32 exec_lo, exec_lo, s22
.LBB327_291:                            ;   in Loop: Header=BB327_11 Depth=1
	s_or_b32 exec_lo, exec_lo, s21
	v_mov_b32_e32 v0, 0
	s_mov_b32 s21, exec_lo
	buffer_store_dword v0, off, s[0:3], s32 offset:268 ; 4-byte Folded Spill
	v_mov_b32_e32 v0, 0
	buffer_store_dword v0, off, s[0:3], s32 offset:272 ; 4-byte Folded Spill
	v_cmpx_lt_u32_e32 0xffffff, v30
	s_cbranch_execz .LBB327_299
; %bb.292:                              ;   in Loop: Header=BB327_11 Depth=1
	v_lshrrev_b32_e32 v7, 24, v30
	v_bfrev_b32_e32 v0, 1
	s_mov_b32 s22, exec_lo
	buffer_store_dword v0, off, s[0:3], s32 offset:272 ; 4-byte Folded Spill
	v_cmpx_ne_u32_e32 0x80, v7
	s_cbranch_execz .LBB327_298
; %bb.293:                              ;   in Loop: Header=BB327_11 Depth=1
	v_and_b32_e32 v2, 0x7f, v7
	v_mov_b32_e32 v0, 0x7c010000
	s_mov_b32 s23, exec_lo
	buffer_store_dword v0, off, s[0:3], s32 offset:272 ; 4-byte Folded Spill
	v_cmpx_ne_u32_e32 0x7f, v2
	s_cbranch_execz .LBB327_297
; %bb.294:                              ;   in Loop: Header=BB327_11 Depth=1
	v_and_b32_e32 v0, 7, v7
	v_lshrrev_b32_e32 v1, 3, v2
	s_mov_b32 s24, exec_lo
	v_cmpx_gt_u32_e32 8, v2
; %bb.295:                              ;   in Loop: Header=BB327_11 Depth=1
	v_ffbh_u32_e32 v0, v0
	v_min_u32_e32 v2, 32, v0
	v_subrev_nc_u32_e32 v0, 28, v2
	v_lshlrev_b64 v[0:1], v0, v[7:8]
	v_sub_nc_u32_e32 v1, 29, v2
	v_and_b32_e32 v0, 7, v0
; %bb.296:                              ;   in Loop: Header=BB327_11 Depth=1
	s_or_b32 exec_lo, exec_lo, s24
	v_lshlrev_b32_e32 v2, 8, v7
	v_lshl_add_u32 v1, v1, 10, 0x2000
	v_lshlrev_b32_e32 v0, 23, v0
	v_and_or_b32 v1, 0x8000, v2, v1
	v_lshl_or_b32 v0, v1, 16, v0
	buffer_store_dword v0, off, s[0:3], s32 offset:272 ; 4-byte Folded Spill
.LBB327_297:                            ;   in Loop: Header=BB327_11 Depth=1
	s_or_b32 exec_lo, exec_lo, s23
.LBB327_298:                            ;   in Loop: Header=BB327_11 Depth=1
	s_or_b32 exec_lo, exec_lo, s22
.LBB327_299:                            ;   in Loop: Header=BB327_11 Depth=1
	s_or_b32 exec_lo, exec_lo, s21
	v_mov_b32_e32 v7, v31
	v_cmp_ne_u16_sdwa s5, v31, v8 src0_sel:BYTE_0 src1_sel:DWORD
	s_and_saveexec_b32 s21, s5
	s_cbranch_execz .LBB327_307
; %bb.300:                              ;   in Loop: Header=BB327_11 Depth=1
	v_cmp_ne_u16_sdwa s5, v31, v101 src0_sel:BYTE_0 src1_sel:DWORD
	v_mov_b32_e32 v0, 0x8000
	buffer_store_dword v0, off, s[0:3], s32 offset:268 ; 4-byte Folded Spill
	s_and_saveexec_b32 s22, s5
	s_cbranch_execz .LBB327_306
; %bb.301:                              ;   in Loop: Header=BB327_11 Depth=1
	v_and_b32_e32 v2, 0x7f, v31
	v_mov_b32_e32 v0, 0x7c01
	s_mov_b32 s23, exec_lo
	buffer_store_dword v0, off, s[0:3], s32 offset:268 ; 4-byte Folded Spill
	v_cmpx_ne_u32_e32 0x7f, v2
	s_cbranch_execz .LBB327_305
; %bb.302:                              ;   in Loop: Header=BB327_11 Depth=1
	v_and_b32_e32 v0, 7, v31
	v_lshrrev_b32_e32 v1, 3, v2
	s_mov_b32 s24, exec_lo
	v_cmpx_gt_u32_e32 8, v2
; %bb.303:                              ;   in Loop: Header=BB327_11 Depth=1
	v_ffbh_u32_e32 v0, v0
	v_min_u32_e32 v2, 32, v0
	v_subrev_nc_u32_e32 v0, 28, v2
	v_lshlrev_b64 v[0:1], v0, v[7:8]
	v_sub_nc_u32_e32 v1, 29, v2
	v_and_b32_e32 v0, 7, v0
; %bb.304:                              ;   in Loop: Header=BB327_11 Depth=1
	s_or_b32 exec_lo, exec_lo, s24
	v_lshlrev_b32_e32 v2, 8, v31
	v_lshl_add_u32 v1, v1, 10, 0x2000
	v_lshlrev_b32_e32 v0, 7, v0
	v_and_b32_e32 v2, 0x8000, v2
	v_and_b32_e32 v1, 0xfc00, v1
	v_or3_b32 v0, v2, v1, v0
	buffer_store_dword v0, off, s[0:3], s32 offset:268 ; 4-byte Folded Spill
.LBB327_305:                            ;   in Loop: Header=BB327_11 Depth=1
	s_or_b32 exec_lo, exec_lo, s23
.LBB327_306:                            ;   in Loop: Header=BB327_11 Depth=1
	s_or_b32 exec_lo, exec_lo, s22
.LBB327_307:                            ;   in Loop: Header=BB327_11 Depth=1
	s_or_b32 exec_lo, exec_lo, s21
	v_mov_b32_e32 v0, 0
	v_lshrrev_b16 v7, 8, v7
	s_mov_b32 s21, exec_lo
	buffer_store_dword v0, off, s[0:3], s32 offset:276 ; 4-byte Folded Spill
	v_mov_b32_e32 v0, 0
	buffer_store_dword v0, off, s[0:3], s32 offset:280 ; 4-byte Folded Spill
	v_cmpx_ne_u16_e32 0, v7
	s_cbranch_execz .LBB327_315
; %bb.308:                              ;   in Loop: Header=BB327_11 Depth=1
	v_bfrev_b32_e32 v0, 1
	s_mov_b32 s22, exec_lo
	buffer_store_dword v0, off, s[0:3], s32 offset:280 ; 4-byte Folded Spill
	v_cmpx_ne_u16_e32 0x80, v7
	s_cbranch_execz .LBB327_314
; %bb.309:                              ;   in Loop: Header=BB327_11 Depth=1
	v_mov_b32_e32 v0, 0x7f
	s_mov_b32 s23, exec_lo
	v_and_b32_sdwa v2, v7, v0 dst_sel:DWORD dst_unused:UNUSED_PAD src0_sel:WORD_0 src1_sel:DWORD
	v_mov_b32_e32 v0, 0x7c010000
	buffer_store_dword v0, off, s[0:3], s32 offset:280 ; 4-byte Folded Spill
	v_cmpx_ne_u32_e32 0x7f, v2
	s_cbranch_execz .LBB327_313
; %bb.310:                              ;   in Loop: Header=BB327_11 Depth=1
	v_mov_b32_e32 v0, 7
	v_lshrrev_b32_e32 v1, 3, v2
	s_mov_b32 s24, exec_lo
	v_and_b32_sdwa v0, v7, v0 dst_sel:DWORD dst_unused:UNUSED_PAD src0_sel:WORD_0 src1_sel:DWORD
	v_cmpx_gt_u32_e32 8, v2
; %bb.311:                              ;   in Loop: Header=BB327_11 Depth=1
	v_ffbh_u32_e32 v0, v0
	v_min_u32_e32 v2, 32, v0
	v_subrev_nc_u32_e32 v0, 28, v2
	v_lshlrev_b64 v[0:1], v0, v[7:8]
	v_sub_nc_u32_e32 v1, 29, v2
	v_and_b32_e32 v0, 7, v0
; %bb.312:                              ;   in Loop: Header=BB327_11 Depth=1
	s_or_b32 exec_lo, exec_lo, s24
	v_mov_b32_e32 v2, 8
	v_lshl_add_u32 v1, v1, 10, 0x2000
	v_lshlrev_b32_e32 v0, 23, v0
	v_lshlrev_b32_sdwa v2, v2, v7 dst_sel:DWORD dst_unused:UNUSED_PAD src0_sel:DWORD src1_sel:WORD_0
	v_and_or_b32 v1, 0x8000, v2, v1
	v_lshl_or_b32 v0, v1, 16, v0
	buffer_store_dword v0, off, s[0:3], s32 offset:280 ; 4-byte Folded Spill
.LBB327_313:                            ;   in Loop: Header=BB327_11 Depth=1
	s_or_b32 exec_lo, exec_lo, s23
.LBB327_314:                            ;   in Loop: Header=BB327_11 Depth=1
	s_or_b32 exec_lo, exec_lo, s22
.LBB327_315:                            ;   in Loop: Header=BB327_11 Depth=1
	s_or_b32 exec_lo, exec_lo, s21
	v_lshrrev_b32_e32 v7, 16, v31
	v_cmp_ne_u16_sdwa s5, v7, v8 src0_sel:BYTE_0 src1_sel:DWORD
	s_and_saveexec_b32 s21, s5
	s_cbranch_execz .LBB327_323
; %bb.316:                              ;   in Loop: Header=BB327_11 Depth=1
	v_cmp_ne_u16_sdwa s5, v7, v101 src0_sel:BYTE_0 src1_sel:DWORD
	v_mov_b32_e32 v0, 0x8000
	buffer_store_dword v0, off, s[0:3], s32 offset:276 ; 4-byte Folded Spill
	s_and_saveexec_b32 s22, s5
	s_cbranch_execz .LBB327_322
; %bb.317:                              ;   in Loop: Header=BB327_11 Depth=1
	v_bfe_u32 v2, v31, 16, 7
	v_mov_b32_e32 v0, 0x7c01
	s_mov_b32 s23, exec_lo
	buffer_store_dword v0, off, s[0:3], s32 offset:276 ; 4-byte Folded Spill
	v_cmpx_ne_u32_e32 0x7f, v2
	s_cbranch_execz .LBB327_321
; %bb.318:                              ;   in Loop: Header=BB327_11 Depth=1
	v_and_b32_e32 v0, 7, v7
	v_lshrrev_b32_e32 v1, 3, v2
	s_mov_b32 s24, exec_lo
	v_cmpx_gt_u32_e32 8, v2
; %bb.319:                              ;   in Loop: Header=BB327_11 Depth=1
	v_ffbh_u32_e32 v0, v0
	v_min_u32_e32 v2, 32, v0
	v_subrev_nc_u32_e32 v0, 28, v2
	v_lshlrev_b64 v[0:1], v0, v[7:8]
	v_sub_nc_u32_e32 v1, 29, v2
	v_and_b32_e32 v0, 7, v0
; %bb.320:                              ;   in Loop: Header=BB327_11 Depth=1
	s_or_b32 exec_lo, exec_lo, s24
	v_lshlrev_b32_e32 v2, 8, v7
	v_lshl_add_u32 v1, v1, 10, 0x2000
	v_lshlrev_b32_e32 v0, 7, v0
	v_and_b32_e32 v2, 0x8000, v2
	v_and_b32_e32 v1, 0xfc00, v1
	v_or3_b32 v0, v2, v1, v0
	buffer_store_dword v0, off, s[0:3], s32 offset:276 ; 4-byte Folded Spill
.LBB327_321:                            ;   in Loop: Header=BB327_11 Depth=1
	s_or_b32 exec_lo, exec_lo, s23
.LBB327_322:                            ;   in Loop: Header=BB327_11 Depth=1
	s_or_b32 exec_lo, exec_lo, s22
.LBB327_323:                            ;   in Loop: Header=BB327_11 Depth=1
	s_or_b32 exec_lo, exec_lo, s21
	v_mov_b32_e32 v0, 0
	s_mov_b32 s21, exec_lo
	buffer_store_dword v0, off, s[0:3], s32 offset:284 ; 4-byte Folded Spill
	v_mov_b32_e32 v0, 0
	buffer_store_dword v0, off, s[0:3], s32 offset:492 ; 4-byte Folded Spill
	v_cmpx_lt_u64_e64 s[6:7], v[30:31]
	s_cbranch_execz .LBB327_331
; %bb.324:                              ;   in Loop: Header=BB327_11 Depth=1
	v_lshrrev_b32_e32 v7, 24, v31
	v_bfrev_b32_e32 v0, 1
	s_mov_b32 s22, exec_lo
	v_cmpx_ne_u32_e32 0x80, v7
	s_cbranch_execz .LBB327_330
; %bb.325:                              ;   in Loop: Header=BB327_11 Depth=1
	v_and_b32_e32 v2, 0x7f, v7
	v_mov_b32_e32 v0, 0x7c010000
	s_mov_b32 s23, exec_lo
	v_cmpx_ne_u32_e32 0x7f, v2
	s_cbranch_execz .LBB327_329
; %bb.326:                              ;   in Loop: Header=BB327_11 Depth=1
	v_and_b32_e32 v0, 7, v7
	v_lshrrev_b32_e32 v1, 3, v2
	s_mov_b32 s24, exec_lo
	v_cmpx_gt_u32_e32 8, v2
; %bb.327:                              ;   in Loop: Header=BB327_11 Depth=1
	v_ffbh_u32_e32 v0, v0
	v_min_u32_e32 v2, 32, v0
	v_subrev_nc_u32_e32 v0, 28, v2
	v_lshlrev_b64 v[0:1], v0, v[7:8]
	v_sub_nc_u32_e32 v1, 29, v2
	v_and_b32_e32 v0, 7, v0
; %bb.328:                              ;   in Loop: Header=BB327_11 Depth=1
	s_or_b32 exec_lo, exec_lo, s24
	v_lshlrev_b32_e32 v2, 8, v7
	v_lshl_add_u32 v1, v1, 10, 0x2000
	v_lshlrev_b32_e32 v0, 23, v0
	v_and_or_b32 v1, 0x8000, v2, v1
	v_lshl_or_b32 v0, v1, 16, v0
.LBB327_329:                            ;   in Loop: Header=BB327_11 Depth=1
	s_or_b32 exec_lo, exec_lo, s23
.LBB327_330:                            ;   in Loop: Header=BB327_11 Depth=1
	s_or_b32 exec_lo, exec_lo, s22
	buffer_store_dword v0, off, s[0:3], s32 offset:492 ; 4-byte Folded Spill
.LBB327_331:                            ;   in Loop: Header=BB327_11 Depth=1
	s_or_b32 exec_lo, exec_lo, s21
	flat_load_dwordx2 v[30:31], v[28:29] offset:1032
	s_waitcnt vmcnt(0) lgkmcnt(0)
	v_cmp_ne_u16_sdwa s5, v30, v8 src0_sel:BYTE_0 src1_sel:DWORD
	s_and_saveexec_b32 s21, s5
	s_cbranch_execz .LBB327_339
; %bb.332:                              ;   in Loop: Header=BB327_11 Depth=1
	v_cmp_ne_u16_sdwa s5, v30, v101 src0_sel:BYTE_0 src1_sel:DWORD
	v_mov_b32_e32 v0, 0x8000
	buffer_store_dword v0, off, s[0:3], s32 offset:284 ; 4-byte Folded Spill
	s_and_saveexec_b32 s22, s5
	s_cbranch_execz .LBB327_338
; %bb.333:                              ;   in Loop: Header=BB327_11 Depth=1
	v_and_b32_e32 v2, 0x7f, v30
	v_mov_b32_e32 v0, 0x7c01
	s_mov_b32 s23, exec_lo
	buffer_store_dword v0, off, s[0:3], s32 offset:284 ; 4-byte Folded Spill
	v_cmpx_ne_u32_e32 0x7f, v2
	s_cbranch_execz .LBB327_337
; %bb.334:                              ;   in Loop: Header=BB327_11 Depth=1
	v_and_b32_e32 v0, 7, v30
	v_lshrrev_b32_e32 v1, 3, v2
	s_mov_b32 s24, exec_lo
	v_cmpx_gt_u32_e32 8, v2
; %bb.335:                              ;   in Loop: Header=BB327_11 Depth=1
	v_ffbh_u32_e32 v0, v0
	v_min_u32_e32 v2, 32, v0
	v_subrev_nc_u32_e32 v0, 28, v2
	v_lshlrev_b64 v[0:1], v0, v[30:31]
	v_sub_nc_u32_e32 v1, 29, v2
	v_and_b32_e32 v0, 7, v0
; %bb.336:                              ;   in Loop: Header=BB327_11 Depth=1
	s_or_b32 exec_lo, exec_lo, s24
	v_lshlrev_b32_e32 v2, 8, v30
	v_lshl_add_u32 v1, v1, 10, 0x2000
	v_lshlrev_b32_e32 v0, 7, v0
	v_and_b32_e32 v2, 0x8000, v2
	v_and_b32_e32 v1, 0xfc00, v1
	v_or3_b32 v0, v2, v1, v0
	buffer_store_dword v0, off, s[0:3], s32 offset:284 ; 4-byte Folded Spill
.LBB327_337:                            ;   in Loop: Header=BB327_11 Depth=1
	s_or_b32 exec_lo, exec_lo, s23
.LBB327_338:                            ;   in Loop: Header=BB327_11 Depth=1
	s_or_b32 exec_lo, exec_lo, s22
.LBB327_339:                            ;   in Loop: Header=BB327_11 Depth=1
	s_or_b32 exec_lo, exec_lo, s21
	v_mov_b32_e32 v0, 0
	v_lshrrev_b16 v7, 8, v30
	s_mov_b32 s21, exec_lo
	buffer_store_dword v0, off, s[0:3], s32 offset:292 ; 4-byte Folded Spill
	v_mov_b32_e32 v0, 0
	buffer_store_dword v0, off, s[0:3], s32 offset:288 ; 4-byte Folded Spill
	v_cmpx_ne_u16_e32 0, v7
	s_cbranch_execz .LBB327_347
; %bb.340:                              ;   in Loop: Header=BB327_11 Depth=1
	v_bfrev_b32_e32 v0, 1
	s_mov_b32 s22, exec_lo
	buffer_store_dword v0, off, s[0:3], s32 offset:288 ; 4-byte Folded Spill
	v_cmpx_ne_u16_e32 0x80, v7
	s_cbranch_execz .LBB327_346
; %bb.341:                              ;   in Loop: Header=BB327_11 Depth=1
	v_mov_b32_e32 v0, 0x7f
	s_mov_b32 s23, exec_lo
	v_and_b32_sdwa v2, v7, v0 dst_sel:DWORD dst_unused:UNUSED_PAD src0_sel:WORD_0 src1_sel:DWORD
	v_mov_b32_e32 v0, 0x7c010000
	buffer_store_dword v0, off, s[0:3], s32 offset:288 ; 4-byte Folded Spill
	v_cmpx_ne_u32_e32 0x7f, v2
	s_cbranch_execz .LBB327_345
; %bb.342:                              ;   in Loop: Header=BB327_11 Depth=1
	v_mov_b32_e32 v0, 7
	v_lshrrev_b32_e32 v1, 3, v2
	s_mov_b32 s24, exec_lo
	v_and_b32_sdwa v0, v7, v0 dst_sel:DWORD dst_unused:UNUSED_PAD src0_sel:WORD_0 src1_sel:DWORD
	v_cmpx_gt_u32_e32 8, v2
; %bb.343:                              ;   in Loop: Header=BB327_11 Depth=1
	v_ffbh_u32_e32 v0, v0
	v_min_u32_e32 v2, 32, v0
	v_subrev_nc_u32_e32 v0, 28, v2
	v_lshlrev_b64 v[0:1], v0, v[7:8]
	v_sub_nc_u32_e32 v1, 29, v2
	v_and_b32_e32 v0, 7, v0
; %bb.344:                              ;   in Loop: Header=BB327_11 Depth=1
	s_or_b32 exec_lo, exec_lo, s24
	v_mov_b32_e32 v2, 8
	v_lshl_add_u32 v1, v1, 10, 0x2000
	v_lshlrev_b32_e32 v0, 23, v0
	v_lshlrev_b32_sdwa v2, v2, v7 dst_sel:DWORD dst_unused:UNUSED_PAD src0_sel:DWORD src1_sel:WORD_0
	v_and_or_b32 v1, 0x8000, v2, v1
	v_lshl_or_b32 v0, v1, 16, v0
	buffer_store_dword v0, off, s[0:3], s32 offset:288 ; 4-byte Folded Spill
.LBB327_345:                            ;   in Loop: Header=BB327_11 Depth=1
	s_or_b32 exec_lo, exec_lo, s23
.LBB327_346:                            ;   in Loop: Header=BB327_11 Depth=1
	s_or_b32 exec_lo, exec_lo, s22
.LBB327_347:                            ;   in Loop: Header=BB327_11 Depth=1
	s_or_b32 exec_lo, exec_lo, s21
	v_lshrrev_b32_e32 v7, 16, v30
	v_cmp_ne_u16_sdwa s5, v7, v8 src0_sel:BYTE_0 src1_sel:DWORD
	s_and_saveexec_b32 s21, s5
	s_cbranch_execz .LBB327_355
; %bb.348:                              ;   in Loop: Header=BB327_11 Depth=1
	v_cmp_ne_u16_sdwa s5, v7, v101 src0_sel:BYTE_0 src1_sel:DWORD
	v_mov_b32_e32 v0, 0x8000
	buffer_store_dword v0, off, s[0:3], s32 offset:292 ; 4-byte Folded Spill
	s_and_saveexec_b32 s22, s5
	s_cbranch_execz .LBB327_354
; %bb.349:                              ;   in Loop: Header=BB327_11 Depth=1
	v_bfe_u32 v2, v30, 16, 7
	v_mov_b32_e32 v0, 0x7c01
	s_mov_b32 s23, exec_lo
	buffer_store_dword v0, off, s[0:3], s32 offset:292 ; 4-byte Folded Spill
	v_cmpx_ne_u32_e32 0x7f, v2
	s_cbranch_execz .LBB327_353
; %bb.350:                              ;   in Loop: Header=BB327_11 Depth=1
	v_and_b32_e32 v0, 7, v7
	v_lshrrev_b32_e32 v1, 3, v2
	s_mov_b32 s24, exec_lo
	v_cmpx_gt_u32_e32 8, v2
; %bb.351:                              ;   in Loop: Header=BB327_11 Depth=1
	v_ffbh_u32_e32 v0, v0
	v_min_u32_e32 v2, 32, v0
	v_subrev_nc_u32_e32 v0, 28, v2
	v_lshlrev_b64 v[0:1], v0, v[7:8]
	v_sub_nc_u32_e32 v1, 29, v2
	v_and_b32_e32 v0, 7, v0
; %bb.352:                              ;   in Loop: Header=BB327_11 Depth=1
	s_or_b32 exec_lo, exec_lo, s24
	v_lshlrev_b32_e32 v2, 8, v7
	v_lshl_add_u32 v1, v1, 10, 0x2000
	v_lshlrev_b32_e32 v0, 7, v0
	v_and_b32_e32 v2, 0x8000, v2
	v_and_b32_e32 v1, 0xfc00, v1
	v_or3_b32 v0, v2, v1, v0
	buffer_store_dword v0, off, s[0:3], s32 offset:292 ; 4-byte Folded Spill
.LBB327_353:                            ;   in Loop: Header=BB327_11 Depth=1
	s_or_b32 exec_lo, exec_lo, s23
.LBB327_354:                            ;   in Loop: Header=BB327_11 Depth=1
	s_or_b32 exec_lo, exec_lo, s22
.LBB327_355:                            ;   in Loop: Header=BB327_11 Depth=1
	s_or_b32 exec_lo, exec_lo, s21
	v_mov_b32_e32 v0, 0
	s_mov_b32 s21, exec_lo
	buffer_store_dword v0, off, s[0:3], s32 offset:296 ; 4-byte Folded Spill
	v_mov_b32_e32 v0, 0
	buffer_store_dword v0, off, s[0:3], s32 offset:300 ; 4-byte Folded Spill
	v_cmpx_lt_u32_e32 0xffffff, v30
	s_cbranch_execz .LBB327_363
; %bb.356:                              ;   in Loop: Header=BB327_11 Depth=1
	v_lshrrev_b32_e32 v7, 24, v30
	v_bfrev_b32_e32 v0, 1
	s_mov_b32 s22, exec_lo
	buffer_store_dword v0, off, s[0:3], s32 offset:300 ; 4-byte Folded Spill
	v_cmpx_ne_u32_e32 0x80, v7
	s_cbranch_execz .LBB327_362
; %bb.357:                              ;   in Loop: Header=BB327_11 Depth=1
	v_and_b32_e32 v2, 0x7f, v7
	v_mov_b32_e32 v0, 0x7c010000
	s_mov_b32 s23, exec_lo
	buffer_store_dword v0, off, s[0:3], s32 offset:300 ; 4-byte Folded Spill
	v_cmpx_ne_u32_e32 0x7f, v2
	s_cbranch_execz .LBB327_361
; %bb.358:                              ;   in Loop: Header=BB327_11 Depth=1
	v_and_b32_e32 v0, 7, v7
	v_lshrrev_b32_e32 v1, 3, v2
	s_mov_b32 s24, exec_lo
	v_cmpx_gt_u32_e32 8, v2
; %bb.359:                              ;   in Loop: Header=BB327_11 Depth=1
	v_ffbh_u32_e32 v0, v0
	v_min_u32_e32 v2, 32, v0
	v_subrev_nc_u32_e32 v0, 28, v2
	v_lshlrev_b64 v[0:1], v0, v[7:8]
	v_sub_nc_u32_e32 v1, 29, v2
	v_and_b32_e32 v0, 7, v0
; %bb.360:                              ;   in Loop: Header=BB327_11 Depth=1
	s_or_b32 exec_lo, exec_lo, s24
	v_lshlrev_b32_e32 v2, 8, v7
	v_lshl_add_u32 v1, v1, 10, 0x2000
	v_lshlrev_b32_e32 v0, 23, v0
	v_and_or_b32 v1, 0x8000, v2, v1
	v_lshl_or_b32 v0, v1, 16, v0
	buffer_store_dword v0, off, s[0:3], s32 offset:300 ; 4-byte Folded Spill
.LBB327_361:                            ;   in Loop: Header=BB327_11 Depth=1
	s_or_b32 exec_lo, exec_lo, s23
.LBB327_362:                            ;   in Loop: Header=BB327_11 Depth=1
	s_or_b32 exec_lo, exec_lo, s22
.LBB327_363:                            ;   in Loop: Header=BB327_11 Depth=1
	s_or_b32 exec_lo, exec_lo, s21
	v_mov_b32_e32 v7, v31
	v_cmp_ne_u16_sdwa s5, v31, v8 src0_sel:BYTE_0 src1_sel:DWORD
	s_and_saveexec_b32 s21, s5
	s_cbranch_execz .LBB327_371
; %bb.364:                              ;   in Loop: Header=BB327_11 Depth=1
	v_cmp_ne_u16_sdwa s5, v31, v101 src0_sel:BYTE_0 src1_sel:DWORD
	v_mov_b32_e32 v0, 0x8000
	buffer_store_dword v0, off, s[0:3], s32 offset:296 ; 4-byte Folded Spill
	s_and_saveexec_b32 s22, s5
	s_cbranch_execz .LBB327_370
; %bb.365:                              ;   in Loop: Header=BB327_11 Depth=1
	v_and_b32_e32 v2, 0x7f, v31
	v_mov_b32_e32 v0, 0x7c01
	s_mov_b32 s23, exec_lo
	buffer_store_dword v0, off, s[0:3], s32 offset:296 ; 4-byte Folded Spill
	v_cmpx_ne_u32_e32 0x7f, v2
	s_cbranch_execz .LBB327_369
; %bb.366:                              ;   in Loop: Header=BB327_11 Depth=1
	v_and_b32_e32 v0, 7, v31
	v_lshrrev_b32_e32 v1, 3, v2
	s_mov_b32 s24, exec_lo
	v_cmpx_gt_u32_e32 8, v2
; %bb.367:                              ;   in Loop: Header=BB327_11 Depth=1
	v_ffbh_u32_e32 v0, v0
	v_min_u32_e32 v2, 32, v0
	v_subrev_nc_u32_e32 v0, 28, v2
	v_lshlrev_b64 v[0:1], v0, v[7:8]
	v_sub_nc_u32_e32 v1, 29, v2
	v_and_b32_e32 v0, 7, v0
; %bb.368:                              ;   in Loop: Header=BB327_11 Depth=1
	s_or_b32 exec_lo, exec_lo, s24
	v_lshlrev_b32_e32 v2, 8, v31
	v_lshl_add_u32 v1, v1, 10, 0x2000
	v_lshlrev_b32_e32 v0, 7, v0
	v_and_b32_e32 v2, 0x8000, v2
	v_and_b32_e32 v1, 0xfc00, v1
	v_or3_b32 v0, v2, v1, v0
	buffer_store_dword v0, off, s[0:3], s32 offset:296 ; 4-byte Folded Spill
.LBB327_369:                            ;   in Loop: Header=BB327_11 Depth=1
	s_or_b32 exec_lo, exec_lo, s23
.LBB327_370:                            ;   in Loop: Header=BB327_11 Depth=1
	s_or_b32 exec_lo, exec_lo, s22
.LBB327_371:                            ;   in Loop: Header=BB327_11 Depth=1
	s_or_b32 exec_lo, exec_lo, s21
	v_mov_b32_e32 v0, 0
	v_lshrrev_b16 v7, 8, v7
	s_mov_b32 s21, exec_lo
	buffer_store_dword v0, off, s[0:3], s32 offset:304 ; 4-byte Folded Spill
	v_mov_b32_e32 v0, 0
	buffer_store_dword v0, off, s[0:3], s32 offset:308 ; 4-byte Folded Spill
	v_cmpx_ne_u16_e32 0, v7
	s_cbranch_execz .LBB327_379
; %bb.372:                              ;   in Loop: Header=BB327_11 Depth=1
	v_bfrev_b32_e32 v0, 1
	s_mov_b32 s22, exec_lo
	buffer_store_dword v0, off, s[0:3], s32 offset:308 ; 4-byte Folded Spill
	v_cmpx_ne_u16_e32 0x80, v7
	s_cbranch_execz .LBB327_378
; %bb.373:                              ;   in Loop: Header=BB327_11 Depth=1
	v_mov_b32_e32 v0, 0x7f
	s_mov_b32 s23, exec_lo
	v_and_b32_sdwa v2, v7, v0 dst_sel:DWORD dst_unused:UNUSED_PAD src0_sel:WORD_0 src1_sel:DWORD
	v_mov_b32_e32 v0, 0x7c010000
	buffer_store_dword v0, off, s[0:3], s32 offset:308 ; 4-byte Folded Spill
	v_cmpx_ne_u32_e32 0x7f, v2
	s_cbranch_execz .LBB327_377
; %bb.374:                              ;   in Loop: Header=BB327_11 Depth=1
	v_mov_b32_e32 v0, 7
	v_lshrrev_b32_e32 v1, 3, v2
	s_mov_b32 s24, exec_lo
	v_and_b32_sdwa v0, v7, v0 dst_sel:DWORD dst_unused:UNUSED_PAD src0_sel:WORD_0 src1_sel:DWORD
	v_cmpx_gt_u32_e32 8, v2
; %bb.375:                              ;   in Loop: Header=BB327_11 Depth=1
	v_ffbh_u32_e32 v0, v0
	v_min_u32_e32 v2, 32, v0
	v_subrev_nc_u32_e32 v0, 28, v2
	v_lshlrev_b64 v[0:1], v0, v[7:8]
	v_sub_nc_u32_e32 v1, 29, v2
	v_and_b32_e32 v0, 7, v0
; %bb.376:                              ;   in Loop: Header=BB327_11 Depth=1
	s_or_b32 exec_lo, exec_lo, s24
	v_mov_b32_e32 v2, 8
	v_lshl_add_u32 v1, v1, 10, 0x2000
	v_lshlrev_b32_e32 v0, 23, v0
	v_lshlrev_b32_sdwa v2, v2, v7 dst_sel:DWORD dst_unused:UNUSED_PAD src0_sel:DWORD src1_sel:WORD_0
	v_and_or_b32 v1, 0x8000, v2, v1
	v_lshl_or_b32 v0, v1, 16, v0
	buffer_store_dword v0, off, s[0:3], s32 offset:308 ; 4-byte Folded Spill
.LBB327_377:                            ;   in Loop: Header=BB327_11 Depth=1
	s_or_b32 exec_lo, exec_lo, s23
.LBB327_378:                            ;   in Loop: Header=BB327_11 Depth=1
	s_or_b32 exec_lo, exec_lo, s22
.LBB327_379:                            ;   in Loop: Header=BB327_11 Depth=1
	s_or_b32 exec_lo, exec_lo, s21
	v_lshrrev_b32_e32 v7, 16, v31
	v_cmp_ne_u16_sdwa s5, v7, v8 src0_sel:BYTE_0 src1_sel:DWORD
	s_and_saveexec_b32 s21, s5
	s_cbranch_execz .LBB327_387
; %bb.380:                              ;   in Loop: Header=BB327_11 Depth=1
	v_cmp_ne_u16_sdwa s5, v7, v101 src0_sel:BYTE_0 src1_sel:DWORD
	v_mov_b32_e32 v0, 0x8000
	buffer_store_dword v0, off, s[0:3], s32 offset:304 ; 4-byte Folded Spill
	s_and_saveexec_b32 s22, s5
	s_cbranch_execz .LBB327_386
; %bb.381:                              ;   in Loop: Header=BB327_11 Depth=1
	v_bfe_u32 v2, v31, 16, 7
	v_mov_b32_e32 v0, 0x7c01
	s_mov_b32 s23, exec_lo
	buffer_store_dword v0, off, s[0:3], s32 offset:304 ; 4-byte Folded Spill
	v_cmpx_ne_u32_e32 0x7f, v2
	s_cbranch_execz .LBB327_385
; %bb.382:                              ;   in Loop: Header=BB327_11 Depth=1
	v_and_b32_e32 v0, 7, v7
	v_lshrrev_b32_e32 v1, 3, v2
	s_mov_b32 s24, exec_lo
	v_cmpx_gt_u32_e32 8, v2
; %bb.383:                              ;   in Loop: Header=BB327_11 Depth=1
	v_ffbh_u32_e32 v0, v0
	v_min_u32_e32 v2, 32, v0
	v_subrev_nc_u32_e32 v0, 28, v2
	v_lshlrev_b64 v[0:1], v0, v[7:8]
	v_sub_nc_u32_e32 v1, 29, v2
	v_and_b32_e32 v0, 7, v0
; %bb.384:                              ;   in Loop: Header=BB327_11 Depth=1
	s_or_b32 exec_lo, exec_lo, s24
	v_lshlrev_b32_e32 v2, 8, v7
	v_lshl_add_u32 v1, v1, 10, 0x2000
	v_lshlrev_b32_e32 v0, 7, v0
	v_and_b32_e32 v2, 0x8000, v2
	v_and_b32_e32 v1, 0xfc00, v1
	v_or3_b32 v0, v2, v1, v0
	buffer_store_dword v0, off, s[0:3], s32 offset:304 ; 4-byte Folded Spill
.LBB327_385:                            ;   in Loop: Header=BB327_11 Depth=1
	s_or_b32 exec_lo, exec_lo, s23
.LBB327_386:                            ;   in Loop: Header=BB327_11 Depth=1
	s_or_b32 exec_lo, exec_lo, s22
.LBB327_387:                            ;   in Loop: Header=BB327_11 Depth=1
	s_or_b32 exec_lo, exec_lo, s21
	v_mov_b32_e32 v0, 0
	s_mov_b32 s21, exec_lo
	buffer_store_dword v0, off, s[0:3], s32 offset:312 ; 4-byte Folded Spill
	v_mov_b32_e32 v0, 0
	buffer_store_dword v0, off, s[0:3], s32 offset:496 ; 4-byte Folded Spill
	v_cmpx_lt_u64_e64 s[6:7], v[30:31]
	s_cbranch_execz .LBB327_395
; %bb.388:                              ;   in Loop: Header=BB327_11 Depth=1
	v_lshrrev_b32_e32 v7, 24, v31
	v_bfrev_b32_e32 v0, 1
	s_mov_b32 s22, exec_lo
	v_cmpx_ne_u32_e32 0x80, v7
	s_cbranch_execz .LBB327_394
; %bb.389:                              ;   in Loop: Header=BB327_11 Depth=1
	v_and_b32_e32 v2, 0x7f, v7
	v_mov_b32_e32 v0, 0x7c010000
	s_mov_b32 s23, exec_lo
	v_cmpx_ne_u32_e32 0x7f, v2
	s_cbranch_execz .LBB327_393
; %bb.390:                              ;   in Loop: Header=BB327_11 Depth=1
	v_and_b32_e32 v0, 7, v7
	v_lshrrev_b32_e32 v1, 3, v2
	s_mov_b32 s24, exec_lo
	v_cmpx_gt_u32_e32 8, v2
; %bb.391:                              ;   in Loop: Header=BB327_11 Depth=1
	v_ffbh_u32_e32 v0, v0
	v_min_u32_e32 v2, 32, v0
	v_subrev_nc_u32_e32 v0, 28, v2
	v_lshlrev_b64 v[0:1], v0, v[7:8]
	v_sub_nc_u32_e32 v1, 29, v2
	v_and_b32_e32 v0, 7, v0
; %bb.392:                              ;   in Loop: Header=BB327_11 Depth=1
	s_or_b32 exec_lo, exec_lo, s24
	v_lshlrev_b32_e32 v2, 8, v7
	v_lshl_add_u32 v1, v1, 10, 0x2000
	v_lshlrev_b32_e32 v0, 23, v0
	v_and_or_b32 v1, 0x8000, v2, v1
	v_lshl_or_b32 v0, v1, 16, v0
.LBB327_393:                            ;   in Loop: Header=BB327_11 Depth=1
	s_or_b32 exec_lo, exec_lo, s23
.LBB327_394:                            ;   in Loop: Header=BB327_11 Depth=1
	s_or_b32 exec_lo, exec_lo, s22
	buffer_store_dword v0, off, s[0:3], s32 offset:496 ; 4-byte Folded Spill
.LBB327_395:                            ;   in Loop: Header=BB327_11 Depth=1
	s_or_b32 exec_lo, exec_lo, s21
	flat_load_dwordx2 v[30:31], v[28:29] offset:1536
	s_waitcnt vmcnt(0) lgkmcnt(0)
	v_cmp_ne_u16_sdwa s5, v30, v8 src0_sel:BYTE_0 src1_sel:DWORD
	s_and_saveexec_b32 s21, s5
	s_cbranch_execz .LBB327_403
; %bb.396:                              ;   in Loop: Header=BB327_11 Depth=1
	v_cmp_ne_u16_sdwa s5, v30, v101 src0_sel:BYTE_0 src1_sel:DWORD
	v_mov_b32_e32 v0, 0x8000
	buffer_store_dword v0, off, s[0:3], s32 offset:312 ; 4-byte Folded Spill
	s_and_saveexec_b32 s22, s5
	s_cbranch_execz .LBB327_402
; %bb.397:                              ;   in Loop: Header=BB327_11 Depth=1
	v_and_b32_e32 v2, 0x7f, v30
	v_mov_b32_e32 v0, 0x7c01
	s_mov_b32 s23, exec_lo
	buffer_store_dword v0, off, s[0:3], s32 offset:312 ; 4-byte Folded Spill
	v_cmpx_ne_u32_e32 0x7f, v2
	s_cbranch_execz .LBB327_401
; %bb.398:                              ;   in Loop: Header=BB327_11 Depth=1
	v_and_b32_e32 v0, 7, v30
	v_lshrrev_b32_e32 v1, 3, v2
	s_mov_b32 s24, exec_lo
	v_cmpx_gt_u32_e32 8, v2
; %bb.399:                              ;   in Loop: Header=BB327_11 Depth=1
	v_ffbh_u32_e32 v0, v0
	v_min_u32_e32 v2, 32, v0
	v_subrev_nc_u32_e32 v0, 28, v2
	v_lshlrev_b64 v[0:1], v0, v[30:31]
	v_sub_nc_u32_e32 v1, 29, v2
	v_and_b32_e32 v0, 7, v0
; %bb.400:                              ;   in Loop: Header=BB327_11 Depth=1
	s_or_b32 exec_lo, exec_lo, s24
	v_lshlrev_b32_e32 v2, 8, v30
	v_lshl_add_u32 v1, v1, 10, 0x2000
	v_lshlrev_b32_e32 v0, 7, v0
	v_and_b32_e32 v2, 0x8000, v2
	v_and_b32_e32 v1, 0xfc00, v1
	v_or3_b32 v0, v2, v1, v0
	buffer_store_dword v0, off, s[0:3], s32 offset:312 ; 4-byte Folded Spill
.LBB327_401:                            ;   in Loop: Header=BB327_11 Depth=1
	s_or_b32 exec_lo, exec_lo, s23
.LBB327_402:                            ;   in Loop: Header=BB327_11 Depth=1
	s_or_b32 exec_lo, exec_lo, s22
.LBB327_403:                            ;   in Loop: Header=BB327_11 Depth=1
	s_or_b32 exec_lo, exec_lo, s21
	v_mov_b32_e32 v0, 0
	v_lshrrev_b16 v7, 8, v30
	s_mov_b32 s21, exec_lo
	buffer_store_dword v0, off, s[0:3], s32 offset:320 ; 4-byte Folded Spill
	v_mov_b32_e32 v0, 0
	buffer_store_dword v0, off, s[0:3], s32 offset:316 ; 4-byte Folded Spill
	v_cmpx_ne_u16_e32 0, v7
	s_cbranch_execz .LBB327_411
; %bb.404:                              ;   in Loop: Header=BB327_11 Depth=1
	v_bfrev_b32_e32 v0, 1
	s_mov_b32 s22, exec_lo
	buffer_store_dword v0, off, s[0:3], s32 offset:316 ; 4-byte Folded Spill
	v_cmpx_ne_u16_e32 0x80, v7
	s_cbranch_execz .LBB327_410
; %bb.405:                              ;   in Loop: Header=BB327_11 Depth=1
	v_mov_b32_e32 v0, 0x7f
	s_mov_b32 s23, exec_lo
	v_and_b32_sdwa v2, v7, v0 dst_sel:DWORD dst_unused:UNUSED_PAD src0_sel:WORD_0 src1_sel:DWORD
	v_mov_b32_e32 v0, 0x7c010000
	buffer_store_dword v0, off, s[0:3], s32 offset:316 ; 4-byte Folded Spill
	v_cmpx_ne_u32_e32 0x7f, v2
	s_cbranch_execz .LBB327_409
; %bb.406:                              ;   in Loop: Header=BB327_11 Depth=1
	v_mov_b32_e32 v0, 7
	v_lshrrev_b32_e32 v1, 3, v2
	s_mov_b32 s24, exec_lo
	v_and_b32_sdwa v0, v7, v0 dst_sel:DWORD dst_unused:UNUSED_PAD src0_sel:WORD_0 src1_sel:DWORD
	v_cmpx_gt_u32_e32 8, v2
; %bb.407:                              ;   in Loop: Header=BB327_11 Depth=1
	v_ffbh_u32_e32 v0, v0
	v_min_u32_e32 v2, 32, v0
	v_subrev_nc_u32_e32 v0, 28, v2
	v_lshlrev_b64 v[0:1], v0, v[7:8]
	v_sub_nc_u32_e32 v1, 29, v2
	v_and_b32_e32 v0, 7, v0
; %bb.408:                              ;   in Loop: Header=BB327_11 Depth=1
	s_or_b32 exec_lo, exec_lo, s24
	v_mov_b32_e32 v2, 8
	v_lshl_add_u32 v1, v1, 10, 0x2000
	v_lshlrev_b32_e32 v0, 23, v0
	v_lshlrev_b32_sdwa v2, v2, v7 dst_sel:DWORD dst_unused:UNUSED_PAD src0_sel:DWORD src1_sel:WORD_0
	v_and_or_b32 v1, 0x8000, v2, v1
	v_lshl_or_b32 v0, v1, 16, v0
	buffer_store_dword v0, off, s[0:3], s32 offset:316 ; 4-byte Folded Spill
.LBB327_409:                            ;   in Loop: Header=BB327_11 Depth=1
	s_or_b32 exec_lo, exec_lo, s23
.LBB327_410:                            ;   in Loop: Header=BB327_11 Depth=1
	s_or_b32 exec_lo, exec_lo, s22
.LBB327_411:                            ;   in Loop: Header=BB327_11 Depth=1
	s_or_b32 exec_lo, exec_lo, s21
	v_lshrrev_b32_e32 v7, 16, v30
	v_cmp_ne_u16_sdwa s5, v7, v8 src0_sel:BYTE_0 src1_sel:DWORD
	s_and_saveexec_b32 s21, s5
	s_cbranch_execz .LBB327_419
; %bb.412:                              ;   in Loop: Header=BB327_11 Depth=1
	v_cmp_ne_u16_sdwa s5, v7, v101 src0_sel:BYTE_0 src1_sel:DWORD
	v_mov_b32_e32 v0, 0x8000
	buffer_store_dword v0, off, s[0:3], s32 offset:320 ; 4-byte Folded Spill
	s_and_saveexec_b32 s22, s5
	s_cbranch_execz .LBB327_418
; %bb.413:                              ;   in Loop: Header=BB327_11 Depth=1
	v_bfe_u32 v2, v30, 16, 7
	v_mov_b32_e32 v0, 0x7c01
	s_mov_b32 s23, exec_lo
	buffer_store_dword v0, off, s[0:3], s32 offset:320 ; 4-byte Folded Spill
	v_cmpx_ne_u32_e32 0x7f, v2
	s_cbranch_execz .LBB327_417
; %bb.414:                              ;   in Loop: Header=BB327_11 Depth=1
	v_and_b32_e32 v0, 7, v7
	v_lshrrev_b32_e32 v1, 3, v2
	s_mov_b32 s24, exec_lo
	v_cmpx_gt_u32_e32 8, v2
; %bb.415:                              ;   in Loop: Header=BB327_11 Depth=1
	v_ffbh_u32_e32 v0, v0
	v_min_u32_e32 v2, 32, v0
	v_subrev_nc_u32_e32 v0, 28, v2
	v_lshlrev_b64 v[0:1], v0, v[7:8]
	v_sub_nc_u32_e32 v1, 29, v2
	v_and_b32_e32 v0, 7, v0
; %bb.416:                              ;   in Loop: Header=BB327_11 Depth=1
	s_or_b32 exec_lo, exec_lo, s24
	v_lshlrev_b32_e32 v2, 8, v7
	v_lshl_add_u32 v1, v1, 10, 0x2000
	v_lshlrev_b32_e32 v0, 7, v0
	v_and_b32_e32 v2, 0x8000, v2
	v_and_b32_e32 v1, 0xfc00, v1
	v_or3_b32 v0, v2, v1, v0
	buffer_store_dword v0, off, s[0:3], s32 offset:320 ; 4-byte Folded Spill
.LBB327_417:                            ;   in Loop: Header=BB327_11 Depth=1
	s_or_b32 exec_lo, exec_lo, s23
.LBB327_418:                            ;   in Loop: Header=BB327_11 Depth=1
	s_or_b32 exec_lo, exec_lo, s22
.LBB327_419:                            ;   in Loop: Header=BB327_11 Depth=1
	s_or_b32 exec_lo, exec_lo, s21
	v_mov_b32_e32 v0, 0
	s_mov_b32 s21, exec_lo
	buffer_store_dword v0, off, s[0:3], s32 offset:324 ; 4-byte Folded Spill
	v_mov_b32_e32 v0, 0
	buffer_store_dword v0, off, s[0:3], s32 offset:328 ; 4-byte Folded Spill
	v_cmpx_lt_u32_e32 0xffffff, v30
	s_cbranch_execz .LBB327_427
; %bb.420:                              ;   in Loop: Header=BB327_11 Depth=1
	v_lshrrev_b32_e32 v7, 24, v30
	v_bfrev_b32_e32 v0, 1
	s_mov_b32 s22, exec_lo
	buffer_store_dword v0, off, s[0:3], s32 offset:328 ; 4-byte Folded Spill
	v_cmpx_ne_u32_e32 0x80, v7
	s_cbranch_execz .LBB327_426
; %bb.421:                              ;   in Loop: Header=BB327_11 Depth=1
	v_and_b32_e32 v2, 0x7f, v7
	v_mov_b32_e32 v0, 0x7c010000
	s_mov_b32 s23, exec_lo
	buffer_store_dword v0, off, s[0:3], s32 offset:328 ; 4-byte Folded Spill
	v_cmpx_ne_u32_e32 0x7f, v2
	s_cbranch_execz .LBB327_425
; %bb.422:                              ;   in Loop: Header=BB327_11 Depth=1
	v_and_b32_e32 v0, 7, v7
	v_lshrrev_b32_e32 v1, 3, v2
	s_mov_b32 s24, exec_lo
	v_cmpx_gt_u32_e32 8, v2
; %bb.423:                              ;   in Loop: Header=BB327_11 Depth=1
	v_ffbh_u32_e32 v0, v0
	v_min_u32_e32 v2, 32, v0
	v_subrev_nc_u32_e32 v0, 28, v2
	v_lshlrev_b64 v[0:1], v0, v[7:8]
	v_sub_nc_u32_e32 v1, 29, v2
	v_and_b32_e32 v0, 7, v0
; %bb.424:                              ;   in Loop: Header=BB327_11 Depth=1
	s_or_b32 exec_lo, exec_lo, s24
	v_lshlrev_b32_e32 v2, 8, v7
	v_lshl_add_u32 v1, v1, 10, 0x2000
	v_lshlrev_b32_e32 v0, 23, v0
	v_and_or_b32 v1, 0x8000, v2, v1
	v_lshl_or_b32 v0, v1, 16, v0
	buffer_store_dword v0, off, s[0:3], s32 offset:328 ; 4-byte Folded Spill
.LBB327_425:                            ;   in Loop: Header=BB327_11 Depth=1
	s_or_b32 exec_lo, exec_lo, s23
.LBB327_426:                            ;   in Loop: Header=BB327_11 Depth=1
	s_or_b32 exec_lo, exec_lo, s22
.LBB327_427:                            ;   in Loop: Header=BB327_11 Depth=1
	s_or_b32 exec_lo, exec_lo, s21
	v_mov_b32_e32 v7, v31
	v_cmp_ne_u16_sdwa s5, v31, v8 src0_sel:BYTE_0 src1_sel:DWORD
	s_and_saveexec_b32 s21, s5
	s_cbranch_execz .LBB327_435
; %bb.428:                              ;   in Loop: Header=BB327_11 Depth=1
	v_cmp_ne_u16_sdwa s5, v31, v101 src0_sel:BYTE_0 src1_sel:DWORD
	v_mov_b32_e32 v0, 0x8000
	buffer_store_dword v0, off, s[0:3], s32 offset:324 ; 4-byte Folded Spill
	s_and_saveexec_b32 s22, s5
	s_cbranch_execz .LBB327_434
; %bb.429:                              ;   in Loop: Header=BB327_11 Depth=1
	v_and_b32_e32 v2, 0x7f, v31
	v_mov_b32_e32 v0, 0x7c01
	s_mov_b32 s23, exec_lo
	buffer_store_dword v0, off, s[0:3], s32 offset:324 ; 4-byte Folded Spill
	v_cmpx_ne_u32_e32 0x7f, v2
	s_cbranch_execz .LBB327_433
; %bb.430:                              ;   in Loop: Header=BB327_11 Depth=1
	v_and_b32_e32 v0, 7, v31
	v_lshrrev_b32_e32 v1, 3, v2
	s_mov_b32 s24, exec_lo
	v_cmpx_gt_u32_e32 8, v2
; %bb.431:                              ;   in Loop: Header=BB327_11 Depth=1
	v_ffbh_u32_e32 v0, v0
	v_min_u32_e32 v2, 32, v0
	v_subrev_nc_u32_e32 v0, 28, v2
	v_lshlrev_b64 v[0:1], v0, v[7:8]
	v_sub_nc_u32_e32 v1, 29, v2
	v_and_b32_e32 v0, 7, v0
; %bb.432:                              ;   in Loop: Header=BB327_11 Depth=1
	s_or_b32 exec_lo, exec_lo, s24
	v_lshlrev_b32_e32 v2, 8, v31
	v_lshl_add_u32 v1, v1, 10, 0x2000
	v_lshlrev_b32_e32 v0, 7, v0
	v_and_b32_e32 v2, 0x8000, v2
	v_and_b32_e32 v1, 0xfc00, v1
	v_or3_b32 v0, v2, v1, v0
	buffer_store_dword v0, off, s[0:3], s32 offset:324 ; 4-byte Folded Spill
.LBB327_433:                            ;   in Loop: Header=BB327_11 Depth=1
	s_or_b32 exec_lo, exec_lo, s23
.LBB327_434:                            ;   in Loop: Header=BB327_11 Depth=1
	s_or_b32 exec_lo, exec_lo, s22
.LBB327_435:                            ;   in Loop: Header=BB327_11 Depth=1
	s_or_b32 exec_lo, exec_lo, s21
	v_mov_b32_e32 v0, 0
	v_lshrrev_b16 v7, 8, v7
	s_mov_b32 s21, exec_lo
	buffer_store_dword v0, off, s[0:3], s32 offset:332 ; 4-byte Folded Spill
	v_mov_b32_e32 v0, 0
	buffer_store_dword v0, off, s[0:3], s32 offset:336 ; 4-byte Folded Spill
	v_cmpx_ne_u16_e32 0, v7
	s_cbranch_execz .LBB327_443
; %bb.436:                              ;   in Loop: Header=BB327_11 Depth=1
	v_bfrev_b32_e32 v0, 1
	s_mov_b32 s22, exec_lo
	buffer_store_dword v0, off, s[0:3], s32 offset:336 ; 4-byte Folded Spill
	v_cmpx_ne_u16_e32 0x80, v7
	s_cbranch_execz .LBB327_442
; %bb.437:                              ;   in Loop: Header=BB327_11 Depth=1
	v_mov_b32_e32 v0, 0x7f
	s_mov_b32 s23, exec_lo
	v_and_b32_sdwa v2, v7, v0 dst_sel:DWORD dst_unused:UNUSED_PAD src0_sel:WORD_0 src1_sel:DWORD
	v_mov_b32_e32 v0, 0x7c010000
	buffer_store_dword v0, off, s[0:3], s32 offset:336 ; 4-byte Folded Spill
	v_cmpx_ne_u32_e32 0x7f, v2
	s_cbranch_execz .LBB327_441
; %bb.438:                              ;   in Loop: Header=BB327_11 Depth=1
	v_mov_b32_e32 v0, 7
	v_lshrrev_b32_e32 v1, 3, v2
	s_mov_b32 s24, exec_lo
	v_and_b32_sdwa v0, v7, v0 dst_sel:DWORD dst_unused:UNUSED_PAD src0_sel:WORD_0 src1_sel:DWORD
	v_cmpx_gt_u32_e32 8, v2
; %bb.439:                              ;   in Loop: Header=BB327_11 Depth=1
	v_ffbh_u32_e32 v0, v0
	v_min_u32_e32 v2, 32, v0
	v_subrev_nc_u32_e32 v0, 28, v2
	v_lshlrev_b64 v[0:1], v0, v[7:8]
	v_sub_nc_u32_e32 v1, 29, v2
	v_and_b32_e32 v0, 7, v0
; %bb.440:                              ;   in Loop: Header=BB327_11 Depth=1
	s_or_b32 exec_lo, exec_lo, s24
	v_mov_b32_e32 v2, 8
	v_lshl_add_u32 v1, v1, 10, 0x2000
	v_lshlrev_b32_e32 v0, 23, v0
	v_lshlrev_b32_sdwa v2, v2, v7 dst_sel:DWORD dst_unused:UNUSED_PAD src0_sel:DWORD src1_sel:WORD_0
	v_and_or_b32 v1, 0x8000, v2, v1
	v_lshl_or_b32 v0, v1, 16, v0
	buffer_store_dword v0, off, s[0:3], s32 offset:336 ; 4-byte Folded Spill
.LBB327_441:                            ;   in Loop: Header=BB327_11 Depth=1
	s_or_b32 exec_lo, exec_lo, s23
.LBB327_442:                            ;   in Loop: Header=BB327_11 Depth=1
	s_or_b32 exec_lo, exec_lo, s22
.LBB327_443:                            ;   in Loop: Header=BB327_11 Depth=1
	s_or_b32 exec_lo, exec_lo, s21
	v_lshrrev_b32_e32 v7, 16, v31
	v_cmp_ne_u16_sdwa s5, v7, v8 src0_sel:BYTE_0 src1_sel:DWORD
	s_and_saveexec_b32 s21, s5
	s_cbranch_execz .LBB327_451
; %bb.444:                              ;   in Loop: Header=BB327_11 Depth=1
	v_cmp_ne_u16_sdwa s5, v7, v101 src0_sel:BYTE_0 src1_sel:DWORD
	v_mov_b32_e32 v0, 0x8000
	buffer_store_dword v0, off, s[0:3], s32 offset:332 ; 4-byte Folded Spill
	s_and_saveexec_b32 s22, s5
	s_cbranch_execz .LBB327_450
; %bb.445:                              ;   in Loop: Header=BB327_11 Depth=1
	v_bfe_u32 v2, v31, 16, 7
	v_mov_b32_e32 v0, 0x7c01
	s_mov_b32 s23, exec_lo
	buffer_store_dword v0, off, s[0:3], s32 offset:332 ; 4-byte Folded Spill
	v_cmpx_ne_u32_e32 0x7f, v2
	s_cbranch_execz .LBB327_449
; %bb.446:                              ;   in Loop: Header=BB327_11 Depth=1
	v_and_b32_e32 v0, 7, v7
	v_lshrrev_b32_e32 v1, 3, v2
	s_mov_b32 s24, exec_lo
	v_cmpx_gt_u32_e32 8, v2
; %bb.447:                              ;   in Loop: Header=BB327_11 Depth=1
	v_ffbh_u32_e32 v0, v0
	v_min_u32_e32 v2, 32, v0
	v_subrev_nc_u32_e32 v0, 28, v2
	v_lshlrev_b64 v[0:1], v0, v[7:8]
	v_sub_nc_u32_e32 v1, 29, v2
	v_and_b32_e32 v0, 7, v0
; %bb.448:                              ;   in Loop: Header=BB327_11 Depth=1
	s_or_b32 exec_lo, exec_lo, s24
	v_lshlrev_b32_e32 v2, 8, v7
	v_lshl_add_u32 v1, v1, 10, 0x2000
	v_lshlrev_b32_e32 v0, 7, v0
	v_and_b32_e32 v2, 0x8000, v2
	v_and_b32_e32 v1, 0xfc00, v1
	v_or3_b32 v0, v2, v1, v0
	buffer_store_dword v0, off, s[0:3], s32 offset:332 ; 4-byte Folded Spill
.LBB327_449:                            ;   in Loop: Header=BB327_11 Depth=1
	s_or_b32 exec_lo, exec_lo, s23
.LBB327_450:                            ;   in Loop: Header=BB327_11 Depth=1
	s_or_b32 exec_lo, exec_lo, s22
.LBB327_451:                            ;   in Loop: Header=BB327_11 Depth=1
	s_or_b32 exec_lo, exec_lo, s21
	v_mov_b32_e32 v0, 0
	s_mov_b32 s21, exec_lo
	buffer_store_dword v0, off, s[0:3], s32 offset:340 ; 4-byte Folded Spill
	v_mov_b32_e32 v0, 0
	buffer_store_dword v0, off, s[0:3], s32 offset:500 ; 4-byte Folded Spill
	v_cmpx_lt_u64_e64 s[6:7], v[30:31]
	s_cbranch_execz .LBB327_459
; %bb.452:                              ;   in Loop: Header=BB327_11 Depth=1
	v_lshrrev_b32_e32 v7, 24, v31
	v_bfrev_b32_e32 v0, 1
	s_mov_b32 s22, exec_lo
	v_cmpx_ne_u32_e32 0x80, v7
	s_cbranch_execz .LBB327_458
; %bb.453:                              ;   in Loop: Header=BB327_11 Depth=1
	v_and_b32_e32 v2, 0x7f, v7
	v_mov_b32_e32 v0, 0x7c010000
	s_mov_b32 s23, exec_lo
	v_cmpx_ne_u32_e32 0x7f, v2
	s_cbranch_execz .LBB327_457
; %bb.454:                              ;   in Loop: Header=BB327_11 Depth=1
	v_and_b32_e32 v0, 7, v7
	v_lshrrev_b32_e32 v1, 3, v2
	s_mov_b32 s24, exec_lo
	v_cmpx_gt_u32_e32 8, v2
; %bb.455:                              ;   in Loop: Header=BB327_11 Depth=1
	v_ffbh_u32_e32 v0, v0
	v_min_u32_e32 v2, 32, v0
	v_subrev_nc_u32_e32 v0, 28, v2
	v_lshlrev_b64 v[0:1], v0, v[7:8]
	v_sub_nc_u32_e32 v1, 29, v2
	v_and_b32_e32 v0, 7, v0
; %bb.456:                              ;   in Loop: Header=BB327_11 Depth=1
	s_or_b32 exec_lo, exec_lo, s24
	v_lshlrev_b32_e32 v2, 8, v7
	v_lshl_add_u32 v1, v1, 10, 0x2000
	v_lshlrev_b32_e32 v0, 23, v0
	v_and_or_b32 v1, 0x8000, v2, v1
	v_lshl_or_b32 v0, v1, 16, v0
.LBB327_457:                            ;   in Loop: Header=BB327_11 Depth=1
	s_or_b32 exec_lo, exec_lo, s23
.LBB327_458:                            ;   in Loop: Header=BB327_11 Depth=1
	s_or_b32 exec_lo, exec_lo, s22
	buffer_store_dword v0, off, s[0:3], s32 offset:500 ; 4-byte Folded Spill
.LBB327_459:                            ;   in Loop: Header=BB327_11 Depth=1
	s_or_b32 exec_lo, exec_lo, s21
	flat_load_dwordx2 v[30:31], v[28:29] offset:1544
	s_waitcnt vmcnt(0) lgkmcnt(0)
	v_cmp_ne_u16_sdwa s5, v30, v8 src0_sel:BYTE_0 src1_sel:DWORD
	s_and_saveexec_b32 s21, s5
	s_cbranch_execz .LBB327_467
; %bb.460:                              ;   in Loop: Header=BB327_11 Depth=1
	v_cmp_ne_u16_sdwa s5, v30, v101 src0_sel:BYTE_0 src1_sel:DWORD
	v_mov_b32_e32 v0, 0x8000
	buffer_store_dword v0, off, s[0:3], s32 offset:340 ; 4-byte Folded Spill
	s_and_saveexec_b32 s22, s5
	s_cbranch_execz .LBB327_466
; %bb.461:                              ;   in Loop: Header=BB327_11 Depth=1
	v_and_b32_e32 v2, 0x7f, v30
	v_mov_b32_e32 v0, 0x7c01
	s_mov_b32 s23, exec_lo
	buffer_store_dword v0, off, s[0:3], s32 offset:340 ; 4-byte Folded Spill
	v_cmpx_ne_u32_e32 0x7f, v2
	s_cbranch_execz .LBB327_465
; %bb.462:                              ;   in Loop: Header=BB327_11 Depth=1
	v_and_b32_e32 v0, 7, v30
	v_lshrrev_b32_e32 v1, 3, v2
	s_mov_b32 s24, exec_lo
	v_cmpx_gt_u32_e32 8, v2
; %bb.463:                              ;   in Loop: Header=BB327_11 Depth=1
	v_ffbh_u32_e32 v0, v0
	v_min_u32_e32 v2, 32, v0
	v_subrev_nc_u32_e32 v0, 28, v2
	v_lshlrev_b64 v[0:1], v0, v[30:31]
	v_sub_nc_u32_e32 v1, 29, v2
	v_and_b32_e32 v0, 7, v0
; %bb.464:                              ;   in Loop: Header=BB327_11 Depth=1
	s_or_b32 exec_lo, exec_lo, s24
	v_lshlrev_b32_e32 v2, 8, v30
	v_lshl_add_u32 v1, v1, 10, 0x2000
	v_lshlrev_b32_e32 v0, 7, v0
	v_and_b32_e32 v2, 0x8000, v2
	v_and_b32_e32 v1, 0xfc00, v1
	v_or3_b32 v0, v2, v1, v0
	buffer_store_dword v0, off, s[0:3], s32 offset:340 ; 4-byte Folded Spill
.LBB327_465:                            ;   in Loop: Header=BB327_11 Depth=1
	s_or_b32 exec_lo, exec_lo, s23
.LBB327_466:                            ;   in Loop: Header=BB327_11 Depth=1
	s_or_b32 exec_lo, exec_lo, s22
.LBB327_467:                            ;   in Loop: Header=BB327_11 Depth=1
	s_or_b32 exec_lo, exec_lo, s21
	v_mov_b32_e32 v0, 0
	v_lshrrev_b16 v7, 8, v30
	s_mov_b32 s21, exec_lo
	buffer_store_dword v0, off, s[0:3], s32 offset:348 ; 4-byte Folded Spill
	v_mov_b32_e32 v0, 0
	buffer_store_dword v0, off, s[0:3], s32 offset:344 ; 4-byte Folded Spill
	v_cmpx_ne_u16_e32 0, v7
	s_cbranch_execz .LBB327_475
; %bb.468:                              ;   in Loop: Header=BB327_11 Depth=1
	v_bfrev_b32_e32 v0, 1
	s_mov_b32 s22, exec_lo
	buffer_store_dword v0, off, s[0:3], s32 offset:344 ; 4-byte Folded Spill
	v_cmpx_ne_u16_e32 0x80, v7
	s_cbranch_execz .LBB327_474
; %bb.469:                              ;   in Loop: Header=BB327_11 Depth=1
	v_mov_b32_e32 v0, 0x7f
	s_mov_b32 s23, exec_lo
	v_and_b32_sdwa v2, v7, v0 dst_sel:DWORD dst_unused:UNUSED_PAD src0_sel:WORD_0 src1_sel:DWORD
	v_mov_b32_e32 v0, 0x7c010000
	buffer_store_dword v0, off, s[0:3], s32 offset:344 ; 4-byte Folded Spill
	v_cmpx_ne_u32_e32 0x7f, v2
	s_cbranch_execz .LBB327_473
; %bb.470:                              ;   in Loop: Header=BB327_11 Depth=1
	v_mov_b32_e32 v0, 7
	v_lshrrev_b32_e32 v1, 3, v2
	s_mov_b32 s24, exec_lo
	v_and_b32_sdwa v0, v7, v0 dst_sel:DWORD dst_unused:UNUSED_PAD src0_sel:WORD_0 src1_sel:DWORD
	v_cmpx_gt_u32_e32 8, v2
; %bb.471:                              ;   in Loop: Header=BB327_11 Depth=1
	v_ffbh_u32_e32 v0, v0
	v_min_u32_e32 v2, 32, v0
	v_subrev_nc_u32_e32 v0, 28, v2
	v_lshlrev_b64 v[0:1], v0, v[7:8]
	v_sub_nc_u32_e32 v1, 29, v2
	v_and_b32_e32 v0, 7, v0
; %bb.472:                              ;   in Loop: Header=BB327_11 Depth=1
	s_or_b32 exec_lo, exec_lo, s24
	v_mov_b32_e32 v2, 8
	v_lshl_add_u32 v1, v1, 10, 0x2000
	v_lshlrev_b32_e32 v0, 23, v0
	v_lshlrev_b32_sdwa v2, v2, v7 dst_sel:DWORD dst_unused:UNUSED_PAD src0_sel:DWORD src1_sel:WORD_0
	v_and_or_b32 v1, 0x8000, v2, v1
	v_lshl_or_b32 v0, v1, 16, v0
	buffer_store_dword v0, off, s[0:3], s32 offset:344 ; 4-byte Folded Spill
.LBB327_473:                            ;   in Loop: Header=BB327_11 Depth=1
	s_or_b32 exec_lo, exec_lo, s23
.LBB327_474:                            ;   in Loop: Header=BB327_11 Depth=1
	s_or_b32 exec_lo, exec_lo, s22
.LBB327_475:                            ;   in Loop: Header=BB327_11 Depth=1
	s_or_b32 exec_lo, exec_lo, s21
	v_lshrrev_b32_e32 v7, 16, v30
	v_cmp_ne_u16_sdwa s5, v7, v8 src0_sel:BYTE_0 src1_sel:DWORD
	s_and_saveexec_b32 s21, s5
	s_cbranch_execz .LBB327_483
; %bb.476:                              ;   in Loop: Header=BB327_11 Depth=1
	v_cmp_ne_u16_sdwa s5, v7, v101 src0_sel:BYTE_0 src1_sel:DWORD
	v_mov_b32_e32 v0, 0x8000
	buffer_store_dword v0, off, s[0:3], s32 offset:348 ; 4-byte Folded Spill
	s_and_saveexec_b32 s22, s5
	s_cbranch_execz .LBB327_482
; %bb.477:                              ;   in Loop: Header=BB327_11 Depth=1
	v_bfe_u32 v2, v30, 16, 7
	v_mov_b32_e32 v0, 0x7c01
	s_mov_b32 s23, exec_lo
	buffer_store_dword v0, off, s[0:3], s32 offset:348 ; 4-byte Folded Spill
	v_cmpx_ne_u32_e32 0x7f, v2
	s_cbranch_execz .LBB327_481
; %bb.478:                              ;   in Loop: Header=BB327_11 Depth=1
	v_and_b32_e32 v0, 7, v7
	v_lshrrev_b32_e32 v1, 3, v2
	s_mov_b32 s24, exec_lo
	v_cmpx_gt_u32_e32 8, v2
; %bb.479:                              ;   in Loop: Header=BB327_11 Depth=1
	v_ffbh_u32_e32 v0, v0
	v_min_u32_e32 v2, 32, v0
	v_subrev_nc_u32_e32 v0, 28, v2
	v_lshlrev_b64 v[0:1], v0, v[7:8]
	v_sub_nc_u32_e32 v1, 29, v2
	v_and_b32_e32 v0, 7, v0
; %bb.480:                              ;   in Loop: Header=BB327_11 Depth=1
	s_or_b32 exec_lo, exec_lo, s24
	v_lshlrev_b32_e32 v2, 8, v7
	v_lshl_add_u32 v1, v1, 10, 0x2000
	v_lshlrev_b32_e32 v0, 7, v0
	v_and_b32_e32 v2, 0x8000, v2
	v_and_b32_e32 v1, 0xfc00, v1
	v_or3_b32 v0, v2, v1, v0
	buffer_store_dword v0, off, s[0:3], s32 offset:348 ; 4-byte Folded Spill
.LBB327_481:                            ;   in Loop: Header=BB327_11 Depth=1
	s_or_b32 exec_lo, exec_lo, s23
.LBB327_482:                            ;   in Loop: Header=BB327_11 Depth=1
	s_or_b32 exec_lo, exec_lo, s22
.LBB327_483:                            ;   in Loop: Header=BB327_11 Depth=1
	s_or_b32 exec_lo, exec_lo, s21
	v_mov_b32_e32 v0, 0
	s_mov_b32 s21, exec_lo
	buffer_store_dword v0, off, s[0:3], s32 offset:352 ; 4-byte Folded Spill
	v_mov_b32_e32 v0, 0
	buffer_store_dword v0, off, s[0:3], s32 offset:356 ; 4-byte Folded Spill
	v_cmpx_lt_u32_e32 0xffffff, v30
	s_cbranch_execz .LBB327_491
; %bb.484:                              ;   in Loop: Header=BB327_11 Depth=1
	v_lshrrev_b32_e32 v7, 24, v30
	v_bfrev_b32_e32 v0, 1
	s_mov_b32 s22, exec_lo
	buffer_store_dword v0, off, s[0:3], s32 offset:356 ; 4-byte Folded Spill
	v_cmpx_ne_u32_e32 0x80, v7
	s_cbranch_execz .LBB327_490
; %bb.485:                              ;   in Loop: Header=BB327_11 Depth=1
	v_and_b32_e32 v2, 0x7f, v7
	v_mov_b32_e32 v0, 0x7c010000
	s_mov_b32 s23, exec_lo
	buffer_store_dword v0, off, s[0:3], s32 offset:356 ; 4-byte Folded Spill
	v_cmpx_ne_u32_e32 0x7f, v2
	s_cbranch_execz .LBB327_489
; %bb.486:                              ;   in Loop: Header=BB327_11 Depth=1
	v_and_b32_e32 v0, 7, v7
	v_lshrrev_b32_e32 v1, 3, v2
	s_mov_b32 s24, exec_lo
	v_cmpx_gt_u32_e32 8, v2
; %bb.487:                              ;   in Loop: Header=BB327_11 Depth=1
	v_ffbh_u32_e32 v0, v0
	v_min_u32_e32 v2, 32, v0
	v_subrev_nc_u32_e32 v0, 28, v2
	v_lshlrev_b64 v[0:1], v0, v[7:8]
	v_sub_nc_u32_e32 v1, 29, v2
	v_and_b32_e32 v0, 7, v0
; %bb.488:                              ;   in Loop: Header=BB327_11 Depth=1
	s_or_b32 exec_lo, exec_lo, s24
	v_lshlrev_b32_e32 v2, 8, v7
	v_lshl_add_u32 v1, v1, 10, 0x2000
	v_lshlrev_b32_e32 v0, 23, v0
	v_and_or_b32 v1, 0x8000, v2, v1
	v_lshl_or_b32 v0, v1, 16, v0
	buffer_store_dword v0, off, s[0:3], s32 offset:356 ; 4-byte Folded Spill
.LBB327_489:                            ;   in Loop: Header=BB327_11 Depth=1
	s_or_b32 exec_lo, exec_lo, s23
.LBB327_490:                            ;   in Loop: Header=BB327_11 Depth=1
	s_or_b32 exec_lo, exec_lo, s22
.LBB327_491:                            ;   in Loop: Header=BB327_11 Depth=1
	s_or_b32 exec_lo, exec_lo, s21
	v_mov_b32_e32 v7, v31
	v_cmp_ne_u16_sdwa s5, v31, v8 src0_sel:BYTE_0 src1_sel:DWORD
	s_and_saveexec_b32 s21, s5
	s_cbranch_execz .LBB327_499
; %bb.492:                              ;   in Loop: Header=BB327_11 Depth=1
	v_cmp_ne_u16_sdwa s5, v31, v101 src0_sel:BYTE_0 src1_sel:DWORD
	v_mov_b32_e32 v0, 0x8000
	buffer_store_dword v0, off, s[0:3], s32 offset:352 ; 4-byte Folded Spill
	s_and_saveexec_b32 s22, s5
	s_cbranch_execz .LBB327_498
; %bb.493:                              ;   in Loop: Header=BB327_11 Depth=1
	v_and_b32_e32 v2, 0x7f, v31
	v_mov_b32_e32 v0, 0x7c01
	s_mov_b32 s23, exec_lo
	buffer_store_dword v0, off, s[0:3], s32 offset:352 ; 4-byte Folded Spill
	v_cmpx_ne_u32_e32 0x7f, v2
	s_cbranch_execz .LBB327_497
; %bb.494:                              ;   in Loop: Header=BB327_11 Depth=1
	v_and_b32_e32 v0, 7, v31
	v_lshrrev_b32_e32 v1, 3, v2
	s_mov_b32 s24, exec_lo
	v_cmpx_gt_u32_e32 8, v2
; %bb.495:                              ;   in Loop: Header=BB327_11 Depth=1
	v_ffbh_u32_e32 v0, v0
	v_min_u32_e32 v2, 32, v0
	v_subrev_nc_u32_e32 v0, 28, v2
	v_lshlrev_b64 v[0:1], v0, v[7:8]
	v_sub_nc_u32_e32 v1, 29, v2
	v_and_b32_e32 v0, 7, v0
; %bb.496:                              ;   in Loop: Header=BB327_11 Depth=1
	s_or_b32 exec_lo, exec_lo, s24
	v_lshlrev_b32_e32 v2, 8, v31
	v_lshl_add_u32 v1, v1, 10, 0x2000
	v_lshlrev_b32_e32 v0, 7, v0
	v_and_b32_e32 v2, 0x8000, v2
	v_and_b32_e32 v1, 0xfc00, v1
	v_or3_b32 v0, v2, v1, v0
	buffer_store_dword v0, off, s[0:3], s32 offset:352 ; 4-byte Folded Spill
.LBB327_497:                            ;   in Loop: Header=BB327_11 Depth=1
	s_or_b32 exec_lo, exec_lo, s23
.LBB327_498:                            ;   in Loop: Header=BB327_11 Depth=1
	s_or_b32 exec_lo, exec_lo, s22
.LBB327_499:                            ;   in Loop: Header=BB327_11 Depth=1
	s_or_b32 exec_lo, exec_lo, s21
	v_mov_b32_e32 v0, 0
	v_lshrrev_b16 v7, 8, v7
	s_mov_b32 s21, exec_lo
	buffer_store_dword v0, off, s[0:3], s32 offset:360 ; 4-byte Folded Spill
	v_mov_b32_e32 v0, 0
	buffer_store_dword v0, off, s[0:3], s32 offset:364 ; 4-byte Folded Spill
	v_cmpx_ne_u16_e32 0, v7
	s_cbranch_execz .LBB327_507
; %bb.500:                              ;   in Loop: Header=BB327_11 Depth=1
	v_bfrev_b32_e32 v0, 1
	s_mov_b32 s22, exec_lo
	buffer_store_dword v0, off, s[0:3], s32 offset:364 ; 4-byte Folded Spill
	v_cmpx_ne_u16_e32 0x80, v7
	s_cbranch_execz .LBB327_506
; %bb.501:                              ;   in Loop: Header=BB327_11 Depth=1
	v_mov_b32_e32 v0, 0x7f
	s_mov_b32 s23, exec_lo
	v_and_b32_sdwa v2, v7, v0 dst_sel:DWORD dst_unused:UNUSED_PAD src0_sel:WORD_0 src1_sel:DWORD
	v_mov_b32_e32 v0, 0x7c010000
	buffer_store_dword v0, off, s[0:3], s32 offset:364 ; 4-byte Folded Spill
	v_cmpx_ne_u32_e32 0x7f, v2
	s_cbranch_execz .LBB327_505
; %bb.502:                              ;   in Loop: Header=BB327_11 Depth=1
	v_mov_b32_e32 v0, 7
	v_lshrrev_b32_e32 v1, 3, v2
	s_mov_b32 s24, exec_lo
	v_and_b32_sdwa v0, v7, v0 dst_sel:DWORD dst_unused:UNUSED_PAD src0_sel:WORD_0 src1_sel:DWORD
	v_cmpx_gt_u32_e32 8, v2
; %bb.503:                              ;   in Loop: Header=BB327_11 Depth=1
	v_ffbh_u32_e32 v0, v0
	v_min_u32_e32 v2, 32, v0
	v_subrev_nc_u32_e32 v0, 28, v2
	v_lshlrev_b64 v[0:1], v0, v[7:8]
	v_sub_nc_u32_e32 v1, 29, v2
	v_and_b32_e32 v0, 7, v0
; %bb.504:                              ;   in Loop: Header=BB327_11 Depth=1
	s_or_b32 exec_lo, exec_lo, s24
	v_mov_b32_e32 v2, 8
	v_lshl_add_u32 v1, v1, 10, 0x2000
	v_lshlrev_b32_e32 v0, 23, v0
	v_lshlrev_b32_sdwa v2, v2, v7 dst_sel:DWORD dst_unused:UNUSED_PAD src0_sel:DWORD src1_sel:WORD_0
	v_and_or_b32 v1, 0x8000, v2, v1
	v_lshl_or_b32 v0, v1, 16, v0
	buffer_store_dword v0, off, s[0:3], s32 offset:364 ; 4-byte Folded Spill
.LBB327_505:                            ;   in Loop: Header=BB327_11 Depth=1
	s_or_b32 exec_lo, exec_lo, s23
.LBB327_506:                            ;   in Loop: Header=BB327_11 Depth=1
	s_or_b32 exec_lo, exec_lo, s22
.LBB327_507:                            ;   in Loop: Header=BB327_11 Depth=1
	s_or_b32 exec_lo, exec_lo, s21
	v_lshrrev_b32_e32 v7, 16, v31
	v_cmp_ne_u16_sdwa s5, v7, v8 src0_sel:BYTE_0 src1_sel:DWORD
	s_and_saveexec_b32 s21, s5
	s_cbranch_execz .LBB327_515
; %bb.508:                              ;   in Loop: Header=BB327_11 Depth=1
	v_cmp_ne_u16_sdwa s5, v7, v101 src0_sel:BYTE_0 src1_sel:DWORD
	v_mov_b32_e32 v0, 0x8000
	buffer_store_dword v0, off, s[0:3], s32 offset:360 ; 4-byte Folded Spill
	s_and_saveexec_b32 s22, s5
	s_cbranch_execz .LBB327_514
; %bb.509:                              ;   in Loop: Header=BB327_11 Depth=1
	v_bfe_u32 v2, v31, 16, 7
	v_mov_b32_e32 v0, 0x7c01
	s_mov_b32 s23, exec_lo
	buffer_store_dword v0, off, s[0:3], s32 offset:360 ; 4-byte Folded Spill
	v_cmpx_ne_u32_e32 0x7f, v2
	s_cbranch_execz .LBB327_513
; %bb.510:                              ;   in Loop: Header=BB327_11 Depth=1
	v_and_b32_e32 v0, 7, v7
	v_lshrrev_b32_e32 v1, 3, v2
	s_mov_b32 s24, exec_lo
	v_cmpx_gt_u32_e32 8, v2
; %bb.511:                              ;   in Loop: Header=BB327_11 Depth=1
	v_ffbh_u32_e32 v0, v0
	v_min_u32_e32 v2, 32, v0
	v_subrev_nc_u32_e32 v0, 28, v2
	v_lshlrev_b64 v[0:1], v0, v[7:8]
	v_sub_nc_u32_e32 v1, 29, v2
	v_and_b32_e32 v0, 7, v0
; %bb.512:                              ;   in Loop: Header=BB327_11 Depth=1
	s_or_b32 exec_lo, exec_lo, s24
	v_lshlrev_b32_e32 v2, 8, v7
	v_lshl_add_u32 v1, v1, 10, 0x2000
	v_lshlrev_b32_e32 v0, 7, v0
	v_and_b32_e32 v2, 0x8000, v2
	v_and_b32_e32 v1, 0xfc00, v1
	v_or3_b32 v0, v2, v1, v0
	buffer_store_dword v0, off, s[0:3], s32 offset:360 ; 4-byte Folded Spill
.LBB327_513:                            ;   in Loop: Header=BB327_11 Depth=1
	s_or_b32 exec_lo, exec_lo, s23
.LBB327_514:                            ;   in Loop: Header=BB327_11 Depth=1
	s_or_b32 exec_lo, exec_lo, s22
.LBB327_515:                            ;   in Loop: Header=BB327_11 Depth=1
	s_or_b32 exec_lo, exec_lo, s21
	v_mov_b32_e32 v0, 0
	s_mov_b32 s21, exec_lo
	buffer_store_dword v0, off, s[0:3], s32 offset:368 ; 4-byte Folded Spill
	v_mov_b32_e32 v0, 0
	buffer_store_dword v0, off, s[0:3], s32 offset:504 ; 4-byte Folded Spill
	v_cmpx_lt_u64_e64 s[6:7], v[30:31]
	s_cbranch_execz .LBB327_523
; %bb.516:                              ;   in Loop: Header=BB327_11 Depth=1
	v_lshrrev_b32_e32 v7, 24, v31
	v_bfrev_b32_e32 v0, 1
	s_mov_b32 s22, exec_lo
	v_cmpx_ne_u32_e32 0x80, v7
	s_cbranch_execz .LBB327_522
; %bb.517:                              ;   in Loop: Header=BB327_11 Depth=1
	v_and_b32_e32 v2, 0x7f, v7
	v_mov_b32_e32 v0, 0x7c010000
	s_mov_b32 s23, exec_lo
	v_cmpx_ne_u32_e32 0x7f, v2
	s_cbranch_execz .LBB327_521
; %bb.518:                              ;   in Loop: Header=BB327_11 Depth=1
	v_and_b32_e32 v0, 7, v7
	v_lshrrev_b32_e32 v1, 3, v2
	s_mov_b32 s24, exec_lo
	v_cmpx_gt_u32_e32 8, v2
; %bb.519:                              ;   in Loop: Header=BB327_11 Depth=1
	v_ffbh_u32_e32 v0, v0
	v_min_u32_e32 v2, 32, v0
	v_subrev_nc_u32_e32 v0, 28, v2
	v_lshlrev_b64 v[0:1], v0, v[7:8]
	v_sub_nc_u32_e32 v1, 29, v2
	v_and_b32_e32 v0, 7, v0
; %bb.520:                              ;   in Loop: Header=BB327_11 Depth=1
	s_or_b32 exec_lo, exec_lo, s24
	v_lshlrev_b32_e32 v2, 8, v7
	v_lshl_add_u32 v1, v1, 10, 0x2000
	v_lshlrev_b32_e32 v0, 23, v0
	v_and_or_b32 v1, 0x8000, v2, v1
	v_lshl_or_b32 v0, v1, 16, v0
.LBB327_521:                            ;   in Loop: Header=BB327_11 Depth=1
	s_or_b32 exec_lo, exec_lo, s23
.LBB327_522:                            ;   in Loop: Header=BB327_11 Depth=1
	s_or_b32 exec_lo, exec_lo, s22
	buffer_store_dword v0, off, s[0:3], s32 offset:504 ; 4-byte Folded Spill
.LBB327_523:                            ;   in Loop: Header=BB327_11 Depth=1
	s_or_b32 exec_lo, exec_lo, s21
	v_add_co_u32 v30, s5, 0x800, v28
	v_add_co_ci_u32_e64 v31, null, 0, v29, s5
	flat_load_dwordx2 v[32:33], v[30:31]
	s_waitcnt vmcnt(0) lgkmcnt(0)
	v_cmp_ne_u16_sdwa s5, v32, v8 src0_sel:BYTE_0 src1_sel:DWORD
	s_and_saveexec_b32 s21, s5
	s_cbranch_execz .LBB327_531
; %bb.524:                              ;   in Loop: Header=BB327_11 Depth=1
	v_cmp_ne_u16_sdwa s5, v32, v101 src0_sel:BYTE_0 src1_sel:DWORD
	v_mov_b32_e32 v0, 0x8000
	buffer_store_dword v0, off, s[0:3], s32 offset:368 ; 4-byte Folded Spill
	s_and_saveexec_b32 s22, s5
	s_cbranch_execz .LBB327_530
; %bb.525:                              ;   in Loop: Header=BB327_11 Depth=1
	v_and_b32_e32 v2, 0x7f, v32
	v_mov_b32_e32 v0, 0x7c01
	s_mov_b32 s23, exec_lo
	buffer_store_dword v0, off, s[0:3], s32 offset:368 ; 4-byte Folded Spill
	v_cmpx_ne_u32_e32 0x7f, v2
	s_cbranch_execz .LBB327_529
; %bb.526:                              ;   in Loop: Header=BB327_11 Depth=1
	v_and_b32_e32 v0, 7, v32
	v_lshrrev_b32_e32 v1, 3, v2
	s_mov_b32 s24, exec_lo
	v_cmpx_gt_u32_e32 8, v2
; %bb.527:                              ;   in Loop: Header=BB327_11 Depth=1
	v_ffbh_u32_e32 v0, v0
	v_min_u32_e32 v2, 32, v0
	v_subrev_nc_u32_e32 v0, 28, v2
	v_lshlrev_b64 v[0:1], v0, v[32:33]
	v_sub_nc_u32_e32 v1, 29, v2
	v_and_b32_e32 v0, 7, v0
; %bb.528:                              ;   in Loop: Header=BB327_11 Depth=1
	s_or_b32 exec_lo, exec_lo, s24
	v_lshlrev_b32_e32 v2, 8, v32
	v_lshl_add_u32 v1, v1, 10, 0x2000
	v_lshlrev_b32_e32 v0, 7, v0
	v_and_b32_e32 v2, 0x8000, v2
	v_and_b32_e32 v1, 0xfc00, v1
	v_or3_b32 v0, v2, v1, v0
	buffer_store_dword v0, off, s[0:3], s32 offset:368 ; 4-byte Folded Spill
.LBB327_529:                            ;   in Loop: Header=BB327_11 Depth=1
	s_or_b32 exec_lo, exec_lo, s23
.LBB327_530:                            ;   in Loop: Header=BB327_11 Depth=1
	s_or_b32 exec_lo, exec_lo, s22
.LBB327_531:                            ;   in Loop: Header=BB327_11 Depth=1
	s_or_b32 exec_lo, exec_lo, s21
	v_mov_b32_e32 v0, 0
	v_lshrrev_b16 v7, 8, v32
	s_mov_b32 s21, exec_lo
	buffer_store_dword v0, off, s[0:3], s32 offset:376 ; 4-byte Folded Spill
	v_mov_b32_e32 v0, 0
	buffer_store_dword v0, off, s[0:3], s32 offset:372 ; 4-byte Folded Spill
	v_cmpx_ne_u16_e32 0, v7
	s_cbranch_execz .LBB327_539
; %bb.532:                              ;   in Loop: Header=BB327_11 Depth=1
	v_bfrev_b32_e32 v0, 1
	s_mov_b32 s22, exec_lo
	buffer_store_dword v0, off, s[0:3], s32 offset:372 ; 4-byte Folded Spill
	v_cmpx_ne_u16_e32 0x80, v7
	s_cbranch_execz .LBB327_538
; %bb.533:                              ;   in Loop: Header=BB327_11 Depth=1
	v_mov_b32_e32 v0, 0x7f
	s_mov_b32 s23, exec_lo
	v_and_b32_sdwa v2, v7, v0 dst_sel:DWORD dst_unused:UNUSED_PAD src0_sel:WORD_0 src1_sel:DWORD
	v_mov_b32_e32 v0, 0x7c010000
	buffer_store_dword v0, off, s[0:3], s32 offset:372 ; 4-byte Folded Spill
	v_cmpx_ne_u32_e32 0x7f, v2
	s_cbranch_execz .LBB327_537
; %bb.534:                              ;   in Loop: Header=BB327_11 Depth=1
	v_mov_b32_e32 v0, 7
	v_lshrrev_b32_e32 v1, 3, v2
	s_mov_b32 s24, exec_lo
	v_and_b32_sdwa v0, v7, v0 dst_sel:DWORD dst_unused:UNUSED_PAD src0_sel:WORD_0 src1_sel:DWORD
	v_cmpx_gt_u32_e32 8, v2
; %bb.535:                              ;   in Loop: Header=BB327_11 Depth=1
	v_ffbh_u32_e32 v0, v0
	v_min_u32_e32 v2, 32, v0
	v_subrev_nc_u32_e32 v0, 28, v2
	v_lshlrev_b64 v[0:1], v0, v[7:8]
	v_sub_nc_u32_e32 v1, 29, v2
	v_and_b32_e32 v0, 7, v0
; %bb.536:                              ;   in Loop: Header=BB327_11 Depth=1
	s_or_b32 exec_lo, exec_lo, s24
	v_mov_b32_e32 v2, 8
	v_lshl_add_u32 v1, v1, 10, 0x2000
	v_lshlrev_b32_e32 v0, 23, v0
	v_lshlrev_b32_sdwa v2, v2, v7 dst_sel:DWORD dst_unused:UNUSED_PAD src0_sel:DWORD src1_sel:WORD_0
	v_and_or_b32 v1, 0x8000, v2, v1
	v_lshl_or_b32 v0, v1, 16, v0
	buffer_store_dword v0, off, s[0:3], s32 offset:372 ; 4-byte Folded Spill
.LBB327_537:                            ;   in Loop: Header=BB327_11 Depth=1
	s_or_b32 exec_lo, exec_lo, s23
.LBB327_538:                            ;   in Loop: Header=BB327_11 Depth=1
	s_or_b32 exec_lo, exec_lo, s22
.LBB327_539:                            ;   in Loop: Header=BB327_11 Depth=1
	s_or_b32 exec_lo, exec_lo, s21
	v_lshrrev_b32_e32 v7, 16, v32
	v_cmp_ne_u16_sdwa s5, v7, v8 src0_sel:BYTE_0 src1_sel:DWORD
	s_and_saveexec_b32 s21, s5
	s_cbranch_execz .LBB327_547
; %bb.540:                              ;   in Loop: Header=BB327_11 Depth=1
	v_cmp_ne_u16_sdwa s5, v7, v101 src0_sel:BYTE_0 src1_sel:DWORD
	v_mov_b32_e32 v0, 0x8000
	buffer_store_dword v0, off, s[0:3], s32 offset:376 ; 4-byte Folded Spill
	s_and_saveexec_b32 s22, s5
	s_cbranch_execz .LBB327_546
; %bb.541:                              ;   in Loop: Header=BB327_11 Depth=1
	v_bfe_u32 v2, v32, 16, 7
	v_mov_b32_e32 v0, 0x7c01
	s_mov_b32 s23, exec_lo
	buffer_store_dword v0, off, s[0:3], s32 offset:376 ; 4-byte Folded Spill
	v_cmpx_ne_u32_e32 0x7f, v2
	s_cbranch_execz .LBB327_545
; %bb.542:                              ;   in Loop: Header=BB327_11 Depth=1
	v_and_b32_e32 v0, 7, v7
	v_lshrrev_b32_e32 v1, 3, v2
	s_mov_b32 s24, exec_lo
	v_cmpx_gt_u32_e32 8, v2
; %bb.543:                              ;   in Loop: Header=BB327_11 Depth=1
	v_ffbh_u32_e32 v0, v0
	v_min_u32_e32 v2, 32, v0
	v_subrev_nc_u32_e32 v0, 28, v2
	v_lshlrev_b64 v[0:1], v0, v[7:8]
	v_sub_nc_u32_e32 v1, 29, v2
	v_and_b32_e32 v0, 7, v0
; %bb.544:                              ;   in Loop: Header=BB327_11 Depth=1
	s_or_b32 exec_lo, exec_lo, s24
	v_lshlrev_b32_e32 v2, 8, v7
	v_lshl_add_u32 v1, v1, 10, 0x2000
	v_lshlrev_b32_e32 v0, 7, v0
	v_and_b32_e32 v2, 0x8000, v2
	v_and_b32_e32 v1, 0xfc00, v1
	v_or3_b32 v0, v2, v1, v0
	buffer_store_dword v0, off, s[0:3], s32 offset:376 ; 4-byte Folded Spill
.LBB327_545:                            ;   in Loop: Header=BB327_11 Depth=1
	s_or_b32 exec_lo, exec_lo, s23
.LBB327_546:                            ;   in Loop: Header=BB327_11 Depth=1
	s_or_b32 exec_lo, exec_lo, s22
.LBB327_547:                            ;   in Loop: Header=BB327_11 Depth=1
	s_or_b32 exec_lo, exec_lo, s21
	v_mov_b32_e32 v0, 0
	s_mov_b32 s21, exec_lo
	buffer_store_dword v0, off, s[0:3], s32 offset:380 ; 4-byte Folded Spill
	v_mov_b32_e32 v0, 0
	buffer_store_dword v0, off, s[0:3], s32 offset:384 ; 4-byte Folded Spill
	v_cmpx_lt_u32_e32 0xffffff, v32
	s_cbranch_execz .LBB327_555
; %bb.548:                              ;   in Loop: Header=BB327_11 Depth=1
	v_lshrrev_b32_e32 v7, 24, v32
	v_bfrev_b32_e32 v0, 1
	s_mov_b32 s22, exec_lo
	buffer_store_dword v0, off, s[0:3], s32 offset:384 ; 4-byte Folded Spill
	v_cmpx_ne_u32_e32 0x80, v7
	s_cbranch_execz .LBB327_554
; %bb.549:                              ;   in Loop: Header=BB327_11 Depth=1
	v_and_b32_e32 v2, 0x7f, v7
	v_mov_b32_e32 v0, 0x7c010000
	s_mov_b32 s23, exec_lo
	buffer_store_dword v0, off, s[0:3], s32 offset:384 ; 4-byte Folded Spill
	v_cmpx_ne_u32_e32 0x7f, v2
	s_cbranch_execz .LBB327_553
; %bb.550:                              ;   in Loop: Header=BB327_11 Depth=1
	v_and_b32_e32 v0, 7, v7
	v_lshrrev_b32_e32 v1, 3, v2
	s_mov_b32 s24, exec_lo
	v_cmpx_gt_u32_e32 8, v2
; %bb.551:                              ;   in Loop: Header=BB327_11 Depth=1
	v_ffbh_u32_e32 v0, v0
	v_min_u32_e32 v2, 32, v0
	v_subrev_nc_u32_e32 v0, 28, v2
	v_lshlrev_b64 v[0:1], v0, v[7:8]
	v_sub_nc_u32_e32 v1, 29, v2
	v_and_b32_e32 v0, 7, v0
; %bb.552:                              ;   in Loop: Header=BB327_11 Depth=1
	s_or_b32 exec_lo, exec_lo, s24
	v_lshlrev_b32_e32 v2, 8, v7
	v_lshl_add_u32 v1, v1, 10, 0x2000
	v_lshlrev_b32_e32 v0, 23, v0
	v_and_or_b32 v1, 0x8000, v2, v1
	v_lshl_or_b32 v0, v1, 16, v0
	buffer_store_dword v0, off, s[0:3], s32 offset:384 ; 4-byte Folded Spill
.LBB327_553:                            ;   in Loop: Header=BB327_11 Depth=1
	s_or_b32 exec_lo, exec_lo, s23
.LBB327_554:                            ;   in Loop: Header=BB327_11 Depth=1
	s_or_b32 exec_lo, exec_lo, s22
.LBB327_555:                            ;   in Loop: Header=BB327_11 Depth=1
	s_or_b32 exec_lo, exec_lo, s21
	v_mov_b32_e32 v7, v33
	v_cmp_ne_u16_sdwa s5, v33, v8 src0_sel:BYTE_0 src1_sel:DWORD
	s_and_saveexec_b32 s21, s5
	s_cbranch_execz .LBB327_563
; %bb.556:                              ;   in Loop: Header=BB327_11 Depth=1
	v_cmp_ne_u16_sdwa s5, v33, v101 src0_sel:BYTE_0 src1_sel:DWORD
	v_mov_b32_e32 v0, 0x8000
	buffer_store_dword v0, off, s[0:3], s32 offset:380 ; 4-byte Folded Spill
	s_and_saveexec_b32 s22, s5
	s_cbranch_execz .LBB327_562
; %bb.557:                              ;   in Loop: Header=BB327_11 Depth=1
	v_and_b32_e32 v2, 0x7f, v33
	v_mov_b32_e32 v0, 0x7c01
	s_mov_b32 s23, exec_lo
	buffer_store_dword v0, off, s[0:3], s32 offset:380 ; 4-byte Folded Spill
	v_cmpx_ne_u32_e32 0x7f, v2
	s_cbranch_execz .LBB327_561
; %bb.558:                              ;   in Loop: Header=BB327_11 Depth=1
	v_and_b32_e32 v0, 7, v33
	v_lshrrev_b32_e32 v1, 3, v2
	s_mov_b32 s24, exec_lo
	v_cmpx_gt_u32_e32 8, v2
; %bb.559:                              ;   in Loop: Header=BB327_11 Depth=1
	v_ffbh_u32_e32 v0, v0
	v_min_u32_e32 v2, 32, v0
	v_subrev_nc_u32_e32 v0, 28, v2
	v_lshlrev_b64 v[0:1], v0, v[7:8]
	v_sub_nc_u32_e32 v1, 29, v2
	v_and_b32_e32 v0, 7, v0
; %bb.560:                              ;   in Loop: Header=BB327_11 Depth=1
	s_or_b32 exec_lo, exec_lo, s24
	v_lshlrev_b32_e32 v2, 8, v33
	v_lshl_add_u32 v1, v1, 10, 0x2000
	v_lshlrev_b32_e32 v0, 7, v0
	v_and_b32_e32 v2, 0x8000, v2
	v_and_b32_e32 v1, 0xfc00, v1
	v_or3_b32 v0, v2, v1, v0
	buffer_store_dword v0, off, s[0:3], s32 offset:380 ; 4-byte Folded Spill
.LBB327_561:                            ;   in Loop: Header=BB327_11 Depth=1
	s_or_b32 exec_lo, exec_lo, s23
.LBB327_562:                            ;   in Loop: Header=BB327_11 Depth=1
	s_or_b32 exec_lo, exec_lo, s22
.LBB327_563:                            ;   in Loop: Header=BB327_11 Depth=1
	s_or_b32 exec_lo, exec_lo, s21
	v_mov_b32_e32 v0, 0
	v_lshrrev_b16 v7, 8, v7
	s_mov_b32 s21, exec_lo
	buffer_store_dword v0, off, s[0:3], s32 offset:388 ; 4-byte Folded Spill
	v_mov_b32_e32 v0, 0
	buffer_store_dword v0, off, s[0:3], s32 offset:392 ; 4-byte Folded Spill
	v_cmpx_ne_u16_e32 0, v7
	s_cbranch_execz .LBB327_571
; %bb.564:                              ;   in Loop: Header=BB327_11 Depth=1
	v_bfrev_b32_e32 v0, 1
	s_mov_b32 s22, exec_lo
	buffer_store_dword v0, off, s[0:3], s32 offset:392 ; 4-byte Folded Spill
	v_cmpx_ne_u16_e32 0x80, v7
	s_cbranch_execz .LBB327_570
; %bb.565:                              ;   in Loop: Header=BB327_11 Depth=1
	v_mov_b32_e32 v0, 0x7f
	s_mov_b32 s23, exec_lo
	v_and_b32_sdwa v2, v7, v0 dst_sel:DWORD dst_unused:UNUSED_PAD src0_sel:WORD_0 src1_sel:DWORD
	v_mov_b32_e32 v0, 0x7c010000
	buffer_store_dword v0, off, s[0:3], s32 offset:392 ; 4-byte Folded Spill
	v_cmpx_ne_u32_e32 0x7f, v2
	s_cbranch_execz .LBB327_569
; %bb.566:                              ;   in Loop: Header=BB327_11 Depth=1
	v_mov_b32_e32 v0, 7
	v_lshrrev_b32_e32 v1, 3, v2
	s_mov_b32 s24, exec_lo
	v_and_b32_sdwa v0, v7, v0 dst_sel:DWORD dst_unused:UNUSED_PAD src0_sel:WORD_0 src1_sel:DWORD
	v_cmpx_gt_u32_e32 8, v2
; %bb.567:                              ;   in Loop: Header=BB327_11 Depth=1
	v_ffbh_u32_e32 v0, v0
	v_min_u32_e32 v2, 32, v0
	v_subrev_nc_u32_e32 v0, 28, v2
	v_lshlrev_b64 v[0:1], v0, v[7:8]
	v_sub_nc_u32_e32 v1, 29, v2
	v_and_b32_e32 v0, 7, v0
; %bb.568:                              ;   in Loop: Header=BB327_11 Depth=1
	s_or_b32 exec_lo, exec_lo, s24
	v_mov_b32_e32 v2, 8
	v_lshl_add_u32 v1, v1, 10, 0x2000
	v_lshlrev_b32_e32 v0, 23, v0
	v_lshlrev_b32_sdwa v2, v2, v7 dst_sel:DWORD dst_unused:UNUSED_PAD src0_sel:DWORD src1_sel:WORD_0
	v_and_or_b32 v1, 0x8000, v2, v1
	v_lshl_or_b32 v0, v1, 16, v0
	buffer_store_dword v0, off, s[0:3], s32 offset:392 ; 4-byte Folded Spill
.LBB327_569:                            ;   in Loop: Header=BB327_11 Depth=1
	s_or_b32 exec_lo, exec_lo, s23
.LBB327_570:                            ;   in Loop: Header=BB327_11 Depth=1
	s_or_b32 exec_lo, exec_lo, s22
.LBB327_571:                            ;   in Loop: Header=BB327_11 Depth=1
	s_or_b32 exec_lo, exec_lo, s21
	v_lshrrev_b32_e32 v7, 16, v33
	v_cmp_ne_u16_sdwa s5, v7, v8 src0_sel:BYTE_0 src1_sel:DWORD
	s_and_saveexec_b32 s21, s5
	s_cbranch_execz .LBB327_579
; %bb.572:                              ;   in Loop: Header=BB327_11 Depth=1
	v_cmp_ne_u16_sdwa s5, v7, v101 src0_sel:BYTE_0 src1_sel:DWORD
	v_mov_b32_e32 v0, 0x8000
	buffer_store_dword v0, off, s[0:3], s32 offset:388 ; 4-byte Folded Spill
	s_and_saveexec_b32 s22, s5
	s_cbranch_execz .LBB327_578
; %bb.573:                              ;   in Loop: Header=BB327_11 Depth=1
	v_bfe_u32 v2, v33, 16, 7
	v_mov_b32_e32 v0, 0x7c01
	s_mov_b32 s23, exec_lo
	buffer_store_dword v0, off, s[0:3], s32 offset:388 ; 4-byte Folded Spill
	v_cmpx_ne_u32_e32 0x7f, v2
	s_cbranch_execz .LBB327_577
; %bb.574:                              ;   in Loop: Header=BB327_11 Depth=1
	v_and_b32_e32 v0, 7, v7
	v_lshrrev_b32_e32 v1, 3, v2
	s_mov_b32 s24, exec_lo
	v_cmpx_gt_u32_e32 8, v2
; %bb.575:                              ;   in Loop: Header=BB327_11 Depth=1
	v_ffbh_u32_e32 v0, v0
	v_min_u32_e32 v2, 32, v0
	v_subrev_nc_u32_e32 v0, 28, v2
	v_lshlrev_b64 v[0:1], v0, v[7:8]
	v_sub_nc_u32_e32 v1, 29, v2
	v_and_b32_e32 v0, 7, v0
; %bb.576:                              ;   in Loop: Header=BB327_11 Depth=1
	s_or_b32 exec_lo, exec_lo, s24
	v_lshlrev_b32_e32 v2, 8, v7
	v_lshl_add_u32 v1, v1, 10, 0x2000
	v_lshlrev_b32_e32 v0, 7, v0
	v_and_b32_e32 v2, 0x8000, v2
	v_and_b32_e32 v1, 0xfc00, v1
	v_or3_b32 v0, v2, v1, v0
	buffer_store_dword v0, off, s[0:3], s32 offset:388 ; 4-byte Folded Spill
.LBB327_577:                            ;   in Loop: Header=BB327_11 Depth=1
	s_or_b32 exec_lo, exec_lo, s23
.LBB327_578:                            ;   in Loop: Header=BB327_11 Depth=1
	s_or_b32 exec_lo, exec_lo, s22
.LBB327_579:                            ;   in Loop: Header=BB327_11 Depth=1
	s_or_b32 exec_lo, exec_lo, s21
	v_mov_b32_e32 v0, 0
	s_mov_b32 s21, exec_lo
	buffer_store_dword v0, off, s[0:3], s32 offset:396 ; 4-byte Folded Spill
	v_mov_b32_e32 v0, 0
	buffer_store_dword v0, off, s[0:3], s32 offset:508 ; 4-byte Folded Spill
	v_cmpx_lt_u64_e64 s[6:7], v[32:33]
	s_cbranch_execz .LBB327_587
; %bb.580:                              ;   in Loop: Header=BB327_11 Depth=1
	v_lshrrev_b32_e32 v7, 24, v33
	v_bfrev_b32_e32 v0, 1
	s_mov_b32 s22, exec_lo
	v_cmpx_ne_u32_e32 0x80, v7
	s_cbranch_execz .LBB327_586
; %bb.581:                              ;   in Loop: Header=BB327_11 Depth=1
	v_and_b32_e32 v2, 0x7f, v7
	v_mov_b32_e32 v0, 0x7c010000
	s_mov_b32 s23, exec_lo
	v_cmpx_ne_u32_e32 0x7f, v2
	s_cbranch_execz .LBB327_585
; %bb.582:                              ;   in Loop: Header=BB327_11 Depth=1
	v_and_b32_e32 v0, 7, v7
	v_lshrrev_b32_e32 v1, 3, v2
	s_mov_b32 s24, exec_lo
	v_cmpx_gt_u32_e32 8, v2
; %bb.583:                              ;   in Loop: Header=BB327_11 Depth=1
	v_ffbh_u32_e32 v0, v0
	v_min_u32_e32 v2, 32, v0
	v_subrev_nc_u32_e32 v0, 28, v2
	v_lshlrev_b64 v[0:1], v0, v[7:8]
	v_sub_nc_u32_e32 v1, 29, v2
	v_and_b32_e32 v0, 7, v0
; %bb.584:                              ;   in Loop: Header=BB327_11 Depth=1
	s_or_b32 exec_lo, exec_lo, s24
	v_lshlrev_b32_e32 v2, 8, v7
	v_lshl_add_u32 v1, v1, 10, 0x2000
	v_lshlrev_b32_e32 v0, 23, v0
	v_and_or_b32 v1, 0x8000, v2, v1
	v_lshl_or_b32 v0, v1, 16, v0
.LBB327_585:                            ;   in Loop: Header=BB327_11 Depth=1
	s_or_b32 exec_lo, exec_lo, s23
.LBB327_586:                            ;   in Loop: Header=BB327_11 Depth=1
	s_or_b32 exec_lo, exec_lo, s22
	buffer_store_dword v0, off, s[0:3], s32 offset:508 ; 4-byte Folded Spill
.LBB327_587:                            ;   in Loop: Header=BB327_11 Depth=1
	s_or_b32 exec_lo, exec_lo, s21
	flat_load_dwordx2 v[32:33], v[30:31] offset:8
	s_waitcnt vmcnt(0) lgkmcnt(0)
	v_cmp_ne_u16_sdwa s5, v32, v8 src0_sel:BYTE_0 src1_sel:DWORD
	s_and_saveexec_b32 s21, s5
	s_cbranch_execz .LBB327_595
; %bb.588:                              ;   in Loop: Header=BB327_11 Depth=1
	v_cmp_ne_u16_sdwa s5, v32, v101 src0_sel:BYTE_0 src1_sel:DWORD
	v_mov_b32_e32 v0, 0x8000
	buffer_store_dword v0, off, s[0:3], s32 offset:396 ; 4-byte Folded Spill
	s_and_saveexec_b32 s22, s5
	s_cbranch_execz .LBB327_594
; %bb.589:                              ;   in Loop: Header=BB327_11 Depth=1
	v_and_b32_e32 v2, 0x7f, v32
	v_mov_b32_e32 v0, 0x7c01
	s_mov_b32 s23, exec_lo
	buffer_store_dword v0, off, s[0:3], s32 offset:396 ; 4-byte Folded Spill
	v_cmpx_ne_u32_e32 0x7f, v2
	s_cbranch_execz .LBB327_593
; %bb.590:                              ;   in Loop: Header=BB327_11 Depth=1
	v_and_b32_e32 v0, 7, v32
	v_lshrrev_b32_e32 v1, 3, v2
	s_mov_b32 s24, exec_lo
	v_cmpx_gt_u32_e32 8, v2
; %bb.591:                              ;   in Loop: Header=BB327_11 Depth=1
	v_ffbh_u32_e32 v0, v0
	v_min_u32_e32 v2, 32, v0
	v_subrev_nc_u32_e32 v0, 28, v2
	v_lshlrev_b64 v[0:1], v0, v[32:33]
	v_sub_nc_u32_e32 v1, 29, v2
	v_and_b32_e32 v0, 7, v0
; %bb.592:                              ;   in Loop: Header=BB327_11 Depth=1
	s_or_b32 exec_lo, exec_lo, s24
	v_lshlrev_b32_e32 v2, 8, v32
	v_lshl_add_u32 v1, v1, 10, 0x2000
	v_lshlrev_b32_e32 v0, 7, v0
	v_and_b32_e32 v2, 0x8000, v2
	v_and_b32_e32 v1, 0xfc00, v1
	v_or3_b32 v0, v2, v1, v0
	buffer_store_dword v0, off, s[0:3], s32 offset:396 ; 4-byte Folded Spill
.LBB327_593:                            ;   in Loop: Header=BB327_11 Depth=1
	s_or_b32 exec_lo, exec_lo, s23
.LBB327_594:                            ;   in Loop: Header=BB327_11 Depth=1
	s_or_b32 exec_lo, exec_lo, s22
.LBB327_595:                            ;   in Loop: Header=BB327_11 Depth=1
	s_or_b32 exec_lo, exec_lo, s21
	v_lshrrev_b16 v7, 8, v32
	v_mov_b32_e32 v0, 0
	v_mov_b32_e32 v73, 0
	s_mov_b32 s21, exec_lo
	buffer_store_dword v0, off, s[0:3], s32 offset:400 ; 4-byte Folded Spill
	v_cmpx_ne_u16_e32 0, v7
	s_cbranch_execz .LBB327_603
; %bb.596:                              ;   in Loop: Header=BB327_11 Depth=1
	v_bfrev_b32_e32 v73, 1
	s_mov_b32 s22, exec_lo
	v_cmpx_ne_u16_e32 0x80, v7
	s_cbranch_execz .LBB327_602
; %bb.597:                              ;   in Loop: Header=BB327_11 Depth=1
	v_mov_b32_e32 v0, 0x7f
	v_mov_b32_e32 v73, 0x7c010000
	s_mov_b32 s23, exec_lo
	v_and_b32_sdwa v2, v7, v0 dst_sel:DWORD dst_unused:UNUSED_PAD src0_sel:WORD_0 src1_sel:DWORD
	v_cmpx_ne_u32_e32 0x7f, v2
	s_cbranch_execz .LBB327_601
; %bb.598:                              ;   in Loop: Header=BB327_11 Depth=1
	v_mov_b32_e32 v0, 7
	v_lshrrev_b32_e32 v1, 3, v2
	s_mov_b32 s24, exec_lo
	v_and_b32_sdwa v0, v7, v0 dst_sel:DWORD dst_unused:UNUSED_PAD src0_sel:WORD_0 src1_sel:DWORD
	v_cmpx_gt_u32_e32 8, v2
; %bb.599:                              ;   in Loop: Header=BB327_11 Depth=1
	v_ffbh_u32_e32 v0, v0
	v_min_u32_e32 v2, 32, v0
	v_subrev_nc_u32_e32 v0, 28, v2
	v_lshlrev_b64 v[0:1], v0, v[7:8]
	v_sub_nc_u32_e32 v1, 29, v2
	v_and_b32_e32 v0, 7, v0
; %bb.600:                              ;   in Loop: Header=BB327_11 Depth=1
	s_or_b32 exec_lo, exec_lo, s24
	v_mov_b32_e32 v2, 8
	v_lshl_add_u32 v1, v1, 10, 0x2000
	v_lshlrev_b32_e32 v0, 23, v0
	v_lshlrev_b32_sdwa v2, v2, v7 dst_sel:DWORD dst_unused:UNUSED_PAD src0_sel:DWORD src1_sel:WORD_0
	v_and_or_b32 v1, 0x8000, v2, v1
	v_lshl_or_b32 v73, v1, 16, v0
.LBB327_601:                            ;   in Loop: Header=BB327_11 Depth=1
	s_or_b32 exec_lo, exec_lo, s23
.LBB327_602:                            ;   in Loop: Header=BB327_11 Depth=1
	s_or_b32 exec_lo, exec_lo, s22
.LBB327_603:                            ;   in Loop: Header=BB327_11 Depth=1
	s_or_b32 exec_lo, exec_lo, s21
	v_lshrrev_b32_e32 v7, 16, v32
	v_cmp_ne_u16_sdwa s5, v7, v8 src0_sel:BYTE_0 src1_sel:DWORD
	s_and_saveexec_b32 s21, s5
	s_cbranch_execz .LBB327_611
; %bb.604:                              ;   in Loop: Header=BB327_11 Depth=1
	v_cmp_ne_u16_sdwa s5, v7, v101 src0_sel:BYTE_0 src1_sel:DWORD
	v_mov_b32_e32 v0, 0x8000
	buffer_store_dword v0, off, s[0:3], s32 offset:400 ; 4-byte Folded Spill
	s_and_saveexec_b32 s22, s5
	s_cbranch_execz .LBB327_610
; %bb.605:                              ;   in Loop: Header=BB327_11 Depth=1
	v_bfe_u32 v2, v32, 16, 7
	v_mov_b32_e32 v0, 0x7c01
	s_mov_b32 s23, exec_lo
	buffer_store_dword v0, off, s[0:3], s32 offset:400 ; 4-byte Folded Spill
	v_cmpx_ne_u32_e32 0x7f, v2
	s_cbranch_execz .LBB327_609
; %bb.606:                              ;   in Loop: Header=BB327_11 Depth=1
	v_and_b32_e32 v0, 7, v7
	v_lshrrev_b32_e32 v1, 3, v2
	s_mov_b32 s24, exec_lo
	v_cmpx_gt_u32_e32 8, v2
; %bb.607:                              ;   in Loop: Header=BB327_11 Depth=1
	v_ffbh_u32_e32 v0, v0
	v_min_u32_e32 v2, 32, v0
	v_subrev_nc_u32_e32 v0, 28, v2
	v_lshlrev_b64 v[0:1], v0, v[7:8]
	v_sub_nc_u32_e32 v1, 29, v2
	v_and_b32_e32 v0, 7, v0
; %bb.608:                              ;   in Loop: Header=BB327_11 Depth=1
	s_or_b32 exec_lo, exec_lo, s24
	v_lshlrev_b32_e32 v2, 8, v7
	v_lshl_add_u32 v1, v1, 10, 0x2000
	v_lshlrev_b32_e32 v0, 7, v0
	v_and_b32_e32 v2, 0x8000, v2
	v_and_b32_e32 v1, 0xfc00, v1
	v_or3_b32 v0, v2, v1, v0
	buffer_store_dword v0, off, s[0:3], s32 offset:400 ; 4-byte Folded Spill
.LBB327_609:                            ;   in Loop: Header=BB327_11 Depth=1
	s_or_b32 exec_lo, exec_lo, s23
.LBB327_610:                            ;   in Loop: Header=BB327_11 Depth=1
	s_or_b32 exec_lo, exec_lo, s22
.LBB327_611:                            ;   in Loop: Header=BB327_11 Depth=1
	s_or_b32 exec_lo, exec_lo, s21
	v_mov_b32_e32 v0, 0
	v_mov_b32_e32 v88, 0
	s_mov_b32 s21, exec_lo
	buffer_store_dword v0, off, s[0:3], s32 offset:404 ; 4-byte Folded Spill
	v_cmpx_lt_u32_e32 0xffffff, v32
	s_cbranch_execz .LBB327_619
; %bb.612:                              ;   in Loop: Header=BB327_11 Depth=1
	v_lshrrev_b32_e32 v7, 24, v32
	v_bfrev_b32_e32 v88, 1
	s_mov_b32 s22, exec_lo
	v_cmpx_ne_u32_e32 0x80, v7
	s_cbranch_execz .LBB327_618
; %bb.613:                              ;   in Loop: Header=BB327_11 Depth=1
	v_and_b32_e32 v2, 0x7f, v7
	v_mov_b32_e32 v88, 0x7c010000
	s_mov_b32 s23, exec_lo
	v_cmpx_ne_u32_e32 0x7f, v2
	s_cbranch_execz .LBB327_617
; %bb.614:                              ;   in Loop: Header=BB327_11 Depth=1
	v_and_b32_e32 v0, 7, v7
	v_lshrrev_b32_e32 v1, 3, v2
	s_mov_b32 s24, exec_lo
	v_cmpx_gt_u32_e32 8, v2
; %bb.615:                              ;   in Loop: Header=BB327_11 Depth=1
	v_ffbh_u32_e32 v0, v0
	v_min_u32_e32 v2, 32, v0
	v_subrev_nc_u32_e32 v0, 28, v2
	v_lshlrev_b64 v[0:1], v0, v[7:8]
	v_sub_nc_u32_e32 v1, 29, v2
	v_and_b32_e32 v0, 7, v0
; %bb.616:                              ;   in Loop: Header=BB327_11 Depth=1
	s_or_b32 exec_lo, exec_lo, s24
	v_lshlrev_b32_e32 v2, 8, v7
	v_lshl_add_u32 v1, v1, 10, 0x2000
	v_lshlrev_b32_e32 v0, 23, v0
	v_and_or_b32 v1, 0x8000, v2, v1
	v_lshl_or_b32 v88, v1, 16, v0
.LBB327_617:                            ;   in Loop: Header=BB327_11 Depth=1
	s_or_b32 exec_lo, exec_lo, s23
.LBB327_618:                            ;   in Loop: Header=BB327_11 Depth=1
	s_or_b32 exec_lo, exec_lo, s22
.LBB327_619:                            ;   in Loop: Header=BB327_11 Depth=1
	s_or_b32 exec_lo, exec_lo, s21
	v_mov_b32_e32 v7, v33
	v_cmp_ne_u16_sdwa s5, v33, v8 src0_sel:BYTE_0 src1_sel:DWORD
	s_and_saveexec_b32 s21, s5
	s_cbranch_execz .LBB327_627
; %bb.620:                              ;   in Loop: Header=BB327_11 Depth=1
	v_cmp_ne_u16_sdwa s5, v33, v101 src0_sel:BYTE_0 src1_sel:DWORD
	v_mov_b32_e32 v0, 0x8000
	buffer_store_dword v0, off, s[0:3], s32 offset:404 ; 4-byte Folded Spill
	s_and_saveexec_b32 s22, s5
	s_cbranch_execz .LBB327_626
; %bb.621:                              ;   in Loop: Header=BB327_11 Depth=1
	v_and_b32_e32 v2, 0x7f, v33
	v_mov_b32_e32 v0, 0x7c01
	s_mov_b32 s23, exec_lo
	buffer_store_dword v0, off, s[0:3], s32 offset:404 ; 4-byte Folded Spill
	v_cmpx_ne_u32_e32 0x7f, v2
	s_cbranch_execz .LBB327_625
; %bb.622:                              ;   in Loop: Header=BB327_11 Depth=1
	v_and_b32_e32 v0, 7, v33
	v_lshrrev_b32_e32 v1, 3, v2
	s_mov_b32 s24, exec_lo
	v_cmpx_gt_u32_e32 8, v2
; %bb.623:                              ;   in Loop: Header=BB327_11 Depth=1
	v_ffbh_u32_e32 v0, v0
	v_min_u32_e32 v2, 32, v0
	v_subrev_nc_u32_e32 v0, 28, v2
	v_lshlrev_b64 v[0:1], v0, v[7:8]
	v_sub_nc_u32_e32 v1, 29, v2
	v_and_b32_e32 v0, 7, v0
; %bb.624:                              ;   in Loop: Header=BB327_11 Depth=1
	s_or_b32 exec_lo, exec_lo, s24
	v_lshlrev_b32_e32 v2, 8, v33
	v_lshl_add_u32 v1, v1, 10, 0x2000
	v_lshlrev_b32_e32 v0, 7, v0
	v_and_b32_e32 v2, 0x8000, v2
	v_and_b32_e32 v1, 0xfc00, v1
	v_or3_b32 v0, v2, v1, v0
	buffer_store_dword v0, off, s[0:3], s32 offset:404 ; 4-byte Folded Spill
.LBB327_625:                            ;   in Loop: Header=BB327_11 Depth=1
	s_or_b32 exec_lo, exec_lo, s23
.LBB327_626:                            ;   in Loop: Header=BB327_11 Depth=1
	s_or_b32 exec_lo, exec_lo, s22
.LBB327_627:                            ;   in Loop: Header=BB327_11 Depth=1
	s_or_b32 exec_lo, exec_lo, s21
	v_lshrrev_b16 v7, 8, v7
	v_mov_b32_e32 v0, 0
	v_mov_b32_e32 v78, 0
	s_mov_b32 s21, exec_lo
	buffer_store_dword v0, off, s[0:3], s32 offset:408 ; 4-byte Folded Spill
	v_cmpx_ne_u16_e32 0, v7
	s_cbranch_execz .LBB327_635
; %bb.628:                              ;   in Loop: Header=BB327_11 Depth=1
	v_bfrev_b32_e32 v78, 1
	s_mov_b32 s22, exec_lo
	v_cmpx_ne_u16_e32 0x80, v7
	s_cbranch_execz .LBB327_634
; %bb.629:                              ;   in Loop: Header=BB327_11 Depth=1
	v_mov_b32_e32 v0, 0x7f
	v_mov_b32_e32 v78, 0x7c010000
	s_mov_b32 s23, exec_lo
	v_and_b32_sdwa v2, v7, v0 dst_sel:DWORD dst_unused:UNUSED_PAD src0_sel:WORD_0 src1_sel:DWORD
	v_cmpx_ne_u32_e32 0x7f, v2
	s_cbranch_execz .LBB327_633
; %bb.630:                              ;   in Loop: Header=BB327_11 Depth=1
	v_mov_b32_e32 v0, 7
	v_lshrrev_b32_e32 v1, 3, v2
	s_mov_b32 s24, exec_lo
	v_and_b32_sdwa v0, v7, v0 dst_sel:DWORD dst_unused:UNUSED_PAD src0_sel:WORD_0 src1_sel:DWORD
	v_cmpx_gt_u32_e32 8, v2
; %bb.631:                              ;   in Loop: Header=BB327_11 Depth=1
	v_ffbh_u32_e32 v0, v0
	v_min_u32_e32 v2, 32, v0
	v_subrev_nc_u32_e32 v0, 28, v2
	v_lshlrev_b64 v[0:1], v0, v[7:8]
	v_sub_nc_u32_e32 v1, 29, v2
	v_and_b32_e32 v0, 7, v0
; %bb.632:                              ;   in Loop: Header=BB327_11 Depth=1
	s_or_b32 exec_lo, exec_lo, s24
	v_mov_b32_e32 v2, 8
	v_lshl_add_u32 v1, v1, 10, 0x2000
	v_lshlrev_b32_e32 v0, 23, v0
	v_lshlrev_b32_sdwa v2, v2, v7 dst_sel:DWORD dst_unused:UNUSED_PAD src0_sel:DWORD src1_sel:WORD_0
	v_and_or_b32 v1, 0x8000, v2, v1
	v_lshl_or_b32 v78, v1, 16, v0
.LBB327_633:                            ;   in Loop: Header=BB327_11 Depth=1
	s_or_b32 exec_lo, exec_lo, s23
.LBB327_634:                            ;   in Loop: Header=BB327_11 Depth=1
	s_or_b32 exec_lo, exec_lo, s22
.LBB327_635:                            ;   in Loop: Header=BB327_11 Depth=1
	s_or_b32 exec_lo, exec_lo, s21
	v_lshrrev_b32_e32 v7, 16, v33
	v_cmp_ne_u16_sdwa s5, v7, v8 src0_sel:BYTE_0 src1_sel:DWORD
	s_and_saveexec_b32 s21, s5
	s_cbranch_execz .LBB327_643
; %bb.636:                              ;   in Loop: Header=BB327_11 Depth=1
	v_cmp_ne_u16_sdwa s5, v7, v101 src0_sel:BYTE_0 src1_sel:DWORD
	v_mov_b32_e32 v0, 0x8000
	buffer_store_dword v0, off, s[0:3], s32 offset:408 ; 4-byte Folded Spill
	s_and_saveexec_b32 s22, s5
	s_cbranch_execz .LBB327_642
; %bb.637:                              ;   in Loop: Header=BB327_11 Depth=1
	v_bfe_u32 v2, v33, 16, 7
	v_mov_b32_e32 v0, 0x7c01
	s_mov_b32 s23, exec_lo
	buffer_store_dword v0, off, s[0:3], s32 offset:408 ; 4-byte Folded Spill
	v_cmpx_ne_u32_e32 0x7f, v2
	s_cbranch_execz .LBB327_641
; %bb.638:                              ;   in Loop: Header=BB327_11 Depth=1
	v_and_b32_e32 v0, 7, v7
	v_lshrrev_b32_e32 v1, 3, v2
	s_mov_b32 s24, exec_lo
	v_cmpx_gt_u32_e32 8, v2
; %bb.639:                              ;   in Loop: Header=BB327_11 Depth=1
	v_ffbh_u32_e32 v0, v0
	v_min_u32_e32 v2, 32, v0
	v_subrev_nc_u32_e32 v0, 28, v2
	v_lshlrev_b64 v[0:1], v0, v[7:8]
	v_sub_nc_u32_e32 v1, 29, v2
	v_and_b32_e32 v0, 7, v0
; %bb.640:                              ;   in Loop: Header=BB327_11 Depth=1
	s_or_b32 exec_lo, exec_lo, s24
	v_lshlrev_b32_e32 v2, 8, v7
	v_lshl_add_u32 v1, v1, 10, 0x2000
	v_lshlrev_b32_e32 v0, 7, v0
	v_and_b32_e32 v2, 0x8000, v2
	v_and_b32_e32 v1, 0xfc00, v1
	v_or3_b32 v0, v2, v1, v0
	buffer_store_dword v0, off, s[0:3], s32 offset:408 ; 4-byte Folded Spill
.LBB327_641:                            ;   in Loop: Header=BB327_11 Depth=1
	s_or_b32 exec_lo, exec_lo, s23
.LBB327_642:                            ;   in Loop: Header=BB327_11 Depth=1
	s_or_b32 exec_lo, exec_lo, s22
.LBB327_643:                            ;   in Loop: Header=BB327_11 Depth=1
	s_or_b32 exec_lo, exec_lo, s21
	v_mov_b32_e32 v0, 0
	v_mov_b32_e32 v3, 0
	s_mov_b32 s21, exec_lo
	buffer_store_dword v0, off, s[0:3], s32 offset:412 ; 4-byte Folded Spill
	v_cmpx_lt_u64_e64 s[6:7], v[32:33]
	s_cbranch_execz .LBB327_651
; %bb.644:                              ;   in Loop: Header=BB327_11 Depth=1
	v_lshrrev_b32_e32 v7, 24, v33
	v_bfrev_b32_e32 v3, 1
	s_mov_b32 s22, exec_lo
	v_cmpx_ne_u32_e32 0x80, v7
	s_cbranch_execz .LBB327_650
; %bb.645:                              ;   in Loop: Header=BB327_11 Depth=1
	v_and_b32_e32 v2, 0x7f, v7
	v_mov_b32_e32 v3, 0x7c010000
	s_mov_b32 s23, exec_lo
	v_cmpx_ne_u32_e32 0x7f, v2
	s_cbranch_execz .LBB327_649
; %bb.646:                              ;   in Loop: Header=BB327_11 Depth=1
	v_and_b32_e32 v0, 7, v7
	v_lshrrev_b32_e32 v1, 3, v2
	s_mov_b32 s24, exec_lo
	v_cmpx_gt_u32_e32 8, v2
; %bb.647:                              ;   in Loop: Header=BB327_11 Depth=1
	v_ffbh_u32_e32 v0, v0
	v_min_u32_e32 v2, 32, v0
	v_subrev_nc_u32_e32 v0, 28, v2
	v_lshlrev_b64 v[0:1], v0, v[7:8]
	v_sub_nc_u32_e32 v1, 29, v2
	v_and_b32_e32 v0, 7, v0
; %bb.648:                              ;   in Loop: Header=BB327_11 Depth=1
	s_or_b32 exec_lo, exec_lo, s24
	v_lshlrev_b32_e32 v2, 8, v7
	v_lshl_add_u32 v1, v1, 10, 0x2000
	v_lshlrev_b32_e32 v0, 23, v0
	v_and_or_b32 v1, 0x8000, v2, v1
	v_lshl_or_b32 v3, v1, 16, v0
.LBB327_649:                            ;   in Loop: Header=BB327_11 Depth=1
	s_or_b32 exec_lo, exec_lo, s23
.LBB327_650:                            ;   in Loop: Header=BB327_11 Depth=1
	s_or_b32 exec_lo, exec_lo, s22
.LBB327_651:                            ;   in Loop: Header=BB327_11 Depth=1
	s_or_b32 exec_lo, exec_lo, s21
	flat_load_dwordx2 v[32:33], v[30:31] offset:512
	s_waitcnt vmcnt(0) lgkmcnt(0)
	v_cmp_ne_u16_sdwa s5, v32, v8 src0_sel:BYTE_0 src1_sel:DWORD
	s_and_saveexec_b32 s21, s5
	s_cbranch_execz .LBB327_659
; %bb.652:                              ;   in Loop: Header=BB327_11 Depth=1
	v_cmp_ne_u16_sdwa s5, v32, v101 src0_sel:BYTE_0 src1_sel:DWORD
	v_mov_b32_e32 v0, 0x8000
	buffer_store_dword v0, off, s[0:3], s32 offset:412 ; 4-byte Folded Spill
	s_and_saveexec_b32 s22, s5
	s_cbranch_execz .LBB327_658
; %bb.653:                              ;   in Loop: Header=BB327_11 Depth=1
	v_and_b32_e32 v2, 0x7f, v32
	v_mov_b32_e32 v0, 0x7c01
	s_mov_b32 s23, exec_lo
	buffer_store_dword v0, off, s[0:3], s32 offset:412 ; 4-byte Folded Spill
	v_cmpx_ne_u32_e32 0x7f, v2
	s_cbranch_execz .LBB327_657
; %bb.654:                              ;   in Loop: Header=BB327_11 Depth=1
	v_and_b32_e32 v0, 7, v32
	v_lshrrev_b32_e32 v1, 3, v2
	s_mov_b32 s24, exec_lo
	v_cmpx_gt_u32_e32 8, v2
; %bb.655:                              ;   in Loop: Header=BB327_11 Depth=1
	v_ffbh_u32_e32 v0, v0
	v_min_u32_e32 v2, 32, v0
	v_subrev_nc_u32_e32 v0, 28, v2
	v_lshlrev_b64 v[0:1], v0, v[32:33]
	v_sub_nc_u32_e32 v1, 29, v2
	v_and_b32_e32 v0, 7, v0
; %bb.656:                              ;   in Loop: Header=BB327_11 Depth=1
	s_or_b32 exec_lo, exec_lo, s24
	v_lshlrev_b32_e32 v2, 8, v32
	v_lshl_add_u32 v1, v1, 10, 0x2000
	v_lshlrev_b32_e32 v0, 7, v0
	v_and_b32_e32 v2, 0x8000, v2
	v_and_b32_e32 v1, 0xfc00, v1
	v_or3_b32 v0, v2, v1, v0
	buffer_store_dword v0, off, s[0:3], s32 offset:412 ; 4-byte Folded Spill
.LBB327_657:                            ;   in Loop: Header=BB327_11 Depth=1
	s_or_b32 exec_lo, exec_lo, s23
.LBB327_658:                            ;   in Loop: Header=BB327_11 Depth=1
	s_or_b32 exec_lo, exec_lo, s22
.LBB327_659:                            ;   in Loop: Header=BB327_11 Depth=1
	s_or_b32 exec_lo, exec_lo, s21
	v_lshrrev_b16 v7, 8, v32
	v_mov_b32_e32 v0, 0
	v_mov_b32_e32 v19, 0
	s_mov_b32 s21, exec_lo
	buffer_store_dword v0, off, s[0:3], s32 offset:416 ; 4-byte Folded Spill
	v_cmpx_ne_u16_e32 0, v7
	s_cbranch_execz .LBB327_667
; %bb.660:                              ;   in Loop: Header=BB327_11 Depth=1
	v_bfrev_b32_e32 v19, 1
	s_mov_b32 s22, exec_lo
	v_cmpx_ne_u16_e32 0x80, v7
	s_cbranch_execz .LBB327_666
; %bb.661:                              ;   in Loop: Header=BB327_11 Depth=1
	v_mov_b32_e32 v0, 0x7f
	v_mov_b32_e32 v19, 0x7c010000
	s_mov_b32 s23, exec_lo
	v_and_b32_sdwa v2, v7, v0 dst_sel:DWORD dst_unused:UNUSED_PAD src0_sel:WORD_0 src1_sel:DWORD
	v_cmpx_ne_u32_e32 0x7f, v2
	s_cbranch_execz .LBB327_665
; %bb.662:                              ;   in Loop: Header=BB327_11 Depth=1
	v_mov_b32_e32 v0, 7
	v_lshrrev_b32_e32 v1, 3, v2
	s_mov_b32 s24, exec_lo
	v_and_b32_sdwa v0, v7, v0 dst_sel:DWORD dst_unused:UNUSED_PAD src0_sel:WORD_0 src1_sel:DWORD
	v_cmpx_gt_u32_e32 8, v2
; %bb.663:                              ;   in Loop: Header=BB327_11 Depth=1
	v_ffbh_u32_e32 v0, v0
	v_min_u32_e32 v2, 32, v0
	v_subrev_nc_u32_e32 v0, 28, v2
	v_lshlrev_b64 v[0:1], v0, v[7:8]
	v_sub_nc_u32_e32 v1, 29, v2
	v_and_b32_e32 v0, 7, v0
; %bb.664:                              ;   in Loop: Header=BB327_11 Depth=1
	s_or_b32 exec_lo, exec_lo, s24
	v_mov_b32_e32 v2, 8
	v_lshl_add_u32 v1, v1, 10, 0x2000
	v_lshlrev_b32_e32 v0, 23, v0
	v_lshlrev_b32_sdwa v2, v2, v7 dst_sel:DWORD dst_unused:UNUSED_PAD src0_sel:DWORD src1_sel:WORD_0
	v_and_or_b32 v1, 0x8000, v2, v1
	v_lshl_or_b32 v19, v1, 16, v0
.LBB327_665:                            ;   in Loop: Header=BB327_11 Depth=1
	s_or_b32 exec_lo, exec_lo, s23
.LBB327_666:                            ;   in Loop: Header=BB327_11 Depth=1
	s_or_b32 exec_lo, exec_lo, s22
.LBB327_667:                            ;   in Loop: Header=BB327_11 Depth=1
	s_or_b32 exec_lo, exec_lo, s21
	v_lshrrev_b32_e32 v7, 16, v32
	v_cmp_ne_u16_sdwa s5, v7, v8 src0_sel:BYTE_0 src1_sel:DWORD
	s_and_saveexec_b32 s21, s5
	s_cbranch_execz .LBB327_675
; %bb.668:                              ;   in Loop: Header=BB327_11 Depth=1
	v_cmp_ne_u16_sdwa s5, v7, v101 src0_sel:BYTE_0 src1_sel:DWORD
	v_mov_b32_e32 v0, 0x8000
	buffer_store_dword v0, off, s[0:3], s32 offset:416 ; 4-byte Folded Spill
	s_and_saveexec_b32 s22, s5
	s_cbranch_execz .LBB327_674
; %bb.669:                              ;   in Loop: Header=BB327_11 Depth=1
	v_bfe_u32 v2, v32, 16, 7
	v_mov_b32_e32 v0, 0x7c01
	s_mov_b32 s23, exec_lo
	buffer_store_dword v0, off, s[0:3], s32 offset:416 ; 4-byte Folded Spill
	v_cmpx_ne_u32_e32 0x7f, v2
	s_cbranch_execz .LBB327_673
; %bb.670:                              ;   in Loop: Header=BB327_11 Depth=1
	v_and_b32_e32 v0, 7, v7
	v_lshrrev_b32_e32 v1, 3, v2
	s_mov_b32 s24, exec_lo
	v_cmpx_gt_u32_e32 8, v2
; %bb.671:                              ;   in Loop: Header=BB327_11 Depth=1
	v_ffbh_u32_e32 v0, v0
	v_min_u32_e32 v2, 32, v0
	v_subrev_nc_u32_e32 v0, 28, v2
	v_lshlrev_b64 v[0:1], v0, v[7:8]
	v_sub_nc_u32_e32 v1, 29, v2
	v_and_b32_e32 v0, 7, v0
; %bb.672:                              ;   in Loop: Header=BB327_11 Depth=1
	s_or_b32 exec_lo, exec_lo, s24
	v_lshlrev_b32_e32 v2, 8, v7
	v_lshl_add_u32 v1, v1, 10, 0x2000
	v_lshlrev_b32_e32 v0, 7, v0
	v_and_b32_e32 v2, 0x8000, v2
	v_and_b32_e32 v1, 0xfc00, v1
	v_or3_b32 v0, v2, v1, v0
	buffer_store_dword v0, off, s[0:3], s32 offset:416 ; 4-byte Folded Spill
.LBB327_673:                            ;   in Loop: Header=BB327_11 Depth=1
	s_or_b32 exec_lo, exec_lo, s23
.LBB327_674:                            ;   in Loop: Header=BB327_11 Depth=1
	s_or_b32 exec_lo, exec_lo, s22
.LBB327_675:                            ;   in Loop: Header=BB327_11 Depth=1
	s_or_b32 exec_lo, exec_lo, s21
	v_mov_b32_e32 v0, 0
	v_mov_b32_e32 v75, 0
	s_mov_b32 s21, exec_lo
	buffer_store_dword v0, off, s[0:3], s32 offset:420 ; 4-byte Folded Spill
	v_cmpx_lt_u32_e32 0xffffff, v32
	s_cbranch_execz .LBB327_683
; %bb.676:                              ;   in Loop: Header=BB327_11 Depth=1
	v_lshrrev_b32_e32 v7, 24, v32
	v_bfrev_b32_e32 v75, 1
	s_mov_b32 s22, exec_lo
	v_cmpx_ne_u32_e32 0x80, v7
	s_cbranch_execz .LBB327_682
; %bb.677:                              ;   in Loop: Header=BB327_11 Depth=1
	v_and_b32_e32 v2, 0x7f, v7
	v_mov_b32_e32 v75, 0x7c010000
	s_mov_b32 s23, exec_lo
	v_cmpx_ne_u32_e32 0x7f, v2
	s_cbranch_execz .LBB327_681
; %bb.678:                              ;   in Loop: Header=BB327_11 Depth=1
	v_and_b32_e32 v0, 7, v7
	v_lshrrev_b32_e32 v1, 3, v2
	s_mov_b32 s24, exec_lo
	v_cmpx_gt_u32_e32 8, v2
; %bb.679:                              ;   in Loop: Header=BB327_11 Depth=1
	v_ffbh_u32_e32 v0, v0
	v_min_u32_e32 v2, 32, v0
	v_subrev_nc_u32_e32 v0, 28, v2
	v_lshlrev_b64 v[0:1], v0, v[7:8]
	v_sub_nc_u32_e32 v1, 29, v2
	v_and_b32_e32 v0, 7, v0
; %bb.680:                              ;   in Loop: Header=BB327_11 Depth=1
	s_or_b32 exec_lo, exec_lo, s24
	v_lshlrev_b32_e32 v2, 8, v7
	v_lshl_add_u32 v1, v1, 10, 0x2000
	v_lshlrev_b32_e32 v0, 23, v0
	v_and_or_b32 v1, 0x8000, v2, v1
	v_lshl_or_b32 v75, v1, 16, v0
.LBB327_681:                            ;   in Loop: Header=BB327_11 Depth=1
	s_or_b32 exec_lo, exec_lo, s23
.LBB327_682:                            ;   in Loop: Header=BB327_11 Depth=1
	s_or_b32 exec_lo, exec_lo, s22
.LBB327_683:                            ;   in Loop: Header=BB327_11 Depth=1
	s_or_b32 exec_lo, exec_lo, s21
	v_mov_b32_e32 v7, v33
	v_cmp_ne_u16_sdwa s5, v33, v8 src0_sel:BYTE_0 src1_sel:DWORD
	s_and_saveexec_b32 s21, s5
	s_cbranch_execz .LBB327_691
; %bb.684:                              ;   in Loop: Header=BB327_11 Depth=1
	v_cmp_ne_u16_sdwa s5, v33, v101 src0_sel:BYTE_0 src1_sel:DWORD
	v_mov_b32_e32 v0, 0x8000
	buffer_store_dword v0, off, s[0:3], s32 offset:420 ; 4-byte Folded Spill
	s_and_saveexec_b32 s22, s5
	s_cbranch_execz .LBB327_690
; %bb.685:                              ;   in Loop: Header=BB327_11 Depth=1
	v_and_b32_e32 v2, 0x7f, v33
	v_mov_b32_e32 v0, 0x7c01
	s_mov_b32 s23, exec_lo
	buffer_store_dword v0, off, s[0:3], s32 offset:420 ; 4-byte Folded Spill
	v_cmpx_ne_u32_e32 0x7f, v2
	s_cbranch_execz .LBB327_689
; %bb.686:                              ;   in Loop: Header=BB327_11 Depth=1
	v_and_b32_e32 v0, 7, v33
	v_lshrrev_b32_e32 v1, 3, v2
	s_mov_b32 s24, exec_lo
	v_cmpx_gt_u32_e32 8, v2
; %bb.687:                              ;   in Loop: Header=BB327_11 Depth=1
	v_ffbh_u32_e32 v0, v0
	v_min_u32_e32 v2, 32, v0
	v_subrev_nc_u32_e32 v0, 28, v2
	v_lshlrev_b64 v[0:1], v0, v[7:8]
	v_sub_nc_u32_e32 v1, 29, v2
	v_and_b32_e32 v0, 7, v0
; %bb.688:                              ;   in Loop: Header=BB327_11 Depth=1
	s_or_b32 exec_lo, exec_lo, s24
	v_lshlrev_b32_e32 v2, 8, v33
	v_lshl_add_u32 v1, v1, 10, 0x2000
	v_lshlrev_b32_e32 v0, 7, v0
	v_and_b32_e32 v2, 0x8000, v2
	v_and_b32_e32 v1, 0xfc00, v1
	v_or3_b32 v0, v2, v1, v0
	buffer_store_dword v0, off, s[0:3], s32 offset:420 ; 4-byte Folded Spill
.LBB327_689:                            ;   in Loop: Header=BB327_11 Depth=1
	s_or_b32 exec_lo, exec_lo, s23
.LBB327_690:                            ;   in Loop: Header=BB327_11 Depth=1
	s_or_b32 exec_lo, exec_lo, s22
.LBB327_691:                            ;   in Loop: Header=BB327_11 Depth=1
	s_or_b32 exec_lo, exec_lo, s21
	v_lshrrev_b16 v7, 8, v7
	v_mov_b32_e32 v0, 0
	v_mov_b32_e32 v54, 0
	s_mov_b32 s21, exec_lo
	buffer_store_dword v0, off, s[0:3], s32 offset:424 ; 4-byte Folded Spill
	v_cmpx_ne_u16_e32 0, v7
	s_cbranch_execz .LBB327_699
; %bb.692:                              ;   in Loop: Header=BB327_11 Depth=1
	v_bfrev_b32_e32 v54, 1
	s_mov_b32 s22, exec_lo
	v_cmpx_ne_u16_e32 0x80, v7
	s_cbranch_execz .LBB327_698
; %bb.693:                              ;   in Loop: Header=BB327_11 Depth=1
	v_mov_b32_e32 v0, 0x7f
	v_mov_b32_e32 v54, 0x7c010000
	s_mov_b32 s23, exec_lo
	v_and_b32_sdwa v2, v7, v0 dst_sel:DWORD dst_unused:UNUSED_PAD src0_sel:WORD_0 src1_sel:DWORD
	v_cmpx_ne_u32_e32 0x7f, v2
	s_cbranch_execz .LBB327_697
; %bb.694:                              ;   in Loop: Header=BB327_11 Depth=1
	v_mov_b32_e32 v0, 7
	v_lshrrev_b32_e32 v1, 3, v2
	s_mov_b32 s24, exec_lo
	v_and_b32_sdwa v0, v7, v0 dst_sel:DWORD dst_unused:UNUSED_PAD src0_sel:WORD_0 src1_sel:DWORD
	v_cmpx_gt_u32_e32 8, v2
; %bb.695:                              ;   in Loop: Header=BB327_11 Depth=1
	v_ffbh_u32_e32 v0, v0
	v_min_u32_e32 v2, 32, v0
	v_subrev_nc_u32_e32 v0, 28, v2
	v_lshlrev_b64 v[0:1], v0, v[7:8]
	v_sub_nc_u32_e32 v1, 29, v2
	v_and_b32_e32 v0, 7, v0
; %bb.696:                              ;   in Loop: Header=BB327_11 Depth=1
	s_or_b32 exec_lo, exec_lo, s24
	v_mov_b32_e32 v2, 8
	v_lshl_add_u32 v1, v1, 10, 0x2000
	v_lshlrev_b32_e32 v0, 23, v0
	v_lshlrev_b32_sdwa v2, v2, v7 dst_sel:DWORD dst_unused:UNUSED_PAD src0_sel:DWORD src1_sel:WORD_0
	v_and_or_b32 v1, 0x8000, v2, v1
	v_lshl_or_b32 v54, v1, 16, v0
.LBB327_697:                            ;   in Loop: Header=BB327_11 Depth=1
	s_or_b32 exec_lo, exec_lo, s23
.LBB327_698:                            ;   in Loop: Header=BB327_11 Depth=1
	s_or_b32 exec_lo, exec_lo, s22
.LBB327_699:                            ;   in Loop: Header=BB327_11 Depth=1
	s_or_b32 exec_lo, exec_lo, s21
	v_lshrrev_b32_e32 v7, 16, v33
	v_cmp_ne_u16_sdwa s5, v7, v8 src0_sel:BYTE_0 src1_sel:DWORD
	s_and_saveexec_b32 s21, s5
	s_cbranch_execz .LBB327_707
; %bb.700:                              ;   in Loop: Header=BB327_11 Depth=1
	v_cmp_ne_u16_sdwa s5, v7, v101 src0_sel:BYTE_0 src1_sel:DWORD
	v_mov_b32_e32 v0, 0x8000
	buffer_store_dword v0, off, s[0:3], s32 offset:424 ; 4-byte Folded Spill
	s_and_saveexec_b32 s22, s5
	s_cbranch_execz .LBB327_706
; %bb.701:                              ;   in Loop: Header=BB327_11 Depth=1
	v_bfe_u32 v2, v33, 16, 7
	v_mov_b32_e32 v0, 0x7c01
	s_mov_b32 s23, exec_lo
	buffer_store_dword v0, off, s[0:3], s32 offset:424 ; 4-byte Folded Spill
	v_cmpx_ne_u32_e32 0x7f, v2
	s_cbranch_execz .LBB327_705
; %bb.702:                              ;   in Loop: Header=BB327_11 Depth=1
	v_and_b32_e32 v0, 7, v7
	v_lshrrev_b32_e32 v1, 3, v2
	s_mov_b32 s24, exec_lo
	v_cmpx_gt_u32_e32 8, v2
; %bb.703:                              ;   in Loop: Header=BB327_11 Depth=1
	v_ffbh_u32_e32 v0, v0
	v_min_u32_e32 v2, 32, v0
	v_subrev_nc_u32_e32 v0, 28, v2
	v_lshlrev_b64 v[0:1], v0, v[7:8]
	v_sub_nc_u32_e32 v1, 29, v2
	v_and_b32_e32 v0, 7, v0
; %bb.704:                              ;   in Loop: Header=BB327_11 Depth=1
	s_or_b32 exec_lo, exec_lo, s24
	v_lshlrev_b32_e32 v2, 8, v7
	v_lshl_add_u32 v1, v1, 10, 0x2000
	v_lshlrev_b32_e32 v0, 7, v0
	v_and_b32_e32 v2, 0x8000, v2
	v_and_b32_e32 v1, 0xfc00, v1
	v_or3_b32 v0, v2, v1, v0
	buffer_store_dword v0, off, s[0:3], s32 offset:424 ; 4-byte Folded Spill
.LBB327_705:                            ;   in Loop: Header=BB327_11 Depth=1
	s_or_b32 exec_lo, exec_lo, s23
.LBB327_706:                            ;   in Loop: Header=BB327_11 Depth=1
	s_or_b32 exec_lo, exec_lo, s22
.LBB327_707:                            ;   in Loop: Header=BB327_11 Depth=1
	s_or_b32 exec_lo, exec_lo, s21
	v_mov_b32_e32 v0, 0
	v_mov_b32_e32 v91, 0
	s_mov_b32 s21, exec_lo
	buffer_store_dword v0, off, s[0:3], s32 offset:428 ; 4-byte Folded Spill
	v_cmpx_lt_u64_e64 s[6:7], v[32:33]
	s_cbranch_execz .LBB327_715
; %bb.708:                              ;   in Loop: Header=BB327_11 Depth=1
	v_lshrrev_b32_e32 v7, 24, v33
	v_bfrev_b32_e32 v91, 1
	s_mov_b32 s22, exec_lo
	v_cmpx_ne_u32_e32 0x80, v7
	s_cbranch_execz .LBB327_714
; %bb.709:                              ;   in Loop: Header=BB327_11 Depth=1
	v_and_b32_e32 v2, 0x7f, v7
	v_mov_b32_e32 v91, 0x7c010000
	s_mov_b32 s23, exec_lo
	v_cmpx_ne_u32_e32 0x7f, v2
	s_cbranch_execz .LBB327_713
; %bb.710:                              ;   in Loop: Header=BB327_11 Depth=1
	v_and_b32_e32 v0, 7, v7
	v_lshrrev_b32_e32 v1, 3, v2
	s_mov_b32 s24, exec_lo
	v_cmpx_gt_u32_e32 8, v2
; %bb.711:                              ;   in Loop: Header=BB327_11 Depth=1
	v_ffbh_u32_e32 v0, v0
	v_min_u32_e32 v2, 32, v0
	v_subrev_nc_u32_e32 v0, 28, v2
	v_lshlrev_b64 v[0:1], v0, v[7:8]
	v_sub_nc_u32_e32 v1, 29, v2
	v_and_b32_e32 v0, 7, v0
; %bb.712:                              ;   in Loop: Header=BB327_11 Depth=1
	s_or_b32 exec_lo, exec_lo, s24
	v_lshlrev_b32_e32 v2, 8, v7
	v_lshl_add_u32 v1, v1, 10, 0x2000
	v_lshlrev_b32_e32 v0, 23, v0
	v_and_or_b32 v1, 0x8000, v2, v1
	v_lshl_or_b32 v91, v1, 16, v0
.LBB327_713:                            ;   in Loop: Header=BB327_11 Depth=1
	s_or_b32 exec_lo, exec_lo, s23
.LBB327_714:                            ;   in Loop: Header=BB327_11 Depth=1
	s_or_b32 exec_lo, exec_lo, s22
.LBB327_715:                            ;   in Loop: Header=BB327_11 Depth=1
	s_or_b32 exec_lo, exec_lo, s21
	flat_load_dwordx2 v[32:33], v[30:31] offset:520
	s_waitcnt vmcnt(0) lgkmcnt(0)
	v_cmp_ne_u16_sdwa s5, v32, v8 src0_sel:BYTE_0 src1_sel:DWORD
	s_and_saveexec_b32 s21, s5
	s_cbranch_execz .LBB327_723
; %bb.716:                              ;   in Loop: Header=BB327_11 Depth=1
	v_cmp_ne_u16_sdwa s5, v32, v101 src0_sel:BYTE_0 src1_sel:DWORD
	v_mov_b32_e32 v0, 0x8000
	buffer_store_dword v0, off, s[0:3], s32 offset:428 ; 4-byte Folded Spill
	s_and_saveexec_b32 s22, s5
	s_cbranch_execz .LBB327_722
; %bb.717:                              ;   in Loop: Header=BB327_11 Depth=1
	v_and_b32_e32 v2, 0x7f, v32
	v_mov_b32_e32 v0, 0x7c01
	s_mov_b32 s23, exec_lo
	buffer_store_dword v0, off, s[0:3], s32 offset:428 ; 4-byte Folded Spill
	v_cmpx_ne_u32_e32 0x7f, v2
	s_cbranch_execz .LBB327_721
; %bb.718:                              ;   in Loop: Header=BB327_11 Depth=1
	v_and_b32_e32 v0, 7, v32
	v_lshrrev_b32_e32 v1, 3, v2
	s_mov_b32 s24, exec_lo
	v_cmpx_gt_u32_e32 8, v2
; %bb.719:                              ;   in Loop: Header=BB327_11 Depth=1
	v_ffbh_u32_e32 v0, v0
	v_min_u32_e32 v2, 32, v0
	v_subrev_nc_u32_e32 v0, 28, v2
	v_lshlrev_b64 v[0:1], v0, v[32:33]
	v_sub_nc_u32_e32 v1, 29, v2
	v_and_b32_e32 v0, 7, v0
; %bb.720:                              ;   in Loop: Header=BB327_11 Depth=1
	s_or_b32 exec_lo, exec_lo, s24
	v_lshlrev_b32_e32 v2, 8, v32
	v_lshl_add_u32 v1, v1, 10, 0x2000
	v_lshlrev_b32_e32 v0, 7, v0
	v_and_b32_e32 v2, 0x8000, v2
	v_and_b32_e32 v1, 0xfc00, v1
	v_or3_b32 v0, v2, v1, v0
	buffer_store_dword v0, off, s[0:3], s32 offset:428 ; 4-byte Folded Spill
.LBB327_721:                            ;   in Loop: Header=BB327_11 Depth=1
	s_or_b32 exec_lo, exec_lo, s23
.LBB327_722:                            ;   in Loop: Header=BB327_11 Depth=1
	s_or_b32 exec_lo, exec_lo, s22
.LBB327_723:                            ;   in Loop: Header=BB327_11 Depth=1
	s_or_b32 exec_lo, exec_lo, s21
	v_lshrrev_b16 v7, 8, v32
	v_mov_b32_e32 v0, 0
	v_mov_b32_e32 v68, 0
	s_mov_b32 s21, exec_lo
	buffer_store_dword v0, off, s[0:3], s32 offset:432 ; 4-byte Folded Spill
	v_cmpx_ne_u16_e32 0, v7
	s_cbranch_execz .LBB327_731
; %bb.724:                              ;   in Loop: Header=BB327_11 Depth=1
	v_bfrev_b32_e32 v68, 1
	s_mov_b32 s22, exec_lo
	v_cmpx_ne_u16_e32 0x80, v7
	s_cbranch_execz .LBB327_730
; %bb.725:                              ;   in Loop: Header=BB327_11 Depth=1
	v_mov_b32_e32 v0, 0x7f
	v_mov_b32_e32 v68, 0x7c010000
	s_mov_b32 s23, exec_lo
	v_and_b32_sdwa v2, v7, v0 dst_sel:DWORD dst_unused:UNUSED_PAD src0_sel:WORD_0 src1_sel:DWORD
	v_cmpx_ne_u32_e32 0x7f, v2
	s_cbranch_execz .LBB327_729
; %bb.726:                              ;   in Loop: Header=BB327_11 Depth=1
	v_mov_b32_e32 v0, 7
	v_lshrrev_b32_e32 v1, 3, v2
	s_mov_b32 s24, exec_lo
	v_and_b32_sdwa v0, v7, v0 dst_sel:DWORD dst_unused:UNUSED_PAD src0_sel:WORD_0 src1_sel:DWORD
	v_cmpx_gt_u32_e32 8, v2
; %bb.727:                              ;   in Loop: Header=BB327_11 Depth=1
	v_ffbh_u32_e32 v0, v0
	v_min_u32_e32 v2, 32, v0
	v_subrev_nc_u32_e32 v0, 28, v2
	v_lshlrev_b64 v[0:1], v0, v[7:8]
	v_sub_nc_u32_e32 v1, 29, v2
	v_and_b32_e32 v0, 7, v0
; %bb.728:                              ;   in Loop: Header=BB327_11 Depth=1
	s_or_b32 exec_lo, exec_lo, s24
	v_mov_b32_e32 v2, 8
	v_lshl_add_u32 v1, v1, 10, 0x2000
	v_lshlrev_b32_e32 v0, 23, v0
	v_lshlrev_b32_sdwa v2, v2, v7 dst_sel:DWORD dst_unused:UNUSED_PAD src0_sel:DWORD src1_sel:WORD_0
	v_and_or_b32 v1, 0x8000, v2, v1
	v_lshl_or_b32 v68, v1, 16, v0
.LBB327_729:                            ;   in Loop: Header=BB327_11 Depth=1
	s_or_b32 exec_lo, exec_lo, s23
.LBB327_730:                            ;   in Loop: Header=BB327_11 Depth=1
	s_or_b32 exec_lo, exec_lo, s22
.LBB327_731:                            ;   in Loop: Header=BB327_11 Depth=1
	s_or_b32 exec_lo, exec_lo, s21
	v_lshrrev_b32_e32 v7, 16, v32
	v_cmp_ne_u16_sdwa s5, v7, v8 src0_sel:BYTE_0 src1_sel:DWORD
	s_and_saveexec_b32 s21, s5
	s_cbranch_execz .LBB327_739
; %bb.732:                              ;   in Loop: Header=BB327_11 Depth=1
	v_cmp_ne_u16_sdwa s5, v7, v101 src0_sel:BYTE_0 src1_sel:DWORD
	v_mov_b32_e32 v0, 0x8000
	buffer_store_dword v0, off, s[0:3], s32 offset:432 ; 4-byte Folded Spill
	s_and_saveexec_b32 s22, s5
	s_cbranch_execz .LBB327_738
; %bb.733:                              ;   in Loop: Header=BB327_11 Depth=1
	v_bfe_u32 v2, v32, 16, 7
	v_mov_b32_e32 v0, 0x7c01
	s_mov_b32 s23, exec_lo
	buffer_store_dword v0, off, s[0:3], s32 offset:432 ; 4-byte Folded Spill
	v_cmpx_ne_u32_e32 0x7f, v2
	s_cbranch_execz .LBB327_737
; %bb.734:                              ;   in Loop: Header=BB327_11 Depth=1
	v_and_b32_e32 v0, 7, v7
	v_lshrrev_b32_e32 v1, 3, v2
	s_mov_b32 s24, exec_lo
	v_cmpx_gt_u32_e32 8, v2
; %bb.735:                              ;   in Loop: Header=BB327_11 Depth=1
	v_ffbh_u32_e32 v0, v0
	v_min_u32_e32 v2, 32, v0
	v_subrev_nc_u32_e32 v0, 28, v2
	v_lshlrev_b64 v[0:1], v0, v[7:8]
	v_sub_nc_u32_e32 v1, 29, v2
	v_and_b32_e32 v0, 7, v0
; %bb.736:                              ;   in Loop: Header=BB327_11 Depth=1
	s_or_b32 exec_lo, exec_lo, s24
	v_lshlrev_b32_e32 v2, 8, v7
	v_lshl_add_u32 v1, v1, 10, 0x2000
	v_lshlrev_b32_e32 v0, 7, v0
	v_and_b32_e32 v2, 0x8000, v2
	v_and_b32_e32 v1, 0xfc00, v1
	v_or3_b32 v0, v2, v1, v0
	buffer_store_dword v0, off, s[0:3], s32 offset:432 ; 4-byte Folded Spill
.LBB327_737:                            ;   in Loop: Header=BB327_11 Depth=1
	s_or_b32 exec_lo, exec_lo, s23
.LBB327_738:                            ;   in Loop: Header=BB327_11 Depth=1
	s_or_b32 exec_lo, exec_lo, s22
.LBB327_739:                            ;   in Loop: Header=BB327_11 Depth=1
	s_or_b32 exec_lo, exec_lo, s21
	v_mov_b32_e32 v0, 0
	v_mov_b32_e32 v4, 0
	s_mov_b32 s21, exec_lo
	buffer_store_dword v0, off, s[0:3], s32 offset:436 ; 4-byte Folded Spill
	v_cmpx_lt_u32_e32 0xffffff, v32
	s_cbranch_execz .LBB327_747
; %bb.740:                              ;   in Loop: Header=BB327_11 Depth=1
	v_lshrrev_b32_e32 v7, 24, v32
	v_bfrev_b32_e32 v4, 1
	s_mov_b32 s22, exec_lo
	v_cmpx_ne_u32_e32 0x80, v7
	s_cbranch_execz .LBB327_746
; %bb.741:                              ;   in Loop: Header=BB327_11 Depth=1
	v_and_b32_e32 v2, 0x7f, v7
	v_mov_b32_e32 v4, 0x7c010000
	s_mov_b32 s23, exec_lo
	v_cmpx_ne_u32_e32 0x7f, v2
	s_cbranch_execz .LBB327_745
; %bb.742:                              ;   in Loop: Header=BB327_11 Depth=1
	v_and_b32_e32 v0, 7, v7
	v_lshrrev_b32_e32 v1, 3, v2
	s_mov_b32 s24, exec_lo
	v_cmpx_gt_u32_e32 8, v2
; %bb.743:                              ;   in Loop: Header=BB327_11 Depth=1
	v_ffbh_u32_e32 v0, v0
	v_min_u32_e32 v2, 32, v0
	v_subrev_nc_u32_e32 v0, 28, v2
	v_lshlrev_b64 v[0:1], v0, v[7:8]
	v_sub_nc_u32_e32 v1, 29, v2
	v_and_b32_e32 v0, 7, v0
; %bb.744:                              ;   in Loop: Header=BB327_11 Depth=1
	s_or_b32 exec_lo, exec_lo, s24
	v_lshlrev_b32_e32 v2, 8, v7
	v_lshl_add_u32 v1, v1, 10, 0x2000
	v_lshlrev_b32_e32 v0, 23, v0
	v_and_or_b32 v1, 0x8000, v2, v1
	v_lshl_or_b32 v4, v1, 16, v0
.LBB327_745:                            ;   in Loop: Header=BB327_11 Depth=1
	s_or_b32 exec_lo, exec_lo, s23
.LBB327_746:                            ;   in Loop: Header=BB327_11 Depth=1
	s_or_b32 exec_lo, exec_lo, s22
.LBB327_747:                            ;   in Loop: Header=BB327_11 Depth=1
	s_or_b32 exec_lo, exec_lo, s21
	v_mov_b32_e32 v7, v33
	v_cmp_ne_u16_sdwa s5, v33, v8 src0_sel:BYTE_0 src1_sel:DWORD
	s_and_saveexec_b32 s21, s5
	s_cbranch_execz .LBB327_755
; %bb.748:                              ;   in Loop: Header=BB327_11 Depth=1
	v_cmp_ne_u16_sdwa s5, v33, v101 src0_sel:BYTE_0 src1_sel:DWORD
	v_mov_b32_e32 v0, 0x8000
	buffer_store_dword v0, off, s[0:3], s32 offset:436 ; 4-byte Folded Spill
	s_and_saveexec_b32 s22, s5
	s_cbranch_execz .LBB327_754
; %bb.749:                              ;   in Loop: Header=BB327_11 Depth=1
	v_and_b32_e32 v2, 0x7f, v33
	v_mov_b32_e32 v0, 0x7c01
	s_mov_b32 s23, exec_lo
	buffer_store_dword v0, off, s[0:3], s32 offset:436 ; 4-byte Folded Spill
	v_cmpx_ne_u32_e32 0x7f, v2
	s_cbranch_execz .LBB327_753
; %bb.750:                              ;   in Loop: Header=BB327_11 Depth=1
	v_and_b32_e32 v0, 7, v33
	v_lshrrev_b32_e32 v1, 3, v2
	s_mov_b32 s24, exec_lo
	v_cmpx_gt_u32_e32 8, v2
; %bb.751:                              ;   in Loop: Header=BB327_11 Depth=1
	v_ffbh_u32_e32 v0, v0
	v_min_u32_e32 v2, 32, v0
	v_subrev_nc_u32_e32 v0, 28, v2
	v_lshlrev_b64 v[0:1], v0, v[7:8]
	v_sub_nc_u32_e32 v1, 29, v2
	v_and_b32_e32 v0, 7, v0
; %bb.752:                              ;   in Loop: Header=BB327_11 Depth=1
	s_or_b32 exec_lo, exec_lo, s24
	v_lshlrev_b32_e32 v2, 8, v33
	v_lshl_add_u32 v1, v1, 10, 0x2000
	v_lshlrev_b32_e32 v0, 7, v0
	v_and_b32_e32 v2, 0x8000, v2
	v_and_b32_e32 v1, 0xfc00, v1
	v_or3_b32 v0, v2, v1, v0
	buffer_store_dword v0, off, s[0:3], s32 offset:436 ; 4-byte Folded Spill
.LBB327_753:                            ;   in Loop: Header=BB327_11 Depth=1
	s_or_b32 exec_lo, exec_lo, s23
.LBB327_754:                            ;   in Loop: Header=BB327_11 Depth=1
	s_or_b32 exec_lo, exec_lo, s22
.LBB327_755:                            ;   in Loop: Header=BB327_11 Depth=1
	s_or_b32 exec_lo, exec_lo, s21
	v_lshrrev_b16 v7, 8, v7
	v_mov_b32_e32 v0, 0
	v_mov_b32_e32 v16, 0
	s_mov_b32 s21, exec_lo
	buffer_store_dword v0, off, s[0:3], s32 offset:440 ; 4-byte Folded Spill
	v_cmpx_ne_u16_e32 0, v7
	s_cbranch_execz .LBB327_763
; %bb.756:                              ;   in Loop: Header=BB327_11 Depth=1
	v_bfrev_b32_e32 v16, 1
	s_mov_b32 s22, exec_lo
	v_cmpx_ne_u16_e32 0x80, v7
	s_cbranch_execz .LBB327_762
; %bb.757:                              ;   in Loop: Header=BB327_11 Depth=1
	v_mov_b32_e32 v0, 0x7f
	v_mov_b32_e32 v16, 0x7c010000
	s_mov_b32 s23, exec_lo
	v_and_b32_sdwa v2, v7, v0 dst_sel:DWORD dst_unused:UNUSED_PAD src0_sel:WORD_0 src1_sel:DWORD
	v_cmpx_ne_u32_e32 0x7f, v2
	s_cbranch_execz .LBB327_761
; %bb.758:                              ;   in Loop: Header=BB327_11 Depth=1
	v_mov_b32_e32 v0, 7
	v_lshrrev_b32_e32 v1, 3, v2
	s_mov_b32 s24, exec_lo
	v_and_b32_sdwa v0, v7, v0 dst_sel:DWORD dst_unused:UNUSED_PAD src0_sel:WORD_0 src1_sel:DWORD
	v_cmpx_gt_u32_e32 8, v2
; %bb.759:                              ;   in Loop: Header=BB327_11 Depth=1
	v_ffbh_u32_e32 v0, v0
	v_min_u32_e32 v2, 32, v0
	v_subrev_nc_u32_e32 v0, 28, v2
	v_lshlrev_b64 v[0:1], v0, v[7:8]
	v_sub_nc_u32_e32 v1, 29, v2
	v_and_b32_e32 v0, 7, v0
; %bb.760:                              ;   in Loop: Header=BB327_11 Depth=1
	s_or_b32 exec_lo, exec_lo, s24
	v_mov_b32_e32 v2, 8
	v_lshl_add_u32 v1, v1, 10, 0x2000
	v_lshlrev_b32_e32 v0, 23, v0
	v_lshlrev_b32_sdwa v2, v2, v7 dst_sel:DWORD dst_unused:UNUSED_PAD src0_sel:DWORD src1_sel:WORD_0
	v_and_or_b32 v1, 0x8000, v2, v1
	v_lshl_or_b32 v16, v1, 16, v0
.LBB327_761:                            ;   in Loop: Header=BB327_11 Depth=1
	s_or_b32 exec_lo, exec_lo, s23
.LBB327_762:                            ;   in Loop: Header=BB327_11 Depth=1
	s_or_b32 exec_lo, exec_lo, s22
.LBB327_763:                            ;   in Loop: Header=BB327_11 Depth=1
	s_or_b32 exec_lo, exec_lo, s21
	v_lshrrev_b32_e32 v7, 16, v33
	v_cmp_ne_u16_sdwa s5, v7, v8 src0_sel:BYTE_0 src1_sel:DWORD
	s_and_saveexec_b32 s21, s5
	s_cbranch_execz .LBB327_771
; %bb.764:                              ;   in Loop: Header=BB327_11 Depth=1
	v_cmp_ne_u16_sdwa s5, v7, v101 src0_sel:BYTE_0 src1_sel:DWORD
	v_mov_b32_e32 v0, 0x8000
	buffer_store_dword v0, off, s[0:3], s32 offset:440 ; 4-byte Folded Spill
	s_and_saveexec_b32 s22, s5
	s_cbranch_execz .LBB327_770
; %bb.765:                              ;   in Loop: Header=BB327_11 Depth=1
	v_bfe_u32 v2, v33, 16, 7
	v_mov_b32_e32 v0, 0x7c01
	s_mov_b32 s23, exec_lo
	buffer_store_dword v0, off, s[0:3], s32 offset:440 ; 4-byte Folded Spill
	v_cmpx_ne_u32_e32 0x7f, v2
	s_cbranch_execz .LBB327_769
; %bb.766:                              ;   in Loop: Header=BB327_11 Depth=1
	v_and_b32_e32 v0, 7, v7
	v_lshrrev_b32_e32 v1, 3, v2
	s_mov_b32 s24, exec_lo
	v_cmpx_gt_u32_e32 8, v2
; %bb.767:                              ;   in Loop: Header=BB327_11 Depth=1
	v_ffbh_u32_e32 v0, v0
	v_min_u32_e32 v2, 32, v0
	v_subrev_nc_u32_e32 v0, 28, v2
	v_lshlrev_b64 v[0:1], v0, v[7:8]
	v_sub_nc_u32_e32 v1, 29, v2
	v_and_b32_e32 v0, 7, v0
; %bb.768:                              ;   in Loop: Header=BB327_11 Depth=1
	s_or_b32 exec_lo, exec_lo, s24
	v_lshlrev_b32_e32 v2, 8, v7
	v_lshl_add_u32 v1, v1, 10, 0x2000
	v_lshlrev_b32_e32 v0, 7, v0
	v_and_b32_e32 v2, 0x8000, v2
	v_and_b32_e32 v1, 0xfc00, v1
	v_or3_b32 v0, v2, v1, v0
	buffer_store_dword v0, off, s[0:3], s32 offset:440 ; 4-byte Folded Spill
.LBB327_769:                            ;   in Loop: Header=BB327_11 Depth=1
	s_or_b32 exec_lo, exec_lo, s23
.LBB327_770:                            ;   in Loop: Header=BB327_11 Depth=1
	s_or_b32 exec_lo, exec_lo, s22
.LBB327_771:                            ;   in Loop: Header=BB327_11 Depth=1
	s_or_b32 exec_lo, exec_lo, s21
	v_mov_b32_e32 v0, 0
	v_mov_b32_e32 v109, 0
	s_mov_b32 s21, exec_lo
	buffer_store_dword v0, off, s[0:3], s32 offset:444 ; 4-byte Folded Spill
	v_cmpx_lt_u64_e64 s[6:7], v[32:33]
	s_cbranch_execz .LBB327_779
; %bb.772:                              ;   in Loop: Header=BB327_11 Depth=1
	v_lshrrev_b32_e32 v7, 24, v33
	v_bfrev_b32_e32 v109, 1
	s_mov_b32 s22, exec_lo
	v_cmpx_ne_u32_e32 0x80, v7
	s_cbranch_execz .LBB327_778
; %bb.773:                              ;   in Loop: Header=BB327_11 Depth=1
	v_and_b32_e32 v2, 0x7f, v7
	v_mov_b32_e32 v109, 0x7c010000
	s_mov_b32 s23, exec_lo
	v_cmpx_ne_u32_e32 0x7f, v2
	s_cbranch_execz .LBB327_777
; %bb.774:                              ;   in Loop: Header=BB327_11 Depth=1
	v_and_b32_e32 v0, 7, v7
	v_lshrrev_b32_e32 v1, 3, v2
	s_mov_b32 s24, exec_lo
	v_cmpx_gt_u32_e32 8, v2
; %bb.775:                              ;   in Loop: Header=BB327_11 Depth=1
	v_ffbh_u32_e32 v0, v0
	v_min_u32_e32 v2, 32, v0
	v_subrev_nc_u32_e32 v0, 28, v2
	v_lshlrev_b64 v[0:1], v0, v[7:8]
	v_sub_nc_u32_e32 v1, 29, v2
	v_and_b32_e32 v0, 7, v0
; %bb.776:                              ;   in Loop: Header=BB327_11 Depth=1
	s_or_b32 exec_lo, exec_lo, s24
	v_lshlrev_b32_e32 v2, 8, v7
	v_lshl_add_u32 v1, v1, 10, 0x2000
	v_lshlrev_b32_e32 v0, 23, v0
	v_and_or_b32 v1, 0x8000, v2, v1
	v_lshl_or_b32 v109, v1, 16, v0
.LBB327_777:                            ;   in Loop: Header=BB327_11 Depth=1
	s_or_b32 exec_lo, exec_lo, s23
.LBB327_778:                            ;   in Loop: Header=BB327_11 Depth=1
	s_or_b32 exec_lo, exec_lo, s22
.LBB327_779:                            ;   in Loop: Header=BB327_11 Depth=1
	s_or_b32 exec_lo, exec_lo, s21
	flat_load_dwordx2 v[32:33], v[30:31] offset:1024
	s_waitcnt vmcnt(0) lgkmcnt(0)
	v_cmp_ne_u16_sdwa s5, v32, v8 src0_sel:BYTE_0 src1_sel:DWORD
	s_and_saveexec_b32 s21, s5
	s_cbranch_execz .LBB327_787
; %bb.780:                              ;   in Loop: Header=BB327_11 Depth=1
	v_cmp_ne_u16_sdwa s5, v32, v101 src0_sel:BYTE_0 src1_sel:DWORD
	v_mov_b32_e32 v0, 0x8000
	buffer_store_dword v0, off, s[0:3], s32 offset:444 ; 4-byte Folded Spill
	s_and_saveexec_b32 s22, s5
	s_cbranch_execz .LBB327_786
; %bb.781:                              ;   in Loop: Header=BB327_11 Depth=1
	v_and_b32_e32 v2, 0x7f, v32
	v_mov_b32_e32 v0, 0x7c01
	s_mov_b32 s23, exec_lo
	buffer_store_dword v0, off, s[0:3], s32 offset:444 ; 4-byte Folded Spill
	v_cmpx_ne_u32_e32 0x7f, v2
	s_cbranch_execz .LBB327_785
; %bb.782:                              ;   in Loop: Header=BB327_11 Depth=1
	v_and_b32_e32 v0, 7, v32
	v_lshrrev_b32_e32 v1, 3, v2
	s_mov_b32 s24, exec_lo
	v_cmpx_gt_u32_e32 8, v2
; %bb.783:                              ;   in Loop: Header=BB327_11 Depth=1
	v_ffbh_u32_e32 v0, v0
	v_min_u32_e32 v2, 32, v0
	v_subrev_nc_u32_e32 v0, 28, v2
	v_lshlrev_b64 v[0:1], v0, v[32:33]
	v_sub_nc_u32_e32 v1, 29, v2
	v_and_b32_e32 v0, 7, v0
; %bb.784:                              ;   in Loop: Header=BB327_11 Depth=1
	s_or_b32 exec_lo, exec_lo, s24
	v_lshlrev_b32_e32 v2, 8, v32
	v_lshl_add_u32 v1, v1, 10, 0x2000
	v_lshlrev_b32_e32 v0, 7, v0
	v_and_b32_e32 v2, 0x8000, v2
	v_and_b32_e32 v1, 0xfc00, v1
	v_or3_b32 v0, v2, v1, v0
	buffer_store_dword v0, off, s[0:3], s32 offset:444 ; 4-byte Folded Spill
.LBB327_785:                            ;   in Loop: Header=BB327_11 Depth=1
	s_or_b32 exec_lo, exec_lo, s23
.LBB327_786:                            ;   in Loop: Header=BB327_11 Depth=1
	s_or_b32 exec_lo, exec_lo, s22
.LBB327_787:                            ;   in Loop: Header=BB327_11 Depth=1
	s_or_b32 exec_lo, exec_lo, s21
	v_lshrrev_b16 v7, 8, v32
	v_mov_b32_e32 v0, 0
	v_mov_b32_e32 v48, 0
	s_mov_b32 s21, exec_lo
	buffer_store_dword v0, off, s[0:3], s32 offset:448 ; 4-byte Folded Spill
	v_cmpx_ne_u16_e32 0, v7
	s_cbranch_execz .LBB327_795
; %bb.788:                              ;   in Loop: Header=BB327_11 Depth=1
	v_bfrev_b32_e32 v48, 1
	s_mov_b32 s22, exec_lo
	v_cmpx_ne_u16_e32 0x80, v7
	s_cbranch_execz .LBB327_794
; %bb.789:                              ;   in Loop: Header=BB327_11 Depth=1
	v_mov_b32_e32 v0, 0x7f
	v_mov_b32_e32 v48, 0x7c010000
	s_mov_b32 s23, exec_lo
	v_and_b32_sdwa v2, v7, v0 dst_sel:DWORD dst_unused:UNUSED_PAD src0_sel:WORD_0 src1_sel:DWORD
	v_cmpx_ne_u32_e32 0x7f, v2
	s_cbranch_execz .LBB327_793
; %bb.790:                              ;   in Loop: Header=BB327_11 Depth=1
	v_mov_b32_e32 v0, 7
	v_lshrrev_b32_e32 v1, 3, v2
	s_mov_b32 s24, exec_lo
	v_and_b32_sdwa v0, v7, v0 dst_sel:DWORD dst_unused:UNUSED_PAD src0_sel:WORD_0 src1_sel:DWORD
	v_cmpx_gt_u32_e32 8, v2
; %bb.791:                              ;   in Loop: Header=BB327_11 Depth=1
	v_ffbh_u32_e32 v0, v0
	v_min_u32_e32 v2, 32, v0
	v_subrev_nc_u32_e32 v0, 28, v2
	v_lshlrev_b64 v[0:1], v0, v[7:8]
	v_sub_nc_u32_e32 v1, 29, v2
	v_and_b32_e32 v0, 7, v0
; %bb.792:                              ;   in Loop: Header=BB327_11 Depth=1
	s_or_b32 exec_lo, exec_lo, s24
	v_mov_b32_e32 v2, 8
	v_lshl_add_u32 v1, v1, 10, 0x2000
	v_lshlrev_b32_e32 v0, 23, v0
	v_lshlrev_b32_sdwa v2, v2, v7 dst_sel:DWORD dst_unused:UNUSED_PAD src0_sel:DWORD src1_sel:WORD_0
	v_and_or_b32 v1, 0x8000, v2, v1
	v_lshl_or_b32 v48, v1, 16, v0
.LBB327_793:                            ;   in Loop: Header=BB327_11 Depth=1
	s_or_b32 exec_lo, exec_lo, s23
.LBB327_794:                            ;   in Loop: Header=BB327_11 Depth=1
	s_or_b32 exec_lo, exec_lo, s22
.LBB327_795:                            ;   in Loop: Header=BB327_11 Depth=1
	s_or_b32 exec_lo, exec_lo, s21
	v_lshrrev_b32_e32 v7, 16, v32
	v_cmp_ne_u16_sdwa s5, v7, v8 src0_sel:BYTE_0 src1_sel:DWORD
	s_and_saveexec_b32 s21, s5
	s_cbranch_execz .LBB327_803
; %bb.796:                              ;   in Loop: Header=BB327_11 Depth=1
	v_cmp_ne_u16_sdwa s5, v7, v101 src0_sel:BYTE_0 src1_sel:DWORD
	v_mov_b32_e32 v0, 0x8000
	buffer_store_dword v0, off, s[0:3], s32 offset:448 ; 4-byte Folded Spill
	s_and_saveexec_b32 s22, s5
	s_cbranch_execz .LBB327_802
; %bb.797:                              ;   in Loop: Header=BB327_11 Depth=1
	v_bfe_u32 v2, v32, 16, 7
	v_mov_b32_e32 v0, 0x7c01
	s_mov_b32 s23, exec_lo
	buffer_store_dword v0, off, s[0:3], s32 offset:448 ; 4-byte Folded Spill
	v_cmpx_ne_u32_e32 0x7f, v2
	s_cbranch_execz .LBB327_801
; %bb.798:                              ;   in Loop: Header=BB327_11 Depth=1
	v_and_b32_e32 v0, 7, v7
	v_lshrrev_b32_e32 v1, 3, v2
	s_mov_b32 s24, exec_lo
	v_cmpx_gt_u32_e32 8, v2
; %bb.799:                              ;   in Loop: Header=BB327_11 Depth=1
	v_ffbh_u32_e32 v0, v0
	v_min_u32_e32 v2, 32, v0
	v_subrev_nc_u32_e32 v0, 28, v2
	v_lshlrev_b64 v[0:1], v0, v[7:8]
	v_sub_nc_u32_e32 v1, 29, v2
	v_and_b32_e32 v0, 7, v0
; %bb.800:                              ;   in Loop: Header=BB327_11 Depth=1
	s_or_b32 exec_lo, exec_lo, s24
	v_lshlrev_b32_e32 v2, 8, v7
	v_lshl_add_u32 v1, v1, 10, 0x2000
	v_lshlrev_b32_e32 v0, 7, v0
	v_and_b32_e32 v2, 0x8000, v2
	v_and_b32_e32 v1, 0xfc00, v1
	v_or3_b32 v0, v2, v1, v0
	buffer_store_dword v0, off, s[0:3], s32 offset:448 ; 4-byte Folded Spill
.LBB327_801:                            ;   in Loop: Header=BB327_11 Depth=1
	s_or_b32 exec_lo, exec_lo, s23
.LBB327_802:                            ;   in Loop: Header=BB327_11 Depth=1
	s_or_b32 exec_lo, exec_lo, s22
.LBB327_803:                            ;   in Loop: Header=BB327_11 Depth=1
	s_or_b32 exec_lo, exec_lo, s21
	v_mov_b32_e32 v0, 0
	v_mov_b32_e32 v2, 0
	s_mov_b32 s21, exec_lo
	buffer_store_dword v0, off, s[0:3], s32 offset:452 ; 4-byte Folded Spill
	v_cmpx_lt_u32_e32 0xffffff, v32
	s_cbranch_execz .LBB327_811
; %bb.804:                              ;   in Loop: Header=BB327_11 Depth=1
	v_lshrrev_b32_e32 v7, 24, v32
	v_bfrev_b32_e32 v2, 1
	s_mov_b32 s22, exec_lo
	v_cmpx_ne_u32_e32 0x80, v7
	s_cbranch_execz .LBB327_810
; %bb.805:                              ;   in Loop: Header=BB327_11 Depth=1
	v_and_b32_e32 v5, 0x7f, v7
	v_mov_b32_e32 v2, 0x7c010000
	s_mov_b32 s23, exec_lo
	v_cmpx_ne_u32_e32 0x7f, v5
	s_cbranch_execz .LBB327_809
; %bb.806:                              ;   in Loop: Header=BB327_11 Depth=1
	v_and_b32_e32 v0, 7, v7
	v_lshrrev_b32_e32 v1, 3, v5
	s_mov_b32 s24, exec_lo
	v_cmpx_gt_u32_e32 8, v5
; %bb.807:                              ;   in Loop: Header=BB327_11 Depth=1
	v_ffbh_u32_e32 v0, v0
	v_min_u32_e32 v2, 32, v0
	v_subrev_nc_u32_e32 v0, 28, v2
	v_lshlrev_b64 v[0:1], v0, v[7:8]
	v_sub_nc_u32_e32 v1, 29, v2
	v_and_b32_e32 v0, 7, v0
; %bb.808:                              ;   in Loop: Header=BB327_11 Depth=1
	s_or_b32 exec_lo, exec_lo, s24
	v_lshlrev_b32_e32 v2, 8, v7
	v_lshl_add_u32 v1, v1, 10, 0x2000
	v_lshlrev_b32_e32 v0, 23, v0
	v_and_or_b32 v1, 0x8000, v2, v1
	v_lshl_or_b32 v2, v1, 16, v0
.LBB327_809:                            ;   in Loop: Header=BB327_11 Depth=1
	s_or_b32 exec_lo, exec_lo, s23
.LBB327_810:                            ;   in Loop: Header=BB327_11 Depth=1
	s_or_b32 exec_lo, exec_lo, s22
.LBB327_811:                            ;   in Loop: Header=BB327_11 Depth=1
	s_or_b32 exec_lo, exec_lo, s21
	v_mov_b32_e32 v7, v33
	v_cmp_ne_u16_sdwa s5, v33, v8 src0_sel:BYTE_0 src1_sel:DWORD
	s_and_saveexec_b32 s21, s5
	s_cbranch_execz .LBB327_819
; %bb.812:                              ;   in Loop: Header=BB327_11 Depth=1
	v_cmp_ne_u16_sdwa s5, v33, v101 src0_sel:BYTE_0 src1_sel:DWORD
	v_mov_b32_e32 v0, 0x8000
	buffer_store_dword v0, off, s[0:3], s32 offset:452 ; 4-byte Folded Spill
	s_and_saveexec_b32 s22, s5
	s_cbranch_execz .LBB327_818
; %bb.813:                              ;   in Loop: Header=BB327_11 Depth=1
	v_and_b32_e32 v5, 0x7f, v33
	v_mov_b32_e32 v0, 0x7c01
	s_mov_b32 s23, exec_lo
	buffer_store_dword v0, off, s[0:3], s32 offset:452 ; 4-byte Folded Spill
	v_cmpx_ne_u32_e32 0x7f, v5
	s_cbranch_execz .LBB327_817
; %bb.814:                              ;   in Loop: Header=BB327_11 Depth=1
	v_and_b32_e32 v0, 7, v33
	v_lshrrev_b32_e32 v1, 3, v5
	s_mov_b32 s24, exec_lo
	v_cmpx_gt_u32_e32 8, v5
; %bb.815:                              ;   in Loop: Header=BB327_11 Depth=1
	v_ffbh_u32_e32 v0, v0
	v_min_u32_e32 v5, 32, v0
	v_subrev_nc_u32_e32 v0, 28, v5
	v_lshlrev_b64 v[0:1], v0, v[7:8]
	v_sub_nc_u32_e32 v1, 29, v5
	v_and_b32_e32 v0, 7, v0
; %bb.816:                              ;   in Loop: Header=BB327_11 Depth=1
	s_or_b32 exec_lo, exec_lo, s24
	v_lshlrev_b32_e32 v5, 8, v33
	v_lshl_add_u32 v1, v1, 10, 0x2000
	v_lshlrev_b32_e32 v0, 7, v0
	v_and_b32_e32 v5, 0x8000, v5
	v_and_b32_e32 v1, 0xfc00, v1
	v_or3_b32 v0, v5, v1, v0
	buffer_store_dword v0, off, s[0:3], s32 offset:452 ; 4-byte Folded Spill
.LBB327_817:                            ;   in Loop: Header=BB327_11 Depth=1
	s_or_b32 exec_lo, exec_lo, s23
.LBB327_818:                            ;   in Loop: Header=BB327_11 Depth=1
	s_or_b32 exec_lo, exec_lo, s22
.LBB327_819:                            ;   in Loop: Header=BB327_11 Depth=1
	s_or_b32 exec_lo, exec_lo, s21
	v_lshrrev_b16 v7, 8, v7
	v_mov_b32_e32 v0, 0
	v_mov_b32_e32 v1, 0
	s_mov_b32 s21, exec_lo
	buffer_store_dword v0, off, s[0:3], s32 offset:456 ; 4-byte Folded Spill
	v_cmpx_ne_u16_e32 0, v7
	s_cbranch_execz .LBB327_827
; %bb.820:                              ;   in Loop: Header=BB327_11 Depth=1
	v_bfrev_b32_e32 v1, 1
	s_mov_b32 s22, exec_lo
	v_cmpx_ne_u16_e32 0x80, v7
	s_cbranch_execz .LBB327_826
; %bb.821:                              ;   in Loop: Header=BB327_11 Depth=1
	v_mov_b32_e32 v0, 0x7f
	v_mov_b32_e32 v1, 0x7c010000
	s_mov_b32 s23, exec_lo
	v_and_b32_sdwa v5, v7, v0 dst_sel:DWORD dst_unused:UNUSED_PAD src0_sel:WORD_0 src1_sel:DWORD
	v_cmpx_ne_u32_e32 0x7f, v5
	s_cbranch_execz .LBB327_825
; %bb.822:                              ;   in Loop: Header=BB327_11 Depth=1
	v_mov_b32_e32 v0, 7
	v_lshrrev_b32_e32 v1, 3, v5
	s_mov_b32 s24, exec_lo
	v_and_b32_sdwa v0, v7, v0 dst_sel:DWORD dst_unused:UNUSED_PAD src0_sel:WORD_0 src1_sel:DWORD
	v_cmpx_gt_u32_e32 8, v5
; %bb.823:                              ;   in Loop: Header=BB327_11 Depth=1
	v_ffbh_u32_e32 v0, v0
	v_min_u32_e32 v5, 32, v0
	v_subrev_nc_u32_e32 v0, 28, v5
	v_lshlrev_b64 v[0:1], v0, v[7:8]
	v_sub_nc_u32_e32 v1, 29, v5
	v_and_b32_e32 v0, 7, v0
; %bb.824:                              ;   in Loop: Header=BB327_11 Depth=1
	s_or_b32 exec_lo, exec_lo, s24
	v_mov_b32_e32 v5, 8
	v_lshl_add_u32 v1, v1, 10, 0x2000
	v_lshlrev_b32_e32 v0, 23, v0
	v_lshlrev_b32_sdwa v5, v5, v7 dst_sel:DWORD dst_unused:UNUSED_PAD src0_sel:DWORD src1_sel:WORD_0
	v_and_or_b32 v1, 0x8000, v5, v1
	v_lshl_or_b32 v1, v1, 16, v0
.LBB327_825:                            ;   in Loop: Header=BB327_11 Depth=1
	s_or_b32 exec_lo, exec_lo, s23
.LBB327_826:                            ;   in Loop: Header=BB327_11 Depth=1
	s_or_b32 exec_lo, exec_lo, s22
.LBB327_827:                            ;   in Loop: Header=BB327_11 Depth=1
	s_or_b32 exec_lo, exec_lo, s21
	v_lshrrev_b32_e32 v7, 16, v33
	v_cmp_ne_u16_sdwa s5, v7, v8 src0_sel:BYTE_0 src1_sel:DWORD
	s_and_saveexec_b32 s21, s5
	s_cbranch_execz .LBB327_835
; %bb.828:                              ;   in Loop: Header=BB327_11 Depth=1
	v_cmp_ne_u16_sdwa s5, v7, v101 src0_sel:BYTE_0 src1_sel:DWORD
	v_mov_b32_e32 v0, 0x8000
	buffer_store_dword v0, off, s[0:3], s32 offset:456 ; 4-byte Folded Spill
	s_and_saveexec_b32 s22, s5
	s_cbranch_execz .LBB327_834
; %bb.829:                              ;   in Loop: Header=BB327_11 Depth=1
	v_bfe_u32 v6, v33, 16, 7
	v_mov_b32_e32 v0, 0x7c01
	s_mov_b32 s23, exec_lo
	buffer_store_dword v0, off, s[0:3], s32 offset:456 ; 4-byte Folded Spill
	v_cmpx_ne_u32_e32 0x7f, v6
	s_cbranch_execz .LBB327_833
; %bb.830:                              ;   in Loop: Header=BB327_11 Depth=1
	v_and_b32_e32 v0, 7, v7
	v_lshrrev_b32_e32 v5, 3, v6
	s_mov_b32 s24, exec_lo
	v_cmpx_gt_u32_e32 8, v6
; %bb.831:                              ;   in Loop: Header=BB327_11 Depth=1
	v_ffbh_u32_e32 v0, v0
	v_min_u32_e32 v0, 32, v0
	v_subrev_nc_u32_e32 v5, 28, v0
	v_lshlrev_b64 v[9:10], v5, v[7:8]
	v_sub_nc_u32_e32 v5, 29, v0
	v_and_b32_e32 v0, 7, v9
; %bb.832:                              ;   in Loop: Header=BB327_11 Depth=1
	s_or_b32 exec_lo, exec_lo, s24
	v_lshlrev_b32_e32 v6, 8, v7
	v_lshl_add_u32 v5, v5, 10, 0x2000
	v_lshlrev_b32_e32 v0, 7, v0
	v_and_b32_e32 v6, 0x8000, v6
	v_and_b32_e32 v5, 0xfc00, v5
	v_or3_b32 v0, v6, v5, v0
	buffer_store_dword v0, off, s[0:3], s32 offset:456 ; 4-byte Folded Spill
.LBB327_833:                            ;   in Loop: Header=BB327_11 Depth=1
	s_or_b32 exec_lo, exec_lo, s23
.LBB327_834:                            ;   in Loop: Header=BB327_11 Depth=1
	s_or_b32 exec_lo, exec_lo, s22
.LBB327_835:                            ;   in Loop: Header=BB327_11 Depth=1
	s_or_b32 exec_lo, exec_lo, s21
	v_mov_b32_e32 v0, 0
	v_mov_b32_e32 v26, 0
	s_mov_b32 s21, exec_lo
	buffer_store_dword v0, off, s[0:3], s32 offset:460 ; 4-byte Folded Spill
	v_cmpx_lt_u64_e64 s[6:7], v[32:33]
	s_cbranch_execz .LBB327_843
; %bb.836:                              ;   in Loop: Header=BB327_11 Depth=1
	v_lshrrev_b32_e32 v7, 24, v33
	v_bfrev_b32_e32 v26, 1
	s_mov_b32 s22, exec_lo
	v_cmpx_ne_u32_e32 0x80, v7
	s_cbranch_execz .LBB327_842
; %bb.837:                              ;   in Loop: Header=BB327_11 Depth=1
	v_and_b32_e32 v6, 0x7f, v7
	v_mov_b32_e32 v26, 0x7c010000
	s_mov_b32 s23, exec_lo
	v_cmpx_ne_u32_e32 0x7f, v6
	s_cbranch_execz .LBB327_841
; %bb.838:                              ;   in Loop: Header=BB327_11 Depth=1
	v_and_b32_e32 v0, 7, v7
	v_lshrrev_b32_e32 v5, 3, v6
	s_mov_b32 s24, exec_lo
	v_cmpx_gt_u32_e32 8, v6
; %bb.839:                              ;   in Loop: Header=BB327_11 Depth=1
	v_ffbh_u32_e32 v0, v0
	v_min_u32_e32 v0, 32, v0
	v_subrev_nc_u32_e32 v5, 28, v0
	v_lshlrev_b64 v[9:10], v5, v[7:8]
	v_sub_nc_u32_e32 v5, 29, v0
	v_and_b32_e32 v0, 7, v9
; %bb.840:                              ;   in Loop: Header=BB327_11 Depth=1
	s_or_b32 exec_lo, exec_lo, s24
	v_lshlrev_b32_e32 v6, 8, v7
	v_lshl_add_u32 v5, v5, 10, 0x2000
	v_lshlrev_b32_e32 v0, 23, v0
	v_and_or_b32 v5, 0x8000, v6, v5
	v_lshl_or_b32 v26, v5, 16, v0
.LBB327_841:                            ;   in Loop: Header=BB327_11 Depth=1
	s_or_b32 exec_lo, exec_lo, s23
.LBB327_842:                            ;   in Loop: Header=BB327_11 Depth=1
	s_or_b32 exec_lo, exec_lo, s22
.LBB327_843:                            ;   in Loop: Header=BB327_11 Depth=1
	s_or_b32 exec_lo, exec_lo, s21
	flat_load_dwordx2 v[32:33], v[30:31] offset:1032
	s_waitcnt vmcnt(0) lgkmcnt(0)
	v_cmp_ne_u16_sdwa s5, v32, v8 src0_sel:BYTE_0 src1_sel:DWORD
	s_and_saveexec_b32 s21, s5
	s_cbranch_execz .LBB327_851
; %bb.844:                              ;   in Loop: Header=BB327_11 Depth=1
	v_cmp_ne_u16_sdwa s5, v32, v101 src0_sel:BYTE_0 src1_sel:DWORD
	v_mov_b32_e32 v0, 0x8000
	buffer_store_dword v0, off, s[0:3], s32 offset:460 ; 4-byte Folded Spill
	s_and_saveexec_b32 s22, s5
	s_cbranch_execz .LBB327_850
; %bb.845:                              ;   in Loop: Header=BB327_11 Depth=1
	v_and_b32_e32 v6, 0x7f, v32
	v_mov_b32_e32 v0, 0x7c01
	s_mov_b32 s23, exec_lo
	buffer_store_dword v0, off, s[0:3], s32 offset:460 ; 4-byte Folded Spill
	v_cmpx_ne_u32_e32 0x7f, v6
	s_cbranch_execz .LBB327_849
; %bb.846:                              ;   in Loop: Header=BB327_11 Depth=1
	v_and_b32_e32 v0, 7, v32
	v_lshrrev_b32_e32 v5, 3, v6
	s_mov_b32 s24, exec_lo
	v_cmpx_gt_u32_e32 8, v6
; %bb.847:                              ;   in Loop: Header=BB327_11 Depth=1
	v_ffbh_u32_e32 v0, v0
	v_min_u32_e32 v0, 32, v0
	v_subrev_nc_u32_e32 v5, 28, v0
	v_lshlrev_b64 v[6:7], v5, v[32:33]
	v_sub_nc_u32_e32 v5, 29, v0
	v_and_b32_e32 v0, 7, v6
; %bb.848:                              ;   in Loop: Header=BB327_11 Depth=1
	s_or_b32 exec_lo, exec_lo, s24
	v_lshlrev_b32_e32 v6, 8, v32
	v_lshl_add_u32 v5, v5, 10, 0x2000
	v_lshlrev_b32_e32 v0, 7, v0
	v_and_b32_e32 v6, 0x8000, v6
	v_and_b32_e32 v5, 0xfc00, v5
	v_or3_b32 v0, v6, v5, v0
	buffer_store_dword v0, off, s[0:3], s32 offset:460 ; 4-byte Folded Spill
.LBB327_849:                            ;   in Loop: Header=BB327_11 Depth=1
	s_or_b32 exec_lo, exec_lo, s23
.LBB327_850:                            ;   in Loop: Header=BB327_11 Depth=1
	s_or_b32 exec_lo, exec_lo, s22
.LBB327_851:                            ;   in Loop: Header=BB327_11 Depth=1
	s_or_b32 exec_lo, exec_lo, s21
	v_lshrrev_b16 v7, 8, v32
	v_mov_b32_e32 v11, 0
	v_mov_b32_e32 v69, 0
	s_mov_b32 s21, exec_lo
	v_cmpx_ne_u16_e32 0, v7
	s_cbranch_execz .LBB327_859
; %bb.852:                              ;   in Loop: Header=BB327_11 Depth=1
	v_bfrev_b32_e32 v69, 1
	s_mov_b32 s22, exec_lo
	v_cmpx_ne_u16_e32 0x80, v7
	s_cbranch_execz .LBB327_858
; %bb.853:                              ;   in Loop: Header=BB327_11 Depth=1
	v_mov_b32_e32 v0, 0x7f
	v_mov_b32_e32 v69, 0x7c010000
	s_mov_b32 s23, exec_lo
	v_and_b32_sdwa v6, v7, v0 dst_sel:DWORD dst_unused:UNUSED_PAD src0_sel:WORD_0 src1_sel:DWORD
	v_cmpx_ne_u32_e32 0x7f, v6
	s_cbranch_execz .LBB327_857
; %bb.854:                              ;   in Loop: Header=BB327_11 Depth=1
	v_mov_b32_e32 v0, 7
	v_lshrrev_b32_e32 v5, 3, v6
	s_mov_b32 s24, exec_lo
	v_and_b32_sdwa v0, v7, v0 dst_sel:DWORD dst_unused:UNUSED_PAD src0_sel:WORD_0 src1_sel:DWORD
	v_cmpx_gt_u32_e32 8, v6
; %bb.855:                              ;   in Loop: Header=BB327_11 Depth=1
	v_ffbh_u32_e32 v0, v0
	v_min_u32_e32 v0, 32, v0
	v_subrev_nc_u32_e32 v5, 28, v0
	v_lshlrev_b64 v[9:10], v5, v[7:8]
	v_sub_nc_u32_e32 v5, 29, v0
	v_and_b32_e32 v0, 7, v9
; %bb.856:                              ;   in Loop: Header=BB327_11 Depth=1
	s_or_b32 exec_lo, exec_lo, s24
	v_mov_b32_e32 v6, 8
	v_lshl_add_u32 v5, v5, 10, 0x2000
	v_lshlrev_b32_e32 v0, 23, v0
	v_lshlrev_b32_sdwa v6, v6, v7 dst_sel:DWORD dst_unused:UNUSED_PAD src0_sel:DWORD src1_sel:WORD_0
	v_and_or_b32 v5, 0x8000, v6, v5
	v_lshl_or_b32 v69, v5, 16, v0
.LBB327_857:                            ;   in Loop: Header=BB327_11 Depth=1
	s_or_b32 exec_lo, exec_lo, s23
.LBB327_858:                            ;   in Loop: Header=BB327_11 Depth=1
	s_or_b32 exec_lo, exec_lo, s22
.LBB327_859:                            ;   in Loop: Header=BB327_11 Depth=1
	s_or_b32 exec_lo, exec_lo, s21
	v_lshrrev_b32_e32 v7, 16, v32
	v_cmp_ne_u16_sdwa s5, v7, v8 src0_sel:BYTE_0 src1_sel:DWORD
	s_and_saveexec_b32 s21, s5
	s_cbranch_execz .LBB327_867
; %bb.860:                              ;   in Loop: Header=BB327_11 Depth=1
	v_cmp_ne_u16_sdwa s5, v7, v101 src0_sel:BYTE_0 src1_sel:DWORD
	v_mov_b32_e32 v11, 0x8000
	s_and_saveexec_b32 s22, s5
	s_cbranch_execz .LBB327_866
; %bb.861:                              ;   in Loop: Header=BB327_11 Depth=1
	v_bfe_u32 v6, v32, 16, 7
	v_mov_b32_e32 v11, 0x7c01
	s_mov_b32 s23, exec_lo
	v_cmpx_ne_u32_e32 0x7f, v6
	s_cbranch_execz .LBB327_865
; %bb.862:                              ;   in Loop: Header=BB327_11 Depth=1
	v_and_b32_e32 v0, 7, v7
	v_lshrrev_b32_e32 v5, 3, v6
	s_mov_b32 s24, exec_lo
	v_cmpx_gt_u32_e32 8, v6
; %bb.863:                              ;   in Loop: Header=BB327_11 Depth=1
	v_ffbh_u32_e32 v0, v0
	v_min_u32_e32 v0, 32, v0
	v_subrev_nc_u32_e32 v5, 28, v0
	v_lshlrev_b64 v[9:10], v5, v[7:8]
	v_sub_nc_u32_e32 v5, 29, v0
	v_and_b32_e32 v0, 7, v9
; %bb.864:                              ;   in Loop: Header=BB327_11 Depth=1
	s_or_b32 exec_lo, exec_lo, s24
	v_lshlrev_b32_e32 v6, 8, v7
	v_lshl_add_u32 v5, v5, 10, 0x2000
	v_lshlrev_b32_e32 v0, 7, v0
	v_and_b32_e32 v6, 0x8000, v6
	v_and_b32_e32 v5, 0xfc00, v5
	v_or3_b32 v11, v6, v5, v0
.LBB327_865:                            ;   in Loop: Header=BB327_11 Depth=1
	s_or_b32 exec_lo, exec_lo, s23
.LBB327_866:                            ;   in Loop: Header=BB327_11 Depth=1
	s_or_b32 exec_lo, exec_lo, s22
.LBB327_867:                            ;   in Loop: Header=BB327_11 Depth=1
	s_or_b32 exec_lo, exec_lo, s21
	v_mov_b32_e32 v87, 0
	v_mov_b32_e32 v76, 0
	s_mov_b32 s21, exec_lo
	v_cmpx_lt_u32_e32 0xffffff, v32
	s_cbranch_execz .LBB327_875
; %bb.868:                              ;   in Loop: Header=BB327_11 Depth=1
	v_lshrrev_b32_e32 v7, 24, v32
	v_bfrev_b32_e32 v76, 1
	s_mov_b32 s22, exec_lo
	v_cmpx_ne_u32_e32 0x80, v7
	s_cbranch_execz .LBB327_874
; %bb.869:                              ;   in Loop: Header=BB327_11 Depth=1
	v_and_b32_e32 v6, 0x7f, v7
	v_mov_b32_e32 v76, 0x7c010000
	s_mov_b32 s23, exec_lo
	v_cmpx_ne_u32_e32 0x7f, v6
	s_cbranch_execz .LBB327_873
; %bb.870:                              ;   in Loop: Header=BB327_11 Depth=1
	v_and_b32_e32 v0, 7, v7
	v_lshrrev_b32_e32 v5, 3, v6
	s_mov_b32 s24, exec_lo
	v_cmpx_gt_u32_e32 8, v6
; %bb.871:                              ;   in Loop: Header=BB327_11 Depth=1
	v_ffbh_u32_e32 v0, v0
	v_min_u32_e32 v0, 32, v0
	v_subrev_nc_u32_e32 v5, 28, v0
	v_lshlrev_b64 v[9:10], v5, v[7:8]
	v_sub_nc_u32_e32 v5, 29, v0
	v_and_b32_e32 v0, 7, v9
; %bb.872:                              ;   in Loop: Header=BB327_11 Depth=1
	s_or_b32 exec_lo, exec_lo, s24
	v_lshlrev_b32_e32 v6, 8, v7
	v_lshl_add_u32 v5, v5, 10, 0x2000
	v_lshlrev_b32_e32 v0, 23, v0
	v_and_or_b32 v5, 0x8000, v6, v5
	v_lshl_or_b32 v76, v5, 16, v0
.LBB327_873:                            ;   in Loop: Header=BB327_11 Depth=1
	s_or_b32 exec_lo, exec_lo, s23
.LBB327_874:                            ;   in Loop: Header=BB327_11 Depth=1
	s_or_b32 exec_lo, exec_lo, s22
.LBB327_875:                            ;   in Loop: Header=BB327_11 Depth=1
	s_or_b32 exec_lo, exec_lo, s21
	v_mov_b32_e32 v7, v33
	v_cmp_ne_u16_sdwa s5, v33, v8 src0_sel:BYTE_0 src1_sel:DWORD
	s_and_saveexec_b32 s21, s5
	s_cbranch_execz .LBB327_883
; %bb.876:                              ;   in Loop: Header=BB327_11 Depth=1
	v_cmp_ne_u16_sdwa s5, v33, v101 src0_sel:BYTE_0 src1_sel:DWORD
	v_mov_b32_e32 v87, 0x8000
	s_and_saveexec_b32 s22, s5
	s_cbranch_execz .LBB327_882
; %bb.877:                              ;   in Loop: Header=BB327_11 Depth=1
	v_and_b32_e32 v6, 0x7f, v33
	v_mov_b32_e32 v87, 0x7c01
	s_mov_b32 s23, exec_lo
	v_cmpx_ne_u32_e32 0x7f, v6
	s_cbranch_execz .LBB327_881
; %bb.878:                              ;   in Loop: Header=BB327_11 Depth=1
	v_and_b32_e32 v0, 7, v33
	v_lshrrev_b32_e32 v5, 3, v6
	s_mov_b32 s24, exec_lo
	v_cmpx_gt_u32_e32 8, v6
; %bb.879:                              ;   in Loop: Header=BB327_11 Depth=1
	v_ffbh_u32_e32 v0, v0
	v_min_u32_e32 v0, 32, v0
	v_subrev_nc_u32_e32 v5, 28, v0
	v_lshlrev_b64 v[9:10], v5, v[7:8]
	v_sub_nc_u32_e32 v5, 29, v0
	v_and_b32_e32 v0, 7, v9
; %bb.880:                              ;   in Loop: Header=BB327_11 Depth=1
	s_or_b32 exec_lo, exec_lo, s24
	v_lshlrev_b32_e32 v6, 8, v33
	v_lshl_add_u32 v5, v5, 10, 0x2000
	v_lshlrev_b32_e32 v0, 7, v0
	v_and_b32_e32 v6, 0x8000, v6
	v_and_b32_e32 v5, 0xfc00, v5
	v_or3_b32 v87, v6, v5, v0
.LBB327_881:                            ;   in Loop: Header=BB327_11 Depth=1
	s_or_b32 exec_lo, exec_lo, s23
.LBB327_882:                            ;   in Loop: Header=BB327_11 Depth=1
	s_or_b32 exec_lo, exec_lo, s22
.LBB327_883:                            ;   in Loop: Header=BB327_11 Depth=1
	s_or_b32 exec_lo, exec_lo, s21
	v_lshrrev_b16 v7, 8, v7
	v_mov_b32_e32 v20, 0
	v_mov_b32_e32 v116, 0
	s_mov_b32 s21, exec_lo
	v_cmpx_ne_u16_e32 0, v7
	s_cbranch_execz .LBB327_891
; %bb.884:                              ;   in Loop: Header=BB327_11 Depth=1
	v_bfrev_b32_e32 v116, 1
	s_mov_b32 s22, exec_lo
	v_cmpx_ne_u16_e32 0x80, v7
	s_cbranch_execz .LBB327_890
; %bb.885:                              ;   in Loop: Header=BB327_11 Depth=1
	v_mov_b32_e32 v0, 0x7f
	v_mov_b32_e32 v116, 0x7c010000
	s_mov_b32 s23, exec_lo
	v_and_b32_sdwa v6, v7, v0 dst_sel:DWORD dst_unused:UNUSED_PAD src0_sel:WORD_0 src1_sel:DWORD
	v_cmpx_ne_u32_e32 0x7f, v6
	s_cbranch_execz .LBB327_889
; %bb.886:                              ;   in Loop: Header=BB327_11 Depth=1
	v_mov_b32_e32 v0, 7
	v_lshrrev_b32_e32 v5, 3, v6
	s_mov_b32 s24, exec_lo
	v_and_b32_sdwa v0, v7, v0 dst_sel:DWORD dst_unused:UNUSED_PAD src0_sel:WORD_0 src1_sel:DWORD
	v_cmpx_gt_u32_e32 8, v6
; %bb.887:                              ;   in Loop: Header=BB327_11 Depth=1
	v_ffbh_u32_e32 v0, v0
	v_min_u32_e32 v0, 32, v0
	v_subrev_nc_u32_e32 v5, 28, v0
	v_lshlrev_b64 v[9:10], v5, v[7:8]
	v_sub_nc_u32_e32 v5, 29, v0
	v_and_b32_e32 v0, 7, v9
; %bb.888:                              ;   in Loop: Header=BB327_11 Depth=1
	s_or_b32 exec_lo, exec_lo, s24
	v_mov_b32_e32 v6, 8
	v_lshl_add_u32 v5, v5, 10, 0x2000
	v_lshlrev_b32_e32 v0, 23, v0
	v_lshlrev_b32_sdwa v6, v6, v7 dst_sel:DWORD dst_unused:UNUSED_PAD src0_sel:DWORD src1_sel:WORD_0
	v_and_or_b32 v5, 0x8000, v6, v5
	v_lshl_or_b32 v116, v5, 16, v0
.LBB327_889:                            ;   in Loop: Header=BB327_11 Depth=1
	s_or_b32 exec_lo, exec_lo, s23
.LBB327_890:                            ;   in Loop: Header=BB327_11 Depth=1
	s_or_b32 exec_lo, exec_lo, s22
.LBB327_891:                            ;   in Loop: Header=BB327_11 Depth=1
	s_or_b32 exec_lo, exec_lo, s21
	v_lshrrev_b32_e32 v7, 16, v33
	v_cmp_ne_u16_sdwa s5, v7, v8 src0_sel:BYTE_0 src1_sel:DWORD
	s_and_saveexec_b32 s21, s5
	s_cbranch_execz .LBB327_899
; %bb.892:                              ;   in Loop: Header=BB327_11 Depth=1
	v_cmp_ne_u16_sdwa s5, v7, v101 src0_sel:BYTE_0 src1_sel:DWORD
	v_mov_b32_e32 v20, 0x8000
	s_and_saveexec_b32 s22, s5
	s_cbranch_execz .LBB327_898
; %bb.893:                              ;   in Loop: Header=BB327_11 Depth=1
	v_bfe_u32 v6, v33, 16, 7
	v_mov_b32_e32 v20, 0x7c01
	s_mov_b32 s23, exec_lo
	v_cmpx_ne_u32_e32 0x7f, v6
	s_cbranch_execz .LBB327_897
; %bb.894:                              ;   in Loop: Header=BB327_11 Depth=1
	v_and_b32_e32 v0, 7, v7
	v_lshrrev_b32_e32 v5, 3, v6
	s_mov_b32 s24, exec_lo
	v_cmpx_gt_u32_e32 8, v6
; %bb.895:                              ;   in Loop: Header=BB327_11 Depth=1
	v_ffbh_u32_e32 v0, v0
	v_min_u32_e32 v0, 32, v0
	v_subrev_nc_u32_e32 v5, 28, v0
	v_lshlrev_b64 v[9:10], v5, v[7:8]
	v_sub_nc_u32_e32 v5, 29, v0
	v_and_b32_e32 v0, 7, v9
; %bb.896:                              ;   in Loop: Header=BB327_11 Depth=1
	s_or_b32 exec_lo, exec_lo, s24
	v_lshlrev_b32_e32 v6, 8, v7
	v_lshl_add_u32 v5, v5, 10, 0x2000
	v_lshlrev_b32_e32 v0, 7, v0
	v_and_b32_e32 v6, 0x8000, v6
	v_and_b32_e32 v5, 0xfc00, v5
	v_or3_b32 v20, v6, v5, v0
.LBB327_897:                            ;   in Loop: Header=BB327_11 Depth=1
	s_or_b32 exec_lo, exec_lo, s23
.LBB327_898:                            ;   in Loop: Header=BB327_11 Depth=1
	s_or_b32 exec_lo, exec_lo, s22
.LBB327_899:                            ;   in Loop: Header=BB327_11 Depth=1
	s_or_b32 exec_lo, exec_lo, s21
	v_mov_b32_e32 v5, 0
	v_mov_b32_e32 v127, 0
	s_mov_b32 s21, exec_lo
	v_cmpx_lt_u64_e64 s[6:7], v[32:33]
	s_cbranch_execz .LBB327_907
; %bb.900:                              ;   in Loop: Header=BB327_11 Depth=1
	v_lshrrev_b32_e32 v7, 24, v33
	v_bfrev_b32_e32 v127, 1
	s_mov_b32 s22, exec_lo
	v_cmpx_ne_u32_e32 0x80, v7
	s_cbranch_execz .LBB327_906
; %bb.901:                              ;   in Loop: Header=BB327_11 Depth=1
	v_and_b32_e32 v9, 0x7f, v7
	v_mov_b32_e32 v127, 0x7c010000
	s_mov_b32 s23, exec_lo
	v_cmpx_ne_u32_e32 0x7f, v9
	s_cbranch_execz .LBB327_905
; %bb.902:                              ;   in Loop: Header=BB327_11 Depth=1
	v_and_b32_e32 v0, 7, v7
	v_lshrrev_b32_e32 v6, 3, v9
	s_mov_b32 s24, exec_lo
	v_cmpx_gt_u32_e32 8, v9
; %bb.903:                              ;   in Loop: Header=BB327_11 Depth=1
	v_ffbh_u32_e32 v0, v0
	v_min_u32_e32 v0, 32, v0
	v_subrev_nc_u32_e32 v6, 28, v0
	v_lshlrev_b64 v[9:10], v6, v[7:8]
	v_sub_nc_u32_e32 v6, 29, v0
	v_and_b32_e32 v0, 7, v9
; %bb.904:                              ;   in Loop: Header=BB327_11 Depth=1
	s_or_b32 exec_lo, exec_lo, s24
	v_lshlrev_b32_e32 v7, 8, v7
	v_lshl_add_u32 v6, v6, 10, 0x2000
	v_lshlrev_b32_e32 v0, 23, v0
	v_and_or_b32 v6, 0x8000, v7, v6
	v_lshl_or_b32 v127, v6, 16, v0
.LBB327_905:                            ;   in Loop: Header=BB327_11 Depth=1
	s_or_b32 exec_lo, exec_lo, s23
.LBB327_906:                            ;   in Loop: Header=BB327_11 Depth=1
	s_or_b32 exec_lo, exec_lo, s22
.LBB327_907:                            ;   in Loop: Header=BB327_11 Depth=1
	s_or_b32 exec_lo, exec_lo, s21
	flat_load_dwordx2 v[32:33], v[30:31] offset:1536
	s_waitcnt vmcnt(0) lgkmcnt(0)
	v_cmp_ne_u16_sdwa s5, v32, v8 src0_sel:BYTE_0 src1_sel:DWORD
	s_and_saveexec_b32 s21, s5
	s_cbranch_execz .LBB327_915
; %bb.908:                              ;   in Loop: Header=BB327_11 Depth=1
	v_cmp_ne_u16_sdwa s5, v32, v101 src0_sel:BYTE_0 src1_sel:DWORD
	v_mov_b32_e32 v5, 0x8000
	s_and_saveexec_b32 s22, s5
	s_cbranch_execz .LBB327_914
; %bb.909:                              ;   in Loop: Header=BB327_11 Depth=1
	v_and_b32_e32 v6, 0x7f, v32
	v_mov_b32_e32 v5, 0x7c01
	s_mov_b32 s23, exec_lo
	v_cmpx_ne_u32_e32 0x7f, v6
	s_cbranch_execz .LBB327_913
; %bb.910:                              ;   in Loop: Header=BB327_11 Depth=1
	v_and_b32_e32 v0, 7, v32
	v_lshrrev_b32_e32 v5, 3, v6
	s_mov_b32 s24, exec_lo
	v_cmpx_gt_u32_e32 8, v6
; %bb.911:                              ;   in Loop: Header=BB327_11 Depth=1
	v_ffbh_u32_e32 v0, v0
	v_min_u32_e32 v0, 32, v0
	v_subrev_nc_u32_e32 v5, 28, v0
	v_lshlrev_b64 v[6:7], v5, v[32:33]
	v_sub_nc_u32_e32 v5, 29, v0
	v_and_b32_e32 v0, 7, v6
; %bb.912:                              ;   in Loop: Header=BB327_11 Depth=1
	s_or_b32 exec_lo, exec_lo, s24
	v_lshlrev_b32_e32 v6, 8, v32
	v_lshl_add_u32 v5, v5, 10, 0x2000
	v_lshlrev_b32_e32 v0, 7, v0
	v_and_b32_e32 v6, 0x8000, v6
	v_and_b32_e32 v5, 0xfc00, v5
	v_or3_b32 v5, v6, v5, v0
.LBB327_913:                            ;   in Loop: Header=BB327_11 Depth=1
	s_or_b32 exec_lo, exec_lo, s23
.LBB327_914:                            ;   in Loop: Header=BB327_11 Depth=1
	s_or_b32 exec_lo, exec_lo, s22
.LBB327_915:                            ;   in Loop: Header=BB327_11 Depth=1
	s_or_b32 exec_lo, exec_lo, s21
	v_lshrrev_b16 v7, 8, v32
	v_mov_b32_e32 v10, 0
	v_mov_b32_e32 v119, 0
	s_mov_b32 s21, exec_lo
	v_cmpx_ne_u16_e32 0, v7
	s_cbranch_execz .LBB327_923
; %bb.916:                              ;   in Loop: Header=BB327_11 Depth=1
	v_bfrev_b32_e32 v119, 1
	s_mov_b32 s22, exec_lo
	v_cmpx_ne_u16_e32 0x80, v7
	s_cbranch_execz .LBB327_922
; %bb.917:                              ;   in Loop: Header=BB327_11 Depth=1
	v_mov_b32_e32 v0, 0x7f
	v_mov_b32_e32 v119, 0x7c010000
	s_mov_b32 s23, exec_lo
	v_and_b32_sdwa v9, v7, v0 dst_sel:DWORD dst_unused:UNUSED_PAD src0_sel:WORD_0 src1_sel:DWORD
	v_cmpx_ne_u32_e32 0x7f, v9
	s_cbranch_execz .LBB327_921
; %bb.918:                              ;   in Loop: Header=BB327_11 Depth=1
	v_mov_b32_e32 v0, 7
	v_lshrrev_b32_e32 v6, 3, v9
	s_mov_b32 s24, exec_lo
	v_and_b32_sdwa v0, v7, v0 dst_sel:DWORD dst_unused:UNUSED_PAD src0_sel:WORD_0 src1_sel:DWORD
	v_cmpx_gt_u32_e32 8, v9
; %bb.919:                              ;   in Loop: Header=BB327_11 Depth=1
	v_ffbh_u32_e32 v0, v0
	v_min_u32_e32 v0, 32, v0
	v_subrev_nc_u32_e32 v6, 28, v0
	v_lshlrev_b64 v[14:15], v6, v[7:8]
	v_sub_nc_u32_e32 v6, 29, v0
	v_and_b32_e32 v0, 7, v14
; %bb.920:                              ;   in Loop: Header=BB327_11 Depth=1
	s_or_b32 exec_lo, exec_lo, s24
	v_mov_b32_e32 v9, 8
	v_lshl_add_u32 v6, v6, 10, 0x2000
	v_lshlrev_b32_e32 v0, 23, v0
	v_lshlrev_b32_sdwa v7, v9, v7 dst_sel:DWORD dst_unused:UNUSED_PAD src0_sel:DWORD src1_sel:WORD_0
	v_and_or_b32 v6, 0x8000, v7, v6
	v_lshl_or_b32 v119, v6, 16, v0
.LBB327_921:                            ;   in Loop: Header=BB327_11 Depth=1
	s_or_b32 exec_lo, exec_lo, s23
.LBB327_922:                            ;   in Loop: Header=BB327_11 Depth=1
	s_or_b32 exec_lo, exec_lo, s22
.LBB327_923:                            ;   in Loop: Header=BB327_11 Depth=1
	s_or_b32 exec_lo, exec_lo, s21
	v_lshrrev_b32_e32 v7, 16, v32
	v_cmp_ne_u16_sdwa s5, v7, v8 src0_sel:BYTE_0 src1_sel:DWORD
	s_and_saveexec_b32 s21, s5
	s_cbranch_execz .LBB327_931
; %bb.924:                              ;   in Loop: Header=BB327_11 Depth=1
	v_cmp_ne_u16_sdwa s5, v7, v101 src0_sel:BYTE_0 src1_sel:DWORD
	v_mov_b32_e32 v10, 0x8000
	s_and_saveexec_b32 s22, s5
	s_cbranch_execz .LBB327_930
; %bb.925:                              ;   in Loop: Header=BB327_11 Depth=1
	v_bfe_u32 v9, v32, 16, 7
	v_mov_b32_e32 v10, 0x7c01
	s_mov_b32 s23, exec_lo
	v_cmpx_ne_u32_e32 0x7f, v9
	s_cbranch_execz .LBB327_929
; %bb.926:                              ;   in Loop: Header=BB327_11 Depth=1
	v_and_b32_e32 v0, 7, v7
	v_lshrrev_b32_e32 v6, 3, v9
	s_mov_b32 s24, exec_lo
	v_cmpx_gt_u32_e32 8, v9
; %bb.927:                              ;   in Loop: Header=BB327_11 Depth=1
	v_ffbh_u32_e32 v0, v0
	v_min_u32_e32 v0, 32, v0
	v_subrev_nc_u32_e32 v6, 28, v0
	v_lshlrev_b64 v[9:10], v6, v[7:8]
	v_sub_nc_u32_e32 v6, 29, v0
	v_and_b32_e32 v0, 7, v9
; %bb.928:                              ;   in Loop: Header=BB327_11 Depth=1
	s_or_b32 exec_lo, exec_lo, s24
	v_lshlrev_b32_e32 v7, 8, v7
	v_lshl_add_u32 v6, v6, 10, 0x2000
	v_lshlrev_b32_e32 v0, 7, v0
	v_and_b32_e32 v7, 0x8000, v7
	v_and_b32_e32 v6, 0xfc00, v6
	v_or3_b32 v10, v7, v6, v0
.LBB327_929:                            ;   in Loop: Header=BB327_11 Depth=1
	s_or_b32 exec_lo, exec_lo, s23
.LBB327_930:                            ;   in Loop: Header=BB327_11 Depth=1
	s_or_b32 exec_lo, exec_lo, s22
.LBB327_931:                            ;   in Loop: Header=BB327_11 Depth=1
	s_or_b32 exec_lo, exec_lo, s21
	v_mov_b32_e32 v122, 0
	v_mov_b32_e32 v38, 0
	s_mov_b32 s21, exec_lo
	v_cmpx_lt_u32_e32 0xffffff, v32
	s_cbranch_execz .LBB327_939
; %bb.932:                              ;   in Loop: Header=BB327_11 Depth=1
	v_lshrrev_b32_e32 v7, 24, v32
	v_bfrev_b32_e32 v38, 1
	s_mov_b32 s22, exec_lo
	v_cmpx_ne_u32_e32 0x80, v7
	s_cbranch_execz .LBB327_938
; %bb.933:                              ;   in Loop: Header=BB327_11 Depth=1
	v_and_b32_e32 v9, 0x7f, v7
	v_mov_b32_e32 v38, 0x7c010000
	s_mov_b32 s23, exec_lo
	v_cmpx_ne_u32_e32 0x7f, v9
	s_cbranch_execz .LBB327_937
; %bb.934:                              ;   in Loop: Header=BB327_11 Depth=1
	v_and_b32_e32 v0, 7, v7
	v_lshrrev_b32_e32 v6, 3, v9
	s_mov_b32 s24, exec_lo
	v_cmpx_gt_u32_e32 8, v9
; %bb.935:                              ;   in Loop: Header=BB327_11 Depth=1
	v_ffbh_u32_e32 v0, v0
	v_min_u32_e32 v0, 32, v0
	v_subrev_nc_u32_e32 v6, 28, v0
	v_lshlrev_b64 v[14:15], v6, v[7:8]
	v_sub_nc_u32_e32 v6, 29, v0
	v_and_b32_e32 v0, 7, v14
; %bb.936:                              ;   in Loop: Header=BB327_11 Depth=1
	s_or_b32 exec_lo, exec_lo, s24
	v_lshlrev_b32_e32 v7, 8, v7
	v_lshl_add_u32 v6, v6, 10, 0x2000
	v_lshlrev_b32_e32 v0, 23, v0
	v_and_or_b32 v6, 0x8000, v7, v6
	v_lshl_or_b32 v38, v6, 16, v0
.LBB327_937:                            ;   in Loop: Header=BB327_11 Depth=1
	s_or_b32 exec_lo, exec_lo, s23
.LBB327_938:                            ;   in Loop: Header=BB327_11 Depth=1
	s_or_b32 exec_lo, exec_lo, s22
.LBB327_939:                            ;   in Loop: Header=BB327_11 Depth=1
	s_or_b32 exec_lo, exec_lo, s21
	v_mov_b32_e32 v7, v33
	v_cmp_ne_u16_sdwa s5, v33, v8 src0_sel:BYTE_0 src1_sel:DWORD
	s_and_saveexec_b32 s21, s5
	s_cbranch_execz .LBB327_947
; %bb.940:                              ;   in Loop: Header=BB327_11 Depth=1
	v_cmp_ne_u16_sdwa s5, v33, v101 src0_sel:BYTE_0 src1_sel:DWORD
	v_mov_b32_e32 v122, 0x8000
	s_and_saveexec_b32 s22, s5
	s_cbranch_execz .LBB327_946
; %bb.941:                              ;   in Loop: Header=BB327_11 Depth=1
	v_and_b32_e32 v9, 0x7f, v33
	v_mov_b32_e32 v122, 0x7c01
	s_mov_b32 s23, exec_lo
	v_cmpx_ne_u32_e32 0x7f, v9
	s_cbranch_execz .LBB327_945
; %bb.942:                              ;   in Loop: Header=BB327_11 Depth=1
	v_and_b32_e32 v0, 7, v33
	v_lshrrev_b32_e32 v6, 3, v9
	s_mov_b32 s24, exec_lo
	v_cmpx_gt_u32_e32 8, v9
; %bb.943:                              ;   in Loop: Header=BB327_11 Depth=1
	v_ffbh_u32_e32 v0, v0
	v_min_u32_e32 v0, 32, v0
	v_subrev_nc_u32_e32 v6, 28, v0
	v_lshlrev_b64 v[14:15], v6, v[7:8]
	v_sub_nc_u32_e32 v6, 29, v0
	v_and_b32_e32 v0, 7, v14
; %bb.944:                              ;   in Loop: Header=BB327_11 Depth=1
	s_or_b32 exec_lo, exec_lo, s24
	v_lshlrev_b32_e32 v9, 8, v33
	v_lshl_add_u32 v6, v6, 10, 0x2000
	v_lshlrev_b32_e32 v0, 7, v0
	v_and_b32_e32 v9, 0x8000, v9
	v_and_b32_e32 v6, 0xfc00, v6
	v_or3_b32 v122, v9, v6, v0
.LBB327_945:                            ;   in Loop: Header=BB327_11 Depth=1
	s_or_b32 exec_lo, exec_lo, s23
.LBB327_946:                            ;   in Loop: Header=BB327_11 Depth=1
	s_or_b32 exec_lo, exec_lo, s22
.LBB327_947:                            ;   in Loop: Header=BB327_11 Depth=1
	s_or_b32 exec_lo, exec_lo, s21
	v_lshrrev_b16 v7, 8, v7
	v_mov_b32_e32 v84, 0
	v_mov_b32_e32 v96, 0
	s_mov_b32 s21, exec_lo
	v_cmpx_ne_u16_e32 0, v7
	s_cbranch_execz .LBB327_955
; %bb.948:                              ;   in Loop: Header=BB327_11 Depth=1
	v_bfrev_b32_e32 v96, 1
	s_mov_b32 s22, exec_lo
	v_cmpx_ne_u16_e32 0x80, v7
	s_cbranch_execz .LBB327_954
; %bb.949:                              ;   in Loop: Header=BB327_11 Depth=1
	v_mov_b32_e32 v0, 0x7f
	v_mov_b32_e32 v96, 0x7c010000
	s_mov_b32 s23, exec_lo
	v_and_b32_sdwa v9, v7, v0 dst_sel:DWORD dst_unused:UNUSED_PAD src0_sel:WORD_0 src1_sel:DWORD
	v_cmpx_ne_u32_e32 0x7f, v9
	s_cbranch_execz .LBB327_953
; %bb.950:                              ;   in Loop: Header=BB327_11 Depth=1
	v_mov_b32_e32 v0, 7
	v_lshrrev_b32_e32 v6, 3, v9
	s_mov_b32 s24, exec_lo
	v_and_b32_sdwa v0, v7, v0 dst_sel:DWORD dst_unused:UNUSED_PAD src0_sel:WORD_0 src1_sel:DWORD
	v_cmpx_gt_u32_e32 8, v9
; %bb.951:                              ;   in Loop: Header=BB327_11 Depth=1
	v_ffbh_u32_e32 v0, v0
	v_min_u32_e32 v0, 32, v0
	v_subrev_nc_u32_e32 v6, 28, v0
	v_lshlrev_b64 v[14:15], v6, v[7:8]
	v_sub_nc_u32_e32 v6, 29, v0
	v_and_b32_e32 v0, 7, v14
; %bb.952:                              ;   in Loop: Header=BB327_11 Depth=1
	s_or_b32 exec_lo, exec_lo, s24
	v_mov_b32_e32 v9, 8
	v_lshl_add_u32 v6, v6, 10, 0x2000
	v_lshlrev_b32_e32 v0, 23, v0
	v_lshlrev_b32_sdwa v7, v9, v7 dst_sel:DWORD dst_unused:UNUSED_PAD src0_sel:DWORD src1_sel:WORD_0
	v_and_or_b32 v6, 0x8000, v7, v6
	v_lshl_or_b32 v96, v6, 16, v0
.LBB327_953:                            ;   in Loop: Header=BB327_11 Depth=1
	s_or_b32 exec_lo, exec_lo, s23
.LBB327_954:                            ;   in Loop: Header=BB327_11 Depth=1
	s_or_b32 exec_lo, exec_lo, s22
.LBB327_955:                            ;   in Loop: Header=BB327_11 Depth=1
	s_or_b32 exec_lo, exec_lo, s21
	v_lshrrev_b32_e32 v7, 16, v33
	v_cmp_ne_u16_sdwa s5, v7, v8 src0_sel:BYTE_0 src1_sel:DWORD
	s_and_saveexec_b32 s21, s5
	s_cbranch_execz .LBB327_963
; %bb.956:                              ;   in Loop: Header=BB327_11 Depth=1
	v_cmp_ne_u16_sdwa s5, v7, v101 src0_sel:BYTE_0 src1_sel:DWORD
	v_mov_b32_e32 v84, 0x8000
	s_and_saveexec_b32 s22, s5
	s_cbranch_execz .LBB327_962
; %bb.957:                              ;   in Loop: Header=BB327_11 Depth=1
	v_bfe_u32 v9, v33, 16, 7
	v_mov_b32_e32 v84, 0x7c01
	s_mov_b32 s23, exec_lo
	v_cmpx_ne_u32_e32 0x7f, v9
	s_cbranch_execz .LBB327_961
; %bb.958:                              ;   in Loop: Header=BB327_11 Depth=1
	v_and_b32_e32 v0, 7, v7
	v_lshrrev_b32_e32 v6, 3, v9
	s_mov_b32 s24, exec_lo
	v_cmpx_gt_u32_e32 8, v9
; %bb.959:                              ;   in Loop: Header=BB327_11 Depth=1
	v_ffbh_u32_e32 v0, v0
	v_min_u32_e32 v0, 32, v0
	v_subrev_nc_u32_e32 v6, 28, v0
	v_lshlrev_b64 v[14:15], v6, v[7:8]
	v_sub_nc_u32_e32 v6, 29, v0
	v_and_b32_e32 v0, 7, v14
; %bb.960:                              ;   in Loop: Header=BB327_11 Depth=1
	s_or_b32 exec_lo, exec_lo, s24
	v_lshlrev_b32_e32 v7, 8, v7
	v_lshl_add_u32 v6, v6, 10, 0x2000
	v_lshlrev_b32_e32 v0, 7, v0
	v_and_b32_e32 v7, 0x8000, v7
	v_and_b32_e32 v6, 0xfc00, v6
	v_or3_b32 v84, v7, v6, v0
.LBB327_961:                            ;   in Loop: Header=BB327_11 Depth=1
	s_or_b32 exec_lo, exec_lo, s23
.LBB327_962:                            ;   in Loop: Header=BB327_11 Depth=1
	s_or_b32 exec_lo, exec_lo, s22
.LBB327_963:                            ;   in Loop: Header=BB327_11 Depth=1
	s_or_b32 exec_lo, exec_lo, s21
	v_cmp_lt_u64_e64 s5, s[6:7], v[32:33]
	v_mov_b32_e32 v85, 0
	v_mov_b32_e32 v32, 0
	s_and_saveexec_b32 s21, s5
	s_cbranch_execz .LBB327_971
; %bb.964:                              ;   in Loop: Header=BB327_11 Depth=1
	v_lshrrev_b32_e32 v7, 24, v33
	v_bfrev_b32_e32 v32, 1
	s_mov_b32 s22, exec_lo
	v_cmpx_ne_u32_e32 0x80, v7
	s_cbranch_execz .LBB327_970
; %bb.965:                              ;   in Loop: Header=BB327_11 Depth=1
	v_and_b32_e32 v9, 0x7f, v7
	v_mov_b32_e32 v32, 0x7c010000
	s_mov_b32 s23, exec_lo
	v_cmpx_ne_u32_e32 0x7f, v9
	s_cbranch_execz .LBB327_969
; %bb.966:                              ;   in Loop: Header=BB327_11 Depth=1
	v_and_b32_e32 v0, 7, v7
	v_lshrrev_b32_e32 v6, 3, v9
	s_mov_b32 s24, exec_lo
	v_cmpx_gt_u32_e32 8, v9
; %bb.967:                              ;   in Loop: Header=BB327_11 Depth=1
	v_ffbh_u32_e32 v0, v0
	v_min_u32_e32 v0, 32, v0
	v_subrev_nc_u32_e32 v6, 28, v0
	v_lshlrev_b64 v[14:15], v6, v[7:8]
	v_sub_nc_u32_e32 v6, 29, v0
	v_and_b32_e32 v0, 7, v14
; %bb.968:                              ;   in Loop: Header=BB327_11 Depth=1
	s_or_b32 exec_lo, exec_lo, s24
	v_lshlrev_b32_e32 v7, 8, v7
	v_lshl_add_u32 v6, v6, 10, 0x2000
	v_lshlrev_b32_e32 v0, 23, v0
	v_and_or_b32 v6, 0x8000, v7, v6
	v_lshl_or_b32 v32, v6, 16, v0
.LBB327_969:                            ;   in Loop: Header=BB327_11 Depth=1
	s_or_b32 exec_lo, exec_lo, s23
.LBB327_970:                            ;   in Loop: Header=BB327_11 Depth=1
	s_or_b32 exec_lo, exec_lo, s22
.LBB327_971:                            ;   in Loop: Header=BB327_11 Depth=1
	s_or_b32 exec_lo, exec_lo, s21
	flat_load_dwordx2 v[30:31], v[30:31] offset:1544
	s_waitcnt vmcnt(0) lgkmcnt(0)
	v_cmp_ne_u16_sdwa s5, v30, v8 src0_sel:BYTE_0 src1_sel:DWORD
	s_and_saveexec_b32 s21, s5
	s_cbranch_execz .LBB327_979
; %bb.972:                              ;   in Loop: Header=BB327_11 Depth=1
	v_cmp_ne_u16_sdwa s5, v30, v101 src0_sel:BYTE_0 src1_sel:DWORD
	v_mov_b32_e32 v85, 0x8000
	s_and_saveexec_b32 s22, s5
	s_cbranch_execz .LBB327_978
; %bb.973:                              ;   in Loop: Header=BB327_11 Depth=1
	v_and_b32_e32 v7, 0x7f, v30
	v_mov_b32_e32 v85, 0x7c01
	s_mov_b32 s23, exec_lo
	v_cmpx_ne_u32_e32 0x7f, v7
	s_cbranch_execz .LBB327_977
; %bb.974:                              ;   in Loop: Header=BB327_11 Depth=1
	v_and_b32_e32 v0, 7, v30
	v_lshrrev_b32_e32 v6, 3, v7
	s_mov_b32 s24, exec_lo
	v_cmpx_gt_u32_e32 8, v7
; %bb.975:                              ;   in Loop: Header=BB327_11 Depth=1
	v_ffbh_u32_e32 v0, v0
	v_min_u32_e32 v0, 32, v0
	v_subrev_nc_u32_e32 v6, 28, v0
	v_lshlrev_b64 v[14:15], v6, v[30:31]
	v_sub_nc_u32_e32 v6, 29, v0
	v_and_b32_e32 v0, 7, v14
; %bb.976:                              ;   in Loop: Header=BB327_11 Depth=1
	s_or_b32 exec_lo, exec_lo, s24
	v_lshlrev_b32_e32 v7, 8, v30
	v_lshl_add_u32 v6, v6, 10, 0x2000
	v_lshlrev_b32_e32 v0, 7, v0
	v_and_b32_e32 v7, 0x8000, v7
	v_and_b32_e32 v6, 0xfc00, v6
	v_or3_b32 v85, v7, v6, v0
.LBB327_977:                            ;   in Loop: Header=BB327_11 Depth=1
	s_or_b32 exec_lo, exec_lo, s23
.LBB327_978:                            ;   in Loop: Header=BB327_11 Depth=1
	s_or_b32 exec_lo, exec_lo, s22
.LBB327_979:                            ;   in Loop: Header=BB327_11 Depth=1
	s_or_b32 exec_lo, exec_lo, s21
	v_lshrrev_b16 v7, 8, v30
	v_mov_b32_e32 v106, 0
	v_mov_b32_e32 v70, 0
	s_mov_b32 s21, exec_lo
	v_cmpx_ne_u16_e32 0, v7
	s_cbranch_execz .LBB327_987
; %bb.980:                              ;   in Loop: Header=BB327_11 Depth=1
	v_bfrev_b32_e32 v70, 1
	s_mov_b32 s22, exec_lo
	v_cmpx_ne_u16_e32 0x80, v7
	s_cbranch_execz .LBB327_986
; %bb.981:                              ;   in Loop: Header=BB327_11 Depth=1
	v_mov_b32_e32 v0, 0x7f
	v_mov_b32_e32 v70, 0x7c010000
	s_mov_b32 s23, exec_lo
	v_and_b32_sdwa v9, v7, v0 dst_sel:DWORD dst_unused:UNUSED_PAD src0_sel:WORD_0 src1_sel:DWORD
	v_cmpx_ne_u32_e32 0x7f, v9
	s_cbranch_execz .LBB327_985
; %bb.982:                              ;   in Loop: Header=BB327_11 Depth=1
	v_mov_b32_e32 v0, 7
	v_lshrrev_b32_e32 v6, 3, v9
	s_mov_b32 s24, exec_lo
	v_and_b32_sdwa v0, v7, v0 dst_sel:DWORD dst_unused:UNUSED_PAD src0_sel:WORD_0 src1_sel:DWORD
	v_cmpx_gt_u32_e32 8, v9
; %bb.983:                              ;   in Loop: Header=BB327_11 Depth=1
	v_ffbh_u32_e32 v0, v0
	v_min_u32_e32 v0, 32, v0
	v_subrev_nc_u32_e32 v6, 28, v0
	v_lshlrev_b64 v[14:15], v6, v[7:8]
	v_sub_nc_u32_e32 v6, 29, v0
	v_and_b32_e32 v0, 7, v14
; %bb.984:                              ;   in Loop: Header=BB327_11 Depth=1
	s_or_b32 exec_lo, exec_lo, s24
	v_mov_b32_e32 v9, 8
	v_lshl_add_u32 v6, v6, 10, 0x2000
	v_lshlrev_b32_e32 v0, 23, v0
	v_lshlrev_b32_sdwa v7, v9, v7 dst_sel:DWORD dst_unused:UNUSED_PAD src0_sel:DWORD src1_sel:WORD_0
	v_and_or_b32 v6, 0x8000, v7, v6
	v_lshl_or_b32 v70, v6, 16, v0
.LBB327_985:                            ;   in Loop: Header=BB327_11 Depth=1
	s_or_b32 exec_lo, exec_lo, s23
.LBB327_986:                            ;   in Loop: Header=BB327_11 Depth=1
	s_or_b32 exec_lo, exec_lo, s22
.LBB327_987:                            ;   in Loop: Header=BB327_11 Depth=1
	s_or_b32 exec_lo, exec_lo, s21
	v_lshrrev_b32_e32 v7, 16, v30
	v_cmp_ne_u16_sdwa s5, v7, v8 src0_sel:BYTE_0 src1_sel:DWORD
	s_and_saveexec_b32 s21, s5
	s_cbranch_execz .LBB327_995
; %bb.988:                              ;   in Loop: Header=BB327_11 Depth=1
	v_cmp_ne_u16_sdwa s5, v7, v101 src0_sel:BYTE_0 src1_sel:DWORD
	v_mov_b32_e32 v106, 0x8000
	s_and_saveexec_b32 s22, s5
	s_cbranch_execz .LBB327_994
; %bb.989:                              ;   in Loop: Header=BB327_11 Depth=1
	v_bfe_u32 v9, v30, 16, 7
	v_mov_b32_e32 v106, 0x7c01
	s_mov_b32 s23, exec_lo
	v_cmpx_ne_u32_e32 0x7f, v9
	s_cbranch_execz .LBB327_993
; %bb.990:                              ;   in Loop: Header=BB327_11 Depth=1
	v_and_b32_e32 v0, 7, v7
	v_lshrrev_b32_e32 v6, 3, v9
	s_mov_b32 s24, exec_lo
	v_cmpx_gt_u32_e32 8, v9
; %bb.991:                              ;   in Loop: Header=BB327_11 Depth=1
	v_ffbh_u32_e32 v0, v0
	v_min_u32_e32 v0, 32, v0
	v_subrev_nc_u32_e32 v6, 28, v0
	v_lshlrev_b64 v[14:15], v6, v[7:8]
	v_sub_nc_u32_e32 v6, 29, v0
	v_and_b32_e32 v0, 7, v14
; %bb.992:                              ;   in Loop: Header=BB327_11 Depth=1
	s_or_b32 exec_lo, exec_lo, s24
	v_lshlrev_b32_e32 v7, 8, v7
	v_lshl_add_u32 v6, v6, 10, 0x2000
	v_lshlrev_b32_e32 v0, 7, v0
	v_and_b32_e32 v7, 0x8000, v7
	v_and_b32_e32 v6, 0xfc00, v6
	v_or3_b32 v106, v7, v6, v0
.LBB327_993:                            ;   in Loop: Header=BB327_11 Depth=1
	s_or_b32 exec_lo, exec_lo, s23
.LBB327_994:                            ;   in Loop: Header=BB327_11 Depth=1
	s_or_b32 exec_lo, exec_lo, s22
.LBB327_995:                            ;   in Loop: Header=BB327_11 Depth=1
	s_or_b32 exec_lo, exec_lo, s21
	v_mov_b32_e32 v44, 0
	v_mov_b32_e32 v81, 0
	s_mov_b32 s21, exec_lo
	v_cmpx_lt_u32_e32 0xffffff, v30
	s_cbranch_execz .LBB327_1003
; %bb.996:                              ;   in Loop: Header=BB327_11 Depth=1
	v_lshrrev_b32_e32 v7, 24, v30
	v_bfrev_b32_e32 v81, 1
	s_mov_b32 s22, exec_lo
	v_cmpx_ne_u32_e32 0x80, v7
	s_cbranch_execz .LBB327_1002
; %bb.997:                              ;   in Loop: Header=BB327_11 Depth=1
	v_and_b32_e32 v9, 0x7f, v7
	v_mov_b32_e32 v81, 0x7c010000
	s_mov_b32 s23, exec_lo
	v_cmpx_ne_u32_e32 0x7f, v9
	s_cbranch_execz .LBB327_1001
; %bb.998:                              ;   in Loop: Header=BB327_11 Depth=1
	v_and_b32_e32 v0, 7, v7
	v_lshrrev_b32_e32 v6, 3, v9
	s_mov_b32 s24, exec_lo
	v_cmpx_gt_u32_e32 8, v9
; %bb.999:                              ;   in Loop: Header=BB327_11 Depth=1
	v_ffbh_u32_e32 v0, v0
	v_min_u32_e32 v0, 32, v0
	v_subrev_nc_u32_e32 v6, 28, v0
	v_lshlrev_b64 v[14:15], v6, v[7:8]
	v_sub_nc_u32_e32 v6, 29, v0
	v_and_b32_e32 v0, 7, v14
; %bb.1000:                             ;   in Loop: Header=BB327_11 Depth=1
	s_or_b32 exec_lo, exec_lo, s24
	v_lshlrev_b32_e32 v7, 8, v7
	v_lshl_add_u32 v6, v6, 10, 0x2000
	v_lshlrev_b32_e32 v0, 23, v0
	v_and_or_b32 v6, 0x8000, v7, v6
	v_lshl_or_b32 v81, v6, 16, v0
.LBB327_1001:                           ;   in Loop: Header=BB327_11 Depth=1
	s_or_b32 exec_lo, exec_lo, s23
.LBB327_1002:                           ;   in Loop: Header=BB327_11 Depth=1
	s_or_b32 exec_lo, exec_lo, s22
.LBB327_1003:                           ;   in Loop: Header=BB327_11 Depth=1
	s_or_b32 exec_lo, exec_lo, s21
	v_mov_b32_e32 v7, v31
	v_cmp_ne_u16_sdwa s5, v31, v8 src0_sel:BYTE_0 src1_sel:DWORD
	s_and_saveexec_b32 s21, s5
	s_cbranch_execz .LBB327_1011
; %bb.1004:                             ;   in Loop: Header=BB327_11 Depth=1
	v_cmp_ne_u16_sdwa s5, v31, v101 src0_sel:BYTE_0 src1_sel:DWORD
	v_mov_b32_e32 v44, 0x8000
	s_and_saveexec_b32 s22, s5
	s_cbranch_execz .LBB327_1010
; %bb.1005:                             ;   in Loop: Header=BB327_11 Depth=1
	v_and_b32_e32 v9, 0x7f, v31
	v_mov_b32_e32 v44, 0x7c01
	s_mov_b32 s23, exec_lo
	v_cmpx_ne_u32_e32 0x7f, v9
	s_cbranch_execz .LBB327_1009
; %bb.1006:                             ;   in Loop: Header=BB327_11 Depth=1
	v_and_b32_e32 v0, 7, v31
	v_lshrrev_b32_e32 v6, 3, v9
	s_mov_b32 s24, exec_lo
	v_cmpx_gt_u32_e32 8, v9
; %bb.1007:                             ;   in Loop: Header=BB327_11 Depth=1
	v_ffbh_u32_e32 v0, v0
	v_min_u32_e32 v0, 32, v0
	v_subrev_nc_u32_e32 v6, 28, v0
	v_lshlrev_b64 v[14:15], v6, v[7:8]
	v_sub_nc_u32_e32 v6, 29, v0
	v_and_b32_e32 v0, 7, v14
; %bb.1008:                             ;   in Loop: Header=BB327_11 Depth=1
	s_or_b32 exec_lo, exec_lo, s24
	v_lshlrev_b32_e32 v9, 8, v31
	v_lshl_add_u32 v6, v6, 10, 0x2000
	v_lshlrev_b32_e32 v0, 7, v0
	v_and_b32_e32 v9, 0x8000, v9
	v_and_b32_e32 v6, 0xfc00, v6
	v_or3_b32 v44, v9, v6, v0
.LBB327_1009:                           ;   in Loop: Header=BB327_11 Depth=1
	s_or_b32 exec_lo, exec_lo, s23
.LBB327_1010:                           ;   in Loop: Header=BB327_11 Depth=1
	s_or_b32 exec_lo, exec_lo, s22
.LBB327_1011:                           ;   in Loop: Header=BB327_11 Depth=1
	s_or_b32 exec_lo, exec_lo, s21
	v_lshrrev_b16 v7, 8, v7
	v_mov_b32_e32 v108, 0
	v_mov_b32_e32 v103, 0
	s_mov_b32 s21, exec_lo
	v_cmpx_ne_u16_e32 0, v7
	s_cbranch_execz .LBB327_1019
; %bb.1012:                             ;   in Loop: Header=BB327_11 Depth=1
	v_bfrev_b32_e32 v103, 1
	s_mov_b32 s22, exec_lo
	v_cmpx_ne_u16_e32 0x80, v7
	s_cbranch_execz .LBB327_1018
; %bb.1013:                             ;   in Loop: Header=BB327_11 Depth=1
	v_mov_b32_e32 v0, 0x7f
	v_mov_b32_e32 v103, 0x7c010000
	s_mov_b32 s23, exec_lo
	v_and_b32_sdwa v9, v7, v0 dst_sel:DWORD dst_unused:UNUSED_PAD src0_sel:WORD_0 src1_sel:DWORD
	v_cmpx_ne_u32_e32 0x7f, v9
	s_cbranch_execz .LBB327_1017
; %bb.1014:                             ;   in Loop: Header=BB327_11 Depth=1
	v_mov_b32_e32 v0, 7
	v_lshrrev_b32_e32 v6, 3, v9
	s_mov_b32 s24, exec_lo
	v_and_b32_sdwa v0, v7, v0 dst_sel:DWORD dst_unused:UNUSED_PAD src0_sel:WORD_0 src1_sel:DWORD
	v_cmpx_gt_u32_e32 8, v9
; %bb.1015:                             ;   in Loop: Header=BB327_11 Depth=1
	v_ffbh_u32_e32 v0, v0
	v_min_u32_e32 v0, 32, v0
	v_subrev_nc_u32_e32 v6, 28, v0
	v_lshlrev_b64 v[14:15], v6, v[7:8]
	v_sub_nc_u32_e32 v6, 29, v0
	v_and_b32_e32 v0, 7, v14
; %bb.1016:                             ;   in Loop: Header=BB327_11 Depth=1
	s_or_b32 exec_lo, exec_lo, s24
	v_mov_b32_e32 v9, 8
	v_lshl_add_u32 v6, v6, 10, 0x2000
	v_lshlrev_b32_e32 v0, 23, v0
	v_lshlrev_b32_sdwa v7, v9, v7 dst_sel:DWORD dst_unused:UNUSED_PAD src0_sel:DWORD src1_sel:WORD_0
	v_and_or_b32 v6, 0x8000, v7, v6
	v_lshl_or_b32 v103, v6, 16, v0
.LBB327_1017:                           ;   in Loop: Header=BB327_11 Depth=1
	s_or_b32 exec_lo, exec_lo, s23
.LBB327_1018:                           ;   in Loop: Header=BB327_11 Depth=1
	s_or_b32 exec_lo, exec_lo, s22
.LBB327_1019:                           ;   in Loop: Header=BB327_11 Depth=1
	s_or_b32 exec_lo, exec_lo, s21
	v_lshrrev_b32_e32 v7, 16, v31
	v_cmp_ne_u16_sdwa s5, v7, v8 src0_sel:BYTE_0 src1_sel:DWORD
	s_and_saveexec_b32 s21, s5
	s_cbranch_execz .LBB327_1027
; %bb.1020:                             ;   in Loop: Header=BB327_11 Depth=1
	v_cmp_ne_u16_sdwa s5, v7, v101 src0_sel:BYTE_0 src1_sel:DWORD
	v_mov_b32_e32 v108, 0x8000
	s_and_saveexec_b32 s22, s5
	s_cbranch_execz .LBB327_1026
; %bb.1021:                             ;   in Loop: Header=BB327_11 Depth=1
	v_bfe_u32 v9, v31, 16, 7
	v_mov_b32_e32 v108, 0x7c01
	s_mov_b32 s23, exec_lo
	v_cmpx_ne_u32_e32 0x7f, v9
	s_cbranch_execz .LBB327_1025
; %bb.1022:                             ;   in Loop: Header=BB327_11 Depth=1
	v_and_b32_e32 v0, 7, v7
	v_lshrrev_b32_e32 v6, 3, v9
	s_mov_b32 s24, exec_lo
	v_cmpx_gt_u32_e32 8, v9
; %bb.1023:                             ;   in Loop: Header=BB327_11 Depth=1
	v_ffbh_u32_e32 v0, v0
	v_min_u32_e32 v0, 32, v0
	v_subrev_nc_u32_e32 v6, 28, v0
	v_lshlrev_b64 v[14:15], v6, v[7:8]
	v_sub_nc_u32_e32 v6, 29, v0
	v_and_b32_e32 v0, 7, v14
; %bb.1024:                             ;   in Loop: Header=BB327_11 Depth=1
	s_or_b32 exec_lo, exec_lo, s24
	v_lshlrev_b32_e32 v7, 8, v7
	v_lshl_add_u32 v6, v6, 10, 0x2000
	v_lshlrev_b32_e32 v0, 7, v0
	v_and_b32_e32 v7, 0x8000, v7
	v_and_b32_e32 v6, 0xfc00, v6
	v_or3_b32 v108, v7, v6, v0
.LBB327_1025:                           ;   in Loop: Header=BB327_11 Depth=1
	s_or_b32 exec_lo, exec_lo, s23
.LBB327_1026:                           ;   in Loop: Header=BB327_11 Depth=1
	s_or_b32 exec_lo, exec_lo, s22
.LBB327_1027:                           ;   in Loop: Header=BB327_11 Depth=1
	s_or_b32 exec_lo, exec_lo, s21
	v_mov_b32_e32 v105, 0
	v_mov_b32_e32 v42, 0
	s_mov_b32 s21, exec_lo
	v_cmpx_lt_u64_e64 s[6:7], v[30:31]
	s_cbranch_execz .LBB327_1035
; %bb.1028:                             ;   in Loop: Header=BB327_11 Depth=1
	v_lshrrev_b32_e32 v7, 24, v31
	v_bfrev_b32_e32 v42, 1
	s_mov_b32 s22, exec_lo
	v_cmpx_ne_u32_e32 0x80, v7
	s_cbranch_execz .LBB327_1034
; %bb.1029:                             ;   in Loop: Header=BB327_11 Depth=1
	v_and_b32_e32 v9, 0x7f, v7
	v_mov_b32_e32 v42, 0x7c010000
	s_mov_b32 s23, exec_lo
	v_cmpx_ne_u32_e32 0x7f, v9
	s_cbranch_execz .LBB327_1033
; %bb.1030:                             ;   in Loop: Header=BB327_11 Depth=1
	v_and_b32_e32 v0, 7, v7
	v_lshrrev_b32_e32 v6, 3, v9
	s_mov_b32 s24, exec_lo
	v_cmpx_gt_u32_e32 8, v9
; %bb.1031:                             ;   in Loop: Header=BB327_11 Depth=1
	v_ffbh_u32_e32 v0, v0
	v_min_u32_e32 v0, 32, v0
	v_subrev_nc_u32_e32 v6, 28, v0
	v_lshlrev_b64 v[14:15], v6, v[7:8]
	v_sub_nc_u32_e32 v6, 29, v0
	v_and_b32_e32 v0, 7, v14
; %bb.1032:                             ;   in Loop: Header=BB327_11 Depth=1
	s_or_b32 exec_lo, exec_lo, s24
	v_lshlrev_b32_e32 v7, 8, v7
	v_lshl_add_u32 v6, v6, 10, 0x2000
	v_lshlrev_b32_e32 v0, 23, v0
	v_and_or_b32 v6, 0x8000, v7, v6
	v_lshl_or_b32 v42, v6, 16, v0
.LBB327_1033:                           ;   in Loop: Header=BB327_11 Depth=1
	s_or_b32 exec_lo, exec_lo, s23
.LBB327_1034:                           ;   in Loop: Header=BB327_11 Depth=1
	s_or_b32 exec_lo, exec_lo, s22
.LBB327_1035:                           ;   in Loop: Header=BB327_11 Depth=1
	s_or_b32 exec_lo, exec_lo, s21
	v_add_co_u32 v28, s5, 0x1000, v28
	v_add_co_ci_u32_e64 v29, null, 0, v29, s5
	flat_load_dwordx2 v[30:31], v[28:29]
	s_waitcnt vmcnt(0) lgkmcnt(0)
	v_cmp_ne_u16_sdwa s5, v30, v8 src0_sel:BYTE_0 src1_sel:DWORD
	s_and_saveexec_b32 s21, s5
	s_cbranch_execz .LBB327_1043
; %bb.1036:                             ;   in Loop: Header=BB327_11 Depth=1
	v_cmp_ne_u16_sdwa s5, v30, v101 src0_sel:BYTE_0 src1_sel:DWORD
	v_mov_b32_e32 v105, 0x8000
	s_and_saveexec_b32 s22, s5
	s_cbranch_execz .LBB327_1042
; %bb.1037:                             ;   in Loop: Header=BB327_11 Depth=1
	v_and_b32_e32 v7, 0x7f, v30
	v_mov_b32_e32 v105, 0x7c01
	s_mov_b32 s23, exec_lo
	v_cmpx_ne_u32_e32 0x7f, v7
	s_cbranch_execz .LBB327_1041
; %bb.1038:                             ;   in Loop: Header=BB327_11 Depth=1
	v_and_b32_e32 v0, 7, v30
	v_lshrrev_b32_e32 v6, 3, v7
	s_mov_b32 s24, exec_lo
	v_cmpx_gt_u32_e32 8, v7
; %bb.1039:                             ;   in Loop: Header=BB327_11 Depth=1
	v_ffbh_u32_e32 v0, v0
	v_min_u32_e32 v0, 32, v0
	v_subrev_nc_u32_e32 v6, 28, v0
	v_lshlrev_b64 v[14:15], v6, v[30:31]
	v_sub_nc_u32_e32 v6, 29, v0
	v_and_b32_e32 v0, 7, v14
; %bb.1040:                             ;   in Loop: Header=BB327_11 Depth=1
	s_or_b32 exec_lo, exec_lo, s24
	v_lshlrev_b32_e32 v7, 8, v30
	v_lshl_add_u32 v6, v6, 10, 0x2000
	v_lshlrev_b32_e32 v0, 7, v0
	v_and_b32_e32 v7, 0x8000, v7
	v_and_b32_e32 v6, 0xfc00, v6
	v_or3_b32 v105, v7, v6, v0
.LBB327_1041:                           ;   in Loop: Header=BB327_11 Depth=1
	s_or_b32 exec_lo, exec_lo, s23
.LBB327_1042:                           ;   in Loop: Header=BB327_11 Depth=1
	s_or_b32 exec_lo, exec_lo, s22
.LBB327_1043:                           ;   in Loop: Header=BB327_11 Depth=1
	s_or_b32 exec_lo, exec_lo, s21
	v_lshrrev_b16 v7, 8, v30
	v_mov_b32_e32 v67, 0
	v_mov_b32_e32 v55, 0
	s_mov_b32 s21, exec_lo
	v_cmpx_ne_u16_e32 0, v7
	s_cbranch_execz .LBB327_1051
; %bb.1044:                             ;   in Loop: Header=BB327_11 Depth=1
	v_bfrev_b32_e32 v55, 1
	s_mov_b32 s22, exec_lo
	v_cmpx_ne_u16_e32 0x80, v7
	s_cbranch_execz .LBB327_1050
; %bb.1045:                             ;   in Loop: Header=BB327_11 Depth=1
	v_mov_b32_e32 v0, 0x7f
	v_mov_b32_e32 v55, 0x7c010000
	s_mov_b32 s23, exec_lo
	v_and_b32_sdwa v9, v7, v0 dst_sel:DWORD dst_unused:UNUSED_PAD src0_sel:WORD_0 src1_sel:DWORD
	v_cmpx_ne_u32_e32 0x7f, v9
	s_cbranch_execz .LBB327_1049
; %bb.1046:                             ;   in Loop: Header=BB327_11 Depth=1
	v_mov_b32_e32 v0, 7
	v_lshrrev_b32_e32 v6, 3, v9
	s_mov_b32 s24, exec_lo
	v_and_b32_sdwa v0, v7, v0 dst_sel:DWORD dst_unused:UNUSED_PAD src0_sel:WORD_0 src1_sel:DWORD
	v_cmpx_gt_u32_e32 8, v9
; %bb.1047:                             ;   in Loop: Header=BB327_11 Depth=1
	v_ffbh_u32_e32 v0, v0
	v_min_u32_e32 v0, 32, v0
	v_subrev_nc_u32_e32 v6, 28, v0
	v_lshlrev_b64 v[14:15], v6, v[7:8]
	v_sub_nc_u32_e32 v6, 29, v0
	v_and_b32_e32 v0, 7, v14
; %bb.1048:                             ;   in Loop: Header=BB327_11 Depth=1
	s_or_b32 exec_lo, exec_lo, s24
	v_mov_b32_e32 v9, 8
	v_lshl_add_u32 v6, v6, 10, 0x2000
	v_lshlrev_b32_e32 v0, 23, v0
	v_lshlrev_b32_sdwa v7, v9, v7 dst_sel:DWORD dst_unused:UNUSED_PAD src0_sel:DWORD src1_sel:WORD_0
	v_and_or_b32 v6, 0x8000, v7, v6
	v_lshl_or_b32 v55, v6, 16, v0
.LBB327_1049:                           ;   in Loop: Header=BB327_11 Depth=1
	s_or_b32 exec_lo, exec_lo, s23
.LBB327_1050:                           ;   in Loop: Header=BB327_11 Depth=1
	s_or_b32 exec_lo, exec_lo, s22
.LBB327_1051:                           ;   in Loop: Header=BB327_11 Depth=1
	s_or_b32 exec_lo, exec_lo, s21
	v_lshrrev_b32_e32 v7, 16, v30
	v_cmp_ne_u16_sdwa s5, v7, v8 src0_sel:BYTE_0 src1_sel:DWORD
	s_and_saveexec_b32 s21, s5
	s_cbranch_execz .LBB327_1059
; %bb.1052:                             ;   in Loop: Header=BB327_11 Depth=1
	v_cmp_ne_u16_sdwa s5, v7, v101 src0_sel:BYTE_0 src1_sel:DWORD
	v_mov_b32_e32 v67, 0x8000
	s_and_saveexec_b32 s22, s5
	s_cbranch_execz .LBB327_1058
; %bb.1053:                             ;   in Loop: Header=BB327_11 Depth=1
	v_bfe_u32 v9, v30, 16, 7
	v_mov_b32_e32 v67, 0x7c01
	s_mov_b32 s23, exec_lo
	v_cmpx_ne_u32_e32 0x7f, v9
	s_cbranch_execz .LBB327_1057
; %bb.1054:                             ;   in Loop: Header=BB327_11 Depth=1
	v_and_b32_e32 v0, 7, v7
	v_lshrrev_b32_e32 v6, 3, v9
	s_mov_b32 s24, exec_lo
	v_cmpx_gt_u32_e32 8, v9
; %bb.1055:                             ;   in Loop: Header=BB327_11 Depth=1
	v_ffbh_u32_e32 v0, v0
	v_min_u32_e32 v0, 32, v0
	v_subrev_nc_u32_e32 v6, 28, v0
	v_lshlrev_b64 v[14:15], v6, v[7:8]
	v_sub_nc_u32_e32 v6, 29, v0
	v_and_b32_e32 v0, 7, v14
; %bb.1056:                             ;   in Loop: Header=BB327_11 Depth=1
	s_or_b32 exec_lo, exec_lo, s24
	v_lshlrev_b32_e32 v7, 8, v7
	v_lshl_add_u32 v6, v6, 10, 0x2000
	v_lshlrev_b32_e32 v0, 7, v0
	v_and_b32_e32 v7, 0x8000, v7
	v_and_b32_e32 v6, 0xfc00, v6
	v_or3_b32 v67, v7, v6, v0
.LBB327_1057:                           ;   in Loop: Header=BB327_11 Depth=1
	s_or_b32 exec_lo, exec_lo, s23
.LBB327_1058:                           ;   in Loop: Header=BB327_11 Depth=1
	s_or_b32 exec_lo, exec_lo, s22
.LBB327_1059:                           ;   in Loop: Header=BB327_11 Depth=1
	s_or_b32 exec_lo, exec_lo, s21
	v_mov_b32_e32 v71, 0
	v_mov_b32_e32 v82, 0
	s_mov_b32 s21, exec_lo
	v_cmpx_lt_u32_e32 0xffffff, v30
	s_cbranch_execz .LBB327_1067
; %bb.1060:                             ;   in Loop: Header=BB327_11 Depth=1
	v_lshrrev_b32_e32 v7, 24, v30
	v_bfrev_b32_e32 v82, 1
	s_mov_b32 s22, exec_lo
	v_cmpx_ne_u32_e32 0x80, v7
	s_cbranch_execz .LBB327_1066
; %bb.1061:                             ;   in Loop: Header=BB327_11 Depth=1
	v_and_b32_e32 v9, 0x7f, v7
	v_mov_b32_e32 v82, 0x7c010000
	s_mov_b32 s23, exec_lo
	v_cmpx_ne_u32_e32 0x7f, v9
	s_cbranch_execz .LBB327_1065
; %bb.1062:                             ;   in Loop: Header=BB327_11 Depth=1
	v_and_b32_e32 v0, 7, v7
	v_lshrrev_b32_e32 v6, 3, v9
	s_mov_b32 s24, exec_lo
	v_cmpx_gt_u32_e32 8, v9
; %bb.1063:                             ;   in Loop: Header=BB327_11 Depth=1
	v_ffbh_u32_e32 v0, v0
	v_min_u32_e32 v0, 32, v0
	v_subrev_nc_u32_e32 v6, 28, v0
	v_lshlrev_b64 v[14:15], v6, v[7:8]
	v_sub_nc_u32_e32 v6, 29, v0
	v_and_b32_e32 v0, 7, v14
; %bb.1064:                             ;   in Loop: Header=BB327_11 Depth=1
	s_or_b32 exec_lo, exec_lo, s24
	v_lshlrev_b32_e32 v7, 8, v7
	v_lshl_add_u32 v6, v6, 10, 0x2000
	v_lshlrev_b32_e32 v0, 23, v0
	v_and_or_b32 v6, 0x8000, v7, v6
	v_lshl_or_b32 v82, v6, 16, v0
.LBB327_1065:                           ;   in Loop: Header=BB327_11 Depth=1
	s_or_b32 exec_lo, exec_lo, s23
.LBB327_1066:                           ;   in Loop: Header=BB327_11 Depth=1
	s_or_b32 exec_lo, exec_lo, s22
.LBB327_1067:                           ;   in Loop: Header=BB327_11 Depth=1
	s_or_b32 exec_lo, exec_lo, s21
	v_mov_b32_e32 v7, v31
	v_cmp_ne_u16_sdwa s5, v31, v8 src0_sel:BYTE_0 src1_sel:DWORD
	s_and_saveexec_b32 s21, s5
	s_cbranch_execz .LBB327_1075
; %bb.1068:                             ;   in Loop: Header=BB327_11 Depth=1
	v_cmp_ne_u16_sdwa s5, v31, v101 src0_sel:BYTE_0 src1_sel:DWORD
	v_mov_b32_e32 v71, 0x8000
	s_and_saveexec_b32 s22, s5
	s_cbranch_execz .LBB327_1074
; %bb.1069:                             ;   in Loop: Header=BB327_11 Depth=1
	v_and_b32_e32 v9, 0x7f, v31
	v_mov_b32_e32 v71, 0x7c01
	s_mov_b32 s23, exec_lo
	v_cmpx_ne_u32_e32 0x7f, v9
	s_cbranch_execz .LBB327_1073
; %bb.1070:                             ;   in Loop: Header=BB327_11 Depth=1
	v_and_b32_e32 v0, 7, v31
	v_lshrrev_b32_e32 v6, 3, v9
	s_mov_b32 s24, exec_lo
	v_cmpx_gt_u32_e32 8, v9
; %bb.1071:                             ;   in Loop: Header=BB327_11 Depth=1
	v_ffbh_u32_e32 v0, v0
	v_min_u32_e32 v0, 32, v0
	v_subrev_nc_u32_e32 v6, 28, v0
	v_lshlrev_b64 v[14:15], v6, v[7:8]
	v_sub_nc_u32_e32 v6, 29, v0
	v_and_b32_e32 v0, 7, v14
; %bb.1072:                             ;   in Loop: Header=BB327_11 Depth=1
	s_or_b32 exec_lo, exec_lo, s24
	v_lshlrev_b32_e32 v9, 8, v31
	v_lshl_add_u32 v6, v6, 10, 0x2000
	v_lshlrev_b32_e32 v0, 7, v0
	v_and_b32_e32 v9, 0x8000, v9
	v_and_b32_e32 v6, 0xfc00, v6
	v_or3_b32 v71, v9, v6, v0
.LBB327_1073:                           ;   in Loop: Header=BB327_11 Depth=1
	s_or_b32 exec_lo, exec_lo, s23
.LBB327_1074:                           ;   in Loop: Header=BB327_11 Depth=1
	s_or_b32 exec_lo, exec_lo, s22
.LBB327_1075:                           ;   in Loop: Header=BB327_11 Depth=1
	s_or_b32 exec_lo, exec_lo, s21
	v_lshrrev_b16 v7, 8, v7
	v_mov_b32_e32 v83, 0
	v_mov_b32_e32 v61, 0
	s_mov_b32 s21, exec_lo
	v_cmpx_ne_u16_e32 0, v7
	s_cbranch_execz .LBB327_1083
; %bb.1076:                             ;   in Loop: Header=BB327_11 Depth=1
	v_bfrev_b32_e32 v61, 1
	s_mov_b32 s22, exec_lo
	v_cmpx_ne_u16_e32 0x80, v7
	s_cbranch_execz .LBB327_1082
; %bb.1077:                             ;   in Loop: Header=BB327_11 Depth=1
	v_mov_b32_e32 v0, 0x7f
	v_mov_b32_e32 v61, 0x7c010000
	s_mov_b32 s23, exec_lo
	v_and_b32_sdwa v9, v7, v0 dst_sel:DWORD dst_unused:UNUSED_PAD src0_sel:WORD_0 src1_sel:DWORD
	v_cmpx_ne_u32_e32 0x7f, v9
	s_cbranch_execz .LBB327_1081
; %bb.1078:                             ;   in Loop: Header=BB327_11 Depth=1
	v_mov_b32_e32 v0, 7
	v_lshrrev_b32_e32 v6, 3, v9
	s_mov_b32 s24, exec_lo
	v_and_b32_sdwa v0, v7, v0 dst_sel:DWORD dst_unused:UNUSED_PAD src0_sel:WORD_0 src1_sel:DWORD
	v_cmpx_gt_u32_e32 8, v9
; %bb.1079:                             ;   in Loop: Header=BB327_11 Depth=1
	v_ffbh_u32_e32 v0, v0
	v_min_u32_e32 v0, 32, v0
	v_subrev_nc_u32_e32 v6, 28, v0
	v_lshlrev_b64 v[14:15], v6, v[7:8]
	v_sub_nc_u32_e32 v6, 29, v0
	v_and_b32_e32 v0, 7, v14
; %bb.1080:                             ;   in Loop: Header=BB327_11 Depth=1
	s_or_b32 exec_lo, exec_lo, s24
	v_mov_b32_e32 v9, 8
	v_lshl_add_u32 v6, v6, 10, 0x2000
	v_lshlrev_b32_e32 v0, 23, v0
	v_lshlrev_b32_sdwa v7, v9, v7 dst_sel:DWORD dst_unused:UNUSED_PAD src0_sel:DWORD src1_sel:WORD_0
	v_and_or_b32 v6, 0x8000, v7, v6
	v_lshl_or_b32 v61, v6, 16, v0
.LBB327_1081:                           ;   in Loop: Header=BB327_11 Depth=1
	s_or_b32 exec_lo, exec_lo, s23
.LBB327_1082:                           ;   in Loop: Header=BB327_11 Depth=1
	s_or_b32 exec_lo, exec_lo, s22
.LBB327_1083:                           ;   in Loop: Header=BB327_11 Depth=1
	s_or_b32 exec_lo, exec_lo, s21
	v_lshrrev_b32_e32 v7, 16, v31
	v_cmp_ne_u16_sdwa s5, v7, v8 src0_sel:BYTE_0 src1_sel:DWORD
	s_and_saveexec_b32 s21, s5
	s_cbranch_execz .LBB327_1091
; %bb.1084:                             ;   in Loop: Header=BB327_11 Depth=1
	v_cmp_ne_u16_sdwa s5, v7, v101 src0_sel:BYTE_0 src1_sel:DWORD
	v_mov_b32_e32 v83, 0x8000
	s_and_saveexec_b32 s22, s5
	s_cbranch_execz .LBB327_1090
; %bb.1085:                             ;   in Loop: Header=BB327_11 Depth=1
	v_bfe_u32 v9, v31, 16, 7
	v_mov_b32_e32 v83, 0x7c01
	s_mov_b32 s23, exec_lo
	v_cmpx_ne_u32_e32 0x7f, v9
	s_cbranch_execz .LBB327_1089
; %bb.1086:                             ;   in Loop: Header=BB327_11 Depth=1
	v_and_b32_e32 v0, 7, v7
	v_lshrrev_b32_e32 v6, 3, v9
	s_mov_b32 s24, exec_lo
	v_cmpx_gt_u32_e32 8, v9
; %bb.1087:                             ;   in Loop: Header=BB327_11 Depth=1
	v_ffbh_u32_e32 v0, v0
	v_min_u32_e32 v0, 32, v0
	v_subrev_nc_u32_e32 v6, 28, v0
	v_lshlrev_b64 v[14:15], v6, v[7:8]
	v_sub_nc_u32_e32 v6, 29, v0
	v_and_b32_e32 v0, 7, v14
; %bb.1088:                             ;   in Loop: Header=BB327_11 Depth=1
	s_or_b32 exec_lo, exec_lo, s24
	v_lshlrev_b32_e32 v7, 8, v7
	v_lshl_add_u32 v6, v6, 10, 0x2000
	v_lshlrev_b32_e32 v0, 7, v0
	v_and_b32_e32 v7, 0x8000, v7
	v_and_b32_e32 v6, 0xfc00, v6
	v_or3_b32 v83, v7, v6, v0
.LBB327_1089:                           ;   in Loop: Header=BB327_11 Depth=1
	s_or_b32 exec_lo, exec_lo, s23
.LBB327_1090:                           ;   in Loop: Header=BB327_11 Depth=1
	s_or_b32 exec_lo, exec_lo, s22
.LBB327_1091:                           ;   in Loop: Header=BB327_11 Depth=1
	s_or_b32 exec_lo, exec_lo, s21
	v_mov_b32_e32 v14, 0
	v_mov_b32_e32 v18, 0
	s_mov_b32 s21, exec_lo
	v_cmpx_lt_u64_e64 s[6:7], v[30:31]
	s_cbranch_execz .LBB327_1099
; %bb.1092:                             ;   in Loop: Header=BB327_11 Depth=1
	v_lshrrev_b32_e32 v7, 24, v31
	v_bfrev_b32_e32 v18, 1
	s_mov_b32 s22, exec_lo
	v_cmpx_ne_u32_e32 0x80, v7
	s_cbranch_execz .LBB327_1098
; %bb.1093:                             ;   in Loop: Header=BB327_11 Depth=1
	v_and_b32_e32 v9, 0x7f, v7
	v_mov_b32_e32 v18, 0x7c010000
	s_mov_b32 s23, exec_lo
	v_cmpx_ne_u32_e32 0x7f, v9
	s_cbranch_execz .LBB327_1097
; %bb.1094:                             ;   in Loop: Header=BB327_11 Depth=1
	v_and_b32_e32 v0, 7, v7
	v_lshrrev_b32_e32 v6, 3, v9
	s_mov_b32 s24, exec_lo
	v_cmpx_gt_u32_e32 8, v9
; %bb.1095:                             ;   in Loop: Header=BB327_11 Depth=1
	v_ffbh_u32_e32 v0, v0
	v_min_u32_e32 v0, 32, v0
	v_subrev_nc_u32_e32 v6, 28, v0
	v_lshlrev_b64 v[17:18], v6, v[7:8]
	v_sub_nc_u32_e32 v6, 29, v0
	v_and_b32_e32 v0, 7, v17
; %bb.1096:                             ;   in Loop: Header=BB327_11 Depth=1
	s_or_b32 exec_lo, exec_lo, s24
	v_lshlrev_b32_e32 v7, 8, v7
	v_lshl_add_u32 v6, v6, 10, 0x2000
	v_lshlrev_b32_e32 v0, 23, v0
	v_and_or_b32 v6, 0x8000, v7, v6
	v_lshl_or_b32 v18, v6, 16, v0
.LBB327_1097:                           ;   in Loop: Header=BB327_11 Depth=1
	s_or_b32 exec_lo, exec_lo, s23
.LBB327_1098:                           ;   in Loop: Header=BB327_11 Depth=1
	s_or_b32 exec_lo, exec_lo, s22
.LBB327_1099:                           ;   in Loop: Header=BB327_11 Depth=1
	s_or_b32 exec_lo, exec_lo, s21
	flat_load_dwordx2 v[30:31], v[28:29] offset:8
	s_waitcnt vmcnt(0) lgkmcnt(0)
	v_cmp_ne_u16_sdwa s5, v30, v8 src0_sel:BYTE_0 src1_sel:DWORD
	s_and_saveexec_b32 s21, s5
	s_cbranch_execz .LBB327_1107
; %bb.1100:                             ;   in Loop: Header=BB327_11 Depth=1
	v_cmp_ne_u16_sdwa s5, v30, v101 src0_sel:BYTE_0 src1_sel:DWORD
	v_mov_b32_e32 v14, 0x8000
	s_and_saveexec_b32 s22, s5
	s_cbranch_execz .LBB327_1106
; %bb.1101:                             ;   in Loop: Header=BB327_11 Depth=1
	v_and_b32_e32 v7, 0x7f, v30
	v_mov_b32_e32 v14, 0x7c01
	s_mov_b32 s23, exec_lo
	v_cmpx_ne_u32_e32 0x7f, v7
	s_cbranch_execz .LBB327_1105
; %bb.1102:                             ;   in Loop: Header=BB327_11 Depth=1
	v_and_b32_e32 v0, 7, v30
	v_lshrrev_b32_e32 v6, 3, v7
	s_mov_b32 s24, exec_lo
	v_cmpx_gt_u32_e32 8, v7
; %bb.1103:                             ;   in Loop: Header=BB327_11 Depth=1
	v_ffbh_u32_e32 v0, v0
	v_min_u32_e32 v0, 32, v0
	v_subrev_nc_u32_e32 v6, 28, v0
	v_lshlrev_b64 v[14:15], v6, v[30:31]
	v_sub_nc_u32_e32 v6, 29, v0
	v_and_b32_e32 v0, 7, v14
; %bb.1104:                             ;   in Loop: Header=BB327_11 Depth=1
	s_or_b32 exec_lo, exec_lo, s24
	v_lshlrev_b32_e32 v7, 8, v30
	v_lshl_add_u32 v6, v6, 10, 0x2000
	v_lshlrev_b32_e32 v0, 7, v0
	v_and_b32_e32 v7, 0x8000, v7
	v_and_b32_e32 v6, 0xfc00, v6
	v_or3_b32 v14, v7, v6, v0
.LBB327_1105:                           ;   in Loop: Header=BB327_11 Depth=1
	s_or_b32 exec_lo, exec_lo, s23
.LBB327_1106:                           ;   in Loop: Header=BB327_11 Depth=1
	s_or_b32 exec_lo, exec_lo, s22
.LBB327_1107:                           ;   in Loop: Header=BB327_11 Depth=1
	s_or_b32 exec_lo, exec_lo, s21
	v_lshrrev_b16 v7, 8, v30
	v_mov_b32_e32 v37, 0
	v_mov_b32_e32 v34, 0
	s_mov_b32 s21, exec_lo
	v_cmpx_ne_u16_e32 0, v7
	s_cbranch_execz .LBB327_1115
; %bb.1108:                             ;   in Loop: Header=BB327_11 Depth=1
	v_bfrev_b32_e32 v34, 1
	s_mov_b32 s22, exec_lo
	v_cmpx_ne_u16_e32 0x80, v7
	s_cbranch_execz .LBB327_1114
; %bb.1109:                             ;   in Loop: Header=BB327_11 Depth=1
	v_mov_b32_e32 v0, 0x7f
	v_mov_b32_e32 v34, 0x7c010000
	s_mov_b32 s23, exec_lo
	v_and_b32_sdwa v9, v7, v0 dst_sel:DWORD dst_unused:UNUSED_PAD src0_sel:WORD_0 src1_sel:DWORD
	v_cmpx_ne_u32_e32 0x7f, v9
	s_cbranch_execz .LBB327_1113
; %bb.1110:                             ;   in Loop: Header=BB327_11 Depth=1
	v_mov_b32_e32 v0, 7
	v_lshrrev_b32_e32 v6, 3, v9
	s_mov_b32 s24, exec_lo
	v_and_b32_sdwa v0, v7, v0 dst_sel:DWORD dst_unused:UNUSED_PAD src0_sel:WORD_0 src1_sel:DWORD
	v_cmpx_gt_u32_e32 8, v9
; %bb.1111:                             ;   in Loop: Header=BB327_11 Depth=1
	v_ffbh_u32_e32 v0, v0
	v_min_u32_e32 v0, 32, v0
	v_subrev_nc_u32_e32 v6, 28, v0
	v_lshlrev_b64 v[21:22], v6, v[7:8]
	v_sub_nc_u32_e32 v6, 29, v0
	v_and_b32_e32 v0, 7, v21
; %bb.1112:                             ;   in Loop: Header=BB327_11 Depth=1
	s_or_b32 exec_lo, exec_lo, s24
	v_mov_b32_e32 v9, 8
	v_lshl_add_u32 v6, v6, 10, 0x2000
	v_lshlrev_b32_e32 v0, 23, v0
	v_lshlrev_b32_sdwa v7, v9, v7 dst_sel:DWORD dst_unused:UNUSED_PAD src0_sel:DWORD src1_sel:WORD_0
	v_and_or_b32 v6, 0x8000, v7, v6
	v_lshl_or_b32 v34, v6, 16, v0
.LBB327_1113:                           ;   in Loop: Header=BB327_11 Depth=1
	s_or_b32 exec_lo, exec_lo, s23
.LBB327_1114:                           ;   in Loop: Header=BB327_11 Depth=1
	s_or_b32 exec_lo, exec_lo, s22
.LBB327_1115:                           ;   in Loop: Header=BB327_11 Depth=1
	s_or_b32 exec_lo, exec_lo, s21
	v_lshrrev_b32_e32 v7, 16, v30
	v_cmp_ne_u16_sdwa s5, v7, v8 src0_sel:BYTE_0 src1_sel:DWORD
	s_and_saveexec_b32 s21, s5
	s_cbranch_execz .LBB327_1123
; %bb.1116:                             ;   in Loop: Header=BB327_11 Depth=1
	v_cmp_ne_u16_sdwa s5, v7, v101 src0_sel:BYTE_0 src1_sel:DWORD
	v_mov_b32_e32 v37, 0x8000
	s_and_saveexec_b32 s22, s5
	s_cbranch_execz .LBB327_1122
; %bb.1117:                             ;   in Loop: Header=BB327_11 Depth=1
	v_bfe_u32 v9, v30, 16, 7
	v_mov_b32_e32 v37, 0x7c01
	s_mov_b32 s23, exec_lo
	v_cmpx_ne_u32_e32 0x7f, v9
	s_cbranch_execz .LBB327_1121
; %bb.1118:                             ;   in Loop: Header=BB327_11 Depth=1
	v_and_b32_e32 v0, 7, v7
	v_lshrrev_b32_e32 v6, 3, v9
	s_mov_b32 s24, exec_lo
	v_cmpx_gt_u32_e32 8, v9
; %bb.1119:                             ;   in Loop: Header=BB327_11 Depth=1
	v_ffbh_u32_e32 v0, v0
	v_min_u32_e32 v0, 32, v0
	v_subrev_nc_u32_e32 v6, 28, v0
	v_lshlrev_b64 v[21:22], v6, v[7:8]
	v_sub_nc_u32_e32 v6, 29, v0
	v_and_b32_e32 v0, 7, v21
; %bb.1120:                             ;   in Loop: Header=BB327_11 Depth=1
	s_or_b32 exec_lo, exec_lo, s24
	v_lshlrev_b32_e32 v7, 8, v7
	v_lshl_add_u32 v6, v6, 10, 0x2000
	v_lshlrev_b32_e32 v0, 7, v0
	v_and_b32_e32 v7, 0x8000, v7
	v_and_b32_e32 v6, 0xfc00, v6
	v_or3_b32 v37, v7, v6, v0
.LBB327_1121:                           ;   in Loop: Header=BB327_11 Depth=1
	s_or_b32 exec_lo, exec_lo, s23
.LBB327_1122:                           ;   in Loop: Header=BB327_11 Depth=1
	s_or_b32 exec_lo, exec_lo, s22
.LBB327_1123:                           ;   in Loop: Header=BB327_11 Depth=1
	s_or_b32 exec_lo, exec_lo, s21
	v_mov_b32_e32 v99, 0
	v_mov_b32_e32 v47, 0
	s_mov_b32 s21, exec_lo
	v_cmpx_lt_u32_e32 0xffffff, v30
	s_cbranch_execz .LBB327_1131
; %bb.1124:                             ;   in Loop: Header=BB327_11 Depth=1
	v_lshrrev_b32_e32 v7, 24, v30
	v_bfrev_b32_e32 v47, 1
	s_mov_b32 s22, exec_lo
	v_cmpx_ne_u32_e32 0x80, v7
	s_cbranch_execz .LBB327_1130
; %bb.1125:                             ;   in Loop: Header=BB327_11 Depth=1
	v_and_b32_e32 v9, 0x7f, v7
	v_mov_b32_e32 v47, 0x7c010000
	s_mov_b32 s23, exec_lo
	v_cmpx_ne_u32_e32 0x7f, v9
	s_cbranch_execz .LBB327_1129
; %bb.1126:                             ;   in Loop: Header=BB327_11 Depth=1
	v_and_b32_e32 v0, 7, v7
	v_lshrrev_b32_e32 v6, 3, v9
	s_mov_b32 s24, exec_lo
	v_cmpx_gt_u32_e32 8, v9
; %bb.1127:                             ;   in Loop: Header=BB327_11 Depth=1
	v_ffbh_u32_e32 v0, v0
	v_min_u32_e32 v0, 32, v0
	v_subrev_nc_u32_e32 v6, 28, v0
	v_lshlrev_b64 v[21:22], v6, v[7:8]
	v_sub_nc_u32_e32 v6, 29, v0
	v_and_b32_e32 v0, 7, v21
; %bb.1128:                             ;   in Loop: Header=BB327_11 Depth=1
	s_or_b32 exec_lo, exec_lo, s24
	v_lshlrev_b32_e32 v7, 8, v7
	v_lshl_add_u32 v6, v6, 10, 0x2000
	v_lshlrev_b32_e32 v0, 23, v0
	v_and_or_b32 v6, 0x8000, v7, v6
	v_lshl_or_b32 v47, v6, 16, v0
.LBB327_1129:                           ;   in Loop: Header=BB327_11 Depth=1
	s_or_b32 exec_lo, exec_lo, s23
.LBB327_1130:                           ;   in Loop: Header=BB327_11 Depth=1
	s_or_b32 exec_lo, exec_lo, s22
.LBB327_1131:                           ;   in Loop: Header=BB327_11 Depth=1
	s_or_b32 exec_lo, exec_lo, s21
	v_mov_b32_e32 v7, v31
	v_cmp_ne_u16_sdwa s5, v31, v8 src0_sel:BYTE_0 src1_sel:DWORD
	s_and_saveexec_b32 s21, s5
	s_cbranch_execz .LBB327_1139
; %bb.1132:                             ;   in Loop: Header=BB327_11 Depth=1
	v_cmp_ne_u16_sdwa s5, v31, v101 src0_sel:BYTE_0 src1_sel:DWORD
	v_mov_b32_e32 v99, 0x8000
	s_and_saveexec_b32 s22, s5
	s_cbranch_execz .LBB327_1138
; %bb.1133:                             ;   in Loop: Header=BB327_11 Depth=1
	v_and_b32_e32 v9, 0x7f, v31
	v_mov_b32_e32 v99, 0x7c01
	s_mov_b32 s23, exec_lo
	v_cmpx_ne_u32_e32 0x7f, v9
	s_cbranch_execz .LBB327_1137
; %bb.1134:                             ;   in Loop: Header=BB327_11 Depth=1
	v_and_b32_e32 v0, 7, v31
	v_lshrrev_b32_e32 v6, 3, v9
	s_mov_b32 s24, exec_lo
	v_cmpx_gt_u32_e32 8, v9
; %bb.1135:                             ;   in Loop: Header=BB327_11 Depth=1
	v_ffbh_u32_e32 v0, v0
	v_min_u32_e32 v0, 32, v0
	v_subrev_nc_u32_e32 v6, 28, v0
	v_lshlrev_b64 v[21:22], v6, v[7:8]
	v_sub_nc_u32_e32 v6, 29, v0
	v_and_b32_e32 v0, 7, v21
; %bb.1136:                             ;   in Loop: Header=BB327_11 Depth=1
	s_or_b32 exec_lo, exec_lo, s24
	v_lshlrev_b32_e32 v9, 8, v31
	v_lshl_add_u32 v6, v6, 10, 0x2000
	v_lshlrev_b32_e32 v0, 7, v0
	v_and_b32_e32 v9, 0x8000, v9
	v_and_b32_e32 v6, 0xfc00, v6
	v_or3_b32 v99, v9, v6, v0
.LBB327_1137:                           ;   in Loop: Header=BB327_11 Depth=1
	s_or_b32 exec_lo, exec_lo, s23
.LBB327_1138:                           ;   in Loop: Header=BB327_11 Depth=1
	s_or_b32 exec_lo, exec_lo, s22
.LBB327_1139:                           ;   in Loop: Header=BB327_11 Depth=1
	s_or_b32 exec_lo, exec_lo, s21
	v_lshrrev_b16 v7, 8, v7
	v_mov_b32_e32 v63, 0
	v_mov_b32_e32 v77, 0
	s_mov_b32 s21, exec_lo
	v_cmpx_ne_u16_e32 0, v7
	s_cbranch_execz .LBB327_1147
; %bb.1140:                             ;   in Loop: Header=BB327_11 Depth=1
	v_bfrev_b32_e32 v77, 1
	s_mov_b32 s22, exec_lo
	v_cmpx_ne_u16_e32 0x80, v7
	s_cbranch_execz .LBB327_1146
; %bb.1141:                             ;   in Loop: Header=BB327_11 Depth=1
	v_mov_b32_e32 v0, 0x7f
	v_mov_b32_e32 v77, 0x7c010000
	s_mov_b32 s23, exec_lo
	v_and_b32_sdwa v9, v7, v0 dst_sel:DWORD dst_unused:UNUSED_PAD src0_sel:WORD_0 src1_sel:DWORD
	v_cmpx_ne_u32_e32 0x7f, v9
	s_cbranch_execz .LBB327_1145
; %bb.1142:                             ;   in Loop: Header=BB327_11 Depth=1
	v_mov_b32_e32 v0, 7
	v_lshrrev_b32_e32 v6, 3, v9
	s_mov_b32 s24, exec_lo
	v_and_b32_sdwa v0, v7, v0 dst_sel:DWORD dst_unused:UNUSED_PAD src0_sel:WORD_0 src1_sel:DWORD
	v_cmpx_gt_u32_e32 8, v9
; %bb.1143:                             ;   in Loop: Header=BB327_11 Depth=1
	v_ffbh_u32_e32 v0, v0
	v_min_u32_e32 v0, 32, v0
	v_subrev_nc_u32_e32 v6, 28, v0
	v_lshlrev_b64 v[21:22], v6, v[7:8]
	v_sub_nc_u32_e32 v6, 29, v0
	v_and_b32_e32 v0, 7, v21
; %bb.1144:                             ;   in Loop: Header=BB327_11 Depth=1
	s_or_b32 exec_lo, exec_lo, s24
	v_mov_b32_e32 v9, 8
	v_lshl_add_u32 v6, v6, 10, 0x2000
	v_lshlrev_b32_e32 v0, 23, v0
	v_lshlrev_b32_sdwa v7, v9, v7 dst_sel:DWORD dst_unused:UNUSED_PAD src0_sel:DWORD src1_sel:WORD_0
	v_and_or_b32 v6, 0x8000, v7, v6
	v_lshl_or_b32 v77, v6, 16, v0
.LBB327_1145:                           ;   in Loop: Header=BB327_11 Depth=1
	s_or_b32 exec_lo, exec_lo, s23
.LBB327_1146:                           ;   in Loop: Header=BB327_11 Depth=1
	s_or_b32 exec_lo, exec_lo, s22
.LBB327_1147:                           ;   in Loop: Header=BB327_11 Depth=1
	s_or_b32 exec_lo, exec_lo, s21
	v_lshrrev_b32_e32 v7, 16, v31
	v_cmp_ne_u16_sdwa s5, v7, v8 src0_sel:BYTE_0 src1_sel:DWORD
	s_and_saveexec_b32 s21, s5
	s_cbranch_execz .LBB327_1155
; %bb.1148:                             ;   in Loop: Header=BB327_11 Depth=1
	v_cmp_ne_u16_sdwa s5, v7, v101 src0_sel:BYTE_0 src1_sel:DWORD
	v_mov_b32_e32 v63, 0x8000
	s_and_saveexec_b32 s22, s5
	s_cbranch_execz .LBB327_1154
; %bb.1149:                             ;   in Loop: Header=BB327_11 Depth=1
	v_bfe_u32 v9, v31, 16, 7
	v_mov_b32_e32 v63, 0x7c01
	s_mov_b32 s23, exec_lo
	v_cmpx_ne_u32_e32 0x7f, v9
	s_cbranch_execz .LBB327_1153
; %bb.1150:                             ;   in Loop: Header=BB327_11 Depth=1
	v_and_b32_e32 v0, 7, v7
	v_lshrrev_b32_e32 v6, 3, v9
	s_mov_b32 s24, exec_lo
	v_cmpx_gt_u32_e32 8, v9
; %bb.1151:                             ;   in Loop: Header=BB327_11 Depth=1
	v_ffbh_u32_e32 v0, v0
	v_min_u32_e32 v0, 32, v0
	v_subrev_nc_u32_e32 v6, 28, v0
	v_lshlrev_b64 v[21:22], v6, v[7:8]
	v_sub_nc_u32_e32 v6, 29, v0
	v_and_b32_e32 v0, 7, v21
; %bb.1152:                             ;   in Loop: Header=BB327_11 Depth=1
	s_or_b32 exec_lo, exec_lo, s24
	v_lshlrev_b32_e32 v7, 8, v7
	v_lshl_add_u32 v6, v6, 10, 0x2000
	v_lshlrev_b32_e32 v0, 7, v0
	v_and_b32_e32 v7, 0x8000, v7
	v_and_b32_e32 v6, 0xfc00, v6
	v_or3_b32 v63, v7, v6, v0
.LBB327_1153:                           ;   in Loop: Header=BB327_11 Depth=1
	s_or_b32 exec_lo, exec_lo, s23
.LBB327_1154:                           ;   in Loop: Header=BB327_11 Depth=1
	s_or_b32 exec_lo, exec_lo, s22
.LBB327_1155:                           ;   in Loop: Header=BB327_11 Depth=1
	s_or_b32 exec_lo, exec_lo, s21
	v_mov_b32_e32 v33, 0
	v_mov_b32_e32 v51, 0
	s_mov_b32 s21, exec_lo
	v_cmpx_lt_u64_e64 s[6:7], v[30:31]
	s_cbranch_execz .LBB327_1163
; %bb.1156:                             ;   in Loop: Header=BB327_11 Depth=1
	v_lshrrev_b32_e32 v7, 24, v31
	v_bfrev_b32_e32 v51, 1
	s_mov_b32 s22, exec_lo
	v_cmpx_ne_u32_e32 0x80, v7
	s_cbranch_execz .LBB327_1162
; %bb.1157:                             ;   in Loop: Header=BB327_11 Depth=1
	v_and_b32_e32 v9, 0x7f, v7
	v_mov_b32_e32 v51, 0x7c010000
	s_mov_b32 s23, exec_lo
	v_cmpx_ne_u32_e32 0x7f, v9
	s_cbranch_execz .LBB327_1161
; %bb.1158:                             ;   in Loop: Header=BB327_11 Depth=1
	v_and_b32_e32 v0, 7, v7
	v_lshrrev_b32_e32 v6, 3, v9
	s_mov_b32 s24, exec_lo
	v_cmpx_gt_u32_e32 8, v9
; %bb.1159:                             ;   in Loop: Header=BB327_11 Depth=1
	v_ffbh_u32_e32 v0, v0
	v_min_u32_e32 v0, 32, v0
	v_subrev_nc_u32_e32 v6, 28, v0
	v_lshlrev_b64 v[21:22], v6, v[7:8]
	v_sub_nc_u32_e32 v6, 29, v0
	v_and_b32_e32 v0, 7, v21
; %bb.1160:                             ;   in Loop: Header=BB327_11 Depth=1
	s_or_b32 exec_lo, exec_lo, s24
	v_lshlrev_b32_e32 v7, 8, v7
	v_lshl_add_u32 v6, v6, 10, 0x2000
	v_lshlrev_b32_e32 v0, 23, v0
	v_and_or_b32 v6, 0x8000, v7, v6
	v_lshl_or_b32 v51, v6, 16, v0
.LBB327_1161:                           ;   in Loop: Header=BB327_11 Depth=1
	s_or_b32 exec_lo, exec_lo, s23
.LBB327_1162:                           ;   in Loop: Header=BB327_11 Depth=1
	s_or_b32 exec_lo, exec_lo, s22
.LBB327_1163:                           ;   in Loop: Header=BB327_11 Depth=1
	s_or_b32 exec_lo, exec_lo, s21
	flat_load_dwordx2 v[30:31], v[28:29] offset:512
	s_waitcnt vmcnt(0) lgkmcnt(0)
	v_cmp_ne_u16_sdwa s5, v30, v8 src0_sel:BYTE_0 src1_sel:DWORD
	s_and_saveexec_b32 s21, s5
	s_cbranch_execz .LBB327_1171
; %bb.1164:                             ;   in Loop: Header=BB327_11 Depth=1
	v_cmp_ne_u16_sdwa s5, v30, v101 src0_sel:BYTE_0 src1_sel:DWORD
	v_mov_b32_e32 v33, 0x8000
	s_and_saveexec_b32 s22, s5
	s_cbranch_execz .LBB327_1170
; %bb.1165:                             ;   in Loop: Header=BB327_11 Depth=1
	v_and_b32_e32 v7, 0x7f, v30
	v_mov_b32_e32 v33, 0x7c01
	s_mov_b32 s23, exec_lo
	v_cmpx_ne_u32_e32 0x7f, v7
	s_cbranch_execz .LBB327_1169
; %bb.1166:                             ;   in Loop: Header=BB327_11 Depth=1
	v_and_b32_e32 v0, 7, v30
	v_lshrrev_b32_e32 v6, 3, v7
	s_mov_b32 s24, exec_lo
	v_cmpx_gt_u32_e32 8, v7
; %bb.1167:                             ;   in Loop: Header=BB327_11 Depth=1
	v_ffbh_u32_e32 v0, v0
	v_min_u32_e32 v0, 32, v0
	v_subrev_nc_u32_e32 v6, 28, v0
	v_lshlrev_b64 v[21:22], v6, v[30:31]
	v_sub_nc_u32_e32 v6, 29, v0
	v_and_b32_e32 v0, 7, v21
; %bb.1168:                             ;   in Loop: Header=BB327_11 Depth=1
	s_or_b32 exec_lo, exec_lo, s24
	v_lshlrev_b32_e32 v7, 8, v30
	v_lshl_add_u32 v6, v6, 10, 0x2000
	v_lshlrev_b32_e32 v0, 7, v0
	v_and_b32_e32 v7, 0x8000, v7
	v_and_b32_e32 v6, 0xfc00, v6
	v_or3_b32 v33, v7, v6, v0
.LBB327_1169:                           ;   in Loop: Header=BB327_11 Depth=1
	s_or_b32 exec_lo, exec_lo, s23
.LBB327_1170:                           ;   in Loop: Header=BB327_11 Depth=1
	s_or_b32 exec_lo, exec_lo, s22
.LBB327_1171:                           ;   in Loop: Header=BB327_11 Depth=1
	s_or_b32 exec_lo, exec_lo, s21
	v_lshrrev_b16 v7, 8, v30
	v_mov_b32_e32 v60, 0
	v_mov_b32_e32 v58, 0
	s_mov_b32 s21, exec_lo
	v_cmpx_ne_u16_e32 0, v7
	s_cbranch_execz .LBB327_1179
; %bb.1172:                             ;   in Loop: Header=BB327_11 Depth=1
	v_bfrev_b32_e32 v58, 1
	s_mov_b32 s22, exec_lo
	v_cmpx_ne_u16_e32 0x80, v7
	s_cbranch_execz .LBB327_1178
; %bb.1173:                             ;   in Loop: Header=BB327_11 Depth=1
	v_mov_b32_e32 v0, 0x7f
	v_mov_b32_e32 v58, 0x7c010000
	s_mov_b32 s23, exec_lo
	v_and_b32_sdwa v9, v7, v0 dst_sel:DWORD dst_unused:UNUSED_PAD src0_sel:WORD_0 src1_sel:DWORD
	v_cmpx_ne_u32_e32 0x7f, v9
	s_cbranch_execz .LBB327_1177
; %bb.1174:                             ;   in Loop: Header=BB327_11 Depth=1
	v_mov_b32_e32 v0, 7
	v_lshrrev_b32_e32 v6, 3, v9
	s_mov_b32 s24, exec_lo
	v_and_b32_sdwa v0, v7, v0 dst_sel:DWORD dst_unused:UNUSED_PAD src0_sel:WORD_0 src1_sel:DWORD
	v_cmpx_gt_u32_e32 8, v9
; %bb.1175:                             ;   in Loop: Header=BB327_11 Depth=1
	v_ffbh_u32_e32 v0, v0
	v_min_u32_e32 v0, 32, v0
	v_subrev_nc_u32_e32 v6, 28, v0
	v_lshlrev_b64 v[21:22], v6, v[7:8]
	v_sub_nc_u32_e32 v6, 29, v0
	v_and_b32_e32 v0, 7, v21
; %bb.1176:                             ;   in Loop: Header=BB327_11 Depth=1
	s_or_b32 exec_lo, exec_lo, s24
	v_mov_b32_e32 v9, 8
	v_lshl_add_u32 v6, v6, 10, 0x2000
	v_lshlrev_b32_e32 v0, 23, v0
	v_lshlrev_b32_sdwa v7, v9, v7 dst_sel:DWORD dst_unused:UNUSED_PAD src0_sel:DWORD src1_sel:WORD_0
	v_and_or_b32 v6, 0x8000, v7, v6
	v_lshl_or_b32 v58, v6, 16, v0
.LBB327_1177:                           ;   in Loop: Header=BB327_11 Depth=1
	s_or_b32 exec_lo, exec_lo, s23
.LBB327_1178:                           ;   in Loop: Header=BB327_11 Depth=1
	s_or_b32 exec_lo, exec_lo, s22
.LBB327_1179:                           ;   in Loop: Header=BB327_11 Depth=1
	s_or_b32 exec_lo, exec_lo, s21
	v_lshrrev_b32_e32 v7, 16, v30
	v_cmp_ne_u16_sdwa s5, v7, v8 src0_sel:BYTE_0 src1_sel:DWORD
	s_and_saveexec_b32 s21, s5
	s_cbranch_execz .LBB327_1187
; %bb.1180:                             ;   in Loop: Header=BB327_11 Depth=1
	v_cmp_ne_u16_sdwa s5, v7, v101 src0_sel:BYTE_0 src1_sel:DWORD
	v_mov_b32_e32 v60, 0x8000
	s_and_saveexec_b32 s22, s5
	s_cbranch_execz .LBB327_1186
; %bb.1181:                             ;   in Loop: Header=BB327_11 Depth=1
	v_bfe_u32 v9, v30, 16, 7
	v_mov_b32_e32 v60, 0x7c01
	s_mov_b32 s23, exec_lo
	v_cmpx_ne_u32_e32 0x7f, v9
	s_cbranch_execz .LBB327_1185
; %bb.1182:                             ;   in Loop: Header=BB327_11 Depth=1
	v_and_b32_e32 v0, 7, v7
	v_lshrrev_b32_e32 v6, 3, v9
	s_mov_b32 s24, exec_lo
	v_cmpx_gt_u32_e32 8, v9
; %bb.1183:                             ;   in Loop: Header=BB327_11 Depth=1
	v_ffbh_u32_e32 v0, v0
	v_min_u32_e32 v0, 32, v0
	v_subrev_nc_u32_e32 v6, 28, v0
	v_lshlrev_b64 v[21:22], v6, v[7:8]
	v_sub_nc_u32_e32 v6, 29, v0
	v_and_b32_e32 v0, 7, v21
; %bb.1184:                             ;   in Loop: Header=BB327_11 Depth=1
	s_or_b32 exec_lo, exec_lo, s24
	v_lshlrev_b32_e32 v7, 8, v7
	v_lshl_add_u32 v6, v6, 10, 0x2000
	v_lshlrev_b32_e32 v0, 7, v0
	v_and_b32_e32 v7, 0x8000, v7
	v_and_b32_e32 v6, 0xfc00, v6
	v_or3_b32 v60, v7, v6, v0
.LBB327_1185:                           ;   in Loop: Header=BB327_11 Depth=1
	s_or_b32 exec_lo, exec_lo, s23
.LBB327_1186:                           ;   in Loop: Header=BB327_11 Depth=1
	s_or_b32 exec_lo, exec_lo, s22
.LBB327_1187:                           ;   in Loop: Header=BB327_11 Depth=1
	s_or_b32 exec_lo, exec_lo, s21
	v_mov_b32_e32 v64, 0
	v_mov_b32_e32 v102, 0
	s_mov_b32 s21, exec_lo
	v_cmpx_lt_u32_e32 0xffffff, v30
	s_cbranch_execz .LBB327_1195
; %bb.1188:                             ;   in Loop: Header=BB327_11 Depth=1
	v_lshrrev_b32_e32 v7, 24, v30
	v_bfrev_b32_e32 v102, 1
	s_mov_b32 s22, exec_lo
	v_cmpx_ne_u32_e32 0x80, v7
	s_cbranch_execz .LBB327_1194
; %bb.1189:                             ;   in Loop: Header=BB327_11 Depth=1
	v_and_b32_e32 v9, 0x7f, v7
	v_mov_b32_e32 v102, 0x7c010000
	s_mov_b32 s23, exec_lo
	v_cmpx_ne_u32_e32 0x7f, v9
	s_cbranch_execz .LBB327_1193
; %bb.1190:                             ;   in Loop: Header=BB327_11 Depth=1
	v_and_b32_e32 v0, 7, v7
	v_lshrrev_b32_e32 v6, 3, v9
	s_mov_b32 s24, exec_lo
	v_cmpx_gt_u32_e32 8, v9
; %bb.1191:                             ;   in Loop: Header=BB327_11 Depth=1
	v_ffbh_u32_e32 v0, v0
	v_min_u32_e32 v0, 32, v0
	v_subrev_nc_u32_e32 v6, 28, v0
	v_lshlrev_b64 v[21:22], v6, v[7:8]
	v_sub_nc_u32_e32 v6, 29, v0
	v_and_b32_e32 v0, 7, v21
; %bb.1192:                             ;   in Loop: Header=BB327_11 Depth=1
	s_or_b32 exec_lo, exec_lo, s24
	v_lshlrev_b32_e32 v7, 8, v7
	v_lshl_add_u32 v6, v6, 10, 0x2000
	v_lshlrev_b32_e32 v0, 23, v0
	v_and_or_b32 v6, 0x8000, v7, v6
	v_lshl_or_b32 v102, v6, 16, v0
.LBB327_1193:                           ;   in Loop: Header=BB327_11 Depth=1
	s_or_b32 exec_lo, exec_lo, s23
.LBB327_1194:                           ;   in Loop: Header=BB327_11 Depth=1
	s_or_b32 exec_lo, exec_lo, s22
.LBB327_1195:                           ;   in Loop: Header=BB327_11 Depth=1
	s_or_b32 exec_lo, exec_lo, s21
	v_mov_b32_e32 v7, v31
	v_cmp_ne_u16_sdwa s5, v31, v8 src0_sel:BYTE_0 src1_sel:DWORD
	s_and_saveexec_b32 s21, s5
	s_cbranch_execz .LBB327_1203
; %bb.1196:                             ;   in Loop: Header=BB327_11 Depth=1
	v_cmp_ne_u16_sdwa s5, v31, v101 src0_sel:BYTE_0 src1_sel:DWORD
	v_mov_b32_e32 v64, 0x8000
	s_and_saveexec_b32 s22, s5
	s_cbranch_execz .LBB327_1202
; %bb.1197:                             ;   in Loop: Header=BB327_11 Depth=1
	v_and_b32_e32 v9, 0x7f, v31
	v_mov_b32_e32 v64, 0x7c01
	s_mov_b32 s23, exec_lo
	v_cmpx_ne_u32_e32 0x7f, v9
	s_cbranch_execz .LBB327_1201
; %bb.1198:                             ;   in Loop: Header=BB327_11 Depth=1
	v_and_b32_e32 v0, 7, v31
	v_lshrrev_b32_e32 v6, 3, v9
	s_mov_b32 s24, exec_lo
	v_cmpx_gt_u32_e32 8, v9
; %bb.1199:                             ;   in Loop: Header=BB327_11 Depth=1
	v_ffbh_u32_e32 v0, v0
	v_min_u32_e32 v0, 32, v0
	v_subrev_nc_u32_e32 v6, 28, v0
	v_lshlrev_b64 v[21:22], v6, v[7:8]
	v_sub_nc_u32_e32 v6, 29, v0
	v_and_b32_e32 v0, 7, v21
; %bb.1200:                             ;   in Loop: Header=BB327_11 Depth=1
	s_or_b32 exec_lo, exec_lo, s24
	v_lshlrev_b32_e32 v9, 8, v31
	v_lshl_add_u32 v6, v6, 10, 0x2000
	v_lshlrev_b32_e32 v0, 7, v0
	v_and_b32_e32 v9, 0x8000, v9
	v_and_b32_e32 v6, 0xfc00, v6
	v_or3_b32 v64, v9, v6, v0
.LBB327_1201:                           ;   in Loop: Header=BB327_11 Depth=1
	s_or_b32 exec_lo, exec_lo, s23
.LBB327_1202:                           ;   in Loop: Header=BB327_11 Depth=1
	s_or_b32 exec_lo, exec_lo, s22
.LBB327_1203:                           ;   in Loop: Header=BB327_11 Depth=1
	s_or_b32 exec_lo, exec_lo, s21
	v_lshrrev_b16 v7, 8, v7
	v_mov_b32_e32 v79, 0
	v_mov_b32_e32 v92, 0
	s_mov_b32 s21, exec_lo
	v_cmpx_ne_u16_e32 0, v7
	s_cbranch_execz .LBB327_1211
; %bb.1204:                             ;   in Loop: Header=BB327_11 Depth=1
	v_bfrev_b32_e32 v92, 1
	s_mov_b32 s22, exec_lo
	v_cmpx_ne_u16_e32 0x80, v7
	s_cbranch_execz .LBB327_1210
; %bb.1205:                             ;   in Loop: Header=BB327_11 Depth=1
	v_mov_b32_e32 v0, 0x7f
	v_mov_b32_e32 v92, 0x7c010000
	s_mov_b32 s23, exec_lo
	v_and_b32_sdwa v9, v7, v0 dst_sel:DWORD dst_unused:UNUSED_PAD src0_sel:WORD_0 src1_sel:DWORD
	v_cmpx_ne_u32_e32 0x7f, v9
	s_cbranch_execz .LBB327_1209
; %bb.1206:                             ;   in Loop: Header=BB327_11 Depth=1
	v_mov_b32_e32 v0, 7
	v_lshrrev_b32_e32 v6, 3, v9
	s_mov_b32 s24, exec_lo
	v_and_b32_sdwa v0, v7, v0 dst_sel:DWORD dst_unused:UNUSED_PAD src0_sel:WORD_0 src1_sel:DWORD
	v_cmpx_gt_u32_e32 8, v9
; %bb.1207:                             ;   in Loop: Header=BB327_11 Depth=1
	v_ffbh_u32_e32 v0, v0
	v_min_u32_e32 v0, 32, v0
	v_subrev_nc_u32_e32 v6, 28, v0
	v_lshlrev_b64 v[21:22], v6, v[7:8]
	v_sub_nc_u32_e32 v6, 29, v0
	v_and_b32_e32 v0, 7, v21
; %bb.1208:                             ;   in Loop: Header=BB327_11 Depth=1
	s_or_b32 exec_lo, exec_lo, s24
	v_mov_b32_e32 v9, 8
	v_lshl_add_u32 v6, v6, 10, 0x2000
	v_lshlrev_b32_e32 v0, 23, v0
	v_lshlrev_b32_sdwa v7, v9, v7 dst_sel:DWORD dst_unused:UNUSED_PAD src0_sel:DWORD src1_sel:WORD_0
	v_and_or_b32 v6, 0x8000, v7, v6
	v_lshl_or_b32 v92, v6, 16, v0
.LBB327_1209:                           ;   in Loop: Header=BB327_11 Depth=1
	s_or_b32 exec_lo, exec_lo, s23
.LBB327_1210:                           ;   in Loop: Header=BB327_11 Depth=1
	s_or_b32 exec_lo, exec_lo, s22
.LBB327_1211:                           ;   in Loop: Header=BB327_11 Depth=1
	s_or_b32 exec_lo, exec_lo, s21
	v_lshrrev_b32_e32 v7, 16, v31
	v_cmp_ne_u16_sdwa s5, v7, v8 src0_sel:BYTE_0 src1_sel:DWORD
	s_and_saveexec_b32 s21, s5
	s_cbranch_execz .LBB327_1219
; %bb.1212:                             ;   in Loop: Header=BB327_11 Depth=1
	v_cmp_ne_u16_sdwa s5, v7, v101 src0_sel:BYTE_0 src1_sel:DWORD
	v_mov_b32_e32 v79, 0x8000
	s_and_saveexec_b32 s22, s5
	s_cbranch_execz .LBB327_1218
; %bb.1213:                             ;   in Loop: Header=BB327_11 Depth=1
	v_bfe_u32 v9, v31, 16, 7
	v_mov_b32_e32 v79, 0x7c01
	s_mov_b32 s23, exec_lo
	v_cmpx_ne_u32_e32 0x7f, v9
	s_cbranch_execz .LBB327_1217
; %bb.1214:                             ;   in Loop: Header=BB327_11 Depth=1
	v_and_b32_e32 v0, 7, v7
	v_lshrrev_b32_e32 v6, 3, v9
	s_mov_b32 s24, exec_lo
	v_cmpx_gt_u32_e32 8, v9
; %bb.1215:                             ;   in Loop: Header=BB327_11 Depth=1
	v_ffbh_u32_e32 v0, v0
	v_min_u32_e32 v0, 32, v0
	v_subrev_nc_u32_e32 v6, 28, v0
	v_lshlrev_b64 v[21:22], v6, v[7:8]
	v_sub_nc_u32_e32 v6, 29, v0
	v_and_b32_e32 v0, 7, v21
; %bb.1216:                             ;   in Loop: Header=BB327_11 Depth=1
	s_or_b32 exec_lo, exec_lo, s24
	v_lshlrev_b32_e32 v7, 8, v7
	v_lshl_add_u32 v6, v6, 10, 0x2000
	v_lshlrev_b32_e32 v0, 7, v0
	v_and_b32_e32 v7, 0x8000, v7
	v_and_b32_e32 v6, 0xfc00, v6
	v_or3_b32 v79, v7, v6, v0
.LBB327_1217:                           ;   in Loop: Header=BB327_11 Depth=1
	s_or_b32 exec_lo, exec_lo, s23
.LBB327_1218:                           ;   in Loop: Header=BB327_11 Depth=1
	s_or_b32 exec_lo, exec_lo, s22
.LBB327_1219:                           ;   in Loop: Header=BB327_11 Depth=1
	s_or_b32 exec_lo, exec_lo, s21
	v_mov_b32_e32 v50, 0
	v_mov_b32_e32 v6, 0
	s_mov_b32 s21, exec_lo
	v_cmpx_lt_u64_e64 s[6:7], v[30:31]
	s_cbranch_execz .LBB327_1227
; %bb.1220:                             ;   in Loop: Header=BB327_11 Depth=1
	v_lshrrev_b32_e32 v7, 24, v31
	v_bfrev_b32_e32 v6, 1
	s_mov_b32 s22, exec_lo
	v_cmpx_ne_u32_e32 0x80, v7
	s_cbranch_execz .LBB327_1226
; %bb.1221:                             ;   in Loop: Header=BB327_11 Depth=1
	v_and_b32_e32 v9, 0x7f, v7
	v_mov_b32_e32 v6, 0x7c010000
	s_mov_b32 s23, exec_lo
	v_cmpx_ne_u32_e32 0x7f, v9
	s_cbranch_execz .LBB327_1225
; %bb.1222:                             ;   in Loop: Header=BB327_11 Depth=1
	v_and_b32_e32 v0, 7, v7
	v_lshrrev_b32_e32 v6, 3, v9
	s_mov_b32 s24, exec_lo
	v_cmpx_gt_u32_e32 8, v9
; %bb.1223:                             ;   in Loop: Header=BB327_11 Depth=1
	v_ffbh_u32_e32 v0, v0
	v_min_u32_e32 v0, 32, v0
	v_subrev_nc_u32_e32 v6, 28, v0
	v_lshlrev_b64 v[21:22], v6, v[7:8]
	v_sub_nc_u32_e32 v6, 29, v0
	v_and_b32_e32 v0, 7, v21
; %bb.1224:                             ;   in Loop: Header=BB327_11 Depth=1
	s_or_b32 exec_lo, exec_lo, s24
	v_lshlrev_b32_e32 v7, 8, v7
	v_lshl_add_u32 v6, v6, 10, 0x2000
	v_lshlrev_b32_e32 v0, 23, v0
	v_and_or_b32 v6, 0x8000, v7, v6
	v_lshl_or_b32 v6, v6, 16, v0
.LBB327_1225:                           ;   in Loop: Header=BB327_11 Depth=1
	s_or_b32 exec_lo, exec_lo, s23
.LBB327_1226:                           ;   in Loop: Header=BB327_11 Depth=1
	s_or_b32 exec_lo, exec_lo, s22
.LBB327_1227:                           ;   in Loop: Header=BB327_11 Depth=1
	s_or_b32 exec_lo, exec_lo, s21
	flat_load_dwordx2 v[30:31], v[28:29] offset:520
	s_waitcnt vmcnt(0) lgkmcnt(0)
	v_cmp_ne_u16_sdwa s5, v30, v8 src0_sel:BYTE_0 src1_sel:DWORD
	s_and_saveexec_b32 s21, s5
	s_cbranch_execz .LBB327_1235
; %bb.1228:                             ;   in Loop: Header=BB327_11 Depth=1
	v_cmp_ne_u16_sdwa s5, v30, v101 src0_sel:BYTE_0 src1_sel:DWORD
	v_mov_b32_e32 v50, 0x8000
	s_and_saveexec_b32 s22, s5
	s_cbranch_execz .LBB327_1234
; %bb.1229:                             ;   in Loop: Header=BB327_11 Depth=1
	v_and_b32_e32 v9, 0x7f, v30
	v_mov_b32_e32 v50, 0x7c01
	s_mov_b32 s23, exec_lo
	v_cmpx_ne_u32_e32 0x7f, v9
	s_cbranch_execz .LBB327_1233
; %bb.1230:                             ;   in Loop: Header=BB327_11 Depth=1
	v_and_b32_e32 v0, 7, v30
	v_lshrrev_b32_e32 v7, 3, v9
	s_mov_b32 s24, exec_lo
	v_cmpx_gt_u32_e32 8, v9
; %bb.1231:                             ;   in Loop: Header=BB327_11 Depth=1
	v_ffbh_u32_e32 v0, v0
	v_min_u32_e32 v0, 32, v0
	v_subrev_nc_u32_e32 v7, 28, v0
	v_lshlrev_b64 v[21:22], v7, v[30:31]
	v_sub_nc_u32_e32 v7, 29, v0
	v_and_b32_e32 v0, 7, v21
; %bb.1232:                             ;   in Loop: Header=BB327_11 Depth=1
	s_or_b32 exec_lo, exec_lo, s24
	v_lshlrev_b32_e32 v9, 8, v30
	v_lshl_add_u32 v7, v7, 10, 0x2000
	v_lshlrev_b32_e32 v0, 7, v0
	v_and_b32_e32 v9, 0x8000, v9
	v_and_b32_e32 v7, 0xfc00, v7
	v_or3_b32 v50, v9, v7, v0
.LBB327_1233:                           ;   in Loop: Header=BB327_11 Depth=1
	s_or_b32 exec_lo, exec_lo, s23
.LBB327_1234:                           ;   in Loop: Header=BB327_11 Depth=1
	s_or_b32 exec_lo, exec_lo, s22
.LBB327_1235:                           ;   in Loop: Header=BB327_11 Depth=1
	s_or_b32 exec_lo, exec_lo, s21
	v_lshrrev_b16 v7, 8, v30
	v_mov_b32_e32 v113, 0
	v_mov_b32_e32 v112, 0
	s_mov_b32 s21, exec_lo
	v_cmpx_ne_u16_e32 0, v7
	s_cbranch_execz .LBB327_1243
; %bb.1236:                             ;   in Loop: Header=BB327_11 Depth=1
	v_bfrev_b32_e32 v112, 1
	s_mov_b32 s22, exec_lo
	v_cmpx_ne_u16_e32 0x80, v7
	s_cbranch_execz .LBB327_1242
; %bb.1237:                             ;   in Loop: Header=BB327_11 Depth=1
	v_mov_b32_e32 v0, 0x7f
	v_mov_b32_e32 v112, 0x7c010000
	s_mov_b32 s23, exec_lo
	v_and_b32_sdwa v15, v7, v0 dst_sel:DWORD dst_unused:UNUSED_PAD src0_sel:WORD_0 src1_sel:DWORD
	v_cmpx_ne_u32_e32 0x7f, v15
	s_cbranch_execz .LBB327_1241
; %bb.1238:                             ;   in Loop: Header=BB327_11 Depth=1
	v_mov_b32_e32 v0, 7
	v_lshrrev_b32_e32 v9, 3, v15
	s_mov_b32 s24, exec_lo
	v_and_b32_sdwa v0, v7, v0 dst_sel:DWORD dst_unused:UNUSED_PAD src0_sel:WORD_0 src1_sel:DWORD
	v_cmpx_gt_u32_e32 8, v15
; %bb.1239:                             ;   in Loop: Header=BB327_11 Depth=1
	v_ffbh_u32_e32 v0, v0
	v_min_u32_e32 v0, 32, v0
	v_subrev_nc_u32_e32 v9, 28, v0
	v_lshlrev_b64 v[21:22], v9, v[7:8]
	v_sub_nc_u32_e32 v9, 29, v0
	v_and_b32_e32 v0, 7, v21
; %bb.1240:                             ;   in Loop: Header=BB327_11 Depth=1
	s_or_b32 exec_lo, exec_lo, s24
	v_mov_b32_e32 v15, 8
	v_lshl_add_u32 v9, v9, 10, 0x2000
	v_lshlrev_b32_e32 v0, 23, v0
	v_lshlrev_b32_sdwa v7, v15, v7 dst_sel:DWORD dst_unused:UNUSED_PAD src0_sel:DWORD src1_sel:WORD_0
	v_and_or_b32 v7, 0x8000, v7, v9
	v_lshl_or_b32 v112, v7, 16, v0
.LBB327_1241:                           ;   in Loop: Header=BB327_11 Depth=1
	s_or_b32 exec_lo, exec_lo, s23
.LBB327_1242:                           ;   in Loop: Header=BB327_11 Depth=1
	s_or_b32 exec_lo, exec_lo, s22
.LBB327_1243:                           ;   in Loop: Header=BB327_11 Depth=1
	s_or_b32 exec_lo, exec_lo, s21
	v_lshrrev_b32_e32 v7, 16, v30
	v_cmp_ne_u16_sdwa s5, v7, v8 src0_sel:BYTE_0 src1_sel:DWORD
	s_and_saveexec_b32 s21, s5
	s_cbranch_execz .LBB327_1251
; %bb.1244:                             ;   in Loop: Header=BB327_11 Depth=1
	v_cmp_ne_u16_sdwa s5, v7, v101 src0_sel:BYTE_0 src1_sel:DWORD
	v_mov_b32_e32 v113, 0x8000
	s_and_saveexec_b32 s22, s5
	s_cbranch_execz .LBB327_1250
; %bb.1245:                             ;   in Loop: Header=BB327_11 Depth=1
	v_bfe_u32 v15, v30, 16, 7
	v_mov_b32_e32 v113, 0x7c01
	s_mov_b32 s23, exec_lo
	v_cmpx_ne_u32_e32 0x7f, v15
	s_cbranch_execz .LBB327_1249
; %bb.1246:                             ;   in Loop: Header=BB327_11 Depth=1
	v_and_b32_e32 v0, 7, v7
	v_lshrrev_b32_e32 v9, 3, v15
	s_mov_b32 s24, exec_lo
	v_cmpx_gt_u32_e32 8, v15
; %bb.1247:                             ;   in Loop: Header=BB327_11 Depth=1
	v_ffbh_u32_e32 v0, v0
	v_min_u32_e32 v0, 32, v0
	v_subrev_nc_u32_e32 v9, 28, v0
	v_lshlrev_b64 v[21:22], v9, v[7:8]
	v_sub_nc_u32_e32 v9, 29, v0
	v_and_b32_e32 v0, 7, v21
; %bb.1248:                             ;   in Loop: Header=BB327_11 Depth=1
	s_or_b32 exec_lo, exec_lo, s24
	v_lshlrev_b32_e32 v7, 8, v7
	v_lshl_add_u32 v9, v9, 10, 0x2000
	v_lshlrev_b32_e32 v0, 7, v0
	v_and_b32_e32 v7, 0x8000, v7
	v_and_b32_e32 v9, 0xfc00, v9
	v_or3_b32 v113, v7, v9, v0
.LBB327_1249:                           ;   in Loop: Header=BB327_11 Depth=1
	s_or_b32 exec_lo, exec_lo, s23
.LBB327_1250:                           ;   in Loop: Header=BB327_11 Depth=1
	s_or_b32 exec_lo, exec_lo, s22
.LBB327_1251:                           ;   in Loop: Header=BB327_11 Depth=1
	s_or_b32 exec_lo, exec_lo, s21
	v_mov_b32_e32 v9, 0
	v_mov_b32_e32 v115, 0
	s_mov_b32 s21, exec_lo
	v_cmpx_lt_u32_e32 0xffffff, v30
	s_cbranch_execz .LBB327_1259
; %bb.1252:                             ;   in Loop: Header=BB327_11 Depth=1
	v_lshrrev_b32_e32 v7, 24, v30
	v_bfrev_b32_e32 v115, 1
	s_mov_b32 s22, exec_lo
	v_cmpx_ne_u32_e32 0x80, v7
	s_cbranch_execz .LBB327_1258
; %bb.1253:                             ;   in Loop: Header=BB327_11 Depth=1
	v_and_b32_e32 v17, 0x7f, v7
	v_mov_b32_e32 v115, 0x7c010000
	s_mov_b32 s23, exec_lo
	v_cmpx_ne_u32_e32 0x7f, v17
	s_cbranch_execz .LBB327_1257
; %bb.1254:                             ;   in Loop: Header=BB327_11 Depth=1
	v_and_b32_e32 v0, 7, v7
	v_lshrrev_b32_e32 v15, 3, v17
	s_mov_b32 s24, exec_lo
	v_cmpx_gt_u32_e32 8, v17
; %bb.1255:                             ;   in Loop: Header=BB327_11 Depth=1
	v_ffbh_u32_e32 v0, v0
	v_min_u32_e32 v0, 32, v0
	v_subrev_nc_u32_e32 v15, 28, v0
	v_lshlrev_b64 v[21:22], v15, v[7:8]
	v_sub_nc_u32_e32 v15, 29, v0
	v_and_b32_e32 v0, 7, v21
; %bb.1256:                             ;   in Loop: Header=BB327_11 Depth=1
	s_or_b32 exec_lo, exec_lo, s24
	v_lshlrev_b32_e32 v7, 8, v7
	v_lshl_add_u32 v15, v15, 10, 0x2000
	v_lshlrev_b32_e32 v0, 23, v0
	v_and_or_b32 v7, 0x8000, v7, v15
	v_lshl_or_b32 v115, v7, 16, v0
.LBB327_1257:                           ;   in Loop: Header=BB327_11 Depth=1
	s_or_b32 exec_lo, exec_lo, s23
.LBB327_1258:                           ;   in Loop: Header=BB327_11 Depth=1
	s_or_b32 exec_lo, exec_lo, s22
.LBB327_1259:                           ;   in Loop: Header=BB327_11 Depth=1
	s_or_b32 exec_lo, exec_lo, s21
	v_mov_b32_e32 v7, v31
	v_cmp_ne_u16_sdwa s5, v31, v8 src0_sel:BYTE_0 src1_sel:DWORD
	s_and_saveexec_b32 s21, s5
	s_cbranch_execz .LBB327_1267
; %bb.1260:                             ;   in Loop: Header=BB327_11 Depth=1
	v_cmp_ne_u16_sdwa s5, v31, v101 src0_sel:BYTE_0 src1_sel:DWORD
	v_mov_b32_e32 v9, 0x8000
	s_and_saveexec_b32 s22, s5
	s_cbranch_execz .LBB327_1266
; %bb.1261:                             ;   in Loop: Header=BB327_11 Depth=1
	v_and_b32_e32 v15, 0x7f, v31
	v_mov_b32_e32 v9, 0x7c01
	s_mov_b32 s23, exec_lo
	v_cmpx_ne_u32_e32 0x7f, v15
	s_cbranch_execz .LBB327_1265
; %bb.1262:                             ;   in Loop: Header=BB327_11 Depth=1
	v_and_b32_e32 v0, 7, v31
	v_lshrrev_b32_e32 v9, 3, v15
	s_mov_b32 s24, exec_lo
	v_cmpx_gt_u32_e32 8, v15
; %bb.1263:                             ;   in Loop: Header=BB327_11 Depth=1
	v_ffbh_u32_e32 v0, v0
	v_min_u32_e32 v0, 32, v0
	v_subrev_nc_u32_e32 v9, 28, v0
	v_lshlrev_b64 v[21:22], v9, v[7:8]
	v_sub_nc_u32_e32 v9, 29, v0
	v_and_b32_e32 v0, 7, v21
; %bb.1264:                             ;   in Loop: Header=BB327_11 Depth=1
	s_or_b32 exec_lo, exec_lo, s24
	v_lshlrev_b32_e32 v15, 8, v31
	v_lshl_add_u32 v9, v9, 10, 0x2000
	v_lshlrev_b32_e32 v0, 7, v0
	v_and_b32_e32 v15, 0x8000, v15
	v_and_b32_e32 v9, 0xfc00, v9
	v_or3_b32 v9, v15, v9, v0
.LBB327_1265:                           ;   in Loop: Header=BB327_11 Depth=1
	s_or_b32 exec_lo, exec_lo, s23
.LBB327_1266:                           ;   in Loop: Header=BB327_11 Depth=1
	s_or_b32 exec_lo, exec_lo, s22
.LBB327_1267:                           ;   in Loop: Header=BB327_11 Depth=1
	s_or_b32 exec_lo, exec_lo, s21
	v_lshrrev_b16 v7, 8, v7
	v_mov_b32_e32 v118, 0
	v_mov_b32_e32 v40, 0
	s_mov_b32 s21, exec_lo
	v_cmpx_ne_u16_e32 0, v7
	s_cbranch_execz .LBB327_1275
; %bb.1268:                             ;   in Loop: Header=BB327_11 Depth=1
	v_bfrev_b32_e32 v40, 1
	s_mov_b32 s22, exec_lo
	v_cmpx_ne_u16_e32 0x80, v7
	s_cbranch_execz .LBB327_1274
; %bb.1269:                             ;   in Loop: Header=BB327_11 Depth=1
	v_mov_b32_e32 v0, 0x7f
	v_mov_b32_e32 v40, 0x7c010000
	s_mov_b32 s23, exec_lo
	v_and_b32_sdwa v17, v7, v0 dst_sel:DWORD dst_unused:UNUSED_PAD src0_sel:WORD_0 src1_sel:DWORD
	v_cmpx_ne_u32_e32 0x7f, v17
	s_cbranch_execz .LBB327_1273
; %bb.1270:                             ;   in Loop: Header=BB327_11 Depth=1
	v_mov_b32_e32 v0, 7
	v_lshrrev_b32_e32 v15, 3, v17
	s_mov_b32 s24, exec_lo
	v_and_b32_sdwa v0, v7, v0 dst_sel:DWORD dst_unused:UNUSED_PAD src0_sel:WORD_0 src1_sel:DWORD
	v_cmpx_gt_u32_e32 8, v17
; %bb.1271:                             ;   in Loop: Header=BB327_11 Depth=1
	v_ffbh_u32_e32 v0, v0
	v_min_u32_e32 v0, 32, v0
	v_subrev_nc_u32_e32 v15, 28, v0
	v_lshlrev_b64 v[21:22], v15, v[7:8]
	v_sub_nc_u32_e32 v15, 29, v0
	v_and_b32_e32 v0, 7, v21
; %bb.1272:                             ;   in Loop: Header=BB327_11 Depth=1
	s_or_b32 exec_lo, exec_lo, s24
	v_mov_b32_e32 v17, 8
	v_lshl_add_u32 v15, v15, 10, 0x2000
	v_lshlrev_b32_e32 v0, 23, v0
	v_lshlrev_b32_sdwa v7, v17, v7 dst_sel:DWORD dst_unused:UNUSED_PAD src0_sel:DWORD src1_sel:WORD_0
	v_and_or_b32 v7, 0x8000, v7, v15
	v_lshl_or_b32 v40, v7, 16, v0
.LBB327_1273:                           ;   in Loop: Header=BB327_11 Depth=1
	s_or_b32 exec_lo, exec_lo, s23
.LBB327_1274:                           ;   in Loop: Header=BB327_11 Depth=1
	s_or_b32 exec_lo, exec_lo, s22
.LBB327_1275:                           ;   in Loop: Header=BB327_11 Depth=1
	s_or_b32 exec_lo, exec_lo, s21
	v_lshrrev_b32_e32 v7, 16, v31
	v_cmp_ne_u16_sdwa s5, v7, v8 src0_sel:BYTE_0 src1_sel:DWORD
	s_and_saveexec_b32 s21, s5
	s_cbranch_execz .LBB327_1283
; %bb.1276:                             ;   in Loop: Header=BB327_11 Depth=1
	v_cmp_ne_u16_sdwa s5, v7, v101 src0_sel:BYTE_0 src1_sel:DWORD
	v_mov_b32_e32 v118, 0x8000
	s_and_saveexec_b32 s22, s5
	s_cbranch_execz .LBB327_1282
; %bb.1277:                             ;   in Loop: Header=BB327_11 Depth=1
	v_bfe_u32 v17, v31, 16, 7
	v_mov_b32_e32 v118, 0x7c01
	s_mov_b32 s23, exec_lo
	v_cmpx_ne_u32_e32 0x7f, v17
	s_cbranch_execz .LBB327_1281
; %bb.1278:                             ;   in Loop: Header=BB327_11 Depth=1
	v_and_b32_e32 v0, 7, v7
	v_lshrrev_b32_e32 v15, 3, v17
	s_mov_b32 s24, exec_lo
	v_cmpx_gt_u32_e32 8, v17
; %bb.1279:                             ;   in Loop: Header=BB327_11 Depth=1
	v_ffbh_u32_e32 v0, v0
	v_min_u32_e32 v0, 32, v0
	v_subrev_nc_u32_e32 v15, 28, v0
	v_lshlrev_b64 v[21:22], v15, v[7:8]
	v_sub_nc_u32_e32 v15, 29, v0
	v_and_b32_e32 v0, 7, v21
; %bb.1280:                             ;   in Loop: Header=BB327_11 Depth=1
	s_or_b32 exec_lo, exec_lo, s24
	v_lshlrev_b32_e32 v7, 8, v7
	v_lshl_add_u32 v15, v15, 10, 0x2000
	v_lshlrev_b32_e32 v0, 7, v0
	v_and_b32_e32 v7, 0x8000, v7
	v_and_b32_e32 v15, 0xfc00, v15
	v_or3_b32 v118, v7, v15, v0
.LBB327_1281:                           ;   in Loop: Header=BB327_11 Depth=1
	s_or_b32 exec_lo, exec_lo, s23
.LBB327_1282:                           ;   in Loop: Header=BB327_11 Depth=1
	s_or_b32 exec_lo, exec_lo, s22
.LBB327_1283:                           ;   in Loop: Header=BB327_11 Depth=1
	s_or_b32 exec_lo, exec_lo, s21
	v_mov_b32_e32 v93, 0
	v_mov_b32_e32 v74, 0
	s_mov_b32 s21, exec_lo
	v_cmpx_lt_u64_e64 s[6:7], v[30:31]
	s_cbranch_execz .LBB327_1291
; %bb.1284:                             ;   in Loop: Header=BB327_11 Depth=1
	v_lshrrev_b32_e32 v7, 24, v31
	v_bfrev_b32_e32 v74, 1
	s_mov_b32 s22, exec_lo
	v_cmpx_ne_u32_e32 0x80, v7
	s_cbranch_execz .LBB327_1290
; %bb.1285:                             ;   in Loop: Header=BB327_11 Depth=1
	v_and_b32_e32 v17, 0x7f, v7
	v_mov_b32_e32 v74, 0x7c010000
	s_mov_b32 s23, exec_lo
	v_cmpx_ne_u32_e32 0x7f, v17
	s_cbranch_execz .LBB327_1289
; %bb.1286:                             ;   in Loop: Header=BB327_11 Depth=1
	v_and_b32_e32 v0, 7, v7
	v_lshrrev_b32_e32 v15, 3, v17
	s_mov_b32 s24, exec_lo
	v_cmpx_gt_u32_e32 8, v17
; %bb.1287:                             ;   in Loop: Header=BB327_11 Depth=1
	v_ffbh_u32_e32 v0, v0
	v_min_u32_e32 v0, 32, v0
	v_subrev_nc_u32_e32 v15, 28, v0
	v_lshlrev_b64 v[21:22], v15, v[7:8]
	v_sub_nc_u32_e32 v15, 29, v0
	v_and_b32_e32 v0, 7, v21
; %bb.1288:                             ;   in Loop: Header=BB327_11 Depth=1
	s_or_b32 exec_lo, exec_lo, s24
	v_lshlrev_b32_e32 v7, 8, v7
	v_lshl_add_u32 v15, v15, 10, 0x2000
	v_lshlrev_b32_e32 v0, 23, v0
	v_and_or_b32 v7, 0x8000, v7, v15
	v_lshl_or_b32 v74, v7, 16, v0
.LBB327_1289:                           ;   in Loop: Header=BB327_11 Depth=1
	s_or_b32 exec_lo, exec_lo, s23
.LBB327_1290:                           ;   in Loop: Header=BB327_11 Depth=1
	s_or_b32 exec_lo, exec_lo, s22
.LBB327_1291:                           ;   in Loop: Header=BB327_11 Depth=1
	s_or_b32 exec_lo, exec_lo, s21
	flat_load_dwordx2 v[30:31], v[28:29] offset:1024
	s_waitcnt vmcnt(0) lgkmcnt(0)
	v_cmp_ne_u16_sdwa s5, v30, v8 src0_sel:BYTE_0 src1_sel:DWORD
	s_and_saveexec_b32 s21, s5
	s_cbranch_execz .LBB327_1299
; %bb.1292:                             ;   in Loop: Header=BB327_11 Depth=1
	v_cmp_ne_u16_sdwa s5, v30, v101 src0_sel:BYTE_0 src1_sel:DWORD
	v_mov_b32_e32 v93, 0x8000
	s_and_saveexec_b32 s22, s5
	s_cbranch_execz .LBB327_1298
; %bb.1293:                             ;   in Loop: Header=BB327_11 Depth=1
	v_and_b32_e32 v15, 0x7f, v30
	v_mov_b32_e32 v93, 0x7c01
	s_mov_b32 s23, exec_lo
	v_cmpx_ne_u32_e32 0x7f, v15
	s_cbranch_execz .LBB327_1297
; %bb.1294:                             ;   in Loop: Header=BB327_11 Depth=1
	v_and_b32_e32 v0, 7, v30
	v_lshrrev_b32_e32 v7, 3, v15
	s_mov_b32 s24, exec_lo
	v_cmpx_gt_u32_e32 8, v15
; %bb.1295:                             ;   in Loop: Header=BB327_11 Depth=1
	v_ffbh_u32_e32 v0, v0
	v_min_u32_e32 v0, 32, v0
	v_subrev_nc_u32_e32 v7, 28, v0
	v_lshlrev_b64 v[21:22], v7, v[30:31]
	v_sub_nc_u32_e32 v7, 29, v0
	v_and_b32_e32 v0, 7, v21
; %bb.1296:                             ;   in Loop: Header=BB327_11 Depth=1
	s_or_b32 exec_lo, exec_lo, s24
	v_lshlrev_b32_e32 v15, 8, v30
	v_lshl_add_u32 v7, v7, 10, 0x2000
	v_lshlrev_b32_e32 v0, 7, v0
	v_and_b32_e32 v15, 0x8000, v15
	v_and_b32_e32 v7, 0xfc00, v7
	v_or3_b32 v93, v15, v7, v0
.LBB327_1297:                           ;   in Loop: Header=BB327_11 Depth=1
	s_or_b32 exec_lo, exec_lo, s23
.LBB327_1298:                           ;   in Loop: Header=BB327_11 Depth=1
	s_or_b32 exec_lo, exec_lo, s22
.LBB327_1299:                           ;   in Loop: Header=BB327_11 Depth=1
	s_or_b32 exec_lo, exec_lo, s21
	v_lshrrev_b16 v7, 8, v30
	v_mov_b32_e32 v124, 0
	v_mov_b32_e32 v123, 0
	s_mov_b32 s21, exec_lo
	v_cmpx_ne_u16_e32 0, v7
	s_cbranch_execz .LBB327_1307
; %bb.1300:                             ;   in Loop: Header=BB327_11 Depth=1
	v_bfrev_b32_e32 v123, 1
	s_mov_b32 s22, exec_lo
	v_cmpx_ne_u16_e32 0x80, v7
	s_cbranch_execz .LBB327_1306
; %bb.1301:                             ;   in Loop: Header=BB327_11 Depth=1
	v_mov_b32_e32 v0, 0x7f
	v_mov_b32_e32 v123, 0x7c010000
	s_mov_b32 s23, exec_lo
	v_and_b32_sdwa v17, v7, v0 dst_sel:DWORD dst_unused:UNUSED_PAD src0_sel:WORD_0 src1_sel:DWORD
	v_cmpx_ne_u32_e32 0x7f, v17
	s_cbranch_execz .LBB327_1305
; %bb.1302:                             ;   in Loop: Header=BB327_11 Depth=1
	v_mov_b32_e32 v0, 7
	v_lshrrev_b32_e32 v15, 3, v17
	s_mov_b32 s24, exec_lo
	v_and_b32_sdwa v0, v7, v0 dst_sel:DWORD dst_unused:UNUSED_PAD src0_sel:WORD_0 src1_sel:DWORD
	v_cmpx_gt_u32_e32 8, v17
; %bb.1303:                             ;   in Loop: Header=BB327_11 Depth=1
	v_ffbh_u32_e32 v0, v0
	v_min_u32_e32 v0, 32, v0
	v_subrev_nc_u32_e32 v15, 28, v0
	v_lshlrev_b64 v[21:22], v15, v[7:8]
	v_sub_nc_u32_e32 v15, 29, v0
	v_and_b32_e32 v0, 7, v21
; %bb.1304:                             ;   in Loop: Header=BB327_11 Depth=1
	s_or_b32 exec_lo, exec_lo, s24
	v_mov_b32_e32 v17, 8
	v_lshl_add_u32 v15, v15, 10, 0x2000
	v_lshlrev_b32_e32 v0, 23, v0
	v_lshlrev_b32_sdwa v7, v17, v7 dst_sel:DWORD dst_unused:UNUSED_PAD src0_sel:DWORD src1_sel:WORD_0
	v_and_or_b32 v7, 0x8000, v7, v15
	v_lshl_or_b32 v123, v7, 16, v0
.LBB327_1305:                           ;   in Loop: Header=BB327_11 Depth=1
	s_or_b32 exec_lo, exec_lo, s23
.LBB327_1306:                           ;   in Loop: Header=BB327_11 Depth=1
	s_or_b32 exec_lo, exec_lo, s22
.LBB327_1307:                           ;   in Loop: Header=BB327_11 Depth=1
	s_or_b32 exec_lo, exec_lo, s21
	v_lshrrev_b32_e32 v7, 16, v30
	v_cmp_ne_u16_sdwa s5, v7, v8 src0_sel:BYTE_0 src1_sel:DWORD
	s_and_saveexec_b32 s21, s5
	s_cbranch_execz .LBB327_1315
; %bb.1308:                             ;   in Loop: Header=BB327_11 Depth=1
	v_cmp_ne_u16_sdwa s5, v7, v101 src0_sel:BYTE_0 src1_sel:DWORD
	v_mov_b32_e32 v124, 0x8000
	s_and_saveexec_b32 s22, s5
	s_cbranch_execz .LBB327_1314
; %bb.1309:                             ;   in Loop: Header=BB327_11 Depth=1
	v_bfe_u32 v17, v30, 16, 7
	v_mov_b32_e32 v124, 0x7c01
	s_mov_b32 s23, exec_lo
	v_cmpx_ne_u32_e32 0x7f, v17
	s_cbranch_execz .LBB327_1313
; %bb.1310:                             ;   in Loop: Header=BB327_11 Depth=1
	v_and_b32_e32 v0, 7, v7
	v_lshrrev_b32_e32 v15, 3, v17
	s_mov_b32 s24, exec_lo
	v_cmpx_gt_u32_e32 8, v17
; %bb.1311:                             ;   in Loop: Header=BB327_11 Depth=1
	v_ffbh_u32_e32 v0, v0
	v_min_u32_e32 v0, 32, v0
	v_subrev_nc_u32_e32 v15, 28, v0
	v_lshlrev_b64 v[21:22], v15, v[7:8]
	v_sub_nc_u32_e32 v15, 29, v0
	v_and_b32_e32 v0, 7, v21
; %bb.1312:                             ;   in Loop: Header=BB327_11 Depth=1
	s_or_b32 exec_lo, exec_lo, s24
	v_lshlrev_b32_e32 v7, 8, v7
	v_lshl_add_u32 v15, v15, 10, 0x2000
	v_lshlrev_b32_e32 v0, 7, v0
	v_and_b32_e32 v7, 0x8000, v7
	v_and_b32_e32 v15, 0xfc00, v15
	v_or3_b32 v124, v7, v15, v0
.LBB327_1313:                           ;   in Loop: Header=BB327_11 Depth=1
	s_or_b32 exec_lo, exec_lo, s23
.LBB327_1314:                           ;   in Loop: Header=BB327_11 Depth=1
	s_or_b32 exec_lo, exec_lo, s22
.LBB327_1315:                           ;   in Loop: Header=BB327_11 Depth=1
	s_or_b32 exec_lo, exec_lo, s21
	v_mov_b32_e32 v86, 0
	v_mov_b32_e32 v100, 0
	s_mov_b32 s21, exec_lo
	v_cmpx_lt_u32_e32 0xffffff, v30
	s_cbranch_execz .LBB327_1323
; %bb.1316:                             ;   in Loop: Header=BB327_11 Depth=1
	v_lshrrev_b32_e32 v7, 24, v30
	v_bfrev_b32_e32 v100, 1
	s_mov_b32 s22, exec_lo
	v_cmpx_ne_u32_e32 0x80, v7
	s_cbranch_execz .LBB327_1322
; %bb.1317:                             ;   in Loop: Header=BB327_11 Depth=1
	v_and_b32_e32 v17, 0x7f, v7
	v_mov_b32_e32 v100, 0x7c010000
	s_mov_b32 s23, exec_lo
	v_cmpx_ne_u32_e32 0x7f, v17
	s_cbranch_execz .LBB327_1321
; %bb.1318:                             ;   in Loop: Header=BB327_11 Depth=1
	v_and_b32_e32 v0, 7, v7
	v_lshrrev_b32_e32 v15, 3, v17
	s_mov_b32 s24, exec_lo
	v_cmpx_gt_u32_e32 8, v17
; %bb.1319:                             ;   in Loop: Header=BB327_11 Depth=1
	v_ffbh_u32_e32 v0, v0
	v_min_u32_e32 v0, 32, v0
	v_subrev_nc_u32_e32 v15, 28, v0
	v_lshlrev_b64 v[21:22], v15, v[7:8]
	v_sub_nc_u32_e32 v15, 29, v0
	v_and_b32_e32 v0, 7, v21
; %bb.1320:                             ;   in Loop: Header=BB327_11 Depth=1
	s_or_b32 exec_lo, exec_lo, s24
	v_lshlrev_b32_e32 v7, 8, v7
	v_lshl_add_u32 v15, v15, 10, 0x2000
	v_lshlrev_b32_e32 v0, 23, v0
	v_and_or_b32 v7, 0x8000, v7, v15
	v_lshl_or_b32 v100, v7, 16, v0
.LBB327_1321:                           ;   in Loop: Header=BB327_11 Depth=1
	s_or_b32 exec_lo, exec_lo, s23
.LBB327_1322:                           ;   in Loop: Header=BB327_11 Depth=1
	s_or_b32 exec_lo, exec_lo, s22
.LBB327_1323:                           ;   in Loop: Header=BB327_11 Depth=1
	s_or_b32 exec_lo, exec_lo, s21
	v_mov_b32_e32 v7, v31
	v_cmp_ne_u16_sdwa s5, v31, v8 src0_sel:BYTE_0 src1_sel:DWORD
	s_and_saveexec_b32 s21, s5
	s_cbranch_execz .LBB327_1331
; %bb.1324:                             ;   in Loop: Header=BB327_11 Depth=1
	v_cmp_ne_u16_sdwa s5, v31, v101 src0_sel:BYTE_0 src1_sel:DWORD
	v_mov_b32_e32 v86, 0x8000
	s_and_saveexec_b32 s22, s5
	s_cbranch_execz .LBB327_1330
; %bb.1325:                             ;   in Loop: Header=BB327_11 Depth=1
	v_and_b32_e32 v17, 0x7f, v31
	v_mov_b32_e32 v86, 0x7c01
	s_mov_b32 s23, exec_lo
	v_cmpx_ne_u32_e32 0x7f, v17
	s_cbranch_execz .LBB327_1329
; %bb.1326:                             ;   in Loop: Header=BB327_11 Depth=1
	v_and_b32_e32 v0, 7, v31
	v_lshrrev_b32_e32 v15, 3, v17
	s_mov_b32 s24, exec_lo
	v_cmpx_gt_u32_e32 8, v17
; %bb.1327:                             ;   in Loop: Header=BB327_11 Depth=1
	v_ffbh_u32_e32 v0, v0
	v_min_u32_e32 v0, 32, v0
	v_subrev_nc_u32_e32 v15, 28, v0
	v_lshlrev_b64 v[21:22], v15, v[7:8]
	v_sub_nc_u32_e32 v15, 29, v0
	v_and_b32_e32 v0, 7, v21
; %bb.1328:                             ;   in Loop: Header=BB327_11 Depth=1
	s_or_b32 exec_lo, exec_lo, s24
	v_lshlrev_b32_e32 v17, 8, v31
	v_lshl_add_u32 v15, v15, 10, 0x2000
	v_lshlrev_b32_e32 v0, 7, v0
	v_and_b32_e32 v17, 0x8000, v17
	v_and_b32_e32 v15, 0xfc00, v15
	v_or3_b32 v86, v17, v15, v0
.LBB327_1329:                           ;   in Loop: Header=BB327_11 Depth=1
	s_or_b32 exec_lo, exec_lo, s23
.LBB327_1330:                           ;   in Loop: Header=BB327_11 Depth=1
	s_or_b32 exec_lo, exec_lo, s22
.LBB327_1331:                           ;   in Loop: Header=BB327_11 Depth=1
	s_or_b32 exec_lo, exec_lo, s21
	v_lshrrev_b16 v7, 8, v7
	v_mov_b32_e32 v107, 0
	v_mov_b32_e32 v111, 0
	s_mov_b32 s21, exec_lo
	v_cmpx_ne_u16_e32 0, v7
	s_cbranch_execz .LBB327_1339
; %bb.1332:                             ;   in Loop: Header=BB327_11 Depth=1
	v_bfrev_b32_e32 v111, 1
	s_mov_b32 s22, exec_lo
	v_cmpx_ne_u16_e32 0x80, v7
	s_cbranch_execz .LBB327_1338
; %bb.1333:                             ;   in Loop: Header=BB327_11 Depth=1
	v_mov_b32_e32 v0, 0x7f
	v_mov_b32_e32 v111, 0x7c010000
	s_mov_b32 s23, exec_lo
	v_and_b32_sdwa v17, v7, v0 dst_sel:DWORD dst_unused:UNUSED_PAD src0_sel:WORD_0 src1_sel:DWORD
	v_cmpx_ne_u32_e32 0x7f, v17
	s_cbranch_execz .LBB327_1337
; %bb.1334:                             ;   in Loop: Header=BB327_11 Depth=1
	v_mov_b32_e32 v0, 7
	v_lshrrev_b32_e32 v15, 3, v17
	s_mov_b32 s24, exec_lo
	v_and_b32_sdwa v0, v7, v0 dst_sel:DWORD dst_unused:UNUSED_PAD src0_sel:WORD_0 src1_sel:DWORD
	v_cmpx_gt_u32_e32 8, v17
; %bb.1335:                             ;   in Loop: Header=BB327_11 Depth=1
	v_ffbh_u32_e32 v0, v0
	v_min_u32_e32 v0, 32, v0
	v_subrev_nc_u32_e32 v15, 28, v0
	v_lshlrev_b64 v[21:22], v15, v[7:8]
	v_sub_nc_u32_e32 v15, 29, v0
	v_and_b32_e32 v0, 7, v21
; %bb.1336:                             ;   in Loop: Header=BB327_11 Depth=1
	s_or_b32 exec_lo, exec_lo, s24
	v_mov_b32_e32 v17, 8
	v_lshl_add_u32 v15, v15, 10, 0x2000
	v_lshlrev_b32_e32 v0, 23, v0
	v_lshlrev_b32_sdwa v7, v17, v7 dst_sel:DWORD dst_unused:UNUSED_PAD src0_sel:DWORD src1_sel:WORD_0
	v_and_or_b32 v7, 0x8000, v7, v15
	v_lshl_or_b32 v111, v7, 16, v0
.LBB327_1337:                           ;   in Loop: Header=BB327_11 Depth=1
	s_or_b32 exec_lo, exec_lo, s23
.LBB327_1338:                           ;   in Loop: Header=BB327_11 Depth=1
	s_or_b32 exec_lo, exec_lo, s22
.LBB327_1339:                           ;   in Loop: Header=BB327_11 Depth=1
	s_or_b32 exec_lo, exec_lo, s21
	v_lshrrev_b32_e32 v7, 16, v31
	v_cmp_ne_u16_sdwa s5, v7, v8 src0_sel:BYTE_0 src1_sel:DWORD
	s_and_saveexec_b32 s21, s5
	s_cbranch_execz .LBB327_1347
; %bb.1340:                             ;   in Loop: Header=BB327_11 Depth=1
	v_cmp_ne_u16_sdwa s5, v7, v101 src0_sel:BYTE_0 src1_sel:DWORD
	v_mov_b32_e32 v107, 0x8000
	s_and_saveexec_b32 s22, s5
	s_cbranch_execz .LBB327_1346
; %bb.1341:                             ;   in Loop: Header=BB327_11 Depth=1
	v_bfe_u32 v17, v31, 16, 7
	v_mov_b32_e32 v107, 0x7c01
	s_mov_b32 s23, exec_lo
	v_cmpx_ne_u32_e32 0x7f, v17
	s_cbranch_execz .LBB327_1345
; %bb.1342:                             ;   in Loop: Header=BB327_11 Depth=1
	v_and_b32_e32 v0, 7, v7
	v_lshrrev_b32_e32 v15, 3, v17
	s_mov_b32 s24, exec_lo
	v_cmpx_gt_u32_e32 8, v17
; %bb.1343:                             ;   in Loop: Header=BB327_11 Depth=1
	v_ffbh_u32_e32 v0, v0
	v_min_u32_e32 v0, 32, v0
	v_subrev_nc_u32_e32 v15, 28, v0
	v_lshlrev_b64 v[21:22], v15, v[7:8]
	v_sub_nc_u32_e32 v15, 29, v0
	v_and_b32_e32 v0, 7, v21
; %bb.1344:                             ;   in Loop: Header=BB327_11 Depth=1
	s_or_b32 exec_lo, exec_lo, s24
	v_lshlrev_b32_e32 v7, 8, v7
	v_lshl_add_u32 v15, v15, 10, 0x2000
	v_lshlrev_b32_e32 v0, 7, v0
	v_and_b32_e32 v7, 0x8000, v7
	v_and_b32_e32 v15, 0xfc00, v15
	v_or3_b32 v107, v7, v15, v0
.LBB327_1345:                           ;   in Loop: Header=BB327_11 Depth=1
	s_or_b32 exec_lo, exec_lo, s23
.LBB327_1346:                           ;   in Loop: Header=BB327_11 Depth=1
	s_or_b32 exec_lo, exec_lo, s22
.LBB327_1347:                           ;   in Loop: Header=BB327_11 Depth=1
	s_or_b32 exec_lo, exec_lo, s21
	v_mov_b32_e32 v45, 0
	v_mov_b32_e32 v57, 0
	s_mov_b32 s21, exec_lo
	v_cmpx_lt_u64_e64 s[6:7], v[30:31]
	s_cbranch_execz .LBB327_1355
; %bb.1348:                             ;   in Loop: Header=BB327_11 Depth=1
	v_lshrrev_b32_e32 v7, 24, v31
	v_bfrev_b32_e32 v57, 1
	s_mov_b32 s22, exec_lo
	v_cmpx_ne_u32_e32 0x80, v7
	s_cbranch_execz .LBB327_1354
; %bb.1349:                             ;   in Loop: Header=BB327_11 Depth=1
	v_and_b32_e32 v17, 0x7f, v7
	v_mov_b32_e32 v57, 0x7c010000
	s_mov_b32 s23, exec_lo
	v_cmpx_ne_u32_e32 0x7f, v17
	s_cbranch_execz .LBB327_1353
; %bb.1350:                             ;   in Loop: Header=BB327_11 Depth=1
	v_and_b32_e32 v0, 7, v7
	v_lshrrev_b32_e32 v15, 3, v17
	s_mov_b32 s24, exec_lo
	v_cmpx_gt_u32_e32 8, v17
; %bb.1351:                             ;   in Loop: Header=BB327_11 Depth=1
	v_ffbh_u32_e32 v0, v0
	v_min_u32_e32 v0, 32, v0
	v_subrev_nc_u32_e32 v15, 28, v0
	v_lshlrev_b64 v[21:22], v15, v[7:8]
	v_sub_nc_u32_e32 v15, 29, v0
	v_and_b32_e32 v0, 7, v21
; %bb.1352:                             ;   in Loop: Header=BB327_11 Depth=1
	s_or_b32 exec_lo, exec_lo, s24
	v_lshlrev_b32_e32 v7, 8, v7
	v_lshl_add_u32 v15, v15, 10, 0x2000
	v_lshlrev_b32_e32 v0, 23, v0
	v_and_or_b32 v7, 0x8000, v7, v15
	v_lshl_or_b32 v57, v7, 16, v0
.LBB327_1353:                           ;   in Loop: Header=BB327_11 Depth=1
	s_or_b32 exec_lo, exec_lo, s23
.LBB327_1354:                           ;   in Loop: Header=BB327_11 Depth=1
	s_or_b32 exec_lo, exec_lo, s22
.LBB327_1355:                           ;   in Loop: Header=BB327_11 Depth=1
	s_or_b32 exec_lo, exec_lo, s21
	flat_load_dwordx2 v[30:31], v[28:29] offset:1032
	s_waitcnt vmcnt(0) lgkmcnt(0)
	v_cmp_ne_u16_sdwa s5, v30, v8 src0_sel:BYTE_0 src1_sel:DWORD
	s_and_saveexec_b32 s21, s5
	s_cbranch_execz .LBB327_1363
; %bb.1356:                             ;   in Loop: Header=BB327_11 Depth=1
	v_cmp_ne_u16_sdwa s5, v30, v101 src0_sel:BYTE_0 src1_sel:DWORD
	v_mov_b32_e32 v45, 0x8000
	s_and_saveexec_b32 s22, s5
	s_cbranch_execz .LBB327_1362
; %bb.1357:                             ;   in Loop: Header=BB327_11 Depth=1
	v_and_b32_e32 v15, 0x7f, v30
	v_mov_b32_e32 v45, 0x7c01
	s_mov_b32 s23, exec_lo
	v_cmpx_ne_u32_e32 0x7f, v15
	s_cbranch_execz .LBB327_1361
; %bb.1358:                             ;   in Loop: Header=BB327_11 Depth=1
	v_and_b32_e32 v0, 7, v30
	v_lshrrev_b32_e32 v7, 3, v15
	s_mov_b32 s24, exec_lo
	v_cmpx_gt_u32_e32 8, v15
; %bb.1359:                             ;   in Loop: Header=BB327_11 Depth=1
	v_ffbh_u32_e32 v0, v0
	v_min_u32_e32 v0, 32, v0
	v_subrev_nc_u32_e32 v7, 28, v0
	v_lshlrev_b64 v[21:22], v7, v[30:31]
	v_sub_nc_u32_e32 v7, 29, v0
	v_and_b32_e32 v0, 7, v21
; %bb.1360:                             ;   in Loop: Header=BB327_11 Depth=1
	s_or_b32 exec_lo, exec_lo, s24
	v_lshlrev_b32_e32 v15, 8, v30
	v_lshl_add_u32 v7, v7, 10, 0x2000
	v_lshlrev_b32_e32 v0, 7, v0
	v_and_b32_e32 v15, 0x8000, v15
	v_and_b32_e32 v7, 0xfc00, v7
	v_or3_b32 v45, v15, v7, v0
.LBB327_1361:                           ;   in Loop: Header=BB327_11 Depth=1
	s_or_b32 exec_lo, exec_lo, s23
.LBB327_1362:                           ;   in Loop: Header=BB327_11 Depth=1
	s_or_b32 exec_lo, exec_lo, s22
.LBB327_1363:                           ;   in Loop: Header=BB327_11 Depth=1
	s_or_b32 exec_lo, exec_lo, s21
	v_lshrrev_b16 v7, 8, v30
	v_mov_b32_e32 v95, 0
	v_mov_b32_e32 v94, 0
	s_mov_b32 s21, exec_lo
	v_cmpx_ne_u16_e32 0, v7
	s_cbranch_execz .LBB327_1371
; %bb.1364:                             ;   in Loop: Header=BB327_11 Depth=1
	v_bfrev_b32_e32 v94, 1
	s_mov_b32 s22, exec_lo
	v_cmpx_ne_u16_e32 0x80, v7
	s_cbranch_execz .LBB327_1370
; %bb.1365:                             ;   in Loop: Header=BB327_11 Depth=1
	v_mov_b32_e32 v0, 0x7f
	v_mov_b32_e32 v94, 0x7c010000
	s_mov_b32 s23, exec_lo
	v_and_b32_sdwa v17, v7, v0 dst_sel:DWORD dst_unused:UNUSED_PAD src0_sel:WORD_0 src1_sel:DWORD
	v_cmpx_ne_u32_e32 0x7f, v17
	s_cbranch_execz .LBB327_1369
; %bb.1366:                             ;   in Loop: Header=BB327_11 Depth=1
	v_mov_b32_e32 v0, 7
	v_lshrrev_b32_e32 v15, 3, v17
	s_mov_b32 s24, exec_lo
	v_and_b32_sdwa v0, v7, v0 dst_sel:DWORD dst_unused:UNUSED_PAD src0_sel:WORD_0 src1_sel:DWORD
	v_cmpx_gt_u32_e32 8, v17
; %bb.1367:                             ;   in Loop: Header=BB327_11 Depth=1
	v_ffbh_u32_e32 v0, v0
	v_min_u32_e32 v0, 32, v0
	v_subrev_nc_u32_e32 v15, 28, v0
	v_lshlrev_b64 v[21:22], v15, v[7:8]
	v_sub_nc_u32_e32 v15, 29, v0
	v_and_b32_e32 v0, 7, v21
; %bb.1368:                             ;   in Loop: Header=BB327_11 Depth=1
	s_or_b32 exec_lo, exec_lo, s24
	v_mov_b32_e32 v17, 8
	v_lshl_add_u32 v15, v15, 10, 0x2000
	v_lshlrev_b32_e32 v0, 23, v0
	v_lshlrev_b32_sdwa v7, v17, v7 dst_sel:DWORD dst_unused:UNUSED_PAD src0_sel:DWORD src1_sel:WORD_0
	v_and_or_b32 v7, 0x8000, v7, v15
	v_lshl_or_b32 v94, v7, 16, v0
.LBB327_1369:                           ;   in Loop: Header=BB327_11 Depth=1
	s_or_b32 exec_lo, exec_lo, s23
.LBB327_1370:                           ;   in Loop: Header=BB327_11 Depth=1
	s_or_b32 exec_lo, exec_lo, s22
.LBB327_1371:                           ;   in Loop: Header=BB327_11 Depth=1
	s_or_b32 exec_lo, exec_lo, s21
	v_lshrrev_b32_e32 v7, 16, v30
	v_cmp_ne_u16_sdwa s5, v7, v8 src0_sel:BYTE_0 src1_sel:DWORD
	s_and_saveexec_b32 s21, s5
	s_cbranch_execz .LBB327_1379
; %bb.1372:                             ;   in Loop: Header=BB327_11 Depth=1
	v_cmp_ne_u16_sdwa s5, v7, v101 src0_sel:BYTE_0 src1_sel:DWORD
	v_mov_b32_e32 v95, 0x8000
	s_and_saveexec_b32 s22, s5
	s_cbranch_execz .LBB327_1378
; %bb.1373:                             ;   in Loop: Header=BB327_11 Depth=1
	v_bfe_u32 v17, v30, 16, 7
	v_mov_b32_e32 v95, 0x7c01
	s_mov_b32 s23, exec_lo
	v_cmpx_ne_u32_e32 0x7f, v17
	s_cbranch_execz .LBB327_1377
; %bb.1374:                             ;   in Loop: Header=BB327_11 Depth=1
	v_and_b32_e32 v0, 7, v7
	v_lshrrev_b32_e32 v15, 3, v17
	s_mov_b32 s24, exec_lo
	v_cmpx_gt_u32_e32 8, v17
; %bb.1375:                             ;   in Loop: Header=BB327_11 Depth=1
	v_ffbh_u32_e32 v0, v0
	v_min_u32_e32 v0, 32, v0
	v_subrev_nc_u32_e32 v15, 28, v0
	v_lshlrev_b64 v[21:22], v15, v[7:8]
	v_sub_nc_u32_e32 v15, 29, v0
	v_and_b32_e32 v0, 7, v21
; %bb.1376:                             ;   in Loop: Header=BB327_11 Depth=1
	s_or_b32 exec_lo, exec_lo, s24
	v_lshlrev_b32_e32 v7, 8, v7
	v_lshl_add_u32 v15, v15, 10, 0x2000
	v_lshlrev_b32_e32 v0, 7, v0
	v_and_b32_e32 v7, 0x8000, v7
	v_and_b32_e32 v15, 0xfc00, v15
	v_or3_b32 v95, v7, v15, v0
.LBB327_1377:                           ;   in Loop: Header=BB327_11 Depth=1
	s_or_b32 exec_lo, exec_lo, s23
.LBB327_1378:                           ;   in Loop: Header=BB327_11 Depth=1
	s_or_b32 exec_lo, exec_lo, s22
.LBB327_1379:                           ;   in Loop: Header=BB327_11 Depth=1
	s_or_b32 exec_lo, exec_lo, s21
	v_mov_b32_e32 v56, 0
	v_mov_b32_e32 v125, 0
	s_mov_b32 s21, exec_lo
	v_cmpx_lt_u32_e32 0xffffff, v30
	s_cbranch_execz .LBB327_1387
; %bb.1380:                             ;   in Loop: Header=BB327_11 Depth=1
	v_lshrrev_b32_e32 v7, 24, v30
	v_bfrev_b32_e32 v125, 1
	s_mov_b32 s22, exec_lo
	v_cmpx_ne_u32_e32 0x80, v7
	s_cbranch_execz .LBB327_1386
; %bb.1381:                             ;   in Loop: Header=BB327_11 Depth=1
	v_and_b32_e32 v17, 0x7f, v7
	v_mov_b32_e32 v125, 0x7c010000
	s_mov_b32 s23, exec_lo
	v_cmpx_ne_u32_e32 0x7f, v17
	s_cbranch_execz .LBB327_1385
; %bb.1382:                             ;   in Loop: Header=BB327_11 Depth=1
	v_and_b32_e32 v0, 7, v7
	v_lshrrev_b32_e32 v15, 3, v17
	s_mov_b32 s24, exec_lo
	v_cmpx_gt_u32_e32 8, v17
; %bb.1383:                             ;   in Loop: Header=BB327_11 Depth=1
	v_ffbh_u32_e32 v0, v0
	v_min_u32_e32 v0, 32, v0
	v_subrev_nc_u32_e32 v15, 28, v0
	v_lshlrev_b64 v[21:22], v15, v[7:8]
	v_sub_nc_u32_e32 v15, 29, v0
	v_and_b32_e32 v0, 7, v21
; %bb.1384:                             ;   in Loop: Header=BB327_11 Depth=1
	s_or_b32 exec_lo, exec_lo, s24
	v_lshlrev_b32_e32 v7, 8, v7
	v_lshl_add_u32 v15, v15, 10, 0x2000
	v_lshlrev_b32_e32 v0, 23, v0
	v_and_or_b32 v7, 0x8000, v7, v15
	v_lshl_or_b32 v125, v7, 16, v0
.LBB327_1385:                           ;   in Loop: Header=BB327_11 Depth=1
	s_or_b32 exec_lo, exec_lo, s23
.LBB327_1386:                           ;   in Loop: Header=BB327_11 Depth=1
	s_or_b32 exec_lo, exec_lo, s22
.LBB327_1387:                           ;   in Loop: Header=BB327_11 Depth=1
	s_or_b32 exec_lo, exec_lo, s21
	v_mov_b32_e32 v7, v31
	v_cmp_ne_u16_sdwa s5, v31, v8 src0_sel:BYTE_0 src1_sel:DWORD
	s_and_saveexec_b32 s21, s5
	s_cbranch_execz .LBB327_1395
; %bb.1388:                             ;   in Loop: Header=BB327_11 Depth=1
	v_cmp_ne_u16_sdwa s5, v31, v101 src0_sel:BYTE_0 src1_sel:DWORD
	v_mov_b32_e32 v56, 0x8000
	s_and_saveexec_b32 s22, s5
	s_cbranch_execz .LBB327_1394
; %bb.1389:                             ;   in Loop: Header=BB327_11 Depth=1
	v_and_b32_e32 v17, 0x7f, v31
	v_mov_b32_e32 v56, 0x7c01
	s_mov_b32 s23, exec_lo
	v_cmpx_ne_u32_e32 0x7f, v17
	s_cbranch_execz .LBB327_1393
; %bb.1390:                             ;   in Loop: Header=BB327_11 Depth=1
	v_and_b32_e32 v0, 7, v31
	v_lshrrev_b32_e32 v15, 3, v17
	s_mov_b32 s24, exec_lo
	v_cmpx_gt_u32_e32 8, v17
; %bb.1391:                             ;   in Loop: Header=BB327_11 Depth=1
	v_ffbh_u32_e32 v0, v0
	v_min_u32_e32 v0, 32, v0
	v_subrev_nc_u32_e32 v15, 28, v0
	v_lshlrev_b64 v[21:22], v15, v[7:8]
	v_sub_nc_u32_e32 v15, 29, v0
	v_and_b32_e32 v0, 7, v21
; %bb.1392:                             ;   in Loop: Header=BB327_11 Depth=1
	s_or_b32 exec_lo, exec_lo, s24
	v_lshlrev_b32_e32 v17, 8, v31
	v_lshl_add_u32 v15, v15, 10, 0x2000
	v_lshlrev_b32_e32 v0, 7, v0
	v_and_b32_e32 v17, 0x8000, v17
	v_and_b32_e32 v15, 0xfc00, v15
	v_or3_b32 v56, v17, v15, v0
.LBB327_1393:                           ;   in Loop: Header=BB327_11 Depth=1
	s_or_b32 exec_lo, exec_lo, s23
.LBB327_1394:                           ;   in Loop: Header=BB327_11 Depth=1
	s_or_b32 exec_lo, exec_lo, s22
.LBB327_1395:                           ;   in Loop: Header=BB327_11 Depth=1
	s_or_b32 exec_lo, exec_lo, s21
	v_lshrrev_b16 v7, 8, v7
	v_mov_b32_e32 v43, 0
	v_mov_b32_e32 v46, 0
	s_mov_b32 s21, exec_lo
	v_cmpx_ne_u16_e32 0, v7
	s_cbranch_execz .LBB327_1403
; %bb.1396:                             ;   in Loop: Header=BB327_11 Depth=1
	v_bfrev_b32_e32 v46, 1
	s_mov_b32 s22, exec_lo
	v_cmpx_ne_u16_e32 0x80, v7
	s_cbranch_execz .LBB327_1402
; %bb.1397:                             ;   in Loop: Header=BB327_11 Depth=1
	v_mov_b32_e32 v0, 0x7f
	v_mov_b32_e32 v46, 0x7c010000
	s_mov_b32 s23, exec_lo
	v_and_b32_sdwa v17, v7, v0 dst_sel:DWORD dst_unused:UNUSED_PAD src0_sel:WORD_0 src1_sel:DWORD
	v_cmpx_ne_u32_e32 0x7f, v17
	s_cbranch_execz .LBB327_1401
; %bb.1398:                             ;   in Loop: Header=BB327_11 Depth=1
	v_mov_b32_e32 v0, 7
	v_lshrrev_b32_e32 v15, 3, v17
	s_mov_b32 s24, exec_lo
	v_and_b32_sdwa v0, v7, v0 dst_sel:DWORD dst_unused:UNUSED_PAD src0_sel:WORD_0 src1_sel:DWORD
	v_cmpx_gt_u32_e32 8, v17
; %bb.1399:                             ;   in Loop: Header=BB327_11 Depth=1
	v_ffbh_u32_e32 v0, v0
	v_min_u32_e32 v0, 32, v0
	v_subrev_nc_u32_e32 v15, 28, v0
	v_lshlrev_b64 v[21:22], v15, v[7:8]
	v_sub_nc_u32_e32 v15, 29, v0
	v_and_b32_e32 v0, 7, v21
; %bb.1400:                             ;   in Loop: Header=BB327_11 Depth=1
	s_or_b32 exec_lo, exec_lo, s24
	v_mov_b32_e32 v17, 8
	v_lshl_add_u32 v15, v15, 10, 0x2000
	v_lshlrev_b32_e32 v0, 23, v0
	v_lshlrev_b32_sdwa v7, v17, v7 dst_sel:DWORD dst_unused:UNUSED_PAD src0_sel:DWORD src1_sel:WORD_0
	v_and_or_b32 v7, 0x8000, v7, v15
	v_lshl_or_b32 v46, v7, 16, v0
.LBB327_1401:                           ;   in Loop: Header=BB327_11 Depth=1
	s_or_b32 exec_lo, exec_lo, s23
.LBB327_1402:                           ;   in Loop: Header=BB327_11 Depth=1
	s_or_b32 exec_lo, exec_lo, s22
.LBB327_1403:                           ;   in Loop: Header=BB327_11 Depth=1
	s_or_b32 exec_lo, exec_lo, s21
	v_lshrrev_b32_e32 v7, 16, v31
	v_cmp_ne_u16_sdwa s5, v7, v8 src0_sel:BYTE_0 src1_sel:DWORD
	s_and_saveexec_b32 s21, s5
	s_cbranch_execz .LBB327_1411
; %bb.1404:                             ;   in Loop: Header=BB327_11 Depth=1
	v_cmp_ne_u16_sdwa s5, v7, v101 src0_sel:BYTE_0 src1_sel:DWORD
	v_mov_b32_e32 v43, 0x8000
	s_and_saveexec_b32 s22, s5
	s_cbranch_execz .LBB327_1410
; %bb.1405:                             ;   in Loop: Header=BB327_11 Depth=1
	v_bfe_u32 v17, v31, 16, 7
	v_mov_b32_e32 v43, 0x7c01
	s_mov_b32 s23, exec_lo
	v_cmpx_ne_u32_e32 0x7f, v17
	s_cbranch_execz .LBB327_1409
; %bb.1406:                             ;   in Loop: Header=BB327_11 Depth=1
	v_and_b32_e32 v0, 7, v7
	v_lshrrev_b32_e32 v15, 3, v17
	s_mov_b32 s24, exec_lo
	v_cmpx_gt_u32_e32 8, v17
; %bb.1407:                             ;   in Loop: Header=BB327_11 Depth=1
	v_ffbh_u32_e32 v0, v0
	v_min_u32_e32 v0, 32, v0
	v_subrev_nc_u32_e32 v15, 28, v0
	v_lshlrev_b64 v[21:22], v15, v[7:8]
	v_sub_nc_u32_e32 v15, 29, v0
	v_and_b32_e32 v0, 7, v21
; %bb.1408:                             ;   in Loop: Header=BB327_11 Depth=1
	s_or_b32 exec_lo, exec_lo, s24
	v_lshlrev_b32_e32 v7, 8, v7
	v_lshl_add_u32 v15, v15, 10, 0x2000
	v_lshlrev_b32_e32 v0, 7, v0
	v_and_b32_e32 v7, 0x8000, v7
	v_and_b32_e32 v15, 0xfc00, v15
	v_or3_b32 v43, v7, v15, v0
.LBB327_1409:                           ;   in Loop: Header=BB327_11 Depth=1
	s_or_b32 exec_lo, exec_lo, s23
.LBB327_1410:                           ;   in Loop: Header=BB327_11 Depth=1
	s_or_b32 exec_lo, exec_lo, s22
.LBB327_1411:                           ;   in Loop: Header=BB327_11 Depth=1
	s_or_b32 exec_lo, exec_lo, s21
	v_mov_b32_e32 v41, 0
	v_mov_b32_e32 v39, 0
	s_mov_b32 s21, exec_lo
	v_cmpx_lt_u64_e64 s[6:7], v[30:31]
	s_cbranch_execz .LBB327_1419
; %bb.1412:                             ;   in Loop: Header=BB327_11 Depth=1
	v_lshrrev_b32_e32 v7, 24, v31
	v_bfrev_b32_e32 v39, 1
	s_mov_b32 s22, exec_lo
	v_cmpx_ne_u32_e32 0x80, v7
	s_cbranch_execz .LBB327_1418
; %bb.1413:                             ;   in Loop: Header=BB327_11 Depth=1
	v_and_b32_e32 v17, 0x7f, v7
	v_mov_b32_e32 v39, 0x7c010000
	s_mov_b32 s23, exec_lo
	v_cmpx_ne_u32_e32 0x7f, v17
	s_cbranch_execz .LBB327_1417
; %bb.1414:                             ;   in Loop: Header=BB327_11 Depth=1
	v_and_b32_e32 v0, 7, v7
	v_lshrrev_b32_e32 v15, 3, v17
	s_mov_b32 s24, exec_lo
	v_cmpx_gt_u32_e32 8, v17
; %bb.1415:                             ;   in Loop: Header=BB327_11 Depth=1
	v_ffbh_u32_e32 v0, v0
	v_min_u32_e32 v0, 32, v0
	v_subrev_nc_u32_e32 v15, 28, v0
	v_lshlrev_b64 v[21:22], v15, v[7:8]
	v_sub_nc_u32_e32 v15, 29, v0
	v_and_b32_e32 v0, 7, v21
; %bb.1416:                             ;   in Loop: Header=BB327_11 Depth=1
	s_or_b32 exec_lo, exec_lo, s24
	v_lshlrev_b32_e32 v7, 8, v7
	v_lshl_add_u32 v15, v15, 10, 0x2000
	v_lshlrev_b32_e32 v0, 23, v0
	v_and_or_b32 v7, 0x8000, v7, v15
	v_lshl_or_b32 v39, v7, 16, v0
.LBB327_1417:                           ;   in Loop: Header=BB327_11 Depth=1
	s_or_b32 exec_lo, exec_lo, s23
.LBB327_1418:                           ;   in Loop: Header=BB327_11 Depth=1
	s_or_b32 exec_lo, exec_lo, s22
.LBB327_1419:                           ;   in Loop: Header=BB327_11 Depth=1
	s_or_b32 exec_lo, exec_lo, s21
	flat_load_dwordx2 v[30:31], v[28:29] offset:1536
	s_waitcnt vmcnt(0) lgkmcnt(0)
	v_cmp_ne_u16_sdwa s5, v30, v8 src0_sel:BYTE_0 src1_sel:DWORD
	s_and_saveexec_b32 s21, s5
	s_cbranch_execz .LBB327_1427
; %bb.1420:                             ;   in Loop: Header=BB327_11 Depth=1
	v_cmp_ne_u16_sdwa s5, v30, v101 src0_sel:BYTE_0 src1_sel:DWORD
	v_mov_b32_e32 v41, 0x8000
	s_and_saveexec_b32 s22, s5
	s_cbranch_execz .LBB327_1426
; %bb.1421:                             ;   in Loop: Header=BB327_11 Depth=1
	v_and_b32_e32 v15, 0x7f, v30
	v_mov_b32_e32 v41, 0x7c01
	s_mov_b32 s23, exec_lo
	v_cmpx_ne_u32_e32 0x7f, v15
	s_cbranch_execz .LBB327_1425
; %bb.1422:                             ;   in Loop: Header=BB327_11 Depth=1
	v_and_b32_e32 v0, 7, v30
	v_lshrrev_b32_e32 v7, 3, v15
	s_mov_b32 s24, exec_lo
	v_cmpx_gt_u32_e32 8, v15
; %bb.1423:                             ;   in Loop: Header=BB327_11 Depth=1
	v_ffbh_u32_e32 v0, v0
	v_min_u32_e32 v0, 32, v0
	v_subrev_nc_u32_e32 v7, 28, v0
	v_lshlrev_b64 v[21:22], v7, v[30:31]
	v_sub_nc_u32_e32 v7, 29, v0
	v_and_b32_e32 v0, 7, v21
; %bb.1424:                             ;   in Loop: Header=BB327_11 Depth=1
	s_or_b32 exec_lo, exec_lo, s24
	v_lshlrev_b32_e32 v15, 8, v30
	v_lshl_add_u32 v7, v7, 10, 0x2000
	v_lshlrev_b32_e32 v0, 7, v0
	v_and_b32_e32 v15, 0x8000, v15
	v_and_b32_e32 v7, 0xfc00, v7
	v_or3_b32 v41, v15, v7, v0
.LBB327_1425:                           ;   in Loop: Header=BB327_11 Depth=1
	s_or_b32 exec_lo, exec_lo, s23
.LBB327_1426:                           ;   in Loop: Header=BB327_11 Depth=1
	s_or_b32 exec_lo, exec_lo, s22
.LBB327_1427:                           ;   in Loop: Header=BB327_11 Depth=1
	s_or_b32 exec_lo, exec_lo, s21
	v_lshrrev_b16 v7, 8, v30
	v_mov_b32_e32 v59, 0
	v_mov_b32_e32 v17, 0
	s_mov_b32 s21, exec_lo
	v_cmpx_ne_u16_e32 0, v7
	s_cbranch_execz .LBB327_1435
; %bb.1428:                             ;   in Loop: Header=BB327_11 Depth=1
	v_bfrev_b32_e32 v17, 1
	s_mov_b32 s22, exec_lo
	v_cmpx_ne_u16_e32 0x80, v7
	s_cbranch_execz .LBB327_1434
; %bb.1429:                             ;   in Loop: Header=BB327_11 Depth=1
	v_mov_b32_e32 v0, 0x7f
	v_mov_b32_e32 v17, 0x7c010000
	s_mov_b32 s23, exec_lo
	v_and_b32_sdwa v21, v7, v0 dst_sel:DWORD dst_unused:UNUSED_PAD src0_sel:WORD_0 src1_sel:DWORD
	v_cmpx_ne_u32_e32 0x7f, v21
	s_cbranch_execz .LBB327_1433
; %bb.1430:                             ;   in Loop: Header=BB327_11 Depth=1
	v_mov_b32_e32 v0, 7
	v_lshrrev_b32_e32 v15, 3, v21
	s_mov_b32 s24, exec_lo
	v_and_b32_sdwa v0, v7, v0 dst_sel:DWORD dst_unused:UNUSED_PAD src0_sel:WORD_0 src1_sel:DWORD
	v_cmpx_gt_u32_e32 8, v21
; %bb.1431:                             ;   in Loop: Header=BB327_11 Depth=1
	v_ffbh_u32_e32 v0, v0
	v_min_u32_e32 v0, 32, v0
	v_subrev_nc_u32_e32 v15, 28, v0
	v_lshlrev_b64 v[21:22], v15, v[7:8]
	v_sub_nc_u32_e32 v15, 29, v0
	v_and_b32_e32 v0, 7, v21
; %bb.1432:                             ;   in Loop: Header=BB327_11 Depth=1
	s_or_b32 exec_lo, exec_lo, s24
	v_mov_b32_e32 v17, 8
	v_lshl_add_u32 v15, v15, 10, 0x2000
	v_lshlrev_b32_e32 v0, 23, v0
	v_lshlrev_b32_sdwa v7, v17, v7 dst_sel:DWORD dst_unused:UNUSED_PAD src0_sel:DWORD src1_sel:WORD_0
	v_and_or_b32 v7, 0x8000, v7, v15
	v_lshl_or_b32 v17, v7, 16, v0
.LBB327_1433:                           ;   in Loop: Header=BB327_11 Depth=1
	s_or_b32 exec_lo, exec_lo, s23
.LBB327_1434:                           ;   in Loop: Header=BB327_11 Depth=1
	s_or_b32 exec_lo, exec_lo, s22
.LBB327_1435:                           ;   in Loop: Header=BB327_11 Depth=1
	s_or_b32 exec_lo, exec_lo, s21
	v_lshrrev_b32_e32 v7, 16, v30
	v_cmp_ne_u16_sdwa s5, v7, v8 src0_sel:BYTE_0 src1_sel:DWORD
	s_and_saveexec_b32 s21, s5
	s_cbranch_execz .LBB327_1443
; %bb.1436:                             ;   in Loop: Header=BB327_11 Depth=1
	v_cmp_ne_u16_sdwa s5, v7, v101 src0_sel:BYTE_0 src1_sel:DWORD
	v_mov_b32_e32 v59, 0x8000
	s_and_saveexec_b32 s22, s5
	s_cbranch_execz .LBB327_1442
; %bb.1437:                             ;   in Loop: Header=BB327_11 Depth=1
	v_bfe_u32 v21, v30, 16, 7
	v_mov_b32_e32 v59, 0x7c01
	s_mov_b32 s23, exec_lo
	v_cmpx_ne_u32_e32 0x7f, v21
	s_cbranch_execz .LBB327_1441
; %bb.1438:                             ;   in Loop: Header=BB327_11 Depth=1
	v_and_b32_e32 v0, 7, v7
	v_lshrrev_b32_e32 v15, 3, v21
	s_mov_b32 s24, exec_lo
	v_cmpx_gt_u32_e32 8, v21
; %bb.1439:                             ;   in Loop: Header=BB327_11 Depth=1
	v_ffbh_u32_e32 v0, v0
	v_min_u32_e32 v0, 32, v0
	v_subrev_nc_u32_e32 v15, 28, v0
	v_lshlrev_b64 v[21:22], v15, v[7:8]
	v_sub_nc_u32_e32 v15, 29, v0
	v_and_b32_e32 v0, 7, v21
; %bb.1440:                             ;   in Loop: Header=BB327_11 Depth=1
	s_or_b32 exec_lo, exec_lo, s24
	v_lshlrev_b32_e32 v7, 8, v7
	v_lshl_add_u32 v15, v15, 10, 0x2000
	v_lshlrev_b32_e32 v0, 7, v0
	v_and_b32_e32 v7, 0x8000, v7
	v_and_b32_e32 v15, 0xfc00, v15
	v_or3_b32 v59, v7, v15, v0
.LBB327_1441:                           ;   in Loop: Header=BB327_11 Depth=1
	s_or_b32 exec_lo, exec_lo, s23
.LBB327_1442:                           ;   in Loop: Header=BB327_11 Depth=1
	s_or_b32 exec_lo, exec_lo, s22
.LBB327_1443:                           ;   in Loop: Header=BB327_11 Depth=1
	s_or_b32 exec_lo, exec_lo, s21
	v_mov_b32_e32 v0, 0
	v_mov_b32_e32 v62, 0
	s_mov_b32 s21, exec_lo
	v_cmpx_lt_u32_e32 0xffffff, v30
	s_cbranch_execz .LBB327_1451
; %bb.1444:                             ;   in Loop: Header=BB327_11 Depth=1
	v_lshrrev_b32_e32 v7, 24, v30
	v_bfrev_b32_e32 v62, 1
	s_mov_b32 s22, exec_lo
	v_cmpx_ne_u32_e32 0x80, v7
	s_cbranch_execz .LBB327_1450
; %bb.1445:                             ;   in Loop: Header=BB327_11 Depth=1
	v_and_b32_e32 v22, 0x7f, v7
	v_mov_b32_e32 v62, 0x7c010000
	s_mov_b32 s23, exec_lo
	v_cmpx_ne_u32_e32 0x7f, v22
	s_cbranch_execz .LBB327_1449
; %bb.1446:                             ;   in Loop: Header=BB327_11 Depth=1
	v_and_b32_e32 v15, 7, v7
	v_lshrrev_b32_e32 v21, 3, v22
	s_mov_b32 s24, exec_lo
	v_cmpx_gt_u32_e32 8, v22
; %bb.1447:                             ;   in Loop: Header=BB327_11 Depth=1
	v_ffbh_u32_e32 v15, v15
	v_min_u32_e32 v15, 32, v15
	v_subrev_nc_u32_e32 v21, 28, v15
	v_lshlrev_b64 v[22:23], v21, v[7:8]
	v_sub_nc_u32_e32 v21, 29, v15
	v_and_b32_e32 v15, 7, v22
; %bb.1448:                             ;   in Loop: Header=BB327_11 Depth=1
	s_or_b32 exec_lo, exec_lo, s24
	v_lshlrev_b32_e32 v7, 8, v7
	v_lshl_add_u32 v21, v21, 10, 0x2000
	v_lshlrev_b32_e32 v15, 23, v15
	v_and_or_b32 v7, 0x8000, v7, v21
	v_lshl_or_b32 v62, v7, 16, v15
.LBB327_1449:                           ;   in Loop: Header=BB327_11 Depth=1
	s_or_b32 exec_lo, exec_lo, s23
.LBB327_1450:                           ;   in Loop: Header=BB327_11 Depth=1
	s_or_b32 exec_lo, exec_lo, s22
.LBB327_1451:                           ;   in Loop: Header=BB327_11 Depth=1
	s_or_b32 exec_lo, exec_lo, s21
	v_mov_b32_e32 v7, v31
	v_cmp_ne_u16_sdwa s5, v31, v8 src0_sel:BYTE_0 src1_sel:DWORD
	s_and_saveexec_b32 s21, s5
	s_cbranch_execz .LBB327_1459
; %bb.1452:                             ;   in Loop: Header=BB327_11 Depth=1
	v_cmp_ne_u16_sdwa s5, v31, v101 src0_sel:BYTE_0 src1_sel:DWORD
	v_mov_b32_e32 v0, 0x8000
	s_and_saveexec_b32 s22, s5
	s_cbranch_execz .LBB327_1458
; %bb.1453:                             ;   in Loop: Header=BB327_11 Depth=1
	v_and_b32_e32 v21, 0x7f, v31
	v_mov_b32_e32 v0, 0x7c01
	s_mov_b32 s23, exec_lo
	v_cmpx_ne_u32_e32 0x7f, v21
	s_cbranch_execz .LBB327_1457
; %bb.1454:                             ;   in Loop: Header=BB327_11 Depth=1
	v_and_b32_e32 v0, 7, v31
	v_lshrrev_b32_e32 v15, 3, v21
	s_mov_b32 s24, exec_lo
	v_cmpx_gt_u32_e32 8, v21
; %bb.1455:                             ;   in Loop: Header=BB327_11 Depth=1
	v_ffbh_u32_e32 v0, v0
	v_min_u32_e32 v0, 32, v0
	v_subrev_nc_u32_e32 v15, 28, v0
	v_lshlrev_b64 v[21:22], v15, v[7:8]
	v_sub_nc_u32_e32 v15, 29, v0
	v_and_b32_e32 v0, 7, v21
; %bb.1456:                             ;   in Loop: Header=BB327_11 Depth=1
	s_or_b32 exec_lo, exec_lo, s24
	v_lshlrev_b32_e32 v21, 8, v31
	v_lshl_add_u32 v15, v15, 10, 0x2000
	v_lshlrev_b32_e32 v0, 7, v0
	v_and_b32_e32 v21, 0x8000, v21
	v_and_b32_e32 v15, 0xfc00, v15
	v_or3_b32 v0, v21, v15, v0
.LBB327_1457:                           ;   in Loop: Header=BB327_11 Depth=1
	s_or_b32 exec_lo, exec_lo, s23
.LBB327_1458:                           ;   in Loop: Header=BB327_11 Depth=1
	s_or_b32 exec_lo, exec_lo, s22
.LBB327_1459:                           ;   in Loop: Header=BB327_11 Depth=1
	s_or_b32 exec_lo, exec_lo, s21
	v_lshrrev_b16 v7, 8, v7
	v_mov_b32_e32 v72, 0
	v_mov_b32_e32 v15, 0
	s_mov_b32 s21, exec_lo
	v_cmpx_ne_u16_e32 0, v7
	s_cbranch_execz .LBB327_1467
; %bb.1460:                             ;   in Loop: Header=BB327_11 Depth=1
	v_bfrev_b32_e32 v15, 1
	s_mov_b32 s22, exec_lo
	v_cmpx_ne_u16_e32 0x80, v7
	s_cbranch_execz .LBB327_1466
; %bb.1461:                             ;   in Loop: Header=BB327_11 Depth=1
	v_mov_b32_e32 v15, 0x7f
	s_mov_b32 s23, exec_lo
	v_and_b32_sdwa v22, v7, v15 dst_sel:DWORD dst_unused:UNUSED_PAD src0_sel:WORD_0 src1_sel:DWORD
	v_mov_b32_e32 v15, 0x7c010000
	v_cmpx_ne_u32_e32 0x7f, v22
	s_cbranch_execz .LBB327_1465
; %bb.1462:                             ;   in Loop: Header=BB327_11 Depth=1
	v_mov_b32_e32 v15, 7
	v_lshrrev_b32_e32 v21, 3, v22
	s_mov_b32 s24, exec_lo
	v_and_b32_sdwa v15, v7, v15 dst_sel:DWORD dst_unused:UNUSED_PAD src0_sel:WORD_0 src1_sel:DWORD
	v_cmpx_gt_u32_e32 8, v22
; %bb.1463:                             ;   in Loop: Header=BB327_11 Depth=1
	v_ffbh_u32_e32 v15, v15
	v_min_u32_e32 v15, 32, v15
	v_subrev_nc_u32_e32 v21, 28, v15
	v_lshlrev_b64 v[22:23], v21, v[7:8]
	v_sub_nc_u32_e32 v21, 29, v15
	v_and_b32_e32 v15, 7, v22
; %bb.1464:                             ;   in Loop: Header=BB327_11 Depth=1
	s_or_b32 exec_lo, exec_lo, s24
	v_mov_b32_e32 v22, 8
	v_lshl_add_u32 v21, v21, 10, 0x2000
	v_lshlrev_b32_e32 v15, 23, v15
	v_lshlrev_b32_sdwa v7, v22, v7 dst_sel:DWORD dst_unused:UNUSED_PAD src0_sel:DWORD src1_sel:WORD_0
	v_and_or_b32 v7, 0x8000, v7, v21
	v_lshl_or_b32 v15, v7, 16, v15
.LBB327_1465:                           ;   in Loop: Header=BB327_11 Depth=1
	s_or_b32 exec_lo, exec_lo, s23
.LBB327_1466:                           ;   in Loop: Header=BB327_11 Depth=1
	s_or_b32 exec_lo, exec_lo, s22
.LBB327_1467:                           ;   in Loop: Header=BB327_11 Depth=1
	s_or_b32 exec_lo, exec_lo, s21
	v_lshrrev_b32_e32 v7, 16, v31
	v_cmp_ne_u16_sdwa s5, v7, v8 src0_sel:BYTE_0 src1_sel:DWORD
	s_and_saveexec_b32 s21, s5
	s_cbranch_execz .LBB327_1475
; %bb.1468:                             ;   in Loop: Header=BB327_11 Depth=1
	v_cmp_ne_u16_sdwa s5, v7, v101 src0_sel:BYTE_0 src1_sel:DWORD
	v_mov_b32_e32 v72, 0x8000
	s_and_saveexec_b32 s22, s5
	s_cbranch_execz .LBB327_1474
; %bb.1469:                             ;   in Loop: Header=BB327_11 Depth=1
	v_bfe_u32 v23, v31, 16, 7
	v_mov_b32_e32 v72, 0x7c01
	s_mov_b32 s23, exec_lo
	v_cmpx_ne_u32_e32 0x7f, v23
	s_cbranch_execz .LBB327_1473
; %bb.1470:                             ;   in Loop: Header=BB327_11 Depth=1
	v_and_b32_e32 v21, 7, v7
	v_lshrrev_b32_e32 v22, 3, v23
	s_mov_b32 s24, exec_lo
	v_cmpx_gt_u32_e32 8, v23
; %bb.1471:                             ;   in Loop: Header=BB327_11 Depth=1
	v_ffbh_u32_e32 v21, v21
	v_min_u32_e32 v23, 32, v21
	v_subrev_nc_u32_e32 v21, 28, v23
	v_lshlrev_b64 v[21:22], v21, v[7:8]
	v_sub_nc_u32_e32 v22, 29, v23
	v_and_b32_e32 v21, 7, v21
; %bb.1472:                             ;   in Loop: Header=BB327_11 Depth=1
	s_or_b32 exec_lo, exec_lo, s24
	v_lshlrev_b32_e32 v7, 8, v7
	v_lshl_add_u32 v22, v22, 10, 0x2000
	v_lshlrev_b32_e32 v21, 7, v21
	v_and_b32_e32 v7, 0x8000, v7
	v_and_b32_e32 v22, 0xfc00, v22
	v_or3_b32 v72, v7, v22, v21
.LBB327_1473:                           ;   in Loop: Header=BB327_11 Depth=1
	s_or_b32 exec_lo, exec_lo, s23
.LBB327_1474:                           ;   in Loop: Header=BB327_11 Depth=1
	s_or_b32 exec_lo, exec_lo, s22
.LBB327_1475:                           ;   in Loop: Header=BB327_11 Depth=1
	s_or_b32 exec_lo, exec_lo, s21
	v_cmp_lt_u64_e64 s5, s[6:7], v[30:31]
	v_mov_b32_e32 v30, 0
	v_mov_b32_e32 v22, 0
	s_and_saveexec_b32 s21, s5
	s_cbranch_execz .LBB327_1483
; %bb.1476:                             ;   in Loop: Header=BB327_11 Depth=1
	v_lshrrev_b32_e32 v7, 24, v31
	v_bfrev_b32_e32 v22, 1
	s_mov_b32 s22, exec_lo
	v_cmpx_ne_u32_e32 0x80, v7
	s_cbranch_execz .LBB327_1482
; %bb.1477:                             ;   in Loop: Header=BB327_11 Depth=1
	v_and_b32_e32 v23, 0x7f, v7
	v_mov_b32_e32 v22, 0x7c010000
	s_mov_b32 s23, exec_lo
	v_cmpx_ne_u32_e32 0x7f, v23
	s_cbranch_execz .LBB327_1481
; %bb.1478:                             ;   in Loop: Header=BB327_11 Depth=1
	v_and_b32_e32 v21, 7, v7
	v_lshrrev_b32_e32 v22, 3, v23
	s_mov_b32 s24, exec_lo
	v_cmpx_gt_u32_e32 8, v23
; %bb.1479:                             ;   in Loop: Header=BB327_11 Depth=1
	v_ffbh_u32_e32 v21, v21
	v_min_u32_e32 v23, 32, v21
	v_subrev_nc_u32_e32 v21, 28, v23
	v_lshlrev_b64 v[21:22], v21, v[7:8]
	v_sub_nc_u32_e32 v22, 29, v23
	v_and_b32_e32 v21, 7, v21
; %bb.1480:                             ;   in Loop: Header=BB327_11 Depth=1
	s_or_b32 exec_lo, exec_lo, s24
	v_lshlrev_b32_e32 v7, 8, v7
	v_lshl_add_u32 v22, v22, 10, 0x2000
	v_lshlrev_b32_e32 v21, 23, v21
	v_and_or_b32 v7, 0x8000, v7, v22
	v_lshl_or_b32 v22, v7, 16, v21
.LBB327_1481:                           ;   in Loop: Header=BB327_11 Depth=1
	s_or_b32 exec_lo, exec_lo, s23
.LBB327_1482:                           ;   in Loop: Header=BB327_11 Depth=1
	s_or_b32 exec_lo, exec_lo, s22
.LBB327_1483:                           ;   in Loop: Header=BB327_11 Depth=1
	s_or_b32 exec_lo, exec_lo, s21
	flat_load_dwordx2 v[28:29], v[28:29] offset:1544
	s_waitcnt vmcnt(0) lgkmcnt(0)
	v_cmp_ne_u16_sdwa s5, v28, v8 src0_sel:BYTE_0 src1_sel:DWORD
	s_and_saveexec_b32 s21, s5
	s_cbranch_execz .LBB327_1491
; %bb.1484:                             ;   in Loop: Header=BB327_11 Depth=1
	v_cmp_ne_u16_sdwa s5, v28, v101 src0_sel:BYTE_0 src1_sel:DWORD
	v_mov_b32_e32 v30, 0x8000
	s_and_saveexec_b32 s22, s5
	s_cbranch_execz .LBB327_1490
; %bb.1485:                             ;   in Loop: Header=BB327_11 Depth=1
	v_and_b32_e32 v23, 0x7f, v28
	v_mov_b32_e32 v30, 0x7c01
	s_mov_b32 s23, exec_lo
	v_cmpx_ne_u32_e32 0x7f, v23
	s_cbranch_execz .LBB327_1489
; %bb.1486:                             ;   in Loop: Header=BB327_11 Depth=1
	v_and_b32_e32 v7, 7, v28
	v_lshrrev_b32_e32 v21, 3, v23
	s_mov_b32 s24, exec_lo
	v_cmpx_gt_u32_e32 8, v23
; %bb.1487:                             ;   in Loop: Header=BB327_11 Depth=1
	v_ffbh_u32_e32 v7, v7
	v_min_u32_e32 v7, 32, v7
	v_subrev_nc_u32_e32 v21, 28, v7
	v_lshlrev_b64 v[30:31], v21, v[28:29]
	v_sub_nc_u32_e32 v21, 29, v7
	v_and_b32_e32 v7, 7, v30
; %bb.1488:                             ;   in Loop: Header=BB327_11 Depth=1
	s_or_b32 exec_lo, exec_lo, s24
	v_lshlrev_b32_e32 v23, 8, v28
	v_lshl_add_u32 v21, v21, 10, 0x2000
	v_lshlrev_b32_e32 v7, 7, v7
	v_and_b32_e32 v23, 0x8000, v23
	v_and_b32_e32 v21, 0xfc00, v21
	v_or3_b32 v30, v23, v21, v7
.LBB327_1489:                           ;   in Loop: Header=BB327_11 Depth=1
	s_or_b32 exec_lo, exec_lo, s23
.LBB327_1490:                           ;   in Loop: Header=BB327_11 Depth=1
	s_or_b32 exec_lo, exec_lo, s22
.LBB327_1491:                           ;   in Loop: Header=BB327_11 Depth=1
	s_or_b32 exec_lo, exec_lo, s21
	v_lshrrev_b16 v7, 8, v28
	v_mov_b32_e32 v114, 0
	v_mov_b32_e32 v31, 0
	s_mov_b32 s21, exec_lo
	v_cmpx_ne_u16_e32 0, v7
	s_cbranch_execz .LBB327_1499
; %bb.1492:                             ;   in Loop: Header=BB327_11 Depth=1
	v_bfrev_b32_e32 v31, 1
	s_mov_b32 s22, exec_lo
	v_cmpx_ne_u16_e32 0x80, v7
	s_cbranch_execz .LBB327_1498
; %bb.1493:                             ;   in Loop: Header=BB327_11 Depth=1
	v_mov_b32_e32 v21, 0x7f
	v_mov_b32_e32 v31, 0x7c010000
	s_mov_b32 s23, exec_lo
	v_and_b32_sdwa v25, v7, v21 dst_sel:DWORD dst_unused:UNUSED_PAD src0_sel:WORD_0 src1_sel:DWORD
	v_cmpx_ne_u32_e32 0x7f, v25
	s_cbranch_execz .LBB327_1497
; %bb.1494:                             ;   in Loop: Header=BB327_11 Depth=1
	v_mov_b32_e32 v21, 7
	v_lshrrev_b32_e32 v23, 3, v25
	s_mov_b32 s24, exec_lo
	v_and_b32_sdwa v21, v7, v21 dst_sel:DWORD dst_unused:UNUSED_PAD src0_sel:WORD_0 src1_sel:DWORD
	v_cmpx_gt_u32_e32 8, v25
; %bb.1495:                             ;   in Loop: Header=BB327_11 Depth=1
	v_ffbh_u32_e32 v21, v21
	v_min_u32_e32 v21, 32, v21
	v_subrev_nc_u32_e32 v23, 28, v21
	v_lshlrev_b64 v[89:90], v23, v[7:8]
	v_sub_nc_u32_e32 v23, 29, v21
	v_and_b32_e32 v21, 7, v89
; %bb.1496:                             ;   in Loop: Header=BB327_11 Depth=1
	s_or_b32 exec_lo, exec_lo, s24
	v_mov_b32_e32 v25, 8
	v_lshl_add_u32 v23, v23, 10, 0x2000
	v_lshlrev_b32_e32 v21, 23, v21
	v_lshlrev_b32_sdwa v7, v25, v7 dst_sel:DWORD dst_unused:UNUSED_PAD src0_sel:DWORD src1_sel:WORD_0
	v_and_or_b32 v7, 0x8000, v7, v23
	v_lshl_or_b32 v31, v7, 16, v21
.LBB327_1497:                           ;   in Loop: Header=BB327_11 Depth=1
	s_or_b32 exec_lo, exec_lo, s23
.LBB327_1498:                           ;   in Loop: Header=BB327_11 Depth=1
	s_or_b32 exec_lo, exec_lo, s22
.LBB327_1499:                           ;   in Loop: Header=BB327_11 Depth=1
	s_or_b32 exec_lo, exec_lo, s21
	v_lshrrev_b32_e32 v7, 16, v28
	v_cmp_ne_u16_sdwa s5, v7, v8 src0_sel:BYTE_0 src1_sel:DWORD
	s_and_saveexec_b32 s21, s5
	s_cbranch_execz .LBB327_1507
; %bb.1500:                             ;   in Loop: Header=BB327_11 Depth=1
	v_cmp_ne_u16_sdwa s5, v7, v101 src0_sel:BYTE_0 src1_sel:DWORD
	v_mov_b32_e32 v114, 0x8000
	s_and_saveexec_b32 s22, s5
	s_cbranch_execz .LBB327_1506
; %bb.1501:                             ;   in Loop: Header=BB327_11 Depth=1
	v_bfe_u32 v25, v28, 16, 7
	v_mov_b32_e32 v114, 0x7c01
	s_mov_b32 s23, exec_lo
	v_cmpx_ne_u32_e32 0x7f, v25
	s_cbranch_execz .LBB327_1505
; %bb.1502:                             ;   in Loop: Header=BB327_11 Depth=1
	v_and_b32_e32 v21, 7, v7
	v_lshrrev_b32_e32 v23, 3, v25
	s_mov_b32 s24, exec_lo
	v_cmpx_gt_u32_e32 8, v25
; %bb.1503:                             ;   in Loop: Header=BB327_11 Depth=1
	v_ffbh_u32_e32 v21, v21
	v_min_u32_e32 v21, 32, v21
	v_subrev_nc_u32_e32 v23, 28, v21
	v_lshlrev_b64 v[89:90], v23, v[7:8]
	v_sub_nc_u32_e32 v23, 29, v21
	v_and_b32_e32 v21, 7, v89
; %bb.1504:                             ;   in Loop: Header=BB327_11 Depth=1
	s_or_b32 exec_lo, exec_lo, s24
	v_lshlrev_b32_e32 v7, 8, v7
	v_lshl_add_u32 v23, v23, 10, 0x2000
	v_lshlrev_b32_e32 v21, 7, v21
	v_and_b32_e32 v7, 0x8000, v7
	v_and_b32_e32 v23, 0xfc00, v23
	v_or3_b32 v114, v7, v23, v21
.LBB327_1505:                           ;   in Loop: Header=BB327_11 Depth=1
	s_or_b32 exec_lo, exec_lo, s23
.LBB327_1506:                           ;   in Loop: Header=BB327_11 Depth=1
	s_or_b32 exec_lo, exec_lo, s22
.LBB327_1507:                           ;   in Loop: Header=BB327_11 Depth=1
	s_or_b32 exec_lo, exec_lo, s21
	v_mov_b32_e32 v126, 0
	v_mov_b32_e32 v21, 0
	s_mov_b32 s21, exec_lo
	v_cmpx_lt_u32_e32 0xffffff, v28
	s_cbranch_execz .LBB327_1515
; %bb.1508:                             ;   in Loop: Header=BB327_11 Depth=1
	v_lshrrev_b32_e32 v7, 24, v28
	v_bfrev_b32_e32 v21, 1
	s_mov_b32 s22, exec_lo
	v_cmpx_ne_u32_e32 0x80, v7
	s_cbranch_execz .LBB327_1514
; %bb.1509:                             ;   in Loop: Header=BB327_11 Depth=1
	v_and_b32_e32 v25, 0x7f, v7
	v_mov_b32_e32 v21, 0x7c010000
	s_mov_b32 s23, exec_lo
	v_cmpx_ne_u32_e32 0x7f, v25
	s_cbranch_execz .LBB327_1513
; %bb.1510:                             ;   in Loop: Header=BB327_11 Depth=1
	v_and_b32_e32 v21, 7, v7
	v_lshrrev_b32_e32 v23, 3, v25
	s_mov_b32 s24, exec_lo
	v_cmpx_gt_u32_e32 8, v25
; %bb.1511:                             ;   in Loop: Header=BB327_11 Depth=1
	v_ffbh_u32_e32 v21, v21
	v_min_u32_e32 v21, 32, v21
	v_subrev_nc_u32_e32 v23, 28, v21
	v_lshlrev_b64 v[89:90], v23, v[7:8]
	v_sub_nc_u32_e32 v23, 29, v21
	v_and_b32_e32 v21, 7, v89
; %bb.1512:                             ;   in Loop: Header=BB327_11 Depth=1
	s_or_b32 exec_lo, exec_lo, s24
	v_lshlrev_b32_e32 v7, 8, v7
	v_lshl_add_u32 v23, v23, 10, 0x2000
	v_lshlrev_b32_e32 v21, 23, v21
	v_and_or_b32 v7, 0x8000, v7, v23
	v_lshl_or_b32 v21, v7, 16, v21
.LBB327_1513:                           ;   in Loop: Header=BB327_11 Depth=1
	s_or_b32 exec_lo, exec_lo, s23
.LBB327_1514:                           ;   in Loop: Header=BB327_11 Depth=1
	s_or_b32 exec_lo, exec_lo, s22
.LBB327_1515:                           ;   in Loop: Header=BB327_11 Depth=1
	s_or_b32 exec_lo, exec_lo, s21
	v_mov_b32_e32 v7, v29
	v_cmp_ne_u16_sdwa s5, v29, v8 src0_sel:BYTE_0 src1_sel:DWORD
	s_and_saveexec_b32 s21, s5
	s_cbranch_execz .LBB327_1523
; %bb.1516:                             ;   in Loop: Header=BB327_11 Depth=1
	v_cmp_ne_u16_sdwa s5, v29, v101 src0_sel:BYTE_0 src1_sel:DWORD
	v_mov_b32_e32 v126, 0x8000
	s_and_saveexec_b32 s22, s5
	s_cbranch_execz .LBB327_1522
; %bb.1517:                             ;   in Loop: Header=BB327_11 Depth=1
	v_and_b32_e32 v25, 0x7f, v29
	v_mov_b32_e32 v126, 0x7c01
	s_mov_b32 s23, exec_lo
	v_cmpx_ne_u32_e32 0x7f, v25
	s_cbranch_execz .LBB327_1521
; %bb.1518:                             ;   in Loop: Header=BB327_11 Depth=1
	v_and_b32_e32 v23, 7, v29
	v_lshrrev_b32_e32 v35, 3, v25
	s_mov_b32 s24, exec_lo
	v_cmpx_gt_u32_e32 8, v25
; %bb.1519:                             ;   in Loop: Header=BB327_11 Depth=1
	v_ffbh_u32_e32 v23, v23
	v_min_u32_e32 v23, 32, v23
	v_subrev_nc_u32_e32 v25, 28, v23
	v_sub_nc_u32_e32 v35, 29, v23
	v_lshlrev_b64 v[89:90], v25, v[7:8]
	v_and_b32_e32 v23, 7, v89
; %bb.1520:                             ;   in Loop: Header=BB327_11 Depth=1
	s_or_b32 exec_lo, exec_lo, s24
	v_lshlrev_b32_e32 v25, 8, v29
	v_lshl_add_u32 v35, v35, 10, 0x2000
	v_lshlrev_b32_e32 v23, 7, v23
	v_and_b32_e32 v25, 0x8000, v25
	v_and_b32_e32 v35, 0xfc00, v35
	v_or3_b32 v126, v25, v35, v23
.LBB327_1521:                           ;   in Loop: Header=BB327_11 Depth=1
	s_or_b32 exec_lo, exec_lo, s23
.LBB327_1522:                           ;   in Loop: Header=BB327_11 Depth=1
	s_or_b32 exec_lo, exec_lo, s22
.LBB327_1523:                           ;   in Loop: Header=BB327_11 Depth=1
	s_or_b32 exec_lo, exec_lo, s21
	v_lshrrev_b16 v7, 8, v7
	v_mov_b32_e32 v23, 0
	v_mov_b32_e32 v35, 0
	s_mov_b32 s21, exec_lo
	v_cmpx_ne_u16_e32 0, v7
	s_cbranch_execz .LBB327_1531
; %bb.1524:                             ;   in Loop: Header=BB327_11 Depth=1
	v_bfrev_b32_e32 v35, 1
	s_mov_b32 s22, exec_lo
	v_cmpx_ne_u16_e32 0x80, v7
	s_cbranch_execz .LBB327_1530
; %bb.1525:                             ;   in Loop: Header=BB327_11 Depth=1
	v_mov_b32_e32 v25, 0x7f
	v_mov_b32_e32 v35, 0x7c010000
	s_mov_b32 s23, exec_lo
	v_and_b32_sdwa v89, v7, v25 dst_sel:DWORD dst_unused:UNUSED_PAD src0_sel:WORD_0 src1_sel:DWORD
	v_cmpx_ne_u32_e32 0x7f, v89
	s_cbranch_execz .LBB327_1529
; %bb.1526:                             ;   in Loop: Header=BB327_11 Depth=1
	v_mov_b32_e32 v25, 7
	s_mov_b32 s24, exec_lo
	v_and_b32_sdwa v35, v7, v25 dst_sel:DWORD dst_unused:UNUSED_PAD src0_sel:WORD_0 src1_sel:DWORD
	v_lshrrev_b32_e32 v25, 3, v89
	v_cmpx_gt_u32_e32 8, v89
; %bb.1527:                             ;   in Loop: Header=BB327_11 Depth=1
	v_ffbh_u32_e32 v25, v35
	v_min_u32_e32 v25, 32, v25
	v_subrev_nc_u32_e32 v35, 28, v25
	v_sub_nc_u32_e32 v25, 29, v25
	v_lshlrev_b64 v[89:90], v35, v[7:8]
	v_and_b32_e32 v35, 7, v89
; %bb.1528:                             ;   in Loop: Header=BB327_11 Depth=1
	s_or_b32 exec_lo, exec_lo, s24
	v_mov_b32_e32 v49, 8
	v_lshl_add_u32 v25, v25, 10, 0x2000
	v_lshlrev_b32_sdwa v7, v49, v7 dst_sel:DWORD dst_unused:UNUSED_PAD src0_sel:DWORD src1_sel:WORD_0
	v_and_or_b32 v7, 0x8000, v7, v25
	v_lshlrev_b32_e32 v25, 23, v35
	v_lshl_or_b32 v35, v7, 16, v25
.LBB327_1529:                           ;   in Loop: Header=BB327_11 Depth=1
	s_or_b32 exec_lo, exec_lo, s23
.LBB327_1530:                           ;   in Loop: Header=BB327_11 Depth=1
	s_or_b32 exec_lo, exec_lo, s22
.LBB327_1531:                           ;   in Loop: Header=BB327_11 Depth=1
	s_or_b32 exec_lo, exec_lo, s21
	v_lshrrev_b32_e32 v7, 16, v29
	v_cmp_ne_u16_sdwa s5, v7, v8 src0_sel:BYTE_0 src1_sel:DWORD
	s_and_saveexec_b32 s21, s5
	s_cbranch_execz .LBB327_1539
; %bb.1532:                             ;   in Loop: Header=BB327_11 Depth=1
	v_cmp_ne_u16_sdwa s5, v7, v101 src0_sel:BYTE_0 src1_sel:DWORD
	v_mov_b32_e32 v23, 0x8000
	s_and_saveexec_b32 s22, s5
	s_cbranch_execz .LBB327_1538
; %bb.1533:                             ;   in Loop: Header=BB327_11 Depth=1
	v_bfe_u32 v89, v29, 16, 7
	v_mov_b32_e32 v23, 0x7c01
	s_mov_b32 s23, exec_lo
	v_cmpx_ne_u32_e32 0x7f, v89
	s_cbranch_execz .LBB327_1537
; %bb.1534:                             ;   in Loop: Header=BB327_11 Depth=1
	v_and_b32_e32 v23, 7, v7
	v_lshrrev_b32_e32 v25, 3, v89
	s_mov_b32 s24, exec_lo
	v_cmpx_gt_u32_e32 8, v89
; %bb.1535:                             ;   in Loop: Header=BB327_11 Depth=1
	v_ffbh_u32_e32 v23, v23
	v_min_u32_e32 v23, 32, v23
	v_subrev_nc_u32_e32 v25, 28, v23
	v_lshlrev_b64 v[89:90], v25, v[7:8]
	v_sub_nc_u32_e32 v25, 29, v23
	v_and_b32_e32 v23, 7, v89
; %bb.1536:                             ;   in Loop: Header=BB327_11 Depth=1
	s_or_b32 exec_lo, exec_lo, s24
	v_lshlrev_b32_e32 v7, 8, v7
	v_lshl_add_u32 v25, v25, 10, 0x2000
	v_lshlrev_b32_e32 v23, 7, v23
	v_and_b32_e32 v7, 0x8000, v7
	v_and_b32_e32 v25, 0xfc00, v25
	v_or3_b32 v23, v7, v25, v23
.LBB327_1537:                           ;   in Loop: Header=BB327_11 Depth=1
	s_or_b32 exec_lo, exec_lo, s23
.LBB327_1538:                           ;   in Loop: Header=BB327_11 Depth=1
	s_or_b32 exec_lo, exec_lo, s22
.LBB327_1539:                           ;   in Loop: Header=BB327_11 Depth=1
	s_or_b32 exec_lo, exec_lo, s21
	v_cmp_lt_u64_e64 s5, s[6:7], v[28:29]
	v_mov_b32_e32 v28, 0
	s_mov_b32 s21, exec_lo
	s_clause 0x2
	buffer_load_dword v49, off, s[0:3], s32 offset:464
	buffer_load_dword v7, off, s[0:3], s32 offset:468
	;; [unrolled: 1-line block ×3, first 2 shown]
	s_and_b32 s5, s21, s5
	s_mov_b32 exec_lo, s5
	s_cbranch_execz .LBB327_10
; %bb.1540:                             ;   in Loop: Header=BB327_11 Depth=1
	s_waitcnt vmcnt(1)
	v_lshrrev_b32_e32 v7, 24, v29
	v_bfrev_b32_e32 v28, 1
	s_mov_b32 s22, exec_lo
	v_cmpx_ne_u32_e32 0x80, v7
	s_cbranch_execz .LBB327_9
; %bb.1541:                             ;   in Loop: Header=BB327_11 Depth=1
	v_and_b32_e32 v29, 0x7f, v7
	v_mov_b32_e32 v28, 0x7c010000
	s_mov_b32 s23, exec_lo
	v_cmpx_ne_u32_e32 0x7f, v29
	s_cbranch_execz .LBB327_8
; %bb.1542:                             ;   in Loop: Header=BB327_11 Depth=1
	v_and_b32_e32 v28, 7, v7
	v_lshrrev_b32_e32 v25, 3, v29
	s_mov_b32 s24, exec_lo
	v_cmpx_gt_u32_e32 8, v29
	s_cbranch_execz .LBB327_7
; %bb.1543:                             ;   in Loop: Header=BB327_11 Depth=1
	v_ffbh_u32_e32 v25, v28
	v_min_u32_e32 v25, 32, v25
	v_subrev_nc_u32_e32 v28, 28, v25
	v_sub_nc_u32_e32 v25, 29, v25
	v_lshlrev_b64 v[28:29], v28, v[7:8]
	v_and_b32_e32 v28, 7, v28
	s_branch .LBB327_7
.LBB327_1544:
	s_or_b32 exec_lo, exec_lo, s17
	s_clause 0xf
	buffer_load_dword v95, off, s[0:3], s32 offset:896
	buffer_load_dword v96, off, s[0:3], s32 offset:900
	buffer_load_dword v11, off, s[0:3], s32 offset:904
	buffer_load_dword v10, off, s[0:3], s32 offset:908
	buffer_load_dword v15, off, s[0:3], s32 offset:912
	buffer_load_dword v14, off, s[0:3], s32 offset:916
	buffer_load_dword v22, off, s[0:3], s32 offset:920
	buffer_load_dword v24, off, s[0:3], s32 offset:924
	buffer_load_dword v25, off, s[0:3], s32 offset:928
	buffer_load_dword v26, off, s[0:3], s32 offset:932
	buffer_load_dword v16, off, s[0:3], s32 offset:936
	buffer_load_dword v17, off, s[0:3], s32 offset:940
	buffer_load_dword v12, off, s[0:3], s32 offset:944
	buffer_load_dword v34, off, s[0:3], s32 offset:948
	buffer_load_dword v35, off, s[0:3], s32 offset:952
	buffer_load_dword v19, off, s[0:3], s32 offset:956
.LBB327_1545:
	s_or_b32 exec_lo, exec_lo, s13
	v_mbcnt_lo_u32_b32 v0, -1, 0
	s_lshr_b32 s11, s11, 16
	v_xor_b32_e32 v1, 16, v0
	v_xor_b32_e32 v3, 8, v0
	v_xor_b32_e32 v5, 4, v0
	v_cmp_gt_i32_e32 vcc_lo, 32, v1
	v_cndmask_b32_e32 v1, v0, v1, vcc_lo
	v_cmp_gt_i32_e32 vcc_lo, 32, v3
	v_lshlrev_b32_e32 v2, 2, v1
	v_cndmask_b32_e32 v3, v0, v3, vcc_lo
	v_cmp_gt_i32_e32 vcc_lo, 32, v5
	ds_bpermute_b32 v1, v2, v4
	v_max_f32_e32 v4, v4, v4
	v_lshlrev_b32_e32 v3, 2, v3
	v_cndmask_b32_e32 v5, v0, v5, vcc_lo
	s_waitcnt lgkmcnt(0)
	v_max_f32_e32 v1, v1, v1
	v_max_f32_e32 v1, v4, v1
	ds_bpermute_b32 v4, v3, v1
	s_waitcnt lgkmcnt(0)
	v_max_f32_e32 v6, v4, v4
	v_lshlrev_b32_e32 v4, 2, v5
	v_max_f32_e32 v1, v1, v6
	v_xor_b32_e32 v6, 2, v0
	ds_bpermute_b32 v5, v4, v1
	v_cmp_gt_i32_e32 vcc_lo, 32, v6
	v_cndmask_b32_e32 v6, v0, v6, vcc_lo
	v_lshlrev_b32_e32 v18, 2, v6
	v_xor_b32_e32 v6, 1, v0
	v_cmp_gt_i32_e32 vcc_lo, 32, v6
	s_waitcnt lgkmcnt(0)
	v_max_f32_e32 v5, v5, v5
	v_cndmask_b32_e32 v6, v0, v6, vcc_lo
	v_max_f32_e32 v1, v1, v5
	v_lshlrev_b32_e32 v13, 2, v6
	ds_bpermute_b32 v5, v18, v1
	s_waitcnt lgkmcnt(0)
	v_max_f32_e32 v5, v5, v5
	v_max_f32_e32 v0, v1, v5
	buffer_load_dword v5, off, s[0:3], s32 offset:880 ; 4-byte Folded Reload
	ds_bpermute_b32 v1, v13, v0
	s_waitcnt vmcnt(0)
	v_cmp_eq_u32_e32 vcc_lo, 0, v5
	buffer_load_dword v5, off, s[0:3], s32 offset:884 ; 4-byte Folded Reload
	s_waitcnt vmcnt(0)
	v_lshlrev_b32_e32 v5, 2, v5
	s_and_saveexec_b32 s5, vcc_lo
	s_cbranch_execz .LBB327_1547
; %bb.1546:
	s_waitcnt lgkmcnt(0)
	v_max_f32_e32 v1, v1, v1
	v_max_f32_e32 v0, v0, v0
	;; [unrolled: 1-line block ×3, first 2 shown]
	ds_write_b32 v5, v0 offset:384
.LBB327_1547:
	s_or_b32 exec_lo, exec_lo, s5
	buffer_load_dword v0, off, s[0:3], s32 offset:880 ; 4-byte Folded Reload
	s_waitcnt vmcnt(0) lgkmcnt(0)
	s_waitcnt_vscnt null, 0x0
	s_barrier
	buffer_gl0_inv
	v_cmp_gt_u32_e64 s5, 4, v0
	v_mov_b32_e32 v0, 0xff7fffff
	s_and_saveexec_b32 s6, s5
; %bb.1548:
	ds_read_b32 v0, v19 offset:384
; %bb.1549:
	s_or_b32 exec_lo, exec_lo, s6
	buffer_load_dword v6, off, s[0:3], s32 offset:516 ; 4-byte Folded Reload
	s_waitcnt lgkmcnt(0)
	ds_bpermute_b32 v1, v18, v0
	v_max_f32_e32 v0, v0, v0
	s_waitcnt lgkmcnt(0)
	v_max_f32_e32 v1, v1, v1
	v_max_f32_e32 v0, v0, v1
	ds_bpermute_b32 v1, v13, v0
	s_waitcnt lgkmcnt(0)
	v_max_f32_e32 v1, v1, v1
	v_max_f32_e32 v0, v0, v1
	s_waitcnt vmcnt(0)
	v_subrev_nc_u32_e32 v7, s9, v6
	v_mov_b32_e32 v6, 0
	v_lshl_add_u32 v1, v7, 5, s20
	buffer_load_dword v7, off, s[0:3], s32 offset:876 ; 4-byte Folded Reload
	ds_bpermute_b32 v0, v6, v0
	v_min_i32_e32 v1, v1, v36
	v_subrev_nc_u32_e32 v1, s20, v1
	s_waitcnt vmcnt(0)
	v_cmp_lt_i32_e64 s6, v7, v1
	s_and_saveexec_b32 s9, s6
	s_cbranch_execz .LBB327_1553
; %bb.1550:
	buffer_load_dword v8, off, s[0:3], s32 offset:876 ; 4-byte Folded Reload
	s_getpc_b64 s[22:23]
	s_add_u32 s22, s22, llvm.amdgcn.dynlds.offset.table@rel32@lo+4
	s_addc_u32 s23, s23, llvm.amdgcn.dynlds.offset.table@rel32@hi+12
	s_ashr_i32 s17, s16, 31
	v_mov_b32_e32 v6, 0
	s_lshl_b64 s[24:25], s[16:17], 2
	s_mov_b32 s13, 0
	s_add_u32 s22, s22, s24
	s_addc_u32 s23, s23, s25
	s_load_dword s7, s[22:23], 0x0
	s_waitcnt vmcnt(0) lgkmcnt(0)
	v_lshl_add_u32 v7, v8, 2, s7
	.p2align	6
.LBB327_1551:                           ; =>This Inner Loop Header: Depth=1
	ds_read_b32 v9, v7
	v_add_nc_u32_e32 v8, 0x80, v8
	v_cmp_ge_i32_e64 s7, v8, v1
	s_or_b32 s13, s7, s13
	s_waitcnt lgkmcnt(0)
	v_sub_f32_e32 v9, v9, v0
	v_mul_f32_e32 v9, 0x3fb8aa3b, v9
	v_exp_f32_e32 v9, v9
	ds_write_b32 v7, v9
	v_add_f32_e32 v6, v6, v9
	v_add_nc_u32_e32 v7, 0x200, v7
	s_andn2_b32 exec_lo, exec_lo, s13
	s_cbranch_execnz .LBB327_1551
; %bb.1552:
	s_or_b32 exec_lo, exec_lo, s13
.LBB327_1553:
	s_or_b32 exec_lo, exec_lo, s9
	ds_bpermute_b32 v2, v2, v6
	s_waitcnt lgkmcnt(0)
	v_add_f32_e32 v2, v6, v2
	ds_bpermute_b32 v3, v3, v2
	s_waitcnt lgkmcnt(0)
	v_add_f32_e32 v2, v2, v3
	;; [unrolled: 3-line block ×5, first 2 shown]
	s_and_saveexec_b32 s7, vcc_lo
; %bb.1554:
	ds_write_b32 v5, v2 offset:400
; %bb.1555:
	s_or_b32 exec_lo, exec_lo, s7
	s_waitcnt lgkmcnt(0)
	s_barrier
	buffer_gl0_inv
	s_and_saveexec_b32 s7, s5
; %bb.1556:
	ds_read_b32 v2, v19 offset:400
; %bb.1557:
	s_or_b32 exec_lo, exec_lo, s7
	s_waitcnt lgkmcnt(0)
	ds_bpermute_b32 v3, v18, v2
	s_waitcnt lgkmcnt(0)
	v_add_f32_e32 v2, v2, v3
	ds_bpermute_b32 v3, v13, v2
	s_waitcnt lgkmcnt(0)
	v_add_f32_e32 v2, v2, v3
	v_mov_b32_e32 v3, 0
	ds_bpermute_b32 v2, v3, v2
	s_and_saveexec_b32 s5, s6
	s_cbranch_execz .LBB327_1560
; %bb.1558:
	s_waitcnt lgkmcnt(0)
	v_add_f32_e32 v4, 0x358637bd, v2
	s_getpc_b64 s[6:7]
	s_add_u32 s6, s6, llvm.amdgcn.dynlds.offset.table@rel32@lo+4
	s_addc_u32 s7, s7, llvm.amdgcn.dynlds.offset.table@rel32@hi+12
	s_ashr_i32 s17, s16, 31
	s_lshl_b64 s[22:23], s[16:17], 2
	v_div_scale_f32 v3, null, v4, v4, 1.0
	v_div_scale_f32 v7, vcc_lo, 1.0, v4, 1.0
	s_add_u32 s6, s6, s22
	v_rcp_f32_e32 v5, v3
	s_addc_u32 s7, s7, s23
	s_load_dword s6, s[6:7], 0x0
	v_fma_f32 v6, -v3, v5, 1.0
	v_fmac_f32_e32 v5, v6, v5
	v_mul_f32_e32 v6, v7, v5
	v_fma_f32 v8, -v3, v6, v7
	v_fmac_f32_e32 v6, v8, v5
	v_fma_f32 v3, -v3, v6, v7
	v_div_fmas_f32 v5, v3, v5, v6
	buffer_load_dword v6, off, s[0:3], s32 offset:876 ; 4-byte Folded Reload
	v_div_fixup_f32 v4, v5, v4, 1.0
	s_waitcnt vmcnt(0) lgkmcnt(0)
	v_lshl_add_u32 v3, v6, 2, s6
	v_mov_b32_e32 v5, v6
	s_mov_b32 s6, 0
.LBB327_1559:                           ; =>This Inner Loop Header: Depth=1
	ds_read_b32 v6, v3
	v_add_nc_u32_e32 v5, 0x80, v5
	v_cmp_ge_i32_e32 vcc_lo, v5, v1
	s_or_b32 s6, vcc_lo, s6
	s_waitcnt lgkmcnt(0)
	v_mul_f32_e32 v6, v4, v6
	ds_write_b32 v3, v6
	v_add_nc_u32_e32 v3, 0x200, v3
	s_andn2_b32 exec_lo, exec_lo, s6
	s_cbranch_execnz .LBB327_1559
.LBB327_1560:
	s_or_b32 exec_lo, exec_lo, s5
	s_waitcnt lgkmcnt(0)
	buffer_load_dword v1, off, s[0:3], s32 offset:876 ; 4-byte Folded Reload
	s_and_b32 s5, 0xffff, s11
	s_barrier
	s_cmp_lg_u32 s5, 0
	s_waitcnt vmcnt(0)
	buffer_gl0_inv
	s_cselect_b32 s5, -1, 0
	s_cmp_lg_u32 s5, 0
	s_addc_u32 s5, s8, 0
	s_mov_b32 s8, exec_lo
	s_mul_i32 s6, s5, s18
	s_mul_i32 s6, s6, s15
	v_cmpx_eq_u32_e32 0, v1
	s_cbranch_execz .LBB327_1562
; %bb.1561:
	s_ashr_i32 s7, s6, 31
	s_mul_i32 s12, s5, s12
	s_lshl_b64 s[22:23], s[6:7], 2
	s_ashr_i32 s13, s12, 31
	v_add_co_u32 v1, vcc_lo, v26, s22
	v_add_co_ci_u32_e64 v3, null, s23, v25, vcc_lo
	s_lshl_b64 s[12:13], s[12:13], 2
	s_ashr_i32 s15, s14, 31
	v_add_co_u32 v1, vcc_lo, v1, s12
	v_add_co_ci_u32_e64 v4, null, s13, v3, vcc_lo
	v_add_co_u32 v3, vcc_lo, v24, s22
	v_add_co_ci_u32_e64 v5, null, s23, v22, vcc_lo
	s_lshl_b64 s[22:23], s[14:15], 2
	v_add_co_u32 v6, vcc_lo, v3, s12
	v_add_co_ci_u32_e64 v7, null, s13, v5, vcc_lo
	v_add_co_u32 v3, vcc_lo, v1, s22
	v_add_co_ci_u32_e64 v4, null, s23, v4, vcc_lo
	;; [unrolled: 2-line block ×3, first 2 shown]
	flat_store_dword v[3:4], v0
	flat_store_dword v[5:6], v2
.LBB327_1562:
	s_or_b32 exec_lo, exec_lo, s8
	s_and_saveexec_b32 s7, s4
	s_xor_b32 s4, exec_lo, s7
; %bb.1563:
	s_ashr_i32 s17, s16, 31
                                        ; implicit-def: $vgpr0
                                        ; implicit-def: $vgpr36
                                        ; implicit-def: $vgpr16
                                        ; kill: killed $vgpr0
                                        ; implicit-def: $vgpr95
                                        ; implicit-def: $vgpr10
                                        ; implicit-def: $vgpr11
                                        ; implicit-def: $vgpr14
                                        ; implicit-def: $vgpr15
                                        ; implicit-def: $vgpr0
                                        ; kill: killed $vgpr0
                                        ; implicit-def: $vgpr120_vgpr121
                                        ; implicit-def: $vgpr17
                                        ; implicit-def: $vgpr12
                                        ; implicit-def: $vgpr34_vgpr35
; %bb.1564:
	s_or_saveexec_b32 s7, s4
	v_mov_b32_e32 v0, s16
	v_mov_b32_e32 v66, 0
	;; [unrolled: 1-line block ×26, first 2 shown]
	s_xor_b32 exec_lo, exec_lo, s7
	s_cbranch_execz .LBB327_3152
; %bb.1565:
	buffer_load_dword v0, off, s[0:3], s32 offset:876 ; 4-byte Folded Reload
	s_getpc_b64 s[8:9]
	s_add_u32 s8, s8, llvm.amdgcn.dynlds.offset.table@rel32@lo+4
	s_addc_u32 s9, s9, llvm.amdgcn.dynlds.offset.table@rel32@hi+12
	s_ashr_i32 s17, s16, 31
	v_add_co_u32 v14, vcc_lo, v14, v34
	s_lshl_b64 s[12:13], s[16:17], 2
	v_add_co_ci_u32_e64 v15, null, v15, v35, vcc_lo
	s_add_u32 s8, s8, s12
	s_addc_u32 s9, s9, s13
	v_add_co_u32 v2, vcc_lo, v10, v17
	s_load_dword s4, s[8:9], 0x0
	v_add_co_ci_u32_e64 v3, null, v11, v12, vcc_lo
	v_add_nc_u32_e32 v16, -1, v16
	v_mov_b32_e32 v1, 0
	v_mov_b32_e32 v17, 0x80
	;; [unrolled: 1-line block ×5, first 2 shown]
	s_lshl_b32 s8, s20, 2
	v_mov_b32_e32 v19, 0
	v_mov_b32_e32 v20, 0
	;; [unrolled: 1-line block ×24, first 2 shown]
	s_waitcnt lgkmcnt(0)
	s_sub_i32 s11, s4, s8
	s_mov_b32 s8, -1
	s_mov_b32 s9, 0xffffff
	s_mov_b32 s12, 0
	s_waitcnt vmcnt(0)
	v_lshlrev_b32_e32 v0, 3, v0
	v_and_b32_e32 v4, 0xf8, v0
	v_and_b32_e32 v70, 24, v0
	v_add_co_u32 v2, vcc_lo, v2, v4
	v_add_co_ci_u32_e64 v3, null, 0, v3, vcc_lo
	s_branch .LBB327_1567
.LBB327_1566:                           ;   in Loop: Header=BB327_1567 Depth=1
	s_or_b32 exec_lo, exec_lo, s4
	v_add_f32_e32 v6, v6, v72
	v_add_f32_e32 v4, v4, v5
	;; [unrolled: 1-line block ×16, first 2 shown]
	;;#ASMSTART
	v_pk_mul_f16 v5, v83, v77;

	;;#ASMEND
	v_add_f32_e32 v48, v48, v6
	v_add_f32_e32 v6, v117, v118
	;;#ASMSTART
	v_pk_mul_f16 v0, v82, v0;

	;;#ASMEND
	v_add_f32_e32 v67, v67, v4
	v_add_f32_e32 v20, v20, v9
	;; [unrolled: 1-line block ×4, first 2 shown]
	;;#ASMSTART
	v_pk_mul_f16 v6, v81, v8;

	;;#ASMEND
	;;#ASMSTART
	v_pk_mul_f16 v7, v80, v7;

	;;#ASMEND
	;;#ASMSTART
	v_pk_add_f16 v0, v5, v0;

	;;#ASMEND
	;;#ASMSTART
	v_pk_add_f16 v0, v0, v6;
	;; [unrolled: 4-line block ×3, first 2 shown]

	;;#ASMEND
	v_and_b32_e32 v6, 0xffff, v0
	v_lshrrev_b32_e32 v7, 16, v0
	;;#ASMSTART
	v_cvt_f32_f16 v6, v6;
	;;#ASMEND
	;;#ASMSTART
	v_cvt_f32_f16 v7, v7;
	;;#ASMEND
	buffer_load_dword v4, off, s[0:3], s32 offset:516 ; 4-byte Folded Reload
	v_add_f32_e32 v9, v58, v59
	v_add_f32_e32 v10, v37, v57
	v_add_nc_u32_e32 v95, 4, v95
	v_add_f32_e32 v26, v73, v74
	v_add_f32_e32 v27, v62, v63
	;; [unrolled: 1-line block ×24, first 2 shown]
	s_waitcnt vmcnt(0)
	v_cmp_ge_i32_e32 vcc_lo, v95, v4
	s_or_b32 s12, vcc_lo, s12
	s_andn2_b32 exec_lo, exec_lo, s12
	s_cbranch_execz .LBB327_3151
.LBB327_1567:                           ; =>This Inner Loop Header: Depth=1
	v_ashrrev_i32_e32 v96, 31, v95
	v_lshl_or_b32 v71, v95, 5, v70
	v_mov_b32_e32 v37, 0
	v_lshlrev_b64 v[4:5], 2, v[95:96]
	v_add_co_u32 v4, vcc_lo, v14, v4
	v_add_co_ci_u32_e64 v5, null, v15, v5, vcc_lo
	flat_load_dword v0, v[4:5]
	v_lshl_add_u32 v4, v71, 2, s11
	ds_read2_b64 v[8:11], v4 offset1:1
	ds_read2_b64 v[80:83], v4 offset0:2 offset1:3
	s_waitcnt lgkmcnt(1)
	;;#ASMSTART
	v_cvt_f16_f32 v4, v8;

	;;#ASMEND
	buffer_load_dword v5, off, s[0:3], s32 offset:512 ; 4-byte Folded Reload
	s_waitcnt vmcnt(0)
	v_mad_i64_i32 v[7:8], null, v0, v5, v[2:3]
	;;#ASMSTART
	v_cvt_f16_f32 v5, v9;

	;;#ASMEND
	;;#ASMSTART
	v_cvt_f16_f32 v22, v10;

	;;#ASMEND
	;; [unrolled: 4-line block ×3, first 2 shown]
	s_waitcnt lgkmcnt(0)
	;;#ASMSTART
	v_cvt_f16_f32 v23, v80;

	;;#ASMEND
	;;#ASMSTART
	v_cvt_f16_f32 v11, v81;

	;;#ASMEND
	;; [unrolled: 4-line block ×4, first 2 shown]
	flat_load_dwordx2 v[9:10], v[7:8]
	flat_load_dword v35, v[120:121]
	s_waitcnt vmcnt(1) lgkmcnt(1)
	v_cmp_ne_u16_sdwa s13, v9, v1 src0_sel:BYTE_0 src1_sel:DWORD
	s_and_saveexec_b32 s4, s13
	s_cbranch_execz .LBB327_1575
; %bb.1568:                             ;   in Loop: Header=BB327_1567 Depth=1
	v_cmp_ne_u16_sdwa s15, v9, v17 src0_sel:BYTE_0 src1_sel:DWORD
	v_mov_b32_e32 v37, 0x8000
	s_and_saveexec_b32 s13, s15
	s_cbranch_execz .LBB327_1574
; %bb.1569:                             ;   in Loop: Header=BB327_1567 Depth=1
	v_and_b32_e32 v80, 0x7f, v9
	v_mov_b32_e32 v37, 0x7c01
	s_mov_b32 s15, exec_lo
	v_cmpx_ne_u32_e32 0x7f, v80
	s_cbranch_execz .LBB327_1573
; %bb.1570:                             ;   in Loop: Header=BB327_1567 Depth=1
	v_and_b32_e32 v0, 7, v9
	v_lshrrev_b32_e32 v37, 3, v80
	s_mov_b32 s18, exec_lo
	v_cmpx_gt_u32_e32 8, v80
; %bb.1571:                             ;   in Loop: Header=BB327_1567 Depth=1
	v_ffbh_u32_e32 v0, v0
	v_min_u32_e32 v0, 32, v0
	v_subrev_nc_u32_e32 v26, 28, v0
	v_sub_nc_u32_e32 v37, 29, v0
	v_lshlrev_b64 v[26:27], v26, v[9:10]
	v_and_b32_e32 v0, 7, v26
; %bb.1572:                             ;   in Loop: Header=BB327_1567 Depth=1
	s_or_b32 exec_lo, exec_lo, s18
	v_lshlrev_b32_e32 v26, 8, v9
	v_lshl_add_u32 v27, v37, 10, 0x2000
	v_lshlrev_b32_e32 v0, 7, v0
	v_and_b32_e32 v26, 0x8000, v26
	v_and_b32_e32 v27, 0xfc00, v27
	v_or3_b32 v37, v26, v27, v0
.LBB327_1573:                           ;   in Loop: Header=BB327_1567 Depth=1
	s_or_b32 exec_lo, exec_lo, s15
.LBB327_1574:                           ;   in Loop: Header=BB327_1567 Depth=1
	s_or_b32 exec_lo, exec_lo, s13
.LBB327_1575:                           ;   in Loop: Header=BB327_1567 Depth=1
	s_or_b32 exec_lo, exec_lo, s4
	v_lshrrev_b16 v0, 8, v9
	v_mov_b32_e32 v81, 0
	v_mov_b32_e32 v80, 0
	s_mov_b32 s4, exec_lo
	v_cmpx_ne_u16_e32 0, v0
	s_cbranch_execz .LBB327_1583
; %bb.1576:                             ;   in Loop: Header=BB327_1567 Depth=1
	v_bfrev_b32_e32 v80, 1
	s_mov_b32 s13, exec_lo
	v_cmpx_ne_u16_e32 0x80, v0
	s_cbranch_execz .LBB327_1582
; %bb.1577:                             ;   in Loop: Header=BB327_1567 Depth=1
	v_and_b32_sdwa v83, v0, v38 dst_sel:DWORD dst_unused:UNUSED_PAD src0_sel:WORD_0 src1_sel:DWORD
	v_mov_b32_e32 v80, 0x7c010000
	s_mov_b32 s15, exec_lo
	v_cmpx_ne_u32_e32 0x7f, v83
	s_cbranch_execz .LBB327_1581
; %bb.1578:                             ;   in Loop: Header=BB327_1567 Depth=1
	v_and_b32_sdwa v80, v0, v39 dst_sel:DWORD dst_unused:UNUSED_PAD src0_sel:WORD_0 src1_sel:DWORD
	v_lshrrev_b32_e32 v82, 3, v83
	s_mov_b32 s18, exec_lo
	v_cmpx_gt_u32_e32 8, v83
; %bb.1579:                             ;   in Loop: Header=BB327_1567 Depth=1
	v_ffbh_u32_e32 v26, v80
	v_min_u32_e32 v80, 32, v26
	v_subrev_nc_u32_e32 v26, 28, v80
	v_sub_nc_u32_e32 v82, 29, v80
	v_lshlrev_b64 v[26:27], v26, v[0:1]
	v_and_b32_e32 v80, 7, v26
; %bb.1580:                             ;   in Loop: Header=BB327_1567 Depth=1
	s_or_b32 exec_lo, exec_lo, s18
	v_lshlrev_b32_sdwa v0, v69, v0 dst_sel:DWORD dst_unused:UNUSED_PAD src0_sel:DWORD src1_sel:WORD_0
	v_lshl_add_u32 v26, v82, 10, 0x2000
	v_and_or_b32 v0, 0x8000, v0, v26
	v_lshlrev_b32_e32 v26, 23, v80
	v_lshl_or_b32 v80, v0, 16, v26
.LBB327_1581:                           ;   in Loop: Header=BB327_1567 Depth=1
	s_or_b32 exec_lo, exec_lo, s15
.LBB327_1582:                           ;   in Loop: Header=BB327_1567 Depth=1
	s_or_b32 exec_lo, exec_lo, s13
.LBB327_1583:                           ;   in Loop: Header=BB327_1567 Depth=1
	s_or_b32 exec_lo, exec_lo, s4
	v_lshrrev_b32_e32 v0, 16, v9
	v_cmp_ne_u16_sdwa s13, v0, v1 src0_sel:BYTE_0 src1_sel:DWORD
	s_and_saveexec_b32 s4, s13
	s_cbranch_execz .LBB327_1591
; %bb.1584:                             ;   in Loop: Header=BB327_1567 Depth=1
	v_cmp_ne_u16_sdwa s15, v0, v17 src0_sel:BYTE_0 src1_sel:DWORD
	v_mov_b32_e32 v81, 0x8000
	s_and_saveexec_b32 s13, s15
	s_cbranch_execz .LBB327_1590
; %bb.1585:                             ;   in Loop: Header=BB327_1567 Depth=1
	v_bfe_u32 v83, v9, 16, 7
	v_mov_b32_e32 v81, 0x7c01
	s_mov_b32 s15, exec_lo
	v_cmpx_ne_u32_e32 0x7f, v83
	s_cbranch_execz .LBB327_1589
; %bb.1586:                             ;   in Loop: Header=BB327_1567 Depth=1
	v_and_b32_e32 v81, 7, v0
	v_lshrrev_b32_e32 v82, 3, v83
	s_mov_b32 s18, exec_lo
	v_cmpx_gt_u32_e32 8, v83
; %bb.1587:                             ;   in Loop: Header=BB327_1567 Depth=1
	v_ffbh_u32_e32 v26, v81
	v_min_u32_e32 v81, 32, v26
	v_subrev_nc_u32_e32 v26, 28, v81
	v_sub_nc_u32_e32 v82, 29, v81
	v_lshlrev_b64 v[26:27], v26, v[0:1]
	v_and_b32_e32 v81, 7, v26
; %bb.1588:                             ;   in Loop: Header=BB327_1567 Depth=1
	s_or_b32 exec_lo, exec_lo, s18
	v_lshlrev_b32_e32 v0, 8, v0
	v_lshl_add_u32 v26, v82, 10, 0x2000
	v_lshlrev_b32_e32 v27, 7, v81
	v_and_b32_e32 v0, 0x8000, v0
	v_and_b32_e32 v26, 0xfc00, v26
	v_or3_b32 v81, v0, v26, v27
.LBB327_1589:                           ;   in Loop: Header=BB327_1567 Depth=1
	s_or_b32 exec_lo, exec_lo, s15
.LBB327_1590:                           ;   in Loop: Header=BB327_1567 Depth=1
	s_or_b32 exec_lo, exec_lo, s13
.LBB327_1591:                           ;   in Loop: Header=BB327_1567 Depth=1
	s_or_b32 exec_lo, exec_lo, s4
	v_mov_b32_e32 v82, 0
	v_mov_b32_e32 v83, 0
	s_mov_b32 s4, exec_lo
	v_cmpx_lt_u32_e32 0xffffff, v9
	s_cbranch_execz .LBB327_1599
; %bb.1592:                             ;   in Loop: Header=BB327_1567 Depth=1
	v_lshrrev_b32_e32 v0, 24, v9
	v_bfrev_b32_e32 v83, 1
	s_mov_b32 s13, exec_lo
	v_cmpx_ne_u32_e32 0x80, v0
	s_cbranch_execz .LBB327_1598
; %bb.1593:                             ;   in Loop: Header=BB327_1567 Depth=1
	v_and_b32_e32 v85, 0x7f, v0
	v_mov_b32_e32 v83, 0x7c010000
	s_mov_b32 s15, exec_lo
	v_cmpx_ne_u32_e32 0x7f, v85
	s_cbranch_execz .LBB327_1597
; %bb.1594:                             ;   in Loop: Header=BB327_1567 Depth=1
	v_and_b32_e32 v83, 7, v0
	v_lshrrev_b32_e32 v84, 3, v85
	s_mov_b32 s18, exec_lo
	v_cmpx_gt_u32_e32 8, v85
; %bb.1595:                             ;   in Loop: Header=BB327_1567 Depth=1
	v_ffbh_u32_e32 v26, v83
	v_min_u32_e32 v83, 32, v26
	v_subrev_nc_u32_e32 v26, 28, v83
	v_sub_nc_u32_e32 v84, 29, v83
	v_lshlrev_b64 v[26:27], v26, v[0:1]
	v_and_b32_e32 v83, 7, v26
; %bb.1596:                             ;   in Loop: Header=BB327_1567 Depth=1
	s_or_b32 exec_lo, exec_lo, s18
	v_lshlrev_b32_e32 v0, 8, v0
	v_lshl_add_u32 v26, v84, 10, 0x2000
	v_and_or_b32 v0, 0x8000, v0, v26
	v_lshlrev_b32_e32 v26, 23, v83
	v_lshl_or_b32 v83, v0, 16, v26
.LBB327_1597:                           ;   in Loop: Header=BB327_1567 Depth=1
	s_or_b32 exec_lo, exec_lo, s15
.LBB327_1598:                           ;   in Loop: Header=BB327_1567 Depth=1
	s_or_b32 exec_lo, exec_lo, s13
.LBB327_1599:                           ;   in Loop: Header=BB327_1567 Depth=1
	s_or_b32 exec_lo, exec_lo, s4
	v_mov_b32_e32 v0, v10
	v_cmp_ne_u16_sdwa s13, v10, v1 src0_sel:BYTE_0 src1_sel:DWORD
	s_and_saveexec_b32 s4, s13
	s_cbranch_execz .LBB327_1607
; %bb.1600:                             ;   in Loop: Header=BB327_1567 Depth=1
	v_cmp_ne_u16_sdwa s15, v10, v17 src0_sel:BYTE_0 src1_sel:DWORD
	v_mov_b32_e32 v82, 0x8000
	s_and_saveexec_b32 s13, s15
	s_cbranch_execz .LBB327_1606
; %bb.1601:                             ;   in Loop: Header=BB327_1567 Depth=1
	v_and_b32_e32 v85, 0x7f, v10
	v_mov_b32_e32 v82, 0x7c01
	s_mov_b32 s15, exec_lo
	v_cmpx_ne_u32_e32 0x7f, v85
	s_cbranch_execz .LBB327_1605
; %bb.1602:                             ;   in Loop: Header=BB327_1567 Depth=1
	v_and_b32_e32 v82, 7, v10
	v_lshrrev_b32_e32 v84, 3, v85
	s_mov_b32 s18, exec_lo
	v_cmpx_gt_u32_e32 8, v85
; %bb.1603:                             ;   in Loop: Header=BB327_1567 Depth=1
	v_ffbh_u32_e32 v26, v82
	v_min_u32_e32 v82, 32, v26
	v_subrev_nc_u32_e32 v26, 28, v82
	v_sub_nc_u32_e32 v84, 29, v82
	v_lshlrev_b64 v[26:27], v26, v[0:1]
	v_and_b32_e32 v82, 7, v26
; %bb.1604:                             ;   in Loop: Header=BB327_1567 Depth=1
	s_or_b32 exec_lo, exec_lo, s18
	v_lshlrev_b32_e32 v26, 8, v10
	v_lshl_add_u32 v27, v84, 10, 0x2000
	v_lshlrev_b32_e32 v82, 7, v82
	v_and_b32_e32 v26, 0x8000, v26
	v_and_b32_e32 v27, 0xfc00, v27
	v_or3_b32 v82, v26, v27, v82
.LBB327_1605:                           ;   in Loop: Header=BB327_1567 Depth=1
	s_or_b32 exec_lo, exec_lo, s15
.LBB327_1606:                           ;   in Loop: Header=BB327_1567 Depth=1
	s_or_b32 exec_lo, exec_lo, s13
.LBB327_1607:                           ;   in Loop: Header=BB327_1567 Depth=1
	s_or_b32 exec_lo, exec_lo, s4
	v_lshrrev_b16 v0, 8, v0
	v_mov_b32_e32 v85, 0
	v_mov_b32_e32 v84, 0
	s_mov_b32 s4, exec_lo
	v_cmpx_ne_u16_e32 0, v0
	s_cbranch_execz .LBB327_1615
; %bb.1608:                             ;   in Loop: Header=BB327_1567 Depth=1
	v_bfrev_b32_e32 v84, 1
	s_mov_b32 s13, exec_lo
	v_cmpx_ne_u16_e32 0x80, v0
	s_cbranch_execz .LBB327_1614
; %bb.1609:                             ;   in Loop: Header=BB327_1567 Depth=1
	v_and_b32_sdwa v87, v0, v38 dst_sel:DWORD dst_unused:UNUSED_PAD src0_sel:WORD_0 src1_sel:DWORD
	v_mov_b32_e32 v84, 0x7c010000
	s_mov_b32 s15, exec_lo
	v_cmpx_ne_u32_e32 0x7f, v87
	s_cbranch_execz .LBB327_1613
; %bb.1610:                             ;   in Loop: Header=BB327_1567 Depth=1
	v_and_b32_sdwa v84, v0, v39 dst_sel:DWORD dst_unused:UNUSED_PAD src0_sel:WORD_0 src1_sel:DWORD
	v_lshrrev_b32_e32 v86, 3, v87
	s_mov_b32 s18, exec_lo
	v_cmpx_gt_u32_e32 8, v87
; %bb.1611:                             ;   in Loop: Header=BB327_1567 Depth=1
	v_ffbh_u32_e32 v26, v84
	v_min_u32_e32 v84, 32, v26
	v_subrev_nc_u32_e32 v26, 28, v84
	v_sub_nc_u32_e32 v86, 29, v84
	v_lshlrev_b64 v[26:27], v26, v[0:1]
	v_and_b32_e32 v84, 7, v26
; %bb.1612:                             ;   in Loop: Header=BB327_1567 Depth=1
	s_or_b32 exec_lo, exec_lo, s18
	v_lshlrev_b32_sdwa v0, v69, v0 dst_sel:DWORD dst_unused:UNUSED_PAD src0_sel:DWORD src1_sel:WORD_0
	v_lshl_add_u32 v26, v86, 10, 0x2000
	v_and_or_b32 v0, 0x8000, v0, v26
	v_lshlrev_b32_e32 v26, 23, v84
	v_lshl_or_b32 v84, v0, 16, v26
.LBB327_1613:                           ;   in Loop: Header=BB327_1567 Depth=1
	s_or_b32 exec_lo, exec_lo, s15
.LBB327_1614:                           ;   in Loop: Header=BB327_1567 Depth=1
	s_or_b32 exec_lo, exec_lo, s13
.LBB327_1615:                           ;   in Loop: Header=BB327_1567 Depth=1
	s_or_b32 exec_lo, exec_lo, s4
	v_lshrrev_b32_e32 v0, 16, v10
	v_cmp_ne_u16_sdwa s13, v0, v1 src0_sel:BYTE_0 src1_sel:DWORD
	s_and_saveexec_b32 s4, s13
	s_cbranch_execz .LBB327_1623
; %bb.1616:                             ;   in Loop: Header=BB327_1567 Depth=1
	v_cmp_ne_u16_sdwa s15, v0, v17 src0_sel:BYTE_0 src1_sel:DWORD
	v_mov_b32_e32 v85, 0x8000
	s_and_saveexec_b32 s13, s15
	s_cbranch_execz .LBB327_1622
; %bb.1617:                             ;   in Loop: Header=BB327_1567 Depth=1
	v_bfe_u32 v87, v10, 16, 7
	v_mov_b32_e32 v85, 0x7c01
	s_mov_b32 s15, exec_lo
	v_cmpx_ne_u32_e32 0x7f, v87
	s_cbranch_execz .LBB327_1621
; %bb.1618:                             ;   in Loop: Header=BB327_1567 Depth=1
	v_and_b32_e32 v85, 7, v0
	v_lshrrev_b32_e32 v86, 3, v87
	s_mov_b32 s18, exec_lo
	v_cmpx_gt_u32_e32 8, v87
; %bb.1619:                             ;   in Loop: Header=BB327_1567 Depth=1
	v_ffbh_u32_e32 v26, v85
	v_min_u32_e32 v85, 32, v26
	v_subrev_nc_u32_e32 v26, 28, v85
	v_sub_nc_u32_e32 v86, 29, v85
	v_lshlrev_b64 v[26:27], v26, v[0:1]
	v_and_b32_e32 v85, 7, v26
; %bb.1620:                             ;   in Loop: Header=BB327_1567 Depth=1
	s_or_b32 exec_lo, exec_lo, s18
	v_lshlrev_b32_e32 v0, 8, v0
	v_lshl_add_u32 v26, v86, 10, 0x2000
	v_lshlrev_b32_e32 v27, 7, v85
	v_and_b32_e32 v0, 0x8000, v0
	v_and_b32_e32 v26, 0xfc00, v26
	v_or3_b32 v85, v0, v26, v27
.LBB327_1621:                           ;   in Loop: Header=BB327_1567 Depth=1
	s_or_b32 exec_lo, exec_lo, s15
.LBB327_1622:                           ;   in Loop: Header=BB327_1567 Depth=1
	s_or_b32 exec_lo, exec_lo, s13
.LBB327_1623:                           ;   in Loop: Header=BB327_1567 Depth=1
	s_or_b32 exec_lo, exec_lo, s4
	v_cmp_lt_u64_e32 vcc_lo, s[8:9], v[9:10]
	v_mov_b32_e32 v9, 0
	s_and_saveexec_b32 s4, vcc_lo
	s_cbranch_execz .LBB327_1631
; %bb.1624:                             ;   in Loop: Header=BB327_1567 Depth=1
	v_lshrrev_b32_e32 v0, 24, v10
	v_bfrev_b32_e32 v9, 1
	s_mov_b32 s13, exec_lo
	v_cmpx_ne_u32_e32 0x80, v0
	s_cbranch_execz .LBB327_1630
; %bb.1625:                             ;   in Loop: Header=BB327_1567 Depth=1
	v_and_b32_e32 v86, 0x7f, v0
	v_mov_b32_e32 v9, 0x7c010000
	s_mov_b32 s15, exec_lo
	v_cmpx_ne_u32_e32 0x7f, v86
	s_cbranch_execz .LBB327_1629
; %bb.1626:                             ;   in Loop: Header=BB327_1567 Depth=1
	v_and_b32_e32 v9, 7, v0
	v_lshrrev_b32_e32 v10, 3, v86
	s_mov_b32 s18, exec_lo
	v_cmpx_gt_u32_e32 8, v86
; %bb.1627:                             ;   in Loop: Header=BB327_1567 Depth=1
	v_ffbh_u32_e32 v9, v9
	v_min_u32_e32 v26, 32, v9
	v_subrev_nc_u32_e32 v9, 28, v26
	v_lshlrev_b64 v[9:10], v9, v[0:1]
	v_sub_nc_u32_e32 v10, 29, v26
	v_and_b32_e32 v9, 7, v9
; %bb.1628:                             ;   in Loop: Header=BB327_1567 Depth=1
	s_or_b32 exec_lo, exec_lo, s18
	v_lshlrev_b32_e32 v0, 8, v0
	v_lshl_add_u32 v10, v10, 10, 0x2000
	v_lshlrev_b32_e32 v9, 23, v9
	v_and_or_b32 v0, 0x8000, v0, v10
	v_lshl_or_b32 v9, v0, 16, v9
.LBB327_1629:                           ;   in Loop: Header=BB327_1567 Depth=1
	s_or_b32 exec_lo, exec_lo, s15
.LBB327_1630:                           ;   in Loop: Header=BB327_1567 Depth=1
	s_or_b32 exec_lo, exec_lo, s13
.LBB327_1631:                           ;   in Loop: Header=BB327_1567 Depth=1
	s_or_b32 exec_lo, exec_lo, s4
	v_or_b32_e32 v0, v83, v81
	v_or_b32_e32 v26, v80, v37
	s_waitcnt vmcnt(0) lgkmcnt(0)
	v_fma_mixlo_f16 v27, v35, v80, 0 op_sel:[0,1,0] op_sel_hi:[0,1,0]
	v_or_b32_e32 v37, v84, v82
	v_or_b32_e32 v81, v9, v85
	v_fma_mixlo_f16 v0, v35, v0, 0 op_sel_hi:[0,1,0]
	v_fma_mixlo_f16 v10, v35, v83, 0 op_sel:[0,1,0] op_sel_hi:[0,1,0]
	v_lshlrev_b32_e32 v83, 16, v27
	v_fma_mixlo_f16 v26, v35, v26, 0 op_sel_hi:[0,1,0]
	v_fma_mixlo_f16 v27, v35, v37, 0 op_sel_hi:[0,1,0]
	v_and_b32_e32 v80, 0xffff, v0
	v_fma_mixlo_f16 v0, v35, v84, 0 op_sel:[0,1,0] op_sel_hi:[0,1,0]
	v_fma_mixlo_f16 v9, v35, v9, 0 op_sel:[0,1,0] op_sel_hi:[0,1,0]
	v_fma_mixlo_f16 v35, v35, v81, 0 op_sel_hi:[0,1,0]
	v_lshlrev_b32_e32 v10, 16, v10
	v_and_b32_e32 v101, 0xffff, v26
	v_lshlrev_b32_e32 v81, 16, v0
	v_and_b32_e32 v85, 0xffff, v27
	;; [unrolled: 2-line block ×3, first 2 shown]
	v_cmp_eq_u32_e32 vcc_lo, v95, v16
	v_or_b32_e32 v0, v10, v80
	v_or_b32_e32 v9, v83, v101
	;; [unrolled: 1-line block ×11, first 2 shown]
	s_and_saveexec_b32 s13, vcc_lo
	s_cbranch_execz .LBB327_1633
; %bb.1632:                             ;   in Loop: Header=BB327_1567 Depth=1
	v_cmp_lt_i32_e64 s4, v71, v36
	v_cndmask_b32_e64 v0, 0, v101, s4
	v_cmp_lt_i32_e64 s4, v100, v36
	v_cndmask_b32_e64 v9, 0, v83, s4
	v_cmp_lt_i32_e64 s4, v99, v36
	v_or_b32_e32 v9, v0, v9
	v_cndmask_b32_e64 v26, 0, v80, s4
	v_cmp_lt_i32_e64 s4, v98, v36
	v_cndmask_b32_e64 v10, 0, v10, s4
	v_cmp_lt_i32_e64 s4, v97, v36
	v_or_b32_e32 v0, v26, v10
	;; [unrolled: 5-line block ×3, first 2 shown]
	v_cndmask_b32_e64 v80, 0, v82, s4
	v_cmp_lt_i32_e64 s4, v86, v36
	v_cndmask_b32_e64 v37, 0, v37, s4
	v_or_b32_e32 v84, v80, v37
.LBB327_1633:                           ;   in Loop: Header=BB327_1567 Depth=1
	s_or_b32 exec_lo, exec_lo, s13
	v_and_b32_e32 v4, 0xffff, v4
	v_and_b32_e32 v10, 0xffff, v22
	v_and_b32_e32 v22, 0xffff, v23
	v_and_b32_e32 v23, 0xffff, v34
	v_lshl_or_b32 v83, v5, 16, v4
	v_lshl_or_b32 v82, v6, 16, v10
	;;#ASMSTART
	v_pk_mul_f16 v4, v83, v9;

	;;#ASMEND
	;;#ASMSTART
	v_pk_mul_f16 v0, v82, v0;

	;;#ASMEND
	v_lshl_or_b32 v81, v11, 16, v22
	v_lshl_or_b32 v80, v12, 16, v23
	;;#ASMSTART
	v_pk_mul_f16 v5, v81, v35;

	;;#ASMEND
	;;#ASMSTART
	v_pk_mul_f16 v6, v80, v84;

	;;#ASMEND
	;;#ASMSTART
	v_pk_add_f16 v0, v4, v0;

	;;#ASMEND
	;;#ASMSTART
	v_pk_add_f16 v0, v0, v5;
	;; [unrolled: 4-line block ×3, first 2 shown]

	;;#ASMEND
	v_and_b32_e32 v4, 0xffff, v0
	v_lshrrev_b32_e32 v0, 16, v0
	;;#ASMSTART
	v_cvt_f32_f16 v84, v4;
	;;#ASMEND
	;;#ASMSTART
	v_cvt_f32_f16 v85, v0;
	;;#ASMEND
	flat_load_dwordx2 v[9:10], v[7:8] offset:256
	flat_load_dword v4, v[120:121]
	v_mov_b32_e32 v5, 0
	v_mov_b32_e32 v6, 0
	s_waitcnt vmcnt(1) lgkmcnt(1)
	v_cmp_ne_u16_sdwa s4, v9, v1 src0_sel:BYTE_0 src1_sel:DWORD
	s_and_saveexec_b32 s13, s4
	s_cbranch_execz .LBB327_1641
; %bb.1634:                             ;   in Loop: Header=BB327_1567 Depth=1
	v_cmp_ne_u16_sdwa s4, v9, v17 src0_sel:BYTE_0 src1_sel:DWORD
	v_mov_b32_e32 v6, 0x8000
	s_and_saveexec_b32 s15, s4
	s_cbranch_execz .LBB327_1640
; %bb.1635:                             ;   in Loop: Header=BB327_1567 Depth=1
	v_and_b32_e32 v11, 0x7f, v9
	v_mov_b32_e32 v6, 0x7c01
	s_mov_b32 s18, exec_lo
	v_cmpx_ne_u32_e32 0x7f, v11
	s_cbranch_execz .LBB327_1639
; %bb.1636:                             ;   in Loop: Header=BB327_1567 Depth=1
	v_and_b32_e32 v0, 7, v9
	v_lshrrev_b32_e32 v6, 3, v11
	s_mov_b32 s20, exec_lo
	v_cmpx_gt_u32_e32 8, v11
; %bb.1637:                             ;   in Loop: Header=BB327_1567 Depth=1
	v_ffbh_u32_e32 v0, v0
	v_min_u32_e32 v0, 32, v0
	v_subrev_nc_u32_e32 v6, 28, v0
	v_lshlrev_b64 v[11:12], v6, v[9:10]
	v_sub_nc_u32_e32 v6, 29, v0
	v_and_b32_e32 v0, 7, v11
; %bb.1638:                             ;   in Loop: Header=BB327_1567 Depth=1
	s_or_b32 exec_lo, exec_lo, s20
	v_lshlrev_b32_e32 v11, 8, v9
	v_lshl_add_u32 v6, v6, 10, 0x2000
	v_lshlrev_b32_e32 v0, 7, v0
	v_and_b32_e32 v11, 0x8000, v11
	v_and_b32_e32 v6, 0xfc00, v6
	v_or3_b32 v6, v11, v6, v0
.LBB327_1639:                           ;   in Loop: Header=BB327_1567 Depth=1
	s_or_b32 exec_lo, exec_lo, s18
.LBB327_1640:                           ;   in Loop: Header=BB327_1567 Depth=1
	s_or_b32 exec_lo, exec_lo, s15
.LBB327_1641:                           ;   in Loop: Header=BB327_1567 Depth=1
	s_or_b32 exec_lo, exec_lo, s13
	v_lshrrev_b16 v0, 8, v9
	s_mov_b32 s13, exec_lo
	v_cmpx_ne_u16_e32 0, v0
	s_cbranch_execz .LBB327_1649
; %bb.1642:                             ;   in Loop: Header=BB327_1567 Depth=1
	v_bfrev_b32_e32 v5, 1
	s_mov_b32 s15, exec_lo
	v_cmpx_ne_u16_e32 0x80, v0
	s_cbranch_execz .LBB327_1648
; %bb.1643:                             ;   in Loop: Header=BB327_1567 Depth=1
	v_and_b32_sdwa v12, v0, v38 dst_sel:DWORD dst_unused:UNUSED_PAD src0_sel:WORD_0 src1_sel:DWORD
	v_mov_b32_e32 v5, 0x7c010000
	s_mov_b32 s18, exec_lo
	v_cmpx_ne_u32_e32 0x7f, v12
	s_cbranch_execz .LBB327_1647
; %bb.1644:                             ;   in Loop: Header=BB327_1567 Depth=1
	v_and_b32_sdwa v5, v0, v39 dst_sel:DWORD dst_unused:UNUSED_PAD src0_sel:WORD_0 src1_sel:DWORD
	v_lshrrev_b32_e32 v11, 3, v12
	s_mov_b32 s20, exec_lo
	v_cmpx_gt_u32_e32 8, v12
; %bb.1645:                             ;   in Loop: Header=BB327_1567 Depth=1
	v_ffbh_u32_e32 v5, v5
	v_min_u32_e32 v5, 32, v5
	v_subrev_nc_u32_e32 v11, 28, v5
	v_lshlrev_b64 v[22:23], v11, v[0:1]
	v_sub_nc_u32_e32 v11, 29, v5
	v_and_b32_e32 v5, 7, v22
; %bb.1646:                             ;   in Loop: Header=BB327_1567 Depth=1
	s_or_b32 exec_lo, exec_lo, s20
	v_lshlrev_b32_sdwa v0, v69, v0 dst_sel:DWORD dst_unused:UNUSED_PAD src0_sel:DWORD src1_sel:WORD_0
	v_lshl_add_u32 v11, v11, 10, 0x2000
	v_lshlrev_b32_e32 v5, 23, v5
	v_and_or_b32 v0, 0x8000, v0, v11
	v_lshl_or_b32 v5, v0, 16, v5
.LBB327_1647:                           ;   in Loop: Header=BB327_1567 Depth=1
	s_or_b32 exec_lo, exec_lo, s18
.LBB327_1648:                           ;   in Loop: Header=BB327_1567 Depth=1
	s_or_b32 exec_lo, exec_lo, s15
.LBB327_1649:                           ;   in Loop: Header=BB327_1567 Depth=1
	s_or_b32 exec_lo, exec_lo, s13
	v_lshrrev_b32_e32 v0, 16, v9
	v_mov_b32_e32 v11, 0
	v_mov_b32_e32 v12, 0
	v_cmp_ne_u16_sdwa s4, v0, v1 src0_sel:BYTE_0 src1_sel:DWORD
	s_and_saveexec_b32 s13, s4
	s_cbranch_execz .LBB327_1657
; %bb.1650:                             ;   in Loop: Header=BB327_1567 Depth=1
	v_cmp_ne_u16_sdwa s4, v0, v17 src0_sel:BYTE_0 src1_sel:DWORD
	v_mov_b32_e32 v12, 0x8000
	s_and_saveexec_b32 s15, s4
	s_cbranch_execz .LBB327_1656
; %bb.1651:                             ;   in Loop: Header=BB327_1567 Depth=1
	v_bfe_u32 v23, v9, 16, 7
	v_mov_b32_e32 v12, 0x7c01
	s_mov_b32 s18, exec_lo
	v_cmpx_ne_u32_e32 0x7f, v23
	s_cbranch_execz .LBB327_1655
; %bb.1652:                             ;   in Loop: Header=BB327_1567 Depth=1
	v_and_b32_e32 v12, 7, v0
	v_lshrrev_b32_e32 v22, 3, v23
	s_mov_b32 s20, exec_lo
	v_cmpx_gt_u32_e32 8, v23
; %bb.1653:                             ;   in Loop: Header=BB327_1567 Depth=1
	v_ffbh_u32_e32 v12, v12
	v_min_u32_e32 v12, 32, v12
	v_subrev_nc_u32_e32 v22, 28, v12
	v_lshlrev_b64 v[26:27], v22, v[0:1]
	v_sub_nc_u32_e32 v22, 29, v12
	v_and_b32_e32 v12, 7, v26
; %bb.1654:                             ;   in Loop: Header=BB327_1567 Depth=1
	s_or_b32 exec_lo, exec_lo, s20
	v_lshlrev_b32_e32 v0, 8, v0
	v_lshl_add_u32 v22, v22, 10, 0x2000
	v_lshlrev_b32_e32 v12, 7, v12
	v_and_b32_e32 v0, 0x8000, v0
	v_and_b32_e32 v22, 0xfc00, v22
	v_or3_b32 v12, v0, v22, v12
.LBB327_1655:                           ;   in Loop: Header=BB327_1567 Depth=1
	s_or_b32 exec_lo, exec_lo, s18
.LBB327_1656:                           ;   in Loop: Header=BB327_1567 Depth=1
	s_or_b32 exec_lo, exec_lo, s15
.LBB327_1657:                           ;   in Loop: Header=BB327_1567 Depth=1
	s_or_b32 exec_lo, exec_lo, s13
	s_mov_b32 s13, exec_lo
	v_cmpx_lt_u32_e32 0xffffff, v9
	s_cbranch_execz .LBB327_1665
; %bb.1658:                             ;   in Loop: Header=BB327_1567 Depth=1
	v_lshrrev_b32_e32 v0, 24, v9
	v_bfrev_b32_e32 v11, 1
	s_mov_b32 s15, exec_lo
	v_cmpx_ne_u32_e32 0x80, v0
	s_cbranch_execz .LBB327_1664
; %bb.1659:                             ;   in Loop: Header=BB327_1567 Depth=1
	v_and_b32_e32 v23, 0x7f, v0
	v_mov_b32_e32 v11, 0x7c010000
	s_mov_b32 s18, exec_lo
	v_cmpx_ne_u32_e32 0x7f, v23
	s_cbranch_execz .LBB327_1663
; %bb.1660:                             ;   in Loop: Header=BB327_1567 Depth=1
	v_and_b32_e32 v11, 7, v0
	v_lshrrev_b32_e32 v22, 3, v23
	s_mov_b32 s20, exec_lo
	v_cmpx_gt_u32_e32 8, v23
; %bb.1661:                             ;   in Loop: Header=BB327_1567 Depth=1
	v_ffbh_u32_e32 v11, v11
	v_min_u32_e32 v11, 32, v11
	v_subrev_nc_u32_e32 v22, 28, v11
	v_lshlrev_b64 v[26:27], v22, v[0:1]
	v_sub_nc_u32_e32 v22, 29, v11
	v_and_b32_e32 v11, 7, v26
; %bb.1662:                             ;   in Loop: Header=BB327_1567 Depth=1
	s_or_b32 exec_lo, exec_lo, s20
	v_lshlrev_b32_e32 v0, 8, v0
	v_lshl_add_u32 v22, v22, 10, 0x2000
	v_lshlrev_b32_e32 v11, 23, v11
	v_and_or_b32 v0, 0x8000, v0, v22
	v_lshl_or_b32 v11, v0, 16, v11
.LBB327_1663:                           ;   in Loop: Header=BB327_1567 Depth=1
	s_or_b32 exec_lo, exec_lo, s18
.LBB327_1664:                           ;   in Loop: Header=BB327_1567 Depth=1
	s_or_b32 exec_lo, exec_lo, s15
.LBB327_1665:                           ;   in Loop: Header=BB327_1567 Depth=1
	s_or_b32 exec_lo, exec_lo, s13
	v_mov_b32_e32 v0, v10
	v_cmp_ne_u16_sdwa s4, v10, v1 src0_sel:BYTE_0 src1_sel:DWORD
	v_mov_b32_e32 v22, 0
	v_mov_b32_e32 v23, 0
	s_and_saveexec_b32 s13, s4
	s_cbranch_execz .LBB327_1673
; %bb.1666:                             ;   in Loop: Header=BB327_1567 Depth=1
	v_cmp_ne_u16_sdwa s4, v10, v17 src0_sel:BYTE_0 src1_sel:DWORD
	v_mov_b32_e32 v23, 0x8000
	s_and_saveexec_b32 s15, s4
	s_cbranch_execz .LBB327_1672
; %bb.1667:                             ;   in Loop: Header=BB327_1567 Depth=1
	v_and_b32_e32 v35, 0x7f, v10
	v_mov_b32_e32 v23, 0x7c01
	s_mov_b32 s18, exec_lo
	v_cmpx_ne_u32_e32 0x7f, v35
	s_cbranch_execz .LBB327_1671
; %bb.1668:                             ;   in Loop: Header=BB327_1567 Depth=1
	v_and_b32_e32 v23, 7, v10
	v_lshrrev_b32_e32 v34, 3, v35
	s_mov_b32 s20, exec_lo
	v_cmpx_gt_u32_e32 8, v35
; %bb.1669:                             ;   in Loop: Header=BB327_1567 Depth=1
	v_ffbh_u32_e32 v23, v23
	v_min_u32_e32 v23, 32, v23
	v_subrev_nc_u32_e32 v26, 28, v23
	v_sub_nc_u32_e32 v34, 29, v23
	v_lshlrev_b64 v[26:27], v26, v[0:1]
	v_and_b32_e32 v23, 7, v26
; %bb.1670:                             ;   in Loop: Header=BB327_1567 Depth=1
	s_or_b32 exec_lo, exec_lo, s20
	v_lshlrev_b32_e32 v26, 8, v10
	v_lshl_add_u32 v27, v34, 10, 0x2000
	v_lshlrev_b32_e32 v23, 7, v23
	v_and_b32_e32 v26, 0x8000, v26
	v_and_b32_e32 v27, 0xfc00, v27
	v_or3_b32 v23, v26, v27, v23
.LBB327_1671:                           ;   in Loop: Header=BB327_1567 Depth=1
	s_or_b32 exec_lo, exec_lo, s18
.LBB327_1672:                           ;   in Loop: Header=BB327_1567 Depth=1
	s_or_b32 exec_lo, exec_lo, s15
.LBB327_1673:                           ;   in Loop: Header=BB327_1567 Depth=1
	s_or_b32 exec_lo, exec_lo, s13
	v_lshrrev_b16 v0, 8, v0
	v_mov_b32_e32 v34, 0
	s_mov_b32 s13, exec_lo
	v_cmpx_ne_u16_e32 0, v0
	s_cbranch_execz .LBB327_1681
; %bb.1674:                             ;   in Loop: Header=BB327_1567 Depth=1
	v_bfrev_b32_e32 v34, 1
	s_mov_b32 s15, exec_lo
	v_cmpx_ne_u16_e32 0x80, v0
	s_cbranch_execz .LBB327_1680
; %bb.1675:                             ;   in Loop: Header=BB327_1567 Depth=1
	v_and_b32_sdwa v37, v0, v38 dst_sel:DWORD dst_unused:UNUSED_PAD src0_sel:WORD_0 src1_sel:DWORD
	v_mov_b32_e32 v34, 0x7c010000
	s_mov_b32 s18, exec_lo
	v_cmpx_ne_u32_e32 0x7f, v37
	s_cbranch_execz .LBB327_1679
; %bb.1676:                             ;   in Loop: Header=BB327_1567 Depth=1
	v_and_b32_sdwa v34, v0, v39 dst_sel:DWORD dst_unused:UNUSED_PAD src0_sel:WORD_0 src1_sel:DWORD
	v_lshrrev_b32_e32 v35, 3, v37
	s_mov_b32 s20, exec_lo
	v_cmpx_gt_u32_e32 8, v37
; %bb.1677:                             ;   in Loop: Header=BB327_1567 Depth=1
	v_ffbh_u32_e32 v26, v34
	v_min_u32_e32 v34, 32, v26
	v_subrev_nc_u32_e32 v26, 28, v34
	v_sub_nc_u32_e32 v35, 29, v34
	v_lshlrev_b64 v[26:27], v26, v[0:1]
	v_and_b32_e32 v34, 7, v26
; %bb.1678:                             ;   in Loop: Header=BB327_1567 Depth=1
	s_or_b32 exec_lo, exec_lo, s20
	v_lshlrev_b32_sdwa v0, v69, v0 dst_sel:DWORD dst_unused:UNUSED_PAD src0_sel:DWORD src1_sel:WORD_0
	v_lshl_add_u32 v26, v35, 10, 0x2000
	v_and_or_b32 v0, 0x8000, v0, v26
	v_lshlrev_b32_e32 v26, 23, v34
	v_lshl_or_b32 v34, v0, 16, v26
.LBB327_1679:                           ;   in Loop: Header=BB327_1567 Depth=1
	s_or_b32 exec_lo, exec_lo, s18
.LBB327_1680:                           ;   in Loop: Header=BB327_1567 Depth=1
	s_or_b32 exec_lo, exec_lo, s15
.LBB327_1681:                           ;   in Loop: Header=BB327_1567 Depth=1
	s_or_b32 exec_lo, exec_lo, s13
	v_lshrrev_b32_e32 v0, 16, v10
	v_cmp_ne_u16_sdwa s4, v0, v1 src0_sel:BYTE_0 src1_sel:DWORD
	s_and_saveexec_b32 s13, s4
	s_cbranch_execz .LBB327_1689
; %bb.1682:                             ;   in Loop: Header=BB327_1567 Depth=1
	v_cmp_ne_u16_sdwa s4, v0, v17 src0_sel:BYTE_0 src1_sel:DWORD
	v_mov_b32_e32 v22, 0x8000
	s_and_saveexec_b32 s15, s4
	s_cbranch_execz .LBB327_1688
; %bb.1683:                             ;   in Loop: Header=BB327_1567 Depth=1
	v_bfe_u32 v37, v10, 16, 7
	v_mov_b32_e32 v22, 0x7c01
	s_mov_b32 s18, exec_lo
	v_cmpx_ne_u32_e32 0x7f, v37
	s_cbranch_execz .LBB327_1687
; %bb.1684:                             ;   in Loop: Header=BB327_1567 Depth=1
	v_and_b32_e32 v22, 7, v0
	v_lshrrev_b32_e32 v35, 3, v37
	s_mov_b32 s20, exec_lo
	v_cmpx_gt_u32_e32 8, v37
; %bb.1685:                             ;   in Loop: Header=BB327_1567 Depth=1
	v_ffbh_u32_e32 v22, v22
	v_min_u32_e32 v22, 32, v22
	v_subrev_nc_u32_e32 v26, 28, v22
	v_sub_nc_u32_e32 v35, 29, v22
	v_lshlrev_b64 v[26:27], v26, v[0:1]
	v_and_b32_e32 v22, 7, v26
; %bb.1686:                             ;   in Loop: Header=BB327_1567 Depth=1
	s_or_b32 exec_lo, exec_lo, s20
	v_lshlrev_b32_e32 v0, 8, v0
	v_lshl_add_u32 v26, v35, 10, 0x2000
	v_lshlrev_b32_e32 v22, 7, v22
	v_and_b32_e32 v0, 0x8000, v0
	v_and_b32_e32 v26, 0xfc00, v26
	v_or3_b32 v22, v0, v26, v22
.LBB327_1687:                           ;   in Loop: Header=BB327_1567 Depth=1
	s_or_b32 exec_lo, exec_lo, s18
.LBB327_1688:                           ;   in Loop: Header=BB327_1567 Depth=1
	s_or_b32 exec_lo, exec_lo, s15
.LBB327_1689:                           ;   in Loop: Header=BB327_1567 Depth=1
	s_or_b32 exec_lo, exec_lo, s13
	v_cmp_lt_u64_e64 s4, s[8:9], v[9:10]
	v_mov_b32_e32 v9, 0
	s_and_saveexec_b32 s13, s4
	s_cbranch_execz .LBB327_1697
; %bb.1690:                             ;   in Loop: Header=BB327_1567 Depth=1
	v_lshrrev_b32_e32 v0, 24, v10
	v_bfrev_b32_e32 v9, 1
	s_mov_b32 s15, exec_lo
	v_cmpx_ne_u32_e32 0x80, v0
	s_cbranch_execz .LBB327_1696
; %bb.1691:                             ;   in Loop: Header=BB327_1567 Depth=1
	v_and_b32_e32 v35, 0x7f, v0
	v_mov_b32_e32 v9, 0x7c010000
	s_mov_b32 s18, exec_lo
	v_cmpx_ne_u32_e32 0x7f, v35
	s_cbranch_execz .LBB327_1695
; %bb.1692:                             ;   in Loop: Header=BB327_1567 Depth=1
	v_and_b32_e32 v9, 7, v0
	v_lshrrev_b32_e32 v10, 3, v35
	s_mov_b32 s20, exec_lo
	v_cmpx_gt_u32_e32 8, v35
; %bb.1693:                             ;   in Loop: Header=BB327_1567 Depth=1
	v_ffbh_u32_e32 v9, v9
	v_min_u32_e32 v26, 32, v9
	v_subrev_nc_u32_e32 v9, 28, v26
	v_lshlrev_b64 v[9:10], v9, v[0:1]
	v_sub_nc_u32_e32 v10, 29, v26
	v_and_b32_e32 v9, 7, v9
; %bb.1694:                             ;   in Loop: Header=BB327_1567 Depth=1
	s_or_b32 exec_lo, exec_lo, s20
	v_lshlrev_b32_e32 v0, 8, v0
	v_lshl_add_u32 v10, v10, 10, 0x2000
	v_lshlrev_b32_e32 v9, 23, v9
	v_and_or_b32 v0, 0x8000, v0, v10
	v_lshl_or_b32 v9, v0, 16, v9
.LBB327_1695:                           ;   in Loop: Header=BB327_1567 Depth=1
	s_or_b32 exec_lo, exec_lo, s18
.LBB327_1696:                           ;   in Loop: Header=BB327_1567 Depth=1
	s_or_b32 exec_lo, exec_lo, s15
.LBB327_1697:                           ;   in Loop: Header=BB327_1567 Depth=1
	s_or_b32 exec_lo, exec_lo, s13
	v_or_b32_e32 v0, v11, v12
	s_waitcnt vmcnt(0) lgkmcnt(0)
	v_fma_mixlo_f16 v10, v4, v11, 0 op_sel:[0,1,0] op_sel_hi:[0,1,0]
	v_or_b32_e32 v6, v5, v6
	v_fma_mixlo_f16 v5, v4, v5, 0 op_sel:[0,1,0] op_sel_hi:[0,1,0]
	v_or_b32_e32 v11, v34, v23
	v_fma_mixlo_f16 v12, v4, v0, 0 op_sel_hi:[0,1,0]
	v_or_b32_e32 v22, v9, v22
	v_lshlrev_b32_e32 v0, 16, v10
	v_lshlrev_b32_e32 v10, 16, v5
	v_fma_mixlo_f16 v6, v4, v6, 0 op_sel_hi:[0,1,0]
	v_and_b32_e32 v5, 0xffff, v12
	v_fma_mixlo_f16 v12, v4, v34, 0 op_sel:[0,1,0] op_sel_hi:[0,1,0]
	v_fma_mixlo_f16 v11, v4, v11, 0 op_sel_hi:[0,1,0]
	v_fma_mixlo_f16 v9, v4, v9, 0 op_sel:[0,1,0] op_sel_hi:[0,1,0]
	v_fma_mixlo_f16 v22, v4, v22, 0 op_sel_hi:[0,1,0]
	v_and_b32_e32 v35, 0xffff, v6
	v_lshlrev_b32_e32 v6, 16, v12
	v_and_b32_e32 v12, 0xffff, v11
	v_lshlrev_b32_e32 v4, 16, v9
	v_and_b32_e32 v9, 0xffff, v22
	v_or_b32_e32 v11, v0, v5
	v_or_b32_e32 v34, v10, v35
	;; [unrolled: 1-line block ×4, first 2 shown]
	s_and_saveexec_b32 s13, vcc_lo
	s_cbranch_execz .LBB327_1699
; %bb.1698:                             ;   in Loop: Header=BB327_1567 Depth=1
	v_cmp_lt_i32_e64 s4, v71, v36
	v_cndmask_b32_e64 v11, 0, v35, s4
	v_cmp_lt_i32_e64 s4, v100, v36
	v_cndmask_b32_e64 v10, 0, v10, s4
	v_cmp_lt_i32_e64 s4, v99, v36
	v_or_b32_e32 v34, v11, v10
	v_cndmask_b32_e64 v5, 0, v5, s4
	v_cmp_lt_i32_e64 s4, v98, v36
	v_cndmask_b32_e64 v0, 0, v0, s4
	v_cmp_lt_i32_e64 s4, v97, v36
	v_or_b32_e32 v11, v5, v0
	;; [unrolled: 5-line block ×3, first 2 shown]
	v_cndmask_b32_e64 v9, 0, v9, s4
	v_cmp_lt_i32_e64 s4, v86, v36
	v_cndmask_b32_e64 v4, 0, v4, s4
	v_or_b32_e32 v22, v9, v4
.LBB327_1699:                           ;   in Loop: Header=BB327_1567 Depth=1
	s_or_b32 exec_lo, exec_lo, s13
	;;#ASMSTART
	v_pk_mul_f16 v0, v83, v34;

	;;#ASMEND
	;;#ASMSTART
	v_pk_mul_f16 v4, v82, v11;

	;;#ASMEND
	;; [unrolled: 4-line block ×4, first 2 shown]
	;;#ASMSTART
	v_pk_add_f16 v0, v0, v4;

	;;#ASMEND
	;;#ASMSTART
	v_pk_add_f16 v0, v0, v5;

	;;#ASMEND
	;; [unrolled: 4-line block ×3, first 2 shown]
	v_and_b32_e32 v4, 0xffff, v0
	v_lshrrev_b32_e32 v0, 16, v0
	;;#ASMSTART
	v_cvt_f32_f16 v101, v4;
	;;#ASMEND
	;;#ASMSTART
	v_cvt_f32_f16 v102, v0;
	;;#ASMEND
	flat_load_dwordx2 v[9:10], v[7:8] offset:512
	flat_load_dword v4, v[120:121]
	v_mov_b32_e32 v5, 0
	v_mov_b32_e32 v6, 0
	s_waitcnt vmcnt(1) lgkmcnt(1)
	v_cmp_ne_u16_sdwa s4, v9, v1 src0_sel:BYTE_0 src1_sel:DWORD
	s_and_saveexec_b32 s13, s4
	s_cbranch_execz .LBB327_1707
; %bb.1700:                             ;   in Loop: Header=BB327_1567 Depth=1
	v_cmp_ne_u16_sdwa s4, v9, v17 src0_sel:BYTE_0 src1_sel:DWORD
	v_mov_b32_e32 v6, 0x8000
	s_and_saveexec_b32 s15, s4
	s_cbranch_execz .LBB327_1706
; %bb.1701:                             ;   in Loop: Header=BB327_1567 Depth=1
	v_and_b32_e32 v11, 0x7f, v9
	v_mov_b32_e32 v6, 0x7c01
	s_mov_b32 s18, exec_lo
	v_cmpx_ne_u32_e32 0x7f, v11
	s_cbranch_execz .LBB327_1705
; %bb.1702:                             ;   in Loop: Header=BB327_1567 Depth=1
	v_and_b32_e32 v0, 7, v9
	v_lshrrev_b32_e32 v6, 3, v11
	s_mov_b32 s20, exec_lo
	v_cmpx_gt_u32_e32 8, v11
; %bb.1703:                             ;   in Loop: Header=BB327_1567 Depth=1
	v_ffbh_u32_e32 v0, v0
	v_min_u32_e32 v0, 32, v0
	v_subrev_nc_u32_e32 v6, 28, v0
	v_lshlrev_b64 v[11:12], v6, v[9:10]
	v_sub_nc_u32_e32 v6, 29, v0
	v_and_b32_e32 v0, 7, v11
; %bb.1704:                             ;   in Loop: Header=BB327_1567 Depth=1
	s_or_b32 exec_lo, exec_lo, s20
	v_lshlrev_b32_e32 v11, 8, v9
	v_lshl_add_u32 v6, v6, 10, 0x2000
	v_lshlrev_b32_e32 v0, 7, v0
	v_and_b32_e32 v11, 0x8000, v11
	v_and_b32_e32 v6, 0xfc00, v6
	v_or3_b32 v6, v11, v6, v0
.LBB327_1705:                           ;   in Loop: Header=BB327_1567 Depth=1
	s_or_b32 exec_lo, exec_lo, s18
.LBB327_1706:                           ;   in Loop: Header=BB327_1567 Depth=1
	s_or_b32 exec_lo, exec_lo, s15
.LBB327_1707:                           ;   in Loop: Header=BB327_1567 Depth=1
	s_or_b32 exec_lo, exec_lo, s13
	v_lshrrev_b16 v0, 8, v9
	s_mov_b32 s13, exec_lo
	v_cmpx_ne_u16_e32 0, v0
	s_cbranch_execz .LBB327_1715
; %bb.1708:                             ;   in Loop: Header=BB327_1567 Depth=1
	v_bfrev_b32_e32 v5, 1
	s_mov_b32 s15, exec_lo
	v_cmpx_ne_u16_e32 0x80, v0
	s_cbranch_execz .LBB327_1714
; %bb.1709:                             ;   in Loop: Header=BB327_1567 Depth=1
	v_and_b32_sdwa v12, v0, v38 dst_sel:DWORD dst_unused:UNUSED_PAD src0_sel:WORD_0 src1_sel:DWORD
	v_mov_b32_e32 v5, 0x7c010000
	s_mov_b32 s18, exec_lo
	v_cmpx_ne_u32_e32 0x7f, v12
	s_cbranch_execz .LBB327_1713
; %bb.1710:                             ;   in Loop: Header=BB327_1567 Depth=1
	v_and_b32_sdwa v5, v0, v39 dst_sel:DWORD dst_unused:UNUSED_PAD src0_sel:WORD_0 src1_sel:DWORD
	v_lshrrev_b32_e32 v11, 3, v12
	s_mov_b32 s20, exec_lo
	v_cmpx_gt_u32_e32 8, v12
; %bb.1711:                             ;   in Loop: Header=BB327_1567 Depth=1
	v_ffbh_u32_e32 v5, v5
	v_min_u32_e32 v5, 32, v5
	v_subrev_nc_u32_e32 v11, 28, v5
	v_lshlrev_b64 v[22:23], v11, v[0:1]
	v_sub_nc_u32_e32 v11, 29, v5
	v_and_b32_e32 v5, 7, v22
; %bb.1712:                             ;   in Loop: Header=BB327_1567 Depth=1
	s_or_b32 exec_lo, exec_lo, s20
	v_lshlrev_b32_sdwa v0, v69, v0 dst_sel:DWORD dst_unused:UNUSED_PAD src0_sel:DWORD src1_sel:WORD_0
	v_lshl_add_u32 v11, v11, 10, 0x2000
	v_lshlrev_b32_e32 v5, 23, v5
	v_and_or_b32 v0, 0x8000, v0, v11
	v_lshl_or_b32 v5, v0, 16, v5
.LBB327_1713:                           ;   in Loop: Header=BB327_1567 Depth=1
	s_or_b32 exec_lo, exec_lo, s18
.LBB327_1714:                           ;   in Loop: Header=BB327_1567 Depth=1
	s_or_b32 exec_lo, exec_lo, s15
.LBB327_1715:                           ;   in Loop: Header=BB327_1567 Depth=1
	s_or_b32 exec_lo, exec_lo, s13
	v_lshrrev_b32_e32 v0, 16, v9
	v_mov_b32_e32 v11, 0
	v_mov_b32_e32 v12, 0
	v_cmp_ne_u16_sdwa s4, v0, v1 src0_sel:BYTE_0 src1_sel:DWORD
	s_and_saveexec_b32 s13, s4
	s_cbranch_execz .LBB327_1723
; %bb.1716:                             ;   in Loop: Header=BB327_1567 Depth=1
	v_cmp_ne_u16_sdwa s4, v0, v17 src0_sel:BYTE_0 src1_sel:DWORD
	v_mov_b32_e32 v12, 0x8000
	s_and_saveexec_b32 s15, s4
	s_cbranch_execz .LBB327_1722
; %bb.1717:                             ;   in Loop: Header=BB327_1567 Depth=1
	v_bfe_u32 v23, v9, 16, 7
	v_mov_b32_e32 v12, 0x7c01
	s_mov_b32 s18, exec_lo
	v_cmpx_ne_u32_e32 0x7f, v23
	s_cbranch_execz .LBB327_1721
; %bb.1718:                             ;   in Loop: Header=BB327_1567 Depth=1
	v_and_b32_e32 v12, 7, v0
	v_lshrrev_b32_e32 v22, 3, v23
	s_mov_b32 s20, exec_lo
	v_cmpx_gt_u32_e32 8, v23
; %bb.1719:                             ;   in Loop: Header=BB327_1567 Depth=1
	v_ffbh_u32_e32 v12, v12
	v_min_u32_e32 v12, 32, v12
	v_subrev_nc_u32_e32 v22, 28, v12
	v_lshlrev_b64 v[26:27], v22, v[0:1]
	v_sub_nc_u32_e32 v22, 29, v12
	v_and_b32_e32 v12, 7, v26
; %bb.1720:                             ;   in Loop: Header=BB327_1567 Depth=1
	s_or_b32 exec_lo, exec_lo, s20
	v_lshlrev_b32_e32 v0, 8, v0
	v_lshl_add_u32 v22, v22, 10, 0x2000
	v_lshlrev_b32_e32 v12, 7, v12
	v_and_b32_e32 v0, 0x8000, v0
	v_and_b32_e32 v22, 0xfc00, v22
	v_or3_b32 v12, v0, v22, v12
.LBB327_1721:                           ;   in Loop: Header=BB327_1567 Depth=1
	s_or_b32 exec_lo, exec_lo, s18
.LBB327_1722:                           ;   in Loop: Header=BB327_1567 Depth=1
	s_or_b32 exec_lo, exec_lo, s15
.LBB327_1723:                           ;   in Loop: Header=BB327_1567 Depth=1
	s_or_b32 exec_lo, exec_lo, s13
	s_mov_b32 s13, exec_lo
	v_cmpx_lt_u32_e32 0xffffff, v9
	s_cbranch_execz .LBB327_1731
; %bb.1724:                             ;   in Loop: Header=BB327_1567 Depth=1
	v_lshrrev_b32_e32 v0, 24, v9
	v_bfrev_b32_e32 v11, 1
	s_mov_b32 s15, exec_lo
	v_cmpx_ne_u32_e32 0x80, v0
	s_cbranch_execz .LBB327_1730
; %bb.1725:                             ;   in Loop: Header=BB327_1567 Depth=1
	v_and_b32_e32 v23, 0x7f, v0
	v_mov_b32_e32 v11, 0x7c010000
	s_mov_b32 s18, exec_lo
	v_cmpx_ne_u32_e32 0x7f, v23
	s_cbranch_execz .LBB327_1729
; %bb.1726:                             ;   in Loop: Header=BB327_1567 Depth=1
	v_and_b32_e32 v11, 7, v0
	v_lshrrev_b32_e32 v22, 3, v23
	s_mov_b32 s20, exec_lo
	v_cmpx_gt_u32_e32 8, v23
; %bb.1727:                             ;   in Loop: Header=BB327_1567 Depth=1
	v_ffbh_u32_e32 v11, v11
	v_min_u32_e32 v11, 32, v11
	v_subrev_nc_u32_e32 v22, 28, v11
	v_lshlrev_b64 v[26:27], v22, v[0:1]
	v_sub_nc_u32_e32 v22, 29, v11
	v_and_b32_e32 v11, 7, v26
; %bb.1728:                             ;   in Loop: Header=BB327_1567 Depth=1
	s_or_b32 exec_lo, exec_lo, s20
	v_lshlrev_b32_e32 v0, 8, v0
	v_lshl_add_u32 v22, v22, 10, 0x2000
	v_lshlrev_b32_e32 v11, 23, v11
	v_and_or_b32 v0, 0x8000, v0, v22
	v_lshl_or_b32 v11, v0, 16, v11
.LBB327_1729:                           ;   in Loop: Header=BB327_1567 Depth=1
	s_or_b32 exec_lo, exec_lo, s18
.LBB327_1730:                           ;   in Loop: Header=BB327_1567 Depth=1
	s_or_b32 exec_lo, exec_lo, s15
.LBB327_1731:                           ;   in Loop: Header=BB327_1567 Depth=1
	s_or_b32 exec_lo, exec_lo, s13
	v_mov_b32_e32 v0, v10
	v_cmp_ne_u16_sdwa s4, v10, v1 src0_sel:BYTE_0 src1_sel:DWORD
	v_mov_b32_e32 v22, 0
	v_mov_b32_e32 v23, 0
	s_and_saveexec_b32 s13, s4
	s_cbranch_execz .LBB327_1739
; %bb.1732:                             ;   in Loop: Header=BB327_1567 Depth=1
	v_cmp_ne_u16_sdwa s4, v10, v17 src0_sel:BYTE_0 src1_sel:DWORD
	v_mov_b32_e32 v23, 0x8000
	s_and_saveexec_b32 s15, s4
	s_cbranch_execz .LBB327_1738
; %bb.1733:                             ;   in Loop: Header=BB327_1567 Depth=1
	v_and_b32_e32 v35, 0x7f, v10
	v_mov_b32_e32 v23, 0x7c01
	s_mov_b32 s18, exec_lo
	v_cmpx_ne_u32_e32 0x7f, v35
	s_cbranch_execz .LBB327_1737
; %bb.1734:                             ;   in Loop: Header=BB327_1567 Depth=1
	v_and_b32_e32 v23, 7, v10
	v_lshrrev_b32_e32 v34, 3, v35
	s_mov_b32 s20, exec_lo
	v_cmpx_gt_u32_e32 8, v35
; %bb.1735:                             ;   in Loop: Header=BB327_1567 Depth=1
	v_ffbh_u32_e32 v23, v23
	v_min_u32_e32 v23, 32, v23
	v_subrev_nc_u32_e32 v26, 28, v23
	v_sub_nc_u32_e32 v34, 29, v23
	v_lshlrev_b64 v[26:27], v26, v[0:1]
	v_and_b32_e32 v23, 7, v26
; %bb.1736:                             ;   in Loop: Header=BB327_1567 Depth=1
	s_or_b32 exec_lo, exec_lo, s20
	v_lshlrev_b32_e32 v26, 8, v10
	v_lshl_add_u32 v27, v34, 10, 0x2000
	v_lshlrev_b32_e32 v23, 7, v23
	v_and_b32_e32 v26, 0x8000, v26
	v_and_b32_e32 v27, 0xfc00, v27
	v_or3_b32 v23, v26, v27, v23
.LBB327_1737:                           ;   in Loop: Header=BB327_1567 Depth=1
	s_or_b32 exec_lo, exec_lo, s18
.LBB327_1738:                           ;   in Loop: Header=BB327_1567 Depth=1
	s_or_b32 exec_lo, exec_lo, s15
.LBB327_1739:                           ;   in Loop: Header=BB327_1567 Depth=1
	s_or_b32 exec_lo, exec_lo, s13
	v_lshrrev_b16 v0, 8, v0
	v_mov_b32_e32 v34, 0
	s_mov_b32 s13, exec_lo
	v_cmpx_ne_u16_e32 0, v0
	s_cbranch_execz .LBB327_1747
; %bb.1740:                             ;   in Loop: Header=BB327_1567 Depth=1
	v_bfrev_b32_e32 v34, 1
	s_mov_b32 s15, exec_lo
	v_cmpx_ne_u16_e32 0x80, v0
	s_cbranch_execz .LBB327_1746
; %bb.1741:                             ;   in Loop: Header=BB327_1567 Depth=1
	v_and_b32_sdwa v37, v0, v38 dst_sel:DWORD dst_unused:UNUSED_PAD src0_sel:WORD_0 src1_sel:DWORD
	v_mov_b32_e32 v34, 0x7c010000
	s_mov_b32 s18, exec_lo
	v_cmpx_ne_u32_e32 0x7f, v37
	s_cbranch_execz .LBB327_1745
; %bb.1742:                             ;   in Loop: Header=BB327_1567 Depth=1
	v_and_b32_sdwa v34, v0, v39 dst_sel:DWORD dst_unused:UNUSED_PAD src0_sel:WORD_0 src1_sel:DWORD
	v_lshrrev_b32_e32 v35, 3, v37
	s_mov_b32 s20, exec_lo
	v_cmpx_gt_u32_e32 8, v37
; %bb.1743:                             ;   in Loop: Header=BB327_1567 Depth=1
	v_ffbh_u32_e32 v26, v34
	v_min_u32_e32 v34, 32, v26
	v_subrev_nc_u32_e32 v26, 28, v34
	v_sub_nc_u32_e32 v35, 29, v34
	v_lshlrev_b64 v[26:27], v26, v[0:1]
	v_and_b32_e32 v34, 7, v26
; %bb.1744:                             ;   in Loop: Header=BB327_1567 Depth=1
	s_or_b32 exec_lo, exec_lo, s20
	v_lshlrev_b32_sdwa v0, v69, v0 dst_sel:DWORD dst_unused:UNUSED_PAD src0_sel:DWORD src1_sel:WORD_0
	v_lshl_add_u32 v26, v35, 10, 0x2000
	v_and_or_b32 v0, 0x8000, v0, v26
	v_lshlrev_b32_e32 v26, 23, v34
	v_lshl_or_b32 v34, v0, 16, v26
.LBB327_1745:                           ;   in Loop: Header=BB327_1567 Depth=1
	s_or_b32 exec_lo, exec_lo, s18
.LBB327_1746:                           ;   in Loop: Header=BB327_1567 Depth=1
	s_or_b32 exec_lo, exec_lo, s15
.LBB327_1747:                           ;   in Loop: Header=BB327_1567 Depth=1
	s_or_b32 exec_lo, exec_lo, s13
	v_lshrrev_b32_e32 v0, 16, v10
	v_cmp_ne_u16_sdwa s4, v0, v1 src0_sel:BYTE_0 src1_sel:DWORD
	s_and_saveexec_b32 s13, s4
	s_cbranch_execz .LBB327_1755
; %bb.1748:                             ;   in Loop: Header=BB327_1567 Depth=1
	v_cmp_ne_u16_sdwa s4, v0, v17 src0_sel:BYTE_0 src1_sel:DWORD
	v_mov_b32_e32 v22, 0x8000
	s_and_saveexec_b32 s15, s4
	s_cbranch_execz .LBB327_1754
; %bb.1749:                             ;   in Loop: Header=BB327_1567 Depth=1
	v_bfe_u32 v37, v10, 16, 7
	v_mov_b32_e32 v22, 0x7c01
	s_mov_b32 s18, exec_lo
	v_cmpx_ne_u32_e32 0x7f, v37
	s_cbranch_execz .LBB327_1753
; %bb.1750:                             ;   in Loop: Header=BB327_1567 Depth=1
	v_and_b32_e32 v22, 7, v0
	v_lshrrev_b32_e32 v35, 3, v37
	s_mov_b32 s20, exec_lo
	v_cmpx_gt_u32_e32 8, v37
; %bb.1751:                             ;   in Loop: Header=BB327_1567 Depth=1
	v_ffbh_u32_e32 v22, v22
	v_min_u32_e32 v22, 32, v22
	v_subrev_nc_u32_e32 v26, 28, v22
	v_sub_nc_u32_e32 v35, 29, v22
	v_lshlrev_b64 v[26:27], v26, v[0:1]
	v_and_b32_e32 v22, 7, v26
; %bb.1752:                             ;   in Loop: Header=BB327_1567 Depth=1
	s_or_b32 exec_lo, exec_lo, s20
	v_lshlrev_b32_e32 v0, 8, v0
	v_lshl_add_u32 v26, v35, 10, 0x2000
	v_lshlrev_b32_e32 v22, 7, v22
	v_and_b32_e32 v0, 0x8000, v0
	v_and_b32_e32 v26, 0xfc00, v26
	v_or3_b32 v22, v0, v26, v22
.LBB327_1753:                           ;   in Loop: Header=BB327_1567 Depth=1
	s_or_b32 exec_lo, exec_lo, s18
.LBB327_1754:                           ;   in Loop: Header=BB327_1567 Depth=1
	s_or_b32 exec_lo, exec_lo, s15
.LBB327_1755:                           ;   in Loop: Header=BB327_1567 Depth=1
	s_or_b32 exec_lo, exec_lo, s13
	v_cmp_lt_u64_e64 s4, s[8:9], v[9:10]
	v_mov_b32_e32 v9, 0
	s_and_saveexec_b32 s13, s4
	s_cbranch_execz .LBB327_1763
; %bb.1756:                             ;   in Loop: Header=BB327_1567 Depth=1
	v_lshrrev_b32_e32 v0, 24, v10
	v_bfrev_b32_e32 v9, 1
	s_mov_b32 s15, exec_lo
	v_cmpx_ne_u32_e32 0x80, v0
	s_cbranch_execz .LBB327_1762
; %bb.1757:                             ;   in Loop: Header=BB327_1567 Depth=1
	v_and_b32_e32 v35, 0x7f, v0
	v_mov_b32_e32 v9, 0x7c010000
	s_mov_b32 s18, exec_lo
	v_cmpx_ne_u32_e32 0x7f, v35
	s_cbranch_execz .LBB327_1761
; %bb.1758:                             ;   in Loop: Header=BB327_1567 Depth=1
	v_and_b32_e32 v9, 7, v0
	v_lshrrev_b32_e32 v10, 3, v35
	s_mov_b32 s20, exec_lo
	v_cmpx_gt_u32_e32 8, v35
; %bb.1759:                             ;   in Loop: Header=BB327_1567 Depth=1
	v_ffbh_u32_e32 v9, v9
	v_min_u32_e32 v26, 32, v9
	v_subrev_nc_u32_e32 v9, 28, v26
	v_lshlrev_b64 v[9:10], v9, v[0:1]
	v_sub_nc_u32_e32 v10, 29, v26
	v_and_b32_e32 v9, 7, v9
; %bb.1760:                             ;   in Loop: Header=BB327_1567 Depth=1
	s_or_b32 exec_lo, exec_lo, s20
	v_lshlrev_b32_e32 v0, 8, v0
	v_lshl_add_u32 v10, v10, 10, 0x2000
	v_lshlrev_b32_e32 v9, 23, v9
	v_and_or_b32 v0, 0x8000, v0, v10
	v_lshl_or_b32 v9, v0, 16, v9
.LBB327_1761:                           ;   in Loop: Header=BB327_1567 Depth=1
	s_or_b32 exec_lo, exec_lo, s18
.LBB327_1762:                           ;   in Loop: Header=BB327_1567 Depth=1
	s_or_b32 exec_lo, exec_lo, s15
.LBB327_1763:                           ;   in Loop: Header=BB327_1567 Depth=1
	s_or_b32 exec_lo, exec_lo, s13
	v_or_b32_e32 v0, v11, v12
	s_waitcnt vmcnt(0) lgkmcnt(0)
	v_fma_mixlo_f16 v10, v4, v11, 0 op_sel:[0,1,0] op_sel_hi:[0,1,0]
	v_or_b32_e32 v6, v5, v6
	v_fma_mixlo_f16 v5, v4, v5, 0 op_sel:[0,1,0] op_sel_hi:[0,1,0]
	v_or_b32_e32 v11, v34, v23
	v_fma_mixlo_f16 v12, v4, v0, 0 op_sel_hi:[0,1,0]
	v_or_b32_e32 v22, v9, v22
	v_lshlrev_b32_e32 v0, 16, v10
	v_lshlrev_b32_e32 v10, 16, v5
	v_fma_mixlo_f16 v6, v4, v6, 0 op_sel_hi:[0,1,0]
	v_and_b32_e32 v5, 0xffff, v12
	v_fma_mixlo_f16 v12, v4, v34, 0 op_sel:[0,1,0] op_sel_hi:[0,1,0]
	v_fma_mixlo_f16 v11, v4, v11, 0 op_sel_hi:[0,1,0]
	v_fma_mixlo_f16 v9, v4, v9, 0 op_sel:[0,1,0] op_sel_hi:[0,1,0]
	v_fma_mixlo_f16 v22, v4, v22, 0 op_sel_hi:[0,1,0]
	v_and_b32_e32 v35, 0xffff, v6
	v_lshlrev_b32_e32 v6, 16, v12
	v_and_b32_e32 v12, 0xffff, v11
	v_lshlrev_b32_e32 v4, 16, v9
	v_and_b32_e32 v9, 0xffff, v22
	v_or_b32_e32 v11, v0, v5
	v_or_b32_e32 v34, v10, v35
	;; [unrolled: 1-line block ×4, first 2 shown]
	s_and_saveexec_b32 s13, vcc_lo
	s_cbranch_execz .LBB327_1765
; %bb.1764:                             ;   in Loop: Header=BB327_1567 Depth=1
	v_cmp_lt_i32_e64 s4, v71, v36
	v_cndmask_b32_e64 v11, 0, v35, s4
	v_cmp_lt_i32_e64 s4, v100, v36
	v_cndmask_b32_e64 v10, 0, v10, s4
	v_cmp_lt_i32_e64 s4, v99, v36
	v_or_b32_e32 v34, v11, v10
	v_cndmask_b32_e64 v5, 0, v5, s4
	v_cmp_lt_i32_e64 s4, v98, v36
	v_cndmask_b32_e64 v0, 0, v0, s4
	v_cmp_lt_i32_e64 s4, v97, v36
	v_or_b32_e32 v11, v5, v0
	;; [unrolled: 5-line block ×3, first 2 shown]
	v_cndmask_b32_e64 v9, 0, v9, s4
	v_cmp_lt_i32_e64 s4, v86, v36
	v_cndmask_b32_e64 v4, 0, v4, s4
	v_or_b32_e32 v22, v9, v4
.LBB327_1765:                           ;   in Loop: Header=BB327_1567 Depth=1
	s_or_b32 exec_lo, exec_lo, s13
	;;#ASMSTART
	v_pk_mul_f16 v0, v83, v34;

	;;#ASMEND
	;;#ASMSTART
	v_pk_mul_f16 v4, v82, v11;

	;;#ASMEND
	;; [unrolled: 4-line block ×4, first 2 shown]
	;;#ASMSTART
	v_pk_add_f16 v0, v0, v4;

	;;#ASMEND
	;;#ASMSTART
	v_pk_add_f16 v0, v0, v5;

	;;#ASMEND
	;;#ASMSTART
	v_pk_add_f16 v0, v0, v6;

	;;#ASMEND
	v_and_b32_e32 v4, 0xffff, v0
	v_lshrrev_b32_e32 v0, 16, v0
	;;#ASMSTART
	v_cvt_f32_f16 v103, v4;
	;;#ASMEND
	;;#ASMSTART
	v_cvt_f32_f16 v112, v0;
	;;#ASMEND
	flat_load_dwordx2 v[9:10], v[7:8] offset:768
	flat_load_dword v4, v[120:121]
	v_mov_b32_e32 v5, 0
	v_mov_b32_e32 v6, 0
	s_waitcnt vmcnt(1) lgkmcnt(1)
	v_cmp_ne_u16_sdwa s4, v9, v1 src0_sel:BYTE_0 src1_sel:DWORD
	s_and_saveexec_b32 s13, s4
	s_cbranch_execz .LBB327_1773
; %bb.1766:                             ;   in Loop: Header=BB327_1567 Depth=1
	v_cmp_ne_u16_sdwa s4, v9, v17 src0_sel:BYTE_0 src1_sel:DWORD
	v_mov_b32_e32 v6, 0x8000
	s_and_saveexec_b32 s15, s4
	s_cbranch_execz .LBB327_1772
; %bb.1767:                             ;   in Loop: Header=BB327_1567 Depth=1
	v_and_b32_e32 v11, 0x7f, v9
	v_mov_b32_e32 v6, 0x7c01
	s_mov_b32 s18, exec_lo
	v_cmpx_ne_u32_e32 0x7f, v11
	s_cbranch_execz .LBB327_1771
; %bb.1768:                             ;   in Loop: Header=BB327_1567 Depth=1
	v_and_b32_e32 v0, 7, v9
	v_lshrrev_b32_e32 v6, 3, v11
	s_mov_b32 s20, exec_lo
	v_cmpx_gt_u32_e32 8, v11
; %bb.1769:                             ;   in Loop: Header=BB327_1567 Depth=1
	v_ffbh_u32_e32 v0, v0
	v_min_u32_e32 v0, 32, v0
	v_subrev_nc_u32_e32 v6, 28, v0
	v_lshlrev_b64 v[11:12], v6, v[9:10]
	v_sub_nc_u32_e32 v6, 29, v0
	v_and_b32_e32 v0, 7, v11
; %bb.1770:                             ;   in Loop: Header=BB327_1567 Depth=1
	s_or_b32 exec_lo, exec_lo, s20
	v_lshlrev_b32_e32 v11, 8, v9
	v_lshl_add_u32 v6, v6, 10, 0x2000
	v_lshlrev_b32_e32 v0, 7, v0
	v_and_b32_e32 v11, 0x8000, v11
	v_and_b32_e32 v6, 0xfc00, v6
	v_or3_b32 v6, v11, v6, v0
.LBB327_1771:                           ;   in Loop: Header=BB327_1567 Depth=1
	s_or_b32 exec_lo, exec_lo, s18
.LBB327_1772:                           ;   in Loop: Header=BB327_1567 Depth=1
	s_or_b32 exec_lo, exec_lo, s15
.LBB327_1773:                           ;   in Loop: Header=BB327_1567 Depth=1
	s_or_b32 exec_lo, exec_lo, s13
	v_lshrrev_b16 v0, 8, v9
	s_mov_b32 s13, exec_lo
	v_cmpx_ne_u16_e32 0, v0
	s_cbranch_execz .LBB327_1781
; %bb.1774:                             ;   in Loop: Header=BB327_1567 Depth=1
	v_bfrev_b32_e32 v5, 1
	s_mov_b32 s15, exec_lo
	v_cmpx_ne_u16_e32 0x80, v0
	s_cbranch_execz .LBB327_1780
; %bb.1775:                             ;   in Loop: Header=BB327_1567 Depth=1
	v_and_b32_sdwa v12, v0, v38 dst_sel:DWORD dst_unused:UNUSED_PAD src0_sel:WORD_0 src1_sel:DWORD
	v_mov_b32_e32 v5, 0x7c010000
	s_mov_b32 s18, exec_lo
	v_cmpx_ne_u32_e32 0x7f, v12
	s_cbranch_execz .LBB327_1779
; %bb.1776:                             ;   in Loop: Header=BB327_1567 Depth=1
	v_and_b32_sdwa v5, v0, v39 dst_sel:DWORD dst_unused:UNUSED_PAD src0_sel:WORD_0 src1_sel:DWORD
	v_lshrrev_b32_e32 v11, 3, v12
	s_mov_b32 s20, exec_lo
	v_cmpx_gt_u32_e32 8, v12
; %bb.1777:                             ;   in Loop: Header=BB327_1567 Depth=1
	v_ffbh_u32_e32 v5, v5
	v_min_u32_e32 v5, 32, v5
	v_subrev_nc_u32_e32 v11, 28, v5
	v_lshlrev_b64 v[22:23], v11, v[0:1]
	v_sub_nc_u32_e32 v11, 29, v5
	v_and_b32_e32 v5, 7, v22
; %bb.1778:                             ;   in Loop: Header=BB327_1567 Depth=1
	s_or_b32 exec_lo, exec_lo, s20
	v_lshlrev_b32_sdwa v0, v69, v0 dst_sel:DWORD dst_unused:UNUSED_PAD src0_sel:DWORD src1_sel:WORD_0
	v_lshl_add_u32 v11, v11, 10, 0x2000
	v_lshlrev_b32_e32 v5, 23, v5
	v_and_or_b32 v0, 0x8000, v0, v11
	v_lshl_or_b32 v5, v0, 16, v5
.LBB327_1779:                           ;   in Loop: Header=BB327_1567 Depth=1
	s_or_b32 exec_lo, exec_lo, s18
.LBB327_1780:                           ;   in Loop: Header=BB327_1567 Depth=1
	s_or_b32 exec_lo, exec_lo, s15
.LBB327_1781:                           ;   in Loop: Header=BB327_1567 Depth=1
	s_or_b32 exec_lo, exec_lo, s13
	v_lshrrev_b32_e32 v0, 16, v9
	v_mov_b32_e32 v11, 0
	v_mov_b32_e32 v12, 0
	v_cmp_ne_u16_sdwa s4, v0, v1 src0_sel:BYTE_0 src1_sel:DWORD
	s_and_saveexec_b32 s13, s4
	s_cbranch_execz .LBB327_1789
; %bb.1782:                             ;   in Loop: Header=BB327_1567 Depth=1
	v_cmp_ne_u16_sdwa s4, v0, v17 src0_sel:BYTE_0 src1_sel:DWORD
	v_mov_b32_e32 v12, 0x8000
	s_and_saveexec_b32 s15, s4
	s_cbranch_execz .LBB327_1788
; %bb.1783:                             ;   in Loop: Header=BB327_1567 Depth=1
	v_bfe_u32 v23, v9, 16, 7
	v_mov_b32_e32 v12, 0x7c01
	s_mov_b32 s18, exec_lo
	v_cmpx_ne_u32_e32 0x7f, v23
	s_cbranch_execz .LBB327_1787
; %bb.1784:                             ;   in Loop: Header=BB327_1567 Depth=1
	v_and_b32_e32 v12, 7, v0
	v_lshrrev_b32_e32 v22, 3, v23
	s_mov_b32 s20, exec_lo
	v_cmpx_gt_u32_e32 8, v23
; %bb.1785:                             ;   in Loop: Header=BB327_1567 Depth=1
	v_ffbh_u32_e32 v12, v12
	v_min_u32_e32 v12, 32, v12
	v_subrev_nc_u32_e32 v22, 28, v12
	v_lshlrev_b64 v[26:27], v22, v[0:1]
	v_sub_nc_u32_e32 v22, 29, v12
	v_and_b32_e32 v12, 7, v26
; %bb.1786:                             ;   in Loop: Header=BB327_1567 Depth=1
	s_or_b32 exec_lo, exec_lo, s20
	v_lshlrev_b32_e32 v0, 8, v0
	v_lshl_add_u32 v22, v22, 10, 0x2000
	v_lshlrev_b32_e32 v12, 7, v12
	v_and_b32_e32 v0, 0x8000, v0
	v_and_b32_e32 v22, 0xfc00, v22
	v_or3_b32 v12, v0, v22, v12
.LBB327_1787:                           ;   in Loop: Header=BB327_1567 Depth=1
	s_or_b32 exec_lo, exec_lo, s18
.LBB327_1788:                           ;   in Loop: Header=BB327_1567 Depth=1
	s_or_b32 exec_lo, exec_lo, s15
.LBB327_1789:                           ;   in Loop: Header=BB327_1567 Depth=1
	s_or_b32 exec_lo, exec_lo, s13
	s_mov_b32 s13, exec_lo
	v_cmpx_lt_u32_e32 0xffffff, v9
	s_cbranch_execz .LBB327_1797
; %bb.1790:                             ;   in Loop: Header=BB327_1567 Depth=1
	v_lshrrev_b32_e32 v0, 24, v9
	v_bfrev_b32_e32 v11, 1
	s_mov_b32 s15, exec_lo
	v_cmpx_ne_u32_e32 0x80, v0
	s_cbranch_execz .LBB327_1796
; %bb.1791:                             ;   in Loop: Header=BB327_1567 Depth=1
	v_and_b32_e32 v23, 0x7f, v0
	v_mov_b32_e32 v11, 0x7c010000
	s_mov_b32 s18, exec_lo
	v_cmpx_ne_u32_e32 0x7f, v23
	s_cbranch_execz .LBB327_1795
; %bb.1792:                             ;   in Loop: Header=BB327_1567 Depth=1
	v_and_b32_e32 v11, 7, v0
	v_lshrrev_b32_e32 v22, 3, v23
	s_mov_b32 s20, exec_lo
	v_cmpx_gt_u32_e32 8, v23
; %bb.1793:                             ;   in Loop: Header=BB327_1567 Depth=1
	v_ffbh_u32_e32 v11, v11
	v_min_u32_e32 v11, 32, v11
	v_subrev_nc_u32_e32 v22, 28, v11
	v_lshlrev_b64 v[26:27], v22, v[0:1]
	v_sub_nc_u32_e32 v22, 29, v11
	v_and_b32_e32 v11, 7, v26
; %bb.1794:                             ;   in Loop: Header=BB327_1567 Depth=1
	s_or_b32 exec_lo, exec_lo, s20
	v_lshlrev_b32_e32 v0, 8, v0
	v_lshl_add_u32 v22, v22, 10, 0x2000
	v_lshlrev_b32_e32 v11, 23, v11
	v_and_or_b32 v0, 0x8000, v0, v22
	v_lshl_or_b32 v11, v0, 16, v11
.LBB327_1795:                           ;   in Loop: Header=BB327_1567 Depth=1
	s_or_b32 exec_lo, exec_lo, s18
.LBB327_1796:                           ;   in Loop: Header=BB327_1567 Depth=1
	s_or_b32 exec_lo, exec_lo, s15
.LBB327_1797:                           ;   in Loop: Header=BB327_1567 Depth=1
	s_or_b32 exec_lo, exec_lo, s13
	v_mov_b32_e32 v0, v10
	v_cmp_ne_u16_sdwa s4, v10, v1 src0_sel:BYTE_0 src1_sel:DWORD
	v_mov_b32_e32 v22, 0
	v_mov_b32_e32 v23, 0
	s_and_saveexec_b32 s13, s4
	s_cbranch_execz .LBB327_1805
; %bb.1798:                             ;   in Loop: Header=BB327_1567 Depth=1
	v_cmp_ne_u16_sdwa s4, v10, v17 src0_sel:BYTE_0 src1_sel:DWORD
	v_mov_b32_e32 v23, 0x8000
	s_and_saveexec_b32 s15, s4
	s_cbranch_execz .LBB327_1804
; %bb.1799:                             ;   in Loop: Header=BB327_1567 Depth=1
	v_and_b32_e32 v35, 0x7f, v10
	v_mov_b32_e32 v23, 0x7c01
	s_mov_b32 s18, exec_lo
	v_cmpx_ne_u32_e32 0x7f, v35
	s_cbranch_execz .LBB327_1803
; %bb.1800:                             ;   in Loop: Header=BB327_1567 Depth=1
	v_and_b32_e32 v23, 7, v10
	v_lshrrev_b32_e32 v34, 3, v35
	s_mov_b32 s20, exec_lo
	v_cmpx_gt_u32_e32 8, v35
; %bb.1801:                             ;   in Loop: Header=BB327_1567 Depth=1
	v_ffbh_u32_e32 v23, v23
	v_min_u32_e32 v23, 32, v23
	v_subrev_nc_u32_e32 v26, 28, v23
	v_sub_nc_u32_e32 v34, 29, v23
	v_lshlrev_b64 v[26:27], v26, v[0:1]
	v_and_b32_e32 v23, 7, v26
; %bb.1802:                             ;   in Loop: Header=BB327_1567 Depth=1
	s_or_b32 exec_lo, exec_lo, s20
	v_lshlrev_b32_e32 v26, 8, v10
	v_lshl_add_u32 v27, v34, 10, 0x2000
	v_lshlrev_b32_e32 v23, 7, v23
	v_and_b32_e32 v26, 0x8000, v26
	v_and_b32_e32 v27, 0xfc00, v27
	v_or3_b32 v23, v26, v27, v23
.LBB327_1803:                           ;   in Loop: Header=BB327_1567 Depth=1
	s_or_b32 exec_lo, exec_lo, s18
.LBB327_1804:                           ;   in Loop: Header=BB327_1567 Depth=1
	s_or_b32 exec_lo, exec_lo, s15
.LBB327_1805:                           ;   in Loop: Header=BB327_1567 Depth=1
	s_or_b32 exec_lo, exec_lo, s13
	v_lshrrev_b16 v0, 8, v0
	v_mov_b32_e32 v34, 0
	s_mov_b32 s13, exec_lo
	v_cmpx_ne_u16_e32 0, v0
	s_cbranch_execz .LBB327_1813
; %bb.1806:                             ;   in Loop: Header=BB327_1567 Depth=1
	v_bfrev_b32_e32 v34, 1
	s_mov_b32 s15, exec_lo
	v_cmpx_ne_u16_e32 0x80, v0
	s_cbranch_execz .LBB327_1812
; %bb.1807:                             ;   in Loop: Header=BB327_1567 Depth=1
	v_and_b32_sdwa v37, v0, v38 dst_sel:DWORD dst_unused:UNUSED_PAD src0_sel:WORD_0 src1_sel:DWORD
	v_mov_b32_e32 v34, 0x7c010000
	s_mov_b32 s18, exec_lo
	v_cmpx_ne_u32_e32 0x7f, v37
	s_cbranch_execz .LBB327_1811
; %bb.1808:                             ;   in Loop: Header=BB327_1567 Depth=1
	v_and_b32_sdwa v34, v0, v39 dst_sel:DWORD dst_unused:UNUSED_PAD src0_sel:WORD_0 src1_sel:DWORD
	v_lshrrev_b32_e32 v35, 3, v37
	s_mov_b32 s20, exec_lo
	v_cmpx_gt_u32_e32 8, v37
; %bb.1809:                             ;   in Loop: Header=BB327_1567 Depth=1
	v_ffbh_u32_e32 v26, v34
	v_min_u32_e32 v34, 32, v26
	v_subrev_nc_u32_e32 v26, 28, v34
	v_sub_nc_u32_e32 v35, 29, v34
	v_lshlrev_b64 v[26:27], v26, v[0:1]
	v_and_b32_e32 v34, 7, v26
; %bb.1810:                             ;   in Loop: Header=BB327_1567 Depth=1
	s_or_b32 exec_lo, exec_lo, s20
	v_lshlrev_b32_sdwa v0, v69, v0 dst_sel:DWORD dst_unused:UNUSED_PAD src0_sel:DWORD src1_sel:WORD_0
	v_lshl_add_u32 v26, v35, 10, 0x2000
	v_and_or_b32 v0, 0x8000, v0, v26
	v_lshlrev_b32_e32 v26, 23, v34
	v_lshl_or_b32 v34, v0, 16, v26
.LBB327_1811:                           ;   in Loop: Header=BB327_1567 Depth=1
	s_or_b32 exec_lo, exec_lo, s18
.LBB327_1812:                           ;   in Loop: Header=BB327_1567 Depth=1
	s_or_b32 exec_lo, exec_lo, s15
.LBB327_1813:                           ;   in Loop: Header=BB327_1567 Depth=1
	s_or_b32 exec_lo, exec_lo, s13
	v_lshrrev_b32_e32 v0, 16, v10
	v_cmp_ne_u16_sdwa s4, v0, v1 src0_sel:BYTE_0 src1_sel:DWORD
	s_and_saveexec_b32 s13, s4
	s_cbranch_execz .LBB327_1821
; %bb.1814:                             ;   in Loop: Header=BB327_1567 Depth=1
	v_cmp_ne_u16_sdwa s4, v0, v17 src0_sel:BYTE_0 src1_sel:DWORD
	v_mov_b32_e32 v22, 0x8000
	s_and_saveexec_b32 s15, s4
	s_cbranch_execz .LBB327_1820
; %bb.1815:                             ;   in Loop: Header=BB327_1567 Depth=1
	v_bfe_u32 v37, v10, 16, 7
	v_mov_b32_e32 v22, 0x7c01
	s_mov_b32 s18, exec_lo
	v_cmpx_ne_u32_e32 0x7f, v37
	s_cbranch_execz .LBB327_1819
; %bb.1816:                             ;   in Loop: Header=BB327_1567 Depth=1
	v_and_b32_e32 v22, 7, v0
	v_lshrrev_b32_e32 v35, 3, v37
	s_mov_b32 s20, exec_lo
	v_cmpx_gt_u32_e32 8, v37
; %bb.1817:                             ;   in Loop: Header=BB327_1567 Depth=1
	v_ffbh_u32_e32 v22, v22
	v_min_u32_e32 v22, 32, v22
	v_subrev_nc_u32_e32 v26, 28, v22
	v_sub_nc_u32_e32 v35, 29, v22
	v_lshlrev_b64 v[26:27], v26, v[0:1]
	v_and_b32_e32 v22, 7, v26
; %bb.1818:                             ;   in Loop: Header=BB327_1567 Depth=1
	s_or_b32 exec_lo, exec_lo, s20
	v_lshlrev_b32_e32 v0, 8, v0
	v_lshl_add_u32 v26, v35, 10, 0x2000
	v_lshlrev_b32_e32 v22, 7, v22
	v_and_b32_e32 v0, 0x8000, v0
	v_and_b32_e32 v26, 0xfc00, v26
	v_or3_b32 v22, v0, v26, v22
.LBB327_1819:                           ;   in Loop: Header=BB327_1567 Depth=1
	s_or_b32 exec_lo, exec_lo, s18
.LBB327_1820:                           ;   in Loop: Header=BB327_1567 Depth=1
	s_or_b32 exec_lo, exec_lo, s15
.LBB327_1821:                           ;   in Loop: Header=BB327_1567 Depth=1
	s_or_b32 exec_lo, exec_lo, s13
	v_cmp_lt_u64_e64 s4, s[8:9], v[9:10]
	v_mov_b32_e32 v9, 0
	s_and_saveexec_b32 s13, s4
	s_cbranch_execz .LBB327_1829
; %bb.1822:                             ;   in Loop: Header=BB327_1567 Depth=1
	v_lshrrev_b32_e32 v0, 24, v10
	v_bfrev_b32_e32 v9, 1
	s_mov_b32 s15, exec_lo
	v_cmpx_ne_u32_e32 0x80, v0
	s_cbranch_execz .LBB327_1828
; %bb.1823:                             ;   in Loop: Header=BB327_1567 Depth=1
	v_and_b32_e32 v35, 0x7f, v0
	v_mov_b32_e32 v9, 0x7c010000
	s_mov_b32 s18, exec_lo
	v_cmpx_ne_u32_e32 0x7f, v35
	s_cbranch_execz .LBB327_1827
; %bb.1824:                             ;   in Loop: Header=BB327_1567 Depth=1
	v_and_b32_e32 v9, 7, v0
	v_lshrrev_b32_e32 v10, 3, v35
	s_mov_b32 s20, exec_lo
	v_cmpx_gt_u32_e32 8, v35
; %bb.1825:                             ;   in Loop: Header=BB327_1567 Depth=1
	v_ffbh_u32_e32 v9, v9
	v_min_u32_e32 v26, 32, v9
	v_subrev_nc_u32_e32 v9, 28, v26
	v_lshlrev_b64 v[9:10], v9, v[0:1]
	v_sub_nc_u32_e32 v10, 29, v26
	v_and_b32_e32 v9, 7, v9
; %bb.1826:                             ;   in Loop: Header=BB327_1567 Depth=1
	s_or_b32 exec_lo, exec_lo, s20
	v_lshlrev_b32_e32 v0, 8, v0
	v_lshl_add_u32 v10, v10, 10, 0x2000
	v_lshlrev_b32_e32 v9, 23, v9
	v_and_or_b32 v0, 0x8000, v0, v10
	v_lshl_or_b32 v9, v0, 16, v9
.LBB327_1827:                           ;   in Loop: Header=BB327_1567 Depth=1
	s_or_b32 exec_lo, exec_lo, s18
.LBB327_1828:                           ;   in Loop: Header=BB327_1567 Depth=1
	s_or_b32 exec_lo, exec_lo, s15
.LBB327_1829:                           ;   in Loop: Header=BB327_1567 Depth=1
	s_or_b32 exec_lo, exec_lo, s13
	v_or_b32_e32 v0, v11, v12
	s_waitcnt vmcnt(0) lgkmcnt(0)
	v_fma_mixlo_f16 v10, v4, v11, 0 op_sel:[0,1,0] op_sel_hi:[0,1,0]
	v_or_b32_e32 v6, v5, v6
	v_fma_mixlo_f16 v5, v4, v5, 0 op_sel:[0,1,0] op_sel_hi:[0,1,0]
	v_or_b32_e32 v11, v34, v23
	v_fma_mixlo_f16 v12, v4, v0, 0 op_sel_hi:[0,1,0]
	v_or_b32_e32 v22, v9, v22
	v_lshlrev_b32_e32 v0, 16, v10
	v_lshlrev_b32_e32 v10, 16, v5
	v_fma_mixlo_f16 v6, v4, v6, 0 op_sel_hi:[0,1,0]
	v_and_b32_e32 v5, 0xffff, v12
	v_fma_mixlo_f16 v12, v4, v34, 0 op_sel:[0,1,0] op_sel_hi:[0,1,0]
	v_fma_mixlo_f16 v11, v4, v11, 0 op_sel_hi:[0,1,0]
	v_fma_mixlo_f16 v9, v4, v9, 0 op_sel:[0,1,0] op_sel_hi:[0,1,0]
	v_fma_mixlo_f16 v22, v4, v22, 0 op_sel_hi:[0,1,0]
	v_and_b32_e32 v35, 0xffff, v6
	v_lshlrev_b32_e32 v6, 16, v12
	v_and_b32_e32 v12, 0xffff, v11
	v_lshlrev_b32_e32 v4, 16, v9
	v_and_b32_e32 v9, 0xffff, v22
	v_or_b32_e32 v11, v0, v5
	v_or_b32_e32 v34, v10, v35
	v_or_b32_e32 v23, v6, v12
	v_or_b32_e32 v22, v4, v9
	s_and_saveexec_b32 s13, vcc_lo
	s_cbranch_execz .LBB327_1831
; %bb.1830:                             ;   in Loop: Header=BB327_1567 Depth=1
	v_cmp_lt_i32_e64 s4, v71, v36
	v_cndmask_b32_e64 v11, 0, v35, s4
	v_cmp_lt_i32_e64 s4, v100, v36
	v_cndmask_b32_e64 v10, 0, v10, s4
	v_cmp_lt_i32_e64 s4, v99, v36
	v_or_b32_e32 v34, v11, v10
	v_cndmask_b32_e64 v5, 0, v5, s4
	v_cmp_lt_i32_e64 s4, v98, v36
	v_cndmask_b32_e64 v0, 0, v0, s4
	v_cmp_lt_i32_e64 s4, v97, v36
	v_or_b32_e32 v11, v5, v0
	;; [unrolled: 5-line block ×3, first 2 shown]
	v_cndmask_b32_e64 v9, 0, v9, s4
	v_cmp_lt_i32_e64 s4, v86, v36
	v_cndmask_b32_e64 v4, 0, v4, s4
	v_or_b32_e32 v22, v9, v4
.LBB327_1831:                           ;   in Loop: Header=BB327_1567 Depth=1
	s_or_b32 exec_lo, exec_lo, s13
	;;#ASMSTART
	v_pk_mul_f16 v0, v83, v34;

	;;#ASMEND
	;;#ASMSTART
	v_pk_mul_f16 v4, v82, v11;

	;;#ASMEND
	;; [unrolled: 4-line block ×4, first 2 shown]
	;;#ASMSTART
	v_pk_add_f16 v0, v0, v4;

	;;#ASMEND
	;;#ASMSTART
	v_pk_add_f16 v0, v0, v5;

	;;#ASMEND
	;;#ASMSTART
	v_pk_add_f16 v0, v0, v6;

	;;#ASMEND
	v_and_b32_e32 v4, 0xffff, v0
	v_lshrrev_b32_e32 v0, 16, v0
	;;#ASMSTART
	v_cvt_f32_f16 v113, v4;
	;;#ASMEND
	;;#ASMSTART
	v_cvt_f32_f16 v114, v0;
	;;#ASMEND
	flat_load_dwordx2 v[9:10], v[7:8] offset:1024
	flat_load_dword v4, v[120:121]
	v_mov_b32_e32 v5, 0
	v_mov_b32_e32 v6, 0
	s_waitcnt vmcnt(1) lgkmcnt(1)
	v_cmp_ne_u16_sdwa s4, v9, v1 src0_sel:BYTE_0 src1_sel:DWORD
	s_and_saveexec_b32 s13, s4
	s_cbranch_execz .LBB327_1839
; %bb.1832:                             ;   in Loop: Header=BB327_1567 Depth=1
	v_cmp_ne_u16_sdwa s4, v9, v17 src0_sel:BYTE_0 src1_sel:DWORD
	v_mov_b32_e32 v6, 0x8000
	s_and_saveexec_b32 s15, s4
	s_cbranch_execz .LBB327_1838
; %bb.1833:                             ;   in Loop: Header=BB327_1567 Depth=1
	v_and_b32_e32 v11, 0x7f, v9
	v_mov_b32_e32 v6, 0x7c01
	s_mov_b32 s18, exec_lo
	v_cmpx_ne_u32_e32 0x7f, v11
	s_cbranch_execz .LBB327_1837
; %bb.1834:                             ;   in Loop: Header=BB327_1567 Depth=1
	v_and_b32_e32 v0, 7, v9
	v_lshrrev_b32_e32 v6, 3, v11
	s_mov_b32 s20, exec_lo
	v_cmpx_gt_u32_e32 8, v11
; %bb.1835:                             ;   in Loop: Header=BB327_1567 Depth=1
	v_ffbh_u32_e32 v0, v0
	v_min_u32_e32 v0, 32, v0
	v_subrev_nc_u32_e32 v6, 28, v0
	v_lshlrev_b64 v[11:12], v6, v[9:10]
	v_sub_nc_u32_e32 v6, 29, v0
	v_and_b32_e32 v0, 7, v11
; %bb.1836:                             ;   in Loop: Header=BB327_1567 Depth=1
	s_or_b32 exec_lo, exec_lo, s20
	v_lshlrev_b32_e32 v11, 8, v9
	v_lshl_add_u32 v6, v6, 10, 0x2000
	v_lshlrev_b32_e32 v0, 7, v0
	v_and_b32_e32 v11, 0x8000, v11
	v_and_b32_e32 v6, 0xfc00, v6
	v_or3_b32 v6, v11, v6, v0
.LBB327_1837:                           ;   in Loop: Header=BB327_1567 Depth=1
	s_or_b32 exec_lo, exec_lo, s18
.LBB327_1838:                           ;   in Loop: Header=BB327_1567 Depth=1
	s_or_b32 exec_lo, exec_lo, s15
.LBB327_1839:                           ;   in Loop: Header=BB327_1567 Depth=1
	s_or_b32 exec_lo, exec_lo, s13
	v_lshrrev_b16 v0, 8, v9
	s_mov_b32 s13, exec_lo
	v_cmpx_ne_u16_e32 0, v0
	s_cbranch_execz .LBB327_1847
; %bb.1840:                             ;   in Loop: Header=BB327_1567 Depth=1
	v_bfrev_b32_e32 v5, 1
	s_mov_b32 s15, exec_lo
	v_cmpx_ne_u16_e32 0x80, v0
	s_cbranch_execz .LBB327_1846
; %bb.1841:                             ;   in Loop: Header=BB327_1567 Depth=1
	v_and_b32_sdwa v12, v0, v38 dst_sel:DWORD dst_unused:UNUSED_PAD src0_sel:WORD_0 src1_sel:DWORD
	v_mov_b32_e32 v5, 0x7c010000
	s_mov_b32 s18, exec_lo
	v_cmpx_ne_u32_e32 0x7f, v12
	s_cbranch_execz .LBB327_1845
; %bb.1842:                             ;   in Loop: Header=BB327_1567 Depth=1
	v_and_b32_sdwa v5, v0, v39 dst_sel:DWORD dst_unused:UNUSED_PAD src0_sel:WORD_0 src1_sel:DWORD
	v_lshrrev_b32_e32 v11, 3, v12
	s_mov_b32 s20, exec_lo
	v_cmpx_gt_u32_e32 8, v12
; %bb.1843:                             ;   in Loop: Header=BB327_1567 Depth=1
	v_ffbh_u32_e32 v5, v5
	v_min_u32_e32 v5, 32, v5
	v_subrev_nc_u32_e32 v11, 28, v5
	v_lshlrev_b64 v[22:23], v11, v[0:1]
	v_sub_nc_u32_e32 v11, 29, v5
	v_and_b32_e32 v5, 7, v22
; %bb.1844:                             ;   in Loop: Header=BB327_1567 Depth=1
	s_or_b32 exec_lo, exec_lo, s20
	v_lshlrev_b32_sdwa v0, v69, v0 dst_sel:DWORD dst_unused:UNUSED_PAD src0_sel:DWORD src1_sel:WORD_0
	v_lshl_add_u32 v11, v11, 10, 0x2000
	v_lshlrev_b32_e32 v5, 23, v5
	v_and_or_b32 v0, 0x8000, v0, v11
	v_lshl_or_b32 v5, v0, 16, v5
.LBB327_1845:                           ;   in Loop: Header=BB327_1567 Depth=1
	s_or_b32 exec_lo, exec_lo, s18
.LBB327_1846:                           ;   in Loop: Header=BB327_1567 Depth=1
	s_or_b32 exec_lo, exec_lo, s15
.LBB327_1847:                           ;   in Loop: Header=BB327_1567 Depth=1
	s_or_b32 exec_lo, exec_lo, s13
	v_lshrrev_b32_e32 v0, 16, v9
	v_mov_b32_e32 v11, 0
	v_mov_b32_e32 v12, 0
	v_cmp_ne_u16_sdwa s4, v0, v1 src0_sel:BYTE_0 src1_sel:DWORD
	s_and_saveexec_b32 s13, s4
	s_cbranch_execz .LBB327_1855
; %bb.1848:                             ;   in Loop: Header=BB327_1567 Depth=1
	v_cmp_ne_u16_sdwa s4, v0, v17 src0_sel:BYTE_0 src1_sel:DWORD
	v_mov_b32_e32 v12, 0x8000
	s_and_saveexec_b32 s15, s4
	s_cbranch_execz .LBB327_1854
; %bb.1849:                             ;   in Loop: Header=BB327_1567 Depth=1
	v_bfe_u32 v23, v9, 16, 7
	v_mov_b32_e32 v12, 0x7c01
	s_mov_b32 s18, exec_lo
	v_cmpx_ne_u32_e32 0x7f, v23
	s_cbranch_execz .LBB327_1853
; %bb.1850:                             ;   in Loop: Header=BB327_1567 Depth=1
	v_and_b32_e32 v12, 7, v0
	v_lshrrev_b32_e32 v22, 3, v23
	s_mov_b32 s20, exec_lo
	v_cmpx_gt_u32_e32 8, v23
; %bb.1851:                             ;   in Loop: Header=BB327_1567 Depth=1
	v_ffbh_u32_e32 v12, v12
	v_min_u32_e32 v12, 32, v12
	v_subrev_nc_u32_e32 v22, 28, v12
	v_lshlrev_b64 v[26:27], v22, v[0:1]
	v_sub_nc_u32_e32 v22, 29, v12
	v_and_b32_e32 v12, 7, v26
; %bb.1852:                             ;   in Loop: Header=BB327_1567 Depth=1
	s_or_b32 exec_lo, exec_lo, s20
	v_lshlrev_b32_e32 v0, 8, v0
	v_lshl_add_u32 v22, v22, 10, 0x2000
	v_lshlrev_b32_e32 v12, 7, v12
	v_and_b32_e32 v0, 0x8000, v0
	v_and_b32_e32 v22, 0xfc00, v22
	v_or3_b32 v12, v0, v22, v12
.LBB327_1853:                           ;   in Loop: Header=BB327_1567 Depth=1
	s_or_b32 exec_lo, exec_lo, s18
.LBB327_1854:                           ;   in Loop: Header=BB327_1567 Depth=1
	s_or_b32 exec_lo, exec_lo, s15
.LBB327_1855:                           ;   in Loop: Header=BB327_1567 Depth=1
	s_or_b32 exec_lo, exec_lo, s13
	s_mov_b32 s13, exec_lo
	v_cmpx_lt_u32_e32 0xffffff, v9
	s_cbranch_execz .LBB327_1863
; %bb.1856:                             ;   in Loop: Header=BB327_1567 Depth=1
	v_lshrrev_b32_e32 v0, 24, v9
	v_bfrev_b32_e32 v11, 1
	s_mov_b32 s15, exec_lo
	v_cmpx_ne_u32_e32 0x80, v0
	s_cbranch_execz .LBB327_1862
; %bb.1857:                             ;   in Loop: Header=BB327_1567 Depth=1
	v_and_b32_e32 v23, 0x7f, v0
	v_mov_b32_e32 v11, 0x7c010000
	s_mov_b32 s18, exec_lo
	v_cmpx_ne_u32_e32 0x7f, v23
	s_cbranch_execz .LBB327_1861
; %bb.1858:                             ;   in Loop: Header=BB327_1567 Depth=1
	v_and_b32_e32 v11, 7, v0
	v_lshrrev_b32_e32 v22, 3, v23
	s_mov_b32 s20, exec_lo
	v_cmpx_gt_u32_e32 8, v23
; %bb.1859:                             ;   in Loop: Header=BB327_1567 Depth=1
	v_ffbh_u32_e32 v11, v11
	v_min_u32_e32 v11, 32, v11
	v_subrev_nc_u32_e32 v22, 28, v11
	v_lshlrev_b64 v[26:27], v22, v[0:1]
	v_sub_nc_u32_e32 v22, 29, v11
	v_and_b32_e32 v11, 7, v26
; %bb.1860:                             ;   in Loop: Header=BB327_1567 Depth=1
	s_or_b32 exec_lo, exec_lo, s20
	v_lshlrev_b32_e32 v0, 8, v0
	v_lshl_add_u32 v22, v22, 10, 0x2000
	v_lshlrev_b32_e32 v11, 23, v11
	v_and_or_b32 v0, 0x8000, v0, v22
	v_lshl_or_b32 v11, v0, 16, v11
.LBB327_1861:                           ;   in Loop: Header=BB327_1567 Depth=1
	s_or_b32 exec_lo, exec_lo, s18
.LBB327_1862:                           ;   in Loop: Header=BB327_1567 Depth=1
	s_or_b32 exec_lo, exec_lo, s15
.LBB327_1863:                           ;   in Loop: Header=BB327_1567 Depth=1
	s_or_b32 exec_lo, exec_lo, s13
	v_mov_b32_e32 v0, v10
	v_cmp_ne_u16_sdwa s4, v10, v1 src0_sel:BYTE_0 src1_sel:DWORD
	v_mov_b32_e32 v22, 0
	v_mov_b32_e32 v23, 0
	s_and_saveexec_b32 s13, s4
	s_cbranch_execz .LBB327_1871
; %bb.1864:                             ;   in Loop: Header=BB327_1567 Depth=1
	v_cmp_ne_u16_sdwa s4, v10, v17 src0_sel:BYTE_0 src1_sel:DWORD
	v_mov_b32_e32 v23, 0x8000
	s_and_saveexec_b32 s15, s4
	s_cbranch_execz .LBB327_1870
; %bb.1865:                             ;   in Loop: Header=BB327_1567 Depth=1
	v_and_b32_e32 v35, 0x7f, v10
	v_mov_b32_e32 v23, 0x7c01
	s_mov_b32 s18, exec_lo
	v_cmpx_ne_u32_e32 0x7f, v35
	s_cbranch_execz .LBB327_1869
; %bb.1866:                             ;   in Loop: Header=BB327_1567 Depth=1
	v_and_b32_e32 v23, 7, v10
	v_lshrrev_b32_e32 v34, 3, v35
	s_mov_b32 s20, exec_lo
	v_cmpx_gt_u32_e32 8, v35
; %bb.1867:                             ;   in Loop: Header=BB327_1567 Depth=1
	v_ffbh_u32_e32 v23, v23
	v_min_u32_e32 v23, 32, v23
	v_subrev_nc_u32_e32 v26, 28, v23
	v_sub_nc_u32_e32 v34, 29, v23
	v_lshlrev_b64 v[26:27], v26, v[0:1]
	v_and_b32_e32 v23, 7, v26
; %bb.1868:                             ;   in Loop: Header=BB327_1567 Depth=1
	s_or_b32 exec_lo, exec_lo, s20
	v_lshlrev_b32_e32 v26, 8, v10
	v_lshl_add_u32 v27, v34, 10, 0x2000
	v_lshlrev_b32_e32 v23, 7, v23
	v_and_b32_e32 v26, 0x8000, v26
	v_and_b32_e32 v27, 0xfc00, v27
	v_or3_b32 v23, v26, v27, v23
.LBB327_1869:                           ;   in Loop: Header=BB327_1567 Depth=1
	s_or_b32 exec_lo, exec_lo, s18
.LBB327_1870:                           ;   in Loop: Header=BB327_1567 Depth=1
	s_or_b32 exec_lo, exec_lo, s15
.LBB327_1871:                           ;   in Loop: Header=BB327_1567 Depth=1
	s_or_b32 exec_lo, exec_lo, s13
	v_lshrrev_b16 v0, 8, v0
	v_mov_b32_e32 v34, 0
	s_mov_b32 s13, exec_lo
	v_cmpx_ne_u16_e32 0, v0
	s_cbranch_execz .LBB327_1879
; %bb.1872:                             ;   in Loop: Header=BB327_1567 Depth=1
	v_bfrev_b32_e32 v34, 1
	s_mov_b32 s15, exec_lo
	v_cmpx_ne_u16_e32 0x80, v0
	s_cbranch_execz .LBB327_1878
; %bb.1873:                             ;   in Loop: Header=BB327_1567 Depth=1
	v_and_b32_sdwa v37, v0, v38 dst_sel:DWORD dst_unused:UNUSED_PAD src0_sel:WORD_0 src1_sel:DWORD
	v_mov_b32_e32 v34, 0x7c010000
	s_mov_b32 s18, exec_lo
	v_cmpx_ne_u32_e32 0x7f, v37
	s_cbranch_execz .LBB327_1877
; %bb.1874:                             ;   in Loop: Header=BB327_1567 Depth=1
	v_and_b32_sdwa v34, v0, v39 dst_sel:DWORD dst_unused:UNUSED_PAD src0_sel:WORD_0 src1_sel:DWORD
	v_lshrrev_b32_e32 v35, 3, v37
	s_mov_b32 s20, exec_lo
	v_cmpx_gt_u32_e32 8, v37
; %bb.1875:                             ;   in Loop: Header=BB327_1567 Depth=1
	v_ffbh_u32_e32 v26, v34
	v_min_u32_e32 v34, 32, v26
	v_subrev_nc_u32_e32 v26, 28, v34
	v_sub_nc_u32_e32 v35, 29, v34
	v_lshlrev_b64 v[26:27], v26, v[0:1]
	v_and_b32_e32 v34, 7, v26
; %bb.1876:                             ;   in Loop: Header=BB327_1567 Depth=1
	s_or_b32 exec_lo, exec_lo, s20
	v_lshlrev_b32_sdwa v0, v69, v0 dst_sel:DWORD dst_unused:UNUSED_PAD src0_sel:DWORD src1_sel:WORD_0
	v_lshl_add_u32 v26, v35, 10, 0x2000
	v_and_or_b32 v0, 0x8000, v0, v26
	v_lshlrev_b32_e32 v26, 23, v34
	v_lshl_or_b32 v34, v0, 16, v26
.LBB327_1877:                           ;   in Loop: Header=BB327_1567 Depth=1
	s_or_b32 exec_lo, exec_lo, s18
.LBB327_1878:                           ;   in Loop: Header=BB327_1567 Depth=1
	s_or_b32 exec_lo, exec_lo, s15
.LBB327_1879:                           ;   in Loop: Header=BB327_1567 Depth=1
	s_or_b32 exec_lo, exec_lo, s13
	v_lshrrev_b32_e32 v0, 16, v10
	v_cmp_ne_u16_sdwa s4, v0, v1 src0_sel:BYTE_0 src1_sel:DWORD
	s_and_saveexec_b32 s13, s4
	s_cbranch_execz .LBB327_1887
; %bb.1880:                             ;   in Loop: Header=BB327_1567 Depth=1
	v_cmp_ne_u16_sdwa s4, v0, v17 src0_sel:BYTE_0 src1_sel:DWORD
	v_mov_b32_e32 v22, 0x8000
	s_and_saveexec_b32 s15, s4
	s_cbranch_execz .LBB327_1886
; %bb.1881:                             ;   in Loop: Header=BB327_1567 Depth=1
	v_bfe_u32 v37, v10, 16, 7
	v_mov_b32_e32 v22, 0x7c01
	s_mov_b32 s18, exec_lo
	v_cmpx_ne_u32_e32 0x7f, v37
	s_cbranch_execz .LBB327_1885
; %bb.1882:                             ;   in Loop: Header=BB327_1567 Depth=1
	v_and_b32_e32 v22, 7, v0
	v_lshrrev_b32_e32 v35, 3, v37
	s_mov_b32 s20, exec_lo
	v_cmpx_gt_u32_e32 8, v37
; %bb.1883:                             ;   in Loop: Header=BB327_1567 Depth=1
	v_ffbh_u32_e32 v22, v22
	v_min_u32_e32 v22, 32, v22
	v_subrev_nc_u32_e32 v26, 28, v22
	v_sub_nc_u32_e32 v35, 29, v22
	v_lshlrev_b64 v[26:27], v26, v[0:1]
	v_and_b32_e32 v22, 7, v26
; %bb.1884:                             ;   in Loop: Header=BB327_1567 Depth=1
	s_or_b32 exec_lo, exec_lo, s20
	v_lshlrev_b32_e32 v0, 8, v0
	v_lshl_add_u32 v26, v35, 10, 0x2000
	v_lshlrev_b32_e32 v22, 7, v22
	v_and_b32_e32 v0, 0x8000, v0
	v_and_b32_e32 v26, 0xfc00, v26
	v_or3_b32 v22, v0, v26, v22
.LBB327_1885:                           ;   in Loop: Header=BB327_1567 Depth=1
	s_or_b32 exec_lo, exec_lo, s18
.LBB327_1886:                           ;   in Loop: Header=BB327_1567 Depth=1
	s_or_b32 exec_lo, exec_lo, s15
.LBB327_1887:                           ;   in Loop: Header=BB327_1567 Depth=1
	s_or_b32 exec_lo, exec_lo, s13
	v_cmp_lt_u64_e64 s4, s[8:9], v[9:10]
	v_mov_b32_e32 v9, 0
	s_and_saveexec_b32 s13, s4
	s_cbranch_execz .LBB327_1895
; %bb.1888:                             ;   in Loop: Header=BB327_1567 Depth=1
	v_lshrrev_b32_e32 v0, 24, v10
	v_bfrev_b32_e32 v9, 1
	s_mov_b32 s15, exec_lo
	v_cmpx_ne_u32_e32 0x80, v0
	s_cbranch_execz .LBB327_1894
; %bb.1889:                             ;   in Loop: Header=BB327_1567 Depth=1
	v_and_b32_e32 v35, 0x7f, v0
	v_mov_b32_e32 v9, 0x7c010000
	s_mov_b32 s18, exec_lo
	v_cmpx_ne_u32_e32 0x7f, v35
	s_cbranch_execz .LBB327_1893
; %bb.1890:                             ;   in Loop: Header=BB327_1567 Depth=1
	v_and_b32_e32 v9, 7, v0
	v_lshrrev_b32_e32 v10, 3, v35
	s_mov_b32 s20, exec_lo
	v_cmpx_gt_u32_e32 8, v35
; %bb.1891:                             ;   in Loop: Header=BB327_1567 Depth=1
	v_ffbh_u32_e32 v9, v9
	v_min_u32_e32 v26, 32, v9
	v_subrev_nc_u32_e32 v9, 28, v26
	v_lshlrev_b64 v[9:10], v9, v[0:1]
	v_sub_nc_u32_e32 v10, 29, v26
	v_and_b32_e32 v9, 7, v9
; %bb.1892:                             ;   in Loop: Header=BB327_1567 Depth=1
	s_or_b32 exec_lo, exec_lo, s20
	v_lshlrev_b32_e32 v0, 8, v0
	v_lshl_add_u32 v10, v10, 10, 0x2000
	v_lshlrev_b32_e32 v9, 23, v9
	v_and_or_b32 v0, 0x8000, v0, v10
	v_lshl_or_b32 v9, v0, 16, v9
.LBB327_1893:                           ;   in Loop: Header=BB327_1567 Depth=1
	s_or_b32 exec_lo, exec_lo, s18
.LBB327_1894:                           ;   in Loop: Header=BB327_1567 Depth=1
	s_or_b32 exec_lo, exec_lo, s15
.LBB327_1895:                           ;   in Loop: Header=BB327_1567 Depth=1
	s_or_b32 exec_lo, exec_lo, s13
	v_or_b32_e32 v0, v11, v12
	s_waitcnt vmcnt(0) lgkmcnt(0)
	v_fma_mixlo_f16 v10, v4, v11, 0 op_sel:[0,1,0] op_sel_hi:[0,1,0]
	v_or_b32_e32 v6, v5, v6
	v_fma_mixlo_f16 v5, v4, v5, 0 op_sel:[0,1,0] op_sel_hi:[0,1,0]
	v_or_b32_e32 v11, v34, v23
	v_fma_mixlo_f16 v12, v4, v0, 0 op_sel_hi:[0,1,0]
	v_or_b32_e32 v22, v9, v22
	v_lshlrev_b32_e32 v0, 16, v10
	v_lshlrev_b32_e32 v10, 16, v5
	v_fma_mixlo_f16 v6, v4, v6, 0 op_sel_hi:[0,1,0]
	v_and_b32_e32 v5, 0xffff, v12
	v_fma_mixlo_f16 v12, v4, v34, 0 op_sel:[0,1,0] op_sel_hi:[0,1,0]
	v_fma_mixlo_f16 v11, v4, v11, 0 op_sel_hi:[0,1,0]
	v_fma_mixlo_f16 v9, v4, v9, 0 op_sel:[0,1,0] op_sel_hi:[0,1,0]
	v_fma_mixlo_f16 v22, v4, v22, 0 op_sel_hi:[0,1,0]
	v_and_b32_e32 v35, 0xffff, v6
	v_lshlrev_b32_e32 v6, 16, v12
	v_and_b32_e32 v12, 0xffff, v11
	v_lshlrev_b32_e32 v4, 16, v9
	v_and_b32_e32 v9, 0xffff, v22
	v_or_b32_e32 v11, v0, v5
	v_or_b32_e32 v34, v10, v35
	v_or_b32_e32 v23, v6, v12
	v_or_b32_e32 v22, v4, v9
	s_and_saveexec_b32 s13, vcc_lo
	s_cbranch_execz .LBB327_1897
; %bb.1896:                             ;   in Loop: Header=BB327_1567 Depth=1
	v_cmp_lt_i32_e64 s4, v71, v36
	v_cndmask_b32_e64 v11, 0, v35, s4
	v_cmp_lt_i32_e64 s4, v100, v36
	v_cndmask_b32_e64 v10, 0, v10, s4
	v_cmp_lt_i32_e64 s4, v99, v36
	v_or_b32_e32 v34, v11, v10
	v_cndmask_b32_e64 v5, 0, v5, s4
	v_cmp_lt_i32_e64 s4, v98, v36
	v_cndmask_b32_e64 v0, 0, v0, s4
	v_cmp_lt_i32_e64 s4, v97, v36
	v_or_b32_e32 v11, v5, v0
	;; [unrolled: 5-line block ×3, first 2 shown]
	v_cndmask_b32_e64 v9, 0, v9, s4
	v_cmp_lt_i32_e64 s4, v86, v36
	v_cndmask_b32_e64 v4, 0, v4, s4
	v_or_b32_e32 v22, v9, v4
.LBB327_1897:                           ;   in Loop: Header=BB327_1567 Depth=1
	s_or_b32 exec_lo, exec_lo, s13
	;;#ASMSTART
	v_pk_mul_f16 v0, v83, v34;

	;;#ASMEND
	;;#ASMSTART
	v_pk_mul_f16 v4, v82, v11;

	;;#ASMEND
	;; [unrolled: 4-line block ×4, first 2 shown]
	;;#ASMSTART
	v_pk_add_f16 v0, v0, v4;

	;;#ASMEND
	;;#ASMSTART
	v_pk_add_f16 v0, v0, v5;

	;;#ASMEND
	;; [unrolled: 4-line block ×3, first 2 shown]
	v_and_b32_e32 v4, 0xffff, v0
	v_lshrrev_b32_e32 v0, 16, v0
	;;#ASMSTART
	v_cvt_f32_f16 v115, v4;
	;;#ASMEND
	;;#ASMSTART
	v_cvt_f32_f16 v116, v0;
	;;#ASMEND
	flat_load_dwordx2 v[9:10], v[7:8] offset:1280
	flat_load_dword v4, v[120:121]
	v_mov_b32_e32 v5, 0
	v_mov_b32_e32 v6, 0
	s_waitcnt vmcnt(1) lgkmcnt(1)
	v_cmp_ne_u16_sdwa s4, v9, v1 src0_sel:BYTE_0 src1_sel:DWORD
	s_and_saveexec_b32 s13, s4
	s_cbranch_execz .LBB327_1905
; %bb.1898:                             ;   in Loop: Header=BB327_1567 Depth=1
	v_cmp_ne_u16_sdwa s4, v9, v17 src0_sel:BYTE_0 src1_sel:DWORD
	v_mov_b32_e32 v6, 0x8000
	s_and_saveexec_b32 s15, s4
	s_cbranch_execz .LBB327_1904
; %bb.1899:                             ;   in Loop: Header=BB327_1567 Depth=1
	v_and_b32_e32 v11, 0x7f, v9
	v_mov_b32_e32 v6, 0x7c01
	s_mov_b32 s18, exec_lo
	v_cmpx_ne_u32_e32 0x7f, v11
	s_cbranch_execz .LBB327_1903
; %bb.1900:                             ;   in Loop: Header=BB327_1567 Depth=1
	v_and_b32_e32 v0, 7, v9
	v_lshrrev_b32_e32 v6, 3, v11
	s_mov_b32 s20, exec_lo
	v_cmpx_gt_u32_e32 8, v11
; %bb.1901:                             ;   in Loop: Header=BB327_1567 Depth=1
	v_ffbh_u32_e32 v0, v0
	v_min_u32_e32 v0, 32, v0
	v_subrev_nc_u32_e32 v6, 28, v0
	v_lshlrev_b64 v[11:12], v6, v[9:10]
	v_sub_nc_u32_e32 v6, 29, v0
	v_and_b32_e32 v0, 7, v11
; %bb.1902:                             ;   in Loop: Header=BB327_1567 Depth=1
	s_or_b32 exec_lo, exec_lo, s20
	v_lshlrev_b32_e32 v11, 8, v9
	v_lshl_add_u32 v6, v6, 10, 0x2000
	v_lshlrev_b32_e32 v0, 7, v0
	v_and_b32_e32 v11, 0x8000, v11
	v_and_b32_e32 v6, 0xfc00, v6
	v_or3_b32 v6, v11, v6, v0
.LBB327_1903:                           ;   in Loop: Header=BB327_1567 Depth=1
	s_or_b32 exec_lo, exec_lo, s18
.LBB327_1904:                           ;   in Loop: Header=BB327_1567 Depth=1
	s_or_b32 exec_lo, exec_lo, s15
.LBB327_1905:                           ;   in Loop: Header=BB327_1567 Depth=1
	s_or_b32 exec_lo, exec_lo, s13
	v_lshrrev_b16 v0, 8, v9
	s_mov_b32 s13, exec_lo
	v_cmpx_ne_u16_e32 0, v0
	s_cbranch_execz .LBB327_1913
; %bb.1906:                             ;   in Loop: Header=BB327_1567 Depth=1
	v_bfrev_b32_e32 v5, 1
	s_mov_b32 s15, exec_lo
	v_cmpx_ne_u16_e32 0x80, v0
	s_cbranch_execz .LBB327_1912
; %bb.1907:                             ;   in Loop: Header=BB327_1567 Depth=1
	v_and_b32_sdwa v12, v0, v38 dst_sel:DWORD dst_unused:UNUSED_PAD src0_sel:WORD_0 src1_sel:DWORD
	v_mov_b32_e32 v5, 0x7c010000
	s_mov_b32 s18, exec_lo
	v_cmpx_ne_u32_e32 0x7f, v12
	s_cbranch_execz .LBB327_1911
; %bb.1908:                             ;   in Loop: Header=BB327_1567 Depth=1
	v_and_b32_sdwa v5, v0, v39 dst_sel:DWORD dst_unused:UNUSED_PAD src0_sel:WORD_0 src1_sel:DWORD
	v_lshrrev_b32_e32 v11, 3, v12
	s_mov_b32 s20, exec_lo
	v_cmpx_gt_u32_e32 8, v12
; %bb.1909:                             ;   in Loop: Header=BB327_1567 Depth=1
	v_ffbh_u32_e32 v5, v5
	v_min_u32_e32 v5, 32, v5
	v_subrev_nc_u32_e32 v11, 28, v5
	v_lshlrev_b64 v[22:23], v11, v[0:1]
	v_sub_nc_u32_e32 v11, 29, v5
	v_and_b32_e32 v5, 7, v22
; %bb.1910:                             ;   in Loop: Header=BB327_1567 Depth=1
	s_or_b32 exec_lo, exec_lo, s20
	v_lshlrev_b32_sdwa v0, v69, v0 dst_sel:DWORD dst_unused:UNUSED_PAD src0_sel:DWORD src1_sel:WORD_0
	v_lshl_add_u32 v11, v11, 10, 0x2000
	v_lshlrev_b32_e32 v5, 23, v5
	v_and_or_b32 v0, 0x8000, v0, v11
	v_lshl_or_b32 v5, v0, 16, v5
.LBB327_1911:                           ;   in Loop: Header=BB327_1567 Depth=1
	s_or_b32 exec_lo, exec_lo, s18
.LBB327_1912:                           ;   in Loop: Header=BB327_1567 Depth=1
	s_or_b32 exec_lo, exec_lo, s15
.LBB327_1913:                           ;   in Loop: Header=BB327_1567 Depth=1
	s_or_b32 exec_lo, exec_lo, s13
	v_lshrrev_b32_e32 v0, 16, v9
	v_mov_b32_e32 v11, 0
	v_mov_b32_e32 v12, 0
	v_cmp_ne_u16_sdwa s4, v0, v1 src0_sel:BYTE_0 src1_sel:DWORD
	s_and_saveexec_b32 s13, s4
	s_cbranch_execz .LBB327_1921
; %bb.1914:                             ;   in Loop: Header=BB327_1567 Depth=1
	v_cmp_ne_u16_sdwa s4, v0, v17 src0_sel:BYTE_0 src1_sel:DWORD
	v_mov_b32_e32 v12, 0x8000
	s_and_saveexec_b32 s15, s4
	s_cbranch_execz .LBB327_1920
; %bb.1915:                             ;   in Loop: Header=BB327_1567 Depth=1
	v_bfe_u32 v23, v9, 16, 7
	v_mov_b32_e32 v12, 0x7c01
	s_mov_b32 s18, exec_lo
	v_cmpx_ne_u32_e32 0x7f, v23
	s_cbranch_execz .LBB327_1919
; %bb.1916:                             ;   in Loop: Header=BB327_1567 Depth=1
	v_and_b32_e32 v12, 7, v0
	v_lshrrev_b32_e32 v22, 3, v23
	s_mov_b32 s20, exec_lo
	v_cmpx_gt_u32_e32 8, v23
; %bb.1917:                             ;   in Loop: Header=BB327_1567 Depth=1
	v_ffbh_u32_e32 v12, v12
	v_min_u32_e32 v12, 32, v12
	v_subrev_nc_u32_e32 v22, 28, v12
	v_lshlrev_b64 v[26:27], v22, v[0:1]
	v_sub_nc_u32_e32 v22, 29, v12
	v_and_b32_e32 v12, 7, v26
; %bb.1918:                             ;   in Loop: Header=BB327_1567 Depth=1
	s_or_b32 exec_lo, exec_lo, s20
	v_lshlrev_b32_e32 v0, 8, v0
	v_lshl_add_u32 v22, v22, 10, 0x2000
	v_lshlrev_b32_e32 v12, 7, v12
	v_and_b32_e32 v0, 0x8000, v0
	v_and_b32_e32 v22, 0xfc00, v22
	v_or3_b32 v12, v0, v22, v12
.LBB327_1919:                           ;   in Loop: Header=BB327_1567 Depth=1
	s_or_b32 exec_lo, exec_lo, s18
.LBB327_1920:                           ;   in Loop: Header=BB327_1567 Depth=1
	s_or_b32 exec_lo, exec_lo, s15
.LBB327_1921:                           ;   in Loop: Header=BB327_1567 Depth=1
	s_or_b32 exec_lo, exec_lo, s13
	s_mov_b32 s13, exec_lo
	v_cmpx_lt_u32_e32 0xffffff, v9
	s_cbranch_execz .LBB327_1929
; %bb.1922:                             ;   in Loop: Header=BB327_1567 Depth=1
	v_lshrrev_b32_e32 v0, 24, v9
	v_bfrev_b32_e32 v11, 1
	s_mov_b32 s15, exec_lo
	v_cmpx_ne_u32_e32 0x80, v0
	s_cbranch_execz .LBB327_1928
; %bb.1923:                             ;   in Loop: Header=BB327_1567 Depth=1
	v_and_b32_e32 v23, 0x7f, v0
	v_mov_b32_e32 v11, 0x7c010000
	s_mov_b32 s18, exec_lo
	v_cmpx_ne_u32_e32 0x7f, v23
	s_cbranch_execz .LBB327_1927
; %bb.1924:                             ;   in Loop: Header=BB327_1567 Depth=1
	v_and_b32_e32 v11, 7, v0
	v_lshrrev_b32_e32 v22, 3, v23
	s_mov_b32 s20, exec_lo
	v_cmpx_gt_u32_e32 8, v23
; %bb.1925:                             ;   in Loop: Header=BB327_1567 Depth=1
	v_ffbh_u32_e32 v11, v11
	v_min_u32_e32 v11, 32, v11
	v_subrev_nc_u32_e32 v22, 28, v11
	v_lshlrev_b64 v[26:27], v22, v[0:1]
	v_sub_nc_u32_e32 v22, 29, v11
	v_and_b32_e32 v11, 7, v26
; %bb.1926:                             ;   in Loop: Header=BB327_1567 Depth=1
	s_or_b32 exec_lo, exec_lo, s20
	v_lshlrev_b32_e32 v0, 8, v0
	v_lshl_add_u32 v22, v22, 10, 0x2000
	v_lshlrev_b32_e32 v11, 23, v11
	v_and_or_b32 v0, 0x8000, v0, v22
	v_lshl_or_b32 v11, v0, 16, v11
.LBB327_1927:                           ;   in Loop: Header=BB327_1567 Depth=1
	s_or_b32 exec_lo, exec_lo, s18
.LBB327_1928:                           ;   in Loop: Header=BB327_1567 Depth=1
	s_or_b32 exec_lo, exec_lo, s15
.LBB327_1929:                           ;   in Loop: Header=BB327_1567 Depth=1
	s_or_b32 exec_lo, exec_lo, s13
	v_mov_b32_e32 v0, v10
	v_cmp_ne_u16_sdwa s4, v10, v1 src0_sel:BYTE_0 src1_sel:DWORD
	v_mov_b32_e32 v22, 0
	v_mov_b32_e32 v23, 0
	s_and_saveexec_b32 s13, s4
	s_cbranch_execz .LBB327_1937
; %bb.1930:                             ;   in Loop: Header=BB327_1567 Depth=1
	v_cmp_ne_u16_sdwa s4, v10, v17 src0_sel:BYTE_0 src1_sel:DWORD
	v_mov_b32_e32 v23, 0x8000
	s_and_saveexec_b32 s15, s4
	s_cbranch_execz .LBB327_1936
; %bb.1931:                             ;   in Loop: Header=BB327_1567 Depth=1
	v_and_b32_e32 v35, 0x7f, v10
	v_mov_b32_e32 v23, 0x7c01
	s_mov_b32 s18, exec_lo
	v_cmpx_ne_u32_e32 0x7f, v35
	s_cbranch_execz .LBB327_1935
; %bb.1932:                             ;   in Loop: Header=BB327_1567 Depth=1
	v_and_b32_e32 v23, 7, v10
	v_lshrrev_b32_e32 v34, 3, v35
	s_mov_b32 s20, exec_lo
	v_cmpx_gt_u32_e32 8, v35
; %bb.1933:                             ;   in Loop: Header=BB327_1567 Depth=1
	v_ffbh_u32_e32 v23, v23
	v_min_u32_e32 v23, 32, v23
	v_subrev_nc_u32_e32 v26, 28, v23
	v_sub_nc_u32_e32 v34, 29, v23
	v_lshlrev_b64 v[26:27], v26, v[0:1]
	v_and_b32_e32 v23, 7, v26
; %bb.1934:                             ;   in Loop: Header=BB327_1567 Depth=1
	s_or_b32 exec_lo, exec_lo, s20
	v_lshlrev_b32_e32 v26, 8, v10
	v_lshl_add_u32 v27, v34, 10, 0x2000
	v_lshlrev_b32_e32 v23, 7, v23
	v_and_b32_e32 v26, 0x8000, v26
	v_and_b32_e32 v27, 0xfc00, v27
	v_or3_b32 v23, v26, v27, v23
.LBB327_1935:                           ;   in Loop: Header=BB327_1567 Depth=1
	s_or_b32 exec_lo, exec_lo, s18
.LBB327_1936:                           ;   in Loop: Header=BB327_1567 Depth=1
	s_or_b32 exec_lo, exec_lo, s15
.LBB327_1937:                           ;   in Loop: Header=BB327_1567 Depth=1
	s_or_b32 exec_lo, exec_lo, s13
	v_lshrrev_b16 v0, 8, v0
	v_mov_b32_e32 v34, 0
	s_mov_b32 s13, exec_lo
	v_cmpx_ne_u16_e32 0, v0
	s_cbranch_execz .LBB327_1945
; %bb.1938:                             ;   in Loop: Header=BB327_1567 Depth=1
	v_bfrev_b32_e32 v34, 1
	s_mov_b32 s15, exec_lo
	v_cmpx_ne_u16_e32 0x80, v0
	s_cbranch_execz .LBB327_1944
; %bb.1939:                             ;   in Loop: Header=BB327_1567 Depth=1
	v_and_b32_sdwa v37, v0, v38 dst_sel:DWORD dst_unused:UNUSED_PAD src0_sel:WORD_0 src1_sel:DWORD
	v_mov_b32_e32 v34, 0x7c010000
	s_mov_b32 s18, exec_lo
	v_cmpx_ne_u32_e32 0x7f, v37
	s_cbranch_execz .LBB327_1943
; %bb.1940:                             ;   in Loop: Header=BB327_1567 Depth=1
	v_and_b32_sdwa v34, v0, v39 dst_sel:DWORD dst_unused:UNUSED_PAD src0_sel:WORD_0 src1_sel:DWORD
	v_lshrrev_b32_e32 v35, 3, v37
	s_mov_b32 s20, exec_lo
	v_cmpx_gt_u32_e32 8, v37
; %bb.1941:                             ;   in Loop: Header=BB327_1567 Depth=1
	v_ffbh_u32_e32 v26, v34
	v_min_u32_e32 v34, 32, v26
	v_subrev_nc_u32_e32 v26, 28, v34
	v_sub_nc_u32_e32 v35, 29, v34
	v_lshlrev_b64 v[26:27], v26, v[0:1]
	v_and_b32_e32 v34, 7, v26
; %bb.1942:                             ;   in Loop: Header=BB327_1567 Depth=1
	s_or_b32 exec_lo, exec_lo, s20
	v_lshlrev_b32_sdwa v0, v69, v0 dst_sel:DWORD dst_unused:UNUSED_PAD src0_sel:DWORD src1_sel:WORD_0
	v_lshl_add_u32 v26, v35, 10, 0x2000
	v_and_or_b32 v0, 0x8000, v0, v26
	v_lshlrev_b32_e32 v26, 23, v34
	v_lshl_or_b32 v34, v0, 16, v26
.LBB327_1943:                           ;   in Loop: Header=BB327_1567 Depth=1
	s_or_b32 exec_lo, exec_lo, s18
.LBB327_1944:                           ;   in Loop: Header=BB327_1567 Depth=1
	s_or_b32 exec_lo, exec_lo, s15
.LBB327_1945:                           ;   in Loop: Header=BB327_1567 Depth=1
	s_or_b32 exec_lo, exec_lo, s13
	v_lshrrev_b32_e32 v0, 16, v10
	v_cmp_ne_u16_sdwa s4, v0, v1 src0_sel:BYTE_0 src1_sel:DWORD
	s_and_saveexec_b32 s13, s4
	s_cbranch_execz .LBB327_1953
; %bb.1946:                             ;   in Loop: Header=BB327_1567 Depth=1
	v_cmp_ne_u16_sdwa s4, v0, v17 src0_sel:BYTE_0 src1_sel:DWORD
	v_mov_b32_e32 v22, 0x8000
	s_and_saveexec_b32 s15, s4
	s_cbranch_execz .LBB327_1952
; %bb.1947:                             ;   in Loop: Header=BB327_1567 Depth=1
	v_bfe_u32 v37, v10, 16, 7
	v_mov_b32_e32 v22, 0x7c01
	s_mov_b32 s18, exec_lo
	v_cmpx_ne_u32_e32 0x7f, v37
	s_cbranch_execz .LBB327_1951
; %bb.1948:                             ;   in Loop: Header=BB327_1567 Depth=1
	v_and_b32_e32 v22, 7, v0
	v_lshrrev_b32_e32 v35, 3, v37
	s_mov_b32 s20, exec_lo
	v_cmpx_gt_u32_e32 8, v37
; %bb.1949:                             ;   in Loop: Header=BB327_1567 Depth=1
	v_ffbh_u32_e32 v22, v22
	v_min_u32_e32 v22, 32, v22
	v_subrev_nc_u32_e32 v26, 28, v22
	v_sub_nc_u32_e32 v35, 29, v22
	v_lshlrev_b64 v[26:27], v26, v[0:1]
	v_and_b32_e32 v22, 7, v26
; %bb.1950:                             ;   in Loop: Header=BB327_1567 Depth=1
	s_or_b32 exec_lo, exec_lo, s20
	v_lshlrev_b32_e32 v0, 8, v0
	v_lshl_add_u32 v26, v35, 10, 0x2000
	v_lshlrev_b32_e32 v22, 7, v22
	v_and_b32_e32 v0, 0x8000, v0
	v_and_b32_e32 v26, 0xfc00, v26
	v_or3_b32 v22, v0, v26, v22
.LBB327_1951:                           ;   in Loop: Header=BB327_1567 Depth=1
	s_or_b32 exec_lo, exec_lo, s18
.LBB327_1952:                           ;   in Loop: Header=BB327_1567 Depth=1
	s_or_b32 exec_lo, exec_lo, s15
.LBB327_1953:                           ;   in Loop: Header=BB327_1567 Depth=1
	s_or_b32 exec_lo, exec_lo, s13
	v_cmp_lt_u64_e64 s4, s[8:9], v[9:10]
	v_mov_b32_e32 v9, 0
	s_and_saveexec_b32 s13, s4
	s_cbranch_execz .LBB327_1961
; %bb.1954:                             ;   in Loop: Header=BB327_1567 Depth=1
	v_lshrrev_b32_e32 v0, 24, v10
	v_bfrev_b32_e32 v9, 1
	s_mov_b32 s15, exec_lo
	v_cmpx_ne_u32_e32 0x80, v0
	s_cbranch_execz .LBB327_1960
; %bb.1955:                             ;   in Loop: Header=BB327_1567 Depth=1
	v_and_b32_e32 v35, 0x7f, v0
	v_mov_b32_e32 v9, 0x7c010000
	s_mov_b32 s18, exec_lo
	v_cmpx_ne_u32_e32 0x7f, v35
	s_cbranch_execz .LBB327_1959
; %bb.1956:                             ;   in Loop: Header=BB327_1567 Depth=1
	v_and_b32_e32 v9, 7, v0
	v_lshrrev_b32_e32 v10, 3, v35
	s_mov_b32 s20, exec_lo
	v_cmpx_gt_u32_e32 8, v35
; %bb.1957:                             ;   in Loop: Header=BB327_1567 Depth=1
	v_ffbh_u32_e32 v9, v9
	v_min_u32_e32 v26, 32, v9
	v_subrev_nc_u32_e32 v9, 28, v26
	v_lshlrev_b64 v[9:10], v9, v[0:1]
	v_sub_nc_u32_e32 v10, 29, v26
	v_and_b32_e32 v9, 7, v9
; %bb.1958:                             ;   in Loop: Header=BB327_1567 Depth=1
	s_or_b32 exec_lo, exec_lo, s20
	v_lshlrev_b32_e32 v0, 8, v0
	v_lshl_add_u32 v10, v10, 10, 0x2000
	v_lshlrev_b32_e32 v9, 23, v9
	v_and_or_b32 v0, 0x8000, v0, v10
	v_lshl_or_b32 v9, v0, 16, v9
.LBB327_1959:                           ;   in Loop: Header=BB327_1567 Depth=1
	s_or_b32 exec_lo, exec_lo, s18
.LBB327_1960:                           ;   in Loop: Header=BB327_1567 Depth=1
	s_or_b32 exec_lo, exec_lo, s15
.LBB327_1961:                           ;   in Loop: Header=BB327_1567 Depth=1
	s_or_b32 exec_lo, exec_lo, s13
	v_or_b32_e32 v0, v11, v12
	s_waitcnt vmcnt(0) lgkmcnt(0)
	v_fma_mixlo_f16 v10, v4, v11, 0 op_sel:[0,1,0] op_sel_hi:[0,1,0]
	v_or_b32_e32 v6, v5, v6
	v_fma_mixlo_f16 v5, v4, v5, 0 op_sel:[0,1,0] op_sel_hi:[0,1,0]
	v_or_b32_e32 v11, v34, v23
	v_fma_mixlo_f16 v12, v4, v0, 0 op_sel_hi:[0,1,0]
	v_or_b32_e32 v22, v9, v22
	v_lshlrev_b32_e32 v0, 16, v10
	v_lshlrev_b32_e32 v10, 16, v5
	v_fma_mixlo_f16 v6, v4, v6, 0 op_sel_hi:[0,1,0]
	v_and_b32_e32 v5, 0xffff, v12
	v_fma_mixlo_f16 v12, v4, v34, 0 op_sel:[0,1,0] op_sel_hi:[0,1,0]
	v_fma_mixlo_f16 v11, v4, v11, 0 op_sel_hi:[0,1,0]
	v_fma_mixlo_f16 v9, v4, v9, 0 op_sel:[0,1,0] op_sel_hi:[0,1,0]
	v_fma_mixlo_f16 v22, v4, v22, 0 op_sel_hi:[0,1,0]
	v_and_b32_e32 v35, 0xffff, v6
	v_lshlrev_b32_e32 v6, 16, v12
	v_and_b32_e32 v12, 0xffff, v11
	v_lshlrev_b32_e32 v4, 16, v9
	v_and_b32_e32 v9, 0xffff, v22
	v_or_b32_e32 v11, v0, v5
	v_or_b32_e32 v34, v10, v35
	;; [unrolled: 1-line block ×4, first 2 shown]
	s_and_saveexec_b32 s13, vcc_lo
	s_cbranch_execz .LBB327_1963
; %bb.1962:                             ;   in Loop: Header=BB327_1567 Depth=1
	v_cmp_lt_i32_e64 s4, v71, v36
	v_cndmask_b32_e64 v11, 0, v35, s4
	v_cmp_lt_i32_e64 s4, v100, v36
	v_cndmask_b32_e64 v10, 0, v10, s4
	v_cmp_lt_i32_e64 s4, v99, v36
	v_or_b32_e32 v34, v11, v10
	v_cndmask_b32_e64 v5, 0, v5, s4
	v_cmp_lt_i32_e64 s4, v98, v36
	v_cndmask_b32_e64 v0, 0, v0, s4
	v_cmp_lt_i32_e64 s4, v97, v36
	v_or_b32_e32 v11, v5, v0
	;; [unrolled: 5-line block ×3, first 2 shown]
	v_cndmask_b32_e64 v9, 0, v9, s4
	v_cmp_lt_i32_e64 s4, v86, v36
	v_cndmask_b32_e64 v4, 0, v4, s4
	v_or_b32_e32 v22, v9, v4
.LBB327_1963:                           ;   in Loop: Header=BB327_1567 Depth=1
	s_or_b32 exec_lo, exec_lo, s13
	;;#ASMSTART
	v_pk_mul_f16 v0, v83, v34;

	;;#ASMEND
	;;#ASMSTART
	v_pk_mul_f16 v4, v82, v11;

	;;#ASMEND
	;; [unrolled: 4-line block ×4, first 2 shown]
	;;#ASMSTART
	v_pk_add_f16 v0, v0, v4;

	;;#ASMEND
	;;#ASMSTART
	v_pk_add_f16 v0, v0, v5;

	;;#ASMEND
	;; [unrolled: 4-line block ×3, first 2 shown]
	v_and_b32_e32 v4, 0xffff, v0
	v_lshrrev_b32_e32 v0, 16, v0
	;;#ASMSTART
	v_cvt_f32_f16 v117, v4;
	;;#ASMEND
	;;#ASMSTART
	v_cvt_f32_f16 v118, v0;
	;;#ASMEND
	flat_load_dwordx2 v[9:10], v[7:8] offset:1536
	flat_load_dword v4, v[120:121]
	v_mov_b32_e32 v5, 0
	v_mov_b32_e32 v6, 0
	s_waitcnt vmcnt(1) lgkmcnt(1)
	v_cmp_ne_u16_sdwa s4, v9, v1 src0_sel:BYTE_0 src1_sel:DWORD
	s_and_saveexec_b32 s13, s4
	s_cbranch_execz .LBB327_1971
; %bb.1964:                             ;   in Loop: Header=BB327_1567 Depth=1
	v_cmp_ne_u16_sdwa s4, v9, v17 src0_sel:BYTE_0 src1_sel:DWORD
	v_mov_b32_e32 v6, 0x8000
	s_and_saveexec_b32 s15, s4
	s_cbranch_execz .LBB327_1970
; %bb.1965:                             ;   in Loop: Header=BB327_1567 Depth=1
	v_and_b32_e32 v11, 0x7f, v9
	v_mov_b32_e32 v6, 0x7c01
	s_mov_b32 s18, exec_lo
	v_cmpx_ne_u32_e32 0x7f, v11
	s_cbranch_execz .LBB327_1969
; %bb.1966:                             ;   in Loop: Header=BB327_1567 Depth=1
	v_and_b32_e32 v0, 7, v9
	v_lshrrev_b32_e32 v6, 3, v11
	s_mov_b32 s20, exec_lo
	v_cmpx_gt_u32_e32 8, v11
; %bb.1967:                             ;   in Loop: Header=BB327_1567 Depth=1
	v_ffbh_u32_e32 v0, v0
	v_min_u32_e32 v0, 32, v0
	v_subrev_nc_u32_e32 v6, 28, v0
	v_lshlrev_b64 v[11:12], v6, v[9:10]
	v_sub_nc_u32_e32 v6, 29, v0
	v_and_b32_e32 v0, 7, v11
; %bb.1968:                             ;   in Loop: Header=BB327_1567 Depth=1
	s_or_b32 exec_lo, exec_lo, s20
	v_lshlrev_b32_e32 v11, 8, v9
	v_lshl_add_u32 v6, v6, 10, 0x2000
	v_lshlrev_b32_e32 v0, 7, v0
	v_and_b32_e32 v11, 0x8000, v11
	v_and_b32_e32 v6, 0xfc00, v6
	v_or3_b32 v6, v11, v6, v0
.LBB327_1969:                           ;   in Loop: Header=BB327_1567 Depth=1
	s_or_b32 exec_lo, exec_lo, s18
.LBB327_1970:                           ;   in Loop: Header=BB327_1567 Depth=1
	s_or_b32 exec_lo, exec_lo, s15
.LBB327_1971:                           ;   in Loop: Header=BB327_1567 Depth=1
	s_or_b32 exec_lo, exec_lo, s13
	v_lshrrev_b16 v0, 8, v9
	s_mov_b32 s13, exec_lo
	v_cmpx_ne_u16_e32 0, v0
	s_cbranch_execz .LBB327_1979
; %bb.1972:                             ;   in Loop: Header=BB327_1567 Depth=1
	v_bfrev_b32_e32 v5, 1
	s_mov_b32 s15, exec_lo
	v_cmpx_ne_u16_e32 0x80, v0
	s_cbranch_execz .LBB327_1978
; %bb.1973:                             ;   in Loop: Header=BB327_1567 Depth=1
	v_and_b32_sdwa v12, v0, v38 dst_sel:DWORD dst_unused:UNUSED_PAD src0_sel:WORD_0 src1_sel:DWORD
	v_mov_b32_e32 v5, 0x7c010000
	s_mov_b32 s18, exec_lo
	v_cmpx_ne_u32_e32 0x7f, v12
	s_cbranch_execz .LBB327_1977
; %bb.1974:                             ;   in Loop: Header=BB327_1567 Depth=1
	v_and_b32_sdwa v5, v0, v39 dst_sel:DWORD dst_unused:UNUSED_PAD src0_sel:WORD_0 src1_sel:DWORD
	v_lshrrev_b32_e32 v11, 3, v12
	s_mov_b32 s20, exec_lo
	v_cmpx_gt_u32_e32 8, v12
; %bb.1975:                             ;   in Loop: Header=BB327_1567 Depth=1
	v_ffbh_u32_e32 v5, v5
	v_min_u32_e32 v5, 32, v5
	v_subrev_nc_u32_e32 v11, 28, v5
	v_lshlrev_b64 v[22:23], v11, v[0:1]
	v_sub_nc_u32_e32 v11, 29, v5
	v_and_b32_e32 v5, 7, v22
; %bb.1976:                             ;   in Loop: Header=BB327_1567 Depth=1
	s_or_b32 exec_lo, exec_lo, s20
	v_lshlrev_b32_sdwa v0, v69, v0 dst_sel:DWORD dst_unused:UNUSED_PAD src0_sel:DWORD src1_sel:WORD_0
	v_lshl_add_u32 v11, v11, 10, 0x2000
	v_lshlrev_b32_e32 v5, 23, v5
	v_and_or_b32 v0, 0x8000, v0, v11
	v_lshl_or_b32 v5, v0, 16, v5
.LBB327_1977:                           ;   in Loop: Header=BB327_1567 Depth=1
	s_or_b32 exec_lo, exec_lo, s18
.LBB327_1978:                           ;   in Loop: Header=BB327_1567 Depth=1
	s_or_b32 exec_lo, exec_lo, s15
.LBB327_1979:                           ;   in Loop: Header=BB327_1567 Depth=1
	s_or_b32 exec_lo, exec_lo, s13
	v_lshrrev_b32_e32 v0, 16, v9
	v_mov_b32_e32 v11, 0
	v_mov_b32_e32 v12, 0
	v_cmp_ne_u16_sdwa s4, v0, v1 src0_sel:BYTE_0 src1_sel:DWORD
	s_and_saveexec_b32 s13, s4
	s_cbranch_execz .LBB327_1987
; %bb.1980:                             ;   in Loop: Header=BB327_1567 Depth=1
	v_cmp_ne_u16_sdwa s4, v0, v17 src0_sel:BYTE_0 src1_sel:DWORD
	v_mov_b32_e32 v12, 0x8000
	s_and_saveexec_b32 s15, s4
	s_cbranch_execz .LBB327_1986
; %bb.1981:                             ;   in Loop: Header=BB327_1567 Depth=1
	v_bfe_u32 v23, v9, 16, 7
	v_mov_b32_e32 v12, 0x7c01
	s_mov_b32 s18, exec_lo
	v_cmpx_ne_u32_e32 0x7f, v23
	s_cbranch_execz .LBB327_1985
; %bb.1982:                             ;   in Loop: Header=BB327_1567 Depth=1
	v_and_b32_e32 v12, 7, v0
	v_lshrrev_b32_e32 v22, 3, v23
	s_mov_b32 s20, exec_lo
	v_cmpx_gt_u32_e32 8, v23
; %bb.1983:                             ;   in Loop: Header=BB327_1567 Depth=1
	v_ffbh_u32_e32 v12, v12
	v_min_u32_e32 v12, 32, v12
	v_subrev_nc_u32_e32 v22, 28, v12
	v_lshlrev_b64 v[26:27], v22, v[0:1]
	v_sub_nc_u32_e32 v22, 29, v12
	v_and_b32_e32 v12, 7, v26
; %bb.1984:                             ;   in Loop: Header=BB327_1567 Depth=1
	s_or_b32 exec_lo, exec_lo, s20
	v_lshlrev_b32_e32 v0, 8, v0
	v_lshl_add_u32 v22, v22, 10, 0x2000
	v_lshlrev_b32_e32 v12, 7, v12
	v_and_b32_e32 v0, 0x8000, v0
	v_and_b32_e32 v22, 0xfc00, v22
	v_or3_b32 v12, v0, v22, v12
.LBB327_1985:                           ;   in Loop: Header=BB327_1567 Depth=1
	s_or_b32 exec_lo, exec_lo, s18
.LBB327_1986:                           ;   in Loop: Header=BB327_1567 Depth=1
	s_or_b32 exec_lo, exec_lo, s15
.LBB327_1987:                           ;   in Loop: Header=BB327_1567 Depth=1
	s_or_b32 exec_lo, exec_lo, s13
	s_mov_b32 s13, exec_lo
	v_cmpx_lt_u32_e32 0xffffff, v9
	s_cbranch_execz .LBB327_1995
; %bb.1988:                             ;   in Loop: Header=BB327_1567 Depth=1
	v_lshrrev_b32_e32 v0, 24, v9
	v_bfrev_b32_e32 v11, 1
	s_mov_b32 s15, exec_lo
	v_cmpx_ne_u32_e32 0x80, v0
	s_cbranch_execz .LBB327_1994
; %bb.1989:                             ;   in Loop: Header=BB327_1567 Depth=1
	v_and_b32_e32 v23, 0x7f, v0
	v_mov_b32_e32 v11, 0x7c010000
	s_mov_b32 s18, exec_lo
	v_cmpx_ne_u32_e32 0x7f, v23
	s_cbranch_execz .LBB327_1993
; %bb.1990:                             ;   in Loop: Header=BB327_1567 Depth=1
	v_and_b32_e32 v11, 7, v0
	v_lshrrev_b32_e32 v22, 3, v23
	s_mov_b32 s20, exec_lo
	v_cmpx_gt_u32_e32 8, v23
; %bb.1991:                             ;   in Loop: Header=BB327_1567 Depth=1
	v_ffbh_u32_e32 v11, v11
	v_min_u32_e32 v11, 32, v11
	v_subrev_nc_u32_e32 v22, 28, v11
	v_lshlrev_b64 v[26:27], v22, v[0:1]
	v_sub_nc_u32_e32 v22, 29, v11
	v_and_b32_e32 v11, 7, v26
; %bb.1992:                             ;   in Loop: Header=BB327_1567 Depth=1
	s_or_b32 exec_lo, exec_lo, s20
	v_lshlrev_b32_e32 v0, 8, v0
	v_lshl_add_u32 v22, v22, 10, 0x2000
	v_lshlrev_b32_e32 v11, 23, v11
	v_and_or_b32 v0, 0x8000, v0, v22
	v_lshl_or_b32 v11, v0, 16, v11
.LBB327_1993:                           ;   in Loop: Header=BB327_1567 Depth=1
	s_or_b32 exec_lo, exec_lo, s18
.LBB327_1994:                           ;   in Loop: Header=BB327_1567 Depth=1
	s_or_b32 exec_lo, exec_lo, s15
.LBB327_1995:                           ;   in Loop: Header=BB327_1567 Depth=1
	s_or_b32 exec_lo, exec_lo, s13
	v_mov_b32_e32 v0, v10
	v_cmp_ne_u16_sdwa s4, v10, v1 src0_sel:BYTE_0 src1_sel:DWORD
	v_mov_b32_e32 v22, 0
	v_mov_b32_e32 v23, 0
	s_and_saveexec_b32 s13, s4
	s_cbranch_execz .LBB327_2003
; %bb.1996:                             ;   in Loop: Header=BB327_1567 Depth=1
	v_cmp_ne_u16_sdwa s4, v10, v17 src0_sel:BYTE_0 src1_sel:DWORD
	v_mov_b32_e32 v23, 0x8000
	s_and_saveexec_b32 s15, s4
	s_cbranch_execz .LBB327_2002
; %bb.1997:                             ;   in Loop: Header=BB327_1567 Depth=1
	v_and_b32_e32 v35, 0x7f, v10
	v_mov_b32_e32 v23, 0x7c01
	s_mov_b32 s18, exec_lo
	v_cmpx_ne_u32_e32 0x7f, v35
	s_cbranch_execz .LBB327_2001
; %bb.1998:                             ;   in Loop: Header=BB327_1567 Depth=1
	v_and_b32_e32 v23, 7, v10
	v_lshrrev_b32_e32 v34, 3, v35
	s_mov_b32 s20, exec_lo
	v_cmpx_gt_u32_e32 8, v35
; %bb.1999:                             ;   in Loop: Header=BB327_1567 Depth=1
	v_ffbh_u32_e32 v23, v23
	v_min_u32_e32 v23, 32, v23
	v_subrev_nc_u32_e32 v26, 28, v23
	v_sub_nc_u32_e32 v34, 29, v23
	v_lshlrev_b64 v[26:27], v26, v[0:1]
	v_and_b32_e32 v23, 7, v26
; %bb.2000:                             ;   in Loop: Header=BB327_1567 Depth=1
	s_or_b32 exec_lo, exec_lo, s20
	v_lshlrev_b32_e32 v26, 8, v10
	v_lshl_add_u32 v27, v34, 10, 0x2000
	v_lshlrev_b32_e32 v23, 7, v23
	v_and_b32_e32 v26, 0x8000, v26
	v_and_b32_e32 v27, 0xfc00, v27
	v_or3_b32 v23, v26, v27, v23
.LBB327_2001:                           ;   in Loop: Header=BB327_1567 Depth=1
	s_or_b32 exec_lo, exec_lo, s18
.LBB327_2002:                           ;   in Loop: Header=BB327_1567 Depth=1
	s_or_b32 exec_lo, exec_lo, s15
.LBB327_2003:                           ;   in Loop: Header=BB327_1567 Depth=1
	s_or_b32 exec_lo, exec_lo, s13
	v_lshrrev_b16 v0, 8, v0
	v_mov_b32_e32 v34, 0
	s_mov_b32 s13, exec_lo
	v_cmpx_ne_u16_e32 0, v0
	s_cbranch_execz .LBB327_2011
; %bb.2004:                             ;   in Loop: Header=BB327_1567 Depth=1
	v_bfrev_b32_e32 v34, 1
	s_mov_b32 s15, exec_lo
	v_cmpx_ne_u16_e32 0x80, v0
	s_cbranch_execz .LBB327_2010
; %bb.2005:                             ;   in Loop: Header=BB327_1567 Depth=1
	v_and_b32_sdwa v37, v0, v38 dst_sel:DWORD dst_unused:UNUSED_PAD src0_sel:WORD_0 src1_sel:DWORD
	v_mov_b32_e32 v34, 0x7c010000
	s_mov_b32 s18, exec_lo
	v_cmpx_ne_u32_e32 0x7f, v37
	s_cbranch_execz .LBB327_2009
; %bb.2006:                             ;   in Loop: Header=BB327_1567 Depth=1
	v_and_b32_sdwa v34, v0, v39 dst_sel:DWORD dst_unused:UNUSED_PAD src0_sel:WORD_0 src1_sel:DWORD
	v_lshrrev_b32_e32 v35, 3, v37
	s_mov_b32 s20, exec_lo
	v_cmpx_gt_u32_e32 8, v37
; %bb.2007:                             ;   in Loop: Header=BB327_1567 Depth=1
	v_ffbh_u32_e32 v26, v34
	v_min_u32_e32 v34, 32, v26
	v_subrev_nc_u32_e32 v26, 28, v34
	v_sub_nc_u32_e32 v35, 29, v34
	v_lshlrev_b64 v[26:27], v26, v[0:1]
	v_and_b32_e32 v34, 7, v26
; %bb.2008:                             ;   in Loop: Header=BB327_1567 Depth=1
	s_or_b32 exec_lo, exec_lo, s20
	v_lshlrev_b32_sdwa v0, v69, v0 dst_sel:DWORD dst_unused:UNUSED_PAD src0_sel:DWORD src1_sel:WORD_0
	v_lshl_add_u32 v26, v35, 10, 0x2000
	v_and_or_b32 v0, 0x8000, v0, v26
	v_lshlrev_b32_e32 v26, 23, v34
	v_lshl_or_b32 v34, v0, 16, v26
.LBB327_2009:                           ;   in Loop: Header=BB327_1567 Depth=1
	s_or_b32 exec_lo, exec_lo, s18
.LBB327_2010:                           ;   in Loop: Header=BB327_1567 Depth=1
	s_or_b32 exec_lo, exec_lo, s15
.LBB327_2011:                           ;   in Loop: Header=BB327_1567 Depth=1
	s_or_b32 exec_lo, exec_lo, s13
	v_lshrrev_b32_e32 v0, 16, v10
	v_cmp_ne_u16_sdwa s4, v0, v1 src0_sel:BYTE_0 src1_sel:DWORD
	s_and_saveexec_b32 s13, s4
	s_cbranch_execz .LBB327_2019
; %bb.2012:                             ;   in Loop: Header=BB327_1567 Depth=1
	v_cmp_ne_u16_sdwa s4, v0, v17 src0_sel:BYTE_0 src1_sel:DWORD
	v_mov_b32_e32 v22, 0x8000
	s_and_saveexec_b32 s15, s4
	s_cbranch_execz .LBB327_2018
; %bb.2013:                             ;   in Loop: Header=BB327_1567 Depth=1
	v_bfe_u32 v37, v10, 16, 7
	v_mov_b32_e32 v22, 0x7c01
	s_mov_b32 s18, exec_lo
	v_cmpx_ne_u32_e32 0x7f, v37
	s_cbranch_execz .LBB327_2017
; %bb.2014:                             ;   in Loop: Header=BB327_1567 Depth=1
	v_and_b32_e32 v22, 7, v0
	v_lshrrev_b32_e32 v35, 3, v37
	s_mov_b32 s20, exec_lo
	v_cmpx_gt_u32_e32 8, v37
; %bb.2015:                             ;   in Loop: Header=BB327_1567 Depth=1
	v_ffbh_u32_e32 v22, v22
	v_min_u32_e32 v22, 32, v22
	v_subrev_nc_u32_e32 v26, 28, v22
	v_sub_nc_u32_e32 v35, 29, v22
	v_lshlrev_b64 v[26:27], v26, v[0:1]
	v_and_b32_e32 v22, 7, v26
; %bb.2016:                             ;   in Loop: Header=BB327_1567 Depth=1
	s_or_b32 exec_lo, exec_lo, s20
	v_lshlrev_b32_e32 v0, 8, v0
	v_lshl_add_u32 v26, v35, 10, 0x2000
	v_lshlrev_b32_e32 v22, 7, v22
	v_and_b32_e32 v0, 0x8000, v0
	v_and_b32_e32 v26, 0xfc00, v26
	v_or3_b32 v22, v0, v26, v22
.LBB327_2017:                           ;   in Loop: Header=BB327_1567 Depth=1
	s_or_b32 exec_lo, exec_lo, s18
.LBB327_2018:                           ;   in Loop: Header=BB327_1567 Depth=1
	s_or_b32 exec_lo, exec_lo, s15
.LBB327_2019:                           ;   in Loop: Header=BB327_1567 Depth=1
	s_or_b32 exec_lo, exec_lo, s13
	v_cmp_lt_u64_e64 s4, s[8:9], v[9:10]
	v_mov_b32_e32 v9, 0
	s_and_saveexec_b32 s13, s4
	s_cbranch_execz .LBB327_2027
; %bb.2020:                             ;   in Loop: Header=BB327_1567 Depth=1
	v_lshrrev_b32_e32 v0, 24, v10
	v_bfrev_b32_e32 v9, 1
	s_mov_b32 s15, exec_lo
	v_cmpx_ne_u32_e32 0x80, v0
	s_cbranch_execz .LBB327_2026
; %bb.2021:                             ;   in Loop: Header=BB327_1567 Depth=1
	v_and_b32_e32 v35, 0x7f, v0
	v_mov_b32_e32 v9, 0x7c010000
	s_mov_b32 s18, exec_lo
	v_cmpx_ne_u32_e32 0x7f, v35
	s_cbranch_execz .LBB327_2025
; %bb.2022:                             ;   in Loop: Header=BB327_1567 Depth=1
	v_and_b32_e32 v9, 7, v0
	v_lshrrev_b32_e32 v10, 3, v35
	s_mov_b32 s20, exec_lo
	v_cmpx_gt_u32_e32 8, v35
; %bb.2023:                             ;   in Loop: Header=BB327_1567 Depth=1
	v_ffbh_u32_e32 v9, v9
	v_min_u32_e32 v26, 32, v9
	v_subrev_nc_u32_e32 v9, 28, v26
	v_lshlrev_b64 v[9:10], v9, v[0:1]
	v_sub_nc_u32_e32 v10, 29, v26
	v_and_b32_e32 v9, 7, v9
; %bb.2024:                             ;   in Loop: Header=BB327_1567 Depth=1
	s_or_b32 exec_lo, exec_lo, s20
	v_lshlrev_b32_e32 v0, 8, v0
	v_lshl_add_u32 v10, v10, 10, 0x2000
	v_lshlrev_b32_e32 v9, 23, v9
	v_and_or_b32 v0, 0x8000, v0, v10
	v_lshl_or_b32 v9, v0, 16, v9
.LBB327_2025:                           ;   in Loop: Header=BB327_1567 Depth=1
	s_or_b32 exec_lo, exec_lo, s18
.LBB327_2026:                           ;   in Loop: Header=BB327_1567 Depth=1
	s_or_b32 exec_lo, exec_lo, s15
.LBB327_2027:                           ;   in Loop: Header=BB327_1567 Depth=1
	s_or_b32 exec_lo, exec_lo, s13
	v_or_b32_e32 v0, v11, v12
	s_waitcnt vmcnt(0) lgkmcnt(0)
	v_fma_mixlo_f16 v10, v4, v11, 0 op_sel:[0,1,0] op_sel_hi:[0,1,0]
	v_or_b32_e32 v6, v5, v6
	v_fma_mixlo_f16 v5, v4, v5, 0 op_sel:[0,1,0] op_sel_hi:[0,1,0]
	v_or_b32_e32 v11, v34, v23
	v_fma_mixlo_f16 v12, v4, v0, 0 op_sel_hi:[0,1,0]
	v_or_b32_e32 v22, v9, v22
	v_lshlrev_b32_e32 v0, 16, v10
	v_lshlrev_b32_e32 v10, 16, v5
	v_fma_mixlo_f16 v6, v4, v6, 0 op_sel_hi:[0,1,0]
	v_and_b32_e32 v5, 0xffff, v12
	v_fma_mixlo_f16 v12, v4, v34, 0 op_sel:[0,1,0] op_sel_hi:[0,1,0]
	v_fma_mixlo_f16 v11, v4, v11, 0 op_sel_hi:[0,1,0]
	v_fma_mixlo_f16 v9, v4, v9, 0 op_sel:[0,1,0] op_sel_hi:[0,1,0]
	v_fma_mixlo_f16 v22, v4, v22, 0 op_sel_hi:[0,1,0]
	v_and_b32_e32 v35, 0xffff, v6
	v_lshlrev_b32_e32 v6, 16, v12
	v_and_b32_e32 v12, 0xffff, v11
	v_lshlrev_b32_e32 v4, 16, v9
	v_and_b32_e32 v9, 0xffff, v22
	v_or_b32_e32 v11, v0, v5
	v_or_b32_e32 v34, v10, v35
	;; [unrolled: 1-line block ×4, first 2 shown]
	s_and_saveexec_b32 s13, vcc_lo
	s_cbranch_execz .LBB327_2029
; %bb.2028:                             ;   in Loop: Header=BB327_1567 Depth=1
	v_cmp_lt_i32_e64 s4, v71, v36
	v_cndmask_b32_e64 v11, 0, v35, s4
	v_cmp_lt_i32_e64 s4, v100, v36
	v_cndmask_b32_e64 v10, 0, v10, s4
	v_cmp_lt_i32_e64 s4, v99, v36
	v_or_b32_e32 v34, v11, v10
	v_cndmask_b32_e64 v5, 0, v5, s4
	v_cmp_lt_i32_e64 s4, v98, v36
	v_cndmask_b32_e64 v0, 0, v0, s4
	v_cmp_lt_i32_e64 s4, v97, v36
	v_or_b32_e32 v11, v5, v0
	v_cndmask_b32_e64 v12, 0, v12, s4
	v_cmp_lt_i32_e64 s4, v96, v36
	v_cndmask_b32_e64 v6, 0, v6, s4
	v_cmp_lt_i32_e64 s4, v87, v36
	v_or_b32_e32 v23, v12, v6
	v_cndmask_b32_e64 v9, 0, v9, s4
	v_cmp_lt_i32_e64 s4, v86, v36
	v_cndmask_b32_e64 v4, 0, v4, s4
	v_or_b32_e32 v22, v9, v4
.LBB327_2029:                           ;   in Loop: Header=BB327_1567 Depth=1
	s_or_b32 exec_lo, exec_lo, s13
	;;#ASMSTART
	v_pk_mul_f16 v0, v83, v34;

	;;#ASMEND
	;;#ASMSTART
	v_pk_mul_f16 v4, v82, v11;

	;;#ASMEND
	;; [unrolled: 4-line block ×4, first 2 shown]
	;;#ASMSTART
	v_pk_add_f16 v0, v0, v4;

	;;#ASMEND
	;;#ASMSTART
	v_pk_add_f16 v0, v0, v5;

	;;#ASMEND
	;; [unrolled: 4-line block ×3, first 2 shown]
	v_and_b32_e32 v4, 0xffff, v0
	v_lshrrev_b32_e32 v0, 16, v0
	;;#ASMSTART
	v_cvt_f32_f16 v119, v4;
	;;#ASMEND
	;;#ASMSTART
	v_cvt_f32_f16 v40, v0;
	;;#ASMEND
	flat_load_dwordx2 v[9:10], v[7:8] offset:1792
	flat_load_dword v4, v[120:121]
	v_mov_b32_e32 v5, 0
	v_mov_b32_e32 v6, 0
	s_waitcnt vmcnt(1) lgkmcnt(1)
	v_cmp_ne_u16_sdwa s4, v9, v1 src0_sel:BYTE_0 src1_sel:DWORD
	s_and_saveexec_b32 s13, s4
	s_cbranch_execz .LBB327_2037
; %bb.2030:                             ;   in Loop: Header=BB327_1567 Depth=1
	v_cmp_ne_u16_sdwa s4, v9, v17 src0_sel:BYTE_0 src1_sel:DWORD
	v_mov_b32_e32 v6, 0x8000
	s_and_saveexec_b32 s15, s4
	s_cbranch_execz .LBB327_2036
; %bb.2031:                             ;   in Loop: Header=BB327_1567 Depth=1
	v_and_b32_e32 v11, 0x7f, v9
	v_mov_b32_e32 v6, 0x7c01
	s_mov_b32 s18, exec_lo
	v_cmpx_ne_u32_e32 0x7f, v11
	s_cbranch_execz .LBB327_2035
; %bb.2032:                             ;   in Loop: Header=BB327_1567 Depth=1
	v_and_b32_e32 v0, 7, v9
	v_lshrrev_b32_e32 v6, 3, v11
	s_mov_b32 s20, exec_lo
	v_cmpx_gt_u32_e32 8, v11
; %bb.2033:                             ;   in Loop: Header=BB327_1567 Depth=1
	v_ffbh_u32_e32 v0, v0
	v_min_u32_e32 v0, 32, v0
	v_subrev_nc_u32_e32 v6, 28, v0
	v_lshlrev_b64 v[11:12], v6, v[9:10]
	v_sub_nc_u32_e32 v6, 29, v0
	v_and_b32_e32 v0, 7, v11
; %bb.2034:                             ;   in Loop: Header=BB327_1567 Depth=1
	s_or_b32 exec_lo, exec_lo, s20
	v_lshlrev_b32_e32 v11, 8, v9
	v_lshl_add_u32 v6, v6, 10, 0x2000
	v_lshlrev_b32_e32 v0, 7, v0
	v_and_b32_e32 v11, 0x8000, v11
	v_and_b32_e32 v6, 0xfc00, v6
	v_or3_b32 v6, v11, v6, v0
.LBB327_2035:                           ;   in Loop: Header=BB327_1567 Depth=1
	s_or_b32 exec_lo, exec_lo, s18
.LBB327_2036:                           ;   in Loop: Header=BB327_1567 Depth=1
	s_or_b32 exec_lo, exec_lo, s15
.LBB327_2037:                           ;   in Loop: Header=BB327_1567 Depth=1
	s_or_b32 exec_lo, exec_lo, s13
	v_lshrrev_b16 v0, 8, v9
	s_mov_b32 s13, exec_lo
	v_cmpx_ne_u16_e32 0, v0
	s_cbranch_execz .LBB327_2045
; %bb.2038:                             ;   in Loop: Header=BB327_1567 Depth=1
	v_bfrev_b32_e32 v5, 1
	s_mov_b32 s15, exec_lo
	v_cmpx_ne_u16_e32 0x80, v0
	s_cbranch_execz .LBB327_2044
; %bb.2039:                             ;   in Loop: Header=BB327_1567 Depth=1
	v_and_b32_sdwa v12, v0, v38 dst_sel:DWORD dst_unused:UNUSED_PAD src0_sel:WORD_0 src1_sel:DWORD
	v_mov_b32_e32 v5, 0x7c010000
	s_mov_b32 s18, exec_lo
	v_cmpx_ne_u32_e32 0x7f, v12
	s_cbranch_execz .LBB327_2043
; %bb.2040:                             ;   in Loop: Header=BB327_1567 Depth=1
	v_and_b32_sdwa v5, v0, v39 dst_sel:DWORD dst_unused:UNUSED_PAD src0_sel:WORD_0 src1_sel:DWORD
	v_lshrrev_b32_e32 v11, 3, v12
	s_mov_b32 s20, exec_lo
	v_cmpx_gt_u32_e32 8, v12
; %bb.2041:                             ;   in Loop: Header=BB327_1567 Depth=1
	v_ffbh_u32_e32 v5, v5
	v_min_u32_e32 v5, 32, v5
	v_subrev_nc_u32_e32 v11, 28, v5
	v_lshlrev_b64 v[22:23], v11, v[0:1]
	v_sub_nc_u32_e32 v11, 29, v5
	v_and_b32_e32 v5, 7, v22
; %bb.2042:                             ;   in Loop: Header=BB327_1567 Depth=1
	s_or_b32 exec_lo, exec_lo, s20
	v_lshlrev_b32_sdwa v0, v69, v0 dst_sel:DWORD dst_unused:UNUSED_PAD src0_sel:DWORD src1_sel:WORD_0
	v_lshl_add_u32 v11, v11, 10, 0x2000
	v_lshlrev_b32_e32 v5, 23, v5
	v_and_or_b32 v0, 0x8000, v0, v11
	v_lshl_or_b32 v5, v0, 16, v5
.LBB327_2043:                           ;   in Loop: Header=BB327_1567 Depth=1
	s_or_b32 exec_lo, exec_lo, s18
.LBB327_2044:                           ;   in Loop: Header=BB327_1567 Depth=1
	s_or_b32 exec_lo, exec_lo, s15
.LBB327_2045:                           ;   in Loop: Header=BB327_1567 Depth=1
	s_or_b32 exec_lo, exec_lo, s13
	v_lshrrev_b32_e32 v0, 16, v9
	v_mov_b32_e32 v11, 0
	v_mov_b32_e32 v12, 0
	v_cmp_ne_u16_sdwa s4, v0, v1 src0_sel:BYTE_0 src1_sel:DWORD
	s_and_saveexec_b32 s13, s4
	s_cbranch_execz .LBB327_2053
; %bb.2046:                             ;   in Loop: Header=BB327_1567 Depth=1
	v_cmp_ne_u16_sdwa s4, v0, v17 src0_sel:BYTE_0 src1_sel:DWORD
	v_mov_b32_e32 v12, 0x8000
	s_and_saveexec_b32 s15, s4
	s_cbranch_execz .LBB327_2052
; %bb.2047:                             ;   in Loop: Header=BB327_1567 Depth=1
	v_bfe_u32 v23, v9, 16, 7
	v_mov_b32_e32 v12, 0x7c01
	s_mov_b32 s18, exec_lo
	v_cmpx_ne_u32_e32 0x7f, v23
	s_cbranch_execz .LBB327_2051
; %bb.2048:                             ;   in Loop: Header=BB327_1567 Depth=1
	v_and_b32_e32 v12, 7, v0
	v_lshrrev_b32_e32 v22, 3, v23
	s_mov_b32 s20, exec_lo
	v_cmpx_gt_u32_e32 8, v23
; %bb.2049:                             ;   in Loop: Header=BB327_1567 Depth=1
	v_ffbh_u32_e32 v12, v12
	v_min_u32_e32 v12, 32, v12
	v_subrev_nc_u32_e32 v22, 28, v12
	v_lshlrev_b64 v[26:27], v22, v[0:1]
	v_sub_nc_u32_e32 v22, 29, v12
	v_and_b32_e32 v12, 7, v26
; %bb.2050:                             ;   in Loop: Header=BB327_1567 Depth=1
	s_or_b32 exec_lo, exec_lo, s20
	v_lshlrev_b32_e32 v0, 8, v0
	v_lshl_add_u32 v22, v22, 10, 0x2000
	v_lshlrev_b32_e32 v12, 7, v12
	v_and_b32_e32 v0, 0x8000, v0
	v_and_b32_e32 v22, 0xfc00, v22
	v_or3_b32 v12, v0, v22, v12
.LBB327_2051:                           ;   in Loop: Header=BB327_1567 Depth=1
	s_or_b32 exec_lo, exec_lo, s18
.LBB327_2052:                           ;   in Loop: Header=BB327_1567 Depth=1
	s_or_b32 exec_lo, exec_lo, s15
.LBB327_2053:                           ;   in Loop: Header=BB327_1567 Depth=1
	s_or_b32 exec_lo, exec_lo, s13
	s_mov_b32 s13, exec_lo
	v_cmpx_lt_u32_e32 0xffffff, v9
	s_cbranch_execz .LBB327_2061
; %bb.2054:                             ;   in Loop: Header=BB327_1567 Depth=1
	v_lshrrev_b32_e32 v0, 24, v9
	v_bfrev_b32_e32 v11, 1
	s_mov_b32 s15, exec_lo
	v_cmpx_ne_u32_e32 0x80, v0
	s_cbranch_execz .LBB327_2060
; %bb.2055:                             ;   in Loop: Header=BB327_1567 Depth=1
	v_and_b32_e32 v23, 0x7f, v0
	v_mov_b32_e32 v11, 0x7c010000
	s_mov_b32 s18, exec_lo
	v_cmpx_ne_u32_e32 0x7f, v23
	s_cbranch_execz .LBB327_2059
; %bb.2056:                             ;   in Loop: Header=BB327_1567 Depth=1
	v_and_b32_e32 v11, 7, v0
	v_lshrrev_b32_e32 v22, 3, v23
	s_mov_b32 s20, exec_lo
	v_cmpx_gt_u32_e32 8, v23
; %bb.2057:                             ;   in Loop: Header=BB327_1567 Depth=1
	v_ffbh_u32_e32 v11, v11
	v_min_u32_e32 v11, 32, v11
	v_subrev_nc_u32_e32 v22, 28, v11
	v_lshlrev_b64 v[26:27], v22, v[0:1]
	v_sub_nc_u32_e32 v22, 29, v11
	v_and_b32_e32 v11, 7, v26
; %bb.2058:                             ;   in Loop: Header=BB327_1567 Depth=1
	s_or_b32 exec_lo, exec_lo, s20
	v_lshlrev_b32_e32 v0, 8, v0
	v_lshl_add_u32 v22, v22, 10, 0x2000
	v_lshlrev_b32_e32 v11, 23, v11
	v_and_or_b32 v0, 0x8000, v0, v22
	v_lshl_or_b32 v11, v0, 16, v11
.LBB327_2059:                           ;   in Loop: Header=BB327_1567 Depth=1
	s_or_b32 exec_lo, exec_lo, s18
.LBB327_2060:                           ;   in Loop: Header=BB327_1567 Depth=1
	s_or_b32 exec_lo, exec_lo, s15
.LBB327_2061:                           ;   in Loop: Header=BB327_1567 Depth=1
	s_or_b32 exec_lo, exec_lo, s13
	v_mov_b32_e32 v0, v10
	v_cmp_ne_u16_sdwa s4, v10, v1 src0_sel:BYTE_0 src1_sel:DWORD
	v_mov_b32_e32 v22, 0
	v_mov_b32_e32 v23, 0
	s_and_saveexec_b32 s13, s4
	s_cbranch_execz .LBB327_2069
; %bb.2062:                             ;   in Loop: Header=BB327_1567 Depth=1
	v_cmp_ne_u16_sdwa s4, v10, v17 src0_sel:BYTE_0 src1_sel:DWORD
	v_mov_b32_e32 v23, 0x8000
	s_and_saveexec_b32 s15, s4
	s_cbranch_execz .LBB327_2068
; %bb.2063:                             ;   in Loop: Header=BB327_1567 Depth=1
	v_and_b32_e32 v35, 0x7f, v10
	v_mov_b32_e32 v23, 0x7c01
	s_mov_b32 s18, exec_lo
	v_cmpx_ne_u32_e32 0x7f, v35
	s_cbranch_execz .LBB327_2067
; %bb.2064:                             ;   in Loop: Header=BB327_1567 Depth=1
	v_and_b32_e32 v23, 7, v10
	v_lshrrev_b32_e32 v34, 3, v35
	s_mov_b32 s20, exec_lo
	v_cmpx_gt_u32_e32 8, v35
; %bb.2065:                             ;   in Loop: Header=BB327_1567 Depth=1
	v_ffbh_u32_e32 v23, v23
	v_min_u32_e32 v23, 32, v23
	v_subrev_nc_u32_e32 v26, 28, v23
	v_sub_nc_u32_e32 v34, 29, v23
	v_lshlrev_b64 v[26:27], v26, v[0:1]
	v_and_b32_e32 v23, 7, v26
; %bb.2066:                             ;   in Loop: Header=BB327_1567 Depth=1
	s_or_b32 exec_lo, exec_lo, s20
	v_lshlrev_b32_e32 v26, 8, v10
	v_lshl_add_u32 v27, v34, 10, 0x2000
	v_lshlrev_b32_e32 v23, 7, v23
	v_and_b32_e32 v26, 0x8000, v26
	v_and_b32_e32 v27, 0xfc00, v27
	v_or3_b32 v23, v26, v27, v23
.LBB327_2067:                           ;   in Loop: Header=BB327_1567 Depth=1
	s_or_b32 exec_lo, exec_lo, s18
.LBB327_2068:                           ;   in Loop: Header=BB327_1567 Depth=1
	s_or_b32 exec_lo, exec_lo, s15
.LBB327_2069:                           ;   in Loop: Header=BB327_1567 Depth=1
	s_or_b32 exec_lo, exec_lo, s13
	v_lshrrev_b16 v0, 8, v0
	v_mov_b32_e32 v34, 0
	s_mov_b32 s13, exec_lo
	v_cmpx_ne_u16_e32 0, v0
	s_cbranch_execz .LBB327_2077
; %bb.2070:                             ;   in Loop: Header=BB327_1567 Depth=1
	v_bfrev_b32_e32 v34, 1
	s_mov_b32 s15, exec_lo
	v_cmpx_ne_u16_e32 0x80, v0
	s_cbranch_execz .LBB327_2076
; %bb.2071:                             ;   in Loop: Header=BB327_1567 Depth=1
	v_and_b32_sdwa v37, v0, v38 dst_sel:DWORD dst_unused:UNUSED_PAD src0_sel:WORD_0 src1_sel:DWORD
	v_mov_b32_e32 v34, 0x7c010000
	s_mov_b32 s18, exec_lo
	v_cmpx_ne_u32_e32 0x7f, v37
	s_cbranch_execz .LBB327_2075
; %bb.2072:                             ;   in Loop: Header=BB327_1567 Depth=1
	v_and_b32_sdwa v34, v0, v39 dst_sel:DWORD dst_unused:UNUSED_PAD src0_sel:WORD_0 src1_sel:DWORD
	v_lshrrev_b32_e32 v35, 3, v37
	s_mov_b32 s20, exec_lo
	v_cmpx_gt_u32_e32 8, v37
; %bb.2073:                             ;   in Loop: Header=BB327_1567 Depth=1
	v_ffbh_u32_e32 v26, v34
	v_min_u32_e32 v34, 32, v26
	v_subrev_nc_u32_e32 v26, 28, v34
	v_sub_nc_u32_e32 v35, 29, v34
	v_lshlrev_b64 v[26:27], v26, v[0:1]
	v_and_b32_e32 v34, 7, v26
; %bb.2074:                             ;   in Loop: Header=BB327_1567 Depth=1
	s_or_b32 exec_lo, exec_lo, s20
	v_lshlrev_b32_sdwa v0, v69, v0 dst_sel:DWORD dst_unused:UNUSED_PAD src0_sel:DWORD src1_sel:WORD_0
	v_lshl_add_u32 v26, v35, 10, 0x2000
	v_and_or_b32 v0, 0x8000, v0, v26
	v_lshlrev_b32_e32 v26, 23, v34
	v_lshl_or_b32 v34, v0, 16, v26
.LBB327_2075:                           ;   in Loop: Header=BB327_1567 Depth=1
	s_or_b32 exec_lo, exec_lo, s18
.LBB327_2076:                           ;   in Loop: Header=BB327_1567 Depth=1
	s_or_b32 exec_lo, exec_lo, s15
.LBB327_2077:                           ;   in Loop: Header=BB327_1567 Depth=1
	s_or_b32 exec_lo, exec_lo, s13
	v_lshrrev_b32_e32 v0, 16, v10
	v_cmp_ne_u16_sdwa s4, v0, v1 src0_sel:BYTE_0 src1_sel:DWORD
	s_and_saveexec_b32 s13, s4
	s_cbranch_execz .LBB327_2085
; %bb.2078:                             ;   in Loop: Header=BB327_1567 Depth=1
	v_cmp_ne_u16_sdwa s4, v0, v17 src0_sel:BYTE_0 src1_sel:DWORD
	v_mov_b32_e32 v22, 0x8000
	s_and_saveexec_b32 s15, s4
	s_cbranch_execz .LBB327_2084
; %bb.2079:                             ;   in Loop: Header=BB327_1567 Depth=1
	v_bfe_u32 v37, v10, 16, 7
	v_mov_b32_e32 v22, 0x7c01
	s_mov_b32 s18, exec_lo
	v_cmpx_ne_u32_e32 0x7f, v37
	s_cbranch_execz .LBB327_2083
; %bb.2080:                             ;   in Loop: Header=BB327_1567 Depth=1
	v_and_b32_e32 v22, 7, v0
	v_lshrrev_b32_e32 v35, 3, v37
	s_mov_b32 s20, exec_lo
	v_cmpx_gt_u32_e32 8, v37
; %bb.2081:                             ;   in Loop: Header=BB327_1567 Depth=1
	v_ffbh_u32_e32 v22, v22
	v_min_u32_e32 v22, 32, v22
	v_subrev_nc_u32_e32 v26, 28, v22
	v_sub_nc_u32_e32 v35, 29, v22
	v_lshlrev_b64 v[26:27], v26, v[0:1]
	v_and_b32_e32 v22, 7, v26
; %bb.2082:                             ;   in Loop: Header=BB327_1567 Depth=1
	s_or_b32 exec_lo, exec_lo, s20
	v_lshlrev_b32_e32 v0, 8, v0
	v_lshl_add_u32 v26, v35, 10, 0x2000
	v_lshlrev_b32_e32 v22, 7, v22
	v_and_b32_e32 v0, 0x8000, v0
	v_and_b32_e32 v26, 0xfc00, v26
	v_or3_b32 v22, v0, v26, v22
.LBB327_2083:                           ;   in Loop: Header=BB327_1567 Depth=1
	s_or_b32 exec_lo, exec_lo, s18
.LBB327_2084:                           ;   in Loop: Header=BB327_1567 Depth=1
	s_or_b32 exec_lo, exec_lo, s15
.LBB327_2085:                           ;   in Loop: Header=BB327_1567 Depth=1
	s_or_b32 exec_lo, exec_lo, s13
	v_cmp_lt_u64_e64 s4, s[8:9], v[9:10]
	v_mov_b32_e32 v9, 0
	s_and_saveexec_b32 s13, s4
	s_cbranch_execz .LBB327_2093
; %bb.2086:                             ;   in Loop: Header=BB327_1567 Depth=1
	v_lshrrev_b32_e32 v0, 24, v10
	v_bfrev_b32_e32 v9, 1
	s_mov_b32 s15, exec_lo
	v_cmpx_ne_u32_e32 0x80, v0
	s_cbranch_execz .LBB327_2092
; %bb.2087:                             ;   in Loop: Header=BB327_1567 Depth=1
	v_and_b32_e32 v35, 0x7f, v0
	v_mov_b32_e32 v9, 0x7c010000
	s_mov_b32 s18, exec_lo
	v_cmpx_ne_u32_e32 0x7f, v35
	s_cbranch_execz .LBB327_2091
; %bb.2088:                             ;   in Loop: Header=BB327_1567 Depth=1
	v_and_b32_e32 v9, 7, v0
	v_lshrrev_b32_e32 v10, 3, v35
	s_mov_b32 s20, exec_lo
	v_cmpx_gt_u32_e32 8, v35
; %bb.2089:                             ;   in Loop: Header=BB327_1567 Depth=1
	v_ffbh_u32_e32 v9, v9
	v_min_u32_e32 v26, 32, v9
	v_subrev_nc_u32_e32 v9, 28, v26
	v_lshlrev_b64 v[9:10], v9, v[0:1]
	v_sub_nc_u32_e32 v10, 29, v26
	v_and_b32_e32 v9, 7, v9
; %bb.2090:                             ;   in Loop: Header=BB327_1567 Depth=1
	s_or_b32 exec_lo, exec_lo, s20
	v_lshlrev_b32_e32 v0, 8, v0
	v_lshl_add_u32 v10, v10, 10, 0x2000
	v_lshlrev_b32_e32 v9, 23, v9
	v_and_or_b32 v0, 0x8000, v0, v10
	v_lshl_or_b32 v9, v0, 16, v9
.LBB327_2091:                           ;   in Loop: Header=BB327_1567 Depth=1
	s_or_b32 exec_lo, exec_lo, s18
.LBB327_2092:                           ;   in Loop: Header=BB327_1567 Depth=1
	s_or_b32 exec_lo, exec_lo, s15
.LBB327_2093:                           ;   in Loop: Header=BB327_1567 Depth=1
	s_or_b32 exec_lo, exec_lo, s13
	v_or_b32_e32 v0, v11, v12
	s_waitcnt vmcnt(0) lgkmcnt(0)
	v_fma_mixlo_f16 v10, v4, v11, 0 op_sel:[0,1,0] op_sel_hi:[0,1,0]
	v_or_b32_e32 v6, v5, v6
	v_fma_mixlo_f16 v5, v4, v5, 0 op_sel:[0,1,0] op_sel_hi:[0,1,0]
	v_or_b32_e32 v11, v34, v23
	v_fma_mixlo_f16 v12, v4, v0, 0 op_sel_hi:[0,1,0]
	v_or_b32_e32 v22, v9, v22
	v_lshlrev_b32_e32 v0, 16, v10
	v_lshlrev_b32_e32 v10, 16, v5
	v_fma_mixlo_f16 v6, v4, v6, 0 op_sel_hi:[0,1,0]
	v_and_b32_e32 v5, 0xffff, v12
	v_fma_mixlo_f16 v12, v4, v34, 0 op_sel:[0,1,0] op_sel_hi:[0,1,0]
	v_fma_mixlo_f16 v11, v4, v11, 0 op_sel_hi:[0,1,0]
	v_fma_mixlo_f16 v9, v4, v9, 0 op_sel:[0,1,0] op_sel_hi:[0,1,0]
	v_fma_mixlo_f16 v22, v4, v22, 0 op_sel_hi:[0,1,0]
	v_and_b32_e32 v35, 0xffff, v6
	v_lshlrev_b32_e32 v6, 16, v12
	v_and_b32_e32 v12, 0xffff, v11
	v_lshlrev_b32_e32 v4, 16, v9
	v_and_b32_e32 v9, 0xffff, v22
	v_or_b32_e32 v11, v0, v5
	v_or_b32_e32 v34, v10, v35
	;; [unrolled: 1-line block ×4, first 2 shown]
	s_and_saveexec_b32 s13, vcc_lo
	s_cbranch_execz .LBB327_2095
; %bb.2094:                             ;   in Loop: Header=BB327_1567 Depth=1
	v_cmp_lt_i32_e64 s4, v71, v36
	v_cndmask_b32_e64 v11, 0, v35, s4
	v_cmp_lt_i32_e64 s4, v100, v36
	v_cndmask_b32_e64 v10, 0, v10, s4
	v_cmp_lt_i32_e64 s4, v99, v36
	v_or_b32_e32 v34, v11, v10
	v_cndmask_b32_e64 v5, 0, v5, s4
	v_cmp_lt_i32_e64 s4, v98, v36
	v_cndmask_b32_e64 v0, 0, v0, s4
	v_cmp_lt_i32_e64 s4, v97, v36
	v_or_b32_e32 v11, v5, v0
	;; [unrolled: 5-line block ×3, first 2 shown]
	v_cndmask_b32_e64 v9, 0, v9, s4
	v_cmp_lt_i32_e64 s4, v86, v36
	v_cndmask_b32_e64 v4, 0, v4, s4
	v_or_b32_e32 v22, v9, v4
.LBB327_2095:                           ;   in Loop: Header=BB327_1567 Depth=1
	s_or_b32 exec_lo, exec_lo, s13
	v_add_co_u32 v9, s4, 0x800, v7
	v_add_co_ci_u32_e64 v10, null, 0, v8, s4
	;;#ASMSTART
	v_pk_mul_f16 v0, v83, v34;

	;;#ASMEND
	;;#ASMSTART
	v_pk_mul_f16 v4, v82, v11;

	;;#ASMEND
	;; [unrolled: 4-line block ×4, first 2 shown]
	;;#ASMSTART
	v_pk_add_f16 v0, v0, v4;

	;;#ASMEND
	;;#ASMSTART
	v_pk_add_f16 v0, v0, v5;

	;;#ASMEND
	;; [unrolled: 4-line block ×3, first 2 shown]
	v_lshrrev_b32_e32 v4, 16, v0
	v_and_b32_e32 v0, 0xffff, v0
	;;#ASMSTART
	v_cvt_f32_f16 v41, v0;
	;;#ASMEND
	;;#ASMSTART
	v_cvt_f32_f16 v42, v4;
	;;#ASMEND
	flat_load_dwordx2 v[11:12], v[9:10]
	flat_load_dword v4, v[120:121]
	v_mov_b32_e32 v5, 0
	v_mov_b32_e32 v6, 0
	s_waitcnt vmcnt(1) lgkmcnt(1)
	v_cmp_ne_u16_sdwa s4, v11, v1 src0_sel:BYTE_0 src1_sel:DWORD
	s_and_saveexec_b32 s13, s4
	s_cbranch_execz .LBB327_2103
; %bb.2096:                             ;   in Loop: Header=BB327_1567 Depth=1
	v_cmp_ne_u16_sdwa s4, v11, v17 src0_sel:BYTE_0 src1_sel:DWORD
	v_mov_b32_e32 v6, 0x8000
	s_and_saveexec_b32 s15, s4
	s_cbranch_execz .LBB327_2102
; %bb.2097:                             ;   in Loop: Header=BB327_1567 Depth=1
	v_and_b32_e32 v22, 0x7f, v11
	v_mov_b32_e32 v6, 0x7c01
	s_mov_b32 s18, exec_lo
	v_cmpx_ne_u32_e32 0x7f, v22
	s_cbranch_execz .LBB327_2101
; %bb.2098:                             ;   in Loop: Header=BB327_1567 Depth=1
	v_and_b32_e32 v0, 7, v11
	v_lshrrev_b32_e32 v6, 3, v22
	s_mov_b32 s20, exec_lo
	v_cmpx_gt_u32_e32 8, v22
; %bb.2099:                             ;   in Loop: Header=BB327_1567 Depth=1
	v_ffbh_u32_e32 v0, v0
	v_min_u32_e32 v0, 32, v0
	v_subrev_nc_u32_e32 v6, 28, v0
	v_lshlrev_b64 v[22:23], v6, v[11:12]
	v_sub_nc_u32_e32 v6, 29, v0
	v_and_b32_e32 v0, 7, v22
; %bb.2100:                             ;   in Loop: Header=BB327_1567 Depth=1
	s_or_b32 exec_lo, exec_lo, s20
	v_lshlrev_b32_e32 v22, 8, v11
	v_lshl_add_u32 v6, v6, 10, 0x2000
	v_lshlrev_b32_e32 v0, 7, v0
	v_and_b32_e32 v22, 0x8000, v22
	v_and_b32_e32 v6, 0xfc00, v6
	v_or3_b32 v6, v22, v6, v0
.LBB327_2101:                           ;   in Loop: Header=BB327_1567 Depth=1
	s_or_b32 exec_lo, exec_lo, s18
.LBB327_2102:                           ;   in Loop: Header=BB327_1567 Depth=1
	s_or_b32 exec_lo, exec_lo, s15
.LBB327_2103:                           ;   in Loop: Header=BB327_1567 Depth=1
	s_or_b32 exec_lo, exec_lo, s13
	v_lshrrev_b16 v0, 8, v11
	s_mov_b32 s13, exec_lo
	v_cmpx_ne_u16_e32 0, v0
	s_cbranch_execz .LBB327_2111
; %bb.2104:                             ;   in Loop: Header=BB327_1567 Depth=1
	v_bfrev_b32_e32 v5, 1
	s_mov_b32 s15, exec_lo
	v_cmpx_ne_u16_e32 0x80, v0
	s_cbranch_execz .LBB327_2110
; %bb.2105:                             ;   in Loop: Header=BB327_1567 Depth=1
	v_and_b32_sdwa v23, v0, v38 dst_sel:DWORD dst_unused:UNUSED_PAD src0_sel:WORD_0 src1_sel:DWORD
	v_mov_b32_e32 v5, 0x7c010000
	s_mov_b32 s18, exec_lo
	v_cmpx_ne_u32_e32 0x7f, v23
	s_cbranch_execz .LBB327_2109
; %bb.2106:                             ;   in Loop: Header=BB327_1567 Depth=1
	v_and_b32_sdwa v5, v0, v39 dst_sel:DWORD dst_unused:UNUSED_PAD src0_sel:WORD_0 src1_sel:DWORD
	v_lshrrev_b32_e32 v22, 3, v23
	s_mov_b32 s20, exec_lo
	v_cmpx_gt_u32_e32 8, v23
; %bb.2107:                             ;   in Loop: Header=BB327_1567 Depth=1
	v_ffbh_u32_e32 v5, v5
	v_min_u32_e32 v5, 32, v5
	v_subrev_nc_u32_e32 v22, 28, v5
	v_lshlrev_b64 v[26:27], v22, v[0:1]
	v_sub_nc_u32_e32 v22, 29, v5
	v_and_b32_e32 v5, 7, v26
; %bb.2108:                             ;   in Loop: Header=BB327_1567 Depth=1
	s_or_b32 exec_lo, exec_lo, s20
	v_lshlrev_b32_sdwa v0, v69, v0 dst_sel:DWORD dst_unused:UNUSED_PAD src0_sel:DWORD src1_sel:WORD_0
	v_lshl_add_u32 v22, v22, 10, 0x2000
	v_lshlrev_b32_e32 v5, 23, v5
	v_and_or_b32 v0, 0x8000, v0, v22
	v_lshl_or_b32 v5, v0, 16, v5
.LBB327_2109:                           ;   in Loop: Header=BB327_1567 Depth=1
	s_or_b32 exec_lo, exec_lo, s18
.LBB327_2110:                           ;   in Loop: Header=BB327_1567 Depth=1
	s_or_b32 exec_lo, exec_lo, s15
.LBB327_2111:                           ;   in Loop: Header=BB327_1567 Depth=1
	s_or_b32 exec_lo, exec_lo, s13
	v_lshrrev_b32_e32 v0, 16, v11
	v_mov_b32_e32 v22, 0
	v_mov_b32_e32 v23, 0
	v_cmp_ne_u16_sdwa s4, v0, v1 src0_sel:BYTE_0 src1_sel:DWORD
	s_and_saveexec_b32 s13, s4
	s_cbranch_execz .LBB327_2119
; %bb.2112:                             ;   in Loop: Header=BB327_1567 Depth=1
	v_cmp_ne_u16_sdwa s4, v0, v17 src0_sel:BYTE_0 src1_sel:DWORD
	v_mov_b32_e32 v23, 0x8000
	s_and_saveexec_b32 s15, s4
	s_cbranch_execz .LBB327_2118
; %bb.2113:                             ;   in Loop: Header=BB327_1567 Depth=1
	v_bfe_u32 v35, v11, 16, 7
	v_mov_b32_e32 v23, 0x7c01
	s_mov_b32 s18, exec_lo
	v_cmpx_ne_u32_e32 0x7f, v35
	s_cbranch_execz .LBB327_2117
; %bb.2114:                             ;   in Loop: Header=BB327_1567 Depth=1
	v_and_b32_e32 v23, 7, v0
	v_lshrrev_b32_e32 v34, 3, v35
	s_mov_b32 s20, exec_lo
	v_cmpx_gt_u32_e32 8, v35
; %bb.2115:                             ;   in Loop: Header=BB327_1567 Depth=1
	v_ffbh_u32_e32 v23, v23
	v_min_u32_e32 v23, 32, v23
	v_subrev_nc_u32_e32 v26, 28, v23
	v_sub_nc_u32_e32 v34, 29, v23
	v_lshlrev_b64 v[26:27], v26, v[0:1]
	v_and_b32_e32 v23, 7, v26
; %bb.2116:                             ;   in Loop: Header=BB327_1567 Depth=1
	s_or_b32 exec_lo, exec_lo, s20
	v_lshlrev_b32_e32 v0, 8, v0
	v_lshl_add_u32 v26, v34, 10, 0x2000
	v_lshlrev_b32_e32 v23, 7, v23
	v_and_b32_e32 v0, 0x8000, v0
	v_and_b32_e32 v26, 0xfc00, v26
	v_or3_b32 v23, v0, v26, v23
.LBB327_2117:                           ;   in Loop: Header=BB327_1567 Depth=1
	s_or_b32 exec_lo, exec_lo, s18
.LBB327_2118:                           ;   in Loop: Header=BB327_1567 Depth=1
	s_or_b32 exec_lo, exec_lo, s15
.LBB327_2119:                           ;   in Loop: Header=BB327_1567 Depth=1
	s_or_b32 exec_lo, exec_lo, s13
	s_mov_b32 s13, exec_lo
	v_cmpx_lt_u32_e32 0xffffff, v11
	s_cbranch_execz .LBB327_2127
; %bb.2120:                             ;   in Loop: Header=BB327_1567 Depth=1
	v_lshrrev_b32_e32 v0, 24, v11
	v_bfrev_b32_e32 v22, 1
	s_mov_b32 s15, exec_lo
	v_cmpx_ne_u32_e32 0x80, v0
	s_cbranch_execz .LBB327_2126
; %bb.2121:                             ;   in Loop: Header=BB327_1567 Depth=1
	v_and_b32_e32 v35, 0x7f, v0
	v_mov_b32_e32 v22, 0x7c010000
	s_mov_b32 s18, exec_lo
	v_cmpx_ne_u32_e32 0x7f, v35
	s_cbranch_execz .LBB327_2125
; %bb.2122:                             ;   in Loop: Header=BB327_1567 Depth=1
	v_and_b32_e32 v22, 7, v0
	v_lshrrev_b32_e32 v34, 3, v35
	s_mov_b32 s20, exec_lo
	v_cmpx_gt_u32_e32 8, v35
; %bb.2123:                             ;   in Loop: Header=BB327_1567 Depth=1
	v_ffbh_u32_e32 v22, v22
	v_min_u32_e32 v22, 32, v22
	v_subrev_nc_u32_e32 v26, 28, v22
	v_sub_nc_u32_e32 v34, 29, v22
	v_lshlrev_b64 v[26:27], v26, v[0:1]
	v_and_b32_e32 v22, 7, v26
; %bb.2124:                             ;   in Loop: Header=BB327_1567 Depth=1
	s_or_b32 exec_lo, exec_lo, s20
	v_lshlrev_b32_e32 v0, 8, v0
	v_lshl_add_u32 v26, v34, 10, 0x2000
	v_lshlrev_b32_e32 v22, 23, v22
	v_and_or_b32 v0, 0x8000, v0, v26
	v_lshl_or_b32 v22, v0, 16, v22
.LBB327_2125:                           ;   in Loop: Header=BB327_1567 Depth=1
	s_or_b32 exec_lo, exec_lo, s18
.LBB327_2126:                           ;   in Loop: Header=BB327_1567 Depth=1
	s_or_b32 exec_lo, exec_lo, s15
.LBB327_2127:                           ;   in Loop: Header=BB327_1567 Depth=1
	s_or_b32 exec_lo, exec_lo, s13
	v_mov_b32_e32 v0, v12
	v_cmp_ne_u16_sdwa s4, v12, v1 src0_sel:BYTE_0 src1_sel:DWORD
	v_mov_b32_e32 v34, 0
	v_mov_b32_e32 v35, 0
	s_and_saveexec_b32 s13, s4
	s_cbranch_execz .LBB327_2135
; %bb.2128:                             ;   in Loop: Header=BB327_1567 Depth=1
	v_cmp_ne_u16_sdwa s4, v12, v17 src0_sel:BYTE_0 src1_sel:DWORD
	v_mov_b32_e32 v35, 0x8000
	s_and_saveexec_b32 s15, s4
	s_cbranch_execz .LBB327_2134
; %bb.2129:                             ;   in Loop: Header=BB327_1567 Depth=1
	v_and_b32_e32 v43, 0x7f, v12
	v_mov_b32_e32 v35, 0x7c01
	s_mov_b32 s18, exec_lo
	v_cmpx_ne_u32_e32 0x7f, v43
	s_cbranch_execz .LBB327_2133
; %bb.2130:                             ;   in Loop: Header=BB327_1567 Depth=1
	v_and_b32_e32 v35, 7, v12
	v_lshrrev_b32_e32 v37, 3, v43
	s_mov_b32 s20, exec_lo
	v_cmpx_gt_u32_e32 8, v43
; %bb.2131:                             ;   in Loop: Header=BB327_1567 Depth=1
	v_ffbh_u32_e32 v26, v35
	v_min_u32_e32 v35, 32, v26
	v_subrev_nc_u32_e32 v26, 28, v35
	v_sub_nc_u32_e32 v37, 29, v35
	v_lshlrev_b64 v[26:27], v26, v[0:1]
	v_and_b32_e32 v35, 7, v26
; %bb.2132:                             ;   in Loop: Header=BB327_1567 Depth=1
	s_or_b32 exec_lo, exec_lo, s20
	v_lshlrev_b32_e32 v26, 8, v12
	v_lshl_add_u32 v27, v37, 10, 0x2000
	v_lshlrev_b32_e32 v35, 7, v35
	v_and_b32_e32 v26, 0x8000, v26
	v_and_b32_e32 v27, 0xfc00, v27
	v_or3_b32 v35, v26, v27, v35
.LBB327_2133:                           ;   in Loop: Header=BB327_1567 Depth=1
	s_or_b32 exec_lo, exec_lo, s18
.LBB327_2134:                           ;   in Loop: Header=BB327_1567 Depth=1
	s_or_b32 exec_lo, exec_lo, s15
.LBB327_2135:                           ;   in Loop: Header=BB327_1567 Depth=1
	s_or_b32 exec_lo, exec_lo, s13
	v_lshrrev_b16 v0, 8, v0
	v_mov_b32_e32 v37, 0
	s_mov_b32 s13, exec_lo
	v_cmpx_ne_u16_e32 0, v0
	s_cbranch_execz .LBB327_2143
; %bb.2136:                             ;   in Loop: Header=BB327_1567 Depth=1
	v_bfrev_b32_e32 v37, 1
	s_mov_b32 s15, exec_lo
	v_cmpx_ne_u16_e32 0x80, v0
	s_cbranch_execz .LBB327_2142
; %bb.2137:                             ;   in Loop: Header=BB327_1567 Depth=1
	v_and_b32_sdwa v44, v0, v38 dst_sel:DWORD dst_unused:UNUSED_PAD src0_sel:WORD_0 src1_sel:DWORD
	v_mov_b32_e32 v37, 0x7c010000
	s_mov_b32 s18, exec_lo
	v_cmpx_ne_u32_e32 0x7f, v44
	s_cbranch_execz .LBB327_2141
; %bb.2138:                             ;   in Loop: Header=BB327_1567 Depth=1
	v_and_b32_sdwa v37, v0, v39 dst_sel:DWORD dst_unused:UNUSED_PAD src0_sel:WORD_0 src1_sel:DWORD
	v_lshrrev_b32_e32 v43, 3, v44
	s_mov_b32 s20, exec_lo
	v_cmpx_gt_u32_e32 8, v44
; %bb.2139:                             ;   in Loop: Header=BB327_1567 Depth=1
	v_ffbh_u32_e32 v26, v37
	v_min_u32_e32 v37, 32, v26
	v_subrev_nc_u32_e32 v26, 28, v37
	v_sub_nc_u32_e32 v43, 29, v37
	v_lshlrev_b64 v[26:27], v26, v[0:1]
	v_and_b32_e32 v37, 7, v26
; %bb.2140:                             ;   in Loop: Header=BB327_1567 Depth=1
	s_or_b32 exec_lo, exec_lo, s20
	v_lshlrev_b32_sdwa v0, v69, v0 dst_sel:DWORD dst_unused:UNUSED_PAD src0_sel:DWORD src1_sel:WORD_0
	v_lshl_add_u32 v26, v43, 10, 0x2000
	v_and_or_b32 v0, 0x8000, v0, v26
	v_lshlrev_b32_e32 v26, 23, v37
	v_lshl_or_b32 v37, v0, 16, v26
.LBB327_2141:                           ;   in Loop: Header=BB327_1567 Depth=1
	s_or_b32 exec_lo, exec_lo, s18
.LBB327_2142:                           ;   in Loop: Header=BB327_1567 Depth=1
	s_or_b32 exec_lo, exec_lo, s15
.LBB327_2143:                           ;   in Loop: Header=BB327_1567 Depth=1
	s_or_b32 exec_lo, exec_lo, s13
	v_lshrrev_b32_e32 v0, 16, v12
	v_cmp_ne_u16_sdwa s4, v0, v1 src0_sel:BYTE_0 src1_sel:DWORD
	s_and_saveexec_b32 s13, s4
	s_cbranch_execz .LBB327_2151
; %bb.2144:                             ;   in Loop: Header=BB327_1567 Depth=1
	v_cmp_ne_u16_sdwa s4, v0, v17 src0_sel:BYTE_0 src1_sel:DWORD
	v_mov_b32_e32 v34, 0x8000
	s_and_saveexec_b32 s15, s4
	s_cbranch_execz .LBB327_2150
; %bb.2145:                             ;   in Loop: Header=BB327_1567 Depth=1
	v_bfe_u32 v44, v12, 16, 7
	v_mov_b32_e32 v34, 0x7c01
	s_mov_b32 s18, exec_lo
	v_cmpx_ne_u32_e32 0x7f, v44
	s_cbranch_execz .LBB327_2149
; %bb.2146:                             ;   in Loop: Header=BB327_1567 Depth=1
	v_and_b32_e32 v34, 7, v0
	v_lshrrev_b32_e32 v43, 3, v44
	s_mov_b32 s20, exec_lo
	v_cmpx_gt_u32_e32 8, v44
; %bb.2147:                             ;   in Loop: Header=BB327_1567 Depth=1
	v_ffbh_u32_e32 v26, v34
	v_min_u32_e32 v34, 32, v26
	v_subrev_nc_u32_e32 v26, 28, v34
	v_sub_nc_u32_e32 v43, 29, v34
	v_lshlrev_b64 v[26:27], v26, v[0:1]
	v_and_b32_e32 v34, 7, v26
; %bb.2148:                             ;   in Loop: Header=BB327_1567 Depth=1
	s_or_b32 exec_lo, exec_lo, s20
	v_lshlrev_b32_e32 v0, 8, v0
	v_lshl_add_u32 v26, v43, 10, 0x2000
	v_lshlrev_b32_e32 v27, 7, v34
	v_and_b32_e32 v0, 0x8000, v0
	v_and_b32_e32 v26, 0xfc00, v26
	v_or3_b32 v34, v0, v26, v27
.LBB327_2149:                           ;   in Loop: Header=BB327_1567 Depth=1
	s_or_b32 exec_lo, exec_lo, s18
.LBB327_2150:                           ;   in Loop: Header=BB327_1567 Depth=1
	s_or_b32 exec_lo, exec_lo, s15
.LBB327_2151:                           ;   in Loop: Header=BB327_1567 Depth=1
	s_or_b32 exec_lo, exec_lo, s13
	v_cmp_lt_u64_e64 s4, s[8:9], v[11:12]
	v_mov_b32_e32 v11, 0
	s_and_saveexec_b32 s13, s4
	s_cbranch_execz .LBB327_2159
; %bb.2152:                             ;   in Loop: Header=BB327_1567 Depth=1
	v_lshrrev_b32_e32 v0, 24, v12
	v_bfrev_b32_e32 v11, 1
	s_mov_b32 s15, exec_lo
	v_cmpx_ne_u32_e32 0x80, v0
	s_cbranch_execz .LBB327_2158
; %bb.2153:                             ;   in Loop: Header=BB327_1567 Depth=1
	v_and_b32_e32 v43, 0x7f, v0
	v_mov_b32_e32 v11, 0x7c010000
	s_mov_b32 s18, exec_lo
	v_cmpx_ne_u32_e32 0x7f, v43
	s_cbranch_execz .LBB327_2157
; %bb.2154:                             ;   in Loop: Header=BB327_1567 Depth=1
	v_and_b32_e32 v11, 7, v0
	v_lshrrev_b32_e32 v12, 3, v43
	s_mov_b32 s20, exec_lo
	v_cmpx_gt_u32_e32 8, v43
; %bb.2155:                             ;   in Loop: Header=BB327_1567 Depth=1
	v_ffbh_u32_e32 v11, v11
	v_min_u32_e32 v26, 32, v11
	v_subrev_nc_u32_e32 v11, 28, v26
	v_lshlrev_b64 v[11:12], v11, v[0:1]
	v_sub_nc_u32_e32 v12, 29, v26
	v_and_b32_e32 v11, 7, v11
; %bb.2156:                             ;   in Loop: Header=BB327_1567 Depth=1
	s_or_b32 exec_lo, exec_lo, s20
	v_lshlrev_b32_e32 v0, 8, v0
	v_lshl_add_u32 v12, v12, 10, 0x2000
	v_lshlrev_b32_e32 v11, 23, v11
	v_and_or_b32 v0, 0x8000, v0, v12
	v_lshl_or_b32 v11, v0, 16, v11
.LBB327_2157:                           ;   in Loop: Header=BB327_1567 Depth=1
	s_or_b32 exec_lo, exec_lo, s18
.LBB327_2158:                           ;   in Loop: Header=BB327_1567 Depth=1
	s_or_b32 exec_lo, exec_lo, s15
.LBB327_2159:                           ;   in Loop: Header=BB327_1567 Depth=1
	s_or_b32 exec_lo, exec_lo, s13
	v_or_b32_e32 v0, v22, v23
	s_waitcnt vmcnt(0) lgkmcnt(0)
	v_fma_mixlo_f16 v12, v4, v22, 0 op_sel:[0,1,0] op_sel_hi:[0,1,0]
	v_or_b32_e32 v6, v5, v6
	v_fma_mixlo_f16 v5, v4, v5, 0 op_sel:[0,1,0] op_sel_hi:[0,1,0]
	v_or_b32_e32 v22, v37, v35
	v_fma_mixlo_f16 v23, v4, v0, 0 op_sel_hi:[0,1,0]
	v_or_b32_e32 v26, v11, v34
	v_lshlrev_b32_e32 v0, 16, v12
	v_lshlrev_b32_e32 v12, 16, v5
	v_fma_mixlo_f16 v6, v4, v6, 0 op_sel_hi:[0,1,0]
	v_and_b32_e32 v5, 0xffff, v23
	v_fma_mixlo_f16 v23, v4, v37, 0 op_sel:[0,1,0] op_sel_hi:[0,1,0]
	v_fma_mixlo_f16 v22, v4, v22, 0 op_sel_hi:[0,1,0]
	v_fma_mixlo_f16 v11, v4, v11, 0 op_sel:[0,1,0] op_sel_hi:[0,1,0]
	v_fma_mixlo_f16 v26, v4, v26, 0 op_sel_hi:[0,1,0]
	v_and_b32_e32 v43, 0xffff, v6
	v_lshlrev_b32_e32 v6, 16, v23
	v_and_b32_e32 v23, 0xffff, v22
	v_lshlrev_b32_e32 v4, 16, v11
	v_and_b32_e32 v11, 0xffff, v26
	v_or_b32_e32 v22, v0, v5
	v_or_b32_e32 v37, v12, v43
	;; [unrolled: 1-line block ×4, first 2 shown]
	s_and_saveexec_b32 s13, vcc_lo
	s_cbranch_execz .LBB327_2161
; %bb.2160:                             ;   in Loop: Header=BB327_1567 Depth=1
	v_cmp_lt_i32_e64 s4, v71, v36
	v_cndmask_b32_e64 v22, 0, v43, s4
	v_cmp_lt_i32_e64 s4, v100, v36
	v_cndmask_b32_e64 v12, 0, v12, s4
	v_cmp_lt_i32_e64 s4, v99, v36
	v_or_b32_e32 v37, v22, v12
	v_cndmask_b32_e64 v5, 0, v5, s4
	v_cmp_lt_i32_e64 s4, v98, v36
	v_cndmask_b32_e64 v0, 0, v0, s4
	v_cmp_lt_i32_e64 s4, v97, v36
	v_or_b32_e32 v22, v5, v0
	;; [unrolled: 5-line block ×3, first 2 shown]
	v_cndmask_b32_e64 v11, 0, v11, s4
	v_cmp_lt_i32_e64 s4, v86, v36
	v_cndmask_b32_e64 v4, 0, v4, s4
	v_or_b32_e32 v34, v11, v4
.LBB327_2161:                           ;   in Loop: Header=BB327_1567 Depth=1
	s_or_b32 exec_lo, exec_lo, s13
	;;#ASMSTART
	v_pk_mul_f16 v0, v83, v37;

	;;#ASMEND
	;;#ASMSTART
	v_pk_mul_f16 v4, v82, v22;

	;;#ASMEND
	;; [unrolled: 4-line block ×4, first 2 shown]
	;;#ASMSTART
	v_pk_add_f16 v0, v0, v4;

	;;#ASMEND
	;;#ASMSTART
	v_pk_add_f16 v0, v0, v5;

	;;#ASMEND
	;; [unrolled: 4-line block ×3, first 2 shown]
	v_and_b32_e32 v4, 0xffff, v0
	v_lshrrev_b32_e32 v0, 16, v0
	;;#ASMSTART
	v_cvt_f32_f16 v43, v4;
	;;#ASMEND
	;;#ASMSTART
	v_cvt_f32_f16 v44, v0;
	;;#ASMEND
	flat_load_dwordx2 v[11:12], v[9:10] offset:256
	flat_load_dword v4, v[120:121]
	v_mov_b32_e32 v5, 0
	v_mov_b32_e32 v6, 0
	s_waitcnt vmcnt(1) lgkmcnt(1)
	v_cmp_ne_u16_sdwa s4, v11, v1 src0_sel:BYTE_0 src1_sel:DWORD
	s_and_saveexec_b32 s13, s4
	s_cbranch_execz .LBB327_2169
; %bb.2162:                             ;   in Loop: Header=BB327_1567 Depth=1
	v_cmp_ne_u16_sdwa s4, v11, v17 src0_sel:BYTE_0 src1_sel:DWORD
	v_mov_b32_e32 v6, 0x8000
	s_and_saveexec_b32 s15, s4
	s_cbranch_execz .LBB327_2168
; %bb.2163:                             ;   in Loop: Header=BB327_1567 Depth=1
	v_and_b32_e32 v22, 0x7f, v11
	v_mov_b32_e32 v6, 0x7c01
	s_mov_b32 s18, exec_lo
	v_cmpx_ne_u32_e32 0x7f, v22
	s_cbranch_execz .LBB327_2167
; %bb.2164:                             ;   in Loop: Header=BB327_1567 Depth=1
	v_and_b32_e32 v0, 7, v11
	v_lshrrev_b32_e32 v6, 3, v22
	s_mov_b32 s20, exec_lo
	v_cmpx_gt_u32_e32 8, v22
; %bb.2165:                             ;   in Loop: Header=BB327_1567 Depth=1
	v_ffbh_u32_e32 v0, v0
	v_min_u32_e32 v0, 32, v0
	v_subrev_nc_u32_e32 v6, 28, v0
	v_lshlrev_b64 v[22:23], v6, v[11:12]
	v_sub_nc_u32_e32 v6, 29, v0
	v_and_b32_e32 v0, 7, v22
; %bb.2166:                             ;   in Loop: Header=BB327_1567 Depth=1
	s_or_b32 exec_lo, exec_lo, s20
	v_lshlrev_b32_e32 v22, 8, v11
	v_lshl_add_u32 v6, v6, 10, 0x2000
	v_lshlrev_b32_e32 v0, 7, v0
	v_and_b32_e32 v22, 0x8000, v22
	v_and_b32_e32 v6, 0xfc00, v6
	v_or3_b32 v6, v22, v6, v0
.LBB327_2167:                           ;   in Loop: Header=BB327_1567 Depth=1
	s_or_b32 exec_lo, exec_lo, s18
.LBB327_2168:                           ;   in Loop: Header=BB327_1567 Depth=1
	s_or_b32 exec_lo, exec_lo, s15
.LBB327_2169:                           ;   in Loop: Header=BB327_1567 Depth=1
	s_or_b32 exec_lo, exec_lo, s13
	v_lshrrev_b16 v0, 8, v11
	s_mov_b32 s13, exec_lo
	v_cmpx_ne_u16_e32 0, v0
	s_cbranch_execz .LBB327_2177
; %bb.2170:                             ;   in Loop: Header=BB327_1567 Depth=1
	v_bfrev_b32_e32 v5, 1
	s_mov_b32 s15, exec_lo
	v_cmpx_ne_u16_e32 0x80, v0
	s_cbranch_execz .LBB327_2176
; %bb.2171:                             ;   in Loop: Header=BB327_1567 Depth=1
	v_and_b32_sdwa v23, v0, v38 dst_sel:DWORD dst_unused:UNUSED_PAD src0_sel:WORD_0 src1_sel:DWORD
	v_mov_b32_e32 v5, 0x7c010000
	s_mov_b32 s18, exec_lo
	v_cmpx_ne_u32_e32 0x7f, v23
	s_cbranch_execz .LBB327_2175
; %bb.2172:                             ;   in Loop: Header=BB327_1567 Depth=1
	v_and_b32_sdwa v5, v0, v39 dst_sel:DWORD dst_unused:UNUSED_PAD src0_sel:WORD_0 src1_sel:DWORD
	v_lshrrev_b32_e32 v22, 3, v23
	s_mov_b32 s20, exec_lo
	v_cmpx_gt_u32_e32 8, v23
; %bb.2173:                             ;   in Loop: Header=BB327_1567 Depth=1
	v_ffbh_u32_e32 v5, v5
	v_min_u32_e32 v5, 32, v5
	v_subrev_nc_u32_e32 v22, 28, v5
	v_lshlrev_b64 v[26:27], v22, v[0:1]
	v_sub_nc_u32_e32 v22, 29, v5
	v_and_b32_e32 v5, 7, v26
; %bb.2174:                             ;   in Loop: Header=BB327_1567 Depth=1
	s_or_b32 exec_lo, exec_lo, s20
	v_lshlrev_b32_sdwa v0, v69, v0 dst_sel:DWORD dst_unused:UNUSED_PAD src0_sel:DWORD src1_sel:WORD_0
	v_lshl_add_u32 v22, v22, 10, 0x2000
	v_lshlrev_b32_e32 v5, 23, v5
	v_and_or_b32 v0, 0x8000, v0, v22
	v_lshl_or_b32 v5, v0, 16, v5
.LBB327_2175:                           ;   in Loop: Header=BB327_1567 Depth=1
	s_or_b32 exec_lo, exec_lo, s18
.LBB327_2176:                           ;   in Loop: Header=BB327_1567 Depth=1
	s_or_b32 exec_lo, exec_lo, s15
.LBB327_2177:                           ;   in Loop: Header=BB327_1567 Depth=1
	s_or_b32 exec_lo, exec_lo, s13
	v_lshrrev_b32_e32 v0, 16, v11
	v_mov_b32_e32 v22, 0
	v_mov_b32_e32 v23, 0
	v_cmp_ne_u16_sdwa s4, v0, v1 src0_sel:BYTE_0 src1_sel:DWORD
	s_and_saveexec_b32 s13, s4
	s_cbranch_execz .LBB327_2185
; %bb.2178:                             ;   in Loop: Header=BB327_1567 Depth=1
	v_cmp_ne_u16_sdwa s4, v0, v17 src0_sel:BYTE_0 src1_sel:DWORD
	v_mov_b32_e32 v23, 0x8000
	s_and_saveexec_b32 s15, s4
	s_cbranch_execz .LBB327_2184
; %bb.2179:                             ;   in Loop: Header=BB327_1567 Depth=1
	v_bfe_u32 v35, v11, 16, 7
	v_mov_b32_e32 v23, 0x7c01
	s_mov_b32 s18, exec_lo
	v_cmpx_ne_u32_e32 0x7f, v35
	s_cbranch_execz .LBB327_2183
; %bb.2180:                             ;   in Loop: Header=BB327_1567 Depth=1
	v_and_b32_e32 v23, 7, v0
	v_lshrrev_b32_e32 v34, 3, v35
	s_mov_b32 s20, exec_lo
	v_cmpx_gt_u32_e32 8, v35
; %bb.2181:                             ;   in Loop: Header=BB327_1567 Depth=1
	v_ffbh_u32_e32 v23, v23
	v_min_u32_e32 v23, 32, v23
	v_subrev_nc_u32_e32 v26, 28, v23
	v_sub_nc_u32_e32 v34, 29, v23
	v_lshlrev_b64 v[26:27], v26, v[0:1]
	v_and_b32_e32 v23, 7, v26
; %bb.2182:                             ;   in Loop: Header=BB327_1567 Depth=1
	s_or_b32 exec_lo, exec_lo, s20
	v_lshlrev_b32_e32 v0, 8, v0
	v_lshl_add_u32 v26, v34, 10, 0x2000
	v_lshlrev_b32_e32 v23, 7, v23
	v_and_b32_e32 v0, 0x8000, v0
	v_and_b32_e32 v26, 0xfc00, v26
	v_or3_b32 v23, v0, v26, v23
.LBB327_2183:                           ;   in Loop: Header=BB327_1567 Depth=1
	s_or_b32 exec_lo, exec_lo, s18
.LBB327_2184:                           ;   in Loop: Header=BB327_1567 Depth=1
	s_or_b32 exec_lo, exec_lo, s15
.LBB327_2185:                           ;   in Loop: Header=BB327_1567 Depth=1
	s_or_b32 exec_lo, exec_lo, s13
	s_mov_b32 s13, exec_lo
	v_cmpx_lt_u32_e32 0xffffff, v11
	s_cbranch_execz .LBB327_2193
; %bb.2186:                             ;   in Loop: Header=BB327_1567 Depth=1
	v_lshrrev_b32_e32 v0, 24, v11
	v_bfrev_b32_e32 v22, 1
	s_mov_b32 s15, exec_lo
	v_cmpx_ne_u32_e32 0x80, v0
	s_cbranch_execz .LBB327_2192
; %bb.2187:                             ;   in Loop: Header=BB327_1567 Depth=1
	v_and_b32_e32 v35, 0x7f, v0
	v_mov_b32_e32 v22, 0x7c010000
	s_mov_b32 s18, exec_lo
	v_cmpx_ne_u32_e32 0x7f, v35
	s_cbranch_execz .LBB327_2191
; %bb.2188:                             ;   in Loop: Header=BB327_1567 Depth=1
	v_and_b32_e32 v22, 7, v0
	v_lshrrev_b32_e32 v34, 3, v35
	s_mov_b32 s20, exec_lo
	v_cmpx_gt_u32_e32 8, v35
; %bb.2189:                             ;   in Loop: Header=BB327_1567 Depth=1
	v_ffbh_u32_e32 v22, v22
	v_min_u32_e32 v22, 32, v22
	v_subrev_nc_u32_e32 v26, 28, v22
	v_sub_nc_u32_e32 v34, 29, v22
	v_lshlrev_b64 v[26:27], v26, v[0:1]
	v_and_b32_e32 v22, 7, v26
; %bb.2190:                             ;   in Loop: Header=BB327_1567 Depth=1
	s_or_b32 exec_lo, exec_lo, s20
	v_lshlrev_b32_e32 v0, 8, v0
	v_lshl_add_u32 v26, v34, 10, 0x2000
	v_lshlrev_b32_e32 v22, 23, v22
	v_and_or_b32 v0, 0x8000, v0, v26
	v_lshl_or_b32 v22, v0, 16, v22
.LBB327_2191:                           ;   in Loop: Header=BB327_1567 Depth=1
	s_or_b32 exec_lo, exec_lo, s18
.LBB327_2192:                           ;   in Loop: Header=BB327_1567 Depth=1
	s_or_b32 exec_lo, exec_lo, s15
.LBB327_2193:                           ;   in Loop: Header=BB327_1567 Depth=1
	s_or_b32 exec_lo, exec_lo, s13
	v_mov_b32_e32 v0, v12
	v_cmp_ne_u16_sdwa s4, v12, v1 src0_sel:BYTE_0 src1_sel:DWORD
	v_mov_b32_e32 v34, 0
	v_mov_b32_e32 v35, 0
	s_and_saveexec_b32 s13, s4
	s_cbranch_execz .LBB327_2201
; %bb.2194:                             ;   in Loop: Header=BB327_1567 Depth=1
	v_cmp_ne_u16_sdwa s4, v12, v17 src0_sel:BYTE_0 src1_sel:DWORD
	v_mov_b32_e32 v35, 0x8000
	s_and_saveexec_b32 s15, s4
	s_cbranch_execz .LBB327_2200
; %bb.2195:                             ;   in Loop: Header=BB327_1567 Depth=1
	v_and_b32_e32 v45, 0x7f, v12
	v_mov_b32_e32 v35, 0x7c01
	s_mov_b32 s18, exec_lo
	v_cmpx_ne_u32_e32 0x7f, v45
	s_cbranch_execz .LBB327_2199
; %bb.2196:                             ;   in Loop: Header=BB327_1567 Depth=1
	v_and_b32_e32 v35, 7, v12
	v_lshrrev_b32_e32 v37, 3, v45
	s_mov_b32 s20, exec_lo
	v_cmpx_gt_u32_e32 8, v45
; %bb.2197:                             ;   in Loop: Header=BB327_1567 Depth=1
	v_ffbh_u32_e32 v26, v35
	v_min_u32_e32 v35, 32, v26
	v_subrev_nc_u32_e32 v26, 28, v35
	v_sub_nc_u32_e32 v37, 29, v35
	v_lshlrev_b64 v[26:27], v26, v[0:1]
	v_and_b32_e32 v35, 7, v26
; %bb.2198:                             ;   in Loop: Header=BB327_1567 Depth=1
	s_or_b32 exec_lo, exec_lo, s20
	v_lshlrev_b32_e32 v26, 8, v12
	v_lshl_add_u32 v27, v37, 10, 0x2000
	v_lshlrev_b32_e32 v35, 7, v35
	v_and_b32_e32 v26, 0x8000, v26
	v_and_b32_e32 v27, 0xfc00, v27
	v_or3_b32 v35, v26, v27, v35
.LBB327_2199:                           ;   in Loop: Header=BB327_1567 Depth=1
	s_or_b32 exec_lo, exec_lo, s18
.LBB327_2200:                           ;   in Loop: Header=BB327_1567 Depth=1
	s_or_b32 exec_lo, exec_lo, s15
.LBB327_2201:                           ;   in Loop: Header=BB327_1567 Depth=1
	s_or_b32 exec_lo, exec_lo, s13
	v_lshrrev_b16 v0, 8, v0
	v_mov_b32_e32 v37, 0
	s_mov_b32 s13, exec_lo
	v_cmpx_ne_u16_e32 0, v0
	s_cbranch_execz .LBB327_2209
; %bb.2202:                             ;   in Loop: Header=BB327_1567 Depth=1
	v_bfrev_b32_e32 v37, 1
	s_mov_b32 s15, exec_lo
	v_cmpx_ne_u16_e32 0x80, v0
	s_cbranch_execz .LBB327_2208
; %bb.2203:                             ;   in Loop: Header=BB327_1567 Depth=1
	v_and_b32_sdwa v46, v0, v38 dst_sel:DWORD dst_unused:UNUSED_PAD src0_sel:WORD_0 src1_sel:DWORD
	v_mov_b32_e32 v37, 0x7c010000
	s_mov_b32 s18, exec_lo
	v_cmpx_ne_u32_e32 0x7f, v46
	s_cbranch_execz .LBB327_2207
; %bb.2204:                             ;   in Loop: Header=BB327_1567 Depth=1
	v_and_b32_sdwa v37, v0, v39 dst_sel:DWORD dst_unused:UNUSED_PAD src0_sel:WORD_0 src1_sel:DWORD
	v_lshrrev_b32_e32 v45, 3, v46
	s_mov_b32 s20, exec_lo
	v_cmpx_gt_u32_e32 8, v46
; %bb.2205:                             ;   in Loop: Header=BB327_1567 Depth=1
	v_ffbh_u32_e32 v26, v37
	v_min_u32_e32 v37, 32, v26
	v_subrev_nc_u32_e32 v26, 28, v37
	v_sub_nc_u32_e32 v45, 29, v37
	v_lshlrev_b64 v[26:27], v26, v[0:1]
	v_and_b32_e32 v37, 7, v26
; %bb.2206:                             ;   in Loop: Header=BB327_1567 Depth=1
	s_or_b32 exec_lo, exec_lo, s20
	v_lshlrev_b32_sdwa v0, v69, v0 dst_sel:DWORD dst_unused:UNUSED_PAD src0_sel:DWORD src1_sel:WORD_0
	v_lshl_add_u32 v26, v45, 10, 0x2000
	v_and_or_b32 v0, 0x8000, v0, v26
	v_lshlrev_b32_e32 v26, 23, v37
	v_lshl_or_b32 v37, v0, 16, v26
.LBB327_2207:                           ;   in Loop: Header=BB327_1567 Depth=1
	s_or_b32 exec_lo, exec_lo, s18
.LBB327_2208:                           ;   in Loop: Header=BB327_1567 Depth=1
	s_or_b32 exec_lo, exec_lo, s15
.LBB327_2209:                           ;   in Loop: Header=BB327_1567 Depth=1
	s_or_b32 exec_lo, exec_lo, s13
	v_lshrrev_b32_e32 v0, 16, v12
	v_cmp_ne_u16_sdwa s4, v0, v1 src0_sel:BYTE_0 src1_sel:DWORD
	s_and_saveexec_b32 s13, s4
	s_cbranch_execz .LBB327_2217
; %bb.2210:                             ;   in Loop: Header=BB327_1567 Depth=1
	v_cmp_ne_u16_sdwa s4, v0, v17 src0_sel:BYTE_0 src1_sel:DWORD
	v_mov_b32_e32 v34, 0x8000
	s_and_saveexec_b32 s15, s4
	s_cbranch_execz .LBB327_2216
; %bb.2211:                             ;   in Loop: Header=BB327_1567 Depth=1
	v_bfe_u32 v46, v12, 16, 7
	v_mov_b32_e32 v34, 0x7c01
	s_mov_b32 s18, exec_lo
	v_cmpx_ne_u32_e32 0x7f, v46
	s_cbranch_execz .LBB327_2215
; %bb.2212:                             ;   in Loop: Header=BB327_1567 Depth=1
	v_and_b32_e32 v34, 7, v0
	v_lshrrev_b32_e32 v45, 3, v46
	s_mov_b32 s20, exec_lo
	v_cmpx_gt_u32_e32 8, v46
; %bb.2213:                             ;   in Loop: Header=BB327_1567 Depth=1
	v_ffbh_u32_e32 v26, v34
	v_min_u32_e32 v34, 32, v26
	v_subrev_nc_u32_e32 v26, 28, v34
	v_sub_nc_u32_e32 v45, 29, v34
	v_lshlrev_b64 v[26:27], v26, v[0:1]
	v_and_b32_e32 v34, 7, v26
; %bb.2214:                             ;   in Loop: Header=BB327_1567 Depth=1
	s_or_b32 exec_lo, exec_lo, s20
	v_lshlrev_b32_e32 v0, 8, v0
	v_lshl_add_u32 v26, v45, 10, 0x2000
	v_lshlrev_b32_e32 v27, 7, v34
	v_and_b32_e32 v0, 0x8000, v0
	v_and_b32_e32 v26, 0xfc00, v26
	v_or3_b32 v34, v0, v26, v27
.LBB327_2215:                           ;   in Loop: Header=BB327_1567 Depth=1
	s_or_b32 exec_lo, exec_lo, s18
.LBB327_2216:                           ;   in Loop: Header=BB327_1567 Depth=1
	s_or_b32 exec_lo, exec_lo, s15
.LBB327_2217:                           ;   in Loop: Header=BB327_1567 Depth=1
	s_or_b32 exec_lo, exec_lo, s13
	v_cmp_lt_u64_e64 s4, s[8:9], v[11:12]
	v_mov_b32_e32 v11, 0
	s_and_saveexec_b32 s13, s4
	s_cbranch_execz .LBB327_2225
; %bb.2218:                             ;   in Loop: Header=BB327_1567 Depth=1
	v_lshrrev_b32_e32 v0, 24, v12
	v_bfrev_b32_e32 v11, 1
	s_mov_b32 s15, exec_lo
	v_cmpx_ne_u32_e32 0x80, v0
	s_cbranch_execz .LBB327_2224
; %bb.2219:                             ;   in Loop: Header=BB327_1567 Depth=1
	v_and_b32_e32 v45, 0x7f, v0
	v_mov_b32_e32 v11, 0x7c010000
	s_mov_b32 s18, exec_lo
	v_cmpx_ne_u32_e32 0x7f, v45
	s_cbranch_execz .LBB327_2223
; %bb.2220:                             ;   in Loop: Header=BB327_1567 Depth=1
	v_and_b32_e32 v11, 7, v0
	v_lshrrev_b32_e32 v12, 3, v45
	s_mov_b32 s20, exec_lo
	v_cmpx_gt_u32_e32 8, v45
; %bb.2221:                             ;   in Loop: Header=BB327_1567 Depth=1
	v_ffbh_u32_e32 v11, v11
	v_min_u32_e32 v26, 32, v11
	v_subrev_nc_u32_e32 v11, 28, v26
	v_lshlrev_b64 v[11:12], v11, v[0:1]
	v_sub_nc_u32_e32 v12, 29, v26
	v_and_b32_e32 v11, 7, v11
; %bb.2222:                             ;   in Loop: Header=BB327_1567 Depth=1
	s_or_b32 exec_lo, exec_lo, s20
	v_lshlrev_b32_e32 v0, 8, v0
	v_lshl_add_u32 v12, v12, 10, 0x2000
	v_lshlrev_b32_e32 v11, 23, v11
	v_and_or_b32 v0, 0x8000, v0, v12
	v_lshl_or_b32 v11, v0, 16, v11
.LBB327_2223:                           ;   in Loop: Header=BB327_1567 Depth=1
	s_or_b32 exec_lo, exec_lo, s18
.LBB327_2224:                           ;   in Loop: Header=BB327_1567 Depth=1
	s_or_b32 exec_lo, exec_lo, s15
.LBB327_2225:                           ;   in Loop: Header=BB327_1567 Depth=1
	s_or_b32 exec_lo, exec_lo, s13
	v_or_b32_e32 v0, v22, v23
	s_waitcnt vmcnt(0) lgkmcnt(0)
	v_fma_mixlo_f16 v12, v4, v22, 0 op_sel:[0,1,0] op_sel_hi:[0,1,0]
	v_or_b32_e32 v6, v5, v6
	v_fma_mixlo_f16 v5, v4, v5, 0 op_sel:[0,1,0] op_sel_hi:[0,1,0]
	v_or_b32_e32 v22, v37, v35
	v_fma_mixlo_f16 v23, v4, v0, 0 op_sel_hi:[0,1,0]
	v_or_b32_e32 v26, v11, v34
	v_lshlrev_b32_e32 v0, 16, v12
	v_lshlrev_b32_e32 v12, 16, v5
	v_fma_mixlo_f16 v6, v4, v6, 0 op_sel_hi:[0,1,0]
	v_and_b32_e32 v5, 0xffff, v23
	v_fma_mixlo_f16 v23, v4, v37, 0 op_sel:[0,1,0] op_sel_hi:[0,1,0]
	v_fma_mixlo_f16 v22, v4, v22, 0 op_sel_hi:[0,1,0]
	v_fma_mixlo_f16 v11, v4, v11, 0 op_sel:[0,1,0] op_sel_hi:[0,1,0]
	v_fma_mixlo_f16 v26, v4, v26, 0 op_sel_hi:[0,1,0]
	v_and_b32_e32 v45, 0xffff, v6
	v_lshlrev_b32_e32 v6, 16, v23
	v_and_b32_e32 v23, 0xffff, v22
	v_lshlrev_b32_e32 v4, 16, v11
	v_and_b32_e32 v11, 0xffff, v26
	v_or_b32_e32 v22, v0, v5
	v_or_b32_e32 v37, v12, v45
	;; [unrolled: 1-line block ×4, first 2 shown]
	s_and_saveexec_b32 s13, vcc_lo
	s_cbranch_execz .LBB327_2227
; %bb.2226:                             ;   in Loop: Header=BB327_1567 Depth=1
	v_cmp_lt_i32_e64 s4, v71, v36
	v_cndmask_b32_e64 v22, 0, v45, s4
	v_cmp_lt_i32_e64 s4, v100, v36
	v_cndmask_b32_e64 v12, 0, v12, s4
	v_cmp_lt_i32_e64 s4, v99, v36
	v_or_b32_e32 v37, v22, v12
	v_cndmask_b32_e64 v5, 0, v5, s4
	v_cmp_lt_i32_e64 s4, v98, v36
	v_cndmask_b32_e64 v0, 0, v0, s4
	v_cmp_lt_i32_e64 s4, v97, v36
	v_or_b32_e32 v22, v5, v0
	;; [unrolled: 5-line block ×3, first 2 shown]
	v_cndmask_b32_e64 v11, 0, v11, s4
	v_cmp_lt_i32_e64 s4, v86, v36
	v_cndmask_b32_e64 v4, 0, v4, s4
	v_or_b32_e32 v34, v11, v4
.LBB327_2227:                           ;   in Loop: Header=BB327_1567 Depth=1
	s_or_b32 exec_lo, exec_lo, s13
	;;#ASMSTART
	v_pk_mul_f16 v0, v83, v37;

	;;#ASMEND
	;;#ASMSTART
	v_pk_mul_f16 v4, v82, v22;

	;;#ASMEND
	;;#ASMSTART
	v_pk_mul_f16 v5, v81, v35;

	;;#ASMEND
	;;#ASMSTART
	v_pk_mul_f16 v6, v80, v34;

	;;#ASMEND
	;;#ASMSTART
	v_pk_add_f16 v0, v0, v4;

	;;#ASMEND
	;;#ASMSTART
	v_pk_add_f16 v0, v0, v5;

	;;#ASMEND
	;; [unrolled: 4-line block ×3, first 2 shown]
	v_and_b32_e32 v4, 0xffff, v0
	v_lshrrev_b32_e32 v0, 16, v0
	;;#ASMSTART
	v_cvt_f32_f16 v45, v4;
	;;#ASMEND
	;;#ASMSTART
	v_cvt_f32_f16 v46, v0;
	;;#ASMEND
	flat_load_dwordx2 v[11:12], v[9:10] offset:512
	flat_load_dword v4, v[120:121]
	v_mov_b32_e32 v5, 0
	v_mov_b32_e32 v6, 0
	s_waitcnt vmcnt(1) lgkmcnt(1)
	v_cmp_ne_u16_sdwa s4, v11, v1 src0_sel:BYTE_0 src1_sel:DWORD
	s_and_saveexec_b32 s13, s4
	s_cbranch_execz .LBB327_2235
; %bb.2228:                             ;   in Loop: Header=BB327_1567 Depth=1
	v_cmp_ne_u16_sdwa s4, v11, v17 src0_sel:BYTE_0 src1_sel:DWORD
	v_mov_b32_e32 v6, 0x8000
	s_and_saveexec_b32 s15, s4
	s_cbranch_execz .LBB327_2234
; %bb.2229:                             ;   in Loop: Header=BB327_1567 Depth=1
	v_and_b32_e32 v22, 0x7f, v11
	v_mov_b32_e32 v6, 0x7c01
	s_mov_b32 s18, exec_lo
	v_cmpx_ne_u32_e32 0x7f, v22
	s_cbranch_execz .LBB327_2233
; %bb.2230:                             ;   in Loop: Header=BB327_1567 Depth=1
	v_and_b32_e32 v0, 7, v11
	v_lshrrev_b32_e32 v6, 3, v22
	s_mov_b32 s20, exec_lo
	v_cmpx_gt_u32_e32 8, v22
; %bb.2231:                             ;   in Loop: Header=BB327_1567 Depth=1
	v_ffbh_u32_e32 v0, v0
	v_min_u32_e32 v0, 32, v0
	v_subrev_nc_u32_e32 v6, 28, v0
	v_lshlrev_b64 v[22:23], v6, v[11:12]
	v_sub_nc_u32_e32 v6, 29, v0
	v_and_b32_e32 v0, 7, v22
; %bb.2232:                             ;   in Loop: Header=BB327_1567 Depth=1
	s_or_b32 exec_lo, exec_lo, s20
	v_lshlrev_b32_e32 v22, 8, v11
	v_lshl_add_u32 v6, v6, 10, 0x2000
	v_lshlrev_b32_e32 v0, 7, v0
	v_and_b32_e32 v22, 0x8000, v22
	v_and_b32_e32 v6, 0xfc00, v6
	v_or3_b32 v6, v22, v6, v0
.LBB327_2233:                           ;   in Loop: Header=BB327_1567 Depth=1
	s_or_b32 exec_lo, exec_lo, s18
.LBB327_2234:                           ;   in Loop: Header=BB327_1567 Depth=1
	s_or_b32 exec_lo, exec_lo, s15
.LBB327_2235:                           ;   in Loop: Header=BB327_1567 Depth=1
	s_or_b32 exec_lo, exec_lo, s13
	v_lshrrev_b16 v0, 8, v11
	s_mov_b32 s13, exec_lo
	v_cmpx_ne_u16_e32 0, v0
	s_cbranch_execz .LBB327_2243
; %bb.2236:                             ;   in Loop: Header=BB327_1567 Depth=1
	v_bfrev_b32_e32 v5, 1
	s_mov_b32 s15, exec_lo
	v_cmpx_ne_u16_e32 0x80, v0
	s_cbranch_execz .LBB327_2242
; %bb.2237:                             ;   in Loop: Header=BB327_1567 Depth=1
	v_and_b32_sdwa v23, v0, v38 dst_sel:DWORD dst_unused:UNUSED_PAD src0_sel:WORD_0 src1_sel:DWORD
	v_mov_b32_e32 v5, 0x7c010000
	s_mov_b32 s18, exec_lo
	v_cmpx_ne_u32_e32 0x7f, v23
	s_cbranch_execz .LBB327_2241
; %bb.2238:                             ;   in Loop: Header=BB327_1567 Depth=1
	v_and_b32_sdwa v5, v0, v39 dst_sel:DWORD dst_unused:UNUSED_PAD src0_sel:WORD_0 src1_sel:DWORD
	v_lshrrev_b32_e32 v22, 3, v23
	s_mov_b32 s20, exec_lo
	v_cmpx_gt_u32_e32 8, v23
; %bb.2239:                             ;   in Loop: Header=BB327_1567 Depth=1
	v_ffbh_u32_e32 v5, v5
	v_min_u32_e32 v5, 32, v5
	v_subrev_nc_u32_e32 v22, 28, v5
	v_lshlrev_b64 v[26:27], v22, v[0:1]
	v_sub_nc_u32_e32 v22, 29, v5
	v_and_b32_e32 v5, 7, v26
; %bb.2240:                             ;   in Loop: Header=BB327_1567 Depth=1
	s_or_b32 exec_lo, exec_lo, s20
	v_lshlrev_b32_sdwa v0, v69, v0 dst_sel:DWORD dst_unused:UNUSED_PAD src0_sel:DWORD src1_sel:WORD_0
	v_lshl_add_u32 v22, v22, 10, 0x2000
	v_lshlrev_b32_e32 v5, 23, v5
	v_and_or_b32 v0, 0x8000, v0, v22
	v_lshl_or_b32 v5, v0, 16, v5
.LBB327_2241:                           ;   in Loop: Header=BB327_1567 Depth=1
	s_or_b32 exec_lo, exec_lo, s18
.LBB327_2242:                           ;   in Loop: Header=BB327_1567 Depth=1
	s_or_b32 exec_lo, exec_lo, s15
.LBB327_2243:                           ;   in Loop: Header=BB327_1567 Depth=1
	s_or_b32 exec_lo, exec_lo, s13
	v_lshrrev_b32_e32 v0, 16, v11
	v_mov_b32_e32 v22, 0
	v_mov_b32_e32 v23, 0
	v_cmp_ne_u16_sdwa s4, v0, v1 src0_sel:BYTE_0 src1_sel:DWORD
	s_and_saveexec_b32 s13, s4
	s_cbranch_execz .LBB327_2251
; %bb.2244:                             ;   in Loop: Header=BB327_1567 Depth=1
	v_cmp_ne_u16_sdwa s4, v0, v17 src0_sel:BYTE_0 src1_sel:DWORD
	v_mov_b32_e32 v23, 0x8000
	s_and_saveexec_b32 s15, s4
	s_cbranch_execz .LBB327_2250
; %bb.2245:                             ;   in Loop: Header=BB327_1567 Depth=1
	v_bfe_u32 v35, v11, 16, 7
	v_mov_b32_e32 v23, 0x7c01
	s_mov_b32 s18, exec_lo
	v_cmpx_ne_u32_e32 0x7f, v35
	s_cbranch_execz .LBB327_2249
; %bb.2246:                             ;   in Loop: Header=BB327_1567 Depth=1
	v_and_b32_e32 v23, 7, v0
	v_lshrrev_b32_e32 v34, 3, v35
	s_mov_b32 s20, exec_lo
	v_cmpx_gt_u32_e32 8, v35
; %bb.2247:                             ;   in Loop: Header=BB327_1567 Depth=1
	v_ffbh_u32_e32 v23, v23
	v_min_u32_e32 v23, 32, v23
	v_subrev_nc_u32_e32 v26, 28, v23
	v_sub_nc_u32_e32 v34, 29, v23
	v_lshlrev_b64 v[26:27], v26, v[0:1]
	v_and_b32_e32 v23, 7, v26
; %bb.2248:                             ;   in Loop: Header=BB327_1567 Depth=1
	s_or_b32 exec_lo, exec_lo, s20
	v_lshlrev_b32_e32 v0, 8, v0
	v_lshl_add_u32 v26, v34, 10, 0x2000
	v_lshlrev_b32_e32 v23, 7, v23
	v_and_b32_e32 v0, 0x8000, v0
	v_and_b32_e32 v26, 0xfc00, v26
	v_or3_b32 v23, v0, v26, v23
.LBB327_2249:                           ;   in Loop: Header=BB327_1567 Depth=1
	s_or_b32 exec_lo, exec_lo, s18
.LBB327_2250:                           ;   in Loop: Header=BB327_1567 Depth=1
	s_or_b32 exec_lo, exec_lo, s15
.LBB327_2251:                           ;   in Loop: Header=BB327_1567 Depth=1
	s_or_b32 exec_lo, exec_lo, s13
	s_mov_b32 s13, exec_lo
	v_cmpx_lt_u32_e32 0xffffff, v11
	s_cbranch_execz .LBB327_2259
; %bb.2252:                             ;   in Loop: Header=BB327_1567 Depth=1
	v_lshrrev_b32_e32 v0, 24, v11
	v_bfrev_b32_e32 v22, 1
	s_mov_b32 s15, exec_lo
	v_cmpx_ne_u32_e32 0x80, v0
	s_cbranch_execz .LBB327_2258
; %bb.2253:                             ;   in Loop: Header=BB327_1567 Depth=1
	v_and_b32_e32 v35, 0x7f, v0
	v_mov_b32_e32 v22, 0x7c010000
	s_mov_b32 s18, exec_lo
	v_cmpx_ne_u32_e32 0x7f, v35
	s_cbranch_execz .LBB327_2257
; %bb.2254:                             ;   in Loop: Header=BB327_1567 Depth=1
	v_and_b32_e32 v22, 7, v0
	v_lshrrev_b32_e32 v34, 3, v35
	s_mov_b32 s20, exec_lo
	v_cmpx_gt_u32_e32 8, v35
; %bb.2255:                             ;   in Loop: Header=BB327_1567 Depth=1
	v_ffbh_u32_e32 v22, v22
	v_min_u32_e32 v22, 32, v22
	v_subrev_nc_u32_e32 v26, 28, v22
	v_sub_nc_u32_e32 v34, 29, v22
	v_lshlrev_b64 v[26:27], v26, v[0:1]
	v_and_b32_e32 v22, 7, v26
; %bb.2256:                             ;   in Loop: Header=BB327_1567 Depth=1
	s_or_b32 exec_lo, exec_lo, s20
	v_lshlrev_b32_e32 v0, 8, v0
	v_lshl_add_u32 v26, v34, 10, 0x2000
	v_lshlrev_b32_e32 v22, 23, v22
	v_and_or_b32 v0, 0x8000, v0, v26
	v_lshl_or_b32 v22, v0, 16, v22
.LBB327_2257:                           ;   in Loop: Header=BB327_1567 Depth=1
	s_or_b32 exec_lo, exec_lo, s18
.LBB327_2258:                           ;   in Loop: Header=BB327_1567 Depth=1
	s_or_b32 exec_lo, exec_lo, s15
.LBB327_2259:                           ;   in Loop: Header=BB327_1567 Depth=1
	s_or_b32 exec_lo, exec_lo, s13
	v_mov_b32_e32 v0, v12
	v_cmp_ne_u16_sdwa s4, v12, v1 src0_sel:BYTE_0 src1_sel:DWORD
	v_mov_b32_e32 v34, 0
	v_mov_b32_e32 v35, 0
	s_and_saveexec_b32 s13, s4
	s_cbranch_execz .LBB327_2267
; %bb.2260:                             ;   in Loop: Header=BB327_1567 Depth=1
	v_cmp_ne_u16_sdwa s4, v12, v17 src0_sel:BYTE_0 src1_sel:DWORD
	v_mov_b32_e32 v35, 0x8000
	s_and_saveexec_b32 s15, s4
	s_cbranch_execz .LBB327_2266
; %bb.2261:                             ;   in Loop: Header=BB327_1567 Depth=1
	v_and_b32_e32 v47, 0x7f, v12
	v_mov_b32_e32 v35, 0x7c01
	s_mov_b32 s18, exec_lo
	v_cmpx_ne_u32_e32 0x7f, v47
	s_cbranch_execz .LBB327_2265
; %bb.2262:                             ;   in Loop: Header=BB327_1567 Depth=1
	v_and_b32_e32 v35, 7, v12
	v_lshrrev_b32_e32 v37, 3, v47
	s_mov_b32 s20, exec_lo
	v_cmpx_gt_u32_e32 8, v47
; %bb.2263:                             ;   in Loop: Header=BB327_1567 Depth=1
	v_ffbh_u32_e32 v26, v35
	v_min_u32_e32 v35, 32, v26
	v_subrev_nc_u32_e32 v26, 28, v35
	v_sub_nc_u32_e32 v37, 29, v35
	v_lshlrev_b64 v[26:27], v26, v[0:1]
	v_and_b32_e32 v35, 7, v26
; %bb.2264:                             ;   in Loop: Header=BB327_1567 Depth=1
	s_or_b32 exec_lo, exec_lo, s20
	v_lshlrev_b32_e32 v26, 8, v12
	v_lshl_add_u32 v27, v37, 10, 0x2000
	v_lshlrev_b32_e32 v35, 7, v35
	v_and_b32_e32 v26, 0x8000, v26
	v_and_b32_e32 v27, 0xfc00, v27
	v_or3_b32 v35, v26, v27, v35
.LBB327_2265:                           ;   in Loop: Header=BB327_1567 Depth=1
	s_or_b32 exec_lo, exec_lo, s18
.LBB327_2266:                           ;   in Loop: Header=BB327_1567 Depth=1
	s_or_b32 exec_lo, exec_lo, s15
.LBB327_2267:                           ;   in Loop: Header=BB327_1567 Depth=1
	s_or_b32 exec_lo, exec_lo, s13
	v_lshrrev_b16 v0, 8, v0
	v_mov_b32_e32 v37, 0
	s_mov_b32 s13, exec_lo
	v_cmpx_ne_u16_e32 0, v0
	s_cbranch_execz .LBB327_2275
; %bb.2268:                             ;   in Loop: Header=BB327_1567 Depth=1
	v_bfrev_b32_e32 v37, 1
	s_mov_b32 s15, exec_lo
	v_cmpx_ne_u16_e32 0x80, v0
	s_cbranch_execz .LBB327_2274
; %bb.2269:                             ;   in Loop: Header=BB327_1567 Depth=1
	v_and_b32_sdwa v56, v0, v38 dst_sel:DWORD dst_unused:UNUSED_PAD src0_sel:WORD_0 src1_sel:DWORD
	v_mov_b32_e32 v37, 0x7c010000
	s_mov_b32 s18, exec_lo
	v_cmpx_ne_u32_e32 0x7f, v56
	s_cbranch_execz .LBB327_2273
; %bb.2270:                             ;   in Loop: Header=BB327_1567 Depth=1
	v_and_b32_sdwa v37, v0, v39 dst_sel:DWORD dst_unused:UNUSED_PAD src0_sel:WORD_0 src1_sel:DWORD
	v_lshrrev_b32_e32 v47, 3, v56
	s_mov_b32 s20, exec_lo
	v_cmpx_gt_u32_e32 8, v56
; %bb.2271:                             ;   in Loop: Header=BB327_1567 Depth=1
	v_ffbh_u32_e32 v26, v37
	v_min_u32_e32 v37, 32, v26
	v_subrev_nc_u32_e32 v26, 28, v37
	v_sub_nc_u32_e32 v47, 29, v37
	v_lshlrev_b64 v[26:27], v26, v[0:1]
	v_and_b32_e32 v37, 7, v26
; %bb.2272:                             ;   in Loop: Header=BB327_1567 Depth=1
	s_or_b32 exec_lo, exec_lo, s20
	v_lshlrev_b32_sdwa v0, v69, v0 dst_sel:DWORD dst_unused:UNUSED_PAD src0_sel:DWORD src1_sel:WORD_0
	v_lshl_add_u32 v26, v47, 10, 0x2000
	v_and_or_b32 v0, 0x8000, v0, v26
	v_lshlrev_b32_e32 v26, 23, v37
	v_lshl_or_b32 v37, v0, 16, v26
.LBB327_2273:                           ;   in Loop: Header=BB327_1567 Depth=1
	s_or_b32 exec_lo, exec_lo, s18
.LBB327_2274:                           ;   in Loop: Header=BB327_1567 Depth=1
	s_or_b32 exec_lo, exec_lo, s15
.LBB327_2275:                           ;   in Loop: Header=BB327_1567 Depth=1
	s_or_b32 exec_lo, exec_lo, s13
	v_lshrrev_b32_e32 v0, 16, v12
	v_cmp_ne_u16_sdwa s4, v0, v1 src0_sel:BYTE_0 src1_sel:DWORD
	s_and_saveexec_b32 s13, s4
	s_cbranch_execz .LBB327_2283
; %bb.2276:                             ;   in Loop: Header=BB327_1567 Depth=1
	v_cmp_ne_u16_sdwa s4, v0, v17 src0_sel:BYTE_0 src1_sel:DWORD
	v_mov_b32_e32 v34, 0x8000
	s_and_saveexec_b32 s15, s4
	s_cbranch_execz .LBB327_2282
; %bb.2277:                             ;   in Loop: Header=BB327_1567 Depth=1
	v_bfe_u32 v56, v12, 16, 7
	v_mov_b32_e32 v34, 0x7c01
	s_mov_b32 s18, exec_lo
	v_cmpx_ne_u32_e32 0x7f, v56
	s_cbranch_execz .LBB327_2281
; %bb.2278:                             ;   in Loop: Header=BB327_1567 Depth=1
	v_and_b32_e32 v34, 7, v0
	v_lshrrev_b32_e32 v47, 3, v56
	s_mov_b32 s20, exec_lo
	v_cmpx_gt_u32_e32 8, v56
; %bb.2279:                             ;   in Loop: Header=BB327_1567 Depth=1
	v_ffbh_u32_e32 v26, v34
	v_min_u32_e32 v34, 32, v26
	v_subrev_nc_u32_e32 v26, 28, v34
	v_sub_nc_u32_e32 v47, 29, v34
	v_lshlrev_b64 v[26:27], v26, v[0:1]
	v_and_b32_e32 v34, 7, v26
; %bb.2280:                             ;   in Loop: Header=BB327_1567 Depth=1
	s_or_b32 exec_lo, exec_lo, s20
	v_lshlrev_b32_e32 v0, 8, v0
	v_lshl_add_u32 v26, v47, 10, 0x2000
	v_lshlrev_b32_e32 v27, 7, v34
	v_and_b32_e32 v0, 0x8000, v0
	v_and_b32_e32 v26, 0xfc00, v26
	v_or3_b32 v34, v0, v26, v27
.LBB327_2281:                           ;   in Loop: Header=BB327_1567 Depth=1
	s_or_b32 exec_lo, exec_lo, s18
.LBB327_2282:                           ;   in Loop: Header=BB327_1567 Depth=1
	s_or_b32 exec_lo, exec_lo, s15
.LBB327_2283:                           ;   in Loop: Header=BB327_1567 Depth=1
	s_or_b32 exec_lo, exec_lo, s13
	v_cmp_lt_u64_e64 s4, s[8:9], v[11:12]
	v_mov_b32_e32 v11, 0
	s_and_saveexec_b32 s13, s4
	s_cbranch_execz .LBB327_2291
; %bb.2284:                             ;   in Loop: Header=BB327_1567 Depth=1
	v_lshrrev_b32_e32 v0, 24, v12
	v_bfrev_b32_e32 v11, 1
	s_mov_b32 s15, exec_lo
	v_cmpx_ne_u32_e32 0x80, v0
	s_cbranch_execz .LBB327_2290
; %bb.2285:                             ;   in Loop: Header=BB327_1567 Depth=1
	v_and_b32_e32 v47, 0x7f, v0
	v_mov_b32_e32 v11, 0x7c010000
	s_mov_b32 s18, exec_lo
	v_cmpx_ne_u32_e32 0x7f, v47
	s_cbranch_execz .LBB327_2289
; %bb.2286:                             ;   in Loop: Header=BB327_1567 Depth=1
	v_and_b32_e32 v11, 7, v0
	v_lshrrev_b32_e32 v12, 3, v47
	s_mov_b32 s20, exec_lo
	v_cmpx_gt_u32_e32 8, v47
; %bb.2287:                             ;   in Loop: Header=BB327_1567 Depth=1
	v_ffbh_u32_e32 v11, v11
	v_min_u32_e32 v26, 32, v11
	v_subrev_nc_u32_e32 v11, 28, v26
	v_lshlrev_b64 v[11:12], v11, v[0:1]
	v_sub_nc_u32_e32 v12, 29, v26
	v_and_b32_e32 v11, 7, v11
; %bb.2288:                             ;   in Loop: Header=BB327_1567 Depth=1
	s_or_b32 exec_lo, exec_lo, s20
	v_lshlrev_b32_e32 v0, 8, v0
	v_lshl_add_u32 v12, v12, 10, 0x2000
	v_lshlrev_b32_e32 v11, 23, v11
	v_and_or_b32 v0, 0x8000, v0, v12
	v_lshl_or_b32 v11, v0, 16, v11
.LBB327_2289:                           ;   in Loop: Header=BB327_1567 Depth=1
	s_or_b32 exec_lo, exec_lo, s18
.LBB327_2290:                           ;   in Loop: Header=BB327_1567 Depth=1
	s_or_b32 exec_lo, exec_lo, s15
.LBB327_2291:                           ;   in Loop: Header=BB327_1567 Depth=1
	s_or_b32 exec_lo, exec_lo, s13
	v_or_b32_e32 v0, v22, v23
	s_waitcnt vmcnt(0) lgkmcnt(0)
	v_fma_mixlo_f16 v12, v4, v22, 0 op_sel:[0,1,0] op_sel_hi:[0,1,0]
	v_or_b32_e32 v6, v5, v6
	v_fma_mixlo_f16 v5, v4, v5, 0 op_sel:[0,1,0] op_sel_hi:[0,1,0]
	v_or_b32_e32 v22, v37, v35
	v_fma_mixlo_f16 v23, v4, v0, 0 op_sel_hi:[0,1,0]
	v_or_b32_e32 v26, v11, v34
	v_lshlrev_b32_e32 v0, 16, v12
	v_lshlrev_b32_e32 v12, 16, v5
	v_fma_mixlo_f16 v6, v4, v6, 0 op_sel_hi:[0,1,0]
	v_and_b32_e32 v5, 0xffff, v23
	v_fma_mixlo_f16 v23, v4, v37, 0 op_sel:[0,1,0] op_sel_hi:[0,1,0]
	v_fma_mixlo_f16 v22, v4, v22, 0 op_sel_hi:[0,1,0]
	v_fma_mixlo_f16 v11, v4, v11, 0 op_sel:[0,1,0] op_sel_hi:[0,1,0]
	v_fma_mixlo_f16 v26, v4, v26, 0 op_sel_hi:[0,1,0]
	v_and_b32_e32 v47, 0xffff, v6
	v_lshlrev_b32_e32 v6, 16, v23
	v_and_b32_e32 v23, 0xffff, v22
	v_lshlrev_b32_e32 v4, 16, v11
	v_and_b32_e32 v11, 0xffff, v26
	v_or_b32_e32 v22, v0, v5
	v_or_b32_e32 v37, v12, v47
	;; [unrolled: 1-line block ×4, first 2 shown]
	s_and_saveexec_b32 s13, vcc_lo
	s_cbranch_execz .LBB327_2293
; %bb.2292:                             ;   in Loop: Header=BB327_1567 Depth=1
	v_cmp_lt_i32_e64 s4, v71, v36
	v_cndmask_b32_e64 v22, 0, v47, s4
	v_cmp_lt_i32_e64 s4, v100, v36
	v_cndmask_b32_e64 v12, 0, v12, s4
	v_cmp_lt_i32_e64 s4, v99, v36
	v_or_b32_e32 v37, v22, v12
	v_cndmask_b32_e64 v5, 0, v5, s4
	v_cmp_lt_i32_e64 s4, v98, v36
	v_cndmask_b32_e64 v0, 0, v0, s4
	v_cmp_lt_i32_e64 s4, v97, v36
	v_or_b32_e32 v22, v5, v0
	;; [unrolled: 5-line block ×3, first 2 shown]
	v_cndmask_b32_e64 v11, 0, v11, s4
	v_cmp_lt_i32_e64 s4, v86, v36
	v_cndmask_b32_e64 v4, 0, v4, s4
	v_or_b32_e32 v34, v11, v4
.LBB327_2293:                           ;   in Loop: Header=BB327_1567 Depth=1
	s_or_b32 exec_lo, exec_lo, s13
	;;#ASMSTART
	v_pk_mul_f16 v0, v83, v37;

	;;#ASMEND
	;;#ASMSTART
	v_pk_mul_f16 v4, v82, v22;

	;;#ASMEND
	;; [unrolled: 4-line block ×4, first 2 shown]
	;;#ASMSTART
	v_pk_add_f16 v0, v0, v4;

	;;#ASMEND
	;;#ASMSTART
	v_pk_add_f16 v0, v0, v5;

	;;#ASMEND
	;; [unrolled: 4-line block ×3, first 2 shown]
	v_and_b32_e32 v4, 0xffff, v0
	v_lshrrev_b32_e32 v0, 16, v0
	;;#ASMSTART
	v_cvt_f32_f16 v47, v4;
	;;#ASMEND
	;;#ASMSTART
	v_cvt_f32_f16 v56, v0;
	;;#ASMEND
	flat_load_dwordx2 v[11:12], v[9:10] offset:768
	flat_load_dword v4, v[120:121]
	v_mov_b32_e32 v5, 0
	v_mov_b32_e32 v6, 0
	s_waitcnt vmcnt(1) lgkmcnt(1)
	v_cmp_ne_u16_sdwa s4, v11, v1 src0_sel:BYTE_0 src1_sel:DWORD
	s_and_saveexec_b32 s13, s4
	s_cbranch_execz .LBB327_2301
; %bb.2294:                             ;   in Loop: Header=BB327_1567 Depth=1
	v_cmp_ne_u16_sdwa s4, v11, v17 src0_sel:BYTE_0 src1_sel:DWORD
	v_mov_b32_e32 v6, 0x8000
	s_and_saveexec_b32 s15, s4
	s_cbranch_execz .LBB327_2300
; %bb.2295:                             ;   in Loop: Header=BB327_1567 Depth=1
	v_and_b32_e32 v22, 0x7f, v11
	v_mov_b32_e32 v6, 0x7c01
	s_mov_b32 s18, exec_lo
	v_cmpx_ne_u32_e32 0x7f, v22
	s_cbranch_execz .LBB327_2299
; %bb.2296:                             ;   in Loop: Header=BB327_1567 Depth=1
	v_and_b32_e32 v0, 7, v11
	v_lshrrev_b32_e32 v6, 3, v22
	s_mov_b32 s20, exec_lo
	v_cmpx_gt_u32_e32 8, v22
; %bb.2297:                             ;   in Loop: Header=BB327_1567 Depth=1
	v_ffbh_u32_e32 v0, v0
	v_min_u32_e32 v0, 32, v0
	v_subrev_nc_u32_e32 v6, 28, v0
	v_lshlrev_b64 v[22:23], v6, v[11:12]
	v_sub_nc_u32_e32 v6, 29, v0
	v_and_b32_e32 v0, 7, v22
; %bb.2298:                             ;   in Loop: Header=BB327_1567 Depth=1
	s_or_b32 exec_lo, exec_lo, s20
	v_lshlrev_b32_e32 v22, 8, v11
	v_lshl_add_u32 v6, v6, 10, 0x2000
	v_lshlrev_b32_e32 v0, 7, v0
	v_and_b32_e32 v22, 0x8000, v22
	v_and_b32_e32 v6, 0xfc00, v6
	v_or3_b32 v6, v22, v6, v0
.LBB327_2299:                           ;   in Loop: Header=BB327_1567 Depth=1
	s_or_b32 exec_lo, exec_lo, s18
.LBB327_2300:                           ;   in Loop: Header=BB327_1567 Depth=1
	s_or_b32 exec_lo, exec_lo, s15
.LBB327_2301:                           ;   in Loop: Header=BB327_1567 Depth=1
	s_or_b32 exec_lo, exec_lo, s13
	v_lshrrev_b16 v0, 8, v11
	s_mov_b32 s13, exec_lo
	v_cmpx_ne_u16_e32 0, v0
	s_cbranch_execz .LBB327_2309
; %bb.2302:                             ;   in Loop: Header=BB327_1567 Depth=1
	v_bfrev_b32_e32 v5, 1
	s_mov_b32 s15, exec_lo
	v_cmpx_ne_u16_e32 0x80, v0
	s_cbranch_execz .LBB327_2308
; %bb.2303:                             ;   in Loop: Header=BB327_1567 Depth=1
	v_and_b32_sdwa v23, v0, v38 dst_sel:DWORD dst_unused:UNUSED_PAD src0_sel:WORD_0 src1_sel:DWORD
	v_mov_b32_e32 v5, 0x7c010000
	s_mov_b32 s18, exec_lo
	v_cmpx_ne_u32_e32 0x7f, v23
	s_cbranch_execz .LBB327_2307
; %bb.2304:                             ;   in Loop: Header=BB327_1567 Depth=1
	v_and_b32_sdwa v5, v0, v39 dst_sel:DWORD dst_unused:UNUSED_PAD src0_sel:WORD_0 src1_sel:DWORD
	v_lshrrev_b32_e32 v22, 3, v23
	s_mov_b32 s20, exec_lo
	v_cmpx_gt_u32_e32 8, v23
; %bb.2305:                             ;   in Loop: Header=BB327_1567 Depth=1
	v_ffbh_u32_e32 v5, v5
	v_min_u32_e32 v5, 32, v5
	v_subrev_nc_u32_e32 v22, 28, v5
	v_lshlrev_b64 v[26:27], v22, v[0:1]
	v_sub_nc_u32_e32 v22, 29, v5
	v_and_b32_e32 v5, 7, v26
; %bb.2306:                             ;   in Loop: Header=BB327_1567 Depth=1
	s_or_b32 exec_lo, exec_lo, s20
	v_lshlrev_b32_sdwa v0, v69, v0 dst_sel:DWORD dst_unused:UNUSED_PAD src0_sel:DWORD src1_sel:WORD_0
	v_lshl_add_u32 v22, v22, 10, 0x2000
	v_lshlrev_b32_e32 v5, 23, v5
	v_and_or_b32 v0, 0x8000, v0, v22
	v_lshl_or_b32 v5, v0, 16, v5
.LBB327_2307:                           ;   in Loop: Header=BB327_1567 Depth=1
	s_or_b32 exec_lo, exec_lo, s18
.LBB327_2308:                           ;   in Loop: Header=BB327_1567 Depth=1
	s_or_b32 exec_lo, exec_lo, s15
.LBB327_2309:                           ;   in Loop: Header=BB327_1567 Depth=1
	s_or_b32 exec_lo, exec_lo, s13
	v_lshrrev_b32_e32 v0, 16, v11
	v_mov_b32_e32 v22, 0
	v_mov_b32_e32 v23, 0
	v_cmp_ne_u16_sdwa s4, v0, v1 src0_sel:BYTE_0 src1_sel:DWORD
	s_and_saveexec_b32 s13, s4
	s_cbranch_execz .LBB327_2317
; %bb.2310:                             ;   in Loop: Header=BB327_1567 Depth=1
	v_cmp_ne_u16_sdwa s4, v0, v17 src0_sel:BYTE_0 src1_sel:DWORD
	v_mov_b32_e32 v23, 0x8000
	s_and_saveexec_b32 s15, s4
	s_cbranch_execz .LBB327_2316
; %bb.2311:                             ;   in Loop: Header=BB327_1567 Depth=1
	v_bfe_u32 v35, v11, 16, 7
	v_mov_b32_e32 v23, 0x7c01
	s_mov_b32 s18, exec_lo
	v_cmpx_ne_u32_e32 0x7f, v35
	s_cbranch_execz .LBB327_2315
; %bb.2312:                             ;   in Loop: Header=BB327_1567 Depth=1
	v_and_b32_e32 v23, 7, v0
	v_lshrrev_b32_e32 v34, 3, v35
	s_mov_b32 s20, exec_lo
	v_cmpx_gt_u32_e32 8, v35
; %bb.2313:                             ;   in Loop: Header=BB327_1567 Depth=1
	v_ffbh_u32_e32 v23, v23
	v_min_u32_e32 v23, 32, v23
	v_subrev_nc_u32_e32 v26, 28, v23
	v_sub_nc_u32_e32 v34, 29, v23
	v_lshlrev_b64 v[26:27], v26, v[0:1]
	v_and_b32_e32 v23, 7, v26
; %bb.2314:                             ;   in Loop: Header=BB327_1567 Depth=1
	s_or_b32 exec_lo, exec_lo, s20
	v_lshlrev_b32_e32 v0, 8, v0
	v_lshl_add_u32 v26, v34, 10, 0x2000
	v_lshlrev_b32_e32 v23, 7, v23
	v_and_b32_e32 v0, 0x8000, v0
	v_and_b32_e32 v26, 0xfc00, v26
	v_or3_b32 v23, v0, v26, v23
.LBB327_2315:                           ;   in Loop: Header=BB327_1567 Depth=1
	s_or_b32 exec_lo, exec_lo, s18
.LBB327_2316:                           ;   in Loop: Header=BB327_1567 Depth=1
	s_or_b32 exec_lo, exec_lo, s15
.LBB327_2317:                           ;   in Loop: Header=BB327_1567 Depth=1
	s_or_b32 exec_lo, exec_lo, s13
	s_mov_b32 s13, exec_lo
	v_cmpx_lt_u32_e32 0xffffff, v11
	s_cbranch_execz .LBB327_2325
; %bb.2318:                             ;   in Loop: Header=BB327_1567 Depth=1
	v_lshrrev_b32_e32 v0, 24, v11
	v_bfrev_b32_e32 v22, 1
	s_mov_b32 s15, exec_lo
	v_cmpx_ne_u32_e32 0x80, v0
	s_cbranch_execz .LBB327_2324
; %bb.2319:                             ;   in Loop: Header=BB327_1567 Depth=1
	v_and_b32_e32 v35, 0x7f, v0
	v_mov_b32_e32 v22, 0x7c010000
	s_mov_b32 s18, exec_lo
	v_cmpx_ne_u32_e32 0x7f, v35
	s_cbranch_execz .LBB327_2323
; %bb.2320:                             ;   in Loop: Header=BB327_1567 Depth=1
	v_and_b32_e32 v22, 7, v0
	v_lshrrev_b32_e32 v34, 3, v35
	s_mov_b32 s20, exec_lo
	v_cmpx_gt_u32_e32 8, v35
; %bb.2321:                             ;   in Loop: Header=BB327_1567 Depth=1
	v_ffbh_u32_e32 v22, v22
	v_min_u32_e32 v22, 32, v22
	v_subrev_nc_u32_e32 v26, 28, v22
	v_sub_nc_u32_e32 v34, 29, v22
	v_lshlrev_b64 v[26:27], v26, v[0:1]
	v_and_b32_e32 v22, 7, v26
; %bb.2322:                             ;   in Loop: Header=BB327_1567 Depth=1
	s_or_b32 exec_lo, exec_lo, s20
	v_lshlrev_b32_e32 v0, 8, v0
	v_lshl_add_u32 v26, v34, 10, 0x2000
	v_lshlrev_b32_e32 v22, 23, v22
	v_and_or_b32 v0, 0x8000, v0, v26
	v_lshl_or_b32 v22, v0, 16, v22
.LBB327_2323:                           ;   in Loop: Header=BB327_1567 Depth=1
	s_or_b32 exec_lo, exec_lo, s18
.LBB327_2324:                           ;   in Loop: Header=BB327_1567 Depth=1
	s_or_b32 exec_lo, exec_lo, s15
.LBB327_2325:                           ;   in Loop: Header=BB327_1567 Depth=1
	s_or_b32 exec_lo, exec_lo, s13
	v_mov_b32_e32 v0, v12
	v_cmp_ne_u16_sdwa s4, v12, v1 src0_sel:BYTE_0 src1_sel:DWORD
	v_mov_b32_e32 v34, 0
	v_mov_b32_e32 v35, 0
	s_and_saveexec_b32 s13, s4
	s_cbranch_execz .LBB327_2333
; %bb.2326:                             ;   in Loop: Header=BB327_1567 Depth=1
	v_cmp_ne_u16_sdwa s4, v12, v17 src0_sel:BYTE_0 src1_sel:DWORD
	v_mov_b32_e32 v35, 0x8000
	s_and_saveexec_b32 s15, s4
	s_cbranch_execz .LBB327_2332
; %bb.2327:                             ;   in Loop: Header=BB327_1567 Depth=1
	v_and_b32_e32 v57, 0x7f, v12
	v_mov_b32_e32 v35, 0x7c01
	s_mov_b32 s18, exec_lo
	v_cmpx_ne_u32_e32 0x7f, v57
	s_cbranch_execz .LBB327_2331
; %bb.2328:                             ;   in Loop: Header=BB327_1567 Depth=1
	v_and_b32_e32 v35, 7, v12
	v_lshrrev_b32_e32 v37, 3, v57
	s_mov_b32 s20, exec_lo
	v_cmpx_gt_u32_e32 8, v57
; %bb.2329:                             ;   in Loop: Header=BB327_1567 Depth=1
	v_ffbh_u32_e32 v26, v35
	v_min_u32_e32 v35, 32, v26
	v_subrev_nc_u32_e32 v26, 28, v35
	v_sub_nc_u32_e32 v37, 29, v35
	v_lshlrev_b64 v[26:27], v26, v[0:1]
	v_and_b32_e32 v35, 7, v26
; %bb.2330:                             ;   in Loop: Header=BB327_1567 Depth=1
	s_or_b32 exec_lo, exec_lo, s20
	v_lshlrev_b32_e32 v26, 8, v12
	v_lshl_add_u32 v27, v37, 10, 0x2000
	v_lshlrev_b32_e32 v35, 7, v35
	v_and_b32_e32 v26, 0x8000, v26
	v_and_b32_e32 v27, 0xfc00, v27
	v_or3_b32 v35, v26, v27, v35
.LBB327_2331:                           ;   in Loop: Header=BB327_1567 Depth=1
	s_or_b32 exec_lo, exec_lo, s18
.LBB327_2332:                           ;   in Loop: Header=BB327_1567 Depth=1
	s_or_b32 exec_lo, exec_lo, s15
.LBB327_2333:                           ;   in Loop: Header=BB327_1567 Depth=1
	s_or_b32 exec_lo, exec_lo, s13
	v_lshrrev_b16 v0, 8, v0
	v_mov_b32_e32 v37, 0
	s_mov_b32 s13, exec_lo
	v_cmpx_ne_u16_e32 0, v0
	s_cbranch_execz .LBB327_2341
; %bb.2334:                             ;   in Loop: Header=BB327_1567 Depth=1
	v_bfrev_b32_e32 v37, 1
	s_mov_b32 s15, exec_lo
	v_cmpx_ne_u16_e32 0x80, v0
	s_cbranch_execz .LBB327_2340
; %bb.2335:                             ;   in Loop: Header=BB327_1567 Depth=1
	v_and_b32_sdwa v58, v0, v38 dst_sel:DWORD dst_unused:UNUSED_PAD src0_sel:WORD_0 src1_sel:DWORD
	v_mov_b32_e32 v37, 0x7c010000
	s_mov_b32 s18, exec_lo
	v_cmpx_ne_u32_e32 0x7f, v58
	s_cbranch_execz .LBB327_2339
; %bb.2336:                             ;   in Loop: Header=BB327_1567 Depth=1
	v_and_b32_sdwa v37, v0, v39 dst_sel:DWORD dst_unused:UNUSED_PAD src0_sel:WORD_0 src1_sel:DWORD
	v_lshrrev_b32_e32 v57, 3, v58
	s_mov_b32 s20, exec_lo
	v_cmpx_gt_u32_e32 8, v58
; %bb.2337:                             ;   in Loop: Header=BB327_1567 Depth=1
	v_ffbh_u32_e32 v26, v37
	v_min_u32_e32 v37, 32, v26
	v_subrev_nc_u32_e32 v26, 28, v37
	v_sub_nc_u32_e32 v57, 29, v37
	v_lshlrev_b64 v[26:27], v26, v[0:1]
	v_and_b32_e32 v37, 7, v26
; %bb.2338:                             ;   in Loop: Header=BB327_1567 Depth=1
	s_or_b32 exec_lo, exec_lo, s20
	v_lshlrev_b32_sdwa v0, v69, v0 dst_sel:DWORD dst_unused:UNUSED_PAD src0_sel:DWORD src1_sel:WORD_0
	v_lshl_add_u32 v26, v57, 10, 0x2000
	v_and_or_b32 v0, 0x8000, v0, v26
	v_lshlrev_b32_e32 v26, 23, v37
	v_lshl_or_b32 v37, v0, 16, v26
.LBB327_2339:                           ;   in Loop: Header=BB327_1567 Depth=1
	s_or_b32 exec_lo, exec_lo, s18
.LBB327_2340:                           ;   in Loop: Header=BB327_1567 Depth=1
	s_or_b32 exec_lo, exec_lo, s15
.LBB327_2341:                           ;   in Loop: Header=BB327_1567 Depth=1
	s_or_b32 exec_lo, exec_lo, s13
	v_lshrrev_b32_e32 v0, 16, v12
	v_cmp_ne_u16_sdwa s4, v0, v1 src0_sel:BYTE_0 src1_sel:DWORD
	s_and_saveexec_b32 s13, s4
	s_cbranch_execz .LBB327_2349
; %bb.2342:                             ;   in Loop: Header=BB327_1567 Depth=1
	v_cmp_ne_u16_sdwa s4, v0, v17 src0_sel:BYTE_0 src1_sel:DWORD
	v_mov_b32_e32 v34, 0x8000
	s_and_saveexec_b32 s15, s4
	s_cbranch_execz .LBB327_2348
; %bb.2343:                             ;   in Loop: Header=BB327_1567 Depth=1
	v_bfe_u32 v58, v12, 16, 7
	v_mov_b32_e32 v34, 0x7c01
	s_mov_b32 s18, exec_lo
	v_cmpx_ne_u32_e32 0x7f, v58
	s_cbranch_execz .LBB327_2347
; %bb.2344:                             ;   in Loop: Header=BB327_1567 Depth=1
	v_and_b32_e32 v34, 7, v0
	v_lshrrev_b32_e32 v57, 3, v58
	s_mov_b32 s20, exec_lo
	v_cmpx_gt_u32_e32 8, v58
; %bb.2345:                             ;   in Loop: Header=BB327_1567 Depth=1
	v_ffbh_u32_e32 v26, v34
	v_min_u32_e32 v34, 32, v26
	v_subrev_nc_u32_e32 v26, 28, v34
	v_sub_nc_u32_e32 v57, 29, v34
	v_lshlrev_b64 v[26:27], v26, v[0:1]
	v_and_b32_e32 v34, 7, v26
; %bb.2346:                             ;   in Loop: Header=BB327_1567 Depth=1
	s_or_b32 exec_lo, exec_lo, s20
	v_lshlrev_b32_e32 v0, 8, v0
	v_lshl_add_u32 v26, v57, 10, 0x2000
	v_lshlrev_b32_e32 v27, 7, v34
	v_and_b32_e32 v0, 0x8000, v0
	v_and_b32_e32 v26, 0xfc00, v26
	v_or3_b32 v34, v0, v26, v27
.LBB327_2347:                           ;   in Loop: Header=BB327_1567 Depth=1
	s_or_b32 exec_lo, exec_lo, s18
.LBB327_2348:                           ;   in Loop: Header=BB327_1567 Depth=1
	s_or_b32 exec_lo, exec_lo, s15
.LBB327_2349:                           ;   in Loop: Header=BB327_1567 Depth=1
	s_or_b32 exec_lo, exec_lo, s13
	v_cmp_lt_u64_e64 s4, s[8:9], v[11:12]
	v_mov_b32_e32 v11, 0
	s_and_saveexec_b32 s13, s4
	s_cbranch_execz .LBB327_2357
; %bb.2350:                             ;   in Loop: Header=BB327_1567 Depth=1
	v_lshrrev_b32_e32 v0, 24, v12
	v_bfrev_b32_e32 v11, 1
	s_mov_b32 s15, exec_lo
	v_cmpx_ne_u32_e32 0x80, v0
	s_cbranch_execz .LBB327_2356
; %bb.2351:                             ;   in Loop: Header=BB327_1567 Depth=1
	v_and_b32_e32 v57, 0x7f, v0
	v_mov_b32_e32 v11, 0x7c010000
	s_mov_b32 s18, exec_lo
	v_cmpx_ne_u32_e32 0x7f, v57
	s_cbranch_execz .LBB327_2355
; %bb.2352:                             ;   in Loop: Header=BB327_1567 Depth=1
	v_and_b32_e32 v11, 7, v0
	v_lshrrev_b32_e32 v12, 3, v57
	s_mov_b32 s20, exec_lo
	v_cmpx_gt_u32_e32 8, v57
; %bb.2353:                             ;   in Loop: Header=BB327_1567 Depth=1
	v_ffbh_u32_e32 v11, v11
	v_min_u32_e32 v26, 32, v11
	v_subrev_nc_u32_e32 v11, 28, v26
	v_lshlrev_b64 v[11:12], v11, v[0:1]
	v_sub_nc_u32_e32 v12, 29, v26
	v_and_b32_e32 v11, 7, v11
; %bb.2354:                             ;   in Loop: Header=BB327_1567 Depth=1
	s_or_b32 exec_lo, exec_lo, s20
	v_lshlrev_b32_e32 v0, 8, v0
	v_lshl_add_u32 v12, v12, 10, 0x2000
	v_lshlrev_b32_e32 v11, 23, v11
	v_and_or_b32 v0, 0x8000, v0, v12
	v_lshl_or_b32 v11, v0, 16, v11
.LBB327_2355:                           ;   in Loop: Header=BB327_1567 Depth=1
	s_or_b32 exec_lo, exec_lo, s18
.LBB327_2356:                           ;   in Loop: Header=BB327_1567 Depth=1
	s_or_b32 exec_lo, exec_lo, s15
.LBB327_2357:                           ;   in Loop: Header=BB327_1567 Depth=1
	s_or_b32 exec_lo, exec_lo, s13
	v_or_b32_e32 v0, v22, v23
	s_waitcnt vmcnt(0) lgkmcnt(0)
	v_fma_mixlo_f16 v12, v4, v22, 0 op_sel:[0,1,0] op_sel_hi:[0,1,0]
	v_or_b32_e32 v6, v5, v6
	v_fma_mixlo_f16 v5, v4, v5, 0 op_sel:[0,1,0] op_sel_hi:[0,1,0]
	v_or_b32_e32 v22, v37, v35
	v_fma_mixlo_f16 v23, v4, v0, 0 op_sel_hi:[0,1,0]
	v_or_b32_e32 v26, v11, v34
	v_lshlrev_b32_e32 v0, 16, v12
	v_lshlrev_b32_e32 v12, 16, v5
	v_fma_mixlo_f16 v6, v4, v6, 0 op_sel_hi:[0,1,0]
	v_and_b32_e32 v5, 0xffff, v23
	v_fma_mixlo_f16 v23, v4, v37, 0 op_sel:[0,1,0] op_sel_hi:[0,1,0]
	v_fma_mixlo_f16 v22, v4, v22, 0 op_sel_hi:[0,1,0]
	v_fma_mixlo_f16 v11, v4, v11, 0 op_sel:[0,1,0] op_sel_hi:[0,1,0]
	v_fma_mixlo_f16 v26, v4, v26, 0 op_sel_hi:[0,1,0]
	v_and_b32_e32 v57, 0xffff, v6
	v_lshlrev_b32_e32 v6, 16, v23
	v_and_b32_e32 v23, 0xffff, v22
	v_lshlrev_b32_e32 v4, 16, v11
	v_and_b32_e32 v11, 0xffff, v26
	v_or_b32_e32 v22, v0, v5
	v_or_b32_e32 v37, v12, v57
	;; [unrolled: 1-line block ×4, first 2 shown]
	s_and_saveexec_b32 s13, vcc_lo
	s_cbranch_execz .LBB327_2359
; %bb.2358:                             ;   in Loop: Header=BB327_1567 Depth=1
	v_cmp_lt_i32_e64 s4, v71, v36
	v_cndmask_b32_e64 v22, 0, v57, s4
	v_cmp_lt_i32_e64 s4, v100, v36
	v_cndmask_b32_e64 v12, 0, v12, s4
	v_cmp_lt_i32_e64 s4, v99, v36
	v_or_b32_e32 v37, v22, v12
	v_cndmask_b32_e64 v5, 0, v5, s4
	v_cmp_lt_i32_e64 s4, v98, v36
	v_cndmask_b32_e64 v0, 0, v0, s4
	v_cmp_lt_i32_e64 s4, v97, v36
	v_or_b32_e32 v22, v5, v0
	;; [unrolled: 5-line block ×3, first 2 shown]
	v_cndmask_b32_e64 v11, 0, v11, s4
	v_cmp_lt_i32_e64 s4, v86, v36
	v_cndmask_b32_e64 v4, 0, v4, s4
	v_or_b32_e32 v34, v11, v4
.LBB327_2359:                           ;   in Loop: Header=BB327_1567 Depth=1
	s_or_b32 exec_lo, exec_lo, s13
	;;#ASMSTART
	v_pk_mul_f16 v0, v83, v37;

	;;#ASMEND
	;;#ASMSTART
	v_pk_mul_f16 v4, v82, v22;

	;;#ASMEND
	;; [unrolled: 4-line block ×4, first 2 shown]
	;;#ASMSTART
	v_pk_add_f16 v0, v0, v4;

	;;#ASMEND
	;;#ASMSTART
	v_pk_add_f16 v0, v0, v5;

	;;#ASMEND
	;; [unrolled: 4-line block ×3, first 2 shown]
	v_and_b32_e32 v4, 0xffff, v0
	v_lshrrev_b32_e32 v0, 16, v0
	;;#ASMSTART
	v_cvt_f32_f16 v4, v4;
	;;#ASMEND
	;;#ASMSTART
	v_cvt_f32_f16 v5, v0;
	;;#ASMEND
	flat_load_dwordx2 v[11:12], v[9:10] offset:1024
	flat_load_dword v6, v[120:121]
	v_mov_b32_e32 v22, 0
	v_mov_b32_e32 v23, 0
	s_waitcnt vmcnt(1) lgkmcnt(1)
	v_cmp_ne_u16_sdwa s4, v11, v1 src0_sel:BYTE_0 src1_sel:DWORD
	s_and_saveexec_b32 s13, s4
	s_cbranch_execz .LBB327_2367
; %bb.2360:                             ;   in Loop: Header=BB327_1567 Depth=1
	v_cmp_ne_u16_sdwa s4, v11, v17 src0_sel:BYTE_0 src1_sel:DWORD
	v_mov_b32_e32 v23, 0x8000
	s_and_saveexec_b32 s15, s4
	s_cbranch_execz .LBB327_2366
; %bb.2361:                             ;   in Loop: Header=BB327_1567 Depth=1
	v_and_b32_e32 v34, 0x7f, v11
	v_mov_b32_e32 v23, 0x7c01
	s_mov_b32 s18, exec_lo
	v_cmpx_ne_u32_e32 0x7f, v34
	s_cbranch_execz .LBB327_2365
; %bb.2362:                             ;   in Loop: Header=BB327_1567 Depth=1
	v_and_b32_e32 v0, 7, v11
	v_lshrrev_b32_e32 v23, 3, v34
	s_mov_b32 s20, exec_lo
	v_cmpx_gt_u32_e32 8, v34
; %bb.2363:                             ;   in Loop: Header=BB327_1567 Depth=1
	v_ffbh_u32_e32 v0, v0
	v_min_u32_e32 v0, 32, v0
	v_subrev_nc_u32_e32 v23, 28, v0
	v_lshlrev_b64 v[26:27], v23, v[11:12]
	v_sub_nc_u32_e32 v23, 29, v0
	v_and_b32_e32 v0, 7, v26
; %bb.2364:                             ;   in Loop: Header=BB327_1567 Depth=1
	s_or_b32 exec_lo, exec_lo, s20
	v_lshlrev_b32_e32 v26, 8, v11
	v_lshl_add_u32 v23, v23, 10, 0x2000
	v_lshlrev_b32_e32 v0, 7, v0
	v_and_b32_e32 v26, 0x8000, v26
	v_and_b32_e32 v23, 0xfc00, v23
	v_or3_b32 v23, v26, v23, v0
.LBB327_2365:                           ;   in Loop: Header=BB327_1567 Depth=1
	s_or_b32 exec_lo, exec_lo, s18
.LBB327_2366:                           ;   in Loop: Header=BB327_1567 Depth=1
	s_or_b32 exec_lo, exec_lo, s15
.LBB327_2367:                           ;   in Loop: Header=BB327_1567 Depth=1
	s_or_b32 exec_lo, exec_lo, s13
	v_lshrrev_b16 v0, 8, v11
	s_mov_b32 s13, exec_lo
	v_cmpx_ne_u16_e32 0, v0
	s_cbranch_execz .LBB327_2375
; %bb.2368:                             ;   in Loop: Header=BB327_1567 Depth=1
	v_bfrev_b32_e32 v22, 1
	s_mov_b32 s15, exec_lo
	v_cmpx_ne_u16_e32 0x80, v0
	s_cbranch_execz .LBB327_2374
; %bb.2369:                             ;   in Loop: Header=BB327_1567 Depth=1
	v_and_b32_sdwa v35, v0, v38 dst_sel:DWORD dst_unused:UNUSED_PAD src0_sel:WORD_0 src1_sel:DWORD
	v_mov_b32_e32 v22, 0x7c010000
	s_mov_b32 s18, exec_lo
	v_cmpx_ne_u32_e32 0x7f, v35
	s_cbranch_execz .LBB327_2373
; %bb.2370:                             ;   in Loop: Header=BB327_1567 Depth=1
	v_and_b32_sdwa v22, v0, v39 dst_sel:DWORD dst_unused:UNUSED_PAD src0_sel:WORD_0 src1_sel:DWORD
	v_lshrrev_b32_e32 v34, 3, v35
	s_mov_b32 s20, exec_lo
	v_cmpx_gt_u32_e32 8, v35
; %bb.2371:                             ;   in Loop: Header=BB327_1567 Depth=1
	v_ffbh_u32_e32 v22, v22
	v_min_u32_e32 v22, 32, v22
	v_subrev_nc_u32_e32 v26, 28, v22
	v_sub_nc_u32_e32 v34, 29, v22
	v_lshlrev_b64 v[26:27], v26, v[0:1]
	v_and_b32_e32 v22, 7, v26
; %bb.2372:                             ;   in Loop: Header=BB327_1567 Depth=1
	s_or_b32 exec_lo, exec_lo, s20
	v_lshlrev_b32_sdwa v0, v69, v0 dst_sel:DWORD dst_unused:UNUSED_PAD src0_sel:DWORD src1_sel:WORD_0
	v_lshl_add_u32 v26, v34, 10, 0x2000
	v_lshlrev_b32_e32 v22, 23, v22
	v_and_or_b32 v0, 0x8000, v0, v26
	v_lshl_or_b32 v22, v0, 16, v22
.LBB327_2373:                           ;   in Loop: Header=BB327_1567 Depth=1
	s_or_b32 exec_lo, exec_lo, s18
.LBB327_2374:                           ;   in Loop: Header=BB327_1567 Depth=1
	s_or_b32 exec_lo, exec_lo, s15
.LBB327_2375:                           ;   in Loop: Header=BB327_1567 Depth=1
	s_or_b32 exec_lo, exec_lo, s13
	v_lshrrev_b32_e32 v0, 16, v11
	v_mov_b32_e32 v34, 0
	v_mov_b32_e32 v35, 0
	v_cmp_ne_u16_sdwa s4, v0, v1 src0_sel:BYTE_0 src1_sel:DWORD
	s_and_saveexec_b32 s13, s4
	s_cbranch_execz .LBB327_2383
; %bb.2376:                             ;   in Loop: Header=BB327_1567 Depth=1
	v_cmp_ne_u16_sdwa s4, v0, v17 src0_sel:BYTE_0 src1_sel:DWORD
	v_mov_b32_e32 v35, 0x8000
	s_and_saveexec_b32 s15, s4
	s_cbranch_execz .LBB327_2382
; %bb.2377:                             ;   in Loop: Header=BB327_1567 Depth=1
	v_bfe_u32 v57, v11, 16, 7
	v_mov_b32_e32 v35, 0x7c01
	s_mov_b32 s18, exec_lo
	v_cmpx_ne_u32_e32 0x7f, v57
	s_cbranch_execz .LBB327_2381
; %bb.2378:                             ;   in Loop: Header=BB327_1567 Depth=1
	v_and_b32_e32 v35, 7, v0
	v_lshrrev_b32_e32 v37, 3, v57
	s_mov_b32 s20, exec_lo
	v_cmpx_gt_u32_e32 8, v57
; %bb.2379:                             ;   in Loop: Header=BB327_1567 Depth=1
	v_ffbh_u32_e32 v26, v35
	v_min_u32_e32 v35, 32, v26
	v_subrev_nc_u32_e32 v26, 28, v35
	v_sub_nc_u32_e32 v37, 29, v35
	v_lshlrev_b64 v[26:27], v26, v[0:1]
	v_and_b32_e32 v35, 7, v26
; %bb.2380:                             ;   in Loop: Header=BB327_1567 Depth=1
	s_or_b32 exec_lo, exec_lo, s20
	v_lshlrev_b32_e32 v0, 8, v0
	v_lshl_add_u32 v26, v37, 10, 0x2000
	v_lshlrev_b32_e32 v27, 7, v35
	v_and_b32_e32 v0, 0x8000, v0
	v_and_b32_e32 v26, 0xfc00, v26
	v_or3_b32 v35, v0, v26, v27
.LBB327_2381:                           ;   in Loop: Header=BB327_1567 Depth=1
	s_or_b32 exec_lo, exec_lo, s18
.LBB327_2382:                           ;   in Loop: Header=BB327_1567 Depth=1
	s_or_b32 exec_lo, exec_lo, s15
.LBB327_2383:                           ;   in Loop: Header=BB327_1567 Depth=1
	s_or_b32 exec_lo, exec_lo, s13
	s_mov_b32 s13, exec_lo
	v_cmpx_lt_u32_e32 0xffffff, v11
	s_cbranch_execz .LBB327_2391
; %bb.2384:                             ;   in Loop: Header=BB327_1567 Depth=1
	v_lshrrev_b32_e32 v0, 24, v11
	v_bfrev_b32_e32 v34, 1
	s_mov_b32 s15, exec_lo
	v_cmpx_ne_u32_e32 0x80, v0
	s_cbranch_execz .LBB327_2390
; %bb.2385:                             ;   in Loop: Header=BB327_1567 Depth=1
	v_and_b32_e32 v57, 0x7f, v0
	v_mov_b32_e32 v34, 0x7c010000
	s_mov_b32 s18, exec_lo
	v_cmpx_ne_u32_e32 0x7f, v57
	s_cbranch_execz .LBB327_2389
; %bb.2386:                             ;   in Loop: Header=BB327_1567 Depth=1
	v_and_b32_e32 v34, 7, v0
	v_lshrrev_b32_e32 v37, 3, v57
	s_mov_b32 s20, exec_lo
	v_cmpx_gt_u32_e32 8, v57
; %bb.2387:                             ;   in Loop: Header=BB327_1567 Depth=1
	v_ffbh_u32_e32 v26, v34
	v_min_u32_e32 v34, 32, v26
	v_subrev_nc_u32_e32 v26, 28, v34
	v_sub_nc_u32_e32 v37, 29, v34
	v_lshlrev_b64 v[26:27], v26, v[0:1]
	v_and_b32_e32 v34, 7, v26
; %bb.2388:                             ;   in Loop: Header=BB327_1567 Depth=1
	s_or_b32 exec_lo, exec_lo, s20
	v_lshlrev_b32_e32 v0, 8, v0
	v_lshl_add_u32 v26, v37, 10, 0x2000
	v_and_or_b32 v0, 0x8000, v0, v26
	v_lshlrev_b32_e32 v26, 23, v34
	v_lshl_or_b32 v34, v0, 16, v26
.LBB327_2389:                           ;   in Loop: Header=BB327_1567 Depth=1
	s_or_b32 exec_lo, exec_lo, s18
.LBB327_2390:                           ;   in Loop: Header=BB327_1567 Depth=1
	s_or_b32 exec_lo, exec_lo, s15
.LBB327_2391:                           ;   in Loop: Header=BB327_1567 Depth=1
	s_or_b32 exec_lo, exec_lo, s13
	v_mov_b32_e32 v0, v12
	v_cmp_ne_u16_sdwa s4, v12, v1 src0_sel:BYTE_0 src1_sel:DWORD
	v_mov_b32_e32 v37, 0
	v_mov_b32_e32 v57, 0
	s_and_saveexec_b32 s13, s4
	s_cbranch_execz .LBB327_2399
; %bb.2392:                             ;   in Loop: Header=BB327_1567 Depth=1
	v_cmp_ne_u16_sdwa s4, v12, v17 src0_sel:BYTE_0 src1_sel:DWORD
	v_mov_b32_e32 v57, 0x8000
	s_and_saveexec_b32 s15, s4
	s_cbranch_execz .LBB327_2398
; %bb.2393:                             ;   in Loop: Header=BB327_1567 Depth=1
	v_and_b32_e32 v59, 0x7f, v12
	v_mov_b32_e32 v57, 0x7c01
	s_mov_b32 s18, exec_lo
	v_cmpx_ne_u32_e32 0x7f, v59
	s_cbranch_execz .LBB327_2397
; %bb.2394:                             ;   in Loop: Header=BB327_1567 Depth=1
	v_and_b32_e32 v57, 7, v12
	v_lshrrev_b32_e32 v58, 3, v59
	s_mov_b32 s20, exec_lo
	v_cmpx_gt_u32_e32 8, v59
; %bb.2395:                             ;   in Loop: Header=BB327_1567 Depth=1
	v_ffbh_u32_e32 v26, v57
	v_min_u32_e32 v57, 32, v26
	v_subrev_nc_u32_e32 v26, 28, v57
	v_sub_nc_u32_e32 v58, 29, v57
	v_lshlrev_b64 v[26:27], v26, v[0:1]
	v_and_b32_e32 v57, 7, v26
; %bb.2396:                             ;   in Loop: Header=BB327_1567 Depth=1
	s_or_b32 exec_lo, exec_lo, s20
	v_lshlrev_b32_e32 v26, 8, v12
	v_lshl_add_u32 v27, v58, 10, 0x2000
	v_lshlrev_b32_e32 v57, 7, v57
	v_and_b32_e32 v26, 0x8000, v26
	v_and_b32_e32 v27, 0xfc00, v27
	v_or3_b32 v57, v26, v27, v57
.LBB327_2397:                           ;   in Loop: Header=BB327_1567 Depth=1
	s_or_b32 exec_lo, exec_lo, s18
.LBB327_2398:                           ;   in Loop: Header=BB327_1567 Depth=1
	s_or_b32 exec_lo, exec_lo, s15
.LBB327_2399:                           ;   in Loop: Header=BB327_1567 Depth=1
	s_or_b32 exec_lo, exec_lo, s13
	v_lshrrev_b16 v0, 8, v0
	v_mov_b32_e32 v58, 0
	s_mov_b32 s13, exec_lo
	v_cmpx_ne_u16_e32 0, v0
	s_cbranch_execz .LBB327_2407
; %bb.2400:                             ;   in Loop: Header=BB327_1567 Depth=1
	v_bfrev_b32_e32 v58, 1
	s_mov_b32 s15, exec_lo
	v_cmpx_ne_u16_e32 0x80, v0
	s_cbranch_execz .LBB327_2406
; %bb.2401:                             ;   in Loop: Header=BB327_1567 Depth=1
	v_and_b32_sdwa v60, v0, v38 dst_sel:DWORD dst_unused:UNUSED_PAD src0_sel:WORD_0 src1_sel:DWORD
	v_mov_b32_e32 v58, 0x7c010000
	s_mov_b32 s18, exec_lo
	v_cmpx_ne_u32_e32 0x7f, v60
	s_cbranch_execz .LBB327_2405
; %bb.2402:                             ;   in Loop: Header=BB327_1567 Depth=1
	v_and_b32_sdwa v58, v0, v39 dst_sel:DWORD dst_unused:UNUSED_PAD src0_sel:WORD_0 src1_sel:DWORD
	v_lshrrev_b32_e32 v59, 3, v60
	s_mov_b32 s20, exec_lo
	v_cmpx_gt_u32_e32 8, v60
; %bb.2403:                             ;   in Loop: Header=BB327_1567 Depth=1
	v_ffbh_u32_e32 v26, v58
	v_min_u32_e32 v58, 32, v26
	v_subrev_nc_u32_e32 v26, 28, v58
	v_sub_nc_u32_e32 v59, 29, v58
	v_lshlrev_b64 v[26:27], v26, v[0:1]
	v_and_b32_e32 v58, 7, v26
; %bb.2404:                             ;   in Loop: Header=BB327_1567 Depth=1
	s_or_b32 exec_lo, exec_lo, s20
	v_lshlrev_b32_sdwa v0, v69, v0 dst_sel:DWORD dst_unused:UNUSED_PAD src0_sel:DWORD src1_sel:WORD_0
	v_lshl_add_u32 v26, v59, 10, 0x2000
	v_and_or_b32 v0, 0x8000, v0, v26
	v_lshlrev_b32_e32 v26, 23, v58
	v_lshl_or_b32 v58, v0, 16, v26
.LBB327_2405:                           ;   in Loop: Header=BB327_1567 Depth=1
	s_or_b32 exec_lo, exec_lo, s18
.LBB327_2406:                           ;   in Loop: Header=BB327_1567 Depth=1
	s_or_b32 exec_lo, exec_lo, s15
.LBB327_2407:                           ;   in Loop: Header=BB327_1567 Depth=1
	s_or_b32 exec_lo, exec_lo, s13
	v_lshrrev_b32_e32 v0, 16, v12
	v_cmp_ne_u16_sdwa s4, v0, v1 src0_sel:BYTE_0 src1_sel:DWORD
	s_and_saveexec_b32 s13, s4
	s_cbranch_execz .LBB327_2415
; %bb.2408:                             ;   in Loop: Header=BB327_1567 Depth=1
	v_cmp_ne_u16_sdwa s4, v0, v17 src0_sel:BYTE_0 src1_sel:DWORD
	v_mov_b32_e32 v37, 0x8000
	s_and_saveexec_b32 s15, s4
	s_cbranch_execz .LBB327_2414
; %bb.2409:                             ;   in Loop: Header=BB327_1567 Depth=1
	v_bfe_u32 v60, v12, 16, 7
	v_mov_b32_e32 v37, 0x7c01
	s_mov_b32 s18, exec_lo
	v_cmpx_ne_u32_e32 0x7f, v60
	s_cbranch_execz .LBB327_2413
; %bb.2410:                             ;   in Loop: Header=BB327_1567 Depth=1
	v_and_b32_e32 v37, 7, v0
	v_lshrrev_b32_e32 v59, 3, v60
	s_mov_b32 s20, exec_lo
	v_cmpx_gt_u32_e32 8, v60
; %bb.2411:                             ;   in Loop: Header=BB327_1567 Depth=1
	v_ffbh_u32_e32 v26, v37
	v_min_u32_e32 v37, 32, v26
	v_subrev_nc_u32_e32 v26, 28, v37
	v_sub_nc_u32_e32 v59, 29, v37
	v_lshlrev_b64 v[26:27], v26, v[0:1]
	v_and_b32_e32 v37, 7, v26
; %bb.2412:                             ;   in Loop: Header=BB327_1567 Depth=1
	s_or_b32 exec_lo, exec_lo, s20
	v_lshlrev_b32_e32 v0, 8, v0
	v_lshl_add_u32 v26, v59, 10, 0x2000
	v_lshlrev_b32_e32 v27, 7, v37
	v_and_b32_e32 v0, 0x8000, v0
	v_and_b32_e32 v26, 0xfc00, v26
	v_or3_b32 v37, v0, v26, v27
.LBB327_2413:                           ;   in Loop: Header=BB327_1567 Depth=1
	s_or_b32 exec_lo, exec_lo, s18
.LBB327_2414:                           ;   in Loop: Header=BB327_1567 Depth=1
	s_or_b32 exec_lo, exec_lo, s15
.LBB327_2415:                           ;   in Loop: Header=BB327_1567 Depth=1
	s_or_b32 exec_lo, exec_lo, s13
	v_cmp_lt_u64_e64 s4, s[8:9], v[11:12]
	v_mov_b32_e32 v11, 0
	s_and_saveexec_b32 s13, s4
	s_cbranch_execz .LBB327_2423
; %bb.2416:                             ;   in Loop: Header=BB327_1567 Depth=1
	v_lshrrev_b32_e32 v0, 24, v12
	v_bfrev_b32_e32 v11, 1
	s_mov_b32 s15, exec_lo
	v_cmpx_ne_u32_e32 0x80, v0
	s_cbranch_execz .LBB327_2422
; %bb.2417:                             ;   in Loop: Header=BB327_1567 Depth=1
	v_and_b32_e32 v59, 0x7f, v0
	v_mov_b32_e32 v11, 0x7c010000
	s_mov_b32 s18, exec_lo
	v_cmpx_ne_u32_e32 0x7f, v59
	s_cbranch_execz .LBB327_2421
; %bb.2418:                             ;   in Loop: Header=BB327_1567 Depth=1
	v_and_b32_e32 v11, 7, v0
	v_lshrrev_b32_e32 v12, 3, v59
	s_mov_b32 s20, exec_lo
	v_cmpx_gt_u32_e32 8, v59
; %bb.2419:                             ;   in Loop: Header=BB327_1567 Depth=1
	v_ffbh_u32_e32 v11, v11
	v_min_u32_e32 v26, 32, v11
	v_subrev_nc_u32_e32 v11, 28, v26
	v_lshlrev_b64 v[11:12], v11, v[0:1]
	v_sub_nc_u32_e32 v12, 29, v26
	v_and_b32_e32 v11, 7, v11
; %bb.2420:                             ;   in Loop: Header=BB327_1567 Depth=1
	s_or_b32 exec_lo, exec_lo, s20
	v_lshlrev_b32_e32 v0, 8, v0
	v_lshl_add_u32 v12, v12, 10, 0x2000
	v_lshlrev_b32_e32 v11, 23, v11
	v_and_or_b32 v0, 0x8000, v0, v12
	v_lshl_or_b32 v11, v0, 16, v11
.LBB327_2421:                           ;   in Loop: Header=BB327_1567 Depth=1
	s_or_b32 exec_lo, exec_lo, s18
.LBB327_2422:                           ;   in Loop: Header=BB327_1567 Depth=1
	s_or_b32 exec_lo, exec_lo, s15
.LBB327_2423:                           ;   in Loop: Header=BB327_1567 Depth=1
	s_or_b32 exec_lo, exec_lo, s13
	v_or_b32_e32 v0, v34, v35
	s_waitcnt vmcnt(0) lgkmcnt(0)
	v_fma_mixlo_f16 v12, v6, v34, 0 op_sel:[0,1,0] op_sel_hi:[0,1,0]
	v_or_b32_e32 v26, v22, v23
	v_fma_mixlo_f16 v22, v6, v22, 0 op_sel:[0,1,0] op_sel_hi:[0,1,0]
	v_or_b32_e32 v27, v58, v57
	v_fma_mixlo_f16 v34, v6, v0, 0 op_sel_hi:[0,1,0]
	v_or_b32_e32 v35, v11, v37
	v_lshlrev_b32_e32 v0, 16, v12
	v_lshlrev_b32_e32 v23, 16, v22
	v_fma_mixlo_f16 v22, v6, v26, 0 op_sel_hi:[0,1,0]
	v_and_b32_e32 v12, 0xffff, v34
	v_fma_mixlo_f16 v26, v6, v58, 0 op_sel:[0,1,0] op_sel_hi:[0,1,0]
	v_fma_mixlo_f16 v27, v6, v27, 0 op_sel_hi:[0,1,0]
	v_fma_mixlo_f16 v34, v6, v11, 0 op_sel:[0,1,0] op_sel_hi:[0,1,0]
	v_fma_mixlo_f16 v37, v6, v35, 0 op_sel_hi:[0,1,0]
	v_and_b32_e32 v59, 0xffff, v22
	v_lshlrev_b32_e32 v11, 16, v26
	v_and_b32_e32 v35, 0xffff, v27
	v_lshlrev_b32_e32 v6, 16, v34
	v_and_b32_e32 v22, 0xffff, v37
	v_or_b32_e32 v34, v0, v12
	v_or_b32_e32 v58, v23, v59
	;; [unrolled: 1-line block ×4, first 2 shown]
	s_and_saveexec_b32 s13, vcc_lo
	s_cbranch_execz .LBB327_2425
; %bb.2424:                             ;   in Loop: Header=BB327_1567 Depth=1
	v_cmp_lt_i32_e64 s4, v71, v36
	v_cndmask_b32_e64 v26, 0, v59, s4
	v_cmp_lt_i32_e64 s4, v100, v36
	v_cndmask_b32_e64 v23, 0, v23, s4
	v_cmp_lt_i32_e64 s4, v99, v36
	v_or_b32_e32 v58, v26, v23
	v_cndmask_b32_e64 v12, 0, v12, s4
	v_cmp_lt_i32_e64 s4, v98, v36
	v_cndmask_b32_e64 v0, 0, v0, s4
	v_cmp_lt_i32_e64 s4, v97, v36
	v_or_b32_e32 v34, v12, v0
	;; [unrolled: 5-line block ×3, first 2 shown]
	v_cndmask_b32_e64 v22, 0, v22, s4
	v_cmp_lt_i32_e64 s4, v86, v36
	v_cndmask_b32_e64 v6, 0, v6, s4
	v_or_b32_e32 v37, v22, v6
.LBB327_2425:                           ;   in Loop: Header=BB327_1567 Depth=1
	s_or_b32 exec_lo, exec_lo, s13
	;;#ASMSTART
	v_pk_mul_f16 v0, v83, v58;

	;;#ASMEND
	;;#ASMSTART
	v_pk_mul_f16 v6, v82, v34;

	;;#ASMEND
	;; [unrolled: 4-line block ×4, first 2 shown]
	;;#ASMSTART
	v_pk_add_f16 v0, v0, v6;

	;;#ASMEND
	;;#ASMSTART
	v_pk_add_f16 v0, v0, v11;

	;;#ASMEND
	;; [unrolled: 4-line block ×3, first 2 shown]
	v_and_b32_e32 v6, 0xffff, v0
	v_lshrrev_b32_e32 v0, 16, v0
	;;#ASMSTART
	v_cvt_f32_f16 v22, v6;
	;;#ASMEND
	;;#ASMSTART
	v_cvt_f32_f16 v23, v0;
	;;#ASMEND
	flat_load_dwordx2 v[11:12], v[9:10] offset:1280
	flat_load_dword v6, v[120:121]
	v_mov_b32_e32 v34, 0
	v_mov_b32_e32 v35, 0
	s_waitcnt vmcnt(1) lgkmcnt(1)
	v_cmp_ne_u16_sdwa s4, v11, v1 src0_sel:BYTE_0 src1_sel:DWORD
	s_and_saveexec_b32 s13, s4
	s_cbranch_execz .LBB327_2433
; %bb.2426:                             ;   in Loop: Header=BB327_1567 Depth=1
	v_cmp_ne_u16_sdwa s4, v11, v17 src0_sel:BYTE_0 src1_sel:DWORD
	v_mov_b32_e32 v35, 0x8000
	s_and_saveexec_b32 s15, s4
	s_cbranch_execz .LBB327_2432
; %bb.2427:                             ;   in Loop: Header=BB327_1567 Depth=1
	v_and_b32_e32 v37, 0x7f, v11
	v_mov_b32_e32 v35, 0x7c01
	s_mov_b32 s18, exec_lo
	v_cmpx_ne_u32_e32 0x7f, v37
	s_cbranch_execz .LBB327_2431
; %bb.2428:                             ;   in Loop: Header=BB327_1567 Depth=1
	v_and_b32_e32 v0, 7, v11
	v_lshrrev_b32_e32 v35, 3, v37
	s_mov_b32 s20, exec_lo
	v_cmpx_gt_u32_e32 8, v37
; %bb.2429:                             ;   in Loop: Header=BB327_1567 Depth=1
	v_ffbh_u32_e32 v0, v0
	v_min_u32_e32 v0, 32, v0
	v_subrev_nc_u32_e32 v26, 28, v0
	v_sub_nc_u32_e32 v35, 29, v0
	v_lshlrev_b64 v[26:27], v26, v[11:12]
	v_and_b32_e32 v0, 7, v26
; %bb.2430:                             ;   in Loop: Header=BB327_1567 Depth=1
	s_or_b32 exec_lo, exec_lo, s20
	v_lshlrev_b32_e32 v26, 8, v11
	v_lshl_add_u32 v27, v35, 10, 0x2000
	v_lshlrev_b32_e32 v0, 7, v0
	v_and_b32_e32 v26, 0x8000, v26
	v_and_b32_e32 v27, 0xfc00, v27
	v_or3_b32 v35, v26, v27, v0
.LBB327_2431:                           ;   in Loop: Header=BB327_1567 Depth=1
	s_or_b32 exec_lo, exec_lo, s18
.LBB327_2432:                           ;   in Loop: Header=BB327_1567 Depth=1
	s_or_b32 exec_lo, exec_lo, s15
.LBB327_2433:                           ;   in Loop: Header=BB327_1567 Depth=1
	s_or_b32 exec_lo, exec_lo, s13
	v_lshrrev_b16 v0, 8, v11
	s_mov_b32 s13, exec_lo
	v_cmpx_ne_u16_e32 0, v0
	s_cbranch_execz .LBB327_2441
; %bb.2434:                             ;   in Loop: Header=BB327_1567 Depth=1
	v_bfrev_b32_e32 v34, 1
	s_mov_b32 s15, exec_lo
	v_cmpx_ne_u16_e32 0x80, v0
	s_cbranch_execz .LBB327_2440
; %bb.2435:                             ;   in Loop: Header=BB327_1567 Depth=1
	v_and_b32_sdwa v57, v0, v38 dst_sel:DWORD dst_unused:UNUSED_PAD src0_sel:WORD_0 src1_sel:DWORD
	v_mov_b32_e32 v34, 0x7c010000
	s_mov_b32 s18, exec_lo
	v_cmpx_ne_u32_e32 0x7f, v57
	s_cbranch_execz .LBB327_2439
; %bb.2436:                             ;   in Loop: Header=BB327_1567 Depth=1
	v_and_b32_sdwa v34, v0, v39 dst_sel:DWORD dst_unused:UNUSED_PAD src0_sel:WORD_0 src1_sel:DWORD
	v_lshrrev_b32_e32 v37, 3, v57
	s_mov_b32 s20, exec_lo
	v_cmpx_gt_u32_e32 8, v57
; %bb.2437:                             ;   in Loop: Header=BB327_1567 Depth=1
	v_ffbh_u32_e32 v26, v34
	v_min_u32_e32 v34, 32, v26
	v_subrev_nc_u32_e32 v26, 28, v34
	v_sub_nc_u32_e32 v37, 29, v34
	v_lshlrev_b64 v[26:27], v26, v[0:1]
	v_and_b32_e32 v34, 7, v26
; %bb.2438:                             ;   in Loop: Header=BB327_1567 Depth=1
	s_or_b32 exec_lo, exec_lo, s20
	v_lshlrev_b32_sdwa v0, v69, v0 dst_sel:DWORD dst_unused:UNUSED_PAD src0_sel:DWORD src1_sel:WORD_0
	v_lshl_add_u32 v26, v37, 10, 0x2000
	v_and_or_b32 v0, 0x8000, v0, v26
	v_lshlrev_b32_e32 v26, 23, v34
	v_lshl_or_b32 v34, v0, 16, v26
.LBB327_2439:                           ;   in Loop: Header=BB327_1567 Depth=1
	s_or_b32 exec_lo, exec_lo, s18
.LBB327_2440:                           ;   in Loop: Header=BB327_1567 Depth=1
	s_or_b32 exec_lo, exec_lo, s15
.LBB327_2441:                           ;   in Loop: Header=BB327_1567 Depth=1
	s_or_b32 exec_lo, exec_lo, s13
	v_lshrrev_b32_e32 v0, 16, v11
	v_mov_b32_e32 v37, 0
	v_mov_b32_e32 v57, 0
	v_cmp_ne_u16_sdwa s4, v0, v1 src0_sel:BYTE_0 src1_sel:DWORD
	s_and_saveexec_b32 s13, s4
	s_cbranch_execz .LBB327_2449
; %bb.2442:                             ;   in Loop: Header=BB327_1567 Depth=1
	v_cmp_ne_u16_sdwa s4, v0, v17 src0_sel:BYTE_0 src1_sel:DWORD
	v_mov_b32_e32 v57, 0x8000
	s_and_saveexec_b32 s15, s4
	s_cbranch_execz .LBB327_2448
; %bb.2443:                             ;   in Loop: Header=BB327_1567 Depth=1
	v_bfe_u32 v59, v11, 16, 7
	v_mov_b32_e32 v57, 0x7c01
	s_mov_b32 s18, exec_lo
	v_cmpx_ne_u32_e32 0x7f, v59
	s_cbranch_execz .LBB327_2447
; %bb.2444:                             ;   in Loop: Header=BB327_1567 Depth=1
	v_and_b32_e32 v57, 7, v0
	v_lshrrev_b32_e32 v58, 3, v59
	s_mov_b32 s20, exec_lo
	v_cmpx_gt_u32_e32 8, v59
; %bb.2445:                             ;   in Loop: Header=BB327_1567 Depth=1
	v_ffbh_u32_e32 v26, v57
	v_min_u32_e32 v57, 32, v26
	v_subrev_nc_u32_e32 v26, 28, v57
	v_sub_nc_u32_e32 v58, 29, v57
	v_lshlrev_b64 v[26:27], v26, v[0:1]
	v_and_b32_e32 v57, 7, v26
; %bb.2446:                             ;   in Loop: Header=BB327_1567 Depth=1
	s_or_b32 exec_lo, exec_lo, s20
	v_lshlrev_b32_e32 v0, 8, v0
	v_lshl_add_u32 v26, v58, 10, 0x2000
	v_lshlrev_b32_e32 v27, 7, v57
	v_and_b32_e32 v0, 0x8000, v0
	v_and_b32_e32 v26, 0xfc00, v26
	v_or3_b32 v57, v0, v26, v27
.LBB327_2447:                           ;   in Loop: Header=BB327_1567 Depth=1
	s_or_b32 exec_lo, exec_lo, s18
.LBB327_2448:                           ;   in Loop: Header=BB327_1567 Depth=1
	s_or_b32 exec_lo, exec_lo, s15
.LBB327_2449:                           ;   in Loop: Header=BB327_1567 Depth=1
	s_or_b32 exec_lo, exec_lo, s13
	s_mov_b32 s13, exec_lo
	v_cmpx_lt_u32_e32 0xffffff, v11
	s_cbranch_execz .LBB327_2457
; %bb.2450:                             ;   in Loop: Header=BB327_1567 Depth=1
	v_lshrrev_b32_e32 v0, 24, v11
	v_bfrev_b32_e32 v37, 1
	s_mov_b32 s15, exec_lo
	v_cmpx_ne_u32_e32 0x80, v0
	s_cbranch_execz .LBB327_2456
; %bb.2451:                             ;   in Loop: Header=BB327_1567 Depth=1
	v_and_b32_e32 v59, 0x7f, v0
	v_mov_b32_e32 v37, 0x7c010000
	s_mov_b32 s18, exec_lo
	v_cmpx_ne_u32_e32 0x7f, v59
	s_cbranch_execz .LBB327_2455
; %bb.2452:                             ;   in Loop: Header=BB327_1567 Depth=1
	v_and_b32_e32 v37, 7, v0
	v_lshrrev_b32_e32 v58, 3, v59
	s_mov_b32 s20, exec_lo
	v_cmpx_gt_u32_e32 8, v59
; %bb.2453:                             ;   in Loop: Header=BB327_1567 Depth=1
	v_ffbh_u32_e32 v26, v37
	v_min_u32_e32 v37, 32, v26
	v_subrev_nc_u32_e32 v26, 28, v37
	v_sub_nc_u32_e32 v58, 29, v37
	v_lshlrev_b64 v[26:27], v26, v[0:1]
	v_and_b32_e32 v37, 7, v26
; %bb.2454:                             ;   in Loop: Header=BB327_1567 Depth=1
	s_or_b32 exec_lo, exec_lo, s20
	v_lshlrev_b32_e32 v0, 8, v0
	v_lshl_add_u32 v26, v58, 10, 0x2000
	v_and_or_b32 v0, 0x8000, v0, v26
	v_lshlrev_b32_e32 v26, 23, v37
	v_lshl_or_b32 v37, v0, 16, v26
.LBB327_2455:                           ;   in Loop: Header=BB327_1567 Depth=1
	s_or_b32 exec_lo, exec_lo, s18
.LBB327_2456:                           ;   in Loop: Header=BB327_1567 Depth=1
	s_or_b32 exec_lo, exec_lo, s15
.LBB327_2457:                           ;   in Loop: Header=BB327_1567 Depth=1
	s_or_b32 exec_lo, exec_lo, s13
	v_mov_b32_e32 v0, v12
	v_cmp_ne_u16_sdwa s4, v12, v1 src0_sel:BYTE_0 src1_sel:DWORD
	v_mov_b32_e32 v58, 0
	v_mov_b32_e32 v59, 0
	s_and_saveexec_b32 s13, s4
	s_cbranch_execz .LBB327_2465
; %bb.2458:                             ;   in Loop: Header=BB327_1567 Depth=1
	v_cmp_ne_u16_sdwa s4, v12, v17 src0_sel:BYTE_0 src1_sel:DWORD
	v_mov_b32_e32 v59, 0x8000
	s_and_saveexec_b32 s15, s4
	s_cbranch_execz .LBB327_2464
; %bb.2459:                             ;   in Loop: Header=BB327_1567 Depth=1
	v_and_b32_e32 v61, 0x7f, v12
	v_mov_b32_e32 v59, 0x7c01
	s_mov_b32 s18, exec_lo
	v_cmpx_ne_u32_e32 0x7f, v61
	s_cbranch_execz .LBB327_2463
; %bb.2460:                             ;   in Loop: Header=BB327_1567 Depth=1
	v_and_b32_e32 v59, 7, v12
	v_lshrrev_b32_e32 v60, 3, v61
	s_mov_b32 s20, exec_lo
	v_cmpx_gt_u32_e32 8, v61
; %bb.2461:                             ;   in Loop: Header=BB327_1567 Depth=1
	v_ffbh_u32_e32 v26, v59
	v_min_u32_e32 v59, 32, v26
	v_subrev_nc_u32_e32 v26, 28, v59
	v_sub_nc_u32_e32 v60, 29, v59
	v_lshlrev_b64 v[26:27], v26, v[0:1]
	v_and_b32_e32 v59, 7, v26
; %bb.2462:                             ;   in Loop: Header=BB327_1567 Depth=1
	s_or_b32 exec_lo, exec_lo, s20
	v_lshlrev_b32_e32 v26, 8, v12
	v_lshl_add_u32 v27, v60, 10, 0x2000
	v_lshlrev_b32_e32 v59, 7, v59
	v_and_b32_e32 v26, 0x8000, v26
	v_and_b32_e32 v27, 0xfc00, v27
	v_or3_b32 v59, v26, v27, v59
.LBB327_2463:                           ;   in Loop: Header=BB327_1567 Depth=1
	s_or_b32 exec_lo, exec_lo, s18
.LBB327_2464:                           ;   in Loop: Header=BB327_1567 Depth=1
	s_or_b32 exec_lo, exec_lo, s15
.LBB327_2465:                           ;   in Loop: Header=BB327_1567 Depth=1
	s_or_b32 exec_lo, exec_lo, s13
	v_lshrrev_b16 v0, 8, v0
	v_mov_b32_e32 v60, 0
	s_mov_b32 s13, exec_lo
	v_cmpx_ne_u16_e32 0, v0
	s_cbranch_execz .LBB327_2473
; %bb.2466:                             ;   in Loop: Header=BB327_1567 Depth=1
	v_bfrev_b32_e32 v60, 1
	s_mov_b32 s15, exec_lo
	v_cmpx_ne_u16_e32 0x80, v0
	s_cbranch_execz .LBB327_2472
; %bb.2467:                             ;   in Loop: Header=BB327_1567 Depth=1
	v_and_b32_sdwa v62, v0, v38 dst_sel:DWORD dst_unused:UNUSED_PAD src0_sel:WORD_0 src1_sel:DWORD
	v_mov_b32_e32 v60, 0x7c010000
	s_mov_b32 s18, exec_lo
	v_cmpx_ne_u32_e32 0x7f, v62
	s_cbranch_execz .LBB327_2471
; %bb.2468:                             ;   in Loop: Header=BB327_1567 Depth=1
	v_and_b32_sdwa v60, v0, v39 dst_sel:DWORD dst_unused:UNUSED_PAD src0_sel:WORD_0 src1_sel:DWORD
	v_lshrrev_b32_e32 v61, 3, v62
	s_mov_b32 s20, exec_lo
	v_cmpx_gt_u32_e32 8, v62
; %bb.2469:                             ;   in Loop: Header=BB327_1567 Depth=1
	v_ffbh_u32_e32 v26, v60
	v_min_u32_e32 v60, 32, v26
	v_subrev_nc_u32_e32 v26, 28, v60
	v_sub_nc_u32_e32 v61, 29, v60
	v_lshlrev_b64 v[26:27], v26, v[0:1]
	v_and_b32_e32 v60, 7, v26
; %bb.2470:                             ;   in Loop: Header=BB327_1567 Depth=1
	s_or_b32 exec_lo, exec_lo, s20
	v_lshlrev_b32_sdwa v0, v69, v0 dst_sel:DWORD dst_unused:UNUSED_PAD src0_sel:DWORD src1_sel:WORD_0
	v_lshl_add_u32 v26, v61, 10, 0x2000
	v_and_or_b32 v0, 0x8000, v0, v26
	v_lshlrev_b32_e32 v26, 23, v60
	v_lshl_or_b32 v60, v0, 16, v26
.LBB327_2471:                           ;   in Loop: Header=BB327_1567 Depth=1
	s_or_b32 exec_lo, exec_lo, s18
.LBB327_2472:                           ;   in Loop: Header=BB327_1567 Depth=1
	s_or_b32 exec_lo, exec_lo, s15
.LBB327_2473:                           ;   in Loop: Header=BB327_1567 Depth=1
	s_or_b32 exec_lo, exec_lo, s13
	v_lshrrev_b32_e32 v0, 16, v12
	v_cmp_ne_u16_sdwa s4, v0, v1 src0_sel:BYTE_0 src1_sel:DWORD
	s_and_saveexec_b32 s13, s4
	s_cbranch_execz .LBB327_2481
; %bb.2474:                             ;   in Loop: Header=BB327_1567 Depth=1
	v_cmp_ne_u16_sdwa s4, v0, v17 src0_sel:BYTE_0 src1_sel:DWORD
	v_mov_b32_e32 v58, 0x8000
	s_and_saveexec_b32 s15, s4
	s_cbranch_execz .LBB327_2480
; %bb.2475:                             ;   in Loop: Header=BB327_1567 Depth=1
	v_bfe_u32 v62, v12, 16, 7
	v_mov_b32_e32 v58, 0x7c01
	s_mov_b32 s18, exec_lo
	v_cmpx_ne_u32_e32 0x7f, v62
	s_cbranch_execz .LBB327_2479
; %bb.2476:                             ;   in Loop: Header=BB327_1567 Depth=1
	v_and_b32_e32 v58, 7, v0
	v_lshrrev_b32_e32 v61, 3, v62
	s_mov_b32 s20, exec_lo
	v_cmpx_gt_u32_e32 8, v62
; %bb.2477:                             ;   in Loop: Header=BB327_1567 Depth=1
	v_ffbh_u32_e32 v26, v58
	v_min_u32_e32 v58, 32, v26
	v_subrev_nc_u32_e32 v26, 28, v58
	v_sub_nc_u32_e32 v61, 29, v58
	v_lshlrev_b64 v[26:27], v26, v[0:1]
	v_and_b32_e32 v58, 7, v26
; %bb.2478:                             ;   in Loop: Header=BB327_1567 Depth=1
	s_or_b32 exec_lo, exec_lo, s20
	v_lshlrev_b32_e32 v0, 8, v0
	v_lshl_add_u32 v26, v61, 10, 0x2000
	v_lshlrev_b32_e32 v27, 7, v58
	v_and_b32_e32 v0, 0x8000, v0
	v_and_b32_e32 v26, 0xfc00, v26
	v_or3_b32 v58, v0, v26, v27
.LBB327_2479:                           ;   in Loop: Header=BB327_1567 Depth=1
	s_or_b32 exec_lo, exec_lo, s18
.LBB327_2480:                           ;   in Loop: Header=BB327_1567 Depth=1
	s_or_b32 exec_lo, exec_lo, s15
.LBB327_2481:                           ;   in Loop: Header=BB327_1567 Depth=1
	s_or_b32 exec_lo, exec_lo, s13
	v_cmp_lt_u64_e64 s4, s[8:9], v[11:12]
	v_mov_b32_e32 v11, 0
	s_and_saveexec_b32 s13, s4
	s_cbranch_execz .LBB327_2489
; %bb.2482:                             ;   in Loop: Header=BB327_1567 Depth=1
	v_lshrrev_b32_e32 v0, 24, v12
	v_bfrev_b32_e32 v11, 1
	s_mov_b32 s15, exec_lo
	v_cmpx_ne_u32_e32 0x80, v0
	s_cbranch_execz .LBB327_2488
; %bb.2483:                             ;   in Loop: Header=BB327_1567 Depth=1
	v_and_b32_e32 v61, 0x7f, v0
	v_mov_b32_e32 v11, 0x7c010000
	s_mov_b32 s18, exec_lo
	v_cmpx_ne_u32_e32 0x7f, v61
	s_cbranch_execz .LBB327_2487
; %bb.2484:                             ;   in Loop: Header=BB327_1567 Depth=1
	v_and_b32_e32 v11, 7, v0
	v_lshrrev_b32_e32 v12, 3, v61
	s_mov_b32 s20, exec_lo
	v_cmpx_gt_u32_e32 8, v61
; %bb.2485:                             ;   in Loop: Header=BB327_1567 Depth=1
	v_ffbh_u32_e32 v11, v11
	v_min_u32_e32 v26, 32, v11
	v_subrev_nc_u32_e32 v11, 28, v26
	v_lshlrev_b64 v[11:12], v11, v[0:1]
	v_sub_nc_u32_e32 v12, 29, v26
	v_and_b32_e32 v11, 7, v11
; %bb.2486:                             ;   in Loop: Header=BB327_1567 Depth=1
	s_or_b32 exec_lo, exec_lo, s20
	v_lshlrev_b32_e32 v0, 8, v0
	v_lshl_add_u32 v12, v12, 10, 0x2000
	v_lshlrev_b32_e32 v11, 23, v11
	v_and_or_b32 v0, 0x8000, v0, v12
	v_lshl_or_b32 v11, v0, 16, v11
.LBB327_2487:                           ;   in Loop: Header=BB327_1567 Depth=1
	s_or_b32 exec_lo, exec_lo, s18
.LBB327_2488:                           ;   in Loop: Header=BB327_1567 Depth=1
	s_or_b32 exec_lo, exec_lo, s15
.LBB327_2489:                           ;   in Loop: Header=BB327_1567 Depth=1
	s_or_b32 exec_lo, exec_lo, s13
	v_or_b32_e32 v0, v37, v57
	s_waitcnt vmcnt(0) lgkmcnt(0)
	v_fma_mixlo_f16 v12, v6, v37, 0 op_sel:[0,1,0] op_sel_hi:[0,1,0]
	v_or_b32_e32 v26, v34, v35
	v_fma_mixlo_f16 v27, v6, v34, 0 op_sel:[0,1,0] op_sel_hi:[0,1,0]
	v_or_b32_e32 v34, v60, v59
	v_fma_mixlo_f16 v37, v6, v0, 0 op_sel_hi:[0,1,0]
	v_or_b32_e32 v57, v11, v58
	v_lshlrev_b32_e32 v0, 16, v12
	v_lshlrev_b32_e32 v35, 16, v27
	v_fma_mixlo_f16 v26, v6, v26, 0 op_sel_hi:[0,1,0]
	v_and_b32_e32 v12, 0xffff, v37
	v_fma_mixlo_f16 v27, v6, v60, 0 op_sel:[0,1,0] op_sel_hi:[0,1,0]
	v_fma_mixlo_f16 v34, v6, v34, 0 op_sel_hi:[0,1,0]
	v_fma_mixlo_f16 v37, v6, v11, 0 op_sel:[0,1,0] op_sel_hi:[0,1,0]
	v_fma_mixlo_f16 v58, v6, v57, 0 op_sel_hi:[0,1,0]
	v_and_b32_e32 v61, 0xffff, v26
	v_lshlrev_b32_e32 v11, 16, v27
	v_and_b32_e32 v57, 0xffff, v34
	v_lshlrev_b32_e32 v6, 16, v37
	v_and_b32_e32 v34, 0xffff, v58
	v_or_b32_e32 v37, v0, v12
	v_or_b32_e32 v60, v35, v61
	;; [unrolled: 1-line block ×4, first 2 shown]
	s_and_saveexec_b32 s13, vcc_lo
	s_cbranch_execz .LBB327_2491
; %bb.2490:                             ;   in Loop: Header=BB327_1567 Depth=1
	v_cmp_lt_i32_e64 s4, v71, v36
	v_cndmask_b32_e64 v26, 0, v61, s4
	v_cmp_lt_i32_e64 s4, v100, v36
	v_cndmask_b32_e64 v27, 0, v35, s4
	v_cmp_lt_i32_e64 s4, v99, v36
	v_or_b32_e32 v60, v26, v27
	v_cndmask_b32_e64 v12, 0, v12, s4
	v_cmp_lt_i32_e64 s4, v98, v36
	v_cndmask_b32_e64 v0, 0, v0, s4
	v_cmp_lt_i32_e64 s4, v97, v36
	v_or_b32_e32 v37, v12, v0
	;; [unrolled: 5-line block ×3, first 2 shown]
	v_cndmask_b32_e64 v34, 0, v34, s4
	v_cmp_lt_i32_e64 s4, v86, v36
	v_cndmask_b32_e64 v6, 0, v6, s4
	v_or_b32_e32 v58, v34, v6
.LBB327_2491:                           ;   in Loop: Header=BB327_1567 Depth=1
	s_or_b32 exec_lo, exec_lo, s13
	;;#ASMSTART
	v_pk_mul_f16 v0, v83, v60;

	;;#ASMEND
	;;#ASMSTART
	v_pk_mul_f16 v6, v82, v37;

	;;#ASMEND
	;; [unrolled: 4-line block ×4, first 2 shown]
	;;#ASMSTART
	v_pk_add_f16 v0, v0, v6;

	;;#ASMEND
	;;#ASMSTART
	v_pk_add_f16 v0, v0, v11;

	;;#ASMEND
	;; [unrolled: 4-line block ×3, first 2 shown]
	v_and_b32_e32 v6, 0xffff, v0
	v_lshrrev_b32_e32 v0, 16, v0
	;;#ASMSTART
	v_cvt_f32_f16 v34, v6;
	;;#ASMEND
	;;#ASMSTART
	v_cvt_f32_f16 v35, v0;
	;;#ASMEND
	flat_load_dwordx2 v[11:12], v[9:10] offset:1536
	flat_load_dword v6, v[120:121]
	v_mov_b32_e32 v37, 0
	v_mov_b32_e32 v57, 0
	s_waitcnt vmcnt(1) lgkmcnt(1)
	v_cmp_ne_u16_sdwa s4, v11, v1 src0_sel:BYTE_0 src1_sel:DWORD
	s_and_saveexec_b32 s13, s4
	s_cbranch_execz .LBB327_2499
; %bb.2492:                             ;   in Loop: Header=BB327_1567 Depth=1
	v_cmp_ne_u16_sdwa s4, v11, v17 src0_sel:BYTE_0 src1_sel:DWORD
	v_mov_b32_e32 v57, 0x8000
	s_and_saveexec_b32 s15, s4
	s_cbranch_execz .LBB327_2498
; %bb.2493:                             ;   in Loop: Header=BB327_1567 Depth=1
	v_and_b32_e32 v58, 0x7f, v11
	v_mov_b32_e32 v57, 0x7c01
	s_mov_b32 s18, exec_lo
	v_cmpx_ne_u32_e32 0x7f, v58
	s_cbranch_execz .LBB327_2497
; %bb.2494:                             ;   in Loop: Header=BB327_1567 Depth=1
	v_and_b32_e32 v0, 7, v11
	v_lshrrev_b32_e32 v57, 3, v58
	s_mov_b32 s20, exec_lo
	v_cmpx_gt_u32_e32 8, v58
; %bb.2495:                             ;   in Loop: Header=BB327_1567 Depth=1
	v_ffbh_u32_e32 v0, v0
	v_min_u32_e32 v0, 32, v0
	v_subrev_nc_u32_e32 v26, 28, v0
	v_sub_nc_u32_e32 v57, 29, v0
	v_lshlrev_b64 v[26:27], v26, v[11:12]
	v_and_b32_e32 v0, 7, v26
; %bb.2496:                             ;   in Loop: Header=BB327_1567 Depth=1
	s_or_b32 exec_lo, exec_lo, s20
	v_lshlrev_b32_e32 v26, 8, v11
	v_lshl_add_u32 v27, v57, 10, 0x2000
	v_lshlrev_b32_e32 v0, 7, v0
	v_and_b32_e32 v26, 0x8000, v26
	v_and_b32_e32 v27, 0xfc00, v27
	v_or3_b32 v57, v26, v27, v0
.LBB327_2497:                           ;   in Loop: Header=BB327_1567 Depth=1
	s_or_b32 exec_lo, exec_lo, s18
.LBB327_2498:                           ;   in Loop: Header=BB327_1567 Depth=1
	s_or_b32 exec_lo, exec_lo, s15
.LBB327_2499:                           ;   in Loop: Header=BB327_1567 Depth=1
	s_or_b32 exec_lo, exec_lo, s13
	v_lshrrev_b16 v0, 8, v11
	s_mov_b32 s13, exec_lo
	v_cmpx_ne_u16_e32 0, v0
	s_cbranch_execz .LBB327_2507
; %bb.2500:                             ;   in Loop: Header=BB327_1567 Depth=1
	v_bfrev_b32_e32 v37, 1
	s_mov_b32 s15, exec_lo
	v_cmpx_ne_u16_e32 0x80, v0
	s_cbranch_execz .LBB327_2506
; %bb.2501:                             ;   in Loop: Header=BB327_1567 Depth=1
	v_and_b32_sdwa v59, v0, v38 dst_sel:DWORD dst_unused:UNUSED_PAD src0_sel:WORD_0 src1_sel:DWORD
	v_mov_b32_e32 v37, 0x7c010000
	s_mov_b32 s18, exec_lo
	v_cmpx_ne_u32_e32 0x7f, v59
	s_cbranch_execz .LBB327_2505
; %bb.2502:                             ;   in Loop: Header=BB327_1567 Depth=1
	v_and_b32_sdwa v37, v0, v39 dst_sel:DWORD dst_unused:UNUSED_PAD src0_sel:WORD_0 src1_sel:DWORD
	v_lshrrev_b32_e32 v58, 3, v59
	s_mov_b32 s20, exec_lo
	v_cmpx_gt_u32_e32 8, v59
; %bb.2503:                             ;   in Loop: Header=BB327_1567 Depth=1
	v_ffbh_u32_e32 v26, v37
	v_min_u32_e32 v37, 32, v26
	v_subrev_nc_u32_e32 v26, 28, v37
	v_sub_nc_u32_e32 v58, 29, v37
	v_lshlrev_b64 v[26:27], v26, v[0:1]
	v_and_b32_e32 v37, 7, v26
; %bb.2504:                             ;   in Loop: Header=BB327_1567 Depth=1
	s_or_b32 exec_lo, exec_lo, s20
	v_lshlrev_b32_sdwa v0, v69, v0 dst_sel:DWORD dst_unused:UNUSED_PAD src0_sel:DWORD src1_sel:WORD_0
	v_lshl_add_u32 v26, v58, 10, 0x2000
	v_and_or_b32 v0, 0x8000, v0, v26
	v_lshlrev_b32_e32 v26, 23, v37
	v_lshl_or_b32 v37, v0, 16, v26
.LBB327_2505:                           ;   in Loop: Header=BB327_1567 Depth=1
	s_or_b32 exec_lo, exec_lo, s18
.LBB327_2506:                           ;   in Loop: Header=BB327_1567 Depth=1
	s_or_b32 exec_lo, exec_lo, s15
.LBB327_2507:                           ;   in Loop: Header=BB327_1567 Depth=1
	s_or_b32 exec_lo, exec_lo, s13
	v_lshrrev_b32_e32 v0, 16, v11
	v_mov_b32_e32 v58, 0
	v_mov_b32_e32 v59, 0
	v_cmp_ne_u16_sdwa s4, v0, v1 src0_sel:BYTE_0 src1_sel:DWORD
	s_and_saveexec_b32 s13, s4
	s_cbranch_execz .LBB327_2515
; %bb.2508:                             ;   in Loop: Header=BB327_1567 Depth=1
	v_cmp_ne_u16_sdwa s4, v0, v17 src0_sel:BYTE_0 src1_sel:DWORD
	v_mov_b32_e32 v59, 0x8000
	s_and_saveexec_b32 s15, s4
	s_cbranch_execz .LBB327_2514
; %bb.2509:                             ;   in Loop: Header=BB327_1567 Depth=1
	v_bfe_u32 v61, v11, 16, 7
	v_mov_b32_e32 v59, 0x7c01
	s_mov_b32 s18, exec_lo
	v_cmpx_ne_u32_e32 0x7f, v61
	s_cbranch_execz .LBB327_2513
; %bb.2510:                             ;   in Loop: Header=BB327_1567 Depth=1
	v_and_b32_e32 v59, 7, v0
	v_lshrrev_b32_e32 v60, 3, v61
	s_mov_b32 s20, exec_lo
	v_cmpx_gt_u32_e32 8, v61
; %bb.2511:                             ;   in Loop: Header=BB327_1567 Depth=1
	v_ffbh_u32_e32 v26, v59
	v_min_u32_e32 v59, 32, v26
	v_subrev_nc_u32_e32 v26, 28, v59
	v_sub_nc_u32_e32 v60, 29, v59
	v_lshlrev_b64 v[26:27], v26, v[0:1]
	v_and_b32_e32 v59, 7, v26
; %bb.2512:                             ;   in Loop: Header=BB327_1567 Depth=1
	s_or_b32 exec_lo, exec_lo, s20
	v_lshlrev_b32_e32 v0, 8, v0
	v_lshl_add_u32 v26, v60, 10, 0x2000
	v_lshlrev_b32_e32 v27, 7, v59
	v_and_b32_e32 v0, 0x8000, v0
	v_and_b32_e32 v26, 0xfc00, v26
	v_or3_b32 v59, v0, v26, v27
.LBB327_2513:                           ;   in Loop: Header=BB327_1567 Depth=1
	s_or_b32 exec_lo, exec_lo, s18
.LBB327_2514:                           ;   in Loop: Header=BB327_1567 Depth=1
	s_or_b32 exec_lo, exec_lo, s15
.LBB327_2515:                           ;   in Loop: Header=BB327_1567 Depth=1
	s_or_b32 exec_lo, exec_lo, s13
	s_mov_b32 s13, exec_lo
	v_cmpx_lt_u32_e32 0xffffff, v11
	s_cbranch_execz .LBB327_2523
; %bb.2516:                             ;   in Loop: Header=BB327_1567 Depth=1
	v_lshrrev_b32_e32 v0, 24, v11
	v_bfrev_b32_e32 v58, 1
	s_mov_b32 s15, exec_lo
	v_cmpx_ne_u32_e32 0x80, v0
	s_cbranch_execz .LBB327_2522
; %bb.2517:                             ;   in Loop: Header=BB327_1567 Depth=1
	v_and_b32_e32 v61, 0x7f, v0
	v_mov_b32_e32 v58, 0x7c010000
	s_mov_b32 s18, exec_lo
	v_cmpx_ne_u32_e32 0x7f, v61
	s_cbranch_execz .LBB327_2521
; %bb.2518:                             ;   in Loop: Header=BB327_1567 Depth=1
	v_and_b32_e32 v58, 7, v0
	v_lshrrev_b32_e32 v60, 3, v61
	s_mov_b32 s20, exec_lo
	v_cmpx_gt_u32_e32 8, v61
; %bb.2519:                             ;   in Loop: Header=BB327_1567 Depth=1
	v_ffbh_u32_e32 v26, v58
	v_min_u32_e32 v58, 32, v26
	v_subrev_nc_u32_e32 v26, 28, v58
	v_sub_nc_u32_e32 v60, 29, v58
	v_lshlrev_b64 v[26:27], v26, v[0:1]
	v_and_b32_e32 v58, 7, v26
; %bb.2520:                             ;   in Loop: Header=BB327_1567 Depth=1
	s_or_b32 exec_lo, exec_lo, s20
	v_lshlrev_b32_e32 v0, 8, v0
	v_lshl_add_u32 v26, v60, 10, 0x2000
	v_and_or_b32 v0, 0x8000, v0, v26
	v_lshlrev_b32_e32 v26, 23, v58
	v_lshl_or_b32 v58, v0, 16, v26
.LBB327_2521:                           ;   in Loop: Header=BB327_1567 Depth=1
	s_or_b32 exec_lo, exec_lo, s18
.LBB327_2522:                           ;   in Loop: Header=BB327_1567 Depth=1
	s_or_b32 exec_lo, exec_lo, s15
.LBB327_2523:                           ;   in Loop: Header=BB327_1567 Depth=1
	s_or_b32 exec_lo, exec_lo, s13
	v_mov_b32_e32 v0, v12
	v_cmp_ne_u16_sdwa s4, v12, v1 src0_sel:BYTE_0 src1_sel:DWORD
	v_mov_b32_e32 v60, 0
	v_mov_b32_e32 v61, 0
	s_and_saveexec_b32 s13, s4
	s_cbranch_execz .LBB327_2531
; %bb.2524:                             ;   in Loop: Header=BB327_1567 Depth=1
	v_cmp_ne_u16_sdwa s4, v12, v17 src0_sel:BYTE_0 src1_sel:DWORD
	v_mov_b32_e32 v61, 0x8000
	s_and_saveexec_b32 s15, s4
	s_cbranch_execz .LBB327_2530
; %bb.2525:                             ;   in Loop: Header=BB327_1567 Depth=1
	v_and_b32_e32 v63, 0x7f, v12
	v_mov_b32_e32 v61, 0x7c01
	s_mov_b32 s18, exec_lo
	v_cmpx_ne_u32_e32 0x7f, v63
	s_cbranch_execz .LBB327_2529
; %bb.2526:                             ;   in Loop: Header=BB327_1567 Depth=1
	v_and_b32_e32 v61, 7, v12
	v_lshrrev_b32_e32 v62, 3, v63
	s_mov_b32 s20, exec_lo
	v_cmpx_gt_u32_e32 8, v63
; %bb.2527:                             ;   in Loop: Header=BB327_1567 Depth=1
	v_ffbh_u32_e32 v26, v61
	v_min_u32_e32 v61, 32, v26
	v_subrev_nc_u32_e32 v26, 28, v61
	v_sub_nc_u32_e32 v62, 29, v61
	v_lshlrev_b64 v[26:27], v26, v[0:1]
	v_and_b32_e32 v61, 7, v26
; %bb.2528:                             ;   in Loop: Header=BB327_1567 Depth=1
	s_or_b32 exec_lo, exec_lo, s20
	v_lshlrev_b32_e32 v26, 8, v12
	v_lshl_add_u32 v27, v62, 10, 0x2000
	v_lshlrev_b32_e32 v61, 7, v61
	v_and_b32_e32 v26, 0x8000, v26
	v_and_b32_e32 v27, 0xfc00, v27
	v_or3_b32 v61, v26, v27, v61
.LBB327_2529:                           ;   in Loop: Header=BB327_1567 Depth=1
	s_or_b32 exec_lo, exec_lo, s18
.LBB327_2530:                           ;   in Loop: Header=BB327_1567 Depth=1
	s_or_b32 exec_lo, exec_lo, s15
.LBB327_2531:                           ;   in Loop: Header=BB327_1567 Depth=1
	s_or_b32 exec_lo, exec_lo, s13
	v_lshrrev_b16 v0, 8, v0
	v_mov_b32_e32 v62, 0
	s_mov_b32 s13, exec_lo
	v_cmpx_ne_u16_e32 0, v0
	s_cbranch_execz .LBB327_2539
; %bb.2532:                             ;   in Loop: Header=BB327_1567 Depth=1
	v_bfrev_b32_e32 v62, 1
	s_mov_b32 s15, exec_lo
	v_cmpx_ne_u16_e32 0x80, v0
	s_cbranch_execz .LBB327_2538
; %bb.2533:                             ;   in Loop: Header=BB327_1567 Depth=1
	v_and_b32_sdwa v72, v0, v38 dst_sel:DWORD dst_unused:UNUSED_PAD src0_sel:WORD_0 src1_sel:DWORD
	v_mov_b32_e32 v62, 0x7c010000
	s_mov_b32 s18, exec_lo
	v_cmpx_ne_u32_e32 0x7f, v72
	s_cbranch_execz .LBB327_2537
; %bb.2534:                             ;   in Loop: Header=BB327_1567 Depth=1
	v_and_b32_sdwa v62, v0, v39 dst_sel:DWORD dst_unused:UNUSED_PAD src0_sel:WORD_0 src1_sel:DWORD
	v_lshrrev_b32_e32 v63, 3, v72
	s_mov_b32 s20, exec_lo
	v_cmpx_gt_u32_e32 8, v72
; %bb.2535:                             ;   in Loop: Header=BB327_1567 Depth=1
	v_ffbh_u32_e32 v26, v62
	v_min_u32_e32 v62, 32, v26
	v_subrev_nc_u32_e32 v26, 28, v62
	v_sub_nc_u32_e32 v63, 29, v62
	v_lshlrev_b64 v[26:27], v26, v[0:1]
	v_and_b32_e32 v62, 7, v26
; %bb.2536:                             ;   in Loop: Header=BB327_1567 Depth=1
	s_or_b32 exec_lo, exec_lo, s20
	v_lshlrev_b32_sdwa v0, v69, v0 dst_sel:DWORD dst_unused:UNUSED_PAD src0_sel:DWORD src1_sel:WORD_0
	v_lshl_add_u32 v26, v63, 10, 0x2000
	v_and_or_b32 v0, 0x8000, v0, v26
	v_lshlrev_b32_e32 v26, 23, v62
	v_lshl_or_b32 v62, v0, 16, v26
.LBB327_2537:                           ;   in Loop: Header=BB327_1567 Depth=1
	s_or_b32 exec_lo, exec_lo, s18
.LBB327_2538:                           ;   in Loop: Header=BB327_1567 Depth=1
	s_or_b32 exec_lo, exec_lo, s15
.LBB327_2539:                           ;   in Loop: Header=BB327_1567 Depth=1
	s_or_b32 exec_lo, exec_lo, s13
	v_lshrrev_b32_e32 v0, 16, v12
	v_cmp_ne_u16_sdwa s4, v0, v1 src0_sel:BYTE_0 src1_sel:DWORD
	s_and_saveexec_b32 s13, s4
	s_cbranch_execz .LBB327_2547
; %bb.2540:                             ;   in Loop: Header=BB327_1567 Depth=1
	v_cmp_ne_u16_sdwa s4, v0, v17 src0_sel:BYTE_0 src1_sel:DWORD
	v_mov_b32_e32 v60, 0x8000
	s_and_saveexec_b32 s15, s4
	s_cbranch_execz .LBB327_2546
; %bb.2541:                             ;   in Loop: Header=BB327_1567 Depth=1
	v_bfe_u32 v72, v12, 16, 7
	v_mov_b32_e32 v60, 0x7c01
	s_mov_b32 s18, exec_lo
	v_cmpx_ne_u32_e32 0x7f, v72
	s_cbranch_execz .LBB327_2545
; %bb.2542:                             ;   in Loop: Header=BB327_1567 Depth=1
	v_and_b32_e32 v60, 7, v0
	v_lshrrev_b32_e32 v63, 3, v72
	s_mov_b32 s20, exec_lo
	v_cmpx_gt_u32_e32 8, v72
; %bb.2543:                             ;   in Loop: Header=BB327_1567 Depth=1
	v_ffbh_u32_e32 v26, v60
	v_min_u32_e32 v60, 32, v26
	v_subrev_nc_u32_e32 v26, 28, v60
	v_sub_nc_u32_e32 v63, 29, v60
	v_lshlrev_b64 v[26:27], v26, v[0:1]
	v_and_b32_e32 v60, 7, v26
; %bb.2544:                             ;   in Loop: Header=BB327_1567 Depth=1
	s_or_b32 exec_lo, exec_lo, s20
	v_lshlrev_b32_e32 v0, 8, v0
	v_lshl_add_u32 v26, v63, 10, 0x2000
	v_lshlrev_b32_e32 v27, 7, v60
	v_and_b32_e32 v0, 0x8000, v0
	v_and_b32_e32 v26, 0xfc00, v26
	v_or3_b32 v60, v0, v26, v27
.LBB327_2545:                           ;   in Loop: Header=BB327_1567 Depth=1
	s_or_b32 exec_lo, exec_lo, s18
.LBB327_2546:                           ;   in Loop: Header=BB327_1567 Depth=1
	s_or_b32 exec_lo, exec_lo, s15
.LBB327_2547:                           ;   in Loop: Header=BB327_1567 Depth=1
	s_or_b32 exec_lo, exec_lo, s13
	v_cmp_lt_u64_e64 s4, s[8:9], v[11:12]
	v_mov_b32_e32 v11, 0
	s_and_saveexec_b32 s13, s4
	s_cbranch_execz .LBB327_2555
; %bb.2548:                             ;   in Loop: Header=BB327_1567 Depth=1
	v_lshrrev_b32_e32 v0, 24, v12
	v_bfrev_b32_e32 v11, 1
	s_mov_b32 s15, exec_lo
	v_cmpx_ne_u32_e32 0x80, v0
	s_cbranch_execz .LBB327_2554
; %bb.2549:                             ;   in Loop: Header=BB327_1567 Depth=1
	v_and_b32_e32 v63, 0x7f, v0
	v_mov_b32_e32 v11, 0x7c010000
	s_mov_b32 s18, exec_lo
	v_cmpx_ne_u32_e32 0x7f, v63
	s_cbranch_execz .LBB327_2553
; %bb.2550:                             ;   in Loop: Header=BB327_1567 Depth=1
	v_and_b32_e32 v11, 7, v0
	v_lshrrev_b32_e32 v12, 3, v63
	s_mov_b32 s20, exec_lo
	v_cmpx_gt_u32_e32 8, v63
; %bb.2551:                             ;   in Loop: Header=BB327_1567 Depth=1
	v_ffbh_u32_e32 v11, v11
	v_min_u32_e32 v26, 32, v11
	v_subrev_nc_u32_e32 v11, 28, v26
	v_lshlrev_b64 v[11:12], v11, v[0:1]
	v_sub_nc_u32_e32 v12, 29, v26
	v_and_b32_e32 v11, 7, v11
; %bb.2552:                             ;   in Loop: Header=BB327_1567 Depth=1
	s_or_b32 exec_lo, exec_lo, s20
	v_lshlrev_b32_e32 v0, 8, v0
	v_lshl_add_u32 v12, v12, 10, 0x2000
	v_lshlrev_b32_e32 v11, 23, v11
	v_and_or_b32 v0, 0x8000, v0, v12
	v_lshl_or_b32 v11, v0, 16, v11
.LBB327_2553:                           ;   in Loop: Header=BB327_1567 Depth=1
	s_or_b32 exec_lo, exec_lo, s18
.LBB327_2554:                           ;   in Loop: Header=BB327_1567 Depth=1
	s_or_b32 exec_lo, exec_lo, s15
.LBB327_2555:                           ;   in Loop: Header=BB327_1567 Depth=1
	s_or_b32 exec_lo, exec_lo, s13
	v_or_b32_e32 v0, v58, v59
	s_waitcnt vmcnt(0) lgkmcnt(0)
	v_fma_mixlo_f16 v12, v6, v58, 0 op_sel:[0,1,0] op_sel_hi:[0,1,0]
	v_or_b32_e32 v26, v37, v57
	v_fma_mixlo_f16 v27, v6, v37, 0 op_sel:[0,1,0] op_sel_hi:[0,1,0]
	v_or_b32_e32 v37, v62, v61
	v_fma_mixlo_f16 v58, v6, v0, 0 op_sel_hi:[0,1,0]
	v_or_b32_e32 v59, v11, v60
	v_lshlrev_b32_e32 v0, 16, v12
	v_lshlrev_b32_e32 v57, 16, v27
	v_fma_mixlo_f16 v26, v6, v26, 0 op_sel_hi:[0,1,0]
	v_and_b32_e32 v12, 0xffff, v58
	v_fma_mixlo_f16 v27, v6, v62, 0 op_sel:[0,1,0] op_sel_hi:[0,1,0]
	v_fma_mixlo_f16 v37, v6, v37, 0 op_sel_hi:[0,1,0]
	v_fma_mixlo_f16 v58, v6, v11, 0 op_sel:[0,1,0] op_sel_hi:[0,1,0]
	v_fma_mixlo_f16 v60, v6, v59, 0 op_sel_hi:[0,1,0]
	v_and_b32_e32 v63, 0xffff, v26
	v_lshlrev_b32_e32 v11, 16, v27
	v_and_b32_e32 v59, 0xffff, v37
	v_lshlrev_b32_e32 v6, 16, v58
	v_and_b32_e32 v37, 0xffff, v60
	v_or_b32_e32 v58, v0, v12
	v_or_b32_e32 v62, v57, v63
	;; [unrolled: 1-line block ×4, first 2 shown]
	s_and_saveexec_b32 s13, vcc_lo
	s_cbranch_execz .LBB327_2557
; %bb.2556:                             ;   in Loop: Header=BB327_1567 Depth=1
	v_cmp_lt_i32_e64 s4, v71, v36
	v_cndmask_b32_e64 v26, 0, v63, s4
	v_cmp_lt_i32_e64 s4, v100, v36
	v_cndmask_b32_e64 v27, 0, v57, s4
	v_cmp_lt_i32_e64 s4, v99, v36
	v_or_b32_e32 v62, v26, v27
	v_cndmask_b32_e64 v12, 0, v12, s4
	v_cmp_lt_i32_e64 s4, v98, v36
	v_cndmask_b32_e64 v0, 0, v0, s4
	v_cmp_lt_i32_e64 s4, v97, v36
	v_or_b32_e32 v58, v12, v0
	;; [unrolled: 5-line block ×3, first 2 shown]
	v_cndmask_b32_e64 v37, 0, v37, s4
	v_cmp_lt_i32_e64 s4, v86, v36
	v_cndmask_b32_e64 v6, 0, v6, s4
	v_or_b32_e32 v60, v37, v6
.LBB327_2557:                           ;   in Loop: Header=BB327_1567 Depth=1
	s_or_b32 exec_lo, exec_lo, s13
	;;#ASMSTART
	v_pk_mul_f16 v0, v83, v62;

	;;#ASMEND
	;;#ASMSTART
	v_pk_mul_f16 v6, v82, v58;

	;;#ASMEND
	;; [unrolled: 4-line block ×4, first 2 shown]
	;;#ASMSTART
	v_pk_add_f16 v0, v0, v6;

	;;#ASMEND
	;;#ASMSTART
	v_pk_add_f16 v0, v0, v11;

	;;#ASMEND
	;;#ASMSTART
	v_pk_add_f16 v0, v0, v12;

	;;#ASMEND
	v_and_b32_e32 v6, 0xffff, v0
	v_lshrrev_b32_e32 v0, 16, v0
	;;#ASMSTART
	v_cvt_f32_f16 v11, v6;
	;;#ASMEND
	;;#ASMSTART
	v_cvt_f32_f16 v12, v0;
	;;#ASMEND
	flat_load_dwordx2 v[9:10], v[9:10] offset:1792
	flat_load_dword v6, v[120:121]
	v_mov_b32_e32 v37, 0
	v_mov_b32_e32 v57, 0
	s_waitcnt vmcnt(1) lgkmcnt(1)
	v_cmp_ne_u16_sdwa s4, v9, v1 src0_sel:BYTE_0 src1_sel:DWORD
	s_and_saveexec_b32 s13, s4
	s_cbranch_execz .LBB327_2565
; %bb.2558:                             ;   in Loop: Header=BB327_1567 Depth=1
	v_cmp_ne_u16_sdwa s4, v9, v17 src0_sel:BYTE_0 src1_sel:DWORD
	v_mov_b32_e32 v57, 0x8000
	s_and_saveexec_b32 s15, s4
	s_cbranch_execz .LBB327_2564
; %bb.2559:                             ;   in Loop: Header=BB327_1567 Depth=1
	v_and_b32_e32 v58, 0x7f, v9
	v_mov_b32_e32 v57, 0x7c01
	s_mov_b32 s18, exec_lo
	v_cmpx_ne_u32_e32 0x7f, v58
	s_cbranch_execz .LBB327_2563
; %bb.2560:                             ;   in Loop: Header=BB327_1567 Depth=1
	v_and_b32_e32 v0, 7, v9
	v_lshrrev_b32_e32 v57, 3, v58
	s_mov_b32 s20, exec_lo
	v_cmpx_gt_u32_e32 8, v58
; %bb.2561:                             ;   in Loop: Header=BB327_1567 Depth=1
	v_ffbh_u32_e32 v0, v0
	v_min_u32_e32 v0, 32, v0
	v_subrev_nc_u32_e32 v26, 28, v0
	v_sub_nc_u32_e32 v57, 29, v0
	v_lshlrev_b64 v[26:27], v26, v[9:10]
	v_and_b32_e32 v0, 7, v26
; %bb.2562:                             ;   in Loop: Header=BB327_1567 Depth=1
	s_or_b32 exec_lo, exec_lo, s20
	v_lshlrev_b32_e32 v26, 8, v9
	v_lshl_add_u32 v27, v57, 10, 0x2000
	v_lshlrev_b32_e32 v0, 7, v0
	v_and_b32_e32 v26, 0x8000, v26
	v_and_b32_e32 v27, 0xfc00, v27
	v_or3_b32 v57, v26, v27, v0
.LBB327_2563:                           ;   in Loop: Header=BB327_1567 Depth=1
	s_or_b32 exec_lo, exec_lo, s18
.LBB327_2564:                           ;   in Loop: Header=BB327_1567 Depth=1
	s_or_b32 exec_lo, exec_lo, s15
.LBB327_2565:                           ;   in Loop: Header=BB327_1567 Depth=1
	s_or_b32 exec_lo, exec_lo, s13
	v_lshrrev_b16 v0, 8, v9
	s_mov_b32 s13, exec_lo
	v_cmpx_ne_u16_e32 0, v0
	s_cbranch_execz .LBB327_2573
; %bb.2566:                             ;   in Loop: Header=BB327_1567 Depth=1
	v_bfrev_b32_e32 v37, 1
	s_mov_b32 s15, exec_lo
	v_cmpx_ne_u16_e32 0x80, v0
	s_cbranch_execz .LBB327_2572
; %bb.2567:                             ;   in Loop: Header=BB327_1567 Depth=1
	v_and_b32_sdwa v59, v0, v38 dst_sel:DWORD dst_unused:UNUSED_PAD src0_sel:WORD_0 src1_sel:DWORD
	v_mov_b32_e32 v37, 0x7c010000
	s_mov_b32 s18, exec_lo
	v_cmpx_ne_u32_e32 0x7f, v59
	s_cbranch_execz .LBB327_2571
; %bb.2568:                             ;   in Loop: Header=BB327_1567 Depth=1
	v_and_b32_sdwa v37, v0, v39 dst_sel:DWORD dst_unused:UNUSED_PAD src0_sel:WORD_0 src1_sel:DWORD
	v_lshrrev_b32_e32 v58, 3, v59
	s_mov_b32 s20, exec_lo
	v_cmpx_gt_u32_e32 8, v59
; %bb.2569:                             ;   in Loop: Header=BB327_1567 Depth=1
	v_ffbh_u32_e32 v26, v37
	v_min_u32_e32 v37, 32, v26
	v_subrev_nc_u32_e32 v26, 28, v37
	v_sub_nc_u32_e32 v58, 29, v37
	v_lshlrev_b64 v[26:27], v26, v[0:1]
	v_and_b32_e32 v37, 7, v26
; %bb.2570:                             ;   in Loop: Header=BB327_1567 Depth=1
	s_or_b32 exec_lo, exec_lo, s20
	v_lshlrev_b32_sdwa v0, v69, v0 dst_sel:DWORD dst_unused:UNUSED_PAD src0_sel:DWORD src1_sel:WORD_0
	v_lshl_add_u32 v26, v58, 10, 0x2000
	v_and_or_b32 v0, 0x8000, v0, v26
	v_lshlrev_b32_e32 v26, 23, v37
	v_lshl_or_b32 v37, v0, 16, v26
.LBB327_2571:                           ;   in Loop: Header=BB327_1567 Depth=1
	s_or_b32 exec_lo, exec_lo, s18
.LBB327_2572:                           ;   in Loop: Header=BB327_1567 Depth=1
	s_or_b32 exec_lo, exec_lo, s15
.LBB327_2573:                           ;   in Loop: Header=BB327_1567 Depth=1
	s_or_b32 exec_lo, exec_lo, s13
	v_lshrrev_b32_e32 v0, 16, v9
	v_mov_b32_e32 v58, 0
	v_mov_b32_e32 v59, 0
	v_cmp_ne_u16_sdwa s4, v0, v1 src0_sel:BYTE_0 src1_sel:DWORD
	s_and_saveexec_b32 s13, s4
	s_cbranch_execz .LBB327_2581
; %bb.2574:                             ;   in Loop: Header=BB327_1567 Depth=1
	v_cmp_ne_u16_sdwa s4, v0, v17 src0_sel:BYTE_0 src1_sel:DWORD
	v_mov_b32_e32 v59, 0x8000
	s_and_saveexec_b32 s15, s4
	s_cbranch_execz .LBB327_2580
; %bb.2575:                             ;   in Loop: Header=BB327_1567 Depth=1
	v_bfe_u32 v61, v9, 16, 7
	v_mov_b32_e32 v59, 0x7c01
	s_mov_b32 s18, exec_lo
	v_cmpx_ne_u32_e32 0x7f, v61
	s_cbranch_execz .LBB327_2579
; %bb.2576:                             ;   in Loop: Header=BB327_1567 Depth=1
	v_and_b32_e32 v59, 7, v0
	v_lshrrev_b32_e32 v60, 3, v61
	s_mov_b32 s20, exec_lo
	v_cmpx_gt_u32_e32 8, v61
; %bb.2577:                             ;   in Loop: Header=BB327_1567 Depth=1
	v_ffbh_u32_e32 v26, v59
	v_min_u32_e32 v59, 32, v26
	v_subrev_nc_u32_e32 v26, 28, v59
	v_sub_nc_u32_e32 v60, 29, v59
	v_lshlrev_b64 v[26:27], v26, v[0:1]
	v_and_b32_e32 v59, 7, v26
; %bb.2578:                             ;   in Loop: Header=BB327_1567 Depth=1
	s_or_b32 exec_lo, exec_lo, s20
	v_lshlrev_b32_e32 v0, 8, v0
	v_lshl_add_u32 v26, v60, 10, 0x2000
	v_lshlrev_b32_e32 v27, 7, v59
	v_and_b32_e32 v0, 0x8000, v0
	v_and_b32_e32 v26, 0xfc00, v26
	v_or3_b32 v59, v0, v26, v27
.LBB327_2579:                           ;   in Loop: Header=BB327_1567 Depth=1
	s_or_b32 exec_lo, exec_lo, s18
.LBB327_2580:                           ;   in Loop: Header=BB327_1567 Depth=1
	s_or_b32 exec_lo, exec_lo, s15
.LBB327_2581:                           ;   in Loop: Header=BB327_1567 Depth=1
	s_or_b32 exec_lo, exec_lo, s13
	s_mov_b32 s13, exec_lo
	v_cmpx_lt_u32_e32 0xffffff, v9
	s_cbranch_execz .LBB327_2589
; %bb.2582:                             ;   in Loop: Header=BB327_1567 Depth=1
	v_lshrrev_b32_e32 v0, 24, v9
	v_bfrev_b32_e32 v58, 1
	s_mov_b32 s15, exec_lo
	v_cmpx_ne_u32_e32 0x80, v0
	s_cbranch_execz .LBB327_2588
; %bb.2583:                             ;   in Loop: Header=BB327_1567 Depth=1
	v_and_b32_e32 v61, 0x7f, v0
	v_mov_b32_e32 v58, 0x7c010000
	s_mov_b32 s18, exec_lo
	v_cmpx_ne_u32_e32 0x7f, v61
	s_cbranch_execz .LBB327_2587
; %bb.2584:                             ;   in Loop: Header=BB327_1567 Depth=1
	v_and_b32_e32 v58, 7, v0
	v_lshrrev_b32_e32 v60, 3, v61
	s_mov_b32 s20, exec_lo
	v_cmpx_gt_u32_e32 8, v61
; %bb.2585:                             ;   in Loop: Header=BB327_1567 Depth=1
	v_ffbh_u32_e32 v26, v58
	v_min_u32_e32 v58, 32, v26
	v_subrev_nc_u32_e32 v26, 28, v58
	v_sub_nc_u32_e32 v60, 29, v58
	v_lshlrev_b64 v[26:27], v26, v[0:1]
	v_and_b32_e32 v58, 7, v26
; %bb.2586:                             ;   in Loop: Header=BB327_1567 Depth=1
	s_or_b32 exec_lo, exec_lo, s20
	v_lshlrev_b32_e32 v0, 8, v0
	v_lshl_add_u32 v26, v60, 10, 0x2000
	v_and_or_b32 v0, 0x8000, v0, v26
	v_lshlrev_b32_e32 v26, 23, v58
	v_lshl_or_b32 v58, v0, 16, v26
.LBB327_2587:                           ;   in Loop: Header=BB327_1567 Depth=1
	s_or_b32 exec_lo, exec_lo, s18
.LBB327_2588:                           ;   in Loop: Header=BB327_1567 Depth=1
	s_or_b32 exec_lo, exec_lo, s15
.LBB327_2589:                           ;   in Loop: Header=BB327_1567 Depth=1
	s_or_b32 exec_lo, exec_lo, s13
	v_mov_b32_e32 v0, v10
	v_cmp_ne_u16_sdwa s4, v10, v1 src0_sel:BYTE_0 src1_sel:DWORD
	v_mov_b32_e32 v60, 0
	v_mov_b32_e32 v61, 0
	s_and_saveexec_b32 s13, s4
	s_cbranch_execz .LBB327_2597
; %bb.2590:                             ;   in Loop: Header=BB327_1567 Depth=1
	v_cmp_ne_u16_sdwa s4, v10, v17 src0_sel:BYTE_0 src1_sel:DWORD
	v_mov_b32_e32 v61, 0x8000
	s_and_saveexec_b32 s15, s4
	s_cbranch_execz .LBB327_2596
; %bb.2591:                             ;   in Loop: Header=BB327_1567 Depth=1
	v_and_b32_e32 v63, 0x7f, v10
	v_mov_b32_e32 v61, 0x7c01
	s_mov_b32 s18, exec_lo
	v_cmpx_ne_u32_e32 0x7f, v63
	s_cbranch_execz .LBB327_2595
; %bb.2592:                             ;   in Loop: Header=BB327_1567 Depth=1
	v_and_b32_e32 v61, 7, v10
	v_lshrrev_b32_e32 v62, 3, v63
	s_mov_b32 s20, exec_lo
	v_cmpx_gt_u32_e32 8, v63
; %bb.2593:                             ;   in Loop: Header=BB327_1567 Depth=1
	v_ffbh_u32_e32 v26, v61
	v_min_u32_e32 v61, 32, v26
	v_subrev_nc_u32_e32 v26, 28, v61
	v_sub_nc_u32_e32 v62, 29, v61
	v_lshlrev_b64 v[26:27], v26, v[0:1]
	v_and_b32_e32 v61, 7, v26
; %bb.2594:                             ;   in Loop: Header=BB327_1567 Depth=1
	s_or_b32 exec_lo, exec_lo, s20
	v_lshlrev_b32_e32 v26, 8, v10
	v_lshl_add_u32 v27, v62, 10, 0x2000
	v_lshlrev_b32_e32 v61, 7, v61
	v_and_b32_e32 v26, 0x8000, v26
	v_and_b32_e32 v27, 0xfc00, v27
	v_or3_b32 v61, v26, v27, v61
.LBB327_2595:                           ;   in Loop: Header=BB327_1567 Depth=1
	s_or_b32 exec_lo, exec_lo, s18
.LBB327_2596:                           ;   in Loop: Header=BB327_1567 Depth=1
	s_or_b32 exec_lo, exec_lo, s15
.LBB327_2597:                           ;   in Loop: Header=BB327_1567 Depth=1
	s_or_b32 exec_lo, exec_lo, s13
	v_lshrrev_b16 v0, 8, v0
	v_mov_b32_e32 v62, 0
	s_mov_b32 s13, exec_lo
	v_cmpx_ne_u16_e32 0, v0
	s_cbranch_execz .LBB327_2605
; %bb.2598:                             ;   in Loop: Header=BB327_1567 Depth=1
	v_bfrev_b32_e32 v62, 1
	s_mov_b32 s15, exec_lo
	v_cmpx_ne_u16_e32 0x80, v0
	s_cbranch_execz .LBB327_2604
; %bb.2599:                             ;   in Loop: Header=BB327_1567 Depth=1
	v_and_b32_sdwa v72, v0, v38 dst_sel:DWORD dst_unused:UNUSED_PAD src0_sel:WORD_0 src1_sel:DWORD
	v_mov_b32_e32 v62, 0x7c010000
	s_mov_b32 s18, exec_lo
	v_cmpx_ne_u32_e32 0x7f, v72
	s_cbranch_execz .LBB327_2603
; %bb.2600:                             ;   in Loop: Header=BB327_1567 Depth=1
	v_and_b32_sdwa v62, v0, v39 dst_sel:DWORD dst_unused:UNUSED_PAD src0_sel:WORD_0 src1_sel:DWORD
	v_lshrrev_b32_e32 v63, 3, v72
	s_mov_b32 s20, exec_lo
	v_cmpx_gt_u32_e32 8, v72
; %bb.2601:                             ;   in Loop: Header=BB327_1567 Depth=1
	v_ffbh_u32_e32 v26, v62
	v_min_u32_e32 v62, 32, v26
	v_subrev_nc_u32_e32 v26, 28, v62
	v_sub_nc_u32_e32 v63, 29, v62
	v_lshlrev_b64 v[26:27], v26, v[0:1]
	v_and_b32_e32 v62, 7, v26
; %bb.2602:                             ;   in Loop: Header=BB327_1567 Depth=1
	s_or_b32 exec_lo, exec_lo, s20
	v_lshlrev_b32_sdwa v0, v69, v0 dst_sel:DWORD dst_unused:UNUSED_PAD src0_sel:DWORD src1_sel:WORD_0
	v_lshl_add_u32 v26, v63, 10, 0x2000
	v_and_or_b32 v0, 0x8000, v0, v26
	v_lshlrev_b32_e32 v26, 23, v62
	v_lshl_or_b32 v62, v0, 16, v26
.LBB327_2603:                           ;   in Loop: Header=BB327_1567 Depth=1
	s_or_b32 exec_lo, exec_lo, s18
.LBB327_2604:                           ;   in Loop: Header=BB327_1567 Depth=1
	s_or_b32 exec_lo, exec_lo, s15
.LBB327_2605:                           ;   in Loop: Header=BB327_1567 Depth=1
	s_or_b32 exec_lo, exec_lo, s13
	v_lshrrev_b32_e32 v0, 16, v10
	v_cmp_ne_u16_sdwa s4, v0, v1 src0_sel:BYTE_0 src1_sel:DWORD
	s_and_saveexec_b32 s13, s4
	s_cbranch_execz .LBB327_2613
; %bb.2606:                             ;   in Loop: Header=BB327_1567 Depth=1
	v_cmp_ne_u16_sdwa s4, v0, v17 src0_sel:BYTE_0 src1_sel:DWORD
	v_mov_b32_e32 v60, 0x8000
	s_and_saveexec_b32 s15, s4
	s_cbranch_execz .LBB327_2612
; %bb.2607:                             ;   in Loop: Header=BB327_1567 Depth=1
	v_bfe_u32 v72, v10, 16, 7
	v_mov_b32_e32 v60, 0x7c01
	s_mov_b32 s18, exec_lo
	v_cmpx_ne_u32_e32 0x7f, v72
	s_cbranch_execz .LBB327_2611
; %bb.2608:                             ;   in Loop: Header=BB327_1567 Depth=1
	v_and_b32_e32 v60, 7, v0
	v_lshrrev_b32_e32 v63, 3, v72
	s_mov_b32 s20, exec_lo
	v_cmpx_gt_u32_e32 8, v72
; %bb.2609:                             ;   in Loop: Header=BB327_1567 Depth=1
	v_ffbh_u32_e32 v26, v60
	v_min_u32_e32 v60, 32, v26
	v_subrev_nc_u32_e32 v26, 28, v60
	v_sub_nc_u32_e32 v63, 29, v60
	v_lshlrev_b64 v[26:27], v26, v[0:1]
	v_and_b32_e32 v60, 7, v26
; %bb.2610:                             ;   in Loop: Header=BB327_1567 Depth=1
	s_or_b32 exec_lo, exec_lo, s20
	v_lshlrev_b32_e32 v0, 8, v0
	v_lshl_add_u32 v26, v63, 10, 0x2000
	v_lshlrev_b32_e32 v27, 7, v60
	v_and_b32_e32 v0, 0x8000, v0
	v_and_b32_e32 v26, 0xfc00, v26
	v_or3_b32 v60, v0, v26, v27
.LBB327_2611:                           ;   in Loop: Header=BB327_1567 Depth=1
	s_or_b32 exec_lo, exec_lo, s18
.LBB327_2612:                           ;   in Loop: Header=BB327_1567 Depth=1
	s_or_b32 exec_lo, exec_lo, s15
.LBB327_2613:                           ;   in Loop: Header=BB327_1567 Depth=1
	s_or_b32 exec_lo, exec_lo, s13
	v_cmp_lt_u64_e64 s4, s[8:9], v[9:10]
	v_mov_b32_e32 v9, 0
	s_and_saveexec_b32 s13, s4
	s_cbranch_execz .LBB327_2621
; %bb.2614:                             ;   in Loop: Header=BB327_1567 Depth=1
	v_lshrrev_b32_e32 v0, 24, v10
	v_bfrev_b32_e32 v9, 1
	s_mov_b32 s15, exec_lo
	v_cmpx_ne_u32_e32 0x80, v0
	s_cbranch_execz .LBB327_2620
; %bb.2615:                             ;   in Loop: Header=BB327_1567 Depth=1
	v_and_b32_e32 v63, 0x7f, v0
	v_mov_b32_e32 v9, 0x7c010000
	s_mov_b32 s18, exec_lo
	v_cmpx_ne_u32_e32 0x7f, v63
	s_cbranch_execz .LBB327_2619
; %bb.2616:                             ;   in Loop: Header=BB327_1567 Depth=1
	v_and_b32_e32 v9, 7, v0
	v_lshrrev_b32_e32 v10, 3, v63
	s_mov_b32 s20, exec_lo
	v_cmpx_gt_u32_e32 8, v63
; %bb.2617:                             ;   in Loop: Header=BB327_1567 Depth=1
	v_ffbh_u32_e32 v9, v9
	v_min_u32_e32 v26, 32, v9
	v_subrev_nc_u32_e32 v9, 28, v26
	v_lshlrev_b64 v[9:10], v9, v[0:1]
	v_sub_nc_u32_e32 v10, 29, v26
	v_and_b32_e32 v9, 7, v9
; %bb.2618:                             ;   in Loop: Header=BB327_1567 Depth=1
	s_or_b32 exec_lo, exec_lo, s20
	v_lshlrev_b32_e32 v0, 8, v0
	v_lshl_add_u32 v10, v10, 10, 0x2000
	v_lshlrev_b32_e32 v9, 23, v9
	v_and_or_b32 v0, 0x8000, v0, v10
	v_lshl_or_b32 v9, v0, 16, v9
.LBB327_2619:                           ;   in Loop: Header=BB327_1567 Depth=1
	s_or_b32 exec_lo, exec_lo, s18
.LBB327_2620:                           ;   in Loop: Header=BB327_1567 Depth=1
	s_or_b32 exec_lo, exec_lo, s15
.LBB327_2621:                           ;   in Loop: Header=BB327_1567 Depth=1
	s_or_b32 exec_lo, exec_lo, s13
	v_or_b32_e32 v0, v58, v59
	s_waitcnt vmcnt(0) lgkmcnt(0)
	v_fma_mixlo_f16 v10, v6, v58, 0 op_sel:[0,1,0] op_sel_hi:[0,1,0]
	v_or_b32_e32 v26, v37, v57
	v_fma_mixlo_f16 v27, v6, v37, 0 op_sel:[0,1,0] op_sel_hi:[0,1,0]
	v_or_b32_e32 v37, v62, v61
	v_fma_mixlo_f16 v58, v6, v0, 0 op_sel_hi:[0,1,0]
	v_or_b32_e32 v59, v9, v60
	v_lshlrev_b32_e32 v0, 16, v10
	v_lshlrev_b32_e32 v57, 16, v27
	v_fma_mixlo_f16 v26, v6, v26, 0 op_sel_hi:[0,1,0]
	v_and_b32_e32 v10, 0xffff, v58
	v_fma_mixlo_f16 v27, v6, v62, 0 op_sel:[0,1,0] op_sel_hi:[0,1,0]
	v_fma_mixlo_f16 v37, v6, v37, 0 op_sel_hi:[0,1,0]
	v_fma_mixlo_f16 v58, v6, v9, 0 op_sel:[0,1,0] op_sel_hi:[0,1,0]
	v_fma_mixlo_f16 v60, v6, v59, 0 op_sel_hi:[0,1,0]
	v_and_b32_e32 v63, 0xffff, v26
	v_lshlrev_b32_e32 v9, 16, v27
	v_and_b32_e32 v59, 0xffff, v37
	v_lshlrev_b32_e32 v6, 16, v58
	v_and_b32_e32 v37, 0xffff, v60
	v_or_b32_e32 v58, v0, v10
	v_or_b32_e32 v62, v57, v63
	;; [unrolled: 1-line block ×4, first 2 shown]
	s_and_saveexec_b32 s13, vcc_lo
	s_cbranch_execz .LBB327_2623
; %bb.2622:                             ;   in Loop: Header=BB327_1567 Depth=1
	v_cmp_lt_i32_e64 s4, v71, v36
	v_cndmask_b32_e64 v26, 0, v63, s4
	v_cmp_lt_i32_e64 s4, v100, v36
	v_cndmask_b32_e64 v27, 0, v57, s4
	v_cmp_lt_i32_e64 s4, v99, v36
	v_or_b32_e32 v62, v26, v27
	v_cndmask_b32_e64 v10, 0, v10, s4
	v_cmp_lt_i32_e64 s4, v98, v36
	v_cndmask_b32_e64 v0, 0, v0, s4
	v_cmp_lt_i32_e64 s4, v97, v36
	v_or_b32_e32 v58, v10, v0
	;; [unrolled: 5-line block ×3, first 2 shown]
	v_cndmask_b32_e64 v37, 0, v37, s4
	v_cmp_lt_i32_e64 s4, v86, v36
	v_cndmask_b32_e64 v6, 0, v6, s4
	v_or_b32_e32 v60, v37, v6
.LBB327_2623:                           ;   in Loop: Header=BB327_1567 Depth=1
	s_or_b32 exec_lo, exec_lo, s13
	v_add_co_u32 v7, s4, 0x1000, v7
	v_add_co_ci_u32_e64 v8, null, 0, v8, s4
	;;#ASMSTART
	v_pk_mul_f16 v0, v83, v62;

	;;#ASMEND
	;;#ASMSTART
	v_pk_mul_f16 v6, v82, v58;

	;;#ASMEND
	;; [unrolled: 4-line block ×4, first 2 shown]
	;;#ASMSTART
	v_pk_add_f16 v0, v0, v6;

	;;#ASMEND
	;;#ASMSTART
	v_pk_add_f16 v0, v0, v9;

	;;#ASMEND
	;; [unrolled: 4-line block ×3, first 2 shown]
	v_lshrrev_b32_e32 v6, 16, v0
	v_and_b32_e32 v0, 0xffff, v0
	;;#ASMSTART
	v_cvt_f32_f16 v37, v0;
	;;#ASMEND
	;;#ASMSTART
	v_cvt_f32_f16 v57, v6;
	;;#ASMEND
	flat_load_dwordx2 v[9:10], v[7:8]
	flat_load_dword v6, v[120:121]
	v_mov_b32_e32 v58, 0
	v_mov_b32_e32 v59, 0
	s_waitcnt vmcnt(1) lgkmcnt(1)
	v_cmp_ne_u16_sdwa s4, v9, v1 src0_sel:BYTE_0 src1_sel:DWORD
	s_and_saveexec_b32 s13, s4
	s_cbranch_execz .LBB327_2631
; %bb.2624:                             ;   in Loop: Header=BB327_1567 Depth=1
	v_cmp_ne_u16_sdwa s4, v9, v17 src0_sel:BYTE_0 src1_sel:DWORD
	v_mov_b32_e32 v59, 0x8000
	s_and_saveexec_b32 s15, s4
	s_cbranch_execz .LBB327_2630
; %bb.2625:                             ;   in Loop: Header=BB327_1567 Depth=1
	v_and_b32_e32 v60, 0x7f, v9
	v_mov_b32_e32 v59, 0x7c01
	s_mov_b32 s18, exec_lo
	v_cmpx_ne_u32_e32 0x7f, v60
	s_cbranch_execz .LBB327_2629
; %bb.2626:                             ;   in Loop: Header=BB327_1567 Depth=1
	v_and_b32_e32 v0, 7, v9
	v_lshrrev_b32_e32 v59, 3, v60
	s_mov_b32 s20, exec_lo
	v_cmpx_gt_u32_e32 8, v60
; %bb.2627:                             ;   in Loop: Header=BB327_1567 Depth=1
	v_ffbh_u32_e32 v0, v0
	v_min_u32_e32 v0, 32, v0
	v_subrev_nc_u32_e32 v26, 28, v0
	v_sub_nc_u32_e32 v59, 29, v0
	v_lshlrev_b64 v[26:27], v26, v[9:10]
	v_and_b32_e32 v0, 7, v26
; %bb.2628:                             ;   in Loop: Header=BB327_1567 Depth=1
	s_or_b32 exec_lo, exec_lo, s20
	v_lshlrev_b32_e32 v26, 8, v9
	v_lshl_add_u32 v27, v59, 10, 0x2000
	v_lshlrev_b32_e32 v0, 7, v0
	v_and_b32_e32 v26, 0x8000, v26
	v_and_b32_e32 v27, 0xfc00, v27
	v_or3_b32 v59, v26, v27, v0
.LBB327_2629:                           ;   in Loop: Header=BB327_1567 Depth=1
	s_or_b32 exec_lo, exec_lo, s18
.LBB327_2630:                           ;   in Loop: Header=BB327_1567 Depth=1
	s_or_b32 exec_lo, exec_lo, s15
.LBB327_2631:                           ;   in Loop: Header=BB327_1567 Depth=1
	s_or_b32 exec_lo, exec_lo, s13
	v_lshrrev_b16 v0, 8, v9
	s_mov_b32 s13, exec_lo
	v_cmpx_ne_u16_e32 0, v0
	s_cbranch_execz .LBB327_2639
; %bb.2632:                             ;   in Loop: Header=BB327_1567 Depth=1
	v_bfrev_b32_e32 v58, 1
	s_mov_b32 s15, exec_lo
	v_cmpx_ne_u16_e32 0x80, v0
	s_cbranch_execz .LBB327_2638
; %bb.2633:                             ;   in Loop: Header=BB327_1567 Depth=1
	v_and_b32_sdwa v61, v0, v38 dst_sel:DWORD dst_unused:UNUSED_PAD src0_sel:WORD_0 src1_sel:DWORD
	v_mov_b32_e32 v58, 0x7c010000
	s_mov_b32 s18, exec_lo
	v_cmpx_ne_u32_e32 0x7f, v61
	s_cbranch_execz .LBB327_2637
; %bb.2634:                             ;   in Loop: Header=BB327_1567 Depth=1
	v_and_b32_sdwa v58, v0, v39 dst_sel:DWORD dst_unused:UNUSED_PAD src0_sel:WORD_0 src1_sel:DWORD
	v_lshrrev_b32_e32 v60, 3, v61
	s_mov_b32 s20, exec_lo
	v_cmpx_gt_u32_e32 8, v61
; %bb.2635:                             ;   in Loop: Header=BB327_1567 Depth=1
	v_ffbh_u32_e32 v26, v58
	v_min_u32_e32 v58, 32, v26
	v_subrev_nc_u32_e32 v26, 28, v58
	v_sub_nc_u32_e32 v60, 29, v58
	v_lshlrev_b64 v[26:27], v26, v[0:1]
	v_and_b32_e32 v58, 7, v26
; %bb.2636:                             ;   in Loop: Header=BB327_1567 Depth=1
	s_or_b32 exec_lo, exec_lo, s20
	v_lshlrev_b32_sdwa v0, v69, v0 dst_sel:DWORD dst_unused:UNUSED_PAD src0_sel:DWORD src1_sel:WORD_0
	v_lshl_add_u32 v26, v60, 10, 0x2000
	v_and_or_b32 v0, 0x8000, v0, v26
	v_lshlrev_b32_e32 v26, 23, v58
	v_lshl_or_b32 v58, v0, 16, v26
.LBB327_2637:                           ;   in Loop: Header=BB327_1567 Depth=1
	s_or_b32 exec_lo, exec_lo, s18
.LBB327_2638:                           ;   in Loop: Header=BB327_1567 Depth=1
	s_or_b32 exec_lo, exec_lo, s15
.LBB327_2639:                           ;   in Loop: Header=BB327_1567 Depth=1
	s_or_b32 exec_lo, exec_lo, s13
	v_lshrrev_b32_e32 v0, 16, v9
	v_mov_b32_e32 v60, 0
	v_mov_b32_e32 v61, 0
	v_cmp_ne_u16_sdwa s4, v0, v1 src0_sel:BYTE_0 src1_sel:DWORD
	s_and_saveexec_b32 s13, s4
	s_cbranch_execz .LBB327_2647
; %bb.2640:                             ;   in Loop: Header=BB327_1567 Depth=1
	v_cmp_ne_u16_sdwa s4, v0, v17 src0_sel:BYTE_0 src1_sel:DWORD
	v_mov_b32_e32 v61, 0x8000
	s_and_saveexec_b32 s15, s4
	s_cbranch_execz .LBB327_2646
; %bb.2641:                             ;   in Loop: Header=BB327_1567 Depth=1
	v_bfe_u32 v63, v9, 16, 7
	v_mov_b32_e32 v61, 0x7c01
	s_mov_b32 s18, exec_lo
	v_cmpx_ne_u32_e32 0x7f, v63
	s_cbranch_execz .LBB327_2645
; %bb.2642:                             ;   in Loop: Header=BB327_1567 Depth=1
	v_and_b32_e32 v61, 7, v0
	v_lshrrev_b32_e32 v62, 3, v63
	s_mov_b32 s20, exec_lo
	v_cmpx_gt_u32_e32 8, v63
; %bb.2643:                             ;   in Loop: Header=BB327_1567 Depth=1
	v_ffbh_u32_e32 v26, v61
	v_min_u32_e32 v61, 32, v26
	v_subrev_nc_u32_e32 v26, 28, v61
	v_sub_nc_u32_e32 v62, 29, v61
	v_lshlrev_b64 v[26:27], v26, v[0:1]
	v_and_b32_e32 v61, 7, v26
; %bb.2644:                             ;   in Loop: Header=BB327_1567 Depth=1
	s_or_b32 exec_lo, exec_lo, s20
	v_lshlrev_b32_e32 v0, 8, v0
	v_lshl_add_u32 v26, v62, 10, 0x2000
	v_lshlrev_b32_e32 v27, 7, v61
	v_and_b32_e32 v0, 0x8000, v0
	v_and_b32_e32 v26, 0xfc00, v26
	v_or3_b32 v61, v0, v26, v27
.LBB327_2645:                           ;   in Loop: Header=BB327_1567 Depth=1
	s_or_b32 exec_lo, exec_lo, s18
.LBB327_2646:                           ;   in Loop: Header=BB327_1567 Depth=1
	s_or_b32 exec_lo, exec_lo, s15
.LBB327_2647:                           ;   in Loop: Header=BB327_1567 Depth=1
	s_or_b32 exec_lo, exec_lo, s13
	s_mov_b32 s13, exec_lo
	v_cmpx_lt_u32_e32 0xffffff, v9
	s_cbranch_execz .LBB327_2655
; %bb.2648:                             ;   in Loop: Header=BB327_1567 Depth=1
	v_lshrrev_b32_e32 v0, 24, v9
	v_bfrev_b32_e32 v60, 1
	s_mov_b32 s15, exec_lo
	v_cmpx_ne_u32_e32 0x80, v0
	s_cbranch_execz .LBB327_2654
; %bb.2649:                             ;   in Loop: Header=BB327_1567 Depth=1
	v_and_b32_e32 v63, 0x7f, v0
	v_mov_b32_e32 v60, 0x7c010000
	s_mov_b32 s18, exec_lo
	v_cmpx_ne_u32_e32 0x7f, v63
	s_cbranch_execz .LBB327_2653
; %bb.2650:                             ;   in Loop: Header=BB327_1567 Depth=1
	v_and_b32_e32 v60, 7, v0
	v_lshrrev_b32_e32 v62, 3, v63
	s_mov_b32 s20, exec_lo
	v_cmpx_gt_u32_e32 8, v63
; %bb.2651:                             ;   in Loop: Header=BB327_1567 Depth=1
	v_ffbh_u32_e32 v26, v60
	v_min_u32_e32 v60, 32, v26
	v_subrev_nc_u32_e32 v26, 28, v60
	v_sub_nc_u32_e32 v62, 29, v60
	v_lshlrev_b64 v[26:27], v26, v[0:1]
	v_and_b32_e32 v60, 7, v26
; %bb.2652:                             ;   in Loop: Header=BB327_1567 Depth=1
	s_or_b32 exec_lo, exec_lo, s20
	v_lshlrev_b32_e32 v0, 8, v0
	v_lshl_add_u32 v26, v62, 10, 0x2000
	v_and_or_b32 v0, 0x8000, v0, v26
	v_lshlrev_b32_e32 v26, 23, v60
	v_lshl_or_b32 v60, v0, 16, v26
.LBB327_2653:                           ;   in Loop: Header=BB327_1567 Depth=1
	s_or_b32 exec_lo, exec_lo, s18
.LBB327_2654:                           ;   in Loop: Header=BB327_1567 Depth=1
	s_or_b32 exec_lo, exec_lo, s15
.LBB327_2655:                           ;   in Loop: Header=BB327_1567 Depth=1
	s_or_b32 exec_lo, exec_lo, s13
	v_mov_b32_e32 v0, v10
	v_cmp_ne_u16_sdwa s4, v10, v1 src0_sel:BYTE_0 src1_sel:DWORD
	v_mov_b32_e32 v62, 0
	v_mov_b32_e32 v63, 0
	s_and_saveexec_b32 s13, s4
	s_cbranch_execz .LBB327_2663
; %bb.2656:                             ;   in Loop: Header=BB327_1567 Depth=1
	v_cmp_ne_u16_sdwa s4, v10, v17 src0_sel:BYTE_0 src1_sel:DWORD
	v_mov_b32_e32 v63, 0x8000
	s_and_saveexec_b32 s15, s4
	s_cbranch_execz .LBB327_2662
; %bb.2657:                             ;   in Loop: Header=BB327_1567 Depth=1
	v_and_b32_e32 v73, 0x7f, v10
	v_mov_b32_e32 v63, 0x7c01
	s_mov_b32 s18, exec_lo
	v_cmpx_ne_u32_e32 0x7f, v73
	s_cbranch_execz .LBB327_2661
; %bb.2658:                             ;   in Loop: Header=BB327_1567 Depth=1
	v_and_b32_e32 v63, 7, v10
	v_lshrrev_b32_e32 v72, 3, v73
	s_mov_b32 s20, exec_lo
	v_cmpx_gt_u32_e32 8, v73
; %bb.2659:                             ;   in Loop: Header=BB327_1567 Depth=1
	v_ffbh_u32_e32 v26, v63
	v_min_u32_e32 v63, 32, v26
	v_subrev_nc_u32_e32 v26, 28, v63
	v_sub_nc_u32_e32 v72, 29, v63
	v_lshlrev_b64 v[26:27], v26, v[0:1]
	v_and_b32_e32 v63, 7, v26
; %bb.2660:                             ;   in Loop: Header=BB327_1567 Depth=1
	s_or_b32 exec_lo, exec_lo, s20
	v_lshlrev_b32_e32 v26, 8, v10
	v_lshl_add_u32 v27, v72, 10, 0x2000
	v_lshlrev_b32_e32 v63, 7, v63
	v_and_b32_e32 v26, 0x8000, v26
	v_and_b32_e32 v27, 0xfc00, v27
	v_or3_b32 v63, v26, v27, v63
.LBB327_2661:                           ;   in Loop: Header=BB327_1567 Depth=1
	s_or_b32 exec_lo, exec_lo, s18
.LBB327_2662:                           ;   in Loop: Header=BB327_1567 Depth=1
	s_or_b32 exec_lo, exec_lo, s15
.LBB327_2663:                           ;   in Loop: Header=BB327_1567 Depth=1
	s_or_b32 exec_lo, exec_lo, s13
	v_lshrrev_b16 v0, 8, v0
	v_mov_b32_e32 v72, 0
	s_mov_b32 s13, exec_lo
	v_cmpx_ne_u16_e32 0, v0
	s_cbranch_execz .LBB327_2671
; %bb.2664:                             ;   in Loop: Header=BB327_1567 Depth=1
	v_bfrev_b32_e32 v72, 1
	s_mov_b32 s15, exec_lo
	v_cmpx_ne_u16_e32 0x80, v0
	s_cbranch_execz .LBB327_2670
; %bb.2665:                             ;   in Loop: Header=BB327_1567 Depth=1
	v_and_b32_sdwa v74, v0, v38 dst_sel:DWORD dst_unused:UNUSED_PAD src0_sel:WORD_0 src1_sel:DWORD
	v_mov_b32_e32 v72, 0x7c010000
	s_mov_b32 s18, exec_lo
	v_cmpx_ne_u32_e32 0x7f, v74
	s_cbranch_execz .LBB327_2669
; %bb.2666:                             ;   in Loop: Header=BB327_1567 Depth=1
	v_and_b32_sdwa v72, v0, v39 dst_sel:DWORD dst_unused:UNUSED_PAD src0_sel:WORD_0 src1_sel:DWORD
	v_lshrrev_b32_e32 v73, 3, v74
	s_mov_b32 s20, exec_lo
	v_cmpx_gt_u32_e32 8, v74
; %bb.2667:                             ;   in Loop: Header=BB327_1567 Depth=1
	v_ffbh_u32_e32 v26, v72
	v_min_u32_e32 v72, 32, v26
	v_subrev_nc_u32_e32 v26, 28, v72
	v_sub_nc_u32_e32 v73, 29, v72
	v_lshlrev_b64 v[26:27], v26, v[0:1]
	v_and_b32_e32 v72, 7, v26
; %bb.2668:                             ;   in Loop: Header=BB327_1567 Depth=1
	s_or_b32 exec_lo, exec_lo, s20
	v_lshlrev_b32_sdwa v0, v69, v0 dst_sel:DWORD dst_unused:UNUSED_PAD src0_sel:DWORD src1_sel:WORD_0
	v_lshl_add_u32 v26, v73, 10, 0x2000
	v_and_or_b32 v0, 0x8000, v0, v26
	v_lshlrev_b32_e32 v26, 23, v72
	v_lshl_or_b32 v72, v0, 16, v26
.LBB327_2669:                           ;   in Loop: Header=BB327_1567 Depth=1
	s_or_b32 exec_lo, exec_lo, s18
.LBB327_2670:                           ;   in Loop: Header=BB327_1567 Depth=1
	s_or_b32 exec_lo, exec_lo, s15
.LBB327_2671:                           ;   in Loop: Header=BB327_1567 Depth=1
	s_or_b32 exec_lo, exec_lo, s13
	v_lshrrev_b32_e32 v0, 16, v10
	v_cmp_ne_u16_sdwa s4, v0, v1 src0_sel:BYTE_0 src1_sel:DWORD
	s_and_saveexec_b32 s13, s4
	s_cbranch_execz .LBB327_2679
; %bb.2672:                             ;   in Loop: Header=BB327_1567 Depth=1
	v_cmp_ne_u16_sdwa s4, v0, v17 src0_sel:BYTE_0 src1_sel:DWORD
	v_mov_b32_e32 v62, 0x8000
	s_and_saveexec_b32 s15, s4
	s_cbranch_execz .LBB327_2678
; %bb.2673:                             ;   in Loop: Header=BB327_1567 Depth=1
	v_bfe_u32 v74, v10, 16, 7
	v_mov_b32_e32 v62, 0x7c01
	s_mov_b32 s18, exec_lo
	v_cmpx_ne_u32_e32 0x7f, v74
	s_cbranch_execz .LBB327_2677
; %bb.2674:                             ;   in Loop: Header=BB327_1567 Depth=1
	v_and_b32_e32 v62, 7, v0
	v_lshrrev_b32_e32 v73, 3, v74
	s_mov_b32 s20, exec_lo
	v_cmpx_gt_u32_e32 8, v74
; %bb.2675:                             ;   in Loop: Header=BB327_1567 Depth=1
	v_ffbh_u32_e32 v26, v62
	v_min_u32_e32 v62, 32, v26
	v_subrev_nc_u32_e32 v26, 28, v62
	v_sub_nc_u32_e32 v73, 29, v62
	v_lshlrev_b64 v[26:27], v26, v[0:1]
	v_and_b32_e32 v62, 7, v26
; %bb.2676:                             ;   in Loop: Header=BB327_1567 Depth=1
	s_or_b32 exec_lo, exec_lo, s20
	v_lshlrev_b32_e32 v0, 8, v0
	v_lshl_add_u32 v26, v73, 10, 0x2000
	v_lshlrev_b32_e32 v27, 7, v62
	v_and_b32_e32 v0, 0x8000, v0
	v_and_b32_e32 v26, 0xfc00, v26
	v_or3_b32 v62, v0, v26, v27
.LBB327_2677:                           ;   in Loop: Header=BB327_1567 Depth=1
	s_or_b32 exec_lo, exec_lo, s18
.LBB327_2678:                           ;   in Loop: Header=BB327_1567 Depth=1
	s_or_b32 exec_lo, exec_lo, s15
.LBB327_2679:                           ;   in Loop: Header=BB327_1567 Depth=1
	s_or_b32 exec_lo, exec_lo, s13
	v_cmp_lt_u64_e64 s4, s[8:9], v[9:10]
	v_mov_b32_e32 v9, 0
	s_and_saveexec_b32 s13, s4
	s_cbranch_execz .LBB327_2687
; %bb.2680:                             ;   in Loop: Header=BB327_1567 Depth=1
	v_lshrrev_b32_e32 v0, 24, v10
	v_bfrev_b32_e32 v9, 1
	s_mov_b32 s15, exec_lo
	v_cmpx_ne_u32_e32 0x80, v0
	s_cbranch_execz .LBB327_2686
; %bb.2681:                             ;   in Loop: Header=BB327_1567 Depth=1
	v_and_b32_e32 v73, 0x7f, v0
	v_mov_b32_e32 v9, 0x7c010000
	s_mov_b32 s18, exec_lo
	v_cmpx_ne_u32_e32 0x7f, v73
	s_cbranch_execz .LBB327_2685
; %bb.2682:                             ;   in Loop: Header=BB327_1567 Depth=1
	v_and_b32_e32 v9, 7, v0
	v_lshrrev_b32_e32 v10, 3, v73
	s_mov_b32 s20, exec_lo
	v_cmpx_gt_u32_e32 8, v73
; %bb.2683:                             ;   in Loop: Header=BB327_1567 Depth=1
	v_ffbh_u32_e32 v9, v9
	v_min_u32_e32 v26, 32, v9
	v_subrev_nc_u32_e32 v9, 28, v26
	v_lshlrev_b64 v[9:10], v9, v[0:1]
	v_sub_nc_u32_e32 v10, 29, v26
	v_and_b32_e32 v9, 7, v9
; %bb.2684:                             ;   in Loop: Header=BB327_1567 Depth=1
	s_or_b32 exec_lo, exec_lo, s20
	v_lshlrev_b32_e32 v0, 8, v0
	v_lshl_add_u32 v10, v10, 10, 0x2000
	v_lshlrev_b32_e32 v9, 23, v9
	v_and_or_b32 v0, 0x8000, v0, v10
	v_lshl_or_b32 v9, v0, 16, v9
.LBB327_2685:                           ;   in Loop: Header=BB327_1567 Depth=1
	s_or_b32 exec_lo, exec_lo, s18
.LBB327_2686:                           ;   in Loop: Header=BB327_1567 Depth=1
	s_or_b32 exec_lo, exec_lo, s15
.LBB327_2687:                           ;   in Loop: Header=BB327_1567 Depth=1
	s_or_b32 exec_lo, exec_lo, s13
	v_or_b32_e32 v0, v60, v61
	s_waitcnt vmcnt(0) lgkmcnt(0)
	v_fma_mixlo_f16 v10, v6, v60, 0 op_sel:[0,1,0] op_sel_hi:[0,1,0]
	v_or_b32_e32 v26, v58, v59
	v_fma_mixlo_f16 v27, v6, v58, 0 op_sel:[0,1,0] op_sel_hi:[0,1,0]
	v_or_b32_e32 v58, v72, v63
	v_fma_mixlo_f16 v60, v6, v0, 0 op_sel_hi:[0,1,0]
	v_or_b32_e32 v61, v9, v62
	v_lshlrev_b32_e32 v0, 16, v10
	v_lshlrev_b32_e32 v59, 16, v27
	v_fma_mixlo_f16 v26, v6, v26, 0 op_sel_hi:[0,1,0]
	v_and_b32_e32 v10, 0xffff, v60
	v_fma_mixlo_f16 v27, v6, v72, 0 op_sel:[0,1,0] op_sel_hi:[0,1,0]
	v_fma_mixlo_f16 v58, v6, v58, 0 op_sel_hi:[0,1,0]
	v_fma_mixlo_f16 v60, v6, v9, 0 op_sel:[0,1,0] op_sel_hi:[0,1,0]
	v_fma_mixlo_f16 v62, v6, v61, 0 op_sel_hi:[0,1,0]
	v_and_b32_e32 v73, 0xffff, v26
	v_lshlrev_b32_e32 v9, 16, v27
	v_and_b32_e32 v61, 0xffff, v58
	v_lshlrev_b32_e32 v6, 16, v60
	v_and_b32_e32 v58, 0xffff, v62
	v_or_b32_e32 v60, v0, v10
	v_or_b32_e32 v72, v59, v73
	;; [unrolled: 1-line block ×4, first 2 shown]
	s_and_saveexec_b32 s13, vcc_lo
	s_cbranch_execz .LBB327_2689
; %bb.2688:                             ;   in Loop: Header=BB327_1567 Depth=1
	v_cmp_lt_i32_e64 s4, v71, v36
	v_cndmask_b32_e64 v26, 0, v73, s4
	v_cmp_lt_i32_e64 s4, v100, v36
	v_cndmask_b32_e64 v27, 0, v59, s4
	v_cmp_lt_i32_e64 s4, v99, v36
	v_or_b32_e32 v72, v26, v27
	v_cndmask_b32_e64 v10, 0, v10, s4
	v_cmp_lt_i32_e64 s4, v98, v36
	v_cndmask_b32_e64 v0, 0, v0, s4
	v_cmp_lt_i32_e64 s4, v97, v36
	v_or_b32_e32 v60, v10, v0
	;; [unrolled: 5-line block ×3, first 2 shown]
	v_cndmask_b32_e64 v58, 0, v58, s4
	v_cmp_lt_i32_e64 s4, v86, v36
	v_cndmask_b32_e64 v6, 0, v6, s4
	v_or_b32_e32 v62, v58, v6
.LBB327_2689:                           ;   in Loop: Header=BB327_1567 Depth=1
	s_or_b32 exec_lo, exec_lo, s13
	;;#ASMSTART
	v_pk_mul_f16 v0, v83, v72;

	;;#ASMEND
	;;#ASMSTART
	v_pk_mul_f16 v6, v82, v60;

	;;#ASMEND
	;; [unrolled: 4-line block ×4, first 2 shown]
	;;#ASMSTART
	v_pk_add_f16 v0, v0, v6;

	;;#ASMEND
	;;#ASMSTART
	v_pk_add_f16 v0, v0, v9;

	;;#ASMEND
	;; [unrolled: 4-line block ×3, first 2 shown]
	v_and_b32_e32 v6, 0xffff, v0
	v_lshrrev_b32_e32 v0, 16, v0
	;;#ASMSTART
	v_cvt_f32_f16 v58, v6;
	;;#ASMEND
	;;#ASMSTART
	v_cvt_f32_f16 v59, v0;
	;;#ASMEND
	flat_load_dwordx2 v[9:10], v[7:8] offset:256
	flat_load_dword v6, v[120:121]
	v_mov_b32_e32 v60, 0
	v_mov_b32_e32 v61, 0
	s_waitcnt vmcnt(1) lgkmcnt(1)
	v_cmp_ne_u16_sdwa s4, v9, v1 src0_sel:BYTE_0 src1_sel:DWORD
	s_and_saveexec_b32 s13, s4
	s_cbranch_execz .LBB327_2697
; %bb.2690:                             ;   in Loop: Header=BB327_1567 Depth=1
	v_cmp_ne_u16_sdwa s4, v9, v17 src0_sel:BYTE_0 src1_sel:DWORD
	v_mov_b32_e32 v61, 0x8000
	s_and_saveexec_b32 s15, s4
	s_cbranch_execz .LBB327_2696
; %bb.2691:                             ;   in Loop: Header=BB327_1567 Depth=1
	v_and_b32_e32 v62, 0x7f, v9
	v_mov_b32_e32 v61, 0x7c01
	s_mov_b32 s18, exec_lo
	v_cmpx_ne_u32_e32 0x7f, v62
	s_cbranch_execz .LBB327_2695
; %bb.2692:                             ;   in Loop: Header=BB327_1567 Depth=1
	v_and_b32_e32 v0, 7, v9
	v_lshrrev_b32_e32 v61, 3, v62
	s_mov_b32 s20, exec_lo
	v_cmpx_gt_u32_e32 8, v62
; %bb.2693:                             ;   in Loop: Header=BB327_1567 Depth=1
	v_ffbh_u32_e32 v0, v0
	v_min_u32_e32 v0, 32, v0
	v_subrev_nc_u32_e32 v26, 28, v0
	v_sub_nc_u32_e32 v61, 29, v0
	v_lshlrev_b64 v[26:27], v26, v[9:10]
	v_and_b32_e32 v0, 7, v26
; %bb.2694:                             ;   in Loop: Header=BB327_1567 Depth=1
	s_or_b32 exec_lo, exec_lo, s20
	v_lshlrev_b32_e32 v26, 8, v9
	v_lshl_add_u32 v27, v61, 10, 0x2000
	v_lshlrev_b32_e32 v0, 7, v0
	v_and_b32_e32 v26, 0x8000, v26
	v_and_b32_e32 v27, 0xfc00, v27
	v_or3_b32 v61, v26, v27, v0
.LBB327_2695:                           ;   in Loop: Header=BB327_1567 Depth=1
	s_or_b32 exec_lo, exec_lo, s18
.LBB327_2696:                           ;   in Loop: Header=BB327_1567 Depth=1
	s_or_b32 exec_lo, exec_lo, s15
.LBB327_2697:                           ;   in Loop: Header=BB327_1567 Depth=1
	s_or_b32 exec_lo, exec_lo, s13
	v_lshrrev_b16 v0, 8, v9
	s_mov_b32 s13, exec_lo
	v_cmpx_ne_u16_e32 0, v0
	s_cbranch_execz .LBB327_2705
; %bb.2698:                             ;   in Loop: Header=BB327_1567 Depth=1
	v_bfrev_b32_e32 v60, 1
	s_mov_b32 s15, exec_lo
	v_cmpx_ne_u16_e32 0x80, v0
	s_cbranch_execz .LBB327_2704
; %bb.2699:                             ;   in Loop: Header=BB327_1567 Depth=1
	v_and_b32_sdwa v63, v0, v38 dst_sel:DWORD dst_unused:UNUSED_PAD src0_sel:WORD_0 src1_sel:DWORD
	v_mov_b32_e32 v60, 0x7c010000
	s_mov_b32 s18, exec_lo
	v_cmpx_ne_u32_e32 0x7f, v63
	s_cbranch_execz .LBB327_2703
; %bb.2700:                             ;   in Loop: Header=BB327_1567 Depth=1
	v_and_b32_sdwa v60, v0, v39 dst_sel:DWORD dst_unused:UNUSED_PAD src0_sel:WORD_0 src1_sel:DWORD
	v_lshrrev_b32_e32 v62, 3, v63
	s_mov_b32 s20, exec_lo
	v_cmpx_gt_u32_e32 8, v63
; %bb.2701:                             ;   in Loop: Header=BB327_1567 Depth=1
	v_ffbh_u32_e32 v26, v60
	v_min_u32_e32 v60, 32, v26
	v_subrev_nc_u32_e32 v26, 28, v60
	v_sub_nc_u32_e32 v62, 29, v60
	v_lshlrev_b64 v[26:27], v26, v[0:1]
	v_and_b32_e32 v60, 7, v26
; %bb.2702:                             ;   in Loop: Header=BB327_1567 Depth=1
	s_or_b32 exec_lo, exec_lo, s20
	v_lshlrev_b32_sdwa v0, v69, v0 dst_sel:DWORD dst_unused:UNUSED_PAD src0_sel:DWORD src1_sel:WORD_0
	v_lshl_add_u32 v26, v62, 10, 0x2000
	v_and_or_b32 v0, 0x8000, v0, v26
	v_lshlrev_b32_e32 v26, 23, v60
	v_lshl_or_b32 v60, v0, 16, v26
.LBB327_2703:                           ;   in Loop: Header=BB327_1567 Depth=1
	s_or_b32 exec_lo, exec_lo, s18
.LBB327_2704:                           ;   in Loop: Header=BB327_1567 Depth=1
	s_or_b32 exec_lo, exec_lo, s15
.LBB327_2705:                           ;   in Loop: Header=BB327_1567 Depth=1
	s_or_b32 exec_lo, exec_lo, s13
	v_lshrrev_b32_e32 v0, 16, v9
	v_mov_b32_e32 v62, 0
	v_mov_b32_e32 v63, 0
	v_cmp_ne_u16_sdwa s4, v0, v1 src0_sel:BYTE_0 src1_sel:DWORD
	s_and_saveexec_b32 s13, s4
	s_cbranch_execz .LBB327_2713
; %bb.2706:                             ;   in Loop: Header=BB327_1567 Depth=1
	v_cmp_ne_u16_sdwa s4, v0, v17 src0_sel:BYTE_0 src1_sel:DWORD
	v_mov_b32_e32 v63, 0x8000
	s_and_saveexec_b32 s15, s4
	s_cbranch_execz .LBB327_2712
; %bb.2707:                             ;   in Loop: Header=BB327_1567 Depth=1
	v_bfe_u32 v73, v9, 16, 7
	v_mov_b32_e32 v63, 0x7c01
	s_mov_b32 s18, exec_lo
	v_cmpx_ne_u32_e32 0x7f, v73
	s_cbranch_execz .LBB327_2711
; %bb.2708:                             ;   in Loop: Header=BB327_1567 Depth=1
	v_and_b32_e32 v63, 7, v0
	v_lshrrev_b32_e32 v72, 3, v73
	s_mov_b32 s20, exec_lo
	v_cmpx_gt_u32_e32 8, v73
; %bb.2709:                             ;   in Loop: Header=BB327_1567 Depth=1
	v_ffbh_u32_e32 v26, v63
	v_min_u32_e32 v63, 32, v26
	v_subrev_nc_u32_e32 v26, 28, v63
	v_sub_nc_u32_e32 v72, 29, v63
	v_lshlrev_b64 v[26:27], v26, v[0:1]
	v_and_b32_e32 v63, 7, v26
; %bb.2710:                             ;   in Loop: Header=BB327_1567 Depth=1
	s_or_b32 exec_lo, exec_lo, s20
	v_lshlrev_b32_e32 v0, 8, v0
	v_lshl_add_u32 v26, v72, 10, 0x2000
	v_lshlrev_b32_e32 v27, 7, v63
	v_and_b32_e32 v0, 0x8000, v0
	v_and_b32_e32 v26, 0xfc00, v26
	v_or3_b32 v63, v0, v26, v27
.LBB327_2711:                           ;   in Loop: Header=BB327_1567 Depth=1
	s_or_b32 exec_lo, exec_lo, s18
.LBB327_2712:                           ;   in Loop: Header=BB327_1567 Depth=1
	s_or_b32 exec_lo, exec_lo, s15
.LBB327_2713:                           ;   in Loop: Header=BB327_1567 Depth=1
	s_or_b32 exec_lo, exec_lo, s13
	s_mov_b32 s13, exec_lo
	v_cmpx_lt_u32_e32 0xffffff, v9
	s_cbranch_execz .LBB327_2721
; %bb.2714:                             ;   in Loop: Header=BB327_1567 Depth=1
	v_lshrrev_b32_e32 v0, 24, v9
	v_bfrev_b32_e32 v62, 1
	s_mov_b32 s15, exec_lo
	v_cmpx_ne_u32_e32 0x80, v0
	s_cbranch_execz .LBB327_2720
; %bb.2715:                             ;   in Loop: Header=BB327_1567 Depth=1
	v_and_b32_e32 v73, 0x7f, v0
	v_mov_b32_e32 v62, 0x7c010000
	s_mov_b32 s18, exec_lo
	v_cmpx_ne_u32_e32 0x7f, v73
	s_cbranch_execz .LBB327_2719
; %bb.2716:                             ;   in Loop: Header=BB327_1567 Depth=1
	v_and_b32_e32 v62, 7, v0
	v_lshrrev_b32_e32 v72, 3, v73
	s_mov_b32 s20, exec_lo
	v_cmpx_gt_u32_e32 8, v73
; %bb.2717:                             ;   in Loop: Header=BB327_1567 Depth=1
	v_ffbh_u32_e32 v26, v62
	v_min_u32_e32 v62, 32, v26
	v_subrev_nc_u32_e32 v26, 28, v62
	v_sub_nc_u32_e32 v72, 29, v62
	v_lshlrev_b64 v[26:27], v26, v[0:1]
	v_and_b32_e32 v62, 7, v26
; %bb.2718:                             ;   in Loop: Header=BB327_1567 Depth=1
	s_or_b32 exec_lo, exec_lo, s20
	v_lshlrev_b32_e32 v0, 8, v0
	v_lshl_add_u32 v26, v72, 10, 0x2000
	v_and_or_b32 v0, 0x8000, v0, v26
	v_lshlrev_b32_e32 v26, 23, v62
	v_lshl_or_b32 v62, v0, 16, v26
.LBB327_2719:                           ;   in Loop: Header=BB327_1567 Depth=1
	s_or_b32 exec_lo, exec_lo, s18
.LBB327_2720:                           ;   in Loop: Header=BB327_1567 Depth=1
	s_or_b32 exec_lo, exec_lo, s15
.LBB327_2721:                           ;   in Loop: Header=BB327_1567 Depth=1
	s_or_b32 exec_lo, exec_lo, s13
	v_mov_b32_e32 v0, v10
	v_cmp_ne_u16_sdwa s4, v10, v1 src0_sel:BYTE_0 src1_sel:DWORD
	v_mov_b32_e32 v72, 0
	v_mov_b32_e32 v73, 0
	s_and_saveexec_b32 s13, s4
	s_cbranch_execz .LBB327_2729
; %bb.2722:                             ;   in Loop: Header=BB327_1567 Depth=1
	v_cmp_ne_u16_sdwa s4, v10, v17 src0_sel:BYTE_0 src1_sel:DWORD
	v_mov_b32_e32 v73, 0x8000
	s_and_saveexec_b32 s15, s4
	s_cbranch_execz .LBB327_2728
; %bb.2723:                             ;   in Loop: Header=BB327_1567 Depth=1
	v_and_b32_e32 v75, 0x7f, v10
	v_mov_b32_e32 v73, 0x7c01
	s_mov_b32 s18, exec_lo
	v_cmpx_ne_u32_e32 0x7f, v75
	s_cbranch_execz .LBB327_2727
; %bb.2724:                             ;   in Loop: Header=BB327_1567 Depth=1
	v_and_b32_e32 v73, 7, v10
	v_lshrrev_b32_e32 v74, 3, v75
	s_mov_b32 s20, exec_lo
	v_cmpx_gt_u32_e32 8, v75
; %bb.2725:                             ;   in Loop: Header=BB327_1567 Depth=1
	v_ffbh_u32_e32 v26, v73
	v_min_u32_e32 v73, 32, v26
	v_subrev_nc_u32_e32 v26, 28, v73
	v_sub_nc_u32_e32 v74, 29, v73
	v_lshlrev_b64 v[26:27], v26, v[0:1]
	v_and_b32_e32 v73, 7, v26
; %bb.2726:                             ;   in Loop: Header=BB327_1567 Depth=1
	s_or_b32 exec_lo, exec_lo, s20
	v_lshlrev_b32_e32 v26, 8, v10
	v_lshl_add_u32 v27, v74, 10, 0x2000
	v_lshlrev_b32_e32 v73, 7, v73
	v_and_b32_e32 v26, 0x8000, v26
	v_and_b32_e32 v27, 0xfc00, v27
	v_or3_b32 v73, v26, v27, v73
.LBB327_2727:                           ;   in Loop: Header=BB327_1567 Depth=1
	s_or_b32 exec_lo, exec_lo, s18
.LBB327_2728:                           ;   in Loop: Header=BB327_1567 Depth=1
	s_or_b32 exec_lo, exec_lo, s15
.LBB327_2729:                           ;   in Loop: Header=BB327_1567 Depth=1
	s_or_b32 exec_lo, exec_lo, s13
	v_lshrrev_b16 v0, 8, v0
	v_mov_b32_e32 v74, 0
	s_mov_b32 s13, exec_lo
	v_cmpx_ne_u16_e32 0, v0
	s_cbranch_execz .LBB327_2737
; %bb.2730:                             ;   in Loop: Header=BB327_1567 Depth=1
	v_bfrev_b32_e32 v74, 1
	s_mov_b32 s15, exec_lo
	v_cmpx_ne_u16_e32 0x80, v0
	s_cbranch_execz .LBB327_2736
; %bb.2731:                             ;   in Loop: Header=BB327_1567 Depth=1
	v_and_b32_sdwa v76, v0, v38 dst_sel:DWORD dst_unused:UNUSED_PAD src0_sel:WORD_0 src1_sel:DWORD
	v_mov_b32_e32 v74, 0x7c010000
	s_mov_b32 s18, exec_lo
	v_cmpx_ne_u32_e32 0x7f, v76
	s_cbranch_execz .LBB327_2735
; %bb.2732:                             ;   in Loop: Header=BB327_1567 Depth=1
	v_and_b32_sdwa v74, v0, v39 dst_sel:DWORD dst_unused:UNUSED_PAD src0_sel:WORD_0 src1_sel:DWORD
	v_lshrrev_b32_e32 v75, 3, v76
	s_mov_b32 s20, exec_lo
	v_cmpx_gt_u32_e32 8, v76
; %bb.2733:                             ;   in Loop: Header=BB327_1567 Depth=1
	v_ffbh_u32_e32 v26, v74
	v_min_u32_e32 v74, 32, v26
	v_subrev_nc_u32_e32 v26, 28, v74
	v_sub_nc_u32_e32 v75, 29, v74
	v_lshlrev_b64 v[26:27], v26, v[0:1]
	v_and_b32_e32 v74, 7, v26
; %bb.2734:                             ;   in Loop: Header=BB327_1567 Depth=1
	s_or_b32 exec_lo, exec_lo, s20
	v_lshlrev_b32_sdwa v0, v69, v0 dst_sel:DWORD dst_unused:UNUSED_PAD src0_sel:DWORD src1_sel:WORD_0
	v_lshl_add_u32 v26, v75, 10, 0x2000
	v_and_or_b32 v0, 0x8000, v0, v26
	v_lshlrev_b32_e32 v26, 23, v74
	v_lshl_or_b32 v74, v0, 16, v26
.LBB327_2735:                           ;   in Loop: Header=BB327_1567 Depth=1
	s_or_b32 exec_lo, exec_lo, s18
.LBB327_2736:                           ;   in Loop: Header=BB327_1567 Depth=1
	s_or_b32 exec_lo, exec_lo, s15
.LBB327_2737:                           ;   in Loop: Header=BB327_1567 Depth=1
	s_or_b32 exec_lo, exec_lo, s13
	v_lshrrev_b32_e32 v0, 16, v10
	v_cmp_ne_u16_sdwa s4, v0, v1 src0_sel:BYTE_0 src1_sel:DWORD
	s_and_saveexec_b32 s13, s4
	s_cbranch_execz .LBB327_2745
; %bb.2738:                             ;   in Loop: Header=BB327_1567 Depth=1
	v_cmp_ne_u16_sdwa s4, v0, v17 src0_sel:BYTE_0 src1_sel:DWORD
	v_mov_b32_e32 v72, 0x8000
	s_and_saveexec_b32 s15, s4
	s_cbranch_execz .LBB327_2744
; %bb.2739:                             ;   in Loop: Header=BB327_1567 Depth=1
	v_bfe_u32 v76, v10, 16, 7
	v_mov_b32_e32 v72, 0x7c01
	s_mov_b32 s18, exec_lo
	v_cmpx_ne_u32_e32 0x7f, v76
	s_cbranch_execz .LBB327_2743
; %bb.2740:                             ;   in Loop: Header=BB327_1567 Depth=1
	v_and_b32_e32 v72, 7, v0
	v_lshrrev_b32_e32 v75, 3, v76
	s_mov_b32 s20, exec_lo
	v_cmpx_gt_u32_e32 8, v76
; %bb.2741:                             ;   in Loop: Header=BB327_1567 Depth=1
	v_ffbh_u32_e32 v26, v72
	v_min_u32_e32 v72, 32, v26
	v_subrev_nc_u32_e32 v26, 28, v72
	v_sub_nc_u32_e32 v75, 29, v72
	v_lshlrev_b64 v[26:27], v26, v[0:1]
	v_and_b32_e32 v72, 7, v26
; %bb.2742:                             ;   in Loop: Header=BB327_1567 Depth=1
	s_or_b32 exec_lo, exec_lo, s20
	v_lshlrev_b32_e32 v0, 8, v0
	v_lshl_add_u32 v26, v75, 10, 0x2000
	v_lshlrev_b32_e32 v27, 7, v72
	v_and_b32_e32 v0, 0x8000, v0
	v_and_b32_e32 v26, 0xfc00, v26
	v_or3_b32 v72, v0, v26, v27
.LBB327_2743:                           ;   in Loop: Header=BB327_1567 Depth=1
	s_or_b32 exec_lo, exec_lo, s18
.LBB327_2744:                           ;   in Loop: Header=BB327_1567 Depth=1
	s_or_b32 exec_lo, exec_lo, s15
.LBB327_2745:                           ;   in Loop: Header=BB327_1567 Depth=1
	s_or_b32 exec_lo, exec_lo, s13
	v_cmp_lt_u64_e64 s4, s[8:9], v[9:10]
	v_mov_b32_e32 v9, 0
	s_and_saveexec_b32 s13, s4
	s_cbranch_execz .LBB327_2753
; %bb.2746:                             ;   in Loop: Header=BB327_1567 Depth=1
	v_lshrrev_b32_e32 v0, 24, v10
	v_bfrev_b32_e32 v9, 1
	s_mov_b32 s15, exec_lo
	v_cmpx_ne_u32_e32 0x80, v0
	s_cbranch_execz .LBB327_2752
; %bb.2747:                             ;   in Loop: Header=BB327_1567 Depth=1
	v_and_b32_e32 v75, 0x7f, v0
	v_mov_b32_e32 v9, 0x7c010000
	s_mov_b32 s18, exec_lo
	v_cmpx_ne_u32_e32 0x7f, v75
	s_cbranch_execz .LBB327_2751
; %bb.2748:                             ;   in Loop: Header=BB327_1567 Depth=1
	v_and_b32_e32 v9, 7, v0
	v_lshrrev_b32_e32 v10, 3, v75
	s_mov_b32 s20, exec_lo
	v_cmpx_gt_u32_e32 8, v75
; %bb.2749:                             ;   in Loop: Header=BB327_1567 Depth=1
	v_ffbh_u32_e32 v9, v9
	v_min_u32_e32 v26, 32, v9
	v_subrev_nc_u32_e32 v9, 28, v26
	v_lshlrev_b64 v[9:10], v9, v[0:1]
	v_sub_nc_u32_e32 v10, 29, v26
	v_and_b32_e32 v9, 7, v9
; %bb.2750:                             ;   in Loop: Header=BB327_1567 Depth=1
	s_or_b32 exec_lo, exec_lo, s20
	v_lshlrev_b32_e32 v0, 8, v0
	v_lshl_add_u32 v10, v10, 10, 0x2000
	v_lshlrev_b32_e32 v9, 23, v9
	v_and_or_b32 v0, 0x8000, v0, v10
	v_lshl_or_b32 v9, v0, 16, v9
.LBB327_2751:                           ;   in Loop: Header=BB327_1567 Depth=1
	s_or_b32 exec_lo, exec_lo, s18
.LBB327_2752:                           ;   in Loop: Header=BB327_1567 Depth=1
	s_or_b32 exec_lo, exec_lo, s15
.LBB327_2753:                           ;   in Loop: Header=BB327_1567 Depth=1
	s_or_b32 exec_lo, exec_lo, s13
	v_or_b32_e32 v0, v62, v63
	s_waitcnt vmcnt(0) lgkmcnt(0)
	v_fma_mixlo_f16 v10, v6, v62, 0 op_sel:[0,1,0] op_sel_hi:[0,1,0]
	v_or_b32_e32 v26, v60, v61
	v_fma_mixlo_f16 v27, v6, v60, 0 op_sel:[0,1,0] op_sel_hi:[0,1,0]
	v_or_b32_e32 v60, v74, v73
	v_fma_mixlo_f16 v62, v6, v0, 0 op_sel_hi:[0,1,0]
	v_or_b32_e32 v63, v9, v72
	v_lshlrev_b32_e32 v0, 16, v10
	v_lshlrev_b32_e32 v61, 16, v27
	v_fma_mixlo_f16 v26, v6, v26, 0 op_sel_hi:[0,1,0]
	v_and_b32_e32 v10, 0xffff, v62
	v_fma_mixlo_f16 v27, v6, v74, 0 op_sel:[0,1,0] op_sel_hi:[0,1,0]
	v_fma_mixlo_f16 v60, v6, v60, 0 op_sel_hi:[0,1,0]
	v_fma_mixlo_f16 v62, v6, v9, 0 op_sel:[0,1,0] op_sel_hi:[0,1,0]
	v_fma_mixlo_f16 v72, v6, v63, 0 op_sel_hi:[0,1,0]
	v_and_b32_e32 v75, 0xffff, v26
	v_lshlrev_b32_e32 v9, 16, v27
	v_and_b32_e32 v63, 0xffff, v60
	v_lshlrev_b32_e32 v6, 16, v62
	v_and_b32_e32 v60, 0xffff, v72
	v_or_b32_e32 v62, v0, v10
	v_or_b32_e32 v74, v61, v75
	;; [unrolled: 1-line block ×4, first 2 shown]
	s_and_saveexec_b32 s13, vcc_lo
	s_cbranch_execz .LBB327_2755
; %bb.2754:                             ;   in Loop: Header=BB327_1567 Depth=1
	v_cmp_lt_i32_e64 s4, v71, v36
	v_cndmask_b32_e64 v26, 0, v75, s4
	v_cmp_lt_i32_e64 s4, v100, v36
	v_cndmask_b32_e64 v27, 0, v61, s4
	v_cmp_lt_i32_e64 s4, v99, v36
	v_or_b32_e32 v74, v26, v27
	v_cndmask_b32_e64 v10, 0, v10, s4
	v_cmp_lt_i32_e64 s4, v98, v36
	v_cndmask_b32_e64 v0, 0, v0, s4
	v_cmp_lt_i32_e64 s4, v97, v36
	v_or_b32_e32 v62, v10, v0
	;; [unrolled: 5-line block ×3, first 2 shown]
	v_cndmask_b32_e64 v60, 0, v60, s4
	v_cmp_lt_i32_e64 s4, v86, v36
	v_cndmask_b32_e64 v6, 0, v6, s4
	v_or_b32_e32 v72, v60, v6
.LBB327_2755:                           ;   in Loop: Header=BB327_1567 Depth=1
	s_or_b32 exec_lo, exec_lo, s13
	;;#ASMSTART
	v_pk_mul_f16 v0, v83, v74;

	;;#ASMEND
	;;#ASMSTART
	v_pk_mul_f16 v6, v82, v62;

	;;#ASMEND
	;;#ASMSTART
	v_pk_mul_f16 v9, v81, v73;

	;;#ASMEND
	;;#ASMSTART
	v_pk_mul_f16 v10, v80, v72;

	;;#ASMEND
	;;#ASMSTART
	v_pk_add_f16 v0, v0, v6;

	;;#ASMEND
	;;#ASMSTART
	v_pk_add_f16 v0, v0, v9;

	;;#ASMEND
	;; [unrolled: 4-line block ×3, first 2 shown]
	v_and_b32_e32 v6, 0xffff, v0
	v_lshrrev_b32_e32 v0, 16, v0
	;;#ASMSTART
	v_cvt_f32_f16 v60, v6;
	;;#ASMEND
	;;#ASMSTART
	v_cvt_f32_f16 v61, v0;
	;;#ASMEND
	flat_load_dwordx2 v[9:10], v[7:8] offset:512
	flat_load_dword v6, v[120:121]
	v_mov_b32_e32 v62, 0
	v_mov_b32_e32 v63, 0
	s_waitcnt vmcnt(1) lgkmcnt(1)
	v_cmp_ne_u16_sdwa s4, v9, v1 src0_sel:BYTE_0 src1_sel:DWORD
	s_and_saveexec_b32 s13, s4
	s_cbranch_execz .LBB327_2763
; %bb.2756:                             ;   in Loop: Header=BB327_1567 Depth=1
	v_cmp_ne_u16_sdwa s4, v9, v17 src0_sel:BYTE_0 src1_sel:DWORD
	v_mov_b32_e32 v63, 0x8000
	s_and_saveexec_b32 s15, s4
	s_cbranch_execz .LBB327_2762
; %bb.2757:                             ;   in Loop: Header=BB327_1567 Depth=1
	v_and_b32_e32 v72, 0x7f, v9
	v_mov_b32_e32 v63, 0x7c01
	s_mov_b32 s18, exec_lo
	v_cmpx_ne_u32_e32 0x7f, v72
	s_cbranch_execz .LBB327_2761
; %bb.2758:                             ;   in Loop: Header=BB327_1567 Depth=1
	v_and_b32_e32 v0, 7, v9
	v_lshrrev_b32_e32 v63, 3, v72
	s_mov_b32 s20, exec_lo
	v_cmpx_gt_u32_e32 8, v72
; %bb.2759:                             ;   in Loop: Header=BB327_1567 Depth=1
	v_ffbh_u32_e32 v0, v0
	v_min_u32_e32 v0, 32, v0
	v_subrev_nc_u32_e32 v26, 28, v0
	v_sub_nc_u32_e32 v63, 29, v0
	v_lshlrev_b64 v[26:27], v26, v[9:10]
	v_and_b32_e32 v0, 7, v26
; %bb.2760:                             ;   in Loop: Header=BB327_1567 Depth=1
	s_or_b32 exec_lo, exec_lo, s20
	v_lshlrev_b32_e32 v26, 8, v9
	v_lshl_add_u32 v27, v63, 10, 0x2000
	v_lshlrev_b32_e32 v0, 7, v0
	v_and_b32_e32 v26, 0x8000, v26
	v_and_b32_e32 v27, 0xfc00, v27
	v_or3_b32 v63, v26, v27, v0
.LBB327_2761:                           ;   in Loop: Header=BB327_1567 Depth=1
	s_or_b32 exec_lo, exec_lo, s18
.LBB327_2762:                           ;   in Loop: Header=BB327_1567 Depth=1
	s_or_b32 exec_lo, exec_lo, s15
.LBB327_2763:                           ;   in Loop: Header=BB327_1567 Depth=1
	s_or_b32 exec_lo, exec_lo, s13
	v_lshrrev_b16 v0, 8, v9
	s_mov_b32 s13, exec_lo
	v_cmpx_ne_u16_e32 0, v0
	s_cbranch_execz .LBB327_2771
; %bb.2764:                             ;   in Loop: Header=BB327_1567 Depth=1
	v_bfrev_b32_e32 v62, 1
	s_mov_b32 s15, exec_lo
	v_cmpx_ne_u16_e32 0x80, v0
	s_cbranch_execz .LBB327_2770
; %bb.2765:                             ;   in Loop: Header=BB327_1567 Depth=1
	v_and_b32_sdwa v73, v0, v38 dst_sel:DWORD dst_unused:UNUSED_PAD src0_sel:WORD_0 src1_sel:DWORD
	v_mov_b32_e32 v62, 0x7c010000
	s_mov_b32 s18, exec_lo
	v_cmpx_ne_u32_e32 0x7f, v73
	s_cbranch_execz .LBB327_2769
; %bb.2766:                             ;   in Loop: Header=BB327_1567 Depth=1
	v_and_b32_sdwa v62, v0, v39 dst_sel:DWORD dst_unused:UNUSED_PAD src0_sel:WORD_0 src1_sel:DWORD
	v_lshrrev_b32_e32 v72, 3, v73
	s_mov_b32 s20, exec_lo
	v_cmpx_gt_u32_e32 8, v73
; %bb.2767:                             ;   in Loop: Header=BB327_1567 Depth=1
	v_ffbh_u32_e32 v26, v62
	v_min_u32_e32 v62, 32, v26
	v_subrev_nc_u32_e32 v26, 28, v62
	v_sub_nc_u32_e32 v72, 29, v62
	v_lshlrev_b64 v[26:27], v26, v[0:1]
	v_and_b32_e32 v62, 7, v26
; %bb.2768:                             ;   in Loop: Header=BB327_1567 Depth=1
	s_or_b32 exec_lo, exec_lo, s20
	v_lshlrev_b32_sdwa v0, v69, v0 dst_sel:DWORD dst_unused:UNUSED_PAD src0_sel:DWORD src1_sel:WORD_0
	v_lshl_add_u32 v26, v72, 10, 0x2000
	v_and_or_b32 v0, 0x8000, v0, v26
	v_lshlrev_b32_e32 v26, 23, v62
	v_lshl_or_b32 v62, v0, 16, v26
.LBB327_2769:                           ;   in Loop: Header=BB327_1567 Depth=1
	s_or_b32 exec_lo, exec_lo, s18
.LBB327_2770:                           ;   in Loop: Header=BB327_1567 Depth=1
	s_or_b32 exec_lo, exec_lo, s15
.LBB327_2771:                           ;   in Loop: Header=BB327_1567 Depth=1
	s_or_b32 exec_lo, exec_lo, s13
	v_lshrrev_b32_e32 v0, 16, v9
	v_mov_b32_e32 v72, 0
	v_mov_b32_e32 v73, 0
	v_cmp_ne_u16_sdwa s4, v0, v1 src0_sel:BYTE_0 src1_sel:DWORD
	s_and_saveexec_b32 s13, s4
	s_cbranch_execz .LBB327_2779
; %bb.2772:                             ;   in Loop: Header=BB327_1567 Depth=1
	v_cmp_ne_u16_sdwa s4, v0, v17 src0_sel:BYTE_0 src1_sel:DWORD
	v_mov_b32_e32 v73, 0x8000
	s_and_saveexec_b32 s15, s4
	s_cbranch_execz .LBB327_2778
; %bb.2773:                             ;   in Loop: Header=BB327_1567 Depth=1
	v_bfe_u32 v75, v9, 16, 7
	v_mov_b32_e32 v73, 0x7c01
	s_mov_b32 s18, exec_lo
	v_cmpx_ne_u32_e32 0x7f, v75
	s_cbranch_execz .LBB327_2777
; %bb.2774:                             ;   in Loop: Header=BB327_1567 Depth=1
	v_and_b32_e32 v73, 7, v0
	v_lshrrev_b32_e32 v74, 3, v75
	s_mov_b32 s20, exec_lo
	v_cmpx_gt_u32_e32 8, v75
; %bb.2775:                             ;   in Loop: Header=BB327_1567 Depth=1
	v_ffbh_u32_e32 v26, v73
	v_min_u32_e32 v73, 32, v26
	v_subrev_nc_u32_e32 v26, 28, v73
	v_sub_nc_u32_e32 v74, 29, v73
	v_lshlrev_b64 v[26:27], v26, v[0:1]
	v_and_b32_e32 v73, 7, v26
; %bb.2776:                             ;   in Loop: Header=BB327_1567 Depth=1
	s_or_b32 exec_lo, exec_lo, s20
	v_lshlrev_b32_e32 v0, 8, v0
	v_lshl_add_u32 v26, v74, 10, 0x2000
	v_lshlrev_b32_e32 v27, 7, v73
	v_and_b32_e32 v0, 0x8000, v0
	v_and_b32_e32 v26, 0xfc00, v26
	v_or3_b32 v73, v0, v26, v27
.LBB327_2777:                           ;   in Loop: Header=BB327_1567 Depth=1
	s_or_b32 exec_lo, exec_lo, s18
.LBB327_2778:                           ;   in Loop: Header=BB327_1567 Depth=1
	s_or_b32 exec_lo, exec_lo, s15
.LBB327_2779:                           ;   in Loop: Header=BB327_1567 Depth=1
	s_or_b32 exec_lo, exec_lo, s13
	s_mov_b32 s13, exec_lo
	v_cmpx_lt_u32_e32 0xffffff, v9
	s_cbranch_execz .LBB327_2787
; %bb.2780:                             ;   in Loop: Header=BB327_1567 Depth=1
	v_lshrrev_b32_e32 v0, 24, v9
	v_bfrev_b32_e32 v72, 1
	s_mov_b32 s15, exec_lo
	v_cmpx_ne_u32_e32 0x80, v0
	s_cbranch_execz .LBB327_2786
; %bb.2781:                             ;   in Loop: Header=BB327_1567 Depth=1
	v_and_b32_e32 v75, 0x7f, v0
	v_mov_b32_e32 v72, 0x7c010000
	s_mov_b32 s18, exec_lo
	v_cmpx_ne_u32_e32 0x7f, v75
	s_cbranch_execz .LBB327_2785
; %bb.2782:                             ;   in Loop: Header=BB327_1567 Depth=1
	v_and_b32_e32 v72, 7, v0
	v_lshrrev_b32_e32 v74, 3, v75
	s_mov_b32 s20, exec_lo
	v_cmpx_gt_u32_e32 8, v75
; %bb.2783:                             ;   in Loop: Header=BB327_1567 Depth=1
	v_ffbh_u32_e32 v26, v72
	v_min_u32_e32 v72, 32, v26
	v_subrev_nc_u32_e32 v26, 28, v72
	v_sub_nc_u32_e32 v74, 29, v72
	v_lshlrev_b64 v[26:27], v26, v[0:1]
	v_and_b32_e32 v72, 7, v26
; %bb.2784:                             ;   in Loop: Header=BB327_1567 Depth=1
	s_or_b32 exec_lo, exec_lo, s20
	v_lshlrev_b32_e32 v0, 8, v0
	v_lshl_add_u32 v26, v74, 10, 0x2000
	v_and_or_b32 v0, 0x8000, v0, v26
	v_lshlrev_b32_e32 v26, 23, v72
	v_lshl_or_b32 v72, v0, 16, v26
.LBB327_2785:                           ;   in Loop: Header=BB327_1567 Depth=1
	s_or_b32 exec_lo, exec_lo, s18
.LBB327_2786:                           ;   in Loop: Header=BB327_1567 Depth=1
	s_or_b32 exec_lo, exec_lo, s15
.LBB327_2787:                           ;   in Loop: Header=BB327_1567 Depth=1
	s_or_b32 exec_lo, exec_lo, s13
	v_mov_b32_e32 v0, v10
	v_cmp_ne_u16_sdwa s4, v10, v1 src0_sel:BYTE_0 src1_sel:DWORD
	v_mov_b32_e32 v74, 0
	v_mov_b32_e32 v75, 0
	s_and_saveexec_b32 s13, s4
	s_cbranch_execz .LBB327_2795
; %bb.2788:                             ;   in Loop: Header=BB327_1567 Depth=1
	v_cmp_ne_u16_sdwa s4, v10, v17 src0_sel:BYTE_0 src1_sel:DWORD
	v_mov_b32_e32 v75, 0x8000
	s_and_saveexec_b32 s15, s4
	s_cbranch_execz .LBB327_2794
; %bb.2789:                             ;   in Loop: Header=BB327_1567 Depth=1
	v_and_b32_e32 v77, 0x7f, v10
	v_mov_b32_e32 v75, 0x7c01
	s_mov_b32 s18, exec_lo
	v_cmpx_ne_u32_e32 0x7f, v77
	s_cbranch_execz .LBB327_2793
; %bb.2790:                             ;   in Loop: Header=BB327_1567 Depth=1
	v_and_b32_e32 v75, 7, v10
	v_lshrrev_b32_e32 v76, 3, v77
	s_mov_b32 s20, exec_lo
	v_cmpx_gt_u32_e32 8, v77
; %bb.2791:                             ;   in Loop: Header=BB327_1567 Depth=1
	v_ffbh_u32_e32 v26, v75
	v_min_u32_e32 v75, 32, v26
	v_subrev_nc_u32_e32 v26, 28, v75
	v_sub_nc_u32_e32 v76, 29, v75
	v_lshlrev_b64 v[26:27], v26, v[0:1]
	v_and_b32_e32 v75, 7, v26
; %bb.2792:                             ;   in Loop: Header=BB327_1567 Depth=1
	s_or_b32 exec_lo, exec_lo, s20
	v_lshlrev_b32_e32 v26, 8, v10
	v_lshl_add_u32 v27, v76, 10, 0x2000
	v_lshlrev_b32_e32 v75, 7, v75
	v_and_b32_e32 v26, 0x8000, v26
	v_and_b32_e32 v27, 0xfc00, v27
	v_or3_b32 v75, v26, v27, v75
.LBB327_2793:                           ;   in Loop: Header=BB327_1567 Depth=1
	s_or_b32 exec_lo, exec_lo, s18
.LBB327_2794:                           ;   in Loop: Header=BB327_1567 Depth=1
	s_or_b32 exec_lo, exec_lo, s15
.LBB327_2795:                           ;   in Loop: Header=BB327_1567 Depth=1
	s_or_b32 exec_lo, exec_lo, s13
	v_lshrrev_b16 v0, 8, v0
	v_mov_b32_e32 v76, 0
	s_mov_b32 s13, exec_lo
	v_cmpx_ne_u16_e32 0, v0
	s_cbranch_execz .LBB327_2803
; %bb.2796:                             ;   in Loop: Header=BB327_1567 Depth=1
	v_bfrev_b32_e32 v76, 1
	s_mov_b32 s15, exec_lo
	v_cmpx_ne_u16_e32 0x80, v0
	s_cbranch_execz .LBB327_2802
; %bb.2797:                             ;   in Loop: Header=BB327_1567 Depth=1
	v_and_b32_sdwa v78, v0, v38 dst_sel:DWORD dst_unused:UNUSED_PAD src0_sel:WORD_0 src1_sel:DWORD
	v_mov_b32_e32 v76, 0x7c010000
	s_mov_b32 s18, exec_lo
	v_cmpx_ne_u32_e32 0x7f, v78
	s_cbranch_execz .LBB327_2801
; %bb.2798:                             ;   in Loop: Header=BB327_1567 Depth=1
	v_and_b32_sdwa v76, v0, v39 dst_sel:DWORD dst_unused:UNUSED_PAD src0_sel:WORD_0 src1_sel:DWORD
	v_lshrrev_b32_e32 v77, 3, v78
	s_mov_b32 s20, exec_lo
	v_cmpx_gt_u32_e32 8, v78
; %bb.2799:                             ;   in Loop: Header=BB327_1567 Depth=1
	v_ffbh_u32_e32 v26, v76
	v_min_u32_e32 v76, 32, v26
	v_subrev_nc_u32_e32 v26, 28, v76
	v_sub_nc_u32_e32 v77, 29, v76
	v_lshlrev_b64 v[26:27], v26, v[0:1]
	v_and_b32_e32 v76, 7, v26
; %bb.2800:                             ;   in Loop: Header=BB327_1567 Depth=1
	s_or_b32 exec_lo, exec_lo, s20
	v_lshlrev_b32_sdwa v0, v69, v0 dst_sel:DWORD dst_unused:UNUSED_PAD src0_sel:DWORD src1_sel:WORD_0
	v_lshl_add_u32 v26, v77, 10, 0x2000
	v_and_or_b32 v0, 0x8000, v0, v26
	v_lshlrev_b32_e32 v26, 23, v76
	v_lshl_or_b32 v76, v0, 16, v26
.LBB327_2801:                           ;   in Loop: Header=BB327_1567 Depth=1
	s_or_b32 exec_lo, exec_lo, s18
.LBB327_2802:                           ;   in Loop: Header=BB327_1567 Depth=1
	s_or_b32 exec_lo, exec_lo, s15
.LBB327_2803:                           ;   in Loop: Header=BB327_1567 Depth=1
	s_or_b32 exec_lo, exec_lo, s13
	v_lshrrev_b32_e32 v0, 16, v10
	v_cmp_ne_u16_sdwa s4, v0, v1 src0_sel:BYTE_0 src1_sel:DWORD
	s_and_saveexec_b32 s13, s4
	s_cbranch_execz .LBB327_2811
; %bb.2804:                             ;   in Loop: Header=BB327_1567 Depth=1
	v_cmp_ne_u16_sdwa s4, v0, v17 src0_sel:BYTE_0 src1_sel:DWORD
	v_mov_b32_e32 v74, 0x8000
	s_and_saveexec_b32 s15, s4
	s_cbranch_execz .LBB327_2810
; %bb.2805:                             ;   in Loop: Header=BB327_1567 Depth=1
	v_bfe_u32 v78, v10, 16, 7
	v_mov_b32_e32 v74, 0x7c01
	s_mov_b32 s18, exec_lo
	v_cmpx_ne_u32_e32 0x7f, v78
	s_cbranch_execz .LBB327_2809
; %bb.2806:                             ;   in Loop: Header=BB327_1567 Depth=1
	v_and_b32_e32 v74, 7, v0
	v_lshrrev_b32_e32 v77, 3, v78
	s_mov_b32 s20, exec_lo
	v_cmpx_gt_u32_e32 8, v78
; %bb.2807:                             ;   in Loop: Header=BB327_1567 Depth=1
	v_ffbh_u32_e32 v26, v74
	v_min_u32_e32 v74, 32, v26
	v_subrev_nc_u32_e32 v26, 28, v74
	v_sub_nc_u32_e32 v77, 29, v74
	v_lshlrev_b64 v[26:27], v26, v[0:1]
	v_and_b32_e32 v74, 7, v26
; %bb.2808:                             ;   in Loop: Header=BB327_1567 Depth=1
	s_or_b32 exec_lo, exec_lo, s20
	v_lshlrev_b32_e32 v0, 8, v0
	v_lshl_add_u32 v26, v77, 10, 0x2000
	v_lshlrev_b32_e32 v27, 7, v74
	v_and_b32_e32 v0, 0x8000, v0
	v_and_b32_e32 v26, 0xfc00, v26
	v_or3_b32 v74, v0, v26, v27
.LBB327_2809:                           ;   in Loop: Header=BB327_1567 Depth=1
	s_or_b32 exec_lo, exec_lo, s18
.LBB327_2810:                           ;   in Loop: Header=BB327_1567 Depth=1
	s_or_b32 exec_lo, exec_lo, s15
.LBB327_2811:                           ;   in Loop: Header=BB327_1567 Depth=1
	s_or_b32 exec_lo, exec_lo, s13
	v_cmp_lt_u64_e64 s4, s[8:9], v[9:10]
	v_mov_b32_e32 v9, 0
	s_and_saveexec_b32 s13, s4
	s_cbranch_execz .LBB327_2819
; %bb.2812:                             ;   in Loop: Header=BB327_1567 Depth=1
	v_lshrrev_b32_e32 v0, 24, v10
	v_bfrev_b32_e32 v9, 1
	s_mov_b32 s15, exec_lo
	v_cmpx_ne_u32_e32 0x80, v0
	s_cbranch_execz .LBB327_2818
; %bb.2813:                             ;   in Loop: Header=BB327_1567 Depth=1
	v_and_b32_e32 v77, 0x7f, v0
	v_mov_b32_e32 v9, 0x7c010000
	s_mov_b32 s18, exec_lo
	v_cmpx_ne_u32_e32 0x7f, v77
	s_cbranch_execz .LBB327_2817
; %bb.2814:                             ;   in Loop: Header=BB327_1567 Depth=1
	v_and_b32_e32 v9, 7, v0
	v_lshrrev_b32_e32 v10, 3, v77
	s_mov_b32 s20, exec_lo
	v_cmpx_gt_u32_e32 8, v77
; %bb.2815:                             ;   in Loop: Header=BB327_1567 Depth=1
	v_ffbh_u32_e32 v9, v9
	v_min_u32_e32 v26, 32, v9
	v_subrev_nc_u32_e32 v9, 28, v26
	v_lshlrev_b64 v[9:10], v9, v[0:1]
	v_sub_nc_u32_e32 v10, 29, v26
	v_and_b32_e32 v9, 7, v9
; %bb.2816:                             ;   in Loop: Header=BB327_1567 Depth=1
	s_or_b32 exec_lo, exec_lo, s20
	v_lshlrev_b32_e32 v0, 8, v0
	v_lshl_add_u32 v10, v10, 10, 0x2000
	v_lshlrev_b32_e32 v9, 23, v9
	v_and_or_b32 v0, 0x8000, v0, v10
	v_lshl_or_b32 v9, v0, 16, v9
.LBB327_2817:                           ;   in Loop: Header=BB327_1567 Depth=1
	s_or_b32 exec_lo, exec_lo, s18
.LBB327_2818:                           ;   in Loop: Header=BB327_1567 Depth=1
	s_or_b32 exec_lo, exec_lo, s15
.LBB327_2819:                           ;   in Loop: Header=BB327_1567 Depth=1
	s_or_b32 exec_lo, exec_lo, s13
	v_or_b32_e32 v0, v72, v73
	s_waitcnt vmcnt(0) lgkmcnt(0)
	v_fma_mixlo_f16 v10, v6, v72, 0 op_sel:[0,1,0] op_sel_hi:[0,1,0]
	v_or_b32_e32 v26, v62, v63
	v_fma_mixlo_f16 v27, v6, v62, 0 op_sel:[0,1,0] op_sel_hi:[0,1,0]
	v_or_b32_e32 v62, v76, v75
	v_fma_mixlo_f16 v72, v6, v0, 0 op_sel_hi:[0,1,0]
	v_or_b32_e32 v73, v9, v74
	v_lshlrev_b32_e32 v0, 16, v10
	v_lshlrev_b32_e32 v63, 16, v27
	v_fma_mixlo_f16 v26, v6, v26, 0 op_sel_hi:[0,1,0]
	v_and_b32_e32 v10, 0xffff, v72
	v_fma_mixlo_f16 v27, v6, v76, 0 op_sel:[0,1,0] op_sel_hi:[0,1,0]
	v_fma_mixlo_f16 v62, v6, v62, 0 op_sel_hi:[0,1,0]
	v_fma_mixlo_f16 v72, v6, v9, 0 op_sel:[0,1,0] op_sel_hi:[0,1,0]
	v_fma_mixlo_f16 v74, v6, v73, 0 op_sel_hi:[0,1,0]
	v_and_b32_e32 v77, 0xffff, v26
	v_lshlrev_b32_e32 v9, 16, v27
	v_and_b32_e32 v73, 0xffff, v62
	v_lshlrev_b32_e32 v6, 16, v72
	v_and_b32_e32 v62, 0xffff, v74
	v_or_b32_e32 v72, v0, v10
	v_or_b32_e32 v76, v63, v77
	;; [unrolled: 1-line block ×4, first 2 shown]
	s_and_saveexec_b32 s13, vcc_lo
	s_cbranch_execz .LBB327_2821
; %bb.2820:                             ;   in Loop: Header=BB327_1567 Depth=1
	v_cmp_lt_i32_e64 s4, v71, v36
	v_cndmask_b32_e64 v26, 0, v77, s4
	v_cmp_lt_i32_e64 s4, v100, v36
	v_cndmask_b32_e64 v27, 0, v63, s4
	v_cmp_lt_i32_e64 s4, v99, v36
	v_or_b32_e32 v76, v26, v27
	v_cndmask_b32_e64 v10, 0, v10, s4
	v_cmp_lt_i32_e64 s4, v98, v36
	v_cndmask_b32_e64 v0, 0, v0, s4
	v_cmp_lt_i32_e64 s4, v97, v36
	v_or_b32_e32 v72, v10, v0
	;; [unrolled: 5-line block ×3, first 2 shown]
	v_cndmask_b32_e64 v62, 0, v62, s4
	v_cmp_lt_i32_e64 s4, v86, v36
	v_cndmask_b32_e64 v6, 0, v6, s4
	v_or_b32_e32 v74, v62, v6
.LBB327_2821:                           ;   in Loop: Header=BB327_1567 Depth=1
	s_or_b32 exec_lo, exec_lo, s13
	;;#ASMSTART
	v_pk_mul_f16 v0, v83, v76;

	;;#ASMEND
	;;#ASMSTART
	v_pk_mul_f16 v6, v82, v72;

	;;#ASMEND
	;; [unrolled: 4-line block ×4, first 2 shown]
	;;#ASMSTART
	v_pk_add_f16 v0, v0, v6;

	;;#ASMEND
	;;#ASMSTART
	v_pk_add_f16 v0, v0, v9;

	;;#ASMEND
	;; [unrolled: 4-line block ×3, first 2 shown]
	v_and_b32_e32 v6, 0xffff, v0
	v_lshrrev_b32_e32 v0, 16, v0
	;;#ASMSTART
	v_cvt_f32_f16 v62, v6;
	;;#ASMEND
	;;#ASMSTART
	v_cvt_f32_f16 v63, v0;
	;;#ASMEND
	flat_load_dwordx2 v[9:10], v[7:8] offset:768
	flat_load_dword v6, v[120:121]
	v_mov_b32_e32 v72, 0
	v_mov_b32_e32 v73, 0
	s_waitcnt vmcnt(1) lgkmcnt(1)
	v_cmp_ne_u16_sdwa s4, v9, v1 src0_sel:BYTE_0 src1_sel:DWORD
	s_and_saveexec_b32 s13, s4
	s_cbranch_execz .LBB327_2829
; %bb.2822:                             ;   in Loop: Header=BB327_1567 Depth=1
	v_cmp_ne_u16_sdwa s4, v9, v17 src0_sel:BYTE_0 src1_sel:DWORD
	v_mov_b32_e32 v73, 0x8000
	s_and_saveexec_b32 s15, s4
	s_cbranch_execz .LBB327_2828
; %bb.2823:                             ;   in Loop: Header=BB327_1567 Depth=1
	v_and_b32_e32 v74, 0x7f, v9
	v_mov_b32_e32 v73, 0x7c01
	s_mov_b32 s18, exec_lo
	v_cmpx_ne_u32_e32 0x7f, v74
	s_cbranch_execz .LBB327_2827
; %bb.2824:                             ;   in Loop: Header=BB327_1567 Depth=1
	v_and_b32_e32 v0, 7, v9
	v_lshrrev_b32_e32 v73, 3, v74
	s_mov_b32 s20, exec_lo
	v_cmpx_gt_u32_e32 8, v74
; %bb.2825:                             ;   in Loop: Header=BB327_1567 Depth=1
	v_ffbh_u32_e32 v0, v0
	v_min_u32_e32 v0, 32, v0
	v_subrev_nc_u32_e32 v26, 28, v0
	v_sub_nc_u32_e32 v73, 29, v0
	v_lshlrev_b64 v[26:27], v26, v[9:10]
	v_and_b32_e32 v0, 7, v26
; %bb.2826:                             ;   in Loop: Header=BB327_1567 Depth=1
	s_or_b32 exec_lo, exec_lo, s20
	v_lshlrev_b32_e32 v26, 8, v9
	v_lshl_add_u32 v27, v73, 10, 0x2000
	v_lshlrev_b32_e32 v0, 7, v0
	v_and_b32_e32 v26, 0x8000, v26
	v_and_b32_e32 v27, 0xfc00, v27
	v_or3_b32 v73, v26, v27, v0
.LBB327_2827:                           ;   in Loop: Header=BB327_1567 Depth=1
	s_or_b32 exec_lo, exec_lo, s18
.LBB327_2828:                           ;   in Loop: Header=BB327_1567 Depth=1
	s_or_b32 exec_lo, exec_lo, s15
.LBB327_2829:                           ;   in Loop: Header=BB327_1567 Depth=1
	s_or_b32 exec_lo, exec_lo, s13
	v_lshrrev_b16 v0, 8, v9
	s_mov_b32 s13, exec_lo
	v_cmpx_ne_u16_e32 0, v0
	s_cbranch_execz .LBB327_2837
; %bb.2830:                             ;   in Loop: Header=BB327_1567 Depth=1
	v_bfrev_b32_e32 v72, 1
	s_mov_b32 s15, exec_lo
	v_cmpx_ne_u16_e32 0x80, v0
	s_cbranch_execz .LBB327_2836
; %bb.2831:                             ;   in Loop: Header=BB327_1567 Depth=1
	v_and_b32_sdwa v75, v0, v38 dst_sel:DWORD dst_unused:UNUSED_PAD src0_sel:WORD_0 src1_sel:DWORD
	v_mov_b32_e32 v72, 0x7c010000
	s_mov_b32 s18, exec_lo
	v_cmpx_ne_u32_e32 0x7f, v75
	s_cbranch_execz .LBB327_2835
; %bb.2832:                             ;   in Loop: Header=BB327_1567 Depth=1
	v_and_b32_sdwa v72, v0, v39 dst_sel:DWORD dst_unused:UNUSED_PAD src0_sel:WORD_0 src1_sel:DWORD
	v_lshrrev_b32_e32 v74, 3, v75
	s_mov_b32 s20, exec_lo
	v_cmpx_gt_u32_e32 8, v75
; %bb.2833:                             ;   in Loop: Header=BB327_1567 Depth=1
	v_ffbh_u32_e32 v26, v72
	v_min_u32_e32 v72, 32, v26
	v_subrev_nc_u32_e32 v26, 28, v72
	v_sub_nc_u32_e32 v74, 29, v72
	v_lshlrev_b64 v[26:27], v26, v[0:1]
	v_and_b32_e32 v72, 7, v26
; %bb.2834:                             ;   in Loop: Header=BB327_1567 Depth=1
	s_or_b32 exec_lo, exec_lo, s20
	v_lshlrev_b32_sdwa v0, v69, v0 dst_sel:DWORD dst_unused:UNUSED_PAD src0_sel:DWORD src1_sel:WORD_0
	v_lshl_add_u32 v26, v74, 10, 0x2000
	v_and_or_b32 v0, 0x8000, v0, v26
	v_lshlrev_b32_e32 v26, 23, v72
	v_lshl_or_b32 v72, v0, 16, v26
.LBB327_2835:                           ;   in Loop: Header=BB327_1567 Depth=1
	s_or_b32 exec_lo, exec_lo, s18
.LBB327_2836:                           ;   in Loop: Header=BB327_1567 Depth=1
	s_or_b32 exec_lo, exec_lo, s15
.LBB327_2837:                           ;   in Loop: Header=BB327_1567 Depth=1
	s_or_b32 exec_lo, exec_lo, s13
	v_lshrrev_b32_e32 v0, 16, v9
	v_mov_b32_e32 v74, 0
	v_mov_b32_e32 v75, 0
	v_cmp_ne_u16_sdwa s4, v0, v1 src0_sel:BYTE_0 src1_sel:DWORD
	s_and_saveexec_b32 s13, s4
	s_cbranch_execz .LBB327_2845
; %bb.2838:                             ;   in Loop: Header=BB327_1567 Depth=1
	v_cmp_ne_u16_sdwa s4, v0, v17 src0_sel:BYTE_0 src1_sel:DWORD
	v_mov_b32_e32 v75, 0x8000
	s_and_saveexec_b32 s15, s4
	s_cbranch_execz .LBB327_2844
; %bb.2839:                             ;   in Loop: Header=BB327_1567 Depth=1
	v_bfe_u32 v77, v9, 16, 7
	v_mov_b32_e32 v75, 0x7c01
	s_mov_b32 s18, exec_lo
	v_cmpx_ne_u32_e32 0x7f, v77
	s_cbranch_execz .LBB327_2843
; %bb.2840:                             ;   in Loop: Header=BB327_1567 Depth=1
	v_and_b32_e32 v75, 7, v0
	v_lshrrev_b32_e32 v76, 3, v77
	s_mov_b32 s20, exec_lo
	v_cmpx_gt_u32_e32 8, v77
; %bb.2841:                             ;   in Loop: Header=BB327_1567 Depth=1
	v_ffbh_u32_e32 v26, v75
	v_min_u32_e32 v75, 32, v26
	v_subrev_nc_u32_e32 v26, 28, v75
	v_sub_nc_u32_e32 v76, 29, v75
	v_lshlrev_b64 v[26:27], v26, v[0:1]
	v_and_b32_e32 v75, 7, v26
; %bb.2842:                             ;   in Loop: Header=BB327_1567 Depth=1
	s_or_b32 exec_lo, exec_lo, s20
	v_lshlrev_b32_e32 v0, 8, v0
	v_lshl_add_u32 v26, v76, 10, 0x2000
	v_lshlrev_b32_e32 v27, 7, v75
	v_and_b32_e32 v0, 0x8000, v0
	v_and_b32_e32 v26, 0xfc00, v26
	v_or3_b32 v75, v0, v26, v27
.LBB327_2843:                           ;   in Loop: Header=BB327_1567 Depth=1
	s_or_b32 exec_lo, exec_lo, s18
.LBB327_2844:                           ;   in Loop: Header=BB327_1567 Depth=1
	s_or_b32 exec_lo, exec_lo, s15
.LBB327_2845:                           ;   in Loop: Header=BB327_1567 Depth=1
	s_or_b32 exec_lo, exec_lo, s13
	s_mov_b32 s13, exec_lo
	v_cmpx_lt_u32_e32 0xffffff, v9
	s_cbranch_execz .LBB327_2853
; %bb.2846:                             ;   in Loop: Header=BB327_1567 Depth=1
	v_lshrrev_b32_e32 v0, 24, v9
	v_bfrev_b32_e32 v74, 1
	s_mov_b32 s15, exec_lo
	v_cmpx_ne_u32_e32 0x80, v0
	s_cbranch_execz .LBB327_2852
; %bb.2847:                             ;   in Loop: Header=BB327_1567 Depth=1
	v_and_b32_e32 v77, 0x7f, v0
	v_mov_b32_e32 v74, 0x7c010000
	s_mov_b32 s18, exec_lo
	v_cmpx_ne_u32_e32 0x7f, v77
	s_cbranch_execz .LBB327_2851
; %bb.2848:                             ;   in Loop: Header=BB327_1567 Depth=1
	v_and_b32_e32 v74, 7, v0
	v_lshrrev_b32_e32 v76, 3, v77
	s_mov_b32 s20, exec_lo
	v_cmpx_gt_u32_e32 8, v77
; %bb.2849:                             ;   in Loop: Header=BB327_1567 Depth=1
	v_ffbh_u32_e32 v26, v74
	v_min_u32_e32 v74, 32, v26
	v_subrev_nc_u32_e32 v26, 28, v74
	v_sub_nc_u32_e32 v76, 29, v74
	v_lshlrev_b64 v[26:27], v26, v[0:1]
	v_and_b32_e32 v74, 7, v26
; %bb.2850:                             ;   in Loop: Header=BB327_1567 Depth=1
	s_or_b32 exec_lo, exec_lo, s20
	v_lshlrev_b32_e32 v0, 8, v0
	v_lshl_add_u32 v26, v76, 10, 0x2000
	v_and_or_b32 v0, 0x8000, v0, v26
	v_lshlrev_b32_e32 v26, 23, v74
	v_lshl_or_b32 v74, v0, 16, v26
.LBB327_2851:                           ;   in Loop: Header=BB327_1567 Depth=1
	s_or_b32 exec_lo, exec_lo, s18
.LBB327_2852:                           ;   in Loop: Header=BB327_1567 Depth=1
	s_or_b32 exec_lo, exec_lo, s15
.LBB327_2853:                           ;   in Loop: Header=BB327_1567 Depth=1
	s_or_b32 exec_lo, exec_lo, s13
	v_mov_b32_e32 v0, v10
	v_cmp_ne_u16_sdwa s4, v10, v1 src0_sel:BYTE_0 src1_sel:DWORD
	v_mov_b32_e32 v76, 0
	v_mov_b32_e32 v77, 0
	s_and_saveexec_b32 s13, s4
	s_cbranch_execz .LBB327_2861
; %bb.2854:                             ;   in Loop: Header=BB327_1567 Depth=1
	v_cmp_ne_u16_sdwa s4, v10, v17 src0_sel:BYTE_0 src1_sel:DWORD
	v_mov_b32_e32 v77, 0x8000
	s_and_saveexec_b32 s15, s4
	s_cbranch_execz .LBB327_2860
; %bb.2855:                             ;   in Loop: Header=BB327_1567 Depth=1
	v_and_b32_e32 v79, 0x7f, v10
	v_mov_b32_e32 v77, 0x7c01
	s_mov_b32 s18, exec_lo
	v_cmpx_ne_u32_e32 0x7f, v79
	s_cbranch_execz .LBB327_2859
; %bb.2856:                             ;   in Loop: Header=BB327_1567 Depth=1
	v_and_b32_e32 v77, 7, v10
	v_lshrrev_b32_e32 v78, 3, v79
	s_mov_b32 s20, exec_lo
	v_cmpx_gt_u32_e32 8, v79
; %bb.2857:                             ;   in Loop: Header=BB327_1567 Depth=1
	v_ffbh_u32_e32 v26, v77
	v_min_u32_e32 v77, 32, v26
	v_subrev_nc_u32_e32 v26, 28, v77
	v_sub_nc_u32_e32 v78, 29, v77
	v_lshlrev_b64 v[26:27], v26, v[0:1]
	v_and_b32_e32 v77, 7, v26
; %bb.2858:                             ;   in Loop: Header=BB327_1567 Depth=1
	s_or_b32 exec_lo, exec_lo, s20
	v_lshlrev_b32_e32 v26, 8, v10
	v_lshl_add_u32 v27, v78, 10, 0x2000
	v_lshlrev_b32_e32 v77, 7, v77
	v_and_b32_e32 v26, 0x8000, v26
	v_and_b32_e32 v27, 0xfc00, v27
	v_or3_b32 v77, v26, v27, v77
.LBB327_2859:                           ;   in Loop: Header=BB327_1567 Depth=1
	s_or_b32 exec_lo, exec_lo, s18
.LBB327_2860:                           ;   in Loop: Header=BB327_1567 Depth=1
	s_or_b32 exec_lo, exec_lo, s15
.LBB327_2861:                           ;   in Loop: Header=BB327_1567 Depth=1
	s_or_b32 exec_lo, exec_lo, s13
	v_lshrrev_b16 v0, 8, v0
	v_mov_b32_e32 v78, 0
	s_mov_b32 s13, exec_lo
	v_cmpx_ne_u16_e32 0, v0
	s_cbranch_execz .LBB327_2869
; %bb.2862:                             ;   in Loop: Header=BB327_1567 Depth=1
	v_bfrev_b32_e32 v78, 1
	s_mov_b32 s15, exec_lo
	v_cmpx_ne_u16_e32 0x80, v0
	s_cbranch_execz .LBB327_2868
; %bb.2863:                             ;   in Loop: Header=BB327_1567 Depth=1
	v_and_b32_sdwa v88, v0, v38 dst_sel:DWORD dst_unused:UNUSED_PAD src0_sel:WORD_0 src1_sel:DWORD
	v_mov_b32_e32 v78, 0x7c010000
	s_mov_b32 s18, exec_lo
	v_cmpx_ne_u32_e32 0x7f, v88
	s_cbranch_execz .LBB327_2867
; %bb.2864:                             ;   in Loop: Header=BB327_1567 Depth=1
	v_and_b32_sdwa v78, v0, v39 dst_sel:DWORD dst_unused:UNUSED_PAD src0_sel:WORD_0 src1_sel:DWORD
	v_lshrrev_b32_e32 v79, 3, v88
	s_mov_b32 s20, exec_lo
	v_cmpx_gt_u32_e32 8, v88
; %bb.2865:                             ;   in Loop: Header=BB327_1567 Depth=1
	v_ffbh_u32_e32 v26, v78
	v_min_u32_e32 v78, 32, v26
	v_subrev_nc_u32_e32 v26, 28, v78
	v_sub_nc_u32_e32 v79, 29, v78
	v_lshlrev_b64 v[26:27], v26, v[0:1]
	v_and_b32_e32 v78, 7, v26
; %bb.2866:                             ;   in Loop: Header=BB327_1567 Depth=1
	s_or_b32 exec_lo, exec_lo, s20
	v_lshlrev_b32_sdwa v0, v69, v0 dst_sel:DWORD dst_unused:UNUSED_PAD src0_sel:DWORD src1_sel:WORD_0
	v_lshl_add_u32 v26, v79, 10, 0x2000
	v_and_or_b32 v0, 0x8000, v0, v26
	v_lshlrev_b32_e32 v26, 23, v78
	v_lshl_or_b32 v78, v0, 16, v26
.LBB327_2867:                           ;   in Loop: Header=BB327_1567 Depth=1
	s_or_b32 exec_lo, exec_lo, s18
.LBB327_2868:                           ;   in Loop: Header=BB327_1567 Depth=1
	s_or_b32 exec_lo, exec_lo, s15
.LBB327_2869:                           ;   in Loop: Header=BB327_1567 Depth=1
	s_or_b32 exec_lo, exec_lo, s13
	v_lshrrev_b32_e32 v0, 16, v10
	v_cmp_ne_u16_sdwa s4, v0, v1 src0_sel:BYTE_0 src1_sel:DWORD
	s_and_saveexec_b32 s13, s4
	s_cbranch_execz .LBB327_2877
; %bb.2870:                             ;   in Loop: Header=BB327_1567 Depth=1
	v_cmp_ne_u16_sdwa s4, v0, v17 src0_sel:BYTE_0 src1_sel:DWORD
	v_mov_b32_e32 v76, 0x8000
	s_and_saveexec_b32 s15, s4
	s_cbranch_execz .LBB327_2876
; %bb.2871:                             ;   in Loop: Header=BB327_1567 Depth=1
	v_bfe_u32 v88, v10, 16, 7
	v_mov_b32_e32 v76, 0x7c01
	s_mov_b32 s18, exec_lo
	v_cmpx_ne_u32_e32 0x7f, v88
	s_cbranch_execz .LBB327_2875
; %bb.2872:                             ;   in Loop: Header=BB327_1567 Depth=1
	v_and_b32_e32 v76, 7, v0
	v_lshrrev_b32_e32 v79, 3, v88
	s_mov_b32 s20, exec_lo
	v_cmpx_gt_u32_e32 8, v88
; %bb.2873:                             ;   in Loop: Header=BB327_1567 Depth=1
	v_ffbh_u32_e32 v26, v76
	v_min_u32_e32 v76, 32, v26
	v_subrev_nc_u32_e32 v26, 28, v76
	v_sub_nc_u32_e32 v79, 29, v76
	v_lshlrev_b64 v[26:27], v26, v[0:1]
	v_and_b32_e32 v76, 7, v26
; %bb.2874:                             ;   in Loop: Header=BB327_1567 Depth=1
	s_or_b32 exec_lo, exec_lo, s20
	v_lshlrev_b32_e32 v0, 8, v0
	v_lshl_add_u32 v26, v79, 10, 0x2000
	v_lshlrev_b32_e32 v27, 7, v76
	v_and_b32_e32 v0, 0x8000, v0
	v_and_b32_e32 v26, 0xfc00, v26
	v_or3_b32 v76, v0, v26, v27
.LBB327_2875:                           ;   in Loop: Header=BB327_1567 Depth=1
	s_or_b32 exec_lo, exec_lo, s18
.LBB327_2876:                           ;   in Loop: Header=BB327_1567 Depth=1
	s_or_b32 exec_lo, exec_lo, s15
.LBB327_2877:                           ;   in Loop: Header=BB327_1567 Depth=1
	s_or_b32 exec_lo, exec_lo, s13
	v_cmp_lt_u64_e64 s4, s[8:9], v[9:10]
	v_mov_b32_e32 v9, 0
	s_and_saveexec_b32 s13, s4
	s_cbranch_execz .LBB327_2885
; %bb.2878:                             ;   in Loop: Header=BB327_1567 Depth=1
	v_lshrrev_b32_e32 v0, 24, v10
	v_bfrev_b32_e32 v9, 1
	s_mov_b32 s15, exec_lo
	v_cmpx_ne_u32_e32 0x80, v0
	s_cbranch_execz .LBB327_2884
; %bb.2879:                             ;   in Loop: Header=BB327_1567 Depth=1
	v_and_b32_e32 v79, 0x7f, v0
	v_mov_b32_e32 v9, 0x7c010000
	s_mov_b32 s18, exec_lo
	v_cmpx_ne_u32_e32 0x7f, v79
	s_cbranch_execz .LBB327_2883
; %bb.2880:                             ;   in Loop: Header=BB327_1567 Depth=1
	v_and_b32_e32 v9, 7, v0
	v_lshrrev_b32_e32 v10, 3, v79
	s_mov_b32 s20, exec_lo
	v_cmpx_gt_u32_e32 8, v79
; %bb.2881:                             ;   in Loop: Header=BB327_1567 Depth=1
	v_ffbh_u32_e32 v9, v9
	v_min_u32_e32 v26, 32, v9
	v_subrev_nc_u32_e32 v9, 28, v26
	v_lshlrev_b64 v[9:10], v9, v[0:1]
	v_sub_nc_u32_e32 v10, 29, v26
	v_and_b32_e32 v9, 7, v9
; %bb.2882:                             ;   in Loop: Header=BB327_1567 Depth=1
	s_or_b32 exec_lo, exec_lo, s20
	v_lshlrev_b32_e32 v0, 8, v0
	v_lshl_add_u32 v10, v10, 10, 0x2000
	v_lshlrev_b32_e32 v9, 23, v9
	v_and_or_b32 v0, 0x8000, v0, v10
	v_lshl_or_b32 v9, v0, 16, v9
.LBB327_2883:                           ;   in Loop: Header=BB327_1567 Depth=1
	s_or_b32 exec_lo, exec_lo, s18
.LBB327_2884:                           ;   in Loop: Header=BB327_1567 Depth=1
	s_or_b32 exec_lo, exec_lo, s15
.LBB327_2885:                           ;   in Loop: Header=BB327_1567 Depth=1
	s_or_b32 exec_lo, exec_lo, s13
	v_or_b32_e32 v0, v74, v75
	s_waitcnt vmcnt(0) lgkmcnt(0)
	v_fma_mixlo_f16 v10, v6, v74, 0 op_sel:[0,1,0] op_sel_hi:[0,1,0]
	v_or_b32_e32 v26, v72, v73
	v_fma_mixlo_f16 v27, v6, v72, 0 op_sel:[0,1,0] op_sel_hi:[0,1,0]
	v_or_b32_e32 v72, v78, v77
	v_fma_mixlo_f16 v74, v6, v0, 0 op_sel_hi:[0,1,0]
	v_or_b32_e32 v75, v9, v76
	v_lshlrev_b32_e32 v0, 16, v10
	v_lshlrev_b32_e32 v73, 16, v27
	v_fma_mixlo_f16 v26, v6, v26, 0 op_sel_hi:[0,1,0]
	v_and_b32_e32 v10, 0xffff, v74
	v_fma_mixlo_f16 v27, v6, v78, 0 op_sel:[0,1,0] op_sel_hi:[0,1,0]
	v_fma_mixlo_f16 v72, v6, v72, 0 op_sel_hi:[0,1,0]
	v_fma_mixlo_f16 v74, v6, v9, 0 op_sel:[0,1,0] op_sel_hi:[0,1,0]
	v_fma_mixlo_f16 v76, v6, v75, 0 op_sel_hi:[0,1,0]
	v_and_b32_e32 v79, 0xffff, v26
	v_lshlrev_b32_e32 v9, 16, v27
	v_and_b32_e32 v75, 0xffff, v72
	v_lshlrev_b32_e32 v6, 16, v74
	v_and_b32_e32 v72, 0xffff, v76
	v_or_b32_e32 v74, v0, v10
	v_or_b32_e32 v78, v73, v79
	;; [unrolled: 1-line block ×4, first 2 shown]
	s_and_saveexec_b32 s13, vcc_lo
	s_cbranch_execz .LBB327_2887
; %bb.2886:                             ;   in Loop: Header=BB327_1567 Depth=1
	v_cmp_lt_i32_e64 s4, v71, v36
	v_cndmask_b32_e64 v26, 0, v79, s4
	v_cmp_lt_i32_e64 s4, v100, v36
	v_cndmask_b32_e64 v27, 0, v73, s4
	v_cmp_lt_i32_e64 s4, v99, v36
	v_or_b32_e32 v78, v26, v27
	v_cndmask_b32_e64 v10, 0, v10, s4
	v_cmp_lt_i32_e64 s4, v98, v36
	v_cndmask_b32_e64 v0, 0, v0, s4
	v_cmp_lt_i32_e64 s4, v97, v36
	v_or_b32_e32 v74, v10, v0
	v_cndmask_b32_e64 v73, 0, v75, s4
	v_cmp_lt_i32_e64 s4, v96, v36
	v_cndmask_b32_e64 v9, 0, v9, s4
	v_cmp_lt_i32_e64 s4, v87, v36
	v_or_b32_e32 v77, v73, v9
	v_cndmask_b32_e64 v72, 0, v72, s4
	v_cmp_lt_i32_e64 s4, v86, v36
	v_cndmask_b32_e64 v6, 0, v6, s4
	v_or_b32_e32 v76, v72, v6
.LBB327_2887:                           ;   in Loop: Header=BB327_1567 Depth=1
	s_or_b32 exec_lo, exec_lo, s13
	;;#ASMSTART
	v_pk_mul_f16 v0, v83, v78;

	;;#ASMEND
	;;#ASMSTART
	v_pk_mul_f16 v6, v82, v74;

	;;#ASMEND
	;; [unrolled: 4-line block ×4, first 2 shown]
	;;#ASMSTART
	v_pk_add_f16 v0, v0, v6;

	;;#ASMEND
	;;#ASMSTART
	v_pk_add_f16 v0, v0, v9;

	;;#ASMEND
	;; [unrolled: 4-line block ×3, first 2 shown]
	v_and_b32_e32 v6, 0xffff, v0
	v_lshrrev_b32_e32 v0, 16, v0
	;;#ASMSTART
	v_cvt_f32_f16 v6, v6;
	;;#ASMEND
	;;#ASMSTART
	v_cvt_f32_f16 v72, v0;
	;;#ASMEND
	flat_load_dwordx2 v[9:10], v[7:8] offset:1024
	flat_load_dword v73, v[120:121]
	v_mov_b32_e32 v74, 0
	v_mov_b32_e32 v75, 0
	s_waitcnt vmcnt(1) lgkmcnt(1)
	v_cmp_ne_u16_sdwa s4, v9, v1 src0_sel:BYTE_0 src1_sel:DWORD
	s_and_saveexec_b32 s13, s4
	s_cbranch_execz .LBB327_2895
; %bb.2888:                             ;   in Loop: Header=BB327_1567 Depth=1
	v_cmp_ne_u16_sdwa s4, v9, v17 src0_sel:BYTE_0 src1_sel:DWORD
	v_mov_b32_e32 v75, 0x8000
	s_and_saveexec_b32 s15, s4
	s_cbranch_execz .LBB327_2894
; %bb.2889:                             ;   in Loop: Header=BB327_1567 Depth=1
	v_and_b32_e32 v76, 0x7f, v9
	v_mov_b32_e32 v75, 0x7c01
	s_mov_b32 s18, exec_lo
	v_cmpx_ne_u32_e32 0x7f, v76
	s_cbranch_execz .LBB327_2893
; %bb.2890:                             ;   in Loop: Header=BB327_1567 Depth=1
	v_and_b32_e32 v0, 7, v9
	v_lshrrev_b32_e32 v75, 3, v76
	s_mov_b32 s20, exec_lo
	v_cmpx_gt_u32_e32 8, v76
; %bb.2891:                             ;   in Loop: Header=BB327_1567 Depth=1
	v_ffbh_u32_e32 v0, v0
	v_min_u32_e32 v0, 32, v0
	v_subrev_nc_u32_e32 v26, 28, v0
	v_sub_nc_u32_e32 v75, 29, v0
	v_lshlrev_b64 v[26:27], v26, v[9:10]
	v_and_b32_e32 v0, 7, v26
; %bb.2892:                             ;   in Loop: Header=BB327_1567 Depth=1
	s_or_b32 exec_lo, exec_lo, s20
	v_lshlrev_b32_e32 v26, 8, v9
	v_lshl_add_u32 v27, v75, 10, 0x2000
	v_lshlrev_b32_e32 v0, 7, v0
	v_and_b32_e32 v26, 0x8000, v26
	v_and_b32_e32 v27, 0xfc00, v27
	v_or3_b32 v75, v26, v27, v0
.LBB327_2893:                           ;   in Loop: Header=BB327_1567 Depth=1
	s_or_b32 exec_lo, exec_lo, s18
.LBB327_2894:                           ;   in Loop: Header=BB327_1567 Depth=1
	s_or_b32 exec_lo, exec_lo, s15
.LBB327_2895:                           ;   in Loop: Header=BB327_1567 Depth=1
	s_or_b32 exec_lo, exec_lo, s13
	v_lshrrev_b16 v0, 8, v9
	s_mov_b32 s13, exec_lo
	v_cmpx_ne_u16_e32 0, v0
	s_cbranch_execz .LBB327_2903
; %bb.2896:                             ;   in Loop: Header=BB327_1567 Depth=1
	v_bfrev_b32_e32 v74, 1
	s_mov_b32 s15, exec_lo
	v_cmpx_ne_u16_e32 0x80, v0
	s_cbranch_execz .LBB327_2902
; %bb.2897:                             ;   in Loop: Header=BB327_1567 Depth=1
	v_and_b32_sdwa v77, v0, v38 dst_sel:DWORD dst_unused:UNUSED_PAD src0_sel:WORD_0 src1_sel:DWORD
	v_mov_b32_e32 v74, 0x7c010000
	s_mov_b32 s18, exec_lo
	v_cmpx_ne_u32_e32 0x7f, v77
	s_cbranch_execz .LBB327_2901
; %bb.2898:                             ;   in Loop: Header=BB327_1567 Depth=1
	v_and_b32_sdwa v74, v0, v39 dst_sel:DWORD dst_unused:UNUSED_PAD src0_sel:WORD_0 src1_sel:DWORD
	v_lshrrev_b32_e32 v76, 3, v77
	s_mov_b32 s20, exec_lo
	v_cmpx_gt_u32_e32 8, v77
; %bb.2899:                             ;   in Loop: Header=BB327_1567 Depth=1
	v_ffbh_u32_e32 v26, v74
	v_min_u32_e32 v74, 32, v26
	v_subrev_nc_u32_e32 v26, 28, v74
	v_sub_nc_u32_e32 v76, 29, v74
	v_lshlrev_b64 v[26:27], v26, v[0:1]
	v_and_b32_e32 v74, 7, v26
; %bb.2900:                             ;   in Loop: Header=BB327_1567 Depth=1
	s_or_b32 exec_lo, exec_lo, s20
	v_lshlrev_b32_sdwa v0, v69, v0 dst_sel:DWORD dst_unused:UNUSED_PAD src0_sel:DWORD src1_sel:WORD_0
	v_lshl_add_u32 v26, v76, 10, 0x2000
	v_and_or_b32 v0, 0x8000, v0, v26
	v_lshlrev_b32_e32 v26, 23, v74
	v_lshl_or_b32 v74, v0, 16, v26
.LBB327_2901:                           ;   in Loop: Header=BB327_1567 Depth=1
	s_or_b32 exec_lo, exec_lo, s18
.LBB327_2902:                           ;   in Loop: Header=BB327_1567 Depth=1
	s_or_b32 exec_lo, exec_lo, s15
.LBB327_2903:                           ;   in Loop: Header=BB327_1567 Depth=1
	s_or_b32 exec_lo, exec_lo, s13
	v_lshrrev_b32_e32 v0, 16, v9
	v_mov_b32_e32 v76, 0
	v_mov_b32_e32 v77, 0
	v_cmp_ne_u16_sdwa s4, v0, v1 src0_sel:BYTE_0 src1_sel:DWORD
	s_and_saveexec_b32 s13, s4
	s_cbranch_execz .LBB327_2911
; %bb.2904:                             ;   in Loop: Header=BB327_1567 Depth=1
	v_cmp_ne_u16_sdwa s4, v0, v17 src0_sel:BYTE_0 src1_sel:DWORD
	v_mov_b32_e32 v77, 0x8000
	s_and_saveexec_b32 s15, s4
	s_cbranch_execz .LBB327_2910
; %bb.2905:                             ;   in Loop: Header=BB327_1567 Depth=1
	v_bfe_u32 v79, v9, 16, 7
	v_mov_b32_e32 v77, 0x7c01
	s_mov_b32 s18, exec_lo
	v_cmpx_ne_u32_e32 0x7f, v79
	s_cbranch_execz .LBB327_2909
; %bb.2906:                             ;   in Loop: Header=BB327_1567 Depth=1
	v_and_b32_e32 v77, 7, v0
	v_lshrrev_b32_e32 v78, 3, v79
	s_mov_b32 s20, exec_lo
	v_cmpx_gt_u32_e32 8, v79
; %bb.2907:                             ;   in Loop: Header=BB327_1567 Depth=1
	v_ffbh_u32_e32 v26, v77
	v_min_u32_e32 v77, 32, v26
	v_subrev_nc_u32_e32 v26, 28, v77
	v_sub_nc_u32_e32 v78, 29, v77
	v_lshlrev_b64 v[26:27], v26, v[0:1]
	v_and_b32_e32 v77, 7, v26
; %bb.2908:                             ;   in Loop: Header=BB327_1567 Depth=1
	s_or_b32 exec_lo, exec_lo, s20
	v_lshlrev_b32_e32 v0, 8, v0
	v_lshl_add_u32 v26, v78, 10, 0x2000
	v_lshlrev_b32_e32 v27, 7, v77
	v_and_b32_e32 v0, 0x8000, v0
	v_and_b32_e32 v26, 0xfc00, v26
	v_or3_b32 v77, v0, v26, v27
.LBB327_2909:                           ;   in Loop: Header=BB327_1567 Depth=1
	s_or_b32 exec_lo, exec_lo, s18
.LBB327_2910:                           ;   in Loop: Header=BB327_1567 Depth=1
	s_or_b32 exec_lo, exec_lo, s15
.LBB327_2911:                           ;   in Loop: Header=BB327_1567 Depth=1
	s_or_b32 exec_lo, exec_lo, s13
	s_mov_b32 s13, exec_lo
	v_cmpx_lt_u32_e32 0xffffff, v9
	s_cbranch_execz .LBB327_2919
; %bb.2912:                             ;   in Loop: Header=BB327_1567 Depth=1
	v_lshrrev_b32_e32 v0, 24, v9
	v_bfrev_b32_e32 v76, 1
	s_mov_b32 s15, exec_lo
	v_cmpx_ne_u32_e32 0x80, v0
	s_cbranch_execz .LBB327_2918
; %bb.2913:                             ;   in Loop: Header=BB327_1567 Depth=1
	v_and_b32_e32 v79, 0x7f, v0
	v_mov_b32_e32 v76, 0x7c010000
	s_mov_b32 s18, exec_lo
	v_cmpx_ne_u32_e32 0x7f, v79
	s_cbranch_execz .LBB327_2917
; %bb.2914:                             ;   in Loop: Header=BB327_1567 Depth=1
	v_and_b32_e32 v76, 7, v0
	v_lshrrev_b32_e32 v78, 3, v79
	s_mov_b32 s20, exec_lo
	v_cmpx_gt_u32_e32 8, v79
; %bb.2915:                             ;   in Loop: Header=BB327_1567 Depth=1
	v_ffbh_u32_e32 v26, v76
	v_min_u32_e32 v76, 32, v26
	v_subrev_nc_u32_e32 v26, 28, v76
	v_sub_nc_u32_e32 v78, 29, v76
	v_lshlrev_b64 v[26:27], v26, v[0:1]
	v_and_b32_e32 v76, 7, v26
; %bb.2916:                             ;   in Loop: Header=BB327_1567 Depth=1
	s_or_b32 exec_lo, exec_lo, s20
	v_lshlrev_b32_e32 v0, 8, v0
	v_lshl_add_u32 v26, v78, 10, 0x2000
	v_and_or_b32 v0, 0x8000, v0, v26
	v_lshlrev_b32_e32 v26, 23, v76
	v_lshl_or_b32 v76, v0, 16, v26
.LBB327_2917:                           ;   in Loop: Header=BB327_1567 Depth=1
	s_or_b32 exec_lo, exec_lo, s18
.LBB327_2918:                           ;   in Loop: Header=BB327_1567 Depth=1
	s_or_b32 exec_lo, exec_lo, s15
.LBB327_2919:                           ;   in Loop: Header=BB327_1567 Depth=1
	s_or_b32 exec_lo, exec_lo, s13
	v_mov_b32_e32 v0, v10
	v_cmp_ne_u16_sdwa s4, v10, v1 src0_sel:BYTE_0 src1_sel:DWORD
	v_mov_b32_e32 v78, 0
	v_mov_b32_e32 v79, 0
	s_and_saveexec_b32 s13, s4
	s_cbranch_execz .LBB327_2927
; %bb.2920:                             ;   in Loop: Header=BB327_1567 Depth=1
	v_cmp_ne_u16_sdwa s4, v10, v17 src0_sel:BYTE_0 src1_sel:DWORD
	v_mov_b32_e32 v79, 0x8000
	s_and_saveexec_b32 s15, s4
	s_cbranch_execz .LBB327_2926
; %bb.2921:                             ;   in Loop: Header=BB327_1567 Depth=1
	v_and_b32_e32 v89, 0x7f, v10
	v_mov_b32_e32 v79, 0x7c01
	s_mov_b32 s18, exec_lo
	v_cmpx_ne_u32_e32 0x7f, v89
	s_cbranch_execz .LBB327_2925
; %bb.2922:                             ;   in Loop: Header=BB327_1567 Depth=1
	v_and_b32_e32 v79, 7, v10
	v_lshrrev_b32_e32 v88, 3, v89
	s_mov_b32 s20, exec_lo
	v_cmpx_gt_u32_e32 8, v89
; %bb.2923:                             ;   in Loop: Header=BB327_1567 Depth=1
	v_ffbh_u32_e32 v26, v79
	v_min_u32_e32 v79, 32, v26
	v_subrev_nc_u32_e32 v26, 28, v79
	v_sub_nc_u32_e32 v88, 29, v79
	v_lshlrev_b64 v[26:27], v26, v[0:1]
	v_and_b32_e32 v79, 7, v26
; %bb.2924:                             ;   in Loop: Header=BB327_1567 Depth=1
	s_or_b32 exec_lo, exec_lo, s20
	v_lshlrev_b32_e32 v26, 8, v10
	v_lshl_add_u32 v27, v88, 10, 0x2000
	v_lshlrev_b32_e32 v79, 7, v79
	v_and_b32_e32 v26, 0x8000, v26
	v_and_b32_e32 v27, 0xfc00, v27
	v_or3_b32 v79, v26, v27, v79
.LBB327_2925:                           ;   in Loop: Header=BB327_1567 Depth=1
	s_or_b32 exec_lo, exec_lo, s18
.LBB327_2926:                           ;   in Loop: Header=BB327_1567 Depth=1
	s_or_b32 exec_lo, exec_lo, s15
.LBB327_2927:                           ;   in Loop: Header=BB327_1567 Depth=1
	s_or_b32 exec_lo, exec_lo, s13
	v_lshrrev_b16 v0, 8, v0
	v_mov_b32_e32 v88, 0
	s_mov_b32 s13, exec_lo
	v_cmpx_ne_u16_e32 0, v0
	s_cbranch_execz .LBB327_2935
; %bb.2928:                             ;   in Loop: Header=BB327_1567 Depth=1
	v_bfrev_b32_e32 v88, 1
	s_mov_b32 s15, exec_lo
	v_cmpx_ne_u16_e32 0x80, v0
	s_cbranch_execz .LBB327_2934
; %bb.2929:                             ;   in Loop: Header=BB327_1567 Depth=1
	v_and_b32_sdwa v90, v0, v38 dst_sel:DWORD dst_unused:UNUSED_PAD src0_sel:WORD_0 src1_sel:DWORD
	v_mov_b32_e32 v88, 0x7c010000
	s_mov_b32 s18, exec_lo
	v_cmpx_ne_u32_e32 0x7f, v90
	s_cbranch_execz .LBB327_2933
; %bb.2930:                             ;   in Loop: Header=BB327_1567 Depth=1
	v_and_b32_sdwa v88, v0, v39 dst_sel:DWORD dst_unused:UNUSED_PAD src0_sel:WORD_0 src1_sel:DWORD
	v_lshrrev_b32_e32 v89, 3, v90
	s_mov_b32 s20, exec_lo
	v_cmpx_gt_u32_e32 8, v90
; %bb.2931:                             ;   in Loop: Header=BB327_1567 Depth=1
	v_ffbh_u32_e32 v26, v88
	v_min_u32_e32 v88, 32, v26
	v_subrev_nc_u32_e32 v26, 28, v88
	v_sub_nc_u32_e32 v89, 29, v88
	v_lshlrev_b64 v[26:27], v26, v[0:1]
	v_and_b32_e32 v88, 7, v26
; %bb.2932:                             ;   in Loop: Header=BB327_1567 Depth=1
	s_or_b32 exec_lo, exec_lo, s20
	v_lshlrev_b32_sdwa v0, v69, v0 dst_sel:DWORD dst_unused:UNUSED_PAD src0_sel:DWORD src1_sel:WORD_0
	v_lshl_add_u32 v26, v89, 10, 0x2000
	v_and_or_b32 v0, 0x8000, v0, v26
	v_lshlrev_b32_e32 v26, 23, v88
	v_lshl_or_b32 v88, v0, 16, v26
.LBB327_2933:                           ;   in Loop: Header=BB327_1567 Depth=1
	s_or_b32 exec_lo, exec_lo, s18
.LBB327_2934:                           ;   in Loop: Header=BB327_1567 Depth=1
	s_or_b32 exec_lo, exec_lo, s15
.LBB327_2935:                           ;   in Loop: Header=BB327_1567 Depth=1
	s_or_b32 exec_lo, exec_lo, s13
	v_lshrrev_b32_e32 v0, 16, v10
	v_cmp_ne_u16_sdwa s4, v0, v1 src0_sel:BYTE_0 src1_sel:DWORD
	s_and_saveexec_b32 s13, s4
	s_cbranch_execz .LBB327_2943
; %bb.2936:                             ;   in Loop: Header=BB327_1567 Depth=1
	v_cmp_ne_u16_sdwa s4, v0, v17 src0_sel:BYTE_0 src1_sel:DWORD
	v_mov_b32_e32 v78, 0x8000
	s_and_saveexec_b32 s15, s4
	s_cbranch_execz .LBB327_2942
; %bb.2937:                             ;   in Loop: Header=BB327_1567 Depth=1
	v_bfe_u32 v90, v10, 16, 7
	v_mov_b32_e32 v78, 0x7c01
	s_mov_b32 s18, exec_lo
	v_cmpx_ne_u32_e32 0x7f, v90
	s_cbranch_execz .LBB327_2941
; %bb.2938:                             ;   in Loop: Header=BB327_1567 Depth=1
	v_and_b32_e32 v78, 7, v0
	v_lshrrev_b32_e32 v89, 3, v90
	s_mov_b32 s20, exec_lo
	v_cmpx_gt_u32_e32 8, v90
; %bb.2939:                             ;   in Loop: Header=BB327_1567 Depth=1
	v_ffbh_u32_e32 v26, v78
	v_min_u32_e32 v78, 32, v26
	v_subrev_nc_u32_e32 v26, 28, v78
	v_sub_nc_u32_e32 v89, 29, v78
	v_lshlrev_b64 v[26:27], v26, v[0:1]
	v_and_b32_e32 v78, 7, v26
; %bb.2940:                             ;   in Loop: Header=BB327_1567 Depth=1
	s_or_b32 exec_lo, exec_lo, s20
	v_lshlrev_b32_e32 v0, 8, v0
	v_lshl_add_u32 v26, v89, 10, 0x2000
	v_lshlrev_b32_e32 v27, 7, v78
	v_and_b32_e32 v0, 0x8000, v0
	v_and_b32_e32 v26, 0xfc00, v26
	v_or3_b32 v78, v0, v26, v27
.LBB327_2941:                           ;   in Loop: Header=BB327_1567 Depth=1
	s_or_b32 exec_lo, exec_lo, s18
.LBB327_2942:                           ;   in Loop: Header=BB327_1567 Depth=1
	s_or_b32 exec_lo, exec_lo, s15
.LBB327_2943:                           ;   in Loop: Header=BB327_1567 Depth=1
	s_or_b32 exec_lo, exec_lo, s13
	v_cmp_lt_u64_e64 s4, s[8:9], v[9:10]
	v_mov_b32_e32 v9, 0
	s_and_saveexec_b32 s13, s4
	s_cbranch_execz .LBB327_2951
; %bb.2944:                             ;   in Loop: Header=BB327_1567 Depth=1
	v_lshrrev_b32_e32 v0, 24, v10
	v_bfrev_b32_e32 v9, 1
	s_mov_b32 s15, exec_lo
	v_cmpx_ne_u32_e32 0x80, v0
	s_cbranch_execz .LBB327_2950
; %bb.2945:                             ;   in Loop: Header=BB327_1567 Depth=1
	v_and_b32_e32 v89, 0x7f, v0
	v_mov_b32_e32 v9, 0x7c010000
	s_mov_b32 s18, exec_lo
	v_cmpx_ne_u32_e32 0x7f, v89
	s_cbranch_execz .LBB327_2949
; %bb.2946:                             ;   in Loop: Header=BB327_1567 Depth=1
	v_and_b32_e32 v9, 7, v0
	v_lshrrev_b32_e32 v10, 3, v89
	s_mov_b32 s20, exec_lo
	v_cmpx_gt_u32_e32 8, v89
; %bb.2947:                             ;   in Loop: Header=BB327_1567 Depth=1
	v_ffbh_u32_e32 v9, v9
	v_min_u32_e32 v26, 32, v9
	v_subrev_nc_u32_e32 v9, 28, v26
	v_lshlrev_b64 v[9:10], v9, v[0:1]
	v_sub_nc_u32_e32 v10, 29, v26
	v_and_b32_e32 v9, 7, v9
; %bb.2948:                             ;   in Loop: Header=BB327_1567 Depth=1
	s_or_b32 exec_lo, exec_lo, s20
	v_lshlrev_b32_e32 v0, 8, v0
	v_lshl_add_u32 v10, v10, 10, 0x2000
	v_lshlrev_b32_e32 v9, 23, v9
	v_and_or_b32 v0, 0x8000, v0, v10
	v_lshl_or_b32 v9, v0, 16, v9
.LBB327_2949:                           ;   in Loop: Header=BB327_1567 Depth=1
	s_or_b32 exec_lo, exec_lo, s18
.LBB327_2950:                           ;   in Loop: Header=BB327_1567 Depth=1
	s_or_b32 exec_lo, exec_lo, s15
.LBB327_2951:                           ;   in Loop: Header=BB327_1567 Depth=1
	s_or_b32 exec_lo, exec_lo, s13
	v_or_b32_e32 v0, v76, v77
	s_waitcnt vmcnt(0) lgkmcnt(0)
	v_fma_mixlo_f16 v10, v73, v76, 0 op_sel:[0,1,0] op_sel_hi:[0,1,0]
	v_or_b32_e32 v26, v74, v75
	v_fma_mixlo_f16 v27, v73, v74, 0 op_sel:[0,1,0] op_sel_hi:[0,1,0]
	v_or_b32_e32 v74, v88, v79
	v_fma_mixlo_f16 v76, v73, v0, 0 op_sel_hi:[0,1,0]
	v_or_b32_e32 v77, v9, v78
	v_lshlrev_b32_e32 v0, 16, v10
	v_lshlrev_b32_e32 v75, 16, v27
	v_fma_mixlo_f16 v26, v73, v26, 0 op_sel_hi:[0,1,0]
	v_and_b32_e32 v10, 0xffff, v76
	v_fma_mixlo_f16 v27, v73, v88, 0 op_sel:[0,1,0] op_sel_hi:[0,1,0]
	v_fma_mixlo_f16 v74, v73, v74, 0 op_sel_hi:[0,1,0]
	v_fma_mixlo_f16 v9, v73, v9, 0 op_sel:[0,1,0] op_sel_hi:[0,1,0]
	v_fma_mixlo_f16 v76, v73, v77, 0 op_sel_hi:[0,1,0]
	v_and_b32_e32 v89, 0xffff, v26
	v_lshlrev_b32_e32 v73, 16, v27
	v_and_b32_e32 v77, 0xffff, v74
	v_lshlrev_b32_e32 v9, 16, v9
	v_and_b32_e32 v74, 0xffff, v76
	v_or_b32_e32 v76, v0, v10
	v_or_b32_e32 v88, v75, v89
	;; [unrolled: 1-line block ×4, first 2 shown]
	s_and_saveexec_b32 s13, vcc_lo
	s_cbranch_execz .LBB327_2953
; %bb.2952:                             ;   in Loop: Header=BB327_1567 Depth=1
	v_cmp_lt_i32_e64 s4, v71, v36
	v_cndmask_b32_e64 v26, 0, v89, s4
	v_cmp_lt_i32_e64 s4, v100, v36
	v_cndmask_b32_e64 v27, 0, v75, s4
	v_cmp_lt_i32_e64 s4, v99, v36
	v_or_b32_e32 v88, v26, v27
	v_cndmask_b32_e64 v10, 0, v10, s4
	v_cmp_lt_i32_e64 s4, v98, v36
	v_cndmask_b32_e64 v0, 0, v0, s4
	v_cmp_lt_i32_e64 s4, v97, v36
	v_or_b32_e32 v76, v10, v0
	;; [unrolled: 5-line block ×3, first 2 shown]
	v_cndmask_b32_e64 v74, 0, v74, s4
	v_cmp_lt_i32_e64 s4, v86, v36
	v_cndmask_b32_e64 v9, 0, v9, s4
	v_or_b32_e32 v78, v74, v9
.LBB327_2953:                           ;   in Loop: Header=BB327_1567 Depth=1
	s_or_b32 exec_lo, exec_lo, s13
	;;#ASMSTART
	v_pk_mul_f16 v0, v83, v88;

	;;#ASMEND
	;;#ASMSTART
	v_pk_mul_f16 v9, v82, v76;

	;;#ASMEND
	;; [unrolled: 4-line block ×4, first 2 shown]
	;;#ASMSTART
	v_pk_add_f16 v0, v0, v9;

	;;#ASMEND
	;;#ASMSTART
	v_pk_add_f16 v0, v0, v10;

	;;#ASMEND
	;; [unrolled: 4-line block ×3, first 2 shown]
	v_and_b32_e32 v9, 0xffff, v0
	v_lshrrev_b32_e32 v0, 16, v0
	;;#ASMSTART
	v_cvt_f32_f16 v73, v9;
	;;#ASMEND
	;;#ASMSTART
	v_cvt_f32_f16 v74, v0;
	;;#ASMEND
	flat_load_dwordx2 v[9:10], v[7:8] offset:1280
	flat_load_dword v75, v[120:121]
	v_mov_b32_e32 v76, 0
	v_mov_b32_e32 v77, 0
	s_waitcnt vmcnt(1) lgkmcnt(1)
	v_cmp_ne_u16_sdwa s4, v9, v1 src0_sel:BYTE_0 src1_sel:DWORD
	s_and_saveexec_b32 s13, s4
	s_cbranch_execz .LBB327_2961
; %bb.2954:                             ;   in Loop: Header=BB327_1567 Depth=1
	v_cmp_ne_u16_sdwa s4, v9, v17 src0_sel:BYTE_0 src1_sel:DWORD
	v_mov_b32_e32 v77, 0x8000
	s_and_saveexec_b32 s15, s4
	s_cbranch_execz .LBB327_2960
; %bb.2955:                             ;   in Loop: Header=BB327_1567 Depth=1
	v_and_b32_e32 v78, 0x7f, v9
	v_mov_b32_e32 v77, 0x7c01
	s_mov_b32 s18, exec_lo
	v_cmpx_ne_u32_e32 0x7f, v78
	s_cbranch_execz .LBB327_2959
; %bb.2956:                             ;   in Loop: Header=BB327_1567 Depth=1
	v_and_b32_e32 v0, 7, v9
	v_lshrrev_b32_e32 v77, 3, v78
	s_mov_b32 s20, exec_lo
	v_cmpx_gt_u32_e32 8, v78
; %bb.2957:                             ;   in Loop: Header=BB327_1567 Depth=1
	v_ffbh_u32_e32 v0, v0
	v_min_u32_e32 v0, 32, v0
	v_subrev_nc_u32_e32 v26, 28, v0
	v_sub_nc_u32_e32 v77, 29, v0
	v_lshlrev_b64 v[26:27], v26, v[9:10]
	v_and_b32_e32 v0, 7, v26
; %bb.2958:                             ;   in Loop: Header=BB327_1567 Depth=1
	s_or_b32 exec_lo, exec_lo, s20
	v_lshlrev_b32_e32 v26, 8, v9
	v_lshl_add_u32 v27, v77, 10, 0x2000
	v_lshlrev_b32_e32 v0, 7, v0
	v_and_b32_e32 v26, 0x8000, v26
	v_and_b32_e32 v27, 0xfc00, v27
	v_or3_b32 v77, v26, v27, v0
.LBB327_2959:                           ;   in Loop: Header=BB327_1567 Depth=1
	s_or_b32 exec_lo, exec_lo, s18
.LBB327_2960:                           ;   in Loop: Header=BB327_1567 Depth=1
	s_or_b32 exec_lo, exec_lo, s15
.LBB327_2961:                           ;   in Loop: Header=BB327_1567 Depth=1
	s_or_b32 exec_lo, exec_lo, s13
	v_lshrrev_b16 v0, 8, v9
	s_mov_b32 s13, exec_lo
	v_cmpx_ne_u16_e32 0, v0
	s_cbranch_execz .LBB327_2969
; %bb.2962:                             ;   in Loop: Header=BB327_1567 Depth=1
	v_bfrev_b32_e32 v76, 1
	s_mov_b32 s15, exec_lo
	v_cmpx_ne_u16_e32 0x80, v0
	s_cbranch_execz .LBB327_2968
; %bb.2963:                             ;   in Loop: Header=BB327_1567 Depth=1
	v_and_b32_sdwa v79, v0, v38 dst_sel:DWORD dst_unused:UNUSED_PAD src0_sel:WORD_0 src1_sel:DWORD
	v_mov_b32_e32 v76, 0x7c010000
	s_mov_b32 s18, exec_lo
	v_cmpx_ne_u32_e32 0x7f, v79
	s_cbranch_execz .LBB327_2967
; %bb.2964:                             ;   in Loop: Header=BB327_1567 Depth=1
	v_and_b32_sdwa v76, v0, v39 dst_sel:DWORD dst_unused:UNUSED_PAD src0_sel:WORD_0 src1_sel:DWORD
	v_lshrrev_b32_e32 v78, 3, v79
	s_mov_b32 s20, exec_lo
	v_cmpx_gt_u32_e32 8, v79
; %bb.2965:                             ;   in Loop: Header=BB327_1567 Depth=1
	v_ffbh_u32_e32 v26, v76
	v_min_u32_e32 v76, 32, v26
	v_subrev_nc_u32_e32 v26, 28, v76
	v_sub_nc_u32_e32 v78, 29, v76
	v_lshlrev_b64 v[26:27], v26, v[0:1]
	v_and_b32_e32 v76, 7, v26
; %bb.2966:                             ;   in Loop: Header=BB327_1567 Depth=1
	s_or_b32 exec_lo, exec_lo, s20
	v_lshlrev_b32_sdwa v0, v69, v0 dst_sel:DWORD dst_unused:UNUSED_PAD src0_sel:DWORD src1_sel:WORD_0
	v_lshl_add_u32 v26, v78, 10, 0x2000
	v_and_or_b32 v0, 0x8000, v0, v26
	v_lshlrev_b32_e32 v26, 23, v76
	v_lshl_or_b32 v76, v0, 16, v26
.LBB327_2967:                           ;   in Loop: Header=BB327_1567 Depth=1
	s_or_b32 exec_lo, exec_lo, s18
.LBB327_2968:                           ;   in Loop: Header=BB327_1567 Depth=1
	s_or_b32 exec_lo, exec_lo, s15
.LBB327_2969:                           ;   in Loop: Header=BB327_1567 Depth=1
	s_or_b32 exec_lo, exec_lo, s13
	v_lshrrev_b32_e32 v0, 16, v9
	v_mov_b32_e32 v78, 0
	v_mov_b32_e32 v79, 0
	v_cmp_ne_u16_sdwa s4, v0, v1 src0_sel:BYTE_0 src1_sel:DWORD
	s_and_saveexec_b32 s13, s4
	s_cbranch_execz .LBB327_2977
; %bb.2970:                             ;   in Loop: Header=BB327_1567 Depth=1
	v_cmp_ne_u16_sdwa s4, v0, v17 src0_sel:BYTE_0 src1_sel:DWORD
	v_mov_b32_e32 v79, 0x8000
	s_and_saveexec_b32 s15, s4
	s_cbranch_execz .LBB327_2976
; %bb.2971:                             ;   in Loop: Header=BB327_1567 Depth=1
	v_bfe_u32 v89, v9, 16, 7
	v_mov_b32_e32 v79, 0x7c01
	s_mov_b32 s18, exec_lo
	v_cmpx_ne_u32_e32 0x7f, v89
	s_cbranch_execz .LBB327_2975
; %bb.2972:                             ;   in Loop: Header=BB327_1567 Depth=1
	v_and_b32_e32 v79, 7, v0
	v_lshrrev_b32_e32 v88, 3, v89
	s_mov_b32 s20, exec_lo
	v_cmpx_gt_u32_e32 8, v89
; %bb.2973:                             ;   in Loop: Header=BB327_1567 Depth=1
	v_ffbh_u32_e32 v26, v79
	v_min_u32_e32 v79, 32, v26
	v_subrev_nc_u32_e32 v26, 28, v79
	v_sub_nc_u32_e32 v88, 29, v79
	v_lshlrev_b64 v[26:27], v26, v[0:1]
	v_and_b32_e32 v79, 7, v26
; %bb.2974:                             ;   in Loop: Header=BB327_1567 Depth=1
	s_or_b32 exec_lo, exec_lo, s20
	v_lshlrev_b32_e32 v0, 8, v0
	v_lshl_add_u32 v26, v88, 10, 0x2000
	v_lshlrev_b32_e32 v27, 7, v79
	v_and_b32_e32 v0, 0x8000, v0
	v_and_b32_e32 v26, 0xfc00, v26
	v_or3_b32 v79, v0, v26, v27
.LBB327_2975:                           ;   in Loop: Header=BB327_1567 Depth=1
	s_or_b32 exec_lo, exec_lo, s18
.LBB327_2976:                           ;   in Loop: Header=BB327_1567 Depth=1
	s_or_b32 exec_lo, exec_lo, s15
.LBB327_2977:                           ;   in Loop: Header=BB327_1567 Depth=1
	s_or_b32 exec_lo, exec_lo, s13
	s_mov_b32 s13, exec_lo
	v_cmpx_lt_u32_e32 0xffffff, v9
	s_cbranch_execz .LBB327_2985
; %bb.2978:                             ;   in Loop: Header=BB327_1567 Depth=1
	v_lshrrev_b32_e32 v0, 24, v9
	v_bfrev_b32_e32 v78, 1
	s_mov_b32 s15, exec_lo
	v_cmpx_ne_u32_e32 0x80, v0
	s_cbranch_execz .LBB327_2984
; %bb.2979:                             ;   in Loop: Header=BB327_1567 Depth=1
	v_and_b32_e32 v89, 0x7f, v0
	v_mov_b32_e32 v78, 0x7c010000
	s_mov_b32 s18, exec_lo
	v_cmpx_ne_u32_e32 0x7f, v89
	s_cbranch_execz .LBB327_2983
; %bb.2980:                             ;   in Loop: Header=BB327_1567 Depth=1
	v_and_b32_e32 v78, 7, v0
	v_lshrrev_b32_e32 v88, 3, v89
	s_mov_b32 s20, exec_lo
	v_cmpx_gt_u32_e32 8, v89
; %bb.2981:                             ;   in Loop: Header=BB327_1567 Depth=1
	v_ffbh_u32_e32 v26, v78
	v_min_u32_e32 v78, 32, v26
	v_subrev_nc_u32_e32 v26, 28, v78
	v_sub_nc_u32_e32 v88, 29, v78
	v_lshlrev_b64 v[26:27], v26, v[0:1]
	v_and_b32_e32 v78, 7, v26
; %bb.2982:                             ;   in Loop: Header=BB327_1567 Depth=1
	s_or_b32 exec_lo, exec_lo, s20
	v_lshlrev_b32_e32 v0, 8, v0
	v_lshl_add_u32 v26, v88, 10, 0x2000
	v_and_or_b32 v0, 0x8000, v0, v26
	v_lshlrev_b32_e32 v26, 23, v78
	v_lshl_or_b32 v78, v0, 16, v26
.LBB327_2983:                           ;   in Loop: Header=BB327_1567 Depth=1
	s_or_b32 exec_lo, exec_lo, s18
.LBB327_2984:                           ;   in Loop: Header=BB327_1567 Depth=1
	s_or_b32 exec_lo, exec_lo, s15
.LBB327_2985:                           ;   in Loop: Header=BB327_1567 Depth=1
	s_or_b32 exec_lo, exec_lo, s13
	v_mov_b32_e32 v0, v10
	v_cmp_ne_u16_sdwa s4, v10, v1 src0_sel:BYTE_0 src1_sel:DWORD
	v_mov_b32_e32 v88, 0
	v_mov_b32_e32 v89, 0
	s_and_saveexec_b32 s13, s4
	s_cbranch_execz .LBB327_2993
; %bb.2986:                             ;   in Loop: Header=BB327_1567 Depth=1
	v_cmp_ne_u16_sdwa s4, v10, v17 src0_sel:BYTE_0 src1_sel:DWORD
	v_mov_b32_e32 v89, 0x8000
	s_and_saveexec_b32 s15, s4
	s_cbranch_execz .LBB327_2992
; %bb.2987:                             ;   in Loop: Header=BB327_1567 Depth=1
	v_and_b32_e32 v91, 0x7f, v10
	v_mov_b32_e32 v89, 0x7c01
	s_mov_b32 s18, exec_lo
	v_cmpx_ne_u32_e32 0x7f, v91
	s_cbranch_execz .LBB327_2991
; %bb.2988:                             ;   in Loop: Header=BB327_1567 Depth=1
	v_and_b32_e32 v89, 7, v10
	v_lshrrev_b32_e32 v90, 3, v91
	s_mov_b32 s20, exec_lo
	v_cmpx_gt_u32_e32 8, v91
; %bb.2989:                             ;   in Loop: Header=BB327_1567 Depth=1
	v_ffbh_u32_e32 v26, v89
	v_min_u32_e32 v89, 32, v26
	v_subrev_nc_u32_e32 v26, 28, v89
	v_sub_nc_u32_e32 v90, 29, v89
	v_lshlrev_b64 v[26:27], v26, v[0:1]
	v_and_b32_e32 v89, 7, v26
; %bb.2990:                             ;   in Loop: Header=BB327_1567 Depth=1
	s_or_b32 exec_lo, exec_lo, s20
	v_lshlrev_b32_e32 v26, 8, v10
	v_lshl_add_u32 v27, v90, 10, 0x2000
	v_lshlrev_b32_e32 v89, 7, v89
	v_and_b32_e32 v26, 0x8000, v26
	v_and_b32_e32 v27, 0xfc00, v27
	v_or3_b32 v89, v26, v27, v89
.LBB327_2991:                           ;   in Loop: Header=BB327_1567 Depth=1
	s_or_b32 exec_lo, exec_lo, s18
.LBB327_2992:                           ;   in Loop: Header=BB327_1567 Depth=1
	s_or_b32 exec_lo, exec_lo, s15
.LBB327_2993:                           ;   in Loop: Header=BB327_1567 Depth=1
	s_or_b32 exec_lo, exec_lo, s13
	v_lshrrev_b16 v0, 8, v0
	v_mov_b32_e32 v90, 0
	s_mov_b32 s13, exec_lo
	v_cmpx_ne_u16_e32 0, v0
	s_cbranch_execz .LBB327_3001
; %bb.2994:                             ;   in Loop: Header=BB327_1567 Depth=1
	v_bfrev_b32_e32 v90, 1
	s_mov_b32 s15, exec_lo
	v_cmpx_ne_u16_e32 0x80, v0
	s_cbranch_execz .LBB327_3000
; %bb.2995:                             ;   in Loop: Header=BB327_1567 Depth=1
	v_and_b32_sdwa v92, v0, v38 dst_sel:DWORD dst_unused:UNUSED_PAD src0_sel:WORD_0 src1_sel:DWORD
	v_mov_b32_e32 v90, 0x7c010000
	s_mov_b32 s18, exec_lo
	v_cmpx_ne_u32_e32 0x7f, v92
	s_cbranch_execz .LBB327_2999
; %bb.2996:                             ;   in Loop: Header=BB327_1567 Depth=1
	v_and_b32_sdwa v90, v0, v39 dst_sel:DWORD dst_unused:UNUSED_PAD src0_sel:WORD_0 src1_sel:DWORD
	v_lshrrev_b32_e32 v91, 3, v92
	s_mov_b32 s20, exec_lo
	v_cmpx_gt_u32_e32 8, v92
; %bb.2997:                             ;   in Loop: Header=BB327_1567 Depth=1
	v_ffbh_u32_e32 v26, v90
	v_min_u32_e32 v90, 32, v26
	v_subrev_nc_u32_e32 v26, 28, v90
	v_sub_nc_u32_e32 v91, 29, v90
	v_lshlrev_b64 v[26:27], v26, v[0:1]
	v_and_b32_e32 v90, 7, v26
; %bb.2998:                             ;   in Loop: Header=BB327_1567 Depth=1
	s_or_b32 exec_lo, exec_lo, s20
	v_lshlrev_b32_sdwa v0, v69, v0 dst_sel:DWORD dst_unused:UNUSED_PAD src0_sel:DWORD src1_sel:WORD_0
	v_lshl_add_u32 v26, v91, 10, 0x2000
	v_and_or_b32 v0, 0x8000, v0, v26
	v_lshlrev_b32_e32 v26, 23, v90
	v_lshl_or_b32 v90, v0, 16, v26
.LBB327_2999:                           ;   in Loop: Header=BB327_1567 Depth=1
	s_or_b32 exec_lo, exec_lo, s18
.LBB327_3000:                           ;   in Loop: Header=BB327_1567 Depth=1
	s_or_b32 exec_lo, exec_lo, s15
.LBB327_3001:                           ;   in Loop: Header=BB327_1567 Depth=1
	s_or_b32 exec_lo, exec_lo, s13
	v_lshrrev_b32_e32 v0, 16, v10
	v_cmp_ne_u16_sdwa s4, v0, v1 src0_sel:BYTE_0 src1_sel:DWORD
	s_and_saveexec_b32 s13, s4
	s_cbranch_execz .LBB327_3009
; %bb.3002:                             ;   in Loop: Header=BB327_1567 Depth=1
	v_cmp_ne_u16_sdwa s4, v0, v17 src0_sel:BYTE_0 src1_sel:DWORD
	v_mov_b32_e32 v88, 0x8000
	s_and_saveexec_b32 s15, s4
	s_cbranch_execz .LBB327_3008
; %bb.3003:                             ;   in Loop: Header=BB327_1567 Depth=1
	v_bfe_u32 v92, v10, 16, 7
	v_mov_b32_e32 v88, 0x7c01
	s_mov_b32 s18, exec_lo
	v_cmpx_ne_u32_e32 0x7f, v92
	s_cbranch_execz .LBB327_3007
; %bb.3004:                             ;   in Loop: Header=BB327_1567 Depth=1
	v_and_b32_e32 v88, 7, v0
	v_lshrrev_b32_e32 v91, 3, v92
	s_mov_b32 s20, exec_lo
	v_cmpx_gt_u32_e32 8, v92
; %bb.3005:                             ;   in Loop: Header=BB327_1567 Depth=1
	v_ffbh_u32_e32 v26, v88
	v_min_u32_e32 v88, 32, v26
	v_subrev_nc_u32_e32 v26, 28, v88
	v_sub_nc_u32_e32 v91, 29, v88
	v_lshlrev_b64 v[26:27], v26, v[0:1]
	v_and_b32_e32 v88, 7, v26
; %bb.3006:                             ;   in Loop: Header=BB327_1567 Depth=1
	s_or_b32 exec_lo, exec_lo, s20
	v_lshlrev_b32_e32 v0, 8, v0
	v_lshl_add_u32 v26, v91, 10, 0x2000
	v_lshlrev_b32_e32 v27, 7, v88
	v_and_b32_e32 v0, 0x8000, v0
	v_and_b32_e32 v26, 0xfc00, v26
	v_or3_b32 v88, v0, v26, v27
.LBB327_3007:                           ;   in Loop: Header=BB327_1567 Depth=1
	s_or_b32 exec_lo, exec_lo, s18
.LBB327_3008:                           ;   in Loop: Header=BB327_1567 Depth=1
	s_or_b32 exec_lo, exec_lo, s15
.LBB327_3009:                           ;   in Loop: Header=BB327_1567 Depth=1
	s_or_b32 exec_lo, exec_lo, s13
	v_cmp_lt_u64_e64 s4, s[8:9], v[9:10]
	v_mov_b32_e32 v9, 0
	s_and_saveexec_b32 s13, s4
	s_cbranch_execz .LBB327_3017
; %bb.3010:                             ;   in Loop: Header=BB327_1567 Depth=1
	v_lshrrev_b32_e32 v0, 24, v10
	v_bfrev_b32_e32 v9, 1
	s_mov_b32 s15, exec_lo
	v_cmpx_ne_u32_e32 0x80, v0
	s_cbranch_execz .LBB327_3016
; %bb.3011:                             ;   in Loop: Header=BB327_1567 Depth=1
	v_and_b32_e32 v91, 0x7f, v0
	v_mov_b32_e32 v9, 0x7c010000
	s_mov_b32 s18, exec_lo
	v_cmpx_ne_u32_e32 0x7f, v91
	s_cbranch_execz .LBB327_3015
; %bb.3012:                             ;   in Loop: Header=BB327_1567 Depth=1
	v_and_b32_e32 v9, 7, v0
	v_lshrrev_b32_e32 v10, 3, v91
	s_mov_b32 s20, exec_lo
	v_cmpx_gt_u32_e32 8, v91
; %bb.3013:                             ;   in Loop: Header=BB327_1567 Depth=1
	v_ffbh_u32_e32 v9, v9
	v_min_u32_e32 v26, 32, v9
	v_subrev_nc_u32_e32 v9, 28, v26
	v_lshlrev_b64 v[9:10], v9, v[0:1]
	v_sub_nc_u32_e32 v10, 29, v26
	v_and_b32_e32 v9, 7, v9
; %bb.3014:                             ;   in Loop: Header=BB327_1567 Depth=1
	s_or_b32 exec_lo, exec_lo, s20
	v_lshlrev_b32_e32 v0, 8, v0
	v_lshl_add_u32 v10, v10, 10, 0x2000
	v_lshlrev_b32_e32 v9, 23, v9
	v_and_or_b32 v0, 0x8000, v0, v10
	v_lshl_or_b32 v9, v0, 16, v9
.LBB327_3015:                           ;   in Loop: Header=BB327_1567 Depth=1
	s_or_b32 exec_lo, exec_lo, s18
.LBB327_3016:                           ;   in Loop: Header=BB327_1567 Depth=1
	s_or_b32 exec_lo, exec_lo, s15
.LBB327_3017:                           ;   in Loop: Header=BB327_1567 Depth=1
	s_or_b32 exec_lo, exec_lo, s13
	v_or_b32_e32 v0, v78, v79
	s_waitcnt vmcnt(0) lgkmcnt(0)
	v_fma_mixlo_f16 v10, v75, v78, 0 op_sel:[0,1,0] op_sel_hi:[0,1,0]
	v_or_b32_e32 v26, v76, v77
	v_fma_mixlo_f16 v27, v75, v76, 0 op_sel:[0,1,0] op_sel_hi:[0,1,0]
	v_or_b32_e32 v76, v90, v89
	v_fma_mixlo_f16 v78, v75, v0, 0 op_sel_hi:[0,1,0]
	v_or_b32_e32 v79, v9, v88
	v_lshlrev_b32_e32 v0, 16, v10
	v_lshlrev_b32_e32 v77, 16, v27
	v_fma_mixlo_f16 v26, v75, v26, 0 op_sel_hi:[0,1,0]
	v_and_b32_e32 v10, 0xffff, v78
	v_fma_mixlo_f16 v27, v75, v90, 0 op_sel:[0,1,0] op_sel_hi:[0,1,0]
	v_fma_mixlo_f16 v76, v75, v76, 0 op_sel_hi:[0,1,0]
	v_fma_mixlo_f16 v9, v75, v9, 0 op_sel:[0,1,0] op_sel_hi:[0,1,0]
	v_fma_mixlo_f16 v78, v75, v79, 0 op_sel_hi:[0,1,0]
	v_and_b32_e32 v91, 0xffff, v26
	v_lshlrev_b32_e32 v75, 16, v27
	v_and_b32_e32 v79, 0xffff, v76
	v_lshlrev_b32_e32 v9, 16, v9
	v_and_b32_e32 v76, 0xffff, v78
	v_or_b32_e32 v78, v0, v10
	v_or_b32_e32 v90, v77, v91
	;; [unrolled: 1-line block ×4, first 2 shown]
	s_and_saveexec_b32 s13, vcc_lo
	s_cbranch_execz .LBB327_3019
; %bb.3018:                             ;   in Loop: Header=BB327_1567 Depth=1
	v_cmp_lt_i32_e64 s4, v71, v36
	v_cndmask_b32_e64 v26, 0, v91, s4
	v_cmp_lt_i32_e64 s4, v100, v36
	v_cndmask_b32_e64 v27, 0, v77, s4
	v_cmp_lt_i32_e64 s4, v99, v36
	v_or_b32_e32 v90, v26, v27
	v_cndmask_b32_e64 v10, 0, v10, s4
	v_cmp_lt_i32_e64 s4, v98, v36
	v_cndmask_b32_e64 v0, 0, v0, s4
	v_cmp_lt_i32_e64 s4, v97, v36
	v_or_b32_e32 v78, v10, v0
	;; [unrolled: 5-line block ×3, first 2 shown]
	v_cndmask_b32_e64 v76, 0, v76, s4
	v_cmp_lt_i32_e64 s4, v86, v36
	v_cndmask_b32_e64 v9, 0, v9, s4
	v_or_b32_e32 v88, v76, v9
.LBB327_3019:                           ;   in Loop: Header=BB327_1567 Depth=1
	s_or_b32 exec_lo, exec_lo, s13
	;;#ASMSTART
	v_pk_mul_f16 v0, v83, v90;

	;;#ASMEND
	;;#ASMSTART
	v_pk_mul_f16 v9, v82, v78;

	;;#ASMEND
	;; [unrolled: 4-line block ×4, first 2 shown]
	;;#ASMSTART
	v_pk_add_f16 v0, v0, v9;

	;;#ASMEND
	;;#ASMSTART
	v_pk_add_f16 v0, v0, v10;

	;;#ASMEND
	;; [unrolled: 4-line block ×3, first 2 shown]
	v_and_b32_e32 v9, 0xffff, v0
	v_lshrrev_b32_e32 v0, 16, v0
	;;#ASMSTART
	v_cvt_f32_f16 v75, v9;
	;;#ASMEND
	;;#ASMSTART
	v_cvt_f32_f16 v76, v0;
	;;#ASMEND
	flat_load_dwordx2 v[9:10], v[7:8] offset:1536
	flat_load_dword v77, v[120:121]
	v_mov_b32_e32 v78, 0
	v_mov_b32_e32 v79, 0
	s_waitcnt vmcnt(1) lgkmcnt(1)
	v_cmp_ne_u16_sdwa s4, v9, v1 src0_sel:BYTE_0 src1_sel:DWORD
	s_and_saveexec_b32 s13, s4
	s_cbranch_execz .LBB327_3027
; %bb.3020:                             ;   in Loop: Header=BB327_1567 Depth=1
	v_cmp_ne_u16_sdwa s4, v9, v17 src0_sel:BYTE_0 src1_sel:DWORD
	v_mov_b32_e32 v79, 0x8000
	s_and_saveexec_b32 s15, s4
	s_cbranch_execz .LBB327_3026
; %bb.3021:                             ;   in Loop: Header=BB327_1567 Depth=1
	v_and_b32_e32 v88, 0x7f, v9
	v_mov_b32_e32 v79, 0x7c01
	s_mov_b32 s18, exec_lo
	v_cmpx_ne_u32_e32 0x7f, v88
	s_cbranch_execz .LBB327_3025
; %bb.3022:                             ;   in Loop: Header=BB327_1567 Depth=1
	v_and_b32_e32 v0, 7, v9
	v_lshrrev_b32_e32 v79, 3, v88
	s_mov_b32 s20, exec_lo
	v_cmpx_gt_u32_e32 8, v88
; %bb.3023:                             ;   in Loop: Header=BB327_1567 Depth=1
	v_ffbh_u32_e32 v0, v0
	v_min_u32_e32 v0, 32, v0
	v_subrev_nc_u32_e32 v26, 28, v0
	v_sub_nc_u32_e32 v79, 29, v0
	v_lshlrev_b64 v[26:27], v26, v[9:10]
	v_and_b32_e32 v0, 7, v26
; %bb.3024:                             ;   in Loop: Header=BB327_1567 Depth=1
	s_or_b32 exec_lo, exec_lo, s20
	v_lshlrev_b32_e32 v26, 8, v9
	v_lshl_add_u32 v27, v79, 10, 0x2000
	v_lshlrev_b32_e32 v0, 7, v0
	v_and_b32_e32 v26, 0x8000, v26
	v_and_b32_e32 v27, 0xfc00, v27
	v_or3_b32 v79, v26, v27, v0
.LBB327_3025:                           ;   in Loop: Header=BB327_1567 Depth=1
	s_or_b32 exec_lo, exec_lo, s18
.LBB327_3026:                           ;   in Loop: Header=BB327_1567 Depth=1
	s_or_b32 exec_lo, exec_lo, s15
.LBB327_3027:                           ;   in Loop: Header=BB327_1567 Depth=1
	s_or_b32 exec_lo, exec_lo, s13
	v_lshrrev_b16 v0, 8, v9
	s_mov_b32 s13, exec_lo
	v_cmpx_ne_u16_e32 0, v0
	s_cbranch_execz .LBB327_3035
; %bb.3028:                             ;   in Loop: Header=BB327_1567 Depth=1
	v_bfrev_b32_e32 v78, 1
	s_mov_b32 s15, exec_lo
	v_cmpx_ne_u16_e32 0x80, v0
	s_cbranch_execz .LBB327_3034
; %bb.3029:                             ;   in Loop: Header=BB327_1567 Depth=1
	v_and_b32_sdwa v89, v0, v38 dst_sel:DWORD dst_unused:UNUSED_PAD src0_sel:WORD_0 src1_sel:DWORD
	v_mov_b32_e32 v78, 0x7c010000
	s_mov_b32 s18, exec_lo
	v_cmpx_ne_u32_e32 0x7f, v89
	s_cbranch_execz .LBB327_3033
; %bb.3030:                             ;   in Loop: Header=BB327_1567 Depth=1
	v_and_b32_sdwa v78, v0, v39 dst_sel:DWORD dst_unused:UNUSED_PAD src0_sel:WORD_0 src1_sel:DWORD
	v_lshrrev_b32_e32 v88, 3, v89
	s_mov_b32 s20, exec_lo
	v_cmpx_gt_u32_e32 8, v89
; %bb.3031:                             ;   in Loop: Header=BB327_1567 Depth=1
	v_ffbh_u32_e32 v26, v78
	v_min_u32_e32 v78, 32, v26
	v_subrev_nc_u32_e32 v26, 28, v78
	v_sub_nc_u32_e32 v88, 29, v78
	v_lshlrev_b64 v[26:27], v26, v[0:1]
	v_and_b32_e32 v78, 7, v26
; %bb.3032:                             ;   in Loop: Header=BB327_1567 Depth=1
	s_or_b32 exec_lo, exec_lo, s20
	v_lshlrev_b32_sdwa v0, v69, v0 dst_sel:DWORD dst_unused:UNUSED_PAD src0_sel:DWORD src1_sel:WORD_0
	v_lshl_add_u32 v26, v88, 10, 0x2000
	v_and_or_b32 v0, 0x8000, v0, v26
	v_lshlrev_b32_e32 v26, 23, v78
	v_lshl_or_b32 v78, v0, 16, v26
.LBB327_3033:                           ;   in Loop: Header=BB327_1567 Depth=1
	s_or_b32 exec_lo, exec_lo, s18
.LBB327_3034:                           ;   in Loop: Header=BB327_1567 Depth=1
	s_or_b32 exec_lo, exec_lo, s15
.LBB327_3035:                           ;   in Loop: Header=BB327_1567 Depth=1
	s_or_b32 exec_lo, exec_lo, s13
	v_lshrrev_b32_e32 v0, 16, v9
	v_mov_b32_e32 v88, 0
	v_mov_b32_e32 v89, 0
	v_cmp_ne_u16_sdwa s4, v0, v1 src0_sel:BYTE_0 src1_sel:DWORD
	s_and_saveexec_b32 s13, s4
	s_cbranch_execz .LBB327_3043
; %bb.3036:                             ;   in Loop: Header=BB327_1567 Depth=1
	v_cmp_ne_u16_sdwa s4, v0, v17 src0_sel:BYTE_0 src1_sel:DWORD
	v_mov_b32_e32 v89, 0x8000
	s_and_saveexec_b32 s15, s4
	s_cbranch_execz .LBB327_3042
; %bb.3037:                             ;   in Loop: Header=BB327_1567 Depth=1
	v_bfe_u32 v91, v9, 16, 7
	v_mov_b32_e32 v89, 0x7c01
	s_mov_b32 s18, exec_lo
	v_cmpx_ne_u32_e32 0x7f, v91
	s_cbranch_execz .LBB327_3041
; %bb.3038:                             ;   in Loop: Header=BB327_1567 Depth=1
	v_and_b32_e32 v89, 7, v0
	v_lshrrev_b32_e32 v90, 3, v91
	s_mov_b32 s20, exec_lo
	v_cmpx_gt_u32_e32 8, v91
; %bb.3039:                             ;   in Loop: Header=BB327_1567 Depth=1
	v_ffbh_u32_e32 v26, v89
	v_min_u32_e32 v89, 32, v26
	v_subrev_nc_u32_e32 v26, 28, v89
	v_sub_nc_u32_e32 v90, 29, v89
	v_lshlrev_b64 v[26:27], v26, v[0:1]
	v_and_b32_e32 v89, 7, v26
; %bb.3040:                             ;   in Loop: Header=BB327_1567 Depth=1
	s_or_b32 exec_lo, exec_lo, s20
	v_lshlrev_b32_e32 v0, 8, v0
	v_lshl_add_u32 v26, v90, 10, 0x2000
	v_lshlrev_b32_e32 v27, 7, v89
	v_and_b32_e32 v0, 0x8000, v0
	v_and_b32_e32 v26, 0xfc00, v26
	v_or3_b32 v89, v0, v26, v27
.LBB327_3041:                           ;   in Loop: Header=BB327_1567 Depth=1
	s_or_b32 exec_lo, exec_lo, s18
.LBB327_3042:                           ;   in Loop: Header=BB327_1567 Depth=1
	s_or_b32 exec_lo, exec_lo, s15
.LBB327_3043:                           ;   in Loop: Header=BB327_1567 Depth=1
	s_or_b32 exec_lo, exec_lo, s13
	s_mov_b32 s13, exec_lo
	v_cmpx_lt_u32_e32 0xffffff, v9
	s_cbranch_execz .LBB327_3051
; %bb.3044:                             ;   in Loop: Header=BB327_1567 Depth=1
	v_lshrrev_b32_e32 v0, 24, v9
	v_bfrev_b32_e32 v88, 1
	s_mov_b32 s15, exec_lo
	v_cmpx_ne_u32_e32 0x80, v0
	s_cbranch_execz .LBB327_3050
; %bb.3045:                             ;   in Loop: Header=BB327_1567 Depth=1
	v_and_b32_e32 v91, 0x7f, v0
	v_mov_b32_e32 v88, 0x7c010000
	s_mov_b32 s18, exec_lo
	v_cmpx_ne_u32_e32 0x7f, v91
	s_cbranch_execz .LBB327_3049
; %bb.3046:                             ;   in Loop: Header=BB327_1567 Depth=1
	v_and_b32_e32 v88, 7, v0
	v_lshrrev_b32_e32 v90, 3, v91
	s_mov_b32 s20, exec_lo
	v_cmpx_gt_u32_e32 8, v91
; %bb.3047:                             ;   in Loop: Header=BB327_1567 Depth=1
	v_ffbh_u32_e32 v26, v88
	v_min_u32_e32 v88, 32, v26
	v_subrev_nc_u32_e32 v26, 28, v88
	v_sub_nc_u32_e32 v90, 29, v88
	v_lshlrev_b64 v[26:27], v26, v[0:1]
	v_and_b32_e32 v88, 7, v26
; %bb.3048:                             ;   in Loop: Header=BB327_1567 Depth=1
	s_or_b32 exec_lo, exec_lo, s20
	v_lshlrev_b32_e32 v0, 8, v0
	v_lshl_add_u32 v26, v90, 10, 0x2000
	v_and_or_b32 v0, 0x8000, v0, v26
	v_lshlrev_b32_e32 v26, 23, v88
	v_lshl_or_b32 v88, v0, 16, v26
.LBB327_3049:                           ;   in Loop: Header=BB327_1567 Depth=1
	s_or_b32 exec_lo, exec_lo, s18
.LBB327_3050:                           ;   in Loop: Header=BB327_1567 Depth=1
	s_or_b32 exec_lo, exec_lo, s15
.LBB327_3051:                           ;   in Loop: Header=BB327_1567 Depth=1
	s_or_b32 exec_lo, exec_lo, s13
	v_mov_b32_e32 v0, v10
	v_cmp_ne_u16_sdwa s4, v10, v1 src0_sel:BYTE_0 src1_sel:DWORD
	v_mov_b32_e32 v90, 0
	v_mov_b32_e32 v91, 0
	s_and_saveexec_b32 s13, s4
	s_cbranch_execz .LBB327_3059
; %bb.3052:                             ;   in Loop: Header=BB327_1567 Depth=1
	v_cmp_ne_u16_sdwa s4, v10, v17 src0_sel:BYTE_0 src1_sel:DWORD
	v_mov_b32_e32 v91, 0x8000
	s_and_saveexec_b32 s15, s4
	s_cbranch_execz .LBB327_3058
; %bb.3053:                             ;   in Loop: Header=BB327_1567 Depth=1
	v_and_b32_e32 v93, 0x7f, v10
	v_mov_b32_e32 v91, 0x7c01
	s_mov_b32 s18, exec_lo
	v_cmpx_ne_u32_e32 0x7f, v93
	s_cbranch_execz .LBB327_3057
; %bb.3054:                             ;   in Loop: Header=BB327_1567 Depth=1
	v_and_b32_e32 v91, 7, v10
	v_lshrrev_b32_e32 v92, 3, v93
	s_mov_b32 s20, exec_lo
	v_cmpx_gt_u32_e32 8, v93
; %bb.3055:                             ;   in Loop: Header=BB327_1567 Depth=1
	v_ffbh_u32_e32 v26, v91
	v_min_u32_e32 v91, 32, v26
	v_subrev_nc_u32_e32 v26, 28, v91
	v_sub_nc_u32_e32 v92, 29, v91
	v_lshlrev_b64 v[26:27], v26, v[0:1]
	v_and_b32_e32 v91, 7, v26
; %bb.3056:                             ;   in Loop: Header=BB327_1567 Depth=1
	s_or_b32 exec_lo, exec_lo, s20
	v_lshlrev_b32_e32 v26, 8, v10
	v_lshl_add_u32 v27, v92, 10, 0x2000
	v_lshlrev_b32_e32 v91, 7, v91
	v_and_b32_e32 v26, 0x8000, v26
	v_and_b32_e32 v27, 0xfc00, v27
	v_or3_b32 v91, v26, v27, v91
.LBB327_3057:                           ;   in Loop: Header=BB327_1567 Depth=1
	s_or_b32 exec_lo, exec_lo, s18
.LBB327_3058:                           ;   in Loop: Header=BB327_1567 Depth=1
	s_or_b32 exec_lo, exec_lo, s15
.LBB327_3059:                           ;   in Loop: Header=BB327_1567 Depth=1
	s_or_b32 exec_lo, exec_lo, s13
	v_lshrrev_b16 v0, 8, v0
	v_mov_b32_e32 v92, 0
	s_mov_b32 s13, exec_lo
	v_cmpx_ne_u16_e32 0, v0
	s_cbranch_execz .LBB327_3067
; %bb.3060:                             ;   in Loop: Header=BB327_1567 Depth=1
	v_bfrev_b32_e32 v92, 1
	s_mov_b32 s15, exec_lo
	v_cmpx_ne_u16_e32 0x80, v0
	s_cbranch_execz .LBB327_3066
; %bb.3061:                             ;   in Loop: Header=BB327_1567 Depth=1
	v_and_b32_sdwa v94, v0, v38 dst_sel:DWORD dst_unused:UNUSED_PAD src0_sel:WORD_0 src1_sel:DWORD
	v_mov_b32_e32 v92, 0x7c010000
	s_mov_b32 s18, exec_lo
	v_cmpx_ne_u32_e32 0x7f, v94
	s_cbranch_execz .LBB327_3065
; %bb.3062:                             ;   in Loop: Header=BB327_1567 Depth=1
	v_and_b32_sdwa v92, v0, v39 dst_sel:DWORD dst_unused:UNUSED_PAD src0_sel:WORD_0 src1_sel:DWORD
	v_lshrrev_b32_e32 v93, 3, v94
	s_mov_b32 s20, exec_lo
	v_cmpx_gt_u32_e32 8, v94
; %bb.3063:                             ;   in Loop: Header=BB327_1567 Depth=1
	v_ffbh_u32_e32 v26, v92
	v_min_u32_e32 v92, 32, v26
	v_subrev_nc_u32_e32 v26, 28, v92
	v_sub_nc_u32_e32 v93, 29, v92
	v_lshlrev_b64 v[26:27], v26, v[0:1]
	v_and_b32_e32 v92, 7, v26
; %bb.3064:                             ;   in Loop: Header=BB327_1567 Depth=1
	s_or_b32 exec_lo, exec_lo, s20
	v_lshlrev_b32_sdwa v0, v69, v0 dst_sel:DWORD dst_unused:UNUSED_PAD src0_sel:DWORD src1_sel:WORD_0
	v_lshl_add_u32 v26, v93, 10, 0x2000
	v_and_or_b32 v0, 0x8000, v0, v26
	v_lshlrev_b32_e32 v26, 23, v92
	v_lshl_or_b32 v92, v0, 16, v26
.LBB327_3065:                           ;   in Loop: Header=BB327_1567 Depth=1
	s_or_b32 exec_lo, exec_lo, s18
.LBB327_3066:                           ;   in Loop: Header=BB327_1567 Depth=1
	s_or_b32 exec_lo, exec_lo, s15
.LBB327_3067:                           ;   in Loop: Header=BB327_1567 Depth=1
	s_or_b32 exec_lo, exec_lo, s13
	v_lshrrev_b32_e32 v0, 16, v10
	v_cmp_ne_u16_sdwa s4, v0, v1 src0_sel:BYTE_0 src1_sel:DWORD
	s_and_saveexec_b32 s13, s4
	s_cbranch_execz .LBB327_3075
; %bb.3068:                             ;   in Loop: Header=BB327_1567 Depth=1
	v_cmp_ne_u16_sdwa s4, v0, v17 src0_sel:BYTE_0 src1_sel:DWORD
	v_mov_b32_e32 v90, 0x8000
	s_and_saveexec_b32 s15, s4
	s_cbranch_execz .LBB327_3074
; %bb.3069:                             ;   in Loop: Header=BB327_1567 Depth=1
	v_bfe_u32 v94, v10, 16, 7
	v_mov_b32_e32 v90, 0x7c01
	s_mov_b32 s18, exec_lo
	v_cmpx_ne_u32_e32 0x7f, v94
	s_cbranch_execz .LBB327_3073
; %bb.3070:                             ;   in Loop: Header=BB327_1567 Depth=1
	v_and_b32_e32 v90, 7, v0
	v_lshrrev_b32_e32 v93, 3, v94
	s_mov_b32 s20, exec_lo
	v_cmpx_gt_u32_e32 8, v94
; %bb.3071:                             ;   in Loop: Header=BB327_1567 Depth=1
	v_ffbh_u32_e32 v26, v90
	v_min_u32_e32 v90, 32, v26
	v_subrev_nc_u32_e32 v26, 28, v90
	v_sub_nc_u32_e32 v93, 29, v90
	v_lshlrev_b64 v[26:27], v26, v[0:1]
	v_and_b32_e32 v90, 7, v26
; %bb.3072:                             ;   in Loop: Header=BB327_1567 Depth=1
	s_or_b32 exec_lo, exec_lo, s20
	v_lshlrev_b32_e32 v0, 8, v0
	v_lshl_add_u32 v26, v93, 10, 0x2000
	v_lshlrev_b32_e32 v27, 7, v90
	v_and_b32_e32 v0, 0x8000, v0
	v_and_b32_e32 v26, 0xfc00, v26
	v_or3_b32 v90, v0, v26, v27
.LBB327_3073:                           ;   in Loop: Header=BB327_1567 Depth=1
	s_or_b32 exec_lo, exec_lo, s18
.LBB327_3074:                           ;   in Loop: Header=BB327_1567 Depth=1
	s_or_b32 exec_lo, exec_lo, s15
.LBB327_3075:                           ;   in Loop: Header=BB327_1567 Depth=1
	s_or_b32 exec_lo, exec_lo, s13
	v_cmp_lt_u64_e64 s4, s[8:9], v[9:10]
	v_mov_b32_e32 v9, 0
	s_and_saveexec_b32 s13, s4
	s_cbranch_execz .LBB327_3083
; %bb.3076:                             ;   in Loop: Header=BB327_1567 Depth=1
	v_lshrrev_b32_e32 v0, 24, v10
	v_bfrev_b32_e32 v9, 1
	s_mov_b32 s15, exec_lo
	v_cmpx_ne_u32_e32 0x80, v0
	s_cbranch_execz .LBB327_3082
; %bb.3077:                             ;   in Loop: Header=BB327_1567 Depth=1
	v_and_b32_e32 v93, 0x7f, v0
	v_mov_b32_e32 v9, 0x7c010000
	s_mov_b32 s18, exec_lo
	v_cmpx_ne_u32_e32 0x7f, v93
	s_cbranch_execz .LBB327_3081
; %bb.3078:                             ;   in Loop: Header=BB327_1567 Depth=1
	v_and_b32_e32 v9, 7, v0
	v_lshrrev_b32_e32 v10, 3, v93
	s_mov_b32 s20, exec_lo
	v_cmpx_gt_u32_e32 8, v93
; %bb.3079:                             ;   in Loop: Header=BB327_1567 Depth=1
	v_ffbh_u32_e32 v9, v9
	v_min_u32_e32 v26, 32, v9
	v_subrev_nc_u32_e32 v9, 28, v26
	v_lshlrev_b64 v[9:10], v9, v[0:1]
	v_sub_nc_u32_e32 v10, 29, v26
	v_and_b32_e32 v9, 7, v9
; %bb.3080:                             ;   in Loop: Header=BB327_1567 Depth=1
	s_or_b32 exec_lo, exec_lo, s20
	v_lshlrev_b32_e32 v0, 8, v0
	v_lshl_add_u32 v10, v10, 10, 0x2000
	v_lshlrev_b32_e32 v9, 23, v9
	v_and_or_b32 v0, 0x8000, v0, v10
	v_lshl_or_b32 v9, v0, 16, v9
.LBB327_3081:                           ;   in Loop: Header=BB327_1567 Depth=1
	s_or_b32 exec_lo, exec_lo, s18
.LBB327_3082:                           ;   in Loop: Header=BB327_1567 Depth=1
	s_or_b32 exec_lo, exec_lo, s15
.LBB327_3083:                           ;   in Loop: Header=BB327_1567 Depth=1
	s_or_b32 exec_lo, exec_lo, s13
	v_or_b32_e32 v0, v88, v89
	s_waitcnt vmcnt(0) lgkmcnt(0)
	v_fma_mixlo_f16 v10, v77, v88, 0 op_sel:[0,1,0] op_sel_hi:[0,1,0]
	v_or_b32_e32 v26, v78, v79
	v_fma_mixlo_f16 v27, v77, v78, 0 op_sel:[0,1,0] op_sel_hi:[0,1,0]
	v_or_b32_e32 v78, v92, v91
	v_fma_mixlo_f16 v88, v77, v0, 0 op_sel_hi:[0,1,0]
	v_or_b32_e32 v89, v9, v90
	v_lshlrev_b32_e32 v0, 16, v10
	v_lshlrev_b32_e32 v79, 16, v27
	v_fma_mixlo_f16 v26, v77, v26, 0 op_sel_hi:[0,1,0]
	v_and_b32_e32 v10, 0xffff, v88
	v_fma_mixlo_f16 v27, v77, v92, 0 op_sel:[0,1,0] op_sel_hi:[0,1,0]
	v_fma_mixlo_f16 v78, v77, v78, 0 op_sel_hi:[0,1,0]
	v_fma_mixlo_f16 v9, v77, v9, 0 op_sel:[0,1,0] op_sel_hi:[0,1,0]
	v_fma_mixlo_f16 v88, v77, v89, 0 op_sel_hi:[0,1,0]
	v_and_b32_e32 v93, 0xffff, v26
	v_lshlrev_b32_e32 v77, 16, v27
	v_and_b32_e32 v89, 0xffff, v78
	v_lshlrev_b32_e32 v9, 16, v9
	v_and_b32_e32 v78, 0xffff, v88
	v_or_b32_e32 v88, v0, v10
	v_or_b32_e32 v92, v79, v93
	;; [unrolled: 1-line block ×4, first 2 shown]
	s_and_saveexec_b32 s13, vcc_lo
	s_cbranch_execz .LBB327_3085
; %bb.3084:                             ;   in Loop: Header=BB327_1567 Depth=1
	v_cmp_lt_i32_e64 s4, v71, v36
	v_cndmask_b32_e64 v26, 0, v93, s4
	v_cmp_lt_i32_e64 s4, v100, v36
	v_cndmask_b32_e64 v27, 0, v79, s4
	v_cmp_lt_i32_e64 s4, v99, v36
	v_or_b32_e32 v92, v26, v27
	v_cndmask_b32_e64 v10, 0, v10, s4
	v_cmp_lt_i32_e64 s4, v98, v36
	v_cndmask_b32_e64 v0, 0, v0, s4
	v_cmp_lt_i32_e64 s4, v97, v36
	v_or_b32_e32 v88, v10, v0
	;; [unrolled: 5-line block ×3, first 2 shown]
	v_cndmask_b32_e64 v78, 0, v78, s4
	v_cmp_lt_i32_e64 s4, v86, v36
	v_cndmask_b32_e64 v9, 0, v9, s4
	v_or_b32_e32 v90, v78, v9
.LBB327_3085:                           ;   in Loop: Header=BB327_1567 Depth=1
	s_or_b32 exec_lo, exec_lo, s13
	;;#ASMSTART
	v_pk_mul_f16 v0, v83, v92;

	;;#ASMEND
	;;#ASMSTART
	v_pk_mul_f16 v9, v82, v88;

	;;#ASMEND
	;; [unrolled: 4-line block ×4, first 2 shown]
	;;#ASMSTART
	v_pk_add_f16 v0, v0, v9;

	;;#ASMEND
	;;#ASMSTART
	v_pk_add_f16 v0, v0, v10;

	;;#ASMEND
	;; [unrolled: 4-line block ×3, first 2 shown]
	v_and_b32_e32 v9, 0xffff, v0
	v_lshrrev_b32_e32 v0, 16, v0
	;;#ASMSTART
	v_cvt_f32_f16 v9, v9;
	;;#ASMEND
	;;#ASMSTART
	v_cvt_f32_f16 v10, v0;
	;;#ASMEND
	flat_load_dwordx2 v[7:8], v[7:8] offset:1792
	flat_load_dword v77, v[120:121]
	v_mov_b32_e32 v78, 0
	v_mov_b32_e32 v79, 0
	s_waitcnt vmcnt(1) lgkmcnt(1)
	v_cmp_ne_u16_sdwa s4, v7, v1 src0_sel:BYTE_0 src1_sel:DWORD
	s_and_saveexec_b32 s13, s4
	s_cbranch_execz .LBB327_3093
; %bb.3086:                             ;   in Loop: Header=BB327_1567 Depth=1
	v_cmp_ne_u16_sdwa s4, v7, v17 src0_sel:BYTE_0 src1_sel:DWORD
	v_mov_b32_e32 v79, 0x8000
	s_and_saveexec_b32 s15, s4
	s_cbranch_execz .LBB327_3092
; %bb.3087:                             ;   in Loop: Header=BB327_1567 Depth=1
	v_and_b32_e32 v88, 0x7f, v7
	v_mov_b32_e32 v79, 0x7c01
	s_mov_b32 s18, exec_lo
	v_cmpx_ne_u32_e32 0x7f, v88
	s_cbranch_execz .LBB327_3091
; %bb.3088:                             ;   in Loop: Header=BB327_1567 Depth=1
	v_and_b32_e32 v0, 7, v7
	v_lshrrev_b32_e32 v79, 3, v88
	s_mov_b32 s20, exec_lo
	v_cmpx_gt_u32_e32 8, v88
; %bb.3089:                             ;   in Loop: Header=BB327_1567 Depth=1
	v_ffbh_u32_e32 v0, v0
	v_min_u32_e32 v0, 32, v0
	v_subrev_nc_u32_e32 v26, 28, v0
	v_sub_nc_u32_e32 v79, 29, v0
	v_lshlrev_b64 v[26:27], v26, v[7:8]
	v_and_b32_e32 v0, 7, v26
; %bb.3090:                             ;   in Loop: Header=BB327_1567 Depth=1
	s_or_b32 exec_lo, exec_lo, s20
	v_lshlrev_b32_e32 v26, 8, v7
	v_lshl_add_u32 v27, v79, 10, 0x2000
	v_lshlrev_b32_e32 v0, 7, v0
	v_and_b32_e32 v26, 0x8000, v26
	v_and_b32_e32 v27, 0xfc00, v27
	v_or3_b32 v79, v26, v27, v0
.LBB327_3091:                           ;   in Loop: Header=BB327_1567 Depth=1
	s_or_b32 exec_lo, exec_lo, s18
.LBB327_3092:                           ;   in Loop: Header=BB327_1567 Depth=1
	s_or_b32 exec_lo, exec_lo, s15
.LBB327_3093:                           ;   in Loop: Header=BB327_1567 Depth=1
	s_or_b32 exec_lo, exec_lo, s13
	v_lshrrev_b16 v0, 8, v7
	s_mov_b32 s13, exec_lo
	v_cmpx_ne_u16_e32 0, v0
	s_cbranch_execz .LBB327_3101
; %bb.3094:                             ;   in Loop: Header=BB327_1567 Depth=1
	v_bfrev_b32_e32 v78, 1
	s_mov_b32 s15, exec_lo
	v_cmpx_ne_u16_e32 0x80, v0
	s_cbranch_execz .LBB327_3100
; %bb.3095:                             ;   in Loop: Header=BB327_1567 Depth=1
	v_and_b32_sdwa v89, v0, v38 dst_sel:DWORD dst_unused:UNUSED_PAD src0_sel:WORD_0 src1_sel:DWORD
	v_mov_b32_e32 v78, 0x7c010000
	s_mov_b32 s18, exec_lo
	v_cmpx_ne_u32_e32 0x7f, v89
	s_cbranch_execz .LBB327_3099
; %bb.3096:                             ;   in Loop: Header=BB327_1567 Depth=1
	v_and_b32_sdwa v78, v0, v39 dst_sel:DWORD dst_unused:UNUSED_PAD src0_sel:WORD_0 src1_sel:DWORD
	v_lshrrev_b32_e32 v88, 3, v89
	s_mov_b32 s20, exec_lo
	v_cmpx_gt_u32_e32 8, v89
; %bb.3097:                             ;   in Loop: Header=BB327_1567 Depth=1
	v_ffbh_u32_e32 v26, v78
	v_min_u32_e32 v78, 32, v26
	v_subrev_nc_u32_e32 v26, 28, v78
	v_sub_nc_u32_e32 v88, 29, v78
	v_lshlrev_b64 v[26:27], v26, v[0:1]
	v_and_b32_e32 v78, 7, v26
; %bb.3098:                             ;   in Loop: Header=BB327_1567 Depth=1
	s_or_b32 exec_lo, exec_lo, s20
	v_lshlrev_b32_sdwa v0, v69, v0 dst_sel:DWORD dst_unused:UNUSED_PAD src0_sel:DWORD src1_sel:WORD_0
	v_lshl_add_u32 v26, v88, 10, 0x2000
	v_and_or_b32 v0, 0x8000, v0, v26
	v_lshlrev_b32_e32 v26, 23, v78
	v_lshl_or_b32 v78, v0, 16, v26
.LBB327_3099:                           ;   in Loop: Header=BB327_1567 Depth=1
	s_or_b32 exec_lo, exec_lo, s18
.LBB327_3100:                           ;   in Loop: Header=BB327_1567 Depth=1
	s_or_b32 exec_lo, exec_lo, s15
.LBB327_3101:                           ;   in Loop: Header=BB327_1567 Depth=1
	s_or_b32 exec_lo, exec_lo, s13
	v_lshrrev_b32_e32 v0, 16, v7
	v_mov_b32_e32 v88, 0
	v_mov_b32_e32 v89, 0
	v_cmp_ne_u16_sdwa s4, v0, v1 src0_sel:BYTE_0 src1_sel:DWORD
	s_and_saveexec_b32 s13, s4
	s_cbranch_execz .LBB327_3109
; %bb.3102:                             ;   in Loop: Header=BB327_1567 Depth=1
	v_cmp_ne_u16_sdwa s4, v0, v17 src0_sel:BYTE_0 src1_sel:DWORD
	v_mov_b32_e32 v89, 0x8000
	s_and_saveexec_b32 s15, s4
	s_cbranch_execz .LBB327_3108
; %bb.3103:                             ;   in Loop: Header=BB327_1567 Depth=1
	v_bfe_u32 v91, v7, 16, 7
	v_mov_b32_e32 v89, 0x7c01
	s_mov_b32 s18, exec_lo
	v_cmpx_ne_u32_e32 0x7f, v91
	s_cbranch_execz .LBB327_3107
; %bb.3104:                             ;   in Loop: Header=BB327_1567 Depth=1
	v_and_b32_e32 v89, 7, v0
	v_lshrrev_b32_e32 v90, 3, v91
	s_mov_b32 s20, exec_lo
	v_cmpx_gt_u32_e32 8, v91
; %bb.3105:                             ;   in Loop: Header=BB327_1567 Depth=1
	v_ffbh_u32_e32 v26, v89
	v_min_u32_e32 v89, 32, v26
	v_subrev_nc_u32_e32 v26, 28, v89
	v_sub_nc_u32_e32 v90, 29, v89
	v_lshlrev_b64 v[26:27], v26, v[0:1]
	v_and_b32_e32 v89, 7, v26
; %bb.3106:                             ;   in Loop: Header=BB327_1567 Depth=1
	s_or_b32 exec_lo, exec_lo, s20
	v_lshlrev_b32_e32 v0, 8, v0
	v_lshl_add_u32 v26, v90, 10, 0x2000
	v_lshlrev_b32_e32 v27, 7, v89
	v_and_b32_e32 v0, 0x8000, v0
	v_and_b32_e32 v26, 0xfc00, v26
	v_or3_b32 v89, v0, v26, v27
.LBB327_3107:                           ;   in Loop: Header=BB327_1567 Depth=1
	s_or_b32 exec_lo, exec_lo, s18
.LBB327_3108:                           ;   in Loop: Header=BB327_1567 Depth=1
	s_or_b32 exec_lo, exec_lo, s15
.LBB327_3109:                           ;   in Loop: Header=BB327_1567 Depth=1
	s_or_b32 exec_lo, exec_lo, s13
	s_mov_b32 s13, exec_lo
	v_cmpx_lt_u32_e32 0xffffff, v7
	s_cbranch_execz .LBB327_3117
; %bb.3110:                             ;   in Loop: Header=BB327_1567 Depth=1
	v_lshrrev_b32_e32 v0, 24, v7
	v_bfrev_b32_e32 v88, 1
	s_mov_b32 s15, exec_lo
	v_cmpx_ne_u32_e32 0x80, v0
	s_cbranch_execz .LBB327_3116
; %bb.3111:                             ;   in Loop: Header=BB327_1567 Depth=1
	v_and_b32_e32 v91, 0x7f, v0
	v_mov_b32_e32 v88, 0x7c010000
	s_mov_b32 s18, exec_lo
	v_cmpx_ne_u32_e32 0x7f, v91
	s_cbranch_execz .LBB327_3115
; %bb.3112:                             ;   in Loop: Header=BB327_1567 Depth=1
	v_and_b32_e32 v88, 7, v0
	v_lshrrev_b32_e32 v90, 3, v91
	s_mov_b32 s20, exec_lo
	v_cmpx_gt_u32_e32 8, v91
; %bb.3113:                             ;   in Loop: Header=BB327_1567 Depth=1
	v_ffbh_u32_e32 v26, v88
	v_min_u32_e32 v88, 32, v26
	v_subrev_nc_u32_e32 v26, 28, v88
	v_sub_nc_u32_e32 v90, 29, v88
	v_lshlrev_b64 v[26:27], v26, v[0:1]
	v_and_b32_e32 v88, 7, v26
; %bb.3114:                             ;   in Loop: Header=BB327_1567 Depth=1
	s_or_b32 exec_lo, exec_lo, s20
	v_lshlrev_b32_e32 v0, 8, v0
	v_lshl_add_u32 v26, v90, 10, 0x2000
	v_and_or_b32 v0, 0x8000, v0, v26
	v_lshlrev_b32_e32 v26, 23, v88
	v_lshl_or_b32 v88, v0, 16, v26
.LBB327_3115:                           ;   in Loop: Header=BB327_1567 Depth=1
	s_or_b32 exec_lo, exec_lo, s18
.LBB327_3116:                           ;   in Loop: Header=BB327_1567 Depth=1
	s_or_b32 exec_lo, exec_lo, s15
.LBB327_3117:                           ;   in Loop: Header=BB327_1567 Depth=1
	s_or_b32 exec_lo, exec_lo, s13
	v_mov_b32_e32 v0, v8
	v_cmp_ne_u16_sdwa s4, v8, v1 src0_sel:BYTE_0 src1_sel:DWORD
	v_mov_b32_e32 v90, 0
	v_mov_b32_e32 v91, 0
	s_and_saveexec_b32 s13, s4
	s_cbranch_execz .LBB327_3125
; %bb.3118:                             ;   in Loop: Header=BB327_1567 Depth=1
	v_cmp_ne_u16_sdwa s4, v8, v17 src0_sel:BYTE_0 src1_sel:DWORD
	v_mov_b32_e32 v91, 0x8000
	s_and_saveexec_b32 s15, s4
	s_cbranch_execz .LBB327_3124
; %bb.3119:                             ;   in Loop: Header=BB327_1567 Depth=1
	v_and_b32_e32 v93, 0x7f, v8
	v_mov_b32_e32 v91, 0x7c01
	s_mov_b32 s18, exec_lo
	v_cmpx_ne_u32_e32 0x7f, v93
	s_cbranch_execz .LBB327_3123
; %bb.3120:                             ;   in Loop: Header=BB327_1567 Depth=1
	v_and_b32_e32 v91, 7, v8
	v_lshrrev_b32_e32 v92, 3, v93
	s_mov_b32 s20, exec_lo
	v_cmpx_gt_u32_e32 8, v93
; %bb.3121:                             ;   in Loop: Header=BB327_1567 Depth=1
	v_ffbh_u32_e32 v26, v91
	v_min_u32_e32 v91, 32, v26
	v_subrev_nc_u32_e32 v26, 28, v91
	v_sub_nc_u32_e32 v92, 29, v91
	v_lshlrev_b64 v[26:27], v26, v[0:1]
	v_and_b32_e32 v91, 7, v26
; %bb.3122:                             ;   in Loop: Header=BB327_1567 Depth=1
	s_or_b32 exec_lo, exec_lo, s20
	v_lshlrev_b32_e32 v26, 8, v8
	v_lshl_add_u32 v27, v92, 10, 0x2000
	v_lshlrev_b32_e32 v91, 7, v91
	v_and_b32_e32 v26, 0x8000, v26
	v_and_b32_e32 v27, 0xfc00, v27
	v_or3_b32 v91, v26, v27, v91
.LBB327_3123:                           ;   in Loop: Header=BB327_1567 Depth=1
	s_or_b32 exec_lo, exec_lo, s18
.LBB327_3124:                           ;   in Loop: Header=BB327_1567 Depth=1
	s_or_b32 exec_lo, exec_lo, s15
.LBB327_3125:                           ;   in Loop: Header=BB327_1567 Depth=1
	s_or_b32 exec_lo, exec_lo, s13
	v_lshrrev_b16 v0, 8, v0
	v_mov_b32_e32 v92, 0
	s_mov_b32 s13, exec_lo
	v_cmpx_ne_u16_e32 0, v0
	s_cbranch_execz .LBB327_3133
; %bb.3126:                             ;   in Loop: Header=BB327_1567 Depth=1
	v_bfrev_b32_e32 v92, 1
	s_mov_b32 s15, exec_lo
	v_cmpx_ne_u16_e32 0x80, v0
	s_cbranch_execz .LBB327_3132
; %bb.3127:                             ;   in Loop: Header=BB327_1567 Depth=1
	v_and_b32_sdwa v94, v0, v38 dst_sel:DWORD dst_unused:UNUSED_PAD src0_sel:WORD_0 src1_sel:DWORD
	v_mov_b32_e32 v92, 0x7c010000
	s_mov_b32 s18, exec_lo
	v_cmpx_ne_u32_e32 0x7f, v94
	s_cbranch_execz .LBB327_3131
; %bb.3128:                             ;   in Loop: Header=BB327_1567 Depth=1
	v_and_b32_sdwa v92, v0, v39 dst_sel:DWORD dst_unused:UNUSED_PAD src0_sel:WORD_0 src1_sel:DWORD
	v_lshrrev_b32_e32 v93, 3, v94
	s_mov_b32 s20, exec_lo
	v_cmpx_gt_u32_e32 8, v94
; %bb.3129:                             ;   in Loop: Header=BB327_1567 Depth=1
	v_ffbh_u32_e32 v26, v92
	v_min_u32_e32 v92, 32, v26
	v_subrev_nc_u32_e32 v26, 28, v92
	v_sub_nc_u32_e32 v93, 29, v92
	v_lshlrev_b64 v[26:27], v26, v[0:1]
	v_and_b32_e32 v92, 7, v26
; %bb.3130:                             ;   in Loop: Header=BB327_1567 Depth=1
	s_or_b32 exec_lo, exec_lo, s20
	v_lshlrev_b32_sdwa v0, v69, v0 dst_sel:DWORD dst_unused:UNUSED_PAD src0_sel:DWORD src1_sel:WORD_0
	v_lshl_add_u32 v26, v93, 10, 0x2000
	v_and_or_b32 v0, 0x8000, v0, v26
	v_lshlrev_b32_e32 v26, 23, v92
	v_lshl_or_b32 v92, v0, 16, v26
.LBB327_3131:                           ;   in Loop: Header=BB327_1567 Depth=1
	s_or_b32 exec_lo, exec_lo, s18
.LBB327_3132:                           ;   in Loop: Header=BB327_1567 Depth=1
	s_or_b32 exec_lo, exec_lo, s15
.LBB327_3133:                           ;   in Loop: Header=BB327_1567 Depth=1
	s_or_b32 exec_lo, exec_lo, s13
	v_lshrrev_b32_e32 v0, 16, v8
	v_cmp_ne_u16_sdwa s4, v0, v1 src0_sel:BYTE_0 src1_sel:DWORD
	s_and_saveexec_b32 s13, s4
	s_cbranch_execz .LBB327_3141
; %bb.3134:                             ;   in Loop: Header=BB327_1567 Depth=1
	v_cmp_ne_u16_sdwa s4, v0, v17 src0_sel:BYTE_0 src1_sel:DWORD
	v_mov_b32_e32 v90, 0x8000
	s_and_saveexec_b32 s15, s4
	s_cbranch_execz .LBB327_3140
; %bb.3135:                             ;   in Loop: Header=BB327_1567 Depth=1
	v_bfe_u32 v94, v8, 16, 7
	v_mov_b32_e32 v90, 0x7c01
	s_mov_b32 s18, exec_lo
	v_cmpx_ne_u32_e32 0x7f, v94
	s_cbranch_execz .LBB327_3139
; %bb.3136:                             ;   in Loop: Header=BB327_1567 Depth=1
	v_and_b32_e32 v90, 7, v0
	v_lshrrev_b32_e32 v93, 3, v94
	s_mov_b32 s20, exec_lo
	v_cmpx_gt_u32_e32 8, v94
; %bb.3137:                             ;   in Loop: Header=BB327_1567 Depth=1
	v_ffbh_u32_e32 v26, v90
	v_min_u32_e32 v90, 32, v26
	v_subrev_nc_u32_e32 v26, 28, v90
	v_sub_nc_u32_e32 v93, 29, v90
	v_lshlrev_b64 v[26:27], v26, v[0:1]
	v_and_b32_e32 v90, 7, v26
; %bb.3138:                             ;   in Loop: Header=BB327_1567 Depth=1
	s_or_b32 exec_lo, exec_lo, s20
	v_lshlrev_b32_e32 v0, 8, v0
	v_lshl_add_u32 v26, v93, 10, 0x2000
	v_lshlrev_b32_e32 v27, 7, v90
	v_and_b32_e32 v0, 0x8000, v0
	v_and_b32_e32 v26, 0xfc00, v26
	v_or3_b32 v90, v0, v26, v27
.LBB327_3139:                           ;   in Loop: Header=BB327_1567 Depth=1
	s_or_b32 exec_lo, exec_lo, s18
.LBB327_3140:                           ;   in Loop: Header=BB327_1567 Depth=1
	s_or_b32 exec_lo, exec_lo, s15
.LBB327_3141:                           ;   in Loop: Header=BB327_1567 Depth=1
	s_or_b32 exec_lo, exec_lo, s13
	v_cmp_lt_u64_e64 s4, s[8:9], v[7:8]
	v_mov_b32_e32 v7, 0
	s_and_saveexec_b32 s13, s4
	s_cbranch_execz .LBB327_3149
; %bb.3142:                             ;   in Loop: Header=BB327_1567 Depth=1
	v_lshrrev_b32_e32 v0, 24, v8
	v_bfrev_b32_e32 v7, 1
	s_mov_b32 s15, exec_lo
	v_cmpx_ne_u32_e32 0x80, v0
	s_cbranch_execz .LBB327_3148
; %bb.3143:                             ;   in Loop: Header=BB327_1567 Depth=1
	v_and_b32_e32 v93, 0x7f, v0
	v_mov_b32_e32 v7, 0x7c010000
	s_mov_b32 s18, exec_lo
	v_cmpx_ne_u32_e32 0x7f, v93
	s_cbranch_execz .LBB327_3147
; %bb.3144:                             ;   in Loop: Header=BB327_1567 Depth=1
	v_and_b32_e32 v7, 7, v0
	v_lshrrev_b32_e32 v8, 3, v93
	s_mov_b32 s20, exec_lo
	v_cmpx_gt_u32_e32 8, v93
; %bb.3145:                             ;   in Loop: Header=BB327_1567 Depth=1
	v_ffbh_u32_e32 v7, v7
	v_min_u32_e32 v26, 32, v7
	v_subrev_nc_u32_e32 v7, 28, v26
	v_lshlrev_b64 v[7:8], v7, v[0:1]
	v_sub_nc_u32_e32 v8, 29, v26
	v_and_b32_e32 v7, 7, v7
; %bb.3146:                             ;   in Loop: Header=BB327_1567 Depth=1
	s_or_b32 exec_lo, exec_lo, s20
	v_lshlrev_b32_e32 v0, 8, v0
	v_lshl_add_u32 v8, v8, 10, 0x2000
	v_lshlrev_b32_e32 v7, 23, v7
	v_and_or_b32 v0, 0x8000, v0, v8
	v_lshl_or_b32 v7, v0, 16, v7
.LBB327_3147:                           ;   in Loop: Header=BB327_1567 Depth=1
	s_or_b32 exec_lo, exec_lo, s18
.LBB327_3148:                           ;   in Loop: Header=BB327_1567 Depth=1
	s_or_b32 exec_lo, exec_lo, s15
.LBB327_3149:                           ;   in Loop: Header=BB327_1567 Depth=1
	s_or_b32 exec_lo, exec_lo, s13
	v_or_b32_e32 v0, v88, v89
	s_waitcnt vmcnt(0) lgkmcnt(0)
	v_fma_mixlo_f16 v8, v77, v88, 0 op_sel:[0,1,0] op_sel_hi:[0,1,0]
	v_or_b32_e32 v26, v78, v79
	v_fma_mixlo_f16 v27, v77, v78, 0 op_sel:[0,1,0] op_sel_hi:[0,1,0]
	v_or_b32_e32 v79, v92, v91
	v_fma_mixlo_f16 v0, v77, v0, 0 op_sel_hi:[0,1,0]
	v_or_b32_e32 v89, v7, v90
	v_lshlrev_b32_e32 v78, 16, v8
	v_lshlrev_b32_e32 v91, 16, v27
	v_fma_mixlo_f16 v8, v77, v26, 0 op_sel_hi:[0,1,0]
	v_and_b32_e32 v88, 0xffff, v0
	v_fma_mixlo_f16 v0, v77, v92, 0 op_sel:[0,1,0] op_sel_hi:[0,1,0]
	v_fma_mixlo_f16 v26, v77, v79, 0 op_sel_hi:[0,1,0]
	v_fma_mixlo_f16 v7, v77, v7, 0 op_sel:[0,1,0] op_sel_hi:[0,1,0]
	v_fma_mixlo_f16 v27, v77, v89, 0 op_sel_hi:[0,1,0]
	v_and_b32_e32 v93, 0xffff, v8
	v_lshlrev_b32_e32 v89, 16, v0
	v_and_b32_e32 v92, 0xffff, v26
	v_lshlrev_b32_e32 v79, 16, v7
	v_and_b32_e32 v90, 0xffff, v27
	v_or_b32_e32 v0, v78, v88
	v_or_b32_e32 v77, v91, v93
	;; [unrolled: 1-line block ×4, first 2 shown]
	s_and_saveexec_b32 s4, vcc_lo
	s_cbranch_execz .LBB327_1566
; %bb.3150:                             ;   in Loop: Header=BB327_1567 Depth=1
	v_cmp_lt_i32_e32 vcc_lo, v71, v36
	v_cndmask_b32_e32 v0, 0, v93, vcc_lo
	v_cmp_lt_i32_e32 vcc_lo, v100, v36
	v_cndmask_b32_e32 v7, 0, v91, vcc_lo
	v_cmp_lt_i32_e32 vcc_lo, v99, v36
	v_or_b32_e32 v77, v0, v7
	v_cndmask_b32_e32 v8, 0, v88, vcc_lo
	v_cmp_lt_i32_e32 vcc_lo, v98, v36
	v_cndmask_b32_e32 v26, 0, v78, vcc_lo
	v_cmp_lt_i32_e32 vcc_lo, v97, v36
	v_or_b32_e32 v0, v8, v26
	;; [unrolled: 5-line block ×3, first 2 shown]
	v_cndmask_b32_e32 v87, 0, v90, vcc_lo
	v_cmp_lt_i32_e32 vcc_lo, v86, v36
	v_cndmask_b32_e32 v86, 0, v79, vcc_lo
	v_or_b32_e32 v7, v87, v86
	s_branch .LBB327_1566
.LBB327_3151:
	s_or_b32 exec_lo, exec_lo, s12
	v_mov_b32_e32 v0, s16
	v_mov_b32_e32 v1, s17
.LBB327_3152:
	s_or_b32 exec_lo, exec_lo, s7
	s_waitcnt lgkmcnt(0)
	s_waitcnt_vscnt null, 0x0
	s_barrier
	buffer_gl0_inv
	s_clause 0x1
	buffer_load_dword v34, off, s[0:3], s32 offset:880
	buffer_load_dword v83, off, s[0:3], s32 offset:876
	v_lshlrev_b64 v[0:1], 2, v[0:1]
	s_getpc_b64 s[8:9]
	s_add_u32 s8, s8, llvm.amdgcn.dynlds.offset.table@rel32@lo+4
	s_addc_u32 s9, s9, llvm.amdgcn.dynlds.offset.table@rel32@hi+12
	ds_bpermute_b32 v2, v18, v67
	ds_bpermute_b32 v3, v18, v65
	;; [unrolled: 1-line block ×4, first 2 shown]
	v_add_co_u32 v0, vcc_lo, s8, v0
	v_add_co_ci_u32_e64 v1, null, s9, v1, vcc_lo
	ds_bpermute_b32 v6, v18, v54
	ds_bpermute_b32 v7, v18, v53
	;; [unrolled: 1-line block ×3, first 2 shown]
	global_load_dword v26, v[0:1], off
	ds_bpermute_b32 v0, v18, v66
	ds_bpermute_b32 v1, v18, v68
	;; [unrolled: 1-line block ×17, first 2 shown]
	s_waitcnt lgkmcnt(23)
	v_add_f32_e32 v2, v67, v2
	s_waitcnt lgkmcnt(22)
	v_add_f32_e32 v3, v65, v3
	;; [unrolled: 2-line block ×5, first 2 shown]
	v_add_f32_e32 v5, v55, v5
	v_add_f32_e32 v6, v54, v6
	;; [unrolled: 1-line block ×4, first 2 shown]
	s_waitcnt lgkmcnt(14)
	v_add_f32_e32 v9, v51, v9
	s_waitcnt lgkmcnt(13)
	v_add_f32_e32 v10, v50, v10
	;; [unrolled: 2-line block ×15, first 2 shown]
	ds_bpermute_b32 v12, v13, v0
	ds_bpermute_b32 v14, v13, v1
	;; [unrolled: 1-line block ×24, first 2 shown]
	s_waitcnt lgkmcnt(23)
	v_add_f32_e32 v23, v0, v12
	s_waitcnt lgkmcnt(22)
	v_add_f32_e32 v22, v1, v14
	;; [unrolled: 2-line block ×24, first 2 shown]
	s_mov_b32 s4, exec_lo
	s_waitcnt vmcnt(2)
	v_lshrrev_b32_e32 v27, 2, v34
	v_and_b32_e32 v39, 28, v34
	buffer_load_dword v34, off, s[0:3], s32 offset:884 ; 4-byte Folded Reload
	s_waitcnt vmcnt(2)
	v_and_b32_e32 v69, 0x3c3, v83
	s_waitcnt vmcnt(1)
	v_add_nc_u32_e32 v25, v26, v39
	s_waitcnt vmcnt(0)
	v_mul_u32_u24_e32 v34, 0x300, v34
	v_cmpx_eq_u32_e32 64, v69
	s_cbranch_execz .LBB327_3154
; %bb.3153:
	v_add_nc_u32_e32 v24, v25, v34
	v_add_nc_u32_e32 v28, 0xfffffa00, v24
	;; [unrolled: 1-line block ×7, first 2 shown]
	ds_write_b32 v28, v23
	ds_write_b32 v29, v22
	;; [unrolled: 1-line block ×4, first 2 shown]
	v_add_nc_u32_e32 v28, 0xfffffac0, v24
	v_add_nc_u32_e32 v29, 0xfffffae0, v24
	v_add_nc_u32_e32 v30, 0xfffffb00, v24
	ds_write_b32 v32, v19
	ds_write_b32 v33, v18
	ds_write_b32 v28, v17
	ds_write_b32 v29, v16
	ds_write_b32 v30, v15
	v_add_nc_u32_e32 v28, 0xfffffb20, v24
	v_add_nc_u32_e32 v29, 0xfffffb40, v24
	v_add_nc_u32_e32 v30, 0xfffffb60, v24
	v_add_nc_u32_e32 v31, 0xfffffb80, v24
	v_add_nc_u32_e32 v32, 0xfffffba0, v24
	ds_write_b32 v28, v14
	ds_write_b32 v29, v13
	ds_write_b32 v30, v12
	ds_write_b32 v31, v11
	ds_write_b32 v32, v10
	v_add_nc_u32_e32 v28, 0xfffffbc0, v24
	v_add_nc_u32_e32 v29, 0xfffffbe0, v24
	;; [unrolled: 10-line block ×3, first 2 shown]
	v_add_nc_u32_e32 v30, 0xfffffca0, v24
	v_add_nc_u32_e32 v31, 0xfffffcc0, v24
	;; [unrolled: 1-line block ×3, first 2 shown]
	ds_write_b32 v28, v4
	ds_write_b32 v29, v3
	ds_write_b32 v30, v2
	ds_write_b32 v31, v1
	ds_write_b32 v24, v0
.LBB327_3154:
	s_or_b32 exec_lo, exec_lo, s4
	v_and_b32_e32 v24, 3, v83
	v_lshlrev_b32_e32 v27, 2, v27
	s_mov_b32 s7, exec_lo
	s_waitcnt lgkmcnt(0)
	s_barrier
	v_cmp_eq_u32_e32 vcc_lo, 0, v24
	v_add3_u32 v24, v26, v34, v27
	buffer_gl0_inv
	v_cmpx_gt_u32_e32 64, v83
	s_cbranch_execz .LBB327_3181
; %bb.3155:
	s_and_saveexec_b32 s4, vcc_lo
	s_cbranch_execnz .LBB327_3213
; %bb.3156:
	s_or_b32 exec_lo, exec_lo, s4
	s_and_saveexec_b32 s4, vcc_lo
	s_cbranch_execnz .LBB327_3214
.LBB327_3157:
	s_or_b32 exec_lo, exec_lo, s4
	s_and_saveexec_b32 s4, vcc_lo
	s_cbranch_execnz .LBB327_3215
.LBB327_3158:
	s_or_b32 exec_lo, exec_lo, s4
	s_and_saveexec_b32 s4, vcc_lo
	s_cbranch_execnz .LBB327_3216
.LBB327_3159:
	s_or_b32 exec_lo, exec_lo, s4
	s_and_saveexec_b32 s4, vcc_lo
	s_cbranch_execnz .LBB327_3217
.LBB327_3160:
	s_or_b32 exec_lo, exec_lo, s4
	s_and_saveexec_b32 s4, vcc_lo
	s_cbranch_execnz .LBB327_3218
.LBB327_3161:
	s_or_b32 exec_lo, exec_lo, s4
	s_and_saveexec_b32 s4, vcc_lo
	s_cbranch_execnz .LBB327_3219
.LBB327_3162:
	s_or_b32 exec_lo, exec_lo, s4
	s_and_saveexec_b32 s4, vcc_lo
	s_cbranch_execnz .LBB327_3220
.LBB327_3163:
	s_or_b32 exec_lo, exec_lo, s4
	s_and_saveexec_b32 s4, vcc_lo
	s_cbranch_execnz .LBB327_3221
.LBB327_3164:
	s_or_b32 exec_lo, exec_lo, s4
	s_and_saveexec_b32 s4, vcc_lo
	s_cbranch_execnz .LBB327_3222
.LBB327_3165:
	s_or_b32 exec_lo, exec_lo, s4
	s_and_saveexec_b32 s4, vcc_lo
	s_cbranch_execnz .LBB327_3223
.LBB327_3166:
	s_or_b32 exec_lo, exec_lo, s4
	s_and_saveexec_b32 s4, vcc_lo
	s_cbranch_execnz .LBB327_3224
.LBB327_3167:
	s_or_b32 exec_lo, exec_lo, s4
	s_and_saveexec_b32 s4, vcc_lo
	s_cbranch_execnz .LBB327_3225
.LBB327_3168:
	s_or_b32 exec_lo, exec_lo, s4
	s_and_saveexec_b32 s4, vcc_lo
	s_cbranch_execnz .LBB327_3226
.LBB327_3169:
	s_or_b32 exec_lo, exec_lo, s4
	s_and_saveexec_b32 s4, vcc_lo
	s_cbranch_execnz .LBB327_3227
.LBB327_3170:
	s_or_b32 exec_lo, exec_lo, s4
	s_and_saveexec_b32 s4, vcc_lo
	s_cbranch_execnz .LBB327_3228
.LBB327_3171:
	s_or_b32 exec_lo, exec_lo, s4
	s_and_saveexec_b32 s4, vcc_lo
	s_cbranch_execnz .LBB327_3229
.LBB327_3172:
	s_or_b32 exec_lo, exec_lo, s4
	s_and_saveexec_b32 s4, vcc_lo
	s_cbranch_execnz .LBB327_3230
.LBB327_3173:
	s_or_b32 exec_lo, exec_lo, s4
	s_and_saveexec_b32 s4, vcc_lo
	s_cbranch_execnz .LBB327_3231
.LBB327_3174:
	s_or_b32 exec_lo, exec_lo, s4
	s_and_saveexec_b32 s4, vcc_lo
	s_cbranch_execnz .LBB327_3232
.LBB327_3175:
	s_or_b32 exec_lo, exec_lo, s4
	s_and_saveexec_b32 s4, vcc_lo
	s_cbranch_execnz .LBB327_3233
.LBB327_3176:
	s_or_b32 exec_lo, exec_lo, s4
	s_and_saveexec_b32 s4, vcc_lo
	s_cbranch_execnz .LBB327_3234
.LBB327_3177:
	s_or_b32 exec_lo, exec_lo, s4
	s_and_saveexec_b32 s4, vcc_lo
	s_cbranch_execnz .LBB327_3235
.LBB327_3178:
	s_or_b32 exec_lo, exec_lo, s4
	s_and_saveexec_b32 s4, vcc_lo
	s_cbranch_execz .LBB327_3180
.LBB327_3179:
	ds_read_b32 v26, v24 offset:736
	s_waitcnt lgkmcnt(0)
	v_add_f32_e32 v0, v26, v0
.LBB327_3180:
	s_or_b32 exec_lo, exec_lo, s4
.LBB327_3181:
	s_or_b32 exec_lo, exec_lo, s7
	v_and_b32_e32 v26, 0x3e3, v83
	s_mov_b32 s7, exec_lo
	s_barrier
	buffer_gl0_inv
	v_cmpx_eq_u32_e32 32, v26
	s_cbranch_execz .LBB327_3183
; %bb.3182:
	ds_write2_b32 v25, v23, v22 offset1:8
	ds_write2_b32 v25, v21, v20 offset0:16 offset1:24
	ds_write2_b32 v25, v19, v18 offset0:32 offset1:40
	ds_write2_b32 v25, v17, v16 offset0:48 offset1:56
	ds_write2_b32 v25, v15, v14 offset0:64 offset1:72
	ds_write2_b32 v25, v13, v12 offset0:80 offset1:88
	ds_write2_b32 v25, v11, v10 offset0:96 offset1:104
	ds_write2_b32 v25, v9, v8 offset0:112 offset1:120
	ds_write2_b32 v25, v7, v6 offset0:128 offset1:136
	ds_write2_b32 v25, v5, v4 offset0:144 offset1:152
	ds_write2_b32 v25, v3, v2 offset0:160 offset1:168
	ds_write2_b32 v25, v1, v0 offset0:176 offset1:184
.LBB327_3183:
	s_or_b32 exec_lo, exec_lo, s7
	s_mov_b32 s7, exec_lo
	s_waitcnt lgkmcnt(0)
	s_barrier
	buffer_gl0_inv
	v_cmpx_gt_u32_e32 32, v83
	s_cbranch_execz .LBB327_3210
; %bb.3184:
	s_and_saveexec_b32 s4, vcc_lo
	s_cbranch_execnz .LBB327_3236
; %bb.3185:
	s_or_b32 exec_lo, exec_lo, s4
	s_and_saveexec_b32 s4, vcc_lo
	s_cbranch_execnz .LBB327_3237
.LBB327_3186:
	s_or_b32 exec_lo, exec_lo, s4
	s_and_saveexec_b32 s4, vcc_lo
	s_cbranch_execnz .LBB327_3238
.LBB327_3187:
	s_or_b32 exec_lo, exec_lo, s4
	s_and_saveexec_b32 s4, vcc_lo
	s_cbranch_execnz .LBB327_3239
.LBB327_3188:
	s_or_b32 exec_lo, exec_lo, s4
	s_and_saveexec_b32 s4, vcc_lo
	s_cbranch_execnz .LBB327_3240
.LBB327_3189:
	s_or_b32 exec_lo, exec_lo, s4
	s_and_saveexec_b32 s4, vcc_lo
	s_cbranch_execnz .LBB327_3241
.LBB327_3190:
	s_or_b32 exec_lo, exec_lo, s4
	s_and_saveexec_b32 s4, vcc_lo
	s_cbranch_execnz .LBB327_3242
.LBB327_3191:
	s_or_b32 exec_lo, exec_lo, s4
	s_and_saveexec_b32 s4, vcc_lo
	s_cbranch_execnz .LBB327_3243
.LBB327_3192:
	s_or_b32 exec_lo, exec_lo, s4
	s_and_saveexec_b32 s4, vcc_lo
	s_cbranch_execnz .LBB327_3244
.LBB327_3193:
	s_or_b32 exec_lo, exec_lo, s4
	s_and_saveexec_b32 s4, vcc_lo
	s_cbranch_execnz .LBB327_3245
.LBB327_3194:
	s_or_b32 exec_lo, exec_lo, s4
	s_and_saveexec_b32 s4, vcc_lo
	s_cbranch_execnz .LBB327_3246
.LBB327_3195:
	s_or_b32 exec_lo, exec_lo, s4
	s_and_saveexec_b32 s4, vcc_lo
	s_cbranch_execnz .LBB327_3247
.LBB327_3196:
	s_or_b32 exec_lo, exec_lo, s4
	s_and_saveexec_b32 s4, vcc_lo
	s_cbranch_execnz .LBB327_3248
.LBB327_3197:
	s_or_b32 exec_lo, exec_lo, s4
	s_and_saveexec_b32 s4, vcc_lo
	s_cbranch_execnz .LBB327_3249
.LBB327_3198:
	s_or_b32 exec_lo, exec_lo, s4
	s_and_saveexec_b32 s4, vcc_lo
	s_cbranch_execnz .LBB327_3250
.LBB327_3199:
	s_or_b32 exec_lo, exec_lo, s4
	s_and_saveexec_b32 s4, vcc_lo
	s_cbranch_execnz .LBB327_3251
.LBB327_3200:
	s_or_b32 exec_lo, exec_lo, s4
	s_and_saveexec_b32 s4, vcc_lo
	s_cbranch_execnz .LBB327_3252
.LBB327_3201:
	s_or_b32 exec_lo, exec_lo, s4
	s_and_saveexec_b32 s4, vcc_lo
	s_cbranch_execnz .LBB327_3253
.LBB327_3202:
	s_or_b32 exec_lo, exec_lo, s4
	s_and_saveexec_b32 s4, vcc_lo
	s_cbranch_execnz .LBB327_3254
.LBB327_3203:
	s_or_b32 exec_lo, exec_lo, s4
	s_and_saveexec_b32 s4, vcc_lo
	s_cbranch_execnz .LBB327_3255
.LBB327_3204:
	s_or_b32 exec_lo, exec_lo, s4
	s_and_saveexec_b32 s4, vcc_lo
	s_cbranch_execnz .LBB327_3256
.LBB327_3205:
	s_or_b32 exec_lo, exec_lo, s4
	s_and_saveexec_b32 s4, vcc_lo
	s_cbranch_execnz .LBB327_3257
.LBB327_3206:
	s_or_b32 exec_lo, exec_lo, s4
	s_and_saveexec_b32 s4, vcc_lo
	s_cbranch_execnz .LBB327_3258
.LBB327_3207:
	s_or_b32 exec_lo, exec_lo, s4
	s_and_saveexec_b32 s4, vcc_lo
	s_cbranch_execz .LBB327_3209
.LBB327_3208:
	ds_read_b32 v24, v24 offset:736
	s_waitcnt lgkmcnt(0)
	v_add_f32_e32 v0, v24, v0
.LBB327_3209:
	s_or_b32 exec_lo, exec_lo, s4
.LBB327_3210:
	s_or_b32 exec_lo, exec_lo, s7
	v_cmp_eq_u32_e32 vcc_lo, 0, v26
	s_barrier
	buffer_gl0_inv
	s_and_b32 exec_lo, exec_lo, vcc_lo
	s_cbranch_execz .LBB327_3212
; %bb.3211:
	s_clause 0x1
	buffer_load_dword v24, off, s[0:3], s32 offset:892
	buffer_load_dword v25, off, s[0:3], s32 offset:888
	s_mulk_i32 s6, 0xc0
	s_mul_i32 s4, s10, s5
	s_ashr_i32 s7, s6, 31
	s_ashr_i32 s5, s4, 31
	s_lshl_b64 s[6:7], s[6:7], 1
	s_lshl_b64 s[4:5], s[4:5], 1
	v_lshrrev_b32_e32 v26, 1, v83
	;;#ASMSTART
	v_cvt_f16_f32 v23, v23;

	;;#ASMEND
	s_waitcnt vmcnt(1)
	v_add_co_u32 v24, vcc_lo, v24, s6
	s_waitcnt vmcnt(0)
	v_add_co_ci_u32_e64 v25, null, s7, v25, vcc_lo
	s_mul_i32 s6, s14, 0xc0
	v_add_co_u32 v24, vcc_lo, v24, s4
	s_ashr_i32 s7, s6, 31
	v_add_co_ci_u32_e64 v25, null, s5, v25, vcc_lo
	s_lshl_b64 s[4:5], s[6:7], 1
	v_add_co_u32 v24, vcc_lo, v24, s4
	v_add_co_ci_u32_e64 v25, null, s5, v25, vcc_lo
	v_add_co_u32 v24, vcc_lo, v24, v26
	v_add_co_ci_u32_e64 v25, null, 0, v25, vcc_lo
	flat_store_short v[24:25], v23
	;;#ASMSTART
	v_cvt_f16_f32 v22, v22;

	;;#ASMEND
	flat_store_short v[24:25], v22 offset:16
	;;#ASMSTART
	v_cvt_f16_f32 v21, v21;

	;;#ASMEND
	flat_store_short v[24:25], v21 offset:32
	;; [unrolled: 5-line block ×23, first 2 shown]
.LBB327_3212:
	s_or_b32 exec_lo, exec_lo, s19
	s_clause 0x2f
	buffer_load_dword v127, off, s[0:3], s32
	buffer_load_dword v126, off, s[0:3], s32 offset:4
	buffer_load_dword v125, off, s[0:3], s32 offset:8
	;; [unrolled: 1-line block ×47, first 2 shown]
	s_waitcnt vmcnt(0) lgkmcnt(0)
	s_setpc_b64 s[30:31]
.LBB327_3213:
	ds_read_b32 v26, v24
	s_waitcnt lgkmcnt(0)
	v_add_f32_e32 v23, v26, v23
	s_or_b32 exec_lo, exec_lo, s4
	s_and_saveexec_b32 s4, vcc_lo
	s_cbranch_execz .LBB327_3157
.LBB327_3214:
	ds_read_b32 v26, v24 offset:32
	s_waitcnt lgkmcnt(0)
	v_add_f32_e32 v22, v26, v22
	s_or_b32 exec_lo, exec_lo, s4
	s_and_saveexec_b32 s4, vcc_lo
	s_cbranch_execz .LBB327_3158
.LBB327_3215:
	ds_read_b32 v26, v24 offset:64
	s_waitcnt lgkmcnt(0)
	v_add_f32_e32 v21, v26, v21
	s_or_b32 exec_lo, exec_lo, s4
	s_and_saveexec_b32 s4, vcc_lo
	s_cbranch_execz .LBB327_3159
.LBB327_3216:
	ds_read_b32 v26, v24 offset:96
	s_waitcnt lgkmcnt(0)
	v_add_f32_e32 v20, v26, v20
	s_or_b32 exec_lo, exec_lo, s4
	s_and_saveexec_b32 s4, vcc_lo
	s_cbranch_execz .LBB327_3160
.LBB327_3217:
	ds_read_b32 v26, v24 offset:128
	s_waitcnt lgkmcnt(0)
	v_add_f32_e32 v19, v26, v19
	s_or_b32 exec_lo, exec_lo, s4
	s_and_saveexec_b32 s4, vcc_lo
	s_cbranch_execz .LBB327_3161
.LBB327_3218:
	ds_read_b32 v26, v24 offset:160
	s_waitcnt lgkmcnt(0)
	v_add_f32_e32 v18, v26, v18
	s_or_b32 exec_lo, exec_lo, s4
	s_and_saveexec_b32 s4, vcc_lo
	s_cbranch_execz .LBB327_3162
.LBB327_3219:
	ds_read_b32 v26, v24 offset:192
	s_waitcnt lgkmcnt(0)
	v_add_f32_e32 v17, v26, v17
	s_or_b32 exec_lo, exec_lo, s4
	s_and_saveexec_b32 s4, vcc_lo
	s_cbranch_execz .LBB327_3163
.LBB327_3220:
	ds_read_b32 v26, v24 offset:224
	s_waitcnt lgkmcnt(0)
	v_add_f32_e32 v16, v26, v16
	s_or_b32 exec_lo, exec_lo, s4
	s_and_saveexec_b32 s4, vcc_lo
	s_cbranch_execz .LBB327_3164
.LBB327_3221:
	ds_read_b32 v26, v24 offset:256
	s_waitcnt lgkmcnt(0)
	v_add_f32_e32 v15, v26, v15
	s_or_b32 exec_lo, exec_lo, s4
	s_and_saveexec_b32 s4, vcc_lo
	s_cbranch_execz .LBB327_3165
.LBB327_3222:
	ds_read_b32 v26, v24 offset:288
	s_waitcnt lgkmcnt(0)
	v_add_f32_e32 v14, v26, v14
	s_or_b32 exec_lo, exec_lo, s4
	s_and_saveexec_b32 s4, vcc_lo
	s_cbranch_execz .LBB327_3166
.LBB327_3223:
	ds_read_b32 v26, v24 offset:320
	s_waitcnt lgkmcnt(0)
	v_add_f32_e32 v13, v26, v13
	s_or_b32 exec_lo, exec_lo, s4
	s_and_saveexec_b32 s4, vcc_lo
	s_cbranch_execz .LBB327_3167
.LBB327_3224:
	ds_read_b32 v26, v24 offset:352
	s_waitcnt lgkmcnt(0)
	v_add_f32_e32 v12, v26, v12
	s_or_b32 exec_lo, exec_lo, s4
	s_and_saveexec_b32 s4, vcc_lo
	s_cbranch_execz .LBB327_3168
.LBB327_3225:
	ds_read_b32 v26, v24 offset:384
	s_waitcnt lgkmcnt(0)
	v_add_f32_e32 v11, v26, v11
	s_or_b32 exec_lo, exec_lo, s4
	s_and_saveexec_b32 s4, vcc_lo
	s_cbranch_execz .LBB327_3169
.LBB327_3226:
	ds_read_b32 v26, v24 offset:416
	s_waitcnt lgkmcnt(0)
	v_add_f32_e32 v10, v26, v10
	s_or_b32 exec_lo, exec_lo, s4
	s_and_saveexec_b32 s4, vcc_lo
	s_cbranch_execz .LBB327_3170
.LBB327_3227:
	ds_read_b32 v26, v24 offset:448
	s_waitcnt lgkmcnt(0)
	v_add_f32_e32 v9, v26, v9
	s_or_b32 exec_lo, exec_lo, s4
	s_and_saveexec_b32 s4, vcc_lo
	s_cbranch_execz .LBB327_3171
.LBB327_3228:
	ds_read_b32 v26, v24 offset:480
	s_waitcnt lgkmcnt(0)
	v_add_f32_e32 v8, v26, v8
	s_or_b32 exec_lo, exec_lo, s4
	s_and_saveexec_b32 s4, vcc_lo
	s_cbranch_execz .LBB327_3172
.LBB327_3229:
	ds_read_b32 v26, v24 offset:512
	s_waitcnt lgkmcnt(0)
	v_add_f32_e32 v7, v26, v7
	s_or_b32 exec_lo, exec_lo, s4
	s_and_saveexec_b32 s4, vcc_lo
	s_cbranch_execz .LBB327_3173
.LBB327_3230:
	ds_read_b32 v26, v24 offset:544
	s_waitcnt lgkmcnt(0)
	v_add_f32_e32 v6, v26, v6
	s_or_b32 exec_lo, exec_lo, s4
	s_and_saveexec_b32 s4, vcc_lo
	s_cbranch_execz .LBB327_3174
.LBB327_3231:
	ds_read_b32 v26, v24 offset:576
	s_waitcnt lgkmcnt(0)
	v_add_f32_e32 v5, v26, v5
	s_or_b32 exec_lo, exec_lo, s4
	s_and_saveexec_b32 s4, vcc_lo
	s_cbranch_execz .LBB327_3175
.LBB327_3232:
	ds_read_b32 v26, v24 offset:608
	s_waitcnt lgkmcnt(0)
	v_add_f32_e32 v4, v26, v4
	s_or_b32 exec_lo, exec_lo, s4
	s_and_saveexec_b32 s4, vcc_lo
	s_cbranch_execz .LBB327_3176
.LBB327_3233:
	ds_read_b32 v26, v24 offset:640
	s_waitcnt lgkmcnt(0)
	v_add_f32_e32 v3, v26, v3
	s_or_b32 exec_lo, exec_lo, s4
	s_and_saveexec_b32 s4, vcc_lo
	s_cbranch_execz .LBB327_3177
.LBB327_3234:
	ds_read_b32 v26, v24 offset:672
	s_waitcnt lgkmcnt(0)
	v_add_f32_e32 v2, v26, v2
	s_or_b32 exec_lo, exec_lo, s4
	s_and_saveexec_b32 s4, vcc_lo
	s_cbranch_execz .LBB327_3178
.LBB327_3235:
	ds_read_b32 v26, v24 offset:704
	s_waitcnt lgkmcnt(0)
	v_add_f32_e32 v1, v26, v1
	s_or_b32 exec_lo, exec_lo, s4
	s_and_saveexec_b32 s4, vcc_lo
	s_cbranch_execnz .LBB327_3179
	s_branch .LBB327_3180
.LBB327_3236:
	ds_read_b32 v25, v24
	s_waitcnt lgkmcnt(0)
	v_add_f32_e32 v23, v25, v23
	s_or_b32 exec_lo, exec_lo, s4
	s_and_saveexec_b32 s4, vcc_lo
	s_cbranch_execz .LBB327_3186
.LBB327_3237:
	ds_read_b32 v25, v24 offset:32
	s_waitcnt lgkmcnt(0)
	v_add_f32_e32 v22, v25, v22
	s_or_b32 exec_lo, exec_lo, s4
	s_and_saveexec_b32 s4, vcc_lo
	s_cbranch_execz .LBB327_3187
.LBB327_3238:
	ds_read_b32 v25, v24 offset:64
	s_waitcnt lgkmcnt(0)
	v_add_f32_e32 v21, v25, v21
	s_or_b32 exec_lo, exec_lo, s4
	s_and_saveexec_b32 s4, vcc_lo
	s_cbranch_execz .LBB327_3188
.LBB327_3239:
	ds_read_b32 v25, v24 offset:96
	s_waitcnt lgkmcnt(0)
	v_add_f32_e32 v20, v25, v20
	s_or_b32 exec_lo, exec_lo, s4
	s_and_saveexec_b32 s4, vcc_lo
	s_cbranch_execz .LBB327_3189
.LBB327_3240:
	ds_read_b32 v25, v24 offset:128
	s_waitcnt lgkmcnt(0)
	v_add_f32_e32 v19, v25, v19
	s_or_b32 exec_lo, exec_lo, s4
	s_and_saveexec_b32 s4, vcc_lo
	s_cbranch_execz .LBB327_3190
.LBB327_3241:
	ds_read_b32 v25, v24 offset:160
	s_waitcnt lgkmcnt(0)
	v_add_f32_e32 v18, v25, v18
	s_or_b32 exec_lo, exec_lo, s4
	s_and_saveexec_b32 s4, vcc_lo
	s_cbranch_execz .LBB327_3191
.LBB327_3242:
	ds_read_b32 v25, v24 offset:192
	s_waitcnt lgkmcnt(0)
	v_add_f32_e32 v17, v25, v17
	s_or_b32 exec_lo, exec_lo, s4
	s_and_saveexec_b32 s4, vcc_lo
	s_cbranch_execz .LBB327_3192
.LBB327_3243:
	ds_read_b32 v25, v24 offset:224
	s_waitcnt lgkmcnt(0)
	v_add_f32_e32 v16, v25, v16
	s_or_b32 exec_lo, exec_lo, s4
	s_and_saveexec_b32 s4, vcc_lo
	s_cbranch_execz .LBB327_3193
.LBB327_3244:
	ds_read_b32 v25, v24 offset:256
	s_waitcnt lgkmcnt(0)
	v_add_f32_e32 v15, v25, v15
	s_or_b32 exec_lo, exec_lo, s4
	s_and_saveexec_b32 s4, vcc_lo
	s_cbranch_execz .LBB327_3194
.LBB327_3245:
	ds_read_b32 v25, v24 offset:288
	s_waitcnt lgkmcnt(0)
	v_add_f32_e32 v14, v25, v14
	s_or_b32 exec_lo, exec_lo, s4
	s_and_saveexec_b32 s4, vcc_lo
	s_cbranch_execz .LBB327_3195
.LBB327_3246:
	ds_read_b32 v25, v24 offset:320
	s_waitcnt lgkmcnt(0)
	v_add_f32_e32 v13, v25, v13
	s_or_b32 exec_lo, exec_lo, s4
	s_and_saveexec_b32 s4, vcc_lo
	s_cbranch_execz .LBB327_3196
.LBB327_3247:
	ds_read_b32 v25, v24 offset:352
	s_waitcnt lgkmcnt(0)
	v_add_f32_e32 v12, v25, v12
	s_or_b32 exec_lo, exec_lo, s4
	s_and_saveexec_b32 s4, vcc_lo
	s_cbranch_execz .LBB327_3197
.LBB327_3248:
	ds_read_b32 v25, v24 offset:384
	s_waitcnt lgkmcnt(0)
	v_add_f32_e32 v11, v25, v11
	s_or_b32 exec_lo, exec_lo, s4
	s_and_saveexec_b32 s4, vcc_lo
	s_cbranch_execz .LBB327_3198
.LBB327_3249:
	ds_read_b32 v25, v24 offset:416
	s_waitcnt lgkmcnt(0)
	v_add_f32_e32 v10, v25, v10
	s_or_b32 exec_lo, exec_lo, s4
	s_and_saveexec_b32 s4, vcc_lo
	s_cbranch_execz .LBB327_3199
.LBB327_3250:
	ds_read_b32 v25, v24 offset:448
	s_waitcnt lgkmcnt(0)
	v_add_f32_e32 v9, v25, v9
	s_or_b32 exec_lo, exec_lo, s4
	s_and_saveexec_b32 s4, vcc_lo
	s_cbranch_execz .LBB327_3200
.LBB327_3251:
	ds_read_b32 v25, v24 offset:480
	s_waitcnt lgkmcnt(0)
	v_add_f32_e32 v8, v25, v8
	s_or_b32 exec_lo, exec_lo, s4
	s_and_saveexec_b32 s4, vcc_lo
	s_cbranch_execz .LBB327_3201
.LBB327_3252:
	ds_read_b32 v25, v24 offset:512
	s_waitcnt lgkmcnt(0)
	v_add_f32_e32 v7, v25, v7
	s_or_b32 exec_lo, exec_lo, s4
	s_and_saveexec_b32 s4, vcc_lo
	s_cbranch_execz .LBB327_3202
.LBB327_3253:
	ds_read_b32 v25, v24 offset:544
	s_waitcnt lgkmcnt(0)
	v_add_f32_e32 v6, v25, v6
	s_or_b32 exec_lo, exec_lo, s4
	s_and_saveexec_b32 s4, vcc_lo
	s_cbranch_execz .LBB327_3203
.LBB327_3254:
	ds_read_b32 v25, v24 offset:576
	s_waitcnt lgkmcnt(0)
	v_add_f32_e32 v5, v25, v5
	s_or_b32 exec_lo, exec_lo, s4
	s_and_saveexec_b32 s4, vcc_lo
	s_cbranch_execz .LBB327_3204
.LBB327_3255:
	ds_read_b32 v25, v24 offset:608
	s_waitcnt lgkmcnt(0)
	v_add_f32_e32 v4, v25, v4
	s_or_b32 exec_lo, exec_lo, s4
	s_and_saveexec_b32 s4, vcc_lo
	s_cbranch_execz .LBB327_3205
.LBB327_3256:
	ds_read_b32 v25, v24 offset:640
	s_waitcnt lgkmcnt(0)
	v_add_f32_e32 v3, v25, v3
	s_or_b32 exec_lo, exec_lo, s4
	s_and_saveexec_b32 s4, vcc_lo
	s_cbranch_execz .LBB327_3206
.LBB327_3257:
	ds_read_b32 v25, v24 offset:672
	s_waitcnt lgkmcnt(0)
	v_add_f32_e32 v2, v25, v2
	s_or_b32 exec_lo, exec_lo, s4
	s_and_saveexec_b32 s4, vcc_lo
	s_cbranch_execz .LBB327_3207
.LBB327_3258:
	ds_read_b32 v25, v24 offset:704
	s_waitcnt lgkmcnt(0)
	v_add_f32_e32 v1, v25, v1
	s_or_b32 exec_lo, exec_lo, s4
	s_and_saveexec_b32 s4, vcc_lo
	s_cbranch_execnz .LBB327_3208
	s_branch .LBB327_3209
.Lfunc_end327:
	.size	_ZN4vllm22paged_attention_kernelIthLi192ELi32ELi128ELNS_18Fp8KVCacheDataTypeE1ELb0ELi512EEEvPfS2_PT_PKS3_PKT0_S9_ifPKiSB_iPKfiiiSD_SD_iiiii, .Lfunc_end327-_ZN4vllm22paged_attention_kernelIthLi192ELi32ELi128ELNS_18Fp8KVCacheDataTypeE1ELb0ELi512EEEvPfS2_PT_PKS3_PKT0_S9_ifPKiSB_iPKfiiiSD_SD_iiiii
                                        ; -- End function
	.set .L_ZN4vllm22paged_attention_kernelIthLi192ELi32ELi128ELNS_18Fp8KVCacheDataTypeE1ELb0ELi512EEEvPfS2_PT_PKS3_PKT0_S9_ifPKiSB_iPKfiiiSD_SD_iiiii.num_vgpr, 128
	.set .L_ZN4vllm22paged_attention_kernelIthLi192ELi32ELi128ELNS_18Fp8KVCacheDataTypeE1ELb0ELi512EEEvPfS2_PT_PKS3_PKT0_S9_ifPKiSB_iPKfiiiSD_SD_iiiii.num_agpr, 0
	.set .L_ZN4vllm22paged_attention_kernelIthLi192ELi32ELi128ELNS_18Fp8KVCacheDataTypeE1ELb0ELi512EEEvPfS2_PT_PKS3_PKT0_S9_ifPKiSB_iPKfiiiSD_SD_iiiii.numbered_sgpr, 33
	.set .L_ZN4vllm22paged_attention_kernelIthLi192ELi32ELi128ELNS_18Fp8KVCacheDataTypeE1ELb0ELi512EEEvPfS2_PT_PKS3_PKT0_S9_ifPKiSB_iPKfiiiSD_SD_iiiii.num_named_barrier, 0
	.set .L_ZN4vllm22paged_attention_kernelIthLi192ELi32ELi128ELNS_18Fp8KVCacheDataTypeE1ELb0ELi512EEEvPfS2_PT_PKS3_PKT0_S9_ifPKiSB_iPKfiiiSD_SD_iiiii.private_seg_size, 964
	.set .L_ZN4vllm22paged_attention_kernelIthLi192ELi32ELi128ELNS_18Fp8KVCacheDataTypeE1ELb0ELi512EEEvPfS2_PT_PKS3_PKT0_S9_ifPKiSB_iPKfiiiSD_SD_iiiii.uses_vcc, 1
	.set .L_ZN4vllm22paged_attention_kernelIthLi192ELi32ELi128ELNS_18Fp8KVCacheDataTypeE1ELb0ELi512EEEvPfS2_PT_PKS3_PKT0_S9_ifPKiSB_iPKfiiiSD_SD_iiiii.uses_flat_scratch, 0
	.set .L_ZN4vllm22paged_attention_kernelIthLi192ELi32ELi128ELNS_18Fp8KVCacheDataTypeE1ELb0ELi512EEEvPfS2_PT_PKS3_PKT0_S9_ifPKiSB_iPKfiiiSD_SD_iiiii.has_dyn_sized_stack, 0
	.set .L_ZN4vllm22paged_attention_kernelIthLi192ELi32ELi128ELNS_18Fp8KVCacheDataTypeE1ELb0ELi512EEEvPfS2_PT_PKS3_PKT0_S9_ifPKiSB_iPKfiiiSD_SD_iiiii.has_recursion, 0
	.set .L_ZN4vllm22paged_attention_kernelIthLi192ELi32ELi128ELNS_18Fp8KVCacheDataTypeE1ELb0ELi512EEEvPfS2_PT_PKS3_PKT0_S9_ifPKiSB_iPKfiiiSD_SD_iiiii.has_indirect_call, 0
	.section	.AMDGPU.csdata,"",@progbits
; Function info:
; codeLenInByte = 110584
; TotalNumSgprs: 35
; NumVgprs: 128
; ScratchSize: 964
; MemoryBound: 0
	.section	.text._ZN4vllm25paged_attention_v2_kernelIthLi192ELi32ELi128ELNS_18Fp8KVCacheDataTypeE1ELb0ELi512EEEvPfS2_PT_PKS3_PKT0_S9_ifPKiSB_iPKfiiiSD_SD_iiiii,"axG",@progbits,_ZN4vllm25paged_attention_v2_kernelIthLi192ELi32ELi128ELNS_18Fp8KVCacheDataTypeE1ELb0ELi512EEEvPfS2_PT_PKS3_PKT0_S9_ifPKiSB_iPKfiiiSD_SD_iiiii,comdat
	.protected	_ZN4vllm25paged_attention_v2_kernelIthLi192ELi32ELi128ELNS_18Fp8KVCacheDataTypeE1ELb0ELi512EEEvPfS2_PT_PKS3_PKT0_S9_ifPKiSB_iPKfiiiSD_SD_iiiii ; -- Begin function _ZN4vllm25paged_attention_v2_kernelIthLi192ELi32ELi128ELNS_18Fp8KVCacheDataTypeE1ELb0ELi512EEEvPfS2_PT_PKS3_PKT0_S9_ifPKiSB_iPKfiiiSD_SD_iiiii
	.globl	_ZN4vllm25paged_attention_v2_kernelIthLi192ELi32ELi128ELNS_18Fp8KVCacheDataTypeE1ELb0ELi512EEEvPfS2_PT_PKS3_PKT0_S9_ifPKiSB_iPKfiiiSD_SD_iiiii
	.p2align	8
	.type	_ZN4vllm25paged_attention_v2_kernelIthLi192ELi32ELi128ELNS_18Fp8KVCacheDataTypeE1ELb0ELi512EEEvPfS2_PT_PKS3_PKT0_S9_ifPKiSB_iPKfiiiSD_SD_iiiii,@function
_ZN4vllm25paged_attention_v2_kernelIthLi192ELi32ELi128ELNS_18Fp8KVCacheDataTypeE1ELb0ELi512EEEvPfS2_PT_PKS3_PKT0_S9_ifPKiSB_iPKfiiiSD_SD_iiiii: ; @_ZN4vllm25paged_attention_v2_kernelIthLi192ELi32ELi128ELNS_18Fp8KVCacheDataTypeE1ELb0ELi512EEEvPfS2_PT_PKS3_PKT0_S9_ifPKiSB_iPKfiiiSD_SD_iiiii
; %bb.0:
	s_clause 0x5
	s_load_dwordx8 s[24:31], s[4:5], 0x0
	s_load_dwordx8 s[16:23], s[4:5], 0x20
	s_load_dwordx2 s[10:11], s[4:5], 0x40
	s_load_dwordx2 s[34:35], s[4:5], 0x50
	s_load_dword s13, s[4:5], 0x48
	s_load_dwordx8 s[36:43], s[4:5], 0x58
	s_add_u32 s0, s0, s9
	s_addc_u32 s1, s1, 0
	v_mov_b32_e32 v31, v0
	s_mov_b32 s14, s8
	s_add_u32 s8, s4, 0x90
	s_addc_u32 s9, s5, 0
	s_getpc_b64 s[4:5]
	s_add_u32 s4, s4, _ZN4vllm22paged_attention_kernelIthLi192ELi32ELi128ELNS_18Fp8KVCacheDataTypeE1ELb0ELi512EEEvPfS2_PT_PKS3_PKT0_S9_ifPKiSB_iPKfiiiSD_SD_iiiii@rel32@lo+4
	s_addc_u32 s5, s5, _ZN4vllm22paged_attention_kernelIthLi192ELi32ELi128ELNS_18Fp8KVCacheDataTypeE1ELb0ELi512EEEvPfS2_PT_PKS3_PKT0_S9_ifPKiSB_iPKfiiiSD_SD_iiiii@rel32@hi+12
	s_mov_b32 s12, s6
	s_mov_b32 s15, 42
	s_mov_b32 s32, 0
	s_waitcnt lgkmcnt(0)
	v_mov_b32_e32 v0, s24
	v_mov_b32_e32 v1, s25
	;; [unrolled: 1-line block ×28, first 2 shown]
	s_mov_b32 s13, s7
	s_swappc_b64 s[30:31], s[4:5]
	s_endpgm
	.section	.rodata,"a",@progbits
	.p2align	6, 0x0
	.amdhsa_kernel _ZN4vllm25paged_attention_v2_kernelIthLi192ELi32ELi128ELNS_18Fp8KVCacheDataTypeE1ELb0ELi512EEEvPfS2_PT_PKS3_PKT0_S9_ifPKiSB_iPKfiiiSD_SD_iiiii
		.amdhsa_group_segment_fixed_size 416
		.amdhsa_private_segment_fixed_size 964
		.amdhsa_kernarg_size 400
		.amdhsa_user_sgpr_count 6
		.amdhsa_user_sgpr_private_segment_buffer 1
		.amdhsa_user_sgpr_dispatch_ptr 0
		.amdhsa_user_sgpr_queue_ptr 0
		.amdhsa_user_sgpr_kernarg_segment_ptr 1
		.amdhsa_user_sgpr_dispatch_id 0
		.amdhsa_user_sgpr_flat_scratch_init 0
		.amdhsa_user_sgpr_private_segment_size 0
		.amdhsa_wavefront_size32 1
		.amdhsa_uses_dynamic_stack 0
		.amdhsa_system_sgpr_private_segment_wavefront_offset 1
		.amdhsa_system_sgpr_workgroup_id_x 1
		.amdhsa_system_sgpr_workgroup_id_y 1
		.amdhsa_system_sgpr_workgroup_id_z 1
		.amdhsa_system_sgpr_workgroup_info 0
		.amdhsa_system_vgpr_workitem_id 0
		.amdhsa_next_free_vgpr 128
		.amdhsa_next_free_sgpr 44
		.amdhsa_reserve_vcc 1
		.amdhsa_reserve_flat_scratch 0
		.amdhsa_float_round_mode_32 0
		.amdhsa_float_round_mode_16_64 0
		.amdhsa_float_denorm_mode_32 3
		.amdhsa_float_denorm_mode_16_64 3
		.amdhsa_dx10_clamp 1
		.amdhsa_ieee_mode 1
		.amdhsa_fp16_overflow 0
		.amdhsa_workgroup_processor_mode 1
		.amdhsa_memory_ordered 1
		.amdhsa_forward_progress 1
		.amdhsa_shared_vgpr_count 0
		.amdhsa_exception_fp_ieee_invalid_op 0
		.amdhsa_exception_fp_denorm_src 0
		.amdhsa_exception_fp_ieee_div_zero 0
		.amdhsa_exception_fp_ieee_overflow 0
		.amdhsa_exception_fp_ieee_underflow 0
		.amdhsa_exception_fp_ieee_inexact 0
		.amdhsa_exception_int_div_zero 0
	.end_amdhsa_kernel
	.section	.text._ZN4vllm25paged_attention_v2_kernelIthLi192ELi32ELi128ELNS_18Fp8KVCacheDataTypeE1ELb0ELi512EEEvPfS2_PT_PKS3_PKT0_S9_ifPKiSB_iPKfiiiSD_SD_iiiii,"axG",@progbits,_ZN4vllm25paged_attention_v2_kernelIthLi192ELi32ELi128ELNS_18Fp8KVCacheDataTypeE1ELb0ELi512EEEvPfS2_PT_PKS3_PKT0_S9_ifPKiSB_iPKfiiiSD_SD_iiiii,comdat
.Lfunc_end328:
	.size	_ZN4vllm25paged_attention_v2_kernelIthLi192ELi32ELi128ELNS_18Fp8KVCacheDataTypeE1ELb0ELi512EEEvPfS2_PT_PKS3_PKT0_S9_ifPKiSB_iPKfiiiSD_SD_iiiii, .Lfunc_end328-_ZN4vllm25paged_attention_v2_kernelIthLi192ELi32ELi128ELNS_18Fp8KVCacheDataTypeE1ELb0ELi512EEEvPfS2_PT_PKS3_PKT0_S9_ifPKiSB_iPKfiiiSD_SD_iiiii
                                        ; -- End function
	.set _ZN4vllm25paged_attention_v2_kernelIthLi192ELi32ELi128ELNS_18Fp8KVCacheDataTypeE1ELb0ELi512EEEvPfS2_PT_PKS3_PKT0_S9_ifPKiSB_iPKfiiiSD_SD_iiiii.num_vgpr, max(32, .L_ZN4vllm22paged_attention_kernelIthLi192ELi32ELi128ELNS_18Fp8KVCacheDataTypeE1ELb0ELi512EEEvPfS2_PT_PKS3_PKT0_S9_ifPKiSB_iPKfiiiSD_SD_iiiii.num_vgpr)
	.set _ZN4vllm25paged_attention_v2_kernelIthLi192ELi32ELi128ELNS_18Fp8KVCacheDataTypeE1ELb0ELi512EEEvPfS2_PT_PKS3_PKT0_S9_ifPKiSB_iPKfiiiSD_SD_iiiii.num_agpr, max(0, .L_ZN4vllm22paged_attention_kernelIthLi192ELi32ELi128ELNS_18Fp8KVCacheDataTypeE1ELb0ELi512EEEvPfS2_PT_PKS3_PKT0_S9_ifPKiSB_iPKfiiiSD_SD_iiiii.num_agpr)
	.set _ZN4vllm25paged_attention_v2_kernelIthLi192ELi32ELi128ELNS_18Fp8KVCacheDataTypeE1ELb0ELi512EEEvPfS2_PT_PKS3_PKT0_S9_ifPKiSB_iPKfiiiSD_SD_iiiii.numbered_sgpr, max(44, .L_ZN4vllm22paged_attention_kernelIthLi192ELi32ELi128ELNS_18Fp8KVCacheDataTypeE1ELb0ELi512EEEvPfS2_PT_PKS3_PKT0_S9_ifPKiSB_iPKfiiiSD_SD_iiiii.numbered_sgpr)
	.set _ZN4vllm25paged_attention_v2_kernelIthLi192ELi32ELi128ELNS_18Fp8KVCacheDataTypeE1ELb0ELi512EEEvPfS2_PT_PKS3_PKT0_S9_ifPKiSB_iPKfiiiSD_SD_iiiii.num_named_barrier, max(0, .L_ZN4vllm22paged_attention_kernelIthLi192ELi32ELi128ELNS_18Fp8KVCacheDataTypeE1ELb0ELi512EEEvPfS2_PT_PKS3_PKT0_S9_ifPKiSB_iPKfiiiSD_SD_iiiii.num_named_barrier)
	.set _ZN4vllm25paged_attention_v2_kernelIthLi192ELi32ELi128ELNS_18Fp8KVCacheDataTypeE1ELb0ELi512EEEvPfS2_PT_PKS3_PKT0_S9_ifPKiSB_iPKfiiiSD_SD_iiiii.private_seg_size, 0+max(.L_ZN4vllm22paged_attention_kernelIthLi192ELi32ELi128ELNS_18Fp8KVCacheDataTypeE1ELb0ELi512EEEvPfS2_PT_PKS3_PKT0_S9_ifPKiSB_iPKfiiiSD_SD_iiiii.private_seg_size)
	.set _ZN4vllm25paged_attention_v2_kernelIthLi192ELi32ELi128ELNS_18Fp8KVCacheDataTypeE1ELb0ELi512EEEvPfS2_PT_PKS3_PKT0_S9_ifPKiSB_iPKfiiiSD_SD_iiiii.uses_vcc, or(1, .L_ZN4vllm22paged_attention_kernelIthLi192ELi32ELi128ELNS_18Fp8KVCacheDataTypeE1ELb0ELi512EEEvPfS2_PT_PKS3_PKT0_S9_ifPKiSB_iPKfiiiSD_SD_iiiii.uses_vcc)
	.set _ZN4vllm25paged_attention_v2_kernelIthLi192ELi32ELi128ELNS_18Fp8KVCacheDataTypeE1ELb0ELi512EEEvPfS2_PT_PKS3_PKT0_S9_ifPKiSB_iPKfiiiSD_SD_iiiii.uses_flat_scratch, or(0, .L_ZN4vllm22paged_attention_kernelIthLi192ELi32ELi128ELNS_18Fp8KVCacheDataTypeE1ELb0ELi512EEEvPfS2_PT_PKS3_PKT0_S9_ifPKiSB_iPKfiiiSD_SD_iiiii.uses_flat_scratch)
	.set _ZN4vllm25paged_attention_v2_kernelIthLi192ELi32ELi128ELNS_18Fp8KVCacheDataTypeE1ELb0ELi512EEEvPfS2_PT_PKS3_PKT0_S9_ifPKiSB_iPKfiiiSD_SD_iiiii.has_dyn_sized_stack, or(0, .L_ZN4vllm22paged_attention_kernelIthLi192ELi32ELi128ELNS_18Fp8KVCacheDataTypeE1ELb0ELi512EEEvPfS2_PT_PKS3_PKT0_S9_ifPKiSB_iPKfiiiSD_SD_iiiii.has_dyn_sized_stack)
	.set _ZN4vllm25paged_attention_v2_kernelIthLi192ELi32ELi128ELNS_18Fp8KVCacheDataTypeE1ELb0ELi512EEEvPfS2_PT_PKS3_PKT0_S9_ifPKiSB_iPKfiiiSD_SD_iiiii.has_recursion, or(0, .L_ZN4vllm22paged_attention_kernelIthLi192ELi32ELi128ELNS_18Fp8KVCacheDataTypeE1ELb0ELi512EEEvPfS2_PT_PKS3_PKT0_S9_ifPKiSB_iPKfiiiSD_SD_iiiii.has_recursion)
	.set _ZN4vllm25paged_attention_v2_kernelIthLi192ELi32ELi128ELNS_18Fp8KVCacheDataTypeE1ELb0ELi512EEEvPfS2_PT_PKS3_PKT0_S9_ifPKiSB_iPKfiiiSD_SD_iiiii.has_indirect_call, or(0, .L_ZN4vllm22paged_attention_kernelIthLi192ELi32ELi128ELNS_18Fp8KVCacheDataTypeE1ELb0ELi512EEEvPfS2_PT_PKS3_PKT0_S9_ifPKiSB_iPKfiiiSD_SD_iiiii.has_indirect_call)
	.section	.AMDGPU.csdata,"",@progbits
; Kernel info:
; codeLenInByte = 240
; TotalNumSgprs: 46
; NumVgprs: 128
; ScratchSize: 964
; MemoryBound: 0
; FloatMode: 240
; IeeeMode: 1
; LDSByteSize: 416 bytes/workgroup (compile time only)
; SGPRBlocks: 0
; VGPRBlocks: 15
; NumSGPRsForWavesPerEU: 46
; NumVGPRsForWavesPerEU: 128
; Occupancy: 8
; WaveLimiterHint : 1
; COMPUTE_PGM_RSRC2:SCRATCH_EN: 1
; COMPUTE_PGM_RSRC2:USER_SGPR: 6
; COMPUTE_PGM_RSRC2:TRAP_HANDLER: 0
; COMPUTE_PGM_RSRC2:TGID_X_EN: 1
; COMPUTE_PGM_RSRC2:TGID_Y_EN: 1
; COMPUTE_PGM_RSRC2:TGID_Z_EN: 1
; COMPUTE_PGM_RSRC2:TIDIG_COMP_CNT: 0
	.text
	.p2align	2                               ; -- Begin function _ZN4vllm22paged_attention_kernelIthLi256ELi32ELi128ELNS_18Fp8KVCacheDataTypeE1ELb0ELi512EEEvPfS2_PT_PKS3_PKT0_S9_ifPKiSB_iPKfiiiSD_SD_iiiii
	.type	_ZN4vllm22paged_attention_kernelIthLi256ELi32ELi128ELNS_18Fp8KVCacheDataTypeE1ELb0ELi512EEEvPfS2_PT_PKS3_PKT0_S9_ifPKiSB_iPKfiiiSD_SD_iiiii,@function
_ZN4vllm22paged_attention_kernelIthLi256ELi32ELi128ELNS_18Fp8KVCacheDataTypeE1ELb0ELi512EEEvPfS2_PT_PKS3_PKT0_S9_ifPKiSB_iPKfiiiSD_SD_iiiii: ; @_ZN4vllm22paged_attention_kernelIthLi256ELi32ELi128ELNS_18Fp8KVCacheDataTypeE1ELb0ELi512EEEvPfS2_PT_PKS3_PKT0_S9_ifPKiSB_iPKfiiiSD_SD_iiiii
; %bb.0:
	s_waitcnt vmcnt(0) expcnt(0) lgkmcnt(0)
	buffer_store_dword v40, off, s[0:3], s32 offset:188 ; 4-byte Folded Spill
	buffer_store_dword v41, off, s[0:3], s32 offset:184 ; 4-byte Folded Spill
	;; [unrolled: 1-line block ×47, first 2 shown]
	buffer_store_dword v127, off, s[0:3], s32 ; 4-byte Folded Spill
	s_mov_b32 s10, s13
	s_ashr_i32 s11, s13, 31
	buffer_store_dword v26, off, s[0:3], s32 offset:192 ; 4-byte Folded Spill
	buffer_store_dword v27, off, s[0:3], s32 offset:196 ; 4-byte Folded Spill
	;; [unrolled: 1-line block ×8, first 2 shown]
	s_lshl_b64 s[4:5], s[10:11], 2
	v_mov_b32_e32 v24, v0
	v_add_co_u32 v0, vcc_lo, v16, s4
	v_mov_b32_e32 v22, v1
	v_add_co_ci_u32_e64 v1, null, s5, v17, vcc_lo
	v_mov_b32_e32 v25, v3
	v_mov_b32_e32 v26, v2
	s_lshl_b32 s11, s14, 9
	flat_load_dword v0, v[0:1]
	s_mov_b32 s24, exec_lo
	s_waitcnt vmcnt(0) lgkmcnt(0)
	buffer_store_dword v0, off, s[0:3], s32 offset:776 ; 4-byte Folded Spill
	v_cmpx_lt_i32_e64 s11, v0
	s_cbranch_execnz .LBB329_1
; %bb.4203:
	s_getpc_b64 s[28:29]
.Lpost_getpc3:
	s_add_u32 s28, s28, (.LBB329_4202-.Lpost_getpc3)&4294967295
	s_addc_u32 s29, s29, (.LBB329_4202-.Lpost_getpc3)>>32
	s_setpc_b64 s[28:29]
.LBB329_1:
	v_sub_nc_u32_e32 v0, 0, v12
	s_clause 0x1
	s_load_dword s4, s[8:9], 0x10
	s_load_dword s5, s[8:9], 0x0
	s_mov_b32 s18, s15
	v_max_i32_e32 v0, v12, v0
	v_cvt_f32_u32_e32 v1, v0
	v_sub_nc_u32_e32 v2, 0, v0
	v_rcp_iflag_f32_e32 v1, v1
	s_waitcnt lgkmcnt(0)
	s_lshr_b32 s4, s4, 16
	s_cmp_lg_u32 s4, 0
	s_cselect_b32 s4, -1, 0
	v_mul_f32_e32 v1, 0x4f7ffffe, v1
	s_cmp_lg_u32 s4, 0
	s_addc_u32 s15, s5, 0
	s_mov_b32 s5, exec_lo
	v_cvt_u32_f32_e32 v1, v1
	s_abs_i32 s4, s15
	v_mul_lo_u32 v2, v2, v1
	v_mul_hi_u32 v2, v1, v2
	v_add_nc_u32_e32 v1, v1, v2
	v_mul_hi_u32 v1, s4, v1
	v_mul_lo_u32 v2, v1, v0
	v_add_nc_u32_e32 v3, 1, v1
	v_sub_nc_u32_e32 v2, s4, v2
	s_abs_i32 s4, s12
	v_sub_nc_u32_e32 v4, v2, v0
	v_cmp_ge_u32_e32 vcc_lo, v2, v0
	v_cndmask_b32_e32 v1, v1, v3, vcc_lo
	v_cndmask_b32_e32 v2, v2, v4, vcc_lo
	v_xor_b32_e32 v3, s15, v12
	v_add_nc_u32_e32 v4, 1, v1
	v_cmp_ge_u32_e32 vcc_lo, v2, v0
	v_ashrrev_i32_e32 v3, 31, v3
	v_cndmask_b32_e32 v0, v1, v4, vcc_lo
	v_xor_b32_e32 v0, v0, v3
	v_sub_nc_u32_e32 v1, v0, v3
	v_sub_nc_u32_e32 v0, 0, v1
	v_max_i32_e32 v0, v1, v0
	v_cvt_f32_u32_e32 v2, v0
	v_sub_nc_u32_e32 v3, 0, v0
	v_rcp_iflag_f32_e32 v2, v2
	v_mul_f32_e32 v2, 0x4f7ffffe, v2
	v_cvt_u32_f32_e32 v2, v2
	v_mul_lo_u32 v3, v3, v2
	v_mul_hi_u32 v3, v2, v3
	v_add_nc_u32_e32 v2, v2, v3
	v_mad_u64_u32 v[16:17], null, s4, v2, 0
	v_mov_b32_e32 v2, 0
	buffer_store_dword v2, off, s[0:3], s32 offset:1256 ; 4-byte Folded Spill
	v_cmpx_ne_u64_e32 0, v[19:20]
	s_cbranch_execz .LBB329_3
; %bb.2:
	s_ashr_i32 s13, s12, 31
	s_lshl_b64 s[6:7], s[12:13], 2
	v_add_co_u32 v2, vcc_lo, v19, s6
	v_add_co_ci_u32_e64 v3, null, s7, v20, vcc_lo
	flat_load_dword v2, v[2:3]
	s_waitcnt vmcnt(0) lgkmcnt(0)
	buffer_store_dword v2, off, s[0:3], s32 offset:1256 ; 4-byte Folded Spill
.LBB329_3:
	s_or_b32 exec_lo, exec_lo, s5
	v_and_b32_e32 v12, 0x3ff, v31
	v_ashrrev_i32_e32 v1, 31, v1
	s_ashr_i32 s5, s12, 31
	s_lshl_b32 s16, s12, 8
	s_mov_b32 s6, exec_lo
	v_cmpx_gt_u32_e32 32, v12
	s_cbranch_execz .LBB329_5
; %bb.4:
	v_mul_lo_u32 v2, v21, s10
	s_ashr_i32 s17, s16, 31
	v_lshlrev_b32_e32 v13, 4, v12
	s_lshl_b64 s[20:21], s[16:17], 1
	v_ashrrev_i32_e32 v3, 31, v2
	v_lshlrev_b64 v[2:3], 1, v[2:3]
	v_add_co_u32 v2, vcc_lo, v6, v2
	v_add_co_ci_u32_e64 v3, null, v7, v3, vcc_lo
	v_add_co_u32 v2, vcc_lo, v2, s20
	v_add_co_ci_u32_e64 v3, null, s21, v3, vcc_lo
	;; [unrolled: 2-line block ×3, first 2 shown]
	flat_load_dwordx4 v[2:5], v[2:3]
	s_waitcnt vmcnt(0) lgkmcnt(0)
	ds_write_b128 v13, v[2:5]
.LBB329_5:
	s_or_b32 exec_lo, exec_lo, s6
	buffer_load_dword v5, off, s[0:3], s32 offset:776 ; 4-byte Folded Reload
	v_mul_lo_u32 v2, v17, v0
	v_add_nc_u32_e32 v3, 1, v17
	v_xor_b32_e32 v1, s5, v1
	s_clause 0x1
	s_load_dword s13, s[8:9], 0x14
	s_load_dword s8, s[8:9], 0x8
	s_lshl_b32 s9, s14, 4
	buffer_store_dword v12, off, s[0:3], s32 offset:1268 ; 4-byte Folded Spill
	s_mov_b32 s17, exec_lo
	v_sub_nc_u32_e32 v2, s4, v2
	s_add_i32 s4, s9, 16
	v_sub_nc_u32_e32 v4, v2, v0
	v_cmp_ge_u32_e32 vcc_lo, v2, v0
	v_cndmask_b32_e32 v3, v17, v3, vcc_lo
	v_cndmask_b32_e32 v2, v2, v4, vcc_lo
	v_add_nc_u32_e32 v4, 1, v3
	v_cmp_ge_u32_e32 vcc_lo, v2, v0
	v_mul_lo_u32 v0, v18, s10
	v_cndmask_b32_e32 v2, v3, v4, vcc_lo
	v_lshrrev_b32_e32 v4, 5, v12
	v_xor_b32_e32 v2, v2, v1
	buffer_store_dword v4, off, s[0:3], s32 offset:1276 ; 4-byte Folded Spill
	v_lshlrev_b32_e32 v13, 5, v4
	v_sub_nc_u32_e32 v2, v2, v1
	v_ashrrev_i32_e32 v1, 31, v0
	v_mul_lo_u32 v23, v2, v23
	v_lshlrev_b64 v[16:17], 2, v[0:1]
	v_ashrrev_i32_e32 v27, 31, v23
	s_waitcnt vmcnt(0)
	v_add_nc_u32_e32 v5, 31, v5
	v_ashrrev_i32_e32 v6, 31, v5
	v_lshrrev_b32_e32 v3, 27, v6
	v_mov_b32_e32 v6, 0xff7fffff
	v_add_nc_u32_e32 v3, v5, v3
	v_and_b32_e32 v5, 31, v12
	v_ashrrev_i32_e32 v12, 5, v3
	v_add_nc_u32_e32 v3, s9, v4
	v_lshlrev_b32_e32 v20, 2, v5
	v_min_i32_e32 v2, s4, v12
	v_ashrrev_i32_e32 v4, 31, v3
	v_cmp_ge_i32_e64 s4, v3, v2
	buffer_store_dword v3, off, s[0:3], s32 offset:204 ; 4-byte Folded Spill
	buffer_store_dword v4, off, s[0:3], s32 offset:208 ; 4-byte Folded Spill
	;; [unrolled: 1-line block ×4, first 2 shown]
	s_waitcnt lgkmcnt(0)
	s_waitcnt_vscnt null, 0x0
	s_barrier
	buffer_gl0_inv
	v_cmpx_lt_i32_e64 v3, v2
	s_cbranch_execz .LBB329_2057
; %bb.6:
	s_getpc_b64 s[6:7]
	s_add_u32 s6, s6, llvm.amdgcn.dynlds.offset.table@rel32@lo+4
	s_addc_u32 s7, s7, llvm.amdgcn.dynlds.offset.table@rel32@hi+12
	s_ashr_i32 s19, s18, 31
	buffer_store_dword v12, off, s[0:3], s32 offset:1320 ; 4-byte Folded Spill
	buffer_store_dword v26, off, s[0:3], s32 offset:1316 ; 4-byte Folded Spill
	;; [unrolled: 1-line block ×7, first 2 shown]
	s_lshl_b64 s[20:21], s[18:19], 2
	buffer_store_dword v23, off, s[0:3], s32 offset:1336 ; 4-byte Folded Spill
	s_add_u32 s6, s6, s20
	s_addc_u32 s7, s7, s21
	buffer_store_dword v27, off, s[0:3], s32 offset:1340 ; 4-byte Folded Spill
	buffer_load_dword v6, off, s[0:3], s32 offset:1272 ; 4-byte Folded Reload
	s_load_dword s6, s[6:7], 0x0
	v_add_co_u32 v3, vcc_lo, v8, v23
	s_clause 0x2
	buffer_load_dword v7, off, s[0:3], s32 offset:204
	buffer_load_dword v8, off, s[0:3], s32 offset:208
	;; [unrolled: 1-line block ×3, first 2 shown]
	v_add_co_ci_u32_e64 v4, null, v9, v27, vcc_lo
	buffer_store_dword v20, off, s[0:3], s32 offset:1344 ; 4-byte Folded Spill
	buffer_store_dword v13, off, s[0:3], s32 offset:1324 ; 4-byte Folded Spill
	v_mov_b32_e32 v9, 0
	v_mov_b32_e32 v124, 0x80
	s_mov_b32 s19, 0
	s_waitcnt vmcnt(3)
	v_lshlrev_b32_e32 v2, 4, v6
	v_add3_u32 v111, s11, v13, v6
	v_mov_b32_e32 v6, 0xff7fffff
	s_waitcnt vmcnt(1)
	v_lshlrev_b64 v[0:1], 2, v[7:8]
	s_waitcnt vmcnt(0)
	v_cmp_neq_f32_e32 vcc_lo, 0, v5
	buffer_load_dword v5, off, s[0:3], s32 offset:1276 ; 4-byte Folded Reload
	v_add_co_u32 v0, s5, v16, v0
	buffer_store_dword v16, off, s[0:3], s32 offset:1328 ; 4-byte Folded Spill
	buffer_store_dword v17, off, s[0:3], s32 offset:1332 ; 4-byte Folded Spill
	s_waitcnt vmcnt(0)
	v_lshl_or_b32 v5, v5, 7, v20
	v_add_co_ci_u32_e64 v1, null, v17, v1, s5
	v_add_co_u32 v2, s5, v3, v2
	v_add_co_ci_u32_e64 v3, null, 0, v4, s5
	buffer_store_dword v2, off, s[0:3], s32 offset:1260 ; 4-byte Folded Spill
	buffer_store_dword v3, off, s[0:3], s32 offset:1264 ; 4-byte Folded Spill
	;; [unrolled: 1-line block ×3, first 2 shown]
	v_add_co_u32 v2, s5, v14, v0
	v_add_co_ci_u32_e64 v3, null, v15, v1, s5
	s_waitcnt lgkmcnt(0)
	v_add_nc_u32_e32 v82, s6, v5
	v_mov_b32_e32 v0, v7
	s_mov_b32 s6, -1
	s_mov_b32 s7, 0xffffff
	buffer_store_dword v15, off, s[0:3], s32 offset:1288 ; 4-byte Folded Spill
	s_branch .LBB329_11
.LBB329_7:                              ;   in Loop: Header=BB329_11 Depth=1
	s_or_b32 exec_lo, exec_lo, s23
	s_waitcnt vmcnt(0)
	v_lshlrev_b32_e32 v3, 8, v8
	v_lshl_add_u32 v4, v29, 10, 0x2000
	v_and_or_b32 v3, 0x8000, v3, v4
	v_lshlrev_b32_e32 v4, 23, v28
	v_lshl_or_b32 v60, v3, 16, v4
.LBB329_8:                              ;   in Loop: Header=BB329_11 Depth=1
	s_or_b32 exec_lo, exec_lo, s22
.LBB329_9:                              ;   in Loop: Header=BB329_11 Depth=1
	s_or_b32 exec_lo, exec_lo, s21
	s_clause 0x2
	buffer_load_dword v111, off, s[0:3], s32 offset:720
	buffer_load_dword v82, off, s[0:3], s32 offset:724
	buffer_load_dword v3, off, s[0:3], s32 offset:200
.LBB329_10:                             ;   in Loop: Header=BB329_11 Depth=1
	s_or_b32 exec_lo, exec_lo, s20
	v_or_b32_e32 v0, v79, v0
	v_or_b32_e32 v1, v70, v1
	v_or_b32_e32 v2, v117, v2
	s_waitcnt vmcnt(0)
	v_or_b32_e32 v3, v41, v81
	v_fma_mixlo_f16 v4, v67, v41, 0 op_sel:[0,1,0] op_sel_hi:[0,1,0]
	v_fma_mixlo_f16 v0, v67, v0, 0 op_sel_hi:[0,1,0]
	v_fma_mixlo_f16 v1, v67, v1, 0 op_sel_hi:[0,1,0]
	v_fma_mixlo_f16 v2, v67, v2, 0 op_sel_hi:[0,1,0]
	v_fma_mixlo_f16 v3, v67, v3, 0 op_sel_hi:[0,1,0]
	buffer_store_dword v4, off, s[0:3], s32 offset:816 ; 4-byte Folded Spill
	buffer_store_dword v0, off, s[0:3], s32 offset:876 ; 4-byte Folded Spill
	v_or_b32_e32 v0, v24, v86
	buffer_store_dword v1, off, s[0:3], s32 offset:836 ; 4-byte Folded Spill
	v_fma_mixlo_f16 v1, v67, v70, 0 op_sel:[0,1,0] op_sel_hi:[0,1,0]
	buffer_store_dword v2, off, s[0:3], s32 offset:812 ; 4-byte Folded Spill
	v_or_b32_e32 v2, v30, v48
	v_fma_mixlo_f16 v0, v67, v0, 0 op_sel_hi:[0,1,0]
	buffer_store_dword v3, off, s[0:3], s32 offset:820 ; 4-byte Folded Spill
	buffer_store_dword v1, off, s[0:3], s32 offset:832 ; 4-byte Folded Spill
	v_or_b32_e32 v1, v11, v78
	v_fma_mixlo_f16 v2, v67, v2, 0 op_sel_hi:[0,1,0]
	buffer_store_dword v0, off, s[0:3], s32 offset:868 ; 4-byte Folded Spill
	v_fma_mixlo_f16 v0, v67, v24, 0 op_sel:[0,1,0] op_sel_hi:[0,1,0]
	v_or_b32_e32 v3, v80, v57
	v_fma_mixlo_f16 v1, v67, v1, 0 op_sel_hi:[0,1,0]
	buffer_store_dword v2, off, s[0:3], s32 offset:804 ; 4-byte Folded Spill
	v_fma_mixlo_f16 v2, v67, v30, 0 op_sel:[0,1,0] op_sel_hi:[0,1,0]
	buffer_store_dword v0, off, s[0:3], s32 offset:864 ; 4-byte Folded Spill
	v_or_b32_e32 v0, v13, v50
	buffer_store_dword v1, off, s[0:3], s32 offset:884 ; 4-byte Folded Spill
	v_or_b32_e32 v1, v121, v10
	;; [unrolled: 2-line block ×3, first 2 shown]
	v_fma_mixlo_f16 v0, v67, v0, 0 op_sel_hi:[0,1,0]
	v_fma_mixlo_f16 v3, v67, v3, 0 op_sel_hi:[0,1,0]
	;; [unrolled: 1-line block ×3, first 2 shown]
	v_fma_mixlo_f16 v4, v67, v80, 0 op_sel:[0,1,0] op_sel_hi:[0,1,0]
	v_fma_mixlo_f16 v2, v67, v2, 0 op_sel_hi:[0,1,0]
	buffer_store_dword v0, off, s[0:3], s32 offset:916 ; 4-byte Folded Spill
	v_or_b32_e32 v0, v49, v120
	buffer_store_dword v1, off, s[0:3], s32 offset:892 ; 4-byte Folded Spill
	v_fma_mixlo_f16 v1, v67, v79, 0 op_sel:[0,1,0] op_sel_hi:[0,1,0]
	buffer_store_dword v2, off, s[0:3], s32 offset:852 ; 4-byte Folded Spill
	v_or_b32_e32 v2, v100, v64
	v_fma_mixlo_f16 v0, v67, v0, 0 op_sel_hi:[0,1,0]
	buffer_store_dword v3, off, s[0:3], s32 offset:828 ; 4-byte Folded Spill
	buffer_store_dword v1, off, s[0:3], s32 offset:872 ; 4-byte Folded Spill
	v_fma_mixlo_f16 v1, v67, v13, 0 op_sel:[0,1,0] op_sel_hi:[0,1,0]
	v_fma_mixlo_f16 v2, v67, v2, 0 op_sel_hi:[0,1,0]
	buffer_store_dword v0, off, s[0:3], s32 offset:924 ; 4-byte Folded Spill
	v_or_b32_e32 v0, v69, v107
	v_fma_mixlo_f16 v3, v67, v117, 0 op_sel:[0,1,0] op_sel_hi:[0,1,0]
	buffer_store_dword v1, off, s[0:3], s32 offset:912 ; 4-byte Folded Spill
	v_fma_mixlo_f16 v1, v67, v49, 0 op_sel:[0,1,0] op_sel_hi:[0,1,0]
	buffer_store_dword v2, off, s[0:3], s32 offset:860 ; 4-byte Folded Spill
	v_fma_mixlo_f16 v0, v67, v0, 0 op_sel_hi:[0,1,0]
	v_or_b32_e32 v2, v40, v98
	buffer_store_dword v3, off, s[0:3], s32 offset:808 ; 4-byte Folded Spill
	buffer_store_dword v1, off, s[0:3], s32 offset:920 ; 4-byte Folded Spill
	v_fma_mixlo_f16 v1, v67, v69, 0 op_sel:[0,1,0] op_sel_hi:[0,1,0]
	buffer_store_dword v0, off, s[0:3], s32 offset:908 ; 4-byte Folded Spill
	v_or_b32_e32 v0, v92, v109
	v_fma_mixlo_f16 v3, v67, v71, 0 op_sel:[0,1,0] op_sel_hi:[0,1,0]
	v_fma_mixlo_f16 v2, v67, v2, 0 op_sel_hi:[0,1,0]
	buffer_store_dword v1, off, s[0:3], s32 offset:904 ; 4-byte Folded Spill
	v_fma_mixlo_f16 v1, v67, v97, 0 op_sel:[0,1,0] op_sel_hi:[0,1,0]
	v_fma_mixlo_f16 v0, v67, v0, 0 op_sel_hi:[0,1,0]
	buffer_store_dword v3, off, s[0:3], s32 offset:848 ; 4-byte Folded Spill
	v_fma_mixlo_f16 v3, v67, v100, 0 op_sel:[0,1,0] op_sel_hi:[0,1,0]
	buffer_store_dword v2, off, s[0:3], s32 offset:844 ; 4-byte Folded Spill
	buffer_store_dword v1, off, s[0:3], s32 offset:944 ; 4-byte Folded Spill
	;; [unrolled: 1-line block ×3, first 2 shown]
	v_fma_mixlo_f16 v0, v67, v92, 0 op_sel:[0,1,0] op_sel_hi:[0,1,0]
	v_fma_mixlo_f16 v1, v67, v5, 0 op_sel:[0,1,0] op_sel_hi:[0,1,0]
	;; [unrolled: 1-line block ×3, first 2 shown]
	buffer_store_dword v3, off, s[0:3], s32 offset:856 ; 4-byte Folded Spill
	v_fma_mixlo_f16 v3, v67, v40, 0 op_sel:[0,1,0] op_sel_hi:[0,1,0]
	buffer_store_dword v0, off, s[0:3], s32 offset:896 ; 4-byte Folded Spill
	v_or_b32_e32 v0, v97, v116
	buffer_store_dword v1, off, s[0:3], s32 offset:952 ; 4-byte Folded Spill
	v_fma_mixlo_f16 v1, v67, v68, 0 op_sel:[0,1,0] op_sel_hi:[0,1,0]
	buffer_store_dword v2, off, s[0:3], s32 offset:880 ; 4-byte Folded Spill
	v_fma_mixlo_f16 v2, v67, v121, 0 op_sel:[0,1,0] op_sel_hi:[0,1,0]
	v_fma_mixlo_f16 v0, v67, v0, 0 op_sel_hi:[0,1,0]
	buffer_store_dword v4, off, s[0:3], s32 offset:824 ; 4-byte Folded Spill
	buffer_store_dword v1, off, s[0:3], s32 offset:936 ; 4-byte Folded Spill
	v_fma_mixlo_f16 v1, v67, v101, 0 op_sel:[0,1,0] op_sel_hi:[0,1,0]
	buffer_store_dword v3, off, s[0:3], s32 offset:840 ; 4-byte Folded Spill
	buffer_store_dword v0, off, s[0:3], s32 offset:948 ; 4-byte Folded Spill
	v_or_b32_e32 v0, v5, v66
	buffer_store_dword v2, off, s[0:3], s32 offset:888 ; 4-byte Folded Spill
	buffer_store_dword v1, off, s[0:3], s32 offset:976 ; 4-byte Folded Spill
	v_fma_mixlo_f16 v1, v67, v102, 0 op_sel:[0,1,0] op_sel_hi:[0,1,0]
	v_fma_mixlo_f16 v0, v67, v0, 0 op_sel_hi:[0,1,0]
	buffer_store_dword v1, off, s[0:3], s32 offset:984 ; 4-byte Folded Spill
	v_fma_mixlo_f16 v1, v67, v46, 0 op_sel:[0,1,0] op_sel_hi:[0,1,0]
	buffer_store_dword v0, off, s[0:3], s32 offset:956 ; 4-byte Folded Spill
	v_or_b32_e32 v0, v68, v83
	buffer_store_dword v1, off, s[0:3], s32 offset:968 ; 4-byte Folded Spill
	v_fma_mixlo_f16 v1, v67, v104, 0 op_sel:[0,1,0] op_sel_hi:[0,1,0]
	v_fma_mixlo_f16 v0, v67, v0, 0 op_sel_hi:[0,1,0]
	buffer_store_dword v1, off, s[0:3], s32 offset:1008 ; 4-byte Folded Spill
	buffer_store_dword v0, off, s[0:3], s32 offset:940 ; 4-byte Folded Spill
	v_or_b32_e32 v0, v125, v15
	v_fma_mixlo_f16 v1, v67, v55, 0 op_sel:[0,1,0] op_sel_hi:[0,1,0]
	v_fma_mixlo_f16 v0, v67, v0, 0 op_sel_hi:[0,1,0]
	buffer_store_dword v1, off, s[0:3], s32 offset:1016 ; 4-byte Folded Spill
	v_fma_mixlo_f16 v1, v67, v106, 0 op_sel:[0,1,0] op_sel_hi:[0,1,0]
	buffer_store_dword v0, off, s[0:3], s32 offset:932 ; 4-byte Folded Spill
	v_fma_mixlo_f16 v0, v67, v125, 0 op_sel:[0,1,0] op_sel_hi:[0,1,0]
	;; [unrolled: 2-line block ×3, first 2 shown]
	buffer_store_dword v0, off, s[0:3], s32 offset:928 ; 4-byte Folded Spill
	v_or_b32_e32 v0, v101, v52
	buffer_store_dword v1, off, s[0:3], s32 offset:1040 ; 4-byte Folded Spill
	v_fma_mixlo_f16 v1, v67, v33, 0 op_sel:[0,1,0] op_sel_hi:[0,1,0]
	v_fma_mixlo_f16 v0, v67, v0, 0 op_sel_hi:[0,1,0]
	buffer_store_dword v1, off, s[0:3], s32 offset:1048 ; 4-byte Folded Spill
	v_fma_mixlo_f16 v1, v67, v88, 0 op_sel:[0,1,0] op_sel_hi:[0,1,0]
	buffer_store_dword v0, off, s[0:3], s32 offset:980 ; 4-byte Folded Spill
	v_or_b32_e32 v0, v102, v110
	buffer_store_dword v1, off, s[0:3], s32 offset:1032 ; 4-byte Folded Spill
	v_fma_mixlo_f16 v1, v67, v14, 0 op_sel:[0,1,0] op_sel_hi:[0,1,0]
	v_fma_mixlo_f16 v0, v67, v0, 0 op_sel_hi:[0,1,0]
	buffer_store_dword v1, off, s[0:3], s32 offset:1072 ; 4-byte Folded Spill
	v_fma_mixlo_f16 v1, v67, v126, 0 op_sel:[0,1,0] op_sel_hi:[0,1,0]
	buffer_store_dword v0, off, s[0:3], s32 offset:988 ; 4-byte Folded Spill
	v_or_b32_e32 v0, v46, v20
	buffer_store_dword v1, off, s[0:3], s32 offset:1080 ; 4-byte Folded Spill
	v_fma_mixlo_f16 v1, v67, v23, 0 op_sel:[0,1,0] op_sel_hi:[0,1,0]
	v_fma_mixlo_f16 v0, v67, v0, 0 op_sel_hi:[0,1,0]
	buffer_store_dword v1, off, s[0:3], s32 offset:1064 ; 4-byte Folded Spill
	buffer_store_dword v0, off, s[0:3], s32 offset:972 ; 4-byte Folded Spill
	v_or_b32_e32 v0, v65, v113
	v_fma_mixlo_f16 v1, v67, v115, 0 op_sel:[0,1,0] op_sel_hi:[0,1,0]
	v_fma_mixlo_f16 v0, v67, v0, 0 op_sel_hi:[0,1,0]
	buffer_store_dword v1, off, s[0:3], s32 offset:1104 ; 4-byte Folded Spill
	v_fma_mixlo_f16 v1, v67, v37, 0 op_sel:[0,1,0] op_sel_hi:[0,1,0]
	buffer_store_dword v0, off, s[0:3], s32 offset:964 ; 4-byte Folded Spill
	v_fma_mixlo_f16 v0, v67, v65, 0 op_sel:[0,1,0] op_sel_hi:[0,1,0]
	;; [unrolled: 2-line block ×3, first 2 shown]
	buffer_store_dword v0, off, s[0:3], s32 offset:960 ; 4-byte Folded Spill
	v_or_b32_e32 v0, v104, v91
	buffer_store_dword v1, off, s[0:3], s32 offset:1096 ; 4-byte Folded Spill
	v_fma_mixlo_f16 v1, v67, v96, 0 op_sel:[0,1,0] op_sel_hi:[0,1,0]
	v_fma_mixlo_f16 v0, v67, v0, 0 op_sel_hi:[0,1,0]
	buffer_store_dword v1, off, s[0:3], s32 offset:1136 ; 4-byte Folded Spill
	v_fma_mixlo_f16 v1, v67, v43, 0 op_sel:[0,1,0] op_sel_hi:[0,1,0]
	buffer_store_dword v0, off, s[0:3], s32 offset:1012 ; 4-byte Folded Spill
	v_or_b32_e32 v0, v55, v25
	buffer_store_dword v1, off, s[0:3], s32 offset:1144 ; 4-byte Folded Spill
	v_fma_mixlo_f16 v1, v67, v38, 0 op_sel:[0,1,0] op_sel_hi:[0,1,0]
	v_fma_mixlo_f16 v0, v67, v0, 0 op_sel_hi:[0,1,0]
	buffer_store_dword v1, off, s[0:3], s32 offset:1128 ; 4-byte Folded Spill
	v_fma_mixlo_f16 v1, v67, v45, 0 op_sel:[0,1,0] op_sel_hi:[0,1,0]
	buffer_store_dword v0, off, s[0:3], s32 offset:1020 ; 4-byte Folded Spill
	v_or_b32_e32 v0, v106, v93
	buffer_store_dword v1, off, s[0:3], s32 offset:1156 ; 4-byte Folded Spill
	v_fma_mixlo_f16 v1, v67, v119, 0 op_sel:[0,1,0] op_sel_hi:[0,1,0]
	v_fma_mixlo_f16 v0, v67, v0, 0 op_sel_hi:[0,1,0]
	buffer_store_dword v1, off, s[0:3], s32 offset:1164 ; 4-byte Folded Spill
	buffer_store_dword v0, off, s[0:3], s32 offset:1004 ; 4-byte Folded Spill
	v_or_b32_e32 v0, v21, v7
	v_fma_mixlo_f16 v1, v67, v112, 0 op_sel:[0,1,0] op_sel_hi:[0,1,0]
	v_fma_mixlo_f16 v0, v67, v0, 0 op_sel_hi:[0,1,0]
	buffer_store_dword v0, off, s[0:3], s32 offset:996 ; 4-byte Folded Spill
	v_fma_mixlo_f16 v0, v67, v21, 0 op_sel:[0,1,0] op_sel_hi:[0,1,0]
	buffer_store_dword v0, off, s[0:3], s32 offset:992 ; 4-byte Folded Spill
	v_or_b32_e32 v0, v75, v22
	v_fma_mixlo_f16 v0, v67, v0, 0 op_sel_hi:[0,1,0]
	buffer_store_dword v0, off, s[0:3], s32 offset:1044 ; 4-byte Folded Spill
	v_or_b32_e32 v0, v33, v72
	v_fma_mixlo_f16 v0, v67, v0, 0 op_sel_hi:[0,1,0]
	buffer_store_dword v0, off, s[0:3], s32 offset:1052 ; 4-byte Folded Spill
	v_or_b32_e32 v0, v88, v74
	v_fma_mixlo_f16 v0, v67, v0, 0 op_sel_hi:[0,1,0]
	buffer_store_dword v0, off, s[0:3], s32 offset:1036 ; 4-byte Folded Spill
	v_or_b32_e32 v0, v90, v77
	v_fma_mixlo_f16 v0, v67, v0, 0 op_sel_hi:[0,1,0]
	buffer_store_dword v0, off, s[0:3], s32 offset:1028 ; 4-byte Folded Spill
	v_fma_mixlo_f16 v0, v67, v90, 0 op_sel:[0,1,0] op_sel_hi:[0,1,0]
	buffer_store_dword v0, off, s[0:3], s32 offset:1024 ; 4-byte Folded Spill
	v_or_b32_e32 v0, v14, v127
	v_fma_mixlo_f16 v0, v67, v0, 0 op_sel_hi:[0,1,0]
	buffer_store_dword v0, off, s[0:3], s32 offset:1076 ; 4-byte Folded Spill
	v_or_b32_e32 v0, v126, v99
	v_fma_mixlo_f16 v0, v67, v0, 0 op_sel_hi:[0,1,0]
	buffer_store_dword v0, off, s[0:3], s32 offset:1084 ; 4-byte Folded Spill
	v_or_b32_e32 v0, v23, v19
	v_fma_mixlo_f16 v0, v67, v0, 0 op_sel_hi:[0,1,0]
	buffer_store_dword v0, off, s[0:3], s32 offset:1068 ; 4-byte Folded Spill
	v_or_b32_e32 v0, v32, v39
	v_fma_mixlo_f16 v0, v67, v0, 0 op_sel_hi:[0,1,0]
	buffer_store_dword v0, off, s[0:3], s32 offset:1060 ; 4-byte Folded Spill
	v_fma_mixlo_f16 v0, v67, v32, 0 op_sel:[0,1,0] op_sel_hi:[0,1,0]
	buffer_store_dword v0, off, s[0:3], s32 offset:1056 ; 4-byte Folded Spill
	v_or_b32_e32 v0, v115, v87
	v_fma_mixlo_f16 v0, v67, v0, 0 op_sel_hi:[0,1,0]
	buffer_store_dword v0, off, s[0:3], s32 offset:1108 ; 4-byte Folded Spill
	v_or_b32_e32 v0, v37, v36
	v_fma_mixlo_f16 v0, v67, v0, 0 op_sel_hi:[0,1,0]
	buffer_store_dword v0, off, s[0:3], s32 offset:1116 ; 4-byte Folded Spill
	v_or_b32_e32 v0, v59, v114
	v_fma_mixlo_f16 v0, v67, v0, 0 op_sel_hi:[0,1,0]
	buffer_store_dword v0, off, s[0:3], s32 offset:1100 ; 4-byte Folded Spill
	v_or_b32_e32 v0, v105, v95
	v_fma_mixlo_f16 v0, v67, v0, 0 op_sel_hi:[0,1,0]
	buffer_store_dword v0, off, s[0:3], s32 offset:1092 ; 4-byte Folded Spill
	v_fma_mixlo_f16 v0, v67, v105, 0 op_sel:[0,1,0] op_sel_hi:[0,1,0]
	buffer_store_dword v0, off, s[0:3], s32 offset:1088 ; 4-byte Folded Spill
	v_or_b32_e32 v0, v96, v53
	v_fma_mixlo_f16 v0, v67, v0, 0 op_sel_hi:[0,1,0]
	buffer_store_dword v0, off, s[0:3], s32 offset:1140 ; 4-byte Folded Spill
	v_or_b32_e32 v0, v43, v34
	v_fma_mixlo_f16 v0, v67, v0, 0 op_sel_hi:[0,1,0]
	buffer_store_dword v0, off, s[0:3], s32 offset:1148 ; 4-byte Folded Spill
	v_or_b32_e32 v0, v38, v62
	v_fma_mixlo_f16 v0, v67, v0, 0 op_sel_hi:[0,1,0]
	buffer_store_dword v0, off, s[0:3], s32 offset:1132 ; 4-byte Folded Spill
	v_or_b32_e32 v0, v76, v27
	v_fma_mixlo_f16 v0, v67, v0, 0 op_sel_hi:[0,1,0]
	buffer_store_dword v0, off, s[0:3], s32 offset:1124 ; 4-byte Folded Spill
	v_fma_mixlo_f16 v0, v67, v76, 0 op_sel:[0,1,0] op_sel_hi:[0,1,0]
	buffer_store_dword v0, off, s[0:3], s32 offset:1120 ; 4-byte Folded Spill
	buffer_load_dword v0, off, s[0:3], s32 offset:712 ; 4-byte Folded Reload
	s_waitcnt vmcnt(0)
	v_or_b32_e32 v0, v45, v0
	v_fma_mixlo_f16 v0, v67, v0, 0 op_sel_hi:[0,1,0]
	buffer_store_dword v0, off, s[0:3], s32 offset:1160 ; 4-byte Folded Spill
	buffer_load_dword v0, off, s[0:3], s32 offset:708 ; 4-byte Folded Reload
	s_waitcnt vmcnt(0)
	v_or_b32_e32 v0, v119, v0
	v_fma_mixlo_f16 v0, v67, v0, 0 op_sel_hi:[0,1,0]
	buffer_store_dword v0, off, s[0:3], s32 offset:1168 ; 4-byte Folded Spill
	buffer_load_dword v0, off, s[0:3], s32 offset:716 ; 4-byte Folded Reload
	buffer_store_dword v1, off, s[0:3], s32 offset:716 ; 4-byte Folded Spill
	v_fma_mixlo_f16 v1, v67, v17, 0 op_sel:[0,1,0] op_sel_hi:[0,1,0]
	buffer_store_dword v1, off, s[0:3], s32 offset:1176 ; 4-byte Folded Spill
	v_fma_mixlo_f16 v1, v67, v123, 0 op_sel:[0,1,0] op_sel_hi:[0,1,0]
	;; [unrolled: 2-line block ×3, first 2 shown]
	s_waitcnt vmcnt(0)
	v_or_b32_e32 v0, v112, v0
	v_fma_mixlo_f16 v0, v67, v0, 0 op_sel_hi:[0,1,0]
	buffer_store_dword v0, off, s[0:3], s32 offset:1152 ; 4-byte Folded Spill
	v_or_b32_e32 v0, v56, v42
	v_fma_mixlo_f16 v0, v67, v0, 0 op_sel_hi:[0,1,0]
	buffer_store_dword v0, off, s[0:3], s32 offset:712 ; 4-byte Folded Spill
	v_fma_mixlo_f16 v0, v67, v56, 0 op_sel:[0,1,0] op_sel_hi:[0,1,0]
	buffer_store_dword v0, off, s[0:3], s32 offset:708 ; 4-byte Folded Spill
	buffer_load_dword v0, off, s[0:3], s32 offset:696 ; 4-byte Folded Reload
	s_waitcnt vmcnt(0)
	v_or_b32_e32 v0, v17, v0
	v_fma_mixlo_f16 v0, v67, v0, 0 op_sel_hi:[0,1,0]
	buffer_store_dword v0, off, s[0:3], s32 offset:1180 ; 4-byte Folded Spill
	buffer_load_dword v0, off, s[0:3], s32 offset:692 ; 4-byte Folded Reload
	s_waitcnt vmcnt(0)
	v_or_b32_e32 v0, v123, v0
	v_fma_mixlo_f16 v0, v67, v0, 0 op_sel_hi:[0,1,0]
	buffer_store_dword v0, off, s[0:3], s32 offset:1188 ; 4-byte Folded Spill
	buffer_load_dword v0, off, s[0:3], s32 offset:700 ; 4-byte Folded Reload
	buffer_store_dword v1, off, s[0:3], s32 offset:700 ; 4-byte Folded Spill
	v_fma_mixlo_f16 v1, v67, v26, 0 op_sel:[0,1,0] op_sel_hi:[0,1,0]
	buffer_store_dword v1, off, s[0:3], s32 offset:1192 ; 4-byte Folded Spill
	v_fma_mixlo_f16 v1, v67, v118, 0 op_sel:[0,1,0] op_sel_hi:[0,1,0]
	;; [unrolled: 2-line block ×3, first 2 shown]
	s_waitcnt vmcnt(0)
	v_or_b32_e32 v0, v35, v0
	v_fma_mixlo_f16 v0, v67, v0, 0 op_sel_hi:[0,1,0]
	buffer_store_dword v0, off, s[0:3], s32 offset:1172 ; 4-byte Folded Spill
	buffer_load_dword v0, off, s[0:3], s32 offset:704 ; 4-byte Folded Reload
	s_waitcnt vmcnt(0)
	v_or_b32_e32 v0, v61, v0
	v_fma_mixlo_f16 v0, v67, v0, 0 op_sel_hi:[0,1,0]
	buffer_store_dword v0, off, s[0:3], s32 offset:696 ; 4-byte Folded Spill
	v_fma_mixlo_f16 v0, v67, v61, 0 op_sel:[0,1,0] op_sel_hi:[0,1,0]
	buffer_store_dword v0, off, s[0:3], s32 offset:692 ; 4-byte Folded Spill
	buffer_load_dword v0, off, s[0:3], s32 offset:680 ; 4-byte Folded Reload
	s_waitcnt vmcnt(0)
	v_or_b32_e32 v0, v26, v0
	v_fma_mixlo_f16 v0, v67, v0, 0 op_sel_hi:[0,1,0]
	buffer_store_dword v0, off, s[0:3], s32 offset:1196 ; 4-byte Folded Spill
	buffer_load_dword v0, off, s[0:3], s32 offset:676 ; 4-byte Folded Reload
	s_waitcnt vmcnt(0)
	v_or_b32_e32 v0, v118, v0
	v_fma_mixlo_f16 v0, v67, v0, 0 op_sel_hi:[0,1,0]
	buffer_store_dword v0, off, s[0:3], s32 offset:1204 ; 4-byte Folded Spill
	buffer_load_dword v0, off, s[0:3], s32 offset:684 ; 4-byte Folded Reload
	buffer_store_dword v1, off, s[0:3], s32 offset:684 ; 4-byte Folded Spill
	v_fma_mixlo_f16 v1, v67, v6, 0 op_sel:[0,1,0] op_sel_hi:[0,1,0]
	buffer_store_dword v1, off, s[0:3], s32 offset:1208 ; 4-byte Folded Spill
	v_fma_mixlo_f16 v1, v67, v54, 0 op_sel:[0,1,0] op_sel_hi:[0,1,0]
	;; [unrolled: 2-line block ×3, first 2 shown]
	s_waitcnt vmcnt(0)
	v_or_b32_e32 v0, v85, v0
	v_fma_mixlo_f16 v0, v67, v0, 0 op_sel_hi:[0,1,0]
	buffer_store_dword v0, off, s[0:3], s32 offset:704 ; 4-byte Folded Spill
	buffer_load_dword v0, off, s[0:3], s32 offset:688 ; 4-byte Folded Reload
	s_waitcnt vmcnt(0)
	v_or_b32_e32 v0, v122, v0
	v_fma_mixlo_f16 v0, v67, v0, 0 op_sel_hi:[0,1,0]
	buffer_store_dword v0, off, s[0:3], s32 offset:680 ; 4-byte Folded Spill
	v_fma_mixlo_f16 v0, v67, v122, 0 op_sel:[0,1,0] op_sel_hi:[0,1,0]
	buffer_store_dword v0, off, s[0:3], s32 offset:676 ; 4-byte Folded Spill
	buffer_load_dword v0, off, s[0:3], s32 offset:664 ; 4-byte Folded Reload
	s_waitcnt vmcnt(0)
	v_or_b32_e32 v0, v6, v0
	v_fma_mixlo_f16 v0, v67, v0, 0 op_sel_hi:[0,1,0]
	buffer_store_dword v0, off, s[0:3], s32 offset:1212 ; 4-byte Folded Spill
	buffer_load_dword v0, off, s[0:3], s32 offset:660 ; 4-byte Folded Reload
	s_waitcnt vmcnt(0)
	v_or_b32_e32 v0, v54, v0
	v_fma_mixlo_f16 v0, v67, v0, 0 op_sel_hi:[0,1,0]
	buffer_store_dword v0, off, s[0:3], s32 offset:1220 ; 4-byte Folded Spill
	buffer_load_dword v0, off, s[0:3], s32 offset:668 ; 4-byte Folded Reload
	buffer_store_dword v1, off, s[0:3], s32 offset:668 ; 4-byte Folded Spill
	v_fma_mixlo_f16 v1, v67, v94, 0 op_sel:[0,1,0] op_sel_hi:[0,1,0]
	s_waitcnt vmcnt(0)
	v_or_b32_e32 v0, v73, v0
	v_fma_mixlo_f16 v0, v67, v0, 0 op_sel_hi:[0,1,0]
	buffer_store_dword v0, off, s[0:3], s32 offset:688 ; 4-byte Folded Spill
	buffer_load_dword v0, off, s[0:3], s32 offset:672 ; 4-byte Folded Reload
	buffer_store_dword v1, off, s[0:3], s32 offset:672 ; 4-byte Folded Spill
	s_waitcnt vmcnt(0)
	v_or_b32_e32 v0, v58, v0
	v_fma_mixlo_f16 v0, v67, v0, 0 op_sel_hi:[0,1,0]
	buffer_store_dword v0, off, s[0:3], s32 offset:664 ; 4-byte Folded Spill
	v_fma_mixlo_f16 v0, v67, v58, 0 op_sel:[0,1,0] op_sel_hi:[0,1,0]
	buffer_store_dword v0, off, s[0:3], s32 offset:660 ; 4-byte Folded Spill
	buffer_load_dword v0, off, s[0:3], s32 offset:648 ; 4-byte Folded Reload
	s_waitcnt vmcnt(0)
	v_or_b32_e32 v0, v94, v0
	v_fma_mixlo_f16 v0, v67, v0, 0 op_sel_hi:[0,1,0]
	buffer_store_dword v0, off, s[0:3], s32 offset:1224 ; 4-byte Folded Spill
	s_clause 0x1
	buffer_load_dword v0, off, s[0:3], s32 offset:640
	buffer_load_dword v1, off, s[0:3], s32 offset:644
	s_waitcnt vmcnt(0)
	v_or_b32_e32 v0, v1, v0
	v_fma_mixlo_f16 v1, v67, v1, 0 op_sel:[0,1,0] op_sel_hi:[0,1,0]
	v_fma_mixlo_f16 v0, v67, v0, 0 op_sel_hi:[0,1,0]
	buffer_store_dword v1, off, s[0:3], s32 offset:1228 ; 4-byte Folded Spill
	v_fma_mixlo_f16 v1, v67, v51, 0 op_sel:[0,1,0] op_sel_hi:[0,1,0]
	buffer_store_dword v0, off, s[0:3], s32 offset:1232 ; 4-byte Folded Spill
	buffer_load_dword v0, off, s[0:3], s32 offset:652 ; 4-byte Folded Reload
	buffer_store_dword v1, off, s[0:3], s32 offset:648 ; 4-byte Folded Spill
	s_waitcnt vmcnt(0)
	v_or_b32_e32 v0, v51, v0
	v_fma_mixlo_f16 v0, v67, v0, 0 op_sel_hi:[0,1,0]
	buffer_store_dword v0, off, s[0:3], s32 offset:652 ; 4-byte Folded Spill
	buffer_load_dword v0, off, s[0:3], s32 offset:656 ; 4-byte Folded Reload
	s_waitcnt vmcnt(0)
	v_or_b32_e32 v0, v63, v0
	v_fma_mixlo_f16 v0, v67, v0, 0 op_sel_hi:[0,1,0]
	buffer_store_dword v0, off, s[0:3], s32 offset:644 ; 4-byte Folded Spill
	v_fma_mixlo_f16 v0, v67, v63, 0 op_sel:[0,1,0] op_sel_hi:[0,1,0]
	buffer_store_dword v0, off, s[0:3], s32 offset:640 ; 4-byte Folded Spill
	s_clause 0x1
	buffer_load_dword v0, off, s[0:3], s32 offset:620
	buffer_load_dword v1, off, s[0:3], s32 offset:628
	s_waitcnt vmcnt(0)
	v_or_b32_e32 v0, v1, v0
	v_fma_mixlo_f16 v1, v67, v1, 0 op_sel:[0,1,0] op_sel_hi:[0,1,0]
	v_fma_mixlo_f16 v0, v67, v0, 0 op_sel_hi:[0,1,0]
	buffer_store_dword v1, off, s[0:3], s32 offset:628 ; 4-byte Folded Spill
	buffer_store_dword v0, off, s[0:3], s32 offset:656 ; 4-byte Folded Spill
	s_clause 0x1
	buffer_load_dword v0, off, s[0:3], s32 offset:612
	buffer_load_dword v1, off, s[0:3], s32 offset:616
	s_waitcnt vmcnt(0)
	v_or_b32_e32 v0, v1, v0
	v_fma_mixlo_f16 v1, v67, v1, 0 op_sel:[0,1,0] op_sel_hi:[0,1,0]
	v_fma_mixlo_f16 v0, v67, v0, 0 op_sel_hi:[0,1,0]
	buffer_store_dword v1, off, s[0:3], s32 offset:1236 ; 4-byte Folded Spill
	;; [unrolled: 9-line block ×3, first 2 shown]
	buffer_store_dword v0, off, s[0:3], s32 offset:624 ; 4-byte Folded Spill
	s_clause 0x1
	buffer_load_dword v0, off, s[0:3], s32 offset:632
	buffer_load_dword v1, off, s[0:3], s32 offset:772
	s_waitcnt vmcnt(0)
	v_or_b32_e32 v0, v1, v0
	v_fma_mixlo_f16 v0, v67, v0, 0 op_sel_hi:[0,1,0]
	buffer_store_dword v0, off, s[0:3], s32 offset:616 ; 4-byte Folded Spill
	v_fma_mixlo_f16 v0, v67, v1, 0 op_sel:[0,1,0] op_sel_hi:[0,1,0]
	buffer_store_dword v0, off, s[0:3], s32 offset:612 ; 4-byte Folded Spill
	s_clause 0x1
	buffer_load_dword v0, off, s[0:3], s32 offset:592
	buffer_load_dword v1, off, s[0:3], s32 offset:600
	s_waitcnt vmcnt(0)
	v_or_b32_e32 v0, v1, v0
	v_fma_mixlo_f16 v105, v67, v1, 0 op_sel:[0,1,0] op_sel_hi:[0,1,0]
	v_fma_mixlo_f16 v95, v67, v0, 0 op_sel_hi:[0,1,0]
	s_clause 0x1
	buffer_load_dword v0, off, s[0:3], s32 offset:584
	buffer_load_dword v1, off, s[0:3], s32 offset:588
	s_waitcnt vmcnt(0)
	v_or_b32_e32 v0, v1, v0
	v_fma_mixlo_f16 v92, v67, v1, 0 op_sel:[0,1,0] op_sel_hi:[0,1,0]
	v_fma_mixlo_f16 v76, v67, v0, 0 op_sel_hi:[0,1,0]
	;; [unrolled: 7-line block ×3, first 2 shown]
	s_clause 0x1
	buffer_load_dword v0, off, s[0:3], s32 offset:604
	buffer_load_dword v1, off, s[0:3], s32 offset:768
	s_waitcnt vmcnt(0)
	v_or_b32_e32 v0, v1, v0
	v_fma_mixlo_f16 v127, v67, v0, 0 op_sel_hi:[0,1,0]
	v_fma_mixlo_f16 v0, v67, v1, 0 op_sel:[0,1,0] op_sel_hi:[0,1,0]
	buffer_store_dword v0, off, s[0:3], s32 offset:584 ; 4-byte Folded Spill
	s_clause 0x1
	buffer_load_dword v0, off, s[0:3], s32 offset:564
	buffer_load_dword v1, off, s[0:3], s32 offset:572
	s_waitcnt vmcnt(0)
	v_or_b32_e32 v0, v1, v0
	v_fma_mixlo_f16 v116, v67, v1, 0 op_sel:[0,1,0] op_sel_hi:[0,1,0]
	v_fma_mixlo_f16 v115, v67, v0, 0 op_sel_hi:[0,1,0]
	s_clause 0x1
	buffer_load_dword v0, off, s[0:3], s32 offset:556
	buffer_load_dword v1, off, s[0:3], s32 offset:560
	s_waitcnt vmcnt(0)
	v_or_b32_e32 v0, v1, v0
	v_fma_mixlo_f16 v1, v67, v1, 0 op_sel:[0,1,0] op_sel_hi:[0,1,0]
	v_fma_mixlo_f16 v114, v67, v0, 0 op_sel_hi:[0,1,0]
	buffer_store_dword v1, off, s[0:3], s32 offset:556 ; 4-byte Folded Spill
	s_clause 0x1
	buffer_load_dword v0, off, s[0:3], s32 offset:568
	buffer_load_dword v1, off, s[0:3], s32 offset:580
	s_waitcnt vmcnt(0)
	v_or_b32_e32 v0, v1, v0
	v_fma_mixlo_f16 v45, v67, v1, 0 op_sel:[0,1,0] op_sel_hi:[0,1,0]
	v_fma_mixlo_f16 v119, v67, v0, 0 op_sel_hi:[0,1,0]
	s_clause 0x1
	buffer_load_dword v0, off, s[0:3], s32 offset:576
	buffer_load_dword v1, off, s[0:3], s32 offset:764
	s_waitcnt vmcnt(0)
	v_or_b32_e32 v0, v1, v0
	v_fma_mixlo_f16 v59, v67, v1, 0 op_sel:[0,1,0] op_sel_hi:[0,1,0]
	v_fma_mixlo_f16 v56, v67, v0, 0 op_sel_hi:[0,1,0]
	;; [unrolled: 7-line block ×5, first 2 shown]
	s_clause 0x1
	buffer_load_dword v0, off, s[0:3], s32 offset:548
	buffer_load_dword v1, off, s[0:3], s32 offset:760
	s_waitcnt vmcnt(0)
	v_or_b32_e32 v0, v1, v0
	v_fma_mixlo_f16 v0, v67, v0, 0 op_sel_hi:[0,1,0]
	buffer_store_dword v0, off, s[0:3], s32 offset:532 ; 4-byte Folded Spill
	v_fma_mixlo_f16 v0, v67, v1, 0 op_sel:[0,1,0] op_sel_hi:[0,1,0]
	buffer_store_dword v0, off, s[0:3], s32 offset:528 ; 4-byte Folded Spill
	s_clause 0x1
	buffer_load_dword v0, off, s[0:3], s32 offset:508
	buffer_load_dword v1, off, s[0:3], s32 offset:516
	s_waitcnt vmcnt(0)
	v_or_b32_e32 v0, v1, v0
	v_fma_mixlo_f16 v99, v67, v1, 0 op_sel:[0,1,0] op_sel_hi:[0,1,0]
	v_fma_mixlo_f16 v91, v67, v0, 0 op_sel_hi:[0,1,0]
	s_clause 0x1
	buffer_load_dword v0, off, s[0:3], s32 offset:500
	buffer_load_dword v1, off, s[0:3], s32 offset:504
	s_waitcnt vmcnt(0)
	v_or_b32_e32 v0, v1, v0
	v_fma_mixlo_f16 v93, v67, v1, 0 op_sel:[0,1,0] op_sel_hi:[0,1,0]
	v_fma_mixlo_f16 v104, v67, v0, 0 op_sel_hi:[0,1,0]
	;; [unrolled: 7-line block ×37, first 2 shown]
	s_clause 0x1
	buffer_load_dword v0, off, s[0:3], s32 offset:236
	buffer_load_dword v1, off, s[0:3], s32 offset:240
	v_and_b32_e32 v14, 0xffff, v14
	v_and_b32_e32 v15, 0xffff, v15
	s_waitcnt vmcnt(0)
	v_or_b32_e32 v0, v1, v0
	v_fma_mixlo_f16 v13, v67, v1, 0 op_sel:[0,1,0] op_sel_hi:[0,1,0]
	v_fma_mixlo_f16 v118, v67, v0, 0 op_sel_hi:[0,1,0]
	s_clause 0x1
	buffer_load_dword v0, off, s[0:3], s32 offset:248
	buffer_load_dword v1, off, s[0:3], s32 offset:260
	v_and_b32_e32 v13, 0xffff, v13
	s_waitcnt vmcnt(0)
	v_or_b32_e32 v0, v1, v0
	v_fma_mixlo_f16 v17, v67, v1, 0 op_sel:[0,1,0] op_sel_hi:[0,1,0]
	v_fma_mixlo_f16 v117, v67, v0, 0 op_sel_hi:[0,1,0]
	s_clause 0x1
	buffer_load_dword v0, off, s[0:3], s32 offset:256
	buffer_load_dword v1, off, s[0:3], s32 offset:732
	;; [unrolled: 8-line block ×3, first 2 shown]
	s_waitcnt vmcnt(0)
	v_or_b32_e32 v0, v1, v0
	v_fma_mixlo_f16 v61, v67, v1, 0 op_sel:[0,1,0] op_sel_hi:[0,1,0]
	buffer_load_dword v1, off, s[0:3], s32 offset:212 ; 4-byte Folded Reload
	v_fma_mixlo_f16 v87, v67, v0, 0 op_sel_hi:[0,1,0]
	s_waitcnt vmcnt(0)
	v_or_b32_e32 v0, v1, v47
	v_fma_mixlo_f16 v4, v67, v1, 0 op_sel:[0,1,0] op_sel_hi:[0,1,0]
	v_fma_mixlo_f16 v47, v67, v0, 0 op_sel_hi:[0,1,0]
	s_clause 0x1
	buffer_load_dword v0, off, s[0:3], s32 offset:220
	buffer_load_dword v1, off, s[0:3], s32 offset:232
	v_and_b32_e32 v4, 0xffff, v4
	s_waitcnt vmcnt(0)
	v_or_b32_e32 v0, v1, v0
	v_fma_mixlo_f16 v62, v67, v1, 0 op_sel:[0,1,0] op_sel_hi:[0,1,0]
	v_fma_mixlo_f16 v63, v67, v0, 0 op_sel_hi:[0,1,0]
	s_clause 0x2
	buffer_load_dword v0, off, s[0:3], s32 offset:228
	buffer_load_dword v1, off, s[0:3], s32 offset:728
	;; [unrolled: 1-line block ×3, first 2 shown]
	s_waitcnt vmcnt(1)
	v_or_b32_e32 v0, v1, v0
	v_fma_mixlo_f16 v42, v67, v1, 0 op_sel:[0,1,0] op_sel_hi:[0,1,0]
	buffer_load_dword v1, off, s[0:3], s32 offset:776 ; 4-byte Folded Reload
	v_fma_mixlo_f16 v38, v67, v0, 0 op_sel_hi:[0,1,0]
	s_waitcnt vmcnt(0)
	v_sub_nc_u32_e32 v0, 1, v1
	v_cmp_lt_i32_e64 s5, v111, v1
	v_add_nc_u32_e32 v0, v0, v111
	v_add_nc_u32_e32 v111, 0x80, v111
	v_cvt_f32_i32_e32 v0, v0
	v_mul_f32_e32 v0, v2, v0
	v_fma_mixlo_f16 v2, v67, v12, 0 op_sel:[0,1,0] op_sel_hi:[0,1,0]
	v_cndmask_b32_e32 v46, 0, v0, vcc_lo
	v_or_b32_e32 v0, v12, v89
	buffer_store_dword v2, off, s[0:3], s32 offset:224 ; 4-byte Folded Spill
	v_fma_mixlo_f16 v2, v67, v18, 0 op_sel:[0,1,0] op_sel_hi:[0,1,0]
	v_fma_mixlo_f16 v0, v67, v0, 0 op_sel_hi:[0,1,0]
	buffer_store_dword v2, off, s[0:3], s32 offset:232 ; 4-byte Folded Spill
	v_fma_mixlo_f16 v2, v67, v103, 0 op_sel:[0,1,0] op_sel_hi:[0,1,0]
	buffer_store_dword v0, off, s[0:3], s32 offset:228 ; 4-byte Folded Spill
	v_or_b32_e32 v0, v18, v16
	buffer_store_dword v2, off, s[0:3], s32 offset:216 ; 4-byte Folded Spill
	v_fma_mixlo_f16 v0, v67, v0, 0 op_sel_hi:[0,1,0]
	buffer_store_dword v0, off, s[0:3], s32 offset:236 ; 4-byte Folded Spill
	v_or_b32_e32 v0, v103, v108
	v_fma_mixlo_f16 v0, v67, v0, 0 op_sel_hi:[0,1,0]
	buffer_store_dword v0, off, s[0:3], s32 offset:220 ; 4-byte Folded Spill
	v_or_b32_e32 v0, v60, v44
	v_fma_mixlo_f16 v0, v67, v0, 0 op_sel_hi:[0,1,0]
	v_fma_mixlo_f16 v67, v67, v60, 0 op_sel:[0,1,0] op_sel_hi:[0,1,0]
	buffer_store_dword v0, off, s[0:3], s32 offset:212 ; 4-byte Folded Spill
	ds_read_b128 v[0:3], v9
	s_waitcnt lgkmcnt(0)
	v_lshrrev_b32_e32 v12, 16, v0
	v_and_b32_e32 v0, 0xffff, v0
	;;#ASMSTART
	v_cvt_f32_f16 v54, v0;
	;;#ASMEND
	;;#ASMSTART
	v_cvt_f32_f16 v0, v12;
	;;#ASMEND
	v_and_b32_e32 v12, 0xffff, v47
	;;#ASMSTART
	v_cvt_f32_f16 v73, v12;
	;;#ASMEND
	v_lshrrev_b32_e32 v12, 16, v1
	v_and_b32_e32 v1, 0xffff, v1
	;;#ASMSTART
	v_cvt_f32_f16 v47, v4;
	;;#ASMEND
	;;#ASMSTART
	v_cvt_f32_f16 v4, v1;
	;;#ASMEND
	v_and_b32_e32 v1, 0xffff, v87
	;;#ASMSTART
	v_cvt_f32_f16 v108, v12;
	;;#ASMEND
	;;#ASMSTART
	v_cvt_f32_f16 v87, v1;
	;;#ASMEND
	v_and_b32_e32 v1, 0xffff, v61
	;;#ASMSTART
	v_cvt_f32_f16 v103, v1;
	;;#ASMEND
	v_lshrrev_b32_e32 v1, 16, v2
	v_and_b32_e32 v2, 0xffff, v2
	;;#ASMSTART
	v_cvt_f32_f16 v16, v2;
	;;#ASMEND
	;;#ASMSTART
	v_cvt_f32_f16 v44, v1;
	;;#ASMEND
	v_and_b32_e32 v1, 0xffff, v63
	v_and_b32_e32 v2, 0xffff, v62
	;;#ASMSTART
	v_cvt_f32_f16 v1, v1;
	;;#ASMEND
	;;#ASMSTART
	v_cvt_f32_f16 v89, v2;
	;;#ASMEND
	v_lshrrev_b32_e32 v2, 16, v3
	v_and_b32_e32 v3, 0xffff, v3
	;;#ASMSTART
	v_cvt_f32_f16 v18, v3;
	;;#ASMEND
	v_and_b32_e32 v3, 0xffff, v38
	;;#ASMSTART
	v_cvt_f32_f16 v2, v2;
	;;#ASMEND
	;;#ASMSTART
	v_cvt_f32_f16 v38, v3;
	;;#ASMEND
	v_and_b32_e32 v3, 0xffff, v42
	;;#ASMSTART
	v_cvt_f32_f16 v42, v3;
	;;#ASMEND
	ds_read_b128 v[60:63], v9 offset:16
	s_waitcnt lgkmcnt(0)
	v_lshrrev_b32_e32 v12, 16, v60
	v_and_b32_e32 v3, 0xffff, v60
	;;#ASMSTART
	v_cvt_f32_f16 v3, v3;
	;;#ASMEND
	;;#ASMSTART
	v_cvt_f32_f16 v60, v12;
	;;#ASMEND
	v_and_b32_e32 v12, 0xffff, v118
	;;#ASMSTART
	v_cvt_f32_f16 v12, v12;
	;;#ASMEND
	;;#ASMSTART
	v_cvt_f32_f16 v13, v13;
	;;#ASMEND
	v_mul_f32_e32 v13, v60, v13
	v_mul_f32_e32 v12, v3, v12
	v_lshrrev_b32_e32 v3, 16, v61
	v_fmac_f32_e32 v13, v0, v47
	v_and_b32_e32 v0, 0xffff, v61
	;;#ASMSTART
	v_cvt_f32_f16 v0, v0;
	;;#ASMEND
	;;#ASMSTART
	v_cvt_f32_f16 v3, v3;
	;;#ASMEND
	;; [unrolled: 3-line block ×3, first 2 shown]
	v_mul_f32_e32 v15, v0, v15
	;;#ASMSTART
	v_cvt_f32_f16 v14, v14;
	;;#ASMEND
	v_mul_f32_e32 v14, v3, v14
	v_lshrrev_b32_e32 v3, 16, v62
	v_and_b32_e32 v0, 0xffff, v62
	v_fmac_f32_e32 v15, v4, v87
	v_and_b32_e32 v4, 0xffff, v117
	v_fmac_f32_e32 v12, v54, v73
	;;#ASMSTART
	v_cvt_f32_f16 v0, v0;
	;;#ASMEND
	;;#ASMSTART
	v_cvt_f32_f16 v3, v3;
	;;#ASMEND
	;; [unrolled: 3-line block ×4, first 2 shown]
	v_mul_f32_e32 v17, v0, v4
	v_and_b32_e32 v0, 0xffff, v63
	;;#ASMSTART
	v_cvt_f32_f16 v0, v0;
	;;#ASMEND
	v_and_b32_e32 v4, 0xffff, v19
	v_fmac_f32_e32 v14, v108, v103
	v_fmac_f32_e32 v17, v16, v1
	v_mul_f32_e32 v16, v3, v54
	v_lshrrev_b32_e32 v1, 16, v63
	v_and_b32_e32 v3, 0xffff, v98
	;;#ASMSTART
	v_cvt_f32_f16 v1, v1;
	;;#ASMEND
	;;#ASMSTART
	v_cvt_f32_f16 v3, v3;
	;;#ASMEND
	v_mul_f32_e32 v19, v0, v3
	;;#ASMSTART
	v_cvt_f32_f16 v4, v4;
	;;#ASMEND
	v_fmac_f32_e32 v16, v44, v89
	v_and_b32_e32 v54, 0xffff, v41
	v_fmac_f32_e32 v19, v18, v38
	v_mul_f32_e32 v18, v1, v4
	v_and_b32_e32 v38, 0xffff, v64
	v_fmac_f32_e32 v18, v2, v42
	ds_read_b128 v[0:3], v9 offset:32
	s_waitcnt lgkmcnt(0)
	v_lshrrev_b32_e32 v4, 16, v0
	v_and_b32_e32 v0, 0xffff, v0
	;;#ASMSTART
	v_cvt_f32_f16 v0, v0;
	;;#ASMEND
	;;#ASMSTART
	v_cvt_f32_f16 v4, v4;
	;;#ASMEND
	;; [unrolled: 3-line block ×4, first 2 shown]
	v_fmac_f32_e32 v12, v0, v38
	v_fmac_f32_e32 v13, v4, v54
	v_lshrrev_b32_e32 v4, 16, v1
	v_and_b32_e32 v0, 0xffff, v1
	;;#ASMSTART
	v_cvt_f32_f16 v0, v0;
	;;#ASMEND
	;;#ASMSTART
	v_cvt_f32_f16 v1, v4;
	;;#ASMEND
	v_and_b32_e32 v4, 0xffff, v40
	v_and_b32_e32 v38, 0xffff, v94
	;;#ASMSTART
	v_cvt_f32_f16 v4, v4;
	;;#ASMEND
	;;#ASMSTART
	v_cvt_f32_f16 v38, v38;
	;;#ASMEND
	v_fmac_f32_e32 v15, v0, v4
	v_fmac_f32_e32 v14, v1, v38
	v_lshrrev_b32_e32 v1, 16, v2
	v_and_b32_e32 v0, 0xffff, v2
	v_and_b32_e32 v2, 0xffff, v81
	;;#ASMSTART
	v_cvt_f32_f16 v0, v0;
	;;#ASMEND
	;;#ASMSTART
	v_cvt_f32_f16 v1, v1;
	;;#ASMEND
	;; [unrolled: 3-line block ×3, first 2 shown]
	v_and_b32_e32 v4, 0xffff, v123
	;;#ASMSTART
	v_cvt_f32_f16 v4, v4;
	;;#ASMEND
	v_fmac_f32_e32 v17, v0, v2
	v_fmac_f32_e32 v16, v1, v4
	v_lshrrev_b32_e32 v1, 16, v3
	v_and_b32_e32 v0, 0xffff, v3
	v_and_b32_e32 v2, 0xffff, v122
	;; [unrolled: 1-line block ×3, first 2 shown]
	;;#ASMSTART
	v_cvt_f32_f16 v0, v0;
	;;#ASMEND
	;;#ASMSTART
	v_cvt_f32_f16 v1, v1;
	;;#ASMEND
	;; [unrolled: 3-line block ×4, first 2 shown]
	v_fmac_f32_e32 v19, v0, v2
	v_fmac_f32_e32 v18, v1, v3
	ds_read_b128 v[0:3], v9 offset:48
	v_and_b32_e32 v38, 0xffff, v70
	v_and_b32_e32 v54, 0xffff, v84
	s_waitcnt lgkmcnt(0)
	v_lshrrev_b32_e32 v4, 16, v0
	v_and_b32_e32 v0, 0xffff, v0
	;;#ASMSTART
	v_cvt_f32_f16 v0, v0;
	;;#ASMEND
	;;#ASMSTART
	v_cvt_f32_f16 v4, v4;
	;;#ASMEND
	;; [unrolled: 3-line block ×4, first 2 shown]
	v_fmac_f32_e32 v12, v0, v38
	v_fmac_f32_e32 v13, v4, v54
	v_lshrrev_b32_e32 v4, 16, v1
	v_and_b32_e32 v0, 0xffff, v1
	;;#ASMSTART
	v_cvt_f32_f16 v0, v0;
	;;#ASMEND
	;;#ASMSTART
	v_cvt_f32_f16 v1, v4;
	;;#ASMEND
	v_and_b32_e32 v4, 0xffff, v80
	v_and_b32_e32 v38, 0xffff, v57
	;;#ASMSTART
	v_cvt_f32_f16 v4, v4;
	;;#ASMEND
	;;#ASMSTART
	v_cvt_f32_f16 v38, v38;
	;;#ASMEND
	v_fmac_f32_e32 v15, v0, v4
	v_fmac_f32_e32 v14, v1, v38
	v_lshrrev_b32_e32 v1, 16, v2
	v_and_b32_e32 v0, 0xffff, v2
	v_and_b32_e32 v2, 0xffff, v65
	;;#ASMSTART
	v_cvt_f32_f16 v0, v0;
	;;#ASMEND
	;;#ASMSTART
	v_cvt_f32_f16 v1, v1;
	;;#ASMEND
	;; [unrolled: 3-line block ×3, first 2 shown]
	v_and_b32_e32 v4, 0xffff, v48
	;;#ASMSTART
	v_cvt_f32_f16 v4, v4;
	;;#ASMEND
	v_fmac_f32_e32 v17, v0, v2
	v_fmac_f32_e32 v16, v1, v4
	v_lshrrev_b32_e32 v1, 16, v3
	v_and_b32_e32 v0, 0xffff, v3
	v_and_b32_e32 v2, 0xffff, v5
	v_and_b32_e32 v3, 0xffff, v6
	;;#ASMSTART
	v_cvt_f32_f16 v0, v0;
	;;#ASMEND
	;;#ASMSTART
	v_cvt_f32_f16 v1, v1;
	;;#ASMEND
	;; [unrolled: 3-line block ×4, first 2 shown]
	v_fmac_f32_e32 v19, v0, v2
	v_fmac_f32_e32 v18, v1, v3
	ds_read_b128 v[0:3], v9 offset:64
	v_and_b32_e32 v5, 0xffff, v7
	v_and_b32_e32 v6, 0xffff, v8
	s_waitcnt lgkmcnt(0)
	v_lshrrev_b32_e32 v4, 16, v0
	v_and_b32_e32 v0, 0xffff, v0
	;;#ASMSTART
	v_cvt_f32_f16 v0, v0;
	;;#ASMEND
	;;#ASMSTART
	v_cvt_f32_f16 v4, v4;
	;;#ASMEND
	;; [unrolled: 3-line block ×4, first 2 shown]
	v_fmac_f32_e32 v12, v0, v5
	v_fmac_f32_e32 v13, v4, v6
	v_lshrrev_b32_e32 v4, 16, v1
	v_and_b32_e32 v0, 0xffff, v1
	;;#ASMSTART
	v_cvt_f32_f16 v0, v0;
	;;#ASMEND
	;;#ASMSTART
	v_cvt_f32_f16 v1, v4;
	;;#ASMEND
	v_and_b32_e32 v4, 0xffff, v10
	v_and_b32_e32 v5, 0xffff, v11
	;;#ASMSTART
	v_cvt_f32_f16 v4, v4;
	;;#ASMEND
	;;#ASMSTART
	v_cvt_f32_f16 v5, v5;
	;;#ASMEND
	v_fmac_f32_e32 v15, v0, v4
	v_fmac_f32_e32 v14, v1, v5
	v_lshrrev_b32_e32 v1, 16, v2
	v_and_b32_e32 v0, 0xffff, v2
	v_and_b32_e32 v2, 0xffff, v20
	;;#ASMSTART
	v_cvt_f32_f16 v0, v0;
	;;#ASMEND
	;;#ASMSTART
	v_cvt_f32_f16 v1, v1;
	;;#ASMEND
	;; [unrolled: 3-line block ×3, first 2 shown]
	v_and_b32_e32 v4, 0xffff, v21
	;;#ASMSTART
	v_cvt_f32_f16 v4, v4;
	;;#ASMEND
	v_fmac_f32_e32 v17, v0, v2
	v_fmac_f32_e32 v16, v1, v4
	v_lshrrev_b32_e32 v1, 16, v3
	v_and_b32_e32 v0, 0xffff, v3
	v_and_b32_e32 v2, 0xffff, v22
	;; [unrolled: 1-line block ×3, first 2 shown]
	;;#ASMSTART
	v_cvt_f32_f16 v0, v0;
	;;#ASMEND
	;;#ASMSTART
	v_cvt_f32_f16 v1, v1;
	;;#ASMEND
	;; [unrolled: 3-line block ×4, first 2 shown]
	v_fmac_f32_e32 v19, v0, v2
	v_fmac_f32_e32 v18, v1, v3
	ds_read_b128 v[0:3], v9 offset:80
	v_and_b32_e32 v5, 0xffff, v24
	v_and_b32_e32 v6, 0xffff, v25
	s_waitcnt lgkmcnt(0)
	v_lshrrev_b32_e32 v4, 16, v0
	v_and_b32_e32 v0, 0xffff, v0
	;;#ASMSTART
	v_cvt_f32_f16 v0, v0;
	;;#ASMEND
	;;#ASMSTART
	v_cvt_f32_f16 v4, v4;
	;;#ASMEND
	;; [unrolled: 3-line block ×4, first 2 shown]
	v_fmac_f32_e32 v12, v0, v5
	v_fmac_f32_e32 v13, v4, v6
	v_lshrrev_b32_e32 v4, 16, v1
	v_and_b32_e32 v0, 0xffff, v1
	;;#ASMSTART
	v_cvt_f32_f16 v0, v0;
	;;#ASMEND
	;;#ASMSTART
	v_cvt_f32_f16 v1, v4;
	;;#ASMEND
	v_and_b32_e32 v4, 0xffff, v26
	v_and_b32_e32 v5, 0xffff, v27
	;;#ASMSTART
	v_cvt_f32_f16 v4, v4;
	;;#ASMEND
	;;#ASMSTART
	v_cvt_f32_f16 v5, v5;
	;;#ASMEND
	v_fmac_f32_e32 v15, v0, v4
	v_fmac_f32_e32 v14, v1, v5
	v_lshrrev_b32_e32 v1, 16, v2
	v_and_b32_e32 v0, 0xffff, v2
	v_and_b32_e32 v2, 0xffff, v28
	;;#ASMSTART
	v_cvt_f32_f16 v0, v0;
	;;#ASMEND
	;;#ASMSTART
	v_cvt_f32_f16 v1, v1;
	;;#ASMEND
	;; [unrolled: 3-line block ×3, first 2 shown]
	v_and_b32_e32 v4, 0xffff, v29
	;;#ASMSTART
	v_cvt_f32_f16 v4, v4;
	;;#ASMEND
	v_fmac_f32_e32 v17, v0, v2
	v_fmac_f32_e32 v16, v1, v4
	v_lshrrev_b32_e32 v1, 16, v3
	v_and_b32_e32 v0, 0xffff, v3
	v_and_b32_e32 v2, 0xffff, v30
	;; [unrolled: 1-line block ×3, first 2 shown]
	;;#ASMSTART
	v_cvt_f32_f16 v0, v0;
	;;#ASMEND
	;;#ASMSTART
	v_cvt_f32_f16 v1, v1;
	;;#ASMEND
	;; [unrolled: 3-line block ×4, first 2 shown]
	v_fmac_f32_e32 v19, v0, v2
	v_fmac_f32_e32 v18, v1, v3
	ds_read_b128 v[0:3], v9 offset:96
	v_and_b32_e32 v5, 0xffff, v32
	v_and_b32_e32 v6, 0xffff, v33
	s_waitcnt lgkmcnt(0)
	v_lshrrev_b32_e32 v4, 16, v0
	v_and_b32_e32 v0, 0xffff, v0
	;;#ASMSTART
	v_cvt_f32_f16 v0, v0;
	;;#ASMEND
	;;#ASMSTART
	v_cvt_f32_f16 v4, v4;
	;;#ASMEND
	;; [unrolled: 3-line block ×4, first 2 shown]
	v_fmac_f32_e32 v12, v0, v5
	v_fmac_f32_e32 v13, v4, v6
	v_lshrrev_b32_e32 v4, 16, v1
	v_and_b32_e32 v0, 0xffff, v1
	;;#ASMSTART
	v_cvt_f32_f16 v0, v0;
	;;#ASMEND
	;;#ASMSTART
	v_cvt_f32_f16 v1, v4;
	;;#ASMEND
	v_and_b32_e32 v4, 0xffff, v34
	v_and_b32_e32 v5, 0xffff, v35
	;;#ASMSTART
	v_cvt_f32_f16 v4, v4;
	;;#ASMEND
	;;#ASMSTART
	v_cvt_f32_f16 v5, v5;
	;;#ASMEND
	v_fmac_f32_e32 v15, v0, v4
	v_fmac_f32_e32 v14, v1, v5
	v_lshrrev_b32_e32 v1, 16, v2
	v_and_b32_e32 v0, 0xffff, v2
	v_and_b32_e32 v2, 0xffff, v36
	;;#ASMSTART
	v_cvt_f32_f16 v0, v0;
	;;#ASMEND
	;;#ASMSTART
	v_cvt_f32_f16 v1, v1;
	;;#ASMEND
	;; [unrolled: 3-line block ×3, first 2 shown]
	v_and_b32_e32 v4, 0xffff, v66
	;;#ASMSTART
	v_cvt_f32_f16 v4, v4;
	;;#ASMEND
	v_fmac_f32_e32 v17, v0, v2
	v_fmac_f32_e32 v16, v1, v4
	v_lshrrev_b32_e32 v1, 16, v3
	v_and_b32_e32 v0, 0xffff, v3
	v_and_b32_e32 v2, 0xffff, v68
	;; [unrolled: 1-line block ×3, first 2 shown]
	;;#ASMSTART
	v_cvt_f32_f16 v0, v0;
	;;#ASMEND
	;;#ASMSTART
	v_cvt_f32_f16 v1, v1;
	;;#ASMEND
	;; [unrolled: 3-line block ×4, first 2 shown]
	v_fmac_f32_e32 v19, v0, v2
	v_fmac_f32_e32 v18, v1, v3
	ds_read_b128 v[0:3], v9 offset:112
	v_and_b32_e32 v5, 0xffff, v69
	v_and_b32_e32 v6, 0xffff, v86
	s_waitcnt lgkmcnt(0)
	v_lshrrev_b32_e32 v4, 16, v0
	v_and_b32_e32 v0, 0xffff, v0
	;;#ASMSTART
	v_cvt_f32_f16 v0, v0;
	;;#ASMEND
	;;#ASMSTART
	v_cvt_f32_f16 v4, v4;
	;;#ASMEND
	;; [unrolled: 3-line block ×4, first 2 shown]
	v_fmac_f32_e32 v12, v0, v5
	v_fmac_f32_e32 v13, v4, v6
	v_lshrrev_b32_e32 v4, 16, v1
	v_and_b32_e32 v0, 0xffff, v1
	;;#ASMSTART
	v_cvt_f32_f16 v0, v0;
	;;#ASMEND
	;;#ASMSTART
	v_cvt_f32_f16 v1, v4;
	;;#ASMEND
	v_and_b32_e32 v4, 0xffff, v37
	v_and_b32_e32 v5, 0xffff, v78
	;;#ASMSTART
	v_cvt_f32_f16 v4, v4;
	;;#ASMEND
	;;#ASMSTART
	v_cvt_f32_f16 v5, v5;
	;;#ASMEND
	v_fmac_f32_e32 v15, v0, v4
	v_fmac_f32_e32 v14, v1, v5
	v_lshrrev_b32_e32 v1, 16, v2
	v_and_b32_e32 v0, 0xffff, v2
	v_and_b32_e32 v2, 0xffff, v83
	;;#ASMSTART
	v_cvt_f32_f16 v0, v0;
	;;#ASMEND
	;;#ASMSTART
	v_cvt_f32_f16 v1, v1;
	;;#ASMEND
	;; [unrolled: 3-line block ×3, first 2 shown]
	v_and_b32_e32 v4, 0xffff, v100
	;;#ASMSTART
	v_cvt_f32_f16 v4, v4;
	;;#ASMEND
	v_fmac_f32_e32 v17, v0, v2
	v_fmac_f32_e32 v16, v1, v4
	v_lshrrev_b32_e32 v1, 16, v3
	v_and_b32_e32 v0, 0xffff, v3
	v_and_b32_e32 v2, 0xffff, v74
	;; [unrolled: 1-line block ×3, first 2 shown]
	;;#ASMSTART
	v_cvt_f32_f16 v0, v0;
	;;#ASMEND
	;;#ASMSTART
	v_cvt_f32_f16 v1, v1;
	;;#ASMEND
	;; [unrolled: 3-line block ×4, first 2 shown]
	v_fmac_f32_e32 v19, v0, v2
	v_fmac_f32_e32 v18, v1, v3
	ds_read_b128 v[0:3], v9 offset:128
	v_and_b32_e32 v5, 0xffff, v49
	v_and_b32_e32 v6, 0xffff, v51
	s_waitcnt lgkmcnt(0)
	v_lshrrev_b32_e32 v4, 16, v0
	v_and_b32_e32 v0, 0xffff, v0
	;;#ASMSTART
	v_cvt_f32_f16 v0, v0;
	;;#ASMEND
	;;#ASMSTART
	v_cvt_f32_f16 v4, v4;
	;;#ASMEND
	;; [unrolled: 3-line block ×4, first 2 shown]
	v_fmac_f32_e32 v12, v0, v5
	v_fmac_f32_e32 v13, v4, v6
	v_lshrrev_b32_e32 v4, 16, v1
	v_and_b32_e32 v0, 0xffff, v1
	;;#ASMSTART
	v_cvt_f32_f16 v0, v0;
	;;#ASMEND
	;;#ASMSTART
	v_cvt_f32_f16 v1, v4;
	;;#ASMEND
	v_and_b32_e32 v4, 0xffff, v97
	v_and_b32_e32 v5, 0xffff, v120
	;;#ASMSTART
	v_cvt_f32_f16 v4, v4;
	;;#ASMEND
	;;#ASMSTART
	v_cvt_f32_f16 v5, v5;
	;;#ASMEND
	v_fmac_f32_e32 v15, v0, v4
	v_fmac_f32_e32 v14, v1, v5
	v_lshrrev_b32_e32 v1, 16, v2
	v_and_b32_e32 v0, 0xffff, v2
	v_and_b32_e32 v2, 0xffff, v107
	;;#ASMSTART
	v_cvt_f32_f16 v0, v0;
	;;#ASMEND
	;;#ASMSTART
	v_cvt_f32_f16 v1, v1;
	;;#ASMEND
	;; [unrolled: 3-line block ×3, first 2 shown]
	v_and_b32_e32 v4, 0xffff, v43
	;;#ASMSTART
	v_cvt_f32_f16 v4, v4;
	;;#ASMEND
	v_fmac_f32_e32 v17, v0, v2
	v_fmac_f32_e32 v16, v1, v4
	v_lshrrev_b32_e32 v1, 16, v3
	v_and_b32_e32 v0, 0xffff, v3
	v_and_b32_e32 v2, 0xffff, v109
	;; [unrolled: 1-line block ×3, first 2 shown]
	;;#ASMSTART
	v_cvt_f32_f16 v0, v0;
	;;#ASMEND
	;;#ASMSTART
	v_cvt_f32_f16 v1, v1;
	;;#ASMEND
	;; [unrolled: 3-line block ×4, first 2 shown]
	v_fmac_f32_e32 v19, v0, v2
	v_fmac_f32_e32 v18, v1, v3
	ds_read_b128 v[0:3], v9 offset:144
	v_and_b32_e32 v5, 0xffff, v52
	v_and_b32_e32 v6, 0xffff, v106
	s_waitcnt lgkmcnt(0)
	v_lshrrev_b32_e32 v4, 16, v0
	v_and_b32_e32 v0, 0xffff, v0
	;;#ASMSTART
	v_cvt_f32_f16 v0, v0;
	;;#ASMEND
	;;#ASMSTART
	v_cvt_f32_f16 v4, v4;
	;;#ASMEND
	;; [unrolled: 3-line block ×4, first 2 shown]
	v_fmac_f32_e32 v12, v0, v5
	v_fmac_f32_e32 v13, v4, v6
	v_lshrrev_b32_e32 v4, 16, v1
	v_and_b32_e32 v0, 0xffff, v1
	;;#ASMSTART
	v_cvt_f32_f16 v0, v0;
	;;#ASMEND
	;;#ASMSTART
	v_cvt_f32_f16 v1, v4;
	;;#ASMEND
	v_and_b32_e32 v4, 0xffff, v53
	v_and_b32_e32 v5, 0xffff, v55
	;;#ASMSTART
	v_cvt_f32_f16 v4, v4;
	;;#ASMEND
	;;#ASMSTART
	v_cvt_f32_f16 v5, v5;
	;;#ASMEND
	v_fmac_f32_e32 v15, v0, v4
	v_fmac_f32_e32 v14, v1, v5
	v_lshrrev_b32_e32 v1, 16, v2
	v_and_b32_e32 v0, 0xffff, v2
	v_and_b32_e32 v2, 0xffff, v71
	;;#ASMSTART
	v_cvt_f32_f16 v0, v0;
	;;#ASMEND
	;;#ASMSTART
	v_cvt_f32_f16 v1, v1;
	;;#ASMEND
	;; [unrolled: 3-line block ×3, first 2 shown]
	v_and_b32_e32 v4, 0xffff, v85
	;;#ASMSTART
	v_cvt_f32_f16 v4, v4;
	;;#ASMEND
	v_fmac_f32_e32 v17, v0, v2
	v_fmac_f32_e32 v16, v1, v4
	v_lshrrev_b32_e32 v1, 16, v3
	v_and_b32_e32 v0, 0xffff, v3
	v_and_b32_e32 v2, 0xffff, v96
	;; [unrolled: 1-line block ×3, first 2 shown]
	;;#ASMSTART
	v_cvt_f32_f16 v0, v0;
	;;#ASMEND
	;;#ASMSTART
	v_cvt_f32_f16 v1, v1;
	;;#ASMEND
	;;#ASMSTART
	v_cvt_f32_f16 v2, v2;
	;;#ASMEND
	;;#ASMSTART
	v_cvt_f32_f16 v3, v3;
	;;#ASMEND
	v_fmac_f32_e32 v19, v0, v2
	v_fmac_f32_e32 v18, v1, v3
	ds_read_b128 v[0:3], v9 offset:160
	v_and_b32_e32 v5, 0xffff, v104
	v_and_b32_e32 v6, 0xffff, v93
	s_waitcnt lgkmcnt(0)
	v_lshrrev_b32_e32 v4, 16, v0
	v_and_b32_e32 v0, 0xffff, v0
	;;#ASMSTART
	v_cvt_f32_f16 v0, v0;
	;;#ASMEND
	;;#ASMSTART
	v_cvt_f32_f16 v4, v4;
	;;#ASMEND
	;;#ASMSTART
	v_cvt_f32_f16 v5, v5;
	;;#ASMEND
	;;#ASMSTART
	v_cvt_f32_f16 v6, v6;
	;;#ASMEND
	v_fmac_f32_e32 v12, v0, v5
	v_fmac_f32_e32 v13, v4, v6
	v_lshrrev_b32_e32 v4, 16, v1
	v_and_b32_e32 v0, 0xffff, v1
	;;#ASMSTART
	v_cvt_f32_f16 v0, v0;
	;;#ASMEND
	;;#ASMSTART
	v_cvt_f32_f16 v1, v4;
	;;#ASMEND
	v_and_b32_e32 v4, 0xffff, v91
	v_and_b32_e32 v5, 0xffff, v99
	;;#ASMSTART
	v_cvt_f32_f16 v4, v4;
	;;#ASMEND
	;;#ASMSTART
	v_cvt_f32_f16 v5, v5;
	;;#ASMEND
	v_fmac_f32_e32 v15, v0, v4
	v_fmac_f32_e32 v14, v1, v5
	v_lshrrev_b32_e32 v1, 16, v2
	v_and_b32_e32 v0, 0xffff, v2
	v_and_b32_e32 v2, 0xffff, v101
	;;#ASMSTART
	v_cvt_f32_f16 v0, v0;
	;;#ASMEND
	;;#ASMSTART
	v_cvt_f32_f16 v1, v1;
	;;#ASMEND
	;; [unrolled: 3-line block ×3, first 2 shown]
	v_and_b32_e32 v4, 0xffff, v102
	;;#ASMSTART
	v_cvt_f32_f16 v4, v4;
	;;#ASMEND
	v_fmac_f32_e32 v17, v0, v2
	v_fmac_f32_e32 v16, v1, v4
	v_lshrrev_b32_e32 v1, 16, v3
	v_and_b32_e32 v0, 0xffff, v3
	v_and_b32_e32 v2, 0xffff, v112
	;; [unrolled: 1-line block ×3, first 2 shown]
	;;#ASMSTART
	v_cvt_f32_f16 v0, v0;
	;;#ASMEND
	;;#ASMSTART
	v_cvt_f32_f16 v1, v1;
	;;#ASMEND
	;; [unrolled: 3-line block ×4, first 2 shown]
	v_fmac_f32_e32 v19, v0, v2
	v_fmac_f32_e32 v18, v1, v3
	ds_read_b128 v[0:3], v9 offset:176
	v_and_b32_e32 v5, 0xffff, v90
	v_and_b32_e32 v6, 0xffff, v72
	s_waitcnt lgkmcnt(0)
	v_lshrrev_b32_e32 v4, 16, v0
	v_and_b32_e32 v0, 0xffff, v0
	;;#ASMSTART
	v_cvt_f32_f16 v0, v0;
	;;#ASMEND
	;;#ASMSTART
	v_cvt_f32_f16 v4, v4;
	;;#ASMEND
	;; [unrolled: 3-line block ×4, first 2 shown]
	v_fmac_f32_e32 v12, v0, v5
	v_fmac_f32_e32 v13, v4, v6
	v_lshrrev_b32_e32 v4, 16, v1
	v_and_b32_e32 v0, 0xffff, v1
	;;#ASMSTART
	v_cvt_f32_f16 v0, v0;
	;;#ASMEND
	;;#ASMSTART
	v_cvt_f32_f16 v1, v4;
	;;#ASMEND
	v_and_b32_e32 v4, 0xffff, v88
	v_and_b32_e32 v5, 0xffff, v77
	;;#ASMSTART
	v_cvt_f32_f16 v4, v4;
	;;#ASMEND
	;;#ASMSTART
	v_cvt_f32_f16 v5, v5;
	;;#ASMEND
	v_fmac_f32_e32 v15, v0, v4
	v_fmac_f32_e32 v14, v1, v5
	v_lshrrev_b32_e32 v1, 16, v2
	v_and_b32_e32 v0, 0xffff, v2
	;;#ASMSTART
	v_cvt_f32_f16 v0, v0;
	;;#ASMEND
	;;#ASMSTART
	v_cvt_f32_f16 v1, v1;
	;;#ASMEND
	v_and_b32_e32 v2, 0xffff, v75
	v_and_b32_e32 v4, 0xffff, v79
	;;#ASMSTART
	v_cvt_f32_f16 v2, v2;
	;;#ASMEND
	;;#ASMSTART
	v_cvt_f32_f16 v4, v4;
	;;#ASMEND
	v_fmac_f32_e32 v17, v0, v2
	v_fmac_f32_e32 v16, v1, v4
	v_lshrrev_b32_e32 v1, 16, v3
	v_and_b32_e32 v0, 0xffff, v3
	;;#ASMSTART
	v_cvt_f32_f16 v0, v0;
	;;#ASMEND
	;;#ASMSTART
	v_cvt_f32_f16 v1, v1;
	;;#ASMEND
	buffer_load_dword v2, off, s[0:3], s32 offset:532 ; 4-byte Folded Reload
	v_and_b32_e32 v5, 0xffff, v114
	s_waitcnt vmcnt(0)
	v_and_b32_e32 v2, 0xffff, v2
	;;#ASMSTART
	v_cvt_f32_f16 v2, v2;
	;;#ASMEND
	buffer_load_dword v3, off, s[0:3], s32 offset:528 ; 4-byte Folded Reload
	v_fmac_f32_e32 v19, v0, v2
	s_waitcnt vmcnt(0)
	v_and_b32_e32 v3, 0xffff, v3
	;;#ASMSTART
	v_cvt_f32_f16 v3, v3;
	;;#ASMEND
	v_fmac_f32_e32 v18, v1, v3
	ds_read_b128 v[0:3], v9 offset:192
	s_waitcnt lgkmcnt(0)
	v_lshrrev_b32_e32 v4, 16, v0
	v_and_b32_e32 v0, 0xffff, v0
	;;#ASMSTART
	v_cvt_f32_f16 v0, v0;
	;;#ASMEND
	;;#ASMSTART
	v_cvt_f32_f16 v4, v4;
	;;#ASMEND
	;; [unrolled: 3-line block ×3, first 2 shown]
	buffer_load_dword v6, off, s[0:3], s32 offset:556 ; 4-byte Folded Reload
	v_fmac_f32_e32 v12, v0, v5
	v_and_b32_e32 v0, 0xffff, v1
	v_and_b32_e32 v5, 0xffff, v116
	s_waitcnt vmcnt(0)
	v_and_b32_e32 v6, 0xffff, v6
	;;#ASMSTART
	v_cvt_f32_f16 v6, v6;
	;;#ASMEND
	v_fmac_f32_e32 v13, v4, v6
	v_lshrrev_b32_e32 v4, 16, v1
	;;#ASMSTART
	v_cvt_f32_f16 v0, v0;
	;;#ASMEND
	;;#ASMSTART
	v_cvt_f32_f16 v1, v4;
	;;#ASMEND
	v_and_b32_e32 v4, 0xffff, v115
	;;#ASMSTART
	v_cvt_f32_f16 v4, v4;
	;;#ASMEND
	;;#ASMSTART
	v_cvt_f32_f16 v5, v5;
	;;#ASMEND
	v_fmac_f32_e32 v15, v0, v4
	v_fmac_f32_e32 v14, v1, v5
	v_lshrrev_b32_e32 v1, 16, v2
	v_and_b32_e32 v0, 0xffff, v2
	v_and_b32_e32 v2, 0xffff, v119
	;;#ASMSTART
	v_cvt_f32_f16 v0, v0;
	;;#ASMEND
	;;#ASMSTART
	v_cvt_f32_f16 v1, v1;
	;;#ASMEND
	;; [unrolled: 3-line block ×3, first 2 shown]
	v_and_b32_e32 v4, 0xffff, v45
	;;#ASMSTART
	v_cvt_f32_f16 v4, v4;
	;;#ASMEND
	v_fmac_f32_e32 v17, v0, v2
	v_fmac_f32_e32 v16, v1, v4
	v_lshrrev_b32_e32 v1, 16, v3
	v_and_b32_e32 v0, 0xffff, v3
	v_and_b32_e32 v2, 0xffff, v56
	;; [unrolled: 1-line block ×3, first 2 shown]
	;;#ASMSTART
	v_cvt_f32_f16 v0, v0;
	;;#ASMEND
	;;#ASMSTART
	v_cvt_f32_f16 v1, v1;
	;;#ASMEND
	;; [unrolled: 3-line block ×4, first 2 shown]
	v_fmac_f32_e32 v19, v0, v2
	v_fmac_f32_e32 v18, v1, v3
	ds_read_b128 v[0:3], v9 offset:208
	v_and_b32_e32 v5, 0xffff, v76
	v_and_b32_e32 v6, 0xffff, v92
	s_waitcnt lgkmcnt(0)
	v_lshrrev_b32_e32 v4, 16, v0
	v_and_b32_e32 v0, 0xffff, v0
	;;#ASMSTART
	v_cvt_f32_f16 v0, v0;
	;;#ASMEND
	;;#ASMSTART
	v_cvt_f32_f16 v4, v4;
	;;#ASMEND
	;; [unrolled: 3-line block ×4, first 2 shown]
	v_fmac_f32_e32 v12, v0, v5
	v_fmac_f32_e32 v13, v4, v6
	v_lshrrev_b32_e32 v4, 16, v1
	v_and_b32_e32 v0, 0xffff, v1
	;;#ASMSTART
	v_cvt_f32_f16 v0, v0;
	;;#ASMEND
	;;#ASMSTART
	v_cvt_f32_f16 v1, v4;
	;;#ASMEND
	v_and_b32_e32 v4, 0xffff, v95
	v_and_b32_e32 v5, 0xffff, v105
	;;#ASMSTART
	v_cvt_f32_f16 v4, v4;
	;;#ASMEND
	;;#ASMSTART
	v_cvt_f32_f16 v5, v5;
	;;#ASMEND
	v_fmac_f32_e32 v15, v0, v4
	v_fmac_f32_e32 v14, v1, v5
	v_lshrrev_b32_e32 v1, 16, v2
	v_and_b32_e32 v0, 0xffff, v2
	v_and_b32_e32 v2, 0xffff, v110
	;;#ASMSTART
	v_cvt_f32_f16 v0, v0;
	;;#ASMEND
	;;#ASMSTART
	v_cvt_f32_f16 v1, v1;
	;;#ASMEND
	;; [unrolled: 3-line block ×3, first 2 shown]
	v_and_b32_e32 v4, 0xffff, v126
	;;#ASMSTART
	v_cvt_f32_f16 v4, v4;
	;;#ASMEND
	v_fmac_f32_e32 v17, v0, v2
	v_fmac_f32_e32 v16, v1, v4
	v_lshrrev_b32_e32 v1, 16, v3
	v_and_b32_e32 v0, 0xffff, v3
	v_and_b32_e32 v2, 0xffff, v127
	;;#ASMSTART
	v_cvt_f32_f16 v0, v0;
	;;#ASMEND
	;;#ASMSTART
	v_cvt_f32_f16 v1, v1;
	;;#ASMEND
	;; [unrolled: 3-line block ×3, first 2 shown]
	buffer_load_dword v3, off, s[0:3], s32 offset:584 ; 4-byte Folded Reload
	v_fmac_f32_e32 v19, v0, v2
	s_waitcnt vmcnt(0)
	v_and_b32_e32 v3, 0xffff, v3
	;;#ASMSTART
	v_cvt_f32_f16 v3, v3;
	;;#ASMEND
	v_fmac_f32_e32 v18, v1, v3
	ds_read_b128 v[0:3], v9 offset:224
	s_waitcnt lgkmcnt(0)
	v_lshrrev_b32_e32 v4, 16, v0
	v_and_b32_e32 v0, 0xffff, v0
	;;#ASMSTART
	v_cvt_f32_f16 v0, v0;
	;;#ASMEND
	;;#ASMSTART
	v_cvt_f32_f16 v4, v4;
	;;#ASMEND
	buffer_load_dword v5, off, s[0:3], s32 offset:1240 ; 4-byte Folded Reload
	s_waitcnt vmcnt(0)
	v_and_b32_e32 v5, 0xffff, v5
	;;#ASMSTART
	v_cvt_f32_f16 v5, v5;
	;;#ASMEND
	buffer_load_dword v6, off, s[0:3], s32 offset:1236 ; 4-byte Folded Reload
	v_fmac_f32_e32 v12, v0, v5
	v_and_b32_e32 v0, 0xffff, v1
	s_waitcnt vmcnt(0)
	v_and_b32_e32 v6, 0xffff, v6
	;;#ASMSTART
	v_cvt_f32_f16 v6, v6;
	;;#ASMEND
	v_fmac_f32_e32 v13, v4, v6
	v_lshrrev_b32_e32 v4, 16, v1
	;;#ASMSTART
	v_cvt_f32_f16 v0, v0;
	;;#ASMEND
	;;#ASMSTART
	v_cvt_f32_f16 v1, v4;
	;;#ASMEND
	buffer_load_dword v4, off, s[0:3], s32 offset:656 ; 4-byte Folded Reload
	s_waitcnt vmcnt(0)
	v_and_b32_e32 v4, 0xffff, v4
	;;#ASMSTART
	v_cvt_f32_f16 v4, v4;
	;;#ASMEND
	buffer_load_dword v5, off, s[0:3], s32 offset:628 ; 4-byte Folded Reload
	v_fmac_f32_e32 v15, v0, v4
	v_and_b32_e32 v0, 0xffff, v2
	s_waitcnt vmcnt(0)
	v_and_b32_e32 v5, 0xffff, v5
	;;#ASMSTART
	v_cvt_f32_f16 v5, v5;
	;;#ASMEND
	v_fmac_f32_e32 v14, v1, v5
	v_lshrrev_b32_e32 v1, 16, v2
	;; [unrolled: 22-line block ×3, first 2 shown]
	;;#ASMSTART
	v_cvt_f32_f16 v0, v0;
	;;#ASMEND
	;;#ASMSTART
	v_cvt_f32_f16 v1, v1;
	;;#ASMEND
	buffer_load_dword v2, off, s[0:3], s32 offset:616 ; 4-byte Folded Reload
	s_waitcnt vmcnt(0)
	v_and_b32_e32 v2, 0xffff, v2
	;;#ASMSTART
	v_cvt_f32_f16 v2, v2;
	;;#ASMEND
	buffer_load_dword v3, off, s[0:3], s32 offset:612 ; 4-byte Folded Reload
	v_fmac_f32_e32 v19, v0, v2
	s_waitcnt vmcnt(0)
	v_and_b32_e32 v3, 0xffff, v3
	;;#ASMSTART
	v_cvt_f32_f16 v3, v3;
	;;#ASMEND
	v_fmac_f32_e32 v18, v1, v3
	ds_read_b128 v[0:3], v9 offset:240
	s_waitcnt lgkmcnt(0)
	v_lshrrev_b32_e32 v4, 16, v0
	v_and_b32_e32 v0, 0xffff, v0
	;;#ASMSTART
	v_cvt_f32_f16 v0, v0;
	;;#ASMEND
	;;#ASMSTART
	v_cvt_f32_f16 v4, v4;
	;;#ASMEND
	buffer_load_dword v5, off, s[0:3], s32 offset:1232 ; 4-byte Folded Reload
	s_waitcnt vmcnt(0)
	v_and_b32_e32 v5, 0xffff, v5
	;;#ASMSTART
	v_cvt_f32_f16 v5, v5;
	;;#ASMEND
	buffer_load_dword v6, off, s[0:3], s32 offset:1228 ; 4-byte Folded Reload
	v_fmac_f32_e32 v12, v0, v5
	v_and_b32_e32 v0, 0xffff, v1
	s_waitcnt vmcnt(0)
	v_and_b32_e32 v6, 0xffff, v6
	;;#ASMSTART
	v_cvt_f32_f16 v6, v6;
	;;#ASMEND
	v_fmac_f32_e32 v13, v4, v6
	v_lshrrev_b32_e32 v4, 16, v1
	;;#ASMSTART
	v_cvt_f32_f16 v0, v0;
	;;#ASMEND
	;;#ASMSTART
	v_cvt_f32_f16 v1, v4;
	;;#ASMEND
	buffer_load_dword v4, off, s[0:3], s32 offset:1224 ; 4-byte Folded Reload
	s_waitcnt vmcnt(0)
	v_and_b32_e32 v4, 0xffff, v4
	;;#ASMSTART
	v_cvt_f32_f16 v4, v4;
	;;#ASMEND
	buffer_load_dword v5, off, s[0:3], s32 offset:672 ; 4-byte Folded Reload
	v_fmac_f32_e32 v15, v0, v4
	v_and_b32_e32 v0, 0xffff, v2
	s_waitcnt vmcnt(0)
	v_and_b32_e32 v5, 0xffff, v5
	;;#ASMSTART
	v_cvt_f32_f16 v5, v5;
	;;#ASMEND
	v_fmac_f32_e32 v14, v1, v5
	v_lshrrev_b32_e32 v1, 16, v2
	;; [unrolled: 22-line block ×3, first 2 shown]
	;;#ASMSTART
	v_cvt_f32_f16 v0, v0;
	;;#ASMEND
	;;#ASMSTART
	v_cvt_f32_f16 v1, v1;
	;;#ASMEND
	buffer_load_dword v2, off, s[0:3], s32 offset:644 ; 4-byte Folded Reload
	s_waitcnt vmcnt(0)
	v_and_b32_e32 v2, 0xffff, v2
	;;#ASMSTART
	v_cvt_f32_f16 v2, v2;
	;;#ASMEND
	buffer_load_dword v3, off, s[0:3], s32 offset:640 ; 4-byte Folded Reload
	v_fmac_f32_e32 v19, v0, v2
	s_waitcnt vmcnt(0)
	v_and_b32_e32 v3, 0xffff, v3
	;;#ASMSTART
	v_cvt_f32_f16 v3, v3;
	;;#ASMEND
	v_fmac_f32_e32 v18, v1, v3
	ds_read_b128 v[0:3], v9 offset:256
	s_waitcnt lgkmcnt(0)
	v_lshrrev_b32_e32 v4, 16, v0
	v_and_b32_e32 v0, 0xffff, v0
	;;#ASMSTART
	v_cvt_f32_f16 v0, v0;
	;;#ASMEND
	;;#ASMSTART
	v_cvt_f32_f16 v4, v4;
	;;#ASMEND
	buffer_load_dword v5, off, s[0:3], s32 offset:1220 ; 4-byte Folded Reload
	s_waitcnt vmcnt(0)
	v_and_b32_e32 v5, 0xffff, v5
	;;#ASMSTART
	v_cvt_f32_f16 v5, v5;
	;;#ASMEND
	buffer_load_dword v6, off, s[0:3], s32 offset:1216 ; 4-byte Folded Reload
	v_fmac_f32_e32 v12, v0, v5
	v_and_b32_e32 v0, 0xffff, v1
	s_waitcnt vmcnt(0)
	v_and_b32_e32 v6, 0xffff, v6
	;;#ASMSTART
	v_cvt_f32_f16 v6, v6;
	;;#ASMEND
	v_fmac_f32_e32 v13, v4, v6
	v_lshrrev_b32_e32 v4, 16, v1
	;;#ASMSTART
	v_cvt_f32_f16 v0, v0;
	;;#ASMEND
	;;#ASMSTART
	v_cvt_f32_f16 v1, v4;
	;;#ASMEND
	buffer_load_dword v4, off, s[0:3], s32 offset:1212 ; 4-byte Folded Reload
	s_waitcnt vmcnt(0)
	v_and_b32_e32 v4, 0xffff, v4
	;;#ASMSTART
	v_cvt_f32_f16 v4, v4;
	;;#ASMEND
	buffer_load_dword v5, off, s[0:3], s32 offset:1208 ; 4-byte Folded Reload
	v_fmac_f32_e32 v15, v0, v4
	v_and_b32_e32 v0, 0xffff, v2
	s_waitcnt vmcnt(0)
	v_and_b32_e32 v5, 0xffff, v5
	;;#ASMSTART
	v_cvt_f32_f16 v5, v5;
	;;#ASMEND
	v_fmac_f32_e32 v14, v1, v5
	v_lshrrev_b32_e32 v1, 16, v2
	;;#ASMSTART
	v_cvt_f32_f16 v0, v0;
	;;#ASMEND
	;;#ASMSTART
	v_cvt_f32_f16 v1, v1;
	;;#ASMEND
	buffer_load_dword v2, off, s[0:3], s32 offset:688 ; 4-byte Folded Reload
	s_waitcnt vmcnt(0)
	v_and_b32_e32 v2, 0xffff, v2
	;;#ASMSTART
	v_cvt_f32_f16 v2, v2;
	;;#ASMEND
	buffer_load_dword v4, off, s[0:3], s32 offset:668 ; 4-byte Folded Reload
	v_fmac_f32_e32 v17, v0, v2
	v_and_b32_e32 v0, 0xffff, v3
	s_waitcnt vmcnt(0)
	v_and_b32_e32 v4, 0xffff, v4
	;;#ASMSTART
	v_cvt_f32_f16 v4, v4;
	;;#ASMEND
	v_fmac_f32_e32 v16, v1, v4
	v_lshrrev_b32_e32 v1, 16, v3
	;;#ASMSTART
	v_cvt_f32_f16 v0, v0;
	;;#ASMEND
	;;#ASMSTART
	v_cvt_f32_f16 v1, v1;
	;;#ASMEND
	buffer_load_dword v2, off, s[0:3], s32 offset:664 ; 4-byte Folded Reload
	s_waitcnt vmcnt(0)
	v_and_b32_e32 v2, 0xffff, v2
	;;#ASMSTART
	v_cvt_f32_f16 v2, v2;
	;;#ASMEND
	buffer_load_dword v3, off, s[0:3], s32 offset:660 ; 4-byte Folded Reload
	v_fmac_f32_e32 v19, v0, v2
	s_waitcnt vmcnt(0)
	v_and_b32_e32 v3, 0xffff, v3
	;;#ASMSTART
	v_cvt_f32_f16 v3, v3;
	;;#ASMEND
	v_fmac_f32_e32 v18, v1, v3
	ds_read_b128 v[0:3], v9 offset:272
	s_waitcnt lgkmcnt(0)
	v_lshrrev_b32_e32 v4, 16, v0
	v_and_b32_e32 v0, 0xffff, v0
	;;#ASMSTART
	v_cvt_f32_f16 v0, v0;
	;;#ASMEND
	;;#ASMSTART
	v_cvt_f32_f16 v4, v4;
	;;#ASMEND
	buffer_load_dword v5, off, s[0:3], s32 offset:1204 ; 4-byte Folded Reload
	s_waitcnt vmcnt(0)
	v_and_b32_e32 v5, 0xffff, v5
	;;#ASMSTART
	v_cvt_f32_f16 v5, v5;
	;;#ASMEND
	buffer_load_dword v6, off, s[0:3], s32 offset:1200 ; 4-byte Folded Reload
	v_fmac_f32_e32 v12, v0, v5
	v_and_b32_e32 v0, 0xffff, v1
	s_waitcnt vmcnt(0)
	v_and_b32_e32 v6, 0xffff, v6
	;;#ASMSTART
	v_cvt_f32_f16 v6, v6;
	;;#ASMEND
	v_fmac_f32_e32 v13, v4, v6
	v_lshrrev_b32_e32 v4, 16, v1
	;;#ASMSTART
	v_cvt_f32_f16 v0, v0;
	;;#ASMEND
	;;#ASMSTART
	v_cvt_f32_f16 v1, v4;
	;;#ASMEND
	buffer_load_dword v4, off, s[0:3], s32 offset:1196 ; 4-byte Folded Reload
	s_waitcnt vmcnt(0)
	v_and_b32_e32 v4, 0xffff, v4
	;;#ASMSTART
	v_cvt_f32_f16 v4, v4;
	;;#ASMEND
	buffer_load_dword v5, off, s[0:3], s32 offset:1192 ; 4-byte Folded Reload
	v_fmac_f32_e32 v15, v0, v4
	v_and_b32_e32 v0, 0xffff, v2
	s_waitcnt vmcnt(0)
	v_and_b32_e32 v5, 0xffff, v5
	;;#ASMSTART
	v_cvt_f32_f16 v5, v5;
	;;#ASMEND
	v_fmac_f32_e32 v14, v1, v5
	v_lshrrev_b32_e32 v1, 16, v2
	;;#ASMSTART
	v_cvt_f32_f16 v0, v0;
	;;#ASMEND
	;;#ASMSTART
	v_cvt_f32_f16 v1, v1;
	;;#ASMEND
	buffer_load_dword v2, off, s[0:3], s32 offset:704 ; 4-byte Folded Reload
	s_waitcnt vmcnt(0)
	v_and_b32_e32 v2, 0xffff, v2
	;;#ASMSTART
	v_cvt_f32_f16 v2, v2;
	;;#ASMEND
	buffer_load_dword v4, off, s[0:3], s32 offset:684 ; 4-byte Folded Reload
	v_fmac_f32_e32 v17, v0, v2
	v_and_b32_e32 v0, 0xffff, v3
	s_waitcnt vmcnt(0)
	v_and_b32_e32 v4, 0xffff, v4
	;;#ASMSTART
	v_cvt_f32_f16 v4, v4;
	;;#ASMEND
	v_fmac_f32_e32 v16, v1, v4
	v_lshrrev_b32_e32 v1, 16, v3
	;;#ASMSTART
	v_cvt_f32_f16 v0, v0;
	;;#ASMEND
	;;#ASMSTART
	v_cvt_f32_f16 v1, v1;
	;;#ASMEND
	buffer_load_dword v2, off, s[0:3], s32 offset:680 ; 4-byte Folded Reload
	s_waitcnt vmcnt(0)
	v_and_b32_e32 v2, 0xffff, v2
	;;#ASMSTART
	v_cvt_f32_f16 v2, v2;
	;;#ASMEND
	buffer_load_dword v3, off, s[0:3], s32 offset:676 ; 4-byte Folded Reload
	v_fmac_f32_e32 v19, v0, v2
	s_waitcnt vmcnt(0)
	v_and_b32_e32 v3, 0xffff, v3
	;;#ASMSTART
	v_cvt_f32_f16 v3, v3;
	;;#ASMEND
	v_fmac_f32_e32 v18, v1, v3
	ds_read_b128 v[0:3], v9 offset:288
	s_waitcnt lgkmcnt(0)
	v_lshrrev_b32_e32 v4, 16, v0
	v_and_b32_e32 v0, 0xffff, v0
	;;#ASMSTART
	v_cvt_f32_f16 v0, v0;
	;;#ASMEND
	;;#ASMSTART
	v_cvt_f32_f16 v4, v4;
	;;#ASMEND
	buffer_load_dword v5, off, s[0:3], s32 offset:1188 ; 4-byte Folded Reload
	s_waitcnt vmcnt(0)
	v_and_b32_e32 v5, 0xffff, v5
	;;#ASMSTART
	v_cvt_f32_f16 v5, v5;
	;;#ASMEND
	buffer_load_dword v6, off, s[0:3], s32 offset:1184 ; 4-byte Folded Reload
	v_fmac_f32_e32 v12, v0, v5
	v_and_b32_e32 v0, 0xffff, v1
	s_waitcnt vmcnt(0)
	v_and_b32_e32 v6, 0xffff, v6
	;;#ASMSTART
	v_cvt_f32_f16 v6, v6;
	;;#ASMEND
	v_fmac_f32_e32 v13, v4, v6
	v_lshrrev_b32_e32 v4, 16, v1
	;;#ASMSTART
	v_cvt_f32_f16 v0, v0;
	;;#ASMEND
	;;#ASMSTART
	v_cvt_f32_f16 v1, v4;
	;;#ASMEND
	buffer_load_dword v4, off, s[0:3], s32 offset:1180 ; 4-byte Folded Reload
	s_waitcnt vmcnt(0)
	v_and_b32_e32 v4, 0xffff, v4
	;;#ASMSTART
	v_cvt_f32_f16 v4, v4;
	;;#ASMEND
	buffer_load_dword v5, off, s[0:3], s32 offset:1176 ; 4-byte Folded Reload
	v_fmac_f32_e32 v15, v0, v4
	v_and_b32_e32 v0, 0xffff, v2
	s_waitcnt vmcnt(0)
	v_and_b32_e32 v5, 0xffff, v5
	;;#ASMSTART
	v_cvt_f32_f16 v5, v5;
	;;#ASMEND
	v_fmac_f32_e32 v14, v1, v5
	v_lshrrev_b32_e32 v1, 16, v2
	;; [unrolled: 22-line block ×3, first 2 shown]
	;;#ASMSTART
	v_cvt_f32_f16 v0, v0;
	;;#ASMEND
	;;#ASMSTART
	v_cvt_f32_f16 v1, v1;
	;;#ASMEND
	buffer_load_dword v2, off, s[0:3], s32 offset:696 ; 4-byte Folded Reload
	s_waitcnt vmcnt(0)
	v_and_b32_e32 v2, 0xffff, v2
	;;#ASMSTART
	v_cvt_f32_f16 v2, v2;
	;;#ASMEND
	buffer_load_dword v3, off, s[0:3], s32 offset:692 ; 4-byte Folded Reload
	v_fmac_f32_e32 v19, v0, v2
	s_waitcnt vmcnt(0)
	v_and_b32_e32 v3, 0xffff, v3
	;;#ASMSTART
	v_cvt_f32_f16 v3, v3;
	;;#ASMEND
	v_fmac_f32_e32 v18, v1, v3
	ds_read_b128 v[0:3], v9 offset:304
	s_waitcnt lgkmcnt(0)
	v_lshrrev_b32_e32 v4, 16, v0
	v_and_b32_e32 v0, 0xffff, v0
	;;#ASMSTART
	v_cvt_f32_f16 v0, v0;
	;;#ASMEND
	;;#ASMSTART
	v_cvt_f32_f16 v4, v4;
	;;#ASMEND
	buffer_load_dword v5, off, s[0:3], s32 offset:1168 ; 4-byte Folded Reload
	s_waitcnt vmcnt(0)
	v_and_b32_e32 v5, 0xffff, v5
	;;#ASMSTART
	v_cvt_f32_f16 v5, v5;
	;;#ASMEND
	buffer_load_dword v6, off, s[0:3], s32 offset:1164 ; 4-byte Folded Reload
	v_fmac_f32_e32 v12, v0, v5
	v_and_b32_e32 v0, 0xffff, v1
	s_waitcnt vmcnt(0)
	v_and_b32_e32 v6, 0xffff, v6
	;;#ASMSTART
	v_cvt_f32_f16 v6, v6;
	;;#ASMEND
	v_fmac_f32_e32 v13, v4, v6
	v_lshrrev_b32_e32 v4, 16, v1
	;;#ASMSTART
	v_cvt_f32_f16 v0, v0;
	;;#ASMEND
	;;#ASMSTART
	v_cvt_f32_f16 v1, v4;
	;;#ASMEND
	buffer_load_dword v4, off, s[0:3], s32 offset:1160 ; 4-byte Folded Reload
	s_waitcnt vmcnt(0)
	v_and_b32_e32 v4, 0xffff, v4
	;;#ASMSTART
	v_cvt_f32_f16 v4, v4;
	;;#ASMEND
	buffer_load_dword v5, off, s[0:3], s32 offset:1156 ; 4-byte Folded Reload
	v_fmac_f32_e32 v15, v0, v4
	v_and_b32_e32 v0, 0xffff, v2
	s_waitcnt vmcnt(0)
	v_and_b32_e32 v5, 0xffff, v5
	;;#ASMSTART
	v_cvt_f32_f16 v5, v5;
	;;#ASMEND
	v_fmac_f32_e32 v14, v1, v5
	v_lshrrev_b32_e32 v1, 16, v2
	;; [unrolled: 22-line block ×3, first 2 shown]
	;;#ASMSTART
	v_cvt_f32_f16 v0, v0;
	;;#ASMEND
	;;#ASMSTART
	v_cvt_f32_f16 v1, v1;
	;;#ASMEND
	buffer_load_dword v2, off, s[0:3], s32 offset:712 ; 4-byte Folded Reload
	s_waitcnt vmcnt(0)
	v_and_b32_e32 v2, 0xffff, v2
	;;#ASMSTART
	v_cvt_f32_f16 v2, v2;
	;;#ASMEND
	buffer_load_dword v3, off, s[0:3], s32 offset:708 ; 4-byte Folded Reload
	v_fmac_f32_e32 v19, v0, v2
	s_waitcnt vmcnt(0)
	v_and_b32_e32 v3, 0xffff, v3
	;;#ASMSTART
	v_cvt_f32_f16 v3, v3;
	;;#ASMEND
	v_fmac_f32_e32 v18, v1, v3
	ds_read_b128 v[0:3], v9 offset:320
	s_waitcnt lgkmcnt(0)
	v_lshrrev_b32_e32 v4, 16, v0
	v_and_b32_e32 v0, 0xffff, v0
	;;#ASMSTART
	v_cvt_f32_f16 v0, v0;
	;;#ASMEND
	;;#ASMSTART
	v_cvt_f32_f16 v4, v4;
	;;#ASMEND
	buffer_load_dword v5, off, s[0:3], s32 offset:1148 ; 4-byte Folded Reload
	s_waitcnt vmcnt(0)
	v_and_b32_e32 v5, 0xffff, v5
	;;#ASMSTART
	v_cvt_f32_f16 v5, v5;
	;;#ASMEND
	buffer_load_dword v6, off, s[0:3], s32 offset:1144 ; 4-byte Folded Reload
	v_fmac_f32_e32 v12, v0, v5
	v_and_b32_e32 v0, 0xffff, v1
	s_waitcnt vmcnt(0)
	v_and_b32_e32 v6, 0xffff, v6
	;;#ASMSTART
	v_cvt_f32_f16 v6, v6;
	;;#ASMEND
	v_fmac_f32_e32 v13, v4, v6
	v_lshrrev_b32_e32 v4, 16, v1
	;;#ASMSTART
	v_cvt_f32_f16 v0, v0;
	;;#ASMEND
	;;#ASMSTART
	v_cvt_f32_f16 v1, v4;
	;;#ASMEND
	buffer_load_dword v4, off, s[0:3], s32 offset:1140 ; 4-byte Folded Reload
	s_waitcnt vmcnt(0)
	v_and_b32_e32 v4, 0xffff, v4
	;;#ASMSTART
	v_cvt_f32_f16 v4, v4;
	;;#ASMEND
	buffer_load_dword v5, off, s[0:3], s32 offset:1136 ; 4-byte Folded Reload
	v_fmac_f32_e32 v15, v0, v4
	v_and_b32_e32 v0, 0xffff, v2
	s_waitcnt vmcnt(0)
	v_and_b32_e32 v5, 0xffff, v5
	;;#ASMSTART
	v_cvt_f32_f16 v5, v5;
	;;#ASMEND
	v_fmac_f32_e32 v14, v1, v5
	v_lshrrev_b32_e32 v1, 16, v2
	;; [unrolled: 22-line block ×3, first 2 shown]
	;;#ASMSTART
	v_cvt_f32_f16 v0, v0;
	;;#ASMEND
	;;#ASMSTART
	v_cvt_f32_f16 v1, v1;
	;;#ASMEND
	buffer_load_dword v2, off, s[0:3], s32 offset:1124 ; 4-byte Folded Reload
	s_waitcnt vmcnt(0)
	v_and_b32_e32 v2, 0xffff, v2
	;;#ASMSTART
	v_cvt_f32_f16 v2, v2;
	;;#ASMEND
	buffer_load_dword v3, off, s[0:3], s32 offset:1120 ; 4-byte Folded Reload
	v_fmac_f32_e32 v19, v0, v2
	s_waitcnt vmcnt(0)
	v_and_b32_e32 v3, 0xffff, v3
	;;#ASMSTART
	v_cvt_f32_f16 v3, v3;
	;;#ASMEND
	v_fmac_f32_e32 v18, v1, v3
	ds_read_b128 v[0:3], v9 offset:336
	s_waitcnt lgkmcnt(0)
	v_lshrrev_b32_e32 v4, 16, v0
	v_and_b32_e32 v0, 0xffff, v0
	;;#ASMSTART
	v_cvt_f32_f16 v0, v0;
	;;#ASMEND
	;;#ASMSTART
	v_cvt_f32_f16 v4, v4;
	;;#ASMEND
	buffer_load_dword v5, off, s[0:3], s32 offset:1116 ; 4-byte Folded Reload
	s_waitcnt vmcnt(0)
	v_and_b32_e32 v5, 0xffff, v5
	;;#ASMSTART
	v_cvt_f32_f16 v5, v5;
	;;#ASMEND
	buffer_load_dword v6, off, s[0:3], s32 offset:1112 ; 4-byte Folded Reload
	v_fmac_f32_e32 v12, v0, v5
	v_and_b32_e32 v0, 0xffff, v1
	s_waitcnt vmcnt(0)
	v_and_b32_e32 v6, 0xffff, v6
	;;#ASMSTART
	v_cvt_f32_f16 v6, v6;
	;;#ASMEND
	v_fmac_f32_e32 v13, v4, v6
	v_lshrrev_b32_e32 v4, 16, v1
	;;#ASMSTART
	v_cvt_f32_f16 v0, v0;
	;;#ASMEND
	;;#ASMSTART
	v_cvt_f32_f16 v1, v4;
	;;#ASMEND
	buffer_load_dword v4, off, s[0:3], s32 offset:1108 ; 4-byte Folded Reload
	s_waitcnt vmcnt(0)
	v_and_b32_e32 v4, 0xffff, v4
	;;#ASMSTART
	v_cvt_f32_f16 v4, v4;
	;;#ASMEND
	buffer_load_dword v5, off, s[0:3], s32 offset:1104 ; 4-byte Folded Reload
	v_fmac_f32_e32 v15, v0, v4
	v_and_b32_e32 v0, 0xffff, v2
	s_waitcnt vmcnt(0)
	v_and_b32_e32 v5, 0xffff, v5
	;;#ASMSTART
	v_cvt_f32_f16 v5, v5;
	;;#ASMEND
	v_fmac_f32_e32 v14, v1, v5
	v_lshrrev_b32_e32 v1, 16, v2
	;; [unrolled: 22-line block ×3, first 2 shown]
	;;#ASMSTART
	v_cvt_f32_f16 v0, v0;
	;;#ASMEND
	;;#ASMSTART
	v_cvt_f32_f16 v1, v1;
	;;#ASMEND
	buffer_load_dword v2, off, s[0:3], s32 offset:1092 ; 4-byte Folded Reload
	s_waitcnt vmcnt(0)
	v_and_b32_e32 v2, 0xffff, v2
	;;#ASMSTART
	v_cvt_f32_f16 v2, v2;
	;;#ASMEND
	buffer_load_dword v3, off, s[0:3], s32 offset:1088 ; 4-byte Folded Reload
	v_fmac_f32_e32 v19, v0, v2
	s_waitcnt vmcnt(0)
	v_and_b32_e32 v3, 0xffff, v3
	;;#ASMSTART
	v_cvt_f32_f16 v3, v3;
	;;#ASMEND
	v_fmac_f32_e32 v18, v1, v3
	ds_read_b128 v[0:3], v9 offset:352
	s_waitcnt lgkmcnt(0)
	v_lshrrev_b32_e32 v4, 16, v0
	v_and_b32_e32 v0, 0xffff, v0
	;;#ASMSTART
	v_cvt_f32_f16 v0, v0;
	;;#ASMEND
	;;#ASMSTART
	v_cvt_f32_f16 v4, v4;
	;;#ASMEND
	buffer_load_dword v5, off, s[0:3], s32 offset:1084 ; 4-byte Folded Reload
	s_waitcnt vmcnt(0)
	v_and_b32_e32 v5, 0xffff, v5
	;;#ASMSTART
	v_cvt_f32_f16 v5, v5;
	;;#ASMEND
	buffer_load_dword v6, off, s[0:3], s32 offset:1080 ; 4-byte Folded Reload
	v_fmac_f32_e32 v12, v0, v5
	v_and_b32_e32 v0, 0xffff, v1
	s_waitcnt vmcnt(0)
	v_and_b32_e32 v6, 0xffff, v6
	;;#ASMSTART
	v_cvt_f32_f16 v6, v6;
	;;#ASMEND
	v_fmac_f32_e32 v13, v4, v6
	v_lshrrev_b32_e32 v4, 16, v1
	;;#ASMSTART
	v_cvt_f32_f16 v0, v0;
	;;#ASMEND
	;;#ASMSTART
	v_cvt_f32_f16 v1, v4;
	;;#ASMEND
	buffer_load_dword v4, off, s[0:3], s32 offset:1076 ; 4-byte Folded Reload
	s_waitcnt vmcnt(0)
	v_and_b32_e32 v4, 0xffff, v4
	;;#ASMSTART
	v_cvt_f32_f16 v4, v4;
	;;#ASMEND
	buffer_load_dword v5, off, s[0:3], s32 offset:1072 ; 4-byte Folded Reload
	v_fmac_f32_e32 v15, v0, v4
	v_and_b32_e32 v0, 0xffff, v2
	s_waitcnt vmcnt(0)
	v_and_b32_e32 v5, 0xffff, v5
	;;#ASMSTART
	v_cvt_f32_f16 v5, v5;
	;;#ASMEND
	v_fmac_f32_e32 v14, v1, v5
	v_lshrrev_b32_e32 v1, 16, v2
	;; [unrolled: 22-line block ×3, first 2 shown]
	;;#ASMSTART
	v_cvt_f32_f16 v0, v0;
	;;#ASMEND
	;;#ASMSTART
	v_cvt_f32_f16 v1, v1;
	;;#ASMEND
	buffer_load_dword v2, off, s[0:3], s32 offset:1060 ; 4-byte Folded Reload
	s_waitcnt vmcnt(0)
	v_and_b32_e32 v2, 0xffff, v2
	;;#ASMSTART
	v_cvt_f32_f16 v2, v2;
	;;#ASMEND
	buffer_load_dword v3, off, s[0:3], s32 offset:1056 ; 4-byte Folded Reload
	v_fmac_f32_e32 v19, v0, v2
	s_waitcnt vmcnt(0)
	v_and_b32_e32 v3, 0xffff, v3
	;;#ASMSTART
	v_cvt_f32_f16 v3, v3;
	;;#ASMEND
	v_fmac_f32_e32 v18, v1, v3
	ds_read_b128 v[0:3], v9 offset:368
	s_waitcnt lgkmcnt(0)
	v_lshrrev_b32_e32 v4, 16, v0
	v_and_b32_e32 v0, 0xffff, v0
	;;#ASMSTART
	v_cvt_f32_f16 v0, v0;
	;;#ASMEND
	;;#ASMSTART
	v_cvt_f32_f16 v4, v4;
	;;#ASMEND
	buffer_load_dword v5, off, s[0:3], s32 offset:1052 ; 4-byte Folded Reload
	s_waitcnt vmcnt(0)
	v_and_b32_e32 v5, 0xffff, v5
	;;#ASMSTART
	v_cvt_f32_f16 v5, v5;
	;;#ASMEND
	buffer_load_dword v6, off, s[0:3], s32 offset:1048 ; 4-byte Folded Reload
	v_fmac_f32_e32 v12, v0, v5
	v_and_b32_e32 v0, 0xffff, v1
	s_waitcnt vmcnt(0)
	v_and_b32_e32 v6, 0xffff, v6
	;;#ASMSTART
	v_cvt_f32_f16 v6, v6;
	;;#ASMEND
	v_fmac_f32_e32 v13, v4, v6
	v_lshrrev_b32_e32 v4, 16, v1
	;;#ASMSTART
	v_cvt_f32_f16 v0, v0;
	;;#ASMEND
	;;#ASMSTART
	v_cvt_f32_f16 v1, v4;
	;;#ASMEND
	buffer_load_dword v4, off, s[0:3], s32 offset:1044 ; 4-byte Folded Reload
	s_waitcnt vmcnt(0)
	v_and_b32_e32 v4, 0xffff, v4
	;;#ASMSTART
	v_cvt_f32_f16 v4, v4;
	;;#ASMEND
	buffer_load_dword v5, off, s[0:3], s32 offset:1040 ; 4-byte Folded Reload
	v_fmac_f32_e32 v15, v0, v4
	v_and_b32_e32 v0, 0xffff, v2
	s_waitcnt vmcnt(0)
	v_and_b32_e32 v5, 0xffff, v5
	;;#ASMSTART
	v_cvt_f32_f16 v5, v5;
	;;#ASMEND
	v_fmac_f32_e32 v14, v1, v5
	v_lshrrev_b32_e32 v1, 16, v2
	;; [unrolled: 22-line block ×3, first 2 shown]
	;;#ASMSTART
	v_cvt_f32_f16 v0, v0;
	;;#ASMEND
	;;#ASMSTART
	v_cvt_f32_f16 v1, v1;
	;;#ASMEND
	buffer_load_dword v2, off, s[0:3], s32 offset:1028 ; 4-byte Folded Reload
	s_waitcnt vmcnt(0)
	v_and_b32_e32 v2, 0xffff, v2
	;;#ASMSTART
	v_cvt_f32_f16 v2, v2;
	;;#ASMEND
	buffer_load_dword v3, off, s[0:3], s32 offset:1024 ; 4-byte Folded Reload
	v_fmac_f32_e32 v19, v0, v2
	s_waitcnt vmcnt(0)
	v_and_b32_e32 v3, 0xffff, v3
	;;#ASMSTART
	v_cvt_f32_f16 v3, v3;
	;;#ASMEND
	v_fmac_f32_e32 v18, v1, v3
	ds_read_b128 v[0:3], v9 offset:384
	s_waitcnt lgkmcnt(0)
	v_lshrrev_b32_e32 v4, 16, v0
	v_and_b32_e32 v0, 0xffff, v0
	;;#ASMSTART
	v_cvt_f32_f16 v0, v0;
	;;#ASMEND
	;;#ASMSTART
	v_cvt_f32_f16 v4, v4;
	;;#ASMEND
	buffer_load_dword v5, off, s[0:3], s32 offset:1020 ; 4-byte Folded Reload
	s_waitcnt vmcnt(0)
	v_and_b32_e32 v5, 0xffff, v5
	;;#ASMSTART
	v_cvt_f32_f16 v5, v5;
	;;#ASMEND
	buffer_load_dword v6, off, s[0:3], s32 offset:1016 ; 4-byte Folded Reload
	v_fmac_f32_e32 v12, v0, v5
	v_and_b32_e32 v0, 0xffff, v1
	s_waitcnt vmcnt(0)
	v_and_b32_e32 v6, 0xffff, v6
	;;#ASMSTART
	v_cvt_f32_f16 v6, v6;
	;;#ASMEND
	v_fmac_f32_e32 v13, v4, v6
	v_lshrrev_b32_e32 v4, 16, v1
	;;#ASMSTART
	v_cvt_f32_f16 v0, v0;
	;;#ASMEND
	;;#ASMSTART
	v_cvt_f32_f16 v1, v4;
	;;#ASMEND
	buffer_load_dword v4, off, s[0:3], s32 offset:1012 ; 4-byte Folded Reload
	s_waitcnt vmcnt(0)
	v_and_b32_e32 v4, 0xffff, v4
	;;#ASMSTART
	v_cvt_f32_f16 v4, v4;
	;;#ASMEND
	buffer_load_dword v5, off, s[0:3], s32 offset:1008 ; 4-byte Folded Reload
	v_fmac_f32_e32 v15, v0, v4
	v_and_b32_e32 v0, 0xffff, v2
	s_waitcnt vmcnt(0)
	v_and_b32_e32 v5, 0xffff, v5
	;;#ASMSTART
	v_cvt_f32_f16 v5, v5;
	;;#ASMEND
	v_fmac_f32_e32 v14, v1, v5
	v_lshrrev_b32_e32 v1, 16, v2
	;; [unrolled: 22-line block ×3, first 2 shown]
	;;#ASMSTART
	v_cvt_f32_f16 v0, v0;
	;;#ASMEND
	;;#ASMSTART
	v_cvt_f32_f16 v1, v1;
	;;#ASMEND
	buffer_load_dword v2, off, s[0:3], s32 offset:996 ; 4-byte Folded Reload
	s_waitcnt vmcnt(0)
	v_and_b32_e32 v2, 0xffff, v2
	;;#ASMSTART
	v_cvt_f32_f16 v2, v2;
	;;#ASMEND
	buffer_load_dword v3, off, s[0:3], s32 offset:992 ; 4-byte Folded Reload
	v_fmac_f32_e32 v19, v0, v2
	s_waitcnt vmcnt(0)
	v_and_b32_e32 v3, 0xffff, v3
	;;#ASMSTART
	v_cvt_f32_f16 v3, v3;
	;;#ASMEND
	v_fmac_f32_e32 v18, v1, v3
	ds_read_b128 v[0:3], v9 offset:400
	s_waitcnt lgkmcnt(0)
	v_lshrrev_b32_e32 v4, 16, v0
	v_and_b32_e32 v0, 0xffff, v0
	;;#ASMSTART
	v_cvt_f32_f16 v0, v0;
	;;#ASMEND
	;;#ASMSTART
	v_cvt_f32_f16 v4, v4;
	;;#ASMEND
	buffer_load_dword v5, off, s[0:3], s32 offset:988 ; 4-byte Folded Reload
	s_waitcnt vmcnt(0)
	v_and_b32_e32 v5, 0xffff, v5
	;;#ASMSTART
	v_cvt_f32_f16 v5, v5;
	;;#ASMEND
	buffer_load_dword v6, off, s[0:3], s32 offset:984 ; 4-byte Folded Reload
	v_fmac_f32_e32 v12, v0, v5
	v_and_b32_e32 v0, 0xffff, v1
	s_waitcnt vmcnt(0)
	v_and_b32_e32 v6, 0xffff, v6
	;;#ASMSTART
	v_cvt_f32_f16 v6, v6;
	;;#ASMEND
	v_fmac_f32_e32 v13, v4, v6
	v_lshrrev_b32_e32 v4, 16, v1
	;;#ASMSTART
	v_cvt_f32_f16 v0, v0;
	;;#ASMEND
	;;#ASMSTART
	v_cvt_f32_f16 v1, v4;
	;;#ASMEND
	buffer_load_dword v4, off, s[0:3], s32 offset:980 ; 4-byte Folded Reload
	s_waitcnt vmcnt(0)
	v_and_b32_e32 v4, 0xffff, v4
	;;#ASMSTART
	v_cvt_f32_f16 v4, v4;
	;;#ASMEND
	buffer_load_dword v5, off, s[0:3], s32 offset:976 ; 4-byte Folded Reload
	v_fmac_f32_e32 v15, v0, v4
	v_and_b32_e32 v0, 0xffff, v2
	s_waitcnt vmcnt(0)
	v_and_b32_e32 v5, 0xffff, v5
	;;#ASMSTART
	v_cvt_f32_f16 v5, v5;
	;;#ASMEND
	v_fmac_f32_e32 v14, v1, v5
	v_lshrrev_b32_e32 v1, 16, v2
	;; [unrolled: 22-line block ×3, first 2 shown]
	;;#ASMSTART
	v_cvt_f32_f16 v0, v0;
	;;#ASMEND
	;;#ASMSTART
	v_cvt_f32_f16 v1, v1;
	;;#ASMEND
	buffer_load_dword v2, off, s[0:3], s32 offset:964 ; 4-byte Folded Reload
	s_waitcnt vmcnt(0)
	v_and_b32_e32 v2, 0xffff, v2
	;;#ASMSTART
	v_cvt_f32_f16 v2, v2;
	;;#ASMEND
	buffer_load_dword v3, off, s[0:3], s32 offset:960 ; 4-byte Folded Reload
	v_fmac_f32_e32 v19, v0, v2
	s_waitcnt vmcnt(0)
	v_and_b32_e32 v3, 0xffff, v3
	;;#ASMSTART
	v_cvt_f32_f16 v3, v3;
	;;#ASMEND
	v_fmac_f32_e32 v18, v1, v3
	ds_read_b128 v[0:3], v9 offset:416
	s_waitcnt lgkmcnt(0)
	v_lshrrev_b32_e32 v4, 16, v0
	v_and_b32_e32 v0, 0xffff, v0
	;;#ASMSTART
	v_cvt_f32_f16 v0, v0;
	;;#ASMEND
	;;#ASMSTART
	v_cvt_f32_f16 v4, v4;
	;;#ASMEND
	buffer_load_dword v5, off, s[0:3], s32 offset:956 ; 4-byte Folded Reload
	s_waitcnt vmcnt(0)
	v_and_b32_e32 v5, 0xffff, v5
	;;#ASMSTART
	v_cvt_f32_f16 v5, v5;
	;;#ASMEND
	buffer_load_dword v6, off, s[0:3], s32 offset:952 ; 4-byte Folded Reload
	v_fmac_f32_e32 v12, v0, v5
	v_and_b32_e32 v0, 0xffff, v1
	s_waitcnt vmcnt(0)
	v_and_b32_e32 v6, 0xffff, v6
	;;#ASMSTART
	v_cvt_f32_f16 v6, v6;
	;;#ASMEND
	v_fmac_f32_e32 v13, v4, v6
	v_lshrrev_b32_e32 v4, 16, v1
	;;#ASMSTART
	v_cvt_f32_f16 v0, v0;
	;;#ASMEND
	;;#ASMSTART
	v_cvt_f32_f16 v1, v4;
	;;#ASMEND
	buffer_load_dword v4, off, s[0:3], s32 offset:948 ; 4-byte Folded Reload
	s_waitcnt vmcnt(0)
	v_and_b32_e32 v4, 0xffff, v4
	;;#ASMSTART
	v_cvt_f32_f16 v4, v4;
	;;#ASMEND
	buffer_load_dword v5, off, s[0:3], s32 offset:944 ; 4-byte Folded Reload
	v_fmac_f32_e32 v15, v0, v4
	v_and_b32_e32 v0, 0xffff, v2
	s_waitcnt vmcnt(0)
	v_and_b32_e32 v5, 0xffff, v5
	;;#ASMSTART
	v_cvt_f32_f16 v5, v5;
	;;#ASMEND
	v_fmac_f32_e32 v14, v1, v5
	v_lshrrev_b32_e32 v1, 16, v2
	;;#ASMSTART
	v_cvt_f32_f16 v0, v0;
	;;#ASMEND
	;;#ASMSTART
	v_cvt_f32_f16 v1, v1;
	;;#ASMEND
	buffer_load_dword v2, off, s[0:3], s32 offset:940 ; 4-byte Folded Reload
	s_waitcnt vmcnt(0)
	v_and_b32_e32 v2, 0xffff, v2
	;;#ASMSTART
	v_cvt_f32_f16 v2, v2;
	;;#ASMEND
	buffer_load_dword v4, off, s[0:3], s32 offset:936 ; 4-byte Folded Reload
	v_fmac_f32_e32 v17, v0, v2
	v_and_b32_e32 v0, 0xffff, v3
	s_waitcnt vmcnt(0)
	v_and_b32_e32 v4, 0xffff, v4
	;;#ASMSTART
	v_cvt_f32_f16 v4, v4;
	;;#ASMEND
	v_fmac_f32_e32 v16, v1, v4
	v_lshrrev_b32_e32 v1, 16, v3
	;;#ASMSTART
	v_cvt_f32_f16 v0, v0;
	;;#ASMEND
	;;#ASMSTART
	v_cvt_f32_f16 v1, v1;
	;;#ASMEND
	buffer_load_dword v2, off, s[0:3], s32 offset:932 ; 4-byte Folded Reload
	s_waitcnt vmcnt(0)
	v_and_b32_e32 v2, 0xffff, v2
	;;#ASMSTART
	v_cvt_f32_f16 v2, v2;
	;;#ASMEND
	buffer_load_dword v3, off, s[0:3], s32 offset:928 ; 4-byte Folded Reload
	v_fmac_f32_e32 v19, v0, v2
	s_waitcnt vmcnt(0)
	v_and_b32_e32 v3, 0xffff, v3
	;;#ASMSTART
	v_cvt_f32_f16 v3, v3;
	;;#ASMEND
	v_fmac_f32_e32 v18, v1, v3
	ds_read_b128 v[0:3], v9 offset:432
	s_waitcnt lgkmcnt(0)
	v_lshrrev_b32_e32 v4, 16, v0
	v_and_b32_e32 v0, 0xffff, v0
	;;#ASMSTART
	v_cvt_f32_f16 v0, v0;
	;;#ASMEND
	;;#ASMSTART
	v_cvt_f32_f16 v4, v4;
	;;#ASMEND
	buffer_load_dword v5, off, s[0:3], s32 offset:924 ; 4-byte Folded Reload
	s_waitcnt vmcnt(0)
	v_and_b32_e32 v5, 0xffff, v5
	;;#ASMSTART
	v_cvt_f32_f16 v5, v5;
	;;#ASMEND
	buffer_load_dword v6, off, s[0:3], s32 offset:920 ; 4-byte Folded Reload
	v_fmac_f32_e32 v12, v0, v5
	v_and_b32_e32 v0, 0xffff, v1
	s_waitcnt vmcnt(0)
	v_and_b32_e32 v6, 0xffff, v6
	;;#ASMSTART
	v_cvt_f32_f16 v6, v6;
	;;#ASMEND
	v_fmac_f32_e32 v13, v4, v6
	v_lshrrev_b32_e32 v4, 16, v1
	;;#ASMSTART
	v_cvt_f32_f16 v0, v0;
	;;#ASMEND
	;;#ASMSTART
	v_cvt_f32_f16 v1, v4;
	;;#ASMEND
	buffer_load_dword v4, off, s[0:3], s32 offset:916 ; 4-byte Folded Reload
	s_waitcnt vmcnt(0)
	v_and_b32_e32 v4, 0xffff, v4
	;;#ASMSTART
	v_cvt_f32_f16 v4, v4;
	;;#ASMEND
	buffer_load_dword v5, off, s[0:3], s32 offset:912 ; 4-byte Folded Reload
	v_fmac_f32_e32 v15, v0, v4
	v_and_b32_e32 v0, 0xffff, v2
	s_waitcnt vmcnt(0)
	v_and_b32_e32 v5, 0xffff, v5
	;;#ASMSTART
	v_cvt_f32_f16 v5, v5;
	;;#ASMEND
	v_fmac_f32_e32 v14, v1, v5
	v_lshrrev_b32_e32 v1, 16, v2
	;; [unrolled: 22-line block ×3, first 2 shown]
	;;#ASMSTART
	v_cvt_f32_f16 v0, v0;
	;;#ASMEND
	;;#ASMSTART
	v_cvt_f32_f16 v1, v1;
	;;#ASMEND
	buffer_load_dword v2, off, s[0:3], s32 offset:900 ; 4-byte Folded Reload
	s_waitcnt vmcnt(0)
	v_and_b32_e32 v2, 0xffff, v2
	;;#ASMSTART
	v_cvt_f32_f16 v2, v2;
	;;#ASMEND
	buffer_load_dword v3, off, s[0:3], s32 offset:896 ; 4-byte Folded Reload
	v_fmac_f32_e32 v19, v0, v2
	s_waitcnt vmcnt(0)
	v_and_b32_e32 v3, 0xffff, v3
	;;#ASMSTART
	v_cvt_f32_f16 v3, v3;
	;;#ASMEND
	v_fmac_f32_e32 v18, v1, v3
	ds_read_b128 v[0:3], v9 offset:448
	s_waitcnt lgkmcnt(0)
	v_lshrrev_b32_e32 v4, 16, v0
	v_and_b32_e32 v0, 0xffff, v0
	;;#ASMSTART
	v_cvt_f32_f16 v0, v0;
	;;#ASMEND
	;;#ASMSTART
	v_cvt_f32_f16 v4, v4;
	;;#ASMEND
	buffer_load_dword v5, off, s[0:3], s32 offset:892 ; 4-byte Folded Reload
	s_waitcnt vmcnt(0)
	v_and_b32_e32 v5, 0xffff, v5
	;;#ASMSTART
	v_cvt_f32_f16 v5, v5;
	;;#ASMEND
	buffer_load_dword v6, off, s[0:3], s32 offset:888 ; 4-byte Folded Reload
	v_fmac_f32_e32 v12, v0, v5
	v_and_b32_e32 v0, 0xffff, v1
	s_waitcnt vmcnt(0)
	v_and_b32_e32 v6, 0xffff, v6
	;;#ASMSTART
	v_cvt_f32_f16 v6, v6;
	;;#ASMEND
	v_fmac_f32_e32 v13, v4, v6
	v_lshrrev_b32_e32 v4, 16, v1
	;;#ASMSTART
	v_cvt_f32_f16 v0, v0;
	;;#ASMEND
	;;#ASMSTART
	v_cvt_f32_f16 v1, v4;
	;;#ASMEND
	buffer_load_dword v4, off, s[0:3], s32 offset:884 ; 4-byte Folded Reload
	s_waitcnt vmcnt(0)
	v_and_b32_e32 v4, 0xffff, v4
	;;#ASMSTART
	v_cvt_f32_f16 v4, v4;
	;;#ASMEND
	buffer_load_dword v5, off, s[0:3], s32 offset:880 ; 4-byte Folded Reload
	v_fmac_f32_e32 v15, v0, v4
	v_and_b32_e32 v0, 0xffff, v2
	s_waitcnt vmcnt(0)
	v_and_b32_e32 v5, 0xffff, v5
	;;#ASMSTART
	v_cvt_f32_f16 v5, v5;
	;;#ASMEND
	v_fmac_f32_e32 v14, v1, v5
	v_lshrrev_b32_e32 v1, 16, v2
	;;#ASMSTART
	v_cvt_f32_f16 v0, v0;
	;;#ASMEND
	;;#ASMSTART
	v_cvt_f32_f16 v1, v1;
	;;#ASMEND
	buffer_load_dword v2, off, s[0:3], s32 offset:876 ; 4-byte Folded Reload
	s_waitcnt vmcnt(0)
	v_and_b32_e32 v2, 0xffff, v2
	;;#ASMSTART
	v_cvt_f32_f16 v2, v2;
	;;#ASMEND
	buffer_load_dword v4, off, s[0:3], s32 offset:872 ; 4-byte Folded Reload
	v_fmac_f32_e32 v17, v0, v2
	v_and_b32_e32 v0, 0xffff, v3
	s_waitcnt vmcnt(0)
	v_and_b32_e32 v4, 0xffff, v4
	;;#ASMSTART
	v_cvt_f32_f16 v4, v4;
	;;#ASMEND
	v_fmac_f32_e32 v16, v1, v4
	v_lshrrev_b32_e32 v1, 16, v3
	;;#ASMSTART
	v_cvt_f32_f16 v0, v0;
	;;#ASMEND
	;;#ASMSTART
	v_cvt_f32_f16 v1, v1;
	;;#ASMEND
	buffer_load_dword v2, off, s[0:3], s32 offset:868 ; 4-byte Folded Reload
	s_waitcnt vmcnt(0)
	v_and_b32_e32 v2, 0xffff, v2
	;;#ASMSTART
	v_cvt_f32_f16 v2, v2;
	;;#ASMEND
	buffer_load_dword v3, off, s[0:3], s32 offset:864 ; 4-byte Folded Reload
	v_fmac_f32_e32 v19, v0, v2
	s_waitcnt vmcnt(0)
	v_and_b32_e32 v3, 0xffff, v3
	;;#ASMSTART
	v_cvt_f32_f16 v3, v3;
	;;#ASMEND
	v_fmac_f32_e32 v18, v1, v3
	ds_read_b128 v[0:3], v9 offset:464
	s_waitcnt lgkmcnt(0)
	v_lshrrev_b32_e32 v4, 16, v0
	v_and_b32_e32 v0, 0xffff, v0
	;;#ASMSTART
	v_cvt_f32_f16 v0, v0;
	;;#ASMEND
	;;#ASMSTART
	v_cvt_f32_f16 v4, v4;
	;;#ASMEND
	buffer_load_dword v5, off, s[0:3], s32 offset:860 ; 4-byte Folded Reload
	s_waitcnt vmcnt(0)
	v_and_b32_e32 v5, 0xffff, v5
	;;#ASMSTART
	v_cvt_f32_f16 v5, v5;
	;;#ASMEND
	buffer_load_dword v6, off, s[0:3], s32 offset:856 ; 4-byte Folded Reload
	v_fmac_f32_e32 v12, v0, v5
	v_and_b32_e32 v0, 0xffff, v1
	s_waitcnt vmcnt(0)
	v_and_b32_e32 v6, 0xffff, v6
	;;#ASMSTART
	v_cvt_f32_f16 v6, v6;
	;;#ASMEND
	v_fmac_f32_e32 v13, v4, v6
	v_lshrrev_b32_e32 v4, 16, v1
	;;#ASMSTART
	v_cvt_f32_f16 v0, v0;
	;;#ASMEND
	;;#ASMSTART
	v_cvt_f32_f16 v1, v4;
	;;#ASMEND
	buffer_load_dword v4, off, s[0:3], s32 offset:852 ; 4-byte Folded Reload
	s_waitcnt vmcnt(0)
	v_and_b32_e32 v4, 0xffff, v4
	;;#ASMSTART
	v_cvt_f32_f16 v4, v4;
	;;#ASMEND
	buffer_load_dword v5, off, s[0:3], s32 offset:848 ; 4-byte Folded Reload
	v_fmac_f32_e32 v15, v0, v4
	v_and_b32_e32 v0, 0xffff, v2
	s_waitcnt vmcnt(0)
	v_and_b32_e32 v5, 0xffff, v5
	;;#ASMSTART
	v_cvt_f32_f16 v5, v5;
	;;#ASMEND
	v_fmac_f32_e32 v14, v1, v5
	v_lshrrev_b32_e32 v1, 16, v2
	;; [unrolled: 22-line block ×3, first 2 shown]
	;;#ASMSTART
	v_cvt_f32_f16 v0, v0;
	;;#ASMEND
	;;#ASMSTART
	v_cvt_f32_f16 v1, v1;
	;;#ASMEND
	buffer_load_dword v2, off, s[0:3], s32 offset:836 ; 4-byte Folded Reload
	s_waitcnt vmcnt(0)
	v_and_b32_e32 v2, 0xffff, v2
	;;#ASMSTART
	v_cvt_f32_f16 v2, v2;
	;;#ASMEND
	buffer_load_dword v3, off, s[0:3], s32 offset:832 ; 4-byte Folded Reload
	v_fmac_f32_e32 v19, v0, v2
	s_waitcnt vmcnt(0)
	v_and_b32_e32 v3, 0xffff, v3
	;;#ASMSTART
	v_cvt_f32_f16 v3, v3;
	;;#ASMEND
	v_fmac_f32_e32 v18, v1, v3
	ds_read_b128 v[0:3], v9 offset:480
	s_waitcnt lgkmcnt(0)
	v_lshrrev_b32_e32 v4, 16, v0
	v_and_b32_e32 v0, 0xffff, v0
	;;#ASMSTART
	v_cvt_f32_f16 v0, v0;
	;;#ASMEND
	;;#ASMSTART
	v_cvt_f32_f16 v4, v4;
	;;#ASMEND
	buffer_load_dword v5, off, s[0:3], s32 offset:828 ; 4-byte Folded Reload
	s_waitcnt vmcnt(0)
	v_and_b32_e32 v5, 0xffff, v5
	;;#ASMSTART
	v_cvt_f32_f16 v5, v5;
	;;#ASMEND
	buffer_load_dword v6, off, s[0:3], s32 offset:824 ; 4-byte Folded Reload
	v_fmac_f32_e32 v12, v0, v5
	v_and_b32_e32 v0, 0xffff, v1
	s_waitcnt vmcnt(0)
	v_and_b32_e32 v6, 0xffff, v6
	;;#ASMSTART
	v_cvt_f32_f16 v6, v6;
	;;#ASMEND
	v_fmac_f32_e32 v13, v4, v6
	v_lshrrev_b32_e32 v4, 16, v1
	;;#ASMSTART
	v_cvt_f32_f16 v0, v0;
	;;#ASMEND
	;;#ASMSTART
	v_cvt_f32_f16 v1, v4;
	;;#ASMEND
	buffer_load_dword v4, off, s[0:3], s32 offset:820 ; 4-byte Folded Reload
	s_waitcnt vmcnt(0)
	v_and_b32_e32 v4, 0xffff, v4
	;;#ASMSTART
	v_cvt_f32_f16 v4, v4;
	;;#ASMEND
	buffer_load_dword v5, off, s[0:3], s32 offset:816 ; 4-byte Folded Reload
	v_fmac_f32_e32 v15, v0, v4
	v_and_b32_e32 v0, 0xffff, v2
	s_waitcnt vmcnt(0)
	v_and_b32_e32 v5, 0xffff, v5
	;;#ASMSTART
	v_cvt_f32_f16 v5, v5;
	;;#ASMEND
	v_fmac_f32_e32 v14, v1, v5
	v_lshrrev_b32_e32 v1, 16, v2
	;; [unrolled: 22-line block ×3, first 2 shown]
	;;#ASMSTART
	v_cvt_f32_f16 v0, v0;
	;;#ASMEND
	;;#ASMSTART
	v_cvt_f32_f16 v1, v1;
	;;#ASMEND
	buffer_load_dword v2, off, s[0:3], s32 offset:804 ; 4-byte Folded Reload
	s_waitcnt vmcnt(0)
	v_and_b32_e32 v2, 0xffff, v2
	;;#ASMSTART
	v_cvt_f32_f16 v2, v2;
	;;#ASMEND
	buffer_load_dword v3, off, s[0:3], s32 offset:800 ; 4-byte Folded Reload
	v_fmac_f32_e32 v19, v0, v2
	s_waitcnt vmcnt(0)
	v_and_b32_e32 v3, 0xffff, v3
	;;#ASMSTART
	v_cvt_f32_f16 v3, v3;
	;;#ASMEND
	v_fmac_f32_e32 v18, v1, v3
	ds_read_b128 v[0:3], v9 offset:496
	s_waitcnt lgkmcnt(0)
	v_lshrrev_b32_e32 v4, 16, v0
	v_and_b32_e32 v0, 0xffff, v0
	;;#ASMSTART
	v_cvt_f32_f16 v0, v0;
	;;#ASMEND
	;;#ASMSTART
	v_cvt_f32_f16 v4, v4;
	;;#ASMEND
	buffer_load_dword v5, off, s[0:3], s32 offset:236 ; 4-byte Folded Reload
	s_waitcnt vmcnt(0)
	v_and_b32_e32 v5, 0xffff, v5
	;;#ASMSTART
	v_cvt_f32_f16 v5, v5;
	;;#ASMEND
	buffer_load_dword v6, off, s[0:3], s32 offset:232 ; 4-byte Folded Reload
	v_fmac_f32_e32 v12, v0, v5
	v_and_b32_e32 v0, 0xffff, v1
	s_waitcnt vmcnt(0)
	v_and_b32_e32 v6, 0xffff, v6
	;;#ASMSTART
	v_cvt_f32_f16 v6, v6;
	;;#ASMEND
	v_fmac_f32_e32 v13, v4, v6
	v_lshrrev_b32_e32 v4, 16, v1
	;;#ASMSTART
	v_cvt_f32_f16 v0, v0;
	;;#ASMEND
	;;#ASMSTART
	v_cvt_f32_f16 v1, v4;
	;;#ASMEND
	buffer_load_dword v4, off, s[0:3], s32 offset:228 ; 4-byte Folded Reload
	s_waitcnt vmcnt(0)
	v_and_b32_e32 v4, 0xffff, v4
	;;#ASMSTART
	v_cvt_f32_f16 v4, v4;
	;;#ASMEND
	buffer_load_dword v5, off, s[0:3], s32 offset:224 ; 4-byte Folded Reload
	v_fmac_f32_e32 v15, v0, v4
	v_and_b32_e32 v0, 0xffff, v2
	s_waitcnt vmcnt(0)
	v_and_b32_e32 v5, 0xffff, v5
	;;#ASMSTART
	v_cvt_f32_f16 v5, v5;
	;;#ASMEND
	v_fmac_f32_e32 v14, v1, v5
	v_lshrrev_b32_e32 v1, 16, v2
	;; [unrolled: 22-line block ×3, first 2 shown]
	;;#ASMSTART
	v_cvt_f32_f16 v0, v0;
	;;#ASMEND
	;;#ASMSTART
	v_cvt_f32_f16 v1, v1;
	;;#ASMEND
	buffer_load_dword v2, off, s[0:3], s32 offset:212 ; 4-byte Folded Reload
	v_and_b32_e32 v3, 0xffff, v67
	s_waitcnt vmcnt(0)
	v_and_b32_e32 v2, 0xffff, v2
	;;#ASMSTART
	v_cvt_f32_f16 v2, v2;
	;;#ASMEND
	;;#ASMSTART
	v_cvt_f32_f16 v3, v3;
	;;#ASMEND
	v_fmac_f32_e32 v18, v1, v3
	s_clause 0x1
	buffer_load_dword v1, off, s[0:3], s32 offset:1252
	buffer_load_dword v6, off, s[0:3], s32 offset:788
	v_fmac_f32_e32 v19, v0, v2
	v_add_f32_e32 v0, v12, v13
	v_add_f32_e32 v0, v0, v15
	;; [unrolled: 1-line block ×7, first 2 shown]
	s_waitcnt vmcnt(1)
	v_fmac_f32_e32 v46, v1, v0
	buffer_load_dword v1, off, s[0:3], s32 offset:200 ; 4-byte Folded Reload
	v_cndmask_b32_e64 v0, 0, v46, s5
	ds_write_b32 v82, v0
	s_waitcnt vmcnt(1)
	v_max_f32_e32 v0, v6, v6
	s_clause 0x1
	buffer_load_dword v2, off, s[0:3], s32 offset:792
	buffer_load_dword v3, off, s[0:3], s32 offset:796
	v_add_nc_u32_e32 v82, 0x200, v82
	v_max_f32_e32 v0, v0, v46
	v_cndmask_b32_e64 v6, v6, v0, s5
	buffer_load_dword v0, off, s[0:3], s32 offset:784 ; 4-byte Folded Reload
	s_waitcnt vmcnt(3)
	v_add_nc_u32_e32 v1, 4, v1
	s_waitcnt vmcnt(2)
	v_add_co_u32 v2, s5, v2, 16
	s_waitcnt vmcnt(1)
	v_add_co_ci_u32_e64 v3, null, 0, v3, s5
	s_waitcnt vmcnt(0)
	v_cmp_ge_i32_e64 s5, v1, v0
	v_mov_b32_e32 v0, v1
	s_or_b32 s19, s5, s19
	s_andn2_b32 exec_lo, exec_lo, s19
	s_cbranch_execz .LBB329_2056
.LBB329_11:                             ; =>This Inner Loop Header: Depth=1
	buffer_store_dword v0, off, s[0:3], s32 offset:200 ; 4-byte Folded Spill
	buffer_store_dword v82, off, s[0:3], s32 offset:724 ; 4-byte Folded Spill
	;; [unrolled: 1-line block ×6, first 2 shown]
	v_mov_b32_e32 v47, 0
	flat_load_dword v0, v[2:3]
	s_clause 0x2
	buffer_load_dword v1, off, s[0:3], s32 offset:780
	buffer_load_dword v2, off, s[0:3], s32 offset:1260
	;; [unrolled: 1-line block ×3, first 2 shown]
	s_waitcnt vmcnt(0) lgkmcnt(0)
	v_mad_i64_i32 v[28:29], null, v0, v1, v[2:3]
	flat_load_dwordx2 v[30:31], v[28:29]
	s_clause 0x1
	buffer_load_dword v0, off, s[0:3], s32 offset:1244
	buffer_load_dword v1, off, s[0:3], s32 offset:1248
	s_waitcnt vmcnt(2) lgkmcnt(0)
	v_cmp_ne_u16_sdwa s5, v30, v9 src0_sel:BYTE_0 src1_sel:DWORD
	s_waitcnt vmcnt(0)
	flat_load_dword v67, v[0:1]
	s_and_saveexec_b32 s20, s5
	s_cbranch_execz .LBB329_19
; %bb.12:                               ;   in Loop: Header=BB329_11 Depth=1
	v_cmp_ne_u16_sdwa s5, v30, v124 src0_sel:BYTE_0 src1_sel:DWORD
	v_mov_b32_e32 v47, 0x8000
	s_and_saveexec_b32 s21, s5
	s_cbranch_execz .LBB329_18
; %bb.13:                               ;   in Loop: Header=BB329_11 Depth=1
	v_and_b32_e32 v2, 0x7f, v30
	v_mov_b32_e32 v47, 0x7c01
	s_mov_b32 s22, exec_lo
	v_cmpx_ne_u32_e32 0x7f, v2
	s_cbranch_execz .LBB329_17
; %bb.14:                               ;   in Loop: Header=BB329_11 Depth=1
	v_and_b32_e32 v0, 7, v30
	v_lshrrev_b32_e32 v1, 3, v2
	s_mov_b32 s23, exec_lo
	v_cmpx_gt_u32_e32 8, v2
; %bb.15:                               ;   in Loop: Header=BB329_11 Depth=1
	v_ffbh_u32_e32 v0, v0
	v_min_u32_e32 v2, 32, v0
	v_subrev_nc_u32_e32 v0, 28, v2
	v_lshlrev_b64 v[0:1], v0, v[30:31]
	v_sub_nc_u32_e32 v1, 29, v2
	v_and_b32_e32 v0, 7, v0
; %bb.16:                               ;   in Loop: Header=BB329_11 Depth=1
	s_or_b32 exec_lo, exec_lo, s23
	v_lshlrev_b32_e32 v2, 8, v30
	v_lshl_add_u32 v1, v1, 10, 0x2000
	v_lshlrev_b32_e32 v0, 7, v0
	v_and_b32_e32 v2, 0x8000, v2
	v_and_b32_e32 v1, 0xfc00, v1
	v_or3_b32 v47, v2, v1, v0
.LBB329_17:                             ;   in Loop: Header=BB329_11 Depth=1
	s_or_b32 exec_lo, exec_lo, s22
.LBB329_18:                             ;   in Loop: Header=BB329_11 Depth=1
	s_or_b32 exec_lo, exec_lo, s21
.LBB329_19:                             ;   in Loop: Header=BB329_11 Depth=1
	s_or_b32 exec_lo, exec_lo, s20
	v_mov_b32_e32 v0, 0
	v_lshrrev_b16 v8, 8, v30
	s_mov_b32 s20, exec_lo
	buffer_store_dword v0, off, s[0:3], s32 offset:216 ; 4-byte Folded Spill
	v_mov_b32_e32 v0, 0
	buffer_store_dword v0, off, s[0:3], s32 offset:212 ; 4-byte Folded Spill
	v_cmpx_ne_u16_e32 0, v8
	s_cbranch_execz .LBB329_27
; %bb.20:                               ;   in Loop: Header=BB329_11 Depth=1
	v_bfrev_b32_e32 v0, 1
	s_mov_b32 s21, exec_lo
	buffer_store_dword v0, off, s[0:3], s32 offset:212 ; 4-byte Folded Spill
	v_cmpx_ne_u16_e32 0x80, v8
	s_cbranch_execz .LBB329_26
; %bb.21:                               ;   in Loop: Header=BB329_11 Depth=1
	v_mov_b32_e32 v0, 0x7f
	s_mov_b32 s22, exec_lo
	v_and_b32_sdwa v2, v8, v0 dst_sel:DWORD dst_unused:UNUSED_PAD src0_sel:WORD_0 src1_sel:DWORD
	v_mov_b32_e32 v0, 0x7c010000
	buffer_store_dword v0, off, s[0:3], s32 offset:212 ; 4-byte Folded Spill
	v_cmpx_ne_u32_e32 0x7f, v2
	s_cbranch_execz .LBB329_25
; %bb.22:                               ;   in Loop: Header=BB329_11 Depth=1
	v_mov_b32_e32 v0, 7
	v_lshrrev_b32_e32 v1, 3, v2
	s_mov_b32 s23, exec_lo
	v_and_b32_sdwa v0, v8, v0 dst_sel:DWORD dst_unused:UNUSED_PAD src0_sel:WORD_0 src1_sel:DWORD
	v_cmpx_gt_u32_e32 8, v2
; %bb.23:                               ;   in Loop: Header=BB329_11 Depth=1
	v_ffbh_u32_e32 v0, v0
	v_min_u32_e32 v2, 32, v0
	v_subrev_nc_u32_e32 v0, 28, v2
	v_lshlrev_b64 v[0:1], v0, v[8:9]
	v_sub_nc_u32_e32 v1, 29, v2
	v_and_b32_e32 v0, 7, v0
; %bb.24:                               ;   in Loop: Header=BB329_11 Depth=1
	s_or_b32 exec_lo, exec_lo, s23
	v_mov_b32_e32 v2, 8
	v_lshl_add_u32 v1, v1, 10, 0x2000
	v_lshlrev_b32_e32 v0, 23, v0
	v_lshlrev_b32_sdwa v2, v2, v8 dst_sel:DWORD dst_unused:UNUSED_PAD src0_sel:DWORD src1_sel:WORD_0
	v_and_or_b32 v1, 0x8000, v2, v1
	v_lshl_or_b32 v0, v1, 16, v0
	buffer_store_dword v0, off, s[0:3], s32 offset:212 ; 4-byte Folded Spill
.LBB329_25:                             ;   in Loop: Header=BB329_11 Depth=1
	s_or_b32 exec_lo, exec_lo, s22
.LBB329_26:                             ;   in Loop: Header=BB329_11 Depth=1
	s_or_b32 exec_lo, exec_lo, s21
.LBB329_27:                             ;   in Loop: Header=BB329_11 Depth=1
	s_or_b32 exec_lo, exec_lo, s20
	v_lshrrev_b32_e32 v8, 16, v30
	v_cmp_ne_u16_sdwa s5, v8, v9 src0_sel:BYTE_0 src1_sel:DWORD
	s_and_saveexec_b32 s20, s5
	s_cbranch_execz .LBB329_35
; %bb.28:                               ;   in Loop: Header=BB329_11 Depth=1
	v_cmp_ne_u16_sdwa s5, v8, v124 src0_sel:BYTE_0 src1_sel:DWORD
	v_mov_b32_e32 v0, 0x8000
	buffer_store_dword v0, off, s[0:3], s32 offset:216 ; 4-byte Folded Spill
	s_and_saveexec_b32 s21, s5
	s_cbranch_execz .LBB329_34
; %bb.29:                               ;   in Loop: Header=BB329_11 Depth=1
	v_bfe_u32 v2, v30, 16, 7
	v_mov_b32_e32 v0, 0x7c01
	s_mov_b32 s22, exec_lo
	buffer_store_dword v0, off, s[0:3], s32 offset:216 ; 4-byte Folded Spill
	v_cmpx_ne_u32_e32 0x7f, v2
	s_cbranch_execz .LBB329_33
; %bb.30:                               ;   in Loop: Header=BB329_11 Depth=1
	v_and_b32_e32 v0, 7, v8
	v_lshrrev_b32_e32 v1, 3, v2
	s_mov_b32 s23, exec_lo
	v_cmpx_gt_u32_e32 8, v2
; %bb.31:                               ;   in Loop: Header=BB329_11 Depth=1
	v_ffbh_u32_e32 v0, v0
	v_min_u32_e32 v2, 32, v0
	v_subrev_nc_u32_e32 v0, 28, v2
	v_lshlrev_b64 v[0:1], v0, v[8:9]
	v_sub_nc_u32_e32 v1, 29, v2
	v_and_b32_e32 v0, 7, v0
; %bb.32:                               ;   in Loop: Header=BB329_11 Depth=1
	s_or_b32 exec_lo, exec_lo, s23
	v_lshlrev_b32_e32 v2, 8, v8
	v_lshl_add_u32 v1, v1, 10, 0x2000
	v_lshlrev_b32_e32 v0, 7, v0
	v_and_b32_e32 v2, 0x8000, v2
	v_and_b32_e32 v1, 0xfc00, v1
	v_or3_b32 v0, v2, v1, v0
	buffer_store_dword v0, off, s[0:3], s32 offset:216 ; 4-byte Folded Spill
.LBB329_33:                             ;   in Loop: Header=BB329_11 Depth=1
	s_or_b32 exec_lo, exec_lo, s22
.LBB329_34:                             ;   in Loop: Header=BB329_11 Depth=1
	s_or_b32 exec_lo, exec_lo, s21
.LBB329_35:                             ;   in Loop: Header=BB329_11 Depth=1
	s_or_b32 exec_lo, exec_lo, s20
	v_mov_b32_e32 v0, 0
	s_mov_b32 s20, exec_lo
	buffer_store_dword v0, off, s[0:3], s32 offset:220 ; 4-byte Folded Spill
	v_mov_b32_e32 v0, 0
	buffer_store_dword v0, off, s[0:3], s32 offset:224 ; 4-byte Folded Spill
	v_cmpx_lt_u32_e32 0xffffff, v30
	s_cbranch_execz .LBB329_43
; %bb.36:                               ;   in Loop: Header=BB329_11 Depth=1
	v_lshrrev_b32_e32 v8, 24, v30
	v_bfrev_b32_e32 v0, 1
	s_mov_b32 s21, exec_lo
	buffer_store_dword v0, off, s[0:3], s32 offset:224 ; 4-byte Folded Spill
	v_cmpx_ne_u32_e32 0x80, v8
	s_cbranch_execz .LBB329_42
; %bb.37:                               ;   in Loop: Header=BB329_11 Depth=1
	v_and_b32_e32 v2, 0x7f, v8
	v_mov_b32_e32 v0, 0x7c010000
	s_mov_b32 s22, exec_lo
	buffer_store_dword v0, off, s[0:3], s32 offset:224 ; 4-byte Folded Spill
	v_cmpx_ne_u32_e32 0x7f, v2
	s_cbranch_execz .LBB329_41
; %bb.38:                               ;   in Loop: Header=BB329_11 Depth=1
	v_and_b32_e32 v0, 7, v8
	v_lshrrev_b32_e32 v1, 3, v2
	s_mov_b32 s23, exec_lo
	v_cmpx_gt_u32_e32 8, v2
; %bb.39:                               ;   in Loop: Header=BB329_11 Depth=1
	v_ffbh_u32_e32 v0, v0
	v_min_u32_e32 v2, 32, v0
	v_subrev_nc_u32_e32 v0, 28, v2
	v_lshlrev_b64 v[0:1], v0, v[8:9]
	v_sub_nc_u32_e32 v1, 29, v2
	v_and_b32_e32 v0, 7, v0
; %bb.40:                               ;   in Loop: Header=BB329_11 Depth=1
	s_or_b32 exec_lo, exec_lo, s23
	v_lshlrev_b32_e32 v2, 8, v8
	v_lshl_add_u32 v1, v1, 10, 0x2000
	v_lshlrev_b32_e32 v0, 23, v0
	v_and_or_b32 v1, 0x8000, v2, v1
	v_lshl_or_b32 v0, v1, 16, v0
	buffer_store_dword v0, off, s[0:3], s32 offset:224 ; 4-byte Folded Spill
.LBB329_41:                             ;   in Loop: Header=BB329_11 Depth=1
	s_or_b32 exec_lo, exec_lo, s22
.LBB329_42:                             ;   in Loop: Header=BB329_11 Depth=1
	s_or_b32 exec_lo, exec_lo, s21
.LBB329_43:                             ;   in Loop: Header=BB329_11 Depth=1
	s_or_b32 exec_lo, exec_lo, s20
	v_mov_b32_e32 v8, v31
	v_cmp_ne_u16_sdwa s5, v31, v9 src0_sel:BYTE_0 src1_sel:DWORD
	s_and_saveexec_b32 s20, s5
	s_cbranch_execz .LBB329_51
; %bb.44:                               ;   in Loop: Header=BB329_11 Depth=1
	v_cmp_ne_u16_sdwa s5, v31, v124 src0_sel:BYTE_0 src1_sel:DWORD
	v_mov_b32_e32 v0, 0x8000
	buffer_store_dword v0, off, s[0:3], s32 offset:220 ; 4-byte Folded Spill
	s_and_saveexec_b32 s21, s5
	s_cbranch_execz .LBB329_50
; %bb.45:                               ;   in Loop: Header=BB329_11 Depth=1
	v_and_b32_e32 v2, 0x7f, v31
	v_mov_b32_e32 v0, 0x7c01
	s_mov_b32 s22, exec_lo
	buffer_store_dword v0, off, s[0:3], s32 offset:220 ; 4-byte Folded Spill
	v_cmpx_ne_u32_e32 0x7f, v2
	s_cbranch_execz .LBB329_49
; %bb.46:                               ;   in Loop: Header=BB329_11 Depth=1
	v_and_b32_e32 v0, 7, v31
	v_lshrrev_b32_e32 v1, 3, v2
	s_mov_b32 s23, exec_lo
	v_cmpx_gt_u32_e32 8, v2
; %bb.47:                               ;   in Loop: Header=BB329_11 Depth=1
	v_ffbh_u32_e32 v0, v0
	v_min_u32_e32 v2, 32, v0
	v_subrev_nc_u32_e32 v0, 28, v2
	v_lshlrev_b64 v[0:1], v0, v[8:9]
	v_sub_nc_u32_e32 v1, 29, v2
	v_and_b32_e32 v0, 7, v0
; %bb.48:                               ;   in Loop: Header=BB329_11 Depth=1
	s_or_b32 exec_lo, exec_lo, s23
	v_lshlrev_b32_e32 v2, 8, v31
	v_lshl_add_u32 v1, v1, 10, 0x2000
	v_lshlrev_b32_e32 v0, 7, v0
	v_and_b32_e32 v2, 0x8000, v2
	v_and_b32_e32 v1, 0xfc00, v1
	v_or3_b32 v0, v2, v1, v0
	buffer_store_dword v0, off, s[0:3], s32 offset:220 ; 4-byte Folded Spill
.LBB329_49:                             ;   in Loop: Header=BB329_11 Depth=1
	s_or_b32 exec_lo, exec_lo, s22
.LBB329_50:                             ;   in Loop: Header=BB329_11 Depth=1
	s_or_b32 exec_lo, exec_lo, s21
.LBB329_51:                             ;   in Loop: Header=BB329_11 Depth=1
	s_or_b32 exec_lo, exec_lo, s20
	v_mov_b32_e32 v0, 0
	v_lshrrev_b16 v8, 8, v8
	s_mov_b32 s20, exec_lo
	buffer_store_dword v0, off, s[0:3], s32 offset:228 ; 4-byte Folded Spill
	v_mov_b32_e32 v0, 0
	buffer_store_dword v0, off, s[0:3], s32 offset:232 ; 4-byte Folded Spill
	v_cmpx_ne_u16_e32 0, v8
	s_cbranch_execz .LBB329_59
; %bb.52:                               ;   in Loop: Header=BB329_11 Depth=1
	v_bfrev_b32_e32 v0, 1
	s_mov_b32 s21, exec_lo
	buffer_store_dword v0, off, s[0:3], s32 offset:232 ; 4-byte Folded Spill
	v_cmpx_ne_u16_e32 0x80, v8
	s_cbranch_execz .LBB329_58
; %bb.53:                               ;   in Loop: Header=BB329_11 Depth=1
	v_mov_b32_e32 v0, 0x7f
	s_mov_b32 s22, exec_lo
	v_and_b32_sdwa v2, v8, v0 dst_sel:DWORD dst_unused:UNUSED_PAD src0_sel:WORD_0 src1_sel:DWORD
	v_mov_b32_e32 v0, 0x7c010000
	buffer_store_dword v0, off, s[0:3], s32 offset:232 ; 4-byte Folded Spill
	v_cmpx_ne_u32_e32 0x7f, v2
	s_cbranch_execz .LBB329_57
; %bb.54:                               ;   in Loop: Header=BB329_11 Depth=1
	v_mov_b32_e32 v0, 7
	v_lshrrev_b32_e32 v1, 3, v2
	s_mov_b32 s23, exec_lo
	v_and_b32_sdwa v0, v8, v0 dst_sel:DWORD dst_unused:UNUSED_PAD src0_sel:WORD_0 src1_sel:DWORD
	v_cmpx_gt_u32_e32 8, v2
; %bb.55:                               ;   in Loop: Header=BB329_11 Depth=1
	v_ffbh_u32_e32 v0, v0
	v_min_u32_e32 v2, 32, v0
	v_subrev_nc_u32_e32 v0, 28, v2
	v_lshlrev_b64 v[0:1], v0, v[8:9]
	v_sub_nc_u32_e32 v1, 29, v2
	v_and_b32_e32 v0, 7, v0
; %bb.56:                               ;   in Loop: Header=BB329_11 Depth=1
	s_or_b32 exec_lo, exec_lo, s23
	v_mov_b32_e32 v2, 8
	v_lshl_add_u32 v1, v1, 10, 0x2000
	v_lshlrev_b32_e32 v0, 23, v0
	v_lshlrev_b32_sdwa v2, v2, v8 dst_sel:DWORD dst_unused:UNUSED_PAD src0_sel:DWORD src1_sel:WORD_0
	v_and_or_b32 v1, 0x8000, v2, v1
	v_lshl_or_b32 v0, v1, 16, v0
	buffer_store_dword v0, off, s[0:3], s32 offset:232 ; 4-byte Folded Spill
.LBB329_57:                             ;   in Loop: Header=BB329_11 Depth=1
	s_or_b32 exec_lo, exec_lo, s22
.LBB329_58:                             ;   in Loop: Header=BB329_11 Depth=1
	s_or_b32 exec_lo, exec_lo, s21
.LBB329_59:                             ;   in Loop: Header=BB329_11 Depth=1
	s_or_b32 exec_lo, exec_lo, s20
	v_lshrrev_b32_e32 v8, 16, v31
	v_cmp_ne_u16_sdwa s5, v8, v9 src0_sel:BYTE_0 src1_sel:DWORD
	s_and_saveexec_b32 s20, s5
	s_cbranch_execz .LBB329_67
; %bb.60:                               ;   in Loop: Header=BB329_11 Depth=1
	v_cmp_ne_u16_sdwa s5, v8, v124 src0_sel:BYTE_0 src1_sel:DWORD
	v_mov_b32_e32 v0, 0x8000
	buffer_store_dword v0, off, s[0:3], s32 offset:228 ; 4-byte Folded Spill
	s_and_saveexec_b32 s21, s5
	s_cbranch_execz .LBB329_66
; %bb.61:                               ;   in Loop: Header=BB329_11 Depth=1
	v_bfe_u32 v2, v31, 16, 7
	v_mov_b32_e32 v0, 0x7c01
	s_mov_b32 s22, exec_lo
	buffer_store_dword v0, off, s[0:3], s32 offset:228 ; 4-byte Folded Spill
	v_cmpx_ne_u32_e32 0x7f, v2
	s_cbranch_execz .LBB329_65
; %bb.62:                               ;   in Loop: Header=BB329_11 Depth=1
	v_and_b32_e32 v0, 7, v8
	v_lshrrev_b32_e32 v1, 3, v2
	s_mov_b32 s23, exec_lo
	v_cmpx_gt_u32_e32 8, v2
; %bb.63:                               ;   in Loop: Header=BB329_11 Depth=1
	v_ffbh_u32_e32 v0, v0
	v_min_u32_e32 v2, 32, v0
	v_subrev_nc_u32_e32 v0, 28, v2
	v_lshlrev_b64 v[0:1], v0, v[8:9]
	v_sub_nc_u32_e32 v1, 29, v2
	v_and_b32_e32 v0, 7, v0
; %bb.64:                               ;   in Loop: Header=BB329_11 Depth=1
	s_or_b32 exec_lo, exec_lo, s23
	v_lshlrev_b32_e32 v2, 8, v8
	v_lshl_add_u32 v1, v1, 10, 0x2000
	v_lshlrev_b32_e32 v0, 7, v0
	v_and_b32_e32 v2, 0x8000, v2
	v_and_b32_e32 v1, 0xfc00, v1
	v_or3_b32 v0, v2, v1, v0
	buffer_store_dword v0, off, s[0:3], s32 offset:228 ; 4-byte Folded Spill
.LBB329_65:                             ;   in Loop: Header=BB329_11 Depth=1
	s_or_b32 exec_lo, exec_lo, s22
.LBB329_66:                             ;   in Loop: Header=BB329_11 Depth=1
	s_or_b32 exec_lo, exec_lo, s21
.LBB329_67:                             ;   in Loop: Header=BB329_11 Depth=1
	s_or_b32 exec_lo, exec_lo, s20
	v_mov_b32_e32 v0, 0
	s_mov_b32 s20, exec_lo
	buffer_store_dword v0, off, s[0:3], s32 offset:236 ; 4-byte Folded Spill
	v_mov_b32_e32 v0, 0
	buffer_store_dword v0, off, s[0:3], s32 offset:728 ; 4-byte Folded Spill
	v_cmpx_lt_u64_e64 s[6:7], v[30:31]
	s_cbranch_execz .LBB329_75
; %bb.68:                               ;   in Loop: Header=BB329_11 Depth=1
	v_lshrrev_b32_e32 v8, 24, v31
	v_bfrev_b32_e32 v0, 1
	s_mov_b32 s21, exec_lo
	v_cmpx_ne_u32_e32 0x80, v8
	s_cbranch_execz .LBB329_74
; %bb.69:                               ;   in Loop: Header=BB329_11 Depth=1
	v_and_b32_e32 v2, 0x7f, v8
	v_mov_b32_e32 v0, 0x7c010000
	s_mov_b32 s22, exec_lo
	v_cmpx_ne_u32_e32 0x7f, v2
	s_cbranch_execz .LBB329_73
; %bb.70:                               ;   in Loop: Header=BB329_11 Depth=1
	v_and_b32_e32 v0, 7, v8
	v_lshrrev_b32_e32 v1, 3, v2
	s_mov_b32 s23, exec_lo
	v_cmpx_gt_u32_e32 8, v2
; %bb.71:                               ;   in Loop: Header=BB329_11 Depth=1
	v_ffbh_u32_e32 v0, v0
	v_min_u32_e32 v2, 32, v0
	v_subrev_nc_u32_e32 v0, 28, v2
	v_lshlrev_b64 v[0:1], v0, v[8:9]
	v_sub_nc_u32_e32 v1, 29, v2
	v_and_b32_e32 v0, 7, v0
; %bb.72:                               ;   in Loop: Header=BB329_11 Depth=1
	s_or_b32 exec_lo, exec_lo, s23
	v_lshlrev_b32_e32 v2, 8, v8
	v_lshl_add_u32 v1, v1, 10, 0x2000
	v_lshlrev_b32_e32 v0, 23, v0
	v_and_or_b32 v1, 0x8000, v2, v1
	v_lshl_or_b32 v0, v1, 16, v0
.LBB329_73:                             ;   in Loop: Header=BB329_11 Depth=1
	s_or_b32 exec_lo, exec_lo, s22
.LBB329_74:                             ;   in Loop: Header=BB329_11 Depth=1
	s_or_b32 exec_lo, exec_lo, s21
	buffer_store_dword v0, off, s[0:3], s32 offset:728 ; 4-byte Folded Spill
.LBB329_75:                             ;   in Loop: Header=BB329_11 Depth=1
	s_or_b32 exec_lo, exec_lo, s20
	flat_load_dwordx2 v[30:31], v[28:29] offset:8
	s_waitcnt vmcnt(0) lgkmcnt(0)
	v_cmp_ne_u16_sdwa s5, v30, v9 src0_sel:BYTE_0 src1_sel:DWORD
	s_and_saveexec_b32 s20, s5
	s_cbranch_execz .LBB329_83
; %bb.76:                               ;   in Loop: Header=BB329_11 Depth=1
	v_cmp_ne_u16_sdwa s5, v30, v124 src0_sel:BYTE_0 src1_sel:DWORD
	v_mov_b32_e32 v0, 0x8000
	buffer_store_dword v0, off, s[0:3], s32 offset:236 ; 4-byte Folded Spill
	s_and_saveexec_b32 s21, s5
	s_cbranch_execz .LBB329_82
; %bb.77:                               ;   in Loop: Header=BB329_11 Depth=1
	v_and_b32_e32 v2, 0x7f, v30
	v_mov_b32_e32 v0, 0x7c01
	s_mov_b32 s22, exec_lo
	buffer_store_dword v0, off, s[0:3], s32 offset:236 ; 4-byte Folded Spill
	v_cmpx_ne_u32_e32 0x7f, v2
	s_cbranch_execz .LBB329_81
; %bb.78:                               ;   in Loop: Header=BB329_11 Depth=1
	v_and_b32_e32 v0, 7, v30
	v_lshrrev_b32_e32 v1, 3, v2
	s_mov_b32 s23, exec_lo
	v_cmpx_gt_u32_e32 8, v2
; %bb.79:                               ;   in Loop: Header=BB329_11 Depth=1
	v_ffbh_u32_e32 v0, v0
	v_min_u32_e32 v2, 32, v0
	v_subrev_nc_u32_e32 v0, 28, v2
	v_lshlrev_b64 v[0:1], v0, v[30:31]
	v_sub_nc_u32_e32 v1, 29, v2
	v_and_b32_e32 v0, 7, v0
; %bb.80:                               ;   in Loop: Header=BB329_11 Depth=1
	s_or_b32 exec_lo, exec_lo, s23
	v_lshlrev_b32_e32 v2, 8, v30
	v_lshl_add_u32 v1, v1, 10, 0x2000
	v_lshlrev_b32_e32 v0, 7, v0
	v_and_b32_e32 v2, 0x8000, v2
	v_and_b32_e32 v1, 0xfc00, v1
	v_or3_b32 v0, v2, v1, v0
	buffer_store_dword v0, off, s[0:3], s32 offset:236 ; 4-byte Folded Spill
.LBB329_81:                             ;   in Loop: Header=BB329_11 Depth=1
	s_or_b32 exec_lo, exec_lo, s22
.LBB329_82:                             ;   in Loop: Header=BB329_11 Depth=1
	s_or_b32 exec_lo, exec_lo, s21
.LBB329_83:                             ;   in Loop: Header=BB329_11 Depth=1
	s_or_b32 exec_lo, exec_lo, s20
	v_mov_b32_e32 v0, 0
	v_lshrrev_b16 v8, 8, v30
	s_mov_b32 s20, exec_lo
	buffer_store_dword v0, off, s[0:3], s32 offset:244 ; 4-byte Folded Spill
	v_mov_b32_e32 v0, 0
	buffer_store_dword v0, off, s[0:3], s32 offset:240 ; 4-byte Folded Spill
	v_cmpx_ne_u16_e32 0, v8
	s_cbranch_execz .LBB329_91
; %bb.84:                               ;   in Loop: Header=BB329_11 Depth=1
	v_bfrev_b32_e32 v0, 1
	s_mov_b32 s21, exec_lo
	buffer_store_dword v0, off, s[0:3], s32 offset:240 ; 4-byte Folded Spill
	v_cmpx_ne_u16_e32 0x80, v8
	s_cbranch_execz .LBB329_90
; %bb.85:                               ;   in Loop: Header=BB329_11 Depth=1
	v_mov_b32_e32 v0, 0x7f
	s_mov_b32 s22, exec_lo
	v_and_b32_sdwa v2, v8, v0 dst_sel:DWORD dst_unused:UNUSED_PAD src0_sel:WORD_0 src1_sel:DWORD
	v_mov_b32_e32 v0, 0x7c010000
	buffer_store_dword v0, off, s[0:3], s32 offset:240 ; 4-byte Folded Spill
	v_cmpx_ne_u32_e32 0x7f, v2
	s_cbranch_execz .LBB329_89
; %bb.86:                               ;   in Loop: Header=BB329_11 Depth=1
	v_mov_b32_e32 v0, 7
	v_lshrrev_b32_e32 v1, 3, v2
	s_mov_b32 s23, exec_lo
	v_and_b32_sdwa v0, v8, v0 dst_sel:DWORD dst_unused:UNUSED_PAD src0_sel:WORD_0 src1_sel:DWORD
	v_cmpx_gt_u32_e32 8, v2
; %bb.87:                               ;   in Loop: Header=BB329_11 Depth=1
	v_ffbh_u32_e32 v0, v0
	v_min_u32_e32 v2, 32, v0
	v_subrev_nc_u32_e32 v0, 28, v2
	v_lshlrev_b64 v[0:1], v0, v[8:9]
	v_sub_nc_u32_e32 v1, 29, v2
	v_and_b32_e32 v0, 7, v0
; %bb.88:                               ;   in Loop: Header=BB329_11 Depth=1
	s_or_b32 exec_lo, exec_lo, s23
	v_mov_b32_e32 v2, 8
	v_lshl_add_u32 v1, v1, 10, 0x2000
	v_lshlrev_b32_e32 v0, 23, v0
	v_lshlrev_b32_sdwa v2, v2, v8 dst_sel:DWORD dst_unused:UNUSED_PAD src0_sel:DWORD src1_sel:WORD_0
	v_and_or_b32 v1, 0x8000, v2, v1
	v_lshl_or_b32 v0, v1, 16, v0
	buffer_store_dword v0, off, s[0:3], s32 offset:240 ; 4-byte Folded Spill
.LBB329_89:                             ;   in Loop: Header=BB329_11 Depth=1
	s_or_b32 exec_lo, exec_lo, s22
.LBB329_90:                             ;   in Loop: Header=BB329_11 Depth=1
	s_or_b32 exec_lo, exec_lo, s21
.LBB329_91:                             ;   in Loop: Header=BB329_11 Depth=1
	s_or_b32 exec_lo, exec_lo, s20
	v_lshrrev_b32_e32 v8, 16, v30
	v_cmp_ne_u16_sdwa s5, v8, v9 src0_sel:BYTE_0 src1_sel:DWORD
	s_and_saveexec_b32 s20, s5
	s_cbranch_execz .LBB329_99
; %bb.92:                               ;   in Loop: Header=BB329_11 Depth=1
	v_cmp_ne_u16_sdwa s5, v8, v124 src0_sel:BYTE_0 src1_sel:DWORD
	v_mov_b32_e32 v0, 0x8000
	buffer_store_dword v0, off, s[0:3], s32 offset:244 ; 4-byte Folded Spill
	s_and_saveexec_b32 s21, s5
	s_cbranch_execz .LBB329_98
; %bb.93:                               ;   in Loop: Header=BB329_11 Depth=1
	v_bfe_u32 v2, v30, 16, 7
	v_mov_b32_e32 v0, 0x7c01
	s_mov_b32 s22, exec_lo
	buffer_store_dword v0, off, s[0:3], s32 offset:244 ; 4-byte Folded Spill
	v_cmpx_ne_u32_e32 0x7f, v2
	s_cbranch_execz .LBB329_97
; %bb.94:                               ;   in Loop: Header=BB329_11 Depth=1
	v_and_b32_e32 v0, 7, v8
	v_lshrrev_b32_e32 v1, 3, v2
	s_mov_b32 s23, exec_lo
	v_cmpx_gt_u32_e32 8, v2
; %bb.95:                               ;   in Loop: Header=BB329_11 Depth=1
	v_ffbh_u32_e32 v0, v0
	v_min_u32_e32 v2, 32, v0
	v_subrev_nc_u32_e32 v0, 28, v2
	v_lshlrev_b64 v[0:1], v0, v[8:9]
	v_sub_nc_u32_e32 v1, 29, v2
	v_and_b32_e32 v0, 7, v0
; %bb.96:                               ;   in Loop: Header=BB329_11 Depth=1
	s_or_b32 exec_lo, exec_lo, s23
	v_lshlrev_b32_e32 v2, 8, v8
	v_lshl_add_u32 v1, v1, 10, 0x2000
	v_lshlrev_b32_e32 v0, 7, v0
	v_and_b32_e32 v2, 0x8000, v2
	v_and_b32_e32 v1, 0xfc00, v1
	v_or3_b32 v0, v2, v1, v0
	buffer_store_dword v0, off, s[0:3], s32 offset:244 ; 4-byte Folded Spill
.LBB329_97:                             ;   in Loop: Header=BB329_11 Depth=1
	s_or_b32 exec_lo, exec_lo, s22
.LBB329_98:                             ;   in Loop: Header=BB329_11 Depth=1
	s_or_b32 exec_lo, exec_lo, s21
.LBB329_99:                             ;   in Loop: Header=BB329_11 Depth=1
	s_or_b32 exec_lo, exec_lo, s20
	v_mov_b32_e32 v0, 0
	s_mov_b32 s20, exec_lo
	buffer_store_dword v0, off, s[0:3], s32 offset:248 ; 4-byte Folded Spill
	v_mov_b32_e32 v0, 0
	buffer_store_dword v0, off, s[0:3], s32 offset:252 ; 4-byte Folded Spill
	v_cmpx_lt_u32_e32 0xffffff, v30
	s_cbranch_execz .LBB329_107
; %bb.100:                              ;   in Loop: Header=BB329_11 Depth=1
	v_lshrrev_b32_e32 v8, 24, v30
	v_bfrev_b32_e32 v0, 1
	s_mov_b32 s21, exec_lo
	buffer_store_dword v0, off, s[0:3], s32 offset:252 ; 4-byte Folded Spill
	v_cmpx_ne_u32_e32 0x80, v8
	s_cbranch_execz .LBB329_106
; %bb.101:                              ;   in Loop: Header=BB329_11 Depth=1
	v_and_b32_e32 v2, 0x7f, v8
	v_mov_b32_e32 v0, 0x7c010000
	s_mov_b32 s22, exec_lo
	buffer_store_dword v0, off, s[0:3], s32 offset:252 ; 4-byte Folded Spill
	v_cmpx_ne_u32_e32 0x7f, v2
	s_cbranch_execz .LBB329_105
; %bb.102:                              ;   in Loop: Header=BB329_11 Depth=1
	v_and_b32_e32 v0, 7, v8
	v_lshrrev_b32_e32 v1, 3, v2
	s_mov_b32 s23, exec_lo
	v_cmpx_gt_u32_e32 8, v2
; %bb.103:                              ;   in Loop: Header=BB329_11 Depth=1
	v_ffbh_u32_e32 v0, v0
	v_min_u32_e32 v2, 32, v0
	v_subrev_nc_u32_e32 v0, 28, v2
	v_lshlrev_b64 v[0:1], v0, v[8:9]
	v_sub_nc_u32_e32 v1, 29, v2
	v_and_b32_e32 v0, 7, v0
; %bb.104:                              ;   in Loop: Header=BB329_11 Depth=1
	s_or_b32 exec_lo, exec_lo, s23
	v_lshlrev_b32_e32 v2, 8, v8
	v_lshl_add_u32 v1, v1, 10, 0x2000
	v_lshlrev_b32_e32 v0, 23, v0
	v_and_or_b32 v1, 0x8000, v2, v1
	v_lshl_or_b32 v0, v1, 16, v0
	buffer_store_dword v0, off, s[0:3], s32 offset:252 ; 4-byte Folded Spill
.LBB329_105:                            ;   in Loop: Header=BB329_11 Depth=1
	s_or_b32 exec_lo, exec_lo, s22
.LBB329_106:                            ;   in Loop: Header=BB329_11 Depth=1
	s_or_b32 exec_lo, exec_lo, s21
.LBB329_107:                            ;   in Loop: Header=BB329_11 Depth=1
	s_or_b32 exec_lo, exec_lo, s20
	v_mov_b32_e32 v8, v31
	v_cmp_ne_u16_sdwa s5, v31, v9 src0_sel:BYTE_0 src1_sel:DWORD
	s_and_saveexec_b32 s20, s5
	s_cbranch_execz .LBB329_115
; %bb.108:                              ;   in Loop: Header=BB329_11 Depth=1
	v_cmp_ne_u16_sdwa s5, v31, v124 src0_sel:BYTE_0 src1_sel:DWORD
	v_mov_b32_e32 v0, 0x8000
	buffer_store_dword v0, off, s[0:3], s32 offset:248 ; 4-byte Folded Spill
	s_and_saveexec_b32 s21, s5
	s_cbranch_execz .LBB329_114
; %bb.109:                              ;   in Loop: Header=BB329_11 Depth=1
	v_and_b32_e32 v2, 0x7f, v31
	v_mov_b32_e32 v0, 0x7c01
	s_mov_b32 s22, exec_lo
	buffer_store_dword v0, off, s[0:3], s32 offset:248 ; 4-byte Folded Spill
	v_cmpx_ne_u32_e32 0x7f, v2
	s_cbranch_execz .LBB329_113
; %bb.110:                              ;   in Loop: Header=BB329_11 Depth=1
	v_and_b32_e32 v0, 7, v31
	v_lshrrev_b32_e32 v1, 3, v2
	s_mov_b32 s23, exec_lo
	v_cmpx_gt_u32_e32 8, v2
; %bb.111:                              ;   in Loop: Header=BB329_11 Depth=1
	v_ffbh_u32_e32 v0, v0
	v_min_u32_e32 v2, 32, v0
	v_subrev_nc_u32_e32 v0, 28, v2
	v_lshlrev_b64 v[0:1], v0, v[8:9]
	v_sub_nc_u32_e32 v1, 29, v2
	v_and_b32_e32 v0, 7, v0
; %bb.112:                              ;   in Loop: Header=BB329_11 Depth=1
	s_or_b32 exec_lo, exec_lo, s23
	v_lshlrev_b32_e32 v2, 8, v31
	v_lshl_add_u32 v1, v1, 10, 0x2000
	v_lshlrev_b32_e32 v0, 7, v0
	v_and_b32_e32 v2, 0x8000, v2
	v_and_b32_e32 v1, 0xfc00, v1
	v_or3_b32 v0, v2, v1, v0
	buffer_store_dword v0, off, s[0:3], s32 offset:248 ; 4-byte Folded Spill
.LBB329_113:                            ;   in Loop: Header=BB329_11 Depth=1
	s_or_b32 exec_lo, exec_lo, s22
.LBB329_114:                            ;   in Loop: Header=BB329_11 Depth=1
	s_or_b32 exec_lo, exec_lo, s21
.LBB329_115:                            ;   in Loop: Header=BB329_11 Depth=1
	s_or_b32 exec_lo, exec_lo, s20
	v_mov_b32_e32 v0, 0
	v_lshrrev_b16 v8, 8, v8
	s_mov_b32 s20, exec_lo
	buffer_store_dword v0, off, s[0:3], s32 offset:256 ; 4-byte Folded Spill
	v_mov_b32_e32 v0, 0
	buffer_store_dword v0, off, s[0:3], s32 offset:260 ; 4-byte Folded Spill
	v_cmpx_ne_u16_e32 0, v8
	s_cbranch_execz .LBB329_123
; %bb.116:                              ;   in Loop: Header=BB329_11 Depth=1
	v_bfrev_b32_e32 v0, 1
	s_mov_b32 s21, exec_lo
	buffer_store_dword v0, off, s[0:3], s32 offset:260 ; 4-byte Folded Spill
	v_cmpx_ne_u16_e32 0x80, v8
	s_cbranch_execz .LBB329_122
; %bb.117:                              ;   in Loop: Header=BB329_11 Depth=1
	v_mov_b32_e32 v0, 0x7f
	s_mov_b32 s22, exec_lo
	v_and_b32_sdwa v2, v8, v0 dst_sel:DWORD dst_unused:UNUSED_PAD src0_sel:WORD_0 src1_sel:DWORD
	v_mov_b32_e32 v0, 0x7c010000
	buffer_store_dword v0, off, s[0:3], s32 offset:260 ; 4-byte Folded Spill
	v_cmpx_ne_u32_e32 0x7f, v2
	s_cbranch_execz .LBB329_121
; %bb.118:                              ;   in Loop: Header=BB329_11 Depth=1
	v_mov_b32_e32 v0, 7
	v_lshrrev_b32_e32 v1, 3, v2
	s_mov_b32 s23, exec_lo
	v_and_b32_sdwa v0, v8, v0 dst_sel:DWORD dst_unused:UNUSED_PAD src0_sel:WORD_0 src1_sel:DWORD
	v_cmpx_gt_u32_e32 8, v2
; %bb.119:                              ;   in Loop: Header=BB329_11 Depth=1
	v_ffbh_u32_e32 v0, v0
	v_min_u32_e32 v2, 32, v0
	v_subrev_nc_u32_e32 v0, 28, v2
	v_lshlrev_b64 v[0:1], v0, v[8:9]
	v_sub_nc_u32_e32 v1, 29, v2
	v_and_b32_e32 v0, 7, v0
; %bb.120:                              ;   in Loop: Header=BB329_11 Depth=1
	s_or_b32 exec_lo, exec_lo, s23
	v_mov_b32_e32 v2, 8
	v_lshl_add_u32 v1, v1, 10, 0x2000
	v_lshlrev_b32_e32 v0, 23, v0
	v_lshlrev_b32_sdwa v2, v2, v8 dst_sel:DWORD dst_unused:UNUSED_PAD src0_sel:DWORD src1_sel:WORD_0
	v_and_or_b32 v1, 0x8000, v2, v1
	v_lshl_or_b32 v0, v1, 16, v0
	buffer_store_dword v0, off, s[0:3], s32 offset:260 ; 4-byte Folded Spill
.LBB329_121:                            ;   in Loop: Header=BB329_11 Depth=1
	s_or_b32 exec_lo, exec_lo, s22
.LBB329_122:                            ;   in Loop: Header=BB329_11 Depth=1
	s_or_b32 exec_lo, exec_lo, s21
.LBB329_123:                            ;   in Loop: Header=BB329_11 Depth=1
	s_or_b32 exec_lo, exec_lo, s20
	v_lshrrev_b32_e32 v8, 16, v31
	v_cmp_ne_u16_sdwa s5, v8, v9 src0_sel:BYTE_0 src1_sel:DWORD
	s_and_saveexec_b32 s20, s5
	s_cbranch_execz .LBB329_131
; %bb.124:                              ;   in Loop: Header=BB329_11 Depth=1
	v_cmp_ne_u16_sdwa s5, v8, v124 src0_sel:BYTE_0 src1_sel:DWORD
	v_mov_b32_e32 v0, 0x8000
	buffer_store_dword v0, off, s[0:3], s32 offset:256 ; 4-byte Folded Spill
	s_and_saveexec_b32 s21, s5
	s_cbranch_execz .LBB329_130
; %bb.125:                              ;   in Loop: Header=BB329_11 Depth=1
	v_bfe_u32 v2, v31, 16, 7
	v_mov_b32_e32 v0, 0x7c01
	s_mov_b32 s22, exec_lo
	buffer_store_dword v0, off, s[0:3], s32 offset:256 ; 4-byte Folded Spill
	v_cmpx_ne_u32_e32 0x7f, v2
	s_cbranch_execz .LBB329_129
; %bb.126:                              ;   in Loop: Header=BB329_11 Depth=1
	v_and_b32_e32 v0, 7, v8
	v_lshrrev_b32_e32 v1, 3, v2
	s_mov_b32 s23, exec_lo
	v_cmpx_gt_u32_e32 8, v2
; %bb.127:                              ;   in Loop: Header=BB329_11 Depth=1
	v_ffbh_u32_e32 v0, v0
	v_min_u32_e32 v2, 32, v0
	v_subrev_nc_u32_e32 v0, 28, v2
	v_lshlrev_b64 v[0:1], v0, v[8:9]
	v_sub_nc_u32_e32 v1, 29, v2
	v_and_b32_e32 v0, 7, v0
; %bb.128:                              ;   in Loop: Header=BB329_11 Depth=1
	s_or_b32 exec_lo, exec_lo, s23
	v_lshlrev_b32_e32 v2, 8, v8
	v_lshl_add_u32 v1, v1, 10, 0x2000
	v_lshlrev_b32_e32 v0, 7, v0
	v_and_b32_e32 v2, 0x8000, v2
	v_and_b32_e32 v1, 0xfc00, v1
	v_or3_b32 v0, v2, v1, v0
	buffer_store_dword v0, off, s[0:3], s32 offset:256 ; 4-byte Folded Spill
.LBB329_129:                            ;   in Loop: Header=BB329_11 Depth=1
	s_or_b32 exec_lo, exec_lo, s22
.LBB329_130:                            ;   in Loop: Header=BB329_11 Depth=1
	s_or_b32 exec_lo, exec_lo, s21
.LBB329_131:                            ;   in Loop: Header=BB329_11 Depth=1
	s_or_b32 exec_lo, exec_lo, s20
	v_mov_b32_e32 v0, 0
	s_mov_b32 s20, exec_lo
	buffer_store_dword v0, off, s[0:3], s32 offset:264 ; 4-byte Folded Spill
	v_mov_b32_e32 v0, 0
	buffer_store_dword v0, off, s[0:3], s32 offset:732 ; 4-byte Folded Spill
	v_cmpx_lt_u64_e64 s[6:7], v[30:31]
	s_cbranch_execz .LBB329_139
; %bb.132:                              ;   in Loop: Header=BB329_11 Depth=1
	v_lshrrev_b32_e32 v8, 24, v31
	v_bfrev_b32_e32 v0, 1
	s_mov_b32 s21, exec_lo
	v_cmpx_ne_u32_e32 0x80, v8
	s_cbranch_execz .LBB329_138
; %bb.133:                              ;   in Loop: Header=BB329_11 Depth=1
	v_and_b32_e32 v2, 0x7f, v8
	v_mov_b32_e32 v0, 0x7c010000
	s_mov_b32 s22, exec_lo
	v_cmpx_ne_u32_e32 0x7f, v2
	s_cbranch_execz .LBB329_137
; %bb.134:                              ;   in Loop: Header=BB329_11 Depth=1
	v_and_b32_e32 v0, 7, v8
	v_lshrrev_b32_e32 v1, 3, v2
	s_mov_b32 s23, exec_lo
	v_cmpx_gt_u32_e32 8, v2
; %bb.135:                              ;   in Loop: Header=BB329_11 Depth=1
	v_ffbh_u32_e32 v0, v0
	v_min_u32_e32 v2, 32, v0
	v_subrev_nc_u32_e32 v0, 28, v2
	v_lshlrev_b64 v[0:1], v0, v[8:9]
	v_sub_nc_u32_e32 v1, 29, v2
	v_and_b32_e32 v0, 7, v0
; %bb.136:                              ;   in Loop: Header=BB329_11 Depth=1
	s_or_b32 exec_lo, exec_lo, s23
	v_lshlrev_b32_e32 v2, 8, v8
	v_lshl_add_u32 v1, v1, 10, 0x2000
	v_lshlrev_b32_e32 v0, 23, v0
	v_and_or_b32 v1, 0x8000, v2, v1
	v_lshl_or_b32 v0, v1, 16, v0
.LBB329_137:                            ;   in Loop: Header=BB329_11 Depth=1
	s_or_b32 exec_lo, exec_lo, s22
.LBB329_138:                            ;   in Loop: Header=BB329_11 Depth=1
	s_or_b32 exec_lo, exec_lo, s21
	buffer_store_dword v0, off, s[0:3], s32 offset:732 ; 4-byte Folded Spill
.LBB329_139:                            ;   in Loop: Header=BB329_11 Depth=1
	s_or_b32 exec_lo, exec_lo, s20
	flat_load_dwordx2 v[30:31], v[28:29] offset:512
	s_waitcnt vmcnt(0) lgkmcnt(0)
	v_cmp_ne_u16_sdwa s5, v30, v9 src0_sel:BYTE_0 src1_sel:DWORD
	s_and_saveexec_b32 s20, s5
	s_cbranch_execz .LBB329_147
; %bb.140:                              ;   in Loop: Header=BB329_11 Depth=1
	v_cmp_ne_u16_sdwa s5, v30, v124 src0_sel:BYTE_0 src1_sel:DWORD
	v_mov_b32_e32 v0, 0x8000
	buffer_store_dword v0, off, s[0:3], s32 offset:264 ; 4-byte Folded Spill
	s_and_saveexec_b32 s21, s5
	s_cbranch_execz .LBB329_146
; %bb.141:                              ;   in Loop: Header=BB329_11 Depth=1
	v_and_b32_e32 v2, 0x7f, v30
	v_mov_b32_e32 v0, 0x7c01
	s_mov_b32 s22, exec_lo
	buffer_store_dword v0, off, s[0:3], s32 offset:264 ; 4-byte Folded Spill
	v_cmpx_ne_u32_e32 0x7f, v2
	s_cbranch_execz .LBB329_145
; %bb.142:                              ;   in Loop: Header=BB329_11 Depth=1
	v_and_b32_e32 v0, 7, v30
	v_lshrrev_b32_e32 v1, 3, v2
	s_mov_b32 s23, exec_lo
	v_cmpx_gt_u32_e32 8, v2
; %bb.143:                              ;   in Loop: Header=BB329_11 Depth=1
	v_ffbh_u32_e32 v0, v0
	v_min_u32_e32 v2, 32, v0
	v_subrev_nc_u32_e32 v0, 28, v2
	v_lshlrev_b64 v[0:1], v0, v[30:31]
	v_sub_nc_u32_e32 v1, 29, v2
	v_and_b32_e32 v0, 7, v0
; %bb.144:                              ;   in Loop: Header=BB329_11 Depth=1
	s_or_b32 exec_lo, exec_lo, s23
	v_lshlrev_b32_e32 v2, 8, v30
	v_lshl_add_u32 v1, v1, 10, 0x2000
	v_lshlrev_b32_e32 v0, 7, v0
	v_and_b32_e32 v2, 0x8000, v2
	v_and_b32_e32 v1, 0xfc00, v1
	v_or3_b32 v0, v2, v1, v0
	buffer_store_dword v0, off, s[0:3], s32 offset:264 ; 4-byte Folded Spill
.LBB329_145:                            ;   in Loop: Header=BB329_11 Depth=1
	s_or_b32 exec_lo, exec_lo, s22
.LBB329_146:                            ;   in Loop: Header=BB329_11 Depth=1
	s_or_b32 exec_lo, exec_lo, s21
.LBB329_147:                            ;   in Loop: Header=BB329_11 Depth=1
	s_or_b32 exec_lo, exec_lo, s20
	v_mov_b32_e32 v0, 0
	v_lshrrev_b16 v8, 8, v30
	s_mov_b32 s20, exec_lo
	buffer_store_dword v0, off, s[0:3], s32 offset:272 ; 4-byte Folded Spill
	v_mov_b32_e32 v0, 0
	buffer_store_dword v0, off, s[0:3], s32 offset:268 ; 4-byte Folded Spill
	v_cmpx_ne_u16_e32 0, v8
	s_cbranch_execz .LBB329_155
; %bb.148:                              ;   in Loop: Header=BB329_11 Depth=1
	v_bfrev_b32_e32 v0, 1
	s_mov_b32 s21, exec_lo
	buffer_store_dword v0, off, s[0:3], s32 offset:268 ; 4-byte Folded Spill
	v_cmpx_ne_u16_e32 0x80, v8
	s_cbranch_execz .LBB329_154
; %bb.149:                              ;   in Loop: Header=BB329_11 Depth=1
	v_mov_b32_e32 v0, 0x7f
	s_mov_b32 s22, exec_lo
	v_and_b32_sdwa v2, v8, v0 dst_sel:DWORD dst_unused:UNUSED_PAD src0_sel:WORD_0 src1_sel:DWORD
	v_mov_b32_e32 v0, 0x7c010000
	buffer_store_dword v0, off, s[0:3], s32 offset:268 ; 4-byte Folded Spill
	v_cmpx_ne_u32_e32 0x7f, v2
	s_cbranch_execz .LBB329_153
; %bb.150:                              ;   in Loop: Header=BB329_11 Depth=1
	v_mov_b32_e32 v0, 7
	v_lshrrev_b32_e32 v1, 3, v2
	s_mov_b32 s23, exec_lo
	v_and_b32_sdwa v0, v8, v0 dst_sel:DWORD dst_unused:UNUSED_PAD src0_sel:WORD_0 src1_sel:DWORD
	v_cmpx_gt_u32_e32 8, v2
; %bb.151:                              ;   in Loop: Header=BB329_11 Depth=1
	v_ffbh_u32_e32 v0, v0
	v_min_u32_e32 v2, 32, v0
	v_subrev_nc_u32_e32 v0, 28, v2
	v_lshlrev_b64 v[0:1], v0, v[8:9]
	v_sub_nc_u32_e32 v1, 29, v2
	v_and_b32_e32 v0, 7, v0
; %bb.152:                              ;   in Loop: Header=BB329_11 Depth=1
	s_or_b32 exec_lo, exec_lo, s23
	v_mov_b32_e32 v2, 8
	v_lshl_add_u32 v1, v1, 10, 0x2000
	v_lshlrev_b32_e32 v0, 23, v0
	v_lshlrev_b32_sdwa v2, v2, v8 dst_sel:DWORD dst_unused:UNUSED_PAD src0_sel:DWORD src1_sel:WORD_0
	v_and_or_b32 v1, 0x8000, v2, v1
	v_lshl_or_b32 v0, v1, 16, v0
	buffer_store_dword v0, off, s[0:3], s32 offset:268 ; 4-byte Folded Spill
.LBB329_153:                            ;   in Loop: Header=BB329_11 Depth=1
	s_or_b32 exec_lo, exec_lo, s22
.LBB329_154:                            ;   in Loop: Header=BB329_11 Depth=1
	s_or_b32 exec_lo, exec_lo, s21
.LBB329_155:                            ;   in Loop: Header=BB329_11 Depth=1
	s_or_b32 exec_lo, exec_lo, s20
	v_lshrrev_b32_e32 v8, 16, v30
	v_cmp_ne_u16_sdwa s5, v8, v9 src0_sel:BYTE_0 src1_sel:DWORD
	s_and_saveexec_b32 s20, s5
	s_cbranch_execz .LBB329_163
; %bb.156:                              ;   in Loop: Header=BB329_11 Depth=1
	v_cmp_ne_u16_sdwa s5, v8, v124 src0_sel:BYTE_0 src1_sel:DWORD
	v_mov_b32_e32 v0, 0x8000
	buffer_store_dword v0, off, s[0:3], s32 offset:272 ; 4-byte Folded Spill
	s_and_saveexec_b32 s21, s5
	s_cbranch_execz .LBB329_162
; %bb.157:                              ;   in Loop: Header=BB329_11 Depth=1
	v_bfe_u32 v2, v30, 16, 7
	v_mov_b32_e32 v0, 0x7c01
	s_mov_b32 s22, exec_lo
	buffer_store_dword v0, off, s[0:3], s32 offset:272 ; 4-byte Folded Spill
	v_cmpx_ne_u32_e32 0x7f, v2
	s_cbranch_execz .LBB329_161
; %bb.158:                              ;   in Loop: Header=BB329_11 Depth=1
	v_and_b32_e32 v0, 7, v8
	v_lshrrev_b32_e32 v1, 3, v2
	s_mov_b32 s23, exec_lo
	v_cmpx_gt_u32_e32 8, v2
; %bb.159:                              ;   in Loop: Header=BB329_11 Depth=1
	v_ffbh_u32_e32 v0, v0
	v_min_u32_e32 v2, 32, v0
	v_subrev_nc_u32_e32 v0, 28, v2
	v_lshlrev_b64 v[0:1], v0, v[8:9]
	v_sub_nc_u32_e32 v1, 29, v2
	v_and_b32_e32 v0, 7, v0
; %bb.160:                              ;   in Loop: Header=BB329_11 Depth=1
	s_or_b32 exec_lo, exec_lo, s23
	v_lshlrev_b32_e32 v2, 8, v8
	v_lshl_add_u32 v1, v1, 10, 0x2000
	v_lshlrev_b32_e32 v0, 7, v0
	v_and_b32_e32 v2, 0x8000, v2
	v_and_b32_e32 v1, 0xfc00, v1
	v_or3_b32 v0, v2, v1, v0
	buffer_store_dword v0, off, s[0:3], s32 offset:272 ; 4-byte Folded Spill
.LBB329_161:                            ;   in Loop: Header=BB329_11 Depth=1
	s_or_b32 exec_lo, exec_lo, s22
.LBB329_162:                            ;   in Loop: Header=BB329_11 Depth=1
	s_or_b32 exec_lo, exec_lo, s21
.LBB329_163:                            ;   in Loop: Header=BB329_11 Depth=1
	s_or_b32 exec_lo, exec_lo, s20
	v_mov_b32_e32 v0, 0
	s_mov_b32 s20, exec_lo
	buffer_store_dword v0, off, s[0:3], s32 offset:276 ; 4-byte Folded Spill
	v_mov_b32_e32 v0, 0
	buffer_store_dword v0, off, s[0:3], s32 offset:280 ; 4-byte Folded Spill
	v_cmpx_lt_u32_e32 0xffffff, v30
	s_cbranch_execz .LBB329_171
; %bb.164:                              ;   in Loop: Header=BB329_11 Depth=1
	v_lshrrev_b32_e32 v8, 24, v30
	v_bfrev_b32_e32 v0, 1
	s_mov_b32 s21, exec_lo
	buffer_store_dword v0, off, s[0:3], s32 offset:280 ; 4-byte Folded Spill
	v_cmpx_ne_u32_e32 0x80, v8
	s_cbranch_execz .LBB329_170
; %bb.165:                              ;   in Loop: Header=BB329_11 Depth=1
	v_and_b32_e32 v2, 0x7f, v8
	v_mov_b32_e32 v0, 0x7c010000
	s_mov_b32 s22, exec_lo
	buffer_store_dword v0, off, s[0:3], s32 offset:280 ; 4-byte Folded Spill
	v_cmpx_ne_u32_e32 0x7f, v2
	s_cbranch_execz .LBB329_169
; %bb.166:                              ;   in Loop: Header=BB329_11 Depth=1
	v_and_b32_e32 v0, 7, v8
	v_lshrrev_b32_e32 v1, 3, v2
	s_mov_b32 s23, exec_lo
	v_cmpx_gt_u32_e32 8, v2
; %bb.167:                              ;   in Loop: Header=BB329_11 Depth=1
	v_ffbh_u32_e32 v0, v0
	v_min_u32_e32 v2, 32, v0
	v_subrev_nc_u32_e32 v0, 28, v2
	v_lshlrev_b64 v[0:1], v0, v[8:9]
	v_sub_nc_u32_e32 v1, 29, v2
	v_and_b32_e32 v0, 7, v0
; %bb.168:                              ;   in Loop: Header=BB329_11 Depth=1
	s_or_b32 exec_lo, exec_lo, s23
	v_lshlrev_b32_e32 v2, 8, v8
	v_lshl_add_u32 v1, v1, 10, 0x2000
	v_lshlrev_b32_e32 v0, 23, v0
	v_and_or_b32 v1, 0x8000, v2, v1
	v_lshl_or_b32 v0, v1, 16, v0
	buffer_store_dword v0, off, s[0:3], s32 offset:280 ; 4-byte Folded Spill
.LBB329_169:                            ;   in Loop: Header=BB329_11 Depth=1
	s_or_b32 exec_lo, exec_lo, s22
.LBB329_170:                            ;   in Loop: Header=BB329_11 Depth=1
	s_or_b32 exec_lo, exec_lo, s21
.LBB329_171:                            ;   in Loop: Header=BB329_11 Depth=1
	s_or_b32 exec_lo, exec_lo, s20
	v_mov_b32_e32 v8, v31
	v_cmp_ne_u16_sdwa s5, v31, v9 src0_sel:BYTE_0 src1_sel:DWORD
	s_and_saveexec_b32 s20, s5
	s_cbranch_execz .LBB329_179
; %bb.172:                              ;   in Loop: Header=BB329_11 Depth=1
	v_cmp_ne_u16_sdwa s5, v31, v124 src0_sel:BYTE_0 src1_sel:DWORD
	v_mov_b32_e32 v0, 0x8000
	buffer_store_dword v0, off, s[0:3], s32 offset:276 ; 4-byte Folded Spill
	s_and_saveexec_b32 s21, s5
	s_cbranch_execz .LBB329_178
; %bb.173:                              ;   in Loop: Header=BB329_11 Depth=1
	v_and_b32_e32 v2, 0x7f, v31
	v_mov_b32_e32 v0, 0x7c01
	s_mov_b32 s22, exec_lo
	buffer_store_dword v0, off, s[0:3], s32 offset:276 ; 4-byte Folded Spill
	v_cmpx_ne_u32_e32 0x7f, v2
	s_cbranch_execz .LBB329_177
; %bb.174:                              ;   in Loop: Header=BB329_11 Depth=1
	v_and_b32_e32 v0, 7, v31
	v_lshrrev_b32_e32 v1, 3, v2
	s_mov_b32 s23, exec_lo
	v_cmpx_gt_u32_e32 8, v2
; %bb.175:                              ;   in Loop: Header=BB329_11 Depth=1
	v_ffbh_u32_e32 v0, v0
	v_min_u32_e32 v2, 32, v0
	v_subrev_nc_u32_e32 v0, 28, v2
	v_lshlrev_b64 v[0:1], v0, v[8:9]
	v_sub_nc_u32_e32 v1, 29, v2
	v_and_b32_e32 v0, 7, v0
; %bb.176:                              ;   in Loop: Header=BB329_11 Depth=1
	s_or_b32 exec_lo, exec_lo, s23
	v_lshlrev_b32_e32 v2, 8, v31
	v_lshl_add_u32 v1, v1, 10, 0x2000
	v_lshlrev_b32_e32 v0, 7, v0
	v_and_b32_e32 v2, 0x8000, v2
	v_and_b32_e32 v1, 0xfc00, v1
	v_or3_b32 v0, v2, v1, v0
	buffer_store_dword v0, off, s[0:3], s32 offset:276 ; 4-byte Folded Spill
.LBB329_177:                            ;   in Loop: Header=BB329_11 Depth=1
	s_or_b32 exec_lo, exec_lo, s22
.LBB329_178:                            ;   in Loop: Header=BB329_11 Depth=1
	s_or_b32 exec_lo, exec_lo, s21
.LBB329_179:                            ;   in Loop: Header=BB329_11 Depth=1
	s_or_b32 exec_lo, exec_lo, s20
	v_mov_b32_e32 v0, 0
	v_lshrrev_b16 v8, 8, v8
	s_mov_b32 s20, exec_lo
	buffer_store_dword v0, off, s[0:3], s32 offset:284 ; 4-byte Folded Spill
	v_mov_b32_e32 v0, 0
	buffer_store_dword v0, off, s[0:3], s32 offset:288 ; 4-byte Folded Spill
	v_cmpx_ne_u16_e32 0, v8
	s_cbranch_execz .LBB329_187
; %bb.180:                              ;   in Loop: Header=BB329_11 Depth=1
	v_bfrev_b32_e32 v0, 1
	s_mov_b32 s21, exec_lo
	buffer_store_dword v0, off, s[0:3], s32 offset:288 ; 4-byte Folded Spill
	v_cmpx_ne_u16_e32 0x80, v8
	s_cbranch_execz .LBB329_186
; %bb.181:                              ;   in Loop: Header=BB329_11 Depth=1
	v_mov_b32_e32 v0, 0x7f
	s_mov_b32 s22, exec_lo
	v_and_b32_sdwa v2, v8, v0 dst_sel:DWORD dst_unused:UNUSED_PAD src0_sel:WORD_0 src1_sel:DWORD
	v_mov_b32_e32 v0, 0x7c010000
	buffer_store_dword v0, off, s[0:3], s32 offset:288 ; 4-byte Folded Spill
	v_cmpx_ne_u32_e32 0x7f, v2
	s_cbranch_execz .LBB329_185
; %bb.182:                              ;   in Loop: Header=BB329_11 Depth=1
	v_mov_b32_e32 v0, 7
	v_lshrrev_b32_e32 v1, 3, v2
	s_mov_b32 s23, exec_lo
	v_and_b32_sdwa v0, v8, v0 dst_sel:DWORD dst_unused:UNUSED_PAD src0_sel:WORD_0 src1_sel:DWORD
	v_cmpx_gt_u32_e32 8, v2
; %bb.183:                              ;   in Loop: Header=BB329_11 Depth=1
	v_ffbh_u32_e32 v0, v0
	v_min_u32_e32 v2, 32, v0
	v_subrev_nc_u32_e32 v0, 28, v2
	v_lshlrev_b64 v[0:1], v0, v[8:9]
	v_sub_nc_u32_e32 v1, 29, v2
	v_and_b32_e32 v0, 7, v0
; %bb.184:                              ;   in Loop: Header=BB329_11 Depth=1
	s_or_b32 exec_lo, exec_lo, s23
	v_mov_b32_e32 v2, 8
	v_lshl_add_u32 v1, v1, 10, 0x2000
	v_lshlrev_b32_e32 v0, 23, v0
	v_lshlrev_b32_sdwa v2, v2, v8 dst_sel:DWORD dst_unused:UNUSED_PAD src0_sel:DWORD src1_sel:WORD_0
	v_and_or_b32 v1, 0x8000, v2, v1
	v_lshl_or_b32 v0, v1, 16, v0
	buffer_store_dword v0, off, s[0:3], s32 offset:288 ; 4-byte Folded Spill
.LBB329_185:                            ;   in Loop: Header=BB329_11 Depth=1
	s_or_b32 exec_lo, exec_lo, s22
.LBB329_186:                            ;   in Loop: Header=BB329_11 Depth=1
	s_or_b32 exec_lo, exec_lo, s21
.LBB329_187:                            ;   in Loop: Header=BB329_11 Depth=1
	s_or_b32 exec_lo, exec_lo, s20
	v_lshrrev_b32_e32 v8, 16, v31
	v_cmp_ne_u16_sdwa s5, v8, v9 src0_sel:BYTE_0 src1_sel:DWORD
	s_and_saveexec_b32 s20, s5
	s_cbranch_execz .LBB329_195
; %bb.188:                              ;   in Loop: Header=BB329_11 Depth=1
	v_cmp_ne_u16_sdwa s5, v8, v124 src0_sel:BYTE_0 src1_sel:DWORD
	v_mov_b32_e32 v0, 0x8000
	buffer_store_dword v0, off, s[0:3], s32 offset:284 ; 4-byte Folded Spill
	s_and_saveexec_b32 s21, s5
	s_cbranch_execz .LBB329_194
; %bb.189:                              ;   in Loop: Header=BB329_11 Depth=1
	v_bfe_u32 v2, v31, 16, 7
	v_mov_b32_e32 v0, 0x7c01
	s_mov_b32 s22, exec_lo
	buffer_store_dword v0, off, s[0:3], s32 offset:284 ; 4-byte Folded Spill
	v_cmpx_ne_u32_e32 0x7f, v2
	s_cbranch_execz .LBB329_193
; %bb.190:                              ;   in Loop: Header=BB329_11 Depth=1
	v_and_b32_e32 v0, 7, v8
	v_lshrrev_b32_e32 v1, 3, v2
	s_mov_b32 s23, exec_lo
	v_cmpx_gt_u32_e32 8, v2
; %bb.191:                              ;   in Loop: Header=BB329_11 Depth=1
	v_ffbh_u32_e32 v0, v0
	v_min_u32_e32 v2, 32, v0
	v_subrev_nc_u32_e32 v0, 28, v2
	v_lshlrev_b64 v[0:1], v0, v[8:9]
	v_sub_nc_u32_e32 v1, 29, v2
	v_and_b32_e32 v0, 7, v0
; %bb.192:                              ;   in Loop: Header=BB329_11 Depth=1
	s_or_b32 exec_lo, exec_lo, s23
	v_lshlrev_b32_e32 v2, 8, v8
	v_lshl_add_u32 v1, v1, 10, 0x2000
	v_lshlrev_b32_e32 v0, 7, v0
	v_and_b32_e32 v2, 0x8000, v2
	v_and_b32_e32 v1, 0xfc00, v1
	v_or3_b32 v0, v2, v1, v0
	buffer_store_dword v0, off, s[0:3], s32 offset:284 ; 4-byte Folded Spill
.LBB329_193:                            ;   in Loop: Header=BB329_11 Depth=1
	s_or_b32 exec_lo, exec_lo, s22
.LBB329_194:                            ;   in Loop: Header=BB329_11 Depth=1
	s_or_b32 exec_lo, exec_lo, s21
.LBB329_195:                            ;   in Loop: Header=BB329_11 Depth=1
	s_or_b32 exec_lo, exec_lo, s20
	v_mov_b32_e32 v0, 0
	s_mov_b32 s20, exec_lo
	buffer_store_dword v0, off, s[0:3], s32 offset:292 ; 4-byte Folded Spill
	v_mov_b32_e32 v0, 0
	buffer_store_dword v0, off, s[0:3], s32 offset:736 ; 4-byte Folded Spill
	v_cmpx_lt_u64_e64 s[6:7], v[30:31]
	s_cbranch_execz .LBB329_203
; %bb.196:                              ;   in Loop: Header=BB329_11 Depth=1
	v_lshrrev_b32_e32 v8, 24, v31
	v_bfrev_b32_e32 v0, 1
	s_mov_b32 s21, exec_lo
	v_cmpx_ne_u32_e32 0x80, v8
	s_cbranch_execz .LBB329_202
; %bb.197:                              ;   in Loop: Header=BB329_11 Depth=1
	v_and_b32_e32 v2, 0x7f, v8
	v_mov_b32_e32 v0, 0x7c010000
	s_mov_b32 s22, exec_lo
	v_cmpx_ne_u32_e32 0x7f, v2
	s_cbranch_execz .LBB329_201
; %bb.198:                              ;   in Loop: Header=BB329_11 Depth=1
	v_and_b32_e32 v0, 7, v8
	v_lshrrev_b32_e32 v1, 3, v2
	s_mov_b32 s23, exec_lo
	v_cmpx_gt_u32_e32 8, v2
; %bb.199:                              ;   in Loop: Header=BB329_11 Depth=1
	v_ffbh_u32_e32 v0, v0
	v_min_u32_e32 v2, 32, v0
	v_subrev_nc_u32_e32 v0, 28, v2
	v_lshlrev_b64 v[0:1], v0, v[8:9]
	v_sub_nc_u32_e32 v1, 29, v2
	v_and_b32_e32 v0, 7, v0
; %bb.200:                              ;   in Loop: Header=BB329_11 Depth=1
	s_or_b32 exec_lo, exec_lo, s23
	v_lshlrev_b32_e32 v2, 8, v8
	v_lshl_add_u32 v1, v1, 10, 0x2000
	v_lshlrev_b32_e32 v0, 23, v0
	v_and_or_b32 v1, 0x8000, v2, v1
	v_lshl_or_b32 v0, v1, 16, v0
.LBB329_201:                            ;   in Loop: Header=BB329_11 Depth=1
	s_or_b32 exec_lo, exec_lo, s22
.LBB329_202:                            ;   in Loop: Header=BB329_11 Depth=1
	s_or_b32 exec_lo, exec_lo, s21
	buffer_store_dword v0, off, s[0:3], s32 offset:736 ; 4-byte Folded Spill
.LBB329_203:                            ;   in Loop: Header=BB329_11 Depth=1
	s_or_b32 exec_lo, exec_lo, s20
	flat_load_dwordx2 v[30:31], v[28:29] offset:520
	s_waitcnt vmcnt(0) lgkmcnt(0)
	v_cmp_ne_u16_sdwa s5, v30, v9 src0_sel:BYTE_0 src1_sel:DWORD
	s_and_saveexec_b32 s20, s5
	s_cbranch_execz .LBB329_211
; %bb.204:                              ;   in Loop: Header=BB329_11 Depth=1
	v_cmp_ne_u16_sdwa s5, v30, v124 src0_sel:BYTE_0 src1_sel:DWORD
	v_mov_b32_e32 v0, 0x8000
	buffer_store_dword v0, off, s[0:3], s32 offset:292 ; 4-byte Folded Spill
	s_and_saveexec_b32 s21, s5
	s_cbranch_execz .LBB329_210
; %bb.205:                              ;   in Loop: Header=BB329_11 Depth=1
	v_and_b32_e32 v2, 0x7f, v30
	v_mov_b32_e32 v0, 0x7c01
	s_mov_b32 s22, exec_lo
	buffer_store_dword v0, off, s[0:3], s32 offset:292 ; 4-byte Folded Spill
	v_cmpx_ne_u32_e32 0x7f, v2
	s_cbranch_execz .LBB329_209
; %bb.206:                              ;   in Loop: Header=BB329_11 Depth=1
	v_and_b32_e32 v0, 7, v30
	v_lshrrev_b32_e32 v1, 3, v2
	s_mov_b32 s23, exec_lo
	v_cmpx_gt_u32_e32 8, v2
; %bb.207:                              ;   in Loop: Header=BB329_11 Depth=1
	v_ffbh_u32_e32 v0, v0
	v_min_u32_e32 v2, 32, v0
	v_subrev_nc_u32_e32 v0, 28, v2
	v_lshlrev_b64 v[0:1], v0, v[30:31]
	v_sub_nc_u32_e32 v1, 29, v2
	v_and_b32_e32 v0, 7, v0
; %bb.208:                              ;   in Loop: Header=BB329_11 Depth=1
	s_or_b32 exec_lo, exec_lo, s23
	v_lshlrev_b32_e32 v2, 8, v30
	v_lshl_add_u32 v1, v1, 10, 0x2000
	v_lshlrev_b32_e32 v0, 7, v0
	v_and_b32_e32 v2, 0x8000, v2
	v_and_b32_e32 v1, 0xfc00, v1
	v_or3_b32 v0, v2, v1, v0
	buffer_store_dword v0, off, s[0:3], s32 offset:292 ; 4-byte Folded Spill
.LBB329_209:                            ;   in Loop: Header=BB329_11 Depth=1
	s_or_b32 exec_lo, exec_lo, s22
.LBB329_210:                            ;   in Loop: Header=BB329_11 Depth=1
	s_or_b32 exec_lo, exec_lo, s21
.LBB329_211:                            ;   in Loop: Header=BB329_11 Depth=1
	s_or_b32 exec_lo, exec_lo, s20
	v_mov_b32_e32 v0, 0
	v_lshrrev_b16 v8, 8, v30
	s_mov_b32 s20, exec_lo
	buffer_store_dword v0, off, s[0:3], s32 offset:300 ; 4-byte Folded Spill
	v_mov_b32_e32 v0, 0
	buffer_store_dword v0, off, s[0:3], s32 offset:296 ; 4-byte Folded Spill
	v_cmpx_ne_u16_e32 0, v8
	s_cbranch_execz .LBB329_219
; %bb.212:                              ;   in Loop: Header=BB329_11 Depth=1
	v_bfrev_b32_e32 v0, 1
	s_mov_b32 s21, exec_lo
	buffer_store_dword v0, off, s[0:3], s32 offset:296 ; 4-byte Folded Spill
	v_cmpx_ne_u16_e32 0x80, v8
	s_cbranch_execz .LBB329_218
; %bb.213:                              ;   in Loop: Header=BB329_11 Depth=1
	v_mov_b32_e32 v0, 0x7f
	s_mov_b32 s22, exec_lo
	v_and_b32_sdwa v2, v8, v0 dst_sel:DWORD dst_unused:UNUSED_PAD src0_sel:WORD_0 src1_sel:DWORD
	v_mov_b32_e32 v0, 0x7c010000
	buffer_store_dword v0, off, s[0:3], s32 offset:296 ; 4-byte Folded Spill
	v_cmpx_ne_u32_e32 0x7f, v2
	s_cbranch_execz .LBB329_217
; %bb.214:                              ;   in Loop: Header=BB329_11 Depth=1
	v_mov_b32_e32 v0, 7
	v_lshrrev_b32_e32 v1, 3, v2
	s_mov_b32 s23, exec_lo
	v_and_b32_sdwa v0, v8, v0 dst_sel:DWORD dst_unused:UNUSED_PAD src0_sel:WORD_0 src1_sel:DWORD
	v_cmpx_gt_u32_e32 8, v2
; %bb.215:                              ;   in Loop: Header=BB329_11 Depth=1
	v_ffbh_u32_e32 v0, v0
	v_min_u32_e32 v2, 32, v0
	v_subrev_nc_u32_e32 v0, 28, v2
	v_lshlrev_b64 v[0:1], v0, v[8:9]
	v_sub_nc_u32_e32 v1, 29, v2
	v_and_b32_e32 v0, 7, v0
; %bb.216:                              ;   in Loop: Header=BB329_11 Depth=1
	s_or_b32 exec_lo, exec_lo, s23
	v_mov_b32_e32 v2, 8
	v_lshl_add_u32 v1, v1, 10, 0x2000
	v_lshlrev_b32_e32 v0, 23, v0
	v_lshlrev_b32_sdwa v2, v2, v8 dst_sel:DWORD dst_unused:UNUSED_PAD src0_sel:DWORD src1_sel:WORD_0
	v_and_or_b32 v1, 0x8000, v2, v1
	v_lshl_or_b32 v0, v1, 16, v0
	buffer_store_dword v0, off, s[0:3], s32 offset:296 ; 4-byte Folded Spill
.LBB329_217:                            ;   in Loop: Header=BB329_11 Depth=1
	s_or_b32 exec_lo, exec_lo, s22
.LBB329_218:                            ;   in Loop: Header=BB329_11 Depth=1
	s_or_b32 exec_lo, exec_lo, s21
.LBB329_219:                            ;   in Loop: Header=BB329_11 Depth=1
	s_or_b32 exec_lo, exec_lo, s20
	v_lshrrev_b32_e32 v8, 16, v30
	v_cmp_ne_u16_sdwa s5, v8, v9 src0_sel:BYTE_0 src1_sel:DWORD
	s_and_saveexec_b32 s20, s5
	s_cbranch_execz .LBB329_227
; %bb.220:                              ;   in Loop: Header=BB329_11 Depth=1
	v_cmp_ne_u16_sdwa s5, v8, v124 src0_sel:BYTE_0 src1_sel:DWORD
	v_mov_b32_e32 v0, 0x8000
	buffer_store_dword v0, off, s[0:3], s32 offset:300 ; 4-byte Folded Spill
	s_and_saveexec_b32 s21, s5
	s_cbranch_execz .LBB329_226
; %bb.221:                              ;   in Loop: Header=BB329_11 Depth=1
	v_bfe_u32 v2, v30, 16, 7
	v_mov_b32_e32 v0, 0x7c01
	s_mov_b32 s22, exec_lo
	buffer_store_dword v0, off, s[0:3], s32 offset:300 ; 4-byte Folded Spill
	v_cmpx_ne_u32_e32 0x7f, v2
	s_cbranch_execz .LBB329_225
; %bb.222:                              ;   in Loop: Header=BB329_11 Depth=1
	v_and_b32_e32 v0, 7, v8
	v_lshrrev_b32_e32 v1, 3, v2
	s_mov_b32 s23, exec_lo
	v_cmpx_gt_u32_e32 8, v2
; %bb.223:                              ;   in Loop: Header=BB329_11 Depth=1
	v_ffbh_u32_e32 v0, v0
	v_min_u32_e32 v2, 32, v0
	v_subrev_nc_u32_e32 v0, 28, v2
	v_lshlrev_b64 v[0:1], v0, v[8:9]
	v_sub_nc_u32_e32 v1, 29, v2
	v_and_b32_e32 v0, 7, v0
; %bb.224:                              ;   in Loop: Header=BB329_11 Depth=1
	s_or_b32 exec_lo, exec_lo, s23
	v_lshlrev_b32_e32 v2, 8, v8
	v_lshl_add_u32 v1, v1, 10, 0x2000
	v_lshlrev_b32_e32 v0, 7, v0
	v_and_b32_e32 v2, 0x8000, v2
	v_and_b32_e32 v1, 0xfc00, v1
	v_or3_b32 v0, v2, v1, v0
	buffer_store_dword v0, off, s[0:3], s32 offset:300 ; 4-byte Folded Spill
.LBB329_225:                            ;   in Loop: Header=BB329_11 Depth=1
	s_or_b32 exec_lo, exec_lo, s22
.LBB329_226:                            ;   in Loop: Header=BB329_11 Depth=1
	s_or_b32 exec_lo, exec_lo, s21
.LBB329_227:                            ;   in Loop: Header=BB329_11 Depth=1
	s_or_b32 exec_lo, exec_lo, s20
	v_mov_b32_e32 v0, 0
	s_mov_b32 s20, exec_lo
	buffer_store_dword v0, off, s[0:3], s32 offset:304 ; 4-byte Folded Spill
	v_mov_b32_e32 v0, 0
	buffer_store_dword v0, off, s[0:3], s32 offset:308 ; 4-byte Folded Spill
	v_cmpx_lt_u32_e32 0xffffff, v30
	s_cbranch_execz .LBB329_235
; %bb.228:                              ;   in Loop: Header=BB329_11 Depth=1
	v_lshrrev_b32_e32 v8, 24, v30
	v_bfrev_b32_e32 v0, 1
	s_mov_b32 s21, exec_lo
	buffer_store_dword v0, off, s[0:3], s32 offset:308 ; 4-byte Folded Spill
	v_cmpx_ne_u32_e32 0x80, v8
	s_cbranch_execz .LBB329_234
; %bb.229:                              ;   in Loop: Header=BB329_11 Depth=1
	v_and_b32_e32 v2, 0x7f, v8
	v_mov_b32_e32 v0, 0x7c010000
	s_mov_b32 s22, exec_lo
	buffer_store_dword v0, off, s[0:3], s32 offset:308 ; 4-byte Folded Spill
	v_cmpx_ne_u32_e32 0x7f, v2
	s_cbranch_execz .LBB329_233
; %bb.230:                              ;   in Loop: Header=BB329_11 Depth=1
	v_and_b32_e32 v0, 7, v8
	v_lshrrev_b32_e32 v1, 3, v2
	s_mov_b32 s23, exec_lo
	v_cmpx_gt_u32_e32 8, v2
; %bb.231:                              ;   in Loop: Header=BB329_11 Depth=1
	v_ffbh_u32_e32 v0, v0
	v_min_u32_e32 v2, 32, v0
	v_subrev_nc_u32_e32 v0, 28, v2
	v_lshlrev_b64 v[0:1], v0, v[8:9]
	v_sub_nc_u32_e32 v1, 29, v2
	v_and_b32_e32 v0, 7, v0
; %bb.232:                              ;   in Loop: Header=BB329_11 Depth=1
	s_or_b32 exec_lo, exec_lo, s23
	v_lshlrev_b32_e32 v2, 8, v8
	v_lshl_add_u32 v1, v1, 10, 0x2000
	v_lshlrev_b32_e32 v0, 23, v0
	v_and_or_b32 v1, 0x8000, v2, v1
	v_lshl_or_b32 v0, v1, 16, v0
	buffer_store_dword v0, off, s[0:3], s32 offset:308 ; 4-byte Folded Spill
.LBB329_233:                            ;   in Loop: Header=BB329_11 Depth=1
	s_or_b32 exec_lo, exec_lo, s22
.LBB329_234:                            ;   in Loop: Header=BB329_11 Depth=1
	s_or_b32 exec_lo, exec_lo, s21
.LBB329_235:                            ;   in Loop: Header=BB329_11 Depth=1
	s_or_b32 exec_lo, exec_lo, s20
	v_mov_b32_e32 v8, v31
	v_cmp_ne_u16_sdwa s5, v31, v9 src0_sel:BYTE_0 src1_sel:DWORD
	s_and_saveexec_b32 s20, s5
	s_cbranch_execz .LBB329_243
; %bb.236:                              ;   in Loop: Header=BB329_11 Depth=1
	v_cmp_ne_u16_sdwa s5, v31, v124 src0_sel:BYTE_0 src1_sel:DWORD
	v_mov_b32_e32 v0, 0x8000
	buffer_store_dword v0, off, s[0:3], s32 offset:304 ; 4-byte Folded Spill
	s_and_saveexec_b32 s21, s5
	s_cbranch_execz .LBB329_242
; %bb.237:                              ;   in Loop: Header=BB329_11 Depth=1
	v_and_b32_e32 v2, 0x7f, v31
	v_mov_b32_e32 v0, 0x7c01
	s_mov_b32 s22, exec_lo
	buffer_store_dword v0, off, s[0:3], s32 offset:304 ; 4-byte Folded Spill
	v_cmpx_ne_u32_e32 0x7f, v2
	s_cbranch_execz .LBB329_241
; %bb.238:                              ;   in Loop: Header=BB329_11 Depth=1
	v_and_b32_e32 v0, 7, v31
	v_lshrrev_b32_e32 v1, 3, v2
	s_mov_b32 s23, exec_lo
	v_cmpx_gt_u32_e32 8, v2
; %bb.239:                              ;   in Loop: Header=BB329_11 Depth=1
	v_ffbh_u32_e32 v0, v0
	v_min_u32_e32 v2, 32, v0
	v_subrev_nc_u32_e32 v0, 28, v2
	v_lshlrev_b64 v[0:1], v0, v[8:9]
	v_sub_nc_u32_e32 v1, 29, v2
	v_and_b32_e32 v0, 7, v0
; %bb.240:                              ;   in Loop: Header=BB329_11 Depth=1
	s_or_b32 exec_lo, exec_lo, s23
	v_lshlrev_b32_e32 v2, 8, v31
	v_lshl_add_u32 v1, v1, 10, 0x2000
	v_lshlrev_b32_e32 v0, 7, v0
	v_and_b32_e32 v2, 0x8000, v2
	v_and_b32_e32 v1, 0xfc00, v1
	v_or3_b32 v0, v2, v1, v0
	buffer_store_dword v0, off, s[0:3], s32 offset:304 ; 4-byte Folded Spill
.LBB329_241:                            ;   in Loop: Header=BB329_11 Depth=1
	s_or_b32 exec_lo, exec_lo, s22
.LBB329_242:                            ;   in Loop: Header=BB329_11 Depth=1
	s_or_b32 exec_lo, exec_lo, s21
.LBB329_243:                            ;   in Loop: Header=BB329_11 Depth=1
	s_or_b32 exec_lo, exec_lo, s20
	v_mov_b32_e32 v0, 0
	v_lshrrev_b16 v8, 8, v8
	s_mov_b32 s20, exec_lo
	buffer_store_dword v0, off, s[0:3], s32 offset:312 ; 4-byte Folded Spill
	v_mov_b32_e32 v0, 0
	buffer_store_dword v0, off, s[0:3], s32 offset:316 ; 4-byte Folded Spill
	v_cmpx_ne_u16_e32 0, v8
	s_cbranch_execz .LBB329_251
; %bb.244:                              ;   in Loop: Header=BB329_11 Depth=1
	v_bfrev_b32_e32 v0, 1
	s_mov_b32 s21, exec_lo
	buffer_store_dword v0, off, s[0:3], s32 offset:316 ; 4-byte Folded Spill
	v_cmpx_ne_u16_e32 0x80, v8
	s_cbranch_execz .LBB329_250
; %bb.245:                              ;   in Loop: Header=BB329_11 Depth=1
	v_mov_b32_e32 v0, 0x7f
	s_mov_b32 s22, exec_lo
	v_and_b32_sdwa v2, v8, v0 dst_sel:DWORD dst_unused:UNUSED_PAD src0_sel:WORD_0 src1_sel:DWORD
	v_mov_b32_e32 v0, 0x7c010000
	buffer_store_dword v0, off, s[0:3], s32 offset:316 ; 4-byte Folded Spill
	v_cmpx_ne_u32_e32 0x7f, v2
	s_cbranch_execz .LBB329_249
; %bb.246:                              ;   in Loop: Header=BB329_11 Depth=1
	v_mov_b32_e32 v0, 7
	v_lshrrev_b32_e32 v1, 3, v2
	s_mov_b32 s23, exec_lo
	v_and_b32_sdwa v0, v8, v0 dst_sel:DWORD dst_unused:UNUSED_PAD src0_sel:WORD_0 src1_sel:DWORD
	v_cmpx_gt_u32_e32 8, v2
; %bb.247:                              ;   in Loop: Header=BB329_11 Depth=1
	v_ffbh_u32_e32 v0, v0
	v_min_u32_e32 v2, 32, v0
	v_subrev_nc_u32_e32 v0, 28, v2
	v_lshlrev_b64 v[0:1], v0, v[8:9]
	v_sub_nc_u32_e32 v1, 29, v2
	v_and_b32_e32 v0, 7, v0
; %bb.248:                              ;   in Loop: Header=BB329_11 Depth=1
	s_or_b32 exec_lo, exec_lo, s23
	v_mov_b32_e32 v2, 8
	v_lshl_add_u32 v1, v1, 10, 0x2000
	v_lshlrev_b32_e32 v0, 23, v0
	v_lshlrev_b32_sdwa v2, v2, v8 dst_sel:DWORD dst_unused:UNUSED_PAD src0_sel:DWORD src1_sel:WORD_0
	v_and_or_b32 v1, 0x8000, v2, v1
	v_lshl_or_b32 v0, v1, 16, v0
	buffer_store_dword v0, off, s[0:3], s32 offset:316 ; 4-byte Folded Spill
.LBB329_249:                            ;   in Loop: Header=BB329_11 Depth=1
	s_or_b32 exec_lo, exec_lo, s22
.LBB329_250:                            ;   in Loop: Header=BB329_11 Depth=1
	s_or_b32 exec_lo, exec_lo, s21
.LBB329_251:                            ;   in Loop: Header=BB329_11 Depth=1
	s_or_b32 exec_lo, exec_lo, s20
	v_lshrrev_b32_e32 v8, 16, v31
	v_cmp_ne_u16_sdwa s5, v8, v9 src0_sel:BYTE_0 src1_sel:DWORD
	s_and_saveexec_b32 s20, s5
	s_cbranch_execz .LBB329_259
; %bb.252:                              ;   in Loop: Header=BB329_11 Depth=1
	v_cmp_ne_u16_sdwa s5, v8, v124 src0_sel:BYTE_0 src1_sel:DWORD
	v_mov_b32_e32 v0, 0x8000
	buffer_store_dword v0, off, s[0:3], s32 offset:312 ; 4-byte Folded Spill
	s_and_saveexec_b32 s21, s5
	s_cbranch_execz .LBB329_258
; %bb.253:                              ;   in Loop: Header=BB329_11 Depth=1
	v_bfe_u32 v2, v31, 16, 7
	v_mov_b32_e32 v0, 0x7c01
	s_mov_b32 s22, exec_lo
	buffer_store_dword v0, off, s[0:3], s32 offset:312 ; 4-byte Folded Spill
	v_cmpx_ne_u32_e32 0x7f, v2
	s_cbranch_execz .LBB329_257
; %bb.254:                              ;   in Loop: Header=BB329_11 Depth=1
	v_and_b32_e32 v0, 7, v8
	v_lshrrev_b32_e32 v1, 3, v2
	s_mov_b32 s23, exec_lo
	v_cmpx_gt_u32_e32 8, v2
; %bb.255:                              ;   in Loop: Header=BB329_11 Depth=1
	v_ffbh_u32_e32 v0, v0
	v_min_u32_e32 v2, 32, v0
	v_subrev_nc_u32_e32 v0, 28, v2
	v_lshlrev_b64 v[0:1], v0, v[8:9]
	v_sub_nc_u32_e32 v1, 29, v2
	v_and_b32_e32 v0, 7, v0
; %bb.256:                              ;   in Loop: Header=BB329_11 Depth=1
	s_or_b32 exec_lo, exec_lo, s23
	v_lshlrev_b32_e32 v2, 8, v8
	v_lshl_add_u32 v1, v1, 10, 0x2000
	v_lshlrev_b32_e32 v0, 7, v0
	v_and_b32_e32 v2, 0x8000, v2
	v_and_b32_e32 v1, 0xfc00, v1
	v_or3_b32 v0, v2, v1, v0
	buffer_store_dword v0, off, s[0:3], s32 offset:312 ; 4-byte Folded Spill
.LBB329_257:                            ;   in Loop: Header=BB329_11 Depth=1
	s_or_b32 exec_lo, exec_lo, s22
.LBB329_258:                            ;   in Loop: Header=BB329_11 Depth=1
	s_or_b32 exec_lo, exec_lo, s21
.LBB329_259:                            ;   in Loop: Header=BB329_11 Depth=1
	s_or_b32 exec_lo, exec_lo, s20
	v_mov_b32_e32 v0, 0
	s_mov_b32 s20, exec_lo
	buffer_store_dword v0, off, s[0:3], s32 offset:320 ; 4-byte Folded Spill
	v_mov_b32_e32 v0, 0
	buffer_store_dword v0, off, s[0:3], s32 offset:740 ; 4-byte Folded Spill
	v_cmpx_lt_u64_e64 s[6:7], v[30:31]
	s_cbranch_execz .LBB329_267
; %bb.260:                              ;   in Loop: Header=BB329_11 Depth=1
	v_lshrrev_b32_e32 v8, 24, v31
	v_bfrev_b32_e32 v0, 1
	s_mov_b32 s21, exec_lo
	v_cmpx_ne_u32_e32 0x80, v8
	s_cbranch_execz .LBB329_266
; %bb.261:                              ;   in Loop: Header=BB329_11 Depth=1
	v_and_b32_e32 v2, 0x7f, v8
	v_mov_b32_e32 v0, 0x7c010000
	s_mov_b32 s22, exec_lo
	v_cmpx_ne_u32_e32 0x7f, v2
	s_cbranch_execz .LBB329_265
; %bb.262:                              ;   in Loop: Header=BB329_11 Depth=1
	v_and_b32_e32 v0, 7, v8
	v_lshrrev_b32_e32 v1, 3, v2
	s_mov_b32 s23, exec_lo
	v_cmpx_gt_u32_e32 8, v2
; %bb.263:                              ;   in Loop: Header=BB329_11 Depth=1
	v_ffbh_u32_e32 v0, v0
	v_min_u32_e32 v2, 32, v0
	v_subrev_nc_u32_e32 v0, 28, v2
	v_lshlrev_b64 v[0:1], v0, v[8:9]
	v_sub_nc_u32_e32 v1, 29, v2
	v_and_b32_e32 v0, 7, v0
; %bb.264:                              ;   in Loop: Header=BB329_11 Depth=1
	s_or_b32 exec_lo, exec_lo, s23
	v_lshlrev_b32_e32 v2, 8, v8
	v_lshl_add_u32 v1, v1, 10, 0x2000
	v_lshlrev_b32_e32 v0, 23, v0
	v_and_or_b32 v1, 0x8000, v2, v1
	v_lshl_or_b32 v0, v1, 16, v0
.LBB329_265:                            ;   in Loop: Header=BB329_11 Depth=1
	s_or_b32 exec_lo, exec_lo, s22
.LBB329_266:                            ;   in Loop: Header=BB329_11 Depth=1
	s_or_b32 exec_lo, exec_lo, s21
	buffer_store_dword v0, off, s[0:3], s32 offset:740 ; 4-byte Folded Spill
.LBB329_267:                            ;   in Loop: Header=BB329_11 Depth=1
	s_or_b32 exec_lo, exec_lo, s20
	flat_load_dwordx2 v[30:31], v[28:29] offset:1024
	s_waitcnt vmcnt(0) lgkmcnt(0)
	v_cmp_ne_u16_sdwa s5, v30, v9 src0_sel:BYTE_0 src1_sel:DWORD
	s_and_saveexec_b32 s20, s5
	s_cbranch_execz .LBB329_275
; %bb.268:                              ;   in Loop: Header=BB329_11 Depth=1
	v_cmp_ne_u16_sdwa s5, v30, v124 src0_sel:BYTE_0 src1_sel:DWORD
	v_mov_b32_e32 v0, 0x8000
	buffer_store_dword v0, off, s[0:3], s32 offset:320 ; 4-byte Folded Spill
	s_and_saveexec_b32 s21, s5
	s_cbranch_execz .LBB329_274
; %bb.269:                              ;   in Loop: Header=BB329_11 Depth=1
	v_and_b32_e32 v2, 0x7f, v30
	v_mov_b32_e32 v0, 0x7c01
	s_mov_b32 s22, exec_lo
	buffer_store_dword v0, off, s[0:3], s32 offset:320 ; 4-byte Folded Spill
	v_cmpx_ne_u32_e32 0x7f, v2
	s_cbranch_execz .LBB329_273
; %bb.270:                              ;   in Loop: Header=BB329_11 Depth=1
	v_and_b32_e32 v0, 7, v30
	v_lshrrev_b32_e32 v1, 3, v2
	s_mov_b32 s23, exec_lo
	v_cmpx_gt_u32_e32 8, v2
; %bb.271:                              ;   in Loop: Header=BB329_11 Depth=1
	v_ffbh_u32_e32 v0, v0
	v_min_u32_e32 v2, 32, v0
	v_subrev_nc_u32_e32 v0, 28, v2
	v_lshlrev_b64 v[0:1], v0, v[30:31]
	v_sub_nc_u32_e32 v1, 29, v2
	v_and_b32_e32 v0, 7, v0
; %bb.272:                              ;   in Loop: Header=BB329_11 Depth=1
	s_or_b32 exec_lo, exec_lo, s23
	v_lshlrev_b32_e32 v2, 8, v30
	v_lshl_add_u32 v1, v1, 10, 0x2000
	v_lshlrev_b32_e32 v0, 7, v0
	v_and_b32_e32 v2, 0x8000, v2
	v_and_b32_e32 v1, 0xfc00, v1
	v_or3_b32 v0, v2, v1, v0
	buffer_store_dword v0, off, s[0:3], s32 offset:320 ; 4-byte Folded Spill
.LBB329_273:                            ;   in Loop: Header=BB329_11 Depth=1
	s_or_b32 exec_lo, exec_lo, s22
.LBB329_274:                            ;   in Loop: Header=BB329_11 Depth=1
	s_or_b32 exec_lo, exec_lo, s21
.LBB329_275:                            ;   in Loop: Header=BB329_11 Depth=1
	s_or_b32 exec_lo, exec_lo, s20
	v_mov_b32_e32 v0, 0
	v_lshrrev_b16 v8, 8, v30
	s_mov_b32 s20, exec_lo
	buffer_store_dword v0, off, s[0:3], s32 offset:328 ; 4-byte Folded Spill
	v_mov_b32_e32 v0, 0
	buffer_store_dword v0, off, s[0:3], s32 offset:324 ; 4-byte Folded Spill
	v_cmpx_ne_u16_e32 0, v8
	s_cbranch_execz .LBB329_283
; %bb.276:                              ;   in Loop: Header=BB329_11 Depth=1
	v_bfrev_b32_e32 v0, 1
	s_mov_b32 s21, exec_lo
	buffer_store_dword v0, off, s[0:3], s32 offset:324 ; 4-byte Folded Spill
	v_cmpx_ne_u16_e32 0x80, v8
	s_cbranch_execz .LBB329_282
; %bb.277:                              ;   in Loop: Header=BB329_11 Depth=1
	v_mov_b32_e32 v0, 0x7f
	s_mov_b32 s22, exec_lo
	v_and_b32_sdwa v2, v8, v0 dst_sel:DWORD dst_unused:UNUSED_PAD src0_sel:WORD_0 src1_sel:DWORD
	v_mov_b32_e32 v0, 0x7c010000
	buffer_store_dword v0, off, s[0:3], s32 offset:324 ; 4-byte Folded Spill
	v_cmpx_ne_u32_e32 0x7f, v2
	s_cbranch_execz .LBB329_281
; %bb.278:                              ;   in Loop: Header=BB329_11 Depth=1
	v_mov_b32_e32 v0, 7
	v_lshrrev_b32_e32 v1, 3, v2
	s_mov_b32 s23, exec_lo
	v_and_b32_sdwa v0, v8, v0 dst_sel:DWORD dst_unused:UNUSED_PAD src0_sel:WORD_0 src1_sel:DWORD
	v_cmpx_gt_u32_e32 8, v2
; %bb.279:                              ;   in Loop: Header=BB329_11 Depth=1
	v_ffbh_u32_e32 v0, v0
	v_min_u32_e32 v2, 32, v0
	v_subrev_nc_u32_e32 v0, 28, v2
	v_lshlrev_b64 v[0:1], v0, v[8:9]
	v_sub_nc_u32_e32 v1, 29, v2
	v_and_b32_e32 v0, 7, v0
; %bb.280:                              ;   in Loop: Header=BB329_11 Depth=1
	s_or_b32 exec_lo, exec_lo, s23
	v_mov_b32_e32 v2, 8
	v_lshl_add_u32 v1, v1, 10, 0x2000
	v_lshlrev_b32_e32 v0, 23, v0
	v_lshlrev_b32_sdwa v2, v2, v8 dst_sel:DWORD dst_unused:UNUSED_PAD src0_sel:DWORD src1_sel:WORD_0
	v_and_or_b32 v1, 0x8000, v2, v1
	v_lshl_or_b32 v0, v1, 16, v0
	buffer_store_dword v0, off, s[0:3], s32 offset:324 ; 4-byte Folded Spill
.LBB329_281:                            ;   in Loop: Header=BB329_11 Depth=1
	s_or_b32 exec_lo, exec_lo, s22
.LBB329_282:                            ;   in Loop: Header=BB329_11 Depth=1
	s_or_b32 exec_lo, exec_lo, s21
.LBB329_283:                            ;   in Loop: Header=BB329_11 Depth=1
	s_or_b32 exec_lo, exec_lo, s20
	v_lshrrev_b32_e32 v8, 16, v30
	v_cmp_ne_u16_sdwa s5, v8, v9 src0_sel:BYTE_0 src1_sel:DWORD
	s_and_saveexec_b32 s20, s5
	s_cbranch_execz .LBB329_291
; %bb.284:                              ;   in Loop: Header=BB329_11 Depth=1
	v_cmp_ne_u16_sdwa s5, v8, v124 src0_sel:BYTE_0 src1_sel:DWORD
	v_mov_b32_e32 v0, 0x8000
	buffer_store_dword v0, off, s[0:3], s32 offset:328 ; 4-byte Folded Spill
	s_and_saveexec_b32 s21, s5
	s_cbranch_execz .LBB329_290
; %bb.285:                              ;   in Loop: Header=BB329_11 Depth=1
	v_bfe_u32 v2, v30, 16, 7
	v_mov_b32_e32 v0, 0x7c01
	s_mov_b32 s22, exec_lo
	buffer_store_dword v0, off, s[0:3], s32 offset:328 ; 4-byte Folded Spill
	v_cmpx_ne_u32_e32 0x7f, v2
	s_cbranch_execz .LBB329_289
; %bb.286:                              ;   in Loop: Header=BB329_11 Depth=1
	v_and_b32_e32 v0, 7, v8
	v_lshrrev_b32_e32 v1, 3, v2
	s_mov_b32 s23, exec_lo
	v_cmpx_gt_u32_e32 8, v2
; %bb.287:                              ;   in Loop: Header=BB329_11 Depth=1
	v_ffbh_u32_e32 v0, v0
	v_min_u32_e32 v2, 32, v0
	v_subrev_nc_u32_e32 v0, 28, v2
	v_lshlrev_b64 v[0:1], v0, v[8:9]
	v_sub_nc_u32_e32 v1, 29, v2
	v_and_b32_e32 v0, 7, v0
; %bb.288:                              ;   in Loop: Header=BB329_11 Depth=1
	s_or_b32 exec_lo, exec_lo, s23
	v_lshlrev_b32_e32 v2, 8, v8
	v_lshl_add_u32 v1, v1, 10, 0x2000
	v_lshlrev_b32_e32 v0, 7, v0
	v_and_b32_e32 v2, 0x8000, v2
	v_and_b32_e32 v1, 0xfc00, v1
	v_or3_b32 v0, v2, v1, v0
	buffer_store_dword v0, off, s[0:3], s32 offset:328 ; 4-byte Folded Spill
.LBB329_289:                            ;   in Loop: Header=BB329_11 Depth=1
	s_or_b32 exec_lo, exec_lo, s22
.LBB329_290:                            ;   in Loop: Header=BB329_11 Depth=1
	s_or_b32 exec_lo, exec_lo, s21
.LBB329_291:                            ;   in Loop: Header=BB329_11 Depth=1
	s_or_b32 exec_lo, exec_lo, s20
	v_mov_b32_e32 v0, 0
	s_mov_b32 s20, exec_lo
	buffer_store_dword v0, off, s[0:3], s32 offset:332 ; 4-byte Folded Spill
	v_mov_b32_e32 v0, 0
	buffer_store_dword v0, off, s[0:3], s32 offset:336 ; 4-byte Folded Spill
	v_cmpx_lt_u32_e32 0xffffff, v30
	s_cbranch_execz .LBB329_299
; %bb.292:                              ;   in Loop: Header=BB329_11 Depth=1
	v_lshrrev_b32_e32 v8, 24, v30
	v_bfrev_b32_e32 v0, 1
	s_mov_b32 s21, exec_lo
	buffer_store_dword v0, off, s[0:3], s32 offset:336 ; 4-byte Folded Spill
	v_cmpx_ne_u32_e32 0x80, v8
	s_cbranch_execz .LBB329_298
; %bb.293:                              ;   in Loop: Header=BB329_11 Depth=1
	v_and_b32_e32 v2, 0x7f, v8
	v_mov_b32_e32 v0, 0x7c010000
	s_mov_b32 s22, exec_lo
	buffer_store_dword v0, off, s[0:3], s32 offset:336 ; 4-byte Folded Spill
	v_cmpx_ne_u32_e32 0x7f, v2
	s_cbranch_execz .LBB329_297
; %bb.294:                              ;   in Loop: Header=BB329_11 Depth=1
	v_and_b32_e32 v0, 7, v8
	v_lshrrev_b32_e32 v1, 3, v2
	s_mov_b32 s23, exec_lo
	v_cmpx_gt_u32_e32 8, v2
; %bb.295:                              ;   in Loop: Header=BB329_11 Depth=1
	v_ffbh_u32_e32 v0, v0
	v_min_u32_e32 v2, 32, v0
	v_subrev_nc_u32_e32 v0, 28, v2
	v_lshlrev_b64 v[0:1], v0, v[8:9]
	v_sub_nc_u32_e32 v1, 29, v2
	v_and_b32_e32 v0, 7, v0
; %bb.296:                              ;   in Loop: Header=BB329_11 Depth=1
	s_or_b32 exec_lo, exec_lo, s23
	v_lshlrev_b32_e32 v2, 8, v8
	v_lshl_add_u32 v1, v1, 10, 0x2000
	v_lshlrev_b32_e32 v0, 23, v0
	v_and_or_b32 v1, 0x8000, v2, v1
	v_lshl_or_b32 v0, v1, 16, v0
	buffer_store_dword v0, off, s[0:3], s32 offset:336 ; 4-byte Folded Spill
.LBB329_297:                            ;   in Loop: Header=BB329_11 Depth=1
	s_or_b32 exec_lo, exec_lo, s22
.LBB329_298:                            ;   in Loop: Header=BB329_11 Depth=1
	s_or_b32 exec_lo, exec_lo, s21
.LBB329_299:                            ;   in Loop: Header=BB329_11 Depth=1
	s_or_b32 exec_lo, exec_lo, s20
	v_mov_b32_e32 v8, v31
	v_cmp_ne_u16_sdwa s5, v31, v9 src0_sel:BYTE_0 src1_sel:DWORD
	s_and_saveexec_b32 s20, s5
	s_cbranch_execz .LBB329_307
; %bb.300:                              ;   in Loop: Header=BB329_11 Depth=1
	v_cmp_ne_u16_sdwa s5, v31, v124 src0_sel:BYTE_0 src1_sel:DWORD
	v_mov_b32_e32 v0, 0x8000
	buffer_store_dword v0, off, s[0:3], s32 offset:332 ; 4-byte Folded Spill
	s_and_saveexec_b32 s21, s5
	s_cbranch_execz .LBB329_306
; %bb.301:                              ;   in Loop: Header=BB329_11 Depth=1
	v_and_b32_e32 v2, 0x7f, v31
	v_mov_b32_e32 v0, 0x7c01
	s_mov_b32 s22, exec_lo
	buffer_store_dword v0, off, s[0:3], s32 offset:332 ; 4-byte Folded Spill
	v_cmpx_ne_u32_e32 0x7f, v2
	s_cbranch_execz .LBB329_305
; %bb.302:                              ;   in Loop: Header=BB329_11 Depth=1
	v_and_b32_e32 v0, 7, v31
	v_lshrrev_b32_e32 v1, 3, v2
	s_mov_b32 s23, exec_lo
	v_cmpx_gt_u32_e32 8, v2
; %bb.303:                              ;   in Loop: Header=BB329_11 Depth=1
	v_ffbh_u32_e32 v0, v0
	v_min_u32_e32 v2, 32, v0
	v_subrev_nc_u32_e32 v0, 28, v2
	v_lshlrev_b64 v[0:1], v0, v[8:9]
	v_sub_nc_u32_e32 v1, 29, v2
	v_and_b32_e32 v0, 7, v0
; %bb.304:                              ;   in Loop: Header=BB329_11 Depth=1
	s_or_b32 exec_lo, exec_lo, s23
	v_lshlrev_b32_e32 v2, 8, v31
	v_lshl_add_u32 v1, v1, 10, 0x2000
	v_lshlrev_b32_e32 v0, 7, v0
	v_and_b32_e32 v2, 0x8000, v2
	v_and_b32_e32 v1, 0xfc00, v1
	v_or3_b32 v0, v2, v1, v0
	buffer_store_dword v0, off, s[0:3], s32 offset:332 ; 4-byte Folded Spill
.LBB329_305:                            ;   in Loop: Header=BB329_11 Depth=1
	s_or_b32 exec_lo, exec_lo, s22
.LBB329_306:                            ;   in Loop: Header=BB329_11 Depth=1
	s_or_b32 exec_lo, exec_lo, s21
.LBB329_307:                            ;   in Loop: Header=BB329_11 Depth=1
	s_or_b32 exec_lo, exec_lo, s20
	v_mov_b32_e32 v0, 0
	v_lshrrev_b16 v8, 8, v8
	s_mov_b32 s20, exec_lo
	buffer_store_dword v0, off, s[0:3], s32 offset:340 ; 4-byte Folded Spill
	v_mov_b32_e32 v0, 0
	buffer_store_dword v0, off, s[0:3], s32 offset:344 ; 4-byte Folded Spill
	v_cmpx_ne_u16_e32 0, v8
	s_cbranch_execz .LBB329_315
; %bb.308:                              ;   in Loop: Header=BB329_11 Depth=1
	v_bfrev_b32_e32 v0, 1
	s_mov_b32 s21, exec_lo
	buffer_store_dword v0, off, s[0:3], s32 offset:344 ; 4-byte Folded Spill
	v_cmpx_ne_u16_e32 0x80, v8
	s_cbranch_execz .LBB329_314
; %bb.309:                              ;   in Loop: Header=BB329_11 Depth=1
	v_mov_b32_e32 v0, 0x7f
	s_mov_b32 s22, exec_lo
	v_and_b32_sdwa v2, v8, v0 dst_sel:DWORD dst_unused:UNUSED_PAD src0_sel:WORD_0 src1_sel:DWORD
	v_mov_b32_e32 v0, 0x7c010000
	buffer_store_dword v0, off, s[0:3], s32 offset:344 ; 4-byte Folded Spill
	v_cmpx_ne_u32_e32 0x7f, v2
	s_cbranch_execz .LBB329_313
; %bb.310:                              ;   in Loop: Header=BB329_11 Depth=1
	v_mov_b32_e32 v0, 7
	v_lshrrev_b32_e32 v1, 3, v2
	s_mov_b32 s23, exec_lo
	v_and_b32_sdwa v0, v8, v0 dst_sel:DWORD dst_unused:UNUSED_PAD src0_sel:WORD_0 src1_sel:DWORD
	v_cmpx_gt_u32_e32 8, v2
; %bb.311:                              ;   in Loop: Header=BB329_11 Depth=1
	v_ffbh_u32_e32 v0, v0
	v_min_u32_e32 v2, 32, v0
	v_subrev_nc_u32_e32 v0, 28, v2
	v_lshlrev_b64 v[0:1], v0, v[8:9]
	v_sub_nc_u32_e32 v1, 29, v2
	v_and_b32_e32 v0, 7, v0
; %bb.312:                              ;   in Loop: Header=BB329_11 Depth=1
	s_or_b32 exec_lo, exec_lo, s23
	v_mov_b32_e32 v2, 8
	v_lshl_add_u32 v1, v1, 10, 0x2000
	v_lshlrev_b32_e32 v0, 23, v0
	v_lshlrev_b32_sdwa v2, v2, v8 dst_sel:DWORD dst_unused:UNUSED_PAD src0_sel:DWORD src1_sel:WORD_0
	v_and_or_b32 v1, 0x8000, v2, v1
	v_lshl_or_b32 v0, v1, 16, v0
	buffer_store_dword v0, off, s[0:3], s32 offset:344 ; 4-byte Folded Spill
.LBB329_313:                            ;   in Loop: Header=BB329_11 Depth=1
	s_or_b32 exec_lo, exec_lo, s22
.LBB329_314:                            ;   in Loop: Header=BB329_11 Depth=1
	s_or_b32 exec_lo, exec_lo, s21
.LBB329_315:                            ;   in Loop: Header=BB329_11 Depth=1
	s_or_b32 exec_lo, exec_lo, s20
	v_lshrrev_b32_e32 v8, 16, v31
	v_cmp_ne_u16_sdwa s5, v8, v9 src0_sel:BYTE_0 src1_sel:DWORD
	s_and_saveexec_b32 s20, s5
	s_cbranch_execz .LBB329_323
; %bb.316:                              ;   in Loop: Header=BB329_11 Depth=1
	v_cmp_ne_u16_sdwa s5, v8, v124 src0_sel:BYTE_0 src1_sel:DWORD
	v_mov_b32_e32 v0, 0x8000
	buffer_store_dword v0, off, s[0:3], s32 offset:340 ; 4-byte Folded Spill
	s_and_saveexec_b32 s21, s5
	s_cbranch_execz .LBB329_322
; %bb.317:                              ;   in Loop: Header=BB329_11 Depth=1
	v_bfe_u32 v2, v31, 16, 7
	v_mov_b32_e32 v0, 0x7c01
	s_mov_b32 s22, exec_lo
	buffer_store_dword v0, off, s[0:3], s32 offset:340 ; 4-byte Folded Spill
	v_cmpx_ne_u32_e32 0x7f, v2
	s_cbranch_execz .LBB329_321
; %bb.318:                              ;   in Loop: Header=BB329_11 Depth=1
	v_and_b32_e32 v0, 7, v8
	v_lshrrev_b32_e32 v1, 3, v2
	s_mov_b32 s23, exec_lo
	v_cmpx_gt_u32_e32 8, v2
; %bb.319:                              ;   in Loop: Header=BB329_11 Depth=1
	v_ffbh_u32_e32 v0, v0
	v_min_u32_e32 v2, 32, v0
	v_subrev_nc_u32_e32 v0, 28, v2
	v_lshlrev_b64 v[0:1], v0, v[8:9]
	v_sub_nc_u32_e32 v1, 29, v2
	v_and_b32_e32 v0, 7, v0
; %bb.320:                              ;   in Loop: Header=BB329_11 Depth=1
	s_or_b32 exec_lo, exec_lo, s23
	v_lshlrev_b32_e32 v2, 8, v8
	v_lshl_add_u32 v1, v1, 10, 0x2000
	v_lshlrev_b32_e32 v0, 7, v0
	v_and_b32_e32 v2, 0x8000, v2
	v_and_b32_e32 v1, 0xfc00, v1
	v_or3_b32 v0, v2, v1, v0
	buffer_store_dword v0, off, s[0:3], s32 offset:340 ; 4-byte Folded Spill
.LBB329_321:                            ;   in Loop: Header=BB329_11 Depth=1
	s_or_b32 exec_lo, exec_lo, s22
.LBB329_322:                            ;   in Loop: Header=BB329_11 Depth=1
	s_or_b32 exec_lo, exec_lo, s21
.LBB329_323:                            ;   in Loop: Header=BB329_11 Depth=1
	s_or_b32 exec_lo, exec_lo, s20
	v_mov_b32_e32 v0, 0
	s_mov_b32 s20, exec_lo
	buffer_store_dword v0, off, s[0:3], s32 offset:348 ; 4-byte Folded Spill
	v_mov_b32_e32 v0, 0
	buffer_store_dword v0, off, s[0:3], s32 offset:744 ; 4-byte Folded Spill
	v_cmpx_lt_u64_e64 s[6:7], v[30:31]
	s_cbranch_execz .LBB329_331
; %bb.324:                              ;   in Loop: Header=BB329_11 Depth=1
	v_lshrrev_b32_e32 v8, 24, v31
	v_bfrev_b32_e32 v0, 1
	s_mov_b32 s21, exec_lo
	v_cmpx_ne_u32_e32 0x80, v8
	s_cbranch_execz .LBB329_330
; %bb.325:                              ;   in Loop: Header=BB329_11 Depth=1
	v_and_b32_e32 v2, 0x7f, v8
	v_mov_b32_e32 v0, 0x7c010000
	s_mov_b32 s22, exec_lo
	v_cmpx_ne_u32_e32 0x7f, v2
	s_cbranch_execz .LBB329_329
; %bb.326:                              ;   in Loop: Header=BB329_11 Depth=1
	v_and_b32_e32 v0, 7, v8
	v_lshrrev_b32_e32 v1, 3, v2
	s_mov_b32 s23, exec_lo
	v_cmpx_gt_u32_e32 8, v2
; %bb.327:                              ;   in Loop: Header=BB329_11 Depth=1
	v_ffbh_u32_e32 v0, v0
	v_min_u32_e32 v2, 32, v0
	v_subrev_nc_u32_e32 v0, 28, v2
	v_lshlrev_b64 v[0:1], v0, v[8:9]
	v_sub_nc_u32_e32 v1, 29, v2
	v_and_b32_e32 v0, 7, v0
; %bb.328:                              ;   in Loop: Header=BB329_11 Depth=1
	s_or_b32 exec_lo, exec_lo, s23
	v_lshlrev_b32_e32 v2, 8, v8
	v_lshl_add_u32 v1, v1, 10, 0x2000
	v_lshlrev_b32_e32 v0, 23, v0
	v_and_or_b32 v1, 0x8000, v2, v1
	v_lshl_or_b32 v0, v1, 16, v0
.LBB329_329:                            ;   in Loop: Header=BB329_11 Depth=1
	s_or_b32 exec_lo, exec_lo, s22
.LBB329_330:                            ;   in Loop: Header=BB329_11 Depth=1
	s_or_b32 exec_lo, exec_lo, s21
	buffer_store_dword v0, off, s[0:3], s32 offset:744 ; 4-byte Folded Spill
.LBB329_331:                            ;   in Loop: Header=BB329_11 Depth=1
	s_or_b32 exec_lo, exec_lo, s20
	flat_load_dwordx2 v[30:31], v[28:29] offset:1032
	s_waitcnt vmcnt(0) lgkmcnt(0)
	v_cmp_ne_u16_sdwa s5, v30, v9 src0_sel:BYTE_0 src1_sel:DWORD
	s_and_saveexec_b32 s20, s5
	s_cbranch_execz .LBB329_339
; %bb.332:                              ;   in Loop: Header=BB329_11 Depth=1
	v_cmp_ne_u16_sdwa s5, v30, v124 src0_sel:BYTE_0 src1_sel:DWORD
	v_mov_b32_e32 v0, 0x8000
	buffer_store_dword v0, off, s[0:3], s32 offset:348 ; 4-byte Folded Spill
	s_and_saveexec_b32 s21, s5
	s_cbranch_execz .LBB329_338
; %bb.333:                              ;   in Loop: Header=BB329_11 Depth=1
	v_and_b32_e32 v2, 0x7f, v30
	v_mov_b32_e32 v0, 0x7c01
	s_mov_b32 s22, exec_lo
	buffer_store_dword v0, off, s[0:3], s32 offset:348 ; 4-byte Folded Spill
	v_cmpx_ne_u32_e32 0x7f, v2
	s_cbranch_execz .LBB329_337
; %bb.334:                              ;   in Loop: Header=BB329_11 Depth=1
	v_and_b32_e32 v0, 7, v30
	v_lshrrev_b32_e32 v1, 3, v2
	s_mov_b32 s23, exec_lo
	v_cmpx_gt_u32_e32 8, v2
; %bb.335:                              ;   in Loop: Header=BB329_11 Depth=1
	v_ffbh_u32_e32 v0, v0
	v_min_u32_e32 v2, 32, v0
	v_subrev_nc_u32_e32 v0, 28, v2
	v_lshlrev_b64 v[0:1], v0, v[30:31]
	v_sub_nc_u32_e32 v1, 29, v2
	v_and_b32_e32 v0, 7, v0
; %bb.336:                              ;   in Loop: Header=BB329_11 Depth=1
	s_or_b32 exec_lo, exec_lo, s23
	v_lshlrev_b32_e32 v2, 8, v30
	v_lshl_add_u32 v1, v1, 10, 0x2000
	v_lshlrev_b32_e32 v0, 7, v0
	v_and_b32_e32 v2, 0x8000, v2
	v_and_b32_e32 v1, 0xfc00, v1
	v_or3_b32 v0, v2, v1, v0
	buffer_store_dword v0, off, s[0:3], s32 offset:348 ; 4-byte Folded Spill
.LBB329_337:                            ;   in Loop: Header=BB329_11 Depth=1
	s_or_b32 exec_lo, exec_lo, s22
.LBB329_338:                            ;   in Loop: Header=BB329_11 Depth=1
	s_or_b32 exec_lo, exec_lo, s21
.LBB329_339:                            ;   in Loop: Header=BB329_11 Depth=1
	s_or_b32 exec_lo, exec_lo, s20
	v_mov_b32_e32 v0, 0
	v_lshrrev_b16 v8, 8, v30
	s_mov_b32 s20, exec_lo
	buffer_store_dword v0, off, s[0:3], s32 offset:356 ; 4-byte Folded Spill
	v_mov_b32_e32 v0, 0
	buffer_store_dword v0, off, s[0:3], s32 offset:352 ; 4-byte Folded Spill
	v_cmpx_ne_u16_e32 0, v8
	s_cbranch_execz .LBB329_347
; %bb.340:                              ;   in Loop: Header=BB329_11 Depth=1
	v_bfrev_b32_e32 v0, 1
	s_mov_b32 s21, exec_lo
	buffer_store_dword v0, off, s[0:3], s32 offset:352 ; 4-byte Folded Spill
	v_cmpx_ne_u16_e32 0x80, v8
	s_cbranch_execz .LBB329_346
; %bb.341:                              ;   in Loop: Header=BB329_11 Depth=1
	v_mov_b32_e32 v0, 0x7f
	s_mov_b32 s22, exec_lo
	v_and_b32_sdwa v2, v8, v0 dst_sel:DWORD dst_unused:UNUSED_PAD src0_sel:WORD_0 src1_sel:DWORD
	v_mov_b32_e32 v0, 0x7c010000
	buffer_store_dword v0, off, s[0:3], s32 offset:352 ; 4-byte Folded Spill
	v_cmpx_ne_u32_e32 0x7f, v2
	s_cbranch_execz .LBB329_345
; %bb.342:                              ;   in Loop: Header=BB329_11 Depth=1
	v_mov_b32_e32 v0, 7
	v_lshrrev_b32_e32 v1, 3, v2
	s_mov_b32 s23, exec_lo
	v_and_b32_sdwa v0, v8, v0 dst_sel:DWORD dst_unused:UNUSED_PAD src0_sel:WORD_0 src1_sel:DWORD
	v_cmpx_gt_u32_e32 8, v2
; %bb.343:                              ;   in Loop: Header=BB329_11 Depth=1
	v_ffbh_u32_e32 v0, v0
	v_min_u32_e32 v2, 32, v0
	v_subrev_nc_u32_e32 v0, 28, v2
	v_lshlrev_b64 v[0:1], v0, v[8:9]
	v_sub_nc_u32_e32 v1, 29, v2
	v_and_b32_e32 v0, 7, v0
; %bb.344:                              ;   in Loop: Header=BB329_11 Depth=1
	s_or_b32 exec_lo, exec_lo, s23
	v_mov_b32_e32 v2, 8
	v_lshl_add_u32 v1, v1, 10, 0x2000
	v_lshlrev_b32_e32 v0, 23, v0
	v_lshlrev_b32_sdwa v2, v2, v8 dst_sel:DWORD dst_unused:UNUSED_PAD src0_sel:DWORD src1_sel:WORD_0
	v_and_or_b32 v1, 0x8000, v2, v1
	v_lshl_or_b32 v0, v1, 16, v0
	buffer_store_dword v0, off, s[0:3], s32 offset:352 ; 4-byte Folded Spill
.LBB329_345:                            ;   in Loop: Header=BB329_11 Depth=1
	s_or_b32 exec_lo, exec_lo, s22
.LBB329_346:                            ;   in Loop: Header=BB329_11 Depth=1
	s_or_b32 exec_lo, exec_lo, s21
.LBB329_347:                            ;   in Loop: Header=BB329_11 Depth=1
	s_or_b32 exec_lo, exec_lo, s20
	v_lshrrev_b32_e32 v8, 16, v30
	v_cmp_ne_u16_sdwa s5, v8, v9 src0_sel:BYTE_0 src1_sel:DWORD
	s_and_saveexec_b32 s20, s5
	s_cbranch_execz .LBB329_355
; %bb.348:                              ;   in Loop: Header=BB329_11 Depth=1
	v_cmp_ne_u16_sdwa s5, v8, v124 src0_sel:BYTE_0 src1_sel:DWORD
	v_mov_b32_e32 v0, 0x8000
	buffer_store_dword v0, off, s[0:3], s32 offset:356 ; 4-byte Folded Spill
	s_and_saveexec_b32 s21, s5
	s_cbranch_execz .LBB329_354
; %bb.349:                              ;   in Loop: Header=BB329_11 Depth=1
	v_bfe_u32 v2, v30, 16, 7
	v_mov_b32_e32 v0, 0x7c01
	s_mov_b32 s22, exec_lo
	buffer_store_dword v0, off, s[0:3], s32 offset:356 ; 4-byte Folded Spill
	v_cmpx_ne_u32_e32 0x7f, v2
	s_cbranch_execz .LBB329_353
; %bb.350:                              ;   in Loop: Header=BB329_11 Depth=1
	v_and_b32_e32 v0, 7, v8
	v_lshrrev_b32_e32 v1, 3, v2
	s_mov_b32 s23, exec_lo
	v_cmpx_gt_u32_e32 8, v2
; %bb.351:                              ;   in Loop: Header=BB329_11 Depth=1
	v_ffbh_u32_e32 v0, v0
	v_min_u32_e32 v2, 32, v0
	v_subrev_nc_u32_e32 v0, 28, v2
	v_lshlrev_b64 v[0:1], v0, v[8:9]
	v_sub_nc_u32_e32 v1, 29, v2
	v_and_b32_e32 v0, 7, v0
; %bb.352:                              ;   in Loop: Header=BB329_11 Depth=1
	s_or_b32 exec_lo, exec_lo, s23
	v_lshlrev_b32_e32 v2, 8, v8
	v_lshl_add_u32 v1, v1, 10, 0x2000
	v_lshlrev_b32_e32 v0, 7, v0
	v_and_b32_e32 v2, 0x8000, v2
	v_and_b32_e32 v1, 0xfc00, v1
	v_or3_b32 v0, v2, v1, v0
	buffer_store_dword v0, off, s[0:3], s32 offset:356 ; 4-byte Folded Spill
.LBB329_353:                            ;   in Loop: Header=BB329_11 Depth=1
	s_or_b32 exec_lo, exec_lo, s22
.LBB329_354:                            ;   in Loop: Header=BB329_11 Depth=1
	s_or_b32 exec_lo, exec_lo, s21
.LBB329_355:                            ;   in Loop: Header=BB329_11 Depth=1
	s_or_b32 exec_lo, exec_lo, s20
	v_mov_b32_e32 v0, 0
	s_mov_b32 s20, exec_lo
	buffer_store_dword v0, off, s[0:3], s32 offset:360 ; 4-byte Folded Spill
	v_mov_b32_e32 v0, 0
	buffer_store_dword v0, off, s[0:3], s32 offset:364 ; 4-byte Folded Spill
	v_cmpx_lt_u32_e32 0xffffff, v30
	s_cbranch_execz .LBB329_363
; %bb.356:                              ;   in Loop: Header=BB329_11 Depth=1
	v_lshrrev_b32_e32 v8, 24, v30
	v_bfrev_b32_e32 v0, 1
	s_mov_b32 s21, exec_lo
	buffer_store_dword v0, off, s[0:3], s32 offset:364 ; 4-byte Folded Spill
	v_cmpx_ne_u32_e32 0x80, v8
	s_cbranch_execz .LBB329_362
; %bb.357:                              ;   in Loop: Header=BB329_11 Depth=1
	v_and_b32_e32 v2, 0x7f, v8
	v_mov_b32_e32 v0, 0x7c010000
	s_mov_b32 s22, exec_lo
	buffer_store_dword v0, off, s[0:3], s32 offset:364 ; 4-byte Folded Spill
	v_cmpx_ne_u32_e32 0x7f, v2
	s_cbranch_execz .LBB329_361
; %bb.358:                              ;   in Loop: Header=BB329_11 Depth=1
	v_and_b32_e32 v0, 7, v8
	v_lshrrev_b32_e32 v1, 3, v2
	s_mov_b32 s23, exec_lo
	v_cmpx_gt_u32_e32 8, v2
; %bb.359:                              ;   in Loop: Header=BB329_11 Depth=1
	v_ffbh_u32_e32 v0, v0
	v_min_u32_e32 v2, 32, v0
	v_subrev_nc_u32_e32 v0, 28, v2
	v_lshlrev_b64 v[0:1], v0, v[8:9]
	v_sub_nc_u32_e32 v1, 29, v2
	v_and_b32_e32 v0, 7, v0
; %bb.360:                              ;   in Loop: Header=BB329_11 Depth=1
	s_or_b32 exec_lo, exec_lo, s23
	v_lshlrev_b32_e32 v2, 8, v8
	v_lshl_add_u32 v1, v1, 10, 0x2000
	v_lshlrev_b32_e32 v0, 23, v0
	v_and_or_b32 v1, 0x8000, v2, v1
	v_lshl_or_b32 v0, v1, 16, v0
	buffer_store_dword v0, off, s[0:3], s32 offset:364 ; 4-byte Folded Spill
.LBB329_361:                            ;   in Loop: Header=BB329_11 Depth=1
	s_or_b32 exec_lo, exec_lo, s22
.LBB329_362:                            ;   in Loop: Header=BB329_11 Depth=1
	s_or_b32 exec_lo, exec_lo, s21
.LBB329_363:                            ;   in Loop: Header=BB329_11 Depth=1
	s_or_b32 exec_lo, exec_lo, s20
	v_mov_b32_e32 v8, v31
	v_cmp_ne_u16_sdwa s5, v31, v9 src0_sel:BYTE_0 src1_sel:DWORD
	s_and_saveexec_b32 s20, s5
	s_cbranch_execz .LBB329_371
; %bb.364:                              ;   in Loop: Header=BB329_11 Depth=1
	v_cmp_ne_u16_sdwa s5, v31, v124 src0_sel:BYTE_0 src1_sel:DWORD
	v_mov_b32_e32 v0, 0x8000
	buffer_store_dword v0, off, s[0:3], s32 offset:360 ; 4-byte Folded Spill
	s_and_saveexec_b32 s21, s5
	s_cbranch_execz .LBB329_370
; %bb.365:                              ;   in Loop: Header=BB329_11 Depth=1
	v_and_b32_e32 v2, 0x7f, v31
	v_mov_b32_e32 v0, 0x7c01
	s_mov_b32 s22, exec_lo
	buffer_store_dword v0, off, s[0:3], s32 offset:360 ; 4-byte Folded Spill
	v_cmpx_ne_u32_e32 0x7f, v2
	s_cbranch_execz .LBB329_369
; %bb.366:                              ;   in Loop: Header=BB329_11 Depth=1
	v_and_b32_e32 v0, 7, v31
	v_lshrrev_b32_e32 v1, 3, v2
	s_mov_b32 s23, exec_lo
	v_cmpx_gt_u32_e32 8, v2
; %bb.367:                              ;   in Loop: Header=BB329_11 Depth=1
	v_ffbh_u32_e32 v0, v0
	v_min_u32_e32 v2, 32, v0
	v_subrev_nc_u32_e32 v0, 28, v2
	v_lshlrev_b64 v[0:1], v0, v[8:9]
	v_sub_nc_u32_e32 v1, 29, v2
	v_and_b32_e32 v0, 7, v0
; %bb.368:                              ;   in Loop: Header=BB329_11 Depth=1
	s_or_b32 exec_lo, exec_lo, s23
	v_lshlrev_b32_e32 v2, 8, v31
	v_lshl_add_u32 v1, v1, 10, 0x2000
	v_lshlrev_b32_e32 v0, 7, v0
	v_and_b32_e32 v2, 0x8000, v2
	v_and_b32_e32 v1, 0xfc00, v1
	v_or3_b32 v0, v2, v1, v0
	buffer_store_dword v0, off, s[0:3], s32 offset:360 ; 4-byte Folded Spill
.LBB329_369:                            ;   in Loop: Header=BB329_11 Depth=1
	s_or_b32 exec_lo, exec_lo, s22
.LBB329_370:                            ;   in Loop: Header=BB329_11 Depth=1
	s_or_b32 exec_lo, exec_lo, s21
.LBB329_371:                            ;   in Loop: Header=BB329_11 Depth=1
	s_or_b32 exec_lo, exec_lo, s20
	v_mov_b32_e32 v0, 0
	v_lshrrev_b16 v8, 8, v8
	s_mov_b32 s20, exec_lo
	buffer_store_dword v0, off, s[0:3], s32 offset:368 ; 4-byte Folded Spill
	v_mov_b32_e32 v0, 0
	buffer_store_dword v0, off, s[0:3], s32 offset:372 ; 4-byte Folded Spill
	v_cmpx_ne_u16_e32 0, v8
	s_cbranch_execz .LBB329_379
; %bb.372:                              ;   in Loop: Header=BB329_11 Depth=1
	v_bfrev_b32_e32 v0, 1
	s_mov_b32 s21, exec_lo
	buffer_store_dword v0, off, s[0:3], s32 offset:372 ; 4-byte Folded Spill
	v_cmpx_ne_u16_e32 0x80, v8
	s_cbranch_execz .LBB329_378
; %bb.373:                              ;   in Loop: Header=BB329_11 Depth=1
	v_mov_b32_e32 v0, 0x7f
	s_mov_b32 s22, exec_lo
	v_and_b32_sdwa v2, v8, v0 dst_sel:DWORD dst_unused:UNUSED_PAD src0_sel:WORD_0 src1_sel:DWORD
	v_mov_b32_e32 v0, 0x7c010000
	buffer_store_dword v0, off, s[0:3], s32 offset:372 ; 4-byte Folded Spill
	v_cmpx_ne_u32_e32 0x7f, v2
	s_cbranch_execz .LBB329_377
; %bb.374:                              ;   in Loop: Header=BB329_11 Depth=1
	v_mov_b32_e32 v0, 7
	v_lshrrev_b32_e32 v1, 3, v2
	s_mov_b32 s23, exec_lo
	v_and_b32_sdwa v0, v8, v0 dst_sel:DWORD dst_unused:UNUSED_PAD src0_sel:WORD_0 src1_sel:DWORD
	v_cmpx_gt_u32_e32 8, v2
; %bb.375:                              ;   in Loop: Header=BB329_11 Depth=1
	v_ffbh_u32_e32 v0, v0
	v_min_u32_e32 v2, 32, v0
	v_subrev_nc_u32_e32 v0, 28, v2
	v_lshlrev_b64 v[0:1], v0, v[8:9]
	v_sub_nc_u32_e32 v1, 29, v2
	v_and_b32_e32 v0, 7, v0
; %bb.376:                              ;   in Loop: Header=BB329_11 Depth=1
	s_or_b32 exec_lo, exec_lo, s23
	v_mov_b32_e32 v2, 8
	v_lshl_add_u32 v1, v1, 10, 0x2000
	v_lshlrev_b32_e32 v0, 23, v0
	v_lshlrev_b32_sdwa v2, v2, v8 dst_sel:DWORD dst_unused:UNUSED_PAD src0_sel:DWORD src1_sel:WORD_0
	v_and_or_b32 v1, 0x8000, v2, v1
	v_lshl_or_b32 v0, v1, 16, v0
	buffer_store_dword v0, off, s[0:3], s32 offset:372 ; 4-byte Folded Spill
.LBB329_377:                            ;   in Loop: Header=BB329_11 Depth=1
	s_or_b32 exec_lo, exec_lo, s22
.LBB329_378:                            ;   in Loop: Header=BB329_11 Depth=1
	s_or_b32 exec_lo, exec_lo, s21
.LBB329_379:                            ;   in Loop: Header=BB329_11 Depth=1
	s_or_b32 exec_lo, exec_lo, s20
	v_lshrrev_b32_e32 v8, 16, v31
	v_cmp_ne_u16_sdwa s5, v8, v9 src0_sel:BYTE_0 src1_sel:DWORD
	s_and_saveexec_b32 s20, s5
	s_cbranch_execz .LBB329_387
; %bb.380:                              ;   in Loop: Header=BB329_11 Depth=1
	v_cmp_ne_u16_sdwa s5, v8, v124 src0_sel:BYTE_0 src1_sel:DWORD
	v_mov_b32_e32 v0, 0x8000
	buffer_store_dword v0, off, s[0:3], s32 offset:368 ; 4-byte Folded Spill
	s_and_saveexec_b32 s21, s5
	s_cbranch_execz .LBB329_386
; %bb.381:                              ;   in Loop: Header=BB329_11 Depth=1
	v_bfe_u32 v2, v31, 16, 7
	v_mov_b32_e32 v0, 0x7c01
	s_mov_b32 s22, exec_lo
	buffer_store_dword v0, off, s[0:3], s32 offset:368 ; 4-byte Folded Spill
	v_cmpx_ne_u32_e32 0x7f, v2
	s_cbranch_execz .LBB329_385
; %bb.382:                              ;   in Loop: Header=BB329_11 Depth=1
	v_and_b32_e32 v0, 7, v8
	v_lshrrev_b32_e32 v1, 3, v2
	s_mov_b32 s23, exec_lo
	v_cmpx_gt_u32_e32 8, v2
; %bb.383:                              ;   in Loop: Header=BB329_11 Depth=1
	v_ffbh_u32_e32 v0, v0
	v_min_u32_e32 v2, 32, v0
	v_subrev_nc_u32_e32 v0, 28, v2
	v_lshlrev_b64 v[0:1], v0, v[8:9]
	v_sub_nc_u32_e32 v1, 29, v2
	v_and_b32_e32 v0, 7, v0
; %bb.384:                              ;   in Loop: Header=BB329_11 Depth=1
	s_or_b32 exec_lo, exec_lo, s23
	v_lshlrev_b32_e32 v2, 8, v8
	v_lshl_add_u32 v1, v1, 10, 0x2000
	v_lshlrev_b32_e32 v0, 7, v0
	v_and_b32_e32 v2, 0x8000, v2
	v_and_b32_e32 v1, 0xfc00, v1
	v_or3_b32 v0, v2, v1, v0
	buffer_store_dword v0, off, s[0:3], s32 offset:368 ; 4-byte Folded Spill
.LBB329_385:                            ;   in Loop: Header=BB329_11 Depth=1
	s_or_b32 exec_lo, exec_lo, s22
.LBB329_386:                            ;   in Loop: Header=BB329_11 Depth=1
	s_or_b32 exec_lo, exec_lo, s21
.LBB329_387:                            ;   in Loop: Header=BB329_11 Depth=1
	s_or_b32 exec_lo, exec_lo, s20
	v_mov_b32_e32 v0, 0
	s_mov_b32 s20, exec_lo
	buffer_store_dword v0, off, s[0:3], s32 offset:380 ; 4-byte Folded Spill
	v_mov_b32_e32 v0, 0
	buffer_store_dword v0, off, s[0:3], s32 offset:376 ; 4-byte Folded Spill
	v_cmpx_lt_u64_e64 s[6:7], v[30:31]
	s_cbranch_execz .LBB329_395
; %bb.388:                              ;   in Loop: Header=BB329_11 Depth=1
	v_lshrrev_b32_e32 v8, 24, v31
	v_bfrev_b32_e32 v0, 1
	s_mov_b32 s21, exec_lo
	buffer_store_dword v0, off, s[0:3], s32 offset:376 ; 4-byte Folded Spill
	v_cmpx_ne_u32_e32 0x80, v8
	s_cbranch_execz .LBB329_394
; %bb.389:                              ;   in Loop: Header=BB329_11 Depth=1
	v_and_b32_e32 v2, 0x7f, v8
	v_mov_b32_e32 v0, 0x7c010000
	s_mov_b32 s22, exec_lo
	buffer_store_dword v0, off, s[0:3], s32 offset:376 ; 4-byte Folded Spill
	v_cmpx_ne_u32_e32 0x7f, v2
	s_cbranch_execz .LBB329_393
; %bb.390:                              ;   in Loop: Header=BB329_11 Depth=1
	v_and_b32_e32 v0, 7, v8
	v_lshrrev_b32_e32 v1, 3, v2
	s_mov_b32 s23, exec_lo
	v_cmpx_gt_u32_e32 8, v2
; %bb.391:                              ;   in Loop: Header=BB329_11 Depth=1
	v_ffbh_u32_e32 v0, v0
	v_min_u32_e32 v2, 32, v0
	v_subrev_nc_u32_e32 v0, 28, v2
	v_lshlrev_b64 v[0:1], v0, v[8:9]
	v_sub_nc_u32_e32 v1, 29, v2
	v_and_b32_e32 v0, 7, v0
; %bb.392:                              ;   in Loop: Header=BB329_11 Depth=1
	s_or_b32 exec_lo, exec_lo, s23
	v_lshlrev_b32_e32 v2, 8, v8
	v_lshl_add_u32 v1, v1, 10, 0x2000
	v_lshlrev_b32_e32 v0, 23, v0
	v_and_or_b32 v1, 0x8000, v2, v1
	v_lshl_or_b32 v0, v1, 16, v0
	buffer_store_dword v0, off, s[0:3], s32 offset:376 ; 4-byte Folded Spill
.LBB329_393:                            ;   in Loop: Header=BB329_11 Depth=1
	s_or_b32 exec_lo, exec_lo, s22
.LBB329_394:                            ;   in Loop: Header=BB329_11 Depth=1
	s_or_b32 exec_lo, exec_lo, s21
.LBB329_395:                            ;   in Loop: Header=BB329_11 Depth=1
	s_or_b32 exec_lo, exec_lo, s20
	flat_load_dwordx2 v[30:31], v[28:29] offset:1536
	s_waitcnt vmcnt(0) lgkmcnt(0)
	v_cmp_ne_u16_sdwa s5, v30, v9 src0_sel:BYTE_0 src1_sel:DWORD
	s_and_saveexec_b32 s20, s5
	s_cbranch_execz .LBB329_403
; %bb.396:                              ;   in Loop: Header=BB329_11 Depth=1
	v_cmp_ne_u16_sdwa s5, v30, v124 src0_sel:BYTE_0 src1_sel:DWORD
	v_mov_b32_e32 v0, 0x8000
	buffer_store_dword v0, off, s[0:3], s32 offset:380 ; 4-byte Folded Spill
	s_and_saveexec_b32 s21, s5
	s_cbranch_execz .LBB329_402
; %bb.397:                              ;   in Loop: Header=BB329_11 Depth=1
	v_and_b32_e32 v2, 0x7f, v30
	v_mov_b32_e32 v0, 0x7c01
	s_mov_b32 s22, exec_lo
	buffer_store_dword v0, off, s[0:3], s32 offset:380 ; 4-byte Folded Spill
	v_cmpx_ne_u32_e32 0x7f, v2
	s_cbranch_execz .LBB329_401
; %bb.398:                              ;   in Loop: Header=BB329_11 Depth=1
	v_and_b32_e32 v0, 7, v30
	v_lshrrev_b32_e32 v1, 3, v2
	s_mov_b32 s23, exec_lo
	v_cmpx_gt_u32_e32 8, v2
; %bb.399:                              ;   in Loop: Header=BB329_11 Depth=1
	v_ffbh_u32_e32 v0, v0
	v_min_u32_e32 v2, 32, v0
	v_subrev_nc_u32_e32 v0, 28, v2
	v_lshlrev_b64 v[0:1], v0, v[30:31]
	v_sub_nc_u32_e32 v1, 29, v2
	v_and_b32_e32 v0, 7, v0
; %bb.400:                              ;   in Loop: Header=BB329_11 Depth=1
	s_or_b32 exec_lo, exec_lo, s23
	v_lshlrev_b32_e32 v2, 8, v30
	v_lshl_add_u32 v1, v1, 10, 0x2000
	v_lshlrev_b32_e32 v0, 7, v0
	v_and_b32_e32 v2, 0x8000, v2
	v_and_b32_e32 v1, 0xfc00, v1
	v_or3_b32 v0, v2, v1, v0
	buffer_store_dword v0, off, s[0:3], s32 offset:380 ; 4-byte Folded Spill
.LBB329_401:                            ;   in Loop: Header=BB329_11 Depth=1
	s_or_b32 exec_lo, exec_lo, s22
.LBB329_402:                            ;   in Loop: Header=BB329_11 Depth=1
	s_or_b32 exec_lo, exec_lo, s21
.LBB329_403:                            ;   in Loop: Header=BB329_11 Depth=1
	s_or_b32 exec_lo, exec_lo, s20
	v_mov_b32_e32 v0, 0
	v_lshrrev_b16 v8, 8, v30
	s_mov_b32 s20, exec_lo
	buffer_store_dword v0, off, s[0:3], s32 offset:388 ; 4-byte Folded Spill
	v_mov_b32_e32 v0, 0
	buffer_store_dword v0, off, s[0:3], s32 offset:384 ; 4-byte Folded Spill
	v_cmpx_ne_u16_e32 0, v8
	s_cbranch_execz .LBB329_411
; %bb.404:                              ;   in Loop: Header=BB329_11 Depth=1
	v_bfrev_b32_e32 v0, 1
	s_mov_b32 s21, exec_lo
	buffer_store_dword v0, off, s[0:3], s32 offset:384 ; 4-byte Folded Spill
	v_cmpx_ne_u16_e32 0x80, v8
	s_cbranch_execz .LBB329_410
; %bb.405:                              ;   in Loop: Header=BB329_11 Depth=1
	v_mov_b32_e32 v0, 0x7f
	s_mov_b32 s22, exec_lo
	v_and_b32_sdwa v2, v8, v0 dst_sel:DWORD dst_unused:UNUSED_PAD src0_sel:WORD_0 src1_sel:DWORD
	v_mov_b32_e32 v0, 0x7c010000
	buffer_store_dword v0, off, s[0:3], s32 offset:384 ; 4-byte Folded Spill
	v_cmpx_ne_u32_e32 0x7f, v2
	s_cbranch_execz .LBB329_409
; %bb.406:                              ;   in Loop: Header=BB329_11 Depth=1
	v_mov_b32_e32 v0, 7
	v_lshrrev_b32_e32 v1, 3, v2
	s_mov_b32 s23, exec_lo
	v_and_b32_sdwa v0, v8, v0 dst_sel:DWORD dst_unused:UNUSED_PAD src0_sel:WORD_0 src1_sel:DWORD
	v_cmpx_gt_u32_e32 8, v2
; %bb.407:                              ;   in Loop: Header=BB329_11 Depth=1
	v_ffbh_u32_e32 v0, v0
	v_min_u32_e32 v2, 32, v0
	v_subrev_nc_u32_e32 v0, 28, v2
	v_lshlrev_b64 v[0:1], v0, v[8:9]
	v_sub_nc_u32_e32 v1, 29, v2
	v_and_b32_e32 v0, 7, v0
; %bb.408:                              ;   in Loop: Header=BB329_11 Depth=1
	s_or_b32 exec_lo, exec_lo, s23
	v_mov_b32_e32 v2, 8
	v_lshl_add_u32 v1, v1, 10, 0x2000
	v_lshlrev_b32_e32 v0, 23, v0
	v_lshlrev_b32_sdwa v2, v2, v8 dst_sel:DWORD dst_unused:UNUSED_PAD src0_sel:DWORD src1_sel:WORD_0
	v_and_or_b32 v1, 0x8000, v2, v1
	v_lshl_or_b32 v0, v1, 16, v0
	buffer_store_dword v0, off, s[0:3], s32 offset:384 ; 4-byte Folded Spill
.LBB329_409:                            ;   in Loop: Header=BB329_11 Depth=1
	s_or_b32 exec_lo, exec_lo, s22
.LBB329_410:                            ;   in Loop: Header=BB329_11 Depth=1
	s_or_b32 exec_lo, exec_lo, s21
.LBB329_411:                            ;   in Loop: Header=BB329_11 Depth=1
	s_or_b32 exec_lo, exec_lo, s20
	v_lshrrev_b32_e32 v8, 16, v30
	v_cmp_ne_u16_sdwa s5, v8, v9 src0_sel:BYTE_0 src1_sel:DWORD
	s_and_saveexec_b32 s20, s5
	s_cbranch_execz .LBB329_419
; %bb.412:                              ;   in Loop: Header=BB329_11 Depth=1
	v_cmp_ne_u16_sdwa s5, v8, v124 src0_sel:BYTE_0 src1_sel:DWORD
	v_mov_b32_e32 v0, 0x8000
	buffer_store_dword v0, off, s[0:3], s32 offset:388 ; 4-byte Folded Spill
	s_and_saveexec_b32 s21, s5
	s_cbranch_execz .LBB329_418
; %bb.413:                              ;   in Loop: Header=BB329_11 Depth=1
	v_bfe_u32 v2, v30, 16, 7
	v_mov_b32_e32 v0, 0x7c01
	s_mov_b32 s22, exec_lo
	buffer_store_dword v0, off, s[0:3], s32 offset:388 ; 4-byte Folded Spill
	v_cmpx_ne_u32_e32 0x7f, v2
	s_cbranch_execz .LBB329_417
; %bb.414:                              ;   in Loop: Header=BB329_11 Depth=1
	v_and_b32_e32 v0, 7, v8
	v_lshrrev_b32_e32 v1, 3, v2
	s_mov_b32 s23, exec_lo
	v_cmpx_gt_u32_e32 8, v2
; %bb.415:                              ;   in Loop: Header=BB329_11 Depth=1
	v_ffbh_u32_e32 v0, v0
	v_min_u32_e32 v2, 32, v0
	v_subrev_nc_u32_e32 v0, 28, v2
	v_lshlrev_b64 v[0:1], v0, v[8:9]
	v_sub_nc_u32_e32 v1, 29, v2
	v_and_b32_e32 v0, 7, v0
; %bb.416:                              ;   in Loop: Header=BB329_11 Depth=1
	s_or_b32 exec_lo, exec_lo, s23
	v_lshlrev_b32_e32 v2, 8, v8
	v_lshl_add_u32 v1, v1, 10, 0x2000
	v_lshlrev_b32_e32 v0, 7, v0
	v_and_b32_e32 v2, 0x8000, v2
	v_and_b32_e32 v1, 0xfc00, v1
	v_or3_b32 v0, v2, v1, v0
	buffer_store_dword v0, off, s[0:3], s32 offset:388 ; 4-byte Folded Spill
.LBB329_417:                            ;   in Loop: Header=BB329_11 Depth=1
	s_or_b32 exec_lo, exec_lo, s22
.LBB329_418:                            ;   in Loop: Header=BB329_11 Depth=1
	s_or_b32 exec_lo, exec_lo, s21
.LBB329_419:                            ;   in Loop: Header=BB329_11 Depth=1
	s_or_b32 exec_lo, exec_lo, s20
	v_mov_b32_e32 v0, 0
	s_mov_b32 s20, exec_lo
	buffer_store_dword v0, off, s[0:3], s32 offset:392 ; 4-byte Folded Spill
	v_mov_b32_e32 v0, 0
	buffer_store_dword v0, off, s[0:3], s32 offset:396 ; 4-byte Folded Spill
	v_cmpx_lt_u32_e32 0xffffff, v30
	s_cbranch_execz .LBB329_427
; %bb.420:                              ;   in Loop: Header=BB329_11 Depth=1
	v_lshrrev_b32_e32 v8, 24, v30
	v_bfrev_b32_e32 v0, 1
	s_mov_b32 s21, exec_lo
	buffer_store_dword v0, off, s[0:3], s32 offset:396 ; 4-byte Folded Spill
	v_cmpx_ne_u32_e32 0x80, v8
	s_cbranch_execz .LBB329_426
; %bb.421:                              ;   in Loop: Header=BB329_11 Depth=1
	v_and_b32_e32 v2, 0x7f, v8
	v_mov_b32_e32 v0, 0x7c010000
	s_mov_b32 s22, exec_lo
	buffer_store_dword v0, off, s[0:3], s32 offset:396 ; 4-byte Folded Spill
	v_cmpx_ne_u32_e32 0x7f, v2
	s_cbranch_execz .LBB329_425
; %bb.422:                              ;   in Loop: Header=BB329_11 Depth=1
	v_and_b32_e32 v0, 7, v8
	v_lshrrev_b32_e32 v1, 3, v2
	s_mov_b32 s23, exec_lo
	v_cmpx_gt_u32_e32 8, v2
; %bb.423:                              ;   in Loop: Header=BB329_11 Depth=1
	v_ffbh_u32_e32 v0, v0
	v_min_u32_e32 v2, 32, v0
	v_subrev_nc_u32_e32 v0, 28, v2
	v_lshlrev_b64 v[0:1], v0, v[8:9]
	v_sub_nc_u32_e32 v1, 29, v2
	v_and_b32_e32 v0, 7, v0
; %bb.424:                              ;   in Loop: Header=BB329_11 Depth=1
	s_or_b32 exec_lo, exec_lo, s23
	v_lshlrev_b32_e32 v2, 8, v8
	v_lshl_add_u32 v1, v1, 10, 0x2000
	v_lshlrev_b32_e32 v0, 23, v0
	v_and_or_b32 v1, 0x8000, v2, v1
	v_lshl_or_b32 v0, v1, 16, v0
	buffer_store_dword v0, off, s[0:3], s32 offset:396 ; 4-byte Folded Spill
.LBB329_425:                            ;   in Loop: Header=BB329_11 Depth=1
	s_or_b32 exec_lo, exec_lo, s22
.LBB329_426:                            ;   in Loop: Header=BB329_11 Depth=1
	s_or_b32 exec_lo, exec_lo, s21
.LBB329_427:                            ;   in Loop: Header=BB329_11 Depth=1
	s_or_b32 exec_lo, exec_lo, s20
	v_mov_b32_e32 v8, v31
	v_cmp_ne_u16_sdwa s5, v31, v9 src0_sel:BYTE_0 src1_sel:DWORD
	s_and_saveexec_b32 s20, s5
	s_cbranch_execz .LBB329_435
; %bb.428:                              ;   in Loop: Header=BB329_11 Depth=1
	v_cmp_ne_u16_sdwa s5, v31, v124 src0_sel:BYTE_0 src1_sel:DWORD
	v_mov_b32_e32 v0, 0x8000
	buffer_store_dword v0, off, s[0:3], s32 offset:392 ; 4-byte Folded Spill
	s_and_saveexec_b32 s21, s5
	s_cbranch_execz .LBB329_434
; %bb.429:                              ;   in Loop: Header=BB329_11 Depth=1
	v_and_b32_e32 v2, 0x7f, v31
	v_mov_b32_e32 v0, 0x7c01
	s_mov_b32 s22, exec_lo
	buffer_store_dword v0, off, s[0:3], s32 offset:392 ; 4-byte Folded Spill
	v_cmpx_ne_u32_e32 0x7f, v2
	s_cbranch_execz .LBB329_433
; %bb.430:                              ;   in Loop: Header=BB329_11 Depth=1
	v_and_b32_e32 v0, 7, v31
	v_lshrrev_b32_e32 v1, 3, v2
	s_mov_b32 s23, exec_lo
	v_cmpx_gt_u32_e32 8, v2
; %bb.431:                              ;   in Loop: Header=BB329_11 Depth=1
	v_ffbh_u32_e32 v0, v0
	v_min_u32_e32 v2, 32, v0
	v_subrev_nc_u32_e32 v0, 28, v2
	v_lshlrev_b64 v[0:1], v0, v[8:9]
	v_sub_nc_u32_e32 v1, 29, v2
	v_and_b32_e32 v0, 7, v0
; %bb.432:                              ;   in Loop: Header=BB329_11 Depth=1
	s_or_b32 exec_lo, exec_lo, s23
	v_lshlrev_b32_e32 v2, 8, v31
	v_lshl_add_u32 v1, v1, 10, 0x2000
	v_lshlrev_b32_e32 v0, 7, v0
	v_and_b32_e32 v2, 0x8000, v2
	v_and_b32_e32 v1, 0xfc00, v1
	v_or3_b32 v0, v2, v1, v0
	buffer_store_dword v0, off, s[0:3], s32 offset:392 ; 4-byte Folded Spill
.LBB329_433:                            ;   in Loop: Header=BB329_11 Depth=1
	s_or_b32 exec_lo, exec_lo, s22
.LBB329_434:                            ;   in Loop: Header=BB329_11 Depth=1
	s_or_b32 exec_lo, exec_lo, s21
.LBB329_435:                            ;   in Loop: Header=BB329_11 Depth=1
	s_or_b32 exec_lo, exec_lo, s20
	v_mov_b32_e32 v0, 0
	v_lshrrev_b16 v8, 8, v8
	s_mov_b32 s20, exec_lo
	buffer_store_dword v0, off, s[0:3], s32 offset:400 ; 4-byte Folded Spill
	v_mov_b32_e32 v0, 0
	buffer_store_dword v0, off, s[0:3], s32 offset:404 ; 4-byte Folded Spill
	v_cmpx_ne_u16_e32 0, v8
	s_cbranch_execz .LBB329_443
; %bb.436:                              ;   in Loop: Header=BB329_11 Depth=1
	v_bfrev_b32_e32 v0, 1
	s_mov_b32 s21, exec_lo
	buffer_store_dword v0, off, s[0:3], s32 offset:404 ; 4-byte Folded Spill
	v_cmpx_ne_u16_e32 0x80, v8
	s_cbranch_execz .LBB329_442
; %bb.437:                              ;   in Loop: Header=BB329_11 Depth=1
	v_mov_b32_e32 v0, 0x7f
	s_mov_b32 s22, exec_lo
	v_and_b32_sdwa v2, v8, v0 dst_sel:DWORD dst_unused:UNUSED_PAD src0_sel:WORD_0 src1_sel:DWORD
	v_mov_b32_e32 v0, 0x7c010000
	buffer_store_dword v0, off, s[0:3], s32 offset:404 ; 4-byte Folded Spill
	v_cmpx_ne_u32_e32 0x7f, v2
	s_cbranch_execz .LBB329_441
; %bb.438:                              ;   in Loop: Header=BB329_11 Depth=1
	v_mov_b32_e32 v0, 7
	v_lshrrev_b32_e32 v1, 3, v2
	s_mov_b32 s23, exec_lo
	v_and_b32_sdwa v0, v8, v0 dst_sel:DWORD dst_unused:UNUSED_PAD src0_sel:WORD_0 src1_sel:DWORD
	v_cmpx_gt_u32_e32 8, v2
; %bb.439:                              ;   in Loop: Header=BB329_11 Depth=1
	v_ffbh_u32_e32 v0, v0
	v_min_u32_e32 v2, 32, v0
	v_subrev_nc_u32_e32 v0, 28, v2
	v_lshlrev_b64 v[0:1], v0, v[8:9]
	v_sub_nc_u32_e32 v1, 29, v2
	v_and_b32_e32 v0, 7, v0
; %bb.440:                              ;   in Loop: Header=BB329_11 Depth=1
	s_or_b32 exec_lo, exec_lo, s23
	v_mov_b32_e32 v2, 8
	v_lshl_add_u32 v1, v1, 10, 0x2000
	v_lshlrev_b32_e32 v0, 23, v0
	v_lshlrev_b32_sdwa v2, v2, v8 dst_sel:DWORD dst_unused:UNUSED_PAD src0_sel:DWORD src1_sel:WORD_0
	v_and_or_b32 v1, 0x8000, v2, v1
	v_lshl_or_b32 v0, v1, 16, v0
	buffer_store_dword v0, off, s[0:3], s32 offset:404 ; 4-byte Folded Spill
.LBB329_441:                            ;   in Loop: Header=BB329_11 Depth=1
	s_or_b32 exec_lo, exec_lo, s22
.LBB329_442:                            ;   in Loop: Header=BB329_11 Depth=1
	s_or_b32 exec_lo, exec_lo, s21
.LBB329_443:                            ;   in Loop: Header=BB329_11 Depth=1
	s_or_b32 exec_lo, exec_lo, s20
	v_lshrrev_b32_e32 v8, 16, v31
	v_cmp_ne_u16_sdwa s5, v8, v9 src0_sel:BYTE_0 src1_sel:DWORD
	s_and_saveexec_b32 s20, s5
	s_cbranch_execz .LBB329_451
; %bb.444:                              ;   in Loop: Header=BB329_11 Depth=1
	v_cmp_ne_u16_sdwa s5, v8, v124 src0_sel:BYTE_0 src1_sel:DWORD
	v_mov_b32_e32 v0, 0x8000
	buffer_store_dword v0, off, s[0:3], s32 offset:400 ; 4-byte Folded Spill
	s_and_saveexec_b32 s21, s5
	s_cbranch_execz .LBB329_450
; %bb.445:                              ;   in Loop: Header=BB329_11 Depth=1
	v_bfe_u32 v2, v31, 16, 7
	v_mov_b32_e32 v0, 0x7c01
	s_mov_b32 s22, exec_lo
	buffer_store_dword v0, off, s[0:3], s32 offset:400 ; 4-byte Folded Spill
	v_cmpx_ne_u32_e32 0x7f, v2
	s_cbranch_execz .LBB329_449
; %bb.446:                              ;   in Loop: Header=BB329_11 Depth=1
	v_and_b32_e32 v0, 7, v8
	v_lshrrev_b32_e32 v1, 3, v2
	s_mov_b32 s23, exec_lo
	v_cmpx_gt_u32_e32 8, v2
; %bb.447:                              ;   in Loop: Header=BB329_11 Depth=1
	v_ffbh_u32_e32 v0, v0
	v_min_u32_e32 v2, 32, v0
	v_subrev_nc_u32_e32 v0, 28, v2
	v_lshlrev_b64 v[0:1], v0, v[8:9]
	v_sub_nc_u32_e32 v1, 29, v2
	v_and_b32_e32 v0, 7, v0
; %bb.448:                              ;   in Loop: Header=BB329_11 Depth=1
	s_or_b32 exec_lo, exec_lo, s23
	v_lshlrev_b32_e32 v2, 8, v8
	v_lshl_add_u32 v1, v1, 10, 0x2000
	v_lshlrev_b32_e32 v0, 7, v0
	v_and_b32_e32 v2, 0x8000, v2
	v_and_b32_e32 v1, 0xfc00, v1
	v_or3_b32 v0, v2, v1, v0
	buffer_store_dword v0, off, s[0:3], s32 offset:400 ; 4-byte Folded Spill
.LBB329_449:                            ;   in Loop: Header=BB329_11 Depth=1
	s_or_b32 exec_lo, exec_lo, s22
.LBB329_450:                            ;   in Loop: Header=BB329_11 Depth=1
	s_or_b32 exec_lo, exec_lo, s21
.LBB329_451:                            ;   in Loop: Header=BB329_11 Depth=1
	s_or_b32 exec_lo, exec_lo, s20
	v_mov_b32_e32 v0, 0
	s_mov_b32 s20, exec_lo
	buffer_store_dword v0, off, s[0:3], s32 offset:412 ; 4-byte Folded Spill
	v_mov_b32_e32 v0, 0
	buffer_store_dword v0, off, s[0:3], s32 offset:408 ; 4-byte Folded Spill
	v_cmpx_lt_u64_e64 s[6:7], v[30:31]
	s_cbranch_execz .LBB329_459
; %bb.452:                              ;   in Loop: Header=BB329_11 Depth=1
	v_lshrrev_b32_e32 v8, 24, v31
	v_bfrev_b32_e32 v0, 1
	s_mov_b32 s21, exec_lo
	buffer_store_dword v0, off, s[0:3], s32 offset:408 ; 4-byte Folded Spill
	v_cmpx_ne_u32_e32 0x80, v8
	s_cbranch_execz .LBB329_458
; %bb.453:                              ;   in Loop: Header=BB329_11 Depth=1
	v_and_b32_e32 v2, 0x7f, v8
	v_mov_b32_e32 v0, 0x7c010000
	s_mov_b32 s22, exec_lo
	buffer_store_dword v0, off, s[0:3], s32 offset:408 ; 4-byte Folded Spill
	v_cmpx_ne_u32_e32 0x7f, v2
	s_cbranch_execz .LBB329_457
; %bb.454:                              ;   in Loop: Header=BB329_11 Depth=1
	v_and_b32_e32 v0, 7, v8
	v_lshrrev_b32_e32 v1, 3, v2
	s_mov_b32 s23, exec_lo
	v_cmpx_gt_u32_e32 8, v2
; %bb.455:                              ;   in Loop: Header=BB329_11 Depth=1
	v_ffbh_u32_e32 v0, v0
	v_min_u32_e32 v2, 32, v0
	v_subrev_nc_u32_e32 v0, 28, v2
	v_lshlrev_b64 v[0:1], v0, v[8:9]
	v_sub_nc_u32_e32 v1, 29, v2
	v_and_b32_e32 v0, 7, v0
; %bb.456:                              ;   in Loop: Header=BB329_11 Depth=1
	s_or_b32 exec_lo, exec_lo, s23
	v_lshlrev_b32_e32 v2, 8, v8
	v_lshl_add_u32 v1, v1, 10, 0x2000
	v_lshlrev_b32_e32 v0, 23, v0
	v_and_or_b32 v1, 0x8000, v2, v1
	v_lshl_or_b32 v0, v1, 16, v0
	buffer_store_dword v0, off, s[0:3], s32 offset:408 ; 4-byte Folded Spill
.LBB329_457:                            ;   in Loop: Header=BB329_11 Depth=1
	s_or_b32 exec_lo, exec_lo, s22
.LBB329_458:                            ;   in Loop: Header=BB329_11 Depth=1
	s_or_b32 exec_lo, exec_lo, s21
.LBB329_459:                            ;   in Loop: Header=BB329_11 Depth=1
	s_or_b32 exec_lo, exec_lo, s20
	flat_load_dwordx2 v[30:31], v[28:29] offset:1544
	s_waitcnt vmcnt(0) lgkmcnt(0)
	v_cmp_ne_u16_sdwa s5, v30, v9 src0_sel:BYTE_0 src1_sel:DWORD
	s_and_saveexec_b32 s20, s5
	s_cbranch_execz .LBB329_467
; %bb.460:                              ;   in Loop: Header=BB329_11 Depth=1
	v_cmp_ne_u16_sdwa s5, v30, v124 src0_sel:BYTE_0 src1_sel:DWORD
	v_mov_b32_e32 v0, 0x8000
	buffer_store_dword v0, off, s[0:3], s32 offset:412 ; 4-byte Folded Spill
	s_and_saveexec_b32 s21, s5
	s_cbranch_execz .LBB329_466
; %bb.461:                              ;   in Loop: Header=BB329_11 Depth=1
	v_and_b32_e32 v2, 0x7f, v30
	v_mov_b32_e32 v0, 0x7c01
	s_mov_b32 s22, exec_lo
	buffer_store_dword v0, off, s[0:3], s32 offset:412 ; 4-byte Folded Spill
	v_cmpx_ne_u32_e32 0x7f, v2
	s_cbranch_execz .LBB329_465
; %bb.462:                              ;   in Loop: Header=BB329_11 Depth=1
	v_and_b32_e32 v0, 7, v30
	v_lshrrev_b32_e32 v1, 3, v2
	s_mov_b32 s23, exec_lo
	v_cmpx_gt_u32_e32 8, v2
; %bb.463:                              ;   in Loop: Header=BB329_11 Depth=1
	v_ffbh_u32_e32 v0, v0
	v_min_u32_e32 v2, 32, v0
	v_subrev_nc_u32_e32 v0, 28, v2
	v_lshlrev_b64 v[0:1], v0, v[30:31]
	v_sub_nc_u32_e32 v1, 29, v2
	v_and_b32_e32 v0, 7, v0
; %bb.464:                              ;   in Loop: Header=BB329_11 Depth=1
	s_or_b32 exec_lo, exec_lo, s23
	v_lshlrev_b32_e32 v2, 8, v30
	v_lshl_add_u32 v1, v1, 10, 0x2000
	v_lshlrev_b32_e32 v0, 7, v0
	v_and_b32_e32 v2, 0x8000, v2
	v_and_b32_e32 v1, 0xfc00, v1
	v_or3_b32 v0, v2, v1, v0
	buffer_store_dword v0, off, s[0:3], s32 offset:412 ; 4-byte Folded Spill
.LBB329_465:                            ;   in Loop: Header=BB329_11 Depth=1
	s_or_b32 exec_lo, exec_lo, s22
.LBB329_466:                            ;   in Loop: Header=BB329_11 Depth=1
	s_or_b32 exec_lo, exec_lo, s21
.LBB329_467:                            ;   in Loop: Header=BB329_11 Depth=1
	s_or_b32 exec_lo, exec_lo, s20
	v_mov_b32_e32 v0, 0
	v_lshrrev_b16 v8, 8, v30
	s_mov_b32 s20, exec_lo
	buffer_store_dword v0, off, s[0:3], s32 offset:420 ; 4-byte Folded Spill
	v_mov_b32_e32 v0, 0
	buffer_store_dword v0, off, s[0:3], s32 offset:416 ; 4-byte Folded Spill
	v_cmpx_ne_u16_e32 0, v8
	s_cbranch_execz .LBB329_475
; %bb.468:                              ;   in Loop: Header=BB329_11 Depth=1
	v_bfrev_b32_e32 v0, 1
	s_mov_b32 s21, exec_lo
	buffer_store_dword v0, off, s[0:3], s32 offset:416 ; 4-byte Folded Spill
	v_cmpx_ne_u16_e32 0x80, v8
	s_cbranch_execz .LBB329_474
; %bb.469:                              ;   in Loop: Header=BB329_11 Depth=1
	v_mov_b32_e32 v0, 0x7f
	s_mov_b32 s22, exec_lo
	v_and_b32_sdwa v2, v8, v0 dst_sel:DWORD dst_unused:UNUSED_PAD src0_sel:WORD_0 src1_sel:DWORD
	v_mov_b32_e32 v0, 0x7c010000
	buffer_store_dword v0, off, s[0:3], s32 offset:416 ; 4-byte Folded Spill
	v_cmpx_ne_u32_e32 0x7f, v2
	s_cbranch_execz .LBB329_473
; %bb.470:                              ;   in Loop: Header=BB329_11 Depth=1
	v_mov_b32_e32 v0, 7
	v_lshrrev_b32_e32 v1, 3, v2
	s_mov_b32 s23, exec_lo
	v_and_b32_sdwa v0, v8, v0 dst_sel:DWORD dst_unused:UNUSED_PAD src0_sel:WORD_0 src1_sel:DWORD
	v_cmpx_gt_u32_e32 8, v2
; %bb.471:                              ;   in Loop: Header=BB329_11 Depth=1
	v_ffbh_u32_e32 v0, v0
	v_min_u32_e32 v2, 32, v0
	v_subrev_nc_u32_e32 v0, 28, v2
	v_lshlrev_b64 v[0:1], v0, v[8:9]
	v_sub_nc_u32_e32 v1, 29, v2
	v_and_b32_e32 v0, 7, v0
; %bb.472:                              ;   in Loop: Header=BB329_11 Depth=1
	s_or_b32 exec_lo, exec_lo, s23
	v_mov_b32_e32 v2, 8
	v_lshl_add_u32 v1, v1, 10, 0x2000
	v_lshlrev_b32_e32 v0, 23, v0
	v_lshlrev_b32_sdwa v2, v2, v8 dst_sel:DWORD dst_unused:UNUSED_PAD src0_sel:DWORD src1_sel:WORD_0
	v_and_or_b32 v1, 0x8000, v2, v1
	v_lshl_or_b32 v0, v1, 16, v0
	buffer_store_dword v0, off, s[0:3], s32 offset:416 ; 4-byte Folded Spill
.LBB329_473:                            ;   in Loop: Header=BB329_11 Depth=1
	s_or_b32 exec_lo, exec_lo, s22
.LBB329_474:                            ;   in Loop: Header=BB329_11 Depth=1
	s_or_b32 exec_lo, exec_lo, s21
.LBB329_475:                            ;   in Loop: Header=BB329_11 Depth=1
	s_or_b32 exec_lo, exec_lo, s20
	v_lshrrev_b32_e32 v8, 16, v30
	v_cmp_ne_u16_sdwa s5, v8, v9 src0_sel:BYTE_0 src1_sel:DWORD
	s_and_saveexec_b32 s20, s5
	s_cbranch_execz .LBB329_483
; %bb.476:                              ;   in Loop: Header=BB329_11 Depth=1
	v_cmp_ne_u16_sdwa s5, v8, v124 src0_sel:BYTE_0 src1_sel:DWORD
	v_mov_b32_e32 v0, 0x8000
	buffer_store_dword v0, off, s[0:3], s32 offset:420 ; 4-byte Folded Spill
	s_and_saveexec_b32 s21, s5
	s_cbranch_execz .LBB329_482
; %bb.477:                              ;   in Loop: Header=BB329_11 Depth=1
	v_bfe_u32 v2, v30, 16, 7
	v_mov_b32_e32 v0, 0x7c01
	s_mov_b32 s22, exec_lo
	buffer_store_dword v0, off, s[0:3], s32 offset:420 ; 4-byte Folded Spill
	v_cmpx_ne_u32_e32 0x7f, v2
	s_cbranch_execz .LBB329_481
; %bb.478:                              ;   in Loop: Header=BB329_11 Depth=1
	v_and_b32_e32 v0, 7, v8
	v_lshrrev_b32_e32 v1, 3, v2
	s_mov_b32 s23, exec_lo
	v_cmpx_gt_u32_e32 8, v2
; %bb.479:                              ;   in Loop: Header=BB329_11 Depth=1
	v_ffbh_u32_e32 v0, v0
	v_min_u32_e32 v2, 32, v0
	v_subrev_nc_u32_e32 v0, 28, v2
	v_lshlrev_b64 v[0:1], v0, v[8:9]
	v_sub_nc_u32_e32 v1, 29, v2
	v_and_b32_e32 v0, 7, v0
; %bb.480:                              ;   in Loop: Header=BB329_11 Depth=1
	s_or_b32 exec_lo, exec_lo, s23
	v_lshlrev_b32_e32 v2, 8, v8
	v_lshl_add_u32 v1, v1, 10, 0x2000
	v_lshlrev_b32_e32 v0, 7, v0
	v_and_b32_e32 v2, 0x8000, v2
	v_and_b32_e32 v1, 0xfc00, v1
	v_or3_b32 v0, v2, v1, v0
	buffer_store_dword v0, off, s[0:3], s32 offset:420 ; 4-byte Folded Spill
.LBB329_481:                            ;   in Loop: Header=BB329_11 Depth=1
	s_or_b32 exec_lo, exec_lo, s22
.LBB329_482:                            ;   in Loop: Header=BB329_11 Depth=1
	s_or_b32 exec_lo, exec_lo, s21
.LBB329_483:                            ;   in Loop: Header=BB329_11 Depth=1
	s_or_b32 exec_lo, exec_lo, s20
	v_mov_b32_e32 v0, 0
	s_mov_b32 s20, exec_lo
	buffer_store_dword v0, off, s[0:3], s32 offset:424 ; 4-byte Folded Spill
	v_mov_b32_e32 v0, 0
	buffer_store_dword v0, off, s[0:3], s32 offset:428 ; 4-byte Folded Spill
	v_cmpx_lt_u32_e32 0xffffff, v30
	s_cbranch_execz .LBB329_491
; %bb.484:                              ;   in Loop: Header=BB329_11 Depth=1
	v_lshrrev_b32_e32 v8, 24, v30
	v_bfrev_b32_e32 v0, 1
	s_mov_b32 s21, exec_lo
	buffer_store_dword v0, off, s[0:3], s32 offset:428 ; 4-byte Folded Spill
	v_cmpx_ne_u32_e32 0x80, v8
	s_cbranch_execz .LBB329_490
; %bb.485:                              ;   in Loop: Header=BB329_11 Depth=1
	v_and_b32_e32 v2, 0x7f, v8
	v_mov_b32_e32 v0, 0x7c010000
	s_mov_b32 s22, exec_lo
	buffer_store_dword v0, off, s[0:3], s32 offset:428 ; 4-byte Folded Spill
	v_cmpx_ne_u32_e32 0x7f, v2
	s_cbranch_execz .LBB329_489
; %bb.486:                              ;   in Loop: Header=BB329_11 Depth=1
	v_and_b32_e32 v0, 7, v8
	v_lshrrev_b32_e32 v1, 3, v2
	s_mov_b32 s23, exec_lo
	v_cmpx_gt_u32_e32 8, v2
; %bb.487:                              ;   in Loop: Header=BB329_11 Depth=1
	v_ffbh_u32_e32 v0, v0
	v_min_u32_e32 v2, 32, v0
	v_subrev_nc_u32_e32 v0, 28, v2
	v_lshlrev_b64 v[0:1], v0, v[8:9]
	v_sub_nc_u32_e32 v1, 29, v2
	v_and_b32_e32 v0, 7, v0
; %bb.488:                              ;   in Loop: Header=BB329_11 Depth=1
	s_or_b32 exec_lo, exec_lo, s23
	v_lshlrev_b32_e32 v2, 8, v8
	v_lshl_add_u32 v1, v1, 10, 0x2000
	v_lshlrev_b32_e32 v0, 23, v0
	v_and_or_b32 v1, 0x8000, v2, v1
	v_lshl_or_b32 v0, v1, 16, v0
	buffer_store_dword v0, off, s[0:3], s32 offset:428 ; 4-byte Folded Spill
.LBB329_489:                            ;   in Loop: Header=BB329_11 Depth=1
	s_or_b32 exec_lo, exec_lo, s22
.LBB329_490:                            ;   in Loop: Header=BB329_11 Depth=1
	s_or_b32 exec_lo, exec_lo, s21
.LBB329_491:                            ;   in Loop: Header=BB329_11 Depth=1
	s_or_b32 exec_lo, exec_lo, s20
	v_mov_b32_e32 v8, v31
	v_cmp_ne_u16_sdwa s5, v31, v9 src0_sel:BYTE_0 src1_sel:DWORD
	s_and_saveexec_b32 s20, s5
	s_cbranch_execz .LBB329_499
; %bb.492:                              ;   in Loop: Header=BB329_11 Depth=1
	v_cmp_ne_u16_sdwa s5, v31, v124 src0_sel:BYTE_0 src1_sel:DWORD
	v_mov_b32_e32 v0, 0x8000
	buffer_store_dword v0, off, s[0:3], s32 offset:424 ; 4-byte Folded Spill
	s_and_saveexec_b32 s21, s5
	s_cbranch_execz .LBB329_498
; %bb.493:                              ;   in Loop: Header=BB329_11 Depth=1
	v_and_b32_e32 v2, 0x7f, v31
	v_mov_b32_e32 v0, 0x7c01
	s_mov_b32 s22, exec_lo
	buffer_store_dword v0, off, s[0:3], s32 offset:424 ; 4-byte Folded Spill
	v_cmpx_ne_u32_e32 0x7f, v2
	s_cbranch_execz .LBB329_497
; %bb.494:                              ;   in Loop: Header=BB329_11 Depth=1
	v_and_b32_e32 v0, 7, v31
	v_lshrrev_b32_e32 v1, 3, v2
	s_mov_b32 s23, exec_lo
	v_cmpx_gt_u32_e32 8, v2
; %bb.495:                              ;   in Loop: Header=BB329_11 Depth=1
	v_ffbh_u32_e32 v0, v0
	v_min_u32_e32 v2, 32, v0
	v_subrev_nc_u32_e32 v0, 28, v2
	v_lshlrev_b64 v[0:1], v0, v[8:9]
	v_sub_nc_u32_e32 v1, 29, v2
	v_and_b32_e32 v0, 7, v0
; %bb.496:                              ;   in Loop: Header=BB329_11 Depth=1
	s_or_b32 exec_lo, exec_lo, s23
	v_lshlrev_b32_e32 v2, 8, v31
	v_lshl_add_u32 v1, v1, 10, 0x2000
	v_lshlrev_b32_e32 v0, 7, v0
	v_and_b32_e32 v2, 0x8000, v2
	v_and_b32_e32 v1, 0xfc00, v1
	v_or3_b32 v0, v2, v1, v0
	buffer_store_dword v0, off, s[0:3], s32 offset:424 ; 4-byte Folded Spill
.LBB329_497:                            ;   in Loop: Header=BB329_11 Depth=1
	s_or_b32 exec_lo, exec_lo, s22
.LBB329_498:                            ;   in Loop: Header=BB329_11 Depth=1
	s_or_b32 exec_lo, exec_lo, s21
.LBB329_499:                            ;   in Loop: Header=BB329_11 Depth=1
	s_or_b32 exec_lo, exec_lo, s20
	v_mov_b32_e32 v0, 0
	v_lshrrev_b16 v8, 8, v8
	s_mov_b32 s20, exec_lo
	buffer_store_dword v0, off, s[0:3], s32 offset:432 ; 4-byte Folded Spill
	v_mov_b32_e32 v0, 0
	buffer_store_dword v0, off, s[0:3], s32 offset:436 ; 4-byte Folded Spill
	v_cmpx_ne_u16_e32 0, v8
	s_cbranch_execz .LBB329_507
; %bb.500:                              ;   in Loop: Header=BB329_11 Depth=1
	v_bfrev_b32_e32 v0, 1
	s_mov_b32 s21, exec_lo
	buffer_store_dword v0, off, s[0:3], s32 offset:436 ; 4-byte Folded Spill
	v_cmpx_ne_u16_e32 0x80, v8
	s_cbranch_execz .LBB329_506
; %bb.501:                              ;   in Loop: Header=BB329_11 Depth=1
	v_mov_b32_e32 v0, 0x7f
	s_mov_b32 s22, exec_lo
	v_and_b32_sdwa v2, v8, v0 dst_sel:DWORD dst_unused:UNUSED_PAD src0_sel:WORD_0 src1_sel:DWORD
	v_mov_b32_e32 v0, 0x7c010000
	buffer_store_dword v0, off, s[0:3], s32 offset:436 ; 4-byte Folded Spill
	v_cmpx_ne_u32_e32 0x7f, v2
	s_cbranch_execz .LBB329_505
; %bb.502:                              ;   in Loop: Header=BB329_11 Depth=1
	v_mov_b32_e32 v0, 7
	v_lshrrev_b32_e32 v1, 3, v2
	s_mov_b32 s23, exec_lo
	v_and_b32_sdwa v0, v8, v0 dst_sel:DWORD dst_unused:UNUSED_PAD src0_sel:WORD_0 src1_sel:DWORD
	v_cmpx_gt_u32_e32 8, v2
; %bb.503:                              ;   in Loop: Header=BB329_11 Depth=1
	v_ffbh_u32_e32 v0, v0
	v_min_u32_e32 v2, 32, v0
	v_subrev_nc_u32_e32 v0, 28, v2
	v_lshlrev_b64 v[0:1], v0, v[8:9]
	v_sub_nc_u32_e32 v1, 29, v2
	v_and_b32_e32 v0, 7, v0
; %bb.504:                              ;   in Loop: Header=BB329_11 Depth=1
	s_or_b32 exec_lo, exec_lo, s23
	v_mov_b32_e32 v2, 8
	v_lshl_add_u32 v1, v1, 10, 0x2000
	v_lshlrev_b32_e32 v0, 23, v0
	v_lshlrev_b32_sdwa v2, v2, v8 dst_sel:DWORD dst_unused:UNUSED_PAD src0_sel:DWORD src1_sel:WORD_0
	v_and_or_b32 v1, 0x8000, v2, v1
	v_lshl_or_b32 v0, v1, 16, v0
	buffer_store_dword v0, off, s[0:3], s32 offset:436 ; 4-byte Folded Spill
.LBB329_505:                            ;   in Loop: Header=BB329_11 Depth=1
	s_or_b32 exec_lo, exec_lo, s22
.LBB329_506:                            ;   in Loop: Header=BB329_11 Depth=1
	s_or_b32 exec_lo, exec_lo, s21
.LBB329_507:                            ;   in Loop: Header=BB329_11 Depth=1
	s_or_b32 exec_lo, exec_lo, s20
	v_lshrrev_b32_e32 v8, 16, v31
	v_cmp_ne_u16_sdwa s5, v8, v9 src0_sel:BYTE_0 src1_sel:DWORD
	s_and_saveexec_b32 s20, s5
	s_cbranch_execz .LBB329_515
; %bb.508:                              ;   in Loop: Header=BB329_11 Depth=1
	v_cmp_ne_u16_sdwa s5, v8, v124 src0_sel:BYTE_0 src1_sel:DWORD
	v_mov_b32_e32 v0, 0x8000
	buffer_store_dword v0, off, s[0:3], s32 offset:432 ; 4-byte Folded Spill
	s_and_saveexec_b32 s21, s5
	s_cbranch_execz .LBB329_514
; %bb.509:                              ;   in Loop: Header=BB329_11 Depth=1
	v_bfe_u32 v2, v31, 16, 7
	v_mov_b32_e32 v0, 0x7c01
	s_mov_b32 s22, exec_lo
	buffer_store_dword v0, off, s[0:3], s32 offset:432 ; 4-byte Folded Spill
	v_cmpx_ne_u32_e32 0x7f, v2
	s_cbranch_execz .LBB329_513
; %bb.510:                              ;   in Loop: Header=BB329_11 Depth=1
	v_and_b32_e32 v0, 7, v8
	v_lshrrev_b32_e32 v1, 3, v2
	s_mov_b32 s23, exec_lo
	v_cmpx_gt_u32_e32 8, v2
; %bb.511:                              ;   in Loop: Header=BB329_11 Depth=1
	v_ffbh_u32_e32 v0, v0
	v_min_u32_e32 v2, 32, v0
	v_subrev_nc_u32_e32 v0, 28, v2
	v_lshlrev_b64 v[0:1], v0, v[8:9]
	v_sub_nc_u32_e32 v1, 29, v2
	v_and_b32_e32 v0, 7, v0
; %bb.512:                              ;   in Loop: Header=BB329_11 Depth=1
	s_or_b32 exec_lo, exec_lo, s23
	v_lshlrev_b32_e32 v2, 8, v8
	v_lshl_add_u32 v1, v1, 10, 0x2000
	v_lshlrev_b32_e32 v0, 7, v0
	v_and_b32_e32 v2, 0x8000, v2
	v_and_b32_e32 v1, 0xfc00, v1
	v_or3_b32 v0, v2, v1, v0
	buffer_store_dword v0, off, s[0:3], s32 offset:432 ; 4-byte Folded Spill
.LBB329_513:                            ;   in Loop: Header=BB329_11 Depth=1
	s_or_b32 exec_lo, exec_lo, s22
.LBB329_514:                            ;   in Loop: Header=BB329_11 Depth=1
	s_or_b32 exec_lo, exec_lo, s21
.LBB329_515:                            ;   in Loop: Header=BB329_11 Depth=1
	s_or_b32 exec_lo, exec_lo, s20
	v_mov_b32_e32 v0, 0
	s_mov_b32 s20, exec_lo
	buffer_store_dword v0, off, s[0:3], s32 offset:444 ; 4-byte Folded Spill
	v_mov_b32_e32 v0, 0
	buffer_store_dword v0, off, s[0:3], s32 offset:440 ; 4-byte Folded Spill
	v_cmpx_lt_u64_e64 s[6:7], v[30:31]
	s_cbranch_execz .LBB329_523
; %bb.516:                              ;   in Loop: Header=BB329_11 Depth=1
	v_lshrrev_b32_e32 v8, 24, v31
	v_bfrev_b32_e32 v0, 1
	s_mov_b32 s21, exec_lo
	buffer_store_dword v0, off, s[0:3], s32 offset:440 ; 4-byte Folded Spill
	v_cmpx_ne_u32_e32 0x80, v8
	s_cbranch_execz .LBB329_522
; %bb.517:                              ;   in Loop: Header=BB329_11 Depth=1
	v_and_b32_e32 v2, 0x7f, v8
	v_mov_b32_e32 v0, 0x7c010000
	s_mov_b32 s22, exec_lo
	buffer_store_dword v0, off, s[0:3], s32 offset:440 ; 4-byte Folded Spill
	v_cmpx_ne_u32_e32 0x7f, v2
	s_cbranch_execz .LBB329_521
; %bb.518:                              ;   in Loop: Header=BB329_11 Depth=1
	v_and_b32_e32 v0, 7, v8
	v_lshrrev_b32_e32 v1, 3, v2
	s_mov_b32 s23, exec_lo
	v_cmpx_gt_u32_e32 8, v2
; %bb.519:                              ;   in Loop: Header=BB329_11 Depth=1
	v_ffbh_u32_e32 v0, v0
	v_min_u32_e32 v2, 32, v0
	v_subrev_nc_u32_e32 v0, 28, v2
	v_lshlrev_b64 v[0:1], v0, v[8:9]
	v_sub_nc_u32_e32 v1, 29, v2
	v_and_b32_e32 v0, 7, v0
; %bb.520:                              ;   in Loop: Header=BB329_11 Depth=1
	s_or_b32 exec_lo, exec_lo, s23
	v_lshlrev_b32_e32 v2, 8, v8
	v_lshl_add_u32 v1, v1, 10, 0x2000
	v_lshlrev_b32_e32 v0, 23, v0
	v_and_or_b32 v1, 0x8000, v2, v1
	v_lshl_or_b32 v0, v1, 16, v0
	buffer_store_dword v0, off, s[0:3], s32 offset:440 ; 4-byte Folded Spill
.LBB329_521:                            ;   in Loop: Header=BB329_11 Depth=1
	s_or_b32 exec_lo, exec_lo, s22
.LBB329_522:                            ;   in Loop: Header=BB329_11 Depth=1
	s_or_b32 exec_lo, exec_lo, s21
.LBB329_523:                            ;   in Loop: Header=BB329_11 Depth=1
	s_or_b32 exec_lo, exec_lo, s20
	v_add_co_u32 v30, s5, 0x800, v28
	v_add_co_ci_u32_e64 v31, null, 0, v29, s5
	flat_load_dwordx2 v[32:33], v[30:31]
	s_waitcnt vmcnt(0) lgkmcnt(0)
	v_cmp_ne_u16_sdwa s5, v32, v9 src0_sel:BYTE_0 src1_sel:DWORD
	s_and_saveexec_b32 s20, s5
	s_cbranch_execz .LBB329_531
; %bb.524:                              ;   in Loop: Header=BB329_11 Depth=1
	v_cmp_ne_u16_sdwa s5, v32, v124 src0_sel:BYTE_0 src1_sel:DWORD
	v_mov_b32_e32 v0, 0x8000
	buffer_store_dword v0, off, s[0:3], s32 offset:444 ; 4-byte Folded Spill
	s_and_saveexec_b32 s21, s5
	s_cbranch_execz .LBB329_530
; %bb.525:                              ;   in Loop: Header=BB329_11 Depth=1
	v_and_b32_e32 v2, 0x7f, v32
	v_mov_b32_e32 v0, 0x7c01
	s_mov_b32 s22, exec_lo
	buffer_store_dword v0, off, s[0:3], s32 offset:444 ; 4-byte Folded Spill
	v_cmpx_ne_u32_e32 0x7f, v2
	s_cbranch_execz .LBB329_529
; %bb.526:                              ;   in Loop: Header=BB329_11 Depth=1
	v_and_b32_e32 v0, 7, v32
	v_lshrrev_b32_e32 v1, 3, v2
	s_mov_b32 s23, exec_lo
	v_cmpx_gt_u32_e32 8, v2
; %bb.527:                              ;   in Loop: Header=BB329_11 Depth=1
	v_ffbh_u32_e32 v0, v0
	v_min_u32_e32 v2, 32, v0
	v_subrev_nc_u32_e32 v0, 28, v2
	v_lshlrev_b64 v[0:1], v0, v[32:33]
	v_sub_nc_u32_e32 v1, 29, v2
	v_and_b32_e32 v0, 7, v0
; %bb.528:                              ;   in Loop: Header=BB329_11 Depth=1
	s_or_b32 exec_lo, exec_lo, s23
	v_lshlrev_b32_e32 v2, 8, v32
	v_lshl_add_u32 v1, v1, 10, 0x2000
	v_lshlrev_b32_e32 v0, 7, v0
	v_and_b32_e32 v2, 0x8000, v2
	v_and_b32_e32 v1, 0xfc00, v1
	v_or3_b32 v0, v2, v1, v0
	buffer_store_dword v0, off, s[0:3], s32 offset:444 ; 4-byte Folded Spill
.LBB329_529:                            ;   in Loop: Header=BB329_11 Depth=1
	s_or_b32 exec_lo, exec_lo, s22
.LBB329_530:                            ;   in Loop: Header=BB329_11 Depth=1
	s_or_b32 exec_lo, exec_lo, s21
.LBB329_531:                            ;   in Loop: Header=BB329_11 Depth=1
	s_or_b32 exec_lo, exec_lo, s20
	v_mov_b32_e32 v0, 0
	v_lshrrev_b16 v8, 8, v32
	s_mov_b32 s20, exec_lo
	buffer_store_dword v0, off, s[0:3], s32 offset:452 ; 4-byte Folded Spill
	v_mov_b32_e32 v0, 0
	buffer_store_dword v0, off, s[0:3], s32 offset:448 ; 4-byte Folded Spill
	v_cmpx_ne_u16_e32 0, v8
	s_cbranch_execz .LBB329_539
; %bb.532:                              ;   in Loop: Header=BB329_11 Depth=1
	v_bfrev_b32_e32 v0, 1
	s_mov_b32 s21, exec_lo
	buffer_store_dword v0, off, s[0:3], s32 offset:448 ; 4-byte Folded Spill
	v_cmpx_ne_u16_e32 0x80, v8
	s_cbranch_execz .LBB329_538
; %bb.533:                              ;   in Loop: Header=BB329_11 Depth=1
	v_mov_b32_e32 v0, 0x7f
	s_mov_b32 s22, exec_lo
	v_and_b32_sdwa v2, v8, v0 dst_sel:DWORD dst_unused:UNUSED_PAD src0_sel:WORD_0 src1_sel:DWORD
	v_mov_b32_e32 v0, 0x7c010000
	buffer_store_dword v0, off, s[0:3], s32 offset:448 ; 4-byte Folded Spill
	v_cmpx_ne_u32_e32 0x7f, v2
	s_cbranch_execz .LBB329_537
; %bb.534:                              ;   in Loop: Header=BB329_11 Depth=1
	v_mov_b32_e32 v0, 7
	v_lshrrev_b32_e32 v1, 3, v2
	s_mov_b32 s23, exec_lo
	v_and_b32_sdwa v0, v8, v0 dst_sel:DWORD dst_unused:UNUSED_PAD src0_sel:WORD_0 src1_sel:DWORD
	v_cmpx_gt_u32_e32 8, v2
; %bb.535:                              ;   in Loop: Header=BB329_11 Depth=1
	v_ffbh_u32_e32 v0, v0
	v_min_u32_e32 v2, 32, v0
	v_subrev_nc_u32_e32 v0, 28, v2
	v_lshlrev_b64 v[0:1], v0, v[8:9]
	v_sub_nc_u32_e32 v1, 29, v2
	v_and_b32_e32 v0, 7, v0
; %bb.536:                              ;   in Loop: Header=BB329_11 Depth=1
	s_or_b32 exec_lo, exec_lo, s23
	v_mov_b32_e32 v2, 8
	v_lshl_add_u32 v1, v1, 10, 0x2000
	v_lshlrev_b32_e32 v0, 23, v0
	v_lshlrev_b32_sdwa v2, v2, v8 dst_sel:DWORD dst_unused:UNUSED_PAD src0_sel:DWORD src1_sel:WORD_0
	v_and_or_b32 v1, 0x8000, v2, v1
	v_lshl_or_b32 v0, v1, 16, v0
	buffer_store_dword v0, off, s[0:3], s32 offset:448 ; 4-byte Folded Spill
.LBB329_537:                            ;   in Loop: Header=BB329_11 Depth=1
	s_or_b32 exec_lo, exec_lo, s22
.LBB329_538:                            ;   in Loop: Header=BB329_11 Depth=1
	s_or_b32 exec_lo, exec_lo, s21
.LBB329_539:                            ;   in Loop: Header=BB329_11 Depth=1
	s_or_b32 exec_lo, exec_lo, s20
	v_lshrrev_b32_e32 v8, 16, v32
	v_cmp_ne_u16_sdwa s5, v8, v9 src0_sel:BYTE_0 src1_sel:DWORD
	s_and_saveexec_b32 s20, s5
	s_cbranch_execz .LBB329_547
; %bb.540:                              ;   in Loop: Header=BB329_11 Depth=1
	v_cmp_ne_u16_sdwa s5, v8, v124 src0_sel:BYTE_0 src1_sel:DWORD
	v_mov_b32_e32 v0, 0x8000
	buffer_store_dword v0, off, s[0:3], s32 offset:452 ; 4-byte Folded Spill
	s_and_saveexec_b32 s21, s5
	s_cbranch_execz .LBB329_546
; %bb.541:                              ;   in Loop: Header=BB329_11 Depth=1
	v_bfe_u32 v2, v32, 16, 7
	v_mov_b32_e32 v0, 0x7c01
	s_mov_b32 s22, exec_lo
	buffer_store_dword v0, off, s[0:3], s32 offset:452 ; 4-byte Folded Spill
	v_cmpx_ne_u32_e32 0x7f, v2
	s_cbranch_execz .LBB329_545
; %bb.542:                              ;   in Loop: Header=BB329_11 Depth=1
	v_and_b32_e32 v0, 7, v8
	v_lshrrev_b32_e32 v1, 3, v2
	s_mov_b32 s23, exec_lo
	v_cmpx_gt_u32_e32 8, v2
; %bb.543:                              ;   in Loop: Header=BB329_11 Depth=1
	v_ffbh_u32_e32 v0, v0
	v_min_u32_e32 v2, 32, v0
	v_subrev_nc_u32_e32 v0, 28, v2
	v_lshlrev_b64 v[0:1], v0, v[8:9]
	v_sub_nc_u32_e32 v1, 29, v2
	v_and_b32_e32 v0, 7, v0
; %bb.544:                              ;   in Loop: Header=BB329_11 Depth=1
	s_or_b32 exec_lo, exec_lo, s23
	v_lshlrev_b32_e32 v2, 8, v8
	v_lshl_add_u32 v1, v1, 10, 0x2000
	v_lshlrev_b32_e32 v0, 7, v0
	v_and_b32_e32 v2, 0x8000, v2
	v_and_b32_e32 v1, 0xfc00, v1
	v_or3_b32 v0, v2, v1, v0
	buffer_store_dword v0, off, s[0:3], s32 offset:452 ; 4-byte Folded Spill
.LBB329_545:                            ;   in Loop: Header=BB329_11 Depth=1
	s_or_b32 exec_lo, exec_lo, s22
.LBB329_546:                            ;   in Loop: Header=BB329_11 Depth=1
	s_or_b32 exec_lo, exec_lo, s21
.LBB329_547:                            ;   in Loop: Header=BB329_11 Depth=1
	s_or_b32 exec_lo, exec_lo, s20
	v_mov_b32_e32 v0, 0
	s_mov_b32 s20, exec_lo
	buffer_store_dword v0, off, s[0:3], s32 offset:456 ; 4-byte Folded Spill
	v_mov_b32_e32 v0, 0
	buffer_store_dword v0, off, s[0:3], s32 offset:460 ; 4-byte Folded Spill
	v_cmpx_lt_u32_e32 0xffffff, v32
	s_cbranch_execz .LBB329_555
; %bb.548:                              ;   in Loop: Header=BB329_11 Depth=1
	v_lshrrev_b32_e32 v8, 24, v32
	v_bfrev_b32_e32 v0, 1
	s_mov_b32 s21, exec_lo
	buffer_store_dword v0, off, s[0:3], s32 offset:460 ; 4-byte Folded Spill
	v_cmpx_ne_u32_e32 0x80, v8
	s_cbranch_execz .LBB329_554
; %bb.549:                              ;   in Loop: Header=BB329_11 Depth=1
	v_and_b32_e32 v2, 0x7f, v8
	v_mov_b32_e32 v0, 0x7c010000
	s_mov_b32 s22, exec_lo
	buffer_store_dword v0, off, s[0:3], s32 offset:460 ; 4-byte Folded Spill
	v_cmpx_ne_u32_e32 0x7f, v2
	s_cbranch_execz .LBB329_553
; %bb.550:                              ;   in Loop: Header=BB329_11 Depth=1
	v_and_b32_e32 v0, 7, v8
	v_lshrrev_b32_e32 v1, 3, v2
	s_mov_b32 s23, exec_lo
	v_cmpx_gt_u32_e32 8, v2
; %bb.551:                              ;   in Loop: Header=BB329_11 Depth=1
	v_ffbh_u32_e32 v0, v0
	v_min_u32_e32 v2, 32, v0
	v_subrev_nc_u32_e32 v0, 28, v2
	v_lshlrev_b64 v[0:1], v0, v[8:9]
	v_sub_nc_u32_e32 v1, 29, v2
	v_and_b32_e32 v0, 7, v0
; %bb.552:                              ;   in Loop: Header=BB329_11 Depth=1
	s_or_b32 exec_lo, exec_lo, s23
	v_lshlrev_b32_e32 v2, 8, v8
	v_lshl_add_u32 v1, v1, 10, 0x2000
	v_lshlrev_b32_e32 v0, 23, v0
	v_and_or_b32 v1, 0x8000, v2, v1
	v_lshl_or_b32 v0, v1, 16, v0
	buffer_store_dword v0, off, s[0:3], s32 offset:460 ; 4-byte Folded Spill
.LBB329_553:                            ;   in Loop: Header=BB329_11 Depth=1
	s_or_b32 exec_lo, exec_lo, s22
.LBB329_554:                            ;   in Loop: Header=BB329_11 Depth=1
	s_or_b32 exec_lo, exec_lo, s21
.LBB329_555:                            ;   in Loop: Header=BB329_11 Depth=1
	s_or_b32 exec_lo, exec_lo, s20
	v_mov_b32_e32 v8, v33
	v_cmp_ne_u16_sdwa s5, v33, v9 src0_sel:BYTE_0 src1_sel:DWORD
	s_and_saveexec_b32 s20, s5
	s_cbranch_execz .LBB329_563
; %bb.556:                              ;   in Loop: Header=BB329_11 Depth=1
	v_cmp_ne_u16_sdwa s5, v33, v124 src0_sel:BYTE_0 src1_sel:DWORD
	v_mov_b32_e32 v0, 0x8000
	buffer_store_dword v0, off, s[0:3], s32 offset:456 ; 4-byte Folded Spill
	s_and_saveexec_b32 s21, s5
	s_cbranch_execz .LBB329_562
; %bb.557:                              ;   in Loop: Header=BB329_11 Depth=1
	v_and_b32_e32 v2, 0x7f, v33
	v_mov_b32_e32 v0, 0x7c01
	s_mov_b32 s22, exec_lo
	buffer_store_dword v0, off, s[0:3], s32 offset:456 ; 4-byte Folded Spill
	v_cmpx_ne_u32_e32 0x7f, v2
	s_cbranch_execz .LBB329_561
; %bb.558:                              ;   in Loop: Header=BB329_11 Depth=1
	v_and_b32_e32 v0, 7, v33
	v_lshrrev_b32_e32 v1, 3, v2
	s_mov_b32 s23, exec_lo
	v_cmpx_gt_u32_e32 8, v2
; %bb.559:                              ;   in Loop: Header=BB329_11 Depth=1
	v_ffbh_u32_e32 v0, v0
	v_min_u32_e32 v2, 32, v0
	v_subrev_nc_u32_e32 v0, 28, v2
	v_lshlrev_b64 v[0:1], v0, v[8:9]
	v_sub_nc_u32_e32 v1, 29, v2
	v_and_b32_e32 v0, 7, v0
; %bb.560:                              ;   in Loop: Header=BB329_11 Depth=1
	s_or_b32 exec_lo, exec_lo, s23
	v_lshlrev_b32_e32 v2, 8, v33
	v_lshl_add_u32 v1, v1, 10, 0x2000
	v_lshlrev_b32_e32 v0, 7, v0
	v_and_b32_e32 v2, 0x8000, v2
	v_and_b32_e32 v1, 0xfc00, v1
	v_or3_b32 v0, v2, v1, v0
	buffer_store_dword v0, off, s[0:3], s32 offset:456 ; 4-byte Folded Spill
.LBB329_561:                            ;   in Loop: Header=BB329_11 Depth=1
	s_or_b32 exec_lo, exec_lo, s22
.LBB329_562:                            ;   in Loop: Header=BB329_11 Depth=1
	s_or_b32 exec_lo, exec_lo, s21
.LBB329_563:                            ;   in Loop: Header=BB329_11 Depth=1
	s_or_b32 exec_lo, exec_lo, s20
	v_mov_b32_e32 v0, 0
	v_lshrrev_b16 v8, 8, v8
	s_mov_b32 s20, exec_lo
	buffer_store_dword v0, off, s[0:3], s32 offset:464 ; 4-byte Folded Spill
	v_mov_b32_e32 v0, 0
	buffer_store_dword v0, off, s[0:3], s32 offset:468 ; 4-byte Folded Spill
	v_cmpx_ne_u16_e32 0, v8
	s_cbranch_execz .LBB329_571
; %bb.564:                              ;   in Loop: Header=BB329_11 Depth=1
	v_bfrev_b32_e32 v0, 1
	s_mov_b32 s21, exec_lo
	buffer_store_dword v0, off, s[0:3], s32 offset:468 ; 4-byte Folded Spill
	v_cmpx_ne_u16_e32 0x80, v8
	s_cbranch_execz .LBB329_570
; %bb.565:                              ;   in Loop: Header=BB329_11 Depth=1
	v_mov_b32_e32 v0, 0x7f
	s_mov_b32 s22, exec_lo
	v_and_b32_sdwa v2, v8, v0 dst_sel:DWORD dst_unused:UNUSED_PAD src0_sel:WORD_0 src1_sel:DWORD
	v_mov_b32_e32 v0, 0x7c010000
	buffer_store_dword v0, off, s[0:3], s32 offset:468 ; 4-byte Folded Spill
	v_cmpx_ne_u32_e32 0x7f, v2
	s_cbranch_execz .LBB329_569
; %bb.566:                              ;   in Loop: Header=BB329_11 Depth=1
	v_mov_b32_e32 v0, 7
	v_lshrrev_b32_e32 v1, 3, v2
	s_mov_b32 s23, exec_lo
	v_and_b32_sdwa v0, v8, v0 dst_sel:DWORD dst_unused:UNUSED_PAD src0_sel:WORD_0 src1_sel:DWORD
	v_cmpx_gt_u32_e32 8, v2
; %bb.567:                              ;   in Loop: Header=BB329_11 Depth=1
	v_ffbh_u32_e32 v0, v0
	v_min_u32_e32 v2, 32, v0
	v_subrev_nc_u32_e32 v0, 28, v2
	v_lshlrev_b64 v[0:1], v0, v[8:9]
	v_sub_nc_u32_e32 v1, 29, v2
	v_and_b32_e32 v0, 7, v0
; %bb.568:                              ;   in Loop: Header=BB329_11 Depth=1
	s_or_b32 exec_lo, exec_lo, s23
	v_mov_b32_e32 v2, 8
	v_lshl_add_u32 v1, v1, 10, 0x2000
	v_lshlrev_b32_e32 v0, 23, v0
	v_lshlrev_b32_sdwa v2, v2, v8 dst_sel:DWORD dst_unused:UNUSED_PAD src0_sel:DWORD src1_sel:WORD_0
	v_and_or_b32 v1, 0x8000, v2, v1
	v_lshl_or_b32 v0, v1, 16, v0
	buffer_store_dword v0, off, s[0:3], s32 offset:468 ; 4-byte Folded Spill
.LBB329_569:                            ;   in Loop: Header=BB329_11 Depth=1
	s_or_b32 exec_lo, exec_lo, s22
.LBB329_570:                            ;   in Loop: Header=BB329_11 Depth=1
	s_or_b32 exec_lo, exec_lo, s21
.LBB329_571:                            ;   in Loop: Header=BB329_11 Depth=1
	s_or_b32 exec_lo, exec_lo, s20
	v_lshrrev_b32_e32 v8, 16, v33
	v_cmp_ne_u16_sdwa s5, v8, v9 src0_sel:BYTE_0 src1_sel:DWORD
	s_and_saveexec_b32 s20, s5
	s_cbranch_execz .LBB329_579
; %bb.572:                              ;   in Loop: Header=BB329_11 Depth=1
	v_cmp_ne_u16_sdwa s5, v8, v124 src0_sel:BYTE_0 src1_sel:DWORD
	v_mov_b32_e32 v0, 0x8000
	buffer_store_dword v0, off, s[0:3], s32 offset:464 ; 4-byte Folded Spill
	s_and_saveexec_b32 s21, s5
	s_cbranch_execz .LBB329_578
; %bb.573:                              ;   in Loop: Header=BB329_11 Depth=1
	v_bfe_u32 v2, v33, 16, 7
	v_mov_b32_e32 v0, 0x7c01
	s_mov_b32 s22, exec_lo
	buffer_store_dword v0, off, s[0:3], s32 offset:464 ; 4-byte Folded Spill
	v_cmpx_ne_u32_e32 0x7f, v2
	s_cbranch_execz .LBB329_577
; %bb.574:                              ;   in Loop: Header=BB329_11 Depth=1
	v_and_b32_e32 v0, 7, v8
	v_lshrrev_b32_e32 v1, 3, v2
	s_mov_b32 s23, exec_lo
	v_cmpx_gt_u32_e32 8, v2
; %bb.575:                              ;   in Loop: Header=BB329_11 Depth=1
	v_ffbh_u32_e32 v0, v0
	v_min_u32_e32 v2, 32, v0
	v_subrev_nc_u32_e32 v0, 28, v2
	v_lshlrev_b64 v[0:1], v0, v[8:9]
	v_sub_nc_u32_e32 v1, 29, v2
	v_and_b32_e32 v0, 7, v0
; %bb.576:                              ;   in Loop: Header=BB329_11 Depth=1
	s_or_b32 exec_lo, exec_lo, s23
	v_lshlrev_b32_e32 v2, 8, v8
	v_lshl_add_u32 v1, v1, 10, 0x2000
	v_lshlrev_b32_e32 v0, 7, v0
	v_and_b32_e32 v2, 0x8000, v2
	v_and_b32_e32 v1, 0xfc00, v1
	v_or3_b32 v0, v2, v1, v0
	buffer_store_dword v0, off, s[0:3], s32 offset:464 ; 4-byte Folded Spill
.LBB329_577:                            ;   in Loop: Header=BB329_11 Depth=1
	s_or_b32 exec_lo, exec_lo, s22
.LBB329_578:                            ;   in Loop: Header=BB329_11 Depth=1
	s_or_b32 exec_lo, exec_lo, s21
.LBB329_579:                            ;   in Loop: Header=BB329_11 Depth=1
	s_or_b32 exec_lo, exec_lo, s20
	v_mov_b32_e32 v0, 0
	s_mov_b32 s20, exec_lo
	buffer_store_dword v0, off, s[0:3], s32 offset:472 ; 4-byte Folded Spill
	v_mov_b32_e32 v0, 0
	buffer_store_dword v0, off, s[0:3], s32 offset:748 ; 4-byte Folded Spill
	v_cmpx_lt_u64_e64 s[6:7], v[32:33]
	s_cbranch_execz .LBB329_587
; %bb.580:                              ;   in Loop: Header=BB329_11 Depth=1
	v_lshrrev_b32_e32 v8, 24, v33
	v_bfrev_b32_e32 v0, 1
	s_mov_b32 s21, exec_lo
	v_cmpx_ne_u32_e32 0x80, v8
	s_cbranch_execz .LBB329_586
; %bb.581:                              ;   in Loop: Header=BB329_11 Depth=1
	v_and_b32_e32 v2, 0x7f, v8
	v_mov_b32_e32 v0, 0x7c010000
	s_mov_b32 s22, exec_lo
	v_cmpx_ne_u32_e32 0x7f, v2
	s_cbranch_execz .LBB329_585
; %bb.582:                              ;   in Loop: Header=BB329_11 Depth=1
	v_and_b32_e32 v0, 7, v8
	v_lshrrev_b32_e32 v1, 3, v2
	s_mov_b32 s23, exec_lo
	v_cmpx_gt_u32_e32 8, v2
; %bb.583:                              ;   in Loop: Header=BB329_11 Depth=1
	v_ffbh_u32_e32 v0, v0
	v_min_u32_e32 v2, 32, v0
	v_subrev_nc_u32_e32 v0, 28, v2
	v_lshlrev_b64 v[0:1], v0, v[8:9]
	v_sub_nc_u32_e32 v1, 29, v2
	v_and_b32_e32 v0, 7, v0
; %bb.584:                              ;   in Loop: Header=BB329_11 Depth=1
	s_or_b32 exec_lo, exec_lo, s23
	v_lshlrev_b32_e32 v2, 8, v8
	v_lshl_add_u32 v1, v1, 10, 0x2000
	v_lshlrev_b32_e32 v0, 23, v0
	v_and_or_b32 v1, 0x8000, v2, v1
	v_lshl_or_b32 v0, v1, 16, v0
.LBB329_585:                            ;   in Loop: Header=BB329_11 Depth=1
	s_or_b32 exec_lo, exec_lo, s22
.LBB329_586:                            ;   in Loop: Header=BB329_11 Depth=1
	s_or_b32 exec_lo, exec_lo, s21
	buffer_store_dword v0, off, s[0:3], s32 offset:748 ; 4-byte Folded Spill
.LBB329_587:                            ;   in Loop: Header=BB329_11 Depth=1
	s_or_b32 exec_lo, exec_lo, s20
	flat_load_dwordx2 v[32:33], v[30:31] offset:8
	s_waitcnt vmcnt(0) lgkmcnt(0)
	v_cmp_ne_u16_sdwa s5, v32, v9 src0_sel:BYTE_0 src1_sel:DWORD
	s_and_saveexec_b32 s20, s5
	s_cbranch_execz .LBB329_595
; %bb.588:                              ;   in Loop: Header=BB329_11 Depth=1
	v_cmp_ne_u16_sdwa s5, v32, v124 src0_sel:BYTE_0 src1_sel:DWORD
	v_mov_b32_e32 v0, 0x8000
	buffer_store_dword v0, off, s[0:3], s32 offset:472 ; 4-byte Folded Spill
	s_and_saveexec_b32 s21, s5
	s_cbranch_execz .LBB329_594
; %bb.589:                              ;   in Loop: Header=BB329_11 Depth=1
	v_and_b32_e32 v2, 0x7f, v32
	v_mov_b32_e32 v0, 0x7c01
	s_mov_b32 s22, exec_lo
	buffer_store_dword v0, off, s[0:3], s32 offset:472 ; 4-byte Folded Spill
	v_cmpx_ne_u32_e32 0x7f, v2
	s_cbranch_execz .LBB329_593
; %bb.590:                              ;   in Loop: Header=BB329_11 Depth=1
	v_and_b32_e32 v0, 7, v32
	v_lshrrev_b32_e32 v1, 3, v2
	s_mov_b32 s23, exec_lo
	v_cmpx_gt_u32_e32 8, v2
; %bb.591:                              ;   in Loop: Header=BB329_11 Depth=1
	v_ffbh_u32_e32 v0, v0
	v_min_u32_e32 v2, 32, v0
	v_subrev_nc_u32_e32 v0, 28, v2
	v_lshlrev_b64 v[0:1], v0, v[32:33]
	v_sub_nc_u32_e32 v1, 29, v2
	v_and_b32_e32 v0, 7, v0
; %bb.592:                              ;   in Loop: Header=BB329_11 Depth=1
	s_or_b32 exec_lo, exec_lo, s23
	v_lshlrev_b32_e32 v2, 8, v32
	v_lshl_add_u32 v1, v1, 10, 0x2000
	v_lshlrev_b32_e32 v0, 7, v0
	v_and_b32_e32 v2, 0x8000, v2
	v_and_b32_e32 v1, 0xfc00, v1
	v_or3_b32 v0, v2, v1, v0
	buffer_store_dword v0, off, s[0:3], s32 offset:472 ; 4-byte Folded Spill
.LBB329_593:                            ;   in Loop: Header=BB329_11 Depth=1
	s_or_b32 exec_lo, exec_lo, s22
.LBB329_594:                            ;   in Loop: Header=BB329_11 Depth=1
	s_or_b32 exec_lo, exec_lo, s21
.LBB329_595:                            ;   in Loop: Header=BB329_11 Depth=1
	s_or_b32 exec_lo, exec_lo, s20
	v_mov_b32_e32 v0, 0
	v_lshrrev_b16 v8, 8, v32
	s_mov_b32 s20, exec_lo
	buffer_store_dword v0, off, s[0:3], s32 offset:480 ; 4-byte Folded Spill
	v_mov_b32_e32 v0, 0
	buffer_store_dword v0, off, s[0:3], s32 offset:476 ; 4-byte Folded Spill
	v_cmpx_ne_u16_e32 0, v8
	s_cbranch_execz .LBB329_603
; %bb.596:                              ;   in Loop: Header=BB329_11 Depth=1
	v_bfrev_b32_e32 v0, 1
	s_mov_b32 s21, exec_lo
	buffer_store_dword v0, off, s[0:3], s32 offset:476 ; 4-byte Folded Spill
	v_cmpx_ne_u16_e32 0x80, v8
	s_cbranch_execz .LBB329_602
; %bb.597:                              ;   in Loop: Header=BB329_11 Depth=1
	v_mov_b32_e32 v0, 0x7f
	s_mov_b32 s22, exec_lo
	v_and_b32_sdwa v2, v8, v0 dst_sel:DWORD dst_unused:UNUSED_PAD src0_sel:WORD_0 src1_sel:DWORD
	v_mov_b32_e32 v0, 0x7c010000
	buffer_store_dword v0, off, s[0:3], s32 offset:476 ; 4-byte Folded Spill
	v_cmpx_ne_u32_e32 0x7f, v2
	s_cbranch_execz .LBB329_601
; %bb.598:                              ;   in Loop: Header=BB329_11 Depth=1
	v_mov_b32_e32 v0, 7
	v_lshrrev_b32_e32 v1, 3, v2
	s_mov_b32 s23, exec_lo
	v_and_b32_sdwa v0, v8, v0 dst_sel:DWORD dst_unused:UNUSED_PAD src0_sel:WORD_0 src1_sel:DWORD
	v_cmpx_gt_u32_e32 8, v2
; %bb.599:                              ;   in Loop: Header=BB329_11 Depth=1
	v_ffbh_u32_e32 v0, v0
	v_min_u32_e32 v2, 32, v0
	v_subrev_nc_u32_e32 v0, 28, v2
	v_lshlrev_b64 v[0:1], v0, v[8:9]
	v_sub_nc_u32_e32 v1, 29, v2
	v_and_b32_e32 v0, 7, v0
; %bb.600:                              ;   in Loop: Header=BB329_11 Depth=1
	s_or_b32 exec_lo, exec_lo, s23
	v_mov_b32_e32 v2, 8
	v_lshl_add_u32 v1, v1, 10, 0x2000
	v_lshlrev_b32_e32 v0, 23, v0
	v_lshlrev_b32_sdwa v2, v2, v8 dst_sel:DWORD dst_unused:UNUSED_PAD src0_sel:DWORD src1_sel:WORD_0
	v_and_or_b32 v1, 0x8000, v2, v1
	v_lshl_or_b32 v0, v1, 16, v0
	buffer_store_dword v0, off, s[0:3], s32 offset:476 ; 4-byte Folded Spill
.LBB329_601:                            ;   in Loop: Header=BB329_11 Depth=1
	s_or_b32 exec_lo, exec_lo, s22
.LBB329_602:                            ;   in Loop: Header=BB329_11 Depth=1
	s_or_b32 exec_lo, exec_lo, s21
.LBB329_603:                            ;   in Loop: Header=BB329_11 Depth=1
	s_or_b32 exec_lo, exec_lo, s20
	v_lshrrev_b32_e32 v8, 16, v32
	v_cmp_ne_u16_sdwa s5, v8, v9 src0_sel:BYTE_0 src1_sel:DWORD
	s_and_saveexec_b32 s20, s5
	s_cbranch_execz .LBB329_611
; %bb.604:                              ;   in Loop: Header=BB329_11 Depth=1
	v_cmp_ne_u16_sdwa s5, v8, v124 src0_sel:BYTE_0 src1_sel:DWORD
	v_mov_b32_e32 v0, 0x8000
	buffer_store_dword v0, off, s[0:3], s32 offset:480 ; 4-byte Folded Spill
	s_and_saveexec_b32 s21, s5
	s_cbranch_execz .LBB329_610
; %bb.605:                              ;   in Loop: Header=BB329_11 Depth=1
	v_bfe_u32 v2, v32, 16, 7
	v_mov_b32_e32 v0, 0x7c01
	s_mov_b32 s22, exec_lo
	buffer_store_dword v0, off, s[0:3], s32 offset:480 ; 4-byte Folded Spill
	v_cmpx_ne_u32_e32 0x7f, v2
	s_cbranch_execz .LBB329_609
; %bb.606:                              ;   in Loop: Header=BB329_11 Depth=1
	v_and_b32_e32 v0, 7, v8
	v_lshrrev_b32_e32 v1, 3, v2
	s_mov_b32 s23, exec_lo
	v_cmpx_gt_u32_e32 8, v2
; %bb.607:                              ;   in Loop: Header=BB329_11 Depth=1
	v_ffbh_u32_e32 v0, v0
	v_min_u32_e32 v2, 32, v0
	v_subrev_nc_u32_e32 v0, 28, v2
	v_lshlrev_b64 v[0:1], v0, v[8:9]
	v_sub_nc_u32_e32 v1, 29, v2
	v_and_b32_e32 v0, 7, v0
; %bb.608:                              ;   in Loop: Header=BB329_11 Depth=1
	s_or_b32 exec_lo, exec_lo, s23
	v_lshlrev_b32_e32 v2, 8, v8
	v_lshl_add_u32 v1, v1, 10, 0x2000
	v_lshlrev_b32_e32 v0, 7, v0
	v_and_b32_e32 v2, 0x8000, v2
	v_and_b32_e32 v1, 0xfc00, v1
	v_or3_b32 v0, v2, v1, v0
	buffer_store_dword v0, off, s[0:3], s32 offset:480 ; 4-byte Folded Spill
.LBB329_609:                            ;   in Loop: Header=BB329_11 Depth=1
	s_or_b32 exec_lo, exec_lo, s22
.LBB329_610:                            ;   in Loop: Header=BB329_11 Depth=1
	s_or_b32 exec_lo, exec_lo, s21
.LBB329_611:                            ;   in Loop: Header=BB329_11 Depth=1
	s_or_b32 exec_lo, exec_lo, s20
	v_mov_b32_e32 v0, 0
	s_mov_b32 s20, exec_lo
	buffer_store_dword v0, off, s[0:3], s32 offset:484 ; 4-byte Folded Spill
	v_mov_b32_e32 v0, 0
	buffer_store_dword v0, off, s[0:3], s32 offset:488 ; 4-byte Folded Spill
	v_cmpx_lt_u32_e32 0xffffff, v32
	s_cbranch_execz .LBB329_619
; %bb.612:                              ;   in Loop: Header=BB329_11 Depth=1
	v_lshrrev_b32_e32 v8, 24, v32
	v_bfrev_b32_e32 v0, 1
	s_mov_b32 s21, exec_lo
	buffer_store_dword v0, off, s[0:3], s32 offset:488 ; 4-byte Folded Spill
	v_cmpx_ne_u32_e32 0x80, v8
	s_cbranch_execz .LBB329_618
; %bb.613:                              ;   in Loop: Header=BB329_11 Depth=1
	v_and_b32_e32 v2, 0x7f, v8
	v_mov_b32_e32 v0, 0x7c010000
	s_mov_b32 s22, exec_lo
	buffer_store_dword v0, off, s[0:3], s32 offset:488 ; 4-byte Folded Spill
	v_cmpx_ne_u32_e32 0x7f, v2
	s_cbranch_execz .LBB329_617
; %bb.614:                              ;   in Loop: Header=BB329_11 Depth=1
	v_and_b32_e32 v0, 7, v8
	v_lshrrev_b32_e32 v1, 3, v2
	s_mov_b32 s23, exec_lo
	v_cmpx_gt_u32_e32 8, v2
; %bb.615:                              ;   in Loop: Header=BB329_11 Depth=1
	v_ffbh_u32_e32 v0, v0
	v_min_u32_e32 v2, 32, v0
	v_subrev_nc_u32_e32 v0, 28, v2
	v_lshlrev_b64 v[0:1], v0, v[8:9]
	v_sub_nc_u32_e32 v1, 29, v2
	v_and_b32_e32 v0, 7, v0
; %bb.616:                              ;   in Loop: Header=BB329_11 Depth=1
	s_or_b32 exec_lo, exec_lo, s23
	v_lshlrev_b32_e32 v2, 8, v8
	v_lshl_add_u32 v1, v1, 10, 0x2000
	v_lshlrev_b32_e32 v0, 23, v0
	v_and_or_b32 v1, 0x8000, v2, v1
	v_lshl_or_b32 v0, v1, 16, v0
	buffer_store_dword v0, off, s[0:3], s32 offset:488 ; 4-byte Folded Spill
.LBB329_617:                            ;   in Loop: Header=BB329_11 Depth=1
	s_or_b32 exec_lo, exec_lo, s22
.LBB329_618:                            ;   in Loop: Header=BB329_11 Depth=1
	s_or_b32 exec_lo, exec_lo, s21
.LBB329_619:                            ;   in Loop: Header=BB329_11 Depth=1
	s_or_b32 exec_lo, exec_lo, s20
	v_mov_b32_e32 v8, v33
	v_cmp_ne_u16_sdwa s5, v33, v9 src0_sel:BYTE_0 src1_sel:DWORD
	s_and_saveexec_b32 s20, s5
	s_cbranch_execz .LBB329_627
; %bb.620:                              ;   in Loop: Header=BB329_11 Depth=1
	v_cmp_ne_u16_sdwa s5, v33, v124 src0_sel:BYTE_0 src1_sel:DWORD
	v_mov_b32_e32 v0, 0x8000
	buffer_store_dword v0, off, s[0:3], s32 offset:484 ; 4-byte Folded Spill
	s_and_saveexec_b32 s21, s5
	s_cbranch_execz .LBB329_626
; %bb.621:                              ;   in Loop: Header=BB329_11 Depth=1
	v_and_b32_e32 v2, 0x7f, v33
	v_mov_b32_e32 v0, 0x7c01
	s_mov_b32 s22, exec_lo
	buffer_store_dword v0, off, s[0:3], s32 offset:484 ; 4-byte Folded Spill
	v_cmpx_ne_u32_e32 0x7f, v2
	s_cbranch_execz .LBB329_625
; %bb.622:                              ;   in Loop: Header=BB329_11 Depth=1
	v_and_b32_e32 v0, 7, v33
	v_lshrrev_b32_e32 v1, 3, v2
	s_mov_b32 s23, exec_lo
	v_cmpx_gt_u32_e32 8, v2
; %bb.623:                              ;   in Loop: Header=BB329_11 Depth=1
	v_ffbh_u32_e32 v0, v0
	v_min_u32_e32 v2, 32, v0
	v_subrev_nc_u32_e32 v0, 28, v2
	v_lshlrev_b64 v[0:1], v0, v[8:9]
	v_sub_nc_u32_e32 v1, 29, v2
	v_and_b32_e32 v0, 7, v0
; %bb.624:                              ;   in Loop: Header=BB329_11 Depth=1
	s_or_b32 exec_lo, exec_lo, s23
	v_lshlrev_b32_e32 v2, 8, v33
	v_lshl_add_u32 v1, v1, 10, 0x2000
	v_lshlrev_b32_e32 v0, 7, v0
	v_and_b32_e32 v2, 0x8000, v2
	v_and_b32_e32 v1, 0xfc00, v1
	v_or3_b32 v0, v2, v1, v0
	buffer_store_dword v0, off, s[0:3], s32 offset:484 ; 4-byte Folded Spill
.LBB329_625:                            ;   in Loop: Header=BB329_11 Depth=1
	s_or_b32 exec_lo, exec_lo, s22
.LBB329_626:                            ;   in Loop: Header=BB329_11 Depth=1
	s_or_b32 exec_lo, exec_lo, s21
.LBB329_627:                            ;   in Loop: Header=BB329_11 Depth=1
	s_or_b32 exec_lo, exec_lo, s20
	v_mov_b32_e32 v0, 0
	v_lshrrev_b16 v8, 8, v8
	s_mov_b32 s20, exec_lo
	buffer_store_dword v0, off, s[0:3], s32 offset:492 ; 4-byte Folded Spill
	v_mov_b32_e32 v0, 0
	buffer_store_dword v0, off, s[0:3], s32 offset:496 ; 4-byte Folded Spill
	v_cmpx_ne_u16_e32 0, v8
	s_cbranch_execz .LBB329_635
; %bb.628:                              ;   in Loop: Header=BB329_11 Depth=1
	v_bfrev_b32_e32 v0, 1
	s_mov_b32 s21, exec_lo
	buffer_store_dword v0, off, s[0:3], s32 offset:496 ; 4-byte Folded Spill
	v_cmpx_ne_u16_e32 0x80, v8
	s_cbranch_execz .LBB329_634
; %bb.629:                              ;   in Loop: Header=BB329_11 Depth=1
	v_mov_b32_e32 v0, 0x7f
	s_mov_b32 s22, exec_lo
	v_and_b32_sdwa v2, v8, v0 dst_sel:DWORD dst_unused:UNUSED_PAD src0_sel:WORD_0 src1_sel:DWORD
	v_mov_b32_e32 v0, 0x7c010000
	buffer_store_dword v0, off, s[0:3], s32 offset:496 ; 4-byte Folded Spill
	v_cmpx_ne_u32_e32 0x7f, v2
	s_cbranch_execz .LBB329_633
; %bb.630:                              ;   in Loop: Header=BB329_11 Depth=1
	v_mov_b32_e32 v0, 7
	v_lshrrev_b32_e32 v1, 3, v2
	s_mov_b32 s23, exec_lo
	v_and_b32_sdwa v0, v8, v0 dst_sel:DWORD dst_unused:UNUSED_PAD src0_sel:WORD_0 src1_sel:DWORD
	v_cmpx_gt_u32_e32 8, v2
; %bb.631:                              ;   in Loop: Header=BB329_11 Depth=1
	v_ffbh_u32_e32 v0, v0
	v_min_u32_e32 v2, 32, v0
	v_subrev_nc_u32_e32 v0, 28, v2
	v_lshlrev_b64 v[0:1], v0, v[8:9]
	v_sub_nc_u32_e32 v1, 29, v2
	v_and_b32_e32 v0, 7, v0
; %bb.632:                              ;   in Loop: Header=BB329_11 Depth=1
	s_or_b32 exec_lo, exec_lo, s23
	v_mov_b32_e32 v2, 8
	v_lshl_add_u32 v1, v1, 10, 0x2000
	v_lshlrev_b32_e32 v0, 23, v0
	v_lshlrev_b32_sdwa v2, v2, v8 dst_sel:DWORD dst_unused:UNUSED_PAD src0_sel:DWORD src1_sel:WORD_0
	v_and_or_b32 v1, 0x8000, v2, v1
	v_lshl_or_b32 v0, v1, 16, v0
	buffer_store_dword v0, off, s[0:3], s32 offset:496 ; 4-byte Folded Spill
.LBB329_633:                            ;   in Loop: Header=BB329_11 Depth=1
	s_or_b32 exec_lo, exec_lo, s22
.LBB329_634:                            ;   in Loop: Header=BB329_11 Depth=1
	s_or_b32 exec_lo, exec_lo, s21
.LBB329_635:                            ;   in Loop: Header=BB329_11 Depth=1
	s_or_b32 exec_lo, exec_lo, s20
	v_lshrrev_b32_e32 v8, 16, v33
	v_cmp_ne_u16_sdwa s5, v8, v9 src0_sel:BYTE_0 src1_sel:DWORD
	s_and_saveexec_b32 s20, s5
	s_cbranch_execz .LBB329_643
; %bb.636:                              ;   in Loop: Header=BB329_11 Depth=1
	v_cmp_ne_u16_sdwa s5, v8, v124 src0_sel:BYTE_0 src1_sel:DWORD
	v_mov_b32_e32 v0, 0x8000
	buffer_store_dword v0, off, s[0:3], s32 offset:492 ; 4-byte Folded Spill
	s_and_saveexec_b32 s21, s5
	s_cbranch_execz .LBB329_642
; %bb.637:                              ;   in Loop: Header=BB329_11 Depth=1
	v_bfe_u32 v2, v33, 16, 7
	v_mov_b32_e32 v0, 0x7c01
	s_mov_b32 s22, exec_lo
	buffer_store_dword v0, off, s[0:3], s32 offset:492 ; 4-byte Folded Spill
	v_cmpx_ne_u32_e32 0x7f, v2
	s_cbranch_execz .LBB329_641
; %bb.638:                              ;   in Loop: Header=BB329_11 Depth=1
	v_and_b32_e32 v0, 7, v8
	v_lshrrev_b32_e32 v1, 3, v2
	s_mov_b32 s23, exec_lo
	v_cmpx_gt_u32_e32 8, v2
; %bb.639:                              ;   in Loop: Header=BB329_11 Depth=1
	v_ffbh_u32_e32 v0, v0
	v_min_u32_e32 v2, 32, v0
	v_subrev_nc_u32_e32 v0, 28, v2
	v_lshlrev_b64 v[0:1], v0, v[8:9]
	v_sub_nc_u32_e32 v1, 29, v2
	v_and_b32_e32 v0, 7, v0
; %bb.640:                              ;   in Loop: Header=BB329_11 Depth=1
	s_or_b32 exec_lo, exec_lo, s23
	v_lshlrev_b32_e32 v2, 8, v8
	v_lshl_add_u32 v1, v1, 10, 0x2000
	v_lshlrev_b32_e32 v0, 7, v0
	v_and_b32_e32 v2, 0x8000, v2
	v_and_b32_e32 v1, 0xfc00, v1
	v_or3_b32 v0, v2, v1, v0
	buffer_store_dword v0, off, s[0:3], s32 offset:492 ; 4-byte Folded Spill
.LBB329_641:                            ;   in Loop: Header=BB329_11 Depth=1
	s_or_b32 exec_lo, exec_lo, s22
.LBB329_642:                            ;   in Loop: Header=BB329_11 Depth=1
	s_or_b32 exec_lo, exec_lo, s21
.LBB329_643:                            ;   in Loop: Header=BB329_11 Depth=1
	s_or_b32 exec_lo, exec_lo, s20
	v_mov_b32_e32 v0, 0
	s_mov_b32 s20, exec_lo
	buffer_store_dword v0, off, s[0:3], s32 offset:500 ; 4-byte Folded Spill
	v_mov_b32_e32 v0, 0
	buffer_store_dword v0, off, s[0:3], s32 offset:752 ; 4-byte Folded Spill
	v_cmpx_lt_u64_e64 s[6:7], v[32:33]
	s_cbranch_execz .LBB329_651
; %bb.644:                              ;   in Loop: Header=BB329_11 Depth=1
	v_lshrrev_b32_e32 v8, 24, v33
	v_bfrev_b32_e32 v0, 1
	s_mov_b32 s21, exec_lo
	v_cmpx_ne_u32_e32 0x80, v8
	s_cbranch_execz .LBB329_650
; %bb.645:                              ;   in Loop: Header=BB329_11 Depth=1
	v_and_b32_e32 v2, 0x7f, v8
	v_mov_b32_e32 v0, 0x7c010000
	s_mov_b32 s22, exec_lo
	v_cmpx_ne_u32_e32 0x7f, v2
	s_cbranch_execz .LBB329_649
; %bb.646:                              ;   in Loop: Header=BB329_11 Depth=1
	v_and_b32_e32 v0, 7, v8
	v_lshrrev_b32_e32 v1, 3, v2
	s_mov_b32 s23, exec_lo
	v_cmpx_gt_u32_e32 8, v2
; %bb.647:                              ;   in Loop: Header=BB329_11 Depth=1
	v_ffbh_u32_e32 v0, v0
	v_min_u32_e32 v2, 32, v0
	v_subrev_nc_u32_e32 v0, 28, v2
	v_lshlrev_b64 v[0:1], v0, v[8:9]
	v_sub_nc_u32_e32 v1, 29, v2
	v_and_b32_e32 v0, 7, v0
; %bb.648:                              ;   in Loop: Header=BB329_11 Depth=1
	s_or_b32 exec_lo, exec_lo, s23
	v_lshlrev_b32_e32 v2, 8, v8
	v_lshl_add_u32 v1, v1, 10, 0x2000
	v_lshlrev_b32_e32 v0, 23, v0
	v_and_or_b32 v1, 0x8000, v2, v1
	v_lshl_or_b32 v0, v1, 16, v0
.LBB329_649:                            ;   in Loop: Header=BB329_11 Depth=1
	s_or_b32 exec_lo, exec_lo, s22
.LBB329_650:                            ;   in Loop: Header=BB329_11 Depth=1
	s_or_b32 exec_lo, exec_lo, s21
	buffer_store_dword v0, off, s[0:3], s32 offset:752 ; 4-byte Folded Spill
.LBB329_651:                            ;   in Loop: Header=BB329_11 Depth=1
	s_or_b32 exec_lo, exec_lo, s20
	flat_load_dwordx2 v[32:33], v[30:31] offset:512
	s_waitcnt vmcnt(0) lgkmcnt(0)
	v_cmp_ne_u16_sdwa s5, v32, v9 src0_sel:BYTE_0 src1_sel:DWORD
	s_and_saveexec_b32 s20, s5
	s_cbranch_execz .LBB329_659
; %bb.652:                              ;   in Loop: Header=BB329_11 Depth=1
	v_cmp_ne_u16_sdwa s5, v32, v124 src0_sel:BYTE_0 src1_sel:DWORD
	v_mov_b32_e32 v0, 0x8000
	buffer_store_dword v0, off, s[0:3], s32 offset:500 ; 4-byte Folded Spill
	s_and_saveexec_b32 s21, s5
	s_cbranch_execz .LBB329_658
; %bb.653:                              ;   in Loop: Header=BB329_11 Depth=1
	v_and_b32_e32 v2, 0x7f, v32
	v_mov_b32_e32 v0, 0x7c01
	s_mov_b32 s22, exec_lo
	buffer_store_dword v0, off, s[0:3], s32 offset:500 ; 4-byte Folded Spill
	v_cmpx_ne_u32_e32 0x7f, v2
	s_cbranch_execz .LBB329_657
; %bb.654:                              ;   in Loop: Header=BB329_11 Depth=1
	v_and_b32_e32 v0, 7, v32
	v_lshrrev_b32_e32 v1, 3, v2
	s_mov_b32 s23, exec_lo
	v_cmpx_gt_u32_e32 8, v2
; %bb.655:                              ;   in Loop: Header=BB329_11 Depth=1
	v_ffbh_u32_e32 v0, v0
	v_min_u32_e32 v2, 32, v0
	v_subrev_nc_u32_e32 v0, 28, v2
	v_lshlrev_b64 v[0:1], v0, v[32:33]
	v_sub_nc_u32_e32 v1, 29, v2
	v_and_b32_e32 v0, 7, v0
; %bb.656:                              ;   in Loop: Header=BB329_11 Depth=1
	s_or_b32 exec_lo, exec_lo, s23
	v_lshlrev_b32_e32 v2, 8, v32
	v_lshl_add_u32 v1, v1, 10, 0x2000
	v_lshlrev_b32_e32 v0, 7, v0
	v_and_b32_e32 v2, 0x8000, v2
	v_and_b32_e32 v1, 0xfc00, v1
	v_or3_b32 v0, v2, v1, v0
	buffer_store_dword v0, off, s[0:3], s32 offset:500 ; 4-byte Folded Spill
.LBB329_657:                            ;   in Loop: Header=BB329_11 Depth=1
	s_or_b32 exec_lo, exec_lo, s22
.LBB329_658:                            ;   in Loop: Header=BB329_11 Depth=1
	s_or_b32 exec_lo, exec_lo, s21
.LBB329_659:                            ;   in Loop: Header=BB329_11 Depth=1
	s_or_b32 exec_lo, exec_lo, s20
	v_mov_b32_e32 v0, 0
	v_lshrrev_b16 v8, 8, v32
	s_mov_b32 s20, exec_lo
	buffer_store_dword v0, off, s[0:3], s32 offset:508 ; 4-byte Folded Spill
	v_mov_b32_e32 v0, 0
	buffer_store_dword v0, off, s[0:3], s32 offset:504 ; 4-byte Folded Spill
	v_cmpx_ne_u16_e32 0, v8
	s_cbranch_execz .LBB329_667
; %bb.660:                              ;   in Loop: Header=BB329_11 Depth=1
	v_bfrev_b32_e32 v0, 1
	s_mov_b32 s21, exec_lo
	buffer_store_dword v0, off, s[0:3], s32 offset:504 ; 4-byte Folded Spill
	v_cmpx_ne_u16_e32 0x80, v8
	s_cbranch_execz .LBB329_666
; %bb.661:                              ;   in Loop: Header=BB329_11 Depth=1
	v_mov_b32_e32 v0, 0x7f
	s_mov_b32 s22, exec_lo
	v_and_b32_sdwa v2, v8, v0 dst_sel:DWORD dst_unused:UNUSED_PAD src0_sel:WORD_0 src1_sel:DWORD
	v_mov_b32_e32 v0, 0x7c010000
	buffer_store_dword v0, off, s[0:3], s32 offset:504 ; 4-byte Folded Spill
	v_cmpx_ne_u32_e32 0x7f, v2
	s_cbranch_execz .LBB329_665
; %bb.662:                              ;   in Loop: Header=BB329_11 Depth=1
	v_mov_b32_e32 v0, 7
	v_lshrrev_b32_e32 v1, 3, v2
	s_mov_b32 s23, exec_lo
	v_and_b32_sdwa v0, v8, v0 dst_sel:DWORD dst_unused:UNUSED_PAD src0_sel:WORD_0 src1_sel:DWORD
	v_cmpx_gt_u32_e32 8, v2
; %bb.663:                              ;   in Loop: Header=BB329_11 Depth=1
	v_ffbh_u32_e32 v0, v0
	v_min_u32_e32 v2, 32, v0
	v_subrev_nc_u32_e32 v0, 28, v2
	v_lshlrev_b64 v[0:1], v0, v[8:9]
	v_sub_nc_u32_e32 v1, 29, v2
	v_and_b32_e32 v0, 7, v0
; %bb.664:                              ;   in Loop: Header=BB329_11 Depth=1
	s_or_b32 exec_lo, exec_lo, s23
	v_mov_b32_e32 v2, 8
	v_lshl_add_u32 v1, v1, 10, 0x2000
	v_lshlrev_b32_e32 v0, 23, v0
	v_lshlrev_b32_sdwa v2, v2, v8 dst_sel:DWORD dst_unused:UNUSED_PAD src0_sel:DWORD src1_sel:WORD_0
	v_and_or_b32 v1, 0x8000, v2, v1
	v_lshl_or_b32 v0, v1, 16, v0
	buffer_store_dword v0, off, s[0:3], s32 offset:504 ; 4-byte Folded Spill
.LBB329_665:                            ;   in Loop: Header=BB329_11 Depth=1
	s_or_b32 exec_lo, exec_lo, s22
.LBB329_666:                            ;   in Loop: Header=BB329_11 Depth=1
	s_or_b32 exec_lo, exec_lo, s21
.LBB329_667:                            ;   in Loop: Header=BB329_11 Depth=1
	s_or_b32 exec_lo, exec_lo, s20
	v_lshrrev_b32_e32 v8, 16, v32
	v_cmp_ne_u16_sdwa s5, v8, v9 src0_sel:BYTE_0 src1_sel:DWORD
	s_and_saveexec_b32 s20, s5
	s_cbranch_execz .LBB329_675
; %bb.668:                              ;   in Loop: Header=BB329_11 Depth=1
	v_cmp_ne_u16_sdwa s5, v8, v124 src0_sel:BYTE_0 src1_sel:DWORD
	v_mov_b32_e32 v0, 0x8000
	buffer_store_dword v0, off, s[0:3], s32 offset:508 ; 4-byte Folded Spill
	s_and_saveexec_b32 s21, s5
	s_cbranch_execz .LBB329_674
; %bb.669:                              ;   in Loop: Header=BB329_11 Depth=1
	v_bfe_u32 v2, v32, 16, 7
	v_mov_b32_e32 v0, 0x7c01
	s_mov_b32 s22, exec_lo
	buffer_store_dword v0, off, s[0:3], s32 offset:508 ; 4-byte Folded Spill
	v_cmpx_ne_u32_e32 0x7f, v2
	s_cbranch_execz .LBB329_673
; %bb.670:                              ;   in Loop: Header=BB329_11 Depth=1
	v_and_b32_e32 v0, 7, v8
	v_lshrrev_b32_e32 v1, 3, v2
	s_mov_b32 s23, exec_lo
	v_cmpx_gt_u32_e32 8, v2
; %bb.671:                              ;   in Loop: Header=BB329_11 Depth=1
	v_ffbh_u32_e32 v0, v0
	v_min_u32_e32 v2, 32, v0
	v_subrev_nc_u32_e32 v0, 28, v2
	v_lshlrev_b64 v[0:1], v0, v[8:9]
	v_sub_nc_u32_e32 v1, 29, v2
	v_and_b32_e32 v0, 7, v0
; %bb.672:                              ;   in Loop: Header=BB329_11 Depth=1
	s_or_b32 exec_lo, exec_lo, s23
	v_lshlrev_b32_e32 v2, 8, v8
	v_lshl_add_u32 v1, v1, 10, 0x2000
	v_lshlrev_b32_e32 v0, 7, v0
	v_and_b32_e32 v2, 0x8000, v2
	v_and_b32_e32 v1, 0xfc00, v1
	v_or3_b32 v0, v2, v1, v0
	buffer_store_dword v0, off, s[0:3], s32 offset:508 ; 4-byte Folded Spill
.LBB329_673:                            ;   in Loop: Header=BB329_11 Depth=1
	s_or_b32 exec_lo, exec_lo, s22
.LBB329_674:                            ;   in Loop: Header=BB329_11 Depth=1
	s_or_b32 exec_lo, exec_lo, s21
.LBB329_675:                            ;   in Loop: Header=BB329_11 Depth=1
	s_or_b32 exec_lo, exec_lo, s20
	v_mov_b32_e32 v0, 0
	s_mov_b32 s20, exec_lo
	buffer_store_dword v0, off, s[0:3], s32 offset:512 ; 4-byte Folded Spill
	v_mov_b32_e32 v0, 0
	buffer_store_dword v0, off, s[0:3], s32 offset:516 ; 4-byte Folded Spill
	v_cmpx_lt_u32_e32 0xffffff, v32
	s_cbranch_execz .LBB329_683
; %bb.676:                              ;   in Loop: Header=BB329_11 Depth=1
	v_lshrrev_b32_e32 v8, 24, v32
	v_bfrev_b32_e32 v0, 1
	s_mov_b32 s21, exec_lo
	buffer_store_dword v0, off, s[0:3], s32 offset:516 ; 4-byte Folded Spill
	v_cmpx_ne_u32_e32 0x80, v8
	s_cbranch_execz .LBB329_682
; %bb.677:                              ;   in Loop: Header=BB329_11 Depth=1
	v_and_b32_e32 v2, 0x7f, v8
	v_mov_b32_e32 v0, 0x7c010000
	s_mov_b32 s22, exec_lo
	buffer_store_dword v0, off, s[0:3], s32 offset:516 ; 4-byte Folded Spill
	v_cmpx_ne_u32_e32 0x7f, v2
	s_cbranch_execz .LBB329_681
; %bb.678:                              ;   in Loop: Header=BB329_11 Depth=1
	v_and_b32_e32 v0, 7, v8
	v_lshrrev_b32_e32 v1, 3, v2
	s_mov_b32 s23, exec_lo
	v_cmpx_gt_u32_e32 8, v2
; %bb.679:                              ;   in Loop: Header=BB329_11 Depth=1
	v_ffbh_u32_e32 v0, v0
	v_min_u32_e32 v2, 32, v0
	v_subrev_nc_u32_e32 v0, 28, v2
	v_lshlrev_b64 v[0:1], v0, v[8:9]
	v_sub_nc_u32_e32 v1, 29, v2
	v_and_b32_e32 v0, 7, v0
; %bb.680:                              ;   in Loop: Header=BB329_11 Depth=1
	s_or_b32 exec_lo, exec_lo, s23
	v_lshlrev_b32_e32 v2, 8, v8
	v_lshl_add_u32 v1, v1, 10, 0x2000
	v_lshlrev_b32_e32 v0, 23, v0
	v_and_or_b32 v1, 0x8000, v2, v1
	v_lshl_or_b32 v0, v1, 16, v0
	buffer_store_dword v0, off, s[0:3], s32 offset:516 ; 4-byte Folded Spill
.LBB329_681:                            ;   in Loop: Header=BB329_11 Depth=1
	s_or_b32 exec_lo, exec_lo, s22
.LBB329_682:                            ;   in Loop: Header=BB329_11 Depth=1
	s_or_b32 exec_lo, exec_lo, s21
.LBB329_683:                            ;   in Loop: Header=BB329_11 Depth=1
	s_or_b32 exec_lo, exec_lo, s20
	v_mov_b32_e32 v8, v33
	v_cmp_ne_u16_sdwa s5, v33, v9 src0_sel:BYTE_0 src1_sel:DWORD
	s_and_saveexec_b32 s20, s5
	s_cbranch_execz .LBB329_691
; %bb.684:                              ;   in Loop: Header=BB329_11 Depth=1
	v_cmp_ne_u16_sdwa s5, v33, v124 src0_sel:BYTE_0 src1_sel:DWORD
	v_mov_b32_e32 v0, 0x8000
	buffer_store_dword v0, off, s[0:3], s32 offset:512 ; 4-byte Folded Spill
	s_and_saveexec_b32 s21, s5
	s_cbranch_execz .LBB329_690
; %bb.685:                              ;   in Loop: Header=BB329_11 Depth=1
	v_and_b32_e32 v2, 0x7f, v33
	v_mov_b32_e32 v0, 0x7c01
	s_mov_b32 s22, exec_lo
	buffer_store_dword v0, off, s[0:3], s32 offset:512 ; 4-byte Folded Spill
	v_cmpx_ne_u32_e32 0x7f, v2
	s_cbranch_execz .LBB329_689
; %bb.686:                              ;   in Loop: Header=BB329_11 Depth=1
	v_and_b32_e32 v0, 7, v33
	v_lshrrev_b32_e32 v1, 3, v2
	s_mov_b32 s23, exec_lo
	v_cmpx_gt_u32_e32 8, v2
; %bb.687:                              ;   in Loop: Header=BB329_11 Depth=1
	v_ffbh_u32_e32 v0, v0
	v_min_u32_e32 v2, 32, v0
	v_subrev_nc_u32_e32 v0, 28, v2
	v_lshlrev_b64 v[0:1], v0, v[8:9]
	v_sub_nc_u32_e32 v1, 29, v2
	v_and_b32_e32 v0, 7, v0
; %bb.688:                              ;   in Loop: Header=BB329_11 Depth=1
	s_or_b32 exec_lo, exec_lo, s23
	v_lshlrev_b32_e32 v2, 8, v33
	v_lshl_add_u32 v1, v1, 10, 0x2000
	v_lshlrev_b32_e32 v0, 7, v0
	v_and_b32_e32 v2, 0x8000, v2
	v_and_b32_e32 v1, 0xfc00, v1
	v_or3_b32 v0, v2, v1, v0
	buffer_store_dword v0, off, s[0:3], s32 offset:512 ; 4-byte Folded Spill
.LBB329_689:                            ;   in Loop: Header=BB329_11 Depth=1
	s_or_b32 exec_lo, exec_lo, s22
.LBB329_690:                            ;   in Loop: Header=BB329_11 Depth=1
	s_or_b32 exec_lo, exec_lo, s21
.LBB329_691:                            ;   in Loop: Header=BB329_11 Depth=1
	s_or_b32 exec_lo, exec_lo, s20
	v_mov_b32_e32 v0, 0
	v_lshrrev_b16 v8, 8, v8
	s_mov_b32 s20, exec_lo
	buffer_store_dword v0, off, s[0:3], s32 offset:520 ; 4-byte Folded Spill
	v_mov_b32_e32 v0, 0
	buffer_store_dword v0, off, s[0:3], s32 offset:524 ; 4-byte Folded Spill
	v_cmpx_ne_u16_e32 0, v8
	s_cbranch_execz .LBB329_699
; %bb.692:                              ;   in Loop: Header=BB329_11 Depth=1
	v_bfrev_b32_e32 v0, 1
	s_mov_b32 s21, exec_lo
	buffer_store_dword v0, off, s[0:3], s32 offset:524 ; 4-byte Folded Spill
	v_cmpx_ne_u16_e32 0x80, v8
	s_cbranch_execz .LBB329_698
; %bb.693:                              ;   in Loop: Header=BB329_11 Depth=1
	v_mov_b32_e32 v0, 0x7f
	s_mov_b32 s22, exec_lo
	v_and_b32_sdwa v2, v8, v0 dst_sel:DWORD dst_unused:UNUSED_PAD src0_sel:WORD_0 src1_sel:DWORD
	v_mov_b32_e32 v0, 0x7c010000
	buffer_store_dword v0, off, s[0:3], s32 offset:524 ; 4-byte Folded Spill
	v_cmpx_ne_u32_e32 0x7f, v2
	s_cbranch_execz .LBB329_697
; %bb.694:                              ;   in Loop: Header=BB329_11 Depth=1
	v_mov_b32_e32 v0, 7
	v_lshrrev_b32_e32 v1, 3, v2
	s_mov_b32 s23, exec_lo
	v_and_b32_sdwa v0, v8, v0 dst_sel:DWORD dst_unused:UNUSED_PAD src0_sel:WORD_0 src1_sel:DWORD
	v_cmpx_gt_u32_e32 8, v2
; %bb.695:                              ;   in Loop: Header=BB329_11 Depth=1
	v_ffbh_u32_e32 v0, v0
	v_min_u32_e32 v2, 32, v0
	v_subrev_nc_u32_e32 v0, 28, v2
	v_lshlrev_b64 v[0:1], v0, v[8:9]
	v_sub_nc_u32_e32 v1, 29, v2
	v_and_b32_e32 v0, 7, v0
; %bb.696:                              ;   in Loop: Header=BB329_11 Depth=1
	s_or_b32 exec_lo, exec_lo, s23
	v_mov_b32_e32 v2, 8
	v_lshl_add_u32 v1, v1, 10, 0x2000
	v_lshlrev_b32_e32 v0, 23, v0
	v_lshlrev_b32_sdwa v2, v2, v8 dst_sel:DWORD dst_unused:UNUSED_PAD src0_sel:DWORD src1_sel:WORD_0
	v_and_or_b32 v1, 0x8000, v2, v1
	v_lshl_or_b32 v0, v1, 16, v0
	buffer_store_dword v0, off, s[0:3], s32 offset:524 ; 4-byte Folded Spill
.LBB329_697:                            ;   in Loop: Header=BB329_11 Depth=1
	s_or_b32 exec_lo, exec_lo, s22
.LBB329_698:                            ;   in Loop: Header=BB329_11 Depth=1
	s_or_b32 exec_lo, exec_lo, s21
.LBB329_699:                            ;   in Loop: Header=BB329_11 Depth=1
	s_or_b32 exec_lo, exec_lo, s20
	v_lshrrev_b32_e32 v8, 16, v33
	v_cmp_ne_u16_sdwa s5, v8, v9 src0_sel:BYTE_0 src1_sel:DWORD
	s_and_saveexec_b32 s20, s5
	s_cbranch_execz .LBB329_707
; %bb.700:                              ;   in Loop: Header=BB329_11 Depth=1
	v_cmp_ne_u16_sdwa s5, v8, v124 src0_sel:BYTE_0 src1_sel:DWORD
	v_mov_b32_e32 v0, 0x8000
	buffer_store_dword v0, off, s[0:3], s32 offset:520 ; 4-byte Folded Spill
	s_and_saveexec_b32 s21, s5
	s_cbranch_execz .LBB329_706
; %bb.701:                              ;   in Loop: Header=BB329_11 Depth=1
	v_bfe_u32 v2, v33, 16, 7
	v_mov_b32_e32 v0, 0x7c01
	s_mov_b32 s22, exec_lo
	buffer_store_dword v0, off, s[0:3], s32 offset:520 ; 4-byte Folded Spill
	v_cmpx_ne_u32_e32 0x7f, v2
	s_cbranch_execz .LBB329_705
; %bb.702:                              ;   in Loop: Header=BB329_11 Depth=1
	v_and_b32_e32 v0, 7, v8
	v_lshrrev_b32_e32 v1, 3, v2
	s_mov_b32 s23, exec_lo
	v_cmpx_gt_u32_e32 8, v2
; %bb.703:                              ;   in Loop: Header=BB329_11 Depth=1
	v_ffbh_u32_e32 v0, v0
	v_min_u32_e32 v2, 32, v0
	v_subrev_nc_u32_e32 v0, 28, v2
	v_lshlrev_b64 v[0:1], v0, v[8:9]
	v_sub_nc_u32_e32 v1, 29, v2
	v_and_b32_e32 v0, 7, v0
; %bb.704:                              ;   in Loop: Header=BB329_11 Depth=1
	s_or_b32 exec_lo, exec_lo, s23
	v_lshlrev_b32_e32 v2, 8, v8
	v_lshl_add_u32 v1, v1, 10, 0x2000
	v_lshlrev_b32_e32 v0, 7, v0
	v_and_b32_e32 v2, 0x8000, v2
	v_and_b32_e32 v1, 0xfc00, v1
	v_or3_b32 v0, v2, v1, v0
	buffer_store_dword v0, off, s[0:3], s32 offset:520 ; 4-byte Folded Spill
.LBB329_705:                            ;   in Loop: Header=BB329_11 Depth=1
	s_or_b32 exec_lo, exec_lo, s22
.LBB329_706:                            ;   in Loop: Header=BB329_11 Depth=1
	s_or_b32 exec_lo, exec_lo, s21
.LBB329_707:                            ;   in Loop: Header=BB329_11 Depth=1
	s_or_b32 exec_lo, exec_lo, s20
	v_mov_b32_e32 v0, 0
	s_mov_b32 s20, exec_lo
	buffer_store_dword v0, off, s[0:3], s32 offset:528 ; 4-byte Folded Spill
	v_mov_b32_e32 v0, 0
	buffer_store_dword v0, off, s[0:3], s32 offset:756 ; 4-byte Folded Spill
	v_cmpx_lt_u64_e64 s[6:7], v[32:33]
	s_cbranch_execz .LBB329_715
; %bb.708:                              ;   in Loop: Header=BB329_11 Depth=1
	v_lshrrev_b32_e32 v8, 24, v33
	v_bfrev_b32_e32 v0, 1
	s_mov_b32 s21, exec_lo
	v_cmpx_ne_u32_e32 0x80, v8
	s_cbranch_execz .LBB329_714
; %bb.709:                              ;   in Loop: Header=BB329_11 Depth=1
	v_and_b32_e32 v2, 0x7f, v8
	v_mov_b32_e32 v0, 0x7c010000
	s_mov_b32 s22, exec_lo
	v_cmpx_ne_u32_e32 0x7f, v2
	s_cbranch_execz .LBB329_713
; %bb.710:                              ;   in Loop: Header=BB329_11 Depth=1
	v_and_b32_e32 v0, 7, v8
	v_lshrrev_b32_e32 v1, 3, v2
	s_mov_b32 s23, exec_lo
	v_cmpx_gt_u32_e32 8, v2
; %bb.711:                              ;   in Loop: Header=BB329_11 Depth=1
	v_ffbh_u32_e32 v0, v0
	v_min_u32_e32 v2, 32, v0
	v_subrev_nc_u32_e32 v0, 28, v2
	v_lshlrev_b64 v[0:1], v0, v[8:9]
	v_sub_nc_u32_e32 v1, 29, v2
	v_and_b32_e32 v0, 7, v0
; %bb.712:                              ;   in Loop: Header=BB329_11 Depth=1
	s_or_b32 exec_lo, exec_lo, s23
	v_lshlrev_b32_e32 v2, 8, v8
	v_lshl_add_u32 v1, v1, 10, 0x2000
	v_lshlrev_b32_e32 v0, 23, v0
	v_and_or_b32 v1, 0x8000, v2, v1
	v_lshl_or_b32 v0, v1, 16, v0
.LBB329_713:                            ;   in Loop: Header=BB329_11 Depth=1
	s_or_b32 exec_lo, exec_lo, s22
.LBB329_714:                            ;   in Loop: Header=BB329_11 Depth=1
	s_or_b32 exec_lo, exec_lo, s21
	buffer_store_dword v0, off, s[0:3], s32 offset:756 ; 4-byte Folded Spill
.LBB329_715:                            ;   in Loop: Header=BB329_11 Depth=1
	s_or_b32 exec_lo, exec_lo, s20
	flat_load_dwordx2 v[32:33], v[30:31] offset:520
	s_waitcnt vmcnt(0) lgkmcnt(0)
	v_cmp_ne_u16_sdwa s5, v32, v9 src0_sel:BYTE_0 src1_sel:DWORD
	s_and_saveexec_b32 s20, s5
	s_cbranch_execz .LBB329_723
; %bb.716:                              ;   in Loop: Header=BB329_11 Depth=1
	v_cmp_ne_u16_sdwa s5, v32, v124 src0_sel:BYTE_0 src1_sel:DWORD
	v_mov_b32_e32 v0, 0x8000
	buffer_store_dword v0, off, s[0:3], s32 offset:528 ; 4-byte Folded Spill
	s_and_saveexec_b32 s21, s5
	s_cbranch_execz .LBB329_722
; %bb.717:                              ;   in Loop: Header=BB329_11 Depth=1
	v_and_b32_e32 v2, 0x7f, v32
	v_mov_b32_e32 v0, 0x7c01
	s_mov_b32 s22, exec_lo
	buffer_store_dword v0, off, s[0:3], s32 offset:528 ; 4-byte Folded Spill
	v_cmpx_ne_u32_e32 0x7f, v2
	s_cbranch_execz .LBB329_721
; %bb.718:                              ;   in Loop: Header=BB329_11 Depth=1
	v_and_b32_e32 v0, 7, v32
	v_lshrrev_b32_e32 v1, 3, v2
	s_mov_b32 s23, exec_lo
	v_cmpx_gt_u32_e32 8, v2
; %bb.719:                              ;   in Loop: Header=BB329_11 Depth=1
	v_ffbh_u32_e32 v0, v0
	v_min_u32_e32 v2, 32, v0
	v_subrev_nc_u32_e32 v0, 28, v2
	v_lshlrev_b64 v[0:1], v0, v[32:33]
	v_sub_nc_u32_e32 v1, 29, v2
	v_and_b32_e32 v0, 7, v0
; %bb.720:                              ;   in Loop: Header=BB329_11 Depth=1
	s_or_b32 exec_lo, exec_lo, s23
	v_lshlrev_b32_e32 v2, 8, v32
	v_lshl_add_u32 v1, v1, 10, 0x2000
	v_lshlrev_b32_e32 v0, 7, v0
	v_and_b32_e32 v2, 0x8000, v2
	v_and_b32_e32 v1, 0xfc00, v1
	v_or3_b32 v0, v2, v1, v0
	buffer_store_dword v0, off, s[0:3], s32 offset:528 ; 4-byte Folded Spill
.LBB329_721:                            ;   in Loop: Header=BB329_11 Depth=1
	s_or_b32 exec_lo, exec_lo, s22
.LBB329_722:                            ;   in Loop: Header=BB329_11 Depth=1
	s_or_b32 exec_lo, exec_lo, s21
.LBB329_723:                            ;   in Loop: Header=BB329_11 Depth=1
	s_or_b32 exec_lo, exec_lo, s20
	v_mov_b32_e32 v0, 0
	v_lshrrev_b16 v8, 8, v32
	s_mov_b32 s20, exec_lo
	buffer_store_dword v0, off, s[0:3], s32 offset:536 ; 4-byte Folded Spill
	v_mov_b32_e32 v0, 0
	buffer_store_dword v0, off, s[0:3], s32 offset:532 ; 4-byte Folded Spill
	v_cmpx_ne_u16_e32 0, v8
	s_cbranch_execz .LBB329_731
; %bb.724:                              ;   in Loop: Header=BB329_11 Depth=1
	v_bfrev_b32_e32 v0, 1
	s_mov_b32 s21, exec_lo
	buffer_store_dword v0, off, s[0:3], s32 offset:532 ; 4-byte Folded Spill
	v_cmpx_ne_u16_e32 0x80, v8
	s_cbranch_execz .LBB329_730
; %bb.725:                              ;   in Loop: Header=BB329_11 Depth=1
	v_mov_b32_e32 v0, 0x7f
	s_mov_b32 s22, exec_lo
	v_and_b32_sdwa v2, v8, v0 dst_sel:DWORD dst_unused:UNUSED_PAD src0_sel:WORD_0 src1_sel:DWORD
	v_mov_b32_e32 v0, 0x7c010000
	buffer_store_dword v0, off, s[0:3], s32 offset:532 ; 4-byte Folded Spill
	v_cmpx_ne_u32_e32 0x7f, v2
	s_cbranch_execz .LBB329_729
; %bb.726:                              ;   in Loop: Header=BB329_11 Depth=1
	v_mov_b32_e32 v0, 7
	v_lshrrev_b32_e32 v1, 3, v2
	s_mov_b32 s23, exec_lo
	v_and_b32_sdwa v0, v8, v0 dst_sel:DWORD dst_unused:UNUSED_PAD src0_sel:WORD_0 src1_sel:DWORD
	v_cmpx_gt_u32_e32 8, v2
; %bb.727:                              ;   in Loop: Header=BB329_11 Depth=1
	v_ffbh_u32_e32 v0, v0
	v_min_u32_e32 v2, 32, v0
	v_subrev_nc_u32_e32 v0, 28, v2
	v_lshlrev_b64 v[0:1], v0, v[8:9]
	v_sub_nc_u32_e32 v1, 29, v2
	v_and_b32_e32 v0, 7, v0
; %bb.728:                              ;   in Loop: Header=BB329_11 Depth=1
	s_or_b32 exec_lo, exec_lo, s23
	v_mov_b32_e32 v2, 8
	v_lshl_add_u32 v1, v1, 10, 0x2000
	v_lshlrev_b32_e32 v0, 23, v0
	v_lshlrev_b32_sdwa v2, v2, v8 dst_sel:DWORD dst_unused:UNUSED_PAD src0_sel:DWORD src1_sel:WORD_0
	v_and_or_b32 v1, 0x8000, v2, v1
	v_lshl_or_b32 v0, v1, 16, v0
	buffer_store_dword v0, off, s[0:3], s32 offset:532 ; 4-byte Folded Spill
.LBB329_729:                            ;   in Loop: Header=BB329_11 Depth=1
	s_or_b32 exec_lo, exec_lo, s22
.LBB329_730:                            ;   in Loop: Header=BB329_11 Depth=1
	s_or_b32 exec_lo, exec_lo, s21
.LBB329_731:                            ;   in Loop: Header=BB329_11 Depth=1
	s_or_b32 exec_lo, exec_lo, s20
	v_lshrrev_b32_e32 v8, 16, v32
	v_cmp_ne_u16_sdwa s5, v8, v9 src0_sel:BYTE_0 src1_sel:DWORD
	s_and_saveexec_b32 s20, s5
	s_cbranch_execz .LBB329_739
; %bb.732:                              ;   in Loop: Header=BB329_11 Depth=1
	v_cmp_ne_u16_sdwa s5, v8, v124 src0_sel:BYTE_0 src1_sel:DWORD
	v_mov_b32_e32 v0, 0x8000
	buffer_store_dword v0, off, s[0:3], s32 offset:536 ; 4-byte Folded Spill
	s_and_saveexec_b32 s21, s5
	s_cbranch_execz .LBB329_738
; %bb.733:                              ;   in Loop: Header=BB329_11 Depth=1
	v_bfe_u32 v2, v32, 16, 7
	v_mov_b32_e32 v0, 0x7c01
	s_mov_b32 s22, exec_lo
	buffer_store_dword v0, off, s[0:3], s32 offset:536 ; 4-byte Folded Spill
	v_cmpx_ne_u32_e32 0x7f, v2
	s_cbranch_execz .LBB329_737
; %bb.734:                              ;   in Loop: Header=BB329_11 Depth=1
	v_and_b32_e32 v0, 7, v8
	v_lshrrev_b32_e32 v1, 3, v2
	s_mov_b32 s23, exec_lo
	v_cmpx_gt_u32_e32 8, v2
; %bb.735:                              ;   in Loop: Header=BB329_11 Depth=1
	v_ffbh_u32_e32 v0, v0
	v_min_u32_e32 v2, 32, v0
	v_subrev_nc_u32_e32 v0, 28, v2
	v_lshlrev_b64 v[0:1], v0, v[8:9]
	v_sub_nc_u32_e32 v1, 29, v2
	v_and_b32_e32 v0, 7, v0
; %bb.736:                              ;   in Loop: Header=BB329_11 Depth=1
	s_or_b32 exec_lo, exec_lo, s23
	v_lshlrev_b32_e32 v2, 8, v8
	v_lshl_add_u32 v1, v1, 10, 0x2000
	v_lshlrev_b32_e32 v0, 7, v0
	v_and_b32_e32 v2, 0x8000, v2
	v_and_b32_e32 v1, 0xfc00, v1
	v_or3_b32 v0, v2, v1, v0
	buffer_store_dword v0, off, s[0:3], s32 offset:536 ; 4-byte Folded Spill
.LBB329_737:                            ;   in Loop: Header=BB329_11 Depth=1
	s_or_b32 exec_lo, exec_lo, s22
.LBB329_738:                            ;   in Loop: Header=BB329_11 Depth=1
	s_or_b32 exec_lo, exec_lo, s21
.LBB329_739:                            ;   in Loop: Header=BB329_11 Depth=1
	s_or_b32 exec_lo, exec_lo, s20
	v_mov_b32_e32 v0, 0
	s_mov_b32 s20, exec_lo
	buffer_store_dword v0, off, s[0:3], s32 offset:540 ; 4-byte Folded Spill
	v_mov_b32_e32 v0, 0
	buffer_store_dword v0, off, s[0:3], s32 offset:544 ; 4-byte Folded Spill
	v_cmpx_lt_u32_e32 0xffffff, v32
	s_cbranch_execz .LBB329_747
; %bb.740:                              ;   in Loop: Header=BB329_11 Depth=1
	v_lshrrev_b32_e32 v8, 24, v32
	v_bfrev_b32_e32 v0, 1
	s_mov_b32 s21, exec_lo
	buffer_store_dword v0, off, s[0:3], s32 offset:544 ; 4-byte Folded Spill
	v_cmpx_ne_u32_e32 0x80, v8
	s_cbranch_execz .LBB329_746
; %bb.741:                              ;   in Loop: Header=BB329_11 Depth=1
	v_and_b32_e32 v2, 0x7f, v8
	v_mov_b32_e32 v0, 0x7c010000
	s_mov_b32 s22, exec_lo
	buffer_store_dword v0, off, s[0:3], s32 offset:544 ; 4-byte Folded Spill
	v_cmpx_ne_u32_e32 0x7f, v2
	s_cbranch_execz .LBB329_745
; %bb.742:                              ;   in Loop: Header=BB329_11 Depth=1
	v_and_b32_e32 v0, 7, v8
	v_lshrrev_b32_e32 v1, 3, v2
	s_mov_b32 s23, exec_lo
	v_cmpx_gt_u32_e32 8, v2
; %bb.743:                              ;   in Loop: Header=BB329_11 Depth=1
	v_ffbh_u32_e32 v0, v0
	v_min_u32_e32 v2, 32, v0
	v_subrev_nc_u32_e32 v0, 28, v2
	v_lshlrev_b64 v[0:1], v0, v[8:9]
	v_sub_nc_u32_e32 v1, 29, v2
	v_and_b32_e32 v0, 7, v0
; %bb.744:                              ;   in Loop: Header=BB329_11 Depth=1
	s_or_b32 exec_lo, exec_lo, s23
	v_lshlrev_b32_e32 v2, 8, v8
	v_lshl_add_u32 v1, v1, 10, 0x2000
	v_lshlrev_b32_e32 v0, 23, v0
	v_and_or_b32 v1, 0x8000, v2, v1
	v_lshl_or_b32 v0, v1, 16, v0
	buffer_store_dword v0, off, s[0:3], s32 offset:544 ; 4-byte Folded Spill
.LBB329_745:                            ;   in Loop: Header=BB329_11 Depth=1
	s_or_b32 exec_lo, exec_lo, s22
.LBB329_746:                            ;   in Loop: Header=BB329_11 Depth=1
	s_or_b32 exec_lo, exec_lo, s21
.LBB329_747:                            ;   in Loop: Header=BB329_11 Depth=1
	s_or_b32 exec_lo, exec_lo, s20
	v_mov_b32_e32 v8, v33
	v_cmp_ne_u16_sdwa s5, v33, v9 src0_sel:BYTE_0 src1_sel:DWORD
	s_and_saveexec_b32 s20, s5
	s_cbranch_execz .LBB329_755
; %bb.748:                              ;   in Loop: Header=BB329_11 Depth=1
	v_cmp_ne_u16_sdwa s5, v33, v124 src0_sel:BYTE_0 src1_sel:DWORD
	v_mov_b32_e32 v0, 0x8000
	buffer_store_dword v0, off, s[0:3], s32 offset:540 ; 4-byte Folded Spill
	s_and_saveexec_b32 s21, s5
	s_cbranch_execz .LBB329_754
; %bb.749:                              ;   in Loop: Header=BB329_11 Depth=1
	v_and_b32_e32 v2, 0x7f, v33
	v_mov_b32_e32 v0, 0x7c01
	s_mov_b32 s22, exec_lo
	buffer_store_dword v0, off, s[0:3], s32 offset:540 ; 4-byte Folded Spill
	v_cmpx_ne_u32_e32 0x7f, v2
	s_cbranch_execz .LBB329_753
; %bb.750:                              ;   in Loop: Header=BB329_11 Depth=1
	v_and_b32_e32 v0, 7, v33
	v_lshrrev_b32_e32 v1, 3, v2
	s_mov_b32 s23, exec_lo
	v_cmpx_gt_u32_e32 8, v2
; %bb.751:                              ;   in Loop: Header=BB329_11 Depth=1
	v_ffbh_u32_e32 v0, v0
	v_min_u32_e32 v2, 32, v0
	v_subrev_nc_u32_e32 v0, 28, v2
	v_lshlrev_b64 v[0:1], v0, v[8:9]
	v_sub_nc_u32_e32 v1, 29, v2
	v_and_b32_e32 v0, 7, v0
; %bb.752:                              ;   in Loop: Header=BB329_11 Depth=1
	s_or_b32 exec_lo, exec_lo, s23
	v_lshlrev_b32_e32 v2, 8, v33
	v_lshl_add_u32 v1, v1, 10, 0x2000
	v_lshlrev_b32_e32 v0, 7, v0
	v_and_b32_e32 v2, 0x8000, v2
	v_and_b32_e32 v1, 0xfc00, v1
	v_or3_b32 v0, v2, v1, v0
	buffer_store_dword v0, off, s[0:3], s32 offset:540 ; 4-byte Folded Spill
.LBB329_753:                            ;   in Loop: Header=BB329_11 Depth=1
	s_or_b32 exec_lo, exec_lo, s22
.LBB329_754:                            ;   in Loop: Header=BB329_11 Depth=1
	s_or_b32 exec_lo, exec_lo, s21
.LBB329_755:                            ;   in Loop: Header=BB329_11 Depth=1
	s_or_b32 exec_lo, exec_lo, s20
	v_mov_b32_e32 v0, 0
	v_lshrrev_b16 v8, 8, v8
	s_mov_b32 s20, exec_lo
	buffer_store_dword v0, off, s[0:3], s32 offset:548 ; 4-byte Folded Spill
	v_mov_b32_e32 v0, 0
	buffer_store_dword v0, off, s[0:3], s32 offset:552 ; 4-byte Folded Spill
	v_cmpx_ne_u16_e32 0, v8
	s_cbranch_execz .LBB329_763
; %bb.756:                              ;   in Loop: Header=BB329_11 Depth=1
	v_bfrev_b32_e32 v0, 1
	s_mov_b32 s21, exec_lo
	buffer_store_dword v0, off, s[0:3], s32 offset:552 ; 4-byte Folded Spill
	v_cmpx_ne_u16_e32 0x80, v8
	s_cbranch_execz .LBB329_762
; %bb.757:                              ;   in Loop: Header=BB329_11 Depth=1
	v_mov_b32_e32 v0, 0x7f
	s_mov_b32 s22, exec_lo
	v_and_b32_sdwa v2, v8, v0 dst_sel:DWORD dst_unused:UNUSED_PAD src0_sel:WORD_0 src1_sel:DWORD
	v_mov_b32_e32 v0, 0x7c010000
	buffer_store_dword v0, off, s[0:3], s32 offset:552 ; 4-byte Folded Spill
	v_cmpx_ne_u32_e32 0x7f, v2
	s_cbranch_execz .LBB329_761
; %bb.758:                              ;   in Loop: Header=BB329_11 Depth=1
	v_mov_b32_e32 v0, 7
	v_lshrrev_b32_e32 v1, 3, v2
	s_mov_b32 s23, exec_lo
	v_and_b32_sdwa v0, v8, v0 dst_sel:DWORD dst_unused:UNUSED_PAD src0_sel:WORD_0 src1_sel:DWORD
	v_cmpx_gt_u32_e32 8, v2
; %bb.759:                              ;   in Loop: Header=BB329_11 Depth=1
	v_ffbh_u32_e32 v0, v0
	v_min_u32_e32 v2, 32, v0
	v_subrev_nc_u32_e32 v0, 28, v2
	v_lshlrev_b64 v[0:1], v0, v[8:9]
	v_sub_nc_u32_e32 v1, 29, v2
	v_and_b32_e32 v0, 7, v0
; %bb.760:                              ;   in Loop: Header=BB329_11 Depth=1
	s_or_b32 exec_lo, exec_lo, s23
	v_mov_b32_e32 v2, 8
	v_lshl_add_u32 v1, v1, 10, 0x2000
	v_lshlrev_b32_e32 v0, 23, v0
	v_lshlrev_b32_sdwa v2, v2, v8 dst_sel:DWORD dst_unused:UNUSED_PAD src0_sel:DWORD src1_sel:WORD_0
	v_and_or_b32 v1, 0x8000, v2, v1
	v_lshl_or_b32 v0, v1, 16, v0
	buffer_store_dword v0, off, s[0:3], s32 offset:552 ; 4-byte Folded Spill
.LBB329_761:                            ;   in Loop: Header=BB329_11 Depth=1
	s_or_b32 exec_lo, exec_lo, s22
.LBB329_762:                            ;   in Loop: Header=BB329_11 Depth=1
	s_or_b32 exec_lo, exec_lo, s21
.LBB329_763:                            ;   in Loop: Header=BB329_11 Depth=1
	s_or_b32 exec_lo, exec_lo, s20
	v_lshrrev_b32_e32 v8, 16, v33
	v_cmp_ne_u16_sdwa s5, v8, v9 src0_sel:BYTE_0 src1_sel:DWORD
	s_and_saveexec_b32 s20, s5
	s_cbranch_execz .LBB329_771
; %bb.764:                              ;   in Loop: Header=BB329_11 Depth=1
	v_cmp_ne_u16_sdwa s5, v8, v124 src0_sel:BYTE_0 src1_sel:DWORD
	v_mov_b32_e32 v0, 0x8000
	buffer_store_dword v0, off, s[0:3], s32 offset:548 ; 4-byte Folded Spill
	s_and_saveexec_b32 s21, s5
	s_cbranch_execz .LBB329_770
; %bb.765:                              ;   in Loop: Header=BB329_11 Depth=1
	v_bfe_u32 v2, v33, 16, 7
	v_mov_b32_e32 v0, 0x7c01
	s_mov_b32 s22, exec_lo
	buffer_store_dword v0, off, s[0:3], s32 offset:548 ; 4-byte Folded Spill
	v_cmpx_ne_u32_e32 0x7f, v2
	s_cbranch_execz .LBB329_769
; %bb.766:                              ;   in Loop: Header=BB329_11 Depth=1
	v_and_b32_e32 v0, 7, v8
	v_lshrrev_b32_e32 v1, 3, v2
	s_mov_b32 s23, exec_lo
	v_cmpx_gt_u32_e32 8, v2
; %bb.767:                              ;   in Loop: Header=BB329_11 Depth=1
	v_ffbh_u32_e32 v0, v0
	v_min_u32_e32 v2, 32, v0
	v_subrev_nc_u32_e32 v0, 28, v2
	v_lshlrev_b64 v[0:1], v0, v[8:9]
	v_sub_nc_u32_e32 v1, 29, v2
	v_and_b32_e32 v0, 7, v0
; %bb.768:                              ;   in Loop: Header=BB329_11 Depth=1
	s_or_b32 exec_lo, exec_lo, s23
	v_lshlrev_b32_e32 v2, 8, v8
	v_lshl_add_u32 v1, v1, 10, 0x2000
	v_lshlrev_b32_e32 v0, 7, v0
	v_and_b32_e32 v2, 0x8000, v2
	v_and_b32_e32 v1, 0xfc00, v1
	v_or3_b32 v0, v2, v1, v0
	buffer_store_dword v0, off, s[0:3], s32 offset:548 ; 4-byte Folded Spill
.LBB329_769:                            ;   in Loop: Header=BB329_11 Depth=1
	s_or_b32 exec_lo, exec_lo, s22
.LBB329_770:                            ;   in Loop: Header=BB329_11 Depth=1
	s_or_b32 exec_lo, exec_lo, s21
.LBB329_771:                            ;   in Loop: Header=BB329_11 Depth=1
	s_or_b32 exec_lo, exec_lo, s20
	v_mov_b32_e32 v0, 0
	s_mov_b32 s20, exec_lo
	buffer_store_dword v0, off, s[0:3], s32 offset:556 ; 4-byte Folded Spill
	v_mov_b32_e32 v0, 0
	buffer_store_dword v0, off, s[0:3], s32 offset:760 ; 4-byte Folded Spill
	v_cmpx_lt_u64_e64 s[6:7], v[32:33]
	s_cbranch_execz .LBB329_779
; %bb.772:                              ;   in Loop: Header=BB329_11 Depth=1
	v_lshrrev_b32_e32 v8, 24, v33
	v_bfrev_b32_e32 v0, 1
	s_mov_b32 s21, exec_lo
	v_cmpx_ne_u32_e32 0x80, v8
	s_cbranch_execz .LBB329_778
; %bb.773:                              ;   in Loop: Header=BB329_11 Depth=1
	v_and_b32_e32 v2, 0x7f, v8
	v_mov_b32_e32 v0, 0x7c010000
	s_mov_b32 s22, exec_lo
	v_cmpx_ne_u32_e32 0x7f, v2
	s_cbranch_execz .LBB329_777
; %bb.774:                              ;   in Loop: Header=BB329_11 Depth=1
	v_and_b32_e32 v0, 7, v8
	v_lshrrev_b32_e32 v1, 3, v2
	s_mov_b32 s23, exec_lo
	v_cmpx_gt_u32_e32 8, v2
; %bb.775:                              ;   in Loop: Header=BB329_11 Depth=1
	v_ffbh_u32_e32 v0, v0
	v_min_u32_e32 v2, 32, v0
	v_subrev_nc_u32_e32 v0, 28, v2
	v_lshlrev_b64 v[0:1], v0, v[8:9]
	v_sub_nc_u32_e32 v1, 29, v2
	v_and_b32_e32 v0, 7, v0
; %bb.776:                              ;   in Loop: Header=BB329_11 Depth=1
	s_or_b32 exec_lo, exec_lo, s23
	v_lshlrev_b32_e32 v2, 8, v8
	v_lshl_add_u32 v1, v1, 10, 0x2000
	v_lshlrev_b32_e32 v0, 23, v0
	v_and_or_b32 v1, 0x8000, v2, v1
	v_lshl_or_b32 v0, v1, 16, v0
.LBB329_777:                            ;   in Loop: Header=BB329_11 Depth=1
	s_or_b32 exec_lo, exec_lo, s22
.LBB329_778:                            ;   in Loop: Header=BB329_11 Depth=1
	s_or_b32 exec_lo, exec_lo, s21
	buffer_store_dword v0, off, s[0:3], s32 offset:760 ; 4-byte Folded Spill
.LBB329_779:                            ;   in Loop: Header=BB329_11 Depth=1
	s_or_b32 exec_lo, exec_lo, s20
	flat_load_dwordx2 v[32:33], v[30:31] offset:1024
	s_waitcnt vmcnt(0) lgkmcnt(0)
	v_cmp_ne_u16_sdwa s5, v32, v9 src0_sel:BYTE_0 src1_sel:DWORD
	s_and_saveexec_b32 s20, s5
	s_cbranch_execz .LBB329_787
; %bb.780:                              ;   in Loop: Header=BB329_11 Depth=1
	v_cmp_ne_u16_sdwa s5, v32, v124 src0_sel:BYTE_0 src1_sel:DWORD
	v_mov_b32_e32 v0, 0x8000
	buffer_store_dword v0, off, s[0:3], s32 offset:556 ; 4-byte Folded Spill
	s_and_saveexec_b32 s21, s5
	s_cbranch_execz .LBB329_786
; %bb.781:                              ;   in Loop: Header=BB329_11 Depth=1
	v_and_b32_e32 v2, 0x7f, v32
	v_mov_b32_e32 v0, 0x7c01
	s_mov_b32 s22, exec_lo
	buffer_store_dword v0, off, s[0:3], s32 offset:556 ; 4-byte Folded Spill
	v_cmpx_ne_u32_e32 0x7f, v2
	s_cbranch_execz .LBB329_785
; %bb.782:                              ;   in Loop: Header=BB329_11 Depth=1
	v_and_b32_e32 v0, 7, v32
	v_lshrrev_b32_e32 v1, 3, v2
	s_mov_b32 s23, exec_lo
	v_cmpx_gt_u32_e32 8, v2
; %bb.783:                              ;   in Loop: Header=BB329_11 Depth=1
	v_ffbh_u32_e32 v0, v0
	v_min_u32_e32 v2, 32, v0
	v_subrev_nc_u32_e32 v0, 28, v2
	v_lshlrev_b64 v[0:1], v0, v[32:33]
	v_sub_nc_u32_e32 v1, 29, v2
	v_and_b32_e32 v0, 7, v0
; %bb.784:                              ;   in Loop: Header=BB329_11 Depth=1
	s_or_b32 exec_lo, exec_lo, s23
	v_lshlrev_b32_e32 v2, 8, v32
	v_lshl_add_u32 v1, v1, 10, 0x2000
	v_lshlrev_b32_e32 v0, 7, v0
	v_and_b32_e32 v2, 0x8000, v2
	v_and_b32_e32 v1, 0xfc00, v1
	v_or3_b32 v0, v2, v1, v0
	buffer_store_dword v0, off, s[0:3], s32 offset:556 ; 4-byte Folded Spill
.LBB329_785:                            ;   in Loop: Header=BB329_11 Depth=1
	s_or_b32 exec_lo, exec_lo, s22
.LBB329_786:                            ;   in Loop: Header=BB329_11 Depth=1
	s_or_b32 exec_lo, exec_lo, s21
.LBB329_787:                            ;   in Loop: Header=BB329_11 Depth=1
	s_or_b32 exec_lo, exec_lo, s20
	v_mov_b32_e32 v0, 0
	v_lshrrev_b16 v8, 8, v32
	s_mov_b32 s20, exec_lo
	buffer_store_dword v0, off, s[0:3], s32 offset:564 ; 4-byte Folded Spill
	v_mov_b32_e32 v0, 0
	buffer_store_dword v0, off, s[0:3], s32 offset:560 ; 4-byte Folded Spill
	v_cmpx_ne_u16_e32 0, v8
	s_cbranch_execz .LBB329_795
; %bb.788:                              ;   in Loop: Header=BB329_11 Depth=1
	v_bfrev_b32_e32 v0, 1
	s_mov_b32 s21, exec_lo
	buffer_store_dword v0, off, s[0:3], s32 offset:560 ; 4-byte Folded Spill
	v_cmpx_ne_u16_e32 0x80, v8
	s_cbranch_execz .LBB329_794
; %bb.789:                              ;   in Loop: Header=BB329_11 Depth=1
	v_mov_b32_e32 v0, 0x7f
	s_mov_b32 s22, exec_lo
	v_and_b32_sdwa v2, v8, v0 dst_sel:DWORD dst_unused:UNUSED_PAD src0_sel:WORD_0 src1_sel:DWORD
	v_mov_b32_e32 v0, 0x7c010000
	buffer_store_dword v0, off, s[0:3], s32 offset:560 ; 4-byte Folded Spill
	v_cmpx_ne_u32_e32 0x7f, v2
	s_cbranch_execz .LBB329_793
; %bb.790:                              ;   in Loop: Header=BB329_11 Depth=1
	v_mov_b32_e32 v0, 7
	v_lshrrev_b32_e32 v1, 3, v2
	s_mov_b32 s23, exec_lo
	v_and_b32_sdwa v0, v8, v0 dst_sel:DWORD dst_unused:UNUSED_PAD src0_sel:WORD_0 src1_sel:DWORD
	v_cmpx_gt_u32_e32 8, v2
; %bb.791:                              ;   in Loop: Header=BB329_11 Depth=1
	v_ffbh_u32_e32 v0, v0
	v_min_u32_e32 v2, 32, v0
	v_subrev_nc_u32_e32 v0, 28, v2
	v_lshlrev_b64 v[0:1], v0, v[8:9]
	v_sub_nc_u32_e32 v1, 29, v2
	v_and_b32_e32 v0, 7, v0
; %bb.792:                              ;   in Loop: Header=BB329_11 Depth=1
	s_or_b32 exec_lo, exec_lo, s23
	v_mov_b32_e32 v2, 8
	v_lshl_add_u32 v1, v1, 10, 0x2000
	v_lshlrev_b32_e32 v0, 23, v0
	v_lshlrev_b32_sdwa v2, v2, v8 dst_sel:DWORD dst_unused:UNUSED_PAD src0_sel:DWORD src1_sel:WORD_0
	v_and_or_b32 v1, 0x8000, v2, v1
	v_lshl_or_b32 v0, v1, 16, v0
	buffer_store_dword v0, off, s[0:3], s32 offset:560 ; 4-byte Folded Spill
.LBB329_793:                            ;   in Loop: Header=BB329_11 Depth=1
	s_or_b32 exec_lo, exec_lo, s22
.LBB329_794:                            ;   in Loop: Header=BB329_11 Depth=1
	s_or_b32 exec_lo, exec_lo, s21
.LBB329_795:                            ;   in Loop: Header=BB329_11 Depth=1
	s_or_b32 exec_lo, exec_lo, s20
	v_lshrrev_b32_e32 v8, 16, v32
	v_cmp_ne_u16_sdwa s5, v8, v9 src0_sel:BYTE_0 src1_sel:DWORD
	s_and_saveexec_b32 s20, s5
	s_cbranch_execz .LBB329_803
; %bb.796:                              ;   in Loop: Header=BB329_11 Depth=1
	v_cmp_ne_u16_sdwa s5, v8, v124 src0_sel:BYTE_0 src1_sel:DWORD
	v_mov_b32_e32 v0, 0x8000
	buffer_store_dword v0, off, s[0:3], s32 offset:564 ; 4-byte Folded Spill
	s_and_saveexec_b32 s21, s5
	s_cbranch_execz .LBB329_802
; %bb.797:                              ;   in Loop: Header=BB329_11 Depth=1
	v_bfe_u32 v2, v32, 16, 7
	v_mov_b32_e32 v0, 0x7c01
	s_mov_b32 s22, exec_lo
	buffer_store_dword v0, off, s[0:3], s32 offset:564 ; 4-byte Folded Spill
	v_cmpx_ne_u32_e32 0x7f, v2
	s_cbranch_execz .LBB329_801
; %bb.798:                              ;   in Loop: Header=BB329_11 Depth=1
	v_and_b32_e32 v0, 7, v8
	v_lshrrev_b32_e32 v1, 3, v2
	s_mov_b32 s23, exec_lo
	v_cmpx_gt_u32_e32 8, v2
; %bb.799:                              ;   in Loop: Header=BB329_11 Depth=1
	v_ffbh_u32_e32 v0, v0
	v_min_u32_e32 v2, 32, v0
	v_subrev_nc_u32_e32 v0, 28, v2
	v_lshlrev_b64 v[0:1], v0, v[8:9]
	v_sub_nc_u32_e32 v1, 29, v2
	v_and_b32_e32 v0, 7, v0
; %bb.800:                              ;   in Loop: Header=BB329_11 Depth=1
	s_or_b32 exec_lo, exec_lo, s23
	v_lshlrev_b32_e32 v2, 8, v8
	v_lshl_add_u32 v1, v1, 10, 0x2000
	v_lshlrev_b32_e32 v0, 7, v0
	v_and_b32_e32 v2, 0x8000, v2
	v_and_b32_e32 v1, 0xfc00, v1
	v_or3_b32 v0, v2, v1, v0
	buffer_store_dword v0, off, s[0:3], s32 offset:564 ; 4-byte Folded Spill
.LBB329_801:                            ;   in Loop: Header=BB329_11 Depth=1
	s_or_b32 exec_lo, exec_lo, s22
.LBB329_802:                            ;   in Loop: Header=BB329_11 Depth=1
	s_or_b32 exec_lo, exec_lo, s21
.LBB329_803:                            ;   in Loop: Header=BB329_11 Depth=1
	s_or_b32 exec_lo, exec_lo, s20
	v_mov_b32_e32 v0, 0
	s_mov_b32 s20, exec_lo
	buffer_store_dword v0, off, s[0:3], s32 offset:568 ; 4-byte Folded Spill
	v_mov_b32_e32 v0, 0
	buffer_store_dword v0, off, s[0:3], s32 offset:572 ; 4-byte Folded Spill
	v_cmpx_lt_u32_e32 0xffffff, v32
	s_cbranch_execz .LBB329_811
; %bb.804:                              ;   in Loop: Header=BB329_11 Depth=1
	v_lshrrev_b32_e32 v8, 24, v32
	v_bfrev_b32_e32 v0, 1
	s_mov_b32 s21, exec_lo
	buffer_store_dword v0, off, s[0:3], s32 offset:572 ; 4-byte Folded Spill
	v_cmpx_ne_u32_e32 0x80, v8
	s_cbranch_execz .LBB329_810
; %bb.805:                              ;   in Loop: Header=BB329_11 Depth=1
	v_and_b32_e32 v2, 0x7f, v8
	v_mov_b32_e32 v0, 0x7c010000
	s_mov_b32 s22, exec_lo
	buffer_store_dword v0, off, s[0:3], s32 offset:572 ; 4-byte Folded Spill
	v_cmpx_ne_u32_e32 0x7f, v2
	s_cbranch_execz .LBB329_809
; %bb.806:                              ;   in Loop: Header=BB329_11 Depth=1
	v_and_b32_e32 v0, 7, v8
	v_lshrrev_b32_e32 v1, 3, v2
	s_mov_b32 s23, exec_lo
	v_cmpx_gt_u32_e32 8, v2
; %bb.807:                              ;   in Loop: Header=BB329_11 Depth=1
	v_ffbh_u32_e32 v0, v0
	v_min_u32_e32 v2, 32, v0
	v_subrev_nc_u32_e32 v0, 28, v2
	v_lshlrev_b64 v[0:1], v0, v[8:9]
	v_sub_nc_u32_e32 v1, 29, v2
	v_and_b32_e32 v0, 7, v0
; %bb.808:                              ;   in Loop: Header=BB329_11 Depth=1
	s_or_b32 exec_lo, exec_lo, s23
	v_lshlrev_b32_e32 v2, 8, v8
	v_lshl_add_u32 v1, v1, 10, 0x2000
	v_lshlrev_b32_e32 v0, 23, v0
	v_and_or_b32 v1, 0x8000, v2, v1
	v_lshl_or_b32 v0, v1, 16, v0
	buffer_store_dword v0, off, s[0:3], s32 offset:572 ; 4-byte Folded Spill
.LBB329_809:                            ;   in Loop: Header=BB329_11 Depth=1
	s_or_b32 exec_lo, exec_lo, s22
.LBB329_810:                            ;   in Loop: Header=BB329_11 Depth=1
	s_or_b32 exec_lo, exec_lo, s21
.LBB329_811:                            ;   in Loop: Header=BB329_11 Depth=1
	s_or_b32 exec_lo, exec_lo, s20
	v_mov_b32_e32 v8, v33
	v_cmp_ne_u16_sdwa s5, v33, v9 src0_sel:BYTE_0 src1_sel:DWORD
	s_and_saveexec_b32 s20, s5
	s_cbranch_execz .LBB329_819
; %bb.812:                              ;   in Loop: Header=BB329_11 Depth=1
	v_cmp_ne_u16_sdwa s5, v33, v124 src0_sel:BYTE_0 src1_sel:DWORD
	v_mov_b32_e32 v0, 0x8000
	buffer_store_dword v0, off, s[0:3], s32 offset:568 ; 4-byte Folded Spill
	s_and_saveexec_b32 s21, s5
	s_cbranch_execz .LBB329_818
; %bb.813:                              ;   in Loop: Header=BB329_11 Depth=1
	v_and_b32_e32 v2, 0x7f, v33
	v_mov_b32_e32 v0, 0x7c01
	s_mov_b32 s22, exec_lo
	buffer_store_dword v0, off, s[0:3], s32 offset:568 ; 4-byte Folded Spill
	v_cmpx_ne_u32_e32 0x7f, v2
	s_cbranch_execz .LBB329_817
; %bb.814:                              ;   in Loop: Header=BB329_11 Depth=1
	v_and_b32_e32 v0, 7, v33
	v_lshrrev_b32_e32 v1, 3, v2
	s_mov_b32 s23, exec_lo
	v_cmpx_gt_u32_e32 8, v2
; %bb.815:                              ;   in Loop: Header=BB329_11 Depth=1
	v_ffbh_u32_e32 v0, v0
	v_min_u32_e32 v2, 32, v0
	v_subrev_nc_u32_e32 v0, 28, v2
	v_lshlrev_b64 v[0:1], v0, v[8:9]
	v_sub_nc_u32_e32 v1, 29, v2
	v_and_b32_e32 v0, 7, v0
; %bb.816:                              ;   in Loop: Header=BB329_11 Depth=1
	s_or_b32 exec_lo, exec_lo, s23
	v_lshlrev_b32_e32 v2, 8, v33
	v_lshl_add_u32 v1, v1, 10, 0x2000
	v_lshlrev_b32_e32 v0, 7, v0
	v_and_b32_e32 v2, 0x8000, v2
	v_and_b32_e32 v1, 0xfc00, v1
	v_or3_b32 v0, v2, v1, v0
	buffer_store_dword v0, off, s[0:3], s32 offset:568 ; 4-byte Folded Spill
.LBB329_817:                            ;   in Loop: Header=BB329_11 Depth=1
	s_or_b32 exec_lo, exec_lo, s22
.LBB329_818:                            ;   in Loop: Header=BB329_11 Depth=1
	s_or_b32 exec_lo, exec_lo, s21
.LBB329_819:                            ;   in Loop: Header=BB329_11 Depth=1
	s_or_b32 exec_lo, exec_lo, s20
	v_mov_b32_e32 v0, 0
	v_lshrrev_b16 v8, 8, v8
	s_mov_b32 s20, exec_lo
	buffer_store_dword v0, off, s[0:3], s32 offset:576 ; 4-byte Folded Spill
	v_mov_b32_e32 v0, 0
	buffer_store_dword v0, off, s[0:3], s32 offset:580 ; 4-byte Folded Spill
	v_cmpx_ne_u16_e32 0, v8
	s_cbranch_execz .LBB329_827
; %bb.820:                              ;   in Loop: Header=BB329_11 Depth=1
	v_bfrev_b32_e32 v0, 1
	s_mov_b32 s21, exec_lo
	buffer_store_dword v0, off, s[0:3], s32 offset:580 ; 4-byte Folded Spill
	v_cmpx_ne_u16_e32 0x80, v8
	s_cbranch_execz .LBB329_826
; %bb.821:                              ;   in Loop: Header=BB329_11 Depth=1
	v_mov_b32_e32 v0, 0x7f
	s_mov_b32 s22, exec_lo
	v_and_b32_sdwa v2, v8, v0 dst_sel:DWORD dst_unused:UNUSED_PAD src0_sel:WORD_0 src1_sel:DWORD
	v_mov_b32_e32 v0, 0x7c010000
	buffer_store_dword v0, off, s[0:3], s32 offset:580 ; 4-byte Folded Spill
	v_cmpx_ne_u32_e32 0x7f, v2
	s_cbranch_execz .LBB329_825
; %bb.822:                              ;   in Loop: Header=BB329_11 Depth=1
	v_mov_b32_e32 v0, 7
	v_lshrrev_b32_e32 v1, 3, v2
	s_mov_b32 s23, exec_lo
	v_and_b32_sdwa v0, v8, v0 dst_sel:DWORD dst_unused:UNUSED_PAD src0_sel:WORD_0 src1_sel:DWORD
	v_cmpx_gt_u32_e32 8, v2
; %bb.823:                              ;   in Loop: Header=BB329_11 Depth=1
	v_ffbh_u32_e32 v0, v0
	v_min_u32_e32 v2, 32, v0
	v_subrev_nc_u32_e32 v0, 28, v2
	v_lshlrev_b64 v[0:1], v0, v[8:9]
	v_sub_nc_u32_e32 v1, 29, v2
	v_and_b32_e32 v0, 7, v0
; %bb.824:                              ;   in Loop: Header=BB329_11 Depth=1
	s_or_b32 exec_lo, exec_lo, s23
	v_mov_b32_e32 v2, 8
	v_lshl_add_u32 v1, v1, 10, 0x2000
	v_lshlrev_b32_e32 v0, 23, v0
	v_lshlrev_b32_sdwa v2, v2, v8 dst_sel:DWORD dst_unused:UNUSED_PAD src0_sel:DWORD src1_sel:WORD_0
	v_and_or_b32 v1, 0x8000, v2, v1
	v_lshl_or_b32 v0, v1, 16, v0
	buffer_store_dword v0, off, s[0:3], s32 offset:580 ; 4-byte Folded Spill
.LBB329_825:                            ;   in Loop: Header=BB329_11 Depth=1
	s_or_b32 exec_lo, exec_lo, s22
.LBB329_826:                            ;   in Loop: Header=BB329_11 Depth=1
	s_or_b32 exec_lo, exec_lo, s21
.LBB329_827:                            ;   in Loop: Header=BB329_11 Depth=1
	s_or_b32 exec_lo, exec_lo, s20
	v_lshrrev_b32_e32 v8, 16, v33
	v_cmp_ne_u16_sdwa s5, v8, v9 src0_sel:BYTE_0 src1_sel:DWORD
	s_and_saveexec_b32 s20, s5
	s_cbranch_execz .LBB329_835
; %bb.828:                              ;   in Loop: Header=BB329_11 Depth=1
	v_cmp_ne_u16_sdwa s5, v8, v124 src0_sel:BYTE_0 src1_sel:DWORD
	v_mov_b32_e32 v0, 0x8000
	buffer_store_dword v0, off, s[0:3], s32 offset:576 ; 4-byte Folded Spill
	s_and_saveexec_b32 s21, s5
	s_cbranch_execz .LBB329_834
; %bb.829:                              ;   in Loop: Header=BB329_11 Depth=1
	v_bfe_u32 v2, v33, 16, 7
	v_mov_b32_e32 v0, 0x7c01
	s_mov_b32 s22, exec_lo
	buffer_store_dword v0, off, s[0:3], s32 offset:576 ; 4-byte Folded Spill
	v_cmpx_ne_u32_e32 0x7f, v2
	s_cbranch_execz .LBB329_833
; %bb.830:                              ;   in Loop: Header=BB329_11 Depth=1
	v_and_b32_e32 v0, 7, v8
	v_lshrrev_b32_e32 v1, 3, v2
	s_mov_b32 s23, exec_lo
	v_cmpx_gt_u32_e32 8, v2
; %bb.831:                              ;   in Loop: Header=BB329_11 Depth=1
	v_ffbh_u32_e32 v0, v0
	v_min_u32_e32 v2, 32, v0
	v_subrev_nc_u32_e32 v0, 28, v2
	v_lshlrev_b64 v[0:1], v0, v[8:9]
	v_sub_nc_u32_e32 v1, 29, v2
	v_and_b32_e32 v0, 7, v0
; %bb.832:                              ;   in Loop: Header=BB329_11 Depth=1
	s_or_b32 exec_lo, exec_lo, s23
	v_lshlrev_b32_e32 v2, 8, v8
	v_lshl_add_u32 v1, v1, 10, 0x2000
	v_lshlrev_b32_e32 v0, 7, v0
	v_and_b32_e32 v2, 0x8000, v2
	v_and_b32_e32 v1, 0xfc00, v1
	v_or3_b32 v0, v2, v1, v0
	buffer_store_dword v0, off, s[0:3], s32 offset:576 ; 4-byte Folded Spill
.LBB329_833:                            ;   in Loop: Header=BB329_11 Depth=1
	s_or_b32 exec_lo, exec_lo, s22
.LBB329_834:                            ;   in Loop: Header=BB329_11 Depth=1
	s_or_b32 exec_lo, exec_lo, s21
.LBB329_835:                            ;   in Loop: Header=BB329_11 Depth=1
	s_or_b32 exec_lo, exec_lo, s20
	v_mov_b32_e32 v0, 0
	s_mov_b32 s20, exec_lo
	buffer_store_dword v0, off, s[0:3], s32 offset:584 ; 4-byte Folded Spill
	v_mov_b32_e32 v0, 0
	buffer_store_dword v0, off, s[0:3], s32 offset:764 ; 4-byte Folded Spill
	v_cmpx_lt_u64_e64 s[6:7], v[32:33]
	s_cbranch_execz .LBB329_843
; %bb.836:                              ;   in Loop: Header=BB329_11 Depth=1
	v_lshrrev_b32_e32 v8, 24, v33
	v_bfrev_b32_e32 v0, 1
	s_mov_b32 s21, exec_lo
	v_cmpx_ne_u32_e32 0x80, v8
	s_cbranch_execz .LBB329_842
; %bb.837:                              ;   in Loop: Header=BB329_11 Depth=1
	v_and_b32_e32 v2, 0x7f, v8
	v_mov_b32_e32 v0, 0x7c010000
	s_mov_b32 s22, exec_lo
	v_cmpx_ne_u32_e32 0x7f, v2
	s_cbranch_execz .LBB329_841
; %bb.838:                              ;   in Loop: Header=BB329_11 Depth=1
	v_and_b32_e32 v0, 7, v8
	v_lshrrev_b32_e32 v1, 3, v2
	s_mov_b32 s23, exec_lo
	v_cmpx_gt_u32_e32 8, v2
; %bb.839:                              ;   in Loop: Header=BB329_11 Depth=1
	v_ffbh_u32_e32 v0, v0
	v_min_u32_e32 v2, 32, v0
	v_subrev_nc_u32_e32 v0, 28, v2
	v_lshlrev_b64 v[0:1], v0, v[8:9]
	v_sub_nc_u32_e32 v1, 29, v2
	v_and_b32_e32 v0, 7, v0
; %bb.840:                              ;   in Loop: Header=BB329_11 Depth=1
	s_or_b32 exec_lo, exec_lo, s23
	v_lshlrev_b32_e32 v2, 8, v8
	v_lshl_add_u32 v1, v1, 10, 0x2000
	v_lshlrev_b32_e32 v0, 23, v0
	v_and_or_b32 v1, 0x8000, v2, v1
	v_lshl_or_b32 v0, v1, 16, v0
.LBB329_841:                            ;   in Loop: Header=BB329_11 Depth=1
	s_or_b32 exec_lo, exec_lo, s22
.LBB329_842:                            ;   in Loop: Header=BB329_11 Depth=1
	s_or_b32 exec_lo, exec_lo, s21
	buffer_store_dword v0, off, s[0:3], s32 offset:764 ; 4-byte Folded Spill
.LBB329_843:                            ;   in Loop: Header=BB329_11 Depth=1
	s_or_b32 exec_lo, exec_lo, s20
	flat_load_dwordx2 v[32:33], v[30:31] offset:1032
	s_waitcnt vmcnt(0) lgkmcnt(0)
	v_cmp_ne_u16_sdwa s5, v32, v9 src0_sel:BYTE_0 src1_sel:DWORD
	s_and_saveexec_b32 s20, s5
	s_cbranch_execz .LBB329_851
; %bb.844:                              ;   in Loop: Header=BB329_11 Depth=1
	v_cmp_ne_u16_sdwa s5, v32, v124 src0_sel:BYTE_0 src1_sel:DWORD
	v_mov_b32_e32 v0, 0x8000
	buffer_store_dword v0, off, s[0:3], s32 offset:584 ; 4-byte Folded Spill
	s_and_saveexec_b32 s21, s5
	s_cbranch_execz .LBB329_850
; %bb.845:                              ;   in Loop: Header=BB329_11 Depth=1
	v_and_b32_e32 v2, 0x7f, v32
	v_mov_b32_e32 v0, 0x7c01
	s_mov_b32 s22, exec_lo
	buffer_store_dword v0, off, s[0:3], s32 offset:584 ; 4-byte Folded Spill
	v_cmpx_ne_u32_e32 0x7f, v2
	s_cbranch_execz .LBB329_849
; %bb.846:                              ;   in Loop: Header=BB329_11 Depth=1
	v_and_b32_e32 v0, 7, v32
	v_lshrrev_b32_e32 v1, 3, v2
	s_mov_b32 s23, exec_lo
	v_cmpx_gt_u32_e32 8, v2
; %bb.847:                              ;   in Loop: Header=BB329_11 Depth=1
	v_ffbh_u32_e32 v0, v0
	v_min_u32_e32 v2, 32, v0
	v_subrev_nc_u32_e32 v0, 28, v2
	v_lshlrev_b64 v[0:1], v0, v[32:33]
	v_sub_nc_u32_e32 v1, 29, v2
	v_and_b32_e32 v0, 7, v0
; %bb.848:                              ;   in Loop: Header=BB329_11 Depth=1
	s_or_b32 exec_lo, exec_lo, s23
	v_lshlrev_b32_e32 v2, 8, v32
	v_lshl_add_u32 v1, v1, 10, 0x2000
	v_lshlrev_b32_e32 v0, 7, v0
	v_and_b32_e32 v2, 0x8000, v2
	v_and_b32_e32 v1, 0xfc00, v1
	v_or3_b32 v0, v2, v1, v0
	buffer_store_dword v0, off, s[0:3], s32 offset:584 ; 4-byte Folded Spill
.LBB329_849:                            ;   in Loop: Header=BB329_11 Depth=1
	s_or_b32 exec_lo, exec_lo, s22
.LBB329_850:                            ;   in Loop: Header=BB329_11 Depth=1
	s_or_b32 exec_lo, exec_lo, s21
.LBB329_851:                            ;   in Loop: Header=BB329_11 Depth=1
	s_or_b32 exec_lo, exec_lo, s20
	v_mov_b32_e32 v0, 0
	v_lshrrev_b16 v8, 8, v32
	s_mov_b32 s20, exec_lo
	buffer_store_dword v0, off, s[0:3], s32 offset:592 ; 4-byte Folded Spill
	v_mov_b32_e32 v0, 0
	buffer_store_dword v0, off, s[0:3], s32 offset:588 ; 4-byte Folded Spill
	v_cmpx_ne_u16_e32 0, v8
	s_cbranch_execz .LBB329_859
; %bb.852:                              ;   in Loop: Header=BB329_11 Depth=1
	v_bfrev_b32_e32 v0, 1
	s_mov_b32 s21, exec_lo
	buffer_store_dword v0, off, s[0:3], s32 offset:588 ; 4-byte Folded Spill
	v_cmpx_ne_u16_e32 0x80, v8
	s_cbranch_execz .LBB329_858
; %bb.853:                              ;   in Loop: Header=BB329_11 Depth=1
	v_mov_b32_e32 v0, 0x7f
	s_mov_b32 s22, exec_lo
	v_and_b32_sdwa v2, v8, v0 dst_sel:DWORD dst_unused:UNUSED_PAD src0_sel:WORD_0 src1_sel:DWORD
	v_mov_b32_e32 v0, 0x7c010000
	buffer_store_dword v0, off, s[0:3], s32 offset:588 ; 4-byte Folded Spill
	v_cmpx_ne_u32_e32 0x7f, v2
	s_cbranch_execz .LBB329_857
; %bb.854:                              ;   in Loop: Header=BB329_11 Depth=1
	v_mov_b32_e32 v0, 7
	v_lshrrev_b32_e32 v1, 3, v2
	s_mov_b32 s23, exec_lo
	v_and_b32_sdwa v0, v8, v0 dst_sel:DWORD dst_unused:UNUSED_PAD src0_sel:WORD_0 src1_sel:DWORD
	v_cmpx_gt_u32_e32 8, v2
; %bb.855:                              ;   in Loop: Header=BB329_11 Depth=1
	v_ffbh_u32_e32 v0, v0
	v_min_u32_e32 v2, 32, v0
	v_subrev_nc_u32_e32 v0, 28, v2
	v_lshlrev_b64 v[0:1], v0, v[8:9]
	v_sub_nc_u32_e32 v1, 29, v2
	v_and_b32_e32 v0, 7, v0
; %bb.856:                              ;   in Loop: Header=BB329_11 Depth=1
	s_or_b32 exec_lo, exec_lo, s23
	v_mov_b32_e32 v2, 8
	v_lshl_add_u32 v1, v1, 10, 0x2000
	v_lshlrev_b32_e32 v0, 23, v0
	v_lshlrev_b32_sdwa v2, v2, v8 dst_sel:DWORD dst_unused:UNUSED_PAD src0_sel:DWORD src1_sel:WORD_0
	v_and_or_b32 v1, 0x8000, v2, v1
	v_lshl_or_b32 v0, v1, 16, v0
	buffer_store_dword v0, off, s[0:3], s32 offset:588 ; 4-byte Folded Spill
.LBB329_857:                            ;   in Loop: Header=BB329_11 Depth=1
	s_or_b32 exec_lo, exec_lo, s22
.LBB329_858:                            ;   in Loop: Header=BB329_11 Depth=1
	s_or_b32 exec_lo, exec_lo, s21
.LBB329_859:                            ;   in Loop: Header=BB329_11 Depth=1
	s_or_b32 exec_lo, exec_lo, s20
	v_lshrrev_b32_e32 v8, 16, v32
	v_cmp_ne_u16_sdwa s5, v8, v9 src0_sel:BYTE_0 src1_sel:DWORD
	s_and_saveexec_b32 s20, s5
	s_cbranch_execz .LBB329_867
; %bb.860:                              ;   in Loop: Header=BB329_11 Depth=1
	v_cmp_ne_u16_sdwa s5, v8, v124 src0_sel:BYTE_0 src1_sel:DWORD
	v_mov_b32_e32 v0, 0x8000
	buffer_store_dword v0, off, s[0:3], s32 offset:592 ; 4-byte Folded Spill
	s_and_saveexec_b32 s21, s5
	s_cbranch_execz .LBB329_866
; %bb.861:                              ;   in Loop: Header=BB329_11 Depth=1
	v_bfe_u32 v2, v32, 16, 7
	v_mov_b32_e32 v0, 0x7c01
	s_mov_b32 s22, exec_lo
	buffer_store_dword v0, off, s[0:3], s32 offset:592 ; 4-byte Folded Spill
	v_cmpx_ne_u32_e32 0x7f, v2
	s_cbranch_execz .LBB329_865
; %bb.862:                              ;   in Loop: Header=BB329_11 Depth=1
	v_and_b32_e32 v0, 7, v8
	v_lshrrev_b32_e32 v1, 3, v2
	s_mov_b32 s23, exec_lo
	v_cmpx_gt_u32_e32 8, v2
; %bb.863:                              ;   in Loop: Header=BB329_11 Depth=1
	v_ffbh_u32_e32 v0, v0
	v_min_u32_e32 v2, 32, v0
	v_subrev_nc_u32_e32 v0, 28, v2
	v_lshlrev_b64 v[0:1], v0, v[8:9]
	v_sub_nc_u32_e32 v1, 29, v2
	v_and_b32_e32 v0, 7, v0
; %bb.864:                              ;   in Loop: Header=BB329_11 Depth=1
	s_or_b32 exec_lo, exec_lo, s23
	v_lshlrev_b32_e32 v2, 8, v8
	v_lshl_add_u32 v1, v1, 10, 0x2000
	v_lshlrev_b32_e32 v0, 7, v0
	v_and_b32_e32 v2, 0x8000, v2
	v_and_b32_e32 v1, 0xfc00, v1
	v_or3_b32 v0, v2, v1, v0
	buffer_store_dword v0, off, s[0:3], s32 offset:592 ; 4-byte Folded Spill
.LBB329_865:                            ;   in Loop: Header=BB329_11 Depth=1
	s_or_b32 exec_lo, exec_lo, s22
.LBB329_866:                            ;   in Loop: Header=BB329_11 Depth=1
	s_or_b32 exec_lo, exec_lo, s21
.LBB329_867:                            ;   in Loop: Header=BB329_11 Depth=1
	s_or_b32 exec_lo, exec_lo, s20
	v_mov_b32_e32 v0, 0
	s_mov_b32 s20, exec_lo
	buffer_store_dword v0, off, s[0:3], s32 offset:596 ; 4-byte Folded Spill
	v_mov_b32_e32 v0, 0
	buffer_store_dword v0, off, s[0:3], s32 offset:600 ; 4-byte Folded Spill
	v_cmpx_lt_u32_e32 0xffffff, v32
	s_cbranch_execz .LBB329_875
; %bb.868:                              ;   in Loop: Header=BB329_11 Depth=1
	v_lshrrev_b32_e32 v8, 24, v32
	v_bfrev_b32_e32 v0, 1
	s_mov_b32 s21, exec_lo
	buffer_store_dword v0, off, s[0:3], s32 offset:600 ; 4-byte Folded Spill
	v_cmpx_ne_u32_e32 0x80, v8
	s_cbranch_execz .LBB329_874
; %bb.869:                              ;   in Loop: Header=BB329_11 Depth=1
	v_and_b32_e32 v2, 0x7f, v8
	v_mov_b32_e32 v0, 0x7c010000
	s_mov_b32 s22, exec_lo
	buffer_store_dword v0, off, s[0:3], s32 offset:600 ; 4-byte Folded Spill
	v_cmpx_ne_u32_e32 0x7f, v2
	s_cbranch_execz .LBB329_873
; %bb.870:                              ;   in Loop: Header=BB329_11 Depth=1
	v_and_b32_e32 v0, 7, v8
	v_lshrrev_b32_e32 v1, 3, v2
	s_mov_b32 s23, exec_lo
	v_cmpx_gt_u32_e32 8, v2
; %bb.871:                              ;   in Loop: Header=BB329_11 Depth=1
	v_ffbh_u32_e32 v0, v0
	v_min_u32_e32 v2, 32, v0
	v_subrev_nc_u32_e32 v0, 28, v2
	v_lshlrev_b64 v[0:1], v0, v[8:9]
	v_sub_nc_u32_e32 v1, 29, v2
	v_and_b32_e32 v0, 7, v0
; %bb.872:                              ;   in Loop: Header=BB329_11 Depth=1
	s_or_b32 exec_lo, exec_lo, s23
	v_lshlrev_b32_e32 v2, 8, v8
	v_lshl_add_u32 v1, v1, 10, 0x2000
	v_lshlrev_b32_e32 v0, 23, v0
	v_and_or_b32 v1, 0x8000, v2, v1
	v_lshl_or_b32 v0, v1, 16, v0
	buffer_store_dword v0, off, s[0:3], s32 offset:600 ; 4-byte Folded Spill
.LBB329_873:                            ;   in Loop: Header=BB329_11 Depth=1
	s_or_b32 exec_lo, exec_lo, s22
.LBB329_874:                            ;   in Loop: Header=BB329_11 Depth=1
	s_or_b32 exec_lo, exec_lo, s21
.LBB329_875:                            ;   in Loop: Header=BB329_11 Depth=1
	s_or_b32 exec_lo, exec_lo, s20
	v_mov_b32_e32 v8, v33
	v_cmp_ne_u16_sdwa s5, v33, v9 src0_sel:BYTE_0 src1_sel:DWORD
	s_and_saveexec_b32 s20, s5
	s_cbranch_execz .LBB329_883
; %bb.876:                              ;   in Loop: Header=BB329_11 Depth=1
	v_cmp_ne_u16_sdwa s5, v33, v124 src0_sel:BYTE_0 src1_sel:DWORD
	v_mov_b32_e32 v0, 0x8000
	buffer_store_dword v0, off, s[0:3], s32 offset:596 ; 4-byte Folded Spill
	s_and_saveexec_b32 s21, s5
	s_cbranch_execz .LBB329_882
; %bb.877:                              ;   in Loop: Header=BB329_11 Depth=1
	v_and_b32_e32 v2, 0x7f, v33
	v_mov_b32_e32 v0, 0x7c01
	s_mov_b32 s22, exec_lo
	buffer_store_dword v0, off, s[0:3], s32 offset:596 ; 4-byte Folded Spill
	v_cmpx_ne_u32_e32 0x7f, v2
	s_cbranch_execz .LBB329_881
; %bb.878:                              ;   in Loop: Header=BB329_11 Depth=1
	v_and_b32_e32 v0, 7, v33
	v_lshrrev_b32_e32 v1, 3, v2
	s_mov_b32 s23, exec_lo
	v_cmpx_gt_u32_e32 8, v2
; %bb.879:                              ;   in Loop: Header=BB329_11 Depth=1
	v_ffbh_u32_e32 v0, v0
	v_min_u32_e32 v2, 32, v0
	v_subrev_nc_u32_e32 v0, 28, v2
	v_lshlrev_b64 v[0:1], v0, v[8:9]
	v_sub_nc_u32_e32 v1, 29, v2
	v_and_b32_e32 v0, 7, v0
; %bb.880:                              ;   in Loop: Header=BB329_11 Depth=1
	s_or_b32 exec_lo, exec_lo, s23
	v_lshlrev_b32_e32 v2, 8, v33
	v_lshl_add_u32 v1, v1, 10, 0x2000
	v_lshlrev_b32_e32 v0, 7, v0
	v_and_b32_e32 v2, 0x8000, v2
	v_and_b32_e32 v1, 0xfc00, v1
	v_or3_b32 v0, v2, v1, v0
	buffer_store_dword v0, off, s[0:3], s32 offset:596 ; 4-byte Folded Spill
.LBB329_881:                            ;   in Loop: Header=BB329_11 Depth=1
	s_or_b32 exec_lo, exec_lo, s22
.LBB329_882:                            ;   in Loop: Header=BB329_11 Depth=1
	s_or_b32 exec_lo, exec_lo, s21
.LBB329_883:                            ;   in Loop: Header=BB329_11 Depth=1
	s_or_b32 exec_lo, exec_lo, s20
	v_mov_b32_e32 v0, 0
	v_lshrrev_b16 v8, 8, v8
	s_mov_b32 s20, exec_lo
	buffer_store_dword v0, off, s[0:3], s32 offset:604 ; 4-byte Folded Spill
	v_mov_b32_e32 v0, 0
	buffer_store_dword v0, off, s[0:3], s32 offset:608 ; 4-byte Folded Spill
	v_cmpx_ne_u16_e32 0, v8
	s_cbranch_execz .LBB329_891
; %bb.884:                              ;   in Loop: Header=BB329_11 Depth=1
	v_bfrev_b32_e32 v0, 1
	s_mov_b32 s21, exec_lo
	buffer_store_dword v0, off, s[0:3], s32 offset:608 ; 4-byte Folded Spill
	v_cmpx_ne_u16_e32 0x80, v8
	s_cbranch_execz .LBB329_890
; %bb.885:                              ;   in Loop: Header=BB329_11 Depth=1
	v_mov_b32_e32 v0, 0x7f
	s_mov_b32 s22, exec_lo
	v_and_b32_sdwa v2, v8, v0 dst_sel:DWORD dst_unused:UNUSED_PAD src0_sel:WORD_0 src1_sel:DWORD
	v_mov_b32_e32 v0, 0x7c010000
	buffer_store_dword v0, off, s[0:3], s32 offset:608 ; 4-byte Folded Spill
	v_cmpx_ne_u32_e32 0x7f, v2
	s_cbranch_execz .LBB329_889
; %bb.886:                              ;   in Loop: Header=BB329_11 Depth=1
	v_mov_b32_e32 v0, 7
	v_lshrrev_b32_e32 v1, 3, v2
	s_mov_b32 s23, exec_lo
	v_and_b32_sdwa v0, v8, v0 dst_sel:DWORD dst_unused:UNUSED_PAD src0_sel:WORD_0 src1_sel:DWORD
	v_cmpx_gt_u32_e32 8, v2
; %bb.887:                              ;   in Loop: Header=BB329_11 Depth=1
	v_ffbh_u32_e32 v0, v0
	v_min_u32_e32 v2, 32, v0
	v_subrev_nc_u32_e32 v0, 28, v2
	v_lshlrev_b64 v[0:1], v0, v[8:9]
	v_sub_nc_u32_e32 v1, 29, v2
	v_and_b32_e32 v0, 7, v0
; %bb.888:                              ;   in Loop: Header=BB329_11 Depth=1
	s_or_b32 exec_lo, exec_lo, s23
	v_mov_b32_e32 v2, 8
	v_lshl_add_u32 v1, v1, 10, 0x2000
	v_lshlrev_b32_e32 v0, 23, v0
	v_lshlrev_b32_sdwa v2, v2, v8 dst_sel:DWORD dst_unused:UNUSED_PAD src0_sel:DWORD src1_sel:WORD_0
	v_and_or_b32 v1, 0x8000, v2, v1
	v_lshl_or_b32 v0, v1, 16, v0
	buffer_store_dword v0, off, s[0:3], s32 offset:608 ; 4-byte Folded Spill
.LBB329_889:                            ;   in Loop: Header=BB329_11 Depth=1
	s_or_b32 exec_lo, exec_lo, s22
.LBB329_890:                            ;   in Loop: Header=BB329_11 Depth=1
	s_or_b32 exec_lo, exec_lo, s21
.LBB329_891:                            ;   in Loop: Header=BB329_11 Depth=1
	s_or_b32 exec_lo, exec_lo, s20
	v_lshrrev_b32_e32 v8, 16, v33
	v_cmp_ne_u16_sdwa s5, v8, v9 src0_sel:BYTE_0 src1_sel:DWORD
	s_and_saveexec_b32 s20, s5
	s_cbranch_execz .LBB329_899
; %bb.892:                              ;   in Loop: Header=BB329_11 Depth=1
	v_cmp_ne_u16_sdwa s5, v8, v124 src0_sel:BYTE_0 src1_sel:DWORD
	v_mov_b32_e32 v0, 0x8000
	buffer_store_dword v0, off, s[0:3], s32 offset:604 ; 4-byte Folded Spill
	s_and_saveexec_b32 s21, s5
	s_cbranch_execz .LBB329_898
; %bb.893:                              ;   in Loop: Header=BB329_11 Depth=1
	v_bfe_u32 v2, v33, 16, 7
	v_mov_b32_e32 v0, 0x7c01
	s_mov_b32 s22, exec_lo
	buffer_store_dword v0, off, s[0:3], s32 offset:604 ; 4-byte Folded Spill
	v_cmpx_ne_u32_e32 0x7f, v2
	s_cbranch_execz .LBB329_897
; %bb.894:                              ;   in Loop: Header=BB329_11 Depth=1
	v_and_b32_e32 v0, 7, v8
	v_lshrrev_b32_e32 v1, 3, v2
	s_mov_b32 s23, exec_lo
	v_cmpx_gt_u32_e32 8, v2
; %bb.895:                              ;   in Loop: Header=BB329_11 Depth=1
	v_ffbh_u32_e32 v0, v0
	v_min_u32_e32 v2, 32, v0
	v_subrev_nc_u32_e32 v0, 28, v2
	v_lshlrev_b64 v[0:1], v0, v[8:9]
	v_sub_nc_u32_e32 v1, 29, v2
	v_and_b32_e32 v0, 7, v0
; %bb.896:                              ;   in Loop: Header=BB329_11 Depth=1
	s_or_b32 exec_lo, exec_lo, s23
	v_lshlrev_b32_e32 v2, 8, v8
	v_lshl_add_u32 v1, v1, 10, 0x2000
	v_lshlrev_b32_e32 v0, 7, v0
	v_and_b32_e32 v2, 0x8000, v2
	v_and_b32_e32 v1, 0xfc00, v1
	v_or3_b32 v0, v2, v1, v0
	buffer_store_dword v0, off, s[0:3], s32 offset:604 ; 4-byte Folded Spill
.LBB329_897:                            ;   in Loop: Header=BB329_11 Depth=1
	s_or_b32 exec_lo, exec_lo, s22
.LBB329_898:                            ;   in Loop: Header=BB329_11 Depth=1
	s_or_b32 exec_lo, exec_lo, s21
.LBB329_899:                            ;   in Loop: Header=BB329_11 Depth=1
	s_or_b32 exec_lo, exec_lo, s20
	v_mov_b32_e32 v0, 0
	s_mov_b32 s20, exec_lo
	buffer_store_dword v0, off, s[0:3], s32 offset:612 ; 4-byte Folded Spill
	v_mov_b32_e32 v0, 0
	buffer_store_dword v0, off, s[0:3], s32 offset:768 ; 4-byte Folded Spill
	v_cmpx_lt_u64_e64 s[6:7], v[32:33]
	s_cbranch_execz .LBB329_907
; %bb.900:                              ;   in Loop: Header=BB329_11 Depth=1
	v_lshrrev_b32_e32 v8, 24, v33
	v_bfrev_b32_e32 v0, 1
	s_mov_b32 s21, exec_lo
	v_cmpx_ne_u32_e32 0x80, v8
	s_cbranch_execz .LBB329_906
; %bb.901:                              ;   in Loop: Header=BB329_11 Depth=1
	v_and_b32_e32 v2, 0x7f, v8
	v_mov_b32_e32 v0, 0x7c010000
	s_mov_b32 s22, exec_lo
	v_cmpx_ne_u32_e32 0x7f, v2
	s_cbranch_execz .LBB329_905
; %bb.902:                              ;   in Loop: Header=BB329_11 Depth=1
	v_and_b32_e32 v0, 7, v8
	v_lshrrev_b32_e32 v1, 3, v2
	s_mov_b32 s23, exec_lo
	v_cmpx_gt_u32_e32 8, v2
; %bb.903:                              ;   in Loop: Header=BB329_11 Depth=1
	v_ffbh_u32_e32 v0, v0
	v_min_u32_e32 v2, 32, v0
	v_subrev_nc_u32_e32 v0, 28, v2
	v_lshlrev_b64 v[0:1], v0, v[8:9]
	v_sub_nc_u32_e32 v1, 29, v2
	v_and_b32_e32 v0, 7, v0
; %bb.904:                              ;   in Loop: Header=BB329_11 Depth=1
	s_or_b32 exec_lo, exec_lo, s23
	v_lshlrev_b32_e32 v2, 8, v8
	v_lshl_add_u32 v1, v1, 10, 0x2000
	v_lshlrev_b32_e32 v0, 23, v0
	v_and_or_b32 v1, 0x8000, v2, v1
	v_lshl_or_b32 v0, v1, 16, v0
.LBB329_905:                            ;   in Loop: Header=BB329_11 Depth=1
	s_or_b32 exec_lo, exec_lo, s22
.LBB329_906:                            ;   in Loop: Header=BB329_11 Depth=1
	s_or_b32 exec_lo, exec_lo, s21
	buffer_store_dword v0, off, s[0:3], s32 offset:768 ; 4-byte Folded Spill
.LBB329_907:                            ;   in Loop: Header=BB329_11 Depth=1
	s_or_b32 exec_lo, exec_lo, s20
	flat_load_dwordx2 v[32:33], v[30:31] offset:1536
	s_waitcnt vmcnt(0) lgkmcnt(0)
	v_cmp_ne_u16_sdwa s5, v32, v9 src0_sel:BYTE_0 src1_sel:DWORD
	s_and_saveexec_b32 s20, s5
	s_cbranch_execz .LBB329_915
; %bb.908:                              ;   in Loop: Header=BB329_11 Depth=1
	v_cmp_ne_u16_sdwa s5, v32, v124 src0_sel:BYTE_0 src1_sel:DWORD
	v_mov_b32_e32 v0, 0x8000
	buffer_store_dword v0, off, s[0:3], s32 offset:612 ; 4-byte Folded Spill
	s_and_saveexec_b32 s21, s5
	s_cbranch_execz .LBB329_914
; %bb.909:                              ;   in Loop: Header=BB329_11 Depth=1
	v_and_b32_e32 v2, 0x7f, v32
	v_mov_b32_e32 v0, 0x7c01
	s_mov_b32 s22, exec_lo
	buffer_store_dword v0, off, s[0:3], s32 offset:612 ; 4-byte Folded Spill
	v_cmpx_ne_u32_e32 0x7f, v2
	s_cbranch_execz .LBB329_913
; %bb.910:                              ;   in Loop: Header=BB329_11 Depth=1
	v_and_b32_e32 v0, 7, v32
	v_lshrrev_b32_e32 v1, 3, v2
	s_mov_b32 s23, exec_lo
	v_cmpx_gt_u32_e32 8, v2
; %bb.911:                              ;   in Loop: Header=BB329_11 Depth=1
	v_ffbh_u32_e32 v0, v0
	v_min_u32_e32 v2, 32, v0
	v_subrev_nc_u32_e32 v0, 28, v2
	v_lshlrev_b64 v[0:1], v0, v[32:33]
	v_sub_nc_u32_e32 v1, 29, v2
	v_and_b32_e32 v0, 7, v0
; %bb.912:                              ;   in Loop: Header=BB329_11 Depth=1
	s_or_b32 exec_lo, exec_lo, s23
	v_lshlrev_b32_e32 v2, 8, v32
	v_lshl_add_u32 v1, v1, 10, 0x2000
	v_lshlrev_b32_e32 v0, 7, v0
	v_and_b32_e32 v2, 0x8000, v2
	v_and_b32_e32 v1, 0xfc00, v1
	v_or3_b32 v0, v2, v1, v0
	buffer_store_dword v0, off, s[0:3], s32 offset:612 ; 4-byte Folded Spill
.LBB329_913:                            ;   in Loop: Header=BB329_11 Depth=1
	s_or_b32 exec_lo, exec_lo, s22
.LBB329_914:                            ;   in Loop: Header=BB329_11 Depth=1
	s_or_b32 exec_lo, exec_lo, s21
.LBB329_915:                            ;   in Loop: Header=BB329_11 Depth=1
	s_or_b32 exec_lo, exec_lo, s20
	v_mov_b32_e32 v0, 0
	v_lshrrev_b16 v8, 8, v32
	s_mov_b32 s20, exec_lo
	buffer_store_dword v0, off, s[0:3], s32 offset:620 ; 4-byte Folded Spill
	v_mov_b32_e32 v0, 0
	buffer_store_dword v0, off, s[0:3], s32 offset:616 ; 4-byte Folded Spill
	v_cmpx_ne_u16_e32 0, v8
	s_cbranch_execz .LBB329_923
; %bb.916:                              ;   in Loop: Header=BB329_11 Depth=1
	v_bfrev_b32_e32 v0, 1
	s_mov_b32 s21, exec_lo
	buffer_store_dword v0, off, s[0:3], s32 offset:616 ; 4-byte Folded Spill
	v_cmpx_ne_u16_e32 0x80, v8
	s_cbranch_execz .LBB329_922
; %bb.917:                              ;   in Loop: Header=BB329_11 Depth=1
	v_mov_b32_e32 v0, 0x7f
	s_mov_b32 s22, exec_lo
	v_and_b32_sdwa v2, v8, v0 dst_sel:DWORD dst_unused:UNUSED_PAD src0_sel:WORD_0 src1_sel:DWORD
	v_mov_b32_e32 v0, 0x7c010000
	buffer_store_dword v0, off, s[0:3], s32 offset:616 ; 4-byte Folded Spill
	v_cmpx_ne_u32_e32 0x7f, v2
	s_cbranch_execz .LBB329_921
; %bb.918:                              ;   in Loop: Header=BB329_11 Depth=1
	v_mov_b32_e32 v0, 7
	v_lshrrev_b32_e32 v1, 3, v2
	s_mov_b32 s23, exec_lo
	v_and_b32_sdwa v0, v8, v0 dst_sel:DWORD dst_unused:UNUSED_PAD src0_sel:WORD_0 src1_sel:DWORD
	v_cmpx_gt_u32_e32 8, v2
; %bb.919:                              ;   in Loop: Header=BB329_11 Depth=1
	v_ffbh_u32_e32 v0, v0
	v_min_u32_e32 v2, 32, v0
	v_subrev_nc_u32_e32 v0, 28, v2
	v_lshlrev_b64 v[0:1], v0, v[8:9]
	v_sub_nc_u32_e32 v1, 29, v2
	v_and_b32_e32 v0, 7, v0
; %bb.920:                              ;   in Loop: Header=BB329_11 Depth=1
	s_or_b32 exec_lo, exec_lo, s23
	v_mov_b32_e32 v2, 8
	v_lshl_add_u32 v1, v1, 10, 0x2000
	v_lshlrev_b32_e32 v0, 23, v0
	v_lshlrev_b32_sdwa v2, v2, v8 dst_sel:DWORD dst_unused:UNUSED_PAD src0_sel:DWORD src1_sel:WORD_0
	v_and_or_b32 v1, 0x8000, v2, v1
	v_lshl_or_b32 v0, v1, 16, v0
	buffer_store_dword v0, off, s[0:3], s32 offset:616 ; 4-byte Folded Spill
.LBB329_921:                            ;   in Loop: Header=BB329_11 Depth=1
	s_or_b32 exec_lo, exec_lo, s22
.LBB329_922:                            ;   in Loop: Header=BB329_11 Depth=1
	s_or_b32 exec_lo, exec_lo, s21
.LBB329_923:                            ;   in Loop: Header=BB329_11 Depth=1
	s_or_b32 exec_lo, exec_lo, s20
	v_lshrrev_b32_e32 v8, 16, v32
	v_cmp_ne_u16_sdwa s5, v8, v9 src0_sel:BYTE_0 src1_sel:DWORD
	s_and_saveexec_b32 s20, s5
	s_cbranch_execz .LBB329_931
; %bb.924:                              ;   in Loop: Header=BB329_11 Depth=1
	v_cmp_ne_u16_sdwa s5, v8, v124 src0_sel:BYTE_0 src1_sel:DWORD
	v_mov_b32_e32 v0, 0x8000
	buffer_store_dword v0, off, s[0:3], s32 offset:620 ; 4-byte Folded Spill
	s_and_saveexec_b32 s21, s5
	s_cbranch_execz .LBB329_930
; %bb.925:                              ;   in Loop: Header=BB329_11 Depth=1
	v_bfe_u32 v2, v32, 16, 7
	v_mov_b32_e32 v0, 0x7c01
	s_mov_b32 s22, exec_lo
	buffer_store_dword v0, off, s[0:3], s32 offset:620 ; 4-byte Folded Spill
	v_cmpx_ne_u32_e32 0x7f, v2
	s_cbranch_execz .LBB329_929
; %bb.926:                              ;   in Loop: Header=BB329_11 Depth=1
	v_and_b32_e32 v0, 7, v8
	v_lshrrev_b32_e32 v1, 3, v2
	s_mov_b32 s23, exec_lo
	v_cmpx_gt_u32_e32 8, v2
; %bb.927:                              ;   in Loop: Header=BB329_11 Depth=1
	v_ffbh_u32_e32 v0, v0
	v_min_u32_e32 v2, 32, v0
	v_subrev_nc_u32_e32 v0, 28, v2
	v_lshlrev_b64 v[0:1], v0, v[8:9]
	v_sub_nc_u32_e32 v1, 29, v2
	v_and_b32_e32 v0, 7, v0
; %bb.928:                              ;   in Loop: Header=BB329_11 Depth=1
	s_or_b32 exec_lo, exec_lo, s23
	v_lshlrev_b32_e32 v2, 8, v8
	v_lshl_add_u32 v1, v1, 10, 0x2000
	v_lshlrev_b32_e32 v0, 7, v0
	v_and_b32_e32 v2, 0x8000, v2
	v_and_b32_e32 v1, 0xfc00, v1
	v_or3_b32 v0, v2, v1, v0
	buffer_store_dword v0, off, s[0:3], s32 offset:620 ; 4-byte Folded Spill
.LBB329_929:                            ;   in Loop: Header=BB329_11 Depth=1
	s_or_b32 exec_lo, exec_lo, s22
.LBB329_930:                            ;   in Loop: Header=BB329_11 Depth=1
	s_or_b32 exec_lo, exec_lo, s21
.LBB329_931:                            ;   in Loop: Header=BB329_11 Depth=1
	s_or_b32 exec_lo, exec_lo, s20
	v_mov_b32_e32 v0, 0
	s_mov_b32 s20, exec_lo
	buffer_store_dword v0, off, s[0:3], s32 offset:624 ; 4-byte Folded Spill
	v_mov_b32_e32 v0, 0
	buffer_store_dword v0, off, s[0:3], s32 offset:628 ; 4-byte Folded Spill
	v_cmpx_lt_u32_e32 0xffffff, v32
	s_cbranch_execz .LBB329_939
; %bb.932:                              ;   in Loop: Header=BB329_11 Depth=1
	v_lshrrev_b32_e32 v8, 24, v32
	v_bfrev_b32_e32 v0, 1
	s_mov_b32 s21, exec_lo
	buffer_store_dword v0, off, s[0:3], s32 offset:628 ; 4-byte Folded Spill
	v_cmpx_ne_u32_e32 0x80, v8
	s_cbranch_execz .LBB329_938
; %bb.933:                              ;   in Loop: Header=BB329_11 Depth=1
	v_and_b32_e32 v2, 0x7f, v8
	v_mov_b32_e32 v0, 0x7c010000
	s_mov_b32 s22, exec_lo
	buffer_store_dword v0, off, s[0:3], s32 offset:628 ; 4-byte Folded Spill
	v_cmpx_ne_u32_e32 0x7f, v2
	s_cbranch_execz .LBB329_937
; %bb.934:                              ;   in Loop: Header=BB329_11 Depth=1
	v_and_b32_e32 v0, 7, v8
	v_lshrrev_b32_e32 v1, 3, v2
	s_mov_b32 s23, exec_lo
	v_cmpx_gt_u32_e32 8, v2
; %bb.935:                              ;   in Loop: Header=BB329_11 Depth=1
	v_ffbh_u32_e32 v0, v0
	v_min_u32_e32 v2, 32, v0
	v_subrev_nc_u32_e32 v0, 28, v2
	v_lshlrev_b64 v[0:1], v0, v[8:9]
	v_sub_nc_u32_e32 v1, 29, v2
	v_and_b32_e32 v0, 7, v0
; %bb.936:                              ;   in Loop: Header=BB329_11 Depth=1
	s_or_b32 exec_lo, exec_lo, s23
	v_lshlrev_b32_e32 v2, 8, v8
	v_lshl_add_u32 v1, v1, 10, 0x2000
	v_lshlrev_b32_e32 v0, 23, v0
	v_and_or_b32 v1, 0x8000, v2, v1
	v_lshl_or_b32 v0, v1, 16, v0
	buffer_store_dword v0, off, s[0:3], s32 offset:628 ; 4-byte Folded Spill
.LBB329_937:                            ;   in Loop: Header=BB329_11 Depth=1
	s_or_b32 exec_lo, exec_lo, s22
.LBB329_938:                            ;   in Loop: Header=BB329_11 Depth=1
	s_or_b32 exec_lo, exec_lo, s21
.LBB329_939:                            ;   in Loop: Header=BB329_11 Depth=1
	s_or_b32 exec_lo, exec_lo, s20
	v_mov_b32_e32 v8, v33
	v_cmp_ne_u16_sdwa s5, v33, v9 src0_sel:BYTE_0 src1_sel:DWORD
	s_and_saveexec_b32 s20, s5
	s_cbranch_execz .LBB329_947
; %bb.940:                              ;   in Loop: Header=BB329_11 Depth=1
	v_cmp_ne_u16_sdwa s5, v33, v124 src0_sel:BYTE_0 src1_sel:DWORD
	v_mov_b32_e32 v0, 0x8000
	buffer_store_dword v0, off, s[0:3], s32 offset:624 ; 4-byte Folded Spill
	s_and_saveexec_b32 s21, s5
	s_cbranch_execz .LBB329_946
; %bb.941:                              ;   in Loop: Header=BB329_11 Depth=1
	v_and_b32_e32 v2, 0x7f, v33
	v_mov_b32_e32 v0, 0x7c01
	s_mov_b32 s22, exec_lo
	buffer_store_dword v0, off, s[0:3], s32 offset:624 ; 4-byte Folded Spill
	v_cmpx_ne_u32_e32 0x7f, v2
	s_cbranch_execz .LBB329_945
; %bb.942:                              ;   in Loop: Header=BB329_11 Depth=1
	v_and_b32_e32 v0, 7, v33
	v_lshrrev_b32_e32 v1, 3, v2
	s_mov_b32 s23, exec_lo
	v_cmpx_gt_u32_e32 8, v2
; %bb.943:                              ;   in Loop: Header=BB329_11 Depth=1
	v_ffbh_u32_e32 v0, v0
	v_min_u32_e32 v2, 32, v0
	v_subrev_nc_u32_e32 v0, 28, v2
	v_lshlrev_b64 v[0:1], v0, v[8:9]
	v_sub_nc_u32_e32 v1, 29, v2
	v_and_b32_e32 v0, 7, v0
; %bb.944:                              ;   in Loop: Header=BB329_11 Depth=1
	s_or_b32 exec_lo, exec_lo, s23
	v_lshlrev_b32_e32 v2, 8, v33
	v_lshl_add_u32 v1, v1, 10, 0x2000
	v_lshlrev_b32_e32 v0, 7, v0
	v_and_b32_e32 v2, 0x8000, v2
	v_and_b32_e32 v1, 0xfc00, v1
	v_or3_b32 v0, v2, v1, v0
	buffer_store_dword v0, off, s[0:3], s32 offset:624 ; 4-byte Folded Spill
.LBB329_945:                            ;   in Loop: Header=BB329_11 Depth=1
	s_or_b32 exec_lo, exec_lo, s22
.LBB329_946:                            ;   in Loop: Header=BB329_11 Depth=1
	s_or_b32 exec_lo, exec_lo, s21
.LBB329_947:                            ;   in Loop: Header=BB329_11 Depth=1
	s_or_b32 exec_lo, exec_lo, s20
	v_mov_b32_e32 v0, 0
	v_lshrrev_b16 v8, 8, v8
	s_mov_b32 s20, exec_lo
	buffer_store_dword v0, off, s[0:3], s32 offset:632 ; 4-byte Folded Spill
	v_mov_b32_e32 v0, 0
	buffer_store_dword v0, off, s[0:3], s32 offset:636 ; 4-byte Folded Spill
	v_cmpx_ne_u16_e32 0, v8
	s_cbranch_execz .LBB329_955
; %bb.948:                              ;   in Loop: Header=BB329_11 Depth=1
	v_bfrev_b32_e32 v0, 1
	s_mov_b32 s21, exec_lo
	buffer_store_dword v0, off, s[0:3], s32 offset:636 ; 4-byte Folded Spill
	v_cmpx_ne_u16_e32 0x80, v8
	s_cbranch_execz .LBB329_954
; %bb.949:                              ;   in Loop: Header=BB329_11 Depth=1
	v_mov_b32_e32 v0, 0x7f
	s_mov_b32 s22, exec_lo
	v_and_b32_sdwa v2, v8, v0 dst_sel:DWORD dst_unused:UNUSED_PAD src0_sel:WORD_0 src1_sel:DWORD
	v_mov_b32_e32 v0, 0x7c010000
	buffer_store_dword v0, off, s[0:3], s32 offset:636 ; 4-byte Folded Spill
	v_cmpx_ne_u32_e32 0x7f, v2
	s_cbranch_execz .LBB329_953
; %bb.950:                              ;   in Loop: Header=BB329_11 Depth=1
	v_mov_b32_e32 v0, 7
	v_lshrrev_b32_e32 v1, 3, v2
	s_mov_b32 s23, exec_lo
	v_and_b32_sdwa v0, v8, v0 dst_sel:DWORD dst_unused:UNUSED_PAD src0_sel:WORD_0 src1_sel:DWORD
	v_cmpx_gt_u32_e32 8, v2
; %bb.951:                              ;   in Loop: Header=BB329_11 Depth=1
	v_ffbh_u32_e32 v0, v0
	v_min_u32_e32 v2, 32, v0
	v_subrev_nc_u32_e32 v0, 28, v2
	v_lshlrev_b64 v[0:1], v0, v[8:9]
	v_sub_nc_u32_e32 v1, 29, v2
	v_and_b32_e32 v0, 7, v0
; %bb.952:                              ;   in Loop: Header=BB329_11 Depth=1
	s_or_b32 exec_lo, exec_lo, s23
	v_mov_b32_e32 v2, 8
	v_lshl_add_u32 v1, v1, 10, 0x2000
	v_lshlrev_b32_e32 v0, 23, v0
	v_lshlrev_b32_sdwa v2, v2, v8 dst_sel:DWORD dst_unused:UNUSED_PAD src0_sel:DWORD src1_sel:WORD_0
	v_and_or_b32 v1, 0x8000, v2, v1
	v_lshl_or_b32 v0, v1, 16, v0
	buffer_store_dword v0, off, s[0:3], s32 offset:636 ; 4-byte Folded Spill
.LBB329_953:                            ;   in Loop: Header=BB329_11 Depth=1
	s_or_b32 exec_lo, exec_lo, s22
.LBB329_954:                            ;   in Loop: Header=BB329_11 Depth=1
	s_or_b32 exec_lo, exec_lo, s21
.LBB329_955:                            ;   in Loop: Header=BB329_11 Depth=1
	s_or_b32 exec_lo, exec_lo, s20
	v_lshrrev_b32_e32 v8, 16, v33
	v_cmp_ne_u16_sdwa s5, v8, v9 src0_sel:BYTE_0 src1_sel:DWORD
	s_and_saveexec_b32 s20, s5
	s_cbranch_execz .LBB329_963
; %bb.956:                              ;   in Loop: Header=BB329_11 Depth=1
	v_cmp_ne_u16_sdwa s5, v8, v124 src0_sel:BYTE_0 src1_sel:DWORD
	v_mov_b32_e32 v0, 0x8000
	buffer_store_dword v0, off, s[0:3], s32 offset:632 ; 4-byte Folded Spill
	s_and_saveexec_b32 s21, s5
	s_cbranch_execz .LBB329_962
; %bb.957:                              ;   in Loop: Header=BB329_11 Depth=1
	v_bfe_u32 v2, v33, 16, 7
	v_mov_b32_e32 v0, 0x7c01
	s_mov_b32 s22, exec_lo
	buffer_store_dword v0, off, s[0:3], s32 offset:632 ; 4-byte Folded Spill
	v_cmpx_ne_u32_e32 0x7f, v2
	s_cbranch_execz .LBB329_961
; %bb.958:                              ;   in Loop: Header=BB329_11 Depth=1
	v_and_b32_e32 v0, 7, v8
	v_lshrrev_b32_e32 v1, 3, v2
	s_mov_b32 s23, exec_lo
	v_cmpx_gt_u32_e32 8, v2
; %bb.959:                              ;   in Loop: Header=BB329_11 Depth=1
	v_ffbh_u32_e32 v0, v0
	v_min_u32_e32 v2, 32, v0
	v_subrev_nc_u32_e32 v0, 28, v2
	v_lshlrev_b64 v[0:1], v0, v[8:9]
	v_sub_nc_u32_e32 v1, 29, v2
	v_and_b32_e32 v0, 7, v0
; %bb.960:                              ;   in Loop: Header=BB329_11 Depth=1
	s_or_b32 exec_lo, exec_lo, s23
	v_lshlrev_b32_e32 v2, 8, v8
	v_lshl_add_u32 v1, v1, 10, 0x2000
	v_lshlrev_b32_e32 v0, 7, v0
	v_and_b32_e32 v2, 0x8000, v2
	v_and_b32_e32 v1, 0xfc00, v1
	v_or3_b32 v0, v2, v1, v0
	buffer_store_dword v0, off, s[0:3], s32 offset:632 ; 4-byte Folded Spill
.LBB329_961:                            ;   in Loop: Header=BB329_11 Depth=1
	s_or_b32 exec_lo, exec_lo, s22
.LBB329_962:                            ;   in Loop: Header=BB329_11 Depth=1
	s_or_b32 exec_lo, exec_lo, s21
.LBB329_963:                            ;   in Loop: Header=BB329_11 Depth=1
	s_or_b32 exec_lo, exec_lo, s20
	v_mov_b32_e32 v0, 0
	s_mov_b32 s20, exec_lo
	buffer_store_dword v0, off, s[0:3], s32 offset:640 ; 4-byte Folded Spill
	v_mov_b32_e32 v0, 0
	buffer_store_dword v0, off, s[0:3], s32 offset:772 ; 4-byte Folded Spill
	v_cmpx_lt_u64_e64 s[6:7], v[32:33]
	s_cbranch_execz .LBB329_971
; %bb.964:                              ;   in Loop: Header=BB329_11 Depth=1
	v_lshrrev_b32_e32 v8, 24, v33
	v_bfrev_b32_e32 v0, 1
	s_mov_b32 s21, exec_lo
	v_cmpx_ne_u32_e32 0x80, v8
	s_cbranch_execz .LBB329_970
; %bb.965:                              ;   in Loop: Header=BB329_11 Depth=1
	v_and_b32_e32 v2, 0x7f, v8
	v_mov_b32_e32 v0, 0x7c010000
	s_mov_b32 s22, exec_lo
	v_cmpx_ne_u32_e32 0x7f, v2
	s_cbranch_execz .LBB329_969
; %bb.966:                              ;   in Loop: Header=BB329_11 Depth=1
	v_and_b32_e32 v0, 7, v8
	v_lshrrev_b32_e32 v1, 3, v2
	s_mov_b32 s23, exec_lo
	v_cmpx_gt_u32_e32 8, v2
; %bb.967:                              ;   in Loop: Header=BB329_11 Depth=1
	v_ffbh_u32_e32 v0, v0
	v_min_u32_e32 v2, 32, v0
	v_subrev_nc_u32_e32 v0, 28, v2
	v_lshlrev_b64 v[0:1], v0, v[8:9]
	v_sub_nc_u32_e32 v1, 29, v2
	v_and_b32_e32 v0, 7, v0
; %bb.968:                              ;   in Loop: Header=BB329_11 Depth=1
	s_or_b32 exec_lo, exec_lo, s23
	v_lshlrev_b32_e32 v2, 8, v8
	v_lshl_add_u32 v1, v1, 10, 0x2000
	v_lshlrev_b32_e32 v0, 23, v0
	v_and_or_b32 v1, 0x8000, v2, v1
	v_lshl_or_b32 v0, v1, 16, v0
.LBB329_969:                            ;   in Loop: Header=BB329_11 Depth=1
	s_or_b32 exec_lo, exec_lo, s22
.LBB329_970:                            ;   in Loop: Header=BB329_11 Depth=1
	s_or_b32 exec_lo, exec_lo, s21
	buffer_store_dword v0, off, s[0:3], s32 offset:772 ; 4-byte Folded Spill
.LBB329_971:                            ;   in Loop: Header=BB329_11 Depth=1
	s_or_b32 exec_lo, exec_lo, s20
	flat_load_dwordx2 v[30:31], v[30:31] offset:1544
	s_waitcnt vmcnt(0) lgkmcnt(0)
	v_cmp_ne_u16_sdwa s5, v30, v9 src0_sel:BYTE_0 src1_sel:DWORD
	s_and_saveexec_b32 s20, s5
	s_cbranch_execz .LBB329_979
; %bb.972:                              ;   in Loop: Header=BB329_11 Depth=1
	v_cmp_ne_u16_sdwa s5, v30, v124 src0_sel:BYTE_0 src1_sel:DWORD
	v_mov_b32_e32 v0, 0x8000
	buffer_store_dword v0, off, s[0:3], s32 offset:640 ; 4-byte Folded Spill
	s_and_saveexec_b32 s21, s5
	s_cbranch_execz .LBB329_978
; %bb.973:                              ;   in Loop: Header=BB329_11 Depth=1
	v_and_b32_e32 v2, 0x7f, v30
	v_mov_b32_e32 v0, 0x7c01
	s_mov_b32 s22, exec_lo
	buffer_store_dword v0, off, s[0:3], s32 offset:640 ; 4-byte Folded Spill
	v_cmpx_ne_u32_e32 0x7f, v2
	s_cbranch_execz .LBB329_977
; %bb.974:                              ;   in Loop: Header=BB329_11 Depth=1
	v_and_b32_e32 v0, 7, v30
	v_lshrrev_b32_e32 v1, 3, v2
	s_mov_b32 s23, exec_lo
	v_cmpx_gt_u32_e32 8, v2
; %bb.975:                              ;   in Loop: Header=BB329_11 Depth=1
	v_ffbh_u32_e32 v0, v0
	v_min_u32_e32 v2, 32, v0
	v_subrev_nc_u32_e32 v0, 28, v2
	v_lshlrev_b64 v[0:1], v0, v[30:31]
	v_sub_nc_u32_e32 v1, 29, v2
	v_and_b32_e32 v0, 7, v0
; %bb.976:                              ;   in Loop: Header=BB329_11 Depth=1
	s_or_b32 exec_lo, exec_lo, s23
	v_lshlrev_b32_e32 v2, 8, v30
	v_lshl_add_u32 v1, v1, 10, 0x2000
	v_lshlrev_b32_e32 v0, 7, v0
	v_and_b32_e32 v2, 0x8000, v2
	v_and_b32_e32 v1, 0xfc00, v1
	v_or3_b32 v0, v2, v1, v0
	buffer_store_dword v0, off, s[0:3], s32 offset:640 ; 4-byte Folded Spill
.LBB329_977:                            ;   in Loop: Header=BB329_11 Depth=1
	s_or_b32 exec_lo, exec_lo, s22
.LBB329_978:                            ;   in Loop: Header=BB329_11 Depth=1
	s_or_b32 exec_lo, exec_lo, s21
.LBB329_979:                            ;   in Loop: Header=BB329_11 Depth=1
	s_or_b32 exec_lo, exec_lo, s20
	v_mov_b32_e32 v0, 0
	v_lshrrev_b16 v8, 8, v30
	s_mov_b32 s20, exec_lo
	buffer_store_dword v0, off, s[0:3], s32 offset:648 ; 4-byte Folded Spill
	v_mov_b32_e32 v0, 0
	buffer_store_dword v0, off, s[0:3], s32 offset:644 ; 4-byte Folded Spill
	v_cmpx_ne_u16_e32 0, v8
	s_cbranch_execz .LBB329_987
; %bb.980:                              ;   in Loop: Header=BB329_11 Depth=1
	v_bfrev_b32_e32 v0, 1
	s_mov_b32 s21, exec_lo
	buffer_store_dword v0, off, s[0:3], s32 offset:644 ; 4-byte Folded Spill
	v_cmpx_ne_u16_e32 0x80, v8
	s_cbranch_execz .LBB329_986
; %bb.981:                              ;   in Loop: Header=BB329_11 Depth=1
	v_mov_b32_e32 v0, 0x7f
	s_mov_b32 s22, exec_lo
	v_and_b32_sdwa v2, v8, v0 dst_sel:DWORD dst_unused:UNUSED_PAD src0_sel:WORD_0 src1_sel:DWORD
	v_mov_b32_e32 v0, 0x7c010000
	buffer_store_dword v0, off, s[0:3], s32 offset:644 ; 4-byte Folded Spill
	v_cmpx_ne_u32_e32 0x7f, v2
	s_cbranch_execz .LBB329_985
; %bb.982:                              ;   in Loop: Header=BB329_11 Depth=1
	v_mov_b32_e32 v0, 7
	v_lshrrev_b32_e32 v1, 3, v2
	s_mov_b32 s23, exec_lo
	v_and_b32_sdwa v0, v8, v0 dst_sel:DWORD dst_unused:UNUSED_PAD src0_sel:WORD_0 src1_sel:DWORD
	v_cmpx_gt_u32_e32 8, v2
; %bb.983:                              ;   in Loop: Header=BB329_11 Depth=1
	v_ffbh_u32_e32 v0, v0
	v_min_u32_e32 v2, 32, v0
	v_subrev_nc_u32_e32 v0, 28, v2
	v_lshlrev_b64 v[0:1], v0, v[8:9]
	v_sub_nc_u32_e32 v1, 29, v2
	v_and_b32_e32 v0, 7, v0
; %bb.984:                              ;   in Loop: Header=BB329_11 Depth=1
	s_or_b32 exec_lo, exec_lo, s23
	v_mov_b32_e32 v2, 8
	v_lshl_add_u32 v1, v1, 10, 0x2000
	v_lshlrev_b32_e32 v0, 23, v0
	v_lshlrev_b32_sdwa v2, v2, v8 dst_sel:DWORD dst_unused:UNUSED_PAD src0_sel:DWORD src1_sel:WORD_0
	v_and_or_b32 v1, 0x8000, v2, v1
	v_lshl_or_b32 v0, v1, 16, v0
	buffer_store_dword v0, off, s[0:3], s32 offset:644 ; 4-byte Folded Spill
.LBB329_985:                            ;   in Loop: Header=BB329_11 Depth=1
	s_or_b32 exec_lo, exec_lo, s22
.LBB329_986:                            ;   in Loop: Header=BB329_11 Depth=1
	s_or_b32 exec_lo, exec_lo, s21
.LBB329_987:                            ;   in Loop: Header=BB329_11 Depth=1
	s_or_b32 exec_lo, exec_lo, s20
	v_lshrrev_b32_e32 v8, 16, v30
	v_cmp_ne_u16_sdwa s5, v8, v9 src0_sel:BYTE_0 src1_sel:DWORD
	s_and_saveexec_b32 s20, s5
	s_cbranch_execz .LBB329_995
; %bb.988:                              ;   in Loop: Header=BB329_11 Depth=1
	v_cmp_ne_u16_sdwa s5, v8, v124 src0_sel:BYTE_0 src1_sel:DWORD
	v_mov_b32_e32 v0, 0x8000
	buffer_store_dword v0, off, s[0:3], s32 offset:648 ; 4-byte Folded Spill
	s_and_saveexec_b32 s21, s5
	s_cbranch_execz .LBB329_994
; %bb.989:                              ;   in Loop: Header=BB329_11 Depth=1
	v_bfe_u32 v2, v30, 16, 7
	v_mov_b32_e32 v0, 0x7c01
	s_mov_b32 s22, exec_lo
	buffer_store_dword v0, off, s[0:3], s32 offset:648 ; 4-byte Folded Spill
	v_cmpx_ne_u32_e32 0x7f, v2
	s_cbranch_execz .LBB329_993
; %bb.990:                              ;   in Loop: Header=BB329_11 Depth=1
	v_and_b32_e32 v0, 7, v8
	v_lshrrev_b32_e32 v1, 3, v2
	s_mov_b32 s23, exec_lo
	v_cmpx_gt_u32_e32 8, v2
; %bb.991:                              ;   in Loop: Header=BB329_11 Depth=1
	v_ffbh_u32_e32 v0, v0
	v_min_u32_e32 v2, 32, v0
	v_subrev_nc_u32_e32 v0, 28, v2
	v_lshlrev_b64 v[0:1], v0, v[8:9]
	v_sub_nc_u32_e32 v1, 29, v2
	v_and_b32_e32 v0, 7, v0
; %bb.992:                              ;   in Loop: Header=BB329_11 Depth=1
	s_or_b32 exec_lo, exec_lo, s23
	v_lshlrev_b32_e32 v2, 8, v8
	v_lshl_add_u32 v1, v1, 10, 0x2000
	v_lshlrev_b32_e32 v0, 7, v0
	v_and_b32_e32 v2, 0x8000, v2
	v_and_b32_e32 v1, 0xfc00, v1
	v_or3_b32 v0, v2, v1, v0
	buffer_store_dword v0, off, s[0:3], s32 offset:648 ; 4-byte Folded Spill
.LBB329_993:                            ;   in Loop: Header=BB329_11 Depth=1
	s_or_b32 exec_lo, exec_lo, s22
.LBB329_994:                            ;   in Loop: Header=BB329_11 Depth=1
	s_or_b32 exec_lo, exec_lo, s21
.LBB329_995:                            ;   in Loop: Header=BB329_11 Depth=1
	s_or_b32 exec_lo, exec_lo, s20
	v_mov_b32_e32 v0, 0
	v_mov_b32_e32 v94, 0
	s_mov_b32 s20, exec_lo
	buffer_store_dword v0, off, s[0:3], s32 offset:652 ; 4-byte Folded Spill
	v_cmpx_lt_u32_e32 0xffffff, v30
	s_cbranch_execz .LBB329_1003
; %bb.996:                              ;   in Loop: Header=BB329_11 Depth=1
	v_lshrrev_b32_e32 v8, 24, v30
	v_bfrev_b32_e32 v94, 1
	s_mov_b32 s21, exec_lo
	v_cmpx_ne_u32_e32 0x80, v8
	s_cbranch_execz .LBB329_1002
; %bb.997:                              ;   in Loop: Header=BB329_11 Depth=1
	v_and_b32_e32 v2, 0x7f, v8
	v_mov_b32_e32 v94, 0x7c010000
	s_mov_b32 s22, exec_lo
	v_cmpx_ne_u32_e32 0x7f, v2
	s_cbranch_execz .LBB329_1001
; %bb.998:                              ;   in Loop: Header=BB329_11 Depth=1
	v_and_b32_e32 v0, 7, v8
	v_lshrrev_b32_e32 v1, 3, v2
	s_mov_b32 s23, exec_lo
	v_cmpx_gt_u32_e32 8, v2
; %bb.999:                              ;   in Loop: Header=BB329_11 Depth=1
	v_ffbh_u32_e32 v0, v0
	v_min_u32_e32 v2, 32, v0
	v_subrev_nc_u32_e32 v0, 28, v2
	v_lshlrev_b64 v[0:1], v0, v[8:9]
	v_sub_nc_u32_e32 v1, 29, v2
	v_and_b32_e32 v0, 7, v0
; %bb.1000:                             ;   in Loop: Header=BB329_11 Depth=1
	s_or_b32 exec_lo, exec_lo, s23
	v_lshlrev_b32_e32 v2, 8, v8
	v_lshl_add_u32 v1, v1, 10, 0x2000
	v_lshlrev_b32_e32 v0, 23, v0
	v_and_or_b32 v1, 0x8000, v2, v1
	v_lshl_or_b32 v94, v1, 16, v0
.LBB329_1001:                           ;   in Loop: Header=BB329_11 Depth=1
	s_or_b32 exec_lo, exec_lo, s22
.LBB329_1002:                           ;   in Loop: Header=BB329_11 Depth=1
	s_or_b32 exec_lo, exec_lo, s21
.LBB329_1003:                           ;   in Loop: Header=BB329_11 Depth=1
	s_or_b32 exec_lo, exec_lo, s20
	v_mov_b32_e32 v8, v31
	v_cmp_ne_u16_sdwa s5, v31, v9 src0_sel:BYTE_0 src1_sel:DWORD
	s_and_saveexec_b32 s20, s5
	s_cbranch_execz .LBB329_1011
; %bb.1004:                             ;   in Loop: Header=BB329_11 Depth=1
	v_cmp_ne_u16_sdwa s5, v31, v124 src0_sel:BYTE_0 src1_sel:DWORD
	v_mov_b32_e32 v0, 0x8000
	buffer_store_dword v0, off, s[0:3], s32 offset:652 ; 4-byte Folded Spill
	s_and_saveexec_b32 s21, s5
	s_cbranch_execz .LBB329_1010
; %bb.1005:                             ;   in Loop: Header=BB329_11 Depth=1
	v_and_b32_e32 v2, 0x7f, v31
	v_mov_b32_e32 v0, 0x7c01
	s_mov_b32 s22, exec_lo
	buffer_store_dword v0, off, s[0:3], s32 offset:652 ; 4-byte Folded Spill
	v_cmpx_ne_u32_e32 0x7f, v2
	s_cbranch_execz .LBB329_1009
; %bb.1006:                             ;   in Loop: Header=BB329_11 Depth=1
	v_and_b32_e32 v0, 7, v31
	v_lshrrev_b32_e32 v1, 3, v2
	s_mov_b32 s23, exec_lo
	v_cmpx_gt_u32_e32 8, v2
; %bb.1007:                             ;   in Loop: Header=BB329_11 Depth=1
	v_ffbh_u32_e32 v0, v0
	v_min_u32_e32 v2, 32, v0
	v_subrev_nc_u32_e32 v0, 28, v2
	v_lshlrev_b64 v[0:1], v0, v[8:9]
	v_sub_nc_u32_e32 v1, 29, v2
	v_and_b32_e32 v0, 7, v0
; %bb.1008:                             ;   in Loop: Header=BB329_11 Depth=1
	s_or_b32 exec_lo, exec_lo, s23
	v_lshlrev_b32_e32 v2, 8, v31
	v_lshl_add_u32 v1, v1, 10, 0x2000
	v_lshlrev_b32_e32 v0, 7, v0
	v_and_b32_e32 v2, 0x8000, v2
	v_and_b32_e32 v1, 0xfc00, v1
	v_or3_b32 v0, v2, v1, v0
	buffer_store_dword v0, off, s[0:3], s32 offset:652 ; 4-byte Folded Spill
.LBB329_1009:                           ;   in Loop: Header=BB329_11 Depth=1
	s_or_b32 exec_lo, exec_lo, s22
.LBB329_1010:                           ;   in Loop: Header=BB329_11 Depth=1
	s_or_b32 exec_lo, exec_lo, s21
.LBB329_1011:                           ;   in Loop: Header=BB329_11 Depth=1
	s_or_b32 exec_lo, exec_lo, s20
	v_lshrrev_b16 v8, 8, v8
	v_mov_b32_e32 v0, 0
	v_mov_b32_e32 v51, 0
	s_mov_b32 s20, exec_lo
	buffer_store_dword v0, off, s[0:3], s32 offset:656 ; 4-byte Folded Spill
	v_cmpx_ne_u16_e32 0, v8
	s_cbranch_execz .LBB329_1019
; %bb.1012:                             ;   in Loop: Header=BB329_11 Depth=1
	v_bfrev_b32_e32 v51, 1
	s_mov_b32 s21, exec_lo
	v_cmpx_ne_u16_e32 0x80, v8
	s_cbranch_execz .LBB329_1018
; %bb.1013:                             ;   in Loop: Header=BB329_11 Depth=1
	v_mov_b32_e32 v0, 0x7f
	v_mov_b32_e32 v51, 0x7c010000
	s_mov_b32 s22, exec_lo
	v_and_b32_sdwa v2, v8, v0 dst_sel:DWORD dst_unused:UNUSED_PAD src0_sel:WORD_0 src1_sel:DWORD
	v_cmpx_ne_u32_e32 0x7f, v2
	s_cbranch_execz .LBB329_1017
; %bb.1014:                             ;   in Loop: Header=BB329_11 Depth=1
	v_mov_b32_e32 v0, 7
	v_lshrrev_b32_e32 v1, 3, v2
	s_mov_b32 s23, exec_lo
	v_and_b32_sdwa v0, v8, v0 dst_sel:DWORD dst_unused:UNUSED_PAD src0_sel:WORD_0 src1_sel:DWORD
	v_cmpx_gt_u32_e32 8, v2
; %bb.1015:                             ;   in Loop: Header=BB329_11 Depth=1
	v_ffbh_u32_e32 v0, v0
	v_min_u32_e32 v2, 32, v0
	v_subrev_nc_u32_e32 v0, 28, v2
	v_lshlrev_b64 v[0:1], v0, v[8:9]
	v_sub_nc_u32_e32 v1, 29, v2
	v_and_b32_e32 v0, 7, v0
; %bb.1016:                             ;   in Loop: Header=BB329_11 Depth=1
	s_or_b32 exec_lo, exec_lo, s23
	v_mov_b32_e32 v2, 8
	v_lshl_add_u32 v1, v1, 10, 0x2000
	v_lshlrev_b32_e32 v0, 23, v0
	v_lshlrev_b32_sdwa v2, v2, v8 dst_sel:DWORD dst_unused:UNUSED_PAD src0_sel:DWORD src1_sel:WORD_0
	v_and_or_b32 v1, 0x8000, v2, v1
	v_lshl_or_b32 v51, v1, 16, v0
.LBB329_1017:                           ;   in Loop: Header=BB329_11 Depth=1
	s_or_b32 exec_lo, exec_lo, s22
.LBB329_1018:                           ;   in Loop: Header=BB329_11 Depth=1
	s_or_b32 exec_lo, exec_lo, s21
.LBB329_1019:                           ;   in Loop: Header=BB329_11 Depth=1
	s_or_b32 exec_lo, exec_lo, s20
	v_lshrrev_b32_e32 v8, 16, v31
	v_cmp_ne_u16_sdwa s5, v8, v9 src0_sel:BYTE_0 src1_sel:DWORD
	s_and_saveexec_b32 s20, s5
	s_cbranch_execz .LBB329_1027
; %bb.1020:                             ;   in Loop: Header=BB329_11 Depth=1
	v_cmp_ne_u16_sdwa s5, v8, v124 src0_sel:BYTE_0 src1_sel:DWORD
	v_mov_b32_e32 v0, 0x8000
	buffer_store_dword v0, off, s[0:3], s32 offset:656 ; 4-byte Folded Spill
	s_and_saveexec_b32 s21, s5
	s_cbranch_execz .LBB329_1026
; %bb.1021:                             ;   in Loop: Header=BB329_11 Depth=1
	v_bfe_u32 v2, v31, 16, 7
	v_mov_b32_e32 v0, 0x7c01
	s_mov_b32 s22, exec_lo
	buffer_store_dword v0, off, s[0:3], s32 offset:656 ; 4-byte Folded Spill
	v_cmpx_ne_u32_e32 0x7f, v2
	s_cbranch_execz .LBB329_1025
; %bb.1022:                             ;   in Loop: Header=BB329_11 Depth=1
	v_and_b32_e32 v0, 7, v8
	v_lshrrev_b32_e32 v1, 3, v2
	s_mov_b32 s23, exec_lo
	v_cmpx_gt_u32_e32 8, v2
; %bb.1023:                             ;   in Loop: Header=BB329_11 Depth=1
	v_ffbh_u32_e32 v0, v0
	v_min_u32_e32 v2, 32, v0
	v_subrev_nc_u32_e32 v0, 28, v2
	v_lshlrev_b64 v[0:1], v0, v[8:9]
	v_sub_nc_u32_e32 v1, 29, v2
	v_and_b32_e32 v0, 7, v0
; %bb.1024:                             ;   in Loop: Header=BB329_11 Depth=1
	s_or_b32 exec_lo, exec_lo, s23
	v_lshlrev_b32_e32 v2, 8, v8
	v_lshl_add_u32 v1, v1, 10, 0x2000
	v_lshlrev_b32_e32 v0, 7, v0
	v_and_b32_e32 v2, 0x8000, v2
	v_and_b32_e32 v1, 0xfc00, v1
	v_or3_b32 v0, v2, v1, v0
	buffer_store_dword v0, off, s[0:3], s32 offset:656 ; 4-byte Folded Spill
.LBB329_1025:                           ;   in Loop: Header=BB329_11 Depth=1
	s_or_b32 exec_lo, exec_lo, s22
.LBB329_1026:                           ;   in Loop: Header=BB329_11 Depth=1
	s_or_b32 exec_lo, exec_lo, s21
.LBB329_1027:                           ;   in Loop: Header=BB329_11 Depth=1
	s_or_b32 exec_lo, exec_lo, s20
	v_mov_b32_e32 v0, 0
	v_mov_b32_e32 v63, 0
	s_mov_b32 s20, exec_lo
	buffer_store_dword v0, off, s[0:3], s32 offset:660 ; 4-byte Folded Spill
	v_cmpx_lt_u64_e64 s[6:7], v[30:31]
	s_cbranch_execz .LBB329_1035
; %bb.1028:                             ;   in Loop: Header=BB329_11 Depth=1
	v_lshrrev_b32_e32 v8, 24, v31
	v_bfrev_b32_e32 v63, 1
	s_mov_b32 s21, exec_lo
	v_cmpx_ne_u32_e32 0x80, v8
	s_cbranch_execz .LBB329_1034
; %bb.1029:                             ;   in Loop: Header=BB329_11 Depth=1
	v_and_b32_e32 v2, 0x7f, v8
	v_mov_b32_e32 v63, 0x7c010000
	s_mov_b32 s22, exec_lo
	v_cmpx_ne_u32_e32 0x7f, v2
	s_cbranch_execz .LBB329_1033
; %bb.1030:                             ;   in Loop: Header=BB329_11 Depth=1
	v_and_b32_e32 v0, 7, v8
	v_lshrrev_b32_e32 v1, 3, v2
	s_mov_b32 s23, exec_lo
	v_cmpx_gt_u32_e32 8, v2
; %bb.1031:                             ;   in Loop: Header=BB329_11 Depth=1
	v_ffbh_u32_e32 v0, v0
	v_min_u32_e32 v2, 32, v0
	v_subrev_nc_u32_e32 v0, 28, v2
	v_lshlrev_b64 v[0:1], v0, v[8:9]
	v_sub_nc_u32_e32 v1, 29, v2
	v_and_b32_e32 v0, 7, v0
; %bb.1032:                             ;   in Loop: Header=BB329_11 Depth=1
	s_or_b32 exec_lo, exec_lo, s23
	v_lshlrev_b32_e32 v2, 8, v8
	v_lshl_add_u32 v1, v1, 10, 0x2000
	v_lshlrev_b32_e32 v0, 23, v0
	v_and_or_b32 v1, 0x8000, v2, v1
	v_lshl_or_b32 v63, v1, 16, v0
.LBB329_1033:                           ;   in Loop: Header=BB329_11 Depth=1
	s_or_b32 exec_lo, exec_lo, s22
.LBB329_1034:                           ;   in Loop: Header=BB329_11 Depth=1
	s_or_b32 exec_lo, exec_lo, s21
.LBB329_1035:                           ;   in Loop: Header=BB329_11 Depth=1
	s_or_b32 exec_lo, exec_lo, s20
	v_add_co_u32 v30, s5, 0x1000, v28
	v_add_co_ci_u32_e64 v31, null, 0, v29, s5
	flat_load_dwordx2 v[32:33], v[30:31]
	s_waitcnt vmcnt(0) lgkmcnt(0)
	v_cmp_ne_u16_sdwa s5, v32, v9 src0_sel:BYTE_0 src1_sel:DWORD
	s_and_saveexec_b32 s20, s5
	s_cbranch_execz .LBB329_1043
; %bb.1036:                             ;   in Loop: Header=BB329_11 Depth=1
	v_cmp_ne_u16_sdwa s5, v32, v124 src0_sel:BYTE_0 src1_sel:DWORD
	v_mov_b32_e32 v0, 0x8000
	buffer_store_dword v0, off, s[0:3], s32 offset:660 ; 4-byte Folded Spill
	s_and_saveexec_b32 s21, s5
	s_cbranch_execz .LBB329_1042
; %bb.1037:                             ;   in Loop: Header=BB329_11 Depth=1
	v_and_b32_e32 v2, 0x7f, v32
	v_mov_b32_e32 v0, 0x7c01
	s_mov_b32 s22, exec_lo
	buffer_store_dword v0, off, s[0:3], s32 offset:660 ; 4-byte Folded Spill
	v_cmpx_ne_u32_e32 0x7f, v2
	s_cbranch_execz .LBB329_1041
; %bb.1038:                             ;   in Loop: Header=BB329_11 Depth=1
	v_and_b32_e32 v0, 7, v32
	v_lshrrev_b32_e32 v1, 3, v2
	s_mov_b32 s23, exec_lo
	v_cmpx_gt_u32_e32 8, v2
; %bb.1039:                             ;   in Loop: Header=BB329_11 Depth=1
	v_ffbh_u32_e32 v0, v0
	v_min_u32_e32 v2, 32, v0
	v_subrev_nc_u32_e32 v0, 28, v2
	v_lshlrev_b64 v[0:1], v0, v[32:33]
	v_sub_nc_u32_e32 v1, 29, v2
	v_and_b32_e32 v0, 7, v0
; %bb.1040:                             ;   in Loop: Header=BB329_11 Depth=1
	s_or_b32 exec_lo, exec_lo, s23
	v_lshlrev_b32_e32 v2, 8, v32
	v_lshl_add_u32 v1, v1, 10, 0x2000
	v_lshlrev_b32_e32 v0, 7, v0
	v_and_b32_e32 v2, 0x8000, v2
	v_and_b32_e32 v1, 0xfc00, v1
	v_or3_b32 v0, v2, v1, v0
	buffer_store_dword v0, off, s[0:3], s32 offset:660 ; 4-byte Folded Spill
.LBB329_1041:                           ;   in Loop: Header=BB329_11 Depth=1
	s_or_b32 exec_lo, exec_lo, s22
.LBB329_1042:                           ;   in Loop: Header=BB329_11 Depth=1
	s_or_b32 exec_lo, exec_lo, s21
.LBB329_1043:                           ;   in Loop: Header=BB329_11 Depth=1
	s_or_b32 exec_lo, exec_lo, s20
	v_lshrrev_b16 v8, 8, v32
	v_mov_b32_e32 v0, 0
	v_mov_b32_e32 v54, 0
	s_mov_b32 s20, exec_lo
	buffer_store_dword v0, off, s[0:3], s32 offset:664 ; 4-byte Folded Spill
	v_cmpx_ne_u16_e32 0, v8
	s_cbranch_execz .LBB329_1051
; %bb.1044:                             ;   in Loop: Header=BB329_11 Depth=1
	v_bfrev_b32_e32 v54, 1
	s_mov_b32 s21, exec_lo
	v_cmpx_ne_u16_e32 0x80, v8
	s_cbranch_execz .LBB329_1050
; %bb.1045:                             ;   in Loop: Header=BB329_11 Depth=1
	v_mov_b32_e32 v0, 0x7f
	v_mov_b32_e32 v54, 0x7c010000
	s_mov_b32 s22, exec_lo
	v_and_b32_sdwa v2, v8, v0 dst_sel:DWORD dst_unused:UNUSED_PAD src0_sel:WORD_0 src1_sel:DWORD
	v_cmpx_ne_u32_e32 0x7f, v2
	s_cbranch_execz .LBB329_1049
; %bb.1046:                             ;   in Loop: Header=BB329_11 Depth=1
	v_mov_b32_e32 v0, 7
	v_lshrrev_b32_e32 v1, 3, v2
	s_mov_b32 s23, exec_lo
	v_and_b32_sdwa v0, v8, v0 dst_sel:DWORD dst_unused:UNUSED_PAD src0_sel:WORD_0 src1_sel:DWORD
	v_cmpx_gt_u32_e32 8, v2
; %bb.1047:                             ;   in Loop: Header=BB329_11 Depth=1
	v_ffbh_u32_e32 v0, v0
	v_min_u32_e32 v2, 32, v0
	v_subrev_nc_u32_e32 v0, 28, v2
	v_lshlrev_b64 v[0:1], v0, v[8:9]
	v_sub_nc_u32_e32 v1, 29, v2
	v_and_b32_e32 v0, 7, v0
; %bb.1048:                             ;   in Loop: Header=BB329_11 Depth=1
	s_or_b32 exec_lo, exec_lo, s23
	v_mov_b32_e32 v2, 8
	v_lshl_add_u32 v1, v1, 10, 0x2000
	v_lshlrev_b32_e32 v0, 23, v0
	v_lshlrev_b32_sdwa v2, v2, v8 dst_sel:DWORD dst_unused:UNUSED_PAD src0_sel:DWORD src1_sel:WORD_0
	v_and_or_b32 v1, 0x8000, v2, v1
	v_lshl_or_b32 v54, v1, 16, v0
.LBB329_1049:                           ;   in Loop: Header=BB329_11 Depth=1
	s_or_b32 exec_lo, exec_lo, s22
.LBB329_1050:                           ;   in Loop: Header=BB329_11 Depth=1
	s_or_b32 exec_lo, exec_lo, s21
.LBB329_1051:                           ;   in Loop: Header=BB329_11 Depth=1
	s_or_b32 exec_lo, exec_lo, s20
	v_lshrrev_b32_e32 v8, 16, v32
	v_cmp_ne_u16_sdwa s5, v8, v9 src0_sel:BYTE_0 src1_sel:DWORD
	s_and_saveexec_b32 s20, s5
	s_cbranch_execz .LBB329_1059
; %bb.1052:                             ;   in Loop: Header=BB329_11 Depth=1
	v_cmp_ne_u16_sdwa s5, v8, v124 src0_sel:BYTE_0 src1_sel:DWORD
	v_mov_b32_e32 v0, 0x8000
	buffer_store_dword v0, off, s[0:3], s32 offset:664 ; 4-byte Folded Spill
	s_and_saveexec_b32 s21, s5
	s_cbranch_execz .LBB329_1058
; %bb.1053:                             ;   in Loop: Header=BB329_11 Depth=1
	v_bfe_u32 v2, v32, 16, 7
	v_mov_b32_e32 v0, 0x7c01
	s_mov_b32 s22, exec_lo
	buffer_store_dword v0, off, s[0:3], s32 offset:664 ; 4-byte Folded Spill
	v_cmpx_ne_u32_e32 0x7f, v2
	s_cbranch_execz .LBB329_1057
; %bb.1054:                             ;   in Loop: Header=BB329_11 Depth=1
	v_and_b32_e32 v0, 7, v8
	v_lshrrev_b32_e32 v1, 3, v2
	s_mov_b32 s23, exec_lo
	v_cmpx_gt_u32_e32 8, v2
; %bb.1055:                             ;   in Loop: Header=BB329_11 Depth=1
	v_ffbh_u32_e32 v0, v0
	v_min_u32_e32 v2, 32, v0
	v_subrev_nc_u32_e32 v0, 28, v2
	v_lshlrev_b64 v[0:1], v0, v[8:9]
	v_sub_nc_u32_e32 v1, 29, v2
	v_and_b32_e32 v0, 7, v0
; %bb.1056:                             ;   in Loop: Header=BB329_11 Depth=1
	s_or_b32 exec_lo, exec_lo, s23
	v_lshlrev_b32_e32 v2, 8, v8
	v_lshl_add_u32 v1, v1, 10, 0x2000
	v_lshlrev_b32_e32 v0, 7, v0
	v_and_b32_e32 v2, 0x8000, v2
	v_and_b32_e32 v1, 0xfc00, v1
	v_or3_b32 v0, v2, v1, v0
	buffer_store_dword v0, off, s[0:3], s32 offset:664 ; 4-byte Folded Spill
.LBB329_1057:                           ;   in Loop: Header=BB329_11 Depth=1
	s_or_b32 exec_lo, exec_lo, s22
.LBB329_1058:                           ;   in Loop: Header=BB329_11 Depth=1
	s_or_b32 exec_lo, exec_lo, s21
.LBB329_1059:                           ;   in Loop: Header=BB329_11 Depth=1
	s_or_b32 exec_lo, exec_lo, s20
	v_mov_b32_e32 v0, 0
	v_mov_b32_e32 v6, 0
	s_mov_b32 s20, exec_lo
	buffer_store_dword v0, off, s[0:3], s32 offset:668 ; 4-byte Folded Spill
	v_cmpx_lt_u32_e32 0xffffff, v32
	s_cbranch_execz .LBB329_1067
; %bb.1060:                             ;   in Loop: Header=BB329_11 Depth=1
	v_lshrrev_b32_e32 v8, 24, v32
	v_bfrev_b32_e32 v6, 1
	s_mov_b32 s21, exec_lo
	v_cmpx_ne_u32_e32 0x80, v8
	s_cbranch_execz .LBB329_1066
; %bb.1061:                             ;   in Loop: Header=BB329_11 Depth=1
	v_and_b32_e32 v2, 0x7f, v8
	v_mov_b32_e32 v6, 0x7c010000
	s_mov_b32 s22, exec_lo
	v_cmpx_ne_u32_e32 0x7f, v2
	s_cbranch_execz .LBB329_1065
; %bb.1062:                             ;   in Loop: Header=BB329_11 Depth=1
	v_and_b32_e32 v0, 7, v8
	v_lshrrev_b32_e32 v1, 3, v2
	s_mov_b32 s23, exec_lo
	v_cmpx_gt_u32_e32 8, v2
; %bb.1063:                             ;   in Loop: Header=BB329_11 Depth=1
	v_ffbh_u32_e32 v0, v0
	v_min_u32_e32 v2, 32, v0
	v_subrev_nc_u32_e32 v0, 28, v2
	v_lshlrev_b64 v[0:1], v0, v[8:9]
	v_sub_nc_u32_e32 v1, 29, v2
	v_and_b32_e32 v0, 7, v0
; %bb.1064:                             ;   in Loop: Header=BB329_11 Depth=1
	s_or_b32 exec_lo, exec_lo, s23
	v_lshlrev_b32_e32 v2, 8, v8
	v_lshl_add_u32 v1, v1, 10, 0x2000
	v_lshlrev_b32_e32 v0, 23, v0
	v_and_or_b32 v1, 0x8000, v2, v1
	v_lshl_or_b32 v6, v1, 16, v0
.LBB329_1065:                           ;   in Loop: Header=BB329_11 Depth=1
	s_or_b32 exec_lo, exec_lo, s22
.LBB329_1066:                           ;   in Loop: Header=BB329_11 Depth=1
	s_or_b32 exec_lo, exec_lo, s21
.LBB329_1067:                           ;   in Loop: Header=BB329_11 Depth=1
	s_or_b32 exec_lo, exec_lo, s20
	v_mov_b32_e32 v8, v33
	v_cmp_ne_u16_sdwa s5, v33, v9 src0_sel:BYTE_0 src1_sel:DWORD
	s_and_saveexec_b32 s20, s5
	s_cbranch_execz .LBB329_1075
; %bb.1068:                             ;   in Loop: Header=BB329_11 Depth=1
	v_cmp_ne_u16_sdwa s5, v33, v124 src0_sel:BYTE_0 src1_sel:DWORD
	v_mov_b32_e32 v0, 0x8000
	buffer_store_dword v0, off, s[0:3], s32 offset:668 ; 4-byte Folded Spill
	s_and_saveexec_b32 s21, s5
	s_cbranch_execz .LBB329_1074
; %bb.1069:                             ;   in Loop: Header=BB329_11 Depth=1
	v_and_b32_e32 v2, 0x7f, v33
	v_mov_b32_e32 v0, 0x7c01
	s_mov_b32 s22, exec_lo
	buffer_store_dword v0, off, s[0:3], s32 offset:668 ; 4-byte Folded Spill
	v_cmpx_ne_u32_e32 0x7f, v2
	s_cbranch_execz .LBB329_1073
; %bb.1070:                             ;   in Loop: Header=BB329_11 Depth=1
	v_and_b32_e32 v0, 7, v33
	v_lshrrev_b32_e32 v1, 3, v2
	s_mov_b32 s23, exec_lo
	v_cmpx_gt_u32_e32 8, v2
; %bb.1071:                             ;   in Loop: Header=BB329_11 Depth=1
	v_ffbh_u32_e32 v0, v0
	v_min_u32_e32 v2, 32, v0
	v_subrev_nc_u32_e32 v0, 28, v2
	v_lshlrev_b64 v[0:1], v0, v[8:9]
	v_sub_nc_u32_e32 v1, 29, v2
	v_and_b32_e32 v0, 7, v0
; %bb.1072:                             ;   in Loop: Header=BB329_11 Depth=1
	s_or_b32 exec_lo, exec_lo, s23
	v_lshlrev_b32_e32 v2, 8, v33
	v_lshl_add_u32 v1, v1, 10, 0x2000
	v_lshlrev_b32_e32 v0, 7, v0
	v_and_b32_e32 v2, 0x8000, v2
	v_and_b32_e32 v1, 0xfc00, v1
	v_or3_b32 v0, v2, v1, v0
	buffer_store_dword v0, off, s[0:3], s32 offset:668 ; 4-byte Folded Spill
.LBB329_1073:                           ;   in Loop: Header=BB329_11 Depth=1
	s_or_b32 exec_lo, exec_lo, s22
.LBB329_1074:                           ;   in Loop: Header=BB329_11 Depth=1
	s_or_b32 exec_lo, exec_lo, s21
.LBB329_1075:                           ;   in Loop: Header=BB329_11 Depth=1
	s_or_b32 exec_lo, exec_lo, s20
	v_lshrrev_b16 v8, 8, v8
	v_mov_b32_e32 v0, 0
	v_mov_b32_e32 v73, 0
	s_mov_b32 s20, exec_lo
	buffer_store_dword v0, off, s[0:3], s32 offset:672 ; 4-byte Folded Spill
	v_cmpx_ne_u16_e32 0, v8
	s_cbranch_execz .LBB329_1083
; %bb.1076:                             ;   in Loop: Header=BB329_11 Depth=1
	v_bfrev_b32_e32 v73, 1
	s_mov_b32 s21, exec_lo
	v_cmpx_ne_u16_e32 0x80, v8
	s_cbranch_execz .LBB329_1082
; %bb.1077:                             ;   in Loop: Header=BB329_11 Depth=1
	v_mov_b32_e32 v0, 0x7f
	v_mov_b32_e32 v73, 0x7c010000
	s_mov_b32 s22, exec_lo
	v_and_b32_sdwa v2, v8, v0 dst_sel:DWORD dst_unused:UNUSED_PAD src0_sel:WORD_0 src1_sel:DWORD
	v_cmpx_ne_u32_e32 0x7f, v2
	s_cbranch_execz .LBB329_1081
; %bb.1078:                             ;   in Loop: Header=BB329_11 Depth=1
	v_mov_b32_e32 v0, 7
	v_lshrrev_b32_e32 v1, 3, v2
	s_mov_b32 s23, exec_lo
	v_and_b32_sdwa v0, v8, v0 dst_sel:DWORD dst_unused:UNUSED_PAD src0_sel:WORD_0 src1_sel:DWORD
	v_cmpx_gt_u32_e32 8, v2
; %bb.1079:                             ;   in Loop: Header=BB329_11 Depth=1
	v_ffbh_u32_e32 v0, v0
	v_min_u32_e32 v2, 32, v0
	v_subrev_nc_u32_e32 v0, 28, v2
	v_lshlrev_b64 v[0:1], v0, v[8:9]
	v_sub_nc_u32_e32 v1, 29, v2
	v_and_b32_e32 v0, 7, v0
; %bb.1080:                             ;   in Loop: Header=BB329_11 Depth=1
	s_or_b32 exec_lo, exec_lo, s23
	v_mov_b32_e32 v2, 8
	v_lshl_add_u32 v1, v1, 10, 0x2000
	v_lshlrev_b32_e32 v0, 23, v0
	v_lshlrev_b32_sdwa v2, v2, v8 dst_sel:DWORD dst_unused:UNUSED_PAD src0_sel:DWORD src1_sel:WORD_0
	v_and_or_b32 v1, 0x8000, v2, v1
	v_lshl_or_b32 v73, v1, 16, v0
.LBB329_1081:                           ;   in Loop: Header=BB329_11 Depth=1
	s_or_b32 exec_lo, exec_lo, s22
.LBB329_1082:                           ;   in Loop: Header=BB329_11 Depth=1
	s_or_b32 exec_lo, exec_lo, s21
.LBB329_1083:                           ;   in Loop: Header=BB329_11 Depth=1
	s_or_b32 exec_lo, exec_lo, s20
	v_lshrrev_b32_e32 v8, 16, v33
	v_cmp_ne_u16_sdwa s5, v8, v9 src0_sel:BYTE_0 src1_sel:DWORD
	s_and_saveexec_b32 s20, s5
	s_cbranch_execz .LBB329_1091
; %bb.1084:                             ;   in Loop: Header=BB329_11 Depth=1
	v_cmp_ne_u16_sdwa s5, v8, v124 src0_sel:BYTE_0 src1_sel:DWORD
	v_mov_b32_e32 v0, 0x8000
	buffer_store_dword v0, off, s[0:3], s32 offset:672 ; 4-byte Folded Spill
	s_and_saveexec_b32 s21, s5
	s_cbranch_execz .LBB329_1090
; %bb.1085:                             ;   in Loop: Header=BB329_11 Depth=1
	v_bfe_u32 v2, v33, 16, 7
	v_mov_b32_e32 v0, 0x7c01
	s_mov_b32 s22, exec_lo
	buffer_store_dword v0, off, s[0:3], s32 offset:672 ; 4-byte Folded Spill
	v_cmpx_ne_u32_e32 0x7f, v2
	s_cbranch_execz .LBB329_1089
; %bb.1086:                             ;   in Loop: Header=BB329_11 Depth=1
	v_and_b32_e32 v0, 7, v8
	v_lshrrev_b32_e32 v1, 3, v2
	s_mov_b32 s23, exec_lo
	v_cmpx_gt_u32_e32 8, v2
; %bb.1087:                             ;   in Loop: Header=BB329_11 Depth=1
	v_ffbh_u32_e32 v0, v0
	v_min_u32_e32 v2, 32, v0
	v_subrev_nc_u32_e32 v0, 28, v2
	v_lshlrev_b64 v[0:1], v0, v[8:9]
	v_sub_nc_u32_e32 v1, 29, v2
	v_and_b32_e32 v0, 7, v0
; %bb.1088:                             ;   in Loop: Header=BB329_11 Depth=1
	s_or_b32 exec_lo, exec_lo, s23
	v_lshlrev_b32_e32 v2, 8, v8
	v_lshl_add_u32 v1, v1, 10, 0x2000
	v_lshlrev_b32_e32 v0, 7, v0
	v_and_b32_e32 v2, 0x8000, v2
	v_and_b32_e32 v1, 0xfc00, v1
	v_or3_b32 v0, v2, v1, v0
	buffer_store_dword v0, off, s[0:3], s32 offset:672 ; 4-byte Folded Spill
.LBB329_1089:                           ;   in Loop: Header=BB329_11 Depth=1
	s_or_b32 exec_lo, exec_lo, s22
.LBB329_1090:                           ;   in Loop: Header=BB329_11 Depth=1
	s_or_b32 exec_lo, exec_lo, s21
.LBB329_1091:                           ;   in Loop: Header=BB329_11 Depth=1
	s_or_b32 exec_lo, exec_lo, s20
	v_mov_b32_e32 v0, 0
	v_mov_b32_e32 v58, 0
	s_mov_b32 s20, exec_lo
	buffer_store_dword v0, off, s[0:3], s32 offset:676 ; 4-byte Folded Spill
	v_cmpx_lt_u64_e64 s[6:7], v[32:33]
	s_cbranch_execz .LBB329_1099
; %bb.1092:                             ;   in Loop: Header=BB329_11 Depth=1
	v_lshrrev_b32_e32 v8, 24, v33
	v_bfrev_b32_e32 v58, 1
	s_mov_b32 s21, exec_lo
	v_cmpx_ne_u32_e32 0x80, v8
	s_cbranch_execz .LBB329_1098
; %bb.1093:                             ;   in Loop: Header=BB329_11 Depth=1
	v_and_b32_e32 v2, 0x7f, v8
	v_mov_b32_e32 v58, 0x7c010000
	s_mov_b32 s22, exec_lo
	v_cmpx_ne_u32_e32 0x7f, v2
	s_cbranch_execz .LBB329_1097
; %bb.1094:                             ;   in Loop: Header=BB329_11 Depth=1
	v_and_b32_e32 v0, 7, v8
	v_lshrrev_b32_e32 v1, 3, v2
	s_mov_b32 s23, exec_lo
	v_cmpx_gt_u32_e32 8, v2
; %bb.1095:                             ;   in Loop: Header=BB329_11 Depth=1
	v_ffbh_u32_e32 v0, v0
	v_min_u32_e32 v2, 32, v0
	v_subrev_nc_u32_e32 v0, 28, v2
	v_lshlrev_b64 v[0:1], v0, v[8:9]
	v_sub_nc_u32_e32 v1, 29, v2
	v_and_b32_e32 v0, 7, v0
; %bb.1096:                             ;   in Loop: Header=BB329_11 Depth=1
	s_or_b32 exec_lo, exec_lo, s23
	v_lshlrev_b32_e32 v2, 8, v8
	v_lshl_add_u32 v1, v1, 10, 0x2000
	v_lshlrev_b32_e32 v0, 23, v0
	v_and_or_b32 v1, 0x8000, v2, v1
	v_lshl_or_b32 v58, v1, 16, v0
.LBB329_1097:                           ;   in Loop: Header=BB329_11 Depth=1
	s_or_b32 exec_lo, exec_lo, s22
.LBB329_1098:                           ;   in Loop: Header=BB329_11 Depth=1
	s_or_b32 exec_lo, exec_lo, s21
.LBB329_1099:                           ;   in Loop: Header=BB329_11 Depth=1
	s_or_b32 exec_lo, exec_lo, s20
	flat_load_dwordx2 v[32:33], v[30:31] offset:8
	s_waitcnt vmcnt(0) lgkmcnt(0)
	v_cmp_ne_u16_sdwa s5, v32, v9 src0_sel:BYTE_0 src1_sel:DWORD
	s_and_saveexec_b32 s20, s5
	s_cbranch_execz .LBB329_1107
; %bb.1100:                             ;   in Loop: Header=BB329_11 Depth=1
	v_cmp_ne_u16_sdwa s5, v32, v124 src0_sel:BYTE_0 src1_sel:DWORD
	v_mov_b32_e32 v0, 0x8000
	buffer_store_dword v0, off, s[0:3], s32 offset:676 ; 4-byte Folded Spill
	s_and_saveexec_b32 s21, s5
	s_cbranch_execz .LBB329_1106
; %bb.1101:                             ;   in Loop: Header=BB329_11 Depth=1
	v_and_b32_e32 v2, 0x7f, v32
	v_mov_b32_e32 v0, 0x7c01
	s_mov_b32 s22, exec_lo
	buffer_store_dword v0, off, s[0:3], s32 offset:676 ; 4-byte Folded Spill
	v_cmpx_ne_u32_e32 0x7f, v2
	s_cbranch_execz .LBB329_1105
; %bb.1102:                             ;   in Loop: Header=BB329_11 Depth=1
	v_and_b32_e32 v0, 7, v32
	v_lshrrev_b32_e32 v1, 3, v2
	s_mov_b32 s23, exec_lo
	v_cmpx_gt_u32_e32 8, v2
; %bb.1103:                             ;   in Loop: Header=BB329_11 Depth=1
	v_ffbh_u32_e32 v0, v0
	v_min_u32_e32 v2, 32, v0
	v_subrev_nc_u32_e32 v0, 28, v2
	v_lshlrev_b64 v[0:1], v0, v[32:33]
	v_sub_nc_u32_e32 v1, 29, v2
	v_and_b32_e32 v0, 7, v0
; %bb.1104:                             ;   in Loop: Header=BB329_11 Depth=1
	s_or_b32 exec_lo, exec_lo, s23
	v_lshlrev_b32_e32 v2, 8, v32
	v_lshl_add_u32 v1, v1, 10, 0x2000
	v_lshlrev_b32_e32 v0, 7, v0
	v_and_b32_e32 v2, 0x8000, v2
	v_and_b32_e32 v1, 0xfc00, v1
	v_or3_b32 v0, v2, v1, v0
	buffer_store_dword v0, off, s[0:3], s32 offset:676 ; 4-byte Folded Spill
.LBB329_1105:                           ;   in Loop: Header=BB329_11 Depth=1
	s_or_b32 exec_lo, exec_lo, s22
.LBB329_1106:                           ;   in Loop: Header=BB329_11 Depth=1
	s_or_b32 exec_lo, exec_lo, s21
.LBB329_1107:                           ;   in Loop: Header=BB329_11 Depth=1
	s_or_b32 exec_lo, exec_lo, s20
	v_lshrrev_b16 v8, 8, v32
	v_mov_b32_e32 v0, 0
	v_mov_b32_e32 v118, 0
	s_mov_b32 s20, exec_lo
	buffer_store_dword v0, off, s[0:3], s32 offset:680 ; 4-byte Folded Spill
	v_cmpx_ne_u16_e32 0, v8
	s_cbranch_execz .LBB329_1115
; %bb.1108:                             ;   in Loop: Header=BB329_11 Depth=1
	v_bfrev_b32_e32 v118, 1
	s_mov_b32 s21, exec_lo
	v_cmpx_ne_u16_e32 0x80, v8
	s_cbranch_execz .LBB329_1114
; %bb.1109:                             ;   in Loop: Header=BB329_11 Depth=1
	v_mov_b32_e32 v0, 0x7f
	v_mov_b32_e32 v118, 0x7c010000
	s_mov_b32 s22, exec_lo
	v_and_b32_sdwa v2, v8, v0 dst_sel:DWORD dst_unused:UNUSED_PAD src0_sel:WORD_0 src1_sel:DWORD
	v_cmpx_ne_u32_e32 0x7f, v2
	s_cbranch_execz .LBB329_1113
; %bb.1110:                             ;   in Loop: Header=BB329_11 Depth=1
	v_mov_b32_e32 v0, 7
	v_lshrrev_b32_e32 v1, 3, v2
	s_mov_b32 s23, exec_lo
	v_and_b32_sdwa v0, v8, v0 dst_sel:DWORD dst_unused:UNUSED_PAD src0_sel:WORD_0 src1_sel:DWORD
	v_cmpx_gt_u32_e32 8, v2
; %bb.1111:                             ;   in Loop: Header=BB329_11 Depth=1
	v_ffbh_u32_e32 v0, v0
	v_min_u32_e32 v2, 32, v0
	v_subrev_nc_u32_e32 v0, 28, v2
	v_lshlrev_b64 v[0:1], v0, v[8:9]
	v_sub_nc_u32_e32 v1, 29, v2
	v_and_b32_e32 v0, 7, v0
; %bb.1112:                             ;   in Loop: Header=BB329_11 Depth=1
	s_or_b32 exec_lo, exec_lo, s23
	v_mov_b32_e32 v2, 8
	v_lshl_add_u32 v1, v1, 10, 0x2000
	v_lshlrev_b32_e32 v0, 23, v0
	v_lshlrev_b32_sdwa v2, v2, v8 dst_sel:DWORD dst_unused:UNUSED_PAD src0_sel:DWORD src1_sel:WORD_0
	v_and_or_b32 v1, 0x8000, v2, v1
	v_lshl_or_b32 v118, v1, 16, v0
.LBB329_1113:                           ;   in Loop: Header=BB329_11 Depth=1
	s_or_b32 exec_lo, exec_lo, s22
.LBB329_1114:                           ;   in Loop: Header=BB329_11 Depth=1
	s_or_b32 exec_lo, exec_lo, s21
.LBB329_1115:                           ;   in Loop: Header=BB329_11 Depth=1
	s_or_b32 exec_lo, exec_lo, s20
	v_lshrrev_b32_e32 v8, 16, v32
	v_cmp_ne_u16_sdwa s5, v8, v9 src0_sel:BYTE_0 src1_sel:DWORD
	s_and_saveexec_b32 s20, s5
	s_cbranch_execz .LBB329_1123
; %bb.1116:                             ;   in Loop: Header=BB329_11 Depth=1
	v_cmp_ne_u16_sdwa s5, v8, v124 src0_sel:BYTE_0 src1_sel:DWORD
	v_mov_b32_e32 v0, 0x8000
	buffer_store_dword v0, off, s[0:3], s32 offset:680 ; 4-byte Folded Spill
	s_and_saveexec_b32 s21, s5
	s_cbranch_execz .LBB329_1122
; %bb.1117:                             ;   in Loop: Header=BB329_11 Depth=1
	v_bfe_u32 v2, v32, 16, 7
	v_mov_b32_e32 v0, 0x7c01
	s_mov_b32 s22, exec_lo
	buffer_store_dword v0, off, s[0:3], s32 offset:680 ; 4-byte Folded Spill
	v_cmpx_ne_u32_e32 0x7f, v2
	s_cbranch_execz .LBB329_1121
; %bb.1118:                             ;   in Loop: Header=BB329_11 Depth=1
	v_and_b32_e32 v0, 7, v8
	v_lshrrev_b32_e32 v1, 3, v2
	s_mov_b32 s23, exec_lo
	v_cmpx_gt_u32_e32 8, v2
; %bb.1119:                             ;   in Loop: Header=BB329_11 Depth=1
	v_ffbh_u32_e32 v0, v0
	v_min_u32_e32 v2, 32, v0
	v_subrev_nc_u32_e32 v0, 28, v2
	v_lshlrev_b64 v[0:1], v0, v[8:9]
	v_sub_nc_u32_e32 v1, 29, v2
	v_and_b32_e32 v0, 7, v0
; %bb.1120:                             ;   in Loop: Header=BB329_11 Depth=1
	s_or_b32 exec_lo, exec_lo, s23
	v_lshlrev_b32_e32 v2, 8, v8
	v_lshl_add_u32 v1, v1, 10, 0x2000
	v_lshlrev_b32_e32 v0, 7, v0
	v_and_b32_e32 v2, 0x8000, v2
	v_and_b32_e32 v1, 0xfc00, v1
	v_or3_b32 v0, v2, v1, v0
	buffer_store_dword v0, off, s[0:3], s32 offset:680 ; 4-byte Folded Spill
.LBB329_1121:                           ;   in Loop: Header=BB329_11 Depth=1
	s_or_b32 exec_lo, exec_lo, s22
.LBB329_1122:                           ;   in Loop: Header=BB329_11 Depth=1
	s_or_b32 exec_lo, exec_lo, s21
.LBB329_1123:                           ;   in Loop: Header=BB329_11 Depth=1
	s_or_b32 exec_lo, exec_lo, s20
	v_mov_b32_e32 v0, 0
	v_mov_b32_e32 v26, 0
	s_mov_b32 s20, exec_lo
	buffer_store_dword v0, off, s[0:3], s32 offset:684 ; 4-byte Folded Spill
	v_cmpx_lt_u32_e32 0xffffff, v32
	s_cbranch_execz .LBB329_1131
; %bb.1124:                             ;   in Loop: Header=BB329_11 Depth=1
	v_lshrrev_b32_e32 v8, 24, v32
	v_bfrev_b32_e32 v26, 1
	s_mov_b32 s21, exec_lo
	v_cmpx_ne_u32_e32 0x80, v8
	s_cbranch_execz .LBB329_1130
; %bb.1125:                             ;   in Loop: Header=BB329_11 Depth=1
	v_and_b32_e32 v2, 0x7f, v8
	v_mov_b32_e32 v26, 0x7c010000
	s_mov_b32 s22, exec_lo
	v_cmpx_ne_u32_e32 0x7f, v2
	s_cbranch_execz .LBB329_1129
; %bb.1126:                             ;   in Loop: Header=BB329_11 Depth=1
	v_and_b32_e32 v0, 7, v8
	v_lshrrev_b32_e32 v1, 3, v2
	s_mov_b32 s23, exec_lo
	v_cmpx_gt_u32_e32 8, v2
; %bb.1127:                             ;   in Loop: Header=BB329_11 Depth=1
	v_ffbh_u32_e32 v0, v0
	v_min_u32_e32 v2, 32, v0
	v_subrev_nc_u32_e32 v0, 28, v2
	v_lshlrev_b64 v[0:1], v0, v[8:9]
	v_sub_nc_u32_e32 v1, 29, v2
	v_and_b32_e32 v0, 7, v0
; %bb.1128:                             ;   in Loop: Header=BB329_11 Depth=1
	s_or_b32 exec_lo, exec_lo, s23
	v_lshlrev_b32_e32 v2, 8, v8
	v_lshl_add_u32 v1, v1, 10, 0x2000
	v_lshlrev_b32_e32 v0, 23, v0
	v_and_or_b32 v1, 0x8000, v2, v1
	v_lshl_or_b32 v26, v1, 16, v0
.LBB329_1129:                           ;   in Loop: Header=BB329_11 Depth=1
	s_or_b32 exec_lo, exec_lo, s22
.LBB329_1130:                           ;   in Loop: Header=BB329_11 Depth=1
	s_or_b32 exec_lo, exec_lo, s21
.LBB329_1131:                           ;   in Loop: Header=BB329_11 Depth=1
	s_or_b32 exec_lo, exec_lo, s20
	v_mov_b32_e32 v8, v33
	v_cmp_ne_u16_sdwa s5, v33, v9 src0_sel:BYTE_0 src1_sel:DWORD
	s_and_saveexec_b32 s20, s5
	s_cbranch_execz .LBB329_1139
; %bb.1132:                             ;   in Loop: Header=BB329_11 Depth=1
	v_cmp_ne_u16_sdwa s5, v33, v124 src0_sel:BYTE_0 src1_sel:DWORD
	v_mov_b32_e32 v0, 0x8000
	buffer_store_dword v0, off, s[0:3], s32 offset:684 ; 4-byte Folded Spill
	s_and_saveexec_b32 s21, s5
	s_cbranch_execz .LBB329_1138
; %bb.1133:                             ;   in Loop: Header=BB329_11 Depth=1
	v_and_b32_e32 v2, 0x7f, v33
	v_mov_b32_e32 v0, 0x7c01
	s_mov_b32 s22, exec_lo
	buffer_store_dword v0, off, s[0:3], s32 offset:684 ; 4-byte Folded Spill
	v_cmpx_ne_u32_e32 0x7f, v2
	s_cbranch_execz .LBB329_1137
; %bb.1134:                             ;   in Loop: Header=BB329_11 Depth=1
	v_and_b32_e32 v0, 7, v33
	v_lshrrev_b32_e32 v1, 3, v2
	s_mov_b32 s23, exec_lo
	v_cmpx_gt_u32_e32 8, v2
; %bb.1135:                             ;   in Loop: Header=BB329_11 Depth=1
	v_ffbh_u32_e32 v0, v0
	v_min_u32_e32 v2, 32, v0
	v_subrev_nc_u32_e32 v0, 28, v2
	v_lshlrev_b64 v[0:1], v0, v[8:9]
	v_sub_nc_u32_e32 v1, 29, v2
	v_and_b32_e32 v0, 7, v0
; %bb.1136:                             ;   in Loop: Header=BB329_11 Depth=1
	s_or_b32 exec_lo, exec_lo, s23
	v_lshlrev_b32_e32 v2, 8, v33
	v_lshl_add_u32 v1, v1, 10, 0x2000
	v_lshlrev_b32_e32 v0, 7, v0
	v_and_b32_e32 v2, 0x8000, v2
	v_and_b32_e32 v1, 0xfc00, v1
	v_or3_b32 v0, v2, v1, v0
	buffer_store_dword v0, off, s[0:3], s32 offset:684 ; 4-byte Folded Spill
.LBB329_1137:                           ;   in Loop: Header=BB329_11 Depth=1
	s_or_b32 exec_lo, exec_lo, s22
.LBB329_1138:                           ;   in Loop: Header=BB329_11 Depth=1
	s_or_b32 exec_lo, exec_lo, s21
.LBB329_1139:                           ;   in Loop: Header=BB329_11 Depth=1
	s_or_b32 exec_lo, exec_lo, s20
	v_lshrrev_b16 v8, 8, v8
	v_mov_b32_e32 v0, 0
	v_mov_b32_e32 v85, 0
	s_mov_b32 s20, exec_lo
	buffer_store_dword v0, off, s[0:3], s32 offset:688 ; 4-byte Folded Spill
	v_cmpx_ne_u16_e32 0, v8
	s_cbranch_execz .LBB329_1147
; %bb.1140:                             ;   in Loop: Header=BB329_11 Depth=1
	v_bfrev_b32_e32 v85, 1
	s_mov_b32 s21, exec_lo
	v_cmpx_ne_u16_e32 0x80, v8
	s_cbranch_execz .LBB329_1146
; %bb.1141:                             ;   in Loop: Header=BB329_11 Depth=1
	v_mov_b32_e32 v0, 0x7f
	v_mov_b32_e32 v85, 0x7c010000
	s_mov_b32 s22, exec_lo
	v_and_b32_sdwa v2, v8, v0 dst_sel:DWORD dst_unused:UNUSED_PAD src0_sel:WORD_0 src1_sel:DWORD
	v_cmpx_ne_u32_e32 0x7f, v2
	s_cbranch_execz .LBB329_1145
; %bb.1142:                             ;   in Loop: Header=BB329_11 Depth=1
	v_mov_b32_e32 v0, 7
	v_lshrrev_b32_e32 v1, 3, v2
	s_mov_b32 s23, exec_lo
	v_and_b32_sdwa v0, v8, v0 dst_sel:DWORD dst_unused:UNUSED_PAD src0_sel:WORD_0 src1_sel:DWORD
	v_cmpx_gt_u32_e32 8, v2
; %bb.1143:                             ;   in Loop: Header=BB329_11 Depth=1
	v_ffbh_u32_e32 v0, v0
	v_min_u32_e32 v2, 32, v0
	v_subrev_nc_u32_e32 v0, 28, v2
	v_lshlrev_b64 v[0:1], v0, v[8:9]
	v_sub_nc_u32_e32 v1, 29, v2
	v_and_b32_e32 v0, 7, v0
; %bb.1144:                             ;   in Loop: Header=BB329_11 Depth=1
	s_or_b32 exec_lo, exec_lo, s23
	v_mov_b32_e32 v2, 8
	v_lshl_add_u32 v1, v1, 10, 0x2000
	v_lshlrev_b32_e32 v0, 23, v0
	v_lshlrev_b32_sdwa v2, v2, v8 dst_sel:DWORD dst_unused:UNUSED_PAD src0_sel:DWORD src1_sel:WORD_0
	v_and_or_b32 v1, 0x8000, v2, v1
	v_lshl_or_b32 v85, v1, 16, v0
.LBB329_1145:                           ;   in Loop: Header=BB329_11 Depth=1
	s_or_b32 exec_lo, exec_lo, s22
.LBB329_1146:                           ;   in Loop: Header=BB329_11 Depth=1
	s_or_b32 exec_lo, exec_lo, s21
.LBB329_1147:                           ;   in Loop: Header=BB329_11 Depth=1
	s_or_b32 exec_lo, exec_lo, s20
	v_lshrrev_b32_e32 v8, 16, v33
	v_cmp_ne_u16_sdwa s5, v8, v9 src0_sel:BYTE_0 src1_sel:DWORD
	s_and_saveexec_b32 s20, s5
	s_cbranch_execz .LBB329_1155
; %bb.1148:                             ;   in Loop: Header=BB329_11 Depth=1
	v_cmp_ne_u16_sdwa s5, v8, v124 src0_sel:BYTE_0 src1_sel:DWORD
	v_mov_b32_e32 v0, 0x8000
	buffer_store_dword v0, off, s[0:3], s32 offset:688 ; 4-byte Folded Spill
	s_and_saveexec_b32 s21, s5
	s_cbranch_execz .LBB329_1154
; %bb.1149:                             ;   in Loop: Header=BB329_11 Depth=1
	v_bfe_u32 v2, v33, 16, 7
	v_mov_b32_e32 v0, 0x7c01
	s_mov_b32 s22, exec_lo
	buffer_store_dword v0, off, s[0:3], s32 offset:688 ; 4-byte Folded Spill
	v_cmpx_ne_u32_e32 0x7f, v2
	s_cbranch_execz .LBB329_1153
; %bb.1150:                             ;   in Loop: Header=BB329_11 Depth=1
	v_and_b32_e32 v0, 7, v8
	v_lshrrev_b32_e32 v1, 3, v2
	s_mov_b32 s23, exec_lo
	v_cmpx_gt_u32_e32 8, v2
; %bb.1151:                             ;   in Loop: Header=BB329_11 Depth=1
	v_ffbh_u32_e32 v0, v0
	v_min_u32_e32 v2, 32, v0
	v_subrev_nc_u32_e32 v0, 28, v2
	v_lshlrev_b64 v[0:1], v0, v[8:9]
	v_sub_nc_u32_e32 v1, 29, v2
	v_and_b32_e32 v0, 7, v0
; %bb.1152:                             ;   in Loop: Header=BB329_11 Depth=1
	s_or_b32 exec_lo, exec_lo, s23
	v_lshlrev_b32_e32 v2, 8, v8
	v_lshl_add_u32 v1, v1, 10, 0x2000
	v_lshlrev_b32_e32 v0, 7, v0
	v_and_b32_e32 v2, 0x8000, v2
	v_and_b32_e32 v1, 0xfc00, v1
	v_or3_b32 v0, v2, v1, v0
	buffer_store_dword v0, off, s[0:3], s32 offset:688 ; 4-byte Folded Spill
.LBB329_1153:                           ;   in Loop: Header=BB329_11 Depth=1
	s_or_b32 exec_lo, exec_lo, s22
.LBB329_1154:                           ;   in Loop: Header=BB329_11 Depth=1
	s_or_b32 exec_lo, exec_lo, s21
.LBB329_1155:                           ;   in Loop: Header=BB329_11 Depth=1
	s_or_b32 exec_lo, exec_lo, s20
	v_mov_b32_e32 v0, 0
	v_mov_b32_e32 v122, 0
	s_mov_b32 s20, exec_lo
	buffer_store_dword v0, off, s[0:3], s32 offset:692 ; 4-byte Folded Spill
	v_cmpx_lt_u64_e64 s[6:7], v[32:33]
	s_cbranch_execz .LBB329_1163
; %bb.1156:                             ;   in Loop: Header=BB329_11 Depth=1
	v_lshrrev_b32_e32 v8, 24, v33
	v_bfrev_b32_e32 v122, 1
	s_mov_b32 s21, exec_lo
	v_cmpx_ne_u32_e32 0x80, v8
	s_cbranch_execz .LBB329_1162
; %bb.1157:                             ;   in Loop: Header=BB329_11 Depth=1
	v_and_b32_e32 v2, 0x7f, v8
	v_mov_b32_e32 v122, 0x7c010000
	s_mov_b32 s22, exec_lo
	v_cmpx_ne_u32_e32 0x7f, v2
	s_cbranch_execz .LBB329_1161
; %bb.1158:                             ;   in Loop: Header=BB329_11 Depth=1
	v_and_b32_e32 v0, 7, v8
	v_lshrrev_b32_e32 v1, 3, v2
	s_mov_b32 s23, exec_lo
	v_cmpx_gt_u32_e32 8, v2
; %bb.1159:                             ;   in Loop: Header=BB329_11 Depth=1
	v_ffbh_u32_e32 v0, v0
	v_min_u32_e32 v2, 32, v0
	v_subrev_nc_u32_e32 v0, 28, v2
	v_lshlrev_b64 v[0:1], v0, v[8:9]
	v_sub_nc_u32_e32 v1, 29, v2
	v_and_b32_e32 v0, 7, v0
; %bb.1160:                             ;   in Loop: Header=BB329_11 Depth=1
	s_or_b32 exec_lo, exec_lo, s23
	v_lshlrev_b32_e32 v2, 8, v8
	v_lshl_add_u32 v1, v1, 10, 0x2000
	v_lshlrev_b32_e32 v0, 23, v0
	v_and_or_b32 v1, 0x8000, v2, v1
	v_lshl_or_b32 v122, v1, 16, v0
.LBB329_1161:                           ;   in Loop: Header=BB329_11 Depth=1
	s_or_b32 exec_lo, exec_lo, s22
.LBB329_1162:                           ;   in Loop: Header=BB329_11 Depth=1
	s_or_b32 exec_lo, exec_lo, s21
.LBB329_1163:                           ;   in Loop: Header=BB329_11 Depth=1
	s_or_b32 exec_lo, exec_lo, s20
	flat_load_dwordx2 v[32:33], v[30:31] offset:512
	s_waitcnt vmcnt(0) lgkmcnt(0)
	v_cmp_ne_u16_sdwa s5, v32, v9 src0_sel:BYTE_0 src1_sel:DWORD
	s_and_saveexec_b32 s20, s5
	s_cbranch_execz .LBB329_1171
; %bb.1164:                             ;   in Loop: Header=BB329_11 Depth=1
	v_cmp_ne_u16_sdwa s5, v32, v124 src0_sel:BYTE_0 src1_sel:DWORD
	v_mov_b32_e32 v0, 0x8000
	buffer_store_dword v0, off, s[0:3], s32 offset:692 ; 4-byte Folded Spill
	s_and_saveexec_b32 s21, s5
	s_cbranch_execz .LBB329_1170
; %bb.1165:                             ;   in Loop: Header=BB329_11 Depth=1
	v_and_b32_e32 v2, 0x7f, v32
	v_mov_b32_e32 v0, 0x7c01
	s_mov_b32 s22, exec_lo
	buffer_store_dword v0, off, s[0:3], s32 offset:692 ; 4-byte Folded Spill
	v_cmpx_ne_u32_e32 0x7f, v2
	s_cbranch_execz .LBB329_1169
; %bb.1166:                             ;   in Loop: Header=BB329_11 Depth=1
	v_and_b32_e32 v0, 7, v32
	v_lshrrev_b32_e32 v1, 3, v2
	s_mov_b32 s23, exec_lo
	v_cmpx_gt_u32_e32 8, v2
; %bb.1167:                             ;   in Loop: Header=BB329_11 Depth=1
	v_ffbh_u32_e32 v0, v0
	v_min_u32_e32 v2, 32, v0
	v_subrev_nc_u32_e32 v0, 28, v2
	v_lshlrev_b64 v[0:1], v0, v[32:33]
	v_sub_nc_u32_e32 v1, 29, v2
	v_and_b32_e32 v0, 7, v0
; %bb.1168:                             ;   in Loop: Header=BB329_11 Depth=1
	s_or_b32 exec_lo, exec_lo, s23
	v_lshlrev_b32_e32 v2, 8, v32
	v_lshl_add_u32 v1, v1, 10, 0x2000
	v_lshlrev_b32_e32 v0, 7, v0
	v_and_b32_e32 v2, 0x8000, v2
	v_and_b32_e32 v1, 0xfc00, v1
	v_or3_b32 v0, v2, v1, v0
	buffer_store_dword v0, off, s[0:3], s32 offset:692 ; 4-byte Folded Spill
.LBB329_1169:                           ;   in Loop: Header=BB329_11 Depth=1
	s_or_b32 exec_lo, exec_lo, s22
.LBB329_1170:                           ;   in Loop: Header=BB329_11 Depth=1
	s_or_b32 exec_lo, exec_lo, s21
.LBB329_1171:                           ;   in Loop: Header=BB329_11 Depth=1
	s_or_b32 exec_lo, exec_lo, s20
	v_lshrrev_b16 v8, 8, v32
	v_mov_b32_e32 v0, 0
	v_mov_b32_e32 v123, 0
	s_mov_b32 s20, exec_lo
	buffer_store_dword v0, off, s[0:3], s32 offset:696 ; 4-byte Folded Spill
	v_cmpx_ne_u16_e32 0, v8
	s_cbranch_execz .LBB329_1179
; %bb.1172:                             ;   in Loop: Header=BB329_11 Depth=1
	v_bfrev_b32_e32 v123, 1
	s_mov_b32 s21, exec_lo
	v_cmpx_ne_u16_e32 0x80, v8
	s_cbranch_execz .LBB329_1178
; %bb.1173:                             ;   in Loop: Header=BB329_11 Depth=1
	v_mov_b32_e32 v0, 0x7f
	v_mov_b32_e32 v123, 0x7c010000
	s_mov_b32 s22, exec_lo
	v_and_b32_sdwa v2, v8, v0 dst_sel:DWORD dst_unused:UNUSED_PAD src0_sel:WORD_0 src1_sel:DWORD
	v_cmpx_ne_u32_e32 0x7f, v2
	s_cbranch_execz .LBB329_1177
; %bb.1174:                             ;   in Loop: Header=BB329_11 Depth=1
	v_mov_b32_e32 v0, 7
	v_lshrrev_b32_e32 v1, 3, v2
	s_mov_b32 s23, exec_lo
	v_and_b32_sdwa v0, v8, v0 dst_sel:DWORD dst_unused:UNUSED_PAD src0_sel:WORD_0 src1_sel:DWORD
	v_cmpx_gt_u32_e32 8, v2
; %bb.1175:                             ;   in Loop: Header=BB329_11 Depth=1
	v_ffbh_u32_e32 v0, v0
	v_min_u32_e32 v2, 32, v0
	v_subrev_nc_u32_e32 v0, 28, v2
	v_lshlrev_b64 v[0:1], v0, v[8:9]
	v_sub_nc_u32_e32 v1, 29, v2
	v_and_b32_e32 v0, 7, v0
; %bb.1176:                             ;   in Loop: Header=BB329_11 Depth=1
	s_or_b32 exec_lo, exec_lo, s23
	v_mov_b32_e32 v2, 8
	v_lshl_add_u32 v1, v1, 10, 0x2000
	v_lshlrev_b32_e32 v0, 23, v0
	v_lshlrev_b32_sdwa v2, v2, v8 dst_sel:DWORD dst_unused:UNUSED_PAD src0_sel:DWORD src1_sel:WORD_0
	v_and_or_b32 v1, 0x8000, v2, v1
	v_lshl_or_b32 v123, v1, 16, v0
.LBB329_1177:                           ;   in Loop: Header=BB329_11 Depth=1
	s_or_b32 exec_lo, exec_lo, s22
.LBB329_1178:                           ;   in Loop: Header=BB329_11 Depth=1
	s_or_b32 exec_lo, exec_lo, s21
.LBB329_1179:                           ;   in Loop: Header=BB329_11 Depth=1
	s_or_b32 exec_lo, exec_lo, s20
	v_lshrrev_b32_e32 v8, 16, v32
	v_cmp_ne_u16_sdwa s5, v8, v9 src0_sel:BYTE_0 src1_sel:DWORD
	s_and_saveexec_b32 s20, s5
	s_cbranch_execz .LBB329_1187
; %bb.1180:                             ;   in Loop: Header=BB329_11 Depth=1
	v_cmp_ne_u16_sdwa s5, v8, v124 src0_sel:BYTE_0 src1_sel:DWORD
	v_mov_b32_e32 v0, 0x8000
	buffer_store_dword v0, off, s[0:3], s32 offset:696 ; 4-byte Folded Spill
	s_and_saveexec_b32 s21, s5
	s_cbranch_execz .LBB329_1186
; %bb.1181:                             ;   in Loop: Header=BB329_11 Depth=1
	v_bfe_u32 v2, v32, 16, 7
	v_mov_b32_e32 v0, 0x7c01
	s_mov_b32 s22, exec_lo
	buffer_store_dword v0, off, s[0:3], s32 offset:696 ; 4-byte Folded Spill
	v_cmpx_ne_u32_e32 0x7f, v2
	s_cbranch_execz .LBB329_1185
; %bb.1182:                             ;   in Loop: Header=BB329_11 Depth=1
	v_and_b32_e32 v0, 7, v8
	v_lshrrev_b32_e32 v1, 3, v2
	s_mov_b32 s23, exec_lo
	v_cmpx_gt_u32_e32 8, v2
; %bb.1183:                             ;   in Loop: Header=BB329_11 Depth=1
	v_ffbh_u32_e32 v0, v0
	v_min_u32_e32 v2, 32, v0
	v_subrev_nc_u32_e32 v0, 28, v2
	v_lshlrev_b64 v[0:1], v0, v[8:9]
	v_sub_nc_u32_e32 v1, 29, v2
	v_and_b32_e32 v0, 7, v0
; %bb.1184:                             ;   in Loop: Header=BB329_11 Depth=1
	s_or_b32 exec_lo, exec_lo, s23
	v_lshlrev_b32_e32 v2, 8, v8
	v_lshl_add_u32 v1, v1, 10, 0x2000
	v_lshlrev_b32_e32 v0, 7, v0
	v_and_b32_e32 v2, 0x8000, v2
	v_and_b32_e32 v1, 0xfc00, v1
	v_or3_b32 v0, v2, v1, v0
	buffer_store_dword v0, off, s[0:3], s32 offset:696 ; 4-byte Folded Spill
.LBB329_1185:                           ;   in Loop: Header=BB329_11 Depth=1
	s_or_b32 exec_lo, exec_lo, s22
.LBB329_1186:                           ;   in Loop: Header=BB329_11 Depth=1
	s_or_b32 exec_lo, exec_lo, s21
.LBB329_1187:                           ;   in Loop: Header=BB329_11 Depth=1
	s_or_b32 exec_lo, exec_lo, s20
	v_mov_b32_e32 v0, 0
	v_mov_b32_e32 v17, 0
	s_mov_b32 s20, exec_lo
	buffer_store_dword v0, off, s[0:3], s32 offset:700 ; 4-byte Folded Spill
	v_cmpx_lt_u32_e32 0xffffff, v32
	s_cbranch_execz .LBB329_1195
; %bb.1188:                             ;   in Loop: Header=BB329_11 Depth=1
	v_lshrrev_b32_e32 v8, 24, v32
	v_bfrev_b32_e32 v17, 1
	s_mov_b32 s21, exec_lo
	v_cmpx_ne_u32_e32 0x80, v8
	s_cbranch_execz .LBB329_1194
; %bb.1189:                             ;   in Loop: Header=BB329_11 Depth=1
	v_and_b32_e32 v2, 0x7f, v8
	v_mov_b32_e32 v17, 0x7c010000
	s_mov_b32 s22, exec_lo
	v_cmpx_ne_u32_e32 0x7f, v2
	s_cbranch_execz .LBB329_1193
; %bb.1190:                             ;   in Loop: Header=BB329_11 Depth=1
	v_and_b32_e32 v0, 7, v8
	v_lshrrev_b32_e32 v1, 3, v2
	s_mov_b32 s23, exec_lo
	v_cmpx_gt_u32_e32 8, v2
; %bb.1191:                             ;   in Loop: Header=BB329_11 Depth=1
	v_ffbh_u32_e32 v0, v0
	v_min_u32_e32 v2, 32, v0
	v_subrev_nc_u32_e32 v0, 28, v2
	v_lshlrev_b64 v[0:1], v0, v[8:9]
	v_sub_nc_u32_e32 v1, 29, v2
	v_and_b32_e32 v0, 7, v0
; %bb.1192:                             ;   in Loop: Header=BB329_11 Depth=1
	s_or_b32 exec_lo, exec_lo, s23
	v_lshlrev_b32_e32 v2, 8, v8
	v_lshl_add_u32 v1, v1, 10, 0x2000
	v_lshlrev_b32_e32 v0, 23, v0
	v_and_or_b32 v1, 0x8000, v2, v1
	v_lshl_or_b32 v17, v1, 16, v0
.LBB329_1193:                           ;   in Loop: Header=BB329_11 Depth=1
	s_or_b32 exec_lo, exec_lo, s22
.LBB329_1194:                           ;   in Loop: Header=BB329_11 Depth=1
	s_or_b32 exec_lo, exec_lo, s21
.LBB329_1195:                           ;   in Loop: Header=BB329_11 Depth=1
	s_or_b32 exec_lo, exec_lo, s20
	v_mov_b32_e32 v8, v33
	v_cmp_ne_u16_sdwa s5, v33, v9 src0_sel:BYTE_0 src1_sel:DWORD
	s_and_saveexec_b32 s20, s5
	s_cbranch_execz .LBB329_1203
; %bb.1196:                             ;   in Loop: Header=BB329_11 Depth=1
	v_cmp_ne_u16_sdwa s5, v33, v124 src0_sel:BYTE_0 src1_sel:DWORD
	v_mov_b32_e32 v0, 0x8000
	buffer_store_dword v0, off, s[0:3], s32 offset:700 ; 4-byte Folded Spill
	s_and_saveexec_b32 s21, s5
	s_cbranch_execz .LBB329_1202
; %bb.1197:                             ;   in Loop: Header=BB329_11 Depth=1
	v_and_b32_e32 v2, 0x7f, v33
	v_mov_b32_e32 v0, 0x7c01
	s_mov_b32 s22, exec_lo
	buffer_store_dword v0, off, s[0:3], s32 offset:700 ; 4-byte Folded Spill
	v_cmpx_ne_u32_e32 0x7f, v2
	s_cbranch_execz .LBB329_1201
; %bb.1198:                             ;   in Loop: Header=BB329_11 Depth=1
	v_and_b32_e32 v0, 7, v33
	v_lshrrev_b32_e32 v1, 3, v2
	s_mov_b32 s23, exec_lo
	v_cmpx_gt_u32_e32 8, v2
; %bb.1199:                             ;   in Loop: Header=BB329_11 Depth=1
	v_ffbh_u32_e32 v0, v0
	v_min_u32_e32 v2, 32, v0
	v_subrev_nc_u32_e32 v0, 28, v2
	v_lshlrev_b64 v[0:1], v0, v[8:9]
	v_sub_nc_u32_e32 v1, 29, v2
	v_and_b32_e32 v0, 7, v0
; %bb.1200:                             ;   in Loop: Header=BB329_11 Depth=1
	s_or_b32 exec_lo, exec_lo, s23
	v_lshlrev_b32_e32 v2, 8, v33
	v_lshl_add_u32 v1, v1, 10, 0x2000
	v_lshlrev_b32_e32 v0, 7, v0
	v_and_b32_e32 v2, 0x8000, v2
	v_and_b32_e32 v1, 0xfc00, v1
	v_or3_b32 v0, v2, v1, v0
	buffer_store_dword v0, off, s[0:3], s32 offset:700 ; 4-byte Folded Spill
.LBB329_1201:                           ;   in Loop: Header=BB329_11 Depth=1
	s_or_b32 exec_lo, exec_lo, s22
.LBB329_1202:                           ;   in Loop: Header=BB329_11 Depth=1
	s_or_b32 exec_lo, exec_lo, s21
.LBB329_1203:                           ;   in Loop: Header=BB329_11 Depth=1
	s_or_b32 exec_lo, exec_lo, s20
	v_lshrrev_b16 v8, 8, v8
	v_mov_b32_e32 v0, 0
	v_mov_b32_e32 v35, 0
	s_mov_b32 s20, exec_lo
	buffer_store_dword v0, off, s[0:3], s32 offset:704 ; 4-byte Folded Spill
	v_cmpx_ne_u16_e32 0, v8
	s_cbranch_execz .LBB329_1211
; %bb.1204:                             ;   in Loop: Header=BB329_11 Depth=1
	v_bfrev_b32_e32 v35, 1
	s_mov_b32 s21, exec_lo
	v_cmpx_ne_u16_e32 0x80, v8
	s_cbranch_execz .LBB329_1210
; %bb.1205:                             ;   in Loop: Header=BB329_11 Depth=1
	v_mov_b32_e32 v0, 0x7f
	v_mov_b32_e32 v35, 0x7c010000
	s_mov_b32 s22, exec_lo
	v_and_b32_sdwa v2, v8, v0 dst_sel:DWORD dst_unused:UNUSED_PAD src0_sel:WORD_0 src1_sel:DWORD
	v_cmpx_ne_u32_e32 0x7f, v2
	s_cbranch_execz .LBB329_1209
; %bb.1206:                             ;   in Loop: Header=BB329_11 Depth=1
	v_mov_b32_e32 v0, 7
	v_lshrrev_b32_e32 v1, 3, v2
	s_mov_b32 s23, exec_lo
	v_and_b32_sdwa v0, v8, v0 dst_sel:DWORD dst_unused:UNUSED_PAD src0_sel:WORD_0 src1_sel:DWORD
	v_cmpx_gt_u32_e32 8, v2
; %bb.1207:                             ;   in Loop: Header=BB329_11 Depth=1
	v_ffbh_u32_e32 v0, v0
	v_min_u32_e32 v2, 32, v0
	v_subrev_nc_u32_e32 v0, 28, v2
	v_lshlrev_b64 v[0:1], v0, v[8:9]
	v_sub_nc_u32_e32 v1, 29, v2
	v_and_b32_e32 v0, 7, v0
; %bb.1208:                             ;   in Loop: Header=BB329_11 Depth=1
	s_or_b32 exec_lo, exec_lo, s23
	v_mov_b32_e32 v2, 8
	v_lshl_add_u32 v1, v1, 10, 0x2000
	v_lshlrev_b32_e32 v0, 23, v0
	v_lshlrev_b32_sdwa v2, v2, v8 dst_sel:DWORD dst_unused:UNUSED_PAD src0_sel:DWORD src1_sel:WORD_0
	v_and_or_b32 v1, 0x8000, v2, v1
	v_lshl_or_b32 v35, v1, 16, v0
.LBB329_1209:                           ;   in Loop: Header=BB329_11 Depth=1
	s_or_b32 exec_lo, exec_lo, s22
.LBB329_1210:                           ;   in Loop: Header=BB329_11 Depth=1
	s_or_b32 exec_lo, exec_lo, s21
.LBB329_1211:                           ;   in Loop: Header=BB329_11 Depth=1
	s_or_b32 exec_lo, exec_lo, s20
	v_lshrrev_b32_e32 v8, 16, v33
	v_cmp_ne_u16_sdwa s5, v8, v9 src0_sel:BYTE_0 src1_sel:DWORD
	s_and_saveexec_b32 s20, s5
	s_cbranch_execz .LBB329_1219
; %bb.1212:                             ;   in Loop: Header=BB329_11 Depth=1
	v_cmp_ne_u16_sdwa s5, v8, v124 src0_sel:BYTE_0 src1_sel:DWORD
	v_mov_b32_e32 v0, 0x8000
	buffer_store_dword v0, off, s[0:3], s32 offset:704 ; 4-byte Folded Spill
	s_and_saveexec_b32 s21, s5
	s_cbranch_execz .LBB329_1218
; %bb.1213:                             ;   in Loop: Header=BB329_11 Depth=1
	v_bfe_u32 v2, v33, 16, 7
	v_mov_b32_e32 v0, 0x7c01
	s_mov_b32 s22, exec_lo
	buffer_store_dword v0, off, s[0:3], s32 offset:704 ; 4-byte Folded Spill
	v_cmpx_ne_u32_e32 0x7f, v2
	s_cbranch_execz .LBB329_1217
; %bb.1214:                             ;   in Loop: Header=BB329_11 Depth=1
	v_and_b32_e32 v0, 7, v8
	v_lshrrev_b32_e32 v1, 3, v2
	s_mov_b32 s23, exec_lo
	v_cmpx_gt_u32_e32 8, v2
; %bb.1215:                             ;   in Loop: Header=BB329_11 Depth=1
	v_ffbh_u32_e32 v0, v0
	v_min_u32_e32 v2, 32, v0
	v_subrev_nc_u32_e32 v0, 28, v2
	v_lshlrev_b64 v[0:1], v0, v[8:9]
	v_sub_nc_u32_e32 v1, 29, v2
	v_and_b32_e32 v0, 7, v0
; %bb.1216:                             ;   in Loop: Header=BB329_11 Depth=1
	s_or_b32 exec_lo, exec_lo, s23
	v_lshlrev_b32_e32 v2, 8, v8
	v_lshl_add_u32 v1, v1, 10, 0x2000
	v_lshlrev_b32_e32 v0, 7, v0
	v_and_b32_e32 v2, 0x8000, v2
	v_and_b32_e32 v1, 0xfc00, v1
	v_or3_b32 v0, v2, v1, v0
	buffer_store_dword v0, off, s[0:3], s32 offset:704 ; 4-byte Folded Spill
.LBB329_1217:                           ;   in Loop: Header=BB329_11 Depth=1
	s_or_b32 exec_lo, exec_lo, s22
.LBB329_1218:                           ;   in Loop: Header=BB329_11 Depth=1
	s_or_b32 exec_lo, exec_lo, s21
.LBB329_1219:                           ;   in Loop: Header=BB329_11 Depth=1
	s_or_b32 exec_lo, exec_lo, s20
	v_mov_b32_e32 v0, 0
	v_mov_b32_e32 v61, 0
	s_mov_b32 s20, exec_lo
	buffer_store_dword v0, off, s[0:3], s32 offset:708 ; 4-byte Folded Spill
	v_cmpx_lt_u64_e64 s[6:7], v[32:33]
	s_cbranch_execz .LBB329_1227
; %bb.1220:                             ;   in Loop: Header=BB329_11 Depth=1
	v_lshrrev_b32_e32 v8, 24, v33
	v_bfrev_b32_e32 v61, 1
	s_mov_b32 s21, exec_lo
	v_cmpx_ne_u32_e32 0x80, v8
	s_cbranch_execz .LBB329_1226
; %bb.1221:                             ;   in Loop: Header=BB329_11 Depth=1
	v_and_b32_e32 v2, 0x7f, v8
	v_mov_b32_e32 v61, 0x7c010000
	s_mov_b32 s22, exec_lo
	v_cmpx_ne_u32_e32 0x7f, v2
	s_cbranch_execz .LBB329_1225
; %bb.1222:                             ;   in Loop: Header=BB329_11 Depth=1
	v_and_b32_e32 v0, 7, v8
	v_lshrrev_b32_e32 v1, 3, v2
	s_mov_b32 s23, exec_lo
	v_cmpx_gt_u32_e32 8, v2
; %bb.1223:                             ;   in Loop: Header=BB329_11 Depth=1
	v_ffbh_u32_e32 v0, v0
	v_min_u32_e32 v2, 32, v0
	v_subrev_nc_u32_e32 v0, 28, v2
	v_lshlrev_b64 v[0:1], v0, v[8:9]
	v_sub_nc_u32_e32 v1, 29, v2
	v_and_b32_e32 v0, 7, v0
; %bb.1224:                             ;   in Loop: Header=BB329_11 Depth=1
	s_or_b32 exec_lo, exec_lo, s23
	v_lshlrev_b32_e32 v2, 8, v8
	v_lshl_add_u32 v1, v1, 10, 0x2000
	v_lshlrev_b32_e32 v0, 23, v0
	v_and_or_b32 v1, 0x8000, v2, v1
	v_lshl_or_b32 v61, v1, 16, v0
.LBB329_1225:                           ;   in Loop: Header=BB329_11 Depth=1
	s_or_b32 exec_lo, exec_lo, s22
.LBB329_1226:                           ;   in Loop: Header=BB329_11 Depth=1
	s_or_b32 exec_lo, exec_lo, s21
.LBB329_1227:                           ;   in Loop: Header=BB329_11 Depth=1
	s_or_b32 exec_lo, exec_lo, s20
	flat_load_dwordx2 v[32:33], v[30:31] offset:520
	s_waitcnt vmcnt(0) lgkmcnt(0)
	v_cmp_ne_u16_sdwa s5, v32, v9 src0_sel:BYTE_0 src1_sel:DWORD
	s_and_saveexec_b32 s20, s5
	s_cbranch_execz .LBB329_1235
; %bb.1228:                             ;   in Loop: Header=BB329_11 Depth=1
	v_cmp_ne_u16_sdwa s5, v32, v124 src0_sel:BYTE_0 src1_sel:DWORD
	v_mov_b32_e32 v0, 0x8000
	buffer_store_dword v0, off, s[0:3], s32 offset:708 ; 4-byte Folded Spill
	s_and_saveexec_b32 s21, s5
	s_cbranch_execz .LBB329_1234
; %bb.1229:                             ;   in Loop: Header=BB329_11 Depth=1
	v_and_b32_e32 v2, 0x7f, v32
	v_mov_b32_e32 v0, 0x7c01
	s_mov_b32 s22, exec_lo
	buffer_store_dword v0, off, s[0:3], s32 offset:708 ; 4-byte Folded Spill
	v_cmpx_ne_u32_e32 0x7f, v2
	s_cbranch_execz .LBB329_1233
; %bb.1230:                             ;   in Loop: Header=BB329_11 Depth=1
	v_and_b32_e32 v0, 7, v32
	v_lshrrev_b32_e32 v1, 3, v2
	s_mov_b32 s23, exec_lo
	v_cmpx_gt_u32_e32 8, v2
; %bb.1231:                             ;   in Loop: Header=BB329_11 Depth=1
	v_ffbh_u32_e32 v0, v0
	v_min_u32_e32 v2, 32, v0
	v_subrev_nc_u32_e32 v0, 28, v2
	v_lshlrev_b64 v[0:1], v0, v[32:33]
	v_sub_nc_u32_e32 v1, 29, v2
	v_and_b32_e32 v0, 7, v0
; %bb.1232:                             ;   in Loop: Header=BB329_11 Depth=1
	s_or_b32 exec_lo, exec_lo, s23
	v_lshlrev_b32_e32 v2, 8, v32
	v_lshl_add_u32 v1, v1, 10, 0x2000
	v_lshlrev_b32_e32 v0, 7, v0
	v_and_b32_e32 v2, 0x8000, v2
	v_and_b32_e32 v1, 0xfc00, v1
	v_or3_b32 v0, v2, v1, v0
	buffer_store_dword v0, off, s[0:3], s32 offset:708 ; 4-byte Folded Spill
.LBB329_1233:                           ;   in Loop: Header=BB329_11 Depth=1
	s_or_b32 exec_lo, exec_lo, s22
.LBB329_1234:                           ;   in Loop: Header=BB329_11 Depth=1
	s_or_b32 exec_lo, exec_lo, s21
.LBB329_1235:                           ;   in Loop: Header=BB329_11 Depth=1
	s_or_b32 exec_lo, exec_lo, s20
	v_lshrrev_b16 v8, 8, v32
	v_mov_b32_e32 v0, 0
	v_mov_b32_e32 v119, 0
	s_mov_b32 s20, exec_lo
	buffer_store_dword v0, off, s[0:3], s32 offset:712 ; 4-byte Folded Spill
	v_cmpx_ne_u16_e32 0, v8
	s_cbranch_execz .LBB329_1243
; %bb.1236:                             ;   in Loop: Header=BB329_11 Depth=1
	v_bfrev_b32_e32 v119, 1
	s_mov_b32 s21, exec_lo
	v_cmpx_ne_u16_e32 0x80, v8
	s_cbranch_execz .LBB329_1242
; %bb.1237:                             ;   in Loop: Header=BB329_11 Depth=1
	v_mov_b32_e32 v0, 0x7f
	v_mov_b32_e32 v119, 0x7c010000
	s_mov_b32 s22, exec_lo
	v_and_b32_sdwa v2, v8, v0 dst_sel:DWORD dst_unused:UNUSED_PAD src0_sel:WORD_0 src1_sel:DWORD
	v_cmpx_ne_u32_e32 0x7f, v2
	s_cbranch_execz .LBB329_1241
; %bb.1238:                             ;   in Loop: Header=BB329_11 Depth=1
	v_mov_b32_e32 v0, 7
	v_lshrrev_b32_e32 v1, 3, v2
	s_mov_b32 s23, exec_lo
	v_and_b32_sdwa v0, v8, v0 dst_sel:DWORD dst_unused:UNUSED_PAD src0_sel:WORD_0 src1_sel:DWORD
	v_cmpx_gt_u32_e32 8, v2
; %bb.1239:                             ;   in Loop: Header=BB329_11 Depth=1
	v_ffbh_u32_e32 v0, v0
	v_min_u32_e32 v2, 32, v0
	v_subrev_nc_u32_e32 v0, 28, v2
	v_lshlrev_b64 v[0:1], v0, v[8:9]
	v_sub_nc_u32_e32 v1, 29, v2
	v_and_b32_e32 v0, 7, v0
; %bb.1240:                             ;   in Loop: Header=BB329_11 Depth=1
	s_or_b32 exec_lo, exec_lo, s23
	v_mov_b32_e32 v2, 8
	v_lshl_add_u32 v1, v1, 10, 0x2000
	v_lshlrev_b32_e32 v0, 23, v0
	v_lshlrev_b32_sdwa v2, v2, v8 dst_sel:DWORD dst_unused:UNUSED_PAD src0_sel:DWORD src1_sel:WORD_0
	v_and_or_b32 v1, 0x8000, v2, v1
	v_lshl_or_b32 v119, v1, 16, v0
.LBB329_1241:                           ;   in Loop: Header=BB329_11 Depth=1
	s_or_b32 exec_lo, exec_lo, s22
.LBB329_1242:                           ;   in Loop: Header=BB329_11 Depth=1
	s_or_b32 exec_lo, exec_lo, s21
.LBB329_1243:                           ;   in Loop: Header=BB329_11 Depth=1
	s_or_b32 exec_lo, exec_lo, s20
	v_lshrrev_b32_e32 v8, 16, v32
	v_cmp_ne_u16_sdwa s5, v8, v9 src0_sel:BYTE_0 src1_sel:DWORD
	s_and_saveexec_b32 s20, s5
	s_cbranch_execz .LBB329_1251
; %bb.1244:                             ;   in Loop: Header=BB329_11 Depth=1
	v_cmp_ne_u16_sdwa s5, v8, v124 src0_sel:BYTE_0 src1_sel:DWORD
	v_mov_b32_e32 v0, 0x8000
	buffer_store_dword v0, off, s[0:3], s32 offset:712 ; 4-byte Folded Spill
	s_and_saveexec_b32 s21, s5
	s_cbranch_execz .LBB329_1250
; %bb.1245:                             ;   in Loop: Header=BB329_11 Depth=1
	v_bfe_u32 v2, v32, 16, 7
	v_mov_b32_e32 v0, 0x7c01
	s_mov_b32 s22, exec_lo
	buffer_store_dword v0, off, s[0:3], s32 offset:712 ; 4-byte Folded Spill
	v_cmpx_ne_u32_e32 0x7f, v2
	s_cbranch_execz .LBB329_1249
; %bb.1246:                             ;   in Loop: Header=BB329_11 Depth=1
	v_and_b32_e32 v0, 7, v8
	v_lshrrev_b32_e32 v1, 3, v2
	s_mov_b32 s23, exec_lo
	v_cmpx_gt_u32_e32 8, v2
; %bb.1247:                             ;   in Loop: Header=BB329_11 Depth=1
	v_ffbh_u32_e32 v0, v0
	v_min_u32_e32 v2, 32, v0
	v_subrev_nc_u32_e32 v0, 28, v2
	v_lshlrev_b64 v[0:1], v0, v[8:9]
	v_sub_nc_u32_e32 v1, 29, v2
	v_and_b32_e32 v0, 7, v0
; %bb.1248:                             ;   in Loop: Header=BB329_11 Depth=1
	s_or_b32 exec_lo, exec_lo, s23
	v_lshlrev_b32_e32 v2, 8, v8
	v_lshl_add_u32 v1, v1, 10, 0x2000
	v_lshlrev_b32_e32 v0, 7, v0
	v_and_b32_e32 v2, 0x8000, v2
	v_and_b32_e32 v1, 0xfc00, v1
	v_or3_b32 v0, v2, v1, v0
	buffer_store_dword v0, off, s[0:3], s32 offset:712 ; 4-byte Folded Spill
.LBB329_1249:                           ;   in Loop: Header=BB329_11 Depth=1
	s_or_b32 exec_lo, exec_lo, s22
.LBB329_1250:                           ;   in Loop: Header=BB329_11 Depth=1
	s_or_b32 exec_lo, exec_lo, s21
.LBB329_1251:                           ;   in Loop: Header=BB329_11 Depth=1
	s_or_b32 exec_lo, exec_lo, s20
	v_mov_b32_e32 v0, 0
	v_mov_b32_e32 v45, 0
	s_mov_b32 s20, exec_lo
	buffer_store_dword v0, off, s[0:3], s32 offset:716 ; 4-byte Folded Spill
	v_cmpx_lt_u32_e32 0xffffff, v32
	s_cbranch_execz .LBB329_1259
; %bb.1252:                             ;   in Loop: Header=BB329_11 Depth=1
	v_lshrrev_b32_e32 v8, 24, v32
	v_bfrev_b32_e32 v45, 1
	s_mov_b32 s21, exec_lo
	v_cmpx_ne_u32_e32 0x80, v8
	s_cbranch_execz .LBB329_1258
; %bb.1253:                             ;   in Loop: Header=BB329_11 Depth=1
	v_and_b32_e32 v2, 0x7f, v8
	v_mov_b32_e32 v45, 0x7c010000
	s_mov_b32 s22, exec_lo
	v_cmpx_ne_u32_e32 0x7f, v2
	s_cbranch_execz .LBB329_1257
; %bb.1254:                             ;   in Loop: Header=BB329_11 Depth=1
	v_and_b32_e32 v0, 7, v8
	v_lshrrev_b32_e32 v1, 3, v2
	s_mov_b32 s23, exec_lo
	v_cmpx_gt_u32_e32 8, v2
; %bb.1255:                             ;   in Loop: Header=BB329_11 Depth=1
	v_ffbh_u32_e32 v0, v0
	v_min_u32_e32 v2, 32, v0
	v_subrev_nc_u32_e32 v0, 28, v2
	v_lshlrev_b64 v[0:1], v0, v[8:9]
	v_sub_nc_u32_e32 v1, 29, v2
	v_and_b32_e32 v0, 7, v0
; %bb.1256:                             ;   in Loop: Header=BB329_11 Depth=1
	s_or_b32 exec_lo, exec_lo, s23
	v_lshlrev_b32_e32 v2, 8, v8
	v_lshl_add_u32 v1, v1, 10, 0x2000
	v_lshlrev_b32_e32 v0, 23, v0
	v_and_or_b32 v1, 0x8000, v2, v1
	v_lshl_or_b32 v45, v1, 16, v0
.LBB329_1257:                           ;   in Loop: Header=BB329_11 Depth=1
	s_or_b32 exec_lo, exec_lo, s22
.LBB329_1258:                           ;   in Loop: Header=BB329_11 Depth=1
	s_or_b32 exec_lo, exec_lo, s21
.LBB329_1259:                           ;   in Loop: Header=BB329_11 Depth=1
	s_or_b32 exec_lo, exec_lo, s20
	v_mov_b32_e32 v8, v33
	v_cmp_ne_u16_sdwa s5, v33, v9 src0_sel:BYTE_0 src1_sel:DWORD
	s_and_saveexec_b32 s20, s5
	s_cbranch_execz .LBB329_1267
; %bb.1260:                             ;   in Loop: Header=BB329_11 Depth=1
	v_cmp_ne_u16_sdwa s5, v33, v124 src0_sel:BYTE_0 src1_sel:DWORD
	v_mov_b32_e32 v0, 0x8000
	buffer_store_dword v0, off, s[0:3], s32 offset:716 ; 4-byte Folded Spill
	s_and_saveexec_b32 s21, s5
	s_cbranch_execz .LBB329_1266
; %bb.1261:                             ;   in Loop: Header=BB329_11 Depth=1
	v_and_b32_e32 v2, 0x7f, v33
	v_mov_b32_e32 v0, 0x7c01
	s_mov_b32 s22, exec_lo
	buffer_store_dword v0, off, s[0:3], s32 offset:716 ; 4-byte Folded Spill
	v_cmpx_ne_u32_e32 0x7f, v2
	s_cbranch_execz .LBB329_1265
; %bb.1262:                             ;   in Loop: Header=BB329_11 Depth=1
	v_and_b32_e32 v0, 7, v33
	v_lshrrev_b32_e32 v1, 3, v2
	s_mov_b32 s23, exec_lo
	v_cmpx_gt_u32_e32 8, v2
; %bb.1263:                             ;   in Loop: Header=BB329_11 Depth=1
	v_ffbh_u32_e32 v0, v0
	v_min_u32_e32 v2, 32, v0
	v_subrev_nc_u32_e32 v0, 28, v2
	v_lshlrev_b64 v[0:1], v0, v[8:9]
	v_sub_nc_u32_e32 v1, 29, v2
	v_and_b32_e32 v0, 7, v0
; %bb.1264:                             ;   in Loop: Header=BB329_11 Depth=1
	s_or_b32 exec_lo, exec_lo, s23
	v_lshlrev_b32_e32 v2, 8, v33
	v_lshl_add_u32 v1, v1, 10, 0x2000
	v_lshlrev_b32_e32 v0, 7, v0
	v_and_b32_e32 v2, 0x8000, v2
	v_and_b32_e32 v1, 0xfc00, v1
	v_or3_b32 v0, v2, v1, v0
	buffer_store_dword v0, off, s[0:3], s32 offset:716 ; 4-byte Folded Spill
.LBB329_1265:                           ;   in Loop: Header=BB329_11 Depth=1
	s_or_b32 exec_lo, exec_lo, s22
.LBB329_1266:                           ;   in Loop: Header=BB329_11 Depth=1
	s_or_b32 exec_lo, exec_lo, s21
.LBB329_1267:                           ;   in Loop: Header=BB329_11 Depth=1
	s_or_b32 exec_lo, exec_lo, s20
	v_lshrrev_b16 v8, 8, v8
	v_mov_b32_e32 v42, 0
	v_mov_b32_e32 v112, 0
	s_mov_b32 s20, exec_lo
	v_cmpx_ne_u16_e32 0, v8
	s_cbranch_execz .LBB329_1275
; %bb.1268:                             ;   in Loop: Header=BB329_11 Depth=1
	v_bfrev_b32_e32 v112, 1
	s_mov_b32 s21, exec_lo
	v_cmpx_ne_u16_e32 0x80, v8
	s_cbranch_execz .LBB329_1274
; %bb.1269:                             ;   in Loop: Header=BB329_11 Depth=1
	v_mov_b32_e32 v0, 0x7f
	v_mov_b32_e32 v112, 0x7c010000
	s_mov_b32 s22, exec_lo
	v_and_b32_sdwa v2, v8, v0 dst_sel:DWORD dst_unused:UNUSED_PAD src0_sel:WORD_0 src1_sel:DWORD
	v_cmpx_ne_u32_e32 0x7f, v2
	s_cbranch_execz .LBB329_1273
; %bb.1270:                             ;   in Loop: Header=BB329_11 Depth=1
	v_mov_b32_e32 v0, 7
	v_lshrrev_b32_e32 v1, 3, v2
	s_mov_b32 s23, exec_lo
	v_and_b32_sdwa v0, v8, v0 dst_sel:DWORD dst_unused:UNUSED_PAD src0_sel:WORD_0 src1_sel:DWORD
	v_cmpx_gt_u32_e32 8, v2
; %bb.1271:                             ;   in Loop: Header=BB329_11 Depth=1
	v_ffbh_u32_e32 v0, v0
	v_min_u32_e32 v2, 32, v0
	v_subrev_nc_u32_e32 v0, 28, v2
	v_lshlrev_b64 v[0:1], v0, v[8:9]
	v_sub_nc_u32_e32 v1, 29, v2
	v_and_b32_e32 v0, 7, v0
; %bb.1272:                             ;   in Loop: Header=BB329_11 Depth=1
	s_or_b32 exec_lo, exec_lo, s23
	v_mov_b32_e32 v2, 8
	v_lshl_add_u32 v1, v1, 10, 0x2000
	v_lshlrev_b32_e32 v0, 23, v0
	v_lshlrev_b32_sdwa v2, v2, v8 dst_sel:DWORD dst_unused:UNUSED_PAD src0_sel:DWORD src1_sel:WORD_0
	v_and_or_b32 v1, 0x8000, v2, v1
	v_lshl_or_b32 v112, v1, 16, v0
.LBB329_1273:                           ;   in Loop: Header=BB329_11 Depth=1
	s_or_b32 exec_lo, exec_lo, s22
.LBB329_1274:                           ;   in Loop: Header=BB329_11 Depth=1
	s_or_b32 exec_lo, exec_lo, s21
.LBB329_1275:                           ;   in Loop: Header=BB329_11 Depth=1
	s_or_b32 exec_lo, exec_lo, s20
	v_lshrrev_b32_e32 v8, 16, v33
	v_cmp_ne_u16_sdwa s5, v8, v9 src0_sel:BYTE_0 src1_sel:DWORD
	s_and_saveexec_b32 s20, s5
	s_cbranch_execz .LBB329_1283
; %bb.1276:                             ;   in Loop: Header=BB329_11 Depth=1
	v_cmp_ne_u16_sdwa s5, v8, v124 src0_sel:BYTE_0 src1_sel:DWORD
	v_mov_b32_e32 v42, 0x8000
	s_and_saveexec_b32 s21, s5
	s_cbranch_execz .LBB329_1282
; %bb.1277:                             ;   in Loop: Header=BB329_11 Depth=1
	v_bfe_u32 v2, v33, 16, 7
	v_mov_b32_e32 v42, 0x7c01
	s_mov_b32 s22, exec_lo
	v_cmpx_ne_u32_e32 0x7f, v2
	s_cbranch_execz .LBB329_1281
; %bb.1278:                             ;   in Loop: Header=BB329_11 Depth=1
	v_and_b32_e32 v0, 7, v8
	v_lshrrev_b32_e32 v1, 3, v2
	s_mov_b32 s23, exec_lo
	v_cmpx_gt_u32_e32 8, v2
; %bb.1279:                             ;   in Loop: Header=BB329_11 Depth=1
	v_ffbh_u32_e32 v0, v0
	v_min_u32_e32 v2, 32, v0
	v_subrev_nc_u32_e32 v0, 28, v2
	v_lshlrev_b64 v[0:1], v0, v[8:9]
	v_sub_nc_u32_e32 v1, 29, v2
	v_and_b32_e32 v0, 7, v0
; %bb.1280:                             ;   in Loop: Header=BB329_11 Depth=1
	s_or_b32 exec_lo, exec_lo, s23
	v_lshlrev_b32_e32 v2, 8, v8
	v_lshl_add_u32 v1, v1, 10, 0x2000
	v_lshlrev_b32_e32 v0, 7, v0
	v_and_b32_e32 v2, 0x8000, v2
	v_and_b32_e32 v1, 0xfc00, v1
	v_or3_b32 v42, v2, v1, v0
.LBB329_1281:                           ;   in Loop: Header=BB329_11 Depth=1
	s_or_b32 exec_lo, exec_lo, s22
.LBB329_1282:                           ;   in Loop: Header=BB329_11 Depth=1
	s_or_b32 exec_lo, exec_lo, s21
.LBB329_1283:                           ;   in Loop: Header=BB329_11 Depth=1
	s_or_b32 exec_lo, exec_lo, s20
	v_mov_b32_e32 v34, 0
	v_mov_b32_e32 v56, 0
	s_mov_b32 s20, exec_lo
	v_cmpx_lt_u64_e64 s[6:7], v[32:33]
	s_cbranch_execz .LBB329_1291
; %bb.1284:                             ;   in Loop: Header=BB329_11 Depth=1
	v_lshrrev_b32_e32 v8, 24, v33
	v_bfrev_b32_e32 v56, 1
	s_mov_b32 s21, exec_lo
	v_cmpx_ne_u32_e32 0x80, v8
	s_cbranch_execz .LBB329_1290
; %bb.1285:                             ;   in Loop: Header=BB329_11 Depth=1
	v_and_b32_e32 v2, 0x7f, v8
	v_mov_b32_e32 v56, 0x7c010000
	s_mov_b32 s22, exec_lo
	v_cmpx_ne_u32_e32 0x7f, v2
	s_cbranch_execz .LBB329_1289
; %bb.1286:                             ;   in Loop: Header=BB329_11 Depth=1
	v_and_b32_e32 v0, 7, v8
	v_lshrrev_b32_e32 v1, 3, v2
	s_mov_b32 s23, exec_lo
	v_cmpx_gt_u32_e32 8, v2
; %bb.1287:                             ;   in Loop: Header=BB329_11 Depth=1
	v_ffbh_u32_e32 v0, v0
	v_min_u32_e32 v2, 32, v0
	v_subrev_nc_u32_e32 v0, 28, v2
	v_lshlrev_b64 v[0:1], v0, v[8:9]
	v_sub_nc_u32_e32 v1, 29, v2
	v_and_b32_e32 v0, 7, v0
; %bb.1288:                             ;   in Loop: Header=BB329_11 Depth=1
	s_or_b32 exec_lo, exec_lo, s23
	v_lshlrev_b32_e32 v2, 8, v8
	v_lshl_add_u32 v1, v1, 10, 0x2000
	v_lshlrev_b32_e32 v0, 23, v0
	v_and_or_b32 v1, 0x8000, v2, v1
	v_lshl_or_b32 v56, v1, 16, v0
.LBB329_1289:                           ;   in Loop: Header=BB329_11 Depth=1
	s_or_b32 exec_lo, exec_lo, s22
.LBB329_1290:                           ;   in Loop: Header=BB329_11 Depth=1
	s_or_b32 exec_lo, exec_lo, s21
.LBB329_1291:                           ;   in Loop: Header=BB329_11 Depth=1
	s_or_b32 exec_lo, exec_lo, s20
	flat_load_dwordx2 v[32:33], v[30:31] offset:1024
	s_waitcnt vmcnt(0) lgkmcnt(0)
	v_cmp_ne_u16_sdwa s5, v32, v9 src0_sel:BYTE_0 src1_sel:DWORD
	s_and_saveexec_b32 s20, s5
	s_cbranch_execz .LBB329_1299
; %bb.1292:                             ;   in Loop: Header=BB329_11 Depth=1
	v_cmp_ne_u16_sdwa s5, v32, v124 src0_sel:BYTE_0 src1_sel:DWORD
	v_mov_b32_e32 v34, 0x8000
	s_and_saveexec_b32 s21, s5
	s_cbranch_execz .LBB329_1298
; %bb.1293:                             ;   in Loop: Header=BB329_11 Depth=1
	v_and_b32_e32 v2, 0x7f, v32
	v_mov_b32_e32 v34, 0x7c01
	s_mov_b32 s22, exec_lo
	v_cmpx_ne_u32_e32 0x7f, v2
	s_cbranch_execz .LBB329_1297
; %bb.1294:                             ;   in Loop: Header=BB329_11 Depth=1
	v_and_b32_e32 v0, 7, v32
	v_lshrrev_b32_e32 v1, 3, v2
	s_mov_b32 s23, exec_lo
	v_cmpx_gt_u32_e32 8, v2
; %bb.1295:                             ;   in Loop: Header=BB329_11 Depth=1
	v_ffbh_u32_e32 v0, v0
	v_min_u32_e32 v2, 32, v0
	v_subrev_nc_u32_e32 v0, 28, v2
	v_lshlrev_b64 v[0:1], v0, v[32:33]
	v_sub_nc_u32_e32 v1, 29, v2
	v_and_b32_e32 v0, 7, v0
; %bb.1296:                             ;   in Loop: Header=BB329_11 Depth=1
	s_or_b32 exec_lo, exec_lo, s23
	v_lshlrev_b32_e32 v2, 8, v32
	v_lshl_add_u32 v1, v1, 10, 0x2000
	v_lshlrev_b32_e32 v0, 7, v0
	v_and_b32_e32 v2, 0x8000, v2
	v_and_b32_e32 v1, 0xfc00, v1
	v_or3_b32 v34, v2, v1, v0
.LBB329_1297:                           ;   in Loop: Header=BB329_11 Depth=1
	s_or_b32 exec_lo, exec_lo, s22
.LBB329_1298:                           ;   in Loop: Header=BB329_11 Depth=1
	s_or_b32 exec_lo, exec_lo, s21
.LBB329_1299:                           ;   in Loop: Header=BB329_11 Depth=1
	s_or_b32 exec_lo, exec_lo, s20
	v_lshrrev_b16 v8, 8, v32
	v_mov_b32_e32 v53, 0
	v_mov_b32_e32 v43, 0
	s_mov_b32 s20, exec_lo
	v_cmpx_ne_u16_e32 0, v8
	s_cbranch_execz .LBB329_1307
; %bb.1300:                             ;   in Loop: Header=BB329_11 Depth=1
	v_bfrev_b32_e32 v43, 1
	s_mov_b32 s21, exec_lo
	v_cmpx_ne_u16_e32 0x80, v8
	s_cbranch_execz .LBB329_1306
; %bb.1301:                             ;   in Loop: Header=BB329_11 Depth=1
	v_mov_b32_e32 v0, 0x7f
	v_mov_b32_e32 v43, 0x7c010000
	s_mov_b32 s22, exec_lo
	v_and_b32_sdwa v2, v8, v0 dst_sel:DWORD dst_unused:UNUSED_PAD src0_sel:WORD_0 src1_sel:DWORD
	v_cmpx_ne_u32_e32 0x7f, v2
	s_cbranch_execz .LBB329_1305
; %bb.1302:                             ;   in Loop: Header=BB329_11 Depth=1
	v_mov_b32_e32 v0, 7
	v_lshrrev_b32_e32 v1, 3, v2
	s_mov_b32 s23, exec_lo
	v_and_b32_sdwa v0, v8, v0 dst_sel:DWORD dst_unused:UNUSED_PAD src0_sel:WORD_0 src1_sel:DWORD
	v_cmpx_gt_u32_e32 8, v2
; %bb.1303:                             ;   in Loop: Header=BB329_11 Depth=1
	v_ffbh_u32_e32 v0, v0
	v_min_u32_e32 v2, 32, v0
	v_subrev_nc_u32_e32 v0, 28, v2
	v_lshlrev_b64 v[0:1], v0, v[8:9]
	v_sub_nc_u32_e32 v1, 29, v2
	v_and_b32_e32 v0, 7, v0
; %bb.1304:                             ;   in Loop: Header=BB329_11 Depth=1
	s_or_b32 exec_lo, exec_lo, s23
	v_mov_b32_e32 v2, 8
	v_lshl_add_u32 v1, v1, 10, 0x2000
	v_lshlrev_b32_e32 v0, 23, v0
	v_lshlrev_b32_sdwa v2, v2, v8 dst_sel:DWORD dst_unused:UNUSED_PAD src0_sel:DWORD src1_sel:WORD_0
	v_and_or_b32 v1, 0x8000, v2, v1
	v_lshl_or_b32 v43, v1, 16, v0
.LBB329_1305:                           ;   in Loop: Header=BB329_11 Depth=1
	s_or_b32 exec_lo, exec_lo, s22
.LBB329_1306:                           ;   in Loop: Header=BB329_11 Depth=1
	s_or_b32 exec_lo, exec_lo, s21
.LBB329_1307:                           ;   in Loop: Header=BB329_11 Depth=1
	s_or_b32 exec_lo, exec_lo, s20
	v_lshrrev_b32_e32 v8, 16, v32
	v_cmp_ne_u16_sdwa s5, v8, v9 src0_sel:BYTE_0 src1_sel:DWORD
	s_and_saveexec_b32 s20, s5
	s_cbranch_execz .LBB329_1315
; %bb.1308:                             ;   in Loop: Header=BB329_11 Depth=1
	v_cmp_ne_u16_sdwa s5, v8, v124 src0_sel:BYTE_0 src1_sel:DWORD
	v_mov_b32_e32 v53, 0x8000
	s_and_saveexec_b32 s21, s5
	s_cbranch_execz .LBB329_1314
; %bb.1309:                             ;   in Loop: Header=BB329_11 Depth=1
	v_bfe_u32 v2, v32, 16, 7
	v_mov_b32_e32 v53, 0x7c01
	s_mov_b32 s22, exec_lo
	v_cmpx_ne_u32_e32 0x7f, v2
	s_cbranch_execz .LBB329_1313
; %bb.1310:                             ;   in Loop: Header=BB329_11 Depth=1
	v_and_b32_e32 v0, 7, v8
	v_lshrrev_b32_e32 v1, 3, v2
	s_mov_b32 s23, exec_lo
	v_cmpx_gt_u32_e32 8, v2
; %bb.1311:                             ;   in Loop: Header=BB329_11 Depth=1
	v_ffbh_u32_e32 v0, v0
	v_min_u32_e32 v2, 32, v0
	v_subrev_nc_u32_e32 v0, 28, v2
	v_lshlrev_b64 v[0:1], v0, v[8:9]
	v_sub_nc_u32_e32 v1, 29, v2
	v_and_b32_e32 v0, 7, v0
; %bb.1312:                             ;   in Loop: Header=BB329_11 Depth=1
	s_or_b32 exec_lo, exec_lo, s23
	v_lshlrev_b32_e32 v2, 8, v8
	v_lshl_add_u32 v1, v1, 10, 0x2000
	v_lshlrev_b32_e32 v0, 7, v0
	v_and_b32_e32 v2, 0x8000, v2
	v_and_b32_e32 v1, 0xfc00, v1
	v_or3_b32 v53, v2, v1, v0
.LBB329_1313:                           ;   in Loop: Header=BB329_11 Depth=1
	s_or_b32 exec_lo, exec_lo, s22
.LBB329_1314:                           ;   in Loop: Header=BB329_11 Depth=1
	s_or_b32 exec_lo, exec_lo, s21
.LBB329_1315:                           ;   in Loop: Header=BB329_11 Depth=1
	s_or_b32 exec_lo, exec_lo, s20
	v_mov_b32_e32 v62, 0
	v_mov_b32_e32 v96, 0
	s_mov_b32 s20, exec_lo
	v_cmpx_lt_u32_e32 0xffffff, v32
	s_cbranch_execz .LBB329_1323
; %bb.1316:                             ;   in Loop: Header=BB329_11 Depth=1
	v_lshrrev_b32_e32 v8, 24, v32
	v_bfrev_b32_e32 v96, 1
	s_mov_b32 s21, exec_lo
	v_cmpx_ne_u32_e32 0x80, v8
	s_cbranch_execz .LBB329_1322
; %bb.1317:                             ;   in Loop: Header=BB329_11 Depth=1
	v_and_b32_e32 v2, 0x7f, v8
	v_mov_b32_e32 v96, 0x7c010000
	s_mov_b32 s22, exec_lo
	v_cmpx_ne_u32_e32 0x7f, v2
	s_cbranch_execz .LBB329_1321
; %bb.1318:                             ;   in Loop: Header=BB329_11 Depth=1
	v_and_b32_e32 v0, 7, v8
	v_lshrrev_b32_e32 v1, 3, v2
	s_mov_b32 s23, exec_lo
	v_cmpx_gt_u32_e32 8, v2
; %bb.1319:                             ;   in Loop: Header=BB329_11 Depth=1
	v_ffbh_u32_e32 v0, v0
	v_min_u32_e32 v2, 32, v0
	v_subrev_nc_u32_e32 v0, 28, v2
	v_lshlrev_b64 v[0:1], v0, v[8:9]
	v_sub_nc_u32_e32 v1, 29, v2
	v_and_b32_e32 v0, 7, v0
; %bb.1320:                             ;   in Loop: Header=BB329_11 Depth=1
	s_or_b32 exec_lo, exec_lo, s23
	v_lshlrev_b32_e32 v2, 8, v8
	v_lshl_add_u32 v1, v1, 10, 0x2000
	v_lshlrev_b32_e32 v0, 23, v0
	v_and_or_b32 v1, 0x8000, v2, v1
	v_lshl_or_b32 v96, v1, 16, v0
.LBB329_1321:                           ;   in Loop: Header=BB329_11 Depth=1
	s_or_b32 exec_lo, exec_lo, s22
.LBB329_1322:                           ;   in Loop: Header=BB329_11 Depth=1
	s_or_b32 exec_lo, exec_lo, s21
.LBB329_1323:                           ;   in Loop: Header=BB329_11 Depth=1
	s_or_b32 exec_lo, exec_lo, s20
	v_mov_b32_e32 v8, v33
	v_cmp_ne_u16_sdwa s5, v33, v9 src0_sel:BYTE_0 src1_sel:DWORD
	s_and_saveexec_b32 s20, s5
	s_cbranch_execz .LBB329_1331
; %bb.1324:                             ;   in Loop: Header=BB329_11 Depth=1
	v_cmp_ne_u16_sdwa s5, v33, v124 src0_sel:BYTE_0 src1_sel:DWORD
	v_mov_b32_e32 v62, 0x8000
	s_and_saveexec_b32 s21, s5
	s_cbranch_execz .LBB329_1330
; %bb.1325:                             ;   in Loop: Header=BB329_11 Depth=1
	v_and_b32_e32 v2, 0x7f, v33
	v_mov_b32_e32 v62, 0x7c01
	s_mov_b32 s22, exec_lo
	v_cmpx_ne_u32_e32 0x7f, v2
	s_cbranch_execz .LBB329_1329
; %bb.1326:                             ;   in Loop: Header=BB329_11 Depth=1
	v_and_b32_e32 v0, 7, v33
	v_lshrrev_b32_e32 v1, 3, v2
	s_mov_b32 s23, exec_lo
	v_cmpx_gt_u32_e32 8, v2
; %bb.1327:                             ;   in Loop: Header=BB329_11 Depth=1
	v_ffbh_u32_e32 v0, v0
	v_min_u32_e32 v2, 32, v0
	v_subrev_nc_u32_e32 v0, 28, v2
	v_lshlrev_b64 v[0:1], v0, v[8:9]
	v_sub_nc_u32_e32 v1, 29, v2
	v_and_b32_e32 v0, 7, v0
; %bb.1328:                             ;   in Loop: Header=BB329_11 Depth=1
	s_or_b32 exec_lo, exec_lo, s23
	v_lshlrev_b32_e32 v2, 8, v33
	v_lshl_add_u32 v1, v1, 10, 0x2000
	v_lshlrev_b32_e32 v0, 7, v0
	v_and_b32_e32 v2, 0x8000, v2
	v_and_b32_e32 v1, 0xfc00, v1
	v_or3_b32 v62, v2, v1, v0
.LBB329_1329:                           ;   in Loop: Header=BB329_11 Depth=1
	s_or_b32 exec_lo, exec_lo, s22
.LBB329_1330:                           ;   in Loop: Header=BB329_11 Depth=1
	s_or_b32 exec_lo, exec_lo, s21
.LBB329_1331:                           ;   in Loop: Header=BB329_11 Depth=1
	s_or_b32 exec_lo, exec_lo, s20
	v_lshrrev_b16 v8, 8, v8
	v_mov_b32_e32 v27, 0
	v_mov_b32_e32 v38, 0
	s_mov_b32 s20, exec_lo
	v_cmpx_ne_u16_e32 0, v8
	s_cbranch_execz .LBB329_1339
; %bb.1332:                             ;   in Loop: Header=BB329_11 Depth=1
	v_bfrev_b32_e32 v38, 1
	s_mov_b32 s21, exec_lo
	v_cmpx_ne_u16_e32 0x80, v8
	s_cbranch_execz .LBB329_1338
; %bb.1333:                             ;   in Loop: Header=BB329_11 Depth=1
	v_mov_b32_e32 v0, 0x7f
	v_mov_b32_e32 v38, 0x7c010000
	s_mov_b32 s22, exec_lo
	v_and_b32_sdwa v2, v8, v0 dst_sel:DWORD dst_unused:UNUSED_PAD src0_sel:WORD_0 src1_sel:DWORD
	v_cmpx_ne_u32_e32 0x7f, v2
	s_cbranch_execz .LBB329_1337
; %bb.1334:                             ;   in Loop: Header=BB329_11 Depth=1
	v_mov_b32_e32 v0, 7
	v_lshrrev_b32_e32 v1, 3, v2
	s_mov_b32 s23, exec_lo
	v_and_b32_sdwa v0, v8, v0 dst_sel:DWORD dst_unused:UNUSED_PAD src0_sel:WORD_0 src1_sel:DWORD
	v_cmpx_gt_u32_e32 8, v2
; %bb.1335:                             ;   in Loop: Header=BB329_11 Depth=1
	v_ffbh_u32_e32 v0, v0
	v_min_u32_e32 v2, 32, v0
	v_subrev_nc_u32_e32 v0, 28, v2
	v_lshlrev_b64 v[0:1], v0, v[8:9]
	v_sub_nc_u32_e32 v1, 29, v2
	v_and_b32_e32 v0, 7, v0
; %bb.1336:                             ;   in Loop: Header=BB329_11 Depth=1
	s_or_b32 exec_lo, exec_lo, s23
	v_mov_b32_e32 v2, 8
	v_lshl_add_u32 v1, v1, 10, 0x2000
	v_lshlrev_b32_e32 v0, 23, v0
	v_lshlrev_b32_sdwa v2, v2, v8 dst_sel:DWORD dst_unused:UNUSED_PAD src0_sel:DWORD src1_sel:WORD_0
	v_and_or_b32 v1, 0x8000, v2, v1
	v_lshl_or_b32 v38, v1, 16, v0
.LBB329_1337:                           ;   in Loop: Header=BB329_11 Depth=1
	s_or_b32 exec_lo, exec_lo, s22
.LBB329_1338:                           ;   in Loop: Header=BB329_11 Depth=1
	s_or_b32 exec_lo, exec_lo, s21
.LBB329_1339:                           ;   in Loop: Header=BB329_11 Depth=1
	s_or_b32 exec_lo, exec_lo, s20
	v_lshrrev_b32_e32 v8, 16, v33
	v_cmp_ne_u16_sdwa s5, v8, v9 src0_sel:BYTE_0 src1_sel:DWORD
	s_and_saveexec_b32 s20, s5
	s_cbranch_execz .LBB329_1347
; %bb.1340:                             ;   in Loop: Header=BB329_11 Depth=1
	v_cmp_ne_u16_sdwa s5, v8, v124 src0_sel:BYTE_0 src1_sel:DWORD
	v_mov_b32_e32 v27, 0x8000
	s_and_saveexec_b32 s21, s5
	s_cbranch_execz .LBB329_1346
; %bb.1341:                             ;   in Loop: Header=BB329_11 Depth=1
	v_bfe_u32 v2, v33, 16, 7
	v_mov_b32_e32 v27, 0x7c01
	s_mov_b32 s22, exec_lo
	v_cmpx_ne_u32_e32 0x7f, v2
	s_cbranch_execz .LBB329_1345
; %bb.1342:                             ;   in Loop: Header=BB329_11 Depth=1
	v_and_b32_e32 v0, 7, v8
	v_lshrrev_b32_e32 v1, 3, v2
	s_mov_b32 s23, exec_lo
	v_cmpx_gt_u32_e32 8, v2
; %bb.1343:                             ;   in Loop: Header=BB329_11 Depth=1
	v_ffbh_u32_e32 v0, v0
	v_min_u32_e32 v2, 32, v0
	v_subrev_nc_u32_e32 v0, 28, v2
	v_lshlrev_b64 v[0:1], v0, v[8:9]
	v_sub_nc_u32_e32 v1, 29, v2
	v_and_b32_e32 v0, 7, v0
; %bb.1344:                             ;   in Loop: Header=BB329_11 Depth=1
	s_or_b32 exec_lo, exec_lo, s23
	v_lshlrev_b32_e32 v2, 8, v8
	v_lshl_add_u32 v1, v1, 10, 0x2000
	v_lshlrev_b32_e32 v0, 7, v0
	v_and_b32_e32 v2, 0x8000, v2
	v_and_b32_e32 v1, 0xfc00, v1
	v_or3_b32 v27, v2, v1, v0
.LBB329_1345:                           ;   in Loop: Header=BB329_11 Depth=1
	s_or_b32 exec_lo, exec_lo, s22
.LBB329_1346:                           ;   in Loop: Header=BB329_11 Depth=1
	s_or_b32 exec_lo, exec_lo, s21
.LBB329_1347:                           ;   in Loop: Header=BB329_11 Depth=1
	s_or_b32 exec_lo, exec_lo, s20
	v_mov_b32_e32 v36, 0
	v_mov_b32_e32 v76, 0
	s_mov_b32 s20, exec_lo
	v_cmpx_lt_u64_e64 s[6:7], v[32:33]
	s_cbranch_execz .LBB329_1355
; %bb.1348:                             ;   in Loop: Header=BB329_11 Depth=1
	v_lshrrev_b32_e32 v8, 24, v33
	v_bfrev_b32_e32 v76, 1
	s_mov_b32 s21, exec_lo
	v_cmpx_ne_u32_e32 0x80, v8
	s_cbranch_execz .LBB329_1354
; %bb.1349:                             ;   in Loop: Header=BB329_11 Depth=1
	v_and_b32_e32 v2, 0x7f, v8
	v_mov_b32_e32 v76, 0x7c010000
	s_mov_b32 s22, exec_lo
	v_cmpx_ne_u32_e32 0x7f, v2
	s_cbranch_execz .LBB329_1353
; %bb.1350:                             ;   in Loop: Header=BB329_11 Depth=1
	v_and_b32_e32 v0, 7, v8
	v_lshrrev_b32_e32 v1, 3, v2
	s_mov_b32 s23, exec_lo
	v_cmpx_gt_u32_e32 8, v2
; %bb.1351:                             ;   in Loop: Header=BB329_11 Depth=1
	v_ffbh_u32_e32 v0, v0
	v_min_u32_e32 v2, 32, v0
	v_subrev_nc_u32_e32 v0, 28, v2
	v_lshlrev_b64 v[0:1], v0, v[8:9]
	v_sub_nc_u32_e32 v1, 29, v2
	v_and_b32_e32 v0, 7, v0
; %bb.1352:                             ;   in Loop: Header=BB329_11 Depth=1
	s_or_b32 exec_lo, exec_lo, s23
	v_lshlrev_b32_e32 v2, 8, v8
	v_lshl_add_u32 v1, v1, 10, 0x2000
	v_lshlrev_b32_e32 v0, 23, v0
	v_and_or_b32 v1, 0x8000, v2, v1
	v_lshl_or_b32 v76, v1, 16, v0
.LBB329_1353:                           ;   in Loop: Header=BB329_11 Depth=1
	s_or_b32 exec_lo, exec_lo, s22
.LBB329_1354:                           ;   in Loop: Header=BB329_11 Depth=1
	s_or_b32 exec_lo, exec_lo, s21
.LBB329_1355:                           ;   in Loop: Header=BB329_11 Depth=1
	s_or_b32 exec_lo, exec_lo, s20
	flat_load_dwordx2 v[32:33], v[30:31] offset:1032
	s_waitcnt vmcnt(0) lgkmcnt(0)
	v_cmp_ne_u16_sdwa s5, v32, v9 src0_sel:BYTE_0 src1_sel:DWORD
	s_and_saveexec_b32 s20, s5
	s_cbranch_execz .LBB329_1363
; %bb.1356:                             ;   in Loop: Header=BB329_11 Depth=1
	v_cmp_ne_u16_sdwa s5, v32, v124 src0_sel:BYTE_0 src1_sel:DWORD
	v_mov_b32_e32 v36, 0x8000
	s_and_saveexec_b32 s21, s5
	s_cbranch_execz .LBB329_1362
; %bb.1357:                             ;   in Loop: Header=BB329_11 Depth=1
	v_and_b32_e32 v2, 0x7f, v32
	v_mov_b32_e32 v36, 0x7c01
	s_mov_b32 s22, exec_lo
	v_cmpx_ne_u32_e32 0x7f, v2
	s_cbranch_execz .LBB329_1361
; %bb.1358:                             ;   in Loop: Header=BB329_11 Depth=1
	v_and_b32_e32 v0, 7, v32
	v_lshrrev_b32_e32 v1, 3, v2
	s_mov_b32 s23, exec_lo
	v_cmpx_gt_u32_e32 8, v2
; %bb.1359:                             ;   in Loop: Header=BB329_11 Depth=1
	v_ffbh_u32_e32 v0, v0
	v_min_u32_e32 v2, 32, v0
	v_subrev_nc_u32_e32 v0, 28, v2
	v_lshlrev_b64 v[0:1], v0, v[32:33]
	v_sub_nc_u32_e32 v1, 29, v2
	v_and_b32_e32 v0, 7, v0
; %bb.1360:                             ;   in Loop: Header=BB329_11 Depth=1
	s_or_b32 exec_lo, exec_lo, s23
	v_lshlrev_b32_e32 v2, 8, v32
	v_lshl_add_u32 v1, v1, 10, 0x2000
	v_lshlrev_b32_e32 v0, 7, v0
	v_and_b32_e32 v2, 0x8000, v2
	v_and_b32_e32 v1, 0xfc00, v1
	v_or3_b32 v36, v2, v1, v0
.LBB329_1361:                           ;   in Loop: Header=BB329_11 Depth=1
	s_or_b32 exec_lo, exec_lo, s22
.LBB329_1362:                           ;   in Loop: Header=BB329_11 Depth=1
	s_or_b32 exec_lo, exec_lo, s21
.LBB329_1363:                           ;   in Loop: Header=BB329_11 Depth=1
	s_or_b32 exec_lo, exec_lo, s20
	v_lshrrev_b16 v8, 8, v32
	v_mov_b32_e32 v87, 0
	v_mov_b32_e32 v37, 0
	s_mov_b32 s20, exec_lo
	v_cmpx_ne_u16_e32 0, v8
	s_cbranch_execz .LBB329_1371
; %bb.1364:                             ;   in Loop: Header=BB329_11 Depth=1
	v_bfrev_b32_e32 v37, 1
	s_mov_b32 s21, exec_lo
	v_cmpx_ne_u16_e32 0x80, v8
	s_cbranch_execz .LBB329_1370
; %bb.1365:                             ;   in Loop: Header=BB329_11 Depth=1
	v_mov_b32_e32 v0, 0x7f
	v_mov_b32_e32 v37, 0x7c010000
	s_mov_b32 s22, exec_lo
	v_and_b32_sdwa v2, v8, v0 dst_sel:DWORD dst_unused:UNUSED_PAD src0_sel:WORD_0 src1_sel:DWORD
	v_cmpx_ne_u32_e32 0x7f, v2
	s_cbranch_execz .LBB329_1369
; %bb.1366:                             ;   in Loop: Header=BB329_11 Depth=1
	v_mov_b32_e32 v0, 7
	v_lshrrev_b32_e32 v1, 3, v2
	s_mov_b32 s23, exec_lo
	v_and_b32_sdwa v0, v8, v0 dst_sel:DWORD dst_unused:UNUSED_PAD src0_sel:WORD_0 src1_sel:DWORD
	v_cmpx_gt_u32_e32 8, v2
; %bb.1367:                             ;   in Loop: Header=BB329_11 Depth=1
	v_ffbh_u32_e32 v0, v0
	v_min_u32_e32 v2, 32, v0
	v_subrev_nc_u32_e32 v0, 28, v2
	v_lshlrev_b64 v[0:1], v0, v[8:9]
	v_sub_nc_u32_e32 v1, 29, v2
	v_and_b32_e32 v0, 7, v0
; %bb.1368:                             ;   in Loop: Header=BB329_11 Depth=1
	s_or_b32 exec_lo, exec_lo, s23
	v_mov_b32_e32 v2, 8
	v_lshl_add_u32 v1, v1, 10, 0x2000
	v_lshlrev_b32_e32 v0, 23, v0
	v_lshlrev_b32_sdwa v2, v2, v8 dst_sel:DWORD dst_unused:UNUSED_PAD src0_sel:DWORD src1_sel:WORD_0
	v_and_or_b32 v1, 0x8000, v2, v1
	v_lshl_or_b32 v37, v1, 16, v0
.LBB329_1369:                           ;   in Loop: Header=BB329_11 Depth=1
	s_or_b32 exec_lo, exec_lo, s22
.LBB329_1370:                           ;   in Loop: Header=BB329_11 Depth=1
	s_or_b32 exec_lo, exec_lo, s21
.LBB329_1371:                           ;   in Loop: Header=BB329_11 Depth=1
	s_or_b32 exec_lo, exec_lo, s20
	v_lshrrev_b32_e32 v8, 16, v32
	v_cmp_ne_u16_sdwa s5, v8, v9 src0_sel:BYTE_0 src1_sel:DWORD
	s_and_saveexec_b32 s20, s5
	s_cbranch_execz .LBB329_1379
; %bb.1372:                             ;   in Loop: Header=BB329_11 Depth=1
	v_cmp_ne_u16_sdwa s5, v8, v124 src0_sel:BYTE_0 src1_sel:DWORD
	v_mov_b32_e32 v87, 0x8000
	s_and_saveexec_b32 s21, s5
	s_cbranch_execz .LBB329_1378
; %bb.1373:                             ;   in Loop: Header=BB329_11 Depth=1
	v_bfe_u32 v2, v32, 16, 7
	v_mov_b32_e32 v87, 0x7c01
	s_mov_b32 s22, exec_lo
	v_cmpx_ne_u32_e32 0x7f, v2
	s_cbranch_execz .LBB329_1377
; %bb.1374:                             ;   in Loop: Header=BB329_11 Depth=1
	v_and_b32_e32 v0, 7, v8
	v_lshrrev_b32_e32 v1, 3, v2
	s_mov_b32 s23, exec_lo
	v_cmpx_gt_u32_e32 8, v2
; %bb.1375:                             ;   in Loop: Header=BB329_11 Depth=1
	v_ffbh_u32_e32 v0, v0
	v_min_u32_e32 v2, 32, v0
	v_subrev_nc_u32_e32 v0, 28, v2
	v_lshlrev_b64 v[0:1], v0, v[8:9]
	v_sub_nc_u32_e32 v1, 29, v2
	v_and_b32_e32 v0, 7, v0
; %bb.1376:                             ;   in Loop: Header=BB329_11 Depth=1
	s_or_b32 exec_lo, exec_lo, s23
	v_lshlrev_b32_e32 v2, 8, v8
	v_lshl_add_u32 v1, v1, 10, 0x2000
	v_lshlrev_b32_e32 v0, 7, v0
	v_and_b32_e32 v2, 0x8000, v2
	v_and_b32_e32 v1, 0xfc00, v1
	v_or3_b32 v87, v2, v1, v0
.LBB329_1377:                           ;   in Loop: Header=BB329_11 Depth=1
	s_or_b32 exec_lo, exec_lo, s22
.LBB329_1378:                           ;   in Loop: Header=BB329_11 Depth=1
	s_or_b32 exec_lo, exec_lo, s21
.LBB329_1379:                           ;   in Loop: Header=BB329_11 Depth=1
	s_or_b32 exec_lo, exec_lo, s20
	v_mov_b32_e32 v114, 0
	v_mov_b32_e32 v115, 0
	s_mov_b32 s20, exec_lo
	v_cmpx_lt_u32_e32 0xffffff, v32
	s_cbranch_execz .LBB329_1387
; %bb.1380:                             ;   in Loop: Header=BB329_11 Depth=1
	v_lshrrev_b32_e32 v8, 24, v32
	v_bfrev_b32_e32 v115, 1
	s_mov_b32 s21, exec_lo
	v_cmpx_ne_u32_e32 0x80, v8
	s_cbranch_execz .LBB329_1386
; %bb.1381:                             ;   in Loop: Header=BB329_11 Depth=1
	v_and_b32_e32 v2, 0x7f, v8
	v_mov_b32_e32 v115, 0x7c010000
	s_mov_b32 s22, exec_lo
	v_cmpx_ne_u32_e32 0x7f, v2
	s_cbranch_execz .LBB329_1385
; %bb.1382:                             ;   in Loop: Header=BB329_11 Depth=1
	v_and_b32_e32 v0, 7, v8
	v_lshrrev_b32_e32 v1, 3, v2
	s_mov_b32 s23, exec_lo
	v_cmpx_gt_u32_e32 8, v2
; %bb.1383:                             ;   in Loop: Header=BB329_11 Depth=1
	v_ffbh_u32_e32 v0, v0
	v_min_u32_e32 v2, 32, v0
	v_subrev_nc_u32_e32 v0, 28, v2
	v_lshlrev_b64 v[0:1], v0, v[8:9]
	v_sub_nc_u32_e32 v1, 29, v2
	v_and_b32_e32 v0, 7, v0
; %bb.1384:                             ;   in Loop: Header=BB329_11 Depth=1
	s_or_b32 exec_lo, exec_lo, s23
	v_lshlrev_b32_e32 v2, 8, v8
	v_lshl_add_u32 v1, v1, 10, 0x2000
	v_lshlrev_b32_e32 v0, 23, v0
	v_and_or_b32 v1, 0x8000, v2, v1
	v_lshl_or_b32 v115, v1, 16, v0
.LBB329_1385:                           ;   in Loop: Header=BB329_11 Depth=1
	s_or_b32 exec_lo, exec_lo, s22
.LBB329_1386:                           ;   in Loop: Header=BB329_11 Depth=1
	s_or_b32 exec_lo, exec_lo, s21
.LBB329_1387:                           ;   in Loop: Header=BB329_11 Depth=1
	s_or_b32 exec_lo, exec_lo, s20
	v_mov_b32_e32 v8, v33
	v_cmp_ne_u16_sdwa s5, v33, v9 src0_sel:BYTE_0 src1_sel:DWORD
	s_and_saveexec_b32 s20, s5
	s_cbranch_execz .LBB329_1395
; %bb.1388:                             ;   in Loop: Header=BB329_11 Depth=1
	v_cmp_ne_u16_sdwa s5, v33, v124 src0_sel:BYTE_0 src1_sel:DWORD
	v_mov_b32_e32 v114, 0x8000
	s_and_saveexec_b32 s21, s5
	s_cbranch_execz .LBB329_1394
; %bb.1389:                             ;   in Loop: Header=BB329_11 Depth=1
	v_and_b32_e32 v2, 0x7f, v33
	v_mov_b32_e32 v114, 0x7c01
	s_mov_b32 s22, exec_lo
	v_cmpx_ne_u32_e32 0x7f, v2
	s_cbranch_execz .LBB329_1393
; %bb.1390:                             ;   in Loop: Header=BB329_11 Depth=1
	v_and_b32_e32 v0, 7, v33
	v_lshrrev_b32_e32 v1, 3, v2
	s_mov_b32 s23, exec_lo
	v_cmpx_gt_u32_e32 8, v2
; %bb.1391:                             ;   in Loop: Header=BB329_11 Depth=1
	v_ffbh_u32_e32 v0, v0
	v_min_u32_e32 v2, 32, v0
	v_subrev_nc_u32_e32 v0, 28, v2
	v_lshlrev_b64 v[0:1], v0, v[8:9]
	v_sub_nc_u32_e32 v1, 29, v2
	v_and_b32_e32 v0, 7, v0
; %bb.1392:                             ;   in Loop: Header=BB329_11 Depth=1
	s_or_b32 exec_lo, exec_lo, s23
	v_lshlrev_b32_e32 v2, 8, v33
	v_lshl_add_u32 v1, v1, 10, 0x2000
	v_lshlrev_b32_e32 v0, 7, v0
	v_and_b32_e32 v2, 0x8000, v2
	v_and_b32_e32 v1, 0xfc00, v1
	v_or3_b32 v114, v2, v1, v0
.LBB329_1393:                           ;   in Loop: Header=BB329_11 Depth=1
	s_or_b32 exec_lo, exec_lo, s22
.LBB329_1394:                           ;   in Loop: Header=BB329_11 Depth=1
	s_or_b32 exec_lo, exec_lo, s21
.LBB329_1395:                           ;   in Loop: Header=BB329_11 Depth=1
	s_or_b32 exec_lo, exec_lo, s20
	v_lshrrev_b16 v8, 8, v8
	v_mov_b32_e32 v95, 0
	v_mov_b32_e32 v59, 0
	s_mov_b32 s20, exec_lo
	v_cmpx_ne_u16_e32 0, v8
	s_cbranch_execz .LBB329_1403
; %bb.1396:                             ;   in Loop: Header=BB329_11 Depth=1
	v_bfrev_b32_e32 v59, 1
	s_mov_b32 s21, exec_lo
	v_cmpx_ne_u16_e32 0x80, v8
	s_cbranch_execz .LBB329_1402
; %bb.1397:                             ;   in Loop: Header=BB329_11 Depth=1
	v_mov_b32_e32 v0, 0x7f
	v_mov_b32_e32 v59, 0x7c010000
	s_mov_b32 s22, exec_lo
	v_and_b32_sdwa v2, v8, v0 dst_sel:DWORD dst_unused:UNUSED_PAD src0_sel:WORD_0 src1_sel:DWORD
	v_cmpx_ne_u32_e32 0x7f, v2
	s_cbranch_execz .LBB329_1401
; %bb.1398:                             ;   in Loop: Header=BB329_11 Depth=1
	v_mov_b32_e32 v0, 7
	v_lshrrev_b32_e32 v1, 3, v2
	s_mov_b32 s23, exec_lo
	v_and_b32_sdwa v0, v8, v0 dst_sel:DWORD dst_unused:UNUSED_PAD src0_sel:WORD_0 src1_sel:DWORD
	v_cmpx_gt_u32_e32 8, v2
; %bb.1399:                             ;   in Loop: Header=BB329_11 Depth=1
	v_ffbh_u32_e32 v0, v0
	v_min_u32_e32 v2, 32, v0
	v_subrev_nc_u32_e32 v0, 28, v2
	v_lshlrev_b64 v[0:1], v0, v[8:9]
	v_sub_nc_u32_e32 v1, 29, v2
	v_and_b32_e32 v0, 7, v0
; %bb.1400:                             ;   in Loop: Header=BB329_11 Depth=1
	s_or_b32 exec_lo, exec_lo, s23
	v_mov_b32_e32 v2, 8
	v_lshl_add_u32 v1, v1, 10, 0x2000
	v_lshlrev_b32_e32 v0, 23, v0
	v_lshlrev_b32_sdwa v2, v2, v8 dst_sel:DWORD dst_unused:UNUSED_PAD src0_sel:DWORD src1_sel:WORD_0
	v_and_or_b32 v1, 0x8000, v2, v1
	v_lshl_or_b32 v59, v1, 16, v0
.LBB329_1401:                           ;   in Loop: Header=BB329_11 Depth=1
	s_or_b32 exec_lo, exec_lo, s22
.LBB329_1402:                           ;   in Loop: Header=BB329_11 Depth=1
	s_or_b32 exec_lo, exec_lo, s21
.LBB329_1403:                           ;   in Loop: Header=BB329_11 Depth=1
	s_or_b32 exec_lo, exec_lo, s20
	v_lshrrev_b32_e32 v8, 16, v33
	v_cmp_ne_u16_sdwa s5, v8, v9 src0_sel:BYTE_0 src1_sel:DWORD
	s_and_saveexec_b32 s20, s5
	s_cbranch_execz .LBB329_1411
; %bb.1404:                             ;   in Loop: Header=BB329_11 Depth=1
	v_cmp_ne_u16_sdwa s5, v8, v124 src0_sel:BYTE_0 src1_sel:DWORD
	v_mov_b32_e32 v95, 0x8000
	s_and_saveexec_b32 s21, s5
	s_cbranch_execz .LBB329_1410
; %bb.1405:                             ;   in Loop: Header=BB329_11 Depth=1
	v_bfe_u32 v2, v33, 16, 7
	v_mov_b32_e32 v95, 0x7c01
	s_mov_b32 s22, exec_lo
	v_cmpx_ne_u32_e32 0x7f, v2
	s_cbranch_execz .LBB329_1409
; %bb.1406:                             ;   in Loop: Header=BB329_11 Depth=1
	v_and_b32_e32 v0, 7, v8
	v_lshrrev_b32_e32 v1, 3, v2
	s_mov_b32 s23, exec_lo
	v_cmpx_gt_u32_e32 8, v2
; %bb.1407:                             ;   in Loop: Header=BB329_11 Depth=1
	v_ffbh_u32_e32 v0, v0
	v_min_u32_e32 v2, 32, v0
	v_subrev_nc_u32_e32 v0, 28, v2
	v_lshlrev_b64 v[0:1], v0, v[8:9]
	v_sub_nc_u32_e32 v1, 29, v2
	v_and_b32_e32 v0, 7, v0
; %bb.1408:                             ;   in Loop: Header=BB329_11 Depth=1
	s_or_b32 exec_lo, exec_lo, s23
	v_lshlrev_b32_e32 v2, 8, v8
	v_lshl_add_u32 v1, v1, 10, 0x2000
	v_lshlrev_b32_e32 v0, 7, v0
	v_and_b32_e32 v2, 0x8000, v2
	v_and_b32_e32 v1, 0xfc00, v1
	v_or3_b32 v95, v2, v1, v0
.LBB329_1409:                           ;   in Loop: Header=BB329_11 Depth=1
	s_or_b32 exec_lo, exec_lo, s22
.LBB329_1410:                           ;   in Loop: Header=BB329_11 Depth=1
	s_or_b32 exec_lo, exec_lo, s21
.LBB329_1411:                           ;   in Loop: Header=BB329_11 Depth=1
	s_or_b32 exec_lo, exec_lo, s20
	v_mov_b32_e32 v99, 0
	v_mov_b32_e32 v105, 0
	s_mov_b32 s20, exec_lo
	v_cmpx_lt_u64_e64 s[6:7], v[32:33]
	s_cbranch_execz .LBB329_1419
; %bb.1412:                             ;   in Loop: Header=BB329_11 Depth=1
	v_lshrrev_b32_e32 v8, 24, v33
	v_bfrev_b32_e32 v105, 1
	s_mov_b32 s21, exec_lo
	v_cmpx_ne_u32_e32 0x80, v8
	s_cbranch_execz .LBB329_1418
; %bb.1413:                             ;   in Loop: Header=BB329_11 Depth=1
	v_and_b32_e32 v2, 0x7f, v8
	v_mov_b32_e32 v105, 0x7c010000
	s_mov_b32 s22, exec_lo
	v_cmpx_ne_u32_e32 0x7f, v2
	s_cbranch_execz .LBB329_1417
; %bb.1414:                             ;   in Loop: Header=BB329_11 Depth=1
	v_and_b32_e32 v0, 7, v8
	v_lshrrev_b32_e32 v1, 3, v2
	s_mov_b32 s23, exec_lo
	v_cmpx_gt_u32_e32 8, v2
; %bb.1415:                             ;   in Loop: Header=BB329_11 Depth=1
	v_ffbh_u32_e32 v0, v0
	v_min_u32_e32 v2, 32, v0
	v_subrev_nc_u32_e32 v0, 28, v2
	v_lshlrev_b64 v[0:1], v0, v[8:9]
	v_sub_nc_u32_e32 v1, 29, v2
	v_and_b32_e32 v0, 7, v0
; %bb.1416:                             ;   in Loop: Header=BB329_11 Depth=1
	s_or_b32 exec_lo, exec_lo, s23
	v_lshlrev_b32_e32 v2, 8, v8
	v_lshl_add_u32 v1, v1, 10, 0x2000
	v_lshlrev_b32_e32 v0, 23, v0
	v_and_or_b32 v1, 0x8000, v2, v1
	v_lshl_or_b32 v105, v1, 16, v0
.LBB329_1417:                           ;   in Loop: Header=BB329_11 Depth=1
	s_or_b32 exec_lo, exec_lo, s22
.LBB329_1418:                           ;   in Loop: Header=BB329_11 Depth=1
	s_or_b32 exec_lo, exec_lo, s21
.LBB329_1419:                           ;   in Loop: Header=BB329_11 Depth=1
	s_or_b32 exec_lo, exec_lo, s20
	flat_load_dwordx2 v[32:33], v[30:31] offset:1536
	s_waitcnt vmcnt(0) lgkmcnt(0)
	v_cmp_ne_u16_sdwa s5, v32, v9 src0_sel:BYTE_0 src1_sel:DWORD
	s_and_saveexec_b32 s20, s5
	s_cbranch_execz .LBB329_1427
; %bb.1420:                             ;   in Loop: Header=BB329_11 Depth=1
	v_cmp_ne_u16_sdwa s5, v32, v124 src0_sel:BYTE_0 src1_sel:DWORD
	v_mov_b32_e32 v99, 0x8000
	s_and_saveexec_b32 s21, s5
	s_cbranch_execz .LBB329_1426
; %bb.1421:                             ;   in Loop: Header=BB329_11 Depth=1
	v_and_b32_e32 v2, 0x7f, v32
	v_mov_b32_e32 v99, 0x7c01
	s_mov_b32 s22, exec_lo
	v_cmpx_ne_u32_e32 0x7f, v2
	s_cbranch_execz .LBB329_1425
; %bb.1422:                             ;   in Loop: Header=BB329_11 Depth=1
	v_and_b32_e32 v0, 7, v32
	v_lshrrev_b32_e32 v1, 3, v2
	s_mov_b32 s23, exec_lo
	v_cmpx_gt_u32_e32 8, v2
; %bb.1423:                             ;   in Loop: Header=BB329_11 Depth=1
	v_ffbh_u32_e32 v0, v0
	v_min_u32_e32 v2, 32, v0
	v_subrev_nc_u32_e32 v0, 28, v2
	v_lshlrev_b64 v[0:1], v0, v[32:33]
	v_sub_nc_u32_e32 v1, 29, v2
	v_and_b32_e32 v0, 7, v0
; %bb.1424:                             ;   in Loop: Header=BB329_11 Depth=1
	s_or_b32 exec_lo, exec_lo, s23
	v_lshlrev_b32_e32 v2, 8, v32
	v_lshl_add_u32 v1, v1, 10, 0x2000
	v_lshlrev_b32_e32 v0, 7, v0
	v_and_b32_e32 v2, 0x8000, v2
	v_and_b32_e32 v1, 0xfc00, v1
	v_or3_b32 v99, v2, v1, v0
.LBB329_1425:                           ;   in Loop: Header=BB329_11 Depth=1
	s_or_b32 exec_lo, exec_lo, s22
.LBB329_1426:                           ;   in Loop: Header=BB329_11 Depth=1
	s_or_b32 exec_lo, exec_lo, s21
.LBB329_1427:                           ;   in Loop: Header=BB329_11 Depth=1
	s_or_b32 exec_lo, exec_lo, s20
	v_lshrrev_b16 v8, 8, v32
	v_mov_b32_e32 v127, 0
	v_mov_b32_e32 v126, 0
	s_mov_b32 s20, exec_lo
	v_cmpx_ne_u16_e32 0, v8
	s_cbranch_execz .LBB329_1435
; %bb.1428:                             ;   in Loop: Header=BB329_11 Depth=1
	v_bfrev_b32_e32 v126, 1
	s_mov_b32 s21, exec_lo
	v_cmpx_ne_u16_e32 0x80, v8
	s_cbranch_execz .LBB329_1434
; %bb.1429:                             ;   in Loop: Header=BB329_11 Depth=1
	v_mov_b32_e32 v0, 0x7f
	v_mov_b32_e32 v126, 0x7c010000
	s_mov_b32 s22, exec_lo
	v_and_b32_sdwa v2, v8, v0 dst_sel:DWORD dst_unused:UNUSED_PAD src0_sel:WORD_0 src1_sel:DWORD
	v_cmpx_ne_u32_e32 0x7f, v2
	s_cbranch_execz .LBB329_1433
; %bb.1430:                             ;   in Loop: Header=BB329_11 Depth=1
	v_mov_b32_e32 v0, 7
	v_lshrrev_b32_e32 v1, 3, v2
	s_mov_b32 s23, exec_lo
	v_and_b32_sdwa v0, v8, v0 dst_sel:DWORD dst_unused:UNUSED_PAD src0_sel:WORD_0 src1_sel:DWORD
	v_cmpx_gt_u32_e32 8, v2
; %bb.1431:                             ;   in Loop: Header=BB329_11 Depth=1
	v_ffbh_u32_e32 v0, v0
	v_min_u32_e32 v2, 32, v0
	v_subrev_nc_u32_e32 v0, 28, v2
	v_lshlrev_b64 v[0:1], v0, v[8:9]
	v_sub_nc_u32_e32 v1, 29, v2
	v_and_b32_e32 v0, 7, v0
; %bb.1432:                             ;   in Loop: Header=BB329_11 Depth=1
	s_or_b32 exec_lo, exec_lo, s23
	v_mov_b32_e32 v2, 8
	v_lshl_add_u32 v1, v1, 10, 0x2000
	v_lshlrev_b32_e32 v0, 23, v0
	v_lshlrev_b32_sdwa v2, v2, v8 dst_sel:DWORD dst_unused:UNUSED_PAD src0_sel:DWORD src1_sel:WORD_0
	v_and_or_b32 v1, 0x8000, v2, v1
	v_lshl_or_b32 v126, v1, 16, v0
.LBB329_1433:                           ;   in Loop: Header=BB329_11 Depth=1
	s_or_b32 exec_lo, exec_lo, s22
.LBB329_1434:                           ;   in Loop: Header=BB329_11 Depth=1
	s_or_b32 exec_lo, exec_lo, s21
.LBB329_1435:                           ;   in Loop: Header=BB329_11 Depth=1
	s_or_b32 exec_lo, exec_lo, s20
	v_lshrrev_b32_e32 v8, 16, v32
	v_cmp_ne_u16_sdwa s5, v8, v9 src0_sel:BYTE_0 src1_sel:DWORD
	s_and_saveexec_b32 s20, s5
	s_cbranch_execz .LBB329_1443
; %bb.1436:                             ;   in Loop: Header=BB329_11 Depth=1
	v_cmp_ne_u16_sdwa s5, v8, v124 src0_sel:BYTE_0 src1_sel:DWORD
	v_mov_b32_e32 v127, 0x8000
	s_and_saveexec_b32 s21, s5
	s_cbranch_execz .LBB329_1442
; %bb.1437:                             ;   in Loop: Header=BB329_11 Depth=1
	v_bfe_u32 v2, v32, 16, 7
	v_mov_b32_e32 v127, 0x7c01
	s_mov_b32 s22, exec_lo
	v_cmpx_ne_u32_e32 0x7f, v2
	s_cbranch_execz .LBB329_1441
; %bb.1438:                             ;   in Loop: Header=BB329_11 Depth=1
	v_and_b32_e32 v0, 7, v8
	v_lshrrev_b32_e32 v1, 3, v2
	s_mov_b32 s23, exec_lo
	v_cmpx_gt_u32_e32 8, v2
; %bb.1439:                             ;   in Loop: Header=BB329_11 Depth=1
	v_ffbh_u32_e32 v0, v0
	v_min_u32_e32 v2, 32, v0
	v_subrev_nc_u32_e32 v0, 28, v2
	v_lshlrev_b64 v[0:1], v0, v[8:9]
	v_sub_nc_u32_e32 v1, 29, v2
	v_and_b32_e32 v0, 7, v0
; %bb.1440:                             ;   in Loop: Header=BB329_11 Depth=1
	s_or_b32 exec_lo, exec_lo, s23
	v_lshlrev_b32_e32 v2, 8, v8
	v_lshl_add_u32 v1, v1, 10, 0x2000
	v_lshlrev_b32_e32 v0, 7, v0
	v_and_b32_e32 v2, 0x8000, v2
	v_and_b32_e32 v1, 0xfc00, v1
	v_or3_b32 v127, v2, v1, v0
.LBB329_1441:                           ;   in Loop: Header=BB329_11 Depth=1
	s_or_b32 exec_lo, exec_lo, s22
.LBB329_1442:                           ;   in Loop: Header=BB329_11 Depth=1
	s_or_b32 exec_lo, exec_lo, s21
.LBB329_1443:                           ;   in Loop: Header=BB329_11 Depth=1
	s_or_b32 exec_lo, exec_lo, s20
	v_mov_b32_e32 v19, 0
	v_mov_b32_e32 v14, 0
	s_mov_b32 s20, exec_lo
	v_cmpx_lt_u32_e32 0xffffff, v32
	s_cbranch_execz .LBB329_1451
; %bb.1444:                             ;   in Loop: Header=BB329_11 Depth=1
	v_lshrrev_b32_e32 v8, 24, v32
	v_bfrev_b32_e32 v14, 1
	s_mov_b32 s21, exec_lo
	v_cmpx_ne_u32_e32 0x80, v8
	s_cbranch_execz .LBB329_1450
; %bb.1445:                             ;   in Loop: Header=BB329_11 Depth=1
	v_and_b32_e32 v2, 0x7f, v8
	v_mov_b32_e32 v14, 0x7c010000
	s_mov_b32 s22, exec_lo
	v_cmpx_ne_u32_e32 0x7f, v2
	s_cbranch_execz .LBB329_1449
; %bb.1446:                             ;   in Loop: Header=BB329_11 Depth=1
	v_and_b32_e32 v0, 7, v8
	v_lshrrev_b32_e32 v1, 3, v2
	s_mov_b32 s23, exec_lo
	v_cmpx_gt_u32_e32 8, v2
; %bb.1447:                             ;   in Loop: Header=BB329_11 Depth=1
	v_ffbh_u32_e32 v0, v0
	v_min_u32_e32 v2, 32, v0
	v_subrev_nc_u32_e32 v0, 28, v2
	v_lshlrev_b64 v[0:1], v0, v[8:9]
	v_sub_nc_u32_e32 v1, 29, v2
	v_and_b32_e32 v0, 7, v0
; %bb.1448:                             ;   in Loop: Header=BB329_11 Depth=1
	s_or_b32 exec_lo, exec_lo, s23
	v_lshlrev_b32_e32 v2, 8, v8
	v_lshl_add_u32 v1, v1, 10, 0x2000
	v_lshlrev_b32_e32 v0, 23, v0
	v_and_or_b32 v1, 0x8000, v2, v1
	v_lshl_or_b32 v14, v1, 16, v0
.LBB329_1449:                           ;   in Loop: Header=BB329_11 Depth=1
	s_or_b32 exec_lo, exec_lo, s22
.LBB329_1450:                           ;   in Loop: Header=BB329_11 Depth=1
	s_or_b32 exec_lo, exec_lo, s21
.LBB329_1451:                           ;   in Loop: Header=BB329_11 Depth=1
	s_or_b32 exec_lo, exec_lo, s20
	v_mov_b32_e32 v8, v33
	v_cmp_ne_u16_sdwa s5, v33, v9 src0_sel:BYTE_0 src1_sel:DWORD
	s_and_saveexec_b32 s20, s5
	s_cbranch_execz .LBB329_1459
; %bb.1452:                             ;   in Loop: Header=BB329_11 Depth=1
	v_cmp_ne_u16_sdwa s5, v33, v124 src0_sel:BYTE_0 src1_sel:DWORD
	v_mov_b32_e32 v19, 0x8000
	s_and_saveexec_b32 s21, s5
	s_cbranch_execz .LBB329_1458
; %bb.1453:                             ;   in Loop: Header=BB329_11 Depth=1
	v_and_b32_e32 v2, 0x7f, v33
	v_mov_b32_e32 v19, 0x7c01
	s_mov_b32 s22, exec_lo
	v_cmpx_ne_u32_e32 0x7f, v2
	s_cbranch_execz .LBB329_1457
; %bb.1454:                             ;   in Loop: Header=BB329_11 Depth=1
	v_and_b32_e32 v0, 7, v33
	v_lshrrev_b32_e32 v1, 3, v2
	s_mov_b32 s23, exec_lo
	v_cmpx_gt_u32_e32 8, v2
; %bb.1455:                             ;   in Loop: Header=BB329_11 Depth=1
	v_ffbh_u32_e32 v0, v0
	v_min_u32_e32 v2, 32, v0
	v_subrev_nc_u32_e32 v0, 28, v2
	v_lshlrev_b64 v[0:1], v0, v[8:9]
	v_sub_nc_u32_e32 v1, 29, v2
	v_and_b32_e32 v0, 7, v0
; %bb.1456:                             ;   in Loop: Header=BB329_11 Depth=1
	s_or_b32 exec_lo, exec_lo, s23
	v_lshlrev_b32_e32 v2, 8, v33
	v_lshl_add_u32 v1, v1, 10, 0x2000
	v_lshlrev_b32_e32 v0, 7, v0
	v_and_b32_e32 v2, 0x8000, v2
	v_and_b32_e32 v1, 0xfc00, v1
	v_or3_b32 v19, v2, v1, v0
.LBB329_1457:                           ;   in Loop: Header=BB329_11 Depth=1
	s_or_b32 exec_lo, exec_lo, s22
.LBB329_1458:                           ;   in Loop: Header=BB329_11 Depth=1
	s_or_b32 exec_lo, exec_lo, s21
.LBB329_1459:                           ;   in Loop: Header=BB329_11 Depth=1
	s_or_b32 exec_lo, exec_lo, s20
	v_lshrrev_b16 v8, 8, v8
	v_mov_b32_e32 v39, 0
	v_mov_b32_e32 v23, 0
	s_mov_b32 s20, exec_lo
	v_cmpx_ne_u16_e32 0, v8
	s_cbranch_execz .LBB329_1467
; %bb.1460:                             ;   in Loop: Header=BB329_11 Depth=1
	v_bfrev_b32_e32 v23, 1
	s_mov_b32 s21, exec_lo
	v_cmpx_ne_u16_e32 0x80, v8
	s_cbranch_execz .LBB329_1466
; %bb.1461:                             ;   in Loop: Header=BB329_11 Depth=1
	v_mov_b32_e32 v0, 0x7f
	v_mov_b32_e32 v23, 0x7c010000
	s_mov_b32 s22, exec_lo
	v_and_b32_sdwa v2, v8, v0 dst_sel:DWORD dst_unused:UNUSED_PAD src0_sel:WORD_0 src1_sel:DWORD
	v_cmpx_ne_u32_e32 0x7f, v2
	s_cbranch_execz .LBB329_1465
; %bb.1462:                             ;   in Loop: Header=BB329_11 Depth=1
	v_mov_b32_e32 v0, 7
	v_lshrrev_b32_e32 v1, 3, v2
	s_mov_b32 s23, exec_lo
	v_and_b32_sdwa v0, v8, v0 dst_sel:DWORD dst_unused:UNUSED_PAD src0_sel:WORD_0 src1_sel:DWORD
	v_cmpx_gt_u32_e32 8, v2
; %bb.1463:                             ;   in Loop: Header=BB329_11 Depth=1
	v_ffbh_u32_e32 v0, v0
	v_min_u32_e32 v2, 32, v0
	v_subrev_nc_u32_e32 v0, 28, v2
	v_lshlrev_b64 v[0:1], v0, v[8:9]
	v_sub_nc_u32_e32 v1, 29, v2
	v_and_b32_e32 v0, 7, v0
; %bb.1464:                             ;   in Loop: Header=BB329_11 Depth=1
	s_or_b32 exec_lo, exec_lo, s23
	v_mov_b32_e32 v2, 8
	v_lshl_add_u32 v1, v1, 10, 0x2000
	v_lshlrev_b32_e32 v0, 23, v0
	v_lshlrev_b32_sdwa v2, v2, v8 dst_sel:DWORD dst_unused:UNUSED_PAD src0_sel:DWORD src1_sel:WORD_0
	v_and_or_b32 v1, 0x8000, v2, v1
	v_lshl_or_b32 v23, v1, 16, v0
.LBB329_1465:                           ;   in Loop: Header=BB329_11 Depth=1
	s_or_b32 exec_lo, exec_lo, s22
.LBB329_1466:                           ;   in Loop: Header=BB329_11 Depth=1
	s_or_b32 exec_lo, exec_lo, s21
.LBB329_1467:                           ;   in Loop: Header=BB329_11 Depth=1
	s_or_b32 exec_lo, exec_lo, s20
	v_lshrrev_b32_e32 v8, 16, v33
	v_cmp_ne_u16_sdwa s5, v8, v9 src0_sel:BYTE_0 src1_sel:DWORD
	s_and_saveexec_b32 s20, s5
	s_cbranch_execz .LBB329_1475
; %bb.1468:                             ;   in Loop: Header=BB329_11 Depth=1
	v_cmp_ne_u16_sdwa s5, v8, v124 src0_sel:BYTE_0 src1_sel:DWORD
	v_mov_b32_e32 v39, 0x8000
	s_and_saveexec_b32 s21, s5
	s_cbranch_execz .LBB329_1474
; %bb.1469:                             ;   in Loop: Header=BB329_11 Depth=1
	v_bfe_u32 v2, v33, 16, 7
	v_mov_b32_e32 v39, 0x7c01
	s_mov_b32 s22, exec_lo
	v_cmpx_ne_u32_e32 0x7f, v2
	s_cbranch_execz .LBB329_1473
; %bb.1470:                             ;   in Loop: Header=BB329_11 Depth=1
	v_and_b32_e32 v0, 7, v8
	v_lshrrev_b32_e32 v1, 3, v2
	s_mov_b32 s23, exec_lo
	v_cmpx_gt_u32_e32 8, v2
; %bb.1471:                             ;   in Loop: Header=BB329_11 Depth=1
	v_ffbh_u32_e32 v0, v0
	v_min_u32_e32 v2, 32, v0
	v_subrev_nc_u32_e32 v0, 28, v2
	v_lshlrev_b64 v[0:1], v0, v[8:9]
	v_sub_nc_u32_e32 v1, 29, v2
	v_and_b32_e32 v0, 7, v0
; %bb.1472:                             ;   in Loop: Header=BB329_11 Depth=1
	s_or_b32 exec_lo, exec_lo, s23
	v_lshlrev_b32_e32 v2, 8, v8
	v_lshl_add_u32 v1, v1, 10, 0x2000
	v_lshlrev_b32_e32 v0, 7, v0
	v_and_b32_e32 v2, 0x8000, v2
	v_and_b32_e32 v1, 0xfc00, v1
	v_or3_b32 v39, v2, v1, v0
.LBB329_1473:                           ;   in Loop: Header=BB329_11 Depth=1
	s_or_b32 exec_lo, exec_lo, s22
.LBB329_1474:                           ;   in Loop: Header=BB329_11 Depth=1
	s_or_b32 exec_lo, exec_lo, s21
.LBB329_1475:                           ;   in Loop: Header=BB329_11 Depth=1
	s_or_b32 exec_lo, exec_lo, s20
	v_cmp_lt_u64_e64 s5, s[6:7], v[32:33]
	v_mov_b32_e32 v72, 0
	v_mov_b32_e32 v32, 0
	s_and_saveexec_b32 s20, s5
	s_cbranch_execz .LBB329_1483
; %bb.1476:                             ;   in Loop: Header=BB329_11 Depth=1
	v_lshrrev_b32_e32 v8, 24, v33
	v_bfrev_b32_e32 v32, 1
	s_mov_b32 s21, exec_lo
	v_cmpx_ne_u32_e32 0x80, v8
	s_cbranch_execz .LBB329_1482
; %bb.1477:                             ;   in Loop: Header=BB329_11 Depth=1
	v_and_b32_e32 v2, 0x7f, v8
	v_mov_b32_e32 v32, 0x7c010000
	s_mov_b32 s22, exec_lo
	v_cmpx_ne_u32_e32 0x7f, v2
	s_cbranch_execz .LBB329_1481
; %bb.1478:                             ;   in Loop: Header=BB329_11 Depth=1
	v_and_b32_e32 v0, 7, v8
	v_lshrrev_b32_e32 v1, 3, v2
	s_mov_b32 s23, exec_lo
	v_cmpx_gt_u32_e32 8, v2
; %bb.1479:                             ;   in Loop: Header=BB329_11 Depth=1
	v_ffbh_u32_e32 v0, v0
	v_min_u32_e32 v2, 32, v0
	v_subrev_nc_u32_e32 v0, 28, v2
	v_lshlrev_b64 v[0:1], v0, v[8:9]
	v_sub_nc_u32_e32 v1, 29, v2
	v_and_b32_e32 v0, 7, v0
; %bb.1480:                             ;   in Loop: Header=BB329_11 Depth=1
	s_or_b32 exec_lo, exec_lo, s23
	v_lshlrev_b32_e32 v2, 8, v8
	v_lshl_add_u32 v1, v1, 10, 0x2000
	v_lshlrev_b32_e32 v0, 23, v0
	v_and_or_b32 v1, 0x8000, v2, v1
	v_lshl_or_b32 v32, v1, 16, v0
.LBB329_1481:                           ;   in Loop: Header=BB329_11 Depth=1
	s_or_b32 exec_lo, exec_lo, s22
.LBB329_1482:                           ;   in Loop: Header=BB329_11 Depth=1
	s_or_b32 exec_lo, exec_lo, s21
.LBB329_1483:                           ;   in Loop: Header=BB329_11 Depth=1
	s_or_b32 exec_lo, exec_lo, s20
	flat_load_dwordx2 v[30:31], v[30:31] offset:1544
	s_waitcnt vmcnt(0) lgkmcnt(0)
	v_cmp_ne_u16_sdwa s5, v30, v9 src0_sel:BYTE_0 src1_sel:DWORD
	s_and_saveexec_b32 s20, s5
	s_cbranch_execz .LBB329_1491
; %bb.1484:                             ;   in Loop: Header=BB329_11 Depth=1
	v_cmp_ne_u16_sdwa s5, v30, v124 src0_sel:BYTE_0 src1_sel:DWORD
	v_mov_b32_e32 v72, 0x8000
	s_and_saveexec_b32 s21, s5
	s_cbranch_execz .LBB329_1490
; %bb.1485:                             ;   in Loop: Header=BB329_11 Depth=1
	v_and_b32_e32 v2, 0x7f, v30
	v_mov_b32_e32 v72, 0x7c01
	s_mov_b32 s22, exec_lo
	v_cmpx_ne_u32_e32 0x7f, v2
	s_cbranch_execz .LBB329_1489
; %bb.1486:                             ;   in Loop: Header=BB329_11 Depth=1
	v_and_b32_e32 v0, 7, v30
	v_lshrrev_b32_e32 v1, 3, v2
	s_mov_b32 s23, exec_lo
	v_cmpx_gt_u32_e32 8, v2
; %bb.1487:                             ;   in Loop: Header=BB329_11 Depth=1
	v_ffbh_u32_e32 v0, v0
	v_min_u32_e32 v2, 32, v0
	v_subrev_nc_u32_e32 v0, 28, v2
	v_lshlrev_b64 v[0:1], v0, v[30:31]
	v_sub_nc_u32_e32 v1, 29, v2
	v_and_b32_e32 v0, 7, v0
; %bb.1488:                             ;   in Loop: Header=BB329_11 Depth=1
	s_or_b32 exec_lo, exec_lo, s23
	v_lshlrev_b32_e32 v2, 8, v30
	v_lshl_add_u32 v1, v1, 10, 0x2000
	v_lshlrev_b32_e32 v0, 7, v0
	v_and_b32_e32 v2, 0x8000, v2
	v_and_b32_e32 v1, 0xfc00, v1
	v_or3_b32 v72, v2, v1, v0
.LBB329_1489:                           ;   in Loop: Header=BB329_11 Depth=1
	s_or_b32 exec_lo, exec_lo, s22
.LBB329_1490:                           ;   in Loop: Header=BB329_11 Depth=1
	s_or_b32 exec_lo, exec_lo, s21
.LBB329_1491:                           ;   in Loop: Header=BB329_11 Depth=1
	s_or_b32 exec_lo, exec_lo, s20
	v_lshrrev_b16 v8, 8, v30
	v_mov_b32_e32 v22, 0
	v_mov_b32_e32 v33, 0
	s_mov_b32 s20, exec_lo
	v_cmpx_ne_u16_e32 0, v8
	s_cbranch_execz .LBB329_1499
; %bb.1492:                             ;   in Loop: Header=BB329_11 Depth=1
	v_bfrev_b32_e32 v33, 1
	s_mov_b32 s21, exec_lo
	v_cmpx_ne_u16_e32 0x80, v8
	s_cbranch_execz .LBB329_1498
; %bb.1493:                             ;   in Loop: Header=BB329_11 Depth=1
	v_mov_b32_e32 v0, 0x7f
	v_mov_b32_e32 v33, 0x7c010000
	s_mov_b32 s22, exec_lo
	v_and_b32_sdwa v2, v8, v0 dst_sel:DWORD dst_unused:UNUSED_PAD src0_sel:WORD_0 src1_sel:DWORD
	v_cmpx_ne_u32_e32 0x7f, v2
	s_cbranch_execz .LBB329_1497
; %bb.1494:                             ;   in Loop: Header=BB329_11 Depth=1
	v_mov_b32_e32 v0, 7
	v_lshrrev_b32_e32 v1, 3, v2
	s_mov_b32 s23, exec_lo
	v_and_b32_sdwa v0, v8, v0 dst_sel:DWORD dst_unused:UNUSED_PAD src0_sel:WORD_0 src1_sel:DWORD
	v_cmpx_gt_u32_e32 8, v2
; %bb.1495:                             ;   in Loop: Header=BB329_11 Depth=1
	v_ffbh_u32_e32 v0, v0
	v_min_u32_e32 v2, 32, v0
	v_subrev_nc_u32_e32 v0, 28, v2
	v_lshlrev_b64 v[0:1], v0, v[8:9]
	v_sub_nc_u32_e32 v1, 29, v2
	v_and_b32_e32 v0, 7, v0
; %bb.1496:                             ;   in Loop: Header=BB329_11 Depth=1
	s_or_b32 exec_lo, exec_lo, s23
	v_mov_b32_e32 v2, 8
	v_lshl_add_u32 v1, v1, 10, 0x2000
	v_lshlrev_b32_e32 v0, 23, v0
	v_lshlrev_b32_sdwa v2, v2, v8 dst_sel:DWORD dst_unused:UNUSED_PAD src0_sel:DWORD src1_sel:WORD_0
	v_and_or_b32 v1, 0x8000, v2, v1
	v_lshl_or_b32 v33, v1, 16, v0
.LBB329_1497:                           ;   in Loop: Header=BB329_11 Depth=1
	s_or_b32 exec_lo, exec_lo, s22
.LBB329_1498:                           ;   in Loop: Header=BB329_11 Depth=1
	s_or_b32 exec_lo, exec_lo, s21
.LBB329_1499:                           ;   in Loop: Header=BB329_11 Depth=1
	s_or_b32 exec_lo, exec_lo, s20
	v_lshrrev_b32_e32 v8, 16, v30
	v_cmp_ne_u16_sdwa s5, v8, v9 src0_sel:BYTE_0 src1_sel:DWORD
	s_and_saveexec_b32 s20, s5
	s_cbranch_execz .LBB329_1507
; %bb.1500:                             ;   in Loop: Header=BB329_11 Depth=1
	v_cmp_ne_u16_sdwa s5, v8, v124 src0_sel:BYTE_0 src1_sel:DWORD
	v_mov_b32_e32 v22, 0x8000
	s_and_saveexec_b32 s21, s5
	s_cbranch_execz .LBB329_1506
; %bb.1501:                             ;   in Loop: Header=BB329_11 Depth=1
	v_bfe_u32 v2, v30, 16, 7
	v_mov_b32_e32 v22, 0x7c01
	s_mov_b32 s22, exec_lo
	v_cmpx_ne_u32_e32 0x7f, v2
	s_cbranch_execz .LBB329_1505
; %bb.1502:                             ;   in Loop: Header=BB329_11 Depth=1
	v_and_b32_e32 v0, 7, v8
	v_lshrrev_b32_e32 v1, 3, v2
	s_mov_b32 s23, exec_lo
	v_cmpx_gt_u32_e32 8, v2
; %bb.1503:                             ;   in Loop: Header=BB329_11 Depth=1
	v_ffbh_u32_e32 v0, v0
	v_min_u32_e32 v2, 32, v0
	v_subrev_nc_u32_e32 v0, 28, v2
	v_lshlrev_b64 v[0:1], v0, v[8:9]
	v_sub_nc_u32_e32 v1, 29, v2
	v_and_b32_e32 v0, 7, v0
; %bb.1504:                             ;   in Loop: Header=BB329_11 Depth=1
	s_or_b32 exec_lo, exec_lo, s23
	v_lshlrev_b32_e32 v2, 8, v8
	v_lshl_add_u32 v1, v1, 10, 0x2000
	v_lshlrev_b32_e32 v0, 7, v0
	v_and_b32_e32 v2, 0x8000, v2
	v_and_b32_e32 v1, 0xfc00, v1
	v_or3_b32 v22, v2, v1, v0
.LBB329_1505:                           ;   in Loop: Header=BB329_11 Depth=1
	s_or_b32 exec_lo, exec_lo, s22
.LBB329_1506:                           ;   in Loop: Header=BB329_11 Depth=1
	s_or_b32 exec_lo, exec_lo, s21
.LBB329_1507:                           ;   in Loop: Header=BB329_11 Depth=1
	s_or_b32 exec_lo, exec_lo, s20
	v_mov_b32_e32 v74, 0
	v_mov_b32_e32 v75, 0
	s_mov_b32 s20, exec_lo
	v_cmpx_lt_u32_e32 0xffffff, v30
	s_cbranch_execz .LBB329_1515
; %bb.1508:                             ;   in Loop: Header=BB329_11 Depth=1
	v_lshrrev_b32_e32 v8, 24, v30
	v_bfrev_b32_e32 v75, 1
	s_mov_b32 s21, exec_lo
	v_cmpx_ne_u32_e32 0x80, v8
	s_cbranch_execz .LBB329_1514
; %bb.1509:                             ;   in Loop: Header=BB329_11 Depth=1
	v_and_b32_e32 v2, 0x7f, v8
	v_mov_b32_e32 v75, 0x7c010000
	s_mov_b32 s22, exec_lo
	v_cmpx_ne_u32_e32 0x7f, v2
	s_cbranch_execz .LBB329_1513
; %bb.1510:                             ;   in Loop: Header=BB329_11 Depth=1
	v_and_b32_e32 v0, 7, v8
	v_lshrrev_b32_e32 v1, 3, v2
	s_mov_b32 s23, exec_lo
	v_cmpx_gt_u32_e32 8, v2
; %bb.1511:                             ;   in Loop: Header=BB329_11 Depth=1
	v_ffbh_u32_e32 v0, v0
	v_min_u32_e32 v2, 32, v0
	v_subrev_nc_u32_e32 v0, 28, v2
	v_lshlrev_b64 v[0:1], v0, v[8:9]
	v_sub_nc_u32_e32 v1, 29, v2
	v_and_b32_e32 v0, 7, v0
; %bb.1512:                             ;   in Loop: Header=BB329_11 Depth=1
	s_or_b32 exec_lo, exec_lo, s23
	v_lshlrev_b32_e32 v2, 8, v8
	v_lshl_add_u32 v1, v1, 10, 0x2000
	v_lshlrev_b32_e32 v0, 23, v0
	v_and_or_b32 v1, 0x8000, v2, v1
	v_lshl_or_b32 v75, v1, 16, v0
.LBB329_1513:                           ;   in Loop: Header=BB329_11 Depth=1
	s_or_b32 exec_lo, exec_lo, s22
.LBB329_1514:                           ;   in Loop: Header=BB329_11 Depth=1
	s_or_b32 exec_lo, exec_lo, s21
.LBB329_1515:                           ;   in Loop: Header=BB329_11 Depth=1
	s_or_b32 exec_lo, exec_lo, s20
	v_mov_b32_e32 v8, v31
	v_cmp_ne_u16_sdwa s5, v31, v9 src0_sel:BYTE_0 src1_sel:DWORD
	s_and_saveexec_b32 s20, s5
	s_cbranch_execz .LBB329_1523
; %bb.1516:                             ;   in Loop: Header=BB329_11 Depth=1
	v_cmp_ne_u16_sdwa s5, v31, v124 src0_sel:BYTE_0 src1_sel:DWORD
	v_mov_b32_e32 v74, 0x8000
	s_and_saveexec_b32 s21, s5
	s_cbranch_execz .LBB329_1522
; %bb.1517:                             ;   in Loop: Header=BB329_11 Depth=1
	v_and_b32_e32 v2, 0x7f, v31
	v_mov_b32_e32 v74, 0x7c01
	s_mov_b32 s22, exec_lo
	v_cmpx_ne_u32_e32 0x7f, v2
	s_cbranch_execz .LBB329_1521
; %bb.1518:                             ;   in Loop: Header=BB329_11 Depth=1
	v_and_b32_e32 v0, 7, v31
	v_lshrrev_b32_e32 v1, 3, v2
	s_mov_b32 s23, exec_lo
	v_cmpx_gt_u32_e32 8, v2
; %bb.1519:                             ;   in Loop: Header=BB329_11 Depth=1
	v_ffbh_u32_e32 v0, v0
	v_min_u32_e32 v2, 32, v0
	v_subrev_nc_u32_e32 v0, 28, v2
	v_lshlrev_b64 v[0:1], v0, v[8:9]
	v_sub_nc_u32_e32 v1, 29, v2
	v_and_b32_e32 v0, 7, v0
; %bb.1520:                             ;   in Loop: Header=BB329_11 Depth=1
	s_or_b32 exec_lo, exec_lo, s23
	v_lshlrev_b32_e32 v2, 8, v31
	v_lshl_add_u32 v1, v1, 10, 0x2000
	v_lshlrev_b32_e32 v0, 7, v0
	v_and_b32_e32 v2, 0x8000, v2
	v_and_b32_e32 v1, 0xfc00, v1
	v_or3_b32 v74, v2, v1, v0
.LBB329_1521:                           ;   in Loop: Header=BB329_11 Depth=1
	s_or_b32 exec_lo, exec_lo, s22
.LBB329_1522:                           ;   in Loop: Header=BB329_11 Depth=1
	s_or_b32 exec_lo, exec_lo, s21
.LBB329_1523:                           ;   in Loop: Header=BB329_11 Depth=1
	s_or_b32 exec_lo, exec_lo, s20
	v_lshrrev_b16 v8, 8, v8
	v_mov_b32_e32 v77, 0
	v_mov_b32_e32 v88, 0
	s_mov_b32 s20, exec_lo
	v_cmpx_ne_u16_e32 0, v8
	s_cbranch_execz .LBB329_1531
; %bb.1524:                             ;   in Loop: Header=BB329_11 Depth=1
	v_bfrev_b32_e32 v88, 1
	s_mov_b32 s21, exec_lo
	v_cmpx_ne_u16_e32 0x80, v8
	s_cbranch_execz .LBB329_1530
; %bb.1525:                             ;   in Loop: Header=BB329_11 Depth=1
	v_mov_b32_e32 v0, 0x7f
	v_mov_b32_e32 v88, 0x7c010000
	s_mov_b32 s22, exec_lo
	v_and_b32_sdwa v2, v8, v0 dst_sel:DWORD dst_unused:UNUSED_PAD src0_sel:WORD_0 src1_sel:DWORD
	v_cmpx_ne_u32_e32 0x7f, v2
	s_cbranch_execz .LBB329_1529
; %bb.1526:                             ;   in Loop: Header=BB329_11 Depth=1
	v_mov_b32_e32 v0, 7
	v_lshrrev_b32_e32 v1, 3, v2
	s_mov_b32 s23, exec_lo
	v_and_b32_sdwa v0, v8, v0 dst_sel:DWORD dst_unused:UNUSED_PAD src0_sel:WORD_0 src1_sel:DWORD
	v_cmpx_gt_u32_e32 8, v2
; %bb.1527:                             ;   in Loop: Header=BB329_11 Depth=1
	v_ffbh_u32_e32 v0, v0
	v_min_u32_e32 v2, 32, v0
	v_subrev_nc_u32_e32 v0, 28, v2
	v_lshlrev_b64 v[0:1], v0, v[8:9]
	v_sub_nc_u32_e32 v1, 29, v2
	v_and_b32_e32 v0, 7, v0
; %bb.1528:                             ;   in Loop: Header=BB329_11 Depth=1
	s_or_b32 exec_lo, exec_lo, s23
	v_mov_b32_e32 v2, 8
	v_lshl_add_u32 v1, v1, 10, 0x2000
	v_lshlrev_b32_e32 v0, 23, v0
	v_lshlrev_b32_sdwa v2, v2, v8 dst_sel:DWORD dst_unused:UNUSED_PAD src0_sel:DWORD src1_sel:WORD_0
	v_and_or_b32 v1, 0x8000, v2, v1
	v_lshl_or_b32 v88, v1, 16, v0
.LBB329_1529:                           ;   in Loop: Header=BB329_11 Depth=1
	s_or_b32 exec_lo, exec_lo, s22
.LBB329_1530:                           ;   in Loop: Header=BB329_11 Depth=1
	s_or_b32 exec_lo, exec_lo, s21
.LBB329_1531:                           ;   in Loop: Header=BB329_11 Depth=1
	s_or_b32 exec_lo, exec_lo, s20
	v_lshrrev_b32_e32 v8, 16, v31
	v_cmp_ne_u16_sdwa s5, v8, v9 src0_sel:BYTE_0 src1_sel:DWORD
	s_and_saveexec_b32 s20, s5
	s_cbranch_execz .LBB329_1539
; %bb.1532:                             ;   in Loop: Header=BB329_11 Depth=1
	v_cmp_ne_u16_sdwa s5, v8, v124 src0_sel:BYTE_0 src1_sel:DWORD
	v_mov_b32_e32 v77, 0x8000
	s_and_saveexec_b32 s21, s5
	s_cbranch_execz .LBB329_1538
; %bb.1533:                             ;   in Loop: Header=BB329_11 Depth=1
	v_bfe_u32 v2, v31, 16, 7
	v_mov_b32_e32 v77, 0x7c01
	s_mov_b32 s22, exec_lo
	v_cmpx_ne_u32_e32 0x7f, v2
	s_cbranch_execz .LBB329_1537
; %bb.1534:                             ;   in Loop: Header=BB329_11 Depth=1
	v_and_b32_e32 v0, 7, v8
	v_lshrrev_b32_e32 v1, 3, v2
	s_mov_b32 s23, exec_lo
	v_cmpx_gt_u32_e32 8, v2
; %bb.1535:                             ;   in Loop: Header=BB329_11 Depth=1
	v_ffbh_u32_e32 v0, v0
	v_min_u32_e32 v2, 32, v0
	v_subrev_nc_u32_e32 v0, 28, v2
	v_lshlrev_b64 v[0:1], v0, v[8:9]
	v_sub_nc_u32_e32 v1, 29, v2
	v_and_b32_e32 v0, 7, v0
; %bb.1536:                             ;   in Loop: Header=BB329_11 Depth=1
	s_or_b32 exec_lo, exec_lo, s23
	v_lshlrev_b32_e32 v2, 8, v8
	v_lshl_add_u32 v1, v1, 10, 0x2000
	v_lshlrev_b32_e32 v0, 7, v0
	v_and_b32_e32 v2, 0x8000, v2
	v_and_b32_e32 v1, 0xfc00, v1
	v_or3_b32 v77, v2, v1, v0
.LBB329_1537:                           ;   in Loop: Header=BB329_11 Depth=1
	s_or_b32 exec_lo, exec_lo, s22
.LBB329_1538:                           ;   in Loop: Header=BB329_11 Depth=1
	s_or_b32 exec_lo, exec_lo, s21
.LBB329_1539:                           ;   in Loop: Header=BB329_11 Depth=1
	s_or_b32 exec_lo, exec_lo, s20
	v_mov_b32_e32 v25, 0
	v_mov_b32_e32 v90, 0
	s_mov_b32 s20, exec_lo
	v_cmpx_lt_u64_e64 s[6:7], v[30:31]
	s_cbranch_execz .LBB329_1547
; %bb.1540:                             ;   in Loop: Header=BB329_11 Depth=1
	v_lshrrev_b32_e32 v8, 24, v31
	v_bfrev_b32_e32 v90, 1
	s_mov_b32 s21, exec_lo
	v_cmpx_ne_u32_e32 0x80, v8
	s_cbranch_execz .LBB329_1546
; %bb.1541:                             ;   in Loop: Header=BB329_11 Depth=1
	v_and_b32_e32 v2, 0x7f, v8
	v_mov_b32_e32 v90, 0x7c010000
	s_mov_b32 s22, exec_lo
	v_cmpx_ne_u32_e32 0x7f, v2
	s_cbranch_execz .LBB329_1545
; %bb.1542:                             ;   in Loop: Header=BB329_11 Depth=1
	v_and_b32_e32 v0, 7, v8
	v_lshrrev_b32_e32 v1, 3, v2
	s_mov_b32 s23, exec_lo
	v_cmpx_gt_u32_e32 8, v2
; %bb.1543:                             ;   in Loop: Header=BB329_11 Depth=1
	v_ffbh_u32_e32 v0, v0
	v_min_u32_e32 v2, 32, v0
	v_subrev_nc_u32_e32 v0, 28, v2
	v_lshlrev_b64 v[0:1], v0, v[8:9]
	v_sub_nc_u32_e32 v1, 29, v2
	v_and_b32_e32 v0, 7, v0
; %bb.1544:                             ;   in Loop: Header=BB329_11 Depth=1
	s_or_b32 exec_lo, exec_lo, s23
	v_lshlrev_b32_e32 v2, 8, v8
	v_lshl_add_u32 v1, v1, 10, 0x2000
	v_lshlrev_b32_e32 v0, 23, v0
	v_and_or_b32 v1, 0x8000, v2, v1
	v_lshl_or_b32 v90, v1, 16, v0
.LBB329_1545:                           ;   in Loop: Header=BB329_11 Depth=1
	s_or_b32 exec_lo, exec_lo, s22
.LBB329_1546:                           ;   in Loop: Header=BB329_11 Depth=1
	s_or_b32 exec_lo, exec_lo, s21
.LBB329_1547:                           ;   in Loop: Header=BB329_11 Depth=1
	s_or_b32 exec_lo, exec_lo, s20
	v_add_co_u32 v28, s5, 0x1800, v28
	v_add_co_ci_u32_e64 v29, null, 0, v29, s5
	flat_load_dwordx2 v[30:31], v[28:29]
	s_waitcnt vmcnt(0) lgkmcnt(0)
	v_cmp_ne_u16_sdwa s5, v30, v9 src0_sel:BYTE_0 src1_sel:DWORD
	s_and_saveexec_b32 s20, s5
	s_cbranch_execz .LBB329_1555
; %bb.1548:                             ;   in Loop: Header=BB329_11 Depth=1
	v_cmp_ne_u16_sdwa s5, v30, v124 src0_sel:BYTE_0 src1_sel:DWORD
	v_mov_b32_e32 v25, 0x8000
	s_and_saveexec_b32 s21, s5
	s_cbranch_execz .LBB329_1554
; %bb.1549:                             ;   in Loop: Header=BB329_11 Depth=1
	v_and_b32_e32 v2, 0x7f, v30
	v_mov_b32_e32 v25, 0x7c01
	s_mov_b32 s22, exec_lo
	v_cmpx_ne_u32_e32 0x7f, v2
	s_cbranch_execz .LBB329_1553
; %bb.1550:                             ;   in Loop: Header=BB329_11 Depth=1
	v_and_b32_e32 v0, 7, v30
	v_lshrrev_b32_e32 v1, 3, v2
	s_mov_b32 s23, exec_lo
	v_cmpx_gt_u32_e32 8, v2
; %bb.1551:                             ;   in Loop: Header=BB329_11 Depth=1
	v_ffbh_u32_e32 v0, v0
	v_min_u32_e32 v2, 32, v0
	v_subrev_nc_u32_e32 v0, 28, v2
	v_lshlrev_b64 v[0:1], v0, v[30:31]
	v_sub_nc_u32_e32 v1, 29, v2
	v_and_b32_e32 v0, 7, v0
; %bb.1552:                             ;   in Loop: Header=BB329_11 Depth=1
	s_or_b32 exec_lo, exec_lo, s23
	v_lshlrev_b32_e32 v2, 8, v30
	v_lshl_add_u32 v1, v1, 10, 0x2000
	v_lshlrev_b32_e32 v0, 7, v0
	v_and_b32_e32 v2, 0x8000, v2
	v_and_b32_e32 v1, 0xfc00, v1
	v_or3_b32 v25, v2, v1, v0
.LBB329_1553:                           ;   in Loop: Header=BB329_11 Depth=1
	s_or_b32 exec_lo, exec_lo, s22
.LBB329_1554:                           ;   in Loop: Header=BB329_11 Depth=1
	s_or_b32 exec_lo, exec_lo, s21
.LBB329_1555:                           ;   in Loop: Header=BB329_11 Depth=1
	s_or_b32 exec_lo, exec_lo, s20
	v_lshrrev_b16 v8, 8, v30
	v_mov_b32_e32 v91, 0
	v_mov_b32_e32 v55, 0
	s_mov_b32 s20, exec_lo
	v_cmpx_ne_u16_e32 0, v8
	s_cbranch_execz .LBB329_1563
; %bb.1556:                             ;   in Loop: Header=BB329_11 Depth=1
	v_bfrev_b32_e32 v55, 1
	s_mov_b32 s21, exec_lo
	v_cmpx_ne_u16_e32 0x80, v8
	s_cbranch_execz .LBB329_1562
; %bb.1557:                             ;   in Loop: Header=BB329_11 Depth=1
	v_mov_b32_e32 v0, 0x7f
	v_mov_b32_e32 v55, 0x7c010000
	s_mov_b32 s22, exec_lo
	v_and_b32_sdwa v2, v8, v0 dst_sel:DWORD dst_unused:UNUSED_PAD src0_sel:WORD_0 src1_sel:DWORD
	v_cmpx_ne_u32_e32 0x7f, v2
	s_cbranch_execz .LBB329_1561
; %bb.1558:                             ;   in Loop: Header=BB329_11 Depth=1
	v_mov_b32_e32 v0, 7
	v_lshrrev_b32_e32 v1, 3, v2
	s_mov_b32 s23, exec_lo
	v_and_b32_sdwa v0, v8, v0 dst_sel:DWORD dst_unused:UNUSED_PAD src0_sel:WORD_0 src1_sel:DWORD
	v_cmpx_gt_u32_e32 8, v2
; %bb.1559:                             ;   in Loop: Header=BB329_11 Depth=1
	v_ffbh_u32_e32 v0, v0
	v_min_u32_e32 v2, 32, v0
	v_subrev_nc_u32_e32 v0, 28, v2
	v_lshlrev_b64 v[0:1], v0, v[8:9]
	v_sub_nc_u32_e32 v1, 29, v2
	v_and_b32_e32 v0, 7, v0
; %bb.1560:                             ;   in Loop: Header=BB329_11 Depth=1
	s_or_b32 exec_lo, exec_lo, s23
	v_mov_b32_e32 v2, 8
	v_lshl_add_u32 v1, v1, 10, 0x2000
	v_lshlrev_b32_e32 v0, 23, v0
	v_lshlrev_b32_sdwa v2, v2, v8 dst_sel:DWORD dst_unused:UNUSED_PAD src0_sel:DWORD src1_sel:WORD_0
	v_and_or_b32 v1, 0x8000, v2, v1
	v_lshl_or_b32 v55, v1, 16, v0
.LBB329_1561:                           ;   in Loop: Header=BB329_11 Depth=1
	s_or_b32 exec_lo, exec_lo, s22
.LBB329_1562:                           ;   in Loop: Header=BB329_11 Depth=1
	s_or_b32 exec_lo, exec_lo, s21
.LBB329_1563:                           ;   in Loop: Header=BB329_11 Depth=1
	s_or_b32 exec_lo, exec_lo, s20
	v_lshrrev_b32_e32 v8, 16, v30
	v_cmp_ne_u16_sdwa s5, v8, v9 src0_sel:BYTE_0 src1_sel:DWORD
	s_and_saveexec_b32 s20, s5
	s_cbranch_execz .LBB329_1571
; %bb.1564:                             ;   in Loop: Header=BB329_11 Depth=1
	v_cmp_ne_u16_sdwa s5, v8, v124 src0_sel:BYTE_0 src1_sel:DWORD
	v_mov_b32_e32 v91, 0x8000
	s_and_saveexec_b32 s21, s5
	s_cbranch_execz .LBB329_1570
; %bb.1565:                             ;   in Loop: Header=BB329_11 Depth=1
	v_bfe_u32 v2, v30, 16, 7
	v_mov_b32_e32 v91, 0x7c01
	s_mov_b32 s22, exec_lo
	v_cmpx_ne_u32_e32 0x7f, v2
	s_cbranch_execz .LBB329_1569
; %bb.1566:                             ;   in Loop: Header=BB329_11 Depth=1
	v_and_b32_e32 v0, 7, v8
	v_lshrrev_b32_e32 v1, 3, v2
	s_mov_b32 s23, exec_lo
	v_cmpx_gt_u32_e32 8, v2
; %bb.1567:                             ;   in Loop: Header=BB329_11 Depth=1
	v_ffbh_u32_e32 v0, v0
	v_min_u32_e32 v2, 32, v0
	v_subrev_nc_u32_e32 v0, 28, v2
	v_lshlrev_b64 v[0:1], v0, v[8:9]
	v_sub_nc_u32_e32 v1, 29, v2
	v_and_b32_e32 v0, 7, v0
; %bb.1568:                             ;   in Loop: Header=BB329_11 Depth=1
	s_or_b32 exec_lo, exec_lo, s23
	v_lshlrev_b32_e32 v2, 8, v8
	v_lshl_add_u32 v1, v1, 10, 0x2000
	v_lshlrev_b32_e32 v0, 7, v0
	v_and_b32_e32 v2, 0x8000, v2
	v_and_b32_e32 v1, 0xfc00, v1
	v_or3_b32 v91, v2, v1, v0
.LBB329_1569:                           ;   in Loop: Header=BB329_11 Depth=1
	s_or_b32 exec_lo, exec_lo, s22
.LBB329_1570:                           ;   in Loop: Header=BB329_11 Depth=1
	s_or_b32 exec_lo, exec_lo, s21
.LBB329_1571:                           ;   in Loop: Header=BB329_11 Depth=1
	s_or_b32 exec_lo, exec_lo, s20
	v_mov_b32_e32 v93, 0
	v_mov_b32_e32 v104, 0
	s_mov_b32 s20, exec_lo
	v_cmpx_lt_u32_e32 0xffffff, v30
	s_cbranch_execz .LBB329_1579
; %bb.1572:                             ;   in Loop: Header=BB329_11 Depth=1
	v_lshrrev_b32_e32 v8, 24, v30
	v_bfrev_b32_e32 v104, 1
	s_mov_b32 s21, exec_lo
	v_cmpx_ne_u32_e32 0x80, v8
	s_cbranch_execz .LBB329_1578
; %bb.1573:                             ;   in Loop: Header=BB329_11 Depth=1
	v_and_b32_e32 v2, 0x7f, v8
	v_mov_b32_e32 v104, 0x7c010000
	s_mov_b32 s22, exec_lo
	v_cmpx_ne_u32_e32 0x7f, v2
	s_cbranch_execz .LBB329_1577
; %bb.1574:                             ;   in Loop: Header=BB329_11 Depth=1
	v_and_b32_e32 v0, 7, v8
	v_lshrrev_b32_e32 v1, 3, v2
	s_mov_b32 s23, exec_lo
	v_cmpx_gt_u32_e32 8, v2
; %bb.1575:                             ;   in Loop: Header=BB329_11 Depth=1
	v_ffbh_u32_e32 v0, v0
	v_min_u32_e32 v2, 32, v0
	v_subrev_nc_u32_e32 v0, 28, v2
	v_lshlrev_b64 v[0:1], v0, v[8:9]
	v_sub_nc_u32_e32 v1, 29, v2
	v_and_b32_e32 v0, 7, v0
; %bb.1576:                             ;   in Loop: Header=BB329_11 Depth=1
	s_or_b32 exec_lo, exec_lo, s23
	v_lshlrev_b32_e32 v2, 8, v8
	v_lshl_add_u32 v1, v1, 10, 0x2000
	v_lshlrev_b32_e32 v0, 23, v0
	v_and_or_b32 v1, 0x8000, v2, v1
	v_lshl_or_b32 v104, v1, 16, v0
.LBB329_1577:                           ;   in Loop: Header=BB329_11 Depth=1
	s_or_b32 exec_lo, exec_lo, s22
.LBB329_1578:                           ;   in Loop: Header=BB329_11 Depth=1
	s_or_b32 exec_lo, exec_lo, s21
.LBB329_1579:                           ;   in Loop: Header=BB329_11 Depth=1
	s_or_b32 exec_lo, exec_lo, s20
	v_mov_b32_e32 v8, v31
	v_cmp_ne_u16_sdwa s5, v31, v9 src0_sel:BYTE_0 src1_sel:DWORD
	s_and_saveexec_b32 s20, s5
	s_cbranch_execz .LBB329_1587
; %bb.1580:                             ;   in Loop: Header=BB329_11 Depth=1
	v_cmp_ne_u16_sdwa s5, v31, v124 src0_sel:BYTE_0 src1_sel:DWORD
	v_mov_b32_e32 v93, 0x8000
	s_and_saveexec_b32 s21, s5
	s_cbranch_execz .LBB329_1586
; %bb.1581:                             ;   in Loop: Header=BB329_11 Depth=1
	v_and_b32_e32 v2, 0x7f, v31
	v_mov_b32_e32 v93, 0x7c01
	s_mov_b32 s22, exec_lo
	v_cmpx_ne_u32_e32 0x7f, v2
	s_cbranch_execz .LBB329_1585
; %bb.1582:                             ;   in Loop: Header=BB329_11 Depth=1
	v_and_b32_e32 v0, 7, v31
	v_lshrrev_b32_e32 v1, 3, v2
	s_mov_b32 s23, exec_lo
	v_cmpx_gt_u32_e32 8, v2
; %bb.1583:                             ;   in Loop: Header=BB329_11 Depth=1
	v_ffbh_u32_e32 v0, v0
	v_min_u32_e32 v2, 32, v0
	v_subrev_nc_u32_e32 v0, 28, v2
	v_lshlrev_b64 v[0:1], v0, v[8:9]
	v_sub_nc_u32_e32 v1, 29, v2
	v_and_b32_e32 v0, 7, v0
; %bb.1584:                             ;   in Loop: Header=BB329_11 Depth=1
	s_or_b32 exec_lo, exec_lo, s23
	v_lshlrev_b32_e32 v2, 8, v31
	v_lshl_add_u32 v1, v1, 10, 0x2000
	v_lshlrev_b32_e32 v0, 7, v0
	v_and_b32_e32 v2, 0x8000, v2
	v_and_b32_e32 v1, 0xfc00, v1
	v_or3_b32 v93, v2, v1, v0
.LBB329_1585:                           ;   in Loop: Header=BB329_11 Depth=1
	s_or_b32 exec_lo, exec_lo, s22
.LBB329_1586:                           ;   in Loop: Header=BB329_11 Depth=1
	s_or_b32 exec_lo, exec_lo, s21
.LBB329_1587:                           ;   in Loop: Header=BB329_11 Depth=1
	s_or_b32 exec_lo, exec_lo, s20
	v_lshrrev_b16 v8, 8, v8
	v_mov_b32_e32 v7, 0
	v_mov_b32_e32 v106, 0
	s_mov_b32 s20, exec_lo
	v_cmpx_ne_u16_e32 0, v8
	s_cbranch_execz .LBB329_1595
; %bb.1588:                             ;   in Loop: Header=BB329_11 Depth=1
	v_bfrev_b32_e32 v106, 1
	s_mov_b32 s21, exec_lo
	v_cmpx_ne_u16_e32 0x80, v8
	s_cbranch_execz .LBB329_1594
; %bb.1589:                             ;   in Loop: Header=BB329_11 Depth=1
	v_mov_b32_e32 v0, 0x7f
	v_mov_b32_e32 v106, 0x7c010000
	s_mov_b32 s22, exec_lo
	v_and_b32_sdwa v2, v8, v0 dst_sel:DWORD dst_unused:UNUSED_PAD src0_sel:WORD_0 src1_sel:DWORD
	v_cmpx_ne_u32_e32 0x7f, v2
	s_cbranch_execz .LBB329_1593
; %bb.1590:                             ;   in Loop: Header=BB329_11 Depth=1
	v_mov_b32_e32 v0, 7
	v_lshrrev_b32_e32 v1, 3, v2
	s_mov_b32 s23, exec_lo
	v_and_b32_sdwa v0, v8, v0 dst_sel:DWORD dst_unused:UNUSED_PAD src0_sel:WORD_0 src1_sel:DWORD
	v_cmpx_gt_u32_e32 8, v2
; %bb.1591:                             ;   in Loop: Header=BB329_11 Depth=1
	v_ffbh_u32_e32 v0, v0
	v_min_u32_e32 v2, 32, v0
	v_subrev_nc_u32_e32 v0, 28, v2
	v_lshlrev_b64 v[0:1], v0, v[8:9]
	v_sub_nc_u32_e32 v1, 29, v2
	v_and_b32_e32 v0, 7, v0
; %bb.1592:                             ;   in Loop: Header=BB329_11 Depth=1
	s_or_b32 exec_lo, exec_lo, s23
	v_mov_b32_e32 v2, 8
	v_lshl_add_u32 v1, v1, 10, 0x2000
	v_lshlrev_b32_e32 v0, 23, v0
	v_lshlrev_b32_sdwa v2, v2, v8 dst_sel:DWORD dst_unused:UNUSED_PAD src0_sel:DWORD src1_sel:WORD_0
	v_and_or_b32 v1, 0x8000, v2, v1
	v_lshl_or_b32 v106, v1, 16, v0
.LBB329_1593:                           ;   in Loop: Header=BB329_11 Depth=1
	s_or_b32 exec_lo, exec_lo, s22
.LBB329_1594:                           ;   in Loop: Header=BB329_11 Depth=1
	s_or_b32 exec_lo, exec_lo, s21
.LBB329_1595:                           ;   in Loop: Header=BB329_11 Depth=1
	s_or_b32 exec_lo, exec_lo, s20
	v_lshrrev_b32_e32 v8, 16, v31
	v_cmp_ne_u16_sdwa s5, v8, v9 src0_sel:BYTE_0 src1_sel:DWORD
	s_and_saveexec_b32 s20, s5
	s_cbranch_execz .LBB329_1603
; %bb.1596:                             ;   in Loop: Header=BB329_11 Depth=1
	v_cmp_ne_u16_sdwa s5, v8, v124 src0_sel:BYTE_0 src1_sel:DWORD
	v_mov_b32_e32 v7, 0x8000
	s_and_saveexec_b32 s21, s5
	s_cbranch_execz .LBB329_1602
; %bb.1597:                             ;   in Loop: Header=BB329_11 Depth=1
	v_bfe_u32 v2, v31, 16, 7
	v_mov_b32_e32 v7, 0x7c01
	s_mov_b32 s22, exec_lo
	v_cmpx_ne_u32_e32 0x7f, v2
	s_cbranch_execz .LBB329_1601
; %bb.1598:                             ;   in Loop: Header=BB329_11 Depth=1
	v_and_b32_e32 v0, 7, v8
	v_lshrrev_b32_e32 v1, 3, v2
	s_mov_b32 s23, exec_lo
	v_cmpx_gt_u32_e32 8, v2
; %bb.1599:                             ;   in Loop: Header=BB329_11 Depth=1
	v_ffbh_u32_e32 v0, v0
	v_min_u32_e32 v2, 32, v0
	v_subrev_nc_u32_e32 v0, 28, v2
	v_lshlrev_b64 v[0:1], v0, v[8:9]
	v_sub_nc_u32_e32 v1, 29, v2
	v_and_b32_e32 v0, 7, v0
; %bb.1600:                             ;   in Loop: Header=BB329_11 Depth=1
	s_or_b32 exec_lo, exec_lo, s23
	v_lshlrev_b32_e32 v2, 8, v8
	v_lshl_add_u32 v1, v1, 10, 0x2000
	v_lshlrev_b32_e32 v0, 7, v0
	v_and_b32_e32 v2, 0x8000, v2
	v_and_b32_e32 v1, 0xfc00, v1
	v_or3_b32 v7, v2, v1, v0
.LBB329_1601:                           ;   in Loop: Header=BB329_11 Depth=1
	s_or_b32 exec_lo, exec_lo, s22
.LBB329_1602:                           ;   in Loop: Header=BB329_11 Depth=1
	s_or_b32 exec_lo, exec_lo, s21
.LBB329_1603:                           ;   in Loop: Header=BB329_11 Depth=1
	s_or_b32 exec_lo, exec_lo, s20
	v_mov_b32_e32 v110, 0
	v_mov_b32_e32 v21, 0
	s_mov_b32 s20, exec_lo
	v_cmpx_lt_u64_e64 s[6:7], v[30:31]
	s_cbranch_execz .LBB329_1611
; %bb.1604:                             ;   in Loop: Header=BB329_11 Depth=1
	v_lshrrev_b32_e32 v8, 24, v31
	v_bfrev_b32_e32 v21, 1
	s_mov_b32 s21, exec_lo
	v_cmpx_ne_u32_e32 0x80, v8
	s_cbranch_execz .LBB329_1610
; %bb.1605:                             ;   in Loop: Header=BB329_11 Depth=1
	v_and_b32_e32 v2, 0x7f, v8
	v_mov_b32_e32 v21, 0x7c010000
	s_mov_b32 s22, exec_lo
	v_cmpx_ne_u32_e32 0x7f, v2
	s_cbranch_execz .LBB329_1609
; %bb.1606:                             ;   in Loop: Header=BB329_11 Depth=1
	v_and_b32_e32 v0, 7, v8
	v_lshrrev_b32_e32 v1, 3, v2
	s_mov_b32 s23, exec_lo
	v_cmpx_gt_u32_e32 8, v2
; %bb.1607:                             ;   in Loop: Header=BB329_11 Depth=1
	v_ffbh_u32_e32 v0, v0
	v_min_u32_e32 v2, 32, v0
	v_subrev_nc_u32_e32 v0, 28, v2
	v_lshlrev_b64 v[0:1], v0, v[8:9]
	v_sub_nc_u32_e32 v1, 29, v2
	v_and_b32_e32 v0, 7, v0
; %bb.1608:                             ;   in Loop: Header=BB329_11 Depth=1
	s_or_b32 exec_lo, exec_lo, s23
	v_lshlrev_b32_e32 v2, 8, v8
	v_lshl_add_u32 v1, v1, 10, 0x2000
	v_lshlrev_b32_e32 v0, 23, v0
	v_and_or_b32 v1, 0x8000, v2, v1
	v_lshl_or_b32 v21, v1, 16, v0
.LBB329_1609:                           ;   in Loop: Header=BB329_11 Depth=1
	s_or_b32 exec_lo, exec_lo, s22
.LBB329_1610:                           ;   in Loop: Header=BB329_11 Depth=1
	s_or_b32 exec_lo, exec_lo, s21
.LBB329_1611:                           ;   in Loop: Header=BB329_11 Depth=1
	s_or_b32 exec_lo, exec_lo, s20
	flat_load_dwordx2 v[30:31], v[28:29] offset:8
	s_waitcnt vmcnt(0) lgkmcnt(0)
	v_cmp_ne_u16_sdwa s5, v30, v9 src0_sel:BYTE_0 src1_sel:DWORD
	s_and_saveexec_b32 s20, s5
	s_cbranch_execz .LBB329_1619
; %bb.1612:                             ;   in Loop: Header=BB329_11 Depth=1
	v_cmp_ne_u16_sdwa s5, v30, v124 src0_sel:BYTE_0 src1_sel:DWORD
	v_mov_b32_e32 v110, 0x8000
	s_and_saveexec_b32 s21, s5
	s_cbranch_execz .LBB329_1618
; %bb.1613:                             ;   in Loop: Header=BB329_11 Depth=1
	v_and_b32_e32 v2, 0x7f, v30
	v_mov_b32_e32 v110, 0x7c01
	s_mov_b32 s22, exec_lo
	v_cmpx_ne_u32_e32 0x7f, v2
	s_cbranch_execz .LBB329_1617
; %bb.1614:                             ;   in Loop: Header=BB329_11 Depth=1
	v_and_b32_e32 v0, 7, v30
	v_lshrrev_b32_e32 v1, 3, v2
	s_mov_b32 s23, exec_lo
	v_cmpx_gt_u32_e32 8, v2
; %bb.1615:                             ;   in Loop: Header=BB329_11 Depth=1
	v_ffbh_u32_e32 v0, v0
	v_min_u32_e32 v2, 32, v0
	v_subrev_nc_u32_e32 v0, 28, v2
	v_lshlrev_b64 v[0:1], v0, v[30:31]
	v_sub_nc_u32_e32 v1, 29, v2
	v_and_b32_e32 v0, 7, v0
; %bb.1616:                             ;   in Loop: Header=BB329_11 Depth=1
	s_or_b32 exec_lo, exec_lo, s23
	v_lshlrev_b32_e32 v2, 8, v30
	v_lshl_add_u32 v1, v1, 10, 0x2000
	v_lshlrev_b32_e32 v0, 7, v0
	v_and_b32_e32 v2, 0x8000, v2
	v_and_b32_e32 v1, 0xfc00, v1
	v_or3_b32 v110, v2, v1, v0
.LBB329_1617:                           ;   in Loop: Header=BB329_11 Depth=1
	s_or_b32 exec_lo, exec_lo, s22
.LBB329_1618:                           ;   in Loop: Header=BB329_11 Depth=1
	s_or_b32 exec_lo, exec_lo, s21
.LBB329_1619:                           ;   in Loop: Header=BB329_11 Depth=1
	s_or_b32 exec_lo, exec_lo, s20
	v_lshrrev_b16 v8, 8, v30
	v_mov_b32_e32 v52, 0
	v_mov_b32_e32 v102, 0
	s_mov_b32 s20, exec_lo
	v_cmpx_ne_u16_e32 0, v8
	s_cbranch_execz .LBB329_1627
; %bb.1620:                             ;   in Loop: Header=BB329_11 Depth=1
	v_bfrev_b32_e32 v102, 1
	s_mov_b32 s21, exec_lo
	v_cmpx_ne_u16_e32 0x80, v8
	s_cbranch_execz .LBB329_1626
; %bb.1621:                             ;   in Loop: Header=BB329_11 Depth=1
	v_mov_b32_e32 v0, 0x7f
	v_mov_b32_e32 v102, 0x7c010000
	s_mov_b32 s22, exec_lo
	v_and_b32_sdwa v2, v8, v0 dst_sel:DWORD dst_unused:UNUSED_PAD src0_sel:WORD_0 src1_sel:DWORD
	v_cmpx_ne_u32_e32 0x7f, v2
	s_cbranch_execz .LBB329_1625
; %bb.1622:                             ;   in Loop: Header=BB329_11 Depth=1
	v_mov_b32_e32 v0, 7
	v_lshrrev_b32_e32 v1, 3, v2
	s_mov_b32 s23, exec_lo
	v_and_b32_sdwa v0, v8, v0 dst_sel:DWORD dst_unused:UNUSED_PAD src0_sel:WORD_0 src1_sel:DWORD
	v_cmpx_gt_u32_e32 8, v2
; %bb.1623:                             ;   in Loop: Header=BB329_11 Depth=1
	v_ffbh_u32_e32 v0, v0
	v_min_u32_e32 v2, 32, v0
	v_subrev_nc_u32_e32 v0, 28, v2
	v_lshlrev_b64 v[0:1], v0, v[8:9]
	v_sub_nc_u32_e32 v1, 29, v2
	v_and_b32_e32 v0, 7, v0
; %bb.1624:                             ;   in Loop: Header=BB329_11 Depth=1
	s_or_b32 exec_lo, exec_lo, s23
	v_mov_b32_e32 v2, 8
	v_lshl_add_u32 v1, v1, 10, 0x2000
	v_lshlrev_b32_e32 v0, 23, v0
	v_lshlrev_b32_sdwa v2, v2, v8 dst_sel:DWORD dst_unused:UNUSED_PAD src0_sel:DWORD src1_sel:WORD_0
	v_and_or_b32 v1, 0x8000, v2, v1
	v_lshl_or_b32 v102, v1, 16, v0
.LBB329_1625:                           ;   in Loop: Header=BB329_11 Depth=1
	s_or_b32 exec_lo, exec_lo, s22
.LBB329_1626:                           ;   in Loop: Header=BB329_11 Depth=1
	s_or_b32 exec_lo, exec_lo, s21
.LBB329_1627:                           ;   in Loop: Header=BB329_11 Depth=1
	s_or_b32 exec_lo, exec_lo, s20
	v_lshrrev_b32_e32 v8, 16, v30
	v_cmp_ne_u16_sdwa s5, v8, v9 src0_sel:BYTE_0 src1_sel:DWORD
	s_and_saveexec_b32 s20, s5
	s_cbranch_execz .LBB329_1635
; %bb.1628:                             ;   in Loop: Header=BB329_11 Depth=1
	v_cmp_ne_u16_sdwa s5, v8, v124 src0_sel:BYTE_0 src1_sel:DWORD
	v_mov_b32_e32 v52, 0x8000
	s_and_saveexec_b32 s21, s5
	s_cbranch_execz .LBB329_1634
; %bb.1629:                             ;   in Loop: Header=BB329_11 Depth=1
	v_bfe_u32 v2, v30, 16, 7
	v_mov_b32_e32 v52, 0x7c01
	s_mov_b32 s22, exec_lo
	v_cmpx_ne_u32_e32 0x7f, v2
	s_cbranch_execz .LBB329_1633
; %bb.1630:                             ;   in Loop: Header=BB329_11 Depth=1
	v_and_b32_e32 v0, 7, v8
	v_lshrrev_b32_e32 v1, 3, v2
	s_mov_b32 s23, exec_lo
	v_cmpx_gt_u32_e32 8, v2
; %bb.1631:                             ;   in Loop: Header=BB329_11 Depth=1
	v_ffbh_u32_e32 v0, v0
	v_min_u32_e32 v2, 32, v0
	v_subrev_nc_u32_e32 v0, 28, v2
	v_lshlrev_b64 v[0:1], v0, v[8:9]
	v_sub_nc_u32_e32 v1, 29, v2
	v_and_b32_e32 v0, 7, v0
; %bb.1632:                             ;   in Loop: Header=BB329_11 Depth=1
	s_or_b32 exec_lo, exec_lo, s23
	v_lshlrev_b32_e32 v2, 8, v8
	v_lshl_add_u32 v1, v1, 10, 0x2000
	v_lshlrev_b32_e32 v0, 7, v0
	v_and_b32_e32 v2, 0x8000, v2
	v_and_b32_e32 v1, 0xfc00, v1
	v_or3_b32 v52, v2, v1, v0
.LBB329_1633:                           ;   in Loop: Header=BB329_11 Depth=1
	s_or_b32 exec_lo, exec_lo, s22
.LBB329_1634:                           ;   in Loop: Header=BB329_11 Depth=1
	s_or_b32 exec_lo, exec_lo, s21
.LBB329_1635:                           ;   in Loop: Header=BB329_11 Depth=1
	s_or_b32 exec_lo, exec_lo, s20
	v_mov_b32_e32 v20, 0
	v_mov_b32_e32 v101, 0
	s_mov_b32 s20, exec_lo
	v_cmpx_lt_u32_e32 0xffffff, v30
	s_cbranch_execz .LBB329_1643
; %bb.1636:                             ;   in Loop: Header=BB329_11 Depth=1
	v_lshrrev_b32_e32 v8, 24, v30
	v_bfrev_b32_e32 v101, 1
	s_mov_b32 s21, exec_lo
	v_cmpx_ne_u32_e32 0x80, v8
	s_cbranch_execz .LBB329_1642
; %bb.1637:                             ;   in Loop: Header=BB329_11 Depth=1
	v_and_b32_e32 v2, 0x7f, v8
	v_mov_b32_e32 v101, 0x7c010000
	s_mov_b32 s22, exec_lo
	v_cmpx_ne_u32_e32 0x7f, v2
	s_cbranch_execz .LBB329_1641
; %bb.1638:                             ;   in Loop: Header=BB329_11 Depth=1
	v_and_b32_e32 v0, 7, v8
	v_lshrrev_b32_e32 v1, 3, v2
	s_mov_b32 s23, exec_lo
	v_cmpx_gt_u32_e32 8, v2
; %bb.1639:                             ;   in Loop: Header=BB329_11 Depth=1
	v_ffbh_u32_e32 v0, v0
	v_min_u32_e32 v2, 32, v0
	v_subrev_nc_u32_e32 v0, 28, v2
	v_lshlrev_b64 v[0:1], v0, v[8:9]
	v_sub_nc_u32_e32 v1, 29, v2
	v_and_b32_e32 v0, 7, v0
; %bb.1640:                             ;   in Loop: Header=BB329_11 Depth=1
	s_or_b32 exec_lo, exec_lo, s23
	v_lshlrev_b32_e32 v2, 8, v8
	v_lshl_add_u32 v1, v1, 10, 0x2000
	v_lshlrev_b32_e32 v0, 23, v0
	v_and_or_b32 v1, 0x8000, v2, v1
	v_lshl_or_b32 v101, v1, 16, v0
.LBB329_1641:                           ;   in Loop: Header=BB329_11 Depth=1
	s_or_b32 exec_lo, exec_lo, s22
.LBB329_1642:                           ;   in Loop: Header=BB329_11 Depth=1
	s_or_b32 exec_lo, exec_lo, s21
.LBB329_1643:                           ;   in Loop: Header=BB329_11 Depth=1
	s_or_b32 exec_lo, exec_lo, s20
	v_mov_b32_e32 v8, v31
	v_cmp_ne_u16_sdwa s5, v31, v9 src0_sel:BYTE_0 src1_sel:DWORD
	s_and_saveexec_b32 s20, s5
	s_cbranch_execz .LBB329_1651
; %bb.1644:                             ;   in Loop: Header=BB329_11 Depth=1
	v_cmp_ne_u16_sdwa s5, v31, v124 src0_sel:BYTE_0 src1_sel:DWORD
	v_mov_b32_e32 v20, 0x8000
	s_and_saveexec_b32 s21, s5
	s_cbranch_execz .LBB329_1650
; %bb.1645:                             ;   in Loop: Header=BB329_11 Depth=1
	v_and_b32_e32 v2, 0x7f, v31
	v_mov_b32_e32 v20, 0x7c01
	s_mov_b32 s22, exec_lo
	v_cmpx_ne_u32_e32 0x7f, v2
	s_cbranch_execz .LBB329_1649
; %bb.1646:                             ;   in Loop: Header=BB329_11 Depth=1
	v_and_b32_e32 v0, 7, v31
	v_lshrrev_b32_e32 v1, 3, v2
	s_mov_b32 s23, exec_lo
	v_cmpx_gt_u32_e32 8, v2
; %bb.1647:                             ;   in Loop: Header=BB329_11 Depth=1
	v_ffbh_u32_e32 v0, v0
	v_min_u32_e32 v2, 32, v0
	v_subrev_nc_u32_e32 v0, 28, v2
	v_lshlrev_b64 v[0:1], v0, v[8:9]
	v_sub_nc_u32_e32 v1, 29, v2
	v_and_b32_e32 v0, 7, v0
; %bb.1648:                             ;   in Loop: Header=BB329_11 Depth=1
	s_or_b32 exec_lo, exec_lo, s23
	v_lshlrev_b32_e32 v2, 8, v31
	v_lshl_add_u32 v1, v1, 10, 0x2000
	v_lshlrev_b32_e32 v0, 7, v0
	v_and_b32_e32 v2, 0x8000, v2
	v_and_b32_e32 v1, 0xfc00, v1
	v_or3_b32 v20, v2, v1, v0
.LBB329_1649:                           ;   in Loop: Header=BB329_11 Depth=1
	s_or_b32 exec_lo, exec_lo, s22
.LBB329_1650:                           ;   in Loop: Header=BB329_11 Depth=1
	s_or_b32 exec_lo, exec_lo, s21
.LBB329_1651:                           ;   in Loop: Header=BB329_11 Depth=1
	s_or_b32 exec_lo, exec_lo, s20
	v_lshrrev_b16 v8, 8, v8
	v_mov_b32_e32 v113, 0
	v_mov_b32_e32 v46, 0
	s_mov_b32 s20, exec_lo
	v_cmpx_ne_u16_e32 0, v8
	s_cbranch_execz .LBB329_1659
; %bb.1652:                             ;   in Loop: Header=BB329_11 Depth=1
	v_bfrev_b32_e32 v46, 1
	s_mov_b32 s21, exec_lo
	v_cmpx_ne_u16_e32 0x80, v8
	s_cbranch_execz .LBB329_1658
; %bb.1653:                             ;   in Loop: Header=BB329_11 Depth=1
	v_mov_b32_e32 v0, 0x7f
	v_mov_b32_e32 v46, 0x7c010000
	s_mov_b32 s22, exec_lo
	v_and_b32_sdwa v2, v8, v0 dst_sel:DWORD dst_unused:UNUSED_PAD src0_sel:WORD_0 src1_sel:DWORD
	v_cmpx_ne_u32_e32 0x7f, v2
	s_cbranch_execz .LBB329_1657
; %bb.1654:                             ;   in Loop: Header=BB329_11 Depth=1
	v_mov_b32_e32 v0, 7
	v_lshrrev_b32_e32 v1, 3, v2
	s_mov_b32 s23, exec_lo
	v_and_b32_sdwa v0, v8, v0 dst_sel:DWORD dst_unused:UNUSED_PAD src0_sel:WORD_0 src1_sel:DWORD
	v_cmpx_gt_u32_e32 8, v2
; %bb.1655:                             ;   in Loop: Header=BB329_11 Depth=1
	v_ffbh_u32_e32 v0, v0
	v_min_u32_e32 v2, 32, v0
	v_subrev_nc_u32_e32 v0, 28, v2
	v_lshlrev_b64 v[0:1], v0, v[8:9]
	v_sub_nc_u32_e32 v1, 29, v2
	v_and_b32_e32 v0, 7, v0
; %bb.1656:                             ;   in Loop: Header=BB329_11 Depth=1
	s_or_b32 exec_lo, exec_lo, s23
	v_mov_b32_e32 v2, 8
	v_lshl_add_u32 v1, v1, 10, 0x2000
	v_lshlrev_b32_e32 v0, 23, v0
	v_lshlrev_b32_sdwa v2, v2, v8 dst_sel:DWORD dst_unused:UNUSED_PAD src0_sel:DWORD src1_sel:WORD_0
	v_and_or_b32 v1, 0x8000, v2, v1
	v_lshl_or_b32 v46, v1, 16, v0
.LBB329_1657:                           ;   in Loop: Header=BB329_11 Depth=1
	s_or_b32 exec_lo, exec_lo, s22
.LBB329_1658:                           ;   in Loop: Header=BB329_11 Depth=1
	s_or_b32 exec_lo, exec_lo, s21
.LBB329_1659:                           ;   in Loop: Header=BB329_11 Depth=1
	s_or_b32 exec_lo, exec_lo, s20
	v_lshrrev_b32_e32 v8, 16, v31
	v_cmp_ne_u16_sdwa s5, v8, v9 src0_sel:BYTE_0 src1_sel:DWORD
	s_and_saveexec_b32 s20, s5
	s_cbranch_execz .LBB329_1667
; %bb.1660:                             ;   in Loop: Header=BB329_11 Depth=1
	v_cmp_ne_u16_sdwa s5, v8, v124 src0_sel:BYTE_0 src1_sel:DWORD
	v_mov_b32_e32 v113, 0x8000
	s_and_saveexec_b32 s21, s5
	s_cbranch_execz .LBB329_1666
; %bb.1661:                             ;   in Loop: Header=BB329_11 Depth=1
	v_bfe_u32 v2, v31, 16, 7
	v_mov_b32_e32 v113, 0x7c01
	s_mov_b32 s22, exec_lo
	v_cmpx_ne_u32_e32 0x7f, v2
	s_cbranch_execz .LBB329_1665
; %bb.1662:                             ;   in Loop: Header=BB329_11 Depth=1
	v_and_b32_e32 v0, 7, v8
	v_lshrrev_b32_e32 v1, 3, v2
	s_mov_b32 s23, exec_lo
	v_cmpx_gt_u32_e32 8, v2
; %bb.1663:                             ;   in Loop: Header=BB329_11 Depth=1
	v_ffbh_u32_e32 v0, v0
	v_min_u32_e32 v2, 32, v0
	v_subrev_nc_u32_e32 v0, 28, v2
	v_lshlrev_b64 v[0:1], v0, v[8:9]
	v_sub_nc_u32_e32 v1, 29, v2
	v_and_b32_e32 v0, 7, v0
; %bb.1664:                             ;   in Loop: Header=BB329_11 Depth=1
	s_or_b32 exec_lo, exec_lo, s23
	v_lshlrev_b32_e32 v2, 8, v8
	v_lshl_add_u32 v1, v1, 10, 0x2000
	v_lshlrev_b32_e32 v0, 7, v0
	v_and_b32_e32 v2, 0x8000, v2
	v_and_b32_e32 v1, 0xfc00, v1
	v_or3_b32 v113, v2, v1, v0
.LBB329_1665:                           ;   in Loop: Header=BB329_11 Depth=1
	s_or_b32 exec_lo, exec_lo, s22
.LBB329_1666:                           ;   in Loop: Header=BB329_11 Depth=1
	s_or_b32 exec_lo, exec_lo, s21
.LBB329_1667:                           ;   in Loop: Header=BB329_11 Depth=1
	s_or_b32 exec_lo, exec_lo, s20
	v_mov_b32_e32 v66, 0
	v_mov_b32_e32 v65, 0
	s_mov_b32 s20, exec_lo
	v_cmpx_lt_u64_e64 s[6:7], v[30:31]
	s_cbranch_execz .LBB329_1675
; %bb.1668:                             ;   in Loop: Header=BB329_11 Depth=1
	v_lshrrev_b32_e32 v8, 24, v31
	v_bfrev_b32_e32 v65, 1
	s_mov_b32 s21, exec_lo
	v_cmpx_ne_u32_e32 0x80, v8
	s_cbranch_execz .LBB329_1674
; %bb.1669:                             ;   in Loop: Header=BB329_11 Depth=1
	v_and_b32_e32 v2, 0x7f, v8
	v_mov_b32_e32 v65, 0x7c010000
	s_mov_b32 s22, exec_lo
	v_cmpx_ne_u32_e32 0x7f, v2
	s_cbranch_execz .LBB329_1673
; %bb.1670:                             ;   in Loop: Header=BB329_11 Depth=1
	v_and_b32_e32 v0, 7, v8
	v_lshrrev_b32_e32 v1, 3, v2
	s_mov_b32 s23, exec_lo
	v_cmpx_gt_u32_e32 8, v2
; %bb.1671:                             ;   in Loop: Header=BB329_11 Depth=1
	v_ffbh_u32_e32 v0, v0
	v_min_u32_e32 v2, 32, v0
	v_subrev_nc_u32_e32 v0, 28, v2
	v_lshlrev_b64 v[0:1], v0, v[8:9]
	v_sub_nc_u32_e32 v1, 29, v2
	v_and_b32_e32 v0, 7, v0
; %bb.1672:                             ;   in Loop: Header=BB329_11 Depth=1
	s_or_b32 exec_lo, exec_lo, s23
	v_lshlrev_b32_e32 v2, 8, v8
	v_lshl_add_u32 v1, v1, 10, 0x2000
	v_lshlrev_b32_e32 v0, 23, v0
	v_and_or_b32 v1, 0x8000, v2, v1
	v_lshl_or_b32 v65, v1, 16, v0
.LBB329_1673:                           ;   in Loop: Header=BB329_11 Depth=1
	s_or_b32 exec_lo, exec_lo, s22
.LBB329_1674:                           ;   in Loop: Header=BB329_11 Depth=1
	s_or_b32 exec_lo, exec_lo, s21
.LBB329_1675:                           ;   in Loop: Header=BB329_11 Depth=1
	s_or_b32 exec_lo, exec_lo, s20
	flat_load_dwordx2 v[30:31], v[28:29] offset:512
	s_waitcnt vmcnt(0) lgkmcnt(0)
	v_cmp_ne_u16_sdwa s5, v30, v9 src0_sel:BYTE_0 src1_sel:DWORD
	s_and_saveexec_b32 s20, s5
	s_cbranch_execz .LBB329_1683
; %bb.1676:                             ;   in Loop: Header=BB329_11 Depth=1
	v_cmp_ne_u16_sdwa s5, v30, v124 src0_sel:BYTE_0 src1_sel:DWORD
	v_mov_b32_e32 v66, 0x8000
	s_and_saveexec_b32 s21, s5
	s_cbranch_execz .LBB329_1682
; %bb.1677:                             ;   in Loop: Header=BB329_11 Depth=1
	v_and_b32_e32 v2, 0x7f, v30
	v_mov_b32_e32 v66, 0x7c01
	s_mov_b32 s22, exec_lo
	v_cmpx_ne_u32_e32 0x7f, v2
	s_cbranch_execz .LBB329_1681
; %bb.1678:                             ;   in Loop: Header=BB329_11 Depth=1
	v_and_b32_e32 v0, 7, v30
	v_lshrrev_b32_e32 v1, 3, v2
	s_mov_b32 s23, exec_lo
	v_cmpx_gt_u32_e32 8, v2
; %bb.1679:                             ;   in Loop: Header=BB329_11 Depth=1
	v_ffbh_u32_e32 v0, v0
	v_min_u32_e32 v2, 32, v0
	v_subrev_nc_u32_e32 v0, 28, v2
	v_lshlrev_b64 v[0:1], v0, v[30:31]
	v_sub_nc_u32_e32 v1, 29, v2
	v_and_b32_e32 v0, 7, v0
; %bb.1680:                             ;   in Loop: Header=BB329_11 Depth=1
	s_or_b32 exec_lo, exec_lo, s23
	v_lshlrev_b32_e32 v2, 8, v30
	v_lshl_add_u32 v1, v1, 10, 0x2000
	v_lshlrev_b32_e32 v0, 7, v0
	v_and_b32_e32 v2, 0x8000, v2
	v_and_b32_e32 v1, 0xfc00, v1
	v_or3_b32 v66, v2, v1, v0
.LBB329_1681:                           ;   in Loop: Header=BB329_11 Depth=1
	s_or_b32 exec_lo, exec_lo, s22
.LBB329_1682:                           ;   in Loop: Header=BB329_11 Depth=1
	s_or_b32 exec_lo, exec_lo, s21
.LBB329_1683:                           ;   in Loop: Header=BB329_11 Depth=1
	s_or_b32 exec_lo, exec_lo, s20
	v_lshrrev_b16 v8, 8, v30
	v_mov_b32_e32 v116, 0
	v_mov_b32_e32 v5, 0
	s_mov_b32 s20, exec_lo
	v_cmpx_ne_u16_e32 0, v8
	s_cbranch_execz .LBB329_1691
; %bb.1684:                             ;   in Loop: Header=BB329_11 Depth=1
	v_bfrev_b32_e32 v5, 1
	s_mov_b32 s21, exec_lo
	v_cmpx_ne_u16_e32 0x80, v8
	s_cbranch_execz .LBB329_1690
; %bb.1685:                             ;   in Loop: Header=BB329_11 Depth=1
	v_mov_b32_e32 v0, 0x7f
	v_mov_b32_e32 v5, 0x7c010000
	s_mov_b32 s22, exec_lo
	v_and_b32_sdwa v2, v8, v0 dst_sel:DWORD dst_unused:UNUSED_PAD src0_sel:WORD_0 src1_sel:DWORD
	v_cmpx_ne_u32_e32 0x7f, v2
	s_cbranch_execz .LBB329_1689
; %bb.1686:                             ;   in Loop: Header=BB329_11 Depth=1
	v_mov_b32_e32 v0, 7
	v_lshrrev_b32_e32 v1, 3, v2
	s_mov_b32 s23, exec_lo
	v_and_b32_sdwa v0, v8, v0 dst_sel:DWORD dst_unused:UNUSED_PAD src0_sel:WORD_0 src1_sel:DWORD
	v_cmpx_gt_u32_e32 8, v2
; %bb.1687:                             ;   in Loop: Header=BB329_11 Depth=1
	v_ffbh_u32_e32 v0, v0
	v_min_u32_e32 v2, 32, v0
	v_subrev_nc_u32_e32 v0, 28, v2
	v_lshlrev_b64 v[0:1], v0, v[8:9]
	v_sub_nc_u32_e32 v1, 29, v2
	v_and_b32_e32 v0, 7, v0
; %bb.1688:                             ;   in Loop: Header=BB329_11 Depth=1
	s_or_b32 exec_lo, exec_lo, s23
	v_mov_b32_e32 v2, 8
	v_lshl_add_u32 v1, v1, 10, 0x2000
	v_lshlrev_b32_e32 v0, 23, v0
	v_lshlrev_b32_sdwa v2, v2, v8 dst_sel:DWORD dst_unused:UNUSED_PAD src0_sel:DWORD src1_sel:WORD_0
	v_and_or_b32 v1, 0x8000, v2, v1
	v_lshl_or_b32 v5, v1, 16, v0
.LBB329_1689:                           ;   in Loop: Header=BB329_11 Depth=1
	s_or_b32 exec_lo, exec_lo, s22
.LBB329_1690:                           ;   in Loop: Header=BB329_11 Depth=1
	s_or_b32 exec_lo, exec_lo, s21
.LBB329_1691:                           ;   in Loop: Header=BB329_11 Depth=1
	s_or_b32 exec_lo, exec_lo, s20
	v_lshrrev_b32_e32 v8, 16, v30
	v_cmp_ne_u16_sdwa s5, v8, v9 src0_sel:BYTE_0 src1_sel:DWORD
	s_and_saveexec_b32 s20, s5
	s_cbranch_execz .LBB329_1699
; %bb.1692:                             ;   in Loop: Header=BB329_11 Depth=1
	v_cmp_ne_u16_sdwa s5, v8, v124 src0_sel:BYTE_0 src1_sel:DWORD
	v_mov_b32_e32 v116, 0x8000
	s_and_saveexec_b32 s21, s5
	s_cbranch_execz .LBB329_1698
; %bb.1693:                             ;   in Loop: Header=BB329_11 Depth=1
	v_bfe_u32 v2, v30, 16, 7
	v_mov_b32_e32 v116, 0x7c01
	s_mov_b32 s22, exec_lo
	v_cmpx_ne_u32_e32 0x7f, v2
	s_cbranch_execz .LBB329_1697
; %bb.1694:                             ;   in Loop: Header=BB329_11 Depth=1
	v_and_b32_e32 v0, 7, v8
	v_lshrrev_b32_e32 v1, 3, v2
	s_mov_b32 s23, exec_lo
	v_cmpx_gt_u32_e32 8, v2
; %bb.1695:                             ;   in Loop: Header=BB329_11 Depth=1
	v_ffbh_u32_e32 v0, v0
	v_min_u32_e32 v2, 32, v0
	v_subrev_nc_u32_e32 v0, 28, v2
	v_lshlrev_b64 v[0:1], v0, v[8:9]
	v_sub_nc_u32_e32 v1, 29, v2
	v_and_b32_e32 v0, 7, v0
; %bb.1696:                             ;   in Loop: Header=BB329_11 Depth=1
	s_or_b32 exec_lo, exec_lo, s23
	v_lshlrev_b32_e32 v2, 8, v8
	v_lshl_add_u32 v1, v1, 10, 0x2000
	v_lshlrev_b32_e32 v0, 7, v0
	v_and_b32_e32 v2, 0x8000, v2
	v_and_b32_e32 v1, 0xfc00, v1
	v_or3_b32 v116, v2, v1, v0
.LBB329_1697:                           ;   in Loop: Header=BB329_11 Depth=1
	s_or_b32 exec_lo, exec_lo, s22
.LBB329_1698:                           ;   in Loop: Header=BB329_11 Depth=1
	s_or_b32 exec_lo, exec_lo, s21
.LBB329_1699:                           ;   in Loop: Header=BB329_11 Depth=1
	s_or_b32 exec_lo, exec_lo, s20
	v_mov_b32_e32 v83, 0
	v_mov_b32_e32 v97, 0
	s_mov_b32 s20, exec_lo
	v_cmpx_lt_u32_e32 0xffffff, v30
	s_cbranch_execz .LBB329_1707
; %bb.1700:                             ;   in Loop: Header=BB329_11 Depth=1
	v_lshrrev_b32_e32 v8, 24, v30
	v_bfrev_b32_e32 v97, 1
	s_mov_b32 s21, exec_lo
	v_cmpx_ne_u32_e32 0x80, v8
	s_cbranch_execz .LBB329_1706
; %bb.1701:                             ;   in Loop: Header=BB329_11 Depth=1
	v_and_b32_e32 v2, 0x7f, v8
	v_mov_b32_e32 v97, 0x7c010000
	s_mov_b32 s22, exec_lo
	v_cmpx_ne_u32_e32 0x7f, v2
	s_cbranch_execz .LBB329_1705
; %bb.1702:                             ;   in Loop: Header=BB329_11 Depth=1
	v_and_b32_e32 v0, 7, v8
	v_lshrrev_b32_e32 v1, 3, v2
	s_mov_b32 s23, exec_lo
	v_cmpx_gt_u32_e32 8, v2
; %bb.1703:                             ;   in Loop: Header=BB329_11 Depth=1
	v_ffbh_u32_e32 v0, v0
	v_min_u32_e32 v2, 32, v0
	v_subrev_nc_u32_e32 v0, 28, v2
	v_lshlrev_b64 v[0:1], v0, v[8:9]
	v_sub_nc_u32_e32 v1, 29, v2
	v_and_b32_e32 v0, 7, v0
; %bb.1704:                             ;   in Loop: Header=BB329_11 Depth=1
	s_or_b32 exec_lo, exec_lo, s23
	v_lshlrev_b32_e32 v2, 8, v8
	v_lshl_add_u32 v1, v1, 10, 0x2000
	v_lshlrev_b32_e32 v0, 23, v0
	v_and_or_b32 v1, 0x8000, v2, v1
	v_lshl_or_b32 v97, v1, 16, v0
.LBB329_1705:                           ;   in Loop: Header=BB329_11 Depth=1
	s_or_b32 exec_lo, exec_lo, s22
.LBB329_1706:                           ;   in Loop: Header=BB329_11 Depth=1
	s_or_b32 exec_lo, exec_lo, s21
.LBB329_1707:                           ;   in Loop: Header=BB329_11 Depth=1
	s_or_b32 exec_lo, exec_lo, s20
	v_mov_b32_e32 v8, v31
	v_cmp_ne_u16_sdwa s5, v31, v9 src0_sel:BYTE_0 src1_sel:DWORD
	s_and_saveexec_b32 s20, s5
	s_cbranch_execz .LBB329_1715
; %bb.1708:                             ;   in Loop: Header=BB329_11 Depth=1
	v_cmp_ne_u16_sdwa s5, v31, v124 src0_sel:BYTE_0 src1_sel:DWORD
	v_mov_b32_e32 v83, 0x8000
	s_and_saveexec_b32 s21, s5
	s_cbranch_execz .LBB329_1714
; %bb.1709:                             ;   in Loop: Header=BB329_11 Depth=1
	v_and_b32_e32 v2, 0x7f, v31
	v_mov_b32_e32 v83, 0x7c01
	s_mov_b32 s22, exec_lo
	v_cmpx_ne_u32_e32 0x7f, v2
	s_cbranch_execz .LBB329_1713
; %bb.1710:                             ;   in Loop: Header=BB329_11 Depth=1
	v_and_b32_e32 v0, 7, v31
	v_lshrrev_b32_e32 v1, 3, v2
	s_mov_b32 s23, exec_lo
	v_cmpx_gt_u32_e32 8, v2
; %bb.1711:                             ;   in Loop: Header=BB329_11 Depth=1
	v_ffbh_u32_e32 v0, v0
	v_min_u32_e32 v2, 32, v0
	v_subrev_nc_u32_e32 v0, 28, v2
	v_lshlrev_b64 v[0:1], v0, v[8:9]
	v_sub_nc_u32_e32 v1, 29, v2
	v_and_b32_e32 v0, 7, v0
; %bb.1712:                             ;   in Loop: Header=BB329_11 Depth=1
	s_or_b32 exec_lo, exec_lo, s23
	v_lshlrev_b32_e32 v2, 8, v31
	v_lshl_add_u32 v1, v1, 10, 0x2000
	v_lshlrev_b32_e32 v0, 7, v0
	v_and_b32_e32 v2, 0x8000, v2
	v_and_b32_e32 v1, 0xfc00, v1
	v_or3_b32 v83, v2, v1, v0
.LBB329_1713:                           ;   in Loop: Header=BB329_11 Depth=1
	s_or_b32 exec_lo, exec_lo, s22
.LBB329_1714:                           ;   in Loop: Header=BB329_11 Depth=1
	s_or_b32 exec_lo, exec_lo, s21
.LBB329_1715:                           ;   in Loop: Header=BB329_11 Depth=1
	s_or_b32 exec_lo, exec_lo, s20
	v_lshrrev_b16 v8, 8, v8
	v_mov_b32_e32 v15, 0
	v_mov_b32_e32 v68, 0
	s_mov_b32 s20, exec_lo
	v_cmpx_ne_u16_e32 0, v8
	s_cbranch_execz .LBB329_1723
; %bb.1716:                             ;   in Loop: Header=BB329_11 Depth=1
	v_bfrev_b32_e32 v68, 1
	s_mov_b32 s21, exec_lo
	v_cmpx_ne_u16_e32 0x80, v8
	s_cbranch_execz .LBB329_1722
; %bb.1717:                             ;   in Loop: Header=BB329_11 Depth=1
	v_mov_b32_e32 v0, 0x7f
	v_mov_b32_e32 v68, 0x7c010000
	s_mov_b32 s22, exec_lo
	v_and_b32_sdwa v2, v8, v0 dst_sel:DWORD dst_unused:UNUSED_PAD src0_sel:WORD_0 src1_sel:DWORD
	v_cmpx_ne_u32_e32 0x7f, v2
	s_cbranch_execz .LBB329_1721
; %bb.1718:                             ;   in Loop: Header=BB329_11 Depth=1
	v_mov_b32_e32 v0, 7
	v_lshrrev_b32_e32 v1, 3, v2
	s_mov_b32 s23, exec_lo
	v_and_b32_sdwa v0, v8, v0 dst_sel:DWORD dst_unused:UNUSED_PAD src0_sel:WORD_0 src1_sel:DWORD
	v_cmpx_gt_u32_e32 8, v2
; %bb.1719:                             ;   in Loop: Header=BB329_11 Depth=1
	v_ffbh_u32_e32 v0, v0
	v_min_u32_e32 v2, 32, v0
	v_subrev_nc_u32_e32 v0, 28, v2
	v_lshlrev_b64 v[0:1], v0, v[8:9]
	v_sub_nc_u32_e32 v1, 29, v2
	v_and_b32_e32 v0, 7, v0
; %bb.1720:                             ;   in Loop: Header=BB329_11 Depth=1
	s_or_b32 exec_lo, exec_lo, s23
	v_mov_b32_e32 v2, 8
	v_lshl_add_u32 v1, v1, 10, 0x2000
	v_lshlrev_b32_e32 v0, 23, v0
	v_lshlrev_b32_sdwa v2, v2, v8 dst_sel:DWORD dst_unused:UNUSED_PAD src0_sel:DWORD src1_sel:WORD_0
	v_and_or_b32 v1, 0x8000, v2, v1
	v_lshl_or_b32 v68, v1, 16, v0
.LBB329_1721:                           ;   in Loop: Header=BB329_11 Depth=1
	s_or_b32 exec_lo, exec_lo, s22
.LBB329_1722:                           ;   in Loop: Header=BB329_11 Depth=1
	s_or_b32 exec_lo, exec_lo, s21
.LBB329_1723:                           ;   in Loop: Header=BB329_11 Depth=1
	s_or_b32 exec_lo, exec_lo, s20
	v_lshrrev_b32_e32 v8, 16, v31
	v_cmp_ne_u16_sdwa s5, v8, v9 src0_sel:BYTE_0 src1_sel:DWORD
	s_and_saveexec_b32 s20, s5
	s_cbranch_execz .LBB329_1731
; %bb.1724:                             ;   in Loop: Header=BB329_11 Depth=1
	v_cmp_ne_u16_sdwa s5, v8, v124 src0_sel:BYTE_0 src1_sel:DWORD
	v_mov_b32_e32 v15, 0x8000
	s_and_saveexec_b32 s21, s5
	s_cbranch_execz .LBB329_1730
; %bb.1725:                             ;   in Loop: Header=BB329_11 Depth=1
	v_bfe_u32 v2, v31, 16, 7
	v_mov_b32_e32 v15, 0x7c01
	s_mov_b32 s22, exec_lo
	v_cmpx_ne_u32_e32 0x7f, v2
	s_cbranch_execz .LBB329_1729
; %bb.1726:                             ;   in Loop: Header=BB329_11 Depth=1
	v_and_b32_e32 v0, 7, v8
	v_lshrrev_b32_e32 v1, 3, v2
	s_mov_b32 s23, exec_lo
	v_cmpx_gt_u32_e32 8, v2
; %bb.1727:                             ;   in Loop: Header=BB329_11 Depth=1
	v_ffbh_u32_e32 v0, v0
	v_min_u32_e32 v2, 32, v0
	v_subrev_nc_u32_e32 v0, 28, v2
	v_lshlrev_b64 v[0:1], v0, v[8:9]
	v_sub_nc_u32_e32 v1, 29, v2
	v_and_b32_e32 v0, 7, v0
; %bb.1728:                             ;   in Loop: Header=BB329_11 Depth=1
	s_or_b32 exec_lo, exec_lo, s23
	v_lshlrev_b32_e32 v2, 8, v8
	v_lshl_add_u32 v1, v1, 10, 0x2000
	v_lshlrev_b32_e32 v0, 7, v0
	v_and_b32_e32 v2, 0x8000, v2
	v_and_b32_e32 v1, 0xfc00, v1
	v_or3_b32 v15, v2, v1, v0
.LBB329_1729:                           ;   in Loop: Header=BB329_11 Depth=1
	s_or_b32 exec_lo, exec_lo, s22
.LBB329_1730:                           ;   in Loop: Header=BB329_11 Depth=1
	s_or_b32 exec_lo, exec_lo, s21
.LBB329_1731:                           ;   in Loop: Header=BB329_11 Depth=1
	s_or_b32 exec_lo, exec_lo, s20
	v_mov_b32_e32 v120, 0
	v_mov_b32_e32 v125, 0
	s_mov_b32 s20, exec_lo
	v_cmpx_lt_u64_e64 s[6:7], v[30:31]
	s_cbranch_execz .LBB329_1739
; %bb.1732:                             ;   in Loop: Header=BB329_11 Depth=1
	v_lshrrev_b32_e32 v8, 24, v31
	v_bfrev_b32_e32 v125, 1
	s_mov_b32 s21, exec_lo
	v_cmpx_ne_u32_e32 0x80, v8
	s_cbranch_execz .LBB329_1738
; %bb.1733:                             ;   in Loop: Header=BB329_11 Depth=1
	v_and_b32_e32 v2, 0x7f, v8
	v_mov_b32_e32 v125, 0x7c010000
	s_mov_b32 s22, exec_lo
	v_cmpx_ne_u32_e32 0x7f, v2
	s_cbranch_execz .LBB329_1737
; %bb.1734:                             ;   in Loop: Header=BB329_11 Depth=1
	v_and_b32_e32 v0, 7, v8
	v_lshrrev_b32_e32 v1, 3, v2
	s_mov_b32 s23, exec_lo
	v_cmpx_gt_u32_e32 8, v2
; %bb.1735:                             ;   in Loop: Header=BB329_11 Depth=1
	v_ffbh_u32_e32 v0, v0
	v_min_u32_e32 v2, 32, v0
	v_subrev_nc_u32_e32 v0, 28, v2
	v_lshlrev_b64 v[0:1], v0, v[8:9]
	v_sub_nc_u32_e32 v1, 29, v2
	v_and_b32_e32 v0, 7, v0
; %bb.1736:                             ;   in Loop: Header=BB329_11 Depth=1
	s_or_b32 exec_lo, exec_lo, s23
	v_lshlrev_b32_e32 v2, 8, v8
	v_lshl_add_u32 v1, v1, 10, 0x2000
	v_lshlrev_b32_e32 v0, 23, v0
	v_and_or_b32 v1, 0x8000, v2, v1
	v_lshl_or_b32 v125, v1, 16, v0
.LBB329_1737:                           ;   in Loop: Header=BB329_11 Depth=1
	s_or_b32 exec_lo, exec_lo, s22
.LBB329_1738:                           ;   in Loop: Header=BB329_11 Depth=1
	s_or_b32 exec_lo, exec_lo, s21
.LBB329_1739:                           ;   in Loop: Header=BB329_11 Depth=1
	s_or_b32 exec_lo, exec_lo, s20
	flat_load_dwordx2 v[30:31], v[28:29] offset:520
	s_waitcnt vmcnt(0) lgkmcnt(0)
	v_cmp_ne_u16_sdwa s5, v30, v9 src0_sel:BYTE_0 src1_sel:DWORD
	s_and_saveexec_b32 s20, s5
	s_cbranch_execz .LBB329_1747
; %bb.1740:                             ;   in Loop: Header=BB329_11 Depth=1
	v_cmp_ne_u16_sdwa s5, v30, v124 src0_sel:BYTE_0 src1_sel:DWORD
	v_mov_b32_e32 v120, 0x8000
	s_and_saveexec_b32 s21, s5
	s_cbranch_execz .LBB329_1746
; %bb.1741:                             ;   in Loop: Header=BB329_11 Depth=1
	v_and_b32_e32 v2, 0x7f, v30
	v_mov_b32_e32 v120, 0x7c01
	s_mov_b32 s22, exec_lo
	v_cmpx_ne_u32_e32 0x7f, v2
	s_cbranch_execz .LBB329_1745
; %bb.1742:                             ;   in Loop: Header=BB329_11 Depth=1
	v_and_b32_e32 v0, 7, v30
	v_lshrrev_b32_e32 v1, 3, v2
	s_mov_b32 s23, exec_lo
	v_cmpx_gt_u32_e32 8, v2
; %bb.1743:                             ;   in Loop: Header=BB329_11 Depth=1
	v_ffbh_u32_e32 v0, v0
	v_min_u32_e32 v2, 32, v0
	v_subrev_nc_u32_e32 v0, 28, v2
	v_lshlrev_b64 v[0:1], v0, v[30:31]
	v_sub_nc_u32_e32 v1, 29, v2
	v_and_b32_e32 v0, 7, v0
; %bb.1744:                             ;   in Loop: Header=BB329_11 Depth=1
	s_or_b32 exec_lo, exec_lo, s23
	v_lshlrev_b32_e32 v2, 8, v30
	v_lshl_add_u32 v1, v1, 10, 0x2000
	v_lshlrev_b32_e32 v0, 7, v0
	v_and_b32_e32 v2, 0x8000, v2
	v_and_b32_e32 v1, 0xfc00, v1
	v_or3_b32 v120, v2, v1, v0
.LBB329_1745:                           ;   in Loop: Header=BB329_11 Depth=1
	s_or_b32 exec_lo, exec_lo, s22
.LBB329_1746:                           ;   in Loop: Header=BB329_11 Depth=1
	s_or_b32 exec_lo, exec_lo, s21
.LBB329_1747:                           ;   in Loop: Header=BB329_11 Depth=1
	s_or_b32 exec_lo, exec_lo, s20
	v_lshrrev_b16 v8, 8, v30
	v_mov_b32_e32 v50, 0
	v_mov_b32_e32 v49, 0
	s_mov_b32 s20, exec_lo
	v_cmpx_ne_u16_e32 0, v8
	s_cbranch_execz .LBB329_1755
; %bb.1748:                             ;   in Loop: Header=BB329_11 Depth=1
	v_bfrev_b32_e32 v49, 1
	s_mov_b32 s21, exec_lo
	v_cmpx_ne_u16_e32 0x80, v8
	s_cbranch_execz .LBB329_1754
; %bb.1749:                             ;   in Loop: Header=BB329_11 Depth=1
	v_mov_b32_e32 v0, 0x7f
	v_mov_b32_e32 v49, 0x7c010000
	s_mov_b32 s22, exec_lo
	v_and_b32_sdwa v2, v8, v0 dst_sel:DWORD dst_unused:UNUSED_PAD src0_sel:WORD_0 src1_sel:DWORD
	v_cmpx_ne_u32_e32 0x7f, v2
	s_cbranch_execz .LBB329_1753
; %bb.1750:                             ;   in Loop: Header=BB329_11 Depth=1
	v_mov_b32_e32 v0, 7
	v_lshrrev_b32_e32 v1, 3, v2
	s_mov_b32 s23, exec_lo
	v_and_b32_sdwa v0, v8, v0 dst_sel:DWORD dst_unused:UNUSED_PAD src0_sel:WORD_0 src1_sel:DWORD
	v_cmpx_gt_u32_e32 8, v2
; %bb.1751:                             ;   in Loop: Header=BB329_11 Depth=1
	v_ffbh_u32_e32 v0, v0
	v_min_u32_e32 v2, 32, v0
	v_subrev_nc_u32_e32 v0, 28, v2
	v_lshlrev_b64 v[0:1], v0, v[8:9]
	v_sub_nc_u32_e32 v1, 29, v2
	v_and_b32_e32 v0, 7, v0
; %bb.1752:                             ;   in Loop: Header=BB329_11 Depth=1
	s_or_b32 exec_lo, exec_lo, s23
	v_mov_b32_e32 v2, 8
	v_lshl_add_u32 v1, v1, 10, 0x2000
	v_lshlrev_b32_e32 v0, 23, v0
	v_lshlrev_b32_sdwa v2, v2, v8 dst_sel:DWORD dst_unused:UNUSED_PAD src0_sel:DWORD src1_sel:WORD_0
	v_and_or_b32 v1, 0x8000, v2, v1
	v_lshl_or_b32 v49, v1, 16, v0
.LBB329_1753:                           ;   in Loop: Header=BB329_11 Depth=1
	s_or_b32 exec_lo, exec_lo, s22
.LBB329_1754:                           ;   in Loop: Header=BB329_11 Depth=1
	s_or_b32 exec_lo, exec_lo, s21
.LBB329_1755:                           ;   in Loop: Header=BB329_11 Depth=1
	s_or_b32 exec_lo, exec_lo, s20
	v_lshrrev_b32_e32 v8, 16, v30
	v_cmp_ne_u16_sdwa s5, v8, v9 src0_sel:BYTE_0 src1_sel:DWORD
	s_and_saveexec_b32 s20, s5
	s_cbranch_execz .LBB329_1763
; %bb.1756:                             ;   in Loop: Header=BB329_11 Depth=1
	v_cmp_ne_u16_sdwa s5, v8, v124 src0_sel:BYTE_0 src1_sel:DWORD
	v_mov_b32_e32 v50, 0x8000
	s_and_saveexec_b32 s21, s5
	s_cbranch_execz .LBB329_1762
; %bb.1757:                             ;   in Loop: Header=BB329_11 Depth=1
	v_bfe_u32 v2, v30, 16, 7
	v_mov_b32_e32 v50, 0x7c01
	s_mov_b32 s22, exec_lo
	v_cmpx_ne_u32_e32 0x7f, v2
	s_cbranch_execz .LBB329_1761
; %bb.1758:                             ;   in Loop: Header=BB329_11 Depth=1
	v_and_b32_e32 v0, 7, v8
	v_lshrrev_b32_e32 v1, 3, v2
	s_mov_b32 s23, exec_lo
	v_cmpx_gt_u32_e32 8, v2
; %bb.1759:                             ;   in Loop: Header=BB329_11 Depth=1
	v_ffbh_u32_e32 v0, v0
	v_min_u32_e32 v2, 32, v0
	v_subrev_nc_u32_e32 v0, 28, v2
	v_lshlrev_b64 v[0:1], v0, v[8:9]
	v_sub_nc_u32_e32 v1, 29, v2
	v_and_b32_e32 v0, 7, v0
; %bb.1760:                             ;   in Loop: Header=BB329_11 Depth=1
	s_or_b32 exec_lo, exec_lo, s23
	v_lshlrev_b32_e32 v2, 8, v8
	v_lshl_add_u32 v1, v1, 10, 0x2000
	v_lshlrev_b32_e32 v0, 7, v0
	v_and_b32_e32 v2, 0x8000, v2
	v_and_b32_e32 v1, 0xfc00, v1
	v_or3_b32 v50, v2, v1, v0
.LBB329_1761:                           ;   in Loop: Header=BB329_11 Depth=1
	s_or_b32 exec_lo, exec_lo, s22
.LBB329_1762:                           ;   in Loop: Header=BB329_11 Depth=1
	s_or_b32 exec_lo, exec_lo, s21
.LBB329_1763:                           ;   in Loop: Header=BB329_11 Depth=1
	s_or_b32 exec_lo, exec_lo, s20
	v_mov_b32_e32 v107, 0
	v_mov_b32_e32 v13, 0
	s_mov_b32 s20, exec_lo
	v_cmpx_lt_u32_e32 0xffffff, v30
	s_cbranch_execz .LBB329_1771
; %bb.1764:                             ;   in Loop: Header=BB329_11 Depth=1
	v_lshrrev_b32_e32 v8, 24, v30
	v_bfrev_b32_e32 v13, 1
	s_mov_b32 s21, exec_lo
	v_cmpx_ne_u32_e32 0x80, v8
	s_cbranch_execz .LBB329_1770
; %bb.1765:                             ;   in Loop: Header=BB329_11 Depth=1
	v_and_b32_e32 v2, 0x7f, v8
	v_mov_b32_e32 v13, 0x7c010000
	s_mov_b32 s22, exec_lo
	v_cmpx_ne_u32_e32 0x7f, v2
	s_cbranch_execz .LBB329_1769
; %bb.1766:                             ;   in Loop: Header=BB329_11 Depth=1
	v_and_b32_e32 v0, 7, v8
	v_lshrrev_b32_e32 v1, 3, v2
	s_mov_b32 s23, exec_lo
	v_cmpx_gt_u32_e32 8, v2
; %bb.1767:                             ;   in Loop: Header=BB329_11 Depth=1
	v_ffbh_u32_e32 v0, v0
	v_min_u32_e32 v2, 32, v0
	v_subrev_nc_u32_e32 v0, 28, v2
	v_lshlrev_b64 v[0:1], v0, v[8:9]
	v_sub_nc_u32_e32 v1, 29, v2
	v_and_b32_e32 v0, 7, v0
; %bb.1768:                             ;   in Loop: Header=BB329_11 Depth=1
	s_or_b32 exec_lo, exec_lo, s23
	v_lshlrev_b32_e32 v2, 8, v8
	v_lshl_add_u32 v1, v1, 10, 0x2000
	v_lshlrev_b32_e32 v0, 23, v0
	v_and_or_b32 v1, 0x8000, v2, v1
	v_lshl_or_b32 v13, v1, 16, v0
.LBB329_1769:                           ;   in Loop: Header=BB329_11 Depth=1
	s_or_b32 exec_lo, exec_lo, s22
.LBB329_1770:                           ;   in Loop: Header=BB329_11 Depth=1
	s_or_b32 exec_lo, exec_lo, s21
.LBB329_1771:                           ;   in Loop: Header=BB329_11 Depth=1
	s_or_b32 exec_lo, exec_lo, s20
	v_mov_b32_e32 v8, v31
	v_cmp_ne_u16_sdwa s5, v31, v9 src0_sel:BYTE_0 src1_sel:DWORD
	s_and_saveexec_b32 s20, s5
	s_cbranch_execz .LBB329_1779
; %bb.1772:                             ;   in Loop: Header=BB329_11 Depth=1
	v_cmp_ne_u16_sdwa s5, v31, v124 src0_sel:BYTE_0 src1_sel:DWORD
	v_mov_b32_e32 v107, 0x8000
	s_and_saveexec_b32 s21, s5
	s_cbranch_execz .LBB329_1778
; %bb.1773:                             ;   in Loop: Header=BB329_11 Depth=1
	v_and_b32_e32 v2, 0x7f, v31
	v_mov_b32_e32 v107, 0x7c01
	s_mov_b32 s22, exec_lo
	v_cmpx_ne_u32_e32 0x7f, v2
	s_cbranch_execz .LBB329_1777
; %bb.1774:                             ;   in Loop: Header=BB329_11 Depth=1
	v_and_b32_e32 v0, 7, v31
	v_lshrrev_b32_e32 v1, 3, v2
	s_mov_b32 s23, exec_lo
	v_cmpx_gt_u32_e32 8, v2
; %bb.1775:                             ;   in Loop: Header=BB329_11 Depth=1
	v_ffbh_u32_e32 v0, v0
	v_min_u32_e32 v2, 32, v0
	v_subrev_nc_u32_e32 v0, 28, v2
	v_lshlrev_b64 v[0:1], v0, v[8:9]
	v_sub_nc_u32_e32 v1, 29, v2
	v_and_b32_e32 v0, 7, v0
; %bb.1776:                             ;   in Loop: Header=BB329_11 Depth=1
	s_or_b32 exec_lo, exec_lo, s23
	v_lshlrev_b32_e32 v2, 8, v31
	v_lshl_add_u32 v1, v1, 10, 0x2000
	v_lshlrev_b32_e32 v0, 7, v0
	v_and_b32_e32 v2, 0x8000, v2
	v_and_b32_e32 v1, 0xfc00, v1
	v_or3_b32 v107, v2, v1, v0
.LBB329_1777:                           ;   in Loop: Header=BB329_11 Depth=1
	s_or_b32 exec_lo, exec_lo, s22
.LBB329_1778:                           ;   in Loop: Header=BB329_11 Depth=1
	s_or_b32 exec_lo, exec_lo, s21
.LBB329_1779:                           ;   in Loop: Header=BB329_11 Depth=1
	s_or_b32 exec_lo, exec_lo, s20
	v_lshrrev_b16 v8, 8, v8
	v_mov_b32_e32 v109, 0
	v_mov_b32_e32 v69, 0
	s_mov_b32 s20, exec_lo
	v_cmpx_ne_u16_e32 0, v8
	s_cbranch_execz .LBB329_1787
; %bb.1780:                             ;   in Loop: Header=BB329_11 Depth=1
	v_bfrev_b32_e32 v69, 1
	s_mov_b32 s21, exec_lo
	v_cmpx_ne_u16_e32 0x80, v8
	s_cbranch_execz .LBB329_1786
; %bb.1781:                             ;   in Loop: Header=BB329_11 Depth=1
	v_mov_b32_e32 v0, 0x7f
	v_mov_b32_e32 v69, 0x7c010000
	s_mov_b32 s22, exec_lo
	v_and_b32_sdwa v2, v8, v0 dst_sel:DWORD dst_unused:UNUSED_PAD src0_sel:WORD_0 src1_sel:DWORD
	v_cmpx_ne_u32_e32 0x7f, v2
	s_cbranch_execz .LBB329_1785
; %bb.1782:                             ;   in Loop: Header=BB329_11 Depth=1
	v_mov_b32_e32 v0, 7
	v_lshrrev_b32_e32 v1, 3, v2
	s_mov_b32 s23, exec_lo
	v_and_b32_sdwa v0, v8, v0 dst_sel:DWORD dst_unused:UNUSED_PAD src0_sel:WORD_0 src1_sel:DWORD
	v_cmpx_gt_u32_e32 8, v2
; %bb.1783:                             ;   in Loop: Header=BB329_11 Depth=1
	v_ffbh_u32_e32 v0, v0
	v_min_u32_e32 v2, 32, v0
	v_subrev_nc_u32_e32 v0, 28, v2
	v_lshlrev_b64 v[0:1], v0, v[8:9]
	v_sub_nc_u32_e32 v1, 29, v2
	v_and_b32_e32 v0, 7, v0
; %bb.1784:                             ;   in Loop: Header=BB329_11 Depth=1
	s_or_b32 exec_lo, exec_lo, s23
	v_mov_b32_e32 v2, 8
	v_lshl_add_u32 v1, v1, 10, 0x2000
	v_lshlrev_b32_e32 v0, 23, v0
	v_lshlrev_b32_sdwa v2, v2, v8 dst_sel:DWORD dst_unused:UNUSED_PAD src0_sel:DWORD src1_sel:WORD_0
	v_and_or_b32 v1, 0x8000, v2, v1
	v_lshl_or_b32 v69, v1, 16, v0
.LBB329_1785:                           ;   in Loop: Header=BB329_11 Depth=1
	s_or_b32 exec_lo, exec_lo, s22
.LBB329_1786:                           ;   in Loop: Header=BB329_11 Depth=1
	s_or_b32 exec_lo, exec_lo, s21
.LBB329_1787:                           ;   in Loop: Header=BB329_11 Depth=1
	s_or_b32 exec_lo, exec_lo, s20
	v_lshrrev_b32_e32 v8, 16, v31
	v_cmp_ne_u16_sdwa s5, v8, v9 src0_sel:BYTE_0 src1_sel:DWORD
	s_and_saveexec_b32 s20, s5
	s_cbranch_execz .LBB329_1795
; %bb.1788:                             ;   in Loop: Header=BB329_11 Depth=1
	v_cmp_ne_u16_sdwa s5, v8, v124 src0_sel:BYTE_0 src1_sel:DWORD
	v_mov_b32_e32 v109, 0x8000
	s_and_saveexec_b32 s21, s5
	s_cbranch_execz .LBB329_1794
; %bb.1789:                             ;   in Loop: Header=BB329_11 Depth=1
	v_bfe_u32 v2, v31, 16, 7
	v_mov_b32_e32 v109, 0x7c01
	s_mov_b32 s22, exec_lo
	v_cmpx_ne_u32_e32 0x7f, v2
	s_cbranch_execz .LBB329_1793
; %bb.1790:                             ;   in Loop: Header=BB329_11 Depth=1
	v_and_b32_e32 v0, 7, v8
	v_lshrrev_b32_e32 v1, 3, v2
	s_mov_b32 s23, exec_lo
	v_cmpx_gt_u32_e32 8, v2
; %bb.1791:                             ;   in Loop: Header=BB329_11 Depth=1
	v_ffbh_u32_e32 v0, v0
	v_min_u32_e32 v2, 32, v0
	v_subrev_nc_u32_e32 v0, 28, v2
	v_lshlrev_b64 v[0:1], v0, v[8:9]
	v_sub_nc_u32_e32 v1, 29, v2
	v_and_b32_e32 v0, 7, v0
; %bb.1792:                             ;   in Loop: Header=BB329_11 Depth=1
	s_or_b32 exec_lo, exec_lo, s23
	v_lshlrev_b32_e32 v2, 8, v8
	v_lshl_add_u32 v1, v1, 10, 0x2000
	v_lshlrev_b32_e32 v0, 7, v0
	v_and_b32_e32 v2, 0x8000, v2
	v_and_b32_e32 v1, 0xfc00, v1
	v_or3_b32 v109, v2, v1, v0
.LBB329_1793:                           ;   in Loop: Header=BB329_11 Depth=1
	s_or_b32 exec_lo, exec_lo, s22
.LBB329_1794:                           ;   in Loop: Header=BB329_11 Depth=1
	s_or_b32 exec_lo, exec_lo, s21
.LBB329_1795:                           ;   in Loop: Header=BB329_11 Depth=1
	s_or_b32 exec_lo, exec_lo, s20
	v_mov_b32_e32 v10, 0
	v_mov_b32_e32 v92, 0
	s_mov_b32 s20, exec_lo
	v_cmpx_lt_u64_e64 s[6:7], v[30:31]
	s_cbranch_execz .LBB329_1803
; %bb.1796:                             ;   in Loop: Header=BB329_11 Depth=1
	v_lshrrev_b32_e32 v8, 24, v31
	v_bfrev_b32_e32 v92, 1
	s_mov_b32 s21, exec_lo
	v_cmpx_ne_u32_e32 0x80, v8
	s_cbranch_execz .LBB329_1802
; %bb.1797:                             ;   in Loop: Header=BB329_11 Depth=1
	v_and_b32_e32 v2, 0x7f, v8
	v_mov_b32_e32 v92, 0x7c010000
	s_mov_b32 s22, exec_lo
	v_cmpx_ne_u32_e32 0x7f, v2
	s_cbranch_execz .LBB329_1801
; %bb.1798:                             ;   in Loop: Header=BB329_11 Depth=1
	v_and_b32_e32 v0, 7, v8
	v_lshrrev_b32_e32 v1, 3, v2
	s_mov_b32 s23, exec_lo
	v_cmpx_gt_u32_e32 8, v2
; %bb.1799:                             ;   in Loop: Header=BB329_11 Depth=1
	v_ffbh_u32_e32 v0, v0
	v_min_u32_e32 v2, 32, v0
	v_subrev_nc_u32_e32 v0, 28, v2
	v_lshlrev_b64 v[0:1], v0, v[8:9]
	v_sub_nc_u32_e32 v1, 29, v2
	v_and_b32_e32 v0, 7, v0
; %bb.1800:                             ;   in Loop: Header=BB329_11 Depth=1
	s_or_b32 exec_lo, exec_lo, s23
	v_lshlrev_b32_e32 v2, 8, v8
	v_lshl_add_u32 v1, v1, 10, 0x2000
	v_lshlrev_b32_e32 v0, 23, v0
	v_and_or_b32 v1, 0x8000, v2, v1
	v_lshl_or_b32 v92, v1, 16, v0
.LBB329_1801:                           ;   in Loop: Header=BB329_11 Depth=1
	s_or_b32 exec_lo, exec_lo, s22
.LBB329_1802:                           ;   in Loop: Header=BB329_11 Depth=1
	s_or_b32 exec_lo, exec_lo, s21
.LBB329_1803:                           ;   in Loop: Header=BB329_11 Depth=1
	s_or_b32 exec_lo, exec_lo, s20
	flat_load_dwordx2 v[30:31], v[28:29] offset:1024
	s_waitcnt vmcnt(0) lgkmcnt(0)
	v_cmp_ne_u16_sdwa s5, v30, v9 src0_sel:BYTE_0 src1_sel:DWORD
	s_and_saveexec_b32 s20, s5
	s_cbranch_execz .LBB329_1811
; %bb.1804:                             ;   in Loop: Header=BB329_11 Depth=1
	v_cmp_ne_u16_sdwa s5, v30, v124 src0_sel:BYTE_0 src1_sel:DWORD
	v_mov_b32_e32 v10, 0x8000
	s_and_saveexec_b32 s21, s5
	s_cbranch_execz .LBB329_1810
; %bb.1805:                             ;   in Loop: Header=BB329_11 Depth=1
	v_and_b32_e32 v2, 0x7f, v30
	v_mov_b32_e32 v10, 0x7c01
	s_mov_b32 s22, exec_lo
	v_cmpx_ne_u32_e32 0x7f, v2
	s_cbranch_execz .LBB329_1809
; %bb.1806:                             ;   in Loop: Header=BB329_11 Depth=1
	v_and_b32_e32 v0, 7, v30
	v_lshrrev_b32_e32 v1, 3, v2
	s_mov_b32 s23, exec_lo
	v_cmpx_gt_u32_e32 8, v2
; %bb.1807:                             ;   in Loop: Header=BB329_11 Depth=1
	v_ffbh_u32_e32 v0, v0
	v_min_u32_e32 v2, 32, v0
	v_subrev_nc_u32_e32 v0, 28, v2
	v_lshlrev_b64 v[0:1], v0, v[30:31]
	v_sub_nc_u32_e32 v1, 29, v2
	v_and_b32_e32 v0, 7, v0
; %bb.1808:                             ;   in Loop: Header=BB329_11 Depth=1
	s_or_b32 exec_lo, exec_lo, s23
	v_lshlrev_b32_e32 v2, 8, v30
	v_lshl_add_u32 v1, v1, 10, 0x2000
	v_lshlrev_b32_e32 v0, 7, v0
	v_and_b32_e32 v2, 0x8000, v2
	v_and_b32_e32 v1, 0xfc00, v1
	v_or3_b32 v10, v2, v1, v0
.LBB329_1809:                           ;   in Loop: Header=BB329_11 Depth=1
	s_or_b32 exec_lo, exec_lo, s22
.LBB329_1810:                           ;   in Loop: Header=BB329_11 Depth=1
	s_or_b32 exec_lo, exec_lo, s21
.LBB329_1811:                           ;   in Loop: Header=BB329_11 Depth=1
	s_or_b32 exec_lo, exec_lo, s20
	v_lshrrev_b16 v8, 8, v30
	v_mov_b32_e32 v78, 0
	v_mov_b32_e32 v121, 0
	s_mov_b32 s20, exec_lo
	v_cmpx_ne_u16_e32 0, v8
	s_cbranch_execz .LBB329_1819
; %bb.1812:                             ;   in Loop: Header=BB329_11 Depth=1
	v_bfrev_b32_e32 v121, 1
	s_mov_b32 s21, exec_lo
	v_cmpx_ne_u16_e32 0x80, v8
	s_cbranch_execz .LBB329_1818
; %bb.1813:                             ;   in Loop: Header=BB329_11 Depth=1
	v_mov_b32_e32 v0, 0x7f
	v_mov_b32_e32 v121, 0x7c010000
	s_mov_b32 s22, exec_lo
	v_and_b32_sdwa v2, v8, v0 dst_sel:DWORD dst_unused:UNUSED_PAD src0_sel:WORD_0 src1_sel:DWORD
	v_cmpx_ne_u32_e32 0x7f, v2
	s_cbranch_execz .LBB329_1817
; %bb.1814:                             ;   in Loop: Header=BB329_11 Depth=1
	v_mov_b32_e32 v0, 7
	v_lshrrev_b32_e32 v1, 3, v2
	s_mov_b32 s23, exec_lo
	v_and_b32_sdwa v0, v8, v0 dst_sel:DWORD dst_unused:UNUSED_PAD src0_sel:WORD_0 src1_sel:DWORD
	v_cmpx_gt_u32_e32 8, v2
; %bb.1815:                             ;   in Loop: Header=BB329_11 Depth=1
	v_ffbh_u32_e32 v0, v0
	v_min_u32_e32 v2, 32, v0
	v_subrev_nc_u32_e32 v0, 28, v2
	v_lshlrev_b64 v[0:1], v0, v[8:9]
	v_sub_nc_u32_e32 v1, 29, v2
	v_and_b32_e32 v0, 7, v0
; %bb.1816:                             ;   in Loop: Header=BB329_11 Depth=1
	s_or_b32 exec_lo, exec_lo, s23
	v_mov_b32_e32 v2, 8
	v_lshl_add_u32 v1, v1, 10, 0x2000
	v_lshlrev_b32_e32 v0, 23, v0
	v_lshlrev_b32_sdwa v2, v2, v8 dst_sel:DWORD dst_unused:UNUSED_PAD src0_sel:DWORD src1_sel:WORD_0
	v_and_or_b32 v1, 0x8000, v2, v1
	v_lshl_or_b32 v121, v1, 16, v0
.LBB329_1817:                           ;   in Loop: Header=BB329_11 Depth=1
	s_or_b32 exec_lo, exec_lo, s22
.LBB329_1818:                           ;   in Loop: Header=BB329_11 Depth=1
	s_or_b32 exec_lo, exec_lo, s21
.LBB329_1819:                           ;   in Loop: Header=BB329_11 Depth=1
	s_or_b32 exec_lo, exec_lo, s20
	v_lshrrev_b32_e32 v8, 16, v30
	v_cmp_ne_u16_sdwa s5, v8, v9 src0_sel:BYTE_0 src1_sel:DWORD
	s_and_saveexec_b32 s20, s5
	s_cbranch_execz .LBB329_1827
; %bb.1820:                             ;   in Loop: Header=BB329_11 Depth=1
	v_cmp_ne_u16_sdwa s5, v8, v124 src0_sel:BYTE_0 src1_sel:DWORD
	v_mov_b32_e32 v78, 0x8000
	s_and_saveexec_b32 s21, s5
	s_cbranch_execz .LBB329_1826
; %bb.1821:                             ;   in Loop: Header=BB329_11 Depth=1
	v_bfe_u32 v2, v30, 16, 7
	v_mov_b32_e32 v78, 0x7c01
	s_mov_b32 s22, exec_lo
	v_cmpx_ne_u32_e32 0x7f, v2
	s_cbranch_execz .LBB329_1825
; %bb.1822:                             ;   in Loop: Header=BB329_11 Depth=1
	v_and_b32_e32 v0, 7, v8
	v_lshrrev_b32_e32 v1, 3, v2
	s_mov_b32 s23, exec_lo
	v_cmpx_gt_u32_e32 8, v2
; %bb.1823:                             ;   in Loop: Header=BB329_11 Depth=1
	v_ffbh_u32_e32 v0, v0
	v_min_u32_e32 v2, 32, v0
	v_subrev_nc_u32_e32 v0, 28, v2
	v_lshlrev_b64 v[0:1], v0, v[8:9]
	v_sub_nc_u32_e32 v1, 29, v2
	v_and_b32_e32 v0, 7, v0
; %bb.1824:                             ;   in Loop: Header=BB329_11 Depth=1
	s_or_b32 exec_lo, exec_lo, s23
	v_lshlrev_b32_e32 v2, 8, v8
	v_lshl_add_u32 v1, v1, 10, 0x2000
	v_lshlrev_b32_e32 v0, 7, v0
	v_and_b32_e32 v2, 0x8000, v2
	v_and_b32_e32 v1, 0xfc00, v1
	v_or3_b32 v78, v2, v1, v0
.LBB329_1825:                           ;   in Loop: Header=BB329_11 Depth=1
	s_or_b32 exec_lo, exec_lo, s22
.LBB329_1826:                           ;   in Loop: Header=BB329_11 Depth=1
	s_or_b32 exec_lo, exec_lo, s21
.LBB329_1827:                           ;   in Loop: Header=BB329_11 Depth=1
	s_or_b32 exec_lo, exec_lo, s20
	v_mov_b32_e32 v0, 0
	v_mov_b32_e32 v11, 0
	s_mov_b32 s20, exec_lo
	v_cmpx_lt_u32_e32 0xffffff, v30
	s_cbranch_execz .LBB329_1835
; %bb.1828:                             ;   in Loop: Header=BB329_11 Depth=1
	v_lshrrev_b32_e32 v8, 24, v30
	v_bfrev_b32_e32 v11, 1
	s_mov_b32 s21, exec_lo
	v_cmpx_ne_u32_e32 0x80, v8
	s_cbranch_execz .LBB329_1834
; %bb.1829:                             ;   in Loop: Header=BB329_11 Depth=1
	v_and_b32_e32 v12, 0x7f, v8
	v_mov_b32_e32 v11, 0x7c010000
	s_mov_b32 s22, exec_lo
	v_cmpx_ne_u32_e32 0x7f, v12
	s_cbranch_execz .LBB329_1833
; %bb.1830:                             ;   in Loop: Header=BB329_11 Depth=1
	v_and_b32_e32 v1, 7, v8
	v_lshrrev_b32_e32 v2, 3, v12
	s_mov_b32 s23, exec_lo
	v_cmpx_gt_u32_e32 8, v12
; %bb.1831:                             ;   in Loop: Header=BB329_11 Depth=1
	v_ffbh_u32_e32 v1, v1
	v_min_u32_e32 v3, 32, v1
	v_subrev_nc_u32_e32 v1, 28, v3
	v_lshlrev_b64 v[1:2], v1, v[8:9]
	v_sub_nc_u32_e32 v2, 29, v3
	v_and_b32_e32 v1, 7, v1
; %bb.1832:                             ;   in Loop: Header=BB329_11 Depth=1
	s_or_b32 exec_lo, exec_lo, s23
	v_lshlrev_b32_e32 v3, 8, v8
	v_lshl_add_u32 v2, v2, 10, 0x2000
	v_lshlrev_b32_e32 v1, 23, v1
	v_and_or_b32 v2, 0x8000, v3, v2
	v_lshl_or_b32 v11, v2, 16, v1
.LBB329_1833:                           ;   in Loop: Header=BB329_11 Depth=1
	s_or_b32 exec_lo, exec_lo, s22
.LBB329_1834:                           ;   in Loop: Header=BB329_11 Depth=1
	s_or_b32 exec_lo, exec_lo, s21
.LBB329_1835:                           ;   in Loop: Header=BB329_11 Depth=1
	s_or_b32 exec_lo, exec_lo, s20
	v_mov_b32_e32 v8, v31
	v_cmp_ne_u16_sdwa s5, v31, v9 src0_sel:BYTE_0 src1_sel:DWORD
	s_and_saveexec_b32 s20, s5
	s_cbranch_execz .LBB329_1843
; %bb.1836:                             ;   in Loop: Header=BB329_11 Depth=1
	v_cmp_ne_u16_sdwa s5, v31, v124 src0_sel:BYTE_0 src1_sel:DWORD
	v_mov_b32_e32 v0, 0x8000
	s_and_saveexec_b32 s21, s5
	s_cbranch_execz .LBB329_1842
; %bb.1837:                             ;   in Loop: Header=BB329_11 Depth=1
	v_and_b32_e32 v2, 0x7f, v31
	v_mov_b32_e32 v0, 0x7c01
	s_mov_b32 s22, exec_lo
	v_cmpx_ne_u32_e32 0x7f, v2
	s_cbranch_execz .LBB329_1841
; %bb.1838:                             ;   in Loop: Header=BB329_11 Depth=1
	v_and_b32_e32 v0, 7, v31
	v_lshrrev_b32_e32 v1, 3, v2
	s_mov_b32 s23, exec_lo
	v_cmpx_gt_u32_e32 8, v2
; %bb.1839:                             ;   in Loop: Header=BB329_11 Depth=1
	v_ffbh_u32_e32 v0, v0
	v_min_u32_e32 v2, 32, v0
	v_subrev_nc_u32_e32 v0, 28, v2
	v_lshlrev_b64 v[0:1], v0, v[8:9]
	v_sub_nc_u32_e32 v1, 29, v2
	v_and_b32_e32 v0, 7, v0
; %bb.1840:                             ;   in Loop: Header=BB329_11 Depth=1
	s_or_b32 exec_lo, exec_lo, s23
	v_lshlrev_b32_e32 v2, 8, v31
	v_lshl_add_u32 v1, v1, 10, 0x2000
	v_lshlrev_b32_e32 v0, 7, v0
	v_and_b32_e32 v2, 0x8000, v2
	v_and_b32_e32 v1, 0xfc00, v1
	v_or3_b32 v0, v2, v1, v0
.LBB329_1841:                           ;   in Loop: Header=BB329_11 Depth=1
	s_or_b32 exec_lo, exec_lo, s22
.LBB329_1842:                           ;   in Loop: Header=BB329_11 Depth=1
	s_or_b32 exec_lo, exec_lo, s21
.LBB329_1843:                           ;   in Loop: Header=BB329_11 Depth=1
	s_or_b32 exec_lo, exec_lo, s20
	v_lshrrev_b16 v8, 8, v8
	v_mov_b32_e32 v86, 0
	v_mov_b32_e32 v79, 0
	s_mov_b32 s20, exec_lo
	v_cmpx_ne_u16_e32 0, v8
	s_cbranch_execz .LBB329_1851
; %bb.1844:                             ;   in Loop: Header=BB329_11 Depth=1
	v_bfrev_b32_e32 v79, 1
	s_mov_b32 s21, exec_lo
	v_cmpx_ne_u16_e32 0x80, v8
	s_cbranch_execz .LBB329_1850
; %bb.1845:                             ;   in Loop: Header=BB329_11 Depth=1
	v_mov_b32_e32 v1, 0x7f
	v_mov_b32_e32 v79, 0x7c010000
	s_mov_b32 s22, exec_lo
	v_and_b32_sdwa v12, v8, v1 dst_sel:DWORD dst_unused:UNUSED_PAD src0_sel:WORD_0 src1_sel:DWORD
	v_cmpx_ne_u32_e32 0x7f, v12
	s_cbranch_execz .LBB329_1849
; %bb.1846:                             ;   in Loop: Header=BB329_11 Depth=1
	v_mov_b32_e32 v1, 7
	v_lshrrev_b32_e32 v2, 3, v12
	s_mov_b32 s23, exec_lo
	v_and_b32_sdwa v1, v8, v1 dst_sel:DWORD dst_unused:UNUSED_PAD src0_sel:WORD_0 src1_sel:DWORD
	v_cmpx_gt_u32_e32 8, v12
; %bb.1847:                             ;   in Loop: Header=BB329_11 Depth=1
	v_ffbh_u32_e32 v1, v1
	v_min_u32_e32 v3, 32, v1
	v_subrev_nc_u32_e32 v1, 28, v3
	v_lshlrev_b64 v[1:2], v1, v[8:9]
	v_sub_nc_u32_e32 v2, 29, v3
	v_and_b32_e32 v1, 7, v1
; %bb.1848:                             ;   in Loop: Header=BB329_11 Depth=1
	s_or_b32 exec_lo, exec_lo, s23
	v_mov_b32_e32 v3, 8
	v_lshl_add_u32 v2, v2, 10, 0x2000
	v_lshlrev_b32_e32 v1, 23, v1
	v_lshlrev_b32_sdwa v3, v3, v8 dst_sel:DWORD dst_unused:UNUSED_PAD src0_sel:DWORD src1_sel:WORD_0
	v_and_or_b32 v2, 0x8000, v3, v2
	v_lshl_or_b32 v79, v2, 16, v1
.LBB329_1849:                           ;   in Loop: Header=BB329_11 Depth=1
	s_or_b32 exec_lo, exec_lo, s22
.LBB329_1850:                           ;   in Loop: Header=BB329_11 Depth=1
	s_or_b32 exec_lo, exec_lo, s21
.LBB329_1851:                           ;   in Loop: Header=BB329_11 Depth=1
	s_or_b32 exec_lo, exec_lo, s20
	v_lshrrev_b32_e32 v8, 16, v31
	v_cmp_ne_u16_sdwa s5, v8, v9 src0_sel:BYTE_0 src1_sel:DWORD
	s_and_saveexec_b32 s20, s5
	s_cbranch_execz .LBB329_1859
; %bb.1852:                             ;   in Loop: Header=BB329_11 Depth=1
	v_cmp_ne_u16_sdwa s5, v8, v124 src0_sel:BYTE_0 src1_sel:DWORD
	v_mov_b32_e32 v86, 0x8000
	s_and_saveexec_b32 s21, s5
	s_cbranch_execz .LBB329_1858
; %bb.1853:                             ;   in Loop: Header=BB329_11 Depth=1
	v_bfe_u32 v12, v31, 16, 7
	v_mov_b32_e32 v86, 0x7c01
	s_mov_b32 s22, exec_lo
	v_cmpx_ne_u32_e32 0x7f, v12
	s_cbranch_execz .LBB329_1857
; %bb.1854:                             ;   in Loop: Header=BB329_11 Depth=1
	v_and_b32_e32 v1, 7, v8
	v_lshrrev_b32_e32 v2, 3, v12
	s_mov_b32 s23, exec_lo
	v_cmpx_gt_u32_e32 8, v12
; %bb.1855:                             ;   in Loop: Header=BB329_11 Depth=1
	v_ffbh_u32_e32 v1, v1
	v_min_u32_e32 v3, 32, v1
	v_subrev_nc_u32_e32 v1, 28, v3
	v_lshlrev_b64 v[1:2], v1, v[8:9]
	v_sub_nc_u32_e32 v2, 29, v3
	v_and_b32_e32 v1, 7, v1
; %bb.1856:                             ;   in Loop: Header=BB329_11 Depth=1
	s_or_b32 exec_lo, exec_lo, s23
	v_lshlrev_b32_e32 v3, 8, v8
	v_lshl_add_u32 v2, v2, 10, 0x2000
	v_lshlrev_b32_e32 v1, 7, v1
	v_and_b32_e32 v3, 0x8000, v3
	v_and_b32_e32 v2, 0xfc00, v2
	v_or3_b32 v86, v3, v2, v1
.LBB329_1857:                           ;   in Loop: Header=BB329_11 Depth=1
	s_or_b32 exec_lo, exec_lo, s22
.LBB329_1858:                           ;   in Loop: Header=BB329_11 Depth=1
	s_or_b32 exec_lo, exec_lo, s21
.LBB329_1859:                           ;   in Loop: Header=BB329_11 Depth=1
	s_or_b32 exec_lo, exec_lo, s20
	v_mov_b32_e32 v64, 0
	v_mov_b32_e32 v24, 0
	s_mov_b32 s20, exec_lo
	v_cmpx_lt_u64_e64 s[6:7], v[30:31]
	s_cbranch_execz .LBB329_1867
; %bb.1860:                             ;   in Loop: Header=BB329_11 Depth=1
	v_lshrrev_b32_e32 v8, 24, v31
	v_bfrev_b32_e32 v24, 1
	s_mov_b32 s21, exec_lo
	v_cmpx_ne_u32_e32 0x80, v8
	s_cbranch_execz .LBB329_1866
; %bb.1861:                             ;   in Loop: Header=BB329_11 Depth=1
	v_and_b32_e32 v12, 0x7f, v8
	v_mov_b32_e32 v24, 0x7c010000
	s_mov_b32 s22, exec_lo
	v_cmpx_ne_u32_e32 0x7f, v12
	s_cbranch_execz .LBB329_1865
; %bb.1862:                             ;   in Loop: Header=BB329_11 Depth=1
	v_and_b32_e32 v1, 7, v8
	v_lshrrev_b32_e32 v2, 3, v12
	s_mov_b32 s23, exec_lo
	v_cmpx_gt_u32_e32 8, v12
; %bb.1863:                             ;   in Loop: Header=BB329_11 Depth=1
	v_ffbh_u32_e32 v1, v1
	v_min_u32_e32 v3, 32, v1
	v_subrev_nc_u32_e32 v1, 28, v3
	v_lshlrev_b64 v[1:2], v1, v[8:9]
	v_sub_nc_u32_e32 v2, 29, v3
	v_and_b32_e32 v1, 7, v1
; %bb.1864:                             ;   in Loop: Header=BB329_11 Depth=1
	s_or_b32 exec_lo, exec_lo, s23
	v_lshlrev_b32_e32 v3, 8, v8
	v_lshl_add_u32 v2, v2, 10, 0x2000
	v_lshlrev_b32_e32 v1, 23, v1
	v_and_or_b32 v2, 0x8000, v3, v2
	v_lshl_or_b32 v24, v2, 16, v1
.LBB329_1865:                           ;   in Loop: Header=BB329_11 Depth=1
	s_or_b32 exec_lo, exec_lo, s22
.LBB329_1866:                           ;   in Loop: Header=BB329_11 Depth=1
	s_or_b32 exec_lo, exec_lo, s21
.LBB329_1867:                           ;   in Loop: Header=BB329_11 Depth=1
	s_or_b32 exec_lo, exec_lo, s20
	flat_load_dwordx2 v[30:31], v[28:29] offset:1032
	s_waitcnt vmcnt(0) lgkmcnt(0)
	v_cmp_ne_u16_sdwa s5, v30, v9 src0_sel:BYTE_0 src1_sel:DWORD
	s_and_saveexec_b32 s20, s5
	s_cbranch_execz .LBB329_1875
; %bb.1868:                             ;   in Loop: Header=BB329_11 Depth=1
	v_cmp_ne_u16_sdwa s5, v30, v124 src0_sel:BYTE_0 src1_sel:DWORD
	v_mov_b32_e32 v64, 0x8000
	s_and_saveexec_b32 s21, s5
	s_cbranch_execz .LBB329_1874
; %bb.1869:                             ;   in Loop: Header=BB329_11 Depth=1
	v_and_b32_e32 v8, 0x7f, v30
	v_mov_b32_e32 v64, 0x7c01
	s_mov_b32 s22, exec_lo
	v_cmpx_ne_u32_e32 0x7f, v8
	s_cbranch_execz .LBB329_1873
; %bb.1870:                             ;   in Loop: Header=BB329_11 Depth=1
	v_and_b32_e32 v1, 7, v30
	v_lshrrev_b32_e32 v2, 3, v8
	s_mov_b32 s23, exec_lo
	v_cmpx_gt_u32_e32 8, v8
; %bb.1871:                             ;   in Loop: Header=BB329_11 Depth=1
	v_ffbh_u32_e32 v1, v1
	v_min_u32_e32 v3, 32, v1
	v_subrev_nc_u32_e32 v1, 28, v3
	v_lshlrev_b64 v[1:2], v1, v[30:31]
	v_sub_nc_u32_e32 v2, 29, v3
	v_and_b32_e32 v1, 7, v1
; %bb.1872:                             ;   in Loop: Header=BB329_11 Depth=1
	s_or_b32 exec_lo, exec_lo, s23
	v_lshlrev_b32_e32 v3, 8, v30
	v_lshl_add_u32 v2, v2, 10, 0x2000
	v_lshlrev_b32_e32 v1, 7, v1
	v_and_b32_e32 v3, 0x8000, v3
	v_and_b32_e32 v2, 0xfc00, v2
	v_or3_b32 v64, v3, v2, v1
.LBB329_1873:                           ;   in Loop: Header=BB329_11 Depth=1
	s_or_b32 exec_lo, exec_lo, s22
.LBB329_1874:                           ;   in Loop: Header=BB329_11 Depth=1
	s_or_b32 exec_lo, exec_lo, s21
.LBB329_1875:                           ;   in Loop: Header=BB329_11 Depth=1
	s_or_b32 exec_lo, exec_lo, s20
	v_lshrrev_b16 v8, 8, v30
	v_mov_b32_e32 v84, 0
	v_mov_b32_e32 v100, 0
	s_mov_b32 s20, exec_lo
	v_cmpx_ne_u16_e32 0, v8
	s_cbranch_execz .LBB329_1883
; %bb.1876:                             ;   in Loop: Header=BB329_11 Depth=1
	v_bfrev_b32_e32 v100, 1
	s_mov_b32 s21, exec_lo
	v_cmpx_ne_u16_e32 0x80, v8
	s_cbranch_execz .LBB329_1882
; %bb.1877:                             ;   in Loop: Header=BB329_11 Depth=1
	v_mov_b32_e32 v1, 0x7f
	v_mov_b32_e32 v100, 0x7c010000
	s_mov_b32 s22, exec_lo
	v_and_b32_sdwa v12, v8, v1 dst_sel:DWORD dst_unused:UNUSED_PAD src0_sel:WORD_0 src1_sel:DWORD
	v_cmpx_ne_u32_e32 0x7f, v12
	s_cbranch_execz .LBB329_1881
; %bb.1878:                             ;   in Loop: Header=BB329_11 Depth=1
	v_mov_b32_e32 v1, 7
	v_lshrrev_b32_e32 v2, 3, v12
	s_mov_b32 s23, exec_lo
	v_and_b32_sdwa v1, v8, v1 dst_sel:DWORD dst_unused:UNUSED_PAD src0_sel:WORD_0 src1_sel:DWORD
	v_cmpx_gt_u32_e32 8, v12
; %bb.1879:                             ;   in Loop: Header=BB329_11 Depth=1
	v_ffbh_u32_e32 v1, v1
	v_min_u32_e32 v3, 32, v1
	v_subrev_nc_u32_e32 v1, 28, v3
	v_lshlrev_b64 v[1:2], v1, v[8:9]
	v_sub_nc_u32_e32 v2, 29, v3
	v_and_b32_e32 v1, 7, v1
; %bb.1880:                             ;   in Loop: Header=BB329_11 Depth=1
	s_or_b32 exec_lo, exec_lo, s23
	v_mov_b32_e32 v3, 8
	v_lshl_add_u32 v2, v2, 10, 0x2000
	v_lshlrev_b32_e32 v1, 23, v1
	v_lshlrev_b32_sdwa v3, v3, v8 dst_sel:DWORD dst_unused:UNUSED_PAD src0_sel:DWORD src1_sel:WORD_0
	v_and_or_b32 v2, 0x8000, v3, v2
	v_lshl_or_b32 v100, v2, 16, v1
.LBB329_1881:                           ;   in Loop: Header=BB329_11 Depth=1
	s_or_b32 exec_lo, exec_lo, s22
.LBB329_1882:                           ;   in Loop: Header=BB329_11 Depth=1
	s_or_b32 exec_lo, exec_lo, s21
.LBB329_1883:                           ;   in Loop: Header=BB329_11 Depth=1
	s_or_b32 exec_lo, exec_lo, s20
	v_lshrrev_b32_e32 v8, 16, v30
	v_cmp_ne_u16_sdwa s5, v8, v9 src0_sel:BYTE_0 src1_sel:DWORD
	s_and_saveexec_b32 s20, s5
	s_cbranch_execz .LBB329_1891
; %bb.1884:                             ;   in Loop: Header=BB329_11 Depth=1
	v_cmp_ne_u16_sdwa s5, v8, v124 src0_sel:BYTE_0 src1_sel:DWORD
	v_mov_b32_e32 v84, 0x8000
	s_and_saveexec_b32 s21, s5
	s_cbranch_execz .LBB329_1890
; %bb.1885:                             ;   in Loop: Header=BB329_11 Depth=1
	v_bfe_u32 v12, v30, 16, 7
	v_mov_b32_e32 v84, 0x7c01
	s_mov_b32 s22, exec_lo
	v_cmpx_ne_u32_e32 0x7f, v12
	s_cbranch_execz .LBB329_1889
; %bb.1886:                             ;   in Loop: Header=BB329_11 Depth=1
	v_and_b32_e32 v1, 7, v8
	v_lshrrev_b32_e32 v2, 3, v12
	s_mov_b32 s23, exec_lo
	v_cmpx_gt_u32_e32 8, v12
; %bb.1887:                             ;   in Loop: Header=BB329_11 Depth=1
	v_ffbh_u32_e32 v1, v1
	v_min_u32_e32 v3, 32, v1
	v_subrev_nc_u32_e32 v1, 28, v3
	v_lshlrev_b64 v[1:2], v1, v[8:9]
	v_sub_nc_u32_e32 v2, 29, v3
	v_and_b32_e32 v1, 7, v1
; %bb.1888:                             ;   in Loop: Header=BB329_11 Depth=1
	s_or_b32 exec_lo, exec_lo, s23
	v_lshlrev_b32_e32 v3, 8, v8
	v_lshl_add_u32 v2, v2, 10, 0x2000
	v_lshlrev_b32_e32 v1, 7, v1
	v_and_b32_e32 v3, 0x8000, v3
	v_and_b32_e32 v2, 0xfc00, v2
	v_or3_b32 v84, v3, v2, v1
.LBB329_1889:                           ;   in Loop: Header=BB329_11 Depth=1
	s_or_b32 exec_lo, exec_lo, s22
.LBB329_1890:                           ;   in Loop: Header=BB329_11 Depth=1
	s_or_b32 exec_lo, exec_lo, s21
.LBB329_1891:                           ;   in Loop: Header=BB329_11 Depth=1
	s_or_b32 exec_lo, exec_lo, s20
	v_mov_b32_e32 v98, 0
	v_mov_b32_e32 v71, 0
	s_mov_b32 s20, exec_lo
	v_cmpx_lt_u32_e32 0xffffff, v30
	s_cbranch_execz .LBB329_1899
; %bb.1892:                             ;   in Loop: Header=BB329_11 Depth=1
	v_lshrrev_b32_e32 v8, 24, v30
	v_bfrev_b32_e32 v71, 1
	s_mov_b32 s21, exec_lo
	v_cmpx_ne_u32_e32 0x80, v8
	s_cbranch_execz .LBB329_1898
; %bb.1893:                             ;   in Loop: Header=BB329_11 Depth=1
	v_and_b32_e32 v12, 0x7f, v8
	v_mov_b32_e32 v71, 0x7c010000
	s_mov_b32 s22, exec_lo
	v_cmpx_ne_u32_e32 0x7f, v12
	s_cbranch_execz .LBB329_1897
; %bb.1894:                             ;   in Loop: Header=BB329_11 Depth=1
	v_and_b32_e32 v1, 7, v8
	v_lshrrev_b32_e32 v2, 3, v12
	s_mov_b32 s23, exec_lo
	v_cmpx_gt_u32_e32 8, v12
; %bb.1895:                             ;   in Loop: Header=BB329_11 Depth=1
	v_ffbh_u32_e32 v1, v1
	v_min_u32_e32 v3, 32, v1
	v_subrev_nc_u32_e32 v1, 28, v3
	v_lshlrev_b64 v[1:2], v1, v[8:9]
	v_sub_nc_u32_e32 v2, 29, v3
	v_and_b32_e32 v1, 7, v1
; %bb.1896:                             ;   in Loop: Header=BB329_11 Depth=1
	s_or_b32 exec_lo, exec_lo, s23
	v_lshlrev_b32_e32 v3, 8, v8
	v_lshl_add_u32 v2, v2, 10, 0x2000
	v_lshlrev_b32_e32 v1, 23, v1
	v_and_or_b32 v2, 0x8000, v3, v2
	v_lshl_or_b32 v71, v2, 16, v1
.LBB329_1897:                           ;   in Loop: Header=BB329_11 Depth=1
	s_or_b32 exec_lo, exec_lo, s22
.LBB329_1898:                           ;   in Loop: Header=BB329_11 Depth=1
	s_or_b32 exec_lo, exec_lo, s21
.LBB329_1899:                           ;   in Loop: Header=BB329_11 Depth=1
	s_or_b32 exec_lo, exec_lo, s20
	v_mov_b32_e32 v8, v31
	v_cmp_ne_u16_sdwa s5, v31, v9 src0_sel:BYTE_0 src1_sel:DWORD
	s_and_saveexec_b32 s20, s5
	s_cbranch_execz .LBB329_1907
; %bb.1900:                             ;   in Loop: Header=BB329_11 Depth=1
	v_cmp_ne_u16_sdwa s5, v31, v124 src0_sel:BYTE_0 src1_sel:DWORD
	v_mov_b32_e32 v98, 0x8000
	s_and_saveexec_b32 s21, s5
	s_cbranch_execz .LBB329_1906
; %bb.1901:                             ;   in Loop: Header=BB329_11 Depth=1
	v_and_b32_e32 v12, 0x7f, v31
	v_mov_b32_e32 v98, 0x7c01
	s_mov_b32 s22, exec_lo
	v_cmpx_ne_u32_e32 0x7f, v12
	s_cbranch_execz .LBB329_1905
; %bb.1902:                             ;   in Loop: Header=BB329_11 Depth=1
	v_and_b32_e32 v1, 7, v31
	v_lshrrev_b32_e32 v2, 3, v12
	s_mov_b32 s23, exec_lo
	v_cmpx_gt_u32_e32 8, v12
; %bb.1903:                             ;   in Loop: Header=BB329_11 Depth=1
	v_ffbh_u32_e32 v1, v1
	v_min_u32_e32 v3, 32, v1
	v_subrev_nc_u32_e32 v1, 28, v3
	v_lshlrev_b64 v[1:2], v1, v[8:9]
	v_sub_nc_u32_e32 v2, 29, v3
	v_and_b32_e32 v1, 7, v1
; %bb.1904:                             ;   in Loop: Header=BB329_11 Depth=1
	s_or_b32 exec_lo, exec_lo, s23
	v_lshlrev_b32_e32 v3, 8, v31
	v_lshl_add_u32 v2, v2, 10, 0x2000
	v_lshlrev_b32_e32 v1, 7, v1
	v_and_b32_e32 v3, 0x8000, v3
	v_and_b32_e32 v2, 0xfc00, v2
	v_or3_b32 v98, v3, v2, v1
.LBB329_1905:                           ;   in Loop: Header=BB329_11 Depth=1
	s_or_b32 exec_lo, exec_lo, s22
.LBB329_1906:                           ;   in Loop: Header=BB329_11 Depth=1
	s_or_b32 exec_lo, exec_lo, s21
.LBB329_1907:                           ;   in Loop: Header=BB329_11 Depth=1
	s_or_b32 exec_lo, exec_lo, s20
	v_lshrrev_b16 v8, 8, v8
	v_mov_b32_e32 v1, 0
	v_mov_b32_e32 v40, 0
	s_mov_b32 s20, exec_lo
	v_cmpx_ne_u16_e32 0, v8
	s_cbranch_execz .LBB329_1915
; %bb.1908:                             ;   in Loop: Header=BB329_11 Depth=1
	v_bfrev_b32_e32 v40, 1
	s_mov_b32 s21, exec_lo
	v_cmpx_ne_u16_e32 0x80, v8
	s_cbranch_execz .LBB329_1914
; %bb.1909:                             ;   in Loop: Header=BB329_11 Depth=1
	v_mov_b32_e32 v2, 0x7f
	v_mov_b32_e32 v40, 0x7c010000
	s_mov_b32 s22, exec_lo
	v_and_b32_sdwa v16, v8, v2 dst_sel:DWORD dst_unused:UNUSED_PAD src0_sel:WORD_0 src1_sel:DWORD
	v_cmpx_ne_u32_e32 0x7f, v16
	s_cbranch_execz .LBB329_1913
; %bb.1910:                             ;   in Loop: Header=BB329_11 Depth=1
	v_mov_b32_e32 v2, 7
	v_lshrrev_b32_e32 v12, 3, v16
	s_mov_b32 s23, exec_lo
	v_and_b32_sdwa v2, v8, v2 dst_sel:DWORD dst_unused:UNUSED_PAD src0_sel:WORD_0 src1_sel:DWORD
	v_cmpx_gt_u32_e32 8, v16
; %bb.1911:                             ;   in Loop: Header=BB329_11 Depth=1
	v_ffbh_u32_e32 v2, v2
	v_min_u32_e32 v2, 32, v2
	v_subrev_nc_u32_e32 v3, 28, v2
	v_sub_nc_u32_e32 v12, 29, v2
	v_lshlrev_b64 v[80:81], v3, v[8:9]
	v_and_b32_e32 v2, 7, v80
; %bb.1912:                             ;   in Loop: Header=BB329_11 Depth=1
	s_or_b32 exec_lo, exec_lo, s23
	v_mov_b32_e32 v3, 8
	v_lshl_add_u32 v4, v12, 10, 0x2000
	v_lshlrev_b32_e32 v2, 23, v2
	v_lshlrev_b32_sdwa v3, v3, v8 dst_sel:DWORD dst_unused:UNUSED_PAD src0_sel:DWORD src1_sel:WORD_0
	v_and_or_b32 v3, 0x8000, v3, v4
	v_lshl_or_b32 v40, v3, 16, v2
.LBB329_1913:                           ;   in Loop: Header=BB329_11 Depth=1
	s_or_b32 exec_lo, exec_lo, s22
.LBB329_1914:                           ;   in Loop: Header=BB329_11 Depth=1
	s_or_b32 exec_lo, exec_lo, s21
.LBB329_1915:                           ;   in Loop: Header=BB329_11 Depth=1
	s_or_b32 exec_lo, exec_lo, s20
	v_lshrrev_b32_e32 v8, 16, v31
	v_cmp_ne_u16_sdwa s5, v8, v9 src0_sel:BYTE_0 src1_sel:DWORD
	s_and_saveexec_b32 s20, s5
	s_cbranch_execz .LBB329_1923
; %bb.1916:                             ;   in Loop: Header=BB329_11 Depth=1
	v_cmp_ne_u16_sdwa s5, v8, v124 src0_sel:BYTE_0 src1_sel:DWORD
	v_mov_b32_e32 v1, 0x8000
	s_and_saveexec_b32 s21, s5
	s_cbranch_execz .LBB329_1922
; %bb.1917:                             ;   in Loop: Header=BB329_11 Depth=1
	v_bfe_u32 v12, v31, 16, 7
	v_mov_b32_e32 v1, 0x7c01
	s_mov_b32 s22, exec_lo
	v_cmpx_ne_u32_e32 0x7f, v12
	s_cbranch_execz .LBB329_1921
; %bb.1918:                             ;   in Loop: Header=BB329_11 Depth=1
	v_and_b32_e32 v1, 7, v8
	v_lshrrev_b32_e32 v2, 3, v12
	s_mov_b32 s23, exec_lo
	v_cmpx_gt_u32_e32 8, v12
; %bb.1919:                             ;   in Loop: Header=BB329_11 Depth=1
	v_ffbh_u32_e32 v1, v1
	v_min_u32_e32 v3, 32, v1
	v_subrev_nc_u32_e32 v1, 28, v3
	v_lshlrev_b64 v[1:2], v1, v[8:9]
	v_sub_nc_u32_e32 v2, 29, v3
	v_and_b32_e32 v1, 7, v1
; %bb.1920:                             ;   in Loop: Header=BB329_11 Depth=1
	s_or_b32 exec_lo, exec_lo, s23
	v_lshlrev_b32_e32 v3, 8, v8
	v_lshl_add_u32 v2, v2, 10, 0x2000
	v_lshlrev_b32_e32 v1, 7, v1
	v_and_b32_e32 v3, 0x8000, v3
	v_and_b32_e32 v2, 0xfc00, v2
	v_or3_b32 v1, v3, v2, v1
.LBB329_1921:                           ;   in Loop: Header=BB329_11 Depth=1
	s_or_b32 exec_lo, exec_lo, s22
.LBB329_1922:                           ;   in Loop: Header=BB329_11 Depth=1
	s_or_b32 exec_lo, exec_lo, s21
.LBB329_1923:                           ;   in Loop: Header=BB329_11 Depth=1
	s_or_b32 exec_lo, exec_lo, s20
	v_mov_b32_e32 v57, 0
	v_mov_b32_e32 v70, 0
	s_mov_b32 s20, exec_lo
	v_cmpx_lt_u64_e64 s[6:7], v[30:31]
	s_cbranch_execz .LBB329_1931
; %bb.1924:                             ;   in Loop: Header=BB329_11 Depth=1
	v_lshrrev_b32_e32 v8, 24, v31
	v_bfrev_b32_e32 v70, 1
	s_mov_b32 s21, exec_lo
	v_cmpx_ne_u32_e32 0x80, v8
	s_cbranch_execz .LBB329_1930
; %bb.1925:                             ;   in Loop: Header=BB329_11 Depth=1
	v_and_b32_e32 v16, 0x7f, v8
	v_mov_b32_e32 v70, 0x7c010000
	s_mov_b32 s22, exec_lo
	v_cmpx_ne_u32_e32 0x7f, v16
	s_cbranch_execz .LBB329_1929
; %bb.1926:                             ;   in Loop: Header=BB329_11 Depth=1
	v_and_b32_e32 v2, 7, v8
	v_lshrrev_b32_e32 v12, 3, v16
	s_mov_b32 s23, exec_lo
	v_cmpx_gt_u32_e32 8, v16
; %bb.1927:                             ;   in Loop: Header=BB329_11 Depth=1
	v_ffbh_u32_e32 v2, v2
	v_min_u32_e32 v2, 32, v2
	v_subrev_nc_u32_e32 v3, 28, v2
	v_sub_nc_u32_e32 v12, 29, v2
	v_lshlrev_b64 v[30:31], v3, v[8:9]
	v_and_b32_e32 v2, 7, v30
; %bb.1928:                             ;   in Loop: Header=BB329_11 Depth=1
	s_or_b32 exec_lo, exec_lo, s23
	v_lshlrev_b32_e32 v3, 8, v8
	v_lshl_add_u32 v4, v12, 10, 0x2000
	v_lshlrev_b32_e32 v2, 23, v2
	v_and_or_b32 v3, 0x8000, v3, v4
	v_lshl_or_b32 v70, v3, 16, v2
.LBB329_1929:                           ;   in Loop: Header=BB329_11 Depth=1
	s_or_b32 exec_lo, exec_lo, s22
.LBB329_1930:                           ;   in Loop: Header=BB329_11 Depth=1
	s_or_b32 exec_lo, exec_lo, s21
.LBB329_1931:                           ;   in Loop: Header=BB329_11 Depth=1
	s_or_b32 exec_lo, exec_lo, s20
	flat_load_dwordx2 v[30:31], v[28:29] offset:1536
	s_waitcnt vmcnt(0) lgkmcnt(0)
	v_cmp_ne_u16_sdwa s5, v30, v9 src0_sel:BYTE_0 src1_sel:DWORD
	s_and_saveexec_b32 s20, s5
	s_cbranch_execz .LBB329_1939
; %bb.1932:                             ;   in Loop: Header=BB329_11 Depth=1
	v_cmp_ne_u16_sdwa s5, v30, v124 src0_sel:BYTE_0 src1_sel:DWORD
	v_mov_b32_e32 v57, 0x8000
	s_and_saveexec_b32 s21, s5
	s_cbranch_execz .LBB329_1938
; %bb.1933:                             ;   in Loop: Header=BB329_11 Depth=1
	v_and_b32_e32 v12, 0x7f, v30
	v_mov_b32_e32 v57, 0x7c01
	s_mov_b32 s22, exec_lo
	v_cmpx_ne_u32_e32 0x7f, v12
	s_cbranch_execz .LBB329_1937
; %bb.1934:                             ;   in Loop: Header=BB329_11 Depth=1
	v_and_b32_e32 v2, 7, v30
	v_lshrrev_b32_e32 v8, 3, v12
	s_mov_b32 s23, exec_lo
	v_cmpx_gt_u32_e32 8, v12
; %bb.1935:                             ;   in Loop: Header=BB329_11 Depth=1
	v_ffbh_u32_e32 v2, v2
	v_min_u32_e32 v2, 32, v2
	v_subrev_nc_u32_e32 v3, 28, v2
	v_sub_nc_u32_e32 v8, 29, v2
	v_lshlrev_b64 v[80:81], v3, v[30:31]
	v_and_b32_e32 v2, 7, v80
; %bb.1936:                             ;   in Loop: Header=BB329_11 Depth=1
	s_or_b32 exec_lo, exec_lo, s23
	v_lshlrev_b32_e32 v3, 8, v30
	v_lshl_add_u32 v4, v8, 10, 0x2000
	v_lshlrev_b32_e32 v2, 7, v2
	v_and_b32_e32 v3, 0x8000, v3
	v_and_b32_e32 v4, 0xfc00, v4
	v_or3_b32 v57, v3, v4, v2
.LBB329_1937:                           ;   in Loop: Header=BB329_11 Depth=1
	s_or_b32 exec_lo, exec_lo, s22
.LBB329_1938:                           ;   in Loop: Header=BB329_11 Depth=1
	s_or_b32 exec_lo, exec_lo, s21
.LBB329_1939:                           ;   in Loop: Header=BB329_11 Depth=1
	s_or_b32 exec_lo, exec_lo, s20
	v_lshrrev_b16 v8, 8, v30
	v_mov_b32_e32 v81, 0
	v_mov_b32_e32 v80, 0
	s_mov_b32 s20, exec_lo
	v_cmpx_ne_u16_e32 0, v8
	s_cbranch_execz .LBB329_1947
; %bb.1940:                             ;   in Loop: Header=BB329_11 Depth=1
	v_bfrev_b32_e32 v80, 1
	s_mov_b32 s21, exec_lo
	v_cmpx_ne_u16_e32 0x80, v8
	s_cbranch_execz .LBB329_1946
; %bb.1941:                             ;   in Loop: Header=BB329_11 Depth=1
	v_mov_b32_e32 v2, 0x7f
	v_mov_b32_e32 v80, 0x7c010000
	s_mov_b32 s22, exec_lo
	v_and_b32_sdwa v16, v8, v2 dst_sel:DWORD dst_unused:UNUSED_PAD src0_sel:WORD_0 src1_sel:DWORD
	v_cmpx_ne_u32_e32 0x7f, v16
	s_cbranch_execz .LBB329_1945
; %bb.1942:                             ;   in Loop: Header=BB329_11 Depth=1
	v_mov_b32_e32 v2, 7
	v_lshrrev_b32_e32 v12, 3, v16
	s_mov_b32 s23, exec_lo
	v_and_b32_sdwa v2, v8, v2 dst_sel:DWORD dst_unused:UNUSED_PAD src0_sel:WORD_0 src1_sel:DWORD
	v_cmpx_gt_u32_e32 8, v16
; %bb.1943:                             ;   in Loop: Header=BB329_11 Depth=1
	v_ffbh_u32_e32 v2, v2
	v_min_u32_e32 v4, 32, v2
	v_subrev_nc_u32_e32 v2, 28, v4
	v_sub_nc_u32_e32 v12, 29, v4
	v_lshlrev_b64 v[2:3], v2, v[8:9]
	v_and_b32_e32 v2, 7, v2
; %bb.1944:                             ;   in Loop: Header=BB329_11 Depth=1
	s_or_b32 exec_lo, exec_lo, s23
	v_mov_b32_e32 v3, 8
	v_lshl_add_u32 v4, v12, 10, 0x2000
	v_lshlrev_b32_e32 v2, 23, v2
	v_lshlrev_b32_sdwa v3, v3, v8 dst_sel:DWORD dst_unused:UNUSED_PAD src0_sel:DWORD src1_sel:WORD_0
	v_and_or_b32 v3, 0x8000, v3, v4
	v_lshl_or_b32 v80, v3, 16, v2
.LBB329_1945:                           ;   in Loop: Header=BB329_11 Depth=1
	s_or_b32 exec_lo, exec_lo, s22
.LBB329_1946:                           ;   in Loop: Header=BB329_11 Depth=1
	s_or_b32 exec_lo, exec_lo, s21
.LBB329_1947:                           ;   in Loop: Header=BB329_11 Depth=1
	s_or_b32 exec_lo, exec_lo, s20
	v_lshrrev_b32_e32 v8, 16, v30
	v_cmp_ne_u16_sdwa s5, v8, v9 src0_sel:BYTE_0 src1_sel:DWORD
	s_and_saveexec_b32 s20, s5
	s_cbranch_execz .LBB329_1955
; %bb.1948:                             ;   in Loop: Header=BB329_11 Depth=1
	v_cmp_ne_u16_sdwa s5, v8, v124 src0_sel:BYTE_0 src1_sel:DWORD
	v_mov_b32_e32 v81, 0x8000
	s_and_saveexec_b32 s21, s5
	s_cbranch_execz .LBB329_1954
; %bb.1949:                             ;   in Loop: Header=BB329_11 Depth=1
	v_bfe_u32 v16, v30, 16, 7
	v_mov_b32_e32 v81, 0x7c01
	s_mov_b32 s22, exec_lo
	v_cmpx_ne_u32_e32 0x7f, v16
	s_cbranch_execz .LBB329_1953
; %bb.1950:                             ;   in Loop: Header=BB329_11 Depth=1
	v_and_b32_e32 v2, 7, v8
	v_lshrrev_b32_e32 v12, 3, v16
	s_mov_b32 s23, exec_lo
	v_cmpx_gt_u32_e32 8, v16
; %bb.1951:                             ;   in Loop: Header=BB329_11 Depth=1
	v_ffbh_u32_e32 v2, v2
	v_min_u32_e32 v4, 32, v2
	v_subrev_nc_u32_e32 v2, 28, v4
	v_sub_nc_u32_e32 v12, 29, v4
	v_lshlrev_b64 v[2:3], v2, v[8:9]
	v_and_b32_e32 v2, 7, v2
; %bb.1952:                             ;   in Loop: Header=BB329_11 Depth=1
	s_or_b32 exec_lo, exec_lo, s23
	v_lshlrev_b32_e32 v3, 8, v8
	v_lshl_add_u32 v4, v12, 10, 0x2000
	v_lshlrev_b32_e32 v2, 7, v2
	v_and_b32_e32 v3, 0x8000, v3
	v_and_b32_e32 v4, 0xfc00, v4
	v_or3_b32 v81, v3, v4, v2
.LBB329_1953:                           ;   in Loop: Header=BB329_11 Depth=1
	s_or_b32 exec_lo, exec_lo, s22
.LBB329_1954:                           ;   in Loop: Header=BB329_11 Depth=1
	s_or_b32 exec_lo, exec_lo, s21
.LBB329_1955:                           ;   in Loop: Header=BB329_11 Depth=1
	s_or_b32 exec_lo, exec_lo, s20
	v_mov_b32_e32 v2, 0
	v_mov_b32_e32 v41, 0
	s_mov_b32 s20, exec_lo
	v_cmpx_lt_u32_e32 0xffffff, v30
	s_cbranch_execz .LBB329_1963
; %bb.1956:                             ;   in Loop: Header=BB329_11 Depth=1
	v_lshrrev_b32_e32 v8, 24, v30
	v_bfrev_b32_e32 v41, 1
	s_mov_b32 s21, exec_lo
	v_cmpx_ne_u32_e32 0x80, v8
	s_cbranch_execz .LBB329_1962
; %bb.1957:                             ;   in Loop: Header=BB329_11 Depth=1
	v_and_b32_e32 v18, 0x7f, v8
	v_mov_b32_e32 v41, 0x7c010000
	s_mov_b32 s22, exec_lo
	v_cmpx_ne_u32_e32 0x7f, v18
	s_cbranch_execz .LBB329_1961
; %bb.1958:                             ;   in Loop: Header=BB329_11 Depth=1
	v_and_b32_e32 v12, 7, v8
	v_lshrrev_b32_e32 v16, 3, v18
	s_mov_b32 s23, exec_lo
	v_cmpx_gt_u32_e32 8, v18
	s_cbranch_execz .LBB329_1960
; %bb.1959:                             ;   in Loop: Header=BB329_11 Depth=1
	v_ffbh_u32_e32 v3, v12
	v_mov_b32_e32 v18, v47
	v_min_u32_e32 v3, 32, v3
	v_subrev_nc_u32_e32 v4, 28, v3
	v_sub_nc_u32_e32 v16, 29, v3
	v_lshlrev_b64 v[47:48], v4, v[8:9]
	v_and_b32_e32 v12, 7, v47
	v_mov_b32_e32 v47, v18
.LBB329_1960:                           ;   in Loop: Header=BB329_11 Depth=1
	s_or_b32 exec_lo, exec_lo, s23
	v_lshlrev_b32_e32 v3, 8, v8
	v_lshl_add_u32 v4, v16, 10, 0x2000
	v_and_or_b32 v3, 0x8000, v3, v4
	v_lshlrev_b32_e32 v4, 23, v12
	v_lshl_or_b32 v41, v3, 16, v4
.LBB329_1961:                           ;   in Loop: Header=BB329_11 Depth=1
	s_or_b32 exec_lo, exec_lo, s22
.LBB329_1962:                           ;   in Loop: Header=BB329_11 Depth=1
	s_or_b32 exec_lo, exec_lo, s21
.LBB329_1963:                           ;   in Loop: Header=BB329_11 Depth=1
	s_or_b32 exec_lo, exec_lo, s20
	v_mov_b32_e32 v8, v31
	v_cmp_ne_u16_sdwa s5, v31, v9 src0_sel:BYTE_0 src1_sel:DWORD
	s_and_saveexec_b32 s20, s5
	s_cbranch_execz .LBB329_1971
; %bb.1964:                             ;   in Loop: Header=BB329_11 Depth=1
	v_cmp_ne_u16_sdwa s5, v31, v124 src0_sel:BYTE_0 src1_sel:DWORD
	v_mov_b32_e32 v2, 0x8000
	s_and_saveexec_b32 s21, s5
	s_cbranch_execz .LBB329_1970
; %bb.1965:                             ;   in Loop: Header=BB329_11 Depth=1
	v_and_b32_e32 v16, 0x7f, v31
	v_mov_b32_e32 v2, 0x7c01
	s_mov_b32 s22, exec_lo
	v_cmpx_ne_u32_e32 0x7f, v16
	s_cbranch_execz .LBB329_1969
; %bb.1966:                             ;   in Loop: Header=BB329_11 Depth=1
	v_and_b32_e32 v2, 7, v31
	v_lshrrev_b32_e32 v12, 3, v16
	s_mov_b32 s23, exec_lo
	v_cmpx_gt_u32_e32 8, v16
; %bb.1967:                             ;   in Loop: Header=BB329_11 Depth=1
	v_ffbh_u32_e32 v2, v2
	v_min_u32_e32 v4, 32, v2
	v_subrev_nc_u32_e32 v2, 28, v4
	v_sub_nc_u32_e32 v12, 29, v4
	v_lshlrev_b64 v[2:3], v2, v[8:9]
	v_and_b32_e32 v2, 7, v2
; %bb.1968:                             ;   in Loop: Header=BB329_11 Depth=1
	s_or_b32 exec_lo, exec_lo, s23
	v_lshlrev_b32_e32 v3, 8, v31
	v_lshl_add_u32 v4, v12, 10, 0x2000
	v_lshlrev_b32_e32 v2, 7, v2
	v_and_b32_e32 v3, 0x8000, v3
	v_and_b32_e32 v4, 0xfc00, v4
	v_or3_b32 v2, v3, v4, v2
.LBB329_1969:                           ;   in Loop: Header=BB329_11 Depth=1
	s_or_b32 exec_lo, exec_lo, s22
.LBB329_1970:                           ;   in Loop: Header=BB329_11 Depth=1
	s_or_b32 exec_lo, exec_lo, s21
.LBB329_1971:                           ;   in Loop: Header=BB329_11 Depth=1
	s_or_b32 exec_lo, exec_lo, s20
	v_lshrrev_b16 v8, 8, v8
	v_mov_b32_e32 v48, 0
	v_mov_b32_e32 v117, 0
	s_mov_b32 s20, exec_lo
	v_cmpx_ne_u16_e32 0, v8
	s_cbranch_execz .LBB329_1979
; %bb.1972:                             ;   in Loop: Header=BB329_11 Depth=1
	v_bfrev_b32_e32 v117, 1
	s_mov_b32 s21, exec_lo
	v_cmpx_ne_u16_e32 0x80, v8
	s_cbranch_execz .LBB329_1978
; %bb.1973:                             ;   in Loop: Header=BB329_11 Depth=1
	v_mov_b32_e32 v3, 0x7f
	v_mov_b32_e32 v117, 0x7c010000
	s_mov_b32 s22, exec_lo
	v_and_b32_sdwa v18, v8, v3 dst_sel:DWORD dst_unused:UNUSED_PAD src0_sel:WORD_0 src1_sel:DWORD
	v_cmpx_ne_u32_e32 0x7f, v18
	s_cbranch_execz .LBB329_1977
; %bb.1974:                             ;   in Loop: Header=BB329_11 Depth=1
	v_mov_b32_e32 v3, 7
	v_lshrrev_b32_e32 v16, 3, v18
	s_mov_b32 s23, exec_lo
	v_and_b32_sdwa v12, v8, v3 dst_sel:DWORD dst_unused:UNUSED_PAD src0_sel:WORD_0 src1_sel:DWORD
	v_cmpx_gt_u32_e32 8, v18
; %bb.1975:                             ;   in Loop: Header=BB329_11 Depth=1
	v_ffbh_u32_e32 v3, v12
	v_min_u32_e32 v12, 32, v3
	v_subrev_nc_u32_e32 v3, 28, v12
	v_sub_nc_u32_e32 v16, 29, v12
	v_lshlrev_b64 v[3:4], v3, v[8:9]
	v_and_b32_e32 v12, 7, v3
; %bb.1976:                             ;   in Loop: Header=BB329_11 Depth=1
	s_or_b32 exec_lo, exec_lo, s23
	v_mov_b32_e32 v3, 8
	v_lshl_add_u32 v4, v16, 10, 0x2000
	v_lshlrev_b32_sdwa v3, v3, v8 dst_sel:DWORD dst_unused:UNUSED_PAD src0_sel:DWORD src1_sel:WORD_0
	v_and_or_b32 v3, 0x8000, v3, v4
	v_lshlrev_b32_e32 v4, 23, v12
	v_lshl_or_b32 v117, v3, 16, v4
.LBB329_1977:                           ;   in Loop: Header=BB329_11 Depth=1
	s_or_b32 exec_lo, exec_lo, s22
.LBB329_1978:                           ;   in Loop: Header=BB329_11 Depth=1
	s_or_b32 exec_lo, exec_lo, s21
.LBB329_1979:                           ;   in Loop: Header=BB329_11 Depth=1
	s_or_b32 exec_lo, exec_lo, s20
	v_lshrrev_b32_e32 v8, 16, v31
	v_cmp_ne_u16_sdwa s5, v8, v9 src0_sel:BYTE_0 src1_sel:DWORD
	s_and_saveexec_b32 s20, s5
	s_cbranch_execz .LBB329_1987
; %bb.1980:                             ;   in Loop: Header=BB329_11 Depth=1
	v_cmp_ne_u16_sdwa s5, v8, v124 src0_sel:BYTE_0 src1_sel:DWORD
	v_mov_b32_e32 v48, 0x8000
	s_and_saveexec_b32 s21, s5
	s_cbranch_execz .LBB329_1986
; %bb.1981:                             ;   in Loop: Header=BB329_11 Depth=1
	v_bfe_u32 v18, v31, 16, 7
	v_mov_b32_e32 v48, 0x7c01
	s_mov_b32 s22, exec_lo
	v_cmpx_ne_u32_e32 0x7f, v18
	s_cbranch_execz .LBB329_1985
; %bb.1982:                             ;   in Loop: Header=BB329_11 Depth=1
	v_and_b32_e32 v12, 7, v8
	v_lshrrev_b32_e32 v16, 3, v18
	s_mov_b32 s23, exec_lo
	v_cmpx_gt_u32_e32 8, v18
; %bb.1983:                             ;   in Loop: Header=BB329_11 Depth=1
	v_ffbh_u32_e32 v3, v12
	v_min_u32_e32 v12, 32, v3
	v_subrev_nc_u32_e32 v3, 28, v12
	v_sub_nc_u32_e32 v16, 29, v12
	v_lshlrev_b64 v[3:4], v3, v[8:9]
	v_and_b32_e32 v12, 7, v3
; %bb.1984:                             ;   in Loop: Header=BB329_11 Depth=1
	s_or_b32 exec_lo, exec_lo, s23
	v_lshlrev_b32_e32 v3, 8, v8
	v_lshl_add_u32 v4, v16, 10, 0x2000
	v_lshlrev_b32_e32 v8, 7, v12
	v_and_b32_e32 v3, 0x8000, v3
	v_and_b32_e32 v4, 0xfc00, v4
	v_or3_b32 v48, v3, v4, v8
.LBB329_1985:                           ;   in Loop: Header=BB329_11 Depth=1
	s_or_b32 exec_lo, exec_lo, s22
.LBB329_1986:                           ;   in Loop: Header=BB329_11 Depth=1
	s_or_b32 exec_lo, exec_lo, s21
.LBB329_1987:                           ;   in Loop: Header=BB329_11 Depth=1
	s_or_b32 exec_lo, exec_lo, s20
	v_cmp_lt_u64_e64 s5, s[6:7], v[30:31]
	v_mov_b32_e32 v16, 0
	v_mov_b32_e32 v30, 0
	s_and_saveexec_b32 s20, s5
	s_cbranch_execz .LBB329_1995
; %bb.1988:                             ;   in Loop: Header=BB329_11 Depth=1
	v_lshrrev_b32_e32 v8, 24, v31
	v_bfrev_b32_e32 v30, 1
	s_mov_b32 s21, exec_lo
	v_cmpx_ne_u32_e32 0x80, v8
	s_cbranch_execz .LBB329_1994
; %bb.1989:                             ;   in Loop: Header=BB329_11 Depth=1
	v_and_b32_e32 v31, 0x7f, v8
	v_mov_b32_e32 v30, 0x7c010000
	s_mov_b32 s22, exec_lo
	v_cmpx_ne_u32_e32 0x7f, v31
	s_cbranch_execz .LBB329_1993
; %bb.1990:                             ;   in Loop: Header=BB329_11 Depth=1
	v_and_b32_e32 v12, 7, v8
	v_lshrrev_b32_e32 v18, 3, v31
	s_mov_b32 s23, exec_lo
	v_cmpx_gt_u32_e32 8, v31
; %bb.1991:                             ;   in Loop: Header=BB329_11 Depth=1
	v_ffbh_u32_e32 v3, v12
	v_min_u32_e32 v12, 32, v3
	v_subrev_nc_u32_e32 v3, 28, v12
	v_sub_nc_u32_e32 v18, 29, v12
	v_lshlrev_b64 v[3:4], v3, v[8:9]
	v_and_b32_e32 v12, 7, v3
; %bb.1992:                             ;   in Loop: Header=BB329_11 Depth=1
	s_or_b32 exec_lo, exec_lo, s23
	v_lshlrev_b32_e32 v3, 8, v8
	v_lshl_add_u32 v4, v18, 10, 0x2000
	v_and_or_b32 v3, 0x8000, v3, v4
	v_lshlrev_b32_e32 v4, 23, v12
	v_lshl_or_b32 v30, v3, 16, v4
.LBB329_1993:                           ;   in Loop: Header=BB329_11 Depth=1
	s_or_b32 exec_lo, exec_lo, s22
.LBB329_1994:                           ;   in Loop: Header=BB329_11 Depth=1
	s_or_b32 exec_lo, exec_lo, s21
.LBB329_1995:                           ;   in Loop: Header=BB329_11 Depth=1
	s_or_b32 exec_lo, exec_lo, s20
	flat_load_dwordx2 v[28:29], v[28:29] offset:1544
	s_waitcnt vmcnt(0) lgkmcnt(0)
	v_cmp_ne_u16_sdwa s5, v28, v9 src0_sel:BYTE_0 src1_sel:DWORD
	s_and_saveexec_b32 s20, s5
	s_cbranch_execz .LBB329_2003
; %bb.1996:                             ;   in Loop: Header=BB329_11 Depth=1
	v_cmp_ne_u16_sdwa s5, v28, v124 src0_sel:BYTE_0 src1_sel:DWORD
	v_mov_b32_e32 v16, 0x8000
	s_and_saveexec_b32 s21, s5
	s_cbranch_execz .LBB329_2002
; %bb.1997:                             ;   in Loop: Header=BB329_11 Depth=1
	v_and_b32_e32 v18, 0x7f, v28
	v_mov_b32_e32 v16, 0x7c01
	s_mov_b32 s22, exec_lo
	v_cmpx_ne_u32_e32 0x7f, v18
	s_cbranch_execz .LBB329_2001
; %bb.1998:                             ;   in Loop: Header=BB329_11 Depth=1
	v_and_b32_e32 v8, 7, v28
	v_lshrrev_b32_e32 v12, 3, v18
	s_mov_b32 s23, exec_lo
	v_cmpx_gt_u32_e32 8, v18
; %bb.1999:                             ;   in Loop: Header=BB329_11 Depth=1
	v_ffbh_u32_e32 v3, v8
	v_min_u32_e32 v8, 32, v3
	v_subrev_nc_u32_e32 v3, 28, v8
	v_sub_nc_u32_e32 v12, 29, v8
	v_lshlrev_b64 v[3:4], v3, v[28:29]
	v_and_b32_e32 v8, 7, v3
; %bb.2000:                             ;   in Loop: Header=BB329_11 Depth=1
	s_or_b32 exec_lo, exec_lo, s23
	v_lshlrev_b32_e32 v3, 8, v28
	v_lshl_add_u32 v4, v12, 10, 0x2000
	v_lshlrev_b32_e32 v8, 7, v8
	v_and_b32_e32 v3, 0x8000, v3
	v_and_b32_e32 v4, 0xfc00, v4
	v_or3_b32 v16, v3, v4, v8
.LBB329_2001:                           ;   in Loop: Header=BB329_11 Depth=1
	s_or_b32 exec_lo, exec_lo, s22
.LBB329_2002:                           ;   in Loop: Header=BB329_11 Depth=1
	s_or_b32 exec_lo, exec_lo, s21
.LBB329_2003:                           ;   in Loop: Header=BB329_11 Depth=1
	s_or_b32 exec_lo, exec_lo, s20
	v_lshrrev_b16 v8, 8, v28
	v_mov_b32_e32 v89, 0
	v_mov_b32_e32 v18, 0
	s_mov_b32 s20, exec_lo
	v_cmpx_ne_u16_e32 0, v8
	s_cbranch_execz .LBB329_2011
; %bb.2004:                             ;   in Loop: Header=BB329_11 Depth=1
	v_bfrev_b32_e32 v18, 1
	s_mov_b32 s21, exec_lo
	v_cmpx_ne_u16_e32 0x80, v8
	s_cbranch_execz .LBB329_2010
; %bb.2005:                             ;   in Loop: Header=BB329_11 Depth=1
	v_mov_b32_e32 v3, 0x7f
	v_mov_b32_e32 v18, 0x7c010000
	s_mov_b32 s22, exec_lo
	v_and_b32_sdwa v31, v8, v3 dst_sel:DWORD dst_unused:UNUSED_PAD src0_sel:WORD_0 src1_sel:DWORD
	v_cmpx_ne_u32_e32 0x7f, v31
	s_cbranch_execz .LBB329_2009
; %bb.2006:                             ;   in Loop: Header=BB329_11 Depth=1
	v_mov_b32_e32 v3, 7
	v_lshrrev_b32_e32 v18, 3, v31
	s_mov_b32 s23, exec_lo
	v_and_b32_sdwa v12, v8, v3 dst_sel:DWORD dst_unused:UNUSED_PAD src0_sel:WORD_0 src1_sel:DWORD
	v_cmpx_gt_u32_e32 8, v31
; %bb.2007:                             ;   in Loop: Header=BB329_11 Depth=1
	v_ffbh_u32_e32 v3, v12
	v_min_u32_e32 v12, 32, v3
	v_subrev_nc_u32_e32 v3, 28, v12
	v_sub_nc_u32_e32 v18, 29, v12
	v_lshlrev_b64 v[3:4], v3, v[8:9]
	v_and_b32_e32 v12, 7, v3
; %bb.2008:                             ;   in Loop: Header=BB329_11 Depth=1
	s_or_b32 exec_lo, exec_lo, s23
	v_mov_b32_e32 v3, 8
	v_lshl_add_u32 v4, v18, 10, 0x2000
	v_lshlrev_b32_sdwa v3, v3, v8 dst_sel:DWORD dst_unused:UNUSED_PAD src0_sel:DWORD src1_sel:WORD_0
	v_and_or_b32 v3, 0x8000, v3, v4
	v_lshlrev_b32_e32 v4, 23, v12
	v_lshl_or_b32 v18, v3, 16, v4
.LBB329_2009:                           ;   in Loop: Header=BB329_11 Depth=1
	s_or_b32 exec_lo, exec_lo, s22
.LBB329_2010:                           ;   in Loop: Header=BB329_11 Depth=1
	s_or_b32 exec_lo, exec_lo, s21
.LBB329_2011:                           ;   in Loop: Header=BB329_11 Depth=1
	s_or_b32 exec_lo, exec_lo, s20
	v_lshrrev_b32_e32 v8, 16, v28
	v_cmp_ne_u16_sdwa s5, v8, v9 src0_sel:BYTE_0 src1_sel:DWORD
	s_and_saveexec_b32 s20, s5
	s_cbranch_execz .LBB329_2019
; %bb.2012:                             ;   in Loop: Header=BB329_11 Depth=1
	v_cmp_ne_u16_sdwa s5, v8, v124 src0_sel:BYTE_0 src1_sel:DWORD
	v_mov_b32_e32 v89, 0x8000
	s_and_saveexec_b32 s21, s5
	s_cbranch_execz .LBB329_2018
; %bb.2013:                             ;   in Loop: Header=BB329_11 Depth=1
	v_bfe_u32 v103, v28, 16, 7
	v_mov_b32_e32 v89, 0x7c01
	s_mov_b32 s22, exec_lo
	v_cmpx_ne_u32_e32 0x7f, v103
	s_cbranch_execz .LBB329_2017
; %bb.2014:                             ;   in Loop: Header=BB329_11 Depth=1
	v_and_b32_e32 v12, 7, v8
	v_lshrrev_b32_e32 v31, 3, v103
	s_mov_b32 s23, exec_lo
	v_cmpx_gt_u32_e32 8, v103
; %bb.2015:                             ;   in Loop: Header=BB329_11 Depth=1
	v_ffbh_u32_e32 v3, v12
	v_min_u32_e32 v12, 32, v3
	v_subrev_nc_u32_e32 v3, 28, v12
	v_sub_nc_u32_e32 v31, 29, v12
	v_lshlrev_b64 v[3:4], v3, v[8:9]
	v_and_b32_e32 v12, 7, v3
; %bb.2016:                             ;   in Loop: Header=BB329_11 Depth=1
	s_or_b32 exec_lo, exec_lo, s23
	v_lshlrev_b32_e32 v3, 8, v8
	v_lshl_add_u32 v4, v31, 10, 0x2000
	v_lshlrev_b32_e32 v8, 7, v12
	v_and_b32_e32 v3, 0x8000, v3
	v_and_b32_e32 v4, 0xfc00, v4
	v_or3_b32 v89, v3, v4, v8
.LBB329_2017:                           ;   in Loop: Header=BB329_11 Depth=1
	s_or_b32 exec_lo, exec_lo, s22
.LBB329_2018:                           ;   in Loop: Header=BB329_11 Depth=1
	s_or_b32 exec_lo, exec_lo, s21
.LBB329_2019:                           ;   in Loop: Header=BB329_11 Depth=1
	s_or_b32 exec_lo, exec_lo, s20
	v_mov_b32_e32 v108, 0
	v_mov_b32_e32 v12, 0
	s_mov_b32 s20, exec_lo
	v_cmpx_lt_u32_e32 0xffffff, v28
	s_cbranch_execz .LBB329_2027
; %bb.2020:                             ;   in Loop: Header=BB329_11 Depth=1
	v_lshrrev_b32_e32 v8, 24, v28
	v_bfrev_b32_e32 v12, 1
	s_mov_b32 s21, exec_lo
	v_cmpx_ne_u32_e32 0x80, v8
	s_cbranch_execz .LBB329_2026
; %bb.2021:                             ;   in Loop: Header=BB329_11 Depth=1
	v_and_b32_e32 v103, 0x7f, v8
	v_mov_b32_e32 v12, 0x7c010000
	s_mov_b32 s22, exec_lo
	v_cmpx_ne_u32_e32 0x7f, v103
	s_cbranch_execz .LBB329_2025
; %bb.2022:                             ;   in Loop: Header=BB329_11 Depth=1
	v_and_b32_e32 v12, 7, v8
	v_lshrrev_b32_e32 v31, 3, v103
	s_mov_b32 s23, exec_lo
	v_cmpx_gt_u32_e32 8, v103
; %bb.2023:                             ;   in Loop: Header=BB329_11 Depth=1
	v_ffbh_u32_e32 v3, v12
	v_min_u32_e32 v12, 32, v3
	v_subrev_nc_u32_e32 v3, 28, v12
	v_sub_nc_u32_e32 v31, 29, v12
	v_lshlrev_b64 v[3:4], v3, v[8:9]
	v_and_b32_e32 v12, 7, v3
; %bb.2024:                             ;   in Loop: Header=BB329_11 Depth=1
	s_or_b32 exec_lo, exec_lo, s23
	v_lshlrev_b32_e32 v3, 8, v8
	v_lshl_add_u32 v4, v31, 10, 0x2000
	v_and_or_b32 v3, 0x8000, v3, v4
	v_lshlrev_b32_e32 v4, 23, v12
	v_lshl_or_b32 v12, v3, 16, v4
.LBB329_2025:                           ;   in Loop: Header=BB329_11 Depth=1
	s_or_b32 exec_lo, exec_lo, s22
.LBB329_2026:                           ;   in Loop: Header=BB329_11 Depth=1
	s_or_b32 exec_lo, exec_lo, s21
.LBB329_2027:                           ;   in Loop: Header=BB329_11 Depth=1
	s_or_b32 exec_lo, exec_lo, s20
	v_mov_b32_e32 v8, v29
	v_cmp_ne_u16_sdwa s5, v29, v9 src0_sel:BYTE_0 src1_sel:DWORD
	s_and_saveexec_b32 s20, s5
	s_cbranch_execz .LBB329_2035
; %bb.2028:                             ;   in Loop: Header=BB329_11 Depth=1
	v_cmp_ne_u16_sdwa s5, v29, v124 src0_sel:BYTE_0 src1_sel:DWORD
	v_mov_b32_e32 v108, 0x8000
	s_and_saveexec_b32 s21, s5
	s_cbranch_execz .LBB329_2034
; %bb.2029:                             ;   in Loop: Header=BB329_11 Depth=1
	v_and_b32_e32 v44, 0x7f, v29
	v_mov_b32_e32 v108, 0x7c01
	s_mov_b32 s22, exec_lo
	v_cmpx_ne_u32_e32 0x7f, v44
	s_cbranch_execz .LBB329_2033
; %bb.2030:                             ;   in Loop: Header=BB329_11 Depth=1
	v_and_b32_e32 v31, 7, v29
	v_lshrrev_b32_e32 v103, 3, v44
	s_mov_b32 s23, exec_lo
	v_cmpx_gt_u32_e32 8, v44
; %bb.2031:                             ;   in Loop: Header=BB329_11 Depth=1
	v_ffbh_u32_e32 v3, v31
	v_min_u32_e32 v31, 32, v3
	v_subrev_nc_u32_e32 v3, 28, v31
	v_sub_nc_u32_e32 v103, 29, v31
	v_lshlrev_b64 v[3:4], v3, v[8:9]
	v_and_b32_e32 v31, 7, v3
; %bb.2032:                             ;   in Loop: Header=BB329_11 Depth=1
	s_or_b32 exec_lo, exec_lo, s23
	v_lshlrev_b32_e32 v3, 8, v29
	v_lshl_add_u32 v4, v103, 10, 0x2000
	v_lshlrev_b32_e32 v31, 7, v31
	v_and_b32_e32 v3, 0x8000, v3
	v_and_b32_e32 v4, 0xfc00, v4
	v_or3_b32 v108, v3, v4, v31
.LBB329_2033:                           ;   in Loop: Header=BB329_11 Depth=1
	s_or_b32 exec_lo, exec_lo, s22
.LBB329_2034:                           ;   in Loop: Header=BB329_11 Depth=1
	s_or_b32 exec_lo, exec_lo, s21
.LBB329_2035:                           ;   in Loop: Header=BB329_11 Depth=1
	s_or_b32 exec_lo, exec_lo, s20
	v_lshrrev_b16 v8, 8, v8
	v_mov_b32_e32 v44, 0
	v_mov_b32_e32 v103, 0
	s_mov_b32 s20, exec_lo
	v_cmpx_ne_u16_e32 0, v8
	s_cbranch_execz .LBB329_2043
; %bb.2036:                             ;   in Loop: Header=BB329_11 Depth=1
	v_bfrev_b32_e32 v103, 1
	s_mov_b32 s21, exec_lo
	v_cmpx_ne_u16_e32 0x80, v8
	s_cbranch_execz .LBB329_2042
; %bb.2037:                             ;   in Loop: Header=BB329_11 Depth=1
	v_mov_b32_e32 v3, 0x7f
	v_mov_b32_e32 v103, 0x7c010000
	s_mov_b32 s22, exec_lo
	v_and_b32_sdwa v60, v8, v3 dst_sel:DWORD dst_unused:UNUSED_PAD src0_sel:WORD_0 src1_sel:DWORD
	v_cmpx_ne_u32_e32 0x7f, v60
	s_cbranch_execz .LBB329_2041
; %bb.2038:                             ;   in Loop: Header=BB329_11 Depth=1
	v_mov_b32_e32 v3, 7
	v_lshrrev_b32_e32 v103, 3, v60
	s_mov_b32 s23, exec_lo
	v_and_b32_sdwa v31, v8, v3 dst_sel:DWORD dst_unused:UNUSED_PAD src0_sel:WORD_0 src1_sel:DWORD
	v_cmpx_gt_u32_e32 8, v60
; %bb.2039:                             ;   in Loop: Header=BB329_11 Depth=1
	v_ffbh_u32_e32 v3, v31
	v_min_u32_e32 v31, 32, v3
	v_subrev_nc_u32_e32 v3, 28, v31
	v_sub_nc_u32_e32 v103, 29, v31
	v_lshlrev_b64 v[3:4], v3, v[8:9]
	v_and_b32_e32 v31, 7, v3
; %bb.2040:                             ;   in Loop: Header=BB329_11 Depth=1
	s_or_b32 exec_lo, exec_lo, s23
	v_mov_b32_e32 v3, 8
	v_lshl_add_u32 v4, v103, 10, 0x2000
	v_lshlrev_b32_sdwa v3, v3, v8 dst_sel:DWORD dst_unused:UNUSED_PAD src0_sel:DWORD src1_sel:WORD_0
	v_and_or_b32 v3, 0x8000, v3, v4
	v_lshlrev_b32_e32 v4, 23, v31
	v_lshl_or_b32 v103, v3, 16, v4
.LBB329_2041:                           ;   in Loop: Header=BB329_11 Depth=1
	s_or_b32 exec_lo, exec_lo, s22
.LBB329_2042:                           ;   in Loop: Header=BB329_11 Depth=1
	s_or_b32 exec_lo, exec_lo, s21
.LBB329_2043:                           ;   in Loop: Header=BB329_11 Depth=1
	s_or_b32 exec_lo, exec_lo, s20
	v_lshrrev_b32_e32 v8, 16, v29
	v_cmp_ne_u16_sdwa s5, v8, v9 src0_sel:BYTE_0 src1_sel:DWORD
	s_and_saveexec_b32 s20, s5
	s_cbranch_execz .LBB329_2051
; %bb.2044:                             ;   in Loop: Header=BB329_11 Depth=1
	v_cmp_ne_u16_sdwa s5, v8, v124 src0_sel:BYTE_0 src1_sel:DWORD
	v_mov_b32_e32 v44, 0x8000
	s_and_saveexec_b32 s21, s5
	s_cbranch_execz .LBB329_2050
; %bb.2045:                             ;   in Loop: Header=BB329_11 Depth=1
	v_bfe_u32 v60, v29, 16, 7
	v_mov_b32_e32 v44, 0x7c01
	s_mov_b32 s22, exec_lo
	v_cmpx_ne_u32_e32 0x7f, v60
	s_cbranch_execz .LBB329_2049
; %bb.2046:                             ;   in Loop: Header=BB329_11 Depth=1
	v_and_b32_e32 v31, 7, v8
	v_lshrrev_b32_e32 v44, 3, v60
	s_mov_b32 s23, exec_lo
	v_cmpx_gt_u32_e32 8, v60
; %bb.2047:                             ;   in Loop: Header=BB329_11 Depth=1
	v_ffbh_u32_e32 v3, v31
	v_min_u32_e32 v31, 32, v3
	v_subrev_nc_u32_e32 v3, 28, v31
	v_sub_nc_u32_e32 v44, 29, v31
	v_lshlrev_b64 v[3:4], v3, v[8:9]
	v_and_b32_e32 v31, 7, v3
; %bb.2048:                             ;   in Loop: Header=BB329_11 Depth=1
	s_or_b32 exec_lo, exec_lo, s23
	v_lshlrev_b32_e32 v3, 8, v8
	v_lshl_add_u32 v4, v44, 10, 0x2000
	v_lshlrev_b32_e32 v8, 7, v31
	v_and_b32_e32 v3, 0x8000, v3
	v_and_b32_e32 v4, 0xfc00, v4
	v_or3_b32 v44, v3, v4, v8
.LBB329_2049:                           ;   in Loop: Header=BB329_11 Depth=1
	s_or_b32 exec_lo, exec_lo, s22
.LBB329_2050:                           ;   in Loop: Header=BB329_11 Depth=1
	s_or_b32 exec_lo, exec_lo, s21
.LBB329_2051:                           ;   in Loop: Header=BB329_11 Depth=1
	s_or_b32 exec_lo, exec_lo, s20
	v_mov_b32_e32 v60, 0
	v_cmp_lt_u64_e64 s5, s[6:7], v[28:29]
	s_mov_b32 s20, exec_lo
	s_clause 0x2
	buffer_load_dword v111, off, s[0:3], s32 offset:720
	buffer_load_dword v82, off, s[0:3], s32 offset:724
	;; [unrolled: 1-line block ×3, first 2 shown]
	s_and_b32 s5, s20, s5
	s_mov_b32 exec_lo, s5
	s_cbranch_execz .LBB329_10
; %bb.2052:                             ;   in Loop: Header=BB329_11 Depth=1
	v_lshrrev_b32_e32 v8, 24, v29
	v_bfrev_b32_e32 v60, 1
	s_mov_b32 s21, exec_lo
	v_cmpx_ne_u32_e32 0x80, v8
	s_cbranch_execz .LBB329_9
; %bb.2053:                             ;   in Loop: Header=BB329_11 Depth=1
	v_and_b32_e32 v31, 0x7f, v8
	v_mov_b32_e32 v60, 0x7c010000
	s_mov_b32 s22, exec_lo
	v_cmpx_ne_u32_e32 0x7f, v31
	s_cbranch_execz .LBB329_8
; %bb.2054:                             ;   in Loop: Header=BB329_11 Depth=1
	v_and_b32_e32 v28, 7, v8
	v_lshrrev_b32_e32 v29, 3, v31
	s_mov_b32 s23, exec_lo
	v_cmpx_gt_u32_e32 8, v31
	s_cbranch_execz .LBB329_7
; %bb.2055:                             ;   in Loop: Header=BB329_11 Depth=1
	s_waitcnt vmcnt(0)
	v_ffbh_u32_e32 v3, v28
	v_min_u32_e32 v28, 32, v3
	v_subrev_nc_u32_e32 v3, 28, v28
	v_sub_nc_u32_e32 v29, 29, v28
	v_lshlrev_b64 v[3:4], v3, v[8:9]
	v_and_b32_e32 v28, 7, v3
	s_branch .LBB329_7
.LBB329_2056:
	s_or_b32 exec_lo, exec_lo, s19
	s_clause 0xe
	buffer_load_dword v15, off, s[0:3], s32 offset:1288
	buffer_load_dword v14, off, s[0:3], s32 offset:1292
	;; [unrolled: 1-line block ×15, first 2 shown]
.LBB329_2057:
	s_or_b32 exec_lo, exec_lo, s17
	v_mbcnt_lo_u32_b32 v0, -1, 0
	v_max_f32_e32 v4, v6, v6
	s_lshr_b32 s13, s13, 16
	v_xor_b32_e32 v1, 16, v0
	v_xor_b32_e32 v3, 8, v0
	;; [unrolled: 1-line block ×3, first 2 shown]
	v_cmp_gt_i32_e32 vcc_lo, 32, v1
	v_cndmask_b32_e32 v1, v0, v1, vcc_lo
	v_cmp_gt_i32_e32 vcc_lo, 32, v3
	v_lshlrev_b32_e32 v2, 2, v1
	v_cndmask_b32_e32 v3, v0, v3, vcc_lo
	v_cmp_gt_i32_e32 vcc_lo, 32, v5
	ds_bpermute_b32 v1, v2, v6
	v_lshlrev_b32_e32 v3, 2, v3
	v_cndmask_b32_e32 v5, v0, v5, vcc_lo
	s_waitcnt lgkmcnt(0)
	v_max_f32_e32 v1, v1, v1
	v_max_f32_e32 v1, v4, v1
	ds_bpermute_b32 v4, v3, v1
	s_waitcnt lgkmcnt(0)
	v_max_f32_e32 v6, v4, v4
	v_lshlrev_b32_e32 v4, 2, v5
	v_max_f32_e32 v1, v1, v6
	v_xor_b32_e32 v6, 2, v0
	ds_bpermute_b32 v5, v4, v1
	v_cmp_gt_i32_e32 vcc_lo, 32, v6
	v_cndmask_b32_e32 v6, v0, v6, vcc_lo
	v_lshlrev_b32_e32 v19, 2, v6
	v_xor_b32_e32 v6, 1, v0
	v_cmp_gt_i32_e32 vcc_lo, 32, v6
	s_waitcnt lgkmcnt(0)
	v_max_f32_e32 v5, v5, v5
	v_cndmask_b32_e32 v6, v0, v6, vcc_lo
	v_max_f32_e32 v1, v1, v5
	v_lshlrev_b32_e32 v18, 2, v6
	ds_bpermute_b32 v5, v19, v1
	s_waitcnt lgkmcnt(0)
	v_max_f32_e32 v5, v5, v5
	v_max_f32_e32 v0, v1, v5
	buffer_load_dword v5, off, s[0:3], s32 offset:1272 ; 4-byte Folded Reload
	ds_bpermute_b32 v1, v18, v0
	s_waitcnt vmcnt(0)
	v_cmp_eq_u32_e32 vcc_lo, 0, v5
	buffer_load_dword v5, off, s[0:3], s32 offset:1276 ; 4-byte Folded Reload
	s_waitcnt vmcnt(0)
	v_lshlrev_b32_e32 v5, 2, v5
	s_mov_b32 s5, exec_lo
	buffer_load_dword v8, off, s[0:3], s32 offset:1268 ; 4-byte Folded Reload
	s_and_b32 s6, s5, vcc_lo
	s_mov_b32 exec_lo, s6
	s_cbranch_execz .LBB329_2059
; %bb.2058:
	s_waitcnt lgkmcnt(0)
	v_max_f32_e32 v1, v1, v1
	v_max_f32_e32 v0, v0, v0
	;; [unrolled: 1-line block ×3, first 2 shown]
	ds_write_b32 v5, v0 offset:512
.LBB329_2059:
	s_or_b32 exec_lo, exec_lo, s5
	buffer_load_dword v0, off, s[0:3], s32 offset:1272 ; 4-byte Folded Reload
	s_waitcnt vmcnt(0) lgkmcnt(0)
	s_waitcnt_vscnt null, 0x0
	s_barrier
	buffer_gl0_inv
	v_cmp_gt_u32_e64 s5, 4, v0
	v_mov_b32_e32 v0, 0xff7fffff
	s_and_saveexec_b32 s6, s5
; %bb.2060:
	ds_read_b32 v0, v20 offset:512
; %bb.2061:
	s_or_b32 exec_lo, exec_lo, s6
	buffer_load_dword v6, off, s[0:3], s32 offset:784 ; 4-byte Folded Reload
	s_waitcnt lgkmcnt(0)
	ds_bpermute_b32 v1, v19, v0
	v_max_f32_e32 v0, v0, v0
	s_waitcnt lgkmcnt(0)
	v_max_f32_e32 v1, v1, v1
	v_max_f32_e32 v0, v0, v1
	ds_bpermute_b32 v1, v18, v0
	s_waitcnt lgkmcnt(0)
	v_max_f32_e32 v1, v1, v1
	v_max_f32_e32 v0, v0, v1
	s_waitcnt vmcnt(0)
	v_subrev_nc_u32_e32 v7, s9, v6
	v_mov_b32_e32 v6, 0
	v_lshl_add_u32 v1, v7, 5, s11
	buffer_load_dword v7, off, s[0:3], s32 offset:776 ; 4-byte Folded Reload
	ds_bpermute_b32 v0, v6, v0
	s_waitcnt vmcnt(0)
	v_min_i32_e32 v1, v1, v7
	v_subrev_nc_u32_e32 v1, s11, v1
	v_cmp_lt_i32_e64 s6, v8, v1
	s_and_saveexec_b32 s9, s6
	s_cbranch_execz .LBB329_2065
; %bb.2062:
	s_getpc_b64 s[20:21]
	s_add_u32 s20, s20, llvm.amdgcn.dynlds.offset.table@rel32@lo+4
	s_addc_u32 s21, s21, llvm.amdgcn.dynlds.offset.table@rel32@hi+12
	s_ashr_i32 s19, s18, 31
	v_mov_b32_e32 v6, 0
	s_lshl_b64 s[22:23], s[18:19], 2
	s_mov_b32 s17, 0
	s_add_u32 s20, s20, s22
	s_addc_u32 s21, s21, s23
	s_load_dword s7, s[20:21], 0x0
	s_waitcnt lgkmcnt(0)
	v_lshl_add_u32 v7, v8, 2, s7
	.p2align	6
.LBB329_2063:                           ; =>This Inner Loop Header: Depth=1
	ds_read_b32 v9, v7
	v_add_nc_u32_e32 v8, 0x80, v8
	v_cmp_ge_i32_e64 s7, v8, v1
	s_or_b32 s17, s7, s17
	s_waitcnt lgkmcnt(0)
	v_sub_f32_e32 v9, v9, v0
	v_mul_f32_e32 v9, 0x3fb8aa3b, v9
	v_exp_f32_e32 v9, v9
	ds_write_b32 v7, v9
	v_add_f32_e32 v6, v6, v9
	v_add_nc_u32_e32 v7, 0x200, v7
	s_andn2_b32 exec_lo, exec_lo, s17
	s_cbranch_execnz .LBB329_2063
; %bb.2064:
	s_or_b32 exec_lo, exec_lo, s17
	buffer_load_dword v8, off, s[0:3], s32 offset:1268 ; 4-byte Folded Reload
.LBB329_2065:
	s_or_b32 exec_lo, exec_lo, s9
	ds_bpermute_b32 v2, v2, v6
	s_waitcnt lgkmcnt(0)
	v_add_f32_e32 v2, v6, v2
	ds_bpermute_b32 v3, v3, v2
	s_waitcnt lgkmcnt(0)
	v_add_f32_e32 v2, v2, v3
	ds_bpermute_b32 v3, v4, v2
	s_waitcnt lgkmcnt(0)
	v_add_f32_e32 v2, v2, v3
	ds_bpermute_b32 v3, v19, v2
	s_waitcnt lgkmcnt(0)
	v_add_f32_e32 v2, v2, v3
	ds_bpermute_b32 v3, v18, v2
	s_waitcnt lgkmcnt(0)
	v_add_f32_e32 v2, v2, v3
	s_and_saveexec_b32 s7, vcc_lo
; %bb.2066:
	ds_write_b32 v5, v2 offset:528
; %bb.2067:
	s_or_b32 exec_lo, exec_lo, s7
	s_waitcnt vmcnt(0) lgkmcnt(0)
	s_barrier
	buffer_gl0_inv
	s_and_saveexec_b32 s7, s5
; %bb.2068:
	ds_read_b32 v2, v20 offset:528
; %bb.2069:
	s_or_b32 exec_lo, exec_lo, s7
	s_waitcnt lgkmcnt(0)
	ds_bpermute_b32 v3, v19, v2
	s_waitcnt lgkmcnt(0)
	v_add_f32_e32 v2, v2, v3
	ds_bpermute_b32 v3, v18, v2
	s_waitcnt lgkmcnt(0)
	v_add_f32_e32 v2, v2, v3
	v_mov_b32_e32 v3, 0
	ds_bpermute_b32 v2, v3, v2
	s_and_saveexec_b32 s5, s6
	s_cbranch_execz .LBB329_2072
; %bb.2070:
	s_waitcnt lgkmcnt(0)
	v_add_f32_e32 v4, 0x358637bd, v2
	s_getpc_b64 s[6:7]
	s_add_u32 s6, s6, llvm.amdgcn.dynlds.offset.table@rel32@lo+4
	s_addc_u32 s7, s7, llvm.amdgcn.dynlds.offset.table@rel32@hi+12
	s_ashr_i32 s19, s18, 31
	s_lshl_b64 s[20:21], s[18:19], 2
	v_div_scale_f32 v3, null, v4, v4, 1.0
	v_div_scale_f32 v7, vcc_lo, 1.0, v4, 1.0
	s_add_u32 s6, s6, s20
	v_rcp_f32_e32 v5, v3
	s_addc_u32 s7, s7, s21
	s_load_dword s6, s[6:7], 0x0
	v_fma_f32 v6, -v3, v5, 1.0
	v_fmac_f32_e32 v5, v6, v5
	v_mul_f32_e32 v6, v7, v5
	v_fma_f32 v8, -v3, v6, v7
	v_fmac_f32_e32 v6, v8, v5
	buffer_load_dword v8, off, s[0:3], s32 offset:1268 ; 4-byte Folded Reload
	v_fma_f32 v3, -v3, v6, v7
	v_div_fmas_f32 v5, v3, v5, v6
	v_div_fixup_f32 v4, v5, v4, 1.0
	s_waitcnt vmcnt(0) lgkmcnt(0)
	v_lshl_add_u32 v3, v8, 2, s6
	v_mov_b32_e32 v5, v8
	s_mov_b32 s6, 0
.LBB329_2071:                           ; =>This Inner Loop Header: Depth=1
	ds_read_b32 v6, v3
	v_add_nc_u32_e32 v5, 0x80, v5
	v_cmp_ge_i32_e32 vcc_lo, v5, v1
	s_or_b32 s6, vcc_lo, s6
	s_waitcnt lgkmcnt(0)
	v_mul_f32_e32 v6, v4, v6
	ds_write_b32 v3, v6
	v_add_nc_u32_e32 v3, 0x200, v3
	s_andn2_b32 exec_lo, exec_lo, s6
	s_cbranch_execnz .LBB329_2071
.LBB329_2072:
	s_or_b32 exec_lo, exec_lo, s5
	s_and_b32 s5, 0xffff, s13
	s_waitcnt lgkmcnt(0)
	s_cmp_lg_u32 s5, 0
	s_barrier
	s_cselect_b32 s5, -1, 0
	buffer_gl0_inv
	s_cmp_lg_u32 s5, 0
	s_addc_u32 s13, s8, 0
	s_mul_i32 s5, s13, s10
	s_mul_i32 s20, s5, s15
	s_mov_b32 s5, exec_lo
	v_cmpx_eq_u32_e32 0, v8
	s_cbranch_execz .LBB329_2074
; %bb.2073:
	s_ashr_i32 s21, s20, 31
	s_mul_i32 s6, s13, s12
	s_lshl_b64 s[8:9], s[20:21], 2
	s_ashr_i32 s7, s6, 31
	v_add_co_u32 v1, vcc_lo, v26, s8
	v_add_co_ci_u32_e64 v3, null, s9, v25, vcc_lo
	s_lshl_b64 s[6:7], s[6:7], 2
	s_ashr_i32 s15, s14, 31
	v_add_co_u32 v1, vcc_lo, v1, s6
	v_add_co_ci_u32_e64 v4, null, s7, v3, vcc_lo
	v_add_co_u32 v3, vcc_lo, v24, s8
	v_add_co_ci_u32_e64 v5, null, s9, v22, vcc_lo
	s_lshl_b64 s[8:9], s[14:15], 2
	v_add_co_u32 v6, vcc_lo, v3, s6
	v_add_co_ci_u32_e64 v7, null, s7, v5, vcc_lo
	v_add_co_u32 v3, vcc_lo, v1, s8
	v_add_co_ci_u32_e64 v4, null, s9, v4, vcc_lo
	;; [unrolled: 2-line block ×3, first 2 shown]
	flat_store_dword v[3:4], v0
	flat_store_dword v[5:6], v2
.LBB329_2074:
	s_or_b32 exec_lo, exec_lo, s5
	s_and_saveexec_b32 s5, s4
	s_xor_b32 s4, exec_lo, s5
	s_cbranch_execz .LBB329_2076
; %bb.2075:
                                        ; implicit-def: $vgpr0
                                        ; kill: killed $vgpr0
	s_ashr_i32 s19, s18, 31
                                        ; implicit-def: $vgpr0
                                        ; kill: killed $vgpr0
                                        ; implicit-def: $vgpr12
                                        ; implicit-def: $vgpr10
                                        ; implicit-def: $vgpr11
                                        ; implicit-def: $vgpr14
                                        ; implicit-def: $vgpr15
                                        ; implicit-def: $vgpr23
                                        ; implicit-def: $vgpr27
                                        ; implicit-def: $vgpr16_vgpr17
                                        ; implicit-def: $vgpr13
                                        ; implicit-def: $vgpr0
	buffer_store_dword v0, off, s[0:3], s32 offset:204 ; 4-byte Folded Spill
	buffer_store_dword v1, off, s[0:3], s32 offset:208 ; 4-byte Folded Spill
                                        ; implicit-def: $vgpr0
                                        ; kill: killed $vgpr0
                                        ; implicit-def: $vgpr0_vgpr1
                                        ; kill: killed $vgpr0_vgpr1
.LBB329_2076:
	s_or_saveexec_b32 s15, s4
	v_mov_b32_e32 v0, s18
	v_mov_b32_e32 v80, 0
	;; [unrolled: 1-line block ×34, first 2 shown]
	s_xor_b32 exec_lo, exec_lo, s15
	s_cbranch_execz .LBB329_4192
; %bb.2077:
	s_getpc_b64 s[4:5]
	s_add_u32 s4, s4, llvm.amdgcn.dynlds.offset.table@rel32@lo+4
	s_addc_u32 s5, s5, llvm.amdgcn.dynlds.offset.table@rel32@hi+12
	s_ashr_i32 s19, s18, 31
	v_lshlrev_b32_e32 v2, 3, v8
	s_lshl_b64 s[6:7], s[18:19], 2
	v_and_b32_e32 v7, 3, v8
	s_add_u32 s4, s4, s6
	s_addc_u32 s5, s5, s7
	v_and_b32_e32 v6, 24, v2
	s_load_dword s4, s[4:5], 0x0
	s_clause 0x1
	buffer_load_dword v3, off, s[0:3], s32 offset:204
	buffer_load_dword v4, off, s[0:3], s32 offset:208
	v_and_b32_e32 v42, 0xf8, v2
	v_or_b32_e32 v87, 0x1f00, v2
	v_lshlrev_b32_e32 v2, 5, v7
	buffer_load_dword v7, off, s[0:3], s32 offset:1276 ; 4-byte Folded Reload
	v_add_co_u32 v0, vcc_lo, v10, v23
	v_add_co_ci_u32_e64 v1, null, v11, v27, vcc_lo
	v_add_nc_u32_e32 v48, -1, v12
	v_mov_b32_e32 v96, 0x80
	v_mov_b32_e32 v97, 0x7f
	;; [unrolled: 1-line block ×36, first 2 shown]
	s_mov_b32 s22, -1
	s_mov_b32 s23, 0xffffff
	s_mov_b32 s17, 0
	s_waitcnt vmcnt(1)
	v_lshlrev_b64 v[4:5], 2, v[3:4]
	v_mov_b32_e32 v3, 0
	s_waitcnt vmcnt(0)
	v_lshl_or_b32 v2, v7, 7, v2
	v_add_co_u32 v4, vcc_lo, v16, v4
	v_add_co_ci_u32_e64 v5, null, v17, v5, vcc_lo
	v_add3_u32 v17, s11, v13, v6
	v_add_co_u32 v7, vcc_lo, v14, v4
	v_add_co_ci_u32_e64 v8, null, v15, v5, vcc_lo
	s_waitcnt lgkmcnt(0)
	v_add_nc_u32_e32 v43, s4, v2
	s_branch .LBB329_2079
.LBB329_2078:                           ;   in Loop: Header=BB329_2079 Depth=1
	s_or_b32 exec_lo, exec_lo, s12
	v_add_f32_e32 v4, v4, v5
	v_add_f32_e32 v6, v6, v36
	;; [unrolled: 1-line block ×3, first 2 shown]
	v_add_co_u32 v7, vcc_lo, v7, 16
	v_add_f32_e32 v66, v66, v4
	v_add_f32_e32 v4, v39, v119
	;; [unrolled: 1-line block ×15, first 2 shown]
	v_add_co_ci_u32_e64 v8, null, 0, v8, vcc_lo
	v_add_f32_e32 v25, v25, v11
	v_add_f32_e32 v69, v69, v4
	;; [unrolled: 1-line block ×4, first 2 shown]
	v_add_nc_u32_e32 v17, 0x80, v17
	v_add_nc_u32_e32 v43, 0x200, v43
	v_add_f32_e32 v84, v84, v4
	v_add_f32_e32 v4, v46, v47
	;; [unrolled: 1-line block ×33, first 2 shown]
	;;#ASMSTART
	v_pk_mul_f16 v4, v103, v62;

	;;#ASMEND
	;;#ASMSTART
	v_pk_mul_f16 v2, v102, v2;

	;;#ASMEND
	;;#ASMSTART
	v_pk_mul_f16 v5, v101, v10;

	;;#ASMEND
	;;#ASMSTART
	v_pk_mul_f16 v6, v100, v9;

	;;#ASMEND
	;;#ASMSTART
	v_pk_add_f16 v2, v4, v2;

	;;#ASMEND
	;;#ASMSTART
	v_pk_add_f16 v2, v2, v5;

	;;#ASMEND
	;; [unrolled: 4-line block ×3, first 2 shown]
	v_lshrrev_b32_e32 v4, 16, v2
	v_and_b32_e32 v2, 0xffff, v2
	;;#ASMSTART
	v_cvt_f32_f16 v2, v2;
	;;#ASMEND
	;;#ASMSTART
	v_cvt_f32_f16 v4, v4;
	;;#ASMEND
	v_add_f32_e32 v2, v2, v4
	s_clause 0x1
	buffer_load_dword v4, off, s[0:3], s32 offset:204
	buffer_load_dword v5, off, s[0:3], s32 offset:208
	v_add_f32_e32 v51, v51, v11
	v_add_f32_e32 v11, v75, v76
	;; [unrolled: 1-line block ×8, first 2 shown]
	s_waitcnt vmcnt(1)
	v_add_nc_u32_e32 v4, 4, v4
	v_mov_b32_e32 v2, v4
	buffer_store_dword v2, off, s[0:3], s32 offset:204 ; 4-byte Folded Spill
	buffer_store_dword v3, off, s[0:3], s32 offset:208 ; 4-byte Folded Spill
	buffer_load_dword v2, off, s[0:3], s32 offset:784 ; 4-byte Folded Reload
	s_waitcnt vmcnt(0)
	v_cmp_ge_i32_e32 vcc_lo, v4, v2
	s_or_b32 s17, vcc_lo, s17
	s_andn2_b32 exec_lo, exec_lo, s17
	s_cbranch_execz .LBB329_4191
.LBB329_2079:                           ; =>This Inner Loop Header: Depth=1
	flat_load_dword v2, v[7:8]
	ds_read2_b64 v[11:14], v43 offset1:1
	ds_read2_b64 v[34:37], v43 offset0:2 offset1:3
	buffer_load_dword v4, off, s[0:3], s32 offset:780 ; 4-byte Folded Reload
	s_waitcnt lgkmcnt(1)
	;;#ASMSTART
	v_cvt_f16_f32 v16, v11;

	;;#ASMEND
	s_waitcnt vmcnt(0)
	v_mad_i64_i32 v[9:10], null, v2, v4, v[0:1]
	;;#ASMSTART
	v_cvt_f16_f32 v4, v12;

	;;#ASMEND
	;;#ASMSTART
	v_cvt_f16_f32 v22, v13;

	;;#ASMEND
	;; [unrolled: 4-line block ×3, first 2 shown]
	s_waitcnt lgkmcnt(0)
	;;#ASMSTART
	v_cvt_f16_f32 v23, v34;

	;;#ASMEND
	;;#ASMSTART
	v_cvt_f16_f32 v6, v35;

	;;#ASMEND
	;; [unrolled: 4-line block ×3, first 2 shown]
	v_add_co_u32 v11, vcc_lo, v9, v42
	v_add_co_ci_u32_e64 v12, null, 0, v10, vcc_lo
	;;#ASMSTART
	v_cvt_f16_f32 v15, v37;

	;;#ASMEND
	flat_load_dwordx2 v[13:14], v[11:12]
	s_clause 0x1
	buffer_load_dword v34, off, s[0:3], s32 offset:192
	buffer_load_dword v35, off, s[0:3], s32 offset:196
	s_waitcnt vmcnt(2) lgkmcnt(0)
	v_cmp_ne_u16_sdwa s5, v13, v3 src0_sel:BYTE_0 src1_sel:DWORD
	s_waitcnt vmcnt(0)
	flat_load_dword v27, v[34:35]
	v_mov_b32_e32 v34, 0
	s_and_saveexec_b32 s4, s5
	s_cbranch_execz .LBB329_2087
; %bb.2080:                             ;   in Loop: Header=BB329_2079 Depth=1
	v_cmp_ne_u16_sdwa s6, v13, v96 src0_sel:BYTE_0 src1_sel:DWORD
	v_mov_b32_e32 v34, 0x8000
	s_and_saveexec_b32 s5, s6
	s_cbranch_execz .LBB329_2086
; %bb.2081:                             ;   in Loop: Header=BB329_2079 Depth=1
	v_and_b32_e32 v35, 0x7f, v13
	v_mov_b32_e32 v34, 0x7c01
	s_mov_b32 s6, exec_lo
	v_cmpx_ne_u32_e32 0x7f, v35
	s_cbranch_execz .LBB329_2085
; %bb.2082:                             ;   in Loop: Header=BB329_2079 Depth=1
	v_and_b32_e32 v2, 7, v13
	v_lshrrev_b32_e32 v34, 3, v35
	s_mov_b32 s7, exec_lo
	v_cmpx_gt_u32_e32 8, v35
; %bb.2083:                             ;   in Loop: Header=BB329_2079 Depth=1
	v_ffbh_u32_e32 v2, v2
	v_min_u32_e32 v2, 32, v2
	v_subrev_nc_u32_e32 v34, 28, v2
	v_lshlrev_b64 v[35:36], v34, v[13:14]
	v_sub_nc_u32_e32 v34, 29, v2
	v_and_b32_e32 v2, 7, v35
; %bb.2084:                             ;   in Loop: Header=BB329_2079 Depth=1
	s_or_b32 exec_lo, exec_lo, s7
	v_lshlrev_b32_e32 v35, 8, v13
	v_lshl_add_u32 v34, v34, 10, 0x2000
	v_lshlrev_b32_e32 v2, 7, v2
	v_and_b32_e32 v35, 0x8000, v35
	v_and_b32_e32 v34, 0xfc00, v34
	v_or3_b32 v34, v35, v34, v2
.LBB329_2085:                           ;   in Loop: Header=BB329_2079 Depth=1
	s_or_b32 exec_lo, exec_lo, s6
.LBB329_2086:                           ;   in Loop: Header=BB329_2079 Depth=1
	s_or_b32 exec_lo, exec_lo, s5
.LBB329_2087:                           ;   in Loop: Header=BB329_2079 Depth=1
	s_or_b32 exec_lo, exec_lo, s4
	v_lshrrev_b16 v2, 8, v13
	v_mov_b32_e32 v36, 0
	v_mov_b32_e32 v35, 0
	s_mov_b32 s4, exec_lo
	v_cmpx_ne_u16_e32 0, v2
	s_cbranch_execz .LBB329_2095
; %bb.2088:                             ;   in Loop: Header=BB329_2079 Depth=1
	v_bfrev_b32_e32 v35, 1
	s_mov_b32 s5, exec_lo
	v_cmpx_ne_u16_e32 0x80, v2
	s_cbranch_execz .LBB329_2094
; %bb.2089:                             ;   in Loop: Header=BB329_2079 Depth=1
	v_and_b32_sdwa v38, v2, v97 dst_sel:DWORD dst_unused:UNUSED_PAD src0_sel:WORD_0 src1_sel:DWORD
	v_mov_b32_e32 v35, 0x7c010000
	s_mov_b32 s6, exec_lo
	v_cmpx_ne_u32_e32 0x7f, v38
	s_cbranch_execz .LBB329_2093
; %bb.2090:                             ;   in Loop: Header=BB329_2079 Depth=1
	v_and_b32_sdwa v35, v2, v64 dst_sel:DWORD dst_unused:UNUSED_PAD src0_sel:WORD_0 src1_sel:DWORD
	v_lshrrev_b32_e32 v37, 3, v38
	s_mov_b32 s7, exec_lo
	v_cmpx_gt_u32_e32 8, v38
; %bb.2091:                             ;   in Loop: Header=BB329_2079 Depth=1
	v_ffbh_u32_e32 v35, v35
	v_min_u32_e32 v35, 32, v35
	v_subrev_nc_u32_e32 v37, 28, v35
	v_lshlrev_b64 v[38:39], v37, v[2:3]
	v_sub_nc_u32_e32 v37, 29, v35
	v_and_b32_e32 v35, 7, v38
; %bb.2092:                             ;   in Loop: Header=BB329_2079 Depth=1
	s_or_b32 exec_lo, exec_lo, s7
	v_lshlrev_b32_sdwa v2, v61, v2 dst_sel:DWORD dst_unused:UNUSED_PAD src0_sel:DWORD src1_sel:WORD_0
	v_lshl_add_u32 v37, v37, 10, 0x2000
	v_lshlrev_b32_e32 v35, 23, v35
	v_and_or_b32 v2, 0x8000, v2, v37
	v_lshl_or_b32 v35, v2, 16, v35
.LBB329_2093:                           ;   in Loop: Header=BB329_2079 Depth=1
	s_or_b32 exec_lo, exec_lo, s6
.LBB329_2094:                           ;   in Loop: Header=BB329_2079 Depth=1
	s_or_b32 exec_lo, exec_lo, s5
.LBB329_2095:                           ;   in Loop: Header=BB329_2079 Depth=1
	s_or_b32 exec_lo, exec_lo, s4
	v_lshrrev_b32_e32 v2, 16, v13
	v_cmp_ne_u16_sdwa s5, v2, v3 src0_sel:BYTE_0 src1_sel:DWORD
	s_and_saveexec_b32 s4, s5
	s_cbranch_execz .LBB329_2103
; %bb.2096:                             ;   in Loop: Header=BB329_2079 Depth=1
	v_cmp_ne_u16_sdwa s6, v2, v96 src0_sel:BYTE_0 src1_sel:DWORD
	v_mov_b32_e32 v36, 0x8000
	s_and_saveexec_b32 s5, s6
	s_cbranch_execz .LBB329_2102
; %bb.2097:                             ;   in Loop: Header=BB329_2079 Depth=1
	v_bfe_u32 v38, v13, 16, 7
	v_mov_b32_e32 v36, 0x7c01
	s_mov_b32 s6, exec_lo
	v_cmpx_ne_u32_e32 0x7f, v38
	s_cbranch_execz .LBB329_2101
; %bb.2098:                             ;   in Loop: Header=BB329_2079 Depth=1
	v_and_b32_e32 v36, 7, v2
	v_lshrrev_b32_e32 v37, 3, v38
	s_mov_b32 s7, exec_lo
	v_cmpx_gt_u32_e32 8, v38
; %bb.2099:                             ;   in Loop: Header=BB329_2079 Depth=1
	v_ffbh_u32_e32 v36, v36
	v_min_u32_e32 v38, 32, v36
	v_subrev_nc_u32_e32 v36, 28, v38
	v_lshlrev_b64 v[36:37], v36, v[2:3]
	v_sub_nc_u32_e32 v37, 29, v38
	v_and_b32_e32 v36, 7, v36
; %bb.2100:                             ;   in Loop: Header=BB329_2079 Depth=1
	s_or_b32 exec_lo, exec_lo, s7
	v_lshlrev_b32_e32 v2, 8, v2
	v_lshl_add_u32 v37, v37, 10, 0x2000
	v_lshlrev_b32_e32 v36, 7, v36
	v_and_b32_e32 v2, 0x8000, v2
	v_and_b32_e32 v37, 0xfc00, v37
	v_or3_b32 v36, v2, v37, v36
.LBB329_2101:                           ;   in Loop: Header=BB329_2079 Depth=1
	s_or_b32 exec_lo, exec_lo, s6
.LBB329_2102:                           ;   in Loop: Header=BB329_2079 Depth=1
	s_or_b32 exec_lo, exec_lo, s5
.LBB329_2103:                           ;   in Loop: Header=BB329_2079 Depth=1
	s_or_b32 exec_lo, exec_lo, s4
	v_mov_b32_e32 v37, 0
	v_mov_b32_e32 v38, 0
	s_mov_b32 s4, exec_lo
	v_cmpx_lt_u32_e32 0xffffff, v13
	s_cbranch_execz .LBB329_2111
; %bb.2104:                             ;   in Loop: Header=BB329_2079 Depth=1
	v_lshrrev_b32_e32 v2, 24, v13
	v_bfrev_b32_e32 v38, 1
	s_mov_b32 s5, exec_lo
	v_cmpx_ne_u32_e32 0x80, v2
	s_cbranch_execz .LBB329_2110
; %bb.2105:                             ;   in Loop: Header=BB329_2079 Depth=1
	v_and_b32_e32 v81, 0x7f, v2
	v_mov_b32_e32 v38, 0x7c010000
	s_mov_b32 s6, exec_lo
	v_cmpx_ne_u32_e32 0x7f, v81
	s_cbranch_execz .LBB329_2109
; %bb.2106:                             ;   in Loop: Header=BB329_2079 Depth=1
	v_and_b32_e32 v38, 7, v2
	v_lshrrev_b32_e32 v39, 3, v81
	s_mov_b32 s7, exec_lo
	v_cmpx_gt_u32_e32 8, v81
; %bb.2107:                             ;   in Loop: Header=BB329_2079 Depth=1
	v_ffbh_u32_e32 v38, v38
	v_min_u32_e32 v81, 32, v38
	v_subrev_nc_u32_e32 v38, 28, v81
	v_lshlrev_b64 v[38:39], v38, v[2:3]
	v_sub_nc_u32_e32 v39, 29, v81
	v_and_b32_e32 v38, 7, v38
; %bb.2108:                             ;   in Loop: Header=BB329_2079 Depth=1
	s_or_b32 exec_lo, exec_lo, s7
	v_lshlrev_b32_e32 v2, 8, v2
	v_lshl_add_u32 v39, v39, 10, 0x2000
	v_lshlrev_b32_e32 v38, 23, v38
	v_and_or_b32 v2, 0x8000, v2, v39
	v_lshl_or_b32 v38, v2, 16, v38
.LBB329_2109:                           ;   in Loop: Header=BB329_2079 Depth=1
	s_or_b32 exec_lo, exec_lo, s6
.LBB329_2110:                           ;   in Loop: Header=BB329_2079 Depth=1
	s_or_b32 exec_lo, exec_lo, s5
.LBB329_2111:                           ;   in Loop: Header=BB329_2079 Depth=1
	s_or_b32 exec_lo, exec_lo, s4
	v_mov_b32_e32 v2, v14
	v_cmp_ne_u16_sdwa s5, v14, v3 src0_sel:BYTE_0 src1_sel:DWORD
	s_and_saveexec_b32 s4, s5
	s_cbranch_execz .LBB329_2119
; %bb.2112:                             ;   in Loop: Header=BB329_2079 Depth=1
	v_cmp_ne_u16_sdwa s6, v14, v96 src0_sel:BYTE_0 src1_sel:DWORD
	v_mov_b32_e32 v37, 0x8000
	s_and_saveexec_b32 s5, s6
	s_cbranch_execz .LBB329_2118
; %bb.2113:                             ;   in Loop: Header=BB329_2079 Depth=1
	v_and_b32_e32 v81, 0x7f, v14
	v_mov_b32_e32 v37, 0x7c01
	s_mov_b32 s6, exec_lo
	v_cmpx_ne_u32_e32 0x7f, v81
	s_cbranch_execz .LBB329_2117
; %bb.2114:                             ;   in Loop: Header=BB329_2079 Depth=1
	v_and_b32_e32 v37, 7, v14
	v_lshrrev_b32_e32 v39, 3, v81
	s_mov_b32 s7, exec_lo
	v_cmpx_gt_u32_e32 8, v81
; %bb.2115:                             ;   in Loop: Header=BB329_2079 Depth=1
	v_ffbh_u32_e32 v37, v37
	v_min_u32_e32 v37, 32, v37
	v_subrev_nc_u32_e32 v39, 28, v37
	v_lshlrev_b64 v[81:82], v39, v[2:3]
	v_sub_nc_u32_e32 v39, 29, v37
	v_and_b32_e32 v37, 7, v81
; %bb.2116:                             ;   in Loop: Header=BB329_2079 Depth=1
	s_or_b32 exec_lo, exec_lo, s7
	v_lshlrev_b32_e32 v81, 8, v14
	v_lshl_add_u32 v39, v39, 10, 0x2000
	v_lshlrev_b32_e32 v37, 7, v37
	v_and_b32_e32 v81, 0x8000, v81
	v_and_b32_e32 v39, 0xfc00, v39
	v_or3_b32 v37, v81, v39, v37
.LBB329_2117:                           ;   in Loop: Header=BB329_2079 Depth=1
	s_or_b32 exec_lo, exec_lo, s6
.LBB329_2118:                           ;   in Loop: Header=BB329_2079 Depth=1
	s_or_b32 exec_lo, exec_lo, s5
.LBB329_2119:                           ;   in Loop: Header=BB329_2079 Depth=1
	s_or_b32 exec_lo, exec_lo, s4
	v_lshrrev_b16 v2, 8, v2
	v_mov_b32_e32 v81, 0
	v_mov_b32_e32 v39, 0
	s_mov_b32 s4, exec_lo
	v_cmpx_ne_u16_e32 0, v2
	s_cbranch_execz .LBB329_2127
; %bb.2120:                             ;   in Loop: Header=BB329_2079 Depth=1
	v_bfrev_b32_e32 v39, 1
	s_mov_b32 s5, exec_lo
	v_cmpx_ne_u16_e32 0x80, v2
	s_cbranch_execz .LBB329_2126
; %bb.2121:                             ;   in Loop: Header=BB329_2079 Depth=1
	v_and_b32_sdwa v98, v2, v97 dst_sel:DWORD dst_unused:UNUSED_PAD src0_sel:WORD_0 src1_sel:DWORD
	v_mov_b32_e32 v39, 0x7c010000
	s_mov_b32 s6, exec_lo
	v_cmpx_ne_u32_e32 0x7f, v98
	s_cbranch_execz .LBB329_2125
; %bb.2122:                             ;   in Loop: Header=BB329_2079 Depth=1
	v_and_b32_sdwa v39, v2, v64 dst_sel:DWORD dst_unused:UNUSED_PAD src0_sel:WORD_0 src1_sel:DWORD
	v_lshrrev_b32_e32 v82, 3, v98
	s_mov_b32 s7, exec_lo
	v_cmpx_gt_u32_e32 8, v98
; %bb.2123:                             ;   in Loop: Header=BB329_2079 Depth=1
	v_ffbh_u32_e32 v39, v39
	v_min_u32_e32 v39, 32, v39
	v_subrev_nc_u32_e32 v82, 28, v39
	v_lshlrev_b64 v[98:99], v82, v[2:3]
	v_sub_nc_u32_e32 v82, 29, v39
	v_and_b32_e32 v39, 7, v98
; %bb.2124:                             ;   in Loop: Header=BB329_2079 Depth=1
	s_or_b32 exec_lo, exec_lo, s7
	v_lshlrev_b32_sdwa v2, v61, v2 dst_sel:DWORD dst_unused:UNUSED_PAD src0_sel:DWORD src1_sel:WORD_0
	v_lshl_add_u32 v82, v82, 10, 0x2000
	v_lshlrev_b32_e32 v39, 23, v39
	v_and_or_b32 v2, 0x8000, v2, v82
	v_lshl_or_b32 v39, v2, 16, v39
.LBB329_2125:                           ;   in Loop: Header=BB329_2079 Depth=1
	s_or_b32 exec_lo, exec_lo, s6
.LBB329_2126:                           ;   in Loop: Header=BB329_2079 Depth=1
	s_or_b32 exec_lo, exec_lo, s5
.LBB329_2127:                           ;   in Loop: Header=BB329_2079 Depth=1
	s_or_b32 exec_lo, exec_lo, s4
	v_lshrrev_b32_e32 v2, 16, v14
	v_cmp_ne_u16_sdwa s5, v2, v3 src0_sel:BYTE_0 src1_sel:DWORD
	s_and_saveexec_b32 s4, s5
	s_cbranch_execz .LBB329_2135
; %bb.2128:                             ;   in Loop: Header=BB329_2079 Depth=1
	v_cmp_ne_u16_sdwa s6, v2, v96 src0_sel:BYTE_0 src1_sel:DWORD
	v_mov_b32_e32 v81, 0x8000
	s_and_saveexec_b32 s5, s6
	s_cbranch_execz .LBB329_2134
; %bb.2129:                             ;   in Loop: Header=BB329_2079 Depth=1
	v_bfe_u32 v98, v14, 16, 7
	v_mov_b32_e32 v81, 0x7c01
	s_mov_b32 s6, exec_lo
	v_cmpx_ne_u32_e32 0x7f, v98
	s_cbranch_execz .LBB329_2133
; %bb.2130:                             ;   in Loop: Header=BB329_2079 Depth=1
	v_and_b32_e32 v81, 7, v2
	v_lshrrev_b32_e32 v82, 3, v98
	s_mov_b32 s7, exec_lo
	v_cmpx_gt_u32_e32 8, v98
; %bb.2131:                             ;   in Loop: Header=BB329_2079 Depth=1
	v_ffbh_u32_e32 v81, v81
	v_min_u32_e32 v98, 32, v81
	v_subrev_nc_u32_e32 v81, 28, v98
	v_lshlrev_b64 v[81:82], v81, v[2:3]
	v_sub_nc_u32_e32 v82, 29, v98
	v_and_b32_e32 v81, 7, v81
; %bb.2132:                             ;   in Loop: Header=BB329_2079 Depth=1
	s_or_b32 exec_lo, exec_lo, s7
	v_lshlrev_b32_e32 v2, 8, v2
	v_lshl_add_u32 v82, v82, 10, 0x2000
	v_lshlrev_b32_e32 v81, 7, v81
	v_and_b32_e32 v2, 0x8000, v2
	v_and_b32_e32 v82, 0xfc00, v82
	v_or3_b32 v81, v2, v82, v81
.LBB329_2133:                           ;   in Loop: Header=BB329_2079 Depth=1
	s_or_b32 exec_lo, exec_lo, s6
.LBB329_2134:                           ;   in Loop: Header=BB329_2079 Depth=1
	s_or_b32 exec_lo, exec_lo, s5
.LBB329_2135:                           ;   in Loop: Header=BB329_2079 Depth=1
	s_or_b32 exec_lo, exec_lo, s4
	v_cmp_lt_u64_e32 vcc_lo, s[22:23], v[13:14]
	v_mov_b32_e32 v13, 0
	s_and_saveexec_b32 s4, vcc_lo
	s_cbranch_execz .LBB329_2143
; %bb.2136:                             ;   in Loop: Header=BB329_2079 Depth=1
	v_lshrrev_b32_e32 v2, 24, v14
	v_bfrev_b32_e32 v13, 1
	s_mov_b32 s5, exec_lo
	v_cmpx_ne_u32_e32 0x80, v2
	s_cbranch_execz .LBB329_2142
; %bb.2137:                             ;   in Loop: Header=BB329_2079 Depth=1
	v_and_b32_e32 v82, 0x7f, v2
	v_mov_b32_e32 v13, 0x7c010000
	s_mov_b32 s6, exec_lo
	v_cmpx_ne_u32_e32 0x7f, v82
	s_cbranch_execz .LBB329_2141
; %bb.2138:                             ;   in Loop: Header=BB329_2079 Depth=1
	v_and_b32_e32 v13, 7, v2
	v_lshrrev_b32_e32 v14, 3, v82
	s_mov_b32 s7, exec_lo
	v_cmpx_gt_u32_e32 8, v82
; %bb.2139:                             ;   in Loop: Header=BB329_2079 Depth=1
	v_ffbh_u32_e32 v13, v13
	v_min_u32_e32 v82, 32, v13
	v_subrev_nc_u32_e32 v13, 28, v82
	v_lshlrev_b64 v[13:14], v13, v[2:3]
	v_sub_nc_u32_e32 v14, 29, v82
	v_and_b32_e32 v13, 7, v13
; %bb.2140:                             ;   in Loop: Header=BB329_2079 Depth=1
	s_or_b32 exec_lo, exec_lo, s7
	v_lshlrev_b32_e32 v2, 8, v2
	v_lshl_add_u32 v14, v14, 10, 0x2000
	v_lshlrev_b32_e32 v13, 23, v13
	v_and_or_b32 v2, 0x8000, v2, v14
	v_lshl_or_b32 v13, v2, 16, v13
.LBB329_2141:                           ;   in Loop: Header=BB329_2079 Depth=1
	s_or_b32 exec_lo, exec_lo, s6
.LBB329_2142:                           ;   in Loop: Header=BB329_2079 Depth=1
	s_or_b32 exec_lo, exec_lo, s5
.LBB329_2143:                           ;   in Loop: Header=BB329_2079 Depth=1
	s_or_b32 exec_lo, exec_lo, s4
	s_clause 0x2
	buffer_load_dword v98, off, s[0:3], s32 offset:204
	buffer_load_dword v99, off, s[0:3], s32 offset:208
	;; [unrolled: 1-line block ×3, first 2 shown]
	v_add_nc_u32_e32 v14, 2, v17
	v_add_nc_u32_e32 v2, 1, v17
	v_or_b32_e32 v36, v38, v36
	v_add_nc_u32_e32 v82, 3, v17
	v_or_b32_e32 v34, v35, v34
	s_waitcnt vmcnt(3) lgkmcnt(0)
	v_fma_mixlo_f16 v34, v27, v34, 0 op_sel_hi:[0,1,0]
	s_waitcnt vmcnt(2)
	v_cmp_eq_u32_e64 s6, v48, v98
	v_add_nc_u32_e32 v98, 7, v17
	s_waitcnt vmcnt(0)
	v_cmp_lt_i32_e64 s4, v14, v99
	v_add_nc_u32_e32 v14, 5, v17
	v_cmp_lt_i32_e64 s5, v2, v99
	v_add_nc_u32_e32 v2, 4, v17
	;; [unrolled: 2-line block ×3, first 2 shown]
	v_cmp_lt_i32_e64 s9, v14, v99
	v_fma_mixlo_f16 v14, v27, v36, 0 op_sel_hi:[0,1,0]
	v_fma_mixlo_f16 v36, v27, v35, 0 op_sel:[0,1,0] op_sel_hi:[0,1,0]
	v_or_b32_e32 v35, v39, v37
	v_or_b32_e32 v37, v13, v81
	v_cmp_lt_i32_e64 s8, v2, v99
	v_fma_mixlo_f16 v2, v27, v38, 0 op_sel:[0,1,0] op_sel_hi:[0,1,0]
	v_fma_mixlo_f16 v38, v27, v39, 0 op_sel:[0,1,0] op_sel_hi:[0,1,0]
	v_fma_mixlo_f16 v35, v27, v35, 0 op_sel_hi:[0,1,0]
	v_fma_mixlo_f16 v13, v27, v13, 0 op_sel:[0,1,0] op_sel_hi:[0,1,0]
	v_fma_mixlo_f16 v27, v27, v37, 0 op_sel_hi:[0,1,0]
	v_cmp_lt_i32_e64 s10, v82, v99
	v_lshlrev_b32_e32 v2, 16, v2
	v_and_b32_e32 v14, 0xffff, v14
	v_lshlrev_b32_e32 v36, 16, v36
	v_and_b32_e32 v82, 0xffff, v34
	;; [unrolled: 2-line block ×4, first 2 shown]
	v_cmp_lt_i32_e64 s11, v98, v99
	v_or_b32_e32 v13, v2, v14
	v_or_b32_e32 v27, v36, v82
	;; [unrolled: 1-line block ×4, first 2 shown]
	v_cmp_lt_i32_e32 vcc_lo, v17, v99
	s_and_saveexec_b32 s12, s6
	s_cbranch_execz .LBB329_2145
; %bb.2144:                             ;   in Loop: Header=BB329_2079 Depth=1
	v_cndmask_b32_e32 v13, 0, v82, vcc_lo
	v_cndmask_b32_e64 v27, 0, v36, s5
	v_cndmask_b32_e64 v14, 0, v14, s4
	;; [unrolled: 1-line block ×7, first 2 shown]
	v_or_b32_e32 v27, v13, v27
	v_or_b32_e32 v13, v14, v2
	;; [unrolled: 1-line block ×4, first 2 shown]
.LBB329_2145:                           ;   in Loop: Header=BB329_2079 Depth=1
	s_or_b32 exec_lo, exec_lo, s12
	v_and_b32_e32 v2, 0xffff, v16
	v_and_b32_e32 v14, 0xffff, v22
	;; [unrolled: 1-line block ×4, first 2 shown]
	v_lshl_or_b32 v103, v4, 16, v2
	;;#ASMSTART
	v_pk_mul_f16 v2, v103, v27;

	;;#ASMEND
	v_lshl_or_b32 v102, v5, 16, v14
	v_lshl_or_b32 v101, v6, 16, v16
	;; [unrolled: 1-line block ×3, first 2 shown]
	;;#ASMSTART
	v_pk_mul_f16 v4, v102, v13;

	;;#ASMEND
	;;#ASMSTART
	v_pk_mul_f16 v5, v101, v34;

	;;#ASMEND
	;;#ASMSTART
	v_pk_mul_f16 v6, v100, v35;

	;;#ASMEND
	;;#ASMSTART
	v_pk_add_f16 v2, v2, v4;

	;;#ASMEND
	;;#ASMSTART
	v_pk_add_f16 v2, v2, v5;

	;;#ASMEND
	;; [unrolled: 4-line block ×3, first 2 shown]
	v_and_b32_e32 v4, 0xffff, v2
	v_lshrrev_b32_e32 v2, 16, v2
	;;#ASMSTART
	v_cvt_f32_f16 v112, v4;
	;;#ASMEND
	;;#ASMSTART
	v_cvt_f32_f16 v113, v2;
	;;#ASMEND
	flat_load_dwordx2 v[13:14], v[11:12] offset:256
	s_clause 0x1
	buffer_load_dword v4, off, s[0:3], s32 offset:192
	buffer_load_dword v5, off, s[0:3], s32 offset:196
	v_mov_b32_e32 v6, 0
	s_waitcnt vmcnt(2) lgkmcnt(0)
	v_cmp_ne_u16_sdwa s12, v13, v3 src0_sel:BYTE_0 src1_sel:DWORD
	s_waitcnt vmcnt(0)
	flat_load_dword v4, v[4:5]
	v_mov_b32_e32 v5, 0
	s_and_saveexec_b32 s21, s12
	s_cbranch_execz .LBB329_2153
; %bb.2146:                             ;   in Loop: Header=BB329_2079 Depth=1
	v_cmp_ne_u16_sdwa s12, v13, v96 src0_sel:BYTE_0 src1_sel:DWORD
	v_mov_b32_e32 v6, 0x8000
	s_and_saveexec_b32 s25, s12
	s_cbranch_execz .LBB329_2152
; %bb.2147:                             ;   in Loop: Header=BB329_2079 Depth=1
	v_and_b32_e32 v15, 0x7f, v13
	v_mov_b32_e32 v6, 0x7c01
	s_mov_b32 s26, exec_lo
	v_cmpx_ne_u32_e32 0x7f, v15
	s_cbranch_execz .LBB329_2151
; %bb.2148:                             ;   in Loop: Header=BB329_2079 Depth=1
	v_and_b32_e32 v2, 7, v13
	v_lshrrev_b32_e32 v6, 3, v15
	s_mov_b32 s27, exec_lo
	v_cmpx_gt_u32_e32 8, v15
; %bb.2149:                             ;   in Loop: Header=BB329_2079 Depth=1
	v_ffbh_u32_e32 v2, v2
	v_min_u32_e32 v2, 32, v2
	v_subrev_nc_u32_e32 v6, 28, v2
	v_lshlrev_b64 v[15:16], v6, v[13:14]
	v_sub_nc_u32_e32 v6, 29, v2
	v_and_b32_e32 v2, 7, v15
; %bb.2150:                             ;   in Loop: Header=BB329_2079 Depth=1
	s_or_b32 exec_lo, exec_lo, s27
	v_lshlrev_b32_e32 v15, 8, v13
	v_lshl_add_u32 v6, v6, 10, 0x2000
	v_lshlrev_b32_e32 v2, 7, v2
	v_and_b32_e32 v15, 0x8000, v15
	v_and_b32_e32 v6, 0xfc00, v6
	v_or3_b32 v6, v15, v6, v2
.LBB329_2151:                           ;   in Loop: Header=BB329_2079 Depth=1
	s_or_b32 exec_lo, exec_lo, s26
.LBB329_2152:                           ;   in Loop: Header=BB329_2079 Depth=1
	s_or_b32 exec_lo, exec_lo, s25
.LBB329_2153:                           ;   in Loop: Header=BB329_2079 Depth=1
	s_or_b32 exec_lo, exec_lo, s21
	v_lshrrev_b16 v2, 8, v13
	s_mov_b32 s21, exec_lo
	v_cmpx_ne_u16_e32 0, v2
	s_cbranch_execz .LBB329_2161
; %bb.2154:                             ;   in Loop: Header=BB329_2079 Depth=1
	v_bfrev_b32_e32 v5, 1
	s_mov_b32 s25, exec_lo
	v_cmpx_ne_u16_e32 0x80, v2
	s_cbranch_execz .LBB329_2160
; %bb.2155:                             ;   in Loop: Header=BB329_2079 Depth=1
	v_and_b32_sdwa v16, v2, v97 dst_sel:DWORD dst_unused:UNUSED_PAD src0_sel:WORD_0 src1_sel:DWORD
	v_mov_b32_e32 v5, 0x7c010000
	s_mov_b32 s26, exec_lo
	v_cmpx_ne_u32_e32 0x7f, v16
	s_cbranch_execz .LBB329_2159
; %bb.2156:                             ;   in Loop: Header=BB329_2079 Depth=1
	v_and_b32_sdwa v5, v2, v64 dst_sel:DWORD dst_unused:UNUSED_PAD src0_sel:WORD_0 src1_sel:DWORD
	v_lshrrev_b32_e32 v15, 3, v16
	s_mov_b32 s27, exec_lo
	v_cmpx_gt_u32_e32 8, v16
; %bb.2157:                             ;   in Loop: Header=BB329_2079 Depth=1
	v_ffbh_u32_e32 v5, v5
	v_min_u32_e32 v5, 32, v5
	v_subrev_nc_u32_e32 v15, 28, v5
	v_lshlrev_b64 v[22:23], v15, v[2:3]
	v_sub_nc_u32_e32 v15, 29, v5
	v_and_b32_e32 v5, 7, v22
; %bb.2158:                             ;   in Loop: Header=BB329_2079 Depth=1
	s_or_b32 exec_lo, exec_lo, s27
	v_lshlrev_b32_sdwa v2, v61, v2 dst_sel:DWORD dst_unused:UNUSED_PAD src0_sel:DWORD src1_sel:WORD_0
	v_lshl_add_u32 v15, v15, 10, 0x2000
	v_lshlrev_b32_e32 v5, 23, v5
	v_and_or_b32 v2, 0x8000, v2, v15
	v_lshl_or_b32 v5, v2, 16, v5
.LBB329_2159:                           ;   in Loop: Header=BB329_2079 Depth=1
	s_or_b32 exec_lo, exec_lo, s26
.LBB329_2160:                           ;   in Loop: Header=BB329_2079 Depth=1
	s_or_b32 exec_lo, exec_lo, s25
.LBB329_2161:                           ;   in Loop: Header=BB329_2079 Depth=1
	s_or_b32 exec_lo, exec_lo, s21
	v_lshrrev_b32_e32 v2, 16, v13
	v_mov_b32_e32 v15, 0
	v_mov_b32_e32 v16, 0
	v_cmp_ne_u16_sdwa s12, v2, v3 src0_sel:BYTE_0 src1_sel:DWORD
	s_and_saveexec_b32 s21, s12
	s_cbranch_execz .LBB329_2169
; %bb.2162:                             ;   in Loop: Header=BB329_2079 Depth=1
	v_cmp_ne_u16_sdwa s12, v2, v96 src0_sel:BYTE_0 src1_sel:DWORD
	v_mov_b32_e32 v16, 0x8000
	s_and_saveexec_b32 s25, s12
	s_cbranch_execz .LBB329_2168
; %bb.2163:                             ;   in Loop: Header=BB329_2079 Depth=1
	v_bfe_u32 v23, v13, 16, 7
	v_mov_b32_e32 v16, 0x7c01
	s_mov_b32 s26, exec_lo
	v_cmpx_ne_u32_e32 0x7f, v23
	s_cbranch_execz .LBB329_2167
; %bb.2164:                             ;   in Loop: Header=BB329_2079 Depth=1
	v_and_b32_e32 v16, 7, v2
	v_lshrrev_b32_e32 v22, 3, v23
	s_mov_b32 s27, exec_lo
	v_cmpx_gt_u32_e32 8, v23
; %bb.2165:                             ;   in Loop: Header=BB329_2079 Depth=1
	v_ffbh_u32_e32 v16, v16
	v_min_u32_e32 v16, 32, v16
	v_subrev_nc_u32_e32 v22, 28, v16
	v_lshlrev_b64 v[26:27], v22, v[2:3]
	v_sub_nc_u32_e32 v22, 29, v16
	v_and_b32_e32 v16, 7, v26
; %bb.2166:                             ;   in Loop: Header=BB329_2079 Depth=1
	s_or_b32 exec_lo, exec_lo, s27
	v_lshlrev_b32_e32 v2, 8, v2
	v_lshl_add_u32 v22, v22, 10, 0x2000
	v_lshlrev_b32_e32 v16, 7, v16
	v_and_b32_e32 v2, 0x8000, v2
	v_and_b32_e32 v22, 0xfc00, v22
	v_or3_b32 v16, v2, v22, v16
.LBB329_2167:                           ;   in Loop: Header=BB329_2079 Depth=1
	s_or_b32 exec_lo, exec_lo, s26
.LBB329_2168:                           ;   in Loop: Header=BB329_2079 Depth=1
	s_or_b32 exec_lo, exec_lo, s25
.LBB329_2169:                           ;   in Loop: Header=BB329_2079 Depth=1
	s_or_b32 exec_lo, exec_lo, s21
	s_mov_b32 s21, exec_lo
	v_cmpx_lt_u32_e32 0xffffff, v13
	s_cbranch_execz .LBB329_2177
; %bb.2170:                             ;   in Loop: Header=BB329_2079 Depth=1
	v_lshrrev_b32_e32 v2, 24, v13
	v_bfrev_b32_e32 v15, 1
	s_mov_b32 s25, exec_lo
	v_cmpx_ne_u32_e32 0x80, v2
	s_cbranch_execz .LBB329_2176
; %bb.2171:                             ;   in Loop: Header=BB329_2079 Depth=1
	v_and_b32_e32 v23, 0x7f, v2
	v_mov_b32_e32 v15, 0x7c010000
	s_mov_b32 s26, exec_lo
	v_cmpx_ne_u32_e32 0x7f, v23
	s_cbranch_execz .LBB329_2175
; %bb.2172:                             ;   in Loop: Header=BB329_2079 Depth=1
	v_and_b32_e32 v15, 7, v2
	v_lshrrev_b32_e32 v22, 3, v23
	s_mov_b32 s27, exec_lo
	v_cmpx_gt_u32_e32 8, v23
; %bb.2173:                             ;   in Loop: Header=BB329_2079 Depth=1
	v_ffbh_u32_e32 v15, v15
	v_min_u32_e32 v15, 32, v15
	v_subrev_nc_u32_e32 v22, 28, v15
	v_lshlrev_b64 v[26:27], v22, v[2:3]
	v_sub_nc_u32_e32 v22, 29, v15
	v_and_b32_e32 v15, 7, v26
; %bb.2174:                             ;   in Loop: Header=BB329_2079 Depth=1
	s_or_b32 exec_lo, exec_lo, s27
	v_lshlrev_b32_e32 v2, 8, v2
	v_lshl_add_u32 v22, v22, 10, 0x2000
	v_lshlrev_b32_e32 v15, 23, v15
	v_and_or_b32 v2, 0x8000, v2, v22
	v_lshl_or_b32 v15, v2, 16, v15
.LBB329_2175:                           ;   in Loop: Header=BB329_2079 Depth=1
	s_or_b32 exec_lo, exec_lo, s26
.LBB329_2176:                           ;   in Loop: Header=BB329_2079 Depth=1
	s_or_b32 exec_lo, exec_lo, s25
.LBB329_2177:                           ;   in Loop: Header=BB329_2079 Depth=1
	s_or_b32 exec_lo, exec_lo, s21
	v_mov_b32_e32 v2, v14
	v_cmp_ne_u16_sdwa s12, v14, v3 src0_sel:BYTE_0 src1_sel:DWORD
	v_mov_b32_e32 v22, 0
	v_mov_b32_e32 v23, 0
	s_and_saveexec_b32 s21, s12
	s_cbranch_execz .LBB329_2185
; %bb.2178:                             ;   in Loop: Header=BB329_2079 Depth=1
	v_cmp_ne_u16_sdwa s12, v14, v96 src0_sel:BYTE_0 src1_sel:DWORD
	v_mov_b32_e32 v23, 0x8000
	s_and_saveexec_b32 s25, s12
	s_cbranch_execz .LBB329_2184
; %bb.2179:                             ;   in Loop: Header=BB329_2079 Depth=1
	v_and_b32_e32 v27, 0x7f, v14
	v_mov_b32_e32 v23, 0x7c01
	s_mov_b32 s26, exec_lo
	v_cmpx_ne_u32_e32 0x7f, v27
	s_cbranch_execz .LBB329_2183
; %bb.2180:                             ;   in Loop: Header=BB329_2079 Depth=1
	v_and_b32_e32 v23, 7, v14
	v_lshrrev_b32_e32 v26, 3, v27
	s_mov_b32 s27, exec_lo
	v_cmpx_gt_u32_e32 8, v27
; %bb.2181:                             ;   in Loop: Header=BB329_2079 Depth=1
	v_ffbh_u32_e32 v23, v23
	v_min_u32_e32 v23, 32, v23
	v_subrev_nc_u32_e32 v26, 28, v23
	v_lshlrev_b64 v[34:35], v26, v[2:3]
	v_sub_nc_u32_e32 v26, 29, v23
	v_and_b32_e32 v23, 7, v34
; %bb.2182:                             ;   in Loop: Header=BB329_2079 Depth=1
	s_or_b32 exec_lo, exec_lo, s27
	v_lshlrev_b32_e32 v27, 8, v14
	v_lshl_add_u32 v26, v26, 10, 0x2000
	v_lshlrev_b32_e32 v23, 7, v23
	v_and_b32_e32 v27, 0x8000, v27
	v_and_b32_e32 v26, 0xfc00, v26
	v_or3_b32 v23, v27, v26, v23
.LBB329_2183:                           ;   in Loop: Header=BB329_2079 Depth=1
	s_or_b32 exec_lo, exec_lo, s26
.LBB329_2184:                           ;   in Loop: Header=BB329_2079 Depth=1
	s_or_b32 exec_lo, exec_lo, s25
.LBB329_2185:                           ;   in Loop: Header=BB329_2079 Depth=1
	s_or_b32 exec_lo, exec_lo, s21
	v_lshrrev_b16 v2, 8, v2
	v_mov_b32_e32 v26, 0
	s_mov_b32 s21, exec_lo
	v_cmpx_ne_u16_e32 0, v2
	s_cbranch_execz .LBB329_2193
; %bb.2186:                             ;   in Loop: Header=BB329_2079 Depth=1
	v_bfrev_b32_e32 v26, 1
	s_mov_b32 s25, exec_lo
	v_cmpx_ne_u16_e32 0x80, v2
	s_cbranch_execz .LBB329_2192
; %bb.2187:                             ;   in Loop: Header=BB329_2079 Depth=1
	v_and_b32_sdwa v34, v2, v97 dst_sel:DWORD dst_unused:UNUSED_PAD src0_sel:WORD_0 src1_sel:DWORD
	v_mov_b32_e32 v26, 0x7c010000
	s_mov_b32 s26, exec_lo
	v_cmpx_ne_u32_e32 0x7f, v34
	s_cbranch_execz .LBB329_2191
; %bb.2188:                             ;   in Loop: Header=BB329_2079 Depth=1
	v_and_b32_sdwa v26, v2, v64 dst_sel:DWORD dst_unused:UNUSED_PAD src0_sel:WORD_0 src1_sel:DWORD
	v_lshrrev_b32_e32 v27, 3, v34
	s_mov_b32 s27, exec_lo
	v_cmpx_gt_u32_e32 8, v34
; %bb.2189:                             ;   in Loop: Header=BB329_2079 Depth=1
	v_ffbh_u32_e32 v26, v26
	v_min_u32_e32 v34, 32, v26
	v_subrev_nc_u32_e32 v26, 28, v34
	v_lshlrev_b64 v[26:27], v26, v[2:3]
	v_sub_nc_u32_e32 v27, 29, v34
	v_and_b32_e32 v26, 7, v26
; %bb.2190:                             ;   in Loop: Header=BB329_2079 Depth=1
	s_or_b32 exec_lo, exec_lo, s27
	v_lshlrev_b32_sdwa v2, v61, v2 dst_sel:DWORD dst_unused:UNUSED_PAD src0_sel:DWORD src1_sel:WORD_0
	v_lshl_add_u32 v27, v27, 10, 0x2000
	v_lshlrev_b32_e32 v26, 23, v26
	v_and_or_b32 v2, 0x8000, v2, v27
	v_lshl_or_b32 v26, v2, 16, v26
.LBB329_2191:                           ;   in Loop: Header=BB329_2079 Depth=1
	s_or_b32 exec_lo, exec_lo, s26
.LBB329_2192:                           ;   in Loop: Header=BB329_2079 Depth=1
	s_or_b32 exec_lo, exec_lo, s25
.LBB329_2193:                           ;   in Loop: Header=BB329_2079 Depth=1
	s_or_b32 exec_lo, exec_lo, s21
	v_lshrrev_b32_e32 v2, 16, v14
	v_cmp_ne_u16_sdwa s12, v2, v3 src0_sel:BYTE_0 src1_sel:DWORD
	s_and_saveexec_b32 s21, s12
	s_cbranch_execz .LBB329_2201
; %bb.2194:                             ;   in Loop: Header=BB329_2079 Depth=1
	v_cmp_ne_u16_sdwa s12, v2, v96 src0_sel:BYTE_0 src1_sel:DWORD
	v_mov_b32_e32 v22, 0x8000
	s_and_saveexec_b32 s25, s12
	s_cbranch_execz .LBB329_2200
; %bb.2195:                             ;   in Loop: Header=BB329_2079 Depth=1
	v_bfe_u32 v34, v14, 16, 7
	v_mov_b32_e32 v22, 0x7c01
	s_mov_b32 s26, exec_lo
	v_cmpx_ne_u32_e32 0x7f, v34
	s_cbranch_execz .LBB329_2199
; %bb.2196:                             ;   in Loop: Header=BB329_2079 Depth=1
	v_and_b32_e32 v22, 7, v2
	v_lshrrev_b32_e32 v27, 3, v34
	s_mov_b32 s27, exec_lo
	v_cmpx_gt_u32_e32 8, v34
; %bb.2197:                             ;   in Loop: Header=BB329_2079 Depth=1
	v_ffbh_u32_e32 v22, v22
	v_min_u32_e32 v22, 32, v22
	v_subrev_nc_u32_e32 v27, 28, v22
	v_lshlrev_b64 v[34:35], v27, v[2:3]
	v_sub_nc_u32_e32 v27, 29, v22
	v_and_b32_e32 v22, 7, v34
; %bb.2198:                             ;   in Loop: Header=BB329_2079 Depth=1
	s_or_b32 exec_lo, exec_lo, s27
	v_lshlrev_b32_e32 v2, 8, v2
	v_lshl_add_u32 v27, v27, 10, 0x2000
	v_lshlrev_b32_e32 v22, 7, v22
	v_and_b32_e32 v2, 0x8000, v2
	v_and_b32_e32 v27, 0xfc00, v27
	v_or3_b32 v22, v2, v27, v22
.LBB329_2199:                           ;   in Loop: Header=BB329_2079 Depth=1
	s_or_b32 exec_lo, exec_lo, s26
.LBB329_2200:                           ;   in Loop: Header=BB329_2079 Depth=1
	s_or_b32 exec_lo, exec_lo, s25
.LBB329_2201:                           ;   in Loop: Header=BB329_2079 Depth=1
	s_or_b32 exec_lo, exec_lo, s21
	v_cmp_lt_u64_e64 s12, s[22:23], v[13:14]
	v_mov_b32_e32 v13, 0
	s_and_saveexec_b32 s21, s12
	s_cbranch_execz .LBB329_2209
; %bb.2202:                             ;   in Loop: Header=BB329_2079 Depth=1
	v_lshrrev_b32_e32 v2, 24, v14
	v_bfrev_b32_e32 v13, 1
	s_mov_b32 s25, exec_lo
	v_cmpx_ne_u32_e32 0x80, v2
	s_cbranch_execz .LBB329_2208
; %bb.2203:                             ;   in Loop: Header=BB329_2079 Depth=1
	v_and_b32_e32 v27, 0x7f, v2
	v_mov_b32_e32 v13, 0x7c010000
	s_mov_b32 s26, exec_lo
	v_cmpx_ne_u32_e32 0x7f, v27
	s_cbranch_execz .LBB329_2207
; %bb.2204:                             ;   in Loop: Header=BB329_2079 Depth=1
	v_and_b32_e32 v13, 7, v2
	v_lshrrev_b32_e32 v14, 3, v27
	s_mov_b32 s27, exec_lo
	v_cmpx_gt_u32_e32 8, v27
; %bb.2205:                             ;   in Loop: Header=BB329_2079 Depth=1
	v_ffbh_u32_e32 v13, v13
	v_min_u32_e32 v27, 32, v13
	v_subrev_nc_u32_e32 v13, 28, v27
	v_lshlrev_b64 v[13:14], v13, v[2:3]
	v_sub_nc_u32_e32 v14, 29, v27
	v_and_b32_e32 v13, 7, v13
; %bb.2206:                             ;   in Loop: Header=BB329_2079 Depth=1
	s_or_b32 exec_lo, exec_lo, s27
	v_lshlrev_b32_e32 v2, 8, v2
	v_lshl_add_u32 v14, v14, 10, 0x2000
	v_lshlrev_b32_e32 v13, 23, v13
	v_and_or_b32 v2, 0x8000, v2, v14
	v_lshl_or_b32 v13, v2, 16, v13
.LBB329_2207:                           ;   in Loop: Header=BB329_2079 Depth=1
	s_or_b32 exec_lo, exec_lo, s26
.LBB329_2208:                           ;   in Loop: Header=BB329_2079 Depth=1
	s_or_b32 exec_lo, exec_lo, s25
.LBB329_2209:                           ;   in Loop: Header=BB329_2079 Depth=1
	s_or_b32 exec_lo, exec_lo, s21
	v_or_b32_e32 v2, v15, v16
	s_waitcnt vmcnt(0) lgkmcnt(0)
	v_fma_mixlo_f16 v14, v4, v15, 0 op_sel:[0,1,0] op_sel_hi:[0,1,0]
	v_or_b32_e32 v15, v5, v6
	v_or_b32_e32 v16, v26, v23
	;; [unrolled: 1-line block ×3, first 2 shown]
	v_fma_mixlo_f16 v5, v4, v5, 0 op_sel:[0,1,0] op_sel_hi:[0,1,0]
	v_fma_mixlo_f16 v23, v4, v2, 0 op_sel_hi:[0,1,0]
	v_lshlrev_b32_e32 v2, 16, v14
	v_fma_mixlo_f16 v14, v4, v15, 0 op_sel_hi:[0,1,0]
	v_fma_mixlo_f16 v15, v4, v26, 0 op_sel:[0,1,0] op_sel_hi:[0,1,0]
	v_fma_mixlo_f16 v16, v4, v16, 0 op_sel_hi:[0,1,0]
	v_fma_mixlo_f16 v13, v4, v13, 0 op_sel:[0,1,0] op_sel_hi:[0,1,0]
	v_fma_mixlo_f16 v4, v4, v22, 0 op_sel_hi:[0,1,0]
	v_lshlrev_b32_e32 v6, 16, v5
	v_and_b32_e32 v5, 0xffff, v23
	v_and_b32_e32 v27, 0xffff, v14
	v_lshlrev_b32_e32 v22, 16, v15
	v_and_b32_e32 v26, 0xffff, v16
	v_lshlrev_b32_e32 v16, 16, v13
	v_and_b32_e32 v23, 0xffff, v4
	v_or_b32_e32 v4, v2, v5
	v_or_b32_e32 v15, v6, v27
	v_or_b32_e32 v14, v22, v26
	v_or_b32_e32 v13, v16, v23
	s_and_saveexec_b32 s12, s6
	s_cbranch_execz .LBB329_2211
; %bb.2210:                             ;   in Loop: Header=BB329_2079 Depth=1
	v_cndmask_b32_e32 v4, 0, v27, vcc_lo
	v_cndmask_b32_e64 v6, 0, v6, s5
	v_cndmask_b32_e64 v5, 0, v5, s4
	;; [unrolled: 1-line block ×7, first 2 shown]
	v_or_b32_e32 v15, v4, v6
	v_or_b32_e32 v4, v5, v2
	;; [unrolled: 1-line block ×4, first 2 shown]
.LBB329_2211:                           ;   in Loop: Header=BB329_2079 Depth=1
	s_or_b32 exec_lo, exec_lo, s12
	;;#ASMSTART
	v_pk_mul_f16 v2, v103, v15;

	;;#ASMEND
	;;#ASMSTART
	v_pk_mul_f16 v4, v102, v4;

	;;#ASMEND
	;; [unrolled: 4-line block ×4, first 2 shown]
	;;#ASMSTART
	v_pk_add_f16 v2, v2, v4;

	;;#ASMEND
	;;#ASMSTART
	v_pk_add_f16 v2, v2, v5;

	;;#ASMEND
	;; [unrolled: 4-line block ×3, first 2 shown]
	v_and_b32_e32 v4, 0xffff, v2
	v_lshrrev_b32_e32 v2, 16, v2
	;;#ASMSTART
	v_cvt_f32_f16 v114, v4;
	;;#ASMEND
	;;#ASMSTART
	v_cvt_f32_f16 v115, v2;
	;;#ASMEND
	flat_load_dwordx2 v[13:14], v[11:12] offset:512
	s_clause 0x1
	buffer_load_dword v4, off, s[0:3], s32 offset:192
	buffer_load_dword v5, off, s[0:3], s32 offset:196
	v_mov_b32_e32 v6, 0
	s_waitcnt vmcnt(2) lgkmcnt(0)
	v_cmp_ne_u16_sdwa s12, v13, v3 src0_sel:BYTE_0 src1_sel:DWORD
	s_waitcnt vmcnt(0)
	flat_load_dword v4, v[4:5]
	v_mov_b32_e32 v5, 0
	s_and_saveexec_b32 s21, s12
	s_cbranch_execz .LBB329_2219
; %bb.2212:                             ;   in Loop: Header=BB329_2079 Depth=1
	v_cmp_ne_u16_sdwa s12, v13, v96 src0_sel:BYTE_0 src1_sel:DWORD
	v_mov_b32_e32 v6, 0x8000
	s_and_saveexec_b32 s25, s12
	s_cbranch_execz .LBB329_2218
; %bb.2213:                             ;   in Loop: Header=BB329_2079 Depth=1
	v_and_b32_e32 v15, 0x7f, v13
	v_mov_b32_e32 v6, 0x7c01
	s_mov_b32 s26, exec_lo
	v_cmpx_ne_u32_e32 0x7f, v15
	s_cbranch_execz .LBB329_2217
; %bb.2214:                             ;   in Loop: Header=BB329_2079 Depth=1
	v_and_b32_e32 v2, 7, v13
	v_lshrrev_b32_e32 v6, 3, v15
	s_mov_b32 s27, exec_lo
	v_cmpx_gt_u32_e32 8, v15
; %bb.2215:                             ;   in Loop: Header=BB329_2079 Depth=1
	v_ffbh_u32_e32 v2, v2
	v_min_u32_e32 v2, 32, v2
	v_subrev_nc_u32_e32 v6, 28, v2
	v_lshlrev_b64 v[15:16], v6, v[13:14]
	v_sub_nc_u32_e32 v6, 29, v2
	v_and_b32_e32 v2, 7, v15
; %bb.2216:                             ;   in Loop: Header=BB329_2079 Depth=1
	s_or_b32 exec_lo, exec_lo, s27
	v_lshlrev_b32_e32 v15, 8, v13
	v_lshl_add_u32 v6, v6, 10, 0x2000
	v_lshlrev_b32_e32 v2, 7, v2
	v_and_b32_e32 v15, 0x8000, v15
	v_and_b32_e32 v6, 0xfc00, v6
	v_or3_b32 v6, v15, v6, v2
.LBB329_2217:                           ;   in Loop: Header=BB329_2079 Depth=1
	s_or_b32 exec_lo, exec_lo, s26
.LBB329_2218:                           ;   in Loop: Header=BB329_2079 Depth=1
	s_or_b32 exec_lo, exec_lo, s25
.LBB329_2219:                           ;   in Loop: Header=BB329_2079 Depth=1
	s_or_b32 exec_lo, exec_lo, s21
	v_lshrrev_b16 v2, 8, v13
	s_mov_b32 s21, exec_lo
	v_cmpx_ne_u16_e32 0, v2
	s_cbranch_execz .LBB329_2227
; %bb.2220:                             ;   in Loop: Header=BB329_2079 Depth=1
	v_bfrev_b32_e32 v5, 1
	s_mov_b32 s25, exec_lo
	v_cmpx_ne_u16_e32 0x80, v2
	s_cbranch_execz .LBB329_2226
; %bb.2221:                             ;   in Loop: Header=BB329_2079 Depth=1
	v_and_b32_sdwa v16, v2, v97 dst_sel:DWORD dst_unused:UNUSED_PAD src0_sel:WORD_0 src1_sel:DWORD
	v_mov_b32_e32 v5, 0x7c010000
	s_mov_b32 s26, exec_lo
	v_cmpx_ne_u32_e32 0x7f, v16
	s_cbranch_execz .LBB329_2225
; %bb.2222:                             ;   in Loop: Header=BB329_2079 Depth=1
	v_and_b32_sdwa v5, v2, v64 dst_sel:DWORD dst_unused:UNUSED_PAD src0_sel:WORD_0 src1_sel:DWORD
	v_lshrrev_b32_e32 v15, 3, v16
	s_mov_b32 s27, exec_lo
	v_cmpx_gt_u32_e32 8, v16
; %bb.2223:                             ;   in Loop: Header=BB329_2079 Depth=1
	v_ffbh_u32_e32 v5, v5
	v_min_u32_e32 v5, 32, v5
	v_subrev_nc_u32_e32 v15, 28, v5
	v_lshlrev_b64 v[22:23], v15, v[2:3]
	v_sub_nc_u32_e32 v15, 29, v5
	v_and_b32_e32 v5, 7, v22
; %bb.2224:                             ;   in Loop: Header=BB329_2079 Depth=1
	s_or_b32 exec_lo, exec_lo, s27
	v_lshlrev_b32_sdwa v2, v61, v2 dst_sel:DWORD dst_unused:UNUSED_PAD src0_sel:DWORD src1_sel:WORD_0
	v_lshl_add_u32 v15, v15, 10, 0x2000
	v_lshlrev_b32_e32 v5, 23, v5
	v_and_or_b32 v2, 0x8000, v2, v15
	v_lshl_or_b32 v5, v2, 16, v5
.LBB329_2225:                           ;   in Loop: Header=BB329_2079 Depth=1
	s_or_b32 exec_lo, exec_lo, s26
.LBB329_2226:                           ;   in Loop: Header=BB329_2079 Depth=1
	s_or_b32 exec_lo, exec_lo, s25
.LBB329_2227:                           ;   in Loop: Header=BB329_2079 Depth=1
	s_or_b32 exec_lo, exec_lo, s21
	v_lshrrev_b32_e32 v2, 16, v13
	v_mov_b32_e32 v15, 0
	v_mov_b32_e32 v16, 0
	v_cmp_ne_u16_sdwa s12, v2, v3 src0_sel:BYTE_0 src1_sel:DWORD
	s_and_saveexec_b32 s21, s12
	s_cbranch_execz .LBB329_2235
; %bb.2228:                             ;   in Loop: Header=BB329_2079 Depth=1
	v_cmp_ne_u16_sdwa s12, v2, v96 src0_sel:BYTE_0 src1_sel:DWORD
	v_mov_b32_e32 v16, 0x8000
	s_and_saveexec_b32 s25, s12
	s_cbranch_execz .LBB329_2234
; %bb.2229:                             ;   in Loop: Header=BB329_2079 Depth=1
	v_bfe_u32 v23, v13, 16, 7
	v_mov_b32_e32 v16, 0x7c01
	s_mov_b32 s26, exec_lo
	v_cmpx_ne_u32_e32 0x7f, v23
	s_cbranch_execz .LBB329_2233
; %bb.2230:                             ;   in Loop: Header=BB329_2079 Depth=1
	v_and_b32_e32 v16, 7, v2
	v_lshrrev_b32_e32 v22, 3, v23
	s_mov_b32 s27, exec_lo
	v_cmpx_gt_u32_e32 8, v23
; %bb.2231:                             ;   in Loop: Header=BB329_2079 Depth=1
	v_ffbh_u32_e32 v16, v16
	v_min_u32_e32 v16, 32, v16
	v_subrev_nc_u32_e32 v22, 28, v16
	v_lshlrev_b64 v[26:27], v22, v[2:3]
	v_sub_nc_u32_e32 v22, 29, v16
	v_and_b32_e32 v16, 7, v26
; %bb.2232:                             ;   in Loop: Header=BB329_2079 Depth=1
	s_or_b32 exec_lo, exec_lo, s27
	v_lshlrev_b32_e32 v2, 8, v2
	v_lshl_add_u32 v22, v22, 10, 0x2000
	v_lshlrev_b32_e32 v16, 7, v16
	v_and_b32_e32 v2, 0x8000, v2
	v_and_b32_e32 v22, 0xfc00, v22
	v_or3_b32 v16, v2, v22, v16
.LBB329_2233:                           ;   in Loop: Header=BB329_2079 Depth=1
	s_or_b32 exec_lo, exec_lo, s26
.LBB329_2234:                           ;   in Loop: Header=BB329_2079 Depth=1
	s_or_b32 exec_lo, exec_lo, s25
.LBB329_2235:                           ;   in Loop: Header=BB329_2079 Depth=1
	s_or_b32 exec_lo, exec_lo, s21
	s_mov_b32 s21, exec_lo
	v_cmpx_lt_u32_e32 0xffffff, v13
	s_cbranch_execz .LBB329_2243
; %bb.2236:                             ;   in Loop: Header=BB329_2079 Depth=1
	v_lshrrev_b32_e32 v2, 24, v13
	v_bfrev_b32_e32 v15, 1
	s_mov_b32 s25, exec_lo
	v_cmpx_ne_u32_e32 0x80, v2
	s_cbranch_execz .LBB329_2242
; %bb.2237:                             ;   in Loop: Header=BB329_2079 Depth=1
	v_and_b32_e32 v23, 0x7f, v2
	v_mov_b32_e32 v15, 0x7c010000
	s_mov_b32 s26, exec_lo
	v_cmpx_ne_u32_e32 0x7f, v23
	s_cbranch_execz .LBB329_2241
; %bb.2238:                             ;   in Loop: Header=BB329_2079 Depth=1
	v_and_b32_e32 v15, 7, v2
	v_lshrrev_b32_e32 v22, 3, v23
	s_mov_b32 s27, exec_lo
	v_cmpx_gt_u32_e32 8, v23
; %bb.2239:                             ;   in Loop: Header=BB329_2079 Depth=1
	v_ffbh_u32_e32 v15, v15
	v_min_u32_e32 v15, 32, v15
	v_subrev_nc_u32_e32 v22, 28, v15
	v_lshlrev_b64 v[26:27], v22, v[2:3]
	v_sub_nc_u32_e32 v22, 29, v15
	v_and_b32_e32 v15, 7, v26
; %bb.2240:                             ;   in Loop: Header=BB329_2079 Depth=1
	s_or_b32 exec_lo, exec_lo, s27
	v_lshlrev_b32_e32 v2, 8, v2
	v_lshl_add_u32 v22, v22, 10, 0x2000
	v_lshlrev_b32_e32 v15, 23, v15
	v_and_or_b32 v2, 0x8000, v2, v22
	v_lshl_or_b32 v15, v2, 16, v15
.LBB329_2241:                           ;   in Loop: Header=BB329_2079 Depth=1
	s_or_b32 exec_lo, exec_lo, s26
.LBB329_2242:                           ;   in Loop: Header=BB329_2079 Depth=1
	s_or_b32 exec_lo, exec_lo, s25
.LBB329_2243:                           ;   in Loop: Header=BB329_2079 Depth=1
	s_or_b32 exec_lo, exec_lo, s21
	v_mov_b32_e32 v2, v14
	v_cmp_ne_u16_sdwa s12, v14, v3 src0_sel:BYTE_0 src1_sel:DWORD
	v_mov_b32_e32 v22, 0
	v_mov_b32_e32 v23, 0
	s_and_saveexec_b32 s21, s12
	s_cbranch_execz .LBB329_2251
; %bb.2244:                             ;   in Loop: Header=BB329_2079 Depth=1
	v_cmp_ne_u16_sdwa s12, v14, v96 src0_sel:BYTE_0 src1_sel:DWORD
	v_mov_b32_e32 v23, 0x8000
	s_and_saveexec_b32 s25, s12
	s_cbranch_execz .LBB329_2250
; %bb.2245:                             ;   in Loop: Header=BB329_2079 Depth=1
	v_and_b32_e32 v27, 0x7f, v14
	v_mov_b32_e32 v23, 0x7c01
	s_mov_b32 s26, exec_lo
	v_cmpx_ne_u32_e32 0x7f, v27
	s_cbranch_execz .LBB329_2249
; %bb.2246:                             ;   in Loop: Header=BB329_2079 Depth=1
	v_and_b32_e32 v23, 7, v14
	v_lshrrev_b32_e32 v26, 3, v27
	s_mov_b32 s27, exec_lo
	v_cmpx_gt_u32_e32 8, v27
; %bb.2247:                             ;   in Loop: Header=BB329_2079 Depth=1
	v_ffbh_u32_e32 v23, v23
	v_min_u32_e32 v23, 32, v23
	v_subrev_nc_u32_e32 v26, 28, v23
	v_lshlrev_b64 v[34:35], v26, v[2:3]
	v_sub_nc_u32_e32 v26, 29, v23
	v_and_b32_e32 v23, 7, v34
; %bb.2248:                             ;   in Loop: Header=BB329_2079 Depth=1
	s_or_b32 exec_lo, exec_lo, s27
	v_lshlrev_b32_e32 v27, 8, v14
	v_lshl_add_u32 v26, v26, 10, 0x2000
	v_lshlrev_b32_e32 v23, 7, v23
	v_and_b32_e32 v27, 0x8000, v27
	v_and_b32_e32 v26, 0xfc00, v26
	v_or3_b32 v23, v27, v26, v23
.LBB329_2249:                           ;   in Loop: Header=BB329_2079 Depth=1
	s_or_b32 exec_lo, exec_lo, s26
.LBB329_2250:                           ;   in Loop: Header=BB329_2079 Depth=1
	s_or_b32 exec_lo, exec_lo, s25
.LBB329_2251:                           ;   in Loop: Header=BB329_2079 Depth=1
	s_or_b32 exec_lo, exec_lo, s21
	v_lshrrev_b16 v2, 8, v2
	v_mov_b32_e32 v26, 0
	s_mov_b32 s21, exec_lo
	v_cmpx_ne_u16_e32 0, v2
	s_cbranch_execz .LBB329_2259
; %bb.2252:                             ;   in Loop: Header=BB329_2079 Depth=1
	v_bfrev_b32_e32 v26, 1
	s_mov_b32 s25, exec_lo
	v_cmpx_ne_u16_e32 0x80, v2
	s_cbranch_execz .LBB329_2258
; %bb.2253:                             ;   in Loop: Header=BB329_2079 Depth=1
	v_and_b32_sdwa v34, v2, v97 dst_sel:DWORD dst_unused:UNUSED_PAD src0_sel:WORD_0 src1_sel:DWORD
	v_mov_b32_e32 v26, 0x7c010000
	s_mov_b32 s26, exec_lo
	v_cmpx_ne_u32_e32 0x7f, v34
	s_cbranch_execz .LBB329_2257
; %bb.2254:                             ;   in Loop: Header=BB329_2079 Depth=1
	v_and_b32_sdwa v26, v2, v64 dst_sel:DWORD dst_unused:UNUSED_PAD src0_sel:WORD_0 src1_sel:DWORD
	v_lshrrev_b32_e32 v27, 3, v34
	s_mov_b32 s27, exec_lo
	v_cmpx_gt_u32_e32 8, v34
; %bb.2255:                             ;   in Loop: Header=BB329_2079 Depth=1
	v_ffbh_u32_e32 v26, v26
	v_min_u32_e32 v34, 32, v26
	v_subrev_nc_u32_e32 v26, 28, v34
	v_lshlrev_b64 v[26:27], v26, v[2:3]
	v_sub_nc_u32_e32 v27, 29, v34
	v_and_b32_e32 v26, 7, v26
; %bb.2256:                             ;   in Loop: Header=BB329_2079 Depth=1
	s_or_b32 exec_lo, exec_lo, s27
	v_lshlrev_b32_sdwa v2, v61, v2 dst_sel:DWORD dst_unused:UNUSED_PAD src0_sel:DWORD src1_sel:WORD_0
	v_lshl_add_u32 v27, v27, 10, 0x2000
	v_lshlrev_b32_e32 v26, 23, v26
	v_and_or_b32 v2, 0x8000, v2, v27
	v_lshl_or_b32 v26, v2, 16, v26
.LBB329_2257:                           ;   in Loop: Header=BB329_2079 Depth=1
	s_or_b32 exec_lo, exec_lo, s26
.LBB329_2258:                           ;   in Loop: Header=BB329_2079 Depth=1
	s_or_b32 exec_lo, exec_lo, s25
.LBB329_2259:                           ;   in Loop: Header=BB329_2079 Depth=1
	s_or_b32 exec_lo, exec_lo, s21
	v_lshrrev_b32_e32 v2, 16, v14
	v_cmp_ne_u16_sdwa s12, v2, v3 src0_sel:BYTE_0 src1_sel:DWORD
	s_and_saveexec_b32 s21, s12
	s_cbranch_execz .LBB329_2267
; %bb.2260:                             ;   in Loop: Header=BB329_2079 Depth=1
	v_cmp_ne_u16_sdwa s12, v2, v96 src0_sel:BYTE_0 src1_sel:DWORD
	v_mov_b32_e32 v22, 0x8000
	s_and_saveexec_b32 s25, s12
	s_cbranch_execz .LBB329_2266
; %bb.2261:                             ;   in Loop: Header=BB329_2079 Depth=1
	v_bfe_u32 v34, v14, 16, 7
	v_mov_b32_e32 v22, 0x7c01
	s_mov_b32 s26, exec_lo
	v_cmpx_ne_u32_e32 0x7f, v34
	s_cbranch_execz .LBB329_2265
; %bb.2262:                             ;   in Loop: Header=BB329_2079 Depth=1
	v_and_b32_e32 v22, 7, v2
	v_lshrrev_b32_e32 v27, 3, v34
	s_mov_b32 s27, exec_lo
	v_cmpx_gt_u32_e32 8, v34
; %bb.2263:                             ;   in Loop: Header=BB329_2079 Depth=1
	v_ffbh_u32_e32 v22, v22
	v_min_u32_e32 v22, 32, v22
	v_subrev_nc_u32_e32 v27, 28, v22
	v_lshlrev_b64 v[34:35], v27, v[2:3]
	v_sub_nc_u32_e32 v27, 29, v22
	v_and_b32_e32 v22, 7, v34
; %bb.2264:                             ;   in Loop: Header=BB329_2079 Depth=1
	s_or_b32 exec_lo, exec_lo, s27
	v_lshlrev_b32_e32 v2, 8, v2
	v_lshl_add_u32 v27, v27, 10, 0x2000
	v_lshlrev_b32_e32 v22, 7, v22
	v_and_b32_e32 v2, 0x8000, v2
	v_and_b32_e32 v27, 0xfc00, v27
	v_or3_b32 v22, v2, v27, v22
.LBB329_2265:                           ;   in Loop: Header=BB329_2079 Depth=1
	s_or_b32 exec_lo, exec_lo, s26
.LBB329_2266:                           ;   in Loop: Header=BB329_2079 Depth=1
	s_or_b32 exec_lo, exec_lo, s25
.LBB329_2267:                           ;   in Loop: Header=BB329_2079 Depth=1
	s_or_b32 exec_lo, exec_lo, s21
	v_cmp_lt_u64_e64 s12, s[22:23], v[13:14]
	v_mov_b32_e32 v13, 0
	s_and_saveexec_b32 s21, s12
	s_cbranch_execz .LBB329_2275
; %bb.2268:                             ;   in Loop: Header=BB329_2079 Depth=1
	v_lshrrev_b32_e32 v2, 24, v14
	v_bfrev_b32_e32 v13, 1
	s_mov_b32 s25, exec_lo
	v_cmpx_ne_u32_e32 0x80, v2
	s_cbranch_execz .LBB329_2274
; %bb.2269:                             ;   in Loop: Header=BB329_2079 Depth=1
	v_and_b32_e32 v27, 0x7f, v2
	v_mov_b32_e32 v13, 0x7c010000
	s_mov_b32 s26, exec_lo
	v_cmpx_ne_u32_e32 0x7f, v27
	s_cbranch_execz .LBB329_2273
; %bb.2270:                             ;   in Loop: Header=BB329_2079 Depth=1
	v_and_b32_e32 v13, 7, v2
	v_lshrrev_b32_e32 v14, 3, v27
	s_mov_b32 s27, exec_lo
	v_cmpx_gt_u32_e32 8, v27
; %bb.2271:                             ;   in Loop: Header=BB329_2079 Depth=1
	v_ffbh_u32_e32 v13, v13
	v_min_u32_e32 v27, 32, v13
	v_subrev_nc_u32_e32 v13, 28, v27
	v_lshlrev_b64 v[13:14], v13, v[2:3]
	v_sub_nc_u32_e32 v14, 29, v27
	v_and_b32_e32 v13, 7, v13
; %bb.2272:                             ;   in Loop: Header=BB329_2079 Depth=1
	s_or_b32 exec_lo, exec_lo, s27
	v_lshlrev_b32_e32 v2, 8, v2
	v_lshl_add_u32 v14, v14, 10, 0x2000
	v_lshlrev_b32_e32 v13, 23, v13
	v_and_or_b32 v2, 0x8000, v2, v14
	v_lshl_or_b32 v13, v2, 16, v13
.LBB329_2273:                           ;   in Loop: Header=BB329_2079 Depth=1
	s_or_b32 exec_lo, exec_lo, s26
.LBB329_2274:                           ;   in Loop: Header=BB329_2079 Depth=1
	s_or_b32 exec_lo, exec_lo, s25
.LBB329_2275:                           ;   in Loop: Header=BB329_2079 Depth=1
	s_or_b32 exec_lo, exec_lo, s21
	v_or_b32_e32 v2, v15, v16
	s_waitcnt vmcnt(0) lgkmcnt(0)
	v_fma_mixlo_f16 v14, v4, v15, 0 op_sel:[0,1,0] op_sel_hi:[0,1,0]
	v_or_b32_e32 v15, v5, v6
	v_or_b32_e32 v16, v26, v23
	;; [unrolled: 1-line block ×3, first 2 shown]
	v_fma_mixlo_f16 v5, v4, v5, 0 op_sel:[0,1,0] op_sel_hi:[0,1,0]
	v_fma_mixlo_f16 v23, v4, v2, 0 op_sel_hi:[0,1,0]
	v_lshlrev_b32_e32 v2, 16, v14
	v_fma_mixlo_f16 v14, v4, v15, 0 op_sel_hi:[0,1,0]
	v_fma_mixlo_f16 v15, v4, v26, 0 op_sel:[0,1,0] op_sel_hi:[0,1,0]
	v_fma_mixlo_f16 v16, v4, v16, 0 op_sel_hi:[0,1,0]
	v_fma_mixlo_f16 v13, v4, v13, 0 op_sel:[0,1,0] op_sel_hi:[0,1,0]
	v_fma_mixlo_f16 v4, v4, v22, 0 op_sel_hi:[0,1,0]
	v_lshlrev_b32_e32 v6, 16, v5
	v_and_b32_e32 v5, 0xffff, v23
	v_and_b32_e32 v27, 0xffff, v14
	v_lshlrev_b32_e32 v22, 16, v15
	v_and_b32_e32 v26, 0xffff, v16
	v_lshlrev_b32_e32 v16, 16, v13
	v_and_b32_e32 v23, 0xffff, v4
	v_or_b32_e32 v4, v2, v5
	v_or_b32_e32 v15, v6, v27
	;; [unrolled: 1-line block ×4, first 2 shown]
	s_and_saveexec_b32 s12, s6
	s_cbranch_execz .LBB329_2277
; %bb.2276:                             ;   in Loop: Header=BB329_2079 Depth=1
	v_cndmask_b32_e32 v4, 0, v27, vcc_lo
	v_cndmask_b32_e64 v6, 0, v6, s5
	v_cndmask_b32_e64 v5, 0, v5, s4
	;; [unrolled: 1-line block ×7, first 2 shown]
	v_or_b32_e32 v15, v4, v6
	v_or_b32_e32 v4, v5, v2
	;; [unrolled: 1-line block ×4, first 2 shown]
.LBB329_2277:                           ;   in Loop: Header=BB329_2079 Depth=1
	s_or_b32 exec_lo, exec_lo, s12
	;;#ASMSTART
	v_pk_mul_f16 v2, v103, v15;

	;;#ASMEND
	;;#ASMSTART
	v_pk_mul_f16 v4, v102, v4;

	;;#ASMEND
	;; [unrolled: 4-line block ×4, first 2 shown]
	;;#ASMSTART
	v_pk_add_f16 v2, v2, v4;

	;;#ASMEND
	;;#ASMSTART
	v_pk_add_f16 v2, v2, v5;

	;;#ASMEND
	;; [unrolled: 4-line block ×3, first 2 shown]
	v_and_b32_e32 v4, 0xffff, v2
	v_lshrrev_b32_e32 v2, 16, v2
	;;#ASMSTART
	v_cvt_f32_f16 v116, v4;
	;;#ASMEND
	;;#ASMSTART
	v_cvt_f32_f16 v98, v2;
	;;#ASMEND
	flat_load_dwordx2 v[13:14], v[11:12] offset:768
	s_clause 0x1
	buffer_load_dword v4, off, s[0:3], s32 offset:192
	buffer_load_dword v5, off, s[0:3], s32 offset:196
	v_mov_b32_e32 v6, 0
	s_waitcnt vmcnt(2) lgkmcnt(0)
	v_cmp_ne_u16_sdwa s12, v13, v3 src0_sel:BYTE_0 src1_sel:DWORD
	s_waitcnt vmcnt(0)
	flat_load_dword v4, v[4:5]
	v_mov_b32_e32 v5, 0
	s_and_saveexec_b32 s21, s12
	s_cbranch_execz .LBB329_2285
; %bb.2278:                             ;   in Loop: Header=BB329_2079 Depth=1
	v_cmp_ne_u16_sdwa s12, v13, v96 src0_sel:BYTE_0 src1_sel:DWORD
	v_mov_b32_e32 v6, 0x8000
	s_and_saveexec_b32 s25, s12
	s_cbranch_execz .LBB329_2284
; %bb.2279:                             ;   in Loop: Header=BB329_2079 Depth=1
	v_and_b32_e32 v15, 0x7f, v13
	v_mov_b32_e32 v6, 0x7c01
	s_mov_b32 s26, exec_lo
	v_cmpx_ne_u32_e32 0x7f, v15
	s_cbranch_execz .LBB329_2283
; %bb.2280:                             ;   in Loop: Header=BB329_2079 Depth=1
	v_and_b32_e32 v2, 7, v13
	v_lshrrev_b32_e32 v6, 3, v15
	s_mov_b32 s27, exec_lo
	v_cmpx_gt_u32_e32 8, v15
; %bb.2281:                             ;   in Loop: Header=BB329_2079 Depth=1
	v_ffbh_u32_e32 v2, v2
	v_min_u32_e32 v2, 32, v2
	v_subrev_nc_u32_e32 v6, 28, v2
	v_lshlrev_b64 v[15:16], v6, v[13:14]
	v_sub_nc_u32_e32 v6, 29, v2
	v_and_b32_e32 v2, 7, v15
; %bb.2282:                             ;   in Loop: Header=BB329_2079 Depth=1
	s_or_b32 exec_lo, exec_lo, s27
	v_lshlrev_b32_e32 v15, 8, v13
	v_lshl_add_u32 v6, v6, 10, 0x2000
	v_lshlrev_b32_e32 v2, 7, v2
	v_and_b32_e32 v15, 0x8000, v15
	v_and_b32_e32 v6, 0xfc00, v6
	v_or3_b32 v6, v15, v6, v2
.LBB329_2283:                           ;   in Loop: Header=BB329_2079 Depth=1
	s_or_b32 exec_lo, exec_lo, s26
.LBB329_2284:                           ;   in Loop: Header=BB329_2079 Depth=1
	s_or_b32 exec_lo, exec_lo, s25
.LBB329_2285:                           ;   in Loop: Header=BB329_2079 Depth=1
	s_or_b32 exec_lo, exec_lo, s21
	v_lshrrev_b16 v2, 8, v13
	s_mov_b32 s21, exec_lo
	v_cmpx_ne_u16_e32 0, v2
	s_cbranch_execz .LBB329_2293
; %bb.2286:                             ;   in Loop: Header=BB329_2079 Depth=1
	v_bfrev_b32_e32 v5, 1
	s_mov_b32 s25, exec_lo
	v_cmpx_ne_u16_e32 0x80, v2
	s_cbranch_execz .LBB329_2292
; %bb.2287:                             ;   in Loop: Header=BB329_2079 Depth=1
	v_and_b32_sdwa v16, v2, v97 dst_sel:DWORD dst_unused:UNUSED_PAD src0_sel:WORD_0 src1_sel:DWORD
	v_mov_b32_e32 v5, 0x7c010000
	s_mov_b32 s26, exec_lo
	v_cmpx_ne_u32_e32 0x7f, v16
	s_cbranch_execz .LBB329_2291
; %bb.2288:                             ;   in Loop: Header=BB329_2079 Depth=1
	v_and_b32_sdwa v5, v2, v64 dst_sel:DWORD dst_unused:UNUSED_PAD src0_sel:WORD_0 src1_sel:DWORD
	v_lshrrev_b32_e32 v15, 3, v16
	s_mov_b32 s27, exec_lo
	v_cmpx_gt_u32_e32 8, v16
; %bb.2289:                             ;   in Loop: Header=BB329_2079 Depth=1
	v_ffbh_u32_e32 v5, v5
	v_min_u32_e32 v5, 32, v5
	v_subrev_nc_u32_e32 v15, 28, v5
	v_lshlrev_b64 v[22:23], v15, v[2:3]
	v_sub_nc_u32_e32 v15, 29, v5
	v_and_b32_e32 v5, 7, v22
; %bb.2290:                             ;   in Loop: Header=BB329_2079 Depth=1
	s_or_b32 exec_lo, exec_lo, s27
	v_lshlrev_b32_sdwa v2, v61, v2 dst_sel:DWORD dst_unused:UNUSED_PAD src0_sel:DWORD src1_sel:WORD_0
	v_lshl_add_u32 v15, v15, 10, 0x2000
	v_lshlrev_b32_e32 v5, 23, v5
	v_and_or_b32 v2, 0x8000, v2, v15
	v_lshl_or_b32 v5, v2, 16, v5
.LBB329_2291:                           ;   in Loop: Header=BB329_2079 Depth=1
	s_or_b32 exec_lo, exec_lo, s26
.LBB329_2292:                           ;   in Loop: Header=BB329_2079 Depth=1
	s_or_b32 exec_lo, exec_lo, s25
.LBB329_2293:                           ;   in Loop: Header=BB329_2079 Depth=1
	s_or_b32 exec_lo, exec_lo, s21
	v_lshrrev_b32_e32 v2, 16, v13
	v_mov_b32_e32 v15, 0
	v_mov_b32_e32 v16, 0
	v_cmp_ne_u16_sdwa s12, v2, v3 src0_sel:BYTE_0 src1_sel:DWORD
	s_and_saveexec_b32 s21, s12
	s_cbranch_execz .LBB329_2301
; %bb.2294:                             ;   in Loop: Header=BB329_2079 Depth=1
	v_cmp_ne_u16_sdwa s12, v2, v96 src0_sel:BYTE_0 src1_sel:DWORD
	v_mov_b32_e32 v16, 0x8000
	s_and_saveexec_b32 s25, s12
	s_cbranch_execz .LBB329_2300
; %bb.2295:                             ;   in Loop: Header=BB329_2079 Depth=1
	v_bfe_u32 v23, v13, 16, 7
	v_mov_b32_e32 v16, 0x7c01
	s_mov_b32 s26, exec_lo
	v_cmpx_ne_u32_e32 0x7f, v23
	s_cbranch_execz .LBB329_2299
; %bb.2296:                             ;   in Loop: Header=BB329_2079 Depth=1
	v_and_b32_e32 v16, 7, v2
	v_lshrrev_b32_e32 v22, 3, v23
	s_mov_b32 s27, exec_lo
	v_cmpx_gt_u32_e32 8, v23
; %bb.2297:                             ;   in Loop: Header=BB329_2079 Depth=1
	v_ffbh_u32_e32 v16, v16
	v_min_u32_e32 v16, 32, v16
	v_subrev_nc_u32_e32 v22, 28, v16
	v_lshlrev_b64 v[26:27], v22, v[2:3]
	v_sub_nc_u32_e32 v22, 29, v16
	v_and_b32_e32 v16, 7, v26
; %bb.2298:                             ;   in Loop: Header=BB329_2079 Depth=1
	s_or_b32 exec_lo, exec_lo, s27
	v_lshlrev_b32_e32 v2, 8, v2
	v_lshl_add_u32 v22, v22, 10, 0x2000
	v_lshlrev_b32_e32 v16, 7, v16
	v_and_b32_e32 v2, 0x8000, v2
	v_and_b32_e32 v22, 0xfc00, v22
	v_or3_b32 v16, v2, v22, v16
.LBB329_2299:                           ;   in Loop: Header=BB329_2079 Depth=1
	s_or_b32 exec_lo, exec_lo, s26
.LBB329_2300:                           ;   in Loop: Header=BB329_2079 Depth=1
	s_or_b32 exec_lo, exec_lo, s25
.LBB329_2301:                           ;   in Loop: Header=BB329_2079 Depth=1
	s_or_b32 exec_lo, exec_lo, s21
	s_mov_b32 s21, exec_lo
	v_cmpx_lt_u32_e32 0xffffff, v13
	s_cbranch_execz .LBB329_2309
; %bb.2302:                             ;   in Loop: Header=BB329_2079 Depth=1
	v_lshrrev_b32_e32 v2, 24, v13
	v_bfrev_b32_e32 v15, 1
	s_mov_b32 s25, exec_lo
	v_cmpx_ne_u32_e32 0x80, v2
	s_cbranch_execz .LBB329_2308
; %bb.2303:                             ;   in Loop: Header=BB329_2079 Depth=1
	v_and_b32_e32 v23, 0x7f, v2
	v_mov_b32_e32 v15, 0x7c010000
	s_mov_b32 s26, exec_lo
	v_cmpx_ne_u32_e32 0x7f, v23
	s_cbranch_execz .LBB329_2307
; %bb.2304:                             ;   in Loop: Header=BB329_2079 Depth=1
	v_and_b32_e32 v15, 7, v2
	v_lshrrev_b32_e32 v22, 3, v23
	s_mov_b32 s27, exec_lo
	v_cmpx_gt_u32_e32 8, v23
; %bb.2305:                             ;   in Loop: Header=BB329_2079 Depth=1
	v_ffbh_u32_e32 v15, v15
	v_min_u32_e32 v15, 32, v15
	v_subrev_nc_u32_e32 v22, 28, v15
	v_lshlrev_b64 v[26:27], v22, v[2:3]
	v_sub_nc_u32_e32 v22, 29, v15
	v_and_b32_e32 v15, 7, v26
; %bb.2306:                             ;   in Loop: Header=BB329_2079 Depth=1
	s_or_b32 exec_lo, exec_lo, s27
	v_lshlrev_b32_e32 v2, 8, v2
	v_lshl_add_u32 v22, v22, 10, 0x2000
	v_lshlrev_b32_e32 v15, 23, v15
	v_and_or_b32 v2, 0x8000, v2, v22
	v_lshl_or_b32 v15, v2, 16, v15
.LBB329_2307:                           ;   in Loop: Header=BB329_2079 Depth=1
	s_or_b32 exec_lo, exec_lo, s26
.LBB329_2308:                           ;   in Loop: Header=BB329_2079 Depth=1
	s_or_b32 exec_lo, exec_lo, s25
.LBB329_2309:                           ;   in Loop: Header=BB329_2079 Depth=1
	s_or_b32 exec_lo, exec_lo, s21
	v_mov_b32_e32 v2, v14
	v_cmp_ne_u16_sdwa s12, v14, v3 src0_sel:BYTE_0 src1_sel:DWORD
	v_mov_b32_e32 v22, 0
	v_mov_b32_e32 v23, 0
	s_and_saveexec_b32 s21, s12
	s_cbranch_execz .LBB329_2317
; %bb.2310:                             ;   in Loop: Header=BB329_2079 Depth=1
	v_cmp_ne_u16_sdwa s12, v14, v96 src0_sel:BYTE_0 src1_sel:DWORD
	v_mov_b32_e32 v23, 0x8000
	s_and_saveexec_b32 s25, s12
	s_cbranch_execz .LBB329_2316
; %bb.2311:                             ;   in Loop: Header=BB329_2079 Depth=1
	v_and_b32_e32 v27, 0x7f, v14
	v_mov_b32_e32 v23, 0x7c01
	s_mov_b32 s26, exec_lo
	v_cmpx_ne_u32_e32 0x7f, v27
	s_cbranch_execz .LBB329_2315
; %bb.2312:                             ;   in Loop: Header=BB329_2079 Depth=1
	v_and_b32_e32 v23, 7, v14
	v_lshrrev_b32_e32 v26, 3, v27
	s_mov_b32 s27, exec_lo
	v_cmpx_gt_u32_e32 8, v27
; %bb.2313:                             ;   in Loop: Header=BB329_2079 Depth=1
	v_ffbh_u32_e32 v23, v23
	v_min_u32_e32 v23, 32, v23
	v_subrev_nc_u32_e32 v26, 28, v23
	v_lshlrev_b64 v[34:35], v26, v[2:3]
	v_sub_nc_u32_e32 v26, 29, v23
	v_and_b32_e32 v23, 7, v34
; %bb.2314:                             ;   in Loop: Header=BB329_2079 Depth=1
	s_or_b32 exec_lo, exec_lo, s27
	v_lshlrev_b32_e32 v27, 8, v14
	v_lshl_add_u32 v26, v26, 10, 0x2000
	v_lshlrev_b32_e32 v23, 7, v23
	v_and_b32_e32 v27, 0x8000, v27
	v_and_b32_e32 v26, 0xfc00, v26
	v_or3_b32 v23, v27, v26, v23
.LBB329_2315:                           ;   in Loop: Header=BB329_2079 Depth=1
	s_or_b32 exec_lo, exec_lo, s26
.LBB329_2316:                           ;   in Loop: Header=BB329_2079 Depth=1
	s_or_b32 exec_lo, exec_lo, s25
.LBB329_2317:                           ;   in Loop: Header=BB329_2079 Depth=1
	s_or_b32 exec_lo, exec_lo, s21
	v_lshrrev_b16 v2, 8, v2
	v_mov_b32_e32 v26, 0
	s_mov_b32 s21, exec_lo
	v_cmpx_ne_u16_e32 0, v2
	s_cbranch_execz .LBB329_2325
; %bb.2318:                             ;   in Loop: Header=BB329_2079 Depth=1
	v_bfrev_b32_e32 v26, 1
	s_mov_b32 s25, exec_lo
	v_cmpx_ne_u16_e32 0x80, v2
	s_cbranch_execz .LBB329_2324
; %bb.2319:                             ;   in Loop: Header=BB329_2079 Depth=1
	v_and_b32_sdwa v34, v2, v97 dst_sel:DWORD dst_unused:UNUSED_PAD src0_sel:WORD_0 src1_sel:DWORD
	v_mov_b32_e32 v26, 0x7c010000
	s_mov_b32 s26, exec_lo
	v_cmpx_ne_u32_e32 0x7f, v34
	s_cbranch_execz .LBB329_2323
; %bb.2320:                             ;   in Loop: Header=BB329_2079 Depth=1
	v_and_b32_sdwa v26, v2, v64 dst_sel:DWORD dst_unused:UNUSED_PAD src0_sel:WORD_0 src1_sel:DWORD
	v_lshrrev_b32_e32 v27, 3, v34
	s_mov_b32 s27, exec_lo
	v_cmpx_gt_u32_e32 8, v34
; %bb.2321:                             ;   in Loop: Header=BB329_2079 Depth=1
	v_ffbh_u32_e32 v26, v26
	v_min_u32_e32 v34, 32, v26
	v_subrev_nc_u32_e32 v26, 28, v34
	v_lshlrev_b64 v[26:27], v26, v[2:3]
	v_sub_nc_u32_e32 v27, 29, v34
	v_and_b32_e32 v26, 7, v26
; %bb.2322:                             ;   in Loop: Header=BB329_2079 Depth=1
	s_or_b32 exec_lo, exec_lo, s27
	v_lshlrev_b32_sdwa v2, v61, v2 dst_sel:DWORD dst_unused:UNUSED_PAD src0_sel:DWORD src1_sel:WORD_0
	v_lshl_add_u32 v27, v27, 10, 0x2000
	v_lshlrev_b32_e32 v26, 23, v26
	v_and_or_b32 v2, 0x8000, v2, v27
	v_lshl_or_b32 v26, v2, 16, v26
.LBB329_2323:                           ;   in Loop: Header=BB329_2079 Depth=1
	s_or_b32 exec_lo, exec_lo, s26
.LBB329_2324:                           ;   in Loop: Header=BB329_2079 Depth=1
	s_or_b32 exec_lo, exec_lo, s25
.LBB329_2325:                           ;   in Loop: Header=BB329_2079 Depth=1
	s_or_b32 exec_lo, exec_lo, s21
	v_lshrrev_b32_e32 v2, 16, v14
	v_cmp_ne_u16_sdwa s12, v2, v3 src0_sel:BYTE_0 src1_sel:DWORD
	s_and_saveexec_b32 s21, s12
	s_cbranch_execz .LBB329_2333
; %bb.2326:                             ;   in Loop: Header=BB329_2079 Depth=1
	v_cmp_ne_u16_sdwa s12, v2, v96 src0_sel:BYTE_0 src1_sel:DWORD
	v_mov_b32_e32 v22, 0x8000
	s_and_saveexec_b32 s25, s12
	s_cbranch_execz .LBB329_2332
; %bb.2327:                             ;   in Loop: Header=BB329_2079 Depth=1
	v_bfe_u32 v34, v14, 16, 7
	v_mov_b32_e32 v22, 0x7c01
	s_mov_b32 s26, exec_lo
	v_cmpx_ne_u32_e32 0x7f, v34
	s_cbranch_execz .LBB329_2331
; %bb.2328:                             ;   in Loop: Header=BB329_2079 Depth=1
	v_and_b32_e32 v22, 7, v2
	v_lshrrev_b32_e32 v27, 3, v34
	s_mov_b32 s27, exec_lo
	v_cmpx_gt_u32_e32 8, v34
; %bb.2329:                             ;   in Loop: Header=BB329_2079 Depth=1
	v_ffbh_u32_e32 v22, v22
	v_min_u32_e32 v22, 32, v22
	v_subrev_nc_u32_e32 v27, 28, v22
	v_lshlrev_b64 v[34:35], v27, v[2:3]
	v_sub_nc_u32_e32 v27, 29, v22
	v_and_b32_e32 v22, 7, v34
; %bb.2330:                             ;   in Loop: Header=BB329_2079 Depth=1
	s_or_b32 exec_lo, exec_lo, s27
	v_lshlrev_b32_e32 v2, 8, v2
	v_lshl_add_u32 v27, v27, 10, 0x2000
	v_lshlrev_b32_e32 v22, 7, v22
	v_and_b32_e32 v2, 0x8000, v2
	v_and_b32_e32 v27, 0xfc00, v27
	v_or3_b32 v22, v2, v27, v22
.LBB329_2331:                           ;   in Loop: Header=BB329_2079 Depth=1
	s_or_b32 exec_lo, exec_lo, s26
.LBB329_2332:                           ;   in Loop: Header=BB329_2079 Depth=1
	s_or_b32 exec_lo, exec_lo, s25
.LBB329_2333:                           ;   in Loop: Header=BB329_2079 Depth=1
	s_or_b32 exec_lo, exec_lo, s21
	v_cmp_lt_u64_e64 s12, s[22:23], v[13:14]
	v_mov_b32_e32 v13, 0
	s_and_saveexec_b32 s21, s12
	s_cbranch_execz .LBB329_2341
; %bb.2334:                             ;   in Loop: Header=BB329_2079 Depth=1
	v_lshrrev_b32_e32 v2, 24, v14
	v_bfrev_b32_e32 v13, 1
	s_mov_b32 s25, exec_lo
	v_cmpx_ne_u32_e32 0x80, v2
	s_cbranch_execz .LBB329_2340
; %bb.2335:                             ;   in Loop: Header=BB329_2079 Depth=1
	v_and_b32_e32 v27, 0x7f, v2
	v_mov_b32_e32 v13, 0x7c010000
	s_mov_b32 s26, exec_lo
	v_cmpx_ne_u32_e32 0x7f, v27
	s_cbranch_execz .LBB329_2339
; %bb.2336:                             ;   in Loop: Header=BB329_2079 Depth=1
	v_and_b32_e32 v13, 7, v2
	v_lshrrev_b32_e32 v14, 3, v27
	s_mov_b32 s27, exec_lo
	v_cmpx_gt_u32_e32 8, v27
; %bb.2337:                             ;   in Loop: Header=BB329_2079 Depth=1
	v_ffbh_u32_e32 v13, v13
	v_min_u32_e32 v27, 32, v13
	v_subrev_nc_u32_e32 v13, 28, v27
	v_lshlrev_b64 v[13:14], v13, v[2:3]
	v_sub_nc_u32_e32 v14, 29, v27
	v_and_b32_e32 v13, 7, v13
; %bb.2338:                             ;   in Loop: Header=BB329_2079 Depth=1
	s_or_b32 exec_lo, exec_lo, s27
	v_lshlrev_b32_e32 v2, 8, v2
	v_lshl_add_u32 v14, v14, 10, 0x2000
	v_lshlrev_b32_e32 v13, 23, v13
	v_and_or_b32 v2, 0x8000, v2, v14
	v_lshl_or_b32 v13, v2, 16, v13
.LBB329_2339:                           ;   in Loop: Header=BB329_2079 Depth=1
	s_or_b32 exec_lo, exec_lo, s26
.LBB329_2340:                           ;   in Loop: Header=BB329_2079 Depth=1
	s_or_b32 exec_lo, exec_lo, s25
.LBB329_2341:                           ;   in Loop: Header=BB329_2079 Depth=1
	s_or_b32 exec_lo, exec_lo, s21
	v_or_b32_e32 v2, v15, v16
	s_waitcnt vmcnt(0) lgkmcnt(0)
	v_fma_mixlo_f16 v14, v4, v15, 0 op_sel:[0,1,0] op_sel_hi:[0,1,0]
	v_or_b32_e32 v15, v5, v6
	v_or_b32_e32 v16, v26, v23
	;; [unrolled: 1-line block ×3, first 2 shown]
	v_fma_mixlo_f16 v5, v4, v5, 0 op_sel:[0,1,0] op_sel_hi:[0,1,0]
	v_fma_mixlo_f16 v23, v4, v2, 0 op_sel_hi:[0,1,0]
	v_lshlrev_b32_e32 v2, 16, v14
	v_fma_mixlo_f16 v14, v4, v15, 0 op_sel_hi:[0,1,0]
	v_fma_mixlo_f16 v15, v4, v26, 0 op_sel:[0,1,0] op_sel_hi:[0,1,0]
	v_fma_mixlo_f16 v16, v4, v16, 0 op_sel_hi:[0,1,0]
	v_fma_mixlo_f16 v13, v4, v13, 0 op_sel:[0,1,0] op_sel_hi:[0,1,0]
	v_fma_mixlo_f16 v4, v4, v22, 0 op_sel_hi:[0,1,0]
	v_lshlrev_b32_e32 v6, 16, v5
	v_and_b32_e32 v5, 0xffff, v23
	v_and_b32_e32 v27, 0xffff, v14
	v_lshlrev_b32_e32 v22, 16, v15
	v_and_b32_e32 v26, 0xffff, v16
	v_lshlrev_b32_e32 v16, 16, v13
	v_and_b32_e32 v23, 0xffff, v4
	v_or_b32_e32 v4, v2, v5
	v_or_b32_e32 v15, v6, v27
	;; [unrolled: 1-line block ×4, first 2 shown]
	s_and_saveexec_b32 s12, s6
	s_cbranch_execz .LBB329_2343
; %bb.2342:                             ;   in Loop: Header=BB329_2079 Depth=1
	v_cndmask_b32_e32 v4, 0, v27, vcc_lo
	v_cndmask_b32_e64 v6, 0, v6, s5
	v_cndmask_b32_e64 v5, 0, v5, s4
	v_cndmask_b32_e64 v2, 0, v2, s7
	v_cndmask_b32_e64 v13, 0, v26, s8
	v_cndmask_b32_e64 v14, 0, v22, s9
	v_cndmask_b32_e64 v22, 0, v23, s10
	v_cndmask_b32_e64 v16, 0, v16, s11
	v_or_b32_e32 v15, v4, v6
	v_or_b32_e32 v4, v5, v2
	;; [unrolled: 1-line block ×4, first 2 shown]
.LBB329_2343:                           ;   in Loop: Header=BB329_2079 Depth=1
	s_or_b32 exec_lo, exec_lo, s12
	;;#ASMSTART
	v_pk_mul_f16 v2, v103, v15;

	;;#ASMEND
	;;#ASMSTART
	v_pk_mul_f16 v4, v102, v4;

	;;#ASMEND
	;;#ASMSTART
	v_pk_mul_f16 v5, v101, v14;

	;;#ASMEND
	;;#ASMSTART
	v_pk_mul_f16 v6, v100, v13;

	;;#ASMEND
	;;#ASMSTART
	v_pk_add_f16 v2, v2, v4;

	;;#ASMEND
	;;#ASMSTART
	v_pk_add_f16 v2, v2, v5;

	;;#ASMEND
	;; [unrolled: 4-line block ×3, first 2 shown]
	v_and_b32_e32 v4, 0xffff, v2
	v_lshrrev_b32_e32 v2, 16, v2
	;;#ASMSTART
	v_cvt_f32_f16 v99, v4;
	;;#ASMEND
	;;#ASMSTART
	v_cvt_f32_f16 v117, v2;
	;;#ASMEND
	flat_load_dwordx2 v[13:14], v[11:12] offset:1024
	s_clause 0x1
	buffer_load_dword v4, off, s[0:3], s32 offset:192
	buffer_load_dword v5, off, s[0:3], s32 offset:196
	v_mov_b32_e32 v6, 0
	s_waitcnt vmcnt(2) lgkmcnt(0)
	v_cmp_ne_u16_sdwa s12, v13, v3 src0_sel:BYTE_0 src1_sel:DWORD
	s_waitcnt vmcnt(0)
	flat_load_dword v4, v[4:5]
	v_mov_b32_e32 v5, 0
	s_and_saveexec_b32 s21, s12
	s_cbranch_execz .LBB329_2351
; %bb.2344:                             ;   in Loop: Header=BB329_2079 Depth=1
	v_cmp_ne_u16_sdwa s12, v13, v96 src0_sel:BYTE_0 src1_sel:DWORD
	v_mov_b32_e32 v6, 0x8000
	s_and_saveexec_b32 s25, s12
	s_cbranch_execz .LBB329_2350
; %bb.2345:                             ;   in Loop: Header=BB329_2079 Depth=1
	v_and_b32_e32 v15, 0x7f, v13
	v_mov_b32_e32 v6, 0x7c01
	s_mov_b32 s26, exec_lo
	v_cmpx_ne_u32_e32 0x7f, v15
	s_cbranch_execz .LBB329_2349
; %bb.2346:                             ;   in Loop: Header=BB329_2079 Depth=1
	v_and_b32_e32 v2, 7, v13
	v_lshrrev_b32_e32 v6, 3, v15
	s_mov_b32 s27, exec_lo
	v_cmpx_gt_u32_e32 8, v15
; %bb.2347:                             ;   in Loop: Header=BB329_2079 Depth=1
	v_ffbh_u32_e32 v2, v2
	v_min_u32_e32 v2, 32, v2
	v_subrev_nc_u32_e32 v6, 28, v2
	v_lshlrev_b64 v[15:16], v6, v[13:14]
	v_sub_nc_u32_e32 v6, 29, v2
	v_and_b32_e32 v2, 7, v15
; %bb.2348:                             ;   in Loop: Header=BB329_2079 Depth=1
	s_or_b32 exec_lo, exec_lo, s27
	v_lshlrev_b32_e32 v15, 8, v13
	v_lshl_add_u32 v6, v6, 10, 0x2000
	v_lshlrev_b32_e32 v2, 7, v2
	v_and_b32_e32 v15, 0x8000, v15
	v_and_b32_e32 v6, 0xfc00, v6
	v_or3_b32 v6, v15, v6, v2
.LBB329_2349:                           ;   in Loop: Header=BB329_2079 Depth=1
	s_or_b32 exec_lo, exec_lo, s26
.LBB329_2350:                           ;   in Loop: Header=BB329_2079 Depth=1
	s_or_b32 exec_lo, exec_lo, s25
.LBB329_2351:                           ;   in Loop: Header=BB329_2079 Depth=1
	s_or_b32 exec_lo, exec_lo, s21
	v_lshrrev_b16 v2, 8, v13
	s_mov_b32 s21, exec_lo
	v_cmpx_ne_u16_e32 0, v2
	s_cbranch_execz .LBB329_2359
; %bb.2352:                             ;   in Loop: Header=BB329_2079 Depth=1
	v_bfrev_b32_e32 v5, 1
	s_mov_b32 s25, exec_lo
	v_cmpx_ne_u16_e32 0x80, v2
	s_cbranch_execz .LBB329_2358
; %bb.2353:                             ;   in Loop: Header=BB329_2079 Depth=1
	v_and_b32_sdwa v16, v2, v97 dst_sel:DWORD dst_unused:UNUSED_PAD src0_sel:WORD_0 src1_sel:DWORD
	v_mov_b32_e32 v5, 0x7c010000
	s_mov_b32 s26, exec_lo
	v_cmpx_ne_u32_e32 0x7f, v16
	s_cbranch_execz .LBB329_2357
; %bb.2354:                             ;   in Loop: Header=BB329_2079 Depth=1
	v_and_b32_sdwa v5, v2, v64 dst_sel:DWORD dst_unused:UNUSED_PAD src0_sel:WORD_0 src1_sel:DWORD
	v_lshrrev_b32_e32 v15, 3, v16
	s_mov_b32 s27, exec_lo
	v_cmpx_gt_u32_e32 8, v16
; %bb.2355:                             ;   in Loop: Header=BB329_2079 Depth=1
	v_ffbh_u32_e32 v5, v5
	v_min_u32_e32 v5, 32, v5
	v_subrev_nc_u32_e32 v15, 28, v5
	v_lshlrev_b64 v[22:23], v15, v[2:3]
	v_sub_nc_u32_e32 v15, 29, v5
	v_and_b32_e32 v5, 7, v22
; %bb.2356:                             ;   in Loop: Header=BB329_2079 Depth=1
	s_or_b32 exec_lo, exec_lo, s27
	v_lshlrev_b32_sdwa v2, v61, v2 dst_sel:DWORD dst_unused:UNUSED_PAD src0_sel:DWORD src1_sel:WORD_0
	v_lshl_add_u32 v15, v15, 10, 0x2000
	v_lshlrev_b32_e32 v5, 23, v5
	v_and_or_b32 v2, 0x8000, v2, v15
	v_lshl_or_b32 v5, v2, 16, v5
.LBB329_2357:                           ;   in Loop: Header=BB329_2079 Depth=1
	s_or_b32 exec_lo, exec_lo, s26
.LBB329_2358:                           ;   in Loop: Header=BB329_2079 Depth=1
	s_or_b32 exec_lo, exec_lo, s25
.LBB329_2359:                           ;   in Loop: Header=BB329_2079 Depth=1
	s_or_b32 exec_lo, exec_lo, s21
	v_lshrrev_b32_e32 v2, 16, v13
	v_mov_b32_e32 v15, 0
	v_mov_b32_e32 v16, 0
	v_cmp_ne_u16_sdwa s12, v2, v3 src0_sel:BYTE_0 src1_sel:DWORD
	s_and_saveexec_b32 s21, s12
	s_cbranch_execz .LBB329_2367
; %bb.2360:                             ;   in Loop: Header=BB329_2079 Depth=1
	v_cmp_ne_u16_sdwa s12, v2, v96 src0_sel:BYTE_0 src1_sel:DWORD
	v_mov_b32_e32 v16, 0x8000
	s_and_saveexec_b32 s25, s12
	s_cbranch_execz .LBB329_2366
; %bb.2361:                             ;   in Loop: Header=BB329_2079 Depth=1
	v_bfe_u32 v23, v13, 16, 7
	v_mov_b32_e32 v16, 0x7c01
	s_mov_b32 s26, exec_lo
	v_cmpx_ne_u32_e32 0x7f, v23
	s_cbranch_execz .LBB329_2365
; %bb.2362:                             ;   in Loop: Header=BB329_2079 Depth=1
	v_and_b32_e32 v16, 7, v2
	v_lshrrev_b32_e32 v22, 3, v23
	s_mov_b32 s27, exec_lo
	v_cmpx_gt_u32_e32 8, v23
; %bb.2363:                             ;   in Loop: Header=BB329_2079 Depth=1
	v_ffbh_u32_e32 v16, v16
	v_min_u32_e32 v16, 32, v16
	v_subrev_nc_u32_e32 v22, 28, v16
	v_lshlrev_b64 v[26:27], v22, v[2:3]
	v_sub_nc_u32_e32 v22, 29, v16
	v_and_b32_e32 v16, 7, v26
; %bb.2364:                             ;   in Loop: Header=BB329_2079 Depth=1
	s_or_b32 exec_lo, exec_lo, s27
	v_lshlrev_b32_e32 v2, 8, v2
	v_lshl_add_u32 v22, v22, 10, 0x2000
	v_lshlrev_b32_e32 v16, 7, v16
	v_and_b32_e32 v2, 0x8000, v2
	v_and_b32_e32 v22, 0xfc00, v22
	v_or3_b32 v16, v2, v22, v16
.LBB329_2365:                           ;   in Loop: Header=BB329_2079 Depth=1
	s_or_b32 exec_lo, exec_lo, s26
.LBB329_2366:                           ;   in Loop: Header=BB329_2079 Depth=1
	s_or_b32 exec_lo, exec_lo, s25
.LBB329_2367:                           ;   in Loop: Header=BB329_2079 Depth=1
	s_or_b32 exec_lo, exec_lo, s21
	s_mov_b32 s21, exec_lo
	v_cmpx_lt_u32_e32 0xffffff, v13
	s_cbranch_execz .LBB329_2375
; %bb.2368:                             ;   in Loop: Header=BB329_2079 Depth=1
	v_lshrrev_b32_e32 v2, 24, v13
	v_bfrev_b32_e32 v15, 1
	s_mov_b32 s25, exec_lo
	v_cmpx_ne_u32_e32 0x80, v2
	s_cbranch_execz .LBB329_2374
; %bb.2369:                             ;   in Loop: Header=BB329_2079 Depth=1
	v_and_b32_e32 v23, 0x7f, v2
	v_mov_b32_e32 v15, 0x7c010000
	s_mov_b32 s26, exec_lo
	v_cmpx_ne_u32_e32 0x7f, v23
	s_cbranch_execz .LBB329_2373
; %bb.2370:                             ;   in Loop: Header=BB329_2079 Depth=1
	v_and_b32_e32 v15, 7, v2
	v_lshrrev_b32_e32 v22, 3, v23
	s_mov_b32 s27, exec_lo
	v_cmpx_gt_u32_e32 8, v23
; %bb.2371:                             ;   in Loop: Header=BB329_2079 Depth=1
	v_ffbh_u32_e32 v15, v15
	v_min_u32_e32 v15, 32, v15
	v_subrev_nc_u32_e32 v22, 28, v15
	v_lshlrev_b64 v[26:27], v22, v[2:3]
	v_sub_nc_u32_e32 v22, 29, v15
	v_and_b32_e32 v15, 7, v26
; %bb.2372:                             ;   in Loop: Header=BB329_2079 Depth=1
	s_or_b32 exec_lo, exec_lo, s27
	v_lshlrev_b32_e32 v2, 8, v2
	v_lshl_add_u32 v22, v22, 10, 0x2000
	v_lshlrev_b32_e32 v15, 23, v15
	v_and_or_b32 v2, 0x8000, v2, v22
	v_lshl_or_b32 v15, v2, 16, v15
.LBB329_2373:                           ;   in Loop: Header=BB329_2079 Depth=1
	s_or_b32 exec_lo, exec_lo, s26
.LBB329_2374:                           ;   in Loop: Header=BB329_2079 Depth=1
	s_or_b32 exec_lo, exec_lo, s25
.LBB329_2375:                           ;   in Loop: Header=BB329_2079 Depth=1
	s_or_b32 exec_lo, exec_lo, s21
	v_mov_b32_e32 v2, v14
	v_cmp_ne_u16_sdwa s12, v14, v3 src0_sel:BYTE_0 src1_sel:DWORD
	v_mov_b32_e32 v22, 0
	v_mov_b32_e32 v23, 0
	s_and_saveexec_b32 s21, s12
	s_cbranch_execz .LBB329_2383
; %bb.2376:                             ;   in Loop: Header=BB329_2079 Depth=1
	v_cmp_ne_u16_sdwa s12, v14, v96 src0_sel:BYTE_0 src1_sel:DWORD
	v_mov_b32_e32 v23, 0x8000
	s_and_saveexec_b32 s25, s12
	s_cbranch_execz .LBB329_2382
; %bb.2377:                             ;   in Loop: Header=BB329_2079 Depth=1
	v_and_b32_e32 v27, 0x7f, v14
	v_mov_b32_e32 v23, 0x7c01
	s_mov_b32 s26, exec_lo
	v_cmpx_ne_u32_e32 0x7f, v27
	s_cbranch_execz .LBB329_2381
; %bb.2378:                             ;   in Loop: Header=BB329_2079 Depth=1
	v_and_b32_e32 v23, 7, v14
	v_lshrrev_b32_e32 v26, 3, v27
	s_mov_b32 s27, exec_lo
	v_cmpx_gt_u32_e32 8, v27
; %bb.2379:                             ;   in Loop: Header=BB329_2079 Depth=1
	v_ffbh_u32_e32 v23, v23
	v_min_u32_e32 v23, 32, v23
	v_subrev_nc_u32_e32 v26, 28, v23
	v_lshlrev_b64 v[34:35], v26, v[2:3]
	v_sub_nc_u32_e32 v26, 29, v23
	v_and_b32_e32 v23, 7, v34
; %bb.2380:                             ;   in Loop: Header=BB329_2079 Depth=1
	s_or_b32 exec_lo, exec_lo, s27
	v_lshlrev_b32_e32 v27, 8, v14
	v_lshl_add_u32 v26, v26, 10, 0x2000
	v_lshlrev_b32_e32 v23, 7, v23
	v_and_b32_e32 v27, 0x8000, v27
	v_and_b32_e32 v26, 0xfc00, v26
	v_or3_b32 v23, v27, v26, v23
.LBB329_2381:                           ;   in Loop: Header=BB329_2079 Depth=1
	s_or_b32 exec_lo, exec_lo, s26
.LBB329_2382:                           ;   in Loop: Header=BB329_2079 Depth=1
	s_or_b32 exec_lo, exec_lo, s25
.LBB329_2383:                           ;   in Loop: Header=BB329_2079 Depth=1
	s_or_b32 exec_lo, exec_lo, s21
	v_lshrrev_b16 v2, 8, v2
	v_mov_b32_e32 v26, 0
	s_mov_b32 s21, exec_lo
	v_cmpx_ne_u16_e32 0, v2
	s_cbranch_execz .LBB329_2391
; %bb.2384:                             ;   in Loop: Header=BB329_2079 Depth=1
	v_bfrev_b32_e32 v26, 1
	s_mov_b32 s25, exec_lo
	v_cmpx_ne_u16_e32 0x80, v2
	s_cbranch_execz .LBB329_2390
; %bb.2385:                             ;   in Loop: Header=BB329_2079 Depth=1
	v_and_b32_sdwa v34, v2, v97 dst_sel:DWORD dst_unused:UNUSED_PAD src0_sel:WORD_0 src1_sel:DWORD
	v_mov_b32_e32 v26, 0x7c010000
	s_mov_b32 s26, exec_lo
	v_cmpx_ne_u32_e32 0x7f, v34
	s_cbranch_execz .LBB329_2389
; %bb.2386:                             ;   in Loop: Header=BB329_2079 Depth=1
	v_and_b32_sdwa v26, v2, v64 dst_sel:DWORD dst_unused:UNUSED_PAD src0_sel:WORD_0 src1_sel:DWORD
	v_lshrrev_b32_e32 v27, 3, v34
	s_mov_b32 s27, exec_lo
	v_cmpx_gt_u32_e32 8, v34
; %bb.2387:                             ;   in Loop: Header=BB329_2079 Depth=1
	v_ffbh_u32_e32 v26, v26
	v_min_u32_e32 v34, 32, v26
	v_subrev_nc_u32_e32 v26, 28, v34
	v_lshlrev_b64 v[26:27], v26, v[2:3]
	v_sub_nc_u32_e32 v27, 29, v34
	v_and_b32_e32 v26, 7, v26
; %bb.2388:                             ;   in Loop: Header=BB329_2079 Depth=1
	s_or_b32 exec_lo, exec_lo, s27
	v_lshlrev_b32_sdwa v2, v61, v2 dst_sel:DWORD dst_unused:UNUSED_PAD src0_sel:DWORD src1_sel:WORD_0
	v_lshl_add_u32 v27, v27, 10, 0x2000
	v_lshlrev_b32_e32 v26, 23, v26
	v_and_or_b32 v2, 0x8000, v2, v27
	v_lshl_or_b32 v26, v2, 16, v26
.LBB329_2389:                           ;   in Loop: Header=BB329_2079 Depth=1
	s_or_b32 exec_lo, exec_lo, s26
.LBB329_2390:                           ;   in Loop: Header=BB329_2079 Depth=1
	s_or_b32 exec_lo, exec_lo, s25
.LBB329_2391:                           ;   in Loop: Header=BB329_2079 Depth=1
	s_or_b32 exec_lo, exec_lo, s21
	v_lshrrev_b32_e32 v2, 16, v14
	v_cmp_ne_u16_sdwa s12, v2, v3 src0_sel:BYTE_0 src1_sel:DWORD
	s_and_saveexec_b32 s21, s12
	s_cbranch_execz .LBB329_2399
; %bb.2392:                             ;   in Loop: Header=BB329_2079 Depth=1
	v_cmp_ne_u16_sdwa s12, v2, v96 src0_sel:BYTE_0 src1_sel:DWORD
	v_mov_b32_e32 v22, 0x8000
	s_and_saveexec_b32 s25, s12
	s_cbranch_execz .LBB329_2398
; %bb.2393:                             ;   in Loop: Header=BB329_2079 Depth=1
	v_bfe_u32 v34, v14, 16, 7
	v_mov_b32_e32 v22, 0x7c01
	s_mov_b32 s26, exec_lo
	v_cmpx_ne_u32_e32 0x7f, v34
	s_cbranch_execz .LBB329_2397
; %bb.2394:                             ;   in Loop: Header=BB329_2079 Depth=1
	v_and_b32_e32 v22, 7, v2
	v_lshrrev_b32_e32 v27, 3, v34
	s_mov_b32 s27, exec_lo
	v_cmpx_gt_u32_e32 8, v34
; %bb.2395:                             ;   in Loop: Header=BB329_2079 Depth=1
	v_ffbh_u32_e32 v22, v22
	v_min_u32_e32 v22, 32, v22
	v_subrev_nc_u32_e32 v27, 28, v22
	v_lshlrev_b64 v[34:35], v27, v[2:3]
	v_sub_nc_u32_e32 v27, 29, v22
	v_and_b32_e32 v22, 7, v34
; %bb.2396:                             ;   in Loop: Header=BB329_2079 Depth=1
	s_or_b32 exec_lo, exec_lo, s27
	v_lshlrev_b32_e32 v2, 8, v2
	v_lshl_add_u32 v27, v27, 10, 0x2000
	v_lshlrev_b32_e32 v22, 7, v22
	v_and_b32_e32 v2, 0x8000, v2
	v_and_b32_e32 v27, 0xfc00, v27
	v_or3_b32 v22, v2, v27, v22
.LBB329_2397:                           ;   in Loop: Header=BB329_2079 Depth=1
	s_or_b32 exec_lo, exec_lo, s26
.LBB329_2398:                           ;   in Loop: Header=BB329_2079 Depth=1
	s_or_b32 exec_lo, exec_lo, s25
.LBB329_2399:                           ;   in Loop: Header=BB329_2079 Depth=1
	s_or_b32 exec_lo, exec_lo, s21
	v_cmp_lt_u64_e64 s12, s[22:23], v[13:14]
	v_mov_b32_e32 v13, 0
	s_and_saveexec_b32 s21, s12
	s_cbranch_execz .LBB329_2407
; %bb.2400:                             ;   in Loop: Header=BB329_2079 Depth=1
	v_lshrrev_b32_e32 v2, 24, v14
	v_bfrev_b32_e32 v13, 1
	s_mov_b32 s25, exec_lo
	v_cmpx_ne_u32_e32 0x80, v2
	s_cbranch_execz .LBB329_2406
; %bb.2401:                             ;   in Loop: Header=BB329_2079 Depth=1
	v_and_b32_e32 v27, 0x7f, v2
	v_mov_b32_e32 v13, 0x7c010000
	s_mov_b32 s26, exec_lo
	v_cmpx_ne_u32_e32 0x7f, v27
	s_cbranch_execz .LBB329_2405
; %bb.2402:                             ;   in Loop: Header=BB329_2079 Depth=1
	v_and_b32_e32 v13, 7, v2
	v_lshrrev_b32_e32 v14, 3, v27
	s_mov_b32 s27, exec_lo
	v_cmpx_gt_u32_e32 8, v27
; %bb.2403:                             ;   in Loop: Header=BB329_2079 Depth=1
	v_ffbh_u32_e32 v13, v13
	v_min_u32_e32 v27, 32, v13
	v_subrev_nc_u32_e32 v13, 28, v27
	v_lshlrev_b64 v[13:14], v13, v[2:3]
	v_sub_nc_u32_e32 v14, 29, v27
	v_and_b32_e32 v13, 7, v13
; %bb.2404:                             ;   in Loop: Header=BB329_2079 Depth=1
	s_or_b32 exec_lo, exec_lo, s27
	v_lshlrev_b32_e32 v2, 8, v2
	v_lshl_add_u32 v14, v14, 10, 0x2000
	v_lshlrev_b32_e32 v13, 23, v13
	v_and_or_b32 v2, 0x8000, v2, v14
	v_lshl_or_b32 v13, v2, 16, v13
.LBB329_2405:                           ;   in Loop: Header=BB329_2079 Depth=1
	s_or_b32 exec_lo, exec_lo, s26
.LBB329_2406:                           ;   in Loop: Header=BB329_2079 Depth=1
	s_or_b32 exec_lo, exec_lo, s25
.LBB329_2407:                           ;   in Loop: Header=BB329_2079 Depth=1
	s_or_b32 exec_lo, exec_lo, s21
	v_or_b32_e32 v2, v15, v16
	s_waitcnt vmcnt(0) lgkmcnt(0)
	v_fma_mixlo_f16 v14, v4, v15, 0 op_sel:[0,1,0] op_sel_hi:[0,1,0]
	v_or_b32_e32 v15, v5, v6
	v_or_b32_e32 v16, v26, v23
	;; [unrolled: 1-line block ×3, first 2 shown]
	v_fma_mixlo_f16 v5, v4, v5, 0 op_sel:[0,1,0] op_sel_hi:[0,1,0]
	v_fma_mixlo_f16 v23, v4, v2, 0 op_sel_hi:[0,1,0]
	v_lshlrev_b32_e32 v2, 16, v14
	v_fma_mixlo_f16 v14, v4, v15, 0 op_sel_hi:[0,1,0]
	v_fma_mixlo_f16 v15, v4, v26, 0 op_sel:[0,1,0] op_sel_hi:[0,1,0]
	v_fma_mixlo_f16 v16, v4, v16, 0 op_sel_hi:[0,1,0]
	v_fma_mixlo_f16 v13, v4, v13, 0 op_sel:[0,1,0] op_sel_hi:[0,1,0]
	v_fma_mixlo_f16 v4, v4, v22, 0 op_sel_hi:[0,1,0]
	v_lshlrev_b32_e32 v6, 16, v5
	v_and_b32_e32 v5, 0xffff, v23
	v_and_b32_e32 v27, 0xffff, v14
	v_lshlrev_b32_e32 v22, 16, v15
	v_and_b32_e32 v26, 0xffff, v16
	v_lshlrev_b32_e32 v16, 16, v13
	v_and_b32_e32 v23, 0xffff, v4
	v_or_b32_e32 v4, v2, v5
	v_or_b32_e32 v15, v6, v27
	;; [unrolled: 1-line block ×4, first 2 shown]
	s_and_saveexec_b32 s12, s6
	s_cbranch_execz .LBB329_2409
; %bb.2408:                             ;   in Loop: Header=BB329_2079 Depth=1
	v_cndmask_b32_e32 v4, 0, v27, vcc_lo
	v_cndmask_b32_e64 v6, 0, v6, s5
	v_cndmask_b32_e64 v5, 0, v5, s4
	;; [unrolled: 1-line block ×7, first 2 shown]
	v_or_b32_e32 v15, v4, v6
	v_or_b32_e32 v4, v5, v2
	;; [unrolled: 1-line block ×4, first 2 shown]
.LBB329_2409:                           ;   in Loop: Header=BB329_2079 Depth=1
	s_or_b32 exec_lo, exec_lo, s12
	;;#ASMSTART
	v_pk_mul_f16 v2, v103, v15;

	;;#ASMEND
	;;#ASMSTART
	v_pk_mul_f16 v4, v102, v4;

	;;#ASMEND
	;; [unrolled: 4-line block ×4, first 2 shown]
	;;#ASMSTART
	v_pk_add_f16 v2, v2, v4;

	;;#ASMEND
	;;#ASMSTART
	v_pk_add_f16 v2, v2, v5;

	;;#ASMEND
	;; [unrolled: 4-line block ×3, first 2 shown]
	v_and_b32_e32 v4, 0xffff, v2
	v_lshrrev_b32_e32 v2, 16, v2
	;;#ASMSTART
	v_cvt_f32_f16 v94, v4;
	;;#ASMEND
	;;#ASMSTART
	v_cvt_f32_f16 v95, v2;
	;;#ASMEND
	flat_load_dwordx2 v[13:14], v[11:12] offset:1280
	s_clause 0x1
	buffer_load_dword v4, off, s[0:3], s32 offset:192
	buffer_load_dword v5, off, s[0:3], s32 offset:196
	v_mov_b32_e32 v6, 0
	s_waitcnt vmcnt(2) lgkmcnt(0)
	v_cmp_ne_u16_sdwa s12, v13, v3 src0_sel:BYTE_0 src1_sel:DWORD
	s_waitcnt vmcnt(0)
	flat_load_dword v4, v[4:5]
	v_mov_b32_e32 v5, 0
	s_and_saveexec_b32 s21, s12
	s_cbranch_execz .LBB329_2417
; %bb.2410:                             ;   in Loop: Header=BB329_2079 Depth=1
	v_cmp_ne_u16_sdwa s12, v13, v96 src0_sel:BYTE_0 src1_sel:DWORD
	v_mov_b32_e32 v6, 0x8000
	s_and_saveexec_b32 s25, s12
	s_cbranch_execz .LBB329_2416
; %bb.2411:                             ;   in Loop: Header=BB329_2079 Depth=1
	v_and_b32_e32 v15, 0x7f, v13
	v_mov_b32_e32 v6, 0x7c01
	s_mov_b32 s26, exec_lo
	v_cmpx_ne_u32_e32 0x7f, v15
	s_cbranch_execz .LBB329_2415
; %bb.2412:                             ;   in Loop: Header=BB329_2079 Depth=1
	v_and_b32_e32 v2, 7, v13
	v_lshrrev_b32_e32 v6, 3, v15
	s_mov_b32 s27, exec_lo
	v_cmpx_gt_u32_e32 8, v15
; %bb.2413:                             ;   in Loop: Header=BB329_2079 Depth=1
	v_ffbh_u32_e32 v2, v2
	v_min_u32_e32 v2, 32, v2
	v_subrev_nc_u32_e32 v6, 28, v2
	v_lshlrev_b64 v[15:16], v6, v[13:14]
	v_sub_nc_u32_e32 v6, 29, v2
	v_and_b32_e32 v2, 7, v15
; %bb.2414:                             ;   in Loop: Header=BB329_2079 Depth=1
	s_or_b32 exec_lo, exec_lo, s27
	v_lshlrev_b32_e32 v15, 8, v13
	v_lshl_add_u32 v6, v6, 10, 0x2000
	v_lshlrev_b32_e32 v2, 7, v2
	v_and_b32_e32 v15, 0x8000, v15
	v_and_b32_e32 v6, 0xfc00, v6
	v_or3_b32 v6, v15, v6, v2
.LBB329_2415:                           ;   in Loop: Header=BB329_2079 Depth=1
	s_or_b32 exec_lo, exec_lo, s26
.LBB329_2416:                           ;   in Loop: Header=BB329_2079 Depth=1
	s_or_b32 exec_lo, exec_lo, s25
.LBB329_2417:                           ;   in Loop: Header=BB329_2079 Depth=1
	s_or_b32 exec_lo, exec_lo, s21
	v_lshrrev_b16 v2, 8, v13
	s_mov_b32 s21, exec_lo
	v_cmpx_ne_u16_e32 0, v2
	s_cbranch_execz .LBB329_2425
; %bb.2418:                             ;   in Loop: Header=BB329_2079 Depth=1
	v_bfrev_b32_e32 v5, 1
	s_mov_b32 s25, exec_lo
	v_cmpx_ne_u16_e32 0x80, v2
	s_cbranch_execz .LBB329_2424
; %bb.2419:                             ;   in Loop: Header=BB329_2079 Depth=1
	v_and_b32_sdwa v16, v2, v97 dst_sel:DWORD dst_unused:UNUSED_PAD src0_sel:WORD_0 src1_sel:DWORD
	v_mov_b32_e32 v5, 0x7c010000
	s_mov_b32 s26, exec_lo
	v_cmpx_ne_u32_e32 0x7f, v16
	s_cbranch_execz .LBB329_2423
; %bb.2420:                             ;   in Loop: Header=BB329_2079 Depth=1
	v_and_b32_sdwa v5, v2, v64 dst_sel:DWORD dst_unused:UNUSED_PAD src0_sel:WORD_0 src1_sel:DWORD
	v_lshrrev_b32_e32 v15, 3, v16
	s_mov_b32 s27, exec_lo
	v_cmpx_gt_u32_e32 8, v16
; %bb.2421:                             ;   in Loop: Header=BB329_2079 Depth=1
	v_ffbh_u32_e32 v5, v5
	v_min_u32_e32 v5, 32, v5
	v_subrev_nc_u32_e32 v15, 28, v5
	v_lshlrev_b64 v[22:23], v15, v[2:3]
	v_sub_nc_u32_e32 v15, 29, v5
	v_and_b32_e32 v5, 7, v22
; %bb.2422:                             ;   in Loop: Header=BB329_2079 Depth=1
	s_or_b32 exec_lo, exec_lo, s27
	v_lshlrev_b32_sdwa v2, v61, v2 dst_sel:DWORD dst_unused:UNUSED_PAD src0_sel:DWORD src1_sel:WORD_0
	v_lshl_add_u32 v15, v15, 10, 0x2000
	v_lshlrev_b32_e32 v5, 23, v5
	v_and_or_b32 v2, 0x8000, v2, v15
	v_lshl_or_b32 v5, v2, 16, v5
.LBB329_2423:                           ;   in Loop: Header=BB329_2079 Depth=1
	s_or_b32 exec_lo, exec_lo, s26
.LBB329_2424:                           ;   in Loop: Header=BB329_2079 Depth=1
	s_or_b32 exec_lo, exec_lo, s25
.LBB329_2425:                           ;   in Loop: Header=BB329_2079 Depth=1
	s_or_b32 exec_lo, exec_lo, s21
	v_lshrrev_b32_e32 v2, 16, v13
	v_mov_b32_e32 v15, 0
	v_mov_b32_e32 v16, 0
	v_cmp_ne_u16_sdwa s12, v2, v3 src0_sel:BYTE_0 src1_sel:DWORD
	s_and_saveexec_b32 s21, s12
	s_cbranch_execz .LBB329_2433
; %bb.2426:                             ;   in Loop: Header=BB329_2079 Depth=1
	v_cmp_ne_u16_sdwa s12, v2, v96 src0_sel:BYTE_0 src1_sel:DWORD
	v_mov_b32_e32 v16, 0x8000
	s_and_saveexec_b32 s25, s12
	s_cbranch_execz .LBB329_2432
; %bb.2427:                             ;   in Loop: Header=BB329_2079 Depth=1
	v_bfe_u32 v23, v13, 16, 7
	v_mov_b32_e32 v16, 0x7c01
	s_mov_b32 s26, exec_lo
	v_cmpx_ne_u32_e32 0x7f, v23
	s_cbranch_execz .LBB329_2431
; %bb.2428:                             ;   in Loop: Header=BB329_2079 Depth=1
	v_and_b32_e32 v16, 7, v2
	v_lshrrev_b32_e32 v22, 3, v23
	s_mov_b32 s27, exec_lo
	v_cmpx_gt_u32_e32 8, v23
; %bb.2429:                             ;   in Loop: Header=BB329_2079 Depth=1
	v_ffbh_u32_e32 v16, v16
	v_min_u32_e32 v16, 32, v16
	v_subrev_nc_u32_e32 v22, 28, v16
	v_lshlrev_b64 v[26:27], v22, v[2:3]
	v_sub_nc_u32_e32 v22, 29, v16
	v_and_b32_e32 v16, 7, v26
; %bb.2430:                             ;   in Loop: Header=BB329_2079 Depth=1
	s_or_b32 exec_lo, exec_lo, s27
	v_lshlrev_b32_e32 v2, 8, v2
	v_lshl_add_u32 v22, v22, 10, 0x2000
	v_lshlrev_b32_e32 v16, 7, v16
	v_and_b32_e32 v2, 0x8000, v2
	v_and_b32_e32 v22, 0xfc00, v22
	v_or3_b32 v16, v2, v22, v16
.LBB329_2431:                           ;   in Loop: Header=BB329_2079 Depth=1
	s_or_b32 exec_lo, exec_lo, s26
.LBB329_2432:                           ;   in Loop: Header=BB329_2079 Depth=1
	s_or_b32 exec_lo, exec_lo, s25
.LBB329_2433:                           ;   in Loop: Header=BB329_2079 Depth=1
	s_or_b32 exec_lo, exec_lo, s21
	s_mov_b32 s21, exec_lo
	v_cmpx_lt_u32_e32 0xffffff, v13
	s_cbranch_execz .LBB329_2441
; %bb.2434:                             ;   in Loop: Header=BB329_2079 Depth=1
	v_lshrrev_b32_e32 v2, 24, v13
	v_bfrev_b32_e32 v15, 1
	s_mov_b32 s25, exec_lo
	v_cmpx_ne_u32_e32 0x80, v2
	s_cbranch_execz .LBB329_2440
; %bb.2435:                             ;   in Loop: Header=BB329_2079 Depth=1
	v_and_b32_e32 v23, 0x7f, v2
	v_mov_b32_e32 v15, 0x7c010000
	s_mov_b32 s26, exec_lo
	v_cmpx_ne_u32_e32 0x7f, v23
	s_cbranch_execz .LBB329_2439
; %bb.2436:                             ;   in Loop: Header=BB329_2079 Depth=1
	v_and_b32_e32 v15, 7, v2
	v_lshrrev_b32_e32 v22, 3, v23
	s_mov_b32 s27, exec_lo
	v_cmpx_gt_u32_e32 8, v23
; %bb.2437:                             ;   in Loop: Header=BB329_2079 Depth=1
	v_ffbh_u32_e32 v15, v15
	v_min_u32_e32 v15, 32, v15
	v_subrev_nc_u32_e32 v22, 28, v15
	v_lshlrev_b64 v[26:27], v22, v[2:3]
	v_sub_nc_u32_e32 v22, 29, v15
	v_and_b32_e32 v15, 7, v26
; %bb.2438:                             ;   in Loop: Header=BB329_2079 Depth=1
	s_or_b32 exec_lo, exec_lo, s27
	v_lshlrev_b32_e32 v2, 8, v2
	v_lshl_add_u32 v22, v22, 10, 0x2000
	v_lshlrev_b32_e32 v15, 23, v15
	v_and_or_b32 v2, 0x8000, v2, v22
	v_lshl_or_b32 v15, v2, 16, v15
.LBB329_2439:                           ;   in Loop: Header=BB329_2079 Depth=1
	s_or_b32 exec_lo, exec_lo, s26
.LBB329_2440:                           ;   in Loop: Header=BB329_2079 Depth=1
	s_or_b32 exec_lo, exec_lo, s25
.LBB329_2441:                           ;   in Loop: Header=BB329_2079 Depth=1
	s_or_b32 exec_lo, exec_lo, s21
	v_mov_b32_e32 v2, v14
	v_cmp_ne_u16_sdwa s12, v14, v3 src0_sel:BYTE_0 src1_sel:DWORD
	v_mov_b32_e32 v22, 0
	v_mov_b32_e32 v23, 0
	s_and_saveexec_b32 s21, s12
	s_cbranch_execz .LBB329_2449
; %bb.2442:                             ;   in Loop: Header=BB329_2079 Depth=1
	v_cmp_ne_u16_sdwa s12, v14, v96 src0_sel:BYTE_0 src1_sel:DWORD
	v_mov_b32_e32 v23, 0x8000
	s_and_saveexec_b32 s25, s12
	s_cbranch_execz .LBB329_2448
; %bb.2443:                             ;   in Loop: Header=BB329_2079 Depth=1
	v_and_b32_e32 v27, 0x7f, v14
	v_mov_b32_e32 v23, 0x7c01
	s_mov_b32 s26, exec_lo
	v_cmpx_ne_u32_e32 0x7f, v27
	s_cbranch_execz .LBB329_2447
; %bb.2444:                             ;   in Loop: Header=BB329_2079 Depth=1
	v_and_b32_e32 v23, 7, v14
	v_lshrrev_b32_e32 v26, 3, v27
	s_mov_b32 s27, exec_lo
	v_cmpx_gt_u32_e32 8, v27
; %bb.2445:                             ;   in Loop: Header=BB329_2079 Depth=1
	v_ffbh_u32_e32 v23, v23
	v_min_u32_e32 v23, 32, v23
	v_subrev_nc_u32_e32 v26, 28, v23
	v_lshlrev_b64 v[34:35], v26, v[2:3]
	v_sub_nc_u32_e32 v26, 29, v23
	v_and_b32_e32 v23, 7, v34
; %bb.2446:                             ;   in Loop: Header=BB329_2079 Depth=1
	s_or_b32 exec_lo, exec_lo, s27
	v_lshlrev_b32_e32 v27, 8, v14
	v_lshl_add_u32 v26, v26, 10, 0x2000
	v_lshlrev_b32_e32 v23, 7, v23
	v_and_b32_e32 v27, 0x8000, v27
	v_and_b32_e32 v26, 0xfc00, v26
	v_or3_b32 v23, v27, v26, v23
.LBB329_2447:                           ;   in Loop: Header=BB329_2079 Depth=1
	s_or_b32 exec_lo, exec_lo, s26
.LBB329_2448:                           ;   in Loop: Header=BB329_2079 Depth=1
	s_or_b32 exec_lo, exec_lo, s25
.LBB329_2449:                           ;   in Loop: Header=BB329_2079 Depth=1
	s_or_b32 exec_lo, exec_lo, s21
	v_lshrrev_b16 v2, 8, v2
	v_mov_b32_e32 v26, 0
	s_mov_b32 s21, exec_lo
	v_cmpx_ne_u16_e32 0, v2
	s_cbranch_execz .LBB329_2457
; %bb.2450:                             ;   in Loop: Header=BB329_2079 Depth=1
	v_bfrev_b32_e32 v26, 1
	s_mov_b32 s25, exec_lo
	v_cmpx_ne_u16_e32 0x80, v2
	s_cbranch_execz .LBB329_2456
; %bb.2451:                             ;   in Loop: Header=BB329_2079 Depth=1
	v_and_b32_sdwa v34, v2, v97 dst_sel:DWORD dst_unused:UNUSED_PAD src0_sel:WORD_0 src1_sel:DWORD
	v_mov_b32_e32 v26, 0x7c010000
	s_mov_b32 s26, exec_lo
	v_cmpx_ne_u32_e32 0x7f, v34
	s_cbranch_execz .LBB329_2455
; %bb.2452:                             ;   in Loop: Header=BB329_2079 Depth=1
	v_and_b32_sdwa v26, v2, v64 dst_sel:DWORD dst_unused:UNUSED_PAD src0_sel:WORD_0 src1_sel:DWORD
	v_lshrrev_b32_e32 v27, 3, v34
	s_mov_b32 s27, exec_lo
	v_cmpx_gt_u32_e32 8, v34
; %bb.2453:                             ;   in Loop: Header=BB329_2079 Depth=1
	v_ffbh_u32_e32 v26, v26
	v_min_u32_e32 v34, 32, v26
	v_subrev_nc_u32_e32 v26, 28, v34
	v_lshlrev_b64 v[26:27], v26, v[2:3]
	v_sub_nc_u32_e32 v27, 29, v34
	v_and_b32_e32 v26, 7, v26
; %bb.2454:                             ;   in Loop: Header=BB329_2079 Depth=1
	s_or_b32 exec_lo, exec_lo, s27
	v_lshlrev_b32_sdwa v2, v61, v2 dst_sel:DWORD dst_unused:UNUSED_PAD src0_sel:DWORD src1_sel:WORD_0
	v_lshl_add_u32 v27, v27, 10, 0x2000
	v_lshlrev_b32_e32 v26, 23, v26
	v_and_or_b32 v2, 0x8000, v2, v27
	v_lshl_or_b32 v26, v2, 16, v26
.LBB329_2455:                           ;   in Loop: Header=BB329_2079 Depth=1
	s_or_b32 exec_lo, exec_lo, s26
.LBB329_2456:                           ;   in Loop: Header=BB329_2079 Depth=1
	s_or_b32 exec_lo, exec_lo, s25
.LBB329_2457:                           ;   in Loop: Header=BB329_2079 Depth=1
	s_or_b32 exec_lo, exec_lo, s21
	v_lshrrev_b32_e32 v2, 16, v14
	v_cmp_ne_u16_sdwa s12, v2, v3 src0_sel:BYTE_0 src1_sel:DWORD
	s_and_saveexec_b32 s21, s12
	s_cbranch_execz .LBB329_2465
; %bb.2458:                             ;   in Loop: Header=BB329_2079 Depth=1
	v_cmp_ne_u16_sdwa s12, v2, v96 src0_sel:BYTE_0 src1_sel:DWORD
	v_mov_b32_e32 v22, 0x8000
	s_and_saveexec_b32 s25, s12
	s_cbranch_execz .LBB329_2464
; %bb.2459:                             ;   in Loop: Header=BB329_2079 Depth=1
	v_bfe_u32 v34, v14, 16, 7
	v_mov_b32_e32 v22, 0x7c01
	s_mov_b32 s26, exec_lo
	v_cmpx_ne_u32_e32 0x7f, v34
	s_cbranch_execz .LBB329_2463
; %bb.2460:                             ;   in Loop: Header=BB329_2079 Depth=1
	v_and_b32_e32 v22, 7, v2
	v_lshrrev_b32_e32 v27, 3, v34
	s_mov_b32 s27, exec_lo
	v_cmpx_gt_u32_e32 8, v34
; %bb.2461:                             ;   in Loop: Header=BB329_2079 Depth=1
	v_ffbh_u32_e32 v22, v22
	v_min_u32_e32 v22, 32, v22
	v_subrev_nc_u32_e32 v27, 28, v22
	v_lshlrev_b64 v[34:35], v27, v[2:3]
	v_sub_nc_u32_e32 v27, 29, v22
	v_and_b32_e32 v22, 7, v34
; %bb.2462:                             ;   in Loop: Header=BB329_2079 Depth=1
	s_or_b32 exec_lo, exec_lo, s27
	v_lshlrev_b32_e32 v2, 8, v2
	v_lshl_add_u32 v27, v27, 10, 0x2000
	v_lshlrev_b32_e32 v22, 7, v22
	v_and_b32_e32 v2, 0x8000, v2
	v_and_b32_e32 v27, 0xfc00, v27
	v_or3_b32 v22, v2, v27, v22
.LBB329_2463:                           ;   in Loop: Header=BB329_2079 Depth=1
	s_or_b32 exec_lo, exec_lo, s26
.LBB329_2464:                           ;   in Loop: Header=BB329_2079 Depth=1
	s_or_b32 exec_lo, exec_lo, s25
.LBB329_2465:                           ;   in Loop: Header=BB329_2079 Depth=1
	s_or_b32 exec_lo, exec_lo, s21
	v_cmp_lt_u64_e64 s12, s[22:23], v[13:14]
	v_mov_b32_e32 v13, 0
	s_and_saveexec_b32 s21, s12
	s_cbranch_execz .LBB329_2473
; %bb.2466:                             ;   in Loop: Header=BB329_2079 Depth=1
	v_lshrrev_b32_e32 v2, 24, v14
	v_bfrev_b32_e32 v13, 1
	s_mov_b32 s25, exec_lo
	v_cmpx_ne_u32_e32 0x80, v2
	s_cbranch_execz .LBB329_2472
; %bb.2467:                             ;   in Loop: Header=BB329_2079 Depth=1
	v_and_b32_e32 v27, 0x7f, v2
	v_mov_b32_e32 v13, 0x7c010000
	s_mov_b32 s26, exec_lo
	v_cmpx_ne_u32_e32 0x7f, v27
	s_cbranch_execz .LBB329_2471
; %bb.2468:                             ;   in Loop: Header=BB329_2079 Depth=1
	v_and_b32_e32 v13, 7, v2
	v_lshrrev_b32_e32 v14, 3, v27
	s_mov_b32 s27, exec_lo
	v_cmpx_gt_u32_e32 8, v27
; %bb.2469:                             ;   in Loop: Header=BB329_2079 Depth=1
	v_ffbh_u32_e32 v13, v13
	v_min_u32_e32 v27, 32, v13
	v_subrev_nc_u32_e32 v13, 28, v27
	v_lshlrev_b64 v[13:14], v13, v[2:3]
	v_sub_nc_u32_e32 v14, 29, v27
	v_and_b32_e32 v13, 7, v13
; %bb.2470:                             ;   in Loop: Header=BB329_2079 Depth=1
	s_or_b32 exec_lo, exec_lo, s27
	v_lshlrev_b32_e32 v2, 8, v2
	v_lshl_add_u32 v14, v14, 10, 0x2000
	v_lshlrev_b32_e32 v13, 23, v13
	v_and_or_b32 v2, 0x8000, v2, v14
	v_lshl_or_b32 v13, v2, 16, v13
.LBB329_2471:                           ;   in Loop: Header=BB329_2079 Depth=1
	s_or_b32 exec_lo, exec_lo, s26
.LBB329_2472:                           ;   in Loop: Header=BB329_2079 Depth=1
	s_or_b32 exec_lo, exec_lo, s25
.LBB329_2473:                           ;   in Loop: Header=BB329_2079 Depth=1
	s_or_b32 exec_lo, exec_lo, s21
	v_or_b32_e32 v2, v15, v16
	s_waitcnt vmcnt(0) lgkmcnt(0)
	v_fma_mixlo_f16 v14, v4, v15, 0 op_sel:[0,1,0] op_sel_hi:[0,1,0]
	v_or_b32_e32 v15, v5, v6
	v_or_b32_e32 v16, v26, v23
	;; [unrolled: 1-line block ×3, first 2 shown]
	v_fma_mixlo_f16 v5, v4, v5, 0 op_sel:[0,1,0] op_sel_hi:[0,1,0]
	v_fma_mixlo_f16 v23, v4, v2, 0 op_sel_hi:[0,1,0]
	v_lshlrev_b32_e32 v2, 16, v14
	v_fma_mixlo_f16 v14, v4, v15, 0 op_sel_hi:[0,1,0]
	v_fma_mixlo_f16 v15, v4, v26, 0 op_sel:[0,1,0] op_sel_hi:[0,1,0]
	v_fma_mixlo_f16 v16, v4, v16, 0 op_sel_hi:[0,1,0]
	v_fma_mixlo_f16 v13, v4, v13, 0 op_sel:[0,1,0] op_sel_hi:[0,1,0]
	v_fma_mixlo_f16 v4, v4, v22, 0 op_sel_hi:[0,1,0]
	v_lshlrev_b32_e32 v6, 16, v5
	v_and_b32_e32 v5, 0xffff, v23
	v_and_b32_e32 v27, 0xffff, v14
	v_lshlrev_b32_e32 v22, 16, v15
	v_and_b32_e32 v26, 0xffff, v16
	v_lshlrev_b32_e32 v16, 16, v13
	v_and_b32_e32 v23, 0xffff, v4
	v_or_b32_e32 v4, v2, v5
	v_or_b32_e32 v15, v6, v27
	;; [unrolled: 1-line block ×4, first 2 shown]
	s_and_saveexec_b32 s12, s6
	s_cbranch_execz .LBB329_2475
; %bb.2474:                             ;   in Loop: Header=BB329_2079 Depth=1
	v_cndmask_b32_e32 v4, 0, v27, vcc_lo
	v_cndmask_b32_e64 v6, 0, v6, s5
	v_cndmask_b32_e64 v5, 0, v5, s4
	;; [unrolled: 1-line block ×7, first 2 shown]
	v_or_b32_e32 v15, v4, v6
	v_or_b32_e32 v4, v5, v2
	;; [unrolled: 1-line block ×4, first 2 shown]
.LBB329_2475:                           ;   in Loop: Header=BB329_2079 Depth=1
	s_or_b32 exec_lo, exec_lo, s12
	;;#ASMSTART
	v_pk_mul_f16 v2, v103, v15;

	;;#ASMEND
	;;#ASMSTART
	v_pk_mul_f16 v4, v102, v4;

	;;#ASMEND
	;; [unrolled: 4-line block ×4, first 2 shown]
	;;#ASMSTART
	v_pk_add_f16 v2, v2, v4;

	;;#ASMEND
	;;#ASMSTART
	v_pk_add_f16 v2, v2, v5;

	;;#ASMEND
	;; [unrolled: 4-line block ×3, first 2 shown]
	v_and_b32_e32 v4, 0xffff, v2
	v_lshrrev_b32_e32 v2, 16, v2
	;;#ASMSTART
	v_cvt_f32_f16 v40, v4;
	;;#ASMEND
	;;#ASMSTART
	v_cvt_f32_f16 v118, v2;
	;;#ASMEND
	flat_load_dwordx2 v[13:14], v[11:12] offset:1536
	s_clause 0x1
	buffer_load_dword v4, off, s[0:3], s32 offset:192
	buffer_load_dword v5, off, s[0:3], s32 offset:196
	v_mov_b32_e32 v6, 0
	s_waitcnt vmcnt(2) lgkmcnt(0)
	v_cmp_ne_u16_sdwa s12, v13, v3 src0_sel:BYTE_0 src1_sel:DWORD
	s_waitcnt vmcnt(0)
	flat_load_dword v4, v[4:5]
	v_mov_b32_e32 v5, 0
	s_and_saveexec_b32 s21, s12
	s_cbranch_execz .LBB329_2483
; %bb.2476:                             ;   in Loop: Header=BB329_2079 Depth=1
	v_cmp_ne_u16_sdwa s12, v13, v96 src0_sel:BYTE_0 src1_sel:DWORD
	v_mov_b32_e32 v6, 0x8000
	s_and_saveexec_b32 s25, s12
	s_cbranch_execz .LBB329_2482
; %bb.2477:                             ;   in Loop: Header=BB329_2079 Depth=1
	v_and_b32_e32 v15, 0x7f, v13
	v_mov_b32_e32 v6, 0x7c01
	s_mov_b32 s26, exec_lo
	v_cmpx_ne_u32_e32 0x7f, v15
	s_cbranch_execz .LBB329_2481
; %bb.2478:                             ;   in Loop: Header=BB329_2079 Depth=1
	v_and_b32_e32 v2, 7, v13
	v_lshrrev_b32_e32 v6, 3, v15
	s_mov_b32 s27, exec_lo
	v_cmpx_gt_u32_e32 8, v15
; %bb.2479:                             ;   in Loop: Header=BB329_2079 Depth=1
	v_ffbh_u32_e32 v2, v2
	v_min_u32_e32 v2, 32, v2
	v_subrev_nc_u32_e32 v6, 28, v2
	v_lshlrev_b64 v[15:16], v6, v[13:14]
	v_sub_nc_u32_e32 v6, 29, v2
	v_and_b32_e32 v2, 7, v15
; %bb.2480:                             ;   in Loop: Header=BB329_2079 Depth=1
	s_or_b32 exec_lo, exec_lo, s27
	v_lshlrev_b32_e32 v15, 8, v13
	v_lshl_add_u32 v6, v6, 10, 0x2000
	v_lshlrev_b32_e32 v2, 7, v2
	v_and_b32_e32 v15, 0x8000, v15
	v_and_b32_e32 v6, 0xfc00, v6
	v_or3_b32 v6, v15, v6, v2
.LBB329_2481:                           ;   in Loop: Header=BB329_2079 Depth=1
	s_or_b32 exec_lo, exec_lo, s26
.LBB329_2482:                           ;   in Loop: Header=BB329_2079 Depth=1
	s_or_b32 exec_lo, exec_lo, s25
.LBB329_2483:                           ;   in Loop: Header=BB329_2079 Depth=1
	s_or_b32 exec_lo, exec_lo, s21
	v_lshrrev_b16 v2, 8, v13
	s_mov_b32 s21, exec_lo
	v_cmpx_ne_u16_e32 0, v2
	s_cbranch_execz .LBB329_2491
; %bb.2484:                             ;   in Loop: Header=BB329_2079 Depth=1
	v_bfrev_b32_e32 v5, 1
	s_mov_b32 s25, exec_lo
	v_cmpx_ne_u16_e32 0x80, v2
	s_cbranch_execz .LBB329_2490
; %bb.2485:                             ;   in Loop: Header=BB329_2079 Depth=1
	v_and_b32_sdwa v16, v2, v97 dst_sel:DWORD dst_unused:UNUSED_PAD src0_sel:WORD_0 src1_sel:DWORD
	v_mov_b32_e32 v5, 0x7c010000
	s_mov_b32 s26, exec_lo
	v_cmpx_ne_u32_e32 0x7f, v16
	s_cbranch_execz .LBB329_2489
; %bb.2486:                             ;   in Loop: Header=BB329_2079 Depth=1
	v_and_b32_sdwa v5, v2, v64 dst_sel:DWORD dst_unused:UNUSED_PAD src0_sel:WORD_0 src1_sel:DWORD
	v_lshrrev_b32_e32 v15, 3, v16
	s_mov_b32 s27, exec_lo
	v_cmpx_gt_u32_e32 8, v16
; %bb.2487:                             ;   in Loop: Header=BB329_2079 Depth=1
	v_ffbh_u32_e32 v5, v5
	v_min_u32_e32 v5, 32, v5
	v_subrev_nc_u32_e32 v15, 28, v5
	v_lshlrev_b64 v[22:23], v15, v[2:3]
	v_sub_nc_u32_e32 v15, 29, v5
	v_and_b32_e32 v5, 7, v22
; %bb.2488:                             ;   in Loop: Header=BB329_2079 Depth=1
	s_or_b32 exec_lo, exec_lo, s27
	v_lshlrev_b32_sdwa v2, v61, v2 dst_sel:DWORD dst_unused:UNUSED_PAD src0_sel:DWORD src1_sel:WORD_0
	v_lshl_add_u32 v15, v15, 10, 0x2000
	v_lshlrev_b32_e32 v5, 23, v5
	v_and_or_b32 v2, 0x8000, v2, v15
	v_lshl_or_b32 v5, v2, 16, v5
.LBB329_2489:                           ;   in Loop: Header=BB329_2079 Depth=1
	s_or_b32 exec_lo, exec_lo, s26
.LBB329_2490:                           ;   in Loop: Header=BB329_2079 Depth=1
	s_or_b32 exec_lo, exec_lo, s25
.LBB329_2491:                           ;   in Loop: Header=BB329_2079 Depth=1
	s_or_b32 exec_lo, exec_lo, s21
	v_lshrrev_b32_e32 v2, 16, v13
	v_mov_b32_e32 v15, 0
	v_mov_b32_e32 v16, 0
	v_cmp_ne_u16_sdwa s12, v2, v3 src0_sel:BYTE_0 src1_sel:DWORD
	s_and_saveexec_b32 s21, s12
	s_cbranch_execz .LBB329_2499
; %bb.2492:                             ;   in Loop: Header=BB329_2079 Depth=1
	v_cmp_ne_u16_sdwa s12, v2, v96 src0_sel:BYTE_0 src1_sel:DWORD
	v_mov_b32_e32 v16, 0x8000
	s_and_saveexec_b32 s25, s12
	s_cbranch_execz .LBB329_2498
; %bb.2493:                             ;   in Loop: Header=BB329_2079 Depth=1
	v_bfe_u32 v23, v13, 16, 7
	v_mov_b32_e32 v16, 0x7c01
	s_mov_b32 s26, exec_lo
	v_cmpx_ne_u32_e32 0x7f, v23
	s_cbranch_execz .LBB329_2497
; %bb.2494:                             ;   in Loop: Header=BB329_2079 Depth=1
	v_and_b32_e32 v16, 7, v2
	v_lshrrev_b32_e32 v22, 3, v23
	s_mov_b32 s27, exec_lo
	v_cmpx_gt_u32_e32 8, v23
; %bb.2495:                             ;   in Loop: Header=BB329_2079 Depth=1
	v_ffbh_u32_e32 v16, v16
	v_min_u32_e32 v16, 32, v16
	v_subrev_nc_u32_e32 v22, 28, v16
	v_lshlrev_b64 v[26:27], v22, v[2:3]
	v_sub_nc_u32_e32 v22, 29, v16
	v_and_b32_e32 v16, 7, v26
; %bb.2496:                             ;   in Loop: Header=BB329_2079 Depth=1
	s_or_b32 exec_lo, exec_lo, s27
	v_lshlrev_b32_e32 v2, 8, v2
	v_lshl_add_u32 v22, v22, 10, 0x2000
	v_lshlrev_b32_e32 v16, 7, v16
	v_and_b32_e32 v2, 0x8000, v2
	v_and_b32_e32 v22, 0xfc00, v22
	v_or3_b32 v16, v2, v22, v16
.LBB329_2497:                           ;   in Loop: Header=BB329_2079 Depth=1
	s_or_b32 exec_lo, exec_lo, s26
.LBB329_2498:                           ;   in Loop: Header=BB329_2079 Depth=1
	s_or_b32 exec_lo, exec_lo, s25
.LBB329_2499:                           ;   in Loop: Header=BB329_2079 Depth=1
	s_or_b32 exec_lo, exec_lo, s21
	s_mov_b32 s21, exec_lo
	v_cmpx_lt_u32_e32 0xffffff, v13
	s_cbranch_execz .LBB329_2507
; %bb.2500:                             ;   in Loop: Header=BB329_2079 Depth=1
	v_lshrrev_b32_e32 v2, 24, v13
	v_bfrev_b32_e32 v15, 1
	s_mov_b32 s25, exec_lo
	v_cmpx_ne_u32_e32 0x80, v2
	s_cbranch_execz .LBB329_2506
; %bb.2501:                             ;   in Loop: Header=BB329_2079 Depth=1
	v_and_b32_e32 v23, 0x7f, v2
	v_mov_b32_e32 v15, 0x7c010000
	s_mov_b32 s26, exec_lo
	v_cmpx_ne_u32_e32 0x7f, v23
	s_cbranch_execz .LBB329_2505
; %bb.2502:                             ;   in Loop: Header=BB329_2079 Depth=1
	v_and_b32_e32 v15, 7, v2
	v_lshrrev_b32_e32 v22, 3, v23
	s_mov_b32 s27, exec_lo
	v_cmpx_gt_u32_e32 8, v23
; %bb.2503:                             ;   in Loop: Header=BB329_2079 Depth=1
	v_ffbh_u32_e32 v15, v15
	v_min_u32_e32 v15, 32, v15
	v_subrev_nc_u32_e32 v22, 28, v15
	v_lshlrev_b64 v[26:27], v22, v[2:3]
	v_sub_nc_u32_e32 v22, 29, v15
	v_and_b32_e32 v15, 7, v26
; %bb.2504:                             ;   in Loop: Header=BB329_2079 Depth=1
	s_or_b32 exec_lo, exec_lo, s27
	v_lshlrev_b32_e32 v2, 8, v2
	v_lshl_add_u32 v22, v22, 10, 0x2000
	v_lshlrev_b32_e32 v15, 23, v15
	v_and_or_b32 v2, 0x8000, v2, v22
	v_lshl_or_b32 v15, v2, 16, v15
.LBB329_2505:                           ;   in Loop: Header=BB329_2079 Depth=1
	s_or_b32 exec_lo, exec_lo, s26
.LBB329_2506:                           ;   in Loop: Header=BB329_2079 Depth=1
	s_or_b32 exec_lo, exec_lo, s25
.LBB329_2507:                           ;   in Loop: Header=BB329_2079 Depth=1
	s_or_b32 exec_lo, exec_lo, s21
	v_mov_b32_e32 v2, v14
	v_cmp_ne_u16_sdwa s12, v14, v3 src0_sel:BYTE_0 src1_sel:DWORD
	v_mov_b32_e32 v22, 0
	v_mov_b32_e32 v23, 0
	s_and_saveexec_b32 s21, s12
	s_cbranch_execz .LBB329_2515
; %bb.2508:                             ;   in Loop: Header=BB329_2079 Depth=1
	v_cmp_ne_u16_sdwa s12, v14, v96 src0_sel:BYTE_0 src1_sel:DWORD
	v_mov_b32_e32 v23, 0x8000
	s_and_saveexec_b32 s25, s12
	s_cbranch_execz .LBB329_2514
; %bb.2509:                             ;   in Loop: Header=BB329_2079 Depth=1
	v_and_b32_e32 v27, 0x7f, v14
	v_mov_b32_e32 v23, 0x7c01
	s_mov_b32 s26, exec_lo
	v_cmpx_ne_u32_e32 0x7f, v27
	s_cbranch_execz .LBB329_2513
; %bb.2510:                             ;   in Loop: Header=BB329_2079 Depth=1
	v_and_b32_e32 v23, 7, v14
	v_lshrrev_b32_e32 v26, 3, v27
	s_mov_b32 s27, exec_lo
	v_cmpx_gt_u32_e32 8, v27
; %bb.2511:                             ;   in Loop: Header=BB329_2079 Depth=1
	v_ffbh_u32_e32 v23, v23
	v_min_u32_e32 v23, 32, v23
	v_subrev_nc_u32_e32 v26, 28, v23
	v_lshlrev_b64 v[34:35], v26, v[2:3]
	v_sub_nc_u32_e32 v26, 29, v23
	v_and_b32_e32 v23, 7, v34
; %bb.2512:                             ;   in Loop: Header=BB329_2079 Depth=1
	s_or_b32 exec_lo, exec_lo, s27
	v_lshlrev_b32_e32 v27, 8, v14
	v_lshl_add_u32 v26, v26, 10, 0x2000
	v_lshlrev_b32_e32 v23, 7, v23
	v_and_b32_e32 v27, 0x8000, v27
	v_and_b32_e32 v26, 0xfc00, v26
	v_or3_b32 v23, v27, v26, v23
.LBB329_2513:                           ;   in Loop: Header=BB329_2079 Depth=1
	s_or_b32 exec_lo, exec_lo, s26
.LBB329_2514:                           ;   in Loop: Header=BB329_2079 Depth=1
	s_or_b32 exec_lo, exec_lo, s25
.LBB329_2515:                           ;   in Loop: Header=BB329_2079 Depth=1
	s_or_b32 exec_lo, exec_lo, s21
	v_lshrrev_b16 v2, 8, v2
	v_mov_b32_e32 v26, 0
	s_mov_b32 s21, exec_lo
	v_cmpx_ne_u16_e32 0, v2
	s_cbranch_execz .LBB329_2523
; %bb.2516:                             ;   in Loop: Header=BB329_2079 Depth=1
	v_bfrev_b32_e32 v26, 1
	s_mov_b32 s25, exec_lo
	v_cmpx_ne_u16_e32 0x80, v2
	s_cbranch_execz .LBB329_2522
; %bb.2517:                             ;   in Loop: Header=BB329_2079 Depth=1
	v_and_b32_sdwa v34, v2, v97 dst_sel:DWORD dst_unused:UNUSED_PAD src0_sel:WORD_0 src1_sel:DWORD
	v_mov_b32_e32 v26, 0x7c010000
	s_mov_b32 s26, exec_lo
	v_cmpx_ne_u32_e32 0x7f, v34
	s_cbranch_execz .LBB329_2521
; %bb.2518:                             ;   in Loop: Header=BB329_2079 Depth=1
	v_and_b32_sdwa v26, v2, v64 dst_sel:DWORD dst_unused:UNUSED_PAD src0_sel:WORD_0 src1_sel:DWORD
	v_lshrrev_b32_e32 v27, 3, v34
	s_mov_b32 s27, exec_lo
	v_cmpx_gt_u32_e32 8, v34
; %bb.2519:                             ;   in Loop: Header=BB329_2079 Depth=1
	v_ffbh_u32_e32 v26, v26
	v_min_u32_e32 v34, 32, v26
	v_subrev_nc_u32_e32 v26, 28, v34
	v_lshlrev_b64 v[26:27], v26, v[2:3]
	v_sub_nc_u32_e32 v27, 29, v34
	v_and_b32_e32 v26, 7, v26
; %bb.2520:                             ;   in Loop: Header=BB329_2079 Depth=1
	s_or_b32 exec_lo, exec_lo, s27
	v_lshlrev_b32_sdwa v2, v61, v2 dst_sel:DWORD dst_unused:UNUSED_PAD src0_sel:DWORD src1_sel:WORD_0
	v_lshl_add_u32 v27, v27, 10, 0x2000
	v_lshlrev_b32_e32 v26, 23, v26
	v_and_or_b32 v2, 0x8000, v2, v27
	v_lshl_or_b32 v26, v2, 16, v26
.LBB329_2521:                           ;   in Loop: Header=BB329_2079 Depth=1
	s_or_b32 exec_lo, exec_lo, s26
.LBB329_2522:                           ;   in Loop: Header=BB329_2079 Depth=1
	s_or_b32 exec_lo, exec_lo, s25
.LBB329_2523:                           ;   in Loop: Header=BB329_2079 Depth=1
	s_or_b32 exec_lo, exec_lo, s21
	v_lshrrev_b32_e32 v2, 16, v14
	v_cmp_ne_u16_sdwa s12, v2, v3 src0_sel:BYTE_0 src1_sel:DWORD
	s_and_saveexec_b32 s21, s12
	s_cbranch_execz .LBB329_2531
; %bb.2524:                             ;   in Loop: Header=BB329_2079 Depth=1
	v_cmp_ne_u16_sdwa s12, v2, v96 src0_sel:BYTE_0 src1_sel:DWORD
	v_mov_b32_e32 v22, 0x8000
	s_and_saveexec_b32 s25, s12
	s_cbranch_execz .LBB329_2530
; %bb.2525:                             ;   in Loop: Header=BB329_2079 Depth=1
	v_bfe_u32 v34, v14, 16, 7
	v_mov_b32_e32 v22, 0x7c01
	s_mov_b32 s26, exec_lo
	v_cmpx_ne_u32_e32 0x7f, v34
	s_cbranch_execz .LBB329_2529
; %bb.2526:                             ;   in Loop: Header=BB329_2079 Depth=1
	v_and_b32_e32 v22, 7, v2
	v_lshrrev_b32_e32 v27, 3, v34
	s_mov_b32 s27, exec_lo
	v_cmpx_gt_u32_e32 8, v34
; %bb.2527:                             ;   in Loop: Header=BB329_2079 Depth=1
	v_ffbh_u32_e32 v22, v22
	v_min_u32_e32 v22, 32, v22
	v_subrev_nc_u32_e32 v27, 28, v22
	v_lshlrev_b64 v[34:35], v27, v[2:3]
	v_sub_nc_u32_e32 v27, 29, v22
	v_and_b32_e32 v22, 7, v34
; %bb.2528:                             ;   in Loop: Header=BB329_2079 Depth=1
	s_or_b32 exec_lo, exec_lo, s27
	v_lshlrev_b32_e32 v2, 8, v2
	v_lshl_add_u32 v27, v27, 10, 0x2000
	v_lshlrev_b32_e32 v22, 7, v22
	v_and_b32_e32 v2, 0x8000, v2
	v_and_b32_e32 v27, 0xfc00, v27
	v_or3_b32 v22, v2, v27, v22
.LBB329_2529:                           ;   in Loop: Header=BB329_2079 Depth=1
	s_or_b32 exec_lo, exec_lo, s26
.LBB329_2530:                           ;   in Loop: Header=BB329_2079 Depth=1
	s_or_b32 exec_lo, exec_lo, s25
.LBB329_2531:                           ;   in Loop: Header=BB329_2079 Depth=1
	s_or_b32 exec_lo, exec_lo, s21
	v_cmp_lt_u64_e64 s12, s[22:23], v[13:14]
	v_mov_b32_e32 v13, 0
	s_and_saveexec_b32 s21, s12
	s_cbranch_execz .LBB329_2539
; %bb.2532:                             ;   in Loop: Header=BB329_2079 Depth=1
	v_lshrrev_b32_e32 v2, 24, v14
	v_bfrev_b32_e32 v13, 1
	s_mov_b32 s25, exec_lo
	v_cmpx_ne_u32_e32 0x80, v2
	s_cbranch_execz .LBB329_2538
; %bb.2533:                             ;   in Loop: Header=BB329_2079 Depth=1
	v_and_b32_e32 v27, 0x7f, v2
	v_mov_b32_e32 v13, 0x7c010000
	s_mov_b32 s26, exec_lo
	v_cmpx_ne_u32_e32 0x7f, v27
	s_cbranch_execz .LBB329_2537
; %bb.2534:                             ;   in Loop: Header=BB329_2079 Depth=1
	v_and_b32_e32 v13, 7, v2
	v_lshrrev_b32_e32 v14, 3, v27
	s_mov_b32 s27, exec_lo
	v_cmpx_gt_u32_e32 8, v27
; %bb.2535:                             ;   in Loop: Header=BB329_2079 Depth=1
	v_ffbh_u32_e32 v13, v13
	v_min_u32_e32 v27, 32, v13
	v_subrev_nc_u32_e32 v13, 28, v27
	v_lshlrev_b64 v[13:14], v13, v[2:3]
	v_sub_nc_u32_e32 v14, 29, v27
	v_and_b32_e32 v13, 7, v13
; %bb.2536:                             ;   in Loop: Header=BB329_2079 Depth=1
	s_or_b32 exec_lo, exec_lo, s27
	v_lshlrev_b32_e32 v2, 8, v2
	v_lshl_add_u32 v14, v14, 10, 0x2000
	v_lshlrev_b32_e32 v13, 23, v13
	v_and_or_b32 v2, 0x8000, v2, v14
	v_lshl_or_b32 v13, v2, 16, v13
.LBB329_2537:                           ;   in Loop: Header=BB329_2079 Depth=1
	s_or_b32 exec_lo, exec_lo, s26
.LBB329_2538:                           ;   in Loop: Header=BB329_2079 Depth=1
	s_or_b32 exec_lo, exec_lo, s25
.LBB329_2539:                           ;   in Loop: Header=BB329_2079 Depth=1
	s_or_b32 exec_lo, exec_lo, s21
	v_or_b32_e32 v2, v15, v16
	s_waitcnt vmcnt(0) lgkmcnt(0)
	v_fma_mixlo_f16 v14, v4, v15, 0 op_sel:[0,1,0] op_sel_hi:[0,1,0]
	v_or_b32_e32 v15, v5, v6
	v_or_b32_e32 v16, v26, v23
	;; [unrolled: 1-line block ×3, first 2 shown]
	v_fma_mixlo_f16 v5, v4, v5, 0 op_sel:[0,1,0] op_sel_hi:[0,1,0]
	v_fma_mixlo_f16 v23, v4, v2, 0 op_sel_hi:[0,1,0]
	v_lshlrev_b32_e32 v2, 16, v14
	v_fma_mixlo_f16 v14, v4, v15, 0 op_sel_hi:[0,1,0]
	v_fma_mixlo_f16 v15, v4, v26, 0 op_sel:[0,1,0] op_sel_hi:[0,1,0]
	v_fma_mixlo_f16 v16, v4, v16, 0 op_sel_hi:[0,1,0]
	v_fma_mixlo_f16 v13, v4, v13, 0 op_sel:[0,1,0] op_sel_hi:[0,1,0]
	v_fma_mixlo_f16 v4, v4, v22, 0 op_sel_hi:[0,1,0]
	v_lshlrev_b32_e32 v6, 16, v5
	v_and_b32_e32 v5, 0xffff, v23
	v_and_b32_e32 v27, 0xffff, v14
	v_lshlrev_b32_e32 v22, 16, v15
	v_and_b32_e32 v26, 0xffff, v16
	v_lshlrev_b32_e32 v16, 16, v13
	v_and_b32_e32 v23, 0xffff, v4
	v_or_b32_e32 v4, v2, v5
	v_or_b32_e32 v15, v6, v27
	;; [unrolled: 1-line block ×4, first 2 shown]
	s_and_saveexec_b32 s12, s6
	s_cbranch_execz .LBB329_2541
; %bb.2540:                             ;   in Loop: Header=BB329_2079 Depth=1
	v_cndmask_b32_e32 v4, 0, v27, vcc_lo
	v_cndmask_b32_e64 v6, 0, v6, s5
	v_cndmask_b32_e64 v5, 0, v5, s4
	;; [unrolled: 1-line block ×7, first 2 shown]
	v_or_b32_e32 v15, v4, v6
	v_or_b32_e32 v4, v5, v2
	;; [unrolled: 1-line block ×4, first 2 shown]
.LBB329_2541:                           ;   in Loop: Header=BB329_2079 Depth=1
	s_or_b32 exec_lo, exec_lo, s12
	;;#ASMSTART
	v_pk_mul_f16 v2, v103, v15;

	;;#ASMEND
	;;#ASMSTART
	v_pk_mul_f16 v4, v102, v4;

	;;#ASMEND
	;; [unrolled: 4-line block ×4, first 2 shown]
	;;#ASMSTART
	v_pk_add_f16 v2, v2, v4;

	;;#ASMEND
	;;#ASMSTART
	v_pk_add_f16 v2, v2, v5;

	;;#ASMEND
	;; [unrolled: 4-line block ×3, first 2 shown]
	v_and_b32_e32 v4, 0xffff, v2
	v_lshrrev_b32_e32 v2, 16, v2
	;;#ASMSTART
	v_cvt_f32_f16 v44, v4;
	;;#ASMEND
	;;#ASMSTART
	v_cvt_f32_f16 v45, v2;
	;;#ASMEND
	flat_load_dwordx2 v[13:14], v[11:12] offset:1792
	s_clause 0x1
	buffer_load_dword v4, off, s[0:3], s32 offset:192
	buffer_load_dword v5, off, s[0:3], s32 offset:196
	v_mov_b32_e32 v6, 0
	s_waitcnt vmcnt(2) lgkmcnt(0)
	v_cmp_ne_u16_sdwa s12, v13, v3 src0_sel:BYTE_0 src1_sel:DWORD
	s_waitcnt vmcnt(0)
	flat_load_dword v4, v[4:5]
	v_mov_b32_e32 v5, 0
	s_and_saveexec_b32 s21, s12
	s_cbranch_execz .LBB329_2549
; %bb.2542:                             ;   in Loop: Header=BB329_2079 Depth=1
	v_cmp_ne_u16_sdwa s12, v13, v96 src0_sel:BYTE_0 src1_sel:DWORD
	v_mov_b32_e32 v6, 0x8000
	s_and_saveexec_b32 s25, s12
	s_cbranch_execz .LBB329_2548
; %bb.2543:                             ;   in Loop: Header=BB329_2079 Depth=1
	v_and_b32_e32 v15, 0x7f, v13
	v_mov_b32_e32 v6, 0x7c01
	s_mov_b32 s26, exec_lo
	v_cmpx_ne_u32_e32 0x7f, v15
	s_cbranch_execz .LBB329_2547
; %bb.2544:                             ;   in Loop: Header=BB329_2079 Depth=1
	v_and_b32_e32 v2, 7, v13
	v_lshrrev_b32_e32 v6, 3, v15
	s_mov_b32 s27, exec_lo
	v_cmpx_gt_u32_e32 8, v15
; %bb.2545:                             ;   in Loop: Header=BB329_2079 Depth=1
	v_ffbh_u32_e32 v2, v2
	v_min_u32_e32 v2, 32, v2
	v_subrev_nc_u32_e32 v6, 28, v2
	v_lshlrev_b64 v[15:16], v6, v[13:14]
	v_sub_nc_u32_e32 v6, 29, v2
	v_and_b32_e32 v2, 7, v15
; %bb.2546:                             ;   in Loop: Header=BB329_2079 Depth=1
	s_or_b32 exec_lo, exec_lo, s27
	v_lshlrev_b32_e32 v15, 8, v13
	v_lshl_add_u32 v6, v6, 10, 0x2000
	v_lshlrev_b32_e32 v2, 7, v2
	v_and_b32_e32 v15, 0x8000, v15
	v_and_b32_e32 v6, 0xfc00, v6
	v_or3_b32 v6, v15, v6, v2
.LBB329_2547:                           ;   in Loop: Header=BB329_2079 Depth=1
	s_or_b32 exec_lo, exec_lo, s26
.LBB329_2548:                           ;   in Loop: Header=BB329_2079 Depth=1
	s_or_b32 exec_lo, exec_lo, s25
.LBB329_2549:                           ;   in Loop: Header=BB329_2079 Depth=1
	s_or_b32 exec_lo, exec_lo, s21
	v_lshrrev_b16 v2, 8, v13
	s_mov_b32 s21, exec_lo
	v_cmpx_ne_u16_e32 0, v2
	s_cbranch_execz .LBB329_2557
; %bb.2550:                             ;   in Loop: Header=BB329_2079 Depth=1
	v_bfrev_b32_e32 v5, 1
	s_mov_b32 s25, exec_lo
	v_cmpx_ne_u16_e32 0x80, v2
	s_cbranch_execz .LBB329_2556
; %bb.2551:                             ;   in Loop: Header=BB329_2079 Depth=1
	v_and_b32_sdwa v16, v2, v97 dst_sel:DWORD dst_unused:UNUSED_PAD src0_sel:WORD_0 src1_sel:DWORD
	v_mov_b32_e32 v5, 0x7c010000
	s_mov_b32 s26, exec_lo
	v_cmpx_ne_u32_e32 0x7f, v16
	s_cbranch_execz .LBB329_2555
; %bb.2552:                             ;   in Loop: Header=BB329_2079 Depth=1
	v_and_b32_sdwa v5, v2, v64 dst_sel:DWORD dst_unused:UNUSED_PAD src0_sel:WORD_0 src1_sel:DWORD
	v_lshrrev_b32_e32 v15, 3, v16
	s_mov_b32 s27, exec_lo
	v_cmpx_gt_u32_e32 8, v16
; %bb.2553:                             ;   in Loop: Header=BB329_2079 Depth=1
	v_ffbh_u32_e32 v5, v5
	v_min_u32_e32 v5, 32, v5
	v_subrev_nc_u32_e32 v15, 28, v5
	v_lshlrev_b64 v[22:23], v15, v[2:3]
	v_sub_nc_u32_e32 v15, 29, v5
	v_and_b32_e32 v5, 7, v22
; %bb.2554:                             ;   in Loop: Header=BB329_2079 Depth=1
	s_or_b32 exec_lo, exec_lo, s27
	v_lshlrev_b32_sdwa v2, v61, v2 dst_sel:DWORD dst_unused:UNUSED_PAD src0_sel:DWORD src1_sel:WORD_0
	v_lshl_add_u32 v15, v15, 10, 0x2000
	v_lshlrev_b32_e32 v5, 23, v5
	v_and_or_b32 v2, 0x8000, v2, v15
	v_lshl_or_b32 v5, v2, 16, v5
.LBB329_2555:                           ;   in Loop: Header=BB329_2079 Depth=1
	s_or_b32 exec_lo, exec_lo, s26
.LBB329_2556:                           ;   in Loop: Header=BB329_2079 Depth=1
	s_or_b32 exec_lo, exec_lo, s25
.LBB329_2557:                           ;   in Loop: Header=BB329_2079 Depth=1
	s_or_b32 exec_lo, exec_lo, s21
	v_lshrrev_b32_e32 v2, 16, v13
	v_mov_b32_e32 v15, 0
	v_mov_b32_e32 v16, 0
	v_cmp_ne_u16_sdwa s12, v2, v3 src0_sel:BYTE_0 src1_sel:DWORD
	s_and_saveexec_b32 s21, s12
	s_cbranch_execz .LBB329_2565
; %bb.2558:                             ;   in Loop: Header=BB329_2079 Depth=1
	v_cmp_ne_u16_sdwa s12, v2, v96 src0_sel:BYTE_0 src1_sel:DWORD
	v_mov_b32_e32 v16, 0x8000
	s_and_saveexec_b32 s25, s12
	s_cbranch_execz .LBB329_2564
; %bb.2559:                             ;   in Loop: Header=BB329_2079 Depth=1
	v_bfe_u32 v23, v13, 16, 7
	v_mov_b32_e32 v16, 0x7c01
	s_mov_b32 s26, exec_lo
	v_cmpx_ne_u32_e32 0x7f, v23
	s_cbranch_execz .LBB329_2563
; %bb.2560:                             ;   in Loop: Header=BB329_2079 Depth=1
	v_and_b32_e32 v16, 7, v2
	v_lshrrev_b32_e32 v22, 3, v23
	s_mov_b32 s27, exec_lo
	v_cmpx_gt_u32_e32 8, v23
; %bb.2561:                             ;   in Loop: Header=BB329_2079 Depth=1
	v_ffbh_u32_e32 v16, v16
	v_min_u32_e32 v16, 32, v16
	v_subrev_nc_u32_e32 v22, 28, v16
	v_lshlrev_b64 v[26:27], v22, v[2:3]
	v_sub_nc_u32_e32 v22, 29, v16
	v_and_b32_e32 v16, 7, v26
; %bb.2562:                             ;   in Loop: Header=BB329_2079 Depth=1
	s_or_b32 exec_lo, exec_lo, s27
	v_lshlrev_b32_e32 v2, 8, v2
	v_lshl_add_u32 v22, v22, 10, 0x2000
	v_lshlrev_b32_e32 v16, 7, v16
	v_and_b32_e32 v2, 0x8000, v2
	v_and_b32_e32 v22, 0xfc00, v22
	v_or3_b32 v16, v2, v22, v16
.LBB329_2563:                           ;   in Loop: Header=BB329_2079 Depth=1
	s_or_b32 exec_lo, exec_lo, s26
.LBB329_2564:                           ;   in Loop: Header=BB329_2079 Depth=1
	s_or_b32 exec_lo, exec_lo, s25
.LBB329_2565:                           ;   in Loop: Header=BB329_2079 Depth=1
	s_or_b32 exec_lo, exec_lo, s21
	s_mov_b32 s21, exec_lo
	v_cmpx_lt_u32_e32 0xffffff, v13
	s_cbranch_execz .LBB329_2573
; %bb.2566:                             ;   in Loop: Header=BB329_2079 Depth=1
	v_lshrrev_b32_e32 v2, 24, v13
	v_bfrev_b32_e32 v15, 1
	s_mov_b32 s25, exec_lo
	v_cmpx_ne_u32_e32 0x80, v2
	s_cbranch_execz .LBB329_2572
; %bb.2567:                             ;   in Loop: Header=BB329_2079 Depth=1
	v_and_b32_e32 v23, 0x7f, v2
	v_mov_b32_e32 v15, 0x7c010000
	s_mov_b32 s26, exec_lo
	v_cmpx_ne_u32_e32 0x7f, v23
	s_cbranch_execz .LBB329_2571
; %bb.2568:                             ;   in Loop: Header=BB329_2079 Depth=1
	v_and_b32_e32 v15, 7, v2
	v_lshrrev_b32_e32 v22, 3, v23
	s_mov_b32 s27, exec_lo
	v_cmpx_gt_u32_e32 8, v23
; %bb.2569:                             ;   in Loop: Header=BB329_2079 Depth=1
	v_ffbh_u32_e32 v15, v15
	v_min_u32_e32 v15, 32, v15
	v_subrev_nc_u32_e32 v22, 28, v15
	v_lshlrev_b64 v[26:27], v22, v[2:3]
	v_sub_nc_u32_e32 v22, 29, v15
	v_and_b32_e32 v15, 7, v26
; %bb.2570:                             ;   in Loop: Header=BB329_2079 Depth=1
	s_or_b32 exec_lo, exec_lo, s27
	v_lshlrev_b32_e32 v2, 8, v2
	v_lshl_add_u32 v22, v22, 10, 0x2000
	v_lshlrev_b32_e32 v15, 23, v15
	v_and_or_b32 v2, 0x8000, v2, v22
	v_lshl_or_b32 v15, v2, 16, v15
.LBB329_2571:                           ;   in Loop: Header=BB329_2079 Depth=1
	s_or_b32 exec_lo, exec_lo, s26
.LBB329_2572:                           ;   in Loop: Header=BB329_2079 Depth=1
	s_or_b32 exec_lo, exec_lo, s25
.LBB329_2573:                           ;   in Loop: Header=BB329_2079 Depth=1
	s_or_b32 exec_lo, exec_lo, s21
	v_mov_b32_e32 v2, v14
	v_cmp_ne_u16_sdwa s12, v14, v3 src0_sel:BYTE_0 src1_sel:DWORD
	v_mov_b32_e32 v22, 0
	v_mov_b32_e32 v23, 0
	s_and_saveexec_b32 s21, s12
	s_cbranch_execz .LBB329_2581
; %bb.2574:                             ;   in Loop: Header=BB329_2079 Depth=1
	v_cmp_ne_u16_sdwa s12, v14, v96 src0_sel:BYTE_0 src1_sel:DWORD
	v_mov_b32_e32 v23, 0x8000
	s_and_saveexec_b32 s25, s12
	s_cbranch_execz .LBB329_2580
; %bb.2575:                             ;   in Loop: Header=BB329_2079 Depth=1
	v_and_b32_e32 v27, 0x7f, v14
	v_mov_b32_e32 v23, 0x7c01
	s_mov_b32 s26, exec_lo
	v_cmpx_ne_u32_e32 0x7f, v27
	s_cbranch_execz .LBB329_2579
; %bb.2576:                             ;   in Loop: Header=BB329_2079 Depth=1
	v_and_b32_e32 v23, 7, v14
	v_lshrrev_b32_e32 v26, 3, v27
	s_mov_b32 s27, exec_lo
	v_cmpx_gt_u32_e32 8, v27
; %bb.2577:                             ;   in Loop: Header=BB329_2079 Depth=1
	v_ffbh_u32_e32 v23, v23
	v_min_u32_e32 v23, 32, v23
	v_subrev_nc_u32_e32 v26, 28, v23
	v_lshlrev_b64 v[34:35], v26, v[2:3]
	v_sub_nc_u32_e32 v26, 29, v23
	v_and_b32_e32 v23, 7, v34
; %bb.2578:                             ;   in Loop: Header=BB329_2079 Depth=1
	s_or_b32 exec_lo, exec_lo, s27
	v_lshlrev_b32_e32 v27, 8, v14
	v_lshl_add_u32 v26, v26, 10, 0x2000
	v_lshlrev_b32_e32 v23, 7, v23
	v_and_b32_e32 v27, 0x8000, v27
	v_and_b32_e32 v26, 0xfc00, v26
	v_or3_b32 v23, v27, v26, v23
.LBB329_2579:                           ;   in Loop: Header=BB329_2079 Depth=1
	s_or_b32 exec_lo, exec_lo, s26
.LBB329_2580:                           ;   in Loop: Header=BB329_2079 Depth=1
	s_or_b32 exec_lo, exec_lo, s25
.LBB329_2581:                           ;   in Loop: Header=BB329_2079 Depth=1
	s_or_b32 exec_lo, exec_lo, s21
	v_lshrrev_b16 v2, 8, v2
	v_mov_b32_e32 v26, 0
	s_mov_b32 s21, exec_lo
	v_cmpx_ne_u16_e32 0, v2
	s_cbranch_execz .LBB329_2589
; %bb.2582:                             ;   in Loop: Header=BB329_2079 Depth=1
	v_bfrev_b32_e32 v26, 1
	s_mov_b32 s25, exec_lo
	v_cmpx_ne_u16_e32 0x80, v2
	s_cbranch_execz .LBB329_2588
; %bb.2583:                             ;   in Loop: Header=BB329_2079 Depth=1
	v_and_b32_sdwa v34, v2, v97 dst_sel:DWORD dst_unused:UNUSED_PAD src0_sel:WORD_0 src1_sel:DWORD
	v_mov_b32_e32 v26, 0x7c010000
	s_mov_b32 s26, exec_lo
	v_cmpx_ne_u32_e32 0x7f, v34
	s_cbranch_execz .LBB329_2587
; %bb.2584:                             ;   in Loop: Header=BB329_2079 Depth=1
	v_and_b32_sdwa v26, v2, v64 dst_sel:DWORD dst_unused:UNUSED_PAD src0_sel:WORD_0 src1_sel:DWORD
	v_lshrrev_b32_e32 v27, 3, v34
	s_mov_b32 s27, exec_lo
	v_cmpx_gt_u32_e32 8, v34
; %bb.2585:                             ;   in Loop: Header=BB329_2079 Depth=1
	v_ffbh_u32_e32 v26, v26
	v_min_u32_e32 v34, 32, v26
	v_subrev_nc_u32_e32 v26, 28, v34
	v_lshlrev_b64 v[26:27], v26, v[2:3]
	v_sub_nc_u32_e32 v27, 29, v34
	v_and_b32_e32 v26, 7, v26
; %bb.2586:                             ;   in Loop: Header=BB329_2079 Depth=1
	s_or_b32 exec_lo, exec_lo, s27
	v_lshlrev_b32_sdwa v2, v61, v2 dst_sel:DWORD dst_unused:UNUSED_PAD src0_sel:DWORD src1_sel:WORD_0
	v_lshl_add_u32 v27, v27, 10, 0x2000
	v_lshlrev_b32_e32 v26, 23, v26
	v_and_or_b32 v2, 0x8000, v2, v27
	v_lshl_or_b32 v26, v2, 16, v26
.LBB329_2587:                           ;   in Loop: Header=BB329_2079 Depth=1
	s_or_b32 exec_lo, exec_lo, s26
.LBB329_2588:                           ;   in Loop: Header=BB329_2079 Depth=1
	s_or_b32 exec_lo, exec_lo, s25
.LBB329_2589:                           ;   in Loop: Header=BB329_2079 Depth=1
	s_or_b32 exec_lo, exec_lo, s21
	v_lshrrev_b32_e32 v2, 16, v14
	v_cmp_ne_u16_sdwa s12, v2, v3 src0_sel:BYTE_0 src1_sel:DWORD
	s_and_saveexec_b32 s21, s12
	s_cbranch_execz .LBB329_2597
; %bb.2590:                             ;   in Loop: Header=BB329_2079 Depth=1
	v_cmp_ne_u16_sdwa s12, v2, v96 src0_sel:BYTE_0 src1_sel:DWORD
	v_mov_b32_e32 v22, 0x8000
	s_and_saveexec_b32 s25, s12
	s_cbranch_execz .LBB329_2596
; %bb.2591:                             ;   in Loop: Header=BB329_2079 Depth=1
	v_bfe_u32 v34, v14, 16, 7
	v_mov_b32_e32 v22, 0x7c01
	s_mov_b32 s26, exec_lo
	v_cmpx_ne_u32_e32 0x7f, v34
	s_cbranch_execz .LBB329_2595
; %bb.2592:                             ;   in Loop: Header=BB329_2079 Depth=1
	v_and_b32_e32 v22, 7, v2
	v_lshrrev_b32_e32 v27, 3, v34
	s_mov_b32 s27, exec_lo
	v_cmpx_gt_u32_e32 8, v34
; %bb.2593:                             ;   in Loop: Header=BB329_2079 Depth=1
	v_ffbh_u32_e32 v22, v22
	v_min_u32_e32 v22, 32, v22
	v_subrev_nc_u32_e32 v27, 28, v22
	v_lshlrev_b64 v[34:35], v27, v[2:3]
	v_sub_nc_u32_e32 v27, 29, v22
	v_and_b32_e32 v22, 7, v34
; %bb.2594:                             ;   in Loop: Header=BB329_2079 Depth=1
	s_or_b32 exec_lo, exec_lo, s27
	v_lshlrev_b32_e32 v2, 8, v2
	v_lshl_add_u32 v27, v27, 10, 0x2000
	v_lshlrev_b32_e32 v22, 7, v22
	v_and_b32_e32 v2, 0x8000, v2
	v_and_b32_e32 v27, 0xfc00, v27
	v_or3_b32 v22, v2, v27, v22
.LBB329_2595:                           ;   in Loop: Header=BB329_2079 Depth=1
	s_or_b32 exec_lo, exec_lo, s26
.LBB329_2596:                           ;   in Loop: Header=BB329_2079 Depth=1
	s_or_b32 exec_lo, exec_lo, s25
.LBB329_2597:                           ;   in Loop: Header=BB329_2079 Depth=1
	s_or_b32 exec_lo, exec_lo, s21
	v_cmp_lt_u64_e64 s12, s[22:23], v[13:14]
	v_mov_b32_e32 v13, 0
	s_and_saveexec_b32 s21, s12
	s_cbranch_execz .LBB329_2605
; %bb.2598:                             ;   in Loop: Header=BB329_2079 Depth=1
	v_lshrrev_b32_e32 v2, 24, v14
	v_bfrev_b32_e32 v13, 1
	s_mov_b32 s25, exec_lo
	v_cmpx_ne_u32_e32 0x80, v2
	s_cbranch_execz .LBB329_2604
; %bb.2599:                             ;   in Loop: Header=BB329_2079 Depth=1
	v_and_b32_e32 v27, 0x7f, v2
	v_mov_b32_e32 v13, 0x7c010000
	s_mov_b32 s26, exec_lo
	v_cmpx_ne_u32_e32 0x7f, v27
	s_cbranch_execz .LBB329_2603
; %bb.2600:                             ;   in Loop: Header=BB329_2079 Depth=1
	v_and_b32_e32 v13, 7, v2
	v_lshrrev_b32_e32 v14, 3, v27
	s_mov_b32 s27, exec_lo
	v_cmpx_gt_u32_e32 8, v27
; %bb.2601:                             ;   in Loop: Header=BB329_2079 Depth=1
	v_ffbh_u32_e32 v13, v13
	v_min_u32_e32 v27, 32, v13
	v_subrev_nc_u32_e32 v13, 28, v27
	v_lshlrev_b64 v[13:14], v13, v[2:3]
	v_sub_nc_u32_e32 v14, 29, v27
	v_and_b32_e32 v13, 7, v13
; %bb.2602:                             ;   in Loop: Header=BB329_2079 Depth=1
	s_or_b32 exec_lo, exec_lo, s27
	v_lshlrev_b32_e32 v2, 8, v2
	v_lshl_add_u32 v14, v14, 10, 0x2000
	v_lshlrev_b32_e32 v13, 23, v13
	v_and_or_b32 v2, 0x8000, v2, v14
	v_lshl_or_b32 v13, v2, 16, v13
.LBB329_2603:                           ;   in Loop: Header=BB329_2079 Depth=1
	s_or_b32 exec_lo, exec_lo, s26
.LBB329_2604:                           ;   in Loop: Header=BB329_2079 Depth=1
	s_or_b32 exec_lo, exec_lo, s25
.LBB329_2605:                           ;   in Loop: Header=BB329_2079 Depth=1
	s_or_b32 exec_lo, exec_lo, s21
	v_or_b32_e32 v2, v15, v16
	s_waitcnt vmcnt(0) lgkmcnt(0)
	v_fma_mixlo_f16 v14, v4, v15, 0 op_sel:[0,1,0] op_sel_hi:[0,1,0]
	v_or_b32_e32 v15, v5, v6
	v_or_b32_e32 v16, v26, v23
	;; [unrolled: 1-line block ×3, first 2 shown]
	v_fma_mixlo_f16 v5, v4, v5, 0 op_sel:[0,1,0] op_sel_hi:[0,1,0]
	v_fma_mixlo_f16 v23, v4, v2, 0 op_sel_hi:[0,1,0]
	v_lshlrev_b32_e32 v2, 16, v14
	v_fma_mixlo_f16 v14, v4, v15, 0 op_sel_hi:[0,1,0]
	v_fma_mixlo_f16 v15, v4, v26, 0 op_sel:[0,1,0] op_sel_hi:[0,1,0]
	v_fma_mixlo_f16 v16, v4, v16, 0 op_sel_hi:[0,1,0]
	v_fma_mixlo_f16 v13, v4, v13, 0 op_sel:[0,1,0] op_sel_hi:[0,1,0]
	v_fma_mixlo_f16 v4, v4, v22, 0 op_sel_hi:[0,1,0]
	v_lshlrev_b32_e32 v6, 16, v5
	v_and_b32_e32 v5, 0xffff, v23
	v_and_b32_e32 v27, 0xffff, v14
	v_lshlrev_b32_e32 v22, 16, v15
	v_and_b32_e32 v26, 0xffff, v16
	v_lshlrev_b32_e32 v16, 16, v13
	v_and_b32_e32 v23, 0xffff, v4
	v_or_b32_e32 v4, v2, v5
	v_or_b32_e32 v15, v6, v27
	;; [unrolled: 1-line block ×4, first 2 shown]
	s_and_saveexec_b32 s12, s6
	s_cbranch_execz .LBB329_2607
; %bb.2606:                             ;   in Loop: Header=BB329_2079 Depth=1
	v_cndmask_b32_e32 v4, 0, v27, vcc_lo
	v_cndmask_b32_e64 v6, 0, v6, s5
	v_cndmask_b32_e64 v5, 0, v5, s4
	;; [unrolled: 1-line block ×7, first 2 shown]
	v_or_b32_e32 v15, v4, v6
	v_or_b32_e32 v4, v5, v2
	v_or_b32_e32 v14, v13, v14
	v_or_b32_e32 v13, v22, v16
.LBB329_2607:                           ;   in Loop: Header=BB329_2079 Depth=1
	s_or_b32 exec_lo, exec_lo, s12
	;;#ASMSTART
	v_pk_mul_f16 v2, v103, v15;

	;;#ASMEND
	;;#ASMSTART
	v_pk_mul_f16 v4, v102, v4;

	;;#ASMEND
	;;#ASMSTART
	v_pk_mul_f16 v5, v101, v14;

	;;#ASMEND
	;;#ASMSTART
	v_pk_mul_f16 v6, v100, v13;

	;;#ASMEND
	v_add_co_u32 v13, s12, 0x800, v11
	v_add_co_ci_u32_e64 v14, null, 0, v12, s12
	;;#ASMSTART
	v_pk_add_f16 v2, v2, v4;

	;;#ASMEND
	;;#ASMSTART
	v_pk_add_f16 v2, v2, v5;

	;;#ASMEND
	;; [unrolled: 4-line block ×3, first 2 shown]
	v_lshrrev_b32_e32 v4, 16, v2
	v_and_b32_e32 v2, 0xffff, v2
	;;#ASMSTART
	v_cvt_f32_f16 v46, v2;
	;;#ASMEND
	;;#ASMSTART
	v_cvt_f32_f16 v47, v4;
	;;#ASMEND
	flat_load_dwordx2 v[15:16], v[13:14]
	s_clause 0x1
	buffer_load_dword v4, off, s[0:3], s32 offset:192
	buffer_load_dword v5, off, s[0:3], s32 offset:196
	v_mov_b32_e32 v6, 0
	s_waitcnt vmcnt(2) lgkmcnt(0)
	v_cmp_ne_u16_sdwa s12, v15, v3 src0_sel:BYTE_0 src1_sel:DWORD
	s_waitcnt vmcnt(0)
	flat_load_dword v4, v[4:5]
	v_mov_b32_e32 v5, 0
	s_and_saveexec_b32 s21, s12
	s_cbranch_execz .LBB329_2615
; %bb.2608:                             ;   in Loop: Header=BB329_2079 Depth=1
	v_cmp_ne_u16_sdwa s12, v15, v96 src0_sel:BYTE_0 src1_sel:DWORD
	v_mov_b32_e32 v6, 0x8000
	s_and_saveexec_b32 s25, s12
	s_cbranch_execz .LBB329_2614
; %bb.2609:                             ;   in Loop: Header=BB329_2079 Depth=1
	v_and_b32_e32 v22, 0x7f, v15
	v_mov_b32_e32 v6, 0x7c01
	s_mov_b32 s26, exec_lo
	v_cmpx_ne_u32_e32 0x7f, v22
	s_cbranch_execz .LBB329_2613
; %bb.2610:                             ;   in Loop: Header=BB329_2079 Depth=1
	v_and_b32_e32 v2, 7, v15
	v_lshrrev_b32_e32 v6, 3, v22
	s_mov_b32 s27, exec_lo
	v_cmpx_gt_u32_e32 8, v22
; %bb.2611:                             ;   in Loop: Header=BB329_2079 Depth=1
	v_ffbh_u32_e32 v2, v2
	v_min_u32_e32 v2, 32, v2
	v_subrev_nc_u32_e32 v6, 28, v2
	v_lshlrev_b64 v[22:23], v6, v[15:16]
	v_sub_nc_u32_e32 v6, 29, v2
	v_and_b32_e32 v2, 7, v22
; %bb.2612:                             ;   in Loop: Header=BB329_2079 Depth=1
	s_or_b32 exec_lo, exec_lo, s27
	v_lshlrev_b32_e32 v22, 8, v15
	v_lshl_add_u32 v6, v6, 10, 0x2000
	v_lshlrev_b32_e32 v2, 7, v2
	v_and_b32_e32 v22, 0x8000, v22
	v_and_b32_e32 v6, 0xfc00, v6
	v_or3_b32 v6, v22, v6, v2
.LBB329_2613:                           ;   in Loop: Header=BB329_2079 Depth=1
	s_or_b32 exec_lo, exec_lo, s26
.LBB329_2614:                           ;   in Loop: Header=BB329_2079 Depth=1
	s_or_b32 exec_lo, exec_lo, s25
.LBB329_2615:                           ;   in Loop: Header=BB329_2079 Depth=1
	s_or_b32 exec_lo, exec_lo, s21
	v_lshrrev_b16 v2, 8, v15
	s_mov_b32 s21, exec_lo
	v_cmpx_ne_u16_e32 0, v2
	s_cbranch_execz .LBB329_2623
; %bb.2616:                             ;   in Loop: Header=BB329_2079 Depth=1
	v_bfrev_b32_e32 v5, 1
	s_mov_b32 s25, exec_lo
	v_cmpx_ne_u16_e32 0x80, v2
	s_cbranch_execz .LBB329_2622
; %bb.2617:                             ;   in Loop: Header=BB329_2079 Depth=1
	v_and_b32_sdwa v23, v2, v97 dst_sel:DWORD dst_unused:UNUSED_PAD src0_sel:WORD_0 src1_sel:DWORD
	v_mov_b32_e32 v5, 0x7c010000
	s_mov_b32 s26, exec_lo
	v_cmpx_ne_u32_e32 0x7f, v23
	s_cbranch_execz .LBB329_2621
; %bb.2618:                             ;   in Loop: Header=BB329_2079 Depth=1
	v_and_b32_sdwa v5, v2, v64 dst_sel:DWORD dst_unused:UNUSED_PAD src0_sel:WORD_0 src1_sel:DWORD
	v_lshrrev_b32_e32 v22, 3, v23
	s_mov_b32 s27, exec_lo
	v_cmpx_gt_u32_e32 8, v23
; %bb.2619:                             ;   in Loop: Header=BB329_2079 Depth=1
	v_ffbh_u32_e32 v5, v5
	v_min_u32_e32 v5, 32, v5
	v_subrev_nc_u32_e32 v22, 28, v5
	v_lshlrev_b64 v[26:27], v22, v[2:3]
	v_sub_nc_u32_e32 v22, 29, v5
	v_and_b32_e32 v5, 7, v26
; %bb.2620:                             ;   in Loop: Header=BB329_2079 Depth=1
	s_or_b32 exec_lo, exec_lo, s27
	v_lshlrev_b32_sdwa v2, v61, v2 dst_sel:DWORD dst_unused:UNUSED_PAD src0_sel:DWORD src1_sel:WORD_0
	v_lshl_add_u32 v22, v22, 10, 0x2000
	v_lshlrev_b32_e32 v5, 23, v5
	v_and_or_b32 v2, 0x8000, v2, v22
	v_lshl_or_b32 v5, v2, 16, v5
.LBB329_2621:                           ;   in Loop: Header=BB329_2079 Depth=1
	s_or_b32 exec_lo, exec_lo, s26
.LBB329_2622:                           ;   in Loop: Header=BB329_2079 Depth=1
	s_or_b32 exec_lo, exec_lo, s25
.LBB329_2623:                           ;   in Loop: Header=BB329_2079 Depth=1
	s_or_b32 exec_lo, exec_lo, s21
	v_lshrrev_b32_e32 v2, 16, v15
	v_mov_b32_e32 v22, 0
	v_mov_b32_e32 v23, 0
	v_cmp_ne_u16_sdwa s12, v2, v3 src0_sel:BYTE_0 src1_sel:DWORD
	s_and_saveexec_b32 s21, s12
	s_cbranch_execz .LBB329_2631
; %bb.2624:                             ;   in Loop: Header=BB329_2079 Depth=1
	v_cmp_ne_u16_sdwa s12, v2, v96 src0_sel:BYTE_0 src1_sel:DWORD
	v_mov_b32_e32 v23, 0x8000
	s_and_saveexec_b32 s25, s12
	s_cbranch_execz .LBB329_2630
; %bb.2625:                             ;   in Loop: Header=BB329_2079 Depth=1
	v_bfe_u32 v27, v15, 16, 7
	v_mov_b32_e32 v23, 0x7c01
	s_mov_b32 s26, exec_lo
	v_cmpx_ne_u32_e32 0x7f, v27
	s_cbranch_execz .LBB329_2629
; %bb.2626:                             ;   in Loop: Header=BB329_2079 Depth=1
	v_and_b32_e32 v23, 7, v2
	v_lshrrev_b32_e32 v26, 3, v27
	s_mov_b32 s27, exec_lo
	v_cmpx_gt_u32_e32 8, v27
; %bb.2627:                             ;   in Loop: Header=BB329_2079 Depth=1
	v_ffbh_u32_e32 v23, v23
	v_min_u32_e32 v23, 32, v23
	v_subrev_nc_u32_e32 v26, 28, v23
	v_lshlrev_b64 v[34:35], v26, v[2:3]
	v_sub_nc_u32_e32 v26, 29, v23
	v_and_b32_e32 v23, 7, v34
; %bb.2628:                             ;   in Loop: Header=BB329_2079 Depth=1
	s_or_b32 exec_lo, exec_lo, s27
	v_lshlrev_b32_e32 v2, 8, v2
	v_lshl_add_u32 v26, v26, 10, 0x2000
	v_lshlrev_b32_e32 v23, 7, v23
	v_and_b32_e32 v2, 0x8000, v2
	v_and_b32_e32 v26, 0xfc00, v26
	v_or3_b32 v23, v2, v26, v23
.LBB329_2629:                           ;   in Loop: Header=BB329_2079 Depth=1
	s_or_b32 exec_lo, exec_lo, s26
.LBB329_2630:                           ;   in Loop: Header=BB329_2079 Depth=1
	s_or_b32 exec_lo, exec_lo, s25
.LBB329_2631:                           ;   in Loop: Header=BB329_2079 Depth=1
	s_or_b32 exec_lo, exec_lo, s21
	s_mov_b32 s21, exec_lo
	v_cmpx_lt_u32_e32 0xffffff, v15
	s_cbranch_execz .LBB329_2639
; %bb.2632:                             ;   in Loop: Header=BB329_2079 Depth=1
	v_lshrrev_b32_e32 v2, 24, v15
	v_bfrev_b32_e32 v22, 1
	s_mov_b32 s25, exec_lo
	v_cmpx_ne_u32_e32 0x80, v2
	s_cbranch_execz .LBB329_2638
; %bb.2633:                             ;   in Loop: Header=BB329_2079 Depth=1
	v_and_b32_e32 v27, 0x7f, v2
	v_mov_b32_e32 v22, 0x7c010000
	s_mov_b32 s26, exec_lo
	v_cmpx_ne_u32_e32 0x7f, v27
	s_cbranch_execz .LBB329_2637
; %bb.2634:                             ;   in Loop: Header=BB329_2079 Depth=1
	v_and_b32_e32 v22, 7, v2
	v_lshrrev_b32_e32 v26, 3, v27
	s_mov_b32 s27, exec_lo
	v_cmpx_gt_u32_e32 8, v27
; %bb.2635:                             ;   in Loop: Header=BB329_2079 Depth=1
	v_ffbh_u32_e32 v22, v22
	v_min_u32_e32 v22, 32, v22
	v_subrev_nc_u32_e32 v26, 28, v22
	v_lshlrev_b64 v[34:35], v26, v[2:3]
	v_sub_nc_u32_e32 v26, 29, v22
	v_and_b32_e32 v22, 7, v34
; %bb.2636:                             ;   in Loop: Header=BB329_2079 Depth=1
	s_or_b32 exec_lo, exec_lo, s27
	v_lshlrev_b32_e32 v2, 8, v2
	v_lshl_add_u32 v26, v26, 10, 0x2000
	v_lshlrev_b32_e32 v22, 23, v22
	v_and_or_b32 v2, 0x8000, v2, v26
	v_lshl_or_b32 v22, v2, 16, v22
.LBB329_2637:                           ;   in Loop: Header=BB329_2079 Depth=1
	s_or_b32 exec_lo, exec_lo, s26
.LBB329_2638:                           ;   in Loop: Header=BB329_2079 Depth=1
	s_or_b32 exec_lo, exec_lo, s25
.LBB329_2639:                           ;   in Loop: Header=BB329_2079 Depth=1
	s_or_b32 exec_lo, exec_lo, s21
	v_mov_b32_e32 v2, v16
	v_cmp_ne_u16_sdwa s12, v16, v3 src0_sel:BYTE_0 src1_sel:DWORD
	v_mov_b32_e32 v26, 0
	v_mov_b32_e32 v27, 0
	s_and_saveexec_b32 s21, s12
	s_cbranch_execz .LBB329_2647
; %bb.2640:                             ;   in Loop: Header=BB329_2079 Depth=1
	v_cmp_ne_u16_sdwa s12, v16, v96 src0_sel:BYTE_0 src1_sel:DWORD
	v_mov_b32_e32 v27, 0x8000
	s_and_saveexec_b32 s25, s12
	s_cbranch_execz .LBB329_2646
; %bb.2641:                             ;   in Loop: Header=BB329_2079 Depth=1
	v_and_b32_e32 v35, 0x7f, v16
	v_mov_b32_e32 v27, 0x7c01
	s_mov_b32 s26, exec_lo
	v_cmpx_ne_u32_e32 0x7f, v35
	s_cbranch_execz .LBB329_2645
; %bb.2642:                             ;   in Loop: Header=BB329_2079 Depth=1
	v_and_b32_e32 v27, 7, v16
	v_lshrrev_b32_e32 v34, 3, v35
	s_mov_b32 s27, exec_lo
	v_cmpx_gt_u32_e32 8, v35
; %bb.2643:                             ;   in Loop: Header=BB329_2079 Depth=1
	v_ffbh_u32_e32 v27, v27
	v_min_u32_e32 v27, 32, v27
	v_subrev_nc_u32_e32 v34, 28, v27
	v_lshlrev_b64 v[35:36], v34, v[2:3]
	v_sub_nc_u32_e32 v34, 29, v27
	v_and_b32_e32 v27, 7, v35
; %bb.2644:                             ;   in Loop: Header=BB329_2079 Depth=1
	s_or_b32 exec_lo, exec_lo, s27
	v_lshlrev_b32_e32 v35, 8, v16
	v_lshl_add_u32 v34, v34, 10, 0x2000
	v_lshlrev_b32_e32 v27, 7, v27
	v_and_b32_e32 v35, 0x8000, v35
	v_and_b32_e32 v34, 0xfc00, v34
	v_or3_b32 v27, v35, v34, v27
.LBB329_2645:                           ;   in Loop: Header=BB329_2079 Depth=1
	s_or_b32 exec_lo, exec_lo, s26
.LBB329_2646:                           ;   in Loop: Header=BB329_2079 Depth=1
	s_or_b32 exec_lo, exec_lo, s25
.LBB329_2647:                           ;   in Loop: Header=BB329_2079 Depth=1
	s_or_b32 exec_lo, exec_lo, s21
	v_lshrrev_b16 v2, 8, v2
	v_mov_b32_e32 v34, 0
	s_mov_b32 s21, exec_lo
	v_cmpx_ne_u16_e32 0, v2
	s_cbranch_execz .LBB329_2655
; %bb.2648:                             ;   in Loop: Header=BB329_2079 Depth=1
	v_bfrev_b32_e32 v34, 1
	s_mov_b32 s25, exec_lo
	v_cmpx_ne_u16_e32 0x80, v2
	s_cbranch_execz .LBB329_2654
; %bb.2649:                             ;   in Loop: Header=BB329_2079 Depth=1
	v_and_b32_sdwa v36, v2, v97 dst_sel:DWORD dst_unused:UNUSED_PAD src0_sel:WORD_0 src1_sel:DWORD
	v_mov_b32_e32 v34, 0x7c010000
	s_mov_b32 s26, exec_lo
	v_cmpx_ne_u32_e32 0x7f, v36
	s_cbranch_execz .LBB329_2653
; %bb.2650:                             ;   in Loop: Header=BB329_2079 Depth=1
	v_and_b32_sdwa v34, v2, v64 dst_sel:DWORD dst_unused:UNUSED_PAD src0_sel:WORD_0 src1_sel:DWORD
	v_lshrrev_b32_e32 v35, 3, v36
	s_mov_b32 s27, exec_lo
	v_cmpx_gt_u32_e32 8, v36
; %bb.2651:                             ;   in Loop: Header=BB329_2079 Depth=1
	v_ffbh_u32_e32 v34, v34
	v_min_u32_e32 v36, 32, v34
	v_subrev_nc_u32_e32 v34, 28, v36
	v_lshlrev_b64 v[34:35], v34, v[2:3]
	v_sub_nc_u32_e32 v35, 29, v36
	v_and_b32_e32 v34, 7, v34
; %bb.2652:                             ;   in Loop: Header=BB329_2079 Depth=1
	s_or_b32 exec_lo, exec_lo, s27
	v_lshlrev_b32_sdwa v2, v61, v2 dst_sel:DWORD dst_unused:UNUSED_PAD src0_sel:DWORD src1_sel:WORD_0
	v_lshl_add_u32 v35, v35, 10, 0x2000
	v_lshlrev_b32_e32 v34, 23, v34
	v_and_or_b32 v2, 0x8000, v2, v35
	v_lshl_or_b32 v34, v2, 16, v34
.LBB329_2653:                           ;   in Loop: Header=BB329_2079 Depth=1
	s_or_b32 exec_lo, exec_lo, s26
.LBB329_2654:                           ;   in Loop: Header=BB329_2079 Depth=1
	s_or_b32 exec_lo, exec_lo, s25
.LBB329_2655:                           ;   in Loop: Header=BB329_2079 Depth=1
	s_or_b32 exec_lo, exec_lo, s21
	v_lshrrev_b32_e32 v2, 16, v16
	v_cmp_ne_u16_sdwa s12, v2, v3 src0_sel:BYTE_0 src1_sel:DWORD
	s_and_saveexec_b32 s21, s12
	s_cbranch_execz .LBB329_2663
; %bb.2656:                             ;   in Loop: Header=BB329_2079 Depth=1
	v_cmp_ne_u16_sdwa s12, v2, v96 src0_sel:BYTE_0 src1_sel:DWORD
	v_mov_b32_e32 v26, 0x8000
	s_and_saveexec_b32 s25, s12
	s_cbranch_execz .LBB329_2662
; %bb.2657:                             ;   in Loop: Header=BB329_2079 Depth=1
	v_bfe_u32 v36, v16, 16, 7
	v_mov_b32_e32 v26, 0x7c01
	s_mov_b32 s26, exec_lo
	v_cmpx_ne_u32_e32 0x7f, v36
	s_cbranch_execz .LBB329_2661
; %bb.2658:                             ;   in Loop: Header=BB329_2079 Depth=1
	v_and_b32_e32 v26, 7, v2
	v_lshrrev_b32_e32 v35, 3, v36
	s_mov_b32 s27, exec_lo
	v_cmpx_gt_u32_e32 8, v36
; %bb.2659:                             ;   in Loop: Header=BB329_2079 Depth=1
	v_ffbh_u32_e32 v26, v26
	v_min_u32_e32 v26, 32, v26
	v_subrev_nc_u32_e32 v35, 28, v26
	v_lshlrev_b64 v[36:37], v35, v[2:3]
	v_sub_nc_u32_e32 v35, 29, v26
	v_and_b32_e32 v26, 7, v36
; %bb.2660:                             ;   in Loop: Header=BB329_2079 Depth=1
	s_or_b32 exec_lo, exec_lo, s27
	v_lshlrev_b32_e32 v2, 8, v2
	v_lshl_add_u32 v35, v35, 10, 0x2000
	v_lshlrev_b32_e32 v26, 7, v26
	v_and_b32_e32 v2, 0x8000, v2
	v_and_b32_e32 v35, 0xfc00, v35
	v_or3_b32 v26, v2, v35, v26
.LBB329_2661:                           ;   in Loop: Header=BB329_2079 Depth=1
	s_or_b32 exec_lo, exec_lo, s26
.LBB329_2662:                           ;   in Loop: Header=BB329_2079 Depth=1
	s_or_b32 exec_lo, exec_lo, s25
.LBB329_2663:                           ;   in Loop: Header=BB329_2079 Depth=1
	s_or_b32 exec_lo, exec_lo, s21
	v_cmp_lt_u64_e64 s12, s[22:23], v[15:16]
	v_mov_b32_e32 v15, 0
	s_and_saveexec_b32 s21, s12
	s_cbranch_execz .LBB329_2671
; %bb.2664:                             ;   in Loop: Header=BB329_2079 Depth=1
	v_lshrrev_b32_e32 v2, 24, v16
	v_bfrev_b32_e32 v15, 1
	s_mov_b32 s25, exec_lo
	v_cmpx_ne_u32_e32 0x80, v2
	s_cbranch_execz .LBB329_2670
; %bb.2665:                             ;   in Loop: Header=BB329_2079 Depth=1
	v_and_b32_e32 v35, 0x7f, v2
	v_mov_b32_e32 v15, 0x7c010000
	s_mov_b32 s26, exec_lo
	v_cmpx_ne_u32_e32 0x7f, v35
	s_cbranch_execz .LBB329_2669
; %bb.2666:                             ;   in Loop: Header=BB329_2079 Depth=1
	v_and_b32_e32 v15, 7, v2
	v_lshrrev_b32_e32 v16, 3, v35
	s_mov_b32 s27, exec_lo
	v_cmpx_gt_u32_e32 8, v35
; %bb.2667:                             ;   in Loop: Header=BB329_2079 Depth=1
	v_ffbh_u32_e32 v15, v15
	v_min_u32_e32 v35, 32, v15
	v_subrev_nc_u32_e32 v15, 28, v35
	v_lshlrev_b64 v[15:16], v15, v[2:3]
	v_sub_nc_u32_e32 v16, 29, v35
	v_and_b32_e32 v15, 7, v15
; %bb.2668:                             ;   in Loop: Header=BB329_2079 Depth=1
	s_or_b32 exec_lo, exec_lo, s27
	v_lshlrev_b32_e32 v2, 8, v2
	v_lshl_add_u32 v16, v16, 10, 0x2000
	v_lshlrev_b32_e32 v15, 23, v15
	v_and_or_b32 v2, 0x8000, v2, v16
	v_lshl_or_b32 v15, v2, 16, v15
.LBB329_2669:                           ;   in Loop: Header=BB329_2079 Depth=1
	s_or_b32 exec_lo, exec_lo, s26
.LBB329_2670:                           ;   in Loop: Header=BB329_2079 Depth=1
	s_or_b32 exec_lo, exec_lo, s25
.LBB329_2671:                           ;   in Loop: Header=BB329_2079 Depth=1
	s_or_b32 exec_lo, exec_lo, s21
	v_or_b32_e32 v2, v22, v23
	s_waitcnt vmcnt(0) lgkmcnt(0)
	v_fma_mixlo_f16 v16, v4, v22, 0 op_sel:[0,1,0] op_sel_hi:[0,1,0]
	v_or_b32_e32 v22, v5, v6
	v_or_b32_e32 v23, v34, v27
	;; [unrolled: 1-line block ×3, first 2 shown]
	v_fma_mixlo_f16 v5, v4, v5, 0 op_sel:[0,1,0] op_sel_hi:[0,1,0]
	v_fma_mixlo_f16 v27, v4, v2, 0 op_sel_hi:[0,1,0]
	v_lshlrev_b32_e32 v2, 16, v16
	v_fma_mixlo_f16 v16, v4, v22, 0 op_sel_hi:[0,1,0]
	v_fma_mixlo_f16 v22, v4, v34, 0 op_sel:[0,1,0] op_sel_hi:[0,1,0]
	v_fma_mixlo_f16 v23, v4, v23, 0 op_sel_hi:[0,1,0]
	v_fma_mixlo_f16 v15, v4, v15, 0 op_sel:[0,1,0] op_sel_hi:[0,1,0]
	v_fma_mixlo_f16 v4, v4, v26, 0 op_sel_hi:[0,1,0]
	v_lshlrev_b32_e32 v6, 16, v5
	v_and_b32_e32 v5, 0xffff, v27
	v_and_b32_e32 v35, 0xffff, v16
	v_lshlrev_b32_e32 v26, 16, v22
	v_and_b32_e32 v34, 0xffff, v23
	v_lshlrev_b32_e32 v23, 16, v15
	v_and_b32_e32 v27, 0xffff, v4
	v_or_b32_e32 v4, v2, v5
	v_or_b32_e32 v22, v6, v35
	;; [unrolled: 1-line block ×4, first 2 shown]
	s_and_saveexec_b32 s12, s6
	s_cbranch_execz .LBB329_2673
; %bb.2672:                             ;   in Loop: Header=BB329_2079 Depth=1
	v_cndmask_b32_e32 v4, 0, v35, vcc_lo
	v_cndmask_b32_e64 v6, 0, v6, s5
	v_cndmask_b32_e64 v5, 0, v5, s4
	;; [unrolled: 1-line block ×7, first 2 shown]
	v_or_b32_e32 v22, v4, v6
	v_or_b32_e32 v4, v5, v2
	;; [unrolled: 1-line block ×4, first 2 shown]
.LBB329_2673:                           ;   in Loop: Header=BB329_2079 Depth=1
	s_or_b32 exec_lo, exec_lo, s12
	;;#ASMSTART
	v_pk_mul_f16 v2, v103, v22;

	;;#ASMEND
	;;#ASMSTART
	v_pk_mul_f16 v4, v102, v4;

	;;#ASMEND
	;; [unrolled: 4-line block ×4, first 2 shown]
	;;#ASMSTART
	v_pk_add_f16 v2, v2, v4;

	;;#ASMEND
	;;#ASMSTART
	v_pk_add_f16 v2, v2, v5;

	;;#ASMEND
	;;#ASMSTART
	v_pk_add_f16 v2, v2, v6;

	;;#ASMEND
	v_and_b32_e32 v4, 0xffff, v2
	v_lshrrev_b32_e32 v2, 16, v2
	;;#ASMSTART
	v_cvt_f32_f16 v56, v4;
	;;#ASMEND
	;;#ASMSTART
	v_cvt_f32_f16 v26, v2;
	;;#ASMEND
	flat_load_dwordx2 v[15:16], v[13:14] offset:256
	s_clause 0x1
	buffer_load_dword v4, off, s[0:3], s32 offset:192
	buffer_load_dword v5, off, s[0:3], s32 offset:196
	v_mov_b32_e32 v6, 0
	s_waitcnt vmcnt(2) lgkmcnt(0)
	v_cmp_ne_u16_sdwa s12, v15, v3 src0_sel:BYTE_0 src1_sel:DWORD
	s_waitcnt vmcnt(0)
	flat_load_dword v4, v[4:5]
	v_mov_b32_e32 v5, 0
	s_and_saveexec_b32 s21, s12
	s_cbranch_execz .LBB329_2681
; %bb.2674:                             ;   in Loop: Header=BB329_2079 Depth=1
	v_cmp_ne_u16_sdwa s12, v15, v96 src0_sel:BYTE_0 src1_sel:DWORD
	v_mov_b32_e32 v6, 0x8000
	s_and_saveexec_b32 s25, s12
	s_cbranch_execz .LBB329_2680
; %bb.2675:                             ;   in Loop: Header=BB329_2079 Depth=1
	v_and_b32_e32 v22, 0x7f, v15
	v_mov_b32_e32 v6, 0x7c01
	s_mov_b32 s26, exec_lo
	v_cmpx_ne_u32_e32 0x7f, v22
	s_cbranch_execz .LBB329_2679
; %bb.2676:                             ;   in Loop: Header=BB329_2079 Depth=1
	v_and_b32_e32 v2, 7, v15
	v_lshrrev_b32_e32 v6, 3, v22
	s_mov_b32 s27, exec_lo
	v_cmpx_gt_u32_e32 8, v22
; %bb.2677:                             ;   in Loop: Header=BB329_2079 Depth=1
	v_ffbh_u32_e32 v2, v2
	v_min_u32_e32 v2, 32, v2
	v_subrev_nc_u32_e32 v6, 28, v2
	v_lshlrev_b64 v[22:23], v6, v[15:16]
	v_sub_nc_u32_e32 v6, 29, v2
	v_and_b32_e32 v2, 7, v22
; %bb.2678:                             ;   in Loop: Header=BB329_2079 Depth=1
	s_or_b32 exec_lo, exec_lo, s27
	v_lshlrev_b32_e32 v22, 8, v15
	v_lshl_add_u32 v6, v6, 10, 0x2000
	v_lshlrev_b32_e32 v2, 7, v2
	v_and_b32_e32 v22, 0x8000, v22
	v_and_b32_e32 v6, 0xfc00, v6
	v_or3_b32 v6, v22, v6, v2
.LBB329_2679:                           ;   in Loop: Header=BB329_2079 Depth=1
	s_or_b32 exec_lo, exec_lo, s26
.LBB329_2680:                           ;   in Loop: Header=BB329_2079 Depth=1
	s_or_b32 exec_lo, exec_lo, s25
.LBB329_2681:                           ;   in Loop: Header=BB329_2079 Depth=1
	s_or_b32 exec_lo, exec_lo, s21
	v_lshrrev_b16 v2, 8, v15
	s_mov_b32 s21, exec_lo
	v_cmpx_ne_u16_e32 0, v2
	s_cbranch_execz .LBB329_2689
; %bb.2682:                             ;   in Loop: Header=BB329_2079 Depth=1
	v_bfrev_b32_e32 v5, 1
	s_mov_b32 s25, exec_lo
	v_cmpx_ne_u16_e32 0x80, v2
	s_cbranch_execz .LBB329_2688
; %bb.2683:                             ;   in Loop: Header=BB329_2079 Depth=1
	v_and_b32_sdwa v23, v2, v97 dst_sel:DWORD dst_unused:UNUSED_PAD src0_sel:WORD_0 src1_sel:DWORD
	v_mov_b32_e32 v5, 0x7c010000
	s_mov_b32 s26, exec_lo
	v_cmpx_ne_u32_e32 0x7f, v23
	s_cbranch_execz .LBB329_2687
; %bb.2684:                             ;   in Loop: Header=BB329_2079 Depth=1
	v_and_b32_sdwa v5, v2, v64 dst_sel:DWORD dst_unused:UNUSED_PAD src0_sel:WORD_0 src1_sel:DWORD
	v_lshrrev_b32_e32 v22, 3, v23
	s_mov_b32 s27, exec_lo
	v_cmpx_gt_u32_e32 8, v23
; %bb.2685:                             ;   in Loop: Header=BB329_2079 Depth=1
	v_ffbh_u32_e32 v5, v5
	v_min_u32_e32 v5, 32, v5
	v_subrev_nc_u32_e32 v22, 28, v5
	v_lshlrev_b64 v[34:35], v22, v[2:3]
	v_sub_nc_u32_e32 v22, 29, v5
	v_and_b32_e32 v5, 7, v34
; %bb.2686:                             ;   in Loop: Header=BB329_2079 Depth=1
	s_or_b32 exec_lo, exec_lo, s27
	v_lshlrev_b32_sdwa v2, v61, v2 dst_sel:DWORD dst_unused:UNUSED_PAD src0_sel:DWORD src1_sel:WORD_0
	v_lshl_add_u32 v22, v22, 10, 0x2000
	v_lshlrev_b32_e32 v5, 23, v5
	v_and_or_b32 v2, 0x8000, v2, v22
	v_lshl_or_b32 v5, v2, 16, v5
.LBB329_2687:                           ;   in Loop: Header=BB329_2079 Depth=1
	s_or_b32 exec_lo, exec_lo, s26
.LBB329_2688:                           ;   in Loop: Header=BB329_2079 Depth=1
	s_or_b32 exec_lo, exec_lo, s25
.LBB329_2689:                           ;   in Loop: Header=BB329_2079 Depth=1
	s_or_b32 exec_lo, exec_lo, s21
	v_lshrrev_b32_e32 v2, 16, v15
	v_mov_b32_e32 v22, 0
	v_mov_b32_e32 v23, 0
	v_cmp_ne_u16_sdwa s12, v2, v3 src0_sel:BYTE_0 src1_sel:DWORD
	s_and_saveexec_b32 s21, s12
	s_cbranch_execz .LBB329_2697
; %bb.2690:                             ;   in Loop: Header=BB329_2079 Depth=1
	v_cmp_ne_u16_sdwa s12, v2, v96 src0_sel:BYTE_0 src1_sel:DWORD
	v_mov_b32_e32 v23, 0x8000
	s_and_saveexec_b32 s25, s12
	s_cbranch_execz .LBB329_2696
; %bb.2691:                             ;   in Loop: Header=BB329_2079 Depth=1
	v_bfe_u32 v34, v15, 16, 7
	v_mov_b32_e32 v23, 0x7c01
	s_mov_b32 s26, exec_lo
	v_cmpx_ne_u32_e32 0x7f, v34
	s_cbranch_execz .LBB329_2695
; %bb.2692:                             ;   in Loop: Header=BB329_2079 Depth=1
	v_and_b32_e32 v23, 7, v2
	v_lshrrev_b32_e32 v27, 3, v34
	s_mov_b32 s27, exec_lo
	v_cmpx_gt_u32_e32 8, v34
; %bb.2693:                             ;   in Loop: Header=BB329_2079 Depth=1
	v_ffbh_u32_e32 v23, v23
	v_min_u32_e32 v23, 32, v23
	v_subrev_nc_u32_e32 v27, 28, v23
	v_lshlrev_b64 v[34:35], v27, v[2:3]
	v_sub_nc_u32_e32 v27, 29, v23
	v_and_b32_e32 v23, 7, v34
; %bb.2694:                             ;   in Loop: Header=BB329_2079 Depth=1
	s_or_b32 exec_lo, exec_lo, s27
	v_lshlrev_b32_e32 v2, 8, v2
	v_lshl_add_u32 v27, v27, 10, 0x2000
	v_lshlrev_b32_e32 v23, 7, v23
	v_and_b32_e32 v2, 0x8000, v2
	v_and_b32_e32 v27, 0xfc00, v27
	v_or3_b32 v23, v2, v27, v23
.LBB329_2695:                           ;   in Loop: Header=BB329_2079 Depth=1
	s_or_b32 exec_lo, exec_lo, s26
.LBB329_2696:                           ;   in Loop: Header=BB329_2079 Depth=1
	s_or_b32 exec_lo, exec_lo, s25
.LBB329_2697:                           ;   in Loop: Header=BB329_2079 Depth=1
	s_or_b32 exec_lo, exec_lo, s21
	s_mov_b32 s21, exec_lo
	v_cmpx_lt_u32_e32 0xffffff, v15
	s_cbranch_execz .LBB329_2705
; %bb.2698:                             ;   in Loop: Header=BB329_2079 Depth=1
	v_lshrrev_b32_e32 v2, 24, v15
	v_bfrev_b32_e32 v22, 1
	s_mov_b32 s25, exec_lo
	v_cmpx_ne_u32_e32 0x80, v2
	s_cbranch_execz .LBB329_2704
; %bb.2699:                             ;   in Loop: Header=BB329_2079 Depth=1
	v_and_b32_e32 v34, 0x7f, v2
	v_mov_b32_e32 v22, 0x7c010000
	s_mov_b32 s26, exec_lo
	v_cmpx_ne_u32_e32 0x7f, v34
	s_cbranch_execz .LBB329_2703
; %bb.2700:                             ;   in Loop: Header=BB329_2079 Depth=1
	v_and_b32_e32 v22, 7, v2
	v_lshrrev_b32_e32 v27, 3, v34
	s_mov_b32 s27, exec_lo
	v_cmpx_gt_u32_e32 8, v34
; %bb.2701:                             ;   in Loop: Header=BB329_2079 Depth=1
	v_ffbh_u32_e32 v22, v22
	v_min_u32_e32 v22, 32, v22
	v_subrev_nc_u32_e32 v27, 28, v22
	v_lshlrev_b64 v[34:35], v27, v[2:3]
	v_sub_nc_u32_e32 v27, 29, v22
	v_and_b32_e32 v22, 7, v34
; %bb.2702:                             ;   in Loop: Header=BB329_2079 Depth=1
	s_or_b32 exec_lo, exec_lo, s27
	v_lshlrev_b32_e32 v2, 8, v2
	v_lshl_add_u32 v27, v27, 10, 0x2000
	v_lshlrev_b32_e32 v22, 23, v22
	v_and_or_b32 v2, 0x8000, v2, v27
	v_lshl_or_b32 v22, v2, 16, v22
.LBB329_2703:                           ;   in Loop: Header=BB329_2079 Depth=1
	s_or_b32 exec_lo, exec_lo, s26
.LBB329_2704:                           ;   in Loop: Header=BB329_2079 Depth=1
	s_or_b32 exec_lo, exec_lo, s25
.LBB329_2705:                           ;   in Loop: Header=BB329_2079 Depth=1
	s_or_b32 exec_lo, exec_lo, s21
	v_mov_b32_e32 v2, v16
	v_cmp_ne_u16_sdwa s12, v16, v3 src0_sel:BYTE_0 src1_sel:DWORD
	v_mov_b32_e32 v27, 0
	v_mov_b32_e32 v34, 0
	s_and_saveexec_b32 s21, s12
	s_cbranch_execz .LBB329_2713
; %bb.2706:                             ;   in Loop: Header=BB329_2079 Depth=1
	v_cmp_ne_u16_sdwa s12, v16, v96 src0_sel:BYTE_0 src1_sel:DWORD
	v_mov_b32_e32 v34, 0x8000
	s_and_saveexec_b32 s25, s12
	s_cbranch_execz .LBB329_2712
; %bb.2707:                             ;   in Loop: Header=BB329_2079 Depth=1
	v_and_b32_e32 v36, 0x7f, v16
	v_mov_b32_e32 v34, 0x7c01
	s_mov_b32 s26, exec_lo
	v_cmpx_ne_u32_e32 0x7f, v36
	s_cbranch_execz .LBB329_2711
; %bb.2708:                             ;   in Loop: Header=BB329_2079 Depth=1
	v_and_b32_e32 v34, 7, v16
	v_lshrrev_b32_e32 v35, 3, v36
	s_mov_b32 s27, exec_lo
	v_cmpx_gt_u32_e32 8, v36
; %bb.2709:                             ;   in Loop: Header=BB329_2079 Depth=1
	v_ffbh_u32_e32 v34, v34
	v_min_u32_e32 v36, 32, v34
	v_subrev_nc_u32_e32 v34, 28, v36
	v_lshlrev_b64 v[34:35], v34, v[2:3]
	v_sub_nc_u32_e32 v35, 29, v36
	v_and_b32_e32 v34, 7, v34
; %bb.2710:                             ;   in Loop: Header=BB329_2079 Depth=1
	s_or_b32 exec_lo, exec_lo, s27
	v_lshlrev_b32_e32 v36, 8, v16
	v_lshl_add_u32 v35, v35, 10, 0x2000
	v_lshlrev_b32_e32 v34, 7, v34
	v_and_b32_e32 v36, 0x8000, v36
	v_and_b32_e32 v35, 0xfc00, v35
	v_or3_b32 v34, v36, v35, v34
.LBB329_2711:                           ;   in Loop: Header=BB329_2079 Depth=1
	s_or_b32 exec_lo, exec_lo, s26
.LBB329_2712:                           ;   in Loop: Header=BB329_2079 Depth=1
	s_or_b32 exec_lo, exec_lo, s25
.LBB329_2713:                           ;   in Loop: Header=BB329_2079 Depth=1
	s_or_b32 exec_lo, exec_lo, s21
	v_lshrrev_b16 v2, 8, v2
	v_mov_b32_e32 v35, 0
	s_mov_b32 s21, exec_lo
	v_cmpx_ne_u16_e32 0, v2
	s_cbranch_execz .LBB329_2721
; %bb.2714:                             ;   in Loop: Header=BB329_2079 Depth=1
	v_bfrev_b32_e32 v35, 1
	s_mov_b32 s25, exec_lo
	v_cmpx_ne_u16_e32 0x80, v2
	s_cbranch_execz .LBB329_2720
; %bb.2715:                             ;   in Loop: Header=BB329_2079 Depth=1
	v_and_b32_sdwa v37, v2, v97 dst_sel:DWORD dst_unused:UNUSED_PAD src0_sel:WORD_0 src1_sel:DWORD
	v_mov_b32_e32 v35, 0x7c010000
	s_mov_b32 s26, exec_lo
	v_cmpx_ne_u32_e32 0x7f, v37
	s_cbranch_execz .LBB329_2719
; %bb.2716:                             ;   in Loop: Header=BB329_2079 Depth=1
	v_and_b32_sdwa v35, v2, v64 dst_sel:DWORD dst_unused:UNUSED_PAD src0_sel:WORD_0 src1_sel:DWORD
	v_lshrrev_b32_e32 v36, 3, v37
	s_mov_b32 s27, exec_lo
	v_cmpx_gt_u32_e32 8, v37
; %bb.2717:                             ;   in Loop: Header=BB329_2079 Depth=1
	v_ffbh_u32_e32 v35, v35
	v_min_u32_e32 v37, 32, v35
	v_subrev_nc_u32_e32 v35, 28, v37
	v_lshlrev_b64 v[35:36], v35, v[2:3]
	v_sub_nc_u32_e32 v36, 29, v37
	v_and_b32_e32 v35, 7, v35
; %bb.2718:                             ;   in Loop: Header=BB329_2079 Depth=1
	s_or_b32 exec_lo, exec_lo, s27
	v_lshlrev_b32_sdwa v2, v61, v2 dst_sel:DWORD dst_unused:UNUSED_PAD src0_sel:DWORD src1_sel:WORD_0
	v_lshl_add_u32 v36, v36, 10, 0x2000
	v_lshlrev_b32_e32 v35, 23, v35
	v_and_or_b32 v2, 0x8000, v2, v36
	v_lshl_or_b32 v35, v2, 16, v35
.LBB329_2719:                           ;   in Loop: Header=BB329_2079 Depth=1
	s_or_b32 exec_lo, exec_lo, s26
.LBB329_2720:                           ;   in Loop: Header=BB329_2079 Depth=1
	s_or_b32 exec_lo, exec_lo, s25
.LBB329_2721:                           ;   in Loop: Header=BB329_2079 Depth=1
	s_or_b32 exec_lo, exec_lo, s21
	v_lshrrev_b32_e32 v2, 16, v16
	v_cmp_ne_u16_sdwa s12, v2, v3 src0_sel:BYTE_0 src1_sel:DWORD
	s_and_saveexec_b32 s21, s12
	s_cbranch_execz .LBB329_2729
; %bb.2722:                             ;   in Loop: Header=BB329_2079 Depth=1
	v_cmp_ne_u16_sdwa s12, v2, v96 src0_sel:BYTE_0 src1_sel:DWORD
	v_mov_b32_e32 v27, 0x8000
	s_and_saveexec_b32 s25, s12
	s_cbranch_execz .LBB329_2728
; %bb.2723:                             ;   in Loop: Header=BB329_2079 Depth=1
	v_bfe_u32 v37, v16, 16, 7
	v_mov_b32_e32 v27, 0x7c01
	s_mov_b32 s26, exec_lo
	v_cmpx_ne_u32_e32 0x7f, v37
	s_cbranch_execz .LBB329_2727
; %bb.2724:                             ;   in Loop: Header=BB329_2079 Depth=1
	v_and_b32_e32 v27, 7, v2
	v_lshrrev_b32_e32 v36, 3, v37
	s_mov_b32 s27, exec_lo
	v_cmpx_gt_u32_e32 8, v37
; %bb.2725:                             ;   in Loop: Header=BB329_2079 Depth=1
	v_ffbh_u32_e32 v27, v27
	v_min_u32_e32 v27, 32, v27
	v_subrev_nc_u32_e32 v36, 28, v27
	v_lshlrev_b64 v[37:38], v36, v[2:3]
	v_sub_nc_u32_e32 v36, 29, v27
	v_and_b32_e32 v27, 7, v37
; %bb.2726:                             ;   in Loop: Header=BB329_2079 Depth=1
	s_or_b32 exec_lo, exec_lo, s27
	v_lshlrev_b32_e32 v2, 8, v2
	v_lshl_add_u32 v36, v36, 10, 0x2000
	v_lshlrev_b32_e32 v27, 7, v27
	v_and_b32_e32 v2, 0x8000, v2
	v_and_b32_e32 v36, 0xfc00, v36
	v_or3_b32 v27, v2, v36, v27
.LBB329_2727:                           ;   in Loop: Header=BB329_2079 Depth=1
	s_or_b32 exec_lo, exec_lo, s26
.LBB329_2728:                           ;   in Loop: Header=BB329_2079 Depth=1
	s_or_b32 exec_lo, exec_lo, s25
.LBB329_2729:                           ;   in Loop: Header=BB329_2079 Depth=1
	s_or_b32 exec_lo, exec_lo, s21
	v_cmp_lt_u64_e64 s12, s[22:23], v[15:16]
	v_mov_b32_e32 v15, 0
	s_and_saveexec_b32 s21, s12
	s_cbranch_execz .LBB329_2737
; %bb.2730:                             ;   in Loop: Header=BB329_2079 Depth=1
	v_lshrrev_b32_e32 v2, 24, v16
	v_bfrev_b32_e32 v15, 1
	s_mov_b32 s25, exec_lo
	v_cmpx_ne_u32_e32 0x80, v2
	s_cbranch_execz .LBB329_2736
; %bb.2731:                             ;   in Loop: Header=BB329_2079 Depth=1
	v_and_b32_e32 v36, 0x7f, v2
	v_mov_b32_e32 v15, 0x7c010000
	s_mov_b32 s26, exec_lo
	v_cmpx_ne_u32_e32 0x7f, v36
	s_cbranch_execz .LBB329_2735
; %bb.2732:                             ;   in Loop: Header=BB329_2079 Depth=1
	v_and_b32_e32 v15, 7, v2
	v_lshrrev_b32_e32 v16, 3, v36
	s_mov_b32 s27, exec_lo
	v_cmpx_gt_u32_e32 8, v36
; %bb.2733:                             ;   in Loop: Header=BB329_2079 Depth=1
	v_ffbh_u32_e32 v15, v15
	v_min_u32_e32 v36, 32, v15
	v_subrev_nc_u32_e32 v15, 28, v36
	v_lshlrev_b64 v[15:16], v15, v[2:3]
	v_sub_nc_u32_e32 v16, 29, v36
	v_and_b32_e32 v15, 7, v15
; %bb.2734:                             ;   in Loop: Header=BB329_2079 Depth=1
	s_or_b32 exec_lo, exec_lo, s27
	v_lshlrev_b32_e32 v2, 8, v2
	v_lshl_add_u32 v16, v16, 10, 0x2000
	v_lshlrev_b32_e32 v15, 23, v15
	v_and_or_b32 v2, 0x8000, v2, v16
	v_lshl_or_b32 v15, v2, 16, v15
.LBB329_2735:                           ;   in Loop: Header=BB329_2079 Depth=1
	s_or_b32 exec_lo, exec_lo, s26
.LBB329_2736:                           ;   in Loop: Header=BB329_2079 Depth=1
	s_or_b32 exec_lo, exec_lo, s25
.LBB329_2737:                           ;   in Loop: Header=BB329_2079 Depth=1
	s_or_b32 exec_lo, exec_lo, s21
	v_or_b32_e32 v2, v22, v23
	s_waitcnt vmcnt(0) lgkmcnt(0)
	v_fma_mixlo_f16 v16, v4, v22, 0 op_sel:[0,1,0] op_sel_hi:[0,1,0]
	v_or_b32_e32 v22, v5, v6
	v_or_b32_e32 v23, v35, v34
	;; [unrolled: 1-line block ×3, first 2 shown]
	v_fma_mixlo_f16 v5, v4, v5, 0 op_sel:[0,1,0] op_sel_hi:[0,1,0]
	v_fma_mixlo_f16 v34, v4, v2, 0 op_sel_hi:[0,1,0]
	v_lshlrev_b32_e32 v2, 16, v16
	v_fma_mixlo_f16 v16, v4, v22, 0 op_sel_hi:[0,1,0]
	v_fma_mixlo_f16 v22, v4, v35, 0 op_sel:[0,1,0] op_sel_hi:[0,1,0]
	v_fma_mixlo_f16 v23, v4, v23, 0 op_sel_hi:[0,1,0]
	v_fma_mixlo_f16 v15, v4, v15, 0 op_sel:[0,1,0] op_sel_hi:[0,1,0]
	v_fma_mixlo_f16 v4, v4, v27, 0 op_sel_hi:[0,1,0]
	v_lshlrev_b32_e32 v6, 16, v5
	v_and_b32_e32 v5, 0xffff, v34
	v_and_b32_e32 v36, 0xffff, v16
	v_lshlrev_b32_e32 v27, 16, v22
	v_and_b32_e32 v35, 0xffff, v23
	v_lshlrev_b32_e32 v23, 16, v15
	v_and_b32_e32 v34, 0xffff, v4
	v_or_b32_e32 v4, v2, v5
	v_or_b32_e32 v22, v6, v36
	;; [unrolled: 1-line block ×4, first 2 shown]
	s_and_saveexec_b32 s12, s6
	s_cbranch_execz .LBB329_2739
; %bb.2738:                             ;   in Loop: Header=BB329_2079 Depth=1
	v_cndmask_b32_e32 v4, 0, v36, vcc_lo
	v_cndmask_b32_e64 v6, 0, v6, s5
	v_cndmask_b32_e64 v5, 0, v5, s4
	;; [unrolled: 1-line block ×7, first 2 shown]
	v_or_b32_e32 v22, v4, v6
	v_or_b32_e32 v4, v5, v2
	;; [unrolled: 1-line block ×4, first 2 shown]
.LBB329_2739:                           ;   in Loop: Header=BB329_2079 Depth=1
	s_or_b32 exec_lo, exec_lo, s12
	;;#ASMSTART
	v_pk_mul_f16 v2, v103, v22;

	;;#ASMEND
	;;#ASMSTART
	v_pk_mul_f16 v4, v102, v4;

	;;#ASMEND
	;; [unrolled: 4-line block ×4, first 2 shown]
	;;#ASMSTART
	v_pk_add_f16 v2, v2, v4;

	;;#ASMEND
	;;#ASMSTART
	v_pk_add_f16 v2, v2, v5;

	;;#ASMEND
	;; [unrolled: 4-line block ×3, first 2 shown]
	v_and_b32_e32 v4, 0xffff, v2
	v_lshrrev_b32_e32 v2, 16, v2
	;;#ASMSTART
	v_cvt_f32_f16 v27, v4;
	;;#ASMEND
	;;#ASMSTART
	v_cvt_f32_f16 v59, v2;
	;;#ASMEND
	flat_load_dwordx2 v[15:16], v[13:14] offset:512
	s_clause 0x1
	buffer_load_dword v4, off, s[0:3], s32 offset:192
	buffer_load_dword v5, off, s[0:3], s32 offset:196
	v_mov_b32_e32 v6, 0
	s_waitcnt vmcnt(2) lgkmcnt(0)
	v_cmp_ne_u16_sdwa s12, v15, v3 src0_sel:BYTE_0 src1_sel:DWORD
	s_waitcnt vmcnt(0)
	flat_load_dword v4, v[4:5]
	v_mov_b32_e32 v5, 0
	s_and_saveexec_b32 s21, s12
	s_cbranch_execz .LBB329_2747
; %bb.2740:                             ;   in Loop: Header=BB329_2079 Depth=1
	v_cmp_ne_u16_sdwa s12, v15, v96 src0_sel:BYTE_0 src1_sel:DWORD
	v_mov_b32_e32 v6, 0x8000
	s_and_saveexec_b32 s25, s12
	s_cbranch_execz .LBB329_2746
; %bb.2741:                             ;   in Loop: Header=BB329_2079 Depth=1
	v_and_b32_e32 v22, 0x7f, v15
	v_mov_b32_e32 v6, 0x7c01
	s_mov_b32 s26, exec_lo
	v_cmpx_ne_u32_e32 0x7f, v22
	s_cbranch_execz .LBB329_2745
; %bb.2742:                             ;   in Loop: Header=BB329_2079 Depth=1
	v_and_b32_e32 v2, 7, v15
	v_lshrrev_b32_e32 v6, 3, v22
	s_mov_b32 s27, exec_lo
	v_cmpx_gt_u32_e32 8, v22
; %bb.2743:                             ;   in Loop: Header=BB329_2079 Depth=1
	v_ffbh_u32_e32 v2, v2
	v_min_u32_e32 v2, 32, v2
	v_subrev_nc_u32_e32 v6, 28, v2
	v_lshlrev_b64 v[22:23], v6, v[15:16]
	v_sub_nc_u32_e32 v6, 29, v2
	v_and_b32_e32 v2, 7, v22
; %bb.2744:                             ;   in Loop: Header=BB329_2079 Depth=1
	s_or_b32 exec_lo, exec_lo, s27
	v_lshlrev_b32_e32 v22, 8, v15
	v_lshl_add_u32 v6, v6, 10, 0x2000
	v_lshlrev_b32_e32 v2, 7, v2
	v_and_b32_e32 v22, 0x8000, v22
	v_and_b32_e32 v6, 0xfc00, v6
	v_or3_b32 v6, v22, v6, v2
.LBB329_2745:                           ;   in Loop: Header=BB329_2079 Depth=1
	s_or_b32 exec_lo, exec_lo, s26
.LBB329_2746:                           ;   in Loop: Header=BB329_2079 Depth=1
	s_or_b32 exec_lo, exec_lo, s25
.LBB329_2747:                           ;   in Loop: Header=BB329_2079 Depth=1
	s_or_b32 exec_lo, exec_lo, s21
	v_lshrrev_b16 v2, 8, v15
	s_mov_b32 s21, exec_lo
	v_cmpx_ne_u16_e32 0, v2
	s_cbranch_execz .LBB329_2755
; %bb.2748:                             ;   in Loop: Header=BB329_2079 Depth=1
	v_bfrev_b32_e32 v5, 1
	s_mov_b32 s25, exec_lo
	v_cmpx_ne_u16_e32 0x80, v2
	s_cbranch_execz .LBB329_2754
; %bb.2749:                             ;   in Loop: Header=BB329_2079 Depth=1
	v_and_b32_sdwa v23, v2, v97 dst_sel:DWORD dst_unused:UNUSED_PAD src0_sel:WORD_0 src1_sel:DWORD
	v_mov_b32_e32 v5, 0x7c010000
	s_mov_b32 s26, exec_lo
	v_cmpx_ne_u32_e32 0x7f, v23
	s_cbranch_execz .LBB329_2753
; %bb.2750:                             ;   in Loop: Header=BB329_2079 Depth=1
	v_and_b32_sdwa v5, v2, v64 dst_sel:DWORD dst_unused:UNUSED_PAD src0_sel:WORD_0 src1_sel:DWORD
	v_lshrrev_b32_e32 v22, 3, v23
	s_mov_b32 s27, exec_lo
	v_cmpx_gt_u32_e32 8, v23
; %bb.2751:                             ;   in Loop: Header=BB329_2079 Depth=1
	v_ffbh_u32_e32 v5, v5
	v_min_u32_e32 v5, 32, v5
	v_subrev_nc_u32_e32 v22, 28, v5
	v_lshlrev_b64 v[34:35], v22, v[2:3]
	v_sub_nc_u32_e32 v22, 29, v5
	v_and_b32_e32 v5, 7, v34
; %bb.2752:                             ;   in Loop: Header=BB329_2079 Depth=1
	s_or_b32 exec_lo, exec_lo, s27
	v_lshlrev_b32_sdwa v2, v61, v2 dst_sel:DWORD dst_unused:UNUSED_PAD src0_sel:DWORD src1_sel:WORD_0
	v_lshl_add_u32 v22, v22, 10, 0x2000
	v_lshlrev_b32_e32 v5, 23, v5
	v_and_or_b32 v2, 0x8000, v2, v22
	v_lshl_or_b32 v5, v2, 16, v5
.LBB329_2753:                           ;   in Loop: Header=BB329_2079 Depth=1
	s_or_b32 exec_lo, exec_lo, s26
.LBB329_2754:                           ;   in Loop: Header=BB329_2079 Depth=1
	s_or_b32 exec_lo, exec_lo, s25
.LBB329_2755:                           ;   in Loop: Header=BB329_2079 Depth=1
	s_or_b32 exec_lo, exec_lo, s21
	v_lshrrev_b32_e32 v2, 16, v15
	v_mov_b32_e32 v22, 0
	v_mov_b32_e32 v23, 0
	v_cmp_ne_u16_sdwa s12, v2, v3 src0_sel:BYTE_0 src1_sel:DWORD
	s_and_saveexec_b32 s21, s12
	s_cbranch_execz .LBB329_2763
; %bb.2756:                             ;   in Loop: Header=BB329_2079 Depth=1
	v_cmp_ne_u16_sdwa s12, v2, v96 src0_sel:BYTE_0 src1_sel:DWORD
	v_mov_b32_e32 v23, 0x8000
	s_and_saveexec_b32 s25, s12
	s_cbranch_execz .LBB329_2762
; %bb.2757:                             ;   in Loop: Header=BB329_2079 Depth=1
	v_bfe_u32 v35, v15, 16, 7
	v_mov_b32_e32 v23, 0x7c01
	s_mov_b32 s26, exec_lo
	v_cmpx_ne_u32_e32 0x7f, v35
	s_cbranch_execz .LBB329_2761
; %bb.2758:                             ;   in Loop: Header=BB329_2079 Depth=1
	v_and_b32_e32 v23, 7, v2
	v_lshrrev_b32_e32 v34, 3, v35
	s_mov_b32 s27, exec_lo
	v_cmpx_gt_u32_e32 8, v35
; %bb.2759:                             ;   in Loop: Header=BB329_2079 Depth=1
	v_ffbh_u32_e32 v23, v23
	v_min_u32_e32 v23, 32, v23
	v_subrev_nc_u32_e32 v34, 28, v23
	v_lshlrev_b64 v[35:36], v34, v[2:3]
	v_sub_nc_u32_e32 v34, 29, v23
	v_and_b32_e32 v23, 7, v35
; %bb.2760:                             ;   in Loop: Header=BB329_2079 Depth=1
	s_or_b32 exec_lo, exec_lo, s27
	v_lshlrev_b32_e32 v2, 8, v2
	v_lshl_add_u32 v34, v34, 10, 0x2000
	v_lshlrev_b32_e32 v23, 7, v23
	v_and_b32_e32 v2, 0x8000, v2
	v_and_b32_e32 v34, 0xfc00, v34
	v_or3_b32 v23, v2, v34, v23
.LBB329_2761:                           ;   in Loop: Header=BB329_2079 Depth=1
	s_or_b32 exec_lo, exec_lo, s26
.LBB329_2762:                           ;   in Loop: Header=BB329_2079 Depth=1
	s_or_b32 exec_lo, exec_lo, s25
.LBB329_2763:                           ;   in Loop: Header=BB329_2079 Depth=1
	s_or_b32 exec_lo, exec_lo, s21
	s_mov_b32 s21, exec_lo
	v_cmpx_lt_u32_e32 0xffffff, v15
	s_cbranch_execz .LBB329_2771
; %bb.2764:                             ;   in Loop: Header=BB329_2079 Depth=1
	v_lshrrev_b32_e32 v2, 24, v15
	v_bfrev_b32_e32 v22, 1
	s_mov_b32 s25, exec_lo
	v_cmpx_ne_u32_e32 0x80, v2
	s_cbranch_execz .LBB329_2770
; %bb.2765:                             ;   in Loop: Header=BB329_2079 Depth=1
	v_and_b32_e32 v35, 0x7f, v2
	v_mov_b32_e32 v22, 0x7c010000
	s_mov_b32 s26, exec_lo
	v_cmpx_ne_u32_e32 0x7f, v35
	s_cbranch_execz .LBB329_2769
; %bb.2766:                             ;   in Loop: Header=BB329_2079 Depth=1
	v_and_b32_e32 v22, 7, v2
	v_lshrrev_b32_e32 v34, 3, v35
	s_mov_b32 s27, exec_lo
	v_cmpx_gt_u32_e32 8, v35
; %bb.2767:                             ;   in Loop: Header=BB329_2079 Depth=1
	v_ffbh_u32_e32 v22, v22
	v_min_u32_e32 v22, 32, v22
	v_subrev_nc_u32_e32 v34, 28, v22
	v_lshlrev_b64 v[35:36], v34, v[2:3]
	v_sub_nc_u32_e32 v34, 29, v22
	v_and_b32_e32 v22, 7, v35
; %bb.2768:                             ;   in Loop: Header=BB329_2079 Depth=1
	s_or_b32 exec_lo, exec_lo, s27
	v_lshlrev_b32_e32 v2, 8, v2
	v_lshl_add_u32 v34, v34, 10, 0x2000
	v_lshlrev_b32_e32 v22, 23, v22
	v_and_or_b32 v2, 0x8000, v2, v34
	v_lshl_or_b32 v22, v2, 16, v22
.LBB329_2769:                           ;   in Loop: Header=BB329_2079 Depth=1
	s_or_b32 exec_lo, exec_lo, s26
.LBB329_2770:                           ;   in Loop: Header=BB329_2079 Depth=1
	s_or_b32 exec_lo, exec_lo, s25
.LBB329_2771:                           ;   in Loop: Header=BB329_2079 Depth=1
	s_or_b32 exec_lo, exec_lo, s21
	v_mov_b32_e32 v2, v16
	v_cmp_ne_u16_sdwa s12, v16, v3 src0_sel:BYTE_0 src1_sel:DWORD
	v_mov_b32_e32 v34, 0
	v_mov_b32_e32 v35, 0
	s_and_saveexec_b32 s21, s12
	s_cbranch_execz .LBB329_2779
; %bb.2772:                             ;   in Loop: Header=BB329_2079 Depth=1
	v_cmp_ne_u16_sdwa s12, v16, v96 src0_sel:BYTE_0 src1_sel:DWORD
	v_mov_b32_e32 v35, 0x8000
	s_and_saveexec_b32 s25, s12
	s_cbranch_execz .LBB329_2778
; %bb.2773:                             ;   in Loop: Header=BB329_2079 Depth=1
	v_and_b32_e32 v37, 0x7f, v16
	v_mov_b32_e32 v35, 0x7c01
	s_mov_b32 s26, exec_lo
	v_cmpx_ne_u32_e32 0x7f, v37
	s_cbranch_execz .LBB329_2777
; %bb.2774:                             ;   in Loop: Header=BB329_2079 Depth=1
	v_and_b32_e32 v35, 7, v16
	v_lshrrev_b32_e32 v36, 3, v37
	s_mov_b32 s27, exec_lo
	v_cmpx_gt_u32_e32 8, v37
; %bb.2775:                             ;   in Loop: Header=BB329_2079 Depth=1
	v_ffbh_u32_e32 v35, v35
	v_min_u32_e32 v37, 32, v35
	v_subrev_nc_u32_e32 v35, 28, v37
	v_lshlrev_b64 v[35:36], v35, v[2:3]
	v_sub_nc_u32_e32 v36, 29, v37
	v_and_b32_e32 v35, 7, v35
; %bb.2776:                             ;   in Loop: Header=BB329_2079 Depth=1
	s_or_b32 exec_lo, exec_lo, s27
	v_lshlrev_b32_e32 v37, 8, v16
	v_lshl_add_u32 v36, v36, 10, 0x2000
	v_lshlrev_b32_e32 v35, 7, v35
	v_and_b32_e32 v37, 0x8000, v37
	v_and_b32_e32 v36, 0xfc00, v36
	v_or3_b32 v35, v37, v36, v35
.LBB329_2777:                           ;   in Loop: Header=BB329_2079 Depth=1
	s_or_b32 exec_lo, exec_lo, s26
.LBB329_2778:                           ;   in Loop: Header=BB329_2079 Depth=1
	s_or_b32 exec_lo, exec_lo, s25
.LBB329_2779:                           ;   in Loop: Header=BB329_2079 Depth=1
	s_or_b32 exec_lo, exec_lo, s21
	v_lshrrev_b16 v2, 8, v2
	v_mov_b32_e32 v36, 0
	s_mov_b32 s21, exec_lo
	v_cmpx_ne_u16_e32 0, v2
	s_cbranch_execz .LBB329_2787
; %bb.2780:                             ;   in Loop: Header=BB329_2079 Depth=1
	v_bfrev_b32_e32 v36, 1
	s_mov_b32 s25, exec_lo
	v_cmpx_ne_u16_e32 0x80, v2
	s_cbranch_execz .LBB329_2786
; %bb.2781:                             ;   in Loop: Header=BB329_2079 Depth=1
	v_and_b32_sdwa v38, v2, v97 dst_sel:DWORD dst_unused:UNUSED_PAD src0_sel:WORD_0 src1_sel:DWORD
	v_mov_b32_e32 v36, 0x7c010000
	s_mov_b32 s26, exec_lo
	v_cmpx_ne_u32_e32 0x7f, v38
	s_cbranch_execz .LBB329_2785
; %bb.2782:                             ;   in Loop: Header=BB329_2079 Depth=1
	v_and_b32_sdwa v36, v2, v64 dst_sel:DWORD dst_unused:UNUSED_PAD src0_sel:WORD_0 src1_sel:DWORD
	v_lshrrev_b32_e32 v37, 3, v38
	s_mov_b32 s27, exec_lo
	v_cmpx_gt_u32_e32 8, v38
; %bb.2783:                             ;   in Loop: Header=BB329_2079 Depth=1
	v_ffbh_u32_e32 v36, v36
	v_min_u32_e32 v38, 32, v36
	v_subrev_nc_u32_e32 v36, 28, v38
	v_lshlrev_b64 v[36:37], v36, v[2:3]
	v_sub_nc_u32_e32 v37, 29, v38
	v_and_b32_e32 v36, 7, v36
; %bb.2784:                             ;   in Loop: Header=BB329_2079 Depth=1
	s_or_b32 exec_lo, exec_lo, s27
	v_lshlrev_b32_sdwa v2, v61, v2 dst_sel:DWORD dst_unused:UNUSED_PAD src0_sel:DWORD src1_sel:WORD_0
	v_lshl_add_u32 v37, v37, 10, 0x2000
	v_lshlrev_b32_e32 v36, 23, v36
	v_and_or_b32 v2, 0x8000, v2, v37
	v_lshl_or_b32 v36, v2, 16, v36
.LBB329_2785:                           ;   in Loop: Header=BB329_2079 Depth=1
	s_or_b32 exec_lo, exec_lo, s26
.LBB329_2786:                           ;   in Loop: Header=BB329_2079 Depth=1
	s_or_b32 exec_lo, exec_lo, s25
.LBB329_2787:                           ;   in Loop: Header=BB329_2079 Depth=1
	s_or_b32 exec_lo, exec_lo, s21
	v_lshrrev_b32_e32 v2, 16, v16
	v_cmp_ne_u16_sdwa s12, v2, v3 src0_sel:BYTE_0 src1_sel:DWORD
	s_and_saveexec_b32 s21, s12
	s_cbranch_execz .LBB329_2795
; %bb.2788:                             ;   in Loop: Header=BB329_2079 Depth=1
	v_cmp_ne_u16_sdwa s12, v2, v96 src0_sel:BYTE_0 src1_sel:DWORD
	v_mov_b32_e32 v34, 0x8000
	s_and_saveexec_b32 s25, s12
	s_cbranch_execz .LBB329_2794
; %bb.2789:                             ;   in Loop: Header=BB329_2079 Depth=1
	v_bfe_u32 v38, v16, 16, 7
	v_mov_b32_e32 v34, 0x7c01
	s_mov_b32 s26, exec_lo
	v_cmpx_ne_u32_e32 0x7f, v38
	s_cbranch_execz .LBB329_2793
; %bb.2790:                             ;   in Loop: Header=BB329_2079 Depth=1
	v_and_b32_e32 v34, 7, v2
	v_lshrrev_b32_e32 v37, 3, v38
	s_mov_b32 s27, exec_lo
	v_cmpx_gt_u32_e32 8, v38
; %bb.2791:                             ;   in Loop: Header=BB329_2079 Depth=1
	v_ffbh_u32_e32 v34, v34
	v_min_u32_e32 v34, 32, v34
	v_subrev_nc_u32_e32 v37, 28, v34
	v_lshlrev_b64 v[38:39], v37, v[2:3]
	v_sub_nc_u32_e32 v37, 29, v34
	v_and_b32_e32 v34, 7, v38
; %bb.2792:                             ;   in Loop: Header=BB329_2079 Depth=1
	s_or_b32 exec_lo, exec_lo, s27
	v_lshlrev_b32_e32 v2, 8, v2
	v_lshl_add_u32 v37, v37, 10, 0x2000
	v_lshlrev_b32_e32 v34, 7, v34
	v_and_b32_e32 v2, 0x8000, v2
	v_and_b32_e32 v37, 0xfc00, v37
	v_or3_b32 v34, v2, v37, v34
.LBB329_2793:                           ;   in Loop: Header=BB329_2079 Depth=1
	s_or_b32 exec_lo, exec_lo, s26
.LBB329_2794:                           ;   in Loop: Header=BB329_2079 Depth=1
	s_or_b32 exec_lo, exec_lo, s25
.LBB329_2795:                           ;   in Loop: Header=BB329_2079 Depth=1
	s_or_b32 exec_lo, exec_lo, s21
	v_cmp_lt_u64_e64 s12, s[22:23], v[15:16]
	v_mov_b32_e32 v15, 0
	s_and_saveexec_b32 s21, s12
	s_cbranch_execz .LBB329_2803
; %bb.2796:                             ;   in Loop: Header=BB329_2079 Depth=1
	v_lshrrev_b32_e32 v2, 24, v16
	v_bfrev_b32_e32 v15, 1
	s_mov_b32 s25, exec_lo
	v_cmpx_ne_u32_e32 0x80, v2
	s_cbranch_execz .LBB329_2802
; %bb.2797:                             ;   in Loop: Header=BB329_2079 Depth=1
	v_and_b32_e32 v37, 0x7f, v2
	v_mov_b32_e32 v15, 0x7c010000
	s_mov_b32 s26, exec_lo
	v_cmpx_ne_u32_e32 0x7f, v37
	s_cbranch_execz .LBB329_2801
; %bb.2798:                             ;   in Loop: Header=BB329_2079 Depth=1
	v_and_b32_e32 v15, 7, v2
	v_lshrrev_b32_e32 v16, 3, v37
	s_mov_b32 s27, exec_lo
	v_cmpx_gt_u32_e32 8, v37
; %bb.2799:                             ;   in Loop: Header=BB329_2079 Depth=1
	v_ffbh_u32_e32 v15, v15
	v_min_u32_e32 v37, 32, v15
	v_subrev_nc_u32_e32 v15, 28, v37
	v_lshlrev_b64 v[15:16], v15, v[2:3]
	v_sub_nc_u32_e32 v16, 29, v37
	v_and_b32_e32 v15, 7, v15
; %bb.2800:                             ;   in Loop: Header=BB329_2079 Depth=1
	s_or_b32 exec_lo, exec_lo, s27
	v_lshlrev_b32_e32 v2, 8, v2
	v_lshl_add_u32 v16, v16, 10, 0x2000
	v_lshlrev_b32_e32 v15, 23, v15
	v_and_or_b32 v2, 0x8000, v2, v16
	v_lshl_or_b32 v15, v2, 16, v15
.LBB329_2801:                           ;   in Loop: Header=BB329_2079 Depth=1
	s_or_b32 exec_lo, exec_lo, s26
.LBB329_2802:                           ;   in Loop: Header=BB329_2079 Depth=1
	s_or_b32 exec_lo, exec_lo, s25
.LBB329_2803:                           ;   in Loop: Header=BB329_2079 Depth=1
	s_or_b32 exec_lo, exec_lo, s21
	v_or_b32_e32 v2, v22, v23
	s_waitcnt vmcnt(0) lgkmcnt(0)
	v_fma_mixlo_f16 v16, v4, v22, 0 op_sel:[0,1,0] op_sel_hi:[0,1,0]
	v_or_b32_e32 v22, v5, v6
	v_or_b32_e32 v23, v36, v35
	;; [unrolled: 1-line block ×3, first 2 shown]
	v_fma_mixlo_f16 v5, v4, v5, 0 op_sel:[0,1,0] op_sel_hi:[0,1,0]
	v_fma_mixlo_f16 v35, v4, v2, 0 op_sel_hi:[0,1,0]
	v_lshlrev_b32_e32 v2, 16, v16
	v_fma_mixlo_f16 v16, v4, v22, 0 op_sel_hi:[0,1,0]
	v_fma_mixlo_f16 v22, v4, v36, 0 op_sel:[0,1,0] op_sel_hi:[0,1,0]
	v_fma_mixlo_f16 v23, v4, v23, 0 op_sel_hi:[0,1,0]
	v_fma_mixlo_f16 v15, v4, v15, 0 op_sel:[0,1,0] op_sel_hi:[0,1,0]
	v_fma_mixlo_f16 v4, v4, v34, 0 op_sel_hi:[0,1,0]
	v_lshlrev_b32_e32 v6, 16, v5
	v_and_b32_e32 v5, 0xffff, v35
	v_and_b32_e32 v37, 0xffff, v16
	v_lshlrev_b32_e32 v34, 16, v22
	v_and_b32_e32 v36, 0xffff, v23
	v_lshlrev_b32_e32 v23, 16, v15
	v_and_b32_e32 v35, 0xffff, v4
	v_or_b32_e32 v4, v2, v5
	v_or_b32_e32 v22, v6, v37
	;; [unrolled: 1-line block ×4, first 2 shown]
	s_and_saveexec_b32 s12, s6
	s_cbranch_execz .LBB329_2805
; %bb.2804:                             ;   in Loop: Header=BB329_2079 Depth=1
	v_cndmask_b32_e32 v4, 0, v37, vcc_lo
	v_cndmask_b32_e64 v6, 0, v6, s5
	v_cndmask_b32_e64 v5, 0, v5, s4
	;; [unrolled: 1-line block ×7, first 2 shown]
	v_or_b32_e32 v22, v4, v6
	v_or_b32_e32 v4, v5, v2
	;; [unrolled: 1-line block ×4, first 2 shown]
.LBB329_2805:                           ;   in Loop: Header=BB329_2079 Depth=1
	s_or_b32 exec_lo, exec_lo, s12
	;;#ASMSTART
	v_pk_mul_f16 v2, v103, v22;

	;;#ASMEND
	;;#ASMSTART
	v_pk_mul_f16 v4, v102, v4;

	;;#ASMEND
	;; [unrolled: 4-line block ×4, first 2 shown]
	;;#ASMSTART
	v_pk_add_f16 v2, v2, v4;

	;;#ASMEND
	;;#ASMSTART
	v_pk_add_f16 v2, v2, v5;

	;;#ASMEND
	;; [unrolled: 4-line block ×3, first 2 shown]
	v_and_b32_e32 v4, 0xffff, v2
	v_lshrrev_b32_e32 v2, 16, v2
	;;#ASMSTART
	v_cvt_f32_f16 v60, v4;
	;;#ASMEND
	;;#ASMSTART
	v_cvt_f32_f16 v38, v2;
	;;#ASMEND
	flat_load_dwordx2 v[15:16], v[13:14] offset:768
	s_clause 0x1
	buffer_load_dword v4, off, s[0:3], s32 offset:192
	buffer_load_dword v5, off, s[0:3], s32 offset:196
	v_mov_b32_e32 v6, 0
	s_waitcnt vmcnt(2) lgkmcnt(0)
	v_cmp_ne_u16_sdwa s12, v15, v3 src0_sel:BYTE_0 src1_sel:DWORD
	s_waitcnt vmcnt(0)
	flat_load_dword v4, v[4:5]
	v_mov_b32_e32 v5, 0
	s_and_saveexec_b32 s21, s12
	s_cbranch_execz .LBB329_2813
; %bb.2806:                             ;   in Loop: Header=BB329_2079 Depth=1
	v_cmp_ne_u16_sdwa s12, v15, v96 src0_sel:BYTE_0 src1_sel:DWORD
	v_mov_b32_e32 v6, 0x8000
	s_and_saveexec_b32 s25, s12
	s_cbranch_execz .LBB329_2812
; %bb.2807:                             ;   in Loop: Header=BB329_2079 Depth=1
	v_and_b32_e32 v22, 0x7f, v15
	v_mov_b32_e32 v6, 0x7c01
	s_mov_b32 s26, exec_lo
	v_cmpx_ne_u32_e32 0x7f, v22
	s_cbranch_execz .LBB329_2811
; %bb.2808:                             ;   in Loop: Header=BB329_2079 Depth=1
	v_and_b32_e32 v2, 7, v15
	v_lshrrev_b32_e32 v6, 3, v22
	s_mov_b32 s27, exec_lo
	v_cmpx_gt_u32_e32 8, v22
; %bb.2809:                             ;   in Loop: Header=BB329_2079 Depth=1
	v_ffbh_u32_e32 v2, v2
	v_min_u32_e32 v2, 32, v2
	v_subrev_nc_u32_e32 v6, 28, v2
	v_lshlrev_b64 v[22:23], v6, v[15:16]
	v_sub_nc_u32_e32 v6, 29, v2
	v_and_b32_e32 v2, 7, v22
; %bb.2810:                             ;   in Loop: Header=BB329_2079 Depth=1
	s_or_b32 exec_lo, exec_lo, s27
	v_lshlrev_b32_e32 v22, 8, v15
	v_lshl_add_u32 v6, v6, 10, 0x2000
	v_lshlrev_b32_e32 v2, 7, v2
	v_and_b32_e32 v22, 0x8000, v22
	v_and_b32_e32 v6, 0xfc00, v6
	v_or3_b32 v6, v22, v6, v2
.LBB329_2811:                           ;   in Loop: Header=BB329_2079 Depth=1
	s_or_b32 exec_lo, exec_lo, s26
.LBB329_2812:                           ;   in Loop: Header=BB329_2079 Depth=1
	s_or_b32 exec_lo, exec_lo, s25
.LBB329_2813:                           ;   in Loop: Header=BB329_2079 Depth=1
	s_or_b32 exec_lo, exec_lo, s21
	v_lshrrev_b16 v2, 8, v15
	s_mov_b32 s21, exec_lo
	v_cmpx_ne_u16_e32 0, v2
	s_cbranch_execz .LBB329_2821
; %bb.2814:                             ;   in Loop: Header=BB329_2079 Depth=1
	v_bfrev_b32_e32 v5, 1
	s_mov_b32 s25, exec_lo
	v_cmpx_ne_u16_e32 0x80, v2
	s_cbranch_execz .LBB329_2820
; %bb.2815:                             ;   in Loop: Header=BB329_2079 Depth=1
	v_and_b32_sdwa v23, v2, v97 dst_sel:DWORD dst_unused:UNUSED_PAD src0_sel:WORD_0 src1_sel:DWORD
	v_mov_b32_e32 v5, 0x7c010000
	s_mov_b32 s26, exec_lo
	v_cmpx_ne_u32_e32 0x7f, v23
	s_cbranch_execz .LBB329_2819
; %bb.2816:                             ;   in Loop: Header=BB329_2079 Depth=1
	v_and_b32_sdwa v5, v2, v64 dst_sel:DWORD dst_unused:UNUSED_PAD src0_sel:WORD_0 src1_sel:DWORD
	v_lshrrev_b32_e32 v22, 3, v23
	s_mov_b32 s27, exec_lo
	v_cmpx_gt_u32_e32 8, v23
; %bb.2817:                             ;   in Loop: Header=BB329_2079 Depth=1
	v_ffbh_u32_e32 v5, v5
	v_min_u32_e32 v5, 32, v5
	v_subrev_nc_u32_e32 v22, 28, v5
	v_lshlrev_b64 v[34:35], v22, v[2:3]
	v_sub_nc_u32_e32 v22, 29, v5
	v_and_b32_e32 v5, 7, v34
; %bb.2818:                             ;   in Loop: Header=BB329_2079 Depth=1
	s_or_b32 exec_lo, exec_lo, s27
	v_lshlrev_b32_sdwa v2, v61, v2 dst_sel:DWORD dst_unused:UNUSED_PAD src0_sel:DWORD src1_sel:WORD_0
	v_lshl_add_u32 v22, v22, 10, 0x2000
	v_lshlrev_b32_e32 v5, 23, v5
	v_and_or_b32 v2, 0x8000, v2, v22
	v_lshl_or_b32 v5, v2, 16, v5
.LBB329_2819:                           ;   in Loop: Header=BB329_2079 Depth=1
	s_or_b32 exec_lo, exec_lo, s26
.LBB329_2820:                           ;   in Loop: Header=BB329_2079 Depth=1
	s_or_b32 exec_lo, exec_lo, s25
.LBB329_2821:                           ;   in Loop: Header=BB329_2079 Depth=1
	s_or_b32 exec_lo, exec_lo, s21
	v_lshrrev_b32_e32 v2, 16, v15
	v_mov_b32_e32 v22, 0
	v_mov_b32_e32 v23, 0
	v_cmp_ne_u16_sdwa s12, v2, v3 src0_sel:BYTE_0 src1_sel:DWORD
	s_and_saveexec_b32 s21, s12
	s_cbranch_execz .LBB329_2829
; %bb.2822:                             ;   in Loop: Header=BB329_2079 Depth=1
	v_cmp_ne_u16_sdwa s12, v2, v96 src0_sel:BYTE_0 src1_sel:DWORD
	v_mov_b32_e32 v23, 0x8000
	s_and_saveexec_b32 s25, s12
	s_cbranch_execz .LBB329_2828
; %bb.2823:                             ;   in Loop: Header=BB329_2079 Depth=1
	v_bfe_u32 v35, v15, 16, 7
	v_mov_b32_e32 v23, 0x7c01
	s_mov_b32 s26, exec_lo
	v_cmpx_ne_u32_e32 0x7f, v35
	s_cbranch_execz .LBB329_2827
; %bb.2824:                             ;   in Loop: Header=BB329_2079 Depth=1
	v_and_b32_e32 v23, 7, v2
	v_lshrrev_b32_e32 v34, 3, v35
	s_mov_b32 s27, exec_lo
	v_cmpx_gt_u32_e32 8, v35
; %bb.2825:                             ;   in Loop: Header=BB329_2079 Depth=1
	v_ffbh_u32_e32 v23, v23
	v_min_u32_e32 v23, 32, v23
	v_subrev_nc_u32_e32 v34, 28, v23
	v_lshlrev_b64 v[35:36], v34, v[2:3]
	v_sub_nc_u32_e32 v34, 29, v23
	v_and_b32_e32 v23, 7, v35
; %bb.2826:                             ;   in Loop: Header=BB329_2079 Depth=1
	s_or_b32 exec_lo, exec_lo, s27
	v_lshlrev_b32_e32 v2, 8, v2
	v_lshl_add_u32 v34, v34, 10, 0x2000
	v_lshlrev_b32_e32 v23, 7, v23
	v_and_b32_e32 v2, 0x8000, v2
	v_and_b32_e32 v34, 0xfc00, v34
	v_or3_b32 v23, v2, v34, v23
.LBB329_2827:                           ;   in Loop: Header=BB329_2079 Depth=1
	s_or_b32 exec_lo, exec_lo, s26
.LBB329_2828:                           ;   in Loop: Header=BB329_2079 Depth=1
	s_or_b32 exec_lo, exec_lo, s25
.LBB329_2829:                           ;   in Loop: Header=BB329_2079 Depth=1
	s_or_b32 exec_lo, exec_lo, s21
	s_mov_b32 s21, exec_lo
	v_cmpx_lt_u32_e32 0xffffff, v15
	s_cbranch_execz .LBB329_2837
; %bb.2830:                             ;   in Loop: Header=BB329_2079 Depth=1
	v_lshrrev_b32_e32 v2, 24, v15
	v_bfrev_b32_e32 v22, 1
	s_mov_b32 s25, exec_lo
	v_cmpx_ne_u32_e32 0x80, v2
	s_cbranch_execz .LBB329_2836
; %bb.2831:                             ;   in Loop: Header=BB329_2079 Depth=1
	v_and_b32_e32 v35, 0x7f, v2
	v_mov_b32_e32 v22, 0x7c010000
	s_mov_b32 s26, exec_lo
	v_cmpx_ne_u32_e32 0x7f, v35
	s_cbranch_execz .LBB329_2835
; %bb.2832:                             ;   in Loop: Header=BB329_2079 Depth=1
	v_and_b32_e32 v22, 7, v2
	v_lshrrev_b32_e32 v34, 3, v35
	s_mov_b32 s27, exec_lo
	v_cmpx_gt_u32_e32 8, v35
; %bb.2833:                             ;   in Loop: Header=BB329_2079 Depth=1
	v_ffbh_u32_e32 v22, v22
	v_min_u32_e32 v22, 32, v22
	v_subrev_nc_u32_e32 v34, 28, v22
	v_lshlrev_b64 v[35:36], v34, v[2:3]
	v_sub_nc_u32_e32 v34, 29, v22
	v_and_b32_e32 v22, 7, v35
; %bb.2834:                             ;   in Loop: Header=BB329_2079 Depth=1
	s_or_b32 exec_lo, exec_lo, s27
	v_lshlrev_b32_e32 v2, 8, v2
	v_lshl_add_u32 v34, v34, 10, 0x2000
	v_lshlrev_b32_e32 v22, 23, v22
	v_and_or_b32 v2, 0x8000, v2, v34
	v_lshl_or_b32 v22, v2, 16, v22
.LBB329_2835:                           ;   in Loop: Header=BB329_2079 Depth=1
	s_or_b32 exec_lo, exec_lo, s26
.LBB329_2836:                           ;   in Loop: Header=BB329_2079 Depth=1
	s_or_b32 exec_lo, exec_lo, s25
.LBB329_2837:                           ;   in Loop: Header=BB329_2079 Depth=1
	s_or_b32 exec_lo, exec_lo, s21
	v_mov_b32_e32 v2, v16
	v_cmp_ne_u16_sdwa s12, v16, v3 src0_sel:BYTE_0 src1_sel:DWORD
	v_mov_b32_e32 v34, 0
	v_mov_b32_e32 v35, 0
	s_and_saveexec_b32 s21, s12
	s_cbranch_execz .LBB329_2845
; %bb.2838:                             ;   in Loop: Header=BB329_2079 Depth=1
	v_cmp_ne_u16_sdwa s12, v16, v96 src0_sel:BYTE_0 src1_sel:DWORD
	v_mov_b32_e32 v35, 0x8000
	s_and_saveexec_b32 s25, s12
	s_cbranch_execz .LBB329_2844
; %bb.2839:                             ;   in Loop: Header=BB329_2079 Depth=1
	v_and_b32_e32 v37, 0x7f, v16
	v_mov_b32_e32 v35, 0x7c01
	s_mov_b32 s26, exec_lo
	v_cmpx_ne_u32_e32 0x7f, v37
	s_cbranch_execz .LBB329_2843
; %bb.2840:                             ;   in Loop: Header=BB329_2079 Depth=1
	v_and_b32_e32 v35, 7, v16
	v_lshrrev_b32_e32 v36, 3, v37
	s_mov_b32 s27, exec_lo
	v_cmpx_gt_u32_e32 8, v37
; %bb.2841:                             ;   in Loop: Header=BB329_2079 Depth=1
	v_ffbh_u32_e32 v35, v35
	v_min_u32_e32 v37, 32, v35
	v_subrev_nc_u32_e32 v35, 28, v37
	v_lshlrev_b64 v[35:36], v35, v[2:3]
	v_sub_nc_u32_e32 v36, 29, v37
	v_and_b32_e32 v35, 7, v35
; %bb.2842:                             ;   in Loop: Header=BB329_2079 Depth=1
	s_or_b32 exec_lo, exec_lo, s27
	v_lshlrev_b32_e32 v37, 8, v16
	v_lshl_add_u32 v36, v36, 10, 0x2000
	v_lshlrev_b32_e32 v35, 7, v35
	v_and_b32_e32 v37, 0x8000, v37
	v_and_b32_e32 v36, 0xfc00, v36
	v_or3_b32 v35, v37, v36, v35
.LBB329_2843:                           ;   in Loop: Header=BB329_2079 Depth=1
	s_or_b32 exec_lo, exec_lo, s26
.LBB329_2844:                           ;   in Loop: Header=BB329_2079 Depth=1
	s_or_b32 exec_lo, exec_lo, s25
.LBB329_2845:                           ;   in Loop: Header=BB329_2079 Depth=1
	s_or_b32 exec_lo, exec_lo, s21
	v_lshrrev_b16 v2, 8, v2
	v_mov_b32_e32 v36, 0
	s_mov_b32 s21, exec_lo
	v_cmpx_ne_u16_e32 0, v2
	s_cbranch_execz .LBB329_2853
; %bb.2846:                             ;   in Loop: Header=BB329_2079 Depth=1
	v_bfrev_b32_e32 v36, 1
	s_mov_b32 s25, exec_lo
	v_cmpx_ne_u16_e32 0x80, v2
	s_cbranch_execz .LBB329_2852
; %bb.2847:                             ;   in Loop: Header=BB329_2079 Depth=1
	v_and_b32_sdwa v39, v2, v97 dst_sel:DWORD dst_unused:UNUSED_PAD src0_sel:WORD_0 src1_sel:DWORD
	v_mov_b32_e32 v36, 0x7c010000
	s_mov_b32 s26, exec_lo
	v_cmpx_ne_u32_e32 0x7f, v39
	s_cbranch_execz .LBB329_2851
; %bb.2848:                             ;   in Loop: Header=BB329_2079 Depth=1
	v_and_b32_sdwa v36, v2, v64 dst_sel:DWORD dst_unused:UNUSED_PAD src0_sel:WORD_0 src1_sel:DWORD
	v_lshrrev_b32_e32 v37, 3, v39
	s_mov_b32 s27, exec_lo
	v_cmpx_gt_u32_e32 8, v39
; %bb.2849:                             ;   in Loop: Header=BB329_2079 Depth=1
	v_ffbh_u32_e32 v36, v36
	v_min_u32_e32 v39, 32, v36
	v_subrev_nc_u32_e32 v36, 28, v39
	v_lshlrev_b64 v[36:37], v36, v[2:3]
	v_sub_nc_u32_e32 v37, 29, v39
	v_and_b32_e32 v36, 7, v36
; %bb.2850:                             ;   in Loop: Header=BB329_2079 Depth=1
	s_or_b32 exec_lo, exec_lo, s27
	v_lshlrev_b32_sdwa v2, v61, v2 dst_sel:DWORD dst_unused:UNUSED_PAD src0_sel:DWORD src1_sel:WORD_0
	v_lshl_add_u32 v37, v37, 10, 0x2000
	v_lshlrev_b32_e32 v36, 23, v36
	v_and_or_b32 v2, 0x8000, v2, v37
	v_lshl_or_b32 v36, v2, 16, v36
.LBB329_2851:                           ;   in Loop: Header=BB329_2079 Depth=1
	s_or_b32 exec_lo, exec_lo, s26
.LBB329_2852:                           ;   in Loop: Header=BB329_2079 Depth=1
	s_or_b32 exec_lo, exec_lo, s25
.LBB329_2853:                           ;   in Loop: Header=BB329_2079 Depth=1
	s_or_b32 exec_lo, exec_lo, s21
	v_lshrrev_b32_e32 v2, 16, v16
	v_cmp_ne_u16_sdwa s12, v2, v3 src0_sel:BYTE_0 src1_sel:DWORD
	s_and_saveexec_b32 s21, s12
	s_cbranch_execz .LBB329_2861
; %bb.2854:                             ;   in Loop: Header=BB329_2079 Depth=1
	v_cmp_ne_u16_sdwa s12, v2, v96 src0_sel:BYTE_0 src1_sel:DWORD
	v_mov_b32_e32 v34, 0x8000
	s_and_saveexec_b32 s25, s12
	s_cbranch_execz .LBB329_2860
; %bb.2855:                             ;   in Loop: Header=BB329_2079 Depth=1
	v_bfe_u32 v39, v16, 16, 7
	v_mov_b32_e32 v34, 0x7c01
	s_mov_b32 s26, exec_lo
	v_cmpx_ne_u32_e32 0x7f, v39
	s_cbranch_execz .LBB329_2859
; %bb.2856:                             ;   in Loop: Header=BB329_2079 Depth=1
	v_and_b32_e32 v34, 7, v2
	v_lshrrev_b32_e32 v37, 3, v39
	s_mov_b32 s27, exec_lo
	v_cmpx_gt_u32_e32 8, v39
; %bb.2857:                             ;   in Loop: Header=BB329_2079 Depth=1
	v_ffbh_u32_e32 v34, v34
	v_min_u32_e32 v34, 32, v34
	v_subrev_nc_u32_e32 v37, 28, v34
	v_lshlrev_b64 v[81:82], v37, v[2:3]
	v_sub_nc_u32_e32 v37, 29, v34
	v_and_b32_e32 v34, 7, v81
; %bb.2858:                             ;   in Loop: Header=BB329_2079 Depth=1
	s_or_b32 exec_lo, exec_lo, s27
	v_lshlrev_b32_e32 v2, 8, v2
	v_lshl_add_u32 v37, v37, 10, 0x2000
	v_lshlrev_b32_e32 v34, 7, v34
	v_and_b32_e32 v2, 0x8000, v2
	v_and_b32_e32 v37, 0xfc00, v37
	v_or3_b32 v34, v2, v37, v34
.LBB329_2859:                           ;   in Loop: Header=BB329_2079 Depth=1
	s_or_b32 exec_lo, exec_lo, s26
.LBB329_2860:                           ;   in Loop: Header=BB329_2079 Depth=1
	s_or_b32 exec_lo, exec_lo, s25
.LBB329_2861:                           ;   in Loop: Header=BB329_2079 Depth=1
	s_or_b32 exec_lo, exec_lo, s21
	v_cmp_lt_u64_e64 s12, s[22:23], v[15:16]
	v_mov_b32_e32 v15, 0
	s_and_saveexec_b32 s21, s12
	s_cbranch_execz .LBB329_2869
; %bb.2862:                             ;   in Loop: Header=BB329_2079 Depth=1
	v_lshrrev_b32_e32 v2, 24, v16
	v_bfrev_b32_e32 v15, 1
	s_mov_b32 s25, exec_lo
	v_cmpx_ne_u32_e32 0x80, v2
	s_cbranch_execz .LBB329_2868
; %bb.2863:                             ;   in Loop: Header=BB329_2079 Depth=1
	v_and_b32_e32 v37, 0x7f, v2
	v_mov_b32_e32 v15, 0x7c010000
	s_mov_b32 s26, exec_lo
	v_cmpx_ne_u32_e32 0x7f, v37
	s_cbranch_execz .LBB329_2867
; %bb.2864:                             ;   in Loop: Header=BB329_2079 Depth=1
	v_and_b32_e32 v15, 7, v2
	v_lshrrev_b32_e32 v16, 3, v37
	s_mov_b32 s27, exec_lo
	v_cmpx_gt_u32_e32 8, v37
; %bb.2865:                             ;   in Loop: Header=BB329_2079 Depth=1
	v_ffbh_u32_e32 v15, v15
	v_min_u32_e32 v37, 32, v15
	v_subrev_nc_u32_e32 v15, 28, v37
	v_lshlrev_b64 v[15:16], v15, v[2:3]
	v_sub_nc_u32_e32 v16, 29, v37
	v_and_b32_e32 v15, 7, v15
; %bb.2866:                             ;   in Loop: Header=BB329_2079 Depth=1
	s_or_b32 exec_lo, exec_lo, s27
	v_lshlrev_b32_e32 v2, 8, v2
	v_lshl_add_u32 v16, v16, 10, 0x2000
	v_lshlrev_b32_e32 v15, 23, v15
	v_and_or_b32 v2, 0x8000, v2, v16
	v_lshl_or_b32 v15, v2, 16, v15
.LBB329_2867:                           ;   in Loop: Header=BB329_2079 Depth=1
	s_or_b32 exec_lo, exec_lo, s26
.LBB329_2868:                           ;   in Loop: Header=BB329_2079 Depth=1
	s_or_b32 exec_lo, exec_lo, s25
.LBB329_2869:                           ;   in Loop: Header=BB329_2079 Depth=1
	s_or_b32 exec_lo, exec_lo, s21
	v_or_b32_e32 v2, v22, v23
	s_waitcnt vmcnt(0) lgkmcnt(0)
	v_fma_mixlo_f16 v16, v4, v22, 0 op_sel:[0,1,0] op_sel_hi:[0,1,0]
	v_or_b32_e32 v22, v5, v6
	v_or_b32_e32 v23, v36, v35
	;; [unrolled: 1-line block ×3, first 2 shown]
	v_fma_mixlo_f16 v5, v4, v5, 0 op_sel:[0,1,0] op_sel_hi:[0,1,0]
	v_fma_mixlo_f16 v35, v4, v2, 0 op_sel_hi:[0,1,0]
	v_lshlrev_b32_e32 v2, 16, v16
	v_fma_mixlo_f16 v16, v4, v22, 0 op_sel_hi:[0,1,0]
	v_fma_mixlo_f16 v22, v4, v36, 0 op_sel:[0,1,0] op_sel_hi:[0,1,0]
	v_fma_mixlo_f16 v23, v4, v23, 0 op_sel_hi:[0,1,0]
	v_fma_mixlo_f16 v15, v4, v15, 0 op_sel:[0,1,0] op_sel_hi:[0,1,0]
	v_fma_mixlo_f16 v4, v4, v34, 0 op_sel_hi:[0,1,0]
	v_lshlrev_b32_e32 v6, 16, v5
	v_and_b32_e32 v5, 0xffff, v35
	v_and_b32_e32 v37, 0xffff, v16
	v_lshlrev_b32_e32 v34, 16, v22
	v_and_b32_e32 v36, 0xffff, v23
	v_lshlrev_b32_e32 v23, 16, v15
	v_and_b32_e32 v35, 0xffff, v4
	v_or_b32_e32 v4, v2, v5
	v_or_b32_e32 v22, v6, v37
	v_or_b32_e32 v16, v34, v36
	v_or_b32_e32 v15, v23, v35
	s_and_saveexec_b32 s12, s6
	s_cbranch_execz .LBB329_2871
; %bb.2870:                             ;   in Loop: Header=BB329_2079 Depth=1
	v_cndmask_b32_e32 v4, 0, v37, vcc_lo
	v_cndmask_b32_e64 v6, 0, v6, s5
	v_cndmask_b32_e64 v5, 0, v5, s4
	;; [unrolled: 1-line block ×7, first 2 shown]
	v_or_b32_e32 v22, v4, v6
	v_or_b32_e32 v4, v5, v2
	;; [unrolled: 1-line block ×4, first 2 shown]
.LBB329_2871:                           ;   in Loop: Header=BB329_2079 Depth=1
	s_or_b32 exec_lo, exec_lo, s12
	;;#ASMSTART
	v_pk_mul_f16 v2, v103, v22;

	;;#ASMEND
	;;#ASMSTART
	v_pk_mul_f16 v4, v102, v4;

	;;#ASMEND
	;; [unrolled: 4-line block ×4, first 2 shown]
	;;#ASMSTART
	v_pk_add_f16 v2, v2, v4;

	;;#ASMEND
	;;#ASMSTART
	v_pk_add_f16 v2, v2, v5;

	;;#ASMEND
	;; [unrolled: 4-line block ×3, first 2 shown]
	v_and_b32_e32 v4, 0xffff, v2
	v_lshrrev_b32_e32 v2, 16, v2
	;;#ASMSTART
	v_cvt_f32_f16 v39, v4;
	;;#ASMEND
	;;#ASMSTART
	v_cvt_f32_f16 v119, v2;
	;;#ASMEND
	flat_load_dwordx2 v[15:16], v[13:14] offset:1024
	s_clause 0x1
	buffer_load_dword v4, off, s[0:3], s32 offset:192
	buffer_load_dword v5, off, s[0:3], s32 offset:196
	v_mov_b32_e32 v6, 0
	s_waitcnt vmcnt(2) lgkmcnt(0)
	v_cmp_ne_u16_sdwa s12, v15, v3 src0_sel:BYTE_0 src1_sel:DWORD
	s_waitcnt vmcnt(0)
	flat_load_dword v4, v[4:5]
	v_mov_b32_e32 v5, 0
	s_and_saveexec_b32 s21, s12
	s_cbranch_execz .LBB329_2879
; %bb.2872:                             ;   in Loop: Header=BB329_2079 Depth=1
	v_cmp_ne_u16_sdwa s12, v15, v96 src0_sel:BYTE_0 src1_sel:DWORD
	v_mov_b32_e32 v6, 0x8000
	s_and_saveexec_b32 s25, s12
	s_cbranch_execz .LBB329_2878
; %bb.2873:                             ;   in Loop: Header=BB329_2079 Depth=1
	v_and_b32_e32 v22, 0x7f, v15
	v_mov_b32_e32 v6, 0x7c01
	s_mov_b32 s26, exec_lo
	v_cmpx_ne_u32_e32 0x7f, v22
	s_cbranch_execz .LBB329_2877
; %bb.2874:                             ;   in Loop: Header=BB329_2079 Depth=1
	v_and_b32_e32 v2, 7, v15
	v_lshrrev_b32_e32 v6, 3, v22
	s_mov_b32 s27, exec_lo
	v_cmpx_gt_u32_e32 8, v22
; %bb.2875:                             ;   in Loop: Header=BB329_2079 Depth=1
	v_ffbh_u32_e32 v2, v2
	v_min_u32_e32 v2, 32, v2
	v_subrev_nc_u32_e32 v6, 28, v2
	v_lshlrev_b64 v[22:23], v6, v[15:16]
	v_sub_nc_u32_e32 v6, 29, v2
	v_and_b32_e32 v2, 7, v22
; %bb.2876:                             ;   in Loop: Header=BB329_2079 Depth=1
	s_or_b32 exec_lo, exec_lo, s27
	v_lshlrev_b32_e32 v22, 8, v15
	v_lshl_add_u32 v6, v6, 10, 0x2000
	v_lshlrev_b32_e32 v2, 7, v2
	v_and_b32_e32 v22, 0x8000, v22
	v_and_b32_e32 v6, 0xfc00, v6
	v_or3_b32 v6, v22, v6, v2
.LBB329_2877:                           ;   in Loop: Header=BB329_2079 Depth=1
	s_or_b32 exec_lo, exec_lo, s26
.LBB329_2878:                           ;   in Loop: Header=BB329_2079 Depth=1
	s_or_b32 exec_lo, exec_lo, s25
.LBB329_2879:                           ;   in Loop: Header=BB329_2079 Depth=1
	s_or_b32 exec_lo, exec_lo, s21
	v_lshrrev_b16 v2, 8, v15
	s_mov_b32 s21, exec_lo
	v_cmpx_ne_u16_e32 0, v2
	s_cbranch_execz .LBB329_2887
; %bb.2880:                             ;   in Loop: Header=BB329_2079 Depth=1
	v_bfrev_b32_e32 v5, 1
	s_mov_b32 s25, exec_lo
	v_cmpx_ne_u16_e32 0x80, v2
	s_cbranch_execz .LBB329_2886
; %bb.2881:                             ;   in Loop: Header=BB329_2079 Depth=1
	v_and_b32_sdwa v23, v2, v97 dst_sel:DWORD dst_unused:UNUSED_PAD src0_sel:WORD_0 src1_sel:DWORD
	v_mov_b32_e32 v5, 0x7c010000
	s_mov_b32 s26, exec_lo
	v_cmpx_ne_u32_e32 0x7f, v23
	s_cbranch_execz .LBB329_2885
; %bb.2882:                             ;   in Loop: Header=BB329_2079 Depth=1
	v_and_b32_sdwa v5, v2, v64 dst_sel:DWORD dst_unused:UNUSED_PAD src0_sel:WORD_0 src1_sel:DWORD
	v_lshrrev_b32_e32 v22, 3, v23
	s_mov_b32 s27, exec_lo
	v_cmpx_gt_u32_e32 8, v23
; %bb.2883:                             ;   in Loop: Header=BB329_2079 Depth=1
	v_ffbh_u32_e32 v5, v5
	v_min_u32_e32 v5, 32, v5
	v_subrev_nc_u32_e32 v22, 28, v5
	v_lshlrev_b64 v[34:35], v22, v[2:3]
	v_sub_nc_u32_e32 v22, 29, v5
	v_and_b32_e32 v5, 7, v34
; %bb.2884:                             ;   in Loop: Header=BB329_2079 Depth=1
	s_or_b32 exec_lo, exec_lo, s27
	v_lshlrev_b32_sdwa v2, v61, v2 dst_sel:DWORD dst_unused:UNUSED_PAD src0_sel:DWORD src1_sel:WORD_0
	v_lshl_add_u32 v22, v22, 10, 0x2000
	v_lshlrev_b32_e32 v5, 23, v5
	v_and_or_b32 v2, 0x8000, v2, v22
	v_lshl_or_b32 v5, v2, 16, v5
.LBB329_2885:                           ;   in Loop: Header=BB329_2079 Depth=1
	s_or_b32 exec_lo, exec_lo, s26
.LBB329_2886:                           ;   in Loop: Header=BB329_2079 Depth=1
	s_or_b32 exec_lo, exec_lo, s25
.LBB329_2887:                           ;   in Loop: Header=BB329_2079 Depth=1
	s_or_b32 exec_lo, exec_lo, s21
	v_lshrrev_b32_e32 v2, 16, v15
	v_mov_b32_e32 v22, 0
	v_mov_b32_e32 v23, 0
	v_cmp_ne_u16_sdwa s12, v2, v3 src0_sel:BYTE_0 src1_sel:DWORD
	s_and_saveexec_b32 s21, s12
	s_cbranch_execz .LBB329_2895
; %bb.2888:                             ;   in Loop: Header=BB329_2079 Depth=1
	v_cmp_ne_u16_sdwa s12, v2, v96 src0_sel:BYTE_0 src1_sel:DWORD
	v_mov_b32_e32 v23, 0x8000
	s_and_saveexec_b32 s25, s12
	s_cbranch_execz .LBB329_2894
; %bb.2889:                             ;   in Loop: Header=BB329_2079 Depth=1
	v_bfe_u32 v35, v15, 16, 7
	v_mov_b32_e32 v23, 0x7c01
	s_mov_b32 s26, exec_lo
	v_cmpx_ne_u32_e32 0x7f, v35
	s_cbranch_execz .LBB329_2893
; %bb.2890:                             ;   in Loop: Header=BB329_2079 Depth=1
	v_and_b32_e32 v23, 7, v2
	v_lshrrev_b32_e32 v34, 3, v35
	s_mov_b32 s27, exec_lo
	v_cmpx_gt_u32_e32 8, v35
; %bb.2891:                             ;   in Loop: Header=BB329_2079 Depth=1
	v_ffbh_u32_e32 v23, v23
	v_min_u32_e32 v23, 32, v23
	v_subrev_nc_u32_e32 v34, 28, v23
	v_lshlrev_b64 v[35:36], v34, v[2:3]
	v_sub_nc_u32_e32 v34, 29, v23
	v_and_b32_e32 v23, 7, v35
; %bb.2892:                             ;   in Loop: Header=BB329_2079 Depth=1
	s_or_b32 exec_lo, exec_lo, s27
	v_lshlrev_b32_e32 v2, 8, v2
	v_lshl_add_u32 v34, v34, 10, 0x2000
	v_lshlrev_b32_e32 v23, 7, v23
	v_and_b32_e32 v2, 0x8000, v2
	v_and_b32_e32 v34, 0xfc00, v34
	v_or3_b32 v23, v2, v34, v23
.LBB329_2893:                           ;   in Loop: Header=BB329_2079 Depth=1
	s_or_b32 exec_lo, exec_lo, s26
.LBB329_2894:                           ;   in Loop: Header=BB329_2079 Depth=1
	s_or_b32 exec_lo, exec_lo, s25
.LBB329_2895:                           ;   in Loop: Header=BB329_2079 Depth=1
	s_or_b32 exec_lo, exec_lo, s21
	s_mov_b32 s21, exec_lo
	v_cmpx_lt_u32_e32 0xffffff, v15
	s_cbranch_execz .LBB329_2903
; %bb.2896:                             ;   in Loop: Header=BB329_2079 Depth=1
	v_lshrrev_b32_e32 v2, 24, v15
	v_bfrev_b32_e32 v22, 1
	s_mov_b32 s25, exec_lo
	v_cmpx_ne_u32_e32 0x80, v2
	s_cbranch_execz .LBB329_2902
; %bb.2897:                             ;   in Loop: Header=BB329_2079 Depth=1
	v_and_b32_e32 v35, 0x7f, v2
	v_mov_b32_e32 v22, 0x7c010000
	s_mov_b32 s26, exec_lo
	v_cmpx_ne_u32_e32 0x7f, v35
	s_cbranch_execz .LBB329_2901
; %bb.2898:                             ;   in Loop: Header=BB329_2079 Depth=1
	v_and_b32_e32 v22, 7, v2
	v_lshrrev_b32_e32 v34, 3, v35
	s_mov_b32 s27, exec_lo
	v_cmpx_gt_u32_e32 8, v35
; %bb.2899:                             ;   in Loop: Header=BB329_2079 Depth=1
	v_ffbh_u32_e32 v22, v22
	v_min_u32_e32 v22, 32, v22
	v_subrev_nc_u32_e32 v34, 28, v22
	v_lshlrev_b64 v[35:36], v34, v[2:3]
	v_sub_nc_u32_e32 v34, 29, v22
	v_and_b32_e32 v22, 7, v35
; %bb.2900:                             ;   in Loop: Header=BB329_2079 Depth=1
	s_or_b32 exec_lo, exec_lo, s27
	v_lshlrev_b32_e32 v2, 8, v2
	v_lshl_add_u32 v34, v34, 10, 0x2000
	v_lshlrev_b32_e32 v22, 23, v22
	v_and_or_b32 v2, 0x8000, v2, v34
	v_lshl_or_b32 v22, v2, 16, v22
.LBB329_2901:                           ;   in Loop: Header=BB329_2079 Depth=1
	s_or_b32 exec_lo, exec_lo, s26
.LBB329_2902:                           ;   in Loop: Header=BB329_2079 Depth=1
	s_or_b32 exec_lo, exec_lo, s25
.LBB329_2903:                           ;   in Loop: Header=BB329_2079 Depth=1
	s_or_b32 exec_lo, exec_lo, s21
	v_mov_b32_e32 v2, v16
	v_cmp_ne_u16_sdwa s12, v16, v3 src0_sel:BYTE_0 src1_sel:DWORD
	v_mov_b32_e32 v34, 0
	v_mov_b32_e32 v35, 0
	s_and_saveexec_b32 s21, s12
	s_cbranch_execz .LBB329_2911
; %bb.2904:                             ;   in Loop: Header=BB329_2079 Depth=1
	v_cmp_ne_u16_sdwa s12, v16, v96 src0_sel:BYTE_0 src1_sel:DWORD
	v_mov_b32_e32 v35, 0x8000
	s_and_saveexec_b32 s25, s12
	s_cbranch_execz .LBB329_2910
; %bb.2905:                             ;   in Loop: Header=BB329_2079 Depth=1
	v_and_b32_e32 v37, 0x7f, v16
	v_mov_b32_e32 v35, 0x7c01
	s_mov_b32 s26, exec_lo
	v_cmpx_ne_u32_e32 0x7f, v37
	s_cbranch_execz .LBB329_2909
; %bb.2906:                             ;   in Loop: Header=BB329_2079 Depth=1
	v_and_b32_e32 v35, 7, v16
	v_lshrrev_b32_e32 v36, 3, v37
	s_mov_b32 s27, exec_lo
	v_cmpx_gt_u32_e32 8, v37
; %bb.2907:                             ;   in Loop: Header=BB329_2079 Depth=1
	v_ffbh_u32_e32 v35, v35
	v_min_u32_e32 v37, 32, v35
	v_subrev_nc_u32_e32 v35, 28, v37
	v_lshlrev_b64 v[35:36], v35, v[2:3]
	v_sub_nc_u32_e32 v36, 29, v37
	v_and_b32_e32 v35, 7, v35
; %bb.2908:                             ;   in Loop: Header=BB329_2079 Depth=1
	s_or_b32 exec_lo, exec_lo, s27
	v_lshlrev_b32_e32 v37, 8, v16
	v_lshl_add_u32 v36, v36, 10, 0x2000
	v_lshlrev_b32_e32 v35, 7, v35
	v_and_b32_e32 v37, 0x8000, v37
	v_and_b32_e32 v36, 0xfc00, v36
	v_or3_b32 v35, v37, v36, v35
.LBB329_2909:                           ;   in Loop: Header=BB329_2079 Depth=1
	s_or_b32 exec_lo, exec_lo, s26
.LBB329_2910:                           ;   in Loop: Header=BB329_2079 Depth=1
	s_or_b32 exec_lo, exec_lo, s25
.LBB329_2911:                           ;   in Loop: Header=BB329_2079 Depth=1
	s_or_b32 exec_lo, exec_lo, s21
	v_lshrrev_b16 v2, 8, v2
	v_mov_b32_e32 v36, 0
	s_mov_b32 s21, exec_lo
	v_cmpx_ne_u16_e32 0, v2
	s_cbranch_execz .LBB329_2919
; %bb.2912:                             ;   in Loop: Header=BB329_2079 Depth=1
	v_bfrev_b32_e32 v36, 1
	s_mov_b32 s25, exec_lo
	v_cmpx_ne_u16_e32 0x80, v2
	s_cbranch_execz .LBB329_2918
; %bb.2913:                             ;   in Loop: Header=BB329_2079 Depth=1
	v_and_b32_sdwa v81, v2, v97 dst_sel:DWORD dst_unused:UNUSED_PAD src0_sel:WORD_0 src1_sel:DWORD
	v_mov_b32_e32 v36, 0x7c010000
	s_mov_b32 s26, exec_lo
	v_cmpx_ne_u32_e32 0x7f, v81
	s_cbranch_execz .LBB329_2917
; %bb.2914:                             ;   in Loop: Header=BB329_2079 Depth=1
	v_and_b32_sdwa v36, v2, v64 dst_sel:DWORD dst_unused:UNUSED_PAD src0_sel:WORD_0 src1_sel:DWORD
	v_lshrrev_b32_e32 v37, 3, v81
	s_mov_b32 s27, exec_lo
	v_cmpx_gt_u32_e32 8, v81
; %bb.2915:                             ;   in Loop: Header=BB329_2079 Depth=1
	v_ffbh_u32_e32 v36, v36
	v_min_u32_e32 v81, 32, v36
	v_subrev_nc_u32_e32 v36, 28, v81
	v_lshlrev_b64 v[36:37], v36, v[2:3]
	v_sub_nc_u32_e32 v37, 29, v81
	v_and_b32_e32 v36, 7, v36
; %bb.2916:                             ;   in Loop: Header=BB329_2079 Depth=1
	s_or_b32 exec_lo, exec_lo, s27
	v_lshlrev_b32_sdwa v2, v61, v2 dst_sel:DWORD dst_unused:UNUSED_PAD src0_sel:DWORD src1_sel:WORD_0
	v_lshl_add_u32 v37, v37, 10, 0x2000
	v_lshlrev_b32_e32 v36, 23, v36
	v_and_or_b32 v2, 0x8000, v2, v37
	v_lshl_or_b32 v36, v2, 16, v36
.LBB329_2917:                           ;   in Loop: Header=BB329_2079 Depth=1
	s_or_b32 exec_lo, exec_lo, s26
.LBB329_2918:                           ;   in Loop: Header=BB329_2079 Depth=1
	s_or_b32 exec_lo, exec_lo, s25
.LBB329_2919:                           ;   in Loop: Header=BB329_2079 Depth=1
	s_or_b32 exec_lo, exec_lo, s21
	v_lshrrev_b32_e32 v2, 16, v16
	v_cmp_ne_u16_sdwa s12, v2, v3 src0_sel:BYTE_0 src1_sel:DWORD
	s_and_saveexec_b32 s21, s12
	s_cbranch_execz .LBB329_2927
; %bb.2920:                             ;   in Loop: Header=BB329_2079 Depth=1
	v_cmp_ne_u16_sdwa s12, v2, v96 src0_sel:BYTE_0 src1_sel:DWORD
	v_mov_b32_e32 v34, 0x8000
	s_and_saveexec_b32 s25, s12
	s_cbranch_execz .LBB329_2926
; %bb.2921:                             ;   in Loop: Header=BB329_2079 Depth=1
	v_bfe_u32 v81, v16, 16, 7
	v_mov_b32_e32 v34, 0x7c01
	s_mov_b32 s26, exec_lo
	v_cmpx_ne_u32_e32 0x7f, v81
	s_cbranch_execz .LBB329_2925
; %bb.2922:                             ;   in Loop: Header=BB329_2079 Depth=1
	v_and_b32_e32 v34, 7, v2
	v_lshrrev_b32_e32 v37, 3, v81
	s_mov_b32 s27, exec_lo
	v_cmpx_gt_u32_e32 8, v81
; %bb.2923:                             ;   in Loop: Header=BB329_2079 Depth=1
	v_ffbh_u32_e32 v34, v34
	v_min_u32_e32 v34, 32, v34
	v_subrev_nc_u32_e32 v37, 28, v34
	v_lshlrev_b64 v[81:82], v37, v[2:3]
	v_sub_nc_u32_e32 v37, 29, v34
	v_and_b32_e32 v34, 7, v81
; %bb.2924:                             ;   in Loop: Header=BB329_2079 Depth=1
	s_or_b32 exec_lo, exec_lo, s27
	v_lshlrev_b32_e32 v2, 8, v2
	v_lshl_add_u32 v37, v37, 10, 0x2000
	v_lshlrev_b32_e32 v34, 7, v34
	v_and_b32_e32 v2, 0x8000, v2
	v_and_b32_e32 v37, 0xfc00, v37
	v_or3_b32 v34, v2, v37, v34
.LBB329_2925:                           ;   in Loop: Header=BB329_2079 Depth=1
	s_or_b32 exec_lo, exec_lo, s26
.LBB329_2926:                           ;   in Loop: Header=BB329_2079 Depth=1
	s_or_b32 exec_lo, exec_lo, s25
.LBB329_2927:                           ;   in Loop: Header=BB329_2079 Depth=1
	s_or_b32 exec_lo, exec_lo, s21
	v_cmp_lt_u64_e64 s12, s[22:23], v[15:16]
	v_mov_b32_e32 v15, 0
	s_and_saveexec_b32 s21, s12
	s_cbranch_execz .LBB329_2935
; %bb.2928:                             ;   in Loop: Header=BB329_2079 Depth=1
	v_lshrrev_b32_e32 v2, 24, v16
	v_bfrev_b32_e32 v15, 1
	s_mov_b32 s25, exec_lo
	v_cmpx_ne_u32_e32 0x80, v2
	s_cbranch_execz .LBB329_2934
; %bb.2929:                             ;   in Loop: Header=BB329_2079 Depth=1
	v_and_b32_e32 v37, 0x7f, v2
	v_mov_b32_e32 v15, 0x7c010000
	s_mov_b32 s26, exec_lo
	v_cmpx_ne_u32_e32 0x7f, v37
	s_cbranch_execz .LBB329_2933
; %bb.2930:                             ;   in Loop: Header=BB329_2079 Depth=1
	v_and_b32_e32 v15, 7, v2
	v_lshrrev_b32_e32 v16, 3, v37
	s_mov_b32 s27, exec_lo
	v_cmpx_gt_u32_e32 8, v37
; %bb.2931:                             ;   in Loop: Header=BB329_2079 Depth=1
	v_ffbh_u32_e32 v15, v15
	v_min_u32_e32 v37, 32, v15
	v_subrev_nc_u32_e32 v15, 28, v37
	v_lshlrev_b64 v[15:16], v15, v[2:3]
	v_sub_nc_u32_e32 v16, 29, v37
	v_and_b32_e32 v15, 7, v15
; %bb.2932:                             ;   in Loop: Header=BB329_2079 Depth=1
	s_or_b32 exec_lo, exec_lo, s27
	v_lshlrev_b32_e32 v2, 8, v2
	v_lshl_add_u32 v16, v16, 10, 0x2000
	v_lshlrev_b32_e32 v15, 23, v15
	v_and_or_b32 v2, 0x8000, v2, v16
	v_lshl_or_b32 v15, v2, 16, v15
.LBB329_2933:                           ;   in Loop: Header=BB329_2079 Depth=1
	s_or_b32 exec_lo, exec_lo, s26
.LBB329_2934:                           ;   in Loop: Header=BB329_2079 Depth=1
	s_or_b32 exec_lo, exec_lo, s25
.LBB329_2935:                           ;   in Loop: Header=BB329_2079 Depth=1
	s_or_b32 exec_lo, exec_lo, s21
	v_or_b32_e32 v2, v22, v23
	s_waitcnt vmcnt(0) lgkmcnt(0)
	v_fma_mixlo_f16 v16, v4, v22, 0 op_sel:[0,1,0] op_sel_hi:[0,1,0]
	v_or_b32_e32 v22, v5, v6
	v_or_b32_e32 v23, v36, v35
	;; [unrolled: 1-line block ×3, first 2 shown]
	v_fma_mixlo_f16 v5, v4, v5, 0 op_sel:[0,1,0] op_sel_hi:[0,1,0]
	v_fma_mixlo_f16 v35, v4, v2, 0 op_sel_hi:[0,1,0]
	v_lshlrev_b32_e32 v2, 16, v16
	v_fma_mixlo_f16 v16, v4, v22, 0 op_sel_hi:[0,1,0]
	v_fma_mixlo_f16 v22, v4, v36, 0 op_sel:[0,1,0] op_sel_hi:[0,1,0]
	v_fma_mixlo_f16 v23, v4, v23, 0 op_sel_hi:[0,1,0]
	v_fma_mixlo_f16 v15, v4, v15, 0 op_sel:[0,1,0] op_sel_hi:[0,1,0]
	v_fma_mixlo_f16 v4, v4, v34, 0 op_sel_hi:[0,1,0]
	v_lshlrev_b32_e32 v6, 16, v5
	v_and_b32_e32 v5, 0xffff, v35
	v_and_b32_e32 v37, 0xffff, v16
	v_lshlrev_b32_e32 v34, 16, v22
	v_and_b32_e32 v36, 0xffff, v23
	v_lshlrev_b32_e32 v23, 16, v15
	v_and_b32_e32 v35, 0xffff, v4
	v_or_b32_e32 v4, v2, v5
	v_or_b32_e32 v22, v6, v37
	;; [unrolled: 1-line block ×4, first 2 shown]
	s_and_saveexec_b32 s12, s6
	s_cbranch_execz .LBB329_2937
; %bb.2936:                             ;   in Loop: Header=BB329_2079 Depth=1
	v_cndmask_b32_e32 v4, 0, v37, vcc_lo
	v_cndmask_b32_e64 v6, 0, v6, s5
	v_cndmask_b32_e64 v5, 0, v5, s4
	;; [unrolled: 1-line block ×7, first 2 shown]
	v_or_b32_e32 v22, v4, v6
	v_or_b32_e32 v4, v5, v2
	;; [unrolled: 1-line block ×4, first 2 shown]
.LBB329_2937:                           ;   in Loop: Header=BB329_2079 Depth=1
	s_or_b32 exec_lo, exec_lo, s12
	;;#ASMSTART
	v_pk_mul_f16 v2, v103, v22;

	;;#ASMEND
	;;#ASMSTART
	v_pk_mul_f16 v4, v102, v4;

	;;#ASMEND
	;; [unrolled: 4-line block ×4, first 2 shown]
	;;#ASMSTART
	v_pk_add_f16 v2, v2, v4;

	;;#ASMEND
	;;#ASMSTART
	v_pk_add_f16 v2, v2, v5;

	;;#ASMEND
	;; [unrolled: 4-line block ×3, first 2 shown]
	v_and_b32_e32 v4, 0xffff, v2
	v_lshrrev_b32_e32 v2, 16, v2
	;;#ASMSTART
	v_cvt_f32_f16 v4, v4;
	;;#ASMEND
	;;#ASMSTART
	v_cvt_f32_f16 v5, v2;
	;;#ASMEND
	flat_load_dwordx2 v[15:16], v[13:14] offset:1280
	s_clause 0x1
	buffer_load_dword v22, off, s[0:3], s32 offset:192
	buffer_load_dword v23, off, s[0:3], s32 offset:196
	s_waitcnt vmcnt(2) lgkmcnt(0)
	v_cmp_ne_u16_sdwa s12, v15, v3 src0_sel:BYTE_0 src1_sel:DWORD
	s_waitcnt vmcnt(0)
	flat_load_dword v6, v[22:23]
	v_mov_b32_e32 v22, 0
	v_mov_b32_e32 v23, 0
	s_and_saveexec_b32 s21, s12
	s_cbranch_execz .LBB329_2945
; %bb.2938:                             ;   in Loop: Header=BB329_2079 Depth=1
	v_cmp_ne_u16_sdwa s12, v15, v96 src0_sel:BYTE_0 src1_sel:DWORD
	v_mov_b32_e32 v23, 0x8000
	s_and_saveexec_b32 s25, s12
	s_cbranch_execz .LBB329_2944
; %bb.2939:                             ;   in Loop: Header=BB329_2079 Depth=1
	v_and_b32_e32 v34, 0x7f, v15
	v_mov_b32_e32 v23, 0x7c01
	s_mov_b32 s26, exec_lo
	v_cmpx_ne_u32_e32 0x7f, v34
	s_cbranch_execz .LBB329_2943
; %bb.2940:                             ;   in Loop: Header=BB329_2079 Depth=1
	v_and_b32_e32 v2, 7, v15
	v_lshrrev_b32_e32 v23, 3, v34
	s_mov_b32 s27, exec_lo
	v_cmpx_gt_u32_e32 8, v34
; %bb.2941:                             ;   in Loop: Header=BB329_2079 Depth=1
	v_ffbh_u32_e32 v2, v2
	v_min_u32_e32 v2, 32, v2
	v_subrev_nc_u32_e32 v23, 28, v2
	v_lshlrev_b64 v[34:35], v23, v[15:16]
	v_sub_nc_u32_e32 v23, 29, v2
	v_and_b32_e32 v2, 7, v34
; %bb.2942:                             ;   in Loop: Header=BB329_2079 Depth=1
	s_or_b32 exec_lo, exec_lo, s27
	v_lshlrev_b32_e32 v34, 8, v15
	v_lshl_add_u32 v23, v23, 10, 0x2000
	v_lshlrev_b32_e32 v2, 7, v2
	v_and_b32_e32 v34, 0x8000, v34
	v_and_b32_e32 v23, 0xfc00, v23
	v_or3_b32 v23, v34, v23, v2
.LBB329_2943:                           ;   in Loop: Header=BB329_2079 Depth=1
	s_or_b32 exec_lo, exec_lo, s26
.LBB329_2944:                           ;   in Loop: Header=BB329_2079 Depth=1
	s_or_b32 exec_lo, exec_lo, s25
.LBB329_2945:                           ;   in Loop: Header=BB329_2079 Depth=1
	s_or_b32 exec_lo, exec_lo, s21
	v_lshrrev_b16 v2, 8, v15
	s_mov_b32 s21, exec_lo
	v_cmpx_ne_u16_e32 0, v2
	s_cbranch_execz .LBB329_2953
; %bb.2946:                             ;   in Loop: Header=BB329_2079 Depth=1
	v_bfrev_b32_e32 v22, 1
	s_mov_b32 s25, exec_lo
	v_cmpx_ne_u16_e32 0x80, v2
	s_cbranch_execz .LBB329_2952
; %bb.2947:                             ;   in Loop: Header=BB329_2079 Depth=1
	v_and_b32_sdwa v35, v2, v97 dst_sel:DWORD dst_unused:UNUSED_PAD src0_sel:WORD_0 src1_sel:DWORD
	v_mov_b32_e32 v22, 0x7c010000
	s_mov_b32 s26, exec_lo
	v_cmpx_ne_u32_e32 0x7f, v35
	s_cbranch_execz .LBB329_2951
; %bb.2948:                             ;   in Loop: Header=BB329_2079 Depth=1
	v_and_b32_sdwa v22, v2, v64 dst_sel:DWORD dst_unused:UNUSED_PAD src0_sel:WORD_0 src1_sel:DWORD
	v_lshrrev_b32_e32 v34, 3, v35
	s_mov_b32 s27, exec_lo
	v_cmpx_gt_u32_e32 8, v35
; %bb.2949:                             ;   in Loop: Header=BB329_2079 Depth=1
	v_ffbh_u32_e32 v22, v22
	v_min_u32_e32 v22, 32, v22
	v_subrev_nc_u32_e32 v34, 28, v22
	v_lshlrev_b64 v[35:36], v34, v[2:3]
	v_sub_nc_u32_e32 v34, 29, v22
	v_and_b32_e32 v22, 7, v35
; %bb.2950:                             ;   in Loop: Header=BB329_2079 Depth=1
	s_or_b32 exec_lo, exec_lo, s27
	v_lshlrev_b32_sdwa v2, v61, v2 dst_sel:DWORD dst_unused:UNUSED_PAD src0_sel:DWORD src1_sel:WORD_0
	v_lshl_add_u32 v34, v34, 10, 0x2000
	v_lshlrev_b32_e32 v22, 23, v22
	v_and_or_b32 v2, 0x8000, v2, v34
	v_lshl_or_b32 v22, v2, 16, v22
.LBB329_2951:                           ;   in Loop: Header=BB329_2079 Depth=1
	s_or_b32 exec_lo, exec_lo, s26
.LBB329_2952:                           ;   in Loop: Header=BB329_2079 Depth=1
	s_or_b32 exec_lo, exec_lo, s25
.LBB329_2953:                           ;   in Loop: Header=BB329_2079 Depth=1
	s_or_b32 exec_lo, exec_lo, s21
	v_lshrrev_b32_e32 v2, 16, v15
	v_mov_b32_e32 v34, 0
	v_mov_b32_e32 v35, 0
	v_cmp_ne_u16_sdwa s12, v2, v3 src0_sel:BYTE_0 src1_sel:DWORD
	s_and_saveexec_b32 s21, s12
	s_cbranch_execz .LBB329_2961
; %bb.2954:                             ;   in Loop: Header=BB329_2079 Depth=1
	v_cmp_ne_u16_sdwa s12, v2, v96 src0_sel:BYTE_0 src1_sel:DWORD
	v_mov_b32_e32 v35, 0x8000
	s_and_saveexec_b32 s25, s12
	s_cbranch_execz .LBB329_2960
; %bb.2955:                             ;   in Loop: Header=BB329_2079 Depth=1
	v_bfe_u32 v37, v15, 16, 7
	v_mov_b32_e32 v35, 0x7c01
	s_mov_b32 s26, exec_lo
	v_cmpx_ne_u32_e32 0x7f, v37
	s_cbranch_execz .LBB329_2959
; %bb.2956:                             ;   in Loop: Header=BB329_2079 Depth=1
	v_and_b32_e32 v35, 7, v2
	v_lshrrev_b32_e32 v36, 3, v37
	s_mov_b32 s27, exec_lo
	v_cmpx_gt_u32_e32 8, v37
; %bb.2957:                             ;   in Loop: Header=BB329_2079 Depth=1
	v_ffbh_u32_e32 v35, v35
	v_min_u32_e32 v37, 32, v35
	v_subrev_nc_u32_e32 v35, 28, v37
	v_lshlrev_b64 v[35:36], v35, v[2:3]
	v_sub_nc_u32_e32 v36, 29, v37
	v_and_b32_e32 v35, 7, v35
; %bb.2958:                             ;   in Loop: Header=BB329_2079 Depth=1
	s_or_b32 exec_lo, exec_lo, s27
	v_lshlrev_b32_e32 v2, 8, v2
	v_lshl_add_u32 v36, v36, 10, 0x2000
	v_lshlrev_b32_e32 v35, 7, v35
	v_and_b32_e32 v2, 0x8000, v2
	v_and_b32_e32 v36, 0xfc00, v36
	v_or3_b32 v35, v2, v36, v35
.LBB329_2959:                           ;   in Loop: Header=BB329_2079 Depth=1
	s_or_b32 exec_lo, exec_lo, s26
.LBB329_2960:                           ;   in Loop: Header=BB329_2079 Depth=1
	s_or_b32 exec_lo, exec_lo, s25
.LBB329_2961:                           ;   in Loop: Header=BB329_2079 Depth=1
	s_or_b32 exec_lo, exec_lo, s21
	s_mov_b32 s21, exec_lo
	v_cmpx_lt_u32_e32 0xffffff, v15
	s_cbranch_execz .LBB329_2969
; %bb.2962:                             ;   in Loop: Header=BB329_2079 Depth=1
	v_lshrrev_b32_e32 v2, 24, v15
	v_bfrev_b32_e32 v34, 1
	s_mov_b32 s25, exec_lo
	v_cmpx_ne_u32_e32 0x80, v2
	s_cbranch_execz .LBB329_2968
; %bb.2963:                             ;   in Loop: Header=BB329_2079 Depth=1
	v_and_b32_e32 v37, 0x7f, v2
	v_mov_b32_e32 v34, 0x7c010000
	s_mov_b32 s26, exec_lo
	v_cmpx_ne_u32_e32 0x7f, v37
	s_cbranch_execz .LBB329_2967
; %bb.2964:                             ;   in Loop: Header=BB329_2079 Depth=1
	v_and_b32_e32 v34, 7, v2
	v_lshrrev_b32_e32 v36, 3, v37
	s_mov_b32 s27, exec_lo
	v_cmpx_gt_u32_e32 8, v37
; %bb.2965:                             ;   in Loop: Header=BB329_2079 Depth=1
	v_ffbh_u32_e32 v34, v34
	v_min_u32_e32 v34, 32, v34
	v_subrev_nc_u32_e32 v36, 28, v34
	v_lshlrev_b64 v[81:82], v36, v[2:3]
	v_sub_nc_u32_e32 v36, 29, v34
	v_and_b32_e32 v34, 7, v81
; %bb.2966:                             ;   in Loop: Header=BB329_2079 Depth=1
	s_or_b32 exec_lo, exec_lo, s27
	v_lshlrev_b32_e32 v2, 8, v2
	v_lshl_add_u32 v36, v36, 10, 0x2000
	v_lshlrev_b32_e32 v34, 23, v34
	v_and_or_b32 v2, 0x8000, v2, v36
	v_lshl_or_b32 v34, v2, 16, v34
.LBB329_2967:                           ;   in Loop: Header=BB329_2079 Depth=1
	s_or_b32 exec_lo, exec_lo, s26
.LBB329_2968:                           ;   in Loop: Header=BB329_2079 Depth=1
	s_or_b32 exec_lo, exec_lo, s25
.LBB329_2969:                           ;   in Loop: Header=BB329_2079 Depth=1
	s_or_b32 exec_lo, exec_lo, s21
	v_mov_b32_e32 v2, v16
	v_cmp_ne_u16_sdwa s12, v16, v3 src0_sel:BYTE_0 src1_sel:DWORD
	v_mov_b32_e32 v36, 0
	v_mov_b32_e32 v37, 0
	s_and_saveexec_b32 s21, s12
	s_cbranch_execz .LBB329_2977
; %bb.2970:                             ;   in Loop: Header=BB329_2079 Depth=1
	v_cmp_ne_u16_sdwa s12, v16, v96 src0_sel:BYTE_0 src1_sel:DWORD
	v_mov_b32_e32 v37, 0x8000
	s_and_saveexec_b32 s25, s12
	s_cbranch_execz .LBB329_2976
; %bb.2971:                             ;   in Loop: Header=BB329_2079 Depth=1
	v_and_b32_e32 v82, 0x7f, v16
	v_mov_b32_e32 v37, 0x7c01
	s_mov_b32 s26, exec_lo
	v_cmpx_ne_u32_e32 0x7f, v82
	s_cbranch_execz .LBB329_2975
; %bb.2972:                             ;   in Loop: Header=BB329_2079 Depth=1
	v_and_b32_e32 v37, 7, v16
	v_lshrrev_b32_e32 v81, 3, v82
	s_mov_b32 s27, exec_lo
	v_cmpx_gt_u32_e32 8, v82
; %bb.2973:                             ;   in Loop: Header=BB329_2079 Depth=1
	v_ffbh_u32_e32 v37, v37
	v_min_u32_e32 v37, 32, v37
	v_subrev_nc_u32_e32 v81, 28, v37
	v_lshlrev_b64 v[62:63], v81, v[2:3]
	v_sub_nc_u32_e32 v81, 29, v37
	v_and_b32_e32 v37, 7, v62
; %bb.2974:                             ;   in Loop: Header=BB329_2079 Depth=1
	s_or_b32 exec_lo, exec_lo, s27
	v_lshlrev_b32_e32 v82, 8, v16
	v_lshl_add_u32 v81, v81, 10, 0x2000
	v_lshlrev_b32_e32 v37, 7, v37
	v_and_b32_e32 v82, 0x8000, v82
	v_and_b32_e32 v81, 0xfc00, v81
	v_or3_b32 v37, v82, v81, v37
.LBB329_2975:                           ;   in Loop: Header=BB329_2079 Depth=1
	s_or_b32 exec_lo, exec_lo, s26
.LBB329_2976:                           ;   in Loop: Header=BB329_2079 Depth=1
	s_or_b32 exec_lo, exec_lo, s25
.LBB329_2977:                           ;   in Loop: Header=BB329_2079 Depth=1
	s_or_b32 exec_lo, exec_lo, s21
	v_lshrrev_b16 v2, 8, v2
	v_mov_b32_e32 v81, 0
	s_mov_b32 s21, exec_lo
	v_cmpx_ne_u16_e32 0, v2
	s_cbranch_execz .LBB329_2985
; %bb.2978:                             ;   in Loop: Header=BB329_2079 Depth=1
	v_bfrev_b32_e32 v81, 1
	s_mov_b32 s25, exec_lo
	v_cmpx_ne_u16_e32 0x80, v2
	s_cbranch_execz .LBB329_2984
; %bb.2979:                             ;   in Loop: Header=BB329_2079 Depth=1
	v_and_b32_sdwa v62, v2, v97 dst_sel:DWORD dst_unused:UNUSED_PAD src0_sel:WORD_0 src1_sel:DWORD
	v_mov_b32_e32 v81, 0x7c010000
	s_mov_b32 s26, exec_lo
	v_cmpx_ne_u32_e32 0x7f, v62
	s_cbranch_execz .LBB329_2983
; %bb.2980:                             ;   in Loop: Header=BB329_2079 Depth=1
	v_and_b32_sdwa v81, v2, v64 dst_sel:DWORD dst_unused:UNUSED_PAD src0_sel:WORD_0 src1_sel:DWORD
	v_lshrrev_b32_e32 v82, 3, v62
	s_mov_b32 s27, exec_lo
	v_cmpx_gt_u32_e32 8, v62
; %bb.2981:                             ;   in Loop: Header=BB329_2079 Depth=1
	v_ffbh_u32_e32 v81, v81
	v_min_u32_e32 v62, 32, v81
	v_subrev_nc_u32_e32 v81, 28, v62
	v_lshlrev_b64 v[81:82], v81, v[2:3]
	v_sub_nc_u32_e32 v82, 29, v62
	v_and_b32_e32 v81, 7, v81
; %bb.2982:                             ;   in Loop: Header=BB329_2079 Depth=1
	s_or_b32 exec_lo, exec_lo, s27
	v_lshlrev_b32_sdwa v2, v61, v2 dst_sel:DWORD dst_unused:UNUSED_PAD src0_sel:DWORD src1_sel:WORD_0
	v_lshl_add_u32 v82, v82, 10, 0x2000
	v_lshlrev_b32_e32 v81, 23, v81
	v_and_or_b32 v2, 0x8000, v2, v82
	v_lshl_or_b32 v81, v2, 16, v81
.LBB329_2983:                           ;   in Loop: Header=BB329_2079 Depth=1
	s_or_b32 exec_lo, exec_lo, s26
.LBB329_2984:                           ;   in Loop: Header=BB329_2079 Depth=1
	s_or_b32 exec_lo, exec_lo, s25
.LBB329_2985:                           ;   in Loop: Header=BB329_2079 Depth=1
	s_or_b32 exec_lo, exec_lo, s21
	v_lshrrev_b32_e32 v2, 16, v16
	v_cmp_ne_u16_sdwa s12, v2, v3 src0_sel:BYTE_0 src1_sel:DWORD
	s_and_saveexec_b32 s21, s12
	s_cbranch_execz .LBB329_2993
; %bb.2986:                             ;   in Loop: Header=BB329_2079 Depth=1
	v_cmp_ne_u16_sdwa s12, v2, v96 src0_sel:BYTE_0 src1_sel:DWORD
	v_mov_b32_e32 v36, 0x8000
	s_and_saveexec_b32 s25, s12
	s_cbranch_execz .LBB329_2992
; %bb.2987:                             ;   in Loop: Header=BB329_2079 Depth=1
	v_bfe_u32 v62, v16, 16, 7
	v_mov_b32_e32 v36, 0x7c01
	s_mov_b32 s26, exec_lo
	v_cmpx_ne_u32_e32 0x7f, v62
	s_cbranch_execz .LBB329_2991
; %bb.2988:                             ;   in Loop: Header=BB329_2079 Depth=1
	v_and_b32_e32 v36, 7, v2
	v_lshrrev_b32_e32 v82, 3, v62
	s_mov_b32 s27, exec_lo
	v_cmpx_gt_u32_e32 8, v62
; %bb.2989:                             ;   in Loop: Header=BB329_2079 Depth=1
	v_ffbh_u32_e32 v36, v36
	v_min_u32_e32 v36, 32, v36
	v_subrev_nc_u32_e32 v82, 28, v36
	v_lshlrev_b64 v[62:63], v82, v[2:3]
	v_sub_nc_u32_e32 v82, 29, v36
	v_and_b32_e32 v36, 7, v62
; %bb.2990:                             ;   in Loop: Header=BB329_2079 Depth=1
	s_or_b32 exec_lo, exec_lo, s27
	v_lshlrev_b32_e32 v2, 8, v2
	v_lshl_add_u32 v82, v82, 10, 0x2000
	v_lshlrev_b32_e32 v36, 7, v36
	v_and_b32_e32 v2, 0x8000, v2
	v_and_b32_e32 v82, 0xfc00, v82
	v_or3_b32 v36, v2, v82, v36
.LBB329_2991:                           ;   in Loop: Header=BB329_2079 Depth=1
	s_or_b32 exec_lo, exec_lo, s26
.LBB329_2992:                           ;   in Loop: Header=BB329_2079 Depth=1
	s_or_b32 exec_lo, exec_lo, s25
.LBB329_2993:                           ;   in Loop: Header=BB329_2079 Depth=1
	s_or_b32 exec_lo, exec_lo, s21
	v_cmp_lt_u64_e64 s12, s[22:23], v[15:16]
	v_mov_b32_e32 v15, 0
	s_and_saveexec_b32 s21, s12
	s_cbranch_execz .LBB329_3001
; %bb.2994:                             ;   in Loop: Header=BB329_2079 Depth=1
	v_lshrrev_b32_e32 v2, 24, v16
	v_bfrev_b32_e32 v15, 1
	s_mov_b32 s25, exec_lo
	v_cmpx_ne_u32_e32 0x80, v2
	s_cbranch_execz .LBB329_3000
; %bb.2995:                             ;   in Loop: Header=BB329_2079 Depth=1
	v_and_b32_e32 v82, 0x7f, v2
	v_mov_b32_e32 v15, 0x7c010000
	s_mov_b32 s26, exec_lo
	v_cmpx_ne_u32_e32 0x7f, v82
	s_cbranch_execz .LBB329_2999
; %bb.2996:                             ;   in Loop: Header=BB329_2079 Depth=1
	v_and_b32_e32 v15, 7, v2
	v_lshrrev_b32_e32 v16, 3, v82
	s_mov_b32 s27, exec_lo
	v_cmpx_gt_u32_e32 8, v82
; %bb.2997:                             ;   in Loop: Header=BB329_2079 Depth=1
	v_ffbh_u32_e32 v15, v15
	v_min_u32_e32 v82, 32, v15
	v_subrev_nc_u32_e32 v15, 28, v82
	v_lshlrev_b64 v[15:16], v15, v[2:3]
	v_sub_nc_u32_e32 v16, 29, v82
	v_and_b32_e32 v15, 7, v15
; %bb.2998:                             ;   in Loop: Header=BB329_2079 Depth=1
	s_or_b32 exec_lo, exec_lo, s27
	v_lshlrev_b32_e32 v2, 8, v2
	v_lshl_add_u32 v16, v16, 10, 0x2000
	v_lshlrev_b32_e32 v15, 23, v15
	v_and_or_b32 v2, 0x8000, v2, v16
	v_lshl_or_b32 v15, v2, 16, v15
.LBB329_2999:                           ;   in Loop: Header=BB329_2079 Depth=1
	s_or_b32 exec_lo, exec_lo, s26
.LBB329_3000:                           ;   in Loop: Header=BB329_2079 Depth=1
	s_or_b32 exec_lo, exec_lo, s25
.LBB329_3001:                           ;   in Loop: Header=BB329_2079 Depth=1
	s_or_b32 exec_lo, exec_lo, s21
	v_or_b32_e32 v2, v34, v35
	s_waitcnt vmcnt(0) lgkmcnt(0)
	v_fma_mixlo_f16 v16, v6, v34, 0 op_sel:[0,1,0] op_sel_hi:[0,1,0]
	v_or_b32_e32 v23, v22, v23
	v_or_b32_e32 v34, v81, v37
	;; [unrolled: 1-line block ×3, first 2 shown]
	v_fma_mixlo_f16 v35, v6, v2, 0 op_sel_hi:[0,1,0]
	v_fma_mixlo_f16 v22, v6, v22, 0 op_sel:[0,1,0] op_sel_hi:[0,1,0]
	v_lshlrev_b32_e32 v2, 16, v16
	v_fma_mixlo_f16 v23, v6, v23, 0 op_sel_hi:[0,1,0]
	v_fma_mixlo_f16 v34, v6, v34, 0 op_sel_hi:[0,1,0]
	v_and_b32_e32 v16, 0xffff, v35
	v_fma_mixlo_f16 v35, v6, v81, 0 op_sel:[0,1,0] op_sel_hi:[0,1,0]
	v_fma_mixlo_f16 v15, v6, v15, 0 op_sel:[0,1,0] op_sel_hi:[0,1,0]
	v_fma_mixlo_f16 v6, v6, v36, 0 op_sel_hi:[0,1,0]
	v_lshlrev_b32_e32 v22, 16, v22
	v_and_b32_e32 v82, 0xffff, v23
	v_lshlrev_b32_e32 v36, 16, v35
	v_and_b32_e32 v81, 0xffff, v34
	;; [unrolled: 2-line block ×3, first 2 shown]
	v_or_b32_e32 v6, v2, v16
	v_or_b32_e32 v34, v22, v82
	;; [unrolled: 1-line block ×4, first 2 shown]
	s_and_saveexec_b32 s12, s6
	s_cbranch_execz .LBB329_3003
; %bb.3002:                             ;   in Loop: Header=BB329_2079 Depth=1
	v_cndmask_b32_e32 v6, 0, v82, vcc_lo
	v_cndmask_b32_e64 v15, 0, v22, s5
	v_cndmask_b32_e64 v16, 0, v16, s4
	;; [unrolled: 1-line block ×7, first 2 shown]
	v_or_b32_e32 v34, v6, v15
	v_or_b32_e32 v6, v16, v2
	;; [unrolled: 1-line block ×4, first 2 shown]
.LBB329_3003:                           ;   in Loop: Header=BB329_2079 Depth=1
	s_or_b32 exec_lo, exec_lo, s12
	;;#ASMSTART
	v_pk_mul_f16 v2, v103, v34;

	;;#ASMEND
	;;#ASMSTART
	v_pk_mul_f16 v6, v102, v6;

	;;#ASMEND
	;; [unrolled: 4-line block ×4, first 2 shown]
	;;#ASMSTART
	v_pk_add_f16 v2, v2, v6;

	;;#ASMEND
	;;#ASMSTART
	v_pk_add_f16 v2, v2, v16;

	;;#ASMEND
	;; [unrolled: 4-line block ×3, first 2 shown]
	v_and_b32_e32 v6, 0xffff, v2
	v_lshrrev_b32_e32 v2, 16, v2
	;;#ASMSTART
	v_cvt_f32_f16 v34, v6;
	;;#ASMEND
	;;#ASMSTART
	v_cvt_f32_f16 v35, v2;
	;;#ASMEND
	flat_load_dwordx2 v[15:16], v[13:14] offset:1536
	s_clause 0x1
	buffer_load_dword v22, off, s[0:3], s32 offset:192
	buffer_load_dword v23, off, s[0:3], s32 offset:196
	s_waitcnt vmcnt(2) lgkmcnt(0)
	v_cmp_ne_u16_sdwa s12, v15, v3 src0_sel:BYTE_0 src1_sel:DWORD
	s_waitcnt vmcnt(0)
	flat_load_dword v6, v[22:23]
	v_mov_b32_e32 v22, 0
	v_mov_b32_e32 v23, 0
	s_and_saveexec_b32 s21, s12
	s_cbranch_execz .LBB329_3011
; %bb.3004:                             ;   in Loop: Header=BB329_2079 Depth=1
	v_cmp_ne_u16_sdwa s12, v15, v96 src0_sel:BYTE_0 src1_sel:DWORD
	v_mov_b32_e32 v23, 0x8000
	s_and_saveexec_b32 s25, s12
	s_cbranch_execz .LBB329_3010
; %bb.3005:                             ;   in Loop: Header=BB329_2079 Depth=1
	v_and_b32_e32 v36, 0x7f, v15
	v_mov_b32_e32 v23, 0x7c01
	s_mov_b32 s26, exec_lo
	v_cmpx_ne_u32_e32 0x7f, v36
	s_cbranch_execz .LBB329_3009
; %bb.3006:                             ;   in Loop: Header=BB329_2079 Depth=1
	v_and_b32_e32 v2, 7, v15
	v_lshrrev_b32_e32 v23, 3, v36
	s_mov_b32 s27, exec_lo
	v_cmpx_gt_u32_e32 8, v36
; %bb.3007:                             ;   in Loop: Header=BB329_2079 Depth=1
	v_ffbh_u32_e32 v2, v2
	v_min_u32_e32 v2, 32, v2
	v_subrev_nc_u32_e32 v23, 28, v2
	v_lshlrev_b64 v[36:37], v23, v[15:16]
	v_sub_nc_u32_e32 v23, 29, v2
	v_and_b32_e32 v2, 7, v36
; %bb.3008:                             ;   in Loop: Header=BB329_2079 Depth=1
	s_or_b32 exec_lo, exec_lo, s27
	v_lshlrev_b32_e32 v36, 8, v15
	v_lshl_add_u32 v23, v23, 10, 0x2000
	v_lshlrev_b32_e32 v2, 7, v2
	v_and_b32_e32 v36, 0x8000, v36
	v_and_b32_e32 v23, 0xfc00, v23
	v_or3_b32 v23, v36, v23, v2
.LBB329_3009:                           ;   in Loop: Header=BB329_2079 Depth=1
	s_or_b32 exec_lo, exec_lo, s26
.LBB329_3010:                           ;   in Loop: Header=BB329_2079 Depth=1
	s_or_b32 exec_lo, exec_lo, s25
.LBB329_3011:                           ;   in Loop: Header=BB329_2079 Depth=1
	s_or_b32 exec_lo, exec_lo, s21
	v_lshrrev_b16 v2, 8, v15
	s_mov_b32 s21, exec_lo
	v_cmpx_ne_u16_e32 0, v2
	s_cbranch_execz .LBB329_3019
; %bb.3012:                             ;   in Loop: Header=BB329_2079 Depth=1
	v_bfrev_b32_e32 v22, 1
	s_mov_b32 s25, exec_lo
	v_cmpx_ne_u16_e32 0x80, v2
	s_cbranch_execz .LBB329_3018
; %bb.3013:                             ;   in Loop: Header=BB329_2079 Depth=1
	v_and_b32_sdwa v37, v2, v97 dst_sel:DWORD dst_unused:UNUSED_PAD src0_sel:WORD_0 src1_sel:DWORD
	v_mov_b32_e32 v22, 0x7c010000
	s_mov_b32 s26, exec_lo
	v_cmpx_ne_u32_e32 0x7f, v37
	s_cbranch_execz .LBB329_3017
; %bb.3014:                             ;   in Loop: Header=BB329_2079 Depth=1
	v_and_b32_sdwa v22, v2, v64 dst_sel:DWORD dst_unused:UNUSED_PAD src0_sel:WORD_0 src1_sel:DWORD
	v_lshrrev_b32_e32 v36, 3, v37
	s_mov_b32 s27, exec_lo
	v_cmpx_gt_u32_e32 8, v37
; %bb.3015:                             ;   in Loop: Header=BB329_2079 Depth=1
	v_ffbh_u32_e32 v22, v22
	v_min_u32_e32 v22, 32, v22
	v_subrev_nc_u32_e32 v36, 28, v22
	v_lshlrev_b64 v[81:82], v36, v[2:3]
	v_sub_nc_u32_e32 v36, 29, v22
	v_and_b32_e32 v22, 7, v81
; %bb.3016:                             ;   in Loop: Header=BB329_2079 Depth=1
	s_or_b32 exec_lo, exec_lo, s27
	v_lshlrev_b32_sdwa v2, v61, v2 dst_sel:DWORD dst_unused:UNUSED_PAD src0_sel:DWORD src1_sel:WORD_0
	v_lshl_add_u32 v36, v36, 10, 0x2000
	v_lshlrev_b32_e32 v22, 23, v22
	v_and_or_b32 v2, 0x8000, v2, v36
	v_lshl_or_b32 v22, v2, 16, v22
.LBB329_3017:                           ;   in Loop: Header=BB329_2079 Depth=1
	s_or_b32 exec_lo, exec_lo, s26
.LBB329_3018:                           ;   in Loop: Header=BB329_2079 Depth=1
	s_or_b32 exec_lo, exec_lo, s25
.LBB329_3019:                           ;   in Loop: Header=BB329_2079 Depth=1
	s_or_b32 exec_lo, exec_lo, s21
	v_lshrrev_b32_e32 v2, 16, v15
	v_mov_b32_e32 v36, 0
	v_mov_b32_e32 v37, 0
	v_cmp_ne_u16_sdwa s12, v2, v3 src0_sel:BYTE_0 src1_sel:DWORD
	s_and_saveexec_b32 s21, s12
	s_cbranch_execz .LBB329_3027
; %bb.3020:                             ;   in Loop: Header=BB329_2079 Depth=1
	v_cmp_ne_u16_sdwa s12, v2, v96 src0_sel:BYTE_0 src1_sel:DWORD
	v_mov_b32_e32 v37, 0x8000
	s_and_saveexec_b32 s25, s12
	s_cbranch_execz .LBB329_3026
; %bb.3021:                             ;   in Loop: Header=BB329_2079 Depth=1
	v_bfe_u32 v82, v15, 16, 7
	v_mov_b32_e32 v37, 0x7c01
	s_mov_b32 s26, exec_lo
	v_cmpx_ne_u32_e32 0x7f, v82
	s_cbranch_execz .LBB329_3025
; %bb.3022:                             ;   in Loop: Header=BB329_2079 Depth=1
	v_and_b32_e32 v37, 7, v2
	v_lshrrev_b32_e32 v81, 3, v82
	s_mov_b32 s27, exec_lo
	v_cmpx_gt_u32_e32 8, v82
; %bb.3023:                             ;   in Loop: Header=BB329_2079 Depth=1
	v_ffbh_u32_e32 v37, v37
	v_min_u32_e32 v37, 32, v37
	v_subrev_nc_u32_e32 v81, 28, v37
	v_lshlrev_b64 v[62:63], v81, v[2:3]
	v_sub_nc_u32_e32 v81, 29, v37
	v_and_b32_e32 v37, 7, v62
; %bb.3024:                             ;   in Loop: Header=BB329_2079 Depth=1
	s_or_b32 exec_lo, exec_lo, s27
	v_lshlrev_b32_e32 v2, 8, v2
	v_lshl_add_u32 v81, v81, 10, 0x2000
	v_lshlrev_b32_e32 v37, 7, v37
	v_and_b32_e32 v2, 0x8000, v2
	v_and_b32_e32 v81, 0xfc00, v81
	v_or3_b32 v37, v2, v81, v37
.LBB329_3025:                           ;   in Loop: Header=BB329_2079 Depth=1
	s_or_b32 exec_lo, exec_lo, s26
.LBB329_3026:                           ;   in Loop: Header=BB329_2079 Depth=1
	s_or_b32 exec_lo, exec_lo, s25
.LBB329_3027:                           ;   in Loop: Header=BB329_2079 Depth=1
	s_or_b32 exec_lo, exec_lo, s21
	s_mov_b32 s21, exec_lo
	v_cmpx_lt_u32_e32 0xffffff, v15
	s_cbranch_execz .LBB329_3035
; %bb.3028:                             ;   in Loop: Header=BB329_2079 Depth=1
	v_lshrrev_b32_e32 v2, 24, v15
	v_bfrev_b32_e32 v36, 1
	s_mov_b32 s25, exec_lo
	v_cmpx_ne_u32_e32 0x80, v2
	s_cbranch_execz .LBB329_3034
; %bb.3029:                             ;   in Loop: Header=BB329_2079 Depth=1
	v_and_b32_e32 v82, 0x7f, v2
	v_mov_b32_e32 v36, 0x7c010000
	s_mov_b32 s26, exec_lo
	v_cmpx_ne_u32_e32 0x7f, v82
	s_cbranch_execz .LBB329_3033
; %bb.3030:                             ;   in Loop: Header=BB329_2079 Depth=1
	v_and_b32_e32 v36, 7, v2
	v_lshrrev_b32_e32 v81, 3, v82
	s_mov_b32 s27, exec_lo
	v_cmpx_gt_u32_e32 8, v82
; %bb.3031:                             ;   in Loop: Header=BB329_2079 Depth=1
	v_ffbh_u32_e32 v36, v36
	v_min_u32_e32 v36, 32, v36
	v_subrev_nc_u32_e32 v81, 28, v36
	v_lshlrev_b64 v[62:63], v81, v[2:3]
	v_sub_nc_u32_e32 v81, 29, v36
	v_and_b32_e32 v36, 7, v62
; %bb.3032:                             ;   in Loop: Header=BB329_2079 Depth=1
	s_or_b32 exec_lo, exec_lo, s27
	v_lshlrev_b32_e32 v2, 8, v2
	v_lshl_add_u32 v81, v81, 10, 0x2000
	v_lshlrev_b32_e32 v36, 23, v36
	v_and_or_b32 v2, 0x8000, v2, v81
	v_lshl_or_b32 v36, v2, 16, v36
.LBB329_3033:                           ;   in Loop: Header=BB329_2079 Depth=1
	s_or_b32 exec_lo, exec_lo, s26
.LBB329_3034:                           ;   in Loop: Header=BB329_2079 Depth=1
	s_or_b32 exec_lo, exec_lo, s25
.LBB329_3035:                           ;   in Loop: Header=BB329_2079 Depth=1
	s_or_b32 exec_lo, exec_lo, s21
	v_mov_b32_e32 v2, v16
	v_cmp_ne_u16_sdwa s12, v16, v3 src0_sel:BYTE_0 src1_sel:DWORD
	v_mov_b32_e32 v81, 0
	v_mov_b32_e32 v82, 0
	s_and_saveexec_b32 s21, s12
	s_cbranch_execz .LBB329_3043
; %bb.3036:                             ;   in Loop: Header=BB329_2079 Depth=1
	v_cmp_ne_u16_sdwa s12, v16, v96 src0_sel:BYTE_0 src1_sel:DWORD
	v_mov_b32_e32 v82, 0x8000
	s_and_saveexec_b32 s25, s12
	s_cbranch_execz .LBB329_3042
; %bb.3037:                             ;   in Loop: Header=BB329_2079 Depth=1
	v_and_b32_e32 v63, 0x7f, v16
	v_mov_b32_e32 v82, 0x7c01
	s_mov_b32 s26, exec_lo
	v_cmpx_ne_u32_e32 0x7f, v63
	s_cbranch_execz .LBB329_3041
; %bb.3038:                             ;   in Loop: Header=BB329_2079 Depth=1
	v_and_b32_e32 v82, 7, v16
	v_lshrrev_b32_e32 v62, 3, v63
	s_mov_b32 s27, exec_lo
	v_cmpx_gt_u32_e32 8, v63
; %bb.3039:                             ;   in Loop: Header=BB329_2079 Depth=1
	v_ffbh_u32_e32 v82, v82
	v_min_u32_e32 v82, 32, v82
	v_subrev_nc_u32_e32 v62, 28, v82
	v_lshlrev_b64 v[72:73], v62, v[2:3]
	v_sub_nc_u32_e32 v62, 29, v82
	v_and_b32_e32 v82, 7, v72
; %bb.3040:                             ;   in Loop: Header=BB329_2079 Depth=1
	s_or_b32 exec_lo, exec_lo, s27
	v_lshlrev_b32_e32 v63, 8, v16
	v_lshl_add_u32 v62, v62, 10, 0x2000
	v_lshlrev_b32_e32 v82, 7, v82
	v_and_b32_e32 v63, 0x8000, v63
	v_and_b32_e32 v62, 0xfc00, v62
	v_or3_b32 v82, v63, v62, v82
.LBB329_3041:                           ;   in Loop: Header=BB329_2079 Depth=1
	s_or_b32 exec_lo, exec_lo, s26
.LBB329_3042:                           ;   in Loop: Header=BB329_2079 Depth=1
	s_or_b32 exec_lo, exec_lo, s25
.LBB329_3043:                           ;   in Loop: Header=BB329_2079 Depth=1
	s_or_b32 exec_lo, exec_lo, s21
	v_lshrrev_b16 v2, 8, v2
	v_mov_b32_e32 v62, 0
	s_mov_b32 s21, exec_lo
	v_cmpx_ne_u16_e32 0, v2
	s_cbranch_execz .LBB329_3051
; %bb.3044:                             ;   in Loop: Header=BB329_2079 Depth=1
	v_bfrev_b32_e32 v62, 1
	s_mov_b32 s25, exec_lo
	v_cmpx_ne_u16_e32 0x80, v2
	s_cbranch_execz .LBB329_3050
; %bb.3045:                             ;   in Loop: Header=BB329_2079 Depth=1
	v_and_b32_sdwa v72, v2, v97 dst_sel:DWORD dst_unused:UNUSED_PAD src0_sel:WORD_0 src1_sel:DWORD
	v_mov_b32_e32 v62, 0x7c010000
	s_mov_b32 s26, exec_lo
	v_cmpx_ne_u32_e32 0x7f, v72
	s_cbranch_execz .LBB329_3049
; %bb.3046:                             ;   in Loop: Header=BB329_2079 Depth=1
	v_and_b32_sdwa v62, v2, v64 dst_sel:DWORD dst_unused:UNUSED_PAD src0_sel:WORD_0 src1_sel:DWORD
	v_lshrrev_b32_e32 v63, 3, v72
	s_mov_b32 s27, exec_lo
	v_cmpx_gt_u32_e32 8, v72
; %bb.3047:                             ;   in Loop: Header=BB329_2079 Depth=1
	v_ffbh_u32_e32 v62, v62
	v_min_u32_e32 v72, 32, v62
	v_subrev_nc_u32_e32 v62, 28, v72
	v_lshlrev_b64 v[62:63], v62, v[2:3]
	v_sub_nc_u32_e32 v63, 29, v72
	v_and_b32_e32 v62, 7, v62
; %bb.3048:                             ;   in Loop: Header=BB329_2079 Depth=1
	s_or_b32 exec_lo, exec_lo, s27
	v_lshlrev_b32_sdwa v2, v61, v2 dst_sel:DWORD dst_unused:UNUSED_PAD src0_sel:DWORD src1_sel:WORD_0
	v_lshl_add_u32 v63, v63, 10, 0x2000
	v_lshlrev_b32_e32 v62, 23, v62
	v_and_or_b32 v2, 0x8000, v2, v63
	v_lshl_or_b32 v62, v2, 16, v62
.LBB329_3049:                           ;   in Loop: Header=BB329_2079 Depth=1
	s_or_b32 exec_lo, exec_lo, s26
.LBB329_3050:                           ;   in Loop: Header=BB329_2079 Depth=1
	s_or_b32 exec_lo, exec_lo, s25
.LBB329_3051:                           ;   in Loop: Header=BB329_2079 Depth=1
	s_or_b32 exec_lo, exec_lo, s21
	v_lshrrev_b32_e32 v2, 16, v16
	v_cmp_ne_u16_sdwa s12, v2, v3 src0_sel:BYTE_0 src1_sel:DWORD
	s_and_saveexec_b32 s21, s12
	s_cbranch_execz .LBB329_3059
; %bb.3052:                             ;   in Loop: Header=BB329_2079 Depth=1
	v_cmp_ne_u16_sdwa s12, v2, v96 src0_sel:BYTE_0 src1_sel:DWORD
	v_mov_b32_e32 v81, 0x8000
	s_and_saveexec_b32 s25, s12
	s_cbranch_execz .LBB329_3058
; %bb.3053:                             ;   in Loop: Header=BB329_2079 Depth=1
	v_bfe_u32 v72, v16, 16, 7
	v_mov_b32_e32 v81, 0x7c01
	s_mov_b32 s26, exec_lo
	v_cmpx_ne_u32_e32 0x7f, v72
	s_cbranch_execz .LBB329_3057
; %bb.3054:                             ;   in Loop: Header=BB329_2079 Depth=1
	v_and_b32_e32 v81, 7, v2
	v_lshrrev_b32_e32 v63, 3, v72
	s_mov_b32 s27, exec_lo
	v_cmpx_gt_u32_e32 8, v72
; %bb.3055:                             ;   in Loop: Header=BB329_2079 Depth=1
	v_ffbh_u32_e32 v81, v81
	v_min_u32_e32 v81, 32, v81
	v_subrev_nc_u32_e32 v63, 28, v81
	v_lshlrev_b64 v[72:73], v63, v[2:3]
	v_sub_nc_u32_e32 v63, 29, v81
	v_and_b32_e32 v81, 7, v72
; %bb.3056:                             ;   in Loop: Header=BB329_2079 Depth=1
	s_or_b32 exec_lo, exec_lo, s27
	v_lshlrev_b32_e32 v2, 8, v2
	v_lshl_add_u32 v63, v63, 10, 0x2000
	v_lshlrev_b32_e32 v81, 7, v81
	v_and_b32_e32 v2, 0x8000, v2
	v_and_b32_e32 v63, 0xfc00, v63
	v_or3_b32 v81, v2, v63, v81
.LBB329_3057:                           ;   in Loop: Header=BB329_2079 Depth=1
	s_or_b32 exec_lo, exec_lo, s26
.LBB329_3058:                           ;   in Loop: Header=BB329_2079 Depth=1
	s_or_b32 exec_lo, exec_lo, s25
.LBB329_3059:                           ;   in Loop: Header=BB329_2079 Depth=1
	s_or_b32 exec_lo, exec_lo, s21
	v_cmp_lt_u64_e64 s12, s[22:23], v[15:16]
	v_mov_b32_e32 v15, 0
	s_and_saveexec_b32 s21, s12
	s_cbranch_execz .LBB329_3067
; %bb.3060:                             ;   in Loop: Header=BB329_2079 Depth=1
	v_lshrrev_b32_e32 v2, 24, v16
	v_bfrev_b32_e32 v15, 1
	s_mov_b32 s25, exec_lo
	v_cmpx_ne_u32_e32 0x80, v2
	s_cbranch_execz .LBB329_3066
; %bb.3061:                             ;   in Loop: Header=BB329_2079 Depth=1
	v_and_b32_e32 v63, 0x7f, v2
	v_mov_b32_e32 v15, 0x7c010000
	s_mov_b32 s26, exec_lo
	v_cmpx_ne_u32_e32 0x7f, v63
	s_cbranch_execz .LBB329_3065
; %bb.3062:                             ;   in Loop: Header=BB329_2079 Depth=1
	v_and_b32_e32 v15, 7, v2
	v_lshrrev_b32_e32 v16, 3, v63
	s_mov_b32 s27, exec_lo
	v_cmpx_gt_u32_e32 8, v63
; %bb.3063:                             ;   in Loop: Header=BB329_2079 Depth=1
	v_ffbh_u32_e32 v15, v15
	v_min_u32_e32 v63, 32, v15
	v_subrev_nc_u32_e32 v15, 28, v63
	v_lshlrev_b64 v[15:16], v15, v[2:3]
	v_sub_nc_u32_e32 v16, 29, v63
	v_and_b32_e32 v15, 7, v15
; %bb.3064:                             ;   in Loop: Header=BB329_2079 Depth=1
	s_or_b32 exec_lo, exec_lo, s27
	v_lshlrev_b32_e32 v2, 8, v2
	v_lshl_add_u32 v16, v16, 10, 0x2000
	v_lshlrev_b32_e32 v15, 23, v15
	v_and_or_b32 v2, 0x8000, v2, v16
	v_lshl_or_b32 v15, v2, 16, v15
.LBB329_3065:                           ;   in Loop: Header=BB329_2079 Depth=1
	s_or_b32 exec_lo, exec_lo, s26
.LBB329_3066:                           ;   in Loop: Header=BB329_2079 Depth=1
	s_or_b32 exec_lo, exec_lo, s25
.LBB329_3067:                           ;   in Loop: Header=BB329_2079 Depth=1
	s_or_b32 exec_lo, exec_lo, s21
	v_or_b32_e32 v2, v36, v37
	s_waitcnt vmcnt(0) lgkmcnt(0)
	v_fma_mixlo_f16 v16, v6, v36, 0 op_sel:[0,1,0] op_sel_hi:[0,1,0]
	v_or_b32_e32 v23, v22, v23
	v_or_b32_e32 v36, v62, v82
	;; [unrolled: 1-line block ×3, first 2 shown]
	v_fma_mixlo_f16 v37, v6, v2, 0 op_sel_hi:[0,1,0]
	v_fma_mixlo_f16 v22, v6, v22, 0 op_sel:[0,1,0] op_sel_hi:[0,1,0]
	v_lshlrev_b32_e32 v2, 16, v16
	v_fma_mixlo_f16 v23, v6, v23, 0 op_sel_hi:[0,1,0]
	v_fma_mixlo_f16 v36, v6, v36, 0 op_sel_hi:[0,1,0]
	v_and_b32_e32 v16, 0xffff, v37
	v_fma_mixlo_f16 v37, v6, v62, 0 op_sel:[0,1,0] op_sel_hi:[0,1,0]
	v_fma_mixlo_f16 v15, v6, v15, 0 op_sel:[0,1,0] op_sel_hi:[0,1,0]
	v_fma_mixlo_f16 v6, v6, v81, 0 op_sel_hi:[0,1,0]
	v_lshlrev_b32_e32 v22, 16, v22
	v_and_b32_e32 v63, 0xffff, v23
	v_lshlrev_b32_e32 v81, 16, v37
	v_and_b32_e32 v62, 0xffff, v36
	;; [unrolled: 2-line block ×3, first 2 shown]
	v_or_b32_e32 v6, v2, v16
	v_or_b32_e32 v36, v22, v63
	;; [unrolled: 1-line block ×4, first 2 shown]
	s_and_saveexec_b32 s12, s6
	s_cbranch_execz .LBB329_3069
; %bb.3068:                             ;   in Loop: Header=BB329_2079 Depth=1
	v_cndmask_b32_e32 v6, 0, v63, vcc_lo
	v_cndmask_b32_e64 v15, 0, v22, s5
	v_cndmask_b32_e64 v16, 0, v16, s4
	;; [unrolled: 1-line block ×7, first 2 shown]
	v_or_b32_e32 v36, v6, v15
	v_or_b32_e32 v6, v16, v2
	;; [unrolled: 1-line block ×4, first 2 shown]
.LBB329_3069:                           ;   in Loop: Header=BB329_2079 Depth=1
	s_or_b32 exec_lo, exec_lo, s12
	;;#ASMSTART
	v_pk_mul_f16 v2, v103, v36;

	;;#ASMEND
	;;#ASMSTART
	v_pk_mul_f16 v6, v102, v6;

	;;#ASMEND
	;;#ASMSTART
	v_pk_mul_f16 v16, v101, v23;

	;;#ASMEND
	;;#ASMSTART
	v_pk_mul_f16 v15, v100, v15;

	;;#ASMEND
	;;#ASMSTART
	v_pk_add_f16 v2, v2, v6;

	;;#ASMEND
	;;#ASMSTART
	v_pk_add_f16 v2, v2, v16;

	;;#ASMEND
	;; [unrolled: 4-line block ×3, first 2 shown]
	v_and_b32_e32 v6, 0xffff, v2
	v_lshrrev_b32_e32 v2, 16, v2
	;;#ASMSTART
	v_cvt_f32_f16 v22, v6;
	;;#ASMEND
	;;#ASMSTART
	v_cvt_f32_f16 v23, v2;
	;;#ASMEND
	flat_load_dwordx2 v[13:14], v[13:14] offset:1792
	s_clause 0x1
	buffer_load_dword v15, off, s[0:3], s32 offset:192
	buffer_load_dword v16, off, s[0:3], s32 offset:196
	s_waitcnt vmcnt(2) lgkmcnt(0)
	v_cmp_ne_u16_sdwa s12, v13, v3 src0_sel:BYTE_0 src1_sel:DWORD
	s_waitcnt vmcnt(0)
	flat_load_dword v6, v[15:16]
	v_mov_b32_e32 v15, 0
	v_mov_b32_e32 v16, 0
	s_and_saveexec_b32 s21, s12
	s_cbranch_execz .LBB329_3077
; %bb.3070:                             ;   in Loop: Header=BB329_2079 Depth=1
	v_cmp_ne_u16_sdwa s12, v13, v96 src0_sel:BYTE_0 src1_sel:DWORD
	v_mov_b32_e32 v16, 0x8000
	s_and_saveexec_b32 s25, s12
	s_cbranch_execz .LBB329_3076
; %bb.3071:                             ;   in Loop: Header=BB329_2079 Depth=1
	v_and_b32_e32 v36, 0x7f, v13
	v_mov_b32_e32 v16, 0x7c01
	s_mov_b32 s26, exec_lo
	v_cmpx_ne_u32_e32 0x7f, v36
	s_cbranch_execz .LBB329_3075
; %bb.3072:                             ;   in Loop: Header=BB329_2079 Depth=1
	v_and_b32_e32 v2, 7, v13
	v_lshrrev_b32_e32 v16, 3, v36
	s_mov_b32 s27, exec_lo
	v_cmpx_gt_u32_e32 8, v36
; %bb.3073:                             ;   in Loop: Header=BB329_2079 Depth=1
	v_ffbh_u32_e32 v2, v2
	v_min_u32_e32 v2, 32, v2
	v_subrev_nc_u32_e32 v16, 28, v2
	v_lshlrev_b64 v[36:37], v16, v[13:14]
	v_sub_nc_u32_e32 v16, 29, v2
	v_and_b32_e32 v2, 7, v36
; %bb.3074:                             ;   in Loop: Header=BB329_2079 Depth=1
	s_or_b32 exec_lo, exec_lo, s27
	v_lshlrev_b32_e32 v36, 8, v13
	v_lshl_add_u32 v16, v16, 10, 0x2000
	v_lshlrev_b32_e32 v2, 7, v2
	v_and_b32_e32 v36, 0x8000, v36
	v_and_b32_e32 v16, 0xfc00, v16
	v_or3_b32 v16, v36, v16, v2
.LBB329_3075:                           ;   in Loop: Header=BB329_2079 Depth=1
	s_or_b32 exec_lo, exec_lo, s26
.LBB329_3076:                           ;   in Loop: Header=BB329_2079 Depth=1
	s_or_b32 exec_lo, exec_lo, s25
.LBB329_3077:                           ;   in Loop: Header=BB329_2079 Depth=1
	s_or_b32 exec_lo, exec_lo, s21
	v_lshrrev_b16 v2, 8, v13
	s_mov_b32 s21, exec_lo
	v_cmpx_ne_u16_e32 0, v2
	s_cbranch_execz .LBB329_3085
; %bb.3078:                             ;   in Loop: Header=BB329_2079 Depth=1
	v_bfrev_b32_e32 v15, 1
	s_mov_b32 s25, exec_lo
	v_cmpx_ne_u16_e32 0x80, v2
	s_cbranch_execz .LBB329_3084
; %bb.3079:                             ;   in Loop: Header=BB329_2079 Depth=1
	v_and_b32_sdwa v37, v2, v97 dst_sel:DWORD dst_unused:UNUSED_PAD src0_sel:WORD_0 src1_sel:DWORD
	v_mov_b32_e32 v15, 0x7c010000
	s_mov_b32 s26, exec_lo
	v_cmpx_ne_u32_e32 0x7f, v37
	s_cbranch_execz .LBB329_3083
; %bb.3080:                             ;   in Loop: Header=BB329_2079 Depth=1
	v_and_b32_sdwa v15, v2, v64 dst_sel:DWORD dst_unused:UNUSED_PAD src0_sel:WORD_0 src1_sel:DWORD
	v_lshrrev_b32_e32 v36, 3, v37
	s_mov_b32 s27, exec_lo
	v_cmpx_gt_u32_e32 8, v37
; %bb.3081:                             ;   in Loop: Header=BB329_2079 Depth=1
	v_ffbh_u32_e32 v15, v15
	v_min_u32_e32 v15, 32, v15
	v_subrev_nc_u32_e32 v36, 28, v15
	v_lshlrev_b64 v[81:82], v36, v[2:3]
	v_sub_nc_u32_e32 v36, 29, v15
	v_and_b32_e32 v15, 7, v81
; %bb.3082:                             ;   in Loop: Header=BB329_2079 Depth=1
	s_or_b32 exec_lo, exec_lo, s27
	v_lshlrev_b32_sdwa v2, v61, v2 dst_sel:DWORD dst_unused:UNUSED_PAD src0_sel:DWORD src1_sel:WORD_0
	v_lshl_add_u32 v36, v36, 10, 0x2000
	v_lshlrev_b32_e32 v15, 23, v15
	v_and_or_b32 v2, 0x8000, v2, v36
	v_lshl_or_b32 v15, v2, 16, v15
.LBB329_3083:                           ;   in Loop: Header=BB329_2079 Depth=1
	s_or_b32 exec_lo, exec_lo, s26
.LBB329_3084:                           ;   in Loop: Header=BB329_2079 Depth=1
	s_or_b32 exec_lo, exec_lo, s25
.LBB329_3085:                           ;   in Loop: Header=BB329_2079 Depth=1
	s_or_b32 exec_lo, exec_lo, s21
	v_lshrrev_b32_e32 v2, 16, v13
	v_mov_b32_e32 v36, 0
	v_mov_b32_e32 v37, 0
	v_cmp_ne_u16_sdwa s12, v2, v3 src0_sel:BYTE_0 src1_sel:DWORD
	s_and_saveexec_b32 s21, s12
	s_cbranch_execz .LBB329_3093
; %bb.3086:                             ;   in Loop: Header=BB329_2079 Depth=1
	v_cmp_ne_u16_sdwa s12, v2, v96 src0_sel:BYTE_0 src1_sel:DWORD
	v_mov_b32_e32 v37, 0x8000
	s_and_saveexec_b32 s25, s12
	s_cbranch_execz .LBB329_3092
; %bb.3087:                             ;   in Loop: Header=BB329_2079 Depth=1
	v_bfe_u32 v82, v13, 16, 7
	v_mov_b32_e32 v37, 0x7c01
	s_mov_b32 s26, exec_lo
	v_cmpx_ne_u32_e32 0x7f, v82
	s_cbranch_execz .LBB329_3091
; %bb.3088:                             ;   in Loop: Header=BB329_2079 Depth=1
	v_and_b32_e32 v37, 7, v2
	v_lshrrev_b32_e32 v81, 3, v82
	s_mov_b32 s27, exec_lo
	v_cmpx_gt_u32_e32 8, v82
; %bb.3089:                             ;   in Loop: Header=BB329_2079 Depth=1
	v_ffbh_u32_e32 v37, v37
	v_min_u32_e32 v37, 32, v37
	v_subrev_nc_u32_e32 v81, 28, v37
	v_lshlrev_b64 v[62:63], v81, v[2:3]
	v_sub_nc_u32_e32 v81, 29, v37
	v_and_b32_e32 v37, 7, v62
; %bb.3090:                             ;   in Loop: Header=BB329_2079 Depth=1
	s_or_b32 exec_lo, exec_lo, s27
	v_lshlrev_b32_e32 v2, 8, v2
	v_lshl_add_u32 v81, v81, 10, 0x2000
	v_lshlrev_b32_e32 v37, 7, v37
	v_and_b32_e32 v2, 0x8000, v2
	v_and_b32_e32 v81, 0xfc00, v81
	v_or3_b32 v37, v2, v81, v37
.LBB329_3091:                           ;   in Loop: Header=BB329_2079 Depth=1
	s_or_b32 exec_lo, exec_lo, s26
.LBB329_3092:                           ;   in Loop: Header=BB329_2079 Depth=1
	s_or_b32 exec_lo, exec_lo, s25
.LBB329_3093:                           ;   in Loop: Header=BB329_2079 Depth=1
	s_or_b32 exec_lo, exec_lo, s21
	s_mov_b32 s21, exec_lo
	v_cmpx_lt_u32_e32 0xffffff, v13
	s_cbranch_execz .LBB329_3101
; %bb.3094:                             ;   in Loop: Header=BB329_2079 Depth=1
	v_lshrrev_b32_e32 v2, 24, v13
	v_bfrev_b32_e32 v36, 1
	s_mov_b32 s25, exec_lo
	v_cmpx_ne_u32_e32 0x80, v2
	s_cbranch_execz .LBB329_3100
; %bb.3095:                             ;   in Loop: Header=BB329_2079 Depth=1
	v_and_b32_e32 v82, 0x7f, v2
	v_mov_b32_e32 v36, 0x7c010000
	s_mov_b32 s26, exec_lo
	v_cmpx_ne_u32_e32 0x7f, v82
	s_cbranch_execz .LBB329_3099
; %bb.3096:                             ;   in Loop: Header=BB329_2079 Depth=1
	v_and_b32_e32 v36, 7, v2
	v_lshrrev_b32_e32 v81, 3, v82
	s_mov_b32 s27, exec_lo
	v_cmpx_gt_u32_e32 8, v82
; %bb.3097:                             ;   in Loop: Header=BB329_2079 Depth=1
	v_ffbh_u32_e32 v36, v36
	v_min_u32_e32 v36, 32, v36
	v_subrev_nc_u32_e32 v81, 28, v36
	v_lshlrev_b64 v[62:63], v81, v[2:3]
	v_sub_nc_u32_e32 v81, 29, v36
	v_and_b32_e32 v36, 7, v62
; %bb.3098:                             ;   in Loop: Header=BB329_2079 Depth=1
	s_or_b32 exec_lo, exec_lo, s27
	v_lshlrev_b32_e32 v2, 8, v2
	v_lshl_add_u32 v81, v81, 10, 0x2000
	v_lshlrev_b32_e32 v36, 23, v36
	v_and_or_b32 v2, 0x8000, v2, v81
	v_lshl_or_b32 v36, v2, 16, v36
.LBB329_3099:                           ;   in Loop: Header=BB329_2079 Depth=1
	s_or_b32 exec_lo, exec_lo, s26
.LBB329_3100:                           ;   in Loop: Header=BB329_2079 Depth=1
	s_or_b32 exec_lo, exec_lo, s25
.LBB329_3101:                           ;   in Loop: Header=BB329_2079 Depth=1
	s_or_b32 exec_lo, exec_lo, s21
	v_mov_b32_e32 v2, v14
	v_cmp_ne_u16_sdwa s12, v14, v3 src0_sel:BYTE_0 src1_sel:DWORD
	v_mov_b32_e32 v81, 0
	v_mov_b32_e32 v82, 0
	s_and_saveexec_b32 s21, s12
	s_cbranch_execz .LBB329_3109
; %bb.3102:                             ;   in Loop: Header=BB329_2079 Depth=1
	v_cmp_ne_u16_sdwa s12, v14, v96 src0_sel:BYTE_0 src1_sel:DWORD
	v_mov_b32_e32 v82, 0x8000
	s_and_saveexec_b32 s25, s12
	s_cbranch_execz .LBB329_3108
; %bb.3103:                             ;   in Loop: Header=BB329_2079 Depth=1
	v_and_b32_e32 v63, 0x7f, v14
	v_mov_b32_e32 v82, 0x7c01
	s_mov_b32 s26, exec_lo
	v_cmpx_ne_u32_e32 0x7f, v63
	s_cbranch_execz .LBB329_3107
; %bb.3104:                             ;   in Loop: Header=BB329_2079 Depth=1
	v_and_b32_e32 v82, 7, v14
	v_lshrrev_b32_e32 v62, 3, v63
	s_mov_b32 s27, exec_lo
	v_cmpx_gt_u32_e32 8, v63
; %bb.3105:                             ;   in Loop: Header=BB329_2079 Depth=1
	v_ffbh_u32_e32 v82, v82
	v_min_u32_e32 v82, 32, v82
	v_subrev_nc_u32_e32 v62, 28, v82
	v_lshlrev_b64 v[72:73], v62, v[2:3]
	v_sub_nc_u32_e32 v62, 29, v82
	v_and_b32_e32 v82, 7, v72
; %bb.3106:                             ;   in Loop: Header=BB329_2079 Depth=1
	s_or_b32 exec_lo, exec_lo, s27
	v_lshlrev_b32_e32 v63, 8, v14
	v_lshl_add_u32 v62, v62, 10, 0x2000
	v_lshlrev_b32_e32 v82, 7, v82
	v_and_b32_e32 v63, 0x8000, v63
	v_and_b32_e32 v62, 0xfc00, v62
	v_or3_b32 v82, v63, v62, v82
.LBB329_3107:                           ;   in Loop: Header=BB329_2079 Depth=1
	s_or_b32 exec_lo, exec_lo, s26
.LBB329_3108:                           ;   in Loop: Header=BB329_2079 Depth=1
	s_or_b32 exec_lo, exec_lo, s25
.LBB329_3109:                           ;   in Loop: Header=BB329_2079 Depth=1
	s_or_b32 exec_lo, exec_lo, s21
	v_lshrrev_b16 v2, 8, v2
	v_mov_b32_e32 v62, 0
	s_mov_b32 s21, exec_lo
	v_cmpx_ne_u16_e32 0, v2
	s_cbranch_execz .LBB329_3117
; %bb.3110:                             ;   in Loop: Header=BB329_2079 Depth=1
	v_bfrev_b32_e32 v62, 1
	s_mov_b32 s25, exec_lo
	v_cmpx_ne_u16_e32 0x80, v2
	s_cbranch_execz .LBB329_3116
; %bb.3111:                             ;   in Loop: Header=BB329_2079 Depth=1
	v_and_b32_sdwa v72, v2, v97 dst_sel:DWORD dst_unused:UNUSED_PAD src0_sel:WORD_0 src1_sel:DWORD
	v_mov_b32_e32 v62, 0x7c010000
	s_mov_b32 s26, exec_lo
	v_cmpx_ne_u32_e32 0x7f, v72
	s_cbranch_execz .LBB329_3115
; %bb.3112:                             ;   in Loop: Header=BB329_2079 Depth=1
	v_and_b32_sdwa v62, v2, v64 dst_sel:DWORD dst_unused:UNUSED_PAD src0_sel:WORD_0 src1_sel:DWORD
	v_lshrrev_b32_e32 v63, 3, v72
	s_mov_b32 s27, exec_lo
	v_cmpx_gt_u32_e32 8, v72
; %bb.3113:                             ;   in Loop: Header=BB329_2079 Depth=1
	v_ffbh_u32_e32 v62, v62
	v_min_u32_e32 v72, 32, v62
	v_subrev_nc_u32_e32 v62, 28, v72
	v_lshlrev_b64 v[62:63], v62, v[2:3]
	v_sub_nc_u32_e32 v63, 29, v72
	v_and_b32_e32 v62, 7, v62
; %bb.3114:                             ;   in Loop: Header=BB329_2079 Depth=1
	s_or_b32 exec_lo, exec_lo, s27
	v_lshlrev_b32_sdwa v2, v61, v2 dst_sel:DWORD dst_unused:UNUSED_PAD src0_sel:DWORD src1_sel:WORD_0
	v_lshl_add_u32 v63, v63, 10, 0x2000
	v_lshlrev_b32_e32 v62, 23, v62
	v_and_or_b32 v2, 0x8000, v2, v63
	v_lshl_or_b32 v62, v2, 16, v62
.LBB329_3115:                           ;   in Loop: Header=BB329_2079 Depth=1
	s_or_b32 exec_lo, exec_lo, s26
.LBB329_3116:                           ;   in Loop: Header=BB329_2079 Depth=1
	s_or_b32 exec_lo, exec_lo, s25
.LBB329_3117:                           ;   in Loop: Header=BB329_2079 Depth=1
	s_or_b32 exec_lo, exec_lo, s21
	v_lshrrev_b32_e32 v2, 16, v14
	v_cmp_ne_u16_sdwa s12, v2, v3 src0_sel:BYTE_0 src1_sel:DWORD
	s_and_saveexec_b32 s21, s12
	s_cbranch_execz .LBB329_3125
; %bb.3118:                             ;   in Loop: Header=BB329_2079 Depth=1
	v_cmp_ne_u16_sdwa s12, v2, v96 src0_sel:BYTE_0 src1_sel:DWORD
	v_mov_b32_e32 v81, 0x8000
	s_and_saveexec_b32 s25, s12
	s_cbranch_execz .LBB329_3124
; %bb.3119:                             ;   in Loop: Header=BB329_2079 Depth=1
	v_bfe_u32 v72, v14, 16, 7
	v_mov_b32_e32 v81, 0x7c01
	s_mov_b32 s26, exec_lo
	v_cmpx_ne_u32_e32 0x7f, v72
	s_cbranch_execz .LBB329_3123
; %bb.3120:                             ;   in Loop: Header=BB329_2079 Depth=1
	v_and_b32_e32 v81, 7, v2
	v_lshrrev_b32_e32 v63, 3, v72
	s_mov_b32 s27, exec_lo
	v_cmpx_gt_u32_e32 8, v72
; %bb.3121:                             ;   in Loop: Header=BB329_2079 Depth=1
	v_ffbh_u32_e32 v81, v81
	v_min_u32_e32 v81, 32, v81
	v_subrev_nc_u32_e32 v63, 28, v81
	v_lshlrev_b64 v[72:73], v63, v[2:3]
	v_sub_nc_u32_e32 v63, 29, v81
	v_and_b32_e32 v81, 7, v72
; %bb.3122:                             ;   in Loop: Header=BB329_2079 Depth=1
	s_or_b32 exec_lo, exec_lo, s27
	v_lshlrev_b32_e32 v2, 8, v2
	v_lshl_add_u32 v63, v63, 10, 0x2000
	v_lshlrev_b32_e32 v81, 7, v81
	v_and_b32_e32 v2, 0x8000, v2
	v_and_b32_e32 v63, 0xfc00, v63
	v_or3_b32 v81, v2, v63, v81
.LBB329_3123:                           ;   in Loop: Header=BB329_2079 Depth=1
	s_or_b32 exec_lo, exec_lo, s26
.LBB329_3124:                           ;   in Loop: Header=BB329_2079 Depth=1
	s_or_b32 exec_lo, exec_lo, s25
.LBB329_3125:                           ;   in Loop: Header=BB329_2079 Depth=1
	s_or_b32 exec_lo, exec_lo, s21
	v_cmp_lt_u64_e64 s12, s[22:23], v[13:14]
	v_mov_b32_e32 v13, 0
	s_and_saveexec_b32 s21, s12
	s_cbranch_execz .LBB329_3133
; %bb.3126:                             ;   in Loop: Header=BB329_2079 Depth=1
	v_lshrrev_b32_e32 v2, 24, v14
	v_bfrev_b32_e32 v13, 1
	s_mov_b32 s25, exec_lo
	v_cmpx_ne_u32_e32 0x80, v2
	s_cbranch_execz .LBB329_3132
; %bb.3127:                             ;   in Loop: Header=BB329_2079 Depth=1
	v_and_b32_e32 v63, 0x7f, v2
	v_mov_b32_e32 v13, 0x7c010000
	s_mov_b32 s26, exec_lo
	v_cmpx_ne_u32_e32 0x7f, v63
	s_cbranch_execz .LBB329_3131
; %bb.3128:                             ;   in Loop: Header=BB329_2079 Depth=1
	v_and_b32_e32 v13, 7, v2
	v_lshrrev_b32_e32 v14, 3, v63
	s_mov_b32 s27, exec_lo
	v_cmpx_gt_u32_e32 8, v63
; %bb.3129:                             ;   in Loop: Header=BB329_2079 Depth=1
	v_ffbh_u32_e32 v13, v13
	v_min_u32_e32 v63, 32, v13
	v_subrev_nc_u32_e32 v13, 28, v63
	v_lshlrev_b64 v[13:14], v13, v[2:3]
	v_sub_nc_u32_e32 v14, 29, v63
	v_and_b32_e32 v13, 7, v13
; %bb.3130:                             ;   in Loop: Header=BB329_2079 Depth=1
	s_or_b32 exec_lo, exec_lo, s27
	v_lshlrev_b32_e32 v2, 8, v2
	v_lshl_add_u32 v14, v14, 10, 0x2000
	v_lshlrev_b32_e32 v13, 23, v13
	v_and_or_b32 v2, 0x8000, v2, v14
	v_lshl_or_b32 v13, v2, 16, v13
.LBB329_3131:                           ;   in Loop: Header=BB329_2079 Depth=1
	s_or_b32 exec_lo, exec_lo, s26
.LBB329_3132:                           ;   in Loop: Header=BB329_2079 Depth=1
	s_or_b32 exec_lo, exec_lo, s25
.LBB329_3133:                           ;   in Loop: Header=BB329_2079 Depth=1
	s_or_b32 exec_lo, exec_lo, s21
	v_or_b32_e32 v2, v36, v37
	s_waitcnt vmcnt(0) lgkmcnt(0)
	v_fma_mixlo_f16 v14, v6, v36, 0 op_sel:[0,1,0] op_sel_hi:[0,1,0]
	v_or_b32_e32 v16, v15, v16
	v_or_b32_e32 v36, v62, v82
	;; [unrolled: 1-line block ×3, first 2 shown]
	v_fma_mixlo_f16 v37, v6, v2, 0 op_sel_hi:[0,1,0]
	v_fma_mixlo_f16 v15, v6, v15, 0 op_sel:[0,1,0] op_sel_hi:[0,1,0]
	v_lshlrev_b32_e32 v2, 16, v14
	v_fma_mixlo_f16 v16, v6, v16, 0 op_sel_hi:[0,1,0]
	v_fma_mixlo_f16 v36, v6, v36, 0 op_sel_hi:[0,1,0]
	v_and_b32_e32 v14, 0xffff, v37
	v_fma_mixlo_f16 v37, v6, v62, 0 op_sel:[0,1,0] op_sel_hi:[0,1,0]
	v_fma_mixlo_f16 v13, v6, v13, 0 op_sel:[0,1,0] op_sel_hi:[0,1,0]
	v_fma_mixlo_f16 v6, v6, v81, 0 op_sel_hi:[0,1,0]
	v_lshlrev_b32_e32 v15, 16, v15
	v_and_b32_e32 v63, 0xffff, v16
	v_lshlrev_b32_e32 v81, 16, v37
	v_and_b32_e32 v62, 0xffff, v36
	v_lshlrev_b32_e32 v37, 16, v13
	v_and_b32_e32 v82, 0xffff, v6
	v_or_b32_e32 v6, v2, v14
	v_or_b32_e32 v36, v15, v63
	;; [unrolled: 1-line block ×4, first 2 shown]
	s_and_saveexec_b32 s12, s6
	s_cbranch_execz .LBB329_3135
; %bb.3134:                             ;   in Loop: Header=BB329_2079 Depth=1
	v_cndmask_b32_e32 v6, 0, v63, vcc_lo
	v_cndmask_b32_e64 v13, 0, v15, s5
	v_cndmask_b32_e64 v14, 0, v14, s4
	;; [unrolled: 1-line block ×7, first 2 shown]
	v_or_b32_e32 v36, v6, v13
	v_or_b32_e32 v6, v14, v2
	;; [unrolled: 1-line block ×4, first 2 shown]
.LBB329_3135:                           ;   in Loop: Header=BB329_2079 Depth=1
	s_or_b32 exec_lo, exec_lo, s12
	;;#ASMSTART
	v_pk_mul_f16 v2, v103, v36;

	;;#ASMEND
	;;#ASMSTART
	v_pk_mul_f16 v6, v102, v6;

	;;#ASMEND
	;; [unrolled: 4-line block ×4, first 2 shown]
	;;#ASMSTART
	v_pk_add_f16 v2, v2, v6;

	;;#ASMEND
	;;#ASMSTART
	v_pk_add_f16 v2, v2, v14;

	;;#ASMEND
	;; [unrolled: 4-line block ×3, first 2 shown]
	v_add_co_u32 v13, s12, 0x1000, v11
	v_add_co_ci_u32_e64 v14, null, 0, v12, s12
	v_lshrrev_b32_e32 v15, 16, v2
	v_and_b32_e32 v2, 0xffff, v2
	;;#ASMSTART
	v_cvt_f32_f16 v6, v2;
	;;#ASMEND
	;;#ASMSTART
	v_cvt_f32_f16 v36, v15;
	;;#ASMEND
	flat_load_dwordx2 v[15:16], v[13:14]
	s_clause 0x1
	buffer_load_dword v81, off, s[0:3], s32 offset:192
	buffer_load_dword v82, off, s[0:3], s32 offset:196
	s_waitcnt vmcnt(2) lgkmcnt(0)
	v_cmp_ne_u16_sdwa s12, v15, v3 src0_sel:BYTE_0 src1_sel:DWORD
	s_waitcnt vmcnt(0)
	flat_load_dword v37, v[81:82]
	v_mov_b32_e32 v81, 0
	v_mov_b32_e32 v82, 0
	s_and_saveexec_b32 s21, s12
	s_cbranch_execz .LBB329_3143
; %bb.3136:                             ;   in Loop: Header=BB329_2079 Depth=1
	v_cmp_ne_u16_sdwa s12, v15, v96 src0_sel:BYTE_0 src1_sel:DWORD
	v_mov_b32_e32 v82, 0x8000
	s_and_saveexec_b32 s25, s12
	s_cbranch_execz .LBB329_3142
; %bb.3137:                             ;   in Loop: Header=BB329_2079 Depth=1
	v_and_b32_e32 v62, 0x7f, v15
	v_mov_b32_e32 v82, 0x7c01
	s_mov_b32 s26, exec_lo
	v_cmpx_ne_u32_e32 0x7f, v62
	s_cbranch_execz .LBB329_3141
; %bb.3138:                             ;   in Loop: Header=BB329_2079 Depth=1
	v_and_b32_e32 v2, 7, v15
	v_lshrrev_b32_e32 v82, 3, v62
	s_mov_b32 s27, exec_lo
	v_cmpx_gt_u32_e32 8, v62
; %bb.3139:                             ;   in Loop: Header=BB329_2079 Depth=1
	v_ffbh_u32_e32 v2, v2
	v_min_u32_e32 v2, 32, v2
	v_subrev_nc_u32_e32 v82, 28, v2
	v_lshlrev_b64 v[62:63], v82, v[15:16]
	v_sub_nc_u32_e32 v82, 29, v2
	v_and_b32_e32 v2, 7, v62
; %bb.3140:                             ;   in Loop: Header=BB329_2079 Depth=1
	s_or_b32 exec_lo, exec_lo, s27
	v_lshlrev_b32_e32 v62, 8, v15
	v_lshl_add_u32 v82, v82, 10, 0x2000
	v_lshlrev_b32_e32 v2, 7, v2
	v_and_b32_e32 v62, 0x8000, v62
	v_and_b32_e32 v82, 0xfc00, v82
	v_or3_b32 v82, v62, v82, v2
.LBB329_3141:                           ;   in Loop: Header=BB329_2079 Depth=1
	s_or_b32 exec_lo, exec_lo, s26
.LBB329_3142:                           ;   in Loop: Header=BB329_2079 Depth=1
	s_or_b32 exec_lo, exec_lo, s25
.LBB329_3143:                           ;   in Loop: Header=BB329_2079 Depth=1
	s_or_b32 exec_lo, exec_lo, s21
	v_lshrrev_b16 v2, 8, v15
	s_mov_b32 s21, exec_lo
	v_cmpx_ne_u16_e32 0, v2
	s_cbranch_execz .LBB329_3151
; %bb.3144:                             ;   in Loop: Header=BB329_2079 Depth=1
	v_bfrev_b32_e32 v81, 1
	s_mov_b32 s25, exec_lo
	v_cmpx_ne_u16_e32 0x80, v2
	s_cbranch_execz .LBB329_3150
; %bb.3145:                             ;   in Loop: Header=BB329_2079 Depth=1
	v_and_b32_sdwa v63, v2, v97 dst_sel:DWORD dst_unused:UNUSED_PAD src0_sel:WORD_0 src1_sel:DWORD
	v_mov_b32_e32 v81, 0x7c010000
	s_mov_b32 s26, exec_lo
	v_cmpx_ne_u32_e32 0x7f, v63
	s_cbranch_execz .LBB329_3149
; %bb.3146:                             ;   in Loop: Header=BB329_2079 Depth=1
	v_and_b32_sdwa v81, v2, v64 dst_sel:DWORD dst_unused:UNUSED_PAD src0_sel:WORD_0 src1_sel:DWORD
	v_lshrrev_b32_e32 v62, 3, v63
	s_mov_b32 s27, exec_lo
	v_cmpx_gt_u32_e32 8, v63
; %bb.3147:                             ;   in Loop: Header=BB329_2079 Depth=1
	v_ffbh_u32_e32 v81, v81
	v_min_u32_e32 v81, 32, v81
	v_subrev_nc_u32_e32 v62, 28, v81
	v_lshlrev_b64 v[72:73], v62, v[2:3]
	v_sub_nc_u32_e32 v62, 29, v81
	v_and_b32_e32 v81, 7, v72
; %bb.3148:                             ;   in Loop: Header=BB329_2079 Depth=1
	s_or_b32 exec_lo, exec_lo, s27
	v_lshlrev_b32_sdwa v2, v61, v2 dst_sel:DWORD dst_unused:UNUSED_PAD src0_sel:DWORD src1_sel:WORD_0
	v_lshl_add_u32 v62, v62, 10, 0x2000
	v_lshlrev_b32_e32 v81, 23, v81
	v_and_or_b32 v2, 0x8000, v2, v62
	v_lshl_or_b32 v81, v2, 16, v81
.LBB329_3149:                           ;   in Loop: Header=BB329_2079 Depth=1
	s_or_b32 exec_lo, exec_lo, s26
.LBB329_3150:                           ;   in Loop: Header=BB329_2079 Depth=1
	s_or_b32 exec_lo, exec_lo, s25
.LBB329_3151:                           ;   in Loop: Header=BB329_2079 Depth=1
	s_or_b32 exec_lo, exec_lo, s21
	v_lshrrev_b32_e32 v2, 16, v15
	v_mov_b32_e32 v72, 0
	v_mov_b32_e32 v73, 0
	v_cmp_ne_u16_sdwa s12, v2, v3 src0_sel:BYTE_0 src1_sel:DWORD
	s_and_saveexec_b32 s21, s12
	s_cbranch_execz .LBB329_3159
; %bb.3152:                             ;   in Loop: Header=BB329_2079 Depth=1
	v_cmp_ne_u16_sdwa s12, v2, v96 src0_sel:BYTE_0 src1_sel:DWORD
	v_mov_b32_e32 v73, 0x8000
	s_and_saveexec_b32 s25, s12
	s_cbranch_execz .LBB329_3158
; %bb.3153:                             ;   in Loop: Header=BB329_2079 Depth=1
	v_bfe_u32 v74, v15, 16, 7
	v_mov_b32_e32 v73, 0x7c01
	s_mov_b32 s26, exec_lo
	v_cmpx_ne_u32_e32 0x7f, v74
	s_cbranch_execz .LBB329_3157
; %bb.3154:                             ;   in Loop: Header=BB329_2079 Depth=1
	v_and_b32_e32 v62, 7, v2
	v_lshrrev_b32_e32 v63, 3, v74
	s_mov_b32 s27, exec_lo
	v_cmpx_gt_u32_e32 8, v74
; %bb.3155:                             ;   in Loop: Header=BB329_2079 Depth=1
	v_ffbh_u32_e32 v62, v62
	v_min_u32_e32 v73, 32, v62
	v_subrev_nc_u32_e32 v62, 28, v73
	v_lshlrev_b64 v[62:63], v62, v[2:3]
	v_sub_nc_u32_e32 v63, 29, v73
	v_and_b32_e32 v62, 7, v62
; %bb.3156:                             ;   in Loop: Header=BB329_2079 Depth=1
	s_or_b32 exec_lo, exec_lo, s27
	v_lshlrev_b32_e32 v2, 8, v2
	v_lshl_add_u32 v63, v63, 10, 0x2000
	v_lshlrev_b32_e32 v62, 7, v62
	v_and_b32_e32 v2, 0x8000, v2
	v_and_b32_e32 v63, 0xfc00, v63
	v_or3_b32 v73, v2, v63, v62
.LBB329_3157:                           ;   in Loop: Header=BB329_2079 Depth=1
	s_or_b32 exec_lo, exec_lo, s26
.LBB329_3158:                           ;   in Loop: Header=BB329_2079 Depth=1
	s_or_b32 exec_lo, exec_lo, s25
.LBB329_3159:                           ;   in Loop: Header=BB329_2079 Depth=1
	s_or_b32 exec_lo, exec_lo, s21
	s_mov_b32 s21, exec_lo
	v_cmpx_lt_u32_e32 0xffffff, v15
	s_cbranch_execz .LBB329_3167
; %bb.3160:                             ;   in Loop: Header=BB329_2079 Depth=1
	v_lshrrev_b32_e32 v2, 24, v15
	v_bfrev_b32_e32 v72, 1
	s_mov_b32 s25, exec_lo
	v_cmpx_ne_u32_e32 0x80, v2
	s_cbranch_execz .LBB329_3166
; %bb.3161:                             ;   in Loop: Header=BB329_2079 Depth=1
	v_and_b32_e32 v74, 0x7f, v2
	v_mov_b32_e32 v72, 0x7c010000
	s_mov_b32 s26, exec_lo
	v_cmpx_ne_u32_e32 0x7f, v74
	s_cbranch_execz .LBB329_3165
; %bb.3162:                             ;   in Loop: Header=BB329_2079 Depth=1
	v_and_b32_e32 v62, 7, v2
	v_lshrrev_b32_e32 v63, 3, v74
	s_mov_b32 s27, exec_lo
	v_cmpx_gt_u32_e32 8, v74
; %bb.3163:                             ;   in Loop: Header=BB329_2079 Depth=1
	v_ffbh_u32_e32 v62, v62
	v_min_u32_e32 v72, 32, v62
	v_subrev_nc_u32_e32 v62, 28, v72
	v_lshlrev_b64 v[62:63], v62, v[2:3]
	v_sub_nc_u32_e32 v63, 29, v72
	v_and_b32_e32 v62, 7, v62
; %bb.3164:                             ;   in Loop: Header=BB329_2079 Depth=1
	s_or_b32 exec_lo, exec_lo, s27
	v_lshlrev_b32_e32 v2, 8, v2
	v_lshl_add_u32 v63, v63, 10, 0x2000
	v_lshlrev_b32_e32 v62, 23, v62
	v_and_or_b32 v2, 0x8000, v2, v63
	v_lshl_or_b32 v72, v2, 16, v62
.LBB329_3165:                           ;   in Loop: Header=BB329_2079 Depth=1
	s_or_b32 exec_lo, exec_lo, s26
.LBB329_3166:                           ;   in Loop: Header=BB329_2079 Depth=1
	s_or_b32 exec_lo, exec_lo, s25
.LBB329_3167:                           ;   in Loop: Header=BB329_2079 Depth=1
	s_or_b32 exec_lo, exec_lo, s21
	v_mov_b32_e32 v2, v16
	v_cmp_ne_u16_sdwa s12, v16, v3 src0_sel:BYTE_0 src1_sel:DWORD
	v_mov_b32_e32 v62, 0
	v_mov_b32_e32 v63, 0
	s_and_saveexec_b32 s21, s12
	s_cbranch_execz .LBB329_3175
; %bb.3168:                             ;   in Loop: Header=BB329_2079 Depth=1
	v_cmp_ne_u16_sdwa s12, v16, v96 src0_sel:BYTE_0 src1_sel:DWORD
	v_mov_b32_e32 v63, 0x8000
	s_and_saveexec_b32 s25, s12
	s_cbranch_execz .LBB329_3174
; %bb.3169:                             ;   in Loop: Header=BB329_2079 Depth=1
	v_and_b32_e32 v75, 0x7f, v16
	v_mov_b32_e32 v63, 0x7c01
	s_mov_b32 s26, exec_lo
	v_cmpx_ne_u32_e32 0x7f, v75
	s_cbranch_execz .LBB329_3173
; %bb.3170:                             ;   in Loop: Header=BB329_2079 Depth=1
	v_and_b32_e32 v63, 7, v16
	v_lshrrev_b32_e32 v74, 3, v75
	s_mov_b32 s27, exec_lo
	v_cmpx_gt_u32_e32 8, v75
; %bb.3171:                             ;   in Loop: Header=BB329_2079 Depth=1
	v_ffbh_u32_e32 v63, v63
	v_min_u32_e32 v63, 32, v63
	v_subrev_nc_u32_e32 v74, 28, v63
	v_lshlrev_b64 v[75:76], v74, v[2:3]
	v_sub_nc_u32_e32 v74, 29, v63
	v_and_b32_e32 v63, 7, v75
; %bb.3172:                             ;   in Loop: Header=BB329_2079 Depth=1
	s_or_b32 exec_lo, exec_lo, s27
	v_lshlrev_b32_e32 v75, 8, v16
	v_lshl_add_u32 v74, v74, 10, 0x2000
	v_lshlrev_b32_e32 v63, 7, v63
	v_and_b32_e32 v75, 0x8000, v75
	v_and_b32_e32 v74, 0xfc00, v74
	v_or3_b32 v63, v75, v74, v63
.LBB329_3173:                           ;   in Loop: Header=BB329_2079 Depth=1
	s_or_b32 exec_lo, exec_lo, s26
.LBB329_3174:                           ;   in Loop: Header=BB329_2079 Depth=1
	s_or_b32 exec_lo, exec_lo, s25
.LBB329_3175:                           ;   in Loop: Header=BB329_2079 Depth=1
	s_or_b32 exec_lo, exec_lo, s21
	v_lshrrev_b16 v2, 8, v2
	v_mov_b32_e32 v74, 0
	s_mov_b32 s21, exec_lo
	v_cmpx_ne_u16_e32 0, v2
	s_cbranch_execz .LBB329_3183
; %bb.3176:                             ;   in Loop: Header=BB329_2079 Depth=1
	v_bfrev_b32_e32 v74, 1
	s_mov_b32 s25, exec_lo
	v_cmpx_ne_u16_e32 0x80, v2
	s_cbranch_execz .LBB329_3182
; %bb.3177:                             ;   in Loop: Header=BB329_2079 Depth=1
	v_and_b32_sdwa v76, v2, v97 dst_sel:DWORD dst_unused:UNUSED_PAD src0_sel:WORD_0 src1_sel:DWORD
	v_mov_b32_e32 v74, 0x7c010000
	s_mov_b32 s26, exec_lo
	v_cmpx_ne_u32_e32 0x7f, v76
	s_cbranch_execz .LBB329_3181
; %bb.3178:                             ;   in Loop: Header=BB329_2079 Depth=1
	v_and_b32_sdwa v74, v2, v64 dst_sel:DWORD dst_unused:UNUSED_PAD src0_sel:WORD_0 src1_sel:DWORD
	v_lshrrev_b32_e32 v75, 3, v76
	s_mov_b32 s27, exec_lo
	v_cmpx_gt_u32_e32 8, v76
; %bb.3179:                             ;   in Loop: Header=BB329_2079 Depth=1
	v_ffbh_u32_e32 v74, v74
	v_min_u32_e32 v76, 32, v74
	v_subrev_nc_u32_e32 v74, 28, v76
	v_lshlrev_b64 v[74:75], v74, v[2:3]
	v_sub_nc_u32_e32 v75, 29, v76
	v_and_b32_e32 v74, 7, v74
; %bb.3180:                             ;   in Loop: Header=BB329_2079 Depth=1
	s_or_b32 exec_lo, exec_lo, s27
	v_lshlrev_b32_sdwa v2, v61, v2 dst_sel:DWORD dst_unused:UNUSED_PAD src0_sel:DWORD src1_sel:WORD_0
	v_lshl_add_u32 v75, v75, 10, 0x2000
	v_lshlrev_b32_e32 v74, 23, v74
	v_and_or_b32 v2, 0x8000, v2, v75
	v_lshl_or_b32 v74, v2, 16, v74
.LBB329_3181:                           ;   in Loop: Header=BB329_2079 Depth=1
	s_or_b32 exec_lo, exec_lo, s26
.LBB329_3182:                           ;   in Loop: Header=BB329_2079 Depth=1
	s_or_b32 exec_lo, exec_lo, s25
.LBB329_3183:                           ;   in Loop: Header=BB329_2079 Depth=1
	s_or_b32 exec_lo, exec_lo, s21
	v_lshrrev_b32_e32 v2, 16, v16
	v_cmp_ne_u16_sdwa s12, v2, v3 src0_sel:BYTE_0 src1_sel:DWORD
	s_and_saveexec_b32 s21, s12
	s_cbranch_execz .LBB329_3191
; %bb.3184:                             ;   in Loop: Header=BB329_2079 Depth=1
	v_cmp_ne_u16_sdwa s12, v2, v96 src0_sel:BYTE_0 src1_sel:DWORD
	v_mov_b32_e32 v62, 0x8000
	s_and_saveexec_b32 s25, s12
	s_cbranch_execz .LBB329_3190
; %bb.3185:                             ;   in Loop: Header=BB329_2079 Depth=1
	v_bfe_u32 v76, v16, 16, 7
	v_mov_b32_e32 v62, 0x7c01
	s_mov_b32 s26, exec_lo
	v_cmpx_ne_u32_e32 0x7f, v76
	s_cbranch_execz .LBB329_3189
; %bb.3186:                             ;   in Loop: Header=BB329_2079 Depth=1
	v_and_b32_e32 v62, 7, v2
	v_lshrrev_b32_e32 v75, 3, v76
	s_mov_b32 s27, exec_lo
	v_cmpx_gt_u32_e32 8, v76
; %bb.3187:                             ;   in Loop: Header=BB329_2079 Depth=1
	v_ffbh_u32_e32 v62, v62
	v_min_u32_e32 v62, 32, v62
	v_subrev_nc_u32_e32 v75, 28, v62
	v_lshlrev_b64 v[76:77], v75, v[2:3]
	v_sub_nc_u32_e32 v75, 29, v62
	v_and_b32_e32 v62, 7, v76
; %bb.3188:                             ;   in Loop: Header=BB329_2079 Depth=1
	s_or_b32 exec_lo, exec_lo, s27
	v_lshlrev_b32_e32 v2, 8, v2
	v_lshl_add_u32 v75, v75, 10, 0x2000
	v_lshlrev_b32_e32 v62, 7, v62
	v_and_b32_e32 v2, 0x8000, v2
	v_and_b32_e32 v75, 0xfc00, v75
	v_or3_b32 v62, v2, v75, v62
.LBB329_3189:                           ;   in Loop: Header=BB329_2079 Depth=1
	s_or_b32 exec_lo, exec_lo, s26
.LBB329_3190:                           ;   in Loop: Header=BB329_2079 Depth=1
	s_or_b32 exec_lo, exec_lo, s25
.LBB329_3191:                           ;   in Loop: Header=BB329_2079 Depth=1
	s_or_b32 exec_lo, exec_lo, s21
	v_cmp_lt_u64_e64 s12, s[22:23], v[15:16]
	v_mov_b32_e32 v15, 0
	s_and_saveexec_b32 s21, s12
	s_cbranch_execz .LBB329_3199
; %bb.3192:                             ;   in Loop: Header=BB329_2079 Depth=1
	v_lshrrev_b32_e32 v2, 24, v16
	v_bfrev_b32_e32 v15, 1
	s_mov_b32 s25, exec_lo
	v_cmpx_ne_u32_e32 0x80, v2
	s_cbranch_execz .LBB329_3198
; %bb.3193:                             ;   in Loop: Header=BB329_2079 Depth=1
	v_and_b32_e32 v75, 0x7f, v2
	v_mov_b32_e32 v15, 0x7c010000
	s_mov_b32 s26, exec_lo
	v_cmpx_ne_u32_e32 0x7f, v75
	s_cbranch_execz .LBB329_3197
; %bb.3194:                             ;   in Loop: Header=BB329_2079 Depth=1
	v_and_b32_e32 v15, 7, v2
	v_lshrrev_b32_e32 v16, 3, v75
	s_mov_b32 s27, exec_lo
	v_cmpx_gt_u32_e32 8, v75
; %bb.3195:                             ;   in Loop: Header=BB329_2079 Depth=1
	v_ffbh_u32_e32 v15, v15
	v_min_u32_e32 v75, 32, v15
	v_subrev_nc_u32_e32 v15, 28, v75
	v_lshlrev_b64 v[15:16], v15, v[2:3]
	v_sub_nc_u32_e32 v16, 29, v75
	v_and_b32_e32 v15, 7, v15
; %bb.3196:                             ;   in Loop: Header=BB329_2079 Depth=1
	s_or_b32 exec_lo, exec_lo, s27
	v_lshlrev_b32_e32 v2, 8, v2
	v_lshl_add_u32 v16, v16, 10, 0x2000
	v_lshlrev_b32_e32 v15, 23, v15
	v_and_or_b32 v2, 0x8000, v2, v16
	v_lshl_or_b32 v15, v2, 16, v15
.LBB329_3197:                           ;   in Loop: Header=BB329_2079 Depth=1
	s_or_b32 exec_lo, exec_lo, s26
.LBB329_3198:                           ;   in Loop: Header=BB329_2079 Depth=1
	s_or_b32 exec_lo, exec_lo, s25
.LBB329_3199:                           ;   in Loop: Header=BB329_2079 Depth=1
	s_or_b32 exec_lo, exec_lo, s21
	v_or_b32_e32 v2, v72, v73
	s_waitcnt vmcnt(0) lgkmcnt(0)
	v_fma_mixlo_f16 v16, v37, v72, 0 op_sel:[0,1,0] op_sel_hi:[0,1,0]
	v_or_b32_e32 v82, v81, v82
	v_or_b32_e32 v63, v74, v63
	v_or_b32_e32 v62, v15, v62
	v_fma_mixlo_f16 v72, v37, v2, 0 op_sel_hi:[0,1,0]
	v_fma_mixlo_f16 v81, v37, v81, 0 op_sel:[0,1,0] op_sel_hi:[0,1,0]
	v_lshlrev_b32_e32 v2, 16, v16
	v_fma_mixlo_f16 v82, v37, v82, 0 op_sel_hi:[0,1,0]
	v_fma_mixlo_f16 v63, v37, v63, 0 op_sel_hi:[0,1,0]
	v_and_b32_e32 v16, 0xffff, v72
	v_fma_mixlo_f16 v72, v37, v74, 0 op_sel:[0,1,0] op_sel_hi:[0,1,0]
	v_fma_mixlo_f16 v15, v37, v15, 0 op_sel:[0,1,0] op_sel_hi:[0,1,0]
	v_fma_mixlo_f16 v37, v37, v62, 0 op_sel_hi:[0,1,0]
	v_lshlrev_b32_e32 v81, 16, v81
	v_and_b32_e32 v75, 0xffff, v82
	v_lshlrev_b32_e32 v72, 16, v72
	v_and_b32_e32 v74, 0xffff, v63
	;; [unrolled: 2-line block ×3, first 2 shown]
	v_or_b32_e32 v15, v2, v16
	v_or_b32_e32 v62, v81, v75
	;; [unrolled: 1-line block ×4, first 2 shown]
	s_and_saveexec_b32 s12, s6
	s_cbranch_execz .LBB329_3201
; %bb.3200:                             ;   in Loop: Header=BB329_2079 Depth=1
	v_cndmask_b32_e32 v15, 0, v75, vcc_lo
	v_cndmask_b32_e64 v37, 0, v81, s5
	v_cndmask_b32_e64 v16, 0, v16, s4
	;; [unrolled: 1-line block ×7, first 2 shown]
	v_or_b32_e32 v62, v15, v37
	v_or_b32_e32 v15, v16, v2
	;; [unrolled: 1-line block ×4, first 2 shown]
.LBB329_3201:                           ;   in Loop: Header=BB329_2079 Depth=1
	s_or_b32 exec_lo, exec_lo, s12
	;;#ASMSTART
	v_pk_mul_f16 v2, v103, v62;

	;;#ASMEND
	;;#ASMSTART
	v_pk_mul_f16 v15, v102, v15;

	;;#ASMEND
	;; [unrolled: 4-line block ×4, first 2 shown]
	;;#ASMSTART
	v_pk_add_f16 v2, v2, v15;

	;;#ASMEND
	;;#ASMSTART
	v_pk_add_f16 v2, v2, v16;

	;;#ASMEND
	;; [unrolled: 4-line block ×3, first 2 shown]
	v_and_b32_e32 v15, 0xffff, v2
	v_lshrrev_b32_e32 v2, 16, v2
	;;#ASMSTART
	v_cvt_f32_f16 v72, v15;
	;;#ASMEND
	;;#ASMSTART
	v_cvt_f32_f16 v73, v2;
	;;#ASMEND
	flat_load_dwordx2 v[15:16], v[13:14] offset:256
	s_clause 0x1
	buffer_load_dword v81, off, s[0:3], s32 offset:192
	buffer_load_dword v82, off, s[0:3], s32 offset:196
	s_waitcnt vmcnt(2) lgkmcnt(0)
	v_cmp_ne_u16_sdwa s12, v15, v3 src0_sel:BYTE_0 src1_sel:DWORD
	s_waitcnt vmcnt(0)
	flat_load_dword v37, v[81:82]
	v_mov_b32_e32 v81, 0
	v_mov_b32_e32 v82, 0
	s_and_saveexec_b32 s21, s12
	s_cbranch_execz .LBB329_3209
; %bb.3202:                             ;   in Loop: Header=BB329_2079 Depth=1
	v_cmp_ne_u16_sdwa s12, v15, v96 src0_sel:BYTE_0 src1_sel:DWORD
	v_mov_b32_e32 v82, 0x8000
	s_and_saveexec_b32 s25, s12
	s_cbranch_execz .LBB329_3208
; %bb.3203:                             ;   in Loop: Header=BB329_2079 Depth=1
	v_and_b32_e32 v62, 0x7f, v15
	v_mov_b32_e32 v82, 0x7c01
	s_mov_b32 s26, exec_lo
	v_cmpx_ne_u32_e32 0x7f, v62
	s_cbranch_execz .LBB329_3207
; %bb.3204:                             ;   in Loop: Header=BB329_2079 Depth=1
	v_and_b32_e32 v2, 7, v15
	v_lshrrev_b32_e32 v82, 3, v62
	s_mov_b32 s27, exec_lo
	v_cmpx_gt_u32_e32 8, v62
; %bb.3205:                             ;   in Loop: Header=BB329_2079 Depth=1
	v_ffbh_u32_e32 v2, v2
	v_min_u32_e32 v2, 32, v2
	v_subrev_nc_u32_e32 v82, 28, v2
	v_lshlrev_b64 v[62:63], v82, v[15:16]
	v_sub_nc_u32_e32 v82, 29, v2
	v_and_b32_e32 v2, 7, v62
; %bb.3206:                             ;   in Loop: Header=BB329_2079 Depth=1
	s_or_b32 exec_lo, exec_lo, s27
	v_lshlrev_b32_e32 v62, 8, v15
	v_lshl_add_u32 v82, v82, 10, 0x2000
	v_lshlrev_b32_e32 v2, 7, v2
	v_and_b32_e32 v62, 0x8000, v62
	v_and_b32_e32 v82, 0xfc00, v82
	v_or3_b32 v82, v62, v82, v2
.LBB329_3207:                           ;   in Loop: Header=BB329_2079 Depth=1
	s_or_b32 exec_lo, exec_lo, s26
.LBB329_3208:                           ;   in Loop: Header=BB329_2079 Depth=1
	s_or_b32 exec_lo, exec_lo, s25
.LBB329_3209:                           ;   in Loop: Header=BB329_2079 Depth=1
	s_or_b32 exec_lo, exec_lo, s21
	v_lshrrev_b16 v2, 8, v15
	s_mov_b32 s21, exec_lo
	v_cmpx_ne_u16_e32 0, v2
	s_cbranch_execz .LBB329_3217
; %bb.3210:                             ;   in Loop: Header=BB329_2079 Depth=1
	v_bfrev_b32_e32 v81, 1
	s_mov_b32 s25, exec_lo
	v_cmpx_ne_u16_e32 0x80, v2
	s_cbranch_execz .LBB329_3216
; %bb.3211:                             ;   in Loop: Header=BB329_2079 Depth=1
	v_and_b32_sdwa v63, v2, v97 dst_sel:DWORD dst_unused:UNUSED_PAD src0_sel:WORD_0 src1_sel:DWORD
	v_mov_b32_e32 v81, 0x7c010000
	s_mov_b32 s26, exec_lo
	v_cmpx_ne_u32_e32 0x7f, v63
	s_cbranch_execz .LBB329_3215
; %bb.3212:                             ;   in Loop: Header=BB329_2079 Depth=1
	v_and_b32_sdwa v81, v2, v64 dst_sel:DWORD dst_unused:UNUSED_PAD src0_sel:WORD_0 src1_sel:DWORD
	v_lshrrev_b32_e32 v62, 3, v63
	s_mov_b32 s27, exec_lo
	v_cmpx_gt_u32_e32 8, v63
; %bb.3213:                             ;   in Loop: Header=BB329_2079 Depth=1
	v_ffbh_u32_e32 v81, v81
	v_min_u32_e32 v81, 32, v81
	v_subrev_nc_u32_e32 v62, 28, v81
	v_lshlrev_b64 v[74:75], v62, v[2:3]
	v_sub_nc_u32_e32 v62, 29, v81
	v_and_b32_e32 v81, 7, v74
; %bb.3214:                             ;   in Loop: Header=BB329_2079 Depth=1
	s_or_b32 exec_lo, exec_lo, s27
	v_lshlrev_b32_sdwa v2, v61, v2 dst_sel:DWORD dst_unused:UNUSED_PAD src0_sel:DWORD src1_sel:WORD_0
	v_lshl_add_u32 v62, v62, 10, 0x2000
	v_lshlrev_b32_e32 v81, 23, v81
	v_and_or_b32 v2, 0x8000, v2, v62
	v_lshl_or_b32 v81, v2, 16, v81
.LBB329_3215:                           ;   in Loop: Header=BB329_2079 Depth=1
	s_or_b32 exec_lo, exec_lo, s26
.LBB329_3216:                           ;   in Loop: Header=BB329_2079 Depth=1
	s_or_b32 exec_lo, exec_lo, s25
.LBB329_3217:                           ;   in Loop: Header=BB329_2079 Depth=1
	s_or_b32 exec_lo, exec_lo, s21
	v_lshrrev_b32_e32 v2, 16, v15
	v_mov_b32_e32 v74, 0
	v_mov_b32_e32 v75, 0
	v_cmp_ne_u16_sdwa s12, v2, v3 src0_sel:BYTE_0 src1_sel:DWORD
	s_and_saveexec_b32 s21, s12
	s_cbranch_execz .LBB329_3225
; %bb.3218:                             ;   in Loop: Header=BB329_2079 Depth=1
	v_cmp_ne_u16_sdwa s12, v2, v96 src0_sel:BYTE_0 src1_sel:DWORD
	v_mov_b32_e32 v75, 0x8000
	s_and_saveexec_b32 s25, s12
	s_cbranch_execz .LBB329_3224
; %bb.3219:                             ;   in Loop: Header=BB329_2079 Depth=1
	v_bfe_u32 v76, v15, 16, 7
	v_mov_b32_e32 v75, 0x7c01
	s_mov_b32 s26, exec_lo
	v_cmpx_ne_u32_e32 0x7f, v76
	s_cbranch_execz .LBB329_3223
; %bb.3220:                             ;   in Loop: Header=BB329_2079 Depth=1
	v_and_b32_e32 v62, 7, v2
	v_lshrrev_b32_e32 v63, 3, v76
	s_mov_b32 s27, exec_lo
	v_cmpx_gt_u32_e32 8, v76
; %bb.3221:                             ;   in Loop: Header=BB329_2079 Depth=1
	v_ffbh_u32_e32 v62, v62
	v_min_u32_e32 v75, 32, v62
	v_subrev_nc_u32_e32 v62, 28, v75
	v_lshlrev_b64 v[62:63], v62, v[2:3]
	v_sub_nc_u32_e32 v63, 29, v75
	v_and_b32_e32 v62, 7, v62
; %bb.3222:                             ;   in Loop: Header=BB329_2079 Depth=1
	s_or_b32 exec_lo, exec_lo, s27
	v_lshlrev_b32_e32 v2, 8, v2
	v_lshl_add_u32 v63, v63, 10, 0x2000
	v_lshlrev_b32_e32 v62, 7, v62
	v_and_b32_e32 v2, 0x8000, v2
	v_and_b32_e32 v63, 0xfc00, v63
	v_or3_b32 v75, v2, v63, v62
.LBB329_3223:                           ;   in Loop: Header=BB329_2079 Depth=1
	s_or_b32 exec_lo, exec_lo, s26
.LBB329_3224:                           ;   in Loop: Header=BB329_2079 Depth=1
	s_or_b32 exec_lo, exec_lo, s25
.LBB329_3225:                           ;   in Loop: Header=BB329_2079 Depth=1
	s_or_b32 exec_lo, exec_lo, s21
	s_mov_b32 s21, exec_lo
	v_cmpx_lt_u32_e32 0xffffff, v15
	s_cbranch_execz .LBB329_3233
; %bb.3226:                             ;   in Loop: Header=BB329_2079 Depth=1
	v_lshrrev_b32_e32 v2, 24, v15
	v_bfrev_b32_e32 v74, 1
	s_mov_b32 s25, exec_lo
	v_cmpx_ne_u32_e32 0x80, v2
	s_cbranch_execz .LBB329_3232
; %bb.3227:                             ;   in Loop: Header=BB329_2079 Depth=1
	v_and_b32_e32 v76, 0x7f, v2
	v_mov_b32_e32 v74, 0x7c010000
	s_mov_b32 s26, exec_lo
	v_cmpx_ne_u32_e32 0x7f, v76
	s_cbranch_execz .LBB329_3231
; %bb.3228:                             ;   in Loop: Header=BB329_2079 Depth=1
	v_and_b32_e32 v62, 7, v2
	v_lshrrev_b32_e32 v63, 3, v76
	s_mov_b32 s27, exec_lo
	v_cmpx_gt_u32_e32 8, v76
; %bb.3229:                             ;   in Loop: Header=BB329_2079 Depth=1
	v_ffbh_u32_e32 v62, v62
	v_min_u32_e32 v74, 32, v62
	v_subrev_nc_u32_e32 v62, 28, v74
	v_lshlrev_b64 v[62:63], v62, v[2:3]
	v_sub_nc_u32_e32 v63, 29, v74
	v_and_b32_e32 v62, 7, v62
; %bb.3230:                             ;   in Loop: Header=BB329_2079 Depth=1
	s_or_b32 exec_lo, exec_lo, s27
	v_lshlrev_b32_e32 v2, 8, v2
	v_lshl_add_u32 v63, v63, 10, 0x2000
	v_lshlrev_b32_e32 v62, 23, v62
	v_and_or_b32 v2, 0x8000, v2, v63
	v_lshl_or_b32 v74, v2, 16, v62
.LBB329_3231:                           ;   in Loop: Header=BB329_2079 Depth=1
	s_or_b32 exec_lo, exec_lo, s26
.LBB329_3232:                           ;   in Loop: Header=BB329_2079 Depth=1
	s_or_b32 exec_lo, exec_lo, s25
.LBB329_3233:                           ;   in Loop: Header=BB329_2079 Depth=1
	s_or_b32 exec_lo, exec_lo, s21
	v_mov_b32_e32 v2, v16
	v_cmp_ne_u16_sdwa s12, v16, v3 src0_sel:BYTE_0 src1_sel:DWORD
	v_mov_b32_e32 v62, 0
	v_mov_b32_e32 v63, 0
	s_and_saveexec_b32 s21, s12
	s_cbranch_execz .LBB329_3241
; %bb.3234:                             ;   in Loop: Header=BB329_2079 Depth=1
	v_cmp_ne_u16_sdwa s12, v16, v96 src0_sel:BYTE_0 src1_sel:DWORD
	v_mov_b32_e32 v63, 0x8000
	s_and_saveexec_b32 s25, s12
	s_cbranch_execz .LBB329_3240
; %bb.3235:                             ;   in Loop: Header=BB329_2079 Depth=1
	v_and_b32_e32 v77, 0x7f, v16
	v_mov_b32_e32 v63, 0x7c01
	s_mov_b32 s26, exec_lo
	v_cmpx_ne_u32_e32 0x7f, v77
	s_cbranch_execz .LBB329_3239
; %bb.3236:                             ;   in Loop: Header=BB329_2079 Depth=1
	v_and_b32_e32 v63, 7, v16
	v_lshrrev_b32_e32 v76, 3, v77
	s_mov_b32 s27, exec_lo
	v_cmpx_gt_u32_e32 8, v77
; %bb.3237:                             ;   in Loop: Header=BB329_2079 Depth=1
	v_ffbh_u32_e32 v63, v63
	v_min_u32_e32 v63, 32, v63
	v_subrev_nc_u32_e32 v76, 28, v63
	v_lshlrev_b64 v[77:78], v76, v[2:3]
	v_sub_nc_u32_e32 v76, 29, v63
	v_and_b32_e32 v63, 7, v77
; %bb.3238:                             ;   in Loop: Header=BB329_2079 Depth=1
	s_or_b32 exec_lo, exec_lo, s27
	v_lshlrev_b32_e32 v77, 8, v16
	v_lshl_add_u32 v76, v76, 10, 0x2000
	v_lshlrev_b32_e32 v63, 7, v63
	v_and_b32_e32 v77, 0x8000, v77
	v_and_b32_e32 v76, 0xfc00, v76
	v_or3_b32 v63, v77, v76, v63
.LBB329_3239:                           ;   in Loop: Header=BB329_2079 Depth=1
	s_or_b32 exec_lo, exec_lo, s26
.LBB329_3240:                           ;   in Loop: Header=BB329_2079 Depth=1
	s_or_b32 exec_lo, exec_lo, s25
.LBB329_3241:                           ;   in Loop: Header=BB329_2079 Depth=1
	s_or_b32 exec_lo, exec_lo, s21
	v_lshrrev_b16 v2, 8, v2
	v_mov_b32_e32 v76, 0
	s_mov_b32 s21, exec_lo
	v_cmpx_ne_u16_e32 0, v2
	s_cbranch_execz .LBB329_3249
; %bb.3242:                             ;   in Loop: Header=BB329_2079 Depth=1
	v_bfrev_b32_e32 v76, 1
	s_mov_b32 s25, exec_lo
	v_cmpx_ne_u16_e32 0x80, v2
	s_cbranch_execz .LBB329_3248
; %bb.3243:                             ;   in Loop: Header=BB329_2079 Depth=1
	v_and_b32_sdwa v78, v2, v97 dst_sel:DWORD dst_unused:UNUSED_PAD src0_sel:WORD_0 src1_sel:DWORD
	v_mov_b32_e32 v76, 0x7c010000
	s_mov_b32 s26, exec_lo
	v_cmpx_ne_u32_e32 0x7f, v78
	s_cbranch_execz .LBB329_3247
; %bb.3244:                             ;   in Loop: Header=BB329_2079 Depth=1
	v_and_b32_sdwa v76, v2, v64 dst_sel:DWORD dst_unused:UNUSED_PAD src0_sel:WORD_0 src1_sel:DWORD
	v_lshrrev_b32_e32 v77, 3, v78
	s_mov_b32 s27, exec_lo
	v_cmpx_gt_u32_e32 8, v78
; %bb.3245:                             ;   in Loop: Header=BB329_2079 Depth=1
	v_ffbh_u32_e32 v76, v76
	v_min_u32_e32 v78, 32, v76
	v_subrev_nc_u32_e32 v76, 28, v78
	v_lshlrev_b64 v[76:77], v76, v[2:3]
	v_sub_nc_u32_e32 v77, 29, v78
	v_and_b32_e32 v76, 7, v76
; %bb.3246:                             ;   in Loop: Header=BB329_2079 Depth=1
	s_or_b32 exec_lo, exec_lo, s27
	v_lshlrev_b32_sdwa v2, v61, v2 dst_sel:DWORD dst_unused:UNUSED_PAD src0_sel:DWORD src1_sel:WORD_0
	v_lshl_add_u32 v77, v77, 10, 0x2000
	v_lshlrev_b32_e32 v76, 23, v76
	v_and_or_b32 v2, 0x8000, v2, v77
	v_lshl_or_b32 v76, v2, 16, v76
.LBB329_3247:                           ;   in Loop: Header=BB329_2079 Depth=1
	s_or_b32 exec_lo, exec_lo, s26
.LBB329_3248:                           ;   in Loop: Header=BB329_2079 Depth=1
	s_or_b32 exec_lo, exec_lo, s25
.LBB329_3249:                           ;   in Loop: Header=BB329_2079 Depth=1
	s_or_b32 exec_lo, exec_lo, s21
	v_lshrrev_b32_e32 v2, 16, v16
	v_cmp_ne_u16_sdwa s12, v2, v3 src0_sel:BYTE_0 src1_sel:DWORD
	s_and_saveexec_b32 s21, s12
	s_cbranch_execz .LBB329_3257
; %bb.3250:                             ;   in Loop: Header=BB329_2079 Depth=1
	v_cmp_ne_u16_sdwa s12, v2, v96 src0_sel:BYTE_0 src1_sel:DWORD
	v_mov_b32_e32 v62, 0x8000
	s_and_saveexec_b32 s25, s12
	s_cbranch_execz .LBB329_3256
; %bb.3251:                             ;   in Loop: Header=BB329_2079 Depth=1
	v_bfe_u32 v78, v16, 16, 7
	v_mov_b32_e32 v62, 0x7c01
	s_mov_b32 s26, exec_lo
	v_cmpx_ne_u32_e32 0x7f, v78
	s_cbranch_execz .LBB329_3255
; %bb.3252:                             ;   in Loop: Header=BB329_2079 Depth=1
	v_and_b32_e32 v62, 7, v2
	v_lshrrev_b32_e32 v77, 3, v78
	s_mov_b32 s27, exec_lo
	v_cmpx_gt_u32_e32 8, v78
; %bb.3253:                             ;   in Loop: Header=BB329_2079 Depth=1
	v_ffbh_u32_e32 v62, v62
	v_min_u32_e32 v62, 32, v62
	v_subrev_nc_u32_e32 v77, 28, v62
	v_lshlrev_b64 v[78:79], v77, v[2:3]
	v_sub_nc_u32_e32 v77, 29, v62
	v_and_b32_e32 v62, 7, v78
; %bb.3254:                             ;   in Loop: Header=BB329_2079 Depth=1
	s_or_b32 exec_lo, exec_lo, s27
	v_lshlrev_b32_e32 v2, 8, v2
	v_lshl_add_u32 v77, v77, 10, 0x2000
	v_lshlrev_b32_e32 v62, 7, v62
	v_and_b32_e32 v2, 0x8000, v2
	v_and_b32_e32 v77, 0xfc00, v77
	v_or3_b32 v62, v2, v77, v62
.LBB329_3255:                           ;   in Loop: Header=BB329_2079 Depth=1
	s_or_b32 exec_lo, exec_lo, s26
.LBB329_3256:                           ;   in Loop: Header=BB329_2079 Depth=1
	s_or_b32 exec_lo, exec_lo, s25
.LBB329_3257:                           ;   in Loop: Header=BB329_2079 Depth=1
	s_or_b32 exec_lo, exec_lo, s21
	v_cmp_lt_u64_e64 s12, s[22:23], v[15:16]
	v_mov_b32_e32 v15, 0
	s_and_saveexec_b32 s21, s12
	s_cbranch_execz .LBB329_3265
; %bb.3258:                             ;   in Loop: Header=BB329_2079 Depth=1
	v_lshrrev_b32_e32 v2, 24, v16
	v_bfrev_b32_e32 v15, 1
	s_mov_b32 s25, exec_lo
	v_cmpx_ne_u32_e32 0x80, v2
	s_cbranch_execz .LBB329_3264
; %bb.3259:                             ;   in Loop: Header=BB329_2079 Depth=1
	v_and_b32_e32 v77, 0x7f, v2
	v_mov_b32_e32 v15, 0x7c010000
	s_mov_b32 s26, exec_lo
	v_cmpx_ne_u32_e32 0x7f, v77
	s_cbranch_execz .LBB329_3263
; %bb.3260:                             ;   in Loop: Header=BB329_2079 Depth=1
	v_and_b32_e32 v15, 7, v2
	v_lshrrev_b32_e32 v16, 3, v77
	s_mov_b32 s27, exec_lo
	v_cmpx_gt_u32_e32 8, v77
; %bb.3261:                             ;   in Loop: Header=BB329_2079 Depth=1
	v_ffbh_u32_e32 v15, v15
	v_min_u32_e32 v77, 32, v15
	v_subrev_nc_u32_e32 v15, 28, v77
	v_lshlrev_b64 v[15:16], v15, v[2:3]
	v_sub_nc_u32_e32 v16, 29, v77
	v_and_b32_e32 v15, 7, v15
; %bb.3262:                             ;   in Loop: Header=BB329_2079 Depth=1
	s_or_b32 exec_lo, exec_lo, s27
	v_lshlrev_b32_e32 v2, 8, v2
	v_lshl_add_u32 v16, v16, 10, 0x2000
	v_lshlrev_b32_e32 v15, 23, v15
	v_and_or_b32 v2, 0x8000, v2, v16
	v_lshl_or_b32 v15, v2, 16, v15
.LBB329_3263:                           ;   in Loop: Header=BB329_2079 Depth=1
	s_or_b32 exec_lo, exec_lo, s26
.LBB329_3264:                           ;   in Loop: Header=BB329_2079 Depth=1
	s_or_b32 exec_lo, exec_lo, s25
.LBB329_3265:                           ;   in Loop: Header=BB329_2079 Depth=1
	s_or_b32 exec_lo, exec_lo, s21
	v_or_b32_e32 v2, v74, v75
	s_waitcnt vmcnt(0) lgkmcnt(0)
	v_fma_mixlo_f16 v16, v37, v74, 0 op_sel:[0,1,0] op_sel_hi:[0,1,0]
	v_or_b32_e32 v82, v81, v82
	v_or_b32_e32 v63, v76, v63
	;; [unrolled: 1-line block ×3, first 2 shown]
	v_fma_mixlo_f16 v74, v37, v2, 0 op_sel_hi:[0,1,0]
	v_fma_mixlo_f16 v81, v37, v81, 0 op_sel:[0,1,0] op_sel_hi:[0,1,0]
	v_lshlrev_b32_e32 v2, 16, v16
	v_fma_mixlo_f16 v82, v37, v82, 0 op_sel_hi:[0,1,0]
	v_fma_mixlo_f16 v63, v37, v63, 0 op_sel_hi:[0,1,0]
	v_and_b32_e32 v16, 0xffff, v74
	v_fma_mixlo_f16 v74, v37, v76, 0 op_sel:[0,1,0] op_sel_hi:[0,1,0]
	v_fma_mixlo_f16 v15, v37, v15, 0 op_sel:[0,1,0] op_sel_hi:[0,1,0]
	v_fma_mixlo_f16 v37, v37, v62, 0 op_sel_hi:[0,1,0]
	v_lshlrev_b32_e32 v81, 16, v81
	v_and_b32_e32 v77, 0xffff, v82
	v_lshlrev_b32_e32 v74, 16, v74
	v_and_b32_e32 v76, 0xffff, v63
	;; [unrolled: 2-line block ×3, first 2 shown]
	v_or_b32_e32 v15, v2, v16
	v_or_b32_e32 v62, v81, v77
	v_or_b32_e32 v82, v74, v76
	v_or_b32_e32 v37, v63, v75
	s_and_saveexec_b32 s12, s6
	s_cbranch_execz .LBB329_3267
; %bb.3266:                             ;   in Loop: Header=BB329_2079 Depth=1
	v_cndmask_b32_e32 v15, 0, v77, vcc_lo
	v_cndmask_b32_e64 v37, 0, v81, s5
	v_cndmask_b32_e64 v16, 0, v16, s4
	;; [unrolled: 1-line block ×7, first 2 shown]
	v_or_b32_e32 v62, v15, v37
	v_or_b32_e32 v15, v16, v2
	;; [unrolled: 1-line block ×4, first 2 shown]
.LBB329_3267:                           ;   in Loop: Header=BB329_2079 Depth=1
	s_or_b32 exec_lo, exec_lo, s12
	;;#ASMSTART
	v_pk_mul_f16 v2, v103, v62;

	;;#ASMEND
	;;#ASMSTART
	v_pk_mul_f16 v15, v102, v15;

	;;#ASMEND
	;; [unrolled: 4-line block ×4, first 2 shown]
	;;#ASMSTART
	v_pk_add_f16 v2, v2, v15;

	;;#ASMEND
	;;#ASMSTART
	v_pk_add_f16 v2, v2, v16;

	;;#ASMEND
	;;#ASMSTART
	v_pk_add_f16 v2, v2, v37;

	;;#ASMEND
	v_and_b32_e32 v15, 0xffff, v2
	v_lshrrev_b32_e32 v2, 16, v2
	;;#ASMSTART
	v_cvt_f32_f16 v37, v15;
	;;#ASMEND
	;;#ASMSTART
	v_cvt_f32_f16 v74, v2;
	;;#ASMEND
	flat_load_dwordx2 v[15:16], v[13:14] offset:512
	s_clause 0x1
	buffer_load_dword v81, off, s[0:3], s32 offset:192
	buffer_load_dword v82, off, s[0:3], s32 offset:196
	v_mov_b32_e32 v75, 0
	s_waitcnt vmcnt(2) lgkmcnt(0)
	v_cmp_ne_u16_sdwa s12, v15, v3 src0_sel:BYTE_0 src1_sel:DWORD
	s_waitcnt vmcnt(0)
	flat_load_dword v81, v[81:82]
	v_mov_b32_e32 v82, 0
	s_and_saveexec_b32 s21, s12
	s_cbranch_execz .LBB329_3275
; %bb.3268:                             ;   in Loop: Header=BB329_2079 Depth=1
	v_cmp_ne_u16_sdwa s12, v15, v96 src0_sel:BYTE_0 src1_sel:DWORD
	v_mov_b32_e32 v75, 0x8000
	s_and_saveexec_b32 s25, s12
	s_cbranch_execz .LBB329_3274
; %bb.3269:                             ;   in Loop: Header=BB329_2079 Depth=1
	v_and_b32_e32 v63, 0x7f, v15
	v_mov_b32_e32 v75, 0x7c01
	s_mov_b32 s26, exec_lo
	v_cmpx_ne_u32_e32 0x7f, v63
	s_cbranch_execz .LBB329_3273
; %bb.3270:                             ;   in Loop: Header=BB329_2079 Depth=1
	v_and_b32_e32 v2, 7, v15
	v_lshrrev_b32_e32 v62, 3, v63
	s_mov_b32 s27, exec_lo
	v_cmpx_gt_u32_e32 8, v63
; %bb.3271:                             ;   in Loop: Header=BB329_2079 Depth=1
	v_ffbh_u32_e32 v2, v2
	v_min_u32_e32 v2, 32, v2
	v_subrev_nc_u32_e32 v62, 28, v2
	v_lshlrev_b64 v[75:76], v62, v[15:16]
	v_sub_nc_u32_e32 v62, 29, v2
	v_and_b32_e32 v2, 7, v75
; %bb.3272:                             ;   in Loop: Header=BB329_2079 Depth=1
	s_or_b32 exec_lo, exec_lo, s27
	v_lshlrev_b32_e32 v63, 8, v15
	v_lshl_add_u32 v62, v62, 10, 0x2000
	v_lshlrev_b32_e32 v2, 7, v2
	v_and_b32_e32 v63, 0x8000, v63
	v_and_b32_e32 v62, 0xfc00, v62
	v_or3_b32 v75, v63, v62, v2
.LBB329_3273:                           ;   in Loop: Header=BB329_2079 Depth=1
	s_or_b32 exec_lo, exec_lo, s26
.LBB329_3274:                           ;   in Loop: Header=BB329_2079 Depth=1
	s_or_b32 exec_lo, exec_lo, s25
.LBB329_3275:                           ;   in Loop: Header=BB329_2079 Depth=1
	s_or_b32 exec_lo, exec_lo, s21
	v_lshrrev_b16 v2, 8, v15
	s_mov_b32 s21, exec_lo
	v_cmpx_ne_u16_e32 0, v2
	s_cbranch_execz .LBB329_3283
; %bb.3276:                             ;   in Loop: Header=BB329_2079 Depth=1
	v_bfrev_b32_e32 v82, 1
	s_mov_b32 s25, exec_lo
	v_cmpx_ne_u16_e32 0x80, v2
	s_cbranch_execz .LBB329_3282
; %bb.3277:                             ;   in Loop: Header=BB329_2079 Depth=1
	v_and_b32_sdwa v63, v2, v97 dst_sel:DWORD dst_unused:UNUSED_PAD src0_sel:WORD_0 src1_sel:DWORD
	v_mov_b32_e32 v82, 0x7c010000
	s_mov_b32 s26, exec_lo
	v_cmpx_ne_u32_e32 0x7f, v63
	s_cbranch_execz .LBB329_3281
; %bb.3278:                             ;   in Loop: Header=BB329_2079 Depth=1
	v_and_b32_sdwa v82, v2, v64 dst_sel:DWORD dst_unused:UNUSED_PAD src0_sel:WORD_0 src1_sel:DWORD
	v_lshrrev_b32_e32 v62, 3, v63
	s_mov_b32 s27, exec_lo
	v_cmpx_gt_u32_e32 8, v63
; %bb.3279:                             ;   in Loop: Header=BB329_2079 Depth=1
	v_ffbh_u32_e32 v82, v82
	v_min_u32_e32 v82, 32, v82
	v_subrev_nc_u32_e32 v62, 28, v82
	v_lshlrev_b64 v[76:77], v62, v[2:3]
	v_sub_nc_u32_e32 v62, 29, v82
	v_and_b32_e32 v82, 7, v76
; %bb.3280:                             ;   in Loop: Header=BB329_2079 Depth=1
	s_or_b32 exec_lo, exec_lo, s27
	v_lshlrev_b32_sdwa v2, v61, v2 dst_sel:DWORD dst_unused:UNUSED_PAD src0_sel:DWORD src1_sel:WORD_0
	v_lshl_add_u32 v62, v62, 10, 0x2000
	v_lshlrev_b32_e32 v82, 23, v82
	v_and_or_b32 v2, 0x8000, v2, v62
	v_lshl_or_b32 v82, v2, 16, v82
.LBB329_3281:                           ;   in Loop: Header=BB329_2079 Depth=1
	s_or_b32 exec_lo, exec_lo, s26
.LBB329_3282:                           ;   in Loop: Header=BB329_2079 Depth=1
	s_or_b32 exec_lo, exec_lo, s25
.LBB329_3283:                           ;   in Loop: Header=BB329_2079 Depth=1
	s_or_b32 exec_lo, exec_lo, s21
	v_lshrrev_b32_e32 v2, 16, v15
	v_mov_b32_e32 v76, 0
	v_mov_b32_e32 v77, 0
	v_cmp_ne_u16_sdwa s12, v2, v3 src0_sel:BYTE_0 src1_sel:DWORD
	s_and_saveexec_b32 s21, s12
	s_cbranch_execz .LBB329_3291
; %bb.3284:                             ;   in Loop: Header=BB329_2079 Depth=1
	v_cmp_ne_u16_sdwa s12, v2, v96 src0_sel:BYTE_0 src1_sel:DWORD
	v_mov_b32_e32 v77, 0x8000
	s_and_saveexec_b32 s25, s12
	s_cbranch_execz .LBB329_3290
; %bb.3285:                             ;   in Loop: Header=BB329_2079 Depth=1
	v_bfe_u32 v78, v15, 16, 7
	v_mov_b32_e32 v77, 0x7c01
	s_mov_b32 s26, exec_lo
	v_cmpx_ne_u32_e32 0x7f, v78
	s_cbranch_execz .LBB329_3289
; %bb.3286:                             ;   in Loop: Header=BB329_2079 Depth=1
	v_and_b32_e32 v62, 7, v2
	v_lshrrev_b32_e32 v63, 3, v78
	s_mov_b32 s27, exec_lo
	v_cmpx_gt_u32_e32 8, v78
; %bb.3287:                             ;   in Loop: Header=BB329_2079 Depth=1
	v_ffbh_u32_e32 v62, v62
	v_min_u32_e32 v77, 32, v62
	v_subrev_nc_u32_e32 v62, 28, v77
	v_lshlrev_b64 v[62:63], v62, v[2:3]
	v_sub_nc_u32_e32 v63, 29, v77
	v_and_b32_e32 v62, 7, v62
; %bb.3288:                             ;   in Loop: Header=BB329_2079 Depth=1
	s_or_b32 exec_lo, exec_lo, s27
	v_lshlrev_b32_e32 v2, 8, v2
	v_lshl_add_u32 v63, v63, 10, 0x2000
	v_lshlrev_b32_e32 v62, 7, v62
	v_and_b32_e32 v2, 0x8000, v2
	v_and_b32_e32 v63, 0xfc00, v63
	v_or3_b32 v77, v2, v63, v62
.LBB329_3289:                           ;   in Loop: Header=BB329_2079 Depth=1
	s_or_b32 exec_lo, exec_lo, s26
.LBB329_3290:                           ;   in Loop: Header=BB329_2079 Depth=1
	s_or_b32 exec_lo, exec_lo, s25
.LBB329_3291:                           ;   in Loop: Header=BB329_2079 Depth=1
	s_or_b32 exec_lo, exec_lo, s21
	s_mov_b32 s21, exec_lo
	v_cmpx_lt_u32_e32 0xffffff, v15
	s_cbranch_execz .LBB329_3299
; %bb.3292:                             ;   in Loop: Header=BB329_2079 Depth=1
	v_lshrrev_b32_e32 v2, 24, v15
	v_bfrev_b32_e32 v76, 1
	s_mov_b32 s25, exec_lo
	v_cmpx_ne_u32_e32 0x80, v2
	s_cbranch_execz .LBB329_3298
; %bb.3293:                             ;   in Loop: Header=BB329_2079 Depth=1
	v_and_b32_e32 v78, 0x7f, v2
	v_mov_b32_e32 v76, 0x7c010000
	s_mov_b32 s26, exec_lo
	v_cmpx_ne_u32_e32 0x7f, v78
	s_cbranch_execz .LBB329_3297
; %bb.3294:                             ;   in Loop: Header=BB329_2079 Depth=1
	v_and_b32_e32 v62, 7, v2
	v_lshrrev_b32_e32 v63, 3, v78
	s_mov_b32 s27, exec_lo
	v_cmpx_gt_u32_e32 8, v78
; %bb.3295:                             ;   in Loop: Header=BB329_2079 Depth=1
	v_ffbh_u32_e32 v62, v62
	v_min_u32_e32 v76, 32, v62
	v_subrev_nc_u32_e32 v62, 28, v76
	v_lshlrev_b64 v[62:63], v62, v[2:3]
	v_sub_nc_u32_e32 v63, 29, v76
	v_and_b32_e32 v62, 7, v62
; %bb.3296:                             ;   in Loop: Header=BB329_2079 Depth=1
	s_or_b32 exec_lo, exec_lo, s27
	v_lshlrev_b32_e32 v2, 8, v2
	v_lshl_add_u32 v63, v63, 10, 0x2000
	v_lshlrev_b32_e32 v62, 23, v62
	v_and_or_b32 v2, 0x8000, v2, v63
	v_lshl_or_b32 v76, v2, 16, v62
.LBB329_3297:                           ;   in Loop: Header=BB329_2079 Depth=1
	s_or_b32 exec_lo, exec_lo, s26
.LBB329_3298:                           ;   in Loop: Header=BB329_2079 Depth=1
	s_or_b32 exec_lo, exec_lo, s25
.LBB329_3299:                           ;   in Loop: Header=BB329_2079 Depth=1
	s_or_b32 exec_lo, exec_lo, s21
	v_mov_b32_e32 v2, v16
	v_cmp_ne_u16_sdwa s12, v16, v3 src0_sel:BYTE_0 src1_sel:DWORD
	v_mov_b32_e32 v62, 0
	v_mov_b32_e32 v63, 0
	s_and_saveexec_b32 s21, s12
	s_cbranch_execz .LBB329_3307
; %bb.3300:                             ;   in Loop: Header=BB329_2079 Depth=1
	v_cmp_ne_u16_sdwa s12, v16, v96 src0_sel:BYTE_0 src1_sel:DWORD
	v_mov_b32_e32 v63, 0x8000
	s_and_saveexec_b32 s25, s12
	s_cbranch_execz .LBB329_3306
; %bb.3301:                             ;   in Loop: Header=BB329_2079 Depth=1
	v_and_b32_e32 v79, 0x7f, v16
	v_mov_b32_e32 v63, 0x7c01
	s_mov_b32 s26, exec_lo
	v_cmpx_ne_u32_e32 0x7f, v79
	s_cbranch_execz .LBB329_3305
; %bb.3302:                             ;   in Loop: Header=BB329_2079 Depth=1
	v_and_b32_e32 v63, 7, v16
	v_lshrrev_b32_e32 v78, 3, v79
	s_mov_b32 s27, exec_lo
	v_cmpx_gt_u32_e32 8, v79
; %bb.3303:                             ;   in Loop: Header=BB329_2079 Depth=1
	v_ffbh_u32_e32 v63, v63
	v_min_u32_e32 v63, 32, v63
	v_subrev_nc_u32_e32 v78, 28, v63
	v_lshlrev_b64 v[88:89], v78, v[2:3]
	v_sub_nc_u32_e32 v78, 29, v63
	v_and_b32_e32 v63, 7, v88
; %bb.3304:                             ;   in Loop: Header=BB329_2079 Depth=1
	s_or_b32 exec_lo, exec_lo, s27
	v_lshlrev_b32_e32 v79, 8, v16
	v_lshl_add_u32 v78, v78, 10, 0x2000
	v_lshlrev_b32_e32 v63, 7, v63
	v_and_b32_e32 v79, 0x8000, v79
	v_and_b32_e32 v78, 0xfc00, v78
	v_or3_b32 v63, v79, v78, v63
.LBB329_3305:                           ;   in Loop: Header=BB329_2079 Depth=1
	s_or_b32 exec_lo, exec_lo, s26
.LBB329_3306:                           ;   in Loop: Header=BB329_2079 Depth=1
	s_or_b32 exec_lo, exec_lo, s25
.LBB329_3307:                           ;   in Loop: Header=BB329_2079 Depth=1
	s_or_b32 exec_lo, exec_lo, s21
	v_lshrrev_b16 v2, 8, v2
	v_mov_b32_e32 v78, 0
	s_mov_b32 s21, exec_lo
	v_cmpx_ne_u16_e32 0, v2
	s_cbranch_execz .LBB329_3315
; %bb.3308:                             ;   in Loop: Header=BB329_2079 Depth=1
	v_bfrev_b32_e32 v78, 1
	s_mov_b32 s25, exec_lo
	v_cmpx_ne_u16_e32 0x80, v2
	s_cbranch_execz .LBB329_3314
; %bb.3309:                             ;   in Loop: Header=BB329_2079 Depth=1
	v_and_b32_sdwa v88, v2, v97 dst_sel:DWORD dst_unused:UNUSED_PAD src0_sel:WORD_0 src1_sel:DWORD
	v_mov_b32_e32 v78, 0x7c010000
	s_mov_b32 s26, exec_lo
	v_cmpx_ne_u32_e32 0x7f, v88
	s_cbranch_execz .LBB329_3313
; %bb.3310:                             ;   in Loop: Header=BB329_2079 Depth=1
	v_and_b32_sdwa v78, v2, v64 dst_sel:DWORD dst_unused:UNUSED_PAD src0_sel:WORD_0 src1_sel:DWORD
	v_lshrrev_b32_e32 v79, 3, v88
	s_mov_b32 s27, exec_lo
	v_cmpx_gt_u32_e32 8, v88
; %bb.3311:                             ;   in Loop: Header=BB329_2079 Depth=1
	v_ffbh_u32_e32 v78, v78
	v_min_u32_e32 v88, 32, v78
	v_subrev_nc_u32_e32 v78, 28, v88
	v_lshlrev_b64 v[78:79], v78, v[2:3]
	v_sub_nc_u32_e32 v79, 29, v88
	v_and_b32_e32 v78, 7, v78
; %bb.3312:                             ;   in Loop: Header=BB329_2079 Depth=1
	s_or_b32 exec_lo, exec_lo, s27
	v_lshlrev_b32_sdwa v2, v61, v2 dst_sel:DWORD dst_unused:UNUSED_PAD src0_sel:DWORD src1_sel:WORD_0
	v_lshl_add_u32 v79, v79, 10, 0x2000
	v_lshlrev_b32_e32 v78, 23, v78
	v_and_or_b32 v2, 0x8000, v2, v79
	v_lshl_or_b32 v78, v2, 16, v78
.LBB329_3313:                           ;   in Loop: Header=BB329_2079 Depth=1
	s_or_b32 exec_lo, exec_lo, s26
.LBB329_3314:                           ;   in Loop: Header=BB329_2079 Depth=1
	s_or_b32 exec_lo, exec_lo, s25
.LBB329_3315:                           ;   in Loop: Header=BB329_2079 Depth=1
	s_or_b32 exec_lo, exec_lo, s21
	v_lshrrev_b32_e32 v2, 16, v16
	v_cmp_ne_u16_sdwa s12, v2, v3 src0_sel:BYTE_0 src1_sel:DWORD
	s_and_saveexec_b32 s21, s12
	s_cbranch_execz .LBB329_3323
; %bb.3316:                             ;   in Loop: Header=BB329_2079 Depth=1
	v_cmp_ne_u16_sdwa s12, v2, v96 src0_sel:BYTE_0 src1_sel:DWORD
	v_mov_b32_e32 v62, 0x8000
	s_and_saveexec_b32 s25, s12
	s_cbranch_execz .LBB329_3322
; %bb.3317:                             ;   in Loop: Header=BB329_2079 Depth=1
	v_bfe_u32 v88, v16, 16, 7
	v_mov_b32_e32 v62, 0x7c01
	s_mov_b32 s26, exec_lo
	v_cmpx_ne_u32_e32 0x7f, v88
	s_cbranch_execz .LBB329_3321
; %bb.3318:                             ;   in Loop: Header=BB329_2079 Depth=1
	v_and_b32_e32 v62, 7, v2
	v_lshrrev_b32_e32 v79, 3, v88
	s_mov_b32 s27, exec_lo
	v_cmpx_gt_u32_e32 8, v88
; %bb.3319:                             ;   in Loop: Header=BB329_2079 Depth=1
	v_ffbh_u32_e32 v62, v62
	v_min_u32_e32 v62, 32, v62
	v_subrev_nc_u32_e32 v79, 28, v62
	v_lshlrev_b64 v[88:89], v79, v[2:3]
	v_sub_nc_u32_e32 v79, 29, v62
	v_and_b32_e32 v62, 7, v88
; %bb.3320:                             ;   in Loop: Header=BB329_2079 Depth=1
	s_or_b32 exec_lo, exec_lo, s27
	v_lshlrev_b32_e32 v2, 8, v2
	v_lshl_add_u32 v79, v79, 10, 0x2000
	v_lshlrev_b32_e32 v62, 7, v62
	v_and_b32_e32 v2, 0x8000, v2
	v_and_b32_e32 v79, 0xfc00, v79
	v_or3_b32 v62, v2, v79, v62
.LBB329_3321:                           ;   in Loop: Header=BB329_2079 Depth=1
	s_or_b32 exec_lo, exec_lo, s26
.LBB329_3322:                           ;   in Loop: Header=BB329_2079 Depth=1
	s_or_b32 exec_lo, exec_lo, s25
.LBB329_3323:                           ;   in Loop: Header=BB329_2079 Depth=1
	s_or_b32 exec_lo, exec_lo, s21
	v_cmp_lt_u64_e64 s12, s[22:23], v[15:16]
	v_mov_b32_e32 v15, 0
	s_and_saveexec_b32 s21, s12
	s_cbranch_execz .LBB329_3331
; %bb.3324:                             ;   in Loop: Header=BB329_2079 Depth=1
	v_lshrrev_b32_e32 v2, 24, v16
	v_bfrev_b32_e32 v15, 1
	s_mov_b32 s25, exec_lo
	v_cmpx_ne_u32_e32 0x80, v2
	s_cbranch_execz .LBB329_3330
; %bb.3325:                             ;   in Loop: Header=BB329_2079 Depth=1
	v_and_b32_e32 v79, 0x7f, v2
	v_mov_b32_e32 v15, 0x7c010000
	s_mov_b32 s26, exec_lo
	v_cmpx_ne_u32_e32 0x7f, v79
	s_cbranch_execz .LBB329_3329
; %bb.3326:                             ;   in Loop: Header=BB329_2079 Depth=1
	v_and_b32_e32 v15, 7, v2
	v_lshrrev_b32_e32 v16, 3, v79
	s_mov_b32 s27, exec_lo
	v_cmpx_gt_u32_e32 8, v79
; %bb.3327:                             ;   in Loop: Header=BB329_2079 Depth=1
	v_ffbh_u32_e32 v15, v15
	v_min_u32_e32 v79, 32, v15
	v_subrev_nc_u32_e32 v15, 28, v79
	v_lshlrev_b64 v[15:16], v15, v[2:3]
	v_sub_nc_u32_e32 v16, 29, v79
	v_and_b32_e32 v15, 7, v15
; %bb.3328:                             ;   in Loop: Header=BB329_2079 Depth=1
	s_or_b32 exec_lo, exec_lo, s27
	v_lshlrev_b32_e32 v2, 8, v2
	v_lshl_add_u32 v16, v16, 10, 0x2000
	v_lshlrev_b32_e32 v15, 23, v15
	v_and_or_b32 v2, 0x8000, v2, v16
	v_lshl_or_b32 v15, v2, 16, v15
.LBB329_3329:                           ;   in Loop: Header=BB329_2079 Depth=1
	s_or_b32 exec_lo, exec_lo, s26
.LBB329_3330:                           ;   in Loop: Header=BB329_2079 Depth=1
	s_or_b32 exec_lo, exec_lo, s25
.LBB329_3331:                           ;   in Loop: Header=BB329_2079 Depth=1
	s_or_b32 exec_lo, exec_lo, s21
	v_or_b32_e32 v2, v76, v77
	s_waitcnt vmcnt(0) lgkmcnt(0)
	v_fma_mixlo_f16 v16, v81, v76, 0 op_sel:[0,1,0] op_sel_hi:[0,1,0]
	v_or_b32_e32 v75, v82, v75
	v_or_b32_e32 v63, v78, v63
	;; [unrolled: 1-line block ×3, first 2 shown]
	v_fma_mixlo_f16 v76, v81, v2, 0 op_sel_hi:[0,1,0]
	v_fma_mixlo_f16 v82, v81, v82, 0 op_sel:[0,1,0] op_sel_hi:[0,1,0]
	v_lshlrev_b32_e32 v2, 16, v16
	v_fma_mixlo_f16 v75, v81, v75, 0 op_sel_hi:[0,1,0]
	v_fma_mixlo_f16 v63, v81, v63, 0 op_sel_hi:[0,1,0]
	v_and_b32_e32 v16, 0xffff, v76
	v_fma_mixlo_f16 v76, v81, v78, 0 op_sel:[0,1,0] op_sel_hi:[0,1,0]
	v_fma_mixlo_f16 v15, v81, v15, 0 op_sel:[0,1,0] op_sel_hi:[0,1,0]
	v_fma_mixlo_f16 v81, v81, v62, 0 op_sel_hi:[0,1,0]
	v_lshlrev_b32_e32 v82, 16, v82
	v_and_b32_e32 v79, 0xffff, v75
	v_lshlrev_b32_e32 v76, 16, v76
	v_and_b32_e32 v78, 0xffff, v63
	;; [unrolled: 2-line block ×3, first 2 shown]
	v_or_b32_e32 v15, v2, v16
	v_or_b32_e32 v63, v82, v79
	;; [unrolled: 1-line block ×4, first 2 shown]
	s_and_saveexec_b32 s12, s6
	s_cbranch_execz .LBB329_3333
; %bb.3332:                             ;   in Loop: Header=BB329_2079 Depth=1
	v_cndmask_b32_e32 v15, 0, v79, vcc_lo
	v_cndmask_b32_e64 v81, 0, v82, s5
	v_cndmask_b32_e64 v16, 0, v16, s4
	;; [unrolled: 1-line block ×7, first 2 shown]
	v_or_b32_e32 v63, v15, v81
	v_or_b32_e32 v15, v16, v2
	;; [unrolled: 1-line block ×4, first 2 shown]
.LBB329_3333:                           ;   in Loop: Header=BB329_2079 Depth=1
	s_or_b32 exec_lo, exec_lo, s12
	;;#ASMSTART
	v_pk_mul_f16 v2, v103, v63;

	;;#ASMEND
	;;#ASMSTART
	v_pk_mul_f16 v15, v102, v15;

	;;#ASMEND
	;; [unrolled: 4-line block ×4, first 2 shown]
	;;#ASMSTART
	v_pk_add_f16 v2, v2, v15;

	;;#ASMEND
	;;#ASMSTART
	v_pk_add_f16 v2, v2, v16;

	;;#ASMEND
	;; [unrolled: 4-line block ×3, first 2 shown]
	v_and_b32_e32 v15, 0xffff, v2
	v_lshrrev_b32_e32 v2, 16, v2
	;;#ASMSTART
	v_cvt_f32_f16 v75, v15;
	;;#ASMEND
	;;#ASMSTART
	v_cvt_f32_f16 v76, v2;
	;;#ASMEND
	flat_load_dwordx2 v[15:16], v[13:14] offset:768
	s_clause 0x1
	buffer_load_dword v81, off, s[0:3], s32 offset:192
	buffer_load_dword v82, off, s[0:3], s32 offset:196
	v_mov_b32_e32 v77, 0
	s_waitcnt vmcnt(2) lgkmcnt(0)
	v_cmp_ne_u16_sdwa s12, v15, v3 src0_sel:BYTE_0 src1_sel:DWORD
	s_waitcnt vmcnt(0)
	flat_load_dword v81, v[81:82]
	v_mov_b32_e32 v82, 0
	s_and_saveexec_b32 s21, s12
	s_cbranch_execz .LBB329_3341
; %bb.3334:                             ;   in Loop: Header=BB329_2079 Depth=1
	v_cmp_ne_u16_sdwa s12, v15, v96 src0_sel:BYTE_0 src1_sel:DWORD
	v_mov_b32_e32 v77, 0x8000
	s_and_saveexec_b32 s25, s12
	s_cbranch_execz .LBB329_3340
; %bb.3335:                             ;   in Loop: Header=BB329_2079 Depth=1
	v_and_b32_e32 v63, 0x7f, v15
	v_mov_b32_e32 v77, 0x7c01
	s_mov_b32 s26, exec_lo
	v_cmpx_ne_u32_e32 0x7f, v63
	s_cbranch_execz .LBB329_3339
; %bb.3336:                             ;   in Loop: Header=BB329_2079 Depth=1
	v_and_b32_e32 v2, 7, v15
	v_lshrrev_b32_e32 v62, 3, v63
	s_mov_b32 s27, exec_lo
	v_cmpx_gt_u32_e32 8, v63
; %bb.3337:                             ;   in Loop: Header=BB329_2079 Depth=1
	v_ffbh_u32_e32 v2, v2
	v_min_u32_e32 v2, 32, v2
	v_subrev_nc_u32_e32 v62, 28, v2
	v_lshlrev_b64 v[77:78], v62, v[15:16]
	v_sub_nc_u32_e32 v62, 29, v2
	v_and_b32_e32 v2, 7, v77
; %bb.3338:                             ;   in Loop: Header=BB329_2079 Depth=1
	s_or_b32 exec_lo, exec_lo, s27
	v_lshlrev_b32_e32 v63, 8, v15
	v_lshl_add_u32 v62, v62, 10, 0x2000
	v_lshlrev_b32_e32 v2, 7, v2
	v_and_b32_e32 v63, 0x8000, v63
	v_and_b32_e32 v62, 0xfc00, v62
	v_or3_b32 v77, v63, v62, v2
.LBB329_3339:                           ;   in Loop: Header=BB329_2079 Depth=1
	s_or_b32 exec_lo, exec_lo, s26
.LBB329_3340:                           ;   in Loop: Header=BB329_2079 Depth=1
	s_or_b32 exec_lo, exec_lo, s25
.LBB329_3341:                           ;   in Loop: Header=BB329_2079 Depth=1
	s_or_b32 exec_lo, exec_lo, s21
	v_lshrrev_b16 v2, 8, v15
	s_mov_b32 s21, exec_lo
	v_cmpx_ne_u16_e32 0, v2
	s_cbranch_execz .LBB329_3349
; %bb.3342:                             ;   in Loop: Header=BB329_2079 Depth=1
	v_bfrev_b32_e32 v82, 1
	s_mov_b32 s25, exec_lo
	v_cmpx_ne_u16_e32 0x80, v2
	s_cbranch_execz .LBB329_3348
; %bb.3343:                             ;   in Loop: Header=BB329_2079 Depth=1
	v_and_b32_sdwa v63, v2, v97 dst_sel:DWORD dst_unused:UNUSED_PAD src0_sel:WORD_0 src1_sel:DWORD
	v_mov_b32_e32 v82, 0x7c010000
	s_mov_b32 s26, exec_lo
	v_cmpx_ne_u32_e32 0x7f, v63
	s_cbranch_execz .LBB329_3347
; %bb.3344:                             ;   in Loop: Header=BB329_2079 Depth=1
	v_and_b32_sdwa v82, v2, v64 dst_sel:DWORD dst_unused:UNUSED_PAD src0_sel:WORD_0 src1_sel:DWORD
	v_lshrrev_b32_e32 v62, 3, v63
	s_mov_b32 s27, exec_lo
	v_cmpx_gt_u32_e32 8, v63
; %bb.3345:                             ;   in Loop: Header=BB329_2079 Depth=1
	v_ffbh_u32_e32 v82, v82
	v_min_u32_e32 v82, 32, v82
	v_subrev_nc_u32_e32 v62, 28, v82
	v_lshlrev_b64 v[78:79], v62, v[2:3]
	v_sub_nc_u32_e32 v62, 29, v82
	v_and_b32_e32 v82, 7, v78
; %bb.3346:                             ;   in Loop: Header=BB329_2079 Depth=1
	s_or_b32 exec_lo, exec_lo, s27
	v_lshlrev_b32_sdwa v2, v61, v2 dst_sel:DWORD dst_unused:UNUSED_PAD src0_sel:DWORD src1_sel:WORD_0
	v_lshl_add_u32 v62, v62, 10, 0x2000
	v_lshlrev_b32_e32 v82, 23, v82
	v_and_or_b32 v2, 0x8000, v2, v62
	v_lshl_or_b32 v82, v2, 16, v82
.LBB329_3347:                           ;   in Loop: Header=BB329_2079 Depth=1
	s_or_b32 exec_lo, exec_lo, s26
.LBB329_3348:                           ;   in Loop: Header=BB329_2079 Depth=1
	s_or_b32 exec_lo, exec_lo, s25
.LBB329_3349:                           ;   in Loop: Header=BB329_2079 Depth=1
	s_or_b32 exec_lo, exec_lo, s21
	v_lshrrev_b32_e32 v2, 16, v15
	v_mov_b32_e32 v78, 0
	v_mov_b32_e32 v79, 0
	v_cmp_ne_u16_sdwa s12, v2, v3 src0_sel:BYTE_0 src1_sel:DWORD
	s_and_saveexec_b32 s21, s12
	s_cbranch_execz .LBB329_3357
; %bb.3350:                             ;   in Loop: Header=BB329_2079 Depth=1
	v_cmp_ne_u16_sdwa s12, v2, v96 src0_sel:BYTE_0 src1_sel:DWORD
	v_mov_b32_e32 v79, 0x8000
	s_and_saveexec_b32 s25, s12
	s_cbranch_execz .LBB329_3356
; %bb.3351:                             ;   in Loop: Header=BB329_2079 Depth=1
	v_bfe_u32 v88, v15, 16, 7
	v_mov_b32_e32 v79, 0x7c01
	s_mov_b32 s26, exec_lo
	v_cmpx_ne_u32_e32 0x7f, v88
	s_cbranch_execz .LBB329_3355
; %bb.3352:                             ;   in Loop: Header=BB329_2079 Depth=1
	v_and_b32_e32 v62, 7, v2
	v_lshrrev_b32_e32 v63, 3, v88
	s_mov_b32 s27, exec_lo
	v_cmpx_gt_u32_e32 8, v88
; %bb.3353:                             ;   in Loop: Header=BB329_2079 Depth=1
	v_ffbh_u32_e32 v62, v62
	v_min_u32_e32 v79, 32, v62
	v_subrev_nc_u32_e32 v62, 28, v79
	v_lshlrev_b64 v[62:63], v62, v[2:3]
	v_sub_nc_u32_e32 v63, 29, v79
	v_and_b32_e32 v62, 7, v62
; %bb.3354:                             ;   in Loop: Header=BB329_2079 Depth=1
	s_or_b32 exec_lo, exec_lo, s27
	v_lshlrev_b32_e32 v2, 8, v2
	v_lshl_add_u32 v63, v63, 10, 0x2000
	v_lshlrev_b32_e32 v62, 7, v62
	v_and_b32_e32 v2, 0x8000, v2
	v_and_b32_e32 v63, 0xfc00, v63
	v_or3_b32 v79, v2, v63, v62
.LBB329_3355:                           ;   in Loop: Header=BB329_2079 Depth=1
	s_or_b32 exec_lo, exec_lo, s26
.LBB329_3356:                           ;   in Loop: Header=BB329_2079 Depth=1
	s_or_b32 exec_lo, exec_lo, s25
.LBB329_3357:                           ;   in Loop: Header=BB329_2079 Depth=1
	s_or_b32 exec_lo, exec_lo, s21
	s_mov_b32 s21, exec_lo
	v_cmpx_lt_u32_e32 0xffffff, v15
	s_cbranch_execz .LBB329_3365
; %bb.3358:                             ;   in Loop: Header=BB329_2079 Depth=1
	v_lshrrev_b32_e32 v2, 24, v15
	v_bfrev_b32_e32 v78, 1
	s_mov_b32 s25, exec_lo
	v_cmpx_ne_u32_e32 0x80, v2
	s_cbranch_execz .LBB329_3364
; %bb.3359:                             ;   in Loop: Header=BB329_2079 Depth=1
	v_and_b32_e32 v88, 0x7f, v2
	v_mov_b32_e32 v78, 0x7c010000
	s_mov_b32 s26, exec_lo
	v_cmpx_ne_u32_e32 0x7f, v88
	s_cbranch_execz .LBB329_3363
; %bb.3360:                             ;   in Loop: Header=BB329_2079 Depth=1
	v_and_b32_e32 v62, 7, v2
	v_lshrrev_b32_e32 v63, 3, v88
	s_mov_b32 s27, exec_lo
	v_cmpx_gt_u32_e32 8, v88
; %bb.3361:                             ;   in Loop: Header=BB329_2079 Depth=1
	v_ffbh_u32_e32 v62, v62
	v_min_u32_e32 v78, 32, v62
	v_subrev_nc_u32_e32 v62, 28, v78
	v_lshlrev_b64 v[62:63], v62, v[2:3]
	v_sub_nc_u32_e32 v63, 29, v78
	v_and_b32_e32 v62, 7, v62
; %bb.3362:                             ;   in Loop: Header=BB329_2079 Depth=1
	s_or_b32 exec_lo, exec_lo, s27
	v_lshlrev_b32_e32 v2, 8, v2
	v_lshl_add_u32 v63, v63, 10, 0x2000
	v_lshlrev_b32_e32 v62, 23, v62
	v_and_or_b32 v2, 0x8000, v2, v63
	v_lshl_or_b32 v78, v2, 16, v62
.LBB329_3363:                           ;   in Loop: Header=BB329_2079 Depth=1
	s_or_b32 exec_lo, exec_lo, s26
.LBB329_3364:                           ;   in Loop: Header=BB329_2079 Depth=1
	s_or_b32 exec_lo, exec_lo, s25
.LBB329_3365:                           ;   in Loop: Header=BB329_2079 Depth=1
	s_or_b32 exec_lo, exec_lo, s21
	v_mov_b32_e32 v2, v16
	v_cmp_ne_u16_sdwa s12, v16, v3 src0_sel:BYTE_0 src1_sel:DWORD
	v_mov_b32_e32 v62, 0
	v_mov_b32_e32 v63, 0
	s_and_saveexec_b32 s21, s12
	s_cbranch_execz .LBB329_3373
; %bb.3366:                             ;   in Loop: Header=BB329_2079 Depth=1
	v_cmp_ne_u16_sdwa s12, v16, v96 src0_sel:BYTE_0 src1_sel:DWORD
	v_mov_b32_e32 v63, 0x8000
	s_and_saveexec_b32 s25, s12
	s_cbranch_execz .LBB329_3372
; %bb.3367:                             ;   in Loop: Header=BB329_2079 Depth=1
	v_and_b32_e32 v89, 0x7f, v16
	v_mov_b32_e32 v63, 0x7c01
	s_mov_b32 s26, exec_lo
	v_cmpx_ne_u32_e32 0x7f, v89
	s_cbranch_execz .LBB329_3371
; %bb.3368:                             ;   in Loop: Header=BB329_2079 Depth=1
	v_and_b32_e32 v63, 7, v16
	v_lshrrev_b32_e32 v88, 3, v89
	s_mov_b32 s27, exec_lo
	v_cmpx_gt_u32_e32 8, v89
; %bb.3369:                             ;   in Loop: Header=BB329_2079 Depth=1
	v_ffbh_u32_e32 v63, v63
	v_min_u32_e32 v63, 32, v63
	v_subrev_nc_u32_e32 v88, 28, v63
	v_lshlrev_b64 v[89:90], v88, v[2:3]
	v_sub_nc_u32_e32 v88, 29, v63
	v_and_b32_e32 v63, 7, v89
; %bb.3370:                             ;   in Loop: Header=BB329_2079 Depth=1
	s_or_b32 exec_lo, exec_lo, s27
	v_lshlrev_b32_e32 v89, 8, v16
	v_lshl_add_u32 v88, v88, 10, 0x2000
	v_lshlrev_b32_e32 v63, 7, v63
	v_and_b32_e32 v89, 0x8000, v89
	v_and_b32_e32 v88, 0xfc00, v88
	v_or3_b32 v63, v89, v88, v63
.LBB329_3371:                           ;   in Loop: Header=BB329_2079 Depth=1
	s_or_b32 exec_lo, exec_lo, s26
.LBB329_3372:                           ;   in Loop: Header=BB329_2079 Depth=1
	s_or_b32 exec_lo, exec_lo, s25
.LBB329_3373:                           ;   in Loop: Header=BB329_2079 Depth=1
	s_or_b32 exec_lo, exec_lo, s21
	v_lshrrev_b16 v2, 8, v2
	v_mov_b32_e32 v88, 0
	s_mov_b32 s21, exec_lo
	v_cmpx_ne_u16_e32 0, v2
	s_cbranch_execz .LBB329_3381
; %bb.3374:                             ;   in Loop: Header=BB329_2079 Depth=1
	v_bfrev_b32_e32 v88, 1
	s_mov_b32 s25, exec_lo
	v_cmpx_ne_u16_e32 0x80, v2
	s_cbranch_execz .LBB329_3380
; %bb.3375:                             ;   in Loop: Header=BB329_2079 Depth=1
	v_and_b32_sdwa v90, v2, v97 dst_sel:DWORD dst_unused:UNUSED_PAD src0_sel:WORD_0 src1_sel:DWORD
	v_mov_b32_e32 v88, 0x7c010000
	s_mov_b32 s26, exec_lo
	v_cmpx_ne_u32_e32 0x7f, v90
	s_cbranch_execz .LBB329_3379
; %bb.3376:                             ;   in Loop: Header=BB329_2079 Depth=1
	v_and_b32_sdwa v88, v2, v64 dst_sel:DWORD dst_unused:UNUSED_PAD src0_sel:WORD_0 src1_sel:DWORD
	v_lshrrev_b32_e32 v89, 3, v90
	s_mov_b32 s27, exec_lo
	v_cmpx_gt_u32_e32 8, v90
; %bb.3377:                             ;   in Loop: Header=BB329_2079 Depth=1
	v_ffbh_u32_e32 v88, v88
	v_min_u32_e32 v90, 32, v88
	v_subrev_nc_u32_e32 v88, 28, v90
	v_lshlrev_b64 v[88:89], v88, v[2:3]
	v_sub_nc_u32_e32 v89, 29, v90
	v_and_b32_e32 v88, 7, v88
; %bb.3378:                             ;   in Loop: Header=BB329_2079 Depth=1
	s_or_b32 exec_lo, exec_lo, s27
	v_lshlrev_b32_sdwa v2, v61, v2 dst_sel:DWORD dst_unused:UNUSED_PAD src0_sel:DWORD src1_sel:WORD_0
	v_lshl_add_u32 v89, v89, 10, 0x2000
	v_lshlrev_b32_e32 v88, 23, v88
	v_and_or_b32 v2, 0x8000, v2, v89
	v_lshl_or_b32 v88, v2, 16, v88
.LBB329_3379:                           ;   in Loop: Header=BB329_2079 Depth=1
	s_or_b32 exec_lo, exec_lo, s26
.LBB329_3380:                           ;   in Loop: Header=BB329_2079 Depth=1
	s_or_b32 exec_lo, exec_lo, s25
.LBB329_3381:                           ;   in Loop: Header=BB329_2079 Depth=1
	s_or_b32 exec_lo, exec_lo, s21
	v_lshrrev_b32_e32 v2, 16, v16
	v_cmp_ne_u16_sdwa s12, v2, v3 src0_sel:BYTE_0 src1_sel:DWORD
	s_and_saveexec_b32 s21, s12
	s_cbranch_execz .LBB329_3389
; %bb.3382:                             ;   in Loop: Header=BB329_2079 Depth=1
	v_cmp_ne_u16_sdwa s12, v2, v96 src0_sel:BYTE_0 src1_sel:DWORD
	v_mov_b32_e32 v62, 0x8000
	s_and_saveexec_b32 s25, s12
	s_cbranch_execz .LBB329_3388
; %bb.3383:                             ;   in Loop: Header=BB329_2079 Depth=1
	v_bfe_u32 v90, v16, 16, 7
	v_mov_b32_e32 v62, 0x7c01
	s_mov_b32 s26, exec_lo
	v_cmpx_ne_u32_e32 0x7f, v90
	s_cbranch_execz .LBB329_3387
; %bb.3384:                             ;   in Loop: Header=BB329_2079 Depth=1
	v_and_b32_e32 v62, 7, v2
	v_lshrrev_b32_e32 v89, 3, v90
	s_mov_b32 s27, exec_lo
	v_cmpx_gt_u32_e32 8, v90
; %bb.3385:                             ;   in Loop: Header=BB329_2079 Depth=1
	v_ffbh_u32_e32 v62, v62
	v_min_u32_e32 v62, 32, v62
	v_subrev_nc_u32_e32 v89, 28, v62
	v_lshlrev_b64 v[90:91], v89, v[2:3]
	v_sub_nc_u32_e32 v89, 29, v62
	v_and_b32_e32 v62, 7, v90
; %bb.3386:                             ;   in Loop: Header=BB329_2079 Depth=1
	s_or_b32 exec_lo, exec_lo, s27
	v_lshlrev_b32_e32 v2, 8, v2
	v_lshl_add_u32 v89, v89, 10, 0x2000
	v_lshlrev_b32_e32 v62, 7, v62
	v_and_b32_e32 v2, 0x8000, v2
	v_and_b32_e32 v89, 0xfc00, v89
	v_or3_b32 v62, v2, v89, v62
.LBB329_3387:                           ;   in Loop: Header=BB329_2079 Depth=1
	s_or_b32 exec_lo, exec_lo, s26
.LBB329_3388:                           ;   in Loop: Header=BB329_2079 Depth=1
	s_or_b32 exec_lo, exec_lo, s25
.LBB329_3389:                           ;   in Loop: Header=BB329_2079 Depth=1
	s_or_b32 exec_lo, exec_lo, s21
	v_cmp_lt_u64_e64 s12, s[22:23], v[15:16]
	v_mov_b32_e32 v15, 0
	s_and_saveexec_b32 s21, s12
	s_cbranch_execz .LBB329_3397
; %bb.3390:                             ;   in Loop: Header=BB329_2079 Depth=1
	v_lshrrev_b32_e32 v2, 24, v16
	v_bfrev_b32_e32 v15, 1
	s_mov_b32 s25, exec_lo
	v_cmpx_ne_u32_e32 0x80, v2
	s_cbranch_execz .LBB329_3396
; %bb.3391:                             ;   in Loop: Header=BB329_2079 Depth=1
	v_and_b32_e32 v89, 0x7f, v2
	v_mov_b32_e32 v15, 0x7c010000
	s_mov_b32 s26, exec_lo
	v_cmpx_ne_u32_e32 0x7f, v89
	s_cbranch_execz .LBB329_3395
; %bb.3392:                             ;   in Loop: Header=BB329_2079 Depth=1
	v_and_b32_e32 v15, 7, v2
	v_lshrrev_b32_e32 v16, 3, v89
	s_mov_b32 s27, exec_lo
	v_cmpx_gt_u32_e32 8, v89
; %bb.3393:                             ;   in Loop: Header=BB329_2079 Depth=1
	v_ffbh_u32_e32 v15, v15
	v_min_u32_e32 v89, 32, v15
	v_subrev_nc_u32_e32 v15, 28, v89
	v_lshlrev_b64 v[15:16], v15, v[2:3]
	v_sub_nc_u32_e32 v16, 29, v89
	v_and_b32_e32 v15, 7, v15
; %bb.3394:                             ;   in Loop: Header=BB329_2079 Depth=1
	s_or_b32 exec_lo, exec_lo, s27
	v_lshlrev_b32_e32 v2, 8, v2
	v_lshl_add_u32 v16, v16, 10, 0x2000
	v_lshlrev_b32_e32 v15, 23, v15
	v_and_or_b32 v2, 0x8000, v2, v16
	v_lshl_or_b32 v15, v2, 16, v15
.LBB329_3395:                           ;   in Loop: Header=BB329_2079 Depth=1
	s_or_b32 exec_lo, exec_lo, s26
.LBB329_3396:                           ;   in Loop: Header=BB329_2079 Depth=1
	s_or_b32 exec_lo, exec_lo, s25
.LBB329_3397:                           ;   in Loop: Header=BB329_2079 Depth=1
	s_or_b32 exec_lo, exec_lo, s21
	v_or_b32_e32 v2, v78, v79
	s_waitcnt vmcnt(0) lgkmcnt(0)
	v_fma_mixlo_f16 v16, v81, v78, 0 op_sel:[0,1,0] op_sel_hi:[0,1,0]
	v_or_b32_e32 v77, v82, v77
	v_or_b32_e32 v63, v88, v63
	v_or_b32_e32 v62, v15, v62
	v_fma_mixlo_f16 v78, v81, v2, 0 op_sel_hi:[0,1,0]
	v_fma_mixlo_f16 v82, v81, v82, 0 op_sel:[0,1,0] op_sel_hi:[0,1,0]
	v_lshlrev_b32_e32 v2, 16, v16
	v_fma_mixlo_f16 v77, v81, v77, 0 op_sel_hi:[0,1,0]
	v_fma_mixlo_f16 v63, v81, v63, 0 op_sel_hi:[0,1,0]
	v_and_b32_e32 v16, 0xffff, v78
	v_fma_mixlo_f16 v78, v81, v88, 0 op_sel:[0,1,0] op_sel_hi:[0,1,0]
	v_fma_mixlo_f16 v15, v81, v15, 0 op_sel:[0,1,0] op_sel_hi:[0,1,0]
	v_fma_mixlo_f16 v81, v81, v62, 0 op_sel_hi:[0,1,0]
	v_lshlrev_b32_e32 v82, 16, v82
	v_and_b32_e32 v89, 0xffff, v77
	v_lshlrev_b32_e32 v78, 16, v78
	v_and_b32_e32 v88, 0xffff, v63
	;; [unrolled: 2-line block ×3, first 2 shown]
	v_or_b32_e32 v15, v2, v16
	v_or_b32_e32 v63, v82, v89
	;; [unrolled: 1-line block ×4, first 2 shown]
	s_and_saveexec_b32 s12, s6
	s_cbranch_execz .LBB329_3399
; %bb.3398:                             ;   in Loop: Header=BB329_2079 Depth=1
	v_cndmask_b32_e32 v15, 0, v89, vcc_lo
	v_cndmask_b32_e64 v81, 0, v82, s5
	v_cndmask_b32_e64 v16, 0, v16, s4
	v_cndmask_b32_e64 v2, 0, v2, s7
	v_cndmask_b32_e64 v82, 0, v88, s8
	v_cndmask_b32_e64 v62, 0, v78, s9
	v_cndmask_b32_e64 v78, 0, v79, s10
	v_cndmask_b32_e64 v77, 0, v77, s11
	v_or_b32_e32 v63, v15, v81
	v_or_b32_e32 v15, v16, v2
	;; [unrolled: 1-line block ×4, first 2 shown]
.LBB329_3399:                           ;   in Loop: Header=BB329_2079 Depth=1
	s_or_b32 exec_lo, exec_lo, s12
	;;#ASMSTART
	v_pk_mul_f16 v2, v103, v63;

	;;#ASMEND
	;;#ASMSTART
	v_pk_mul_f16 v15, v102, v15;

	;;#ASMEND
	;; [unrolled: 4-line block ×4, first 2 shown]
	;;#ASMSTART
	v_pk_add_f16 v2, v2, v15;

	;;#ASMEND
	;;#ASMSTART
	v_pk_add_f16 v2, v2, v16;

	;;#ASMEND
	;; [unrolled: 4-line block ×3, first 2 shown]
	v_and_b32_e32 v15, 0xffff, v2
	v_lshrrev_b32_e32 v2, 16, v2
	;;#ASMSTART
	v_cvt_f32_f16 v77, v15;
	;;#ASMEND
	;;#ASMSTART
	v_cvt_f32_f16 v78, v2;
	;;#ASMEND
	flat_load_dwordx2 v[15:16], v[13:14] offset:1024
	s_clause 0x1
	buffer_load_dword v81, off, s[0:3], s32 offset:192
	buffer_load_dword v82, off, s[0:3], s32 offset:196
	v_mov_b32_e32 v79, 0
	s_waitcnt vmcnt(2) lgkmcnt(0)
	v_cmp_ne_u16_sdwa s12, v15, v3 src0_sel:BYTE_0 src1_sel:DWORD
	s_waitcnt vmcnt(0)
	flat_load_dword v81, v[81:82]
	v_mov_b32_e32 v82, 0
	s_and_saveexec_b32 s21, s12
	s_cbranch_execz .LBB329_3407
; %bb.3400:                             ;   in Loop: Header=BB329_2079 Depth=1
	v_cmp_ne_u16_sdwa s12, v15, v96 src0_sel:BYTE_0 src1_sel:DWORD
	v_mov_b32_e32 v79, 0x8000
	s_and_saveexec_b32 s25, s12
	s_cbranch_execz .LBB329_3406
; %bb.3401:                             ;   in Loop: Header=BB329_2079 Depth=1
	v_and_b32_e32 v63, 0x7f, v15
	v_mov_b32_e32 v79, 0x7c01
	s_mov_b32 s26, exec_lo
	v_cmpx_ne_u32_e32 0x7f, v63
	s_cbranch_execz .LBB329_3405
; %bb.3402:                             ;   in Loop: Header=BB329_2079 Depth=1
	v_and_b32_e32 v2, 7, v15
	v_lshrrev_b32_e32 v62, 3, v63
	s_mov_b32 s27, exec_lo
	v_cmpx_gt_u32_e32 8, v63
; %bb.3403:                             ;   in Loop: Header=BB329_2079 Depth=1
	v_ffbh_u32_e32 v2, v2
	v_min_u32_e32 v2, 32, v2
	v_subrev_nc_u32_e32 v62, 28, v2
	v_lshlrev_b64 v[88:89], v62, v[15:16]
	v_sub_nc_u32_e32 v62, 29, v2
	v_and_b32_e32 v2, 7, v88
; %bb.3404:                             ;   in Loop: Header=BB329_2079 Depth=1
	s_or_b32 exec_lo, exec_lo, s27
	v_lshlrev_b32_e32 v63, 8, v15
	v_lshl_add_u32 v62, v62, 10, 0x2000
	v_lshlrev_b32_e32 v2, 7, v2
	v_and_b32_e32 v63, 0x8000, v63
	v_and_b32_e32 v62, 0xfc00, v62
	v_or3_b32 v79, v63, v62, v2
.LBB329_3405:                           ;   in Loop: Header=BB329_2079 Depth=1
	s_or_b32 exec_lo, exec_lo, s26
.LBB329_3406:                           ;   in Loop: Header=BB329_2079 Depth=1
	s_or_b32 exec_lo, exec_lo, s25
.LBB329_3407:                           ;   in Loop: Header=BB329_2079 Depth=1
	s_or_b32 exec_lo, exec_lo, s21
	v_lshrrev_b16 v2, 8, v15
	s_mov_b32 s21, exec_lo
	v_cmpx_ne_u16_e32 0, v2
	s_cbranch_execz .LBB329_3415
; %bb.3408:                             ;   in Loop: Header=BB329_2079 Depth=1
	v_bfrev_b32_e32 v82, 1
	s_mov_b32 s25, exec_lo
	v_cmpx_ne_u16_e32 0x80, v2
	s_cbranch_execz .LBB329_3414
; %bb.3409:                             ;   in Loop: Header=BB329_2079 Depth=1
	v_and_b32_sdwa v63, v2, v97 dst_sel:DWORD dst_unused:UNUSED_PAD src0_sel:WORD_0 src1_sel:DWORD
	v_mov_b32_e32 v82, 0x7c010000
	s_mov_b32 s26, exec_lo
	v_cmpx_ne_u32_e32 0x7f, v63
	s_cbranch_execz .LBB329_3413
; %bb.3410:                             ;   in Loop: Header=BB329_2079 Depth=1
	v_and_b32_sdwa v82, v2, v64 dst_sel:DWORD dst_unused:UNUSED_PAD src0_sel:WORD_0 src1_sel:DWORD
	v_lshrrev_b32_e32 v62, 3, v63
	s_mov_b32 s27, exec_lo
	v_cmpx_gt_u32_e32 8, v63
; %bb.3411:                             ;   in Loop: Header=BB329_2079 Depth=1
	v_ffbh_u32_e32 v82, v82
	v_min_u32_e32 v82, 32, v82
	v_subrev_nc_u32_e32 v62, 28, v82
	v_lshlrev_b64 v[88:89], v62, v[2:3]
	v_sub_nc_u32_e32 v62, 29, v82
	v_and_b32_e32 v82, 7, v88
; %bb.3412:                             ;   in Loop: Header=BB329_2079 Depth=1
	s_or_b32 exec_lo, exec_lo, s27
	v_lshlrev_b32_sdwa v2, v61, v2 dst_sel:DWORD dst_unused:UNUSED_PAD src0_sel:DWORD src1_sel:WORD_0
	v_lshl_add_u32 v62, v62, 10, 0x2000
	v_lshlrev_b32_e32 v82, 23, v82
	v_and_or_b32 v2, 0x8000, v2, v62
	v_lshl_or_b32 v82, v2, 16, v82
.LBB329_3413:                           ;   in Loop: Header=BB329_2079 Depth=1
	s_or_b32 exec_lo, exec_lo, s26
.LBB329_3414:                           ;   in Loop: Header=BB329_2079 Depth=1
	s_or_b32 exec_lo, exec_lo, s25
.LBB329_3415:                           ;   in Loop: Header=BB329_2079 Depth=1
	s_or_b32 exec_lo, exec_lo, s21
	v_lshrrev_b32_e32 v2, 16, v15
	v_mov_b32_e32 v88, 0
	v_mov_b32_e32 v89, 0
	v_cmp_ne_u16_sdwa s12, v2, v3 src0_sel:BYTE_0 src1_sel:DWORD
	s_and_saveexec_b32 s21, s12
	s_cbranch_execz .LBB329_3423
; %bb.3416:                             ;   in Loop: Header=BB329_2079 Depth=1
	v_cmp_ne_u16_sdwa s12, v2, v96 src0_sel:BYTE_0 src1_sel:DWORD
	v_mov_b32_e32 v89, 0x8000
	s_and_saveexec_b32 s25, s12
	s_cbranch_execz .LBB329_3422
; %bb.3417:                             ;   in Loop: Header=BB329_2079 Depth=1
	v_bfe_u32 v90, v15, 16, 7
	v_mov_b32_e32 v89, 0x7c01
	s_mov_b32 s26, exec_lo
	v_cmpx_ne_u32_e32 0x7f, v90
	s_cbranch_execz .LBB329_3421
; %bb.3418:                             ;   in Loop: Header=BB329_2079 Depth=1
	v_and_b32_e32 v62, 7, v2
	v_lshrrev_b32_e32 v63, 3, v90
	s_mov_b32 s27, exec_lo
	v_cmpx_gt_u32_e32 8, v90
; %bb.3419:                             ;   in Loop: Header=BB329_2079 Depth=1
	v_ffbh_u32_e32 v62, v62
	v_min_u32_e32 v89, 32, v62
	v_subrev_nc_u32_e32 v62, 28, v89
	v_lshlrev_b64 v[62:63], v62, v[2:3]
	v_sub_nc_u32_e32 v63, 29, v89
	v_and_b32_e32 v62, 7, v62
; %bb.3420:                             ;   in Loop: Header=BB329_2079 Depth=1
	s_or_b32 exec_lo, exec_lo, s27
	v_lshlrev_b32_e32 v2, 8, v2
	v_lshl_add_u32 v63, v63, 10, 0x2000
	v_lshlrev_b32_e32 v62, 7, v62
	v_and_b32_e32 v2, 0x8000, v2
	v_and_b32_e32 v63, 0xfc00, v63
	v_or3_b32 v89, v2, v63, v62
.LBB329_3421:                           ;   in Loop: Header=BB329_2079 Depth=1
	s_or_b32 exec_lo, exec_lo, s26
.LBB329_3422:                           ;   in Loop: Header=BB329_2079 Depth=1
	s_or_b32 exec_lo, exec_lo, s25
.LBB329_3423:                           ;   in Loop: Header=BB329_2079 Depth=1
	s_or_b32 exec_lo, exec_lo, s21
	s_mov_b32 s21, exec_lo
	v_cmpx_lt_u32_e32 0xffffff, v15
	s_cbranch_execz .LBB329_3431
; %bb.3424:                             ;   in Loop: Header=BB329_2079 Depth=1
	v_lshrrev_b32_e32 v2, 24, v15
	v_bfrev_b32_e32 v88, 1
	s_mov_b32 s25, exec_lo
	v_cmpx_ne_u32_e32 0x80, v2
	s_cbranch_execz .LBB329_3430
; %bb.3425:                             ;   in Loop: Header=BB329_2079 Depth=1
	v_and_b32_e32 v90, 0x7f, v2
	v_mov_b32_e32 v88, 0x7c010000
	s_mov_b32 s26, exec_lo
	v_cmpx_ne_u32_e32 0x7f, v90
	s_cbranch_execz .LBB329_3429
; %bb.3426:                             ;   in Loop: Header=BB329_2079 Depth=1
	v_and_b32_e32 v62, 7, v2
	v_lshrrev_b32_e32 v63, 3, v90
	s_mov_b32 s27, exec_lo
	v_cmpx_gt_u32_e32 8, v90
; %bb.3427:                             ;   in Loop: Header=BB329_2079 Depth=1
	v_ffbh_u32_e32 v62, v62
	v_min_u32_e32 v88, 32, v62
	v_subrev_nc_u32_e32 v62, 28, v88
	v_lshlrev_b64 v[62:63], v62, v[2:3]
	v_sub_nc_u32_e32 v63, 29, v88
	v_and_b32_e32 v62, 7, v62
; %bb.3428:                             ;   in Loop: Header=BB329_2079 Depth=1
	s_or_b32 exec_lo, exec_lo, s27
	v_lshlrev_b32_e32 v2, 8, v2
	v_lshl_add_u32 v63, v63, 10, 0x2000
	v_lshlrev_b32_e32 v62, 23, v62
	v_and_or_b32 v2, 0x8000, v2, v63
	v_lshl_or_b32 v88, v2, 16, v62
.LBB329_3429:                           ;   in Loop: Header=BB329_2079 Depth=1
	s_or_b32 exec_lo, exec_lo, s26
.LBB329_3430:                           ;   in Loop: Header=BB329_2079 Depth=1
	s_or_b32 exec_lo, exec_lo, s25
.LBB329_3431:                           ;   in Loop: Header=BB329_2079 Depth=1
	s_or_b32 exec_lo, exec_lo, s21
	v_mov_b32_e32 v2, v16
	v_cmp_ne_u16_sdwa s12, v16, v3 src0_sel:BYTE_0 src1_sel:DWORD
	v_mov_b32_e32 v62, 0
	v_mov_b32_e32 v63, 0
	s_and_saveexec_b32 s21, s12
	s_cbranch_execz .LBB329_3439
; %bb.3432:                             ;   in Loop: Header=BB329_2079 Depth=1
	v_cmp_ne_u16_sdwa s12, v16, v96 src0_sel:BYTE_0 src1_sel:DWORD
	v_mov_b32_e32 v63, 0x8000
	s_and_saveexec_b32 s25, s12
	s_cbranch_execz .LBB329_3438
; %bb.3433:                             ;   in Loop: Header=BB329_2079 Depth=1
	v_and_b32_e32 v91, 0x7f, v16
	v_mov_b32_e32 v63, 0x7c01
	s_mov_b32 s26, exec_lo
	v_cmpx_ne_u32_e32 0x7f, v91
	s_cbranch_execz .LBB329_3437
; %bb.3434:                             ;   in Loop: Header=BB329_2079 Depth=1
	v_and_b32_e32 v63, 7, v16
	v_lshrrev_b32_e32 v90, 3, v91
	s_mov_b32 s27, exec_lo
	v_cmpx_gt_u32_e32 8, v91
; %bb.3435:                             ;   in Loop: Header=BB329_2079 Depth=1
	v_ffbh_u32_e32 v63, v63
	v_min_u32_e32 v63, 32, v63
	v_subrev_nc_u32_e32 v90, 28, v63
	v_lshlrev_b64 v[91:92], v90, v[2:3]
	v_sub_nc_u32_e32 v90, 29, v63
	v_and_b32_e32 v63, 7, v91
; %bb.3436:                             ;   in Loop: Header=BB329_2079 Depth=1
	s_or_b32 exec_lo, exec_lo, s27
	v_lshlrev_b32_e32 v91, 8, v16
	v_lshl_add_u32 v90, v90, 10, 0x2000
	v_lshlrev_b32_e32 v63, 7, v63
	v_and_b32_e32 v91, 0x8000, v91
	v_and_b32_e32 v90, 0xfc00, v90
	v_or3_b32 v63, v91, v90, v63
.LBB329_3437:                           ;   in Loop: Header=BB329_2079 Depth=1
	s_or_b32 exec_lo, exec_lo, s26
.LBB329_3438:                           ;   in Loop: Header=BB329_2079 Depth=1
	s_or_b32 exec_lo, exec_lo, s25
.LBB329_3439:                           ;   in Loop: Header=BB329_2079 Depth=1
	s_or_b32 exec_lo, exec_lo, s21
	v_lshrrev_b16 v2, 8, v2
	v_mov_b32_e32 v90, 0
	s_mov_b32 s21, exec_lo
	v_cmpx_ne_u16_e32 0, v2
	s_cbranch_execz .LBB329_3447
; %bb.3440:                             ;   in Loop: Header=BB329_2079 Depth=1
	v_bfrev_b32_e32 v90, 1
	s_mov_b32 s25, exec_lo
	v_cmpx_ne_u16_e32 0x80, v2
	s_cbranch_execz .LBB329_3446
; %bb.3441:                             ;   in Loop: Header=BB329_2079 Depth=1
	v_and_b32_sdwa v92, v2, v97 dst_sel:DWORD dst_unused:UNUSED_PAD src0_sel:WORD_0 src1_sel:DWORD
	v_mov_b32_e32 v90, 0x7c010000
	s_mov_b32 s26, exec_lo
	v_cmpx_ne_u32_e32 0x7f, v92
	s_cbranch_execz .LBB329_3445
; %bb.3442:                             ;   in Loop: Header=BB329_2079 Depth=1
	v_and_b32_sdwa v90, v2, v64 dst_sel:DWORD dst_unused:UNUSED_PAD src0_sel:WORD_0 src1_sel:DWORD
	v_lshrrev_b32_e32 v91, 3, v92
	s_mov_b32 s27, exec_lo
	v_cmpx_gt_u32_e32 8, v92
; %bb.3443:                             ;   in Loop: Header=BB329_2079 Depth=1
	v_ffbh_u32_e32 v90, v90
	v_min_u32_e32 v92, 32, v90
	v_subrev_nc_u32_e32 v90, 28, v92
	v_lshlrev_b64 v[90:91], v90, v[2:3]
	v_sub_nc_u32_e32 v91, 29, v92
	v_and_b32_e32 v90, 7, v90
; %bb.3444:                             ;   in Loop: Header=BB329_2079 Depth=1
	s_or_b32 exec_lo, exec_lo, s27
	v_lshlrev_b32_sdwa v2, v61, v2 dst_sel:DWORD dst_unused:UNUSED_PAD src0_sel:DWORD src1_sel:WORD_0
	v_lshl_add_u32 v91, v91, 10, 0x2000
	v_lshlrev_b32_e32 v90, 23, v90
	v_and_or_b32 v2, 0x8000, v2, v91
	v_lshl_or_b32 v90, v2, 16, v90
.LBB329_3445:                           ;   in Loop: Header=BB329_2079 Depth=1
	s_or_b32 exec_lo, exec_lo, s26
.LBB329_3446:                           ;   in Loop: Header=BB329_2079 Depth=1
	s_or_b32 exec_lo, exec_lo, s25
.LBB329_3447:                           ;   in Loop: Header=BB329_2079 Depth=1
	s_or_b32 exec_lo, exec_lo, s21
	v_lshrrev_b32_e32 v2, 16, v16
	v_cmp_ne_u16_sdwa s12, v2, v3 src0_sel:BYTE_0 src1_sel:DWORD
	s_and_saveexec_b32 s21, s12
	s_cbranch_execz .LBB329_3455
; %bb.3448:                             ;   in Loop: Header=BB329_2079 Depth=1
	v_cmp_ne_u16_sdwa s12, v2, v96 src0_sel:BYTE_0 src1_sel:DWORD
	v_mov_b32_e32 v62, 0x8000
	s_and_saveexec_b32 s25, s12
	s_cbranch_execz .LBB329_3454
; %bb.3449:                             ;   in Loop: Header=BB329_2079 Depth=1
	v_bfe_u32 v92, v16, 16, 7
	v_mov_b32_e32 v62, 0x7c01
	s_mov_b32 s26, exec_lo
	v_cmpx_ne_u32_e32 0x7f, v92
	s_cbranch_execz .LBB329_3453
; %bb.3450:                             ;   in Loop: Header=BB329_2079 Depth=1
	v_and_b32_e32 v62, 7, v2
	v_lshrrev_b32_e32 v91, 3, v92
	s_mov_b32 s27, exec_lo
	v_cmpx_gt_u32_e32 8, v92
; %bb.3451:                             ;   in Loop: Header=BB329_2079 Depth=1
	v_ffbh_u32_e32 v62, v62
	v_min_u32_e32 v62, 32, v62
	v_subrev_nc_u32_e32 v91, 28, v62
	v_lshlrev_b64 v[92:93], v91, v[2:3]
	v_sub_nc_u32_e32 v91, 29, v62
	v_and_b32_e32 v62, 7, v92
; %bb.3452:                             ;   in Loop: Header=BB329_2079 Depth=1
	s_or_b32 exec_lo, exec_lo, s27
	v_lshlrev_b32_e32 v2, 8, v2
	v_lshl_add_u32 v91, v91, 10, 0x2000
	v_lshlrev_b32_e32 v62, 7, v62
	v_and_b32_e32 v2, 0x8000, v2
	v_and_b32_e32 v91, 0xfc00, v91
	v_or3_b32 v62, v2, v91, v62
.LBB329_3453:                           ;   in Loop: Header=BB329_2079 Depth=1
	s_or_b32 exec_lo, exec_lo, s26
.LBB329_3454:                           ;   in Loop: Header=BB329_2079 Depth=1
	s_or_b32 exec_lo, exec_lo, s25
.LBB329_3455:                           ;   in Loop: Header=BB329_2079 Depth=1
	s_or_b32 exec_lo, exec_lo, s21
	v_cmp_lt_u64_e64 s12, s[22:23], v[15:16]
	v_mov_b32_e32 v15, 0
	s_and_saveexec_b32 s21, s12
	s_cbranch_execz .LBB329_3463
; %bb.3456:                             ;   in Loop: Header=BB329_2079 Depth=1
	v_lshrrev_b32_e32 v2, 24, v16
	v_bfrev_b32_e32 v15, 1
	s_mov_b32 s25, exec_lo
	v_cmpx_ne_u32_e32 0x80, v2
	s_cbranch_execz .LBB329_3462
; %bb.3457:                             ;   in Loop: Header=BB329_2079 Depth=1
	v_and_b32_e32 v91, 0x7f, v2
	v_mov_b32_e32 v15, 0x7c010000
	s_mov_b32 s26, exec_lo
	v_cmpx_ne_u32_e32 0x7f, v91
	s_cbranch_execz .LBB329_3461
; %bb.3458:                             ;   in Loop: Header=BB329_2079 Depth=1
	v_and_b32_e32 v15, 7, v2
	v_lshrrev_b32_e32 v16, 3, v91
	s_mov_b32 s27, exec_lo
	v_cmpx_gt_u32_e32 8, v91
; %bb.3459:                             ;   in Loop: Header=BB329_2079 Depth=1
	v_ffbh_u32_e32 v15, v15
	v_min_u32_e32 v91, 32, v15
	v_subrev_nc_u32_e32 v15, 28, v91
	v_lshlrev_b64 v[15:16], v15, v[2:3]
	v_sub_nc_u32_e32 v16, 29, v91
	v_and_b32_e32 v15, 7, v15
; %bb.3460:                             ;   in Loop: Header=BB329_2079 Depth=1
	s_or_b32 exec_lo, exec_lo, s27
	v_lshlrev_b32_e32 v2, 8, v2
	v_lshl_add_u32 v16, v16, 10, 0x2000
	v_lshlrev_b32_e32 v15, 23, v15
	v_and_or_b32 v2, 0x8000, v2, v16
	v_lshl_or_b32 v15, v2, 16, v15
.LBB329_3461:                           ;   in Loop: Header=BB329_2079 Depth=1
	s_or_b32 exec_lo, exec_lo, s26
.LBB329_3462:                           ;   in Loop: Header=BB329_2079 Depth=1
	s_or_b32 exec_lo, exec_lo, s25
.LBB329_3463:                           ;   in Loop: Header=BB329_2079 Depth=1
	s_or_b32 exec_lo, exec_lo, s21
	v_or_b32_e32 v2, v88, v89
	s_waitcnt vmcnt(0) lgkmcnt(0)
	v_fma_mixlo_f16 v16, v81, v88, 0 op_sel:[0,1,0] op_sel_hi:[0,1,0]
	v_or_b32_e32 v79, v82, v79
	v_or_b32_e32 v63, v90, v63
	;; [unrolled: 1-line block ×3, first 2 shown]
	v_fma_mixlo_f16 v88, v81, v2, 0 op_sel_hi:[0,1,0]
	v_fma_mixlo_f16 v82, v81, v82, 0 op_sel:[0,1,0] op_sel_hi:[0,1,0]
	v_lshlrev_b32_e32 v2, 16, v16
	v_fma_mixlo_f16 v79, v81, v79, 0 op_sel_hi:[0,1,0]
	v_fma_mixlo_f16 v63, v81, v63, 0 op_sel_hi:[0,1,0]
	v_and_b32_e32 v16, 0xffff, v88
	v_fma_mixlo_f16 v88, v81, v90, 0 op_sel:[0,1,0] op_sel_hi:[0,1,0]
	v_fma_mixlo_f16 v15, v81, v15, 0 op_sel:[0,1,0] op_sel_hi:[0,1,0]
	v_fma_mixlo_f16 v81, v81, v62, 0 op_sel_hi:[0,1,0]
	v_lshlrev_b32_e32 v82, 16, v82
	v_and_b32_e32 v91, 0xffff, v79
	v_lshlrev_b32_e32 v88, 16, v88
	v_and_b32_e32 v90, 0xffff, v63
	;; [unrolled: 2-line block ×3, first 2 shown]
	v_or_b32_e32 v15, v2, v16
	v_or_b32_e32 v63, v82, v91
	;; [unrolled: 1-line block ×4, first 2 shown]
	s_and_saveexec_b32 s12, s6
	s_cbranch_execz .LBB329_3465
; %bb.3464:                             ;   in Loop: Header=BB329_2079 Depth=1
	v_cndmask_b32_e32 v15, 0, v91, vcc_lo
	v_cndmask_b32_e64 v81, 0, v82, s5
	v_cndmask_b32_e64 v16, 0, v16, s4
	;; [unrolled: 1-line block ×7, first 2 shown]
	v_or_b32_e32 v63, v15, v81
	v_or_b32_e32 v15, v16, v2
	;; [unrolled: 1-line block ×4, first 2 shown]
.LBB329_3465:                           ;   in Loop: Header=BB329_2079 Depth=1
	s_or_b32 exec_lo, exec_lo, s12
	;;#ASMSTART
	v_pk_mul_f16 v2, v103, v63;

	;;#ASMEND
	;;#ASMSTART
	v_pk_mul_f16 v15, v102, v15;

	;;#ASMEND
	;; [unrolled: 4-line block ×4, first 2 shown]
	;;#ASMSTART
	v_pk_add_f16 v2, v2, v15;

	;;#ASMEND
	;;#ASMSTART
	v_pk_add_f16 v2, v2, v16;

	;;#ASMEND
	;; [unrolled: 4-line block ×3, first 2 shown]
	v_and_b32_e32 v15, 0xffff, v2
	v_lshrrev_b32_e32 v2, 16, v2
	;;#ASMSTART
	v_cvt_f32_f16 v79, v15;
	;;#ASMEND
	;;#ASMSTART
	v_cvt_f32_f16 v88, v2;
	;;#ASMEND
	flat_load_dwordx2 v[15:16], v[13:14] offset:1280
	s_clause 0x1
	buffer_load_dword v81, off, s[0:3], s32 offset:192
	buffer_load_dword v82, off, s[0:3], s32 offset:196
	v_mov_b32_e32 v89, 0
	s_waitcnt vmcnt(2) lgkmcnt(0)
	v_cmp_ne_u16_sdwa s12, v15, v3 src0_sel:BYTE_0 src1_sel:DWORD
	s_waitcnt vmcnt(0)
	flat_load_dword v81, v[81:82]
	v_mov_b32_e32 v82, 0
	s_and_saveexec_b32 s21, s12
	s_cbranch_execz .LBB329_3473
; %bb.3466:                             ;   in Loop: Header=BB329_2079 Depth=1
	v_cmp_ne_u16_sdwa s12, v15, v96 src0_sel:BYTE_0 src1_sel:DWORD
	v_mov_b32_e32 v89, 0x8000
	s_and_saveexec_b32 s25, s12
	s_cbranch_execz .LBB329_3472
; %bb.3467:                             ;   in Loop: Header=BB329_2079 Depth=1
	v_and_b32_e32 v63, 0x7f, v15
	v_mov_b32_e32 v89, 0x7c01
	s_mov_b32 s26, exec_lo
	v_cmpx_ne_u32_e32 0x7f, v63
	s_cbranch_execz .LBB329_3471
; %bb.3468:                             ;   in Loop: Header=BB329_2079 Depth=1
	v_and_b32_e32 v2, 7, v15
	v_lshrrev_b32_e32 v62, 3, v63
	s_mov_b32 s27, exec_lo
	v_cmpx_gt_u32_e32 8, v63
; %bb.3469:                             ;   in Loop: Header=BB329_2079 Depth=1
	v_ffbh_u32_e32 v2, v2
	v_min_u32_e32 v2, 32, v2
	v_subrev_nc_u32_e32 v62, 28, v2
	v_lshlrev_b64 v[89:90], v62, v[15:16]
	v_sub_nc_u32_e32 v62, 29, v2
	v_and_b32_e32 v2, 7, v89
; %bb.3470:                             ;   in Loop: Header=BB329_2079 Depth=1
	s_or_b32 exec_lo, exec_lo, s27
	v_lshlrev_b32_e32 v63, 8, v15
	v_lshl_add_u32 v62, v62, 10, 0x2000
	v_lshlrev_b32_e32 v2, 7, v2
	v_and_b32_e32 v63, 0x8000, v63
	v_and_b32_e32 v62, 0xfc00, v62
	v_or3_b32 v89, v63, v62, v2
.LBB329_3471:                           ;   in Loop: Header=BB329_2079 Depth=1
	s_or_b32 exec_lo, exec_lo, s26
.LBB329_3472:                           ;   in Loop: Header=BB329_2079 Depth=1
	s_or_b32 exec_lo, exec_lo, s25
.LBB329_3473:                           ;   in Loop: Header=BB329_2079 Depth=1
	s_or_b32 exec_lo, exec_lo, s21
	v_lshrrev_b16 v2, 8, v15
	s_mov_b32 s21, exec_lo
	v_cmpx_ne_u16_e32 0, v2
	s_cbranch_execz .LBB329_3481
; %bb.3474:                             ;   in Loop: Header=BB329_2079 Depth=1
	v_bfrev_b32_e32 v82, 1
	s_mov_b32 s25, exec_lo
	v_cmpx_ne_u16_e32 0x80, v2
	s_cbranch_execz .LBB329_3480
; %bb.3475:                             ;   in Loop: Header=BB329_2079 Depth=1
	v_and_b32_sdwa v63, v2, v97 dst_sel:DWORD dst_unused:UNUSED_PAD src0_sel:WORD_0 src1_sel:DWORD
	v_mov_b32_e32 v82, 0x7c010000
	s_mov_b32 s26, exec_lo
	v_cmpx_ne_u32_e32 0x7f, v63
	s_cbranch_execz .LBB329_3479
; %bb.3476:                             ;   in Loop: Header=BB329_2079 Depth=1
	v_and_b32_sdwa v82, v2, v64 dst_sel:DWORD dst_unused:UNUSED_PAD src0_sel:WORD_0 src1_sel:DWORD
	v_lshrrev_b32_e32 v62, 3, v63
	s_mov_b32 s27, exec_lo
	v_cmpx_gt_u32_e32 8, v63
; %bb.3477:                             ;   in Loop: Header=BB329_2079 Depth=1
	v_ffbh_u32_e32 v82, v82
	v_min_u32_e32 v82, 32, v82
	v_subrev_nc_u32_e32 v62, 28, v82
	v_lshlrev_b64 v[90:91], v62, v[2:3]
	v_sub_nc_u32_e32 v62, 29, v82
	v_and_b32_e32 v82, 7, v90
; %bb.3478:                             ;   in Loop: Header=BB329_2079 Depth=1
	s_or_b32 exec_lo, exec_lo, s27
	v_lshlrev_b32_sdwa v2, v61, v2 dst_sel:DWORD dst_unused:UNUSED_PAD src0_sel:DWORD src1_sel:WORD_0
	v_lshl_add_u32 v62, v62, 10, 0x2000
	v_lshlrev_b32_e32 v82, 23, v82
	v_and_or_b32 v2, 0x8000, v2, v62
	v_lshl_or_b32 v82, v2, 16, v82
.LBB329_3479:                           ;   in Loop: Header=BB329_2079 Depth=1
	s_or_b32 exec_lo, exec_lo, s26
.LBB329_3480:                           ;   in Loop: Header=BB329_2079 Depth=1
	s_or_b32 exec_lo, exec_lo, s25
.LBB329_3481:                           ;   in Loop: Header=BB329_2079 Depth=1
	s_or_b32 exec_lo, exec_lo, s21
	v_lshrrev_b32_e32 v2, 16, v15
	v_mov_b32_e32 v90, 0
	v_mov_b32_e32 v91, 0
	v_cmp_ne_u16_sdwa s12, v2, v3 src0_sel:BYTE_0 src1_sel:DWORD
	s_and_saveexec_b32 s21, s12
	s_cbranch_execz .LBB329_3489
; %bb.3482:                             ;   in Loop: Header=BB329_2079 Depth=1
	v_cmp_ne_u16_sdwa s12, v2, v96 src0_sel:BYTE_0 src1_sel:DWORD
	v_mov_b32_e32 v91, 0x8000
	s_and_saveexec_b32 s25, s12
	s_cbranch_execz .LBB329_3488
; %bb.3483:                             ;   in Loop: Header=BB329_2079 Depth=1
	v_bfe_u32 v92, v15, 16, 7
	v_mov_b32_e32 v91, 0x7c01
	s_mov_b32 s26, exec_lo
	v_cmpx_ne_u32_e32 0x7f, v92
	s_cbranch_execz .LBB329_3487
; %bb.3484:                             ;   in Loop: Header=BB329_2079 Depth=1
	v_and_b32_e32 v62, 7, v2
	v_lshrrev_b32_e32 v63, 3, v92
	s_mov_b32 s27, exec_lo
	v_cmpx_gt_u32_e32 8, v92
; %bb.3485:                             ;   in Loop: Header=BB329_2079 Depth=1
	v_ffbh_u32_e32 v62, v62
	v_min_u32_e32 v91, 32, v62
	v_subrev_nc_u32_e32 v62, 28, v91
	v_lshlrev_b64 v[62:63], v62, v[2:3]
	v_sub_nc_u32_e32 v63, 29, v91
	v_and_b32_e32 v62, 7, v62
; %bb.3486:                             ;   in Loop: Header=BB329_2079 Depth=1
	s_or_b32 exec_lo, exec_lo, s27
	v_lshlrev_b32_e32 v2, 8, v2
	v_lshl_add_u32 v63, v63, 10, 0x2000
	v_lshlrev_b32_e32 v62, 7, v62
	v_and_b32_e32 v2, 0x8000, v2
	v_and_b32_e32 v63, 0xfc00, v63
	v_or3_b32 v91, v2, v63, v62
.LBB329_3487:                           ;   in Loop: Header=BB329_2079 Depth=1
	s_or_b32 exec_lo, exec_lo, s26
.LBB329_3488:                           ;   in Loop: Header=BB329_2079 Depth=1
	s_or_b32 exec_lo, exec_lo, s25
.LBB329_3489:                           ;   in Loop: Header=BB329_2079 Depth=1
	s_or_b32 exec_lo, exec_lo, s21
	s_mov_b32 s21, exec_lo
	v_cmpx_lt_u32_e32 0xffffff, v15
	s_cbranch_execz .LBB329_3497
; %bb.3490:                             ;   in Loop: Header=BB329_2079 Depth=1
	v_lshrrev_b32_e32 v2, 24, v15
	v_bfrev_b32_e32 v90, 1
	s_mov_b32 s25, exec_lo
	v_cmpx_ne_u32_e32 0x80, v2
	s_cbranch_execz .LBB329_3496
; %bb.3491:                             ;   in Loop: Header=BB329_2079 Depth=1
	v_and_b32_e32 v92, 0x7f, v2
	v_mov_b32_e32 v90, 0x7c010000
	s_mov_b32 s26, exec_lo
	v_cmpx_ne_u32_e32 0x7f, v92
	s_cbranch_execz .LBB329_3495
; %bb.3492:                             ;   in Loop: Header=BB329_2079 Depth=1
	v_and_b32_e32 v62, 7, v2
	v_lshrrev_b32_e32 v63, 3, v92
	s_mov_b32 s27, exec_lo
	v_cmpx_gt_u32_e32 8, v92
; %bb.3493:                             ;   in Loop: Header=BB329_2079 Depth=1
	v_ffbh_u32_e32 v62, v62
	v_min_u32_e32 v90, 32, v62
	v_subrev_nc_u32_e32 v62, 28, v90
	v_lshlrev_b64 v[62:63], v62, v[2:3]
	v_sub_nc_u32_e32 v63, 29, v90
	v_and_b32_e32 v62, 7, v62
; %bb.3494:                             ;   in Loop: Header=BB329_2079 Depth=1
	s_or_b32 exec_lo, exec_lo, s27
	v_lshlrev_b32_e32 v2, 8, v2
	v_lshl_add_u32 v63, v63, 10, 0x2000
	v_lshlrev_b32_e32 v62, 23, v62
	v_and_or_b32 v2, 0x8000, v2, v63
	v_lshl_or_b32 v90, v2, 16, v62
.LBB329_3495:                           ;   in Loop: Header=BB329_2079 Depth=1
	s_or_b32 exec_lo, exec_lo, s26
.LBB329_3496:                           ;   in Loop: Header=BB329_2079 Depth=1
	s_or_b32 exec_lo, exec_lo, s25
.LBB329_3497:                           ;   in Loop: Header=BB329_2079 Depth=1
	s_or_b32 exec_lo, exec_lo, s21
	v_mov_b32_e32 v2, v16
	v_cmp_ne_u16_sdwa s12, v16, v3 src0_sel:BYTE_0 src1_sel:DWORD
	v_mov_b32_e32 v62, 0
	v_mov_b32_e32 v63, 0
	s_and_saveexec_b32 s21, s12
	s_cbranch_execz .LBB329_3505
; %bb.3498:                             ;   in Loop: Header=BB329_2079 Depth=1
	v_cmp_ne_u16_sdwa s12, v16, v96 src0_sel:BYTE_0 src1_sel:DWORD
	v_mov_b32_e32 v63, 0x8000
	s_and_saveexec_b32 s25, s12
	s_cbranch_execz .LBB329_3504
; %bb.3499:                             ;   in Loop: Header=BB329_2079 Depth=1
	v_and_b32_e32 v93, 0x7f, v16
	v_mov_b32_e32 v63, 0x7c01
	s_mov_b32 s26, exec_lo
	v_cmpx_ne_u32_e32 0x7f, v93
	s_cbranch_execz .LBB329_3503
; %bb.3500:                             ;   in Loop: Header=BB329_2079 Depth=1
	v_and_b32_e32 v63, 7, v16
	v_lshrrev_b32_e32 v92, 3, v93
	s_mov_b32 s27, exec_lo
	v_cmpx_gt_u32_e32 8, v93
; %bb.3501:                             ;   in Loop: Header=BB329_2079 Depth=1
	v_ffbh_u32_e32 v63, v63
	v_min_u32_e32 v63, 32, v63
	v_subrev_nc_u32_e32 v92, 28, v63
	v_lshlrev_b64 v[104:105], v92, v[2:3]
	v_sub_nc_u32_e32 v92, 29, v63
	v_and_b32_e32 v63, 7, v104
; %bb.3502:                             ;   in Loop: Header=BB329_2079 Depth=1
	s_or_b32 exec_lo, exec_lo, s27
	v_lshlrev_b32_e32 v93, 8, v16
	v_lshl_add_u32 v92, v92, 10, 0x2000
	v_lshlrev_b32_e32 v63, 7, v63
	v_and_b32_e32 v93, 0x8000, v93
	v_and_b32_e32 v92, 0xfc00, v92
	v_or3_b32 v63, v93, v92, v63
.LBB329_3503:                           ;   in Loop: Header=BB329_2079 Depth=1
	s_or_b32 exec_lo, exec_lo, s26
.LBB329_3504:                           ;   in Loop: Header=BB329_2079 Depth=1
	s_or_b32 exec_lo, exec_lo, s25
.LBB329_3505:                           ;   in Loop: Header=BB329_2079 Depth=1
	s_or_b32 exec_lo, exec_lo, s21
	v_lshrrev_b16 v2, 8, v2
	v_mov_b32_e32 v92, 0
	s_mov_b32 s21, exec_lo
	v_cmpx_ne_u16_e32 0, v2
	s_cbranch_execz .LBB329_3513
; %bb.3506:                             ;   in Loop: Header=BB329_2079 Depth=1
	v_bfrev_b32_e32 v92, 1
	s_mov_b32 s25, exec_lo
	v_cmpx_ne_u16_e32 0x80, v2
	s_cbranch_execz .LBB329_3512
; %bb.3507:                             ;   in Loop: Header=BB329_2079 Depth=1
	v_and_b32_sdwa v104, v2, v97 dst_sel:DWORD dst_unused:UNUSED_PAD src0_sel:WORD_0 src1_sel:DWORD
	v_mov_b32_e32 v92, 0x7c010000
	s_mov_b32 s26, exec_lo
	v_cmpx_ne_u32_e32 0x7f, v104
	s_cbranch_execz .LBB329_3511
; %bb.3508:                             ;   in Loop: Header=BB329_2079 Depth=1
	v_and_b32_sdwa v92, v2, v64 dst_sel:DWORD dst_unused:UNUSED_PAD src0_sel:WORD_0 src1_sel:DWORD
	v_lshrrev_b32_e32 v93, 3, v104
	s_mov_b32 s27, exec_lo
	v_cmpx_gt_u32_e32 8, v104
; %bb.3509:                             ;   in Loop: Header=BB329_2079 Depth=1
	v_ffbh_u32_e32 v92, v92
	v_min_u32_e32 v104, 32, v92
	v_subrev_nc_u32_e32 v92, 28, v104
	v_lshlrev_b64 v[92:93], v92, v[2:3]
	v_sub_nc_u32_e32 v93, 29, v104
	v_and_b32_e32 v92, 7, v92
; %bb.3510:                             ;   in Loop: Header=BB329_2079 Depth=1
	s_or_b32 exec_lo, exec_lo, s27
	v_lshlrev_b32_sdwa v2, v61, v2 dst_sel:DWORD dst_unused:UNUSED_PAD src0_sel:DWORD src1_sel:WORD_0
	v_lshl_add_u32 v93, v93, 10, 0x2000
	v_lshlrev_b32_e32 v92, 23, v92
	v_and_or_b32 v2, 0x8000, v2, v93
	v_lshl_or_b32 v92, v2, 16, v92
.LBB329_3511:                           ;   in Loop: Header=BB329_2079 Depth=1
	s_or_b32 exec_lo, exec_lo, s26
.LBB329_3512:                           ;   in Loop: Header=BB329_2079 Depth=1
	s_or_b32 exec_lo, exec_lo, s25
.LBB329_3513:                           ;   in Loop: Header=BB329_2079 Depth=1
	s_or_b32 exec_lo, exec_lo, s21
	v_lshrrev_b32_e32 v2, 16, v16
	v_cmp_ne_u16_sdwa s12, v2, v3 src0_sel:BYTE_0 src1_sel:DWORD
	s_and_saveexec_b32 s21, s12
	s_cbranch_execz .LBB329_3521
; %bb.3514:                             ;   in Loop: Header=BB329_2079 Depth=1
	v_cmp_ne_u16_sdwa s12, v2, v96 src0_sel:BYTE_0 src1_sel:DWORD
	v_mov_b32_e32 v62, 0x8000
	s_and_saveexec_b32 s25, s12
	s_cbranch_execz .LBB329_3520
; %bb.3515:                             ;   in Loop: Header=BB329_2079 Depth=1
	v_bfe_u32 v104, v16, 16, 7
	v_mov_b32_e32 v62, 0x7c01
	s_mov_b32 s26, exec_lo
	v_cmpx_ne_u32_e32 0x7f, v104
	s_cbranch_execz .LBB329_3519
; %bb.3516:                             ;   in Loop: Header=BB329_2079 Depth=1
	v_and_b32_e32 v62, 7, v2
	v_lshrrev_b32_e32 v93, 3, v104
	s_mov_b32 s27, exec_lo
	v_cmpx_gt_u32_e32 8, v104
; %bb.3517:                             ;   in Loop: Header=BB329_2079 Depth=1
	v_ffbh_u32_e32 v62, v62
	v_min_u32_e32 v62, 32, v62
	v_subrev_nc_u32_e32 v93, 28, v62
	v_lshlrev_b64 v[104:105], v93, v[2:3]
	v_sub_nc_u32_e32 v93, 29, v62
	v_and_b32_e32 v62, 7, v104
; %bb.3518:                             ;   in Loop: Header=BB329_2079 Depth=1
	s_or_b32 exec_lo, exec_lo, s27
	v_lshlrev_b32_e32 v2, 8, v2
	v_lshl_add_u32 v93, v93, 10, 0x2000
	v_lshlrev_b32_e32 v62, 7, v62
	v_and_b32_e32 v2, 0x8000, v2
	v_and_b32_e32 v93, 0xfc00, v93
	v_or3_b32 v62, v2, v93, v62
.LBB329_3519:                           ;   in Loop: Header=BB329_2079 Depth=1
	s_or_b32 exec_lo, exec_lo, s26
.LBB329_3520:                           ;   in Loop: Header=BB329_2079 Depth=1
	s_or_b32 exec_lo, exec_lo, s25
.LBB329_3521:                           ;   in Loop: Header=BB329_2079 Depth=1
	s_or_b32 exec_lo, exec_lo, s21
	v_cmp_lt_u64_e64 s12, s[22:23], v[15:16]
	v_mov_b32_e32 v15, 0
	s_and_saveexec_b32 s21, s12
	s_cbranch_execz .LBB329_3529
; %bb.3522:                             ;   in Loop: Header=BB329_2079 Depth=1
	v_lshrrev_b32_e32 v2, 24, v16
	v_bfrev_b32_e32 v15, 1
	s_mov_b32 s25, exec_lo
	v_cmpx_ne_u32_e32 0x80, v2
	s_cbranch_execz .LBB329_3528
; %bb.3523:                             ;   in Loop: Header=BB329_2079 Depth=1
	v_and_b32_e32 v93, 0x7f, v2
	v_mov_b32_e32 v15, 0x7c010000
	s_mov_b32 s26, exec_lo
	v_cmpx_ne_u32_e32 0x7f, v93
	s_cbranch_execz .LBB329_3527
; %bb.3524:                             ;   in Loop: Header=BB329_2079 Depth=1
	v_and_b32_e32 v15, 7, v2
	v_lshrrev_b32_e32 v16, 3, v93
	s_mov_b32 s27, exec_lo
	v_cmpx_gt_u32_e32 8, v93
; %bb.3525:                             ;   in Loop: Header=BB329_2079 Depth=1
	v_ffbh_u32_e32 v15, v15
	v_min_u32_e32 v93, 32, v15
	v_subrev_nc_u32_e32 v15, 28, v93
	v_lshlrev_b64 v[15:16], v15, v[2:3]
	v_sub_nc_u32_e32 v16, 29, v93
	v_and_b32_e32 v15, 7, v15
; %bb.3526:                             ;   in Loop: Header=BB329_2079 Depth=1
	s_or_b32 exec_lo, exec_lo, s27
	v_lshlrev_b32_e32 v2, 8, v2
	v_lshl_add_u32 v16, v16, 10, 0x2000
	v_lshlrev_b32_e32 v15, 23, v15
	v_and_or_b32 v2, 0x8000, v2, v16
	v_lshl_or_b32 v15, v2, 16, v15
.LBB329_3527:                           ;   in Loop: Header=BB329_2079 Depth=1
	s_or_b32 exec_lo, exec_lo, s26
.LBB329_3528:                           ;   in Loop: Header=BB329_2079 Depth=1
	s_or_b32 exec_lo, exec_lo, s25
.LBB329_3529:                           ;   in Loop: Header=BB329_2079 Depth=1
	s_or_b32 exec_lo, exec_lo, s21
	v_or_b32_e32 v2, v90, v91
	s_waitcnt vmcnt(0) lgkmcnt(0)
	v_fma_mixlo_f16 v16, v81, v90, 0 op_sel:[0,1,0] op_sel_hi:[0,1,0]
	v_or_b32_e32 v89, v82, v89
	v_or_b32_e32 v63, v92, v63
	;; [unrolled: 1-line block ×3, first 2 shown]
	v_fma_mixlo_f16 v90, v81, v2, 0 op_sel_hi:[0,1,0]
	v_fma_mixlo_f16 v82, v81, v82, 0 op_sel:[0,1,0] op_sel_hi:[0,1,0]
	v_lshlrev_b32_e32 v2, 16, v16
	v_fma_mixlo_f16 v89, v81, v89, 0 op_sel_hi:[0,1,0]
	v_fma_mixlo_f16 v63, v81, v63, 0 op_sel_hi:[0,1,0]
	v_and_b32_e32 v16, 0xffff, v90
	v_fma_mixlo_f16 v90, v81, v92, 0 op_sel:[0,1,0] op_sel_hi:[0,1,0]
	v_fma_mixlo_f16 v15, v81, v15, 0 op_sel:[0,1,0] op_sel_hi:[0,1,0]
	v_fma_mixlo_f16 v81, v81, v62, 0 op_sel_hi:[0,1,0]
	v_lshlrev_b32_e32 v82, 16, v82
	v_and_b32_e32 v93, 0xffff, v89
	v_lshlrev_b32_e32 v90, 16, v90
	v_and_b32_e32 v92, 0xffff, v63
	v_lshlrev_b32_e32 v89, 16, v15
	v_and_b32_e32 v91, 0xffff, v81
	v_or_b32_e32 v15, v2, v16
	v_or_b32_e32 v63, v82, v93
	;; [unrolled: 1-line block ×4, first 2 shown]
	s_and_saveexec_b32 s12, s6
	s_cbranch_execz .LBB329_3531
; %bb.3530:                             ;   in Loop: Header=BB329_2079 Depth=1
	v_cndmask_b32_e32 v15, 0, v93, vcc_lo
	v_cndmask_b32_e64 v81, 0, v82, s5
	v_cndmask_b32_e64 v16, 0, v16, s4
	;; [unrolled: 1-line block ×7, first 2 shown]
	v_or_b32_e32 v63, v15, v81
	v_or_b32_e32 v15, v16, v2
	;; [unrolled: 1-line block ×4, first 2 shown]
.LBB329_3531:                           ;   in Loop: Header=BB329_2079 Depth=1
	s_or_b32 exec_lo, exec_lo, s12
	;;#ASMSTART
	v_pk_mul_f16 v2, v103, v63;

	;;#ASMEND
	;;#ASMSTART
	v_pk_mul_f16 v15, v102, v15;

	;;#ASMEND
	;; [unrolled: 4-line block ×4, first 2 shown]
	;;#ASMSTART
	v_pk_add_f16 v2, v2, v15;

	;;#ASMEND
	;;#ASMSTART
	v_pk_add_f16 v2, v2, v16;

	;;#ASMEND
	;; [unrolled: 4-line block ×3, first 2 shown]
	v_and_b32_e32 v15, 0xffff, v2
	v_lshrrev_b32_e32 v2, 16, v2
	;;#ASMSTART
	v_cvt_f32_f16 v89, v15;
	;;#ASMEND
	;;#ASMSTART
	v_cvt_f32_f16 v90, v2;
	;;#ASMEND
	flat_load_dwordx2 v[15:16], v[13:14] offset:1536
	s_clause 0x1
	buffer_load_dword v81, off, s[0:3], s32 offset:192
	buffer_load_dword v82, off, s[0:3], s32 offset:196
	v_mov_b32_e32 v91, 0
	s_waitcnt vmcnt(2) lgkmcnt(0)
	v_cmp_ne_u16_sdwa s12, v15, v3 src0_sel:BYTE_0 src1_sel:DWORD
	s_waitcnt vmcnt(0)
	flat_load_dword v81, v[81:82]
	v_mov_b32_e32 v82, 0
	s_and_saveexec_b32 s21, s12
	s_cbranch_execz .LBB329_3539
; %bb.3532:                             ;   in Loop: Header=BB329_2079 Depth=1
	v_cmp_ne_u16_sdwa s12, v15, v96 src0_sel:BYTE_0 src1_sel:DWORD
	v_mov_b32_e32 v91, 0x8000
	s_and_saveexec_b32 s25, s12
	s_cbranch_execz .LBB329_3538
; %bb.3533:                             ;   in Loop: Header=BB329_2079 Depth=1
	v_and_b32_e32 v63, 0x7f, v15
	v_mov_b32_e32 v91, 0x7c01
	s_mov_b32 s26, exec_lo
	v_cmpx_ne_u32_e32 0x7f, v63
	s_cbranch_execz .LBB329_3537
; %bb.3534:                             ;   in Loop: Header=BB329_2079 Depth=1
	v_and_b32_e32 v2, 7, v15
	v_lshrrev_b32_e32 v62, 3, v63
	s_mov_b32 s27, exec_lo
	v_cmpx_gt_u32_e32 8, v63
; %bb.3535:                             ;   in Loop: Header=BB329_2079 Depth=1
	v_ffbh_u32_e32 v2, v2
	v_min_u32_e32 v2, 32, v2
	v_subrev_nc_u32_e32 v62, 28, v2
	v_lshlrev_b64 v[91:92], v62, v[15:16]
	v_sub_nc_u32_e32 v62, 29, v2
	v_and_b32_e32 v2, 7, v91
; %bb.3536:                             ;   in Loop: Header=BB329_2079 Depth=1
	s_or_b32 exec_lo, exec_lo, s27
	v_lshlrev_b32_e32 v63, 8, v15
	v_lshl_add_u32 v62, v62, 10, 0x2000
	v_lshlrev_b32_e32 v2, 7, v2
	v_and_b32_e32 v63, 0x8000, v63
	v_and_b32_e32 v62, 0xfc00, v62
	v_or3_b32 v91, v63, v62, v2
.LBB329_3537:                           ;   in Loop: Header=BB329_2079 Depth=1
	s_or_b32 exec_lo, exec_lo, s26
.LBB329_3538:                           ;   in Loop: Header=BB329_2079 Depth=1
	s_or_b32 exec_lo, exec_lo, s25
.LBB329_3539:                           ;   in Loop: Header=BB329_2079 Depth=1
	s_or_b32 exec_lo, exec_lo, s21
	v_lshrrev_b16 v2, 8, v15
	s_mov_b32 s21, exec_lo
	v_cmpx_ne_u16_e32 0, v2
	s_cbranch_execz .LBB329_3547
; %bb.3540:                             ;   in Loop: Header=BB329_2079 Depth=1
	v_bfrev_b32_e32 v82, 1
	s_mov_b32 s25, exec_lo
	v_cmpx_ne_u16_e32 0x80, v2
	s_cbranch_execz .LBB329_3546
; %bb.3541:                             ;   in Loop: Header=BB329_2079 Depth=1
	v_and_b32_sdwa v63, v2, v97 dst_sel:DWORD dst_unused:UNUSED_PAD src0_sel:WORD_0 src1_sel:DWORD
	v_mov_b32_e32 v82, 0x7c010000
	s_mov_b32 s26, exec_lo
	v_cmpx_ne_u32_e32 0x7f, v63
	s_cbranch_execz .LBB329_3545
; %bb.3542:                             ;   in Loop: Header=BB329_2079 Depth=1
	v_and_b32_sdwa v82, v2, v64 dst_sel:DWORD dst_unused:UNUSED_PAD src0_sel:WORD_0 src1_sel:DWORD
	v_lshrrev_b32_e32 v62, 3, v63
	s_mov_b32 s27, exec_lo
	v_cmpx_gt_u32_e32 8, v63
; %bb.3543:                             ;   in Loop: Header=BB329_2079 Depth=1
	v_ffbh_u32_e32 v82, v82
	v_min_u32_e32 v82, 32, v82
	v_subrev_nc_u32_e32 v62, 28, v82
	v_lshlrev_b64 v[92:93], v62, v[2:3]
	v_sub_nc_u32_e32 v62, 29, v82
	v_and_b32_e32 v82, 7, v92
; %bb.3544:                             ;   in Loop: Header=BB329_2079 Depth=1
	s_or_b32 exec_lo, exec_lo, s27
	v_lshlrev_b32_sdwa v2, v61, v2 dst_sel:DWORD dst_unused:UNUSED_PAD src0_sel:DWORD src1_sel:WORD_0
	v_lshl_add_u32 v62, v62, 10, 0x2000
	v_lshlrev_b32_e32 v82, 23, v82
	v_and_or_b32 v2, 0x8000, v2, v62
	v_lshl_or_b32 v82, v2, 16, v82
.LBB329_3545:                           ;   in Loop: Header=BB329_2079 Depth=1
	s_or_b32 exec_lo, exec_lo, s26
.LBB329_3546:                           ;   in Loop: Header=BB329_2079 Depth=1
	s_or_b32 exec_lo, exec_lo, s25
.LBB329_3547:                           ;   in Loop: Header=BB329_2079 Depth=1
	s_or_b32 exec_lo, exec_lo, s21
	v_lshrrev_b32_e32 v2, 16, v15
	v_mov_b32_e32 v92, 0
	v_mov_b32_e32 v93, 0
	v_cmp_ne_u16_sdwa s12, v2, v3 src0_sel:BYTE_0 src1_sel:DWORD
	s_and_saveexec_b32 s21, s12
	s_cbranch_execz .LBB329_3555
; %bb.3548:                             ;   in Loop: Header=BB329_2079 Depth=1
	v_cmp_ne_u16_sdwa s12, v2, v96 src0_sel:BYTE_0 src1_sel:DWORD
	v_mov_b32_e32 v93, 0x8000
	s_and_saveexec_b32 s25, s12
	s_cbranch_execz .LBB329_3554
; %bb.3549:                             ;   in Loop: Header=BB329_2079 Depth=1
	v_bfe_u32 v104, v15, 16, 7
	v_mov_b32_e32 v93, 0x7c01
	s_mov_b32 s26, exec_lo
	v_cmpx_ne_u32_e32 0x7f, v104
	s_cbranch_execz .LBB329_3553
; %bb.3550:                             ;   in Loop: Header=BB329_2079 Depth=1
	v_and_b32_e32 v62, 7, v2
	v_lshrrev_b32_e32 v63, 3, v104
	s_mov_b32 s27, exec_lo
	v_cmpx_gt_u32_e32 8, v104
; %bb.3551:                             ;   in Loop: Header=BB329_2079 Depth=1
	v_ffbh_u32_e32 v62, v62
	v_min_u32_e32 v93, 32, v62
	v_subrev_nc_u32_e32 v62, 28, v93
	v_lshlrev_b64 v[62:63], v62, v[2:3]
	v_sub_nc_u32_e32 v63, 29, v93
	v_and_b32_e32 v62, 7, v62
; %bb.3552:                             ;   in Loop: Header=BB329_2079 Depth=1
	s_or_b32 exec_lo, exec_lo, s27
	v_lshlrev_b32_e32 v2, 8, v2
	v_lshl_add_u32 v63, v63, 10, 0x2000
	v_lshlrev_b32_e32 v62, 7, v62
	v_and_b32_e32 v2, 0x8000, v2
	v_and_b32_e32 v63, 0xfc00, v63
	v_or3_b32 v93, v2, v63, v62
.LBB329_3553:                           ;   in Loop: Header=BB329_2079 Depth=1
	s_or_b32 exec_lo, exec_lo, s26
.LBB329_3554:                           ;   in Loop: Header=BB329_2079 Depth=1
	s_or_b32 exec_lo, exec_lo, s25
.LBB329_3555:                           ;   in Loop: Header=BB329_2079 Depth=1
	s_or_b32 exec_lo, exec_lo, s21
	s_mov_b32 s21, exec_lo
	v_cmpx_lt_u32_e32 0xffffff, v15
	s_cbranch_execz .LBB329_3563
; %bb.3556:                             ;   in Loop: Header=BB329_2079 Depth=1
	v_lshrrev_b32_e32 v2, 24, v15
	v_bfrev_b32_e32 v92, 1
	s_mov_b32 s25, exec_lo
	v_cmpx_ne_u32_e32 0x80, v2
	s_cbranch_execz .LBB329_3562
; %bb.3557:                             ;   in Loop: Header=BB329_2079 Depth=1
	v_and_b32_e32 v104, 0x7f, v2
	v_mov_b32_e32 v92, 0x7c010000
	s_mov_b32 s26, exec_lo
	v_cmpx_ne_u32_e32 0x7f, v104
	s_cbranch_execz .LBB329_3561
; %bb.3558:                             ;   in Loop: Header=BB329_2079 Depth=1
	v_and_b32_e32 v62, 7, v2
	v_lshrrev_b32_e32 v63, 3, v104
	s_mov_b32 s27, exec_lo
	v_cmpx_gt_u32_e32 8, v104
; %bb.3559:                             ;   in Loop: Header=BB329_2079 Depth=1
	v_ffbh_u32_e32 v62, v62
	v_min_u32_e32 v92, 32, v62
	v_subrev_nc_u32_e32 v62, 28, v92
	v_lshlrev_b64 v[62:63], v62, v[2:3]
	v_sub_nc_u32_e32 v63, 29, v92
	v_and_b32_e32 v62, 7, v62
; %bb.3560:                             ;   in Loop: Header=BB329_2079 Depth=1
	s_or_b32 exec_lo, exec_lo, s27
	v_lshlrev_b32_e32 v2, 8, v2
	v_lshl_add_u32 v63, v63, 10, 0x2000
	v_lshlrev_b32_e32 v62, 23, v62
	v_and_or_b32 v2, 0x8000, v2, v63
	v_lshl_or_b32 v92, v2, 16, v62
.LBB329_3561:                           ;   in Loop: Header=BB329_2079 Depth=1
	s_or_b32 exec_lo, exec_lo, s26
.LBB329_3562:                           ;   in Loop: Header=BB329_2079 Depth=1
	s_or_b32 exec_lo, exec_lo, s25
.LBB329_3563:                           ;   in Loop: Header=BB329_2079 Depth=1
	s_or_b32 exec_lo, exec_lo, s21
	v_mov_b32_e32 v2, v16
	v_cmp_ne_u16_sdwa s12, v16, v3 src0_sel:BYTE_0 src1_sel:DWORD
	v_mov_b32_e32 v62, 0
	v_mov_b32_e32 v63, 0
	s_and_saveexec_b32 s21, s12
	s_cbranch_execz .LBB329_3571
; %bb.3564:                             ;   in Loop: Header=BB329_2079 Depth=1
	v_cmp_ne_u16_sdwa s12, v16, v96 src0_sel:BYTE_0 src1_sel:DWORD
	v_mov_b32_e32 v63, 0x8000
	s_and_saveexec_b32 s25, s12
	s_cbranch_execz .LBB329_3570
; %bb.3565:                             ;   in Loop: Header=BB329_2079 Depth=1
	v_and_b32_e32 v105, 0x7f, v16
	v_mov_b32_e32 v63, 0x7c01
	s_mov_b32 s26, exec_lo
	v_cmpx_ne_u32_e32 0x7f, v105
	s_cbranch_execz .LBB329_3569
; %bb.3566:                             ;   in Loop: Header=BB329_2079 Depth=1
	v_and_b32_e32 v63, 7, v16
	v_lshrrev_b32_e32 v104, 3, v105
	s_mov_b32 s27, exec_lo
	v_cmpx_gt_u32_e32 8, v105
; %bb.3567:                             ;   in Loop: Header=BB329_2079 Depth=1
	v_ffbh_u32_e32 v63, v63
	v_min_u32_e32 v63, 32, v63
	v_subrev_nc_u32_e32 v104, 28, v63
	v_lshlrev_b64 v[105:106], v104, v[2:3]
	v_sub_nc_u32_e32 v104, 29, v63
	v_and_b32_e32 v63, 7, v105
; %bb.3568:                             ;   in Loop: Header=BB329_2079 Depth=1
	s_or_b32 exec_lo, exec_lo, s27
	v_lshlrev_b32_e32 v105, 8, v16
	v_lshl_add_u32 v104, v104, 10, 0x2000
	v_lshlrev_b32_e32 v63, 7, v63
	v_and_b32_e32 v105, 0x8000, v105
	v_and_b32_e32 v104, 0xfc00, v104
	v_or3_b32 v63, v105, v104, v63
.LBB329_3569:                           ;   in Loop: Header=BB329_2079 Depth=1
	s_or_b32 exec_lo, exec_lo, s26
.LBB329_3570:                           ;   in Loop: Header=BB329_2079 Depth=1
	s_or_b32 exec_lo, exec_lo, s25
.LBB329_3571:                           ;   in Loop: Header=BB329_2079 Depth=1
	s_or_b32 exec_lo, exec_lo, s21
	v_lshrrev_b16 v2, 8, v2
	v_mov_b32_e32 v104, 0
	s_mov_b32 s21, exec_lo
	v_cmpx_ne_u16_e32 0, v2
	s_cbranch_execz .LBB329_3579
; %bb.3572:                             ;   in Loop: Header=BB329_2079 Depth=1
	v_bfrev_b32_e32 v104, 1
	s_mov_b32 s25, exec_lo
	v_cmpx_ne_u16_e32 0x80, v2
	s_cbranch_execz .LBB329_3578
; %bb.3573:                             ;   in Loop: Header=BB329_2079 Depth=1
	v_and_b32_sdwa v106, v2, v97 dst_sel:DWORD dst_unused:UNUSED_PAD src0_sel:WORD_0 src1_sel:DWORD
	v_mov_b32_e32 v104, 0x7c010000
	s_mov_b32 s26, exec_lo
	v_cmpx_ne_u32_e32 0x7f, v106
	s_cbranch_execz .LBB329_3577
; %bb.3574:                             ;   in Loop: Header=BB329_2079 Depth=1
	v_and_b32_sdwa v104, v2, v64 dst_sel:DWORD dst_unused:UNUSED_PAD src0_sel:WORD_0 src1_sel:DWORD
	v_lshrrev_b32_e32 v105, 3, v106
	s_mov_b32 s27, exec_lo
	v_cmpx_gt_u32_e32 8, v106
; %bb.3575:                             ;   in Loop: Header=BB329_2079 Depth=1
	v_ffbh_u32_e32 v104, v104
	v_min_u32_e32 v106, 32, v104
	v_subrev_nc_u32_e32 v104, 28, v106
	v_lshlrev_b64 v[104:105], v104, v[2:3]
	v_sub_nc_u32_e32 v105, 29, v106
	v_and_b32_e32 v104, 7, v104
; %bb.3576:                             ;   in Loop: Header=BB329_2079 Depth=1
	s_or_b32 exec_lo, exec_lo, s27
	v_lshlrev_b32_sdwa v2, v61, v2 dst_sel:DWORD dst_unused:UNUSED_PAD src0_sel:DWORD src1_sel:WORD_0
	v_lshl_add_u32 v105, v105, 10, 0x2000
	v_lshlrev_b32_e32 v104, 23, v104
	v_and_or_b32 v2, 0x8000, v2, v105
	v_lshl_or_b32 v104, v2, 16, v104
.LBB329_3577:                           ;   in Loop: Header=BB329_2079 Depth=1
	s_or_b32 exec_lo, exec_lo, s26
.LBB329_3578:                           ;   in Loop: Header=BB329_2079 Depth=1
	s_or_b32 exec_lo, exec_lo, s25
.LBB329_3579:                           ;   in Loop: Header=BB329_2079 Depth=1
	s_or_b32 exec_lo, exec_lo, s21
	v_lshrrev_b32_e32 v2, 16, v16
	v_cmp_ne_u16_sdwa s12, v2, v3 src0_sel:BYTE_0 src1_sel:DWORD
	s_and_saveexec_b32 s21, s12
	s_cbranch_execz .LBB329_3587
; %bb.3580:                             ;   in Loop: Header=BB329_2079 Depth=1
	v_cmp_ne_u16_sdwa s12, v2, v96 src0_sel:BYTE_0 src1_sel:DWORD
	v_mov_b32_e32 v62, 0x8000
	s_and_saveexec_b32 s25, s12
	s_cbranch_execz .LBB329_3586
; %bb.3581:                             ;   in Loop: Header=BB329_2079 Depth=1
	v_bfe_u32 v106, v16, 16, 7
	v_mov_b32_e32 v62, 0x7c01
	s_mov_b32 s26, exec_lo
	v_cmpx_ne_u32_e32 0x7f, v106
	s_cbranch_execz .LBB329_3585
; %bb.3582:                             ;   in Loop: Header=BB329_2079 Depth=1
	v_and_b32_e32 v62, 7, v2
	v_lshrrev_b32_e32 v105, 3, v106
	s_mov_b32 s27, exec_lo
	v_cmpx_gt_u32_e32 8, v106
; %bb.3583:                             ;   in Loop: Header=BB329_2079 Depth=1
	v_ffbh_u32_e32 v62, v62
	v_min_u32_e32 v62, 32, v62
	v_subrev_nc_u32_e32 v105, 28, v62
	v_lshlrev_b64 v[106:107], v105, v[2:3]
	v_sub_nc_u32_e32 v105, 29, v62
	v_and_b32_e32 v62, 7, v106
; %bb.3584:                             ;   in Loop: Header=BB329_2079 Depth=1
	s_or_b32 exec_lo, exec_lo, s27
	v_lshlrev_b32_e32 v2, 8, v2
	v_lshl_add_u32 v105, v105, 10, 0x2000
	v_lshlrev_b32_e32 v62, 7, v62
	v_and_b32_e32 v2, 0x8000, v2
	v_and_b32_e32 v105, 0xfc00, v105
	v_or3_b32 v62, v2, v105, v62
.LBB329_3585:                           ;   in Loop: Header=BB329_2079 Depth=1
	s_or_b32 exec_lo, exec_lo, s26
.LBB329_3586:                           ;   in Loop: Header=BB329_2079 Depth=1
	s_or_b32 exec_lo, exec_lo, s25
.LBB329_3587:                           ;   in Loop: Header=BB329_2079 Depth=1
	s_or_b32 exec_lo, exec_lo, s21
	v_cmp_lt_u64_e64 s12, s[22:23], v[15:16]
	v_mov_b32_e32 v15, 0
	s_and_saveexec_b32 s21, s12
	s_cbranch_execz .LBB329_3595
; %bb.3588:                             ;   in Loop: Header=BB329_2079 Depth=1
	v_lshrrev_b32_e32 v2, 24, v16
	v_bfrev_b32_e32 v15, 1
	s_mov_b32 s25, exec_lo
	v_cmpx_ne_u32_e32 0x80, v2
	s_cbranch_execz .LBB329_3594
; %bb.3589:                             ;   in Loop: Header=BB329_2079 Depth=1
	v_and_b32_e32 v105, 0x7f, v2
	v_mov_b32_e32 v15, 0x7c010000
	s_mov_b32 s26, exec_lo
	v_cmpx_ne_u32_e32 0x7f, v105
	s_cbranch_execz .LBB329_3593
; %bb.3590:                             ;   in Loop: Header=BB329_2079 Depth=1
	v_and_b32_e32 v15, 7, v2
	v_lshrrev_b32_e32 v16, 3, v105
	s_mov_b32 s27, exec_lo
	v_cmpx_gt_u32_e32 8, v105
; %bb.3591:                             ;   in Loop: Header=BB329_2079 Depth=1
	v_ffbh_u32_e32 v15, v15
	v_min_u32_e32 v105, 32, v15
	v_subrev_nc_u32_e32 v15, 28, v105
	v_lshlrev_b64 v[15:16], v15, v[2:3]
	v_sub_nc_u32_e32 v16, 29, v105
	v_and_b32_e32 v15, 7, v15
; %bb.3592:                             ;   in Loop: Header=BB329_2079 Depth=1
	s_or_b32 exec_lo, exec_lo, s27
	v_lshlrev_b32_e32 v2, 8, v2
	v_lshl_add_u32 v16, v16, 10, 0x2000
	v_lshlrev_b32_e32 v15, 23, v15
	v_and_or_b32 v2, 0x8000, v2, v16
	v_lshl_or_b32 v15, v2, 16, v15
.LBB329_3593:                           ;   in Loop: Header=BB329_2079 Depth=1
	s_or_b32 exec_lo, exec_lo, s26
.LBB329_3594:                           ;   in Loop: Header=BB329_2079 Depth=1
	s_or_b32 exec_lo, exec_lo, s25
.LBB329_3595:                           ;   in Loop: Header=BB329_2079 Depth=1
	s_or_b32 exec_lo, exec_lo, s21
	v_or_b32_e32 v2, v92, v93
	s_waitcnt vmcnt(0) lgkmcnt(0)
	v_fma_mixlo_f16 v16, v81, v92, 0 op_sel:[0,1,0] op_sel_hi:[0,1,0]
	v_or_b32_e32 v91, v82, v91
	v_or_b32_e32 v63, v104, v63
	;; [unrolled: 1-line block ×3, first 2 shown]
	v_fma_mixlo_f16 v92, v81, v2, 0 op_sel_hi:[0,1,0]
	v_fma_mixlo_f16 v82, v81, v82, 0 op_sel:[0,1,0] op_sel_hi:[0,1,0]
	v_lshlrev_b32_e32 v2, 16, v16
	v_fma_mixlo_f16 v91, v81, v91, 0 op_sel_hi:[0,1,0]
	v_fma_mixlo_f16 v63, v81, v63, 0 op_sel_hi:[0,1,0]
	v_and_b32_e32 v16, 0xffff, v92
	v_fma_mixlo_f16 v92, v81, v104, 0 op_sel:[0,1,0] op_sel_hi:[0,1,0]
	v_fma_mixlo_f16 v15, v81, v15, 0 op_sel:[0,1,0] op_sel_hi:[0,1,0]
	v_fma_mixlo_f16 v81, v81, v62, 0 op_sel_hi:[0,1,0]
	v_lshlrev_b32_e32 v82, 16, v82
	v_and_b32_e32 v105, 0xffff, v91
	v_lshlrev_b32_e32 v92, 16, v92
	v_and_b32_e32 v104, 0xffff, v63
	;; [unrolled: 2-line block ×3, first 2 shown]
	v_or_b32_e32 v15, v2, v16
	v_or_b32_e32 v63, v82, v105
	;; [unrolled: 1-line block ×4, first 2 shown]
	s_and_saveexec_b32 s12, s6
	s_cbranch_execz .LBB329_3597
; %bb.3596:                             ;   in Loop: Header=BB329_2079 Depth=1
	v_cndmask_b32_e32 v15, 0, v105, vcc_lo
	v_cndmask_b32_e64 v81, 0, v82, s5
	v_cndmask_b32_e64 v16, 0, v16, s4
	;; [unrolled: 1-line block ×7, first 2 shown]
	v_or_b32_e32 v63, v15, v81
	v_or_b32_e32 v15, v16, v2
	v_or_b32_e32 v62, v82, v62
	v_or_b32_e32 v81, v92, v91
.LBB329_3597:                           ;   in Loop: Header=BB329_2079 Depth=1
	s_or_b32 exec_lo, exec_lo, s12
	;;#ASMSTART
	v_pk_mul_f16 v2, v103, v63;

	;;#ASMEND
	;;#ASMSTART
	v_pk_mul_f16 v15, v102, v15;

	;;#ASMEND
	;; [unrolled: 4-line block ×4, first 2 shown]
	;;#ASMSTART
	v_pk_add_f16 v2, v2, v15;

	;;#ASMEND
	;;#ASMSTART
	v_pk_add_f16 v2, v2, v16;

	;;#ASMEND
	;; [unrolled: 4-line block ×3, first 2 shown]
	v_and_b32_e32 v15, 0xffff, v2
	v_lshrrev_b32_e32 v2, 16, v2
	;;#ASMSTART
	v_cvt_f32_f16 v15, v15;
	;;#ASMEND
	;;#ASMSTART
	v_cvt_f32_f16 v16, v2;
	;;#ASMEND
	flat_load_dwordx2 v[13:14], v[13:14] offset:1792
	s_clause 0x1
	buffer_load_dword v81, off, s[0:3], s32 offset:192
	buffer_load_dword v82, off, s[0:3], s32 offset:196
	v_mov_b32_e32 v91, 0
	s_waitcnt vmcnt(2) lgkmcnt(0)
	v_cmp_ne_u16_sdwa s12, v13, v3 src0_sel:BYTE_0 src1_sel:DWORD
	s_waitcnt vmcnt(0)
	flat_load_dword v81, v[81:82]
	v_mov_b32_e32 v82, 0
	s_and_saveexec_b32 s21, s12
	s_cbranch_execz .LBB329_3605
; %bb.3598:                             ;   in Loop: Header=BB329_2079 Depth=1
	v_cmp_ne_u16_sdwa s12, v13, v96 src0_sel:BYTE_0 src1_sel:DWORD
	v_mov_b32_e32 v91, 0x8000
	s_and_saveexec_b32 s25, s12
	s_cbranch_execz .LBB329_3604
; %bb.3599:                             ;   in Loop: Header=BB329_2079 Depth=1
	v_and_b32_e32 v63, 0x7f, v13
	v_mov_b32_e32 v91, 0x7c01
	s_mov_b32 s26, exec_lo
	v_cmpx_ne_u32_e32 0x7f, v63
	s_cbranch_execz .LBB329_3603
; %bb.3600:                             ;   in Loop: Header=BB329_2079 Depth=1
	v_and_b32_e32 v2, 7, v13
	v_lshrrev_b32_e32 v62, 3, v63
	s_mov_b32 s27, exec_lo
	v_cmpx_gt_u32_e32 8, v63
; %bb.3601:                             ;   in Loop: Header=BB329_2079 Depth=1
	v_ffbh_u32_e32 v2, v2
	v_min_u32_e32 v2, 32, v2
	v_subrev_nc_u32_e32 v62, 28, v2
	v_lshlrev_b64 v[91:92], v62, v[13:14]
	v_sub_nc_u32_e32 v62, 29, v2
	v_and_b32_e32 v2, 7, v91
; %bb.3602:                             ;   in Loop: Header=BB329_2079 Depth=1
	s_or_b32 exec_lo, exec_lo, s27
	v_lshlrev_b32_e32 v63, 8, v13
	v_lshl_add_u32 v62, v62, 10, 0x2000
	v_lshlrev_b32_e32 v2, 7, v2
	v_and_b32_e32 v63, 0x8000, v63
	v_and_b32_e32 v62, 0xfc00, v62
	v_or3_b32 v91, v63, v62, v2
.LBB329_3603:                           ;   in Loop: Header=BB329_2079 Depth=1
	s_or_b32 exec_lo, exec_lo, s26
.LBB329_3604:                           ;   in Loop: Header=BB329_2079 Depth=1
	s_or_b32 exec_lo, exec_lo, s25
.LBB329_3605:                           ;   in Loop: Header=BB329_2079 Depth=1
	s_or_b32 exec_lo, exec_lo, s21
	v_lshrrev_b16 v2, 8, v13
	s_mov_b32 s21, exec_lo
	v_cmpx_ne_u16_e32 0, v2
	s_cbranch_execz .LBB329_3613
; %bb.3606:                             ;   in Loop: Header=BB329_2079 Depth=1
	v_bfrev_b32_e32 v82, 1
	s_mov_b32 s25, exec_lo
	v_cmpx_ne_u16_e32 0x80, v2
	s_cbranch_execz .LBB329_3612
; %bb.3607:                             ;   in Loop: Header=BB329_2079 Depth=1
	v_and_b32_sdwa v63, v2, v97 dst_sel:DWORD dst_unused:UNUSED_PAD src0_sel:WORD_0 src1_sel:DWORD
	v_mov_b32_e32 v82, 0x7c010000
	s_mov_b32 s26, exec_lo
	v_cmpx_ne_u32_e32 0x7f, v63
	s_cbranch_execz .LBB329_3611
; %bb.3608:                             ;   in Loop: Header=BB329_2079 Depth=1
	v_and_b32_sdwa v82, v2, v64 dst_sel:DWORD dst_unused:UNUSED_PAD src0_sel:WORD_0 src1_sel:DWORD
	v_lshrrev_b32_e32 v62, 3, v63
	s_mov_b32 s27, exec_lo
	v_cmpx_gt_u32_e32 8, v63
; %bb.3609:                             ;   in Loop: Header=BB329_2079 Depth=1
	v_ffbh_u32_e32 v82, v82
	v_min_u32_e32 v82, 32, v82
	v_subrev_nc_u32_e32 v62, 28, v82
	v_lshlrev_b64 v[92:93], v62, v[2:3]
	v_sub_nc_u32_e32 v62, 29, v82
	v_and_b32_e32 v82, 7, v92
; %bb.3610:                             ;   in Loop: Header=BB329_2079 Depth=1
	s_or_b32 exec_lo, exec_lo, s27
	v_lshlrev_b32_sdwa v2, v61, v2 dst_sel:DWORD dst_unused:UNUSED_PAD src0_sel:DWORD src1_sel:WORD_0
	v_lshl_add_u32 v62, v62, 10, 0x2000
	v_lshlrev_b32_e32 v82, 23, v82
	v_and_or_b32 v2, 0x8000, v2, v62
	v_lshl_or_b32 v82, v2, 16, v82
.LBB329_3611:                           ;   in Loop: Header=BB329_2079 Depth=1
	s_or_b32 exec_lo, exec_lo, s26
.LBB329_3612:                           ;   in Loop: Header=BB329_2079 Depth=1
	s_or_b32 exec_lo, exec_lo, s25
.LBB329_3613:                           ;   in Loop: Header=BB329_2079 Depth=1
	s_or_b32 exec_lo, exec_lo, s21
	v_lshrrev_b32_e32 v2, 16, v13
	v_mov_b32_e32 v92, 0
	v_mov_b32_e32 v93, 0
	v_cmp_ne_u16_sdwa s12, v2, v3 src0_sel:BYTE_0 src1_sel:DWORD
	s_and_saveexec_b32 s21, s12
	s_cbranch_execz .LBB329_3621
; %bb.3614:                             ;   in Loop: Header=BB329_2079 Depth=1
	v_cmp_ne_u16_sdwa s12, v2, v96 src0_sel:BYTE_0 src1_sel:DWORD
	v_mov_b32_e32 v93, 0x8000
	s_and_saveexec_b32 s25, s12
	s_cbranch_execz .LBB329_3620
; %bb.3615:                             ;   in Loop: Header=BB329_2079 Depth=1
	v_bfe_u32 v104, v13, 16, 7
	v_mov_b32_e32 v93, 0x7c01
	s_mov_b32 s26, exec_lo
	v_cmpx_ne_u32_e32 0x7f, v104
	s_cbranch_execz .LBB329_3619
; %bb.3616:                             ;   in Loop: Header=BB329_2079 Depth=1
	v_and_b32_e32 v62, 7, v2
	v_lshrrev_b32_e32 v63, 3, v104
	s_mov_b32 s27, exec_lo
	v_cmpx_gt_u32_e32 8, v104
; %bb.3617:                             ;   in Loop: Header=BB329_2079 Depth=1
	v_ffbh_u32_e32 v62, v62
	v_min_u32_e32 v93, 32, v62
	v_subrev_nc_u32_e32 v62, 28, v93
	v_lshlrev_b64 v[62:63], v62, v[2:3]
	v_sub_nc_u32_e32 v63, 29, v93
	v_and_b32_e32 v62, 7, v62
; %bb.3618:                             ;   in Loop: Header=BB329_2079 Depth=1
	s_or_b32 exec_lo, exec_lo, s27
	v_lshlrev_b32_e32 v2, 8, v2
	v_lshl_add_u32 v63, v63, 10, 0x2000
	v_lshlrev_b32_e32 v62, 7, v62
	v_and_b32_e32 v2, 0x8000, v2
	v_and_b32_e32 v63, 0xfc00, v63
	v_or3_b32 v93, v2, v63, v62
.LBB329_3619:                           ;   in Loop: Header=BB329_2079 Depth=1
	s_or_b32 exec_lo, exec_lo, s26
.LBB329_3620:                           ;   in Loop: Header=BB329_2079 Depth=1
	s_or_b32 exec_lo, exec_lo, s25
.LBB329_3621:                           ;   in Loop: Header=BB329_2079 Depth=1
	s_or_b32 exec_lo, exec_lo, s21
	s_mov_b32 s21, exec_lo
	v_cmpx_lt_u32_e32 0xffffff, v13
	s_cbranch_execz .LBB329_3629
; %bb.3622:                             ;   in Loop: Header=BB329_2079 Depth=1
	v_lshrrev_b32_e32 v2, 24, v13
	v_bfrev_b32_e32 v92, 1
	s_mov_b32 s25, exec_lo
	v_cmpx_ne_u32_e32 0x80, v2
	s_cbranch_execz .LBB329_3628
; %bb.3623:                             ;   in Loop: Header=BB329_2079 Depth=1
	v_and_b32_e32 v104, 0x7f, v2
	v_mov_b32_e32 v92, 0x7c010000
	s_mov_b32 s26, exec_lo
	v_cmpx_ne_u32_e32 0x7f, v104
	s_cbranch_execz .LBB329_3627
; %bb.3624:                             ;   in Loop: Header=BB329_2079 Depth=1
	v_and_b32_e32 v62, 7, v2
	v_lshrrev_b32_e32 v63, 3, v104
	s_mov_b32 s27, exec_lo
	v_cmpx_gt_u32_e32 8, v104
; %bb.3625:                             ;   in Loop: Header=BB329_2079 Depth=1
	v_ffbh_u32_e32 v62, v62
	v_min_u32_e32 v92, 32, v62
	v_subrev_nc_u32_e32 v62, 28, v92
	v_lshlrev_b64 v[62:63], v62, v[2:3]
	v_sub_nc_u32_e32 v63, 29, v92
	v_and_b32_e32 v62, 7, v62
; %bb.3626:                             ;   in Loop: Header=BB329_2079 Depth=1
	s_or_b32 exec_lo, exec_lo, s27
	v_lshlrev_b32_e32 v2, 8, v2
	v_lshl_add_u32 v63, v63, 10, 0x2000
	v_lshlrev_b32_e32 v62, 23, v62
	v_and_or_b32 v2, 0x8000, v2, v63
	v_lshl_or_b32 v92, v2, 16, v62
.LBB329_3627:                           ;   in Loop: Header=BB329_2079 Depth=1
	s_or_b32 exec_lo, exec_lo, s26
.LBB329_3628:                           ;   in Loop: Header=BB329_2079 Depth=1
	s_or_b32 exec_lo, exec_lo, s25
.LBB329_3629:                           ;   in Loop: Header=BB329_2079 Depth=1
	s_or_b32 exec_lo, exec_lo, s21
	v_mov_b32_e32 v2, v14
	v_cmp_ne_u16_sdwa s12, v14, v3 src0_sel:BYTE_0 src1_sel:DWORD
	v_mov_b32_e32 v62, 0
	v_mov_b32_e32 v63, 0
	s_and_saveexec_b32 s21, s12
	s_cbranch_execz .LBB329_3637
; %bb.3630:                             ;   in Loop: Header=BB329_2079 Depth=1
	v_cmp_ne_u16_sdwa s12, v14, v96 src0_sel:BYTE_0 src1_sel:DWORD
	v_mov_b32_e32 v63, 0x8000
	s_and_saveexec_b32 s25, s12
	s_cbranch_execz .LBB329_3636
; %bb.3631:                             ;   in Loop: Header=BB329_2079 Depth=1
	v_and_b32_e32 v105, 0x7f, v14
	v_mov_b32_e32 v63, 0x7c01
	s_mov_b32 s26, exec_lo
	v_cmpx_ne_u32_e32 0x7f, v105
	s_cbranch_execz .LBB329_3635
; %bb.3632:                             ;   in Loop: Header=BB329_2079 Depth=1
	v_and_b32_e32 v63, 7, v14
	v_lshrrev_b32_e32 v104, 3, v105
	s_mov_b32 s27, exec_lo
	v_cmpx_gt_u32_e32 8, v105
; %bb.3633:                             ;   in Loop: Header=BB329_2079 Depth=1
	v_ffbh_u32_e32 v63, v63
	v_min_u32_e32 v63, 32, v63
	v_subrev_nc_u32_e32 v104, 28, v63
	v_lshlrev_b64 v[105:106], v104, v[2:3]
	v_sub_nc_u32_e32 v104, 29, v63
	v_and_b32_e32 v63, 7, v105
; %bb.3634:                             ;   in Loop: Header=BB329_2079 Depth=1
	s_or_b32 exec_lo, exec_lo, s27
	v_lshlrev_b32_e32 v105, 8, v14
	v_lshl_add_u32 v104, v104, 10, 0x2000
	v_lshlrev_b32_e32 v63, 7, v63
	v_and_b32_e32 v105, 0x8000, v105
	v_and_b32_e32 v104, 0xfc00, v104
	v_or3_b32 v63, v105, v104, v63
.LBB329_3635:                           ;   in Loop: Header=BB329_2079 Depth=1
	s_or_b32 exec_lo, exec_lo, s26
.LBB329_3636:                           ;   in Loop: Header=BB329_2079 Depth=1
	s_or_b32 exec_lo, exec_lo, s25
.LBB329_3637:                           ;   in Loop: Header=BB329_2079 Depth=1
	s_or_b32 exec_lo, exec_lo, s21
	v_lshrrev_b16 v2, 8, v2
	v_mov_b32_e32 v104, 0
	s_mov_b32 s21, exec_lo
	v_cmpx_ne_u16_e32 0, v2
	s_cbranch_execz .LBB329_3645
; %bb.3638:                             ;   in Loop: Header=BB329_2079 Depth=1
	v_bfrev_b32_e32 v104, 1
	s_mov_b32 s25, exec_lo
	v_cmpx_ne_u16_e32 0x80, v2
	s_cbranch_execz .LBB329_3644
; %bb.3639:                             ;   in Loop: Header=BB329_2079 Depth=1
	v_and_b32_sdwa v106, v2, v97 dst_sel:DWORD dst_unused:UNUSED_PAD src0_sel:WORD_0 src1_sel:DWORD
	v_mov_b32_e32 v104, 0x7c010000
	s_mov_b32 s26, exec_lo
	v_cmpx_ne_u32_e32 0x7f, v106
	s_cbranch_execz .LBB329_3643
; %bb.3640:                             ;   in Loop: Header=BB329_2079 Depth=1
	v_and_b32_sdwa v104, v2, v64 dst_sel:DWORD dst_unused:UNUSED_PAD src0_sel:WORD_0 src1_sel:DWORD
	v_lshrrev_b32_e32 v105, 3, v106
	s_mov_b32 s27, exec_lo
	v_cmpx_gt_u32_e32 8, v106
; %bb.3641:                             ;   in Loop: Header=BB329_2079 Depth=1
	v_ffbh_u32_e32 v104, v104
	v_min_u32_e32 v106, 32, v104
	v_subrev_nc_u32_e32 v104, 28, v106
	v_lshlrev_b64 v[104:105], v104, v[2:3]
	v_sub_nc_u32_e32 v105, 29, v106
	v_and_b32_e32 v104, 7, v104
; %bb.3642:                             ;   in Loop: Header=BB329_2079 Depth=1
	s_or_b32 exec_lo, exec_lo, s27
	v_lshlrev_b32_sdwa v2, v61, v2 dst_sel:DWORD dst_unused:UNUSED_PAD src0_sel:DWORD src1_sel:WORD_0
	v_lshl_add_u32 v105, v105, 10, 0x2000
	v_lshlrev_b32_e32 v104, 23, v104
	v_and_or_b32 v2, 0x8000, v2, v105
	v_lshl_or_b32 v104, v2, 16, v104
.LBB329_3643:                           ;   in Loop: Header=BB329_2079 Depth=1
	s_or_b32 exec_lo, exec_lo, s26
.LBB329_3644:                           ;   in Loop: Header=BB329_2079 Depth=1
	s_or_b32 exec_lo, exec_lo, s25
.LBB329_3645:                           ;   in Loop: Header=BB329_2079 Depth=1
	s_or_b32 exec_lo, exec_lo, s21
	v_lshrrev_b32_e32 v2, 16, v14
	v_cmp_ne_u16_sdwa s12, v2, v3 src0_sel:BYTE_0 src1_sel:DWORD
	s_and_saveexec_b32 s21, s12
	s_cbranch_execz .LBB329_3653
; %bb.3646:                             ;   in Loop: Header=BB329_2079 Depth=1
	v_cmp_ne_u16_sdwa s12, v2, v96 src0_sel:BYTE_0 src1_sel:DWORD
	v_mov_b32_e32 v62, 0x8000
	s_and_saveexec_b32 s25, s12
	s_cbranch_execz .LBB329_3652
; %bb.3647:                             ;   in Loop: Header=BB329_2079 Depth=1
	v_bfe_u32 v106, v14, 16, 7
	v_mov_b32_e32 v62, 0x7c01
	s_mov_b32 s26, exec_lo
	v_cmpx_ne_u32_e32 0x7f, v106
	s_cbranch_execz .LBB329_3651
; %bb.3648:                             ;   in Loop: Header=BB329_2079 Depth=1
	v_and_b32_e32 v62, 7, v2
	v_lshrrev_b32_e32 v105, 3, v106
	s_mov_b32 s27, exec_lo
	v_cmpx_gt_u32_e32 8, v106
; %bb.3649:                             ;   in Loop: Header=BB329_2079 Depth=1
	v_ffbh_u32_e32 v62, v62
	v_min_u32_e32 v62, 32, v62
	v_subrev_nc_u32_e32 v105, 28, v62
	v_lshlrev_b64 v[106:107], v105, v[2:3]
	v_sub_nc_u32_e32 v105, 29, v62
	v_and_b32_e32 v62, 7, v106
; %bb.3650:                             ;   in Loop: Header=BB329_2079 Depth=1
	s_or_b32 exec_lo, exec_lo, s27
	v_lshlrev_b32_e32 v2, 8, v2
	v_lshl_add_u32 v105, v105, 10, 0x2000
	v_lshlrev_b32_e32 v62, 7, v62
	v_and_b32_e32 v2, 0x8000, v2
	v_and_b32_e32 v105, 0xfc00, v105
	v_or3_b32 v62, v2, v105, v62
.LBB329_3651:                           ;   in Loop: Header=BB329_2079 Depth=1
	s_or_b32 exec_lo, exec_lo, s26
.LBB329_3652:                           ;   in Loop: Header=BB329_2079 Depth=1
	s_or_b32 exec_lo, exec_lo, s25
.LBB329_3653:                           ;   in Loop: Header=BB329_2079 Depth=1
	s_or_b32 exec_lo, exec_lo, s21
	v_cmp_lt_u64_e64 s12, s[22:23], v[13:14]
	v_mov_b32_e32 v13, 0
	s_and_saveexec_b32 s21, s12
	s_cbranch_execz .LBB329_3661
; %bb.3654:                             ;   in Loop: Header=BB329_2079 Depth=1
	v_lshrrev_b32_e32 v2, 24, v14
	v_bfrev_b32_e32 v13, 1
	s_mov_b32 s25, exec_lo
	v_cmpx_ne_u32_e32 0x80, v2
	s_cbranch_execz .LBB329_3660
; %bb.3655:                             ;   in Loop: Header=BB329_2079 Depth=1
	v_and_b32_e32 v105, 0x7f, v2
	v_mov_b32_e32 v13, 0x7c010000
	s_mov_b32 s26, exec_lo
	v_cmpx_ne_u32_e32 0x7f, v105
	s_cbranch_execz .LBB329_3659
; %bb.3656:                             ;   in Loop: Header=BB329_2079 Depth=1
	v_and_b32_e32 v13, 7, v2
	v_lshrrev_b32_e32 v14, 3, v105
	s_mov_b32 s27, exec_lo
	v_cmpx_gt_u32_e32 8, v105
; %bb.3657:                             ;   in Loop: Header=BB329_2079 Depth=1
	v_ffbh_u32_e32 v13, v13
	v_min_u32_e32 v105, 32, v13
	v_subrev_nc_u32_e32 v13, 28, v105
	v_lshlrev_b64 v[13:14], v13, v[2:3]
	v_sub_nc_u32_e32 v14, 29, v105
	v_and_b32_e32 v13, 7, v13
; %bb.3658:                             ;   in Loop: Header=BB329_2079 Depth=1
	s_or_b32 exec_lo, exec_lo, s27
	v_lshlrev_b32_e32 v2, 8, v2
	v_lshl_add_u32 v14, v14, 10, 0x2000
	v_lshlrev_b32_e32 v13, 23, v13
	v_and_or_b32 v2, 0x8000, v2, v14
	v_lshl_or_b32 v13, v2, 16, v13
.LBB329_3659:                           ;   in Loop: Header=BB329_2079 Depth=1
	s_or_b32 exec_lo, exec_lo, s26
.LBB329_3660:                           ;   in Loop: Header=BB329_2079 Depth=1
	s_or_b32 exec_lo, exec_lo, s25
.LBB329_3661:                           ;   in Loop: Header=BB329_2079 Depth=1
	s_or_b32 exec_lo, exec_lo, s21
	v_or_b32_e32 v2, v92, v93
	s_waitcnt vmcnt(0) lgkmcnt(0)
	v_fma_mixlo_f16 v14, v81, v92, 0 op_sel:[0,1,0] op_sel_hi:[0,1,0]
	v_or_b32_e32 v91, v82, v91
	v_or_b32_e32 v63, v104, v63
	;; [unrolled: 1-line block ×3, first 2 shown]
	v_fma_mixlo_f16 v92, v81, v2, 0 op_sel_hi:[0,1,0]
	v_fma_mixlo_f16 v82, v81, v82, 0 op_sel:[0,1,0] op_sel_hi:[0,1,0]
	v_lshlrev_b32_e32 v2, 16, v14
	v_fma_mixlo_f16 v91, v81, v91, 0 op_sel_hi:[0,1,0]
	v_fma_mixlo_f16 v63, v81, v63, 0 op_sel_hi:[0,1,0]
	v_and_b32_e32 v14, 0xffff, v92
	v_fma_mixlo_f16 v92, v81, v104, 0 op_sel:[0,1,0] op_sel_hi:[0,1,0]
	v_fma_mixlo_f16 v13, v81, v13, 0 op_sel:[0,1,0] op_sel_hi:[0,1,0]
	v_fma_mixlo_f16 v81, v81, v62, 0 op_sel_hi:[0,1,0]
	v_lshlrev_b32_e32 v82, 16, v82
	v_and_b32_e32 v105, 0xffff, v91
	v_lshlrev_b32_e32 v92, 16, v92
	v_and_b32_e32 v104, 0xffff, v63
	;; [unrolled: 2-line block ×3, first 2 shown]
	v_or_b32_e32 v13, v2, v14
	v_or_b32_e32 v63, v82, v105
	;; [unrolled: 1-line block ×4, first 2 shown]
	s_and_saveexec_b32 s12, s6
	s_cbranch_execz .LBB329_3663
; %bb.3662:                             ;   in Loop: Header=BB329_2079 Depth=1
	v_cndmask_b32_e32 v13, 0, v105, vcc_lo
	v_cndmask_b32_e64 v81, 0, v82, s5
	v_cndmask_b32_e64 v14, 0, v14, s4
	;; [unrolled: 1-line block ×7, first 2 shown]
	v_or_b32_e32 v63, v13, v81
	v_or_b32_e32 v13, v14, v2
	;; [unrolled: 1-line block ×4, first 2 shown]
.LBB329_3663:                           ;   in Loop: Header=BB329_2079 Depth=1
	s_or_b32 exec_lo, exec_lo, s12
	v_add_co_u32 v11, s12, 0x1800, v11
	v_add_co_ci_u32_e64 v12, null, 0, v12, s12
	;;#ASMSTART
	v_pk_mul_f16 v2, v103, v63;

	;;#ASMEND
	;;#ASMSTART
	v_pk_mul_f16 v13, v102, v13;

	;;#ASMEND
	;; [unrolled: 4-line block ×4, first 2 shown]
	;;#ASMSTART
	v_pk_add_f16 v2, v2, v13;

	;;#ASMEND
	;;#ASMSTART
	v_pk_add_f16 v2, v2, v14;

	;;#ASMEND
	;; [unrolled: 4-line block ×3, first 2 shown]
	v_lshrrev_b32_e32 v13, 16, v2
	v_and_b32_e32 v2, 0xffff, v2
	;;#ASMSTART
	v_cvt_f32_f16 v91, v2;
	;;#ASMEND
	;;#ASMSTART
	v_cvt_f32_f16 v92, v13;
	;;#ASMEND
	flat_load_dwordx2 v[13:14], v[11:12]
	s_clause 0x1
	buffer_load_dword v81, off, s[0:3], s32 offset:192
	buffer_load_dword v82, off, s[0:3], s32 offset:196
	v_mov_b32_e32 v93, 0
	s_waitcnt vmcnt(2) lgkmcnt(0)
	v_cmp_ne_u16_sdwa s12, v13, v3 src0_sel:BYTE_0 src1_sel:DWORD
	s_waitcnt vmcnt(0)
	flat_load_dword v81, v[81:82]
	v_mov_b32_e32 v82, 0
	s_and_saveexec_b32 s21, s12
	s_cbranch_execz .LBB329_3671
; %bb.3664:                             ;   in Loop: Header=BB329_2079 Depth=1
	v_cmp_ne_u16_sdwa s12, v13, v96 src0_sel:BYTE_0 src1_sel:DWORD
	v_mov_b32_e32 v93, 0x8000
	s_and_saveexec_b32 s25, s12
	s_cbranch_execz .LBB329_3670
; %bb.3665:                             ;   in Loop: Header=BB329_2079 Depth=1
	v_and_b32_e32 v63, 0x7f, v13
	v_mov_b32_e32 v93, 0x7c01
	s_mov_b32 s26, exec_lo
	v_cmpx_ne_u32_e32 0x7f, v63
	s_cbranch_execz .LBB329_3669
; %bb.3666:                             ;   in Loop: Header=BB329_2079 Depth=1
	v_and_b32_e32 v2, 7, v13
	v_lshrrev_b32_e32 v62, 3, v63
	s_mov_b32 s27, exec_lo
	v_cmpx_gt_u32_e32 8, v63
; %bb.3667:                             ;   in Loop: Header=BB329_2079 Depth=1
	v_ffbh_u32_e32 v2, v2
	v_min_u32_e32 v2, 32, v2
	v_subrev_nc_u32_e32 v62, 28, v2
	v_lshlrev_b64 v[104:105], v62, v[13:14]
	v_sub_nc_u32_e32 v62, 29, v2
	v_and_b32_e32 v2, 7, v104
; %bb.3668:                             ;   in Loop: Header=BB329_2079 Depth=1
	s_or_b32 exec_lo, exec_lo, s27
	v_lshlrev_b32_e32 v63, 8, v13
	v_lshl_add_u32 v62, v62, 10, 0x2000
	v_lshlrev_b32_e32 v2, 7, v2
	v_and_b32_e32 v63, 0x8000, v63
	v_and_b32_e32 v62, 0xfc00, v62
	v_or3_b32 v93, v63, v62, v2
.LBB329_3669:                           ;   in Loop: Header=BB329_2079 Depth=1
	s_or_b32 exec_lo, exec_lo, s26
.LBB329_3670:                           ;   in Loop: Header=BB329_2079 Depth=1
	s_or_b32 exec_lo, exec_lo, s25
.LBB329_3671:                           ;   in Loop: Header=BB329_2079 Depth=1
	s_or_b32 exec_lo, exec_lo, s21
	v_lshrrev_b16 v2, 8, v13
	s_mov_b32 s21, exec_lo
	v_cmpx_ne_u16_e32 0, v2
	s_cbranch_execz .LBB329_3679
; %bb.3672:                             ;   in Loop: Header=BB329_2079 Depth=1
	v_bfrev_b32_e32 v82, 1
	s_mov_b32 s25, exec_lo
	v_cmpx_ne_u16_e32 0x80, v2
	s_cbranch_execz .LBB329_3678
; %bb.3673:                             ;   in Loop: Header=BB329_2079 Depth=1
	v_and_b32_sdwa v63, v2, v97 dst_sel:DWORD dst_unused:UNUSED_PAD src0_sel:WORD_0 src1_sel:DWORD
	v_mov_b32_e32 v82, 0x7c010000
	s_mov_b32 s26, exec_lo
	v_cmpx_ne_u32_e32 0x7f, v63
	s_cbranch_execz .LBB329_3677
; %bb.3674:                             ;   in Loop: Header=BB329_2079 Depth=1
	v_and_b32_sdwa v82, v2, v64 dst_sel:DWORD dst_unused:UNUSED_PAD src0_sel:WORD_0 src1_sel:DWORD
	v_lshrrev_b32_e32 v62, 3, v63
	s_mov_b32 s27, exec_lo
	v_cmpx_gt_u32_e32 8, v63
; %bb.3675:                             ;   in Loop: Header=BB329_2079 Depth=1
	v_ffbh_u32_e32 v82, v82
	v_min_u32_e32 v82, 32, v82
	v_subrev_nc_u32_e32 v62, 28, v82
	v_lshlrev_b64 v[104:105], v62, v[2:3]
	v_sub_nc_u32_e32 v62, 29, v82
	v_and_b32_e32 v82, 7, v104
; %bb.3676:                             ;   in Loop: Header=BB329_2079 Depth=1
	s_or_b32 exec_lo, exec_lo, s27
	v_lshlrev_b32_sdwa v2, v61, v2 dst_sel:DWORD dst_unused:UNUSED_PAD src0_sel:DWORD src1_sel:WORD_0
	v_lshl_add_u32 v62, v62, 10, 0x2000
	v_lshlrev_b32_e32 v82, 23, v82
	v_and_or_b32 v2, 0x8000, v2, v62
	v_lshl_or_b32 v82, v2, 16, v82
.LBB329_3677:                           ;   in Loop: Header=BB329_2079 Depth=1
	s_or_b32 exec_lo, exec_lo, s26
.LBB329_3678:                           ;   in Loop: Header=BB329_2079 Depth=1
	s_or_b32 exec_lo, exec_lo, s25
.LBB329_3679:                           ;   in Loop: Header=BB329_2079 Depth=1
	s_or_b32 exec_lo, exec_lo, s21
	v_lshrrev_b32_e32 v2, 16, v13
	v_mov_b32_e32 v104, 0
	v_mov_b32_e32 v105, 0
	v_cmp_ne_u16_sdwa s12, v2, v3 src0_sel:BYTE_0 src1_sel:DWORD
	s_and_saveexec_b32 s21, s12
	s_cbranch_execz .LBB329_3687
; %bb.3680:                             ;   in Loop: Header=BB329_2079 Depth=1
	v_cmp_ne_u16_sdwa s12, v2, v96 src0_sel:BYTE_0 src1_sel:DWORD
	v_mov_b32_e32 v105, 0x8000
	s_and_saveexec_b32 s25, s12
	s_cbranch_execz .LBB329_3686
; %bb.3681:                             ;   in Loop: Header=BB329_2079 Depth=1
	v_bfe_u32 v106, v13, 16, 7
	v_mov_b32_e32 v105, 0x7c01
	s_mov_b32 s26, exec_lo
	v_cmpx_ne_u32_e32 0x7f, v106
	s_cbranch_execz .LBB329_3685
; %bb.3682:                             ;   in Loop: Header=BB329_2079 Depth=1
	v_and_b32_e32 v62, 7, v2
	v_lshrrev_b32_e32 v63, 3, v106
	s_mov_b32 s27, exec_lo
	v_cmpx_gt_u32_e32 8, v106
; %bb.3683:                             ;   in Loop: Header=BB329_2079 Depth=1
	v_ffbh_u32_e32 v62, v62
	v_min_u32_e32 v105, 32, v62
	v_subrev_nc_u32_e32 v62, 28, v105
	v_lshlrev_b64 v[62:63], v62, v[2:3]
	v_sub_nc_u32_e32 v63, 29, v105
	v_and_b32_e32 v62, 7, v62
; %bb.3684:                             ;   in Loop: Header=BB329_2079 Depth=1
	s_or_b32 exec_lo, exec_lo, s27
	v_lshlrev_b32_e32 v2, 8, v2
	v_lshl_add_u32 v63, v63, 10, 0x2000
	v_lshlrev_b32_e32 v62, 7, v62
	v_and_b32_e32 v2, 0x8000, v2
	v_and_b32_e32 v63, 0xfc00, v63
	v_or3_b32 v105, v2, v63, v62
.LBB329_3685:                           ;   in Loop: Header=BB329_2079 Depth=1
	s_or_b32 exec_lo, exec_lo, s26
.LBB329_3686:                           ;   in Loop: Header=BB329_2079 Depth=1
	s_or_b32 exec_lo, exec_lo, s25
.LBB329_3687:                           ;   in Loop: Header=BB329_2079 Depth=1
	s_or_b32 exec_lo, exec_lo, s21
	s_mov_b32 s21, exec_lo
	v_cmpx_lt_u32_e32 0xffffff, v13
	s_cbranch_execz .LBB329_3695
; %bb.3688:                             ;   in Loop: Header=BB329_2079 Depth=1
	v_lshrrev_b32_e32 v2, 24, v13
	v_bfrev_b32_e32 v104, 1
	s_mov_b32 s25, exec_lo
	v_cmpx_ne_u32_e32 0x80, v2
	s_cbranch_execz .LBB329_3694
; %bb.3689:                             ;   in Loop: Header=BB329_2079 Depth=1
	v_and_b32_e32 v106, 0x7f, v2
	v_mov_b32_e32 v104, 0x7c010000
	s_mov_b32 s26, exec_lo
	v_cmpx_ne_u32_e32 0x7f, v106
	s_cbranch_execz .LBB329_3693
; %bb.3690:                             ;   in Loop: Header=BB329_2079 Depth=1
	v_and_b32_e32 v62, 7, v2
	v_lshrrev_b32_e32 v63, 3, v106
	s_mov_b32 s27, exec_lo
	v_cmpx_gt_u32_e32 8, v106
; %bb.3691:                             ;   in Loop: Header=BB329_2079 Depth=1
	v_ffbh_u32_e32 v62, v62
	v_min_u32_e32 v104, 32, v62
	v_subrev_nc_u32_e32 v62, 28, v104
	v_lshlrev_b64 v[62:63], v62, v[2:3]
	v_sub_nc_u32_e32 v63, 29, v104
	v_and_b32_e32 v62, 7, v62
; %bb.3692:                             ;   in Loop: Header=BB329_2079 Depth=1
	s_or_b32 exec_lo, exec_lo, s27
	v_lshlrev_b32_e32 v2, 8, v2
	v_lshl_add_u32 v63, v63, 10, 0x2000
	v_lshlrev_b32_e32 v62, 23, v62
	v_and_or_b32 v2, 0x8000, v2, v63
	v_lshl_or_b32 v104, v2, 16, v62
.LBB329_3693:                           ;   in Loop: Header=BB329_2079 Depth=1
	s_or_b32 exec_lo, exec_lo, s26
.LBB329_3694:                           ;   in Loop: Header=BB329_2079 Depth=1
	s_or_b32 exec_lo, exec_lo, s25
.LBB329_3695:                           ;   in Loop: Header=BB329_2079 Depth=1
	s_or_b32 exec_lo, exec_lo, s21
	v_mov_b32_e32 v2, v14
	v_cmp_ne_u16_sdwa s12, v14, v3 src0_sel:BYTE_0 src1_sel:DWORD
	v_mov_b32_e32 v62, 0
	v_mov_b32_e32 v63, 0
	s_and_saveexec_b32 s21, s12
	s_cbranch_execz .LBB329_3703
; %bb.3696:                             ;   in Loop: Header=BB329_2079 Depth=1
	v_cmp_ne_u16_sdwa s12, v14, v96 src0_sel:BYTE_0 src1_sel:DWORD
	v_mov_b32_e32 v63, 0x8000
	s_and_saveexec_b32 s25, s12
	s_cbranch_execz .LBB329_3702
; %bb.3697:                             ;   in Loop: Header=BB329_2079 Depth=1
	v_and_b32_e32 v107, 0x7f, v14
	v_mov_b32_e32 v63, 0x7c01
	s_mov_b32 s26, exec_lo
	v_cmpx_ne_u32_e32 0x7f, v107
	s_cbranch_execz .LBB329_3701
; %bb.3698:                             ;   in Loop: Header=BB329_2079 Depth=1
	v_and_b32_e32 v63, 7, v14
	v_lshrrev_b32_e32 v106, 3, v107
	s_mov_b32 s27, exec_lo
	v_cmpx_gt_u32_e32 8, v107
; %bb.3699:                             ;   in Loop: Header=BB329_2079 Depth=1
	v_ffbh_u32_e32 v63, v63
	v_min_u32_e32 v63, 32, v63
	v_subrev_nc_u32_e32 v106, 28, v63
	v_lshlrev_b64 v[107:108], v106, v[2:3]
	v_sub_nc_u32_e32 v106, 29, v63
	v_and_b32_e32 v63, 7, v107
; %bb.3700:                             ;   in Loop: Header=BB329_2079 Depth=1
	s_or_b32 exec_lo, exec_lo, s27
	v_lshlrev_b32_e32 v107, 8, v14
	v_lshl_add_u32 v106, v106, 10, 0x2000
	v_lshlrev_b32_e32 v63, 7, v63
	v_and_b32_e32 v107, 0x8000, v107
	v_and_b32_e32 v106, 0xfc00, v106
	v_or3_b32 v63, v107, v106, v63
.LBB329_3701:                           ;   in Loop: Header=BB329_2079 Depth=1
	s_or_b32 exec_lo, exec_lo, s26
.LBB329_3702:                           ;   in Loop: Header=BB329_2079 Depth=1
	s_or_b32 exec_lo, exec_lo, s25
.LBB329_3703:                           ;   in Loop: Header=BB329_2079 Depth=1
	s_or_b32 exec_lo, exec_lo, s21
	v_lshrrev_b16 v2, 8, v2
	v_mov_b32_e32 v106, 0
	s_mov_b32 s21, exec_lo
	v_cmpx_ne_u16_e32 0, v2
	s_cbranch_execz .LBB329_3711
; %bb.3704:                             ;   in Loop: Header=BB329_2079 Depth=1
	v_bfrev_b32_e32 v106, 1
	s_mov_b32 s25, exec_lo
	v_cmpx_ne_u16_e32 0x80, v2
	s_cbranch_execz .LBB329_3710
; %bb.3705:                             ;   in Loop: Header=BB329_2079 Depth=1
	v_and_b32_sdwa v108, v2, v97 dst_sel:DWORD dst_unused:UNUSED_PAD src0_sel:WORD_0 src1_sel:DWORD
	v_mov_b32_e32 v106, 0x7c010000
	s_mov_b32 s26, exec_lo
	v_cmpx_ne_u32_e32 0x7f, v108
	s_cbranch_execz .LBB329_3709
; %bb.3706:                             ;   in Loop: Header=BB329_2079 Depth=1
	v_and_b32_sdwa v106, v2, v64 dst_sel:DWORD dst_unused:UNUSED_PAD src0_sel:WORD_0 src1_sel:DWORD
	v_lshrrev_b32_e32 v107, 3, v108
	s_mov_b32 s27, exec_lo
	v_cmpx_gt_u32_e32 8, v108
; %bb.3707:                             ;   in Loop: Header=BB329_2079 Depth=1
	v_ffbh_u32_e32 v106, v106
	v_min_u32_e32 v108, 32, v106
	v_subrev_nc_u32_e32 v106, 28, v108
	v_lshlrev_b64 v[106:107], v106, v[2:3]
	v_sub_nc_u32_e32 v107, 29, v108
	v_and_b32_e32 v106, 7, v106
; %bb.3708:                             ;   in Loop: Header=BB329_2079 Depth=1
	s_or_b32 exec_lo, exec_lo, s27
	v_lshlrev_b32_sdwa v2, v61, v2 dst_sel:DWORD dst_unused:UNUSED_PAD src0_sel:DWORD src1_sel:WORD_0
	v_lshl_add_u32 v107, v107, 10, 0x2000
	v_lshlrev_b32_e32 v106, 23, v106
	v_and_or_b32 v2, 0x8000, v2, v107
	v_lshl_or_b32 v106, v2, 16, v106
.LBB329_3709:                           ;   in Loop: Header=BB329_2079 Depth=1
	s_or_b32 exec_lo, exec_lo, s26
.LBB329_3710:                           ;   in Loop: Header=BB329_2079 Depth=1
	s_or_b32 exec_lo, exec_lo, s25
.LBB329_3711:                           ;   in Loop: Header=BB329_2079 Depth=1
	s_or_b32 exec_lo, exec_lo, s21
	v_lshrrev_b32_e32 v2, 16, v14
	v_cmp_ne_u16_sdwa s12, v2, v3 src0_sel:BYTE_0 src1_sel:DWORD
	s_and_saveexec_b32 s21, s12
	s_cbranch_execz .LBB329_3719
; %bb.3712:                             ;   in Loop: Header=BB329_2079 Depth=1
	v_cmp_ne_u16_sdwa s12, v2, v96 src0_sel:BYTE_0 src1_sel:DWORD
	v_mov_b32_e32 v62, 0x8000
	s_and_saveexec_b32 s25, s12
	s_cbranch_execz .LBB329_3718
; %bb.3713:                             ;   in Loop: Header=BB329_2079 Depth=1
	v_bfe_u32 v108, v14, 16, 7
	v_mov_b32_e32 v62, 0x7c01
	s_mov_b32 s26, exec_lo
	v_cmpx_ne_u32_e32 0x7f, v108
	s_cbranch_execz .LBB329_3717
; %bb.3714:                             ;   in Loop: Header=BB329_2079 Depth=1
	v_and_b32_e32 v62, 7, v2
	v_lshrrev_b32_e32 v107, 3, v108
	s_mov_b32 s27, exec_lo
	v_cmpx_gt_u32_e32 8, v108
; %bb.3715:                             ;   in Loop: Header=BB329_2079 Depth=1
	v_ffbh_u32_e32 v62, v62
	v_min_u32_e32 v62, 32, v62
	v_subrev_nc_u32_e32 v107, 28, v62
	v_lshlrev_b64 v[108:109], v107, v[2:3]
	v_sub_nc_u32_e32 v107, 29, v62
	v_and_b32_e32 v62, 7, v108
; %bb.3716:                             ;   in Loop: Header=BB329_2079 Depth=1
	s_or_b32 exec_lo, exec_lo, s27
	v_lshlrev_b32_e32 v2, 8, v2
	v_lshl_add_u32 v107, v107, 10, 0x2000
	v_lshlrev_b32_e32 v62, 7, v62
	v_and_b32_e32 v2, 0x8000, v2
	v_and_b32_e32 v107, 0xfc00, v107
	v_or3_b32 v62, v2, v107, v62
.LBB329_3717:                           ;   in Loop: Header=BB329_2079 Depth=1
	s_or_b32 exec_lo, exec_lo, s26
.LBB329_3718:                           ;   in Loop: Header=BB329_2079 Depth=1
	s_or_b32 exec_lo, exec_lo, s25
.LBB329_3719:                           ;   in Loop: Header=BB329_2079 Depth=1
	s_or_b32 exec_lo, exec_lo, s21
	v_cmp_lt_u64_e64 s12, s[22:23], v[13:14]
	v_mov_b32_e32 v13, 0
	s_and_saveexec_b32 s21, s12
	s_cbranch_execz .LBB329_3727
; %bb.3720:                             ;   in Loop: Header=BB329_2079 Depth=1
	v_lshrrev_b32_e32 v2, 24, v14
	v_bfrev_b32_e32 v13, 1
	s_mov_b32 s25, exec_lo
	v_cmpx_ne_u32_e32 0x80, v2
	s_cbranch_execz .LBB329_3726
; %bb.3721:                             ;   in Loop: Header=BB329_2079 Depth=1
	v_and_b32_e32 v107, 0x7f, v2
	v_mov_b32_e32 v13, 0x7c010000
	s_mov_b32 s26, exec_lo
	v_cmpx_ne_u32_e32 0x7f, v107
	s_cbranch_execz .LBB329_3725
; %bb.3722:                             ;   in Loop: Header=BB329_2079 Depth=1
	v_and_b32_e32 v13, 7, v2
	v_lshrrev_b32_e32 v14, 3, v107
	s_mov_b32 s27, exec_lo
	v_cmpx_gt_u32_e32 8, v107
; %bb.3723:                             ;   in Loop: Header=BB329_2079 Depth=1
	v_ffbh_u32_e32 v13, v13
	v_min_u32_e32 v107, 32, v13
	v_subrev_nc_u32_e32 v13, 28, v107
	v_lshlrev_b64 v[13:14], v13, v[2:3]
	v_sub_nc_u32_e32 v14, 29, v107
	v_and_b32_e32 v13, 7, v13
; %bb.3724:                             ;   in Loop: Header=BB329_2079 Depth=1
	s_or_b32 exec_lo, exec_lo, s27
	v_lshlrev_b32_e32 v2, 8, v2
	v_lshl_add_u32 v14, v14, 10, 0x2000
	v_lshlrev_b32_e32 v13, 23, v13
	v_and_or_b32 v2, 0x8000, v2, v14
	v_lshl_or_b32 v13, v2, 16, v13
.LBB329_3725:                           ;   in Loop: Header=BB329_2079 Depth=1
	s_or_b32 exec_lo, exec_lo, s26
.LBB329_3726:                           ;   in Loop: Header=BB329_2079 Depth=1
	s_or_b32 exec_lo, exec_lo, s25
.LBB329_3727:                           ;   in Loop: Header=BB329_2079 Depth=1
	s_or_b32 exec_lo, exec_lo, s21
	v_or_b32_e32 v2, v104, v105
	s_waitcnt vmcnt(0) lgkmcnt(0)
	v_fma_mixlo_f16 v14, v81, v104, 0 op_sel:[0,1,0] op_sel_hi:[0,1,0]
	v_or_b32_e32 v93, v82, v93
	v_or_b32_e32 v63, v106, v63
	;; [unrolled: 1-line block ×3, first 2 shown]
	v_fma_mixlo_f16 v104, v81, v2, 0 op_sel_hi:[0,1,0]
	v_fma_mixlo_f16 v82, v81, v82, 0 op_sel:[0,1,0] op_sel_hi:[0,1,0]
	v_lshlrev_b32_e32 v2, 16, v14
	v_fma_mixlo_f16 v93, v81, v93, 0 op_sel_hi:[0,1,0]
	v_fma_mixlo_f16 v63, v81, v63, 0 op_sel_hi:[0,1,0]
	v_and_b32_e32 v14, 0xffff, v104
	v_fma_mixlo_f16 v104, v81, v106, 0 op_sel:[0,1,0] op_sel_hi:[0,1,0]
	v_fma_mixlo_f16 v13, v81, v13, 0 op_sel:[0,1,0] op_sel_hi:[0,1,0]
	v_fma_mixlo_f16 v81, v81, v62, 0 op_sel_hi:[0,1,0]
	v_lshlrev_b32_e32 v82, 16, v82
	v_and_b32_e32 v107, 0xffff, v93
	v_lshlrev_b32_e32 v104, 16, v104
	v_and_b32_e32 v106, 0xffff, v63
	;; [unrolled: 2-line block ×3, first 2 shown]
	v_or_b32_e32 v13, v2, v14
	v_or_b32_e32 v63, v82, v107
	;; [unrolled: 1-line block ×4, first 2 shown]
	s_and_saveexec_b32 s12, s6
	s_cbranch_execz .LBB329_3729
; %bb.3728:                             ;   in Loop: Header=BB329_2079 Depth=1
	v_cndmask_b32_e32 v13, 0, v107, vcc_lo
	v_cndmask_b32_e64 v81, 0, v82, s5
	v_cndmask_b32_e64 v14, 0, v14, s4
	;; [unrolled: 1-line block ×7, first 2 shown]
	v_or_b32_e32 v63, v13, v81
	v_or_b32_e32 v13, v14, v2
	;; [unrolled: 1-line block ×4, first 2 shown]
.LBB329_3729:                           ;   in Loop: Header=BB329_2079 Depth=1
	s_or_b32 exec_lo, exec_lo, s12
	;;#ASMSTART
	v_pk_mul_f16 v2, v103, v63;

	;;#ASMEND
	;;#ASMSTART
	v_pk_mul_f16 v13, v102, v13;

	;;#ASMEND
	;; [unrolled: 4-line block ×4, first 2 shown]
	;;#ASMSTART
	v_pk_add_f16 v2, v2, v13;

	;;#ASMEND
	;;#ASMSTART
	v_pk_add_f16 v2, v2, v14;

	;;#ASMEND
	;; [unrolled: 4-line block ×3, first 2 shown]
	v_and_b32_e32 v13, 0xffff, v2
	v_lshrrev_b32_e32 v2, 16, v2
	;;#ASMSTART
	v_cvt_f32_f16 v93, v13;
	;;#ASMEND
	;;#ASMSTART
	v_cvt_f32_f16 v81, v2;
	;;#ASMEND
	flat_load_dwordx2 v[13:14], v[11:12] offset:256
	s_clause 0x1
	buffer_load_dword v62, off, s[0:3], s32 offset:192
	buffer_load_dword v63, off, s[0:3], s32 offset:196
	v_mov_b32_e32 v104, 0
	v_mov_b32_e32 v105, 0
	s_waitcnt vmcnt(2) lgkmcnt(0)
	v_cmp_ne_u16_sdwa s12, v13, v3 src0_sel:BYTE_0 src1_sel:DWORD
	s_waitcnt vmcnt(0)
	flat_load_dword v82, v[62:63]
	s_and_saveexec_b32 s21, s12
	s_cbranch_execz .LBB329_3737
; %bb.3730:                             ;   in Loop: Header=BB329_2079 Depth=1
	v_cmp_ne_u16_sdwa s12, v13, v96 src0_sel:BYTE_0 src1_sel:DWORD
	v_mov_b32_e32 v105, 0x8000
	s_and_saveexec_b32 s25, s12
	s_cbranch_execz .LBB329_3736
; %bb.3731:                             ;   in Loop: Header=BB329_2079 Depth=1
	v_and_b32_e32 v63, 0x7f, v13
	v_mov_b32_e32 v105, 0x7c01
	s_mov_b32 s26, exec_lo
	v_cmpx_ne_u32_e32 0x7f, v63
	s_cbranch_execz .LBB329_3735
; %bb.3732:                             ;   in Loop: Header=BB329_2079 Depth=1
	v_and_b32_e32 v2, 7, v13
	v_lshrrev_b32_e32 v62, 3, v63
	s_mov_b32 s27, exec_lo
	v_cmpx_gt_u32_e32 8, v63
; %bb.3733:                             ;   in Loop: Header=BB329_2079 Depth=1
	v_ffbh_u32_e32 v2, v2
	v_min_u32_e32 v2, 32, v2
	v_subrev_nc_u32_e32 v62, 28, v2
	v_lshlrev_b64 v[105:106], v62, v[13:14]
	v_sub_nc_u32_e32 v62, 29, v2
	v_and_b32_e32 v2, 7, v105
; %bb.3734:                             ;   in Loop: Header=BB329_2079 Depth=1
	s_or_b32 exec_lo, exec_lo, s27
	v_lshlrev_b32_e32 v63, 8, v13
	v_lshl_add_u32 v62, v62, 10, 0x2000
	v_lshlrev_b32_e32 v2, 7, v2
	v_and_b32_e32 v63, 0x8000, v63
	v_and_b32_e32 v62, 0xfc00, v62
	v_or3_b32 v105, v63, v62, v2
.LBB329_3735:                           ;   in Loop: Header=BB329_2079 Depth=1
	s_or_b32 exec_lo, exec_lo, s26
.LBB329_3736:                           ;   in Loop: Header=BB329_2079 Depth=1
	s_or_b32 exec_lo, exec_lo, s25
.LBB329_3737:                           ;   in Loop: Header=BB329_2079 Depth=1
	s_or_b32 exec_lo, exec_lo, s21
	v_lshrrev_b16 v2, 8, v13
	s_mov_b32 s21, exec_lo
	v_cmpx_ne_u16_e32 0, v2
	s_cbranch_execz .LBB329_3745
; %bb.3738:                             ;   in Loop: Header=BB329_2079 Depth=1
	v_bfrev_b32_e32 v104, 1
	s_mov_b32 s25, exec_lo
	v_cmpx_ne_u16_e32 0x80, v2
	s_cbranch_execz .LBB329_3744
; %bb.3739:                             ;   in Loop: Header=BB329_2079 Depth=1
	v_and_b32_sdwa v106, v2, v97 dst_sel:DWORD dst_unused:UNUSED_PAD src0_sel:WORD_0 src1_sel:DWORD
	v_mov_b32_e32 v104, 0x7c010000
	s_mov_b32 s26, exec_lo
	v_cmpx_ne_u32_e32 0x7f, v106
	s_cbranch_execz .LBB329_3743
; %bb.3740:                             ;   in Loop: Header=BB329_2079 Depth=1
	v_and_b32_sdwa v62, v2, v64 dst_sel:DWORD dst_unused:UNUSED_PAD src0_sel:WORD_0 src1_sel:DWORD
	v_lshrrev_b32_e32 v63, 3, v106
	s_mov_b32 s27, exec_lo
	v_cmpx_gt_u32_e32 8, v106
; %bb.3741:                             ;   in Loop: Header=BB329_2079 Depth=1
	v_ffbh_u32_e32 v62, v62
	v_min_u32_e32 v104, 32, v62
	v_subrev_nc_u32_e32 v62, 28, v104
	v_lshlrev_b64 v[62:63], v62, v[2:3]
	v_sub_nc_u32_e32 v63, 29, v104
	v_and_b32_e32 v62, 7, v62
; %bb.3742:                             ;   in Loop: Header=BB329_2079 Depth=1
	s_or_b32 exec_lo, exec_lo, s27
	v_lshlrev_b32_sdwa v2, v61, v2 dst_sel:DWORD dst_unused:UNUSED_PAD src0_sel:DWORD src1_sel:WORD_0
	v_lshl_add_u32 v63, v63, 10, 0x2000
	v_lshlrev_b32_e32 v62, 23, v62
	v_and_or_b32 v2, 0x8000, v2, v63
	v_lshl_or_b32 v104, v2, 16, v62
.LBB329_3743:                           ;   in Loop: Header=BB329_2079 Depth=1
	s_or_b32 exec_lo, exec_lo, s26
.LBB329_3744:                           ;   in Loop: Header=BB329_2079 Depth=1
	s_or_b32 exec_lo, exec_lo, s25
.LBB329_3745:                           ;   in Loop: Header=BB329_2079 Depth=1
	s_or_b32 exec_lo, exec_lo, s21
	v_lshrrev_b32_e32 v2, 16, v13
	v_mov_b32_e32 v106, 0
	v_mov_b32_e32 v107, 0
	v_cmp_ne_u16_sdwa s12, v2, v3 src0_sel:BYTE_0 src1_sel:DWORD
	s_and_saveexec_b32 s21, s12
	s_cbranch_execz .LBB329_3753
; %bb.3746:                             ;   in Loop: Header=BB329_2079 Depth=1
	v_cmp_ne_u16_sdwa s12, v2, v96 src0_sel:BYTE_0 src1_sel:DWORD
	v_mov_b32_e32 v107, 0x8000
	s_and_saveexec_b32 s25, s12
	s_cbranch_execz .LBB329_3752
; %bb.3747:                             ;   in Loop: Header=BB329_2079 Depth=1
	v_bfe_u32 v108, v13, 16, 7
	v_mov_b32_e32 v107, 0x7c01
	s_mov_b32 s26, exec_lo
	v_cmpx_ne_u32_e32 0x7f, v108
	s_cbranch_execz .LBB329_3751
; %bb.3748:                             ;   in Loop: Header=BB329_2079 Depth=1
	v_and_b32_e32 v62, 7, v2
	v_lshrrev_b32_e32 v63, 3, v108
	s_mov_b32 s27, exec_lo
	v_cmpx_gt_u32_e32 8, v108
; %bb.3749:                             ;   in Loop: Header=BB329_2079 Depth=1
	v_ffbh_u32_e32 v62, v62
	v_min_u32_e32 v107, 32, v62
	v_subrev_nc_u32_e32 v62, 28, v107
	v_lshlrev_b64 v[62:63], v62, v[2:3]
	v_sub_nc_u32_e32 v63, 29, v107
	v_and_b32_e32 v62, 7, v62
; %bb.3750:                             ;   in Loop: Header=BB329_2079 Depth=1
	s_or_b32 exec_lo, exec_lo, s27
	v_lshlrev_b32_e32 v2, 8, v2
	v_lshl_add_u32 v63, v63, 10, 0x2000
	v_lshlrev_b32_e32 v62, 7, v62
	v_and_b32_e32 v2, 0x8000, v2
	v_and_b32_e32 v63, 0xfc00, v63
	v_or3_b32 v107, v2, v63, v62
.LBB329_3751:                           ;   in Loop: Header=BB329_2079 Depth=1
	s_or_b32 exec_lo, exec_lo, s26
.LBB329_3752:                           ;   in Loop: Header=BB329_2079 Depth=1
	s_or_b32 exec_lo, exec_lo, s25
.LBB329_3753:                           ;   in Loop: Header=BB329_2079 Depth=1
	s_or_b32 exec_lo, exec_lo, s21
	s_mov_b32 s21, exec_lo
	v_cmpx_lt_u32_e32 0xffffff, v13
	s_cbranch_execz .LBB329_3761
; %bb.3754:                             ;   in Loop: Header=BB329_2079 Depth=1
	v_lshrrev_b32_e32 v2, 24, v13
	v_bfrev_b32_e32 v106, 1
	s_mov_b32 s25, exec_lo
	v_cmpx_ne_u32_e32 0x80, v2
	s_cbranch_execz .LBB329_3760
; %bb.3755:                             ;   in Loop: Header=BB329_2079 Depth=1
	v_and_b32_e32 v108, 0x7f, v2
	v_mov_b32_e32 v106, 0x7c010000
	s_mov_b32 s26, exec_lo
	v_cmpx_ne_u32_e32 0x7f, v108
	s_cbranch_execz .LBB329_3759
; %bb.3756:                             ;   in Loop: Header=BB329_2079 Depth=1
	v_and_b32_e32 v62, 7, v2
	v_lshrrev_b32_e32 v63, 3, v108
	s_mov_b32 s27, exec_lo
	v_cmpx_gt_u32_e32 8, v108
; %bb.3757:                             ;   in Loop: Header=BB329_2079 Depth=1
	v_ffbh_u32_e32 v62, v62
	v_min_u32_e32 v106, 32, v62
	v_subrev_nc_u32_e32 v62, 28, v106
	v_lshlrev_b64 v[62:63], v62, v[2:3]
	v_sub_nc_u32_e32 v63, 29, v106
	v_and_b32_e32 v62, 7, v62
; %bb.3758:                             ;   in Loop: Header=BB329_2079 Depth=1
	s_or_b32 exec_lo, exec_lo, s27
	v_lshlrev_b32_e32 v2, 8, v2
	v_lshl_add_u32 v63, v63, 10, 0x2000
	v_lshlrev_b32_e32 v62, 23, v62
	v_and_or_b32 v2, 0x8000, v2, v63
	v_lshl_or_b32 v106, v2, 16, v62
.LBB329_3759:                           ;   in Loop: Header=BB329_2079 Depth=1
	s_or_b32 exec_lo, exec_lo, s26
.LBB329_3760:                           ;   in Loop: Header=BB329_2079 Depth=1
	s_or_b32 exec_lo, exec_lo, s25
.LBB329_3761:                           ;   in Loop: Header=BB329_2079 Depth=1
	s_or_b32 exec_lo, exec_lo, s21
	v_mov_b32_e32 v2, v14
	v_cmp_ne_u16_sdwa s12, v14, v3 src0_sel:BYTE_0 src1_sel:DWORD
	v_mov_b32_e32 v62, 0
	v_mov_b32_e32 v63, 0
	s_and_saveexec_b32 s21, s12
	s_cbranch_execz .LBB329_3769
; %bb.3762:                             ;   in Loop: Header=BB329_2079 Depth=1
	v_cmp_ne_u16_sdwa s12, v14, v96 src0_sel:BYTE_0 src1_sel:DWORD
	v_mov_b32_e32 v63, 0x8000
	s_and_saveexec_b32 s25, s12
	s_cbranch_execz .LBB329_3768
; %bb.3763:                             ;   in Loop: Header=BB329_2079 Depth=1
	v_and_b32_e32 v109, 0x7f, v14
	v_mov_b32_e32 v63, 0x7c01
	s_mov_b32 s26, exec_lo
	v_cmpx_ne_u32_e32 0x7f, v109
	s_cbranch_execz .LBB329_3767
; %bb.3764:                             ;   in Loop: Header=BB329_2079 Depth=1
	v_and_b32_e32 v63, 7, v14
	v_lshrrev_b32_e32 v108, 3, v109
	s_mov_b32 s27, exec_lo
	v_cmpx_gt_u32_e32 8, v109
; %bb.3765:                             ;   in Loop: Header=BB329_2079 Depth=1
	v_ffbh_u32_e32 v63, v63
	v_min_u32_e32 v63, 32, v63
	v_subrev_nc_u32_e32 v108, 28, v63
	v_lshlrev_b64 v[109:110], v108, v[2:3]
	v_sub_nc_u32_e32 v108, 29, v63
	v_and_b32_e32 v63, 7, v109
; %bb.3766:                             ;   in Loop: Header=BB329_2079 Depth=1
	s_or_b32 exec_lo, exec_lo, s27
	v_lshlrev_b32_e32 v109, 8, v14
	v_lshl_add_u32 v108, v108, 10, 0x2000
	v_lshlrev_b32_e32 v63, 7, v63
	v_and_b32_e32 v109, 0x8000, v109
	v_and_b32_e32 v108, 0xfc00, v108
	v_or3_b32 v63, v109, v108, v63
.LBB329_3767:                           ;   in Loop: Header=BB329_2079 Depth=1
	s_or_b32 exec_lo, exec_lo, s26
.LBB329_3768:                           ;   in Loop: Header=BB329_2079 Depth=1
	s_or_b32 exec_lo, exec_lo, s25
.LBB329_3769:                           ;   in Loop: Header=BB329_2079 Depth=1
	s_or_b32 exec_lo, exec_lo, s21
	v_lshrrev_b16 v2, 8, v2
	v_mov_b32_e32 v108, 0
	s_mov_b32 s21, exec_lo
	v_cmpx_ne_u16_e32 0, v2
	s_cbranch_execz .LBB329_3777
; %bb.3770:                             ;   in Loop: Header=BB329_2079 Depth=1
	v_bfrev_b32_e32 v108, 1
	s_mov_b32 s25, exec_lo
	v_cmpx_ne_u16_e32 0x80, v2
	s_cbranch_execz .LBB329_3776
; %bb.3771:                             ;   in Loop: Header=BB329_2079 Depth=1
	v_and_b32_sdwa v110, v2, v97 dst_sel:DWORD dst_unused:UNUSED_PAD src0_sel:WORD_0 src1_sel:DWORD
	v_mov_b32_e32 v108, 0x7c010000
	s_mov_b32 s26, exec_lo
	v_cmpx_ne_u32_e32 0x7f, v110
	s_cbranch_execz .LBB329_3775
; %bb.3772:                             ;   in Loop: Header=BB329_2079 Depth=1
	v_and_b32_sdwa v108, v2, v64 dst_sel:DWORD dst_unused:UNUSED_PAD src0_sel:WORD_0 src1_sel:DWORD
	v_lshrrev_b32_e32 v109, 3, v110
	s_mov_b32 s27, exec_lo
	v_cmpx_gt_u32_e32 8, v110
; %bb.3773:                             ;   in Loop: Header=BB329_2079 Depth=1
	v_ffbh_u32_e32 v108, v108
	v_min_u32_e32 v110, 32, v108
	v_subrev_nc_u32_e32 v108, 28, v110
	v_lshlrev_b64 v[108:109], v108, v[2:3]
	v_sub_nc_u32_e32 v109, 29, v110
	v_and_b32_e32 v108, 7, v108
; %bb.3774:                             ;   in Loop: Header=BB329_2079 Depth=1
	s_or_b32 exec_lo, exec_lo, s27
	v_lshlrev_b32_sdwa v2, v61, v2 dst_sel:DWORD dst_unused:UNUSED_PAD src0_sel:DWORD src1_sel:WORD_0
	v_lshl_add_u32 v109, v109, 10, 0x2000
	v_lshlrev_b32_e32 v108, 23, v108
	v_and_or_b32 v2, 0x8000, v2, v109
	v_lshl_or_b32 v108, v2, 16, v108
.LBB329_3775:                           ;   in Loop: Header=BB329_2079 Depth=1
	s_or_b32 exec_lo, exec_lo, s26
.LBB329_3776:                           ;   in Loop: Header=BB329_2079 Depth=1
	s_or_b32 exec_lo, exec_lo, s25
.LBB329_3777:                           ;   in Loop: Header=BB329_2079 Depth=1
	s_or_b32 exec_lo, exec_lo, s21
	v_lshrrev_b32_e32 v2, 16, v14
	v_cmp_ne_u16_sdwa s12, v2, v3 src0_sel:BYTE_0 src1_sel:DWORD
	s_and_saveexec_b32 s21, s12
	s_cbranch_execz .LBB329_3785
; %bb.3778:                             ;   in Loop: Header=BB329_2079 Depth=1
	v_cmp_ne_u16_sdwa s12, v2, v96 src0_sel:BYTE_0 src1_sel:DWORD
	v_mov_b32_e32 v62, 0x8000
	s_and_saveexec_b32 s25, s12
	s_cbranch_execz .LBB329_3784
; %bb.3779:                             ;   in Loop: Header=BB329_2079 Depth=1
	v_bfe_u32 v110, v14, 16, 7
	v_mov_b32_e32 v62, 0x7c01
	s_mov_b32 s26, exec_lo
	v_cmpx_ne_u32_e32 0x7f, v110
	s_cbranch_execz .LBB329_3783
; %bb.3780:                             ;   in Loop: Header=BB329_2079 Depth=1
	v_and_b32_e32 v62, 7, v2
	v_lshrrev_b32_e32 v109, 3, v110
	s_mov_b32 s27, exec_lo
	v_cmpx_gt_u32_e32 8, v110
; %bb.3781:                             ;   in Loop: Header=BB329_2079 Depth=1
	v_ffbh_u32_e32 v62, v62
	v_min_u32_e32 v62, 32, v62
	v_subrev_nc_u32_e32 v109, 28, v62
	v_lshlrev_b64 v[110:111], v109, v[2:3]
	v_sub_nc_u32_e32 v109, 29, v62
	v_and_b32_e32 v62, 7, v110
; %bb.3782:                             ;   in Loop: Header=BB329_2079 Depth=1
	s_or_b32 exec_lo, exec_lo, s27
	v_lshlrev_b32_e32 v2, 8, v2
	v_lshl_add_u32 v109, v109, 10, 0x2000
	v_lshlrev_b32_e32 v62, 7, v62
	v_and_b32_e32 v2, 0x8000, v2
	v_and_b32_e32 v109, 0xfc00, v109
	v_or3_b32 v62, v2, v109, v62
.LBB329_3783:                           ;   in Loop: Header=BB329_2079 Depth=1
	s_or_b32 exec_lo, exec_lo, s26
.LBB329_3784:                           ;   in Loop: Header=BB329_2079 Depth=1
	s_or_b32 exec_lo, exec_lo, s25
.LBB329_3785:                           ;   in Loop: Header=BB329_2079 Depth=1
	s_or_b32 exec_lo, exec_lo, s21
	v_cmp_lt_u64_e64 s12, s[22:23], v[13:14]
	v_mov_b32_e32 v13, 0
	s_and_saveexec_b32 s21, s12
	s_cbranch_execz .LBB329_3793
; %bb.3786:                             ;   in Loop: Header=BB329_2079 Depth=1
	v_lshrrev_b32_e32 v2, 24, v14
	v_bfrev_b32_e32 v13, 1
	s_mov_b32 s25, exec_lo
	v_cmpx_ne_u32_e32 0x80, v2
	s_cbranch_execz .LBB329_3792
; %bb.3787:                             ;   in Loop: Header=BB329_2079 Depth=1
	v_and_b32_e32 v109, 0x7f, v2
	v_mov_b32_e32 v13, 0x7c010000
	s_mov_b32 s26, exec_lo
	v_cmpx_ne_u32_e32 0x7f, v109
	s_cbranch_execz .LBB329_3791
; %bb.3788:                             ;   in Loop: Header=BB329_2079 Depth=1
	v_and_b32_e32 v13, 7, v2
	v_lshrrev_b32_e32 v14, 3, v109
	s_mov_b32 s27, exec_lo
	v_cmpx_gt_u32_e32 8, v109
; %bb.3789:                             ;   in Loop: Header=BB329_2079 Depth=1
	v_ffbh_u32_e32 v13, v13
	v_min_u32_e32 v109, 32, v13
	v_subrev_nc_u32_e32 v13, 28, v109
	v_lshlrev_b64 v[13:14], v13, v[2:3]
	v_sub_nc_u32_e32 v14, 29, v109
	v_and_b32_e32 v13, 7, v13
; %bb.3790:                             ;   in Loop: Header=BB329_2079 Depth=1
	s_or_b32 exec_lo, exec_lo, s27
	v_lshlrev_b32_e32 v2, 8, v2
	v_lshl_add_u32 v14, v14, 10, 0x2000
	v_lshlrev_b32_e32 v13, 23, v13
	v_and_or_b32 v2, 0x8000, v2, v14
	v_lshl_or_b32 v13, v2, 16, v13
.LBB329_3791:                           ;   in Loop: Header=BB329_2079 Depth=1
	s_or_b32 exec_lo, exec_lo, s26
.LBB329_3792:                           ;   in Loop: Header=BB329_2079 Depth=1
	s_or_b32 exec_lo, exec_lo, s25
.LBB329_3793:                           ;   in Loop: Header=BB329_2079 Depth=1
	s_or_b32 exec_lo, exec_lo, s21
	v_or_b32_e32 v2, v106, v107
	v_or_b32_e32 v105, v104, v105
	s_waitcnt vmcnt(0) lgkmcnt(0)
	v_fma_mixlo_f16 v104, v82, v104, 0 op_sel:[0,1,0] op_sel_hi:[0,1,0]
	v_or_b32_e32 v63, v108, v63
	v_or_b32_e32 v107, v13, v62
	v_fma_mixlo_f16 v14, v82, v106, 0 op_sel:[0,1,0] op_sel_hi:[0,1,0]
	v_fma_mixlo_f16 v106, v82, v2, 0 op_sel_hi:[0,1,0]
	v_lshlrev_b32_e32 v62, 16, v104
	v_fma_mixlo_f16 v104, v82, v105, 0 op_sel_hi:[0,1,0]
	v_fma_mixlo_f16 v105, v82, v108, 0 op_sel:[0,1,0] op_sel_hi:[0,1,0]
	v_fma_mixlo_f16 v63, v82, v63, 0 op_sel_hi:[0,1,0]
	v_fma_mixlo_f16 v13, v82, v13, 0 op_sel:[0,1,0] op_sel_hi:[0,1,0]
	v_fma_mixlo_f16 v82, v82, v107, 0 op_sel_hi:[0,1,0]
	v_lshlrev_b32_e32 v2, 16, v14
	v_and_b32_e32 v14, 0xffff, v106
	v_and_b32_e32 v109, 0xffff, v104
	v_lshlrev_b32_e32 v106, 16, v105
	v_and_b32_e32 v108, 0xffff, v63
	v_lshlrev_b32_e32 v105, 16, v13
	v_and_b32_e32 v107, 0xffff, v82
	v_or_b32_e32 v13, v2, v14
	v_or_b32_e32 v104, v62, v109
	;; [unrolled: 1-line block ×4, first 2 shown]
	s_and_saveexec_b32 s12, s6
	s_cbranch_execz .LBB329_3795
; %bb.3794:                             ;   in Loop: Header=BB329_2079 Depth=1
	v_cndmask_b32_e32 v13, 0, v109, vcc_lo
	v_cndmask_b32_e64 v82, 0, v62, s5
	v_cndmask_b32_e64 v14, 0, v14, s4
	;; [unrolled: 1-line block ×7, first 2 shown]
	v_or_b32_e32 v104, v13, v82
	v_or_b32_e32 v13, v14, v2
	;; [unrolled: 1-line block ×4, first 2 shown]
.LBB329_3795:                           ;   in Loop: Header=BB329_2079 Depth=1
	s_or_b32 exec_lo, exec_lo, s12
	;;#ASMSTART
	v_pk_mul_f16 v2, v103, v104;

	;;#ASMEND
	;;#ASMSTART
	v_pk_mul_f16 v13, v102, v13;

	;;#ASMEND
	;; [unrolled: 4-line block ×4, first 2 shown]
	;;#ASMSTART
	v_pk_add_f16 v2, v2, v13;

	;;#ASMEND
	;;#ASMSTART
	v_pk_add_f16 v2, v2, v14;

	;;#ASMEND
	;; [unrolled: 4-line block ×3, first 2 shown]
	v_and_b32_e32 v13, 0xffff, v2
	v_lshrrev_b32_e32 v2, 16, v2
	;;#ASMSTART
	v_cvt_f32_f16 v82, v13;
	;;#ASMEND
	;;#ASMSTART
	v_cvt_f32_f16 v104, v2;
	;;#ASMEND
	flat_load_dwordx2 v[13:14], v[11:12] offset:512
	s_clause 0x1
	buffer_load_dword v62, off, s[0:3], s32 offset:192
	buffer_load_dword v63, off, s[0:3], s32 offset:196
	v_mov_b32_e32 v106, 0
	v_mov_b32_e32 v107, 0
	s_waitcnt vmcnt(2) lgkmcnt(0)
	v_cmp_ne_u16_sdwa s12, v13, v3 src0_sel:BYTE_0 src1_sel:DWORD
	s_waitcnt vmcnt(0)
	flat_load_dword v105, v[62:63]
	s_and_saveexec_b32 s21, s12
	s_cbranch_execz .LBB329_3803
; %bb.3796:                             ;   in Loop: Header=BB329_2079 Depth=1
	v_cmp_ne_u16_sdwa s12, v13, v96 src0_sel:BYTE_0 src1_sel:DWORD
	v_mov_b32_e32 v107, 0x8000
	s_and_saveexec_b32 s25, s12
	s_cbranch_execz .LBB329_3802
; %bb.3797:                             ;   in Loop: Header=BB329_2079 Depth=1
	v_and_b32_e32 v63, 0x7f, v13
	v_mov_b32_e32 v107, 0x7c01
	s_mov_b32 s26, exec_lo
	v_cmpx_ne_u32_e32 0x7f, v63
	s_cbranch_execz .LBB329_3801
; %bb.3798:                             ;   in Loop: Header=BB329_2079 Depth=1
	v_and_b32_e32 v2, 7, v13
	v_lshrrev_b32_e32 v62, 3, v63
	s_mov_b32 s27, exec_lo
	v_cmpx_gt_u32_e32 8, v63
; %bb.3799:                             ;   in Loop: Header=BB329_2079 Depth=1
	v_ffbh_u32_e32 v2, v2
	v_min_u32_e32 v2, 32, v2
	v_subrev_nc_u32_e32 v62, 28, v2
	v_lshlrev_b64 v[107:108], v62, v[13:14]
	v_sub_nc_u32_e32 v62, 29, v2
	v_and_b32_e32 v2, 7, v107
; %bb.3800:                             ;   in Loop: Header=BB329_2079 Depth=1
	s_or_b32 exec_lo, exec_lo, s27
	v_lshlrev_b32_e32 v63, 8, v13
	v_lshl_add_u32 v62, v62, 10, 0x2000
	v_lshlrev_b32_e32 v2, 7, v2
	v_and_b32_e32 v63, 0x8000, v63
	v_and_b32_e32 v62, 0xfc00, v62
	v_or3_b32 v107, v63, v62, v2
.LBB329_3801:                           ;   in Loop: Header=BB329_2079 Depth=1
	s_or_b32 exec_lo, exec_lo, s26
.LBB329_3802:                           ;   in Loop: Header=BB329_2079 Depth=1
	s_or_b32 exec_lo, exec_lo, s25
.LBB329_3803:                           ;   in Loop: Header=BB329_2079 Depth=1
	s_or_b32 exec_lo, exec_lo, s21
	v_lshrrev_b16 v2, 8, v13
	s_mov_b32 s21, exec_lo
	v_cmpx_ne_u16_e32 0, v2
	s_cbranch_execz .LBB329_3811
; %bb.3804:                             ;   in Loop: Header=BB329_2079 Depth=1
	v_bfrev_b32_e32 v106, 1
	s_mov_b32 s25, exec_lo
	v_cmpx_ne_u16_e32 0x80, v2
	s_cbranch_execz .LBB329_3810
; %bb.3805:                             ;   in Loop: Header=BB329_2079 Depth=1
	v_and_b32_sdwa v108, v2, v97 dst_sel:DWORD dst_unused:UNUSED_PAD src0_sel:WORD_0 src1_sel:DWORD
	v_mov_b32_e32 v106, 0x7c010000
	s_mov_b32 s26, exec_lo
	v_cmpx_ne_u32_e32 0x7f, v108
	s_cbranch_execz .LBB329_3809
; %bb.3806:                             ;   in Loop: Header=BB329_2079 Depth=1
	v_and_b32_sdwa v62, v2, v64 dst_sel:DWORD dst_unused:UNUSED_PAD src0_sel:WORD_0 src1_sel:DWORD
	v_lshrrev_b32_e32 v63, 3, v108
	s_mov_b32 s27, exec_lo
	v_cmpx_gt_u32_e32 8, v108
; %bb.3807:                             ;   in Loop: Header=BB329_2079 Depth=1
	v_ffbh_u32_e32 v62, v62
	v_min_u32_e32 v106, 32, v62
	v_subrev_nc_u32_e32 v62, 28, v106
	v_lshlrev_b64 v[62:63], v62, v[2:3]
	v_sub_nc_u32_e32 v63, 29, v106
	v_and_b32_e32 v62, 7, v62
; %bb.3808:                             ;   in Loop: Header=BB329_2079 Depth=1
	s_or_b32 exec_lo, exec_lo, s27
	v_lshlrev_b32_sdwa v2, v61, v2 dst_sel:DWORD dst_unused:UNUSED_PAD src0_sel:DWORD src1_sel:WORD_0
	v_lshl_add_u32 v63, v63, 10, 0x2000
	v_lshlrev_b32_e32 v62, 23, v62
	v_and_or_b32 v2, 0x8000, v2, v63
	v_lshl_or_b32 v106, v2, 16, v62
.LBB329_3809:                           ;   in Loop: Header=BB329_2079 Depth=1
	s_or_b32 exec_lo, exec_lo, s26
.LBB329_3810:                           ;   in Loop: Header=BB329_2079 Depth=1
	s_or_b32 exec_lo, exec_lo, s25
.LBB329_3811:                           ;   in Loop: Header=BB329_2079 Depth=1
	s_or_b32 exec_lo, exec_lo, s21
	v_lshrrev_b32_e32 v2, 16, v13
	v_mov_b32_e32 v108, 0
	v_mov_b32_e32 v109, 0
	v_cmp_ne_u16_sdwa s12, v2, v3 src0_sel:BYTE_0 src1_sel:DWORD
	s_and_saveexec_b32 s21, s12
	s_cbranch_execz .LBB329_3819
; %bb.3812:                             ;   in Loop: Header=BB329_2079 Depth=1
	v_cmp_ne_u16_sdwa s12, v2, v96 src0_sel:BYTE_0 src1_sel:DWORD
	v_mov_b32_e32 v109, 0x8000
	s_and_saveexec_b32 s25, s12
	s_cbranch_execz .LBB329_3818
; %bb.3813:                             ;   in Loop: Header=BB329_2079 Depth=1
	v_bfe_u32 v110, v13, 16, 7
	v_mov_b32_e32 v109, 0x7c01
	s_mov_b32 s26, exec_lo
	v_cmpx_ne_u32_e32 0x7f, v110
	s_cbranch_execz .LBB329_3817
; %bb.3814:                             ;   in Loop: Header=BB329_2079 Depth=1
	v_and_b32_e32 v62, 7, v2
	v_lshrrev_b32_e32 v63, 3, v110
	s_mov_b32 s27, exec_lo
	v_cmpx_gt_u32_e32 8, v110
; %bb.3815:                             ;   in Loop: Header=BB329_2079 Depth=1
	v_ffbh_u32_e32 v62, v62
	v_min_u32_e32 v109, 32, v62
	v_subrev_nc_u32_e32 v62, 28, v109
	v_lshlrev_b64 v[62:63], v62, v[2:3]
	v_sub_nc_u32_e32 v63, 29, v109
	v_and_b32_e32 v62, 7, v62
; %bb.3816:                             ;   in Loop: Header=BB329_2079 Depth=1
	s_or_b32 exec_lo, exec_lo, s27
	v_lshlrev_b32_e32 v2, 8, v2
	v_lshl_add_u32 v63, v63, 10, 0x2000
	v_lshlrev_b32_e32 v62, 7, v62
	v_and_b32_e32 v2, 0x8000, v2
	v_and_b32_e32 v63, 0xfc00, v63
	v_or3_b32 v109, v2, v63, v62
.LBB329_3817:                           ;   in Loop: Header=BB329_2079 Depth=1
	s_or_b32 exec_lo, exec_lo, s26
.LBB329_3818:                           ;   in Loop: Header=BB329_2079 Depth=1
	s_or_b32 exec_lo, exec_lo, s25
.LBB329_3819:                           ;   in Loop: Header=BB329_2079 Depth=1
	s_or_b32 exec_lo, exec_lo, s21
	s_mov_b32 s21, exec_lo
	v_cmpx_lt_u32_e32 0xffffff, v13
	s_cbranch_execz .LBB329_3827
; %bb.3820:                             ;   in Loop: Header=BB329_2079 Depth=1
	v_lshrrev_b32_e32 v2, 24, v13
	v_bfrev_b32_e32 v108, 1
	s_mov_b32 s25, exec_lo
	v_cmpx_ne_u32_e32 0x80, v2
	s_cbranch_execz .LBB329_3826
; %bb.3821:                             ;   in Loop: Header=BB329_2079 Depth=1
	v_and_b32_e32 v110, 0x7f, v2
	v_mov_b32_e32 v108, 0x7c010000
	s_mov_b32 s26, exec_lo
	v_cmpx_ne_u32_e32 0x7f, v110
	s_cbranch_execz .LBB329_3825
; %bb.3822:                             ;   in Loop: Header=BB329_2079 Depth=1
	v_and_b32_e32 v62, 7, v2
	v_lshrrev_b32_e32 v63, 3, v110
	s_mov_b32 s27, exec_lo
	v_cmpx_gt_u32_e32 8, v110
; %bb.3823:                             ;   in Loop: Header=BB329_2079 Depth=1
	v_ffbh_u32_e32 v62, v62
	v_min_u32_e32 v108, 32, v62
	v_subrev_nc_u32_e32 v62, 28, v108
	v_lshlrev_b64 v[62:63], v62, v[2:3]
	v_sub_nc_u32_e32 v63, 29, v108
	v_and_b32_e32 v62, 7, v62
; %bb.3824:                             ;   in Loop: Header=BB329_2079 Depth=1
	s_or_b32 exec_lo, exec_lo, s27
	v_lshlrev_b32_e32 v2, 8, v2
	v_lshl_add_u32 v63, v63, 10, 0x2000
	v_lshlrev_b32_e32 v62, 23, v62
	v_and_or_b32 v2, 0x8000, v2, v63
	v_lshl_or_b32 v108, v2, 16, v62
.LBB329_3825:                           ;   in Loop: Header=BB329_2079 Depth=1
	s_or_b32 exec_lo, exec_lo, s26
.LBB329_3826:                           ;   in Loop: Header=BB329_2079 Depth=1
	s_or_b32 exec_lo, exec_lo, s25
.LBB329_3827:                           ;   in Loop: Header=BB329_2079 Depth=1
	s_or_b32 exec_lo, exec_lo, s21
	v_mov_b32_e32 v2, v14
	v_cmp_ne_u16_sdwa s12, v14, v3 src0_sel:BYTE_0 src1_sel:DWORD
	v_mov_b32_e32 v62, 0
	v_mov_b32_e32 v63, 0
	s_and_saveexec_b32 s21, s12
	s_cbranch_execz .LBB329_3835
; %bb.3828:                             ;   in Loop: Header=BB329_2079 Depth=1
	v_cmp_ne_u16_sdwa s12, v14, v96 src0_sel:BYTE_0 src1_sel:DWORD
	v_mov_b32_e32 v63, 0x8000
	s_and_saveexec_b32 s25, s12
	s_cbranch_execz .LBB329_3834
; %bb.3829:                             ;   in Loop: Header=BB329_2079 Depth=1
	v_and_b32_e32 v111, 0x7f, v14
	v_mov_b32_e32 v63, 0x7c01
	s_mov_b32 s26, exec_lo
	v_cmpx_ne_u32_e32 0x7f, v111
	s_cbranch_execz .LBB329_3833
; %bb.3830:                             ;   in Loop: Header=BB329_2079 Depth=1
	v_and_b32_e32 v63, 7, v14
	v_lshrrev_b32_e32 v110, 3, v111
	s_mov_b32 s27, exec_lo
	v_cmpx_gt_u32_e32 8, v111
; %bb.3831:                             ;   in Loop: Header=BB329_2079 Depth=1
	v_ffbh_u32_e32 v63, v63
	v_min_u32_e32 v63, 32, v63
	v_subrev_nc_u32_e32 v110, 28, v63
	v_lshlrev_b64 v[120:121], v110, v[2:3]
	v_sub_nc_u32_e32 v110, 29, v63
	v_and_b32_e32 v63, 7, v120
; %bb.3832:                             ;   in Loop: Header=BB329_2079 Depth=1
	s_or_b32 exec_lo, exec_lo, s27
	v_lshlrev_b32_e32 v111, 8, v14
	v_lshl_add_u32 v110, v110, 10, 0x2000
	v_lshlrev_b32_e32 v63, 7, v63
	v_and_b32_e32 v111, 0x8000, v111
	v_and_b32_e32 v110, 0xfc00, v110
	v_or3_b32 v63, v111, v110, v63
.LBB329_3833:                           ;   in Loop: Header=BB329_2079 Depth=1
	s_or_b32 exec_lo, exec_lo, s26
.LBB329_3834:                           ;   in Loop: Header=BB329_2079 Depth=1
	s_or_b32 exec_lo, exec_lo, s25
.LBB329_3835:                           ;   in Loop: Header=BB329_2079 Depth=1
	s_or_b32 exec_lo, exec_lo, s21
	v_lshrrev_b16 v2, 8, v2
	v_mov_b32_e32 v110, 0
	s_mov_b32 s21, exec_lo
	v_cmpx_ne_u16_e32 0, v2
	s_cbranch_execz .LBB329_3843
; %bb.3836:                             ;   in Loop: Header=BB329_2079 Depth=1
	v_bfrev_b32_e32 v110, 1
	s_mov_b32 s25, exec_lo
	v_cmpx_ne_u16_e32 0x80, v2
	s_cbranch_execz .LBB329_3842
; %bb.3837:                             ;   in Loop: Header=BB329_2079 Depth=1
	v_and_b32_sdwa v120, v2, v97 dst_sel:DWORD dst_unused:UNUSED_PAD src0_sel:WORD_0 src1_sel:DWORD
	v_mov_b32_e32 v110, 0x7c010000
	s_mov_b32 s26, exec_lo
	v_cmpx_ne_u32_e32 0x7f, v120
	s_cbranch_execz .LBB329_3841
; %bb.3838:                             ;   in Loop: Header=BB329_2079 Depth=1
	v_and_b32_sdwa v110, v2, v64 dst_sel:DWORD dst_unused:UNUSED_PAD src0_sel:WORD_0 src1_sel:DWORD
	v_lshrrev_b32_e32 v111, 3, v120
	s_mov_b32 s27, exec_lo
	v_cmpx_gt_u32_e32 8, v120
; %bb.3839:                             ;   in Loop: Header=BB329_2079 Depth=1
	v_ffbh_u32_e32 v110, v110
	v_min_u32_e32 v120, 32, v110
	v_subrev_nc_u32_e32 v110, 28, v120
	v_lshlrev_b64 v[110:111], v110, v[2:3]
	v_sub_nc_u32_e32 v111, 29, v120
	v_and_b32_e32 v110, 7, v110
; %bb.3840:                             ;   in Loop: Header=BB329_2079 Depth=1
	s_or_b32 exec_lo, exec_lo, s27
	v_lshlrev_b32_sdwa v2, v61, v2 dst_sel:DWORD dst_unused:UNUSED_PAD src0_sel:DWORD src1_sel:WORD_0
	v_lshl_add_u32 v111, v111, 10, 0x2000
	v_lshlrev_b32_e32 v110, 23, v110
	v_and_or_b32 v2, 0x8000, v2, v111
	v_lshl_or_b32 v110, v2, 16, v110
.LBB329_3841:                           ;   in Loop: Header=BB329_2079 Depth=1
	s_or_b32 exec_lo, exec_lo, s26
.LBB329_3842:                           ;   in Loop: Header=BB329_2079 Depth=1
	s_or_b32 exec_lo, exec_lo, s25
.LBB329_3843:                           ;   in Loop: Header=BB329_2079 Depth=1
	s_or_b32 exec_lo, exec_lo, s21
	v_lshrrev_b32_e32 v2, 16, v14
	v_cmp_ne_u16_sdwa s12, v2, v3 src0_sel:BYTE_0 src1_sel:DWORD
	s_and_saveexec_b32 s21, s12
	s_cbranch_execz .LBB329_3851
; %bb.3844:                             ;   in Loop: Header=BB329_2079 Depth=1
	v_cmp_ne_u16_sdwa s12, v2, v96 src0_sel:BYTE_0 src1_sel:DWORD
	v_mov_b32_e32 v62, 0x8000
	s_and_saveexec_b32 s25, s12
	s_cbranch_execz .LBB329_3850
; %bb.3845:                             ;   in Loop: Header=BB329_2079 Depth=1
	v_bfe_u32 v120, v14, 16, 7
	v_mov_b32_e32 v62, 0x7c01
	s_mov_b32 s26, exec_lo
	v_cmpx_ne_u32_e32 0x7f, v120
	s_cbranch_execz .LBB329_3849
; %bb.3846:                             ;   in Loop: Header=BB329_2079 Depth=1
	v_and_b32_e32 v62, 7, v2
	v_lshrrev_b32_e32 v111, 3, v120
	s_mov_b32 s27, exec_lo
	v_cmpx_gt_u32_e32 8, v120
; %bb.3847:                             ;   in Loop: Header=BB329_2079 Depth=1
	v_ffbh_u32_e32 v62, v62
	v_min_u32_e32 v62, 32, v62
	v_subrev_nc_u32_e32 v111, 28, v62
	v_lshlrev_b64 v[120:121], v111, v[2:3]
	v_sub_nc_u32_e32 v111, 29, v62
	v_and_b32_e32 v62, 7, v120
; %bb.3848:                             ;   in Loop: Header=BB329_2079 Depth=1
	s_or_b32 exec_lo, exec_lo, s27
	v_lshlrev_b32_e32 v2, 8, v2
	v_lshl_add_u32 v111, v111, 10, 0x2000
	v_lshlrev_b32_e32 v62, 7, v62
	v_and_b32_e32 v2, 0x8000, v2
	v_and_b32_e32 v111, 0xfc00, v111
	v_or3_b32 v62, v2, v111, v62
.LBB329_3849:                           ;   in Loop: Header=BB329_2079 Depth=1
	s_or_b32 exec_lo, exec_lo, s26
.LBB329_3850:                           ;   in Loop: Header=BB329_2079 Depth=1
	s_or_b32 exec_lo, exec_lo, s25
.LBB329_3851:                           ;   in Loop: Header=BB329_2079 Depth=1
	s_or_b32 exec_lo, exec_lo, s21
	v_cmp_lt_u64_e64 s12, s[22:23], v[13:14]
	v_mov_b32_e32 v13, 0
	s_and_saveexec_b32 s21, s12
	s_cbranch_execz .LBB329_3859
; %bb.3852:                             ;   in Loop: Header=BB329_2079 Depth=1
	v_lshrrev_b32_e32 v2, 24, v14
	v_bfrev_b32_e32 v13, 1
	s_mov_b32 s25, exec_lo
	v_cmpx_ne_u32_e32 0x80, v2
	s_cbranch_execz .LBB329_3858
; %bb.3853:                             ;   in Loop: Header=BB329_2079 Depth=1
	v_and_b32_e32 v111, 0x7f, v2
	v_mov_b32_e32 v13, 0x7c010000
	s_mov_b32 s26, exec_lo
	v_cmpx_ne_u32_e32 0x7f, v111
	s_cbranch_execz .LBB329_3857
; %bb.3854:                             ;   in Loop: Header=BB329_2079 Depth=1
	v_and_b32_e32 v13, 7, v2
	v_lshrrev_b32_e32 v14, 3, v111
	s_mov_b32 s27, exec_lo
	v_cmpx_gt_u32_e32 8, v111
; %bb.3855:                             ;   in Loop: Header=BB329_2079 Depth=1
	v_ffbh_u32_e32 v13, v13
	v_min_u32_e32 v111, 32, v13
	v_subrev_nc_u32_e32 v13, 28, v111
	v_lshlrev_b64 v[13:14], v13, v[2:3]
	v_sub_nc_u32_e32 v14, 29, v111
	v_and_b32_e32 v13, 7, v13
; %bb.3856:                             ;   in Loop: Header=BB329_2079 Depth=1
	s_or_b32 exec_lo, exec_lo, s27
	v_lshlrev_b32_e32 v2, 8, v2
	v_lshl_add_u32 v14, v14, 10, 0x2000
	v_lshlrev_b32_e32 v13, 23, v13
	v_and_or_b32 v2, 0x8000, v2, v14
	v_lshl_or_b32 v13, v2, 16, v13
.LBB329_3857:                           ;   in Loop: Header=BB329_2079 Depth=1
	s_or_b32 exec_lo, exec_lo, s26
.LBB329_3858:                           ;   in Loop: Header=BB329_2079 Depth=1
	s_or_b32 exec_lo, exec_lo, s25
.LBB329_3859:                           ;   in Loop: Header=BB329_2079 Depth=1
	s_or_b32 exec_lo, exec_lo, s21
	v_or_b32_e32 v2, v108, v109
	v_or_b32_e32 v107, v106, v107
	s_waitcnt vmcnt(0) lgkmcnt(0)
	v_fma_mixlo_f16 v106, v105, v106, 0 op_sel:[0,1,0] op_sel_hi:[0,1,0]
	v_or_b32_e32 v63, v110, v63
	v_or_b32_e32 v109, v13, v62
	v_fma_mixlo_f16 v14, v105, v108, 0 op_sel:[0,1,0] op_sel_hi:[0,1,0]
	v_fma_mixlo_f16 v108, v105, v2, 0 op_sel_hi:[0,1,0]
	v_lshlrev_b32_e32 v62, 16, v106
	v_fma_mixlo_f16 v106, v105, v107, 0 op_sel_hi:[0,1,0]
	v_fma_mixlo_f16 v107, v105, v110, 0 op_sel:[0,1,0] op_sel_hi:[0,1,0]
	v_fma_mixlo_f16 v63, v105, v63, 0 op_sel_hi:[0,1,0]
	v_fma_mixlo_f16 v13, v105, v13, 0 op_sel:[0,1,0] op_sel_hi:[0,1,0]
	v_fma_mixlo_f16 v105, v105, v109, 0 op_sel_hi:[0,1,0]
	v_lshlrev_b32_e32 v2, 16, v14
	v_and_b32_e32 v14, 0xffff, v108
	v_and_b32_e32 v111, 0xffff, v106
	v_lshlrev_b32_e32 v108, 16, v107
	v_and_b32_e32 v110, 0xffff, v63
	v_lshlrev_b32_e32 v107, 16, v13
	v_and_b32_e32 v109, 0xffff, v105
	v_or_b32_e32 v13, v2, v14
	v_or_b32_e32 v106, v62, v111
	;; [unrolled: 1-line block ×4, first 2 shown]
	s_and_saveexec_b32 s12, s6
	s_cbranch_execz .LBB329_3861
; %bb.3860:                             ;   in Loop: Header=BB329_2079 Depth=1
	v_cndmask_b32_e32 v13, 0, v111, vcc_lo
	v_cndmask_b32_e64 v62, 0, v62, s5
	v_cndmask_b32_e64 v14, 0, v14, s4
	v_cndmask_b32_e64 v2, 0, v2, s7
	v_cndmask_b32_e64 v63, 0, v110, s8
	v_cndmask_b32_e64 v105, 0, v108, s9
	v_cndmask_b32_e64 v108, 0, v109, s10
	v_cndmask_b32_e64 v107, 0, v107, s11
	v_or_b32_e32 v106, v13, v62
	v_or_b32_e32 v13, v14, v2
	;; [unrolled: 1-line block ×4, first 2 shown]
.LBB329_3861:                           ;   in Loop: Header=BB329_2079 Depth=1
	s_or_b32 exec_lo, exec_lo, s12
	;;#ASMSTART
	v_pk_mul_f16 v2, v103, v106;

	;;#ASMEND
	;;#ASMSTART
	v_pk_mul_f16 v13, v102, v13;

	;;#ASMEND
	;; [unrolled: 4-line block ×4, first 2 shown]
	;;#ASMSTART
	v_pk_add_f16 v2, v2, v13;

	;;#ASMEND
	;;#ASMSTART
	v_pk_add_f16 v2, v2, v14;

	;;#ASMEND
	;; [unrolled: 4-line block ×3, first 2 shown]
	v_and_b32_e32 v13, 0xffff, v2
	v_lshrrev_b32_e32 v2, 16, v2
	;;#ASMSTART
	v_cvt_f32_f16 v105, v13;
	;;#ASMEND
	;;#ASMSTART
	v_cvt_f32_f16 v106, v2;
	;;#ASMEND
	flat_load_dwordx2 v[13:14], v[11:12] offset:768
	s_clause 0x1
	buffer_load_dword v62, off, s[0:3], s32 offset:192
	buffer_load_dword v63, off, s[0:3], s32 offset:196
	v_mov_b32_e32 v108, 0
	v_mov_b32_e32 v109, 0
	s_waitcnt vmcnt(2) lgkmcnt(0)
	v_cmp_ne_u16_sdwa s12, v13, v3 src0_sel:BYTE_0 src1_sel:DWORD
	s_waitcnt vmcnt(0)
	flat_load_dword v107, v[62:63]
	s_and_saveexec_b32 s21, s12
	s_cbranch_execz .LBB329_3869
; %bb.3862:                             ;   in Loop: Header=BB329_2079 Depth=1
	v_cmp_ne_u16_sdwa s12, v13, v96 src0_sel:BYTE_0 src1_sel:DWORD
	v_mov_b32_e32 v109, 0x8000
	s_and_saveexec_b32 s25, s12
	s_cbranch_execz .LBB329_3868
; %bb.3863:                             ;   in Loop: Header=BB329_2079 Depth=1
	v_and_b32_e32 v63, 0x7f, v13
	v_mov_b32_e32 v109, 0x7c01
	s_mov_b32 s26, exec_lo
	v_cmpx_ne_u32_e32 0x7f, v63
	s_cbranch_execz .LBB329_3867
; %bb.3864:                             ;   in Loop: Header=BB329_2079 Depth=1
	v_and_b32_e32 v2, 7, v13
	v_lshrrev_b32_e32 v62, 3, v63
	s_mov_b32 s27, exec_lo
	v_cmpx_gt_u32_e32 8, v63
; %bb.3865:                             ;   in Loop: Header=BB329_2079 Depth=1
	v_ffbh_u32_e32 v2, v2
	v_min_u32_e32 v2, 32, v2
	v_subrev_nc_u32_e32 v62, 28, v2
	v_lshlrev_b64 v[109:110], v62, v[13:14]
	v_sub_nc_u32_e32 v62, 29, v2
	v_and_b32_e32 v2, 7, v109
; %bb.3866:                             ;   in Loop: Header=BB329_2079 Depth=1
	s_or_b32 exec_lo, exec_lo, s27
	v_lshlrev_b32_e32 v63, 8, v13
	v_lshl_add_u32 v62, v62, 10, 0x2000
	v_lshlrev_b32_e32 v2, 7, v2
	v_and_b32_e32 v63, 0x8000, v63
	v_and_b32_e32 v62, 0xfc00, v62
	v_or3_b32 v109, v63, v62, v2
.LBB329_3867:                           ;   in Loop: Header=BB329_2079 Depth=1
	s_or_b32 exec_lo, exec_lo, s26
.LBB329_3868:                           ;   in Loop: Header=BB329_2079 Depth=1
	s_or_b32 exec_lo, exec_lo, s25
.LBB329_3869:                           ;   in Loop: Header=BB329_2079 Depth=1
	s_or_b32 exec_lo, exec_lo, s21
	v_lshrrev_b16 v2, 8, v13
	s_mov_b32 s21, exec_lo
	v_cmpx_ne_u16_e32 0, v2
	s_cbranch_execz .LBB329_3877
; %bb.3870:                             ;   in Loop: Header=BB329_2079 Depth=1
	v_bfrev_b32_e32 v108, 1
	s_mov_b32 s25, exec_lo
	v_cmpx_ne_u16_e32 0x80, v2
	s_cbranch_execz .LBB329_3876
; %bb.3871:                             ;   in Loop: Header=BB329_2079 Depth=1
	v_and_b32_sdwa v110, v2, v97 dst_sel:DWORD dst_unused:UNUSED_PAD src0_sel:WORD_0 src1_sel:DWORD
	v_mov_b32_e32 v108, 0x7c010000
	s_mov_b32 s26, exec_lo
	v_cmpx_ne_u32_e32 0x7f, v110
	s_cbranch_execz .LBB329_3875
; %bb.3872:                             ;   in Loop: Header=BB329_2079 Depth=1
	v_and_b32_sdwa v62, v2, v64 dst_sel:DWORD dst_unused:UNUSED_PAD src0_sel:WORD_0 src1_sel:DWORD
	v_lshrrev_b32_e32 v63, 3, v110
	s_mov_b32 s27, exec_lo
	v_cmpx_gt_u32_e32 8, v110
; %bb.3873:                             ;   in Loop: Header=BB329_2079 Depth=1
	v_ffbh_u32_e32 v62, v62
	v_min_u32_e32 v108, 32, v62
	v_subrev_nc_u32_e32 v62, 28, v108
	v_lshlrev_b64 v[62:63], v62, v[2:3]
	v_sub_nc_u32_e32 v63, 29, v108
	v_and_b32_e32 v62, 7, v62
; %bb.3874:                             ;   in Loop: Header=BB329_2079 Depth=1
	s_or_b32 exec_lo, exec_lo, s27
	v_lshlrev_b32_sdwa v2, v61, v2 dst_sel:DWORD dst_unused:UNUSED_PAD src0_sel:DWORD src1_sel:WORD_0
	v_lshl_add_u32 v63, v63, 10, 0x2000
	v_lshlrev_b32_e32 v62, 23, v62
	v_and_or_b32 v2, 0x8000, v2, v63
	v_lshl_or_b32 v108, v2, 16, v62
.LBB329_3875:                           ;   in Loop: Header=BB329_2079 Depth=1
	s_or_b32 exec_lo, exec_lo, s26
.LBB329_3876:                           ;   in Loop: Header=BB329_2079 Depth=1
	s_or_b32 exec_lo, exec_lo, s25
.LBB329_3877:                           ;   in Loop: Header=BB329_2079 Depth=1
	s_or_b32 exec_lo, exec_lo, s21
	v_lshrrev_b32_e32 v2, 16, v13
	v_mov_b32_e32 v110, 0
	v_mov_b32_e32 v111, 0
	v_cmp_ne_u16_sdwa s12, v2, v3 src0_sel:BYTE_0 src1_sel:DWORD
	s_and_saveexec_b32 s21, s12
	s_cbranch_execz .LBB329_3885
; %bb.3878:                             ;   in Loop: Header=BB329_2079 Depth=1
	v_cmp_ne_u16_sdwa s12, v2, v96 src0_sel:BYTE_0 src1_sel:DWORD
	v_mov_b32_e32 v111, 0x8000
	s_and_saveexec_b32 s25, s12
	s_cbranch_execz .LBB329_3884
; %bb.3879:                             ;   in Loop: Header=BB329_2079 Depth=1
	v_bfe_u32 v120, v13, 16, 7
	v_mov_b32_e32 v111, 0x7c01
	s_mov_b32 s26, exec_lo
	v_cmpx_ne_u32_e32 0x7f, v120
	s_cbranch_execz .LBB329_3883
; %bb.3880:                             ;   in Loop: Header=BB329_2079 Depth=1
	v_and_b32_e32 v62, 7, v2
	v_lshrrev_b32_e32 v63, 3, v120
	s_mov_b32 s27, exec_lo
	v_cmpx_gt_u32_e32 8, v120
; %bb.3881:                             ;   in Loop: Header=BB329_2079 Depth=1
	v_ffbh_u32_e32 v62, v62
	v_min_u32_e32 v111, 32, v62
	v_subrev_nc_u32_e32 v62, 28, v111
	v_lshlrev_b64 v[62:63], v62, v[2:3]
	v_sub_nc_u32_e32 v63, 29, v111
	v_and_b32_e32 v62, 7, v62
; %bb.3882:                             ;   in Loop: Header=BB329_2079 Depth=1
	s_or_b32 exec_lo, exec_lo, s27
	v_lshlrev_b32_e32 v2, 8, v2
	v_lshl_add_u32 v63, v63, 10, 0x2000
	v_lshlrev_b32_e32 v62, 7, v62
	v_and_b32_e32 v2, 0x8000, v2
	v_and_b32_e32 v63, 0xfc00, v63
	v_or3_b32 v111, v2, v63, v62
.LBB329_3883:                           ;   in Loop: Header=BB329_2079 Depth=1
	s_or_b32 exec_lo, exec_lo, s26
.LBB329_3884:                           ;   in Loop: Header=BB329_2079 Depth=1
	s_or_b32 exec_lo, exec_lo, s25
.LBB329_3885:                           ;   in Loop: Header=BB329_2079 Depth=1
	s_or_b32 exec_lo, exec_lo, s21
	s_mov_b32 s21, exec_lo
	v_cmpx_lt_u32_e32 0xffffff, v13
	s_cbranch_execz .LBB329_3893
; %bb.3886:                             ;   in Loop: Header=BB329_2079 Depth=1
	v_lshrrev_b32_e32 v2, 24, v13
	v_bfrev_b32_e32 v110, 1
	s_mov_b32 s25, exec_lo
	v_cmpx_ne_u32_e32 0x80, v2
	s_cbranch_execz .LBB329_3892
; %bb.3887:                             ;   in Loop: Header=BB329_2079 Depth=1
	v_and_b32_e32 v120, 0x7f, v2
	v_mov_b32_e32 v110, 0x7c010000
	s_mov_b32 s26, exec_lo
	v_cmpx_ne_u32_e32 0x7f, v120
	s_cbranch_execz .LBB329_3891
; %bb.3888:                             ;   in Loop: Header=BB329_2079 Depth=1
	v_and_b32_e32 v62, 7, v2
	v_lshrrev_b32_e32 v63, 3, v120
	s_mov_b32 s27, exec_lo
	v_cmpx_gt_u32_e32 8, v120
; %bb.3889:                             ;   in Loop: Header=BB329_2079 Depth=1
	v_ffbh_u32_e32 v62, v62
	v_min_u32_e32 v110, 32, v62
	v_subrev_nc_u32_e32 v62, 28, v110
	v_lshlrev_b64 v[62:63], v62, v[2:3]
	v_sub_nc_u32_e32 v63, 29, v110
	v_and_b32_e32 v62, 7, v62
; %bb.3890:                             ;   in Loop: Header=BB329_2079 Depth=1
	s_or_b32 exec_lo, exec_lo, s27
	v_lshlrev_b32_e32 v2, 8, v2
	v_lshl_add_u32 v63, v63, 10, 0x2000
	v_lshlrev_b32_e32 v62, 23, v62
	v_and_or_b32 v2, 0x8000, v2, v63
	v_lshl_or_b32 v110, v2, 16, v62
.LBB329_3891:                           ;   in Loop: Header=BB329_2079 Depth=1
	s_or_b32 exec_lo, exec_lo, s26
.LBB329_3892:                           ;   in Loop: Header=BB329_2079 Depth=1
	s_or_b32 exec_lo, exec_lo, s25
.LBB329_3893:                           ;   in Loop: Header=BB329_2079 Depth=1
	s_or_b32 exec_lo, exec_lo, s21
	v_mov_b32_e32 v2, v14
	v_cmp_ne_u16_sdwa s12, v14, v3 src0_sel:BYTE_0 src1_sel:DWORD
	v_mov_b32_e32 v62, 0
	v_mov_b32_e32 v63, 0
	s_and_saveexec_b32 s21, s12
	s_cbranch_execz .LBB329_3901
; %bb.3894:                             ;   in Loop: Header=BB329_2079 Depth=1
	v_cmp_ne_u16_sdwa s12, v14, v96 src0_sel:BYTE_0 src1_sel:DWORD
	v_mov_b32_e32 v63, 0x8000
	s_and_saveexec_b32 s25, s12
	s_cbranch_execz .LBB329_3900
; %bb.3895:                             ;   in Loop: Header=BB329_2079 Depth=1
	v_and_b32_e32 v121, 0x7f, v14
	v_mov_b32_e32 v63, 0x7c01
	s_mov_b32 s26, exec_lo
	v_cmpx_ne_u32_e32 0x7f, v121
	s_cbranch_execz .LBB329_3899
; %bb.3896:                             ;   in Loop: Header=BB329_2079 Depth=1
	v_and_b32_e32 v63, 7, v14
	v_lshrrev_b32_e32 v120, 3, v121
	s_mov_b32 s27, exec_lo
	v_cmpx_gt_u32_e32 8, v121
; %bb.3897:                             ;   in Loop: Header=BB329_2079 Depth=1
	v_ffbh_u32_e32 v63, v63
	v_min_u32_e32 v63, 32, v63
	v_subrev_nc_u32_e32 v120, 28, v63
	v_lshlrev_b64 v[121:122], v120, v[2:3]
	v_sub_nc_u32_e32 v120, 29, v63
	v_and_b32_e32 v63, 7, v121
; %bb.3898:                             ;   in Loop: Header=BB329_2079 Depth=1
	s_or_b32 exec_lo, exec_lo, s27
	v_lshlrev_b32_e32 v121, 8, v14
	v_lshl_add_u32 v120, v120, 10, 0x2000
	v_lshlrev_b32_e32 v63, 7, v63
	v_and_b32_e32 v121, 0x8000, v121
	v_and_b32_e32 v120, 0xfc00, v120
	v_or3_b32 v63, v121, v120, v63
.LBB329_3899:                           ;   in Loop: Header=BB329_2079 Depth=1
	s_or_b32 exec_lo, exec_lo, s26
.LBB329_3900:                           ;   in Loop: Header=BB329_2079 Depth=1
	s_or_b32 exec_lo, exec_lo, s25
.LBB329_3901:                           ;   in Loop: Header=BB329_2079 Depth=1
	s_or_b32 exec_lo, exec_lo, s21
	v_lshrrev_b16 v2, 8, v2
	v_mov_b32_e32 v120, 0
	s_mov_b32 s21, exec_lo
	v_cmpx_ne_u16_e32 0, v2
	s_cbranch_execz .LBB329_3909
; %bb.3902:                             ;   in Loop: Header=BB329_2079 Depth=1
	v_bfrev_b32_e32 v120, 1
	s_mov_b32 s25, exec_lo
	v_cmpx_ne_u16_e32 0x80, v2
	s_cbranch_execz .LBB329_3908
; %bb.3903:                             ;   in Loop: Header=BB329_2079 Depth=1
	v_and_b32_sdwa v122, v2, v97 dst_sel:DWORD dst_unused:UNUSED_PAD src0_sel:WORD_0 src1_sel:DWORD
	v_mov_b32_e32 v120, 0x7c010000
	s_mov_b32 s26, exec_lo
	v_cmpx_ne_u32_e32 0x7f, v122
	s_cbranch_execz .LBB329_3907
; %bb.3904:                             ;   in Loop: Header=BB329_2079 Depth=1
	v_and_b32_sdwa v120, v2, v64 dst_sel:DWORD dst_unused:UNUSED_PAD src0_sel:WORD_0 src1_sel:DWORD
	v_lshrrev_b32_e32 v121, 3, v122
	s_mov_b32 s27, exec_lo
	v_cmpx_gt_u32_e32 8, v122
; %bb.3905:                             ;   in Loop: Header=BB329_2079 Depth=1
	v_ffbh_u32_e32 v120, v120
	v_min_u32_e32 v122, 32, v120
	v_subrev_nc_u32_e32 v120, 28, v122
	v_lshlrev_b64 v[120:121], v120, v[2:3]
	v_sub_nc_u32_e32 v121, 29, v122
	v_and_b32_e32 v120, 7, v120
; %bb.3906:                             ;   in Loop: Header=BB329_2079 Depth=1
	s_or_b32 exec_lo, exec_lo, s27
	v_lshlrev_b32_sdwa v2, v61, v2 dst_sel:DWORD dst_unused:UNUSED_PAD src0_sel:DWORD src1_sel:WORD_0
	v_lshl_add_u32 v121, v121, 10, 0x2000
	v_lshlrev_b32_e32 v120, 23, v120
	v_and_or_b32 v2, 0x8000, v2, v121
	v_lshl_or_b32 v120, v2, 16, v120
.LBB329_3907:                           ;   in Loop: Header=BB329_2079 Depth=1
	s_or_b32 exec_lo, exec_lo, s26
.LBB329_3908:                           ;   in Loop: Header=BB329_2079 Depth=1
	s_or_b32 exec_lo, exec_lo, s25
.LBB329_3909:                           ;   in Loop: Header=BB329_2079 Depth=1
	s_or_b32 exec_lo, exec_lo, s21
	v_lshrrev_b32_e32 v2, 16, v14
	v_cmp_ne_u16_sdwa s12, v2, v3 src0_sel:BYTE_0 src1_sel:DWORD
	s_and_saveexec_b32 s21, s12
	s_cbranch_execz .LBB329_3917
; %bb.3910:                             ;   in Loop: Header=BB329_2079 Depth=1
	v_cmp_ne_u16_sdwa s12, v2, v96 src0_sel:BYTE_0 src1_sel:DWORD
	v_mov_b32_e32 v62, 0x8000
	s_and_saveexec_b32 s25, s12
	s_cbranch_execz .LBB329_3916
; %bb.3911:                             ;   in Loop: Header=BB329_2079 Depth=1
	v_bfe_u32 v122, v14, 16, 7
	v_mov_b32_e32 v62, 0x7c01
	s_mov_b32 s26, exec_lo
	v_cmpx_ne_u32_e32 0x7f, v122
	s_cbranch_execz .LBB329_3915
; %bb.3912:                             ;   in Loop: Header=BB329_2079 Depth=1
	v_and_b32_e32 v62, 7, v2
	v_lshrrev_b32_e32 v121, 3, v122
	s_mov_b32 s27, exec_lo
	v_cmpx_gt_u32_e32 8, v122
; %bb.3913:                             ;   in Loop: Header=BB329_2079 Depth=1
	v_ffbh_u32_e32 v62, v62
	v_min_u32_e32 v62, 32, v62
	v_subrev_nc_u32_e32 v121, 28, v62
	v_lshlrev_b64 v[122:123], v121, v[2:3]
	v_sub_nc_u32_e32 v121, 29, v62
	v_and_b32_e32 v62, 7, v122
; %bb.3914:                             ;   in Loop: Header=BB329_2079 Depth=1
	s_or_b32 exec_lo, exec_lo, s27
	v_lshlrev_b32_e32 v2, 8, v2
	v_lshl_add_u32 v121, v121, 10, 0x2000
	v_lshlrev_b32_e32 v62, 7, v62
	v_and_b32_e32 v2, 0x8000, v2
	v_and_b32_e32 v121, 0xfc00, v121
	v_or3_b32 v62, v2, v121, v62
.LBB329_3915:                           ;   in Loop: Header=BB329_2079 Depth=1
	s_or_b32 exec_lo, exec_lo, s26
.LBB329_3916:                           ;   in Loop: Header=BB329_2079 Depth=1
	s_or_b32 exec_lo, exec_lo, s25
.LBB329_3917:                           ;   in Loop: Header=BB329_2079 Depth=1
	s_or_b32 exec_lo, exec_lo, s21
	v_cmp_lt_u64_e64 s12, s[22:23], v[13:14]
	v_mov_b32_e32 v13, 0
	s_and_saveexec_b32 s21, s12
	s_cbranch_execz .LBB329_3925
; %bb.3918:                             ;   in Loop: Header=BB329_2079 Depth=1
	v_lshrrev_b32_e32 v2, 24, v14
	v_bfrev_b32_e32 v13, 1
	s_mov_b32 s25, exec_lo
	v_cmpx_ne_u32_e32 0x80, v2
	s_cbranch_execz .LBB329_3924
; %bb.3919:                             ;   in Loop: Header=BB329_2079 Depth=1
	v_and_b32_e32 v121, 0x7f, v2
	v_mov_b32_e32 v13, 0x7c010000
	s_mov_b32 s26, exec_lo
	v_cmpx_ne_u32_e32 0x7f, v121
	s_cbranch_execz .LBB329_3923
; %bb.3920:                             ;   in Loop: Header=BB329_2079 Depth=1
	v_and_b32_e32 v13, 7, v2
	v_lshrrev_b32_e32 v14, 3, v121
	s_mov_b32 s27, exec_lo
	v_cmpx_gt_u32_e32 8, v121
; %bb.3921:                             ;   in Loop: Header=BB329_2079 Depth=1
	v_ffbh_u32_e32 v13, v13
	v_min_u32_e32 v121, 32, v13
	v_subrev_nc_u32_e32 v13, 28, v121
	v_lshlrev_b64 v[13:14], v13, v[2:3]
	v_sub_nc_u32_e32 v14, 29, v121
	v_and_b32_e32 v13, 7, v13
; %bb.3922:                             ;   in Loop: Header=BB329_2079 Depth=1
	s_or_b32 exec_lo, exec_lo, s27
	v_lshlrev_b32_e32 v2, 8, v2
	v_lshl_add_u32 v14, v14, 10, 0x2000
	v_lshlrev_b32_e32 v13, 23, v13
	v_and_or_b32 v2, 0x8000, v2, v14
	v_lshl_or_b32 v13, v2, 16, v13
.LBB329_3923:                           ;   in Loop: Header=BB329_2079 Depth=1
	s_or_b32 exec_lo, exec_lo, s26
.LBB329_3924:                           ;   in Loop: Header=BB329_2079 Depth=1
	s_or_b32 exec_lo, exec_lo, s25
.LBB329_3925:                           ;   in Loop: Header=BB329_2079 Depth=1
	s_or_b32 exec_lo, exec_lo, s21
	v_or_b32_e32 v2, v110, v111
	v_or_b32_e32 v109, v108, v109
	s_waitcnt vmcnt(0) lgkmcnt(0)
	v_fma_mixlo_f16 v108, v107, v108, 0 op_sel:[0,1,0] op_sel_hi:[0,1,0]
	v_or_b32_e32 v63, v120, v63
	v_or_b32_e32 v111, v13, v62
	v_fma_mixlo_f16 v14, v107, v110, 0 op_sel:[0,1,0] op_sel_hi:[0,1,0]
	v_fma_mixlo_f16 v110, v107, v2, 0 op_sel_hi:[0,1,0]
	v_lshlrev_b32_e32 v62, 16, v108
	v_fma_mixlo_f16 v108, v107, v109, 0 op_sel_hi:[0,1,0]
	v_fma_mixlo_f16 v109, v107, v120, 0 op_sel:[0,1,0] op_sel_hi:[0,1,0]
	v_fma_mixlo_f16 v63, v107, v63, 0 op_sel_hi:[0,1,0]
	v_fma_mixlo_f16 v13, v107, v13, 0 op_sel:[0,1,0] op_sel_hi:[0,1,0]
	v_fma_mixlo_f16 v107, v107, v111, 0 op_sel_hi:[0,1,0]
	v_lshlrev_b32_e32 v2, 16, v14
	v_and_b32_e32 v14, 0xffff, v110
	v_and_b32_e32 v121, 0xffff, v108
	v_lshlrev_b32_e32 v110, 16, v109
	v_and_b32_e32 v120, 0xffff, v63
	v_lshlrev_b32_e32 v109, 16, v13
	v_and_b32_e32 v111, 0xffff, v107
	v_or_b32_e32 v13, v2, v14
	v_or_b32_e32 v108, v62, v121
	;; [unrolled: 1-line block ×4, first 2 shown]
	s_and_saveexec_b32 s12, s6
	s_cbranch_execz .LBB329_3927
; %bb.3926:                             ;   in Loop: Header=BB329_2079 Depth=1
	v_cndmask_b32_e32 v13, 0, v121, vcc_lo
	v_cndmask_b32_e64 v62, 0, v62, s5
	v_cndmask_b32_e64 v14, 0, v14, s4
	;; [unrolled: 1-line block ×7, first 2 shown]
	v_or_b32_e32 v108, v13, v62
	v_or_b32_e32 v13, v14, v2
	;; [unrolled: 1-line block ×4, first 2 shown]
.LBB329_3927:                           ;   in Loop: Header=BB329_2079 Depth=1
	s_or_b32 exec_lo, exec_lo, s12
	;;#ASMSTART
	v_pk_mul_f16 v2, v103, v108;

	;;#ASMEND
	;;#ASMSTART
	v_pk_mul_f16 v13, v102, v13;

	;;#ASMEND
	;;#ASMSTART
	v_pk_mul_f16 v14, v101, v107;

	;;#ASMEND
	;;#ASMSTART
	v_pk_mul_f16 v62, v100, v63;

	;;#ASMEND
	;;#ASMSTART
	v_pk_add_f16 v2, v2, v13;

	;;#ASMEND
	;;#ASMSTART
	v_pk_add_f16 v2, v2, v14;

	;;#ASMEND
	;; [unrolled: 4-line block ×3, first 2 shown]
	v_and_b32_e32 v13, 0xffff, v2
	v_lshrrev_b32_e32 v2, 16, v2
	;;#ASMSTART
	v_cvt_f32_f16 v107, v13;
	;;#ASMEND
	;;#ASMSTART
	v_cvt_f32_f16 v108, v2;
	;;#ASMEND
	flat_load_dwordx2 v[13:14], v[11:12] offset:1024
	s_clause 0x1
	buffer_load_dword v62, off, s[0:3], s32 offset:192
	buffer_load_dword v63, off, s[0:3], s32 offset:196
	v_mov_b32_e32 v110, 0
	v_mov_b32_e32 v111, 0
	s_waitcnt vmcnt(2) lgkmcnt(0)
	v_cmp_ne_u16_sdwa s12, v13, v3 src0_sel:BYTE_0 src1_sel:DWORD
	s_waitcnt vmcnt(0)
	flat_load_dword v109, v[62:63]
	s_and_saveexec_b32 s21, s12
	s_cbranch_execz .LBB329_3935
; %bb.3928:                             ;   in Loop: Header=BB329_2079 Depth=1
	v_cmp_ne_u16_sdwa s12, v13, v96 src0_sel:BYTE_0 src1_sel:DWORD
	v_mov_b32_e32 v111, 0x8000
	s_and_saveexec_b32 s25, s12
	s_cbranch_execz .LBB329_3934
; %bb.3929:                             ;   in Loop: Header=BB329_2079 Depth=1
	v_and_b32_e32 v63, 0x7f, v13
	v_mov_b32_e32 v111, 0x7c01
	s_mov_b32 s26, exec_lo
	v_cmpx_ne_u32_e32 0x7f, v63
	s_cbranch_execz .LBB329_3933
; %bb.3930:                             ;   in Loop: Header=BB329_2079 Depth=1
	v_and_b32_e32 v2, 7, v13
	v_lshrrev_b32_e32 v62, 3, v63
	s_mov_b32 s27, exec_lo
	v_cmpx_gt_u32_e32 8, v63
; %bb.3931:                             ;   in Loop: Header=BB329_2079 Depth=1
	v_ffbh_u32_e32 v2, v2
	v_min_u32_e32 v2, 32, v2
	v_subrev_nc_u32_e32 v62, 28, v2
	v_lshlrev_b64 v[120:121], v62, v[13:14]
	v_sub_nc_u32_e32 v62, 29, v2
	v_and_b32_e32 v2, 7, v120
; %bb.3932:                             ;   in Loop: Header=BB329_2079 Depth=1
	s_or_b32 exec_lo, exec_lo, s27
	v_lshlrev_b32_e32 v63, 8, v13
	v_lshl_add_u32 v62, v62, 10, 0x2000
	v_lshlrev_b32_e32 v2, 7, v2
	v_and_b32_e32 v63, 0x8000, v63
	v_and_b32_e32 v62, 0xfc00, v62
	v_or3_b32 v111, v63, v62, v2
.LBB329_3933:                           ;   in Loop: Header=BB329_2079 Depth=1
	s_or_b32 exec_lo, exec_lo, s26
.LBB329_3934:                           ;   in Loop: Header=BB329_2079 Depth=1
	s_or_b32 exec_lo, exec_lo, s25
.LBB329_3935:                           ;   in Loop: Header=BB329_2079 Depth=1
	s_or_b32 exec_lo, exec_lo, s21
	v_lshrrev_b16 v2, 8, v13
	s_mov_b32 s21, exec_lo
	v_cmpx_ne_u16_e32 0, v2
	s_cbranch_execz .LBB329_3943
; %bb.3936:                             ;   in Loop: Header=BB329_2079 Depth=1
	v_bfrev_b32_e32 v110, 1
	s_mov_b32 s25, exec_lo
	v_cmpx_ne_u16_e32 0x80, v2
	s_cbranch_execz .LBB329_3942
; %bb.3937:                             ;   in Loop: Header=BB329_2079 Depth=1
	v_and_b32_sdwa v120, v2, v97 dst_sel:DWORD dst_unused:UNUSED_PAD src0_sel:WORD_0 src1_sel:DWORD
	v_mov_b32_e32 v110, 0x7c010000
	s_mov_b32 s26, exec_lo
	v_cmpx_ne_u32_e32 0x7f, v120
	s_cbranch_execz .LBB329_3941
; %bb.3938:                             ;   in Loop: Header=BB329_2079 Depth=1
	v_and_b32_sdwa v62, v2, v64 dst_sel:DWORD dst_unused:UNUSED_PAD src0_sel:WORD_0 src1_sel:DWORD
	v_lshrrev_b32_e32 v63, 3, v120
	s_mov_b32 s27, exec_lo
	v_cmpx_gt_u32_e32 8, v120
; %bb.3939:                             ;   in Loop: Header=BB329_2079 Depth=1
	v_ffbh_u32_e32 v62, v62
	v_min_u32_e32 v110, 32, v62
	v_subrev_nc_u32_e32 v62, 28, v110
	v_lshlrev_b64 v[62:63], v62, v[2:3]
	v_sub_nc_u32_e32 v63, 29, v110
	v_and_b32_e32 v62, 7, v62
; %bb.3940:                             ;   in Loop: Header=BB329_2079 Depth=1
	s_or_b32 exec_lo, exec_lo, s27
	v_lshlrev_b32_sdwa v2, v61, v2 dst_sel:DWORD dst_unused:UNUSED_PAD src0_sel:DWORD src1_sel:WORD_0
	v_lshl_add_u32 v63, v63, 10, 0x2000
	v_lshlrev_b32_e32 v62, 23, v62
	v_and_or_b32 v2, 0x8000, v2, v63
	v_lshl_or_b32 v110, v2, 16, v62
.LBB329_3941:                           ;   in Loop: Header=BB329_2079 Depth=1
	s_or_b32 exec_lo, exec_lo, s26
.LBB329_3942:                           ;   in Loop: Header=BB329_2079 Depth=1
	s_or_b32 exec_lo, exec_lo, s25
.LBB329_3943:                           ;   in Loop: Header=BB329_2079 Depth=1
	s_or_b32 exec_lo, exec_lo, s21
	v_lshrrev_b32_e32 v2, 16, v13
	v_mov_b32_e32 v120, 0
	v_mov_b32_e32 v121, 0
	v_cmp_ne_u16_sdwa s12, v2, v3 src0_sel:BYTE_0 src1_sel:DWORD
	s_and_saveexec_b32 s21, s12
	s_cbranch_execz .LBB329_3951
; %bb.3944:                             ;   in Loop: Header=BB329_2079 Depth=1
	v_cmp_ne_u16_sdwa s12, v2, v96 src0_sel:BYTE_0 src1_sel:DWORD
	v_mov_b32_e32 v121, 0x8000
	s_and_saveexec_b32 s25, s12
	s_cbranch_execz .LBB329_3950
; %bb.3945:                             ;   in Loop: Header=BB329_2079 Depth=1
	v_bfe_u32 v122, v13, 16, 7
	v_mov_b32_e32 v121, 0x7c01
	s_mov_b32 s26, exec_lo
	v_cmpx_ne_u32_e32 0x7f, v122
	s_cbranch_execz .LBB329_3949
; %bb.3946:                             ;   in Loop: Header=BB329_2079 Depth=1
	v_and_b32_e32 v62, 7, v2
	v_lshrrev_b32_e32 v63, 3, v122
	s_mov_b32 s27, exec_lo
	v_cmpx_gt_u32_e32 8, v122
; %bb.3947:                             ;   in Loop: Header=BB329_2079 Depth=1
	v_ffbh_u32_e32 v62, v62
	v_min_u32_e32 v121, 32, v62
	v_subrev_nc_u32_e32 v62, 28, v121
	v_lshlrev_b64 v[62:63], v62, v[2:3]
	v_sub_nc_u32_e32 v63, 29, v121
	v_and_b32_e32 v62, 7, v62
; %bb.3948:                             ;   in Loop: Header=BB329_2079 Depth=1
	s_or_b32 exec_lo, exec_lo, s27
	v_lshlrev_b32_e32 v2, 8, v2
	v_lshl_add_u32 v63, v63, 10, 0x2000
	v_lshlrev_b32_e32 v62, 7, v62
	v_and_b32_e32 v2, 0x8000, v2
	v_and_b32_e32 v63, 0xfc00, v63
	v_or3_b32 v121, v2, v63, v62
.LBB329_3949:                           ;   in Loop: Header=BB329_2079 Depth=1
	s_or_b32 exec_lo, exec_lo, s26
.LBB329_3950:                           ;   in Loop: Header=BB329_2079 Depth=1
	s_or_b32 exec_lo, exec_lo, s25
.LBB329_3951:                           ;   in Loop: Header=BB329_2079 Depth=1
	s_or_b32 exec_lo, exec_lo, s21
	s_mov_b32 s21, exec_lo
	v_cmpx_lt_u32_e32 0xffffff, v13
	s_cbranch_execz .LBB329_3959
; %bb.3952:                             ;   in Loop: Header=BB329_2079 Depth=1
	v_lshrrev_b32_e32 v2, 24, v13
	v_bfrev_b32_e32 v120, 1
	s_mov_b32 s25, exec_lo
	v_cmpx_ne_u32_e32 0x80, v2
	s_cbranch_execz .LBB329_3958
; %bb.3953:                             ;   in Loop: Header=BB329_2079 Depth=1
	v_and_b32_e32 v122, 0x7f, v2
	v_mov_b32_e32 v120, 0x7c010000
	s_mov_b32 s26, exec_lo
	v_cmpx_ne_u32_e32 0x7f, v122
	s_cbranch_execz .LBB329_3957
; %bb.3954:                             ;   in Loop: Header=BB329_2079 Depth=1
	v_and_b32_e32 v62, 7, v2
	v_lshrrev_b32_e32 v63, 3, v122
	s_mov_b32 s27, exec_lo
	v_cmpx_gt_u32_e32 8, v122
; %bb.3955:                             ;   in Loop: Header=BB329_2079 Depth=1
	v_ffbh_u32_e32 v62, v62
	v_min_u32_e32 v120, 32, v62
	v_subrev_nc_u32_e32 v62, 28, v120
	v_lshlrev_b64 v[62:63], v62, v[2:3]
	v_sub_nc_u32_e32 v63, 29, v120
	v_and_b32_e32 v62, 7, v62
; %bb.3956:                             ;   in Loop: Header=BB329_2079 Depth=1
	s_or_b32 exec_lo, exec_lo, s27
	v_lshlrev_b32_e32 v2, 8, v2
	v_lshl_add_u32 v63, v63, 10, 0x2000
	v_lshlrev_b32_e32 v62, 23, v62
	v_and_or_b32 v2, 0x8000, v2, v63
	v_lshl_or_b32 v120, v2, 16, v62
.LBB329_3957:                           ;   in Loop: Header=BB329_2079 Depth=1
	s_or_b32 exec_lo, exec_lo, s26
.LBB329_3958:                           ;   in Loop: Header=BB329_2079 Depth=1
	s_or_b32 exec_lo, exec_lo, s25
.LBB329_3959:                           ;   in Loop: Header=BB329_2079 Depth=1
	s_or_b32 exec_lo, exec_lo, s21
	v_mov_b32_e32 v2, v14
	v_cmp_ne_u16_sdwa s12, v14, v3 src0_sel:BYTE_0 src1_sel:DWORD
	v_mov_b32_e32 v62, 0
	v_mov_b32_e32 v63, 0
	s_and_saveexec_b32 s21, s12
	s_cbranch_execz .LBB329_3967
; %bb.3960:                             ;   in Loop: Header=BB329_2079 Depth=1
	v_cmp_ne_u16_sdwa s12, v14, v96 src0_sel:BYTE_0 src1_sel:DWORD
	v_mov_b32_e32 v63, 0x8000
	s_and_saveexec_b32 s25, s12
	s_cbranch_execz .LBB329_3966
; %bb.3961:                             ;   in Loop: Header=BB329_2079 Depth=1
	v_and_b32_e32 v123, 0x7f, v14
	v_mov_b32_e32 v63, 0x7c01
	s_mov_b32 s26, exec_lo
	v_cmpx_ne_u32_e32 0x7f, v123
	s_cbranch_execz .LBB329_3965
; %bb.3962:                             ;   in Loop: Header=BB329_2079 Depth=1
	v_and_b32_e32 v63, 7, v14
	v_lshrrev_b32_e32 v122, 3, v123
	s_mov_b32 s27, exec_lo
	v_cmpx_gt_u32_e32 8, v123
; %bb.3963:                             ;   in Loop: Header=BB329_2079 Depth=1
	v_ffbh_u32_e32 v63, v63
	v_min_u32_e32 v63, 32, v63
	v_subrev_nc_u32_e32 v122, 28, v63
	v_lshlrev_b64 v[123:124], v122, v[2:3]
	v_sub_nc_u32_e32 v122, 29, v63
	v_and_b32_e32 v63, 7, v123
; %bb.3964:                             ;   in Loop: Header=BB329_2079 Depth=1
	s_or_b32 exec_lo, exec_lo, s27
	v_lshlrev_b32_e32 v123, 8, v14
	v_lshl_add_u32 v122, v122, 10, 0x2000
	v_lshlrev_b32_e32 v63, 7, v63
	v_and_b32_e32 v123, 0x8000, v123
	v_and_b32_e32 v122, 0xfc00, v122
	v_or3_b32 v63, v123, v122, v63
.LBB329_3965:                           ;   in Loop: Header=BB329_2079 Depth=1
	s_or_b32 exec_lo, exec_lo, s26
.LBB329_3966:                           ;   in Loop: Header=BB329_2079 Depth=1
	s_or_b32 exec_lo, exec_lo, s25
.LBB329_3967:                           ;   in Loop: Header=BB329_2079 Depth=1
	s_or_b32 exec_lo, exec_lo, s21
	v_lshrrev_b16 v2, 8, v2
	v_mov_b32_e32 v122, 0
	s_mov_b32 s21, exec_lo
	v_cmpx_ne_u16_e32 0, v2
	s_cbranch_execz .LBB329_3975
; %bb.3968:                             ;   in Loop: Header=BB329_2079 Depth=1
	v_bfrev_b32_e32 v122, 1
	s_mov_b32 s25, exec_lo
	v_cmpx_ne_u16_e32 0x80, v2
	s_cbranch_execz .LBB329_3974
; %bb.3969:                             ;   in Loop: Header=BB329_2079 Depth=1
	v_and_b32_sdwa v124, v2, v97 dst_sel:DWORD dst_unused:UNUSED_PAD src0_sel:WORD_0 src1_sel:DWORD
	v_mov_b32_e32 v122, 0x7c010000
	s_mov_b32 s26, exec_lo
	v_cmpx_ne_u32_e32 0x7f, v124
	s_cbranch_execz .LBB329_3973
; %bb.3970:                             ;   in Loop: Header=BB329_2079 Depth=1
	v_and_b32_sdwa v122, v2, v64 dst_sel:DWORD dst_unused:UNUSED_PAD src0_sel:WORD_0 src1_sel:DWORD
	v_lshrrev_b32_e32 v123, 3, v124
	s_mov_b32 s27, exec_lo
	v_cmpx_gt_u32_e32 8, v124
; %bb.3971:                             ;   in Loop: Header=BB329_2079 Depth=1
	v_ffbh_u32_e32 v122, v122
	v_min_u32_e32 v124, 32, v122
	v_subrev_nc_u32_e32 v122, 28, v124
	v_lshlrev_b64 v[122:123], v122, v[2:3]
	v_sub_nc_u32_e32 v123, 29, v124
	v_and_b32_e32 v122, 7, v122
; %bb.3972:                             ;   in Loop: Header=BB329_2079 Depth=1
	s_or_b32 exec_lo, exec_lo, s27
	v_lshlrev_b32_sdwa v2, v61, v2 dst_sel:DWORD dst_unused:UNUSED_PAD src0_sel:DWORD src1_sel:WORD_0
	v_lshl_add_u32 v123, v123, 10, 0x2000
	v_lshlrev_b32_e32 v122, 23, v122
	v_and_or_b32 v2, 0x8000, v2, v123
	v_lshl_or_b32 v122, v2, 16, v122
.LBB329_3973:                           ;   in Loop: Header=BB329_2079 Depth=1
	s_or_b32 exec_lo, exec_lo, s26
.LBB329_3974:                           ;   in Loop: Header=BB329_2079 Depth=1
	s_or_b32 exec_lo, exec_lo, s25
.LBB329_3975:                           ;   in Loop: Header=BB329_2079 Depth=1
	s_or_b32 exec_lo, exec_lo, s21
	v_lshrrev_b32_e32 v2, 16, v14
	v_cmp_ne_u16_sdwa s12, v2, v3 src0_sel:BYTE_0 src1_sel:DWORD
	s_and_saveexec_b32 s21, s12
	s_cbranch_execz .LBB329_3983
; %bb.3976:                             ;   in Loop: Header=BB329_2079 Depth=1
	v_cmp_ne_u16_sdwa s12, v2, v96 src0_sel:BYTE_0 src1_sel:DWORD
	v_mov_b32_e32 v62, 0x8000
	s_and_saveexec_b32 s25, s12
	s_cbranch_execz .LBB329_3982
; %bb.3977:                             ;   in Loop: Header=BB329_2079 Depth=1
	v_bfe_u32 v124, v14, 16, 7
	v_mov_b32_e32 v62, 0x7c01
	s_mov_b32 s26, exec_lo
	v_cmpx_ne_u32_e32 0x7f, v124
	s_cbranch_execz .LBB329_3981
; %bb.3978:                             ;   in Loop: Header=BB329_2079 Depth=1
	v_and_b32_e32 v62, 7, v2
	v_lshrrev_b32_e32 v123, 3, v124
	s_mov_b32 s27, exec_lo
	v_cmpx_gt_u32_e32 8, v124
; %bb.3979:                             ;   in Loop: Header=BB329_2079 Depth=1
	v_ffbh_u32_e32 v62, v62
	v_min_u32_e32 v62, 32, v62
	v_subrev_nc_u32_e32 v123, 28, v62
	v_lshlrev_b64 v[124:125], v123, v[2:3]
	v_sub_nc_u32_e32 v123, 29, v62
	v_and_b32_e32 v62, 7, v124
; %bb.3980:                             ;   in Loop: Header=BB329_2079 Depth=1
	s_or_b32 exec_lo, exec_lo, s27
	v_lshlrev_b32_e32 v2, 8, v2
	v_lshl_add_u32 v123, v123, 10, 0x2000
	v_lshlrev_b32_e32 v62, 7, v62
	v_and_b32_e32 v2, 0x8000, v2
	v_and_b32_e32 v123, 0xfc00, v123
	v_or3_b32 v62, v2, v123, v62
.LBB329_3981:                           ;   in Loop: Header=BB329_2079 Depth=1
	s_or_b32 exec_lo, exec_lo, s26
.LBB329_3982:                           ;   in Loop: Header=BB329_2079 Depth=1
	s_or_b32 exec_lo, exec_lo, s25
.LBB329_3983:                           ;   in Loop: Header=BB329_2079 Depth=1
	s_or_b32 exec_lo, exec_lo, s21
	v_cmp_lt_u64_e64 s12, s[22:23], v[13:14]
	v_mov_b32_e32 v13, 0
	s_and_saveexec_b32 s21, s12
	s_cbranch_execz .LBB329_3991
; %bb.3984:                             ;   in Loop: Header=BB329_2079 Depth=1
	v_lshrrev_b32_e32 v2, 24, v14
	v_bfrev_b32_e32 v13, 1
	s_mov_b32 s25, exec_lo
	v_cmpx_ne_u32_e32 0x80, v2
	s_cbranch_execz .LBB329_3990
; %bb.3985:                             ;   in Loop: Header=BB329_2079 Depth=1
	v_and_b32_e32 v123, 0x7f, v2
	v_mov_b32_e32 v13, 0x7c010000
	s_mov_b32 s26, exec_lo
	v_cmpx_ne_u32_e32 0x7f, v123
	s_cbranch_execz .LBB329_3989
; %bb.3986:                             ;   in Loop: Header=BB329_2079 Depth=1
	v_and_b32_e32 v13, 7, v2
	v_lshrrev_b32_e32 v14, 3, v123
	s_mov_b32 s27, exec_lo
	v_cmpx_gt_u32_e32 8, v123
; %bb.3987:                             ;   in Loop: Header=BB329_2079 Depth=1
	v_ffbh_u32_e32 v13, v13
	v_min_u32_e32 v123, 32, v13
	v_subrev_nc_u32_e32 v13, 28, v123
	v_lshlrev_b64 v[13:14], v13, v[2:3]
	v_sub_nc_u32_e32 v14, 29, v123
	v_and_b32_e32 v13, 7, v13
; %bb.3988:                             ;   in Loop: Header=BB329_2079 Depth=1
	s_or_b32 exec_lo, exec_lo, s27
	v_lshlrev_b32_e32 v2, 8, v2
	v_lshl_add_u32 v14, v14, 10, 0x2000
	v_lshlrev_b32_e32 v13, 23, v13
	v_and_or_b32 v2, 0x8000, v2, v14
	v_lshl_or_b32 v13, v2, 16, v13
.LBB329_3989:                           ;   in Loop: Header=BB329_2079 Depth=1
	s_or_b32 exec_lo, exec_lo, s26
.LBB329_3990:                           ;   in Loop: Header=BB329_2079 Depth=1
	s_or_b32 exec_lo, exec_lo, s25
.LBB329_3991:                           ;   in Loop: Header=BB329_2079 Depth=1
	s_or_b32 exec_lo, exec_lo, s21
	v_or_b32_e32 v2, v120, v121
	v_or_b32_e32 v111, v110, v111
	s_waitcnt vmcnt(0) lgkmcnt(0)
	v_fma_mixlo_f16 v110, v109, v110, 0 op_sel:[0,1,0] op_sel_hi:[0,1,0]
	v_or_b32_e32 v63, v122, v63
	v_or_b32_e32 v121, v13, v62
	v_fma_mixlo_f16 v14, v109, v120, 0 op_sel:[0,1,0] op_sel_hi:[0,1,0]
	v_fma_mixlo_f16 v120, v109, v2, 0 op_sel_hi:[0,1,0]
	v_lshlrev_b32_e32 v62, 16, v110
	v_fma_mixlo_f16 v110, v109, v111, 0 op_sel_hi:[0,1,0]
	v_fma_mixlo_f16 v111, v109, v122, 0 op_sel:[0,1,0] op_sel_hi:[0,1,0]
	v_fma_mixlo_f16 v63, v109, v63, 0 op_sel_hi:[0,1,0]
	v_fma_mixlo_f16 v13, v109, v13, 0 op_sel:[0,1,0] op_sel_hi:[0,1,0]
	v_fma_mixlo_f16 v109, v109, v121, 0 op_sel_hi:[0,1,0]
	v_lshlrev_b32_e32 v2, 16, v14
	v_and_b32_e32 v14, 0xffff, v120
	v_and_b32_e32 v123, 0xffff, v110
	v_lshlrev_b32_e32 v120, 16, v111
	v_and_b32_e32 v122, 0xffff, v63
	v_lshlrev_b32_e32 v111, 16, v13
	v_and_b32_e32 v121, 0xffff, v109
	v_or_b32_e32 v13, v2, v14
	v_or_b32_e32 v110, v62, v123
	;; [unrolled: 1-line block ×4, first 2 shown]
	s_and_saveexec_b32 s12, s6
	s_cbranch_execz .LBB329_3993
; %bb.3992:                             ;   in Loop: Header=BB329_2079 Depth=1
	v_cndmask_b32_e32 v13, 0, v123, vcc_lo
	v_cndmask_b32_e64 v62, 0, v62, s5
	v_cndmask_b32_e64 v14, 0, v14, s4
	;; [unrolled: 1-line block ×7, first 2 shown]
	v_or_b32_e32 v110, v13, v62
	v_or_b32_e32 v13, v14, v2
	;; [unrolled: 1-line block ×4, first 2 shown]
.LBB329_3993:                           ;   in Loop: Header=BB329_2079 Depth=1
	s_or_b32 exec_lo, exec_lo, s12
	;;#ASMSTART
	v_pk_mul_f16 v2, v103, v110;

	;;#ASMEND
	;;#ASMSTART
	v_pk_mul_f16 v13, v102, v13;

	;;#ASMEND
	;; [unrolled: 4-line block ×4, first 2 shown]
	;;#ASMSTART
	v_pk_add_f16 v2, v2, v13;

	;;#ASMEND
	;;#ASMSTART
	v_pk_add_f16 v2, v2, v14;

	;;#ASMEND
	;; [unrolled: 4-line block ×3, first 2 shown]
	v_and_b32_e32 v13, 0xffff, v2
	v_lshrrev_b32_e32 v2, 16, v2
	;;#ASMSTART
	v_cvt_f32_f16 v109, v13;
	;;#ASMEND
	;;#ASMSTART
	v_cvt_f32_f16 v110, v2;
	;;#ASMEND
	flat_load_dwordx2 v[13:14], v[11:12] offset:1280
	s_clause 0x1
	buffer_load_dword v62, off, s[0:3], s32 offset:192
	buffer_load_dword v63, off, s[0:3], s32 offset:196
	v_mov_b32_e32 v120, 0
	v_mov_b32_e32 v121, 0
	s_waitcnt vmcnt(2) lgkmcnt(0)
	v_cmp_ne_u16_sdwa s12, v13, v3 src0_sel:BYTE_0 src1_sel:DWORD
	s_waitcnt vmcnt(0)
	flat_load_dword v111, v[62:63]
	s_and_saveexec_b32 s21, s12
	s_cbranch_execz .LBB329_4001
; %bb.3994:                             ;   in Loop: Header=BB329_2079 Depth=1
	v_cmp_ne_u16_sdwa s12, v13, v96 src0_sel:BYTE_0 src1_sel:DWORD
	v_mov_b32_e32 v121, 0x8000
	s_and_saveexec_b32 s25, s12
	s_cbranch_execz .LBB329_4000
; %bb.3995:                             ;   in Loop: Header=BB329_2079 Depth=1
	v_and_b32_e32 v63, 0x7f, v13
	v_mov_b32_e32 v121, 0x7c01
	s_mov_b32 s26, exec_lo
	v_cmpx_ne_u32_e32 0x7f, v63
	s_cbranch_execz .LBB329_3999
; %bb.3996:                             ;   in Loop: Header=BB329_2079 Depth=1
	v_and_b32_e32 v2, 7, v13
	v_lshrrev_b32_e32 v62, 3, v63
	s_mov_b32 s27, exec_lo
	v_cmpx_gt_u32_e32 8, v63
; %bb.3997:                             ;   in Loop: Header=BB329_2079 Depth=1
	v_ffbh_u32_e32 v2, v2
	v_min_u32_e32 v2, 32, v2
	v_subrev_nc_u32_e32 v62, 28, v2
	v_lshlrev_b64 v[121:122], v62, v[13:14]
	v_sub_nc_u32_e32 v62, 29, v2
	v_and_b32_e32 v2, 7, v121
; %bb.3998:                             ;   in Loop: Header=BB329_2079 Depth=1
	s_or_b32 exec_lo, exec_lo, s27
	v_lshlrev_b32_e32 v63, 8, v13
	v_lshl_add_u32 v62, v62, 10, 0x2000
	v_lshlrev_b32_e32 v2, 7, v2
	v_and_b32_e32 v63, 0x8000, v63
	v_and_b32_e32 v62, 0xfc00, v62
	v_or3_b32 v121, v63, v62, v2
.LBB329_3999:                           ;   in Loop: Header=BB329_2079 Depth=1
	s_or_b32 exec_lo, exec_lo, s26
.LBB329_4000:                           ;   in Loop: Header=BB329_2079 Depth=1
	s_or_b32 exec_lo, exec_lo, s25
.LBB329_4001:                           ;   in Loop: Header=BB329_2079 Depth=1
	s_or_b32 exec_lo, exec_lo, s21
	v_lshrrev_b16 v2, 8, v13
	s_mov_b32 s21, exec_lo
	v_cmpx_ne_u16_e32 0, v2
	s_cbranch_execz .LBB329_4009
; %bb.4002:                             ;   in Loop: Header=BB329_2079 Depth=1
	v_bfrev_b32_e32 v120, 1
	s_mov_b32 s25, exec_lo
	v_cmpx_ne_u16_e32 0x80, v2
	s_cbranch_execz .LBB329_4008
; %bb.4003:                             ;   in Loop: Header=BB329_2079 Depth=1
	v_and_b32_sdwa v122, v2, v97 dst_sel:DWORD dst_unused:UNUSED_PAD src0_sel:WORD_0 src1_sel:DWORD
	v_mov_b32_e32 v120, 0x7c010000
	s_mov_b32 s26, exec_lo
	v_cmpx_ne_u32_e32 0x7f, v122
	s_cbranch_execz .LBB329_4007
; %bb.4004:                             ;   in Loop: Header=BB329_2079 Depth=1
	v_and_b32_sdwa v62, v2, v64 dst_sel:DWORD dst_unused:UNUSED_PAD src0_sel:WORD_0 src1_sel:DWORD
	v_lshrrev_b32_e32 v63, 3, v122
	s_mov_b32 s27, exec_lo
	v_cmpx_gt_u32_e32 8, v122
; %bb.4005:                             ;   in Loop: Header=BB329_2079 Depth=1
	v_ffbh_u32_e32 v62, v62
	v_min_u32_e32 v120, 32, v62
	v_subrev_nc_u32_e32 v62, 28, v120
	v_lshlrev_b64 v[62:63], v62, v[2:3]
	v_sub_nc_u32_e32 v63, 29, v120
	v_and_b32_e32 v62, 7, v62
; %bb.4006:                             ;   in Loop: Header=BB329_2079 Depth=1
	s_or_b32 exec_lo, exec_lo, s27
	v_lshlrev_b32_sdwa v2, v61, v2 dst_sel:DWORD dst_unused:UNUSED_PAD src0_sel:DWORD src1_sel:WORD_0
	v_lshl_add_u32 v63, v63, 10, 0x2000
	v_lshlrev_b32_e32 v62, 23, v62
	v_and_or_b32 v2, 0x8000, v2, v63
	v_lshl_or_b32 v120, v2, 16, v62
.LBB329_4007:                           ;   in Loop: Header=BB329_2079 Depth=1
	s_or_b32 exec_lo, exec_lo, s26
.LBB329_4008:                           ;   in Loop: Header=BB329_2079 Depth=1
	s_or_b32 exec_lo, exec_lo, s25
.LBB329_4009:                           ;   in Loop: Header=BB329_2079 Depth=1
	s_or_b32 exec_lo, exec_lo, s21
	v_lshrrev_b32_e32 v2, 16, v13
	v_mov_b32_e32 v122, 0
	v_mov_b32_e32 v123, 0
	v_cmp_ne_u16_sdwa s12, v2, v3 src0_sel:BYTE_0 src1_sel:DWORD
	s_and_saveexec_b32 s21, s12
	s_cbranch_execz .LBB329_4017
; %bb.4010:                             ;   in Loop: Header=BB329_2079 Depth=1
	v_cmp_ne_u16_sdwa s12, v2, v96 src0_sel:BYTE_0 src1_sel:DWORD
	v_mov_b32_e32 v123, 0x8000
	s_and_saveexec_b32 s25, s12
	s_cbranch_execz .LBB329_4016
; %bb.4011:                             ;   in Loop: Header=BB329_2079 Depth=1
	v_bfe_u32 v124, v13, 16, 7
	v_mov_b32_e32 v123, 0x7c01
	s_mov_b32 s26, exec_lo
	v_cmpx_ne_u32_e32 0x7f, v124
	s_cbranch_execz .LBB329_4015
; %bb.4012:                             ;   in Loop: Header=BB329_2079 Depth=1
	v_and_b32_e32 v62, 7, v2
	v_lshrrev_b32_e32 v63, 3, v124
	s_mov_b32 s27, exec_lo
	v_cmpx_gt_u32_e32 8, v124
; %bb.4013:                             ;   in Loop: Header=BB329_2079 Depth=1
	v_ffbh_u32_e32 v62, v62
	v_min_u32_e32 v123, 32, v62
	v_subrev_nc_u32_e32 v62, 28, v123
	v_lshlrev_b64 v[62:63], v62, v[2:3]
	v_sub_nc_u32_e32 v63, 29, v123
	v_and_b32_e32 v62, 7, v62
; %bb.4014:                             ;   in Loop: Header=BB329_2079 Depth=1
	s_or_b32 exec_lo, exec_lo, s27
	v_lshlrev_b32_e32 v2, 8, v2
	v_lshl_add_u32 v63, v63, 10, 0x2000
	v_lshlrev_b32_e32 v62, 7, v62
	v_and_b32_e32 v2, 0x8000, v2
	v_and_b32_e32 v63, 0xfc00, v63
	v_or3_b32 v123, v2, v63, v62
.LBB329_4015:                           ;   in Loop: Header=BB329_2079 Depth=1
	s_or_b32 exec_lo, exec_lo, s26
.LBB329_4016:                           ;   in Loop: Header=BB329_2079 Depth=1
	s_or_b32 exec_lo, exec_lo, s25
.LBB329_4017:                           ;   in Loop: Header=BB329_2079 Depth=1
	s_or_b32 exec_lo, exec_lo, s21
	s_mov_b32 s21, exec_lo
	v_cmpx_lt_u32_e32 0xffffff, v13
	s_cbranch_execz .LBB329_4025
; %bb.4018:                             ;   in Loop: Header=BB329_2079 Depth=1
	v_lshrrev_b32_e32 v2, 24, v13
	v_bfrev_b32_e32 v122, 1
	s_mov_b32 s25, exec_lo
	v_cmpx_ne_u32_e32 0x80, v2
	s_cbranch_execz .LBB329_4024
; %bb.4019:                             ;   in Loop: Header=BB329_2079 Depth=1
	v_and_b32_e32 v124, 0x7f, v2
	v_mov_b32_e32 v122, 0x7c010000
	s_mov_b32 s26, exec_lo
	v_cmpx_ne_u32_e32 0x7f, v124
	s_cbranch_execz .LBB329_4023
; %bb.4020:                             ;   in Loop: Header=BB329_2079 Depth=1
	v_and_b32_e32 v62, 7, v2
	v_lshrrev_b32_e32 v63, 3, v124
	s_mov_b32 s27, exec_lo
	v_cmpx_gt_u32_e32 8, v124
; %bb.4021:                             ;   in Loop: Header=BB329_2079 Depth=1
	v_ffbh_u32_e32 v62, v62
	v_min_u32_e32 v122, 32, v62
	v_subrev_nc_u32_e32 v62, 28, v122
	v_lshlrev_b64 v[62:63], v62, v[2:3]
	v_sub_nc_u32_e32 v63, 29, v122
	v_and_b32_e32 v62, 7, v62
; %bb.4022:                             ;   in Loop: Header=BB329_2079 Depth=1
	s_or_b32 exec_lo, exec_lo, s27
	v_lshlrev_b32_e32 v2, 8, v2
	v_lshl_add_u32 v63, v63, 10, 0x2000
	v_lshlrev_b32_e32 v62, 23, v62
	v_and_or_b32 v2, 0x8000, v2, v63
	v_lshl_or_b32 v122, v2, 16, v62
.LBB329_4023:                           ;   in Loop: Header=BB329_2079 Depth=1
	s_or_b32 exec_lo, exec_lo, s26
.LBB329_4024:                           ;   in Loop: Header=BB329_2079 Depth=1
	s_or_b32 exec_lo, exec_lo, s25
.LBB329_4025:                           ;   in Loop: Header=BB329_2079 Depth=1
	s_or_b32 exec_lo, exec_lo, s21
	v_mov_b32_e32 v2, v14
	v_cmp_ne_u16_sdwa s12, v14, v3 src0_sel:BYTE_0 src1_sel:DWORD
	v_mov_b32_e32 v62, 0
	v_mov_b32_e32 v63, 0
	s_and_saveexec_b32 s21, s12
	s_cbranch_execz .LBB329_4033
; %bb.4026:                             ;   in Loop: Header=BB329_2079 Depth=1
	v_cmp_ne_u16_sdwa s12, v14, v96 src0_sel:BYTE_0 src1_sel:DWORD
	v_mov_b32_e32 v63, 0x8000
	s_and_saveexec_b32 s25, s12
	s_cbranch_execz .LBB329_4032
; %bb.4027:                             ;   in Loop: Header=BB329_2079 Depth=1
	v_and_b32_e32 v125, 0x7f, v14
	v_mov_b32_e32 v63, 0x7c01
	s_mov_b32 s26, exec_lo
	v_cmpx_ne_u32_e32 0x7f, v125
	s_cbranch_execz .LBB329_4031
; %bb.4028:                             ;   in Loop: Header=BB329_2079 Depth=1
	v_and_b32_e32 v63, 7, v14
	v_lshrrev_b32_e32 v124, 3, v125
	s_mov_b32 s27, exec_lo
	v_cmpx_gt_u32_e32 8, v125
; %bb.4029:                             ;   in Loop: Header=BB329_2079 Depth=1
	v_ffbh_u32_e32 v63, v63
	v_min_u32_e32 v63, 32, v63
	v_subrev_nc_u32_e32 v124, 28, v63
	v_lshlrev_b64 v[125:126], v124, v[2:3]
	v_sub_nc_u32_e32 v124, 29, v63
	v_and_b32_e32 v63, 7, v125
; %bb.4030:                             ;   in Loop: Header=BB329_2079 Depth=1
	s_or_b32 exec_lo, exec_lo, s27
	v_lshlrev_b32_e32 v125, 8, v14
	v_lshl_add_u32 v124, v124, 10, 0x2000
	v_lshlrev_b32_e32 v63, 7, v63
	v_and_b32_e32 v125, 0x8000, v125
	v_and_b32_e32 v124, 0xfc00, v124
	v_or3_b32 v63, v125, v124, v63
.LBB329_4031:                           ;   in Loop: Header=BB329_2079 Depth=1
	s_or_b32 exec_lo, exec_lo, s26
.LBB329_4032:                           ;   in Loop: Header=BB329_2079 Depth=1
	s_or_b32 exec_lo, exec_lo, s25
.LBB329_4033:                           ;   in Loop: Header=BB329_2079 Depth=1
	s_or_b32 exec_lo, exec_lo, s21
	v_lshrrev_b16 v2, 8, v2
	v_mov_b32_e32 v124, 0
	s_mov_b32 s21, exec_lo
	v_cmpx_ne_u16_e32 0, v2
	s_cbranch_execz .LBB329_4041
; %bb.4034:                             ;   in Loop: Header=BB329_2079 Depth=1
	v_bfrev_b32_e32 v124, 1
	s_mov_b32 s25, exec_lo
	v_cmpx_ne_u16_e32 0x80, v2
	s_cbranch_execz .LBB329_4040
; %bb.4035:                             ;   in Loop: Header=BB329_2079 Depth=1
	v_and_b32_sdwa v126, v2, v97 dst_sel:DWORD dst_unused:UNUSED_PAD src0_sel:WORD_0 src1_sel:DWORD
	v_mov_b32_e32 v124, 0x7c010000
	s_mov_b32 s26, exec_lo
	v_cmpx_ne_u32_e32 0x7f, v126
	s_cbranch_execz .LBB329_4039
; %bb.4036:                             ;   in Loop: Header=BB329_2079 Depth=1
	v_and_b32_sdwa v124, v2, v64 dst_sel:DWORD dst_unused:UNUSED_PAD src0_sel:WORD_0 src1_sel:DWORD
	v_lshrrev_b32_e32 v125, 3, v126
	s_mov_b32 s27, exec_lo
	v_cmpx_gt_u32_e32 8, v126
; %bb.4037:                             ;   in Loop: Header=BB329_2079 Depth=1
	v_ffbh_u32_e32 v124, v124
	v_min_u32_e32 v126, 32, v124
	v_subrev_nc_u32_e32 v124, 28, v126
	v_lshlrev_b64 v[124:125], v124, v[2:3]
	v_sub_nc_u32_e32 v125, 29, v126
	v_and_b32_e32 v124, 7, v124
; %bb.4038:                             ;   in Loop: Header=BB329_2079 Depth=1
	s_or_b32 exec_lo, exec_lo, s27
	v_lshlrev_b32_sdwa v2, v61, v2 dst_sel:DWORD dst_unused:UNUSED_PAD src0_sel:DWORD src1_sel:WORD_0
	v_lshl_add_u32 v125, v125, 10, 0x2000
	v_lshlrev_b32_e32 v124, 23, v124
	v_and_or_b32 v2, 0x8000, v2, v125
	v_lshl_or_b32 v124, v2, 16, v124
.LBB329_4039:                           ;   in Loop: Header=BB329_2079 Depth=1
	s_or_b32 exec_lo, exec_lo, s26
.LBB329_4040:                           ;   in Loop: Header=BB329_2079 Depth=1
	s_or_b32 exec_lo, exec_lo, s25
.LBB329_4041:                           ;   in Loop: Header=BB329_2079 Depth=1
	s_or_b32 exec_lo, exec_lo, s21
	v_lshrrev_b32_e32 v2, 16, v14
	v_cmp_ne_u16_sdwa s12, v2, v3 src0_sel:BYTE_0 src1_sel:DWORD
	s_and_saveexec_b32 s21, s12
	s_cbranch_execz .LBB329_4049
; %bb.4042:                             ;   in Loop: Header=BB329_2079 Depth=1
	v_cmp_ne_u16_sdwa s12, v2, v96 src0_sel:BYTE_0 src1_sel:DWORD
	v_mov_b32_e32 v62, 0x8000
	s_and_saveexec_b32 s25, s12
	s_cbranch_execz .LBB329_4048
; %bb.4043:                             ;   in Loop: Header=BB329_2079 Depth=1
	v_bfe_u32 v126, v14, 16, 7
	v_mov_b32_e32 v62, 0x7c01
	s_mov_b32 s26, exec_lo
	v_cmpx_ne_u32_e32 0x7f, v126
	s_cbranch_execz .LBB329_4047
; %bb.4044:                             ;   in Loop: Header=BB329_2079 Depth=1
	v_and_b32_e32 v62, 7, v2
	v_lshrrev_b32_e32 v125, 3, v126
	s_mov_b32 s27, exec_lo
	v_cmpx_gt_u32_e32 8, v126
; %bb.4045:                             ;   in Loop: Header=BB329_2079 Depth=1
	v_ffbh_u32_e32 v62, v62
	v_min_u32_e32 v62, 32, v62
	v_subrev_nc_u32_e32 v125, 28, v62
	v_lshlrev_b64 v[126:127], v125, v[2:3]
	v_sub_nc_u32_e32 v125, 29, v62
	v_and_b32_e32 v62, 7, v126
; %bb.4046:                             ;   in Loop: Header=BB329_2079 Depth=1
	s_or_b32 exec_lo, exec_lo, s27
	v_lshlrev_b32_e32 v2, 8, v2
	v_lshl_add_u32 v125, v125, 10, 0x2000
	v_lshlrev_b32_e32 v62, 7, v62
	v_and_b32_e32 v2, 0x8000, v2
	v_and_b32_e32 v125, 0xfc00, v125
	v_or3_b32 v62, v2, v125, v62
.LBB329_4047:                           ;   in Loop: Header=BB329_2079 Depth=1
	s_or_b32 exec_lo, exec_lo, s26
.LBB329_4048:                           ;   in Loop: Header=BB329_2079 Depth=1
	s_or_b32 exec_lo, exec_lo, s25
.LBB329_4049:                           ;   in Loop: Header=BB329_2079 Depth=1
	s_or_b32 exec_lo, exec_lo, s21
	v_cmp_lt_u64_e64 s12, s[22:23], v[13:14]
	v_mov_b32_e32 v13, 0
	s_and_saveexec_b32 s21, s12
	s_cbranch_execz .LBB329_4057
; %bb.4050:                             ;   in Loop: Header=BB329_2079 Depth=1
	v_lshrrev_b32_e32 v2, 24, v14
	v_bfrev_b32_e32 v13, 1
	s_mov_b32 s25, exec_lo
	v_cmpx_ne_u32_e32 0x80, v2
	s_cbranch_execz .LBB329_4056
; %bb.4051:                             ;   in Loop: Header=BB329_2079 Depth=1
	v_and_b32_e32 v125, 0x7f, v2
	v_mov_b32_e32 v13, 0x7c010000
	s_mov_b32 s26, exec_lo
	v_cmpx_ne_u32_e32 0x7f, v125
	s_cbranch_execz .LBB329_4055
; %bb.4052:                             ;   in Loop: Header=BB329_2079 Depth=1
	v_and_b32_e32 v13, 7, v2
	v_lshrrev_b32_e32 v14, 3, v125
	s_mov_b32 s27, exec_lo
	v_cmpx_gt_u32_e32 8, v125
; %bb.4053:                             ;   in Loop: Header=BB329_2079 Depth=1
	v_ffbh_u32_e32 v13, v13
	v_min_u32_e32 v125, 32, v13
	v_subrev_nc_u32_e32 v13, 28, v125
	v_lshlrev_b64 v[13:14], v13, v[2:3]
	v_sub_nc_u32_e32 v14, 29, v125
	v_and_b32_e32 v13, 7, v13
; %bb.4054:                             ;   in Loop: Header=BB329_2079 Depth=1
	s_or_b32 exec_lo, exec_lo, s27
	v_lshlrev_b32_e32 v2, 8, v2
	v_lshl_add_u32 v14, v14, 10, 0x2000
	v_lshlrev_b32_e32 v13, 23, v13
	v_and_or_b32 v2, 0x8000, v2, v14
	v_lshl_or_b32 v13, v2, 16, v13
.LBB329_4055:                           ;   in Loop: Header=BB329_2079 Depth=1
	s_or_b32 exec_lo, exec_lo, s26
.LBB329_4056:                           ;   in Loop: Header=BB329_2079 Depth=1
	s_or_b32 exec_lo, exec_lo, s25
.LBB329_4057:                           ;   in Loop: Header=BB329_2079 Depth=1
	s_or_b32 exec_lo, exec_lo, s21
	v_or_b32_e32 v2, v122, v123
	v_or_b32_e32 v121, v120, v121
	s_waitcnt vmcnt(0) lgkmcnt(0)
	v_fma_mixlo_f16 v120, v111, v120, 0 op_sel:[0,1,0] op_sel_hi:[0,1,0]
	v_or_b32_e32 v63, v124, v63
	v_or_b32_e32 v123, v13, v62
	v_fma_mixlo_f16 v14, v111, v122, 0 op_sel:[0,1,0] op_sel_hi:[0,1,0]
	v_fma_mixlo_f16 v122, v111, v2, 0 op_sel_hi:[0,1,0]
	v_lshlrev_b32_e32 v62, 16, v120
	v_fma_mixlo_f16 v120, v111, v121, 0 op_sel_hi:[0,1,0]
	v_fma_mixlo_f16 v121, v111, v124, 0 op_sel:[0,1,0] op_sel_hi:[0,1,0]
	v_fma_mixlo_f16 v63, v111, v63, 0 op_sel_hi:[0,1,0]
	v_fma_mixlo_f16 v13, v111, v13, 0 op_sel:[0,1,0] op_sel_hi:[0,1,0]
	v_fma_mixlo_f16 v111, v111, v123, 0 op_sel_hi:[0,1,0]
	v_lshlrev_b32_e32 v2, 16, v14
	v_and_b32_e32 v14, 0xffff, v122
	v_and_b32_e32 v125, 0xffff, v120
	v_lshlrev_b32_e32 v122, 16, v121
	v_and_b32_e32 v124, 0xffff, v63
	v_lshlrev_b32_e32 v121, 16, v13
	v_and_b32_e32 v123, 0xffff, v111
	v_or_b32_e32 v13, v2, v14
	v_or_b32_e32 v120, v62, v125
	;; [unrolled: 1-line block ×4, first 2 shown]
	s_and_saveexec_b32 s12, s6
	s_cbranch_execz .LBB329_4059
; %bb.4058:                             ;   in Loop: Header=BB329_2079 Depth=1
	v_cndmask_b32_e32 v13, 0, v125, vcc_lo
	v_cndmask_b32_e64 v62, 0, v62, s5
	v_cndmask_b32_e64 v14, 0, v14, s4
	;; [unrolled: 1-line block ×7, first 2 shown]
	v_or_b32_e32 v120, v13, v62
	v_or_b32_e32 v13, v14, v2
	;; [unrolled: 1-line block ×4, first 2 shown]
.LBB329_4059:                           ;   in Loop: Header=BB329_2079 Depth=1
	s_or_b32 exec_lo, exec_lo, s12
	;;#ASMSTART
	v_pk_mul_f16 v2, v103, v120;

	;;#ASMEND
	;;#ASMSTART
	v_pk_mul_f16 v13, v102, v13;

	;;#ASMEND
	;; [unrolled: 4-line block ×4, first 2 shown]
	;;#ASMSTART
	v_pk_add_f16 v2, v2, v13;

	;;#ASMEND
	;;#ASMSTART
	v_pk_add_f16 v2, v2, v14;

	;;#ASMEND
	;; [unrolled: 4-line block ×3, first 2 shown]
	v_and_b32_e32 v13, 0xffff, v2
	v_lshrrev_b32_e32 v2, 16, v2
	;;#ASMSTART
	v_cvt_f32_f16 v13, v13;
	;;#ASMEND
	;;#ASMSTART
	v_cvt_f32_f16 v14, v2;
	;;#ASMEND
	flat_load_dwordx2 v[11:12], v[11:12] offset:1536
	s_clause 0x1
	buffer_load_dword v62, off, s[0:3], s32 offset:192
	buffer_load_dword v63, off, s[0:3], s32 offset:196
	v_mov_b32_e32 v120, 0
	v_mov_b32_e32 v121, 0
	s_waitcnt vmcnt(2) lgkmcnt(0)
	v_cmp_ne_u16_sdwa s12, v11, v3 src0_sel:BYTE_0 src1_sel:DWORD
	s_waitcnt vmcnt(0)
	flat_load_dword v111, v[62:63]
	s_and_saveexec_b32 s21, s12
	s_cbranch_execz .LBB329_4067
; %bb.4060:                             ;   in Loop: Header=BB329_2079 Depth=1
	v_cmp_ne_u16_sdwa s12, v11, v96 src0_sel:BYTE_0 src1_sel:DWORD
	v_mov_b32_e32 v121, 0x8000
	s_and_saveexec_b32 s25, s12
	s_cbranch_execz .LBB329_4066
; %bb.4061:                             ;   in Loop: Header=BB329_2079 Depth=1
	v_and_b32_e32 v63, 0x7f, v11
	v_mov_b32_e32 v121, 0x7c01
	s_mov_b32 s26, exec_lo
	v_cmpx_ne_u32_e32 0x7f, v63
	s_cbranch_execz .LBB329_4065
; %bb.4062:                             ;   in Loop: Header=BB329_2079 Depth=1
	v_and_b32_e32 v2, 7, v11
	v_lshrrev_b32_e32 v62, 3, v63
	s_mov_b32 s27, exec_lo
	v_cmpx_gt_u32_e32 8, v63
; %bb.4063:                             ;   in Loop: Header=BB329_2079 Depth=1
	v_ffbh_u32_e32 v2, v2
	v_min_u32_e32 v2, 32, v2
	v_subrev_nc_u32_e32 v62, 28, v2
	v_lshlrev_b64 v[121:122], v62, v[11:12]
	v_sub_nc_u32_e32 v62, 29, v2
	v_and_b32_e32 v2, 7, v121
; %bb.4064:                             ;   in Loop: Header=BB329_2079 Depth=1
	s_or_b32 exec_lo, exec_lo, s27
	v_lshlrev_b32_e32 v63, 8, v11
	v_lshl_add_u32 v62, v62, 10, 0x2000
	v_lshlrev_b32_e32 v2, 7, v2
	v_and_b32_e32 v63, 0x8000, v63
	v_and_b32_e32 v62, 0xfc00, v62
	v_or3_b32 v121, v63, v62, v2
.LBB329_4065:                           ;   in Loop: Header=BB329_2079 Depth=1
	s_or_b32 exec_lo, exec_lo, s26
.LBB329_4066:                           ;   in Loop: Header=BB329_2079 Depth=1
	s_or_b32 exec_lo, exec_lo, s25
.LBB329_4067:                           ;   in Loop: Header=BB329_2079 Depth=1
	s_or_b32 exec_lo, exec_lo, s21
	v_lshrrev_b16 v2, 8, v11
	s_mov_b32 s21, exec_lo
	v_cmpx_ne_u16_e32 0, v2
	s_cbranch_execz .LBB329_4075
; %bb.4068:                             ;   in Loop: Header=BB329_2079 Depth=1
	v_bfrev_b32_e32 v120, 1
	s_mov_b32 s25, exec_lo
	v_cmpx_ne_u16_e32 0x80, v2
	s_cbranch_execz .LBB329_4074
; %bb.4069:                             ;   in Loop: Header=BB329_2079 Depth=1
	v_and_b32_sdwa v122, v2, v97 dst_sel:DWORD dst_unused:UNUSED_PAD src0_sel:WORD_0 src1_sel:DWORD
	v_mov_b32_e32 v120, 0x7c010000
	s_mov_b32 s26, exec_lo
	v_cmpx_ne_u32_e32 0x7f, v122
	s_cbranch_execz .LBB329_4073
; %bb.4070:                             ;   in Loop: Header=BB329_2079 Depth=1
	v_and_b32_sdwa v62, v2, v64 dst_sel:DWORD dst_unused:UNUSED_PAD src0_sel:WORD_0 src1_sel:DWORD
	v_lshrrev_b32_e32 v63, 3, v122
	s_mov_b32 s27, exec_lo
	v_cmpx_gt_u32_e32 8, v122
; %bb.4071:                             ;   in Loop: Header=BB329_2079 Depth=1
	v_ffbh_u32_e32 v62, v62
	v_min_u32_e32 v120, 32, v62
	v_subrev_nc_u32_e32 v62, 28, v120
	v_lshlrev_b64 v[62:63], v62, v[2:3]
	v_sub_nc_u32_e32 v63, 29, v120
	v_and_b32_e32 v62, 7, v62
; %bb.4072:                             ;   in Loop: Header=BB329_2079 Depth=1
	s_or_b32 exec_lo, exec_lo, s27
	v_lshlrev_b32_sdwa v2, v61, v2 dst_sel:DWORD dst_unused:UNUSED_PAD src0_sel:DWORD src1_sel:WORD_0
	v_lshl_add_u32 v63, v63, 10, 0x2000
	v_lshlrev_b32_e32 v62, 23, v62
	v_and_or_b32 v2, 0x8000, v2, v63
	v_lshl_or_b32 v120, v2, 16, v62
.LBB329_4073:                           ;   in Loop: Header=BB329_2079 Depth=1
	s_or_b32 exec_lo, exec_lo, s26
.LBB329_4074:                           ;   in Loop: Header=BB329_2079 Depth=1
	s_or_b32 exec_lo, exec_lo, s25
.LBB329_4075:                           ;   in Loop: Header=BB329_2079 Depth=1
	s_or_b32 exec_lo, exec_lo, s21
	v_lshrrev_b32_e32 v2, 16, v11
	v_mov_b32_e32 v122, 0
	v_mov_b32_e32 v123, 0
	v_cmp_ne_u16_sdwa s12, v2, v3 src0_sel:BYTE_0 src1_sel:DWORD
	s_and_saveexec_b32 s21, s12
	s_cbranch_execz .LBB329_4083
; %bb.4076:                             ;   in Loop: Header=BB329_2079 Depth=1
	v_cmp_ne_u16_sdwa s12, v2, v96 src0_sel:BYTE_0 src1_sel:DWORD
	v_mov_b32_e32 v123, 0x8000
	s_and_saveexec_b32 s25, s12
	s_cbranch_execz .LBB329_4082
; %bb.4077:                             ;   in Loop: Header=BB329_2079 Depth=1
	v_bfe_u32 v124, v11, 16, 7
	v_mov_b32_e32 v123, 0x7c01
	s_mov_b32 s26, exec_lo
	v_cmpx_ne_u32_e32 0x7f, v124
	s_cbranch_execz .LBB329_4081
; %bb.4078:                             ;   in Loop: Header=BB329_2079 Depth=1
	v_and_b32_e32 v62, 7, v2
	v_lshrrev_b32_e32 v63, 3, v124
	s_mov_b32 s27, exec_lo
	v_cmpx_gt_u32_e32 8, v124
; %bb.4079:                             ;   in Loop: Header=BB329_2079 Depth=1
	v_ffbh_u32_e32 v62, v62
	v_min_u32_e32 v123, 32, v62
	v_subrev_nc_u32_e32 v62, 28, v123
	v_lshlrev_b64 v[62:63], v62, v[2:3]
	v_sub_nc_u32_e32 v63, 29, v123
	v_and_b32_e32 v62, 7, v62
; %bb.4080:                             ;   in Loop: Header=BB329_2079 Depth=1
	s_or_b32 exec_lo, exec_lo, s27
	v_lshlrev_b32_e32 v2, 8, v2
	v_lshl_add_u32 v63, v63, 10, 0x2000
	v_lshlrev_b32_e32 v62, 7, v62
	v_and_b32_e32 v2, 0x8000, v2
	v_and_b32_e32 v63, 0xfc00, v63
	v_or3_b32 v123, v2, v63, v62
.LBB329_4081:                           ;   in Loop: Header=BB329_2079 Depth=1
	s_or_b32 exec_lo, exec_lo, s26
.LBB329_4082:                           ;   in Loop: Header=BB329_2079 Depth=1
	s_or_b32 exec_lo, exec_lo, s25
.LBB329_4083:                           ;   in Loop: Header=BB329_2079 Depth=1
	s_or_b32 exec_lo, exec_lo, s21
	s_mov_b32 s21, exec_lo
	v_cmpx_lt_u32_e32 0xffffff, v11
	s_cbranch_execz .LBB329_4091
; %bb.4084:                             ;   in Loop: Header=BB329_2079 Depth=1
	v_lshrrev_b32_e32 v2, 24, v11
	v_bfrev_b32_e32 v122, 1
	s_mov_b32 s25, exec_lo
	v_cmpx_ne_u32_e32 0x80, v2
	s_cbranch_execz .LBB329_4090
; %bb.4085:                             ;   in Loop: Header=BB329_2079 Depth=1
	v_and_b32_e32 v124, 0x7f, v2
	v_mov_b32_e32 v122, 0x7c010000
	s_mov_b32 s26, exec_lo
	v_cmpx_ne_u32_e32 0x7f, v124
	s_cbranch_execz .LBB329_4089
; %bb.4086:                             ;   in Loop: Header=BB329_2079 Depth=1
	v_and_b32_e32 v62, 7, v2
	v_lshrrev_b32_e32 v63, 3, v124
	s_mov_b32 s27, exec_lo
	v_cmpx_gt_u32_e32 8, v124
; %bb.4087:                             ;   in Loop: Header=BB329_2079 Depth=1
	v_ffbh_u32_e32 v62, v62
	v_min_u32_e32 v122, 32, v62
	v_subrev_nc_u32_e32 v62, 28, v122
	v_lshlrev_b64 v[62:63], v62, v[2:3]
	v_sub_nc_u32_e32 v63, 29, v122
	v_and_b32_e32 v62, 7, v62
; %bb.4088:                             ;   in Loop: Header=BB329_2079 Depth=1
	s_or_b32 exec_lo, exec_lo, s27
	v_lshlrev_b32_e32 v2, 8, v2
	v_lshl_add_u32 v63, v63, 10, 0x2000
	v_lshlrev_b32_e32 v62, 23, v62
	v_and_or_b32 v2, 0x8000, v2, v63
	v_lshl_or_b32 v122, v2, 16, v62
.LBB329_4089:                           ;   in Loop: Header=BB329_2079 Depth=1
	s_or_b32 exec_lo, exec_lo, s26
.LBB329_4090:                           ;   in Loop: Header=BB329_2079 Depth=1
	s_or_b32 exec_lo, exec_lo, s25
.LBB329_4091:                           ;   in Loop: Header=BB329_2079 Depth=1
	s_or_b32 exec_lo, exec_lo, s21
	v_mov_b32_e32 v2, v12
	v_cmp_ne_u16_sdwa s12, v12, v3 src0_sel:BYTE_0 src1_sel:DWORD
	v_mov_b32_e32 v62, 0
	v_mov_b32_e32 v63, 0
	s_and_saveexec_b32 s21, s12
	s_cbranch_execz .LBB329_4099
; %bb.4092:                             ;   in Loop: Header=BB329_2079 Depth=1
	v_cmp_ne_u16_sdwa s12, v12, v96 src0_sel:BYTE_0 src1_sel:DWORD
	v_mov_b32_e32 v63, 0x8000
	s_and_saveexec_b32 s25, s12
	s_cbranch_execz .LBB329_4098
; %bb.4093:                             ;   in Loop: Header=BB329_2079 Depth=1
	v_and_b32_e32 v125, 0x7f, v12
	v_mov_b32_e32 v63, 0x7c01
	s_mov_b32 s26, exec_lo
	v_cmpx_ne_u32_e32 0x7f, v125
	s_cbranch_execz .LBB329_4097
; %bb.4094:                             ;   in Loop: Header=BB329_2079 Depth=1
	v_and_b32_e32 v63, 7, v12
	v_lshrrev_b32_e32 v124, 3, v125
	s_mov_b32 s27, exec_lo
	v_cmpx_gt_u32_e32 8, v125
; %bb.4095:                             ;   in Loop: Header=BB329_2079 Depth=1
	v_ffbh_u32_e32 v63, v63
	v_min_u32_e32 v63, 32, v63
	v_subrev_nc_u32_e32 v124, 28, v63
	v_lshlrev_b64 v[125:126], v124, v[2:3]
	v_sub_nc_u32_e32 v124, 29, v63
	v_and_b32_e32 v63, 7, v125
; %bb.4096:                             ;   in Loop: Header=BB329_2079 Depth=1
	s_or_b32 exec_lo, exec_lo, s27
	v_lshlrev_b32_e32 v125, 8, v12
	v_lshl_add_u32 v124, v124, 10, 0x2000
	v_lshlrev_b32_e32 v63, 7, v63
	v_and_b32_e32 v125, 0x8000, v125
	v_and_b32_e32 v124, 0xfc00, v124
	v_or3_b32 v63, v125, v124, v63
.LBB329_4097:                           ;   in Loop: Header=BB329_2079 Depth=1
	s_or_b32 exec_lo, exec_lo, s26
.LBB329_4098:                           ;   in Loop: Header=BB329_2079 Depth=1
	s_or_b32 exec_lo, exec_lo, s25
.LBB329_4099:                           ;   in Loop: Header=BB329_2079 Depth=1
	s_or_b32 exec_lo, exec_lo, s21
	v_lshrrev_b16 v2, 8, v2
	v_mov_b32_e32 v124, 0
	s_mov_b32 s21, exec_lo
	v_cmpx_ne_u16_e32 0, v2
	s_cbranch_execz .LBB329_4107
; %bb.4100:                             ;   in Loop: Header=BB329_2079 Depth=1
	v_bfrev_b32_e32 v124, 1
	s_mov_b32 s25, exec_lo
	v_cmpx_ne_u16_e32 0x80, v2
	s_cbranch_execz .LBB329_4106
; %bb.4101:                             ;   in Loop: Header=BB329_2079 Depth=1
	v_and_b32_sdwa v126, v2, v97 dst_sel:DWORD dst_unused:UNUSED_PAD src0_sel:WORD_0 src1_sel:DWORD
	v_mov_b32_e32 v124, 0x7c010000
	s_mov_b32 s26, exec_lo
	v_cmpx_ne_u32_e32 0x7f, v126
	s_cbranch_execz .LBB329_4105
; %bb.4102:                             ;   in Loop: Header=BB329_2079 Depth=1
	v_and_b32_sdwa v124, v2, v64 dst_sel:DWORD dst_unused:UNUSED_PAD src0_sel:WORD_0 src1_sel:DWORD
	v_lshrrev_b32_e32 v125, 3, v126
	s_mov_b32 s27, exec_lo
	v_cmpx_gt_u32_e32 8, v126
; %bb.4103:                             ;   in Loop: Header=BB329_2079 Depth=1
	v_ffbh_u32_e32 v124, v124
	v_min_u32_e32 v126, 32, v124
	v_subrev_nc_u32_e32 v124, 28, v126
	v_lshlrev_b64 v[124:125], v124, v[2:3]
	v_sub_nc_u32_e32 v125, 29, v126
	v_and_b32_e32 v124, 7, v124
; %bb.4104:                             ;   in Loop: Header=BB329_2079 Depth=1
	s_or_b32 exec_lo, exec_lo, s27
	v_lshlrev_b32_sdwa v2, v61, v2 dst_sel:DWORD dst_unused:UNUSED_PAD src0_sel:DWORD src1_sel:WORD_0
	v_lshl_add_u32 v125, v125, 10, 0x2000
	v_lshlrev_b32_e32 v124, 23, v124
	v_and_or_b32 v2, 0x8000, v2, v125
	v_lshl_or_b32 v124, v2, 16, v124
.LBB329_4105:                           ;   in Loop: Header=BB329_2079 Depth=1
	s_or_b32 exec_lo, exec_lo, s26
.LBB329_4106:                           ;   in Loop: Header=BB329_2079 Depth=1
	s_or_b32 exec_lo, exec_lo, s25
.LBB329_4107:                           ;   in Loop: Header=BB329_2079 Depth=1
	s_or_b32 exec_lo, exec_lo, s21
	v_lshrrev_b32_e32 v2, 16, v12
	v_cmp_ne_u16_sdwa s12, v2, v3 src0_sel:BYTE_0 src1_sel:DWORD
	s_and_saveexec_b32 s21, s12
	s_cbranch_execz .LBB329_4115
; %bb.4108:                             ;   in Loop: Header=BB329_2079 Depth=1
	v_cmp_ne_u16_sdwa s12, v2, v96 src0_sel:BYTE_0 src1_sel:DWORD
	v_mov_b32_e32 v62, 0x8000
	s_and_saveexec_b32 s25, s12
	s_cbranch_execz .LBB329_4114
; %bb.4109:                             ;   in Loop: Header=BB329_2079 Depth=1
	v_bfe_u32 v126, v12, 16, 7
	v_mov_b32_e32 v62, 0x7c01
	s_mov_b32 s26, exec_lo
	v_cmpx_ne_u32_e32 0x7f, v126
	s_cbranch_execz .LBB329_4113
; %bb.4110:                             ;   in Loop: Header=BB329_2079 Depth=1
	v_and_b32_e32 v62, 7, v2
	v_lshrrev_b32_e32 v125, 3, v126
	s_mov_b32 s27, exec_lo
	v_cmpx_gt_u32_e32 8, v126
; %bb.4111:                             ;   in Loop: Header=BB329_2079 Depth=1
	v_ffbh_u32_e32 v62, v62
	v_min_u32_e32 v62, 32, v62
	v_subrev_nc_u32_e32 v125, 28, v62
	v_lshlrev_b64 v[126:127], v125, v[2:3]
	v_sub_nc_u32_e32 v125, 29, v62
	v_and_b32_e32 v62, 7, v126
; %bb.4112:                             ;   in Loop: Header=BB329_2079 Depth=1
	s_or_b32 exec_lo, exec_lo, s27
	v_lshlrev_b32_e32 v2, 8, v2
	v_lshl_add_u32 v125, v125, 10, 0x2000
	v_lshlrev_b32_e32 v62, 7, v62
	v_and_b32_e32 v2, 0x8000, v2
	v_and_b32_e32 v125, 0xfc00, v125
	v_or3_b32 v62, v2, v125, v62
.LBB329_4113:                           ;   in Loop: Header=BB329_2079 Depth=1
	s_or_b32 exec_lo, exec_lo, s26
.LBB329_4114:                           ;   in Loop: Header=BB329_2079 Depth=1
	s_or_b32 exec_lo, exec_lo, s25
.LBB329_4115:                           ;   in Loop: Header=BB329_2079 Depth=1
	s_or_b32 exec_lo, exec_lo, s21
	v_cmp_lt_u64_e64 s12, s[22:23], v[11:12]
	v_mov_b32_e32 v11, 0
	s_and_saveexec_b32 s21, s12
	s_cbranch_execz .LBB329_4123
; %bb.4116:                             ;   in Loop: Header=BB329_2079 Depth=1
	v_lshrrev_b32_e32 v2, 24, v12
	v_bfrev_b32_e32 v11, 1
	s_mov_b32 s25, exec_lo
	v_cmpx_ne_u32_e32 0x80, v2
	s_cbranch_execz .LBB329_4122
; %bb.4117:                             ;   in Loop: Header=BB329_2079 Depth=1
	v_and_b32_e32 v125, 0x7f, v2
	v_mov_b32_e32 v11, 0x7c010000
	s_mov_b32 s26, exec_lo
	v_cmpx_ne_u32_e32 0x7f, v125
	s_cbranch_execz .LBB329_4121
; %bb.4118:                             ;   in Loop: Header=BB329_2079 Depth=1
	v_and_b32_e32 v11, 7, v2
	v_lshrrev_b32_e32 v12, 3, v125
	s_mov_b32 s27, exec_lo
	v_cmpx_gt_u32_e32 8, v125
; %bb.4119:                             ;   in Loop: Header=BB329_2079 Depth=1
	v_ffbh_u32_e32 v11, v11
	v_min_u32_e32 v125, 32, v11
	v_subrev_nc_u32_e32 v11, 28, v125
	v_lshlrev_b64 v[11:12], v11, v[2:3]
	v_sub_nc_u32_e32 v12, 29, v125
	v_and_b32_e32 v11, 7, v11
; %bb.4120:                             ;   in Loop: Header=BB329_2079 Depth=1
	s_or_b32 exec_lo, exec_lo, s27
	v_lshlrev_b32_e32 v2, 8, v2
	v_lshl_add_u32 v12, v12, 10, 0x2000
	v_lshlrev_b32_e32 v11, 23, v11
	v_and_or_b32 v2, 0x8000, v2, v12
	v_lshl_or_b32 v11, v2, 16, v11
.LBB329_4121:                           ;   in Loop: Header=BB329_2079 Depth=1
	s_or_b32 exec_lo, exec_lo, s26
.LBB329_4122:                           ;   in Loop: Header=BB329_2079 Depth=1
	s_or_b32 exec_lo, exec_lo, s25
.LBB329_4123:                           ;   in Loop: Header=BB329_2079 Depth=1
	s_or_b32 exec_lo, exec_lo, s21
	v_or_b32_e32 v2, v122, v123
	v_or_b32_e32 v121, v120, v121
	s_waitcnt vmcnt(0) lgkmcnt(0)
	v_fma_mixlo_f16 v120, v111, v120, 0 op_sel:[0,1,0] op_sel_hi:[0,1,0]
	v_or_b32_e32 v63, v124, v63
	v_or_b32_e32 v123, v11, v62
	v_fma_mixlo_f16 v12, v111, v122, 0 op_sel:[0,1,0] op_sel_hi:[0,1,0]
	v_fma_mixlo_f16 v122, v111, v2, 0 op_sel_hi:[0,1,0]
	v_lshlrev_b32_e32 v62, 16, v120
	v_fma_mixlo_f16 v120, v111, v121, 0 op_sel_hi:[0,1,0]
	v_fma_mixlo_f16 v121, v111, v124, 0 op_sel:[0,1,0] op_sel_hi:[0,1,0]
	v_fma_mixlo_f16 v63, v111, v63, 0 op_sel_hi:[0,1,0]
	v_fma_mixlo_f16 v11, v111, v11, 0 op_sel:[0,1,0] op_sel_hi:[0,1,0]
	v_fma_mixlo_f16 v111, v111, v123, 0 op_sel_hi:[0,1,0]
	v_lshlrev_b32_e32 v2, 16, v12
	v_and_b32_e32 v12, 0xffff, v122
	v_and_b32_e32 v125, 0xffff, v120
	v_lshlrev_b32_e32 v122, 16, v121
	v_and_b32_e32 v124, 0xffff, v63
	v_lshlrev_b32_e32 v121, 16, v11
	v_and_b32_e32 v123, 0xffff, v111
	v_or_b32_e32 v11, v2, v12
	v_or_b32_e32 v120, v62, v125
	;; [unrolled: 1-line block ×4, first 2 shown]
	s_and_saveexec_b32 s12, s6
	s_cbranch_execz .LBB329_4125
; %bb.4124:                             ;   in Loop: Header=BB329_2079 Depth=1
	v_cndmask_b32_e32 v11, 0, v125, vcc_lo
	v_cndmask_b32_e64 v62, 0, v62, s5
	v_cndmask_b32_e64 v12, 0, v12, s4
	;; [unrolled: 1-line block ×7, first 2 shown]
	v_or_b32_e32 v120, v11, v62
	v_or_b32_e32 v11, v12, v2
	;; [unrolled: 1-line block ×4, first 2 shown]
.LBB329_4125:                           ;   in Loop: Header=BB329_2079 Depth=1
	s_or_b32 exec_lo, exec_lo, s12
	v_add_co_u32 v9, s12, v9, v87
	v_add_co_ci_u32_e64 v10, null, 0, v10, s12
	;;#ASMSTART
	v_pk_mul_f16 v2, v103, v120;

	;;#ASMEND
	;;#ASMSTART
	v_pk_mul_f16 v11, v102, v11;

	;;#ASMEND
	;; [unrolled: 4-line block ×4, first 2 shown]
	;;#ASMSTART
	v_pk_add_f16 v2, v2, v11;

	;;#ASMEND
	;;#ASMSTART
	v_pk_add_f16 v2, v2, v12;

	;;#ASMEND
	;; [unrolled: 4-line block ×3, first 2 shown]
	v_lshrrev_b32_e32 v12, 16, v2
	v_and_b32_e32 v2, 0xffff, v2
	;;#ASMSTART
	v_cvt_f32_f16 v11, v2;
	;;#ASMEND
	;;#ASMSTART
	v_cvt_f32_f16 v12, v12;
	;;#ASMEND
	flat_load_dwordx2 v[9:10], v[9:10]
	s_clause 0x1
	buffer_load_dword v62, off, s[0:3], s32 offset:192
	buffer_load_dword v63, off, s[0:3], s32 offset:196
	v_mov_b32_e32 v120, 0
	v_mov_b32_e32 v121, 0
	s_waitcnt vmcnt(2) lgkmcnt(0)
	v_cmp_ne_u16_sdwa s12, v9, v3 src0_sel:BYTE_0 src1_sel:DWORD
	s_waitcnt vmcnt(0)
	flat_load_dword v111, v[62:63]
	s_and_saveexec_b32 s21, s12
	s_cbranch_execz .LBB329_4133
; %bb.4126:                             ;   in Loop: Header=BB329_2079 Depth=1
	v_cmp_ne_u16_sdwa s12, v9, v96 src0_sel:BYTE_0 src1_sel:DWORD
	v_mov_b32_e32 v121, 0x8000
	s_and_saveexec_b32 s25, s12
	s_cbranch_execz .LBB329_4132
; %bb.4127:                             ;   in Loop: Header=BB329_2079 Depth=1
	v_and_b32_e32 v63, 0x7f, v9
	v_mov_b32_e32 v121, 0x7c01
	s_mov_b32 s26, exec_lo
	v_cmpx_ne_u32_e32 0x7f, v63
	s_cbranch_execz .LBB329_4131
; %bb.4128:                             ;   in Loop: Header=BB329_2079 Depth=1
	v_and_b32_e32 v2, 7, v9
	v_lshrrev_b32_e32 v62, 3, v63
	s_mov_b32 s27, exec_lo
	v_cmpx_gt_u32_e32 8, v63
; %bb.4129:                             ;   in Loop: Header=BB329_2079 Depth=1
	v_ffbh_u32_e32 v2, v2
	v_min_u32_e32 v2, 32, v2
	v_subrev_nc_u32_e32 v62, 28, v2
	v_lshlrev_b64 v[121:122], v62, v[9:10]
	v_sub_nc_u32_e32 v62, 29, v2
	v_and_b32_e32 v2, 7, v121
; %bb.4130:                             ;   in Loop: Header=BB329_2079 Depth=1
	s_or_b32 exec_lo, exec_lo, s27
	v_lshlrev_b32_e32 v63, 8, v9
	v_lshl_add_u32 v62, v62, 10, 0x2000
	v_lshlrev_b32_e32 v2, 7, v2
	v_and_b32_e32 v63, 0x8000, v63
	v_and_b32_e32 v62, 0xfc00, v62
	v_or3_b32 v121, v63, v62, v2
.LBB329_4131:                           ;   in Loop: Header=BB329_2079 Depth=1
	s_or_b32 exec_lo, exec_lo, s26
.LBB329_4132:                           ;   in Loop: Header=BB329_2079 Depth=1
	s_or_b32 exec_lo, exec_lo, s25
.LBB329_4133:                           ;   in Loop: Header=BB329_2079 Depth=1
	s_or_b32 exec_lo, exec_lo, s21
	v_lshrrev_b16 v2, 8, v9
	s_mov_b32 s21, exec_lo
	v_cmpx_ne_u16_e32 0, v2
	s_cbranch_execz .LBB329_4141
; %bb.4134:                             ;   in Loop: Header=BB329_2079 Depth=1
	v_bfrev_b32_e32 v120, 1
	s_mov_b32 s25, exec_lo
	v_cmpx_ne_u16_e32 0x80, v2
	s_cbranch_execz .LBB329_4140
; %bb.4135:                             ;   in Loop: Header=BB329_2079 Depth=1
	v_and_b32_sdwa v122, v2, v97 dst_sel:DWORD dst_unused:UNUSED_PAD src0_sel:WORD_0 src1_sel:DWORD
	v_mov_b32_e32 v120, 0x7c010000
	s_mov_b32 s26, exec_lo
	v_cmpx_ne_u32_e32 0x7f, v122
	s_cbranch_execz .LBB329_4139
; %bb.4136:                             ;   in Loop: Header=BB329_2079 Depth=1
	v_and_b32_sdwa v62, v2, v64 dst_sel:DWORD dst_unused:UNUSED_PAD src0_sel:WORD_0 src1_sel:DWORD
	v_lshrrev_b32_e32 v63, 3, v122
	s_mov_b32 s27, exec_lo
	v_cmpx_gt_u32_e32 8, v122
; %bb.4137:                             ;   in Loop: Header=BB329_2079 Depth=1
	v_ffbh_u32_e32 v62, v62
	v_min_u32_e32 v120, 32, v62
	v_subrev_nc_u32_e32 v62, 28, v120
	v_lshlrev_b64 v[62:63], v62, v[2:3]
	v_sub_nc_u32_e32 v63, 29, v120
	v_and_b32_e32 v62, 7, v62
; %bb.4138:                             ;   in Loop: Header=BB329_2079 Depth=1
	s_or_b32 exec_lo, exec_lo, s27
	v_lshlrev_b32_sdwa v2, v61, v2 dst_sel:DWORD dst_unused:UNUSED_PAD src0_sel:DWORD src1_sel:WORD_0
	v_lshl_add_u32 v63, v63, 10, 0x2000
	v_lshlrev_b32_e32 v62, 23, v62
	v_and_or_b32 v2, 0x8000, v2, v63
	v_lshl_or_b32 v120, v2, 16, v62
.LBB329_4139:                           ;   in Loop: Header=BB329_2079 Depth=1
	s_or_b32 exec_lo, exec_lo, s26
.LBB329_4140:                           ;   in Loop: Header=BB329_2079 Depth=1
	s_or_b32 exec_lo, exec_lo, s25
.LBB329_4141:                           ;   in Loop: Header=BB329_2079 Depth=1
	s_or_b32 exec_lo, exec_lo, s21
	v_lshrrev_b32_e32 v2, 16, v9
	v_mov_b32_e32 v122, 0
	v_mov_b32_e32 v123, 0
	v_cmp_ne_u16_sdwa s12, v2, v3 src0_sel:BYTE_0 src1_sel:DWORD
	s_and_saveexec_b32 s21, s12
	s_cbranch_execz .LBB329_4149
; %bb.4142:                             ;   in Loop: Header=BB329_2079 Depth=1
	v_cmp_ne_u16_sdwa s12, v2, v96 src0_sel:BYTE_0 src1_sel:DWORD
	v_mov_b32_e32 v123, 0x8000
	s_and_saveexec_b32 s25, s12
	s_cbranch_execz .LBB329_4148
; %bb.4143:                             ;   in Loop: Header=BB329_2079 Depth=1
	v_bfe_u32 v124, v9, 16, 7
	v_mov_b32_e32 v123, 0x7c01
	s_mov_b32 s26, exec_lo
	v_cmpx_ne_u32_e32 0x7f, v124
	s_cbranch_execz .LBB329_4147
; %bb.4144:                             ;   in Loop: Header=BB329_2079 Depth=1
	v_and_b32_e32 v62, 7, v2
	v_lshrrev_b32_e32 v63, 3, v124
	s_mov_b32 s27, exec_lo
	v_cmpx_gt_u32_e32 8, v124
; %bb.4145:                             ;   in Loop: Header=BB329_2079 Depth=1
	v_ffbh_u32_e32 v62, v62
	v_min_u32_e32 v123, 32, v62
	v_subrev_nc_u32_e32 v62, 28, v123
	v_lshlrev_b64 v[62:63], v62, v[2:3]
	v_sub_nc_u32_e32 v63, 29, v123
	v_and_b32_e32 v62, 7, v62
; %bb.4146:                             ;   in Loop: Header=BB329_2079 Depth=1
	s_or_b32 exec_lo, exec_lo, s27
	v_lshlrev_b32_e32 v2, 8, v2
	v_lshl_add_u32 v63, v63, 10, 0x2000
	v_lshlrev_b32_e32 v62, 7, v62
	v_and_b32_e32 v2, 0x8000, v2
	v_and_b32_e32 v63, 0xfc00, v63
	v_or3_b32 v123, v2, v63, v62
.LBB329_4147:                           ;   in Loop: Header=BB329_2079 Depth=1
	s_or_b32 exec_lo, exec_lo, s26
.LBB329_4148:                           ;   in Loop: Header=BB329_2079 Depth=1
	s_or_b32 exec_lo, exec_lo, s25
.LBB329_4149:                           ;   in Loop: Header=BB329_2079 Depth=1
	s_or_b32 exec_lo, exec_lo, s21
	s_mov_b32 s21, exec_lo
	v_cmpx_lt_u32_e32 0xffffff, v9
	s_cbranch_execz .LBB329_4157
; %bb.4150:                             ;   in Loop: Header=BB329_2079 Depth=1
	v_lshrrev_b32_e32 v2, 24, v9
	v_bfrev_b32_e32 v122, 1
	s_mov_b32 s25, exec_lo
	v_cmpx_ne_u32_e32 0x80, v2
	s_cbranch_execz .LBB329_4156
; %bb.4151:                             ;   in Loop: Header=BB329_2079 Depth=1
	v_and_b32_e32 v124, 0x7f, v2
	v_mov_b32_e32 v122, 0x7c010000
	s_mov_b32 s26, exec_lo
	v_cmpx_ne_u32_e32 0x7f, v124
	s_cbranch_execz .LBB329_4155
; %bb.4152:                             ;   in Loop: Header=BB329_2079 Depth=1
	v_and_b32_e32 v62, 7, v2
	v_lshrrev_b32_e32 v63, 3, v124
	s_mov_b32 s27, exec_lo
	v_cmpx_gt_u32_e32 8, v124
; %bb.4153:                             ;   in Loop: Header=BB329_2079 Depth=1
	v_ffbh_u32_e32 v62, v62
	v_min_u32_e32 v122, 32, v62
	v_subrev_nc_u32_e32 v62, 28, v122
	v_lshlrev_b64 v[62:63], v62, v[2:3]
	v_sub_nc_u32_e32 v63, 29, v122
	v_and_b32_e32 v62, 7, v62
; %bb.4154:                             ;   in Loop: Header=BB329_2079 Depth=1
	s_or_b32 exec_lo, exec_lo, s27
	v_lshlrev_b32_e32 v2, 8, v2
	v_lshl_add_u32 v63, v63, 10, 0x2000
	v_lshlrev_b32_e32 v62, 23, v62
	v_and_or_b32 v2, 0x8000, v2, v63
	v_lshl_or_b32 v122, v2, 16, v62
.LBB329_4155:                           ;   in Loop: Header=BB329_2079 Depth=1
	s_or_b32 exec_lo, exec_lo, s26
.LBB329_4156:                           ;   in Loop: Header=BB329_2079 Depth=1
	s_or_b32 exec_lo, exec_lo, s25
.LBB329_4157:                           ;   in Loop: Header=BB329_2079 Depth=1
	s_or_b32 exec_lo, exec_lo, s21
	v_mov_b32_e32 v2, v10
	v_cmp_ne_u16_sdwa s12, v10, v3 src0_sel:BYTE_0 src1_sel:DWORD
	v_mov_b32_e32 v62, 0
	v_mov_b32_e32 v63, 0
	s_and_saveexec_b32 s21, s12
	s_cbranch_execz .LBB329_4165
; %bb.4158:                             ;   in Loop: Header=BB329_2079 Depth=1
	v_cmp_ne_u16_sdwa s12, v10, v96 src0_sel:BYTE_0 src1_sel:DWORD
	v_mov_b32_e32 v63, 0x8000
	s_and_saveexec_b32 s25, s12
	s_cbranch_execz .LBB329_4164
; %bb.4159:                             ;   in Loop: Header=BB329_2079 Depth=1
	v_and_b32_e32 v125, 0x7f, v10
	v_mov_b32_e32 v63, 0x7c01
	s_mov_b32 s26, exec_lo
	v_cmpx_ne_u32_e32 0x7f, v125
	s_cbranch_execz .LBB329_4163
; %bb.4160:                             ;   in Loop: Header=BB329_2079 Depth=1
	v_and_b32_e32 v63, 7, v10
	v_lshrrev_b32_e32 v124, 3, v125
	s_mov_b32 s27, exec_lo
	v_cmpx_gt_u32_e32 8, v125
; %bb.4161:                             ;   in Loop: Header=BB329_2079 Depth=1
	v_ffbh_u32_e32 v63, v63
	v_min_u32_e32 v63, 32, v63
	v_subrev_nc_u32_e32 v124, 28, v63
	v_lshlrev_b64 v[125:126], v124, v[2:3]
	v_sub_nc_u32_e32 v124, 29, v63
	v_and_b32_e32 v63, 7, v125
; %bb.4162:                             ;   in Loop: Header=BB329_2079 Depth=1
	s_or_b32 exec_lo, exec_lo, s27
	v_lshlrev_b32_e32 v125, 8, v10
	v_lshl_add_u32 v124, v124, 10, 0x2000
	v_lshlrev_b32_e32 v63, 7, v63
	v_and_b32_e32 v125, 0x8000, v125
	v_and_b32_e32 v124, 0xfc00, v124
	v_or3_b32 v63, v125, v124, v63
.LBB329_4163:                           ;   in Loop: Header=BB329_2079 Depth=1
	s_or_b32 exec_lo, exec_lo, s26
.LBB329_4164:                           ;   in Loop: Header=BB329_2079 Depth=1
	s_or_b32 exec_lo, exec_lo, s25
.LBB329_4165:                           ;   in Loop: Header=BB329_2079 Depth=1
	s_or_b32 exec_lo, exec_lo, s21
	v_lshrrev_b16 v2, 8, v2
	v_mov_b32_e32 v124, 0
	s_mov_b32 s21, exec_lo
	v_cmpx_ne_u16_e32 0, v2
	s_cbranch_execz .LBB329_4173
; %bb.4166:                             ;   in Loop: Header=BB329_2079 Depth=1
	v_bfrev_b32_e32 v124, 1
	s_mov_b32 s25, exec_lo
	v_cmpx_ne_u16_e32 0x80, v2
	s_cbranch_execz .LBB329_4172
; %bb.4167:                             ;   in Loop: Header=BB329_2079 Depth=1
	v_and_b32_sdwa v126, v2, v97 dst_sel:DWORD dst_unused:UNUSED_PAD src0_sel:WORD_0 src1_sel:DWORD
	v_mov_b32_e32 v124, 0x7c010000
	s_mov_b32 s26, exec_lo
	v_cmpx_ne_u32_e32 0x7f, v126
	s_cbranch_execz .LBB329_4171
; %bb.4168:                             ;   in Loop: Header=BB329_2079 Depth=1
	v_and_b32_sdwa v124, v2, v64 dst_sel:DWORD dst_unused:UNUSED_PAD src0_sel:WORD_0 src1_sel:DWORD
	v_lshrrev_b32_e32 v125, 3, v126
	s_mov_b32 s27, exec_lo
	v_cmpx_gt_u32_e32 8, v126
; %bb.4169:                             ;   in Loop: Header=BB329_2079 Depth=1
	v_ffbh_u32_e32 v124, v124
	v_min_u32_e32 v126, 32, v124
	v_subrev_nc_u32_e32 v124, 28, v126
	v_lshlrev_b64 v[124:125], v124, v[2:3]
	v_sub_nc_u32_e32 v125, 29, v126
	v_and_b32_e32 v124, 7, v124
; %bb.4170:                             ;   in Loop: Header=BB329_2079 Depth=1
	s_or_b32 exec_lo, exec_lo, s27
	v_lshlrev_b32_sdwa v2, v61, v2 dst_sel:DWORD dst_unused:UNUSED_PAD src0_sel:DWORD src1_sel:WORD_0
	v_lshl_add_u32 v125, v125, 10, 0x2000
	v_lshlrev_b32_e32 v124, 23, v124
	v_and_or_b32 v2, 0x8000, v2, v125
	v_lshl_or_b32 v124, v2, 16, v124
.LBB329_4171:                           ;   in Loop: Header=BB329_2079 Depth=1
	s_or_b32 exec_lo, exec_lo, s26
.LBB329_4172:                           ;   in Loop: Header=BB329_2079 Depth=1
	s_or_b32 exec_lo, exec_lo, s25
.LBB329_4173:                           ;   in Loop: Header=BB329_2079 Depth=1
	s_or_b32 exec_lo, exec_lo, s21
	v_lshrrev_b32_e32 v2, 16, v10
	v_cmp_ne_u16_sdwa s12, v2, v3 src0_sel:BYTE_0 src1_sel:DWORD
	s_and_saveexec_b32 s21, s12
	s_cbranch_execz .LBB329_4181
; %bb.4174:                             ;   in Loop: Header=BB329_2079 Depth=1
	v_cmp_ne_u16_sdwa s12, v2, v96 src0_sel:BYTE_0 src1_sel:DWORD
	v_mov_b32_e32 v62, 0x8000
	s_and_saveexec_b32 s25, s12
	s_cbranch_execz .LBB329_4180
; %bb.4175:                             ;   in Loop: Header=BB329_2079 Depth=1
	v_bfe_u32 v126, v10, 16, 7
	v_mov_b32_e32 v62, 0x7c01
	s_mov_b32 s26, exec_lo
	v_cmpx_ne_u32_e32 0x7f, v126
	s_cbranch_execz .LBB329_4179
; %bb.4176:                             ;   in Loop: Header=BB329_2079 Depth=1
	v_and_b32_e32 v62, 7, v2
	v_lshrrev_b32_e32 v125, 3, v126
	s_mov_b32 s27, exec_lo
	v_cmpx_gt_u32_e32 8, v126
; %bb.4177:                             ;   in Loop: Header=BB329_2079 Depth=1
	v_ffbh_u32_e32 v62, v62
	v_min_u32_e32 v62, 32, v62
	v_subrev_nc_u32_e32 v125, 28, v62
	v_lshlrev_b64 v[126:127], v125, v[2:3]
	v_sub_nc_u32_e32 v125, 29, v62
	v_and_b32_e32 v62, 7, v126
; %bb.4178:                             ;   in Loop: Header=BB329_2079 Depth=1
	s_or_b32 exec_lo, exec_lo, s27
	v_lshlrev_b32_e32 v2, 8, v2
	v_lshl_add_u32 v125, v125, 10, 0x2000
	v_lshlrev_b32_e32 v62, 7, v62
	v_and_b32_e32 v2, 0x8000, v2
	v_and_b32_e32 v125, 0xfc00, v125
	v_or3_b32 v62, v2, v125, v62
.LBB329_4179:                           ;   in Loop: Header=BB329_2079 Depth=1
	s_or_b32 exec_lo, exec_lo, s26
.LBB329_4180:                           ;   in Loop: Header=BB329_2079 Depth=1
	s_or_b32 exec_lo, exec_lo, s25
.LBB329_4181:                           ;   in Loop: Header=BB329_2079 Depth=1
	s_or_b32 exec_lo, exec_lo, s21
	v_cmp_lt_u64_e64 s12, s[22:23], v[9:10]
	v_mov_b32_e32 v9, 0
	s_and_saveexec_b32 s21, s12
	s_cbranch_execz .LBB329_4189
; %bb.4182:                             ;   in Loop: Header=BB329_2079 Depth=1
	v_lshrrev_b32_e32 v2, 24, v10
	v_bfrev_b32_e32 v9, 1
	s_mov_b32 s25, exec_lo
	v_cmpx_ne_u32_e32 0x80, v2
	s_cbranch_execz .LBB329_4188
; %bb.4183:                             ;   in Loop: Header=BB329_2079 Depth=1
	v_and_b32_e32 v125, 0x7f, v2
	v_mov_b32_e32 v9, 0x7c010000
	s_mov_b32 s26, exec_lo
	v_cmpx_ne_u32_e32 0x7f, v125
	s_cbranch_execz .LBB329_4187
; %bb.4184:                             ;   in Loop: Header=BB329_2079 Depth=1
	v_and_b32_e32 v9, 7, v2
	v_lshrrev_b32_e32 v10, 3, v125
	s_mov_b32 s27, exec_lo
	v_cmpx_gt_u32_e32 8, v125
; %bb.4185:                             ;   in Loop: Header=BB329_2079 Depth=1
	v_ffbh_u32_e32 v9, v9
	v_min_u32_e32 v125, 32, v9
	v_subrev_nc_u32_e32 v9, 28, v125
	v_lshlrev_b64 v[9:10], v9, v[2:3]
	v_sub_nc_u32_e32 v10, 29, v125
	v_and_b32_e32 v9, 7, v9
; %bb.4186:                             ;   in Loop: Header=BB329_2079 Depth=1
	s_or_b32 exec_lo, exec_lo, s27
	v_lshlrev_b32_e32 v2, 8, v2
	v_lshl_add_u32 v10, v10, 10, 0x2000
	v_lshlrev_b32_e32 v9, 23, v9
	v_and_or_b32 v2, 0x8000, v2, v10
	v_lshl_or_b32 v9, v2, 16, v9
.LBB329_4187:                           ;   in Loop: Header=BB329_2079 Depth=1
	s_or_b32 exec_lo, exec_lo, s26
.LBB329_4188:                           ;   in Loop: Header=BB329_2079 Depth=1
	s_or_b32 exec_lo, exec_lo, s25
.LBB329_4189:                           ;   in Loop: Header=BB329_2079 Depth=1
	s_or_b32 exec_lo, exec_lo, s21
	v_or_b32_e32 v2, v122, v123
	s_waitcnt vmcnt(0) lgkmcnt(0)
	v_fma_mixlo_f16 v10, v111, v122, 0 op_sel:[0,1,0] op_sel_hi:[0,1,0]
	v_or_b32_e32 v122, v120, v121
	v_fma_mixlo_f16 v120, v111, v120, 0 op_sel:[0,1,0] op_sel_hi:[0,1,0]
	v_or_b32_e32 v123, v124, v63
	v_fma_mixlo_f16 v2, v111, v2, 0 op_sel_hi:[0,1,0]
	v_or_b32_e32 v62, v9, v62
	v_lshlrev_b32_e32 v63, 16, v10
	v_lshlrev_b32_e32 v121, 16, v120
	v_fma_mixlo_f16 v10, v111, v122, 0 op_sel_hi:[0,1,0]
	v_and_b32_e32 v120, 0xffff, v2
	v_fma_mixlo_f16 v2, v111, v124, 0 op_sel:[0,1,0] op_sel_hi:[0,1,0]
	v_fma_mixlo_f16 v123, v111, v123, 0 op_sel_hi:[0,1,0]
	v_fma_mixlo_f16 v9, v111, v9, 0 op_sel:[0,1,0] op_sel_hi:[0,1,0]
	v_fma_mixlo_f16 v62, v111, v62, 0 op_sel_hi:[0,1,0]
	v_and_b32_e32 v125, 0xffff, v10
	v_lshlrev_b32_e32 v122, 16, v2
	v_and_b32_e32 v124, 0xffff, v123
	v_lshlrev_b32_e32 v111, 16, v9
	v_and_b32_e32 v123, 0xffff, v62
	v_or_b32_e32 v2, v63, v120
	v_or_b32_e32 v62, v121, v125
	;; [unrolled: 1-line block ×4, first 2 shown]
	s_and_saveexec_b32 s12, s6
	s_cbranch_execz .LBB329_2078
; %bb.4190:                             ;   in Loop: Header=BB329_2079 Depth=1
	v_cndmask_b32_e32 v2, 0, v125, vcc_lo
	v_cndmask_b32_e64 v9, 0, v121, s5
	v_cndmask_b32_e64 v10, 0, v120, s4
	;; [unrolled: 1-line block ×7, first 2 shown]
	v_or_b32_e32 v62, v2, v9
	v_or_b32_e32 v2, v10, v63
	;; [unrolled: 1-line block ×4, first 2 shown]
	s_branch .LBB329_2078
.LBB329_4191:
	s_or_b32 exec_lo, exec_lo, s17
	v_mov_b32_e32 v0, s18
	v_mov_b32_e32 v1, s19
.LBB329_4192:
	s_or_b32 exec_lo, exec_lo, s15
	s_waitcnt lgkmcnt(0)
	s_waitcnt_vscnt null, 0x0
	s_barrier
	buffer_gl0_inv
	buffer_load_dword v35, off, s[0:3], s32 offset:1272 ; 4-byte Folded Reload
	v_lshlrev_b64 v[0:1], 2, v[0:1]
	s_getpc_b64 s[4:5]
	s_add_u32 s4, s4, llvm.amdgcn.dynlds.offset.table@rel32@lo+4
	s_addc_u32 s5, s5, llvm.amdgcn.dynlds.offset.table@rel32@hi+12
	ds_bpermute_b32 v2, v19, v71
	ds_bpermute_b32 v3, v19, v83
	;; [unrolled: 1-line block ×4, first 2 shown]
	v_add_co_u32 v0, vcc_lo, s4, v0
	v_add_co_ci_u32_e64 v1, null, s5, v1, vcc_lo
	ds_bpermute_b32 v6, v19, v57
	ds_bpermute_b32 v7, v19, v85
	;; [unrolled: 1-line block ×3, first 2 shown]
	global_load_dword v34, v[0:1], off
	ds_bpermute_b32 v0, v19, v80
	ds_bpermute_b32 v1, v19, v86
	;; [unrolled: 1-line block ×25, first 2 shown]
	s_waitcnt lgkmcnt(24)
	v_add_f32_e32 v0, v80, v0
	s_waitcnt lgkmcnt(23)
	v_add_f32_e32 v1, v86, v1
	v_add_f32_e32 v2, v71, v2
	;; [unrolled: 1-line block ×8, first 2 shown]
	s_waitcnt lgkmcnt(22)
	v_add_f32_e32 v9, v69, v9
	s_waitcnt lgkmcnt(21)
	v_add_f32_e32 v10, v68, v10
	;; [unrolled: 2-line block ×23, first 2 shown]
	ds_bpermute_b32 v16, v18, v0
	ds_bpermute_b32 v17, v18, v1
	;; [unrolled: 1-line block ×32, first 2 shown]
	s_waitcnt lgkmcnt(31)
	v_add_f32_e32 v31, v0, v16
	s_waitcnt lgkmcnt(30)
	v_add_f32_e32 v30, v1, v17
	;; [unrolled: 2-line block ×32, first 2 shown]
	s_mov_b32 s4, exec_lo
	s_waitcnt vmcnt(1)
	v_lshrrev_b32_e32 v36, 2, v35
	v_and_b32_e32 v98, 28, v35
	buffer_load_dword v35, off, s[0:3], s32 offset:1276 ; 4-byte Folded Reload
	s_waitcnt vmcnt(1)
	v_add_nc_u32_e32 v33, v34, v98
	s_waitcnt vmcnt(0)
	v_lshlrev_b32_e32 v37, 10, v35
	buffer_load_dword v35, off, s[0:3], s32 offset:1268 ; 4-byte Folded Reload
	s_waitcnt vmcnt(0)
	v_and_b32_e32 v35, 0x3c3, v35
	v_cmpx_eq_u32_e32 64, v35
	s_cbranch_execz .LBB329_4194
; %bb.4193:
	v_add_nc_u32_e32 v32, v33, v37
	v_add_nc_u32_e32 v38, 0xfffff800, v32
	;; [unrolled: 1-line block ×8, first 2 shown]
	ds_write_b32 v38, v31
	ds_write_b32 v39, v30
	;; [unrolled: 1-line block ×7, first 2 shown]
	v_add_nc_u32_e32 v38, 0xfffff8e0, v32
	v_add_nc_u32_e32 v39, 0xfffff900, v32
	v_add_nc_u32_e32 v48, 0xfffff920, v32
	v_add_nc_u32_e32 v49, 0xfffff940, v32
	v_add_nc_u32_e32 v50, 0xfffff960, v32
	ds_write_b32 v38, v24
	ds_write_b32 v39, v23
	ds_write_b32 v48, v22
	ds_write_b32 v49, v21
	ds_write_b32 v50, v20
	v_add_nc_u32_e32 v38, 0xfffff980, v32
	v_add_nc_u32_e32 v39, 0xfffff9a0, v32
	v_add_nc_u32_e32 v48, 0xfffff9c0, v32
	v_add_nc_u32_e32 v49, 0xfffff9e0, v32
	v_add_nc_u32_e32 v50, 0xfffffa00, v32
	ds_write_b32 v38, v19
	ds_write_b32 v39, v18
	ds_write_b32 v48, v17
	ds_write_b32 v49, v16
	ds_write_b32 v50, v15
	;; [unrolled: 10-line block ×5, first 2 shown]
.LBB329_4194:
	s_or_b32 exec_lo, exec_lo, s4
	v_lshlrev_b32_e32 v32, 2, v36
	s_mov_b32 s4, exec_lo
	s_waitcnt lgkmcnt(0)
	s_barrier
	buffer_gl0_inv
	v_add3_u32 v32, v34, v37, v32
	v_cmpx_eq_u32_e32 0, v35
	s_cbranch_execz .LBB329_4196
; %bb.4195:
	ds_read2_b32 v[34:35], v32 offset1:8
	ds_read2_b32 v[36:37], v32 offset0:16 offset1:24
	ds_read2_b32 v[38:39], v32 offset0:32 offset1:40
	;; [unrolled: 1-line block ×12, first 2 shown]
	s_waitcnt lgkmcnt(12)
	v_add_f32_e32 v31, v34, v31
	v_add_f32_e32 v30, v35, v30
	s_waitcnt lgkmcnt(11)
	v_add_f32_e32 v29, v36, v29
	v_add_f32_e32 v28, v37, v28
	;; [unrolled: 3-line block ×3, first 2 shown]
	ds_read2_b32 v[34:35], v32 offset0:208 offset1:216
	ds_read2_b32 v[36:37], v32 offset0:224 offset1:232
	;; [unrolled: 1-line block ×3, first 2 shown]
	s_waitcnt lgkmcnt(12)
	v_add_f32_e32 v25, v48, v25
	v_add_f32_e32 v24, v49, v24
	s_waitcnt lgkmcnt(11)
	v_add_f32_e32 v23, v50, v23
	v_add_f32_e32 v22, v51, v22
	;; [unrolled: 3-line block ×13, first 2 shown]
.LBB329_4196:
	s_or_b32 exec_lo, exec_lo, s4
	buffer_load_dword v34, off, s[0:3], s32 offset:1268 ; 4-byte Folded Reload
	s_mov_b32 s4, exec_lo
	s_waitcnt vmcnt(0)
	s_barrier
	buffer_gl0_inv
	v_and_b32_e32 v34, 0x3e3, v34
	v_cmpx_eq_u32_e32 32, v34
	s_cbranch_execz .LBB329_4198
; %bb.4197:
	ds_write2_b32 v33, v31, v30 offset1:8
	ds_write2_b32 v33, v29, v28 offset0:16 offset1:24
	ds_write2_b32 v33, v27, v26 offset0:32 offset1:40
	;; [unrolled: 1-line block ×15, first 2 shown]
.LBB329_4198:
	s_or_b32 exec_lo, exec_lo, s4
	v_cmp_eq_u32_e32 vcc_lo, 0, v34
	s_waitcnt lgkmcnt(0)
	s_barrier
	buffer_gl0_inv
	s_and_saveexec_b32 s4, vcc_lo
	s_cbranch_execz .LBB329_4200
; %bb.4199:
	ds_read2_b32 v[33:34], v32 offset1:8
	ds_read2_b32 v[35:36], v32 offset0:16 offset1:24
	ds_read2_b32 v[37:38], v32 offset0:32 offset1:40
	;; [unrolled: 1-line block ×12, first 2 shown]
	s_waitcnt lgkmcnt(12)
	v_add_f32_e32 v31, v33, v31
	v_add_f32_e32 v30, v34, v30
	s_waitcnt lgkmcnt(11)
	v_add_f32_e32 v29, v35, v29
	v_add_f32_e32 v28, v36, v28
	;; [unrolled: 3-line block ×3, first 2 shown]
	ds_read2_b32 v[33:34], v32 offset0:208 offset1:216
	ds_read2_b32 v[35:36], v32 offset0:224 offset1:232
	;; [unrolled: 1-line block ×3, first 2 shown]
	s_waitcnt lgkmcnt(12)
	v_add_f32_e32 v25, v48, v25
	v_add_f32_e32 v24, v49, v24
	s_waitcnt lgkmcnt(11)
	v_add_f32_e32 v23, v50, v23
	v_add_f32_e32 v22, v51, v22
	;; [unrolled: 3-line block ×13, first 2 shown]
.LBB329_4200:
	s_or_b32 exec_lo, exec_lo, s4
	s_barrier
	buffer_gl0_inv
	s_and_b32 exec_lo, exec_lo, vcc_lo
	s_cbranch_execz .LBB329_4202
; %bb.4201:
	s_clause 0x2
	buffer_load_dword v32, off, s[0:3], s32 offset:1284
	buffer_load_dword v33, off, s[0:3], s32 offset:1280
	;; [unrolled: 1-line block ×3, first 2 shown]
	s_lshl_b32 s4, s20, 8
	s_mul_i32 s6, s16, s13
	s_ashr_i32 s5, s4, 31
	s_ashr_i32 s7, s6, 31
	s_lshl_b64 s[4:5], s[4:5], 1
	s_lshl_b64 s[6:7], s[6:7], 1
	;;#ASMSTART
	v_cvt_f16_f32 v31, v31;

	;;#ASMEND
	s_waitcnt vmcnt(2)
	v_add_co_u32 v32, vcc_lo, v32, s4
	s_waitcnt vmcnt(1)
	v_add_co_ci_u32_e64 v33, null, s5, v33, vcc_lo
	s_lshl_b32 s4, s14, 8
	v_add_co_u32 v32, vcc_lo, v32, s6
	s_ashr_i32 s5, s4, 31
	v_add_co_ci_u32_e64 v33, null, s7, v33, vcc_lo
	s_lshl_b64 s[4:5], s[4:5], 1
	s_waitcnt vmcnt(0)
	v_lshrrev_b32_e32 v34, 1, v34
	v_add_co_u32 v32, vcc_lo, v32, s4
	v_add_co_ci_u32_e64 v33, null, s5, v33, vcc_lo
	v_add_co_u32 v32, vcc_lo, v32, v34
	v_add_co_ci_u32_e64 v33, null, 0, v33, vcc_lo
	flat_store_short v[32:33], v31
	;;#ASMSTART
	v_cvt_f16_f32 v30, v30;

	;;#ASMEND
	flat_store_short v[32:33], v30 offset:16
	;;#ASMSTART
	v_cvt_f16_f32 v29, v29;

	;;#ASMEND
	flat_store_short v[32:33], v29 offset:32
	;;#ASMSTART
	v_cvt_f16_f32 v28, v28;

	;;#ASMEND
	flat_store_short v[32:33], v28 offset:48
	;;#ASMSTART
	v_cvt_f16_f32 v27, v27;

	;;#ASMEND
	flat_store_short v[32:33], v27 offset:64
	;;#ASMSTART
	v_cvt_f16_f32 v26, v26;

	;;#ASMEND
	flat_store_short v[32:33], v26 offset:80
	;;#ASMSTART
	v_cvt_f16_f32 v25, v25;

	;;#ASMEND
	flat_store_short v[32:33], v25 offset:96
	;;#ASMSTART
	v_cvt_f16_f32 v24, v24;

	;;#ASMEND
	flat_store_short v[32:33], v24 offset:112
	;;#ASMSTART
	v_cvt_f16_f32 v23, v23;

	;;#ASMEND
	flat_store_short v[32:33], v23 offset:128
	;;#ASMSTART
	v_cvt_f16_f32 v22, v22;

	;;#ASMEND
	flat_store_short v[32:33], v22 offset:144
	;;#ASMSTART
	v_cvt_f16_f32 v21, v21;

	;;#ASMEND
	flat_store_short v[32:33], v21 offset:160
	;;#ASMSTART
	v_cvt_f16_f32 v20, v20;

	;;#ASMEND
	flat_store_short v[32:33], v20 offset:176
	;;#ASMSTART
	v_cvt_f16_f32 v19, v19;

	;;#ASMEND
	flat_store_short v[32:33], v19 offset:192
	;;#ASMSTART
	v_cvt_f16_f32 v18, v18;

	;;#ASMEND
	flat_store_short v[32:33], v18 offset:208
	;;#ASMSTART
	v_cvt_f16_f32 v17, v17;

	;;#ASMEND
	flat_store_short v[32:33], v17 offset:224
	;;#ASMSTART
	v_cvt_f16_f32 v16, v16;

	;;#ASMEND
	flat_store_short v[32:33], v16 offset:240
	;;#ASMSTART
	v_cvt_f16_f32 v15, v15;

	;;#ASMEND
	flat_store_short v[32:33], v15 offset:256
	;;#ASMSTART
	v_cvt_f16_f32 v14, v14;

	;;#ASMEND
	flat_store_short v[32:33], v14 offset:272
	;;#ASMSTART
	v_cvt_f16_f32 v13, v13;

	;;#ASMEND
	flat_store_short v[32:33], v13 offset:288
	;;#ASMSTART
	v_cvt_f16_f32 v12, v12;

	;;#ASMEND
	flat_store_short v[32:33], v12 offset:304
	;;#ASMSTART
	v_cvt_f16_f32 v11, v11;

	;;#ASMEND
	flat_store_short v[32:33], v11 offset:320
	;;#ASMSTART
	v_cvt_f16_f32 v10, v10;

	;;#ASMEND
	flat_store_short v[32:33], v10 offset:336
	;;#ASMSTART
	v_cvt_f16_f32 v9, v9;

	;;#ASMEND
	flat_store_short v[32:33], v9 offset:352
	;;#ASMSTART
	v_cvt_f16_f32 v8, v8;

	;;#ASMEND
	flat_store_short v[32:33], v8 offset:368
	;;#ASMSTART
	v_cvt_f16_f32 v7, v7;

	;;#ASMEND
	flat_store_short v[32:33], v7 offset:384
	;;#ASMSTART
	v_cvt_f16_f32 v6, v6;

	;;#ASMEND
	flat_store_short v[32:33], v6 offset:400
	;;#ASMSTART
	v_cvt_f16_f32 v5, v5;

	;;#ASMEND
	flat_store_short v[32:33], v5 offset:416
	;;#ASMSTART
	v_cvt_f16_f32 v4, v4;

	;;#ASMEND
	flat_store_short v[32:33], v4 offset:432
	;;#ASMSTART
	v_cvt_f16_f32 v3, v3;

	;;#ASMEND
	flat_store_short v[32:33], v3 offset:448
	;;#ASMSTART
	v_cvt_f16_f32 v2, v2;

	;;#ASMEND
	flat_store_short v[32:33], v2 offset:464
	;;#ASMSTART
	v_cvt_f16_f32 v1, v1;

	;;#ASMEND
	flat_store_short v[32:33], v1 offset:480
	;;#ASMSTART
	v_cvt_f16_f32 v0, v0;

	;;#ASMEND
	flat_store_short v[32:33], v0 offset:496
.LBB329_4202:
	s_or_b32 exec_lo, exec_lo, s24
	s_clause 0x2f
	buffer_load_dword v127, off, s[0:3], s32
	buffer_load_dword v126, off, s[0:3], s32 offset:4
	buffer_load_dword v125, off, s[0:3], s32 offset:8
	;; [unrolled: 1-line block ×47, first 2 shown]
	s_waitcnt vmcnt(0) lgkmcnt(0)
	s_setpc_b64 s[30:31]
.Lfunc_end329:
	.size	_ZN4vllm22paged_attention_kernelIthLi256ELi32ELi128ELNS_18Fp8KVCacheDataTypeE1ELb0ELi512EEEvPfS2_PT_PKS3_PKT0_S9_ifPKiSB_iPKfiiiSD_SD_iiiii, .Lfunc_end329-_ZN4vllm22paged_attention_kernelIthLi256ELi32ELi128ELNS_18Fp8KVCacheDataTypeE1ELb0ELi512EEEvPfS2_PT_PKS3_PKT0_S9_ifPKiSB_iPKfiiiSD_SD_iiiii
                                        ; -- End function
	.set .L_ZN4vllm22paged_attention_kernelIthLi256ELi32ELi128ELNS_18Fp8KVCacheDataTypeE1ELb0ELi512EEEvPfS2_PT_PKS3_PKT0_S9_ifPKiSB_iPKfiiiSD_SD_iiiii.num_vgpr, 128
	.set .L_ZN4vllm22paged_attention_kernelIthLi256ELi32ELi128ELNS_18Fp8KVCacheDataTypeE1ELb0ELi512EEEvPfS2_PT_PKS3_PKT0_S9_ifPKiSB_iPKfiiiSD_SD_iiiii.num_agpr, 0
	.set .L_ZN4vllm22paged_attention_kernelIthLi256ELi32ELi128ELNS_18Fp8KVCacheDataTypeE1ELb0ELi512EEEvPfS2_PT_PKS3_PKT0_S9_ifPKiSB_iPKfiiiSD_SD_iiiii.numbered_sgpr, 33
	.set .L_ZN4vllm22paged_attention_kernelIthLi256ELi32ELi128ELNS_18Fp8KVCacheDataTypeE1ELb0ELi512EEEvPfS2_PT_PKS3_PKT0_S9_ifPKiSB_iPKfiiiSD_SD_iiiii.num_named_barrier, 0
	.set .L_ZN4vllm22paged_attention_kernelIthLi256ELi32ELi128ELNS_18Fp8KVCacheDataTypeE1ELb0ELi512EEEvPfS2_PT_PKS3_PKT0_S9_ifPKiSB_iPKfiiiSD_SD_iiiii.private_seg_size, 1352
	.set .L_ZN4vllm22paged_attention_kernelIthLi256ELi32ELi128ELNS_18Fp8KVCacheDataTypeE1ELb0ELi512EEEvPfS2_PT_PKS3_PKT0_S9_ifPKiSB_iPKfiiiSD_SD_iiiii.uses_vcc, 1
	.set .L_ZN4vllm22paged_attention_kernelIthLi256ELi32ELi128ELNS_18Fp8KVCacheDataTypeE1ELb0ELi512EEEvPfS2_PT_PKS3_PKT0_S9_ifPKiSB_iPKfiiiSD_SD_iiiii.uses_flat_scratch, 0
	.set .L_ZN4vllm22paged_attention_kernelIthLi256ELi32ELi128ELNS_18Fp8KVCacheDataTypeE1ELb0ELi512EEEvPfS2_PT_PKS3_PKT0_S9_ifPKiSB_iPKfiiiSD_SD_iiiii.has_dyn_sized_stack, 0
	.set .L_ZN4vllm22paged_attention_kernelIthLi256ELi32ELi128ELNS_18Fp8KVCacheDataTypeE1ELb0ELi512EEEvPfS2_PT_PKS3_PKT0_S9_ifPKiSB_iPKfiiiSD_SD_iiiii.has_recursion, 0
	.set .L_ZN4vllm22paged_attention_kernelIthLi256ELi32ELi128ELNS_18Fp8KVCacheDataTypeE1ELb0ELi512EEEvPfS2_PT_PKS3_PKT0_S9_ifPKiSB_iPKfiiiSD_SD_iiiii.has_indirect_call, 0
	.section	.AMDGPU.csdata,"",@progbits
; Function info:
; codeLenInByte = 145088
; TotalNumSgprs: 35
; NumVgprs: 128
; ScratchSize: 1352
; MemoryBound: 0
	.section	.text._ZN4vllm25paged_attention_v2_kernelIthLi256ELi32ELi128ELNS_18Fp8KVCacheDataTypeE1ELb0ELi512EEEvPfS2_PT_PKS3_PKT0_S9_ifPKiSB_iPKfiiiSD_SD_iiiii,"axG",@progbits,_ZN4vllm25paged_attention_v2_kernelIthLi256ELi32ELi128ELNS_18Fp8KVCacheDataTypeE1ELb0ELi512EEEvPfS2_PT_PKS3_PKT0_S9_ifPKiSB_iPKfiiiSD_SD_iiiii,comdat
	.protected	_ZN4vllm25paged_attention_v2_kernelIthLi256ELi32ELi128ELNS_18Fp8KVCacheDataTypeE1ELb0ELi512EEEvPfS2_PT_PKS3_PKT0_S9_ifPKiSB_iPKfiiiSD_SD_iiiii ; -- Begin function _ZN4vllm25paged_attention_v2_kernelIthLi256ELi32ELi128ELNS_18Fp8KVCacheDataTypeE1ELb0ELi512EEEvPfS2_PT_PKS3_PKT0_S9_ifPKiSB_iPKfiiiSD_SD_iiiii
	.globl	_ZN4vllm25paged_attention_v2_kernelIthLi256ELi32ELi128ELNS_18Fp8KVCacheDataTypeE1ELb0ELi512EEEvPfS2_PT_PKS3_PKT0_S9_ifPKiSB_iPKfiiiSD_SD_iiiii
	.p2align	8
	.type	_ZN4vllm25paged_attention_v2_kernelIthLi256ELi32ELi128ELNS_18Fp8KVCacheDataTypeE1ELb0ELi512EEEvPfS2_PT_PKS3_PKT0_S9_ifPKiSB_iPKfiiiSD_SD_iiiii,@function
_ZN4vllm25paged_attention_v2_kernelIthLi256ELi32ELi128ELNS_18Fp8KVCacheDataTypeE1ELb0ELi512EEEvPfS2_PT_PKS3_PKT0_S9_ifPKiSB_iPKfiiiSD_SD_iiiii: ; @_ZN4vllm25paged_attention_v2_kernelIthLi256ELi32ELi128ELNS_18Fp8KVCacheDataTypeE1ELb0ELi512EEEvPfS2_PT_PKS3_PKT0_S9_ifPKiSB_iPKfiiiSD_SD_iiiii
; %bb.0:
	s_clause 0x5
	s_load_dwordx8 s[24:31], s[4:5], 0x0
	s_load_dwordx8 s[16:23], s[4:5], 0x20
	s_load_dwordx2 s[10:11], s[4:5], 0x40
	s_load_dwordx2 s[34:35], s[4:5], 0x50
	s_load_dword s13, s[4:5], 0x48
	s_load_dwordx8 s[36:43], s[4:5], 0x58
	s_add_u32 s0, s0, s9
	s_addc_u32 s1, s1, 0
	v_mov_b32_e32 v31, v0
	s_mov_b32 s14, s8
	s_add_u32 s8, s4, 0x90
	s_addc_u32 s9, s5, 0
	s_getpc_b64 s[4:5]
	s_add_u32 s4, s4, _ZN4vllm22paged_attention_kernelIthLi256ELi32ELi128ELNS_18Fp8KVCacheDataTypeE1ELb0ELi512EEEvPfS2_PT_PKS3_PKT0_S9_ifPKiSB_iPKfiiiSD_SD_iiiii@rel32@lo+4
	s_addc_u32 s5, s5, _ZN4vllm22paged_attention_kernelIthLi256ELi32ELi128ELNS_18Fp8KVCacheDataTypeE1ELb0ELi512EEEvPfS2_PT_PKS3_PKT0_S9_ifPKiSB_iPKfiiiSD_SD_iiiii@rel32@hi+12
	s_mov_b32 s12, s6
	s_mov_b32 s15, 46
	;; [unrolled: 1-line block ×3, first 2 shown]
	s_waitcnt lgkmcnt(0)
	v_mov_b32_e32 v0, s24
	v_mov_b32_e32 v1, s25
	;; [unrolled: 1-line block ×28, first 2 shown]
	s_mov_b32 s13, s7
	s_swappc_b64 s[30:31], s[4:5]
	s_endpgm
	.section	.rodata,"a",@progbits
	.p2align	6, 0x0
	.amdhsa_kernel _ZN4vllm25paged_attention_v2_kernelIthLi256ELi32ELi128ELNS_18Fp8KVCacheDataTypeE1ELb0ELi512EEEvPfS2_PT_PKS3_PKT0_S9_ifPKiSB_iPKfiiiSD_SD_iiiii
		.amdhsa_group_segment_fixed_size 544
		.amdhsa_private_segment_fixed_size 1352
		.amdhsa_kernarg_size 400
		.amdhsa_user_sgpr_count 6
		.amdhsa_user_sgpr_private_segment_buffer 1
		.amdhsa_user_sgpr_dispatch_ptr 0
		.amdhsa_user_sgpr_queue_ptr 0
		.amdhsa_user_sgpr_kernarg_segment_ptr 1
		.amdhsa_user_sgpr_dispatch_id 0
		.amdhsa_user_sgpr_flat_scratch_init 0
		.amdhsa_user_sgpr_private_segment_size 0
		.amdhsa_wavefront_size32 1
		.amdhsa_uses_dynamic_stack 0
		.amdhsa_system_sgpr_private_segment_wavefront_offset 1
		.amdhsa_system_sgpr_workgroup_id_x 1
		.amdhsa_system_sgpr_workgroup_id_y 1
		.amdhsa_system_sgpr_workgroup_id_z 1
		.amdhsa_system_sgpr_workgroup_info 0
		.amdhsa_system_vgpr_workitem_id 0
		.amdhsa_next_free_vgpr 128
		.amdhsa_next_free_sgpr 44
		.amdhsa_reserve_vcc 1
		.amdhsa_reserve_flat_scratch 0
		.amdhsa_float_round_mode_32 0
		.amdhsa_float_round_mode_16_64 0
		.amdhsa_float_denorm_mode_32 3
		.amdhsa_float_denorm_mode_16_64 3
		.amdhsa_dx10_clamp 1
		.amdhsa_ieee_mode 1
		.amdhsa_fp16_overflow 0
		.amdhsa_workgroup_processor_mode 1
		.amdhsa_memory_ordered 1
		.amdhsa_forward_progress 1
		.amdhsa_shared_vgpr_count 0
		.amdhsa_exception_fp_ieee_invalid_op 0
		.amdhsa_exception_fp_denorm_src 0
		.amdhsa_exception_fp_ieee_div_zero 0
		.amdhsa_exception_fp_ieee_overflow 0
		.amdhsa_exception_fp_ieee_underflow 0
		.amdhsa_exception_fp_ieee_inexact 0
		.amdhsa_exception_int_div_zero 0
	.end_amdhsa_kernel
	.section	.text._ZN4vllm25paged_attention_v2_kernelIthLi256ELi32ELi128ELNS_18Fp8KVCacheDataTypeE1ELb0ELi512EEEvPfS2_PT_PKS3_PKT0_S9_ifPKiSB_iPKfiiiSD_SD_iiiii,"axG",@progbits,_ZN4vllm25paged_attention_v2_kernelIthLi256ELi32ELi128ELNS_18Fp8KVCacheDataTypeE1ELb0ELi512EEEvPfS2_PT_PKS3_PKT0_S9_ifPKiSB_iPKfiiiSD_SD_iiiii,comdat
.Lfunc_end330:
	.size	_ZN4vllm25paged_attention_v2_kernelIthLi256ELi32ELi128ELNS_18Fp8KVCacheDataTypeE1ELb0ELi512EEEvPfS2_PT_PKS3_PKT0_S9_ifPKiSB_iPKfiiiSD_SD_iiiii, .Lfunc_end330-_ZN4vllm25paged_attention_v2_kernelIthLi256ELi32ELi128ELNS_18Fp8KVCacheDataTypeE1ELb0ELi512EEEvPfS2_PT_PKS3_PKT0_S9_ifPKiSB_iPKfiiiSD_SD_iiiii
                                        ; -- End function
	.set _ZN4vllm25paged_attention_v2_kernelIthLi256ELi32ELi128ELNS_18Fp8KVCacheDataTypeE1ELb0ELi512EEEvPfS2_PT_PKS3_PKT0_S9_ifPKiSB_iPKfiiiSD_SD_iiiii.num_vgpr, max(32, .L_ZN4vllm22paged_attention_kernelIthLi256ELi32ELi128ELNS_18Fp8KVCacheDataTypeE1ELb0ELi512EEEvPfS2_PT_PKS3_PKT0_S9_ifPKiSB_iPKfiiiSD_SD_iiiii.num_vgpr)
	.set _ZN4vllm25paged_attention_v2_kernelIthLi256ELi32ELi128ELNS_18Fp8KVCacheDataTypeE1ELb0ELi512EEEvPfS2_PT_PKS3_PKT0_S9_ifPKiSB_iPKfiiiSD_SD_iiiii.num_agpr, max(0, .L_ZN4vllm22paged_attention_kernelIthLi256ELi32ELi128ELNS_18Fp8KVCacheDataTypeE1ELb0ELi512EEEvPfS2_PT_PKS3_PKT0_S9_ifPKiSB_iPKfiiiSD_SD_iiiii.num_agpr)
	.set _ZN4vllm25paged_attention_v2_kernelIthLi256ELi32ELi128ELNS_18Fp8KVCacheDataTypeE1ELb0ELi512EEEvPfS2_PT_PKS3_PKT0_S9_ifPKiSB_iPKfiiiSD_SD_iiiii.numbered_sgpr, max(44, .L_ZN4vllm22paged_attention_kernelIthLi256ELi32ELi128ELNS_18Fp8KVCacheDataTypeE1ELb0ELi512EEEvPfS2_PT_PKS3_PKT0_S9_ifPKiSB_iPKfiiiSD_SD_iiiii.numbered_sgpr)
	.set _ZN4vllm25paged_attention_v2_kernelIthLi256ELi32ELi128ELNS_18Fp8KVCacheDataTypeE1ELb0ELi512EEEvPfS2_PT_PKS3_PKT0_S9_ifPKiSB_iPKfiiiSD_SD_iiiii.num_named_barrier, max(0, .L_ZN4vllm22paged_attention_kernelIthLi256ELi32ELi128ELNS_18Fp8KVCacheDataTypeE1ELb0ELi512EEEvPfS2_PT_PKS3_PKT0_S9_ifPKiSB_iPKfiiiSD_SD_iiiii.num_named_barrier)
	.set _ZN4vllm25paged_attention_v2_kernelIthLi256ELi32ELi128ELNS_18Fp8KVCacheDataTypeE1ELb0ELi512EEEvPfS2_PT_PKS3_PKT0_S9_ifPKiSB_iPKfiiiSD_SD_iiiii.private_seg_size, 0+max(.L_ZN4vllm22paged_attention_kernelIthLi256ELi32ELi128ELNS_18Fp8KVCacheDataTypeE1ELb0ELi512EEEvPfS2_PT_PKS3_PKT0_S9_ifPKiSB_iPKfiiiSD_SD_iiiii.private_seg_size)
	.set _ZN4vllm25paged_attention_v2_kernelIthLi256ELi32ELi128ELNS_18Fp8KVCacheDataTypeE1ELb0ELi512EEEvPfS2_PT_PKS3_PKT0_S9_ifPKiSB_iPKfiiiSD_SD_iiiii.uses_vcc, or(1, .L_ZN4vllm22paged_attention_kernelIthLi256ELi32ELi128ELNS_18Fp8KVCacheDataTypeE1ELb0ELi512EEEvPfS2_PT_PKS3_PKT0_S9_ifPKiSB_iPKfiiiSD_SD_iiiii.uses_vcc)
	.set _ZN4vllm25paged_attention_v2_kernelIthLi256ELi32ELi128ELNS_18Fp8KVCacheDataTypeE1ELb0ELi512EEEvPfS2_PT_PKS3_PKT0_S9_ifPKiSB_iPKfiiiSD_SD_iiiii.uses_flat_scratch, or(0, .L_ZN4vllm22paged_attention_kernelIthLi256ELi32ELi128ELNS_18Fp8KVCacheDataTypeE1ELb0ELi512EEEvPfS2_PT_PKS3_PKT0_S9_ifPKiSB_iPKfiiiSD_SD_iiiii.uses_flat_scratch)
	.set _ZN4vllm25paged_attention_v2_kernelIthLi256ELi32ELi128ELNS_18Fp8KVCacheDataTypeE1ELb0ELi512EEEvPfS2_PT_PKS3_PKT0_S9_ifPKiSB_iPKfiiiSD_SD_iiiii.has_dyn_sized_stack, or(0, .L_ZN4vllm22paged_attention_kernelIthLi256ELi32ELi128ELNS_18Fp8KVCacheDataTypeE1ELb0ELi512EEEvPfS2_PT_PKS3_PKT0_S9_ifPKiSB_iPKfiiiSD_SD_iiiii.has_dyn_sized_stack)
	.set _ZN4vllm25paged_attention_v2_kernelIthLi256ELi32ELi128ELNS_18Fp8KVCacheDataTypeE1ELb0ELi512EEEvPfS2_PT_PKS3_PKT0_S9_ifPKiSB_iPKfiiiSD_SD_iiiii.has_recursion, or(0, .L_ZN4vllm22paged_attention_kernelIthLi256ELi32ELi128ELNS_18Fp8KVCacheDataTypeE1ELb0ELi512EEEvPfS2_PT_PKS3_PKT0_S9_ifPKiSB_iPKfiiiSD_SD_iiiii.has_recursion)
	.set _ZN4vllm25paged_attention_v2_kernelIthLi256ELi32ELi128ELNS_18Fp8KVCacheDataTypeE1ELb0ELi512EEEvPfS2_PT_PKS3_PKT0_S9_ifPKiSB_iPKfiiiSD_SD_iiiii.has_indirect_call, or(0, .L_ZN4vllm22paged_attention_kernelIthLi256ELi32ELi128ELNS_18Fp8KVCacheDataTypeE1ELb0ELi512EEEvPfS2_PT_PKS3_PKT0_S9_ifPKiSB_iPKfiiiSD_SD_iiiii.has_indirect_call)
	.section	.AMDGPU.csdata,"",@progbits
; Kernel info:
; codeLenInByte = 240
; TotalNumSgprs: 46
; NumVgprs: 128
; ScratchSize: 1352
; MemoryBound: 0
; FloatMode: 240
; IeeeMode: 1
; LDSByteSize: 544 bytes/workgroup (compile time only)
; SGPRBlocks: 0
; VGPRBlocks: 15
; NumSGPRsForWavesPerEU: 46
; NumVGPRsForWavesPerEU: 128
; Occupancy: 8
; WaveLimiterHint : 1
; COMPUTE_PGM_RSRC2:SCRATCH_EN: 1
; COMPUTE_PGM_RSRC2:USER_SGPR: 6
; COMPUTE_PGM_RSRC2:TRAP_HANDLER: 0
; COMPUTE_PGM_RSRC2:TGID_X_EN: 1
; COMPUTE_PGM_RSRC2:TGID_Y_EN: 1
; COMPUTE_PGM_RSRC2:TGID_Z_EN: 1
; COMPUTE_PGM_RSRC2:TIDIG_COMP_CNT: 0
	.section	.text._ZN4vllm25paged_attention_v2_kernelI14__hip_bfloat16hLi32ELi8ELi128ELNS_18Fp8KVCacheDataTypeE1ELb1ELi512EEEvPfS3_PT_PKS4_PKT0_SA_ifPKiSC_iPKfiiiSE_SE_iiiii,"axG",@progbits,_ZN4vllm25paged_attention_v2_kernelI14__hip_bfloat16hLi32ELi8ELi128ELNS_18Fp8KVCacheDataTypeE1ELb1ELi512EEEvPfS3_PT_PKS4_PKT0_SA_ifPKiSC_iPKfiiiSE_SE_iiiii,comdat
	.protected	_ZN4vllm25paged_attention_v2_kernelI14__hip_bfloat16hLi32ELi8ELi128ELNS_18Fp8KVCacheDataTypeE1ELb1ELi512EEEvPfS3_PT_PKS4_PKT0_SA_ifPKiSC_iPKfiiiSE_SE_iiiii ; -- Begin function _ZN4vllm25paged_attention_v2_kernelI14__hip_bfloat16hLi32ELi8ELi128ELNS_18Fp8KVCacheDataTypeE1ELb1ELi512EEEvPfS3_PT_PKS4_PKT0_SA_ifPKiSC_iPKfiiiSE_SE_iiiii
	.globl	_ZN4vllm25paged_attention_v2_kernelI14__hip_bfloat16hLi32ELi8ELi128ELNS_18Fp8KVCacheDataTypeE1ELb1ELi512EEEvPfS3_PT_PKS4_PKT0_SA_ifPKiSC_iPKfiiiSE_SE_iiiii
	.p2align	8
	.type	_ZN4vllm25paged_attention_v2_kernelI14__hip_bfloat16hLi32ELi8ELi128ELNS_18Fp8KVCacheDataTypeE1ELb1ELi512EEEvPfS3_PT_PKS4_PKT0_SA_ifPKiSC_iPKfiiiSE_SE_iiiii,@function
_ZN4vllm25paged_attention_v2_kernelI14__hip_bfloat16hLi32ELi8ELi128ELNS_18Fp8KVCacheDataTypeE1ELb1ELi512EEEvPfS3_PT_PKS4_PKT0_SA_ifPKiSC_iPKfiiiSE_SE_iiiii: ; @_ZN4vllm25paged_attention_v2_kernelI14__hip_bfloat16hLi32ELi8ELi128ELNS_18Fp8KVCacheDataTypeE1ELb1ELi512EEEvPfS3_PT_PKS4_PKT0_SA_ifPKiSC_iPKfiiiSE_SE_iiiii
; %bb.0:
	s_load_dwordx2 s[0:1], s[4:5], 0x40
	s_mov_b32 s30, s7
	s_ashr_i32 s31, s7, 31
	s_lshl_b64 s[2:3], s[30:31], 2
	s_waitcnt lgkmcnt(0)
	s_add_u32 s0, s0, s2
	s_addc_u32 s1, s1, s3
	s_lshl_b32 s33, s8, 9
	s_load_dword s31, s[0:1], 0x0
	s_waitcnt lgkmcnt(0)
	s_cmp_ge_i32 s33, s31
	s_cbranch_scc1 .LBB331_184
; %bb.1:
	s_clause 0x1
	s_load_dword s9, s[4:5], 0x90
	s_load_dwordx2 s[40:41], s[4:5], 0x30
	s_mov_b32 s43, 0
	s_waitcnt lgkmcnt(0)
	s_abs_i32 s3, s9
	s_abs_i32 s0, s40
	v_cvt_f32_u32_e32 v1, s0
	s_sub_i32 s2, 0, s0
	v_rcp_iflag_f32_e32 v1, v1
	v_mul_f32_e32 v1, 0x4f7ffffe, v1
	v_cvt_u32_f32_e32 v1, v1
	v_readfirstlane_b32 s1, v1
	s_mul_i32 s2, s2, s1
	s_mul_hi_u32 s2, s1, s2
	s_add_i32 s1, s1, s2
	s_xor_b32 s2, s9, s40
	s_mul_hi_u32 s1, s3, s1
	s_ashr_i32 s2, s2, 31
	s_mul_i32 s7, s1, s0
	s_sub_i32 s3, s3, s7
	s_add_i32 s7, s1, 1
	s_sub_i32 s10, s3, s0
	s_cmp_ge_u32 s3, s0
	s_cselect_b32 s1, s7, s1
	s_cselect_b32 s3, s10, s3
	s_add_i32 s7, s1, 1
	s_cmp_ge_u32 s3, s0
	s_cselect_b32 s0, s7, s1
	s_xor_b32 s0, s0, s2
	s_sub_i32 s10, s0, s2
	s_load_dwordx2 s[0:1], s[4:5], 0x50
	s_abs_i32 s2, s10
	v_cvt_f32_u32_e32 v1, s2
	s_sub_i32 s3, 0, s2
	v_rcp_iflag_f32_e32 v1, v1
	v_mul_f32_e32 v1, 0x4f7ffffe, v1
	v_cvt_u32_f32_e32 v1, v1
	v_readfirstlane_b32 s7, v1
	s_mul_i32 s3, s3, s7
	s_mul_hi_u32 s11, s7, s3
	s_abs_i32 s3, s6
	s_add_i32 s7, s7, s11
	s_waitcnt lgkmcnt(0)
	s_cmp_eq_u64 s[0:1], 0
	s_mul_hi_u32 s12, s3, s7
	s_cbranch_scc1 .LBB331_3
; %bb.2:
	s_ashr_i32 s7, s6, 31
	s_lshl_b64 s[14:15], s[6:7], 2
	s_add_u32 s0, s0, s14
	s_addc_u32 s1, s1, s15
	s_load_dword s43, s[0:1], 0x0
.LBB331_3:
	s_load_dwordx4 s[16:19], s[4:5], 0x58
	v_and_b32_e32 v1, 3, v0
	s_ashr_i32 s0, s6, 31
	s_ashr_i32 s1, s10, 31
	s_lshl_b32 s10, s6, 5
	s_mov_b32 s7, exec_lo
	v_cmpx_gt_u32_e32 16, v0
	s_cbranch_execz .LBB331_5
; %bb.4:
	s_load_dwordx2 s[14:15], s[4:5], 0x18
	s_waitcnt lgkmcnt(0)
	s_mul_i32 s20, s16, s30
	v_lshlrev_b32_e32 v2, 2, v0
	s_ashr_i32 s21, s20, 31
	v_and_b32_e32 v3, 0x3fc, v0
	s_lshl_b64 s[20:21], s[20:21], 1
	v_lshl_add_u32 v3, v1, 4, v3
	s_add_u32 s13, s14, s20
	s_addc_u32 s16, s15, s21
	s_ashr_i32 s11, s10, 31
	s_lshl_b64 s[14:15], s[10:11], 1
	s_add_u32 s14, s13, s14
	s_addc_u32 s15, s16, s15
	global_load_dword v2, v2, s[14:15]
	s_waitcnt vmcnt(0)
	ds_write_b32 v3, v2
.LBB331_5:
	s_or_b32 exec_lo, exec_lo, s7
	s_load_dwordx4 s[20:23], s[4:5], 0x78
	s_mul_i32 s7, s12, s2
	s_xor_b32 s0, s0, s1
	s_sub_i32 s1, s3, s7
	s_add_i32 s3, s12, 1
	s_sub_i32 s7, s1, s2
	s_cmp_ge_u32 s1, s2
                                        ; implicit-def: $sgpr19
	s_cselect_b32 s3, s3, s12
	s_cselect_b32 s1, s7, s1
	s_add_i32 s7, s3, 1
	s_cmp_ge_u32 s1, s2
	s_mov_b32 s12, -1
	s_cselect_b32 s1, s7, s3
	s_load_dword s3, s[4:5], 0x88
	s_xor_b32 s1, s1, s0
	s_add_i32 s7, s31, -1
	s_sub_i32 s1, s1, s0
	s_abs_i32 s2, s7
	s_waitcnt lgkmcnt(0)
	s_abs_i32 s11, s23
	s_barrier
	v_cvt_f32_u32_e32 v2, s11
	s_sub_i32 s0, 0, s11
	buffer_gl0_inv
	v_rcp_iflag_f32_e32 v2, v2
	v_mul_f32_e32 v2, 0x4f7ffffe, v2
	v_cvt_u32_f32_e32 v2, v2
	v_readfirstlane_b32 s16, v2
	s_mul_i32 s0, s0, s16
	s_mul_hi_u32 s0, s16, s0
	s_add_i32 s16, s16, s0
	s_cmp_lt_i32 s3, 0
	s_mul_hi_u32 s0, s2, s16
	s_cbranch_scc0 .LBB331_7
; %bb.6:
	s_mul_i32 s12, s20, s40
	s_add_i32 s12, s1, s12
	s_mul_i32 s12, s12, s3
	s_sub_i32 s19, 1, s12
	s_mov_b32 s12, 0
.LBB331_7:
	s_load_dwordx2 s[34:35], s[4:5], 0x38
	s_ashr_i32 s36, s7, 31
	s_andn2_b32 vcc_lo, exec_lo, s12
	s_ashr_i32 s23, s23, 31
	s_cbranch_vccnz .LBB331_9
; %bb.8:
	s_mul_i32 s7, s9, s20
	s_add_i32 s7, s7, s6
	s_mul_i32 s3, s7, s3
	s_add_i32 s19, s3, 1
.LBB331_9:
	s_clause 0x5
	s_load_dword s3, s[4:5], 0x48
	s_load_dwordx2 s[38:39], s[4:5], 0x28
	s_load_dwordx4 s[24:27], s[4:5], 0x0
	s_load_dwordx2 s[28:29], s[4:5], 0x10
	s_load_dword s7, s[4:5], 0x98
	s_load_dwordx4 s[12:15], s[4:5], 0x68
	s_mul_i32 s20, s0, s11
	s_xor_b32 s42, s36, s23
	s_sub_i32 s2, s2, s20
	s_add_i32 s40, s0, 1
	v_lshrrev_b32_e32 v19, 5, v0
	v_mov_b32_e32 v16, 0xff7fffff
	v_mbcnt_lo_u32_b32 v15, -1, 0
	s_mul_i32 s18, s1, s18
	v_lshl_add_u32 v20, v19, 3, s33
	s_waitcnt lgkmcnt(0)
	s_mul_i32 s36, s3, s30
	s_sub_i32 s3, s2, s11
	s_ashr_i32 s37, s36, 31
	s_cmp_ge_u32 s2, s11
	s_cselect_b32 s0, s40, s0
	s_cselect_b32 s2, s3, s2
	s_add_i32 s3, s0, 1
	s_cmp_ge_u32 s2, s11
	s_cselect_b32 s0, s3, s0
	s_add_i32 s2, s31, 7
	s_lshl_b32 s44, s8, 6
	s_ashr_i32 s3, s2, 31
	v_or_b32_e32 v9, s44, v19
	s_lshr_b32 s3, s3, 29
	s_add_i32 s2, s2, s3
	s_add_i32 s3, s44, 64
	s_ashr_i32 s40, s2, 3
	s_xor_b32 s2, s0, s42
	s_min_i32 s20, s3, s40
	v_ashrrev_i32_e32 v10, 31, v9
	v_cmp_gt_i32_e64 s0, s20, v9
	s_sub_i32 s42, s2, s42
	s_and_saveexec_b32 s45, s0
	s_cbranch_execz .LBB331_85
; %bb.10:
	s_load_dwordx2 s[2:3], s[4:5], 0x20
	s_sub_i32 s4, s42, s21
	s_ashr_i32 s1, s18, 31
	v_bfe_u32 v17, v0, 2, 3
	v_cmp_eq_u32_e32 vcc_lo, 0, v1
	v_lshlrev_b32_e32 v4, 1, v1
	v_lshlrev_b32_e32 v18, 4, v1
	v_mov_b32_e32 v6, 0
	v_lshlrev_b32_e32 v5, 2, v17
	v_lshlrev_b32_e32 v8, 4, v17
	v_subrev_nc_u32_e32 v7, s31, v17
	v_lshl_add_u32 v21, v19, 3, s33
	v_mov_b32_e32 v22, 0xff7fffff
	v_lshl_or_b32 v5, v19, 5, v5
	v_mov_b32_e32 v23, 0x80
	v_add_nc_u32_e32 v25, 1, v7
	v_mov_b32_e32 v24, 0xffff
	v_mov_b32_e32 v16, 0xff7fffff
	v_add_nc_u32_e32 v26, 0x60, v5
	v_mov_b32_e32 v28, v9
	s_waitcnt lgkmcnt(0)
	s_add_u32 s46, s2, s18
	s_addc_u32 s47, s3, s1
	s_abs_i32 s5, s22
	v_add_co_u32 v11, s46, s46, v8
	v_cvt_f32_u32_e32 v2, s5
	s_sub_i32 s2, 0, s5
	v_add_co_ci_u32_e64 v12, null, s47, 0, s46
	v_cmp_neq_f32_e64 s1, s43, 0
	v_rcp_iflag_f32_e32 v3, v2
	v_lshlrev_b64 v[1:2], 2, v[9:10]
	s_mov_b32 s46, 0
	s_mov_b32 s47, s17
	v_mul_f32_e32 v3, 0x4f7ffffe, v3
	v_cvt_u32_f32_e32 v3, v3
	v_mul_lo_u32 v5, s2, v3
	s_lshl_b64 s[2:3], s[36:37], 2
	s_add_u32 s2, s34, s2
	s_addc_u32 s3, s35, s3
	v_add_co_u32 v7, s2, s2, v1
	v_add_co_ci_u32_e64 v8, null, s3, v2, s2
	v_mul_hi_u32 v5, v3, v5
	v_add_co_u32 v11, s2, v11, v4
	v_add_co_ci_u32_e64 v12, null, 0, v12, s2
	v_add_nc_u32_e32 v27, v3, v5
	s_branch .LBB331_13
.LBB331_11:                             ;   in Loop: Header=BB331_13 Depth=1
	s_or_b32 exec_lo, exec_lo, s48
.LBB331_12:                             ;   in Loop: Header=BB331_13 Depth=1
	s_or_b32 exec_lo, exec_lo, s3
	v_add_nc_u32_e32 v28, 4, v28
	v_add_co_u32 v7, s3, v7, 16
	v_add_co_ci_u32_e64 v8, null, 0, v8, s3
	v_cmp_le_i32_e64 s2, s20, v28
	v_add_nc_u32_e32 v21, 32, v21
	v_add_nc_u32_e32 v26, 0x80, v26
	s_or_b32 s46, s2, s46
	s_andn2_b32 exec_lo, exec_lo, s46
	s_cbranch_execz .LBB331_84
.LBB331_13:                             ; =>This Inner Loop Header: Depth=1
	v_sub_nc_u32_e32 v1, 0, v21
	v_max_i32_e32 v1, v21, v1
	s_waitcnt lgkmcnt(0)
	v_mul_hi_u32 v2, v1, s16
	v_mul_lo_u32 v3, v2, s11
	v_sub_nc_u32_e32 v1, v1, v3
	v_add_nc_u32_e32 v3, 1, v2
	v_subrev_nc_u32_e32 v4, s11, v1
	v_cmp_le_u32_e64 s2, s11, v1
	v_cndmask_b32_e64 v2, v2, v3, s2
	v_cndmask_b32_e64 v1, v1, v4, s2
	v_ashrrev_i32_e32 v3, 31, v21
	v_add_nc_u32_e32 v4, 1, v2
	v_cmp_le_u32_e64 s2, s11, v1
	v_xor_b32_e32 v3, s23, v3
	v_cndmask_b32_e64 v1, v2, v4, s2
	v_xor_b32_e32 v1, v1, v3
	v_sub_nc_u32_e32 v1, v1, v3
	v_add_nc_u32_e32 v2, s19, v1
	v_cmp_ge_i32_e64 s3, s4, v1
	v_sub_nc_u32_e32 v3, 0, v2
	v_max_i32_e32 v3, v2, v3
	v_ashrrev_i32_e32 v2, 31, v2
	v_mul_hi_u32 v4, v3, v27
	v_mul_lo_u32 v4, v4, s5
	v_sub_nc_u32_e32 v3, v3, v4
	v_subrev_nc_u32_e32 v4, s5, v3
	v_cmp_le_u32_e64 s2, s5, v3
	v_cndmask_b32_e64 v3, v3, v4, s2
	v_subrev_nc_u32_e32 v4, s5, v3
	v_cmp_le_u32_e64 s2, s5, v3
	v_cndmask_b32_e64 v3, v3, v4, s2
	v_xor_b32_e32 v3, v3, v2
	v_sub_nc_u32_e32 v2, v3, v2
	v_cmp_ne_u32_e64 s2, 0, v2
	s_and_b32 s2, s2, s3
	s_and_saveexec_b32 s3, s2
	s_xor_b32 s2, exec_lo, s3
	s_cbranch_execz .LBB331_17
; %bb.14:                               ;   in Loop: Header=BB331_13 Depth=1
	s_and_saveexec_b32 s3, vcc_lo
; %bb.15:                               ;   in Loop: Header=BB331_13 Depth=1
	ds_write_b32 v26, v22
; %bb.16:                               ;   in Loop: Header=BB331_13 Depth=1
	s_or_b32 exec_lo, exec_lo, s3
.LBB331_17:                             ;   in Loop: Header=BB331_13 Depth=1
	s_andn2_saveexec_b32 s3, s2
	s_cbranch_execz .LBB331_12
; %bb.18:                               ;   in Loop: Header=BB331_13 Depth=1
	global_load_dword v1, v[7:8], off
	s_load_dword s48, s[12:13], 0x0
	v_mov_b32_e32 v30, 0
	v_mov_b32_e32 v29, 0
	s_waitcnt vmcnt(0)
	v_mad_i64_i32 v[13:14], null, v1, s47, v[11:12]
	ds_read_b128 v[1:4], v18
	global_load_ushort v5, v[13:14], off
	s_waitcnt vmcnt(0)
	v_and_b32_e32 v31, 0xffff, v5
	v_cmp_ne_u16_sdwa s2, v5, v6 src0_sel:BYTE_0 src1_sel:DWORD
	s_and_saveexec_b32 s49, s2
	s_cbranch_execz .LBB331_26
; %bb.19:                               ;   in Loop: Header=BB331_13 Depth=1
	v_cmp_ne_u16_sdwa s2, v31, v23 src0_sel:BYTE_0 src1_sel:DWORD
	v_bfrev_b32_e32 v29, 1
	s_and_saveexec_b32 s50, s2
	s_cbranch_execz .LBB331_25
; %bb.20:                               ;   in Loop: Header=BB331_13 Depth=1
	v_and_b32_e32 v32, 0x7f, v31
	v_mov_b32_e32 v29, 0x7f800001
	s_mov_b32 s51, exec_lo
	v_cmpx_ne_u32_e32 0x7f, v32
	s_cbranch_execz .LBB331_24
; %bb.21:                               ;   in Loop: Header=BB331_13 Depth=1
	v_and_b32_e32 v5, 7, v31
	v_lshrrev_b32_e32 v29, 3, v32
	s_mov_b32 s52, exec_lo
	v_cmpx_gt_u32_e32 8, v32
; %bb.22:                               ;   in Loop: Header=BB331_13 Depth=1
	v_ffbh_u32_e32 v29, v5
	v_min_u32_e32 v29, 32, v29
	v_subrev_nc_u32_e32 v32, 28, v29
	v_sub_nc_u32_e32 v29, 29, v29
	v_lshlrev_b64 v[32:33], v32, v[5:6]
	v_and_b32_e32 v5, 7, v32
; %bb.23:                               ;   in Loop: Header=BB331_13 Depth=1
	s_or_b32 exec_lo, exec_lo, s52
	v_lshlrev_b32_e32 v32, 24, v31
	v_lshlrev_b32_e32 v5, 20, v5
	v_lshl_add_u32 v29, v29, 23, 0x3c000000
	v_and_b32_e32 v32, 0x80000000, v32
	v_or3_b32 v29, v5, v32, v29
.LBB331_24:                             ;   in Loop: Header=BB331_13 Depth=1
	s_or_b32 exec_lo, exec_lo, s51
.LBB331_25:                             ;   in Loop: Header=BB331_13 Depth=1
	s_or_b32 exec_lo, exec_lo, s50
.LBB331_26:                             ;   in Loop: Header=BB331_13 Depth=1
	s_or_b32 exec_lo, exec_lo, s49
	v_cmp_ne_u16_sdwa s2, v31, v6 src0_sel:BYTE_1 src1_sel:DWORD
	s_and_saveexec_b32 s49, s2
	s_cbranch_execz .LBB331_34
; %bb.27:                               ;   in Loop: Header=BB331_13 Depth=1
	v_cmp_ne_u16_sdwa s2, v31, v23 src0_sel:BYTE_1 src1_sel:DWORD
	v_bfrev_b32_e32 v30, 1
	s_and_saveexec_b32 s50, s2
	s_cbranch_execz .LBB331_33
; %bb.28:                               ;   in Loop: Header=BB331_13 Depth=1
	v_and_b32_sdwa v5, v24, v31 dst_sel:DWORD dst_unused:UNUSED_PAD src0_sel:DWORD src1_sel:BYTE_1
	v_mov_b32_e32 v30, 0x7f800001
	s_mov_b32 s51, exec_lo
	v_and_b32_e32 v32, 0x7f, v5
	v_cmpx_ne_u32_e32 0x7f, v32
	s_cbranch_execz .LBB331_32
; %bb.29:                               ;   in Loop: Header=BB331_13 Depth=1
	v_and_b32_e32 v5, 7, v5
	v_lshrrev_b32_e32 v30, 3, v32
	s_mov_b32 s52, exec_lo
	v_cmpx_gt_u32_e32 8, v32
; %bb.30:                               ;   in Loop: Header=BB331_13 Depth=1
	v_ffbh_u32_e32 v30, v5
	v_min_u32_e32 v30, 32, v30
	v_subrev_nc_u32_e32 v32, 28, v30
	v_sub_nc_u32_e32 v30, 29, v30
	v_lshlrev_b64 v[32:33], v32, v[5:6]
	v_and_b32_e32 v5, 7, v32
; %bb.31:                               ;   in Loop: Header=BB331_13 Depth=1
	s_or_b32 exec_lo, exec_lo, s52
	v_lshlrev_b32_e32 v31, 16, v31
	v_lshlrev_b32_e32 v5, 20, v5
	v_lshl_add_u32 v30, v30, 23, 0x3c000000
	v_and_b32_e32 v31, 0x80000000, v31
	v_or3_b32 v30, v5, v31, v30
.LBB331_32:                             ;   in Loop: Header=BB331_13 Depth=1
	s_or_b32 exec_lo, exec_lo, s51
.LBB331_33:                             ;   in Loop: Header=BB331_13 Depth=1
	s_or_b32 exec_lo, exec_lo, s50
.LBB331_34:                             ;   in Loop: Header=BB331_13 Depth=1
	s_or_b32 exec_lo, exec_lo, s49
	global_load_ushort v5, v[13:14], off offset:8
	v_mov_b32_e32 v32, 0
	v_mov_b32_e32 v31, 0
	s_waitcnt vmcnt(0)
	v_and_b32_e32 v33, 0xffff, v5
	v_cmp_ne_u16_sdwa s2, v5, v6 src0_sel:BYTE_0 src1_sel:DWORD
	s_and_saveexec_b32 s49, s2
	s_cbranch_execz .LBB331_42
; %bb.35:                               ;   in Loop: Header=BB331_13 Depth=1
	v_cmp_ne_u16_sdwa s2, v33, v23 src0_sel:BYTE_0 src1_sel:DWORD
	v_bfrev_b32_e32 v31, 1
	s_and_saveexec_b32 s50, s2
	s_cbranch_execz .LBB331_41
; %bb.36:                               ;   in Loop: Header=BB331_13 Depth=1
	v_and_b32_e32 v34, 0x7f, v33
	v_mov_b32_e32 v31, 0x7f800001
	s_mov_b32 s51, exec_lo
	v_cmpx_ne_u32_e32 0x7f, v34
	s_cbranch_execz .LBB331_40
; %bb.37:                               ;   in Loop: Header=BB331_13 Depth=1
	v_and_b32_e32 v5, 7, v33
	v_lshrrev_b32_e32 v31, 3, v34
	s_mov_b32 s52, exec_lo
	v_cmpx_gt_u32_e32 8, v34
; %bb.38:                               ;   in Loop: Header=BB331_13 Depth=1
	v_ffbh_u32_e32 v31, v5
	v_min_u32_e32 v31, 32, v31
	v_subrev_nc_u32_e32 v34, 28, v31
	v_sub_nc_u32_e32 v31, 29, v31
	v_lshlrev_b64 v[34:35], v34, v[5:6]
	v_and_b32_e32 v5, 7, v34
; %bb.39:                               ;   in Loop: Header=BB331_13 Depth=1
	s_or_b32 exec_lo, exec_lo, s52
	v_lshlrev_b32_e32 v34, 24, v33
	v_lshlrev_b32_e32 v5, 20, v5
	v_lshl_add_u32 v31, v31, 23, 0x3c000000
	v_and_b32_e32 v34, 0x80000000, v34
	v_or3_b32 v31, v5, v34, v31
.LBB331_40:                             ;   in Loop: Header=BB331_13 Depth=1
	s_or_b32 exec_lo, exec_lo, s51
.LBB331_41:                             ;   in Loop: Header=BB331_13 Depth=1
	s_or_b32 exec_lo, exec_lo, s50
.LBB331_42:                             ;   in Loop: Header=BB331_13 Depth=1
	s_or_b32 exec_lo, exec_lo, s49
	v_cmp_ne_u16_sdwa s2, v33, v6 src0_sel:BYTE_1 src1_sel:DWORD
	s_and_saveexec_b32 s49, s2
	s_cbranch_execz .LBB331_50
; %bb.43:                               ;   in Loop: Header=BB331_13 Depth=1
	v_cmp_ne_u16_sdwa s2, v33, v23 src0_sel:BYTE_1 src1_sel:DWORD
	v_bfrev_b32_e32 v32, 1
	s_and_saveexec_b32 s50, s2
	s_cbranch_execz .LBB331_49
; %bb.44:                               ;   in Loop: Header=BB331_13 Depth=1
	v_and_b32_sdwa v5, v24, v33 dst_sel:DWORD dst_unused:UNUSED_PAD src0_sel:DWORD src1_sel:BYTE_1
	v_mov_b32_e32 v32, 0x7f800001
	s_mov_b32 s51, exec_lo
	v_and_b32_e32 v34, 0x7f, v5
	v_cmpx_ne_u32_e32 0x7f, v34
	s_cbranch_execz .LBB331_48
; %bb.45:                               ;   in Loop: Header=BB331_13 Depth=1
	v_and_b32_e32 v5, 7, v5
	v_lshrrev_b32_e32 v32, 3, v34
	s_mov_b32 s52, exec_lo
	v_cmpx_gt_u32_e32 8, v34
; %bb.46:                               ;   in Loop: Header=BB331_13 Depth=1
	v_ffbh_u32_e32 v32, v5
	v_min_u32_e32 v32, 32, v32
	v_subrev_nc_u32_e32 v34, 28, v32
	v_sub_nc_u32_e32 v32, 29, v32
	v_lshlrev_b64 v[34:35], v34, v[5:6]
	v_and_b32_e32 v5, 7, v34
; %bb.47:                               ;   in Loop: Header=BB331_13 Depth=1
	s_or_b32 exec_lo, exec_lo, s52
	v_lshlrev_b32_e32 v33, 16, v33
	v_lshlrev_b32_e32 v5, 20, v5
	v_lshl_add_u32 v32, v32, 23, 0x3c000000
	v_and_b32_e32 v33, 0x80000000, v33
	v_or3_b32 v32, v5, v33, v32
.LBB331_48:                             ;   in Loop: Header=BB331_13 Depth=1
	s_or_b32 exec_lo, exec_lo, s51
.LBB331_49:                             ;   in Loop: Header=BB331_13 Depth=1
	s_or_b32 exec_lo, exec_lo, s50
.LBB331_50:                             ;   in Loop: Header=BB331_13 Depth=1
	s_or_b32 exec_lo, exec_lo, s49
	global_load_ushort v5, v[13:14], off offset:128
	v_mov_b32_e32 v34, 0
	v_mov_b32_e32 v33, 0
	s_waitcnt vmcnt(0)
	v_and_b32_e32 v35, 0xffff, v5
	v_cmp_ne_u16_sdwa s2, v5, v6 src0_sel:BYTE_0 src1_sel:DWORD
	s_and_saveexec_b32 s49, s2
	s_cbranch_execz .LBB331_58
; %bb.51:                               ;   in Loop: Header=BB331_13 Depth=1
	v_cmp_ne_u16_sdwa s2, v35, v23 src0_sel:BYTE_0 src1_sel:DWORD
	v_bfrev_b32_e32 v33, 1
	s_and_saveexec_b32 s50, s2
	s_cbranch_execz .LBB331_57
; %bb.52:                               ;   in Loop: Header=BB331_13 Depth=1
	v_and_b32_e32 v36, 0x7f, v35
	v_mov_b32_e32 v33, 0x7f800001
	s_mov_b32 s51, exec_lo
	v_cmpx_ne_u32_e32 0x7f, v36
	s_cbranch_execz .LBB331_56
; %bb.53:                               ;   in Loop: Header=BB331_13 Depth=1
	v_and_b32_e32 v5, 7, v35
	v_lshrrev_b32_e32 v33, 3, v36
	s_mov_b32 s52, exec_lo
	v_cmpx_gt_u32_e32 8, v36
; %bb.54:                               ;   in Loop: Header=BB331_13 Depth=1
	v_ffbh_u32_e32 v33, v5
	v_min_u32_e32 v33, 32, v33
	v_subrev_nc_u32_e32 v36, 28, v33
	v_sub_nc_u32_e32 v33, 29, v33
	v_lshlrev_b64 v[36:37], v36, v[5:6]
	v_and_b32_e32 v5, 7, v36
; %bb.55:                               ;   in Loop: Header=BB331_13 Depth=1
	s_or_b32 exec_lo, exec_lo, s52
	v_lshlrev_b32_e32 v36, 24, v35
	v_lshlrev_b32_e32 v5, 20, v5
	v_lshl_add_u32 v33, v33, 23, 0x3c000000
	v_and_b32_e32 v36, 0x80000000, v36
	v_or3_b32 v33, v5, v36, v33
.LBB331_56:                             ;   in Loop: Header=BB331_13 Depth=1
	s_or_b32 exec_lo, exec_lo, s51
.LBB331_57:                             ;   in Loop: Header=BB331_13 Depth=1
	s_or_b32 exec_lo, exec_lo, s50
.LBB331_58:                             ;   in Loop: Header=BB331_13 Depth=1
	s_or_b32 exec_lo, exec_lo, s49
	v_cmp_ne_u16_sdwa s2, v35, v6 src0_sel:BYTE_1 src1_sel:DWORD
	s_and_saveexec_b32 s49, s2
	s_cbranch_execz .LBB331_66
; %bb.59:                               ;   in Loop: Header=BB331_13 Depth=1
	v_cmp_ne_u16_sdwa s2, v35, v23 src0_sel:BYTE_1 src1_sel:DWORD
	v_bfrev_b32_e32 v34, 1
	s_and_saveexec_b32 s50, s2
	s_cbranch_execz .LBB331_65
; %bb.60:                               ;   in Loop: Header=BB331_13 Depth=1
	v_and_b32_sdwa v5, v24, v35 dst_sel:DWORD dst_unused:UNUSED_PAD src0_sel:DWORD src1_sel:BYTE_1
	v_mov_b32_e32 v34, 0x7f800001
	s_mov_b32 s51, exec_lo
	v_and_b32_e32 v36, 0x7f, v5
	v_cmpx_ne_u32_e32 0x7f, v36
	s_cbranch_execz .LBB331_64
; %bb.61:                               ;   in Loop: Header=BB331_13 Depth=1
	v_and_b32_e32 v5, 7, v5
	v_lshrrev_b32_e32 v34, 3, v36
	s_mov_b32 s52, exec_lo
	v_cmpx_gt_u32_e32 8, v36
; %bb.62:                               ;   in Loop: Header=BB331_13 Depth=1
	v_ffbh_u32_e32 v34, v5
	v_min_u32_e32 v34, 32, v34
	v_subrev_nc_u32_e32 v36, 28, v34
	v_sub_nc_u32_e32 v34, 29, v34
	v_lshlrev_b64 v[36:37], v36, v[5:6]
	v_and_b32_e32 v5, 7, v36
; %bb.63:                               ;   in Loop: Header=BB331_13 Depth=1
	s_or_b32 exec_lo, exec_lo, s52
	v_lshlrev_b32_e32 v35, 16, v35
	v_lshlrev_b32_e32 v5, 20, v5
	v_lshl_add_u32 v34, v34, 23, 0x3c000000
	v_and_b32_e32 v35, 0x80000000, v35
	v_or3_b32 v34, v5, v35, v34
.LBB331_64:                             ;   in Loop: Header=BB331_13 Depth=1
	s_or_b32 exec_lo, exec_lo, s51
.LBB331_65:                             ;   in Loop: Header=BB331_13 Depth=1
	s_or_b32 exec_lo, exec_lo, s50
.LBB331_66:                             ;   in Loop: Header=BB331_13 Depth=1
	s_or_b32 exec_lo, exec_lo, s49
	global_load_ushort v5, v[13:14], off offset:136
	v_mov_b32_e32 v13, 0
	v_mov_b32_e32 v35, 0
	s_waitcnt vmcnt(0)
	v_and_b32_e32 v14, 0xffff, v5
	v_cmp_ne_u16_sdwa s2, v5, v6 src0_sel:BYTE_0 src1_sel:DWORD
	s_and_saveexec_b32 s49, s2
	s_cbranch_execz .LBB331_74
; %bb.67:                               ;   in Loop: Header=BB331_13 Depth=1
	v_cmp_ne_u16_sdwa s2, v14, v23 src0_sel:BYTE_0 src1_sel:DWORD
	v_bfrev_b32_e32 v35, 1
	s_and_saveexec_b32 s50, s2
	s_cbranch_execz .LBB331_73
; %bb.68:                               ;   in Loop: Header=BB331_13 Depth=1
	v_and_b32_e32 v36, 0x7f, v14
	v_mov_b32_e32 v35, 0x7f800001
	s_mov_b32 s51, exec_lo
	v_cmpx_ne_u32_e32 0x7f, v36
	s_cbranch_execz .LBB331_72
; %bb.69:                               ;   in Loop: Header=BB331_13 Depth=1
	v_and_b32_e32 v5, 7, v14
	v_lshrrev_b32_e32 v35, 3, v36
	s_mov_b32 s52, exec_lo
	v_cmpx_gt_u32_e32 8, v36
; %bb.70:                               ;   in Loop: Header=BB331_13 Depth=1
	v_ffbh_u32_e32 v35, v5
	v_min_u32_e32 v35, 32, v35
	v_subrev_nc_u32_e32 v36, 28, v35
	v_sub_nc_u32_e32 v35, 29, v35
	v_lshlrev_b64 v[36:37], v36, v[5:6]
	v_and_b32_e32 v5, 7, v36
; %bb.71:                               ;   in Loop: Header=BB331_13 Depth=1
	s_or_b32 exec_lo, exec_lo, s52
	v_lshlrev_b32_e32 v36, 24, v14
	v_lshlrev_b32_e32 v5, 20, v5
	v_lshl_add_u32 v35, v35, 23, 0x3c000000
	v_and_b32_e32 v36, 0x80000000, v36
	v_or3_b32 v35, v5, v36, v35
.LBB331_72:                             ;   in Loop: Header=BB331_13 Depth=1
	s_or_b32 exec_lo, exec_lo, s51
.LBB331_73:                             ;   in Loop: Header=BB331_13 Depth=1
	s_or_b32 exec_lo, exec_lo, s50
.LBB331_74:                             ;   in Loop: Header=BB331_13 Depth=1
	s_or_b32 exec_lo, exec_lo, s49
	v_cmp_ne_u16_sdwa s2, v14, v6 src0_sel:BYTE_1 src1_sel:DWORD
	s_and_saveexec_b32 s49, s2
	s_cbranch_execz .LBB331_82
; %bb.75:                               ;   in Loop: Header=BB331_13 Depth=1
	v_cmp_ne_u16_sdwa s2, v14, v23 src0_sel:BYTE_1 src1_sel:DWORD
	v_bfrev_b32_e32 v13, 1
	s_and_saveexec_b32 s50, s2
	s_cbranch_execz .LBB331_81
; %bb.76:                               ;   in Loop: Header=BB331_13 Depth=1
	v_and_b32_sdwa v5, v24, v14 dst_sel:DWORD dst_unused:UNUSED_PAD src0_sel:DWORD src1_sel:BYTE_1
	v_mov_b32_e32 v13, 0x7f800001
	s_mov_b32 s51, exec_lo
	v_and_b32_e32 v36, 0x7f, v5
	v_cmpx_ne_u32_e32 0x7f, v36
	s_cbranch_execz .LBB331_80
; %bb.77:                               ;   in Loop: Header=BB331_13 Depth=1
	v_and_b32_e32 v5, 7, v5
	v_lshrrev_b32_e32 v13, 3, v36
	s_mov_b32 s52, exec_lo
	v_cmpx_gt_u32_e32 8, v36
; %bb.78:                               ;   in Loop: Header=BB331_13 Depth=1
	v_ffbh_u32_e32 v13, v5
	v_min_u32_e32 v13, 32, v13
	v_subrev_nc_u32_e32 v36, 28, v13
	v_sub_nc_u32_e32 v13, 29, v13
	v_lshlrev_b64 v[36:37], v36, v[5:6]
	v_and_b32_e32 v5, 7, v36
; %bb.79:                               ;   in Loop: Header=BB331_13 Depth=1
	s_or_b32 exec_lo, exec_lo, s52
	v_lshlrev_b32_e32 v14, 16, v14
	v_lshlrev_b32_e32 v5, 20, v5
	v_lshl_add_u32 v13, v13, 23, 0x3c000000
	v_and_b32_e32 v14, 0x80000000, v14
	v_or3_b32 v13, v5, v14, v13
.LBB331_80:                             ;   in Loop: Header=BB331_13 Depth=1
	s_or_b32 exec_lo, exec_lo, s51
.LBB331_81:                             ;   in Loop: Header=BB331_13 Depth=1
	s_or_b32 exec_lo, exec_lo, s50
.LBB331_82:                             ;   in Loop: Header=BB331_13 Depth=1
	s_or_b32 exec_lo, exec_lo, s49
	s_waitcnt lgkmcnt(0)
	v_mul_f32_e32 v5, s48, v35
	v_mul_f32_e32 v14, s48, v34
	;; [unrolled: 1-line block ×5, first 2 shown]
	v_bfe_u32 v34, v5, 16, 1
	v_or_b32_e32 v35, 0x400000, v5
	v_bfe_u32 v36, v14, 16, 1
	v_cmp_u_f32_e64 s2, v5, v5
	v_bfe_u32 v37, v33, 16, 1
	v_add3_u32 v34, v34, v5, 0x7fff
	v_or_b32_e32 v38, 0x400000, v14
	v_add3_u32 v36, v36, v14, 0x7fff
	v_or_b32_e32 v39, 0x400000, v33
	v_add3_u32 v37, v37, v33, 0x7fff
	v_cndmask_b32_e64 v5, v34, v35, s2
	v_cmp_u_f32_e64 s2, v14, v14
	v_bfe_u32 v34, v32, 16, 1
	v_mul_f32_e32 v30, s48, v30
	v_or_b32_e32 v35, 0x400000, v32
	v_mul_f32_e32 v29, s48, v29
	v_cndmask_b32_e64 v14, v36, v38, s2
	v_cmp_u_f32_e64 s2, v33, v33
	v_add3_u32 v34, v34, v32, 0x7fff
	v_bfe_u32 v36, v31, 16, 1
	v_or_b32_e32 v38, 0x400000, v30
	v_mul_f32_e32 v13, s48, v13
	v_cndmask_b32_e64 v33, v37, v39, s2
	v_cmp_u_f32_e64 s2, v32, v32
	v_bfe_u32 v37, v30, 16, 1
	v_or_b32_e32 v39, 0x400000, v29
	v_and_b32_e32 v14, 0xffff0000, v14
	v_cndmask_b32_e64 v32, v34, v35, s2
	v_add3_u32 v35, v36, v31, 0x7fff
	v_or_b32_e32 v36, 0x400000, v31
	v_cmp_u_f32_e64 s2, v31, v31
	v_bfe_u32 v34, v29, 16, 1
	v_add3_u32 v37, v37, v30, 0x7fff
	v_and_b32_e32 v32, 0xffff0000, v32
	v_cndmask_b32_e64 v31, v35, v36, s2
	v_cmp_u_f32_e64 s2, v30, v30
	v_add3_u32 v34, v34, v29, 0x7fff
	v_lshlrev_b32_e32 v35, 16, v2
	v_and_b32_e32 v2, 0xffff0000, v2
	v_and_b32_e32 v31, 0xffff0000, v31
	v_cndmask_b32_e64 v30, v37, v38, s2
	v_cmp_u_f32_e64 s2, v29, v29
	v_lshlrev_b32_e32 v36, 16, v3
	v_mul_f32_e32 v2, v2, v32
	v_mul_f32_e32 v31, v35, v31
	v_and_b32_e32 v30, 0xffff0000, v30
	v_cndmask_b32_e64 v29, v34, v39, s2
	v_bfe_u32 v39, v13, 16, 1
	v_lshlrev_b32_e32 v34, 16, v1
	v_and_b32_e32 v1, 0xffff0000, v1
	v_or_b32_e32 v35, 0x400000, v13
	v_and_b32_e32 v29, 0xffff0000, v29
	v_add3_u32 v32, v39, v13, 0x7fff
	v_cmp_u_f32_e64 s2, v13, v13
	v_xor_b32_e32 v38, 2, v15
	v_and_b32_e32 v3, 0xffff0000, v3
	v_fmac_f32_e32 v31, v34, v29
	v_fmac_f32_e32 v2, v1, v30
	v_and_b32_e32 v1, 0xffff0000, v33
	v_cndmask_b32_e64 v13, v32, v35, s2
	v_lshlrev_b32_e32 v37, 16, v4
	v_and_b32_e32 v4, 0xffff0000, v4
	v_fmac_f32_e32 v2, v3, v14
	v_fmac_f32_e32 v31, v36, v1
	v_and_b32_e32 v1, 0xffff0000, v5
	v_and_b32_e32 v3, 0xffff0000, v13
	v_cmp_gt_i32_e64 s2, 32, v38
	v_fmac_f32_e32 v31, v37, v1
	v_fmac_f32_e32 v2, v4, v3
	v_cndmask_b32_e64 v5, v15, v38, s2
	v_xor_b32_e32 v3, 1, v15
	v_add_f32_e32 v2, v31, v2
	v_lshlrev_b32_e32 v1, 2, v5
	v_cmp_gt_i32_e64 s2, 32, v3
	ds_bpermute_b32 v1, v1, v2
	v_cndmask_b32_e64 v3, v15, v3, s2
	v_lshlrev_b32_e32 v3, 2, v3
	s_waitcnt lgkmcnt(0)
	v_add_f32_e32 v1, v2, v1
	ds_bpermute_b32 v2, v3, v1
	s_and_saveexec_b32 s48, vcc_lo
	s_cbranch_execz .LBB331_11
; %bb.83:                               ;   in Loop: Header=BB331_13 Depth=1
	v_add_nc_u32_e32 v3, v25, v21
	s_waitcnt lgkmcnt(0)
	v_add_f32_e32 v1, v1, v2
	v_cvt_f32_i32_e32 v3, v3
	v_mul_f32_e32 v3, s43, v3
	v_cndmask_b32_e64 v2, 0, v3, s1
	v_max_f32_e32 v3, v16, v16
	v_fmac_f32_e32 v2, s41, v1
	v_add_nc_u32_e32 v1, v17, v21
	v_max_f32_e32 v3, v3, v2
	v_cmp_gt_i32_e64 s2, s31, v1
	v_cndmask_b32_e64 v1, 0, v2, s2
	v_cndmask_b32_e64 v16, v16, v3, s2
	ds_write_b32 v26, v1
	s_branch .LBB331_11
.LBB331_84:
	s_or_b32 exec_lo, exec_lo, s46
.LBB331_85:
	s_or_b32 exec_lo, exec_lo, s45
	v_xor_b32_e32 v1, 16, v15
	v_xor_b32_e32 v3, 8, v15
	v_max_f32_e32 v5, v16, v16
	v_and_b32_e32 v21, 31, v0
	v_cmp_gt_i32_e32 vcc_lo, 32, v1
	v_cndmask_b32_e32 v1, v15, v1, vcc_lo
	v_cmp_gt_i32_e32 vcc_lo, 32, v3
	s_waitcnt lgkmcnt(0)
	v_lshlrev_b32_e32 v2, 2, v1
	v_cndmask_b32_e32 v3, v15, v3, vcc_lo
	ds_bpermute_b32 v1, v2, v16
	v_lshlrev_b32_e32 v4, 2, v3
	s_waitcnt lgkmcnt(0)
	v_max_f32_e32 v1, v1, v1
	v_max_f32_e32 v1, v5, v1
	v_xor_b32_e32 v5, 4, v15
	ds_bpermute_b32 v3, v4, v1
	v_cmp_gt_i32_e32 vcc_lo, 32, v5
	v_cndmask_b32_e32 v5, v15, v5, vcc_lo
	v_cmp_eq_u32_e32 vcc_lo, 0, v21
	v_lshlrev_b32_e32 v7, 2, v5
	v_lshlrev_b32_e32 v5, 2, v19
	s_waitcnt lgkmcnt(0)
	v_max_f32_e32 v3, v3, v3
	v_max_f32_e32 v1, v1, v3
	ds_bpermute_b32 v3, v7, v1
	s_and_saveexec_b32 s1, vcc_lo
	s_cbranch_execz .LBB331_87
; %bb.86:
	s_waitcnt lgkmcnt(0)
	v_max_f32_e32 v3, v3, v3
	v_max_f32_e32 v1, v1, v1
	;; [unrolled: 1-line block ×3, first 2 shown]
	ds_write_b32 v5, v1 offset:64
.LBB331_87:
	s_or_b32 exec_lo, exec_lo, s1
	v_cmp_gt_u32_e64 s1, 4, v21
	v_mov_b32_e32 v1, 0xff7fffff
	v_lshlrev_b32_e32 v6, 2, v21
	s_waitcnt lgkmcnt(0)
	s_barrier
	buffer_gl0_inv
	s_and_saveexec_b32 s2, s1
; %bb.88:
	ds_read_b32 v1, v6 offset:64
; %bb.89:
	s_or_b32 exec_lo, exec_lo, s2
	v_xor_b32_e32 v3, 2, v15
	v_xor_b32_e32 v11, 1, v15
	v_mov_b32_e32 v12, 0
	v_cmp_gt_i32_e64 s2, 32, v3
	v_cndmask_b32_e64 v3, v15, v3, s2
	v_cmp_gt_i32_e64 s2, 32, v11
	v_lshlrev_b32_e32 v8, 2, v3
	v_cndmask_b32_e64 v11, v15, v11, s2
	s_sub_i32 s2, s20, s44
	s_lshl_b32 s2, s2, 3
	s_waitcnt lgkmcnt(0)
	ds_bpermute_b32 v3, v8, v1
	v_max_f32_e32 v1, v1, v1
	v_lshlrev_b32_e32 v11, 2, v11
	s_add_i32 s2, s2, s33
	s_min_i32 s2, s2, s31
	s_sub_i32 s4, s2, s33
	v_cmp_gt_i32_e64 s2, s4, v0
	s_waitcnt lgkmcnt(0)
	v_max_f32_e32 v3, v3, v3
	v_max_f32_e32 v1, v1, v3
	ds_bpermute_b32 v3, v11, v1
	s_waitcnt lgkmcnt(0)
	v_max_f32_e32 v3, v3, v3
	v_max_f32_e32 v1, v1, v3
	v_lshl_add_u32 v3, v0, 2, 0x60
	ds_bpermute_b32 v1, v12, v1
	s_and_saveexec_b32 s5, s2
	s_cbranch_execz .LBB331_93
; %bb.90:
	v_lshl_add_u32 v13, v0, 2, 0x60
	v_mov_b32_e32 v12, 0
	v_mov_b32_e32 v14, v0
	s_mov_b32 s12, 0
	.p2align	6
.LBB331_91:                             ; =>This Inner Loop Header: Depth=1
	ds_read_b32 v15, v13
	v_add_nc_u32_e32 v14, 0x80, v14
	v_cmp_le_i32_e64 s3, s4, v14
	s_or_b32 s12, s3, s12
	s_waitcnt lgkmcnt(0)
	v_sub_f32_e32 v15, v15, v1
	v_mul_f32_e32 v15, 0x3fb8aa3b, v15
	v_exp_f32_e32 v15, v15
	ds_write_b32 v13, v15
	v_add_f32_e32 v12, v12, v15
	v_add_nc_u32_e32 v13, 0x200, v13
	s_andn2_b32 exec_lo, exec_lo, s12
	s_cbranch_execnz .LBB331_91
; %bb.92:
	s_or_b32 exec_lo, exec_lo, s12
.LBB331_93:
	s_or_b32 exec_lo, exec_lo, s5
	ds_bpermute_b32 v2, v2, v12
	s_waitcnt lgkmcnt(0)
	v_add_f32_e32 v2, v12, v2
	ds_bpermute_b32 v4, v4, v2
	s_waitcnt lgkmcnt(0)
	v_add_f32_e32 v2, v2, v4
	;; [unrolled: 3-line block ×5, first 2 shown]
	s_and_saveexec_b32 s3, vcc_lo
; %bb.94:
	ds_write_b32 v5, v2 offset:80
; %bb.95:
	s_or_b32 exec_lo, exec_lo, s3
	s_waitcnt lgkmcnt(0)
	s_barrier
	buffer_gl0_inv
	s_and_saveexec_b32 s3, s1
; %bb.96:
	ds_read_b32 v2, v6 offset:80
; %bb.97:
	s_or_b32 exec_lo, exec_lo, s3
	s_waitcnt lgkmcnt(0)
	ds_bpermute_b32 v4, v8, v2
	s_waitcnt lgkmcnt(0)
	v_add_f32_e32 v2, v2, v4
	ds_bpermute_b32 v4, v11, v2
	s_waitcnt lgkmcnt(0)
	v_add_f32_e32 v2, v2, v4
	v_mov_b32_e32 v4, 0
	ds_bpermute_b32 v2, v4, v2
	s_and_saveexec_b32 s1, s2
	s_cbranch_execz .LBB331_100
; %bb.98:
	s_waitcnt lgkmcnt(0)
	v_add_f32_e32 v4, 0x358637bd, v2
	s_mov_b32 s2, 0
	v_div_scale_f32 v5, null, v4, v4, 1.0
	v_div_scale_f32 v8, vcc_lo, 1.0, v4, 1.0
	v_rcp_f32_e32 v6, v5
	v_fma_f32 v7, -v5, v6, 1.0
	v_fmac_f32_e32 v6, v7, v6
	v_mul_f32_e32 v7, v8, v6
	v_fma_f32 v11, -v5, v7, v8
	v_fmac_f32_e32 v7, v11, v6
	v_fma_f32 v5, -v5, v7, v8
	v_div_fmas_f32 v5, v5, v6, v7
	v_div_fixup_f32 v4, v5, v4, 1.0
	v_mov_b32_e32 v5, v0
.LBB331_99:                             ; =>This Inner Loop Header: Depth=1
	ds_read_b32 v6, v3
	v_add_nc_u32_e32 v5, 0x80, v5
	v_cmp_le_i32_e32 vcc_lo, s4, v5
	s_or_b32 s2, vcc_lo, s2
	s_waitcnt lgkmcnt(0)
	v_mul_f32_e32 v6, v4, v6
	ds_write_b32 v3, v6
	v_add_nc_u32_e32 v3, 0x200, v3
	s_andn2_b32 exec_lo, exec_lo, s2
	s_cbranch_execnz .LBB331_99
.LBB331_100:
	s_or_b32 exec_lo, exec_lo, s1
	s_mul_i32 s1, s7, s30
	s_waitcnt lgkmcnt(0)
	s_mul_i32 s2, s1, s9
	s_mov_b32 s1, exec_lo
	s_barrier
	buffer_gl0_inv
	v_cmpx_eq_u32_e32 0, v0
	s_cbranch_execz .LBB331_102
; %bb.101:
	s_ashr_i32 s3, s2, 31
	s_mul_i32 s12, s7, s6
	s_lshl_b64 s[4:5], s[2:3], 2
	v_mov_b32_e32 v3, 0
	s_add_u32 s3, s26, s4
	s_addc_u32 s6, s27, s5
	s_ashr_i32 s13, s12, 31
	s_lshl_b64 s[12:13], s[12:13], 2
	s_add_u32 s3, s3, s12
	s_addc_u32 s6, s6, s13
	s_ashr_i32 s9, s8, 31
	s_lshl_b64 s[26:27], s[8:9], 2
	s_add_u32 s44, s3, s26
	s_addc_u32 s45, s6, s27
	s_add_u32 s3, s24, s4
	s_addc_u32 s4, s25, s5
	;; [unrolled: 2-line block ×4, first 2 shown]
	global_store_dword v3, v1, s[44:45]
	global_store_dword v3, v2, s[4:5]
.LBB331_102:
	s_or_b32 exec_lo, exec_lo, s1
	v_mov_b32_e32 v22, 0
	s_and_saveexec_b32 s3, s0
	s_cbranch_execz .LBB331_174
; %bb.103:
	s_sub_i32 s6, s42, s21
	s_ashr_i32 s0, s18, 31
	s_add_u32 s4, s38, s18
	s_addc_u32 s5, s39, s0
	s_abs_i32 s9, s22
	v_lshlrev_b32_e32 v3, 3, v21
	v_cvt_f32_u32_e32 v1, s9
	s_sub_i32 s0, 0, s9
	s_add_i32 s40, s40, -1
	v_mov_b32_e32 v11, 0
	v_add_co_u32 v12, s4, s4, v3
	v_rcp_iflag_f32_e32 v1, v1
	v_lshl_add_u32 v23, v19, 5, 0x60
	v_mov_b32_e32 v24, 0x7f
	v_mov_b32_e32 v25, 0x80
	;; [unrolled: 1-line block ×4, first 2 shown]
	v_bfrev_b32_e32 v28, 1
	v_add_co_ci_u32_e64 v13, null, s5, 0, s4
	v_mov_b32_e32 v22, 0
	v_mul_f32_e32 v1, 0x4f7ffffe, v1
	s_mov_b32 s4, 0
	s_mov_b32 s12, s17
	;; [unrolled: 1-line block ×4, first 2 shown]
	v_cvt_u32_f32_e32 v4, v1
	v_lshlrev_b64 v[1:2], 2, v[9:10]
	v_mul_lo_u32 v5, s0, v4
	s_lshl_b64 s[0:1], s[36:37], 2
	s_add_u32 s0, s34, s0
	s_addc_u32 s1, s35, s1
	v_add_co_u32 v14, vcc_lo, s0, v1
	v_add_co_ci_u32_e64 v15, null, s1, v2, vcc_lo
	v_mul_hi_u32 v5, v4, v5
	v_add_nc_u32_e32 v29, v4, v5
	s_branch .LBB331_106
.LBB331_104:                            ;   in Loop: Header=BB331_106 Depth=1
	s_or_b32 exec_lo, exec_lo, s0
	v_bfe_u32 v34, v5, 16, 1
	v_or_b32_e32 v35, 0x400000, v5
	v_bfe_u32 v36, v6, 16, 1
	v_cmp_u_f32_e32 vcc_lo, v5, v5
	v_bfe_u32 v37, v7, 16, 1
	v_add3_u32 v34, v34, v5, 0x7fff
	v_or_b32_e32 v38, 0x400000, v6
	v_add3_u32 v36, v36, v6, 0x7fff
	v_or_b32_e32 v39, 0x400000, v7
	v_add3_u32 v37, v37, v7, 0x7fff
	v_cndmask_b32_e32 v5, v34, v35, vcc_lo
	v_cmp_u_f32_e32 vcc_lo, v6, v6
	v_bfe_u32 v34, v8, 16, 1
	v_bfe_u32 v35, v1, 16, 1
	v_lshlrev_b32_e32 v33, 16, v33
	v_and_b32_e32 v5, 0xffff0000, v5
	v_cndmask_b32_e32 v6, v36, v38, vcc_lo
	v_cmp_u_f32_e32 vcc_lo, v7, v7
	v_add3_u32 v34, v34, v8, 0x7fff
	v_or_b32_e32 v36, 0x400000, v8
	v_add3_u32 v35, v35, v1, 0x7fff
	v_bfe_u32 v38, v2, 16, 1
	v_cndmask_b32_e32 v7, v37, v39, vcc_lo
	v_cmp_u_f32_e32 vcc_lo, v8, v8
	v_or_b32_e32 v37, 0x400000, v1
	v_mul_f32_e32 v5, v5, v33
	v_and_b32_e32 v6, 0xffff0000, v6
	v_lshlrev_b32_e32 v32, 16, v32
	v_cndmask_b32_e32 v8, v34, v36, vcc_lo
	v_cmp_u_f32_e32 vcc_lo, v1, v1
	v_add3_u32 v34, v38, v2, 0x7fff
	v_bfe_u32 v36, v3, 16, 1
	v_mul_f32_e32 v6, v6, v32
	v_and_b32_e32 v7, 0xffff0000, v7
	v_cndmask_b32_e32 v1, v35, v37, vcc_lo
	v_or_b32_e32 v35, 0x400000, v2
	v_cmp_u_f32_e32 vcc_lo, v2, v2
	v_lshlrev_b32_e32 v31, 16, v31
	v_and_b32_e32 v8, 0xffff0000, v8
	v_lshlrev_b32_e32 v17, 16, v17
	v_and_b32_e32 v1, 0xffff0000, v1
	v_cndmask_b32_e32 v2, v34, v35, vcc_lo
	v_add3_u32 v34, v36, v3, 0x7fff
	v_or_b32_e32 v35, 0x400000, v3
	v_bfe_u32 v36, v4, 16, 1
	v_cmp_u_f32_e32 vcc_lo, v3, v3
	v_mul_f32_e32 v7, v7, v31
	v_mul_f32_e32 v8, v8, v17
	v_lshlrev_b32_e32 v16, 16, v16
	v_add3_u32 v33, v36, v4, 0x7fff
	v_cndmask_b32_e32 v3, v34, v35, vcc_lo
	v_or_b32_e32 v34, 0x400000, v4
	v_bfe_u32 v35, v5, 16, 1
	v_cmp_u_f32_e32 vcc_lo, v4, v4
	v_mul_f32_e32 v1, v1, v16
	v_and_b32_e32 v2, 0xffff0000, v2
	v_lshlrev_b32_e32 v10, 16, v10
	v_add3_u32 v32, v35, v5, 0x7fff
	v_cndmask_b32_e32 v4, v33, v34, vcc_lo
	v_or_b32_e32 v33, 0x400000, v5
	v_bfe_u32 v34, v6, 16, 1
	v_cmp_u_f32_e32 vcc_lo, v5, v5
	v_mul_f32_e32 v2, v2, v10
	v_and_b32_e32 v3, 0xffff0000, v3
	v_lshlrev_b32_e32 v10, 16, v30
	v_add3_u32 v31, v34, v6, 0x7fff
	v_cndmask_b32_e32 v5, v32, v33, vcc_lo
	v_or_b32_e32 v32, 0x400000, v6
	v_bfe_u32 v33, v7, 16, 1
	v_cmp_u_f32_e32 vcc_lo, v6, v6
	v_and_b32_e32 v4, 0xffff0000, v4
	v_lshlrev_b32_e32 v18, 16, v18
	v_mul_f32_e32 v3, v3, v10
	v_add3_u32 v17, v33, v7, 0x7fff
	v_cndmask_b32_e32 v6, v31, v32, vcc_lo
	v_or_b32_e32 v31, 0x400000, v7
	v_bfe_u32 v32, v8, 16, 1
	v_cmp_u_f32_e32 vcc_lo, v7, v7
	v_mul_f32_e32 v4, v4, v18
	v_or_b32_e32 v10, 0x400000, v1
	v_or_b32_e32 v18, 0x400000, v2
	v_add3_u32 v16, v32, v8, 0x7fff
	v_cndmask_b32_e32 v7, v17, v31, vcc_lo
	v_or_b32_e32 v17, 0x400000, v8
	v_bfe_u32 v31, v1, 16, 1
	v_cmp_u_f32_e32 vcc_lo, v8, v8
	v_bfe_u32 v30, v3, 16, 1
	v_and_b32_e32 v6, 0xffff0000, v6
	v_and_b32_e32 v5, 0xffff0000, v5
	;; [unrolled: 1-line block ×3, first 2 shown]
	v_cndmask_b32_e32 v8, v16, v17, vcc_lo
	v_bfe_u32 v16, v2, 16, 1
	v_add3_u32 v17, v31, v1, 0x7fff
	v_cmp_u_f32_e32 vcc_lo, v1, v1
	v_bfe_u32 v31, v4, 16, 1
	v_and_b32_e32 v8, 0xffff0000, v8
	v_add3_u32 v16, v16, v2, 0x7fff
	v_add_f32_e32 v5, v5, v6
	v_cndmask_b32_e32 v1, v17, v10, vcc_lo
	v_cmp_u_f32_e32 vcc_lo, v2, v2
	v_or_b32_e32 v17, 0x400000, v4
	v_add3_u32 v10, v30, v3, 0x7fff
	v_add_f32_e32 v6, v7, v8
	v_and_b32_e32 v1, 0xffff0000, v1
	v_cndmask_b32_e32 v2, v16, v18, vcc_lo
	v_add3_u32 v16, v31, v4, 0x7fff
	v_cmp_u_f32_e32 vcc_lo, v4, v4
	v_or_b32_e32 v18, 0x400000, v3
	v_add_f32_e32 v5, v6, v5
	v_and_b32_e32 v2, 0xffff0000, v2
	v_cndmask_b32_e32 v4, v16, v17, vcc_lo
	v_cmp_u_f32_e32 vcc_lo, v3, v3
	v_add_f32_e32 v1, v1, v2
	v_and_b32_e32 v2, 0xffff0000, v4
	v_cndmask_b32_e32 v3, v10, v18, vcc_lo
	v_add_f32_e32 v1, v1, v5
	v_and_b32_e32 v3, 0xffff0000, v3
	v_add_f32_e32 v2, v3, v2
	v_add_f32_e32 v1, v2, v1
	;; [unrolled: 1-line block ×3, first 2 shown]
.LBB331_105:                            ;   in Loop: Header=BB331_106 Depth=1
	s_or_b32 exec_lo, exec_lo, s17
	v_add_nc_u32_e32 v9, 4, v9
	v_add_co_u32 v14, s0, v14, 16
	v_add_co_ci_u32_e64 v15, null, 0, v15, s0
	v_cmp_le_i32_e32 vcc_lo, s20, v9
	v_add_nc_u32_e32 v20, 32, v20
	v_add_nc_u32_e32 v23, 0x80, v23
	s_or_b32 s13, vcc_lo, s13
	s_andn2_b32 exec_lo, exec_lo, s13
	s_cbranch_execz .LBB331_173
.LBB331_106:                            ; =>This Inner Loop Header: Depth=1
	v_sub_nc_u32_e32 v1, 0, v20
	v_max_i32_e32 v1, v20, v1
	v_mul_hi_u32 v2, v1, s16
	v_mul_lo_u32 v3, v2, s11
	v_sub_nc_u32_e32 v1, v1, v3
	v_add_nc_u32_e32 v3, 1, v2
	v_subrev_nc_u32_e32 v4, s11, v1
	v_cmp_le_u32_e32 vcc_lo, s11, v1
	v_cndmask_b32_e32 v2, v2, v3, vcc_lo
	v_cndmask_b32_e32 v1, v1, v4, vcc_lo
	v_ashrrev_i32_e32 v3, 31, v20
	v_add_nc_u32_e32 v4, 1, v2
	v_cmp_le_u32_e32 vcc_lo, s11, v1
	v_xor_b32_e32 v3, s23, v3
	v_cndmask_b32_e32 v1, v2, v4, vcc_lo
	v_xor_b32_e32 v1, v1, v3
	v_sub_nc_u32_e32 v1, v1, v3
	v_add_nc_u32_e32 v2, s19, v1
	v_cmp_lt_i32_e64 s0, s6, v1
	v_sub_nc_u32_e32 v3, 0, v2
	v_max_i32_e32 v3, v2, v3
	v_ashrrev_i32_e32 v2, 31, v2
	v_mul_hi_u32 v4, v3, v29
	v_mul_lo_u32 v4, v4, s9
	v_sub_nc_u32_e32 v3, v3, v4
	v_subrev_nc_u32_e32 v4, s9, v3
	v_cmp_le_u32_e32 vcc_lo, s9, v3
	v_cndmask_b32_e32 v3, v3, v4, vcc_lo
	v_subrev_nc_u32_e32 v4, s9, v3
	v_cmp_le_u32_e32 vcc_lo, s9, v3
	v_cndmask_b32_e32 v3, v3, v4, vcc_lo
	v_xor_b32_e32 v3, v3, v2
	v_sub_nc_u32_e32 v2, v3, v2
	v_cmp_eq_u32_e32 vcc_lo, 0, v2
	s_or_b32 s0, vcc_lo, s0
	s_and_saveexec_b32 s17, s0
	s_cbranch_execz .LBB331_105
; %bb.107:                              ;   in Loop: Header=BB331_106 Depth=1
	global_load_dword v1, v[14:15], off
	s_mov_b32 s1, 0
	s_waitcnt vmcnt(0)
	v_mad_i64_i32 v[1:2], null, v1, s12, v[12:13]
	global_load_dwordx2 v[16:17], v[1:2], off
	ds_read2_b64 v[5:8], v23 offset1:1
	ds_read2_b64 v[1:4], v23 offset0:2 offset1:3
	s_load_dword s18, s[14:15], 0x0
	s_waitcnt vmcnt(0)
	v_cmp_gt_i16_sdwa s0, v16, v24 src0_sel:BYTE_0 src1_sel:DWORD
	s_and_saveexec_b32 s21, s0
	s_xor_b32 s0, exec_lo, s21
	s_cbranch_execnz .LBB331_110
; %bb.108:                              ;   in Loop: Header=BB331_106 Depth=1
	s_or_saveexec_b32 s0, s0
	v_bfrev_b32_e32 v30, 1
	s_xor_b32 exec_lo, exec_lo, s0
	s_cbranch_execnz .LBB331_113
.LBB331_109:                            ;   in Loop: Header=BB331_106 Depth=1
	s_or_b32 exec_lo, exec_lo, s0
	s_and_saveexec_b32 s0, s1
	s_cbranch_execnz .LBB331_114
	s_branch .LBB331_117
.LBB331_110:                            ;   in Loop: Header=BB331_106 Depth=1
	v_cmp_eq_u16_sdwa s22, v16, v25 src0_sel:BYTE_0 src1_sel:DWORD
	s_mov_b32 s1, -1
	s_and_saveexec_b32 s21, s22
; %bb.111:                              ;   in Loop: Header=BB331_106 Depth=1
	s_xor_b32 s1, exec_lo, -1
; %bb.112:                              ;   in Loop: Header=BB331_106 Depth=1
	s_or_b32 exec_lo, exec_lo, s21
	s_and_b32 s1, s1, exec_lo
	s_or_saveexec_b32 s0, s0
	v_bfrev_b32_e32 v30, 1
	s_xor_b32 exec_lo, exec_lo, s0
	s_cbranch_execz .LBB331_109
.LBB331_113:                            ;   in Loop: Header=BB331_106 Depth=1
	v_cmp_ne_u16_sdwa s21, v16, v11 src0_sel:BYTE_0 src1_sel:DWORD
	v_mov_b32_e32 v30, 0
	s_andn2_b32 s1, s1, exec_lo
	s_and_b32 s21, s21, exec_lo
	s_or_b32 s1, s1, s21
	s_or_b32 exec_lo, exec_lo, s0
	s_and_saveexec_b32 s0, s1
	s_cbranch_execz .LBB331_117
.LBB331_114:                            ;   in Loop: Header=BB331_106 Depth=1
	v_and_b32_e32 v10, 0x7f, v16
	v_mov_b32_e32 v30, 0x7f800001
	s_mov_b32 s1, exec_lo
	v_cmpx_ne_u32_e32 0x7f, v10
	s_cbranch_execz .LBB331_116
; %bb.115:                              ;   in Loop: Header=BB331_106 Depth=1
	v_and_b32_e32 v18, 7, v16
	v_lshrrev_b32_e32 v30, 3, v10
	v_cmp_gt_u32_e32 vcc_lo, 8, v10
	v_ffbh_u32_e32 v18, v18
	v_min_u32_e32 v18, 32, v18
	v_subrev_nc_u32_e32 v31, 28, v18
	v_sub_nc_u32_e32 v18, 29, v18
	v_cndmask_b32_e32 v10, v30, v18, vcc_lo
	v_cndmask_b32_e32 v18, 0, v31, vcc_lo
	v_lshl_add_u32 v10, v10, 23, 0x3c000000
	v_lshlrev_b64 v[30:31], v18, v[16:17]
	v_lshlrev_b32_e32 v18, 24, v16
	v_and_b32_e32 v18, 0x80000000, v18
	v_lshlrev_b32_e32 v30, 20, v30
	v_and_b32_e32 v30, 0x700000, v30
	v_or3_b32 v30, v30, v18, v10
.LBB331_116:                            ;   in Loop: Header=BB331_106 Depth=1
	s_or_b32 exec_lo, exec_lo, s1
.LBB331_117:                            ;   in Loop: Header=BB331_106 Depth=1
	s_or_b32 exec_lo, exec_lo, s0
	v_cmp_gt_i16_sdwa s0, v16, v24 src0_sel:BYTE_1 src1_sel:DWORD
	s_mov_b32 s1, 0
	s_and_saveexec_b32 s21, s0
	s_xor_b32 s0, exec_lo, s21
	s_cbranch_execnz .LBB331_120
; %bb.118:                              ;   in Loop: Header=BB331_106 Depth=1
	s_or_saveexec_b32 s0, s0
	v_bfrev_b32_e32 v31, 1
	s_xor_b32 exec_lo, exec_lo, s0
	s_cbranch_execnz .LBB331_123
.LBB331_119:                            ;   in Loop: Header=BB331_106 Depth=1
	s_or_b32 exec_lo, exec_lo, s0
	s_and_saveexec_b32 s0, s1
	s_cbranch_execnz .LBB331_124
	s_branch .LBB331_127
.LBB331_120:                            ;   in Loop: Header=BB331_106 Depth=1
	v_cmp_eq_u16_sdwa s22, v16, v25 src0_sel:BYTE_1 src1_sel:DWORD
	s_mov_b32 s1, -1
	s_and_saveexec_b32 s21, s22
; %bb.121:                              ;   in Loop: Header=BB331_106 Depth=1
	s_xor_b32 s1, exec_lo, -1
; %bb.122:                              ;   in Loop: Header=BB331_106 Depth=1
	s_or_b32 exec_lo, exec_lo, s21
	s_and_b32 s1, s1, exec_lo
	s_or_saveexec_b32 s0, s0
	v_bfrev_b32_e32 v31, 1
	s_xor_b32 exec_lo, exec_lo, s0
	s_cbranch_execz .LBB331_119
.LBB331_123:                            ;   in Loop: Header=BB331_106 Depth=1
	v_cmp_ne_u16_sdwa s21, v16, v11 src0_sel:BYTE_1 src1_sel:DWORD
	v_mov_b32_e32 v31, 0
	s_andn2_b32 s1, s1, exec_lo
	s_and_b32 s21, s21, exec_lo
	s_or_b32 s1, s1, s21
	s_or_b32 exec_lo, exec_lo, s0
	s_and_saveexec_b32 s0, s1
	s_cbranch_execz .LBB331_127
.LBB331_124:                            ;   in Loop: Header=BB331_106 Depth=1
	v_and_b32_sdwa v10, v26, v16 dst_sel:DWORD dst_unused:UNUSED_PAD src0_sel:DWORD src1_sel:BYTE_1
	v_mov_b32_e32 v31, 0x7f800001
	s_mov_b32 s1, exec_lo
	v_and_b32_e32 v18, 0x7f, v10
	v_cmpx_ne_u32_e32 0x7f, v18
	s_cbranch_execz .LBB331_126
; %bb.125:                              ;   in Loop: Header=BB331_106 Depth=1
	v_and_b32_e32 v33, 7, v10
	v_cmp_gt_u32_e32 vcc_lo, 8, v18
	v_ffbh_u32_e32 v31, v33
	v_min_u32_e32 v34, 32, v31
	v_subrev_nc_u32_e32 v31, 28, v34
	v_lshlrev_b64 v[31:32], v31, v[10:11]
	v_lshrrev_b32_e32 v10, 3, v18
	v_sub_nc_u32_e32 v32, 29, v34
	v_and_b32_e32 v18, 7, v31
	v_lshlrev_b32_sdwa v31, v27, v16 dst_sel:DWORD dst_unused:UNUSED_PAD src0_sel:DWORD src1_sel:BYTE_1
	v_cndmask_b32_e32 v10, v10, v32, vcc_lo
	v_cndmask_b32_e32 v18, v33, v18, vcc_lo
	v_and_b32_e32 v31, 0x80000000, v31
	v_lshl_add_u32 v10, v10, 23, 0x3c000000
	v_lshlrev_b32_e32 v18, 20, v18
	v_or3_b32 v31, v18, v31, v10
.LBB331_126:                            ;   in Loop: Header=BB331_106 Depth=1
	s_or_b32 exec_lo, exec_lo, s1
.LBB331_127:                            ;   in Loop: Header=BB331_106 Depth=1
	s_or_b32 exec_lo, exec_lo, s0
	v_lshrrev_b32_e32 v10, 16, v16
	s_mov_b32 s1, 0
	v_cmp_gt_i16_sdwa s0, v10, v24 src0_sel:BYTE_0 src1_sel:DWORD
	s_and_saveexec_b32 s21, s0
	s_xor_b32 s0, exec_lo, s21
	s_cbranch_execnz .LBB331_130
; %bb.128:                              ;   in Loop: Header=BB331_106 Depth=1
	s_or_saveexec_b32 s0, s0
	v_bfrev_b32_e32 v32, 1
	s_xor_b32 exec_lo, exec_lo, s0
	s_cbranch_execnz .LBB331_133
.LBB331_129:                            ;   in Loop: Header=BB331_106 Depth=1
	s_or_b32 exec_lo, exec_lo, s0
	s_and_saveexec_b32 s0, s1
	s_cbranch_execnz .LBB331_134
	s_branch .LBB331_137
.LBB331_130:                            ;   in Loop: Header=BB331_106 Depth=1
	v_cmp_eq_u16_sdwa s22, v10, v25 src0_sel:BYTE_0 src1_sel:DWORD
	s_mov_b32 s1, -1
	s_and_saveexec_b32 s21, s22
; %bb.131:                              ;   in Loop: Header=BB331_106 Depth=1
	s_xor_b32 s1, exec_lo, -1
; %bb.132:                              ;   in Loop: Header=BB331_106 Depth=1
	s_or_b32 exec_lo, exec_lo, s21
	s_and_b32 s1, s1, exec_lo
	s_or_saveexec_b32 s0, s0
	v_bfrev_b32_e32 v32, 1
	s_xor_b32 exec_lo, exec_lo, s0
	s_cbranch_execz .LBB331_129
.LBB331_133:                            ;   in Loop: Header=BB331_106 Depth=1
	v_cmp_ne_u16_sdwa s21, v10, v11 src0_sel:BYTE_0 src1_sel:DWORD
	v_mov_b32_e32 v32, 0
	s_andn2_b32 s1, s1, exec_lo
	s_and_b32 s21, s21, exec_lo
	s_or_b32 s1, s1, s21
	s_or_b32 exec_lo, exec_lo, s0
	s_and_saveexec_b32 s0, s1
	s_cbranch_execz .LBB331_137
.LBB331_134:                            ;   in Loop: Header=BB331_106 Depth=1
	v_and_b32_e32 v18, 0x7f, v10
	v_mov_b32_e32 v32, 0x7f800001
	s_mov_b32 s1, exec_lo
	v_cmpx_ne_u32_e32 0x7f, v18
	s_cbranch_execz .LBB331_136
; %bb.135:                              ;   in Loop: Header=BB331_106 Depth=1
	v_and_b32_e32 v34, 7, v10
	v_cmp_gt_u32_e32 vcc_lo, 8, v18
	v_ffbh_u32_e32 v32, v34
	v_min_u32_e32 v35, 32, v32
	v_subrev_nc_u32_e32 v32, 28, v35
	v_sub_nc_u32_e32 v35, 29, v35
	v_lshlrev_b64 v[32:33], v32, v[10:11]
	v_lshrrev_b32_e32 v33, 3, v18
	v_lshlrev_b32_e32 v10, 24, v10
	v_and_b32_e32 v18, 7, v32
	v_cndmask_b32_e32 v32, v33, v35, vcc_lo
	v_and_b32_e32 v10, 0x80000000, v10
	v_cndmask_b32_e32 v18, v34, v18, vcc_lo
	v_lshl_add_u32 v32, v32, 23, 0x3c000000
	v_lshlrev_b32_e32 v18, 20, v18
	v_or3_b32 v32, v18, v10, v32
.LBB331_136:                            ;   in Loop: Header=BB331_106 Depth=1
	s_or_b32 exec_lo, exec_lo, s1
.LBB331_137:                            ;   in Loop: Header=BB331_106 Depth=1
	s_or_b32 exec_lo, exec_lo, s0
	v_lshrrev_b32_e32 v10, 24, v16
	v_bfe_u32 v18, v16, 24, 7
	v_cmp_gt_u32_e64 s1, 0x1000000, v16
	v_cmp_eq_u32_e32 vcc_lo, 0x80, v10
	v_cmp_eq_u32_e64 s0, 0x7f, v18
	v_cndmask_b32_e32 v33, 0x7f800001, v28, vcc_lo
	s_or_b32 s0, vcc_lo, s0
	v_cndmask_b32_e64 v33, v33, 0, s1
	s_nor_b32 s1, s1, s0
	s_and_saveexec_b32 s0, s1
	s_cbranch_execz .LBB331_139
; %bb.138:                              ;   in Loop: Header=BB331_106 Depth=1
	v_and_b32_e32 v35, 7, v10
	v_cmp_gt_u32_e32 vcc_lo, 8, v18
	v_ffbh_u32_e32 v33, v35
	v_min_u32_e32 v36, 32, v33
	v_subrev_nc_u32_e32 v33, 28, v36
	v_sub_nc_u32_e32 v36, 29, v36
	v_lshlrev_b64 v[33:34], v33, v[10:11]
	v_lshrrev_b32_e32 v34, 3, v18
	v_lshlrev_b32_e32 v10, 24, v10
	v_and_b32_e32 v18, 7, v33
	v_cndmask_b32_e32 v33, v34, v36, vcc_lo
	v_and_b32_e32 v10, 0x80000000, v10
	v_cndmask_b32_e32 v18, v35, v18, vcc_lo
	v_lshl_add_u32 v33, v33, 23, 0x3c000000
	v_lshlrev_b32_e32 v18, 20, v18
	v_or3_b32 v33, v18, v10, v33
.LBB331_139:                            ;   in Loop: Header=BB331_106 Depth=1
	s_or_b32 exec_lo, exec_lo, s0
	v_cmp_gt_i16_sdwa s0, v17, v24 src0_sel:BYTE_0 src1_sel:DWORD
	s_mov_b32 s1, 0
	s_and_saveexec_b32 s21, s0
	s_xor_b32 s0, exec_lo, s21
	s_cbranch_execnz .LBB331_142
; %bb.140:                              ;   in Loop: Header=BB331_106 Depth=1
	s_or_saveexec_b32 s0, s0
	v_bfrev_b32_e32 v34, 1
	s_xor_b32 exec_lo, exec_lo, s0
	s_cbranch_execnz .LBB331_145
.LBB331_141:                            ;   in Loop: Header=BB331_106 Depth=1
	s_or_b32 exec_lo, exec_lo, s0
	v_mov_b32_e32 v10, v17
	s_and_saveexec_b32 s0, s1
	s_cbranch_execnz .LBB331_146
	s_branch .LBB331_149
.LBB331_142:                            ;   in Loop: Header=BB331_106 Depth=1
	v_cmp_eq_u16_sdwa s22, v17, v25 src0_sel:BYTE_0 src1_sel:DWORD
	s_mov_b32 s1, -1
	s_and_saveexec_b32 s21, s22
; %bb.143:                              ;   in Loop: Header=BB331_106 Depth=1
	s_xor_b32 s1, exec_lo, -1
; %bb.144:                              ;   in Loop: Header=BB331_106 Depth=1
	s_or_b32 exec_lo, exec_lo, s21
	s_and_b32 s1, s1, exec_lo
	s_or_saveexec_b32 s0, s0
	v_bfrev_b32_e32 v34, 1
	s_xor_b32 exec_lo, exec_lo, s0
	s_cbranch_execz .LBB331_141
.LBB331_145:                            ;   in Loop: Header=BB331_106 Depth=1
	v_cmp_ne_u16_sdwa s21, v17, v11 src0_sel:BYTE_0 src1_sel:DWORD
	v_mov_b32_e32 v34, 0
	s_andn2_b32 s1, s1, exec_lo
	s_and_b32 s21, s21, exec_lo
	s_or_b32 s1, s1, s21
	s_or_b32 exec_lo, exec_lo, s0
	v_mov_b32_e32 v10, v17
	s_and_saveexec_b32 s0, s1
	s_cbranch_execz .LBB331_149
.LBB331_146:                            ;   in Loop: Header=BB331_106 Depth=1
	v_and_b32_e32 v18, 0x7f, v17
	v_mov_b32_e32 v34, 0x7f800001
	s_mov_b32 s1, exec_lo
	v_cmpx_ne_u32_e32 0x7f, v18
	s_cbranch_execz .LBB331_148
; %bb.147:                              ;   in Loop: Header=BB331_106 Depth=1
	v_and_b32_e32 v34, 7, v17
	v_lshrrev_b32_e32 v35, 3, v18
	v_cmp_gt_u32_e32 vcc_lo, 8, v18
	v_ffbh_u32_e32 v34, v34
	v_min_u32_e32 v34, 32, v34
	v_subrev_nc_u32_e32 v36, 28, v34
	v_sub_nc_u32_e32 v34, 29, v34
	v_cndmask_b32_e32 v18, v35, v34, vcc_lo
	v_cndmask_b32_e32 v34, 0, v36, vcc_lo
	v_lshl_add_u32 v18, v18, 23, 0x3c000000
	v_lshlrev_b64 v[34:35], v34, v[10:11]
	v_lshlrev_b32_e32 v35, 24, v10
	v_lshlrev_b32_e32 v34, 20, v34
	v_and_b32_e32 v35, 0x80000000, v35
	v_and_b32_e32 v34, 0x700000, v34
	v_or3_b32 v34, v34, v35, v18
.LBB331_148:                            ;   in Loop: Header=BB331_106 Depth=1
	s_or_b32 exec_lo, exec_lo, s1
.LBB331_149:                            ;   in Loop: Header=BB331_106 Depth=1
	s_or_b32 exec_lo, exec_lo, s0
	v_cmp_gt_i16_sdwa s0, v10, v24 src0_sel:BYTE_1 src1_sel:DWORD
	s_mov_b32 s1, 0
	s_and_saveexec_b32 s21, s0
	s_xor_b32 s0, exec_lo, s21
	s_cbranch_execnz .LBB331_152
; %bb.150:                              ;   in Loop: Header=BB331_106 Depth=1
	s_or_saveexec_b32 s0, s0
	v_bfrev_b32_e32 v35, 1
	s_xor_b32 exec_lo, exec_lo, s0
	s_cbranch_execnz .LBB331_155
.LBB331_151:                            ;   in Loop: Header=BB331_106 Depth=1
	s_or_b32 exec_lo, exec_lo, s0
	s_and_saveexec_b32 s0, s1
	s_cbranch_execnz .LBB331_156
	s_branch .LBB331_159
.LBB331_152:                            ;   in Loop: Header=BB331_106 Depth=1
	v_cmp_eq_u16_sdwa s22, v10, v25 src0_sel:BYTE_1 src1_sel:DWORD
	s_mov_b32 s1, -1
	s_and_saveexec_b32 s21, s22
; %bb.153:                              ;   in Loop: Header=BB331_106 Depth=1
	s_xor_b32 s1, exec_lo, -1
; %bb.154:                              ;   in Loop: Header=BB331_106 Depth=1
	s_or_b32 exec_lo, exec_lo, s21
	s_and_b32 s1, s1, exec_lo
	s_or_saveexec_b32 s0, s0
	v_bfrev_b32_e32 v35, 1
	s_xor_b32 exec_lo, exec_lo, s0
	s_cbranch_execz .LBB331_151
.LBB331_155:                            ;   in Loop: Header=BB331_106 Depth=1
	v_cmp_ne_u16_sdwa s21, v10, v11 src0_sel:BYTE_1 src1_sel:DWORD
	v_mov_b32_e32 v35, 0
	s_andn2_b32 s1, s1, exec_lo
	s_and_b32 s21, s21, exec_lo
	s_or_b32 s1, s1, s21
	s_or_b32 exec_lo, exec_lo, s0
	s_and_saveexec_b32 s0, s1
	s_cbranch_execz .LBB331_159
.LBB331_156:                            ;   in Loop: Header=BB331_106 Depth=1
	v_and_b32_sdwa v18, v26, v10 dst_sel:DWORD dst_unused:UNUSED_PAD src0_sel:DWORD src1_sel:BYTE_1
	v_mov_b32_e32 v35, 0x7f800001
	s_mov_b32 s1, exec_lo
	v_and_b32_e32 v36, 0x7f, v18
	v_cmpx_ne_u32_e32 0x7f, v36
	s_cbranch_execz .LBB331_158
; %bb.157:                              ;   in Loop: Header=BB331_106 Depth=1
	v_and_b32_e32 v35, 7, v18
	v_cmp_gt_u32_e32 vcc_lo, 8, v36
	v_lshlrev_b32_sdwa v10, v27, v10 dst_sel:DWORD dst_unused:UNUSED_PAD src0_sel:DWORD src1_sel:BYTE_1
	v_ffbh_u32_e32 v37, v35
	v_and_b32_e32 v10, 0x80000000, v10
	v_min_u32_e32 v39, 32, v37
	v_subrev_nc_u32_e32 v37, 28, v39
	v_lshlrev_b64 v[37:38], v37, v[18:19]
	v_lshrrev_b32_e32 v18, 3, v36
	v_sub_nc_u32_e32 v38, 29, v39
	v_and_b32_e32 v36, 7, v37
	v_cndmask_b32_e32 v18, v18, v38, vcc_lo
	v_cndmask_b32_e32 v35, v35, v36, vcc_lo
	v_lshl_add_u32 v18, v18, 23, 0x3c000000
	v_lshlrev_b32_e32 v35, 20, v35
	v_or3_b32 v35, v35, v10, v18
.LBB331_158:                            ;   in Loop: Header=BB331_106 Depth=1
	s_or_b32 exec_lo, exec_lo, s1
.LBB331_159:                            ;   in Loop: Header=BB331_106 Depth=1
	s_or_b32 exec_lo, exec_lo, s0
	v_lshrrev_b32_e32 v10, 16, v17
	s_mov_b32 s1, 0
	v_cmp_gt_i16_sdwa s0, v10, v24 src0_sel:BYTE_0 src1_sel:DWORD
	s_and_saveexec_b32 s21, s0
	s_xor_b32 s0, exec_lo, s21
	s_cbranch_execnz .LBB331_162
; %bb.160:                              ;   in Loop: Header=BB331_106 Depth=1
	s_or_saveexec_b32 s0, s0
	v_bfrev_b32_e32 v18, 1
	s_xor_b32 exec_lo, exec_lo, s0
	s_cbranch_execnz .LBB331_165
.LBB331_161:                            ;   in Loop: Header=BB331_106 Depth=1
	s_or_b32 exec_lo, exec_lo, s0
	s_and_saveexec_b32 s0, s1
	s_cbranch_execnz .LBB331_166
	s_branch .LBB331_169
.LBB331_162:                            ;   in Loop: Header=BB331_106 Depth=1
	v_cmp_eq_u16_sdwa s22, v10, v25 src0_sel:BYTE_0 src1_sel:DWORD
	s_mov_b32 s1, -1
	s_and_saveexec_b32 s21, s22
; %bb.163:                              ;   in Loop: Header=BB331_106 Depth=1
	s_xor_b32 s1, exec_lo, -1
; %bb.164:                              ;   in Loop: Header=BB331_106 Depth=1
	s_or_b32 exec_lo, exec_lo, s21
	s_and_b32 s1, s1, exec_lo
	s_or_saveexec_b32 s0, s0
	v_bfrev_b32_e32 v18, 1
	s_xor_b32 exec_lo, exec_lo, s0
	s_cbranch_execz .LBB331_161
.LBB331_165:                            ;   in Loop: Header=BB331_106 Depth=1
	v_cmp_ne_u16_sdwa s21, v10, v11 src0_sel:BYTE_0 src1_sel:DWORD
	v_mov_b32_e32 v18, 0
	s_andn2_b32 s1, s1, exec_lo
	s_and_b32 s21, s21, exec_lo
	s_or_b32 s1, s1, s21
	s_or_b32 exec_lo, exec_lo, s0
	s_and_saveexec_b32 s0, s1
	s_cbranch_execz .LBB331_169
.LBB331_166:                            ;   in Loop: Header=BB331_106 Depth=1
	v_and_b32_e32 v36, 0x7f, v10
	v_mov_b32_e32 v18, 0x7f800001
	s_mov_b32 s1, exec_lo
	v_cmpx_ne_u32_e32 0x7f, v36
	s_cbranch_execz .LBB331_168
; %bb.167:                              ;   in Loop: Header=BB331_106 Depth=1
	v_and_b32_e32 v18, 7, v10
	v_cmp_gt_u32_e32 vcc_lo, 8, v36
	v_ffbh_u32_e32 v37, v18
	v_min_u32_e32 v39, 32, v37
	v_subrev_nc_u32_e32 v37, 28, v39
	v_sub_nc_u32_e32 v39, 29, v39
	v_lshlrev_b64 v[37:38], v37, v[10:11]
	v_lshrrev_b32_e32 v38, 3, v36
	v_lshlrev_b32_e32 v10, 24, v10
	v_and_b32_e32 v36, 7, v37
	v_cndmask_b32_e32 v37, v38, v39, vcc_lo
	v_and_b32_e32 v10, 0x80000000, v10
	v_cndmask_b32_e32 v18, v18, v36, vcc_lo
	v_lshl_add_u32 v36, v37, 23, 0x3c000000
	v_lshlrev_b32_e32 v18, 20, v18
	v_or3_b32 v18, v18, v10, v36
.LBB331_168:                            ;   in Loop: Header=BB331_106 Depth=1
	s_or_b32 exec_lo, exec_lo, s1
.LBB331_169:                            ;   in Loop: Header=BB331_106 Depth=1
	s_or_b32 exec_lo, exec_lo, s0
	v_lshrrev_b32_e32 v10, 24, v17
	v_bfe_u32 v37, v17, 24, 7
	v_cmp_gt_u64_e64 s1, s[4:5], v[16:17]
	v_cmp_eq_u32_e32 vcc_lo, 0x80, v10
	v_cmp_eq_u32_e64 s0, 0x7f, v37
	v_cndmask_b32_e32 v36, 0x7f800001, v28, vcc_lo
	s_or_b32 s0, vcc_lo, s0
	v_cndmask_b32_e64 v36, v36, 0, s1
	s_nor_b32 s1, s1, s0
	s_and_saveexec_b32 s0, s1
	s_cbranch_execz .LBB331_171
; %bb.170:                              ;   in Loop: Header=BB331_106 Depth=1
	v_and_b32_e32 v36, 7, v10
	v_cmp_gt_u32_e32 vcc_lo, 8, v37
	v_ffbh_u32_e32 v16, v36
	v_min_u32_e32 v38, 32, v16
	v_subrev_nc_u32_e32 v16, 28, v38
	v_sub_nc_u32_e32 v38, 29, v38
	v_lshlrev_b64 v[16:17], v16, v[10:11]
	v_lshrrev_b32_e32 v17, 3, v37
	v_lshlrev_b32_e32 v10, 24, v10
	v_and_b32_e32 v16, 7, v16
	v_cndmask_b32_e32 v17, v17, v38, vcc_lo
	v_and_b32_e32 v10, 0x80000000, v10
	v_cndmask_b32_e32 v16, v36, v16, vcc_lo
	v_lshl_add_u32 v17, v17, 23, 0x3c000000
	v_lshlrev_b32_e32 v16, 20, v16
	v_or3_b32 v36, v16, v10, v17
.LBB331_171:                            ;   in Loop: Header=BB331_106 Depth=1
	s_or_b32 exec_lo, exec_lo, s0
	s_waitcnt lgkmcnt(0)
	v_mul_f32_e32 v10, s18, v35
	v_mul_f32_e32 v16, s18, v34
	;; [unrolled: 1-line block ×5, first 2 shown]
	v_bfe_u32 v33, v10, 16, 1
	v_or_b32_e32 v34, 0x400000, v10
	v_bfe_u32 v35, v16, 16, 1
	v_cmp_u_f32_e64 s0, v10, v10
	v_or_b32_e32 v37, 0x400000, v16
	v_add3_u32 v33, v33, v10, 0x7fff
	v_bfe_u32 v38, v17, 16, 1
	v_add3_u32 v35, v35, v16, 0x7fff
	v_or_b32_e32 v39, 0x400000, v17
	v_mul_f32_e32 v30, s18, v30
	v_cndmask_b32_e64 v10, v33, v34, s0
	v_cmp_u_f32_e64 s0, v16, v16
	v_bfe_u32 v33, v32, 16, 1
	v_add3_u32 v34, v38, v17, 0x7fff
	v_mul_f32_e32 v18, s18, v18
	v_cmp_eq_u32_e32 vcc_lo, s40, v9
	v_cndmask_b32_e64 v16, v35, v37, s0
	v_cmp_u_f32_e64 s0, v17, v17
	v_add3_u32 v33, v33, v32, 0x7fff
	v_bfe_u32 v35, v31, 16, 1
	v_bfe_u32 v37, v18, 16, 1
	v_or_b32_e32 v38, 0x400000, v18
	v_cndmask_b32_e64 v17, v34, v39, s0
	v_or_b32_e32 v34, 0x400000, v32
	v_cmp_u_f32_e64 s0, v32, v32
	v_add3_u32 v37, v37, v18, 0x7fff
	v_lshrrev_b32_e32 v10, 16, v10
	v_lshrrev_b32_e32 v16, 16, v16
	;; [unrolled: 1-line block ×3, first 2 shown]
	v_cndmask_b32_e64 v32, v33, v34, s0
	v_add3_u32 v33, v35, v31, 0x7fff
	v_or_b32_e32 v34, 0x400000, v31
	v_mul_f32_e32 v35, s18, v36
	v_bfe_u32 v36, v30, 16, 1
	v_cmp_u_f32_e64 s0, v31, v31
	v_bfe_u32 v31, v35, 16, 1
	v_or_b32_e32 v39, 0x400000, v35
	v_cndmask_b32_e64 v33, v33, v34, s0
	v_add3_u32 v34, v36, v30, 0x7fff
	v_or_b32_e32 v36, 0x400000, v30
	v_cmp_u_f32_e64 s0, v30, v30
	v_add3_u32 v31, v31, v35, 0x7fff
	v_cndmask_b32_e64 v30, v34, v36, s0
	v_cmp_u_f32_e64 s0, v18, v18
	v_cndmask_b32_e64 v18, v37, v38, s0
	v_cmp_u_f32_e64 s0, v35, v35
	v_cndmask_b32_e64 v34, v31, v39, s0
	v_lshrrev_b32_e32 v31, 16, v32
	v_lshrrev_b32_e32 v32, 16, v33
	;; [unrolled: 1-line block ×5, first 2 shown]
	s_and_saveexec_b32 s0, vcc_lo
	s_cbranch_execz .LBB331_104
; %bb.172:                              ;   in Loop: Header=BB331_106 Depth=1
	v_add_nc_u32_e32 v34, 1, v20
	v_cmp_gt_i32_e32 vcc_lo, s31, v20
	v_add_nc_u32_e32 v35, 2, v20
	v_add_nc_u32_e32 v36, 3, v20
	v_cndmask_b32_e32 v33, 0, v33, vcc_lo
	v_cmp_gt_i32_e32 vcc_lo, s31, v34
	v_add_nc_u32_e32 v34, 4, v20
	v_cndmask_b32_e32 v32, 0, v32, vcc_lo
	v_cmp_gt_i32_e32 vcc_lo, s31, v35
	;; [unrolled: 3-line block ×5, first 2 shown]
	v_cndmask_b32_e32 v10, 0, v10, vcc_lo
	v_cmp_gt_i32_e32 vcc_lo, s31, v36
	v_cndmask_b32_e32 v30, 0, v30, vcc_lo
	v_cmp_gt_i32_e32 vcc_lo, s31, v34
	v_cndmask_b32_e32 v18, 0, v18, vcc_lo
	s_branch .LBB331_104
.LBB331_173:
	s_or_b32 exec_lo, exec_lo, s13
.LBB331_174:
	s_or_b32 exec_lo, exec_lo, s3
	v_and_b32_e32 v2, 0x3c0, v0
	v_lshl_add_u32 v1, v21, 2, 0x60
	s_mov_b32 s0, exec_lo
	s_waitcnt_vscnt null, 0x0
	s_barrier
	buffer_gl0_inv
	v_cmpx_eq_u32_e32 64, v2
; %bb.175:
	v_lshlrev_b32_e32 v2, 7, v19
	v_add3_u32 v2, v1, v2, 0xffffff00
	ds_write_b32 v2, v22
; %bb.176:
	s_or_b32 exec_lo, exec_lo, s0
	v_and_b32_e32 v3, 0x3e0, v0
	s_mov_b32 s0, exec_lo
	s_waitcnt lgkmcnt(0)
	s_barrier
	buffer_gl0_inv
	v_lshl_add_u32 v2, v3, 2, v1
	v_cmpx_gt_u32_e32 64, v0
	s_cbranch_execz .LBB331_178
; %bb.177:
	ds_read_b32 v4, v2
	s_waitcnt lgkmcnt(0)
	v_add_f32_e32 v22, v22, v4
.LBB331_178:
	s_or_b32 exec_lo, exec_lo, s0
	s_mov_b32 s0, exec_lo
	s_barrier
	buffer_gl0_inv
	v_cmpx_eq_u32_e32 32, v3
; %bb.179:
	ds_write_b32 v1, v22
; %bb.180:
	s_or_b32 exec_lo, exec_lo, s0
	v_cmp_gt_u32_e32 vcc_lo, 32, v0
	s_waitcnt lgkmcnt(0)
	s_barrier
	buffer_gl0_inv
	s_and_saveexec_b32 s0, vcc_lo
	s_cbranch_execz .LBB331_182
; %bb.181:
	ds_read_b32 v0, v2
	s_waitcnt lgkmcnt(0)
	v_add_f32_e32 v22, v22, v0
.LBB331_182:
	s_or_b32 exec_lo, exec_lo, s0
	s_barrier
	buffer_gl0_inv
	s_and_saveexec_b32 s0, vcc_lo
	s_cbranch_execz .LBB331_184
; %bb.183:
	s_lshl_b32 s0, s2, 5
	s_mul_i32 s2, s7, s10
	s_ashr_i32 s1, s0, 31
	v_bfe_u32 v0, v22, 16, 1
	s_lshl_b64 s[0:1], s[0:1], 1
	v_or_b32_e32 v1, 0x400000, v22
	s_add_u32 s4, s28, s0
	s_addc_u32 s5, s29, s1
	s_ashr_i32 s3, s2, 31
	v_add3_u32 v0, v0, v22, 0x7fff
	s_lshl_b64 s[0:1], s[2:3], 1
	v_cmp_u_f32_e32 vcc_lo, v22, v22
	s_add_u32 s2, s4, s0
	s_addc_u32 s3, s5, s1
	s_lshl_b32 s0, s8, 5
	v_lshlrev_b32_e32 v2, 1, v21
	s_ashr_i32 s1, s0, 31
	v_cndmask_b32_e32 v0, v0, v1, vcc_lo
	s_lshl_b64 s[0:1], s[0:1], 1
	s_add_u32 s0, s2, s0
	s_addc_u32 s1, s3, s1
	global_store_short_d16_hi v2, v0, s[0:1]
.LBB331_184:
	s_endpgm
	.section	.rodata,"a",@progbits
	.p2align	6, 0x0
	.amdhsa_kernel _ZN4vllm25paged_attention_v2_kernelI14__hip_bfloat16hLi32ELi8ELi128ELNS_18Fp8KVCacheDataTypeE1ELb1ELi512EEEvPfS3_PT_PKS4_PKT0_SA_ifPKiSC_iPKfiiiSE_SE_iiiii
		.amdhsa_group_segment_fixed_size 96
		.amdhsa_private_segment_fixed_size 0
		.amdhsa_kernarg_size 400
		.amdhsa_user_sgpr_count 6
		.amdhsa_user_sgpr_private_segment_buffer 1
		.amdhsa_user_sgpr_dispatch_ptr 0
		.amdhsa_user_sgpr_queue_ptr 0
		.amdhsa_user_sgpr_kernarg_segment_ptr 1
		.amdhsa_user_sgpr_dispatch_id 0
		.amdhsa_user_sgpr_flat_scratch_init 0
		.amdhsa_user_sgpr_private_segment_size 0
		.amdhsa_wavefront_size32 1
		.amdhsa_uses_dynamic_stack 0
		.amdhsa_system_sgpr_private_segment_wavefront_offset 0
		.amdhsa_system_sgpr_workgroup_id_x 1
		.amdhsa_system_sgpr_workgroup_id_y 1
		.amdhsa_system_sgpr_workgroup_id_z 1
		.amdhsa_system_sgpr_workgroup_info 0
		.amdhsa_system_vgpr_workitem_id 0
		.amdhsa_next_free_vgpr 40
		.amdhsa_next_free_sgpr 53
		.amdhsa_reserve_vcc 1
		.amdhsa_reserve_flat_scratch 0
		.amdhsa_float_round_mode_32 0
		.amdhsa_float_round_mode_16_64 0
		.amdhsa_float_denorm_mode_32 3
		.amdhsa_float_denorm_mode_16_64 3
		.amdhsa_dx10_clamp 1
		.amdhsa_ieee_mode 1
		.amdhsa_fp16_overflow 0
		.amdhsa_workgroup_processor_mode 1
		.amdhsa_memory_ordered 1
		.amdhsa_forward_progress 1
		.amdhsa_shared_vgpr_count 0
		.amdhsa_exception_fp_ieee_invalid_op 0
		.amdhsa_exception_fp_denorm_src 0
		.amdhsa_exception_fp_ieee_div_zero 0
		.amdhsa_exception_fp_ieee_overflow 0
		.amdhsa_exception_fp_ieee_underflow 0
		.amdhsa_exception_fp_ieee_inexact 0
		.amdhsa_exception_int_div_zero 0
	.end_amdhsa_kernel
	.section	.text._ZN4vllm25paged_attention_v2_kernelI14__hip_bfloat16hLi32ELi8ELi128ELNS_18Fp8KVCacheDataTypeE1ELb1ELi512EEEvPfS3_PT_PKS4_PKT0_SA_ifPKiSC_iPKfiiiSE_SE_iiiii,"axG",@progbits,_ZN4vllm25paged_attention_v2_kernelI14__hip_bfloat16hLi32ELi8ELi128ELNS_18Fp8KVCacheDataTypeE1ELb1ELi512EEEvPfS3_PT_PKS4_PKT0_SA_ifPKiSC_iPKfiiiSE_SE_iiiii,comdat
.Lfunc_end331:
	.size	_ZN4vllm25paged_attention_v2_kernelI14__hip_bfloat16hLi32ELi8ELi128ELNS_18Fp8KVCacheDataTypeE1ELb1ELi512EEEvPfS3_PT_PKS4_PKT0_SA_ifPKiSC_iPKfiiiSE_SE_iiiii, .Lfunc_end331-_ZN4vllm25paged_attention_v2_kernelI14__hip_bfloat16hLi32ELi8ELi128ELNS_18Fp8KVCacheDataTypeE1ELb1ELi512EEEvPfS3_PT_PKS4_PKT0_SA_ifPKiSC_iPKfiiiSE_SE_iiiii
                                        ; -- End function
	.set _ZN4vllm25paged_attention_v2_kernelI14__hip_bfloat16hLi32ELi8ELi128ELNS_18Fp8KVCacheDataTypeE1ELb1ELi512EEEvPfS3_PT_PKS4_PKT0_SA_ifPKiSC_iPKfiiiSE_SE_iiiii.num_vgpr, 40
	.set _ZN4vllm25paged_attention_v2_kernelI14__hip_bfloat16hLi32ELi8ELi128ELNS_18Fp8KVCacheDataTypeE1ELb1ELi512EEEvPfS3_PT_PKS4_PKT0_SA_ifPKiSC_iPKfiiiSE_SE_iiiii.num_agpr, 0
	.set _ZN4vllm25paged_attention_v2_kernelI14__hip_bfloat16hLi32ELi8ELi128ELNS_18Fp8KVCacheDataTypeE1ELb1ELi512EEEvPfS3_PT_PKS4_PKT0_SA_ifPKiSC_iPKfiiiSE_SE_iiiii.numbered_sgpr, 53
	.set _ZN4vllm25paged_attention_v2_kernelI14__hip_bfloat16hLi32ELi8ELi128ELNS_18Fp8KVCacheDataTypeE1ELb1ELi512EEEvPfS3_PT_PKS4_PKT0_SA_ifPKiSC_iPKfiiiSE_SE_iiiii.num_named_barrier, 0
	.set _ZN4vllm25paged_attention_v2_kernelI14__hip_bfloat16hLi32ELi8ELi128ELNS_18Fp8KVCacheDataTypeE1ELb1ELi512EEEvPfS3_PT_PKS4_PKT0_SA_ifPKiSC_iPKfiiiSE_SE_iiiii.private_seg_size, 0
	.set _ZN4vllm25paged_attention_v2_kernelI14__hip_bfloat16hLi32ELi8ELi128ELNS_18Fp8KVCacheDataTypeE1ELb1ELi512EEEvPfS3_PT_PKS4_PKT0_SA_ifPKiSC_iPKfiiiSE_SE_iiiii.uses_vcc, 1
	.set _ZN4vllm25paged_attention_v2_kernelI14__hip_bfloat16hLi32ELi8ELi128ELNS_18Fp8KVCacheDataTypeE1ELb1ELi512EEEvPfS3_PT_PKS4_PKT0_SA_ifPKiSC_iPKfiiiSE_SE_iiiii.uses_flat_scratch, 0
	.set _ZN4vllm25paged_attention_v2_kernelI14__hip_bfloat16hLi32ELi8ELi128ELNS_18Fp8KVCacheDataTypeE1ELb1ELi512EEEvPfS3_PT_PKS4_PKT0_SA_ifPKiSC_iPKfiiiSE_SE_iiiii.has_dyn_sized_stack, 0
	.set _ZN4vllm25paged_attention_v2_kernelI14__hip_bfloat16hLi32ELi8ELi128ELNS_18Fp8KVCacheDataTypeE1ELb1ELi512EEEvPfS3_PT_PKS4_PKT0_SA_ifPKiSC_iPKfiiiSE_SE_iiiii.has_recursion, 0
	.set _ZN4vllm25paged_attention_v2_kernelI14__hip_bfloat16hLi32ELi8ELi128ELNS_18Fp8KVCacheDataTypeE1ELb1ELi512EEEvPfS3_PT_PKS4_PKT0_SA_ifPKiSC_iPKfiiiSE_SE_iiiii.has_indirect_call, 0
	.section	.AMDGPU.csdata,"",@progbits
; Kernel info:
; codeLenInByte = 8696
; TotalNumSgprs: 55
; NumVgprs: 40
; ScratchSize: 0
; MemoryBound: 0
; FloatMode: 240
; IeeeMode: 1
; LDSByteSize: 96 bytes/workgroup (compile time only)
; SGPRBlocks: 0
; VGPRBlocks: 4
; NumSGPRsForWavesPerEU: 55
; NumVGPRsForWavesPerEU: 40
; Occupancy: 16
; WaveLimiterHint : 1
; COMPUTE_PGM_RSRC2:SCRATCH_EN: 0
; COMPUTE_PGM_RSRC2:USER_SGPR: 6
; COMPUTE_PGM_RSRC2:TRAP_HANDLER: 0
; COMPUTE_PGM_RSRC2:TGID_X_EN: 1
; COMPUTE_PGM_RSRC2:TGID_Y_EN: 1
; COMPUTE_PGM_RSRC2:TGID_Z_EN: 1
; COMPUTE_PGM_RSRC2:TIDIG_COMP_CNT: 0
	.section	.text._ZN4vllm25paged_attention_v2_kernelI14__hip_bfloat16hLi64ELi8ELi128ELNS_18Fp8KVCacheDataTypeE1ELb1ELi512EEEvPfS3_PT_PKS4_PKT0_SA_ifPKiSC_iPKfiiiSE_SE_iiiii,"axG",@progbits,_ZN4vllm25paged_attention_v2_kernelI14__hip_bfloat16hLi64ELi8ELi128ELNS_18Fp8KVCacheDataTypeE1ELb1ELi512EEEvPfS3_PT_PKS4_PKT0_SA_ifPKiSC_iPKfiiiSE_SE_iiiii,comdat
	.protected	_ZN4vllm25paged_attention_v2_kernelI14__hip_bfloat16hLi64ELi8ELi128ELNS_18Fp8KVCacheDataTypeE1ELb1ELi512EEEvPfS3_PT_PKS4_PKT0_SA_ifPKiSC_iPKfiiiSE_SE_iiiii ; -- Begin function _ZN4vllm25paged_attention_v2_kernelI14__hip_bfloat16hLi64ELi8ELi128ELNS_18Fp8KVCacheDataTypeE1ELb1ELi512EEEvPfS3_PT_PKS4_PKT0_SA_ifPKiSC_iPKfiiiSE_SE_iiiii
	.globl	_ZN4vllm25paged_attention_v2_kernelI14__hip_bfloat16hLi64ELi8ELi128ELNS_18Fp8KVCacheDataTypeE1ELb1ELi512EEEvPfS3_PT_PKS4_PKT0_SA_ifPKiSC_iPKfiiiSE_SE_iiiii
	.p2align	8
	.type	_ZN4vllm25paged_attention_v2_kernelI14__hip_bfloat16hLi64ELi8ELi128ELNS_18Fp8KVCacheDataTypeE1ELb1ELi512EEEvPfS3_PT_PKS4_PKT0_SA_ifPKiSC_iPKfiiiSE_SE_iiiii,@function
_ZN4vllm25paged_attention_v2_kernelI14__hip_bfloat16hLi64ELi8ELi128ELNS_18Fp8KVCacheDataTypeE1ELb1ELi512EEEvPfS3_PT_PKS4_PKT0_SA_ifPKiSC_iPKfiiiSE_SE_iiiii: ; @_ZN4vllm25paged_attention_v2_kernelI14__hip_bfloat16hLi64ELi8ELi128ELNS_18Fp8KVCacheDataTypeE1ELb1ELi512EEEvPfS3_PT_PKS4_PKT0_SA_ifPKiSC_iPKfiiiSE_SE_iiiii
; %bb.0:
	s_load_dwordx2 s[0:1], s[4:5], 0x40
	s_mov_b32 s30, s7
	s_ashr_i32 s31, s7, 31
	s_lshl_b64 s[2:3], s[30:31], 2
	s_waitcnt lgkmcnt(0)
	s_add_u32 s0, s0, s2
	s_addc_u32 s1, s1, s3
	s_lshl_b32 s42, s8, 9
	s_load_dword s31, s[0:1], 0x0
	s_waitcnt lgkmcnt(0)
	s_cmp_ge_i32 s42, s31
	s_cbranch_scc1 .LBB332_306
; %bb.1:
	s_clause 0x1
	s_load_dword s9, s[4:5], 0x90
	s_load_dwordx2 s[40:41], s[4:5], 0x30
	s_mov_b32 s44, 0
	s_waitcnt lgkmcnt(0)
	s_abs_i32 s3, s9
	s_abs_i32 s0, s40
	v_cvt_f32_u32_e32 v1, s0
	s_sub_i32 s2, 0, s0
	v_rcp_iflag_f32_e32 v1, v1
	v_mul_f32_e32 v1, 0x4f7ffffe, v1
	v_cvt_u32_f32_e32 v1, v1
	v_readfirstlane_b32 s1, v1
	s_mul_i32 s2, s2, s1
	s_mul_hi_u32 s2, s1, s2
	s_add_i32 s1, s1, s2
	s_xor_b32 s2, s9, s40
	s_mul_hi_u32 s1, s3, s1
	s_ashr_i32 s2, s2, 31
	s_mul_i32 s7, s1, s0
	s_sub_i32 s3, s3, s7
	s_add_i32 s7, s1, 1
	s_sub_i32 s10, s3, s0
	s_cmp_ge_u32 s3, s0
	s_cselect_b32 s1, s7, s1
	s_cselect_b32 s3, s10, s3
	s_add_i32 s7, s1, 1
	s_cmp_ge_u32 s3, s0
	s_cselect_b32 s0, s7, s1
	s_xor_b32 s0, s0, s2
	s_sub_i32 s10, s0, s2
	s_load_dwordx2 s[0:1], s[4:5], 0x50
	s_abs_i32 s2, s10
	v_cvt_f32_u32_e32 v1, s2
	s_sub_i32 s3, 0, s2
	v_rcp_iflag_f32_e32 v1, v1
	v_mul_f32_e32 v1, 0x4f7ffffe, v1
	v_cvt_u32_f32_e32 v1, v1
	v_readfirstlane_b32 s7, v1
	s_mul_i32 s3, s3, s7
	s_mul_hi_u32 s11, s7, s3
	s_abs_i32 s3, s6
	s_add_i32 s7, s7, s11
	s_waitcnt lgkmcnt(0)
	s_cmp_eq_u64 s[0:1], 0
	s_mul_hi_u32 s12, s3, s7
	s_cbranch_scc1 .LBB332_3
; %bb.2:
	s_ashr_i32 s7, s6, 31
	s_lshl_b64 s[14:15], s[6:7], 2
	s_add_u32 s0, s0, s14
	s_addc_u32 s1, s1, s15
	s_load_dword s44, s[0:1], 0x0
.LBB332_3:
	s_load_dwordx4 s[16:19], s[4:5], 0x58
	v_and_b32_e32 v1, 3, v0
	v_cmp_gt_u32_e64 s0, 32, v0
	s_ashr_i32 s1, s6, 31
	s_ashr_i32 s7, s10, 31
	s_lshl_b32 s10, s6, 6
	s_and_saveexec_b32 s13, s0
	s_cbranch_execz .LBB332_5
; %bb.4:
	s_load_dwordx2 s[14:15], s[4:5], 0x18
	s_waitcnt lgkmcnt(0)
	s_mul_i32 s20, s16, s30
	v_lshlrev_b32_e32 v2, 2, v0
	s_ashr_i32 s21, s20, 31
	v_and_b32_e32 v3, 0x3fc, v0
	s_lshl_b64 s[20:21], s[20:21], 1
	v_lshl_add_u32 v3, v1, 5, v3
	s_add_u32 s16, s14, s20
	s_addc_u32 s19, s15, s21
	s_ashr_i32 s11, s10, 31
	s_lshl_b64 s[14:15], s[10:11], 1
	s_add_u32 s14, s16, s14
	s_addc_u32 s15, s19, s15
	global_load_dword v2, v2, s[14:15]
	s_waitcnt vmcnt(0)
	ds_write_b32 v3, v2
.LBB332_5:
	s_or_b32 exec_lo, exec_lo, s13
	s_load_dwordx4 s[20:23], s[4:5], 0x78
	s_mul_i32 s11, s12, s2
	s_xor_b32 s1, s1, s7
	s_sub_i32 s3, s3, s11
	s_add_i32 s7, s12, 1
	s_sub_i32 s11, s3, s2
	s_cmp_ge_u32 s3, s2
	s_mov_b32 s13, -1
	s_cselect_b32 s7, s7, s12
	s_cselect_b32 s3, s11, s3
	s_add_i32 s11, s7, 1
	s_cmp_ge_u32 s3, s2
                                        ; implicit-def: $sgpr33
	s_cselect_b32 s2, s11, s7
	s_load_dword s7, s[4:5], 0x88
	s_xor_b32 s2, s2, s1
	s_add_i32 s12, s31, -1
	s_sub_i32 s2, s2, s1
	s_abs_i32 s3, s12
	s_waitcnt lgkmcnt(0)
	s_abs_i32 s11, s23
	s_barrier
	v_cvt_f32_u32_e32 v2, s11
	s_sub_i32 s1, 0, s11
	buffer_gl0_inv
	v_rcp_iflag_f32_e32 v2, v2
	v_mul_f32_e32 v2, 0x4f7ffffe, v2
	v_cvt_u32_f32_e32 v2, v2
	v_readfirstlane_b32 s19, v2
	s_mul_i32 s1, s1, s19
	s_mul_hi_u32 s1, s19, s1
	s_add_i32 s19, s19, s1
	s_cmp_lt_i32 s7, 0
	s_mul_hi_u32 s1, s3, s19
	s_cbranch_scc0 .LBB332_7
; %bb.6:
	s_mul_i32 s13, s20, s40
	s_add_i32 s13, s2, s13
	s_mul_i32 s13, s13, s7
	s_sub_i32 s33, 1, s13
	s_mov_b32 s13, 0
.LBB332_7:
	s_load_dwordx2 s[34:35], s[4:5], 0x38
	s_ashr_i32 s16, s12, 31
	s_andn2_b32 vcc_lo, exec_lo, s13
	s_ashr_i32 s23, s23, 31
	s_cbranch_vccnz .LBB332_9
; %bb.8:
	s_mul_i32 s12, s9, s20
	s_add_i32 s12, s12, s6
	s_mul_i32 s7, s12, s7
	s_add_i32 s33, s7, 1
.LBB332_9:
	s_clause 0x5
	s_load_dword s20, s[4:5], 0x48
	s_load_dwordx2 s[38:39], s[4:5], 0x28
	s_load_dwordx4 s[24:27], s[4:5], 0x0
	s_load_dwordx2 s[28:29], s[4:5], 0x10
	s_load_dword s7, s[4:5], 0x98
	s_load_dwordx4 s[12:15], s[4:5], 0x68
	s_xor_b32 s43, s16, s23
	s_mul_i32 s16, s1, s11
	s_add_i32 s40, s1, 1
	s_sub_i32 s3, s3, s16
	v_lshrrev_b32_e32 v22, 5, v0
	s_sub_i32 s16, s3, s11
	v_mov_b32_e32 v20, 0xff7fffff
	v_mbcnt_lo_u32_b32 v19, -1, 0
	s_mul_i32 s18, s2, s18
	v_lshl_add_u32 v23, v22, 3, s42
	s_waitcnt lgkmcnt(0)
	s_mul_i32 s36, s20, s30
	s_ashr_i32 s37, s36, 31
	s_cmp_ge_u32 s3, s11
	s_cselect_b32 s1, s40, s1
	s_cselect_b32 s3, s16, s3
	s_add_i32 s16, s1, 1
	s_cmp_ge_u32 s3, s11
	s_cselect_b32 s1, s16, s1
	s_add_i32 s3, s31, 7
	s_lshl_b32 s16, s8, 6
	s_ashr_i32 s20, s3, 31
	v_or_b32_e32 v9, s16, v22
	s_lshr_b32 s20, s20, 29
	s_add_i32 s3, s3, s20
	s_add_i32 s20, s16, 64
	s_ashr_i32 s40, s3, 3
	s_xor_b32 s3, s1, s43
	s_min_i32 s20, s20, s40
	v_ashrrev_i32_e32 v10, 31, v9
	v_cmp_gt_i32_e64 s1, s20, v9
	s_sub_i32 s43, s3, s43
	s_and_saveexec_b32 s45, s1
	s_cbranch_execz .LBB332_149
; %bb.10:
	s_load_dwordx2 s[2:3], s[4:5], 0x20
	s_sub_i32 s5, s43, s21
	s_ashr_i32 s4, s18, 31
	v_bfe_u32 v21, v0, 2, 3
	v_cmp_eq_u32_e32 vcc_lo, 0, v1
	v_lshlrev_b32_e32 v4, 1, v1
	v_lshlrev_b32_e32 v24, 5, v1
	v_mov_b32_e32 v12, 0
	v_lshlrev_b32_e32 v5, 2, v21
	v_subrev_nc_u32_e32 v6, s31, v21
	v_lshlrev_b32_e32 v7, 4, v21
	v_lshl_add_u32 v25, v22, 3, s42
	v_mov_b32_e32 v26, 0xff7fffff
	v_lshl_or_b32 v5, v22, 5, v5
	v_add_nc_u32_e32 v29, 1, v6
	v_mov_b32_e32 v27, 0x80
	v_mov_b32_e32 v28, 0xffff
	v_mov_b32_e32 v20, 0xff7fffff
	v_add_nc_u32_e32 v30, 0xa0, v5
	v_mov_b32_e32 v32, v9
	s_waitcnt lgkmcnt(0)
	s_add_u32 s47, s2, s18
	s_addc_u32 s3, s3, s4
	s_abs_i32 s46, s22
	s_lshl_b64 s[48:49], s[36:37], 2
	v_cvt_f32_u32_e32 v2, s46
	s_sub_i32 s4, 0, s46
	v_cmp_neq_f32_e64 s2, s44, 0
	v_rcp_iflag_f32_e32 v3, v2
	v_lshlrev_b64 v[1:2], 2, v[9:10]
	v_mul_f32_e32 v3, 0x4f7ffffe, v3
	v_cvt_u32_f32_e32 v3, v3
	v_mul_lo_u32 v5, s4, v3
	v_add_co_u32 v6, s4, s47, v7
	v_add_co_ci_u32_e64 v7, null, s3, 0, s4
	s_add_u32 s3, s34, s48
	s_addc_u32 s4, s35, s49
	v_add_co_u32 v13, s3, s3, v1
	v_mul_hi_u32 v5, v3, v5
	v_add_co_ci_u32_e64 v14, null, s4, v2, s3
	v_add_co_u32 v15, s3, v6, v4
	v_add_co_ci_u32_e64 v16, null, 0, v7, s3
	s_mov_b32 s47, 0
	v_add_nc_u32_e32 v31, v3, v5
	s_mov_b32 s48, s17
	s_branch .LBB332_13
.LBB332_11:                             ;   in Loop: Header=BB332_13 Depth=1
	s_or_b32 exec_lo, exec_lo, s49
.LBB332_12:                             ;   in Loop: Header=BB332_13 Depth=1
	s_or_b32 exec_lo, exec_lo, s4
	v_add_nc_u32_e32 v32, 4, v32
	v_add_co_u32 v13, s4, v13, 16
	v_add_co_ci_u32_e64 v14, null, 0, v14, s4
	v_cmp_le_i32_e64 s3, s20, v32
	v_add_nc_u32_e32 v25, 32, v25
	v_add_nc_u32_e32 v30, 0x80, v30
	s_or_b32 s47, s3, s47
	s_andn2_b32 exec_lo, exec_lo, s47
	s_cbranch_execz .LBB332_148
.LBB332_13:                             ; =>This Inner Loop Header: Depth=1
	v_sub_nc_u32_e32 v1, 0, v25
	v_max_i32_e32 v1, v25, v1
	s_waitcnt lgkmcnt(0)
	v_mul_hi_u32 v2, v1, s19
	v_mul_lo_u32 v3, v2, s11
	v_sub_nc_u32_e32 v1, v1, v3
	v_add_nc_u32_e32 v3, 1, v2
	v_subrev_nc_u32_e32 v4, s11, v1
	v_cmp_le_u32_e64 s3, s11, v1
	v_cndmask_b32_e64 v2, v2, v3, s3
	v_cndmask_b32_e64 v1, v1, v4, s3
	v_ashrrev_i32_e32 v3, 31, v25
	v_add_nc_u32_e32 v4, 1, v2
	v_cmp_le_u32_e64 s3, s11, v1
	v_xor_b32_e32 v3, s23, v3
	v_cndmask_b32_e64 v1, v2, v4, s3
	v_xor_b32_e32 v1, v1, v3
	v_sub_nc_u32_e32 v1, v1, v3
	v_add_nc_u32_e32 v2, s33, v1
	v_cmp_ge_i32_e64 s4, s5, v1
	v_sub_nc_u32_e32 v3, 0, v2
	v_max_i32_e32 v3, v2, v3
	v_ashrrev_i32_e32 v2, 31, v2
	v_mul_hi_u32 v4, v3, v31
	v_mul_lo_u32 v4, v4, s46
	v_sub_nc_u32_e32 v3, v3, v4
	v_subrev_nc_u32_e32 v4, s46, v3
	v_cmp_le_u32_e64 s3, s46, v3
	v_cndmask_b32_e64 v3, v3, v4, s3
	v_subrev_nc_u32_e32 v4, s46, v3
	v_cmp_le_u32_e64 s3, s46, v3
	v_cndmask_b32_e64 v3, v3, v4, s3
	v_xor_b32_e32 v3, v3, v2
	v_sub_nc_u32_e32 v2, v3, v2
	v_cmp_ne_u32_e64 s3, 0, v2
	s_and_b32 s3, s3, s4
	s_and_saveexec_b32 s4, s3
	s_xor_b32 s3, exec_lo, s4
	s_cbranch_execz .LBB332_17
; %bb.14:                               ;   in Loop: Header=BB332_13 Depth=1
	s_and_saveexec_b32 s4, vcc_lo
; %bb.15:                               ;   in Loop: Header=BB332_13 Depth=1
	ds_write_b32 v30, v26
; %bb.16:                               ;   in Loop: Header=BB332_13 Depth=1
	s_or_b32 exec_lo, exec_lo, s4
.LBB332_17:                             ;   in Loop: Header=BB332_13 Depth=1
	s_andn2_saveexec_b32 s4, s3
	s_cbranch_execz .LBB332_12
; %bb.18:                               ;   in Loop: Header=BB332_13 Depth=1
	global_load_dword v1, v[13:14], off
	v_mov_b32_e32 v34, 0
	v_mov_b32_e32 v33, 0
	s_waitcnt vmcnt(0)
	v_mad_i64_i32 v[17:18], null, v1, s48, v[15:16]
	global_load_ushort v11, v[17:18], off
	ds_read_b128 v[5:8], v24
	ds_read_b128 v[1:4], v24 offset:16
	s_load_dword s49, s[12:13], 0x0
	s_waitcnt vmcnt(0)
	v_and_b32_e32 v35, 0xffff, v11
	v_cmp_ne_u16_sdwa s3, v11, v12 src0_sel:BYTE_0 src1_sel:DWORD
	s_and_saveexec_b32 s50, s3
	s_cbranch_execz .LBB332_26
; %bb.19:                               ;   in Loop: Header=BB332_13 Depth=1
	v_cmp_ne_u16_sdwa s3, v35, v27 src0_sel:BYTE_0 src1_sel:DWORD
	v_bfrev_b32_e32 v33, 1
	s_and_saveexec_b32 s51, s3
	s_cbranch_execz .LBB332_25
; %bb.20:                               ;   in Loop: Header=BB332_13 Depth=1
	v_and_b32_e32 v36, 0x7f, v35
	v_mov_b32_e32 v33, 0x7f800001
	s_mov_b32 s52, exec_lo
	v_cmpx_ne_u32_e32 0x7f, v36
	s_cbranch_execz .LBB332_24
; %bb.21:                               ;   in Loop: Header=BB332_13 Depth=1
	v_and_b32_e32 v11, 7, v35
	v_lshrrev_b32_e32 v33, 3, v36
	s_mov_b32 s53, exec_lo
	v_cmpx_gt_u32_e32 8, v36
; %bb.22:                               ;   in Loop: Header=BB332_13 Depth=1
	v_ffbh_u32_e32 v33, v11
	v_min_u32_e32 v33, 32, v33
	v_subrev_nc_u32_e32 v36, 28, v33
	v_sub_nc_u32_e32 v33, 29, v33
	v_lshlrev_b64 v[36:37], v36, v[11:12]
	v_and_b32_e32 v11, 7, v36
; %bb.23:                               ;   in Loop: Header=BB332_13 Depth=1
	s_or_b32 exec_lo, exec_lo, s53
	v_lshlrev_b32_e32 v36, 24, v35
	v_lshlrev_b32_e32 v11, 20, v11
	v_lshl_add_u32 v33, v33, 23, 0x3c000000
	v_and_b32_e32 v36, 0x80000000, v36
	v_or3_b32 v33, v11, v36, v33
.LBB332_24:                             ;   in Loop: Header=BB332_13 Depth=1
	s_or_b32 exec_lo, exec_lo, s52
.LBB332_25:                             ;   in Loop: Header=BB332_13 Depth=1
	s_or_b32 exec_lo, exec_lo, s51
.LBB332_26:                             ;   in Loop: Header=BB332_13 Depth=1
	s_or_b32 exec_lo, exec_lo, s50
	v_cmp_ne_u16_sdwa s3, v35, v12 src0_sel:BYTE_1 src1_sel:DWORD
	s_and_saveexec_b32 s50, s3
	s_cbranch_execz .LBB332_34
; %bb.27:                               ;   in Loop: Header=BB332_13 Depth=1
	v_cmp_ne_u16_sdwa s3, v35, v27 src0_sel:BYTE_1 src1_sel:DWORD
	v_bfrev_b32_e32 v34, 1
	s_and_saveexec_b32 s51, s3
	s_cbranch_execz .LBB332_33
; %bb.28:                               ;   in Loop: Header=BB332_13 Depth=1
	v_and_b32_sdwa v11, v28, v35 dst_sel:DWORD dst_unused:UNUSED_PAD src0_sel:DWORD src1_sel:BYTE_1
	v_mov_b32_e32 v34, 0x7f800001
	s_mov_b32 s52, exec_lo
	v_and_b32_e32 v36, 0x7f, v11
	v_cmpx_ne_u32_e32 0x7f, v36
	s_cbranch_execz .LBB332_32
; %bb.29:                               ;   in Loop: Header=BB332_13 Depth=1
	v_and_b32_e32 v11, 7, v11
	v_lshrrev_b32_e32 v34, 3, v36
	s_mov_b32 s53, exec_lo
	v_cmpx_gt_u32_e32 8, v36
; %bb.30:                               ;   in Loop: Header=BB332_13 Depth=1
	v_ffbh_u32_e32 v34, v11
	v_min_u32_e32 v34, 32, v34
	v_subrev_nc_u32_e32 v36, 28, v34
	v_sub_nc_u32_e32 v34, 29, v34
	v_lshlrev_b64 v[36:37], v36, v[11:12]
	v_and_b32_e32 v11, 7, v36
; %bb.31:                               ;   in Loop: Header=BB332_13 Depth=1
	s_or_b32 exec_lo, exec_lo, s53
	v_lshlrev_b32_e32 v35, 16, v35
	v_lshlrev_b32_e32 v11, 20, v11
	v_lshl_add_u32 v34, v34, 23, 0x3c000000
	v_and_b32_e32 v35, 0x80000000, v35
	v_or3_b32 v34, v11, v35, v34
.LBB332_32:                             ;   in Loop: Header=BB332_13 Depth=1
	s_or_b32 exec_lo, exec_lo, s52
.LBB332_33:                             ;   in Loop: Header=BB332_13 Depth=1
	s_or_b32 exec_lo, exec_lo, s51
.LBB332_34:                             ;   in Loop: Header=BB332_13 Depth=1
	s_or_b32 exec_lo, exec_lo, s50
	global_load_ushort v11, v[17:18], off offset:8
	v_mov_b32_e32 v36, 0
	v_mov_b32_e32 v35, 0
	s_waitcnt vmcnt(0)
	v_and_b32_e32 v37, 0xffff, v11
	v_cmp_ne_u16_sdwa s3, v11, v12 src0_sel:BYTE_0 src1_sel:DWORD
	s_and_saveexec_b32 s50, s3
	s_cbranch_execz .LBB332_42
; %bb.35:                               ;   in Loop: Header=BB332_13 Depth=1
	v_cmp_ne_u16_sdwa s3, v37, v27 src0_sel:BYTE_0 src1_sel:DWORD
	v_bfrev_b32_e32 v35, 1
	s_and_saveexec_b32 s51, s3
	s_cbranch_execz .LBB332_41
; %bb.36:                               ;   in Loop: Header=BB332_13 Depth=1
	v_and_b32_e32 v38, 0x7f, v37
	v_mov_b32_e32 v35, 0x7f800001
	s_mov_b32 s52, exec_lo
	v_cmpx_ne_u32_e32 0x7f, v38
	s_cbranch_execz .LBB332_40
; %bb.37:                               ;   in Loop: Header=BB332_13 Depth=1
	v_and_b32_e32 v11, 7, v37
	v_lshrrev_b32_e32 v35, 3, v38
	s_mov_b32 s53, exec_lo
	v_cmpx_gt_u32_e32 8, v38
; %bb.38:                               ;   in Loop: Header=BB332_13 Depth=1
	v_ffbh_u32_e32 v35, v11
	v_min_u32_e32 v35, 32, v35
	v_subrev_nc_u32_e32 v38, 28, v35
	v_sub_nc_u32_e32 v35, 29, v35
	v_lshlrev_b64 v[38:39], v38, v[11:12]
	v_and_b32_e32 v11, 7, v38
; %bb.39:                               ;   in Loop: Header=BB332_13 Depth=1
	s_or_b32 exec_lo, exec_lo, s53
	v_lshlrev_b32_e32 v38, 24, v37
	v_lshlrev_b32_e32 v11, 20, v11
	v_lshl_add_u32 v35, v35, 23, 0x3c000000
	v_and_b32_e32 v38, 0x80000000, v38
	v_or3_b32 v35, v11, v38, v35
.LBB332_40:                             ;   in Loop: Header=BB332_13 Depth=1
	s_or_b32 exec_lo, exec_lo, s52
.LBB332_41:                             ;   in Loop: Header=BB332_13 Depth=1
	s_or_b32 exec_lo, exec_lo, s51
.LBB332_42:                             ;   in Loop: Header=BB332_13 Depth=1
	s_or_b32 exec_lo, exec_lo, s50
	v_cmp_ne_u16_sdwa s3, v37, v12 src0_sel:BYTE_1 src1_sel:DWORD
	s_and_saveexec_b32 s50, s3
	s_cbranch_execz .LBB332_50
; %bb.43:                               ;   in Loop: Header=BB332_13 Depth=1
	v_cmp_ne_u16_sdwa s3, v37, v27 src0_sel:BYTE_1 src1_sel:DWORD
	v_bfrev_b32_e32 v36, 1
	s_and_saveexec_b32 s51, s3
	s_cbranch_execz .LBB332_49
; %bb.44:                               ;   in Loop: Header=BB332_13 Depth=1
	v_and_b32_sdwa v11, v28, v37 dst_sel:DWORD dst_unused:UNUSED_PAD src0_sel:DWORD src1_sel:BYTE_1
	v_mov_b32_e32 v36, 0x7f800001
	s_mov_b32 s52, exec_lo
	v_and_b32_e32 v38, 0x7f, v11
	v_cmpx_ne_u32_e32 0x7f, v38
	s_cbranch_execz .LBB332_48
; %bb.45:                               ;   in Loop: Header=BB332_13 Depth=1
	v_and_b32_e32 v11, 7, v11
	v_lshrrev_b32_e32 v36, 3, v38
	s_mov_b32 s53, exec_lo
	v_cmpx_gt_u32_e32 8, v38
; %bb.46:                               ;   in Loop: Header=BB332_13 Depth=1
	v_ffbh_u32_e32 v36, v11
	v_min_u32_e32 v36, 32, v36
	v_subrev_nc_u32_e32 v38, 28, v36
	v_sub_nc_u32_e32 v36, 29, v36
	v_lshlrev_b64 v[38:39], v38, v[11:12]
	v_and_b32_e32 v11, 7, v38
; %bb.47:                               ;   in Loop: Header=BB332_13 Depth=1
	s_or_b32 exec_lo, exec_lo, s53
	v_lshlrev_b32_e32 v37, 16, v37
	v_lshlrev_b32_e32 v11, 20, v11
	v_lshl_add_u32 v36, v36, 23, 0x3c000000
	v_and_b32_e32 v37, 0x80000000, v37
	v_or3_b32 v36, v11, v37, v36
.LBB332_48:                             ;   in Loop: Header=BB332_13 Depth=1
	s_or_b32 exec_lo, exec_lo, s52
.LBB332_49:                             ;   in Loop: Header=BB332_13 Depth=1
	s_or_b32 exec_lo, exec_lo, s51
.LBB332_50:                             ;   in Loop: Header=BB332_13 Depth=1
	s_or_b32 exec_lo, exec_lo, s50
	global_load_ushort v11, v[17:18], off offset:128
	v_mov_b32_e32 v38, 0
	v_mov_b32_e32 v37, 0
	s_waitcnt vmcnt(0)
	v_and_b32_e32 v39, 0xffff, v11
	v_cmp_ne_u16_sdwa s3, v11, v12 src0_sel:BYTE_0 src1_sel:DWORD
	s_and_saveexec_b32 s50, s3
	s_cbranch_execz .LBB332_58
; %bb.51:                               ;   in Loop: Header=BB332_13 Depth=1
	v_cmp_ne_u16_sdwa s3, v39, v27 src0_sel:BYTE_0 src1_sel:DWORD
	v_bfrev_b32_e32 v37, 1
	s_and_saveexec_b32 s51, s3
	s_cbranch_execz .LBB332_57
; %bb.52:                               ;   in Loop: Header=BB332_13 Depth=1
	v_and_b32_e32 v40, 0x7f, v39
	v_mov_b32_e32 v37, 0x7f800001
	s_mov_b32 s52, exec_lo
	v_cmpx_ne_u32_e32 0x7f, v40
	s_cbranch_execz .LBB332_56
; %bb.53:                               ;   in Loop: Header=BB332_13 Depth=1
	v_and_b32_e32 v11, 7, v39
	v_lshrrev_b32_e32 v37, 3, v40
	s_mov_b32 s53, exec_lo
	v_cmpx_gt_u32_e32 8, v40
; %bb.54:                               ;   in Loop: Header=BB332_13 Depth=1
	v_ffbh_u32_e32 v37, v11
	v_min_u32_e32 v37, 32, v37
	v_subrev_nc_u32_e32 v40, 28, v37
	v_sub_nc_u32_e32 v37, 29, v37
	v_lshlrev_b64 v[40:41], v40, v[11:12]
	v_and_b32_e32 v11, 7, v40
; %bb.55:                               ;   in Loop: Header=BB332_13 Depth=1
	s_or_b32 exec_lo, exec_lo, s53
	v_lshlrev_b32_e32 v40, 24, v39
	v_lshlrev_b32_e32 v11, 20, v11
	v_lshl_add_u32 v37, v37, 23, 0x3c000000
	v_and_b32_e32 v40, 0x80000000, v40
	v_or3_b32 v37, v11, v40, v37
.LBB332_56:                             ;   in Loop: Header=BB332_13 Depth=1
	s_or_b32 exec_lo, exec_lo, s52
.LBB332_57:                             ;   in Loop: Header=BB332_13 Depth=1
	s_or_b32 exec_lo, exec_lo, s51
.LBB332_58:                             ;   in Loop: Header=BB332_13 Depth=1
	s_or_b32 exec_lo, exec_lo, s50
	v_cmp_ne_u16_sdwa s3, v39, v12 src0_sel:BYTE_1 src1_sel:DWORD
	s_and_saveexec_b32 s50, s3
	s_cbranch_execz .LBB332_66
; %bb.59:                               ;   in Loop: Header=BB332_13 Depth=1
	v_cmp_ne_u16_sdwa s3, v39, v27 src0_sel:BYTE_1 src1_sel:DWORD
	v_bfrev_b32_e32 v38, 1
	s_and_saveexec_b32 s51, s3
	s_cbranch_execz .LBB332_65
; %bb.60:                               ;   in Loop: Header=BB332_13 Depth=1
	v_and_b32_sdwa v11, v28, v39 dst_sel:DWORD dst_unused:UNUSED_PAD src0_sel:DWORD src1_sel:BYTE_1
	v_mov_b32_e32 v38, 0x7f800001
	s_mov_b32 s52, exec_lo
	v_and_b32_e32 v40, 0x7f, v11
	v_cmpx_ne_u32_e32 0x7f, v40
	s_cbranch_execz .LBB332_64
; %bb.61:                               ;   in Loop: Header=BB332_13 Depth=1
	v_and_b32_e32 v11, 7, v11
	v_lshrrev_b32_e32 v38, 3, v40
	s_mov_b32 s53, exec_lo
	v_cmpx_gt_u32_e32 8, v40
; %bb.62:                               ;   in Loop: Header=BB332_13 Depth=1
	v_ffbh_u32_e32 v38, v11
	v_min_u32_e32 v38, 32, v38
	v_subrev_nc_u32_e32 v40, 28, v38
	v_sub_nc_u32_e32 v38, 29, v38
	v_lshlrev_b64 v[40:41], v40, v[11:12]
	v_and_b32_e32 v11, 7, v40
; %bb.63:                               ;   in Loop: Header=BB332_13 Depth=1
	s_or_b32 exec_lo, exec_lo, s53
	v_lshlrev_b32_e32 v39, 16, v39
	v_lshlrev_b32_e32 v11, 20, v11
	v_lshl_add_u32 v38, v38, 23, 0x3c000000
	v_and_b32_e32 v39, 0x80000000, v39
	v_or3_b32 v38, v11, v39, v38
.LBB332_64:                             ;   in Loop: Header=BB332_13 Depth=1
	s_or_b32 exec_lo, exec_lo, s52
.LBB332_65:                             ;   in Loop: Header=BB332_13 Depth=1
	s_or_b32 exec_lo, exec_lo, s51
.LBB332_66:                             ;   in Loop: Header=BB332_13 Depth=1
	s_or_b32 exec_lo, exec_lo, s50
	global_load_ushort v11, v[17:18], off offset:136
	v_mov_b32_e32 v40, 0
	v_mov_b32_e32 v39, 0
	s_waitcnt vmcnt(0)
	v_and_b32_e32 v41, 0xffff, v11
	v_cmp_ne_u16_sdwa s3, v11, v12 src0_sel:BYTE_0 src1_sel:DWORD
	s_and_saveexec_b32 s50, s3
	s_cbranch_execz .LBB332_74
; %bb.67:                               ;   in Loop: Header=BB332_13 Depth=1
	v_cmp_ne_u16_sdwa s3, v41, v27 src0_sel:BYTE_0 src1_sel:DWORD
	v_bfrev_b32_e32 v39, 1
	s_and_saveexec_b32 s51, s3
	s_cbranch_execz .LBB332_73
; %bb.68:                               ;   in Loop: Header=BB332_13 Depth=1
	v_and_b32_e32 v42, 0x7f, v41
	v_mov_b32_e32 v39, 0x7f800001
	s_mov_b32 s52, exec_lo
	v_cmpx_ne_u32_e32 0x7f, v42
	s_cbranch_execz .LBB332_72
; %bb.69:                               ;   in Loop: Header=BB332_13 Depth=1
	v_and_b32_e32 v11, 7, v41
	v_lshrrev_b32_e32 v39, 3, v42
	s_mov_b32 s53, exec_lo
	v_cmpx_gt_u32_e32 8, v42
; %bb.70:                               ;   in Loop: Header=BB332_13 Depth=1
	v_ffbh_u32_e32 v39, v11
	v_min_u32_e32 v39, 32, v39
	v_subrev_nc_u32_e32 v42, 28, v39
	v_sub_nc_u32_e32 v39, 29, v39
	v_lshlrev_b64 v[42:43], v42, v[11:12]
	v_and_b32_e32 v11, 7, v42
; %bb.71:                               ;   in Loop: Header=BB332_13 Depth=1
	s_or_b32 exec_lo, exec_lo, s53
	v_lshlrev_b32_e32 v42, 24, v41
	v_lshlrev_b32_e32 v11, 20, v11
	v_lshl_add_u32 v39, v39, 23, 0x3c000000
	v_and_b32_e32 v42, 0x80000000, v42
	v_or3_b32 v39, v11, v42, v39
.LBB332_72:                             ;   in Loop: Header=BB332_13 Depth=1
	s_or_b32 exec_lo, exec_lo, s52
.LBB332_73:                             ;   in Loop: Header=BB332_13 Depth=1
	s_or_b32 exec_lo, exec_lo, s51
.LBB332_74:                             ;   in Loop: Header=BB332_13 Depth=1
	s_or_b32 exec_lo, exec_lo, s50
	v_cmp_ne_u16_sdwa s3, v41, v12 src0_sel:BYTE_1 src1_sel:DWORD
	s_and_saveexec_b32 s50, s3
	s_cbranch_execz .LBB332_82
; %bb.75:                               ;   in Loop: Header=BB332_13 Depth=1
	v_cmp_ne_u16_sdwa s3, v41, v27 src0_sel:BYTE_1 src1_sel:DWORD
	v_bfrev_b32_e32 v40, 1
	s_and_saveexec_b32 s51, s3
	s_cbranch_execz .LBB332_81
; %bb.76:                               ;   in Loop: Header=BB332_13 Depth=1
	v_and_b32_sdwa v11, v28, v41 dst_sel:DWORD dst_unused:UNUSED_PAD src0_sel:DWORD src1_sel:BYTE_1
	v_mov_b32_e32 v40, 0x7f800001
	s_mov_b32 s52, exec_lo
	v_and_b32_e32 v42, 0x7f, v11
	v_cmpx_ne_u32_e32 0x7f, v42
	s_cbranch_execz .LBB332_80
; %bb.77:                               ;   in Loop: Header=BB332_13 Depth=1
	v_and_b32_e32 v11, 7, v11
	v_lshrrev_b32_e32 v40, 3, v42
	s_mov_b32 s53, exec_lo
	v_cmpx_gt_u32_e32 8, v42
; %bb.78:                               ;   in Loop: Header=BB332_13 Depth=1
	v_ffbh_u32_e32 v40, v11
	v_min_u32_e32 v40, 32, v40
	v_subrev_nc_u32_e32 v42, 28, v40
	v_sub_nc_u32_e32 v40, 29, v40
	v_lshlrev_b64 v[42:43], v42, v[11:12]
	v_and_b32_e32 v11, 7, v42
; %bb.79:                               ;   in Loop: Header=BB332_13 Depth=1
	s_or_b32 exec_lo, exec_lo, s53
	v_lshlrev_b32_e32 v41, 16, v41
	v_lshlrev_b32_e32 v11, 20, v11
	v_lshl_add_u32 v40, v40, 23, 0x3c000000
	v_and_b32_e32 v41, 0x80000000, v41
	v_or3_b32 v40, v11, v41, v40
.LBB332_80:                             ;   in Loop: Header=BB332_13 Depth=1
	s_or_b32 exec_lo, exec_lo, s52
.LBB332_81:                             ;   in Loop: Header=BB332_13 Depth=1
	s_or_b32 exec_lo, exec_lo, s51
.LBB332_82:                             ;   in Loop: Header=BB332_13 Depth=1
	s_or_b32 exec_lo, exec_lo, s50
	global_load_ushort v11, v[17:18], off offset:256
	v_mov_b32_e32 v42, 0
	v_mov_b32_e32 v41, 0
	s_waitcnt vmcnt(0)
	v_and_b32_e32 v43, 0xffff, v11
	v_cmp_ne_u16_sdwa s3, v11, v12 src0_sel:BYTE_0 src1_sel:DWORD
	s_and_saveexec_b32 s50, s3
	s_cbranch_execz .LBB332_90
; %bb.83:                               ;   in Loop: Header=BB332_13 Depth=1
	v_cmp_ne_u16_sdwa s3, v43, v27 src0_sel:BYTE_0 src1_sel:DWORD
	v_bfrev_b32_e32 v41, 1
	s_and_saveexec_b32 s51, s3
	s_cbranch_execz .LBB332_89
; %bb.84:                               ;   in Loop: Header=BB332_13 Depth=1
	v_and_b32_e32 v44, 0x7f, v43
	v_mov_b32_e32 v41, 0x7f800001
	s_mov_b32 s52, exec_lo
	v_cmpx_ne_u32_e32 0x7f, v44
	s_cbranch_execz .LBB332_88
; %bb.85:                               ;   in Loop: Header=BB332_13 Depth=1
	v_and_b32_e32 v11, 7, v43
	v_lshrrev_b32_e32 v41, 3, v44
	s_mov_b32 s53, exec_lo
	v_cmpx_gt_u32_e32 8, v44
; %bb.86:                               ;   in Loop: Header=BB332_13 Depth=1
	v_ffbh_u32_e32 v41, v11
	v_min_u32_e32 v41, 32, v41
	v_subrev_nc_u32_e32 v44, 28, v41
	v_sub_nc_u32_e32 v41, 29, v41
	v_lshlrev_b64 v[44:45], v44, v[11:12]
	v_and_b32_e32 v11, 7, v44
; %bb.87:                               ;   in Loop: Header=BB332_13 Depth=1
	s_or_b32 exec_lo, exec_lo, s53
	v_lshlrev_b32_e32 v44, 24, v43
	v_lshlrev_b32_e32 v11, 20, v11
	v_lshl_add_u32 v41, v41, 23, 0x3c000000
	v_and_b32_e32 v44, 0x80000000, v44
	v_or3_b32 v41, v11, v44, v41
.LBB332_88:                             ;   in Loop: Header=BB332_13 Depth=1
	s_or_b32 exec_lo, exec_lo, s52
.LBB332_89:                             ;   in Loop: Header=BB332_13 Depth=1
	s_or_b32 exec_lo, exec_lo, s51
.LBB332_90:                             ;   in Loop: Header=BB332_13 Depth=1
	s_or_b32 exec_lo, exec_lo, s50
	v_cmp_ne_u16_sdwa s3, v43, v12 src0_sel:BYTE_1 src1_sel:DWORD
	s_and_saveexec_b32 s50, s3
	s_cbranch_execz .LBB332_98
; %bb.91:                               ;   in Loop: Header=BB332_13 Depth=1
	v_cmp_ne_u16_sdwa s3, v43, v27 src0_sel:BYTE_1 src1_sel:DWORD
	v_bfrev_b32_e32 v42, 1
	s_and_saveexec_b32 s51, s3
	s_cbranch_execz .LBB332_97
; %bb.92:                               ;   in Loop: Header=BB332_13 Depth=1
	v_and_b32_sdwa v11, v28, v43 dst_sel:DWORD dst_unused:UNUSED_PAD src0_sel:DWORD src1_sel:BYTE_1
	v_mov_b32_e32 v42, 0x7f800001
	s_mov_b32 s52, exec_lo
	v_and_b32_e32 v44, 0x7f, v11
	v_cmpx_ne_u32_e32 0x7f, v44
	s_cbranch_execz .LBB332_96
; %bb.93:                               ;   in Loop: Header=BB332_13 Depth=1
	v_and_b32_e32 v11, 7, v11
	v_lshrrev_b32_e32 v42, 3, v44
	s_mov_b32 s53, exec_lo
	v_cmpx_gt_u32_e32 8, v44
; %bb.94:                               ;   in Loop: Header=BB332_13 Depth=1
	v_ffbh_u32_e32 v42, v11
	v_min_u32_e32 v42, 32, v42
	v_subrev_nc_u32_e32 v44, 28, v42
	v_sub_nc_u32_e32 v42, 29, v42
	v_lshlrev_b64 v[44:45], v44, v[11:12]
	v_and_b32_e32 v11, 7, v44
; %bb.95:                               ;   in Loop: Header=BB332_13 Depth=1
	s_or_b32 exec_lo, exec_lo, s53
	v_lshlrev_b32_e32 v43, 16, v43
	v_lshlrev_b32_e32 v11, 20, v11
	v_lshl_add_u32 v42, v42, 23, 0x3c000000
	v_and_b32_e32 v43, 0x80000000, v43
	v_or3_b32 v42, v11, v43, v42
.LBB332_96:                             ;   in Loop: Header=BB332_13 Depth=1
	s_or_b32 exec_lo, exec_lo, s52
.LBB332_97:                             ;   in Loop: Header=BB332_13 Depth=1
	s_or_b32 exec_lo, exec_lo, s51
.LBB332_98:                             ;   in Loop: Header=BB332_13 Depth=1
	s_or_b32 exec_lo, exec_lo, s50
	global_load_ushort v11, v[17:18], off offset:264
	v_mov_b32_e32 v44, 0
	v_mov_b32_e32 v43, 0
	s_waitcnt vmcnt(0)
	v_and_b32_e32 v45, 0xffff, v11
	v_cmp_ne_u16_sdwa s3, v11, v12 src0_sel:BYTE_0 src1_sel:DWORD
	s_and_saveexec_b32 s50, s3
	s_cbranch_execz .LBB332_106
; %bb.99:                               ;   in Loop: Header=BB332_13 Depth=1
	v_cmp_ne_u16_sdwa s3, v45, v27 src0_sel:BYTE_0 src1_sel:DWORD
	v_bfrev_b32_e32 v43, 1
	s_and_saveexec_b32 s51, s3
	s_cbranch_execz .LBB332_105
; %bb.100:                              ;   in Loop: Header=BB332_13 Depth=1
	v_and_b32_e32 v46, 0x7f, v45
	v_mov_b32_e32 v43, 0x7f800001
	s_mov_b32 s52, exec_lo
	v_cmpx_ne_u32_e32 0x7f, v46
	s_cbranch_execz .LBB332_104
; %bb.101:                              ;   in Loop: Header=BB332_13 Depth=1
	v_and_b32_e32 v11, 7, v45
	v_lshrrev_b32_e32 v43, 3, v46
	s_mov_b32 s53, exec_lo
	v_cmpx_gt_u32_e32 8, v46
; %bb.102:                              ;   in Loop: Header=BB332_13 Depth=1
	v_ffbh_u32_e32 v43, v11
	v_min_u32_e32 v43, 32, v43
	v_subrev_nc_u32_e32 v46, 28, v43
	v_sub_nc_u32_e32 v43, 29, v43
	v_lshlrev_b64 v[46:47], v46, v[11:12]
	v_and_b32_e32 v11, 7, v46
; %bb.103:                              ;   in Loop: Header=BB332_13 Depth=1
	s_or_b32 exec_lo, exec_lo, s53
	v_lshlrev_b32_e32 v46, 24, v45
	v_lshlrev_b32_e32 v11, 20, v11
	v_lshl_add_u32 v43, v43, 23, 0x3c000000
	v_and_b32_e32 v46, 0x80000000, v46
	v_or3_b32 v43, v11, v46, v43
.LBB332_104:                            ;   in Loop: Header=BB332_13 Depth=1
	s_or_b32 exec_lo, exec_lo, s52
.LBB332_105:                            ;   in Loop: Header=BB332_13 Depth=1
	s_or_b32 exec_lo, exec_lo, s51
.LBB332_106:                            ;   in Loop: Header=BB332_13 Depth=1
	s_or_b32 exec_lo, exec_lo, s50
	v_cmp_ne_u16_sdwa s3, v45, v12 src0_sel:BYTE_1 src1_sel:DWORD
	s_and_saveexec_b32 s50, s3
	s_cbranch_execz .LBB332_114
; %bb.107:                              ;   in Loop: Header=BB332_13 Depth=1
	v_cmp_ne_u16_sdwa s3, v45, v27 src0_sel:BYTE_1 src1_sel:DWORD
	v_bfrev_b32_e32 v44, 1
	s_and_saveexec_b32 s51, s3
	s_cbranch_execz .LBB332_113
; %bb.108:                              ;   in Loop: Header=BB332_13 Depth=1
	v_and_b32_sdwa v11, v28, v45 dst_sel:DWORD dst_unused:UNUSED_PAD src0_sel:DWORD src1_sel:BYTE_1
	v_mov_b32_e32 v44, 0x7f800001
	s_mov_b32 s52, exec_lo
	v_and_b32_e32 v46, 0x7f, v11
	v_cmpx_ne_u32_e32 0x7f, v46
	s_cbranch_execz .LBB332_112
; %bb.109:                              ;   in Loop: Header=BB332_13 Depth=1
	v_and_b32_e32 v11, 7, v11
	v_lshrrev_b32_e32 v44, 3, v46
	s_mov_b32 s53, exec_lo
	v_cmpx_gt_u32_e32 8, v46
; %bb.110:                              ;   in Loop: Header=BB332_13 Depth=1
	v_ffbh_u32_e32 v44, v11
	v_min_u32_e32 v44, 32, v44
	v_subrev_nc_u32_e32 v46, 28, v44
	v_sub_nc_u32_e32 v44, 29, v44
	v_lshlrev_b64 v[46:47], v46, v[11:12]
	v_and_b32_e32 v11, 7, v46
; %bb.111:                              ;   in Loop: Header=BB332_13 Depth=1
	s_or_b32 exec_lo, exec_lo, s53
	v_lshlrev_b32_e32 v45, 16, v45
	v_lshlrev_b32_e32 v11, 20, v11
	v_lshl_add_u32 v44, v44, 23, 0x3c000000
	v_and_b32_e32 v45, 0x80000000, v45
	v_or3_b32 v44, v11, v45, v44
.LBB332_112:                            ;   in Loop: Header=BB332_13 Depth=1
	s_or_b32 exec_lo, exec_lo, s52
.LBB332_113:                            ;   in Loop: Header=BB332_13 Depth=1
	s_or_b32 exec_lo, exec_lo, s51
.LBB332_114:                            ;   in Loop: Header=BB332_13 Depth=1
	s_or_b32 exec_lo, exec_lo, s50
	global_load_ushort v11, v[17:18], off offset:384
	v_mov_b32_e32 v46, 0
	v_mov_b32_e32 v45, 0
	s_waitcnt vmcnt(0)
	v_and_b32_e32 v47, 0xffff, v11
	v_cmp_ne_u16_sdwa s3, v11, v12 src0_sel:BYTE_0 src1_sel:DWORD
	s_and_saveexec_b32 s50, s3
	s_cbranch_execz .LBB332_122
; %bb.115:                              ;   in Loop: Header=BB332_13 Depth=1
	v_cmp_ne_u16_sdwa s3, v47, v27 src0_sel:BYTE_0 src1_sel:DWORD
	v_bfrev_b32_e32 v45, 1
	s_and_saveexec_b32 s51, s3
	s_cbranch_execz .LBB332_121
; %bb.116:                              ;   in Loop: Header=BB332_13 Depth=1
	v_and_b32_e32 v48, 0x7f, v47
	v_mov_b32_e32 v45, 0x7f800001
	s_mov_b32 s52, exec_lo
	v_cmpx_ne_u32_e32 0x7f, v48
	s_cbranch_execz .LBB332_120
; %bb.117:                              ;   in Loop: Header=BB332_13 Depth=1
	v_and_b32_e32 v11, 7, v47
	v_lshrrev_b32_e32 v45, 3, v48
	s_mov_b32 s53, exec_lo
	v_cmpx_gt_u32_e32 8, v48
; %bb.118:                              ;   in Loop: Header=BB332_13 Depth=1
	v_ffbh_u32_e32 v45, v11
	v_min_u32_e32 v45, 32, v45
	v_subrev_nc_u32_e32 v48, 28, v45
	v_sub_nc_u32_e32 v45, 29, v45
	v_lshlrev_b64 v[48:49], v48, v[11:12]
	v_and_b32_e32 v11, 7, v48
; %bb.119:                              ;   in Loop: Header=BB332_13 Depth=1
	s_or_b32 exec_lo, exec_lo, s53
	v_lshlrev_b32_e32 v48, 24, v47
	v_lshlrev_b32_e32 v11, 20, v11
	v_lshl_add_u32 v45, v45, 23, 0x3c000000
	v_and_b32_e32 v48, 0x80000000, v48
	v_or3_b32 v45, v11, v48, v45
.LBB332_120:                            ;   in Loop: Header=BB332_13 Depth=1
	s_or_b32 exec_lo, exec_lo, s52
.LBB332_121:                            ;   in Loop: Header=BB332_13 Depth=1
	s_or_b32 exec_lo, exec_lo, s51
.LBB332_122:                            ;   in Loop: Header=BB332_13 Depth=1
	s_or_b32 exec_lo, exec_lo, s50
	v_cmp_ne_u16_sdwa s3, v47, v12 src0_sel:BYTE_1 src1_sel:DWORD
	s_and_saveexec_b32 s50, s3
	s_cbranch_execz .LBB332_130
; %bb.123:                              ;   in Loop: Header=BB332_13 Depth=1
	v_cmp_ne_u16_sdwa s3, v47, v27 src0_sel:BYTE_1 src1_sel:DWORD
	v_bfrev_b32_e32 v46, 1
	s_and_saveexec_b32 s51, s3
	s_cbranch_execz .LBB332_129
; %bb.124:                              ;   in Loop: Header=BB332_13 Depth=1
	v_and_b32_sdwa v11, v28, v47 dst_sel:DWORD dst_unused:UNUSED_PAD src0_sel:DWORD src1_sel:BYTE_1
	v_mov_b32_e32 v46, 0x7f800001
	s_mov_b32 s52, exec_lo
	v_and_b32_e32 v48, 0x7f, v11
	v_cmpx_ne_u32_e32 0x7f, v48
	s_cbranch_execz .LBB332_128
; %bb.125:                              ;   in Loop: Header=BB332_13 Depth=1
	v_and_b32_e32 v11, 7, v11
	v_lshrrev_b32_e32 v46, 3, v48
	s_mov_b32 s53, exec_lo
	v_cmpx_gt_u32_e32 8, v48
; %bb.126:                              ;   in Loop: Header=BB332_13 Depth=1
	v_ffbh_u32_e32 v46, v11
	v_min_u32_e32 v46, 32, v46
	v_subrev_nc_u32_e32 v48, 28, v46
	v_sub_nc_u32_e32 v46, 29, v46
	v_lshlrev_b64 v[48:49], v48, v[11:12]
	v_and_b32_e32 v11, 7, v48
; %bb.127:                              ;   in Loop: Header=BB332_13 Depth=1
	s_or_b32 exec_lo, exec_lo, s53
	v_lshlrev_b32_e32 v47, 16, v47
	v_lshlrev_b32_e32 v11, 20, v11
	v_lshl_add_u32 v46, v46, 23, 0x3c000000
	v_and_b32_e32 v47, 0x80000000, v47
	v_or3_b32 v46, v11, v47, v46
.LBB332_128:                            ;   in Loop: Header=BB332_13 Depth=1
	s_or_b32 exec_lo, exec_lo, s52
.LBB332_129:                            ;   in Loop: Header=BB332_13 Depth=1
	s_or_b32 exec_lo, exec_lo, s51
.LBB332_130:                            ;   in Loop: Header=BB332_13 Depth=1
	s_or_b32 exec_lo, exec_lo, s50
	global_load_ushort v11, v[17:18], off offset:392
	v_mov_b32_e32 v17, 0
	v_mov_b32_e32 v47, 0
	s_waitcnt vmcnt(0)
	v_and_b32_e32 v18, 0xffff, v11
	v_cmp_ne_u16_sdwa s3, v11, v12 src0_sel:BYTE_0 src1_sel:DWORD
	s_and_saveexec_b32 s50, s3
	s_cbranch_execz .LBB332_138
; %bb.131:                              ;   in Loop: Header=BB332_13 Depth=1
	v_cmp_ne_u16_sdwa s3, v18, v27 src0_sel:BYTE_0 src1_sel:DWORD
	v_bfrev_b32_e32 v47, 1
	s_and_saveexec_b32 s51, s3
	s_cbranch_execz .LBB332_137
; %bb.132:                              ;   in Loop: Header=BB332_13 Depth=1
	v_and_b32_e32 v48, 0x7f, v18
	v_mov_b32_e32 v47, 0x7f800001
	s_mov_b32 s52, exec_lo
	v_cmpx_ne_u32_e32 0x7f, v48
	s_cbranch_execz .LBB332_136
; %bb.133:                              ;   in Loop: Header=BB332_13 Depth=1
	v_and_b32_e32 v11, 7, v18
	v_lshrrev_b32_e32 v47, 3, v48
	s_mov_b32 s53, exec_lo
	v_cmpx_gt_u32_e32 8, v48
; %bb.134:                              ;   in Loop: Header=BB332_13 Depth=1
	v_ffbh_u32_e32 v47, v11
	v_min_u32_e32 v47, 32, v47
	v_subrev_nc_u32_e32 v48, 28, v47
	v_sub_nc_u32_e32 v47, 29, v47
	v_lshlrev_b64 v[48:49], v48, v[11:12]
	v_and_b32_e32 v11, 7, v48
; %bb.135:                              ;   in Loop: Header=BB332_13 Depth=1
	s_or_b32 exec_lo, exec_lo, s53
	v_lshlrev_b32_e32 v48, 24, v18
	v_lshlrev_b32_e32 v11, 20, v11
	v_lshl_add_u32 v47, v47, 23, 0x3c000000
	v_and_b32_e32 v48, 0x80000000, v48
	v_or3_b32 v47, v11, v48, v47
.LBB332_136:                            ;   in Loop: Header=BB332_13 Depth=1
	s_or_b32 exec_lo, exec_lo, s52
.LBB332_137:                            ;   in Loop: Header=BB332_13 Depth=1
	s_or_b32 exec_lo, exec_lo, s51
.LBB332_138:                            ;   in Loop: Header=BB332_13 Depth=1
	s_or_b32 exec_lo, exec_lo, s50
	v_cmp_ne_u16_sdwa s3, v18, v12 src0_sel:BYTE_1 src1_sel:DWORD
	s_and_saveexec_b32 s50, s3
	s_cbranch_execz .LBB332_146
; %bb.139:                              ;   in Loop: Header=BB332_13 Depth=1
	v_cmp_ne_u16_sdwa s3, v18, v27 src0_sel:BYTE_1 src1_sel:DWORD
	v_bfrev_b32_e32 v17, 1
	s_and_saveexec_b32 s51, s3
	s_cbranch_execz .LBB332_145
; %bb.140:                              ;   in Loop: Header=BB332_13 Depth=1
	v_and_b32_sdwa v11, v28, v18 dst_sel:DWORD dst_unused:UNUSED_PAD src0_sel:DWORD src1_sel:BYTE_1
	v_mov_b32_e32 v17, 0x7f800001
	s_mov_b32 s52, exec_lo
	v_and_b32_e32 v48, 0x7f, v11
	v_cmpx_ne_u32_e32 0x7f, v48
	s_cbranch_execz .LBB332_144
; %bb.141:                              ;   in Loop: Header=BB332_13 Depth=1
	v_and_b32_e32 v11, 7, v11
	v_lshrrev_b32_e32 v17, 3, v48
	s_mov_b32 s53, exec_lo
	v_cmpx_gt_u32_e32 8, v48
; %bb.142:                              ;   in Loop: Header=BB332_13 Depth=1
	v_ffbh_u32_e32 v17, v11
	v_min_u32_e32 v17, 32, v17
	v_subrev_nc_u32_e32 v48, 28, v17
	v_sub_nc_u32_e32 v17, 29, v17
	v_lshlrev_b64 v[48:49], v48, v[11:12]
	v_and_b32_e32 v11, 7, v48
; %bb.143:                              ;   in Loop: Header=BB332_13 Depth=1
	s_or_b32 exec_lo, exec_lo, s53
	v_lshlrev_b32_e32 v18, 16, v18
	v_lshlrev_b32_e32 v11, 20, v11
	v_lshl_add_u32 v17, v17, 23, 0x3c000000
	v_and_b32_e32 v18, 0x80000000, v18
	v_or3_b32 v17, v11, v18, v17
.LBB332_144:                            ;   in Loop: Header=BB332_13 Depth=1
	s_or_b32 exec_lo, exec_lo, s52
.LBB332_145:                            ;   in Loop: Header=BB332_13 Depth=1
	s_or_b32 exec_lo, exec_lo, s51
.LBB332_146:                            ;   in Loop: Header=BB332_13 Depth=1
	s_or_b32 exec_lo, exec_lo, s50
	s_waitcnt lgkmcnt(0)
	v_mul_f32_e32 v11, s49, v47
	v_mul_f32_e32 v18, s49, v46
	;; [unrolled: 1-line block ×5, first 2 shown]
	v_bfe_u32 v46, v11, 16, 1
	v_or_b32_e32 v47, 0x400000, v11
	v_bfe_u32 v48, v18, 16, 1
	v_cmp_u_f32_e64 s3, v11, v11
	v_bfe_u32 v49, v45, 16, 1
	v_add3_u32 v46, v46, v11, 0x7fff
	v_or_b32_e32 v50, 0x400000, v18
	v_add3_u32 v48, v48, v18, 0x7fff
	v_or_b32_e32 v51, 0x400000, v45
	v_add3_u32 v49, v49, v45, 0x7fff
	v_cndmask_b32_e64 v11, v46, v47, s3
	v_cmp_u_f32_e64 s3, v18, v18
	v_bfe_u32 v46, v44, 16, 1
	v_bfe_u32 v47, v43, 16, 1
	v_mul_f32_e32 v42, s49, v42
	v_mul_f32_e32 v41, s49, v41
	v_cndmask_b32_e64 v18, v48, v50, s3
	v_cmp_u_f32_e64 s3, v45, v45
	v_add3_u32 v46, v46, v44, 0x7fff
	v_or_b32_e32 v48, 0x400000, v44
	v_add3_u32 v47, v47, v43, 0x7fff
	v_bfe_u32 v50, v42, 16, 1
	v_cndmask_b32_e64 v45, v49, v51, s3
	v_cmp_u_f32_e64 s3, v44, v44
	v_or_b32_e32 v49, 0x400000, v43
	v_mul_f32_e32 v40, s49, v40
	v_mul_f32_e32 v39, s49, v39
	;; [unrolled: 1-line block ×3, first 2 shown]
	v_cndmask_b32_e64 v44, v46, v48, s3
	v_cmp_u_f32_e64 s3, v43, v43
	v_bfe_u32 v46, v41, 16, 1
	v_or_b32_e32 v48, 0x400000, v42
	v_mul_f32_e32 v37, s49, v37
	v_mul_f32_e32 v36, s49, v36
	v_cndmask_b32_e64 v43, v47, v49, s3
	v_add3_u32 v47, v50, v42, 0x7fff
	v_cmp_u_f32_e64 s3, v42, v42
	v_add3_u32 v46, v46, v41, 0x7fff
	v_or_b32_e32 v49, 0x400000, v41
	v_bfe_u32 v50, v40, 16, 1
	v_mul_f32_e32 v35, s49, v35
	v_cndmask_b32_e64 v42, v47, v48, s3
	v_cmp_u_f32_e64 s3, v41, v41
	v_bfe_u32 v47, v39, 16, 1
	v_or_b32_e32 v48, 0x400000, v40
	v_mul_f32_e32 v34, s49, v34
	v_mul_f32_e32 v33, s49, v33
	v_cndmask_b32_e64 v41, v46, v49, s3
	v_add3_u32 v46, v50, v40, 0x7fff
	v_cmp_u_f32_e64 s3, v40, v40
	v_add3_u32 v47, v47, v39, 0x7fff
	v_or_b32_e32 v49, 0x400000, v39
	v_bfe_u32 v50, v38, 16, 1
	v_or_b32_e32 v51, 0x400000, v33
	v_cndmask_b32_e64 v40, v46, v48, s3
	v_cmp_u_f32_e64 s3, v39, v39
	v_bfe_u32 v46, v37, 16, 1
	v_or_b32_e32 v48, 0x400000, v38
	v_mul_f32_e32 v17, s49, v17
	v_cndmask_b32_e64 v39, v47, v49, s3
	v_add3_u32 v47, v50, v38, 0x7fff
	v_cmp_u_f32_e64 s3, v38, v38
	v_add3_u32 v46, v46, v37, 0x7fff
	v_or_b32_e32 v49, 0x400000, v37
	v_or_b32_e32 v50, 0x400000, v34
	v_cndmask_b32_e64 v38, v47, v48, s3
	v_bfe_u32 v47, v36, 16, 1
	v_cmp_u_f32_e64 s3, v37, v37
	v_bfe_u32 v48, v35, 16, 1
	v_cndmask_b32_e64 v37, v46, v49, s3
	v_add3_u32 v46, v47, v36, 0x7fff
	v_or_b32_e32 v47, 0x400000, v36
	v_cmp_u_f32_e64 s3, v36, v36
	v_bfe_u32 v49, v34, 16, 1
	v_cndmask_b32_e64 v36, v46, v47, s3
	v_add3_u32 v47, v48, v35, 0x7fff
	v_or_b32_e32 v48, 0x400000, v35
	v_cmp_u_f32_e64 s3, v35, v35
	v_bfe_u32 v46, v33, 16, 1
	v_add3_u32 v49, v49, v34, 0x7fff
	v_and_b32_e32 v36, 0xffff0000, v36
	v_cndmask_b32_e64 v35, v47, v48, s3
	v_cmp_u_f32_e64 s3, v34, v34
	v_add3_u32 v46, v46, v33, 0x7fff
	v_lshlrev_b32_e32 v47, 16, v6
	v_and_b32_e32 v6, 0xffff0000, v6
	v_and_b32_e32 v35, 0xffff0000, v35
	v_cndmask_b32_e64 v34, v49, v50, s3
	v_cmp_u_f32_e64 s3, v33, v33
	v_lshlrev_b32_e32 v48, 16, v7
	v_mul_f32_e32 v6, v6, v36
	v_mul_f32_e32 v35, v47, v35
	v_and_b32_e32 v34, 0xffff0000, v34
	v_cndmask_b32_e64 v33, v46, v51, s3
	v_lshlrev_b32_e32 v46, 16, v5
	v_and_b32_e32 v5, 0xffff0000, v5
	v_and_b32_e32 v7, 0xffff0000, v7
	v_lshlrev_b32_e32 v36, 16, v8
	v_and_b32_e32 v33, 0xffff0000, v33
	v_and_b32_e32 v8, 0xffff0000, v8
	v_fmac_f32_e32 v6, v5, v34
	v_and_b32_e32 v5, 0xffff0000, v37
	v_lshlrev_b32_e32 v47, 16, v1
	v_fmac_f32_e32 v35, v46, v33
	v_and_b32_e32 v33, 0xffff0000, v38
	v_and_b32_e32 v1, 0xffff0000, v1
	v_lshlrev_b32_e32 v34, 16, v2
	v_and_b32_e32 v2, 0xffff0000, v2
	v_fmac_f32_e32 v35, v48, v5
	v_fmac_f32_e32 v6, v7, v33
	v_and_b32_e32 v5, 0xffff0000, v39
	v_and_b32_e32 v7, 0xffff0000, v40
	v_cmp_u_f32_e64 s3, v17, v17
	v_lshlrev_b32_e32 v37, 16, v3
	v_and_b32_e32 v3, 0xffff0000, v3
	v_fmac_f32_e32 v35, v36, v5
	v_fmac_f32_e32 v6, v8, v7
	v_and_b32_e32 v5, 0xffff0000, v41
	v_and_b32_e32 v7, 0xffff0000, v42
	v_bfe_u32 v36, v17, 16, 1
	v_xor_b32_e32 v8, 2, v19
	v_lshlrev_b32_e32 v33, 16, v4
	v_fmac_f32_e32 v35, v47, v5
	v_fmac_f32_e32 v6, v1, v7
	v_and_b32_e32 v1, 0xffff0000, v43
	v_and_b32_e32 v5, 0xffff0000, v44
	v_add3_u32 v7, v36, v17, 0x7fff
	v_or_b32_e32 v36, 0x400000, v17
	v_and_b32_e32 v4, 0xffff0000, v4
	v_fmac_f32_e32 v35, v34, v1
	v_fmac_f32_e32 v6, v2, v5
	v_and_b32_e32 v1, 0xffff0000, v45
	v_and_b32_e32 v2, 0xffff0000, v18
	v_cndmask_b32_e64 v5, v7, v36, s3
	v_cmp_gt_i32_e64 s3, 32, v8
	v_fmac_f32_e32 v35, v37, v1
	v_fmac_f32_e32 v6, v3, v2
	v_and_b32_e32 v1, 0xffff0000, v11
	v_and_b32_e32 v2, 0xffff0000, v5
	v_cndmask_b32_e64 v3, v19, v8, s3
	v_fmac_f32_e32 v35, v33, v1
	v_fmac_f32_e32 v6, v4, v2
	v_lshlrev_b32_e32 v1, 2, v3
	v_xor_b32_e32 v3, 1, v19
	v_add_f32_e32 v2, v35, v6
	v_cmp_gt_i32_e64 s3, 32, v3
	ds_bpermute_b32 v1, v1, v2
	v_cndmask_b32_e64 v3, v19, v3, s3
	v_lshlrev_b32_e32 v3, 2, v3
	s_waitcnt lgkmcnt(0)
	v_add_f32_e32 v1, v2, v1
	ds_bpermute_b32 v2, v3, v1
	s_and_saveexec_b32 s49, vcc_lo
	s_cbranch_execz .LBB332_11
; %bb.147:                              ;   in Loop: Header=BB332_13 Depth=1
	v_add_nc_u32_e32 v3, v29, v25
	s_waitcnt lgkmcnt(0)
	v_add_f32_e32 v1, v1, v2
	v_cvt_f32_i32_e32 v3, v3
	v_mul_f32_e32 v3, s44, v3
	v_cndmask_b32_e64 v2, 0, v3, s2
	v_max_f32_e32 v3, v20, v20
	v_fmac_f32_e32 v2, s41, v1
	v_add_nc_u32_e32 v1, v21, v25
	v_max_f32_e32 v3, v3, v2
	v_cmp_gt_i32_e64 s3, s31, v1
	v_cndmask_b32_e64 v1, 0, v2, s3
	v_cndmask_b32_e64 v20, v20, v3, s3
	ds_write_b32 v30, v1
	s_branch .LBB332_11
.LBB332_148:
	s_or_b32 exec_lo, exec_lo, s47
.LBB332_149:
	s_or_b32 exec_lo, exec_lo, s45
	v_xor_b32_e32 v1, 16, v19
	v_xor_b32_e32 v3, 8, v19
	v_max_f32_e32 v5, v20, v20
	v_and_b32_e32 v24, 31, v0
	v_cmp_gt_i32_e32 vcc_lo, 32, v1
	v_cndmask_b32_e32 v1, v19, v1, vcc_lo
	v_cmp_gt_i32_e32 vcc_lo, 32, v3
	s_waitcnt lgkmcnt(0)
	v_lshlrev_b32_e32 v2, 2, v1
	v_cndmask_b32_e32 v3, v19, v3, vcc_lo
	ds_bpermute_b32 v1, v2, v20
	v_lshlrev_b32_e32 v4, 2, v3
	s_waitcnt lgkmcnt(0)
	v_max_f32_e32 v1, v1, v1
	v_max_f32_e32 v1, v5, v1
	v_xor_b32_e32 v5, 4, v19
	ds_bpermute_b32 v3, v4, v1
	v_cmp_gt_i32_e32 vcc_lo, 32, v5
	v_cndmask_b32_e32 v5, v19, v5, vcc_lo
	v_cmp_eq_u32_e32 vcc_lo, 0, v24
	v_lshlrev_b32_e32 v7, 2, v5
	v_lshlrev_b32_e32 v5, 2, v22
	s_waitcnt lgkmcnt(0)
	v_max_f32_e32 v3, v3, v3
	v_max_f32_e32 v1, v1, v3
	ds_bpermute_b32 v3, v7, v1
	s_and_saveexec_b32 s2, vcc_lo
	s_cbranch_execz .LBB332_151
; %bb.150:
	s_waitcnt lgkmcnt(0)
	v_max_f32_e32 v3, v3, v3
	v_max_f32_e32 v1, v1, v1
	;; [unrolled: 1-line block ×3, first 2 shown]
	ds_write_b32 v5, v1 offset:128
.LBB332_151:
	s_or_b32 exec_lo, exec_lo, s2
	v_cmp_gt_u32_e64 s2, 4, v24
	v_mov_b32_e32 v1, 0xff7fffff
	v_lshlrev_b32_e32 v6, 2, v24
	s_waitcnt lgkmcnt(0)
	s_barrier
	buffer_gl0_inv
	s_and_saveexec_b32 s3, s2
; %bb.152:
	ds_read_b32 v1, v6 offset:128
; %bb.153:
	s_or_b32 exec_lo, exec_lo, s3
	v_xor_b32_e32 v3, 2, v19
	v_xor_b32_e32 v11, 1, v19
	v_mov_b32_e32 v12, 0
	v_cmp_gt_i32_e64 s3, 32, v3
	v_cndmask_b32_e64 v3, v19, v3, s3
	v_cmp_gt_i32_e64 s3, 32, v11
	v_lshlrev_b32_e32 v8, 2, v3
	v_cndmask_b32_e64 v11, v19, v11, s3
	s_sub_i32 s3, s20, s16
	s_lshl_b32 s3, s3, 3
	s_waitcnt lgkmcnt(0)
	ds_bpermute_b32 v3, v8, v1
	v_max_f32_e32 v1, v1, v1
	v_lshlrev_b32_e32 v11, 2, v11
	s_add_i32 s3, s3, s42
	s_min_i32 s3, s3, s31
	s_sub_i32 s5, s3, s42
	v_cmp_gt_i32_e64 s3, s5, v0
	s_waitcnt lgkmcnt(0)
	v_max_f32_e32 v3, v3, v3
	v_max_f32_e32 v1, v1, v3
	ds_bpermute_b32 v3, v11, v1
	s_waitcnt lgkmcnt(0)
	v_max_f32_e32 v3, v3, v3
	v_max_f32_e32 v1, v1, v3
	v_lshl_add_u32 v3, v0, 2, 0xa0
	ds_bpermute_b32 v1, v12, v1
	s_and_saveexec_b32 s12, s3
	s_cbranch_execz .LBB332_157
; %bb.154:
	v_lshl_add_u32 v13, v0, 2, 0xa0
	v_mov_b32_e32 v12, 0
	v_mov_b32_e32 v14, v0
	s_mov_b32 s13, 0
	.p2align	6
.LBB332_155:                            ; =>This Inner Loop Header: Depth=1
	ds_read_b32 v15, v13
	v_add_nc_u32_e32 v14, 0x80, v14
	v_cmp_le_i32_e64 s4, s5, v14
	s_or_b32 s13, s4, s13
	s_waitcnt lgkmcnt(0)
	v_sub_f32_e32 v15, v15, v1
	v_mul_f32_e32 v15, 0x3fb8aa3b, v15
	v_exp_f32_e32 v15, v15
	ds_write_b32 v13, v15
	v_add_f32_e32 v12, v12, v15
	v_add_nc_u32_e32 v13, 0x200, v13
	s_andn2_b32 exec_lo, exec_lo, s13
	s_cbranch_execnz .LBB332_155
; %bb.156:
	s_or_b32 exec_lo, exec_lo, s13
.LBB332_157:
	s_or_b32 exec_lo, exec_lo, s12
	ds_bpermute_b32 v2, v2, v12
	s_waitcnt lgkmcnt(0)
	v_add_f32_e32 v2, v12, v2
	ds_bpermute_b32 v4, v4, v2
	s_waitcnt lgkmcnt(0)
	v_add_f32_e32 v2, v2, v4
	;; [unrolled: 3-line block ×5, first 2 shown]
	s_and_saveexec_b32 s4, vcc_lo
; %bb.158:
	ds_write_b32 v5, v2 offset:144
; %bb.159:
	s_or_b32 exec_lo, exec_lo, s4
	s_waitcnt lgkmcnt(0)
	s_barrier
	buffer_gl0_inv
	s_and_saveexec_b32 s4, s2
; %bb.160:
	ds_read_b32 v2, v6 offset:144
; %bb.161:
	s_or_b32 exec_lo, exec_lo, s4
	s_waitcnt lgkmcnt(0)
	ds_bpermute_b32 v4, v8, v2
	s_waitcnt lgkmcnt(0)
	v_add_f32_e32 v2, v2, v4
	ds_bpermute_b32 v4, v11, v2
	s_waitcnt lgkmcnt(0)
	v_add_f32_e32 v2, v2, v4
	v_mov_b32_e32 v4, 0
	ds_bpermute_b32 v2, v4, v2
	s_and_saveexec_b32 s2, s3
	s_cbranch_execz .LBB332_164
; %bb.162:
	s_waitcnt lgkmcnt(0)
	v_add_f32_e32 v4, 0x358637bd, v2
	s_mov_b32 s3, 0
	v_div_scale_f32 v5, null, v4, v4, 1.0
	v_div_scale_f32 v8, vcc_lo, 1.0, v4, 1.0
	v_rcp_f32_e32 v6, v5
	v_fma_f32 v7, -v5, v6, 1.0
	v_fmac_f32_e32 v6, v7, v6
	v_mul_f32_e32 v7, v8, v6
	v_fma_f32 v11, -v5, v7, v8
	v_fmac_f32_e32 v7, v11, v6
	v_fma_f32 v5, -v5, v7, v8
	v_div_fmas_f32 v5, v5, v6, v7
	v_div_fixup_f32 v4, v5, v4, 1.0
	v_mov_b32_e32 v5, v0
.LBB332_163:                            ; =>This Inner Loop Header: Depth=1
	ds_read_b32 v6, v3
	v_add_nc_u32_e32 v5, 0x80, v5
	v_cmp_le_i32_e32 vcc_lo, s5, v5
	s_or_b32 s3, vcc_lo, s3
	s_waitcnt lgkmcnt(0)
	v_mul_f32_e32 v6, v4, v6
	ds_write_b32 v3, v6
	v_add_nc_u32_e32 v3, 0x200, v3
	s_andn2_b32 exec_lo, exec_lo, s3
	s_cbranch_execnz .LBB332_163
.LBB332_164:
	s_or_b32 exec_lo, exec_lo, s2
	s_mul_i32 s2, s7, s30
	s_mov_b32 s4, exec_lo
	s_mul_i32 s2, s2, s9
	s_waitcnt lgkmcnt(0)
	s_barrier
	buffer_gl0_inv
	v_cmpx_eq_u32_e32 0, v0
	s_cbranch_execz .LBB332_166
; %bb.165:
	s_ashr_i32 s3, s2, 31
	s_mul_i32 s44, s7, s6
	s_lshl_b64 s[12:13], s[2:3], 2
	v_mov_b32_e32 v3, 0
	s_add_u32 s3, s26, s12
	s_addc_u32 s5, s27, s13
	s_ashr_i32 s45, s44, 31
	s_lshl_b64 s[26:27], s[44:45], 2
	s_add_u32 s3, s3, s26
	s_addc_u32 s5, s5, s27
	s_ashr_i32 s9, s8, 31
	s_lshl_b64 s[8:9], s[8:9], 2
	s_add_u32 s44, s3, s8
	s_addc_u32 s45, s5, s9
	s_add_u32 s3, s24, s12
	s_addc_u32 s5, s25, s13
	;; [unrolled: 2-line block ×4, first 2 shown]
	global_store_dword v3, v1, s[44:45]
	global_store_dword v3, v2, s[8:9]
.LBB332_166:
	s_or_b32 exec_lo, exec_lo, s4
	v_mov_b32_e32 v26, 0
	v_mov_b32_e32 v25, 0
	s_and_saveexec_b32 s3, s1
	s_cbranch_execz .LBB332_296
; %bb.167:
	s_sub_i32 s6, s43, s21
	s_ashr_i32 s1, s18, 31
	s_add_u32 s12, s38, s18
	s_addc_u32 s1, s39, s1
	s_abs_i32 s8, s22
	v_lshlrev_b32_e32 v3, 3, v24
	v_cvt_f32_u32_e32 v1, s8
	s_sub_i32 s4, 0, s8
	s_add_i32 s40, s40, -1
	v_mov_b32_e32 v11, 0
	v_add_co_u32 v12, s12, s12, v3
	v_rcp_iflag_f32_e32 v1, v1
	v_add_co_ci_u32_e64 v13, null, s1, 0, s12
	v_lshl_add_u32 v27, v22, 5, 0xa0
	v_mov_b32_e32 v28, 0x80
	v_mov_b32_e32 v29, 0xffff
	;; [unrolled: 1-line block ×6, first 2 shown]
	v_mul_f32_e32 v1, 0x4f7ffffe, v1
	v_mov_b32_e32 v26, 0
	s_mov_b32 s9, s17
	s_mov_b32 s12, 0
	v_cvt_u32_f32_e32 v4, v1
	v_lshlrev_b64 v[1:2], 2, v[9:10]
	v_mul_lo_u32 v5, s4, v4
	s_lshl_b64 s[4:5], s[36:37], 2
	s_add_u32 s1, s34, s4
	s_addc_u32 s4, s35, s5
	v_add_co_u32 v14, vcc_lo, s1, v1
	v_add_co_ci_u32_e64 v15, null, s4, v2, vcc_lo
	v_mul_hi_u32 v5, v4, v5
	s_mov_b32 s4, -1
	s_mov_b32 s5, 0xffffff
	v_add_nc_u32_e32 v33, v4, v5
	s_branch .LBB332_170
.LBB332_168:                            ;   in Loop: Header=BB332_170 Depth=1
	s_or_b32 exec_lo, exec_lo, s1
	v_bfe_u32 v40, v5, 16, 1
	v_or_b32_e32 v41, 0x400000, v5
	v_bfe_u32 v42, v6, 16, 1
	v_cmp_u_f32_e32 vcc_lo, v5, v5
	v_bfe_u32 v43, v7, 16, 1
	v_add3_u32 v40, v40, v5, 0x7fff
	v_or_b32_e32 v44, 0x400000, v6
	v_add3_u32 v42, v42, v6, 0x7fff
	v_or_b32_e32 v45, 0x400000, v7
	v_add3_u32 v43, v43, v7, 0x7fff
	v_cndmask_b32_e32 v5, v40, v41, vcc_lo
	v_cmp_u_f32_e32 vcc_lo, v6, v6
	v_bfe_u32 v40, v8, 16, 1
	v_bfe_u32 v41, v1, 16, 1
	v_lshlrev_b32_e32 v39, 16, v39
	v_and_b32_e32 v5, 0xffff0000, v5
	v_cndmask_b32_e32 v6, v42, v44, vcc_lo
	v_cmp_u_f32_e32 vcc_lo, v7, v7
	v_add3_u32 v40, v40, v8, 0x7fff
	v_or_b32_e32 v42, 0x400000, v8
	v_add3_u32 v41, v41, v1, 0x7fff
	v_bfe_u32 v44, v2, 16, 1
	v_cndmask_b32_e32 v7, v43, v45, vcc_lo
	v_cmp_u_f32_e32 vcc_lo, v8, v8
	v_or_b32_e32 v43, 0x400000, v1
	v_mul_f32_e32 v39, v5, v39
	v_and_b32_e32 v6, 0xffff0000, v6
	v_lshlrev_b32_e32 v38, 16, v38
	v_cndmask_b32_e32 v8, v40, v42, vcc_lo
	v_cmp_u_f32_e32 vcc_lo, v1, v1
	v_add3_u32 v40, v44, v2, 0x7fff
	v_bfe_u32 v42, v3, 16, 1
	v_mul_f32_e32 v38, v6, v38
	v_and_b32_e32 v7, 0xffff0000, v7
	v_cndmask_b32_e32 v1, v41, v43, vcc_lo
	v_or_b32_e32 v41, 0x400000, v2
	v_cmp_u_f32_e32 vcc_lo, v2, v2
	v_lshlrev_b32_e32 v37, 16, v37
	v_and_b32_e32 v8, 0xffff0000, v8
	v_lshlrev_b32_e32 v35, 16, v35
	v_and_b32_e32 v1, 0xffff0000, v1
	v_cndmask_b32_e32 v2, v40, v41, vcc_lo
	v_add3_u32 v40, v42, v3, 0x7fff
	v_or_b32_e32 v41, 0x400000, v3
	v_bfe_u32 v42, v4, 16, 1
	v_cmp_u_f32_e32 vcc_lo, v3, v3
	v_mul_f32_e32 v37, v7, v37
	v_mul_f32_e32 v35, v8, v35
	v_lshlrev_b32_e32 v21, 16, v21
	v_and_b32_e32 v2, 0xffff0000, v2
	v_cndmask_b32_e32 v3, v40, v41, vcc_lo
	v_add3_u32 v40, v42, v4, 0x7fff
	v_or_b32_e32 v41, 0x400000, v4
	v_bfe_u32 v42, v39, 16, 1
	v_cmp_u_f32_e32 vcc_lo, v4, v4
	v_or_b32_e32 v43, 0x400000, v37
	v_bfe_u32 v44, v35, 16, 1
	v_mul_f32_e32 v21, v1, v21
	v_lshlrev_b32_e32 v20, 16, v20
	v_cndmask_b32_e32 v4, v40, v41, vcc_lo
	v_add3_u32 v40, v42, v39, 0x7fff
	v_or_b32_e32 v41, 0x400000, v39
	v_bfe_u32 v42, v38, 16, 1
	v_cmp_u_f32_e32 vcc_lo, v39, v39
	v_mul_f32_e32 v20, v2, v20
	v_and_b32_e32 v3, 0xffff0000, v3
	v_lshlrev_b32_e32 v36, 16, v36
	v_and_b32_e32 v4, 0xffff0000, v4
	v_cndmask_b32_e32 v39, v40, v41, vcc_lo
	v_add3_u32 v40, v42, v38, 0x7fff
	v_bfe_u32 v41, v37, 16, 1
	v_or_b32_e32 v42, 0x400000, v38
	v_cmp_u_f32_e32 vcc_lo, v38, v38
	v_mul_f32_e32 v36, v3, v36
	v_lshlrev_b32_e32 v34, 16, v34
	v_add3_u32 v41, v41, v37, 0x7fff
	v_and_b32_e32 v39, 0xffff0000, v39
	v_cndmask_b32_e32 v38, v40, v42, vcc_lo
	v_cmp_u_f32_e32 vcc_lo, v37, v37
	v_add3_u32 v40, v44, v35, 0x7fff
	v_or_b32_e32 v42, 0x400000, v35
	v_mul_f32_e32 v34, v4, v34
	v_and_b32_e32 v38, 0xffff0000, v38
	v_cndmask_b32_e32 v37, v41, v43, vcc_lo
	v_bfe_u32 v41, v21, 16, 1
	v_cmp_u_f32_e32 vcc_lo, v35, v35
	v_or_b32_e32 v43, 0x400000, v21
	v_add_f32_e32 v38, v39, v38
	v_and_b32_e32 v37, 0xffff0000, v37
	v_add3_u32 v41, v41, v21, 0x7fff
	v_cndmask_b32_e32 v35, v40, v42, vcc_lo
	v_bfe_u32 v40, v20, 16, 1
	v_cmp_u_f32_e32 vcc_lo, v21, v21
	v_or_b32_e32 v42, 0x400000, v20
	v_lshlrev_b32_e32 v17, 16, v17
	v_and_b32_e32 v35, 0xffff0000, v35
	v_add3_u32 v40, v40, v20, 0x7fff
	v_cndmask_b32_e32 v21, v41, v43, vcc_lo
	v_cmp_u_f32_e32 vcc_lo, v20, v20
	v_bfe_u32 v41, v36, 16, 1
	v_or_b32_e32 v43, 0x400000, v36
	v_add_f32_e32 v35, v37, v35
	v_and_b32_e32 v21, 0xffff0000, v21
	v_cndmask_b32_e32 v20, v40, v42, vcc_lo
	v_lshlrev_b32_e32 v42, 16, v49
	v_add3_u32 v41, v41, v36, 0x7fff
	v_cmp_u_f32_e32 vcc_lo, v36, v36
	v_bfe_u32 v40, v34, 16, 1
	v_and_b32_e32 v20, 0xffff0000, v20
	v_mul_f32_e32 v5, v5, v42
	v_lshlrev_b32_e32 v37, 16, v48
	v_cndmask_b32_e32 v36, v41, v43, vcc_lo
	v_add3_u32 v40, v40, v34, 0x7fff
	v_or_b32_e32 v41, 0x400000, v34
	v_cmp_u_f32_e32 vcc_lo, v34, v34
	v_add_f32_e32 v35, v35, v38
	v_bfe_u32 v38, v5, 16, 1
	v_add_f32_e32 v20, v21, v20
	v_mul_f32_e32 v6, v6, v37
	v_lshlrev_b32_e32 v21, 16, v47
	v_cndmask_b32_e32 v34, v40, v41, vcc_lo
	v_add3_u32 v37, v38, v5, 0x7fff
	v_or_b32_e32 v38, 0x400000, v5
	v_bfe_u32 v39, v6, 16, 1
	v_mul_f32_e32 v7, v7, v21
	v_cmp_u_f32_e32 vcc_lo, v5, v5
	v_mul_f32_e32 v8, v8, v17
	v_lshlrev_b32_e32 v16, 16, v16
	v_add3_u32 v21, v39, v6, 0x7fff
	v_lshlrev_b32_e32 v10, 16, v10
	v_cndmask_b32_e32 v5, v37, v38, vcc_lo
	v_or_b32_e32 v37, 0x400000, v6
	v_bfe_u32 v38, v7, 16, 1
	v_cmp_u_f32_e32 vcc_lo, v6, v6
	v_mul_f32_e32 v1, v1, v16
	v_mul_f32_e32 v2, v2, v10
	v_lshlrev_b32_e32 v10, 16, v19
	v_add3_u32 v17, v38, v7, 0x7fff
	v_cndmask_b32_e32 v6, v21, v37, vcc_lo
	v_or_b32_e32 v21, 0x400000, v7
	v_bfe_u32 v37, v8, 16, 1
	v_cmp_u_f32_e32 vcc_lo, v7, v7
	v_lshlrev_b32_e32 v18, 16, v18
	v_mul_f32_e32 v3, v3, v10
	v_or_b32_e32 v10, 0x400000, v1
	v_add3_u32 v16, v37, v8, 0x7fff
	v_cndmask_b32_e32 v7, v17, v21, vcc_lo
	v_or_b32_e32 v17, 0x400000, v8
	v_bfe_u32 v21, v1, 16, 1
	v_cmp_u_f32_e32 vcc_lo, v8, v8
	v_mul_f32_e32 v4, v4, v18
	v_or_b32_e32 v18, 0x400000, v2
	v_bfe_u32 v19, v3, 16, 1
	v_and_b32_e32 v6, 0xffff0000, v6
	v_cndmask_b32_e32 v8, v16, v17, vcc_lo
	v_bfe_u32 v16, v2, 16, 1
	v_add3_u32 v17, v21, v1, 0x7fff
	v_cmp_u_f32_e32 vcc_lo, v1, v1
	v_bfe_u32 v21, v4, 16, 1
	v_and_b32_e32 v5, 0xffff0000, v5
	v_add3_u32 v16, v16, v2, 0x7fff
	v_and_b32_e32 v8, 0xffff0000, v8
	v_cndmask_b32_e32 v1, v17, v10, vcc_lo
	v_cmp_u_f32_e32 vcc_lo, v2, v2
	v_or_b32_e32 v17, 0x400000, v4
	v_add3_u32 v10, v19, v3, 0x7fff
	v_and_b32_e32 v7, 0xffff0000, v7
	v_add_f32_e32 v5, v5, v6
	v_cndmask_b32_e32 v2, v16, v18, vcc_lo
	v_add3_u32 v16, v21, v4, 0x7fff
	v_cmp_u_f32_e32 vcc_lo, v4, v4
	v_or_b32_e32 v18, 0x400000, v3
	v_add_f32_e32 v6, v7, v8
	v_and_b32_e32 v2, 0xffff0000, v2
	v_and_b32_e32 v1, 0xffff0000, v1
	v_cndmask_b32_e32 v4, v16, v17, vcc_lo
	v_cmp_u_f32_e32 vcc_lo, v3, v3
	v_and_b32_e32 v34, 0xffff0000, v34
	v_and_b32_e32 v7, 0xffff0000, v36
	v_add_f32_e32 v5, v6, v5
	v_add_f32_e32 v1, v1, v2
	v_cndmask_b32_e32 v3, v10, v18, vcc_lo
	v_and_b32_e32 v2, 0xffff0000, v4
	v_add_f32_e32 v4, v20, v35
	v_add_f32_e32 v6, v7, v34
	;; [unrolled: 1-line block ×3, first 2 shown]
	v_and_b32_e32 v3, 0xffff0000, v3
	v_add_f32_e32 v2, v3, v2
	v_add_f32_e32 v3, v6, v4
	;; [unrolled: 1-line block ×5, first 2 shown]
.LBB332_169:                            ;   in Loop: Header=BB332_170 Depth=1
	s_or_b32 exec_lo, exec_lo, s13
	v_add_nc_u32_e32 v9, 4, v9
	v_add_co_u32 v14, s1, v14, 16
	v_add_co_ci_u32_e64 v15, null, 0, v15, s1
	v_cmp_le_i32_e32 vcc_lo, s20, v9
	v_add_nc_u32_e32 v23, 32, v23
	v_add_nc_u32_e32 v27, 0x80, v27
	s_or_b32 s12, vcc_lo, s12
	s_andn2_b32 exec_lo, exec_lo, s12
	s_cbranch_execz .LBB332_295
.LBB332_170:                            ; =>This Inner Loop Header: Depth=1
	v_sub_nc_u32_e32 v1, 0, v23
	v_max_i32_e32 v1, v23, v1
	v_mul_hi_u32 v2, v1, s19
	v_mul_lo_u32 v3, v2, s11
	v_sub_nc_u32_e32 v1, v1, v3
	v_add_nc_u32_e32 v3, 1, v2
	v_subrev_nc_u32_e32 v4, s11, v1
	v_cmp_le_u32_e32 vcc_lo, s11, v1
	v_cndmask_b32_e32 v2, v2, v3, vcc_lo
	v_cndmask_b32_e32 v1, v1, v4, vcc_lo
	v_ashrrev_i32_e32 v3, 31, v23
	v_add_nc_u32_e32 v4, 1, v2
	v_cmp_le_u32_e32 vcc_lo, s11, v1
	v_xor_b32_e32 v3, s23, v3
	v_cndmask_b32_e32 v1, v2, v4, vcc_lo
	v_xor_b32_e32 v1, v1, v3
	v_sub_nc_u32_e32 v1, v1, v3
	v_add_nc_u32_e32 v2, s33, v1
	v_cmp_lt_i32_e64 s1, s6, v1
	v_sub_nc_u32_e32 v3, 0, v2
	v_max_i32_e32 v3, v2, v3
	v_ashrrev_i32_e32 v2, 31, v2
	v_mul_hi_u32 v4, v3, v33
	v_mul_lo_u32 v4, v4, s8
	v_sub_nc_u32_e32 v3, v3, v4
	v_subrev_nc_u32_e32 v4, s8, v3
	v_cmp_le_u32_e32 vcc_lo, s8, v3
	v_cndmask_b32_e32 v3, v3, v4, vcc_lo
	v_subrev_nc_u32_e32 v4, s8, v3
	v_cmp_le_u32_e32 vcc_lo, s8, v3
	v_cndmask_b32_e32 v3, v3, v4, vcc_lo
	v_xor_b32_e32 v3, v3, v2
	v_sub_nc_u32_e32 v2, v3, v2
	v_cmp_eq_u32_e32 vcc_lo, 0, v2
	s_or_b32 s1, vcc_lo, s1
	s_and_saveexec_b32 s13, s1
	s_cbranch_execz .LBB332_169
; %bb.171:                              ;   in Loop: Header=BB332_170 Depth=1
	global_load_dword v1, v[14:15], off
	v_mov_b32_e32 v35, 0
	v_mov_b32_e32 v34, 0
	s_waitcnt vmcnt(0)
	v_mad_i64_i32 v[16:17], null, v1, s9, v[12:13]
	global_load_dwordx2 v[18:19], v[16:17], off
	ds_read2_b64 v[5:8], v27 offset1:1
	ds_read2_b64 v[1:4], v27 offset0:2 offset1:3
	s_load_dword s17, s[14:15], 0x0
	s_waitcnt vmcnt(0)
	v_cmp_ne_u16_sdwa s18, v18, v11 src0_sel:BYTE_0 src1_sel:DWORD
	s_and_saveexec_b32 s1, s18
	s_cbranch_execz .LBB332_177
; %bb.172:                              ;   in Loop: Header=BB332_170 Depth=1
	v_cmp_ne_u16_sdwa s21, v18, v28 src0_sel:BYTE_0 src1_sel:DWORD
	v_bfrev_b32_e32 v34, 1
	s_and_saveexec_b32 s18, s21
	s_cbranch_execz .LBB332_176
; %bb.173:                              ;   in Loop: Header=BB332_170 Depth=1
	v_and_b32_e32 v10, 0x7f, v18
	v_mov_b32_e32 v34, 0x7f800001
	s_mov_b32 s21, exec_lo
	v_cmpx_ne_u32_e32 0x7f, v10
	s_cbranch_execz .LBB332_175
; %bb.174:                              ;   in Loop: Header=BB332_170 Depth=1
	v_and_b32_e32 v20, 7, v18
	v_lshrrev_b32_e32 v21, 3, v10
	v_cmp_gt_u32_e32 vcc_lo, 8, v10
	v_ffbh_u32_e32 v20, v20
	v_min_u32_e32 v20, 32, v20
	v_subrev_nc_u32_e32 v34, 28, v20
	v_sub_nc_u32_e32 v20, 29, v20
	v_cndmask_b32_e32 v10, v21, v20, vcc_lo
	v_cndmask_b32_e32 v20, 0, v34, vcc_lo
	v_lshl_add_u32 v10, v10, 23, 0x3c000000
	v_lshlrev_b64 v[20:21], v20, v[18:19]
	v_lshlrev_b32_e32 v21, 24, v18
	v_lshlrev_b32_e32 v20, 20, v20
	v_and_b32_e32 v21, 0x80000000, v21
	v_and_b32_e32 v20, 0x700000, v20
	v_or3_b32 v34, v20, v21, v10
.LBB332_175:                            ;   in Loop: Header=BB332_170 Depth=1
	s_or_b32 exec_lo, exec_lo, s21
.LBB332_176:                            ;   in Loop: Header=BB332_170 Depth=1
	s_or_b32 exec_lo, exec_lo, s18
.LBB332_177:                            ;   in Loop: Header=BB332_170 Depth=1
	s_or_b32 exec_lo, exec_lo, s1
	v_cmp_ne_u16_sdwa s18, v18, v11 src0_sel:BYTE_1 src1_sel:DWORD
	s_and_saveexec_b32 s1, s18
	s_cbranch_execz .LBB332_185
; %bb.178:                              ;   in Loop: Header=BB332_170 Depth=1
	v_cmp_ne_u16_sdwa s21, v18, v28 src0_sel:BYTE_1 src1_sel:DWORD
	v_bfrev_b32_e32 v35, 1
	s_and_saveexec_b32 s18, s21
	s_cbranch_execz .LBB332_184
; %bb.179:                              ;   in Loop: Header=BB332_170 Depth=1
	v_and_b32_sdwa v10, v29, v18 dst_sel:DWORD dst_unused:UNUSED_PAD src0_sel:DWORD src1_sel:BYTE_1
	v_mov_b32_e32 v35, 0x7f800001
	s_mov_b32 s21, exec_lo
	v_and_b32_e32 v21, 0x7f, v10
	v_cmpx_ne_u32_e32 0x7f, v21
	s_cbranch_execz .LBB332_183
; %bb.180:                              ;   in Loop: Header=BB332_170 Depth=1
	v_and_b32_e32 v10, 7, v10
	v_lshrrev_b32_e32 v20, 3, v21
	s_mov_b32 s22, exec_lo
	v_cmpx_gt_u32_e32 8, v21
; %bb.181:                              ;   in Loop: Header=BB332_170 Depth=1
	v_ffbh_u32_e32 v20, v10
	v_min_u32_e32 v20, 32, v20
	v_subrev_nc_u32_e32 v21, 28, v20
	v_sub_nc_u32_e32 v20, 29, v20
	v_lshlrev_b64 v[35:36], v21, v[10:11]
	v_and_b32_e32 v10, 7, v35
; %bb.182:                              ;   in Loop: Header=BB332_170 Depth=1
	s_or_b32 exec_lo, exec_lo, s22
	v_lshlrev_b32_e32 v21, 16, v18
	v_lshlrev_b32_e32 v10, 20, v10
	v_lshl_add_u32 v20, v20, 23, 0x3c000000
	v_and_b32_e32 v21, 0x80000000, v21
	v_or3_b32 v35, v10, v21, v20
.LBB332_183:                            ;   in Loop: Header=BB332_170 Depth=1
	s_or_b32 exec_lo, exec_lo, s21
.LBB332_184:                            ;   in Loop: Header=BB332_170 Depth=1
	s_or_b32 exec_lo, exec_lo, s18
.LBB332_185:                            ;   in Loop: Header=BB332_170 Depth=1
	s_or_b32 exec_lo, exec_lo, s1
	v_and_b32_sdwa v10, v18, v30 dst_sel:DWORD dst_unused:UNUSED_PAD src0_sel:WORD_1 src1_sel:DWORD
	v_mov_b32_e32 v37, 0
	v_mov_b32_e32 v36, 0
	s_mov_b32 s1, exec_lo
	v_cmpx_ne_u16_e32 0, v10
	s_cbranch_execz .LBB332_193
; %bb.186:                              ;   in Loop: Header=BB332_170 Depth=1
	v_bfrev_b32_e32 v36, 1
	s_mov_b32 s18, exec_lo
	v_cmpx_ne_u16_e32 0x80, v10
	s_cbranch_execz .LBB332_192
; %bb.187:                              ;   in Loop: Header=BB332_170 Depth=1
	v_bfe_u32 v21, v18, 16, 7
	v_mov_b32_e32 v36, 0x7f800001
	s_mov_b32 s21, exec_lo
	v_cmpx_ne_u32_e32 0x7f, v21
	s_cbranch_execz .LBB332_191
; %bb.188:                              ;   in Loop: Header=BB332_170 Depth=1
	v_and_b32_sdwa v10, v18, v31 dst_sel:DWORD dst_unused:UNUSED_PAD src0_sel:WORD_1 src1_sel:DWORD
	v_lshrrev_b32_e32 v20, 3, v21
	s_mov_b32 s22, exec_lo
	v_cmpx_gt_u32_e32 8, v21
; %bb.189:                              ;   in Loop: Header=BB332_170 Depth=1
	v_ffbh_u32_e32 v20, v10
	v_min_u32_e32 v20, 32, v20
	v_subrev_nc_u32_e32 v21, 28, v20
	v_sub_nc_u32_e32 v20, 29, v20
	v_lshlrev_b64 v[38:39], v21, v[10:11]
	v_and_b32_e32 v10, 7, v38
; %bb.190:                              ;   in Loop: Header=BB332_170 Depth=1
	s_or_b32 exec_lo, exec_lo, s22
	v_lshlrev_b32_sdwa v21, v32, v18 dst_sel:DWORD dst_unused:UNUSED_PAD src0_sel:DWORD src1_sel:WORD_1
	v_lshlrev_b32_e32 v10, 20, v10
	v_lshl_add_u32 v20, v20, 23, 0x3c000000
	v_and_b32_e32 v21, 0x80000000, v21
	v_or3_b32 v36, v10, v21, v20
.LBB332_191:                            ;   in Loop: Header=BB332_170 Depth=1
	s_or_b32 exec_lo, exec_lo, s21
.LBB332_192:                            ;   in Loop: Header=BB332_170 Depth=1
	s_or_b32 exec_lo, exec_lo, s18
.LBB332_193:                            ;   in Loop: Header=BB332_170 Depth=1
	s_or_b32 exec_lo, exec_lo, s1
	s_mov_b32 s1, exec_lo
	v_cmpx_lt_u32_e32 0xffffff, v18
	s_cbranch_execz .LBB332_201
; %bb.194:                              ;   in Loop: Header=BB332_170 Depth=1
	v_cmp_ne_u32_sdwa s21, v18, v28 src0_sel:BYTE_3 src1_sel:DWORD
	v_bfrev_b32_e32 v37, 1
	s_and_saveexec_b32 s18, s21
	s_cbranch_execz .LBB332_200
; %bb.195:                              ;   in Loop: Header=BB332_170 Depth=1
	v_bfe_u32 v21, v18, 24, 7
	v_mov_b32_e32 v37, 0x7f800001
	s_mov_b32 s21, exec_lo
	v_cmpx_ne_u32_e32 0x7f, v21
	s_cbranch_execz .LBB332_199
; %bb.196:                              ;   in Loop: Header=BB332_170 Depth=1
	v_and_b32_sdwa v10, v18, v31 dst_sel:DWORD dst_unused:UNUSED_PAD src0_sel:BYTE_3 src1_sel:DWORD
	v_lshrrev_b32_e32 v20, 3, v21
	s_mov_b32 s22, exec_lo
	v_cmpx_gt_u32_e32 8, v21
; %bb.197:                              ;   in Loop: Header=BB332_170 Depth=1
	v_ffbh_u32_e32 v20, v10
	v_min_u32_e32 v20, 32, v20
	v_subrev_nc_u32_e32 v21, 28, v20
	v_sub_nc_u32_e32 v20, 29, v20
	v_lshlrev_b64 v[37:38], v21, v[10:11]
	v_and_b32_e32 v10, 7, v37
; %bb.198:                              ;   in Loop: Header=BB332_170 Depth=1
	s_or_b32 exec_lo, exec_lo, s22
	v_lshlrev_b32_sdwa v21, v32, v18 dst_sel:DWORD dst_unused:UNUSED_PAD src0_sel:DWORD src1_sel:BYTE_3
	v_lshlrev_b32_e32 v10, 20, v10
	v_lshl_add_u32 v20, v20, 23, 0x3c000000
	v_and_b32_e32 v21, 0x80000000, v21
	v_or3_b32 v37, v10, v21, v20
.LBB332_199:                            ;   in Loop: Header=BB332_170 Depth=1
	s_or_b32 exec_lo, exec_lo, s21
.LBB332_200:                            ;   in Loop: Header=BB332_170 Depth=1
	s_or_b32 exec_lo, exec_lo, s18
.LBB332_201:                            ;   in Loop: Header=BB332_170 Depth=1
	s_or_b32 exec_lo, exec_lo, s1
	v_mov_b32_e32 v10, v19
	v_cmp_ne_u16_sdwa s18, v19, v11 src0_sel:BYTE_0 src1_sel:DWORD
	v_mov_b32_e32 v20, 0
	v_mov_b32_e32 v38, 0
	s_and_saveexec_b32 s1, s18
	s_cbranch_execz .LBB332_207
; %bb.202:                              ;   in Loop: Header=BB332_170 Depth=1
	v_cmp_ne_u16_sdwa s21, v19, v28 src0_sel:BYTE_0 src1_sel:DWORD
	v_bfrev_b32_e32 v38, 1
	s_and_saveexec_b32 s18, s21
	s_cbranch_execz .LBB332_206
; %bb.203:                              ;   in Loop: Header=BB332_170 Depth=1
	v_and_b32_e32 v21, 0x7f, v19
	v_mov_b32_e32 v38, 0x7f800001
	s_mov_b32 s21, exec_lo
	v_cmpx_ne_u32_e32 0x7f, v21
	s_cbranch_execz .LBB332_205
; %bb.204:                              ;   in Loop: Header=BB332_170 Depth=1
	v_and_b32_e32 v38, 7, v19
	v_lshrrev_b32_e32 v39, 3, v21
	v_cmp_gt_u32_e32 vcc_lo, 8, v21
	v_ffbh_u32_e32 v38, v38
	v_min_u32_e32 v38, 32, v38
	v_subrev_nc_u32_e32 v40, 28, v38
	v_sub_nc_u32_e32 v38, 29, v38
	v_cndmask_b32_e32 v21, v39, v38, vcc_lo
	v_cndmask_b32_e32 v38, 0, v40, vcc_lo
	v_lshl_add_u32 v21, v21, 23, 0x3c000000
	v_lshlrev_b64 v[38:39], v38, v[10:11]
	v_lshlrev_b32_e32 v39, 24, v10
	v_lshlrev_b32_e32 v38, 20, v38
	v_and_b32_e32 v39, 0x80000000, v39
	v_and_b32_e32 v38, 0x700000, v38
	v_or3_b32 v38, v38, v39, v21
.LBB332_205:                            ;   in Loop: Header=BB332_170 Depth=1
	s_or_b32 exec_lo, exec_lo, s21
.LBB332_206:                            ;   in Loop: Header=BB332_170 Depth=1
	s_or_b32 exec_lo, exec_lo, s18
.LBB332_207:                            ;   in Loop: Header=BB332_170 Depth=1
	s_or_b32 exec_lo, exec_lo, s1
	v_cmp_ne_u16_sdwa s18, v10, v11 src0_sel:BYTE_1 src1_sel:DWORD
	s_and_saveexec_b32 s1, s18
	s_cbranch_execz .LBB332_215
; %bb.208:                              ;   in Loop: Header=BB332_170 Depth=1
	v_cmp_ne_u16_sdwa s21, v10, v28 src0_sel:BYTE_1 src1_sel:DWORD
	v_bfrev_b32_e32 v20, 1
	s_and_saveexec_b32 s18, s21
	s_cbranch_execz .LBB332_214
; %bb.209:                              ;   in Loop: Header=BB332_170 Depth=1
	v_and_b32_sdwa v21, v29, v10 dst_sel:DWORD dst_unused:UNUSED_PAD src0_sel:DWORD src1_sel:BYTE_1
	v_mov_b32_e32 v20, 0x7f800001
	s_mov_b32 s21, exec_lo
	v_and_b32_e32 v40, 0x7f, v21
	v_cmpx_ne_u32_e32 0x7f, v40
	s_cbranch_execz .LBB332_213
; %bb.210:                              ;   in Loop: Header=BB332_170 Depth=1
	v_and_b32_e32 v20, 7, v21
	v_mov_b32_e32 v21, v11
	v_lshrrev_b32_e32 v39, 3, v40
	s_mov_b32 s22, exec_lo
	v_cmpx_gt_u32_e32 8, v40
; %bb.211:                              ;   in Loop: Header=BB332_170 Depth=1
	v_ffbh_u32_e32 v39, v20
	v_min_u32_e32 v39, 32, v39
	v_subrev_nc_u32_e32 v40, 28, v39
	v_sub_nc_u32_e32 v39, 29, v39
	v_lshlrev_b64 v[20:21], v40, v[20:21]
	v_and_b32_e32 v20, 7, v20
; %bb.212:                              ;   in Loop: Header=BB332_170 Depth=1
	s_or_b32 exec_lo, exec_lo, s22
	v_lshlrev_b32_e32 v10, 16, v10
	v_lshlrev_b32_e32 v20, 20, v20
	v_lshl_add_u32 v21, v39, 23, 0x3c000000
	v_and_b32_e32 v10, 0x80000000, v10
	v_or3_b32 v20, v20, v10, v21
.LBB332_213:                            ;   in Loop: Header=BB332_170 Depth=1
	s_or_b32 exec_lo, exec_lo, s21
.LBB332_214:                            ;   in Loop: Header=BB332_170 Depth=1
	s_or_b32 exec_lo, exec_lo, s18
.LBB332_215:                            ;   in Loop: Header=BB332_170 Depth=1
	s_or_b32 exec_lo, exec_lo, s1
	v_and_b32_sdwa v10, v19, v30 dst_sel:DWORD dst_unused:UNUSED_PAD src0_sel:WORD_1 src1_sel:DWORD
	v_mov_b32_e32 v39, 0
	v_mov_b32_e32 v40, 0
	s_mov_b32 s1, exec_lo
	v_cmpx_ne_u16_e32 0, v10
	s_cbranch_execz .LBB332_223
; %bb.216:                              ;   in Loop: Header=BB332_170 Depth=1
	v_bfrev_b32_e32 v40, 1
	s_mov_b32 s18, exec_lo
	v_cmpx_ne_u16_e32 0x80, v10
	s_cbranch_execz .LBB332_222
; %bb.217:                              ;   in Loop: Header=BB332_170 Depth=1
	v_bfe_u32 v41, v19, 16, 7
	v_mov_b32_e32 v40, 0x7f800001
	s_mov_b32 s21, exec_lo
	v_cmpx_ne_u32_e32 0x7f, v41
	s_cbranch_execz .LBB332_221
; %bb.218:                              ;   in Loop: Header=BB332_170 Depth=1
	v_and_b32_sdwa v10, v19, v31 dst_sel:DWORD dst_unused:UNUSED_PAD src0_sel:WORD_1 src1_sel:DWORD
	v_lshrrev_b32_e32 v21, 3, v41
	s_mov_b32 s22, exec_lo
	v_cmpx_gt_u32_e32 8, v41
; %bb.219:                              ;   in Loop: Header=BB332_170 Depth=1
	v_ffbh_u32_e32 v21, v10
	v_min_u32_e32 v21, 32, v21
	v_subrev_nc_u32_e32 v40, 28, v21
	v_sub_nc_u32_e32 v21, 29, v21
	v_lshlrev_b64 v[40:41], v40, v[10:11]
	v_and_b32_e32 v10, 7, v40
; %bb.220:                              ;   in Loop: Header=BB332_170 Depth=1
	s_or_b32 exec_lo, exec_lo, s22
	v_lshlrev_b32_sdwa v40, v32, v19 dst_sel:DWORD dst_unused:UNUSED_PAD src0_sel:DWORD src1_sel:WORD_1
	v_lshlrev_b32_e32 v10, 20, v10
	v_lshl_add_u32 v21, v21, 23, 0x3c000000
	v_and_b32_e32 v40, 0x80000000, v40
	v_or3_b32 v40, v10, v40, v21
.LBB332_221:                            ;   in Loop: Header=BB332_170 Depth=1
	s_or_b32 exec_lo, exec_lo, s21
.LBB332_222:                            ;   in Loop: Header=BB332_170 Depth=1
	s_or_b32 exec_lo, exec_lo, s18
.LBB332_223:                            ;   in Loop: Header=BB332_170 Depth=1
	s_or_b32 exec_lo, exec_lo, s1
	s_mov_b32 s1, exec_lo
	v_cmpx_lt_u64_e64 s[4:5], v[18:19]
	s_cbranch_execz .LBB332_231
; %bb.224:                              ;   in Loop: Header=BB332_170 Depth=1
	v_cmp_ne_u32_sdwa s21, v19, v28 src0_sel:BYTE_3 src1_sel:DWORD
	v_bfrev_b32_e32 v39, 1
	s_and_saveexec_b32 s18, s21
	s_cbranch_execz .LBB332_230
; %bb.225:                              ;   in Loop: Header=BB332_170 Depth=1
	v_bfe_u32 v21, v19, 24, 7
	v_mov_b32_e32 v39, 0x7f800001
	s_mov_b32 s21, exec_lo
	v_cmpx_ne_u32_e32 0x7f, v21
	s_cbranch_execz .LBB332_229
; %bb.226:                              ;   in Loop: Header=BB332_170 Depth=1
	v_and_b32_sdwa v10, v19, v31 dst_sel:DWORD dst_unused:UNUSED_PAD src0_sel:BYTE_3 src1_sel:DWORD
	v_lshrrev_b32_e32 v18, 3, v21
	s_mov_b32 s22, exec_lo
	v_cmpx_gt_u32_e32 8, v21
; %bb.227:                              ;   in Loop: Header=BB332_170 Depth=1
	v_ffbh_u32_e32 v18, v10
	v_min_u32_e32 v18, 32, v18
	v_subrev_nc_u32_e32 v21, 28, v18
	v_sub_nc_u32_e32 v18, 29, v18
	v_lshlrev_b64 v[41:42], v21, v[10:11]
	v_and_b32_e32 v10, 7, v41
; %bb.228:                              ;   in Loop: Header=BB332_170 Depth=1
	s_or_b32 exec_lo, exec_lo, s22
	v_lshlrev_b32_sdwa v19, v32, v19 dst_sel:DWORD dst_unused:UNUSED_PAD src0_sel:DWORD src1_sel:BYTE_3
	v_lshlrev_b32_e32 v10, 20, v10
	v_lshl_add_u32 v18, v18, 23, 0x3c000000
	v_and_b32_e32 v19, 0x80000000, v19
	v_or3_b32 v39, v10, v19, v18
.LBB332_229:                            ;   in Loop: Header=BB332_170 Depth=1
	s_or_b32 exec_lo, exec_lo, s21
.LBB332_230:                            ;   in Loop: Header=BB332_170 Depth=1
	s_or_b32 exec_lo, exec_lo, s18
.LBB332_231:                            ;   in Loop: Header=BB332_170 Depth=1
	s_or_b32 exec_lo, exec_lo, s1
	s_waitcnt lgkmcnt(0)
	v_mul_f32_e32 v10, s17, v20
	v_mul_f32_e32 v18, s17, v38
	;; [unrolled: 1-line block ×5, first 2 shown]
	v_bfe_u32 v20, v10, 16, 1
	v_or_b32_e32 v21, 0x400000, v10
	v_bfe_u32 v37, v18, 16, 1
	v_cmp_u_f32_e64 s1, v10, v10
	v_or_b32_e32 v38, 0x400000, v18
	v_add3_u32 v20, v20, v10, 0x7fff
	v_bfe_u32 v41, v19, 16, 1
	v_add3_u32 v37, v37, v18, 0x7fff
	v_or_b32_e32 v42, 0x400000, v19
	v_cmp_eq_u32_e32 vcc_lo, s40, v9
	v_cndmask_b32_e64 v10, v20, v21, s1
	v_cmp_u_f32_e64 s1, v18, v18
	v_add3_u32 v41, v41, v19, 0x7fff
	v_bfe_u32 v21, v36, 16, 1
	v_add_nc_u32_e32 v46, 1, v23
	v_lshrrev_b32_e32 v20, 16, v10
	v_cndmask_b32_e64 v18, v37, v38, s1
	v_cmp_u_f32_e64 s1, v19, v19
	v_mul_f32_e32 v19, s17, v35
	v_add3_u32 v37, v21, v36, 0x7fff
	v_or_b32_e32 v38, 0x400000, v36
	v_lshrrev_b32_e32 v21, 16, v18
	v_cndmask_b32_e64 v10, v41, v42, s1
	v_cmp_u_f32_e64 s1, v36, v36
	v_mul_f32_e32 v36, s17, v40
	v_add_nc_u32_e32 v45, 2, v23
	v_add_nc_u32_e32 v44, 3, v23
	v_lshrrev_b32_e32 v35, 16, v10
	v_bfe_u32 v10, v19, 16, 1
	v_cndmask_b32_e64 v18, v37, v38, s1
	v_or_b32_e32 v37, 0x400000, v19
	v_mul_f32_e32 v38, s17, v39
	v_bfe_u32 v39, v34, 16, 1
	v_add3_u32 v10, v10, v19, 0x7fff
	v_cmp_u_f32_e64 s1, v19, v19
	v_bfe_u32 v40, v36, 16, 1
	v_bfe_u32 v19, v38, 16, 1
	v_or_b32_e32 v41, 0x400000, v36
	v_or_b32_e32 v42, 0x400000, v38
	v_cndmask_b32_e64 v10, v10, v37, s1
	v_add3_u32 v37, v39, v34, 0x7fff
	v_or_b32_e32 v39, 0x400000, v34
	v_cmp_u_f32_e64 s1, v34, v34
	v_add3_u32 v40, v40, v36, 0x7fff
	v_add3_u32 v19, v19, v38, 0x7fff
	v_add_nc_u32_e32 v43, 4, v23
	v_cndmask_b32_e64 v34, v37, v39, s1
	v_cmp_u_f32_e64 s1, v36, v36
	v_lshrrev_b32_e32 v37, 16, v18
	v_lshrrev_b32_e32 v39, 16, v34
	v_cndmask_b32_e64 v36, v40, v41, s1
	v_cmp_u_f32_e64 s1, v38, v38
	v_lshrrev_b32_e32 v38, 16, v10
	v_add_nc_u32_e32 v41, 6, v23
	v_add_nc_u32_e32 v40, 7, v23
	v_lshrrev_b32_e32 v36, 16, v36
	v_cndmask_b32_e64 v19, v19, v42, s1
	v_add_nc_u32_e32 v42, 5, v23
	v_lshrrev_b32_e32 v34, 16, v19
	s_and_saveexec_b32 s18, vcc_lo
	s_cbranch_execz .LBB332_233
; %bb.232:                              ;   in Loop: Header=BB332_170 Depth=1
	v_cmp_gt_i32_e64 s1, s31, v23
	v_cndmask_b32_e64 v39, 0, v39, s1
	v_cmp_gt_i32_e64 s1, s31, v46
	v_cndmask_b32_e64 v38, 0, v38, s1
	;; [unrolled: 2-line block ×8, first 2 shown]
.LBB332_233:                            ;   in Loop: Header=BB332_170 Depth=1
	s_or_b32 exec_lo, exec_lo, s18
	global_load_dwordx2 v[16:17], v[16:17], off offset:256
	v_mov_b32_e32 v48, 0
	v_mov_b32_e32 v47, 0
	s_waitcnt vmcnt(0)
	v_cmp_ne_u16_sdwa s1, v16, v11 src0_sel:BYTE_0 src1_sel:DWORD
	s_and_saveexec_b32 s18, s1
	s_cbranch_execz .LBB332_239
; %bb.234:                              ;   in Loop: Header=BB332_170 Depth=1
	v_cmp_ne_u16_sdwa s1, v16, v28 src0_sel:BYTE_0 src1_sel:DWORD
	v_bfrev_b32_e32 v47, 1
	s_and_saveexec_b32 s21, s1
	s_cbranch_execz .LBB332_238
; %bb.235:                              ;   in Loop: Header=BB332_170 Depth=1
	v_and_b32_e32 v10, 0x7f, v16
	v_mov_b32_e32 v47, 0x7f800001
	s_mov_b32 s22, exec_lo
	v_cmpx_ne_u32_e32 0x7f, v10
	s_cbranch_execz .LBB332_237
; %bb.236:                              ;   in Loop: Header=BB332_170 Depth=1
	v_and_b32_e32 v18, 7, v16
	v_lshrrev_b32_e32 v19, 3, v10
	v_cmp_gt_u32_e64 s1, 8, v10
	v_ffbh_u32_e32 v18, v18
	v_min_u32_e32 v18, 32, v18
	v_subrev_nc_u32_e32 v47, 28, v18
	v_sub_nc_u32_e32 v18, 29, v18
	v_cndmask_b32_e64 v10, v19, v18, s1
	v_cndmask_b32_e64 v18, 0, v47, s1
	v_lshl_add_u32 v10, v10, 23, 0x3c000000
	v_lshlrev_b64 v[18:19], v18, v[16:17]
	v_lshlrev_b32_e32 v19, 24, v16
	v_lshlrev_b32_e32 v18, 20, v18
	v_and_b32_e32 v19, 0x80000000, v19
	v_and_b32_e32 v18, 0x700000, v18
	v_or3_b32 v47, v18, v19, v10
.LBB332_237:                            ;   in Loop: Header=BB332_170 Depth=1
	s_or_b32 exec_lo, exec_lo, s22
.LBB332_238:                            ;   in Loop: Header=BB332_170 Depth=1
	s_or_b32 exec_lo, exec_lo, s21
.LBB332_239:                            ;   in Loop: Header=BB332_170 Depth=1
	s_or_b32 exec_lo, exec_lo, s18
	v_cmp_ne_u16_sdwa s1, v16, v11 src0_sel:BYTE_1 src1_sel:DWORD
	s_and_saveexec_b32 s18, s1
	s_cbranch_execz .LBB332_247
; %bb.240:                              ;   in Loop: Header=BB332_170 Depth=1
	v_cmp_ne_u16_sdwa s1, v16, v28 src0_sel:BYTE_1 src1_sel:DWORD
	v_bfrev_b32_e32 v48, 1
	s_and_saveexec_b32 s21, s1
	s_cbranch_execz .LBB332_246
; %bb.241:                              ;   in Loop: Header=BB332_170 Depth=1
	v_and_b32_sdwa v10, v29, v16 dst_sel:DWORD dst_unused:UNUSED_PAD src0_sel:DWORD src1_sel:BYTE_1
	v_mov_b32_e32 v48, 0x7f800001
	s_mov_b32 s22, exec_lo
	v_and_b32_e32 v19, 0x7f, v10
	v_cmpx_ne_u32_e32 0x7f, v19
	s_cbranch_execz .LBB332_245
; %bb.242:                              ;   in Loop: Header=BB332_170 Depth=1
	v_and_b32_e32 v10, 7, v10
	v_lshrrev_b32_e32 v18, 3, v19
	s_mov_b32 s24, exec_lo
	v_cmpx_gt_u32_e32 8, v19
; %bb.243:                              ;   in Loop: Header=BB332_170 Depth=1
	v_ffbh_u32_e32 v18, v10
	v_min_u32_e32 v18, 32, v18
	v_subrev_nc_u32_e32 v19, 28, v18
	v_sub_nc_u32_e32 v18, 29, v18
	v_lshlrev_b64 v[48:49], v19, v[10:11]
	v_and_b32_e32 v10, 7, v48
; %bb.244:                              ;   in Loop: Header=BB332_170 Depth=1
	s_or_b32 exec_lo, exec_lo, s24
	v_lshlrev_b32_e32 v19, 16, v16
	v_lshlrev_b32_e32 v10, 20, v10
	v_lshl_add_u32 v18, v18, 23, 0x3c000000
	v_and_b32_e32 v19, 0x80000000, v19
	v_or3_b32 v48, v10, v19, v18
.LBB332_245:                            ;   in Loop: Header=BB332_170 Depth=1
	s_or_b32 exec_lo, exec_lo, s22
.LBB332_246:                            ;   in Loop: Header=BB332_170 Depth=1
	s_or_b32 exec_lo, exec_lo, s21
.LBB332_247:                            ;   in Loop: Header=BB332_170 Depth=1
	s_or_b32 exec_lo, exec_lo, s18
	v_and_b32_sdwa v10, v16, v30 dst_sel:DWORD dst_unused:UNUSED_PAD src0_sel:WORD_1 src1_sel:DWORD
	v_mov_b32_e32 v50, 0
	v_mov_b32_e32 v49, 0
	s_mov_b32 s18, exec_lo
	v_cmpx_ne_u16_e32 0, v10
	s_cbranch_execz .LBB332_255
; %bb.248:                              ;   in Loop: Header=BB332_170 Depth=1
	v_bfrev_b32_e32 v49, 1
	s_mov_b32 s21, exec_lo
	v_cmpx_ne_u16_e32 0x80, v10
	s_cbranch_execz .LBB332_254
; %bb.249:                              ;   in Loop: Header=BB332_170 Depth=1
	v_bfe_u32 v19, v16, 16, 7
	v_mov_b32_e32 v49, 0x7f800001
	s_mov_b32 s22, exec_lo
	v_cmpx_ne_u32_e32 0x7f, v19
	s_cbranch_execz .LBB332_253
; %bb.250:                              ;   in Loop: Header=BB332_170 Depth=1
	v_and_b32_sdwa v10, v16, v31 dst_sel:DWORD dst_unused:UNUSED_PAD src0_sel:WORD_1 src1_sel:DWORD
	v_lshrrev_b32_e32 v18, 3, v19
	s_mov_b32 s24, exec_lo
	v_cmpx_gt_u32_e32 8, v19
; %bb.251:                              ;   in Loop: Header=BB332_170 Depth=1
	v_ffbh_u32_e32 v18, v10
	v_min_u32_e32 v18, 32, v18
	v_subrev_nc_u32_e32 v19, 28, v18
	v_sub_nc_u32_e32 v18, 29, v18
	v_lshlrev_b64 v[51:52], v19, v[10:11]
	v_and_b32_e32 v10, 7, v51
; %bb.252:                              ;   in Loop: Header=BB332_170 Depth=1
	s_or_b32 exec_lo, exec_lo, s24
	v_lshlrev_b32_sdwa v19, v32, v16 dst_sel:DWORD dst_unused:UNUSED_PAD src0_sel:DWORD src1_sel:WORD_1
	v_lshlrev_b32_e32 v10, 20, v10
	v_lshl_add_u32 v18, v18, 23, 0x3c000000
	v_and_b32_e32 v19, 0x80000000, v19
	v_or3_b32 v49, v10, v19, v18
.LBB332_253:                            ;   in Loop: Header=BB332_170 Depth=1
	s_or_b32 exec_lo, exec_lo, s22
.LBB332_254:                            ;   in Loop: Header=BB332_170 Depth=1
	s_or_b32 exec_lo, exec_lo, s21
.LBB332_255:                            ;   in Loop: Header=BB332_170 Depth=1
	s_or_b32 exec_lo, exec_lo, s18
	s_mov_b32 s18, exec_lo
	v_cmpx_lt_u32_e32 0xffffff, v16
	s_cbranch_execz .LBB332_263
; %bb.256:                              ;   in Loop: Header=BB332_170 Depth=1
	v_cmp_ne_u32_sdwa s1, v16, v28 src0_sel:BYTE_3 src1_sel:DWORD
	v_bfrev_b32_e32 v50, 1
	s_and_saveexec_b32 s21, s1
	s_cbranch_execz .LBB332_262
; %bb.257:                              ;   in Loop: Header=BB332_170 Depth=1
	v_bfe_u32 v19, v16, 24, 7
	v_mov_b32_e32 v50, 0x7f800001
	s_mov_b32 s22, exec_lo
	v_cmpx_ne_u32_e32 0x7f, v19
	s_cbranch_execz .LBB332_261
; %bb.258:                              ;   in Loop: Header=BB332_170 Depth=1
	v_and_b32_sdwa v10, v16, v31 dst_sel:DWORD dst_unused:UNUSED_PAD src0_sel:BYTE_3 src1_sel:DWORD
	v_lshrrev_b32_e32 v18, 3, v19
	s_mov_b32 s24, exec_lo
	v_cmpx_gt_u32_e32 8, v19
; %bb.259:                              ;   in Loop: Header=BB332_170 Depth=1
	v_ffbh_u32_e32 v18, v10
	v_min_u32_e32 v18, 32, v18
	v_subrev_nc_u32_e32 v19, 28, v18
	v_sub_nc_u32_e32 v18, 29, v18
	v_lshlrev_b64 v[50:51], v19, v[10:11]
	v_and_b32_e32 v10, 7, v50
; %bb.260:                              ;   in Loop: Header=BB332_170 Depth=1
	s_or_b32 exec_lo, exec_lo, s24
	v_lshlrev_b32_sdwa v19, v32, v16 dst_sel:DWORD dst_unused:UNUSED_PAD src0_sel:DWORD src1_sel:BYTE_3
	v_lshlrev_b32_e32 v10, 20, v10
	v_lshl_add_u32 v18, v18, 23, 0x3c000000
	v_and_b32_e32 v19, 0x80000000, v19
	v_or3_b32 v50, v10, v19, v18
.LBB332_261:                            ;   in Loop: Header=BB332_170 Depth=1
	s_or_b32 exec_lo, exec_lo, s22
.LBB332_262:                            ;   in Loop: Header=BB332_170 Depth=1
	s_or_b32 exec_lo, exec_lo, s21
.LBB332_263:                            ;   in Loop: Header=BB332_170 Depth=1
	s_or_b32 exec_lo, exec_lo, s18
	v_mov_b32_e32 v10, v17
	v_cmp_ne_u16_sdwa s1, v17, v11 src0_sel:BYTE_0 src1_sel:DWORD
	v_mov_b32_e32 v18, 0
	v_mov_b32_e32 v51, 0
	s_and_saveexec_b32 s18, s1
	s_cbranch_execz .LBB332_269
; %bb.264:                              ;   in Loop: Header=BB332_170 Depth=1
	v_cmp_ne_u16_sdwa s1, v17, v28 src0_sel:BYTE_0 src1_sel:DWORD
	v_bfrev_b32_e32 v51, 1
	s_and_saveexec_b32 s21, s1
	s_cbranch_execz .LBB332_268
; %bb.265:                              ;   in Loop: Header=BB332_170 Depth=1
	v_and_b32_e32 v19, 0x7f, v17
	v_mov_b32_e32 v51, 0x7f800001
	s_mov_b32 s22, exec_lo
	v_cmpx_ne_u32_e32 0x7f, v19
	s_cbranch_execz .LBB332_267
; %bb.266:                              ;   in Loop: Header=BB332_170 Depth=1
	v_and_b32_e32 v51, 7, v17
	v_lshrrev_b32_e32 v52, 3, v19
	v_cmp_gt_u32_e64 s1, 8, v19
	v_ffbh_u32_e32 v51, v51
	v_min_u32_e32 v51, 32, v51
	v_subrev_nc_u32_e32 v53, 28, v51
	v_sub_nc_u32_e32 v51, 29, v51
	v_cndmask_b32_e64 v19, v52, v51, s1
	v_cndmask_b32_e64 v51, 0, v53, s1
	v_lshl_add_u32 v19, v19, 23, 0x3c000000
	v_lshlrev_b64 v[51:52], v51, v[10:11]
	v_lshlrev_b32_e32 v52, 24, v10
	v_lshlrev_b32_e32 v51, 20, v51
	v_and_b32_e32 v52, 0x80000000, v52
	v_and_b32_e32 v51, 0x700000, v51
	v_or3_b32 v51, v51, v52, v19
.LBB332_267:                            ;   in Loop: Header=BB332_170 Depth=1
	s_or_b32 exec_lo, exec_lo, s22
.LBB332_268:                            ;   in Loop: Header=BB332_170 Depth=1
	s_or_b32 exec_lo, exec_lo, s21
.LBB332_269:                            ;   in Loop: Header=BB332_170 Depth=1
	s_or_b32 exec_lo, exec_lo, s18
	v_cmp_ne_u16_sdwa s1, v10, v11 src0_sel:BYTE_1 src1_sel:DWORD
	s_and_saveexec_b32 s18, s1
	s_cbranch_execz .LBB332_277
; %bb.270:                              ;   in Loop: Header=BB332_170 Depth=1
	v_cmp_ne_u16_sdwa s1, v10, v28 src0_sel:BYTE_1 src1_sel:DWORD
	v_bfrev_b32_e32 v18, 1
	s_and_saveexec_b32 s21, s1
	s_cbranch_execz .LBB332_276
; %bb.271:                              ;   in Loop: Header=BB332_170 Depth=1
	v_and_b32_sdwa v19, v29, v10 dst_sel:DWORD dst_unused:UNUSED_PAD src0_sel:DWORD src1_sel:BYTE_1
	v_mov_b32_e32 v18, 0x7f800001
	s_mov_b32 s22, exec_lo
	v_and_b32_e32 v53, 0x7f, v19
	v_cmpx_ne_u32_e32 0x7f, v53
	s_cbranch_execz .LBB332_275
; %bb.272:                              ;   in Loop: Header=BB332_170 Depth=1
	v_and_b32_e32 v18, 7, v19
	v_mov_b32_e32 v19, v11
	v_lshrrev_b32_e32 v52, 3, v53
	s_mov_b32 s24, exec_lo
	v_cmpx_gt_u32_e32 8, v53
; %bb.273:                              ;   in Loop: Header=BB332_170 Depth=1
	v_ffbh_u32_e32 v52, v18
	v_min_u32_e32 v52, 32, v52
	v_subrev_nc_u32_e32 v53, 28, v52
	v_sub_nc_u32_e32 v52, 29, v52
	v_lshlrev_b64 v[18:19], v53, v[18:19]
	v_and_b32_e32 v18, 7, v18
; %bb.274:                              ;   in Loop: Header=BB332_170 Depth=1
	s_or_b32 exec_lo, exec_lo, s24
	v_lshlrev_b32_e32 v10, 16, v10
	v_lshlrev_b32_e32 v18, 20, v18
	v_lshl_add_u32 v19, v52, 23, 0x3c000000
	v_and_b32_e32 v10, 0x80000000, v10
	v_or3_b32 v18, v18, v10, v19
.LBB332_275:                            ;   in Loop: Header=BB332_170 Depth=1
	s_or_b32 exec_lo, exec_lo, s22
.LBB332_276:                            ;   in Loop: Header=BB332_170 Depth=1
	s_or_b32 exec_lo, exec_lo, s21
.LBB332_277:                            ;   in Loop: Header=BB332_170 Depth=1
	s_or_b32 exec_lo, exec_lo, s18
	v_and_b32_sdwa v10, v17, v30 dst_sel:DWORD dst_unused:UNUSED_PAD src0_sel:WORD_1 src1_sel:DWORD
	v_mov_b32_e32 v19, 0
	v_mov_b32_e32 v52, 0
	s_mov_b32 s18, exec_lo
	v_cmpx_ne_u16_e32 0, v10
	s_cbranch_execz .LBB332_285
; %bb.278:                              ;   in Loop: Header=BB332_170 Depth=1
	v_bfrev_b32_e32 v52, 1
	s_mov_b32 s21, exec_lo
	v_cmpx_ne_u16_e32 0x80, v10
	s_cbranch_execz .LBB332_284
; %bb.279:                              ;   in Loop: Header=BB332_170 Depth=1
	v_bfe_u32 v53, v17, 16, 7
	v_mov_b32_e32 v52, 0x7f800001
	s_mov_b32 s22, exec_lo
	v_cmpx_ne_u32_e32 0x7f, v53
	s_cbranch_execz .LBB332_283
; %bb.280:                              ;   in Loop: Header=BB332_170 Depth=1
	v_and_b32_sdwa v10, v17, v31 dst_sel:DWORD dst_unused:UNUSED_PAD src0_sel:WORD_1 src1_sel:DWORD
	v_lshrrev_b32_e32 v52, 3, v53
	s_mov_b32 s24, exec_lo
	v_cmpx_gt_u32_e32 8, v53
; %bb.281:                              ;   in Loop: Header=BB332_170 Depth=1
	v_ffbh_u32_e32 v52, v10
	v_min_u32_e32 v52, 32, v52
	v_subrev_nc_u32_e32 v53, 28, v52
	v_sub_nc_u32_e32 v52, 29, v52
	v_lshlrev_b64 v[53:54], v53, v[10:11]
	v_and_b32_e32 v10, 7, v53
; %bb.282:                              ;   in Loop: Header=BB332_170 Depth=1
	s_or_b32 exec_lo, exec_lo, s24
	v_lshlrev_b32_sdwa v53, v32, v17 dst_sel:DWORD dst_unused:UNUSED_PAD src0_sel:DWORD src1_sel:WORD_1
	v_lshlrev_b32_e32 v10, 20, v10
	v_lshl_add_u32 v52, v52, 23, 0x3c000000
	v_and_b32_e32 v53, 0x80000000, v53
	v_or3_b32 v52, v10, v53, v52
.LBB332_283:                            ;   in Loop: Header=BB332_170 Depth=1
	s_or_b32 exec_lo, exec_lo, s22
.LBB332_284:                            ;   in Loop: Header=BB332_170 Depth=1
	s_or_b32 exec_lo, exec_lo, s21
.LBB332_285:                            ;   in Loop: Header=BB332_170 Depth=1
	s_or_b32 exec_lo, exec_lo, s18
	s_mov_b32 s18, exec_lo
	v_cmpx_lt_u64_e64 s[4:5], v[16:17]
	s_cbranch_execz .LBB332_293
; %bb.286:                              ;   in Loop: Header=BB332_170 Depth=1
	v_cmp_ne_u32_sdwa s1, v17, v28 src0_sel:BYTE_3 src1_sel:DWORD
	v_bfrev_b32_e32 v19, 1
	s_and_saveexec_b32 s21, s1
	s_cbranch_execz .LBB332_292
; %bb.287:                              ;   in Loop: Header=BB332_170 Depth=1
	v_bfe_u32 v53, v17, 24, 7
	v_mov_b32_e32 v19, 0x7f800001
	s_mov_b32 s22, exec_lo
	v_cmpx_ne_u32_e32 0x7f, v53
	s_cbranch_execz .LBB332_291
; %bb.288:                              ;   in Loop: Header=BB332_170 Depth=1
	v_and_b32_sdwa v10, v17, v31 dst_sel:DWORD dst_unused:UNUSED_PAD src0_sel:BYTE_3 src1_sel:DWORD
	v_lshrrev_b32_e32 v16, 3, v53
	s_mov_b32 s24, exec_lo
	v_cmpx_gt_u32_e32 8, v53
; %bb.289:                              ;   in Loop: Header=BB332_170 Depth=1
	v_ffbh_u32_e32 v16, v10
	v_min_u32_e32 v16, 32, v16
	v_subrev_nc_u32_e32 v19, 28, v16
	v_sub_nc_u32_e32 v16, 29, v16
	v_lshlrev_b64 v[53:54], v19, v[10:11]
	v_and_b32_e32 v10, 7, v53
; %bb.290:                              ;   in Loop: Header=BB332_170 Depth=1
	s_or_b32 exec_lo, exec_lo, s24
	v_lshlrev_b32_sdwa v17, v32, v17 dst_sel:DWORD dst_unused:UNUSED_PAD src0_sel:DWORD src1_sel:BYTE_3
	v_lshlrev_b32_e32 v10, 20, v10
	v_lshl_add_u32 v16, v16, 23, 0x3c000000
	v_and_b32_e32 v17, 0x80000000, v17
	v_or3_b32 v19, v10, v17, v16
.LBB332_291:                            ;   in Loop: Header=BB332_170 Depth=1
	s_or_b32 exec_lo, exec_lo, s22
.LBB332_292:                            ;   in Loop: Header=BB332_170 Depth=1
	s_or_b32 exec_lo, exec_lo, s21
.LBB332_293:                            ;   in Loop: Header=BB332_170 Depth=1
	s_or_b32 exec_lo, exec_lo, s18
	v_mul_f32_e32 v10, s17, v18
	v_mul_f32_e32 v16, s17, v51
	v_mul_f32_e32 v18, s17, v49
	v_mul_f32_e32 v17, s17, v50
	v_mul_f32_e32 v48, s17, v48
	v_bfe_u32 v49, v10, 16, 1
	v_or_b32_e32 v50, 0x400000, v10
	v_bfe_u32 v51, v16, 16, 1
	v_cmp_u_f32_e64 s1, v10, v10
	v_or_b32_e32 v53, 0x400000, v16
	v_add3_u32 v49, v49, v10, 0x7fff
	v_bfe_u32 v54, v17, 16, 1
	v_add3_u32 v51, v51, v16, 0x7fff
	v_or_b32_e32 v55, 0x400000, v17
	v_bfe_u32 v56, v18, 16, 1
	v_cndmask_b32_e64 v10, v49, v50, s1
	v_cmp_u_f32_e64 s1, v16, v16
	v_add3_u32 v54, v54, v17, 0x7fff
	v_or_b32_e32 v50, 0x400000, v18
	v_add3_u32 v49, v56, v18, 0x7fff
	v_mul_f32_e32 v47, s17, v47
	v_cndmask_b32_e64 v16, v51, v53, s1
	v_cmp_u_f32_e64 s1, v17, v17
	v_bfe_u32 v51, v48, 16, 1
	v_mul_f32_e32 v19, s17, v19
	v_lshrrev_b32_e32 v10, 16, v10
	v_lshrrev_b32_e32 v16, 16, v16
	v_cndmask_b32_e64 v17, v54, v55, s1
	v_cmp_u_f32_e64 s1, v18, v18
	v_or_b32_e32 v55, 0x400000, v19
	v_lshrrev_b32_e32 v17, 16, v17
	v_cndmask_b32_e64 v18, v49, v50, s1
	v_mul_f32_e32 v49, s17, v52
	v_add3_u32 v50, v51, v48, 0x7fff
	v_or_b32_e32 v51, 0x400000, v48
	v_bfe_u32 v52, v47, 16, 1
	v_cmp_u_f32_e64 s1, v48, v48
	v_bfe_u32 v53, v49, 16, 1
	v_or_b32_e32 v54, 0x400000, v49
	v_cndmask_b32_e64 v48, v50, v51, s1
	v_add3_u32 v51, v52, v47, 0x7fff
	v_or_b32_e32 v52, 0x400000, v47
	v_cmp_u_f32_e64 s1, v47, v47
	v_bfe_u32 v50, v19, 16, 1
	v_add3_u32 v53, v53, v49, 0x7fff
	v_lshrrev_b32_e32 v47, 16, v18
	v_lshrrev_b32_e32 v48, 16, v48
	v_cndmask_b32_e64 v51, v51, v52, s1
	v_cmp_u_f32_e64 s1, v49, v49
	v_add3_u32 v50, v50, v19, 0x7fff
	v_lshrrev_b32_e32 v49, 16, v51
	v_cndmask_b32_e64 v52, v53, v54, s1
	v_cmp_u_f32_e64 s1, v19, v19
	v_lshrrev_b32_e32 v19, 16, v52
	v_cndmask_b32_e64 v50, v50, v55, s1
	v_lshrrev_b32_e32 v18, 16, v50
	s_and_saveexec_b32 s1, vcc_lo
	s_cbranch_execz .LBB332_168
; %bb.294:                              ;   in Loop: Header=BB332_170 Depth=1
	v_cmp_gt_i32_e32 vcc_lo, s31, v23
	v_cndmask_b32_e32 v49, 0, v49, vcc_lo
	v_cmp_gt_i32_e32 vcc_lo, s31, v46
	v_cndmask_b32_e32 v48, 0, v48, vcc_lo
	;; [unrolled: 2-line block ×8, first 2 shown]
	s_branch .LBB332_168
.LBB332_295:
	s_or_b32 exec_lo, exec_lo, s12
.LBB332_296:
	s_or_b32 exec_lo, exec_lo, s3
	v_lshl_add_u32 v2, v24, 2, 0xa0
	v_and_b32_e32 v3, 0x3c0, v0
	s_mov_b32 s1, exec_lo
	s_waitcnt_vscnt null, 0x0
	s_barrier
	v_lshl_add_u32 v1, v22, 8, v2
	buffer_gl0_inv
	v_cmpx_eq_u32_e32 64, v3
	s_cbranch_execz .LBB332_298
; %bb.297:
	v_add_nc_u32_e32 v3, 0xfffffe00, v1
	v_add_nc_u32_e32 v4, 0xfffffe80, v1
	ds_write_b32 v3, v25
	ds_write_b32 v4, v26
.LBB332_298:
	s_or_b32 exec_lo, exec_lo, s1
	s_mov_b32 s1, exec_lo
	s_waitcnt lgkmcnt(0)
	s_barrier
	buffer_gl0_inv
	v_cmpx_gt_u32_e32 64, v0
	s_cbranch_execz .LBB332_300
; %bb.299:
	ds_read2_b32 v[3:4], v1 offset1:32
	s_waitcnt lgkmcnt(0)
	v_add_f32_e32 v25, v25, v3
	v_add_f32_e32 v26, v26, v4
.LBB332_300:
	s_or_b32 exec_lo, exec_lo, s1
	v_and_b32_e32 v3, 0x3e0, v0
	s_mov_b32 s1, exec_lo
	s_barrier
	buffer_gl0_inv
	v_cmpx_eq_u32_e32 32, v3
; %bb.301:
	ds_write2_b32 v2, v25, v26 offset1:32
; %bb.302:
	s_or_b32 exec_lo, exec_lo, s1
	s_waitcnt lgkmcnt(0)
	s_barrier
	buffer_gl0_inv
	s_and_saveexec_b32 s1, s0
	s_cbranch_execz .LBB332_304
; %bb.303:
	ds_read2_b32 v[1:2], v1 offset1:32
	s_waitcnt lgkmcnt(0)
	v_add_f32_e32 v25, v25, v1
	v_add_f32_e32 v26, v26, v2
.LBB332_304:
	s_or_b32 exec_lo, exec_lo, s1
	s_barrier
	buffer_gl0_inv
	s_and_saveexec_b32 s1, s0
	s_cbranch_execz .LBB332_306
; %bb.305:
	s_lshl_b32 s0, s2, 6
	v_bfe_u32 v1, v25, 16, 1
	s_ashr_i32 s1, s0, 31
	s_mul_i32 s2, s7, s10
	s_lshl_b64 s[0:1], s[0:1], 1
	v_bfe_u32 v2, v26, 16, 1
	v_add3_u32 v1, v1, v25, 0x7fff
	v_or_b32_e32 v3, 0x400000, v25
	v_cmp_u_f32_e32 vcc_lo, v25, v25
	s_add_u32 s4, s28, s0
	s_addc_u32 s5, s29, s1
	s_ashr_i32 s3, s2, 31
	v_add3_u32 v2, v2, v26, 0x7fff
	s_lshl_b64 s[0:1], s[2:3], 1
	v_or_b32_e32 v4, 0x400000, v26
	v_cndmask_b32_e32 v1, v1, v3, vcc_lo
	v_cmp_u_f32_e32 vcc_lo, v26, v26
	s_add_u32 s2, s4, s0
	s_addc_u32 s3, s5, s1
	s_ashr_i32 s17, s16, 31
	v_lshlrev_b32_e32 v0, 1, v0
	s_lshl_b64 s[0:1], s[16:17], 1
	v_cndmask_b32_e32 v2, v2, v4, vcc_lo
	s_add_u32 s0, s2, s0
	s_addc_u32 s1, s3, s1
	global_store_short_d16_hi v0, v1, s[0:1]
	global_store_short_d16_hi v0, v2, s[0:1] offset:64
.LBB332_306:
	s_endpgm
	.section	.rodata,"a",@progbits
	.p2align	6, 0x0
	.amdhsa_kernel _ZN4vllm25paged_attention_v2_kernelI14__hip_bfloat16hLi64ELi8ELi128ELNS_18Fp8KVCacheDataTypeE1ELb1ELi512EEEvPfS3_PT_PKS4_PKT0_SA_ifPKiSC_iPKfiiiSE_SE_iiiii
		.amdhsa_group_segment_fixed_size 160
		.amdhsa_private_segment_fixed_size 0
		.amdhsa_kernarg_size 400
		.amdhsa_user_sgpr_count 6
		.amdhsa_user_sgpr_private_segment_buffer 1
		.amdhsa_user_sgpr_dispatch_ptr 0
		.amdhsa_user_sgpr_queue_ptr 0
		.amdhsa_user_sgpr_kernarg_segment_ptr 1
		.amdhsa_user_sgpr_dispatch_id 0
		.amdhsa_user_sgpr_flat_scratch_init 0
		.amdhsa_user_sgpr_private_segment_size 0
		.amdhsa_wavefront_size32 1
		.amdhsa_uses_dynamic_stack 0
		.amdhsa_system_sgpr_private_segment_wavefront_offset 0
		.amdhsa_system_sgpr_workgroup_id_x 1
		.amdhsa_system_sgpr_workgroup_id_y 1
		.amdhsa_system_sgpr_workgroup_id_z 1
		.amdhsa_system_sgpr_workgroup_info 0
		.amdhsa_system_vgpr_workitem_id 0
		.amdhsa_next_free_vgpr 57
		.amdhsa_next_free_sgpr 54
		.amdhsa_reserve_vcc 1
		.amdhsa_reserve_flat_scratch 0
		.amdhsa_float_round_mode_32 0
		.amdhsa_float_round_mode_16_64 0
		.amdhsa_float_denorm_mode_32 3
		.amdhsa_float_denorm_mode_16_64 3
		.amdhsa_dx10_clamp 1
		.amdhsa_ieee_mode 1
		.amdhsa_fp16_overflow 0
		.amdhsa_workgroup_processor_mode 1
		.amdhsa_memory_ordered 1
		.amdhsa_forward_progress 1
		.amdhsa_shared_vgpr_count 0
		.amdhsa_exception_fp_ieee_invalid_op 0
		.amdhsa_exception_fp_denorm_src 0
		.amdhsa_exception_fp_ieee_div_zero 0
		.amdhsa_exception_fp_ieee_overflow 0
		.amdhsa_exception_fp_ieee_underflow 0
		.amdhsa_exception_fp_ieee_inexact 0
		.amdhsa_exception_int_div_zero 0
	.end_amdhsa_kernel
	.section	.text._ZN4vllm25paged_attention_v2_kernelI14__hip_bfloat16hLi64ELi8ELi128ELNS_18Fp8KVCacheDataTypeE1ELb1ELi512EEEvPfS3_PT_PKS4_PKT0_SA_ifPKiSC_iPKfiiiSE_SE_iiiii,"axG",@progbits,_ZN4vllm25paged_attention_v2_kernelI14__hip_bfloat16hLi64ELi8ELi128ELNS_18Fp8KVCacheDataTypeE1ELb1ELi512EEEvPfS3_PT_PKS4_PKT0_SA_ifPKiSC_iPKfiiiSE_SE_iiiii,comdat
.Lfunc_end332:
	.size	_ZN4vllm25paged_attention_v2_kernelI14__hip_bfloat16hLi64ELi8ELi128ELNS_18Fp8KVCacheDataTypeE1ELb1ELi512EEEvPfS3_PT_PKS4_PKT0_SA_ifPKiSC_iPKfiiiSE_SE_iiiii, .Lfunc_end332-_ZN4vllm25paged_attention_v2_kernelI14__hip_bfloat16hLi64ELi8ELi128ELNS_18Fp8KVCacheDataTypeE1ELb1ELi512EEEvPfS3_PT_PKS4_PKT0_SA_ifPKiSC_iPKfiiiSE_SE_iiiii
                                        ; -- End function
	.set _ZN4vllm25paged_attention_v2_kernelI14__hip_bfloat16hLi64ELi8ELi128ELNS_18Fp8KVCacheDataTypeE1ELb1ELi512EEEvPfS3_PT_PKS4_PKT0_SA_ifPKiSC_iPKfiiiSE_SE_iiiii.num_vgpr, 57
	.set _ZN4vllm25paged_attention_v2_kernelI14__hip_bfloat16hLi64ELi8ELi128ELNS_18Fp8KVCacheDataTypeE1ELb1ELi512EEEvPfS3_PT_PKS4_PKT0_SA_ifPKiSC_iPKfiiiSE_SE_iiiii.num_agpr, 0
	.set _ZN4vllm25paged_attention_v2_kernelI14__hip_bfloat16hLi64ELi8ELi128ELNS_18Fp8KVCacheDataTypeE1ELb1ELi512EEEvPfS3_PT_PKS4_PKT0_SA_ifPKiSC_iPKfiiiSE_SE_iiiii.numbered_sgpr, 54
	.set _ZN4vllm25paged_attention_v2_kernelI14__hip_bfloat16hLi64ELi8ELi128ELNS_18Fp8KVCacheDataTypeE1ELb1ELi512EEEvPfS3_PT_PKS4_PKT0_SA_ifPKiSC_iPKfiiiSE_SE_iiiii.num_named_barrier, 0
	.set _ZN4vllm25paged_attention_v2_kernelI14__hip_bfloat16hLi64ELi8ELi128ELNS_18Fp8KVCacheDataTypeE1ELb1ELi512EEEvPfS3_PT_PKS4_PKT0_SA_ifPKiSC_iPKfiiiSE_SE_iiiii.private_seg_size, 0
	.set _ZN4vllm25paged_attention_v2_kernelI14__hip_bfloat16hLi64ELi8ELi128ELNS_18Fp8KVCacheDataTypeE1ELb1ELi512EEEvPfS3_PT_PKS4_PKT0_SA_ifPKiSC_iPKfiiiSE_SE_iiiii.uses_vcc, 1
	.set _ZN4vllm25paged_attention_v2_kernelI14__hip_bfloat16hLi64ELi8ELi128ELNS_18Fp8KVCacheDataTypeE1ELb1ELi512EEEvPfS3_PT_PKS4_PKT0_SA_ifPKiSC_iPKfiiiSE_SE_iiiii.uses_flat_scratch, 0
	.set _ZN4vllm25paged_attention_v2_kernelI14__hip_bfloat16hLi64ELi8ELi128ELNS_18Fp8KVCacheDataTypeE1ELb1ELi512EEEvPfS3_PT_PKS4_PKT0_SA_ifPKiSC_iPKfiiiSE_SE_iiiii.has_dyn_sized_stack, 0
	.set _ZN4vllm25paged_attention_v2_kernelI14__hip_bfloat16hLi64ELi8ELi128ELNS_18Fp8KVCacheDataTypeE1ELb1ELi512EEEvPfS3_PT_PKS4_PKT0_SA_ifPKiSC_iPKfiiiSE_SE_iiiii.has_recursion, 0
	.set _ZN4vllm25paged_attention_v2_kernelI14__hip_bfloat16hLi64ELi8ELi128ELNS_18Fp8KVCacheDataTypeE1ELb1ELi512EEEvPfS3_PT_PKS4_PKT0_SA_ifPKiSC_iPKfiiiSE_SE_iiiii.has_indirect_call, 0
	.section	.AMDGPU.csdata,"",@progbits
; Kernel info:
; codeLenInByte = 12684
; TotalNumSgprs: 56
; NumVgprs: 57
; ScratchSize: 0
; MemoryBound: 0
; FloatMode: 240
; IeeeMode: 1
; LDSByteSize: 160 bytes/workgroup (compile time only)
; SGPRBlocks: 0
; VGPRBlocks: 7
; NumSGPRsForWavesPerEU: 56
; NumVGPRsForWavesPerEU: 57
; Occupancy: 16
; WaveLimiterHint : 1
; COMPUTE_PGM_RSRC2:SCRATCH_EN: 0
; COMPUTE_PGM_RSRC2:USER_SGPR: 6
; COMPUTE_PGM_RSRC2:TRAP_HANDLER: 0
; COMPUTE_PGM_RSRC2:TGID_X_EN: 1
; COMPUTE_PGM_RSRC2:TGID_Y_EN: 1
; COMPUTE_PGM_RSRC2:TGID_Z_EN: 1
; COMPUTE_PGM_RSRC2:TIDIG_COMP_CNT: 0
	.section	.text._ZN4vllm25paged_attention_v2_kernelI14__hip_bfloat16hLi80ELi8ELi128ELNS_18Fp8KVCacheDataTypeE1ELb1ELi512EEEvPfS3_PT_PKS4_PKT0_SA_ifPKiSC_iPKfiiiSE_SE_iiiii,"axG",@progbits,_ZN4vllm25paged_attention_v2_kernelI14__hip_bfloat16hLi80ELi8ELi128ELNS_18Fp8KVCacheDataTypeE1ELb1ELi512EEEvPfS3_PT_PKS4_PKT0_SA_ifPKiSC_iPKfiiiSE_SE_iiiii,comdat
	.protected	_ZN4vllm25paged_attention_v2_kernelI14__hip_bfloat16hLi80ELi8ELi128ELNS_18Fp8KVCacheDataTypeE1ELb1ELi512EEEvPfS3_PT_PKS4_PKT0_SA_ifPKiSC_iPKfiiiSE_SE_iiiii ; -- Begin function _ZN4vllm25paged_attention_v2_kernelI14__hip_bfloat16hLi80ELi8ELi128ELNS_18Fp8KVCacheDataTypeE1ELb1ELi512EEEvPfS3_PT_PKS4_PKT0_SA_ifPKiSC_iPKfiiiSE_SE_iiiii
	.globl	_ZN4vllm25paged_attention_v2_kernelI14__hip_bfloat16hLi80ELi8ELi128ELNS_18Fp8KVCacheDataTypeE1ELb1ELi512EEEvPfS3_PT_PKS4_PKT0_SA_ifPKiSC_iPKfiiiSE_SE_iiiii
	.p2align	8
	.type	_ZN4vllm25paged_attention_v2_kernelI14__hip_bfloat16hLi80ELi8ELi128ELNS_18Fp8KVCacheDataTypeE1ELb1ELi512EEEvPfS3_PT_PKS4_PKT0_SA_ifPKiSC_iPKfiiiSE_SE_iiiii,@function
_ZN4vllm25paged_attention_v2_kernelI14__hip_bfloat16hLi80ELi8ELi128ELNS_18Fp8KVCacheDataTypeE1ELb1ELi512EEEvPfS3_PT_PKS4_PKT0_SA_ifPKiSC_iPKfiiiSE_SE_iiiii: ; @_ZN4vllm25paged_attention_v2_kernelI14__hip_bfloat16hLi80ELi8ELi128ELNS_18Fp8KVCacheDataTypeE1ELb1ELi512EEEvPfS3_PT_PKS4_PKT0_SA_ifPKiSC_iPKfiiiSE_SE_iiiii
; %bb.0:
	s_load_dwordx2 s[0:1], s[4:5], 0x40
	s_mov_b32 s10, s7
	s_ashr_i32 s11, s7, 31
	s_lshl_b64 s[2:3], s[10:11], 2
	s_waitcnt lgkmcnt(0)
	s_add_u32 s0, s0, s2
	s_addc_u32 s1, s1, s3
	s_lshl_b32 s11, s8, 9
	s_load_dword s33, s[0:1], 0x0
	s_waitcnt lgkmcnt(0)
	s_cmp_ge_i32 s11, s33
	s_cbranch_scc1 .LBB333_409
; %bb.1:
	s_clause 0x1
	s_load_dword s9, s[4:5], 0x90
	s_load_dwordx2 s[40:41], s[4:5], 0x30
	s_mov_b32 s45, 0
	s_waitcnt lgkmcnt(0)
	s_abs_i32 s3, s9
	s_abs_i32 s0, s40
	v_cvt_f32_u32_e32 v1, s0
	s_sub_i32 s2, 0, s0
	v_rcp_iflag_f32_e32 v1, v1
	v_mul_f32_e32 v1, 0x4f7ffffe, v1
	v_cvt_u32_f32_e32 v1, v1
	v_readfirstlane_b32 s1, v1
	s_mul_i32 s2, s2, s1
	s_mul_hi_u32 s2, s1, s2
	s_add_i32 s1, s1, s2
	s_xor_b32 s2, s9, s40
	s_mul_hi_u32 s1, s3, s1
	s_ashr_i32 s2, s2, 31
	s_mul_i32 s7, s1, s0
	s_sub_i32 s3, s3, s7
	s_add_i32 s7, s1, 1
	s_sub_i32 s12, s3, s0
	s_cmp_ge_u32 s3, s0
	s_cselect_b32 s1, s7, s1
	s_cselect_b32 s3, s12, s3
	s_add_i32 s7, s1, 1
	s_cmp_ge_u32 s3, s0
	s_cselect_b32 s0, s7, s1
	s_xor_b32 s0, s0, s2
	s_sub_i32 s16, s0, s2
	s_load_dwordx2 s[0:1], s[4:5], 0x50
	s_abs_i32 s2, s16
	v_cvt_f32_u32_e32 v1, s2
	s_sub_i32 s3, 0, s2
	v_rcp_iflag_f32_e32 v1, v1
	v_mul_f32_e32 v1, 0x4f7ffffe, v1
	v_cvt_u32_f32_e32 v1, v1
	v_readfirstlane_b32 s7, v1
	s_mul_i32 s3, s3, s7
	s_mul_hi_u32 s12, s7, s3
	s_abs_i32 s3, s6
	s_add_i32 s7, s7, s12
	s_waitcnt lgkmcnt(0)
	s_cmp_eq_u64 s[0:1], 0
	s_mul_hi_u32 s20, s3, s7
	s_cbranch_scc1 .LBB333_3
; %bb.2:
	s_ashr_i32 s7, s6, 31
	s_lshl_b64 s[12:13], s[6:7], 2
	s_add_u32 s0, s0, s12
	s_addc_u32 s1, s1, s13
	s_load_dword s45, s[0:1], 0x0
.LBB333_3:
	s_load_dwordx4 s[12:15], s[4:5], 0x58
	v_and_b32_e32 v1, 3, v0
	s_ashr_i32 s0, s6, 31
	s_ashr_i32 s1, s16, 31
	s_mul_i32 s28, s6, 0x50
	s_mov_b32 s7, exec_lo
	v_cmpx_gt_u32_e32 40, v0
	s_cbranch_execz .LBB333_5
; %bb.4:
	s_load_dwordx2 s[16:17], s[4:5], 0x18
	s_waitcnt lgkmcnt(0)
	s_mul_i32 s18, s12, s10
	v_lshlrev_b32_e32 v2, 2, v0
	s_ashr_i32 s19, s18, 31
	v_and_b32_e32 v3, 0x3fc, v0
	s_lshl_b64 s[18:19], s[18:19], 1
	v_mad_u32_u24 v3, v1, 40, v3
	s_add_u32 s12, s16, s18
	s_addc_u32 s15, s17, s19
	s_ashr_i32 s29, s28, 31
	s_lshl_b64 s[16:17], s[28:29], 1
	s_add_u32 s16, s12, s16
	s_addc_u32 s17, s15, s17
	global_load_dword v2, v2, s[16:17]
	s_waitcnt vmcnt(0)
	ds_write_b32 v3, v2
.LBB333_5:
	s_or_b32 exec_lo, exec_lo, s7
	s_load_dwordx4 s[16:19], s[4:5], 0x78
	s_mul_i32 s7, s20, s2
	s_xor_b32 s0, s0, s1
	s_sub_i32 s1, s3, s7
	s_add_i32 s3, s20, 1
	s_sub_i32 s7, s1, s2
	s_cmp_ge_u32 s1, s2
                                        ; implicit-def: $sgpr43
	s_cselect_b32 s3, s3, s20
	s_cselect_b32 s1, s7, s1
	s_add_i32 s7, s3, 1
	s_cmp_ge_u32 s1, s2
	s_load_dword s2, s[4:5], 0x88
	s_cselect_b32 s1, s7, s3
	s_add_i32 s3, s33, -1
	s_xor_b32 s1, s1, s0
	s_mov_b32 s7, -1
	s_waitcnt lgkmcnt(0)
	s_sub_i32 s12, s1, s0
	s_abs_i32 s1, s3
	s_abs_i32 s29, s19
	s_barrier
	v_cvt_f32_u32_e32 v2, s29
	s_sub_i32 s0, 0, s29
	buffer_gl0_inv
	v_rcp_iflag_f32_e32 v2, v2
	v_mul_f32_e32 v2, 0x4f7ffffe, v2
	v_cvt_u32_f32_e32 v2, v2
	v_readfirstlane_b32 s42, v2
	s_mul_i32 s0, s0, s42
	s_mul_hi_u32 s0, s42, s0
	s_add_i32 s42, s42, s0
	s_cmp_lt_i32 s2, 0
	s_mul_hi_u32 s0, s1, s42
	s_cbranch_scc0 .LBB333_7
; %bb.6:
	s_mul_i32 s7, s16, s40
	s_add_i32 s7, s12, s7
	s_mul_i32 s7, s7, s2
	s_sub_i32 s43, 1, s7
	s_mov_b32 s7, 0
.LBB333_7:
	s_load_dwordx2 s[34:35], s[4:5], 0x38
	s_ashr_i32 s3, s3, 31
	s_andn2_b32 vcc_lo, exec_lo, s7
	s_ashr_i32 s40, s19, 31
	s_cbranch_vccnz .LBB333_9
; %bb.8:
	s_mul_i32 s7, s9, s16
	s_add_i32 s7, s7, s6
	s_mul_i32 s2, s7, s2
	s_add_i32 s43, s2, 1
.LBB333_9:
	s_clause 0x5
	s_load_dword s2, s[4:5], 0x48
	s_load_dwordx2 s[38:39], s[4:5], 0x28
	s_load_dwordx4 s[24:27], s[4:5], 0x0
	s_load_dwordx2 s[30:31], s[4:5], 0x10
	s_load_dword s19, s[4:5], 0x98
	s_load_dwordx4 s[20:23], s[4:5], 0x68
	s_mul_i32 s7, s0, s29
	s_xor_b32 s3, s3, s40
	s_sub_i32 s1, s1, s7
	s_add_i32 s15, s0, 1
	v_lshrrev_b32_e32 v22, 5, v0
	v_mov_b32_e32 v24, 0xff7fffff
	v_mbcnt_lo_u32_b32 v21, -1, 0
	s_mul_i32 s12, s12, s14
	v_lshl_add_u32 v23, v22, 3, s11
	s_waitcnt lgkmcnt(0)
	s_mul_i32 s36, s2, s10
	s_sub_i32 s2, s1, s29
	s_ashr_i32 s37, s36, 31
	s_cmp_ge_u32 s1, s29
	s_cselect_b32 s0, s15, s0
	s_cselect_b32 s1, s2, s1
	s_add_i32 s2, s0, 1
	s_cmp_ge_u32 s1, s29
	s_cselect_b32 s0, s2, s0
	s_add_i32 s1, s33, 7
	s_lshl_b32 s16, s8, 6
	s_ashr_i32 s2, s1, 31
	v_or_b32_e32 v9, s16, v22
	s_lshr_b32 s2, s2, 29
	s_add_i32 s1, s1, s2
	s_add_i32 s2, s16, 64
	s_ashr_i32 s7, s1, 3
	s_xor_b32 s1, s0, s3
	s_min_i32 s44, s2, s7
	v_ashrrev_i32_e32 v10, 31, v9
	v_cmp_gt_i32_e64 s0, s44, v9
	s_sub_i32 s15, s1, s3
	s_and_saveexec_b32 s14, s0
	s_cbranch_execz .LBB333_181
; %bb.10:
	s_load_dwordx2 s[2:3], s[4:5], 0x20
	s_sub_i32 s4, s15, s17
	s_ashr_i32 s1, s12, 31
	v_bfe_u32 v25, v0, 2, 3
	v_cmp_eq_u32_e32 vcc_lo, 0, v1
	v_lshlrev_b32_e32 v4, 1, v1
	v_mul_u32_u24_e32 v26, 40, v1
	v_mov_b32_e32 v12, 0
	v_lshlrev_b32_e32 v5, 2, v25
	v_subrev_nc_u32_e32 v6, s33, v25
	v_lshlrev_b32_e32 v7, 4, v25
	v_lshl_add_u32 v27, v22, 3, s11
	v_mov_b32_e32 v28, 0xff7fffff
	v_lshl_or_b32 v5, v22, 5, v5
	v_add_nc_u32_e32 v31, 1, v6
	v_mov_b32_e32 v29, 0x80
	v_mov_b32_e32 v30, 0xffff
	;; [unrolled: 1-line block ×3, first 2 shown]
	v_add_nc_u32_e32 v32, 0xc0, v5
	v_mov_b32_e32 v34, v9
	s_waitcnt lgkmcnt(0)
	s_add_u32 s46, s2, s12
	s_addc_u32 s47, s3, s1
	s_abs_i32 s5, s18
	v_add_co_u32 v6, s46, s46, v7
	v_cvt_f32_u32_e32 v2, s5
	s_sub_i32 s2, 0, s5
	v_add_co_ci_u32_e64 v7, null, s47, 0, s46
	v_cmp_neq_f32_e64 s1, s45, 0
	v_rcp_iflag_f32_e32 v3, v2
	v_lshlrev_b64 v[1:2], 2, v[9:10]
	s_mov_b32 s46, 0
	s_mov_b32 s47, s13
	v_mul_f32_e32 v3, 0x4f7ffffe, v3
	v_cvt_u32_f32_e32 v3, v3
	v_mul_lo_u32 v5, s2, v3
	s_lshl_b64 s[2:3], s[36:37], 2
	s_add_u32 s2, s34, s2
	s_addc_u32 s3, s35, s3
	v_add_co_u32 v13, s2, s2, v1
	v_add_co_ci_u32_e64 v14, null, s3, v2, s2
	v_mul_hi_u32 v5, v3, v5
	v_add_co_u32 v15, s2, v6, v4
	v_add_co_ci_u32_e64 v16, null, 0, v7, s2
	v_add_nc_u32_e32 v33, v3, v5
	s_branch .LBB333_13
.LBB333_11:                             ;   in Loop: Header=BB333_13 Depth=1
	s_or_b32 exec_lo, exec_lo, s48
.LBB333_12:                             ;   in Loop: Header=BB333_13 Depth=1
	s_or_b32 exec_lo, exec_lo, s3
	v_add_nc_u32_e32 v34, 4, v34
	v_add_co_u32 v13, s3, v13, 16
	v_add_co_ci_u32_e64 v14, null, 0, v14, s3
	v_cmp_le_i32_e64 s2, s44, v34
	v_add_nc_u32_e32 v27, 32, v27
	v_add_nc_u32_e32 v32, 0x80, v32
	s_or_b32 s46, s2, s46
	s_andn2_b32 exec_lo, exec_lo, s46
	s_cbranch_execz .LBB333_180
.LBB333_13:                             ; =>This Inner Loop Header: Depth=1
	v_sub_nc_u32_e32 v1, 0, v27
	v_max_i32_e32 v1, v27, v1
	s_waitcnt lgkmcnt(0)
	v_mul_hi_u32 v2, v1, s42
	v_mul_lo_u32 v3, v2, s29
	v_sub_nc_u32_e32 v1, v1, v3
	v_add_nc_u32_e32 v3, 1, v2
	v_subrev_nc_u32_e32 v4, s29, v1
	v_cmp_le_u32_e64 s2, s29, v1
	v_cndmask_b32_e64 v2, v2, v3, s2
	v_cndmask_b32_e64 v1, v1, v4, s2
	v_ashrrev_i32_e32 v3, 31, v27
	v_add_nc_u32_e32 v4, 1, v2
	v_cmp_le_u32_e64 s2, s29, v1
	v_xor_b32_e32 v3, s40, v3
	v_cndmask_b32_e64 v1, v2, v4, s2
	v_xor_b32_e32 v1, v1, v3
	v_sub_nc_u32_e32 v1, v1, v3
	v_add_nc_u32_e32 v2, s43, v1
	v_cmp_ge_i32_e64 s3, s4, v1
	v_sub_nc_u32_e32 v3, 0, v2
	v_max_i32_e32 v3, v2, v3
	v_ashrrev_i32_e32 v2, 31, v2
	v_mul_hi_u32 v4, v3, v33
	v_mul_lo_u32 v4, v4, s5
	v_sub_nc_u32_e32 v3, v3, v4
	v_subrev_nc_u32_e32 v4, s5, v3
	v_cmp_le_u32_e64 s2, s5, v3
	v_cndmask_b32_e64 v3, v3, v4, s2
	v_subrev_nc_u32_e32 v4, s5, v3
	v_cmp_le_u32_e64 s2, s5, v3
	v_cndmask_b32_e64 v3, v3, v4, s2
	v_xor_b32_e32 v3, v3, v2
	v_sub_nc_u32_e32 v2, v3, v2
	v_cmp_ne_u32_e64 s2, 0, v2
	s_and_b32 s2, s2, s3
	s_and_saveexec_b32 s3, s2
	s_xor_b32 s2, exec_lo, s3
	s_cbranch_execz .LBB333_17
; %bb.14:                               ;   in Loop: Header=BB333_13 Depth=1
	s_and_saveexec_b32 s3, vcc_lo
; %bb.15:                               ;   in Loop: Header=BB333_13 Depth=1
	ds_write_b32 v32, v28
; %bb.16:                               ;   in Loop: Header=BB333_13 Depth=1
	s_or_b32 exec_lo, exec_lo, s3
.LBB333_17:                             ;   in Loop: Header=BB333_13 Depth=1
	s_andn2_saveexec_b32 s3, s2
	s_cbranch_execz .LBB333_12
; %bb.18:                               ;   in Loop: Header=BB333_13 Depth=1
	global_load_dword v1, v[13:14], off
	v_mov_b32_e32 v36, 0
	v_mov_b32_e32 v35, 0
	s_waitcnt vmcnt(0)
	v_mad_i64_i32 v[19:20], null, v1, s47, v[15:16]
	global_load_ushort v11, v[19:20], off
	ds_read2_b64 v[5:8], v26 offset1:1
	ds_read2_b64 v[1:4], v26 offset0:2 offset1:3
	ds_read_b64 v[17:18], v26 offset:32
	s_load_dword s48, s[20:21], 0x0
	s_waitcnt vmcnt(0)
	v_and_b32_e32 v37, 0xffff, v11
	v_cmp_ne_u16_sdwa s2, v11, v12 src0_sel:BYTE_0 src1_sel:DWORD
	s_and_saveexec_b32 s49, s2
	s_cbranch_execz .LBB333_26
; %bb.19:                               ;   in Loop: Header=BB333_13 Depth=1
	v_cmp_ne_u16_sdwa s2, v37, v29 src0_sel:BYTE_0 src1_sel:DWORD
	v_bfrev_b32_e32 v35, 1
	s_and_saveexec_b32 s50, s2
	s_cbranch_execz .LBB333_25
; %bb.20:                               ;   in Loop: Header=BB333_13 Depth=1
	v_and_b32_e32 v38, 0x7f, v37
	v_mov_b32_e32 v35, 0x7f800001
	s_mov_b32 s51, exec_lo
	v_cmpx_ne_u32_e32 0x7f, v38
	s_cbranch_execz .LBB333_24
; %bb.21:                               ;   in Loop: Header=BB333_13 Depth=1
	v_and_b32_e32 v11, 7, v37
	v_lshrrev_b32_e32 v35, 3, v38
	s_mov_b32 s52, exec_lo
	v_cmpx_gt_u32_e32 8, v38
; %bb.22:                               ;   in Loop: Header=BB333_13 Depth=1
	v_ffbh_u32_e32 v35, v11
	v_min_u32_e32 v35, 32, v35
	v_subrev_nc_u32_e32 v38, 28, v35
	v_sub_nc_u32_e32 v35, 29, v35
	v_lshlrev_b64 v[38:39], v38, v[11:12]
	v_and_b32_e32 v11, 7, v38
; %bb.23:                               ;   in Loop: Header=BB333_13 Depth=1
	s_or_b32 exec_lo, exec_lo, s52
	v_lshlrev_b32_e32 v38, 24, v37
	v_lshlrev_b32_e32 v11, 20, v11
	v_lshl_add_u32 v35, v35, 23, 0x3c000000
	v_and_b32_e32 v38, 0x80000000, v38
	v_or3_b32 v35, v11, v38, v35
.LBB333_24:                             ;   in Loop: Header=BB333_13 Depth=1
	s_or_b32 exec_lo, exec_lo, s51
.LBB333_25:                             ;   in Loop: Header=BB333_13 Depth=1
	s_or_b32 exec_lo, exec_lo, s50
.LBB333_26:                             ;   in Loop: Header=BB333_13 Depth=1
	s_or_b32 exec_lo, exec_lo, s49
	v_cmp_ne_u16_sdwa s2, v37, v12 src0_sel:BYTE_1 src1_sel:DWORD
	s_and_saveexec_b32 s49, s2
	s_cbranch_execz .LBB333_34
; %bb.27:                               ;   in Loop: Header=BB333_13 Depth=1
	v_cmp_ne_u16_sdwa s2, v37, v29 src0_sel:BYTE_1 src1_sel:DWORD
	v_bfrev_b32_e32 v36, 1
	s_and_saveexec_b32 s50, s2
	s_cbranch_execz .LBB333_33
; %bb.28:                               ;   in Loop: Header=BB333_13 Depth=1
	v_and_b32_sdwa v11, v30, v37 dst_sel:DWORD dst_unused:UNUSED_PAD src0_sel:DWORD src1_sel:BYTE_1
	v_mov_b32_e32 v36, 0x7f800001
	s_mov_b32 s51, exec_lo
	v_and_b32_e32 v38, 0x7f, v11
	v_cmpx_ne_u32_e32 0x7f, v38
	s_cbranch_execz .LBB333_32
; %bb.29:                               ;   in Loop: Header=BB333_13 Depth=1
	v_and_b32_e32 v11, 7, v11
	v_lshrrev_b32_e32 v36, 3, v38
	s_mov_b32 s52, exec_lo
	v_cmpx_gt_u32_e32 8, v38
; %bb.30:                               ;   in Loop: Header=BB333_13 Depth=1
	v_ffbh_u32_e32 v36, v11
	v_min_u32_e32 v36, 32, v36
	v_subrev_nc_u32_e32 v38, 28, v36
	v_sub_nc_u32_e32 v36, 29, v36
	v_lshlrev_b64 v[38:39], v38, v[11:12]
	v_and_b32_e32 v11, 7, v38
; %bb.31:                               ;   in Loop: Header=BB333_13 Depth=1
	s_or_b32 exec_lo, exec_lo, s52
	v_lshlrev_b32_e32 v37, 16, v37
	v_lshlrev_b32_e32 v11, 20, v11
	v_lshl_add_u32 v36, v36, 23, 0x3c000000
	v_and_b32_e32 v37, 0x80000000, v37
	v_or3_b32 v36, v11, v37, v36
.LBB333_32:                             ;   in Loop: Header=BB333_13 Depth=1
	s_or_b32 exec_lo, exec_lo, s51
.LBB333_33:                             ;   in Loop: Header=BB333_13 Depth=1
	s_or_b32 exec_lo, exec_lo, s50
.LBB333_34:                             ;   in Loop: Header=BB333_13 Depth=1
	s_or_b32 exec_lo, exec_lo, s49
	global_load_ushort v11, v[19:20], off offset:8
	v_mov_b32_e32 v38, 0
	v_mov_b32_e32 v37, 0
	s_waitcnt vmcnt(0)
	v_and_b32_e32 v39, 0xffff, v11
	v_cmp_ne_u16_sdwa s2, v11, v12 src0_sel:BYTE_0 src1_sel:DWORD
	s_and_saveexec_b32 s49, s2
	s_cbranch_execz .LBB333_42
; %bb.35:                               ;   in Loop: Header=BB333_13 Depth=1
	v_cmp_ne_u16_sdwa s2, v39, v29 src0_sel:BYTE_0 src1_sel:DWORD
	v_bfrev_b32_e32 v37, 1
	s_and_saveexec_b32 s50, s2
	s_cbranch_execz .LBB333_41
; %bb.36:                               ;   in Loop: Header=BB333_13 Depth=1
	v_and_b32_e32 v40, 0x7f, v39
	v_mov_b32_e32 v37, 0x7f800001
	s_mov_b32 s51, exec_lo
	v_cmpx_ne_u32_e32 0x7f, v40
	s_cbranch_execz .LBB333_40
; %bb.37:                               ;   in Loop: Header=BB333_13 Depth=1
	v_and_b32_e32 v11, 7, v39
	v_lshrrev_b32_e32 v37, 3, v40
	s_mov_b32 s52, exec_lo
	v_cmpx_gt_u32_e32 8, v40
; %bb.38:                               ;   in Loop: Header=BB333_13 Depth=1
	v_ffbh_u32_e32 v37, v11
	v_min_u32_e32 v37, 32, v37
	v_subrev_nc_u32_e32 v40, 28, v37
	v_sub_nc_u32_e32 v37, 29, v37
	v_lshlrev_b64 v[40:41], v40, v[11:12]
	v_and_b32_e32 v11, 7, v40
; %bb.39:                               ;   in Loop: Header=BB333_13 Depth=1
	s_or_b32 exec_lo, exec_lo, s52
	v_lshlrev_b32_e32 v40, 24, v39
	v_lshlrev_b32_e32 v11, 20, v11
	v_lshl_add_u32 v37, v37, 23, 0x3c000000
	v_and_b32_e32 v40, 0x80000000, v40
	v_or3_b32 v37, v11, v40, v37
.LBB333_40:                             ;   in Loop: Header=BB333_13 Depth=1
	s_or_b32 exec_lo, exec_lo, s51
.LBB333_41:                             ;   in Loop: Header=BB333_13 Depth=1
	s_or_b32 exec_lo, exec_lo, s50
.LBB333_42:                             ;   in Loop: Header=BB333_13 Depth=1
	s_or_b32 exec_lo, exec_lo, s49
	v_cmp_ne_u16_sdwa s2, v39, v12 src0_sel:BYTE_1 src1_sel:DWORD
	s_and_saveexec_b32 s49, s2
	s_cbranch_execz .LBB333_50
; %bb.43:                               ;   in Loop: Header=BB333_13 Depth=1
	v_cmp_ne_u16_sdwa s2, v39, v29 src0_sel:BYTE_1 src1_sel:DWORD
	v_bfrev_b32_e32 v38, 1
	s_and_saveexec_b32 s50, s2
	s_cbranch_execz .LBB333_49
; %bb.44:                               ;   in Loop: Header=BB333_13 Depth=1
	v_and_b32_sdwa v11, v30, v39 dst_sel:DWORD dst_unused:UNUSED_PAD src0_sel:DWORD src1_sel:BYTE_1
	v_mov_b32_e32 v38, 0x7f800001
	s_mov_b32 s51, exec_lo
	v_and_b32_e32 v40, 0x7f, v11
	v_cmpx_ne_u32_e32 0x7f, v40
	s_cbranch_execz .LBB333_48
; %bb.45:                               ;   in Loop: Header=BB333_13 Depth=1
	v_and_b32_e32 v11, 7, v11
	v_lshrrev_b32_e32 v38, 3, v40
	s_mov_b32 s52, exec_lo
	v_cmpx_gt_u32_e32 8, v40
; %bb.46:                               ;   in Loop: Header=BB333_13 Depth=1
	v_ffbh_u32_e32 v38, v11
	v_min_u32_e32 v38, 32, v38
	v_subrev_nc_u32_e32 v40, 28, v38
	v_sub_nc_u32_e32 v38, 29, v38
	v_lshlrev_b64 v[40:41], v40, v[11:12]
	v_and_b32_e32 v11, 7, v40
; %bb.47:                               ;   in Loop: Header=BB333_13 Depth=1
	s_or_b32 exec_lo, exec_lo, s52
	v_lshlrev_b32_e32 v39, 16, v39
	v_lshlrev_b32_e32 v11, 20, v11
	v_lshl_add_u32 v38, v38, 23, 0x3c000000
	v_and_b32_e32 v39, 0x80000000, v39
	v_or3_b32 v38, v11, v39, v38
.LBB333_48:                             ;   in Loop: Header=BB333_13 Depth=1
	s_or_b32 exec_lo, exec_lo, s51
.LBB333_49:                             ;   in Loop: Header=BB333_13 Depth=1
	s_or_b32 exec_lo, exec_lo, s50
.LBB333_50:                             ;   in Loop: Header=BB333_13 Depth=1
	s_or_b32 exec_lo, exec_lo, s49
	global_load_ushort v11, v[19:20], off offset:128
	v_mov_b32_e32 v40, 0
	v_mov_b32_e32 v39, 0
	s_waitcnt vmcnt(0)
	v_and_b32_e32 v41, 0xffff, v11
	v_cmp_ne_u16_sdwa s2, v11, v12 src0_sel:BYTE_0 src1_sel:DWORD
	s_and_saveexec_b32 s49, s2
	s_cbranch_execz .LBB333_58
; %bb.51:                               ;   in Loop: Header=BB333_13 Depth=1
	v_cmp_ne_u16_sdwa s2, v41, v29 src0_sel:BYTE_0 src1_sel:DWORD
	v_bfrev_b32_e32 v39, 1
	s_and_saveexec_b32 s50, s2
	s_cbranch_execz .LBB333_57
; %bb.52:                               ;   in Loop: Header=BB333_13 Depth=1
	v_and_b32_e32 v42, 0x7f, v41
	v_mov_b32_e32 v39, 0x7f800001
	s_mov_b32 s51, exec_lo
	v_cmpx_ne_u32_e32 0x7f, v42
	s_cbranch_execz .LBB333_56
; %bb.53:                               ;   in Loop: Header=BB333_13 Depth=1
	v_and_b32_e32 v11, 7, v41
	v_lshrrev_b32_e32 v39, 3, v42
	s_mov_b32 s52, exec_lo
	v_cmpx_gt_u32_e32 8, v42
; %bb.54:                               ;   in Loop: Header=BB333_13 Depth=1
	v_ffbh_u32_e32 v39, v11
	v_min_u32_e32 v39, 32, v39
	v_subrev_nc_u32_e32 v42, 28, v39
	v_sub_nc_u32_e32 v39, 29, v39
	v_lshlrev_b64 v[42:43], v42, v[11:12]
	v_and_b32_e32 v11, 7, v42
; %bb.55:                               ;   in Loop: Header=BB333_13 Depth=1
	s_or_b32 exec_lo, exec_lo, s52
	v_lshlrev_b32_e32 v42, 24, v41
	v_lshlrev_b32_e32 v11, 20, v11
	v_lshl_add_u32 v39, v39, 23, 0x3c000000
	v_and_b32_e32 v42, 0x80000000, v42
	v_or3_b32 v39, v11, v42, v39
.LBB333_56:                             ;   in Loop: Header=BB333_13 Depth=1
	s_or_b32 exec_lo, exec_lo, s51
.LBB333_57:                             ;   in Loop: Header=BB333_13 Depth=1
	s_or_b32 exec_lo, exec_lo, s50
.LBB333_58:                             ;   in Loop: Header=BB333_13 Depth=1
	s_or_b32 exec_lo, exec_lo, s49
	v_cmp_ne_u16_sdwa s2, v41, v12 src0_sel:BYTE_1 src1_sel:DWORD
	s_and_saveexec_b32 s49, s2
	s_cbranch_execz .LBB333_66
; %bb.59:                               ;   in Loop: Header=BB333_13 Depth=1
	v_cmp_ne_u16_sdwa s2, v41, v29 src0_sel:BYTE_1 src1_sel:DWORD
	v_bfrev_b32_e32 v40, 1
	s_and_saveexec_b32 s50, s2
	s_cbranch_execz .LBB333_65
; %bb.60:                               ;   in Loop: Header=BB333_13 Depth=1
	v_and_b32_sdwa v11, v30, v41 dst_sel:DWORD dst_unused:UNUSED_PAD src0_sel:DWORD src1_sel:BYTE_1
	v_mov_b32_e32 v40, 0x7f800001
	s_mov_b32 s51, exec_lo
	v_and_b32_e32 v42, 0x7f, v11
	v_cmpx_ne_u32_e32 0x7f, v42
	s_cbranch_execz .LBB333_64
; %bb.61:                               ;   in Loop: Header=BB333_13 Depth=1
	v_and_b32_e32 v11, 7, v11
	v_lshrrev_b32_e32 v40, 3, v42
	s_mov_b32 s52, exec_lo
	v_cmpx_gt_u32_e32 8, v42
; %bb.62:                               ;   in Loop: Header=BB333_13 Depth=1
	v_ffbh_u32_e32 v40, v11
	v_min_u32_e32 v40, 32, v40
	v_subrev_nc_u32_e32 v42, 28, v40
	v_sub_nc_u32_e32 v40, 29, v40
	v_lshlrev_b64 v[42:43], v42, v[11:12]
	v_and_b32_e32 v11, 7, v42
; %bb.63:                               ;   in Loop: Header=BB333_13 Depth=1
	s_or_b32 exec_lo, exec_lo, s52
	v_lshlrev_b32_e32 v41, 16, v41
	v_lshlrev_b32_e32 v11, 20, v11
	v_lshl_add_u32 v40, v40, 23, 0x3c000000
	v_and_b32_e32 v41, 0x80000000, v41
	v_or3_b32 v40, v11, v41, v40
.LBB333_64:                             ;   in Loop: Header=BB333_13 Depth=1
	s_or_b32 exec_lo, exec_lo, s51
.LBB333_65:                             ;   in Loop: Header=BB333_13 Depth=1
	s_or_b32 exec_lo, exec_lo, s50
.LBB333_66:                             ;   in Loop: Header=BB333_13 Depth=1
	s_or_b32 exec_lo, exec_lo, s49
	global_load_ushort v11, v[19:20], off offset:136
	v_mov_b32_e32 v42, 0
	v_mov_b32_e32 v41, 0
	s_waitcnt vmcnt(0)
	v_and_b32_e32 v43, 0xffff, v11
	v_cmp_ne_u16_sdwa s2, v11, v12 src0_sel:BYTE_0 src1_sel:DWORD
	s_and_saveexec_b32 s49, s2
	s_cbranch_execz .LBB333_74
; %bb.67:                               ;   in Loop: Header=BB333_13 Depth=1
	v_cmp_ne_u16_sdwa s2, v43, v29 src0_sel:BYTE_0 src1_sel:DWORD
	v_bfrev_b32_e32 v41, 1
	s_and_saveexec_b32 s50, s2
	s_cbranch_execz .LBB333_73
; %bb.68:                               ;   in Loop: Header=BB333_13 Depth=1
	v_and_b32_e32 v44, 0x7f, v43
	v_mov_b32_e32 v41, 0x7f800001
	s_mov_b32 s51, exec_lo
	v_cmpx_ne_u32_e32 0x7f, v44
	s_cbranch_execz .LBB333_72
; %bb.69:                               ;   in Loop: Header=BB333_13 Depth=1
	v_and_b32_e32 v11, 7, v43
	v_lshrrev_b32_e32 v41, 3, v44
	s_mov_b32 s52, exec_lo
	v_cmpx_gt_u32_e32 8, v44
; %bb.70:                               ;   in Loop: Header=BB333_13 Depth=1
	v_ffbh_u32_e32 v41, v11
	v_min_u32_e32 v41, 32, v41
	v_subrev_nc_u32_e32 v44, 28, v41
	v_sub_nc_u32_e32 v41, 29, v41
	v_lshlrev_b64 v[44:45], v44, v[11:12]
	v_and_b32_e32 v11, 7, v44
; %bb.71:                               ;   in Loop: Header=BB333_13 Depth=1
	s_or_b32 exec_lo, exec_lo, s52
	v_lshlrev_b32_e32 v44, 24, v43
	v_lshlrev_b32_e32 v11, 20, v11
	v_lshl_add_u32 v41, v41, 23, 0x3c000000
	v_and_b32_e32 v44, 0x80000000, v44
	v_or3_b32 v41, v11, v44, v41
.LBB333_72:                             ;   in Loop: Header=BB333_13 Depth=1
	s_or_b32 exec_lo, exec_lo, s51
.LBB333_73:                             ;   in Loop: Header=BB333_13 Depth=1
	s_or_b32 exec_lo, exec_lo, s50
.LBB333_74:                             ;   in Loop: Header=BB333_13 Depth=1
	s_or_b32 exec_lo, exec_lo, s49
	v_cmp_ne_u16_sdwa s2, v43, v12 src0_sel:BYTE_1 src1_sel:DWORD
	s_and_saveexec_b32 s49, s2
	s_cbranch_execz .LBB333_82
; %bb.75:                               ;   in Loop: Header=BB333_13 Depth=1
	v_cmp_ne_u16_sdwa s2, v43, v29 src0_sel:BYTE_1 src1_sel:DWORD
	v_bfrev_b32_e32 v42, 1
	s_and_saveexec_b32 s50, s2
	s_cbranch_execz .LBB333_81
; %bb.76:                               ;   in Loop: Header=BB333_13 Depth=1
	v_and_b32_sdwa v11, v30, v43 dst_sel:DWORD dst_unused:UNUSED_PAD src0_sel:DWORD src1_sel:BYTE_1
	v_mov_b32_e32 v42, 0x7f800001
	s_mov_b32 s51, exec_lo
	v_and_b32_e32 v44, 0x7f, v11
	v_cmpx_ne_u32_e32 0x7f, v44
	s_cbranch_execz .LBB333_80
; %bb.77:                               ;   in Loop: Header=BB333_13 Depth=1
	v_and_b32_e32 v11, 7, v11
	v_lshrrev_b32_e32 v42, 3, v44
	s_mov_b32 s52, exec_lo
	v_cmpx_gt_u32_e32 8, v44
; %bb.78:                               ;   in Loop: Header=BB333_13 Depth=1
	v_ffbh_u32_e32 v42, v11
	v_min_u32_e32 v42, 32, v42
	v_subrev_nc_u32_e32 v44, 28, v42
	v_sub_nc_u32_e32 v42, 29, v42
	v_lshlrev_b64 v[44:45], v44, v[11:12]
	v_and_b32_e32 v11, 7, v44
; %bb.79:                               ;   in Loop: Header=BB333_13 Depth=1
	s_or_b32 exec_lo, exec_lo, s52
	v_lshlrev_b32_e32 v43, 16, v43
	v_lshlrev_b32_e32 v11, 20, v11
	v_lshl_add_u32 v42, v42, 23, 0x3c000000
	v_and_b32_e32 v43, 0x80000000, v43
	v_or3_b32 v42, v11, v43, v42
.LBB333_80:                             ;   in Loop: Header=BB333_13 Depth=1
	s_or_b32 exec_lo, exec_lo, s51
.LBB333_81:                             ;   in Loop: Header=BB333_13 Depth=1
	s_or_b32 exec_lo, exec_lo, s50
.LBB333_82:                             ;   in Loop: Header=BB333_13 Depth=1
	s_or_b32 exec_lo, exec_lo, s49
	global_load_ushort v11, v[19:20], off offset:256
	v_mov_b32_e32 v44, 0
	v_mov_b32_e32 v43, 0
	s_waitcnt vmcnt(0)
	v_and_b32_e32 v45, 0xffff, v11
	v_cmp_ne_u16_sdwa s2, v11, v12 src0_sel:BYTE_0 src1_sel:DWORD
	s_and_saveexec_b32 s49, s2
	s_cbranch_execz .LBB333_90
; %bb.83:                               ;   in Loop: Header=BB333_13 Depth=1
	v_cmp_ne_u16_sdwa s2, v45, v29 src0_sel:BYTE_0 src1_sel:DWORD
	v_bfrev_b32_e32 v43, 1
	s_and_saveexec_b32 s50, s2
	s_cbranch_execz .LBB333_89
; %bb.84:                               ;   in Loop: Header=BB333_13 Depth=1
	v_and_b32_e32 v46, 0x7f, v45
	v_mov_b32_e32 v43, 0x7f800001
	s_mov_b32 s51, exec_lo
	v_cmpx_ne_u32_e32 0x7f, v46
	s_cbranch_execz .LBB333_88
; %bb.85:                               ;   in Loop: Header=BB333_13 Depth=1
	v_and_b32_e32 v11, 7, v45
	v_lshrrev_b32_e32 v43, 3, v46
	s_mov_b32 s52, exec_lo
	v_cmpx_gt_u32_e32 8, v46
; %bb.86:                               ;   in Loop: Header=BB333_13 Depth=1
	v_ffbh_u32_e32 v43, v11
	v_min_u32_e32 v43, 32, v43
	v_subrev_nc_u32_e32 v46, 28, v43
	v_sub_nc_u32_e32 v43, 29, v43
	v_lshlrev_b64 v[46:47], v46, v[11:12]
	v_and_b32_e32 v11, 7, v46
; %bb.87:                               ;   in Loop: Header=BB333_13 Depth=1
	s_or_b32 exec_lo, exec_lo, s52
	v_lshlrev_b32_e32 v46, 24, v45
	v_lshlrev_b32_e32 v11, 20, v11
	v_lshl_add_u32 v43, v43, 23, 0x3c000000
	v_and_b32_e32 v46, 0x80000000, v46
	v_or3_b32 v43, v11, v46, v43
.LBB333_88:                             ;   in Loop: Header=BB333_13 Depth=1
	s_or_b32 exec_lo, exec_lo, s51
.LBB333_89:                             ;   in Loop: Header=BB333_13 Depth=1
	s_or_b32 exec_lo, exec_lo, s50
.LBB333_90:                             ;   in Loop: Header=BB333_13 Depth=1
	s_or_b32 exec_lo, exec_lo, s49
	v_cmp_ne_u16_sdwa s2, v45, v12 src0_sel:BYTE_1 src1_sel:DWORD
	s_and_saveexec_b32 s49, s2
	s_cbranch_execz .LBB333_98
; %bb.91:                               ;   in Loop: Header=BB333_13 Depth=1
	v_cmp_ne_u16_sdwa s2, v45, v29 src0_sel:BYTE_1 src1_sel:DWORD
	v_bfrev_b32_e32 v44, 1
	s_and_saveexec_b32 s50, s2
	s_cbranch_execz .LBB333_97
; %bb.92:                               ;   in Loop: Header=BB333_13 Depth=1
	v_and_b32_sdwa v11, v30, v45 dst_sel:DWORD dst_unused:UNUSED_PAD src0_sel:DWORD src1_sel:BYTE_1
	v_mov_b32_e32 v44, 0x7f800001
	s_mov_b32 s51, exec_lo
	v_and_b32_e32 v46, 0x7f, v11
	v_cmpx_ne_u32_e32 0x7f, v46
	s_cbranch_execz .LBB333_96
; %bb.93:                               ;   in Loop: Header=BB333_13 Depth=1
	v_and_b32_e32 v11, 7, v11
	v_lshrrev_b32_e32 v44, 3, v46
	s_mov_b32 s52, exec_lo
	v_cmpx_gt_u32_e32 8, v46
; %bb.94:                               ;   in Loop: Header=BB333_13 Depth=1
	v_ffbh_u32_e32 v44, v11
	v_min_u32_e32 v44, 32, v44
	v_subrev_nc_u32_e32 v46, 28, v44
	v_sub_nc_u32_e32 v44, 29, v44
	v_lshlrev_b64 v[46:47], v46, v[11:12]
	v_and_b32_e32 v11, 7, v46
; %bb.95:                               ;   in Loop: Header=BB333_13 Depth=1
	s_or_b32 exec_lo, exec_lo, s52
	v_lshlrev_b32_e32 v45, 16, v45
	v_lshlrev_b32_e32 v11, 20, v11
	v_lshl_add_u32 v44, v44, 23, 0x3c000000
	v_and_b32_e32 v45, 0x80000000, v45
	v_or3_b32 v44, v11, v45, v44
.LBB333_96:                             ;   in Loop: Header=BB333_13 Depth=1
	s_or_b32 exec_lo, exec_lo, s51
.LBB333_97:                             ;   in Loop: Header=BB333_13 Depth=1
	s_or_b32 exec_lo, exec_lo, s50
.LBB333_98:                             ;   in Loop: Header=BB333_13 Depth=1
	s_or_b32 exec_lo, exec_lo, s49
	global_load_ushort v11, v[19:20], off offset:264
	v_mov_b32_e32 v46, 0
	v_mov_b32_e32 v45, 0
	s_waitcnt vmcnt(0)
	v_and_b32_e32 v47, 0xffff, v11
	v_cmp_ne_u16_sdwa s2, v11, v12 src0_sel:BYTE_0 src1_sel:DWORD
	s_and_saveexec_b32 s49, s2
	s_cbranch_execz .LBB333_106
; %bb.99:                               ;   in Loop: Header=BB333_13 Depth=1
	v_cmp_ne_u16_sdwa s2, v47, v29 src0_sel:BYTE_0 src1_sel:DWORD
	v_bfrev_b32_e32 v45, 1
	s_and_saveexec_b32 s50, s2
	s_cbranch_execz .LBB333_105
; %bb.100:                              ;   in Loop: Header=BB333_13 Depth=1
	v_and_b32_e32 v48, 0x7f, v47
	v_mov_b32_e32 v45, 0x7f800001
	s_mov_b32 s51, exec_lo
	v_cmpx_ne_u32_e32 0x7f, v48
	s_cbranch_execz .LBB333_104
; %bb.101:                              ;   in Loop: Header=BB333_13 Depth=1
	v_and_b32_e32 v11, 7, v47
	v_lshrrev_b32_e32 v45, 3, v48
	s_mov_b32 s52, exec_lo
	v_cmpx_gt_u32_e32 8, v48
; %bb.102:                              ;   in Loop: Header=BB333_13 Depth=1
	v_ffbh_u32_e32 v45, v11
	v_min_u32_e32 v45, 32, v45
	v_subrev_nc_u32_e32 v48, 28, v45
	v_sub_nc_u32_e32 v45, 29, v45
	v_lshlrev_b64 v[48:49], v48, v[11:12]
	v_and_b32_e32 v11, 7, v48
; %bb.103:                              ;   in Loop: Header=BB333_13 Depth=1
	s_or_b32 exec_lo, exec_lo, s52
	v_lshlrev_b32_e32 v48, 24, v47
	v_lshlrev_b32_e32 v11, 20, v11
	v_lshl_add_u32 v45, v45, 23, 0x3c000000
	v_and_b32_e32 v48, 0x80000000, v48
	v_or3_b32 v45, v11, v48, v45
.LBB333_104:                            ;   in Loop: Header=BB333_13 Depth=1
	s_or_b32 exec_lo, exec_lo, s51
.LBB333_105:                            ;   in Loop: Header=BB333_13 Depth=1
	s_or_b32 exec_lo, exec_lo, s50
.LBB333_106:                            ;   in Loop: Header=BB333_13 Depth=1
	s_or_b32 exec_lo, exec_lo, s49
	v_cmp_ne_u16_sdwa s2, v47, v12 src0_sel:BYTE_1 src1_sel:DWORD
	s_and_saveexec_b32 s49, s2
	s_cbranch_execz .LBB333_114
; %bb.107:                              ;   in Loop: Header=BB333_13 Depth=1
	v_cmp_ne_u16_sdwa s2, v47, v29 src0_sel:BYTE_1 src1_sel:DWORD
	v_bfrev_b32_e32 v46, 1
	s_and_saveexec_b32 s50, s2
	s_cbranch_execz .LBB333_113
; %bb.108:                              ;   in Loop: Header=BB333_13 Depth=1
	v_and_b32_sdwa v11, v30, v47 dst_sel:DWORD dst_unused:UNUSED_PAD src0_sel:DWORD src1_sel:BYTE_1
	v_mov_b32_e32 v46, 0x7f800001
	s_mov_b32 s51, exec_lo
	v_and_b32_e32 v48, 0x7f, v11
	v_cmpx_ne_u32_e32 0x7f, v48
	s_cbranch_execz .LBB333_112
; %bb.109:                              ;   in Loop: Header=BB333_13 Depth=1
	v_and_b32_e32 v11, 7, v11
	v_lshrrev_b32_e32 v46, 3, v48
	s_mov_b32 s52, exec_lo
	v_cmpx_gt_u32_e32 8, v48
; %bb.110:                              ;   in Loop: Header=BB333_13 Depth=1
	v_ffbh_u32_e32 v46, v11
	v_min_u32_e32 v46, 32, v46
	v_subrev_nc_u32_e32 v48, 28, v46
	v_sub_nc_u32_e32 v46, 29, v46
	v_lshlrev_b64 v[48:49], v48, v[11:12]
	v_and_b32_e32 v11, 7, v48
; %bb.111:                              ;   in Loop: Header=BB333_13 Depth=1
	s_or_b32 exec_lo, exec_lo, s52
	v_lshlrev_b32_e32 v47, 16, v47
	v_lshlrev_b32_e32 v11, 20, v11
	v_lshl_add_u32 v46, v46, 23, 0x3c000000
	v_and_b32_e32 v47, 0x80000000, v47
	v_or3_b32 v46, v11, v47, v46
.LBB333_112:                            ;   in Loop: Header=BB333_13 Depth=1
	s_or_b32 exec_lo, exec_lo, s51
.LBB333_113:                            ;   in Loop: Header=BB333_13 Depth=1
	s_or_b32 exec_lo, exec_lo, s50
.LBB333_114:                            ;   in Loop: Header=BB333_13 Depth=1
	s_or_b32 exec_lo, exec_lo, s49
	global_load_ushort v11, v[19:20], off offset:384
	v_mov_b32_e32 v48, 0
	v_mov_b32_e32 v47, 0
	s_waitcnt vmcnt(0)
	v_and_b32_e32 v49, 0xffff, v11
	v_cmp_ne_u16_sdwa s2, v11, v12 src0_sel:BYTE_0 src1_sel:DWORD
	s_and_saveexec_b32 s49, s2
	s_cbranch_execz .LBB333_122
; %bb.115:                              ;   in Loop: Header=BB333_13 Depth=1
	v_cmp_ne_u16_sdwa s2, v49, v29 src0_sel:BYTE_0 src1_sel:DWORD
	v_bfrev_b32_e32 v47, 1
	s_and_saveexec_b32 s50, s2
	s_cbranch_execz .LBB333_121
; %bb.116:                              ;   in Loop: Header=BB333_13 Depth=1
	v_and_b32_e32 v50, 0x7f, v49
	v_mov_b32_e32 v47, 0x7f800001
	s_mov_b32 s51, exec_lo
	v_cmpx_ne_u32_e32 0x7f, v50
	s_cbranch_execz .LBB333_120
; %bb.117:                              ;   in Loop: Header=BB333_13 Depth=1
	v_and_b32_e32 v11, 7, v49
	v_lshrrev_b32_e32 v47, 3, v50
	s_mov_b32 s52, exec_lo
	v_cmpx_gt_u32_e32 8, v50
; %bb.118:                              ;   in Loop: Header=BB333_13 Depth=1
	v_ffbh_u32_e32 v47, v11
	v_min_u32_e32 v47, 32, v47
	v_subrev_nc_u32_e32 v50, 28, v47
	v_sub_nc_u32_e32 v47, 29, v47
	v_lshlrev_b64 v[50:51], v50, v[11:12]
	v_and_b32_e32 v11, 7, v50
; %bb.119:                              ;   in Loop: Header=BB333_13 Depth=1
	s_or_b32 exec_lo, exec_lo, s52
	v_lshlrev_b32_e32 v50, 24, v49
	v_lshlrev_b32_e32 v11, 20, v11
	v_lshl_add_u32 v47, v47, 23, 0x3c000000
	v_and_b32_e32 v50, 0x80000000, v50
	v_or3_b32 v47, v11, v50, v47
.LBB333_120:                            ;   in Loop: Header=BB333_13 Depth=1
	s_or_b32 exec_lo, exec_lo, s51
.LBB333_121:                            ;   in Loop: Header=BB333_13 Depth=1
	s_or_b32 exec_lo, exec_lo, s50
.LBB333_122:                            ;   in Loop: Header=BB333_13 Depth=1
	s_or_b32 exec_lo, exec_lo, s49
	v_cmp_ne_u16_sdwa s2, v49, v12 src0_sel:BYTE_1 src1_sel:DWORD
	s_and_saveexec_b32 s49, s2
	s_cbranch_execz .LBB333_130
; %bb.123:                              ;   in Loop: Header=BB333_13 Depth=1
	v_cmp_ne_u16_sdwa s2, v49, v29 src0_sel:BYTE_1 src1_sel:DWORD
	v_bfrev_b32_e32 v48, 1
	s_and_saveexec_b32 s50, s2
	s_cbranch_execz .LBB333_129
; %bb.124:                              ;   in Loop: Header=BB333_13 Depth=1
	v_and_b32_sdwa v11, v30, v49 dst_sel:DWORD dst_unused:UNUSED_PAD src0_sel:DWORD src1_sel:BYTE_1
	v_mov_b32_e32 v48, 0x7f800001
	s_mov_b32 s51, exec_lo
	v_and_b32_e32 v50, 0x7f, v11
	v_cmpx_ne_u32_e32 0x7f, v50
	s_cbranch_execz .LBB333_128
; %bb.125:                              ;   in Loop: Header=BB333_13 Depth=1
	v_and_b32_e32 v11, 7, v11
	v_lshrrev_b32_e32 v48, 3, v50
	s_mov_b32 s52, exec_lo
	v_cmpx_gt_u32_e32 8, v50
; %bb.126:                              ;   in Loop: Header=BB333_13 Depth=1
	v_ffbh_u32_e32 v48, v11
	v_min_u32_e32 v48, 32, v48
	v_subrev_nc_u32_e32 v50, 28, v48
	v_sub_nc_u32_e32 v48, 29, v48
	v_lshlrev_b64 v[50:51], v50, v[11:12]
	v_and_b32_e32 v11, 7, v50
; %bb.127:                              ;   in Loop: Header=BB333_13 Depth=1
	s_or_b32 exec_lo, exec_lo, s52
	v_lshlrev_b32_e32 v49, 16, v49
	v_lshlrev_b32_e32 v11, 20, v11
	v_lshl_add_u32 v48, v48, 23, 0x3c000000
	v_and_b32_e32 v49, 0x80000000, v49
	v_or3_b32 v48, v11, v49, v48
.LBB333_128:                            ;   in Loop: Header=BB333_13 Depth=1
	s_or_b32 exec_lo, exec_lo, s51
.LBB333_129:                            ;   in Loop: Header=BB333_13 Depth=1
	s_or_b32 exec_lo, exec_lo, s50
.LBB333_130:                            ;   in Loop: Header=BB333_13 Depth=1
	s_or_b32 exec_lo, exec_lo, s49
	global_load_ushort v11, v[19:20], off offset:392
	v_mov_b32_e32 v50, 0
	v_mov_b32_e32 v49, 0
	s_waitcnt vmcnt(0)
	v_and_b32_e32 v51, 0xffff, v11
	v_cmp_ne_u16_sdwa s2, v11, v12 src0_sel:BYTE_0 src1_sel:DWORD
	s_and_saveexec_b32 s49, s2
	s_cbranch_execz .LBB333_138
; %bb.131:                              ;   in Loop: Header=BB333_13 Depth=1
	v_cmp_ne_u16_sdwa s2, v51, v29 src0_sel:BYTE_0 src1_sel:DWORD
	v_bfrev_b32_e32 v49, 1
	s_and_saveexec_b32 s50, s2
	s_cbranch_execz .LBB333_137
; %bb.132:                              ;   in Loop: Header=BB333_13 Depth=1
	v_and_b32_e32 v52, 0x7f, v51
	v_mov_b32_e32 v49, 0x7f800001
	s_mov_b32 s51, exec_lo
	v_cmpx_ne_u32_e32 0x7f, v52
	s_cbranch_execz .LBB333_136
; %bb.133:                              ;   in Loop: Header=BB333_13 Depth=1
	v_and_b32_e32 v11, 7, v51
	v_lshrrev_b32_e32 v49, 3, v52
	s_mov_b32 s52, exec_lo
	v_cmpx_gt_u32_e32 8, v52
; %bb.134:                              ;   in Loop: Header=BB333_13 Depth=1
	v_ffbh_u32_e32 v49, v11
	v_min_u32_e32 v49, 32, v49
	v_subrev_nc_u32_e32 v52, 28, v49
	v_sub_nc_u32_e32 v49, 29, v49
	v_lshlrev_b64 v[52:53], v52, v[11:12]
	v_and_b32_e32 v11, 7, v52
; %bb.135:                              ;   in Loop: Header=BB333_13 Depth=1
	s_or_b32 exec_lo, exec_lo, s52
	v_lshlrev_b32_e32 v52, 24, v51
	v_lshlrev_b32_e32 v11, 20, v11
	v_lshl_add_u32 v49, v49, 23, 0x3c000000
	v_and_b32_e32 v52, 0x80000000, v52
	v_or3_b32 v49, v11, v52, v49
.LBB333_136:                            ;   in Loop: Header=BB333_13 Depth=1
	s_or_b32 exec_lo, exec_lo, s51
.LBB333_137:                            ;   in Loop: Header=BB333_13 Depth=1
	s_or_b32 exec_lo, exec_lo, s50
.LBB333_138:                            ;   in Loop: Header=BB333_13 Depth=1
	s_or_b32 exec_lo, exec_lo, s49
	v_cmp_ne_u16_sdwa s2, v51, v12 src0_sel:BYTE_1 src1_sel:DWORD
	s_and_saveexec_b32 s49, s2
	s_cbranch_execz .LBB333_146
; %bb.139:                              ;   in Loop: Header=BB333_13 Depth=1
	v_cmp_ne_u16_sdwa s2, v51, v29 src0_sel:BYTE_1 src1_sel:DWORD
	v_bfrev_b32_e32 v50, 1
	s_and_saveexec_b32 s50, s2
	s_cbranch_execz .LBB333_145
; %bb.140:                              ;   in Loop: Header=BB333_13 Depth=1
	v_and_b32_sdwa v11, v30, v51 dst_sel:DWORD dst_unused:UNUSED_PAD src0_sel:DWORD src1_sel:BYTE_1
	v_mov_b32_e32 v50, 0x7f800001
	s_mov_b32 s51, exec_lo
	v_and_b32_e32 v52, 0x7f, v11
	v_cmpx_ne_u32_e32 0x7f, v52
	s_cbranch_execz .LBB333_144
; %bb.141:                              ;   in Loop: Header=BB333_13 Depth=1
	v_and_b32_e32 v11, 7, v11
	v_lshrrev_b32_e32 v50, 3, v52
	s_mov_b32 s52, exec_lo
	v_cmpx_gt_u32_e32 8, v52
; %bb.142:                              ;   in Loop: Header=BB333_13 Depth=1
	v_ffbh_u32_e32 v50, v11
	v_min_u32_e32 v50, 32, v50
	v_subrev_nc_u32_e32 v52, 28, v50
	v_sub_nc_u32_e32 v50, 29, v50
	v_lshlrev_b64 v[52:53], v52, v[11:12]
	v_and_b32_e32 v11, 7, v52
; %bb.143:                              ;   in Loop: Header=BB333_13 Depth=1
	s_or_b32 exec_lo, exec_lo, s52
	v_lshlrev_b32_e32 v51, 16, v51
	v_lshlrev_b32_e32 v11, 20, v11
	v_lshl_add_u32 v50, v50, 23, 0x3c000000
	v_and_b32_e32 v51, 0x80000000, v51
	v_or3_b32 v50, v11, v51, v50
.LBB333_144:                            ;   in Loop: Header=BB333_13 Depth=1
	s_or_b32 exec_lo, exec_lo, s51
.LBB333_145:                            ;   in Loop: Header=BB333_13 Depth=1
	s_or_b32 exec_lo, exec_lo, s50
.LBB333_146:                            ;   in Loop: Header=BB333_13 Depth=1
	s_or_b32 exec_lo, exec_lo, s49
	global_load_ushort v11, v[19:20], off offset:512
	v_mov_b32_e32 v52, 0
	v_mov_b32_e32 v51, 0
	s_waitcnt vmcnt(0)
	v_and_b32_e32 v53, 0xffff, v11
	v_cmp_ne_u16_sdwa s2, v11, v12 src0_sel:BYTE_0 src1_sel:DWORD
	s_and_saveexec_b32 s49, s2
	s_cbranch_execz .LBB333_154
; %bb.147:                              ;   in Loop: Header=BB333_13 Depth=1
	v_cmp_ne_u16_sdwa s2, v53, v29 src0_sel:BYTE_0 src1_sel:DWORD
	v_bfrev_b32_e32 v51, 1
	s_and_saveexec_b32 s50, s2
	s_cbranch_execz .LBB333_153
; %bb.148:                              ;   in Loop: Header=BB333_13 Depth=1
	v_and_b32_e32 v54, 0x7f, v53
	v_mov_b32_e32 v51, 0x7f800001
	s_mov_b32 s51, exec_lo
	v_cmpx_ne_u32_e32 0x7f, v54
	s_cbranch_execz .LBB333_152
; %bb.149:                              ;   in Loop: Header=BB333_13 Depth=1
	v_and_b32_e32 v11, 7, v53
	v_lshrrev_b32_e32 v51, 3, v54
	s_mov_b32 s52, exec_lo
	v_cmpx_gt_u32_e32 8, v54
; %bb.150:                              ;   in Loop: Header=BB333_13 Depth=1
	v_ffbh_u32_e32 v51, v11
	v_min_u32_e32 v51, 32, v51
	v_subrev_nc_u32_e32 v54, 28, v51
	v_sub_nc_u32_e32 v51, 29, v51
	v_lshlrev_b64 v[54:55], v54, v[11:12]
	v_and_b32_e32 v11, 7, v54
; %bb.151:                              ;   in Loop: Header=BB333_13 Depth=1
	s_or_b32 exec_lo, exec_lo, s52
	v_lshlrev_b32_e32 v54, 24, v53
	v_lshlrev_b32_e32 v11, 20, v11
	v_lshl_add_u32 v51, v51, 23, 0x3c000000
	v_and_b32_e32 v54, 0x80000000, v54
	v_or3_b32 v51, v11, v54, v51
.LBB333_152:                            ;   in Loop: Header=BB333_13 Depth=1
	s_or_b32 exec_lo, exec_lo, s51
.LBB333_153:                            ;   in Loop: Header=BB333_13 Depth=1
	s_or_b32 exec_lo, exec_lo, s50
.LBB333_154:                            ;   in Loop: Header=BB333_13 Depth=1
	s_or_b32 exec_lo, exec_lo, s49
	v_cmp_ne_u16_sdwa s2, v53, v12 src0_sel:BYTE_1 src1_sel:DWORD
	s_and_saveexec_b32 s49, s2
	s_cbranch_execz .LBB333_162
; %bb.155:                              ;   in Loop: Header=BB333_13 Depth=1
	v_cmp_ne_u16_sdwa s2, v53, v29 src0_sel:BYTE_1 src1_sel:DWORD
	v_bfrev_b32_e32 v52, 1
	s_and_saveexec_b32 s50, s2
	s_cbranch_execz .LBB333_161
; %bb.156:                              ;   in Loop: Header=BB333_13 Depth=1
	v_and_b32_sdwa v11, v30, v53 dst_sel:DWORD dst_unused:UNUSED_PAD src0_sel:DWORD src1_sel:BYTE_1
	v_mov_b32_e32 v52, 0x7f800001
	s_mov_b32 s51, exec_lo
	v_and_b32_e32 v54, 0x7f, v11
	v_cmpx_ne_u32_e32 0x7f, v54
	s_cbranch_execz .LBB333_160
; %bb.157:                              ;   in Loop: Header=BB333_13 Depth=1
	v_and_b32_e32 v11, 7, v11
	v_lshrrev_b32_e32 v52, 3, v54
	s_mov_b32 s52, exec_lo
	v_cmpx_gt_u32_e32 8, v54
; %bb.158:                              ;   in Loop: Header=BB333_13 Depth=1
	v_ffbh_u32_e32 v52, v11
	v_min_u32_e32 v52, 32, v52
	v_subrev_nc_u32_e32 v54, 28, v52
	v_sub_nc_u32_e32 v52, 29, v52
	v_lshlrev_b64 v[54:55], v54, v[11:12]
	v_and_b32_e32 v11, 7, v54
; %bb.159:                              ;   in Loop: Header=BB333_13 Depth=1
	s_or_b32 exec_lo, exec_lo, s52
	v_lshlrev_b32_e32 v53, 16, v53
	v_lshlrev_b32_e32 v11, 20, v11
	v_lshl_add_u32 v52, v52, 23, 0x3c000000
	v_and_b32_e32 v53, 0x80000000, v53
	v_or3_b32 v52, v11, v53, v52
.LBB333_160:                            ;   in Loop: Header=BB333_13 Depth=1
	s_or_b32 exec_lo, exec_lo, s51
.LBB333_161:                            ;   in Loop: Header=BB333_13 Depth=1
	s_or_b32 exec_lo, exec_lo, s50
.LBB333_162:                            ;   in Loop: Header=BB333_13 Depth=1
	s_or_b32 exec_lo, exec_lo, s49
	global_load_ushort v11, v[19:20], off offset:520
	v_mov_b32_e32 v19, 0
	v_mov_b32_e32 v53, 0
	s_waitcnt vmcnt(0)
	v_and_b32_e32 v20, 0xffff, v11
	v_cmp_ne_u16_sdwa s2, v11, v12 src0_sel:BYTE_0 src1_sel:DWORD
	s_and_saveexec_b32 s49, s2
	s_cbranch_execz .LBB333_170
; %bb.163:                              ;   in Loop: Header=BB333_13 Depth=1
	v_cmp_ne_u16_sdwa s2, v20, v29 src0_sel:BYTE_0 src1_sel:DWORD
	v_bfrev_b32_e32 v53, 1
	s_and_saveexec_b32 s50, s2
	s_cbranch_execz .LBB333_169
; %bb.164:                              ;   in Loop: Header=BB333_13 Depth=1
	v_and_b32_e32 v54, 0x7f, v20
	v_mov_b32_e32 v53, 0x7f800001
	s_mov_b32 s51, exec_lo
	v_cmpx_ne_u32_e32 0x7f, v54
	s_cbranch_execz .LBB333_168
; %bb.165:                              ;   in Loop: Header=BB333_13 Depth=1
	v_and_b32_e32 v11, 7, v20
	v_lshrrev_b32_e32 v53, 3, v54
	s_mov_b32 s52, exec_lo
	v_cmpx_gt_u32_e32 8, v54
; %bb.166:                              ;   in Loop: Header=BB333_13 Depth=1
	v_ffbh_u32_e32 v53, v11
	v_min_u32_e32 v53, 32, v53
	v_subrev_nc_u32_e32 v54, 28, v53
	v_sub_nc_u32_e32 v53, 29, v53
	v_lshlrev_b64 v[54:55], v54, v[11:12]
	v_and_b32_e32 v11, 7, v54
; %bb.167:                              ;   in Loop: Header=BB333_13 Depth=1
	s_or_b32 exec_lo, exec_lo, s52
	v_lshlrev_b32_e32 v54, 24, v20
	v_lshlrev_b32_e32 v11, 20, v11
	v_lshl_add_u32 v53, v53, 23, 0x3c000000
	v_and_b32_e32 v54, 0x80000000, v54
	v_or3_b32 v53, v11, v54, v53
.LBB333_168:                            ;   in Loop: Header=BB333_13 Depth=1
	s_or_b32 exec_lo, exec_lo, s51
.LBB333_169:                            ;   in Loop: Header=BB333_13 Depth=1
	s_or_b32 exec_lo, exec_lo, s50
.LBB333_170:                            ;   in Loop: Header=BB333_13 Depth=1
	s_or_b32 exec_lo, exec_lo, s49
	v_cmp_ne_u16_sdwa s2, v20, v12 src0_sel:BYTE_1 src1_sel:DWORD
	s_and_saveexec_b32 s49, s2
	s_cbranch_execz .LBB333_178
; %bb.171:                              ;   in Loop: Header=BB333_13 Depth=1
	v_cmp_ne_u16_sdwa s2, v20, v29 src0_sel:BYTE_1 src1_sel:DWORD
	v_bfrev_b32_e32 v19, 1
	s_and_saveexec_b32 s50, s2
	s_cbranch_execz .LBB333_177
; %bb.172:                              ;   in Loop: Header=BB333_13 Depth=1
	v_and_b32_sdwa v11, v30, v20 dst_sel:DWORD dst_unused:UNUSED_PAD src0_sel:DWORD src1_sel:BYTE_1
	v_mov_b32_e32 v19, 0x7f800001
	s_mov_b32 s51, exec_lo
	v_and_b32_e32 v54, 0x7f, v11
	v_cmpx_ne_u32_e32 0x7f, v54
	s_cbranch_execz .LBB333_176
; %bb.173:                              ;   in Loop: Header=BB333_13 Depth=1
	v_and_b32_e32 v11, 7, v11
	v_lshrrev_b32_e32 v19, 3, v54
	s_mov_b32 s52, exec_lo
	v_cmpx_gt_u32_e32 8, v54
; %bb.174:                              ;   in Loop: Header=BB333_13 Depth=1
	v_ffbh_u32_e32 v19, v11
	v_min_u32_e32 v19, 32, v19
	v_subrev_nc_u32_e32 v54, 28, v19
	v_sub_nc_u32_e32 v19, 29, v19
	v_lshlrev_b64 v[54:55], v54, v[11:12]
	v_and_b32_e32 v11, 7, v54
; %bb.175:                              ;   in Loop: Header=BB333_13 Depth=1
	s_or_b32 exec_lo, exec_lo, s52
	v_lshlrev_b32_e32 v20, 16, v20
	v_lshlrev_b32_e32 v11, 20, v11
	v_lshl_add_u32 v19, v19, 23, 0x3c000000
	v_and_b32_e32 v20, 0x80000000, v20
	v_or3_b32 v19, v11, v20, v19
.LBB333_176:                            ;   in Loop: Header=BB333_13 Depth=1
	s_or_b32 exec_lo, exec_lo, s51
.LBB333_177:                            ;   in Loop: Header=BB333_13 Depth=1
	s_or_b32 exec_lo, exec_lo, s50
.LBB333_178:                            ;   in Loop: Header=BB333_13 Depth=1
	s_or_b32 exec_lo, exec_lo, s49
	s_waitcnt lgkmcnt(0)
	v_mul_f32_e32 v11, s48, v53
	v_mul_f32_e32 v20, s48, v52
	;; [unrolled: 1-line block ×5, first 2 shown]
	v_bfe_u32 v52, v11, 16, 1
	v_bfe_u32 v53, v20, 16, 1
	v_or_b32_e32 v54, 0x400000, v11
	v_cmp_u_f32_e64 s2, v11, v11
	v_or_b32_e32 v55, 0x400000, v20
	v_add3_u32 v52, v52, v11, 0x7fff
	v_bfe_u32 v56, v51, 16, 1
	v_add3_u32 v53, v53, v20, 0x7fff
	v_bfe_u32 v57, v50, 16, 1
	v_mul_f32_e32 v48, s48, v48
	v_cndmask_b32_e64 v11, v52, v54, s2
	v_cmp_u_f32_e64 s2, v20, v20
	v_add3_u32 v52, v56, v51, 0x7fff
	v_add3_u32 v54, v57, v50, 0x7fff
	v_bfe_u32 v56, v49, 16, 1
	v_mul_f32_e32 v47, s48, v47
	v_cndmask_b32_e64 v20, v53, v55, s2
	v_or_b32_e32 v53, 0x400000, v51
	v_cmp_u_f32_e64 s2, v51, v51
	v_or_b32_e32 v55, 0x400000, v50
	v_mul_f32_e32 v46, s48, v46
	v_mul_f32_e32 v45, s48, v45
	;; [unrolled: 1-line block ×3, first 2 shown]
	v_cndmask_b32_e64 v51, v52, v53, s2
	v_cmp_u_f32_e64 s2, v50, v50
	v_bfe_u32 v52, v48, 16, 1
	v_add3_u32 v53, v56, v49, 0x7fff
	v_bfe_u32 v56, v47, 16, 1
	v_mul_f32_e32 v43, s48, v43
	v_cndmask_b32_e64 v50, v54, v55, s2
	v_or_b32_e32 v54, 0x400000, v49
	v_cmp_u_f32_e64 s2, v49, v49
	v_add3_u32 v52, v52, v48, 0x7fff
	v_or_b32_e32 v55, 0x400000, v48
	v_mul_f32_e32 v42, s48, v42
	v_mul_f32_e32 v41, s48, v41
	v_cndmask_b32_e64 v49, v53, v54, s2
	v_cmp_u_f32_e64 s2, v48, v48
	v_bfe_u32 v53, v46, 16, 1
	v_or_b32_e32 v54, 0x400000, v47
	v_mul_f32_e32 v40, s48, v40
	v_mul_f32_e32 v39, s48, v39
	v_cndmask_b32_e64 v48, v52, v55, s2
	v_add3_u32 v52, v56, v47, 0x7fff
	v_cmp_u_f32_e64 s2, v47, v47
	v_add3_u32 v53, v53, v46, 0x7fff
	v_or_b32_e32 v55, 0x400000, v46
	v_bfe_u32 v56, v45, 16, 1
	v_mul_f32_e32 v38, s48, v38
	v_cndmask_b32_e64 v47, v52, v54, s2
	v_cmp_u_f32_e64 s2, v46, v46
	v_bfe_u32 v52, v44, 16, 1
	v_or_b32_e32 v54, 0x400000, v45
	v_mul_f32_e32 v37, s48, v37
	v_mul_f32_e32 v36, s48, v36
	v_cndmask_b32_e64 v46, v53, v55, s2
	v_add3_u32 v53, v56, v45, 0x7fff
	v_cmp_u_f32_e64 s2, v45, v45
	v_add3_u32 v52, v52, v44, 0x7fff
	v_or_b32_e32 v55, 0x400000, v44
	v_bfe_u32 v56, v43, 16, 1
	v_mul_f32_e32 v35, s48, v35
	v_cndmask_b32_e64 v45, v53, v54, s2
	v_cmp_u_f32_e64 s2, v44, v44
	v_bfe_u32 v53, v42, 16, 1
	v_or_b32_e32 v54, 0x400000, v43
	v_bfe_u32 v57, v36, 16, 1
	v_or_b32_e32 v58, 0x400000, v36
	v_cndmask_b32_e64 v44, v52, v55, s2
	v_add3_u32 v52, v56, v43, 0x7fff
	v_cmp_u_f32_e64 s2, v43, v43
	v_add3_u32 v53, v53, v42, 0x7fff
	v_or_b32_e32 v55, 0x400000, v42
	v_bfe_u32 v56, v39, 16, 1
	v_add3_u32 v57, v57, v36, 0x7fff
	v_cndmask_b32_e64 v43, v52, v54, s2
	v_bfe_u32 v52, v41, 16, 1
	v_cmp_u_f32_e64 s2, v42, v42
	v_bfe_u32 v54, v40, 16, 1
	v_or_b32_e32 v59, 0x400000, v35
	v_mul_f32_e32 v19, s48, v19
	v_add3_u32 v52, v52, v41, 0x7fff
	v_cndmask_b32_e64 v42, v53, v55, s2
	v_or_b32_e32 v53, 0x400000, v41
	v_cmp_u_f32_e64 s2, v41, v41
	v_add3_u32 v54, v54, v40, 0x7fff
	v_or_b32_e32 v55, 0x400000, v40
	v_cndmask_b32_e64 v41, v52, v53, s2
	v_cmp_u_f32_e64 s2, v40, v40
	v_bfe_u32 v52, v38, 16, 1
	v_add3_u32 v53, v56, v39, 0x7fff
	v_bfe_u32 v56, v37, 16, 1
	v_cndmask_b32_e64 v40, v54, v55, s2
	v_add3_u32 v52, v52, v38, 0x7fff
	v_or_b32_e32 v55, 0x400000, v38
	v_cmp_u_f32_e64 s2, v38, v38
	v_or_b32_e32 v54, 0x400000, v39
	v_cndmask_b32_e64 v38, v52, v55, s2
	v_add3_u32 v55, v56, v37, 0x7fff
	v_or_b32_e32 v56, 0x400000, v37
	v_cmp_u_f32_e64 s2, v37, v37
	v_bfe_u32 v52, v35, 16, 1
	v_and_b32_e32 v38, 0xffff0000, v38
	v_cndmask_b32_e64 v37, v55, v56, s2
	v_cmp_u_f32_e64 s2, v36, v36
	v_add3_u32 v52, v52, v35, 0x7fff
	v_lshlrev_b32_e32 v55, 16, v6
	v_and_b32_e32 v6, 0xffff0000, v6
	v_and_b32_e32 v37, 0xffff0000, v37
	v_cndmask_b32_e64 v36, v57, v58, s2
	v_cmp_u_f32_e64 s2, v35, v35
	v_mul_f32_e32 v6, v6, v38
	v_mul_f32_e32 v37, v55, v37
	v_and_b32_e32 v36, 0xffff0000, v36
	v_cndmask_b32_e64 v35, v52, v59, s2
	v_cmp_u_f32_e64 s2, v39, v39
	v_lshlrev_b32_e32 v52, 16, v5
	v_and_b32_e32 v5, 0xffff0000, v5
	v_lshlrev_b32_e32 v39, 16, v7
	v_and_b32_e32 v35, 0xffff0000, v35
	v_cndmask_b32_e64 v38, v53, v54, s2
	v_and_b32_e32 v7, 0xffff0000, v7
	v_fmac_f32_e32 v6, v5, v36
	v_lshlrev_b32_e32 v36, 16, v8
	v_fmac_f32_e32 v37, v52, v35
	v_and_b32_e32 v5, 0xffff0000, v38
	v_and_b32_e32 v35, 0xffff0000, v40
	;; [unrolled: 1-line block ×3, first 2 shown]
	v_lshlrev_b32_e32 v38, 16, v1
	v_and_b32_e32 v1, 0xffff0000, v1
	v_fmac_f32_e32 v37, v39, v5
	v_fmac_f32_e32 v6, v7, v35
	v_and_b32_e32 v5, 0xffff0000, v41
	v_and_b32_e32 v7, 0xffff0000, v42
	v_lshlrev_b32_e32 v35, 16, v2
	v_and_b32_e32 v2, 0xffff0000, v2
	v_lshlrev_b32_e32 v39, 16, v3
	v_fmac_f32_e32 v37, v36, v5
	v_fmac_f32_e32 v6, v8, v7
	v_and_b32_e32 v5, 0xffff0000, v43
	v_and_b32_e32 v7, 0xffff0000, v44
	;; [unrolled: 1-line block ×3, first 2 shown]
	v_lshlrev_b32_e32 v8, 16, v4
	v_and_b32_e32 v4, 0xffff0000, v4
	v_fmac_f32_e32 v37, v38, v5
	v_fmac_f32_e32 v6, v1, v7
	v_and_b32_e32 v1, 0xffff0000, v45
	v_and_b32_e32 v5, 0xffff0000, v46
	v_cmp_u_f32_e64 s2, v19, v19
	v_lshlrev_b32_e32 v36, 16, v17
	v_and_b32_e32 v17, 0xffff0000, v17
	v_fmac_f32_e32 v37, v35, v1
	v_fmac_f32_e32 v6, v2, v5
	v_and_b32_e32 v1, 0xffff0000, v47
	v_and_b32_e32 v2, 0xffff0000, v48
	v_bfe_u32 v35, v19, 16, 1
	v_xor_b32_e32 v5, 2, v21
	v_lshlrev_b32_e32 v7, 16, v18
	v_fmac_f32_e32 v37, v39, v1
	v_fmac_f32_e32 v6, v3, v2
	v_and_b32_e32 v1, 0xffff0000, v49
	v_and_b32_e32 v2, 0xffff0000, v50
	v_add3_u32 v3, v35, v19, 0x7fff
	v_or_b32_e32 v35, 0x400000, v19
	v_fmac_f32_e32 v37, v8, v1
	v_fmac_f32_e32 v6, v4, v2
	v_and_b32_e32 v1, 0xffff0000, v51
	v_and_b32_e32 v2, 0xffff0000, v20
	v_cndmask_b32_e64 v3, v3, v35, s2
	v_and_b32_e32 v4, 0xffff0000, v18
	v_cmp_gt_i32_e64 s2, 32, v5
	v_fmac_f32_e32 v37, v36, v1
	v_fmac_f32_e32 v6, v17, v2
	v_and_b32_e32 v1, 0xffff0000, v11
	v_and_b32_e32 v2, 0xffff0000, v3
	v_cndmask_b32_e64 v3, v21, v5, s2
	v_fmac_f32_e32 v37, v7, v1
	v_fmac_f32_e32 v6, v4, v2
	v_lshlrev_b32_e32 v1, 2, v3
	v_xor_b32_e32 v3, 1, v21
	v_add_f32_e32 v2, v37, v6
	v_cmp_gt_i32_e64 s2, 32, v3
	ds_bpermute_b32 v1, v1, v2
	v_cndmask_b32_e64 v3, v21, v3, s2
	v_lshlrev_b32_e32 v3, 2, v3
	s_waitcnt lgkmcnt(0)
	v_add_f32_e32 v1, v2, v1
	ds_bpermute_b32 v2, v3, v1
	s_and_saveexec_b32 s48, vcc_lo
	s_cbranch_execz .LBB333_11
; %bb.179:                              ;   in Loop: Header=BB333_13 Depth=1
	v_add_nc_u32_e32 v3, v31, v27
	s_waitcnt lgkmcnt(0)
	v_add_f32_e32 v1, v1, v2
	v_cvt_f32_i32_e32 v3, v3
	v_mul_f32_e32 v3, s45, v3
	v_cndmask_b32_e64 v2, 0, v3, s1
	v_max_f32_e32 v3, v24, v24
	v_fmac_f32_e32 v2, s41, v1
	v_add_nc_u32_e32 v1, v25, v27
	v_max_f32_e32 v3, v3, v2
	v_cmp_gt_i32_e64 s2, s33, v1
	v_cndmask_b32_e64 v1, 0, v2, s2
	v_cndmask_b32_e64 v24, v24, v3, s2
	ds_write_b32 v32, v1
	s_branch .LBB333_11
.LBB333_180:
	s_or_b32 exec_lo, exec_lo, s46
.LBB333_181:
	s_or_b32 exec_lo, exec_lo, s14
	v_xor_b32_e32 v1, 16, v21
	v_xor_b32_e32 v3, 8, v21
	v_max_f32_e32 v4, v24, v24
	v_xor_b32_e32 v5, 4, v21
	v_cmp_gt_i32_e32 vcc_lo, 32, v1
	v_cndmask_b32_e32 v1, v21, v1, vcc_lo
	v_cmp_gt_i32_e32 vcc_lo, 32, v3
	s_waitcnt lgkmcnt(0)
	v_lshlrev_b32_e32 v2, 2, v1
	v_cndmask_b32_e32 v3, v21, v3, vcc_lo
	v_cmp_gt_i32_e32 vcc_lo, 32, v5
	ds_bpermute_b32 v1, v2, v24
	v_lshlrev_b32_e32 v3, 2, v3
	v_cndmask_b32_e32 v5, v21, v5, vcc_lo
	v_and_b32_e32 v24, 31, v0
	v_lshlrev_b32_e32 v6, 2, v5
	v_cmp_eq_u32_e32 vcc_lo, 0, v24
	s_waitcnt lgkmcnt(0)
	v_max_f32_e32 v1, v1, v1
	v_max_f32_e32 v1, v4, v1
	ds_bpermute_b32 v4, v3, v1
	s_waitcnt lgkmcnt(0)
	v_max_f32_e32 v4, v4, v4
	v_max_f32_e32 v1, v1, v4
	v_lshlrev_b32_e32 v4, 2, v22
	ds_bpermute_b32 v5, v6, v1
	s_and_saveexec_b32 s1, vcc_lo
	s_cbranch_execz .LBB333_183
; %bb.182:
	s_waitcnt lgkmcnt(0)
	v_max_f32_e32 v5, v5, v5
	v_max_f32_e32 v1, v1, v1
	;; [unrolled: 1-line block ×3, first 2 shown]
	ds_write_b32 v4, v1 offset:160
.LBB333_183:
	s_or_b32 exec_lo, exec_lo, s1
	v_cmp_gt_u32_e64 s1, 4, v24
	v_mov_b32_e32 v1, 0xff7fffff
	s_waitcnt lgkmcnt(0)
	v_lshlrev_b32_e32 v5, 2, v24
	s_barrier
	buffer_gl0_inv
	s_and_saveexec_b32 s2, s1
; %bb.184:
	ds_read_b32 v1, v5 offset:160
; %bb.185:
	s_or_b32 exec_lo, exec_lo, s2
	v_xor_b32_e32 v7, 2, v21
	v_xor_b32_e32 v11, 1, v21
	v_lshl_add_u32 v25, v0, 2, 0xc0
	v_cmp_gt_i32_e64 s2, 32, v7
	v_cndmask_b32_e64 v7, v21, v7, s2
	v_cmp_gt_i32_e64 s2, 32, v11
	v_lshlrev_b32_e32 v7, 2, v7
	v_cndmask_b32_e64 v11, v21, v11, s2
	s_sub_i32 s2, s44, s16
	s_lshl_b32 s2, s2, 3
	s_waitcnt lgkmcnt(0)
	ds_bpermute_b32 v8, v7, v1
	v_max_f32_e32 v1, v1, v1
	s_add_i32 s2, s2, s11
	s_min_i32 s2, s2, s33
	s_sub_i32 s4, s2, s11
	v_cmp_gt_i32_e64 s2, s4, v0
	s_waitcnt lgkmcnt(0)
	v_max_f32_e32 v12, v8, v8
	v_lshlrev_b32_e32 v8, 2, v11
	v_max_f32_e32 v1, v1, v12
	ds_bpermute_b32 v11, v8, v1
	s_waitcnt lgkmcnt(0)
	v_max_f32_e32 v11, v11, v11
	v_max_f32_e32 v1, v1, v11
	v_mov_b32_e32 v11, 0
	ds_bpermute_b32 v1, v11, v1
	s_and_saveexec_b32 s5, s2
	s_cbranch_execz .LBB333_189
; %bb.186:
	v_lshl_add_u32 v12, v0, 2, 0xc0
	v_mov_b32_e32 v11, 0
	v_mov_b32_e32 v13, v0
	s_mov_b32 s11, 0
	.p2align	6
.LBB333_187:                            ; =>This Inner Loop Header: Depth=1
	ds_read_b32 v14, v12
	v_add_nc_u32_e32 v13, 0x80, v13
	v_cmp_le_i32_e64 s3, s4, v13
	s_or_b32 s11, s3, s11
	s_waitcnt lgkmcnt(0)
	v_sub_f32_e32 v14, v14, v1
	v_mul_f32_e32 v14, 0x3fb8aa3b, v14
	v_exp_f32_e32 v14, v14
	ds_write_b32 v12, v14
	v_add_f32_e32 v11, v11, v14
	v_add_nc_u32_e32 v12, 0x200, v12
	s_andn2_b32 exec_lo, exec_lo, s11
	s_cbranch_execnz .LBB333_187
; %bb.188:
	s_or_b32 exec_lo, exec_lo, s11
.LBB333_189:
	s_or_b32 exec_lo, exec_lo, s5
	ds_bpermute_b32 v2, v2, v11
	s_waitcnt lgkmcnt(0)
	v_add_f32_e32 v2, v11, v2
	ds_bpermute_b32 v3, v3, v2
	s_waitcnt lgkmcnt(0)
	v_add_f32_e32 v2, v2, v3
	;; [unrolled: 3-line block ×5, first 2 shown]
	s_and_saveexec_b32 s3, vcc_lo
; %bb.190:
	ds_write_b32 v4, v2 offset:176
; %bb.191:
	s_or_b32 exec_lo, exec_lo, s3
	s_waitcnt lgkmcnt(0)
	s_barrier
	buffer_gl0_inv
	s_and_saveexec_b32 s3, s1
; %bb.192:
	ds_read_b32 v2, v5 offset:176
; %bb.193:
	s_or_b32 exec_lo, exec_lo, s3
	s_waitcnt lgkmcnt(0)
	ds_bpermute_b32 v3, v7, v2
	s_waitcnt lgkmcnt(0)
	v_add_f32_e32 v2, v2, v3
	ds_bpermute_b32 v3, v8, v2
	s_waitcnt lgkmcnt(0)
	v_add_f32_e32 v2, v2, v3
	v_mov_b32_e32 v3, 0
	ds_bpermute_b32 v2, v3, v2
	s_and_saveexec_b32 s1, s2
	s_cbranch_execz .LBB333_196
; %bb.194:
	s_waitcnt lgkmcnt(0)
	v_add_f32_e32 v4, 0x358637bd, v2
	s_mov_b32 s2, 0
	v_div_scale_f32 v3, null, v4, v4, 1.0
	v_div_scale_f32 v7, vcc_lo, 1.0, v4, 1.0
	v_rcp_f32_e32 v5, v3
	v_fma_f32 v6, -v3, v5, 1.0
	v_fmac_f32_e32 v5, v6, v5
	v_mul_f32_e32 v6, v7, v5
	v_fma_f32 v8, -v3, v6, v7
	v_fmac_f32_e32 v6, v8, v5
	v_fma_f32 v3, -v3, v6, v7
	v_div_fmas_f32 v5, v3, v5, v6
	v_mov_b32_e32 v3, v25
	v_div_fixup_f32 v4, v5, v4, 1.0
	v_mov_b32_e32 v5, v0
.LBB333_195:                            ; =>This Inner Loop Header: Depth=1
	ds_read_b32 v6, v3
	v_add_nc_u32_e32 v5, 0x80, v5
	v_cmp_le_i32_e32 vcc_lo, s4, v5
	s_or_b32 s2, vcc_lo, s2
	s_waitcnt lgkmcnt(0)
	v_mul_f32_e32 v6, v4, v6
	ds_write_b32 v3, v6
	v_add_nc_u32_e32 v3, 0x200, v3
	s_andn2_b32 exec_lo, exec_lo, s2
	s_cbranch_execnz .LBB333_195
.LBB333_196:
	s_or_b32 exec_lo, exec_lo, s1
	s_mul_i32 s1, s19, s10
	s_waitcnt lgkmcnt(0)
	s_mul_i32 s20, s1, s9
	s_mov_b32 s1, exec_lo
	s_barrier
	buffer_gl0_inv
	v_cmpx_eq_u32_e32 0, v0
	s_cbranch_execz .LBB333_198
; %bb.197:
	s_ashr_i32 s21, s20, 31
	s_mul_i32 s4, s19, s6
	s_lshl_b64 s[2:3], s[20:21], 2
	v_mov_b32_e32 v3, 0
	s_add_u32 s6, s26, s2
	s_addc_u32 s9, s27, s3
	s_ashr_i32 s5, s4, 31
	s_lshl_b64 s[4:5], s[4:5], 2
	s_add_u32 s6, s6, s4
	s_addc_u32 s14, s9, s5
	s_ashr_i32 s9, s8, 31
	s_lshl_b64 s[10:11], s[8:9], 2
	s_add_u32 s26, s6, s10
	s_addc_u32 s27, s14, s11
	s_add_u32 s2, s24, s2
	s_addc_u32 s3, s25, s3
	;; [unrolled: 2-line block ×4, first 2 shown]
	global_store_dword v3, v1, s[26:27]
	global_store_dword v3, v2, s[2:3]
.LBB333_198:
	s_or_b32 exec_lo, exec_lo, s1
	v_mov_b32_e32 v28, 0
	v_or_b32_e32 v29, 64, v24
	v_mov_b32_e32 v27, 0
	v_mov_b32_e32 v26, 0
	s_and_saveexec_b32 s21, s0
	s_cbranch_execz .LBB333_392
; %bb.199:
	s_sub_i32 s41, s15, s17
	s_ashr_i32 s0, s12, 31
	s_add_u32 s24, s38, s12
	s_addc_u32 s25, s39, s0
	s_abs_i32 s38, s18
	v_lshlrev_b32_e32 v30, 3, v24
	v_cvt_f32_u32_e32 v1, s38
	s_sub_i32 s0, 0, s38
	v_mov_b32_e32 v11, 0
	v_lshlrev_b32_e32 v31, 3, v29
	v_lshl_add_u32 v32, v22, 5, 0xc0
	v_rcp_iflag_f32_e32 v1, v1
	v_mov_b32_e32 v33, 0x80
	v_mov_b32_e32 v34, 0xffff
	;; [unrolled: 1-line block ×8, first 2 shown]
	s_mov_b32 s26, -1
	v_mul_f32_e32 v1, 0x4f7ffffe, v1
	s_mov_b32 s39, s13
	s_mov_b32 s27, 0xffffff
	v_cmp_gt_u32_e32 vcc_lo, 0x50, v29
	v_cvt_u32_f32_e32 v3, v1
	v_lshlrev_b64 v[1:2], 2, v[9:10]
	v_mul_lo_u32 v4, s0, v3
	s_lshl_b64 s[0:1], s[36:37], 2
	s_add_i32 s36, s7, -1
	s_add_u32 s0, s34, s0
	s_addc_u32 s1, s35, s1
	v_add_co_u32 v12, s0, s0, v1
	v_add_co_ci_u32_e64 v13, null, s1, v2, s0
	v_mul_hi_u32 v4, v3, v4
	s_mov_b32 s34, 0
	v_add_nc_u32_e32 v38, v3, v4
	s_branch .LBB333_203
.LBB333_200:                            ;   in Loop: Header=BB333_203 Depth=1
	s_or_b32 exec_lo, exec_lo, s18
	v_perm_b32 v46, v48, v47, 0x7060302
	v_perm_b32 v47, v50, v49, 0x7060302
	v_lshlrev_b32_e32 v45, 16, v45
	v_lshlrev_b32_e32 v15, 16, v15
	v_perm_b32 v48, v52, v51, 0x7060302
	v_and_b32_e32 v50, 0xffff0000, v46
	v_lshlrev_b32_e32 v46, 16, v46
	v_lshlrev_b32_e32 v10, 16, v10
	;; [unrolled: 1-line block ×3, first 2 shown]
	v_perm_b32 v49, v54, v53, 0x7060302
	v_mul_f32_e32 v45, v50, v45
	v_and_b32_e32 v50, 0xffff0000, v47
	v_lshlrev_b32_e32 v47, 16, v47
	v_mul_f32_e32 v15, v46, v15
	v_and_b32_e32 v46, 0xffff0000, v48
	v_bfe_u32 v51, v45, 16, 1
	v_mul_f32_e32 v10, v50, v10
	v_mul_f32_e32 v14, v47, v14
	v_bfe_u32 v47, v15, 16, 1
	v_or_b32_e32 v50, 0x400000, v45
	v_add3_u32 v51, v51, v45, 0x7fff
	v_cmp_u_f32_e64 s0, v45, v45
	v_or_b32_e32 v52, 0x400000, v15
	v_bfe_u32 v53, v10, 16, 1
	v_add3_u32 v47, v47, v15, 0x7fff
	v_lshlrev_b32_e32 v2, 16, v2
	v_cndmask_b32_e64 v45, v51, v50, s0
	v_cmp_u_f32_e64 s0, v15, v15
	v_or_b32_e32 v50, 0x400000, v10
	v_bfe_u32 v51, v14, 16, 1
	v_mul_f32_e32 v2, v46, v2
	v_lshlrev_b32_e32 v46, 16, v48
	v_cndmask_b32_e64 v15, v47, v52, s0
	v_add3_u32 v47, v53, v10, 0x7fff
	v_lshlrev_b32_e32 v1, 16, v1
	v_cmp_u_f32_e64 s0, v10, v10
	v_or_b32_e32 v48, 0x400000, v14
	v_lshlrev_b32_e32 v4, 16, v4
	v_lshlrev_b32_e32 v3, 16, v3
	v_mul_f32_e32 v1, v46, v1
	v_cndmask_b32_e64 v10, v47, v50, s0
	v_add3_u32 v47, v51, v14, 0x7fff
	v_bfe_u32 v50, v2, 16, 1
	v_and_b32_e32 v46, 0xffff0000, v49
	v_lshlrev_b32_e32 v49, 16, v49
	v_cmp_u_f32_e64 s0, v14, v14
	v_and_b32_e32 v15, 0xffff0000, v15
	v_and_b32_e32 v45, 0xffff0000, v45
	v_mul_f32_e32 v4, v46, v4
	v_mul_f32_e32 v3, v49, v3
	v_cndmask_b32_e64 v14, v47, v48, s0
	v_bfe_u32 v47, v1, 16, 1
	v_add3_u32 v48, v50, v2, 0x7fff
	v_or_b32_e32 v46, 0x400000, v2
	v_cmp_u_f32_e64 s0, v2, v2
	v_or_b32_e32 v49, 0x400000, v1
	v_add3_u32 v47, v47, v1, 0x7fff
	v_bfe_u32 v51, v3, 16, 1
	v_bfe_u32 v50, v4, 16, 1
	v_cndmask_b32_e64 v2, v48, v46, s0
	v_cmp_u_f32_e64 s0, v1, v1
	v_or_b32_e32 v48, 0x400000, v3
	v_and_b32_e32 v14, 0xffff0000, v14
	v_add3_u32 v46, v50, v4, 0x7fff
	v_and_b32_e32 v10, 0xffff0000, v10
	v_cndmask_b32_e64 v1, v47, v49, s0
	v_add3_u32 v47, v51, v3, 0x7fff
	v_cmp_u_f32_e64 s0, v3, v3
	v_or_b32_e32 v49, 0x400000, v4
	v_add_f32_e32 v15, v15, v45
	v_add_f32_e32 v10, v14, v10
	v_and_b32_e32 v1, 0xffff0000, v1
	v_cndmask_b32_e64 v3, v47, v48, s0
	v_cmp_u_f32_e64 s0, v4, v4
	v_and_b32_e32 v2, 0xffff0000, v2
	v_add_f32_e32 v10, v10, v15
	v_cndmask_b32_e64 v4, v46, v49, s0
	v_add_f32_e32 v1, v1, v2
	v_and_b32_e32 v2, 0xffff0000, v3
	v_and_b32_e32 v3, 0xffff0000, v4
	v_add_f32_e32 v1, v1, v10
	v_add_f32_e32 v2, v2, v3
	;; [unrolled: 1-line block ×4, first 2 shown]
.LBB333_201:                            ;   in Loop: Header=BB333_203 Depth=1
	s_or_b32 exec_lo, exec_lo, s45
	v_bfe_u32 v1, v21, 16, 1
	v_bfe_u32 v2, v44, 16, 1
	v_or_b32_e32 v3, 0x400000, v21
	v_or_b32_e32 v4, 0x400000, v44
	v_bfe_u32 v10, v43, 16, 1
	v_add3_u32 v1, v1, v21, 0x7fff
	v_add3_u32 v2, v2, v44, 0x7fff
	v_bfe_u32 v14, v42, 16, 1
	v_bfe_u32 v15, v41, 16, 1
	v_or_b32_e32 v21, 0x400000, v41
	v_cndmask_b32_e64 v1, v1, v3, s11
	v_cndmask_b32_e64 v2, v2, v4, s17
	v_add3_u32 v3, v10, v43, 0x7fff
	v_or_b32_e32 v4, 0x400000, v43
	v_add3_u32 v10, v14, v42, 0x7fff
	v_or_b32_e32 v14, 0x400000, v42
	v_add3_u32 v15, v15, v41, 0x7fff
	v_bfe_u32 v41, v20, 16, 1
	v_cndmask_b32_e64 v3, v3, v4, s16
	v_and_b32_e32 v2, 0xffff0000, v2
	v_cndmask_b32_e64 v10, v10, v14, s12
	v_and_b32_e32 v1, 0xffff0000, v1
	;; [unrolled: 2-line block ×3, first 2 shown]
	v_add3_u32 v15, v41, v20, 0x7fff
	v_and_b32_e32 v10, 0xffff0000, v10
	v_or_b32_e32 v20, 0x400000, v20
	v_add_f32_e32 v1, v2, v1
	v_and_b32_e32 v14, 0xffff0000, v14
	v_bfe_u32 v21, v39, 16, 1
	v_add_f32_e32 v2, v10, v3
	v_cndmask_b32_e64 v3, v15, v20, s10
	v_bfe_u32 v15, v19, 16, 1
	v_bfe_u32 v20, v8, 16, 1
	v_add3_u32 v21, v21, v39, 0x7fff
	v_add_f32_e32 v1, v2, v1
	v_bfe_u32 v2, v18, 16, 1
	v_and_b32_e32 v3, 0xffff0000, v3
	v_add3_u32 v15, v15, v19, 0x7fff
	v_or_b32_e32 v19, 0x400000, v19
	v_or_b32_e32 v39, 0x400000, v39
	v_add3_u32 v2, v2, v18, 0x7fff
	v_or_b32_e32 v18, 0x400000, v18
	v_add_f32_e32 v3, v3, v14
	v_bfe_u32 v14, v7, 16, 1
	v_cndmask_b32_e64 v15, v15, v19, s7
	v_bfe_u32 v19, v16, 16, 1
	v_cndmask_b32_e64 v2, v2, v18, s9
	v_bfe_u32 v18, v17, 16, 1
	v_add3_u32 v14, v14, v7, 0x7fff
	v_or_b32_e32 v7, 0x400000, v7
	v_bfe_u32 v4, v40, 16, 1
	v_cndmask_b32_e64 v10, v21, v39, s15
	v_add3_u32 v18, v18, v17, 0x7fff
	v_or_b32_e32 v17, 0x400000, v17
	v_add3_u32 v19, v19, v16, 0x7fff
	v_or_b32_e32 v16, 0x400000, v16
	;; [unrolled: 2-line block ×3, first 2 shown]
	v_bfe_u32 v21, v6, 16, 1
	v_cndmask_b32_e64 v7, v14, v7, s3
	v_cndmask_b32_e64 v14, v18, v17, s4
	v_bfe_u32 v18, v5, 16, 1
	v_add3_u32 v4, v4, v40, 0x7fff
	v_or_b32_e32 v40, 0x400000, v40
	v_cndmask_b32_e64 v16, v19, v16, s5
	v_cndmask_b32_e64 v8, v20, v8, s6
	v_add3_u32 v17, v21, v6, 0x7fff
	v_and_b32_e32 v2, 0xffff0000, v2
	v_and_b32_e32 v15, 0xffff0000, v15
	;; [unrolled: 1-line block ×4, first 2 shown]
	v_or_b32_e32 v6, 0x400000, v6
	v_add3_u32 v18, v18, v5, 0x7fff
	v_or_b32_e32 v5, 0x400000, v5
	v_cndmask_b32_e64 v4, v4, v40, s14
	v_add_f32_e32 v2, v2, v15
	v_add_f32_e32 v7, v14, v7
	v_and_b32_e32 v8, 0xffff0000, v8
	v_and_b32_e32 v14, 0xffff0000, v16
	v_cndmask_b32_e64 v5, v18, v5, s2
	v_cndmask_b32_e64 v6, v17, v6, s1
	v_and_b32_e32 v10, 0xffff0000, v10
	v_and_b32_e32 v4, 0xffff0000, v4
	v_add_f32_e32 v2, v7, v2
	v_add_f32_e32 v7, v8, v14
	v_and_b32_e32 v5, 0xffff0000, v5
	v_and_b32_e32 v6, 0xffff0000, v6
	v_add_f32_e32 v1, v3, v1
	v_add_f32_e32 v3, v10, v4
	;; [unrolled: 1-line block ×8, first 2 shown]
.LBB333_202:                            ;   in Loop: Header=BB333_203 Depth=1
	s_or_b32 exec_lo, exec_lo, s35
	v_add_nc_u32_e32 v9, 4, v9
	v_add_co_u32 v12, s1, v12, 16
	v_add_co_ci_u32_e64 v13, null, 0, v13, s1
	v_cmp_le_i32_e64 s0, s44, v9
	v_add_nc_u32_e32 v23, 32, v23
	v_add_nc_u32_e32 v32, 0x80, v32
	s_or_b32 s34, s0, s34
	s_andn2_b32 exec_lo, exec_lo, s34
	s_cbranch_execz .LBB333_391
.LBB333_203:                            ; =>This Inner Loop Header: Depth=1
	v_sub_nc_u32_e32 v1, 0, v23
	v_max_i32_e32 v1, v23, v1
	v_mul_hi_u32 v2, v1, s42
	v_mul_lo_u32 v3, v2, s29
	v_sub_nc_u32_e32 v1, v1, v3
	v_add_nc_u32_e32 v3, 1, v2
	v_subrev_nc_u32_e32 v4, s29, v1
	v_cmp_le_u32_e64 s0, s29, v1
	v_cndmask_b32_e64 v2, v2, v3, s0
	v_cndmask_b32_e64 v1, v1, v4, s0
	v_ashrrev_i32_e32 v3, 31, v23
	v_add_nc_u32_e32 v4, 1, v2
	v_cmp_le_u32_e64 s0, s29, v1
	v_xor_b32_e32 v3, s40, v3
	v_cndmask_b32_e64 v1, v2, v4, s0
	v_xor_b32_e32 v1, v1, v3
	v_sub_nc_u32_e32 v1, v1, v3
	v_add_nc_u32_e32 v2, s43, v1
	v_cmp_lt_i32_e64 s1, s41, v1
	v_sub_nc_u32_e32 v3, 0, v2
	v_max_i32_e32 v3, v2, v3
	v_ashrrev_i32_e32 v2, 31, v2
	v_mul_hi_u32 v4, v3, v38
	v_mul_lo_u32 v4, v4, s38
	v_sub_nc_u32_e32 v3, v3, v4
	v_subrev_nc_u32_e32 v4, s38, v3
	v_cmp_le_u32_e64 s0, s38, v3
	v_cndmask_b32_e64 v3, v3, v4, s0
	v_subrev_nc_u32_e32 v4, s38, v3
	v_cmp_le_u32_e64 s0, s38, v3
	v_cndmask_b32_e64 v3, v3, v4, s0
	v_xor_b32_e32 v3, v3, v2
	v_sub_nc_u32_e32 v2, v3, v2
	v_cmp_eq_u32_e64 s0, 0, v2
	s_or_b32 s0, s0, s1
	s_and_saveexec_b32 s35, s0
	s_cbranch_execz .LBB333_202
; %bb.204:                              ;   in Loop: Header=BB333_203 Depth=1
	global_load_dword v1, v[12:13], off
	v_mov_b32_e32 v39, 0
	v_mov_b32_e32 v41, 0
	s_waitcnt vmcnt(0)
	v_mad_i64_i32 v[14:15], null, v1, s39, s[24:25]
	v_add_co_u32 v16, s0, v14, v30
	v_add_co_ci_u32_e64 v17, null, 0, v15, s0
	global_load_dwordx2 v[18:19], v[16:17], off
	ds_read2_b64 v[5:8], v32 offset1:1
	ds_read2_b64 v[1:4], v32 offset0:2 offset1:3
	s_load_dword s37, s[22:23], 0x0
	s_waitcnt vmcnt(0)
	v_cmp_ne_u16_sdwa s0, v18, v11 src0_sel:BYTE_0 src1_sel:DWORD
	s_and_saveexec_b32 s1, s0
	s_cbranch_execz .LBB333_210
; %bb.205:                              ;   in Loop: Header=BB333_203 Depth=1
	v_cmp_ne_u16_sdwa s0, v18, v33 src0_sel:BYTE_0 src1_sel:DWORD
	v_bfrev_b32_e32 v41, 1
	s_and_saveexec_b32 s2, s0
	s_cbranch_execz .LBB333_209
; %bb.206:                              ;   in Loop: Header=BB333_203 Depth=1
	v_and_b32_e32 v10, 0x7f, v18
	v_mov_b32_e32 v41, 0x7f800001
	s_mov_b32 s3, exec_lo
	v_cmpx_ne_u32_e32 0x7f, v10
	s_cbranch_execz .LBB333_208
; %bb.207:                              ;   in Loop: Header=BB333_203 Depth=1
	v_and_b32_e32 v20, 7, v18
	v_lshrrev_b32_e32 v21, 3, v10
	v_cmp_gt_u32_e64 s0, 8, v10
	v_ffbh_u32_e32 v20, v20
	v_min_u32_e32 v20, 32, v20
	v_subrev_nc_u32_e32 v40, 28, v20
	v_sub_nc_u32_e32 v20, 29, v20
	v_cndmask_b32_e64 v10, v21, v20, s0
	v_cndmask_b32_e64 v20, 0, v40, s0
	v_lshl_add_u32 v10, v10, 23, 0x3c000000
	v_lshlrev_b64 v[20:21], v20, v[18:19]
	v_lshlrev_b32_e32 v21, 24, v18
	v_lshlrev_b32_e32 v20, 20, v20
	v_and_b32_e32 v21, 0x80000000, v21
	v_and_b32_e32 v20, 0x700000, v20
	v_or3_b32 v41, v20, v21, v10
.LBB333_208:                            ;   in Loop: Header=BB333_203 Depth=1
	s_or_b32 exec_lo, exec_lo, s3
.LBB333_209:                            ;   in Loop: Header=BB333_203 Depth=1
	s_or_b32 exec_lo, exec_lo, s2
.LBB333_210:                            ;   in Loop: Header=BB333_203 Depth=1
	s_or_b32 exec_lo, exec_lo, s1
	v_cmp_ne_u16_sdwa s0, v18, v11 src0_sel:BYTE_1 src1_sel:DWORD
	s_and_saveexec_b32 s1, s0
	s_cbranch_execz .LBB333_218
; %bb.211:                              ;   in Loop: Header=BB333_203 Depth=1
	v_cmp_ne_u16_sdwa s0, v18, v33 src0_sel:BYTE_1 src1_sel:DWORD
	v_bfrev_b32_e32 v39, 1
	s_and_saveexec_b32 s2, s0
	s_cbranch_execz .LBB333_217
; %bb.212:                              ;   in Loop: Header=BB333_203 Depth=1
	v_and_b32_sdwa v10, v34, v18 dst_sel:DWORD dst_unused:UNUSED_PAD src0_sel:DWORD src1_sel:BYTE_1
	v_mov_b32_e32 v39, 0x7f800001
	s_mov_b32 s3, exec_lo
	v_and_b32_e32 v21, 0x7f, v10
	v_cmpx_ne_u32_e32 0x7f, v21
	s_cbranch_execz .LBB333_216
; %bb.213:                              ;   in Loop: Header=BB333_203 Depth=1
	v_and_b32_e32 v10, 7, v10
	v_lshrrev_b32_e32 v20, 3, v21
	s_mov_b32 s4, exec_lo
	v_cmpx_gt_u32_e32 8, v21
; %bb.214:                              ;   in Loop: Header=BB333_203 Depth=1
	v_ffbh_u32_e32 v20, v10
	v_min_u32_e32 v20, 32, v20
	v_subrev_nc_u32_e32 v21, 28, v20
	v_sub_nc_u32_e32 v20, 29, v20
	v_lshlrev_b64 v[39:40], v21, v[10:11]
	v_and_b32_e32 v10, 7, v39
; %bb.215:                              ;   in Loop: Header=BB333_203 Depth=1
	s_or_b32 exec_lo, exec_lo, s4
	v_lshlrev_b32_e32 v21, 16, v18
	v_lshlrev_b32_e32 v10, 20, v10
	v_lshl_add_u32 v20, v20, 23, 0x3c000000
	v_and_b32_e32 v21, 0x80000000, v21
	v_or3_b32 v39, v10, v21, v20
.LBB333_216:                            ;   in Loop: Header=BB333_203 Depth=1
	s_or_b32 exec_lo, exec_lo, s3
.LBB333_217:                            ;   in Loop: Header=BB333_203 Depth=1
	s_or_b32 exec_lo, exec_lo, s2
.LBB333_218:                            ;   in Loop: Header=BB333_203 Depth=1
	s_or_b32 exec_lo, exec_lo, s1
	v_and_b32_sdwa v10, v18, v35 dst_sel:DWORD dst_unused:UNUSED_PAD src0_sel:WORD_1 src1_sel:DWORD
	v_mov_b32_e32 v42, 0
	v_mov_b32_e32 v40, 0
	s_mov_b32 s1, exec_lo
	v_cmpx_ne_u16_e32 0, v10
	s_cbranch_execz .LBB333_226
; %bb.219:                              ;   in Loop: Header=BB333_203 Depth=1
	v_bfrev_b32_e32 v40, 1
	s_mov_b32 s2, exec_lo
	v_cmpx_ne_u16_e32 0x80, v10
	s_cbranch_execz .LBB333_225
; %bb.220:                              ;   in Loop: Header=BB333_203 Depth=1
	v_bfe_u32 v21, v18, 16, 7
	v_mov_b32_e32 v40, 0x7f800001
	s_mov_b32 s3, exec_lo
	v_cmpx_ne_u32_e32 0x7f, v21
	s_cbranch_execz .LBB333_224
; %bb.221:                              ;   in Loop: Header=BB333_203 Depth=1
	v_and_b32_sdwa v10, v18, v36 dst_sel:DWORD dst_unused:UNUSED_PAD src0_sel:WORD_1 src1_sel:DWORD
	v_lshrrev_b32_e32 v20, 3, v21
	s_mov_b32 s4, exec_lo
	v_cmpx_gt_u32_e32 8, v21
; %bb.222:                              ;   in Loop: Header=BB333_203 Depth=1
	v_ffbh_u32_e32 v20, v10
	v_min_u32_e32 v20, 32, v20
	v_subrev_nc_u32_e32 v21, 28, v20
	v_sub_nc_u32_e32 v20, 29, v20
	v_lshlrev_b64 v[43:44], v21, v[10:11]
	v_and_b32_e32 v10, 7, v43
; %bb.223:                              ;   in Loop: Header=BB333_203 Depth=1
	s_or_b32 exec_lo, exec_lo, s4
	v_lshlrev_b32_sdwa v21, v37, v18 dst_sel:DWORD dst_unused:UNUSED_PAD src0_sel:DWORD src1_sel:WORD_1
	v_lshlrev_b32_e32 v10, 20, v10
	v_lshl_add_u32 v20, v20, 23, 0x3c000000
	v_and_b32_e32 v21, 0x80000000, v21
	v_or3_b32 v40, v10, v21, v20
.LBB333_224:                            ;   in Loop: Header=BB333_203 Depth=1
	s_or_b32 exec_lo, exec_lo, s3
.LBB333_225:                            ;   in Loop: Header=BB333_203 Depth=1
	s_or_b32 exec_lo, exec_lo, s2
.LBB333_226:                            ;   in Loop: Header=BB333_203 Depth=1
	s_or_b32 exec_lo, exec_lo, s1
	s_mov_b32 s1, exec_lo
	v_cmpx_lt_u32_e32 0xffffff, v18
	s_cbranch_execz .LBB333_234
; %bb.227:                              ;   in Loop: Header=BB333_203 Depth=1
	v_cmp_ne_u32_sdwa s0, v18, v33 src0_sel:BYTE_3 src1_sel:DWORD
	v_bfrev_b32_e32 v42, 1
	s_and_saveexec_b32 s2, s0
	s_cbranch_execz .LBB333_233
; %bb.228:                              ;   in Loop: Header=BB333_203 Depth=1
	v_bfe_u32 v21, v18, 24, 7
	v_mov_b32_e32 v42, 0x7f800001
	s_mov_b32 s3, exec_lo
	v_cmpx_ne_u32_e32 0x7f, v21
	s_cbranch_execz .LBB333_232
; %bb.229:                              ;   in Loop: Header=BB333_203 Depth=1
	v_and_b32_sdwa v10, v18, v36 dst_sel:DWORD dst_unused:UNUSED_PAD src0_sel:BYTE_3 src1_sel:DWORD
	v_lshrrev_b32_e32 v20, 3, v21
	s_mov_b32 s4, exec_lo
	v_cmpx_gt_u32_e32 8, v21
; %bb.230:                              ;   in Loop: Header=BB333_203 Depth=1
	v_ffbh_u32_e32 v20, v10
	v_min_u32_e32 v20, 32, v20
	v_subrev_nc_u32_e32 v21, 28, v20
	v_sub_nc_u32_e32 v20, 29, v20
	v_lshlrev_b64 v[42:43], v21, v[10:11]
	v_and_b32_e32 v10, 7, v42
; %bb.231:                              ;   in Loop: Header=BB333_203 Depth=1
	s_or_b32 exec_lo, exec_lo, s4
	v_lshlrev_b32_sdwa v21, v37, v18 dst_sel:DWORD dst_unused:UNUSED_PAD src0_sel:DWORD src1_sel:BYTE_3
	v_lshlrev_b32_e32 v10, 20, v10
	v_lshl_add_u32 v20, v20, 23, 0x3c000000
	v_and_b32_e32 v21, 0x80000000, v21
	v_or3_b32 v42, v10, v21, v20
.LBB333_232:                            ;   in Loop: Header=BB333_203 Depth=1
	s_or_b32 exec_lo, exec_lo, s3
.LBB333_233:                            ;   in Loop: Header=BB333_203 Depth=1
	s_or_b32 exec_lo, exec_lo, s2
.LBB333_234:                            ;   in Loop: Header=BB333_203 Depth=1
	s_or_b32 exec_lo, exec_lo, s1
	v_mov_b32_e32 v10, v19
	v_cmp_ne_u16_sdwa s0, v19, v11 src0_sel:BYTE_0 src1_sel:DWORD
	v_mov_b32_e32 v20, 0
	v_mov_b32_e32 v43, 0
	s_and_saveexec_b32 s1, s0
	s_cbranch_execz .LBB333_240
; %bb.235:                              ;   in Loop: Header=BB333_203 Depth=1
	v_cmp_ne_u16_sdwa s0, v19, v33 src0_sel:BYTE_0 src1_sel:DWORD
	v_bfrev_b32_e32 v43, 1
	s_and_saveexec_b32 s2, s0
	s_cbranch_execz .LBB333_239
; %bb.236:                              ;   in Loop: Header=BB333_203 Depth=1
	v_and_b32_e32 v21, 0x7f, v19
	v_mov_b32_e32 v43, 0x7f800001
	s_mov_b32 s3, exec_lo
	v_cmpx_ne_u32_e32 0x7f, v21
	s_cbranch_execz .LBB333_238
; %bb.237:                              ;   in Loop: Header=BB333_203 Depth=1
	v_and_b32_e32 v43, 7, v19
	v_lshrrev_b32_e32 v44, 3, v21
	v_cmp_gt_u32_e64 s0, 8, v21
	v_ffbh_u32_e32 v43, v43
	v_min_u32_e32 v43, 32, v43
	v_subrev_nc_u32_e32 v45, 28, v43
	v_sub_nc_u32_e32 v43, 29, v43
	v_cndmask_b32_e64 v21, v44, v43, s0
	v_cndmask_b32_e64 v43, 0, v45, s0
	v_lshl_add_u32 v21, v21, 23, 0x3c000000
	v_lshlrev_b64 v[43:44], v43, v[10:11]
	v_lshlrev_b32_e32 v44, 24, v10
	v_lshlrev_b32_e32 v43, 20, v43
	v_and_b32_e32 v44, 0x80000000, v44
	v_and_b32_e32 v43, 0x700000, v43
	v_or3_b32 v43, v43, v44, v21
.LBB333_238:                            ;   in Loop: Header=BB333_203 Depth=1
	s_or_b32 exec_lo, exec_lo, s3
.LBB333_239:                            ;   in Loop: Header=BB333_203 Depth=1
	s_or_b32 exec_lo, exec_lo, s2
.LBB333_240:                            ;   in Loop: Header=BB333_203 Depth=1
	s_or_b32 exec_lo, exec_lo, s1
	v_cmp_ne_u16_sdwa s0, v10, v11 src0_sel:BYTE_1 src1_sel:DWORD
	s_and_saveexec_b32 s1, s0
	s_cbranch_execz .LBB333_248
; %bb.241:                              ;   in Loop: Header=BB333_203 Depth=1
	v_cmp_ne_u16_sdwa s0, v10, v33 src0_sel:BYTE_1 src1_sel:DWORD
	v_bfrev_b32_e32 v20, 1
	s_and_saveexec_b32 s2, s0
	s_cbranch_execz .LBB333_247
; %bb.242:                              ;   in Loop: Header=BB333_203 Depth=1
	v_and_b32_sdwa v21, v34, v10 dst_sel:DWORD dst_unused:UNUSED_PAD src0_sel:DWORD src1_sel:BYTE_1
	v_mov_b32_e32 v20, 0x7f800001
	s_mov_b32 s3, exec_lo
	v_and_b32_e32 v45, 0x7f, v21
	v_cmpx_ne_u32_e32 0x7f, v45
	s_cbranch_execz .LBB333_246
; %bb.243:                              ;   in Loop: Header=BB333_203 Depth=1
	v_and_b32_e32 v20, 7, v21
	v_mov_b32_e32 v21, v11
	v_lshrrev_b32_e32 v44, 3, v45
	s_mov_b32 s4, exec_lo
	v_cmpx_gt_u32_e32 8, v45
; %bb.244:                              ;   in Loop: Header=BB333_203 Depth=1
	v_ffbh_u32_e32 v44, v20
	v_min_u32_e32 v44, 32, v44
	v_subrev_nc_u32_e32 v45, 28, v44
	v_sub_nc_u32_e32 v44, 29, v44
	v_lshlrev_b64 v[20:21], v45, v[20:21]
	v_and_b32_e32 v20, 7, v20
; %bb.245:                              ;   in Loop: Header=BB333_203 Depth=1
	s_or_b32 exec_lo, exec_lo, s4
	v_lshlrev_b32_e32 v10, 16, v10
	v_lshlrev_b32_e32 v20, 20, v20
	v_lshl_add_u32 v21, v44, 23, 0x3c000000
	v_and_b32_e32 v10, 0x80000000, v10
	v_or3_b32 v20, v20, v10, v21
.LBB333_246:                            ;   in Loop: Header=BB333_203 Depth=1
	s_or_b32 exec_lo, exec_lo, s3
.LBB333_247:                            ;   in Loop: Header=BB333_203 Depth=1
	s_or_b32 exec_lo, exec_lo, s2
.LBB333_248:                            ;   in Loop: Header=BB333_203 Depth=1
	s_or_b32 exec_lo, exec_lo, s1
	v_and_b32_sdwa v10, v19, v35 dst_sel:DWORD dst_unused:UNUSED_PAD src0_sel:WORD_1 src1_sel:DWORD
	v_mov_b32_e32 v21, 0
	v_mov_b32_e32 v44, 0
	s_mov_b32 s1, exec_lo
	v_cmpx_ne_u16_e32 0, v10
	s_cbranch_execz .LBB333_256
; %bb.249:                              ;   in Loop: Header=BB333_203 Depth=1
	v_bfrev_b32_e32 v44, 1
	s_mov_b32 s2, exec_lo
	v_cmpx_ne_u16_e32 0x80, v10
	s_cbranch_execz .LBB333_255
; %bb.250:                              ;   in Loop: Header=BB333_203 Depth=1
	v_bfe_u32 v45, v19, 16, 7
	v_mov_b32_e32 v44, 0x7f800001
	s_mov_b32 s3, exec_lo
	v_cmpx_ne_u32_e32 0x7f, v45
	s_cbranch_execz .LBB333_254
; %bb.251:                              ;   in Loop: Header=BB333_203 Depth=1
	v_and_b32_sdwa v10, v19, v36 dst_sel:DWORD dst_unused:UNUSED_PAD src0_sel:WORD_1 src1_sel:DWORD
	v_lshrrev_b32_e32 v44, 3, v45
	s_mov_b32 s4, exec_lo
	v_cmpx_gt_u32_e32 8, v45
; %bb.252:                              ;   in Loop: Header=BB333_203 Depth=1
	v_ffbh_u32_e32 v44, v10
	v_min_u32_e32 v44, 32, v44
	v_subrev_nc_u32_e32 v45, 28, v44
	v_sub_nc_u32_e32 v44, 29, v44
	v_lshlrev_b64 v[45:46], v45, v[10:11]
	v_and_b32_e32 v10, 7, v45
; %bb.253:                              ;   in Loop: Header=BB333_203 Depth=1
	s_or_b32 exec_lo, exec_lo, s4
	v_lshlrev_b32_sdwa v45, v37, v19 dst_sel:DWORD dst_unused:UNUSED_PAD src0_sel:DWORD src1_sel:WORD_1
	v_lshlrev_b32_e32 v10, 20, v10
	v_lshl_add_u32 v44, v44, 23, 0x3c000000
	v_and_b32_e32 v45, 0x80000000, v45
	v_or3_b32 v44, v10, v45, v44
.LBB333_254:                            ;   in Loop: Header=BB333_203 Depth=1
	s_or_b32 exec_lo, exec_lo, s3
.LBB333_255:                            ;   in Loop: Header=BB333_203 Depth=1
	s_or_b32 exec_lo, exec_lo, s2
.LBB333_256:                            ;   in Loop: Header=BB333_203 Depth=1
	s_or_b32 exec_lo, exec_lo, s1
	s_mov_b32 s1, exec_lo
	v_cmpx_lt_u64_e64 s[26:27], v[18:19]
	s_cbranch_execz .LBB333_264
; %bb.257:                              ;   in Loop: Header=BB333_203 Depth=1
	v_cmp_ne_u32_sdwa s0, v19, v33 src0_sel:BYTE_3 src1_sel:DWORD
	v_bfrev_b32_e32 v21, 1
	s_and_saveexec_b32 s2, s0
	s_cbranch_execz .LBB333_263
; %bb.258:                              ;   in Loop: Header=BB333_203 Depth=1
	v_bfe_u32 v45, v19, 24, 7
	v_mov_b32_e32 v21, 0x7f800001
	s_mov_b32 s3, exec_lo
	v_cmpx_ne_u32_e32 0x7f, v45
	s_cbranch_execz .LBB333_262
; %bb.259:                              ;   in Loop: Header=BB333_203 Depth=1
	v_and_b32_sdwa v10, v19, v36 dst_sel:DWORD dst_unused:UNUSED_PAD src0_sel:BYTE_3 src1_sel:DWORD
	v_lshrrev_b32_e32 v18, 3, v45
	s_mov_b32 s4, exec_lo
	v_cmpx_gt_u32_e32 8, v45
; %bb.260:                              ;   in Loop: Header=BB333_203 Depth=1
	v_ffbh_u32_e32 v18, v10
	v_min_u32_e32 v18, 32, v18
	v_subrev_nc_u32_e32 v21, 28, v18
	v_sub_nc_u32_e32 v18, 29, v18
	v_lshlrev_b64 v[45:46], v21, v[10:11]
	v_and_b32_e32 v10, 7, v45
; %bb.261:                              ;   in Loop: Header=BB333_203 Depth=1
	s_or_b32 exec_lo, exec_lo, s4
	v_lshlrev_b32_sdwa v19, v37, v19 dst_sel:DWORD dst_unused:UNUSED_PAD src0_sel:DWORD src1_sel:BYTE_3
	v_lshlrev_b32_e32 v10, 20, v10
	v_lshl_add_u32 v18, v18, 23, 0x3c000000
	v_and_b32_e32 v19, 0x80000000, v19
	v_or3_b32 v21, v10, v19, v18
.LBB333_262:                            ;   in Loop: Header=BB333_203 Depth=1
	s_or_b32 exec_lo, exec_lo, s3
.LBB333_263:                            ;   in Loop: Header=BB333_203 Depth=1
	s_or_b32 exec_lo, exec_lo, s2
.LBB333_264:                            ;   in Loop: Header=BB333_203 Depth=1
	s_or_b32 exec_lo, exec_lo, s1
	s_waitcnt lgkmcnt(0)
	v_mul_f32_e32 v10, s37, v20
	v_mul_f32_e32 v18, s37, v43
	;; [unrolled: 1-line block ×5, first 2 shown]
	v_bfe_u32 v20, v10, 16, 1
	v_or_b32_e32 v40, 0x400000, v10
	v_bfe_u32 v43, v18, 16, 1
	v_cmp_u_f32_e64 s1, v10, v10
	v_or_b32_e32 v45, 0x400000, v18
	v_add3_u32 v20, v20, v10, 0x7fff
	v_bfe_u32 v46, v19, 16, 1
	v_add3_u32 v43, v43, v18, 0x7fff
	v_or_b32_e32 v47, 0x400000, v19
	v_mul_f32_e32 v21, s37, v21
	v_cndmask_b32_e64 v10, v20, v40, s1
	v_cmp_u_f32_e64 s1, v18, v18
	v_add3_u32 v46, v46, v19, 0x7fff
	v_bfe_u32 v40, v42, 16, 1
	v_cmp_eq_u32_e64 s0, s36, v9
	v_lshrrev_b32_e32 v20, 16, v10
	v_cndmask_b32_e64 v18, v43, v45, s1
	v_cmp_u_f32_e64 s1, v19, v19
	v_mul_f32_e32 v19, s37, v39
	v_add3_u32 v43, v40, v42, 0x7fff
	v_or_b32_e32 v45, 0x400000, v42
	v_lshrrev_b32_e32 v39, 16, v18
	v_cndmask_b32_e64 v10, v46, v47, s1
	v_cmp_u_f32_e64 s1, v42, v42
	v_mul_f32_e32 v42, s37, v44
	v_bfe_u32 v44, v41, 16, 1
	v_or_b32_e32 v47, 0x400000, v21
	v_lshrrev_b32_e32 v40, 16, v10
	v_bfe_u32 v10, v19, 16, 1
	v_cndmask_b32_e64 v18, v43, v45, s1
	v_or_b32_e32 v43, 0x400000, v19
	v_cmp_u_f32_e64 s1, v19, v19
	v_bfe_u32 v45, v42, 16, 1
	v_add3_u32 v10, v10, v19, 0x7fff
	v_bfe_u32 v19, v21, 16, 1
	v_or_b32_e32 v46, 0x400000, v42
	v_add3_u32 v45, v45, v42, 0x7fff
	v_cndmask_b32_e64 v10, v10, v43, s1
	v_add3_u32 v43, v44, v41, 0x7fff
	v_or_b32_e32 v44, 0x400000, v41
	v_cmp_u_f32_e64 s1, v41, v41
	v_add3_u32 v19, v19, v21, 0x7fff
	v_lshrrev_b32_e32 v41, 16, v18
	v_cndmask_b32_e64 v43, v43, v44, s1
	v_cmp_u_f32_e64 s1, v42, v42
	v_lshrrev_b32_e32 v42, 16, v43
	v_cndmask_b32_e64 v44, v45, v46, s1
	v_cmp_u_f32_e64 s1, v21, v21
	v_lshrrev_b32_e32 v21, 16, v10
	v_lshrrev_b32_e32 v45, 16, v44
	v_cndmask_b32_e64 v19, v19, v47, s1
	v_lshrrev_b32_e32 v46, 16, v19
	s_and_saveexec_b32 s2, s0
	s_cbranch_execz .LBB333_266
; %bb.265:                              ;   in Loop: Header=BB333_203 Depth=1
	v_add_nc_u32_e32 v10, 1, v23
	v_cmp_gt_i32_e64 s1, s33, v23
	v_add_nc_u32_e32 v18, 2, v23
	v_add_nc_u32_e32 v19, 3, v23
	v_cndmask_b32_e64 v42, 0, v42, s1
	v_cmp_gt_i32_e64 s1, s33, v10
	v_add_nc_u32_e32 v10, 4, v23
	v_cndmask_b32_e64 v21, 0, v21, s1
	v_cmp_gt_i32_e64 s1, s33, v18
	;; [unrolled: 3-line block ×5, first 2 shown]
	v_cndmask_b32_e64 v20, 0, v20, s1
	v_cmp_gt_i32_e64 s1, s33, v19
	v_cndmask_b32_e64 v45, 0, v45, s1
	v_cmp_gt_i32_e64 s1, s33, v10
	v_cndmask_b32_e64 v46, 0, v46, s1
.LBB333_266:                            ;   in Loop: Header=BB333_203 Depth=1
	s_or_b32 exec_lo, exec_lo, s2
	global_load_dwordx2 v[16:17], v[16:17], off offset:256
	v_mov_b32_e32 v44, 0
	v_mov_b32_e32 v43, 0
	s_waitcnt vmcnt(0)
	v_cmp_ne_u16_sdwa s1, v16, v11 src0_sel:BYTE_0 src1_sel:DWORD
	s_and_saveexec_b32 s2, s1
	s_cbranch_execz .LBB333_272
; %bb.267:                              ;   in Loop: Header=BB333_203 Depth=1
	v_cmp_ne_u16_sdwa s1, v16, v33 src0_sel:BYTE_0 src1_sel:DWORD
	v_bfrev_b32_e32 v43, 1
	s_and_saveexec_b32 s3, s1
	s_cbranch_execz .LBB333_271
; %bb.268:                              ;   in Loop: Header=BB333_203 Depth=1
	v_and_b32_e32 v10, 0x7f, v16
	v_mov_b32_e32 v43, 0x7f800001
	s_mov_b32 s4, exec_lo
	v_cmpx_ne_u32_e32 0x7f, v10
	s_cbranch_execz .LBB333_270
; %bb.269:                              ;   in Loop: Header=BB333_203 Depth=1
	v_and_b32_e32 v18, 7, v16
	v_lshrrev_b32_e32 v19, 3, v10
	v_cmp_gt_u32_e64 s1, 8, v10
	v_ffbh_u32_e32 v18, v18
	v_min_u32_e32 v18, 32, v18
	v_subrev_nc_u32_e32 v43, 28, v18
	v_sub_nc_u32_e32 v18, 29, v18
	v_cndmask_b32_e64 v10, v19, v18, s1
	v_cndmask_b32_e64 v18, 0, v43, s1
	v_lshl_add_u32 v10, v10, 23, 0x3c000000
	v_lshlrev_b64 v[18:19], v18, v[16:17]
	v_lshlrev_b32_e32 v19, 24, v16
	v_lshlrev_b32_e32 v18, 20, v18
	v_and_b32_e32 v19, 0x80000000, v19
	v_and_b32_e32 v18, 0x700000, v18
	v_or3_b32 v43, v18, v19, v10
.LBB333_270:                            ;   in Loop: Header=BB333_203 Depth=1
	s_or_b32 exec_lo, exec_lo, s4
.LBB333_271:                            ;   in Loop: Header=BB333_203 Depth=1
	s_or_b32 exec_lo, exec_lo, s3
.LBB333_272:                            ;   in Loop: Header=BB333_203 Depth=1
	s_or_b32 exec_lo, exec_lo, s2
	v_cmp_ne_u16_sdwa s1, v16, v11 src0_sel:BYTE_1 src1_sel:DWORD
	s_and_saveexec_b32 s2, s1
	s_cbranch_execz .LBB333_280
; %bb.273:                              ;   in Loop: Header=BB333_203 Depth=1
	v_cmp_ne_u16_sdwa s1, v16, v33 src0_sel:BYTE_1 src1_sel:DWORD
	v_bfrev_b32_e32 v44, 1
	s_and_saveexec_b32 s3, s1
	s_cbranch_execz .LBB333_279
; %bb.274:                              ;   in Loop: Header=BB333_203 Depth=1
	v_and_b32_sdwa v10, v34, v16 dst_sel:DWORD dst_unused:UNUSED_PAD src0_sel:DWORD src1_sel:BYTE_1
	v_mov_b32_e32 v44, 0x7f800001
	s_mov_b32 s4, exec_lo
	v_and_b32_e32 v19, 0x7f, v10
	v_cmpx_ne_u32_e32 0x7f, v19
	s_cbranch_execz .LBB333_278
; %bb.275:                              ;   in Loop: Header=BB333_203 Depth=1
	v_and_b32_e32 v10, 7, v10
	v_lshrrev_b32_e32 v18, 3, v19
	s_mov_b32 s5, exec_lo
	v_cmpx_gt_u32_e32 8, v19
; %bb.276:                              ;   in Loop: Header=BB333_203 Depth=1
	v_ffbh_u32_e32 v18, v10
	v_min_u32_e32 v18, 32, v18
	v_subrev_nc_u32_e32 v19, 28, v18
	v_sub_nc_u32_e32 v18, 29, v18
	v_lshlrev_b64 v[47:48], v19, v[10:11]
	v_and_b32_e32 v10, 7, v47
; %bb.277:                              ;   in Loop: Header=BB333_203 Depth=1
	s_or_b32 exec_lo, exec_lo, s5
	v_lshlrev_b32_e32 v19, 16, v16
	v_lshlrev_b32_e32 v10, 20, v10
	v_lshl_add_u32 v18, v18, 23, 0x3c000000
	v_and_b32_e32 v19, 0x80000000, v19
	v_or3_b32 v44, v10, v19, v18
.LBB333_278:                            ;   in Loop: Header=BB333_203 Depth=1
	s_or_b32 exec_lo, exec_lo, s4
.LBB333_279:                            ;   in Loop: Header=BB333_203 Depth=1
	s_or_b32 exec_lo, exec_lo, s3
.LBB333_280:                            ;   in Loop: Header=BB333_203 Depth=1
	s_or_b32 exec_lo, exec_lo, s2
	v_and_b32_sdwa v10, v16, v35 dst_sel:DWORD dst_unused:UNUSED_PAD src0_sel:WORD_1 src1_sel:DWORD
	v_mov_b32_e32 v48, 0
	v_mov_b32_e32 v47, 0
	s_mov_b32 s2, exec_lo
	v_cmpx_ne_u16_e32 0, v10
	s_cbranch_execz .LBB333_288
; %bb.281:                              ;   in Loop: Header=BB333_203 Depth=1
	v_bfrev_b32_e32 v47, 1
	s_mov_b32 s3, exec_lo
	v_cmpx_ne_u16_e32 0x80, v10
	s_cbranch_execz .LBB333_287
; %bb.282:                              ;   in Loop: Header=BB333_203 Depth=1
	v_bfe_u32 v19, v16, 16, 7
	v_mov_b32_e32 v47, 0x7f800001
	s_mov_b32 s4, exec_lo
	v_cmpx_ne_u32_e32 0x7f, v19
	s_cbranch_execz .LBB333_286
; %bb.283:                              ;   in Loop: Header=BB333_203 Depth=1
	v_and_b32_sdwa v10, v16, v36 dst_sel:DWORD dst_unused:UNUSED_PAD src0_sel:WORD_1 src1_sel:DWORD
	v_lshrrev_b32_e32 v18, 3, v19
	s_mov_b32 s5, exec_lo
	v_cmpx_gt_u32_e32 8, v19
; %bb.284:                              ;   in Loop: Header=BB333_203 Depth=1
	v_ffbh_u32_e32 v18, v10
	v_min_u32_e32 v18, 32, v18
	v_subrev_nc_u32_e32 v19, 28, v18
	v_sub_nc_u32_e32 v18, 29, v18
	v_lshlrev_b64 v[49:50], v19, v[10:11]
	v_and_b32_e32 v10, 7, v49
; %bb.285:                              ;   in Loop: Header=BB333_203 Depth=1
	s_or_b32 exec_lo, exec_lo, s5
	v_lshlrev_b32_sdwa v19, v37, v16 dst_sel:DWORD dst_unused:UNUSED_PAD src0_sel:DWORD src1_sel:WORD_1
	v_lshlrev_b32_e32 v10, 20, v10
	v_lshl_add_u32 v18, v18, 23, 0x3c000000
	v_and_b32_e32 v19, 0x80000000, v19
	v_or3_b32 v47, v10, v19, v18
.LBB333_286:                            ;   in Loop: Header=BB333_203 Depth=1
	s_or_b32 exec_lo, exec_lo, s4
.LBB333_287:                            ;   in Loop: Header=BB333_203 Depth=1
	s_or_b32 exec_lo, exec_lo, s3
.LBB333_288:                            ;   in Loop: Header=BB333_203 Depth=1
	s_or_b32 exec_lo, exec_lo, s2
	s_mov_b32 s2, exec_lo
	v_cmpx_lt_u32_e32 0xffffff, v16
	s_cbranch_execz .LBB333_296
; %bb.289:                              ;   in Loop: Header=BB333_203 Depth=1
	v_cmp_ne_u32_sdwa s1, v16, v33 src0_sel:BYTE_3 src1_sel:DWORD
	v_bfrev_b32_e32 v48, 1
	s_and_saveexec_b32 s3, s1
	s_cbranch_execz .LBB333_295
; %bb.290:                              ;   in Loop: Header=BB333_203 Depth=1
	v_bfe_u32 v19, v16, 24, 7
	v_mov_b32_e32 v48, 0x7f800001
	s_mov_b32 s4, exec_lo
	v_cmpx_ne_u32_e32 0x7f, v19
	s_cbranch_execz .LBB333_294
; %bb.291:                              ;   in Loop: Header=BB333_203 Depth=1
	v_and_b32_sdwa v10, v16, v36 dst_sel:DWORD dst_unused:UNUSED_PAD src0_sel:BYTE_3 src1_sel:DWORD
	v_lshrrev_b32_e32 v18, 3, v19
	s_mov_b32 s5, exec_lo
	v_cmpx_gt_u32_e32 8, v19
; %bb.292:                              ;   in Loop: Header=BB333_203 Depth=1
	v_ffbh_u32_e32 v18, v10
	v_min_u32_e32 v18, 32, v18
	v_subrev_nc_u32_e32 v19, 28, v18
	v_sub_nc_u32_e32 v18, 29, v18
	v_lshlrev_b64 v[48:49], v19, v[10:11]
	v_and_b32_e32 v10, 7, v48
; %bb.293:                              ;   in Loop: Header=BB333_203 Depth=1
	s_or_b32 exec_lo, exec_lo, s5
	v_lshlrev_b32_sdwa v19, v37, v16 dst_sel:DWORD dst_unused:UNUSED_PAD src0_sel:DWORD src1_sel:BYTE_3
	v_lshlrev_b32_e32 v10, 20, v10
	v_lshl_add_u32 v18, v18, 23, 0x3c000000
	v_and_b32_e32 v19, 0x80000000, v19
	v_or3_b32 v48, v10, v19, v18
.LBB333_294:                            ;   in Loop: Header=BB333_203 Depth=1
	s_or_b32 exec_lo, exec_lo, s4
.LBB333_295:                            ;   in Loop: Header=BB333_203 Depth=1
	s_or_b32 exec_lo, exec_lo, s3
.LBB333_296:                            ;   in Loop: Header=BB333_203 Depth=1
	s_or_b32 exec_lo, exec_lo, s2
	v_mov_b32_e32 v10, v17
	v_cmp_ne_u16_sdwa s1, v17, v11 src0_sel:BYTE_0 src1_sel:DWORD
	v_mov_b32_e32 v18, 0
	v_mov_b32_e32 v49, 0
	s_and_saveexec_b32 s2, s1
	s_cbranch_execz .LBB333_302
; %bb.297:                              ;   in Loop: Header=BB333_203 Depth=1
	v_cmp_ne_u16_sdwa s1, v17, v33 src0_sel:BYTE_0 src1_sel:DWORD
	v_bfrev_b32_e32 v49, 1
	s_and_saveexec_b32 s3, s1
	s_cbranch_execz .LBB333_301
; %bb.298:                              ;   in Loop: Header=BB333_203 Depth=1
	v_and_b32_e32 v19, 0x7f, v17
	v_mov_b32_e32 v49, 0x7f800001
	s_mov_b32 s4, exec_lo
	v_cmpx_ne_u32_e32 0x7f, v19
	s_cbranch_execz .LBB333_300
; %bb.299:                              ;   in Loop: Header=BB333_203 Depth=1
	v_and_b32_e32 v49, 7, v17
	v_lshrrev_b32_e32 v50, 3, v19
	v_cmp_gt_u32_e64 s1, 8, v19
	v_ffbh_u32_e32 v49, v49
	v_min_u32_e32 v49, 32, v49
	v_subrev_nc_u32_e32 v51, 28, v49
	v_sub_nc_u32_e32 v49, 29, v49
	v_cndmask_b32_e64 v19, v50, v49, s1
	v_cndmask_b32_e64 v49, 0, v51, s1
	v_lshl_add_u32 v19, v19, 23, 0x3c000000
	v_lshlrev_b64 v[49:50], v49, v[10:11]
	v_lshlrev_b32_e32 v50, 24, v10
	v_lshlrev_b32_e32 v49, 20, v49
	v_and_b32_e32 v50, 0x80000000, v50
	v_and_b32_e32 v49, 0x700000, v49
	v_or3_b32 v49, v49, v50, v19
.LBB333_300:                            ;   in Loop: Header=BB333_203 Depth=1
	s_or_b32 exec_lo, exec_lo, s4
.LBB333_301:                            ;   in Loop: Header=BB333_203 Depth=1
	s_or_b32 exec_lo, exec_lo, s3
.LBB333_302:                            ;   in Loop: Header=BB333_203 Depth=1
	s_or_b32 exec_lo, exec_lo, s2
	v_cmp_ne_u16_sdwa s1, v10, v11 src0_sel:BYTE_1 src1_sel:DWORD
	s_and_saveexec_b32 s2, s1
	s_cbranch_execz .LBB333_310
; %bb.303:                              ;   in Loop: Header=BB333_203 Depth=1
	v_cmp_ne_u16_sdwa s1, v10, v33 src0_sel:BYTE_1 src1_sel:DWORD
	v_bfrev_b32_e32 v18, 1
	s_and_saveexec_b32 s3, s1
	s_cbranch_execz .LBB333_309
; %bb.304:                              ;   in Loop: Header=BB333_203 Depth=1
	v_and_b32_sdwa v19, v34, v10 dst_sel:DWORD dst_unused:UNUSED_PAD src0_sel:DWORD src1_sel:BYTE_1
	v_mov_b32_e32 v18, 0x7f800001
	s_mov_b32 s4, exec_lo
	v_and_b32_e32 v51, 0x7f, v19
	v_cmpx_ne_u32_e32 0x7f, v51
	s_cbranch_execz .LBB333_308
; %bb.305:                              ;   in Loop: Header=BB333_203 Depth=1
	v_and_b32_e32 v18, 7, v19
	v_mov_b32_e32 v19, v11
	v_lshrrev_b32_e32 v50, 3, v51
	s_mov_b32 s5, exec_lo
	v_cmpx_gt_u32_e32 8, v51
; %bb.306:                              ;   in Loop: Header=BB333_203 Depth=1
	v_ffbh_u32_e32 v50, v18
	v_min_u32_e32 v50, 32, v50
	v_subrev_nc_u32_e32 v51, 28, v50
	v_sub_nc_u32_e32 v50, 29, v50
	v_lshlrev_b64 v[18:19], v51, v[18:19]
	v_and_b32_e32 v18, 7, v18
; %bb.307:                              ;   in Loop: Header=BB333_203 Depth=1
	s_or_b32 exec_lo, exec_lo, s5
	v_lshlrev_b32_e32 v10, 16, v10
	v_lshlrev_b32_e32 v18, 20, v18
	v_lshl_add_u32 v19, v50, 23, 0x3c000000
	v_and_b32_e32 v10, 0x80000000, v10
	v_or3_b32 v18, v18, v10, v19
.LBB333_308:                            ;   in Loop: Header=BB333_203 Depth=1
	s_or_b32 exec_lo, exec_lo, s4
.LBB333_309:                            ;   in Loop: Header=BB333_203 Depth=1
	s_or_b32 exec_lo, exec_lo, s3
.LBB333_310:                            ;   in Loop: Header=BB333_203 Depth=1
	s_or_b32 exec_lo, exec_lo, s2
	v_and_b32_sdwa v10, v17, v35 dst_sel:DWORD dst_unused:UNUSED_PAD src0_sel:WORD_1 src1_sel:DWORD
	v_mov_b32_e32 v19, 0
	v_mov_b32_e32 v50, 0
	s_mov_b32 s2, exec_lo
	v_cmpx_ne_u16_e32 0, v10
	s_cbranch_execz .LBB333_318
; %bb.311:                              ;   in Loop: Header=BB333_203 Depth=1
	v_bfrev_b32_e32 v50, 1
	s_mov_b32 s3, exec_lo
	v_cmpx_ne_u16_e32 0x80, v10
	s_cbranch_execz .LBB333_317
; %bb.312:                              ;   in Loop: Header=BB333_203 Depth=1
	v_bfe_u32 v51, v17, 16, 7
	v_mov_b32_e32 v50, 0x7f800001
	s_mov_b32 s4, exec_lo
	v_cmpx_ne_u32_e32 0x7f, v51
	s_cbranch_execz .LBB333_316
; %bb.313:                              ;   in Loop: Header=BB333_203 Depth=1
	v_and_b32_sdwa v10, v17, v36 dst_sel:DWORD dst_unused:UNUSED_PAD src0_sel:WORD_1 src1_sel:DWORD
	v_lshrrev_b32_e32 v50, 3, v51
	s_mov_b32 s5, exec_lo
	v_cmpx_gt_u32_e32 8, v51
; %bb.314:                              ;   in Loop: Header=BB333_203 Depth=1
	v_ffbh_u32_e32 v50, v10
	v_min_u32_e32 v50, 32, v50
	v_subrev_nc_u32_e32 v51, 28, v50
	v_sub_nc_u32_e32 v50, 29, v50
	v_lshlrev_b64 v[51:52], v51, v[10:11]
	v_and_b32_e32 v10, 7, v51
; %bb.315:                              ;   in Loop: Header=BB333_203 Depth=1
	s_or_b32 exec_lo, exec_lo, s5
	v_lshlrev_b32_sdwa v51, v37, v17 dst_sel:DWORD dst_unused:UNUSED_PAD src0_sel:DWORD src1_sel:WORD_1
	v_lshlrev_b32_e32 v10, 20, v10
	v_lshl_add_u32 v50, v50, 23, 0x3c000000
	v_and_b32_e32 v51, 0x80000000, v51
	v_or3_b32 v50, v10, v51, v50
.LBB333_316:                            ;   in Loop: Header=BB333_203 Depth=1
	s_or_b32 exec_lo, exec_lo, s4
.LBB333_317:                            ;   in Loop: Header=BB333_203 Depth=1
	s_or_b32 exec_lo, exec_lo, s3
.LBB333_318:                            ;   in Loop: Header=BB333_203 Depth=1
	s_or_b32 exec_lo, exec_lo, s2
	s_mov_b32 s2, exec_lo
	v_cmpx_lt_u64_e64 s[26:27], v[16:17]
	s_cbranch_execz .LBB333_326
; %bb.319:                              ;   in Loop: Header=BB333_203 Depth=1
	v_cmp_ne_u32_sdwa s1, v17, v33 src0_sel:BYTE_3 src1_sel:DWORD
	v_bfrev_b32_e32 v19, 1
	s_and_saveexec_b32 s3, s1
	s_cbranch_execz .LBB333_325
; %bb.320:                              ;   in Loop: Header=BB333_203 Depth=1
	v_bfe_u32 v51, v17, 24, 7
	v_mov_b32_e32 v19, 0x7f800001
	s_mov_b32 s4, exec_lo
	v_cmpx_ne_u32_e32 0x7f, v51
	s_cbranch_execz .LBB333_324
; %bb.321:                              ;   in Loop: Header=BB333_203 Depth=1
	v_and_b32_sdwa v10, v17, v36 dst_sel:DWORD dst_unused:UNUSED_PAD src0_sel:BYTE_3 src1_sel:DWORD
	v_lshrrev_b32_e32 v16, 3, v51
	s_mov_b32 s5, exec_lo
	v_cmpx_gt_u32_e32 8, v51
; %bb.322:                              ;   in Loop: Header=BB333_203 Depth=1
	v_ffbh_u32_e32 v16, v10
	v_min_u32_e32 v16, 32, v16
	v_subrev_nc_u32_e32 v19, 28, v16
	v_sub_nc_u32_e32 v16, 29, v16
	v_lshlrev_b64 v[51:52], v19, v[10:11]
	v_and_b32_e32 v10, 7, v51
; %bb.323:                              ;   in Loop: Header=BB333_203 Depth=1
	s_or_b32 exec_lo, exec_lo, s5
	v_lshlrev_b32_sdwa v17, v37, v17 dst_sel:DWORD dst_unused:UNUSED_PAD src0_sel:DWORD src1_sel:BYTE_3
	v_lshlrev_b32_e32 v10, 20, v10
	v_lshl_add_u32 v16, v16, 23, 0x3c000000
	v_and_b32_e32 v17, 0x80000000, v17
	v_or3_b32 v19, v10, v17, v16
.LBB333_324:                            ;   in Loop: Header=BB333_203 Depth=1
	s_or_b32 exec_lo, exec_lo, s4
.LBB333_325:                            ;   in Loop: Header=BB333_203 Depth=1
	s_or_b32 exec_lo, exec_lo, s3
.LBB333_326:                            ;   in Loop: Header=BB333_203 Depth=1
	s_or_b32 exec_lo, exec_lo, s2
	v_mul_f32_e32 v10, s37, v18
	v_mul_f32_e32 v16, s37, v49
	;; [unrolled: 1-line block ×5, first 2 shown]
	v_bfe_u32 v47, v10, 16, 1
	v_or_b32_e32 v48, 0x400000, v10
	v_bfe_u32 v49, v16, 16, 1
	v_cmp_u_f32_e64 s1, v10, v10
	v_or_b32_e32 v51, 0x400000, v16
	v_add3_u32 v47, v47, v10, 0x7fff
	v_bfe_u32 v52, v17, 16, 1
	v_add3_u32 v49, v49, v16, 0x7fff
	v_or_b32_e32 v53, 0x400000, v17
	v_bfe_u32 v54, v18, 16, 1
	v_cndmask_b32_e64 v10, v47, v48, s1
	v_cmp_u_f32_e64 s1, v16, v16
	v_add3_u32 v52, v52, v17, 0x7fff
	v_or_b32_e32 v48, 0x400000, v18
	v_add3_u32 v47, v54, v18, 0x7fff
	v_mul_f32_e32 v43, s37, v43
	v_cndmask_b32_e64 v16, v49, v51, s1
	v_cmp_u_f32_e64 s1, v17, v17
	v_bfe_u32 v49, v44, 16, 1
	v_mul_f32_e32 v19, s37, v19
	v_lshrrev_b32_e32 v10, 16, v10
	v_lshrrev_b32_e32 v16, 16, v16
	v_cndmask_b32_e64 v17, v52, v53, s1
	v_cmp_u_f32_e64 s1, v18, v18
	v_or_b32_e32 v53, 0x400000, v19
	v_lshrrev_b32_e32 v17, 16, v17
	v_cndmask_b32_e64 v18, v47, v48, s1
	v_mul_f32_e32 v47, s37, v50
	v_add3_u32 v48, v49, v44, 0x7fff
	v_or_b32_e32 v49, 0x400000, v44
	v_bfe_u32 v50, v43, 16, 1
	v_cmp_u_f32_e64 s1, v44, v44
	v_bfe_u32 v51, v47, 16, 1
	v_or_b32_e32 v52, 0x400000, v47
	v_lshrrev_b32_e32 v57, 16, v18
	v_cndmask_b32_e64 v44, v48, v49, s1
	v_add3_u32 v49, v50, v43, 0x7fff
	v_or_b32_e32 v50, 0x400000, v43
	v_cmp_u_f32_e64 s1, v43, v43
	v_bfe_u32 v48, v19, 16, 1
	v_add3_u32 v51, v51, v47, 0x7fff
	v_cndmask_b32_e64 v43, v49, v50, s1
	v_cmp_u_f32_e64 s1, v47, v47
	v_add3_u32 v48, v48, v19, 0x7fff
	v_lshrrev_b32_e32 v18, 16, v43
	v_cndmask_b32_e64 v47, v51, v52, s1
	v_cmp_u_f32_e64 s1, v19, v19
	v_lshrrev_b32_e32 v19, 16, v44
	v_lshrrev_b32_e32 v55, 16, v47
	v_cndmask_b32_e64 v48, v48, v53, s1
	v_lshrrev_b32_e32 v56, 16, v48
	s_and_saveexec_b32 s2, s0
	s_cbranch_execz .LBB333_328
; %bb.327:                              ;   in Loop: Header=BB333_203 Depth=1
	v_add_nc_u32_e32 v43, 1, v23
	v_cmp_gt_i32_e64 s1, s33, v23
	v_add_nc_u32_e32 v44, 2, v23
	v_add_nc_u32_e32 v47, 3, v23
	v_cndmask_b32_e64 v18, 0, v18, s1
	v_cmp_gt_i32_e64 s1, s33, v43
	v_add_nc_u32_e32 v43, 4, v23
	v_cndmask_b32_e64 v19, 0, v19, s1
	v_cmp_gt_i32_e64 s1, s33, v44
	;; [unrolled: 3-line block ×5, first 2 shown]
	v_cndmask_b32_e64 v10, 0, v10, s1
	v_cmp_gt_i32_e64 s1, s33, v47
	v_cndmask_b32_e64 v55, 0, v55, s1
	v_cmp_gt_i32_e64 s1, s33, v43
	v_cndmask_b32_e64 v56, 0, v56, s1
.LBB333_328:                            ;   in Loop: Header=BB333_203 Depth=1
	s_or_b32 exec_lo, exec_lo, s2
	v_bfe_u32 v43, v5, 16, 1
	v_or_b32_e32 v44, 0x400000, v5
	v_bfe_u32 v47, v6, 16, 1
	v_cmp_u_f32_e64 s1, v5, v5
	v_bfe_u32 v48, v7, 16, 1
	v_add3_u32 v43, v43, v5, 0x7fff
	v_or_b32_e32 v49, 0x400000, v6
	v_add3_u32 v51, v47, v6, 0x7fff
	v_or_b32_e32 v50, 0x400000, v7
	v_add3_u32 v52, v48, v7, 0x7fff
	v_cndmask_b32_e64 v47, v43, v44, s1
	v_cmp_u_f32_e64 s1, v6, v6
	v_bfe_u32 v5, v8, 16, 1
	v_bfe_u32 v6, v1, 16, 1
	;; [unrolled: 1-line block ×3, first 2 shown]
	v_or_b32_e32 v44, 0x400000, v1
	v_cndmask_b32_e64 v48, v51, v49, s1
	v_cmp_u_f32_e64 s1, v7, v7
	v_add3_u32 v5, v5, v8, 0x7fff
	v_or_b32_e32 v7, 0x400000, v8
	v_add3_u32 v6, v6, v1, 0x7fff
	v_lshlrev_b32_e32 v20, 16, v20
	v_cndmask_b32_e64 v49, v52, v50, s1
	v_cmp_u_f32_e64 s1, v8, v8
	v_or_b32_e32 v8, 0x400000, v4
	v_lshlrev_b32_e32 v39, 16, v39
	v_lshlrev_b32_e32 v19, 16, v19
	;; [unrolled: 1-line block ×3, first 2 shown]
	v_cndmask_b32_e64 v50, v5, v7, s1
	v_cmp_u_f32_e64 s1, v1, v1
	v_add3_u32 v5, v43, v2, 0x7fff
	v_or_b32_e32 v7, 0x400000, v2
	v_bfe_u32 v1, v3, 16, 1
	v_lshlrev_b32_e32 v17, 16, v17
	v_cndmask_b32_e64 v51, v6, v44, s1
	v_cmp_u_f32_e64 s1, v2, v2
	v_bfe_u32 v2, v4, 16, 1
	v_add3_u32 v1, v1, v3, 0x7fff
	v_lshlrev_b32_e32 v6, 16, v21
	v_and_b32_e32 v58, 0xffff0000, v51
	v_cndmask_b32_e64 v52, v5, v7, s1
	v_or_b32_e32 v7, 0x400000, v3
	v_cmp_u_f32_e64 s1, v3, v3
	v_and_b32_e32 v5, 0xffff0000, v48
	v_add3_u32 v2, v2, v4, 0x7fff
	v_and_b32_e32 v3, 0xffff0000, v50
	v_cndmask_b32_e64 v53, v1, v7, s1
	v_cmp_u_f32_e64 s1, v4, v4
	v_mul_f32_e32 v21, v5, v6
	v_and_b32_e32 v1, 0xffff0000, v47
	v_lshlrev_b32_e32 v4, 16, v40
	v_and_b32_e32 v6, 0xffff0000, v49
	v_cndmask_b32_e64 v54, v2, v8, s1
	v_lshlrev_b32_e32 v2, 16, v42
	v_lshlrev_b32_e32 v7, 16, v41
	v_and_b32_e32 v8, 0xffff0000, v52
	v_mul_f32_e32 v43, v3, v4
	v_lshlrev_b32_e32 v4, 16, v46
	v_mul_f32_e32 v44, v1, v2
	v_mul_f32_e32 v42, v6, v7
	v_and_b32_e32 v2, 0xffff0000, v54
	v_and_b32_e32 v46, 0xffff0000, v53
	v_lshlrev_b32_e32 v7, 16, v45
	v_mul_f32_e32 v41, v8, v20
	v_mul_f32_e32 v20, v58, v39
	;; [unrolled: 1-line block ×7, first 2 shown]
	v_lshlrev_b32_e32 v1, 16, v57
	v_lshlrev_b32_e32 v3, 16, v10
	;; [unrolled: 1-line block ×5, first 2 shown]
	v_mul_f32_e32 v17, v6, v1
	v_mul_f32_e32 v16, v8, v3
	;; [unrolled: 1-line block ×5, first 2 shown]
	v_cmp_u_f32_e64 s11, v21, v21
	v_cmp_u_f32_e64 s17, v44, v44
	;; [unrolled: 1-line block ×16, first 2 shown]
	s_and_saveexec_b32 s45, vcc_lo
	s_cbranch_execz .LBB333_201
; %bb.329:                              ;   in Loop: Header=BB333_203 Depth=1
	v_add_co_u32 v1, s18, v14, v31
	v_add_co_ci_u32_e64 v2, null, 0, v15, s18
	v_mov_b32_e32 v15, 0
	v_mov_b32_e32 v14, 0
	global_load_dwordx2 v[1:2], v[1:2], off
	s_waitcnt vmcnt(0)
	v_cmp_ne_u16_sdwa s18, v1, v11 src0_sel:BYTE_0 src1_sel:DWORD
	s_and_saveexec_b32 s46, s18
	s_cbranch_execz .LBB333_335
; %bb.330:                              ;   in Loop: Header=BB333_203 Depth=1
	v_cmp_ne_u16_sdwa s18, v1, v33 src0_sel:BYTE_0 src1_sel:DWORD
	v_bfrev_b32_e32 v14, 1
	s_and_saveexec_b32 s47, s18
	s_cbranch_execz .LBB333_334
; %bb.331:                              ;   in Loop: Header=BB333_203 Depth=1
	v_and_b32_e32 v3, 0x7f, v1
	v_mov_b32_e32 v14, 0x7f800001
	s_mov_b32 s48, exec_lo
	v_cmpx_ne_u32_e32 0x7f, v3
	s_cbranch_execz .LBB333_333
; %bb.332:                              ;   in Loop: Header=BB333_203 Depth=1
	v_and_b32_e32 v4, 7, v1
	v_cmp_gt_u32_e64 s18, 8, v3
	v_lshrrev_b32_e32 v10, 3, v3
	v_ffbh_u32_e32 v4, v4
	v_min_u32_e32 v4, 32, v4
	v_subrev_nc_u32_e32 v14, 28, v4
	v_sub_nc_u32_e32 v4, 29, v4
	v_cndmask_b32_e64 v3, 0, v14, s18
	v_cndmask_b32_e64 v10, v10, v4, s18
	v_lshlrev_b64 v[3:4], v3, v[1:2]
	v_lshlrev_b32_e32 v4, 24, v1
	v_lshl_add_u32 v10, v10, 23, 0x3c000000
	v_lshlrev_b32_e32 v3, 20, v3
	v_and_b32_e32 v4, 0x80000000, v4
	v_and_b32_e32 v3, 0x700000, v3
	v_or3_b32 v14, v3, v4, v10
.LBB333_333:                            ;   in Loop: Header=BB333_203 Depth=1
	s_or_b32 exec_lo, exec_lo, s48
.LBB333_334:                            ;   in Loop: Header=BB333_203 Depth=1
	s_or_b32 exec_lo, exec_lo, s47
.LBB333_335:                            ;   in Loop: Header=BB333_203 Depth=1
	s_or_b32 exec_lo, exec_lo, s46
	v_cmp_ne_u16_sdwa s18, v1, v11 src0_sel:BYTE_1 src1_sel:DWORD
	s_and_saveexec_b32 s46, s18
	s_cbranch_execz .LBB333_343
; %bb.336:                              ;   in Loop: Header=BB333_203 Depth=1
	v_cmp_ne_u16_sdwa s18, v1, v33 src0_sel:BYTE_1 src1_sel:DWORD
	v_bfrev_b32_e32 v15, 1
	s_and_saveexec_b32 s47, s18
	s_cbranch_execz .LBB333_342
; %bb.337:                              ;   in Loop: Header=BB333_203 Depth=1
	v_and_b32_sdwa v3, v34, v1 dst_sel:DWORD dst_unused:UNUSED_PAD src0_sel:DWORD src1_sel:BYTE_1
	v_mov_b32_e32 v15, 0x7f800001
	s_mov_b32 s48, exec_lo
	v_and_b32_e32 v4, 0x7f, v3
	v_cmpx_ne_u32_e32 0x7f, v4
	s_cbranch_execz .LBB333_341
; %bb.338:                              ;   in Loop: Header=BB333_203 Depth=1
	v_and_b32_e32 v10, 7, v3
	v_lshrrev_b32_e32 v3, 3, v4
	s_mov_b32 s49, exec_lo
	v_cmpx_gt_u32_e32 8, v4
; %bb.339:                              ;   in Loop: Header=BB333_203 Depth=1
	v_ffbh_u32_e32 v3, v10
	v_min_u32_e32 v3, 32, v3
	v_subrev_nc_u32_e32 v4, 28, v3
	v_sub_nc_u32_e32 v3, 29, v3
	v_lshlrev_b64 v[45:46], v4, v[10:11]
	v_and_b32_e32 v10, 7, v45
; %bb.340:                              ;   in Loop: Header=BB333_203 Depth=1
	s_or_b32 exec_lo, exec_lo, s49
	v_lshlrev_b32_e32 v4, 16, v1
	v_lshlrev_b32_e32 v10, 20, v10
	v_lshl_add_u32 v3, v3, 23, 0x3c000000
	v_and_b32_e32 v4, 0x80000000, v4
	v_or3_b32 v15, v10, v4, v3
.LBB333_341:                            ;   in Loop: Header=BB333_203 Depth=1
	s_or_b32 exec_lo, exec_lo, s48
.LBB333_342:                            ;   in Loop: Header=BB333_203 Depth=1
	s_or_b32 exec_lo, exec_lo, s47
.LBB333_343:                            ;   in Loop: Header=BB333_203 Depth=1
	s_or_b32 exec_lo, exec_lo, s46
	v_and_b32_sdwa v3, v1, v35 dst_sel:DWORD dst_unused:UNUSED_PAD src0_sel:WORD_1 src1_sel:DWORD
	v_mov_b32_e32 v46, 0
	v_mov_b32_e32 v45, 0
	s_mov_b32 s46, exec_lo
	v_cmpx_ne_u16_e32 0, v3
	s_cbranch_execz .LBB333_351
; %bb.344:                              ;   in Loop: Header=BB333_203 Depth=1
	v_bfrev_b32_e32 v45, 1
	s_mov_b32 s47, exec_lo
	v_cmpx_ne_u16_e32 0x80, v3
	s_cbranch_execz .LBB333_350
; %bb.345:                              ;   in Loop: Header=BB333_203 Depth=1
	v_bfe_u32 v4, v1, 16, 7
	v_mov_b32_e32 v45, 0x7f800001
	s_mov_b32 s48, exec_lo
	v_cmpx_ne_u32_e32 0x7f, v4
	s_cbranch_execz .LBB333_349
; %bb.346:                              ;   in Loop: Header=BB333_203 Depth=1
	v_and_b32_sdwa v10, v1, v36 dst_sel:DWORD dst_unused:UNUSED_PAD src0_sel:WORD_1 src1_sel:DWORD
	v_lshrrev_b32_e32 v3, 3, v4
	s_mov_b32 s49, exec_lo
	v_cmpx_gt_u32_e32 8, v4
; %bb.347:                              ;   in Loop: Header=BB333_203 Depth=1
	v_ffbh_u32_e32 v3, v10
	v_min_u32_e32 v3, 32, v3
	v_subrev_nc_u32_e32 v4, 28, v3
	v_sub_nc_u32_e32 v3, 29, v3
	v_lshlrev_b64 v[55:56], v4, v[10:11]
	v_and_b32_e32 v10, 7, v55
; %bb.348:                              ;   in Loop: Header=BB333_203 Depth=1
	s_or_b32 exec_lo, exec_lo, s49
	v_lshlrev_b32_sdwa v4, v37, v1 dst_sel:DWORD dst_unused:UNUSED_PAD src0_sel:DWORD src1_sel:WORD_1
	v_lshlrev_b32_e32 v10, 20, v10
	v_lshl_add_u32 v3, v3, 23, 0x3c000000
	v_and_b32_e32 v4, 0x80000000, v4
	v_or3_b32 v45, v10, v4, v3
.LBB333_349:                            ;   in Loop: Header=BB333_203 Depth=1
	s_or_b32 exec_lo, exec_lo, s48
.LBB333_350:                            ;   in Loop: Header=BB333_203 Depth=1
	s_or_b32 exec_lo, exec_lo, s47
.LBB333_351:                            ;   in Loop: Header=BB333_203 Depth=1
	s_or_b32 exec_lo, exec_lo, s46
	s_mov_b32 s46, exec_lo
	v_cmpx_lt_u32_e32 0xffffff, v1
	s_cbranch_execz .LBB333_359
; %bb.352:                              ;   in Loop: Header=BB333_203 Depth=1
	v_cmp_ne_u32_sdwa s18, v1, v33 src0_sel:BYTE_3 src1_sel:DWORD
	v_bfrev_b32_e32 v46, 1
	s_and_saveexec_b32 s47, s18
	s_cbranch_execz .LBB333_358
; %bb.353:                              ;   in Loop: Header=BB333_203 Depth=1
	v_bfe_u32 v4, v1, 24, 7
	v_mov_b32_e32 v46, 0x7f800001
	s_mov_b32 s48, exec_lo
	v_cmpx_ne_u32_e32 0x7f, v4
	s_cbranch_execz .LBB333_357
; %bb.354:                              ;   in Loop: Header=BB333_203 Depth=1
	v_and_b32_sdwa v10, v1, v36 dst_sel:DWORD dst_unused:UNUSED_PAD src0_sel:BYTE_3 src1_sel:DWORD
	v_lshrrev_b32_e32 v3, 3, v4
	s_mov_b32 s49, exec_lo
	v_cmpx_gt_u32_e32 8, v4
; %bb.355:                              ;   in Loop: Header=BB333_203 Depth=1
	v_ffbh_u32_e32 v3, v10
	v_min_u32_e32 v3, 32, v3
	v_subrev_nc_u32_e32 v4, 28, v3
	v_sub_nc_u32_e32 v3, 29, v3
	v_lshlrev_b64 v[55:56], v4, v[10:11]
	v_and_b32_e32 v10, 7, v55
; %bb.356:                              ;   in Loop: Header=BB333_203 Depth=1
	s_or_b32 exec_lo, exec_lo, s49
	v_lshlrev_b32_sdwa v4, v37, v1 dst_sel:DWORD dst_unused:UNUSED_PAD src0_sel:DWORD src1_sel:BYTE_3
	v_lshlrev_b32_e32 v10, 20, v10
	v_lshl_add_u32 v3, v3, 23, 0x3c000000
	v_and_b32_e32 v4, 0x80000000, v4
	v_or3_b32 v46, v10, v4, v3
.LBB333_357:                            ;   in Loop: Header=BB333_203 Depth=1
	s_or_b32 exec_lo, exec_lo, s48
.LBB333_358:                            ;   in Loop: Header=BB333_203 Depth=1
	s_or_b32 exec_lo, exec_lo, s47
.LBB333_359:                            ;   in Loop: Header=BB333_203 Depth=1
	s_or_b32 exec_lo, exec_lo, s46
	v_mov_b32_e32 v10, v2
	v_cmp_ne_u16_sdwa s18, v2, v11 src0_sel:BYTE_0 src1_sel:DWORD
	v_mov_b32_e32 v3, 0
	v_mov_b32_e32 v55, 0
	s_and_saveexec_b32 s46, s18
	s_cbranch_execz .LBB333_365
; %bb.360:                              ;   in Loop: Header=BB333_203 Depth=1
	v_cmp_ne_u16_sdwa s18, v2, v33 src0_sel:BYTE_0 src1_sel:DWORD
	v_bfrev_b32_e32 v55, 1
	s_and_saveexec_b32 s47, s18
	s_cbranch_execz .LBB333_364
; %bb.361:                              ;   in Loop: Header=BB333_203 Depth=1
	v_and_b32_e32 v4, 0x7f, v2
	v_mov_b32_e32 v55, 0x7f800001
	s_mov_b32 s48, exec_lo
	v_cmpx_ne_u32_e32 0x7f, v4
	s_cbranch_execz .LBB333_363
; %bb.362:                              ;   in Loop: Header=BB333_203 Depth=1
	v_and_b32_e32 v55, 7, v2
	v_lshrrev_b32_e32 v56, 3, v4
	v_cmp_gt_u32_e64 s18, 8, v4
	v_ffbh_u32_e32 v55, v55
	v_min_u32_e32 v55, 32, v55
	v_subrev_nc_u32_e32 v57, 28, v55
	v_sub_nc_u32_e32 v55, 29, v55
	v_cndmask_b32_e64 v4, v56, v55, s18
	v_cndmask_b32_e64 v55, 0, v57, s18
	v_lshl_add_u32 v4, v4, 23, 0x3c000000
	v_lshlrev_b64 v[55:56], v55, v[10:11]
	v_lshlrev_b32_e32 v56, 24, v10
	v_lshlrev_b32_e32 v55, 20, v55
	v_and_b32_e32 v56, 0x80000000, v56
	v_and_b32_e32 v55, 0x700000, v55
	v_or3_b32 v55, v55, v56, v4
.LBB333_363:                            ;   in Loop: Header=BB333_203 Depth=1
	s_or_b32 exec_lo, exec_lo, s48
.LBB333_364:                            ;   in Loop: Header=BB333_203 Depth=1
	s_or_b32 exec_lo, exec_lo, s47
.LBB333_365:                            ;   in Loop: Header=BB333_203 Depth=1
	s_or_b32 exec_lo, exec_lo, s46
	v_cmp_ne_u16_sdwa s18, v10, v11 src0_sel:BYTE_1 src1_sel:DWORD
	s_and_saveexec_b32 s46, s18
	s_cbranch_execz .LBB333_373
; %bb.366:                              ;   in Loop: Header=BB333_203 Depth=1
	v_cmp_ne_u16_sdwa s18, v10, v33 src0_sel:BYTE_1 src1_sel:DWORD
	v_bfrev_b32_e32 v3, 1
	s_and_saveexec_b32 s47, s18
	s_cbranch_execz .LBB333_372
; %bb.367:                              ;   in Loop: Header=BB333_203 Depth=1
	v_and_b32_sdwa v4, v34, v10 dst_sel:DWORD dst_unused:UNUSED_PAD src0_sel:DWORD src1_sel:BYTE_1
	v_mov_b32_e32 v3, 0x7f800001
	s_mov_b32 s48, exec_lo
	v_and_b32_e32 v57, 0x7f, v4
	v_cmpx_ne_u32_e32 0x7f, v57
	s_cbranch_execz .LBB333_371
; %bb.368:                              ;   in Loop: Header=BB333_203 Depth=1
	v_and_b32_e32 v3, 7, v4
	v_mov_b32_e32 v4, v11
	v_lshrrev_b32_e32 v56, 3, v57
	s_mov_b32 s49, exec_lo
	v_cmpx_gt_u32_e32 8, v57
; %bb.369:                              ;   in Loop: Header=BB333_203 Depth=1
	v_ffbh_u32_e32 v56, v3
	v_min_u32_e32 v56, 32, v56
	v_subrev_nc_u32_e32 v57, 28, v56
	v_sub_nc_u32_e32 v56, 29, v56
	v_lshlrev_b64 v[3:4], v57, v[3:4]
	v_and_b32_e32 v3, 7, v3
; %bb.370:                              ;   in Loop: Header=BB333_203 Depth=1
	s_or_b32 exec_lo, exec_lo, s49
	v_lshlrev_b32_e32 v4, 16, v10
	v_lshlrev_b32_e32 v3, 20, v3
	v_lshl_add_u32 v10, v56, 23, 0x3c000000
	v_and_b32_e32 v4, 0x80000000, v4
	v_or3_b32 v3, v3, v4, v10
.LBB333_371:                            ;   in Loop: Header=BB333_203 Depth=1
	s_or_b32 exec_lo, exec_lo, s48
.LBB333_372:                            ;   in Loop: Header=BB333_203 Depth=1
	s_or_b32 exec_lo, exec_lo, s47
.LBB333_373:                            ;   in Loop: Header=BB333_203 Depth=1
	s_or_b32 exec_lo, exec_lo, s46
	v_and_b32_sdwa v10, v2, v35 dst_sel:DWORD dst_unused:UNUSED_PAD src0_sel:WORD_1 src1_sel:DWORD
	v_mov_b32_e32 v4, 0
	v_mov_b32_e32 v56, 0
	s_mov_b32 s46, exec_lo
	v_cmpx_ne_u16_e32 0, v10
	s_cbranch_execz .LBB333_381
; %bb.374:                              ;   in Loop: Header=BB333_203 Depth=1
	v_bfrev_b32_e32 v56, 1
	s_mov_b32 s47, exec_lo
	v_cmpx_ne_u16_e32 0x80, v10
	s_cbranch_execz .LBB333_380
; %bb.375:                              ;   in Loop: Header=BB333_203 Depth=1
	v_bfe_u32 v57, v2, 16, 7
	v_mov_b32_e32 v56, 0x7f800001
	s_mov_b32 s48, exec_lo
	v_cmpx_ne_u32_e32 0x7f, v57
	s_cbranch_execz .LBB333_379
; %bb.376:                              ;   in Loop: Header=BB333_203 Depth=1
	v_and_b32_sdwa v10, v2, v36 dst_sel:DWORD dst_unused:UNUSED_PAD src0_sel:WORD_1 src1_sel:DWORD
	v_lshrrev_b32_e32 v56, 3, v57
	s_mov_b32 s49, exec_lo
	v_cmpx_gt_u32_e32 8, v57
; %bb.377:                              ;   in Loop: Header=BB333_203 Depth=1
	v_ffbh_u32_e32 v56, v10
	v_min_u32_e32 v56, 32, v56
	v_subrev_nc_u32_e32 v57, 28, v56
	v_sub_nc_u32_e32 v56, 29, v56
	v_lshlrev_b64 v[57:58], v57, v[10:11]
	v_and_b32_e32 v10, 7, v57
; %bb.378:                              ;   in Loop: Header=BB333_203 Depth=1
	s_or_b32 exec_lo, exec_lo, s49
	v_lshlrev_b32_sdwa v57, v37, v2 dst_sel:DWORD dst_unused:UNUSED_PAD src0_sel:DWORD src1_sel:WORD_1
	v_lshlrev_b32_e32 v10, 20, v10
	v_lshl_add_u32 v56, v56, 23, 0x3c000000
	v_and_b32_e32 v57, 0x80000000, v57
	v_or3_b32 v56, v10, v57, v56
.LBB333_379:                            ;   in Loop: Header=BB333_203 Depth=1
	s_or_b32 exec_lo, exec_lo, s48
.LBB333_380:                            ;   in Loop: Header=BB333_203 Depth=1
	s_or_b32 exec_lo, exec_lo, s47
.LBB333_381:                            ;   in Loop: Header=BB333_203 Depth=1
	s_or_b32 exec_lo, exec_lo, s46
	s_mov_b32 s46, exec_lo
	v_cmpx_lt_u64_e64 s[26:27], v[1:2]
	s_cbranch_execz .LBB333_389
; %bb.382:                              ;   in Loop: Header=BB333_203 Depth=1
	v_cmp_ne_u32_sdwa s18, v2, v33 src0_sel:BYTE_3 src1_sel:DWORD
	v_bfrev_b32_e32 v4, 1
	s_and_saveexec_b32 s47, s18
	s_cbranch_execz .LBB333_388
; %bb.383:                              ;   in Loop: Header=BB333_203 Depth=1
	v_bfe_u32 v57, v2, 24, 7
	v_mov_b32_e32 v4, 0x7f800001
	s_mov_b32 s48, exec_lo
	v_cmpx_ne_u32_e32 0x7f, v57
	s_cbranch_execz .LBB333_387
; %bb.384:                              ;   in Loop: Header=BB333_203 Depth=1
	v_and_b32_sdwa v10, v2, v36 dst_sel:DWORD dst_unused:UNUSED_PAD src0_sel:BYTE_3 src1_sel:DWORD
	v_lshrrev_b32_e32 v1, 3, v57
	s_mov_b32 s49, exec_lo
	v_cmpx_gt_u32_e32 8, v57
; %bb.385:                              ;   in Loop: Header=BB333_203 Depth=1
	v_ffbh_u32_e32 v1, v10
	v_min_u32_e32 v1, 32, v1
	v_subrev_nc_u32_e32 v4, 28, v1
	v_sub_nc_u32_e32 v1, 29, v1
	v_lshlrev_b64 v[57:58], v4, v[10:11]
	v_and_b32_e32 v10, 7, v57
; %bb.386:                              ;   in Loop: Header=BB333_203 Depth=1
	s_or_b32 exec_lo, exec_lo, s49
	v_lshlrev_b32_sdwa v2, v37, v2 dst_sel:DWORD dst_unused:UNUSED_PAD src0_sel:DWORD src1_sel:BYTE_3
	v_lshlrev_b32_e32 v4, 20, v10
	v_lshl_add_u32 v1, v1, 23, 0x3c000000
	v_and_b32_e32 v2, 0x80000000, v2
	v_or3_b32 v4, v4, v2, v1
.LBB333_387:                            ;   in Loop: Header=BB333_203 Depth=1
	s_or_b32 exec_lo, exec_lo, s48
.LBB333_388:                            ;   in Loop: Header=BB333_203 Depth=1
	s_or_b32 exec_lo, exec_lo, s47
.LBB333_389:                            ;   in Loop: Header=BB333_203 Depth=1
	s_or_b32 exec_lo, exec_lo, s46
	v_mul_f32_e32 v1, s37, v3
	v_mul_f32_e32 v2, s37, v55
	;; [unrolled: 1-line block ×5, first 2 shown]
	v_bfe_u32 v10, v1, 16, 1
	v_or_b32_e32 v46, 0x400000, v1
	v_bfe_u32 v55, v2, 16, 1
	v_cmp_u_f32_e64 s18, v1, v1
	v_or_b32_e32 v57, 0x400000, v2
	v_add3_u32 v10, v10, v1, 0x7fff
	v_bfe_u32 v58, v3, 16, 1
	v_add3_u32 v55, v55, v2, 0x7fff
	v_or_b32_e32 v59, 0x400000, v3
	v_bfe_u32 v60, v45, 16, 1
	v_cndmask_b32_e64 v1, v10, v46, s18
	v_cmp_u_f32_e64 s18, v2, v2
	v_add3_u32 v58, v58, v3, 0x7fff
	v_mul_f32_e32 v14, s37, v14
	v_add3_u32 v46, v60, v45, 0x7fff
	v_lshrrev_b32_e32 v2, 16, v1
	v_cndmask_b32_e64 v10, v55, v57, s18
	v_cmp_u_f32_e64 s18, v3, v3
	v_or_b32_e32 v55, 0x400000, v45
	v_mul_f32_e32 v4, s37, v4
	v_lshrrev_b32_e32 v1, 16, v10
	v_cndmask_b32_e64 v3, v58, v59, s18
	v_cmp_u_f32_e64 s18, v45, v45
	v_or_b32_e32 v59, 0x400000, v4
	v_lshrrev_b32_e32 v10, 16, v3
	v_bfe_u32 v3, v15, 16, 1
	v_cndmask_b32_e64 v45, v46, v55, s18
	v_mul_f32_e32 v46, s37, v56
	v_or_b32_e32 v55, 0x400000, v15
	v_bfe_u32 v56, v14, 16, 1
	v_add3_u32 v3, v3, v15, 0x7fff
	v_cmp_u_f32_e64 s18, v15, v15
	v_bfe_u32 v57, v46, 16, 1
	v_bfe_u32 v15, v4, 16, 1
	v_or_b32_e32 v58, 0x400000, v46
	v_cndmask_b32_e64 v3, v3, v55, s18
	v_add3_u32 v55, v56, v14, 0x7fff
	v_or_b32_e32 v56, 0x400000, v14
	v_cmp_u_f32_e64 s18, v14, v14
	v_add3_u32 v57, v57, v46, 0x7fff
	v_add3_u32 v15, v15, v4, 0x7fff
	v_lshrrev_b32_e32 v14, 16, v45
	v_lshrrev_b32_e32 v45, 16, v3
	v_cndmask_b32_e64 v55, v55, v56, s18
	v_cmp_u_f32_e64 s18, v46, v46
	v_cndmask_b32_e64 v46, v57, v58, s18
	v_cmp_u_f32_e64 s18, v4, v4
	v_lshrrev_b32_e32 v3, 16, v46
	v_cndmask_b32_e64 v4, v15, v59, s18
	v_lshrrev_b32_e32 v15, 16, v55
	v_lshrrev_b32_e32 v4, 16, v4
	s_and_saveexec_b32 s18, s0
	s_cbranch_execz .LBB333_200
; %bb.390:                              ;   in Loop: Header=BB333_203 Depth=1
	v_add_nc_u32_e32 v46, 1, v23
	v_cmp_gt_i32_e64 s0, s33, v23
	v_add_nc_u32_e32 v55, 2, v23
	v_add_nc_u32_e32 v56, 3, v23
	v_cndmask_b32_e64 v15, 0, v15, s0
	v_cmp_gt_i32_e64 s0, s33, v46
	v_add_nc_u32_e32 v46, 4, v23
	v_cndmask_b32_e64 v45, 0, v45, s0
	v_cmp_gt_i32_e64 s0, s33, v55
	;; [unrolled: 3-line block ×5, first 2 shown]
	v_cndmask_b32_e64 v2, 0, v2, s0
	v_cmp_gt_i32_e64 s0, s33, v56
	v_cndmask_b32_e64 v3, 0, v3, s0
	v_cmp_gt_i32_e64 s0, s33, v46
	v_cndmask_b32_e64 v4, 0, v4, s0
	s_branch .LBB333_200
.LBB333_391:
	s_or_b32 exec_lo, exec_lo, s34
.LBB333_392:
	s_or_b32 exec_lo, exec_lo, s21
	s_movk_i32 s0, 0x140
	v_and_b32_e32 v2, 0x3c0, v0
	v_mad_u32_u24 v1, v22, s0, 0xc0
	s_mov_b32 s0, exec_lo
	s_waitcnt_vscnt null, 0x0
	s_barrier
	buffer_gl0_inv
	v_cmpx_eq_u32_e32 64, v2
	s_cbranch_execz .LBB333_395
; %bb.393:
	v_add_nc_u32_e32 v2, 0xfffffd80, v1
	v_cmp_gt_u32_e32 vcc_lo, 0x50, v29
	v_lshl_add_u32 v3, v24, 2, v2
	ds_write2_b32 v3, v28, v27 offset1:32
	s_and_b32 exec_lo, exec_lo, vcc_lo
; %bb.394:
	v_lshl_add_u32 v2, v29, 2, v2
	ds_write_b32 v2, v26
.LBB333_395:
	s_or_b32 exec_lo, exec_lo, s0
	v_lshl_add_u32 v3, v24, 2, v1
	s_mov_b32 s0, exec_lo
	s_waitcnt lgkmcnt(0)
	s_barrier
	buffer_gl0_inv
	v_cmpx_gt_u32_e32 64, v0
	s_cbranch_execz .LBB333_399
; %bb.396:
	v_lshl_or_b32 v2, v0, 2, 0x80
	s_mov_b32 s1, exec_lo
	v_add_nc_u32_e32 v4, v1, v2
	ds_read_b32 v2, v3
	ds_read_b32 v4, v4
	v_cmpx_gt_u32_e32 0x50, v29
	s_cbranch_execz .LBB333_398
; %bb.397:
	ds_read_b32 v5, v3 offset:256
	s_waitcnt lgkmcnt(0)
	v_add_f32_e32 v26, v26, v5
.LBB333_398:
	s_or_b32 exec_lo, exec_lo, s1
	s_waitcnt lgkmcnt(1)
	v_add_f32_e32 v28, v28, v2
	s_waitcnt lgkmcnt(0)
	v_add_f32_e32 v27, v27, v4
.LBB333_399:
	s_or_b32 exec_lo, exec_lo, s0
	v_and_b32_e32 v2, 0x3e0, v0
	s_mov_b32 s0, exec_lo
	s_barrier
	buffer_gl0_inv
	v_cmpx_eq_u32_e32 32, v2
	s_cbranch_execz .LBB333_402
; %bb.400:
	v_lshl_add_u32 v2, v24, 2, 0xc0
	v_cmp_gt_u32_e32 vcc_lo, 0x50, v29
	ds_write_b32 v2, v28
	ds_write_b32 v25, v27
	s_and_b32 exec_lo, exec_lo, vcc_lo
; %bb.401:
	ds_write_b32 v2, v26 offset:256
.LBB333_402:
	s_or_b32 exec_lo, exec_lo, s0
	v_cmp_gt_u32_e32 vcc_lo, 32, v0
	v_or_b32_e32 v2, 64, v0
	s_waitcnt lgkmcnt(0)
	s_barrier
	buffer_gl0_inv
	s_and_saveexec_b32 s1, vcc_lo
	s_cbranch_execz .LBB333_406
; %bb.403:
	v_lshl_add_u32 v4, v0, 2, v1
	s_mov_b32 s2, exec_lo
	ds_read_b32 v1, v3
	ds_read_b32 v3, v4 offset:128
	v_cmpx_gt_u32_e32 0x50, v2
	s_cbranch_execz .LBB333_405
; %bb.404:
	ds_read_b32 v4, v4 offset:256
	s_waitcnt lgkmcnt(0)
	v_add_f32_e32 v26, v26, v4
.LBB333_405:
	s_or_b32 exec_lo, exec_lo, s2
	s_waitcnt lgkmcnt(1)
	v_add_f32_e32 v28, v28, v1
	s_waitcnt lgkmcnt(0)
	v_add_f32_e32 v27, v27, v3
.LBB333_406:
	s_or_b32 exec_lo, exec_lo, s1
	s_barrier
	buffer_gl0_inv
	s_and_saveexec_b32 s0, vcc_lo
	s_cbranch_execz .LBB333_409
; %bb.407:
	v_bfe_u32 v1, v28, 16, 1
	s_mul_i32 s0, s20, 0x50
	v_bfe_u32 v3, v27, 16, 1
	s_ashr_i32 s1, s0, 31
	v_or_b32_e32 v4, 0x400000, v28
	s_lshl_b64 s[0:1], s[0:1], 1
	v_add3_u32 v1, v1, v28, 0x7fff
	v_cmp_u_f32_e32 vcc_lo, v28, v28
	s_mul_i32 s2, s19, s28
	s_add_u32 s4, s30, s0
	s_addc_u32 s1, s31, s1
	s_ashr_i32 s3, s2, 31
	v_add3_u32 v3, v3, v27, 0x7fff
	s_lshl_b64 s[2:3], s[2:3], 1
	v_or_b32_e32 v5, 0x400000, v27
	v_cndmask_b32_e32 v1, v1, v4, vcc_lo
	v_cmp_u_f32_e32 vcc_lo, v27, v27
	s_mul_i32 s0, s8, 0x50
	s_add_u32 s2, s4, s2
	s_addc_u32 s3, s1, s3
	s_ashr_i32 s1, s0, 31
	v_lshlrev_b32_e32 v0, 1, v0
	s_lshl_b64 s[0:1], s[0:1], 1
	v_cndmask_b32_e32 v3, v3, v5, vcc_lo
	v_cmp_gt_u32_e32 vcc_lo, 0x50, v2
	s_add_u32 s0, s2, s0
	s_addc_u32 s1, s3, s1
	global_store_short_d16_hi v0, v1, s[0:1]
	global_store_short_d16_hi v0, v3, s[0:1] offset:64
	s_and_b32 exec_lo, exec_lo, vcc_lo
	s_cbranch_execz .LBB333_409
; %bb.408:
	v_bfe_u32 v1, v26, 16, 1
	v_or_b32_e32 v2, 0x400000, v26
	v_cmp_u_f32_e32 vcc_lo, v26, v26
	v_add_co_u32 v0, s0, s0, v0
	v_add3_u32 v3, v1, v26, 0x7fff
	v_add_co_ci_u32_e64 v1, null, s1, 0, s0
	v_cndmask_b32_e32 v2, v3, v2, vcc_lo
	global_store_short_d16_hi v[0:1], v2, off offset:128
.LBB333_409:
	s_endpgm
	.section	.rodata,"a",@progbits
	.p2align	6, 0x0
	.amdhsa_kernel _ZN4vllm25paged_attention_v2_kernelI14__hip_bfloat16hLi80ELi8ELi128ELNS_18Fp8KVCacheDataTypeE1ELb1ELi512EEEvPfS3_PT_PKS4_PKT0_SA_ifPKiSC_iPKfiiiSE_SE_iiiii
		.amdhsa_group_segment_fixed_size 192
		.amdhsa_private_segment_fixed_size 0
		.amdhsa_kernarg_size 400
		.amdhsa_user_sgpr_count 6
		.amdhsa_user_sgpr_private_segment_buffer 1
		.amdhsa_user_sgpr_dispatch_ptr 0
		.amdhsa_user_sgpr_queue_ptr 0
		.amdhsa_user_sgpr_kernarg_segment_ptr 1
		.amdhsa_user_sgpr_dispatch_id 0
		.amdhsa_user_sgpr_flat_scratch_init 0
		.amdhsa_user_sgpr_private_segment_size 0
		.amdhsa_wavefront_size32 1
		.amdhsa_uses_dynamic_stack 0
		.amdhsa_system_sgpr_private_segment_wavefront_offset 0
		.amdhsa_system_sgpr_workgroup_id_x 1
		.amdhsa_system_sgpr_workgroup_id_y 1
		.amdhsa_system_sgpr_workgroup_id_z 1
		.amdhsa_system_sgpr_workgroup_info 0
		.amdhsa_system_vgpr_workitem_id 0
		.amdhsa_next_free_vgpr 61
		.amdhsa_next_free_sgpr 53
		.amdhsa_reserve_vcc 1
		.amdhsa_reserve_flat_scratch 0
		.amdhsa_float_round_mode_32 0
		.amdhsa_float_round_mode_16_64 0
		.amdhsa_float_denorm_mode_32 3
		.amdhsa_float_denorm_mode_16_64 3
		.amdhsa_dx10_clamp 1
		.amdhsa_ieee_mode 1
		.amdhsa_fp16_overflow 0
		.amdhsa_workgroup_processor_mode 1
		.amdhsa_memory_ordered 1
		.amdhsa_forward_progress 1
		.amdhsa_shared_vgpr_count 0
		.amdhsa_exception_fp_ieee_invalid_op 0
		.amdhsa_exception_fp_denorm_src 0
		.amdhsa_exception_fp_ieee_div_zero 0
		.amdhsa_exception_fp_ieee_overflow 0
		.amdhsa_exception_fp_ieee_underflow 0
		.amdhsa_exception_fp_ieee_inexact 0
		.amdhsa_exception_int_div_zero 0
	.end_amdhsa_kernel
	.section	.text._ZN4vllm25paged_attention_v2_kernelI14__hip_bfloat16hLi80ELi8ELi128ELNS_18Fp8KVCacheDataTypeE1ELb1ELi512EEEvPfS3_PT_PKS4_PKT0_SA_ifPKiSC_iPKfiiiSE_SE_iiiii,"axG",@progbits,_ZN4vllm25paged_attention_v2_kernelI14__hip_bfloat16hLi80ELi8ELi128ELNS_18Fp8KVCacheDataTypeE1ELb1ELi512EEEvPfS3_PT_PKS4_PKT0_SA_ifPKiSC_iPKfiiiSE_SE_iiiii,comdat
.Lfunc_end333:
	.size	_ZN4vllm25paged_attention_v2_kernelI14__hip_bfloat16hLi80ELi8ELi128ELNS_18Fp8KVCacheDataTypeE1ELb1ELi512EEEvPfS3_PT_PKS4_PKT0_SA_ifPKiSC_iPKfiiiSE_SE_iiiii, .Lfunc_end333-_ZN4vllm25paged_attention_v2_kernelI14__hip_bfloat16hLi80ELi8ELi128ELNS_18Fp8KVCacheDataTypeE1ELb1ELi512EEEvPfS3_PT_PKS4_PKT0_SA_ifPKiSC_iPKfiiiSE_SE_iiiii
                                        ; -- End function
	.set _ZN4vllm25paged_attention_v2_kernelI14__hip_bfloat16hLi80ELi8ELi128ELNS_18Fp8KVCacheDataTypeE1ELb1ELi512EEEvPfS3_PT_PKS4_PKT0_SA_ifPKiSC_iPKfiiiSE_SE_iiiii.num_vgpr, 61
	.set _ZN4vllm25paged_attention_v2_kernelI14__hip_bfloat16hLi80ELi8ELi128ELNS_18Fp8KVCacheDataTypeE1ELb1ELi512EEEvPfS3_PT_PKS4_PKT0_SA_ifPKiSC_iPKfiiiSE_SE_iiiii.num_agpr, 0
	.set _ZN4vllm25paged_attention_v2_kernelI14__hip_bfloat16hLi80ELi8ELi128ELNS_18Fp8KVCacheDataTypeE1ELb1ELi512EEEvPfS3_PT_PKS4_PKT0_SA_ifPKiSC_iPKfiiiSE_SE_iiiii.numbered_sgpr, 53
	.set _ZN4vllm25paged_attention_v2_kernelI14__hip_bfloat16hLi80ELi8ELi128ELNS_18Fp8KVCacheDataTypeE1ELb1ELi512EEEvPfS3_PT_PKS4_PKT0_SA_ifPKiSC_iPKfiiiSE_SE_iiiii.num_named_barrier, 0
	.set _ZN4vllm25paged_attention_v2_kernelI14__hip_bfloat16hLi80ELi8ELi128ELNS_18Fp8KVCacheDataTypeE1ELb1ELi512EEEvPfS3_PT_PKS4_PKT0_SA_ifPKiSC_iPKfiiiSE_SE_iiiii.private_seg_size, 0
	.set _ZN4vllm25paged_attention_v2_kernelI14__hip_bfloat16hLi80ELi8ELi128ELNS_18Fp8KVCacheDataTypeE1ELb1ELi512EEEvPfS3_PT_PKS4_PKT0_SA_ifPKiSC_iPKfiiiSE_SE_iiiii.uses_vcc, 1
	.set _ZN4vllm25paged_attention_v2_kernelI14__hip_bfloat16hLi80ELi8ELi128ELNS_18Fp8KVCacheDataTypeE1ELb1ELi512EEEvPfS3_PT_PKS4_PKT0_SA_ifPKiSC_iPKfiiiSE_SE_iiiii.uses_flat_scratch, 0
	.set _ZN4vllm25paged_attention_v2_kernelI14__hip_bfloat16hLi80ELi8ELi128ELNS_18Fp8KVCacheDataTypeE1ELb1ELi512EEEvPfS3_PT_PKS4_PKT0_SA_ifPKiSC_iPKfiiiSE_SE_iiiii.has_dyn_sized_stack, 0
	.set _ZN4vllm25paged_attention_v2_kernelI14__hip_bfloat16hLi80ELi8ELi128ELNS_18Fp8KVCacheDataTypeE1ELb1ELi512EEEvPfS3_PT_PKS4_PKT0_SA_ifPKiSC_iPKfiiiSE_SE_iiiii.has_recursion, 0
	.set _ZN4vllm25paged_attention_v2_kernelI14__hip_bfloat16hLi80ELi8ELi128ELNS_18Fp8KVCacheDataTypeE1ELb1ELi512EEEvPfS3_PT_PKS4_PKT0_SA_ifPKiSC_iPKfiiiSE_SE_iiiii.has_indirect_call, 0
	.section	.AMDGPU.csdata,"",@progbits
; Kernel info:
; codeLenInByte = 16984
; TotalNumSgprs: 55
; NumVgprs: 61
; ScratchSize: 0
; MemoryBound: 0
; FloatMode: 240
; IeeeMode: 1
; LDSByteSize: 192 bytes/workgroup (compile time only)
; SGPRBlocks: 0
; VGPRBlocks: 7
; NumSGPRsForWavesPerEU: 55
; NumVGPRsForWavesPerEU: 61
; Occupancy: 16
; WaveLimiterHint : 1
; COMPUTE_PGM_RSRC2:SCRATCH_EN: 0
; COMPUTE_PGM_RSRC2:USER_SGPR: 6
; COMPUTE_PGM_RSRC2:TRAP_HANDLER: 0
; COMPUTE_PGM_RSRC2:TGID_X_EN: 1
; COMPUTE_PGM_RSRC2:TGID_Y_EN: 1
; COMPUTE_PGM_RSRC2:TGID_Z_EN: 1
; COMPUTE_PGM_RSRC2:TIDIG_COMP_CNT: 0
	.section	.text._ZN4vllm25paged_attention_v2_kernelI14__hip_bfloat16hLi96ELi8ELi128ELNS_18Fp8KVCacheDataTypeE1ELb1ELi512EEEvPfS3_PT_PKS4_PKT0_SA_ifPKiSC_iPKfiiiSE_SE_iiiii,"axG",@progbits,_ZN4vllm25paged_attention_v2_kernelI14__hip_bfloat16hLi96ELi8ELi128ELNS_18Fp8KVCacheDataTypeE1ELb1ELi512EEEvPfS3_PT_PKS4_PKT0_SA_ifPKiSC_iPKfiiiSE_SE_iiiii,comdat
	.protected	_ZN4vllm25paged_attention_v2_kernelI14__hip_bfloat16hLi96ELi8ELi128ELNS_18Fp8KVCacheDataTypeE1ELb1ELi512EEEvPfS3_PT_PKS4_PKT0_SA_ifPKiSC_iPKfiiiSE_SE_iiiii ; -- Begin function _ZN4vllm25paged_attention_v2_kernelI14__hip_bfloat16hLi96ELi8ELi128ELNS_18Fp8KVCacheDataTypeE1ELb1ELi512EEEvPfS3_PT_PKS4_PKT0_SA_ifPKiSC_iPKfiiiSE_SE_iiiii
	.globl	_ZN4vllm25paged_attention_v2_kernelI14__hip_bfloat16hLi96ELi8ELi128ELNS_18Fp8KVCacheDataTypeE1ELb1ELi512EEEvPfS3_PT_PKS4_PKT0_SA_ifPKiSC_iPKfiiiSE_SE_iiiii
	.p2align	8
	.type	_ZN4vllm25paged_attention_v2_kernelI14__hip_bfloat16hLi96ELi8ELi128ELNS_18Fp8KVCacheDataTypeE1ELb1ELi512EEEvPfS3_PT_PKS4_PKT0_SA_ifPKiSC_iPKfiiiSE_SE_iiiii,@function
_ZN4vllm25paged_attention_v2_kernelI14__hip_bfloat16hLi96ELi8ELi128ELNS_18Fp8KVCacheDataTypeE1ELb1ELi512EEEvPfS3_PT_PKS4_PKT0_SA_ifPKiSC_iPKfiiiSE_SE_iiiii: ; @_ZN4vllm25paged_attention_v2_kernelI14__hip_bfloat16hLi96ELi8ELi128ELNS_18Fp8KVCacheDataTypeE1ELb1ELi512EEEvPfS3_PT_PKS4_PKT0_SA_ifPKiSC_iPKfiiiSE_SE_iiiii
; %bb.0:
	s_load_dwordx2 s[0:1], s[4:5], 0x40
	s_mov_b32 s30, s7
	s_ashr_i32 s31, s7, 31
	s_lshl_b64 s[2:3], s[30:31], 2
	s_waitcnt lgkmcnt(0)
	s_add_u32 s0, s0, s2
	s_addc_u32 s1, s1, s3
	s_lshl_b32 s33, s8, 9
	s_load_dword s31, s[0:1], 0x0
	s_waitcnt lgkmcnt(0)
	s_cmp_ge_i32 s33, s31
	s_cbranch_scc1 .LBB334_432
; %bb.1:
	s_clause 0x1
	s_load_dword s9, s[4:5], 0x90
	s_load_dwordx2 s[40:41], s[4:5], 0x30
	s_mov_b32 s43, 0
	s_waitcnt lgkmcnt(0)
	s_abs_i32 s3, s9
	s_abs_i32 s0, s40
	v_cvt_f32_u32_e32 v1, s0
	s_sub_i32 s2, 0, s0
	v_rcp_iflag_f32_e32 v1, v1
	v_mul_f32_e32 v1, 0x4f7ffffe, v1
	v_cvt_u32_f32_e32 v1, v1
	v_readfirstlane_b32 s1, v1
	s_mul_i32 s2, s2, s1
	s_mul_hi_u32 s2, s1, s2
	s_add_i32 s1, s1, s2
	s_xor_b32 s2, s9, s40
	s_mul_hi_u32 s1, s3, s1
	s_ashr_i32 s2, s2, 31
	s_mul_i32 s7, s1, s0
	s_sub_i32 s3, s3, s7
	s_add_i32 s7, s1, 1
	s_sub_i32 s10, s3, s0
	s_cmp_ge_u32 s3, s0
	s_cselect_b32 s1, s7, s1
	s_cselect_b32 s3, s10, s3
	s_add_i32 s7, s1, 1
	s_cmp_ge_u32 s3, s0
	s_cselect_b32 s0, s7, s1
	s_xor_b32 s0, s0, s2
	s_sub_i32 s10, s0, s2
	s_load_dwordx2 s[0:1], s[4:5], 0x50
	s_abs_i32 s2, s10
	v_cvt_f32_u32_e32 v1, s2
	s_sub_i32 s3, 0, s2
	v_rcp_iflag_f32_e32 v1, v1
	v_mul_f32_e32 v1, 0x4f7ffffe, v1
	v_cvt_u32_f32_e32 v1, v1
	v_readfirstlane_b32 s7, v1
	s_mul_i32 s3, s3, s7
	s_mul_hi_u32 s11, s7, s3
	s_abs_i32 s3, s6
	s_add_i32 s7, s7, s11
	s_waitcnt lgkmcnt(0)
	s_cmp_eq_u64 s[0:1], 0
	s_mul_hi_u32 s12, s3, s7
	s_cbranch_scc1 .LBB334_3
; %bb.2:
	s_ashr_i32 s7, s6, 31
	s_lshl_b64 s[14:15], s[6:7], 2
	s_add_u32 s0, s0, s14
	s_addc_u32 s1, s1, s15
	s_load_dword s43, s[0:1], 0x0
.LBB334_3:
	s_load_dwordx4 s[16:19], s[4:5], 0x58
	v_and_b32_e32 v1, 3, v0
	s_ashr_i32 s0, s6, 31
	s_ashr_i32 s1, s10, 31
	s_mul_i32 s10, s6, 0x60
	s_mov_b32 s7, exec_lo
	v_cmpx_gt_u32_e32 48, v0
	s_cbranch_execz .LBB334_5
; %bb.4:
	s_load_dwordx2 s[14:15], s[4:5], 0x18
	s_waitcnt lgkmcnt(0)
	s_mul_i32 s20, s16, s30
	v_lshlrev_b32_e32 v2, 2, v0
	s_ashr_i32 s21, s20, 31
	v_and_b32_e32 v3, 0x3fc, v0
	s_lshl_b64 s[20:21], s[20:21], 1
	v_mad_u32_u24 v3, v1, 48, v3
	s_add_u32 s13, s14, s20
	s_addc_u32 s16, s15, s21
	s_ashr_i32 s11, s10, 31
	s_lshl_b64 s[14:15], s[10:11], 1
	s_add_u32 s14, s13, s14
	s_addc_u32 s15, s16, s15
	global_load_dword v2, v2, s[14:15]
	s_waitcnt vmcnt(0)
	ds_write_b32 v3, v2
.LBB334_5:
	s_or_b32 exec_lo, exec_lo, s7
	s_load_dwordx4 s[20:23], s[4:5], 0x78
	s_mul_i32 s7, s12, s2
	s_xor_b32 s0, s0, s1
	s_sub_i32 s1, s3, s7
	s_add_i32 s3, s12, 1
	s_sub_i32 s7, s1, s2
	s_cmp_ge_u32 s1, s2
                                        ; implicit-def: $sgpr19
	s_cselect_b32 s3, s3, s12
	s_cselect_b32 s1, s7, s1
	s_add_i32 s7, s3, 1
	s_cmp_ge_u32 s1, s2
	s_mov_b32 s12, -1
	s_cselect_b32 s1, s7, s3
	s_load_dword s3, s[4:5], 0x88
	s_xor_b32 s1, s1, s0
	s_add_i32 s7, s31, -1
	s_sub_i32 s1, s1, s0
	s_abs_i32 s2, s7
	s_waitcnt lgkmcnt(0)
	s_abs_i32 s11, s23
	s_barrier
	v_cvt_f32_u32_e32 v2, s11
	s_sub_i32 s0, 0, s11
	buffer_gl0_inv
	v_rcp_iflag_f32_e32 v2, v2
	v_mul_f32_e32 v2, 0x4f7ffffe, v2
	v_cvt_u32_f32_e32 v2, v2
	v_readfirstlane_b32 s16, v2
	s_mul_i32 s0, s0, s16
	s_mul_hi_u32 s0, s16, s0
	s_add_i32 s16, s16, s0
	s_cmp_lt_i32 s3, 0
	s_mul_hi_u32 s0, s2, s16
	s_cbranch_scc0 .LBB334_7
; %bb.6:
	s_mul_i32 s12, s20, s40
	s_add_i32 s12, s1, s12
	s_mul_i32 s12, s12, s3
	s_sub_i32 s19, 1, s12
	s_mov_b32 s12, 0
.LBB334_7:
	s_load_dwordx2 s[34:35], s[4:5], 0x38
	s_ashr_i32 s36, s7, 31
	s_andn2_b32 vcc_lo, exec_lo, s12
	s_ashr_i32 s23, s23, 31
	s_cbranch_vccnz .LBB334_9
; %bb.8:
	s_mul_i32 s7, s9, s20
	s_add_i32 s7, s7, s6
	s_mul_i32 s3, s7, s3
	s_add_i32 s19, s3, 1
.LBB334_9:
	s_clause 0x5
	s_load_dword s3, s[4:5], 0x48
	s_load_dwordx2 s[38:39], s[4:5], 0x28
	s_load_dwordx4 s[24:27], s[4:5], 0x0
	s_load_dwordx2 s[28:29], s[4:5], 0x10
	s_load_dword s7, s[4:5], 0x98
	s_load_dwordx4 s[12:15], s[4:5], 0x68
	s_mul_i32 s20, s0, s11
	s_xor_b32 s42, s36, s23
	s_sub_i32 s2, s2, s20
	s_add_i32 s40, s0, 1
	v_lshrrev_b32_e32 v23, 5, v0
	v_mov_b32_e32 v26, 0xff7fffff
	v_mbcnt_lo_u32_b32 v25, -1, 0
	s_mul_i32 s18, s1, s18
	v_lshl_add_u32 v24, v23, 3, s33
	s_waitcnt lgkmcnt(0)
	s_mul_i32 s36, s3, s30
	s_sub_i32 s3, s2, s11
	s_ashr_i32 s37, s36, 31
	s_cmp_ge_u32 s2, s11
	s_cselect_b32 s0, s40, s0
	s_cselect_b32 s2, s3, s2
	s_add_i32 s3, s0, 1
	s_cmp_ge_u32 s2, s11
	s_cselect_b32 s0, s3, s0
	s_add_i32 s2, s31, 7
	s_lshl_b32 s44, s8, 6
	s_ashr_i32 s3, s2, 31
	v_or_b32_e32 v13, s44, v23
	s_lshr_b32 s3, s3, 29
	s_add_i32 s2, s2, s3
	s_add_i32 s3, s44, 64
	s_ashr_i32 s40, s2, 3
	s_xor_b32 s2, s0, s42
	s_min_i32 s20, s3, s40
	v_ashrrev_i32_e32 v14, 31, v13
	v_cmp_gt_i32_e64 s0, s20, v13
	s_sub_i32 s42, s2, s42
	s_and_saveexec_b32 s45, s0
	s_cbranch_execz .LBB334_213
; %bb.10:
	s_load_dwordx2 s[2:3], s[4:5], 0x20
	s_sub_i32 s4, s42, s21
	s_ashr_i32 s1, s18, 31
	v_bfe_u32 v27, v0, 2, 3
	v_cmp_eq_u32_e32 vcc_lo, 0, v1
	v_lshlrev_b32_e32 v4, 1, v1
	v_mul_u32_u24_e32 v28, 48, v1
	v_mov_b32_e32 v16, 0
	v_lshlrev_b32_e32 v5, 2, v27
	v_subrev_nc_u32_e32 v6, s31, v27
	v_lshlrev_b32_e32 v7, 4, v27
	v_lshl_add_u32 v29, v23, 3, s33
	v_mov_b32_e32 v30, 0xff7fffff
	v_lshl_or_b32 v5, v23, 5, v5
	v_add_nc_u32_e32 v33, 1, v6
	v_mov_b32_e32 v31, 0x80
	v_mov_b32_e32 v32, 0xffff
	;; [unrolled: 1-line block ×3, first 2 shown]
	v_add_nc_u32_e32 v34, 0xe0, v5
	v_mov_b32_e32 v36, v13
	s_waitcnt lgkmcnt(0)
	s_add_u32 s46, s2, s18
	s_addc_u32 s47, s3, s1
	s_abs_i32 s5, s22
	v_add_co_u32 v6, s46, s46, v7
	v_cvt_f32_u32_e32 v2, s5
	s_sub_i32 s2, 0, s5
	v_add_co_ci_u32_e64 v7, null, s47, 0, s46
	v_cmp_neq_f32_e64 s1, s43, 0
	v_rcp_iflag_f32_e32 v3, v2
	v_lshlrev_b64 v[1:2], 2, v[13:14]
	s_mov_b32 s46, 0
	s_mov_b32 s47, s17
	v_mul_f32_e32 v3, 0x4f7ffffe, v3
	v_cvt_u32_f32_e32 v3, v3
	v_mul_lo_u32 v5, s2, v3
	s_lshl_b64 s[2:3], s[36:37], 2
	s_add_u32 s2, s34, s2
	s_addc_u32 s3, s35, s3
	v_add_co_u32 v17, s2, s2, v1
	v_add_co_ci_u32_e64 v18, null, s3, v2, s2
	v_mul_hi_u32 v5, v3, v5
	v_add_co_u32 v19, s2, v6, v4
	v_add_co_ci_u32_e64 v20, null, 0, v7, s2
	v_add_nc_u32_e32 v35, v3, v5
	s_branch .LBB334_13
.LBB334_11:                             ;   in Loop: Header=BB334_13 Depth=1
	s_or_b32 exec_lo, exec_lo, s48
.LBB334_12:                             ;   in Loop: Header=BB334_13 Depth=1
	s_or_b32 exec_lo, exec_lo, s3
	v_add_nc_u32_e32 v36, 4, v36
	v_add_co_u32 v17, s3, v17, 16
	v_add_co_ci_u32_e64 v18, null, 0, v18, s3
	v_cmp_le_i32_e64 s2, s20, v36
	v_add_nc_u32_e32 v29, 32, v29
	v_add_nc_u32_e32 v34, 0x80, v34
	s_or_b32 s46, s2, s46
	s_andn2_b32 exec_lo, exec_lo, s46
	s_cbranch_execz .LBB334_212
.LBB334_13:                             ; =>This Inner Loop Header: Depth=1
	v_sub_nc_u32_e32 v1, 0, v29
	v_max_i32_e32 v1, v29, v1
	s_waitcnt lgkmcnt(0)
	v_mul_hi_u32 v2, v1, s16
	v_mul_lo_u32 v3, v2, s11
	v_sub_nc_u32_e32 v1, v1, v3
	v_add_nc_u32_e32 v3, 1, v2
	v_subrev_nc_u32_e32 v4, s11, v1
	v_cmp_le_u32_e64 s2, s11, v1
	v_cndmask_b32_e64 v2, v2, v3, s2
	v_cndmask_b32_e64 v1, v1, v4, s2
	v_ashrrev_i32_e32 v3, 31, v29
	v_add_nc_u32_e32 v4, 1, v2
	v_cmp_le_u32_e64 s2, s11, v1
	v_xor_b32_e32 v3, s23, v3
	v_cndmask_b32_e64 v1, v2, v4, s2
	v_xor_b32_e32 v1, v1, v3
	v_sub_nc_u32_e32 v1, v1, v3
	v_add_nc_u32_e32 v2, s19, v1
	v_cmp_ge_i32_e64 s3, s4, v1
	v_sub_nc_u32_e32 v3, 0, v2
	v_max_i32_e32 v3, v2, v3
	v_ashrrev_i32_e32 v2, 31, v2
	v_mul_hi_u32 v4, v3, v35
	v_mul_lo_u32 v4, v4, s5
	v_sub_nc_u32_e32 v3, v3, v4
	v_subrev_nc_u32_e32 v4, s5, v3
	v_cmp_le_u32_e64 s2, s5, v3
	v_cndmask_b32_e64 v3, v3, v4, s2
	v_subrev_nc_u32_e32 v4, s5, v3
	v_cmp_le_u32_e64 s2, s5, v3
	v_cndmask_b32_e64 v3, v3, v4, s2
	v_xor_b32_e32 v3, v3, v2
	v_sub_nc_u32_e32 v2, v3, v2
	v_cmp_ne_u32_e64 s2, 0, v2
	s_and_b32 s2, s2, s3
	s_and_saveexec_b32 s3, s2
	s_xor_b32 s2, exec_lo, s3
	s_cbranch_execz .LBB334_17
; %bb.14:                               ;   in Loop: Header=BB334_13 Depth=1
	s_and_saveexec_b32 s3, vcc_lo
; %bb.15:                               ;   in Loop: Header=BB334_13 Depth=1
	ds_write_b32 v34, v30
; %bb.16:                               ;   in Loop: Header=BB334_13 Depth=1
	s_or_b32 exec_lo, exec_lo, s3
.LBB334_17:                             ;   in Loop: Header=BB334_13 Depth=1
	s_andn2_saveexec_b32 s3, s2
	s_cbranch_execz .LBB334_12
; %bb.18:                               ;   in Loop: Header=BB334_13 Depth=1
	global_load_dword v1, v[17:18], off
	v_mov_b32_e32 v38, 0
	v_mov_b32_e32 v37, 0
	s_waitcnt vmcnt(0)
	v_mad_i64_i32 v[21:22], null, v1, s47, v[19:20]
	global_load_ushort v15, v[21:22], off
	ds_read_b128 v[9:12], v28
	ds_read_b128 v[5:8], v28 offset:16
	ds_read_b128 v[1:4], v28 offset:32
	s_load_dword s48, s[12:13], 0x0
	s_waitcnt vmcnt(0)
	v_and_b32_e32 v39, 0xffff, v15
	v_cmp_ne_u16_sdwa s2, v15, v16 src0_sel:BYTE_0 src1_sel:DWORD
	s_and_saveexec_b32 s49, s2
	s_cbranch_execz .LBB334_26
; %bb.19:                               ;   in Loop: Header=BB334_13 Depth=1
	v_cmp_ne_u16_sdwa s2, v39, v31 src0_sel:BYTE_0 src1_sel:DWORD
	v_bfrev_b32_e32 v37, 1
	s_and_saveexec_b32 s50, s2
	s_cbranch_execz .LBB334_25
; %bb.20:                               ;   in Loop: Header=BB334_13 Depth=1
	v_and_b32_e32 v40, 0x7f, v39
	v_mov_b32_e32 v37, 0x7f800001
	s_mov_b32 s51, exec_lo
	v_cmpx_ne_u32_e32 0x7f, v40
	s_cbranch_execz .LBB334_24
; %bb.21:                               ;   in Loop: Header=BB334_13 Depth=1
	v_and_b32_e32 v15, 7, v39
	v_lshrrev_b32_e32 v37, 3, v40
	s_mov_b32 s52, exec_lo
	v_cmpx_gt_u32_e32 8, v40
; %bb.22:                               ;   in Loop: Header=BB334_13 Depth=1
	v_ffbh_u32_e32 v37, v15
	v_min_u32_e32 v37, 32, v37
	v_subrev_nc_u32_e32 v40, 28, v37
	v_sub_nc_u32_e32 v37, 29, v37
	v_lshlrev_b64 v[40:41], v40, v[15:16]
	v_and_b32_e32 v15, 7, v40
; %bb.23:                               ;   in Loop: Header=BB334_13 Depth=1
	s_or_b32 exec_lo, exec_lo, s52
	v_lshlrev_b32_e32 v40, 24, v39
	v_lshlrev_b32_e32 v15, 20, v15
	v_lshl_add_u32 v37, v37, 23, 0x3c000000
	v_and_b32_e32 v40, 0x80000000, v40
	v_or3_b32 v37, v15, v40, v37
.LBB334_24:                             ;   in Loop: Header=BB334_13 Depth=1
	s_or_b32 exec_lo, exec_lo, s51
.LBB334_25:                             ;   in Loop: Header=BB334_13 Depth=1
	s_or_b32 exec_lo, exec_lo, s50
.LBB334_26:                             ;   in Loop: Header=BB334_13 Depth=1
	s_or_b32 exec_lo, exec_lo, s49
	v_cmp_ne_u16_sdwa s2, v39, v16 src0_sel:BYTE_1 src1_sel:DWORD
	s_and_saveexec_b32 s49, s2
	s_cbranch_execz .LBB334_34
; %bb.27:                               ;   in Loop: Header=BB334_13 Depth=1
	v_cmp_ne_u16_sdwa s2, v39, v31 src0_sel:BYTE_1 src1_sel:DWORD
	v_bfrev_b32_e32 v38, 1
	s_and_saveexec_b32 s50, s2
	s_cbranch_execz .LBB334_33
; %bb.28:                               ;   in Loop: Header=BB334_13 Depth=1
	v_and_b32_sdwa v15, v32, v39 dst_sel:DWORD dst_unused:UNUSED_PAD src0_sel:DWORD src1_sel:BYTE_1
	v_mov_b32_e32 v38, 0x7f800001
	s_mov_b32 s51, exec_lo
	v_and_b32_e32 v40, 0x7f, v15
	v_cmpx_ne_u32_e32 0x7f, v40
	s_cbranch_execz .LBB334_32
; %bb.29:                               ;   in Loop: Header=BB334_13 Depth=1
	v_and_b32_e32 v15, 7, v15
	v_lshrrev_b32_e32 v38, 3, v40
	s_mov_b32 s52, exec_lo
	v_cmpx_gt_u32_e32 8, v40
; %bb.30:                               ;   in Loop: Header=BB334_13 Depth=1
	v_ffbh_u32_e32 v38, v15
	v_min_u32_e32 v38, 32, v38
	v_subrev_nc_u32_e32 v40, 28, v38
	v_sub_nc_u32_e32 v38, 29, v38
	v_lshlrev_b64 v[40:41], v40, v[15:16]
	v_and_b32_e32 v15, 7, v40
; %bb.31:                               ;   in Loop: Header=BB334_13 Depth=1
	s_or_b32 exec_lo, exec_lo, s52
	v_lshlrev_b32_e32 v39, 16, v39
	v_lshlrev_b32_e32 v15, 20, v15
	v_lshl_add_u32 v38, v38, 23, 0x3c000000
	v_and_b32_e32 v39, 0x80000000, v39
	v_or3_b32 v38, v15, v39, v38
.LBB334_32:                             ;   in Loop: Header=BB334_13 Depth=1
	s_or_b32 exec_lo, exec_lo, s51
.LBB334_33:                             ;   in Loop: Header=BB334_13 Depth=1
	s_or_b32 exec_lo, exec_lo, s50
.LBB334_34:                             ;   in Loop: Header=BB334_13 Depth=1
	s_or_b32 exec_lo, exec_lo, s49
	global_load_ushort v15, v[21:22], off offset:8
	v_mov_b32_e32 v40, 0
	v_mov_b32_e32 v39, 0
	s_waitcnt vmcnt(0)
	v_and_b32_e32 v41, 0xffff, v15
	v_cmp_ne_u16_sdwa s2, v15, v16 src0_sel:BYTE_0 src1_sel:DWORD
	s_and_saveexec_b32 s49, s2
	s_cbranch_execz .LBB334_42
; %bb.35:                               ;   in Loop: Header=BB334_13 Depth=1
	v_cmp_ne_u16_sdwa s2, v41, v31 src0_sel:BYTE_0 src1_sel:DWORD
	v_bfrev_b32_e32 v39, 1
	s_and_saveexec_b32 s50, s2
	s_cbranch_execz .LBB334_41
; %bb.36:                               ;   in Loop: Header=BB334_13 Depth=1
	v_and_b32_e32 v42, 0x7f, v41
	v_mov_b32_e32 v39, 0x7f800001
	s_mov_b32 s51, exec_lo
	v_cmpx_ne_u32_e32 0x7f, v42
	s_cbranch_execz .LBB334_40
; %bb.37:                               ;   in Loop: Header=BB334_13 Depth=1
	v_and_b32_e32 v15, 7, v41
	v_lshrrev_b32_e32 v39, 3, v42
	s_mov_b32 s52, exec_lo
	v_cmpx_gt_u32_e32 8, v42
; %bb.38:                               ;   in Loop: Header=BB334_13 Depth=1
	v_ffbh_u32_e32 v39, v15
	v_min_u32_e32 v39, 32, v39
	v_subrev_nc_u32_e32 v42, 28, v39
	v_sub_nc_u32_e32 v39, 29, v39
	v_lshlrev_b64 v[42:43], v42, v[15:16]
	v_and_b32_e32 v15, 7, v42
; %bb.39:                               ;   in Loop: Header=BB334_13 Depth=1
	s_or_b32 exec_lo, exec_lo, s52
	v_lshlrev_b32_e32 v42, 24, v41
	v_lshlrev_b32_e32 v15, 20, v15
	v_lshl_add_u32 v39, v39, 23, 0x3c000000
	v_and_b32_e32 v42, 0x80000000, v42
	v_or3_b32 v39, v15, v42, v39
.LBB334_40:                             ;   in Loop: Header=BB334_13 Depth=1
	s_or_b32 exec_lo, exec_lo, s51
.LBB334_41:                             ;   in Loop: Header=BB334_13 Depth=1
	s_or_b32 exec_lo, exec_lo, s50
.LBB334_42:                             ;   in Loop: Header=BB334_13 Depth=1
	s_or_b32 exec_lo, exec_lo, s49
	v_cmp_ne_u16_sdwa s2, v41, v16 src0_sel:BYTE_1 src1_sel:DWORD
	s_and_saveexec_b32 s49, s2
	s_cbranch_execz .LBB334_50
; %bb.43:                               ;   in Loop: Header=BB334_13 Depth=1
	v_cmp_ne_u16_sdwa s2, v41, v31 src0_sel:BYTE_1 src1_sel:DWORD
	v_bfrev_b32_e32 v40, 1
	s_and_saveexec_b32 s50, s2
	s_cbranch_execz .LBB334_49
; %bb.44:                               ;   in Loop: Header=BB334_13 Depth=1
	v_and_b32_sdwa v15, v32, v41 dst_sel:DWORD dst_unused:UNUSED_PAD src0_sel:DWORD src1_sel:BYTE_1
	v_mov_b32_e32 v40, 0x7f800001
	s_mov_b32 s51, exec_lo
	v_and_b32_e32 v42, 0x7f, v15
	v_cmpx_ne_u32_e32 0x7f, v42
	s_cbranch_execz .LBB334_48
; %bb.45:                               ;   in Loop: Header=BB334_13 Depth=1
	v_and_b32_e32 v15, 7, v15
	v_lshrrev_b32_e32 v40, 3, v42
	s_mov_b32 s52, exec_lo
	v_cmpx_gt_u32_e32 8, v42
; %bb.46:                               ;   in Loop: Header=BB334_13 Depth=1
	v_ffbh_u32_e32 v40, v15
	v_min_u32_e32 v40, 32, v40
	v_subrev_nc_u32_e32 v42, 28, v40
	v_sub_nc_u32_e32 v40, 29, v40
	v_lshlrev_b64 v[42:43], v42, v[15:16]
	v_and_b32_e32 v15, 7, v42
; %bb.47:                               ;   in Loop: Header=BB334_13 Depth=1
	s_or_b32 exec_lo, exec_lo, s52
	v_lshlrev_b32_e32 v41, 16, v41
	v_lshlrev_b32_e32 v15, 20, v15
	v_lshl_add_u32 v40, v40, 23, 0x3c000000
	v_and_b32_e32 v41, 0x80000000, v41
	v_or3_b32 v40, v15, v41, v40
.LBB334_48:                             ;   in Loop: Header=BB334_13 Depth=1
	s_or_b32 exec_lo, exec_lo, s51
.LBB334_49:                             ;   in Loop: Header=BB334_13 Depth=1
	s_or_b32 exec_lo, exec_lo, s50
.LBB334_50:                             ;   in Loop: Header=BB334_13 Depth=1
	s_or_b32 exec_lo, exec_lo, s49
	global_load_ushort v15, v[21:22], off offset:128
	v_mov_b32_e32 v42, 0
	v_mov_b32_e32 v41, 0
	s_waitcnt vmcnt(0)
	v_and_b32_e32 v43, 0xffff, v15
	v_cmp_ne_u16_sdwa s2, v15, v16 src0_sel:BYTE_0 src1_sel:DWORD
	s_and_saveexec_b32 s49, s2
	s_cbranch_execz .LBB334_58
; %bb.51:                               ;   in Loop: Header=BB334_13 Depth=1
	v_cmp_ne_u16_sdwa s2, v43, v31 src0_sel:BYTE_0 src1_sel:DWORD
	v_bfrev_b32_e32 v41, 1
	s_and_saveexec_b32 s50, s2
	s_cbranch_execz .LBB334_57
; %bb.52:                               ;   in Loop: Header=BB334_13 Depth=1
	v_and_b32_e32 v44, 0x7f, v43
	v_mov_b32_e32 v41, 0x7f800001
	s_mov_b32 s51, exec_lo
	v_cmpx_ne_u32_e32 0x7f, v44
	s_cbranch_execz .LBB334_56
; %bb.53:                               ;   in Loop: Header=BB334_13 Depth=1
	v_and_b32_e32 v15, 7, v43
	v_lshrrev_b32_e32 v41, 3, v44
	s_mov_b32 s52, exec_lo
	v_cmpx_gt_u32_e32 8, v44
; %bb.54:                               ;   in Loop: Header=BB334_13 Depth=1
	v_ffbh_u32_e32 v41, v15
	v_min_u32_e32 v41, 32, v41
	v_subrev_nc_u32_e32 v44, 28, v41
	v_sub_nc_u32_e32 v41, 29, v41
	v_lshlrev_b64 v[44:45], v44, v[15:16]
	v_and_b32_e32 v15, 7, v44
; %bb.55:                               ;   in Loop: Header=BB334_13 Depth=1
	s_or_b32 exec_lo, exec_lo, s52
	v_lshlrev_b32_e32 v44, 24, v43
	v_lshlrev_b32_e32 v15, 20, v15
	v_lshl_add_u32 v41, v41, 23, 0x3c000000
	v_and_b32_e32 v44, 0x80000000, v44
	v_or3_b32 v41, v15, v44, v41
.LBB334_56:                             ;   in Loop: Header=BB334_13 Depth=1
	s_or_b32 exec_lo, exec_lo, s51
.LBB334_57:                             ;   in Loop: Header=BB334_13 Depth=1
	s_or_b32 exec_lo, exec_lo, s50
.LBB334_58:                             ;   in Loop: Header=BB334_13 Depth=1
	s_or_b32 exec_lo, exec_lo, s49
	v_cmp_ne_u16_sdwa s2, v43, v16 src0_sel:BYTE_1 src1_sel:DWORD
	s_and_saveexec_b32 s49, s2
	s_cbranch_execz .LBB334_66
; %bb.59:                               ;   in Loop: Header=BB334_13 Depth=1
	v_cmp_ne_u16_sdwa s2, v43, v31 src0_sel:BYTE_1 src1_sel:DWORD
	v_bfrev_b32_e32 v42, 1
	s_and_saveexec_b32 s50, s2
	s_cbranch_execz .LBB334_65
; %bb.60:                               ;   in Loop: Header=BB334_13 Depth=1
	v_and_b32_sdwa v15, v32, v43 dst_sel:DWORD dst_unused:UNUSED_PAD src0_sel:DWORD src1_sel:BYTE_1
	v_mov_b32_e32 v42, 0x7f800001
	s_mov_b32 s51, exec_lo
	v_and_b32_e32 v44, 0x7f, v15
	v_cmpx_ne_u32_e32 0x7f, v44
	s_cbranch_execz .LBB334_64
; %bb.61:                               ;   in Loop: Header=BB334_13 Depth=1
	v_and_b32_e32 v15, 7, v15
	v_lshrrev_b32_e32 v42, 3, v44
	s_mov_b32 s52, exec_lo
	v_cmpx_gt_u32_e32 8, v44
; %bb.62:                               ;   in Loop: Header=BB334_13 Depth=1
	v_ffbh_u32_e32 v42, v15
	v_min_u32_e32 v42, 32, v42
	v_subrev_nc_u32_e32 v44, 28, v42
	v_sub_nc_u32_e32 v42, 29, v42
	v_lshlrev_b64 v[44:45], v44, v[15:16]
	v_and_b32_e32 v15, 7, v44
; %bb.63:                               ;   in Loop: Header=BB334_13 Depth=1
	s_or_b32 exec_lo, exec_lo, s52
	v_lshlrev_b32_e32 v43, 16, v43
	v_lshlrev_b32_e32 v15, 20, v15
	v_lshl_add_u32 v42, v42, 23, 0x3c000000
	v_and_b32_e32 v43, 0x80000000, v43
	v_or3_b32 v42, v15, v43, v42
.LBB334_64:                             ;   in Loop: Header=BB334_13 Depth=1
	s_or_b32 exec_lo, exec_lo, s51
.LBB334_65:                             ;   in Loop: Header=BB334_13 Depth=1
	s_or_b32 exec_lo, exec_lo, s50
.LBB334_66:                             ;   in Loop: Header=BB334_13 Depth=1
	s_or_b32 exec_lo, exec_lo, s49
	global_load_ushort v15, v[21:22], off offset:136
	v_mov_b32_e32 v44, 0
	v_mov_b32_e32 v43, 0
	s_waitcnt vmcnt(0)
	v_and_b32_e32 v45, 0xffff, v15
	v_cmp_ne_u16_sdwa s2, v15, v16 src0_sel:BYTE_0 src1_sel:DWORD
	s_and_saveexec_b32 s49, s2
	s_cbranch_execz .LBB334_74
; %bb.67:                               ;   in Loop: Header=BB334_13 Depth=1
	v_cmp_ne_u16_sdwa s2, v45, v31 src0_sel:BYTE_0 src1_sel:DWORD
	v_bfrev_b32_e32 v43, 1
	s_and_saveexec_b32 s50, s2
	s_cbranch_execz .LBB334_73
; %bb.68:                               ;   in Loop: Header=BB334_13 Depth=1
	v_and_b32_e32 v46, 0x7f, v45
	v_mov_b32_e32 v43, 0x7f800001
	s_mov_b32 s51, exec_lo
	v_cmpx_ne_u32_e32 0x7f, v46
	s_cbranch_execz .LBB334_72
; %bb.69:                               ;   in Loop: Header=BB334_13 Depth=1
	v_and_b32_e32 v15, 7, v45
	v_lshrrev_b32_e32 v43, 3, v46
	s_mov_b32 s52, exec_lo
	v_cmpx_gt_u32_e32 8, v46
; %bb.70:                               ;   in Loop: Header=BB334_13 Depth=1
	v_ffbh_u32_e32 v43, v15
	v_min_u32_e32 v43, 32, v43
	v_subrev_nc_u32_e32 v46, 28, v43
	v_sub_nc_u32_e32 v43, 29, v43
	v_lshlrev_b64 v[46:47], v46, v[15:16]
	v_and_b32_e32 v15, 7, v46
; %bb.71:                               ;   in Loop: Header=BB334_13 Depth=1
	s_or_b32 exec_lo, exec_lo, s52
	v_lshlrev_b32_e32 v46, 24, v45
	v_lshlrev_b32_e32 v15, 20, v15
	v_lshl_add_u32 v43, v43, 23, 0x3c000000
	v_and_b32_e32 v46, 0x80000000, v46
	v_or3_b32 v43, v15, v46, v43
.LBB334_72:                             ;   in Loop: Header=BB334_13 Depth=1
	s_or_b32 exec_lo, exec_lo, s51
.LBB334_73:                             ;   in Loop: Header=BB334_13 Depth=1
	s_or_b32 exec_lo, exec_lo, s50
.LBB334_74:                             ;   in Loop: Header=BB334_13 Depth=1
	s_or_b32 exec_lo, exec_lo, s49
	v_cmp_ne_u16_sdwa s2, v45, v16 src0_sel:BYTE_1 src1_sel:DWORD
	s_and_saveexec_b32 s49, s2
	s_cbranch_execz .LBB334_82
; %bb.75:                               ;   in Loop: Header=BB334_13 Depth=1
	v_cmp_ne_u16_sdwa s2, v45, v31 src0_sel:BYTE_1 src1_sel:DWORD
	v_bfrev_b32_e32 v44, 1
	s_and_saveexec_b32 s50, s2
	s_cbranch_execz .LBB334_81
; %bb.76:                               ;   in Loop: Header=BB334_13 Depth=1
	v_and_b32_sdwa v15, v32, v45 dst_sel:DWORD dst_unused:UNUSED_PAD src0_sel:DWORD src1_sel:BYTE_1
	v_mov_b32_e32 v44, 0x7f800001
	s_mov_b32 s51, exec_lo
	v_and_b32_e32 v46, 0x7f, v15
	v_cmpx_ne_u32_e32 0x7f, v46
	s_cbranch_execz .LBB334_80
; %bb.77:                               ;   in Loop: Header=BB334_13 Depth=1
	v_and_b32_e32 v15, 7, v15
	v_lshrrev_b32_e32 v44, 3, v46
	s_mov_b32 s52, exec_lo
	v_cmpx_gt_u32_e32 8, v46
; %bb.78:                               ;   in Loop: Header=BB334_13 Depth=1
	v_ffbh_u32_e32 v44, v15
	v_min_u32_e32 v44, 32, v44
	v_subrev_nc_u32_e32 v46, 28, v44
	v_sub_nc_u32_e32 v44, 29, v44
	v_lshlrev_b64 v[46:47], v46, v[15:16]
	v_and_b32_e32 v15, 7, v46
; %bb.79:                               ;   in Loop: Header=BB334_13 Depth=1
	s_or_b32 exec_lo, exec_lo, s52
	v_lshlrev_b32_e32 v45, 16, v45
	v_lshlrev_b32_e32 v15, 20, v15
	v_lshl_add_u32 v44, v44, 23, 0x3c000000
	v_and_b32_e32 v45, 0x80000000, v45
	v_or3_b32 v44, v15, v45, v44
.LBB334_80:                             ;   in Loop: Header=BB334_13 Depth=1
	s_or_b32 exec_lo, exec_lo, s51
.LBB334_81:                             ;   in Loop: Header=BB334_13 Depth=1
	s_or_b32 exec_lo, exec_lo, s50
.LBB334_82:                             ;   in Loop: Header=BB334_13 Depth=1
	s_or_b32 exec_lo, exec_lo, s49
	global_load_ushort v15, v[21:22], off offset:256
	v_mov_b32_e32 v46, 0
	v_mov_b32_e32 v45, 0
	s_waitcnt vmcnt(0)
	v_and_b32_e32 v47, 0xffff, v15
	v_cmp_ne_u16_sdwa s2, v15, v16 src0_sel:BYTE_0 src1_sel:DWORD
	s_and_saveexec_b32 s49, s2
	s_cbranch_execz .LBB334_90
; %bb.83:                               ;   in Loop: Header=BB334_13 Depth=1
	v_cmp_ne_u16_sdwa s2, v47, v31 src0_sel:BYTE_0 src1_sel:DWORD
	v_bfrev_b32_e32 v45, 1
	s_and_saveexec_b32 s50, s2
	s_cbranch_execz .LBB334_89
; %bb.84:                               ;   in Loop: Header=BB334_13 Depth=1
	v_and_b32_e32 v48, 0x7f, v47
	v_mov_b32_e32 v45, 0x7f800001
	s_mov_b32 s51, exec_lo
	v_cmpx_ne_u32_e32 0x7f, v48
	s_cbranch_execz .LBB334_88
; %bb.85:                               ;   in Loop: Header=BB334_13 Depth=1
	v_and_b32_e32 v15, 7, v47
	v_lshrrev_b32_e32 v45, 3, v48
	s_mov_b32 s52, exec_lo
	v_cmpx_gt_u32_e32 8, v48
; %bb.86:                               ;   in Loop: Header=BB334_13 Depth=1
	v_ffbh_u32_e32 v45, v15
	v_min_u32_e32 v45, 32, v45
	v_subrev_nc_u32_e32 v48, 28, v45
	v_sub_nc_u32_e32 v45, 29, v45
	v_lshlrev_b64 v[48:49], v48, v[15:16]
	v_and_b32_e32 v15, 7, v48
; %bb.87:                               ;   in Loop: Header=BB334_13 Depth=1
	s_or_b32 exec_lo, exec_lo, s52
	v_lshlrev_b32_e32 v48, 24, v47
	v_lshlrev_b32_e32 v15, 20, v15
	v_lshl_add_u32 v45, v45, 23, 0x3c000000
	v_and_b32_e32 v48, 0x80000000, v48
	v_or3_b32 v45, v15, v48, v45
.LBB334_88:                             ;   in Loop: Header=BB334_13 Depth=1
	s_or_b32 exec_lo, exec_lo, s51
.LBB334_89:                             ;   in Loop: Header=BB334_13 Depth=1
	s_or_b32 exec_lo, exec_lo, s50
.LBB334_90:                             ;   in Loop: Header=BB334_13 Depth=1
	s_or_b32 exec_lo, exec_lo, s49
	v_cmp_ne_u16_sdwa s2, v47, v16 src0_sel:BYTE_1 src1_sel:DWORD
	s_and_saveexec_b32 s49, s2
	s_cbranch_execz .LBB334_98
; %bb.91:                               ;   in Loop: Header=BB334_13 Depth=1
	v_cmp_ne_u16_sdwa s2, v47, v31 src0_sel:BYTE_1 src1_sel:DWORD
	v_bfrev_b32_e32 v46, 1
	s_and_saveexec_b32 s50, s2
	s_cbranch_execz .LBB334_97
; %bb.92:                               ;   in Loop: Header=BB334_13 Depth=1
	v_and_b32_sdwa v15, v32, v47 dst_sel:DWORD dst_unused:UNUSED_PAD src0_sel:DWORD src1_sel:BYTE_1
	v_mov_b32_e32 v46, 0x7f800001
	s_mov_b32 s51, exec_lo
	v_and_b32_e32 v48, 0x7f, v15
	v_cmpx_ne_u32_e32 0x7f, v48
	s_cbranch_execz .LBB334_96
; %bb.93:                               ;   in Loop: Header=BB334_13 Depth=1
	v_and_b32_e32 v15, 7, v15
	v_lshrrev_b32_e32 v46, 3, v48
	s_mov_b32 s52, exec_lo
	v_cmpx_gt_u32_e32 8, v48
; %bb.94:                               ;   in Loop: Header=BB334_13 Depth=1
	v_ffbh_u32_e32 v46, v15
	v_min_u32_e32 v46, 32, v46
	v_subrev_nc_u32_e32 v48, 28, v46
	v_sub_nc_u32_e32 v46, 29, v46
	v_lshlrev_b64 v[48:49], v48, v[15:16]
	v_and_b32_e32 v15, 7, v48
; %bb.95:                               ;   in Loop: Header=BB334_13 Depth=1
	s_or_b32 exec_lo, exec_lo, s52
	v_lshlrev_b32_e32 v47, 16, v47
	v_lshlrev_b32_e32 v15, 20, v15
	v_lshl_add_u32 v46, v46, 23, 0x3c000000
	v_and_b32_e32 v47, 0x80000000, v47
	v_or3_b32 v46, v15, v47, v46
.LBB334_96:                             ;   in Loop: Header=BB334_13 Depth=1
	s_or_b32 exec_lo, exec_lo, s51
.LBB334_97:                             ;   in Loop: Header=BB334_13 Depth=1
	s_or_b32 exec_lo, exec_lo, s50
.LBB334_98:                             ;   in Loop: Header=BB334_13 Depth=1
	s_or_b32 exec_lo, exec_lo, s49
	global_load_ushort v15, v[21:22], off offset:264
	v_mov_b32_e32 v48, 0
	v_mov_b32_e32 v47, 0
	s_waitcnt vmcnt(0)
	v_and_b32_e32 v49, 0xffff, v15
	v_cmp_ne_u16_sdwa s2, v15, v16 src0_sel:BYTE_0 src1_sel:DWORD
	s_and_saveexec_b32 s49, s2
	s_cbranch_execz .LBB334_106
; %bb.99:                               ;   in Loop: Header=BB334_13 Depth=1
	v_cmp_ne_u16_sdwa s2, v49, v31 src0_sel:BYTE_0 src1_sel:DWORD
	v_bfrev_b32_e32 v47, 1
	s_and_saveexec_b32 s50, s2
	s_cbranch_execz .LBB334_105
; %bb.100:                              ;   in Loop: Header=BB334_13 Depth=1
	v_and_b32_e32 v50, 0x7f, v49
	v_mov_b32_e32 v47, 0x7f800001
	s_mov_b32 s51, exec_lo
	v_cmpx_ne_u32_e32 0x7f, v50
	s_cbranch_execz .LBB334_104
; %bb.101:                              ;   in Loop: Header=BB334_13 Depth=1
	v_and_b32_e32 v15, 7, v49
	v_lshrrev_b32_e32 v47, 3, v50
	s_mov_b32 s52, exec_lo
	v_cmpx_gt_u32_e32 8, v50
; %bb.102:                              ;   in Loop: Header=BB334_13 Depth=1
	v_ffbh_u32_e32 v47, v15
	v_min_u32_e32 v47, 32, v47
	v_subrev_nc_u32_e32 v50, 28, v47
	v_sub_nc_u32_e32 v47, 29, v47
	v_lshlrev_b64 v[50:51], v50, v[15:16]
	v_and_b32_e32 v15, 7, v50
; %bb.103:                              ;   in Loop: Header=BB334_13 Depth=1
	s_or_b32 exec_lo, exec_lo, s52
	v_lshlrev_b32_e32 v50, 24, v49
	v_lshlrev_b32_e32 v15, 20, v15
	v_lshl_add_u32 v47, v47, 23, 0x3c000000
	v_and_b32_e32 v50, 0x80000000, v50
	v_or3_b32 v47, v15, v50, v47
.LBB334_104:                            ;   in Loop: Header=BB334_13 Depth=1
	s_or_b32 exec_lo, exec_lo, s51
.LBB334_105:                            ;   in Loop: Header=BB334_13 Depth=1
	s_or_b32 exec_lo, exec_lo, s50
.LBB334_106:                            ;   in Loop: Header=BB334_13 Depth=1
	s_or_b32 exec_lo, exec_lo, s49
	v_cmp_ne_u16_sdwa s2, v49, v16 src0_sel:BYTE_1 src1_sel:DWORD
	s_and_saveexec_b32 s49, s2
	s_cbranch_execz .LBB334_114
; %bb.107:                              ;   in Loop: Header=BB334_13 Depth=1
	v_cmp_ne_u16_sdwa s2, v49, v31 src0_sel:BYTE_1 src1_sel:DWORD
	v_bfrev_b32_e32 v48, 1
	s_and_saveexec_b32 s50, s2
	s_cbranch_execz .LBB334_113
; %bb.108:                              ;   in Loop: Header=BB334_13 Depth=1
	v_and_b32_sdwa v15, v32, v49 dst_sel:DWORD dst_unused:UNUSED_PAD src0_sel:DWORD src1_sel:BYTE_1
	v_mov_b32_e32 v48, 0x7f800001
	s_mov_b32 s51, exec_lo
	v_and_b32_e32 v50, 0x7f, v15
	v_cmpx_ne_u32_e32 0x7f, v50
	s_cbranch_execz .LBB334_112
; %bb.109:                              ;   in Loop: Header=BB334_13 Depth=1
	v_and_b32_e32 v15, 7, v15
	v_lshrrev_b32_e32 v48, 3, v50
	s_mov_b32 s52, exec_lo
	v_cmpx_gt_u32_e32 8, v50
; %bb.110:                              ;   in Loop: Header=BB334_13 Depth=1
	v_ffbh_u32_e32 v48, v15
	v_min_u32_e32 v48, 32, v48
	v_subrev_nc_u32_e32 v50, 28, v48
	v_sub_nc_u32_e32 v48, 29, v48
	v_lshlrev_b64 v[50:51], v50, v[15:16]
	v_and_b32_e32 v15, 7, v50
; %bb.111:                              ;   in Loop: Header=BB334_13 Depth=1
	s_or_b32 exec_lo, exec_lo, s52
	v_lshlrev_b32_e32 v49, 16, v49
	v_lshlrev_b32_e32 v15, 20, v15
	v_lshl_add_u32 v48, v48, 23, 0x3c000000
	v_and_b32_e32 v49, 0x80000000, v49
	v_or3_b32 v48, v15, v49, v48
.LBB334_112:                            ;   in Loop: Header=BB334_13 Depth=1
	s_or_b32 exec_lo, exec_lo, s51
.LBB334_113:                            ;   in Loop: Header=BB334_13 Depth=1
	s_or_b32 exec_lo, exec_lo, s50
.LBB334_114:                            ;   in Loop: Header=BB334_13 Depth=1
	s_or_b32 exec_lo, exec_lo, s49
	global_load_ushort v15, v[21:22], off offset:384
	v_mov_b32_e32 v50, 0
	v_mov_b32_e32 v49, 0
	s_waitcnt vmcnt(0)
	v_and_b32_e32 v51, 0xffff, v15
	v_cmp_ne_u16_sdwa s2, v15, v16 src0_sel:BYTE_0 src1_sel:DWORD
	s_and_saveexec_b32 s49, s2
	s_cbranch_execz .LBB334_122
; %bb.115:                              ;   in Loop: Header=BB334_13 Depth=1
	v_cmp_ne_u16_sdwa s2, v51, v31 src0_sel:BYTE_0 src1_sel:DWORD
	v_bfrev_b32_e32 v49, 1
	s_and_saveexec_b32 s50, s2
	s_cbranch_execz .LBB334_121
; %bb.116:                              ;   in Loop: Header=BB334_13 Depth=1
	v_and_b32_e32 v52, 0x7f, v51
	v_mov_b32_e32 v49, 0x7f800001
	s_mov_b32 s51, exec_lo
	v_cmpx_ne_u32_e32 0x7f, v52
	s_cbranch_execz .LBB334_120
; %bb.117:                              ;   in Loop: Header=BB334_13 Depth=1
	v_and_b32_e32 v15, 7, v51
	v_lshrrev_b32_e32 v49, 3, v52
	s_mov_b32 s52, exec_lo
	v_cmpx_gt_u32_e32 8, v52
; %bb.118:                              ;   in Loop: Header=BB334_13 Depth=1
	v_ffbh_u32_e32 v49, v15
	v_min_u32_e32 v49, 32, v49
	v_subrev_nc_u32_e32 v52, 28, v49
	v_sub_nc_u32_e32 v49, 29, v49
	v_lshlrev_b64 v[52:53], v52, v[15:16]
	v_and_b32_e32 v15, 7, v52
; %bb.119:                              ;   in Loop: Header=BB334_13 Depth=1
	s_or_b32 exec_lo, exec_lo, s52
	v_lshlrev_b32_e32 v52, 24, v51
	v_lshlrev_b32_e32 v15, 20, v15
	v_lshl_add_u32 v49, v49, 23, 0x3c000000
	v_and_b32_e32 v52, 0x80000000, v52
	v_or3_b32 v49, v15, v52, v49
.LBB334_120:                            ;   in Loop: Header=BB334_13 Depth=1
	s_or_b32 exec_lo, exec_lo, s51
.LBB334_121:                            ;   in Loop: Header=BB334_13 Depth=1
	s_or_b32 exec_lo, exec_lo, s50
.LBB334_122:                            ;   in Loop: Header=BB334_13 Depth=1
	s_or_b32 exec_lo, exec_lo, s49
	v_cmp_ne_u16_sdwa s2, v51, v16 src0_sel:BYTE_1 src1_sel:DWORD
	s_and_saveexec_b32 s49, s2
	s_cbranch_execz .LBB334_130
; %bb.123:                              ;   in Loop: Header=BB334_13 Depth=1
	v_cmp_ne_u16_sdwa s2, v51, v31 src0_sel:BYTE_1 src1_sel:DWORD
	v_bfrev_b32_e32 v50, 1
	s_and_saveexec_b32 s50, s2
	s_cbranch_execz .LBB334_129
; %bb.124:                              ;   in Loop: Header=BB334_13 Depth=1
	v_and_b32_sdwa v15, v32, v51 dst_sel:DWORD dst_unused:UNUSED_PAD src0_sel:DWORD src1_sel:BYTE_1
	v_mov_b32_e32 v50, 0x7f800001
	s_mov_b32 s51, exec_lo
	v_and_b32_e32 v52, 0x7f, v15
	v_cmpx_ne_u32_e32 0x7f, v52
	s_cbranch_execz .LBB334_128
; %bb.125:                              ;   in Loop: Header=BB334_13 Depth=1
	v_and_b32_e32 v15, 7, v15
	v_lshrrev_b32_e32 v50, 3, v52
	s_mov_b32 s52, exec_lo
	v_cmpx_gt_u32_e32 8, v52
; %bb.126:                              ;   in Loop: Header=BB334_13 Depth=1
	v_ffbh_u32_e32 v50, v15
	v_min_u32_e32 v50, 32, v50
	v_subrev_nc_u32_e32 v52, 28, v50
	v_sub_nc_u32_e32 v50, 29, v50
	v_lshlrev_b64 v[52:53], v52, v[15:16]
	v_and_b32_e32 v15, 7, v52
; %bb.127:                              ;   in Loop: Header=BB334_13 Depth=1
	s_or_b32 exec_lo, exec_lo, s52
	v_lshlrev_b32_e32 v51, 16, v51
	v_lshlrev_b32_e32 v15, 20, v15
	v_lshl_add_u32 v50, v50, 23, 0x3c000000
	v_and_b32_e32 v51, 0x80000000, v51
	v_or3_b32 v50, v15, v51, v50
.LBB334_128:                            ;   in Loop: Header=BB334_13 Depth=1
	s_or_b32 exec_lo, exec_lo, s51
.LBB334_129:                            ;   in Loop: Header=BB334_13 Depth=1
	s_or_b32 exec_lo, exec_lo, s50
.LBB334_130:                            ;   in Loop: Header=BB334_13 Depth=1
	s_or_b32 exec_lo, exec_lo, s49
	global_load_ushort v15, v[21:22], off offset:392
	v_mov_b32_e32 v52, 0
	v_mov_b32_e32 v51, 0
	s_waitcnt vmcnt(0)
	v_and_b32_e32 v53, 0xffff, v15
	v_cmp_ne_u16_sdwa s2, v15, v16 src0_sel:BYTE_0 src1_sel:DWORD
	s_and_saveexec_b32 s49, s2
	s_cbranch_execz .LBB334_138
; %bb.131:                              ;   in Loop: Header=BB334_13 Depth=1
	v_cmp_ne_u16_sdwa s2, v53, v31 src0_sel:BYTE_0 src1_sel:DWORD
	v_bfrev_b32_e32 v51, 1
	s_and_saveexec_b32 s50, s2
	s_cbranch_execz .LBB334_137
; %bb.132:                              ;   in Loop: Header=BB334_13 Depth=1
	v_and_b32_e32 v54, 0x7f, v53
	v_mov_b32_e32 v51, 0x7f800001
	s_mov_b32 s51, exec_lo
	v_cmpx_ne_u32_e32 0x7f, v54
	s_cbranch_execz .LBB334_136
; %bb.133:                              ;   in Loop: Header=BB334_13 Depth=1
	v_and_b32_e32 v15, 7, v53
	v_lshrrev_b32_e32 v51, 3, v54
	s_mov_b32 s52, exec_lo
	v_cmpx_gt_u32_e32 8, v54
; %bb.134:                              ;   in Loop: Header=BB334_13 Depth=1
	v_ffbh_u32_e32 v51, v15
	v_min_u32_e32 v51, 32, v51
	v_subrev_nc_u32_e32 v54, 28, v51
	v_sub_nc_u32_e32 v51, 29, v51
	v_lshlrev_b64 v[54:55], v54, v[15:16]
	v_and_b32_e32 v15, 7, v54
; %bb.135:                              ;   in Loop: Header=BB334_13 Depth=1
	s_or_b32 exec_lo, exec_lo, s52
	v_lshlrev_b32_e32 v54, 24, v53
	v_lshlrev_b32_e32 v15, 20, v15
	v_lshl_add_u32 v51, v51, 23, 0x3c000000
	v_and_b32_e32 v54, 0x80000000, v54
	v_or3_b32 v51, v15, v54, v51
.LBB334_136:                            ;   in Loop: Header=BB334_13 Depth=1
	s_or_b32 exec_lo, exec_lo, s51
.LBB334_137:                            ;   in Loop: Header=BB334_13 Depth=1
	s_or_b32 exec_lo, exec_lo, s50
.LBB334_138:                            ;   in Loop: Header=BB334_13 Depth=1
	s_or_b32 exec_lo, exec_lo, s49
	v_cmp_ne_u16_sdwa s2, v53, v16 src0_sel:BYTE_1 src1_sel:DWORD
	s_and_saveexec_b32 s49, s2
	s_cbranch_execz .LBB334_146
; %bb.139:                              ;   in Loop: Header=BB334_13 Depth=1
	v_cmp_ne_u16_sdwa s2, v53, v31 src0_sel:BYTE_1 src1_sel:DWORD
	v_bfrev_b32_e32 v52, 1
	s_and_saveexec_b32 s50, s2
	s_cbranch_execz .LBB334_145
; %bb.140:                              ;   in Loop: Header=BB334_13 Depth=1
	v_and_b32_sdwa v15, v32, v53 dst_sel:DWORD dst_unused:UNUSED_PAD src0_sel:DWORD src1_sel:BYTE_1
	v_mov_b32_e32 v52, 0x7f800001
	s_mov_b32 s51, exec_lo
	v_and_b32_e32 v54, 0x7f, v15
	v_cmpx_ne_u32_e32 0x7f, v54
	s_cbranch_execz .LBB334_144
; %bb.141:                              ;   in Loop: Header=BB334_13 Depth=1
	v_and_b32_e32 v15, 7, v15
	v_lshrrev_b32_e32 v52, 3, v54
	s_mov_b32 s52, exec_lo
	v_cmpx_gt_u32_e32 8, v54
; %bb.142:                              ;   in Loop: Header=BB334_13 Depth=1
	v_ffbh_u32_e32 v52, v15
	v_min_u32_e32 v52, 32, v52
	v_subrev_nc_u32_e32 v54, 28, v52
	v_sub_nc_u32_e32 v52, 29, v52
	v_lshlrev_b64 v[54:55], v54, v[15:16]
	v_and_b32_e32 v15, 7, v54
; %bb.143:                              ;   in Loop: Header=BB334_13 Depth=1
	s_or_b32 exec_lo, exec_lo, s52
	v_lshlrev_b32_e32 v53, 16, v53
	v_lshlrev_b32_e32 v15, 20, v15
	v_lshl_add_u32 v52, v52, 23, 0x3c000000
	v_and_b32_e32 v53, 0x80000000, v53
	v_or3_b32 v52, v15, v53, v52
.LBB334_144:                            ;   in Loop: Header=BB334_13 Depth=1
	s_or_b32 exec_lo, exec_lo, s51
.LBB334_145:                            ;   in Loop: Header=BB334_13 Depth=1
	s_or_b32 exec_lo, exec_lo, s50
.LBB334_146:                            ;   in Loop: Header=BB334_13 Depth=1
	s_or_b32 exec_lo, exec_lo, s49
	global_load_ushort v15, v[21:22], off offset:512
	v_mov_b32_e32 v54, 0
	v_mov_b32_e32 v53, 0
	s_waitcnt vmcnt(0)
	v_and_b32_e32 v55, 0xffff, v15
	v_cmp_ne_u16_sdwa s2, v15, v16 src0_sel:BYTE_0 src1_sel:DWORD
	s_and_saveexec_b32 s49, s2
	s_cbranch_execz .LBB334_154
; %bb.147:                              ;   in Loop: Header=BB334_13 Depth=1
	v_cmp_ne_u16_sdwa s2, v55, v31 src0_sel:BYTE_0 src1_sel:DWORD
	v_bfrev_b32_e32 v53, 1
	s_and_saveexec_b32 s50, s2
	s_cbranch_execz .LBB334_153
; %bb.148:                              ;   in Loop: Header=BB334_13 Depth=1
	v_and_b32_e32 v56, 0x7f, v55
	v_mov_b32_e32 v53, 0x7f800001
	s_mov_b32 s51, exec_lo
	v_cmpx_ne_u32_e32 0x7f, v56
	s_cbranch_execz .LBB334_152
; %bb.149:                              ;   in Loop: Header=BB334_13 Depth=1
	v_and_b32_e32 v15, 7, v55
	v_lshrrev_b32_e32 v53, 3, v56
	s_mov_b32 s52, exec_lo
	v_cmpx_gt_u32_e32 8, v56
; %bb.150:                              ;   in Loop: Header=BB334_13 Depth=1
	v_ffbh_u32_e32 v53, v15
	v_min_u32_e32 v53, 32, v53
	v_subrev_nc_u32_e32 v56, 28, v53
	v_sub_nc_u32_e32 v53, 29, v53
	v_lshlrev_b64 v[56:57], v56, v[15:16]
	v_and_b32_e32 v15, 7, v56
; %bb.151:                              ;   in Loop: Header=BB334_13 Depth=1
	s_or_b32 exec_lo, exec_lo, s52
	v_lshlrev_b32_e32 v56, 24, v55
	v_lshlrev_b32_e32 v15, 20, v15
	v_lshl_add_u32 v53, v53, 23, 0x3c000000
	v_and_b32_e32 v56, 0x80000000, v56
	v_or3_b32 v53, v15, v56, v53
.LBB334_152:                            ;   in Loop: Header=BB334_13 Depth=1
	s_or_b32 exec_lo, exec_lo, s51
.LBB334_153:                            ;   in Loop: Header=BB334_13 Depth=1
	s_or_b32 exec_lo, exec_lo, s50
.LBB334_154:                            ;   in Loop: Header=BB334_13 Depth=1
	s_or_b32 exec_lo, exec_lo, s49
	v_cmp_ne_u16_sdwa s2, v55, v16 src0_sel:BYTE_1 src1_sel:DWORD
	s_and_saveexec_b32 s49, s2
	s_cbranch_execz .LBB334_162
; %bb.155:                              ;   in Loop: Header=BB334_13 Depth=1
	v_cmp_ne_u16_sdwa s2, v55, v31 src0_sel:BYTE_1 src1_sel:DWORD
	v_bfrev_b32_e32 v54, 1
	s_and_saveexec_b32 s50, s2
	s_cbranch_execz .LBB334_161
; %bb.156:                              ;   in Loop: Header=BB334_13 Depth=1
	v_and_b32_sdwa v15, v32, v55 dst_sel:DWORD dst_unused:UNUSED_PAD src0_sel:DWORD src1_sel:BYTE_1
	v_mov_b32_e32 v54, 0x7f800001
	s_mov_b32 s51, exec_lo
	v_and_b32_e32 v56, 0x7f, v15
	v_cmpx_ne_u32_e32 0x7f, v56
	s_cbranch_execz .LBB334_160
; %bb.157:                              ;   in Loop: Header=BB334_13 Depth=1
	v_and_b32_e32 v15, 7, v15
	v_lshrrev_b32_e32 v54, 3, v56
	s_mov_b32 s52, exec_lo
	v_cmpx_gt_u32_e32 8, v56
; %bb.158:                              ;   in Loop: Header=BB334_13 Depth=1
	v_ffbh_u32_e32 v54, v15
	v_min_u32_e32 v54, 32, v54
	v_subrev_nc_u32_e32 v56, 28, v54
	v_sub_nc_u32_e32 v54, 29, v54
	v_lshlrev_b64 v[56:57], v56, v[15:16]
	v_and_b32_e32 v15, 7, v56
; %bb.159:                              ;   in Loop: Header=BB334_13 Depth=1
	s_or_b32 exec_lo, exec_lo, s52
	v_lshlrev_b32_e32 v55, 16, v55
	v_lshlrev_b32_e32 v15, 20, v15
	v_lshl_add_u32 v54, v54, 23, 0x3c000000
	v_and_b32_e32 v55, 0x80000000, v55
	v_or3_b32 v54, v15, v55, v54
.LBB334_160:                            ;   in Loop: Header=BB334_13 Depth=1
	s_or_b32 exec_lo, exec_lo, s51
.LBB334_161:                            ;   in Loop: Header=BB334_13 Depth=1
	s_or_b32 exec_lo, exec_lo, s50
.LBB334_162:                            ;   in Loop: Header=BB334_13 Depth=1
	s_or_b32 exec_lo, exec_lo, s49
	global_load_ushort v15, v[21:22], off offset:520
	v_mov_b32_e32 v56, 0
	v_mov_b32_e32 v55, 0
	s_waitcnt vmcnt(0)
	v_and_b32_e32 v57, 0xffff, v15
	v_cmp_ne_u16_sdwa s2, v15, v16 src0_sel:BYTE_0 src1_sel:DWORD
	s_and_saveexec_b32 s49, s2
	s_cbranch_execz .LBB334_170
; %bb.163:                              ;   in Loop: Header=BB334_13 Depth=1
	v_cmp_ne_u16_sdwa s2, v57, v31 src0_sel:BYTE_0 src1_sel:DWORD
	v_bfrev_b32_e32 v55, 1
	s_and_saveexec_b32 s50, s2
	s_cbranch_execz .LBB334_169
; %bb.164:                              ;   in Loop: Header=BB334_13 Depth=1
	v_and_b32_e32 v58, 0x7f, v57
	v_mov_b32_e32 v55, 0x7f800001
	s_mov_b32 s51, exec_lo
	v_cmpx_ne_u32_e32 0x7f, v58
	s_cbranch_execz .LBB334_168
; %bb.165:                              ;   in Loop: Header=BB334_13 Depth=1
	v_and_b32_e32 v15, 7, v57
	v_lshrrev_b32_e32 v55, 3, v58
	s_mov_b32 s52, exec_lo
	v_cmpx_gt_u32_e32 8, v58
; %bb.166:                              ;   in Loop: Header=BB334_13 Depth=1
	v_ffbh_u32_e32 v55, v15
	v_min_u32_e32 v55, 32, v55
	v_subrev_nc_u32_e32 v58, 28, v55
	v_sub_nc_u32_e32 v55, 29, v55
	v_lshlrev_b64 v[58:59], v58, v[15:16]
	v_and_b32_e32 v15, 7, v58
; %bb.167:                              ;   in Loop: Header=BB334_13 Depth=1
	s_or_b32 exec_lo, exec_lo, s52
	v_lshlrev_b32_e32 v58, 24, v57
	v_lshlrev_b32_e32 v15, 20, v15
	v_lshl_add_u32 v55, v55, 23, 0x3c000000
	v_and_b32_e32 v58, 0x80000000, v58
	v_or3_b32 v55, v15, v58, v55
.LBB334_168:                            ;   in Loop: Header=BB334_13 Depth=1
	s_or_b32 exec_lo, exec_lo, s51
.LBB334_169:                            ;   in Loop: Header=BB334_13 Depth=1
	s_or_b32 exec_lo, exec_lo, s50
.LBB334_170:                            ;   in Loop: Header=BB334_13 Depth=1
	s_or_b32 exec_lo, exec_lo, s49
	v_cmp_ne_u16_sdwa s2, v57, v16 src0_sel:BYTE_1 src1_sel:DWORD
	s_and_saveexec_b32 s49, s2
	s_cbranch_execz .LBB334_178
; %bb.171:                              ;   in Loop: Header=BB334_13 Depth=1
	v_cmp_ne_u16_sdwa s2, v57, v31 src0_sel:BYTE_1 src1_sel:DWORD
	v_bfrev_b32_e32 v56, 1
	s_and_saveexec_b32 s50, s2
	s_cbranch_execz .LBB334_177
; %bb.172:                              ;   in Loop: Header=BB334_13 Depth=1
	v_and_b32_sdwa v15, v32, v57 dst_sel:DWORD dst_unused:UNUSED_PAD src0_sel:DWORD src1_sel:BYTE_1
	v_mov_b32_e32 v56, 0x7f800001
	s_mov_b32 s51, exec_lo
	v_and_b32_e32 v58, 0x7f, v15
	v_cmpx_ne_u32_e32 0x7f, v58
	s_cbranch_execz .LBB334_176
; %bb.173:                              ;   in Loop: Header=BB334_13 Depth=1
	v_and_b32_e32 v15, 7, v15
	v_lshrrev_b32_e32 v56, 3, v58
	s_mov_b32 s52, exec_lo
	v_cmpx_gt_u32_e32 8, v58
; %bb.174:                              ;   in Loop: Header=BB334_13 Depth=1
	v_ffbh_u32_e32 v56, v15
	v_min_u32_e32 v56, 32, v56
	v_subrev_nc_u32_e32 v58, 28, v56
	v_sub_nc_u32_e32 v56, 29, v56
	v_lshlrev_b64 v[58:59], v58, v[15:16]
	v_and_b32_e32 v15, 7, v58
; %bb.175:                              ;   in Loop: Header=BB334_13 Depth=1
	s_or_b32 exec_lo, exec_lo, s52
	v_lshlrev_b32_e32 v57, 16, v57
	v_lshlrev_b32_e32 v15, 20, v15
	v_lshl_add_u32 v56, v56, 23, 0x3c000000
	v_and_b32_e32 v57, 0x80000000, v57
	v_or3_b32 v56, v15, v57, v56
.LBB334_176:                            ;   in Loop: Header=BB334_13 Depth=1
	s_or_b32 exec_lo, exec_lo, s51
.LBB334_177:                            ;   in Loop: Header=BB334_13 Depth=1
	s_or_b32 exec_lo, exec_lo, s50
.LBB334_178:                            ;   in Loop: Header=BB334_13 Depth=1
	s_or_b32 exec_lo, exec_lo, s49
	global_load_ushort v15, v[21:22], off offset:640
	v_mov_b32_e32 v58, 0
	v_mov_b32_e32 v57, 0
	s_waitcnt vmcnt(0)
	v_and_b32_e32 v59, 0xffff, v15
	v_cmp_ne_u16_sdwa s2, v15, v16 src0_sel:BYTE_0 src1_sel:DWORD
	s_and_saveexec_b32 s49, s2
	s_cbranch_execz .LBB334_186
; %bb.179:                              ;   in Loop: Header=BB334_13 Depth=1
	v_cmp_ne_u16_sdwa s2, v59, v31 src0_sel:BYTE_0 src1_sel:DWORD
	v_bfrev_b32_e32 v57, 1
	s_and_saveexec_b32 s50, s2
	s_cbranch_execz .LBB334_185
; %bb.180:                              ;   in Loop: Header=BB334_13 Depth=1
	v_and_b32_e32 v60, 0x7f, v59
	v_mov_b32_e32 v57, 0x7f800001
	s_mov_b32 s51, exec_lo
	v_cmpx_ne_u32_e32 0x7f, v60
	s_cbranch_execz .LBB334_184
; %bb.181:                              ;   in Loop: Header=BB334_13 Depth=1
	v_and_b32_e32 v15, 7, v59
	v_lshrrev_b32_e32 v57, 3, v60
	s_mov_b32 s52, exec_lo
	v_cmpx_gt_u32_e32 8, v60
; %bb.182:                              ;   in Loop: Header=BB334_13 Depth=1
	v_ffbh_u32_e32 v57, v15
	v_min_u32_e32 v57, 32, v57
	v_subrev_nc_u32_e32 v60, 28, v57
	v_sub_nc_u32_e32 v57, 29, v57
	v_lshlrev_b64 v[60:61], v60, v[15:16]
	v_and_b32_e32 v15, 7, v60
; %bb.183:                              ;   in Loop: Header=BB334_13 Depth=1
	s_or_b32 exec_lo, exec_lo, s52
	v_lshlrev_b32_e32 v60, 24, v59
	v_lshlrev_b32_e32 v15, 20, v15
	v_lshl_add_u32 v57, v57, 23, 0x3c000000
	v_and_b32_e32 v60, 0x80000000, v60
	v_or3_b32 v57, v15, v60, v57
.LBB334_184:                            ;   in Loop: Header=BB334_13 Depth=1
	s_or_b32 exec_lo, exec_lo, s51
.LBB334_185:                            ;   in Loop: Header=BB334_13 Depth=1
	s_or_b32 exec_lo, exec_lo, s50
.LBB334_186:                            ;   in Loop: Header=BB334_13 Depth=1
	s_or_b32 exec_lo, exec_lo, s49
	v_cmp_ne_u16_sdwa s2, v59, v16 src0_sel:BYTE_1 src1_sel:DWORD
	s_and_saveexec_b32 s49, s2
	s_cbranch_execz .LBB334_194
; %bb.187:                              ;   in Loop: Header=BB334_13 Depth=1
	v_cmp_ne_u16_sdwa s2, v59, v31 src0_sel:BYTE_1 src1_sel:DWORD
	v_bfrev_b32_e32 v58, 1
	s_and_saveexec_b32 s50, s2
	s_cbranch_execz .LBB334_193
; %bb.188:                              ;   in Loop: Header=BB334_13 Depth=1
	v_and_b32_sdwa v15, v32, v59 dst_sel:DWORD dst_unused:UNUSED_PAD src0_sel:DWORD src1_sel:BYTE_1
	v_mov_b32_e32 v58, 0x7f800001
	s_mov_b32 s51, exec_lo
	v_and_b32_e32 v60, 0x7f, v15
	v_cmpx_ne_u32_e32 0x7f, v60
	s_cbranch_execz .LBB334_192
; %bb.189:                              ;   in Loop: Header=BB334_13 Depth=1
	v_and_b32_e32 v15, 7, v15
	v_lshrrev_b32_e32 v58, 3, v60
	s_mov_b32 s52, exec_lo
	v_cmpx_gt_u32_e32 8, v60
; %bb.190:                              ;   in Loop: Header=BB334_13 Depth=1
	v_ffbh_u32_e32 v58, v15
	v_min_u32_e32 v58, 32, v58
	v_subrev_nc_u32_e32 v60, 28, v58
	v_sub_nc_u32_e32 v58, 29, v58
	v_lshlrev_b64 v[60:61], v60, v[15:16]
	v_and_b32_e32 v15, 7, v60
; %bb.191:                              ;   in Loop: Header=BB334_13 Depth=1
	s_or_b32 exec_lo, exec_lo, s52
	v_lshlrev_b32_e32 v59, 16, v59
	v_lshlrev_b32_e32 v15, 20, v15
	v_lshl_add_u32 v58, v58, 23, 0x3c000000
	v_and_b32_e32 v59, 0x80000000, v59
	v_or3_b32 v58, v15, v59, v58
.LBB334_192:                            ;   in Loop: Header=BB334_13 Depth=1
	s_or_b32 exec_lo, exec_lo, s51
.LBB334_193:                            ;   in Loop: Header=BB334_13 Depth=1
	s_or_b32 exec_lo, exec_lo, s50
.LBB334_194:                            ;   in Loop: Header=BB334_13 Depth=1
	s_or_b32 exec_lo, exec_lo, s49
	global_load_ushort v15, v[21:22], off offset:648
	v_mov_b32_e32 v21, 0
	v_mov_b32_e32 v59, 0
	s_waitcnt vmcnt(0)
	v_and_b32_e32 v22, 0xffff, v15
	v_cmp_ne_u16_sdwa s2, v15, v16 src0_sel:BYTE_0 src1_sel:DWORD
	s_and_saveexec_b32 s49, s2
	s_cbranch_execz .LBB334_202
; %bb.195:                              ;   in Loop: Header=BB334_13 Depth=1
	v_cmp_ne_u16_sdwa s2, v22, v31 src0_sel:BYTE_0 src1_sel:DWORD
	v_bfrev_b32_e32 v59, 1
	s_and_saveexec_b32 s50, s2
	s_cbranch_execz .LBB334_201
; %bb.196:                              ;   in Loop: Header=BB334_13 Depth=1
	v_and_b32_e32 v60, 0x7f, v22
	v_mov_b32_e32 v59, 0x7f800001
	s_mov_b32 s51, exec_lo
	v_cmpx_ne_u32_e32 0x7f, v60
	s_cbranch_execz .LBB334_200
; %bb.197:                              ;   in Loop: Header=BB334_13 Depth=1
	v_and_b32_e32 v15, 7, v22
	v_lshrrev_b32_e32 v59, 3, v60
	s_mov_b32 s52, exec_lo
	v_cmpx_gt_u32_e32 8, v60
; %bb.198:                              ;   in Loop: Header=BB334_13 Depth=1
	v_ffbh_u32_e32 v59, v15
	v_min_u32_e32 v59, 32, v59
	v_subrev_nc_u32_e32 v60, 28, v59
	v_sub_nc_u32_e32 v59, 29, v59
	v_lshlrev_b64 v[60:61], v60, v[15:16]
	v_and_b32_e32 v15, 7, v60
; %bb.199:                              ;   in Loop: Header=BB334_13 Depth=1
	s_or_b32 exec_lo, exec_lo, s52
	v_lshlrev_b32_e32 v60, 24, v22
	v_lshlrev_b32_e32 v15, 20, v15
	v_lshl_add_u32 v59, v59, 23, 0x3c000000
	v_and_b32_e32 v60, 0x80000000, v60
	v_or3_b32 v59, v15, v60, v59
.LBB334_200:                            ;   in Loop: Header=BB334_13 Depth=1
	s_or_b32 exec_lo, exec_lo, s51
.LBB334_201:                            ;   in Loop: Header=BB334_13 Depth=1
	s_or_b32 exec_lo, exec_lo, s50
.LBB334_202:                            ;   in Loop: Header=BB334_13 Depth=1
	s_or_b32 exec_lo, exec_lo, s49
	v_cmp_ne_u16_sdwa s2, v22, v16 src0_sel:BYTE_1 src1_sel:DWORD
	s_and_saveexec_b32 s49, s2
	s_cbranch_execz .LBB334_210
; %bb.203:                              ;   in Loop: Header=BB334_13 Depth=1
	v_cmp_ne_u16_sdwa s2, v22, v31 src0_sel:BYTE_1 src1_sel:DWORD
	v_bfrev_b32_e32 v21, 1
	s_and_saveexec_b32 s50, s2
	s_cbranch_execz .LBB334_209
; %bb.204:                              ;   in Loop: Header=BB334_13 Depth=1
	v_and_b32_sdwa v15, v32, v22 dst_sel:DWORD dst_unused:UNUSED_PAD src0_sel:DWORD src1_sel:BYTE_1
	v_mov_b32_e32 v21, 0x7f800001
	s_mov_b32 s51, exec_lo
	v_and_b32_e32 v60, 0x7f, v15
	v_cmpx_ne_u32_e32 0x7f, v60
	s_cbranch_execz .LBB334_208
; %bb.205:                              ;   in Loop: Header=BB334_13 Depth=1
	v_and_b32_e32 v15, 7, v15
	v_lshrrev_b32_e32 v21, 3, v60
	s_mov_b32 s52, exec_lo
	v_cmpx_gt_u32_e32 8, v60
; %bb.206:                              ;   in Loop: Header=BB334_13 Depth=1
	v_ffbh_u32_e32 v21, v15
	v_min_u32_e32 v21, 32, v21
	v_subrev_nc_u32_e32 v60, 28, v21
	v_sub_nc_u32_e32 v21, 29, v21
	v_lshlrev_b64 v[60:61], v60, v[15:16]
	v_and_b32_e32 v15, 7, v60
; %bb.207:                              ;   in Loop: Header=BB334_13 Depth=1
	s_or_b32 exec_lo, exec_lo, s52
	v_lshlrev_b32_e32 v22, 16, v22
	v_lshlrev_b32_e32 v15, 20, v15
	v_lshl_add_u32 v21, v21, 23, 0x3c000000
	v_and_b32_e32 v22, 0x80000000, v22
	v_or3_b32 v21, v15, v22, v21
.LBB334_208:                            ;   in Loop: Header=BB334_13 Depth=1
	s_or_b32 exec_lo, exec_lo, s51
.LBB334_209:                            ;   in Loop: Header=BB334_13 Depth=1
	s_or_b32 exec_lo, exec_lo, s50
.LBB334_210:                            ;   in Loop: Header=BB334_13 Depth=1
	s_or_b32 exec_lo, exec_lo, s49
	s_waitcnt lgkmcnt(0)
	v_mul_f32_e32 v15, s48, v59
	v_mul_f32_e32 v22, s48, v58
	;; [unrolled: 1-line block ×5, first 2 shown]
	v_bfe_u32 v58, v15, 16, 1
	v_bfe_u32 v59, v22, 16, 1
	v_or_b32_e32 v60, 0x400000, v15
	v_cmp_u_f32_e64 s2, v15, v15
	v_or_b32_e32 v61, 0x400000, v22
	v_add3_u32 v58, v58, v15, 0x7fff
	v_bfe_u32 v62, v57, 16, 1
	v_add3_u32 v59, v59, v22, 0x7fff
	v_bfe_u32 v63, v56, 16, 1
	v_mul_f32_e32 v50, s48, v50
	v_cndmask_b32_e64 v15, v58, v60, s2
	v_cmp_u_f32_e64 s2, v22, v22
	v_add3_u32 v58, v62, v57, 0x7fff
	v_add3_u32 v60, v63, v56, 0x7fff
	v_or_b32_e32 v62, 0x400000, v56
	v_mul_f32_e32 v49, s48, v49
	v_cndmask_b32_e64 v22, v59, v61, s2
	v_mul_f32_e32 v59, s48, v55
	v_or_b32_e32 v55, 0x400000, v57
	v_cmp_u_f32_e64 s2, v57, v57
	v_mul_f32_e32 v61, s48, v54
	v_mul_f32_e32 v48, s48, v48
	v_bfe_u32 v63, v59, 16, 1
	v_mul_f32_e32 v47, s48, v47
	v_cndmask_b32_e64 v54, v58, v55, s2
	v_cmp_u_f32_e64 s2, v56, v56
	v_bfe_u32 v57, v61, 16, 1
	v_add3_u32 v56, v63, v59, 0x7fff
	v_mul_f32_e32 v58, s48, v53
	v_or_b32_e32 v53, 0x400000, v59
	v_cndmask_b32_e64 v55, v60, v62, s2
	v_cmp_u_f32_e64 s2, v59, v59
	v_add3_u32 v57, v57, v61, 0x7fff
	v_mul_f32_e32 v60, s48, v52
	v_or_b32_e32 v62, 0x400000, v61
	v_bfe_u32 v63, v58, 16, 1
	v_cndmask_b32_e64 v52, v56, v53, s2
	v_cmp_u_f32_e64 s2, v61, v61
	v_bfe_u32 v56, v60, 16, 1
	v_or_b32_e32 v59, 0x400000, v58
	v_or_b32_e32 v61, 0x400000, v60
	v_mul_f32_e32 v46, s48, v46
	v_cndmask_b32_e64 v53, v57, v62, s2
	v_add3_u32 v57, v63, v58, 0x7fff
	v_cmp_u_f32_e64 s2, v58, v58
	v_add3_u32 v56, v56, v60, 0x7fff
	v_bfe_u32 v62, v51, 16, 1
	v_bfe_u32 v58, v50, 16, 1
	v_mul_f32_e32 v45, s48, v45
	v_cndmask_b32_e64 v57, v57, v59, s2
	v_cmp_u_f32_e64 s2, v60, v60
	v_add3_u32 v59, v62, v51, 0x7fff
	v_or_b32_e32 v60, 0x400000, v51
	v_add3_u32 v58, v58, v50, 0x7fff
	v_bfe_u32 v62, v49, 16, 1
	v_cndmask_b32_e64 v56, v56, v61, s2
	v_cmp_u_f32_e64 s2, v51, v51
	v_or_b32_e32 v61, 0x400000, v50
	v_mul_f32_e32 v44, s48, v44
	v_mul_f32_e32 v43, s48, v43
	;; [unrolled: 1-line block ×3, first 2 shown]
	v_cndmask_b32_e64 v51, v59, v60, s2
	v_cmp_u_f32_e64 s2, v50, v50
	v_bfe_u32 v59, v48, 16, 1
	v_or_b32_e32 v60, 0x400000, v49
	v_bfe_u32 v63, v42, 16, 1
	v_mul_f32_e32 v40, s48, v40
	v_cndmask_b32_e64 v50, v58, v61, s2
	v_add3_u32 v58, v62, v49, 0x7fff
	v_cmp_u_f32_e64 s2, v49, v49
	v_add3_u32 v59, v59, v48, 0x7fff
	v_or_b32_e32 v61, 0x400000, v48
	v_bfe_u32 v62, v47, 16, 1
	v_mul_f32_e32 v39, s48, v39
	v_cndmask_b32_e64 v49, v58, v60, s2
	v_cmp_u_f32_e64 s2, v48, v48
	v_bfe_u32 v58, v46, 16, 1
	v_or_b32_e32 v60, 0x400000, v47
	v_mul_f32_e32 v38, s48, v38
	v_or_b32_e32 v65, 0x400000, v40
	v_cndmask_b32_e64 v48, v59, v61, s2
	v_add3_u32 v59, v62, v47, 0x7fff
	v_cmp_u_f32_e64 s2, v47, v47
	v_add3_u32 v58, v58, v46, 0x7fff
	v_or_b32_e32 v61, 0x400000, v46
	v_bfe_u32 v62, v45, 16, 1
	v_bfe_u32 v66, v39, 16, 1
	v_cndmask_b32_e64 v47, v59, v60, s2
	v_bfe_u32 v59, v44, 16, 1
	v_cmp_u_f32_e64 s2, v46, v46
	v_or_b32_e32 v60, 0x400000, v44
	v_mul_f32_e32 v37, s48, v37
	v_bfe_u32 v67, v38, 16, 1
	v_add3_u32 v59, v59, v44, 0x7fff
	v_cndmask_b32_e64 v46, v58, v61, s2
	v_add3_u32 v58, v62, v45, 0x7fff
	v_bfe_u32 v62, v43, 16, 1
	v_cmp_u_f32_e64 s2, v44, v44
	v_mul_f32_e32 v41, s48, v41
	v_add3_u32 v67, v67, v38, 0x7fff
	v_or_b32_e32 v68, 0x400000, v38
	v_or_b32_e32 v69, 0x400000, v37
	v_cndmask_b32_e64 v44, v59, v60, s2
	v_add3_u32 v59, v62, v43, 0x7fff
	v_add3_u32 v60, v63, v42, 0x7fff
	v_or_b32_e32 v62, 0x400000, v42
	v_cmp_u_f32_e64 s2, v42, v42
	v_bfe_u32 v63, v41, 16, 1
	v_or_b32_e32 v64, 0x400000, v43
	v_or_b32_e32 v61, 0x400000, v45
	v_mul_f32_e32 v21, s48, v21
	v_cndmask_b32_e64 v42, v60, v62, s2
	v_bfe_u32 v60, v40, 16, 1
	v_cmp_u_f32_e64 s2, v40, v40
	v_add3_u32 v62, v63, v41, 0x7fff
	v_or_b32_e32 v63, 0x400000, v41
	v_add3_u32 v60, v60, v40, 0x7fff
	v_cndmask_b32_e64 v40, v60, v65, s2
	v_add3_u32 v65, v66, v39, 0x7fff
	v_or_b32_e32 v66, 0x400000, v39
	v_cmp_u_f32_e64 s2, v39, v39
	v_bfe_u32 v60, v37, 16, 1
	v_and_b32_e32 v40, 0xffff0000, v40
	v_cndmask_b32_e64 v39, v65, v66, s2
	v_cmp_u_f32_e64 s2, v38, v38
	v_add3_u32 v60, v60, v37, 0x7fff
	v_lshlrev_b32_e32 v65, 16, v10
	v_and_b32_e32 v10, 0xffff0000, v10
	v_and_b32_e32 v39, 0xffff0000, v39
	v_cndmask_b32_e64 v38, v67, v68, s2
	v_cmp_u_f32_e64 s2, v37, v37
	v_mul_f32_e32 v10, v10, v40
	v_mul_f32_e32 v39, v65, v39
	v_and_b32_e32 v38, 0xffff0000, v38
	v_cndmask_b32_e64 v37, v60, v69, s2
	v_cmp_u_f32_e64 s2, v41, v41
	v_lshlrev_b32_e32 v60, 16, v9
	v_and_b32_e32 v9, 0xffff0000, v9
	v_lshlrev_b32_e32 v41, 16, v11
	v_and_b32_e32 v37, 0xffff0000, v37
	v_cndmask_b32_e64 v40, v62, v63, s2
	v_cmp_u_f32_e64 s2, v43, v43
	v_and_b32_e32 v11, 0xffff0000, v11
	v_fmac_f32_e32 v10, v9, v38
	v_fmac_f32_e32 v39, v60, v37
	v_and_b32_e32 v9, 0xffff0000, v40
	v_and_b32_e32 v37, 0xffff0000, v42
	v_cndmask_b32_e64 v38, v59, v64, s2
	v_cmp_u_f32_e64 s2, v45, v45
	v_lshlrev_b32_e32 v40, 16, v12
	v_and_b32_e32 v12, 0xffff0000, v12
	v_fmac_f32_e32 v39, v41, v9
	v_fmac_f32_e32 v10, v11, v37
	v_and_b32_e32 v9, 0xffff0000, v38
	v_and_b32_e32 v11, 0xffff0000, v44
	v_cndmask_b32_e64 v37, v58, v61, s2
	v_lshlrev_b32_e32 v38, 16, v5
	v_and_b32_e32 v5, 0xffff0000, v5
	v_fmac_f32_e32 v39, v40, v9
	v_fmac_f32_e32 v10, v12, v11
	v_and_b32_e32 v9, 0xffff0000, v37
	v_and_b32_e32 v11, 0xffff0000, v46
	v_lshlrev_b32_e32 v12, 16, v6
	v_and_b32_e32 v6, 0xffff0000, v6
	v_lshlrev_b32_e32 v37, 16, v7
	v_fmac_f32_e32 v39, v38, v9
	v_fmac_f32_e32 v10, v5, v11
	v_and_b32_e32 v5, 0xffff0000, v47
	v_and_b32_e32 v9, 0xffff0000, v48
	;; [unrolled: 1-line block ×3, first 2 shown]
	v_lshlrev_b32_e32 v11, 16, v8
	v_and_b32_e32 v8, 0xffff0000, v8
	v_fmac_f32_e32 v39, v12, v5
	v_fmac_f32_e32 v10, v6, v9
	v_and_b32_e32 v5, 0xffff0000, v49
	v_and_b32_e32 v6, 0xffff0000, v50
	v_lshlrev_b32_e32 v38, 16, v1
	v_and_b32_e32 v1, 0xffff0000, v1
	v_lshlrev_b32_e32 v9, 16, v2
	v_fmac_f32_e32 v39, v37, v5
	v_fmac_f32_e32 v10, v7, v6
	v_and_b32_e32 v5, 0xffff0000, v51
	v_and_b32_e32 v6, 0xffff0000, v56
	;; [unrolled: 1-line block ×3, first 2 shown]
	v_cmp_u_f32_e64 s2, v21, v21
	v_lshlrev_b32_e32 v12, 16, v3
	v_fmac_f32_e32 v39, v11, v5
	v_fmac_f32_e32 v10, v8, v6
	v_and_b32_e32 v5, 0xffff0000, v57
	v_and_b32_e32 v6, 0xffff0000, v53
	v_bfe_u32 v11, v21, 16, 1
	v_xor_b32_e32 v8, 2, v25
	v_and_b32_e32 v3, 0xffff0000, v3
	v_fmac_f32_e32 v39, v38, v5
	v_fmac_f32_e32 v10, v1, v6
	v_and_b32_e32 v1, 0xffff0000, v52
	v_and_b32_e32 v5, 0xffff0000, v55
	v_add3_u32 v6, v11, v21, 0x7fff
	v_or_b32_e32 v11, 0x400000, v21
	v_lshlrev_b32_e32 v7, 16, v4
	v_fmac_f32_e32 v39, v9, v1
	v_fmac_f32_e32 v10, v2, v5
	v_and_b32_e32 v1, 0xffff0000, v54
	v_and_b32_e32 v2, 0xffff0000, v22
	v_cndmask_b32_e64 v5, v6, v11, s2
	v_and_b32_e32 v4, 0xffff0000, v4
	v_cmp_gt_i32_e64 s2, 32, v8
	v_fmac_f32_e32 v39, v12, v1
	v_fmac_f32_e32 v10, v3, v2
	v_and_b32_e32 v1, 0xffff0000, v15
	v_and_b32_e32 v2, 0xffff0000, v5
	v_cndmask_b32_e64 v3, v25, v8, s2
	v_fmac_f32_e32 v39, v7, v1
	v_fmac_f32_e32 v10, v4, v2
	v_lshlrev_b32_e32 v1, 2, v3
	v_xor_b32_e32 v3, 1, v25
	v_add_f32_e32 v2, v39, v10
	v_cmp_gt_i32_e64 s2, 32, v3
	ds_bpermute_b32 v1, v1, v2
	v_cndmask_b32_e64 v3, v25, v3, s2
	v_lshlrev_b32_e32 v3, 2, v3
	s_waitcnt lgkmcnt(0)
	v_add_f32_e32 v1, v2, v1
	ds_bpermute_b32 v2, v3, v1
	s_and_saveexec_b32 s48, vcc_lo
	s_cbranch_execz .LBB334_11
; %bb.211:                              ;   in Loop: Header=BB334_13 Depth=1
	v_add_nc_u32_e32 v3, v33, v29
	s_waitcnt lgkmcnt(0)
	v_add_f32_e32 v1, v1, v2
	v_cvt_f32_i32_e32 v3, v3
	v_mul_f32_e32 v3, s43, v3
	v_cndmask_b32_e64 v2, 0, v3, s1
	v_max_f32_e32 v3, v26, v26
	v_fmac_f32_e32 v2, s41, v1
	v_add_nc_u32_e32 v1, v27, v29
	v_max_f32_e32 v3, v3, v2
	v_cmp_gt_i32_e64 s2, s31, v1
	v_cndmask_b32_e64 v1, 0, v2, s2
	v_cndmask_b32_e64 v26, v26, v3, s2
	ds_write_b32 v34, v1
	s_branch .LBB334_11
.LBB334_212:
	s_or_b32 exec_lo, exec_lo, s46
.LBB334_213:
	s_or_b32 exec_lo, exec_lo, s45
	v_xor_b32_e32 v1, 16, v25
	v_xor_b32_e32 v3, 8, v25
	v_max_f32_e32 v5, v26, v26
	v_and_b32_e32 v22, 31, v0
	v_cmp_gt_i32_e32 vcc_lo, 32, v1
	v_cndmask_b32_e32 v1, v25, v1, vcc_lo
	v_cmp_gt_i32_e32 vcc_lo, 32, v3
	s_waitcnt lgkmcnt(0)
	v_lshlrev_b32_e32 v2, 2, v1
	v_cndmask_b32_e32 v3, v25, v3, vcc_lo
	ds_bpermute_b32 v1, v2, v26
	v_lshlrev_b32_e32 v4, 2, v3
	s_waitcnt lgkmcnt(0)
	v_max_f32_e32 v1, v1, v1
	v_max_f32_e32 v1, v5, v1
	v_xor_b32_e32 v5, 4, v25
	ds_bpermute_b32 v3, v4, v1
	v_cmp_gt_i32_e32 vcc_lo, 32, v5
	v_cndmask_b32_e32 v5, v25, v5, vcc_lo
	v_cmp_eq_u32_e32 vcc_lo, 0, v22
	v_lshlrev_b32_e32 v7, 2, v5
	v_lshlrev_b32_e32 v5, 2, v23
	s_waitcnt lgkmcnt(0)
	v_max_f32_e32 v3, v3, v3
	v_max_f32_e32 v1, v1, v3
	ds_bpermute_b32 v3, v7, v1
	s_and_saveexec_b32 s1, vcc_lo
	s_cbranch_execz .LBB334_215
; %bb.214:
	s_waitcnt lgkmcnt(0)
	v_max_f32_e32 v3, v3, v3
	v_max_f32_e32 v1, v1, v1
	;; [unrolled: 1-line block ×3, first 2 shown]
	ds_write_b32 v5, v1 offset:192
.LBB334_215:
	s_or_b32 exec_lo, exec_lo, s1
	v_cmp_gt_u32_e64 s1, 4, v22
	v_mov_b32_e32 v1, 0xff7fffff
	v_lshlrev_b32_e32 v6, 2, v22
	s_waitcnt lgkmcnt(0)
	s_barrier
	buffer_gl0_inv
	s_and_saveexec_b32 s2, s1
; %bb.216:
	ds_read_b32 v1, v6 offset:192
; %bb.217:
	s_or_b32 exec_lo, exec_lo, s2
	v_xor_b32_e32 v3, 2, v25
	v_xor_b32_e32 v9, 1, v25
	v_mov_b32_e32 v10, 0
	v_cmp_gt_i32_e64 s2, 32, v3
	v_cndmask_b32_e64 v3, v25, v3, s2
	v_cmp_gt_i32_e64 s2, 32, v9
	v_lshlrev_b32_e32 v8, 2, v3
	v_cndmask_b32_e64 v9, v25, v9, s2
	s_sub_i32 s2, s20, s44
	s_lshl_b32 s2, s2, 3
	s_waitcnt lgkmcnt(0)
	ds_bpermute_b32 v3, v8, v1
	v_max_f32_e32 v1, v1, v1
	v_lshlrev_b32_e32 v9, 2, v9
	s_add_i32 s2, s2, s33
	s_min_i32 s2, s2, s31
	s_sub_i32 s4, s2, s33
	v_cmp_gt_i32_e64 s2, s4, v0
	s_waitcnt lgkmcnt(0)
	v_max_f32_e32 v3, v3, v3
	v_max_f32_e32 v1, v1, v3
	ds_bpermute_b32 v3, v9, v1
	s_waitcnt lgkmcnt(0)
	v_max_f32_e32 v3, v3, v3
	v_max_f32_e32 v1, v1, v3
	v_lshl_add_u32 v3, v0, 2, 0xe0
	ds_bpermute_b32 v1, v10, v1
	s_and_saveexec_b32 s5, s2
	s_cbranch_execz .LBB334_221
; %bb.218:
	v_lshl_add_u32 v11, v0, 2, 0xe0
	v_mov_b32_e32 v10, 0
	v_mov_b32_e32 v12, v0
	s_mov_b32 s12, 0
	.p2align	6
.LBB334_219:                            ; =>This Inner Loop Header: Depth=1
	ds_read_b32 v15, v11
	v_add_nc_u32_e32 v12, 0x80, v12
	v_cmp_le_i32_e64 s3, s4, v12
	s_or_b32 s12, s3, s12
	s_waitcnt lgkmcnt(0)
	v_sub_f32_e32 v15, v15, v1
	v_mul_f32_e32 v15, 0x3fb8aa3b, v15
	v_exp_f32_e32 v15, v15
	ds_write_b32 v11, v15
	v_add_f32_e32 v10, v10, v15
	v_add_nc_u32_e32 v11, 0x200, v11
	s_andn2_b32 exec_lo, exec_lo, s12
	s_cbranch_execnz .LBB334_219
; %bb.220:
	s_or_b32 exec_lo, exec_lo, s12
.LBB334_221:
	s_or_b32 exec_lo, exec_lo, s5
	ds_bpermute_b32 v2, v2, v10
	s_waitcnt lgkmcnt(0)
	v_add_f32_e32 v2, v10, v2
	ds_bpermute_b32 v4, v4, v2
	s_waitcnt lgkmcnt(0)
	v_add_f32_e32 v2, v2, v4
	;; [unrolled: 3-line block ×5, first 2 shown]
	s_and_saveexec_b32 s3, vcc_lo
; %bb.222:
	ds_write_b32 v5, v2 offset:208
; %bb.223:
	s_or_b32 exec_lo, exec_lo, s3
	s_waitcnt lgkmcnt(0)
	s_barrier
	buffer_gl0_inv
	s_and_saveexec_b32 s3, s1
; %bb.224:
	ds_read_b32 v2, v6 offset:208
; %bb.225:
	s_or_b32 exec_lo, exec_lo, s3
	s_waitcnt lgkmcnt(0)
	ds_bpermute_b32 v4, v8, v2
	s_waitcnt lgkmcnt(0)
	v_add_f32_e32 v2, v2, v4
	ds_bpermute_b32 v4, v9, v2
	s_waitcnt lgkmcnt(0)
	v_add_f32_e32 v2, v2, v4
	v_mov_b32_e32 v4, 0
	ds_bpermute_b32 v2, v4, v2
	s_and_saveexec_b32 s1, s2
	s_cbranch_execz .LBB334_228
; %bb.226:
	s_waitcnt lgkmcnt(0)
	v_add_f32_e32 v4, 0x358637bd, v2
	s_mov_b32 s2, 0
	v_div_scale_f32 v5, null, v4, v4, 1.0
	v_div_scale_f32 v8, vcc_lo, 1.0, v4, 1.0
	v_rcp_f32_e32 v6, v5
	v_fma_f32 v7, -v5, v6, 1.0
	v_fmac_f32_e32 v6, v7, v6
	v_mul_f32_e32 v7, v8, v6
	v_fma_f32 v9, -v5, v7, v8
	v_fmac_f32_e32 v7, v9, v6
	v_fma_f32 v5, -v5, v7, v8
	v_div_fmas_f32 v5, v5, v6, v7
	v_div_fixup_f32 v4, v5, v4, 1.0
	v_mov_b32_e32 v5, v0
.LBB334_227:                            ; =>This Inner Loop Header: Depth=1
	ds_read_b32 v6, v3
	v_add_nc_u32_e32 v5, 0x80, v5
	v_cmp_le_i32_e32 vcc_lo, s4, v5
	s_or_b32 s2, vcc_lo, s2
	s_waitcnt lgkmcnt(0)
	v_mul_f32_e32 v6, v4, v6
	ds_write_b32 v3, v6
	v_add_nc_u32_e32 v3, 0x200, v3
	s_andn2_b32 exec_lo, exec_lo, s2
	s_cbranch_execnz .LBB334_227
.LBB334_228:
	s_or_b32 exec_lo, exec_lo, s1
	s_mul_i32 s1, s7, s30
	s_waitcnt lgkmcnt(0)
	s_mul_i32 s2, s1, s9
	s_mov_b32 s1, exec_lo
	s_barrier
	buffer_gl0_inv
	v_cmpx_eq_u32_e32 0, v0
	s_cbranch_execz .LBB334_230
; %bb.229:
	s_ashr_i32 s3, s2, 31
	s_mul_i32 s12, s7, s6
	s_lshl_b64 s[4:5], s[2:3], 2
	v_mov_b32_e32 v3, 0
	s_add_u32 s3, s26, s4
	s_addc_u32 s6, s27, s5
	s_ashr_i32 s13, s12, 31
	s_lshl_b64 s[12:13], s[12:13], 2
	s_add_u32 s3, s3, s12
	s_addc_u32 s6, s6, s13
	s_ashr_i32 s9, s8, 31
	s_lshl_b64 s[26:27], s[8:9], 2
	s_add_u32 s44, s3, s26
	s_addc_u32 s45, s6, s27
	s_add_u32 s3, s24, s4
	s_addc_u32 s4, s25, s5
	;; [unrolled: 2-line block ×4, first 2 shown]
	global_store_dword v3, v1, s[44:45]
	global_store_dword v3, v2, s[4:5]
.LBB334_230:
	s_or_b32 exec_lo, exec_lo, s1
	v_mov_b32_e32 v27, 0
	v_mov_b32_e32 v26, 0
	;; [unrolled: 1-line block ×3, first 2 shown]
	s_and_saveexec_b32 s1, s0
	s_cbranch_execz .LBB334_422
; %bb.231:
	s_sub_i32 s3, s42, s21
	s_ashr_i32 s0, s18, 31
	s_add_u32 s12, s38, s18
	s_addc_u32 s0, s39, s0
	s_abs_i32 s6, s22
	v_lshlrev_b32_e32 v4, 3, v22
	v_cvt_f32_u32_e32 v1, s6
	s_sub_i32 s4, 0, s6
	s_add_i32 s40, s40, -1
	v_mov_b32_e32 v10, 0
	v_add_co_u32 v11, s12, s12, v4
	v_rcp_iflag_f32_e32 v1, v1
	v_add_co_ci_u32_e64 v12, null, s0, 0, s12
	v_lshl_add_u32 v28, v23, 5, 0xe0
	v_mov_b32_e32 v29, 0x80
	v_mov_b32_e32 v30, 0xffff
	;; [unrolled: 1-line block ×6, first 2 shown]
	v_mul_f32_e32 v3, 0x4f7ffffe, v1
	v_lshlrev_b64 v[1:2], 2, v[13:14]
	v_mov_b32_e32 v26, 0
	v_mov_b32_e32 v27, 0
	s_mov_b32 s9, s17
	v_cvt_u32_f32_e32 v3, v3
	s_mov_b32 s12, 0
	v_mul_lo_u32 v5, s4, v3
	s_lshl_b64 s[4:5], s[36:37], 2
	s_add_u32 s0, s34, s4
	s_addc_u32 s4, s35, s5
	v_add_co_u32 v14, vcc_lo, s0, v1
	v_add_co_ci_u32_e64 v15, null, s4, v2, vcc_lo
	v_mul_hi_u32 v5, v3, v5
	s_mov_b32 s4, -1
	s_mov_b32 s5, 0xffffff
	v_add_nc_u32_e32 v34, v3, v5
	s_branch .LBB334_234
.LBB334_232:                            ;   in Loop: Header=BB334_234 Depth=1
	s_or_b32 exec_lo, exec_lo, s0
	v_bfe_u32 v43, v5, 16, 1
	v_bfe_u32 v44, v6, 16, 1
	v_or_b32_e32 v45, 0x400000, v5
	v_cmp_u_f32_e32 vcc_lo, v5, v5
	v_or_b32_e32 v46, 0x400000, v6
	v_add3_u32 v43, v43, v5, 0x7fff
	v_bfe_u32 v47, v7, 16, 1
	v_add3_u32 v44, v44, v6, 0x7fff
	v_bfe_u32 v48, v8, 16, 1
	v_lshlrev_b32_e32 v49, 16, v52
	v_cndmask_b32_e32 v5, v43, v45, vcc_lo
	v_cmp_u_f32_e32 vcc_lo, v6, v6
	v_add3_u32 v43, v47, v7, 0x7fff
	v_bfe_u32 v45, v1, 16, 1
	v_or_b32_e32 v47, 0x400000, v8
	v_and_b32_e32 v5, 0xffff0000, v5
	v_cndmask_b32_e32 v6, v44, v46, vcc_lo
	v_or_b32_e32 v44, 0x400000, v7
	v_cmp_u_f32_e32 vcc_lo, v7, v7
	v_add3_u32 v46, v48, v8, 0x7fff
	v_lshlrev_b32_e32 v21, 16, v21
	v_and_b32_e32 v6, 0xffff0000, v6
	v_lshlrev_b32_e32 v20, 16, v20
	v_cndmask_b32_e32 v7, v43, v44, vcc_lo
	v_cmp_u_f32_e32 vcc_lo, v8, v8
	v_add3_u32 v43, v45, v1, 0x7fff
	v_or_b32_e32 v44, 0x400000, v1
	v_bfe_u32 v45, v2, 16, 1
	v_and_b32_e32 v7, 0xffff0000, v7
	v_cndmask_b32_e32 v8, v46, v47, vcc_lo
	v_cmp_u_f32_e32 vcc_lo, v1, v1
	v_or_b32_e32 v46, 0x400000, v2
	v_add3_u32 v45, v45, v2, 0x7fff
	v_or_b32_e32 v47, 0x400000, v3
	v_and_b32_e32 v8, 0xffff0000, v8
	v_cndmask_b32_e32 v1, v43, v44, vcc_lo
	v_bfe_u32 v43, v3, 16, 1
	v_lshlrev_b32_e32 v44, 16, v55
	v_cmp_u_f32_e32 vcc_lo, v2, v2
	v_lshlrev_b32_e32 v51, 16, v51
	v_and_b32_e32 v1, 0xffff0000, v1
	v_add3_u32 v43, v43, v3, 0x7fff
	v_mul_f32_e32 v44, v6, v44
	v_cndmask_b32_e32 v2, v45, v46, vcc_lo
	v_bfe_u32 v45, v4, 16, 1
	v_cmp_u_f32_e32 vcc_lo, v3, v3
	v_lshlrev_b32_e32 v46, 16, v54
	v_or_b32_e32 v48, 0x400000, v44
	v_and_b32_e32 v2, 0xffff0000, v2
	v_add3_u32 v45, v45, v4, 0x7fff
	v_cndmask_b32_e32 v3, v43, v47, vcc_lo
	v_bfe_u32 v43, v44, 16, 1
	v_or_b32_e32 v47, 0x400000, v4
	v_mul_f32_e32 v46, v5, v46
	v_cmp_u_f32_e32 vcc_lo, v4, v4
	v_mul_f32_e32 v21, v2, v21
	v_add3_u32 v43, v43, v44, 0x7fff
	v_mul_f32_e32 v20, v1, v20
	v_and_b32_e32 v3, 0xffff0000, v3
	v_cndmask_b32_e32 v4, v45, v47, vcc_lo
	v_cmp_u_f32_e32 vcc_lo, v44, v44
	v_bfe_u32 v44, v46, 16, 1
	v_mul_f32_e32 v45, v8, v49
	v_lshlrev_b32_e32 v47, 16, v53
	v_bfe_u32 v52, v21, 16, 1
	v_cndmask_b32_e32 v43, v43, v48, vcc_lo
	v_add3_u32 v44, v44, v46, 0x7fff
	v_or_b32_e32 v48, 0x400000, v46
	v_bfe_u32 v49, v45, 16, 1
	v_mul_f32_e32 v47, v7, v47
	v_cmp_u_f32_e32 vcc_lo, v46, v46
	v_and_b32_e32 v4, 0xffff0000, v4
	v_bfe_u32 v53, v20, 16, 1
	v_add3_u32 v46, v49, v45, 0x7fff
	v_bfe_u32 v49, v47, 16, 1
	v_cndmask_b32_e32 v44, v44, v48, vcc_lo
	v_or_b32_e32 v48, 0x400000, v45
	v_cmp_u_f32_e32 vcc_lo, v45, v45
	v_lshlrev_b32_e32 v50, 16, v50
	v_and_b32_e32 v43, 0xffff0000, v43
	v_and_b32_e32 v44, 0xffff0000, v44
	v_lshlrev_b32_e32 v42, 16, v42
	v_cndmask_b32_e32 v45, v46, v48, vcc_lo
	v_add3_u32 v46, v49, v47, 0x7fff
	v_or_b32_e32 v48, 0x400000, v47
	v_cmp_u_f32_e32 vcc_lo, v47, v47
	v_add3_u32 v49, v52, v21, 0x7fff
	v_or_b32_e32 v52, 0x400000, v21
	v_mul_f32_e32 v47, v4, v51
	v_mul_f32_e32 v50, v3, v50
	v_cndmask_b32_e32 v46, v46, v48, vcc_lo
	v_cmp_u_f32_e32 vcc_lo, v21, v21
	v_add3_u32 v48, v53, v20, 0x7fff
	v_bfe_u32 v51, v47, 16, 1
	v_and_b32_e32 v45, 0xffff0000, v45
	v_and_b32_e32 v46, 0xffff0000, v46
	v_cndmask_b32_e32 v21, v49, v52, vcc_lo
	v_or_b32_e32 v49, 0x400000, v20
	v_cmp_u_f32_e32 vcc_lo, v20, v20
	v_add_f32_e32 v43, v44, v43
	v_add_f32_e32 v44, v46, v45
	v_and_b32_e32 v21, 0xffff0000, v21
	v_mul_f32_e32 v42, v6, v42
	v_cndmask_b32_e32 v20, v48, v49, vcc_lo
	v_add3_u32 v48, v51, v47, 0x7fff
	v_or_b32_e32 v49, 0x400000, v47
	v_cmp_u_f32_e32 vcc_lo, v47, v47
	v_lshlrev_b32_e32 v41, 16, v41
	v_and_b32_e32 v20, 0xffff0000, v20
	v_or_b32_e32 v46, 0x400000, v50
	v_add_f32_e32 v43, v44, v43
	v_cndmask_b32_e32 v47, v48, v49, vcc_lo
	v_bfe_u32 v48, v50, 16, 1
	v_add_f32_e32 v20, v20, v21
	v_cmp_u_f32_e32 vcc_lo, v50, v50
	v_bfe_u32 v44, v42, 16, 1
	v_lshlrev_b32_e32 v38, 16, v38
	v_add3_u32 v45, v48, v50, 0x7fff
	v_mul_f32_e32 v41, v5, v41
	v_add_f32_e32 v20, v20, v43
	v_add3_u32 v43, v44, v42, 0x7fff
	v_or_b32_e32 v44, 0x400000, v42
	v_cndmask_b32_e32 v21, v45, v46, vcc_lo
	v_mul_f32_e32 v38, v8, v38
	v_bfe_u32 v46, v41, 16, 1
	v_cmp_u_f32_e32 vcc_lo, v42, v42
	v_lshlrev_b32_e32 v40, 16, v40
	v_lshlrev_b32_e32 v36, 16, v36
	v_and_b32_e32 v45, 0xffff0000, v47
	v_or_b32_e32 v47, 0x400000, v38
	v_cndmask_b32_e32 v42, v43, v44, vcc_lo
	v_bfe_u32 v43, v38, 16, 1
	v_add3_u32 v44, v46, v41, 0x7fff
	v_or_b32_e32 v46, 0x400000, v41
	v_mul_f32_e32 v40, v7, v40
	v_cmp_u_f32_e32 vcc_lo, v41, v41
	v_add3_u32 v43, v43, v38, 0x7fff
	v_mul_f32_e32 v36, v2, v36
	v_lshlrev_b32_e32 v35, 16, v35
	v_lshlrev_b32_e32 v39, 16, v39
	v_cndmask_b32_e32 v41, v44, v46, vcc_lo
	v_bfe_u32 v44, v40, 16, 1
	v_cmp_u_f32_e32 vcc_lo, v38, v38
	v_or_b32_e32 v46, 0x400000, v40
	v_mul_f32_e32 v35, v1, v35
	v_mul_f32_e32 v39, v4, v39
	v_add3_u32 v44, v44, v40, 0x7fff
	v_cndmask_b32_e32 v38, v43, v47, vcc_lo
	v_bfe_u32 v43, v36, 16, 1
	v_cmp_u_f32_e32 vcc_lo, v40, v40
	v_or_b32_e32 v47, 0x400000, v36
	v_lshlrev_b32_e32 v37, 16, v37
	v_and_b32_e32 v41, 0xffff0000, v41
	v_add3_u32 v43, v43, v36, 0x7fff
	v_cndmask_b32_e32 v40, v44, v46, vcc_lo
	v_bfe_u32 v44, v35, 16, 1
	v_cmp_u_f32_e32 vcc_lo, v36, v36
	v_bfe_u32 v46, v39, 16, 1
	v_mul_f32_e32 v37, v3, v37
	v_and_b32_e32 v42, 0xffff0000, v42
	v_and_b32_e32 v40, 0xffff0000, v40
	v_cndmask_b32_e32 v36, v43, v47, vcc_lo
	v_add3_u32 v43, v44, v35, 0x7fff
	v_or_b32_e32 v44, 0x400000, v35
	v_cmp_u_f32_e32 vcc_lo, v35, v35
	v_add3_u32 v46, v46, v39, 0x7fff
	v_or_b32_e32 v47, 0x400000, v39
	v_and_b32_e32 v38, 0xffff0000, v38
	v_add_f32_e32 v41, v41, v42
	v_cndmask_b32_e32 v35, v43, v44, vcc_lo
	v_cmp_u_f32_e32 vcc_lo, v39, v39
	v_bfe_u32 v43, v37, 16, 1
	v_or_b32_e32 v44, 0x400000, v37
	v_add_f32_e32 v38, v40, v38
	v_lshlrev_b32_e32 v40, 16, v57
	v_cndmask_b32_e32 v39, v46, v47, vcc_lo
	v_lshlrev_b32_e32 v46, 16, v58
	v_add3_u32 v43, v43, v37, 0x7fff
	v_cmp_u_f32_e32 vcc_lo, v37, v37
	v_and_b32_e32 v35, 0xffff0000, v35
	v_and_b32_e32 v36, 0xffff0000, v36
	v_mul_f32_e32 v6, v6, v46
	v_add_f32_e32 v38, v38, v41
	v_cndmask_b32_e32 v37, v43, v44, vcc_lo
	v_mul_f32_e32 v5, v5, v40
	v_lshlrev_b32_e32 v18, 16, v18
	v_bfe_u32 v41, v6, 16, 1
	v_add_f32_e32 v35, v35, v36
	v_and_b32_e32 v36, 0xffff0000, v37
	v_or_b32_e32 v40, 0x400000, v6
	v_mul_f32_e32 v8, v8, v18
	v_add3_u32 v37, v41, v6, 0x7fff
	v_bfe_u32 v41, v5, 16, 1
	v_lshlrev_b32_e32 v18, 16, v56
	v_cmp_u_f32_e32 vcc_lo, v6, v6
	v_lshlrev_b32_e32 v16, 16, v16
	v_lshlrev_b32_e32 v9, 16, v9
	;; [unrolled: 1-line block ×3, first 2 shown]
	v_mul_f32_e32 v7, v7, v18
	v_cndmask_b32_e32 v6, v37, v40, vcc_lo
	v_add3_u32 v37, v41, v5, 0x7fff
	v_or_b32_e32 v40, 0x400000, v5
	v_bfe_u32 v41, v8, 16, 1
	v_cmp_u_f32_e32 vcc_lo, v5, v5
	v_mul_f32_e32 v2, v2, v16
	v_mul_f32_e32 v1, v1, v9
	v_lshlrev_b32_e32 v9, 16, v19
	v_add3_u32 v18, v41, v8, 0x7fff
	v_cndmask_b32_e32 v5, v37, v40, vcc_lo
	v_or_b32_e32 v37, 0x400000, v8
	v_bfe_u32 v40, v7, 16, 1
	v_cmp_u_f32_e32 vcc_lo, v8, v8
	v_mul_f32_e32 v4, v4, v9
	v_mul_f32_e32 v3, v3, v17
	v_or_b32_e32 v9, 0x400000, v2
	v_add3_u32 v16, v40, v7, 0x7fff
	v_cndmask_b32_e32 v8, v18, v37, vcc_lo
	v_or_b32_e32 v18, 0x400000, v7
	v_bfe_u32 v37, v2, 16, 1
	v_cmp_u_f32_e32 vcc_lo, v7, v7
	v_or_b32_e32 v17, 0x400000, v1
	v_bfe_u32 v19, v4, 16, 1
	v_and_b32_e32 v5, 0xffff0000, v5
	v_and_b32_e32 v6, 0xffff0000, v6
	v_cndmask_b32_e32 v7, v16, v18, vcc_lo
	v_bfe_u32 v16, v1, 16, 1
	v_add3_u32 v18, v37, v2, 0x7fff
	v_cmp_u_f32_e32 vcc_lo, v2, v2
	v_bfe_u32 v37, v3, 16, 1
	v_and_b32_e32 v7, 0xffff0000, v7
	v_add3_u32 v16, v16, v1, 0x7fff
	v_and_b32_e32 v8, 0xffff0000, v8
	v_cndmask_b32_e32 v2, v18, v9, vcc_lo
	v_cmp_u_f32_e32 vcc_lo, v1, v1
	v_add3_u32 v9, v19, v4, 0x7fff
	v_or_b32_e32 v18, 0x400000, v4
	v_add_f32_e32 v5, v5, v6
	v_add_f32_e32 v6, v7, v8
	v_cndmask_b32_e32 v1, v16, v17, vcc_lo
	v_add3_u32 v16, v37, v3, 0x7fff
	v_or_b32_e32 v17, 0x400000, v3
	v_cmp_u_f32_e32 vcc_lo, v3, v3
	v_and_b32_e32 v2, 0xffff0000, v2
	v_and_b32_e32 v1, 0xffff0000, v1
	;; [unrolled: 1-line block ×4, first 2 shown]
	v_cndmask_b32_e32 v3, v16, v17, vcc_lo
	v_cmp_u_f32_e32 vcc_lo, v4, v4
	v_add_f32_e32 v5, v6, v5
	v_add_f32_e32 v1, v1, v2
	v_add_f32_e32 v6, v35, v38
	v_and_b32_e32 v2, 0xffff0000, v3
	v_cndmask_b32_e32 v4, v9, v18, vcc_lo
	v_add_f32_e32 v7, v36, v7
	v_add_f32_e32 v1, v1, v5
	v_and_b32_e32 v3, 0xffff0000, v4
	v_add_f32_e32 v4, v21, v45
	v_add_f32_e32 v2, v2, v3
	;; [unrolled: 1-line block ×8, first 2 shown]
.LBB334_233:                            ;   in Loop: Header=BB334_234 Depth=1
	s_or_b32 exec_lo, exec_lo, s13
	v_add_nc_u32_e32 v13, 4, v13
	v_add_co_u32 v14, s0, v14, 16
	v_add_co_ci_u32_e64 v15, null, 0, v15, s0
	v_cmp_le_i32_e32 vcc_lo, s20, v13
	v_add_nc_u32_e32 v24, 32, v24
	v_add_nc_u32_e32 v28, 0x80, v28
	s_or_b32 s12, vcc_lo, s12
	s_andn2_b32 exec_lo, exec_lo, s12
	s_cbranch_execz .LBB334_421
.LBB334_234:                            ; =>This Inner Loop Header: Depth=1
	v_sub_nc_u32_e32 v1, 0, v24
	v_max_i32_e32 v1, v24, v1
	v_mul_hi_u32 v2, v1, s16
	v_mul_lo_u32 v3, v2, s11
	v_sub_nc_u32_e32 v1, v1, v3
	v_add_nc_u32_e32 v3, 1, v2
	v_subrev_nc_u32_e32 v4, s11, v1
	v_cmp_le_u32_e32 vcc_lo, s11, v1
	v_cndmask_b32_e32 v2, v2, v3, vcc_lo
	v_cndmask_b32_e32 v1, v1, v4, vcc_lo
	v_ashrrev_i32_e32 v3, 31, v24
	v_add_nc_u32_e32 v4, 1, v2
	v_cmp_le_u32_e32 vcc_lo, s11, v1
	v_xor_b32_e32 v3, s23, v3
	v_cndmask_b32_e32 v1, v2, v4, vcc_lo
	v_xor_b32_e32 v1, v1, v3
	v_sub_nc_u32_e32 v1, v1, v3
	v_add_nc_u32_e32 v2, s19, v1
	v_cmp_lt_i32_e64 s0, s3, v1
	v_sub_nc_u32_e32 v3, 0, v2
	v_max_i32_e32 v3, v2, v3
	v_ashrrev_i32_e32 v2, 31, v2
	v_mul_hi_u32 v4, v3, v34
	v_mul_lo_u32 v4, v4, s6
	v_sub_nc_u32_e32 v3, v3, v4
	v_subrev_nc_u32_e32 v4, s6, v3
	v_cmp_le_u32_e32 vcc_lo, s6, v3
	v_cndmask_b32_e32 v3, v3, v4, vcc_lo
	v_subrev_nc_u32_e32 v4, s6, v3
	v_cmp_le_u32_e32 vcc_lo, s6, v3
	v_cndmask_b32_e32 v3, v3, v4, vcc_lo
	v_xor_b32_e32 v3, v3, v2
	v_sub_nc_u32_e32 v2, v3, v2
	v_cmp_eq_u32_e32 vcc_lo, 0, v2
	s_or_b32 s0, vcc_lo, s0
	s_and_saveexec_b32 s13, s0
	s_cbranch_execz .LBB334_233
; %bb.235:                              ;   in Loop: Header=BB334_234 Depth=1
	global_load_dword v1, v[14:15], off
	v_mov_b32_e32 v35, 0
	v_mov_b32_e32 v37, 0
	s_waitcnt vmcnt(0)
	v_mad_i64_i32 v[16:17], null, v1, s9, v[11:12]
	global_load_dwordx2 v[18:19], v[16:17], off
	ds_read2_b64 v[5:8], v28 offset1:1
	ds_read2_b64 v[1:4], v28 offset0:2 offset1:3
	s_load_dword s17, s[14:15], 0x0
	s_waitcnt vmcnt(0)
	v_cmp_ne_u16_sdwa s18, v18, v10 src0_sel:BYTE_0 src1_sel:DWORD
	s_and_saveexec_b32 s0, s18
	s_cbranch_execz .LBB334_241
; %bb.236:                              ;   in Loop: Header=BB334_234 Depth=1
	v_cmp_ne_u16_sdwa s21, v18, v29 src0_sel:BYTE_0 src1_sel:DWORD
	v_bfrev_b32_e32 v37, 1
	s_and_saveexec_b32 s18, s21
	s_cbranch_execz .LBB334_240
; %bb.237:                              ;   in Loop: Header=BB334_234 Depth=1
	v_and_b32_e32 v9, 0x7f, v18
	v_mov_b32_e32 v37, 0x7f800001
	s_mov_b32 s21, exec_lo
	v_cmpx_ne_u32_e32 0x7f, v9
	s_cbranch_execz .LBB334_239
; %bb.238:                              ;   in Loop: Header=BB334_234 Depth=1
	v_and_b32_e32 v20, 7, v18
	v_lshrrev_b32_e32 v21, 3, v9
	v_cmp_gt_u32_e32 vcc_lo, 8, v9
	v_ffbh_u32_e32 v20, v20
	v_min_u32_e32 v20, 32, v20
	v_subrev_nc_u32_e32 v36, 28, v20
	v_sub_nc_u32_e32 v20, 29, v20
	v_cndmask_b32_e32 v9, v21, v20, vcc_lo
	v_cndmask_b32_e32 v20, 0, v36, vcc_lo
	v_lshl_add_u32 v9, v9, 23, 0x3c000000
	v_lshlrev_b64 v[20:21], v20, v[18:19]
	v_lshlrev_b32_e32 v21, 24, v18
	v_lshlrev_b32_e32 v20, 20, v20
	v_and_b32_e32 v21, 0x80000000, v21
	v_and_b32_e32 v20, 0x700000, v20
	v_or3_b32 v37, v20, v21, v9
.LBB334_239:                            ;   in Loop: Header=BB334_234 Depth=1
	s_or_b32 exec_lo, exec_lo, s21
.LBB334_240:                            ;   in Loop: Header=BB334_234 Depth=1
	s_or_b32 exec_lo, exec_lo, s18
.LBB334_241:                            ;   in Loop: Header=BB334_234 Depth=1
	s_or_b32 exec_lo, exec_lo, s0
	v_cmp_ne_u16_sdwa s18, v18, v10 src0_sel:BYTE_1 src1_sel:DWORD
	s_and_saveexec_b32 s0, s18
	s_cbranch_execz .LBB334_249
; %bb.242:                              ;   in Loop: Header=BB334_234 Depth=1
	v_cmp_ne_u16_sdwa s21, v18, v29 src0_sel:BYTE_1 src1_sel:DWORD
	v_bfrev_b32_e32 v35, 1
	s_and_saveexec_b32 s18, s21
	s_cbranch_execz .LBB334_248
; %bb.243:                              ;   in Loop: Header=BB334_234 Depth=1
	v_and_b32_sdwa v9, v30, v18 dst_sel:DWORD dst_unused:UNUSED_PAD src0_sel:DWORD src1_sel:BYTE_1
	v_mov_b32_e32 v35, 0x7f800001
	s_mov_b32 s21, exec_lo
	v_and_b32_e32 v21, 0x7f, v9
	v_cmpx_ne_u32_e32 0x7f, v21
	s_cbranch_execz .LBB334_247
; %bb.244:                              ;   in Loop: Header=BB334_234 Depth=1
	v_and_b32_e32 v9, 7, v9
	v_lshrrev_b32_e32 v20, 3, v21
	s_mov_b32 s22, exec_lo
	v_cmpx_gt_u32_e32 8, v21
; %bb.245:                              ;   in Loop: Header=BB334_234 Depth=1
	v_ffbh_u32_e32 v20, v9
	v_min_u32_e32 v20, 32, v20
	v_subrev_nc_u32_e32 v21, 28, v20
	v_sub_nc_u32_e32 v20, 29, v20
	v_lshlrev_b64 v[35:36], v21, v[9:10]
	v_and_b32_e32 v9, 7, v35
; %bb.246:                              ;   in Loop: Header=BB334_234 Depth=1
	s_or_b32 exec_lo, exec_lo, s22
	v_lshlrev_b32_e32 v21, 16, v18
	v_lshlrev_b32_e32 v9, 20, v9
	v_lshl_add_u32 v20, v20, 23, 0x3c000000
	v_and_b32_e32 v21, 0x80000000, v21
	v_or3_b32 v35, v9, v21, v20
.LBB334_247:                            ;   in Loop: Header=BB334_234 Depth=1
	s_or_b32 exec_lo, exec_lo, s21
.LBB334_248:                            ;   in Loop: Header=BB334_234 Depth=1
	s_or_b32 exec_lo, exec_lo, s18
.LBB334_249:                            ;   in Loop: Header=BB334_234 Depth=1
	s_or_b32 exec_lo, exec_lo, s0
	v_and_b32_sdwa v9, v18, v31 dst_sel:DWORD dst_unused:UNUSED_PAD src0_sel:WORD_1 src1_sel:DWORD
	v_mov_b32_e32 v38, 0
	v_mov_b32_e32 v36, 0
	s_mov_b32 s0, exec_lo
	v_cmpx_ne_u16_e32 0, v9
	s_cbranch_execz .LBB334_257
; %bb.250:                              ;   in Loop: Header=BB334_234 Depth=1
	v_bfrev_b32_e32 v36, 1
	s_mov_b32 s18, exec_lo
	v_cmpx_ne_u16_e32 0x80, v9
	s_cbranch_execz .LBB334_256
; %bb.251:                              ;   in Loop: Header=BB334_234 Depth=1
	v_bfe_u32 v21, v18, 16, 7
	v_mov_b32_e32 v36, 0x7f800001
	s_mov_b32 s21, exec_lo
	v_cmpx_ne_u32_e32 0x7f, v21
	s_cbranch_execz .LBB334_255
; %bb.252:                              ;   in Loop: Header=BB334_234 Depth=1
	v_and_b32_sdwa v9, v18, v32 dst_sel:DWORD dst_unused:UNUSED_PAD src0_sel:WORD_1 src1_sel:DWORD
	v_lshrrev_b32_e32 v20, 3, v21
	s_mov_b32 s22, exec_lo
	v_cmpx_gt_u32_e32 8, v21
; %bb.253:                              ;   in Loop: Header=BB334_234 Depth=1
	v_ffbh_u32_e32 v20, v9
	v_min_u32_e32 v20, 32, v20
	v_subrev_nc_u32_e32 v21, 28, v20
	v_sub_nc_u32_e32 v20, 29, v20
	v_lshlrev_b64 v[39:40], v21, v[9:10]
	v_and_b32_e32 v9, 7, v39
; %bb.254:                              ;   in Loop: Header=BB334_234 Depth=1
	s_or_b32 exec_lo, exec_lo, s22
	v_lshlrev_b32_sdwa v21, v33, v18 dst_sel:DWORD dst_unused:UNUSED_PAD src0_sel:DWORD src1_sel:WORD_1
	v_lshlrev_b32_e32 v9, 20, v9
	v_lshl_add_u32 v20, v20, 23, 0x3c000000
	v_and_b32_e32 v21, 0x80000000, v21
	v_or3_b32 v36, v9, v21, v20
.LBB334_255:                            ;   in Loop: Header=BB334_234 Depth=1
	s_or_b32 exec_lo, exec_lo, s21
.LBB334_256:                            ;   in Loop: Header=BB334_234 Depth=1
	s_or_b32 exec_lo, exec_lo, s18
.LBB334_257:                            ;   in Loop: Header=BB334_234 Depth=1
	s_or_b32 exec_lo, exec_lo, s0
	s_mov_b32 s0, exec_lo
	v_cmpx_lt_u32_e32 0xffffff, v18
	s_cbranch_execz .LBB334_265
; %bb.258:                              ;   in Loop: Header=BB334_234 Depth=1
	v_cmp_ne_u32_sdwa s21, v18, v29 src0_sel:BYTE_3 src1_sel:DWORD
	v_bfrev_b32_e32 v38, 1
	s_and_saveexec_b32 s18, s21
	s_cbranch_execz .LBB334_264
; %bb.259:                              ;   in Loop: Header=BB334_234 Depth=1
	v_bfe_u32 v21, v18, 24, 7
	v_mov_b32_e32 v38, 0x7f800001
	s_mov_b32 s21, exec_lo
	v_cmpx_ne_u32_e32 0x7f, v21
	s_cbranch_execz .LBB334_263
; %bb.260:                              ;   in Loop: Header=BB334_234 Depth=1
	v_and_b32_sdwa v9, v18, v32 dst_sel:DWORD dst_unused:UNUSED_PAD src0_sel:BYTE_3 src1_sel:DWORD
	v_lshrrev_b32_e32 v20, 3, v21
	s_mov_b32 s22, exec_lo
	v_cmpx_gt_u32_e32 8, v21
; %bb.261:                              ;   in Loop: Header=BB334_234 Depth=1
	v_ffbh_u32_e32 v20, v9
	v_min_u32_e32 v20, 32, v20
	v_subrev_nc_u32_e32 v21, 28, v20
	v_sub_nc_u32_e32 v20, 29, v20
	v_lshlrev_b64 v[38:39], v21, v[9:10]
	v_and_b32_e32 v9, 7, v38
; %bb.262:                              ;   in Loop: Header=BB334_234 Depth=1
	s_or_b32 exec_lo, exec_lo, s22
	v_lshlrev_b32_sdwa v21, v33, v18 dst_sel:DWORD dst_unused:UNUSED_PAD src0_sel:DWORD src1_sel:BYTE_3
	v_lshlrev_b32_e32 v9, 20, v9
	v_lshl_add_u32 v20, v20, 23, 0x3c000000
	v_and_b32_e32 v21, 0x80000000, v21
	v_or3_b32 v38, v9, v21, v20
.LBB334_263:                            ;   in Loop: Header=BB334_234 Depth=1
	s_or_b32 exec_lo, exec_lo, s21
.LBB334_264:                            ;   in Loop: Header=BB334_234 Depth=1
	s_or_b32 exec_lo, exec_lo, s18
.LBB334_265:                            ;   in Loop: Header=BB334_234 Depth=1
	s_or_b32 exec_lo, exec_lo, s0
	v_mov_b32_e32 v9, v19
	v_cmp_ne_u16_sdwa s18, v19, v10 src0_sel:BYTE_0 src1_sel:DWORD
	v_mov_b32_e32 v20, 0
	v_mov_b32_e32 v39, 0
	s_and_saveexec_b32 s0, s18
	s_cbranch_execz .LBB334_271
; %bb.266:                              ;   in Loop: Header=BB334_234 Depth=1
	v_cmp_ne_u16_sdwa s21, v19, v29 src0_sel:BYTE_0 src1_sel:DWORD
	v_bfrev_b32_e32 v39, 1
	s_and_saveexec_b32 s18, s21
	s_cbranch_execz .LBB334_270
; %bb.267:                              ;   in Loop: Header=BB334_234 Depth=1
	v_and_b32_e32 v21, 0x7f, v19
	v_mov_b32_e32 v39, 0x7f800001
	s_mov_b32 s21, exec_lo
	v_cmpx_ne_u32_e32 0x7f, v21
	s_cbranch_execz .LBB334_269
; %bb.268:                              ;   in Loop: Header=BB334_234 Depth=1
	v_and_b32_e32 v39, 7, v19
	v_lshrrev_b32_e32 v40, 3, v21
	v_cmp_gt_u32_e32 vcc_lo, 8, v21
	v_ffbh_u32_e32 v39, v39
	v_min_u32_e32 v39, 32, v39
	v_subrev_nc_u32_e32 v41, 28, v39
	v_sub_nc_u32_e32 v39, 29, v39
	v_cndmask_b32_e32 v21, v40, v39, vcc_lo
	v_cndmask_b32_e32 v39, 0, v41, vcc_lo
	v_lshl_add_u32 v21, v21, 23, 0x3c000000
	v_lshlrev_b64 v[39:40], v39, v[9:10]
	v_lshlrev_b32_e32 v40, 24, v9
	v_lshlrev_b32_e32 v39, 20, v39
	v_and_b32_e32 v40, 0x80000000, v40
	v_and_b32_e32 v39, 0x700000, v39
	v_or3_b32 v39, v39, v40, v21
.LBB334_269:                            ;   in Loop: Header=BB334_234 Depth=1
	s_or_b32 exec_lo, exec_lo, s21
.LBB334_270:                            ;   in Loop: Header=BB334_234 Depth=1
	s_or_b32 exec_lo, exec_lo, s18
.LBB334_271:                            ;   in Loop: Header=BB334_234 Depth=1
	s_or_b32 exec_lo, exec_lo, s0
	v_cmp_ne_u16_sdwa s18, v9, v10 src0_sel:BYTE_1 src1_sel:DWORD
	s_and_saveexec_b32 s0, s18
	s_cbranch_execz .LBB334_279
; %bb.272:                              ;   in Loop: Header=BB334_234 Depth=1
	v_cmp_ne_u16_sdwa s21, v9, v29 src0_sel:BYTE_1 src1_sel:DWORD
	v_bfrev_b32_e32 v20, 1
	s_and_saveexec_b32 s18, s21
	s_cbranch_execz .LBB334_278
; %bb.273:                              ;   in Loop: Header=BB334_234 Depth=1
	v_and_b32_sdwa v21, v30, v9 dst_sel:DWORD dst_unused:UNUSED_PAD src0_sel:DWORD src1_sel:BYTE_1
	v_mov_b32_e32 v20, 0x7f800001
	s_mov_b32 s21, exec_lo
	v_and_b32_e32 v41, 0x7f, v21
	v_cmpx_ne_u32_e32 0x7f, v41
	s_cbranch_execz .LBB334_277
; %bb.274:                              ;   in Loop: Header=BB334_234 Depth=1
	v_and_b32_e32 v20, 7, v21
	v_mov_b32_e32 v21, v10
	v_lshrrev_b32_e32 v40, 3, v41
	s_mov_b32 s22, exec_lo
	v_cmpx_gt_u32_e32 8, v41
; %bb.275:                              ;   in Loop: Header=BB334_234 Depth=1
	v_ffbh_u32_e32 v40, v20
	v_min_u32_e32 v40, 32, v40
	v_subrev_nc_u32_e32 v41, 28, v40
	v_sub_nc_u32_e32 v40, 29, v40
	v_lshlrev_b64 v[20:21], v41, v[20:21]
	v_and_b32_e32 v20, 7, v20
; %bb.276:                              ;   in Loop: Header=BB334_234 Depth=1
	s_or_b32 exec_lo, exec_lo, s22
	v_lshlrev_b32_e32 v9, 16, v9
	v_lshlrev_b32_e32 v20, 20, v20
	v_lshl_add_u32 v21, v40, 23, 0x3c000000
	v_and_b32_e32 v9, 0x80000000, v9
	v_or3_b32 v20, v20, v9, v21
.LBB334_277:                            ;   in Loop: Header=BB334_234 Depth=1
	s_or_b32 exec_lo, exec_lo, s21
.LBB334_278:                            ;   in Loop: Header=BB334_234 Depth=1
	s_or_b32 exec_lo, exec_lo, s18
.LBB334_279:                            ;   in Loop: Header=BB334_234 Depth=1
	s_or_b32 exec_lo, exec_lo, s0
	v_and_b32_sdwa v9, v19, v31 dst_sel:DWORD dst_unused:UNUSED_PAD src0_sel:WORD_1 src1_sel:DWORD
	v_mov_b32_e32 v21, 0
	v_mov_b32_e32 v40, 0
	s_mov_b32 s0, exec_lo
	v_cmpx_ne_u16_e32 0, v9
	s_cbranch_execz .LBB334_287
; %bb.280:                              ;   in Loop: Header=BB334_234 Depth=1
	v_bfrev_b32_e32 v40, 1
	s_mov_b32 s18, exec_lo
	v_cmpx_ne_u16_e32 0x80, v9
	s_cbranch_execz .LBB334_286
; %bb.281:                              ;   in Loop: Header=BB334_234 Depth=1
	v_bfe_u32 v41, v19, 16, 7
	v_mov_b32_e32 v40, 0x7f800001
	s_mov_b32 s21, exec_lo
	v_cmpx_ne_u32_e32 0x7f, v41
	s_cbranch_execz .LBB334_285
; %bb.282:                              ;   in Loop: Header=BB334_234 Depth=1
	v_and_b32_sdwa v9, v19, v32 dst_sel:DWORD dst_unused:UNUSED_PAD src0_sel:WORD_1 src1_sel:DWORD
	v_lshrrev_b32_e32 v40, 3, v41
	s_mov_b32 s22, exec_lo
	v_cmpx_gt_u32_e32 8, v41
; %bb.283:                              ;   in Loop: Header=BB334_234 Depth=1
	v_ffbh_u32_e32 v40, v9
	v_min_u32_e32 v40, 32, v40
	v_subrev_nc_u32_e32 v41, 28, v40
	v_sub_nc_u32_e32 v40, 29, v40
	v_lshlrev_b64 v[41:42], v41, v[9:10]
	v_and_b32_e32 v9, 7, v41
; %bb.284:                              ;   in Loop: Header=BB334_234 Depth=1
	s_or_b32 exec_lo, exec_lo, s22
	v_lshlrev_b32_sdwa v41, v33, v19 dst_sel:DWORD dst_unused:UNUSED_PAD src0_sel:DWORD src1_sel:WORD_1
	v_lshlrev_b32_e32 v9, 20, v9
	v_lshl_add_u32 v40, v40, 23, 0x3c000000
	v_and_b32_e32 v41, 0x80000000, v41
	v_or3_b32 v40, v9, v41, v40
.LBB334_285:                            ;   in Loop: Header=BB334_234 Depth=1
	s_or_b32 exec_lo, exec_lo, s21
.LBB334_286:                            ;   in Loop: Header=BB334_234 Depth=1
	s_or_b32 exec_lo, exec_lo, s18
.LBB334_287:                            ;   in Loop: Header=BB334_234 Depth=1
	s_or_b32 exec_lo, exec_lo, s0
	s_mov_b32 s0, exec_lo
	v_cmpx_lt_u64_e64 s[4:5], v[18:19]
	s_cbranch_execz .LBB334_295
; %bb.288:                              ;   in Loop: Header=BB334_234 Depth=1
	v_cmp_ne_u32_sdwa s21, v19, v29 src0_sel:BYTE_3 src1_sel:DWORD
	v_bfrev_b32_e32 v21, 1
	s_and_saveexec_b32 s18, s21
	s_cbranch_execz .LBB334_294
; %bb.289:                              ;   in Loop: Header=BB334_234 Depth=1
	v_bfe_u32 v41, v19, 24, 7
	v_mov_b32_e32 v21, 0x7f800001
	s_mov_b32 s21, exec_lo
	v_cmpx_ne_u32_e32 0x7f, v41
	s_cbranch_execz .LBB334_293
; %bb.290:                              ;   in Loop: Header=BB334_234 Depth=1
	v_and_b32_sdwa v9, v19, v32 dst_sel:DWORD dst_unused:UNUSED_PAD src0_sel:BYTE_3 src1_sel:DWORD
	v_lshrrev_b32_e32 v18, 3, v41
	s_mov_b32 s22, exec_lo
	v_cmpx_gt_u32_e32 8, v41
; %bb.291:                              ;   in Loop: Header=BB334_234 Depth=1
	v_ffbh_u32_e32 v18, v9
	v_min_u32_e32 v18, 32, v18
	v_subrev_nc_u32_e32 v21, 28, v18
	v_sub_nc_u32_e32 v18, 29, v18
	v_lshlrev_b64 v[41:42], v21, v[9:10]
	v_and_b32_e32 v9, 7, v41
; %bb.292:                              ;   in Loop: Header=BB334_234 Depth=1
	s_or_b32 exec_lo, exec_lo, s22
	v_lshlrev_b32_sdwa v19, v33, v19 dst_sel:DWORD dst_unused:UNUSED_PAD src0_sel:DWORD src1_sel:BYTE_3
	v_lshlrev_b32_e32 v9, 20, v9
	v_lshl_add_u32 v18, v18, 23, 0x3c000000
	v_and_b32_e32 v19, 0x80000000, v19
	v_or3_b32 v21, v9, v19, v18
.LBB334_293:                            ;   in Loop: Header=BB334_234 Depth=1
	s_or_b32 exec_lo, exec_lo, s21
.LBB334_294:                            ;   in Loop: Header=BB334_234 Depth=1
	s_or_b32 exec_lo, exec_lo, s18
.LBB334_295:                            ;   in Loop: Header=BB334_234 Depth=1
	s_or_b32 exec_lo, exec_lo, s0
	s_waitcnt lgkmcnt(0)
	v_mul_f32_e32 v9, s17, v20
	v_mul_f32_e32 v18, s17, v39
	;; [unrolled: 1-line block ×5, first 2 shown]
	v_bfe_u32 v20, v9, 16, 1
	v_or_b32_e32 v36, 0x400000, v9
	v_bfe_u32 v38, v18, 16, 1
	v_cmp_u_f32_e64 s0, v9, v9
	v_or_b32_e32 v41, 0x400000, v18
	v_add3_u32 v20, v20, v9, 0x7fff
	v_bfe_u32 v42, v19, 16, 1
	v_add3_u32 v38, v38, v18, 0x7fff
	v_or_b32_e32 v43, 0x400000, v19
	v_cmp_eq_u32_e32 vcc_lo, s40, v13
	v_cndmask_b32_e64 v9, v20, v36, s0
	v_cmp_u_f32_e64 s0, v18, v18
	v_bfe_u32 v20, v39, 16, 1
	v_add3_u32 v42, v42, v19, 0x7fff
	v_add_nc_u32_e32 v49, 1, v24
	v_lshrrev_b32_e32 v36, 16, v9
	v_cndmask_b32_e64 v18, v38, v41, s0
	v_cmp_u_f32_e64 s0, v19, v19
	v_mul_f32_e32 v19, s17, v35
	v_add3_u32 v20, v20, v39, 0x7fff
	v_or_b32_e32 v41, 0x400000, v39
	v_lshrrev_b32_e32 v35, 16, v18
	v_cndmask_b32_e64 v9, v42, v43, s0
	v_cmp_u_f32_e64 s0, v39, v39
	v_or_b32_e32 v39, 0x400000, v19
	v_or_b32_e32 v43, 0x400000, v21
	v_add_nc_u32_e32 v48, 2, v24
	v_lshrrev_b32_e32 v38, 16, v9
	v_bfe_u32 v9, v19, 16, 1
	v_cndmask_b32_e64 v18, v20, v41, s0
	v_mul_f32_e32 v20, s17, v37
	v_mul_f32_e32 v37, s17, v40
	v_cmp_u_f32_e64 s0, v19, v19
	v_add3_u32 v9, v9, v19, 0x7fff
	v_bfe_u32 v19, v21, 16, 1
	v_bfe_u32 v40, v20, 16, 1
	;; [unrolled: 1-line block ×3, first 2 shown]
	v_or_b32_e32 v42, 0x400000, v37
	v_cndmask_b32_e64 v9, v9, v39, s0
	v_cmp_u_f32_e64 s0, v20, v20
	v_add3_u32 v39, v40, v20, 0x7fff
	v_or_b32_e32 v40, 0x400000, v20
	v_add3_u32 v41, v41, v37, 0x7fff
	v_add3_u32 v19, v19, v21, 0x7fff
	v_add_nc_u32_e32 v47, 3, v24
	v_add_nc_u32_e32 v46, 4, v24
	v_cndmask_b32_e64 v20, v39, v40, s0
	v_cmp_u_f32_e64 s0, v37, v37
	v_lshrrev_b32_e32 v40, 16, v18
	v_add_nc_u32_e32 v45, 5, v24
	v_add_nc_u32_e32 v44, 6, v24
	v_cndmask_b32_e64 v37, v41, v42, s0
	v_cmp_u_f32_e64 s0, v21, v21
	v_lshrrev_b32_e32 v42, 16, v9
	v_lshrrev_b32_e32 v41, 16, v20
	;; [unrolled: 1-line block ×3, first 2 shown]
	v_cndmask_b32_e64 v19, v19, v43, s0
	v_add_nc_u32_e32 v43, 7, v24
	v_lshrrev_b32_e32 v39, 16, v19
	s_and_saveexec_b32 s18, vcc_lo
	s_cbranch_execz .LBB334_297
; %bb.296:                              ;   in Loop: Header=BB334_234 Depth=1
	v_cmp_gt_i32_e64 s0, s31, v24
	v_cndmask_b32_e64 v41, 0, v41, s0
	v_cmp_gt_i32_e64 s0, s31, v49
	v_cndmask_b32_e64 v42, 0, v42, s0
	v_cmp_gt_i32_e64 s0, s31, v48
	v_cndmask_b32_e64 v40, 0, v40, s0
	v_cmp_gt_i32_e64 s0, s31, v47
	v_cndmask_b32_e64 v38, 0, v38, s0
	v_cmp_gt_i32_e64 s0, s31, v46
	v_cndmask_b32_e64 v35, 0, v35, s0
	v_cmp_gt_i32_e64 s0, s31, v45
	v_cndmask_b32_e64 v36, 0, v36, s0
	v_cmp_gt_i32_e64 s0, s31, v44
	v_cndmask_b32_e64 v37, 0, v37, s0
	v_cmp_gt_i32_e64 s0, s31, v43
	v_cndmask_b32_e64 v39, 0, v39, s0
.LBB334_297:                            ;   in Loop: Header=BB334_234 Depth=1
	s_or_b32 exec_lo, exec_lo, s18
	global_load_dwordx2 v[18:19], v[16:17], off offset:256
	v_mov_b32_e32 v51, 0
	v_mov_b32_e32 v50, 0
	s_waitcnt vmcnt(0)
	v_cmp_ne_u16_sdwa s0, v18, v10 src0_sel:BYTE_0 src1_sel:DWORD
	s_and_saveexec_b32 s18, s0
	s_cbranch_execz .LBB334_303
; %bb.298:                              ;   in Loop: Header=BB334_234 Depth=1
	v_cmp_ne_u16_sdwa s0, v18, v29 src0_sel:BYTE_0 src1_sel:DWORD
	v_bfrev_b32_e32 v50, 1
	s_and_saveexec_b32 s21, s0
	s_cbranch_execz .LBB334_302
; %bb.299:                              ;   in Loop: Header=BB334_234 Depth=1
	v_and_b32_e32 v9, 0x7f, v18
	v_mov_b32_e32 v50, 0x7f800001
	s_mov_b32 s22, exec_lo
	v_cmpx_ne_u32_e32 0x7f, v9
	s_cbranch_execz .LBB334_301
; %bb.300:                              ;   in Loop: Header=BB334_234 Depth=1
	v_and_b32_e32 v20, 7, v18
	v_lshrrev_b32_e32 v21, 3, v9
	v_cmp_gt_u32_e64 s0, 8, v9
	v_ffbh_u32_e32 v20, v20
	v_min_u32_e32 v20, 32, v20
	v_subrev_nc_u32_e32 v50, 28, v20
	v_sub_nc_u32_e32 v20, 29, v20
	v_cndmask_b32_e64 v9, v21, v20, s0
	v_cndmask_b32_e64 v20, 0, v50, s0
	v_lshl_add_u32 v9, v9, 23, 0x3c000000
	v_lshlrev_b64 v[20:21], v20, v[18:19]
	v_lshlrev_b32_e32 v21, 24, v18
	v_lshlrev_b32_e32 v20, 20, v20
	v_and_b32_e32 v21, 0x80000000, v21
	v_and_b32_e32 v20, 0x700000, v20
	v_or3_b32 v50, v20, v21, v9
.LBB334_301:                            ;   in Loop: Header=BB334_234 Depth=1
	s_or_b32 exec_lo, exec_lo, s22
.LBB334_302:                            ;   in Loop: Header=BB334_234 Depth=1
	s_or_b32 exec_lo, exec_lo, s21
.LBB334_303:                            ;   in Loop: Header=BB334_234 Depth=1
	s_or_b32 exec_lo, exec_lo, s18
	v_cmp_ne_u16_sdwa s0, v18, v10 src0_sel:BYTE_1 src1_sel:DWORD
	s_and_saveexec_b32 s18, s0
	s_cbranch_execz .LBB334_311
; %bb.304:                              ;   in Loop: Header=BB334_234 Depth=1
	v_cmp_ne_u16_sdwa s0, v18, v29 src0_sel:BYTE_1 src1_sel:DWORD
	v_bfrev_b32_e32 v51, 1
	s_and_saveexec_b32 s21, s0
	s_cbranch_execz .LBB334_310
; %bb.305:                              ;   in Loop: Header=BB334_234 Depth=1
	v_and_b32_sdwa v9, v30, v18 dst_sel:DWORD dst_unused:UNUSED_PAD src0_sel:DWORD src1_sel:BYTE_1
	v_mov_b32_e32 v51, 0x7f800001
	s_mov_b32 s22, exec_lo
	v_and_b32_e32 v21, 0x7f, v9
	v_cmpx_ne_u32_e32 0x7f, v21
	s_cbranch_execz .LBB334_309
; %bb.306:                              ;   in Loop: Header=BB334_234 Depth=1
	v_and_b32_e32 v9, 7, v9
	v_lshrrev_b32_e32 v20, 3, v21
	s_mov_b32 s24, exec_lo
	v_cmpx_gt_u32_e32 8, v21
; %bb.307:                              ;   in Loop: Header=BB334_234 Depth=1
	v_ffbh_u32_e32 v20, v9
	v_min_u32_e32 v20, 32, v20
	v_subrev_nc_u32_e32 v21, 28, v20
	v_sub_nc_u32_e32 v20, 29, v20
	v_lshlrev_b64 v[51:52], v21, v[9:10]
	v_and_b32_e32 v9, 7, v51
; %bb.308:                              ;   in Loop: Header=BB334_234 Depth=1
	s_or_b32 exec_lo, exec_lo, s24
	v_lshlrev_b32_e32 v21, 16, v18
	v_lshlrev_b32_e32 v9, 20, v9
	v_lshl_add_u32 v20, v20, 23, 0x3c000000
	v_and_b32_e32 v21, 0x80000000, v21
	v_or3_b32 v51, v9, v21, v20
.LBB334_309:                            ;   in Loop: Header=BB334_234 Depth=1
	s_or_b32 exec_lo, exec_lo, s22
.LBB334_310:                            ;   in Loop: Header=BB334_234 Depth=1
	s_or_b32 exec_lo, exec_lo, s21
.LBB334_311:                            ;   in Loop: Header=BB334_234 Depth=1
	s_or_b32 exec_lo, exec_lo, s18
	v_and_b32_sdwa v9, v18, v31 dst_sel:DWORD dst_unused:UNUSED_PAD src0_sel:WORD_1 src1_sel:DWORD
	v_mov_b32_e32 v53, 0
	v_mov_b32_e32 v52, 0
	s_mov_b32 s18, exec_lo
	v_cmpx_ne_u16_e32 0, v9
	s_cbranch_execz .LBB334_319
; %bb.312:                              ;   in Loop: Header=BB334_234 Depth=1
	v_bfrev_b32_e32 v52, 1
	s_mov_b32 s21, exec_lo
	v_cmpx_ne_u16_e32 0x80, v9
	s_cbranch_execz .LBB334_318
; %bb.313:                              ;   in Loop: Header=BB334_234 Depth=1
	v_bfe_u32 v21, v18, 16, 7
	v_mov_b32_e32 v52, 0x7f800001
	s_mov_b32 s22, exec_lo
	v_cmpx_ne_u32_e32 0x7f, v21
	s_cbranch_execz .LBB334_317
; %bb.314:                              ;   in Loop: Header=BB334_234 Depth=1
	v_and_b32_sdwa v9, v18, v32 dst_sel:DWORD dst_unused:UNUSED_PAD src0_sel:WORD_1 src1_sel:DWORD
	v_lshrrev_b32_e32 v20, 3, v21
	s_mov_b32 s24, exec_lo
	v_cmpx_gt_u32_e32 8, v21
; %bb.315:                              ;   in Loop: Header=BB334_234 Depth=1
	v_ffbh_u32_e32 v20, v9
	v_min_u32_e32 v20, 32, v20
	v_subrev_nc_u32_e32 v21, 28, v20
	v_sub_nc_u32_e32 v20, 29, v20
	v_lshlrev_b64 v[54:55], v21, v[9:10]
	v_and_b32_e32 v9, 7, v54
; %bb.316:                              ;   in Loop: Header=BB334_234 Depth=1
	s_or_b32 exec_lo, exec_lo, s24
	v_lshlrev_b32_sdwa v21, v33, v18 dst_sel:DWORD dst_unused:UNUSED_PAD src0_sel:DWORD src1_sel:WORD_1
	v_lshlrev_b32_e32 v9, 20, v9
	v_lshl_add_u32 v20, v20, 23, 0x3c000000
	v_and_b32_e32 v21, 0x80000000, v21
	v_or3_b32 v52, v9, v21, v20
.LBB334_317:                            ;   in Loop: Header=BB334_234 Depth=1
	s_or_b32 exec_lo, exec_lo, s22
.LBB334_318:                            ;   in Loop: Header=BB334_234 Depth=1
	s_or_b32 exec_lo, exec_lo, s21
.LBB334_319:                            ;   in Loop: Header=BB334_234 Depth=1
	s_or_b32 exec_lo, exec_lo, s18
	s_mov_b32 s18, exec_lo
	v_cmpx_lt_u32_e32 0xffffff, v18
	s_cbranch_execz .LBB334_327
; %bb.320:                              ;   in Loop: Header=BB334_234 Depth=1
	v_cmp_ne_u32_sdwa s0, v18, v29 src0_sel:BYTE_3 src1_sel:DWORD
	v_bfrev_b32_e32 v53, 1
	s_and_saveexec_b32 s21, s0
	s_cbranch_execz .LBB334_326
; %bb.321:                              ;   in Loop: Header=BB334_234 Depth=1
	v_bfe_u32 v21, v18, 24, 7
	v_mov_b32_e32 v53, 0x7f800001
	s_mov_b32 s22, exec_lo
	v_cmpx_ne_u32_e32 0x7f, v21
	s_cbranch_execz .LBB334_325
; %bb.322:                              ;   in Loop: Header=BB334_234 Depth=1
	v_and_b32_sdwa v9, v18, v32 dst_sel:DWORD dst_unused:UNUSED_PAD src0_sel:BYTE_3 src1_sel:DWORD
	v_lshrrev_b32_e32 v20, 3, v21
	s_mov_b32 s24, exec_lo
	v_cmpx_gt_u32_e32 8, v21
; %bb.323:                              ;   in Loop: Header=BB334_234 Depth=1
	v_ffbh_u32_e32 v20, v9
	v_min_u32_e32 v20, 32, v20
	v_subrev_nc_u32_e32 v21, 28, v20
	v_sub_nc_u32_e32 v20, 29, v20
	v_lshlrev_b64 v[53:54], v21, v[9:10]
	v_and_b32_e32 v9, 7, v53
; %bb.324:                              ;   in Loop: Header=BB334_234 Depth=1
	s_or_b32 exec_lo, exec_lo, s24
	v_lshlrev_b32_sdwa v21, v33, v18 dst_sel:DWORD dst_unused:UNUSED_PAD src0_sel:DWORD src1_sel:BYTE_3
	v_lshlrev_b32_e32 v9, 20, v9
	v_lshl_add_u32 v20, v20, 23, 0x3c000000
	v_and_b32_e32 v21, 0x80000000, v21
	v_or3_b32 v53, v9, v21, v20
.LBB334_325:                            ;   in Loop: Header=BB334_234 Depth=1
	s_or_b32 exec_lo, exec_lo, s22
.LBB334_326:                            ;   in Loop: Header=BB334_234 Depth=1
	s_or_b32 exec_lo, exec_lo, s21
.LBB334_327:                            ;   in Loop: Header=BB334_234 Depth=1
	s_or_b32 exec_lo, exec_lo, s18
	v_mov_b32_e32 v9, v19
	v_cmp_ne_u16_sdwa s0, v19, v10 src0_sel:BYTE_0 src1_sel:DWORD
	v_mov_b32_e32 v20, 0
	v_mov_b32_e32 v54, 0
	s_and_saveexec_b32 s18, s0
	s_cbranch_execz .LBB334_333
; %bb.328:                              ;   in Loop: Header=BB334_234 Depth=1
	v_cmp_ne_u16_sdwa s0, v19, v29 src0_sel:BYTE_0 src1_sel:DWORD
	v_bfrev_b32_e32 v54, 1
	s_and_saveexec_b32 s21, s0
	s_cbranch_execz .LBB334_332
; %bb.329:                              ;   in Loop: Header=BB334_234 Depth=1
	v_and_b32_e32 v21, 0x7f, v19
	v_mov_b32_e32 v54, 0x7f800001
	s_mov_b32 s22, exec_lo
	v_cmpx_ne_u32_e32 0x7f, v21
	s_cbranch_execz .LBB334_331
; %bb.330:                              ;   in Loop: Header=BB334_234 Depth=1
	v_and_b32_e32 v54, 7, v19
	v_lshrrev_b32_e32 v55, 3, v21
	v_cmp_gt_u32_e64 s0, 8, v21
	v_ffbh_u32_e32 v54, v54
	v_min_u32_e32 v54, 32, v54
	v_subrev_nc_u32_e32 v56, 28, v54
	v_sub_nc_u32_e32 v54, 29, v54
	v_cndmask_b32_e64 v21, v55, v54, s0
	v_cndmask_b32_e64 v54, 0, v56, s0
	v_lshl_add_u32 v21, v21, 23, 0x3c000000
	v_lshlrev_b64 v[54:55], v54, v[9:10]
	v_lshlrev_b32_e32 v55, 24, v9
	v_lshlrev_b32_e32 v54, 20, v54
	v_and_b32_e32 v55, 0x80000000, v55
	v_and_b32_e32 v54, 0x700000, v54
	v_or3_b32 v54, v54, v55, v21
.LBB334_331:                            ;   in Loop: Header=BB334_234 Depth=1
	s_or_b32 exec_lo, exec_lo, s22
.LBB334_332:                            ;   in Loop: Header=BB334_234 Depth=1
	s_or_b32 exec_lo, exec_lo, s21
.LBB334_333:                            ;   in Loop: Header=BB334_234 Depth=1
	s_or_b32 exec_lo, exec_lo, s18
	v_cmp_ne_u16_sdwa s0, v9, v10 src0_sel:BYTE_1 src1_sel:DWORD
	s_and_saveexec_b32 s18, s0
	s_cbranch_execz .LBB334_341
; %bb.334:                              ;   in Loop: Header=BB334_234 Depth=1
	v_cmp_ne_u16_sdwa s0, v9, v29 src0_sel:BYTE_1 src1_sel:DWORD
	v_bfrev_b32_e32 v20, 1
	s_and_saveexec_b32 s21, s0
	s_cbranch_execz .LBB334_340
; %bb.335:                              ;   in Loop: Header=BB334_234 Depth=1
	v_and_b32_sdwa v21, v30, v9 dst_sel:DWORD dst_unused:UNUSED_PAD src0_sel:DWORD src1_sel:BYTE_1
	v_mov_b32_e32 v20, 0x7f800001
	s_mov_b32 s22, exec_lo
	v_and_b32_e32 v56, 0x7f, v21
	v_cmpx_ne_u32_e32 0x7f, v56
	s_cbranch_execz .LBB334_339
; %bb.336:                              ;   in Loop: Header=BB334_234 Depth=1
	v_and_b32_e32 v20, 7, v21
	v_mov_b32_e32 v21, v10
	v_lshrrev_b32_e32 v55, 3, v56
	s_mov_b32 s24, exec_lo
	v_cmpx_gt_u32_e32 8, v56
; %bb.337:                              ;   in Loop: Header=BB334_234 Depth=1
	v_ffbh_u32_e32 v55, v20
	v_min_u32_e32 v55, 32, v55
	v_subrev_nc_u32_e32 v56, 28, v55
	v_sub_nc_u32_e32 v55, 29, v55
	v_lshlrev_b64 v[20:21], v56, v[20:21]
	v_and_b32_e32 v20, 7, v20
; %bb.338:                              ;   in Loop: Header=BB334_234 Depth=1
	s_or_b32 exec_lo, exec_lo, s24
	v_lshlrev_b32_e32 v9, 16, v9
	v_lshlrev_b32_e32 v20, 20, v20
	v_lshl_add_u32 v21, v55, 23, 0x3c000000
	v_and_b32_e32 v9, 0x80000000, v9
	v_or3_b32 v20, v20, v9, v21
.LBB334_339:                            ;   in Loop: Header=BB334_234 Depth=1
	s_or_b32 exec_lo, exec_lo, s22
.LBB334_340:                            ;   in Loop: Header=BB334_234 Depth=1
	s_or_b32 exec_lo, exec_lo, s21
.LBB334_341:                            ;   in Loop: Header=BB334_234 Depth=1
	s_or_b32 exec_lo, exec_lo, s18
	v_and_b32_sdwa v9, v19, v31 dst_sel:DWORD dst_unused:UNUSED_PAD src0_sel:WORD_1 src1_sel:DWORD
	v_mov_b32_e32 v55, 0
	v_mov_b32_e32 v56, 0
	s_mov_b32 s18, exec_lo
	v_cmpx_ne_u16_e32 0, v9
	s_cbranch_execz .LBB334_349
; %bb.342:                              ;   in Loop: Header=BB334_234 Depth=1
	v_bfrev_b32_e32 v56, 1
	s_mov_b32 s21, exec_lo
	v_cmpx_ne_u16_e32 0x80, v9
	s_cbranch_execz .LBB334_348
; %bb.343:                              ;   in Loop: Header=BB334_234 Depth=1
	v_bfe_u32 v57, v19, 16, 7
	v_mov_b32_e32 v56, 0x7f800001
	s_mov_b32 s22, exec_lo
	v_cmpx_ne_u32_e32 0x7f, v57
	s_cbranch_execz .LBB334_347
; %bb.344:                              ;   in Loop: Header=BB334_234 Depth=1
	v_and_b32_sdwa v9, v19, v32 dst_sel:DWORD dst_unused:UNUSED_PAD src0_sel:WORD_1 src1_sel:DWORD
	v_lshrrev_b32_e32 v21, 3, v57
	s_mov_b32 s24, exec_lo
	v_cmpx_gt_u32_e32 8, v57
; %bb.345:                              ;   in Loop: Header=BB334_234 Depth=1
	v_ffbh_u32_e32 v21, v9
	v_min_u32_e32 v21, 32, v21
	v_subrev_nc_u32_e32 v56, 28, v21
	v_sub_nc_u32_e32 v21, 29, v21
	v_lshlrev_b64 v[56:57], v56, v[9:10]
	v_and_b32_e32 v9, 7, v56
; %bb.346:                              ;   in Loop: Header=BB334_234 Depth=1
	s_or_b32 exec_lo, exec_lo, s24
	v_lshlrev_b32_sdwa v56, v33, v19 dst_sel:DWORD dst_unused:UNUSED_PAD src0_sel:DWORD src1_sel:WORD_1
	v_lshlrev_b32_e32 v9, 20, v9
	v_lshl_add_u32 v21, v21, 23, 0x3c000000
	v_and_b32_e32 v56, 0x80000000, v56
	v_or3_b32 v56, v9, v56, v21
.LBB334_347:                            ;   in Loop: Header=BB334_234 Depth=1
	s_or_b32 exec_lo, exec_lo, s22
.LBB334_348:                            ;   in Loop: Header=BB334_234 Depth=1
	s_or_b32 exec_lo, exec_lo, s21
.LBB334_349:                            ;   in Loop: Header=BB334_234 Depth=1
	s_or_b32 exec_lo, exec_lo, s18
	s_mov_b32 s18, exec_lo
	v_cmpx_lt_u64_e64 s[4:5], v[18:19]
	s_cbranch_execz .LBB334_357
; %bb.350:                              ;   in Loop: Header=BB334_234 Depth=1
	v_cmp_ne_u32_sdwa s0, v19, v29 src0_sel:BYTE_3 src1_sel:DWORD
	v_bfrev_b32_e32 v55, 1
	s_and_saveexec_b32 s21, s0
	s_cbranch_execz .LBB334_356
; %bb.351:                              ;   in Loop: Header=BB334_234 Depth=1
	v_bfe_u32 v21, v19, 24, 7
	v_mov_b32_e32 v55, 0x7f800001
	s_mov_b32 s22, exec_lo
	v_cmpx_ne_u32_e32 0x7f, v21
	s_cbranch_execz .LBB334_355
; %bb.352:                              ;   in Loop: Header=BB334_234 Depth=1
	v_and_b32_sdwa v9, v19, v32 dst_sel:DWORD dst_unused:UNUSED_PAD src0_sel:BYTE_3 src1_sel:DWORD
	v_lshrrev_b32_e32 v18, 3, v21
	s_mov_b32 s24, exec_lo
	v_cmpx_gt_u32_e32 8, v21
; %bb.353:                              ;   in Loop: Header=BB334_234 Depth=1
	v_ffbh_u32_e32 v18, v9
	v_min_u32_e32 v18, 32, v18
	v_subrev_nc_u32_e32 v21, 28, v18
	v_sub_nc_u32_e32 v18, 29, v18
	v_lshlrev_b64 v[57:58], v21, v[9:10]
	v_and_b32_e32 v9, 7, v57
; %bb.354:                              ;   in Loop: Header=BB334_234 Depth=1
	s_or_b32 exec_lo, exec_lo, s24
	v_lshlrev_b32_sdwa v19, v33, v19 dst_sel:DWORD dst_unused:UNUSED_PAD src0_sel:DWORD src1_sel:BYTE_3
	v_lshlrev_b32_e32 v9, 20, v9
	v_lshl_add_u32 v18, v18, 23, 0x3c000000
	v_and_b32_e32 v19, 0x80000000, v19
	v_or3_b32 v55, v9, v19, v18
.LBB334_355:                            ;   in Loop: Header=BB334_234 Depth=1
	s_or_b32 exec_lo, exec_lo, s22
.LBB334_356:                            ;   in Loop: Header=BB334_234 Depth=1
	s_or_b32 exec_lo, exec_lo, s21
.LBB334_357:                            ;   in Loop: Header=BB334_234 Depth=1
	s_or_b32 exec_lo, exec_lo, s18
	v_mul_f32_e32 v9, s17, v20
	v_mul_f32_e32 v18, s17, v54
	;; [unrolled: 1-line block ×5, first 2 shown]
	v_bfe_u32 v20, v9, 16, 1
	v_or_b32_e32 v21, 0x400000, v9
	v_bfe_u32 v52, v18, 16, 1
	v_cmp_u_f32_e64 s0, v9, v9
	v_or_b32_e32 v54, 0x400000, v18
	v_add3_u32 v20, v20, v9, 0x7fff
	v_bfe_u32 v57, v19, 16, 1
	v_add3_u32 v52, v52, v18, 0x7fff
	v_or_b32_e32 v58, 0x400000, v19
	v_bfe_u32 v59, v53, 16, 1
	v_cndmask_b32_e64 v9, v20, v21, s0
	v_cmp_u_f32_e64 s0, v18, v18
	v_add3_u32 v57, v57, v19, 0x7fff
	v_lshrrev_b32_e32 v21, 16, v9
	v_cndmask_b32_e64 v18, v52, v54, s0
	v_cmp_u_f32_e64 s0, v19, v19
	v_mul_f32_e32 v9, s17, v51
	v_add3_u32 v51, v59, v53, 0x7fff
	v_or_b32_e32 v54, 0x400000, v53
	v_lshrrev_b32_e32 v20, 16, v18
	v_cndmask_b32_e64 v19, v57, v58, s0
	v_bfe_u32 v18, v9, 16, 1
	v_cmp_u_f32_e64 s0, v53, v53
	v_or_b32_e32 v53, 0x400000, v9
	v_lshrrev_b32_e32 v52, 16, v19
	v_add3_u32 v18, v18, v9, 0x7fff
	v_cndmask_b32_e64 v19, v51, v54, s0
	v_mul_f32_e32 v51, s17, v56
	v_mul_f32_e32 v54, s17, v55
	v_bfe_u32 v55, v50, 16, 1
	v_cmp_u_f32_e64 s0, v9, v9
	v_bfe_u32 v56, v51, 16, 1
	v_or_b32_e32 v57, 0x400000, v51
	v_or_b32_e32 v58, 0x400000, v54
	v_cndmask_b32_e64 v9, v18, v53, s0
	v_add3_u32 v53, v55, v50, 0x7fff
	v_or_b32_e32 v55, 0x400000, v50
	v_cmp_u_f32_e64 s0, v50, v50
	v_bfe_u32 v18, v54, 16, 1
	v_add3_u32 v56, v56, v51, 0x7fff
	v_cndmask_b32_e64 v50, v53, v55, s0
	v_cmp_u_f32_e64 s0, v51, v51
	v_add3_u32 v18, v18, v54, 0x7fff
	v_lshrrev_b32_e32 v53, 16, v19
	v_lshrrev_b32_e32 v55, 16, v9
	v_cndmask_b32_e64 v51, v56, v57, s0
	v_cmp_u_f32_e64 s0, v54, v54
	v_lshrrev_b32_e32 v54, 16, v50
	v_lshrrev_b32_e32 v50, 16, v51
	v_cndmask_b32_e64 v18, v18, v58, s0
	v_lshrrev_b32_e32 v51, 16, v18
	s_and_saveexec_b32 s18, vcc_lo
	s_cbranch_execz .LBB334_359
; %bb.358:                              ;   in Loop: Header=BB334_234 Depth=1
	v_cmp_gt_i32_e64 s0, s31, v24
	v_cndmask_b32_e64 v54, 0, v54, s0
	v_cmp_gt_i32_e64 s0, s31, v49
	v_cndmask_b32_e64 v55, 0, v55, s0
	;; [unrolled: 2-line block ×8, first 2 shown]
.LBB334_359:                            ;   in Loop: Header=BB334_234 Depth=1
	s_or_b32 exec_lo, exec_lo, s18
	global_load_dwordx2 v[16:17], v[16:17], off offset:512
	v_mov_b32_e32 v57, 0
	v_mov_b32_e32 v56, 0
	s_waitcnt vmcnt(0)
	v_cmp_ne_u16_sdwa s0, v16, v10 src0_sel:BYTE_0 src1_sel:DWORD
	s_and_saveexec_b32 s18, s0
	s_cbranch_execz .LBB334_365
; %bb.360:                              ;   in Loop: Header=BB334_234 Depth=1
	v_cmp_ne_u16_sdwa s0, v16, v29 src0_sel:BYTE_0 src1_sel:DWORD
	v_bfrev_b32_e32 v56, 1
	s_and_saveexec_b32 s21, s0
	s_cbranch_execz .LBB334_364
; %bb.361:                              ;   in Loop: Header=BB334_234 Depth=1
	v_and_b32_e32 v9, 0x7f, v16
	v_mov_b32_e32 v56, 0x7f800001
	s_mov_b32 s22, exec_lo
	v_cmpx_ne_u32_e32 0x7f, v9
	s_cbranch_execz .LBB334_363
; %bb.362:                              ;   in Loop: Header=BB334_234 Depth=1
	v_and_b32_e32 v18, 7, v16
	v_lshrrev_b32_e32 v19, 3, v9
	v_cmp_gt_u32_e64 s0, 8, v9
	v_ffbh_u32_e32 v18, v18
	v_min_u32_e32 v18, 32, v18
	v_subrev_nc_u32_e32 v56, 28, v18
	v_sub_nc_u32_e32 v18, 29, v18
	v_cndmask_b32_e64 v9, v19, v18, s0
	v_cndmask_b32_e64 v18, 0, v56, s0
	v_lshl_add_u32 v9, v9, 23, 0x3c000000
	v_lshlrev_b64 v[18:19], v18, v[16:17]
	v_lshlrev_b32_e32 v19, 24, v16
	v_lshlrev_b32_e32 v18, 20, v18
	v_and_b32_e32 v19, 0x80000000, v19
	v_and_b32_e32 v18, 0x700000, v18
	v_or3_b32 v56, v18, v19, v9
.LBB334_363:                            ;   in Loop: Header=BB334_234 Depth=1
	s_or_b32 exec_lo, exec_lo, s22
.LBB334_364:                            ;   in Loop: Header=BB334_234 Depth=1
	s_or_b32 exec_lo, exec_lo, s21
.LBB334_365:                            ;   in Loop: Header=BB334_234 Depth=1
	s_or_b32 exec_lo, exec_lo, s18
	v_cmp_ne_u16_sdwa s0, v16, v10 src0_sel:BYTE_1 src1_sel:DWORD
	s_and_saveexec_b32 s18, s0
	s_cbranch_execz .LBB334_373
; %bb.366:                              ;   in Loop: Header=BB334_234 Depth=1
	v_cmp_ne_u16_sdwa s0, v16, v29 src0_sel:BYTE_1 src1_sel:DWORD
	v_bfrev_b32_e32 v57, 1
	s_and_saveexec_b32 s21, s0
	s_cbranch_execz .LBB334_372
; %bb.367:                              ;   in Loop: Header=BB334_234 Depth=1
	v_and_b32_sdwa v9, v30, v16 dst_sel:DWORD dst_unused:UNUSED_PAD src0_sel:DWORD src1_sel:BYTE_1
	v_mov_b32_e32 v57, 0x7f800001
	s_mov_b32 s22, exec_lo
	v_and_b32_e32 v19, 0x7f, v9
	v_cmpx_ne_u32_e32 0x7f, v19
	s_cbranch_execz .LBB334_371
; %bb.368:                              ;   in Loop: Header=BB334_234 Depth=1
	v_and_b32_e32 v9, 7, v9
	v_lshrrev_b32_e32 v18, 3, v19
	s_mov_b32 s24, exec_lo
	v_cmpx_gt_u32_e32 8, v19
; %bb.369:                              ;   in Loop: Header=BB334_234 Depth=1
	v_ffbh_u32_e32 v18, v9
	v_min_u32_e32 v18, 32, v18
	v_subrev_nc_u32_e32 v19, 28, v18
	v_sub_nc_u32_e32 v18, 29, v18
	v_lshlrev_b64 v[57:58], v19, v[9:10]
	v_and_b32_e32 v9, 7, v57
; %bb.370:                              ;   in Loop: Header=BB334_234 Depth=1
	s_or_b32 exec_lo, exec_lo, s24
	v_lshlrev_b32_e32 v19, 16, v16
	v_lshlrev_b32_e32 v9, 20, v9
	v_lshl_add_u32 v18, v18, 23, 0x3c000000
	v_and_b32_e32 v19, 0x80000000, v19
	v_or3_b32 v57, v9, v19, v18
.LBB334_371:                            ;   in Loop: Header=BB334_234 Depth=1
	s_or_b32 exec_lo, exec_lo, s22
.LBB334_372:                            ;   in Loop: Header=BB334_234 Depth=1
	s_or_b32 exec_lo, exec_lo, s21
.LBB334_373:                            ;   in Loop: Header=BB334_234 Depth=1
	s_or_b32 exec_lo, exec_lo, s18
	v_and_b32_sdwa v9, v16, v31 dst_sel:DWORD dst_unused:UNUSED_PAD src0_sel:WORD_1 src1_sel:DWORD
	v_mov_b32_e32 v59, 0
	v_mov_b32_e32 v58, 0
	s_mov_b32 s18, exec_lo
	v_cmpx_ne_u16_e32 0, v9
	s_cbranch_execz .LBB334_381
; %bb.374:                              ;   in Loop: Header=BB334_234 Depth=1
	v_bfrev_b32_e32 v58, 1
	s_mov_b32 s21, exec_lo
	v_cmpx_ne_u16_e32 0x80, v9
	s_cbranch_execz .LBB334_380
; %bb.375:                              ;   in Loop: Header=BB334_234 Depth=1
	v_bfe_u32 v19, v16, 16, 7
	v_mov_b32_e32 v58, 0x7f800001
	s_mov_b32 s22, exec_lo
	v_cmpx_ne_u32_e32 0x7f, v19
	s_cbranch_execz .LBB334_379
; %bb.376:                              ;   in Loop: Header=BB334_234 Depth=1
	v_and_b32_sdwa v9, v16, v32 dst_sel:DWORD dst_unused:UNUSED_PAD src0_sel:WORD_1 src1_sel:DWORD
	v_lshrrev_b32_e32 v18, 3, v19
	s_mov_b32 s24, exec_lo
	v_cmpx_gt_u32_e32 8, v19
; %bb.377:                              ;   in Loop: Header=BB334_234 Depth=1
	v_ffbh_u32_e32 v18, v9
	v_min_u32_e32 v18, 32, v18
	v_subrev_nc_u32_e32 v19, 28, v18
	v_sub_nc_u32_e32 v18, 29, v18
	v_lshlrev_b64 v[60:61], v19, v[9:10]
	v_and_b32_e32 v9, 7, v60
; %bb.378:                              ;   in Loop: Header=BB334_234 Depth=1
	s_or_b32 exec_lo, exec_lo, s24
	v_lshlrev_b32_sdwa v19, v33, v16 dst_sel:DWORD dst_unused:UNUSED_PAD src0_sel:DWORD src1_sel:WORD_1
	v_lshlrev_b32_e32 v9, 20, v9
	v_lshl_add_u32 v18, v18, 23, 0x3c000000
	v_and_b32_e32 v19, 0x80000000, v19
	v_or3_b32 v58, v9, v19, v18
.LBB334_379:                            ;   in Loop: Header=BB334_234 Depth=1
	s_or_b32 exec_lo, exec_lo, s22
.LBB334_380:                            ;   in Loop: Header=BB334_234 Depth=1
	s_or_b32 exec_lo, exec_lo, s21
.LBB334_381:                            ;   in Loop: Header=BB334_234 Depth=1
	s_or_b32 exec_lo, exec_lo, s18
	s_mov_b32 s18, exec_lo
	v_cmpx_lt_u32_e32 0xffffff, v16
	s_cbranch_execz .LBB334_389
; %bb.382:                              ;   in Loop: Header=BB334_234 Depth=1
	v_cmp_ne_u32_sdwa s0, v16, v29 src0_sel:BYTE_3 src1_sel:DWORD
	v_bfrev_b32_e32 v59, 1
	s_and_saveexec_b32 s21, s0
	s_cbranch_execz .LBB334_388
; %bb.383:                              ;   in Loop: Header=BB334_234 Depth=1
	v_bfe_u32 v19, v16, 24, 7
	v_mov_b32_e32 v59, 0x7f800001
	s_mov_b32 s22, exec_lo
	v_cmpx_ne_u32_e32 0x7f, v19
	s_cbranch_execz .LBB334_387
; %bb.384:                              ;   in Loop: Header=BB334_234 Depth=1
	v_and_b32_sdwa v9, v16, v32 dst_sel:DWORD dst_unused:UNUSED_PAD src0_sel:BYTE_3 src1_sel:DWORD
	v_lshrrev_b32_e32 v18, 3, v19
	s_mov_b32 s24, exec_lo
	v_cmpx_gt_u32_e32 8, v19
; %bb.385:                              ;   in Loop: Header=BB334_234 Depth=1
	v_ffbh_u32_e32 v18, v9
	v_min_u32_e32 v18, 32, v18
	v_subrev_nc_u32_e32 v19, 28, v18
	v_sub_nc_u32_e32 v18, 29, v18
	v_lshlrev_b64 v[59:60], v19, v[9:10]
	v_and_b32_e32 v9, 7, v59
; %bb.386:                              ;   in Loop: Header=BB334_234 Depth=1
	s_or_b32 exec_lo, exec_lo, s24
	v_lshlrev_b32_sdwa v19, v33, v16 dst_sel:DWORD dst_unused:UNUSED_PAD src0_sel:DWORD src1_sel:BYTE_3
	v_lshlrev_b32_e32 v9, 20, v9
	v_lshl_add_u32 v18, v18, 23, 0x3c000000
	v_and_b32_e32 v19, 0x80000000, v19
	v_or3_b32 v59, v9, v19, v18
.LBB334_387:                            ;   in Loop: Header=BB334_234 Depth=1
	s_or_b32 exec_lo, exec_lo, s22
.LBB334_388:                            ;   in Loop: Header=BB334_234 Depth=1
	s_or_b32 exec_lo, exec_lo, s21
.LBB334_389:                            ;   in Loop: Header=BB334_234 Depth=1
	s_or_b32 exec_lo, exec_lo, s18
	v_mov_b32_e32 v9, v17
	v_cmp_ne_u16_sdwa s0, v17, v10 src0_sel:BYTE_0 src1_sel:DWORD
	v_mov_b32_e32 v18, 0
	v_mov_b32_e32 v60, 0
	s_and_saveexec_b32 s18, s0
	s_cbranch_execz .LBB334_395
; %bb.390:                              ;   in Loop: Header=BB334_234 Depth=1
	v_cmp_ne_u16_sdwa s0, v17, v29 src0_sel:BYTE_0 src1_sel:DWORD
	v_bfrev_b32_e32 v60, 1
	s_and_saveexec_b32 s21, s0
	s_cbranch_execz .LBB334_394
; %bb.391:                              ;   in Loop: Header=BB334_234 Depth=1
	v_and_b32_e32 v19, 0x7f, v17
	v_mov_b32_e32 v60, 0x7f800001
	s_mov_b32 s22, exec_lo
	v_cmpx_ne_u32_e32 0x7f, v19
	s_cbranch_execz .LBB334_393
; %bb.392:                              ;   in Loop: Header=BB334_234 Depth=1
	v_and_b32_e32 v60, 7, v17
	v_lshrrev_b32_e32 v61, 3, v19
	v_cmp_gt_u32_e64 s0, 8, v19
	v_ffbh_u32_e32 v60, v60
	v_min_u32_e32 v60, 32, v60
	v_subrev_nc_u32_e32 v62, 28, v60
	v_sub_nc_u32_e32 v60, 29, v60
	v_cndmask_b32_e64 v19, v61, v60, s0
	v_cndmask_b32_e64 v60, 0, v62, s0
	v_lshl_add_u32 v19, v19, 23, 0x3c000000
	v_lshlrev_b64 v[60:61], v60, v[9:10]
	v_lshlrev_b32_e32 v61, 24, v9
	v_lshlrev_b32_e32 v60, 20, v60
	v_and_b32_e32 v61, 0x80000000, v61
	v_and_b32_e32 v60, 0x700000, v60
	v_or3_b32 v60, v60, v61, v19
.LBB334_393:                            ;   in Loop: Header=BB334_234 Depth=1
	s_or_b32 exec_lo, exec_lo, s22
.LBB334_394:                            ;   in Loop: Header=BB334_234 Depth=1
	s_or_b32 exec_lo, exec_lo, s21
.LBB334_395:                            ;   in Loop: Header=BB334_234 Depth=1
	s_or_b32 exec_lo, exec_lo, s18
	v_cmp_ne_u16_sdwa s0, v9, v10 src0_sel:BYTE_1 src1_sel:DWORD
	s_and_saveexec_b32 s18, s0
	s_cbranch_execz .LBB334_403
; %bb.396:                              ;   in Loop: Header=BB334_234 Depth=1
	v_cmp_ne_u16_sdwa s0, v9, v29 src0_sel:BYTE_1 src1_sel:DWORD
	v_bfrev_b32_e32 v18, 1
	s_and_saveexec_b32 s21, s0
	s_cbranch_execz .LBB334_402
; %bb.397:                              ;   in Loop: Header=BB334_234 Depth=1
	v_and_b32_sdwa v19, v30, v9 dst_sel:DWORD dst_unused:UNUSED_PAD src0_sel:DWORD src1_sel:BYTE_1
	v_mov_b32_e32 v18, 0x7f800001
	s_mov_b32 s22, exec_lo
	v_and_b32_e32 v62, 0x7f, v19
	v_cmpx_ne_u32_e32 0x7f, v62
	s_cbranch_execz .LBB334_401
; %bb.398:                              ;   in Loop: Header=BB334_234 Depth=1
	v_and_b32_e32 v18, 7, v19
	v_mov_b32_e32 v19, v10
	v_lshrrev_b32_e32 v61, 3, v62
	s_mov_b32 s24, exec_lo
	v_cmpx_gt_u32_e32 8, v62
; %bb.399:                              ;   in Loop: Header=BB334_234 Depth=1
	v_ffbh_u32_e32 v61, v18
	v_min_u32_e32 v61, 32, v61
	v_subrev_nc_u32_e32 v62, 28, v61
	v_sub_nc_u32_e32 v61, 29, v61
	v_lshlrev_b64 v[18:19], v62, v[18:19]
	v_and_b32_e32 v18, 7, v18
; %bb.400:                              ;   in Loop: Header=BB334_234 Depth=1
	s_or_b32 exec_lo, exec_lo, s24
	v_lshlrev_b32_e32 v9, 16, v9
	v_lshlrev_b32_e32 v18, 20, v18
	v_lshl_add_u32 v19, v61, 23, 0x3c000000
	v_and_b32_e32 v9, 0x80000000, v9
	v_or3_b32 v18, v18, v9, v19
.LBB334_401:                            ;   in Loop: Header=BB334_234 Depth=1
	s_or_b32 exec_lo, exec_lo, s22
.LBB334_402:                            ;   in Loop: Header=BB334_234 Depth=1
	s_or_b32 exec_lo, exec_lo, s21
.LBB334_403:                            ;   in Loop: Header=BB334_234 Depth=1
	s_or_b32 exec_lo, exec_lo, s18
	v_and_b32_sdwa v9, v17, v31 dst_sel:DWORD dst_unused:UNUSED_PAD src0_sel:WORD_1 src1_sel:DWORD
	v_mov_b32_e32 v19, 0
	v_mov_b32_e32 v61, 0
	s_mov_b32 s18, exec_lo
	v_cmpx_ne_u16_e32 0, v9
	s_cbranch_execz .LBB334_411
; %bb.404:                              ;   in Loop: Header=BB334_234 Depth=1
	v_bfrev_b32_e32 v61, 1
	s_mov_b32 s21, exec_lo
	v_cmpx_ne_u16_e32 0x80, v9
	s_cbranch_execz .LBB334_410
; %bb.405:                              ;   in Loop: Header=BB334_234 Depth=1
	v_bfe_u32 v62, v17, 16, 7
	v_mov_b32_e32 v61, 0x7f800001
	s_mov_b32 s22, exec_lo
	v_cmpx_ne_u32_e32 0x7f, v62
	s_cbranch_execz .LBB334_409
; %bb.406:                              ;   in Loop: Header=BB334_234 Depth=1
	v_and_b32_sdwa v9, v17, v32 dst_sel:DWORD dst_unused:UNUSED_PAD src0_sel:WORD_1 src1_sel:DWORD
	v_lshrrev_b32_e32 v61, 3, v62
	s_mov_b32 s24, exec_lo
	v_cmpx_gt_u32_e32 8, v62
; %bb.407:                              ;   in Loop: Header=BB334_234 Depth=1
	v_ffbh_u32_e32 v61, v9
	v_min_u32_e32 v61, 32, v61
	v_subrev_nc_u32_e32 v62, 28, v61
	v_sub_nc_u32_e32 v61, 29, v61
	v_lshlrev_b64 v[62:63], v62, v[9:10]
	v_and_b32_e32 v9, 7, v62
; %bb.408:                              ;   in Loop: Header=BB334_234 Depth=1
	s_or_b32 exec_lo, exec_lo, s24
	v_lshlrev_b32_sdwa v62, v33, v17 dst_sel:DWORD dst_unused:UNUSED_PAD src0_sel:DWORD src1_sel:WORD_1
	v_lshlrev_b32_e32 v9, 20, v9
	v_lshl_add_u32 v61, v61, 23, 0x3c000000
	v_and_b32_e32 v62, 0x80000000, v62
	v_or3_b32 v61, v9, v62, v61
.LBB334_409:                            ;   in Loop: Header=BB334_234 Depth=1
	s_or_b32 exec_lo, exec_lo, s22
.LBB334_410:                            ;   in Loop: Header=BB334_234 Depth=1
	s_or_b32 exec_lo, exec_lo, s21
.LBB334_411:                            ;   in Loop: Header=BB334_234 Depth=1
	s_or_b32 exec_lo, exec_lo, s18
	s_mov_b32 s18, exec_lo
	v_cmpx_lt_u64_e64 s[4:5], v[16:17]
	s_cbranch_execz .LBB334_419
; %bb.412:                              ;   in Loop: Header=BB334_234 Depth=1
	v_cmp_ne_u32_sdwa s0, v17, v29 src0_sel:BYTE_3 src1_sel:DWORD
	v_bfrev_b32_e32 v19, 1
	s_and_saveexec_b32 s21, s0
	s_cbranch_execz .LBB334_418
; %bb.413:                              ;   in Loop: Header=BB334_234 Depth=1
	v_bfe_u32 v62, v17, 24, 7
	v_mov_b32_e32 v19, 0x7f800001
	s_mov_b32 s22, exec_lo
	v_cmpx_ne_u32_e32 0x7f, v62
	s_cbranch_execz .LBB334_417
; %bb.414:                              ;   in Loop: Header=BB334_234 Depth=1
	v_and_b32_sdwa v9, v17, v32 dst_sel:DWORD dst_unused:UNUSED_PAD src0_sel:BYTE_3 src1_sel:DWORD
	v_lshrrev_b32_e32 v16, 3, v62
	s_mov_b32 s24, exec_lo
	v_cmpx_gt_u32_e32 8, v62
; %bb.415:                              ;   in Loop: Header=BB334_234 Depth=1
	v_ffbh_u32_e32 v16, v9
	v_min_u32_e32 v16, 32, v16
	v_subrev_nc_u32_e32 v19, 28, v16
	v_sub_nc_u32_e32 v16, 29, v16
	v_lshlrev_b64 v[62:63], v19, v[9:10]
	v_and_b32_e32 v9, 7, v62
; %bb.416:                              ;   in Loop: Header=BB334_234 Depth=1
	s_or_b32 exec_lo, exec_lo, s24
	v_lshlrev_b32_sdwa v17, v33, v17 dst_sel:DWORD dst_unused:UNUSED_PAD src0_sel:DWORD src1_sel:BYTE_3
	v_lshlrev_b32_e32 v9, 20, v9
	v_lshl_add_u32 v16, v16, 23, 0x3c000000
	v_and_b32_e32 v17, 0x80000000, v17
	v_or3_b32 v19, v9, v17, v16
.LBB334_417:                            ;   in Loop: Header=BB334_234 Depth=1
	s_or_b32 exec_lo, exec_lo, s22
.LBB334_418:                            ;   in Loop: Header=BB334_234 Depth=1
	s_or_b32 exec_lo, exec_lo, s21
.LBB334_419:                            ;   in Loop: Header=BB334_234 Depth=1
	s_or_b32 exec_lo, exec_lo, s18
	v_mul_f32_e32 v9, s17, v18
	v_mul_f32_e32 v16, s17, v60
	;; [unrolled: 1-line block ×5, first 2 shown]
	v_bfe_u32 v18, v9, 16, 1
	v_or_b32_e32 v59, 0x400000, v9
	v_bfe_u32 v60, v16, 16, 1
	v_cmp_u_f32_e64 s0, v9, v9
	v_or_b32_e32 v62, 0x400000, v16
	v_add3_u32 v18, v18, v9, 0x7fff
	v_bfe_u32 v63, v17, 16, 1
	v_add3_u32 v60, v60, v16, 0x7fff
	v_or_b32_e32 v64, 0x400000, v17
	v_bfe_u32 v65, v58, 16, 1
	v_cndmask_b32_e64 v9, v18, v59, s0
	v_cmp_u_f32_e64 s0, v16, v16
	v_add3_u32 v63, v63, v17, 0x7fff
	v_mul_f32_e32 v56, s17, v56
	v_add3_u32 v59, v65, v58, 0x7fff
	v_lshrrev_b32_e32 v16, 16, v9
	v_cndmask_b32_e64 v18, v60, v62, s0
	v_cmp_u_f32_e64 s0, v17, v17
	v_or_b32_e32 v60, 0x400000, v58
	v_mul_f32_e32 v19, s17, v19
	v_lshrrev_b32_e32 v9, 16, v18
	v_cndmask_b32_e64 v17, v63, v64, s0
	v_cmp_u_f32_e64 s0, v58, v58
	v_or_b32_e32 v64, 0x400000, v19
	v_lshrrev_b32_e32 v18, 16, v17
	v_bfe_u32 v17, v57, 16, 1
	v_cndmask_b32_e64 v58, v59, v60, s0
	v_mul_f32_e32 v59, s17, v61
	v_or_b32_e32 v60, 0x400000, v57
	v_bfe_u32 v61, v56, 16, 1
	v_add3_u32 v17, v17, v57, 0x7fff
	v_cmp_u_f32_e64 s0, v57, v57
	v_bfe_u32 v62, v59, 16, 1
	v_bfe_u32 v57, v19, 16, 1
	v_or_b32_e32 v63, 0x400000, v59
	v_cndmask_b32_e64 v17, v17, v60, s0
	v_add3_u32 v60, v61, v56, 0x7fff
	v_or_b32_e32 v61, 0x400000, v56
	v_cmp_u_f32_e64 s0, v56, v56
	v_add3_u32 v62, v62, v59, 0x7fff
	v_add3_u32 v57, v57, v19, 0x7fff
	v_lshrrev_b32_e32 v56, 16, v58
	v_lshrrev_b32_e32 v58, 16, v17
	v_cndmask_b32_e64 v60, v60, v61, s0
	v_cmp_u_f32_e64 s0, v59, v59
	v_cndmask_b32_e64 v59, v62, v63, s0
	v_cmp_u_f32_e64 s0, v19, v19
	v_lshrrev_b32_e32 v17, 16, v59
	v_cndmask_b32_e64 v19, v57, v64, s0
	v_lshrrev_b32_e32 v57, 16, v60
	v_lshrrev_b32_e32 v19, 16, v19
	s_and_saveexec_b32 s0, vcc_lo
	s_cbranch_execz .LBB334_232
; %bb.420:                              ;   in Loop: Header=BB334_234 Depth=1
	v_cmp_gt_i32_e32 vcc_lo, s31, v24
	v_cndmask_b32_e32 v57, 0, v57, vcc_lo
	v_cmp_gt_i32_e32 vcc_lo, s31, v49
	v_cndmask_b32_e32 v58, 0, v58, vcc_lo
	;; [unrolled: 2-line block ×8, first 2 shown]
	s_branch .LBB334_232
.LBB334_421:
	s_or_b32 exec_lo, exec_lo, s12
.LBB334_422:
	s_or_b32 exec_lo, exec_lo, s1
	v_lshl_add_u32 v2, v22, 2, 0xe0
	v_and_b32_e32 v3, 0x3c0, v0
	s_mov_b32 s0, exec_lo
	s_waitcnt_vscnt null, 0x0
	s_barrier
	v_mad_u32_u24 v1, 0x180, v23, v2
	buffer_gl0_inv
	v_cmpx_eq_u32_e32 64, v3
	s_cbranch_execz .LBB334_424
; %bb.423:
	v_add_nc_u32_e32 v3, 0xfffffd00, v1
	v_add_nc_u32_e32 v4, 0xfffffd80, v1
	;; [unrolled: 1-line block ×3, first 2 shown]
	ds_write_b32 v3, v27
	ds_write_b32 v4, v26
	;; [unrolled: 1-line block ×3, first 2 shown]
.LBB334_424:
	s_or_b32 exec_lo, exec_lo, s0
	s_mov_b32 s0, exec_lo
	s_waitcnt lgkmcnt(0)
	s_barrier
	buffer_gl0_inv
	v_cmpx_gt_u32_e32 64, v0
	s_cbranch_execz .LBB334_426
; %bb.425:
	ds_read2_b32 v[3:4], v1 offset1:32
	ds_read_b32 v5, v1 offset:256
	s_waitcnt lgkmcnt(1)
	v_add_f32_e32 v27, v27, v3
	v_add_f32_e32 v26, v26, v4
	s_waitcnt lgkmcnt(0)
	v_add_f32_e32 v25, v25, v5
.LBB334_426:
	s_or_b32 exec_lo, exec_lo, s0
	v_and_b32_e32 v3, 0x3e0, v0
	s_mov_b32 s0, exec_lo
	s_barrier
	buffer_gl0_inv
	v_cmpx_eq_u32_e32 32, v3
	s_cbranch_execz .LBB334_428
; %bb.427:
	ds_write2_b32 v2, v27, v26 offset1:32
	ds_write_b32 v2, v25 offset:256
.LBB334_428:
	s_or_b32 exec_lo, exec_lo, s0
	v_cmp_gt_u32_e32 vcc_lo, 32, v0
	s_waitcnt lgkmcnt(0)
	s_barrier
	buffer_gl0_inv
	s_and_saveexec_b32 s0, vcc_lo
	s_cbranch_execz .LBB334_430
; %bb.429:
	ds_read2_b32 v[2:3], v1 offset1:32
	ds_read_b32 v1, v1 offset:256
	s_waitcnt lgkmcnt(1)
	v_add_f32_e32 v27, v27, v2
	v_add_f32_e32 v26, v26, v3
	s_waitcnt lgkmcnt(0)
	v_add_f32_e32 v25, v25, v1
.LBB334_430:
	s_or_b32 exec_lo, exec_lo, s0
	s_barrier
	buffer_gl0_inv
	s_and_saveexec_b32 s0, vcc_lo
	s_cbranch_execz .LBB334_432
; %bb.431:
	v_bfe_u32 v1, v27, 16, 1
	s_mul_i32 s0, s2, 0x60
	v_bfe_u32 v2, v26, 16, 1
	v_or_b32_e32 v4, 0x400000, v27
	v_cmp_u_f32_e32 vcc_lo, v27, v27
	v_add3_u32 v1, v1, v27, 0x7fff
	s_ashr_i32 s1, s0, 31
	s_mul_i32 s2, s7, s10
	s_lshl_b64 s[0:1], s[0:1], 1
	v_bfe_u32 v3, v25, 16, 1
	s_add_u32 s4, s28, s0
	v_add3_u32 v2, v2, v26, 0x7fff
	v_or_b32_e32 v5, 0x400000, v26
	v_cndmask_b32_e32 v1, v1, v4, vcc_lo
	v_cmp_u_f32_e32 vcc_lo, v26, v26
	s_addc_u32 s1, s29, s1
	s_ashr_i32 s3, s2, 31
	s_mul_i32 s0, s8, 0x60
	s_lshl_b64 s[2:3], s[2:3], 1
	v_add3_u32 v3, v3, v25, 0x7fff
	s_add_u32 s2, s4, s2
	v_or_b32_e32 v6, 0x400000, v25
	v_cndmask_b32_e32 v2, v2, v5, vcc_lo
	v_cmp_u_f32_e32 vcc_lo, v25, v25
	s_addc_u32 s3, s1, s3
	s_ashr_i32 s1, s0, 31
	v_lshlrev_b32_e32 v0, 1, v0
	s_lshl_b64 s[0:1], s[0:1], 1
	v_cndmask_b32_e32 v3, v3, v6, vcc_lo
	s_add_u32 s0, s2, s0
	s_addc_u32 s1, s3, s1
	global_store_short_d16_hi v0, v1, s[0:1]
	global_store_short_d16_hi v0, v2, s[0:1] offset:64
	global_store_short_d16_hi v0, v3, s[0:1] offset:128
.LBB334_432:
	s_endpgm
	.section	.rodata,"a",@progbits
	.p2align	6, 0x0
	.amdhsa_kernel _ZN4vllm25paged_attention_v2_kernelI14__hip_bfloat16hLi96ELi8ELi128ELNS_18Fp8KVCacheDataTypeE1ELb1ELi512EEEvPfS3_PT_PKS4_PKT0_SA_ifPKiSC_iPKfiiiSE_SE_iiiii
		.amdhsa_group_segment_fixed_size 224
		.amdhsa_private_segment_fixed_size 0
		.amdhsa_kernarg_size 400
		.amdhsa_user_sgpr_count 6
		.amdhsa_user_sgpr_private_segment_buffer 1
		.amdhsa_user_sgpr_dispatch_ptr 0
		.amdhsa_user_sgpr_queue_ptr 0
		.amdhsa_user_sgpr_kernarg_segment_ptr 1
		.amdhsa_user_sgpr_dispatch_id 0
		.amdhsa_user_sgpr_flat_scratch_init 0
		.amdhsa_user_sgpr_private_segment_size 0
		.amdhsa_wavefront_size32 1
		.amdhsa_uses_dynamic_stack 0
		.amdhsa_system_sgpr_private_segment_wavefront_offset 0
		.amdhsa_system_sgpr_workgroup_id_x 1
		.amdhsa_system_sgpr_workgroup_id_y 1
		.amdhsa_system_sgpr_workgroup_id_z 1
		.amdhsa_system_sgpr_workgroup_info 0
		.amdhsa_system_vgpr_workitem_id 0
		.amdhsa_next_free_vgpr 70
		.amdhsa_next_free_sgpr 53
		.amdhsa_reserve_vcc 1
		.amdhsa_reserve_flat_scratch 0
		.amdhsa_float_round_mode_32 0
		.amdhsa_float_round_mode_16_64 0
		.amdhsa_float_denorm_mode_32 3
		.amdhsa_float_denorm_mode_16_64 3
		.amdhsa_dx10_clamp 1
		.amdhsa_ieee_mode 1
		.amdhsa_fp16_overflow 0
		.amdhsa_workgroup_processor_mode 1
		.amdhsa_memory_ordered 1
		.amdhsa_forward_progress 1
		.amdhsa_shared_vgpr_count 0
		.amdhsa_exception_fp_ieee_invalid_op 0
		.amdhsa_exception_fp_denorm_src 0
		.amdhsa_exception_fp_ieee_div_zero 0
		.amdhsa_exception_fp_ieee_overflow 0
		.amdhsa_exception_fp_ieee_underflow 0
		.amdhsa_exception_fp_ieee_inexact 0
		.amdhsa_exception_int_div_zero 0
	.end_amdhsa_kernel
	.section	.text._ZN4vllm25paged_attention_v2_kernelI14__hip_bfloat16hLi96ELi8ELi128ELNS_18Fp8KVCacheDataTypeE1ELb1ELi512EEEvPfS3_PT_PKS4_PKT0_SA_ifPKiSC_iPKfiiiSE_SE_iiiii,"axG",@progbits,_ZN4vllm25paged_attention_v2_kernelI14__hip_bfloat16hLi96ELi8ELi128ELNS_18Fp8KVCacheDataTypeE1ELb1ELi512EEEvPfS3_PT_PKS4_PKT0_SA_ifPKiSC_iPKfiiiSE_SE_iiiii,comdat
.Lfunc_end334:
	.size	_ZN4vllm25paged_attention_v2_kernelI14__hip_bfloat16hLi96ELi8ELi128ELNS_18Fp8KVCacheDataTypeE1ELb1ELi512EEEvPfS3_PT_PKS4_PKT0_SA_ifPKiSC_iPKfiiiSE_SE_iiiii, .Lfunc_end334-_ZN4vllm25paged_attention_v2_kernelI14__hip_bfloat16hLi96ELi8ELi128ELNS_18Fp8KVCacheDataTypeE1ELb1ELi512EEEvPfS3_PT_PKS4_PKT0_SA_ifPKiSC_iPKfiiiSE_SE_iiiii
                                        ; -- End function
	.set _ZN4vllm25paged_attention_v2_kernelI14__hip_bfloat16hLi96ELi8ELi128ELNS_18Fp8KVCacheDataTypeE1ELb1ELi512EEEvPfS3_PT_PKS4_PKT0_SA_ifPKiSC_iPKfiiiSE_SE_iiiii.num_vgpr, 70
	.set _ZN4vllm25paged_attention_v2_kernelI14__hip_bfloat16hLi96ELi8ELi128ELNS_18Fp8KVCacheDataTypeE1ELb1ELi512EEEvPfS3_PT_PKS4_PKT0_SA_ifPKiSC_iPKfiiiSE_SE_iiiii.num_agpr, 0
	.set _ZN4vllm25paged_attention_v2_kernelI14__hip_bfloat16hLi96ELi8ELi128ELNS_18Fp8KVCacheDataTypeE1ELb1ELi512EEEvPfS3_PT_PKS4_PKT0_SA_ifPKiSC_iPKfiiiSE_SE_iiiii.numbered_sgpr, 53
	.set _ZN4vllm25paged_attention_v2_kernelI14__hip_bfloat16hLi96ELi8ELi128ELNS_18Fp8KVCacheDataTypeE1ELb1ELi512EEEvPfS3_PT_PKS4_PKT0_SA_ifPKiSC_iPKfiiiSE_SE_iiiii.num_named_barrier, 0
	.set _ZN4vllm25paged_attention_v2_kernelI14__hip_bfloat16hLi96ELi8ELi128ELNS_18Fp8KVCacheDataTypeE1ELb1ELi512EEEvPfS3_PT_PKS4_PKT0_SA_ifPKiSC_iPKfiiiSE_SE_iiiii.private_seg_size, 0
	.set _ZN4vllm25paged_attention_v2_kernelI14__hip_bfloat16hLi96ELi8ELi128ELNS_18Fp8KVCacheDataTypeE1ELb1ELi512EEEvPfS3_PT_PKS4_PKT0_SA_ifPKiSC_iPKfiiiSE_SE_iiiii.uses_vcc, 1
	.set _ZN4vllm25paged_attention_v2_kernelI14__hip_bfloat16hLi96ELi8ELi128ELNS_18Fp8KVCacheDataTypeE1ELb1ELi512EEEvPfS3_PT_PKS4_PKT0_SA_ifPKiSC_iPKfiiiSE_SE_iiiii.uses_flat_scratch, 0
	.set _ZN4vllm25paged_attention_v2_kernelI14__hip_bfloat16hLi96ELi8ELi128ELNS_18Fp8KVCacheDataTypeE1ELb1ELi512EEEvPfS3_PT_PKS4_PKT0_SA_ifPKiSC_iPKfiiiSE_SE_iiiii.has_dyn_sized_stack, 0
	.set _ZN4vllm25paged_attention_v2_kernelI14__hip_bfloat16hLi96ELi8ELi128ELNS_18Fp8KVCacheDataTypeE1ELb1ELi512EEEvPfS3_PT_PKS4_PKT0_SA_ifPKiSC_iPKfiiiSE_SE_iiiii.has_recursion, 0
	.set _ZN4vllm25paged_attention_v2_kernelI14__hip_bfloat16hLi96ELi8ELi128ELNS_18Fp8KVCacheDataTypeE1ELb1ELi512EEEvPfS3_PT_PKS4_PKT0_SA_ifPKiSC_iPKfiiiSE_SE_iiiii.has_indirect_call, 0
	.section	.AMDGPU.csdata,"",@progbits
; Kernel info:
; codeLenInByte = 17256
; TotalNumSgprs: 55
; NumVgprs: 70
; ScratchSize: 0
; MemoryBound: 0
; FloatMode: 240
; IeeeMode: 1
; LDSByteSize: 224 bytes/workgroup (compile time only)
; SGPRBlocks: 0
; VGPRBlocks: 8
; NumSGPRsForWavesPerEU: 55
; NumVGPRsForWavesPerEU: 70
; Occupancy: 12
; WaveLimiterHint : 1
; COMPUTE_PGM_RSRC2:SCRATCH_EN: 0
; COMPUTE_PGM_RSRC2:USER_SGPR: 6
; COMPUTE_PGM_RSRC2:TRAP_HANDLER: 0
; COMPUTE_PGM_RSRC2:TGID_X_EN: 1
; COMPUTE_PGM_RSRC2:TGID_Y_EN: 1
; COMPUTE_PGM_RSRC2:TGID_Z_EN: 1
; COMPUTE_PGM_RSRC2:TIDIG_COMP_CNT: 0
	.section	.text._ZN4vllm25paged_attention_v2_kernelI14__hip_bfloat16hLi112ELi8ELi128ELNS_18Fp8KVCacheDataTypeE1ELb1ELi512EEEvPfS3_PT_PKS4_PKT0_SA_ifPKiSC_iPKfiiiSE_SE_iiiii,"axG",@progbits,_ZN4vllm25paged_attention_v2_kernelI14__hip_bfloat16hLi112ELi8ELi128ELNS_18Fp8KVCacheDataTypeE1ELb1ELi512EEEvPfS3_PT_PKS4_PKT0_SA_ifPKiSC_iPKfiiiSE_SE_iiiii,comdat
	.protected	_ZN4vllm25paged_attention_v2_kernelI14__hip_bfloat16hLi112ELi8ELi128ELNS_18Fp8KVCacheDataTypeE1ELb1ELi512EEEvPfS3_PT_PKS4_PKT0_SA_ifPKiSC_iPKfiiiSE_SE_iiiii ; -- Begin function _ZN4vllm25paged_attention_v2_kernelI14__hip_bfloat16hLi112ELi8ELi128ELNS_18Fp8KVCacheDataTypeE1ELb1ELi512EEEvPfS3_PT_PKS4_PKT0_SA_ifPKiSC_iPKfiiiSE_SE_iiiii
	.globl	_ZN4vllm25paged_attention_v2_kernelI14__hip_bfloat16hLi112ELi8ELi128ELNS_18Fp8KVCacheDataTypeE1ELb1ELi512EEEvPfS3_PT_PKS4_PKT0_SA_ifPKiSC_iPKfiiiSE_SE_iiiii
	.p2align	8
	.type	_ZN4vllm25paged_attention_v2_kernelI14__hip_bfloat16hLi112ELi8ELi128ELNS_18Fp8KVCacheDataTypeE1ELb1ELi512EEEvPfS3_PT_PKS4_PKT0_SA_ifPKiSC_iPKfiiiSE_SE_iiiii,@function
_ZN4vllm25paged_attention_v2_kernelI14__hip_bfloat16hLi112ELi8ELi128ELNS_18Fp8KVCacheDataTypeE1ELb1ELi512EEEvPfS3_PT_PKS4_PKT0_SA_ifPKiSC_iPKfiiiSE_SE_iiiii: ; @_ZN4vllm25paged_attention_v2_kernelI14__hip_bfloat16hLi112ELi8ELi128ELNS_18Fp8KVCacheDataTypeE1ELb1ELi512EEEvPfS3_PT_PKS4_PKT0_SA_ifPKiSC_iPKfiiiSE_SE_iiiii
; %bb.0:
	s_load_dwordx2 s[0:1], s[4:5], 0x40
	s_mov_b32 s10, s7
	s_ashr_i32 s11, s7, 31
	s_lshl_b64 s[2:3], s[10:11], 2
	s_waitcnt lgkmcnt(0)
	s_add_u32 s0, s0, s2
	s_addc_u32 s1, s1, s3
	s_lshl_b32 s11, s8, 9
	s_load_dword s33, s[0:1], 0x0
	s_waitcnt lgkmcnt(0)
	s_cmp_ge_i32 s11, s33
	s_cbranch_scc1 .LBB335_535
; %bb.1:
	s_clause 0x1
	s_load_dword s9, s[4:5], 0x90
	s_load_dwordx2 s[40:41], s[4:5], 0x30
	s_mov_b32 s47, 0
	s_waitcnt lgkmcnt(0)
	s_abs_i32 s3, s9
	s_abs_i32 s0, s40
	v_cvt_f32_u32_e32 v1, s0
	s_sub_i32 s2, 0, s0
	v_rcp_iflag_f32_e32 v1, v1
	v_mul_f32_e32 v1, 0x4f7ffffe, v1
	v_cvt_u32_f32_e32 v1, v1
	v_readfirstlane_b32 s1, v1
	s_mul_i32 s2, s2, s1
	s_mul_hi_u32 s2, s1, s2
	s_add_i32 s1, s1, s2
	s_xor_b32 s2, s9, s40
	s_mul_hi_u32 s1, s3, s1
	s_ashr_i32 s2, s2, 31
	s_mul_i32 s7, s1, s0
	s_sub_i32 s3, s3, s7
	s_add_i32 s7, s1, 1
	s_sub_i32 s12, s3, s0
	s_cmp_ge_u32 s3, s0
	s_cselect_b32 s1, s7, s1
	s_cselect_b32 s3, s12, s3
	s_add_i32 s7, s1, 1
	s_cmp_ge_u32 s3, s0
	s_cselect_b32 s0, s7, s1
	s_xor_b32 s0, s0, s2
	s_sub_i32 s16, s0, s2
	s_load_dwordx2 s[0:1], s[4:5], 0x50
	s_abs_i32 s2, s16
	v_cvt_f32_u32_e32 v1, s2
	s_sub_i32 s3, 0, s2
	v_rcp_iflag_f32_e32 v1, v1
	v_mul_f32_e32 v1, 0x4f7ffffe, v1
	v_cvt_u32_f32_e32 v1, v1
	v_readfirstlane_b32 s7, v1
	s_mul_i32 s3, s3, s7
	s_mul_hi_u32 s12, s7, s3
	s_abs_i32 s3, s6
	s_add_i32 s7, s7, s12
	s_waitcnt lgkmcnt(0)
	s_cmp_eq_u64 s[0:1], 0
	s_mul_hi_u32 s20, s3, s7
	s_cbranch_scc1 .LBB335_3
; %bb.2:
	s_ashr_i32 s7, s6, 31
	s_lshl_b64 s[12:13], s[6:7], 2
	s_add_u32 s0, s0, s12
	s_addc_u32 s1, s1, s13
	s_load_dword s47, s[0:1], 0x0
.LBB335_3:
	s_load_dwordx4 s[12:15], s[4:5], 0x58
	v_and_b32_e32 v1, 3, v0
	s_ashr_i32 s0, s6, 31
	s_ashr_i32 s1, s16, 31
	s_mul_i32 s34, s6, 0x70
	s_mov_b32 s7, exec_lo
	v_cmpx_gt_u32_e32 56, v0
	s_cbranch_execz .LBB335_5
; %bb.4:
	s_load_dwordx2 s[16:17], s[4:5], 0x18
	s_waitcnt lgkmcnt(0)
	s_mul_i32 s18, s12, s10
	v_lshlrev_b32_e32 v2, 2, v0
	s_ashr_i32 s19, s18, 31
	v_and_b32_e32 v3, 0x3fc, v0
	s_lshl_b64 s[18:19], s[18:19], 1
	v_mad_u32_u24 v3, v1, 56, v3
	s_add_u32 s12, s16, s18
	s_addc_u32 s15, s17, s19
	s_ashr_i32 s35, s34, 31
	s_lshl_b64 s[16:17], s[34:35], 1
	s_add_u32 s16, s12, s16
	s_addc_u32 s17, s15, s17
	global_load_dword v2, v2, s[16:17]
	s_waitcnt vmcnt(0)
	ds_write_b32 v3, v2
.LBB335_5:
	s_or_b32 exec_lo, exec_lo, s7
	s_load_dwordx4 s[16:19], s[4:5], 0x78
	s_mul_i32 s7, s20, s2
	s_xor_b32 s0, s0, s1
	s_sub_i32 s1, s3, s7
	s_add_i32 s3, s20, 1
	s_sub_i32 s7, s1, s2
	s_cmp_ge_u32 s1, s2
	s_waitcnt lgkmcnt(0)
	s_mov_b32 s12, -1
	s_cselect_b32 s3, s3, s20
	s_cselect_b32 s1, s7, s1
	s_add_i32 s7, s3, 1
	s_cmp_ge_u32 s1, s2
	s_load_dword s2, s[4:5], 0x88
	s_cselect_b32 s1, s7, s3
	s_add_i32 s3, s33, -1
	s_xor_b32 s1, s1, s0
	s_waitcnt lgkmcnt(0)
	s_sub_i32 s7, s1, s0
	s_abs_i32 s1, s3
	s_barrier
	s_abs_i32 s42, s19
	buffer_gl0_inv
	v_cvt_f32_u32_e32 v2, s42
	s_sub_i32 s0, 0, s42
                                        ; implicit-def: $sgpr44
	v_rcp_iflag_f32_e32 v2, v2
	v_mul_f32_e32 v2, 0x4f7ffffe, v2
	v_cvt_u32_f32_e32 v2, v2
	v_readfirstlane_b32 s43, v2
	s_mul_i32 s0, s0, s43
	s_mul_hi_u32 s0, s43, s0
	s_add_i32 s43, s43, s0
	s_cmp_lt_i32 s2, 0
	s_mul_hi_u32 s0, s1, s43
	s_cbranch_scc0 .LBB335_7
; %bb.6:
	s_mul_i32 s12, s16, s40
	s_add_i32 s12, s7, s12
	s_mul_i32 s12, s12, s2
	s_sub_i32 s44, 1, s12
	s_mov_b32 s12, 0
.LBB335_7:
	s_load_dwordx2 s[24:25], s[4:5], 0x38
	s_ashr_i32 s3, s3, 31
	s_andn2_b32 vcc_lo, exec_lo, s12
	s_ashr_i32 s45, s19, 31
	s_cbranch_vccnz .LBB335_9
; %bb.8:
	s_mul_i32 s12, s9, s16
	s_add_i32 s12, s12, s6
	s_mul_i32 s2, s12, s2
	s_add_i32 s44, s2, 1
.LBB335_9:
	s_clause 0x5
	s_load_dword s2, s[4:5], 0x48
	s_load_dwordx2 s[38:39], s[4:5], 0x28
	s_load_dwordx4 s[20:23], s[4:5], 0x0
	s_load_dwordx2 s[36:37], s[4:5], 0x10
	s_load_dword s35, s[4:5], 0x98
	s_load_dwordx4 s[28:31], s[4:5], 0x68
	s_mul_i32 s12, s0, s42
	s_xor_b32 s3, s3, s45
	s_sub_i32 s1, s1, s12
	s_add_i32 s15, s0, 1
	v_lshrrev_b32_e32 v25, 5, v0
	v_mov_b32_e32 v28, 0xff7fffff
	v_mbcnt_lo_u32_b32 v27, -1, 0
	s_mul_i32 s7, s7, s14
	v_lshl_add_u32 v26, v25, 3, s11
	s_waitcnt lgkmcnt(0)
	s_mul_i32 s26, s2, s10
	s_sub_i32 s2, s1, s42
	s_ashr_i32 s27, s26, 31
	s_cmp_ge_u32 s1, s42
	s_cselect_b32 s0, s15, s0
	s_cselect_b32 s1, s2, s1
	s_add_i32 s2, s0, 1
	s_cmp_ge_u32 s1, s42
	s_cselect_b32 s0, s2, s0
	s_add_i32 s1, s33, 7
	s_lshl_b32 s15, s8, 6
	s_ashr_i32 s2, s1, 31
	v_or_b32_e32 v13, s15, v25
	s_lshr_b32 s2, s2, 29
	s_add_i32 s1, s1, s2
	s_add_i32 s2, s15, 64
	s_ashr_i32 s50, s1, 3
	s_xor_b32 s1, s0, s3
	s_min_i32 s46, s2, s50
	v_ashrrev_i32_e32 v14, 31, v13
	v_cmp_gt_i32_e64 s0, s46, v13
	s_sub_i32 s12, s1, s3
	s_and_saveexec_b32 s14, s0
	s_cbranch_execz .LBB335_245
; %bb.10:
	s_load_dwordx2 s[2:3], s[4:5], 0x20
	s_sub_i32 s4, s12, s17
	s_ashr_i32 s1, s7, 31
	v_bfe_u32 v29, v0, 2, 3
	v_cmp_eq_u32_e32 vcc_lo, 0, v1
	v_lshlrev_b32_e32 v4, 1, v1
	v_mul_u32_u24_e32 v30, 56, v1
	v_mov_b32_e32 v16, 0
	v_lshlrev_b32_e32 v5, 2, v29
	v_subrev_nc_u32_e32 v6, s33, v29
	v_lshlrev_b32_e32 v7, 4, v29
	v_lshl_add_u32 v31, v25, 3, s11
	v_mov_b32_e32 v32, 0xff7fffff
	v_lshl_or_b32 v5, v25, 5, v5
	v_add_nc_u32_e32 v35, 1, v6
	v_mov_b32_e32 v33, 0x80
	v_mov_b32_e32 v34, 0xffff
	;; [unrolled: 1-line block ×3, first 2 shown]
	v_add_nc_u32_e32 v36, 0x100, v5
	v_mov_b32_e32 v38, v13
	s_waitcnt lgkmcnt(0)
	s_add_u32 s16, s2, s7
	s_addc_u32 s19, s3, s1
	s_abs_i32 s5, s18
	v_add_co_u32 v6, s16, s16, v7
	v_cvt_f32_u32_e32 v2, s5
	s_sub_i32 s2, 0, s5
	v_add_co_ci_u32_e64 v7, null, s19, 0, s16
	v_cmp_neq_f32_e64 s1, s47, 0
	v_rcp_iflag_f32_e32 v3, v2
	v_lshlrev_b64 v[1:2], 2, v[13:14]
	s_mov_b32 s16, 0
	s_mov_b32 s19, s13
	v_mul_f32_e32 v3, 0x4f7ffffe, v3
	v_cvt_u32_f32_e32 v3, v3
	v_mul_lo_u32 v5, s2, v3
	s_lshl_b64 s[2:3], s[26:27], 2
	s_add_u32 s2, s24, s2
	s_addc_u32 s3, s25, s3
	v_add_co_u32 v17, s2, s2, v1
	v_add_co_ci_u32_e64 v18, null, s3, v2, s2
	v_mul_hi_u32 v5, v3, v5
	v_add_co_u32 v19, s2, v6, v4
	v_add_co_ci_u32_e64 v20, null, 0, v7, s2
	v_add_nc_u32_e32 v37, v3, v5
	s_branch .LBB335_13
.LBB335_11:                             ;   in Loop: Header=BB335_13 Depth=1
	s_or_b32 exec_lo, exec_lo, s40
.LBB335_12:                             ;   in Loop: Header=BB335_13 Depth=1
	s_or_b32 exec_lo, exec_lo, s3
	v_add_nc_u32_e32 v38, 4, v38
	v_add_co_u32 v17, s3, v17, 16
	v_add_co_ci_u32_e64 v18, null, 0, v18, s3
	v_cmp_le_i32_e64 s2, s46, v38
	v_add_nc_u32_e32 v31, 32, v31
	v_add_nc_u32_e32 v36, 0x80, v36
	s_or_b32 s16, s2, s16
	s_andn2_b32 exec_lo, exec_lo, s16
	s_cbranch_execz .LBB335_244
.LBB335_13:                             ; =>This Inner Loop Header: Depth=1
	v_sub_nc_u32_e32 v1, 0, v31
	v_max_i32_e32 v1, v31, v1
	s_waitcnt lgkmcnt(0)
	v_mul_hi_u32 v2, v1, s43
	v_mul_lo_u32 v3, v2, s42
	v_sub_nc_u32_e32 v1, v1, v3
	v_add_nc_u32_e32 v3, 1, v2
	v_subrev_nc_u32_e32 v4, s42, v1
	v_cmp_le_u32_e64 s2, s42, v1
	v_cndmask_b32_e64 v2, v2, v3, s2
	v_cndmask_b32_e64 v1, v1, v4, s2
	v_ashrrev_i32_e32 v3, 31, v31
	v_add_nc_u32_e32 v4, 1, v2
	v_cmp_le_u32_e64 s2, s42, v1
	v_xor_b32_e32 v3, s45, v3
	v_cndmask_b32_e64 v1, v2, v4, s2
	v_xor_b32_e32 v1, v1, v3
	v_sub_nc_u32_e32 v1, v1, v3
	v_add_nc_u32_e32 v2, s44, v1
	v_cmp_ge_i32_e64 s3, s4, v1
	v_sub_nc_u32_e32 v3, 0, v2
	v_max_i32_e32 v3, v2, v3
	v_ashrrev_i32_e32 v2, 31, v2
	v_mul_hi_u32 v4, v3, v37
	v_mul_lo_u32 v4, v4, s5
	v_sub_nc_u32_e32 v3, v3, v4
	v_subrev_nc_u32_e32 v4, s5, v3
	v_cmp_le_u32_e64 s2, s5, v3
	v_cndmask_b32_e64 v3, v3, v4, s2
	v_subrev_nc_u32_e32 v4, s5, v3
	v_cmp_le_u32_e64 s2, s5, v3
	v_cndmask_b32_e64 v3, v3, v4, s2
	v_xor_b32_e32 v3, v3, v2
	v_sub_nc_u32_e32 v2, v3, v2
	v_cmp_ne_u32_e64 s2, 0, v2
	s_and_b32 s2, s2, s3
	s_and_saveexec_b32 s3, s2
	s_xor_b32 s2, exec_lo, s3
	s_cbranch_execz .LBB335_17
; %bb.14:                               ;   in Loop: Header=BB335_13 Depth=1
	s_and_saveexec_b32 s3, vcc_lo
; %bb.15:                               ;   in Loop: Header=BB335_13 Depth=1
	ds_write_b32 v36, v32
; %bb.16:                               ;   in Loop: Header=BB335_13 Depth=1
	s_or_b32 exec_lo, exec_lo, s3
.LBB335_17:                             ;   in Loop: Header=BB335_13 Depth=1
	s_andn2_saveexec_b32 s3, s2
	s_cbranch_execz .LBB335_12
; %bb.18:                               ;   in Loop: Header=BB335_13 Depth=1
	global_load_dword v1, v[17:18], off
	v_mov_b32_e32 v40, 0
	v_mov_b32_e32 v39, 0
	s_waitcnt vmcnt(0)
	v_mad_i64_i32 v[23:24], null, v1, s19, v[19:20]
	global_load_ushort v15, v[23:24], off
	ds_read2_b64 v[9:12], v30 offset1:1
	ds_read2_b64 v[5:8], v30 offset0:2 offset1:3
	ds_read2_b64 v[1:4], v30 offset0:4 offset1:5
	ds_read_b64 v[21:22], v30 offset:48
	s_load_dword s40, s[28:29], 0x0
	s_waitcnt vmcnt(0)
	v_and_b32_e32 v41, 0xffff, v15
	v_cmp_ne_u16_sdwa s2, v15, v16 src0_sel:BYTE_0 src1_sel:DWORD
	s_and_saveexec_b32 s48, s2
	s_cbranch_execz .LBB335_26
; %bb.19:                               ;   in Loop: Header=BB335_13 Depth=1
	v_cmp_ne_u16_sdwa s2, v41, v33 src0_sel:BYTE_0 src1_sel:DWORD
	v_bfrev_b32_e32 v39, 1
	s_and_saveexec_b32 s49, s2
	s_cbranch_execz .LBB335_25
; %bb.20:                               ;   in Loop: Header=BB335_13 Depth=1
	v_and_b32_e32 v42, 0x7f, v41
	v_mov_b32_e32 v39, 0x7f800001
	s_mov_b32 s51, exec_lo
	v_cmpx_ne_u32_e32 0x7f, v42
	s_cbranch_execz .LBB335_24
; %bb.21:                               ;   in Loop: Header=BB335_13 Depth=1
	v_and_b32_e32 v15, 7, v41
	v_lshrrev_b32_e32 v39, 3, v42
	s_mov_b32 s52, exec_lo
	v_cmpx_gt_u32_e32 8, v42
; %bb.22:                               ;   in Loop: Header=BB335_13 Depth=1
	v_ffbh_u32_e32 v39, v15
	v_min_u32_e32 v39, 32, v39
	v_subrev_nc_u32_e32 v42, 28, v39
	v_sub_nc_u32_e32 v39, 29, v39
	v_lshlrev_b64 v[42:43], v42, v[15:16]
	v_and_b32_e32 v15, 7, v42
; %bb.23:                               ;   in Loop: Header=BB335_13 Depth=1
	s_or_b32 exec_lo, exec_lo, s52
	v_lshlrev_b32_e32 v42, 24, v41
	v_lshlrev_b32_e32 v15, 20, v15
	v_lshl_add_u32 v39, v39, 23, 0x3c000000
	v_and_b32_e32 v42, 0x80000000, v42
	v_or3_b32 v39, v15, v42, v39
.LBB335_24:                             ;   in Loop: Header=BB335_13 Depth=1
	s_or_b32 exec_lo, exec_lo, s51
.LBB335_25:                             ;   in Loop: Header=BB335_13 Depth=1
	s_or_b32 exec_lo, exec_lo, s49
.LBB335_26:                             ;   in Loop: Header=BB335_13 Depth=1
	s_or_b32 exec_lo, exec_lo, s48
	v_cmp_ne_u16_sdwa s2, v41, v16 src0_sel:BYTE_1 src1_sel:DWORD
	s_and_saveexec_b32 s48, s2
	s_cbranch_execz .LBB335_34
; %bb.27:                               ;   in Loop: Header=BB335_13 Depth=1
	v_cmp_ne_u16_sdwa s2, v41, v33 src0_sel:BYTE_1 src1_sel:DWORD
	v_bfrev_b32_e32 v40, 1
	s_and_saveexec_b32 s49, s2
	s_cbranch_execz .LBB335_33
; %bb.28:                               ;   in Loop: Header=BB335_13 Depth=1
	v_and_b32_sdwa v15, v34, v41 dst_sel:DWORD dst_unused:UNUSED_PAD src0_sel:DWORD src1_sel:BYTE_1
	v_mov_b32_e32 v40, 0x7f800001
	s_mov_b32 s51, exec_lo
	v_and_b32_e32 v42, 0x7f, v15
	v_cmpx_ne_u32_e32 0x7f, v42
	s_cbranch_execz .LBB335_32
; %bb.29:                               ;   in Loop: Header=BB335_13 Depth=1
	v_and_b32_e32 v15, 7, v15
	v_lshrrev_b32_e32 v40, 3, v42
	s_mov_b32 s52, exec_lo
	v_cmpx_gt_u32_e32 8, v42
; %bb.30:                               ;   in Loop: Header=BB335_13 Depth=1
	v_ffbh_u32_e32 v40, v15
	v_min_u32_e32 v40, 32, v40
	v_subrev_nc_u32_e32 v42, 28, v40
	v_sub_nc_u32_e32 v40, 29, v40
	v_lshlrev_b64 v[42:43], v42, v[15:16]
	v_and_b32_e32 v15, 7, v42
; %bb.31:                               ;   in Loop: Header=BB335_13 Depth=1
	s_or_b32 exec_lo, exec_lo, s52
	v_lshlrev_b32_e32 v41, 16, v41
	v_lshlrev_b32_e32 v15, 20, v15
	v_lshl_add_u32 v40, v40, 23, 0x3c000000
	v_and_b32_e32 v41, 0x80000000, v41
	v_or3_b32 v40, v15, v41, v40
.LBB335_32:                             ;   in Loop: Header=BB335_13 Depth=1
	s_or_b32 exec_lo, exec_lo, s51
.LBB335_33:                             ;   in Loop: Header=BB335_13 Depth=1
	s_or_b32 exec_lo, exec_lo, s49
.LBB335_34:                             ;   in Loop: Header=BB335_13 Depth=1
	s_or_b32 exec_lo, exec_lo, s48
	global_load_ushort v15, v[23:24], off offset:8
	v_mov_b32_e32 v42, 0
	v_mov_b32_e32 v41, 0
	s_waitcnt vmcnt(0)
	v_and_b32_e32 v43, 0xffff, v15
	v_cmp_ne_u16_sdwa s2, v15, v16 src0_sel:BYTE_0 src1_sel:DWORD
	s_and_saveexec_b32 s48, s2
	s_cbranch_execz .LBB335_42
; %bb.35:                               ;   in Loop: Header=BB335_13 Depth=1
	v_cmp_ne_u16_sdwa s2, v43, v33 src0_sel:BYTE_0 src1_sel:DWORD
	v_bfrev_b32_e32 v41, 1
	s_and_saveexec_b32 s49, s2
	s_cbranch_execz .LBB335_41
; %bb.36:                               ;   in Loop: Header=BB335_13 Depth=1
	v_and_b32_e32 v44, 0x7f, v43
	v_mov_b32_e32 v41, 0x7f800001
	s_mov_b32 s51, exec_lo
	v_cmpx_ne_u32_e32 0x7f, v44
	s_cbranch_execz .LBB335_40
; %bb.37:                               ;   in Loop: Header=BB335_13 Depth=1
	v_and_b32_e32 v15, 7, v43
	v_lshrrev_b32_e32 v41, 3, v44
	s_mov_b32 s52, exec_lo
	v_cmpx_gt_u32_e32 8, v44
; %bb.38:                               ;   in Loop: Header=BB335_13 Depth=1
	v_ffbh_u32_e32 v41, v15
	v_min_u32_e32 v41, 32, v41
	v_subrev_nc_u32_e32 v44, 28, v41
	v_sub_nc_u32_e32 v41, 29, v41
	v_lshlrev_b64 v[44:45], v44, v[15:16]
	v_and_b32_e32 v15, 7, v44
; %bb.39:                               ;   in Loop: Header=BB335_13 Depth=1
	s_or_b32 exec_lo, exec_lo, s52
	v_lshlrev_b32_e32 v44, 24, v43
	v_lshlrev_b32_e32 v15, 20, v15
	v_lshl_add_u32 v41, v41, 23, 0x3c000000
	v_and_b32_e32 v44, 0x80000000, v44
	v_or3_b32 v41, v15, v44, v41
.LBB335_40:                             ;   in Loop: Header=BB335_13 Depth=1
	s_or_b32 exec_lo, exec_lo, s51
.LBB335_41:                             ;   in Loop: Header=BB335_13 Depth=1
	s_or_b32 exec_lo, exec_lo, s49
.LBB335_42:                             ;   in Loop: Header=BB335_13 Depth=1
	s_or_b32 exec_lo, exec_lo, s48
	v_cmp_ne_u16_sdwa s2, v43, v16 src0_sel:BYTE_1 src1_sel:DWORD
	s_and_saveexec_b32 s48, s2
	s_cbranch_execz .LBB335_50
; %bb.43:                               ;   in Loop: Header=BB335_13 Depth=1
	v_cmp_ne_u16_sdwa s2, v43, v33 src0_sel:BYTE_1 src1_sel:DWORD
	v_bfrev_b32_e32 v42, 1
	s_and_saveexec_b32 s49, s2
	s_cbranch_execz .LBB335_49
; %bb.44:                               ;   in Loop: Header=BB335_13 Depth=1
	v_and_b32_sdwa v15, v34, v43 dst_sel:DWORD dst_unused:UNUSED_PAD src0_sel:DWORD src1_sel:BYTE_1
	v_mov_b32_e32 v42, 0x7f800001
	s_mov_b32 s51, exec_lo
	v_and_b32_e32 v44, 0x7f, v15
	v_cmpx_ne_u32_e32 0x7f, v44
	s_cbranch_execz .LBB335_48
; %bb.45:                               ;   in Loop: Header=BB335_13 Depth=1
	v_and_b32_e32 v15, 7, v15
	v_lshrrev_b32_e32 v42, 3, v44
	s_mov_b32 s52, exec_lo
	v_cmpx_gt_u32_e32 8, v44
; %bb.46:                               ;   in Loop: Header=BB335_13 Depth=1
	v_ffbh_u32_e32 v42, v15
	v_min_u32_e32 v42, 32, v42
	v_subrev_nc_u32_e32 v44, 28, v42
	v_sub_nc_u32_e32 v42, 29, v42
	v_lshlrev_b64 v[44:45], v44, v[15:16]
	v_and_b32_e32 v15, 7, v44
; %bb.47:                               ;   in Loop: Header=BB335_13 Depth=1
	s_or_b32 exec_lo, exec_lo, s52
	v_lshlrev_b32_e32 v43, 16, v43
	v_lshlrev_b32_e32 v15, 20, v15
	v_lshl_add_u32 v42, v42, 23, 0x3c000000
	v_and_b32_e32 v43, 0x80000000, v43
	v_or3_b32 v42, v15, v43, v42
.LBB335_48:                             ;   in Loop: Header=BB335_13 Depth=1
	s_or_b32 exec_lo, exec_lo, s51
.LBB335_49:                             ;   in Loop: Header=BB335_13 Depth=1
	s_or_b32 exec_lo, exec_lo, s49
.LBB335_50:                             ;   in Loop: Header=BB335_13 Depth=1
	s_or_b32 exec_lo, exec_lo, s48
	global_load_ushort v15, v[23:24], off offset:128
	v_mov_b32_e32 v44, 0
	v_mov_b32_e32 v43, 0
	s_waitcnt vmcnt(0)
	v_and_b32_e32 v45, 0xffff, v15
	v_cmp_ne_u16_sdwa s2, v15, v16 src0_sel:BYTE_0 src1_sel:DWORD
	s_and_saveexec_b32 s48, s2
	s_cbranch_execz .LBB335_58
; %bb.51:                               ;   in Loop: Header=BB335_13 Depth=1
	v_cmp_ne_u16_sdwa s2, v45, v33 src0_sel:BYTE_0 src1_sel:DWORD
	v_bfrev_b32_e32 v43, 1
	s_and_saveexec_b32 s49, s2
	s_cbranch_execz .LBB335_57
; %bb.52:                               ;   in Loop: Header=BB335_13 Depth=1
	v_and_b32_e32 v46, 0x7f, v45
	v_mov_b32_e32 v43, 0x7f800001
	s_mov_b32 s51, exec_lo
	v_cmpx_ne_u32_e32 0x7f, v46
	s_cbranch_execz .LBB335_56
; %bb.53:                               ;   in Loop: Header=BB335_13 Depth=1
	v_and_b32_e32 v15, 7, v45
	v_lshrrev_b32_e32 v43, 3, v46
	s_mov_b32 s52, exec_lo
	v_cmpx_gt_u32_e32 8, v46
; %bb.54:                               ;   in Loop: Header=BB335_13 Depth=1
	v_ffbh_u32_e32 v43, v15
	v_min_u32_e32 v43, 32, v43
	v_subrev_nc_u32_e32 v46, 28, v43
	v_sub_nc_u32_e32 v43, 29, v43
	v_lshlrev_b64 v[46:47], v46, v[15:16]
	v_and_b32_e32 v15, 7, v46
; %bb.55:                               ;   in Loop: Header=BB335_13 Depth=1
	s_or_b32 exec_lo, exec_lo, s52
	v_lshlrev_b32_e32 v46, 24, v45
	v_lshlrev_b32_e32 v15, 20, v15
	v_lshl_add_u32 v43, v43, 23, 0x3c000000
	v_and_b32_e32 v46, 0x80000000, v46
	v_or3_b32 v43, v15, v46, v43
.LBB335_56:                             ;   in Loop: Header=BB335_13 Depth=1
	s_or_b32 exec_lo, exec_lo, s51
.LBB335_57:                             ;   in Loop: Header=BB335_13 Depth=1
	s_or_b32 exec_lo, exec_lo, s49
.LBB335_58:                             ;   in Loop: Header=BB335_13 Depth=1
	s_or_b32 exec_lo, exec_lo, s48
	v_cmp_ne_u16_sdwa s2, v45, v16 src0_sel:BYTE_1 src1_sel:DWORD
	s_and_saveexec_b32 s48, s2
	s_cbranch_execz .LBB335_66
; %bb.59:                               ;   in Loop: Header=BB335_13 Depth=1
	v_cmp_ne_u16_sdwa s2, v45, v33 src0_sel:BYTE_1 src1_sel:DWORD
	v_bfrev_b32_e32 v44, 1
	s_and_saveexec_b32 s49, s2
	s_cbranch_execz .LBB335_65
; %bb.60:                               ;   in Loop: Header=BB335_13 Depth=1
	v_and_b32_sdwa v15, v34, v45 dst_sel:DWORD dst_unused:UNUSED_PAD src0_sel:DWORD src1_sel:BYTE_1
	v_mov_b32_e32 v44, 0x7f800001
	s_mov_b32 s51, exec_lo
	v_and_b32_e32 v46, 0x7f, v15
	v_cmpx_ne_u32_e32 0x7f, v46
	s_cbranch_execz .LBB335_64
; %bb.61:                               ;   in Loop: Header=BB335_13 Depth=1
	v_and_b32_e32 v15, 7, v15
	v_lshrrev_b32_e32 v44, 3, v46
	s_mov_b32 s52, exec_lo
	v_cmpx_gt_u32_e32 8, v46
; %bb.62:                               ;   in Loop: Header=BB335_13 Depth=1
	v_ffbh_u32_e32 v44, v15
	v_min_u32_e32 v44, 32, v44
	v_subrev_nc_u32_e32 v46, 28, v44
	v_sub_nc_u32_e32 v44, 29, v44
	v_lshlrev_b64 v[46:47], v46, v[15:16]
	v_and_b32_e32 v15, 7, v46
; %bb.63:                               ;   in Loop: Header=BB335_13 Depth=1
	s_or_b32 exec_lo, exec_lo, s52
	v_lshlrev_b32_e32 v45, 16, v45
	v_lshlrev_b32_e32 v15, 20, v15
	v_lshl_add_u32 v44, v44, 23, 0x3c000000
	v_and_b32_e32 v45, 0x80000000, v45
	v_or3_b32 v44, v15, v45, v44
.LBB335_64:                             ;   in Loop: Header=BB335_13 Depth=1
	s_or_b32 exec_lo, exec_lo, s51
.LBB335_65:                             ;   in Loop: Header=BB335_13 Depth=1
	s_or_b32 exec_lo, exec_lo, s49
.LBB335_66:                             ;   in Loop: Header=BB335_13 Depth=1
	s_or_b32 exec_lo, exec_lo, s48
	global_load_ushort v15, v[23:24], off offset:136
	v_mov_b32_e32 v46, 0
	v_mov_b32_e32 v45, 0
	s_waitcnt vmcnt(0)
	v_and_b32_e32 v47, 0xffff, v15
	v_cmp_ne_u16_sdwa s2, v15, v16 src0_sel:BYTE_0 src1_sel:DWORD
	s_and_saveexec_b32 s48, s2
	s_cbranch_execz .LBB335_74
; %bb.67:                               ;   in Loop: Header=BB335_13 Depth=1
	v_cmp_ne_u16_sdwa s2, v47, v33 src0_sel:BYTE_0 src1_sel:DWORD
	v_bfrev_b32_e32 v45, 1
	s_and_saveexec_b32 s49, s2
	s_cbranch_execz .LBB335_73
; %bb.68:                               ;   in Loop: Header=BB335_13 Depth=1
	v_and_b32_e32 v48, 0x7f, v47
	v_mov_b32_e32 v45, 0x7f800001
	s_mov_b32 s51, exec_lo
	v_cmpx_ne_u32_e32 0x7f, v48
	s_cbranch_execz .LBB335_72
; %bb.69:                               ;   in Loop: Header=BB335_13 Depth=1
	v_and_b32_e32 v15, 7, v47
	v_lshrrev_b32_e32 v45, 3, v48
	s_mov_b32 s52, exec_lo
	v_cmpx_gt_u32_e32 8, v48
; %bb.70:                               ;   in Loop: Header=BB335_13 Depth=1
	v_ffbh_u32_e32 v45, v15
	v_min_u32_e32 v45, 32, v45
	v_subrev_nc_u32_e32 v48, 28, v45
	v_sub_nc_u32_e32 v45, 29, v45
	v_lshlrev_b64 v[48:49], v48, v[15:16]
	v_and_b32_e32 v15, 7, v48
; %bb.71:                               ;   in Loop: Header=BB335_13 Depth=1
	s_or_b32 exec_lo, exec_lo, s52
	v_lshlrev_b32_e32 v48, 24, v47
	v_lshlrev_b32_e32 v15, 20, v15
	v_lshl_add_u32 v45, v45, 23, 0x3c000000
	v_and_b32_e32 v48, 0x80000000, v48
	v_or3_b32 v45, v15, v48, v45
.LBB335_72:                             ;   in Loop: Header=BB335_13 Depth=1
	s_or_b32 exec_lo, exec_lo, s51
.LBB335_73:                             ;   in Loop: Header=BB335_13 Depth=1
	s_or_b32 exec_lo, exec_lo, s49
.LBB335_74:                             ;   in Loop: Header=BB335_13 Depth=1
	s_or_b32 exec_lo, exec_lo, s48
	v_cmp_ne_u16_sdwa s2, v47, v16 src0_sel:BYTE_1 src1_sel:DWORD
	s_and_saveexec_b32 s48, s2
	s_cbranch_execz .LBB335_82
; %bb.75:                               ;   in Loop: Header=BB335_13 Depth=1
	v_cmp_ne_u16_sdwa s2, v47, v33 src0_sel:BYTE_1 src1_sel:DWORD
	v_bfrev_b32_e32 v46, 1
	s_and_saveexec_b32 s49, s2
	s_cbranch_execz .LBB335_81
; %bb.76:                               ;   in Loop: Header=BB335_13 Depth=1
	v_and_b32_sdwa v15, v34, v47 dst_sel:DWORD dst_unused:UNUSED_PAD src0_sel:DWORD src1_sel:BYTE_1
	v_mov_b32_e32 v46, 0x7f800001
	s_mov_b32 s51, exec_lo
	v_and_b32_e32 v48, 0x7f, v15
	v_cmpx_ne_u32_e32 0x7f, v48
	s_cbranch_execz .LBB335_80
; %bb.77:                               ;   in Loop: Header=BB335_13 Depth=1
	v_and_b32_e32 v15, 7, v15
	v_lshrrev_b32_e32 v46, 3, v48
	s_mov_b32 s52, exec_lo
	v_cmpx_gt_u32_e32 8, v48
; %bb.78:                               ;   in Loop: Header=BB335_13 Depth=1
	v_ffbh_u32_e32 v46, v15
	v_min_u32_e32 v46, 32, v46
	v_subrev_nc_u32_e32 v48, 28, v46
	v_sub_nc_u32_e32 v46, 29, v46
	v_lshlrev_b64 v[48:49], v48, v[15:16]
	v_and_b32_e32 v15, 7, v48
; %bb.79:                               ;   in Loop: Header=BB335_13 Depth=1
	s_or_b32 exec_lo, exec_lo, s52
	v_lshlrev_b32_e32 v47, 16, v47
	v_lshlrev_b32_e32 v15, 20, v15
	v_lshl_add_u32 v46, v46, 23, 0x3c000000
	v_and_b32_e32 v47, 0x80000000, v47
	v_or3_b32 v46, v15, v47, v46
.LBB335_80:                             ;   in Loop: Header=BB335_13 Depth=1
	s_or_b32 exec_lo, exec_lo, s51
.LBB335_81:                             ;   in Loop: Header=BB335_13 Depth=1
	s_or_b32 exec_lo, exec_lo, s49
.LBB335_82:                             ;   in Loop: Header=BB335_13 Depth=1
	s_or_b32 exec_lo, exec_lo, s48
	global_load_ushort v15, v[23:24], off offset:256
	v_mov_b32_e32 v48, 0
	v_mov_b32_e32 v47, 0
	s_waitcnt vmcnt(0)
	v_and_b32_e32 v49, 0xffff, v15
	v_cmp_ne_u16_sdwa s2, v15, v16 src0_sel:BYTE_0 src1_sel:DWORD
	s_and_saveexec_b32 s48, s2
	s_cbranch_execz .LBB335_90
; %bb.83:                               ;   in Loop: Header=BB335_13 Depth=1
	v_cmp_ne_u16_sdwa s2, v49, v33 src0_sel:BYTE_0 src1_sel:DWORD
	v_bfrev_b32_e32 v47, 1
	s_and_saveexec_b32 s49, s2
	s_cbranch_execz .LBB335_89
; %bb.84:                               ;   in Loop: Header=BB335_13 Depth=1
	v_and_b32_e32 v50, 0x7f, v49
	v_mov_b32_e32 v47, 0x7f800001
	s_mov_b32 s51, exec_lo
	v_cmpx_ne_u32_e32 0x7f, v50
	s_cbranch_execz .LBB335_88
; %bb.85:                               ;   in Loop: Header=BB335_13 Depth=1
	v_and_b32_e32 v15, 7, v49
	v_lshrrev_b32_e32 v47, 3, v50
	s_mov_b32 s52, exec_lo
	v_cmpx_gt_u32_e32 8, v50
; %bb.86:                               ;   in Loop: Header=BB335_13 Depth=1
	v_ffbh_u32_e32 v47, v15
	v_min_u32_e32 v47, 32, v47
	v_subrev_nc_u32_e32 v50, 28, v47
	v_sub_nc_u32_e32 v47, 29, v47
	v_lshlrev_b64 v[50:51], v50, v[15:16]
	v_and_b32_e32 v15, 7, v50
; %bb.87:                               ;   in Loop: Header=BB335_13 Depth=1
	s_or_b32 exec_lo, exec_lo, s52
	v_lshlrev_b32_e32 v50, 24, v49
	v_lshlrev_b32_e32 v15, 20, v15
	v_lshl_add_u32 v47, v47, 23, 0x3c000000
	v_and_b32_e32 v50, 0x80000000, v50
	v_or3_b32 v47, v15, v50, v47
.LBB335_88:                             ;   in Loop: Header=BB335_13 Depth=1
	s_or_b32 exec_lo, exec_lo, s51
.LBB335_89:                             ;   in Loop: Header=BB335_13 Depth=1
	s_or_b32 exec_lo, exec_lo, s49
.LBB335_90:                             ;   in Loop: Header=BB335_13 Depth=1
	s_or_b32 exec_lo, exec_lo, s48
	v_cmp_ne_u16_sdwa s2, v49, v16 src0_sel:BYTE_1 src1_sel:DWORD
	s_and_saveexec_b32 s48, s2
	s_cbranch_execz .LBB335_98
; %bb.91:                               ;   in Loop: Header=BB335_13 Depth=1
	v_cmp_ne_u16_sdwa s2, v49, v33 src0_sel:BYTE_1 src1_sel:DWORD
	v_bfrev_b32_e32 v48, 1
	s_and_saveexec_b32 s49, s2
	s_cbranch_execz .LBB335_97
; %bb.92:                               ;   in Loop: Header=BB335_13 Depth=1
	v_and_b32_sdwa v15, v34, v49 dst_sel:DWORD dst_unused:UNUSED_PAD src0_sel:DWORD src1_sel:BYTE_1
	v_mov_b32_e32 v48, 0x7f800001
	s_mov_b32 s51, exec_lo
	v_and_b32_e32 v50, 0x7f, v15
	v_cmpx_ne_u32_e32 0x7f, v50
	s_cbranch_execz .LBB335_96
; %bb.93:                               ;   in Loop: Header=BB335_13 Depth=1
	v_and_b32_e32 v15, 7, v15
	v_lshrrev_b32_e32 v48, 3, v50
	s_mov_b32 s52, exec_lo
	v_cmpx_gt_u32_e32 8, v50
; %bb.94:                               ;   in Loop: Header=BB335_13 Depth=1
	v_ffbh_u32_e32 v48, v15
	v_min_u32_e32 v48, 32, v48
	v_subrev_nc_u32_e32 v50, 28, v48
	v_sub_nc_u32_e32 v48, 29, v48
	v_lshlrev_b64 v[50:51], v50, v[15:16]
	v_and_b32_e32 v15, 7, v50
; %bb.95:                               ;   in Loop: Header=BB335_13 Depth=1
	s_or_b32 exec_lo, exec_lo, s52
	v_lshlrev_b32_e32 v49, 16, v49
	v_lshlrev_b32_e32 v15, 20, v15
	v_lshl_add_u32 v48, v48, 23, 0x3c000000
	v_and_b32_e32 v49, 0x80000000, v49
	v_or3_b32 v48, v15, v49, v48
.LBB335_96:                             ;   in Loop: Header=BB335_13 Depth=1
	s_or_b32 exec_lo, exec_lo, s51
.LBB335_97:                             ;   in Loop: Header=BB335_13 Depth=1
	s_or_b32 exec_lo, exec_lo, s49
.LBB335_98:                             ;   in Loop: Header=BB335_13 Depth=1
	s_or_b32 exec_lo, exec_lo, s48
	global_load_ushort v15, v[23:24], off offset:264
	v_mov_b32_e32 v50, 0
	v_mov_b32_e32 v49, 0
	s_waitcnt vmcnt(0)
	v_and_b32_e32 v51, 0xffff, v15
	v_cmp_ne_u16_sdwa s2, v15, v16 src0_sel:BYTE_0 src1_sel:DWORD
	s_and_saveexec_b32 s48, s2
	s_cbranch_execz .LBB335_106
; %bb.99:                               ;   in Loop: Header=BB335_13 Depth=1
	v_cmp_ne_u16_sdwa s2, v51, v33 src0_sel:BYTE_0 src1_sel:DWORD
	v_bfrev_b32_e32 v49, 1
	s_and_saveexec_b32 s49, s2
	s_cbranch_execz .LBB335_105
; %bb.100:                              ;   in Loop: Header=BB335_13 Depth=1
	v_and_b32_e32 v52, 0x7f, v51
	v_mov_b32_e32 v49, 0x7f800001
	s_mov_b32 s51, exec_lo
	v_cmpx_ne_u32_e32 0x7f, v52
	s_cbranch_execz .LBB335_104
; %bb.101:                              ;   in Loop: Header=BB335_13 Depth=1
	v_and_b32_e32 v15, 7, v51
	v_lshrrev_b32_e32 v49, 3, v52
	s_mov_b32 s52, exec_lo
	v_cmpx_gt_u32_e32 8, v52
; %bb.102:                              ;   in Loop: Header=BB335_13 Depth=1
	v_ffbh_u32_e32 v49, v15
	v_min_u32_e32 v49, 32, v49
	v_subrev_nc_u32_e32 v52, 28, v49
	v_sub_nc_u32_e32 v49, 29, v49
	v_lshlrev_b64 v[52:53], v52, v[15:16]
	v_and_b32_e32 v15, 7, v52
; %bb.103:                              ;   in Loop: Header=BB335_13 Depth=1
	s_or_b32 exec_lo, exec_lo, s52
	v_lshlrev_b32_e32 v52, 24, v51
	v_lshlrev_b32_e32 v15, 20, v15
	v_lshl_add_u32 v49, v49, 23, 0x3c000000
	v_and_b32_e32 v52, 0x80000000, v52
	v_or3_b32 v49, v15, v52, v49
.LBB335_104:                            ;   in Loop: Header=BB335_13 Depth=1
	s_or_b32 exec_lo, exec_lo, s51
.LBB335_105:                            ;   in Loop: Header=BB335_13 Depth=1
	s_or_b32 exec_lo, exec_lo, s49
.LBB335_106:                            ;   in Loop: Header=BB335_13 Depth=1
	s_or_b32 exec_lo, exec_lo, s48
	v_cmp_ne_u16_sdwa s2, v51, v16 src0_sel:BYTE_1 src1_sel:DWORD
	s_and_saveexec_b32 s48, s2
	s_cbranch_execz .LBB335_114
; %bb.107:                              ;   in Loop: Header=BB335_13 Depth=1
	v_cmp_ne_u16_sdwa s2, v51, v33 src0_sel:BYTE_1 src1_sel:DWORD
	v_bfrev_b32_e32 v50, 1
	s_and_saveexec_b32 s49, s2
	s_cbranch_execz .LBB335_113
; %bb.108:                              ;   in Loop: Header=BB335_13 Depth=1
	v_and_b32_sdwa v15, v34, v51 dst_sel:DWORD dst_unused:UNUSED_PAD src0_sel:DWORD src1_sel:BYTE_1
	v_mov_b32_e32 v50, 0x7f800001
	s_mov_b32 s51, exec_lo
	v_and_b32_e32 v52, 0x7f, v15
	v_cmpx_ne_u32_e32 0x7f, v52
	s_cbranch_execz .LBB335_112
; %bb.109:                              ;   in Loop: Header=BB335_13 Depth=1
	v_and_b32_e32 v15, 7, v15
	v_lshrrev_b32_e32 v50, 3, v52
	s_mov_b32 s52, exec_lo
	v_cmpx_gt_u32_e32 8, v52
; %bb.110:                              ;   in Loop: Header=BB335_13 Depth=1
	v_ffbh_u32_e32 v50, v15
	v_min_u32_e32 v50, 32, v50
	v_subrev_nc_u32_e32 v52, 28, v50
	v_sub_nc_u32_e32 v50, 29, v50
	v_lshlrev_b64 v[52:53], v52, v[15:16]
	v_and_b32_e32 v15, 7, v52
; %bb.111:                              ;   in Loop: Header=BB335_13 Depth=1
	s_or_b32 exec_lo, exec_lo, s52
	v_lshlrev_b32_e32 v51, 16, v51
	v_lshlrev_b32_e32 v15, 20, v15
	v_lshl_add_u32 v50, v50, 23, 0x3c000000
	v_and_b32_e32 v51, 0x80000000, v51
	v_or3_b32 v50, v15, v51, v50
.LBB335_112:                            ;   in Loop: Header=BB335_13 Depth=1
	s_or_b32 exec_lo, exec_lo, s51
.LBB335_113:                            ;   in Loop: Header=BB335_13 Depth=1
	s_or_b32 exec_lo, exec_lo, s49
.LBB335_114:                            ;   in Loop: Header=BB335_13 Depth=1
	s_or_b32 exec_lo, exec_lo, s48
	global_load_ushort v15, v[23:24], off offset:384
	v_mov_b32_e32 v52, 0
	v_mov_b32_e32 v51, 0
	s_waitcnt vmcnt(0)
	v_and_b32_e32 v53, 0xffff, v15
	v_cmp_ne_u16_sdwa s2, v15, v16 src0_sel:BYTE_0 src1_sel:DWORD
	s_and_saveexec_b32 s48, s2
	s_cbranch_execz .LBB335_122
; %bb.115:                              ;   in Loop: Header=BB335_13 Depth=1
	v_cmp_ne_u16_sdwa s2, v53, v33 src0_sel:BYTE_0 src1_sel:DWORD
	v_bfrev_b32_e32 v51, 1
	s_and_saveexec_b32 s49, s2
	s_cbranch_execz .LBB335_121
; %bb.116:                              ;   in Loop: Header=BB335_13 Depth=1
	v_and_b32_e32 v54, 0x7f, v53
	v_mov_b32_e32 v51, 0x7f800001
	s_mov_b32 s51, exec_lo
	v_cmpx_ne_u32_e32 0x7f, v54
	s_cbranch_execz .LBB335_120
; %bb.117:                              ;   in Loop: Header=BB335_13 Depth=1
	v_and_b32_e32 v15, 7, v53
	v_lshrrev_b32_e32 v51, 3, v54
	s_mov_b32 s52, exec_lo
	v_cmpx_gt_u32_e32 8, v54
; %bb.118:                              ;   in Loop: Header=BB335_13 Depth=1
	v_ffbh_u32_e32 v51, v15
	v_min_u32_e32 v51, 32, v51
	v_subrev_nc_u32_e32 v54, 28, v51
	v_sub_nc_u32_e32 v51, 29, v51
	v_lshlrev_b64 v[54:55], v54, v[15:16]
	v_and_b32_e32 v15, 7, v54
; %bb.119:                              ;   in Loop: Header=BB335_13 Depth=1
	s_or_b32 exec_lo, exec_lo, s52
	v_lshlrev_b32_e32 v54, 24, v53
	v_lshlrev_b32_e32 v15, 20, v15
	v_lshl_add_u32 v51, v51, 23, 0x3c000000
	v_and_b32_e32 v54, 0x80000000, v54
	v_or3_b32 v51, v15, v54, v51
.LBB335_120:                            ;   in Loop: Header=BB335_13 Depth=1
	s_or_b32 exec_lo, exec_lo, s51
.LBB335_121:                            ;   in Loop: Header=BB335_13 Depth=1
	s_or_b32 exec_lo, exec_lo, s49
.LBB335_122:                            ;   in Loop: Header=BB335_13 Depth=1
	s_or_b32 exec_lo, exec_lo, s48
	v_cmp_ne_u16_sdwa s2, v53, v16 src0_sel:BYTE_1 src1_sel:DWORD
	s_and_saveexec_b32 s48, s2
	s_cbranch_execz .LBB335_130
; %bb.123:                              ;   in Loop: Header=BB335_13 Depth=1
	v_cmp_ne_u16_sdwa s2, v53, v33 src0_sel:BYTE_1 src1_sel:DWORD
	v_bfrev_b32_e32 v52, 1
	s_and_saveexec_b32 s49, s2
	s_cbranch_execz .LBB335_129
; %bb.124:                              ;   in Loop: Header=BB335_13 Depth=1
	v_and_b32_sdwa v15, v34, v53 dst_sel:DWORD dst_unused:UNUSED_PAD src0_sel:DWORD src1_sel:BYTE_1
	v_mov_b32_e32 v52, 0x7f800001
	s_mov_b32 s51, exec_lo
	v_and_b32_e32 v54, 0x7f, v15
	v_cmpx_ne_u32_e32 0x7f, v54
	s_cbranch_execz .LBB335_128
; %bb.125:                              ;   in Loop: Header=BB335_13 Depth=1
	v_and_b32_e32 v15, 7, v15
	v_lshrrev_b32_e32 v52, 3, v54
	s_mov_b32 s52, exec_lo
	v_cmpx_gt_u32_e32 8, v54
; %bb.126:                              ;   in Loop: Header=BB335_13 Depth=1
	v_ffbh_u32_e32 v52, v15
	v_min_u32_e32 v52, 32, v52
	v_subrev_nc_u32_e32 v54, 28, v52
	v_sub_nc_u32_e32 v52, 29, v52
	v_lshlrev_b64 v[54:55], v54, v[15:16]
	v_and_b32_e32 v15, 7, v54
; %bb.127:                              ;   in Loop: Header=BB335_13 Depth=1
	s_or_b32 exec_lo, exec_lo, s52
	v_lshlrev_b32_e32 v53, 16, v53
	v_lshlrev_b32_e32 v15, 20, v15
	v_lshl_add_u32 v52, v52, 23, 0x3c000000
	v_and_b32_e32 v53, 0x80000000, v53
	v_or3_b32 v52, v15, v53, v52
.LBB335_128:                            ;   in Loop: Header=BB335_13 Depth=1
	s_or_b32 exec_lo, exec_lo, s51
.LBB335_129:                            ;   in Loop: Header=BB335_13 Depth=1
	s_or_b32 exec_lo, exec_lo, s49
.LBB335_130:                            ;   in Loop: Header=BB335_13 Depth=1
	s_or_b32 exec_lo, exec_lo, s48
	global_load_ushort v15, v[23:24], off offset:392
	v_mov_b32_e32 v54, 0
	v_mov_b32_e32 v53, 0
	s_waitcnt vmcnt(0)
	v_and_b32_e32 v55, 0xffff, v15
	v_cmp_ne_u16_sdwa s2, v15, v16 src0_sel:BYTE_0 src1_sel:DWORD
	s_and_saveexec_b32 s48, s2
	s_cbranch_execz .LBB335_138
; %bb.131:                              ;   in Loop: Header=BB335_13 Depth=1
	v_cmp_ne_u16_sdwa s2, v55, v33 src0_sel:BYTE_0 src1_sel:DWORD
	v_bfrev_b32_e32 v53, 1
	s_and_saveexec_b32 s49, s2
	s_cbranch_execz .LBB335_137
; %bb.132:                              ;   in Loop: Header=BB335_13 Depth=1
	v_and_b32_e32 v56, 0x7f, v55
	v_mov_b32_e32 v53, 0x7f800001
	s_mov_b32 s51, exec_lo
	v_cmpx_ne_u32_e32 0x7f, v56
	s_cbranch_execz .LBB335_136
; %bb.133:                              ;   in Loop: Header=BB335_13 Depth=1
	v_and_b32_e32 v15, 7, v55
	v_lshrrev_b32_e32 v53, 3, v56
	s_mov_b32 s52, exec_lo
	v_cmpx_gt_u32_e32 8, v56
; %bb.134:                              ;   in Loop: Header=BB335_13 Depth=1
	v_ffbh_u32_e32 v53, v15
	v_min_u32_e32 v53, 32, v53
	v_subrev_nc_u32_e32 v56, 28, v53
	v_sub_nc_u32_e32 v53, 29, v53
	v_lshlrev_b64 v[56:57], v56, v[15:16]
	v_and_b32_e32 v15, 7, v56
; %bb.135:                              ;   in Loop: Header=BB335_13 Depth=1
	s_or_b32 exec_lo, exec_lo, s52
	v_lshlrev_b32_e32 v56, 24, v55
	v_lshlrev_b32_e32 v15, 20, v15
	v_lshl_add_u32 v53, v53, 23, 0x3c000000
	v_and_b32_e32 v56, 0x80000000, v56
	v_or3_b32 v53, v15, v56, v53
.LBB335_136:                            ;   in Loop: Header=BB335_13 Depth=1
	s_or_b32 exec_lo, exec_lo, s51
.LBB335_137:                            ;   in Loop: Header=BB335_13 Depth=1
	s_or_b32 exec_lo, exec_lo, s49
.LBB335_138:                            ;   in Loop: Header=BB335_13 Depth=1
	s_or_b32 exec_lo, exec_lo, s48
	v_cmp_ne_u16_sdwa s2, v55, v16 src0_sel:BYTE_1 src1_sel:DWORD
	s_and_saveexec_b32 s48, s2
	s_cbranch_execz .LBB335_146
; %bb.139:                              ;   in Loop: Header=BB335_13 Depth=1
	v_cmp_ne_u16_sdwa s2, v55, v33 src0_sel:BYTE_1 src1_sel:DWORD
	v_bfrev_b32_e32 v54, 1
	s_and_saveexec_b32 s49, s2
	s_cbranch_execz .LBB335_145
; %bb.140:                              ;   in Loop: Header=BB335_13 Depth=1
	v_and_b32_sdwa v15, v34, v55 dst_sel:DWORD dst_unused:UNUSED_PAD src0_sel:DWORD src1_sel:BYTE_1
	v_mov_b32_e32 v54, 0x7f800001
	s_mov_b32 s51, exec_lo
	v_and_b32_e32 v56, 0x7f, v15
	v_cmpx_ne_u32_e32 0x7f, v56
	s_cbranch_execz .LBB335_144
; %bb.141:                              ;   in Loop: Header=BB335_13 Depth=1
	v_and_b32_e32 v15, 7, v15
	v_lshrrev_b32_e32 v54, 3, v56
	s_mov_b32 s52, exec_lo
	v_cmpx_gt_u32_e32 8, v56
; %bb.142:                              ;   in Loop: Header=BB335_13 Depth=1
	v_ffbh_u32_e32 v54, v15
	v_min_u32_e32 v54, 32, v54
	v_subrev_nc_u32_e32 v56, 28, v54
	v_sub_nc_u32_e32 v54, 29, v54
	v_lshlrev_b64 v[56:57], v56, v[15:16]
	v_and_b32_e32 v15, 7, v56
; %bb.143:                              ;   in Loop: Header=BB335_13 Depth=1
	s_or_b32 exec_lo, exec_lo, s52
	v_lshlrev_b32_e32 v55, 16, v55
	v_lshlrev_b32_e32 v15, 20, v15
	v_lshl_add_u32 v54, v54, 23, 0x3c000000
	v_and_b32_e32 v55, 0x80000000, v55
	v_or3_b32 v54, v15, v55, v54
.LBB335_144:                            ;   in Loop: Header=BB335_13 Depth=1
	s_or_b32 exec_lo, exec_lo, s51
.LBB335_145:                            ;   in Loop: Header=BB335_13 Depth=1
	s_or_b32 exec_lo, exec_lo, s49
.LBB335_146:                            ;   in Loop: Header=BB335_13 Depth=1
	s_or_b32 exec_lo, exec_lo, s48
	global_load_ushort v15, v[23:24], off offset:512
	v_mov_b32_e32 v56, 0
	v_mov_b32_e32 v55, 0
	s_waitcnt vmcnt(0)
	v_and_b32_e32 v57, 0xffff, v15
	v_cmp_ne_u16_sdwa s2, v15, v16 src0_sel:BYTE_0 src1_sel:DWORD
	s_and_saveexec_b32 s48, s2
	s_cbranch_execz .LBB335_154
; %bb.147:                              ;   in Loop: Header=BB335_13 Depth=1
	v_cmp_ne_u16_sdwa s2, v57, v33 src0_sel:BYTE_0 src1_sel:DWORD
	v_bfrev_b32_e32 v55, 1
	s_and_saveexec_b32 s49, s2
	s_cbranch_execz .LBB335_153
; %bb.148:                              ;   in Loop: Header=BB335_13 Depth=1
	v_and_b32_e32 v58, 0x7f, v57
	v_mov_b32_e32 v55, 0x7f800001
	s_mov_b32 s51, exec_lo
	v_cmpx_ne_u32_e32 0x7f, v58
	s_cbranch_execz .LBB335_152
; %bb.149:                              ;   in Loop: Header=BB335_13 Depth=1
	v_and_b32_e32 v15, 7, v57
	v_lshrrev_b32_e32 v55, 3, v58
	s_mov_b32 s52, exec_lo
	v_cmpx_gt_u32_e32 8, v58
; %bb.150:                              ;   in Loop: Header=BB335_13 Depth=1
	v_ffbh_u32_e32 v55, v15
	v_min_u32_e32 v55, 32, v55
	v_subrev_nc_u32_e32 v58, 28, v55
	v_sub_nc_u32_e32 v55, 29, v55
	v_lshlrev_b64 v[58:59], v58, v[15:16]
	v_and_b32_e32 v15, 7, v58
; %bb.151:                              ;   in Loop: Header=BB335_13 Depth=1
	s_or_b32 exec_lo, exec_lo, s52
	v_lshlrev_b32_e32 v58, 24, v57
	v_lshlrev_b32_e32 v15, 20, v15
	v_lshl_add_u32 v55, v55, 23, 0x3c000000
	v_and_b32_e32 v58, 0x80000000, v58
	v_or3_b32 v55, v15, v58, v55
.LBB335_152:                            ;   in Loop: Header=BB335_13 Depth=1
	s_or_b32 exec_lo, exec_lo, s51
.LBB335_153:                            ;   in Loop: Header=BB335_13 Depth=1
	s_or_b32 exec_lo, exec_lo, s49
.LBB335_154:                            ;   in Loop: Header=BB335_13 Depth=1
	s_or_b32 exec_lo, exec_lo, s48
	v_cmp_ne_u16_sdwa s2, v57, v16 src0_sel:BYTE_1 src1_sel:DWORD
	s_and_saveexec_b32 s48, s2
	s_cbranch_execz .LBB335_162
; %bb.155:                              ;   in Loop: Header=BB335_13 Depth=1
	v_cmp_ne_u16_sdwa s2, v57, v33 src0_sel:BYTE_1 src1_sel:DWORD
	v_bfrev_b32_e32 v56, 1
	s_and_saveexec_b32 s49, s2
	s_cbranch_execz .LBB335_161
; %bb.156:                              ;   in Loop: Header=BB335_13 Depth=1
	v_and_b32_sdwa v15, v34, v57 dst_sel:DWORD dst_unused:UNUSED_PAD src0_sel:DWORD src1_sel:BYTE_1
	v_mov_b32_e32 v56, 0x7f800001
	s_mov_b32 s51, exec_lo
	v_and_b32_e32 v58, 0x7f, v15
	v_cmpx_ne_u32_e32 0x7f, v58
	s_cbranch_execz .LBB335_160
; %bb.157:                              ;   in Loop: Header=BB335_13 Depth=1
	v_and_b32_e32 v15, 7, v15
	v_lshrrev_b32_e32 v56, 3, v58
	s_mov_b32 s52, exec_lo
	v_cmpx_gt_u32_e32 8, v58
; %bb.158:                              ;   in Loop: Header=BB335_13 Depth=1
	v_ffbh_u32_e32 v56, v15
	v_min_u32_e32 v56, 32, v56
	v_subrev_nc_u32_e32 v58, 28, v56
	v_sub_nc_u32_e32 v56, 29, v56
	v_lshlrev_b64 v[58:59], v58, v[15:16]
	v_and_b32_e32 v15, 7, v58
; %bb.159:                              ;   in Loop: Header=BB335_13 Depth=1
	s_or_b32 exec_lo, exec_lo, s52
	v_lshlrev_b32_e32 v57, 16, v57
	v_lshlrev_b32_e32 v15, 20, v15
	v_lshl_add_u32 v56, v56, 23, 0x3c000000
	v_and_b32_e32 v57, 0x80000000, v57
	v_or3_b32 v56, v15, v57, v56
.LBB335_160:                            ;   in Loop: Header=BB335_13 Depth=1
	s_or_b32 exec_lo, exec_lo, s51
.LBB335_161:                            ;   in Loop: Header=BB335_13 Depth=1
	s_or_b32 exec_lo, exec_lo, s49
.LBB335_162:                            ;   in Loop: Header=BB335_13 Depth=1
	s_or_b32 exec_lo, exec_lo, s48
	global_load_ushort v15, v[23:24], off offset:520
	v_mov_b32_e32 v58, 0
	v_mov_b32_e32 v57, 0
	s_waitcnt vmcnt(0)
	v_and_b32_e32 v59, 0xffff, v15
	v_cmp_ne_u16_sdwa s2, v15, v16 src0_sel:BYTE_0 src1_sel:DWORD
	s_and_saveexec_b32 s48, s2
	s_cbranch_execz .LBB335_170
; %bb.163:                              ;   in Loop: Header=BB335_13 Depth=1
	v_cmp_ne_u16_sdwa s2, v59, v33 src0_sel:BYTE_0 src1_sel:DWORD
	v_bfrev_b32_e32 v57, 1
	s_and_saveexec_b32 s49, s2
	s_cbranch_execz .LBB335_169
; %bb.164:                              ;   in Loop: Header=BB335_13 Depth=1
	v_and_b32_e32 v60, 0x7f, v59
	v_mov_b32_e32 v57, 0x7f800001
	s_mov_b32 s51, exec_lo
	v_cmpx_ne_u32_e32 0x7f, v60
	s_cbranch_execz .LBB335_168
; %bb.165:                              ;   in Loop: Header=BB335_13 Depth=1
	v_and_b32_e32 v15, 7, v59
	v_lshrrev_b32_e32 v57, 3, v60
	s_mov_b32 s52, exec_lo
	v_cmpx_gt_u32_e32 8, v60
; %bb.166:                              ;   in Loop: Header=BB335_13 Depth=1
	v_ffbh_u32_e32 v57, v15
	v_min_u32_e32 v57, 32, v57
	v_subrev_nc_u32_e32 v60, 28, v57
	v_sub_nc_u32_e32 v57, 29, v57
	v_lshlrev_b64 v[60:61], v60, v[15:16]
	v_and_b32_e32 v15, 7, v60
; %bb.167:                              ;   in Loop: Header=BB335_13 Depth=1
	s_or_b32 exec_lo, exec_lo, s52
	v_lshlrev_b32_e32 v60, 24, v59
	v_lshlrev_b32_e32 v15, 20, v15
	v_lshl_add_u32 v57, v57, 23, 0x3c000000
	v_and_b32_e32 v60, 0x80000000, v60
	v_or3_b32 v57, v15, v60, v57
.LBB335_168:                            ;   in Loop: Header=BB335_13 Depth=1
	s_or_b32 exec_lo, exec_lo, s51
.LBB335_169:                            ;   in Loop: Header=BB335_13 Depth=1
	s_or_b32 exec_lo, exec_lo, s49
.LBB335_170:                            ;   in Loop: Header=BB335_13 Depth=1
	s_or_b32 exec_lo, exec_lo, s48
	v_cmp_ne_u16_sdwa s2, v59, v16 src0_sel:BYTE_1 src1_sel:DWORD
	s_and_saveexec_b32 s48, s2
	s_cbranch_execz .LBB335_178
; %bb.171:                              ;   in Loop: Header=BB335_13 Depth=1
	v_cmp_ne_u16_sdwa s2, v59, v33 src0_sel:BYTE_1 src1_sel:DWORD
	v_bfrev_b32_e32 v58, 1
	s_and_saveexec_b32 s49, s2
	s_cbranch_execz .LBB335_177
; %bb.172:                              ;   in Loop: Header=BB335_13 Depth=1
	v_and_b32_sdwa v15, v34, v59 dst_sel:DWORD dst_unused:UNUSED_PAD src0_sel:DWORD src1_sel:BYTE_1
	v_mov_b32_e32 v58, 0x7f800001
	s_mov_b32 s51, exec_lo
	v_and_b32_e32 v60, 0x7f, v15
	v_cmpx_ne_u32_e32 0x7f, v60
	s_cbranch_execz .LBB335_176
; %bb.173:                              ;   in Loop: Header=BB335_13 Depth=1
	v_and_b32_e32 v15, 7, v15
	v_lshrrev_b32_e32 v58, 3, v60
	s_mov_b32 s52, exec_lo
	v_cmpx_gt_u32_e32 8, v60
; %bb.174:                              ;   in Loop: Header=BB335_13 Depth=1
	v_ffbh_u32_e32 v58, v15
	v_min_u32_e32 v58, 32, v58
	v_subrev_nc_u32_e32 v60, 28, v58
	v_sub_nc_u32_e32 v58, 29, v58
	v_lshlrev_b64 v[60:61], v60, v[15:16]
	v_and_b32_e32 v15, 7, v60
; %bb.175:                              ;   in Loop: Header=BB335_13 Depth=1
	s_or_b32 exec_lo, exec_lo, s52
	v_lshlrev_b32_e32 v59, 16, v59
	v_lshlrev_b32_e32 v15, 20, v15
	v_lshl_add_u32 v58, v58, 23, 0x3c000000
	v_and_b32_e32 v59, 0x80000000, v59
	v_or3_b32 v58, v15, v59, v58
.LBB335_176:                            ;   in Loop: Header=BB335_13 Depth=1
	s_or_b32 exec_lo, exec_lo, s51
.LBB335_177:                            ;   in Loop: Header=BB335_13 Depth=1
	s_or_b32 exec_lo, exec_lo, s49
.LBB335_178:                            ;   in Loop: Header=BB335_13 Depth=1
	s_or_b32 exec_lo, exec_lo, s48
	global_load_ushort v15, v[23:24], off offset:640
	v_mov_b32_e32 v60, 0
	v_mov_b32_e32 v59, 0
	s_waitcnt vmcnt(0)
	v_and_b32_e32 v61, 0xffff, v15
	v_cmp_ne_u16_sdwa s2, v15, v16 src0_sel:BYTE_0 src1_sel:DWORD
	s_and_saveexec_b32 s48, s2
	s_cbranch_execz .LBB335_186
; %bb.179:                              ;   in Loop: Header=BB335_13 Depth=1
	v_cmp_ne_u16_sdwa s2, v61, v33 src0_sel:BYTE_0 src1_sel:DWORD
	v_bfrev_b32_e32 v59, 1
	s_and_saveexec_b32 s49, s2
	s_cbranch_execz .LBB335_185
; %bb.180:                              ;   in Loop: Header=BB335_13 Depth=1
	v_and_b32_e32 v62, 0x7f, v61
	v_mov_b32_e32 v59, 0x7f800001
	s_mov_b32 s51, exec_lo
	v_cmpx_ne_u32_e32 0x7f, v62
	s_cbranch_execz .LBB335_184
; %bb.181:                              ;   in Loop: Header=BB335_13 Depth=1
	v_and_b32_e32 v15, 7, v61
	v_lshrrev_b32_e32 v59, 3, v62
	s_mov_b32 s52, exec_lo
	v_cmpx_gt_u32_e32 8, v62
; %bb.182:                              ;   in Loop: Header=BB335_13 Depth=1
	v_ffbh_u32_e32 v59, v15
	v_min_u32_e32 v59, 32, v59
	v_subrev_nc_u32_e32 v62, 28, v59
	v_sub_nc_u32_e32 v59, 29, v59
	v_lshlrev_b64 v[62:63], v62, v[15:16]
	v_and_b32_e32 v15, 7, v62
; %bb.183:                              ;   in Loop: Header=BB335_13 Depth=1
	s_or_b32 exec_lo, exec_lo, s52
	v_lshlrev_b32_e32 v62, 24, v61
	v_lshlrev_b32_e32 v15, 20, v15
	v_lshl_add_u32 v59, v59, 23, 0x3c000000
	v_and_b32_e32 v62, 0x80000000, v62
	v_or3_b32 v59, v15, v62, v59
.LBB335_184:                            ;   in Loop: Header=BB335_13 Depth=1
	s_or_b32 exec_lo, exec_lo, s51
.LBB335_185:                            ;   in Loop: Header=BB335_13 Depth=1
	s_or_b32 exec_lo, exec_lo, s49
.LBB335_186:                            ;   in Loop: Header=BB335_13 Depth=1
	s_or_b32 exec_lo, exec_lo, s48
	v_cmp_ne_u16_sdwa s2, v61, v16 src0_sel:BYTE_1 src1_sel:DWORD
	s_and_saveexec_b32 s48, s2
	s_cbranch_execz .LBB335_194
; %bb.187:                              ;   in Loop: Header=BB335_13 Depth=1
	v_cmp_ne_u16_sdwa s2, v61, v33 src0_sel:BYTE_1 src1_sel:DWORD
	v_bfrev_b32_e32 v60, 1
	s_and_saveexec_b32 s49, s2
	s_cbranch_execz .LBB335_193
; %bb.188:                              ;   in Loop: Header=BB335_13 Depth=1
	v_and_b32_sdwa v15, v34, v61 dst_sel:DWORD dst_unused:UNUSED_PAD src0_sel:DWORD src1_sel:BYTE_1
	v_mov_b32_e32 v60, 0x7f800001
	s_mov_b32 s51, exec_lo
	v_and_b32_e32 v62, 0x7f, v15
	v_cmpx_ne_u32_e32 0x7f, v62
	s_cbranch_execz .LBB335_192
; %bb.189:                              ;   in Loop: Header=BB335_13 Depth=1
	v_and_b32_e32 v15, 7, v15
	v_lshrrev_b32_e32 v60, 3, v62
	s_mov_b32 s52, exec_lo
	v_cmpx_gt_u32_e32 8, v62
; %bb.190:                              ;   in Loop: Header=BB335_13 Depth=1
	v_ffbh_u32_e32 v60, v15
	v_min_u32_e32 v60, 32, v60
	v_subrev_nc_u32_e32 v62, 28, v60
	v_sub_nc_u32_e32 v60, 29, v60
	v_lshlrev_b64 v[62:63], v62, v[15:16]
	v_and_b32_e32 v15, 7, v62
; %bb.191:                              ;   in Loop: Header=BB335_13 Depth=1
	s_or_b32 exec_lo, exec_lo, s52
	v_lshlrev_b32_e32 v61, 16, v61
	v_lshlrev_b32_e32 v15, 20, v15
	v_lshl_add_u32 v60, v60, 23, 0x3c000000
	v_and_b32_e32 v61, 0x80000000, v61
	v_or3_b32 v60, v15, v61, v60
.LBB335_192:                            ;   in Loop: Header=BB335_13 Depth=1
	s_or_b32 exec_lo, exec_lo, s51
.LBB335_193:                            ;   in Loop: Header=BB335_13 Depth=1
	s_or_b32 exec_lo, exec_lo, s49
.LBB335_194:                            ;   in Loop: Header=BB335_13 Depth=1
	s_or_b32 exec_lo, exec_lo, s48
	global_load_ushort v15, v[23:24], off offset:648
	v_mov_b32_e32 v62, 0
	v_mov_b32_e32 v61, 0
	s_waitcnt vmcnt(0)
	v_and_b32_e32 v63, 0xffff, v15
	v_cmp_ne_u16_sdwa s2, v15, v16 src0_sel:BYTE_0 src1_sel:DWORD
	s_and_saveexec_b32 s48, s2
	s_cbranch_execz .LBB335_202
; %bb.195:                              ;   in Loop: Header=BB335_13 Depth=1
	v_cmp_ne_u16_sdwa s2, v63, v33 src0_sel:BYTE_0 src1_sel:DWORD
	v_bfrev_b32_e32 v61, 1
	s_and_saveexec_b32 s49, s2
	s_cbranch_execz .LBB335_201
; %bb.196:                              ;   in Loop: Header=BB335_13 Depth=1
	v_and_b32_e32 v64, 0x7f, v63
	v_mov_b32_e32 v61, 0x7f800001
	s_mov_b32 s51, exec_lo
	v_cmpx_ne_u32_e32 0x7f, v64
	s_cbranch_execz .LBB335_200
; %bb.197:                              ;   in Loop: Header=BB335_13 Depth=1
	v_and_b32_e32 v15, 7, v63
	v_lshrrev_b32_e32 v61, 3, v64
	s_mov_b32 s52, exec_lo
	v_cmpx_gt_u32_e32 8, v64
; %bb.198:                              ;   in Loop: Header=BB335_13 Depth=1
	v_ffbh_u32_e32 v61, v15
	v_min_u32_e32 v61, 32, v61
	v_subrev_nc_u32_e32 v64, 28, v61
	v_sub_nc_u32_e32 v61, 29, v61
	v_lshlrev_b64 v[64:65], v64, v[15:16]
	v_and_b32_e32 v15, 7, v64
; %bb.199:                              ;   in Loop: Header=BB335_13 Depth=1
	s_or_b32 exec_lo, exec_lo, s52
	v_lshlrev_b32_e32 v64, 24, v63
	v_lshlrev_b32_e32 v15, 20, v15
	v_lshl_add_u32 v61, v61, 23, 0x3c000000
	v_and_b32_e32 v64, 0x80000000, v64
	v_or3_b32 v61, v15, v64, v61
.LBB335_200:                            ;   in Loop: Header=BB335_13 Depth=1
	s_or_b32 exec_lo, exec_lo, s51
.LBB335_201:                            ;   in Loop: Header=BB335_13 Depth=1
	s_or_b32 exec_lo, exec_lo, s49
.LBB335_202:                            ;   in Loop: Header=BB335_13 Depth=1
	s_or_b32 exec_lo, exec_lo, s48
	v_cmp_ne_u16_sdwa s2, v63, v16 src0_sel:BYTE_1 src1_sel:DWORD
	s_and_saveexec_b32 s48, s2
	s_cbranch_execz .LBB335_210
; %bb.203:                              ;   in Loop: Header=BB335_13 Depth=1
	v_cmp_ne_u16_sdwa s2, v63, v33 src0_sel:BYTE_1 src1_sel:DWORD
	v_bfrev_b32_e32 v62, 1
	s_and_saveexec_b32 s49, s2
	s_cbranch_execz .LBB335_209
; %bb.204:                              ;   in Loop: Header=BB335_13 Depth=1
	v_and_b32_sdwa v15, v34, v63 dst_sel:DWORD dst_unused:UNUSED_PAD src0_sel:DWORD src1_sel:BYTE_1
	v_mov_b32_e32 v62, 0x7f800001
	s_mov_b32 s51, exec_lo
	v_and_b32_e32 v64, 0x7f, v15
	v_cmpx_ne_u32_e32 0x7f, v64
	s_cbranch_execz .LBB335_208
; %bb.205:                              ;   in Loop: Header=BB335_13 Depth=1
	v_and_b32_e32 v15, 7, v15
	v_lshrrev_b32_e32 v62, 3, v64
	s_mov_b32 s52, exec_lo
	v_cmpx_gt_u32_e32 8, v64
; %bb.206:                              ;   in Loop: Header=BB335_13 Depth=1
	v_ffbh_u32_e32 v62, v15
	v_min_u32_e32 v62, 32, v62
	v_subrev_nc_u32_e32 v64, 28, v62
	v_sub_nc_u32_e32 v62, 29, v62
	v_lshlrev_b64 v[64:65], v64, v[15:16]
	v_and_b32_e32 v15, 7, v64
; %bb.207:                              ;   in Loop: Header=BB335_13 Depth=1
	s_or_b32 exec_lo, exec_lo, s52
	v_lshlrev_b32_e32 v63, 16, v63
	v_lshlrev_b32_e32 v15, 20, v15
	v_lshl_add_u32 v62, v62, 23, 0x3c000000
	v_and_b32_e32 v63, 0x80000000, v63
	v_or3_b32 v62, v15, v63, v62
.LBB335_208:                            ;   in Loop: Header=BB335_13 Depth=1
	s_or_b32 exec_lo, exec_lo, s51
.LBB335_209:                            ;   in Loop: Header=BB335_13 Depth=1
	s_or_b32 exec_lo, exec_lo, s49
.LBB335_210:                            ;   in Loop: Header=BB335_13 Depth=1
	s_or_b32 exec_lo, exec_lo, s48
	global_load_ushort v15, v[23:24], off offset:768
	v_mov_b32_e32 v64, 0
	v_mov_b32_e32 v63, 0
	s_waitcnt vmcnt(0)
	v_and_b32_e32 v65, 0xffff, v15
	v_cmp_ne_u16_sdwa s2, v15, v16 src0_sel:BYTE_0 src1_sel:DWORD
	s_and_saveexec_b32 s48, s2
	s_cbranch_execz .LBB335_218
; %bb.211:                              ;   in Loop: Header=BB335_13 Depth=1
	v_cmp_ne_u16_sdwa s2, v65, v33 src0_sel:BYTE_0 src1_sel:DWORD
	v_bfrev_b32_e32 v63, 1
	s_and_saveexec_b32 s49, s2
	s_cbranch_execz .LBB335_217
; %bb.212:                              ;   in Loop: Header=BB335_13 Depth=1
	v_and_b32_e32 v66, 0x7f, v65
	v_mov_b32_e32 v63, 0x7f800001
	s_mov_b32 s51, exec_lo
	v_cmpx_ne_u32_e32 0x7f, v66
	s_cbranch_execz .LBB335_216
; %bb.213:                              ;   in Loop: Header=BB335_13 Depth=1
	v_and_b32_e32 v15, 7, v65
	v_lshrrev_b32_e32 v63, 3, v66
	s_mov_b32 s52, exec_lo
	v_cmpx_gt_u32_e32 8, v66
; %bb.214:                              ;   in Loop: Header=BB335_13 Depth=1
	v_ffbh_u32_e32 v63, v15
	v_min_u32_e32 v63, 32, v63
	v_subrev_nc_u32_e32 v66, 28, v63
	v_sub_nc_u32_e32 v63, 29, v63
	v_lshlrev_b64 v[66:67], v66, v[15:16]
	v_and_b32_e32 v15, 7, v66
; %bb.215:                              ;   in Loop: Header=BB335_13 Depth=1
	s_or_b32 exec_lo, exec_lo, s52
	v_lshlrev_b32_e32 v66, 24, v65
	v_lshlrev_b32_e32 v15, 20, v15
	v_lshl_add_u32 v63, v63, 23, 0x3c000000
	v_and_b32_e32 v66, 0x80000000, v66
	v_or3_b32 v63, v15, v66, v63
.LBB335_216:                            ;   in Loop: Header=BB335_13 Depth=1
	s_or_b32 exec_lo, exec_lo, s51
.LBB335_217:                            ;   in Loop: Header=BB335_13 Depth=1
	s_or_b32 exec_lo, exec_lo, s49
.LBB335_218:                            ;   in Loop: Header=BB335_13 Depth=1
	s_or_b32 exec_lo, exec_lo, s48
	v_cmp_ne_u16_sdwa s2, v65, v16 src0_sel:BYTE_1 src1_sel:DWORD
	s_and_saveexec_b32 s48, s2
	s_cbranch_execz .LBB335_226
; %bb.219:                              ;   in Loop: Header=BB335_13 Depth=1
	v_cmp_ne_u16_sdwa s2, v65, v33 src0_sel:BYTE_1 src1_sel:DWORD
	v_bfrev_b32_e32 v64, 1
	s_and_saveexec_b32 s49, s2
	s_cbranch_execz .LBB335_225
; %bb.220:                              ;   in Loop: Header=BB335_13 Depth=1
	v_and_b32_sdwa v15, v34, v65 dst_sel:DWORD dst_unused:UNUSED_PAD src0_sel:DWORD src1_sel:BYTE_1
	v_mov_b32_e32 v64, 0x7f800001
	s_mov_b32 s51, exec_lo
	v_and_b32_e32 v66, 0x7f, v15
	v_cmpx_ne_u32_e32 0x7f, v66
	s_cbranch_execz .LBB335_224
; %bb.221:                              ;   in Loop: Header=BB335_13 Depth=1
	v_and_b32_e32 v15, 7, v15
	v_lshrrev_b32_e32 v64, 3, v66
	s_mov_b32 s52, exec_lo
	v_cmpx_gt_u32_e32 8, v66
; %bb.222:                              ;   in Loop: Header=BB335_13 Depth=1
	v_ffbh_u32_e32 v64, v15
	v_min_u32_e32 v64, 32, v64
	v_subrev_nc_u32_e32 v66, 28, v64
	v_sub_nc_u32_e32 v64, 29, v64
	v_lshlrev_b64 v[66:67], v66, v[15:16]
	v_and_b32_e32 v15, 7, v66
; %bb.223:                              ;   in Loop: Header=BB335_13 Depth=1
	s_or_b32 exec_lo, exec_lo, s52
	v_lshlrev_b32_e32 v65, 16, v65
	v_lshlrev_b32_e32 v15, 20, v15
	v_lshl_add_u32 v64, v64, 23, 0x3c000000
	v_and_b32_e32 v65, 0x80000000, v65
	v_or3_b32 v64, v15, v65, v64
.LBB335_224:                            ;   in Loop: Header=BB335_13 Depth=1
	s_or_b32 exec_lo, exec_lo, s51
.LBB335_225:                            ;   in Loop: Header=BB335_13 Depth=1
	s_or_b32 exec_lo, exec_lo, s49
.LBB335_226:                            ;   in Loop: Header=BB335_13 Depth=1
	s_or_b32 exec_lo, exec_lo, s48
	global_load_ushort v15, v[23:24], off offset:776
	v_mov_b32_e32 v23, 0
	v_mov_b32_e32 v65, 0
	s_waitcnt vmcnt(0)
	v_and_b32_e32 v24, 0xffff, v15
	v_cmp_ne_u16_sdwa s2, v15, v16 src0_sel:BYTE_0 src1_sel:DWORD
	s_and_saveexec_b32 s48, s2
	s_cbranch_execz .LBB335_234
; %bb.227:                              ;   in Loop: Header=BB335_13 Depth=1
	v_cmp_ne_u16_sdwa s2, v24, v33 src0_sel:BYTE_0 src1_sel:DWORD
	v_bfrev_b32_e32 v65, 1
	s_and_saveexec_b32 s49, s2
	s_cbranch_execz .LBB335_233
; %bb.228:                              ;   in Loop: Header=BB335_13 Depth=1
	v_and_b32_e32 v66, 0x7f, v24
	v_mov_b32_e32 v65, 0x7f800001
	s_mov_b32 s51, exec_lo
	v_cmpx_ne_u32_e32 0x7f, v66
	s_cbranch_execz .LBB335_232
; %bb.229:                              ;   in Loop: Header=BB335_13 Depth=1
	v_and_b32_e32 v15, 7, v24
	v_lshrrev_b32_e32 v65, 3, v66
	s_mov_b32 s52, exec_lo
	v_cmpx_gt_u32_e32 8, v66
; %bb.230:                              ;   in Loop: Header=BB335_13 Depth=1
	v_ffbh_u32_e32 v65, v15
	v_min_u32_e32 v65, 32, v65
	v_subrev_nc_u32_e32 v66, 28, v65
	v_sub_nc_u32_e32 v65, 29, v65
	v_lshlrev_b64 v[66:67], v66, v[15:16]
	v_and_b32_e32 v15, 7, v66
; %bb.231:                              ;   in Loop: Header=BB335_13 Depth=1
	s_or_b32 exec_lo, exec_lo, s52
	v_lshlrev_b32_e32 v66, 24, v24
	v_lshlrev_b32_e32 v15, 20, v15
	v_lshl_add_u32 v65, v65, 23, 0x3c000000
	v_and_b32_e32 v66, 0x80000000, v66
	v_or3_b32 v65, v15, v66, v65
.LBB335_232:                            ;   in Loop: Header=BB335_13 Depth=1
	s_or_b32 exec_lo, exec_lo, s51
.LBB335_233:                            ;   in Loop: Header=BB335_13 Depth=1
	s_or_b32 exec_lo, exec_lo, s49
.LBB335_234:                            ;   in Loop: Header=BB335_13 Depth=1
	s_or_b32 exec_lo, exec_lo, s48
	v_cmp_ne_u16_sdwa s2, v24, v16 src0_sel:BYTE_1 src1_sel:DWORD
	s_and_saveexec_b32 s48, s2
	s_cbranch_execz .LBB335_242
; %bb.235:                              ;   in Loop: Header=BB335_13 Depth=1
	v_cmp_ne_u16_sdwa s2, v24, v33 src0_sel:BYTE_1 src1_sel:DWORD
	v_bfrev_b32_e32 v23, 1
	s_and_saveexec_b32 s49, s2
	s_cbranch_execz .LBB335_241
; %bb.236:                              ;   in Loop: Header=BB335_13 Depth=1
	v_and_b32_sdwa v15, v34, v24 dst_sel:DWORD dst_unused:UNUSED_PAD src0_sel:DWORD src1_sel:BYTE_1
	v_mov_b32_e32 v23, 0x7f800001
	s_mov_b32 s51, exec_lo
	v_and_b32_e32 v66, 0x7f, v15
	v_cmpx_ne_u32_e32 0x7f, v66
	s_cbranch_execz .LBB335_240
; %bb.237:                              ;   in Loop: Header=BB335_13 Depth=1
	v_and_b32_e32 v15, 7, v15
	v_lshrrev_b32_e32 v23, 3, v66
	s_mov_b32 s52, exec_lo
	v_cmpx_gt_u32_e32 8, v66
; %bb.238:                              ;   in Loop: Header=BB335_13 Depth=1
	v_ffbh_u32_e32 v23, v15
	v_min_u32_e32 v23, 32, v23
	v_subrev_nc_u32_e32 v66, 28, v23
	v_sub_nc_u32_e32 v23, 29, v23
	v_lshlrev_b64 v[66:67], v66, v[15:16]
	v_and_b32_e32 v15, 7, v66
; %bb.239:                              ;   in Loop: Header=BB335_13 Depth=1
	s_or_b32 exec_lo, exec_lo, s52
	v_lshlrev_b32_e32 v24, 16, v24
	v_lshlrev_b32_e32 v15, 20, v15
	v_lshl_add_u32 v23, v23, 23, 0x3c000000
	v_and_b32_e32 v24, 0x80000000, v24
	v_or3_b32 v23, v15, v24, v23
.LBB335_240:                            ;   in Loop: Header=BB335_13 Depth=1
	s_or_b32 exec_lo, exec_lo, s51
.LBB335_241:                            ;   in Loop: Header=BB335_13 Depth=1
	s_or_b32 exec_lo, exec_lo, s49
.LBB335_242:                            ;   in Loop: Header=BB335_13 Depth=1
	s_or_b32 exec_lo, exec_lo, s48
	s_waitcnt lgkmcnt(0)
	v_mul_f32_e32 v15, s40, v65
	v_mul_f32_e32 v24, s40, v64
	;; [unrolled: 1-line block ×5, first 2 shown]
	v_bfe_u32 v64, v15, 16, 1
	v_bfe_u32 v65, v24, 16, 1
	v_or_b32_e32 v66, 0x400000, v15
	v_cmp_u_f32_e64 s2, v15, v15
	v_or_b32_e32 v67, 0x400000, v24
	v_add3_u32 v64, v64, v15, 0x7fff
	v_bfe_u32 v68, v63, 16, 1
	v_add3_u32 v65, v65, v24, 0x7fff
	v_bfe_u32 v69, v62, 16, 1
	v_mul_f32_e32 v51, s40, v51
	v_cndmask_b32_e64 v15, v64, v66, s2
	v_cmp_u_f32_e64 s2, v24, v24
	v_add3_u32 v64, v68, v63, 0x7fff
	v_add3_u32 v66, v69, v62, 0x7fff
	v_or_b32_e32 v68, 0x400000, v62
	v_mul_f32_e32 v50, s40, v50
	v_cndmask_b32_e64 v24, v65, v67, s2
	v_mul_f32_e32 v65, s40, v61
	v_or_b32_e32 v61, 0x400000, v63
	v_cmp_u_f32_e64 s2, v63, v63
	v_mul_f32_e32 v67, s40, v60
	v_mul_f32_e32 v49, s40, v49
	v_bfe_u32 v69, v65, 16, 1
	v_mul_f32_e32 v48, s40, v48
	v_cndmask_b32_e64 v60, v64, v61, s2
	v_cmp_u_f32_e64 s2, v62, v62
	v_bfe_u32 v63, v67, 16, 1
	v_add3_u32 v62, v69, v65, 0x7fff
	v_mul_f32_e32 v64, s40, v59
	v_or_b32_e32 v59, 0x400000, v65
	v_cndmask_b32_e64 v61, v66, v68, s2
	v_cmp_u_f32_e64 s2, v65, v65
	v_add3_u32 v63, v63, v67, 0x7fff
	v_mul_f32_e32 v66, s40, v58
	v_or_b32_e32 v68, 0x400000, v67
	v_bfe_u32 v69, v64, 16, 1
	v_cndmask_b32_e64 v58, v62, v59, s2
	v_cmp_u_f32_e64 s2, v67, v67
	v_bfe_u32 v62, v66, 16, 1
	v_mul_f32_e32 v65, s40, v57
	v_or_b32_e32 v57, 0x400000, v64
	v_mul_f32_e32 v67, s40, v56
	v_cndmask_b32_e64 v59, v63, v68, s2
	v_add3_u32 v63, v69, v64, 0x7fff
	v_cmp_u_f32_e64 s2, v64, v64
	v_add3_u32 v62, v62, v66, 0x7fff
	v_or_b32_e32 v68, 0x400000, v66
	v_bfe_u32 v69, v65, 16, 1
	v_mul_f32_e32 v64, s40, v55
	v_cndmask_b32_e64 v56, v63, v57, s2
	v_cmp_u_f32_e64 s2, v66, v66
	v_bfe_u32 v63, v67, 16, 1
	v_or_b32_e32 v55, 0x400000, v65
	v_mul_f32_e32 v66, s40, v54
	v_mul_f32_e32 v47, s40, v47
	v_cndmask_b32_e64 v57, v62, v68, s2
	v_add3_u32 v62, v69, v65, 0x7fff
	v_cmp_u_f32_e64 s2, v65, v65
	v_add3_u32 v63, v63, v67, 0x7fff
	v_or_b32_e32 v68, 0x400000, v67
	v_bfe_u32 v69, v64, 16, 1
	v_or_b32_e32 v65, 0x400000, v64
	v_cndmask_b32_e64 v54, v62, v55, s2
	v_cmp_u_f32_e64 s2, v67, v67
	v_bfe_u32 v62, v66, 16, 1
	v_mul_f32_e32 v67, s40, v52
	v_mul_f32_e32 v46, s40, v46
	;; [unrolled: 1-line block ×3, first 2 shown]
	v_cndmask_b32_e64 v55, v63, v68, s2
	v_add3_u32 v63, v69, v64, 0x7fff
	v_cmp_u_f32_e64 s2, v64, v64
	v_add3_u32 v62, v62, v66, 0x7fff
	v_or_b32_e32 v68, 0x400000, v66
	v_bfe_u32 v69, v53, 16, 1
	v_bfe_u32 v71, v46, 16, 1
	v_cndmask_b32_e64 v52, v63, v65, s2
	v_cmp_u_f32_e64 s2, v66, v66
	v_bfe_u32 v63, v67, 16, 1
	v_add3_u32 v64, v69, v53, 0x7fff
	v_or_b32_e32 v65, 0x400000, v53
	v_or_b32_e32 v66, 0x400000, v67
	v_cndmask_b32_e64 v62, v62, v68, s2
	v_cmp_u_f32_e64 s2, v53, v53
	v_add3_u32 v63, v63, v67, 0x7fff
	v_bfe_u32 v68, v51, 16, 1
	v_bfe_u32 v69, v48, 16, 1
	v_mul_f32_e32 v44, s40, v44
	v_cndmask_b32_e64 v53, v64, v65, s2
	v_bfe_u32 v64, v50, 16, 1
	v_cmp_u_f32_e64 s2, v67, v67
	v_add3_u32 v65, v68, v51, 0x7fff
	v_bfe_u32 v68, v49, 16, 1
	v_bfe_u32 v72, v45, 16, 1
	v_add3_u32 v64, v64, v50, 0x7fff
	v_cndmask_b32_e64 v63, v63, v66, s2
	v_or_b32_e32 v66, 0x400000, v50
	v_cmp_u_f32_e64 s2, v50, v50
	v_bfe_u32 v73, v44, 16, 1
	v_mul_f32_e32 v42, s40, v42
	v_mul_f32_e32 v41, s40, v41
	;; [unrolled: 1-line block ×3, first 2 shown]
	v_cndmask_b32_e64 v50, v64, v66, s2
	v_add3_u32 v64, v68, v49, 0x7fff
	v_add3_u32 v66, v69, v48, 0x7fff
	v_or_b32_e32 v68, 0x400000, v48
	v_bfe_u32 v69, v47, 16, 1
	v_cmp_u_f32_e64 s2, v48, v48
	v_or_b32_e32 v75, 0x400000, v42
	v_bfe_u32 v76, v41, 16, 1
	v_mul_f32_e32 v39, s40, v39
	v_bfe_u32 v77, v40, 16, 1
	v_cndmask_b32_e64 v48, v66, v68, s2
	v_add3_u32 v66, v69, v47, 0x7fff
	v_add3_u32 v68, v71, v46, 0x7fff
	v_or_b32_e32 v69, 0x400000, v46
	v_cmp_u_f32_e64 s2, v46, v46
	v_mul_f32_e32 v43, s40, v43
	v_add3_u32 v77, v77, v40, 0x7fff
	v_or_b32_e32 v78, 0x400000, v40
	v_or_b32_e32 v79, 0x400000, v39
	v_cndmask_b32_e64 v46, v68, v69, s2
	v_add3_u32 v68, v72, v45, 0x7fff
	v_add3_u32 v69, v73, v44, 0x7fff
	v_or_b32_e32 v72, 0x400000, v44
	v_cmp_u_f32_e64 s2, v44, v44
	v_bfe_u32 v73, v43, 16, 1
	v_or_b32_e32 v74, 0x400000, v45
	v_or_b32_e32 v71, 0x400000, v47
	;; [unrolled: 1-line block ×3, first 2 shown]
	v_cndmask_b32_e64 v44, v69, v72, s2
	v_bfe_u32 v69, v42, 16, 1
	v_cmp_u_f32_e64 s2, v42, v42
	v_add3_u32 v72, v73, v43, 0x7fff
	v_or_b32_e32 v73, 0x400000, v43
	v_or_b32_e32 v67, 0x400000, v51
	v_add3_u32 v69, v69, v42, 0x7fff
	v_cndmask_b32_e64 v42, v69, v75, s2
	v_add3_u32 v75, v76, v41, 0x7fff
	v_or_b32_e32 v76, 0x400000, v41
	v_cmp_u_f32_e64 s2, v41, v41
	v_bfe_u32 v69, v39, 16, 1
	v_and_b32_e32 v42, 0xffff0000, v42
	v_cndmask_b32_e64 v41, v75, v76, s2
	v_cmp_u_f32_e64 s2, v40, v40
	v_add3_u32 v69, v69, v39, 0x7fff
	v_lshlrev_b32_e32 v75, 16, v10
	v_and_b32_e32 v10, 0xffff0000, v10
	v_and_b32_e32 v41, 0xffff0000, v41
	v_cndmask_b32_e64 v40, v77, v78, s2
	v_cmp_u_f32_e64 s2, v39, v39
	v_mul_f32_e32 v10, v10, v42
	v_mul_f32_e32 v41, v75, v41
	v_and_b32_e32 v40, 0xffff0000, v40
	v_cndmask_b32_e64 v39, v69, v79, s2
	v_cmp_u_f32_e64 s2, v43, v43
	v_lshlrev_b32_e32 v69, 16, v9
	v_and_b32_e32 v9, 0xffff0000, v9
	v_lshlrev_b32_e32 v43, 16, v11
	v_and_b32_e32 v39, 0xffff0000, v39
	v_cndmask_b32_e64 v42, v72, v73, s2
	v_cmp_u_f32_e64 s2, v45, v45
	v_and_b32_e32 v11, 0xffff0000, v11
	v_fmac_f32_e32 v10, v9, v40
	v_fmac_f32_e32 v41, v69, v39
	v_and_b32_e32 v9, 0xffff0000, v42
	v_and_b32_e32 v39, 0xffff0000, v44
	v_cndmask_b32_e64 v40, v68, v74, s2
	v_cmp_u_f32_e64 s2, v47, v47
	v_lshlrev_b32_e32 v42, 16, v12
	v_and_b32_e32 v12, 0xffff0000, v12
	v_fmac_f32_e32 v41, v43, v9
	v_fmac_f32_e32 v10, v11, v39
	v_and_b32_e32 v9, 0xffff0000, v40
	v_and_b32_e32 v11, 0xffff0000, v46
	v_cndmask_b32_e64 v39, v66, v71, s2
	v_cmp_u_f32_e64 s2, v49, v49
	v_lshlrev_b32_e32 v40, 16, v5
	;; [unrolled: 8-line block ×3, first 2 shown]
	v_and_b32_e32 v6, 0xffff0000, v6
	v_fmac_f32_e32 v41, v40, v9
	v_fmac_f32_e32 v10, v5, v11
	v_and_b32_e32 v5, 0xffff0000, v12
	v_and_b32_e32 v9, 0xffff0000, v50
	v_cndmask_b32_e64 v11, v65, v67, s2
	v_lshlrev_b32_e32 v12, 16, v7
	v_and_b32_e32 v7, 0xffff0000, v7
	v_fmac_f32_e32 v41, v39, v5
	v_fmac_f32_e32 v10, v6, v9
	v_and_b32_e32 v5, 0xffff0000, v11
	v_and_b32_e32 v6, 0xffff0000, v63
	v_lshlrev_b32_e32 v9, 16, v8
	v_and_b32_e32 v8, 0xffff0000, v8
	v_lshlrev_b32_e32 v11, 16, v1
	v_fmac_f32_e32 v41, v12, v5
	v_fmac_f32_e32 v10, v7, v6
	v_and_b32_e32 v5, 0xffff0000, v53
	v_and_b32_e32 v6, 0xffff0000, v62
	;; [unrolled: 1-line block ×3, first 2 shown]
	v_lshlrev_b32_e32 v7, 16, v2
	v_and_b32_e32 v2, 0xffff0000, v2
	v_fmac_f32_e32 v41, v9, v5
	v_fmac_f32_e32 v10, v8, v6
	v_and_b32_e32 v5, 0xffff0000, v52
	v_and_b32_e32 v6, 0xffff0000, v55
	v_lshlrev_b32_e32 v12, 16, v3
	v_and_b32_e32 v3, 0xffff0000, v3
	v_lshlrev_b32_e32 v8, 16, v4
	v_fmac_f32_e32 v41, v11, v5
	v_fmac_f32_e32 v10, v1, v6
	v_and_b32_e32 v1, 0xffff0000, v54
	v_and_b32_e32 v5, 0xffff0000, v57
	v_mul_f32_e32 v11, s40, v23
	v_and_b32_e32 v4, 0xffff0000, v4
	v_lshlrev_b32_e32 v9, 16, v21
	v_fmac_f32_e32 v41, v7, v1
	v_fmac_f32_e32 v10, v2, v5
	v_and_b32_e32 v1, 0xffff0000, v56
	v_and_b32_e32 v2, 0xffff0000, v59
	v_bfe_u32 v7, v11, 16, 1
	v_cmp_u_f32_e64 s2, v11, v11
	v_xor_b32_e32 v5, 2, v27
	v_fmac_f32_e32 v41, v12, v1
	v_fmac_f32_e32 v10, v3, v2
	v_and_b32_e32 v1, 0xffff0000, v58
	v_and_b32_e32 v2, 0xffff0000, v61
	v_add3_u32 v3, v7, v11, 0x7fff
	v_or_b32_e32 v7, 0x400000, v11
	v_and_b32_e32 v12, 0xffff0000, v21
	v_fmac_f32_e32 v41, v8, v1
	v_fmac_f32_e32 v10, v4, v2
	v_and_b32_e32 v1, 0xffff0000, v60
	v_and_b32_e32 v2, 0xffff0000, v24
	v_cndmask_b32_e64 v3, v3, v7, s2
	v_lshlrev_b32_e32 v6, 16, v22
	v_and_b32_e32 v4, 0xffff0000, v22
	v_fmac_f32_e32 v41, v9, v1
	v_fmac_f32_e32 v10, v12, v2
	v_and_b32_e32 v1, 0xffff0000, v15
	v_and_b32_e32 v2, 0xffff0000, v3
	v_cmp_gt_i32_e64 s2, 32, v5
	v_fmac_f32_e32 v41, v6, v1
	v_fmac_f32_e32 v10, v4, v2
	v_cndmask_b32_e64 v3, v27, v5, s2
	v_add_f32_e32 v2, v41, v10
	v_lshlrev_b32_e32 v1, 2, v3
	v_xor_b32_e32 v3, 1, v27
	ds_bpermute_b32 v1, v1, v2
	v_cmp_gt_i32_e64 s2, 32, v3
	v_cndmask_b32_e64 v3, v27, v3, s2
	v_lshlrev_b32_e32 v3, 2, v3
	s_waitcnt lgkmcnt(0)
	v_add_f32_e32 v1, v2, v1
	ds_bpermute_b32 v2, v3, v1
	s_and_saveexec_b32 s40, vcc_lo
	s_cbranch_execz .LBB335_11
; %bb.243:                              ;   in Loop: Header=BB335_13 Depth=1
	v_add_nc_u32_e32 v3, v35, v31
	s_waitcnt lgkmcnt(0)
	v_add_f32_e32 v1, v1, v2
	v_cvt_f32_i32_e32 v3, v3
	v_mul_f32_e32 v3, s47, v3
	v_cndmask_b32_e64 v2, 0, v3, s1
	v_max_f32_e32 v3, v28, v28
	v_fmac_f32_e32 v2, s41, v1
	v_add_nc_u32_e32 v1, v29, v31
	v_max_f32_e32 v3, v3, v2
	v_cmp_gt_i32_e64 s2, s33, v1
	v_cndmask_b32_e64 v1, 0, v2, s2
	v_cndmask_b32_e64 v28, v28, v3, s2
	ds_write_b32 v36, v1
	s_branch .LBB335_11
.LBB335_244:
	s_or_b32 exec_lo, exec_lo, s16
.LBB335_245:
	s_or_b32 exec_lo, exec_lo, s14
	v_xor_b32_e32 v1, 16, v27
	v_xor_b32_e32 v3, 8, v27
	v_max_f32_e32 v4, v28, v28
	v_xor_b32_e32 v5, 4, v27
	v_and_b32_e32 v22, 31, v0
	v_cmp_gt_i32_e32 vcc_lo, 32, v1
	v_cndmask_b32_e32 v1, v27, v1, vcc_lo
	v_cmp_gt_i32_e32 vcc_lo, 32, v3
	s_waitcnt lgkmcnt(0)
	v_lshlrev_b32_e32 v2, 2, v1
	v_cndmask_b32_e32 v3, v27, v3, vcc_lo
	v_cmp_gt_i32_e32 vcc_lo, 32, v5
	ds_bpermute_b32 v1, v2, v28
	v_lshlrev_b32_e32 v3, 2, v3
	v_cndmask_b32_e32 v5, v27, v5, vcc_lo
	v_cmp_eq_u32_e32 vcc_lo, 0, v22
	v_lshlrev_b32_e32 v6, 2, v5
	s_waitcnt lgkmcnt(0)
	v_max_f32_e32 v1, v1, v1
	v_max_f32_e32 v1, v4, v1
	ds_bpermute_b32 v4, v3, v1
	s_waitcnt lgkmcnt(0)
	v_max_f32_e32 v4, v4, v4
	v_max_f32_e32 v1, v1, v4
	v_lshlrev_b32_e32 v4, 2, v25
	ds_bpermute_b32 v5, v6, v1
	s_and_saveexec_b32 s1, vcc_lo
	s_cbranch_execz .LBB335_247
; %bb.246:
	s_waitcnt lgkmcnt(0)
	v_max_f32_e32 v5, v5, v5
	v_max_f32_e32 v1, v1, v1
	;; [unrolled: 1-line block ×3, first 2 shown]
	ds_write_b32 v4, v1 offset:224
.LBB335_247:
	s_or_b32 exec_lo, exec_lo, s1
	v_cmp_gt_u32_e64 s1, 4, v22
	v_mov_b32_e32 v1, 0xff7fffff
	s_waitcnt lgkmcnt(0)
	v_lshlrev_b32_e32 v5, 2, v22
	s_barrier
	buffer_gl0_inv
	s_and_saveexec_b32 s2, s1
; %bb.248:
	ds_read_b32 v1, v5 offset:224
; %bb.249:
	s_or_b32 exec_lo, exec_lo, s2
	v_xor_b32_e32 v7, 2, v27
	v_xor_b32_e32 v9, 1, v27
	v_lshl_add_u32 v23, v0, 2, 0x100
	v_cmp_gt_i32_e64 s2, 32, v7
	v_cndmask_b32_e64 v7, v27, v7, s2
	v_cmp_gt_i32_e64 s2, 32, v9
	v_lshlrev_b32_e32 v7, 2, v7
	v_cndmask_b32_e64 v9, v27, v9, s2
	s_sub_i32 s2, s46, s15
	s_lshl_b32 s2, s2, 3
	s_waitcnt lgkmcnt(0)
	ds_bpermute_b32 v8, v7, v1
	v_max_f32_e32 v1, v1, v1
	s_add_i32 s2, s2, s11
	s_min_i32 s2, s2, s33
	s_sub_i32 s4, s2, s11
	v_cmp_gt_i32_e64 s2, s4, v0
	s_waitcnt lgkmcnt(0)
	v_max_f32_e32 v10, v8, v8
	v_lshlrev_b32_e32 v8, 2, v9
	v_max_f32_e32 v1, v1, v10
	ds_bpermute_b32 v9, v8, v1
	s_waitcnt lgkmcnt(0)
	v_max_f32_e32 v9, v9, v9
	v_max_f32_e32 v1, v1, v9
	v_mov_b32_e32 v9, 0
	ds_bpermute_b32 v1, v9, v1
	s_and_saveexec_b32 s5, s2
	s_cbranch_execz .LBB335_253
; %bb.250:
	v_lshl_add_u32 v10, v0, 2, 0x100
	v_mov_b32_e32 v9, 0
	v_mov_b32_e32 v11, v0
	s_mov_b32 s11, 0
	.p2align	6
.LBB335_251:                            ; =>This Inner Loop Header: Depth=1
	ds_read_b32 v12, v10
	v_add_nc_u32_e32 v11, 0x80, v11
	v_cmp_le_i32_e64 s3, s4, v11
	s_or_b32 s11, s3, s11
	s_waitcnt lgkmcnt(0)
	v_sub_f32_e32 v12, v12, v1
	v_mul_f32_e32 v12, 0x3fb8aa3b, v12
	v_exp_f32_e32 v12, v12
	ds_write_b32 v10, v12
	v_add_f32_e32 v9, v9, v12
	v_add_nc_u32_e32 v10, 0x200, v10
	s_andn2_b32 exec_lo, exec_lo, s11
	s_cbranch_execnz .LBB335_251
; %bb.252:
	s_or_b32 exec_lo, exec_lo, s11
.LBB335_253:
	s_or_b32 exec_lo, exec_lo, s5
	ds_bpermute_b32 v2, v2, v9
	s_waitcnt lgkmcnt(0)
	v_add_f32_e32 v2, v9, v2
	ds_bpermute_b32 v3, v3, v2
	s_waitcnt lgkmcnt(0)
	v_add_f32_e32 v2, v2, v3
	;; [unrolled: 3-line block ×5, first 2 shown]
	s_and_saveexec_b32 s3, vcc_lo
; %bb.254:
	ds_write_b32 v4, v2 offset:240
; %bb.255:
	s_or_b32 exec_lo, exec_lo, s3
	s_waitcnt lgkmcnt(0)
	s_barrier
	buffer_gl0_inv
	s_and_saveexec_b32 s3, s1
; %bb.256:
	ds_read_b32 v2, v5 offset:240
; %bb.257:
	s_or_b32 exec_lo, exec_lo, s3
	s_waitcnt lgkmcnt(0)
	ds_bpermute_b32 v3, v7, v2
	s_waitcnt lgkmcnt(0)
	v_add_f32_e32 v2, v2, v3
	ds_bpermute_b32 v3, v8, v2
	s_waitcnt lgkmcnt(0)
	v_add_f32_e32 v2, v2, v3
	v_mov_b32_e32 v3, 0
	ds_bpermute_b32 v2, v3, v2
	s_and_saveexec_b32 s1, s2
	s_cbranch_execz .LBB335_260
; %bb.258:
	s_waitcnt lgkmcnt(0)
	v_add_f32_e32 v4, 0x358637bd, v2
	s_mov_b32 s2, 0
	v_div_scale_f32 v3, null, v4, v4, 1.0
	v_div_scale_f32 v7, vcc_lo, 1.0, v4, 1.0
	v_rcp_f32_e32 v5, v3
	v_fma_f32 v6, -v3, v5, 1.0
	v_fmac_f32_e32 v5, v6, v5
	v_mul_f32_e32 v6, v7, v5
	v_fma_f32 v8, -v3, v6, v7
	v_fmac_f32_e32 v6, v8, v5
	v_fma_f32 v3, -v3, v6, v7
	v_div_fmas_f32 v5, v3, v5, v6
	v_mov_b32_e32 v3, v23
	v_div_fixup_f32 v4, v5, v4, 1.0
	v_mov_b32_e32 v5, v0
.LBB335_259:                            ; =>This Inner Loop Header: Depth=1
	ds_read_b32 v6, v3
	v_add_nc_u32_e32 v5, 0x80, v5
	v_cmp_le_i32_e32 vcc_lo, s4, v5
	s_or_b32 s2, vcc_lo, s2
	s_waitcnt lgkmcnt(0)
	v_mul_f32_e32 v6, v4, v6
	ds_write_b32 v3, v6
	v_add_nc_u32_e32 v3, 0x200, v3
	s_andn2_b32 exec_lo, exec_lo, s2
	s_cbranch_execnz .LBB335_259
.LBB335_260:
	s_or_b32 exec_lo, exec_lo, s1
	s_mul_i32 s1, s35, s10
	s_waitcnt lgkmcnt(0)
	s_mul_i32 s28, s1, s9
	s_mov_b32 s1, exec_lo
	s_barrier
	buffer_gl0_inv
	v_cmpx_eq_u32_e32 0, v0
	s_cbranch_execz .LBB335_262
; %bb.261:
	s_ashr_i32 s29, s28, 31
	s_mul_i32 s4, s35, s6
	s_lshl_b64 s[2:3], s[28:29], 2
	v_mov_b32_e32 v3, 0
	s_add_u32 s6, s22, s2
	s_addc_u32 s9, s23, s3
	s_ashr_i32 s5, s4, 31
	s_lshl_b64 s[4:5], s[4:5], 2
	s_add_u32 s6, s6, s4
	s_addc_u32 s15, s9, s5
	s_ashr_i32 s9, s8, 31
	s_lshl_b64 s[10:11], s[8:9], 2
	s_add_u32 s14, s6, s10
	s_addc_u32 s15, s15, s11
	s_add_u32 s2, s20, s2
	s_addc_u32 s3, s21, s3
	;; [unrolled: 2-line block ×4, first 2 shown]
	global_store_dword v3, v1, s[14:15]
	global_store_dword v3, v2, s[2:3]
.LBB335_262:
	s_or_b32 exec_lo, exec_lo, s1
	v_mov_b32_e32 v29, 0
	v_mov_b32_e32 v28, 0
	;; [unrolled: 1-line block ×4, first 2 shown]
	s_and_saveexec_b32 s29, s0
	s_cbranch_execz .LBB335_518
; %bb.263:
	s_sub_i32 s47, s12, s17
	s_ashr_i32 s0, s7, 31
	s_add_u32 s38, s38, s7
	s_addc_u32 s39, s39, s0
	s_abs_i32 s48, s18
	v_or_b32_e32 v4, 0x60, v22
	v_cvt_f32_u32_e32 v1, s48
	s_sub_i32 s0, 0, s48
	s_add_i32 s50, s50, -1
	v_lshlrev_b32_e32 v30, 3, v22
	v_mov_b32_e32 v10, 0
	v_rcp_iflag_f32_e32 v1, v1
	v_lshl_add_u32 v31, v25, 5, 0x100
	v_mov_b32_e32 v32, 0x80
	v_mov_b32_e32 v33, 0xffff
	;; [unrolled: 1-line block ×8, first 2 shown]
	v_mul_f32_e32 v3, 0x4f7ffffe, v1
	v_lshlrev_b64 v[1:2], 2, v[13:14]
	v_lshlrev_b32_e32 v37, 3, v4
	v_mov_b32_e32 v29, 0
	s_mov_b32 s40, -1
	v_cvt_u32_f32_e32 v3, v3
	s_mov_b32 s49, s13
	s_mov_b32 s41, 0xffffff
	v_cmp_gt_u32_e32 vcc_lo, 0x70, v4
	v_mul_lo_u32 v5, s0, v3
	s_lshl_b64 s[0:1], s[26:27], 2
	s_mov_b32 s27, 0
	s_add_u32 s0, s24, s0
	s_addc_u32 s1, s25, s1
	v_add_co_u32 v11, s0, s0, v1
	v_add_co_ci_u32_e64 v12, null, s1, v2, s0
	v_mul_hi_u32 v5, v3, v5
	v_add_nc_u32_e32 v38, v3, v5
	s_branch .LBB335_267
.LBB335_264:                            ;   in Loop: Header=BB335_267 Depth=1
	s_or_b32 exec_lo, exec_lo, s26
	v_perm_b32 v43, v56, v55, 0x7060302
	v_perm_b32 v55, v58, v57, 0x7060302
	v_lshlrev_b32_e32 v42, 16, v42
	v_lshlrev_b32_e32 v15, 16, v15
	v_perm_b32 v56, v60, v59, 0x7060302
	v_and_b32_e32 v58, 0xffff0000, v43
	v_lshlrev_b32_e32 v43, 16, v43
	v_lshlrev_b32_e32 v9, 16, v9
	;; [unrolled: 1-line block ×3, first 2 shown]
	v_perm_b32 v57, v62, v61, 0x7060302
	v_mul_f32_e32 v42, v58, v42
	v_and_b32_e32 v58, 0xffff0000, v55
	v_lshlrev_b32_e32 v55, 16, v55
	v_mul_f32_e32 v15, v43, v15
	v_and_b32_e32 v43, 0xffff0000, v56
	v_bfe_u32 v59, v42, 16, 1
	v_mul_f32_e32 v9, v58, v9
	v_mul_f32_e32 v14, v55, v14
	v_bfe_u32 v55, v15, 16, 1
	v_or_b32_e32 v58, 0x400000, v42
	v_add3_u32 v59, v59, v42, 0x7fff
	v_cmp_u_f32_e64 s0, v42, v42
	v_or_b32_e32 v60, 0x400000, v15
	v_bfe_u32 v61, v9, 16, 1
	v_add3_u32 v55, v55, v15, 0x7fff
	v_lshlrev_b32_e32 v2, 16, v2
	v_cndmask_b32_e64 v42, v59, v58, s0
	v_cmp_u_f32_e64 s0, v15, v15
	v_or_b32_e32 v58, 0x400000, v9
	v_bfe_u32 v59, v14, 16, 1
	v_mul_f32_e32 v2, v43, v2
	v_lshlrev_b32_e32 v43, 16, v56
	v_cndmask_b32_e64 v15, v55, v60, s0
	v_add3_u32 v55, v61, v9, 0x7fff
	v_lshlrev_b32_e32 v1, 16, v1
	v_cmp_u_f32_e64 s0, v9, v9
	v_or_b32_e32 v56, 0x400000, v14
	v_lshlrev_b32_e32 v4, 16, v4
	v_lshlrev_b32_e32 v3, 16, v3
	v_mul_f32_e32 v1, v43, v1
	v_cndmask_b32_e64 v9, v55, v58, s0
	v_add3_u32 v55, v59, v14, 0x7fff
	v_bfe_u32 v58, v2, 16, 1
	v_and_b32_e32 v43, 0xffff0000, v57
	v_lshlrev_b32_e32 v57, 16, v57
	v_cmp_u_f32_e64 s0, v14, v14
	v_and_b32_e32 v15, 0xffff0000, v15
	v_and_b32_e32 v42, 0xffff0000, v42
	v_mul_f32_e32 v4, v43, v4
	v_mul_f32_e32 v3, v57, v3
	v_cndmask_b32_e64 v14, v55, v56, s0
	v_bfe_u32 v55, v1, 16, 1
	v_add3_u32 v56, v58, v2, 0x7fff
	v_or_b32_e32 v43, 0x400000, v2
	v_cmp_u_f32_e64 s0, v2, v2
	v_or_b32_e32 v57, 0x400000, v1
	v_add3_u32 v55, v55, v1, 0x7fff
	v_bfe_u32 v59, v3, 16, 1
	v_bfe_u32 v58, v4, 16, 1
	v_cndmask_b32_e64 v2, v56, v43, s0
	v_cmp_u_f32_e64 s0, v1, v1
	v_or_b32_e32 v56, 0x400000, v3
	v_and_b32_e32 v14, 0xffff0000, v14
	v_add3_u32 v43, v58, v4, 0x7fff
	v_and_b32_e32 v9, 0xffff0000, v9
	v_cndmask_b32_e64 v1, v55, v57, s0
	v_add3_u32 v55, v59, v3, 0x7fff
	v_cmp_u_f32_e64 s0, v3, v3
	v_or_b32_e32 v57, 0x400000, v4
	v_add_f32_e32 v15, v15, v42
	v_add_f32_e32 v9, v14, v9
	v_and_b32_e32 v1, 0xffff0000, v1
	v_cndmask_b32_e64 v3, v55, v56, s0
	v_cmp_u_f32_e64 s0, v4, v4
	v_and_b32_e32 v2, 0xffff0000, v2
	v_add_f32_e32 v9, v9, v15
	v_cndmask_b32_e64 v4, v43, v57, s0
	v_add_f32_e32 v1, v1, v2
	v_and_b32_e32 v2, 0xffff0000, v3
	v_and_b32_e32 v3, 0xffff0000, v4
	v_add_f32_e32 v1, v1, v9
	v_add_f32_e32 v2, v2, v3
	v_add_f32_e32 v1, v2, v1
	v_add_f32_e32 v24, v24, v1
.LBB335_265:                            ;   in Loop: Header=BB335_267 Depth=1
	s_or_b32 exec_lo, exec_lo, s53
	v_bfe_u32 v1, v52, 16, 1
	v_or_b32_e32 v2, 0x400000, v52
	v_bfe_u32 v3, v51, 16, 1
	v_bfe_u32 v9, v50, 16, 1
	;; [unrolled: 1-line block ×3, first 2 shown]
	v_add3_u32 v1, v1, v52, 0x7fff
	v_bfe_u32 v15, v54, 16, 1
	v_or_b32_e32 v4, 0x400000, v51
	v_add3_u32 v3, v3, v51, 0x7fff
	v_add3_u32 v9, v9, v50, 0x7fff
	v_cndmask_b32_e64 v1, v1, v2, s24
	v_or_b32_e32 v2, 0x400000, v50
	v_add3_u32 v14, v14, v49, 0x7fff
	v_or_b32_e32 v42, 0x400000, v49
	v_add3_u32 v15, v15, v54, 0x7fff
	v_or_b32_e32 v43, 0x400000, v54
	v_bfe_u32 v49, v53, 16, 1
	v_cndmask_b32_e64 v3, v3, v4, s20
	v_cndmask_b32_e64 v2, v9, v2, s21
	;; [unrolled: 1-line block ×4, first 2 shown]
	v_add3_u32 v14, v49, v53, 0x7fff
	v_or_b32_e32 v15, 0x400000, v53
	v_bfe_u32 v42, v48, 16, 1
	v_and_b32_e32 v3, 0xffff0000, v3
	v_and_b32_e32 v1, 0xffff0000, v1
	;; [unrolled: 1-line block ×4, first 2 shown]
	v_cndmask_b32_e64 v14, v14, v15, s23
	v_add3_u32 v42, v42, v48, 0x7fff
	v_add_f32_e32 v1, v3, v1
	v_bfe_u32 v15, v47, 16, 1
	v_add_f32_e32 v2, v4, v2
	v_and_b32_e32 v3, 0xffff0000, v14
	v_and_b32_e32 v4, 0xffff0000, v9
	v_or_b32_e32 v9, 0x400000, v48
	v_add3_u32 v14, v15, v47, 0x7fff
	v_add_f32_e32 v1, v2, v1
	v_or_b32_e32 v15, 0x400000, v47
	v_add_f32_e32 v2, v3, v4
	v_cndmask_b32_e64 v3, v42, v9, s19
	v_bfe_u32 v4, v46, 16, 1
	v_bfe_u32 v42, v44, 16, 1
	v_cndmask_b32_e64 v9, v14, v15, s17
	v_add_f32_e32 v1, v2, v1
	v_and_b32_e32 v2, 0xffff0000, v3
	v_add3_u32 v3, v4, v46, 0x7fff
	v_or_b32_e32 v4, 0x400000, v46
	v_bfe_u32 v14, v45, 16, 1
	v_or_b32_e32 v15, 0x400000, v45
	v_add3_u32 v42, v42, v44, 0x7fff
	v_or_b32_e32 v43, 0x400000, v44
	v_cndmask_b32_e64 v3, v3, v4, s15
	v_bfe_u32 v4, v41, 16, 1
	v_add3_u32 v14, v14, v45, 0x7fff
	v_bfe_u32 v44, v20, 16, 1
	v_cndmask_b32_e64 v42, v42, v43, s16
	v_and_b32_e32 v3, 0xffff0000, v3
	v_add3_u32 v4, v4, v41, 0x7fff
	v_or_b32_e32 v41, 0x400000, v41
	v_cndmask_b32_e64 v14, v14, v15, s18
	v_bfe_u32 v15, v40, 16, 1
	v_and_b32_e32 v42, 0xffff0000, v42
	v_bfe_u32 v43, v39, 16, 1
	v_cndmask_b32_e64 v4, v4, v41, s13
	v_and_b32_e32 v14, 0xffff0000, v14
	v_add3_u32 v15, v15, v40, 0x7fff
	v_or_b32_e32 v40, 0x400000, v40
	v_add3_u32 v41, v43, v39, 0x7fff
	v_and_b32_e32 v4, 0xffff0000, v4
	v_add_f32_e32 v3, v14, v3
	v_or_b32_e32 v39, 0x400000, v39
	v_cndmask_b32_e64 v15, v15, v40, s14
	v_add3_u32 v40, v44, v20, 0x7fff
	v_or_b32_e32 v20, 0x400000, v20
	v_add_f32_e32 v4, v4, v42
	v_bfe_u32 v43, v21, 16, 1
	v_and_b32_e32 v15, 0xffff0000, v15
	v_and_b32_e32 v9, 0xffff0000, v9
	v_cndmask_b32_e64 v14, v40, v20, s10
	v_add_f32_e32 v3, v4, v3
	v_bfe_u32 v4, v18, 16, 1
	v_cndmask_b32_e64 v20, v41, v39, s11
	v_bfe_u32 v39, v19, 16, 1
	v_and_b32_e32 v14, 0xffff0000, v14
	v_bfe_u32 v40, v8, 16, 1
	v_add3_u32 v4, v4, v18, 0x7fff
	v_or_b32_e32 v18, 0x400000, v18
	v_add3_u32 v39, v39, v19, 0x7fff
	v_or_b32_e32 v19, 0x400000, v19
	v_add_f32_e32 v14, v14, v15
	v_bfe_u32 v15, v7, 16, 1
	v_cndmask_b32_e64 v4, v4, v18, s9
	v_bfe_u32 v18, v17, 16, 1
	v_cndmask_b32_e64 v19, v39, v19, s7
	v_bfe_u32 v39, v16, 16, 1
	v_add3_u32 v15, v15, v7, 0x7fff
	v_or_b32_e32 v7, 0x400000, v7
	v_add3_u32 v18, v18, v17, 0x7fff
	v_or_b32_e32 v17, 0x400000, v17
	;; [unrolled: 2-line block ×4, first 2 shown]
	v_bfe_u32 v41, v6, 16, 1
	v_cndmask_b32_e64 v7, v15, v7, s3
	v_cndmask_b32_e64 v15, v18, v17, s4
	v_bfe_u32 v18, v5, 16, 1
	v_add3_u32 v43, v43, v21, 0x7fff
	v_or_b32_e32 v21, 0x400000, v21
	v_cndmask_b32_e64 v16, v39, v16, s5
	v_cndmask_b32_e64 v8, v40, v8, s6
	v_add3_u32 v17, v41, v6, 0x7fff
	v_and_b32_e32 v4, 0xffff0000, v4
	v_and_b32_e32 v19, 0xffff0000, v19
	;; [unrolled: 1-line block ×4, first 2 shown]
	v_or_b32_e32 v6, 0x400000, v6
	v_add3_u32 v18, v18, v5, 0x7fff
	v_or_b32_e32 v5, 0x400000, v5
	v_cndmask_b32_e64 v21, v43, v21, s12
	v_add_f32_e32 v4, v4, v19
	v_add_f32_e32 v7, v15, v7
	v_and_b32_e32 v8, 0xffff0000, v8
	v_and_b32_e32 v15, 0xffff0000, v16
	v_cndmask_b32_e64 v5, v18, v5, s2
	v_cndmask_b32_e64 v6, v17, v6, s1
	v_and_b32_e32 v21, 0xffff0000, v21
	v_and_b32_e32 v16, 0xffff0000, v20
	v_add_f32_e32 v4, v7, v4
	v_add_f32_e32 v7, v8, v15
	v_and_b32_e32 v5, 0xffff0000, v5
	v_and_b32_e32 v6, 0xffff0000, v6
	v_add_f32_e32 v2, v2, v9
	v_add_f32_e32 v3, v14, v3
	;; [unrolled: 1-line block ×11, first 2 shown]
.LBB335_266:                            ;   in Loop: Header=BB335_267 Depth=1
	s_or_b32 exec_lo, exec_lo, s51
	v_add_nc_u32_e32 v13, 4, v13
	v_add_co_u32 v11, s1, v11, 16
	v_add_co_ci_u32_e64 v12, null, 0, v12, s1
	v_cmp_le_i32_e64 s0, s46, v13
	v_add_nc_u32_e32 v26, 32, v26
	v_add_nc_u32_e32 v31, 0x80, v31
	s_or_b32 s27, s0, s27
	s_andn2_b32 exec_lo, exec_lo, s27
	s_cbranch_execz .LBB335_517
.LBB335_267:                            ; =>This Inner Loop Header: Depth=1
	v_sub_nc_u32_e32 v1, 0, v26
	v_max_i32_e32 v1, v26, v1
	v_mul_hi_u32 v2, v1, s43
	v_mul_lo_u32 v3, v2, s42
	v_sub_nc_u32_e32 v1, v1, v3
	v_add_nc_u32_e32 v3, 1, v2
	v_subrev_nc_u32_e32 v4, s42, v1
	v_cmp_le_u32_e64 s0, s42, v1
	v_cndmask_b32_e64 v2, v2, v3, s0
	v_cndmask_b32_e64 v1, v1, v4, s0
	v_ashrrev_i32_e32 v3, 31, v26
	v_add_nc_u32_e32 v4, 1, v2
	v_cmp_le_u32_e64 s0, s42, v1
	v_xor_b32_e32 v3, s45, v3
	v_cndmask_b32_e64 v1, v2, v4, s0
	v_xor_b32_e32 v1, v1, v3
	v_sub_nc_u32_e32 v1, v1, v3
	v_add_nc_u32_e32 v2, s44, v1
	v_cmp_lt_i32_e64 s1, s47, v1
	v_sub_nc_u32_e32 v3, 0, v2
	v_max_i32_e32 v3, v2, v3
	v_ashrrev_i32_e32 v2, 31, v2
	v_mul_hi_u32 v4, v3, v38
	v_mul_lo_u32 v4, v4, s48
	v_sub_nc_u32_e32 v3, v3, v4
	v_subrev_nc_u32_e32 v4, s48, v3
	v_cmp_le_u32_e64 s0, s48, v3
	v_cndmask_b32_e64 v3, v3, v4, s0
	v_subrev_nc_u32_e32 v4, s48, v3
	v_cmp_le_u32_e64 s0, s48, v3
	v_cndmask_b32_e64 v3, v3, v4, s0
	v_xor_b32_e32 v3, v3, v2
	v_sub_nc_u32_e32 v2, v3, v2
	v_cmp_eq_u32_e64 s0, 0, v2
	s_or_b32 s0, s0, s1
	s_and_saveexec_b32 s51, s0
	s_cbranch_execz .LBB335_266
; %bb.268:                              ;   in Loop: Header=BB335_267 Depth=1
	global_load_dword v1, v[11:12], off
	v_mov_b32_e32 v40, 0
	v_mov_b32_e32 v42, 0
	s_waitcnt vmcnt(0)
	v_mad_i64_i32 v[14:15], null, v1, s49, s[38:39]
	v_add_co_u32 v16, s0, v14, v30
	v_add_co_ci_u32_e64 v17, null, 0, v15, s0
	global_load_dwordx2 v[18:19], v[16:17], off
	ds_read2_b64 v[5:8], v31 offset1:1
	ds_read2_b64 v[1:4], v31 offset0:2 offset1:3
	s_load_dword s52, s[30:31], 0x0
	s_waitcnt vmcnt(0)
	v_cmp_ne_u16_sdwa s0, v18, v10 src0_sel:BYTE_0 src1_sel:DWORD
	s_and_saveexec_b32 s1, s0
	s_cbranch_execz .LBB335_274
; %bb.269:                              ;   in Loop: Header=BB335_267 Depth=1
	v_cmp_ne_u16_sdwa s0, v18, v32 src0_sel:BYTE_0 src1_sel:DWORD
	v_bfrev_b32_e32 v42, 1
	s_and_saveexec_b32 s2, s0
	s_cbranch_execz .LBB335_273
; %bb.270:                              ;   in Loop: Header=BB335_267 Depth=1
	v_and_b32_e32 v9, 0x7f, v18
	v_mov_b32_e32 v42, 0x7f800001
	s_mov_b32 s3, exec_lo
	v_cmpx_ne_u32_e32 0x7f, v9
	s_cbranch_execz .LBB335_272
; %bb.271:                              ;   in Loop: Header=BB335_267 Depth=1
	v_and_b32_e32 v20, 7, v18
	v_lshrrev_b32_e32 v21, 3, v9
	v_cmp_gt_u32_e64 s0, 8, v9
	v_ffbh_u32_e32 v20, v20
	v_min_u32_e32 v20, 32, v20
	v_subrev_nc_u32_e32 v39, 28, v20
	v_sub_nc_u32_e32 v20, 29, v20
	v_cndmask_b32_e64 v9, v21, v20, s0
	v_cndmask_b32_e64 v20, 0, v39, s0
	v_lshl_add_u32 v9, v9, 23, 0x3c000000
	v_lshlrev_b64 v[20:21], v20, v[18:19]
	v_lshlrev_b32_e32 v21, 24, v18
	v_lshlrev_b32_e32 v20, 20, v20
	v_and_b32_e32 v21, 0x80000000, v21
	v_and_b32_e32 v20, 0x700000, v20
	v_or3_b32 v42, v20, v21, v9
.LBB335_272:                            ;   in Loop: Header=BB335_267 Depth=1
	s_or_b32 exec_lo, exec_lo, s3
.LBB335_273:                            ;   in Loop: Header=BB335_267 Depth=1
	s_or_b32 exec_lo, exec_lo, s2
.LBB335_274:                            ;   in Loop: Header=BB335_267 Depth=1
	s_or_b32 exec_lo, exec_lo, s1
	v_cmp_ne_u16_sdwa s0, v18, v10 src0_sel:BYTE_1 src1_sel:DWORD
	s_and_saveexec_b32 s1, s0
	s_cbranch_execz .LBB335_282
; %bb.275:                              ;   in Loop: Header=BB335_267 Depth=1
	v_cmp_ne_u16_sdwa s0, v18, v32 src0_sel:BYTE_1 src1_sel:DWORD
	v_bfrev_b32_e32 v40, 1
	s_and_saveexec_b32 s2, s0
	s_cbranch_execz .LBB335_281
; %bb.276:                              ;   in Loop: Header=BB335_267 Depth=1
	v_and_b32_sdwa v9, v33, v18 dst_sel:DWORD dst_unused:UNUSED_PAD src0_sel:DWORD src1_sel:BYTE_1
	v_mov_b32_e32 v40, 0x7f800001
	s_mov_b32 s3, exec_lo
	v_and_b32_e32 v21, 0x7f, v9
	v_cmpx_ne_u32_e32 0x7f, v21
	s_cbranch_execz .LBB335_280
; %bb.277:                              ;   in Loop: Header=BB335_267 Depth=1
	v_and_b32_e32 v9, 7, v9
	v_lshrrev_b32_e32 v20, 3, v21
	s_mov_b32 s4, exec_lo
	v_cmpx_gt_u32_e32 8, v21
; %bb.278:                              ;   in Loop: Header=BB335_267 Depth=1
	v_ffbh_u32_e32 v20, v9
	v_min_u32_e32 v20, 32, v20
	v_subrev_nc_u32_e32 v21, 28, v20
	v_sub_nc_u32_e32 v20, 29, v20
	v_lshlrev_b64 v[39:40], v21, v[9:10]
	v_and_b32_e32 v9, 7, v39
; %bb.279:                              ;   in Loop: Header=BB335_267 Depth=1
	s_or_b32 exec_lo, exec_lo, s4
	v_lshlrev_b32_e32 v21, 16, v18
	v_lshlrev_b32_e32 v9, 20, v9
	v_lshl_add_u32 v20, v20, 23, 0x3c000000
	v_and_b32_e32 v21, 0x80000000, v21
	v_or3_b32 v40, v9, v21, v20
.LBB335_280:                            ;   in Loop: Header=BB335_267 Depth=1
	s_or_b32 exec_lo, exec_lo, s3
.LBB335_281:                            ;   in Loop: Header=BB335_267 Depth=1
	s_or_b32 exec_lo, exec_lo, s2
.LBB335_282:                            ;   in Loop: Header=BB335_267 Depth=1
	s_or_b32 exec_lo, exec_lo, s1
	v_and_b32_sdwa v9, v18, v34 dst_sel:DWORD dst_unused:UNUSED_PAD src0_sel:WORD_1 src1_sel:DWORD
	v_mov_b32_e32 v41, 0
	v_mov_b32_e32 v39, 0
	s_mov_b32 s1, exec_lo
	v_cmpx_ne_u16_e32 0, v9
	s_cbranch_execz .LBB335_290
; %bb.283:                              ;   in Loop: Header=BB335_267 Depth=1
	v_bfrev_b32_e32 v39, 1
	s_mov_b32 s2, exec_lo
	v_cmpx_ne_u16_e32 0x80, v9
	s_cbranch_execz .LBB335_289
; %bb.284:                              ;   in Loop: Header=BB335_267 Depth=1
	v_bfe_u32 v21, v18, 16, 7
	v_mov_b32_e32 v39, 0x7f800001
	s_mov_b32 s3, exec_lo
	v_cmpx_ne_u32_e32 0x7f, v21
	s_cbranch_execz .LBB335_288
; %bb.285:                              ;   in Loop: Header=BB335_267 Depth=1
	v_and_b32_sdwa v9, v18, v35 dst_sel:DWORD dst_unused:UNUSED_PAD src0_sel:WORD_1 src1_sel:DWORD
	v_lshrrev_b32_e32 v20, 3, v21
	s_mov_b32 s4, exec_lo
	v_cmpx_gt_u32_e32 8, v21
; %bb.286:                              ;   in Loop: Header=BB335_267 Depth=1
	v_ffbh_u32_e32 v20, v9
	v_min_u32_e32 v20, 32, v20
	v_subrev_nc_u32_e32 v21, 28, v20
	v_sub_nc_u32_e32 v20, 29, v20
	v_lshlrev_b64 v[43:44], v21, v[9:10]
	v_and_b32_e32 v9, 7, v43
; %bb.287:                              ;   in Loop: Header=BB335_267 Depth=1
	s_or_b32 exec_lo, exec_lo, s4
	v_lshlrev_b32_sdwa v21, v36, v18 dst_sel:DWORD dst_unused:UNUSED_PAD src0_sel:DWORD src1_sel:WORD_1
	v_lshlrev_b32_e32 v9, 20, v9
	v_lshl_add_u32 v20, v20, 23, 0x3c000000
	v_and_b32_e32 v21, 0x80000000, v21
	v_or3_b32 v39, v9, v21, v20
.LBB335_288:                            ;   in Loop: Header=BB335_267 Depth=1
	s_or_b32 exec_lo, exec_lo, s3
.LBB335_289:                            ;   in Loop: Header=BB335_267 Depth=1
	s_or_b32 exec_lo, exec_lo, s2
.LBB335_290:                            ;   in Loop: Header=BB335_267 Depth=1
	s_or_b32 exec_lo, exec_lo, s1
	s_mov_b32 s1, exec_lo
	v_cmpx_lt_u32_e32 0xffffff, v18
	s_cbranch_execz .LBB335_298
; %bb.291:                              ;   in Loop: Header=BB335_267 Depth=1
	v_cmp_ne_u32_sdwa s0, v18, v32 src0_sel:BYTE_3 src1_sel:DWORD
	v_bfrev_b32_e32 v41, 1
	s_and_saveexec_b32 s2, s0
	s_cbranch_execz .LBB335_297
; %bb.292:                              ;   in Loop: Header=BB335_267 Depth=1
	v_bfe_u32 v21, v18, 24, 7
	v_mov_b32_e32 v41, 0x7f800001
	s_mov_b32 s3, exec_lo
	v_cmpx_ne_u32_e32 0x7f, v21
	s_cbranch_execz .LBB335_296
; %bb.293:                              ;   in Loop: Header=BB335_267 Depth=1
	v_and_b32_sdwa v9, v18, v35 dst_sel:DWORD dst_unused:UNUSED_PAD src0_sel:BYTE_3 src1_sel:DWORD
	v_lshrrev_b32_e32 v20, 3, v21
	s_mov_b32 s4, exec_lo
	v_cmpx_gt_u32_e32 8, v21
; %bb.294:                              ;   in Loop: Header=BB335_267 Depth=1
	v_ffbh_u32_e32 v20, v9
	v_min_u32_e32 v20, 32, v20
	v_subrev_nc_u32_e32 v21, 28, v20
	v_sub_nc_u32_e32 v20, 29, v20
	v_lshlrev_b64 v[43:44], v21, v[9:10]
	v_and_b32_e32 v9, 7, v43
; %bb.295:                              ;   in Loop: Header=BB335_267 Depth=1
	s_or_b32 exec_lo, exec_lo, s4
	v_lshlrev_b32_sdwa v21, v36, v18 dst_sel:DWORD dst_unused:UNUSED_PAD src0_sel:DWORD src1_sel:BYTE_3
	v_lshlrev_b32_e32 v9, 20, v9
	v_lshl_add_u32 v20, v20, 23, 0x3c000000
	v_and_b32_e32 v21, 0x80000000, v21
	v_or3_b32 v41, v9, v21, v20
.LBB335_296:                            ;   in Loop: Header=BB335_267 Depth=1
	s_or_b32 exec_lo, exec_lo, s3
.LBB335_297:                            ;   in Loop: Header=BB335_267 Depth=1
	s_or_b32 exec_lo, exec_lo, s2
.LBB335_298:                            ;   in Loop: Header=BB335_267 Depth=1
	s_or_b32 exec_lo, exec_lo, s1
	v_mov_b32_e32 v9, v19
	v_cmp_ne_u16_sdwa s0, v19, v10 src0_sel:BYTE_0 src1_sel:DWORD
	v_mov_b32_e32 v20, 0
	v_mov_b32_e32 v43, 0
	s_and_saveexec_b32 s1, s0
	s_cbranch_execz .LBB335_304
; %bb.299:                              ;   in Loop: Header=BB335_267 Depth=1
	v_cmp_ne_u16_sdwa s0, v19, v32 src0_sel:BYTE_0 src1_sel:DWORD
	v_bfrev_b32_e32 v43, 1
	s_and_saveexec_b32 s2, s0
	s_cbranch_execz .LBB335_303
; %bb.300:                              ;   in Loop: Header=BB335_267 Depth=1
	v_and_b32_e32 v21, 0x7f, v19
	v_mov_b32_e32 v43, 0x7f800001
	s_mov_b32 s3, exec_lo
	v_cmpx_ne_u32_e32 0x7f, v21
	s_cbranch_execz .LBB335_302
; %bb.301:                              ;   in Loop: Header=BB335_267 Depth=1
	v_and_b32_e32 v43, 7, v19
	v_lshrrev_b32_e32 v44, 3, v21
	v_cmp_gt_u32_e64 s0, 8, v21
	v_ffbh_u32_e32 v43, v43
	v_min_u32_e32 v43, 32, v43
	v_subrev_nc_u32_e32 v45, 28, v43
	v_sub_nc_u32_e32 v43, 29, v43
	v_cndmask_b32_e64 v21, v44, v43, s0
	v_cndmask_b32_e64 v43, 0, v45, s0
	v_lshl_add_u32 v21, v21, 23, 0x3c000000
	v_lshlrev_b64 v[43:44], v43, v[9:10]
	v_lshlrev_b32_e32 v44, 24, v9
	v_lshlrev_b32_e32 v43, 20, v43
	v_and_b32_e32 v44, 0x80000000, v44
	v_and_b32_e32 v43, 0x700000, v43
	v_or3_b32 v43, v43, v44, v21
.LBB335_302:                            ;   in Loop: Header=BB335_267 Depth=1
	s_or_b32 exec_lo, exec_lo, s3
.LBB335_303:                            ;   in Loop: Header=BB335_267 Depth=1
	s_or_b32 exec_lo, exec_lo, s2
.LBB335_304:                            ;   in Loop: Header=BB335_267 Depth=1
	s_or_b32 exec_lo, exec_lo, s1
	v_cmp_ne_u16_sdwa s0, v9, v10 src0_sel:BYTE_1 src1_sel:DWORD
	s_and_saveexec_b32 s1, s0
	s_cbranch_execz .LBB335_312
; %bb.305:                              ;   in Loop: Header=BB335_267 Depth=1
	v_cmp_ne_u16_sdwa s0, v9, v32 src0_sel:BYTE_1 src1_sel:DWORD
	v_bfrev_b32_e32 v20, 1
	s_and_saveexec_b32 s2, s0
	s_cbranch_execz .LBB335_311
; %bb.306:                              ;   in Loop: Header=BB335_267 Depth=1
	v_and_b32_sdwa v21, v33, v9 dst_sel:DWORD dst_unused:UNUSED_PAD src0_sel:DWORD src1_sel:BYTE_1
	v_mov_b32_e32 v20, 0x7f800001
	s_mov_b32 s3, exec_lo
	v_and_b32_e32 v45, 0x7f, v21
	v_cmpx_ne_u32_e32 0x7f, v45
	s_cbranch_execz .LBB335_310
; %bb.307:                              ;   in Loop: Header=BB335_267 Depth=1
	v_and_b32_e32 v20, 7, v21
	v_mov_b32_e32 v21, v10
	v_lshrrev_b32_e32 v44, 3, v45
	s_mov_b32 s4, exec_lo
	v_cmpx_gt_u32_e32 8, v45
; %bb.308:                              ;   in Loop: Header=BB335_267 Depth=1
	v_ffbh_u32_e32 v44, v20
	v_min_u32_e32 v44, 32, v44
	v_subrev_nc_u32_e32 v45, 28, v44
	v_sub_nc_u32_e32 v44, 29, v44
	v_lshlrev_b64 v[20:21], v45, v[20:21]
	v_and_b32_e32 v20, 7, v20
; %bb.309:                              ;   in Loop: Header=BB335_267 Depth=1
	s_or_b32 exec_lo, exec_lo, s4
	v_lshlrev_b32_e32 v9, 16, v9
	v_lshlrev_b32_e32 v20, 20, v20
	v_lshl_add_u32 v21, v44, 23, 0x3c000000
	v_and_b32_e32 v9, 0x80000000, v9
	v_or3_b32 v20, v20, v9, v21
.LBB335_310:                            ;   in Loop: Header=BB335_267 Depth=1
	s_or_b32 exec_lo, exec_lo, s3
.LBB335_311:                            ;   in Loop: Header=BB335_267 Depth=1
	s_or_b32 exec_lo, exec_lo, s2
.LBB335_312:                            ;   in Loop: Header=BB335_267 Depth=1
	s_or_b32 exec_lo, exec_lo, s1
	v_and_b32_sdwa v9, v19, v34 dst_sel:DWORD dst_unused:UNUSED_PAD src0_sel:WORD_1 src1_sel:DWORD
	v_mov_b32_e32 v21, 0
	v_mov_b32_e32 v44, 0
	s_mov_b32 s1, exec_lo
	v_cmpx_ne_u16_e32 0, v9
	s_cbranch_execz .LBB335_320
; %bb.313:                              ;   in Loop: Header=BB335_267 Depth=1
	v_bfrev_b32_e32 v44, 1
	s_mov_b32 s2, exec_lo
	v_cmpx_ne_u16_e32 0x80, v9
	s_cbranch_execz .LBB335_319
; %bb.314:                              ;   in Loop: Header=BB335_267 Depth=1
	v_bfe_u32 v45, v19, 16, 7
	v_mov_b32_e32 v44, 0x7f800001
	s_mov_b32 s3, exec_lo
	v_cmpx_ne_u32_e32 0x7f, v45
	s_cbranch_execz .LBB335_318
; %bb.315:                              ;   in Loop: Header=BB335_267 Depth=1
	v_and_b32_sdwa v9, v19, v35 dst_sel:DWORD dst_unused:UNUSED_PAD src0_sel:WORD_1 src1_sel:DWORD
	v_lshrrev_b32_e32 v44, 3, v45
	s_mov_b32 s4, exec_lo
	v_cmpx_gt_u32_e32 8, v45
; %bb.316:                              ;   in Loop: Header=BB335_267 Depth=1
	v_ffbh_u32_e32 v44, v9
	v_min_u32_e32 v44, 32, v44
	v_subrev_nc_u32_e32 v45, 28, v44
	v_sub_nc_u32_e32 v44, 29, v44
	v_lshlrev_b64 v[45:46], v45, v[9:10]
	v_and_b32_e32 v9, 7, v45
; %bb.317:                              ;   in Loop: Header=BB335_267 Depth=1
	s_or_b32 exec_lo, exec_lo, s4
	v_lshlrev_b32_sdwa v45, v36, v19 dst_sel:DWORD dst_unused:UNUSED_PAD src0_sel:DWORD src1_sel:WORD_1
	v_lshlrev_b32_e32 v9, 20, v9
	v_lshl_add_u32 v44, v44, 23, 0x3c000000
	v_and_b32_e32 v45, 0x80000000, v45
	v_or3_b32 v44, v9, v45, v44
.LBB335_318:                            ;   in Loop: Header=BB335_267 Depth=1
	s_or_b32 exec_lo, exec_lo, s3
.LBB335_319:                            ;   in Loop: Header=BB335_267 Depth=1
	s_or_b32 exec_lo, exec_lo, s2
.LBB335_320:                            ;   in Loop: Header=BB335_267 Depth=1
	s_or_b32 exec_lo, exec_lo, s1
	s_mov_b32 s1, exec_lo
	v_cmpx_lt_u64_e64 s[40:41], v[18:19]
	s_cbranch_execz .LBB335_328
; %bb.321:                              ;   in Loop: Header=BB335_267 Depth=1
	v_cmp_ne_u32_sdwa s0, v19, v32 src0_sel:BYTE_3 src1_sel:DWORD
	v_bfrev_b32_e32 v21, 1
	s_and_saveexec_b32 s2, s0
	s_cbranch_execz .LBB335_327
; %bb.322:                              ;   in Loop: Header=BB335_267 Depth=1
	v_bfe_u32 v45, v19, 24, 7
	v_mov_b32_e32 v21, 0x7f800001
	s_mov_b32 s3, exec_lo
	v_cmpx_ne_u32_e32 0x7f, v45
	s_cbranch_execz .LBB335_326
; %bb.323:                              ;   in Loop: Header=BB335_267 Depth=1
	v_and_b32_sdwa v9, v19, v35 dst_sel:DWORD dst_unused:UNUSED_PAD src0_sel:BYTE_3 src1_sel:DWORD
	v_lshrrev_b32_e32 v18, 3, v45
	s_mov_b32 s4, exec_lo
	v_cmpx_gt_u32_e32 8, v45
; %bb.324:                              ;   in Loop: Header=BB335_267 Depth=1
	v_ffbh_u32_e32 v18, v9
	v_min_u32_e32 v18, 32, v18
	v_subrev_nc_u32_e32 v21, 28, v18
	v_sub_nc_u32_e32 v18, 29, v18
	v_lshlrev_b64 v[45:46], v21, v[9:10]
	v_and_b32_e32 v9, 7, v45
; %bb.325:                              ;   in Loop: Header=BB335_267 Depth=1
	s_or_b32 exec_lo, exec_lo, s4
	v_lshlrev_b32_sdwa v19, v36, v19 dst_sel:DWORD dst_unused:UNUSED_PAD src0_sel:DWORD src1_sel:BYTE_3
	v_lshlrev_b32_e32 v9, 20, v9
	v_lshl_add_u32 v18, v18, 23, 0x3c000000
	v_and_b32_e32 v19, 0x80000000, v19
	v_or3_b32 v21, v9, v19, v18
.LBB335_326:                            ;   in Loop: Header=BB335_267 Depth=1
	s_or_b32 exec_lo, exec_lo, s3
.LBB335_327:                            ;   in Loop: Header=BB335_267 Depth=1
	s_or_b32 exec_lo, exec_lo, s2
.LBB335_328:                            ;   in Loop: Header=BB335_267 Depth=1
	s_or_b32 exec_lo, exec_lo, s1
	s_waitcnt lgkmcnt(0)
	v_mul_f32_e32 v9, s52, v20
	v_mul_f32_e32 v18, s52, v43
	;; [unrolled: 1-line block ×5, first 2 shown]
	v_bfe_u32 v20, v9, 16, 1
	v_or_b32_e32 v39, 0x400000, v9
	v_bfe_u32 v41, v18, 16, 1
	v_cmp_u_f32_e64 s1, v9, v9
	v_or_b32_e32 v45, 0x400000, v18
	v_add3_u32 v20, v20, v9, 0x7fff
	v_bfe_u32 v46, v19, 16, 1
	v_add3_u32 v41, v41, v18, 0x7fff
	v_or_b32_e32 v47, 0x400000, v19
	v_cmp_eq_u32_e64 s0, s50, v13
	v_cndmask_b32_e64 v9, v20, v39, s1
	v_cmp_u_f32_e64 s1, v18, v18
	v_bfe_u32 v20, v43, 16, 1
	v_add3_u32 v46, v46, v19, 0x7fff
	v_lshrrev_b32_e32 v39, 16, v9
	v_cndmask_b32_e64 v18, v41, v45, s1
	v_cmp_u_f32_e64 s1, v19, v19
	v_mul_f32_e32 v19, s52, v40
	v_add3_u32 v20, v20, v43, 0x7fff
	v_or_b32_e32 v45, 0x400000, v43
	v_lshrrev_b32_e32 v40, 16, v18
	v_cndmask_b32_e64 v9, v46, v47, s1
	v_cmp_u_f32_e64 s1, v43, v43
	v_or_b32_e32 v43, 0x400000, v19
	v_or_b32_e32 v47, 0x400000, v21
	v_lshrrev_b32_e32 v41, 16, v9
	v_bfe_u32 v9, v19, 16, 1
	v_cndmask_b32_e64 v18, v20, v45, s1
	v_mul_f32_e32 v20, s52, v42
	v_mul_f32_e32 v42, s52, v44
	v_cmp_u_f32_e64 s1, v19, v19
	v_add3_u32 v9, v9, v19, 0x7fff
	v_bfe_u32 v19, v21, 16, 1
	v_bfe_u32 v44, v20, 16, 1
	;; [unrolled: 1-line block ×3, first 2 shown]
	v_or_b32_e32 v46, 0x400000, v42
	v_cndmask_b32_e64 v9, v9, v43, s1
	v_cmp_u_f32_e64 s1, v20, v20
	v_add3_u32 v43, v44, v20, 0x7fff
	v_or_b32_e32 v44, 0x400000, v20
	v_add3_u32 v45, v45, v42, 0x7fff
	v_add3_u32 v19, v19, v21, 0x7fff
	v_cndmask_b32_e64 v20, v43, v44, s1
	v_cmp_u_f32_e64 s1, v42, v42
	v_lshrrev_b32_e32 v44, 16, v18
	v_cndmask_b32_e64 v42, v45, v46, s1
	v_cmp_u_f32_e64 s1, v21, v21
	v_lshrrev_b32_e32 v46, 16, v9
	v_lshrrev_b32_e32 v45, 16, v20
	;; [unrolled: 1-line block ×3, first 2 shown]
	v_cndmask_b32_e64 v19, v19, v47, s1
	v_lshrrev_b32_e32 v43, 16, v19
	s_and_saveexec_b32 s2, s0
	s_cbranch_execz .LBB335_330
; %bb.329:                              ;   in Loop: Header=BB335_267 Depth=1
	v_add_nc_u32_e32 v9, 1, v26
	v_cmp_gt_i32_e64 s1, s33, v26
	v_add_nc_u32_e32 v18, 2, v26
	v_add_nc_u32_e32 v19, 3, v26
	v_cndmask_b32_e64 v45, 0, v45, s1
	v_cmp_gt_i32_e64 s1, s33, v9
	v_add_nc_u32_e32 v9, 4, v26
	v_cndmask_b32_e64 v46, 0, v46, s1
	v_cmp_gt_i32_e64 s1, s33, v18
	;; [unrolled: 3-line block ×5, first 2 shown]
	v_cndmask_b32_e64 v39, 0, v39, s1
	v_cmp_gt_i32_e64 s1, s33, v19
	v_cndmask_b32_e64 v42, 0, v42, s1
	v_cmp_gt_i32_e64 s1, s33, v9
	v_cndmask_b32_e64 v43, 0, v43, s1
.LBB335_330:                            ;   in Loop: Header=BB335_267 Depth=1
	s_or_b32 exec_lo, exec_lo, s2
	global_load_dwordx2 v[18:19], v[16:17], off offset:256
	v_mov_b32_e32 v47, 0
	v_mov_b32_e32 v48, 0
	s_waitcnt vmcnt(0)
	v_cmp_ne_u16_sdwa s1, v18, v10 src0_sel:BYTE_0 src1_sel:DWORD
	s_and_saveexec_b32 s2, s1
	s_cbranch_execz .LBB335_336
; %bb.331:                              ;   in Loop: Header=BB335_267 Depth=1
	v_cmp_ne_u16_sdwa s1, v18, v32 src0_sel:BYTE_0 src1_sel:DWORD
	v_bfrev_b32_e32 v48, 1
	s_and_saveexec_b32 s3, s1
	s_cbranch_execz .LBB335_335
; %bb.332:                              ;   in Loop: Header=BB335_267 Depth=1
	v_and_b32_e32 v9, 0x7f, v18
	v_mov_b32_e32 v48, 0x7f800001
	s_mov_b32 s4, exec_lo
	v_cmpx_ne_u32_e32 0x7f, v9
	s_cbranch_execz .LBB335_334
; %bb.333:                              ;   in Loop: Header=BB335_267 Depth=1
	v_and_b32_e32 v20, 7, v18
	v_lshrrev_b32_e32 v21, 3, v9
	v_cmp_gt_u32_e64 s1, 8, v9
	v_ffbh_u32_e32 v20, v20
	v_min_u32_e32 v20, 32, v20
	v_subrev_nc_u32_e32 v48, 28, v20
	v_sub_nc_u32_e32 v20, 29, v20
	v_cndmask_b32_e64 v9, v21, v20, s1
	v_cndmask_b32_e64 v20, 0, v48, s1
	v_lshl_add_u32 v9, v9, 23, 0x3c000000
	v_lshlrev_b64 v[20:21], v20, v[18:19]
	v_lshlrev_b32_e32 v21, 24, v18
	v_lshlrev_b32_e32 v20, 20, v20
	v_and_b32_e32 v21, 0x80000000, v21
	v_and_b32_e32 v20, 0x700000, v20
	v_or3_b32 v48, v20, v21, v9
.LBB335_334:                            ;   in Loop: Header=BB335_267 Depth=1
	s_or_b32 exec_lo, exec_lo, s4
.LBB335_335:                            ;   in Loop: Header=BB335_267 Depth=1
	s_or_b32 exec_lo, exec_lo, s3
.LBB335_336:                            ;   in Loop: Header=BB335_267 Depth=1
	s_or_b32 exec_lo, exec_lo, s2
	v_cmp_ne_u16_sdwa s1, v18, v10 src0_sel:BYTE_1 src1_sel:DWORD
	s_and_saveexec_b32 s2, s1
	s_cbranch_execz .LBB335_344
; %bb.337:                              ;   in Loop: Header=BB335_267 Depth=1
	v_cmp_ne_u16_sdwa s1, v18, v32 src0_sel:BYTE_1 src1_sel:DWORD
	v_bfrev_b32_e32 v47, 1
	s_and_saveexec_b32 s3, s1
	s_cbranch_execz .LBB335_343
; %bb.338:                              ;   in Loop: Header=BB335_267 Depth=1
	v_and_b32_sdwa v9, v33, v18 dst_sel:DWORD dst_unused:UNUSED_PAD src0_sel:DWORD src1_sel:BYTE_1
	v_mov_b32_e32 v47, 0x7f800001
	s_mov_b32 s4, exec_lo
	v_and_b32_e32 v21, 0x7f, v9
	v_cmpx_ne_u32_e32 0x7f, v21
	s_cbranch_execz .LBB335_342
; %bb.339:                              ;   in Loop: Header=BB335_267 Depth=1
	v_and_b32_e32 v9, 7, v9
	v_lshrrev_b32_e32 v20, 3, v21
	s_mov_b32 s5, exec_lo
	v_cmpx_gt_u32_e32 8, v21
; %bb.340:                              ;   in Loop: Header=BB335_267 Depth=1
	v_ffbh_u32_e32 v20, v9
	v_min_u32_e32 v20, 32, v20
	v_subrev_nc_u32_e32 v21, 28, v20
	v_sub_nc_u32_e32 v20, 29, v20
	v_lshlrev_b64 v[49:50], v21, v[9:10]
	v_and_b32_e32 v9, 7, v49
; %bb.341:                              ;   in Loop: Header=BB335_267 Depth=1
	s_or_b32 exec_lo, exec_lo, s5
	v_lshlrev_b32_e32 v21, 16, v18
	v_lshlrev_b32_e32 v9, 20, v9
	v_lshl_add_u32 v20, v20, 23, 0x3c000000
	v_and_b32_e32 v21, 0x80000000, v21
	v_or3_b32 v47, v9, v21, v20
.LBB335_342:                            ;   in Loop: Header=BB335_267 Depth=1
	s_or_b32 exec_lo, exec_lo, s4
.LBB335_343:                            ;   in Loop: Header=BB335_267 Depth=1
	s_or_b32 exec_lo, exec_lo, s3
.LBB335_344:                            ;   in Loop: Header=BB335_267 Depth=1
	s_or_b32 exec_lo, exec_lo, s2
	v_and_b32_sdwa v9, v18, v34 dst_sel:DWORD dst_unused:UNUSED_PAD src0_sel:WORD_1 src1_sel:DWORD
	v_mov_b32_e32 v50, 0
	v_mov_b32_e32 v49, 0
	s_mov_b32 s2, exec_lo
	v_cmpx_ne_u16_e32 0, v9
	s_cbranch_execz .LBB335_352
; %bb.345:                              ;   in Loop: Header=BB335_267 Depth=1
	v_bfrev_b32_e32 v49, 1
	s_mov_b32 s3, exec_lo
	v_cmpx_ne_u16_e32 0x80, v9
	s_cbranch_execz .LBB335_351
; %bb.346:                              ;   in Loop: Header=BB335_267 Depth=1
	v_bfe_u32 v21, v18, 16, 7
	v_mov_b32_e32 v49, 0x7f800001
	s_mov_b32 s4, exec_lo
	v_cmpx_ne_u32_e32 0x7f, v21
	s_cbranch_execz .LBB335_350
; %bb.347:                              ;   in Loop: Header=BB335_267 Depth=1
	v_and_b32_sdwa v9, v18, v35 dst_sel:DWORD dst_unused:UNUSED_PAD src0_sel:WORD_1 src1_sel:DWORD
	v_lshrrev_b32_e32 v20, 3, v21
	s_mov_b32 s5, exec_lo
	v_cmpx_gt_u32_e32 8, v21
; %bb.348:                              ;   in Loop: Header=BB335_267 Depth=1
	v_ffbh_u32_e32 v20, v9
	v_min_u32_e32 v20, 32, v20
	v_subrev_nc_u32_e32 v21, 28, v20
	v_sub_nc_u32_e32 v20, 29, v20
	v_lshlrev_b64 v[51:52], v21, v[9:10]
	v_and_b32_e32 v9, 7, v51
; %bb.349:                              ;   in Loop: Header=BB335_267 Depth=1
	s_or_b32 exec_lo, exec_lo, s5
	v_lshlrev_b32_sdwa v21, v36, v18 dst_sel:DWORD dst_unused:UNUSED_PAD src0_sel:DWORD src1_sel:WORD_1
	v_lshlrev_b32_e32 v9, 20, v9
	v_lshl_add_u32 v20, v20, 23, 0x3c000000
	v_and_b32_e32 v21, 0x80000000, v21
	v_or3_b32 v49, v9, v21, v20
.LBB335_350:                            ;   in Loop: Header=BB335_267 Depth=1
	s_or_b32 exec_lo, exec_lo, s4
.LBB335_351:                            ;   in Loop: Header=BB335_267 Depth=1
	s_or_b32 exec_lo, exec_lo, s3
.LBB335_352:                            ;   in Loop: Header=BB335_267 Depth=1
	s_or_b32 exec_lo, exec_lo, s2
	s_mov_b32 s2, exec_lo
	v_cmpx_lt_u32_e32 0xffffff, v18
	s_cbranch_execz .LBB335_360
; %bb.353:                              ;   in Loop: Header=BB335_267 Depth=1
	v_cmp_ne_u32_sdwa s1, v18, v32 src0_sel:BYTE_3 src1_sel:DWORD
	v_bfrev_b32_e32 v50, 1
	s_and_saveexec_b32 s3, s1
	s_cbranch_execz .LBB335_359
; %bb.354:                              ;   in Loop: Header=BB335_267 Depth=1
	v_bfe_u32 v21, v18, 24, 7
	v_mov_b32_e32 v50, 0x7f800001
	s_mov_b32 s4, exec_lo
	v_cmpx_ne_u32_e32 0x7f, v21
	s_cbranch_execz .LBB335_358
; %bb.355:                              ;   in Loop: Header=BB335_267 Depth=1
	v_and_b32_sdwa v9, v18, v35 dst_sel:DWORD dst_unused:UNUSED_PAD src0_sel:BYTE_3 src1_sel:DWORD
	v_lshrrev_b32_e32 v20, 3, v21
	s_mov_b32 s5, exec_lo
	v_cmpx_gt_u32_e32 8, v21
; %bb.356:                              ;   in Loop: Header=BB335_267 Depth=1
	v_ffbh_u32_e32 v20, v9
	v_min_u32_e32 v20, 32, v20
	v_subrev_nc_u32_e32 v21, 28, v20
	v_sub_nc_u32_e32 v20, 29, v20
	v_lshlrev_b64 v[50:51], v21, v[9:10]
	v_and_b32_e32 v9, 7, v50
; %bb.357:                              ;   in Loop: Header=BB335_267 Depth=1
	s_or_b32 exec_lo, exec_lo, s5
	v_lshlrev_b32_sdwa v21, v36, v18 dst_sel:DWORD dst_unused:UNUSED_PAD src0_sel:DWORD src1_sel:BYTE_3
	v_lshlrev_b32_e32 v9, 20, v9
	v_lshl_add_u32 v20, v20, 23, 0x3c000000
	v_and_b32_e32 v21, 0x80000000, v21
	v_or3_b32 v50, v9, v21, v20
.LBB335_358:                            ;   in Loop: Header=BB335_267 Depth=1
	s_or_b32 exec_lo, exec_lo, s4
.LBB335_359:                            ;   in Loop: Header=BB335_267 Depth=1
	s_or_b32 exec_lo, exec_lo, s3
.LBB335_360:                            ;   in Loop: Header=BB335_267 Depth=1
	s_or_b32 exec_lo, exec_lo, s2
	v_mov_b32_e32 v9, v19
	v_cmp_ne_u16_sdwa s1, v19, v10 src0_sel:BYTE_0 src1_sel:DWORD
	v_mov_b32_e32 v20, 0
	v_mov_b32_e32 v51, 0
	s_and_saveexec_b32 s2, s1
	s_cbranch_execz .LBB335_366
; %bb.361:                              ;   in Loop: Header=BB335_267 Depth=1
	v_cmp_ne_u16_sdwa s1, v19, v32 src0_sel:BYTE_0 src1_sel:DWORD
	v_bfrev_b32_e32 v51, 1
	s_and_saveexec_b32 s3, s1
	s_cbranch_execz .LBB335_365
; %bb.362:                              ;   in Loop: Header=BB335_267 Depth=1
	v_and_b32_e32 v21, 0x7f, v19
	v_mov_b32_e32 v51, 0x7f800001
	s_mov_b32 s4, exec_lo
	v_cmpx_ne_u32_e32 0x7f, v21
	s_cbranch_execz .LBB335_364
; %bb.363:                              ;   in Loop: Header=BB335_267 Depth=1
	v_and_b32_e32 v51, 7, v19
	v_lshrrev_b32_e32 v52, 3, v21
	v_cmp_gt_u32_e64 s1, 8, v21
	v_ffbh_u32_e32 v51, v51
	v_min_u32_e32 v51, 32, v51
	v_subrev_nc_u32_e32 v53, 28, v51
	v_sub_nc_u32_e32 v51, 29, v51
	v_cndmask_b32_e64 v21, v52, v51, s1
	v_cndmask_b32_e64 v51, 0, v53, s1
	v_lshl_add_u32 v21, v21, 23, 0x3c000000
	v_lshlrev_b64 v[51:52], v51, v[9:10]
	v_lshlrev_b32_e32 v52, 24, v9
	v_lshlrev_b32_e32 v51, 20, v51
	v_and_b32_e32 v52, 0x80000000, v52
	v_and_b32_e32 v51, 0x700000, v51
	v_or3_b32 v51, v51, v52, v21
.LBB335_364:                            ;   in Loop: Header=BB335_267 Depth=1
	s_or_b32 exec_lo, exec_lo, s4
.LBB335_365:                            ;   in Loop: Header=BB335_267 Depth=1
	s_or_b32 exec_lo, exec_lo, s3
.LBB335_366:                            ;   in Loop: Header=BB335_267 Depth=1
	s_or_b32 exec_lo, exec_lo, s2
	v_cmp_ne_u16_sdwa s1, v9, v10 src0_sel:BYTE_1 src1_sel:DWORD
	s_and_saveexec_b32 s2, s1
	s_cbranch_execz .LBB335_374
; %bb.367:                              ;   in Loop: Header=BB335_267 Depth=1
	v_cmp_ne_u16_sdwa s1, v9, v32 src0_sel:BYTE_1 src1_sel:DWORD
	v_bfrev_b32_e32 v20, 1
	s_and_saveexec_b32 s3, s1
	s_cbranch_execz .LBB335_373
; %bb.368:                              ;   in Loop: Header=BB335_267 Depth=1
	v_and_b32_sdwa v21, v33, v9 dst_sel:DWORD dst_unused:UNUSED_PAD src0_sel:DWORD src1_sel:BYTE_1
	v_mov_b32_e32 v20, 0x7f800001
	s_mov_b32 s4, exec_lo
	v_and_b32_e32 v53, 0x7f, v21
	v_cmpx_ne_u32_e32 0x7f, v53
	s_cbranch_execz .LBB335_372
; %bb.369:                              ;   in Loop: Header=BB335_267 Depth=1
	v_and_b32_e32 v20, 7, v21
	v_mov_b32_e32 v21, v10
	v_lshrrev_b32_e32 v52, 3, v53
	s_mov_b32 s5, exec_lo
	v_cmpx_gt_u32_e32 8, v53
; %bb.370:                              ;   in Loop: Header=BB335_267 Depth=1
	v_ffbh_u32_e32 v52, v20
	v_min_u32_e32 v52, 32, v52
	v_subrev_nc_u32_e32 v53, 28, v52
	v_sub_nc_u32_e32 v52, 29, v52
	v_lshlrev_b64 v[20:21], v53, v[20:21]
	v_and_b32_e32 v20, 7, v20
; %bb.371:                              ;   in Loop: Header=BB335_267 Depth=1
	s_or_b32 exec_lo, exec_lo, s5
	v_lshlrev_b32_e32 v9, 16, v9
	v_lshlrev_b32_e32 v20, 20, v20
	v_lshl_add_u32 v21, v52, 23, 0x3c000000
	v_and_b32_e32 v9, 0x80000000, v9
	v_or3_b32 v20, v20, v9, v21
.LBB335_372:                            ;   in Loop: Header=BB335_267 Depth=1
	s_or_b32 exec_lo, exec_lo, s4
.LBB335_373:                            ;   in Loop: Header=BB335_267 Depth=1
	s_or_b32 exec_lo, exec_lo, s3
.LBB335_374:                            ;   in Loop: Header=BB335_267 Depth=1
	s_or_b32 exec_lo, exec_lo, s2
	v_and_b32_sdwa v9, v19, v34 dst_sel:DWORD dst_unused:UNUSED_PAD src0_sel:WORD_1 src1_sel:DWORD
	v_mov_b32_e32 v52, 0
	v_mov_b32_e32 v53, 0
	s_mov_b32 s2, exec_lo
	v_cmpx_ne_u16_e32 0, v9
	s_cbranch_execz .LBB335_382
; %bb.375:                              ;   in Loop: Header=BB335_267 Depth=1
	v_bfrev_b32_e32 v53, 1
	s_mov_b32 s3, exec_lo
	v_cmpx_ne_u16_e32 0x80, v9
	s_cbranch_execz .LBB335_381
; %bb.376:                              ;   in Loop: Header=BB335_267 Depth=1
	v_bfe_u32 v54, v19, 16, 7
	v_mov_b32_e32 v53, 0x7f800001
	s_mov_b32 s4, exec_lo
	v_cmpx_ne_u32_e32 0x7f, v54
	s_cbranch_execz .LBB335_380
; %bb.377:                              ;   in Loop: Header=BB335_267 Depth=1
	v_and_b32_sdwa v9, v19, v35 dst_sel:DWORD dst_unused:UNUSED_PAD src0_sel:WORD_1 src1_sel:DWORD
	v_lshrrev_b32_e32 v21, 3, v54
	s_mov_b32 s5, exec_lo
	v_cmpx_gt_u32_e32 8, v54
; %bb.378:                              ;   in Loop: Header=BB335_267 Depth=1
	v_ffbh_u32_e32 v21, v9
	v_min_u32_e32 v21, 32, v21
	v_subrev_nc_u32_e32 v53, 28, v21
	v_sub_nc_u32_e32 v21, 29, v21
	v_lshlrev_b64 v[53:54], v53, v[9:10]
	v_and_b32_e32 v9, 7, v53
; %bb.379:                              ;   in Loop: Header=BB335_267 Depth=1
	s_or_b32 exec_lo, exec_lo, s5
	v_lshlrev_b32_sdwa v53, v36, v19 dst_sel:DWORD dst_unused:UNUSED_PAD src0_sel:DWORD src1_sel:WORD_1
	v_lshlrev_b32_e32 v9, 20, v9
	v_lshl_add_u32 v21, v21, 23, 0x3c000000
	v_and_b32_e32 v53, 0x80000000, v53
	v_or3_b32 v53, v9, v53, v21
.LBB335_380:                            ;   in Loop: Header=BB335_267 Depth=1
	s_or_b32 exec_lo, exec_lo, s4
.LBB335_381:                            ;   in Loop: Header=BB335_267 Depth=1
	s_or_b32 exec_lo, exec_lo, s3
.LBB335_382:                            ;   in Loop: Header=BB335_267 Depth=1
	s_or_b32 exec_lo, exec_lo, s2
	s_mov_b32 s2, exec_lo
	v_cmpx_lt_u64_e64 s[40:41], v[18:19]
	s_cbranch_execz .LBB335_390
; %bb.383:                              ;   in Loop: Header=BB335_267 Depth=1
	v_cmp_ne_u32_sdwa s1, v19, v32 src0_sel:BYTE_3 src1_sel:DWORD
	v_bfrev_b32_e32 v52, 1
	s_and_saveexec_b32 s3, s1
	s_cbranch_execz .LBB335_389
; %bb.384:                              ;   in Loop: Header=BB335_267 Depth=1
	v_bfe_u32 v21, v19, 24, 7
	v_mov_b32_e32 v52, 0x7f800001
	s_mov_b32 s4, exec_lo
	v_cmpx_ne_u32_e32 0x7f, v21
	s_cbranch_execz .LBB335_388
; %bb.385:                              ;   in Loop: Header=BB335_267 Depth=1
	v_and_b32_sdwa v9, v19, v35 dst_sel:DWORD dst_unused:UNUSED_PAD src0_sel:BYTE_3 src1_sel:DWORD
	v_lshrrev_b32_e32 v18, 3, v21
	s_mov_b32 s5, exec_lo
	v_cmpx_gt_u32_e32 8, v21
; %bb.386:                              ;   in Loop: Header=BB335_267 Depth=1
	v_ffbh_u32_e32 v18, v9
	v_min_u32_e32 v18, 32, v18
	v_subrev_nc_u32_e32 v21, 28, v18
	v_sub_nc_u32_e32 v18, 29, v18
	v_lshlrev_b64 v[54:55], v21, v[9:10]
	v_and_b32_e32 v9, 7, v54
; %bb.387:                              ;   in Loop: Header=BB335_267 Depth=1
	s_or_b32 exec_lo, exec_lo, s5
	v_lshlrev_b32_sdwa v19, v36, v19 dst_sel:DWORD dst_unused:UNUSED_PAD src0_sel:DWORD src1_sel:BYTE_3
	v_lshlrev_b32_e32 v9, 20, v9
	v_lshl_add_u32 v18, v18, 23, 0x3c000000
	v_and_b32_e32 v19, 0x80000000, v19
	v_or3_b32 v52, v9, v19, v18
.LBB335_388:                            ;   in Loop: Header=BB335_267 Depth=1
	s_or_b32 exec_lo, exec_lo, s4
.LBB335_389:                            ;   in Loop: Header=BB335_267 Depth=1
	s_or_b32 exec_lo, exec_lo, s3
.LBB335_390:                            ;   in Loop: Header=BB335_267 Depth=1
	s_or_b32 exec_lo, exec_lo, s2
	v_mul_f32_e32 v9, s52, v20
	v_mul_f32_e32 v18, s52, v51
	;; [unrolled: 1-line block ×5, first 2 shown]
	v_bfe_u32 v20, v9, 16, 1
	v_or_b32_e32 v21, 0x400000, v9
	v_bfe_u32 v50, v18, 16, 1
	v_cmp_u_f32_e64 s1, v9, v9
	v_or_b32_e32 v51, 0x400000, v18
	v_add3_u32 v20, v20, v9, 0x7fff
	v_bfe_u32 v54, v19, 16, 1
	v_add3_u32 v50, v50, v18, 0x7fff
	v_or_b32_e32 v55, 0x400000, v19
	v_bfe_u32 v56, v49, 16, 1
	v_cndmask_b32_e64 v9, v20, v21, s1
	v_cmp_u_f32_e64 s1, v18, v18
	v_add3_u32 v54, v54, v19, 0x7fff
	v_lshrrev_b32_e32 v20, 16, v9
	v_cndmask_b32_e64 v18, v50, v51, s1
	v_cmp_u_f32_e64 s1, v19, v19
	v_mul_f32_e32 v9, s52, v47
	v_add3_u32 v50, v56, v49, 0x7fff
	v_or_b32_e32 v51, 0x400000, v49
	v_lshrrev_b32_e32 v21, 16, v18
	v_cndmask_b32_e64 v19, v54, v55, s1
	v_bfe_u32 v18, v9, 16, 1
	v_cmp_u_f32_e64 s1, v49, v49
	v_mul_f32_e32 v49, s52, v53
	v_lshrrev_b32_e32 v47, 16, v19
	v_add3_u32 v18, v18, v9, 0x7fff
	v_cndmask_b32_e64 v19, v50, v51, s1
	v_or_b32_e32 v50, 0x400000, v9
	v_mul_f32_e32 v51, s52, v52
	v_bfe_u32 v52, v48, 16, 1
	v_cmp_u_f32_e64 s1, v9, v9
	v_bfe_u32 v53, v49, 16, 1
	v_or_b32_e32 v54, 0x400000, v49
	v_or_b32_e32 v55, 0x400000, v51
	v_cndmask_b32_e64 v9, v18, v50, s1
	v_add3_u32 v50, v52, v48, 0x7fff
	v_or_b32_e32 v52, 0x400000, v48
	v_cmp_u_f32_e64 s1, v48, v48
	v_bfe_u32 v18, v51, 16, 1
	v_add3_u32 v53, v53, v49, 0x7fff
	v_cndmask_b32_e64 v48, v50, v52, s1
	v_cmp_u_f32_e64 s1, v49, v49
	v_add3_u32 v18, v18, v51, 0x7fff
	v_lshrrev_b32_e32 v49, 16, v19
	v_lshrrev_b32_e32 v50, 16, v48
	v_cndmask_b32_e64 v52, v53, v54, s1
	v_cmp_u_f32_e64 s1, v51, v51
	v_lshrrev_b32_e32 v51, 16, v9
	v_lshrrev_b32_e32 v48, 16, v52
	v_cndmask_b32_e64 v18, v18, v55, s1
	v_lshrrev_b32_e32 v53, 16, v18
	s_and_saveexec_b32 s2, s0
	s_cbranch_execz .LBB335_392
; %bb.391:                              ;   in Loop: Header=BB335_267 Depth=1
	v_add_nc_u32_e32 v9, 1, v26
	v_cmp_gt_i32_e64 s1, s33, v26
	v_add_nc_u32_e32 v18, 2, v26
	v_add_nc_u32_e32 v19, 3, v26
	v_cndmask_b32_e64 v50, 0, v50, s1
	v_cmp_gt_i32_e64 s1, s33, v9
	v_add_nc_u32_e32 v9, 4, v26
	v_cndmask_b32_e64 v51, 0, v51, s1
	v_cmp_gt_i32_e64 s1, s33, v18
	;; [unrolled: 3-line block ×5, first 2 shown]
	v_cndmask_b32_e64 v20, 0, v20, s1
	v_cmp_gt_i32_e64 s1, s33, v19
	v_cndmask_b32_e64 v48, 0, v48, s1
	v_cmp_gt_i32_e64 s1, s33, v9
	v_cndmask_b32_e64 v53, 0, v53, s1
.LBB335_392:                            ;   in Loop: Header=BB335_267 Depth=1
	s_or_b32 exec_lo, exec_lo, s2
	global_load_dwordx2 v[16:17], v[16:17], off offset:512
	v_mov_b32_e32 v54, 0
	v_mov_b32_e32 v52, 0
	s_waitcnt vmcnt(0)
	v_cmp_ne_u16_sdwa s1, v16, v10 src0_sel:BYTE_0 src1_sel:DWORD
	s_and_saveexec_b32 s2, s1
	s_cbranch_execz .LBB335_398
; %bb.393:                              ;   in Loop: Header=BB335_267 Depth=1
	v_cmp_ne_u16_sdwa s1, v16, v32 src0_sel:BYTE_0 src1_sel:DWORD
	v_bfrev_b32_e32 v52, 1
	s_and_saveexec_b32 s3, s1
	s_cbranch_execz .LBB335_397
; %bb.394:                              ;   in Loop: Header=BB335_267 Depth=1
	v_and_b32_e32 v9, 0x7f, v16
	v_mov_b32_e32 v52, 0x7f800001
	s_mov_b32 s4, exec_lo
	v_cmpx_ne_u32_e32 0x7f, v9
	s_cbranch_execz .LBB335_396
; %bb.395:                              ;   in Loop: Header=BB335_267 Depth=1
	v_and_b32_e32 v18, 7, v16
	v_lshrrev_b32_e32 v19, 3, v9
	v_cmp_gt_u32_e64 s1, 8, v9
	v_ffbh_u32_e32 v18, v18
	v_min_u32_e32 v18, 32, v18
	v_subrev_nc_u32_e32 v52, 28, v18
	v_sub_nc_u32_e32 v18, 29, v18
	v_cndmask_b32_e64 v9, v19, v18, s1
	v_cndmask_b32_e64 v18, 0, v52, s1
	v_lshl_add_u32 v9, v9, 23, 0x3c000000
	v_lshlrev_b64 v[18:19], v18, v[16:17]
	v_lshlrev_b32_e32 v19, 24, v16
	v_lshlrev_b32_e32 v18, 20, v18
	v_and_b32_e32 v19, 0x80000000, v19
	v_and_b32_e32 v18, 0x700000, v18
	v_or3_b32 v52, v18, v19, v9
.LBB335_396:                            ;   in Loop: Header=BB335_267 Depth=1
	s_or_b32 exec_lo, exec_lo, s4
.LBB335_397:                            ;   in Loop: Header=BB335_267 Depth=1
	s_or_b32 exec_lo, exec_lo, s3
.LBB335_398:                            ;   in Loop: Header=BB335_267 Depth=1
	s_or_b32 exec_lo, exec_lo, s2
	v_cmp_ne_u16_sdwa s1, v16, v10 src0_sel:BYTE_1 src1_sel:DWORD
	s_and_saveexec_b32 s2, s1
	s_cbranch_execz .LBB335_406
; %bb.399:                              ;   in Loop: Header=BB335_267 Depth=1
	v_cmp_ne_u16_sdwa s1, v16, v32 src0_sel:BYTE_1 src1_sel:DWORD
	v_bfrev_b32_e32 v54, 1
	s_and_saveexec_b32 s3, s1
	s_cbranch_execz .LBB335_405
; %bb.400:                              ;   in Loop: Header=BB335_267 Depth=1
	v_and_b32_sdwa v9, v33, v16 dst_sel:DWORD dst_unused:UNUSED_PAD src0_sel:DWORD src1_sel:BYTE_1
	v_mov_b32_e32 v54, 0x7f800001
	s_mov_b32 s4, exec_lo
	v_and_b32_e32 v19, 0x7f, v9
	v_cmpx_ne_u32_e32 0x7f, v19
	s_cbranch_execz .LBB335_404
; %bb.401:                              ;   in Loop: Header=BB335_267 Depth=1
	v_and_b32_e32 v9, 7, v9
	v_lshrrev_b32_e32 v18, 3, v19
	s_mov_b32 s5, exec_lo
	v_cmpx_gt_u32_e32 8, v19
; %bb.402:                              ;   in Loop: Header=BB335_267 Depth=1
	v_ffbh_u32_e32 v18, v9
	v_min_u32_e32 v18, 32, v18
	v_subrev_nc_u32_e32 v19, 28, v18
	v_sub_nc_u32_e32 v18, 29, v18
	v_lshlrev_b64 v[54:55], v19, v[9:10]
	v_and_b32_e32 v9, 7, v54
; %bb.403:                              ;   in Loop: Header=BB335_267 Depth=1
	s_or_b32 exec_lo, exec_lo, s5
	v_lshlrev_b32_e32 v19, 16, v16
	v_lshlrev_b32_e32 v9, 20, v9
	v_lshl_add_u32 v18, v18, 23, 0x3c000000
	v_and_b32_e32 v19, 0x80000000, v19
	v_or3_b32 v54, v9, v19, v18
.LBB335_404:                            ;   in Loop: Header=BB335_267 Depth=1
	s_or_b32 exec_lo, exec_lo, s4
.LBB335_405:                            ;   in Loop: Header=BB335_267 Depth=1
	s_or_b32 exec_lo, exec_lo, s3
.LBB335_406:                            ;   in Loop: Header=BB335_267 Depth=1
	s_or_b32 exec_lo, exec_lo, s2
	v_and_b32_sdwa v9, v16, v34 dst_sel:DWORD dst_unused:UNUSED_PAD src0_sel:WORD_1 src1_sel:DWORD
	v_mov_b32_e32 v56, 0
	v_mov_b32_e32 v55, 0
	s_mov_b32 s2, exec_lo
	v_cmpx_ne_u16_e32 0, v9
	s_cbranch_execz .LBB335_414
; %bb.407:                              ;   in Loop: Header=BB335_267 Depth=1
	v_bfrev_b32_e32 v55, 1
	s_mov_b32 s3, exec_lo
	v_cmpx_ne_u16_e32 0x80, v9
	s_cbranch_execz .LBB335_413
; %bb.408:                              ;   in Loop: Header=BB335_267 Depth=1
	v_bfe_u32 v19, v16, 16, 7
	v_mov_b32_e32 v55, 0x7f800001
	s_mov_b32 s4, exec_lo
	v_cmpx_ne_u32_e32 0x7f, v19
	s_cbranch_execz .LBB335_412
; %bb.409:                              ;   in Loop: Header=BB335_267 Depth=1
	v_and_b32_sdwa v9, v16, v35 dst_sel:DWORD dst_unused:UNUSED_PAD src0_sel:WORD_1 src1_sel:DWORD
	v_lshrrev_b32_e32 v18, 3, v19
	s_mov_b32 s5, exec_lo
	v_cmpx_gt_u32_e32 8, v19
; %bb.410:                              ;   in Loop: Header=BB335_267 Depth=1
	v_ffbh_u32_e32 v18, v9
	v_min_u32_e32 v18, 32, v18
	v_subrev_nc_u32_e32 v19, 28, v18
	v_sub_nc_u32_e32 v18, 29, v18
	v_lshlrev_b64 v[57:58], v19, v[9:10]
	v_and_b32_e32 v9, 7, v57
; %bb.411:                              ;   in Loop: Header=BB335_267 Depth=1
	s_or_b32 exec_lo, exec_lo, s5
	v_lshlrev_b32_sdwa v19, v36, v16 dst_sel:DWORD dst_unused:UNUSED_PAD src0_sel:DWORD src1_sel:WORD_1
	v_lshlrev_b32_e32 v9, 20, v9
	v_lshl_add_u32 v18, v18, 23, 0x3c000000
	v_and_b32_e32 v19, 0x80000000, v19
	v_or3_b32 v55, v9, v19, v18
.LBB335_412:                            ;   in Loop: Header=BB335_267 Depth=1
	s_or_b32 exec_lo, exec_lo, s4
.LBB335_413:                            ;   in Loop: Header=BB335_267 Depth=1
	s_or_b32 exec_lo, exec_lo, s3
.LBB335_414:                            ;   in Loop: Header=BB335_267 Depth=1
	s_or_b32 exec_lo, exec_lo, s2
	s_mov_b32 s2, exec_lo
	v_cmpx_lt_u32_e32 0xffffff, v16
	s_cbranch_execz .LBB335_422
; %bb.415:                              ;   in Loop: Header=BB335_267 Depth=1
	v_cmp_ne_u32_sdwa s1, v16, v32 src0_sel:BYTE_3 src1_sel:DWORD
	v_bfrev_b32_e32 v56, 1
	s_and_saveexec_b32 s3, s1
	s_cbranch_execz .LBB335_421
; %bb.416:                              ;   in Loop: Header=BB335_267 Depth=1
	v_bfe_u32 v19, v16, 24, 7
	v_mov_b32_e32 v56, 0x7f800001
	s_mov_b32 s4, exec_lo
	v_cmpx_ne_u32_e32 0x7f, v19
	s_cbranch_execz .LBB335_420
; %bb.417:                              ;   in Loop: Header=BB335_267 Depth=1
	v_and_b32_sdwa v9, v16, v35 dst_sel:DWORD dst_unused:UNUSED_PAD src0_sel:BYTE_3 src1_sel:DWORD
	v_lshrrev_b32_e32 v18, 3, v19
	s_mov_b32 s5, exec_lo
	v_cmpx_gt_u32_e32 8, v19
; %bb.418:                              ;   in Loop: Header=BB335_267 Depth=1
	v_ffbh_u32_e32 v18, v9
	v_min_u32_e32 v18, 32, v18
	v_subrev_nc_u32_e32 v19, 28, v18
	v_sub_nc_u32_e32 v18, 29, v18
	v_lshlrev_b64 v[56:57], v19, v[9:10]
	v_and_b32_e32 v9, 7, v56
; %bb.419:                              ;   in Loop: Header=BB335_267 Depth=1
	s_or_b32 exec_lo, exec_lo, s5
	v_lshlrev_b32_sdwa v19, v36, v16 dst_sel:DWORD dst_unused:UNUSED_PAD src0_sel:DWORD src1_sel:BYTE_3
	v_lshlrev_b32_e32 v9, 20, v9
	v_lshl_add_u32 v18, v18, 23, 0x3c000000
	v_and_b32_e32 v19, 0x80000000, v19
	v_or3_b32 v56, v9, v19, v18
.LBB335_420:                            ;   in Loop: Header=BB335_267 Depth=1
	s_or_b32 exec_lo, exec_lo, s4
.LBB335_421:                            ;   in Loop: Header=BB335_267 Depth=1
	s_or_b32 exec_lo, exec_lo, s3
.LBB335_422:                            ;   in Loop: Header=BB335_267 Depth=1
	s_or_b32 exec_lo, exec_lo, s2
	v_mov_b32_e32 v9, v17
	v_cmp_ne_u16_sdwa s1, v17, v10 src0_sel:BYTE_0 src1_sel:DWORD
	v_mov_b32_e32 v18, 0
	v_mov_b32_e32 v57, 0
	s_and_saveexec_b32 s2, s1
	s_cbranch_execz .LBB335_428
; %bb.423:                              ;   in Loop: Header=BB335_267 Depth=1
	v_cmp_ne_u16_sdwa s1, v17, v32 src0_sel:BYTE_0 src1_sel:DWORD
	v_bfrev_b32_e32 v57, 1
	s_and_saveexec_b32 s3, s1
	s_cbranch_execz .LBB335_427
; %bb.424:                              ;   in Loop: Header=BB335_267 Depth=1
	v_and_b32_e32 v19, 0x7f, v17
	v_mov_b32_e32 v57, 0x7f800001
	s_mov_b32 s4, exec_lo
	v_cmpx_ne_u32_e32 0x7f, v19
	s_cbranch_execz .LBB335_426
; %bb.425:                              ;   in Loop: Header=BB335_267 Depth=1
	v_and_b32_e32 v57, 7, v17
	v_lshrrev_b32_e32 v58, 3, v19
	v_cmp_gt_u32_e64 s1, 8, v19
	v_ffbh_u32_e32 v57, v57
	v_min_u32_e32 v57, 32, v57
	v_subrev_nc_u32_e32 v59, 28, v57
	v_sub_nc_u32_e32 v57, 29, v57
	v_cndmask_b32_e64 v19, v58, v57, s1
	v_cndmask_b32_e64 v57, 0, v59, s1
	v_lshl_add_u32 v19, v19, 23, 0x3c000000
	v_lshlrev_b64 v[57:58], v57, v[9:10]
	v_lshlrev_b32_e32 v58, 24, v9
	v_lshlrev_b32_e32 v57, 20, v57
	v_and_b32_e32 v58, 0x80000000, v58
	v_and_b32_e32 v57, 0x700000, v57
	v_or3_b32 v57, v57, v58, v19
.LBB335_426:                            ;   in Loop: Header=BB335_267 Depth=1
	s_or_b32 exec_lo, exec_lo, s4
.LBB335_427:                            ;   in Loop: Header=BB335_267 Depth=1
	s_or_b32 exec_lo, exec_lo, s3
.LBB335_428:                            ;   in Loop: Header=BB335_267 Depth=1
	s_or_b32 exec_lo, exec_lo, s2
	v_cmp_ne_u16_sdwa s1, v9, v10 src0_sel:BYTE_1 src1_sel:DWORD
	s_and_saveexec_b32 s2, s1
	s_cbranch_execz .LBB335_436
; %bb.429:                              ;   in Loop: Header=BB335_267 Depth=1
	v_cmp_ne_u16_sdwa s1, v9, v32 src0_sel:BYTE_1 src1_sel:DWORD
	v_bfrev_b32_e32 v18, 1
	s_and_saveexec_b32 s3, s1
	s_cbranch_execz .LBB335_435
; %bb.430:                              ;   in Loop: Header=BB335_267 Depth=1
	v_and_b32_sdwa v19, v33, v9 dst_sel:DWORD dst_unused:UNUSED_PAD src0_sel:DWORD src1_sel:BYTE_1
	v_mov_b32_e32 v18, 0x7f800001
	s_mov_b32 s4, exec_lo
	v_and_b32_e32 v59, 0x7f, v19
	v_cmpx_ne_u32_e32 0x7f, v59
	s_cbranch_execz .LBB335_434
; %bb.431:                              ;   in Loop: Header=BB335_267 Depth=1
	v_and_b32_e32 v18, 7, v19
	v_mov_b32_e32 v19, v10
	v_lshrrev_b32_e32 v58, 3, v59
	s_mov_b32 s5, exec_lo
	v_cmpx_gt_u32_e32 8, v59
; %bb.432:                              ;   in Loop: Header=BB335_267 Depth=1
	v_ffbh_u32_e32 v58, v18
	v_min_u32_e32 v58, 32, v58
	v_subrev_nc_u32_e32 v59, 28, v58
	v_sub_nc_u32_e32 v58, 29, v58
	v_lshlrev_b64 v[18:19], v59, v[18:19]
	v_and_b32_e32 v18, 7, v18
; %bb.433:                              ;   in Loop: Header=BB335_267 Depth=1
	s_or_b32 exec_lo, exec_lo, s5
	v_lshlrev_b32_e32 v9, 16, v9
	v_lshlrev_b32_e32 v18, 20, v18
	v_lshl_add_u32 v19, v58, 23, 0x3c000000
	v_and_b32_e32 v9, 0x80000000, v9
	v_or3_b32 v18, v18, v9, v19
.LBB335_434:                            ;   in Loop: Header=BB335_267 Depth=1
	s_or_b32 exec_lo, exec_lo, s4
.LBB335_435:                            ;   in Loop: Header=BB335_267 Depth=1
	s_or_b32 exec_lo, exec_lo, s3
.LBB335_436:                            ;   in Loop: Header=BB335_267 Depth=1
	s_or_b32 exec_lo, exec_lo, s2
	v_and_b32_sdwa v9, v17, v34 dst_sel:DWORD dst_unused:UNUSED_PAD src0_sel:WORD_1 src1_sel:DWORD
	v_mov_b32_e32 v19, 0
	v_mov_b32_e32 v58, 0
	s_mov_b32 s2, exec_lo
	v_cmpx_ne_u16_e32 0, v9
	s_cbranch_execz .LBB335_444
; %bb.437:                              ;   in Loop: Header=BB335_267 Depth=1
	v_bfrev_b32_e32 v58, 1
	s_mov_b32 s3, exec_lo
	v_cmpx_ne_u16_e32 0x80, v9
	s_cbranch_execz .LBB335_443
; %bb.438:                              ;   in Loop: Header=BB335_267 Depth=1
	v_bfe_u32 v59, v17, 16, 7
	v_mov_b32_e32 v58, 0x7f800001
	s_mov_b32 s4, exec_lo
	v_cmpx_ne_u32_e32 0x7f, v59
	s_cbranch_execz .LBB335_442
; %bb.439:                              ;   in Loop: Header=BB335_267 Depth=1
	v_and_b32_sdwa v9, v17, v35 dst_sel:DWORD dst_unused:UNUSED_PAD src0_sel:WORD_1 src1_sel:DWORD
	v_lshrrev_b32_e32 v58, 3, v59
	s_mov_b32 s5, exec_lo
	v_cmpx_gt_u32_e32 8, v59
; %bb.440:                              ;   in Loop: Header=BB335_267 Depth=1
	v_ffbh_u32_e32 v58, v9
	v_min_u32_e32 v58, 32, v58
	v_subrev_nc_u32_e32 v59, 28, v58
	v_sub_nc_u32_e32 v58, 29, v58
	v_lshlrev_b64 v[59:60], v59, v[9:10]
	v_and_b32_e32 v9, 7, v59
; %bb.441:                              ;   in Loop: Header=BB335_267 Depth=1
	s_or_b32 exec_lo, exec_lo, s5
	v_lshlrev_b32_sdwa v59, v36, v17 dst_sel:DWORD dst_unused:UNUSED_PAD src0_sel:DWORD src1_sel:WORD_1
	v_lshlrev_b32_e32 v9, 20, v9
	v_lshl_add_u32 v58, v58, 23, 0x3c000000
	v_and_b32_e32 v59, 0x80000000, v59
	v_or3_b32 v58, v9, v59, v58
.LBB335_442:                            ;   in Loop: Header=BB335_267 Depth=1
	s_or_b32 exec_lo, exec_lo, s4
.LBB335_443:                            ;   in Loop: Header=BB335_267 Depth=1
	s_or_b32 exec_lo, exec_lo, s3
.LBB335_444:                            ;   in Loop: Header=BB335_267 Depth=1
	s_or_b32 exec_lo, exec_lo, s2
	s_mov_b32 s2, exec_lo
	v_cmpx_lt_u64_e64 s[40:41], v[16:17]
	s_cbranch_execz .LBB335_452
; %bb.445:                              ;   in Loop: Header=BB335_267 Depth=1
	v_cmp_ne_u32_sdwa s1, v17, v32 src0_sel:BYTE_3 src1_sel:DWORD
	v_bfrev_b32_e32 v19, 1
	s_and_saveexec_b32 s3, s1
	s_cbranch_execz .LBB335_451
; %bb.446:                              ;   in Loop: Header=BB335_267 Depth=1
	v_bfe_u32 v59, v17, 24, 7
	v_mov_b32_e32 v19, 0x7f800001
	s_mov_b32 s4, exec_lo
	v_cmpx_ne_u32_e32 0x7f, v59
	s_cbranch_execz .LBB335_450
; %bb.447:                              ;   in Loop: Header=BB335_267 Depth=1
	v_and_b32_sdwa v9, v17, v35 dst_sel:DWORD dst_unused:UNUSED_PAD src0_sel:BYTE_3 src1_sel:DWORD
	v_lshrrev_b32_e32 v16, 3, v59
	s_mov_b32 s5, exec_lo
	v_cmpx_gt_u32_e32 8, v59
; %bb.448:                              ;   in Loop: Header=BB335_267 Depth=1
	v_ffbh_u32_e32 v16, v9
	v_min_u32_e32 v16, 32, v16
	v_subrev_nc_u32_e32 v19, 28, v16
	v_sub_nc_u32_e32 v16, 29, v16
	v_lshlrev_b64 v[59:60], v19, v[9:10]
	v_and_b32_e32 v9, 7, v59
; %bb.449:                              ;   in Loop: Header=BB335_267 Depth=1
	s_or_b32 exec_lo, exec_lo, s5
	v_lshlrev_b32_sdwa v17, v36, v17 dst_sel:DWORD dst_unused:UNUSED_PAD src0_sel:DWORD src1_sel:BYTE_3
	v_lshlrev_b32_e32 v9, 20, v9
	v_lshl_add_u32 v16, v16, 23, 0x3c000000
	v_and_b32_e32 v17, 0x80000000, v17
	v_or3_b32 v19, v9, v17, v16
.LBB335_450:                            ;   in Loop: Header=BB335_267 Depth=1
	s_or_b32 exec_lo, exec_lo, s4
.LBB335_451:                            ;   in Loop: Header=BB335_267 Depth=1
	s_or_b32 exec_lo, exec_lo, s3
.LBB335_452:                            ;   in Loop: Header=BB335_267 Depth=1
	s_or_b32 exec_lo, exec_lo, s2
	v_mul_f32_e32 v9, s52, v18
	v_mul_f32_e32 v16, s52, v57
	;; [unrolled: 1-line block ×5, first 2 shown]
	v_bfe_u32 v55, v9, 16, 1
	v_or_b32_e32 v56, 0x400000, v9
	v_bfe_u32 v57, v16, 16, 1
	v_cmp_u_f32_e64 s1, v9, v9
	v_or_b32_e32 v59, 0x400000, v16
	v_add3_u32 v55, v55, v9, 0x7fff
	v_bfe_u32 v60, v17, 16, 1
	v_add3_u32 v57, v57, v16, 0x7fff
	v_or_b32_e32 v61, 0x400000, v17
	v_bfe_u32 v62, v18, 16, 1
	v_cndmask_b32_e64 v9, v55, v56, s1
	v_cmp_u_f32_e64 s1, v16, v16
	v_add3_u32 v60, v60, v17, 0x7fff
	v_or_b32_e32 v56, 0x400000, v18
	v_add3_u32 v55, v62, v18, 0x7fff
	v_mul_f32_e32 v52, s52, v52
	v_cndmask_b32_e64 v16, v57, v59, s1
	v_cmp_u_f32_e64 s1, v17, v17
	v_bfe_u32 v57, v54, 16, 1
	v_mul_f32_e32 v19, s52, v19
	v_lshrrev_b32_e32 v9, 16, v9
	v_lshrrev_b32_e32 v16, 16, v16
	v_cndmask_b32_e64 v17, v60, v61, s1
	v_cmp_u_f32_e64 s1, v18, v18
	v_or_b32_e32 v61, 0x400000, v19
	v_lshrrev_b32_e32 v17, 16, v17
	v_cndmask_b32_e64 v18, v55, v56, s1
	v_mul_f32_e32 v55, s52, v58
	v_add3_u32 v56, v57, v54, 0x7fff
	v_or_b32_e32 v57, 0x400000, v54
	v_bfe_u32 v58, v52, 16, 1
	v_cmp_u_f32_e64 s1, v54, v54
	v_bfe_u32 v59, v55, 16, 1
	v_or_b32_e32 v60, 0x400000, v55
	v_lshrrev_b32_e32 v65, 16, v18
	v_cndmask_b32_e64 v54, v56, v57, s1
	v_add3_u32 v57, v58, v52, 0x7fff
	v_or_b32_e32 v58, 0x400000, v52
	v_cmp_u_f32_e64 s1, v52, v52
	v_bfe_u32 v56, v19, 16, 1
	v_add3_u32 v59, v59, v55, 0x7fff
	v_cndmask_b32_e64 v52, v57, v58, s1
	v_cmp_u_f32_e64 s1, v55, v55
	v_add3_u32 v56, v56, v19, 0x7fff
	v_lshrrev_b32_e32 v18, 16, v52
	v_cndmask_b32_e64 v55, v59, v60, s1
	v_cmp_u_f32_e64 s1, v19, v19
	v_lshrrev_b32_e32 v19, 16, v54
	v_lshrrev_b32_e32 v63, 16, v55
	v_cndmask_b32_e64 v56, v56, v61, s1
	v_lshrrev_b32_e32 v64, 16, v56
	s_and_saveexec_b32 s2, s0
	s_cbranch_execz .LBB335_454
; %bb.453:                              ;   in Loop: Header=BB335_267 Depth=1
	v_add_nc_u32_e32 v52, 1, v26
	v_cmp_gt_i32_e64 s1, s33, v26
	v_add_nc_u32_e32 v54, 2, v26
	v_add_nc_u32_e32 v55, 3, v26
	v_cndmask_b32_e64 v18, 0, v18, s1
	v_cmp_gt_i32_e64 s1, s33, v52
	v_add_nc_u32_e32 v52, 4, v26
	v_cndmask_b32_e64 v19, 0, v19, s1
	v_cmp_gt_i32_e64 s1, s33, v54
	;; [unrolled: 3-line block ×5, first 2 shown]
	v_cndmask_b32_e64 v9, 0, v9, s1
	v_cmp_gt_i32_e64 s1, s33, v55
	v_cndmask_b32_e64 v63, 0, v63, s1
	v_cmp_gt_i32_e64 s1, s33, v52
	v_cndmask_b32_e64 v64, 0, v64, s1
.LBB335_454:                            ;   in Loop: Header=BB335_267 Depth=1
	s_or_b32 exec_lo, exec_lo, s2
	v_bfe_u32 v52, v5, 16, 1
	v_or_b32_e32 v54, 0x400000, v5
	v_bfe_u32 v55, v6, 16, 1
	v_cmp_u_f32_e64 s1, v5, v5
	v_bfe_u32 v56, v7, 16, 1
	v_add3_u32 v52, v52, v5, 0x7fff
	v_or_b32_e32 v57, 0x400000, v6
	v_add3_u32 v59, v55, v6, 0x7fff
	v_or_b32_e32 v58, 0x400000, v7
	v_add3_u32 v60, v56, v7, 0x7fff
	v_cndmask_b32_e64 v55, v52, v54, s1
	v_cmp_u_f32_e64 s1, v6, v6
	v_bfe_u32 v5, v8, 16, 1
	v_bfe_u32 v6, v1, 16, 1
	v_or_b32_e32 v52, 0x400000, v1
	v_bfe_u32 v54, v2, 16, 1
	v_cndmask_b32_e64 v56, v59, v57, s1
	v_cmp_u_f32_e64 s1, v7, v7
	v_add3_u32 v5, v5, v8, 0x7fff
	v_or_b32_e32 v7, 0x400000, v8
	v_add3_u32 v6, v6, v1, 0x7fff
	v_lshlrev_b32_e32 v18, 16, v18
	v_cndmask_b32_e64 v57, v60, v58, s1
	v_cmp_u_f32_e64 s1, v8, v8
	v_bfe_u32 v8, v4, 16, 1
	v_lshlrev_b32_e32 v17, 16, v17
	v_and_b32_e32 v66, 0xffff0000, v57
	v_cndmask_b32_e64 v58, v5, v7, s1
	v_cmp_u_f32_e64 s1, v1, v1
	v_bfe_u32 v5, v3, 16, 1
	v_add3_u32 v1, v54, v2, 0x7fff
	v_or_b32_e32 v7, 0x400000, v3
	v_or_b32_e32 v54, 0x400000, v4
	v_cndmask_b32_e64 v59, v6, v52, s1
	v_or_b32_e32 v6, 0x400000, v2
	v_cmp_u_f32_e64 s1, v2, v2
	v_add3_u32 v5, v5, v3, 0x7fff
	v_and_b32_e32 v2, 0xffff0000, v56
	v_cndmask_b32_e64 v60, v1, v6, s1
	v_cmp_u_f32_e64 s1, v3, v3
	v_add3_u32 v1, v8, v4, 0x7fff
	v_lshlrev_b32_e32 v3, 16, v51
	v_lshlrev_b32_e32 v6, 16, v50
	;; [unrolled: 1-line block ×3, first 2 shown]
	v_cndmask_b32_e64 v61, v5, v7, s1
	v_cmp_u_f32_e64 s1, v4, v4
	v_and_b32_e32 v5, 0xffff0000, v55
	v_and_b32_e32 v7, 0xffff0000, v58
	v_lshlrev_b32_e32 v47, 16, v49
	v_mul_f32_e32 v52, v2, v3
	v_cndmask_b32_e64 v62, v1, v54, s1
	v_mul_f32_e32 v51, v5, v6
	v_mul_f32_e32 v50, v7, v8
	v_and_b32_e32 v1, 0xffff0000, v60
	v_lshlrev_b32_e32 v3, 16, v20
	v_and_b32_e32 v4, 0xffff0000, v59
	v_lshlrev_b32_e32 v6, 16, v21
	;; [unrolled: 2-line block ×3, first 2 shown]
	v_mul_f32_e32 v49, v66, v47
	v_and_b32_e32 v68, 0xffff0000, v61
	v_lshlrev_b32_e32 v20, 16, v48
	v_lshlrev_b32_e32 v21, 16, v46
	v_mul_f32_e32 v54, v1, v3
	v_mul_f32_e32 v53, v4, v6
	;; [unrolled: 1-line block ×3, first 2 shown]
	v_lshlrev_b32_e32 v3, 16, v45
	v_lshlrev_b32_e32 v6, 16, v41
	;; [unrolled: 1-line block ×3, first 2 shown]
	v_mul_f32_e32 v48, v68, v20
	v_mul_f32_e32 v46, v2, v21
	v_lshlrev_b32_e32 v20, 16, v39
	v_lshlrev_b32_e32 v21, 16, v40
	v_mul_f32_e32 v45, v5, v3
	v_mul_f32_e32 v44, v7, v6
	v_mul_f32_e32 v41, v66, v8
	v_lshlrev_b32_e32 v3, 16, v43
	v_lshlrev_b32_e32 v6, 16, v42
	;; [unrolled: 1-line block ×3, first 2 shown]
	v_mul_f32_e32 v40, v1, v20
	v_mul_f32_e32 v20, v4, v21
	;; [unrolled: 1-line block ×6, first 2 shown]
	v_lshlrev_b32_e32 v2, 16, v65
	v_lshlrev_b32_e32 v3, 16, v9
	;; [unrolled: 1-line block ×5, first 2 shown]
	v_mul_f32_e32 v7, v7, v17
	v_mul_f32_e32 v17, v66, v2
	;; [unrolled: 1-line block ×6, first 2 shown]
	v_cmp_u_f32_e64 s24, v52, v52
	v_cmp_u_f32_e64 s20, v51, v51
	v_cmp_u_f32_e64 s21, v50, v50
	v_cmp_u_f32_e64 s22, v49, v49
	v_cmp_u_f32_e64 s25, v54, v54
	v_cmp_u_f32_e64 s23, v53, v53
	v_cmp_u_f32_e64 s17, v47, v47
	v_cmp_u_f32_e64 s19, v48, v48
	v_cmp_u_f32_e64 s15, v46, v46
	v_cmp_u_f32_e64 s18, v45, v45
	v_cmp_u_f32_e64 s16, v44, v44
	v_cmp_u_f32_e64 s13, v41, v41
	v_cmp_u_f32_e64 s14, v40, v40
	v_cmp_u_f32_e64 s10, v20, v20
	v_cmp_u_f32_e64 s11, v39, v39
	v_cmp_u_f32_e64 s12, v21, v21
	v_cmp_u_f32_e64 s7, v19, v19
	v_cmp_u_f32_e64 s9, v18, v18
	v_cmp_u_f32_e64 s3, v7, v7
	v_cmp_u_f32_e64 s4, v17, v17
	v_cmp_u_f32_e64 s5, v16, v16
	v_cmp_u_f32_e64 s6, v8, v8
	v_cmp_u_f32_e64 s1, v6, v6
	v_cmp_u_f32_e64 s2, v5, v5
	s_and_saveexec_b32 s53, vcc_lo
	s_cbranch_execz .LBB335_265
; %bb.455:                              ;   in Loop: Header=BB335_267 Depth=1
	v_add_co_u32 v1, s26, v14, v37
	v_add_co_ci_u32_e64 v2, null, 0, v15, s26
	v_mov_b32_e32 v15, 0
	v_mov_b32_e32 v14, 0
	global_load_dwordx2 v[1:2], v[1:2], off
	s_waitcnt vmcnt(0)
	v_cmp_ne_u16_sdwa s26, v1, v10 src0_sel:BYTE_0 src1_sel:DWORD
	s_and_saveexec_b32 s54, s26
	s_cbranch_execz .LBB335_461
; %bb.456:                              ;   in Loop: Header=BB335_267 Depth=1
	v_cmp_ne_u16_sdwa s26, v1, v32 src0_sel:BYTE_0 src1_sel:DWORD
	v_bfrev_b32_e32 v14, 1
	s_and_saveexec_b32 s55, s26
	s_cbranch_execz .LBB335_460
; %bb.457:                              ;   in Loop: Header=BB335_267 Depth=1
	v_and_b32_e32 v3, 0x7f, v1
	v_mov_b32_e32 v14, 0x7f800001
	s_mov_b32 s56, exec_lo
	v_cmpx_ne_u32_e32 0x7f, v3
	s_cbranch_execz .LBB335_459
; %bb.458:                              ;   in Loop: Header=BB335_267 Depth=1
	v_and_b32_e32 v4, 7, v1
	v_cmp_gt_u32_e64 s26, 8, v3
	v_lshrrev_b32_e32 v9, 3, v3
	v_ffbh_u32_e32 v4, v4
	v_min_u32_e32 v4, 32, v4
	v_subrev_nc_u32_e32 v14, 28, v4
	v_sub_nc_u32_e32 v4, 29, v4
	v_cndmask_b32_e64 v3, 0, v14, s26
	v_cndmask_b32_e64 v9, v9, v4, s26
	v_lshlrev_b64 v[3:4], v3, v[1:2]
	v_lshlrev_b32_e32 v4, 24, v1
	v_lshl_add_u32 v9, v9, 23, 0x3c000000
	v_lshlrev_b32_e32 v3, 20, v3
	v_and_b32_e32 v4, 0x80000000, v4
	v_and_b32_e32 v3, 0x700000, v3
	v_or3_b32 v14, v3, v4, v9
.LBB335_459:                            ;   in Loop: Header=BB335_267 Depth=1
	s_or_b32 exec_lo, exec_lo, s56
.LBB335_460:                            ;   in Loop: Header=BB335_267 Depth=1
	s_or_b32 exec_lo, exec_lo, s55
.LBB335_461:                            ;   in Loop: Header=BB335_267 Depth=1
	s_or_b32 exec_lo, exec_lo, s54
	v_cmp_ne_u16_sdwa s26, v1, v10 src0_sel:BYTE_1 src1_sel:DWORD
	s_and_saveexec_b32 s54, s26
	s_cbranch_execz .LBB335_469
; %bb.462:                              ;   in Loop: Header=BB335_267 Depth=1
	v_cmp_ne_u16_sdwa s26, v1, v32 src0_sel:BYTE_1 src1_sel:DWORD
	v_bfrev_b32_e32 v15, 1
	s_and_saveexec_b32 s55, s26
	s_cbranch_execz .LBB335_468
; %bb.463:                              ;   in Loop: Header=BB335_267 Depth=1
	v_and_b32_sdwa v3, v33, v1 dst_sel:DWORD dst_unused:UNUSED_PAD src0_sel:DWORD src1_sel:BYTE_1
	v_mov_b32_e32 v15, 0x7f800001
	s_mov_b32 s56, exec_lo
	v_and_b32_e32 v4, 0x7f, v3
	v_cmpx_ne_u32_e32 0x7f, v4
	s_cbranch_execz .LBB335_467
; %bb.464:                              ;   in Loop: Header=BB335_267 Depth=1
	v_and_b32_e32 v9, 7, v3
	v_lshrrev_b32_e32 v3, 3, v4
	s_mov_b32 s57, exec_lo
	v_cmpx_gt_u32_e32 8, v4
; %bb.465:                              ;   in Loop: Header=BB335_267 Depth=1
	v_ffbh_u32_e32 v3, v9
	v_min_u32_e32 v3, 32, v3
	v_subrev_nc_u32_e32 v4, 28, v3
	v_sub_nc_u32_e32 v3, 29, v3
	v_lshlrev_b64 v[42:43], v4, v[9:10]
	v_and_b32_e32 v9, 7, v42
; %bb.466:                              ;   in Loop: Header=BB335_267 Depth=1
	s_or_b32 exec_lo, exec_lo, s57
	v_lshlrev_b32_e32 v4, 16, v1
	v_lshlrev_b32_e32 v9, 20, v9
	v_lshl_add_u32 v3, v3, 23, 0x3c000000
	v_and_b32_e32 v4, 0x80000000, v4
	v_or3_b32 v15, v9, v4, v3
.LBB335_467:                            ;   in Loop: Header=BB335_267 Depth=1
	s_or_b32 exec_lo, exec_lo, s56
.LBB335_468:                            ;   in Loop: Header=BB335_267 Depth=1
	s_or_b32 exec_lo, exec_lo, s55
.LBB335_469:                            ;   in Loop: Header=BB335_267 Depth=1
	s_or_b32 exec_lo, exec_lo, s54
	v_and_b32_sdwa v3, v1, v34 dst_sel:DWORD dst_unused:UNUSED_PAD src0_sel:WORD_1 src1_sel:DWORD
	v_mov_b32_e32 v43, 0
	v_mov_b32_e32 v42, 0
	s_mov_b32 s54, exec_lo
	v_cmpx_ne_u16_e32 0, v3
	s_cbranch_execz .LBB335_477
; %bb.470:                              ;   in Loop: Header=BB335_267 Depth=1
	v_bfrev_b32_e32 v42, 1
	s_mov_b32 s55, exec_lo
	v_cmpx_ne_u16_e32 0x80, v3
	s_cbranch_execz .LBB335_476
; %bb.471:                              ;   in Loop: Header=BB335_267 Depth=1
	v_bfe_u32 v4, v1, 16, 7
	v_mov_b32_e32 v42, 0x7f800001
	s_mov_b32 s56, exec_lo
	v_cmpx_ne_u32_e32 0x7f, v4
	s_cbranch_execz .LBB335_475
; %bb.472:                              ;   in Loop: Header=BB335_267 Depth=1
	v_and_b32_sdwa v9, v1, v35 dst_sel:DWORD dst_unused:UNUSED_PAD src0_sel:WORD_1 src1_sel:DWORD
	v_lshrrev_b32_e32 v3, 3, v4
	s_mov_b32 s57, exec_lo
	v_cmpx_gt_u32_e32 8, v4
; %bb.473:                              ;   in Loop: Header=BB335_267 Depth=1
	v_ffbh_u32_e32 v3, v9
	v_min_u32_e32 v3, 32, v3
	v_subrev_nc_u32_e32 v4, 28, v3
	v_sub_nc_u32_e32 v3, 29, v3
	v_lshlrev_b64 v[63:64], v4, v[9:10]
	v_and_b32_e32 v9, 7, v63
; %bb.474:                              ;   in Loop: Header=BB335_267 Depth=1
	s_or_b32 exec_lo, exec_lo, s57
	v_lshlrev_b32_sdwa v4, v36, v1 dst_sel:DWORD dst_unused:UNUSED_PAD src0_sel:DWORD src1_sel:WORD_1
	v_lshlrev_b32_e32 v9, 20, v9
	v_lshl_add_u32 v3, v3, 23, 0x3c000000
	v_and_b32_e32 v4, 0x80000000, v4
	v_or3_b32 v42, v9, v4, v3
.LBB335_475:                            ;   in Loop: Header=BB335_267 Depth=1
	s_or_b32 exec_lo, exec_lo, s56
.LBB335_476:                            ;   in Loop: Header=BB335_267 Depth=1
	s_or_b32 exec_lo, exec_lo, s55
.LBB335_477:                            ;   in Loop: Header=BB335_267 Depth=1
	s_or_b32 exec_lo, exec_lo, s54
	s_mov_b32 s54, exec_lo
	v_cmpx_lt_u32_e32 0xffffff, v1
	s_cbranch_execz .LBB335_485
; %bb.478:                              ;   in Loop: Header=BB335_267 Depth=1
	v_cmp_ne_u32_sdwa s26, v1, v32 src0_sel:BYTE_3 src1_sel:DWORD
	v_bfrev_b32_e32 v43, 1
	s_and_saveexec_b32 s55, s26
	s_cbranch_execz .LBB335_484
; %bb.479:                              ;   in Loop: Header=BB335_267 Depth=1
	v_bfe_u32 v4, v1, 24, 7
	v_mov_b32_e32 v43, 0x7f800001
	s_mov_b32 s56, exec_lo
	v_cmpx_ne_u32_e32 0x7f, v4
	s_cbranch_execz .LBB335_483
; %bb.480:                              ;   in Loop: Header=BB335_267 Depth=1
	v_and_b32_sdwa v9, v1, v35 dst_sel:DWORD dst_unused:UNUSED_PAD src0_sel:BYTE_3 src1_sel:DWORD
	v_lshrrev_b32_e32 v3, 3, v4
	s_mov_b32 s57, exec_lo
	v_cmpx_gt_u32_e32 8, v4
; %bb.481:                              ;   in Loop: Header=BB335_267 Depth=1
	v_ffbh_u32_e32 v3, v9
	v_min_u32_e32 v3, 32, v3
	v_subrev_nc_u32_e32 v4, 28, v3
	v_sub_nc_u32_e32 v3, 29, v3
	v_lshlrev_b64 v[63:64], v4, v[9:10]
	v_and_b32_e32 v9, 7, v63
; %bb.482:                              ;   in Loop: Header=BB335_267 Depth=1
	s_or_b32 exec_lo, exec_lo, s57
	v_lshlrev_b32_sdwa v4, v36, v1 dst_sel:DWORD dst_unused:UNUSED_PAD src0_sel:DWORD src1_sel:BYTE_3
	v_lshlrev_b32_e32 v9, 20, v9
	v_lshl_add_u32 v3, v3, 23, 0x3c000000
	v_and_b32_e32 v4, 0x80000000, v4
	v_or3_b32 v43, v9, v4, v3
.LBB335_483:                            ;   in Loop: Header=BB335_267 Depth=1
	s_or_b32 exec_lo, exec_lo, s56
.LBB335_484:                            ;   in Loop: Header=BB335_267 Depth=1
	s_or_b32 exec_lo, exec_lo, s55
.LBB335_485:                            ;   in Loop: Header=BB335_267 Depth=1
	s_or_b32 exec_lo, exec_lo, s54
	v_mov_b32_e32 v9, v2
	v_cmp_ne_u16_sdwa s26, v2, v10 src0_sel:BYTE_0 src1_sel:DWORD
	v_mov_b32_e32 v3, 0
	v_mov_b32_e32 v63, 0
	s_and_saveexec_b32 s54, s26
	s_cbranch_execz .LBB335_491
; %bb.486:                              ;   in Loop: Header=BB335_267 Depth=1
	v_cmp_ne_u16_sdwa s26, v2, v32 src0_sel:BYTE_0 src1_sel:DWORD
	v_bfrev_b32_e32 v63, 1
	s_and_saveexec_b32 s55, s26
	s_cbranch_execz .LBB335_490
; %bb.487:                              ;   in Loop: Header=BB335_267 Depth=1
	v_and_b32_e32 v4, 0x7f, v2
	v_mov_b32_e32 v63, 0x7f800001
	s_mov_b32 s56, exec_lo
	v_cmpx_ne_u32_e32 0x7f, v4
	s_cbranch_execz .LBB335_489
; %bb.488:                              ;   in Loop: Header=BB335_267 Depth=1
	v_and_b32_e32 v63, 7, v2
	v_lshrrev_b32_e32 v64, 3, v4
	v_cmp_gt_u32_e64 s26, 8, v4
	v_ffbh_u32_e32 v63, v63
	v_min_u32_e32 v63, 32, v63
	v_subrev_nc_u32_e32 v65, 28, v63
	v_sub_nc_u32_e32 v63, 29, v63
	v_cndmask_b32_e64 v4, v64, v63, s26
	v_cndmask_b32_e64 v63, 0, v65, s26
	v_lshl_add_u32 v4, v4, 23, 0x3c000000
	v_lshlrev_b64 v[63:64], v63, v[9:10]
	v_lshlrev_b32_e32 v64, 24, v9
	v_lshlrev_b32_e32 v63, 20, v63
	v_and_b32_e32 v64, 0x80000000, v64
	v_and_b32_e32 v63, 0x700000, v63
	v_or3_b32 v63, v63, v64, v4
.LBB335_489:                            ;   in Loop: Header=BB335_267 Depth=1
	s_or_b32 exec_lo, exec_lo, s56
.LBB335_490:                            ;   in Loop: Header=BB335_267 Depth=1
	s_or_b32 exec_lo, exec_lo, s55
.LBB335_491:                            ;   in Loop: Header=BB335_267 Depth=1
	s_or_b32 exec_lo, exec_lo, s54
	v_cmp_ne_u16_sdwa s26, v9, v10 src0_sel:BYTE_1 src1_sel:DWORD
	s_and_saveexec_b32 s54, s26
	s_cbranch_execz .LBB335_499
; %bb.492:                              ;   in Loop: Header=BB335_267 Depth=1
	v_cmp_ne_u16_sdwa s26, v9, v32 src0_sel:BYTE_1 src1_sel:DWORD
	v_bfrev_b32_e32 v3, 1
	s_and_saveexec_b32 s55, s26
	s_cbranch_execz .LBB335_498
; %bb.493:                              ;   in Loop: Header=BB335_267 Depth=1
	v_and_b32_sdwa v4, v33, v9 dst_sel:DWORD dst_unused:UNUSED_PAD src0_sel:DWORD src1_sel:BYTE_1
	v_mov_b32_e32 v3, 0x7f800001
	s_mov_b32 s56, exec_lo
	v_and_b32_e32 v65, 0x7f, v4
	v_cmpx_ne_u32_e32 0x7f, v65
	s_cbranch_execz .LBB335_497
; %bb.494:                              ;   in Loop: Header=BB335_267 Depth=1
	v_and_b32_e32 v3, 7, v4
	v_mov_b32_e32 v4, v10
	v_lshrrev_b32_e32 v64, 3, v65
	s_mov_b32 s57, exec_lo
	v_cmpx_gt_u32_e32 8, v65
; %bb.495:                              ;   in Loop: Header=BB335_267 Depth=1
	v_ffbh_u32_e32 v64, v3
	v_min_u32_e32 v64, 32, v64
	v_subrev_nc_u32_e32 v65, 28, v64
	v_sub_nc_u32_e32 v64, 29, v64
	v_lshlrev_b64 v[3:4], v65, v[3:4]
	v_and_b32_e32 v3, 7, v3
; %bb.496:                              ;   in Loop: Header=BB335_267 Depth=1
	s_or_b32 exec_lo, exec_lo, s57
	v_lshlrev_b32_e32 v4, 16, v9
	v_lshlrev_b32_e32 v3, 20, v3
	v_lshl_add_u32 v9, v64, 23, 0x3c000000
	v_and_b32_e32 v4, 0x80000000, v4
	v_or3_b32 v3, v3, v4, v9
.LBB335_497:                            ;   in Loop: Header=BB335_267 Depth=1
	s_or_b32 exec_lo, exec_lo, s56
.LBB335_498:                            ;   in Loop: Header=BB335_267 Depth=1
	s_or_b32 exec_lo, exec_lo, s55
.LBB335_499:                            ;   in Loop: Header=BB335_267 Depth=1
	s_or_b32 exec_lo, exec_lo, s54
	v_and_b32_sdwa v9, v2, v34 dst_sel:DWORD dst_unused:UNUSED_PAD src0_sel:WORD_1 src1_sel:DWORD
	v_mov_b32_e32 v4, 0
	v_mov_b32_e32 v64, 0
	s_mov_b32 s54, exec_lo
	v_cmpx_ne_u16_e32 0, v9
	s_cbranch_execz .LBB335_507
; %bb.500:                              ;   in Loop: Header=BB335_267 Depth=1
	v_bfrev_b32_e32 v64, 1
	s_mov_b32 s55, exec_lo
	v_cmpx_ne_u16_e32 0x80, v9
	s_cbranch_execz .LBB335_506
; %bb.501:                              ;   in Loop: Header=BB335_267 Depth=1
	v_bfe_u32 v65, v2, 16, 7
	v_mov_b32_e32 v64, 0x7f800001
	s_mov_b32 s56, exec_lo
	v_cmpx_ne_u32_e32 0x7f, v65
	s_cbranch_execz .LBB335_505
; %bb.502:                              ;   in Loop: Header=BB335_267 Depth=1
	v_and_b32_sdwa v9, v2, v35 dst_sel:DWORD dst_unused:UNUSED_PAD src0_sel:WORD_1 src1_sel:DWORD
	v_lshrrev_b32_e32 v64, 3, v65
	s_mov_b32 s57, exec_lo
	v_cmpx_gt_u32_e32 8, v65
; %bb.503:                              ;   in Loop: Header=BB335_267 Depth=1
	v_ffbh_u32_e32 v64, v9
	v_min_u32_e32 v64, 32, v64
	v_subrev_nc_u32_e32 v65, 28, v64
	v_sub_nc_u32_e32 v64, 29, v64
	v_lshlrev_b64 v[65:66], v65, v[9:10]
	v_and_b32_e32 v9, 7, v65
; %bb.504:                              ;   in Loop: Header=BB335_267 Depth=1
	s_or_b32 exec_lo, exec_lo, s57
	v_lshlrev_b32_sdwa v65, v36, v2 dst_sel:DWORD dst_unused:UNUSED_PAD src0_sel:DWORD src1_sel:WORD_1
	v_lshlrev_b32_e32 v9, 20, v9
	v_lshl_add_u32 v64, v64, 23, 0x3c000000
	v_and_b32_e32 v65, 0x80000000, v65
	v_or3_b32 v64, v9, v65, v64
.LBB335_505:                            ;   in Loop: Header=BB335_267 Depth=1
	s_or_b32 exec_lo, exec_lo, s56
.LBB335_506:                            ;   in Loop: Header=BB335_267 Depth=1
	s_or_b32 exec_lo, exec_lo, s55
.LBB335_507:                            ;   in Loop: Header=BB335_267 Depth=1
	s_or_b32 exec_lo, exec_lo, s54
	s_mov_b32 s54, exec_lo
	v_cmpx_lt_u64_e64 s[40:41], v[1:2]
	s_cbranch_execz .LBB335_515
; %bb.508:                              ;   in Loop: Header=BB335_267 Depth=1
	v_cmp_ne_u32_sdwa s26, v2, v32 src0_sel:BYTE_3 src1_sel:DWORD
	v_bfrev_b32_e32 v4, 1
	s_and_saveexec_b32 s55, s26
	s_cbranch_execz .LBB335_514
; %bb.509:                              ;   in Loop: Header=BB335_267 Depth=1
	v_bfe_u32 v65, v2, 24, 7
	v_mov_b32_e32 v4, 0x7f800001
	s_mov_b32 s56, exec_lo
	v_cmpx_ne_u32_e32 0x7f, v65
	s_cbranch_execz .LBB335_513
; %bb.510:                              ;   in Loop: Header=BB335_267 Depth=1
	v_and_b32_sdwa v9, v2, v35 dst_sel:DWORD dst_unused:UNUSED_PAD src0_sel:BYTE_3 src1_sel:DWORD
	v_lshrrev_b32_e32 v1, 3, v65
	s_mov_b32 s57, exec_lo
	v_cmpx_gt_u32_e32 8, v65
; %bb.511:                              ;   in Loop: Header=BB335_267 Depth=1
	v_ffbh_u32_e32 v1, v9
	v_min_u32_e32 v1, 32, v1
	v_subrev_nc_u32_e32 v4, 28, v1
	v_sub_nc_u32_e32 v1, 29, v1
	v_lshlrev_b64 v[65:66], v4, v[9:10]
	v_and_b32_e32 v9, 7, v65
; %bb.512:                              ;   in Loop: Header=BB335_267 Depth=1
	s_or_b32 exec_lo, exec_lo, s57
	v_lshlrev_b32_sdwa v2, v36, v2 dst_sel:DWORD dst_unused:UNUSED_PAD src0_sel:DWORD src1_sel:BYTE_3
	v_lshlrev_b32_e32 v4, 20, v9
	v_lshl_add_u32 v1, v1, 23, 0x3c000000
	v_and_b32_e32 v2, 0x80000000, v2
	v_or3_b32 v4, v4, v2, v1
.LBB335_513:                            ;   in Loop: Header=BB335_267 Depth=1
	s_or_b32 exec_lo, exec_lo, s56
.LBB335_514:                            ;   in Loop: Header=BB335_267 Depth=1
	s_or_b32 exec_lo, exec_lo, s55
.LBB335_515:                            ;   in Loop: Header=BB335_267 Depth=1
	s_or_b32 exec_lo, exec_lo, s54
	v_mul_f32_e32 v1, s52, v3
	v_mul_f32_e32 v2, s52, v63
	v_mul_f32_e32 v3, s52, v43
	v_mul_f32_e32 v42, s52, v42
	v_mul_f32_e32 v15, s52, v15
	v_bfe_u32 v9, v1, 16, 1
	v_or_b32_e32 v43, 0x400000, v1
	v_bfe_u32 v63, v2, 16, 1
	v_cmp_u_f32_e64 s26, v1, v1
	v_or_b32_e32 v65, 0x400000, v2
	v_add3_u32 v9, v9, v1, 0x7fff
	v_bfe_u32 v66, v3, 16, 1
	v_add3_u32 v63, v63, v2, 0x7fff
	v_or_b32_e32 v67, 0x400000, v3
	v_bfe_u32 v68, v42, 16, 1
	v_cndmask_b32_e64 v1, v9, v43, s26
	v_cmp_u_f32_e64 s26, v2, v2
	v_add3_u32 v66, v66, v3, 0x7fff
	v_mul_f32_e32 v14, s52, v14
	v_add3_u32 v43, v68, v42, 0x7fff
	v_lshrrev_b32_e32 v2, 16, v1
	v_cndmask_b32_e64 v9, v63, v65, s26
	v_cmp_u_f32_e64 s26, v3, v3
	v_or_b32_e32 v63, 0x400000, v42
	v_mul_f32_e32 v4, s52, v4
	v_lshrrev_b32_e32 v1, 16, v9
	v_cndmask_b32_e64 v3, v66, v67, s26
	v_cmp_u_f32_e64 s26, v42, v42
	v_or_b32_e32 v67, 0x400000, v4
	v_lshrrev_b32_e32 v9, 16, v3
	v_bfe_u32 v3, v15, 16, 1
	v_cndmask_b32_e64 v42, v43, v63, s26
	v_mul_f32_e32 v43, s52, v64
	v_or_b32_e32 v63, 0x400000, v15
	v_bfe_u32 v64, v14, 16, 1
	v_add3_u32 v3, v3, v15, 0x7fff
	v_cmp_u_f32_e64 s26, v15, v15
	v_bfe_u32 v65, v43, 16, 1
	v_bfe_u32 v15, v4, 16, 1
	v_or_b32_e32 v66, 0x400000, v43
	v_cndmask_b32_e64 v3, v3, v63, s26
	v_add3_u32 v63, v64, v14, 0x7fff
	v_or_b32_e32 v64, 0x400000, v14
	v_cmp_u_f32_e64 s26, v14, v14
	v_add3_u32 v65, v65, v43, 0x7fff
	v_add3_u32 v15, v15, v4, 0x7fff
	v_lshrrev_b32_e32 v14, 16, v42
	v_lshrrev_b32_e32 v42, 16, v3
	v_cndmask_b32_e64 v63, v63, v64, s26
	v_cmp_u_f32_e64 s26, v43, v43
	v_cndmask_b32_e64 v43, v65, v66, s26
	v_cmp_u_f32_e64 s26, v4, v4
	v_lshrrev_b32_e32 v3, 16, v43
	v_cndmask_b32_e64 v4, v15, v67, s26
	v_lshrrev_b32_e32 v15, 16, v63
	v_lshrrev_b32_e32 v4, 16, v4
	s_and_saveexec_b32 s26, s0
	s_cbranch_execz .LBB335_264
; %bb.516:                              ;   in Loop: Header=BB335_267 Depth=1
	v_add_nc_u32_e32 v43, 1, v26
	v_cmp_gt_i32_e64 s0, s33, v26
	v_add_nc_u32_e32 v63, 2, v26
	v_add_nc_u32_e32 v64, 3, v26
	v_cndmask_b32_e64 v15, 0, v15, s0
	v_cmp_gt_i32_e64 s0, s33, v43
	v_add_nc_u32_e32 v43, 4, v26
	v_cndmask_b32_e64 v42, 0, v42, s0
	v_cmp_gt_i32_e64 s0, s33, v63
	;; [unrolled: 3-line block ×5, first 2 shown]
	v_cndmask_b32_e64 v2, 0, v2, s0
	v_cmp_gt_i32_e64 s0, s33, v64
	v_cndmask_b32_e64 v3, 0, v3, s0
	v_cmp_gt_i32_e64 s0, s33, v43
	v_cndmask_b32_e64 v4, 0, v4, s0
	s_branch .LBB335_264
.LBB335_517:
	s_or_b32 exec_lo, exec_lo, s27
.LBB335_518:
	s_or_b32 exec_lo, exec_lo, s29
	s_movk_i32 s0, 0x1c0
	v_and_b32_e32 v1, 0x3c0, v0
	v_mad_u32_u24 v4, v25, s0, 0x100
	v_or_b32_e32 v3, 0x60, v0
	s_mov_b32 s0, exec_lo
	s_waitcnt_vscnt null, 0x0
	s_barrier
	buffer_gl0_inv
	v_cmpx_eq_u32_e32 64, v1
	s_cbranch_execz .LBB335_521
; %bb.519:
	v_add_nc_u32_e32 v1, 0xfffffc80, v4
	v_cmp_gt_u32_e32 vcc_lo, 0x70, v3
	v_lshl_add_u32 v2, v22, 2, v1
	ds_write2_b32 v2, v29, v28 offset1:32
	ds_write_b32 v2, v27 offset:256
	s_and_b32 exec_lo, exec_lo, vcc_lo
; %bb.520:
	v_lshl_add_u32 v1, v3, 2, v1
	ds_write_b32 v1, v24
.LBB335_521:
	s_or_b32 exec_lo, exec_lo, s0
	v_lshl_add_u32 v5, v22, 2, v4
	s_mov_b32 s0, exec_lo
	s_waitcnt lgkmcnt(0)
	s_barrier
	buffer_gl0_inv
	v_cmpx_gt_u32_e32 64, v0
	s_cbranch_execz .LBB335_525
; %bb.522:
	v_lshl_or_b32 v1, v0, 2, 0x80
	s_mov_b32 s1, exec_lo
	v_add_nc_u32_e32 v6, v4, v1
	ds_read2st64_b32 v[1:2], v5 offset1:1
	ds_read_b32 v6, v6
	v_cmpx_gt_u32_e32 0x70, v3
	s_cbranch_execz .LBB335_524
; %bb.523:
	v_lshl_add_u32 v7, v3, 2, v4
	ds_read_b32 v7, v7
	s_waitcnt lgkmcnt(0)
	v_add_f32_e32 v24, v24, v7
.LBB335_524:
	s_or_b32 exec_lo, exec_lo, s1
	s_waitcnt lgkmcnt(1)
	v_add_f32_e32 v29, v29, v1
	s_waitcnt lgkmcnt(0)
	v_add_f32_e32 v28, v28, v6
	v_add_f32_e32 v27, v27, v2
.LBB335_525:
	s_or_b32 exec_lo, exec_lo, s0
	v_and_b32_e32 v1, 0x3e0, v0
	s_mov_b32 s0, exec_lo
	s_barrier
	buffer_gl0_inv
	v_cmpx_eq_u32_e32 32, v1
	s_cbranch_execz .LBB335_528
; %bb.526:
	v_lshl_add_u32 v1, v22, 2, 0x100
	v_cmp_gt_u32_e32 vcc_lo, 0x70, v3
	ds_write_b32 v1, v29
	ds_write_b32 v23, v28
	ds_write_b32 v1, v27 offset:256
	s_and_b32 exec_lo, exec_lo, vcc_lo
; %bb.527:
	v_lshl_add_u32 v1, v3, 2, 0x100
	ds_write_b32 v1, v24
.LBB335_528:
	s_or_b32 exec_lo, exec_lo, s0
	v_cmp_gt_u32_e32 vcc_lo, 32, v0
	s_waitcnt lgkmcnt(0)
	s_barrier
	buffer_gl0_inv
	s_and_saveexec_b32 s1, vcc_lo
	s_cbranch_execz .LBB335_532
; %bb.529:
	v_lshl_add_u32 v6, v0, 2, v4
	s_mov_b32 s2, exec_lo
	ds_read_b32 v4, v5
	ds_read2_b32 v[1:2], v6 offset0:32 offset1:64
	v_cmpx_gt_u32_e32 0x70, v3
	s_cbranch_execz .LBB335_531
; %bb.530:
	ds_read_b32 v5, v6 offset:384
	s_waitcnt lgkmcnt(0)
	v_add_f32_e32 v24, v24, v5
.LBB335_531:
	s_or_b32 exec_lo, exec_lo, s2
	s_waitcnt lgkmcnt(1)
	v_add_f32_e32 v29, v29, v4
	s_waitcnt lgkmcnt(0)
	v_add_f32_e32 v28, v28, v1
	v_add_f32_e32 v27, v27, v2
.LBB335_532:
	s_or_b32 exec_lo, exec_lo, s1
	s_barrier
	buffer_gl0_inv
	s_and_saveexec_b32 s0, vcc_lo
	s_cbranch_execz .LBB335_535
; %bb.533:
	v_bfe_u32 v1, v29, 16, 1
	v_bfe_u32 v2, v28, 16, 1
	v_or_b32_e32 v5, 0x400000, v29
	v_cmp_u_f32_e32 vcc_lo, v29, v29
	s_mul_i32 s0, s28, 0x70
	v_add3_u32 v1, v1, v29, 0x7fff
	s_ashr_i32 s1, s0, 31
	v_bfe_u32 v4, v27, 16, 1
	s_lshl_b64 s[0:1], s[0:1], 1
	v_add3_u32 v2, v2, v28, 0x7fff
	v_or_b32_e32 v6, 0x400000, v28
	v_cndmask_b32_e32 v1, v1, v5, vcc_lo
	v_cmp_u_f32_e32 vcc_lo, v28, v28
	s_mul_i32 s2, s35, s34
	s_add_u32 s4, s36, s0
	s_addc_u32 s1, s37, s1
	s_ashr_i32 s3, s2, 31
	v_add3_u32 v4, v4, v27, 0x7fff
	s_lshl_b64 s[2:3], s[2:3], 1
	v_or_b32_e32 v7, 0x400000, v27
	v_cndmask_b32_e32 v2, v2, v6, vcc_lo
	v_cmp_u_f32_e32 vcc_lo, v27, v27
	s_mul_i32 s0, s8, 0x70
	s_add_u32 s2, s4, s2
	s_addc_u32 s3, s1, s3
	s_ashr_i32 s1, s0, 31
	v_lshlrev_b32_e32 v0, 1, v0
	s_lshl_b64 s[0:1], s[0:1], 1
	v_cndmask_b32_e32 v4, v4, v7, vcc_lo
	v_cmp_gt_u32_e32 vcc_lo, 0x70, v3
	s_add_u32 s0, s2, s0
	s_addc_u32 s1, s3, s1
	global_store_short_d16_hi v0, v1, s[0:1]
	global_store_short_d16_hi v0, v2, s[0:1] offset:64
	global_store_short_d16_hi v0, v4, s[0:1] offset:128
	s_and_b32 exec_lo, exec_lo, vcc_lo
	s_cbranch_execz .LBB335_535
; %bb.534:
	v_bfe_u32 v1, v24, 16, 1
	v_or_b32_e32 v2, 0x400000, v24
	v_cmp_u_f32_e32 vcc_lo, v24, v24
	v_add_co_u32 v0, s0, s0, v0
	v_add3_u32 v3, v1, v24, 0x7fff
	v_add_co_ci_u32_e64 v1, null, s1, 0, s0
	v_cndmask_b32_e32 v2, v3, v2, vcc_lo
	global_store_short_d16_hi v[0:1], v2, off offset:192
.LBB335_535:
	s_endpgm
	.section	.rodata,"a",@progbits
	.p2align	6, 0x0
	.amdhsa_kernel _ZN4vllm25paged_attention_v2_kernelI14__hip_bfloat16hLi112ELi8ELi128ELNS_18Fp8KVCacheDataTypeE1ELb1ELi512EEEvPfS3_PT_PKS4_PKT0_SA_ifPKiSC_iPKfiiiSE_SE_iiiii
		.amdhsa_group_segment_fixed_size 256
		.amdhsa_private_segment_fixed_size 0
		.amdhsa_kernarg_size 400
		.amdhsa_user_sgpr_count 6
		.amdhsa_user_sgpr_private_segment_buffer 1
		.amdhsa_user_sgpr_dispatch_ptr 0
		.amdhsa_user_sgpr_queue_ptr 0
		.amdhsa_user_sgpr_kernarg_segment_ptr 1
		.amdhsa_user_sgpr_dispatch_id 0
		.amdhsa_user_sgpr_flat_scratch_init 0
		.amdhsa_user_sgpr_private_segment_size 0
		.amdhsa_wavefront_size32 1
		.amdhsa_uses_dynamic_stack 0
		.amdhsa_system_sgpr_private_segment_wavefront_offset 0
		.amdhsa_system_sgpr_workgroup_id_x 1
		.amdhsa_system_sgpr_workgroup_id_y 1
		.amdhsa_system_sgpr_workgroup_id_z 1
		.amdhsa_system_sgpr_workgroup_info 0
		.amdhsa_system_vgpr_workitem_id 0
		.amdhsa_next_free_vgpr 80
		.amdhsa_next_free_sgpr 58
		.amdhsa_reserve_vcc 1
		.amdhsa_reserve_flat_scratch 0
		.amdhsa_float_round_mode_32 0
		.amdhsa_float_round_mode_16_64 0
		.amdhsa_float_denorm_mode_32 3
		.amdhsa_float_denorm_mode_16_64 3
		.amdhsa_dx10_clamp 1
		.amdhsa_ieee_mode 1
		.amdhsa_fp16_overflow 0
		.amdhsa_workgroup_processor_mode 1
		.amdhsa_memory_ordered 1
		.amdhsa_forward_progress 1
		.amdhsa_shared_vgpr_count 0
		.amdhsa_exception_fp_ieee_invalid_op 0
		.amdhsa_exception_fp_denorm_src 0
		.amdhsa_exception_fp_ieee_div_zero 0
		.amdhsa_exception_fp_ieee_overflow 0
		.amdhsa_exception_fp_ieee_underflow 0
		.amdhsa_exception_fp_ieee_inexact 0
		.amdhsa_exception_int_div_zero 0
	.end_amdhsa_kernel
	.section	.text._ZN4vllm25paged_attention_v2_kernelI14__hip_bfloat16hLi112ELi8ELi128ELNS_18Fp8KVCacheDataTypeE1ELb1ELi512EEEvPfS3_PT_PKS4_PKT0_SA_ifPKiSC_iPKfiiiSE_SE_iiiii,"axG",@progbits,_ZN4vllm25paged_attention_v2_kernelI14__hip_bfloat16hLi112ELi8ELi128ELNS_18Fp8KVCacheDataTypeE1ELb1ELi512EEEvPfS3_PT_PKS4_PKT0_SA_ifPKiSC_iPKfiiiSE_SE_iiiii,comdat
.Lfunc_end335:
	.size	_ZN4vllm25paged_attention_v2_kernelI14__hip_bfloat16hLi112ELi8ELi128ELNS_18Fp8KVCacheDataTypeE1ELb1ELi512EEEvPfS3_PT_PKS4_PKT0_SA_ifPKiSC_iPKfiiiSE_SE_iiiii, .Lfunc_end335-_ZN4vllm25paged_attention_v2_kernelI14__hip_bfloat16hLi112ELi8ELi128ELNS_18Fp8KVCacheDataTypeE1ELb1ELi512EEEvPfS3_PT_PKS4_PKT0_SA_ifPKiSC_iPKfiiiSE_SE_iiiii
                                        ; -- End function
	.set _ZN4vllm25paged_attention_v2_kernelI14__hip_bfloat16hLi112ELi8ELi128ELNS_18Fp8KVCacheDataTypeE1ELb1ELi512EEEvPfS3_PT_PKS4_PKT0_SA_ifPKiSC_iPKfiiiSE_SE_iiiii.num_vgpr, 80
	.set _ZN4vllm25paged_attention_v2_kernelI14__hip_bfloat16hLi112ELi8ELi128ELNS_18Fp8KVCacheDataTypeE1ELb1ELi512EEEvPfS3_PT_PKS4_PKT0_SA_ifPKiSC_iPKfiiiSE_SE_iiiii.num_agpr, 0
	.set _ZN4vllm25paged_attention_v2_kernelI14__hip_bfloat16hLi112ELi8ELi128ELNS_18Fp8KVCacheDataTypeE1ELb1ELi512EEEvPfS3_PT_PKS4_PKT0_SA_ifPKiSC_iPKfiiiSE_SE_iiiii.numbered_sgpr, 58
	.set _ZN4vllm25paged_attention_v2_kernelI14__hip_bfloat16hLi112ELi8ELi128ELNS_18Fp8KVCacheDataTypeE1ELb1ELi512EEEvPfS3_PT_PKS4_PKT0_SA_ifPKiSC_iPKfiiiSE_SE_iiiii.num_named_barrier, 0
	.set _ZN4vllm25paged_attention_v2_kernelI14__hip_bfloat16hLi112ELi8ELi128ELNS_18Fp8KVCacheDataTypeE1ELb1ELi512EEEvPfS3_PT_PKS4_PKT0_SA_ifPKiSC_iPKfiiiSE_SE_iiiii.private_seg_size, 0
	.set _ZN4vllm25paged_attention_v2_kernelI14__hip_bfloat16hLi112ELi8ELi128ELNS_18Fp8KVCacheDataTypeE1ELb1ELi512EEEvPfS3_PT_PKS4_PKT0_SA_ifPKiSC_iPKfiiiSE_SE_iiiii.uses_vcc, 1
	.set _ZN4vllm25paged_attention_v2_kernelI14__hip_bfloat16hLi112ELi8ELi128ELNS_18Fp8KVCacheDataTypeE1ELb1ELi512EEEvPfS3_PT_PKS4_PKT0_SA_ifPKiSC_iPKfiiiSE_SE_iiiii.uses_flat_scratch, 0
	.set _ZN4vllm25paged_attention_v2_kernelI14__hip_bfloat16hLi112ELi8ELi128ELNS_18Fp8KVCacheDataTypeE1ELb1ELi512EEEvPfS3_PT_PKS4_PKT0_SA_ifPKiSC_iPKfiiiSE_SE_iiiii.has_dyn_sized_stack, 0
	.set _ZN4vllm25paged_attention_v2_kernelI14__hip_bfloat16hLi112ELi8ELi128ELNS_18Fp8KVCacheDataTypeE1ELb1ELi512EEEvPfS3_PT_PKS4_PKT0_SA_ifPKiSC_iPKfiiiSE_SE_iiiii.has_recursion, 0
	.set _ZN4vllm25paged_attention_v2_kernelI14__hip_bfloat16hLi112ELi8ELi128ELNS_18Fp8KVCacheDataTypeE1ELb1ELi512EEEvPfS3_PT_PKS4_PKT0_SA_ifPKiSC_iPKfiiiSE_SE_iiiii.has_indirect_call, 0
	.section	.AMDGPU.csdata,"",@progbits
; Kernel info:
; codeLenInByte = 21684
; TotalNumSgprs: 60
; NumVgprs: 80
; ScratchSize: 0
; MemoryBound: 0
; FloatMode: 240
; IeeeMode: 1
; LDSByteSize: 256 bytes/workgroup (compile time only)
; SGPRBlocks: 0
; VGPRBlocks: 9
; NumSGPRsForWavesPerEU: 60
; NumVGPRsForWavesPerEU: 80
; Occupancy: 12
; WaveLimiterHint : 1
; COMPUTE_PGM_RSRC2:SCRATCH_EN: 0
; COMPUTE_PGM_RSRC2:USER_SGPR: 6
; COMPUTE_PGM_RSRC2:TRAP_HANDLER: 0
; COMPUTE_PGM_RSRC2:TGID_X_EN: 1
; COMPUTE_PGM_RSRC2:TGID_Y_EN: 1
; COMPUTE_PGM_RSRC2:TGID_Z_EN: 1
; COMPUTE_PGM_RSRC2:TIDIG_COMP_CNT: 0
	.section	.text._ZN4vllm25paged_attention_v2_kernelI14__hip_bfloat16hLi120ELi8ELi128ELNS_18Fp8KVCacheDataTypeE1ELb1ELi512EEEvPfS3_PT_PKS4_PKT0_SA_ifPKiSC_iPKfiiiSE_SE_iiiii,"axG",@progbits,_ZN4vllm25paged_attention_v2_kernelI14__hip_bfloat16hLi120ELi8ELi128ELNS_18Fp8KVCacheDataTypeE1ELb1ELi512EEEvPfS3_PT_PKS4_PKT0_SA_ifPKiSC_iPKfiiiSE_SE_iiiii,comdat
	.protected	_ZN4vllm25paged_attention_v2_kernelI14__hip_bfloat16hLi120ELi8ELi128ELNS_18Fp8KVCacheDataTypeE1ELb1ELi512EEEvPfS3_PT_PKS4_PKT0_SA_ifPKiSC_iPKfiiiSE_SE_iiiii ; -- Begin function _ZN4vllm25paged_attention_v2_kernelI14__hip_bfloat16hLi120ELi8ELi128ELNS_18Fp8KVCacheDataTypeE1ELb1ELi512EEEvPfS3_PT_PKS4_PKT0_SA_ifPKiSC_iPKfiiiSE_SE_iiiii
	.globl	_ZN4vllm25paged_attention_v2_kernelI14__hip_bfloat16hLi120ELi8ELi128ELNS_18Fp8KVCacheDataTypeE1ELb1ELi512EEEvPfS3_PT_PKS4_PKT0_SA_ifPKiSC_iPKfiiiSE_SE_iiiii
	.p2align	8
	.type	_ZN4vllm25paged_attention_v2_kernelI14__hip_bfloat16hLi120ELi8ELi128ELNS_18Fp8KVCacheDataTypeE1ELb1ELi512EEEvPfS3_PT_PKS4_PKT0_SA_ifPKiSC_iPKfiiiSE_SE_iiiii,@function
_ZN4vllm25paged_attention_v2_kernelI14__hip_bfloat16hLi120ELi8ELi128ELNS_18Fp8KVCacheDataTypeE1ELb1ELi512EEEvPfS3_PT_PKS4_PKT0_SA_ifPKiSC_iPKfiiiSE_SE_iiiii: ; @_ZN4vllm25paged_attention_v2_kernelI14__hip_bfloat16hLi120ELi8ELi128ELNS_18Fp8KVCacheDataTypeE1ELb1ELi512EEEvPfS3_PT_PKS4_PKT0_SA_ifPKiSC_iPKfiiiSE_SE_iiiii
; %bb.0:
	s_load_dwordx2 s[0:1], s[4:5], 0x40
	s_mov_b32 s10, s7
	s_ashr_i32 s11, s7, 31
	s_lshl_b64 s[2:3], s[10:11], 2
	s_waitcnt lgkmcnt(0)
	s_add_u32 s0, s0, s2
	s_addc_u32 s1, s1, s3
	s_lshl_b32 s11, s8, 9
	s_load_dword s33, s[0:1], 0x0
	s_waitcnt lgkmcnt(0)
	s_cmp_ge_i32 s11, s33
	s_cbranch_scc1 .LBB336_551
; %bb.1:
	s_clause 0x1
	s_load_dword s9, s[4:5], 0x90
	s_load_dwordx2 s[40:41], s[4:5], 0x30
	s_mov_b32 s47, 0
	s_waitcnt lgkmcnt(0)
	s_abs_i32 s3, s9
	s_abs_i32 s0, s40
	v_cvt_f32_u32_e32 v1, s0
	s_sub_i32 s2, 0, s0
	v_rcp_iflag_f32_e32 v1, v1
	v_mul_f32_e32 v1, 0x4f7ffffe, v1
	v_cvt_u32_f32_e32 v1, v1
	v_readfirstlane_b32 s1, v1
	s_mul_i32 s2, s2, s1
	s_mul_hi_u32 s2, s1, s2
	s_add_i32 s1, s1, s2
	s_xor_b32 s2, s9, s40
	s_mul_hi_u32 s1, s3, s1
	s_ashr_i32 s2, s2, 31
	s_mul_i32 s7, s1, s0
	s_sub_i32 s3, s3, s7
	s_add_i32 s7, s1, 1
	s_sub_i32 s12, s3, s0
	s_cmp_ge_u32 s3, s0
	s_cselect_b32 s1, s7, s1
	s_cselect_b32 s3, s12, s3
	s_add_i32 s7, s1, 1
	s_cmp_ge_u32 s3, s0
	s_cselect_b32 s0, s7, s1
	s_xor_b32 s0, s0, s2
	s_sub_i32 s16, s0, s2
	s_load_dwordx2 s[0:1], s[4:5], 0x50
	s_abs_i32 s2, s16
	v_cvt_f32_u32_e32 v1, s2
	s_sub_i32 s3, 0, s2
	v_rcp_iflag_f32_e32 v1, v1
	v_mul_f32_e32 v1, 0x4f7ffffe, v1
	v_cvt_u32_f32_e32 v1, v1
	v_readfirstlane_b32 s7, v1
	s_mul_i32 s3, s3, s7
	s_mul_hi_u32 s12, s7, s3
	s_abs_i32 s3, s6
	s_add_i32 s7, s7, s12
	s_waitcnt lgkmcnt(0)
	s_cmp_eq_u64 s[0:1], 0
	s_mul_hi_u32 s20, s3, s7
	s_cbranch_scc1 .LBB336_3
; %bb.2:
	s_ashr_i32 s7, s6, 31
	s_lshl_b64 s[12:13], s[6:7], 2
	s_add_u32 s0, s0, s12
	s_addc_u32 s1, s1, s13
	s_load_dword s47, s[0:1], 0x0
.LBB336_3:
	s_load_dwordx4 s[12:15], s[4:5], 0x58
	v_and_b32_e32 v1, 3, v0
	s_ashr_i32 s0, s6, 31
	s_ashr_i32 s1, s16, 31
	s_mul_i32 s34, s6, 0x78
	s_mov_b32 s7, exec_lo
	v_cmpx_gt_u32_e32 60, v0
	s_cbranch_execz .LBB336_5
; %bb.4:
	s_load_dwordx2 s[16:17], s[4:5], 0x18
	s_waitcnt lgkmcnt(0)
	s_mul_i32 s18, s12, s10
	v_lshlrev_b32_e32 v2, 2, v0
	s_ashr_i32 s19, s18, 31
	v_and_b32_e32 v3, 0x3fc, v0
	s_lshl_b64 s[18:19], s[18:19], 1
	v_mad_u32_u24 v3, v1, 60, v3
	s_add_u32 s12, s16, s18
	s_addc_u32 s15, s17, s19
	s_ashr_i32 s35, s34, 31
	s_lshl_b64 s[16:17], s[34:35], 1
	s_add_u32 s16, s12, s16
	s_addc_u32 s17, s15, s17
	global_load_dword v2, v2, s[16:17]
	s_waitcnt vmcnt(0)
	ds_write_b32 v3, v2
.LBB336_5:
	s_or_b32 exec_lo, exec_lo, s7
	s_load_dwordx4 s[16:19], s[4:5], 0x78
	s_mul_i32 s7, s20, s2
	s_xor_b32 s0, s0, s1
	s_sub_i32 s1, s3, s7
	s_add_i32 s3, s20, 1
	s_sub_i32 s7, s1, s2
	s_cmp_ge_u32 s1, s2
	s_waitcnt lgkmcnt(0)
	s_mov_b32 s12, -1
	s_cselect_b32 s3, s3, s20
	s_cselect_b32 s1, s7, s1
	s_add_i32 s7, s3, 1
	s_cmp_ge_u32 s1, s2
	s_load_dword s2, s[4:5], 0x88
	s_cselect_b32 s1, s7, s3
	s_add_i32 s3, s33, -1
	s_xor_b32 s1, s1, s0
	s_waitcnt lgkmcnt(0)
	s_sub_i32 s7, s1, s0
	s_abs_i32 s1, s3
	s_barrier
	s_abs_i32 s42, s19
	buffer_gl0_inv
	v_cvt_f32_u32_e32 v2, s42
	s_sub_i32 s0, 0, s42
                                        ; implicit-def: $sgpr44
	v_rcp_iflag_f32_e32 v2, v2
	v_mul_f32_e32 v2, 0x4f7ffffe, v2
	v_cvt_u32_f32_e32 v2, v2
	v_readfirstlane_b32 s43, v2
	s_mul_i32 s0, s0, s43
	s_mul_hi_u32 s0, s43, s0
	s_add_i32 s43, s43, s0
	s_cmp_lt_i32 s2, 0
	s_mul_hi_u32 s0, s1, s43
	s_cbranch_scc0 .LBB336_7
; %bb.6:
	s_mul_i32 s12, s16, s40
	s_add_i32 s12, s7, s12
	s_mul_i32 s12, s12, s2
	s_sub_i32 s44, 1, s12
	s_mov_b32 s12, 0
.LBB336_7:
	s_load_dwordx2 s[24:25], s[4:5], 0x38
	s_ashr_i32 s3, s3, 31
	s_andn2_b32 vcc_lo, exec_lo, s12
	s_ashr_i32 s45, s19, 31
	s_cbranch_vccnz .LBB336_9
; %bb.8:
	s_mul_i32 s12, s9, s16
	s_add_i32 s12, s12, s6
	s_mul_i32 s2, s12, s2
	s_add_i32 s44, s2, 1
.LBB336_9:
	s_clause 0x5
	s_load_dword s2, s[4:5], 0x48
	s_load_dwordx2 s[38:39], s[4:5], 0x28
	s_load_dwordx4 s[20:23], s[4:5], 0x0
	s_load_dwordx2 s[36:37], s[4:5], 0x10
	s_load_dword s35, s[4:5], 0x98
	s_load_dwordx4 s[28:31], s[4:5], 0x68
	s_mul_i32 s12, s0, s42
	s_xor_b32 s3, s3, s45
	s_sub_i32 s1, s1, s12
	s_add_i32 s15, s0, 1
	v_lshrrev_b32_e32 v25, 5, v0
	v_mov_b32_e32 v28, 0xff7fffff
	v_mbcnt_lo_u32_b32 v27, -1, 0
	s_mul_i32 s7, s7, s14
	v_lshl_add_u32 v26, v25, 3, s11
	s_waitcnt lgkmcnt(0)
	s_mul_i32 s26, s2, s10
	s_sub_i32 s2, s1, s42
	s_ashr_i32 s27, s26, 31
	s_cmp_ge_u32 s1, s42
	s_cselect_b32 s0, s15, s0
	s_cselect_b32 s1, s2, s1
	s_add_i32 s2, s0, 1
	s_cmp_ge_u32 s1, s42
	s_cselect_b32 s0, s2, s0
	s_add_i32 s1, s33, 7
	s_lshl_b32 s15, s8, 6
	s_ashr_i32 s2, s1, 31
	v_or_b32_e32 v9, s15, v25
	s_lshr_b32 s2, s2, 29
	s_add_i32 s1, s1, s2
	s_add_i32 s2, s15, 64
	s_ashr_i32 s50, s1, 3
	s_xor_b32 s1, s0, s3
	s_min_i32 s46, s2, s50
	v_ashrrev_i32_e32 v10, 31, v9
	v_cmp_gt_i32_e64 s0, s46, v9
	s_sub_i32 s12, s1, s3
	s_and_saveexec_b32 s14, s0
	s_cbranch_execz .LBB336_261
; %bb.10:
	s_load_dwordx2 s[2:3], s[4:5], 0x20
	s_sub_i32 s4, s12, s17
	s_ashr_i32 s1, s7, 31
	v_bfe_u32 v29, v0, 2, 3
	v_cmp_eq_u32_e32 vcc_lo, 0, v1
	v_lshlrev_b32_e32 v6, 1, v1
	v_mul_u32_u24_e32 v30, 60, v1
	v_lshlrev_b64 v[3:4], 2, v[9:10]
	v_lshlrev_b32_e32 v1, 2, v29
	v_subrev_nc_u32_e32 v7, s33, v29
	v_lshl_add_u32 v31, v25, 3, s11
	v_mov_b32_e32 v32, 0xff7fffff
	v_mov_b32_e32 v33, 0x80
	v_lshl_or_b32 v1, v25, 5, v1
	v_add_nc_u32_e32 v35, 1, v7
	v_mov_b32_e32 v34, 0xffff
	v_mov_b32_e32 v28, 0xff7fffff
	;; [unrolled: 1-line block ×3, first 2 shown]
	v_add_nc_u32_e32 v36, 0x110, v1
	s_waitcnt lgkmcnt(0)
	s_add_u32 s16, s2, s7
	s_addc_u32 s19, s3, s1
	s_abs_i32 s5, s18
	v_cmp_neq_f32_e64 s1, s47, 0
	v_cvt_f32_u32_e32 v2, s5
	s_sub_i32 s2, 0, s5
	v_rcp_iflag_f32_e32 v5, v2
	v_mov_b32_e32 v2, 0
	v_mul_f32_e32 v5, 0x4f7ffffe, v5
	v_cvt_u32_f32_e32 v8, v5
	v_lshlrev_b32_e32 v5, 4, v29
	v_mul_lo_u32 v1, s2, v8
	s_lshl_b64 s[2:3], s[26:27], 2
	v_add_co_u32 v5, s16, s16, v5
	s_add_u32 s2, s24, s2
	v_add_co_ci_u32_e64 v7, null, s19, 0, s16
	s_addc_u32 s3, s25, s3
	v_mul_hi_u32 v1, v8, v1
	v_add_co_u32 v3, s2, s2, v3
	v_add_co_ci_u32_e64 v4, null, s3, v4, s2
	v_add_co_u32 v5, s2, v5, v6
	v_add_co_ci_u32_e64 v6, null, 0, v7, s2
	v_add_nc_u32_e32 v37, v8, v1
	s_mov_b32 s16, 0
	s_mov_b32 s19, s13
	s_branch .LBB336_13
.LBB336_11:                             ;   in Loop: Header=BB336_13 Depth=1
	s_or_b32 exec_lo, exec_lo, s40
.LBB336_12:                             ;   in Loop: Header=BB336_13 Depth=1
	s_or_b32 exec_lo, exec_lo, s3
	v_add_nc_u32_e32 v38, 4, v38
	v_add_co_u32 v3, s3, v3, 16
	v_add_co_ci_u32_e64 v4, null, 0, v4, s3
	v_cmp_le_i32_e64 s2, s46, v38
	v_add_nc_u32_e32 v31, 32, v31
	v_add_nc_u32_e32 v36, 0x80, v36
	s_or_b32 s16, s2, s16
	s_andn2_b32 exec_lo, exec_lo, s16
	s_cbranch_execz .LBB336_260
.LBB336_13:                             ; =>This Inner Loop Header: Depth=1
	v_sub_nc_u32_e32 v1, 0, v31
	v_max_i32_e32 v1, v31, v1
	s_waitcnt lgkmcnt(0)
	v_mul_hi_u32 v7, v1, s43
	v_mul_lo_u32 v8, v7, s42
	v_sub_nc_u32_e32 v1, v1, v8
	v_add_nc_u32_e32 v8, 1, v7
	v_subrev_nc_u32_e32 v11, s42, v1
	v_cmp_le_u32_e64 s2, s42, v1
	v_cndmask_b32_e64 v7, v7, v8, s2
	v_cndmask_b32_e64 v1, v1, v11, s2
	v_ashrrev_i32_e32 v8, 31, v31
	v_add_nc_u32_e32 v11, 1, v7
	v_cmp_le_u32_e64 s2, s42, v1
	v_xor_b32_e32 v8, s45, v8
	v_cndmask_b32_e64 v1, v7, v11, s2
	v_xor_b32_e32 v1, v1, v8
	v_sub_nc_u32_e32 v1, v1, v8
	v_add_nc_u32_e32 v7, s44, v1
	v_cmp_ge_i32_e64 s3, s4, v1
	v_sub_nc_u32_e32 v8, 0, v7
	v_max_i32_e32 v8, v7, v8
	v_ashrrev_i32_e32 v7, 31, v7
	v_mul_hi_u32 v11, v8, v37
	v_mul_lo_u32 v11, v11, s5
	v_sub_nc_u32_e32 v8, v8, v11
	v_subrev_nc_u32_e32 v11, s5, v8
	v_cmp_le_u32_e64 s2, s5, v8
	v_cndmask_b32_e64 v8, v8, v11, s2
	v_subrev_nc_u32_e32 v11, s5, v8
	v_cmp_le_u32_e64 s2, s5, v8
	v_cndmask_b32_e64 v8, v8, v11, s2
	v_xor_b32_e32 v8, v8, v7
	v_sub_nc_u32_e32 v7, v8, v7
	v_cmp_ne_u32_e64 s2, 0, v7
	s_and_b32 s2, s2, s3
	s_and_saveexec_b32 s3, s2
	s_xor_b32 s2, exec_lo, s3
	s_cbranch_execz .LBB336_17
; %bb.14:                               ;   in Loop: Header=BB336_13 Depth=1
	s_and_saveexec_b32 s3, vcc_lo
; %bb.15:                               ;   in Loop: Header=BB336_13 Depth=1
	ds_write_b32 v36, v32
; %bb.16:                               ;   in Loop: Header=BB336_13 Depth=1
	s_or_b32 exec_lo, exec_lo, s3
.LBB336_17:                             ;   in Loop: Header=BB336_13 Depth=1
	s_andn2_saveexec_b32 s3, s2
	s_cbranch_execz .LBB336_12
; %bb.18:                               ;   in Loop: Header=BB336_13 Depth=1
	global_load_dword v1, v[3:4], off
	v_mov_b32_e32 v41, 0
	v_mov_b32_e32 v40, 0
	s_waitcnt vmcnt(0)
	v_mad_i64_i32 v[23:24], null, v1, s19, v[5:6]
	global_load_ushort v1, v[23:24], off
	ds_read2_b32 v[21:22], v30 offset1:1
	ds_read2_b32 v[19:20], v30 offset0:2 offset1:3
	ds_read2_b32 v[17:18], v30 offset0:4 offset1:5
	ds_read2_b32 v[15:16], v30 offset0:6 offset1:7
	ds_read2_b32 v[13:14], v30 offset0:8 offset1:9
	ds_read2_b32 v[11:12], v30 offset0:10 offset1:11
	ds_read2_b32 v[7:8], v30 offset0:12 offset1:13
	ds_read_b32 v39, v30 offset:56
	s_load_dword s40, s[28:29], 0x0
	s_waitcnt vmcnt(0)
	v_and_b32_e32 v42, 0xffff, v1
	v_cmp_ne_u16_sdwa s2, v1, v2 src0_sel:BYTE_0 src1_sel:DWORD
	s_and_saveexec_b32 s48, s2
	s_cbranch_execz .LBB336_26
; %bb.19:                               ;   in Loop: Header=BB336_13 Depth=1
	v_cmp_ne_u16_sdwa s2, v42, v33 src0_sel:BYTE_0 src1_sel:DWORD
	v_bfrev_b32_e32 v40, 1
	s_and_saveexec_b32 s49, s2
	s_cbranch_execz .LBB336_25
; %bb.20:                               ;   in Loop: Header=BB336_13 Depth=1
	v_and_b32_e32 v43, 0x7f, v42
	v_mov_b32_e32 v40, 0x7f800001
	s_mov_b32 s51, exec_lo
	v_cmpx_ne_u32_e32 0x7f, v43
	s_cbranch_execz .LBB336_24
; %bb.21:                               ;   in Loop: Header=BB336_13 Depth=1
	v_and_b32_e32 v1, 7, v42
	v_lshrrev_b32_e32 v40, 3, v43
	s_mov_b32 s52, exec_lo
	v_cmpx_gt_u32_e32 8, v43
; %bb.22:                               ;   in Loop: Header=BB336_13 Depth=1
	v_ffbh_u32_e32 v40, v1
	v_min_u32_e32 v40, 32, v40
	v_subrev_nc_u32_e32 v43, 28, v40
	v_sub_nc_u32_e32 v40, 29, v40
	v_lshlrev_b64 v[43:44], v43, v[1:2]
	v_and_b32_e32 v1, 7, v43
; %bb.23:                               ;   in Loop: Header=BB336_13 Depth=1
	s_or_b32 exec_lo, exec_lo, s52
	v_lshlrev_b32_e32 v43, 24, v42
	v_lshlrev_b32_e32 v1, 20, v1
	v_lshl_add_u32 v40, v40, 23, 0x3c000000
	v_and_b32_e32 v43, 0x80000000, v43
	v_or3_b32 v40, v1, v43, v40
.LBB336_24:                             ;   in Loop: Header=BB336_13 Depth=1
	s_or_b32 exec_lo, exec_lo, s51
.LBB336_25:                             ;   in Loop: Header=BB336_13 Depth=1
	s_or_b32 exec_lo, exec_lo, s49
.LBB336_26:                             ;   in Loop: Header=BB336_13 Depth=1
	s_or_b32 exec_lo, exec_lo, s48
	v_cmp_ne_u16_sdwa s2, v42, v2 src0_sel:BYTE_1 src1_sel:DWORD
	s_and_saveexec_b32 s48, s2
	s_cbranch_execz .LBB336_34
; %bb.27:                               ;   in Loop: Header=BB336_13 Depth=1
	v_cmp_ne_u16_sdwa s2, v42, v33 src0_sel:BYTE_1 src1_sel:DWORD
	v_bfrev_b32_e32 v41, 1
	s_and_saveexec_b32 s49, s2
	s_cbranch_execz .LBB336_33
; %bb.28:                               ;   in Loop: Header=BB336_13 Depth=1
	v_and_b32_sdwa v1, v34, v42 dst_sel:DWORD dst_unused:UNUSED_PAD src0_sel:DWORD src1_sel:BYTE_1
	v_mov_b32_e32 v41, 0x7f800001
	s_mov_b32 s51, exec_lo
	v_and_b32_e32 v43, 0x7f, v1
	v_cmpx_ne_u32_e32 0x7f, v43
	s_cbranch_execz .LBB336_32
; %bb.29:                               ;   in Loop: Header=BB336_13 Depth=1
	v_and_b32_e32 v1, 7, v1
	v_lshrrev_b32_e32 v41, 3, v43
	s_mov_b32 s52, exec_lo
	v_cmpx_gt_u32_e32 8, v43
; %bb.30:                               ;   in Loop: Header=BB336_13 Depth=1
	v_ffbh_u32_e32 v41, v1
	v_min_u32_e32 v41, 32, v41
	v_subrev_nc_u32_e32 v43, 28, v41
	v_sub_nc_u32_e32 v41, 29, v41
	v_lshlrev_b64 v[43:44], v43, v[1:2]
	v_and_b32_e32 v1, 7, v43
; %bb.31:                               ;   in Loop: Header=BB336_13 Depth=1
	s_or_b32 exec_lo, exec_lo, s52
	v_lshlrev_b32_e32 v42, 16, v42
	v_lshlrev_b32_e32 v1, 20, v1
	v_lshl_add_u32 v41, v41, 23, 0x3c000000
	v_and_b32_e32 v42, 0x80000000, v42
	v_or3_b32 v41, v1, v42, v41
.LBB336_32:                             ;   in Loop: Header=BB336_13 Depth=1
	s_or_b32 exec_lo, exec_lo, s51
.LBB336_33:                             ;   in Loop: Header=BB336_13 Depth=1
	s_or_b32 exec_lo, exec_lo, s49
.LBB336_34:                             ;   in Loop: Header=BB336_13 Depth=1
	s_or_b32 exec_lo, exec_lo, s48
	global_load_ushort v1, v[23:24], off offset:8
	v_mov_b32_e32 v43, 0
	v_mov_b32_e32 v42, 0
	s_waitcnt vmcnt(0)
	v_and_b32_e32 v44, 0xffff, v1
	v_cmp_ne_u16_sdwa s2, v1, v2 src0_sel:BYTE_0 src1_sel:DWORD
	s_and_saveexec_b32 s48, s2
	s_cbranch_execz .LBB336_42
; %bb.35:                               ;   in Loop: Header=BB336_13 Depth=1
	v_cmp_ne_u16_sdwa s2, v44, v33 src0_sel:BYTE_0 src1_sel:DWORD
	v_bfrev_b32_e32 v42, 1
	s_and_saveexec_b32 s49, s2
	s_cbranch_execz .LBB336_41
; %bb.36:                               ;   in Loop: Header=BB336_13 Depth=1
	v_and_b32_e32 v45, 0x7f, v44
	v_mov_b32_e32 v42, 0x7f800001
	s_mov_b32 s51, exec_lo
	v_cmpx_ne_u32_e32 0x7f, v45
	s_cbranch_execz .LBB336_40
; %bb.37:                               ;   in Loop: Header=BB336_13 Depth=1
	v_and_b32_e32 v1, 7, v44
	v_lshrrev_b32_e32 v42, 3, v45
	s_mov_b32 s52, exec_lo
	v_cmpx_gt_u32_e32 8, v45
; %bb.38:                               ;   in Loop: Header=BB336_13 Depth=1
	v_ffbh_u32_e32 v42, v1
	v_min_u32_e32 v42, 32, v42
	v_subrev_nc_u32_e32 v45, 28, v42
	v_sub_nc_u32_e32 v42, 29, v42
	v_lshlrev_b64 v[45:46], v45, v[1:2]
	v_and_b32_e32 v1, 7, v45
; %bb.39:                               ;   in Loop: Header=BB336_13 Depth=1
	s_or_b32 exec_lo, exec_lo, s52
	v_lshlrev_b32_e32 v45, 24, v44
	v_lshlrev_b32_e32 v1, 20, v1
	v_lshl_add_u32 v42, v42, 23, 0x3c000000
	v_and_b32_e32 v45, 0x80000000, v45
	v_or3_b32 v42, v1, v45, v42
.LBB336_40:                             ;   in Loop: Header=BB336_13 Depth=1
	s_or_b32 exec_lo, exec_lo, s51
.LBB336_41:                             ;   in Loop: Header=BB336_13 Depth=1
	s_or_b32 exec_lo, exec_lo, s49
.LBB336_42:                             ;   in Loop: Header=BB336_13 Depth=1
	s_or_b32 exec_lo, exec_lo, s48
	v_cmp_ne_u16_sdwa s2, v44, v2 src0_sel:BYTE_1 src1_sel:DWORD
	s_and_saveexec_b32 s48, s2
	s_cbranch_execz .LBB336_50
; %bb.43:                               ;   in Loop: Header=BB336_13 Depth=1
	v_cmp_ne_u16_sdwa s2, v44, v33 src0_sel:BYTE_1 src1_sel:DWORD
	v_bfrev_b32_e32 v43, 1
	s_and_saveexec_b32 s49, s2
	s_cbranch_execz .LBB336_49
; %bb.44:                               ;   in Loop: Header=BB336_13 Depth=1
	v_and_b32_sdwa v1, v34, v44 dst_sel:DWORD dst_unused:UNUSED_PAD src0_sel:DWORD src1_sel:BYTE_1
	v_mov_b32_e32 v43, 0x7f800001
	s_mov_b32 s51, exec_lo
	v_and_b32_e32 v45, 0x7f, v1
	v_cmpx_ne_u32_e32 0x7f, v45
	s_cbranch_execz .LBB336_48
; %bb.45:                               ;   in Loop: Header=BB336_13 Depth=1
	v_and_b32_e32 v1, 7, v1
	v_lshrrev_b32_e32 v43, 3, v45
	s_mov_b32 s52, exec_lo
	v_cmpx_gt_u32_e32 8, v45
; %bb.46:                               ;   in Loop: Header=BB336_13 Depth=1
	v_ffbh_u32_e32 v43, v1
	v_min_u32_e32 v43, 32, v43
	v_subrev_nc_u32_e32 v45, 28, v43
	v_sub_nc_u32_e32 v43, 29, v43
	v_lshlrev_b64 v[45:46], v45, v[1:2]
	v_and_b32_e32 v1, 7, v45
; %bb.47:                               ;   in Loop: Header=BB336_13 Depth=1
	s_or_b32 exec_lo, exec_lo, s52
	v_lshlrev_b32_e32 v44, 16, v44
	v_lshlrev_b32_e32 v1, 20, v1
	v_lshl_add_u32 v43, v43, 23, 0x3c000000
	v_and_b32_e32 v44, 0x80000000, v44
	v_or3_b32 v43, v1, v44, v43
.LBB336_48:                             ;   in Loop: Header=BB336_13 Depth=1
	s_or_b32 exec_lo, exec_lo, s51
.LBB336_49:                             ;   in Loop: Header=BB336_13 Depth=1
	s_or_b32 exec_lo, exec_lo, s49
.LBB336_50:                             ;   in Loop: Header=BB336_13 Depth=1
	s_or_b32 exec_lo, exec_lo, s48
	global_load_ushort v1, v[23:24], off offset:128
	v_mov_b32_e32 v45, 0
	v_mov_b32_e32 v44, 0
	s_waitcnt vmcnt(0)
	v_and_b32_e32 v46, 0xffff, v1
	v_cmp_ne_u16_sdwa s2, v1, v2 src0_sel:BYTE_0 src1_sel:DWORD
	s_and_saveexec_b32 s48, s2
	s_cbranch_execz .LBB336_58
; %bb.51:                               ;   in Loop: Header=BB336_13 Depth=1
	v_cmp_ne_u16_sdwa s2, v46, v33 src0_sel:BYTE_0 src1_sel:DWORD
	v_bfrev_b32_e32 v44, 1
	s_and_saveexec_b32 s49, s2
	s_cbranch_execz .LBB336_57
; %bb.52:                               ;   in Loop: Header=BB336_13 Depth=1
	v_and_b32_e32 v47, 0x7f, v46
	v_mov_b32_e32 v44, 0x7f800001
	s_mov_b32 s51, exec_lo
	v_cmpx_ne_u32_e32 0x7f, v47
	s_cbranch_execz .LBB336_56
; %bb.53:                               ;   in Loop: Header=BB336_13 Depth=1
	v_and_b32_e32 v1, 7, v46
	v_lshrrev_b32_e32 v44, 3, v47
	s_mov_b32 s52, exec_lo
	v_cmpx_gt_u32_e32 8, v47
; %bb.54:                               ;   in Loop: Header=BB336_13 Depth=1
	v_ffbh_u32_e32 v44, v1
	v_min_u32_e32 v44, 32, v44
	v_subrev_nc_u32_e32 v47, 28, v44
	v_sub_nc_u32_e32 v44, 29, v44
	v_lshlrev_b64 v[47:48], v47, v[1:2]
	v_and_b32_e32 v1, 7, v47
; %bb.55:                               ;   in Loop: Header=BB336_13 Depth=1
	s_or_b32 exec_lo, exec_lo, s52
	v_lshlrev_b32_e32 v47, 24, v46
	v_lshlrev_b32_e32 v1, 20, v1
	v_lshl_add_u32 v44, v44, 23, 0x3c000000
	v_and_b32_e32 v47, 0x80000000, v47
	v_or3_b32 v44, v1, v47, v44
.LBB336_56:                             ;   in Loop: Header=BB336_13 Depth=1
	s_or_b32 exec_lo, exec_lo, s51
.LBB336_57:                             ;   in Loop: Header=BB336_13 Depth=1
	s_or_b32 exec_lo, exec_lo, s49
.LBB336_58:                             ;   in Loop: Header=BB336_13 Depth=1
	s_or_b32 exec_lo, exec_lo, s48
	v_cmp_ne_u16_sdwa s2, v46, v2 src0_sel:BYTE_1 src1_sel:DWORD
	s_and_saveexec_b32 s48, s2
	s_cbranch_execz .LBB336_66
; %bb.59:                               ;   in Loop: Header=BB336_13 Depth=1
	v_cmp_ne_u16_sdwa s2, v46, v33 src0_sel:BYTE_1 src1_sel:DWORD
	v_bfrev_b32_e32 v45, 1
	s_and_saveexec_b32 s49, s2
	s_cbranch_execz .LBB336_65
; %bb.60:                               ;   in Loop: Header=BB336_13 Depth=1
	v_and_b32_sdwa v1, v34, v46 dst_sel:DWORD dst_unused:UNUSED_PAD src0_sel:DWORD src1_sel:BYTE_1
	v_mov_b32_e32 v45, 0x7f800001
	s_mov_b32 s51, exec_lo
	v_and_b32_e32 v47, 0x7f, v1
	v_cmpx_ne_u32_e32 0x7f, v47
	s_cbranch_execz .LBB336_64
; %bb.61:                               ;   in Loop: Header=BB336_13 Depth=1
	v_and_b32_e32 v1, 7, v1
	v_lshrrev_b32_e32 v45, 3, v47
	s_mov_b32 s52, exec_lo
	v_cmpx_gt_u32_e32 8, v47
; %bb.62:                               ;   in Loop: Header=BB336_13 Depth=1
	v_ffbh_u32_e32 v45, v1
	v_min_u32_e32 v45, 32, v45
	v_subrev_nc_u32_e32 v47, 28, v45
	v_sub_nc_u32_e32 v45, 29, v45
	v_lshlrev_b64 v[47:48], v47, v[1:2]
	v_and_b32_e32 v1, 7, v47
; %bb.63:                               ;   in Loop: Header=BB336_13 Depth=1
	s_or_b32 exec_lo, exec_lo, s52
	v_lshlrev_b32_e32 v46, 16, v46
	v_lshlrev_b32_e32 v1, 20, v1
	v_lshl_add_u32 v45, v45, 23, 0x3c000000
	v_and_b32_e32 v46, 0x80000000, v46
	v_or3_b32 v45, v1, v46, v45
.LBB336_64:                             ;   in Loop: Header=BB336_13 Depth=1
	s_or_b32 exec_lo, exec_lo, s51
.LBB336_65:                             ;   in Loop: Header=BB336_13 Depth=1
	s_or_b32 exec_lo, exec_lo, s49
.LBB336_66:                             ;   in Loop: Header=BB336_13 Depth=1
	s_or_b32 exec_lo, exec_lo, s48
	global_load_ushort v1, v[23:24], off offset:136
	v_mov_b32_e32 v47, 0
	v_mov_b32_e32 v46, 0
	s_waitcnt vmcnt(0)
	v_and_b32_e32 v48, 0xffff, v1
	v_cmp_ne_u16_sdwa s2, v1, v2 src0_sel:BYTE_0 src1_sel:DWORD
	s_and_saveexec_b32 s48, s2
	s_cbranch_execz .LBB336_74
; %bb.67:                               ;   in Loop: Header=BB336_13 Depth=1
	v_cmp_ne_u16_sdwa s2, v48, v33 src0_sel:BYTE_0 src1_sel:DWORD
	v_bfrev_b32_e32 v46, 1
	s_and_saveexec_b32 s49, s2
	s_cbranch_execz .LBB336_73
; %bb.68:                               ;   in Loop: Header=BB336_13 Depth=1
	v_and_b32_e32 v49, 0x7f, v48
	v_mov_b32_e32 v46, 0x7f800001
	s_mov_b32 s51, exec_lo
	v_cmpx_ne_u32_e32 0x7f, v49
	s_cbranch_execz .LBB336_72
; %bb.69:                               ;   in Loop: Header=BB336_13 Depth=1
	v_and_b32_e32 v1, 7, v48
	v_lshrrev_b32_e32 v46, 3, v49
	s_mov_b32 s52, exec_lo
	v_cmpx_gt_u32_e32 8, v49
; %bb.70:                               ;   in Loop: Header=BB336_13 Depth=1
	v_ffbh_u32_e32 v46, v1
	v_min_u32_e32 v46, 32, v46
	v_subrev_nc_u32_e32 v49, 28, v46
	v_sub_nc_u32_e32 v46, 29, v46
	v_lshlrev_b64 v[49:50], v49, v[1:2]
	v_and_b32_e32 v1, 7, v49
; %bb.71:                               ;   in Loop: Header=BB336_13 Depth=1
	s_or_b32 exec_lo, exec_lo, s52
	v_lshlrev_b32_e32 v49, 24, v48
	v_lshlrev_b32_e32 v1, 20, v1
	v_lshl_add_u32 v46, v46, 23, 0x3c000000
	v_and_b32_e32 v49, 0x80000000, v49
	v_or3_b32 v46, v1, v49, v46
.LBB336_72:                             ;   in Loop: Header=BB336_13 Depth=1
	s_or_b32 exec_lo, exec_lo, s51
.LBB336_73:                             ;   in Loop: Header=BB336_13 Depth=1
	s_or_b32 exec_lo, exec_lo, s49
.LBB336_74:                             ;   in Loop: Header=BB336_13 Depth=1
	s_or_b32 exec_lo, exec_lo, s48
	v_cmp_ne_u16_sdwa s2, v48, v2 src0_sel:BYTE_1 src1_sel:DWORD
	s_and_saveexec_b32 s48, s2
	s_cbranch_execz .LBB336_82
; %bb.75:                               ;   in Loop: Header=BB336_13 Depth=1
	v_cmp_ne_u16_sdwa s2, v48, v33 src0_sel:BYTE_1 src1_sel:DWORD
	v_bfrev_b32_e32 v47, 1
	s_and_saveexec_b32 s49, s2
	s_cbranch_execz .LBB336_81
; %bb.76:                               ;   in Loop: Header=BB336_13 Depth=1
	v_and_b32_sdwa v1, v34, v48 dst_sel:DWORD dst_unused:UNUSED_PAD src0_sel:DWORD src1_sel:BYTE_1
	v_mov_b32_e32 v47, 0x7f800001
	s_mov_b32 s51, exec_lo
	v_and_b32_e32 v49, 0x7f, v1
	v_cmpx_ne_u32_e32 0x7f, v49
	s_cbranch_execz .LBB336_80
; %bb.77:                               ;   in Loop: Header=BB336_13 Depth=1
	v_and_b32_e32 v1, 7, v1
	v_lshrrev_b32_e32 v47, 3, v49
	s_mov_b32 s52, exec_lo
	v_cmpx_gt_u32_e32 8, v49
; %bb.78:                               ;   in Loop: Header=BB336_13 Depth=1
	v_ffbh_u32_e32 v47, v1
	v_min_u32_e32 v47, 32, v47
	v_subrev_nc_u32_e32 v49, 28, v47
	v_sub_nc_u32_e32 v47, 29, v47
	v_lshlrev_b64 v[49:50], v49, v[1:2]
	v_and_b32_e32 v1, 7, v49
; %bb.79:                               ;   in Loop: Header=BB336_13 Depth=1
	s_or_b32 exec_lo, exec_lo, s52
	v_lshlrev_b32_e32 v48, 16, v48
	v_lshlrev_b32_e32 v1, 20, v1
	v_lshl_add_u32 v47, v47, 23, 0x3c000000
	v_and_b32_e32 v48, 0x80000000, v48
	v_or3_b32 v47, v1, v48, v47
.LBB336_80:                             ;   in Loop: Header=BB336_13 Depth=1
	s_or_b32 exec_lo, exec_lo, s51
.LBB336_81:                             ;   in Loop: Header=BB336_13 Depth=1
	s_or_b32 exec_lo, exec_lo, s49
.LBB336_82:                             ;   in Loop: Header=BB336_13 Depth=1
	s_or_b32 exec_lo, exec_lo, s48
	global_load_ushort v1, v[23:24], off offset:256
	v_mov_b32_e32 v49, 0
	v_mov_b32_e32 v48, 0
	s_waitcnt vmcnt(0)
	v_and_b32_e32 v50, 0xffff, v1
	v_cmp_ne_u16_sdwa s2, v1, v2 src0_sel:BYTE_0 src1_sel:DWORD
	s_and_saveexec_b32 s48, s2
	s_cbranch_execz .LBB336_90
; %bb.83:                               ;   in Loop: Header=BB336_13 Depth=1
	v_cmp_ne_u16_sdwa s2, v50, v33 src0_sel:BYTE_0 src1_sel:DWORD
	v_bfrev_b32_e32 v48, 1
	s_and_saveexec_b32 s49, s2
	s_cbranch_execz .LBB336_89
; %bb.84:                               ;   in Loop: Header=BB336_13 Depth=1
	v_and_b32_e32 v51, 0x7f, v50
	v_mov_b32_e32 v48, 0x7f800001
	s_mov_b32 s51, exec_lo
	v_cmpx_ne_u32_e32 0x7f, v51
	s_cbranch_execz .LBB336_88
; %bb.85:                               ;   in Loop: Header=BB336_13 Depth=1
	v_and_b32_e32 v1, 7, v50
	v_lshrrev_b32_e32 v48, 3, v51
	s_mov_b32 s52, exec_lo
	v_cmpx_gt_u32_e32 8, v51
; %bb.86:                               ;   in Loop: Header=BB336_13 Depth=1
	v_ffbh_u32_e32 v48, v1
	v_min_u32_e32 v48, 32, v48
	v_subrev_nc_u32_e32 v51, 28, v48
	v_sub_nc_u32_e32 v48, 29, v48
	v_lshlrev_b64 v[51:52], v51, v[1:2]
	v_and_b32_e32 v1, 7, v51
; %bb.87:                               ;   in Loop: Header=BB336_13 Depth=1
	s_or_b32 exec_lo, exec_lo, s52
	v_lshlrev_b32_e32 v51, 24, v50
	v_lshlrev_b32_e32 v1, 20, v1
	v_lshl_add_u32 v48, v48, 23, 0x3c000000
	v_and_b32_e32 v51, 0x80000000, v51
	v_or3_b32 v48, v1, v51, v48
.LBB336_88:                             ;   in Loop: Header=BB336_13 Depth=1
	s_or_b32 exec_lo, exec_lo, s51
.LBB336_89:                             ;   in Loop: Header=BB336_13 Depth=1
	s_or_b32 exec_lo, exec_lo, s49
.LBB336_90:                             ;   in Loop: Header=BB336_13 Depth=1
	s_or_b32 exec_lo, exec_lo, s48
	v_cmp_ne_u16_sdwa s2, v50, v2 src0_sel:BYTE_1 src1_sel:DWORD
	s_and_saveexec_b32 s48, s2
	s_cbranch_execz .LBB336_98
; %bb.91:                               ;   in Loop: Header=BB336_13 Depth=1
	v_cmp_ne_u16_sdwa s2, v50, v33 src0_sel:BYTE_1 src1_sel:DWORD
	v_bfrev_b32_e32 v49, 1
	s_and_saveexec_b32 s49, s2
	s_cbranch_execz .LBB336_97
; %bb.92:                               ;   in Loop: Header=BB336_13 Depth=1
	v_and_b32_sdwa v1, v34, v50 dst_sel:DWORD dst_unused:UNUSED_PAD src0_sel:DWORD src1_sel:BYTE_1
	v_mov_b32_e32 v49, 0x7f800001
	s_mov_b32 s51, exec_lo
	v_and_b32_e32 v51, 0x7f, v1
	v_cmpx_ne_u32_e32 0x7f, v51
	s_cbranch_execz .LBB336_96
; %bb.93:                               ;   in Loop: Header=BB336_13 Depth=1
	v_and_b32_e32 v1, 7, v1
	v_lshrrev_b32_e32 v49, 3, v51
	s_mov_b32 s52, exec_lo
	v_cmpx_gt_u32_e32 8, v51
; %bb.94:                               ;   in Loop: Header=BB336_13 Depth=1
	v_ffbh_u32_e32 v49, v1
	v_min_u32_e32 v49, 32, v49
	v_subrev_nc_u32_e32 v51, 28, v49
	v_sub_nc_u32_e32 v49, 29, v49
	v_lshlrev_b64 v[51:52], v51, v[1:2]
	v_and_b32_e32 v1, 7, v51
; %bb.95:                               ;   in Loop: Header=BB336_13 Depth=1
	s_or_b32 exec_lo, exec_lo, s52
	v_lshlrev_b32_e32 v50, 16, v50
	v_lshlrev_b32_e32 v1, 20, v1
	v_lshl_add_u32 v49, v49, 23, 0x3c000000
	v_and_b32_e32 v50, 0x80000000, v50
	v_or3_b32 v49, v1, v50, v49
.LBB336_96:                             ;   in Loop: Header=BB336_13 Depth=1
	s_or_b32 exec_lo, exec_lo, s51
.LBB336_97:                             ;   in Loop: Header=BB336_13 Depth=1
	s_or_b32 exec_lo, exec_lo, s49
.LBB336_98:                             ;   in Loop: Header=BB336_13 Depth=1
	s_or_b32 exec_lo, exec_lo, s48
	global_load_ushort v1, v[23:24], off offset:264
	v_mov_b32_e32 v51, 0
	v_mov_b32_e32 v50, 0
	s_waitcnt vmcnt(0)
	v_and_b32_e32 v52, 0xffff, v1
	v_cmp_ne_u16_sdwa s2, v1, v2 src0_sel:BYTE_0 src1_sel:DWORD
	s_and_saveexec_b32 s48, s2
	s_cbranch_execz .LBB336_106
; %bb.99:                               ;   in Loop: Header=BB336_13 Depth=1
	v_cmp_ne_u16_sdwa s2, v52, v33 src0_sel:BYTE_0 src1_sel:DWORD
	v_bfrev_b32_e32 v50, 1
	s_and_saveexec_b32 s49, s2
	s_cbranch_execz .LBB336_105
; %bb.100:                              ;   in Loop: Header=BB336_13 Depth=1
	v_and_b32_e32 v53, 0x7f, v52
	v_mov_b32_e32 v50, 0x7f800001
	s_mov_b32 s51, exec_lo
	v_cmpx_ne_u32_e32 0x7f, v53
	s_cbranch_execz .LBB336_104
; %bb.101:                              ;   in Loop: Header=BB336_13 Depth=1
	v_and_b32_e32 v1, 7, v52
	v_lshrrev_b32_e32 v50, 3, v53
	s_mov_b32 s52, exec_lo
	v_cmpx_gt_u32_e32 8, v53
; %bb.102:                              ;   in Loop: Header=BB336_13 Depth=1
	v_ffbh_u32_e32 v50, v1
	v_min_u32_e32 v50, 32, v50
	v_subrev_nc_u32_e32 v53, 28, v50
	v_sub_nc_u32_e32 v50, 29, v50
	v_lshlrev_b64 v[53:54], v53, v[1:2]
	v_and_b32_e32 v1, 7, v53
; %bb.103:                              ;   in Loop: Header=BB336_13 Depth=1
	s_or_b32 exec_lo, exec_lo, s52
	v_lshlrev_b32_e32 v53, 24, v52
	v_lshlrev_b32_e32 v1, 20, v1
	v_lshl_add_u32 v50, v50, 23, 0x3c000000
	v_and_b32_e32 v53, 0x80000000, v53
	v_or3_b32 v50, v1, v53, v50
.LBB336_104:                            ;   in Loop: Header=BB336_13 Depth=1
	s_or_b32 exec_lo, exec_lo, s51
.LBB336_105:                            ;   in Loop: Header=BB336_13 Depth=1
	s_or_b32 exec_lo, exec_lo, s49
.LBB336_106:                            ;   in Loop: Header=BB336_13 Depth=1
	s_or_b32 exec_lo, exec_lo, s48
	v_cmp_ne_u16_sdwa s2, v52, v2 src0_sel:BYTE_1 src1_sel:DWORD
	s_and_saveexec_b32 s48, s2
	s_cbranch_execz .LBB336_114
; %bb.107:                              ;   in Loop: Header=BB336_13 Depth=1
	v_cmp_ne_u16_sdwa s2, v52, v33 src0_sel:BYTE_1 src1_sel:DWORD
	v_bfrev_b32_e32 v51, 1
	s_and_saveexec_b32 s49, s2
	s_cbranch_execz .LBB336_113
; %bb.108:                              ;   in Loop: Header=BB336_13 Depth=1
	v_and_b32_sdwa v1, v34, v52 dst_sel:DWORD dst_unused:UNUSED_PAD src0_sel:DWORD src1_sel:BYTE_1
	v_mov_b32_e32 v51, 0x7f800001
	s_mov_b32 s51, exec_lo
	v_and_b32_e32 v53, 0x7f, v1
	v_cmpx_ne_u32_e32 0x7f, v53
	s_cbranch_execz .LBB336_112
; %bb.109:                              ;   in Loop: Header=BB336_13 Depth=1
	v_and_b32_e32 v1, 7, v1
	v_lshrrev_b32_e32 v51, 3, v53
	s_mov_b32 s52, exec_lo
	v_cmpx_gt_u32_e32 8, v53
; %bb.110:                              ;   in Loop: Header=BB336_13 Depth=1
	v_ffbh_u32_e32 v51, v1
	v_min_u32_e32 v51, 32, v51
	v_subrev_nc_u32_e32 v53, 28, v51
	v_sub_nc_u32_e32 v51, 29, v51
	v_lshlrev_b64 v[53:54], v53, v[1:2]
	v_and_b32_e32 v1, 7, v53
; %bb.111:                              ;   in Loop: Header=BB336_13 Depth=1
	s_or_b32 exec_lo, exec_lo, s52
	v_lshlrev_b32_e32 v52, 16, v52
	v_lshlrev_b32_e32 v1, 20, v1
	v_lshl_add_u32 v51, v51, 23, 0x3c000000
	v_and_b32_e32 v52, 0x80000000, v52
	v_or3_b32 v51, v1, v52, v51
.LBB336_112:                            ;   in Loop: Header=BB336_13 Depth=1
	s_or_b32 exec_lo, exec_lo, s51
.LBB336_113:                            ;   in Loop: Header=BB336_13 Depth=1
	s_or_b32 exec_lo, exec_lo, s49
.LBB336_114:                            ;   in Loop: Header=BB336_13 Depth=1
	s_or_b32 exec_lo, exec_lo, s48
	global_load_ushort v1, v[23:24], off offset:384
	v_mov_b32_e32 v53, 0
	v_mov_b32_e32 v52, 0
	s_waitcnt vmcnt(0)
	v_and_b32_e32 v54, 0xffff, v1
	v_cmp_ne_u16_sdwa s2, v1, v2 src0_sel:BYTE_0 src1_sel:DWORD
	s_and_saveexec_b32 s48, s2
	s_cbranch_execz .LBB336_122
; %bb.115:                              ;   in Loop: Header=BB336_13 Depth=1
	v_cmp_ne_u16_sdwa s2, v54, v33 src0_sel:BYTE_0 src1_sel:DWORD
	v_bfrev_b32_e32 v52, 1
	s_and_saveexec_b32 s49, s2
	s_cbranch_execz .LBB336_121
; %bb.116:                              ;   in Loop: Header=BB336_13 Depth=1
	v_and_b32_e32 v55, 0x7f, v54
	v_mov_b32_e32 v52, 0x7f800001
	s_mov_b32 s51, exec_lo
	v_cmpx_ne_u32_e32 0x7f, v55
	s_cbranch_execz .LBB336_120
; %bb.117:                              ;   in Loop: Header=BB336_13 Depth=1
	v_and_b32_e32 v1, 7, v54
	v_lshrrev_b32_e32 v52, 3, v55
	s_mov_b32 s52, exec_lo
	v_cmpx_gt_u32_e32 8, v55
; %bb.118:                              ;   in Loop: Header=BB336_13 Depth=1
	v_ffbh_u32_e32 v52, v1
	v_min_u32_e32 v52, 32, v52
	v_subrev_nc_u32_e32 v55, 28, v52
	v_sub_nc_u32_e32 v52, 29, v52
	v_lshlrev_b64 v[55:56], v55, v[1:2]
	v_and_b32_e32 v1, 7, v55
; %bb.119:                              ;   in Loop: Header=BB336_13 Depth=1
	s_or_b32 exec_lo, exec_lo, s52
	v_lshlrev_b32_e32 v55, 24, v54
	v_lshlrev_b32_e32 v1, 20, v1
	v_lshl_add_u32 v52, v52, 23, 0x3c000000
	v_and_b32_e32 v55, 0x80000000, v55
	v_or3_b32 v52, v1, v55, v52
.LBB336_120:                            ;   in Loop: Header=BB336_13 Depth=1
	s_or_b32 exec_lo, exec_lo, s51
.LBB336_121:                            ;   in Loop: Header=BB336_13 Depth=1
	s_or_b32 exec_lo, exec_lo, s49
.LBB336_122:                            ;   in Loop: Header=BB336_13 Depth=1
	s_or_b32 exec_lo, exec_lo, s48
	v_cmp_ne_u16_sdwa s2, v54, v2 src0_sel:BYTE_1 src1_sel:DWORD
	s_and_saveexec_b32 s48, s2
	s_cbranch_execz .LBB336_130
; %bb.123:                              ;   in Loop: Header=BB336_13 Depth=1
	v_cmp_ne_u16_sdwa s2, v54, v33 src0_sel:BYTE_1 src1_sel:DWORD
	v_bfrev_b32_e32 v53, 1
	s_and_saveexec_b32 s49, s2
	s_cbranch_execz .LBB336_129
; %bb.124:                              ;   in Loop: Header=BB336_13 Depth=1
	v_and_b32_sdwa v1, v34, v54 dst_sel:DWORD dst_unused:UNUSED_PAD src0_sel:DWORD src1_sel:BYTE_1
	v_mov_b32_e32 v53, 0x7f800001
	s_mov_b32 s51, exec_lo
	v_and_b32_e32 v55, 0x7f, v1
	v_cmpx_ne_u32_e32 0x7f, v55
	s_cbranch_execz .LBB336_128
; %bb.125:                              ;   in Loop: Header=BB336_13 Depth=1
	v_and_b32_e32 v1, 7, v1
	v_lshrrev_b32_e32 v53, 3, v55
	s_mov_b32 s52, exec_lo
	v_cmpx_gt_u32_e32 8, v55
; %bb.126:                              ;   in Loop: Header=BB336_13 Depth=1
	v_ffbh_u32_e32 v53, v1
	v_min_u32_e32 v53, 32, v53
	v_subrev_nc_u32_e32 v55, 28, v53
	v_sub_nc_u32_e32 v53, 29, v53
	v_lshlrev_b64 v[55:56], v55, v[1:2]
	v_and_b32_e32 v1, 7, v55
; %bb.127:                              ;   in Loop: Header=BB336_13 Depth=1
	s_or_b32 exec_lo, exec_lo, s52
	v_lshlrev_b32_e32 v54, 16, v54
	v_lshlrev_b32_e32 v1, 20, v1
	v_lshl_add_u32 v53, v53, 23, 0x3c000000
	v_and_b32_e32 v54, 0x80000000, v54
	v_or3_b32 v53, v1, v54, v53
.LBB336_128:                            ;   in Loop: Header=BB336_13 Depth=1
	s_or_b32 exec_lo, exec_lo, s51
.LBB336_129:                            ;   in Loop: Header=BB336_13 Depth=1
	s_or_b32 exec_lo, exec_lo, s49
.LBB336_130:                            ;   in Loop: Header=BB336_13 Depth=1
	s_or_b32 exec_lo, exec_lo, s48
	global_load_ushort v1, v[23:24], off offset:392
	v_mov_b32_e32 v55, 0
	v_mov_b32_e32 v54, 0
	s_waitcnt vmcnt(0)
	v_and_b32_e32 v56, 0xffff, v1
	v_cmp_ne_u16_sdwa s2, v1, v2 src0_sel:BYTE_0 src1_sel:DWORD
	s_and_saveexec_b32 s48, s2
	s_cbranch_execz .LBB336_138
; %bb.131:                              ;   in Loop: Header=BB336_13 Depth=1
	v_cmp_ne_u16_sdwa s2, v56, v33 src0_sel:BYTE_0 src1_sel:DWORD
	v_bfrev_b32_e32 v54, 1
	s_and_saveexec_b32 s49, s2
	s_cbranch_execz .LBB336_137
; %bb.132:                              ;   in Loop: Header=BB336_13 Depth=1
	v_and_b32_e32 v57, 0x7f, v56
	v_mov_b32_e32 v54, 0x7f800001
	s_mov_b32 s51, exec_lo
	v_cmpx_ne_u32_e32 0x7f, v57
	s_cbranch_execz .LBB336_136
; %bb.133:                              ;   in Loop: Header=BB336_13 Depth=1
	v_and_b32_e32 v1, 7, v56
	v_lshrrev_b32_e32 v54, 3, v57
	s_mov_b32 s52, exec_lo
	v_cmpx_gt_u32_e32 8, v57
; %bb.134:                              ;   in Loop: Header=BB336_13 Depth=1
	v_ffbh_u32_e32 v54, v1
	v_min_u32_e32 v54, 32, v54
	v_subrev_nc_u32_e32 v57, 28, v54
	v_sub_nc_u32_e32 v54, 29, v54
	v_lshlrev_b64 v[57:58], v57, v[1:2]
	v_and_b32_e32 v1, 7, v57
; %bb.135:                              ;   in Loop: Header=BB336_13 Depth=1
	s_or_b32 exec_lo, exec_lo, s52
	v_lshlrev_b32_e32 v57, 24, v56
	v_lshlrev_b32_e32 v1, 20, v1
	v_lshl_add_u32 v54, v54, 23, 0x3c000000
	v_and_b32_e32 v57, 0x80000000, v57
	v_or3_b32 v54, v1, v57, v54
.LBB336_136:                            ;   in Loop: Header=BB336_13 Depth=1
	s_or_b32 exec_lo, exec_lo, s51
.LBB336_137:                            ;   in Loop: Header=BB336_13 Depth=1
	s_or_b32 exec_lo, exec_lo, s49
.LBB336_138:                            ;   in Loop: Header=BB336_13 Depth=1
	s_or_b32 exec_lo, exec_lo, s48
	v_cmp_ne_u16_sdwa s2, v56, v2 src0_sel:BYTE_1 src1_sel:DWORD
	s_and_saveexec_b32 s48, s2
	s_cbranch_execz .LBB336_146
; %bb.139:                              ;   in Loop: Header=BB336_13 Depth=1
	v_cmp_ne_u16_sdwa s2, v56, v33 src0_sel:BYTE_1 src1_sel:DWORD
	v_bfrev_b32_e32 v55, 1
	s_and_saveexec_b32 s49, s2
	s_cbranch_execz .LBB336_145
; %bb.140:                              ;   in Loop: Header=BB336_13 Depth=1
	v_and_b32_sdwa v1, v34, v56 dst_sel:DWORD dst_unused:UNUSED_PAD src0_sel:DWORD src1_sel:BYTE_1
	v_mov_b32_e32 v55, 0x7f800001
	s_mov_b32 s51, exec_lo
	v_and_b32_e32 v57, 0x7f, v1
	v_cmpx_ne_u32_e32 0x7f, v57
	s_cbranch_execz .LBB336_144
; %bb.141:                              ;   in Loop: Header=BB336_13 Depth=1
	v_and_b32_e32 v1, 7, v1
	v_lshrrev_b32_e32 v55, 3, v57
	s_mov_b32 s52, exec_lo
	v_cmpx_gt_u32_e32 8, v57
; %bb.142:                              ;   in Loop: Header=BB336_13 Depth=1
	v_ffbh_u32_e32 v55, v1
	v_min_u32_e32 v55, 32, v55
	v_subrev_nc_u32_e32 v57, 28, v55
	v_sub_nc_u32_e32 v55, 29, v55
	v_lshlrev_b64 v[57:58], v57, v[1:2]
	v_and_b32_e32 v1, 7, v57
; %bb.143:                              ;   in Loop: Header=BB336_13 Depth=1
	s_or_b32 exec_lo, exec_lo, s52
	v_lshlrev_b32_e32 v56, 16, v56
	v_lshlrev_b32_e32 v1, 20, v1
	v_lshl_add_u32 v55, v55, 23, 0x3c000000
	v_and_b32_e32 v56, 0x80000000, v56
	v_or3_b32 v55, v1, v56, v55
.LBB336_144:                            ;   in Loop: Header=BB336_13 Depth=1
	s_or_b32 exec_lo, exec_lo, s51
.LBB336_145:                            ;   in Loop: Header=BB336_13 Depth=1
	s_or_b32 exec_lo, exec_lo, s49
.LBB336_146:                            ;   in Loop: Header=BB336_13 Depth=1
	s_or_b32 exec_lo, exec_lo, s48
	global_load_ushort v1, v[23:24], off offset:512
	v_mov_b32_e32 v57, 0
	v_mov_b32_e32 v56, 0
	s_waitcnt vmcnt(0)
	v_and_b32_e32 v58, 0xffff, v1
	v_cmp_ne_u16_sdwa s2, v1, v2 src0_sel:BYTE_0 src1_sel:DWORD
	s_and_saveexec_b32 s48, s2
	s_cbranch_execz .LBB336_154
; %bb.147:                              ;   in Loop: Header=BB336_13 Depth=1
	v_cmp_ne_u16_sdwa s2, v58, v33 src0_sel:BYTE_0 src1_sel:DWORD
	v_bfrev_b32_e32 v56, 1
	s_and_saveexec_b32 s49, s2
	s_cbranch_execz .LBB336_153
; %bb.148:                              ;   in Loop: Header=BB336_13 Depth=1
	v_and_b32_e32 v59, 0x7f, v58
	v_mov_b32_e32 v56, 0x7f800001
	s_mov_b32 s51, exec_lo
	v_cmpx_ne_u32_e32 0x7f, v59
	s_cbranch_execz .LBB336_152
; %bb.149:                              ;   in Loop: Header=BB336_13 Depth=1
	v_and_b32_e32 v1, 7, v58
	v_lshrrev_b32_e32 v56, 3, v59
	s_mov_b32 s52, exec_lo
	v_cmpx_gt_u32_e32 8, v59
; %bb.150:                              ;   in Loop: Header=BB336_13 Depth=1
	v_ffbh_u32_e32 v56, v1
	v_min_u32_e32 v56, 32, v56
	v_subrev_nc_u32_e32 v59, 28, v56
	v_sub_nc_u32_e32 v56, 29, v56
	v_lshlrev_b64 v[59:60], v59, v[1:2]
	v_and_b32_e32 v1, 7, v59
; %bb.151:                              ;   in Loop: Header=BB336_13 Depth=1
	s_or_b32 exec_lo, exec_lo, s52
	v_lshlrev_b32_e32 v59, 24, v58
	v_lshlrev_b32_e32 v1, 20, v1
	v_lshl_add_u32 v56, v56, 23, 0x3c000000
	v_and_b32_e32 v59, 0x80000000, v59
	v_or3_b32 v56, v1, v59, v56
.LBB336_152:                            ;   in Loop: Header=BB336_13 Depth=1
	s_or_b32 exec_lo, exec_lo, s51
.LBB336_153:                            ;   in Loop: Header=BB336_13 Depth=1
	s_or_b32 exec_lo, exec_lo, s49
.LBB336_154:                            ;   in Loop: Header=BB336_13 Depth=1
	s_or_b32 exec_lo, exec_lo, s48
	v_cmp_ne_u16_sdwa s2, v58, v2 src0_sel:BYTE_1 src1_sel:DWORD
	s_and_saveexec_b32 s48, s2
	s_cbranch_execz .LBB336_162
; %bb.155:                              ;   in Loop: Header=BB336_13 Depth=1
	v_cmp_ne_u16_sdwa s2, v58, v33 src0_sel:BYTE_1 src1_sel:DWORD
	v_bfrev_b32_e32 v57, 1
	s_and_saveexec_b32 s49, s2
	s_cbranch_execz .LBB336_161
; %bb.156:                              ;   in Loop: Header=BB336_13 Depth=1
	v_and_b32_sdwa v1, v34, v58 dst_sel:DWORD dst_unused:UNUSED_PAD src0_sel:DWORD src1_sel:BYTE_1
	v_mov_b32_e32 v57, 0x7f800001
	s_mov_b32 s51, exec_lo
	v_and_b32_e32 v59, 0x7f, v1
	v_cmpx_ne_u32_e32 0x7f, v59
	s_cbranch_execz .LBB336_160
; %bb.157:                              ;   in Loop: Header=BB336_13 Depth=1
	v_and_b32_e32 v1, 7, v1
	v_lshrrev_b32_e32 v57, 3, v59
	s_mov_b32 s52, exec_lo
	v_cmpx_gt_u32_e32 8, v59
; %bb.158:                              ;   in Loop: Header=BB336_13 Depth=1
	v_ffbh_u32_e32 v57, v1
	v_min_u32_e32 v57, 32, v57
	v_subrev_nc_u32_e32 v59, 28, v57
	v_sub_nc_u32_e32 v57, 29, v57
	v_lshlrev_b64 v[59:60], v59, v[1:2]
	v_and_b32_e32 v1, 7, v59
; %bb.159:                              ;   in Loop: Header=BB336_13 Depth=1
	s_or_b32 exec_lo, exec_lo, s52
	v_lshlrev_b32_e32 v58, 16, v58
	v_lshlrev_b32_e32 v1, 20, v1
	v_lshl_add_u32 v57, v57, 23, 0x3c000000
	v_and_b32_e32 v58, 0x80000000, v58
	v_or3_b32 v57, v1, v58, v57
.LBB336_160:                            ;   in Loop: Header=BB336_13 Depth=1
	s_or_b32 exec_lo, exec_lo, s51
.LBB336_161:                            ;   in Loop: Header=BB336_13 Depth=1
	s_or_b32 exec_lo, exec_lo, s49
.LBB336_162:                            ;   in Loop: Header=BB336_13 Depth=1
	s_or_b32 exec_lo, exec_lo, s48
	global_load_ushort v1, v[23:24], off offset:520
	v_mov_b32_e32 v59, 0
	v_mov_b32_e32 v58, 0
	s_waitcnt vmcnt(0)
	v_and_b32_e32 v60, 0xffff, v1
	v_cmp_ne_u16_sdwa s2, v1, v2 src0_sel:BYTE_0 src1_sel:DWORD
	s_and_saveexec_b32 s48, s2
	s_cbranch_execz .LBB336_170
; %bb.163:                              ;   in Loop: Header=BB336_13 Depth=1
	v_cmp_ne_u16_sdwa s2, v60, v33 src0_sel:BYTE_0 src1_sel:DWORD
	v_bfrev_b32_e32 v58, 1
	s_and_saveexec_b32 s49, s2
	s_cbranch_execz .LBB336_169
; %bb.164:                              ;   in Loop: Header=BB336_13 Depth=1
	v_and_b32_e32 v61, 0x7f, v60
	v_mov_b32_e32 v58, 0x7f800001
	s_mov_b32 s51, exec_lo
	v_cmpx_ne_u32_e32 0x7f, v61
	s_cbranch_execz .LBB336_168
; %bb.165:                              ;   in Loop: Header=BB336_13 Depth=1
	v_and_b32_e32 v1, 7, v60
	v_lshrrev_b32_e32 v58, 3, v61
	s_mov_b32 s52, exec_lo
	v_cmpx_gt_u32_e32 8, v61
; %bb.166:                              ;   in Loop: Header=BB336_13 Depth=1
	v_ffbh_u32_e32 v58, v1
	v_min_u32_e32 v58, 32, v58
	v_subrev_nc_u32_e32 v61, 28, v58
	v_sub_nc_u32_e32 v58, 29, v58
	v_lshlrev_b64 v[61:62], v61, v[1:2]
	v_and_b32_e32 v1, 7, v61
; %bb.167:                              ;   in Loop: Header=BB336_13 Depth=1
	s_or_b32 exec_lo, exec_lo, s52
	v_lshlrev_b32_e32 v61, 24, v60
	v_lshlrev_b32_e32 v1, 20, v1
	v_lshl_add_u32 v58, v58, 23, 0x3c000000
	v_and_b32_e32 v61, 0x80000000, v61
	v_or3_b32 v58, v1, v61, v58
.LBB336_168:                            ;   in Loop: Header=BB336_13 Depth=1
	s_or_b32 exec_lo, exec_lo, s51
.LBB336_169:                            ;   in Loop: Header=BB336_13 Depth=1
	s_or_b32 exec_lo, exec_lo, s49
.LBB336_170:                            ;   in Loop: Header=BB336_13 Depth=1
	s_or_b32 exec_lo, exec_lo, s48
	v_cmp_ne_u16_sdwa s2, v60, v2 src0_sel:BYTE_1 src1_sel:DWORD
	s_and_saveexec_b32 s48, s2
	s_cbranch_execz .LBB336_178
; %bb.171:                              ;   in Loop: Header=BB336_13 Depth=1
	v_cmp_ne_u16_sdwa s2, v60, v33 src0_sel:BYTE_1 src1_sel:DWORD
	v_bfrev_b32_e32 v59, 1
	s_and_saveexec_b32 s49, s2
	s_cbranch_execz .LBB336_177
; %bb.172:                              ;   in Loop: Header=BB336_13 Depth=1
	v_and_b32_sdwa v1, v34, v60 dst_sel:DWORD dst_unused:UNUSED_PAD src0_sel:DWORD src1_sel:BYTE_1
	v_mov_b32_e32 v59, 0x7f800001
	s_mov_b32 s51, exec_lo
	v_and_b32_e32 v61, 0x7f, v1
	v_cmpx_ne_u32_e32 0x7f, v61
	s_cbranch_execz .LBB336_176
; %bb.173:                              ;   in Loop: Header=BB336_13 Depth=1
	v_and_b32_e32 v1, 7, v1
	v_lshrrev_b32_e32 v59, 3, v61
	s_mov_b32 s52, exec_lo
	v_cmpx_gt_u32_e32 8, v61
; %bb.174:                              ;   in Loop: Header=BB336_13 Depth=1
	v_ffbh_u32_e32 v59, v1
	v_min_u32_e32 v59, 32, v59
	v_subrev_nc_u32_e32 v61, 28, v59
	v_sub_nc_u32_e32 v59, 29, v59
	v_lshlrev_b64 v[61:62], v61, v[1:2]
	v_and_b32_e32 v1, 7, v61
; %bb.175:                              ;   in Loop: Header=BB336_13 Depth=1
	s_or_b32 exec_lo, exec_lo, s52
	v_lshlrev_b32_e32 v60, 16, v60
	v_lshlrev_b32_e32 v1, 20, v1
	v_lshl_add_u32 v59, v59, 23, 0x3c000000
	v_and_b32_e32 v60, 0x80000000, v60
	v_or3_b32 v59, v1, v60, v59
.LBB336_176:                            ;   in Loop: Header=BB336_13 Depth=1
	s_or_b32 exec_lo, exec_lo, s51
.LBB336_177:                            ;   in Loop: Header=BB336_13 Depth=1
	s_or_b32 exec_lo, exec_lo, s49
.LBB336_178:                            ;   in Loop: Header=BB336_13 Depth=1
	s_or_b32 exec_lo, exec_lo, s48
	global_load_ushort v1, v[23:24], off offset:640
	v_mov_b32_e32 v61, 0
	v_mov_b32_e32 v60, 0
	s_waitcnt vmcnt(0)
	v_and_b32_e32 v62, 0xffff, v1
	v_cmp_ne_u16_sdwa s2, v1, v2 src0_sel:BYTE_0 src1_sel:DWORD
	s_and_saveexec_b32 s48, s2
	s_cbranch_execz .LBB336_186
; %bb.179:                              ;   in Loop: Header=BB336_13 Depth=1
	v_cmp_ne_u16_sdwa s2, v62, v33 src0_sel:BYTE_0 src1_sel:DWORD
	v_bfrev_b32_e32 v60, 1
	s_and_saveexec_b32 s49, s2
	s_cbranch_execz .LBB336_185
; %bb.180:                              ;   in Loop: Header=BB336_13 Depth=1
	v_and_b32_e32 v63, 0x7f, v62
	v_mov_b32_e32 v60, 0x7f800001
	s_mov_b32 s51, exec_lo
	v_cmpx_ne_u32_e32 0x7f, v63
	s_cbranch_execz .LBB336_184
; %bb.181:                              ;   in Loop: Header=BB336_13 Depth=1
	v_and_b32_e32 v1, 7, v62
	v_lshrrev_b32_e32 v60, 3, v63
	s_mov_b32 s52, exec_lo
	v_cmpx_gt_u32_e32 8, v63
; %bb.182:                              ;   in Loop: Header=BB336_13 Depth=1
	v_ffbh_u32_e32 v60, v1
	v_min_u32_e32 v60, 32, v60
	v_subrev_nc_u32_e32 v63, 28, v60
	v_sub_nc_u32_e32 v60, 29, v60
	v_lshlrev_b64 v[63:64], v63, v[1:2]
	v_and_b32_e32 v1, 7, v63
; %bb.183:                              ;   in Loop: Header=BB336_13 Depth=1
	s_or_b32 exec_lo, exec_lo, s52
	v_lshlrev_b32_e32 v63, 24, v62
	v_lshlrev_b32_e32 v1, 20, v1
	v_lshl_add_u32 v60, v60, 23, 0x3c000000
	v_and_b32_e32 v63, 0x80000000, v63
	v_or3_b32 v60, v1, v63, v60
.LBB336_184:                            ;   in Loop: Header=BB336_13 Depth=1
	s_or_b32 exec_lo, exec_lo, s51
.LBB336_185:                            ;   in Loop: Header=BB336_13 Depth=1
	s_or_b32 exec_lo, exec_lo, s49
.LBB336_186:                            ;   in Loop: Header=BB336_13 Depth=1
	s_or_b32 exec_lo, exec_lo, s48
	v_cmp_ne_u16_sdwa s2, v62, v2 src0_sel:BYTE_1 src1_sel:DWORD
	s_and_saveexec_b32 s48, s2
	s_cbranch_execz .LBB336_194
; %bb.187:                              ;   in Loop: Header=BB336_13 Depth=1
	v_cmp_ne_u16_sdwa s2, v62, v33 src0_sel:BYTE_1 src1_sel:DWORD
	v_bfrev_b32_e32 v61, 1
	s_and_saveexec_b32 s49, s2
	s_cbranch_execz .LBB336_193
; %bb.188:                              ;   in Loop: Header=BB336_13 Depth=1
	v_and_b32_sdwa v1, v34, v62 dst_sel:DWORD dst_unused:UNUSED_PAD src0_sel:DWORD src1_sel:BYTE_1
	v_mov_b32_e32 v61, 0x7f800001
	s_mov_b32 s51, exec_lo
	v_and_b32_e32 v63, 0x7f, v1
	v_cmpx_ne_u32_e32 0x7f, v63
	s_cbranch_execz .LBB336_192
; %bb.189:                              ;   in Loop: Header=BB336_13 Depth=1
	v_and_b32_e32 v1, 7, v1
	v_lshrrev_b32_e32 v61, 3, v63
	s_mov_b32 s52, exec_lo
	v_cmpx_gt_u32_e32 8, v63
; %bb.190:                              ;   in Loop: Header=BB336_13 Depth=1
	v_ffbh_u32_e32 v61, v1
	v_min_u32_e32 v61, 32, v61
	v_subrev_nc_u32_e32 v63, 28, v61
	v_sub_nc_u32_e32 v61, 29, v61
	v_lshlrev_b64 v[63:64], v63, v[1:2]
	v_and_b32_e32 v1, 7, v63
; %bb.191:                              ;   in Loop: Header=BB336_13 Depth=1
	s_or_b32 exec_lo, exec_lo, s52
	v_lshlrev_b32_e32 v62, 16, v62
	v_lshlrev_b32_e32 v1, 20, v1
	v_lshl_add_u32 v61, v61, 23, 0x3c000000
	v_and_b32_e32 v62, 0x80000000, v62
	v_or3_b32 v61, v1, v62, v61
.LBB336_192:                            ;   in Loop: Header=BB336_13 Depth=1
	s_or_b32 exec_lo, exec_lo, s51
.LBB336_193:                            ;   in Loop: Header=BB336_13 Depth=1
	s_or_b32 exec_lo, exec_lo, s49
.LBB336_194:                            ;   in Loop: Header=BB336_13 Depth=1
	s_or_b32 exec_lo, exec_lo, s48
	global_load_ushort v1, v[23:24], off offset:648
	v_mov_b32_e32 v63, 0
	v_mov_b32_e32 v62, 0
	s_waitcnt vmcnt(0)
	v_and_b32_e32 v64, 0xffff, v1
	v_cmp_ne_u16_sdwa s2, v1, v2 src0_sel:BYTE_0 src1_sel:DWORD
	s_and_saveexec_b32 s48, s2
	s_cbranch_execz .LBB336_202
; %bb.195:                              ;   in Loop: Header=BB336_13 Depth=1
	v_cmp_ne_u16_sdwa s2, v64, v33 src0_sel:BYTE_0 src1_sel:DWORD
	v_bfrev_b32_e32 v62, 1
	s_and_saveexec_b32 s49, s2
	s_cbranch_execz .LBB336_201
; %bb.196:                              ;   in Loop: Header=BB336_13 Depth=1
	v_and_b32_e32 v65, 0x7f, v64
	v_mov_b32_e32 v62, 0x7f800001
	s_mov_b32 s51, exec_lo
	v_cmpx_ne_u32_e32 0x7f, v65
	s_cbranch_execz .LBB336_200
; %bb.197:                              ;   in Loop: Header=BB336_13 Depth=1
	v_and_b32_e32 v1, 7, v64
	v_lshrrev_b32_e32 v62, 3, v65
	s_mov_b32 s52, exec_lo
	v_cmpx_gt_u32_e32 8, v65
; %bb.198:                              ;   in Loop: Header=BB336_13 Depth=1
	v_ffbh_u32_e32 v62, v1
	v_min_u32_e32 v62, 32, v62
	v_subrev_nc_u32_e32 v65, 28, v62
	v_sub_nc_u32_e32 v62, 29, v62
	v_lshlrev_b64 v[65:66], v65, v[1:2]
	v_and_b32_e32 v1, 7, v65
; %bb.199:                              ;   in Loop: Header=BB336_13 Depth=1
	s_or_b32 exec_lo, exec_lo, s52
	v_lshlrev_b32_e32 v65, 24, v64
	v_lshlrev_b32_e32 v1, 20, v1
	v_lshl_add_u32 v62, v62, 23, 0x3c000000
	v_and_b32_e32 v65, 0x80000000, v65
	v_or3_b32 v62, v1, v65, v62
.LBB336_200:                            ;   in Loop: Header=BB336_13 Depth=1
	s_or_b32 exec_lo, exec_lo, s51
.LBB336_201:                            ;   in Loop: Header=BB336_13 Depth=1
	s_or_b32 exec_lo, exec_lo, s49
.LBB336_202:                            ;   in Loop: Header=BB336_13 Depth=1
	s_or_b32 exec_lo, exec_lo, s48
	v_cmp_ne_u16_sdwa s2, v64, v2 src0_sel:BYTE_1 src1_sel:DWORD
	s_and_saveexec_b32 s48, s2
	s_cbranch_execz .LBB336_210
; %bb.203:                              ;   in Loop: Header=BB336_13 Depth=1
	v_cmp_ne_u16_sdwa s2, v64, v33 src0_sel:BYTE_1 src1_sel:DWORD
	v_bfrev_b32_e32 v63, 1
	s_and_saveexec_b32 s49, s2
	s_cbranch_execz .LBB336_209
; %bb.204:                              ;   in Loop: Header=BB336_13 Depth=1
	v_and_b32_sdwa v1, v34, v64 dst_sel:DWORD dst_unused:UNUSED_PAD src0_sel:DWORD src1_sel:BYTE_1
	v_mov_b32_e32 v63, 0x7f800001
	s_mov_b32 s51, exec_lo
	v_and_b32_e32 v65, 0x7f, v1
	v_cmpx_ne_u32_e32 0x7f, v65
	s_cbranch_execz .LBB336_208
; %bb.205:                              ;   in Loop: Header=BB336_13 Depth=1
	v_and_b32_e32 v1, 7, v1
	v_lshrrev_b32_e32 v63, 3, v65
	s_mov_b32 s52, exec_lo
	v_cmpx_gt_u32_e32 8, v65
; %bb.206:                              ;   in Loop: Header=BB336_13 Depth=1
	v_ffbh_u32_e32 v63, v1
	v_min_u32_e32 v63, 32, v63
	v_subrev_nc_u32_e32 v65, 28, v63
	v_sub_nc_u32_e32 v63, 29, v63
	v_lshlrev_b64 v[65:66], v65, v[1:2]
	v_and_b32_e32 v1, 7, v65
; %bb.207:                              ;   in Loop: Header=BB336_13 Depth=1
	s_or_b32 exec_lo, exec_lo, s52
	v_lshlrev_b32_e32 v64, 16, v64
	v_lshlrev_b32_e32 v1, 20, v1
	v_lshl_add_u32 v63, v63, 23, 0x3c000000
	v_and_b32_e32 v64, 0x80000000, v64
	v_or3_b32 v63, v1, v64, v63
.LBB336_208:                            ;   in Loop: Header=BB336_13 Depth=1
	s_or_b32 exec_lo, exec_lo, s51
.LBB336_209:                            ;   in Loop: Header=BB336_13 Depth=1
	s_or_b32 exec_lo, exec_lo, s49
.LBB336_210:                            ;   in Loop: Header=BB336_13 Depth=1
	s_or_b32 exec_lo, exec_lo, s48
	global_load_ushort v1, v[23:24], off offset:768
	v_mov_b32_e32 v65, 0
	v_mov_b32_e32 v64, 0
	s_waitcnt vmcnt(0)
	v_and_b32_e32 v66, 0xffff, v1
	v_cmp_ne_u16_sdwa s2, v1, v2 src0_sel:BYTE_0 src1_sel:DWORD
	s_and_saveexec_b32 s48, s2
	s_cbranch_execz .LBB336_218
; %bb.211:                              ;   in Loop: Header=BB336_13 Depth=1
	v_cmp_ne_u16_sdwa s2, v66, v33 src0_sel:BYTE_0 src1_sel:DWORD
	v_bfrev_b32_e32 v64, 1
	s_and_saveexec_b32 s49, s2
	s_cbranch_execz .LBB336_217
; %bb.212:                              ;   in Loop: Header=BB336_13 Depth=1
	v_and_b32_e32 v67, 0x7f, v66
	v_mov_b32_e32 v64, 0x7f800001
	s_mov_b32 s51, exec_lo
	v_cmpx_ne_u32_e32 0x7f, v67
	s_cbranch_execz .LBB336_216
; %bb.213:                              ;   in Loop: Header=BB336_13 Depth=1
	v_and_b32_e32 v1, 7, v66
	v_lshrrev_b32_e32 v64, 3, v67
	s_mov_b32 s52, exec_lo
	v_cmpx_gt_u32_e32 8, v67
; %bb.214:                              ;   in Loop: Header=BB336_13 Depth=1
	v_ffbh_u32_e32 v64, v1
	v_min_u32_e32 v64, 32, v64
	v_subrev_nc_u32_e32 v67, 28, v64
	v_sub_nc_u32_e32 v64, 29, v64
	v_lshlrev_b64 v[67:68], v67, v[1:2]
	v_and_b32_e32 v1, 7, v67
; %bb.215:                              ;   in Loop: Header=BB336_13 Depth=1
	s_or_b32 exec_lo, exec_lo, s52
	v_lshlrev_b32_e32 v67, 24, v66
	v_lshlrev_b32_e32 v1, 20, v1
	v_lshl_add_u32 v64, v64, 23, 0x3c000000
	v_and_b32_e32 v67, 0x80000000, v67
	v_or3_b32 v64, v1, v67, v64
.LBB336_216:                            ;   in Loop: Header=BB336_13 Depth=1
	s_or_b32 exec_lo, exec_lo, s51
.LBB336_217:                            ;   in Loop: Header=BB336_13 Depth=1
	s_or_b32 exec_lo, exec_lo, s49
.LBB336_218:                            ;   in Loop: Header=BB336_13 Depth=1
	s_or_b32 exec_lo, exec_lo, s48
	v_cmp_ne_u16_sdwa s2, v66, v2 src0_sel:BYTE_1 src1_sel:DWORD
	s_and_saveexec_b32 s48, s2
	s_cbranch_execz .LBB336_226
; %bb.219:                              ;   in Loop: Header=BB336_13 Depth=1
	v_cmp_ne_u16_sdwa s2, v66, v33 src0_sel:BYTE_1 src1_sel:DWORD
	v_bfrev_b32_e32 v65, 1
	s_and_saveexec_b32 s49, s2
	s_cbranch_execz .LBB336_225
; %bb.220:                              ;   in Loop: Header=BB336_13 Depth=1
	v_and_b32_sdwa v1, v34, v66 dst_sel:DWORD dst_unused:UNUSED_PAD src0_sel:DWORD src1_sel:BYTE_1
	v_mov_b32_e32 v65, 0x7f800001
	s_mov_b32 s51, exec_lo
	v_and_b32_e32 v67, 0x7f, v1
	v_cmpx_ne_u32_e32 0x7f, v67
	s_cbranch_execz .LBB336_224
; %bb.221:                              ;   in Loop: Header=BB336_13 Depth=1
	v_and_b32_e32 v1, 7, v1
	v_lshrrev_b32_e32 v65, 3, v67
	s_mov_b32 s52, exec_lo
	v_cmpx_gt_u32_e32 8, v67
; %bb.222:                              ;   in Loop: Header=BB336_13 Depth=1
	v_ffbh_u32_e32 v65, v1
	v_min_u32_e32 v65, 32, v65
	v_subrev_nc_u32_e32 v67, 28, v65
	v_sub_nc_u32_e32 v65, 29, v65
	v_lshlrev_b64 v[67:68], v67, v[1:2]
	v_and_b32_e32 v1, 7, v67
; %bb.223:                              ;   in Loop: Header=BB336_13 Depth=1
	s_or_b32 exec_lo, exec_lo, s52
	v_lshlrev_b32_e32 v66, 16, v66
	v_lshlrev_b32_e32 v1, 20, v1
	v_lshl_add_u32 v65, v65, 23, 0x3c000000
	v_and_b32_e32 v66, 0x80000000, v66
	v_or3_b32 v65, v1, v66, v65
.LBB336_224:                            ;   in Loop: Header=BB336_13 Depth=1
	s_or_b32 exec_lo, exec_lo, s51
.LBB336_225:                            ;   in Loop: Header=BB336_13 Depth=1
	s_or_b32 exec_lo, exec_lo, s49
.LBB336_226:                            ;   in Loop: Header=BB336_13 Depth=1
	s_or_b32 exec_lo, exec_lo, s48
	global_load_ushort v1, v[23:24], off offset:776
	v_mov_b32_e32 v67, 0
	v_mov_b32_e32 v66, 0
	s_waitcnt vmcnt(0)
	v_and_b32_e32 v68, 0xffff, v1
	v_cmp_ne_u16_sdwa s2, v1, v2 src0_sel:BYTE_0 src1_sel:DWORD
	s_and_saveexec_b32 s48, s2
	s_cbranch_execz .LBB336_234
; %bb.227:                              ;   in Loop: Header=BB336_13 Depth=1
	v_cmp_ne_u16_sdwa s2, v68, v33 src0_sel:BYTE_0 src1_sel:DWORD
	v_bfrev_b32_e32 v66, 1
	s_and_saveexec_b32 s49, s2
	s_cbranch_execz .LBB336_233
; %bb.228:                              ;   in Loop: Header=BB336_13 Depth=1
	v_and_b32_e32 v69, 0x7f, v68
	v_mov_b32_e32 v66, 0x7f800001
	s_mov_b32 s51, exec_lo
	v_cmpx_ne_u32_e32 0x7f, v69
	s_cbranch_execz .LBB336_232
; %bb.229:                              ;   in Loop: Header=BB336_13 Depth=1
	v_and_b32_e32 v1, 7, v68
	v_lshrrev_b32_e32 v66, 3, v69
	s_mov_b32 s52, exec_lo
	v_cmpx_gt_u32_e32 8, v69
; %bb.230:                              ;   in Loop: Header=BB336_13 Depth=1
	v_ffbh_u32_e32 v66, v1
	v_min_u32_e32 v66, 32, v66
	v_subrev_nc_u32_e32 v69, 28, v66
	v_sub_nc_u32_e32 v66, 29, v66
	v_lshlrev_b64 v[69:70], v69, v[1:2]
	v_and_b32_e32 v1, 7, v69
; %bb.231:                              ;   in Loop: Header=BB336_13 Depth=1
	s_or_b32 exec_lo, exec_lo, s52
	v_lshlrev_b32_e32 v69, 24, v68
	v_lshlrev_b32_e32 v1, 20, v1
	v_lshl_add_u32 v66, v66, 23, 0x3c000000
	v_and_b32_e32 v69, 0x80000000, v69
	v_or3_b32 v66, v1, v69, v66
.LBB336_232:                            ;   in Loop: Header=BB336_13 Depth=1
	s_or_b32 exec_lo, exec_lo, s51
.LBB336_233:                            ;   in Loop: Header=BB336_13 Depth=1
	s_or_b32 exec_lo, exec_lo, s49
.LBB336_234:                            ;   in Loop: Header=BB336_13 Depth=1
	s_or_b32 exec_lo, exec_lo, s48
	v_cmp_ne_u16_sdwa s2, v68, v2 src0_sel:BYTE_1 src1_sel:DWORD
	s_and_saveexec_b32 s48, s2
	s_cbranch_execz .LBB336_242
; %bb.235:                              ;   in Loop: Header=BB336_13 Depth=1
	v_cmp_ne_u16_sdwa s2, v68, v33 src0_sel:BYTE_1 src1_sel:DWORD
	v_bfrev_b32_e32 v67, 1
	s_and_saveexec_b32 s49, s2
	s_cbranch_execz .LBB336_241
; %bb.236:                              ;   in Loop: Header=BB336_13 Depth=1
	v_and_b32_sdwa v1, v34, v68 dst_sel:DWORD dst_unused:UNUSED_PAD src0_sel:DWORD src1_sel:BYTE_1
	v_mov_b32_e32 v67, 0x7f800001
	s_mov_b32 s51, exec_lo
	v_and_b32_e32 v69, 0x7f, v1
	v_cmpx_ne_u32_e32 0x7f, v69
	s_cbranch_execz .LBB336_240
; %bb.237:                              ;   in Loop: Header=BB336_13 Depth=1
	v_and_b32_e32 v1, 7, v1
	v_lshrrev_b32_e32 v67, 3, v69
	s_mov_b32 s52, exec_lo
	v_cmpx_gt_u32_e32 8, v69
; %bb.238:                              ;   in Loop: Header=BB336_13 Depth=1
	v_ffbh_u32_e32 v67, v1
	v_min_u32_e32 v67, 32, v67
	v_subrev_nc_u32_e32 v69, 28, v67
	v_sub_nc_u32_e32 v67, 29, v67
	v_lshlrev_b64 v[69:70], v69, v[1:2]
	v_and_b32_e32 v1, 7, v69
; %bb.239:                              ;   in Loop: Header=BB336_13 Depth=1
	s_or_b32 exec_lo, exec_lo, s52
	v_lshlrev_b32_e32 v68, 16, v68
	v_lshlrev_b32_e32 v1, 20, v1
	v_lshl_add_u32 v67, v67, 23, 0x3c000000
	v_and_b32_e32 v68, 0x80000000, v68
	v_or3_b32 v67, v1, v68, v67
.LBB336_240:                            ;   in Loop: Header=BB336_13 Depth=1
	s_or_b32 exec_lo, exec_lo, s51
.LBB336_241:                            ;   in Loop: Header=BB336_13 Depth=1
	s_or_b32 exec_lo, exec_lo, s49
.LBB336_242:                            ;   in Loop: Header=BB336_13 Depth=1
	s_or_b32 exec_lo, exec_lo, s48
	global_load_ushort v1, v[23:24], off offset:896
	v_mov_b32_e32 v23, 0
	v_mov_b32_e32 v68, 0
	s_waitcnt vmcnt(0)
	v_and_b32_e32 v24, 0xffff, v1
	v_cmp_ne_u16_sdwa s2, v1, v2 src0_sel:BYTE_0 src1_sel:DWORD
	s_and_saveexec_b32 s48, s2
	s_cbranch_execz .LBB336_250
; %bb.243:                              ;   in Loop: Header=BB336_13 Depth=1
	v_cmp_ne_u16_sdwa s2, v24, v33 src0_sel:BYTE_0 src1_sel:DWORD
	v_bfrev_b32_e32 v68, 1
	s_and_saveexec_b32 s49, s2
	s_cbranch_execz .LBB336_249
; %bb.244:                              ;   in Loop: Header=BB336_13 Depth=1
	v_and_b32_e32 v69, 0x7f, v24
	v_mov_b32_e32 v68, 0x7f800001
	s_mov_b32 s51, exec_lo
	v_cmpx_ne_u32_e32 0x7f, v69
	s_cbranch_execz .LBB336_248
; %bb.245:                              ;   in Loop: Header=BB336_13 Depth=1
	v_and_b32_e32 v1, 7, v24
	v_lshrrev_b32_e32 v68, 3, v69
	s_mov_b32 s52, exec_lo
	v_cmpx_gt_u32_e32 8, v69
; %bb.246:                              ;   in Loop: Header=BB336_13 Depth=1
	v_ffbh_u32_e32 v68, v1
	v_min_u32_e32 v68, 32, v68
	v_subrev_nc_u32_e32 v69, 28, v68
	v_sub_nc_u32_e32 v68, 29, v68
	v_lshlrev_b64 v[69:70], v69, v[1:2]
	v_and_b32_e32 v1, 7, v69
; %bb.247:                              ;   in Loop: Header=BB336_13 Depth=1
	s_or_b32 exec_lo, exec_lo, s52
	v_lshlrev_b32_e32 v69, 24, v24
	v_lshlrev_b32_e32 v1, 20, v1
	v_lshl_add_u32 v68, v68, 23, 0x3c000000
	v_and_b32_e32 v69, 0x80000000, v69
	v_or3_b32 v68, v1, v69, v68
.LBB336_248:                            ;   in Loop: Header=BB336_13 Depth=1
	s_or_b32 exec_lo, exec_lo, s51
.LBB336_249:                            ;   in Loop: Header=BB336_13 Depth=1
	s_or_b32 exec_lo, exec_lo, s49
.LBB336_250:                            ;   in Loop: Header=BB336_13 Depth=1
	s_or_b32 exec_lo, exec_lo, s48
	v_cmp_ne_u16_sdwa s2, v24, v2 src0_sel:BYTE_1 src1_sel:DWORD
	s_and_saveexec_b32 s48, s2
	s_cbranch_execz .LBB336_258
; %bb.251:                              ;   in Loop: Header=BB336_13 Depth=1
	v_cmp_ne_u16_sdwa s2, v24, v33 src0_sel:BYTE_1 src1_sel:DWORD
	v_bfrev_b32_e32 v23, 1
	s_and_saveexec_b32 s49, s2
	s_cbranch_execz .LBB336_257
; %bb.252:                              ;   in Loop: Header=BB336_13 Depth=1
	v_and_b32_sdwa v1, v34, v24 dst_sel:DWORD dst_unused:UNUSED_PAD src0_sel:DWORD src1_sel:BYTE_1
	v_mov_b32_e32 v23, 0x7f800001
	s_mov_b32 s51, exec_lo
	v_and_b32_e32 v69, 0x7f, v1
	v_cmpx_ne_u32_e32 0x7f, v69
	s_cbranch_execz .LBB336_256
; %bb.253:                              ;   in Loop: Header=BB336_13 Depth=1
	v_and_b32_e32 v1, 7, v1
	v_lshrrev_b32_e32 v23, 3, v69
	s_mov_b32 s52, exec_lo
	v_cmpx_gt_u32_e32 8, v69
; %bb.254:                              ;   in Loop: Header=BB336_13 Depth=1
	v_ffbh_u32_e32 v23, v1
	v_min_u32_e32 v23, 32, v23
	v_subrev_nc_u32_e32 v69, 28, v23
	v_sub_nc_u32_e32 v23, 29, v23
	v_lshlrev_b64 v[69:70], v69, v[1:2]
	v_and_b32_e32 v1, 7, v69
; %bb.255:                              ;   in Loop: Header=BB336_13 Depth=1
	s_or_b32 exec_lo, exec_lo, s52
	v_lshlrev_b32_e32 v24, 16, v24
	v_lshlrev_b32_e32 v1, 20, v1
	v_lshl_add_u32 v23, v23, 23, 0x3c000000
	v_and_b32_e32 v24, 0x80000000, v24
	v_or3_b32 v23, v1, v24, v23
.LBB336_256:                            ;   in Loop: Header=BB336_13 Depth=1
	s_or_b32 exec_lo, exec_lo, s51
.LBB336_257:                            ;   in Loop: Header=BB336_13 Depth=1
	s_or_b32 exec_lo, exec_lo, s49
.LBB336_258:                            ;   in Loop: Header=BB336_13 Depth=1
	s_or_b32 exec_lo, exec_lo, s48
	s_waitcnt lgkmcnt(0)
	v_mul_f32_e32 v1, s40, v68
	v_mul_f32_e32 v24, s40, v67
	;; [unrolled: 1-line block ×5, first 2 shown]
	v_bfe_u32 v67, v1, 16, 1
	v_bfe_u32 v68, v24, 16, 1
	v_or_b32_e32 v69, 0x400000, v1
	v_cmp_u_f32_e64 s2, v1, v1
	v_or_b32_e32 v70, 0x400000, v24
	v_add3_u32 v67, v67, v1, 0x7fff
	v_bfe_u32 v71, v66, 16, 1
	v_add3_u32 v68, v68, v24, 0x7fff
	v_bfe_u32 v72, v65, 16, 1
	v_mul_f32_e32 v51, s40, v51
	v_cndmask_b32_e64 v1, v67, v69, s2
	v_cmp_u_f32_e64 s2, v24, v24
	v_add3_u32 v67, v71, v66, 0x7fff
	v_add3_u32 v69, v72, v65, 0x7fff
	v_or_b32_e32 v71, 0x400000, v65
	v_mul_f32_e32 v50, s40, v50
	v_cndmask_b32_e64 v24, v68, v70, s2
	v_mul_f32_e32 v68, s40, v64
	v_or_b32_e32 v64, 0x400000, v66
	v_cmp_u_f32_e64 s2, v66, v66
	v_mul_f32_e32 v70, s40, v63
	v_mul_f32_e32 v49, s40, v49
	v_bfe_u32 v72, v68, 16, 1
	v_bfe_u32 v73, v50, 16, 1
	v_cndmask_b32_e64 v63, v67, v64, s2
	v_cmp_u_f32_e64 s2, v65, v65
	v_bfe_u32 v66, v70, 16, 1
	v_add3_u32 v65, v72, v68, 0x7fff
	v_mul_f32_e32 v67, s40, v62
	v_or_b32_e32 v62, 0x400000, v68
	v_cndmask_b32_e64 v64, v69, v71, s2
	v_cmp_u_f32_e64 s2, v68, v68
	v_add3_u32 v66, v66, v70, 0x7fff
	v_mul_f32_e32 v69, s40, v61
	v_or_b32_e32 v71, 0x400000, v70
	v_bfe_u32 v72, v67, 16, 1
	v_cndmask_b32_e64 v61, v65, v62, s2
	v_cmp_u_f32_e64 s2, v70, v70
	v_bfe_u32 v65, v69, 16, 1
	v_mul_f32_e32 v68, s40, v60
	v_or_b32_e32 v60, 0x400000, v67
	v_mul_f32_e32 v70, s40, v59
	v_cndmask_b32_e64 v62, v66, v71, s2
	v_add3_u32 v66, v72, v67, 0x7fff
	v_cmp_u_f32_e64 s2, v67, v67
	v_add3_u32 v65, v65, v69, 0x7fff
	v_or_b32_e32 v71, 0x400000, v69
	v_bfe_u32 v72, v68, 16, 1
	v_mul_f32_e32 v67, s40, v58
	v_cndmask_b32_e64 v59, v66, v60, s2
	v_cmp_u_f32_e64 s2, v69, v69
	v_bfe_u32 v66, v70, 16, 1
	v_or_b32_e32 v58, 0x400000, v68
	v_mul_f32_e32 v69, s40, v57
	v_bfe_u32 v74, v49, 16, 1
	v_cndmask_b32_e64 v60, v65, v71, s2
	v_add3_u32 v65, v72, v68, 0x7fff
	v_cmp_u_f32_e64 s2, v68, v68
	v_add3_u32 v66, v66, v70, 0x7fff
	v_or_b32_e32 v71, 0x400000, v70
	v_bfe_u32 v72, v67, 16, 1
	v_mul_f32_e32 v68, s40, v56
	v_cndmask_b32_e64 v57, v65, v58, s2
	v_cmp_u_f32_e64 s2, v70, v70
	v_bfe_u32 v65, v69, 16, 1
	v_or_b32_e32 v56, 0x400000, v67
	v_mul_f32_e32 v70, s40, v55
	v_mul_f32_e32 v48, s40, v48
	v_cndmask_b32_e64 v58, v66, v71, s2
	v_add3_u32 v66, v72, v67, 0x7fff
	v_cmp_u_f32_e64 s2, v67, v67
	v_add3_u32 v65, v65, v69, 0x7fff
	v_or_b32_e32 v71, 0x400000, v69
	v_bfe_u32 v72, v68, 16, 1
	v_or_b32_e32 v67, 0x400000, v68
	v_cndmask_b32_e64 v55, v66, v56, s2
	v_cmp_u_f32_e64 s2, v69, v69
	v_bfe_u32 v66, v70, 16, 1
	v_mul_f32_e32 v69, s40, v53
	v_mul_f32_e32 v47, s40, v47
	;; [unrolled: 1-line block ×3, first 2 shown]
	v_cndmask_b32_e64 v56, v65, v71, s2
	v_add3_u32 v65, v72, v68, 0x7fff
	v_cmp_u_f32_e64 s2, v68, v68
	v_add3_u32 v66, v66, v70, 0x7fff
	v_or_b32_e32 v71, 0x400000, v70
	v_or_b32_e32 v68, 0x400000, v69
	v_bfe_u32 v72, v51, 16, 1
	v_cndmask_b32_e64 v53, v65, v67, s2
	v_bfe_u32 v67, v69, 16, 1
	v_cmp_u_f32_e64 s2, v70, v70
	v_bfe_u32 v70, v52, 16, 1
	v_bfe_u32 v76, v47, 16, 1
	v_mul_f32_e32 v45, s40, v45
	v_add3_u32 v67, v67, v69, 0x7fff
	v_cndmask_b32_e64 v66, v66, v71, s2
	v_cmp_u_f32_e64 s2, v69, v69
	v_add3_u32 v69, v72, v51, 0x7fff
	v_bfe_u32 v77, v46, 16, 1
	v_bfe_u32 v78, v45, 16, 1
	v_mul_f32_e32 v43, s40, v43
	v_cndmask_b32_e64 v67, v67, v68, s2
	v_add3_u32 v68, v70, v52, 0x7fff
	v_or_b32_e32 v70, 0x400000, v51
	v_cmp_u_f32_e64 s2, v51, v51
	v_mul_f32_e32 v42, s40, v42
	v_mul_f32_e32 v41, s40, v41
	v_or_b32_e32 v80, 0x400000, v43
	v_mul_f32_e32 v40, s40, v40
	v_cndmask_b32_e64 v51, v69, v70, s2
	v_add3_u32 v69, v73, v50, 0x7fff
	v_add3_u32 v70, v74, v49, 0x7fff
	v_or_b32_e32 v73, 0x400000, v49
	v_bfe_u32 v74, v48, 16, 1
	v_cmp_u_f32_e64 s2, v49, v49
	v_bfe_u32 v81, v42, 16, 1
	v_bfe_u32 v82, v41, 16, 1
	v_mul_f32_e32 v44, s40, v44
	v_or_b32_e32 v83, 0x400000, v41
	v_cndmask_b32_e64 v49, v70, v73, s2
	v_add3_u32 v70, v74, v48, 0x7fff
	v_add3_u32 v73, v76, v47, 0x7fff
	v_or_b32_e32 v74, 0x400000, v47
	v_cmp_u_f32_e64 s2, v47, v47
	v_add3_u32 v82, v82, v41, 0x7fff
	v_or_b32_e32 v84, 0x400000, v40
	v_or_b32_e32 v79, 0x400000, v46
	;; [unrolled: 1-line block ×3, first 2 shown]
	v_cndmask_b32_e64 v47, v73, v74, s2
	v_add3_u32 v73, v77, v46, 0x7fff
	v_add3_u32 v74, v78, v45, 0x7fff
	v_or_b32_e32 v77, 0x400000, v45
	v_cmp_u_f32_e64 s2, v45, v45
	v_bfe_u32 v78, v44, 16, 1
	v_mul_f32_e32 v54, s40, v54
	v_or_b32_e32 v75, 0x400000, v50
	v_or_b32_e32 v72, 0x400000, v52
	v_cndmask_b32_e64 v45, v74, v77, s2
	v_bfe_u32 v74, v43, 16, 1
	v_cmp_u_f32_e64 s2, v43, v43
	v_add3_u32 v77, v78, v44, 0x7fff
	v_or_b32_e32 v78, 0x400000, v44
	v_bfe_u32 v65, v54, 16, 1
	v_add3_u32 v74, v74, v43, 0x7fff
	v_or_b32_e32 v71, 0x400000, v54
	v_and_b32_e32 v1, 0xffff0000, v1
	v_add3_u32 v65, v65, v54, 0x7fff
	v_cndmask_b32_e64 v43, v74, v80, s2
	v_add3_u32 v80, v81, v42, 0x7fff
	v_or_b32_e32 v81, 0x400000, v42
	v_cmp_u_f32_e64 s2, v42, v42
	v_bfe_u32 v74, v40, 16, 1
	v_and_b32_e32 v43, 0xffff0000, v43
	v_cndmask_b32_e64 v42, v80, v81, s2
	v_cmp_u_f32_e64 s2, v41, v41
	v_add3_u32 v74, v74, v40, 0x7fff
	v_lshlrev_b32_e32 v80, 16, v22
	v_and_b32_e32 v22, 0xffff0000, v22
	v_and_b32_e32 v42, 0xffff0000, v42
	v_cndmask_b32_e64 v41, v82, v83, s2
	v_cmp_u_f32_e64 s2, v40, v40
	v_mul_f32_e32 v22, v22, v43
	v_mul_f32_e32 v42, v80, v42
	v_and_b32_e32 v41, 0xffff0000, v41
	v_cndmask_b32_e64 v40, v74, v84, s2
	v_cmp_u_f32_e64 s2, v44, v44
	v_lshlrev_b32_e32 v74, 16, v21
	v_and_b32_e32 v21, 0xffff0000, v21
	v_lshlrev_b32_e32 v44, 16, v19
	v_and_b32_e32 v40, 0xffff0000, v40
	v_cndmask_b32_e64 v43, v77, v78, s2
	v_cmp_u_f32_e64 s2, v46, v46
	v_and_b32_e32 v19, 0xffff0000, v19
	v_fmac_f32_e32 v22, v21, v41
	v_fmac_f32_e32 v42, v74, v40
	v_and_b32_e32 v21, 0xffff0000, v43
	v_and_b32_e32 v40, 0xffff0000, v45
	v_cndmask_b32_e64 v41, v73, v79, s2
	v_cmp_u_f32_e64 s2, v48, v48
	v_lshlrev_b32_e32 v43, 16, v20
	v_and_b32_e32 v20, 0xffff0000, v20
	v_fmac_f32_e32 v42, v44, v21
	v_fmac_f32_e32 v22, v19, v40
	v_and_b32_e32 v19, 0xffff0000, v41
	v_and_b32_e32 v21, 0xffff0000, v47
	v_cndmask_b32_e64 v40, v70, v76, s2
	v_cmp_u_f32_e64 s2, v50, v50
	v_lshlrev_b32_e32 v41, 16, v17
	;; [unrolled: 8-line block ×4, first 2 shown]
	v_and_b32_e32 v15, 0xffff0000, v15
	v_fmac_f32_e32 v42, v40, v17
	v_fmac_f32_e32 v22, v18, v19
	v_and_b32_e32 v17, 0xffff0000, v20
	v_and_b32_e32 v18, 0xffff0000, v67
	v_cndmask_b32_e64 v19, v65, v71, s2
	v_lshlrev_b32_e32 v20, 16, v16
	v_and_b32_e32 v16, 0xffff0000, v16
	v_fmac_f32_e32 v42, v21, v17
	v_fmac_f32_e32 v22, v15, v18
	v_and_b32_e32 v15, 0xffff0000, v19
	v_and_b32_e32 v17, 0xffff0000, v66
	v_lshlrev_b32_e32 v18, 16, v13
	v_and_b32_e32 v13, 0xffff0000, v13
	v_lshlrev_b32_e32 v19, 16, v14
	v_fmac_f32_e32 v42, v20, v15
	v_fmac_f32_e32 v22, v16, v17
	v_and_b32_e32 v15, 0xffff0000, v53
	v_and_b32_e32 v16, 0xffff0000, v56
	;; [unrolled: 1-line block ×3, first 2 shown]
	v_lshlrev_b32_e32 v17, 16, v11
	v_and_b32_e32 v11, 0xffff0000, v11
	v_fmac_f32_e32 v42, v18, v15
	v_fmac_f32_e32 v22, v13, v16
	v_and_b32_e32 v13, 0xffff0000, v55
	v_and_b32_e32 v15, 0xffff0000, v58
	v_lshlrev_b32_e32 v20, 16, v12
	v_and_b32_e32 v12, 0xffff0000, v12
	v_lshlrev_b32_e32 v16, 16, v7
	v_fmac_f32_e32 v42, v19, v13
	v_fmac_f32_e32 v22, v14, v15
	v_and_b32_e32 v13, 0xffff0000, v57
	v_and_b32_e32 v14, 0xffff0000, v60
	v_mul_f32_e32 v19, s40, v23
	v_and_b32_e32 v7, 0xffff0000, v7
	v_lshlrev_b32_e32 v18, 16, v8
	v_fmac_f32_e32 v42, v17, v13
	v_fmac_f32_e32 v22, v11, v14
	v_and_b32_e32 v11, 0xffff0000, v59
	v_and_b32_e32 v13, 0xffff0000, v62
	v_bfe_u32 v17, v19, 16, 1
	v_cmp_u_f32_e64 s2, v19, v19
	v_xor_b32_e32 v14, 2, v27
	v_fmac_f32_e32 v42, v20, v11
	v_fmac_f32_e32 v22, v12, v13
	v_and_b32_e32 v11, 0xffff0000, v61
	v_and_b32_e32 v12, 0xffff0000, v64
	v_add3_u32 v13, v17, v19, 0x7fff
	v_or_b32_e32 v17, 0x400000, v19
	v_and_b32_e32 v8, 0xffff0000, v8
	v_fmac_f32_e32 v42, v16, v11
	v_fmac_f32_e32 v22, v7, v12
	v_and_b32_e32 v7, 0xffff0000, v63
	v_and_b32_e32 v11, 0xffff0000, v24
	v_cndmask_b32_e64 v12, v13, v17, s2
	v_lshlrev_b32_e32 v15, 16, v39
	v_and_b32_e32 v13, 0xffff0000, v39
	v_fmac_f32_e32 v42, v18, v7
	v_fmac_f32_e32 v22, v8, v11
	v_and_b32_e32 v7, 0xffff0000, v12
	v_cmp_gt_i32_e64 s2, 32, v14
	v_fmac_f32_e32 v42, v15, v1
	v_fmac_f32_e32 v22, v13, v7
	v_cndmask_b32_e64 v8, v27, v14, s2
	v_add_f32_e32 v7, v42, v22
	v_lshlrev_b32_e32 v1, 2, v8
	v_xor_b32_e32 v8, 1, v27
	ds_bpermute_b32 v1, v1, v7
	v_cmp_gt_i32_e64 s2, 32, v8
	v_cndmask_b32_e64 v8, v27, v8, s2
	v_lshlrev_b32_e32 v8, 2, v8
	s_waitcnt lgkmcnt(0)
	v_add_f32_e32 v1, v7, v1
	ds_bpermute_b32 v7, v8, v1
	s_and_saveexec_b32 s40, vcc_lo
	s_cbranch_execz .LBB336_11
; %bb.259:                              ;   in Loop: Header=BB336_13 Depth=1
	v_add_nc_u32_e32 v8, v35, v31
	s_waitcnt lgkmcnt(0)
	v_add_f32_e32 v1, v1, v7
	v_cvt_f32_i32_e32 v8, v8
	v_mul_f32_e32 v8, s47, v8
	v_cndmask_b32_e64 v7, 0, v8, s1
	v_max_f32_e32 v8, v28, v28
	v_fmac_f32_e32 v7, s41, v1
	v_add_nc_u32_e32 v1, v29, v31
	v_max_f32_e32 v8, v8, v7
	v_cmp_gt_i32_e64 s2, s33, v1
	v_cndmask_b32_e64 v1, 0, v7, s2
	v_cndmask_b32_e64 v28, v28, v8, s2
	ds_write_b32 v36, v1
	s_branch .LBB336_11
.LBB336_260:
	s_or_b32 exec_lo, exec_lo, s16
.LBB336_261:
	s_or_b32 exec_lo, exec_lo, s14
	v_xor_b32_e32 v1, 16, v27
	v_xor_b32_e32 v3, 8, v27
	v_max_f32_e32 v4, v28, v28
	v_xor_b32_e32 v5, 4, v27
	v_and_b32_e32 v22, 31, v0
	v_cmp_gt_i32_e32 vcc_lo, 32, v1
	v_cndmask_b32_e32 v1, v27, v1, vcc_lo
	v_cmp_gt_i32_e32 vcc_lo, 32, v3
	v_lshlrev_b32_e32 v2, 2, v1
	v_cndmask_b32_e32 v3, v27, v3, vcc_lo
	v_cmp_gt_i32_e32 vcc_lo, 32, v5
	ds_bpermute_b32 v1, v2, v28
	v_lshlrev_b32_e32 v3, 2, v3
	v_cndmask_b32_e32 v5, v27, v5, vcc_lo
	v_cmp_eq_u32_e32 vcc_lo, 0, v22
	v_lshlrev_b32_e32 v6, 2, v5
	s_waitcnt lgkmcnt(0)
	v_max_f32_e32 v1, v1, v1
	v_max_f32_e32 v1, v4, v1
	ds_bpermute_b32 v4, v3, v1
	s_waitcnt lgkmcnt(0)
	v_max_f32_e32 v4, v4, v4
	v_max_f32_e32 v1, v1, v4
	v_lshlrev_b32_e32 v4, 2, v25
	ds_bpermute_b32 v5, v6, v1
	s_and_saveexec_b32 s1, vcc_lo
	s_cbranch_execz .LBB336_263
; %bb.262:
	s_waitcnt lgkmcnt(0)
	v_max_f32_e32 v5, v5, v5
	v_max_f32_e32 v1, v1, v1
	v_max_f32_e32 v1, v1, v5
	ds_write_b32 v4, v1 offset:240
.LBB336_263:
	s_or_b32 exec_lo, exec_lo, s1
	v_cmp_gt_u32_e64 s1, 4, v22
	v_mov_b32_e32 v1, 0xff7fffff
	s_waitcnt lgkmcnt(0)
	v_lshlrev_b32_e32 v5, 2, v22
	s_barrier
	buffer_gl0_inv
	s_and_saveexec_b32 s2, s1
; %bb.264:
	ds_read_b32 v1, v5 offset:240
; %bb.265:
	s_or_b32 exec_lo, exec_lo, s2
	v_xor_b32_e32 v7, 2, v27
	v_xor_b32_e32 v11, 1, v27
	v_lshl_add_u32 v23, v0, 2, 0x110
	v_cmp_gt_i32_e64 s2, 32, v7
	v_cndmask_b32_e64 v7, v27, v7, s2
	v_cmp_gt_i32_e64 s2, 32, v11
	v_lshlrev_b32_e32 v7, 2, v7
	v_cndmask_b32_e64 v11, v27, v11, s2
	s_sub_i32 s2, s46, s15
	s_lshl_b32 s2, s2, 3
	s_waitcnt lgkmcnt(0)
	ds_bpermute_b32 v8, v7, v1
	v_max_f32_e32 v1, v1, v1
	s_add_i32 s2, s2, s11
	s_min_i32 s2, s2, s33
	s_sub_i32 s4, s2, s11
	v_cmp_gt_i32_e64 s2, s4, v0
	s_waitcnt lgkmcnt(0)
	v_max_f32_e32 v12, v8, v8
	v_lshlrev_b32_e32 v8, 2, v11
	v_max_f32_e32 v1, v1, v12
	ds_bpermute_b32 v11, v8, v1
	s_waitcnt lgkmcnt(0)
	v_max_f32_e32 v11, v11, v11
	v_max_f32_e32 v1, v1, v11
	v_mov_b32_e32 v11, 0
	ds_bpermute_b32 v1, v11, v1
	s_and_saveexec_b32 s5, s2
	s_cbranch_execz .LBB336_269
; %bb.266:
	v_lshl_add_u32 v12, v0, 2, 0x110
	v_mov_b32_e32 v11, 0
	v_mov_b32_e32 v13, v0
	s_mov_b32 s11, 0
	.p2align	6
.LBB336_267:                            ; =>This Inner Loop Header: Depth=1
	ds_read_b32 v14, v12
	v_add_nc_u32_e32 v13, 0x80, v13
	v_cmp_le_i32_e64 s3, s4, v13
	s_or_b32 s11, s3, s11
	s_waitcnt lgkmcnt(0)
	v_sub_f32_e32 v14, v14, v1
	v_mul_f32_e32 v14, 0x3fb8aa3b, v14
	v_exp_f32_e32 v14, v14
	ds_write_b32 v12, v14
	v_add_f32_e32 v11, v11, v14
	v_add_nc_u32_e32 v12, 0x200, v12
	s_andn2_b32 exec_lo, exec_lo, s11
	s_cbranch_execnz .LBB336_267
; %bb.268:
	s_or_b32 exec_lo, exec_lo, s11
.LBB336_269:
	s_or_b32 exec_lo, exec_lo, s5
	ds_bpermute_b32 v2, v2, v11
	s_waitcnt lgkmcnt(0)
	v_add_f32_e32 v2, v11, v2
	ds_bpermute_b32 v3, v3, v2
	s_waitcnt lgkmcnt(0)
	v_add_f32_e32 v2, v2, v3
	;; [unrolled: 3-line block ×5, first 2 shown]
	s_and_saveexec_b32 s3, vcc_lo
; %bb.270:
	ds_write_b32 v4, v2 offset:256
; %bb.271:
	s_or_b32 exec_lo, exec_lo, s3
	s_waitcnt lgkmcnt(0)
	s_barrier
	buffer_gl0_inv
	s_and_saveexec_b32 s3, s1
; %bb.272:
	ds_read_b32 v2, v5 offset:256
; %bb.273:
	s_or_b32 exec_lo, exec_lo, s3
	s_waitcnt lgkmcnt(0)
	ds_bpermute_b32 v3, v7, v2
	s_waitcnt lgkmcnt(0)
	v_add_f32_e32 v2, v2, v3
	ds_bpermute_b32 v3, v8, v2
	s_waitcnt lgkmcnt(0)
	v_add_f32_e32 v2, v2, v3
	v_mov_b32_e32 v3, 0
	ds_bpermute_b32 v2, v3, v2
	s_and_saveexec_b32 s1, s2
	s_cbranch_execz .LBB336_276
; %bb.274:
	s_waitcnt lgkmcnt(0)
	v_add_f32_e32 v4, 0x358637bd, v2
	s_mov_b32 s2, 0
	v_div_scale_f32 v3, null, v4, v4, 1.0
	v_div_scale_f32 v7, vcc_lo, 1.0, v4, 1.0
	v_rcp_f32_e32 v5, v3
	v_fma_f32 v6, -v3, v5, 1.0
	v_fmac_f32_e32 v5, v6, v5
	v_mul_f32_e32 v6, v7, v5
	v_fma_f32 v8, -v3, v6, v7
	v_fmac_f32_e32 v6, v8, v5
	v_fma_f32 v3, -v3, v6, v7
	v_div_fmas_f32 v5, v3, v5, v6
	v_mov_b32_e32 v3, v23
	v_div_fixup_f32 v4, v5, v4, 1.0
	v_mov_b32_e32 v5, v0
.LBB336_275:                            ; =>This Inner Loop Header: Depth=1
	ds_read_b32 v6, v3
	v_add_nc_u32_e32 v5, 0x80, v5
	v_cmp_le_i32_e32 vcc_lo, s4, v5
	s_or_b32 s2, vcc_lo, s2
	s_waitcnt lgkmcnt(0)
	v_mul_f32_e32 v6, v4, v6
	ds_write_b32 v3, v6
	v_add_nc_u32_e32 v3, 0x200, v3
	s_andn2_b32 exec_lo, exec_lo, s2
	s_cbranch_execnz .LBB336_275
.LBB336_276:
	s_or_b32 exec_lo, exec_lo, s1
	s_mul_i32 s1, s35, s10
	s_waitcnt lgkmcnt(0)
	s_mul_i32 s28, s1, s9
	s_mov_b32 s1, exec_lo
	s_barrier
	buffer_gl0_inv
	v_cmpx_eq_u32_e32 0, v0
	s_cbranch_execz .LBB336_278
; %bb.277:
	s_ashr_i32 s29, s28, 31
	s_mul_i32 s4, s35, s6
	s_lshl_b64 s[2:3], s[28:29], 2
	v_mov_b32_e32 v3, 0
	s_add_u32 s6, s22, s2
	s_addc_u32 s9, s23, s3
	s_ashr_i32 s5, s4, 31
	s_lshl_b64 s[4:5], s[4:5], 2
	s_add_u32 s6, s6, s4
	s_addc_u32 s15, s9, s5
	s_ashr_i32 s9, s8, 31
	s_lshl_b64 s[10:11], s[8:9], 2
	s_add_u32 s14, s6, s10
	s_addc_u32 s15, s15, s11
	s_add_u32 s2, s20, s2
	s_addc_u32 s3, s21, s3
	;; [unrolled: 2-line block ×4, first 2 shown]
	global_store_dword v3, v1, s[14:15]
	global_store_dword v3, v2, s[2:3]
.LBB336_278:
	s_or_b32 exec_lo, exec_lo, s1
	v_mov_b32_e32 v29, 0
	v_mov_b32_e32 v28, 0
	;; [unrolled: 1-line block ×4, first 2 shown]
	s_and_saveexec_b32 s29, s0
	s_cbranch_execz .LBB336_534
; %bb.279:
	s_sub_i32 s47, s12, s17
	s_ashr_i32 s0, s7, 31
	s_add_u32 s38, s38, s7
	s_addc_u32 s39, s39, s0
	s_abs_i32 s48, s18
	v_or_b32_e32 v4, 0x60, v22
	v_cvt_f32_u32_e32 v1, s48
	s_sub_i32 s0, 0, s48
	s_add_i32 s50, s50, -1
	v_lshlrev_b32_e32 v30, 3, v22
	v_mov_b32_e32 v11, 0
	v_rcp_iflag_f32_e32 v1, v1
	v_lshl_add_u32 v31, v25, 5, 0x110
	v_mov_b32_e32 v32, 0x80
	v_mov_b32_e32 v33, 0xffff
	;; [unrolled: 1-line block ×8, first 2 shown]
	v_mul_f32_e32 v3, 0x4f7ffffe, v1
	v_lshlrev_b64 v[1:2], 2, v[9:10]
	v_lshlrev_b32_e32 v37, 3, v4
	v_mov_b32_e32 v29, 0
	s_mov_b32 s40, -1
	v_cvt_u32_f32_e32 v3, v3
	s_mov_b32 s49, s13
	s_mov_b32 s41, 0xffffff
	v_cmp_gt_u32_e32 vcc_lo, 0x78, v4
	v_mul_lo_u32 v5, s0, v3
	s_lshl_b64 s[0:1], s[26:27], 2
	s_mov_b32 s27, 0
	s_add_u32 s0, s24, s0
	s_addc_u32 s1, s25, s1
	v_add_co_u32 v12, s0, s0, v1
	v_add_co_ci_u32_e64 v13, null, s1, v2, s0
	v_mul_hi_u32 v5, v3, v5
	v_add_nc_u32_e32 v38, v3, v5
	s_branch .LBB336_283
.LBB336_280:                            ;   in Loop: Header=BB336_283 Depth=1
	s_or_b32 exec_lo, exec_lo, s26
	v_perm_b32 v43, v56, v55, 0x7060302
	v_perm_b32 v55, v58, v57, 0x7060302
	v_lshlrev_b32_e32 v42, 16, v42
	v_lshlrev_b32_e32 v15, 16, v15
	v_perm_b32 v56, v60, v59, 0x7060302
	v_and_b32_e32 v58, 0xffff0000, v43
	v_lshlrev_b32_e32 v43, 16, v43
	v_lshlrev_b32_e32 v10, 16, v10
	;; [unrolled: 1-line block ×3, first 2 shown]
	v_perm_b32 v57, v62, v61, 0x7060302
	v_mul_f32_e32 v42, v58, v42
	v_and_b32_e32 v58, 0xffff0000, v55
	v_lshlrev_b32_e32 v55, 16, v55
	v_mul_f32_e32 v15, v43, v15
	v_and_b32_e32 v43, 0xffff0000, v56
	v_bfe_u32 v59, v42, 16, 1
	v_mul_f32_e32 v10, v58, v10
	v_mul_f32_e32 v14, v55, v14
	v_bfe_u32 v55, v15, 16, 1
	v_or_b32_e32 v58, 0x400000, v42
	v_add3_u32 v59, v59, v42, 0x7fff
	v_cmp_u_f32_e64 s0, v42, v42
	v_or_b32_e32 v60, 0x400000, v15
	v_bfe_u32 v61, v10, 16, 1
	v_add3_u32 v55, v55, v15, 0x7fff
	v_lshlrev_b32_e32 v2, 16, v2
	v_cndmask_b32_e64 v42, v59, v58, s0
	v_cmp_u_f32_e64 s0, v15, v15
	v_or_b32_e32 v58, 0x400000, v10
	v_bfe_u32 v59, v14, 16, 1
	v_mul_f32_e32 v2, v43, v2
	v_lshlrev_b32_e32 v43, 16, v56
	v_cndmask_b32_e64 v15, v55, v60, s0
	v_add3_u32 v55, v61, v10, 0x7fff
	v_lshlrev_b32_e32 v1, 16, v1
	v_cmp_u_f32_e64 s0, v10, v10
	v_or_b32_e32 v56, 0x400000, v14
	v_lshlrev_b32_e32 v4, 16, v4
	v_lshlrev_b32_e32 v3, 16, v3
	v_mul_f32_e32 v1, v43, v1
	v_cndmask_b32_e64 v10, v55, v58, s0
	v_add3_u32 v55, v59, v14, 0x7fff
	v_bfe_u32 v58, v2, 16, 1
	v_and_b32_e32 v43, 0xffff0000, v57
	v_lshlrev_b32_e32 v57, 16, v57
	v_cmp_u_f32_e64 s0, v14, v14
	v_and_b32_e32 v15, 0xffff0000, v15
	v_and_b32_e32 v42, 0xffff0000, v42
	v_mul_f32_e32 v4, v43, v4
	v_mul_f32_e32 v3, v57, v3
	v_cndmask_b32_e64 v14, v55, v56, s0
	v_bfe_u32 v55, v1, 16, 1
	v_add3_u32 v56, v58, v2, 0x7fff
	v_or_b32_e32 v43, 0x400000, v2
	v_cmp_u_f32_e64 s0, v2, v2
	v_or_b32_e32 v57, 0x400000, v1
	v_add3_u32 v55, v55, v1, 0x7fff
	v_bfe_u32 v59, v3, 16, 1
	v_bfe_u32 v58, v4, 16, 1
	v_cndmask_b32_e64 v2, v56, v43, s0
	v_cmp_u_f32_e64 s0, v1, v1
	v_or_b32_e32 v56, 0x400000, v3
	v_and_b32_e32 v14, 0xffff0000, v14
	v_add3_u32 v43, v58, v4, 0x7fff
	v_and_b32_e32 v10, 0xffff0000, v10
	v_cndmask_b32_e64 v1, v55, v57, s0
	v_add3_u32 v55, v59, v3, 0x7fff
	v_cmp_u_f32_e64 s0, v3, v3
	v_or_b32_e32 v57, 0x400000, v4
	v_add_f32_e32 v15, v15, v42
	v_add_f32_e32 v10, v14, v10
	v_and_b32_e32 v1, 0xffff0000, v1
	v_cndmask_b32_e64 v3, v55, v56, s0
	v_cmp_u_f32_e64 s0, v4, v4
	v_and_b32_e32 v2, 0xffff0000, v2
	v_add_f32_e32 v10, v10, v15
	v_cndmask_b32_e64 v4, v43, v57, s0
	v_add_f32_e32 v1, v1, v2
	v_and_b32_e32 v2, 0xffff0000, v3
	v_and_b32_e32 v3, 0xffff0000, v4
	v_add_f32_e32 v1, v1, v10
	v_add_f32_e32 v2, v2, v3
	;; [unrolled: 1-line block ×4, first 2 shown]
.LBB336_281:                            ;   in Loop: Header=BB336_283 Depth=1
	s_or_b32 exec_lo, exec_lo, s53
	v_bfe_u32 v1, v52, 16, 1
	v_or_b32_e32 v2, 0x400000, v52
	v_bfe_u32 v3, v51, 16, 1
	v_bfe_u32 v10, v50, 16, 1
	;; [unrolled: 1-line block ×3, first 2 shown]
	v_add3_u32 v1, v1, v52, 0x7fff
	v_bfe_u32 v15, v54, 16, 1
	v_or_b32_e32 v4, 0x400000, v51
	v_add3_u32 v3, v3, v51, 0x7fff
	v_add3_u32 v10, v10, v50, 0x7fff
	v_cndmask_b32_e64 v1, v1, v2, s24
	v_or_b32_e32 v2, 0x400000, v50
	v_add3_u32 v14, v14, v49, 0x7fff
	v_or_b32_e32 v42, 0x400000, v49
	v_add3_u32 v15, v15, v54, 0x7fff
	v_or_b32_e32 v43, 0x400000, v54
	v_bfe_u32 v49, v53, 16, 1
	v_cndmask_b32_e64 v3, v3, v4, s20
	v_cndmask_b32_e64 v2, v10, v2, s21
	;; [unrolled: 1-line block ×4, first 2 shown]
	v_add3_u32 v14, v49, v53, 0x7fff
	v_or_b32_e32 v15, 0x400000, v53
	v_bfe_u32 v42, v48, 16, 1
	v_and_b32_e32 v3, 0xffff0000, v3
	v_and_b32_e32 v1, 0xffff0000, v1
	v_and_b32_e32 v4, 0xffff0000, v4
	v_and_b32_e32 v2, 0xffff0000, v2
	v_cndmask_b32_e64 v14, v14, v15, s23
	v_add3_u32 v42, v42, v48, 0x7fff
	v_add_f32_e32 v1, v3, v1
	v_bfe_u32 v15, v47, 16, 1
	v_add_f32_e32 v2, v4, v2
	v_and_b32_e32 v3, 0xffff0000, v14
	v_and_b32_e32 v4, 0xffff0000, v10
	v_or_b32_e32 v10, 0x400000, v48
	v_add3_u32 v14, v15, v47, 0x7fff
	v_add_f32_e32 v1, v2, v1
	v_or_b32_e32 v15, 0x400000, v47
	v_add_f32_e32 v2, v3, v4
	v_cndmask_b32_e64 v3, v42, v10, s19
	v_bfe_u32 v4, v46, 16, 1
	v_bfe_u32 v42, v44, 16, 1
	v_cndmask_b32_e64 v10, v14, v15, s17
	v_add_f32_e32 v1, v2, v1
	v_and_b32_e32 v2, 0xffff0000, v3
	v_add3_u32 v3, v4, v46, 0x7fff
	v_or_b32_e32 v4, 0x400000, v46
	v_bfe_u32 v14, v45, 16, 1
	v_or_b32_e32 v15, 0x400000, v45
	v_add3_u32 v42, v42, v44, 0x7fff
	v_or_b32_e32 v43, 0x400000, v44
	v_cndmask_b32_e64 v3, v3, v4, s15
	v_bfe_u32 v4, v41, 16, 1
	v_add3_u32 v14, v14, v45, 0x7fff
	v_bfe_u32 v44, v20, 16, 1
	v_cndmask_b32_e64 v42, v42, v43, s16
	v_and_b32_e32 v3, 0xffff0000, v3
	v_add3_u32 v4, v4, v41, 0x7fff
	v_or_b32_e32 v41, 0x400000, v41
	v_cndmask_b32_e64 v14, v14, v15, s18
	v_bfe_u32 v15, v40, 16, 1
	v_and_b32_e32 v42, 0xffff0000, v42
	v_bfe_u32 v43, v39, 16, 1
	v_cndmask_b32_e64 v4, v4, v41, s13
	v_and_b32_e32 v14, 0xffff0000, v14
	v_add3_u32 v15, v15, v40, 0x7fff
	v_or_b32_e32 v40, 0x400000, v40
	v_add3_u32 v41, v43, v39, 0x7fff
	v_and_b32_e32 v4, 0xffff0000, v4
	v_add_f32_e32 v3, v14, v3
	v_or_b32_e32 v39, 0x400000, v39
	v_cndmask_b32_e64 v15, v15, v40, s14
	v_add3_u32 v40, v44, v20, 0x7fff
	v_or_b32_e32 v20, 0x400000, v20
	v_add_f32_e32 v4, v4, v42
	v_bfe_u32 v43, v21, 16, 1
	v_and_b32_e32 v15, 0xffff0000, v15
	v_and_b32_e32 v10, 0xffff0000, v10
	v_cndmask_b32_e64 v14, v40, v20, s10
	v_add_f32_e32 v3, v4, v3
	v_bfe_u32 v4, v18, 16, 1
	v_cndmask_b32_e64 v20, v41, v39, s11
	v_bfe_u32 v39, v19, 16, 1
	v_and_b32_e32 v14, 0xffff0000, v14
	v_bfe_u32 v40, v8, 16, 1
	v_add3_u32 v4, v4, v18, 0x7fff
	v_or_b32_e32 v18, 0x400000, v18
	v_add3_u32 v39, v39, v19, 0x7fff
	v_or_b32_e32 v19, 0x400000, v19
	v_add_f32_e32 v14, v14, v15
	v_bfe_u32 v15, v7, 16, 1
	v_cndmask_b32_e64 v4, v4, v18, s9
	v_bfe_u32 v18, v17, 16, 1
	v_cndmask_b32_e64 v19, v39, v19, s7
	v_bfe_u32 v39, v16, 16, 1
	v_add3_u32 v15, v15, v7, 0x7fff
	v_or_b32_e32 v7, 0x400000, v7
	v_add3_u32 v18, v18, v17, 0x7fff
	v_or_b32_e32 v17, 0x400000, v17
	;; [unrolled: 2-line block ×4, first 2 shown]
	v_bfe_u32 v41, v6, 16, 1
	v_cndmask_b32_e64 v7, v15, v7, s3
	v_cndmask_b32_e64 v15, v18, v17, s4
	v_bfe_u32 v18, v5, 16, 1
	v_add3_u32 v43, v43, v21, 0x7fff
	v_or_b32_e32 v21, 0x400000, v21
	v_cndmask_b32_e64 v16, v39, v16, s5
	v_cndmask_b32_e64 v8, v40, v8, s6
	v_add3_u32 v17, v41, v6, 0x7fff
	v_and_b32_e32 v4, 0xffff0000, v4
	v_and_b32_e32 v19, 0xffff0000, v19
	;; [unrolled: 1-line block ×4, first 2 shown]
	v_or_b32_e32 v6, 0x400000, v6
	v_add3_u32 v18, v18, v5, 0x7fff
	v_or_b32_e32 v5, 0x400000, v5
	v_cndmask_b32_e64 v21, v43, v21, s12
	v_add_f32_e32 v4, v4, v19
	v_add_f32_e32 v7, v15, v7
	v_and_b32_e32 v8, 0xffff0000, v8
	v_and_b32_e32 v15, 0xffff0000, v16
	v_cndmask_b32_e64 v5, v18, v5, s2
	v_cndmask_b32_e64 v6, v17, v6, s1
	v_and_b32_e32 v21, 0xffff0000, v21
	v_and_b32_e32 v16, 0xffff0000, v20
	v_add_f32_e32 v4, v7, v4
	v_add_f32_e32 v7, v8, v15
	v_and_b32_e32 v5, 0xffff0000, v5
	v_and_b32_e32 v6, 0xffff0000, v6
	v_add_f32_e32 v2, v2, v10
	v_add_f32_e32 v3, v14, v3
	;; [unrolled: 1-line block ×11, first 2 shown]
.LBB336_282:                            ;   in Loop: Header=BB336_283 Depth=1
	s_or_b32 exec_lo, exec_lo, s51
	v_add_nc_u32_e32 v9, 4, v9
	v_add_co_u32 v12, s1, v12, 16
	v_add_co_ci_u32_e64 v13, null, 0, v13, s1
	v_cmp_le_i32_e64 s0, s46, v9
	v_add_nc_u32_e32 v26, 32, v26
	v_add_nc_u32_e32 v31, 0x80, v31
	s_or_b32 s27, s0, s27
	s_andn2_b32 exec_lo, exec_lo, s27
	s_cbranch_execz .LBB336_533
.LBB336_283:                            ; =>This Inner Loop Header: Depth=1
	v_sub_nc_u32_e32 v1, 0, v26
	v_max_i32_e32 v1, v26, v1
	v_mul_hi_u32 v2, v1, s43
	v_mul_lo_u32 v3, v2, s42
	v_sub_nc_u32_e32 v1, v1, v3
	v_add_nc_u32_e32 v3, 1, v2
	v_subrev_nc_u32_e32 v4, s42, v1
	v_cmp_le_u32_e64 s0, s42, v1
	v_cndmask_b32_e64 v2, v2, v3, s0
	v_cndmask_b32_e64 v1, v1, v4, s0
	v_ashrrev_i32_e32 v3, 31, v26
	v_add_nc_u32_e32 v4, 1, v2
	v_cmp_le_u32_e64 s0, s42, v1
	v_xor_b32_e32 v3, s45, v3
	v_cndmask_b32_e64 v1, v2, v4, s0
	v_xor_b32_e32 v1, v1, v3
	v_sub_nc_u32_e32 v1, v1, v3
	v_add_nc_u32_e32 v2, s44, v1
	v_cmp_lt_i32_e64 s1, s47, v1
	v_sub_nc_u32_e32 v3, 0, v2
	v_max_i32_e32 v3, v2, v3
	v_ashrrev_i32_e32 v2, 31, v2
	v_mul_hi_u32 v4, v3, v38
	v_mul_lo_u32 v4, v4, s48
	v_sub_nc_u32_e32 v3, v3, v4
	v_subrev_nc_u32_e32 v4, s48, v3
	v_cmp_le_u32_e64 s0, s48, v3
	v_cndmask_b32_e64 v3, v3, v4, s0
	v_subrev_nc_u32_e32 v4, s48, v3
	v_cmp_le_u32_e64 s0, s48, v3
	v_cndmask_b32_e64 v3, v3, v4, s0
	v_xor_b32_e32 v3, v3, v2
	v_sub_nc_u32_e32 v2, v3, v2
	v_cmp_eq_u32_e64 s0, 0, v2
	s_or_b32 s0, s0, s1
	s_and_saveexec_b32 s51, s0
	s_cbranch_execz .LBB336_282
; %bb.284:                              ;   in Loop: Header=BB336_283 Depth=1
	global_load_dword v1, v[12:13], off
	v_mov_b32_e32 v40, 0
	v_mov_b32_e32 v42, 0
	s_waitcnt vmcnt(0)
	v_mad_i64_i32 v[14:15], null, v1, s49, s[38:39]
	v_add_co_u32 v16, s0, v14, v30
	v_add_co_ci_u32_e64 v17, null, 0, v15, s0
	global_load_dwordx2 v[18:19], v[16:17], off
	ds_read2_b64 v[5:8], v31 offset1:1
	ds_read2_b64 v[1:4], v31 offset0:2 offset1:3
	s_load_dword s52, s[30:31], 0x0
	s_waitcnt vmcnt(0)
	v_cmp_ne_u16_sdwa s0, v18, v11 src0_sel:BYTE_0 src1_sel:DWORD
	s_and_saveexec_b32 s1, s0
	s_cbranch_execz .LBB336_290
; %bb.285:                              ;   in Loop: Header=BB336_283 Depth=1
	v_cmp_ne_u16_sdwa s0, v18, v32 src0_sel:BYTE_0 src1_sel:DWORD
	v_bfrev_b32_e32 v42, 1
	s_and_saveexec_b32 s2, s0
	s_cbranch_execz .LBB336_289
; %bb.286:                              ;   in Loop: Header=BB336_283 Depth=1
	v_and_b32_e32 v10, 0x7f, v18
	v_mov_b32_e32 v42, 0x7f800001
	s_mov_b32 s3, exec_lo
	v_cmpx_ne_u32_e32 0x7f, v10
	s_cbranch_execz .LBB336_288
; %bb.287:                              ;   in Loop: Header=BB336_283 Depth=1
	v_and_b32_e32 v20, 7, v18
	v_lshrrev_b32_e32 v21, 3, v10
	v_cmp_gt_u32_e64 s0, 8, v10
	v_ffbh_u32_e32 v20, v20
	v_min_u32_e32 v20, 32, v20
	v_subrev_nc_u32_e32 v39, 28, v20
	v_sub_nc_u32_e32 v20, 29, v20
	v_cndmask_b32_e64 v10, v21, v20, s0
	v_cndmask_b32_e64 v20, 0, v39, s0
	v_lshl_add_u32 v10, v10, 23, 0x3c000000
	v_lshlrev_b64 v[20:21], v20, v[18:19]
	v_lshlrev_b32_e32 v21, 24, v18
	v_lshlrev_b32_e32 v20, 20, v20
	v_and_b32_e32 v21, 0x80000000, v21
	v_and_b32_e32 v20, 0x700000, v20
	v_or3_b32 v42, v20, v21, v10
.LBB336_288:                            ;   in Loop: Header=BB336_283 Depth=1
	s_or_b32 exec_lo, exec_lo, s3
.LBB336_289:                            ;   in Loop: Header=BB336_283 Depth=1
	s_or_b32 exec_lo, exec_lo, s2
.LBB336_290:                            ;   in Loop: Header=BB336_283 Depth=1
	s_or_b32 exec_lo, exec_lo, s1
	v_cmp_ne_u16_sdwa s0, v18, v11 src0_sel:BYTE_1 src1_sel:DWORD
	s_and_saveexec_b32 s1, s0
	s_cbranch_execz .LBB336_298
; %bb.291:                              ;   in Loop: Header=BB336_283 Depth=1
	v_cmp_ne_u16_sdwa s0, v18, v32 src0_sel:BYTE_1 src1_sel:DWORD
	v_bfrev_b32_e32 v40, 1
	s_and_saveexec_b32 s2, s0
	s_cbranch_execz .LBB336_297
; %bb.292:                              ;   in Loop: Header=BB336_283 Depth=1
	v_and_b32_sdwa v10, v33, v18 dst_sel:DWORD dst_unused:UNUSED_PAD src0_sel:DWORD src1_sel:BYTE_1
	v_mov_b32_e32 v40, 0x7f800001
	s_mov_b32 s3, exec_lo
	v_and_b32_e32 v21, 0x7f, v10
	v_cmpx_ne_u32_e32 0x7f, v21
	s_cbranch_execz .LBB336_296
; %bb.293:                              ;   in Loop: Header=BB336_283 Depth=1
	v_and_b32_e32 v10, 7, v10
	v_lshrrev_b32_e32 v20, 3, v21
	s_mov_b32 s4, exec_lo
	v_cmpx_gt_u32_e32 8, v21
; %bb.294:                              ;   in Loop: Header=BB336_283 Depth=1
	v_ffbh_u32_e32 v20, v10
	v_min_u32_e32 v20, 32, v20
	v_subrev_nc_u32_e32 v21, 28, v20
	v_sub_nc_u32_e32 v20, 29, v20
	v_lshlrev_b64 v[39:40], v21, v[10:11]
	v_and_b32_e32 v10, 7, v39
; %bb.295:                              ;   in Loop: Header=BB336_283 Depth=1
	s_or_b32 exec_lo, exec_lo, s4
	v_lshlrev_b32_e32 v21, 16, v18
	v_lshlrev_b32_e32 v10, 20, v10
	v_lshl_add_u32 v20, v20, 23, 0x3c000000
	v_and_b32_e32 v21, 0x80000000, v21
	v_or3_b32 v40, v10, v21, v20
.LBB336_296:                            ;   in Loop: Header=BB336_283 Depth=1
	s_or_b32 exec_lo, exec_lo, s3
.LBB336_297:                            ;   in Loop: Header=BB336_283 Depth=1
	s_or_b32 exec_lo, exec_lo, s2
.LBB336_298:                            ;   in Loop: Header=BB336_283 Depth=1
	s_or_b32 exec_lo, exec_lo, s1
	v_and_b32_sdwa v10, v18, v34 dst_sel:DWORD dst_unused:UNUSED_PAD src0_sel:WORD_1 src1_sel:DWORD
	v_mov_b32_e32 v41, 0
	v_mov_b32_e32 v39, 0
	s_mov_b32 s1, exec_lo
	v_cmpx_ne_u16_e32 0, v10
	s_cbranch_execz .LBB336_306
; %bb.299:                              ;   in Loop: Header=BB336_283 Depth=1
	v_bfrev_b32_e32 v39, 1
	s_mov_b32 s2, exec_lo
	v_cmpx_ne_u16_e32 0x80, v10
	s_cbranch_execz .LBB336_305
; %bb.300:                              ;   in Loop: Header=BB336_283 Depth=1
	v_bfe_u32 v21, v18, 16, 7
	v_mov_b32_e32 v39, 0x7f800001
	s_mov_b32 s3, exec_lo
	v_cmpx_ne_u32_e32 0x7f, v21
	s_cbranch_execz .LBB336_304
; %bb.301:                              ;   in Loop: Header=BB336_283 Depth=1
	v_and_b32_sdwa v10, v18, v35 dst_sel:DWORD dst_unused:UNUSED_PAD src0_sel:WORD_1 src1_sel:DWORD
	v_lshrrev_b32_e32 v20, 3, v21
	s_mov_b32 s4, exec_lo
	v_cmpx_gt_u32_e32 8, v21
; %bb.302:                              ;   in Loop: Header=BB336_283 Depth=1
	v_ffbh_u32_e32 v20, v10
	v_min_u32_e32 v20, 32, v20
	v_subrev_nc_u32_e32 v21, 28, v20
	v_sub_nc_u32_e32 v20, 29, v20
	v_lshlrev_b64 v[43:44], v21, v[10:11]
	v_and_b32_e32 v10, 7, v43
; %bb.303:                              ;   in Loop: Header=BB336_283 Depth=1
	s_or_b32 exec_lo, exec_lo, s4
	v_lshlrev_b32_sdwa v21, v36, v18 dst_sel:DWORD dst_unused:UNUSED_PAD src0_sel:DWORD src1_sel:WORD_1
	v_lshlrev_b32_e32 v10, 20, v10
	v_lshl_add_u32 v20, v20, 23, 0x3c000000
	v_and_b32_e32 v21, 0x80000000, v21
	v_or3_b32 v39, v10, v21, v20
.LBB336_304:                            ;   in Loop: Header=BB336_283 Depth=1
	s_or_b32 exec_lo, exec_lo, s3
.LBB336_305:                            ;   in Loop: Header=BB336_283 Depth=1
	s_or_b32 exec_lo, exec_lo, s2
.LBB336_306:                            ;   in Loop: Header=BB336_283 Depth=1
	s_or_b32 exec_lo, exec_lo, s1
	s_mov_b32 s1, exec_lo
	v_cmpx_lt_u32_e32 0xffffff, v18
	s_cbranch_execz .LBB336_314
; %bb.307:                              ;   in Loop: Header=BB336_283 Depth=1
	v_cmp_ne_u32_sdwa s0, v18, v32 src0_sel:BYTE_3 src1_sel:DWORD
	v_bfrev_b32_e32 v41, 1
	s_and_saveexec_b32 s2, s0
	s_cbranch_execz .LBB336_313
; %bb.308:                              ;   in Loop: Header=BB336_283 Depth=1
	v_bfe_u32 v21, v18, 24, 7
	v_mov_b32_e32 v41, 0x7f800001
	s_mov_b32 s3, exec_lo
	v_cmpx_ne_u32_e32 0x7f, v21
	s_cbranch_execz .LBB336_312
; %bb.309:                              ;   in Loop: Header=BB336_283 Depth=1
	v_and_b32_sdwa v10, v18, v35 dst_sel:DWORD dst_unused:UNUSED_PAD src0_sel:BYTE_3 src1_sel:DWORD
	v_lshrrev_b32_e32 v20, 3, v21
	s_mov_b32 s4, exec_lo
	v_cmpx_gt_u32_e32 8, v21
; %bb.310:                              ;   in Loop: Header=BB336_283 Depth=1
	v_ffbh_u32_e32 v20, v10
	v_min_u32_e32 v20, 32, v20
	v_subrev_nc_u32_e32 v21, 28, v20
	v_sub_nc_u32_e32 v20, 29, v20
	v_lshlrev_b64 v[43:44], v21, v[10:11]
	v_and_b32_e32 v10, 7, v43
; %bb.311:                              ;   in Loop: Header=BB336_283 Depth=1
	s_or_b32 exec_lo, exec_lo, s4
	v_lshlrev_b32_sdwa v21, v36, v18 dst_sel:DWORD dst_unused:UNUSED_PAD src0_sel:DWORD src1_sel:BYTE_3
	v_lshlrev_b32_e32 v10, 20, v10
	v_lshl_add_u32 v20, v20, 23, 0x3c000000
	v_and_b32_e32 v21, 0x80000000, v21
	v_or3_b32 v41, v10, v21, v20
.LBB336_312:                            ;   in Loop: Header=BB336_283 Depth=1
	s_or_b32 exec_lo, exec_lo, s3
.LBB336_313:                            ;   in Loop: Header=BB336_283 Depth=1
	s_or_b32 exec_lo, exec_lo, s2
.LBB336_314:                            ;   in Loop: Header=BB336_283 Depth=1
	s_or_b32 exec_lo, exec_lo, s1
	v_mov_b32_e32 v10, v19
	v_cmp_ne_u16_sdwa s0, v19, v11 src0_sel:BYTE_0 src1_sel:DWORD
	v_mov_b32_e32 v20, 0
	v_mov_b32_e32 v43, 0
	s_and_saveexec_b32 s1, s0
	s_cbranch_execz .LBB336_320
; %bb.315:                              ;   in Loop: Header=BB336_283 Depth=1
	v_cmp_ne_u16_sdwa s0, v19, v32 src0_sel:BYTE_0 src1_sel:DWORD
	v_bfrev_b32_e32 v43, 1
	s_and_saveexec_b32 s2, s0
	s_cbranch_execz .LBB336_319
; %bb.316:                              ;   in Loop: Header=BB336_283 Depth=1
	v_and_b32_e32 v21, 0x7f, v19
	v_mov_b32_e32 v43, 0x7f800001
	s_mov_b32 s3, exec_lo
	v_cmpx_ne_u32_e32 0x7f, v21
	s_cbranch_execz .LBB336_318
; %bb.317:                              ;   in Loop: Header=BB336_283 Depth=1
	v_and_b32_e32 v43, 7, v19
	v_lshrrev_b32_e32 v44, 3, v21
	v_cmp_gt_u32_e64 s0, 8, v21
	v_ffbh_u32_e32 v43, v43
	v_min_u32_e32 v43, 32, v43
	v_subrev_nc_u32_e32 v45, 28, v43
	v_sub_nc_u32_e32 v43, 29, v43
	v_cndmask_b32_e64 v21, v44, v43, s0
	v_cndmask_b32_e64 v43, 0, v45, s0
	v_lshl_add_u32 v21, v21, 23, 0x3c000000
	v_lshlrev_b64 v[43:44], v43, v[10:11]
	v_lshlrev_b32_e32 v44, 24, v10
	v_lshlrev_b32_e32 v43, 20, v43
	v_and_b32_e32 v44, 0x80000000, v44
	v_and_b32_e32 v43, 0x700000, v43
	v_or3_b32 v43, v43, v44, v21
.LBB336_318:                            ;   in Loop: Header=BB336_283 Depth=1
	s_or_b32 exec_lo, exec_lo, s3
.LBB336_319:                            ;   in Loop: Header=BB336_283 Depth=1
	s_or_b32 exec_lo, exec_lo, s2
.LBB336_320:                            ;   in Loop: Header=BB336_283 Depth=1
	s_or_b32 exec_lo, exec_lo, s1
	v_cmp_ne_u16_sdwa s0, v10, v11 src0_sel:BYTE_1 src1_sel:DWORD
	s_and_saveexec_b32 s1, s0
	s_cbranch_execz .LBB336_328
; %bb.321:                              ;   in Loop: Header=BB336_283 Depth=1
	v_cmp_ne_u16_sdwa s0, v10, v32 src0_sel:BYTE_1 src1_sel:DWORD
	v_bfrev_b32_e32 v20, 1
	s_and_saveexec_b32 s2, s0
	s_cbranch_execz .LBB336_327
; %bb.322:                              ;   in Loop: Header=BB336_283 Depth=1
	v_and_b32_sdwa v21, v33, v10 dst_sel:DWORD dst_unused:UNUSED_PAD src0_sel:DWORD src1_sel:BYTE_1
	v_mov_b32_e32 v20, 0x7f800001
	s_mov_b32 s3, exec_lo
	v_and_b32_e32 v45, 0x7f, v21
	v_cmpx_ne_u32_e32 0x7f, v45
	s_cbranch_execz .LBB336_326
; %bb.323:                              ;   in Loop: Header=BB336_283 Depth=1
	v_and_b32_e32 v20, 7, v21
	v_mov_b32_e32 v21, v11
	v_lshrrev_b32_e32 v44, 3, v45
	s_mov_b32 s4, exec_lo
	v_cmpx_gt_u32_e32 8, v45
; %bb.324:                              ;   in Loop: Header=BB336_283 Depth=1
	v_ffbh_u32_e32 v44, v20
	v_min_u32_e32 v44, 32, v44
	v_subrev_nc_u32_e32 v45, 28, v44
	v_sub_nc_u32_e32 v44, 29, v44
	v_lshlrev_b64 v[20:21], v45, v[20:21]
	v_and_b32_e32 v20, 7, v20
; %bb.325:                              ;   in Loop: Header=BB336_283 Depth=1
	s_or_b32 exec_lo, exec_lo, s4
	v_lshlrev_b32_e32 v10, 16, v10
	v_lshlrev_b32_e32 v20, 20, v20
	v_lshl_add_u32 v21, v44, 23, 0x3c000000
	v_and_b32_e32 v10, 0x80000000, v10
	v_or3_b32 v20, v20, v10, v21
.LBB336_326:                            ;   in Loop: Header=BB336_283 Depth=1
	s_or_b32 exec_lo, exec_lo, s3
.LBB336_327:                            ;   in Loop: Header=BB336_283 Depth=1
	s_or_b32 exec_lo, exec_lo, s2
.LBB336_328:                            ;   in Loop: Header=BB336_283 Depth=1
	s_or_b32 exec_lo, exec_lo, s1
	v_and_b32_sdwa v10, v19, v34 dst_sel:DWORD dst_unused:UNUSED_PAD src0_sel:WORD_1 src1_sel:DWORD
	v_mov_b32_e32 v21, 0
	v_mov_b32_e32 v44, 0
	s_mov_b32 s1, exec_lo
	v_cmpx_ne_u16_e32 0, v10
	s_cbranch_execz .LBB336_336
; %bb.329:                              ;   in Loop: Header=BB336_283 Depth=1
	v_bfrev_b32_e32 v44, 1
	s_mov_b32 s2, exec_lo
	v_cmpx_ne_u16_e32 0x80, v10
	s_cbranch_execz .LBB336_335
; %bb.330:                              ;   in Loop: Header=BB336_283 Depth=1
	v_bfe_u32 v45, v19, 16, 7
	v_mov_b32_e32 v44, 0x7f800001
	s_mov_b32 s3, exec_lo
	v_cmpx_ne_u32_e32 0x7f, v45
	s_cbranch_execz .LBB336_334
; %bb.331:                              ;   in Loop: Header=BB336_283 Depth=1
	v_and_b32_sdwa v10, v19, v35 dst_sel:DWORD dst_unused:UNUSED_PAD src0_sel:WORD_1 src1_sel:DWORD
	v_lshrrev_b32_e32 v44, 3, v45
	s_mov_b32 s4, exec_lo
	v_cmpx_gt_u32_e32 8, v45
; %bb.332:                              ;   in Loop: Header=BB336_283 Depth=1
	v_ffbh_u32_e32 v44, v10
	v_min_u32_e32 v44, 32, v44
	v_subrev_nc_u32_e32 v45, 28, v44
	v_sub_nc_u32_e32 v44, 29, v44
	v_lshlrev_b64 v[45:46], v45, v[10:11]
	v_and_b32_e32 v10, 7, v45
; %bb.333:                              ;   in Loop: Header=BB336_283 Depth=1
	s_or_b32 exec_lo, exec_lo, s4
	v_lshlrev_b32_sdwa v45, v36, v19 dst_sel:DWORD dst_unused:UNUSED_PAD src0_sel:DWORD src1_sel:WORD_1
	v_lshlrev_b32_e32 v10, 20, v10
	v_lshl_add_u32 v44, v44, 23, 0x3c000000
	v_and_b32_e32 v45, 0x80000000, v45
	v_or3_b32 v44, v10, v45, v44
.LBB336_334:                            ;   in Loop: Header=BB336_283 Depth=1
	s_or_b32 exec_lo, exec_lo, s3
.LBB336_335:                            ;   in Loop: Header=BB336_283 Depth=1
	s_or_b32 exec_lo, exec_lo, s2
.LBB336_336:                            ;   in Loop: Header=BB336_283 Depth=1
	s_or_b32 exec_lo, exec_lo, s1
	s_mov_b32 s1, exec_lo
	v_cmpx_lt_u64_e64 s[40:41], v[18:19]
	s_cbranch_execz .LBB336_344
; %bb.337:                              ;   in Loop: Header=BB336_283 Depth=1
	v_cmp_ne_u32_sdwa s0, v19, v32 src0_sel:BYTE_3 src1_sel:DWORD
	v_bfrev_b32_e32 v21, 1
	s_and_saveexec_b32 s2, s0
	s_cbranch_execz .LBB336_343
; %bb.338:                              ;   in Loop: Header=BB336_283 Depth=1
	v_bfe_u32 v45, v19, 24, 7
	v_mov_b32_e32 v21, 0x7f800001
	s_mov_b32 s3, exec_lo
	v_cmpx_ne_u32_e32 0x7f, v45
	s_cbranch_execz .LBB336_342
; %bb.339:                              ;   in Loop: Header=BB336_283 Depth=1
	v_and_b32_sdwa v10, v19, v35 dst_sel:DWORD dst_unused:UNUSED_PAD src0_sel:BYTE_3 src1_sel:DWORD
	v_lshrrev_b32_e32 v18, 3, v45
	s_mov_b32 s4, exec_lo
	v_cmpx_gt_u32_e32 8, v45
; %bb.340:                              ;   in Loop: Header=BB336_283 Depth=1
	v_ffbh_u32_e32 v18, v10
	v_min_u32_e32 v18, 32, v18
	v_subrev_nc_u32_e32 v21, 28, v18
	v_sub_nc_u32_e32 v18, 29, v18
	v_lshlrev_b64 v[45:46], v21, v[10:11]
	v_and_b32_e32 v10, 7, v45
; %bb.341:                              ;   in Loop: Header=BB336_283 Depth=1
	s_or_b32 exec_lo, exec_lo, s4
	v_lshlrev_b32_sdwa v19, v36, v19 dst_sel:DWORD dst_unused:UNUSED_PAD src0_sel:DWORD src1_sel:BYTE_3
	v_lshlrev_b32_e32 v10, 20, v10
	v_lshl_add_u32 v18, v18, 23, 0x3c000000
	v_and_b32_e32 v19, 0x80000000, v19
	v_or3_b32 v21, v10, v19, v18
.LBB336_342:                            ;   in Loop: Header=BB336_283 Depth=1
	s_or_b32 exec_lo, exec_lo, s3
.LBB336_343:                            ;   in Loop: Header=BB336_283 Depth=1
	s_or_b32 exec_lo, exec_lo, s2
.LBB336_344:                            ;   in Loop: Header=BB336_283 Depth=1
	s_or_b32 exec_lo, exec_lo, s1
	s_waitcnt lgkmcnt(0)
	v_mul_f32_e32 v10, s52, v20
	v_mul_f32_e32 v18, s52, v43
	;; [unrolled: 1-line block ×5, first 2 shown]
	v_bfe_u32 v20, v10, 16, 1
	v_or_b32_e32 v39, 0x400000, v10
	v_bfe_u32 v41, v18, 16, 1
	v_cmp_u_f32_e64 s1, v10, v10
	v_or_b32_e32 v45, 0x400000, v18
	v_add3_u32 v20, v20, v10, 0x7fff
	v_bfe_u32 v46, v19, 16, 1
	v_add3_u32 v41, v41, v18, 0x7fff
	v_or_b32_e32 v47, 0x400000, v19
	v_cmp_eq_u32_e64 s0, s50, v9
	v_cndmask_b32_e64 v10, v20, v39, s1
	v_cmp_u_f32_e64 s1, v18, v18
	v_bfe_u32 v20, v43, 16, 1
	v_add3_u32 v46, v46, v19, 0x7fff
	v_lshrrev_b32_e32 v39, 16, v10
	v_cndmask_b32_e64 v18, v41, v45, s1
	v_cmp_u_f32_e64 s1, v19, v19
	v_mul_f32_e32 v19, s52, v40
	v_add3_u32 v20, v20, v43, 0x7fff
	v_or_b32_e32 v45, 0x400000, v43
	v_lshrrev_b32_e32 v40, 16, v18
	v_cndmask_b32_e64 v10, v46, v47, s1
	v_cmp_u_f32_e64 s1, v43, v43
	v_or_b32_e32 v43, 0x400000, v19
	v_or_b32_e32 v47, 0x400000, v21
	v_lshrrev_b32_e32 v41, 16, v10
	v_bfe_u32 v10, v19, 16, 1
	v_cndmask_b32_e64 v18, v20, v45, s1
	v_mul_f32_e32 v20, s52, v42
	v_mul_f32_e32 v42, s52, v44
	v_cmp_u_f32_e64 s1, v19, v19
	v_add3_u32 v10, v10, v19, 0x7fff
	v_bfe_u32 v19, v21, 16, 1
	v_bfe_u32 v44, v20, 16, 1
	;; [unrolled: 1-line block ×3, first 2 shown]
	v_or_b32_e32 v46, 0x400000, v42
	v_cndmask_b32_e64 v10, v10, v43, s1
	v_cmp_u_f32_e64 s1, v20, v20
	v_add3_u32 v43, v44, v20, 0x7fff
	v_or_b32_e32 v44, 0x400000, v20
	v_add3_u32 v45, v45, v42, 0x7fff
	v_add3_u32 v19, v19, v21, 0x7fff
	v_cndmask_b32_e64 v20, v43, v44, s1
	v_cmp_u_f32_e64 s1, v42, v42
	v_lshrrev_b32_e32 v44, 16, v18
	v_cndmask_b32_e64 v42, v45, v46, s1
	v_cmp_u_f32_e64 s1, v21, v21
	v_lshrrev_b32_e32 v46, 16, v10
	v_lshrrev_b32_e32 v45, 16, v20
	;; [unrolled: 1-line block ×3, first 2 shown]
	v_cndmask_b32_e64 v19, v19, v47, s1
	v_lshrrev_b32_e32 v43, 16, v19
	s_and_saveexec_b32 s2, s0
	s_cbranch_execz .LBB336_346
; %bb.345:                              ;   in Loop: Header=BB336_283 Depth=1
	v_add_nc_u32_e32 v10, 1, v26
	v_cmp_gt_i32_e64 s1, s33, v26
	v_add_nc_u32_e32 v18, 2, v26
	v_add_nc_u32_e32 v19, 3, v26
	v_cndmask_b32_e64 v45, 0, v45, s1
	v_cmp_gt_i32_e64 s1, s33, v10
	v_add_nc_u32_e32 v10, 4, v26
	v_cndmask_b32_e64 v46, 0, v46, s1
	v_cmp_gt_i32_e64 s1, s33, v18
	;; [unrolled: 3-line block ×5, first 2 shown]
	v_cndmask_b32_e64 v39, 0, v39, s1
	v_cmp_gt_i32_e64 s1, s33, v19
	v_cndmask_b32_e64 v42, 0, v42, s1
	v_cmp_gt_i32_e64 s1, s33, v10
	v_cndmask_b32_e64 v43, 0, v43, s1
.LBB336_346:                            ;   in Loop: Header=BB336_283 Depth=1
	s_or_b32 exec_lo, exec_lo, s2
	global_load_dwordx2 v[18:19], v[16:17], off offset:256
	v_mov_b32_e32 v47, 0
	v_mov_b32_e32 v48, 0
	s_waitcnt vmcnt(0)
	v_cmp_ne_u16_sdwa s1, v18, v11 src0_sel:BYTE_0 src1_sel:DWORD
	s_and_saveexec_b32 s2, s1
	s_cbranch_execz .LBB336_352
; %bb.347:                              ;   in Loop: Header=BB336_283 Depth=1
	v_cmp_ne_u16_sdwa s1, v18, v32 src0_sel:BYTE_0 src1_sel:DWORD
	v_bfrev_b32_e32 v48, 1
	s_and_saveexec_b32 s3, s1
	s_cbranch_execz .LBB336_351
; %bb.348:                              ;   in Loop: Header=BB336_283 Depth=1
	v_and_b32_e32 v10, 0x7f, v18
	v_mov_b32_e32 v48, 0x7f800001
	s_mov_b32 s4, exec_lo
	v_cmpx_ne_u32_e32 0x7f, v10
	s_cbranch_execz .LBB336_350
; %bb.349:                              ;   in Loop: Header=BB336_283 Depth=1
	v_and_b32_e32 v20, 7, v18
	v_lshrrev_b32_e32 v21, 3, v10
	v_cmp_gt_u32_e64 s1, 8, v10
	v_ffbh_u32_e32 v20, v20
	v_min_u32_e32 v20, 32, v20
	v_subrev_nc_u32_e32 v48, 28, v20
	v_sub_nc_u32_e32 v20, 29, v20
	v_cndmask_b32_e64 v10, v21, v20, s1
	v_cndmask_b32_e64 v20, 0, v48, s1
	v_lshl_add_u32 v10, v10, 23, 0x3c000000
	v_lshlrev_b64 v[20:21], v20, v[18:19]
	v_lshlrev_b32_e32 v21, 24, v18
	v_lshlrev_b32_e32 v20, 20, v20
	v_and_b32_e32 v21, 0x80000000, v21
	v_and_b32_e32 v20, 0x700000, v20
	v_or3_b32 v48, v20, v21, v10
.LBB336_350:                            ;   in Loop: Header=BB336_283 Depth=1
	s_or_b32 exec_lo, exec_lo, s4
.LBB336_351:                            ;   in Loop: Header=BB336_283 Depth=1
	s_or_b32 exec_lo, exec_lo, s3
.LBB336_352:                            ;   in Loop: Header=BB336_283 Depth=1
	s_or_b32 exec_lo, exec_lo, s2
	v_cmp_ne_u16_sdwa s1, v18, v11 src0_sel:BYTE_1 src1_sel:DWORD
	s_and_saveexec_b32 s2, s1
	s_cbranch_execz .LBB336_360
; %bb.353:                              ;   in Loop: Header=BB336_283 Depth=1
	v_cmp_ne_u16_sdwa s1, v18, v32 src0_sel:BYTE_1 src1_sel:DWORD
	v_bfrev_b32_e32 v47, 1
	s_and_saveexec_b32 s3, s1
	s_cbranch_execz .LBB336_359
; %bb.354:                              ;   in Loop: Header=BB336_283 Depth=1
	v_and_b32_sdwa v10, v33, v18 dst_sel:DWORD dst_unused:UNUSED_PAD src0_sel:DWORD src1_sel:BYTE_1
	v_mov_b32_e32 v47, 0x7f800001
	s_mov_b32 s4, exec_lo
	v_and_b32_e32 v21, 0x7f, v10
	v_cmpx_ne_u32_e32 0x7f, v21
	s_cbranch_execz .LBB336_358
; %bb.355:                              ;   in Loop: Header=BB336_283 Depth=1
	v_and_b32_e32 v10, 7, v10
	v_lshrrev_b32_e32 v20, 3, v21
	s_mov_b32 s5, exec_lo
	v_cmpx_gt_u32_e32 8, v21
; %bb.356:                              ;   in Loop: Header=BB336_283 Depth=1
	v_ffbh_u32_e32 v20, v10
	v_min_u32_e32 v20, 32, v20
	v_subrev_nc_u32_e32 v21, 28, v20
	v_sub_nc_u32_e32 v20, 29, v20
	v_lshlrev_b64 v[49:50], v21, v[10:11]
	v_and_b32_e32 v10, 7, v49
; %bb.357:                              ;   in Loop: Header=BB336_283 Depth=1
	s_or_b32 exec_lo, exec_lo, s5
	v_lshlrev_b32_e32 v21, 16, v18
	v_lshlrev_b32_e32 v10, 20, v10
	v_lshl_add_u32 v20, v20, 23, 0x3c000000
	v_and_b32_e32 v21, 0x80000000, v21
	v_or3_b32 v47, v10, v21, v20
.LBB336_358:                            ;   in Loop: Header=BB336_283 Depth=1
	s_or_b32 exec_lo, exec_lo, s4
.LBB336_359:                            ;   in Loop: Header=BB336_283 Depth=1
	s_or_b32 exec_lo, exec_lo, s3
.LBB336_360:                            ;   in Loop: Header=BB336_283 Depth=1
	s_or_b32 exec_lo, exec_lo, s2
	v_and_b32_sdwa v10, v18, v34 dst_sel:DWORD dst_unused:UNUSED_PAD src0_sel:WORD_1 src1_sel:DWORD
	v_mov_b32_e32 v50, 0
	v_mov_b32_e32 v49, 0
	s_mov_b32 s2, exec_lo
	v_cmpx_ne_u16_e32 0, v10
	s_cbranch_execz .LBB336_368
; %bb.361:                              ;   in Loop: Header=BB336_283 Depth=1
	v_bfrev_b32_e32 v49, 1
	s_mov_b32 s3, exec_lo
	v_cmpx_ne_u16_e32 0x80, v10
	s_cbranch_execz .LBB336_367
; %bb.362:                              ;   in Loop: Header=BB336_283 Depth=1
	v_bfe_u32 v21, v18, 16, 7
	v_mov_b32_e32 v49, 0x7f800001
	s_mov_b32 s4, exec_lo
	v_cmpx_ne_u32_e32 0x7f, v21
	s_cbranch_execz .LBB336_366
; %bb.363:                              ;   in Loop: Header=BB336_283 Depth=1
	v_and_b32_sdwa v10, v18, v35 dst_sel:DWORD dst_unused:UNUSED_PAD src0_sel:WORD_1 src1_sel:DWORD
	v_lshrrev_b32_e32 v20, 3, v21
	s_mov_b32 s5, exec_lo
	v_cmpx_gt_u32_e32 8, v21
; %bb.364:                              ;   in Loop: Header=BB336_283 Depth=1
	v_ffbh_u32_e32 v20, v10
	v_min_u32_e32 v20, 32, v20
	v_subrev_nc_u32_e32 v21, 28, v20
	v_sub_nc_u32_e32 v20, 29, v20
	v_lshlrev_b64 v[51:52], v21, v[10:11]
	v_and_b32_e32 v10, 7, v51
; %bb.365:                              ;   in Loop: Header=BB336_283 Depth=1
	s_or_b32 exec_lo, exec_lo, s5
	v_lshlrev_b32_sdwa v21, v36, v18 dst_sel:DWORD dst_unused:UNUSED_PAD src0_sel:DWORD src1_sel:WORD_1
	v_lshlrev_b32_e32 v10, 20, v10
	v_lshl_add_u32 v20, v20, 23, 0x3c000000
	v_and_b32_e32 v21, 0x80000000, v21
	v_or3_b32 v49, v10, v21, v20
.LBB336_366:                            ;   in Loop: Header=BB336_283 Depth=1
	s_or_b32 exec_lo, exec_lo, s4
.LBB336_367:                            ;   in Loop: Header=BB336_283 Depth=1
	s_or_b32 exec_lo, exec_lo, s3
.LBB336_368:                            ;   in Loop: Header=BB336_283 Depth=1
	s_or_b32 exec_lo, exec_lo, s2
	s_mov_b32 s2, exec_lo
	v_cmpx_lt_u32_e32 0xffffff, v18
	s_cbranch_execz .LBB336_376
; %bb.369:                              ;   in Loop: Header=BB336_283 Depth=1
	v_cmp_ne_u32_sdwa s1, v18, v32 src0_sel:BYTE_3 src1_sel:DWORD
	v_bfrev_b32_e32 v50, 1
	s_and_saveexec_b32 s3, s1
	s_cbranch_execz .LBB336_375
; %bb.370:                              ;   in Loop: Header=BB336_283 Depth=1
	v_bfe_u32 v21, v18, 24, 7
	v_mov_b32_e32 v50, 0x7f800001
	s_mov_b32 s4, exec_lo
	v_cmpx_ne_u32_e32 0x7f, v21
	s_cbranch_execz .LBB336_374
; %bb.371:                              ;   in Loop: Header=BB336_283 Depth=1
	v_and_b32_sdwa v10, v18, v35 dst_sel:DWORD dst_unused:UNUSED_PAD src0_sel:BYTE_3 src1_sel:DWORD
	v_lshrrev_b32_e32 v20, 3, v21
	s_mov_b32 s5, exec_lo
	v_cmpx_gt_u32_e32 8, v21
; %bb.372:                              ;   in Loop: Header=BB336_283 Depth=1
	v_ffbh_u32_e32 v20, v10
	v_min_u32_e32 v20, 32, v20
	v_subrev_nc_u32_e32 v21, 28, v20
	v_sub_nc_u32_e32 v20, 29, v20
	v_lshlrev_b64 v[50:51], v21, v[10:11]
	v_and_b32_e32 v10, 7, v50
; %bb.373:                              ;   in Loop: Header=BB336_283 Depth=1
	s_or_b32 exec_lo, exec_lo, s5
	v_lshlrev_b32_sdwa v21, v36, v18 dst_sel:DWORD dst_unused:UNUSED_PAD src0_sel:DWORD src1_sel:BYTE_3
	v_lshlrev_b32_e32 v10, 20, v10
	v_lshl_add_u32 v20, v20, 23, 0x3c000000
	v_and_b32_e32 v21, 0x80000000, v21
	v_or3_b32 v50, v10, v21, v20
.LBB336_374:                            ;   in Loop: Header=BB336_283 Depth=1
	s_or_b32 exec_lo, exec_lo, s4
.LBB336_375:                            ;   in Loop: Header=BB336_283 Depth=1
	s_or_b32 exec_lo, exec_lo, s3
.LBB336_376:                            ;   in Loop: Header=BB336_283 Depth=1
	s_or_b32 exec_lo, exec_lo, s2
	v_mov_b32_e32 v10, v19
	v_cmp_ne_u16_sdwa s1, v19, v11 src0_sel:BYTE_0 src1_sel:DWORD
	v_mov_b32_e32 v20, 0
	v_mov_b32_e32 v51, 0
	s_and_saveexec_b32 s2, s1
	s_cbranch_execz .LBB336_382
; %bb.377:                              ;   in Loop: Header=BB336_283 Depth=1
	v_cmp_ne_u16_sdwa s1, v19, v32 src0_sel:BYTE_0 src1_sel:DWORD
	v_bfrev_b32_e32 v51, 1
	s_and_saveexec_b32 s3, s1
	s_cbranch_execz .LBB336_381
; %bb.378:                              ;   in Loop: Header=BB336_283 Depth=1
	v_and_b32_e32 v21, 0x7f, v19
	v_mov_b32_e32 v51, 0x7f800001
	s_mov_b32 s4, exec_lo
	v_cmpx_ne_u32_e32 0x7f, v21
	s_cbranch_execz .LBB336_380
; %bb.379:                              ;   in Loop: Header=BB336_283 Depth=1
	v_and_b32_e32 v51, 7, v19
	v_lshrrev_b32_e32 v52, 3, v21
	v_cmp_gt_u32_e64 s1, 8, v21
	v_ffbh_u32_e32 v51, v51
	v_min_u32_e32 v51, 32, v51
	v_subrev_nc_u32_e32 v53, 28, v51
	v_sub_nc_u32_e32 v51, 29, v51
	v_cndmask_b32_e64 v21, v52, v51, s1
	v_cndmask_b32_e64 v51, 0, v53, s1
	v_lshl_add_u32 v21, v21, 23, 0x3c000000
	v_lshlrev_b64 v[51:52], v51, v[10:11]
	v_lshlrev_b32_e32 v52, 24, v10
	v_lshlrev_b32_e32 v51, 20, v51
	v_and_b32_e32 v52, 0x80000000, v52
	v_and_b32_e32 v51, 0x700000, v51
	v_or3_b32 v51, v51, v52, v21
.LBB336_380:                            ;   in Loop: Header=BB336_283 Depth=1
	s_or_b32 exec_lo, exec_lo, s4
.LBB336_381:                            ;   in Loop: Header=BB336_283 Depth=1
	s_or_b32 exec_lo, exec_lo, s3
.LBB336_382:                            ;   in Loop: Header=BB336_283 Depth=1
	s_or_b32 exec_lo, exec_lo, s2
	v_cmp_ne_u16_sdwa s1, v10, v11 src0_sel:BYTE_1 src1_sel:DWORD
	s_and_saveexec_b32 s2, s1
	s_cbranch_execz .LBB336_390
; %bb.383:                              ;   in Loop: Header=BB336_283 Depth=1
	v_cmp_ne_u16_sdwa s1, v10, v32 src0_sel:BYTE_1 src1_sel:DWORD
	v_bfrev_b32_e32 v20, 1
	s_and_saveexec_b32 s3, s1
	s_cbranch_execz .LBB336_389
; %bb.384:                              ;   in Loop: Header=BB336_283 Depth=1
	v_and_b32_sdwa v21, v33, v10 dst_sel:DWORD dst_unused:UNUSED_PAD src0_sel:DWORD src1_sel:BYTE_1
	v_mov_b32_e32 v20, 0x7f800001
	s_mov_b32 s4, exec_lo
	v_and_b32_e32 v53, 0x7f, v21
	v_cmpx_ne_u32_e32 0x7f, v53
	s_cbranch_execz .LBB336_388
; %bb.385:                              ;   in Loop: Header=BB336_283 Depth=1
	v_and_b32_e32 v20, 7, v21
	v_mov_b32_e32 v21, v11
	v_lshrrev_b32_e32 v52, 3, v53
	s_mov_b32 s5, exec_lo
	v_cmpx_gt_u32_e32 8, v53
; %bb.386:                              ;   in Loop: Header=BB336_283 Depth=1
	v_ffbh_u32_e32 v52, v20
	v_min_u32_e32 v52, 32, v52
	v_subrev_nc_u32_e32 v53, 28, v52
	v_sub_nc_u32_e32 v52, 29, v52
	v_lshlrev_b64 v[20:21], v53, v[20:21]
	v_and_b32_e32 v20, 7, v20
; %bb.387:                              ;   in Loop: Header=BB336_283 Depth=1
	s_or_b32 exec_lo, exec_lo, s5
	v_lshlrev_b32_e32 v10, 16, v10
	v_lshlrev_b32_e32 v20, 20, v20
	v_lshl_add_u32 v21, v52, 23, 0x3c000000
	v_and_b32_e32 v10, 0x80000000, v10
	v_or3_b32 v20, v20, v10, v21
.LBB336_388:                            ;   in Loop: Header=BB336_283 Depth=1
	s_or_b32 exec_lo, exec_lo, s4
.LBB336_389:                            ;   in Loop: Header=BB336_283 Depth=1
	s_or_b32 exec_lo, exec_lo, s3
.LBB336_390:                            ;   in Loop: Header=BB336_283 Depth=1
	s_or_b32 exec_lo, exec_lo, s2
	v_and_b32_sdwa v10, v19, v34 dst_sel:DWORD dst_unused:UNUSED_PAD src0_sel:WORD_1 src1_sel:DWORD
	v_mov_b32_e32 v52, 0
	v_mov_b32_e32 v53, 0
	s_mov_b32 s2, exec_lo
	v_cmpx_ne_u16_e32 0, v10
	s_cbranch_execz .LBB336_398
; %bb.391:                              ;   in Loop: Header=BB336_283 Depth=1
	v_bfrev_b32_e32 v53, 1
	s_mov_b32 s3, exec_lo
	v_cmpx_ne_u16_e32 0x80, v10
	s_cbranch_execz .LBB336_397
; %bb.392:                              ;   in Loop: Header=BB336_283 Depth=1
	v_bfe_u32 v54, v19, 16, 7
	v_mov_b32_e32 v53, 0x7f800001
	s_mov_b32 s4, exec_lo
	v_cmpx_ne_u32_e32 0x7f, v54
	s_cbranch_execz .LBB336_396
; %bb.393:                              ;   in Loop: Header=BB336_283 Depth=1
	v_and_b32_sdwa v10, v19, v35 dst_sel:DWORD dst_unused:UNUSED_PAD src0_sel:WORD_1 src1_sel:DWORD
	v_lshrrev_b32_e32 v21, 3, v54
	s_mov_b32 s5, exec_lo
	v_cmpx_gt_u32_e32 8, v54
; %bb.394:                              ;   in Loop: Header=BB336_283 Depth=1
	v_ffbh_u32_e32 v21, v10
	v_min_u32_e32 v21, 32, v21
	v_subrev_nc_u32_e32 v53, 28, v21
	v_sub_nc_u32_e32 v21, 29, v21
	v_lshlrev_b64 v[53:54], v53, v[10:11]
	v_and_b32_e32 v10, 7, v53
; %bb.395:                              ;   in Loop: Header=BB336_283 Depth=1
	s_or_b32 exec_lo, exec_lo, s5
	v_lshlrev_b32_sdwa v53, v36, v19 dst_sel:DWORD dst_unused:UNUSED_PAD src0_sel:DWORD src1_sel:WORD_1
	v_lshlrev_b32_e32 v10, 20, v10
	v_lshl_add_u32 v21, v21, 23, 0x3c000000
	v_and_b32_e32 v53, 0x80000000, v53
	v_or3_b32 v53, v10, v53, v21
.LBB336_396:                            ;   in Loop: Header=BB336_283 Depth=1
	s_or_b32 exec_lo, exec_lo, s4
.LBB336_397:                            ;   in Loop: Header=BB336_283 Depth=1
	s_or_b32 exec_lo, exec_lo, s3
.LBB336_398:                            ;   in Loop: Header=BB336_283 Depth=1
	s_or_b32 exec_lo, exec_lo, s2
	s_mov_b32 s2, exec_lo
	v_cmpx_lt_u64_e64 s[40:41], v[18:19]
	s_cbranch_execz .LBB336_406
; %bb.399:                              ;   in Loop: Header=BB336_283 Depth=1
	v_cmp_ne_u32_sdwa s1, v19, v32 src0_sel:BYTE_3 src1_sel:DWORD
	v_bfrev_b32_e32 v52, 1
	s_and_saveexec_b32 s3, s1
	s_cbranch_execz .LBB336_405
; %bb.400:                              ;   in Loop: Header=BB336_283 Depth=1
	v_bfe_u32 v21, v19, 24, 7
	v_mov_b32_e32 v52, 0x7f800001
	s_mov_b32 s4, exec_lo
	v_cmpx_ne_u32_e32 0x7f, v21
	s_cbranch_execz .LBB336_404
; %bb.401:                              ;   in Loop: Header=BB336_283 Depth=1
	v_and_b32_sdwa v10, v19, v35 dst_sel:DWORD dst_unused:UNUSED_PAD src0_sel:BYTE_3 src1_sel:DWORD
	v_lshrrev_b32_e32 v18, 3, v21
	s_mov_b32 s5, exec_lo
	v_cmpx_gt_u32_e32 8, v21
; %bb.402:                              ;   in Loop: Header=BB336_283 Depth=1
	v_ffbh_u32_e32 v18, v10
	v_min_u32_e32 v18, 32, v18
	v_subrev_nc_u32_e32 v21, 28, v18
	v_sub_nc_u32_e32 v18, 29, v18
	v_lshlrev_b64 v[54:55], v21, v[10:11]
	v_and_b32_e32 v10, 7, v54
; %bb.403:                              ;   in Loop: Header=BB336_283 Depth=1
	s_or_b32 exec_lo, exec_lo, s5
	v_lshlrev_b32_sdwa v19, v36, v19 dst_sel:DWORD dst_unused:UNUSED_PAD src0_sel:DWORD src1_sel:BYTE_3
	v_lshlrev_b32_e32 v10, 20, v10
	v_lshl_add_u32 v18, v18, 23, 0x3c000000
	v_and_b32_e32 v19, 0x80000000, v19
	v_or3_b32 v52, v10, v19, v18
.LBB336_404:                            ;   in Loop: Header=BB336_283 Depth=1
	s_or_b32 exec_lo, exec_lo, s4
.LBB336_405:                            ;   in Loop: Header=BB336_283 Depth=1
	s_or_b32 exec_lo, exec_lo, s3
.LBB336_406:                            ;   in Loop: Header=BB336_283 Depth=1
	s_or_b32 exec_lo, exec_lo, s2
	v_mul_f32_e32 v10, s52, v20
	v_mul_f32_e32 v18, s52, v51
	;; [unrolled: 1-line block ×5, first 2 shown]
	v_bfe_u32 v20, v10, 16, 1
	v_or_b32_e32 v21, 0x400000, v10
	v_bfe_u32 v50, v18, 16, 1
	v_cmp_u_f32_e64 s1, v10, v10
	v_or_b32_e32 v51, 0x400000, v18
	v_add3_u32 v20, v20, v10, 0x7fff
	v_bfe_u32 v54, v19, 16, 1
	v_add3_u32 v50, v50, v18, 0x7fff
	v_or_b32_e32 v55, 0x400000, v19
	v_bfe_u32 v56, v49, 16, 1
	v_cndmask_b32_e64 v10, v20, v21, s1
	v_cmp_u_f32_e64 s1, v18, v18
	v_add3_u32 v54, v54, v19, 0x7fff
	v_lshrrev_b32_e32 v20, 16, v10
	v_cndmask_b32_e64 v18, v50, v51, s1
	v_cmp_u_f32_e64 s1, v19, v19
	v_mul_f32_e32 v10, s52, v47
	v_add3_u32 v50, v56, v49, 0x7fff
	v_or_b32_e32 v51, 0x400000, v49
	v_lshrrev_b32_e32 v21, 16, v18
	v_cndmask_b32_e64 v19, v54, v55, s1
	v_bfe_u32 v18, v10, 16, 1
	v_cmp_u_f32_e64 s1, v49, v49
	v_mul_f32_e32 v49, s52, v53
	v_lshrrev_b32_e32 v47, 16, v19
	v_add3_u32 v18, v18, v10, 0x7fff
	v_cndmask_b32_e64 v19, v50, v51, s1
	v_or_b32_e32 v50, 0x400000, v10
	v_mul_f32_e32 v51, s52, v52
	v_bfe_u32 v52, v48, 16, 1
	v_cmp_u_f32_e64 s1, v10, v10
	v_bfe_u32 v53, v49, 16, 1
	v_or_b32_e32 v54, 0x400000, v49
	v_or_b32_e32 v55, 0x400000, v51
	v_cndmask_b32_e64 v10, v18, v50, s1
	v_add3_u32 v50, v52, v48, 0x7fff
	v_or_b32_e32 v52, 0x400000, v48
	v_cmp_u_f32_e64 s1, v48, v48
	v_bfe_u32 v18, v51, 16, 1
	v_add3_u32 v53, v53, v49, 0x7fff
	v_cndmask_b32_e64 v48, v50, v52, s1
	v_cmp_u_f32_e64 s1, v49, v49
	v_add3_u32 v18, v18, v51, 0x7fff
	v_lshrrev_b32_e32 v49, 16, v19
	v_lshrrev_b32_e32 v50, 16, v48
	v_cndmask_b32_e64 v52, v53, v54, s1
	v_cmp_u_f32_e64 s1, v51, v51
	v_lshrrev_b32_e32 v51, 16, v10
	v_lshrrev_b32_e32 v48, 16, v52
	v_cndmask_b32_e64 v18, v18, v55, s1
	v_lshrrev_b32_e32 v53, 16, v18
	s_and_saveexec_b32 s2, s0
	s_cbranch_execz .LBB336_408
; %bb.407:                              ;   in Loop: Header=BB336_283 Depth=1
	v_add_nc_u32_e32 v10, 1, v26
	v_cmp_gt_i32_e64 s1, s33, v26
	v_add_nc_u32_e32 v18, 2, v26
	v_add_nc_u32_e32 v19, 3, v26
	v_cndmask_b32_e64 v50, 0, v50, s1
	v_cmp_gt_i32_e64 s1, s33, v10
	v_add_nc_u32_e32 v10, 4, v26
	v_cndmask_b32_e64 v51, 0, v51, s1
	v_cmp_gt_i32_e64 s1, s33, v18
	;; [unrolled: 3-line block ×5, first 2 shown]
	v_cndmask_b32_e64 v20, 0, v20, s1
	v_cmp_gt_i32_e64 s1, s33, v19
	v_cndmask_b32_e64 v48, 0, v48, s1
	v_cmp_gt_i32_e64 s1, s33, v10
	v_cndmask_b32_e64 v53, 0, v53, s1
.LBB336_408:                            ;   in Loop: Header=BB336_283 Depth=1
	s_or_b32 exec_lo, exec_lo, s2
	global_load_dwordx2 v[16:17], v[16:17], off offset:512
	v_mov_b32_e32 v54, 0
	v_mov_b32_e32 v52, 0
	s_waitcnt vmcnt(0)
	v_cmp_ne_u16_sdwa s1, v16, v11 src0_sel:BYTE_0 src1_sel:DWORD
	s_and_saveexec_b32 s2, s1
	s_cbranch_execz .LBB336_414
; %bb.409:                              ;   in Loop: Header=BB336_283 Depth=1
	v_cmp_ne_u16_sdwa s1, v16, v32 src0_sel:BYTE_0 src1_sel:DWORD
	v_bfrev_b32_e32 v52, 1
	s_and_saveexec_b32 s3, s1
	s_cbranch_execz .LBB336_413
; %bb.410:                              ;   in Loop: Header=BB336_283 Depth=1
	v_and_b32_e32 v10, 0x7f, v16
	v_mov_b32_e32 v52, 0x7f800001
	s_mov_b32 s4, exec_lo
	v_cmpx_ne_u32_e32 0x7f, v10
	s_cbranch_execz .LBB336_412
; %bb.411:                              ;   in Loop: Header=BB336_283 Depth=1
	v_and_b32_e32 v18, 7, v16
	v_lshrrev_b32_e32 v19, 3, v10
	v_cmp_gt_u32_e64 s1, 8, v10
	v_ffbh_u32_e32 v18, v18
	v_min_u32_e32 v18, 32, v18
	v_subrev_nc_u32_e32 v52, 28, v18
	v_sub_nc_u32_e32 v18, 29, v18
	v_cndmask_b32_e64 v10, v19, v18, s1
	v_cndmask_b32_e64 v18, 0, v52, s1
	v_lshl_add_u32 v10, v10, 23, 0x3c000000
	v_lshlrev_b64 v[18:19], v18, v[16:17]
	v_lshlrev_b32_e32 v19, 24, v16
	v_lshlrev_b32_e32 v18, 20, v18
	v_and_b32_e32 v19, 0x80000000, v19
	v_and_b32_e32 v18, 0x700000, v18
	v_or3_b32 v52, v18, v19, v10
.LBB336_412:                            ;   in Loop: Header=BB336_283 Depth=1
	s_or_b32 exec_lo, exec_lo, s4
.LBB336_413:                            ;   in Loop: Header=BB336_283 Depth=1
	s_or_b32 exec_lo, exec_lo, s3
.LBB336_414:                            ;   in Loop: Header=BB336_283 Depth=1
	s_or_b32 exec_lo, exec_lo, s2
	v_cmp_ne_u16_sdwa s1, v16, v11 src0_sel:BYTE_1 src1_sel:DWORD
	s_and_saveexec_b32 s2, s1
	s_cbranch_execz .LBB336_422
; %bb.415:                              ;   in Loop: Header=BB336_283 Depth=1
	v_cmp_ne_u16_sdwa s1, v16, v32 src0_sel:BYTE_1 src1_sel:DWORD
	v_bfrev_b32_e32 v54, 1
	s_and_saveexec_b32 s3, s1
	s_cbranch_execz .LBB336_421
; %bb.416:                              ;   in Loop: Header=BB336_283 Depth=1
	v_and_b32_sdwa v10, v33, v16 dst_sel:DWORD dst_unused:UNUSED_PAD src0_sel:DWORD src1_sel:BYTE_1
	v_mov_b32_e32 v54, 0x7f800001
	s_mov_b32 s4, exec_lo
	v_and_b32_e32 v19, 0x7f, v10
	v_cmpx_ne_u32_e32 0x7f, v19
	s_cbranch_execz .LBB336_420
; %bb.417:                              ;   in Loop: Header=BB336_283 Depth=1
	v_and_b32_e32 v10, 7, v10
	v_lshrrev_b32_e32 v18, 3, v19
	s_mov_b32 s5, exec_lo
	v_cmpx_gt_u32_e32 8, v19
; %bb.418:                              ;   in Loop: Header=BB336_283 Depth=1
	v_ffbh_u32_e32 v18, v10
	v_min_u32_e32 v18, 32, v18
	v_subrev_nc_u32_e32 v19, 28, v18
	v_sub_nc_u32_e32 v18, 29, v18
	v_lshlrev_b64 v[54:55], v19, v[10:11]
	v_and_b32_e32 v10, 7, v54
; %bb.419:                              ;   in Loop: Header=BB336_283 Depth=1
	s_or_b32 exec_lo, exec_lo, s5
	v_lshlrev_b32_e32 v19, 16, v16
	v_lshlrev_b32_e32 v10, 20, v10
	v_lshl_add_u32 v18, v18, 23, 0x3c000000
	v_and_b32_e32 v19, 0x80000000, v19
	v_or3_b32 v54, v10, v19, v18
.LBB336_420:                            ;   in Loop: Header=BB336_283 Depth=1
	s_or_b32 exec_lo, exec_lo, s4
.LBB336_421:                            ;   in Loop: Header=BB336_283 Depth=1
	s_or_b32 exec_lo, exec_lo, s3
.LBB336_422:                            ;   in Loop: Header=BB336_283 Depth=1
	s_or_b32 exec_lo, exec_lo, s2
	v_and_b32_sdwa v10, v16, v34 dst_sel:DWORD dst_unused:UNUSED_PAD src0_sel:WORD_1 src1_sel:DWORD
	v_mov_b32_e32 v56, 0
	v_mov_b32_e32 v55, 0
	s_mov_b32 s2, exec_lo
	v_cmpx_ne_u16_e32 0, v10
	s_cbranch_execz .LBB336_430
; %bb.423:                              ;   in Loop: Header=BB336_283 Depth=1
	v_bfrev_b32_e32 v55, 1
	s_mov_b32 s3, exec_lo
	v_cmpx_ne_u16_e32 0x80, v10
	s_cbranch_execz .LBB336_429
; %bb.424:                              ;   in Loop: Header=BB336_283 Depth=1
	v_bfe_u32 v19, v16, 16, 7
	v_mov_b32_e32 v55, 0x7f800001
	s_mov_b32 s4, exec_lo
	v_cmpx_ne_u32_e32 0x7f, v19
	s_cbranch_execz .LBB336_428
; %bb.425:                              ;   in Loop: Header=BB336_283 Depth=1
	v_and_b32_sdwa v10, v16, v35 dst_sel:DWORD dst_unused:UNUSED_PAD src0_sel:WORD_1 src1_sel:DWORD
	v_lshrrev_b32_e32 v18, 3, v19
	s_mov_b32 s5, exec_lo
	v_cmpx_gt_u32_e32 8, v19
; %bb.426:                              ;   in Loop: Header=BB336_283 Depth=1
	v_ffbh_u32_e32 v18, v10
	v_min_u32_e32 v18, 32, v18
	v_subrev_nc_u32_e32 v19, 28, v18
	v_sub_nc_u32_e32 v18, 29, v18
	v_lshlrev_b64 v[57:58], v19, v[10:11]
	v_and_b32_e32 v10, 7, v57
; %bb.427:                              ;   in Loop: Header=BB336_283 Depth=1
	s_or_b32 exec_lo, exec_lo, s5
	v_lshlrev_b32_sdwa v19, v36, v16 dst_sel:DWORD dst_unused:UNUSED_PAD src0_sel:DWORD src1_sel:WORD_1
	v_lshlrev_b32_e32 v10, 20, v10
	v_lshl_add_u32 v18, v18, 23, 0x3c000000
	v_and_b32_e32 v19, 0x80000000, v19
	v_or3_b32 v55, v10, v19, v18
.LBB336_428:                            ;   in Loop: Header=BB336_283 Depth=1
	s_or_b32 exec_lo, exec_lo, s4
.LBB336_429:                            ;   in Loop: Header=BB336_283 Depth=1
	s_or_b32 exec_lo, exec_lo, s3
.LBB336_430:                            ;   in Loop: Header=BB336_283 Depth=1
	s_or_b32 exec_lo, exec_lo, s2
	s_mov_b32 s2, exec_lo
	v_cmpx_lt_u32_e32 0xffffff, v16
	s_cbranch_execz .LBB336_438
; %bb.431:                              ;   in Loop: Header=BB336_283 Depth=1
	v_cmp_ne_u32_sdwa s1, v16, v32 src0_sel:BYTE_3 src1_sel:DWORD
	v_bfrev_b32_e32 v56, 1
	s_and_saveexec_b32 s3, s1
	s_cbranch_execz .LBB336_437
; %bb.432:                              ;   in Loop: Header=BB336_283 Depth=1
	v_bfe_u32 v19, v16, 24, 7
	v_mov_b32_e32 v56, 0x7f800001
	s_mov_b32 s4, exec_lo
	v_cmpx_ne_u32_e32 0x7f, v19
	s_cbranch_execz .LBB336_436
; %bb.433:                              ;   in Loop: Header=BB336_283 Depth=1
	v_and_b32_sdwa v10, v16, v35 dst_sel:DWORD dst_unused:UNUSED_PAD src0_sel:BYTE_3 src1_sel:DWORD
	v_lshrrev_b32_e32 v18, 3, v19
	s_mov_b32 s5, exec_lo
	v_cmpx_gt_u32_e32 8, v19
; %bb.434:                              ;   in Loop: Header=BB336_283 Depth=1
	v_ffbh_u32_e32 v18, v10
	v_min_u32_e32 v18, 32, v18
	v_subrev_nc_u32_e32 v19, 28, v18
	v_sub_nc_u32_e32 v18, 29, v18
	v_lshlrev_b64 v[56:57], v19, v[10:11]
	v_and_b32_e32 v10, 7, v56
; %bb.435:                              ;   in Loop: Header=BB336_283 Depth=1
	s_or_b32 exec_lo, exec_lo, s5
	v_lshlrev_b32_sdwa v19, v36, v16 dst_sel:DWORD dst_unused:UNUSED_PAD src0_sel:DWORD src1_sel:BYTE_3
	v_lshlrev_b32_e32 v10, 20, v10
	v_lshl_add_u32 v18, v18, 23, 0x3c000000
	v_and_b32_e32 v19, 0x80000000, v19
	v_or3_b32 v56, v10, v19, v18
.LBB336_436:                            ;   in Loop: Header=BB336_283 Depth=1
	s_or_b32 exec_lo, exec_lo, s4
.LBB336_437:                            ;   in Loop: Header=BB336_283 Depth=1
	s_or_b32 exec_lo, exec_lo, s3
.LBB336_438:                            ;   in Loop: Header=BB336_283 Depth=1
	s_or_b32 exec_lo, exec_lo, s2
	v_mov_b32_e32 v10, v17
	v_cmp_ne_u16_sdwa s1, v17, v11 src0_sel:BYTE_0 src1_sel:DWORD
	v_mov_b32_e32 v18, 0
	v_mov_b32_e32 v57, 0
	s_and_saveexec_b32 s2, s1
	s_cbranch_execz .LBB336_444
; %bb.439:                              ;   in Loop: Header=BB336_283 Depth=1
	v_cmp_ne_u16_sdwa s1, v17, v32 src0_sel:BYTE_0 src1_sel:DWORD
	v_bfrev_b32_e32 v57, 1
	s_and_saveexec_b32 s3, s1
	s_cbranch_execz .LBB336_443
; %bb.440:                              ;   in Loop: Header=BB336_283 Depth=1
	v_and_b32_e32 v19, 0x7f, v17
	v_mov_b32_e32 v57, 0x7f800001
	s_mov_b32 s4, exec_lo
	v_cmpx_ne_u32_e32 0x7f, v19
	s_cbranch_execz .LBB336_442
; %bb.441:                              ;   in Loop: Header=BB336_283 Depth=1
	v_and_b32_e32 v57, 7, v17
	v_lshrrev_b32_e32 v58, 3, v19
	v_cmp_gt_u32_e64 s1, 8, v19
	v_ffbh_u32_e32 v57, v57
	v_min_u32_e32 v57, 32, v57
	v_subrev_nc_u32_e32 v59, 28, v57
	v_sub_nc_u32_e32 v57, 29, v57
	v_cndmask_b32_e64 v19, v58, v57, s1
	v_cndmask_b32_e64 v57, 0, v59, s1
	v_lshl_add_u32 v19, v19, 23, 0x3c000000
	v_lshlrev_b64 v[57:58], v57, v[10:11]
	v_lshlrev_b32_e32 v58, 24, v10
	v_lshlrev_b32_e32 v57, 20, v57
	v_and_b32_e32 v58, 0x80000000, v58
	v_and_b32_e32 v57, 0x700000, v57
	v_or3_b32 v57, v57, v58, v19
.LBB336_442:                            ;   in Loop: Header=BB336_283 Depth=1
	s_or_b32 exec_lo, exec_lo, s4
.LBB336_443:                            ;   in Loop: Header=BB336_283 Depth=1
	s_or_b32 exec_lo, exec_lo, s3
.LBB336_444:                            ;   in Loop: Header=BB336_283 Depth=1
	s_or_b32 exec_lo, exec_lo, s2
	v_cmp_ne_u16_sdwa s1, v10, v11 src0_sel:BYTE_1 src1_sel:DWORD
	s_and_saveexec_b32 s2, s1
	s_cbranch_execz .LBB336_452
; %bb.445:                              ;   in Loop: Header=BB336_283 Depth=1
	v_cmp_ne_u16_sdwa s1, v10, v32 src0_sel:BYTE_1 src1_sel:DWORD
	v_bfrev_b32_e32 v18, 1
	s_and_saveexec_b32 s3, s1
	s_cbranch_execz .LBB336_451
; %bb.446:                              ;   in Loop: Header=BB336_283 Depth=1
	v_and_b32_sdwa v19, v33, v10 dst_sel:DWORD dst_unused:UNUSED_PAD src0_sel:DWORD src1_sel:BYTE_1
	v_mov_b32_e32 v18, 0x7f800001
	s_mov_b32 s4, exec_lo
	v_and_b32_e32 v59, 0x7f, v19
	v_cmpx_ne_u32_e32 0x7f, v59
	s_cbranch_execz .LBB336_450
; %bb.447:                              ;   in Loop: Header=BB336_283 Depth=1
	v_and_b32_e32 v18, 7, v19
	v_mov_b32_e32 v19, v11
	v_lshrrev_b32_e32 v58, 3, v59
	s_mov_b32 s5, exec_lo
	v_cmpx_gt_u32_e32 8, v59
; %bb.448:                              ;   in Loop: Header=BB336_283 Depth=1
	v_ffbh_u32_e32 v58, v18
	v_min_u32_e32 v58, 32, v58
	v_subrev_nc_u32_e32 v59, 28, v58
	v_sub_nc_u32_e32 v58, 29, v58
	v_lshlrev_b64 v[18:19], v59, v[18:19]
	v_and_b32_e32 v18, 7, v18
; %bb.449:                              ;   in Loop: Header=BB336_283 Depth=1
	s_or_b32 exec_lo, exec_lo, s5
	v_lshlrev_b32_e32 v10, 16, v10
	v_lshlrev_b32_e32 v18, 20, v18
	v_lshl_add_u32 v19, v58, 23, 0x3c000000
	v_and_b32_e32 v10, 0x80000000, v10
	v_or3_b32 v18, v18, v10, v19
.LBB336_450:                            ;   in Loop: Header=BB336_283 Depth=1
	s_or_b32 exec_lo, exec_lo, s4
.LBB336_451:                            ;   in Loop: Header=BB336_283 Depth=1
	s_or_b32 exec_lo, exec_lo, s3
.LBB336_452:                            ;   in Loop: Header=BB336_283 Depth=1
	s_or_b32 exec_lo, exec_lo, s2
	v_and_b32_sdwa v10, v17, v34 dst_sel:DWORD dst_unused:UNUSED_PAD src0_sel:WORD_1 src1_sel:DWORD
	v_mov_b32_e32 v19, 0
	v_mov_b32_e32 v58, 0
	s_mov_b32 s2, exec_lo
	v_cmpx_ne_u16_e32 0, v10
	s_cbranch_execz .LBB336_460
; %bb.453:                              ;   in Loop: Header=BB336_283 Depth=1
	v_bfrev_b32_e32 v58, 1
	s_mov_b32 s3, exec_lo
	v_cmpx_ne_u16_e32 0x80, v10
	s_cbranch_execz .LBB336_459
; %bb.454:                              ;   in Loop: Header=BB336_283 Depth=1
	v_bfe_u32 v59, v17, 16, 7
	v_mov_b32_e32 v58, 0x7f800001
	s_mov_b32 s4, exec_lo
	v_cmpx_ne_u32_e32 0x7f, v59
	s_cbranch_execz .LBB336_458
; %bb.455:                              ;   in Loop: Header=BB336_283 Depth=1
	v_and_b32_sdwa v10, v17, v35 dst_sel:DWORD dst_unused:UNUSED_PAD src0_sel:WORD_1 src1_sel:DWORD
	v_lshrrev_b32_e32 v58, 3, v59
	s_mov_b32 s5, exec_lo
	v_cmpx_gt_u32_e32 8, v59
; %bb.456:                              ;   in Loop: Header=BB336_283 Depth=1
	v_ffbh_u32_e32 v58, v10
	v_min_u32_e32 v58, 32, v58
	v_subrev_nc_u32_e32 v59, 28, v58
	v_sub_nc_u32_e32 v58, 29, v58
	v_lshlrev_b64 v[59:60], v59, v[10:11]
	v_and_b32_e32 v10, 7, v59
; %bb.457:                              ;   in Loop: Header=BB336_283 Depth=1
	s_or_b32 exec_lo, exec_lo, s5
	v_lshlrev_b32_sdwa v59, v36, v17 dst_sel:DWORD dst_unused:UNUSED_PAD src0_sel:DWORD src1_sel:WORD_1
	v_lshlrev_b32_e32 v10, 20, v10
	v_lshl_add_u32 v58, v58, 23, 0x3c000000
	v_and_b32_e32 v59, 0x80000000, v59
	v_or3_b32 v58, v10, v59, v58
.LBB336_458:                            ;   in Loop: Header=BB336_283 Depth=1
	s_or_b32 exec_lo, exec_lo, s4
.LBB336_459:                            ;   in Loop: Header=BB336_283 Depth=1
	s_or_b32 exec_lo, exec_lo, s3
.LBB336_460:                            ;   in Loop: Header=BB336_283 Depth=1
	s_or_b32 exec_lo, exec_lo, s2
	s_mov_b32 s2, exec_lo
	v_cmpx_lt_u64_e64 s[40:41], v[16:17]
	s_cbranch_execz .LBB336_468
; %bb.461:                              ;   in Loop: Header=BB336_283 Depth=1
	v_cmp_ne_u32_sdwa s1, v17, v32 src0_sel:BYTE_3 src1_sel:DWORD
	v_bfrev_b32_e32 v19, 1
	s_and_saveexec_b32 s3, s1
	s_cbranch_execz .LBB336_467
; %bb.462:                              ;   in Loop: Header=BB336_283 Depth=1
	v_bfe_u32 v59, v17, 24, 7
	v_mov_b32_e32 v19, 0x7f800001
	s_mov_b32 s4, exec_lo
	v_cmpx_ne_u32_e32 0x7f, v59
	s_cbranch_execz .LBB336_466
; %bb.463:                              ;   in Loop: Header=BB336_283 Depth=1
	v_and_b32_sdwa v10, v17, v35 dst_sel:DWORD dst_unused:UNUSED_PAD src0_sel:BYTE_3 src1_sel:DWORD
	v_lshrrev_b32_e32 v16, 3, v59
	s_mov_b32 s5, exec_lo
	v_cmpx_gt_u32_e32 8, v59
; %bb.464:                              ;   in Loop: Header=BB336_283 Depth=1
	v_ffbh_u32_e32 v16, v10
	v_min_u32_e32 v16, 32, v16
	v_subrev_nc_u32_e32 v19, 28, v16
	v_sub_nc_u32_e32 v16, 29, v16
	v_lshlrev_b64 v[59:60], v19, v[10:11]
	v_and_b32_e32 v10, 7, v59
; %bb.465:                              ;   in Loop: Header=BB336_283 Depth=1
	s_or_b32 exec_lo, exec_lo, s5
	v_lshlrev_b32_sdwa v17, v36, v17 dst_sel:DWORD dst_unused:UNUSED_PAD src0_sel:DWORD src1_sel:BYTE_3
	v_lshlrev_b32_e32 v10, 20, v10
	v_lshl_add_u32 v16, v16, 23, 0x3c000000
	v_and_b32_e32 v17, 0x80000000, v17
	v_or3_b32 v19, v10, v17, v16
.LBB336_466:                            ;   in Loop: Header=BB336_283 Depth=1
	s_or_b32 exec_lo, exec_lo, s4
.LBB336_467:                            ;   in Loop: Header=BB336_283 Depth=1
	s_or_b32 exec_lo, exec_lo, s3
.LBB336_468:                            ;   in Loop: Header=BB336_283 Depth=1
	s_or_b32 exec_lo, exec_lo, s2
	v_mul_f32_e32 v10, s52, v18
	v_mul_f32_e32 v16, s52, v57
	;; [unrolled: 1-line block ×5, first 2 shown]
	v_bfe_u32 v55, v10, 16, 1
	v_or_b32_e32 v56, 0x400000, v10
	v_bfe_u32 v57, v16, 16, 1
	v_cmp_u_f32_e64 s1, v10, v10
	v_or_b32_e32 v59, 0x400000, v16
	v_add3_u32 v55, v55, v10, 0x7fff
	v_bfe_u32 v60, v17, 16, 1
	v_add3_u32 v57, v57, v16, 0x7fff
	v_or_b32_e32 v61, 0x400000, v17
	v_bfe_u32 v62, v18, 16, 1
	v_cndmask_b32_e64 v10, v55, v56, s1
	v_cmp_u_f32_e64 s1, v16, v16
	v_add3_u32 v60, v60, v17, 0x7fff
	v_or_b32_e32 v56, 0x400000, v18
	v_add3_u32 v55, v62, v18, 0x7fff
	v_mul_f32_e32 v52, s52, v52
	v_cndmask_b32_e64 v16, v57, v59, s1
	v_cmp_u_f32_e64 s1, v17, v17
	v_bfe_u32 v57, v54, 16, 1
	v_mul_f32_e32 v19, s52, v19
	v_lshrrev_b32_e32 v10, 16, v10
	v_lshrrev_b32_e32 v16, 16, v16
	v_cndmask_b32_e64 v17, v60, v61, s1
	v_cmp_u_f32_e64 s1, v18, v18
	v_or_b32_e32 v61, 0x400000, v19
	v_lshrrev_b32_e32 v17, 16, v17
	v_cndmask_b32_e64 v18, v55, v56, s1
	v_mul_f32_e32 v55, s52, v58
	v_add3_u32 v56, v57, v54, 0x7fff
	v_or_b32_e32 v57, 0x400000, v54
	v_bfe_u32 v58, v52, 16, 1
	v_cmp_u_f32_e64 s1, v54, v54
	v_bfe_u32 v59, v55, 16, 1
	v_or_b32_e32 v60, 0x400000, v55
	v_lshrrev_b32_e32 v65, 16, v18
	v_cndmask_b32_e64 v54, v56, v57, s1
	v_add3_u32 v57, v58, v52, 0x7fff
	v_or_b32_e32 v58, 0x400000, v52
	v_cmp_u_f32_e64 s1, v52, v52
	v_bfe_u32 v56, v19, 16, 1
	v_add3_u32 v59, v59, v55, 0x7fff
	v_cndmask_b32_e64 v52, v57, v58, s1
	v_cmp_u_f32_e64 s1, v55, v55
	v_add3_u32 v56, v56, v19, 0x7fff
	v_lshrrev_b32_e32 v18, 16, v52
	v_cndmask_b32_e64 v55, v59, v60, s1
	v_cmp_u_f32_e64 s1, v19, v19
	v_lshrrev_b32_e32 v19, 16, v54
	v_lshrrev_b32_e32 v63, 16, v55
	v_cndmask_b32_e64 v56, v56, v61, s1
	v_lshrrev_b32_e32 v64, 16, v56
	s_and_saveexec_b32 s2, s0
	s_cbranch_execz .LBB336_470
; %bb.469:                              ;   in Loop: Header=BB336_283 Depth=1
	v_add_nc_u32_e32 v52, 1, v26
	v_cmp_gt_i32_e64 s1, s33, v26
	v_add_nc_u32_e32 v54, 2, v26
	v_add_nc_u32_e32 v55, 3, v26
	v_cndmask_b32_e64 v18, 0, v18, s1
	v_cmp_gt_i32_e64 s1, s33, v52
	v_add_nc_u32_e32 v52, 4, v26
	v_cndmask_b32_e64 v19, 0, v19, s1
	v_cmp_gt_i32_e64 s1, s33, v54
	;; [unrolled: 3-line block ×5, first 2 shown]
	v_cndmask_b32_e64 v10, 0, v10, s1
	v_cmp_gt_i32_e64 s1, s33, v55
	v_cndmask_b32_e64 v63, 0, v63, s1
	v_cmp_gt_i32_e64 s1, s33, v52
	v_cndmask_b32_e64 v64, 0, v64, s1
.LBB336_470:                            ;   in Loop: Header=BB336_283 Depth=1
	s_or_b32 exec_lo, exec_lo, s2
	v_bfe_u32 v52, v5, 16, 1
	v_or_b32_e32 v54, 0x400000, v5
	v_bfe_u32 v55, v6, 16, 1
	v_cmp_u_f32_e64 s1, v5, v5
	v_bfe_u32 v56, v7, 16, 1
	v_add3_u32 v52, v52, v5, 0x7fff
	v_or_b32_e32 v57, 0x400000, v6
	v_add3_u32 v59, v55, v6, 0x7fff
	v_or_b32_e32 v58, 0x400000, v7
	v_add3_u32 v60, v56, v7, 0x7fff
	v_cndmask_b32_e64 v55, v52, v54, s1
	v_cmp_u_f32_e64 s1, v6, v6
	v_bfe_u32 v5, v8, 16, 1
	v_bfe_u32 v6, v1, 16, 1
	v_or_b32_e32 v52, 0x400000, v1
	v_bfe_u32 v54, v2, 16, 1
	v_cndmask_b32_e64 v56, v59, v57, s1
	v_cmp_u_f32_e64 s1, v7, v7
	v_add3_u32 v5, v5, v8, 0x7fff
	v_or_b32_e32 v7, 0x400000, v8
	v_add3_u32 v6, v6, v1, 0x7fff
	v_lshlrev_b32_e32 v18, 16, v18
	v_cndmask_b32_e64 v57, v60, v58, s1
	v_cmp_u_f32_e64 s1, v8, v8
	v_bfe_u32 v8, v4, 16, 1
	v_lshlrev_b32_e32 v17, 16, v17
	v_and_b32_e32 v66, 0xffff0000, v57
	v_cndmask_b32_e64 v58, v5, v7, s1
	v_cmp_u_f32_e64 s1, v1, v1
	v_bfe_u32 v5, v3, 16, 1
	v_add3_u32 v1, v54, v2, 0x7fff
	v_or_b32_e32 v7, 0x400000, v3
	v_or_b32_e32 v54, 0x400000, v4
	v_cndmask_b32_e64 v59, v6, v52, s1
	v_or_b32_e32 v6, 0x400000, v2
	v_cmp_u_f32_e64 s1, v2, v2
	v_add3_u32 v5, v5, v3, 0x7fff
	v_and_b32_e32 v2, 0xffff0000, v56
	v_cndmask_b32_e64 v60, v1, v6, s1
	v_cmp_u_f32_e64 s1, v3, v3
	v_add3_u32 v1, v8, v4, 0x7fff
	v_lshlrev_b32_e32 v3, 16, v51
	v_lshlrev_b32_e32 v6, 16, v50
	v_lshlrev_b32_e32 v8, 16, v47
	v_cndmask_b32_e64 v61, v5, v7, s1
	v_cmp_u_f32_e64 s1, v4, v4
	v_and_b32_e32 v5, 0xffff0000, v55
	v_and_b32_e32 v7, 0xffff0000, v58
	v_lshlrev_b32_e32 v47, 16, v49
	v_mul_f32_e32 v52, v2, v3
	v_cndmask_b32_e64 v62, v1, v54, s1
	v_mul_f32_e32 v51, v5, v6
	v_mul_f32_e32 v50, v7, v8
	v_and_b32_e32 v1, 0xffff0000, v60
	v_lshlrev_b32_e32 v3, 16, v20
	v_and_b32_e32 v4, 0xffff0000, v59
	v_lshlrev_b32_e32 v6, 16, v21
	;; [unrolled: 2-line block ×3, first 2 shown]
	v_mul_f32_e32 v49, v66, v47
	v_and_b32_e32 v68, 0xffff0000, v61
	v_lshlrev_b32_e32 v20, 16, v48
	v_lshlrev_b32_e32 v21, 16, v46
	v_mul_f32_e32 v54, v1, v3
	v_mul_f32_e32 v53, v4, v6
	v_mul_f32_e32 v47, v67, v8
	v_lshlrev_b32_e32 v3, 16, v45
	v_lshlrev_b32_e32 v6, 16, v41
	;; [unrolled: 1-line block ×3, first 2 shown]
	v_mul_f32_e32 v48, v68, v20
	v_mul_f32_e32 v46, v2, v21
	v_lshlrev_b32_e32 v20, 16, v39
	v_lshlrev_b32_e32 v21, 16, v40
	v_mul_f32_e32 v45, v5, v3
	v_mul_f32_e32 v44, v7, v6
	;; [unrolled: 1-line block ×3, first 2 shown]
	v_lshlrev_b32_e32 v3, 16, v43
	v_lshlrev_b32_e32 v6, 16, v42
	;; [unrolled: 1-line block ×3, first 2 shown]
	v_mul_f32_e32 v40, v1, v20
	v_mul_f32_e32 v20, v4, v21
	;; [unrolled: 1-line block ×6, first 2 shown]
	v_lshlrev_b32_e32 v2, 16, v65
	v_lshlrev_b32_e32 v3, 16, v10
	;; [unrolled: 1-line block ×5, first 2 shown]
	v_mul_f32_e32 v7, v7, v17
	v_mul_f32_e32 v17, v66, v2
	;; [unrolled: 1-line block ×6, first 2 shown]
	v_cmp_u_f32_e64 s24, v52, v52
	v_cmp_u_f32_e64 s20, v51, v51
	;; [unrolled: 1-line block ×24, first 2 shown]
	s_and_saveexec_b32 s53, vcc_lo
	s_cbranch_execz .LBB336_281
; %bb.471:                              ;   in Loop: Header=BB336_283 Depth=1
	v_add_co_u32 v1, s26, v14, v37
	v_add_co_ci_u32_e64 v2, null, 0, v15, s26
	v_mov_b32_e32 v15, 0
	v_mov_b32_e32 v14, 0
	global_load_dwordx2 v[1:2], v[1:2], off
	s_waitcnt vmcnt(0)
	v_cmp_ne_u16_sdwa s26, v1, v11 src0_sel:BYTE_0 src1_sel:DWORD
	s_and_saveexec_b32 s54, s26
	s_cbranch_execz .LBB336_477
; %bb.472:                              ;   in Loop: Header=BB336_283 Depth=1
	v_cmp_ne_u16_sdwa s26, v1, v32 src0_sel:BYTE_0 src1_sel:DWORD
	v_bfrev_b32_e32 v14, 1
	s_and_saveexec_b32 s55, s26
	s_cbranch_execz .LBB336_476
; %bb.473:                              ;   in Loop: Header=BB336_283 Depth=1
	v_and_b32_e32 v3, 0x7f, v1
	v_mov_b32_e32 v14, 0x7f800001
	s_mov_b32 s56, exec_lo
	v_cmpx_ne_u32_e32 0x7f, v3
	s_cbranch_execz .LBB336_475
; %bb.474:                              ;   in Loop: Header=BB336_283 Depth=1
	v_and_b32_e32 v4, 7, v1
	v_cmp_gt_u32_e64 s26, 8, v3
	v_lshrrev_b32_e32 v10, 3, v3
	v_ffbh_u32_e32 v4, v4
	v_min_u32_e32 v4, 32, v4
	v_subrev_nc_u32_e32 v14, 28, v4
	v_sub_nc_u32_e32 v4, 29, v4
	v_cndmask_b32_e64 v3, 0, v14, s26
	v_cndmask_b32_e64 v10, v10, v4, s26
	v_lshlrev_b64 v[3:4], v3, v[1:2]
	v_lshlrev_b32_e32 v4, 24, v1
	v_lshl_add_u32 v10, v10, 23, 0x3c000000
	v_lshlrev_b32_e32 v3, 20, v3
	v_and_b32_e32 v4, 0x80000000, v4
	v_and_b32_e32 v3, 0x700000, v3
	v_or3_b32 v14, v3, v4, v10
.LBB336_475:                            ;   in Loop: Header=BB336_283 Depth=1
	s_or_b32 exec_lo, exec_lo, s56
.LBB336_476:                            ;   in Loop: Header=BB336_283 Depth=1
	s_or_b32 exec_lo, exec_lo, s55
.LBB336_477:                            ;   in Loop: Header=BB336_283 Depth=1
	s_or_b32 exec_lo, exec_lo, s54
	v_cmp_ne_u16_sdwa s26, v1, v11 src0_sel:BYTE_1 src1_sel:DWORD
	s_and_saveexec_b32 s54, s26
	s_cbranch_execz .LBB336_485
; %bb.478:                              ;   in Loop: Header=BB336_283 Depth=1
	v_cmp_ne_u16_sdwa s26, v1, v32 src0_sel:BYTE_1 src1_sel:DWORD
	v_bfrev_b32_e32 v15, 1
	s_and_saveexec_b32 s55, s26
	s_cbranch_execz .LBB336_484
; %bb.479:                              ;   in Loop: Header=BB336_283 Depth=1
	v_and_b32_sdwa v3, v33, v1 dst_sel:DWORD dst_unused:UNUSED_PAD src0_sel:DWORD src1_sel:BYTE_1
	v_mov_b32_e32 v15, 0x7f800001
	s_mov_b32 s56, exec_lo
	v_and_b32_e32 v4, 0x7f, v3
	v_cmpx_ne_u32_e32 0x7f, v4
	s_cbranch_execz .LBB336_483
; %bb.480:                              ;   in Loop: Header=BB336_283 Depth=1
	v_and_b32_e32 v10, 7, v3
	v_lshrrev_b32_e32 v3, 3, v4
	s_mov_b32 s57, exec_lo
	v_cmpx_gt_u32_e32 8, v4
; %bb.481:                              ;   in Loop: Header=BB336_283 Depth=1
	v_ffbh_u32_e32 v3, v10
	v_min_u32_e32 v3, 32, v3
	v_subrev_nc_u32_e32 v4, 28, v3
	v_sub_nc_u32_e32 v3, 29, v3
	v_lshlrev_b64 v[42:43], v4, v[10:11]
	v_and_b32_e32 v10, 7, v42
; %bb.482:                              ;   in Loop: Header=BB336_283 Depth=1
	s_or_b32 exec_lo, exec_lo, s57
	v_lshlrev_b32_e32 v4, 16, v1
	v_lshlrev_b32_e32 v10, 20, v10
	v_lshl_add_u32 v3, v3, 23, 0x3c000000
	v_and_b32_e32 v4, 0x80000000, v4
	v_or3_b32 v15, v10, v4, v3
.LBB336_483:                            ;   in Loop: Header=BB336_283 Depth=1
	s_or_b32 exec_lo, exec_lo, s56
.LBB336_484:                            ;   in Loop: Header=BB336_283 Depth=1
	s_or_b32 exec_lo, exec_lo, s55
.LBB336_485:                            ;   in Loop: Header=BB336_283 Depth=1
	s_or_b32 exec_lo, exec_lo, s54
	v_and_b32_sdwa v3, v1, v34 dst_sel:DWORD dst_unused:UNUSED_PAD src0_sel:WORD_1 src1_sel:DWORD
	v_mov_b32_e32 v43, 0
	v_mov_b32_e32 v42, 0
	s_mov_b32 s54, exec_lo
	v_cmpx_ne_u16_e32 0, v3
	s_cbranch_execz .LBB336_493
; %bb.486:                              ;   in Loop: Header=BB336_283 Depth=1
	v_bfrev_b32_e32 v42, 1
	s_mov_b32 s55, exec_lo
	v_cmpx_ne_u16_e32 0x80, v3
	s_cbranch_execz .LBB336_492
; %bb.487:                              ;   in Loop: Header=BB336_283 Depth=1
	v_bfe_u32 v4, v1, 16, 7
	v_mov_b32_e32 v42, 0x7f800001
	s_mov_b32 s56, exec_lo
	v_cmpx_ne_u32_e32 0x7f, v4
	s_cbranch_execz .LBB336_491
; %bb.488:                              ;   in Loop: Header=BB336_283 Depth=1
	v_and_b32_sdwa v10, v1, v35 dst_sel:DWORD dst_unused:UNUSED_PAD src0_sel:WORD_1 src1_sel:DWORD
	v_lshrrev_b32_e32 v3, 3, v4
	s_mov_b32 s57, exec_lo
	v_cmpx_gt_u32_e32 8, v4
; %bb.489:                              ;   in Loop: Header=BB336_283 Depth=1
	v_ffbh_u32_e32 v3, v10
	v_min_u32_e32 v3, 32, v3
	v_subrev_nc_u32_e32 v4, 28, v3
	v_sub_nc_u32_e32 v3, 29, v3
	v_lshlrev_b64 v[63:64], v4, v[10:11]
	v_and_b32_e32 v10, 7, v63
; %bb.490:                              ;   in Loop: Header=BB336_283 Depth=1
	s_or_b32 exec_lo, exec_lo, s57
	v_lshlrev_b32_sdwa v4, v36, v1 dst_sel:DWORD dst_unused:UNUSED_PAD src0_sel:DWORD src1_sel:WORD_1
	v_lshlrev_b32_e32 v10, 20, v10
	v_lshl_add_u32 v3, v3, 23, 0x3c000000
	v_and_b32_e32 v4, 0x80000000, v4
	v_or3_b32 v42, v10, v4, v3
.LBB336_491:                            ;   in Loop: Header=BB336_283 Depth=1
	s_or_b32 exec_lo, exec_lo, s56
.LBB336_492:                            ;   in Loop: Header=BB336_283 Depth=1
	s_or_b32 exec_lo, exec_lo, s55
.LBB336_493:                            ;   in Loop: Header=BB336_283 Depth=1
	s_or_b32 exec_lo, exec_lo, s54
	s_mov_b32 s54, exec_lo
	v_cmpx_lt_u32_e32 0xffffff, v1
	s_cbranch_execz .LBB336_501
; %bb.494:                              ;   in Loop: Header=BB336_283 Depth=1
	v_cmp_ne_u32_sdwa s26, v1, v32 src0_sel:BYTE_3 src1_sel:DWORD
	v_bfrev_b32_e32 v43, 1
	s_and_saveexec_b32 s55, s26
	s_cbranch_execz .LBB336_500
; %bb.495:                              ;   in Loop: Header=BB336_283 Depth=1
	v_bfe_u32 v4, v1, 24, 7
	v_mov_b32_e32 v43, 0x7f800001
	s_mov_b32 s56, exec_lo
	v_cmpx_ne_u32_e32 0x7f, v4
	s_cbranch_execz .LBB336_499
; %bb.496:                              ;   in Loop: Header=BB336_283 Depth=1
	v_and_b32_sdwa v10, v1, v35 dst_sel:DWORD dst_unused:UNUSED_PAD src0_sel:BYTE_3 src1_sel:DWORD
	v_lshrrev_b32_e32 v3, 3, v4
	s_mov_b32 s57, exec_lo
	v_cmpx_gt_u32_e32 8, v4
; %bb.497:                              ;   in Loop: Header=BB336_283 Depth=1
	v_ffbh_u32_e32 v3, v10
	v_min_u32_e32 v3, 32, v3
	v_subrev_nc_u32_e32 v4, 28, v3
	v_sub_nc_u32_e32 v3, 29, v3
	v_lshlrev_b64 v[63:64], v4, v[10:11]
	v_and_b32_e32 v10, 7, v63
; %bb.498:                              ;   in Loop: Header=BB336_283 Depth=1
	s_or_b32 exec_lo, exec_lo, s57
	v_lshlrev_b32_sdwa v4, v36, v1 dst_sel:DWORD dst_unused:UNUSED_PAD src0_sel:DWORD src1_sel:BYTE_3
	v_lshlrev_b32_e32 v10, 20, v10
	v_lshl_add_u32 v3, v3, 23, 0x3c000000
	v_and_b32_e32 v4, 0x80000000, v4
	v_or3_b32 v43, v10, v4, v3
.LBB336_499:                            ;   in Loop: Header=BB336_283 Depth=1
	s_or_b32 exec_lo, exec_lo, s56
.LBB336_500:                            ;   in Loop: Header=BB336_283 Depth=1
	s_or_b32 exec_lo, exec_lo, s55
.LBB336_501:                            ;   in Loop: Header=BB336_283 Depth=1
	s_or_b32 exec_lo, exec_lo, s54
	v_mov_b32_e32 v10, v2
	v_cmp_ne_u16_sdwa s26, v2, v11 src0_sel:BYTE_0 src1_sel:DWORD
	v_mov_b32_e32 v3, 0
	v_mov_b32_e32 v63, 0
	s_and_saveexec_b32 s54, s26
	s_cbranch_execz .LBB336_507
; %bb.502:                              ;   in Loop: Header=BB336_283 Depth=1
	v_cmp_ne_u16_sdwa s26, v2, v32 src0_sel:BYTE_0 src1_sel:DWORD
	v_bfrev_b32_e32 v63, 1
	s_and_saveexec_b32 s55, s26
	s_cbranch_execz .LBB336_506
; %bb.503:                              ;   in Loop: Header=BB336_283 Depth=1
	v_and_b32_e32 v4, 0x7f, v2
	v_mov_b32_e32 v63, 0x7f800001
	s_mov_b32 s56, exec_lo
	v_cmpx_ne_u32_e32 0x7f, v4
	s_cbranch_execz .LBB336_505
; %bb.504:                              ;   in Loop: Header=BB336_283 Depth=1
	v_and_b32_e32 v63, 7, v2
	v_lshrrev_b32_e32 v64, 3, v4
	v_cmp_gt_u32_e64 s26, 8, v4
	v_ffbh_u32_e32 v63, v63
	v_min_u32_e32 v63, 32, v63
	v_subrev_nc_u32_e32 v65, 28, v63
	v_sub_nc_u32_e32 v63, 29, v63
	v_cndmask_b32_e64 v4, v64, v63, s26
	v_cndmask_b32_e64 v63, 0, v65, s26
	v_lshl_add_u32 v4, v4, 23, 0x3c000000
	v_lshlrev_b64 v[63:64], v63, v[10:11]
	v_lshlrev_b32_e32 v64, 24, v10
	v_lshlrev_b32_e32 v63, 20, v63
	v_and_b32_e32 v64, 0x80000000, v64
	v_and_b32_e32 v63, 0x700000, v63
	v_or3_b32 v63, v63, v64, v4
.LBB336_505:                            ;   in Loop: Header=BB336_283 Depth=1
	s_or_b32 exec_lo, exec_lo, s56
.LBB336_506:                            ;   in Loop: Header=BB336_283 Depth=1
	s_or_b32 exec_lo, exec_lo, s55
.LBB336_507:                            ;   in Loop: Header=BB336_283 Depth=1
	s_or_b32 exec_lo, exec_lo, s54
	v_cmp_ne_u16_sdwa s26, v10, v11 src0_sel:BYTE_1 src1_sel:DWORD
	s_and_saveexec_b32 s54, s26
	s_cbranch_execz .LBB336_515
; %bb.508:                              ;   in Loop: Header=BB336_283 Depth=1
	v_cmp_ne_u16_sdwa s26, v10, v32 src0_sel:BYTE_1 src1_sel:DWORD
	v_bfrev_b32_e32 v3, 1
	s_and_saveexec_b32 s55, s26
	s_cbranch_execz .LBB336_514
; %bb.509:                              ;   in Loop: Header=BB336_283 Depth=1
	v_and_b32_sdwa v4, v33, v10 dst_sel:DWORD dst_unused:UNUSED_PAD src0_sel:DWORD src1_sel:BYTE_1
	v_mov_b32_e32 v3, 0x7f800001
	s_mov_b32 s56, exec_lo
	v_and_b32_e32 v65, 0x7f, v4
	v_cmpx_ne_u32_e32 0x7f, v65
	s_cbranch_execz .LBB336_513
; %bb.510:                              ;   in Loop: Header=BB336_283 Depth=1
	v_and_b32_e32 v3, 7, v4
	v_mov_b32_e32 v4, v11
	v_lshrrev_b32_e32 v64, 3, v65
	s_mov_b32 s57, exec_lo
	v_cmpx_gt_u32_e32 8, v65
; %bb.511:                              ;   in Loop: Header=BB336_283 Depth=1
	v_ffbh_u32_e32 v64, v3
	v_min_u32_e32 v64, 32, v64
	v_subrev_nc_u32_e32 v65, 28, v64
	v_sub_nc_u32_e32 v64, 29, v64
	v_lshlrev_b64 v[3:4], v65, v[3:4]
	v_and_b32_e32 v3, 7, v3
; %bb.512:                              ;   in Loop: Header=BB336_283 Depth=1
	s_or_b32 exec_lo, exec_lo, s57
	v_lshlrev_b32_e32 v4, 16, v10
	v_lshlrev_b32_e32 v3, 20, v3
	v_lshl_add_u32 v10, v64, 23, 0x3c000000
	v_and_b32_e32 v4, 0x80000000, v4
	v_or3_b32 v3, v3, v4, v10
.LBB336_513:                            ;   in Loop: Header=BB336_283 Depth=1
	s_or_b32 exec_lo, exec_lo, s56
.LBB336_514:                            ;   in Loop: Header=BB336_283 Depth=1
	s_or_b32 exec_lo, exec_lo, s55
.LBB336_515:                            ;   in Loop: Header=BB336_283 Depth=1
	s_or_b32 exec_lo, exec_lo, s54
	v_and_b32_sdwa v10, v2, v34 dst_sel:DWORD dst_unused:UNUSED_PAD src0_sel:WORD_1 src1_sel:DWORD
	v_mov_b32_e32 v4, 0
	v_mov_b32_e32 v64, 0
	s_mov_b32 s54, exec_lo
	v_cmpx_ne_u16_e32 0, v10
	s_cbranch_execz .LBB336_523
; %bb.516:                              ;   in Loop: Header=BB336_283 Depth=1
	v_bfrev_b32_e32 v64, 1
	s_mov_b32 s55, exec_lo
	v_cmpx_ne_u16_e32 0x80, v10
	s_cbranch_execz .LBB336_522
; %bb.517:                              ;   in Loop: Header=BB336_283 Depth=1
	v_bfe_u32 v65, v2, 16, 7
	v_mov_b32_e32 v64, 0x7f800001
	s_mov_b32 s56, exec_lo
	v_cmpx_ne_u32_e32 0x7f, v65
	s_cbranch_execz .LBB336_521
; %bb.518:                              ;   in Loop: Header=BB336_283 Depth=1
	v_and_b32_sdwa v10, v2, v35 dst_sel:DWORD dst_unused:UNUSED_PAD src0_sel:WORD_1 src1_sel:DWORD
	v_lshrrev_b32_e32 v64, 3, v65
	s_mov_b32 s57, exec_lo
	v_cmpx_gt_u32_e32 8, v65
; %bb.519:                              ;   in Loop: Header=BB336_283 Depth=1
	v_ffbh_u32_e32 v64, v10
	v_min_u32_e32 v64, 32, v64
	v_subrev_nc_u32_e32 v65, 28, v64
	v_sub_nc_u32_e32 v64, 29, v64
	v_lshlrev_b64 v[65:66], v65, v[10:11]
	v_and_b32_e32 v10, 7, v65
; %bb.520:                              ;   in Loop: Header=BB336_283 Depth=1
	s_or_b32 exec_lo, exec_lo, s57
	v_lshlrev_b32_sdwa v65, v36, v2 dst_sel:DWORD dst_unused:UNUSED_PAD src0_sel:DWORD src1_sel:WORD_1
	v_lshlrev_b32_e32 v10, 20, v10
	v_lshl_add_u32 v64, v64, 23, 0x3c000000
	v_and_b32_e32 v65, 0x80000000, v65
	v_or3_b32 v64, v10, v65, v64
.LBB336_521:                            ;   in Loop: Header=BB336_283 Depth=1
	s_or_b32 exec_lo, exec_lo, s56
.LBB336_522:                            ;   in Loop: Header=BB336_283 Depth=1
	s_or_b32 exec_lo, exec_lo, s55
.LBB336_523:                            ;   in Loop: Header=BB336_283 Depth=1
	s_or_b32 exec_lo, exec_lo, s54
	s_mov_b32 s54, exec_lo
	v_cmpx_lt_u64_e64 s[40:41], v[1:2]
	s_cbranch_execz .LBB336_531
; %bb.524:                              ;   in Loop: Header=BB336_283 Depth=1
	v_cmp_ne_u32_sdwa s26, v2, v32 src0_sel:BYTE_3 src1_sel:DWORD
	v_bfrev_b32_e32 v4, 1
	s_and_saveexec_b32 s55, s26
	s_cbranch_execz .LBB336_530
; %bb.525:                              ;   in Loop: Header=BB336_283 Depth=1
	v_bfe_u32 v65, v2, 24, 7
	v_mov_b32_e32 v4, 0x7f800001
	s_mov_b32 s56, exec_lo
	v_cmpx_ne_u32_e32 0x7f, v65
	s_cbranch_execz .LBB336_529
; %bb.526:                              ;   in Loop: Header=BB336_283 Depth=1
	v_and_b32_sdwa v10, v2, v35 dst_sel:DWORD dst_unused:UNUSED_PAD src0_sel:BYTE_3 src1_sel:DWORD
	v_lshrrev_b32_e32 v1, 3, v65
	s_mov_b32 s57, exec_lo
	v_cmpx_gt_u32_e32 8, v65
; %bb.527:                              ;   in Loop: Header=BB336_283 Depth=1
	v_ffbh_u32_e32 v1, v10
	v_min_u32_e32 v1, 32, v1
	v_subrev_nc_u32_e32 v4, 28, v1
	v_sub_nc_u32_e32 v1, 29, v1
	v_lshlrev_b64 v[65:66], v4, v[10:11]
	v_and_b32_e32 v10, 7, v65
; %bb.528:                              ;   in Loop: Header=BB336_283 Depth=1
	s_or_b32 exec_lo, exec_lo, s57
	v_lshlrev_b32_sdwa v2, v36, v2 dst_sel:DWORD dst_unused:UNUSED_PAD src0_sel:DWORD src1_sel:BYTE_3
	v_lshlrev_b32_e32 v4, 20, v10
	v_lshl_add_u32 v1, v1, 23, 0x3c000000
	v_and_b32_e32 v2, 0x80000000, v2
	v_or3_b32 v4, v4, v2, v1
.LBB336_529:                            ;   in Loop: Header=BB336_283 Depth=1
	s_or_b32 exec_lo, exec_lo, s56
.LBB336_530:                            ;   in Loop: Header=BB336_283 Depth=1
	s_or_b32 exec_lo, exec_lo, s55
.LBB336_531:                            ;   in Loop: Header=BB336_283 Depth=1
	s_or_b32 exec_lo, exec_lo, s54
	v_mul_f32_e32 v1, s52, v3
	v_mul_f32_e32 v2, s52, v63
	v_mul_f32_e32 v3, s52, v43
	v_mul_f32_e32 v42, s52, v42
	v_mul_f32_e32 v15, s52, v15
	v_bfe_u32 v10, v1, 16, 1
	v_or_b32_e32 v43, 0x400000, v1
	v_bfe_u32 v63, v2, 16, 1
	v_cmp_u_f32_e64 s26, v1, v1
	v_or_b32_e32 v65, 0x400000, v2
	v_add3_u32 v10, v10, v1, 0x7fff
	v_bfe_u32 v66, v3, 16, 1
	v_add3_u32 v63, v63, v2, 0x7fff
	v_or_b32_e32 v67, 0x400000, v3
	v_bfe_u32 v68, v42, 16, 1
	v_cndmask_b32_e64 v1, v10, v43, s26
	v_cmp_u_f32_e64 s26, v2, v2
	v_add3_u32 v66, v66, v3, 0x7fff
	v_mul_f32_e32 v14, s52, v14
	v_add3_u32 v43, v68, v42, 0x7fff
	v_lshrrev_b32_e32 v2, 16, v1
	v_cndmask_b32_e64 v10, v63, v65, s26
	v_cmp_u_f32_e64 s26, v3, v3
	v_or_b32_e32 v63, 0x400000, v42
	v_mul_f32_e32 v4, s52, v4
	v_lshrrev_b32_e32 v1, 16, v10
	v_cndmask_b32_e64 v3, v66, v67, s26
	v_cmp_u_f32_e64 s26, v42, v42
	v_or_b32_e32 v67, 0x400000, v4
	v_lshrrev_b32_e32 v10, 16, v3
	v_bfe_u32 v3, v15, 16, 1
	v_cndmask_b32_e64 v42, v43, v63, s26
	v_mul_f32_e32 v43, s52, v64
	v_or_b32_e32 v63, 0x400000, v15
	v_bfe_u32 v64, v14, 16, 1
	v_add3_u32 v3, v3, v15, 0x7fff
	v_cmp_u_f32_e64 s26, v15, v15
	v_bfe_u32 v65, v43, 16, 1
	v_bfe_u32 v15, v4, 16, 1
	v_or_b32_e32 v66, 0x400000, v43
	v_cndmask_b32_e64 v3, v3, v63, s26
	v_add3_u32 v63, v64, v14, 0x7fff
	v_or_b32_e32 v64, 0x400000, v14
	v_cmp_u_f32_e64 s26, v14, v14
	v_add3_u32 v65, v65, v43, 0x7fff
	v_add3_u32 v15, v15, v4, 0x7fff
	v_lshrrev_b32_e32 v14, 16, v42
	v_lshrrev_b32_e32 v42, 16, v3
	v_cndmask_b32_e64 v63, v63, v64, s26
	v_cmp_u_f32_e64 s26, v43, v43
	v_cndmask_b32_e64 v43, v65, v66, s26
	v_cmp_u_f32_e64 s26, v4, v4
	v_lshrrev_b32_e32 v3, 16, v43
	v_cndmask_b32_e64 v4, v15, v67, s26
	v_lshrrev_b32_e32 v15, 16, v63
	v_lshrrev_b32_e32 v4, 16, v4
	s_and_saveexec_b32 s26, s0
	s_cbranch_execz .LBB336_280
; %bb.532:                              ;   in Loop: Header=BB336_283 Depth=1
	v_add_nc_u32_e32 v43, 1, v26
	v_cmp_gt_i32_e64 s0, s33, v26
	v_add_nc_u32_e32 v63, 2, v26
	v_add_nc_u32_e32 v64, 3, v26
	v_cndmask_b32_e64 v15, 0, v15, s0
	v_cmp_gt_i32_e64 s0, s33, v43
	v_add_nc_u32_e32 v43, 4, v26
	v_cndmask_b32_e64 v42, 0, v42, s0
	v_cmp_gt_i32_e64 s0, s33, v63
	;; [unrolled: 3-line block ×5, first 2 shown]
	v_cndmask_b32_e64 v2, 0, v2, s0
	v_cmp_gt_i32_e64 s0, s33, v64
	v_cndmask_b32_e64 v3, 0, v3, s0
	v_cmp_gt_i32_e64 s0, s33, v43
	v_cndmask_b32_e64 v4, 0, v4, s0
	s_branch .LBB336_280
.LBB336_533:
	s_or_b32 exec_lo, exec_lo, s27
.LBB336_534:
	s_or_b32 exec_lo, exec_lo, s29
	s_movk_i32 s0, 0x1e0
	v_and_b32_e32 v1, 0x3c0, v0
	v_mad_u32_u24 v4, v25, s0, 0x110
	v_or_b32_e32 v3, 0x60, v0
	s_mov_b32 s0, exec_lo
	s_waitcnt_vscnt null, 0x0
	s_barrier
	buffer_gl0_inv
	v_cmpx_eq_u32_e32 64, v1
	s_cbranch_execz .LBB336_537
; %bb.535:
	v_add_nc_u32_e32 v1, 0xfffffc40, v4
	v_cmp_gt_u32_e32 vcc_lo, 0x78, v3
	v_lshl_add_u32 v2, v22, 2, v1
	ds_write2_b32 v2, v29, v28 offset1:32
	ds_write_b32 v2, v27 offset:256
	s_and_b32 exec_lo, exec_lo, vcc_lo
; %bb.536:
	v_lshl_add_u32 v1, v3, 2, v1
	ds_write_b32 v1, v24
.LBB336_537:
	s_or_b32 exec_lo, exec_lo, s0
	v_lshl_add_u32 v5, v22, 2, v4
	s_mov_b32 s0, exec_lo
	s_waitcnt lgkmcnt(0)
	s_barrier
	buffer_gl0_inv
	v_cmpx_gt_u32_e32 64, v0
	s_cbranch_execz .LBB336_541
; %bb.538:
	v_lshl_or_b32 v1, v0, 2, 0x80
	s_mov_b32 s1, exec_lo
	v_add_nc_u32_e32 v6, v4, v1
	ds_read2st64_b32 v[1:2], v5 offset1:1
	ds_read_b32 v6, v6
	v_cmpx_gt_u32_e32 0x78, v3
	s_cbranch_execz .LBB336_540
; %bb.539:
	v_lshl_add_u32 v7, v3, 2, v4
	ds_read_b32 v7, v7
	s_waitcnt lgkmcnt(0)
	v_add_f32_e32 v24, v24, v7
.LBB336_540:
	s_or_b32 exec_lo, exec_lo, s1
	s_waitcnt lgkmcnt(1)
	v_add_f32_e32 v29, v29, v1
	s_waitcnt lgkmcnt(0)
	v_add_f32_e32 v28, v28, v6
	v_add_f32_e32 v27, v27, v2
.LBB336_541:
	s_or_b32 exec_lo, exec_lo, s0
	v_and_b32_e32 v1, 0x3e0, v0
	s_mov_b32 s0, exec_lo
	s_barrier
	buffer_gl0_inv
	v_cmpx_eq_u32_e32 32, v1
	s_cbranch_execz .LBB336_544
; %bb.542:
	v_lshl_add_u32 v1, v22, 2, 0x110
	v_cmp_gt_u32_e32 vcc_lo, 0x78, v3
	ds_write_b32 v1, v29
	ds_write_b32 v23, v28
	ds_write_b32 v1, v27 offset:256
	s_and_b32 exec_lo, exec_lo, vcc_lo
; %bb.543:
	v_lshl_add_u32 v1, v3, 2, 0x110
	ds_write_b32 v1, v24
.LBB336_544:
	s_or_b32 exec_lo, exec_lo, s0
	v_cmp_gt_u32_e32 vcc_lo, 32, v0
	s_waitcnt lgkmcnt(0)
	s_barrier
	buffer_gl0_inv
	s_and_saveexec_b32 s1, vcc_lo
	s_cbranch_execz .LBB336_548
; %bb.545:
	v_lshl_add_u32 v6, v0, 2, v4
	s_mov_b32 s2, exec_lo
	ds_read_b32 v4, v5
	ds_read2_b32 v[1:2], v6 offset0:32 offset1:64
	v_cmpx_gt_u32_e32 0x78, v3
	s_cbranch_execz .LBB336_547
; %bb.546:
	ds_read_b32 v5, v6 offset:384
	s_waitcnt lgkmcnt(0)
	v_add_f32_e32 v24, v24, v5
.LBB336_547:
	s_or_b32 exec_lo, exec_lo, s2
	s_waitcnt lgkmcnt(1)
	v_add_f32_e32 v29, v29, v4
	s_waitcnt lgkmcnt(0)
	v_add_f32_e32 v28, v28, v1
	v_add_f32_e32 v27, v27, v2
.LBB336_548:
	s_or_b32 exec_lo, exec_lo, s1
	s_barrier
	buffer_gl0_inv
	s_and_saveexec_b32 s0, vcc_lo
	s_cbranch_execz .LBB336_551
; %bb.549:
	v_bfe_u32 v1, v29, 16, 1
	v_bfe_u32 v2, v28, 16, 1
	v_or_b32_e32 v5, 0x400000, v29
	v_cmp_u_f32_e32 vcc_lo, v29, v29
	s_mul_i32 s0, s28, 0x78
	v_add3_u32 v1, v1, v29, 0x7fff
	s_ashr_i32 s1, s0, 31
	v_bfe_u32 v4, v27, 16, 1
	s_lshl_b64 s[0:1], s[0:1], 1
	v_add3_u32 v2, v2, v28, 0x7fff
	v_or_b32_e32 v6, 0x400000, v28
	v_cndmask_b32_e32 v1, v1, v5, vcc_lo
	v_cmp_u_f32_e32 vcc_lo, v28, v28
	s_mul_i32 s2, s35, s34
	s_add_u32 s4, s36, s0
	s_addc_u32 s1, s37, s1
	s_ashr_i32 s3, s2, 31
	v_add3_u32 v4, v4, v27, 0x7fff
	s_lshl_b64 s[2:3], s[2:3], 1
	v_or_b32_e32 v7, 0x400000, v27
	v_cndmask_b32_e32 v2, v2, v6, vcc_lo
	v_cmp_u_f32_e32 vcc_lo, v27, v27
	s_mul_i32 s0, s8, 0x78
	s_add_u32 s2, s4, s2
	s_addc_u32 s3, s1, s3
	s_ashr_i32 s1, s0, 31
	v_lshlrev_b32_e32 v0, 1, v0
	s_lshl_b64 s[0:1], s[0:1], 1
	v_cndmask_b32_e32 v4, v4, v7, vcc_lo
	v_cmp_gt_u32_e32 vcc_lo, 0x78, v3
	s_add_u32 s0, s2, s0
	s_addc_u32 s1, s3, s1
	global_store_short_d16_hi v0, v1, s[0:1]
	global_store_short_d16_hi v0, v2, s[0:1] offset:64
	global_store_short_d16_hi v0, v4, s[0:1] offset:128
	s_and_b32 exec_lo, exec_lo, vcc_lo
	s_cbranch_execz .LBB336_551
; %bb.550:
	v_bfe_u32 v1, v24, 16, 1
	v_or_b32_e32 v2, 0x400000, v24
	v_cmp_u_f32_e32 vcc_lo, v24, v24
	v_add_co_u32 v0, s0, s0, v0
	v_add3_u32 v3, v1, v24, 0x7fff
	v_add_co_ci_u32_e64 v1, null, s1, 0, s0
	v_cndmask_b32_e32 v2, v3, v2, vcc_lo
	global_store_short_d16_hi v[0:1], v2, off offset:192
.LBB336_551:
	s_endpgm
	.section	.rodata,"a",@progbits
	.p2align	6, 0x0
	.amdhsa_kernel _ZN4vllm25paged_attention_v2_kernelI14__hip_bfloat16hLi120ELi8ELi128ELNS_18Fp8KVCacheDataTypeE1ELb1ELi512EEEvPfS3_PT_PKS4_PKT0_SA_ifPKiSC_iPKfiiiSE_SE_iiiii
		.amdhsa_group_segment_fixed_size 272
		.amdhsa_private_segment_fixed_size 0
		.amdhsa_kernarg_size 400
		.amdhsa_user_sgpr_count 6
		.amdhsa_user_sgpr_private_segment_buffer 1
		.amdhsa_user_sgpr_dispatch_ptr 0
		.amdhsa_user_sgpr_queue_ptr 0
		.amdhsa_user_sgpr_kernarg_segment_ptr 1
		.amdhsa_user_sgpr_dispatch_id 0
		.amdhsa_user_sgpr_flat_scratch_init 0
		.amdhsa_user_sgpr_private_segment_size 0
		.amdhsa_wavefront_size32 1
		.amdhsa_uses_dynamic_stack 0
		.amdhsa_system_sgpr_private_segment_wavefront_offset 0
		.amdhsa_system_sgpr_workgroup_id_x 1
		.amdhsa_system_sgpr_workgroup_id_y 1
		.amdhsa_system_sgpr_workgroup_id_z 1
		.amdhsa_system_sgpr_workgroup_info 0
		.amdhsa_system_vgpr_workitem_id 0
		.amdhsa_next_free_vgpr 85
		.amdhsa_next_free_sgpr 58
		.amdhsa_reserve_vcc 1
		.amdhsa_reserve_flat_scratch 0
		.amdhsa_float_round_mode_32 0
		.amdhsa_float_round_mode_16_64 0
		.amdhsa_float_denorm_mode_32 3
		.amdhsa_float_denorm_mode_16_64 3
		.amdhsa_dx10_clamp 1
		.amdhsa_ieee_mode 1
		.amdhsa_fp16_overflow 0
		.amdhsa_workgroup_processor_mode 1
		.amdhsa_memory_ordered 1
		.amdhsa_forward_progress 1
		.amdhsa_shared_vgpr_count 0
		.amdhsa_exception_fp_ieee_invalid_op 0
		.amdhsa_exception_fp_denorm_src 0
		.amdhsa_exception_fp_ieee_div_zero 0
		.amdhsa_exception_fp_ieee_overflow 0
		.amdhsa_exception_fp_ieee_underflow 0
		.amdhsa_exception_fp_ieee_inexact 0
		.amdhsa_exception_int_div_zero 0
	.end_amdhsa_kernel
	.section	.text._ZN4vllm25paged_attention_v2_kernelI14__hip_bfloat16hLi120ELi8ELi128ELNS_18Fp8KVCacheDataTypeE1ELb1ELi512EEEvPfS3_PT_PKS4_PKT0_SA_ifPKiSC_iPKfiiiSE_SE_iiiii,"axG",@progbits,_ZN4vllm25paged_attention_v2_kernelI14__hip_bfloat16hLi120ELi8ELi128ELNS_18Fp8KVCacheDataTypeE1ELb1ELi512EEEvPfS3_PT_PKS4_PKT0_SA_ifPKiSC_iPKfiiiSE_SE_iiiii,comdat
.Lfunc_end336:
	.size	_ZN4vllm25paged_attention_v2_kernelI14__hip_bfloat16hLi120ELi8ELi128ELNS_18Fp8KVCacheDataTypeE1ELb1ELi512EEEvPfS3_PT_PKS4_PKT0_SA_ifPKiSC_iPKfiiiSE_SE_iiiii, .Lfunc_end336-_ZN4vllm25paged_attention_v2_kernelI14__hip_bfloat16hLi120ELi8ELi128ELNS_18Fp8KVCacheDataTypeE1ELb1ELi512EEEvPfS3_PT_PKS4_PKT0_SA_ifPKiSC_iPKfiiiSE_SE_iiiii
                                        ; -- End function
	.set _ZN4vllm25paged_attention_v2_kernelI14__hip_bfloat16hLi120ELi8ELi128ELNS_18Fp8KVCacheDataTypeE1ELb1ELi512EEEvPfS3_PT_PKS4_PKT0_SA_ifPKiSC_iPKfiiiSE_SE_iiiii.num_vgpr, 85
	.set _ZN4vllm25paged_attention_v2_kernelI14__hip_bfloat16hLi120ELi8ELi128ELNS_18Fp8KVCacheDataTypeE1ELb1ELi512EEEvPfS3_PT_PKS4_PKT0_SA_ifPKiSC_iPKfiiiSE_SE_iiiii.num_agpr, 0
	.set _ZN4vllm25paged_attention_v2_kernelI14__hip_bfloat16hLi120ELi8ELi128ELNS_18Fp8KVCacheDataTypeE1ELb1ELi512EEEvPfS3_PT_PKS4_PKT0_SA_ifPKiSC_iPKfiiiSE_SE_iiiii.numbered_sgpr, 58
	.set _ZN4vllm25paged_attention_v2_kernelI14__hip_bfloat16hLi120ELi8ELi128ELNS_18Fp8KVCacheDataTypeE1ELb1ELi512EEEvPfS3_PT_PKS4_PKT0_SA_ifPKiSC_iPKfiiiSE_SE_iiiii.num_named_barrier, 0
	.set _ZN4vllm25paged_attention_v2_kernelI14__hip_bfloat16hLi120ELi8ELi128ELNS_18Fp8KVCacheDataTypeE1ELb1ELi512EEEvPfS3_PT_PKS4_PKT0_SA_ifPKiSC_iPKfiiiSE_SE_iiiii.private_seg_size, 0
	.set _ZN4vllm25paged_attention_v2_kernelI14__hip_bfloat16hLi120ELi8ELi128ELNS_18Fp8KVCacheDataTypeE1ELb1ELi512EEEvPfS3_PT_PKS4_PKT0_SA_ifPKiSC_iPKfiiiSE_SE_iiiii.uses_vcc, 1
	.set _ZN4vllm25paged_attention_v2_kernelI14__hip_bfloat16hLi120ELi8ELi128ELNS_18Fp8KVCacheDataTypeE1ELb1ELi512EEEvPfS3_PT_PKS4_PKT0_SA_ifPKiSC_iPKfiiiSE_SE_iiiii.uses_flat_scratch, 0
	.set _ZN4vllm25paged_attention_v2_kernelI14__hip_bfloat16hLi120ELi8ELi128ELNS_18Fp8KVCacheDataTypeE1ELb1ELi512EEEvPfS3_PT_PKS4_PKT0_SA_ifPKiSC_iPKfiiiSE_SE_iiiii.has_dyn_sized_stack, 0
	.set _ZN4vllm25paged_attention_v2_kernelI14__hip_bfloat16hLi120ELi8ELi128ELNS_18Fp8KVCacheDataTypeE1ELb1ELi512EEEvPfS3_PT_PKS4_PKT0_SA_ifPKiSC_iPKfiiiSE_SE_iiiii.has_recursion, 0
	.set _ZN4vllm25paged_attention_v2_kernelI14__hip_bfloat16hLi120ELi8ELi128ELNS_18Fp8KVCacheDataTypeE1ELb1ELi512EEEvPfS3_PT_PKS4_PKT0_SA_ifPKiSC_iPKfiiiSE_SE_iiiii.has_indirect_call, 0
	.section	.AMDGPU.csdata,"",@progbits
; Kernel info:
; codeLenInByte = 22196
; TotalNumSgprs: 60
; NumVgprs: 85
; ScratchSize: 0
; MemoryBound: 0
; FloatMode: 240
; IeeeMode: 1
; LDSByteSize: 272 bytes/workgroup (compile time only)
; SGPRBlocks: 0
; VGPRBlocks: 10
; NumSGPRsForWavesPerEU: 60
; NumVGPRsForWavesPerEU: 85
; Occupancy: 10
; WaveLimiterHint : 1
; COMPUTE_PGM_RSRC2:SCRATCH_EN: 0
; COMPUTE_PGM_RSRC2:USER_SGPR: 6
; COMPUTE_PGM_RSRC2:TRAP_HANDLER: 0
; COMPUTE_PGM_RSRC2:TGID_X_EN: 1
; COMPUTE_PGM_RSRC2:TGID_Y_EN: 1
; COMPUTE_PGM_RSRC2:TGID_Z_EN: 1
; COMPUTE_PGM_RSRC2:TIDIG_COMP_CNT: 0
	.section	.text._ZN4vllm25paged_attention_v2_kernelI14__hip_bfloat16hLi128ELi8ELi128ELNS_18Fp8KVCacheDataTypeE1ELb1ELi512EEEvPfS3_PT_PKS4_PKT0_SA_ifPKiSC_iPKfiiiSE_SE_iiiii,"axG",@progbits,_ZN4vllm25paged_attention_v2_kernelI14__hip_bfloat16hLi128ELi8ELi128ELNS_18Fp8KVCacheDataTypeE1ELb1ELi512EEEvPfS3_PT_PKS4_PKT0_SA_ifPKiSC_iPKfiiiSE_SE_iiiii,comdat
	.protected	_ZN4vllm25paged_attention_v2_kernelI14__hip_bfloat16hLi128ELi8ELi128ELNS_18Fp8KVCacheDataTypeE1ELb1ELi512EEEvPfS3_PT_PKS4_PKT0_SA_ifPKiSC_iPKfiiiSE_SE_iiiii ; -- Begin function _ZN4vllm25paged_attention_v2_kernelI14__hip_bfloat16hLi128ELi8ELi128ELNS_18Fp8KVCacheDataTypeE1ELb1ELi512EEEvPfS3_PT_PKS4_PKT0_SA_ifPKiSC_iPKfiiiSE_SE_iiiii
	.globl	_ZN4vllm25paged_attention_v2_kernelI14__hip_bfloat16hLi128ELi8ELi128ELNS_18Fp8KVCacheDataTypeE1ELb1ELi512EEEvPfS3_PT_PKS4_PKT0_SA_ifPKiSC_iPKfiiiSE_SE_iiiii
	.p2align	8
	.type	_ZN4vllm25paged_attention_v2_kernelI14__hip_bfloat16hLi128ELi8ELi128ELNS_18Fp8KVCacheDataTypeE1ELb1ELi512EEEvPfS3_PT_PKS4_PKT0_SA_ifPKiSC_iPKfiiiSE_SE_iiiii,@function
_ZN4vllm25paged_attention_v2_kernelI14__hip_bfloat16hLi128ELi8ELi128ELNS_18Fp8KVCacheDataTypeE1ELb1ELi512EEEvPfS3_PT_PKS4_PKT0_SA_ifPKiSC_iPKfiiiSE_SE_iiiii: ; @_ZN4vllm25paged_attention_v2_kernelI14__hip_bfloat16hLi128ELi8ELi128ELNS_18Fp8KVCacheDataTypeE1ELb1ELi512EEEvPfS3_PT_PKS4_PKT0_SA_ifPKiSC_iPKfiiiSE_SE_iiiii
; %bb.0:
	s_load_dwordx2 s[0:1], s[4:5], 0x40
	s_mov_b32 s30, s7
	s_ashr_i32 s31, s7, 31
	s_lshl_b64 s[2:3], s[30:31], 2
	s_waitcnt lgkmcnt(0)
	s_add_u32 s0, s0, s2
	s_addc_u32 s1, s1, s3
	s_lshl_b32 s33, s8, 9
	s_load_dword s31, s[0:1], 0x0
	s_waitcnt lgkmcnt(0)
	s_cmp_ge_i32 s33, s31
	s_cbranch_scc1 .LBB337_558
; %bb.1:
	s_clause 0x1
	s_load_dword s9, s[4:5], 0x90
	s_load_dwordx2 s[40:41], s[4:5], 0x30
	s_mov_b32 s43, 0
	s_waitcnt lgkmcnt(0)
	s_abs_i32 s3, s9
	s_abs_i32 s0, s40
	v_cvt_f32_u32_e32 v1, s0
	s_sub_i32 s2, 0, s0
	v_rcp_iflag_f32_e32 v1, v1
	v_mul_f32_e32 v1, 0x4f7ffffe, v1
	v_cvt_u32_f32_e32 v1, v1
	v_readfirstlane_b32 s1, v1
	s_mul_i32 s2, s2, s1
	s_mul_hi_u32 s2, s1, s2
	s_add_i32 s1, s1, s2
	s_xor_b32 s2, s9, s40
	s_mul_hi_u32 s1, s3, s1
	s_ashr_i32 s2, s2, 31
	s_mul_i32 s7, s1, s0
	s_sub_i32 s3, s3, s7
	s_add_i32 s7, s1, 1
	s_sub_i32 s10, s3, s0
	s_cmp_ge_u32 s3, s0
	s_cselect_b32 s1, s7, s1
	s_cselect_b32 s3, s10, s3
	s_add_i32 s7, s1, 1
	s_cmp_ge_u32 s3, s0
	s_cselect_b32 s0, s7, s1
	s_xor_b32 s0, s0, s2
	s_sub_i32 s10, s0, s2
	s_load_dwordx2 s[0:1], s[4:5], 0x50
	s_abs_i32 s2, s10
	v_cvt_f32_u32_e32 v1, s2
	s_sub_i32 s3, 0, s2
	v_rcp_iflag_f32_e32 v1, v1
	v_mul_f32_e32 v1, 0x4f7ffffe, v1
	v_cvt_u32_f32_e32 v1, v1
	v_readfirstlane_b32 s7, v1
	s_mul_i32 s3, s3, s7
	s_mul_hi_u32 s11, s7, s3
	s_abs_i32 s3, s6
	s_add_i32 s7, s7, s11
	s_waitcnt lgkmcnt(0)
	s_cmp_eq_u64 s[0:1], 0
	s_mul_hi_u32 s12, s3, s7
	s_cbranch_scc1 .LBB337_3
; %bb.2:
	s_ashr_i32 s7, s6, 31
	s_lshl_b64 s[14:15], s[6:7], 2
	s_add_u32 s0, s0, s14
	s_addc_u32 s1, s1, s15
	s_load_dword s43, s[0:1], 0x0
.LBB337_3:
	s_load_dwordx4 s[16:19], s[4:5], 0x58
	v_and_b32_e32 v1, 3, v0
	v_cmp_gt_u32_e64 s0, 64, v0
	s_ashr_i32 s1, s6, 31
	s_ashr_i32 s7, s10, 31
	s_lshl_b32 s10, s6, 7
	s_and_saveexec_b32 s13, s0
	s_cbranch_execz .LBB337_5
; %bb.4:
	s_load_dwordx2 s[14:15], s[4:5], 0x18
	s_waitcnt lgkmcnt(0)
	s_mul_i32 s20, s16, s30
	v_lshlrev_b32_e32 v2, 2, v0
	s_ashr_i32 s21, s20, 31
	v_and_b32_e32 v3, 0x3fc, v0
	s_lshl_b64 s[20:21], s[20:21], 1
	v_lshl_add_u32 v3, v1, 6, v3
	s_add_u32 s16, s14, s20
	s_addc_u32 s19, s15, s21
	s_ashr_i32 s11, s10, 31
	s_lshl_b64 s[14:15], s[10:11], 1
	s_add_u32 s14, s16, s14
	s_addc_u32 s15, s19, s15
	global_load_dword v2, v2, s[14:15]
	s_waitcnt vmcnt(0)
	ds_write_b32 v3, v2
.LBB337_5:
	s_or_b32 exec_lo, exec_lo, s13
	s_load_dwordx4 s[20:23], s[4:5], 0x78
	s_mul_i32 s11, s12, s2
	s_xor_b32 s1, s1, s7
	s_sub_i32 s3, s3, s11
	s_add_i32 s7, s12, 1
	s_sub_i32 s11, s3, s2
	s_cmp_ge_u32 s3, s2
	s_mov_b32 s13, -1
	s_cselect_b32 s7, s7, s12
	s_cselect_b32 s3, s11, s3
	s_add_i32 s11, s7, 1
	s_cmp_ge_u32 s3, s2
                                        ; implicit-def: $sgpr19
	s_cselect_b32 s2, s11, s7
	s_load_dword s7, s[4:5], 0x88
	s_xor_b32 s2, s2, s1
	s_add_i32 s12, s31, -1
	s_sub_i32 s2, s2, s1
	s_abs_i32 s3, s12
	s_waitcnt lgkmcnt(0)
	s_abs_i32 s11, s23
	s_barrier
	v_cvt_f32_u32_e32 v2, s11
	s_sub_i32 s1, 0, s11
	buffer_gl0_inv
	v_rcp_iflag_f32_e32 v2, v2
	v_mul_f32_e32 v2, 0x4f7ffffe, v2
	v_cvt_u32_f32_e32 v2, v2
	v_readfirstlane_b32 s16, v2
	s_mul_i32 s1, s1, s16
	s_mul_hi_u32 s1, s16, s1
	s_add_i32 s16, s16, s1
	s_cmp_lt_i32 s7, 0
	s_mul_hi_u32 s1, s3, s16
	s_cbranch_scc0 .LBB337_7
; %bb.6:
	s_mul_i32 s13, s20, s40
	s_add_i32 s13, s2, s13
	s_mul_i32 s13, s13, s7
	s_sub_i32 s19, 1, s13
	s_mov_b32 s13, 0
.LBB337_7:
	s_load_dwordx2 s[34:35], s[4:5], 0x38
	s_ashr_i32 s36, s12, 31
	s_andn2_b32 vcc_lo, exec_lo, s13
	s_ashr_i32 s23, s23, 31
	s_cbranch_vccnz .LBB337_9
; %bb.8:
	s_mul_i32 s12, s9, s20
	s_add_i32 s12, s12, s6
	s_mul_i32 s7, s12, s7
	s_add_i32 s19, s7, 1
.LBB337_9:
	s_clause 0x5
	s_load_dword s20, s[4:5], 0x48
	s_load_dwordx2 s[38:39], s[4:5], 0x28
	s_load_dwordx4 s[24:27], s[4:5], 0x0
	s_load_dwordx2 s[28:29], s[4:5], 0x10
	s_load_dword s7, s[4:5], 0x98
	s_load_dwordx4 s[12:15], s[4:5], 0x68
	s_xor_b32 s42, s36, s23
	s_mul_i32 s36, s1, s11
	s_add_i32 s40, s1, 1
	s_sub_i32 s3, s3, s36
	v_lshrrev_b32_e32 v27, 5, v0
	v_mov_b32_e32 v30, 0xff7fffff
	v_mbcnt_lo_u32_b32 v29, -1, 0
	s_mul_i32 s18, s2, s18
	v_lshl_add_u32 v28, v27, 3, s33
	s_waitcnt lgkmcnt(0)
	s_mul_i32 s36, s20, s30
	s_sub_i32 s20, s3, s11
	s_ashr_i32 s37, s36, 31
	s_cmp_ge_u32 s3, s11
	s_cselect_b32 s1, s40, s1
	s_cselect_b32 s3, s20, s3
	s_add_i32 s20, s1, 1
	s_cmp_ge_u32 s3, s11
	s_cselect_b32 s1, s20, s1
	s_add_i32 s3, s31, 7
	s_lshl_b32 s44, s8, 6
	s_ashr_i32 s20, s3, 31
	v_or_b32_e32 v17, s44, v27
	s_lshr_b32 s20, s20, 29
	s_add_i32 s3, s3, s20
	s_add_i32 s20, s44, 64
	s_ashr_i32 s40, s3, 3
	s_xor_b32 s3, s1, s42
	s_min_i32 s20, s20, s40
	v_ashrrev_i32_e32 v18, 31, v17
	v_cmp_gt_i32_e64 s1, s20, v17
	s_sub_i32 s42, s3, s42
	s_and_saveexec_b32 s45, s1
	s_cbranch_execz .LBB337_277
; %bb.10:
	s_load_dwordx2 s[2:3], s[4:5], 0x20
	s_sub_i32 s5, s42, s21
	s_ashr_i32 s4, s18, 31
	v_bfe_u32 v31, v0, 2, 3
	v_cmp_eq_u32_e32 vcc_lo, 0, v1
	v_lshlrev_b32_e32 v4, 1, v1
	v_lshlrev_b32_e32 v32, 6, v1
	v_mov_b32_e32 v20, 0
	v_lshlrev_b32_e32 v5, 2, v31
	v_subrev_nc_u32_e32 v6, s31, v31
	v_lshlrev_b32_e32 v7, 4, v31
	v_lshl_add_u32 v33, v27, 3, s33
	v_mov_b32_e32 v34, 0xff7fffff
	v_lshl_or_b32 v5, v27, 5, v5
	v_add_nc_u32_e32 v37, 1, v6
	v_mov_b32_e32 v35, 0x80
	v_mov_b32_e32 v36, 0xffff
	;; [unrolled: 1-line block ×3, first 2 shown]
	v_add_nc_u32_e32 v38, 0x120, v5
	v_mov_b32_e32 v40, v17
	s_waitcnt lgkmcnt(0)
	s_add_u32 s47, s2, s18
	s_addc_u32 s3, s3, s4
	s_abs_i32 s46, s22
	s_lshl_b64 s[48:49], s[36:37], 2
	v_cvt_f32_u32_e32 v2, s46
	s_sub_i32 s4, 0, s46
	v_cmp_neq_f32_e64 s2, s43, 0
	v_rcp_iflag_f32_e32 v3, v2
	v_lshlrev_b64 v[1:2], 2, v[17:18]
	v_mul_f32_e32 v3, 0x4f7ffffe, v3
	v_cvt_u32_f32_e32 v3, v3
	v_mul_lo_u32 v5, s4, v3
	v_add_co_u32 v6, s4, s47, v7
	v_add_co_ci_u32_e64 v7, null, s3, 0, s4
	s_add_u32 s3, s34, s48
	s_addc_u32 s4, s35, s49
	v_add_co_u32 v21, s3, s3, v1
	v_mul_hi_u32 v5, v3, v5
	v_add_co_ci_u32_e64 v22, null, s4, v2, s3
	v_add_co_u32 v23, s3, v6, v4
	v_add_co_ci_u32_e64 v24, null, 0, v7, s3
	s_mov_b32 s47, 0
	v_add_nc_u32_e32 v39, v3, v5
	s_mov_b32 s48, s17
	s_branch .LBB337_13
.LBB337_11:                             ;   in Loop: Header=BB337_13 Depth=1
	s_or_b32 exec_lo, exec_lo, s49
.LBB337_12:                             ;   in Loop: Header=BB337_13 Depth=1
	s_or_b32 exec_lo, exec_lo, s4
	v_add_nc_u32_e32 v40, 4, v40
	v_add_co_u32 v21, s4, v21, 16
	v_add_co_ci_u32_e64 v22, null, 0, v22, s4
	v_cmp_le_i32_e64 s3, s20, v40
	v_add_nc_u32_e32 v33, 32, v33
	v_add_nc_u32_e32 v38, 0x80, v38
	s_or_b32 s47, s3, s47
	s_andn2_b32 exec_lo, exec_lo, s47
	s_cbranch_execz .LBB337_276
.LBB337_13:                             ; =>This Inner Loop Header: Depth=1
	v_sub_nc_u32_e32 v1, 0, v33
	v_max_i32_e32 v1, v33, v1
	s_waitcnt lgkmcnt(0)
	v_mul_hi_u32 v2, v1, s16
	v_mul_lo_u32 v3, v2, s11
	v_sub_nc_u32_e32 v1, v1, v3
	v_add_nc_u32_e32 v3, 1, v2
	v_subrev_nc_u32_e32 v4, s11, v1
	v_cmp_le_u32_e64 s3, s11, v1
	v_cndmask_b32_e64 v2, v2, v3, s3
	v_cndmask_b32_e64 v1, v1, v4, s3
	v_ashrrev_i32_e32 v3, 31, v33
	v_add_nc_u32_e32 v4, 1, v2
	v_cmp_le_u32_e64 s3, s11, v1
	v_xor_b32_e32 v3, s23, v3
	v_cndmask_b32_e64 v1, v2, v4, s3
	v_xor_b32_e32 v1, v1, v3
	v_sub_nc_u32_e32 v1, v1, v3
	v_add_nc_u32_e32 v2, s19, v1
	v_cmp_ge_i32_e64 s4, s5, v1
	v_sub_nc_u32_e32 v3, 0, v2
	v_max_i32_e32 v3, v2, v3
	v_ashrrev_i32_e32 v2, 31, v2
	v_mul_hi_u32 v4, v3, v39
	v_mul_lo_u32 v4, v4, s46
	v_sub_nc_u32_e32 v3, v3, v4
	v_subrev_nc_u32_e32 v4, s46, v3
	v_cmp_le_u32_e64 s3, s46, v3
	v_cndmask_b32_e64 v3, v3, v4, s3
	v_subrev_nc_u32_e32 v4, s46, v3
	v_cmp_le_u32_e64 s3, s46, v3
	v_cndmask_b32_e64 v3, v3, v4, s3
	v_xor_b32_e32 v3, v3, v2
	v_sub_nc_u32_e32 v2, v3, v2
	v_cmp_ne_u32_e64 s3, 0, v2
	s_and_b32 s3, s3, s4
	s_and_saveexec_b32 s4, s3
	s_xor_b32 s3, exec_lo, s4
	s_cbranch_execz .LBB337_17
; %bb.14:                               ;   in Loop: Header=BB337_13 Depth=1
	s_and_saveexec_b32 s4, vcc_lo
; %bb.15:                               ;   in Loop: Header=BB337_13 Depth=1
	ds_write_b32 v38, v34
; %bb.16:                               ;   in Loop: Header=BB337_13 Depth=1
	s_or_b32 exec_lo, exec_lo, s4
.LBB337_17:                             ;   in Loop: Header=BB337_13 Depth=1
	s_andn2_saveexec_b32 s4, s3
	s_cbranch_execz .LBB337_12
; %bb.18:                               ;   in Loop: Header=BB337_13 Depth=1
	global_load_dword v1, v[21:22], off
	v_mov_b32_e32 v42, 0
	v_mov_b32_e32 v41, 0
	s_waitcnt vmcnt(0)
	v_mad_i64_i32 v[25:26], null, v1, s48, v[23:24]
	global_load_ushort v19, v[25:26], off
	ds_read_b128 v[13:16], v32
	ds_read_b128 v[9:12], v32 offset:16
	ds_read_b128 v[5:8], v32 offset:32
	;; [unrolled: 1-line block ×3, first 2 shown]
	s_load_dword s49, s[12:13], 0x0
	s_waitcnt vmcnt(0)
	v_and_b32_e32 v43, 0xffff, v19
	v_cmp_ne_u16_sdwa s3, v19, v20 src0_sel:BYTE_0 src1_sel:DWORD
	s_and_saveexec_b32 s50, s3
	s_cbranch_execz .LBB337_26
; %bb.19:                               ;   in Loop: Header=BB337_13 Depth=1
	v_cmp_ne_u16_sdwa s3, v43, v35 src0_sel:BYTE_0 src1_sel:DWORD
	v_bfrev_b32_e32 v41, 1
	s_and_saveexec_b32 s51, s3
	s_cbranch_execz .LBB337_25
; %bb.20:                               ;   in Loop: Header=BB337_13 Depth=1
	v_and_b32_e32 v44, 0x7f, v43
	v_mov_b32_e32 v41, 0x7f800001
	s_mov_b32 s52, exec_lo
	v_cmpx_ne_u32_e32 0x7f, v44
	s_cbranch_execz .LBB337_24
; %bb.21:                               ;   in Loop: Header=BB337_13 Depth=1
	v_and_b32_e32 v19, 7, v43
	v_lshrrev_b32_e32 v41, 3, v44
	s_mov_b32 s53, exec_lo
	v_cmpx_gt_u32_e32 8, v44
; %bb.22:                               ;   in Loop: Header=BB337_13 Depth=1
	v_ffbh_u32_e32 v41, v19
	v_min_u32_e32 v41, 32, v41
	v_subrev_nc_u32_e32 v44, 28, v41
	v_sub_nc_u32_e32 v41, 29, v41
	v_lshlrev_b64 v[44:45], v44, v[19:20]
	v_and_b32_e32 v19, 7, v44
; %bb.23:                               ;   in Loop: Header=BB337_13 Depth=1
	s_or_b32 exec_lo, exec_lo, s53
	v_lshlrev_b32_e32 v44, 24, v43
	v_lshlrev_b32_e32 v19, 20, v19
	v_lshl_add_u32 v41, v41, 23, 0x3c000000
	v_and_b32_e32 v44, 0x80000000, v44
	v_or3_b32 v41, v19, v44, v41
.LBB337_24:                             ;   in Loop: Header=BB337_13 Depth=1
	s_or_b32 exec_lo, exec_lo, s52
.LBB337_25:                             ;   in Loop: Header=BB337_13 Depth=1
	s_or_b32 exec_lo, exec_lo, s51
.LBB337_26:                             ;   in Loop: Header=BB337_13 Depth=1
	s_or_b32 exec_lo, exec_lo, s50
	v_cmp_ne_u16_sdwa s3, v43, v20 src0_sel:BYTE_1 src1_sel:DWORD
	s_and_saveexec_b32 s50, s3
	s_cbranch_execz .LBB337_34
; %bb.27:                               ;   in Loop: Header=BB337_13 Depth=1
	v_cmp_ne_u16_sdwa s3, v43, v35 src0_sel:BYTE_1 src1_sel:DWORD
	v_bfrev_b32_e32 v42, 1
	s_and_saveexec_b32 s51, s3
	s_cbranch_execz .LBB337_33
; %bb.28:                               ;   in Loop: Header=BB337_13 Depth=1
	v_and_b32_sdwa v19, v36, v43 dst_sel:DWORD dst_unused:UNUSED_PAD src0_sel:DWORD src1_sel:BYTE_1
	v_mov_b32_e32 v42, 0x7f800001
	s_mov_b32 s52, exec_lo
	v_and_b32_e32 v44, 0x7f, v19
	v_cmpx_ne_u32_e32 0x7f, v44
	s_cbranch_execz .LBB337_32
; %bb.29:                               ;   in Loop: Header=BB337_13 Depth=1
	v_and_b32_e32 v19, 7, v19
	v_lshrrev_b32_e32 v42, 3, v44
	s_mov_b32 s53, exec_lo
	v_cmpx_gt_u32_e32 8, v44
; %bb.30:                               ;   in Loop: Header=BB337_13 Depth=1
	v_ffbh_u32_e32 v42, v19
	v_min_u32_e32 v42, 32, v42
	v_subrev_nc_u32_e32 v44, 28, v42
	v_sub_nc_u32_e32 v42, 29, v42
	v_lshlrev_b64 v[44:45], v44, v[19:20]
	v_and_b32_e32 v19, 7, v44
; %bb.31:                               ;   in Loop: Header=BB337_13 Depth=1
	s_or_b32 exec_lo, exec_lo, s53
	v_lshlrev_b32_e32 v43, 16, v43
	v_lshlrev_b32_e32 v19, 20, v19
	v_lshl_add_u32 v42, v42, 23, 0x3c000000
	v_and_b32_e32 v43, 0x80000000, v43
	v_or3_b32 v42, v19, v43, v42
.LBB337_32:                             ;   in Loop: Header=BB337_13 Depth=1
	s_or_b32 exec_lo, exec_lo, s52
.LBB337_33:                             ;   in Loop: Header=BB337_13 Depth=1
	s_or_b32 exec_lo, exec_lo, s51
.LBB337_34:                             ;   in Loop: Header=BB337_13 Depth=1
	s_or_b32 exec_lo, exec_lo, s50
	global_load_ushort v19, v[25:26], off offset:8
	v_mov_b32_e32 v44, 0
	v_mov_b32_e32 v43, 0
	s_waitcnt vmcnt(0)
	v_and_b32_e32 v45, 0xffff, v19
	v_cmp_ne_u16_sdwa s3, v19, v20 src0_sel:BYTE_0 src1_sel:DWORD
	s_and_saveexec_b32 s50, s3
	s_cbranch_execz .LBB337_42
; %bb.35:                               ;   in Loop: Header=BB337_13 Depth=1
	v_cmp_ne_u16_sdwa s3, v45, v35 src0_sel:BYTE_0 src1_sel:DWORD
	v_bfrev_b32_e32 v43, 1
	s_and_saveexec_b32 s51, s3
	s_cbranch_execz .LBB337_41
; %bb.36:                               ;   in Loop: Header=BB337_13 Depth=1
	v_and_b32_e32 v46, 0x7f, v45
	v_mov_b32_e32 v43, 0x7f800001
	s_mov_b32 s52, exec_lo
	v_cmpx_ne_u32_e32 0x7f, v46
	s_cbranch_execz .LBB337_40
; %bb.37:                               ;   in Loop: Header=BB337_13 Depth=1
	v_and_b32_e32 v19, 7, v45
	v_lshrrev_b32_e32 v43, 3, v46
	s_mov_b32 s53, exec_lo
	v_cmpx_gt_u32_e32 8, v46
; %bb.38:                               ;   in Loop: Header=BB337_13 Depth=1
	v_ffbh_u32_e32 v43, v19
	v_min_u32_e32 v43, 32, v43
	v_subrev_nc_u32_e32 v46, 28, v43
	v_sub_nc_u32_e32 v43, 29, v43
	v_lshlrev_b64 v[46:47], v46, v[19:20]
	v_and_b32_e32 v19, 7, v46
; %bb.39:                               ;   in Loop: Header=BB337_13 Depth=1
	s_or_b32 exec_lo, exec_lo, s53
	v_lshlrev_b32_e32 v46, 24, v45
	v_lshlrev_b32_e32 v19, 20, v19
	v_lshl_add_u32 v43, v43, 23, 0x3c000000
	v_and_b32_e32 v46, 0x80000000, v46
	v_or3_b32 v43, v19, v46, v43
.LBB337_40:                             ;   in Loop: Header=BB337_13 Depth=1
	s_or_b32 exec_lo, exec_lo, s52
.LBB337_41:                             ;   in Loop: Header=BB337_13 Depth=1
	s_or_b32 exec_lo, exec_lo, s51
.LBB337_42:                             ;   in Loop: Header=BB337_13 Depth=1
	s_or_b32 exec_lo, exec_lo, s50
	v_cmp_ne_u16_sdwa s3, v45, v20 src0_sel:BYTE_1 src1_sel:DWORD
	s_and_saveexec_b32 s50, s3
	s_cbranch_execz .LBB337_50
; %bb.43:                               ;   in Loop: Header=BB337_13 Depth=1
	v_cmp_ne_u16_sdwa s3, v45, v35 src0_sel:BYTE_1 src1_sel:DWORD
	v_bfrev_b32_e32 v44, 1
	s_and_saveexec_b32 s51, s3
	s_cbranch_execz .LBB337_49
; %bb.44:                               ;   in Loop: Header=BB337_13 Depth=1
	v_and_b32_sdwa v19, v36, v45 dst_sel:DWORD dst_unused:UNUSED_PAD src0_sel:DWORD src1_sel:BYTE_1
	v_mov_b32_e32 v44, 0x7f800001
	s_mov_b32 s52, exec_lo
	v_and_b32_e32 v46, 0x7f, v19
	v_cmpx_ne_u32_e32 0x7f, v46
	s_cbranch_execz .LBB337_48
; %bb.45:                               ;   in Loop: Header=BB337_13 Depth=1
	v_and_b32_e32 v19, 7, v19
	v_lshrrev_b32_e32 v44, 3, v46
	s_mov_b32 s53, exec_lo
	v_cmpx_gt_u32_e32 8, v46
; %bb.46:                               ;   in Loop: Header=BB337_13 Depth=1
	v_ffbh_u32_e32 v44, v19
	v_min_u32_e32 v44, 32, v44
	v_subrev_nc_u32_e32 v46, 28, v44
	v_sub_nc_u32_e32 v44, 29, v44
	v_lshlrev_b64 v[46:47], v46, v[19:20]
	v_and_b32_e32 v19, 7, v46
; %bb.47:                               ;   in Loop: Header=BB337_13 Depth=1
	s_or_b32 exec_lo, exec_lo, s53
	v_lshlrev_b32_e32 v45, 16, v45
	v_lshlrev_b32_e32 v19, 20, v19
	v_lshl_add_u32 v44, v44, 23, 0x3c000000
	v_and_b32_e32 v45, 0x80000000, v45
	v_or3_b32 v44, v19, v45, v44
.LBB337_48:                             ;   in Loop: Header=BB337_13 Depth=1
	s_or_b32 exec_lo, exec_lo, s52
.LBB337_49:                             ;   in Loop: Header=BB337_13 Depth=1
	s_or_b32 exec_lo, exec_lo, s51
.LBB337_50:                             ;   in Loop: Header=BB337_13 Depth=1
	s_or_b32 exec_lo, exec_lo, s50
	global_load_ushort v19, v[25:26], off offset:128
	v_mov_b32_e32 v46, 0
	v_mov_b32_e32 v45, 0
	s_waitcnt vmcnt(0)
	v_and_b32_e32 v47, 0xffff, v19
	v_cmp_ne_u16_sdwa s3, v19, v20 src0_sel:BYTE_0 src1_sel:DWORD
	s_and_saveexec_b32 s50, s3
	s_cbranch_execz .LBB337_58
; %bb.51:                               ;   in Loop: Header=BB337_13 Depth=1
	v_cmp_ne_u16_sdwa s3, v47, v35 src0_sel:BYTE_0 src1_sel:DWORD
	v_bfrev_b32_e32 v45, 1
	s_and_saveexec_b32 s51, s3
	s_cbranch_execz .LBB337_57
; %bb.52:                               ;   in Loop: Header=BB337_13 Depth=1
	v_and_b32_e32 v48, 0x7f, v47
	v_mov_b32_e32 v45, 0x7f800001
	s_mov_b32 s52, exec_lo
	v_cmpx_ne_u32_e32 0x7f, v48
	s_cbranch_execz .LBB337_56
; %bb.53:                               ;   in Loop: Header=BB337_13 Depth=1
	v_and_b32_e32 v19, 7, v47
	v_lshrrev_b32_e32 v45, 3, v48
	s_mov_b32 s53, exec_lo
	v_cmpx_gt_u32_e32 8, v48
; %bb.54:                               ;   in Loop: Header=BB337_13 Depth=1
	v_ffbh_u32_e32 v45, v19
	v_min_u32_e32 v45, 32, v45
	v_subrev_nc_u32_e32 v48, 28, v45
	v_sub_nc_u32_e32 v45, 29, v45
	v_lshlrev_b64 v[48:49], v48, v[19:20]
	v_and_b32_e32 v19, 7, v48
; %bb.55:                               ;   in Loop: Header=BB337_13 Depth=1
	s_or_b32 exec_lo, exec_lo, s53
	v_lshlrev_b32_e32 v48, 24, v47
	v_lshlrev_b32_e32 v19, 20, v19
	v_lshl_add_u32 v45, v45, 23, 0x3c000000
	v_and_b32_e32 v48, 0x80000000, v48
	v_or3_b32 v45, v19, v48, v45
.LBB337_56:                             ;   in Loop: Header=BB337_13 Depth=1
	s_or_b32 exec_lo, exec_lo, s52
.LBB337_57:                             ;   in Loop: Header=BB337_13 Depth=1
	s_or_b32 exec_lo, exec_lo, s51
.LBB337_58:                             ;   in Loop: Header=BB337_13 Depth=1
	s_or_b32 exec_lo, exec_lo, s50
	v_cmp_ne_u16_sdwa s3, v47, v20 src0_sel:BYTE_1 src1_sel:DWORD
	s_and_saveexec_b32 s50, s3
	s_cbranch_execz .LBB337_66
; %bb.59:                               ;   in Loop: Header=BB337_13 Depth=1
	v_cmp_ne_u16_sdwa s3, v47, v35 src0_sel:BYTE_1 src1_sel:DWORD
	v_bfrev_b32_e32 v46, 1
	s_and_saveexec_b32 s51, s3
	s_cbranch_execz .LBB337_65
; %bb.60:                               ;   in Loop: Header=BB337_13 Depth=1
	v_and_b32_sdwa v19, v36, v47 dst_sel:DWORD dst_unused:UNUSED_PAD src0_sel:DWORD src1_sel:BYTE_1
	v_mov_b32_e32 v46, 0x7f800001
	s_mov_b32 s52, exec_lo
	v_and_b32_e32 v48, 0x7f, v19
	v_cmpx_ne_u32_e32 0x7f, v48
	s_cbranch_execz .LBB337_64
; %bb.61:                               ;   in Loop: Header=BB337_13 Depth=1
	v_and_b32_e32 v19, 7, v19
	v_lshrrev_b32_e32 v46, 3, v48
	s_mov_b32 s53, exec_lo
	v_cmpx_gt_u32_e32 8, v48
; %bb.62:                               ;   in Loop: Header=BB337_13 Depth=1
	v_ffbh_u32_e32 v46, v19
	v_min_u32_e32 v46, 32, v46
	v_subrev_nc_u32_e32 v48, 28, v46
	v_sub_nc_u32_e32 v46, 29, v46
	v_lshlrev_b64 v[48:49], v48, v[19:20]
	v_and_b32_e32 v19, 7, v48
; %bb.63:                               ;   in Loop: Header=BB337_13 Depth=1
	s_or_b32 exec_lo, exec_lo, s53
	v_lshlrev_b32_e32 v47, 16, v47
	v_lshlrev_b32_e32 v19, 20, v19
	v_lshl_add_u32 v46, v46, 23, 0x3c000000
	v_and_b32_e32 v47, 0x80000000, v47
	v_or3_b32 v46, v19, v47, v46
.LBB337_64:                             ;   in Loop: Header=BB337_13 Depth=1
	s_or_b32 exec_lo, exec_lo, s52
.LBB337_65:                             ;   in Loop: Header=BB337_13 Depth=1
	s_or_b32 exec_lo, exec_lo, s51
.LBB337_66:                             ;   in Loop: Header=BB337_13 Depth=1
	s_or_b32 exec_lo, exec_lo, s50
	global_load_ushort v19, v[25:26], off offset:136
	v_mov_b32_e32 v48, 0
	v_mov_b32_e32 v47, 0
	s_waitcnt vmcnt(0)
	v_and_b32_e32 v49, 0xffff, v19
	v_cmp_ne_u16_sdwa s3, v19, v20 src0_sel:BYTE_0 src1_sel:DWORD
	s_and_saveexec_b32 s50, s3
	s_cbranch_execz .LBB337_74
; %bb.67:                               ;   in Loop: Header=BB337_13 Depth=1
	v_cmp_ne_u16_sdwa s3, v49, v35 src0_sel:BYTE_0 src1_sel:DWORD
	v_bfrev_b32_e32 v47, 1
	s_and_saveexec_b32 s51, s3
	s_cbranch_execz .LBB337_73
; %bb.68:                               ;   in Loop: Header=BB337_13 Depth=1
	v_and_b32_e32 v50, 0x7f, v49
	v_mov_b32_e32 v47, 0x7f800001
	s_mov_b32 s52, exec_lo
	v_cmpx_ne_u32_e32 0x7f, v50
	s_cbranch_execz .LBB337_72
; %bb.69:                               ;   in Loop: Header=BB337_13 Depth=1
	v_and_b32_e32 v19, 7, v49
	v_lshrrev_b32_e32 v47, 3, v50
	s_mov_b32 s53, exec_lo
	v_cmpx_gt_u32_e32 8, v50
; %bb.70:                               ;   in Loop: Header=BB337_13 Depth=1
	v_ffbh_u32_e32 v47, v19
	v_min_u32_e32 v47, 32, v47
	v_subrev_nc_u32_e32 v50, 28, v47
	v_sub_nc_u32_e32 v47, 29, v47
	v_lshlrev_b64 v[50:51], v50, v[19:20]
	v_and_b32_e32 v19, 7, v50
; %bb.71:                               ;   in Loop: Header=BB337_13 Depth=1
	s_or_b32 exec_lo, exec_lo, s53
	v_lshlrev_b32_e32 v50, 24, v49
	v_lshlrev_b32_e32 v19, 20, v19
	v_lshl_add_u32 v47, v47, 23, 0x3c000000
	v_and_b32_e32 v50, 0x80000000, v50
	v_or3_b32 v47, v19, v50, v47
.LBB337_72:                             ;   in Loop: Header=BB337_13 Depth=1
	s_or_b32 exec_lo, exec_lo, s52
.LBB337_73:                             ;   in Loop: Header=BB337_13 Depth=1
	s_or_b32 exec_lo, exec_lo, s51
.LBB337_74:                             ;   in Loop: Header=BB337_13 Depth=1
	s_or_b32 exec_lo, exec_lo, s50
	v_cmp_ne_u16_sdwa s3, v49, v20 src0_sel:BYTE_1 src1_sel:DWORD
	s_and_saveexec_b32 s50, s3
	s_cbranch_execz .LBB337_82
; %bb.75:                               ;   in Loop: Header=BB337_13 Depth=1
	v_cmp_ne_u16_sdwa s3, v49, v35 src0_sel:BYTE_1 src1_sel:DWORD
	v_bfrev_b32_e32 v48, 1
	s_and_saveexec_b32 s51, s3
	s_cbranch_execz .LBB337_81
; %bb.76:                               ;   in Loop: Header=BB337_13 Depth=1
	v_and_b32_sdwa v19, v36, v49 dst_sel:DWORD dst_unused:UNUSED_PAD src0_sel:DWORD src1_sel:BYTE_1
	v_mov_b32_e32 v48, 0x7f800001
	s_mov_b32 s52, exec_lo
	v_and_b32_e32 v50, 0x7f, v19
	v_cmpx_ne_u32_e32 0x7f, v50
	s_cbranch_execz .LBB337_80
; %bb.77:                               ;   in Loop: Header=BB337_13 Depth=1
	v_and_b32_e32 v19, 7, v19
	v_lshrrev_b32_e32 v48, 3, v50
	s_mov_b32 s53, exec_lo
	v_cmpx_gt_u32_e32 8, v50
; %bb.78:                               ;   in Loop: Header=BB337_13 Depth=1
	v_ffbh_u32_e32 v48, v19
	v_min_u32_e32 v48, 32, v48
	v_subrev_nc_u32_e32 v50, 28, v48
	v_sub_nc_u32_e32 v48, 29, v48
	v_lshlrev_b64 v[50:51], v50, v[19:20]
	v_and_b32_e32 v19, 7, v50
; %bb.79:                               ;   in Loop: Header=BB337_13 Depth=1
	s_or_b32 exec_lo, exec_lo, s53
	v_lshlrev_b32_e32 v49, 16, v49
	v_lshlrev_b32_e32 v19, 20, v19
	v_lshl_add_u32 v48, v48, 23, 0x3c000000
	v_and_b32_e32 v49, 0x80000000, v49
	v_or3_b32 v48, v19, v49, v48
.LBB337_80:                             ;   in Loop: Header=BB337_13 Depth=1
	s_or_b32 exec_lo, exec_lo, s52
.LBB337_81:                             ;   in Loop: Header=BB337_13 Depth=1
	s_or_b32 exec_lo, exec_lo, s51
.LBB337_82:                             ;   in Loop: Header=BB337_13 Depth=1
	s_or_b32 exec_lo, exec_lo, s50
	global_load_ushort v19, v[25:26], off offset:256
	v_mov_b32_e32 v50, 0
	v_mov_b32_e32 v49, 0
	s_waitcnt vmcnt(0)
	v_and_b32_e32 v51, 0xffff, v19
	v_cmp_ne_u16_sdwa s3, v19, v20 src0_sel:BYTE_0 src1_sel:DWORD
	s_and_saveexec_b32 s50, s3
	s_cbranch_execz .LBB337_90
; %bb.83:                               ;   in Loop: Header=BB337_13 Depth=1
	v_cmp_ne_u16_sdwa s3, v51, v35 src0_sel:BYTE_0 src1_sel:DWORD
	v_bfrev_b32_e32 v49, 1
	s_and_saveexec_b32 s51, s3
	s_cbranch_execz .LBB337_89
; %bb.84:                               ;   in Loop: Header=BB337_13 Depth=1
	v_and_b32_e32 v52, 0x7f, v51
	v_mov_b32_e32 v49, 0x7f800001
	s_mov_b32 s52, exec_lo
	v_cmpx_ne_u32_e32 0x7f, v52
	s_cbranch_execz .LBB337_88
; %bb.85:                               ;   in Loop: Header=BB337_13 Depth=1
	v_and_b32_e32 v19, 7, v51
	v_lshrrev_b32_e32 v49, 3, v52
	s_mov_b32 s53, exec_lo
	v_cmpx_gt_u32_e32 8, v52
; %bb.86:                               ;   in Loop: Header=BB337_13 Depth=1
	v_ffbh_u32_e32 v49, v19
	v_min_u32_e32 v49, 32, v49
	v_subrev_nc_u32_e32 v52, 28, v49
	v_sub_nc_u32_e32 v49, 29, v49
	v_lshlrev_b64 v[52:53], v52, v[19:20]
	v_and_b32_e32 v19, 7, v52
; %bb.87:                               ;   in Loop: Header=BB337_13 Depth=1
	s_or_b32 exec_lo, exec_lo, s53
	v_lshlrev_b32_e32 v52, 24, v51
	v_lshlrev_b32_e32 v19, 20, v19
	v_lshl_add_u32 v49, v49, 23, 0x3c000000
	v_and_b32_e32 v52, 0x80000000, v52
	v_or3_b32 v49, v19, v52, v49
.LBB337_88:                             ;   in Loop: Header=BB337_13 Depth=1
	s_or_b32 exec_lo, exec_lo, s52
.LBB337_89:                             ;   in Loop: Header=BB337_13 Depth=1
	s_or_b32 exec_lo, exec_lo, s51
.LBB337_90:                             ;   in Loop: Header=BB337_13 Depth=1
	s_or_b32 exec_lo, exec_lo, s50
	v_cmp_ne_u16_sdwa s3, v51, v20 src0_sel:BYTE_1 src1_sel:DWORD
	s_and_saveexec_b32 s50, s3
	s_cbranch_execz .LBB337_98
; %bb.91:                               ;   in Loop: Header=BB337_13 Depth=1
	v_cmp_ne_u16_sdwa s3, v51, v35 src0_sel:BYTE_1 src1_sel:DWORD
	v_bfrev_b32_e32 v50, 1
	s_and_saveexec_b32 s51, s3
	s_cbranch_execz .LBB337_97
; %bb.92:                               ;   in Loop: Header=BB337_13 Depth=1
	v_and_b32_sdwa v19, v36, v51 dst_sel:DWORD dst_unused:UNUSED_PAD src0_sel:DWORD src1_sel:BYTE_1
	v_mov_b32_e32 v50, 0x7f800001
	s_mov_b32 s52, exec_lo
	v_and_b32_e32 v52, 0x7f, v19
	v_cmpx_ne_u32_e32 0x7f, v52
	s_cbranch_execz .LBB337_96
; %bb.93:                               ;   in Loop: Header=BB337_13 Depth=1
	v_and_b32_e32 v19, 7, v19
	v_lshrrev_b32_e32 v50, 3, v52
	s_mov_b32 s53, exec_lo
	v_cmpx_gt_u32_e32 8, v52
; %bb.94:                               ;   in Loop: Header=BB337_13 Depth=1
	v_ffbh_u32_e32 v50, v19
	v_min_u32_e32 v50, 32, v50
	v_subrev_nc_u32_e32 v52, 28, v50
	v_sub_nc_u32_e32 v50, 29, v50
	v_lshlrev_b64 v[52:53], v52, v[19:20]
	v_and_b32_e32 v19, 7, v52
; %bb.95:                               ;   in Loop: Header=BB337_13 Depth=1
	s_or_b32 exec_lo, exec_lo, s53
	v_lshlrev_b32_e32 v51, 16, v51
	v_lshlrev_b32_e32 v19, 20, v19
	v_lshl_add_u32 v50, v50, 23, 0x3c000000
	v_and_b32_e32 v51, 0x80000000, v51
	v_or3_b32 v50, v19, v51, v50
.LBB337_96:                             ;   in Loop: Header=BB337_13 Depth=1
	s_or_b32 exec_lo, exec_lo, s52
.LBB337_97:                             ;   in Loop: Header=BB337_13 Depth=1
	s_or_b32 exec_lo, exec_lo, s51
.LBB337_98:                             ;   in Loop: Header=BB337_13 Depth=1
	s_or_b32 exec_lo, exec_lo, s50
	global_load_ushort v19, v[25:26], off offset:264
	v_mov_b32_e32 v52, 0
	v_mov_b32_e32 v51, 0
	s_waitcnt vmcnt(0)
	v_and_b32_e32 v53, 0xffff, v19
	v_cmp_ne_u16_sdwa s3, v19, v20 src0_sel:BYTE_0 src1_sel:DWORD
	s_and_saveexec_b32 s50, s3
	s_cbranch_execz .LBB337_106
; %bb.99:                               ;   in Loop: Header=BB337_13 Depth=1
	v_cmp_ne_u16_sdwa s3, v53, v35 src0_sel:BYTE_0 src1_sel:DWORD
	v_bfrev_b32_e32 v51, 1
	s_and_saveexec_b32 s51, s3
	s_cbranch_execz .LBB337_105
; %bb.100:                              ;   in Loop: Header=BB337_13 Depth=1
	v_and_b32_e32 v54, 0x7f, v53
	v_mov_b32_e32 v51, 0x7f800001
	s_mov_b32 s52, exec_lo
	v_cmpx_ne_u32_e32 0x7f, v54
	s_cbranch_execz .LBB337_104
; %bb.101:                              ;   in Loop: Header=BB337_13 Depth=1
	v_and_b32_e32 v19, 7, v53
	v_lshrrev_b32_e32 v51, 3, v54
	s_mov_b32 s53, exec_lo
	v_cmpx_gt_u32_e32 8, v54
; %bb.102:                              ;   in Loop: Header=BB337_13 Depth=1
	v_ffbh_u32_e32 v51, v19
	v_min_u32_e32 v51, 32, v51
	v_subrev_nc_u32_e32 v54, 28, v51
	v_sub_nc_u32_e32 v51, 29, v51
	v_lshlrev_b64 v[54:55], v54, v[19:20]
	v_and_b32_e32 v19, 7, v54
; %bb.103:                              ;   in Loop: Header=BB337_13 Depth=1
	s_or_b32 exec_lo, exec_lo, s53
	v_lshlrev_b32_e32 v54, 24, v53
	v_lshlrev_b32_e32 v19, 20, v19
	v_lshl_add_u32 v51, v51, 23, 0x3c000000
	v_and_b32_e32 v54, 0x80000000, v54
	v_or3_b32 v51, v19, v54, v51
.LBB337_104:                            ;   in Loop: Header=BB337_13 Depth=1
	s_or_b32 exec_lo, exec_lo, s52
.LBB337_105:                            ;   in Loop: Header=BB337_13 Depth=1
	s_or_b32 exec_lo, exec_lo, s51
.LBB337_106:                            ;   in Loop: Header=BB337_13 Depth=1
	s_or_b32 exec_lo, exec_lo, s50
	v_cmp_ne_u16_sdwa s3, v53, v20 src0_sel:BYTE_1 src1_sel:DWORD
	s_and_saveexec_b32 s50, s3
	s_cbranch_execz .LBB337_114
; %bb.107:                              ;   in Loop: Header=BB337_13 Depth=1
	v_cmp_ne_u16_sdwa s3, v53, v35 src0_sel:BYTE_1 src1_sel:DWORD
	v_bfrev_b32_e32 v52, 1
	s_and_saveexec_b32 s51, s3
	s_cbranch_execz .LBB337_113
; %bb.108:                              ;   in Loop: Header=BB337_13 Depth=1
	v_and_b32_sdwa v19, v36, v53 dst_sel:DWORD dst_unused:UNUSED_PAD src0_sel:DWORD src1_sel:BYTE_1
	v_mov_b32_e32 v52, 0x7f800001
	s_mov_b32 s52, exec_lo
	v_and_b32_e32 v54, 0x7f, v19
	v_cmpx_ne_u32_e32 0x7f, v54
	s_cbranch_execz .LBB337_112
; %bb.109:                              ;   in Loop: Header=BB337_13 Depth=1
	v_and_b32_e32 v19, 7, v19
	v_lshrrev_b32_e32 v52, 3, v54
	s_mov_b32 s53, exec_lo
	v_cmpx_gt_u32_e32 8, v54
; %bb.110:                              ;   in Loop: Header=BB337_13 Depth=1
	v_ffbh_u32_e32 v52, v19
	v_min_u32_e32 v52, 32, v52
	v_subrev_nc_u32_e32 v54, 28, v52
	v_sub_nc_u32_e32 v52, 29, v52
	v_lshlrev_b64 v[54:55], v54, v[19:20]
	v_and_b32_e32 v19, 7, v54
; %bb.111:                              ;   in Loop: Header=BB337_13 Depth=1
	s_or_b32 exec_lo, exec_lo, s53
	v_lshlrev_b32_e32 v53, 16, v53
	v_lshlrev_b32_e32 v19, 20, v19
	v_lshl_add_u32 v52, v52, 23, 0x3c000000
	v_and_b32_e32 v53, 0x80000000, v53
	v_or3_b32 v52, v19, v53, v52
.LBB337_112:                            ;   in Loop: Header=BB337_13 Depth=1
	s_or_b32 exec_lo, exec_lo, s52
.LBB337_113:                            ;   in Loop: Header=BB337_13 Depth=1
	s_or_b32 exec_lo, exec_lo, s51
.LBB337_114:                            ;   in Loop: Header=BB337_13 Depth=1
	s_or_b32 exec_lo, exec_lo, s50
	global_load_ushort v19, v[25:26], off offset:384
	v_mov_b32_e32 v54, 0
	v_mov_b32_e32 v53, 0
	s_waitcnt vmcnt(0)
	v_and_b32_e32 v55, 0xffff, v19
	v_cmp_ne_u16_sdwa s3, v19, v20 src0_sel:BYTE_0 src1_sel:DWORD
	s_and_saveexec_b32 s50, s3
	s_cbranch_execz .LBB337_122
; %bb.115:                              ;   in Loop: Header=BB337_13 Depth=1
	v_cmp_ne_u16_sdwa s3, v55, v35 src0_sel:BYTE_0 src1_sel:DWORD
	v_bfrev_b32_e32 v53, 1
	s_and_saveexec_b32 s51, s3
	s_cbranch_execz .LBB337_121
; %bb.116:                              ;   in Loop: Header=BB337_13 Depth=1
	v_and_b32_e32 v56, 0x7f, v55
	v_mov_b32_e32 v53, 0x7f800001
	s_mov_b32 s52, exec_lo
	v_cmpx_ne_u32_e32 0x7f, v56
	s_cbranch_execz .LBB337_120
; %bb.117:                              ;   in Loop: Header=BB337_13 Depth=1
	v_and_b32_e32 v19, 7, v55
	v_lshrrev_b32_e32 v53, 3, v56
	s_mov_b32 s53, exec_lo
	v_cmpx_gt_u32_e32 8, v56
; %bb.118:                              ;   in Loop: Header=BB337_13 Depth=1
	v_ffbh_u32_e32 v53, v19
	v_min_u32_e32 v53, 32, v53
	v_subrev_nc_u32_e32 v56, 28, v53
	v_sub_nc_u32_e32 v53, 29, v53
	v_lshlrev_b64 v[56:57], v56, v[19:20]
	v_and_b32_e32 v19, 7, v56
; %bb.119:                              ;   in Loop: Header=BB337_13 Depth=1
	s_or_b32 exec_lo, exec_lo, s53
	v_lshlrev_b32_e32 v56, 24, v55
	v_lshlrev_b32_e32 v19, 20, v19
	v_lshl_add_u32 v53, v53, 23, 0x3c000000
	v_and_b32_e32 v56, 0x80000000, v56
	v_or3_b32 v53, v19, v56, v53
.LBB337_120:                            ;   in Loop: Header=BB337_13 Depth=1
	s_or_b32 exec_lo, exec_lo, s52
.LBB337_121:                            ;   in Loop: Header=BB337_13 Depth=1
	s_or_b32 exec_lo, exec_lo, s51
.LBB337_122:                            ;   in Loop: Header=BB337_13 Depth=1
	s_or_b32 exec_lo, exec_lo, s50
	v_cmp_ne_u16_sdwa s3, v55, v20 src0_sel:BYTE_1 src1_sel:DWORD
	s_and_saveexec_b32 s50, s3
	s_cbranch_execz .LBB337_130
; %bb.123:                              ;   in Loop: Header=BB337_13 Depth=1
	v_cmp_ne_u16_sdwa s3, v55, v35 src0_sel:BYTE_1 src1_sel:DWORD
	v_bfrev_b32_e32 v54, 1
	s_and_saveexec_b32 s51, s3
	s_cbranch_execz .LBB337_129
; %bb.124:                              ;   in Loop: Header=BB337_13 Depth=1
	v_and_b32_sdwa v19, v36, v55 dst_sel:DWORD dst_unused:UNUSED_PAD src0_sel:DWORD src1_sel:BYTE_1
	v_mov_b32_e32 v54, 0x7f800001
	s_mov_b32 s52, exec_lo
	v_and_b32_e32 v56, 0x7f, v19
	v_cmpx_ne_u32_e32 0x7f, v56
	s_cbranch_execz .LBB337_128
; %bb.125:                              ;   in Loop: Header=BB337_13 Depth=1
	v_and_b32_e32 v19, 7, v19
	v_lshrrev_b32_e32 v54, 3, v56
	s_mov_b32 s53, exec_lo
	v_cmpx_gt_u32_e32 8, v56
; %bb.126:                              ;   in Loop: Header=BB337_13 Depth=1
	v_ffbh_u32_e32 v54, v19
	v_min_u32_e32 v54, 32, v54
	v_subrev_nc_u32_e32 v56, 28, v54
	v_sub_nc_u32_e32 v54, 29, v54
	v_lshlrev_b64 v[56:57], v56, v[19:20]
	v_and_b32_e32 v19, 7, v56
; %bb.127:                              ;   in Loop: Header=BB337_13 Depth=1
	s_or_b32 exec_lo, exec_lo, s53
	v_lshlrev_b32_e32 v55, 16, v55
	v_lshlrev_b32_e32 v19, 20, v19
	v_lshl_add_u32 v54, v54, 23, 0x3c000000
	v_and_b32_e32 v55, 0x80000000, v55
	v_or3_b32 v54, v19, v55, v54
.LBB337_128:                            ;   in Loop: Header=BB337_13 Depth=1
	s_or_b32 exec_lo, exec_lo, s52
.LBB337_129:                            ;   in Loop: Header=BB337_13 Depth=1
	s_or_b32 exec_lo, exec_lo, s51
.LBB337_130:                            ;   in Loop: Header=BB337_13 Depth=1
	s_or_b32 exec_lo, exec_lo, s50
	global_load_ushort v19, v[25:26], off offset:392
	v_mov_b32_e32 v56, 0
	v_mov_b32_e32 v55, 0
	s_waitcnt vmcnt(0)
	v_and_b32_e32 v57, 0xffff, v19
	v_cmp_ne_u16_sdwa s3, v19, v20 src0_sel:BYTE_0 src1_sel:DWORD
	s_and_saveexec_b32 s50, s3
	s_cbranch_execz .LBB337_138
; %bb.131:                              ;   in Loop: Header=BB337_13 Depth=1
	v_cmp_ne_u16_sdwa s3, v57, v35 src0_sel:BYTE_0 src1_sel:DWORD
	v_bfrev_b32_e32 v55, 1
	s_and_saveexec_b32 s51, s3
	s_cbranch_execz .LBB337_137
; %bb.132:                              ;   in Loop: Header=BB337_13 Depth=1
	v_and_b32_e32 v58, 0x7f, v57
	v_mov_b32_e32 v55, 0x7f800001
	s_mov_b32 s52, exec_lo
	v_cmpx_ne_u32_e32 0x7f, v58
	s_cbranch_execz .LBB337_136
; %bb.133:                              ;   in Loop: Header=BB337_13 Depth=1
	v_and_b32_e32 v19, 7, v57
	v_lshrrev_b32_e32 v55, 3, v58
	s_mov_b32 s53, exec_lo
	v_cmpx_gt_u32_e32 8, v58
; %bb.134:                              ;   in Loop: Header=BB337_13 Depth=1
	v_ffbh_u32_e32 v55, v19
	v_min_u32_e32 v55, 32, v55
	v_subrev_nc_u32_e32 v58, 28, v55
	v_sub_nc_u32_e32 v55, 29, v55
	v_lshlrev_b64 v[58:59], v58, v[19:20]
	v_and_b32_e32 v19, 7, v58
; %bb.135:                              ;   in Loop: Header=BB337_13 Depth=1
	s_or_b32 exec_lo, exec_lo, s53
	v_lshlrev_b32_e32 v58, 24, v57
	v_lshlrev_b32_e32 v19, 20, v19
	v_lshl_add_u32 v55, v55, 23, 0x3c000000
	v_and_b32_e32 v58, 0x80000000, v58
	v_or3_b32 v55, v19, v58, v55
.LBB337_136:                            ;   in Loop: Header=BB337_13 Depth=1
	s_or_b32 exec_lo, exec_lo, s52
.LBB337_137:                            ;   in Loop: Header=BB337_13 Depth=1
	s_or_b32 exec_lo, exec_lo, s51
.LBB337_138:                            ;   in Loop: Header=BB337_13 Depth=1
	s_or_b32 exec_lo, exec_lo, s50
	v_cmp_ne_u16_sdwa s3, v57, v20 src0_sel:BYTE_1 src1_sel:DWORD
	s_and_saveexec_b32 s50, s3
	s_cbranch_execz .LBB337_146
; %bb.139:                              ;   in Loop: Header=BB337_13 Depth=1
	v_cmp_ne_u16_sdwa s3, v57, v35 src0_sel:BYTE_1 src1_sel:DWORD
	v_bfrev_b32_e32 v56, 1
	s_and_saveexec_b32 s51, s3
	s_cbranch_execz .LBB337_145
; %bb.140:                              ;   in Loop: Header=BB337_13 Depth=1
	v_and_b32_sdwa v19, v36, v57 dst_sel:DWORD dst_unused:UNUSED_PAD src0_sel:DWORD src1_sel:BYTE_1
	v_mov_b32_e32 v56, 0x7f800001
	s_mov_b32 s52, exec_lo
	v_and_b32_e32 v58, 0x7f, v19
	v_cmpx_ne_u32_e32 0x7f, v58
	s_cbranch_execz .LBB337_144
; %bb.141:                              ;   in Loop: Header=BB337_13 Depth=1
	v_and_b32_e32 v19, 7, v19
	v_lshrrev_b32_e32 v56, 3, v58
	s_mov_b32 s53, exec_lo
	v_cmpx_gt_u32_e32 8, v58
; %bb.142:                              ;   in Loop: Header=BB337_13 Depth=1
	v_ffbh_u32_e32 v56, v19
	v_min_u32_e32 v56, 32, v56
	v_subrev_nc_u32_e32 v58, 28, v56
	v_sub_nc_u32_e32 v56, 29, v56
	v_lshlrev_b64 v[58:59], v58, v[19:20]
	v_and_b32_e32 v19, 7, v58
; %bb.143:                              ;   in Loop: Header=BB337_13 Depth=1
	s_or_b32 exec_lo, exec_lo, s53
	v_lshlrev_b32_e32 v57, 16, v57
	v_lshlrev_b32_e32 v19, 20, v19
	v_lshl_add_u32 v56, v56, 23, 0x3c000000
	v_and_b32_e32 v57, 0x80000000, v57
	v_or3_b32 v56, v19, v57, v56
.LBB337_144:                            ;   in Loop: Header=BB337_13 Depth=1
	s_or_b32 exec_lo, exec_lo, s52
.LBB337_145:                            ;   in Loop: Header=BB337_13 Depth=1
	s_or_b32 exec_lo, exec_lo, s51
.LBB337_146:                            ;   in Loop: Header=BB337_13 Depth=1
	s_or_b32 exec_lo, exec_lo, s50
	global_load_ushort v19, v[25:26], off offset:512
	v_mov_b32_e32 v58, 0
	v_mov_b32_e32 v57, 0
	s_waitcnt vmcnt(0)
	v_and_b32_e32 v59, 0xffff, v19
	v_cmp_ne_u16_sdwa s3, v19, v20 src0_sel:BYTE_0 src1_sel:DWORD
	s_and_saveexec_b32 s50, s3
	s_cbranch_execz .LBB337_154
; %bb.147:                              ;   in Loop: Header=BB337_13 Depth=1
	v_cmp_ne_u16_sdwa s3, v59, v35 src0_sel:BYTE_0 src1_sel:DWORD
	v_bfrev_b32_e32 v57, 1
	s_and_saveexec_b32 s51, s3
	s_cbranch_execz .LBB337_153
; %bb.148:                              ;   in Loop: Header=BB337_13 Depth=1
	v_and_b32_e32 v60, 0x7f, v59
	v_mov_b32_e32 v57, 0x7f800001
	s_mov_b32 s52, exec_lo
	v_cmpx_ne_u32_e32 0x7f, v60
	s_cbranch_execz .LBB337_152
; %bb.149:                              ;   in Loop: Header=BB337_13 Depth=1
	v_and_b32_e32 v19, 7, v59
	v_lshrrev_b32_e32 v57, 3, v60
	s_mov_b32 s53, exec_lo
	v_cmpx_gt_u32_e32 8, v60
; %bb.150:                              ;   in Loop: Header=BB337_13 Depth=1
	v_ffbh_u32_e32 v57, v19
	v_min_u32_e32 v57, 32, v57
	v_subrev_nc_u32_e32 v60, 28, v57
	v_sub_nc_u32_e32 v57, 29, v57
	v_lshlrev_b64 v[60:61], v60, v[19:20]
	v_and_b32_e32 v19, 7, v60
; %bb.151:                              ;   in Loop: Header=BB337_13 Depth=1
	s_or_b32 exec_lo, exec_lo, s53
	v_lshlrev_b32_e32 v60, 24, v59
	v_lshlrev_b32_e32 v19, 20, v19
	v_lshl_add_u32 v57, v57, 23, 0x3c000000
	v_and_b32_e32 v60, 0x80000000, v60
	v_or3_b32 v57, v19, v60, v57
.LBB337_152:                            ;   in Loop: Header=BB337_13 Depth=1
	s_or_b32 exec_lo, exec_lo, s52
.LBB337_153:                            ;   in Loop: Header=BB337_13 Depth=1
	s_or_b32 exec_lo, exec_lo, s51
.LBB337_154:                            ;   in Loop: Header=BB337_13 Depth=1
	s_or_b32 exec_lo, exec_lo, s50
	v_cmp_ne_u16_sdwa s3, v59, v20 src0_sel:BYTE_1 src1_sel:DWORD
	s_and_saveexec_b32 s50, s3
	s_cbranch_execz .LBB337_162
; %bb.155:                              ;   in Loop: Header=BB337_13 Depth=1
	v_cmp_ne_u16_sdwa s3, v59, v35 src0_sel:BYTE_1 src1_sel:DWORD
	v_bfrev_b32_e32 v58, 1
	s_and_saveexec_b32 s51, s3
	s_cbranch_execz .LBB337_161
; %bb.156:                              ;   in Loop: Header=BB337_13 Depth=1
	v_and_b32_sdwa v19, v36, v59 dst_sel:DWORD dst_unused:UNUSED_PAD src0_sel:DWORD src1_sel:BYTE_1
	v_mov_b32_e32 v58, 0x7f800001
	s_mov_b32 s52, exec_lo
	v_and_b32_e32 v60, 0x7f, v19
	v_cmpx_ne_u32_e32 0x7f, v60
	s_cbranch_execz .LBB337_160
; %bb.157:                              ;   in Loop: Header=BB337_13 Depth=1
	v_and_b32_e32 v19, 7, v19
	v_lshrrev_b32_e32 v58, 3, v60
	s_mov_b32 s53, exec_lo
	v_cmpx_gt_u32_e32 8, v60
; %bb.158:                              ;   in Loop: Header=BB337_13 Depth=1
	v_ffbh_u32_e32 v58, v19
	v_min_u32_e32 v58, 32, v58
	v_subrev_nc_u32_e32 v60, 28, v58
	v_sub_nc_u32_e32 v58, 29, v58
	v_lshlrev_b64 v[60:61], v60, v[19:20]
	v_and_b32_e32 v19, 7, v60
; %bb.159:                              ;   in Loop: Header=BB337_13 Depth=1
	s_or_b32 exec_lo, exec_lo, s53
	v_lshlrev_b32_e32 v59, 16, v59
	v_lshlrev_b32_e32 v19, 20, v19
	v_lshl_add_u32 v58, v58, 23, 0x3c000000
	v_and_b32_e32 v59, 0x80000000, v59
	v_or3_b32 v58, v19, v59, v58
.LBB337_160:                            ;   in Loop: Header=BB337_13 Depth=1
	s_or_b32 exec_lo, exec_lo, s52
.LBB337_161:                            ;   in Loop: Header=BB337_13 Depth=1
	s_or_b32 exec_lo, exec_lo, s51
.LBB337_162:                            ;   in Loop: Header=BB337_13 Depth=1
	s_or_b32 exec_lo, exec_lo, s50
	global_load_ushort v19, v[25:26], off offset:520
	v_mov_b32_e32 v60, 0
	v_mov_b32_e32 v59, 0
	s_waitcnt vmcnt(0)
	v_and_b32_e32 v61, 0xffff, v19
	v_cmp_ne_u16_sdwa s3, v19, v20 src0_sel:BYTE_0 src1_sel:DWORD
	s_and_saveexec_b32 s50, s3
	s_cbranch_execz .LBB337_170
; %bb.163:                              ;   in Loop: Header=BB337_13 Depth=1
	v_cmp_ne_u16_sdwa s3, v61, v35 src0_sel:BYTE_0 src1_sel:DWORD
	v_bfrev_b32_e32 v59, 1
	s_and_saveexec_b32 s51, s3
	s_cbranch_execz .LBB337_169
; %bb.164:                              ;   in Loop: Header=BB337_13 Depth=1
	v_and_b32_e32 v62, 0x7f, v61
	v_mov_b32_e32 v59, 0x7f800001
	s_mov_b32 s52, exec_lo
	v_cmpx_ne_u32_e32 0x7f, v62
	s_cbranch_execz .LBB337_168
; %bb.165:                              ;   in Loop: Header=BB337_13 Depth=1
	v_and_b32_e32 v19, 7, v61
	v_lshrrev_b32_e32 v59, 3, v62
	s_mov_b32 s53, exec_lo
	v_cmpx_gt_u32_e32 8, v62
; %bb.166:                              ;   in Loop: Header=BB337_13 Depth=1
	v_ffbh_u32_e32 v59, v19
	v_min_u32_e32 v59, 32, v59
	v_subrev_nc_u32_e32 v62, 28, v59
	v_sub_nc_u32_e32 v59, 29, v59
	v_lshlrev_b64 v[62:63], v62, v[19:20]
	v_and_b32_e32 v19, 7, v62
; %bb.167:                              ;   in Loop: Header=BB337_13 Depth=1
	s_or_b32 exec_lo, exec_lo, s53
	v_lshlrev_b32_e32 v62, 24, v61
	v_lshlrev_b32_e32 v19, 20, v19
	v_lshl_add_u32 v59, v59, 23, 0x3c000000
	v_and_b32_e32 v62, 0x80000000, v62
	v_or3_b32 v59, v19, v62, v59
.LBB337_168:                            ;   in Loop: Header=BB337_13 Depth=1
	s_or_b32 exec_lo, exec_lo, s52
.LBB337_169:                            ;   in Loop: Header=BB337_13 Depth=1
	s_or_b32 exec_lo, exec_lo, s51
.LBB337_170:                            ;   in Loop: Header=BB337_13 Depth=1
	s_or_b32 exec_lo, exec_lo, s50
	v_cmp_ne_u16_sdwa s3, v61, v20 src0_sel:BYTE_1 src1_sel:DWORD
	s_and_saveexec_b32 s50, s3
	s_cbranch_execz .LBB337_178
; %bb.171:                              ;   in Loop: Header=BB337_13 Depth=1
	v_cmp_ne_u16_sdwa s3, v61, v35 src0_sel:BYTE_1 src1_sel:DWORD
	v_bfrev_b32_e32 v60, 1
	s_and_saveexec_b32 s51, s3
	s_cbranch_execz .LBB337_177
; %bb.172:                              ;   in Loop: Header=BB337_13 Depth=1
	v_and_b32_sdwa v19, v36, v61 dst_sel:DWORD dst_unused:UNUSED_PAD src0_sel:DWORD src1_sel:BYTE_1
	v_mov_b32_e32 v60, 0x7f800001
	s_mov_b32 s52, exec_lo
	v_and_b32_e32 v62, 0x7f, v19
	v_cmpx_ne_u32_e32 0x7f, v62
	s_cbranch_execz .LBB337_176
; %bb.173:                              ;   in Loop: Header=BB337_13 Depth=1
	v_and_b32_e32 v19, 7, v19
	v_lshrrev_b32_e32 v60, 3, v62
	s_mov_b32 s53, exec_lo
	v_cmpx_gt_u32_e32 8, v62
; %bb.174:                              ;   in Loop: Header=BB337_13 Depth=1
	v_ffbh_u32_e32 v60, v19
	v_min_u32_e32 v60, 32, v60
	v_subrev_nc_u32_e32 v62, 28, v60
	v_sub_nc_u32_e32 v60, 29, v60
	v_lshlrev_b64 v[62:63], v62, v[19:20]
	v_and_b32_e32 v19, 7, v62
; %bb.175:                              ;   in Loop: Header=BB337_13 Depth=1
	s_or_b32 exec_lo, exec_lo, s53
	v_lshlrev_b32_e32 v61, 16, v61
	v_lshlrev_b32_e32 v19, 20, v19
	v_lshl_add_u32 v60, v60, 23, 0x3c000000
	v_and_b32_e32 v61, 0x80000000, v61
	v_or3_b32 v60, v19, v61, v60
.LBB337_176:                            ;   in Loop: Header=BB337_13 Depth=1
	s_or_b32 exec_lo, exec_lo, s52
.LBB337_177:                            ;   in Loop: Header=BB337_13 Depth=1
	s_or_b32 exec_lo, exec_lo, s51
.LBB337_178:                            ;   in Loop: Header=BB337_13 Depth=1
	s_or_b32 exec_lo, exec_lo, s50
	global_load_ushort v19, v[25:26], off offset:640
	v_mov_b32_e32 v62, 0
	v_mov_b32_e32 v61, 0
	s_waitcnt vmcnt(0)
	v_and_b32_e32 v63, 0xffff, v19
	v_cmp_ne_u16_sdwa s3, v19, v20 src0_sel:BYTE_0 src1_sel:DWORD
	s_and_saveexec_b32 s50, s3
	s_cbranch_execz .LBB337_186
; %bb.179:                              ;   in Loop: Header=BB337_13 Depth=1
	v_cmp_ne_u16_sdwa s3, v63, v35 src0_sel:BYTE_0 src1_sel:DWORD
	v_bfrev_b32_e32 v61, 1
	s_and_saveexec_b32 s51, s3
	s_cbranch_execz .LBB337_185
; %bb.180:                              ;   in Loop: Header=BB337_13 Depth=1
	v_and_b32_e32 v64, 0x7f, v63
	v_mov_b32_e32 v61, 0x7f800001
	s_mov_b32 s52, exec_lo
	v_cmpx_ne_u32_e32 0x7f, v64
	s_cbranch_execz .LBB337_184
; %bb.181:                              ;   in Loop: Header=BB337_13 Depth=1
	v_and_b32_e32 v19, 7, v63
	v_lshrrev_b32_e32 v61, 3, v64
	s_mov_b32 s53, exec_lo
	v_cmpx_gt_u32_e32 8, v64
; %bb.182:                              ;   in Loop: Header=BB337_13 Depth=1
	v_ffbh_u32_e32 v61, v19
	v_min_u32_e32 v61, 32, v61
	v_subrev_nc_u32_e32 v64, 28, v61
	v_sub_nc_u32_e32 v61, 29, v61
	v_lshlrev_b64 v[64:65], v64, v[19:20]
	v_and_b32_e32 v19, 7, v64
; %bb.183:                              ;   in Loop: Header=BB337_13 Depth=1
	s_or_b32 exec_lo, exec_lo, s53
	v_lshlrev_b32_e32 v64, 24, v63
	v_lshlrev_b32_e32 v19, 20, v19
	v_lshl_add_u32 v61, v61, 23, 0x3c000000
	v_and_b32_e32 v64, 0x80000000, v64
	v_or3_b32 v61, v19, v64, v61
.LBB337_184:                            ;   in Loop: Header=BB337_13 Depth=1
	s_or_b32 exec_lo, exec_lo, s52
.LBB337_185:                            ;   in Loop: Header=BB337_13 Depth=1
	s_or_b32 exec_lo, exec_lo, s51
.LBB337_186:                            ;   in Loop: Header=BB337_13 Depth=1
	s_or_b32 exec_lo, exec_lo, s50
	v_cmp_ne_u16_sdwa s3, v63, v20 src0_sel:BYTE_1 src1_sel:DWORD
	s_and_saveexec_b32 s50, s3
	s_cbranch_execz .LBB337_194
; %bb.187:                              ;   in Loop: Header=BB337_13 Depth=1
	v_cmp_ne_u16_sdwa s3, v63, v35 src0_sel:BYTE_1 src1_sel:DWORD
	v_bfrev_b32_e32 v62, 1
	s_and_saveexec_b32 s51, s3
	s_cbranch_execz .LBB337_193
; %bb.188:                              ;   in Loop: Header=BB337_13 Depth=1
	v_and_b32_sdwa v19, v36, v63 dst_sel:DWORD dst_unused:UNUSED_PAD src0_sel:DWORD src1_sel:BYTE_1
	v_mov_b32_e32 v62, 0x7f800001
	s_mov_b32 s52, exec_lo
	v_and_b32_e32 v64, 0x7f, v19
	v_cmpx_ne_u32_e32 0x7f, v64
	s_cbranch_execz .LBB337_192
; %bb.189:                              ;   in Loop: Header=BB337_13 Depth=1
	v_and_b32_e32 v19, 7, v19
	v_lshrrev_b32_e32 v62, 3, v64
	s_mov_b32 s53, exec_lo
	v_cmpx_gt_u32_e32 8, v64
; %bb.190:                              ;   in Loop: Header=BB337_13 Depth=1
	v_ffbh_u32_e32 v62, v19
	v_min_u32_e32 v62, 32, v62
	v_subrev_nc_u32_e32 v64, 28, v62
	v_sub_nc_u32_e32 v62, 29, v62
	v_lshlrev_b64 v[64:65], v64, v[19:20]
	v_and_b32_e32 v19, 7, v64
; %bb.191:                              ;   in Loop: Header=BB337_13 Depth=1
	s_or_b32 exec_lo, exec_lo, s53
	v_lshlrev_b32_e32 v63, 16, v63
	v_lshlrev_b32_e32 v19, 20, v19
	v_lshl_add_u32 v62, v62, 23, 0x3c000000
	v_and_b32_e32 v63, 0x80000000, v63
	v_or3_b32 v62, v19, v63, v62
.LBB337_192:                            ;   in Loop: Header=BB337_13 Depth=1
	s_or_b32 exec_lo, exec_lo, s52
.LBB337_193:                            ;   in Loop: Header=BB337_13 Depth=1
	s_or_b32 exec_lo, exec_lo, s51
.LBB337_194:                            ;   in Loop: Header=BB337_13 Depth=1
	s_or_b32 exec_lo, exec_lo, s50
	global_load_ushort v19, v[25:26], off offset:648
	v_mov_b32_e32 v64, 0
	v_mov_b32_e32 v63, 0
	s_waitcnt vmcnt(0)
	v_and_b32_e32 v65, 0xffff, v19
	v_cmp_ne_u16_sdwa s3, v19, v20 src0_sel:BYTE_0 src1_sel:DWORD
	s_and_saveexec_b32 s50, s3
	s_cbranch_execz .LBB337_202
; %bb.195:                              ;   in Loop: Header=BB337_13 Depth=1
	v_cmp_ne_u16_sdwa s3, v65, v35 src0_sel:BYTE_0 src1_sel:DWORD
	v_bfrev_b32_e32 v63, 1
	s_and_saveexec_b32 s51, s3
	s_cbranch_execz .LBB337_201
; %bb.196:                              ;   in Loop: Header=BB337_13 Depth=1
	v_and_b32_e32 v66, 0x7f, v65
	v_mov_b32_e32 v63, 0x7f800001
	s_mov_b32 s52, exec_lo
	v_cmpx_ne_u32_e32 0x7f, v66
	s_cbranch_execz .LBB337_200
; %bb.197:                              ;   in Loop: Header=BB337_13 Depth=1
	v_and_b32_e32 v19, 7, v65
	v_lshrrev_b32_e32 v63, 3, v66
	s_mov_b32 s53, exec_lo
	v_cmpx_gt_u32_e32 8, v66
; %bb.198:                              ;   in Loop: Header=BB337_13 Depth=1
	v_ffbh_u32_e32 v63, v19
	v_min_u32_e32 v63, 32, v63
	v_subrev_nc_u32_e32 v66, 28, v63
	v_sub_nc_u32_e32 v63, 29, v63
	v_lshlrev_b64 v[66:67], v66, v[19:20]
	v_and_b32_e32 v19, 7, v66
; %bb.199:                              ;   in Loop: Header=BB337_13 Depth=1
	s_or_b32 exec_lo, exec_lo, s53
	v_lshlrev_b32_e32 v66, 24, v65
	v_lshlrev_b32_e32 v19, 20, v19
	v_lshl_add_u32 v63, v63, 23, 0x3c000000
	v_and_b32_e32 v66, 0x80000000, v66
	v_or3_b32 v63, v19, v66, v63
.LBB337_200:                            ;   in Loop: Header=BB337_13 Depth=1
	s_or_b32 exec_lo, exec_lo, s52
.LBB337_201:                            ;   in Loop: Header=BB337_13 Depth=1
	s_or_b32 exec_lo, exec_lo, s51
.LBB337_202:                            ;   in Loop: Header=BB337_13 Depth=1
	s_or_b32 exec_lo, exec_lo, s50
	v_cmp_ne_u16_sdwa s3, v65, v20 src0_sel:BYTE_1 src1_sel:DWORD
	s_and_saveexec_b32 s50, s3
	s_cbranch_execz .LBB337_210
; %bb.203:                              ;   in Loop: Header=BB337_13 Depth=1
	v_cmp_ne_u16_sdwa s3, v65, v35 src0_sel:BYTE_1 src1_sel:DWORD
	v_bfrev_b32_e32 v64, 1
	s_and_saveexec_b32 s51, s3
	s_cbranch_execz .LBB337_209
; %bb.204:                              ;   in Loop: Header=BB337_13 Depth=1
	v_and_b32_sdwa v19, v36, v65 dst_sel:DWORD dst_unused:UNUSED_PAD src0_sel:DWORD src1_sel:BYTE_1
	v_mov_b32_e32 v64, 0x7f800001
	s_mov_b32 s52, exec_lo
	v_and_b32_e32 v66, 0x7f, v19
	v_cmpx_ne_u32_e32 0x7f, v66
	s_cbranch_execz .LBB337_208
; %bb.205:                              ;   in Loop: Header=BB337_13 Depth=1
	v_and_b32_e32 v19, 7, v19
	v_lshrrev_b32_e32 v64, 3, v66
	s_mov_b32 s53, exec_lo
	v_cmpx_gt_u32_e32 8, v66
; %bb.206:                              ;   in Loop: Header=BB337_13 Depth=1
	v_ffbh_u32_e32 v64, v19
	v_min_u32_e32 v64, 32, v64
	v_subrev_nc_u32_e32 v66, 28, v64
	v_sub_nc_u32_e32 v64, 29, v64
	v_lshlrev_b64 v[66:67], v66, v[19:20]
	v_and_b32_e32 v19, 7, v66
; %bb.207:                              ;   in Loop: Header=BB337_13 Depth=1
	s_or_b32 exec_lo, exec_lo, s53
	v_lshlrev_b32_e32 v65, 16, v65
	v_lshlrev_b32_e32 v19, 20, v19
	v_lshl_add_u32 v64, v64, 23, 0x3c000000
	v_and_b32_e32 v65, 0x80000000, v65
	v_or3_b32 v64, v19, v65, v64
.LBB337_208:                            ;   in Loop: Header=BB337_13 Depth=1
	s_or_b32 exec_lo, exec_lo, s52
.LBB337_209:                            ;   in Loop: Header=BB337_13 Depth=1
	s_or_b32 exec_lo, exec_lo, s51
.LBB337_210:                            ;   in Loop: Header=BB337_13 Depth=1
	s_or_b32 exec_lo, exec_lo, s50
	global_load_ushort v19, v[25:26], off offset:768
	v_mov_b32_e32 v66, 0
	v_mov_b32_e32 v65, 0
	s_waitcnt vmcnt(0)
	v_and_b32_e32 v67, 0xffff, v19
	v_cmp_ne_u16_sdwa s3, v19, v20 src0_sel:BYTE_0 src1_sel:DWORD
	s_and_saveexec_b32 s50, s3
	s_cbranch_execz .LBB337_218
; %bb.211:                              ;   in Loop: Header=BB337_13 Depth=1
	v_cmp_ne_u16_sdwa s3, v67, v35 src0_sel:BYTE_0 src1_sel:DWORD
	v_bfrev_b32_e32 v65, 1
	s_and_saveexec_b32 s51, s3
	s_cbranch_execz .LBB337_217
; %bb.212:                              ;   in Loop: Header=BB337_13 Depth=1
	v_and_b32_e32 v68, 0x7f, v67
	v_mov_b32_e32 v65, 0x7f800001
	s_mov_b32 s52, exec_lo
	v_cmpx_ne_u32_e32 0x7f, v68
	s_cbranch_execz .LBB337_216
; %bb.213:                              ;   in Loop: Header=BB337_13 Depth=1
	v_and_b32_e32 v19, 7, v67
	v_lshrrev_b32_e32 v65, 3, v68
	s_mov_b32 s53, exec_lo
	v_cmpx_gt_u32_e32 8, v68
; %bb.214:                              ;   in Loop: Header=BB337_13 Depth=1
	v_ffbh_u32_e32 v65, v19
	v_min_u32_e32 v65, 32, v65
	v_subrev_nc_u32_e32 v68, 28, v65
	v_sub_nc_u32_e32 v65, 29, v65
	v_lshlrev_b64 v[68:69], v68, v[19:20]
	v_and_b32_e32 v19, 7, v68
; %bb.215:                              ;   in Loop: Header=BB337_13 Depth=1
	s_or_b32 exec_lo, exec_lo, s53
	v_lshlrev_b32_e32 v68, 24, v67
	v_lshlrev_b32_e32 v19, 20, v19
	v_lshl_add_u32 v65, v65, 23, 0x3c000000
	v_and_b32_e32 v68, 0x80000000, v68
	v_or3_b32 v65, v19, v68, v65
.LBB337_216:                            ;   in Loop: Header=BB337_13 Depth=1
	s_or_b32 exec_lo, exec_lo, s52
.LBB337_217:                            ;   in Loop: Header=BB337_13 Depth=1
	s_or_b32 exec_lo, exec_lo, s51
.LBB337_218:                            ;   in Loop: Header=BB337_13 Depth=1
	s_or_b32 exec_lo, exec_lo, s50
	v_cmp_ne_u16_sdwa s3, v67, v20 src0_sel:BYTE_1 src1_sel:DWORD
	s_and_saveexec_b32 s50, s3
	s_cbranch_execz .LBB337_226
; %bb.219:                              ;   in Loop: Header=BB337_13 Depth=1
	v_cmp_ne_u16_sdwa s3, v67, v35 src0_sel:BYTE_1 src1_sel:DWORD
	v_bfrev_b32_e32 v66, 1
	s_and_saveexec_b32 s51, s3
	s_cbranch_execz .LBB337_225
; %bb.220:                              ;   in Loop: Header=BB337_13 Depth=1
	v_and_b32_sdwa v19, v36, v67 dst_sel:DWORD dst_unused:UNUSED_PAD src0_sel:DWORD src1_sel:BYTE_1
	v_mov_b32_e32 v66, 0x7f800001
	s_mov_b32 s52, exec_lo
	v_and_b32_e32 v68, 0x7f, v19
	v_cmpx_ne_u32_e32 0x7f, v68
	s_cbranch_execz .LBB337_224
; %bb.221:                              ;   in Loop: Header=BB337_13 Depth=1
	v_and_b32_e32 v19, 7, v19
	v_lshrrev_b32_e32 v66, 3, v68
	s_mov_b32 s53, exec_lo
	v_cmpx_gt_u32_e32 8, v68
; %bb.222:                              ;   in Loop: Header=BB337_13 Depth=1
	v_ffbh_u32_e32 v66, v19
	v_min_u32_e32 v66, 32, v66
	v_subrev_nc_u32_e32 v68, 28, v66
	v_sub_nc_u32_e32 v66, 29, v66
	v_lshlrev_b64 v[68:69], v68, v[19:20]
	v_and_b32_e32 v19, 7, v68
; %bb.223:                              ;   in Loop: Header=BB337_13 Depth=1
	s_or_b32 exec_lo, exec_lo, s53
	v_lshlrev_b32_e32 v67, 16, v67
	v_lshlrev_b32_e32 v19, 20, v19
	v_lshl_add_u32 v66, v66, 23, 0x3c000000
	v_and_b32_e32 v67, 0x80000000, v67
	v_or3_b32 v66, v19, v67, v66
.LBB337_224:                            ;   in Loop: Header=BB337_13 Depth=1
	s_or_b32 exec_lo, exec_lo, s52
.LBB337_225:                            ;   in Loop: Header=BB337_13 Depth=1
	s_or_b32 exec_lo, exec_lo, s51
.LBB337_226:                            ;   in Loop: Header=BB337_13 Depth=1
	s_or_b32 exec_lo, exec_lo, s50
	global_load_ushort v19, v[25:26], off offset:776
	v_mov_b32_e32 v68, 0
	v_mov_b32_e32 v67, 0
	s_waitcnt vmcnt(0)
	v_and_b32_e32 v69, 0xffff, v19
	v_cmp_ne_u16_sdwa s3, v19, v20 src0_sel:BYTE_0 src1_sel:DWORD
	s_and_saveexec_b32 s50, s3
	s_cbranch_execz .LBB337_234
; %bb.227:                              ;   in Loop: Header=BB337_13 Depth=1
	v_cmp_ne_u16_sdwa s3, v69, v35 src0_sel:BYTE_0 src1_sel:DWORD
	v_bfrev_b32_e32 v67, 1
	s_and_saveexec_b32 s51, s3
	s_cbranch_execz .LBB337_233
; %bb.228:                              ;   in Loop: Header=BB337_13 Depth=1
	v_and_b32_e32 v70, 0x7f, v69
	v_mov_b32_e32 v67, 0x7f800001
	s_mov_b32 s52, exec_lo
	v_cmpx_ne_u32_e32 0x7f, v70
	s_cbranch_execz .LBB337_232
; %bb.229:                              ;   in Loop: Header=BB337_13 Depth=1
	v_and_b32_e32 v19, 7, v69
	v_lshrrev_b32_e32 v67, 3, v70
	s_mov_b32 s53, exec_lo
	v_cmpx_gt_u32_e32 8, v70
; %bb.230:                              ;   in Loop: Header=BB337_13 Depth=1
	v_ffbh_u32_e32 v67, v19
	v_min_u32_e32 v67, 32, v67
	v_subrev_nc_u32_e32 v70, 28, v67
	v_sub_nc_u32_e32 v67, 29, v67
	v_lshlrev_b64 v[70:71], v70, v[19:20]
	v_and_b32_e32 v19, 7, v70
; %bb.231:                              ;   in Loop: Header=BB337_13 Depth=1
	s_or_b32 exec_lo, exec_lo, s53
	v_lshlrev_b32_e32 v70, 24, v69
	v_lshlrev_b32_e32 v19, 20, v19
	v_lshl_add_u32 v67, v67, 23, 0x3c000000
	v_and_b32_e32 v70, 0x80000000, v70
	v_or3_b32 v67, v19, v70, v67
.LBB337_232:                            ;   in Loop: Header=BB337_13 Depth=1
	s_or_b32 exec_lo, exec_lo, s52
.LBB337_233:                            ;   in Loop: Header=BB337_13 Depth=1
	s_or_b32 exec_lo, exec_lo, s51
.LBB337_234:                            ;   in Loop: Header=BB337_13 Depth=1
	s_or_b32 exec_lo, exec_lo, s50
	v_cmp_ne_u16_sdwa s3, v69, v20 src0_sel:BYTE_1 src1_sel:DWORD
	s_and_saveexec_b32 s50, s3
	s_cbranch_execz .LBB337_242
; %bb.235:                              ;   in Loop: Header=BB337_13 Depth=1
	v_cmp_ne_u16_sdwa s3, v69, v35 src0_sel:BYTE_1 src1_sel:DWORD
	v_bfrev_b32_e32 v68, 1
	s_and_saveexec_b32 s51, s3
	s_cbranch_execz .LBB337_241
; %bb.236:                              ;   in Loop: Header=BB337_13 Depth=1
	v_and_b32_sdwa v19, v36, v69 dst_sel:DWORD dst_unused:UNUSED_PAD src0_sel:DWORD src1_sel:BYTE_1
	v_mov_b32_e32 v68, 0x7f800001
	s_mov_b32 s52, exec_lo
	v_and_b32_e32 v70, 0x7f, v19
	v_cmpx_ne_u32_e32 0x7f, v70
	s_cbranch_execz .LBB337_240
; %bb.237:                              ;   in Loop: Header=BB337_13 Depth=1
	v_and_b32_e32 v19, 7, v19
	v_lshrrev_b32_e32 v68, 3, v70
	s_mov_b32 s53, exec_lo
	v_cmpx_gt_u32_e32 8, v70
; %bb.238:                              ;   in Loop: Header=BB337_13 Depth=1
	v_ffbh_u32_e32 v68, v19
	v_min_u32_e32 v68, 32, v68
	v_subrev_nc_u32_e32 v70, 28, v68
	v_sub_nc_u32_e32 v68, 29, v68
	v_lshlrev_b64 v[70:71], v70, v[19:20]
	v_and_b32_e32 v19, 7, v70
; %bb.239:                              ;   in Loop: Header=BB337_13 Depth=1
	s_or_b32 exec_lo, exec_lo, s53
	v_lshlrev_b32_e32 v69, 16, v69
	v_lshlrev_b32_e32 v19, 20, v19
	v_lshl_add_u32 v68, v68, 23, 0x3c000000
	v_and_b32_e32 v69, 0x80000000, v69
	v_or3_b32 v68, v19, v69, v68
.LBB337_240:                            ;   in Loop: Header=BB337_13 Depth=1
	s_or_b32 exec_lo, exec_lo, s52
.LBB337_241:                            ;   in Loop: Header=BB337_13 Depth=1
	s_or_b32 exec_lo, exec_lo, s51
.LBB337_242:                            ;   in Loop: Header=BB337_13 Depth=1
	s_or_b32 exec_lo, exec_lo, s50
	global_load_ushort v19, v[25:26], off offset:896
	v_mov_b32_e32 v70, 0
	v_mov_b32_e32 v69, 0
	s_waitcnt vmcnt(0)
	v_and_b32_e32 v71, 0xffff, v19
	v_cmp_ne_u16_sdwa s3, v19, v20 src0_sel:BYTE_0 src1_sel:DWORD
	s_and_saveexec_b32 s50, s3
	s_cbranch_execz .LBB337_250
; %bb.243:                              ;   in Loop: Header=BB337_13 Depth=1
	v_cmp_ne_u16_sdwa s3, v71, v35 src0_sel:BYTE_0 src1_sel:DWORD
	v_bfrev_b32_e32 v69, 1
	s_and_saveexec_b32 s51, s3
	s_cbranch_execz .LBB337_249
; %bb.244:                              ;   in Loop: Header=BB337_13 Depth=1
	v_and_b32_e32 v72, 0x7f, v71
	v_mov_b32_e32 v69, 0x7f800001
	s_mov_b32 s52, exec_lo
	v_cmpx_ne_u32_e32 0x7f, v72
	s_cbranch_execz .LBB337_248
; %bb.245:                              ;   in Loop: Header=BB337_13 Depth=1
	v_and_b32_e32 v19, 7, v71
	v_lshrrev_b32_e32 v69, 3, v72
	s_mov_b32 s53, exec_lo
	v_cmpx_gt_u32_e32 8, v72
; %bb.246:                              ;   in Loop: Header=BB337_13 Depth=1
	v_ffbh_u32_e32 v69, v19
	v_min_u32_e32 v69, 32, v69
	v_subrev_nc_u32_e32 v72, 28, v69
	v_sub_nc_u32_e32 v69, 29, v69
	v_lshlrev_b64 v[72:73], v72, v[19:20]
	v_and_b32_e32 v19, 7, v72
; %bb.247:                              ;   in Loop: Header=BB337_13 Depth=1
	s_or_b32 exec_lo, exec_lo, s53
	v_lshlrev_b32_e32 v72, 24, v71
	v_lshlrev_b32_e32 v19, 20, v19
	v_lshl_add_u32 v69, v69, 23, 0x3c000000
	v_and_b32_e32 v72, 0x80000000, v72
	v_or3_b32 v69, v19, v72, v69
.LBB337_248:                            ;   in Loop: Header=BB337_13 Depth=1
	s_or_b32 exec_lo, exec_lo, s52
.LBB337_249:                            ;   in Loop: Header=BB337_13 Depth=1
	s_or_b32 exec_lo, exec_lo, s51
.LBB337_250:                            ;   in Loop: Header=BB337_13 Depth=1
	s_or_b32 exec_lo, exec_lo, s50
	v_cmp_ne_u16_sdwa s3, v71, v20 src0_sel:BYTE_1 src1_sel:DWORD
	s_and_saveexec_b32 s50, s3
	s_cbranch_execz .LBB337_258
; %bb.251:                              ;   in Loop: Header=BB337_13 Depth=1
	v_cmp_ne_u16_sdwa s3, v71, v35 src0_sel:BYTE_1 src1_sel:DWORD
	v_bfrev_b32_e32 v70, 1
	s_and_saveexec_b32 s51, s3
	s_cbranch_execz .LBB337_257
; %bb.252:                              ;   in Loop: Header=BB337_13 Depth=1
	v_and_b32_sdwa v19, v36, v71 dst_sel:DWORD dst_unused:UNUSED_PAD src0_sel:DWORD src1_sel:BYTE_1
	v_mov_b32_e32 v70, 0x7f800001
	s_mov_b32 s52, exec_lo
	v_and_b32_e32 v72, 0x7f, v19
	v_cmpx_ne_u32_e32 0x7f, v72
	s_cbranch_execz .LBB337_256
; %bb.253:                              ;   in Loop: Header=BB337_13 Depth=1
	v_and_b32_e32 v19, 7, v19
	v_lshrrev_b32_e32 v70, 3, v72
	s_mov_b32 s53, exec_lo
	v_cmpx_gt_u32_e32 8, v72
; %bb.254:                              ;   in Loop: Header=BB337_13 Depth=1
	v_ffbh_u32_e32 v70, v19
	v_min_u32_e32 v70, 32, v70
	v_subrev_nc_u32_e32 v72, 28, v70
	v_sub_nc_u32_e32 v70, 29, v70
	v_lshlrev_b64 v[72:73], v72, v[19:20]
	v_and_b32_e32 v19, 7, v72
; %bb.255:                              ;   in Loop: Header=BB337_13 Depth=1
	s_or_b32 exec_lo, exec_lo, s53
	v_lshlrev_b32_e32 v71, 16, v71
	v_lshlrev_b32_e32 v19, 20, v19
	v_lshl_add_u32 v70, v70, 23, 0x3c000000
	v_and_b32_e32 v71, 0x80000000, v71
	v_or3_b32 v70, v19, v71, v70
.LBB337_256:                            ;   in Loop: Header=BB337_13 Depth=1
	s_or_b32 exec_lo, exec_lo, s52
.LBB337_257:                            ;   in Loop: Header=BB337_13 Depth=1
	s_or_b32 exec_lo, exec_lo, s51
.LBB337_258:                            ;   in Loop: Header=BB337_13 Depth=1
	s_or_b32 exec_lo, exec_lo, s50
	global_load_ushort v19, v[25:26], off offset:904
	v_mov_b32_e32 v25, 0
	v_mov_b32_e32 v71, 0
	s_waitcnt vmcnt(0)
	v_and_b32_e32 v26, 0xffff, v19
	v_cmp_ne_u16_sdwa s3, v19, v20 src0_sel:BYTE_0 src1_sel:DWORD
	s_and_saveexec_b32 s50, s3
	s_cbranch_execz .LBB337_266
; %bb.259:                              ;   in Loop: Header=BB337_13 Depth=1
	v_cmp_ne_u16_sdwa s3, v26, v35 src0_sel:BYTE_0 src1_sel:DWORD
	v_bfrev_b32_e32 v71, 1
	s_and_saveexec_b32 s51, s3
	s_cbranch_execz .LBB337_265
; %bb.260:                              ;   in Loop: Header=BB337_13 Depth=1
	v_and_b32_e32 v72, 0x7f, v26
	v_mov_b32_e32 v71, 0x7f800001
	s_mov_b32 s52, exec_lo
	v_cmpx_ne_u32_e32 0x7f, v72
	s_cbranch_execz .LBB337_264
; %bb.261:                              ;   in Loop: Header=BB337_13 Depth=1
	v_and_b32_e32 v19, 7, v26
	v_lshrrev_b32_e32 v71, 3, v72
	s_mov_b32 s53, exec_lo
	v_cmpx_gt_u32_e32 8, v72
; %bb.262:                              ;   in Loop: Header=BB337_13 Depth=1
	v_ffbh_u32_e32 v71, v19
	v_min_u32_e32 v71, 32, v71
	v_subrev_nc_u32_e32 v72, 28, v71
	v_sub_nc_u32_e32 v71, 29, v71
	v_lshlrev_b64 v[72:73], v72, v[19:20]
	v_and_b32_e32 v19, 7, v72
; %bb.263:                              ;   in Loop: Header=BB337_13 Depth=1
	s_or_b32 exec_lo, exec_lo, s53
	v_lshlrev_b32_e32 v72, 24, v26
	v_lshlrev_b32_e32 v19, 20, v19
	v_lshl_add_u32 v71, v71, 23, 0x3c000000
	v_and_b32_e32 v72, 0x80000000, v72
	v_or3_b32 v71, v19, v72, v71
.LBB337_264:                            ;   in Loop: Header=BB337_13 Depth=1
	s_or_b32 exec_lo, exec_lo, s52
.LBB337_265:                            ;   in Loop: Header=BB337_13 Depth=1
	s_or_b32 exec_lo, exec_lo, s51
.LBB337_266:                            ;   in Loop: Header=BB337_13 Depth=1
	s_or_b32 exec_lo, exec_lo, s50
	v_cmp_ne_u16_sdwa s3, v26, v20 src0_sel:BYTE_1 src1_sel:DWORD
	s_and_saveexec_b32 s50, s3
	s_cbranch_execz .LBB337_274
; %bb.267:                              ;   in Loop: Header=BB337_13 Depth=1
	v_cmp_ne_u16_sdwa s3, v26, v35 src0_sel:BYTE_1 src1_sel:DWORD
	v_bfrev_b32_e32 v25, 1
	s_and_saveexec_b32 s51, s3
	s_cbranch_execz .LBB337_273
; %bb.268:                              ;   in Loop: Header=BB337_13 Depth=1
	v_and_b32_sdwa v19, v36, v26 dst_sel:DWORD dst_unused:UNUSED_PAD src0_sel:DWORD src1_sel:BYTE_1
	v_mov_b32_e32 v25, 0x7f800001
	s_mov_b32 s52, exec_lo
	v_and_b32_e32 v72, 0x7f, v19
	v_cmpx_ne_u32_e32 0x7f, v72
	s_cbranch_execz .LBB337_272
; %bb.269:                              ;   in Loop: Header=BB337_13 Depth=1
	v_and_b32_e32 v19, 7, v19
	v_lshrrev_b32_e32 v25, 3, v72
	s_mov_b32 s53, exec_lo
	v_cmpx_gt_u32_e32 8, v72
; %bb.270:                              ;   in Loop: Header=BB337_13 Depth=1
	v_ffbh_u32_e32 v25, v19
	v_min_u32_e32 v25, 32, v25
	v_subrev_nc_u32_e32 v72, 28, v25
	v_sub_nc_u32_e32 v25, 29, v25
	v_lshlrev_b64 v[72:73], v72, v[19:20]
	v_and_b32_e32 v19, 7, v72
; %bb.271:                              ;   in Loop: Header=BB337_13 Depth=1
	s_or_b32 exec_lo, exec_lo, s53
	v_lshlrev_b32_e32 v26, 16, v26
	v_lshlrev_b32_e32 v19, 20, v19
	v_lshl_add_u32 v25, v25, 23, 0x3c000000
	v_and_b32_e32 v26, 0x80000000, v26
	v_or3_b32 v25, v19, v26, v25
.LBB337_272:                            ;   in Loop: Header=BB337_13 Depth=1
	s_or_b32 exec_lo, exec_lo, s52
.LBB337_273:                            ;   in Loop: Header=BB337_13 Depth=1
	s_or_b32 exec_lo, exec_lo, s51
.LBB337_274:                            ;   in Loop: Header=BB337_13 Depth=1
	s_or_b32 exec_lo, exec_lo, s50
	s_waitcnt lgkmcnt(0)
	v_mul_f32_e32 v19, s49, v71
	v_mul_f32_e32 v26, s49, v70
	;; [unrolled: 1-line block ×5, first 2 shown]
	v_bfe_u32 v70, v19, 16, 1
	v_bfe_u32 v71, v26, 16, 1
	v_or_b32_e32 v72, 0x400000, v19
	v_cmp_u_f32_e64 s3, v19, v19
	v_or_b32_e32 v73, 0x400000, v26
	v_add3_u32 v70, v70, v19, 0x7fff
	v_bfe_u32 v74, v69, 16, 1
	v_add3_u32 v71, v71, v26, 0x7fff
	v_bfe_u32 v75, v68, 16, 1
	v_mul_f32_e32 v55, s49, v55
	v_cndmask_b32_e64 v19, v70, v72, s3
	v_cmp_u_f32_e64 s3, v26, v26
	v_add3_u32 v70, v74, v69, 0x7fff
	v_add3_u32 v72, v75, v68, 0x7fff
	v_or_b32_e32 v74, 0x400000, v68
	v_mul_f32_e32 v54, s49, v54
	v_cndmask_b32_e64 v26, v71, v73, s3
	v_mul_f32_e32 v71, s49, v67
	v_or_b32_e32 v67, 0x400000, v69
	v_cmp_u_f32_e64 s3, v69, v69
	v_mul_f32_e32 v73, s49, v66
	v_mul_f32_e32 v53, s49, v53
	v_bfe_u32 v75, v71, 16, 1
	v_mul_f32_e32 v52, s49, v52
	v_cndmask_b32_e64 v66, v70, v67, s3
	v_cmp_u_f32_e64 s3, v68, v68
	v_bfe_u32 v69, v73, 16, 1
	v_add3_u32 v68, v75, v71, 0x7fff
	v_mul_f32_e32 v70, s49, v65
	v_or_b32_e32 v65, 0x400000, v71
	v_cndmask_b32_e64 v67, v72, v74, s3
	v_cmp_u_f32_e64 s3, v71, v71
	v_add3_u32 v69, v69, v73, 0x7fff
	v_mul_f32_e32 v72, s49, v64
	v_or_b32_e32 v74, 0x400000, v73
	v_bfe_u32 v75, v70, 16, 1
	v_cndmask_b32_e64 v64, v68, v65, s3
	v_cmp_u_f32_e64 s3, v73, v73
	v_bfe_u32 v68, v72, 16, 1
	v_mul_f32_e32 v71, s49, v63
	v_or_b32_e32 v63, 0x400000, v70
	v_mul_f32_e32 v73, s49, v62
	v_cndmask_b32_e64 v65, v69, v74, s3
	v_add3_u32 v69, v75, v70, 0x7fff
	v_cmp_u_f32_e64 s3, v70, v70
	v_add3_u32 v68, v68, v72, 0x7fff
	v_or_b32_e32 v74, 0x400000, v72
	v_bfe_u32 v75, v71, 16, 1
	v_mul_f32_e32 v70, s49, v61
	v_cndmask_b32_e64 v62, v69, v63, s3
	v_cmp_u_f32_e64 s3, v72, v72
	v_bfe_u32 v69, v73, 16, 1
	v_or_b32_e32 v61, 0x400000, v71
	v_mul_f32_e32 v72, s49, v60
	v_bfe_u32 v77, v52, 16, 1
	v_cndmask_b32_e64 v63, v68, v74, s3
	v_add3_u32 v68, v75, v71, 0x7fff
	v_cmp_u_f32_e64 s3, v71, v71
	v_add3_u32 v69, v69, v73, 0x7fff
	v_or_b32_e32 v74, 0x400000, v73
	v_bfe_u32 v75, v70, 16, 1
	v_mul_f32_e32 v71, s49, v59
	v_cndmask_b32_e64 v60, v68, v61, s3
	v_cmp_u_f32_e64 s3, v73, v73
	v_bfe_u32 v68, v72, 16, 1
	v_or_b32_e32 v59, 0x400000, v70
	v_mul_f32_e32 v73, s49, v58
	v_mul_f32_e32 v51, s49, v51
	v_cndmask_b32_e64 v61, v69, v74, s3
	v_add3_u32 v69, v75, v70, 0x7fff
	v_cmp_u_f32_e64 s3, v70, v70
	v_add3_u32 v68, v68, v72, 0x7fff
	v_or_b32_e32 v74, 0x400000, v72
	v_bfe_u32 v75, v71, 16, 1
	v_or_b32_e32 v70, 0x400000, v71
	v_cndmask_b32_e64 v58, v69, v59, s3
	v_cmp_u_f32_e64 s3, v72, v72
	v_bfe_u32 v69, v73, 16, 1
	v_mul_f32_e32 v72, s49, v56
	v_mul_f32_e32 v50, s49, v50
	v_bfe_u32 v78, v51, 16, 1
	v_cndmask_b32_e64 v59, v68, v74, s3
	v_add3_u32 v68, v75, v71, 0x7fff
	v_cmp_u_f32_e64 s3, v71, v71
	v_add3_u32 v69, v69, v73, 0x7fff
	v_or_b32_e32 v74, 0x400000, v73
	v_bfe_u32 v75, v57, 16, 1
	v_or_b32_e32 v71, 0x400000, v72
	v_cndmask_b32_e64 v56, v68, v70, s3
	v_bfe_u32 v70, v72, 16, 1
	v_cmp_u_f32_e64 s3, v73, v73
	v_bfe_u32 v79, v50, 16, 1
	v_mul_f32_e32 v49, s49, v49
	v_mul_f32_e32 v48, s49, v48
	v_add3_u32 v70, v70, v72, 0x7fff
	v_cndmask_b32_e64 v68, v69, v74, s3
	v_add3_u32 v69, v75, v57, 0x7fff
	v_bfe_u32 v74, v55, 16, 1
	v_bfe_u32 v75, v54, 16, 1
	v_cmp_u_f32_e64 s3, v72, v72
	v_bfe_u32 v81, v48, 16, 1
	v_mul_f32_e32 v47, s49, v47
	v_mul_f32_e32 v46, s49, v46
	v_add3_u32 v72, v75, v54, 0x7fff
	v_cndmask_b32_e64 v70, v70, v71, s3
	v_add3_u32 v71, v74, v55, 0x7fff
	v_or_b32_e32 v74, 0x400000, v54
	v_bfe_u32 v75, v53, 16, 1
	v_cmp_u_f32_e64 s3, v54, v54
	v_bfe_u32 v82, v47, 16, 1
	v_bfe_u32 v83, v46, 16, 1
	v_mul_f32_e32 v44, s49, v44
	v_mul_f32_e32 v43, s49, v43
	v_cndmask_b32_e64 v54, v72, v74, s3
	v_add3_u32 v72, v75, v53, 0x7fff
	v_add3_u32 v74, v77, v52, 0x7fff
	v_or_b32_e32 v75, 0x400000, v52
	v_cmp_u_f32_e64 s3, v52, v52
	v_mul_f32_e32 v42, s49, v42
	v_or_b32_e32 v85, 0x400000, v44
	v_bfe_u32 v86, v43, 16, 1
	v_mul_f32_e32 v41, s49, v41
	v_cndmask_b32_e64 v52, v74, v75, s3
	v_add3_u32 v74, v78, v51, 0x7fff
	v_add3_u32 v75, v79, v50, 0x7fff
	v_or_b32_e32 v78, 0x400000, v50
	v_bfe_u32 v79, v49, 16, 1
	v_cmp_u_f32_e64 s3, v50, v50
	v_bfe_u32 v87, v42, 16, 1
	v_mul_f32_e32 v45, s49, v45
	v_or_b32_e32 v88, 0x400000, v42
	v_or_b32_e32 v89, 0x400000, v41
	v_cndmask_b32_e64 v50, v75, v78, s3
	v_add3_u32 v75, v79, v49, 0x7fff
	v_add3_u32 v78, v81, v48, 0x7fff
	v_or_b32_e32 v79, 0x400000, v48
	v_cmp_u_f32_e64 s3, v48, v48
	v_add3_u32 v87, v87, v42, 0x7fff
	v_or_b32_e32 v84, 0x400000, v47
	v_or_b32_e32 v81, 0x400000, v49
	;; [unrolled: 1-line block ×3, first 2 shown]
	v_cndmask_b32_e64 v48, v78, v79, s3
	v_add3_u32 v78, v82, v47, 0x7fff
	v_add3_u32 v79, v83, v46, 0x7fff
	v_or_b32_e32 v82, 0x400000, v46
	v_cmp_u_f32_e64 s3, v46, v46
	v_bfe_u32 v83, v45, 16, 1
	v_or_b32_e32 v77, 0x400000, v53
	v_or_b32_e32 v76, 0x400000, v55
	v_or_b32_e32 v73, 0x400000, v57
	v_cndmask_b32_e64 v46, v79, v82, s3
	v_bfe_u32 v79, v44, 16, 1
	v_cmp_u_f32_e64 s3, v44, v44
	v_add3_u32 v82, v83, v45, 0x7fff
	v_or_b32_e32 v83, 0x400000, v45
	v_add3_u32 v79, v79, v44, 0x7fff
	v_cndmask_b32_e64 v44, v79, v85, s3
	v_add3_u32 v85, v86, v43, 0x7fff
	v_or_b32_e32 v86, 0x400000, v43
	v_cmp_u_f32_e64 s3, v43, v43
	v_bfe_u32 v79, v41, 16, 1
	v_and_b32_e32 v44, 0xffff0000, v44
	v_cndmask_b32_e64 v43, v85, v86, s3
	v_cmp_u_f32_e64 s3, v42, v42
	v_add3_u32 v79, v79, v41, 0x7fff
	v_lshlrev_b32_e32 v85, 16, v14
	v_and_b32_e32 v14, 0xffff0000, v14
	v_and_b32_e32 v43, 0xffff0000, v43
	v_cndmask_b32_e64 v42, v87, v88, s3
	v_cmp_u_f32_e64 s3, v41, v41
	v_mul_f32_e32 v14, v14, v44
	v_mul_f32_e32 v43, v85, v43
	v_and_b32_e32 v42, 0xffff0000, v42
	v_cndmask_b32_e64 v41, v79, v89, s3
	v_cmp_u_f32_e64 s3, v45, v45
	v_lshlrev_b32_e32 v79, 16, v13
	v_and_b32_e32 v13, 0xffff0000, v13
	v_lshlrev_b32_e32 v45, 16, v15
	v_and_b32_e32 v41, 0xffff0000, v41
	v_cndmask_b32_e64 v44, v82, v83, s3
	v_cmp_u_f32_e64 s3, v47, v47
	v_and_b32_e32 v15, 0xffff0000, v15
	v_fmac_f32_e32 v14, v13, v42
	v_fmac_f32_e32 v43, v79, v41
	v_and_b32_e32 v13, 0xffff0000, v44
	v_and_b32_e32 v41, 0xffff0000, v46
	v_cndmask_b32_e64 v42, v78, v84, s3
	v_cmp_u_f32_e64 s3, v49, v49
	v_lshlrev_b32_e32 v44, 16, v16
	v_and_b32_e32 v16, 0xffff0000, v16
	v_fmac_f32_e32 v43, v45, v13
	v_fmac_f32_e32 v14, v15, v41
	v_and_b32_e32 v13, 0xffff0000, v42
	v_and_b32_e32 v15, 0xffff0000, v48
	v_cndmask_b32_e64 v41, v75, v81, s3
	v_cmp_u_f32_e64 s3, v51, v51
	v_lshlrev_b32_e32 v42, 16, v9
	;; [unrolled: 8-line block ×5, first 2 shown]
	v_and_b32_e32 v12, 0xffff0000, v12
	v_fmac_f32_e32 v43, v16, v9
	v_fmac_f32_e32 v14, v11, v10
	v_and_b32_e32 v9, 0xffff0000, v13
	v_and_b32_e32 v10, 0xffff0000, v70
	v_cndmask_b32_e64 v11, v69, v73, s3
	v_lshlrev_b32_e32 v13, 16, v5
	v_and_b32_e32 v5, 0xffff0000, v5
	v_fmac_f32_e32 v43, v15, v9
	v_fmac_f32_e32 v14, v12, v10
	v_and_b32_e32 v9, 0xffff0000, v11
	v_and_b32_e32 v10, 0xffff0000, v68
	v_lshlrev_b32_e32 v11, 16, v6
	v_and_b32_e32 v6, 0xffff0000, v6
	v_lshlrev_b32_e32 v12, 16, v7
	v_fmac_f32_e32 v43, v13, v9
	v_fmac_f32_e32 v14, v5, v10
	v_and_b32_e32 v5, 0xffff0000, v56
	v_and_b32_e32 v9, 0xffff0000, v59
	;; [unrolled: 1-line block ×3, first 2 shown]
	v_lshlrev_b32_e32 v10, 16, v8
	v_and_b32_e32 v8, 0xffff0000, v8
	v_fmac_f32_e32 v43, v11, v5
	v_fmac_f32_e32 v14, v6, v9
	v_and_b32_e32 v5, 0xffff0000, v58
	v_and_b32_e32 v6, 0xffff0000, v61
	v_lshlrev_b32_e32 v13, 16, v1
	v_and_b32_e32 v1, 0xffff0000, v1
	v_lshlrev_b32_e32 v9, 16, v2
	v_fmac_f32_e32 v43, v12, v5
	v_fmac_f32_e32 v14, v7, v6
	v_and_b32_e32 v5, 0xffff0000, v60
	v_and_b32_e32 v6, 0xffff0000, v63
	v_mul_f32_e32 v12, s49, v25
	v_and_b32_e32 v2, 0xffff0000, v2
	v_lshlrev_b32_e32 v11, 16, v3
	v_fmac_f32_e32 v43, v10, v5
	v_fmac_f32_e32 v14, v8, v6
	v_and_b32_e32 v5, 0xffff0000, v62
	v_and_b32_e32 v6, 0xffff0000, v65
	v_bfe_u32 v10, v12, 16, 1
	v_cmp_u_f32_e64 s3, v12, v12
	v_xor_b32_e32 v8, 2, v29
	v_fmac_f32_e32 v43, v13, v5
	v_fmac_f32_e32 v14, v1, v6
	v_and_b32_e32 v1, 0xffff0000, v64
	v_and_b32_e32 v5, 0xffff0000, v67
	v_add3_u32 v6, v10, v12, 0x7fff
	v_or_b32_e32 v10, 0x400000, v12
	v_and_b32_e32 v3, 0xffff0000, v3
	v_fmac_f32_e32 v43, v9, v1
	v_fmac_f32_e32 v14, v2, v5
	v_and_b32_e32 v1, 0xffff0000, v66
	v_and_b32_e32 v2, 0xffff0000, v26
	v_cndmask_b32_e64 v5, v6, v10, s3
	v_lshlrev_b32_e32 v7, 16, v4
	v_and_b32_e32 v4, 0xffff0000, v4
	v_fmac_f32_e32 v43, v11, v1
	v_fmac_f32_e32 v14, v3, v2
	v_and_b32_e32 v1, 0xffff0000, v19
	v_and_b32_e32 v2, 0xffff0000, v5
	v_cmp_gt_i32_e64 s3, 32, v8
	v_fmac_f32_e32 v43, v7, v1
	v_fmac_f32_e32 v14, v4, v2
	v_cndmask_b32_e64 v3, v29, v8, s3
	v_add_f32_e32 v2, v43, v14
	v_lshlrev_b32_e32 v1, 2, v3
	v_xor_b32_e32 v3, 1, v29
	ds_bpermute_b32 v1, v1, v2
	v_cmp_gt_i32_e64 s3, 32, v3
	v_cndmask_b32_e64 v3, v29, v3, s3
	v_lshlrev_b32_e32 v3, 2, v3
	s_waitcnt lgkmcnt(0)
	v_add_f32_e32 v1, v2, v1
	ds_bpermute_b32 v2, v3, v1
	s_and_saveexec_b32 s49, vcc_lo
	s_cbranch_execz .LBB337_11
; %bb.275:                              ;   in Loop: Header=BB337_13 Depth=1
	v_add_nc_u32_e32 v3, v37, v33
	s_waitcnt lgkmcnt(0)
	v_add_f32_e32 v1, v1, v2
	v_cvt_f32_i32_e32 v3, v3
	v_mul_f32_e32 v3, s43, v3
	v_cndmask_b32_e64 v2, 0, v3, s2
	v_max_f32_e32 v3, v30, v30
	v_fmac_f32_e32 v2, s41, v1
	v_add_nc_u32_e32 v1, v31, v33
	v_max_f32_e32 v3, v3, v2
	v_cmp_gt_i32_e64 s3, s31, v1
	v_cndmask_b32_e64 v1, 0, v2, s3
	v_cndmask_b32_e64 v30, v30, v3, s3
	ds_write_b32 v38, v1
	s_branch .LBB337_11
.LBB337_276:
	s_or_b32 exec_lo, exec_lo, s47
.LBB337_277:
	s_or_b32 exec_lo, exec_lo, s45
	v_xor_b32_e32 v1, 16, v29
	v_xor_b32_e32 v3, 8, v29
	v_max_f32_e32 v5, v30, v30
	v_and_b32_e32 v22, 31, v0
	v_cmp_gt_i32_e32 vcc_lo, 32, v1
	v_cndmask_b32_e32 v1, v29, v1, vcc_lo
	v_cmp_gt_i32_e32 vcc_lo, 32, v3
	s_waitcnt lgkmcnt(0)
	v_lshlrev_b32_e32 v2, 2, v1
	v_cndmask_b32_e32 v3, v29, v3, vcc_lo
	ds_bpermute_b32 v1, v2, v30
	v_lshlrev_b32_e32 v4, 2, v3
	s_waitcnt lgkmcnt(0)
	v_max_f32_e32 v1, v1, v1
	v_max_f32_e32 v1, v5, v1
	v_xor_b32_e32 v5, 4, v29
	ds_bpermute_b32 v3, v4, v1
	v_cmp_gt_i32_e32 vcc_lo, 32, v5
	v_cndmask_b32_e32 v5, v29, v5, vcc_lo
	v_cmp_eq_u32_e32 vcc_lo, 0, v22
	v_lshlrev_b32_e32 v7, 2, v5
	v_lshlrev_b32_e32 v5, 2, v27
	s_waitcnt lgkmcnt(0)
	v_max_f32_e32 v3, v3, v3
	v_max_f32_e32 v1, v1, v3
	ds_bpermute_b32 v3, v7, v1
	s_and_saveexec_b32 s2, vcc_lo
	s_cbranch_execz .LBB337_279
; %bb.278:
	s_waitcnt lgkmcnt(0)
	v_max_f32_e32 v3, v3, v3
	v_max_f32_e32 v1, v1, v1
	;; [unrolled: 1-line block ×3, first 2 shown]
	ds_write_b32 v5, v1 offset:256
.LBB337_279:
	s_or_b32 exec_lo, exec_lo, s2
	v_cmp_gt_u32_e64 s2, 4, v22
	v_mov_b32_e32 v1, 0xff7fffff
	v_lshlrev_b32_e32 v6, 2, v22
	s_waitcnt lgkmcnt(0)
	s_barrier
	buffer_gl0_inv
	s_and_saveexec_b32 s3, s2
; %bb.280:
	ds_read_b32 v1, v6 offset:256
; %bb.281:
	s_or_b32 exec_lo, exec_lo, s3
	v_xor_b32_e32 v3, 2, v29
	v_xor_b32_e32 v9, 1, v29
	v_mov_b32_e32 v10, 0
	v_cmp_gt_i32_e64 s3, 32, v3
	v_cndmask_b32_e64 v3, v29, v3, s3
	v_cmp_gt_i32_e64 s3, 32, v9
	v_lshlrev_b32_e32 v8, 2, v3
	v_cndmask_b32_e64 v9, v29, v9, s3
	s_sub_i32 s3, s20, s44
	s_lshl_b32 s3, s3, 3
	s_waitcnt lgkmcnt(0)
	ds_bpermute_b32 v3, v8, v1
	v_max_f32_e32 v1, v1, v1
	v_lshlrev_b32_e32 v9, 2, v9
	s_add_i32 s3, s3, s33
	s_min_i32 s3, s3, s31
	s_sub_i32 s5, s3, s33
	v_cmp_gt_i32_e64 s3, s5, v0
	s_waitcnt lgkmcnt(0)
	v_max_f32_e32 v3, v3, v3
	v_max_f32_e32 v1, v1, v3
	ds_bpermute_b32 v3, v9, v1
	s_waitcnt lgkmcnt(0)
	v_max_f32_e32 v3, v3, v3
	v_max_f32_e32 v1, v1, v3
	v_lshl_add_u32 v3, v0, 2, 0x120
	ds_bpermute_b32 v1, v10, v1
	s_and_saveexec_b32 s12, s3
	s_cbranch_execz .LBB337_285
; %bb.282:
	v_lshl_add_u32 v11, v0, 2, 0x120
	v_mov_b32_e32 v10, 0
	v_mov_b32_e32 v12, v0
	s_mov_b32 s13, 0
	.p2align	6
.LBB337_283:                            ; =>This Inner Loop Header: Depth=1
	ds_read_b32 v13, v11
	v_add_nc_u32_e32 v12, 0x80, v12
	v_cmp_le_i32_e64 s4, s5, v12
	s_or_b32 s13, s4, s13
	s_waitcnt lgkmcnt(0)
	v_sub_f32_e32 v13, v13, v1
	v_mul_f32_e32 v13, 0x3fb8aa3b, v13
	v_exp_f32_e32 v13, v13
	ds_write_b32 v11, v13
	v_add_f32_e32 v10, v10, v13
	v_add_nc_u32_e32 v11, 0x200, v11
	s_andn2_b32 exec_lo, exec_lo, s13
	s_cbranch_execnz .LBB337_283
; %bb.284:
	s_or_b32 exec_lo, exec_lo, s13
.LBB337_285:
	s_or_b32 exec_lo, exec_lo, s12
	ds_bpermute_b32 v2, v2, v10
	s_waitcnt lgkmcnt(0)
	v_add_f32_e32 v2, v10, v2
	ds_bpermute_b32 v4, v4, v2
	s_waitcnt lgkmcnt(0)
	v_add_f32_e32 v2, v2, v4
	;; [unrolled: 3-line block ×5, first 2 shown]
	s_and_saveexec_b32 s4, vcc_lo
; %bb.286:
	ds_write_b32 v5, v2 offset:272
; %bb.287:
	s_or_b32 exec_lo, exec_lo, s4
	s_waitcnt lgkmcnt(0)
	s_barrier
	buffer_gl0_inv
	s_and_saveexec_b32 s4, s2
; %bb.288:
	ds_read_b32 v2, v6 offset:272
; %bb.289:
	s_or_b32 exec_lo, exec_lo, s4
	s_waitcnt lgkmcnt(0)
	ds_bpermute_b32 v4, v8, v2
	s_waitcnt lgkmcnt(0)
	v_add_f32_e32 v2, v2, v4
	ds_bpermute_b32 v4, v9, v2
	s_waitcnt lgkmcnt(0)
	v_add_f32_e32 v2, v2, v4
	v_mov_b32_e32 v4, 0
	ds_bpermute_b32 v2, v4, v2
	s_and_saveexec_b32 s2, s3
	s_cbranch_execz .LBB337_292
; %bb.290:
	s_waitcnt lgkmcnt(0)
	v_add_f32_e32 v4, 0x358637bd, v2
	s_mov_b32 s3, 0
	v_div_scale_f32 v5, null, v4, v4, 1.0
	v_div_scale_f32 v8, vcc_lo, 1.0, v4, 1.0
	v_rcp_f32_e32 v6, v5
	v_fma_f32 v7, -v5, v6, 1.0
	v_fmac_f32_e32 v6, v7, v6
	v_mul_f32_e32 v7, v8, v6
	v_fma_f32 v9, -v5, v7, v8
	v_fmac_f32_e32 v7, v9, v6
	v_fma_f32 v5, -v5, v7, v8
	v_div_fmas_f32 v5, v5, v6, v7
	v_div_fixup_f32 v4, v5, v4, 1.0
	v_mov_b32_e32 v5, v0
.LBB337_291:                            ; =>This Inner Loop Header: Depth=1
	ds_read_b32 v6, v3
	v_add_nc_u32_e32 v5, 0x80, v5
	v_cmp_le_i32_e32 vcc_lo, s5, v5
	s_or_b32 s3, vcc_lo, s3
	s_waitcnt lgkmcnt(0)
	v_mul_f32_e32 v6, v4, v6
	ds_write_b32 v3, v6
	v_add_nc_u32_e32 v3, 0x200, v3
	s_andn2_b32 exec_lo, exec_lo, s3
	s_cbranch_execnz .LBB337_291
.LBB337_292:
	s_or_b32 exec_lo, exec_lo, s2
	s_mul_i32 s2, s7, s30
	s_mov_b32 s4, exec_lo
	s_mul_i32 s2, s2, s9
	s_waitcnt lgkmcnt(0)
	s_barrier
	buffer_gl0_inv
	v_cmpx_eq_u32_e32 0, v0
	s_cbranch_execz .LBB337_294
; %bb.293:
	s_ashr_i32 s3, s2, 31
	s_mul_i32 s44, s7, s6
	s_lshl_b64 s[12:13], s[2:3], 2
	v_mov_b32_e32 v3, 0
	s_add_u32 s3, s26, s12
	s_addc_u32 s5, s27, s13
	s_ashr_i32 s45, s44, 31
	s_lshl_b64 s[26:27], s[44:45], 2
	s_add_u32 s3, s3, s26
	s_addc_u32 s5, s5, s27
	s_ashr_i32 s9, s8, 31
	s_lshl_b64 s[44:45], s[8:9], 2
	s_add_u32 s46, s3, s44
	s_addc_u32 s47, s5, s45
	s_add_u32 s3, s24, s12
	s_addc_u32 s5, s25, s13
	;; [unrolled: 2-line block ×4, first 2 shown]
	global_store_dword v3, v1, s[46:47]
	global_store_dword v3, v2, s[12:13]
.LBB337_294:
	s_or_b32 exec_lo, exec_lo, s4
	v_mov_b32_e32 v26, 0
	v_mov_b32_e32 v25, 0
	;; [unrolled: 1-line block ×4, first 2 shown]
	s_and_saveexec_b32 s3, s1
	s_cbranch_execz .LBB337_548
; %bb.295:
	s_sub_i32 s6, s42, s21
	s_ashr_i32 s1, s18, 31
	s_add_u32 s13, s38, s18
	s_addc_u32 s1, s39, s1
	s_abs_i32 s9, s22
	v_lshlrev_b32_e32 v4, 3, v22
	v_cvt_f32_u32_e32 v1, s9
	s_sub_i32 s4, 0, s9
	s_add_i32 s40, s40, -1
	v_mov_b32_e32 v10, 0
	v_add_co_u32 v11, s13, s13, v4
	v_rcp_iflag_f32_e32 v1, v1
	v_add_co_ci_u32_e64 v12, null, s1, 0, s13
	v_lshl_add_u32 v29, v27, 5, 0x120
	v_mov_b32_e32 v30, 0x80
	v_mov_b32_e32 v31, 0xffff
	;; [unrolled: 1-line block ×6, first 2 shown]
	v_mul_f32_e32 v3, 0x4f7ffffe, v1
	v_lshlrev_b64 v[1:2], 2, v[17:18]
	v_mov_b32_e32 v24, 0
	v_mov_b32_e32 v25, 0
	;; [unrolled: 1-line block ×3, first 2 shown]
	v_cvt_u32_f32_e32 v3, v3
	s_mov_b32 s12, s17
	s_mov_b32 s13, 0
	v_mul_lo_u32 v5, s4, v3
	s_lshl_b64 s[4:5], s[36:37], 2
	s_add_u32 s1, s34, s4
	s_addc_u32 s4, s35, s5
	v_add_co_u32 v13, vcc_lo, s1, v1
	v_add_co_ci_u32_e64 v14, null, s4, v2, vcc_lo
	v_mul_hi_u32 v5, v3, v5
	s_mov_b32 s4, -1
	s_mov_b32 s5, 0xffffff
	v_add_nc_u32_e32 v35, v3, v5
	s_branch .LBB337_298
.LBB337_296:                            ;   in Loop: Header=BB337_298 Depth=1
	s_or_b32 exec_lo, exec_lo, s1
	v_bfe_u32 v44, v5, 16, 1
	v_bfe_u32 v45, v6, 16, 1
	v_or_b32_e32 v46, 0x400000, v5
	v_cmp_u_f32_e32 vcc_lo, v5, v5
	v_or_b32_e32 v47, 0x400000, v6
	v_add3_u32 v44, v44, v5, 0x7fff
	v_bfe_u32 v48, v7, 16, 1
	v_add3_u32 v45, v45, v6, 0x7fff
	v_bfe_u32 v49, v8, 16, 1
	v_lshlrev_b32_e32 v56, 16, v56
	v_cndmask_b32_e32 v44, v44, v46, vcc_lo
	v_cmp_u_f32_e32 vcc_lo, v6, v6
	v_add3_u32 v6, v48, v7, 0x7fff
	v_add3_u32 v46, v49, v8, 0x7fff
	v_bfe_u32 v48, v1, 16, 1
	v_or_b32_e32 v49, 0x400000, v4
	v_cndmask_b32_e32 v5, v45, v47, vcc_lo
	v_or_b32_e32 v45, 0x400000, v7
	v_cmp_u_f32_e32 vcc_lo, v7, v7
	v_or_b32_e32 v47, 0x400000, v8
	v_bfe_u32 v7, v2, 16, 1
	v_and_b32_e32 v5, 0xffff0000, v5
	v_lshlrev_b32_e32 v43, 16, v43
	v_cndmask_b32_e32 v6, v6, v45, vcc_lo
	v_cmp_u_f32_e32 vcc_lo, v8, v8
	v_add3_u32 v45, v48, v1, 0x7fff
	v_add3_u32 v7, v7, v2, 0x7fff
	v_bfe_u32 v48, v3, 16, 1
	v_and_b32_e32 v6, 0xffff0000, v6
	v_cndmask_b32_e32 v8, v46, v47, vcc_lo
	v_or_b32_e32 v46, 0x400000, v1
	v_cmp_u_f32_e32 vcc_lo, v1, v1
	v_or_b32_e32 v47, 0x400000, v2
	v_and_b32_e32 v1, 0xffff0000, v44
	v_lshlrev_b32_e32 v44, 16, v63
	v_mul_f32_e32 v43, v5, v43
	v_cndmask_b32_e32 v45, v45, v46, vcc_lo
	v_cmp_u_f32_e32 vcc_lo, v2, v2
	v_bfe_u32 v46, v4, 16, 1
	v_mul_f32_e32 v44, v1, v44
	v_lshlrev_b32_e32 v42, 16, v42
	v_lshlrev_b32_e32 v39, 16, v39
	v_cndmask_b32_e32 v2, v7, v47, vcc_lo
	v_lshlrev_b32_e32 v47, 16, v64
	v_add3_u32 v7, v48, v3, 0x7fff
	v_or_b32_e32 v48, 0x400000, v3
	v_cmp_u_f32_e32 vcc_lo, v3, v3
	v_add3_u32 v46, v46, v4, 0x7fff
	v_mul_f32_e32 v47, v5, v47
	v_or_b32_e32 v50, 0x400000, v44
	v_mul_f32_e32 v42, v1, v42
	v_cndmask_b32_e32 v48, v7, v48, vcc_lo
	v_cmp_u_f32_e32 vcc_lo, v4, v4
	v_bfe_u32 v3, v47, 16, 1
	v_bfe_u32 v7, v44, 16, 1
	v_and_b32_e32 v4, 0xffff0000, v8
	v_lshlrev_b32_e32 v8, 16, v61
	v_cndmask_b32_e32 v46, v46, v49, vcc_lo
	v_add3_u32 v3, v3, v47, 0x7fff
	v_or_b32_e32 v49, 0x400000, v47
	v_cmp_u_f32_e32 vcc_lo, v47, v47
	v_add3_u32 v7, v7, v44, 0x7fff
	v_mul_f32_e32 v8, v4, v8
	v_lshlrev_b32_e32 v61, 16, v62
	v_mul_f32_e32 v39, v4, v39
	v_cndmask_b32_e32 v47, v3, v49, vcc_lo
	v_cmp_u_f32_e32 vcc_lo, v44, v44
	v_bfe_u32 v49, v8, 16, 1
	v_and_b32_e32 v3, 0xffff0000, v45
	v_or_b32_e32 v45, 0x400000, v8
	v_and_b32_e32 v47, 0xffff0000, v47
	v_cndmask_b32_e32 v44, v7, v50, vcc_lo
	v_mul_f32_e32 v50, v6, v61
	v_and_b32_e32 v7, 0xffff0000, v2
	v_lshlrev_b32_e32 v2, 16, v20
	v_lshlrev_b32_e32 v20, 16, v21
	v_add3_u32 v21, v49, v8, 0x7fff
	v_bfe_u32 v49, v50, 16, 1
	v_cmp_u_f32_e32 vcc_lo, v8, v8
	v_mul_f32_e32 v61, v7, v2
	v_mul_f32_e32 v20, v3, v20
	v_and_b32_e32 v2, 0xffff0000, v46
	v_add3_u32 v8, v49, v50, 0x7fff
	v_cndmask_b32_e32 v21, v21, v45, vcc_lo
	v_or_b32_e32 v45, 0x400000, v50
	v_bfe_u32 v49, v61, 16, 1
	v_lshlrev_b32_e32 v46, 16, v60
	v_cmp_u_f32_e32 vcc_lo, v50, v50
	v_bfe_u32 v62, v20, 16, 1
	v_or_b32_e32 v50, 0x400000, v61
	v_add3_u32 v49, v49, v61, 0x7fff
	v_mul_f32_e32 v46, v2, v46
	v_cndmask_b32_e32 v45, v8, v45, vcc_lo
	v_and_b32_e32 v8, 0xffff0000, v48
	v_lshlrev_b32_e32 v48, 16, v59
	v_cmp_u_f32_e32 vcc_lo, v61, v61
	v_add3_u32 v60, v62, v20, 0x7fff
	v_or_b32_e32 v59, 0x400000, v20
	v_bfe_u32 v62, v46, 16, 1
	v_mul_f32_e32 v48, v8, v48
	v_cndmask_b32_e32 v49, v49, v50, vcc_lo
	v_cmp_u_f32_e32 vcc_lo, v20, v20
	v_and_b32_e32 v44, 0xffff0000, v44
	v_add3_u32 v50, v62, v46, 0x7fff
	v_and_b32_e32 v45, 0xffff0000, v45
	v_and_b32_e32 v21, 0xffff0000, v21
	v_cndmask_b32_e32 v20, v60, v59, vcc_lo
	v_or_b32_e32 v59, 0x400000, v46
	v_bfe_u32 v60, v48, 16, 1
	v_cmp_u_f32_e32 vcc_lo, v46, v46
	v_add_f32_e32 v44, v44, v47
	v_add_f32_e32 v21, v45, v21
	v_lshlrev_b32_e32 v47, 16, v58
	v_and_b32_e32 v20, 0xffff0000, v20
	v_cndmask_b32_e32 v46, v50, v59, vcc_lo
	v_add3_u32 v50, v60, v48, 0x7fff
	v_or_b32_e32 v59, 0x400000, v48
	v_cmp_u_f32_e32 vcc_lo, v48, v48
	v_and_b32_e32 v45, 0xffff0000, v49
	v_lshlrev_b32_e32 v49, 16, v57
	v_add_f32_e32 v21, v21, v44
	v_mul_f32_e32 v44, v5, v47
	v_cndmask_b32_e32 v48, v50, v59, vcc_lo
	v_add_f32_e32 v20, v20, v45
	v_mul_f32_e32 v47, v1, v49
	v_and_b32_e32 v46, 0xffff0000, v46
	v_bfe_u32 v49, v44, 16, 1
	v_and_b32_e32 v45, 0xffff0000, v48
	v_lshlrev_b32_e32 v48, 16, v54
	v_add_f32_e32 v20, v20, v21
	v_bfe_u32 v50, v47, 16, 1
	v_cmp_u_f32_e32 vcc_lo, v44, v44
	v_add_f32_e32 v21, v45, v46
	v_mul_f32_e32 v45, v4, v48
	v_add3_u32 v46, v49, v44, 0x7fff
	v_or_b32_e32 v48, 0x400000, v44
	v_add3_u32 v49, v50, v47, 0x7fff
	v_or_b32_e32 v50, 0x400000, v47
	v_bfe_u32 v54, v45, 16, 1
	v_lshlrev_b32_e32 v41, 16, v41
	v_cndmask_b32_e32 v44, v46, v48, vcc_lo
	v_cmp_u_f32_e32 vcc_lo, v47, v47
	v_mul_f32_e32 v47, v6, v56
	v_add3_u32 v48, v54, v45, 0x7fff
	v_lshlrev_b32_e32 v37, 16, v37
	v_and_b32_e32 v44, 0xffff0000, v44
	v_cndmask_b32_e32 v46, v49, v50, vcc_lo
	v_or_b32_e32 v49, 0x400000, v45
	v_lshlrev_b32_e32 v50, 16, v51
	v_cmp_u_f32_e32 vcc_lo, v45, v45
	v_lshlrev_b32_e32 v51, 16, v52
	v_bfe_u32 v52, v47, 16, 1
	v_and_b32_e32 v46, 0xffff0000, v46
	v_mul_f32_e32 v41, v6, v41
	v_cndmask_b32_e32 v45, v48, v49, vcc_lo
	v_mul_f32_e32 v48, v7, v50
	v_mul_f32_e32 v49, v3, v51
	v_add3_u32 v50, v52, v47, 0x7fff
	v_or_b32_e32 v51, 0x400000, v47
	v_lshlrev_b32_e32 v52, 16, v55
	v_bfe_u32 v54, v48, 16, 1
	v_cmp_u_f32_e32 vcc_lo, v47, v47
	v_bfe_u32 v55, v49, 16, 1
	v_and_b32_e32 v45, 0xffff0000, v45
	v_add_f32_e32 v44, v46, v44
	v_mul_f32_e32 v37, v7, v37
	v_cndmask_b32_e32 v47, v50, v51, vcc_lo
	v_mul_f32_e32 v50, v2, v52
	v_add3_u32 v51, v54, v48, 0x7fff
	v_or_b32_e32 v52, 0x400000, v48
	v_cmp_u_f32_e32 vcc_lo, v48, v48
	v_add3_u32 v54, v55, v49, 0x7fff
	v_or_b32_e32 v55, 0x400000, v49
	v_bfe_u32 v56, v50, 16, 1
	v_and_b32_e32 v47, 0xffff0000, v47
	v_cndmask_b32_e32 v48, v51, v52, vcc_lo
	v_lshlrev_b32_e32 v51, 16, v53
	v_cmp_u_f32_e32 vcc_lo, v49, v49
	v_add3_u32 v52, v56, v50, 0x7fff
	v_or_b32_e32 v53, 0x400000, v50
	v_add_f32_e32 v45, v47, v45
	v_mul_f32_e32 v51, v8, v51
	v_cndmask_b32_e32 v49, v54, v55, vcc_lo
	v_cmp_u_f32_e32 vcc_lo, v50, v50
	v_and_b32_e32 v47, 0xffff0000, v48
	v_add_f32_e32 v44, v45, v44
	v_lshlrev_b32_e32 v36, 16, v36
	v_and_b32_e32 v46, 0xffff0000, v49
	v_cndmask_b32_e32 v50, v52, v53, vcc_lo
	v_bfe_u32 v52, v51, 16, 1
	v_or_b32_e32 v49, 0x400000, v51
	v_cmp_u_f32_e32 vcc_lo, v51, v51
	v_add_f32_e32 v45, v46, v47
	v_bfe_u32 v47, v43, 16, 1
	v_add3_u32 v48, v52, v51, 0x7fff
	v_lshlrev_b32_e32 v40, 16, v40
	v_mul_f32_e32 v36, v3, v36
	v_add_f32_e32 v44, v45, v44
	v_lshlrev_b32_e32 v38, 16, v38
	v_cndmask_b32_e32 v46, v48, v49, vcc_lo
	v_bfe_u32 v49, v42, 16, 1
	v_cmp_u_f32_e32 vcc_lo, v43, v43
	v_and_b32_e32 v48, 0xffff0000, v50
	v_or_b32_e32 v50, 0x400000, v39
	v_and_b32_e32 v45, 0xffff0000, v46
	v_add3_u32 v46, v47, v43, 0x7fff
	v_or_b32_e32 v47, 0x400000, v43
	v_mul_f32_e32 v40, v2, v40
	v_mul_f32_e32 v38, v8, v38
	v_lshlrev_b32_e32 v18, 16, v18
	v_lshlrev_b32_e32 v15, 16, v15
	v_cndmask_b32_e32 v43, v46, v47, vcc_lo
	v_bfe_u32 v46, v39, 16, 1
	v_add3_u32 v47, v49, v42, 0x7fff
	v_or_b32_e32 v49, 0x400000, v42
	v_cmp_u_f32_e32 vcc_lo, v42, v42
	v_and_b32_e32 v43, 0xffff0000, v43
	v_add3_u32 v46, v46, v39, 0x7fff
	v_mul_f32_e32 v4, v4, v18
	v_lshlrev_b32_e32 v18, 16, v65
	v_cndmask_b32_e32 v42, v47, v49, vcc_lo
	v_bfe_u32 v47, v41, 16, 1
	v_cmp_u_f32_e32 vcc_lo, v39, v39
	v_or_b32_e32 v49, 0x400000, v41
	v_mul_f32_e32 v6, v6, v18
	v_and_b32_e32 v42, 0xffff0000, v42
	v_add3_u32 v47, v47, v41, 0x7fff
	v_cndmask_b32_e32 v39, v46, v50, vcc_lo
	v_bfe_u32 v46, v37, 16, 1
	v_cmp_u_f32_e32 vcc_lo, v41, v41
	v_or_b32_e32 v50, 0x400000, v37
	v_add_f32_e32 v42, v42, v43
	v_and_b32_e32 v39, 0xffff0000, v39
	v_add3_u32 v46, v46, v37, 0x7fff
	v_cndmask_b32_e32 v41, v47, v49, vcc_lo
	v_bfe_u32 v47, v36, 16, 1
	v_cmp_u_f32_e32 vcc_lo, v37, v37
	v_bfe_u32 v49, v40, 16, 1
	v_mul_f32_e32 v7, v7, v15
	v_and_b32_e32 v41, 0xffff0000, v41
	v_lshlrev_b32_e32 v9, 16, v9
	v_cndmask_b32_e32 v37, v46, v50, vcc_lo
	v_add3_u32 v46, v47, v36, 0x7fff
	v_or_b32_e32 v47, 0x400000, v36
	v_cmp_u_f32_e32 vcc_lo, v36, v36
	v_add3_u32 v49, v49, v40, 0x7fff
	v_or_b32_e32 v50, 0x400000, v40
	v_add_f32_e32 v39, v41, v39
	v_lshlrev_b32_e32 v41, 16, v66
	v_cndmask_b32_e32 v36, v46, v47, vcc_lo
	v_cmp_u_f32_e32 vcc_lo, v40, v40
	v_bfe_u32 v46, v38, 16, 1
	v_or_b32_e32 v47, 0x400000, v38
	v_and_b32_e32 v37, 0xffff0000, v37
	v_and_b32_e32 v36, 0xffff0000, v36
	v_cndmask_b32_e32 v40, v49, v50, vcc_lo
	v_lshlrev_b32_e32 v49, 16, v67
	v_add3_u32 v46, v46, v38, 0x7fff
	v_cmp_u_f32_e32 vcc_lo, v38, v38
	v_add_f32_e32 v39, v39, v42
	v_mul_f32_e32 v1, v1, v41
	v_mul_f32_e32 v5, v5, v49
	v_add_f32_e32 v36, v36, v37
	v_cndmask_b32_e32 v38, v46, v47, vcc_lo
	v_mul_f32_e32 v3, v3, v9
	v_lshlrev_b32_e32 v9, 16, v19
	v_bfe_u32 v42, v5, 16, 1
	v_or_b32_e32 v41, 0x400000, v5
	v_and_b32_e32 v37, 0xffff0000, v38
	v_cmp_u_f32_e32 vcc_lo, v5, v5
	v_lshlrev_b32_e32 v16, 16, v16
	v_add3_u32 v38, v42, v5, 0x7fff
	v_bfe_u32 v42, v1, 16, 1
	v_mul_f32_e32 v2, v2, v9
	v_or_b32_e32 v9, 0x400000, v7
	v_mul_f32_e32 v8, v8, v16
	v_cndmask_b32_e32 v5, v38, v41, vcc_lo
	v_add3_u32 v38, v42, v1, 0x7fff
	v_or_b32_e32 v41, 0x400000, v1
	v_bfe_u32 v42, v4, 16, 1
	v_cmp_u_f32_e32 vcc_lo, v1, v1
	v_or_b32_e32 v16, 0x400000, v3
	v_bfe_u32 v19, v2, 16, 1
	v_and_b32_e32 v5, 0xffff0000, v5
	v_add3_u32 v18, v42, v4, 0x7fff
	v_cndmask_b32_e32 v1, v38, v41, vcc_lo
	v_or_b32_e32 v38, 0x400000, v4
	v_bfe_u32 v41, v6, 16, 1
	v_cmp_u_f32_e32 vcc_lo, v4, v4
	v_and_b32_e32 v1, 0xffff0000, v1
	v_add3_u32 v15, v41, v6, 0x7fff
	v_cndmask_b32_e32 v4, v18, v38, vcc_lo
	v_or_b32_e32 v18, 0x400000, v6
	v_bfe_u32 v38, v7, 16, 1
	v_cmp_u_f32_e32 vcc_lo, v6, v6
	v_add_f32_e32 v1, v1, v5
	v_and_b32_e32 v4, 0xffff0000, v4
	v_cndmask_b32_e32 v6, v15, v18, vcc_lo
	v_bfe_u32 v15, v3, 16, 1
	v_add3_u32 v18, v38, v7, 0x7fff
	v_cmp_u_f32_e32 vcc_lo, v7, v7
	v_bfe_u32 v38, v8, 16, 1
	v_and_b32_e32 v6, 0xffff0000, v6
	v_add3_u32 v15, v15, v3, 0x7fff
	v_cndmask_b32_e32 v7, v18, v9, vcc_lo
	v_cmp_u_f32_e32 vcc_lo, v3, v3
	v_add3_u32 v9, v19, v2, 0x7fff
	v_or_b32_e32 v18, 0x400000, v2
	v_add_f32_e32 v4, v6, v4
	v_and_b32_e32 v5, 0xffff0000, v7
	v_cndmask_b32_e32 v3, v15, v16, vcc_lo
	v_add3_u32 v15, v38, v8, 0x7fff
	v_or_b32_e32 v16, 0x400000, v8
	v_cmp_u_f32_e32 vcc_lo, v8, v8
	v_and_b32_e32 v6, 0xffff0000, v40
	v_and_b32_e32 v3, 0xffff0000, v3
	v_add_f32_e32 v1, v4, v1
	v_add_f32_e32 v7, v36, v39
	v_cndmask_b32_e32 v8, v15, v16, vcc_lo
	v_cmp_u_f32_e32 vcc_lo, v2, v2
	v_add_f32_e32 v3, v3, v5
	v_add_f32_e32 v5, v45, v48
	;; [unrolled: 1-line block ×3, first 2 shown]
	v_and_b32_e32 v4, 0xffff0000, v8
	v_cndmask_b32_e32 v2, v9, v18, vcc_lo
	v_add_f32_e32 v1, v3, v1
	v_add_f32_e32 v3, v21, v20
	v_and_b32_e32 v2, 0xffff0000, v2
	v_add_f32_e32 v24, v24, v3
	v_add_f32_e32 v2, v4, v2
	;; [unrolled: 1-line block ×8, first 2 shown]
.LBB337_297:                            ;   in Loop: Header=BB337_298 Depth=1
	s_or_b32 exec_lo, exec_lo, s17
	v_add_nc_u32_e32 v17, 4, v17
	v_add_co_u32 v13, s1, v13, 16
	v_add_co_ci_u32_e64 v14, null, 0, v14, s1
	v_cmp_le_i32_e32 vcc_lo, s20, v17
	v_add_nc_u32_e32 v28, 32, v28
	v_add_nc_u32_e32 v29, 0x80, v29
	s_or_b32 s13, vcc_lo, s13
	s_andn2_b32 exec_lo, exec_lo, s13
	s_cbranch_execz .LBB337_547
.LBB337_298:                            ; =>This Inner Loop Header: Depth=1
	v_sub_nc_u32_e32 v1, 0, v28
	v_max_i32_e32 v1, v28, v1
	v_mul_hi_u32 v2, v1, s16
	v_mul_lo_u32 v3, v2, s11
	v_sub_nc_u32_e32 v1, v1, v3
	v_add_nc_u32_e32 v3, 1, v2
	v_subrev_nc_u32_e32 v4, s11, v1
	v_cmp_le_u32_e32 vcc_lo, s11, v1
	v_cndmask_b32_e32 v2, v2, v3, vcc_lo
	v_cndmask_b32_e32 v1, v1, v4, vcc_lo
	v_ashrrev_i32_e32 v3, 31, v28
	v_add_nc_u32_e32 v4, 1, v2
	v_cmp_le_u32_e32 vcc_lo, s11, v1
	v_xor_b32_e32 v3, s23, v3
	v_cndmask_b32_e32 v1, v2, v4, vcc_lo
	v_xor_b32_e32 v1, v1, v3
	v_sub_nc_u32_e32 v1, v1, v3
	v_add_nc_u32_e32 v2, s19, v1
	v_cmp_lt_i32_e64 s1, s6, v1
	v_sub_nc_u32_e32 v3, 0, v2
	v_max_i32_e32 v3, v2, v3
	v_ashrrev_i32_e32 v2, 31, v2
	v_mul_hi_u32 v4, v3, v35
	v_mul_lo_u32 v4, v4, s9
	v_sub_nc_u32_e32 v3, v3, v4
	v_subrev_nc_u32_e32 v4, s9, v3
	v_cmp_le_u32_e32 vcc_lo, s9, v3
	v_cndmask_b32_e32 v3, v3, v4, vcc_lo
	v_subrev_nc_u32_e32 v4, s9, v3
	v_cmp_le_u32_e32 vcc_lo, s9, v3
	v_cndmask_b32_e32 v3, v3, v4, vcc_lo
	v_xor_b32_e32 v3, v3, v2
	v_sub_nc_u32_e32 v2, v3, v2
	v_cmp_eq_u32_e32 vcc_lo, 0, v2
	s_or_b32 s1, vcc_lo, s1
	s_and_saveexec_b32 s17, s1
	s_cbranch_execz .LBB337_297
; %bb.299:                              ;   in Loop: Header=BB337_298 Depth=1
	global_load_dword v1, v[13:14], off
	v_mov_b32_e32 v36, 0
	v_mov_b32_e32 v38, 0
	s_waitcnt vmcnt(0)
	v_mad_i64_i32 v[15:16], null, v1, s12, v[11:12]
	global_load_dwordx2 v[18:19], v[15:16], off
	ds_read2_b64 v[5:8], v29 offset1:1
	ds_read2_b64 v[1:4], v29 offset0:2 offset1:3
	s_load_dword s18, s[14:15], 0x0
	s_waitcnt vmcnt(0)
	v_cmp_ne_u16_sdwa s21, v18, v10 src0_sel:BYTE_0 src1_sel:DWORD
	s_and_saveexec_b32 s1, s21
	s_cbranch_execz .LBB337_305
; %bb.300:                              ;   in Loop: Header=BB337_298 Depth=1
	v_cmp_ne_u16_sdwa s22, v18, v30 src0_sel:BYTE_0 src1_sel:DWORD
	v_bfrev_b32_e32 v38, 1
	s_and_saveexec_b32 s21, s22
	s_cbranch_execz .LBB337_304
; %bb.301:                              ;   in Loop: Header=BB337_298 Depth=1
	v_and_b32_e32 v9, 0x7f, v18
	v_mov_b32_e32 v38, 0x7f800001
	s_mov_b32 s22, exec_lo
	v_cmpx_ne_u32_e32 0x7f, v9
	s_cbranch_execz .LBB337_303
; %bb.302:                              ;   in Loop: Header=BB337_298 Depth=1
	v_and_b32_e32 v20, 7, v18
	v_lshrrev_b32_e32 v21, 3, v9
	v_cmp_gt_u32_e32 vcc_lo, 8, v9
	v_ffbh_u32_e32 v20, v20
	v_min_u32_e32 v20, 32, v20
	v_subrev_nc_u32_e32 v37, 28, v20
	v_sub_nc_u32_e32 v20, 29, v20
	v_cndmask_b32_e32 v9, v21, v20, vcc_lo
	v_cndmask_b32_e32 v20, 0, v37, vcc_lo
	v_lshl_add_u32 v9, v9, 23, 0x3c000000
	v_lshlrev_b64 v[20:21], v20, v[18:19]
	v_lshlrev_b32_e32 v21, 24, v18
	v_lshlrev_b32_e32 v20, 20, v20
	v_and_b32_e32 v21, 0x80000000, v21
	v_and_b32_e32 v20, 0x700000, v20
	v_or3_b32 v38, v20, v21, v9
.LBB337_303:                            ;   in Loop: Header=BB337_298 Depth=1
	s_or_b32 exec_lo, exec_lo, s22
.LBB337_304:                            ;   in Loop: Header=BB337_298 Depth=1
	s_or_b32 exec_lo, exec_lo, s21
.LBB337_305:                            ;   in Loop: Header=BB337_298 Depth=1
	s_or_b32 exec_lo, exec_lo, s1
	v_cmp_ne_u16_sdwa s21, v18, v10 src0_sel:BYTE_1 src1_sel:DWORD
	s_and_saveexec_b32 s1, s21
	s_cbranch_execz .LBB337_313
; %bb.306:                              ;   in Loop: Header=BB337_298 Depth=1
	v_cmp_ne_u16_sdwa s22, v18, v30 src0_sel:BYTE_1 src1_sel:DWORD
	v_bfrev_b32_e32 v36, 1
	s_and_saveexec_b32 s21, s22
	s_cbranch_execz .LBB337_312
; %bb.307:                              ;   in Loop: Header=BB337_298 Depth=1
	v_and_b32_sdwa v9, v31, v18 dst_sel:DWORD dst_unused:UNUSED_PAD src0_sel:DWORD src1_sel:BYTE_1
	v_mov_b32_e32 v36, 0x7f800001
	s_mov_b32 s22, exec_lo
	v_and_b32_e32 v21, 0x7f, v9
	v_cmpx_ne_u32_e32 0x7f, v21
	s_cbranch_execz .LBB337_311
; %bb.308:                              ;   in Loop: Header=BB337_298 Depth=1
	v_and_b32_e32 v9, 7, v9
	v_lshrrev_b32_e32 v20, 3, v21
	s_mov_b32 s24, exec_lo
	v_cmpx_gt_u32_e32 8, v21
; %bb.309:                              ;   in Loop: Header=BB337_298 Depth=1
	v_ffbh_u32_e32 v20, v9
	v_min_u32_e32 v20, 32, v20
	v_subrev_nc_u32_e32 v21, 28, v20
	v_sub_nc_u32_e32 v20, 29, v20
	v_lshlrev_b64 v[36:37], v21, v[9:10]
	v_and_b32_e32 v9, 7, v36
; %bb.310:                              ;   in Loop: Header=BB337_298 Depth=1
	s_or_b32 exec_lo, exec_lo, s24
	v_lshlrev_b32_e32 v21, 16, v18
	v_lshlrev_b32_e32 v9, 20, v9
	v_lshl_add_u32 v20, v20, 23, 0x3c000000
	v_and_b32_e32 v21, 0x80000000, v21
	v_or3_b32 v36, v9, v21, v20
.LBB337_311:                            ;   in Loop: Header=BB337_298 Depth=1
	s_or_b32 exec_lo, exec_lo, s22
.LBB337_312:                            ;   in Loop: Header=BB337_298 Depth=1
	s_or_b32 exec_lo, exec_lo, s21
.LBB337_313:                            ;   in Loop: Header=BB337_298 Depth=1
	s_or_b32 exec_lo, exec_lo, s1
	v_and_b32_sdwa v9, v18, v32 dst_sel:DWORD dst_unused:UNUSED_PAD src0_sel:WORD_1 src1_sel:DWORD
	v_mov_b32_e32 v39, 0
	v_mov_b32_e32 v37, 0
	s_mov_b32 s1, exec_lo
	v_cmpx_ne_u16_e32 0, v9
	s_cbranch_execz .LBB337_321
; %bb.314:                              ;   in Loop: Header=BB337_298 Depth=1
	v_bfrev_b32_e32 v37, 1
	s_mov_b32 s21, exec_lo
	v_cmpx_ne_u16_e32 0x80, v9
	s_cbranch_execz .LBB337_320
; %bb.315:                              ;   in Loop: Header=BB337_298 Depth=1
	v_bfe_u32 v21, v18, 16, 7
	v_mov_b32_e32 v37, 0x7f800001
	s_mov_b32 s22, exec_lo
	v_cmpx_ne_u32_e32 0x7f, v21
	s_cbranch_execz .LBB337_319
; %bb.316:                              ;   in Loop: Header=BB337_298 Depth=1
	v_and_b32_sdwa v9, v18, v33 dst_sel:DWORD dst_unused:UNUSED_PAD src0_sel:WORD_1 src1_sel:DWORD
	v_lshrrev_b32_e32 v20, 3, v21
	s_mov_b32 s24, exec_lo
	v_cmpx_gt_u32_e32 8, v21
; %bb.317:                              ;   in Loop: Header=BB337_298 Depth=1
	v_ffbh_u32_e32 v20, v9
	v_min_u32_e32 v20, 32, v20
	v_subrev_nc_u32_e32 v21, 28, v20
	v_sub_nc_u32_e32 v20, 29, v20
	v_lshlrev_b64 v[40:41], v21, v[9:10]
	v_and_b32_e32 v9, 7, v40
; %bb.318:                              ;   in Loop: Header=BB337_298 Depth=1
	s_or_b32 exec_lo, exec_lo, s24
	v_lshlrev_b32_sdwa v21, v34, v18 dst_sel:DWORD dst_unused:UNUSED_PAD src0_sel:DWORD src1_sel:WORD_1
	v_lshlrev_b32_e32 v9, 20, v9
	v_lshl_add_u32 v20, v20, 23, 0x3c000000
	v_and_b32_e32 v21, 0x80000000, v21
	v_or3_b32 v37, v9, v21, v20
.LBB337_319:                            ;   in Loop: Header=BB337_298 Depth=1
	s_or_b32 exec_lo, exec_lo, s22
.LBB337_320:                            ;   in Loop: Header=BB337_298 Depth=1
	s_or_b32 exec_lo, exec_lo, s21
.LBB337_321:                            ;   in Loop: Header=BB337_298 Depth=1
	s_or_b32 exec_lo, exec_lo, s1
	s_mov_b32 s1, exec_lo
	v_cmpx_lt_u32_e32 0xffffff, v18
	s_cbranch_execz .LBB337_329
; %bb.322:                              ;   in Loop: Header=BB337_298 Depth=1
	v_cmp_ne_u32_sdwa s22, v18, v30 src0_sel:BYTE_3 src1_sel:DWORD
	v_bfrev_b32_e32 v39, 1
	s_and_saveexec_b32 s21, s22
	s_cbranch_execz .LBB337_328
; %bb.323:                              ;   in Loop: Header=BB337_298 Depth=1
	v_bfe_u32 v21, v18, 24, 7
	v_mov_b32_e32 v39, 0x7f800001
	s_mov_b32 s22, exec_lo
	v_cmpx_ne_u32_e32 0x7f, v21
	s_cbranch_execz .LBB337_327
; %bb.324:                              ;   in Loop: Header=BB337_298 Depth=1
	v_and_b32_sdwa v9, v18, v33 dst_sel:DWORD dst_unused:UNUSED_PAD src0_sel:BYTE_3 src1_sel:DWORD
	v_lshrrev_b32_e32 v20, 3, v21
	s_mov_b32 s24, exec_lo
	v_cmpx_gt_u32_e32 8, v21
; %bb.325:                              ;   in Loop: Header=BB337_298 Depth=1
	v_ffbh_u32_e32 v20, v9
	v_min_u32_e32 v20, 32, v20
	v_subrev_nc_u32_e32 v21, 28, v20
	v_sub_nc_u32_e32 v20, 29, v20
	v_lshlrev_b64 v[39:40], v21, v[9:10]
	v_and_b32_e32 v9, 7, v39
; %bb.326:                              ;   in Loop: Header=BB337_298 Depth=1
	s_or_b32 exec_lo, exec_lo, s24
	v_lshlrev_b32_sdwa v21, v34, v18 dst_sel:DWORD dst_unused:UNUSED_PAD src0_sel:DWORD src1_sel:BYTE_3
	v_lshlrev_b32_e32 v9, 20, v9
	v_lshl_add_u32 v20, v20, 23, 0x3c000000
	v_and_b32_e32 v21, 0x80000000, v21
	v_or3_b32 v39, v9, v21, v20
.LBB337_327:                            ;   in Loop: Header=BB337_298 Depth=1
	s_or_b32 exec_lo, exec_lo, s22
.LBB337_328:                            ;   in Loop: Header=BB337_298 Depth=1
	s_or_b32 exec_lo, exec_lo, s21
.LBB337_329:                            ;   in Loop: Header=BB337_298 Depth=1
	s_or_b32 exec_lo, exec_lo, s1
	v_mov_b32_e32 v9, v19
	v_cmp_ne_u16_sdwa s21, v19, v10 src0_sel:BYTE_0 src1_sel:DWORD
	v_mov_b32_e32 v20, 0
	v_mov_b32_e32 v40, 0
	s_and_saveexec_b32 s1, s21
	s_cbranch_execz .LBB337_335
; %bb.330:                              ;   in Loop: Header=BB337_298 Depth=1
	v_cmp_ne_u16_sdwa s22, v19, v30 src0_sel:BYTE_0 src1_sel:DWORD
	v_bfrev_b32_e32 v40, 1
	s_and_saveexec_b32 s21, s22
	s_cbranch_execz .LBB337_334
; %bb.331:                              ;   in Loop: Header=BB337_298 Depth=1
	v_and_b32_e32 v21, 0x7f, v19
	v_mov_b32_e32 v40, 0x7f800001
	s_mov_b32 s22, exec_lo
	v_cmpx_ne_u32_e32 0x7f, v21
	s_cbranch_execz .LBB337_333
; %bb.332:                              ;   in Loop: Header=BB337_298 Depth=1
	v_and_b32_e32 v40, 7, v19
	v_lshrrev_b32_e32 v41, 3, v21
	v_cmp_gt_u32_e32 vcc_lo, 8, v21
	v_ffbh_u32_e32 v40, v40
	v_min_u32_e32 v40, 32, v40
	v_subrev_nc_u32_e32 v42, 28, v40
	v_sub_nc_u32_e32 v40, 29, v40
	v_cndmask_b32_e32 v21, v41, v40, vcc_lo
	v_cndmask_b32_e32 v40, 0, v42, vcc_lo
	v_lshl_add_u32 v21, v21, 23, 0x3c000000
	v_lshlrev_b64 v[40:41], v40, v[9:10]
	v_lshlrev_b32_e32 v41, 24, v9
	v_lshlrev_b32_e32 v40, 20, v40
	v_and_b32_e32 v41, 0x80000000, v41
	v_and_b32_e32 v40, 0x700000, v40
	v_or3_b32 v40, v40, v41, v21
.LBB337_333:                            ;   in Loop: Header=BB337_298 Depth=1
	s_or_b32 exec_lo, exec_lo, s22
.LBB337_334:                            ;   in Loop: Header=BB337_298 Depth=1
	s_or_b32 exec_lo, exec_lo, s21
.LBB337_335:                            ;   in Loop: Header=BB337_298 Depth=1
	s_or_b32 exec_lo, exec_lo, s1
	v_cmp_ne_u16_sdwa s21, v9, v10 src0_sel:BYTE_1 src1_sel:DWORD
	s_and_saveexec_b32 s1, s21
	s_cbranch_execz .LBB337_343
; %bb.336:                              ;   in Loop: Header=BB337_298 Depth=1
	v_cmp_ne_u16_sdwa s22, v9, v30 src0_sel:BYTE_1 src1_sel:DWORD
	v_bfrev_b32_e32 v20, 1
	s_and_saveexec_b32 s21, s22
	s_cbranch_execz .LBB337_342
; %bb.337:                              ;   in Loop: Header=BB337_298 Depth=1
	v_and_b32_sdwa v21, v31, v9 dst_sel:DWORD dst_unused:UNUSED_PAD src0_sel:DWORD src1_sel:BYTE_1
	v_mov_b32_e32 v20, 0x7f800001
	s_mov_b32 s22, exec_lo
	v_and_b32_e32 v42, 0x7f, v21
	v_cmpx_ne_u32_e32 0x7f, v42
	s_cbranch_execz .LBB337_341
; %bb.338:                              ;   in Loop: Header=BB337_298 Depth=1
	v_and_b32_e32 v20, 7, v21
	v_mov_b32_e32 v21, v10
	v_lshrrev_b32_e32 v41, 3, v42
	s_mov_b32 s24, exec_lo
	v_cmpx_gt_u32_e32 8, v42
; %bb.339:                              ;   in Loop: Header=BB337_298 Depth=1
	v_ffbh_u32_e32 v41, v20
	v_min_u32_e32 v41, 32, v41
	v_subrev_nc_u32_e32 v42, 28, v41
	v_sub_nc_u32_e32 v41, 29, v41
	v_lshlrev_b64 v[20:21], v42, v[20:21]
	v_and_b32_e32 v20, 7, v20
; %bb.340:                              ;   in Loop: Header=BB337_298 Depth=1
	s_or_b32 exec_lo, exec_lo, s24
	v_lshlrev_b32_e32 v9, 16, v9
	v_lshlrev_b32_e32 v20, 20, v20
	v_lshl_add_u32 v21, v41, 23, 0x3c000000
	v_and_b32_e32 v9, 0x80000000, v9
	v_or3_b32 v20, v20, v9, v21
.LBB337_341:                            ;   in Loop: Header=BB337_298 Depth=1
	s_or_b32 exec_lo, exec_lo, s22
.LBB337_342:                            ;   in Loop: Header=BB337_298 Depth=1
	s_or_b32 exec_lo, exec_lo, s21
.LBB337_343:                            ;   in Loop: Header=BB337_298 Depth=1
	s_or_b32 exec_lo, exec_lo, s1
	v_and_b32_sdwa v9, v19, v32 dst_sel:DWORD dst_unused:UNUSED_PAD src0_sel:WORD_1 src1_sel:DWORD
	v_mov_b32_e32 v21, 0
	v_mov_b32_e32 v41, 0
	s_mov_b32 s1, exec_lo
	v_cmpx_ne_u16_e32 0, v9
	s_cbranch_execz .LBB337_351
; %bb.344:                              ;   in Loop: Header=BB337_298 Depth=1
	v_bfrev_b32_e32 v41, 1
	s_mov_b32 s21, exec_lo
	v_cmpx_ne_u16_e32 0x80, v9
	s_cbranch_execz .LBB337_350
; %bb.345:                              ;   in Loop: Header=BB337_298 Depth=1
	v_bfe_u32 v42, v19, 16, 7
	v_mov_b32_e32 v41, 0x7f800001
	s_mov_b32 s22, exec_lo
	v_cmpx_ne_u32_e32 0x7f, v42
	s_cbranch_execz .LBB337_349
; %bb.346:                              ;   in Loop: Header=BB337_298 Depth=1
	v_and_b32_sdwa v9, v19, v33 dst_sel:DWORD dst_unused:UNUSED_PAD src0_sel:WORD_1 src1_sel:DWORD
	v_lshrrev_b32_e32 v41, 3, v42
	s_mov_b32 s24, exec_lo
	v_cmpx_gt_u32_e32 8, v42
; %bb.347:                              ;   in Loop: Header=BB337_298 Depth=1
	v_ffbh_u32_e32 v41, v9
	v_min_u32_e32 v41, 32, v41
	v_subrev_nc_u32_e32 v42, 28, v41
	v_sub_nc_u32_e32 v41, 29, v41
	v_lshlrev_b64 v[42:43], v42, v[9:10]
	v_and_b32_e32 v9, 7, v42
; %bb.348:                              ;   in Loop: Header=BB337_298 Depth=1
	s_or_b32 exec_lo, exec_lo, s24
	v_lshlrev_b32_sdwa v42, v34, v19 dst_sel:DWORD dst_unused:UNUSED_PAD src0_sel:DWORD src1_sel:WORD_1
	v_lshlrev_b32_e32 v9, 20, v9
	v_lshl_add_u32 v41, v41, 23, 0x3c000000
	v_and_b32_e32 v42, 0x80000000, v42
	v_or3_b32 v41, v9, v42, v41
.LBB337_349:                            ;   in Loop: Header=BB337_298 Depth=1
	s_or_b32 exec_lo, exec_lo, s22
.LBB337_350:                            ;   in Loop: Header=BB337_298 Depth=1
	s_or_b32 exec_lo, exec_lo, s21
.LBB337_351:                            ;   in Loop: Header=BB337_298 Depth=1
	s_or_b32 exec_lo, exec_lo, s1
	s_mov_b32 s1, exec_lo
	v_cmpx_lt_u64_e64 s[4:5], v[18:19]
	s_cbranch_execz .LBB337_359
; %bb.352:                              ;   in Loop: Header=BB337_298 Depth=1
	v_cmp_ne_u32_sdwa s22, v19, v30 src0_sel:BYTE_3 src1_sel:DWORD
	v_bfrev_b32_e32 v21, 1
	s_and_saveexec_b32 s21, s22
	s_cbranch_execz .LBB337_358
; %bb.353:                              ;   in Loop: Header=BB337_298 Depth=1
	v_bfe_u32 v42, v19, 24, 7
	v_mov_b32_e32 v21, 0x7f800001
	s_mov_b32 s22, exec_lo
	v_cmpx_ne_u32_e32 0x7f, v42
	s_cbranch_execz .LBB337_357
; %bb.354:                              ;   in Loop: Header=BB337_298 Depth=1
	v_and_b32_sdwa v9, v19, v33 dst_sel:DWORD dst_unused:UNUSED_PAD src0_sel:BYTE_3 src1_sel:DWORD
	v_lshrrev_b32_e32 v18, 3, v42
	s_mov_b32 s24, exec_lo
	v_cmpx_gt_u32_e32 8, v42
; %bb.355:                              ;   in Loop: Header=BB337_298 Depth=1
	v_ffbh_u32_e32 v18, v9
	v_min_u32_e32 v18, 32, v18
	v_subrev_nc_u32_e32 v21, 28, v18
	v_sub_nc_u32_e32 v18, 29, v18
	v_lshlrev_b64 v[42:43], v21, v[9:10]
	v_and_b32_e32 v9, 7, v42
; %bb.356:                              ;   in Loop: Header=BB337_298 Depth=1
	s_or_b32 exec_lo, exec_lo, s24
	v_lshlrev_b32_sdwa v19, v34, v19 dst_sel:DWORD dst_unused:UNUSED_PAD src0_sel:DWORD src1_sel:BYTE_3
	v_lshlrev_b32_e32 v9, 20, v9
	v_lshl_add_u32 v18, v18, 23, 0x3c000000
	v_and_b32_e32 v19, 0x80000000, v19
	v_or3_b32 v21, v9, v19, v18
.LBB337_357:                            ;   in Loop: Header=BB337_298 Depth=1
	s_or_b32 exec_lo, exec_lo, s22
.LBB337_358:                            ;   in Loop: Header=BB337_298 Depth=1
	s_or_b32 exec_lo, exec_lo, s21
.LBB337_359:                            ;   in Loop: Header=BB337_298 Depth=1
	s_or_b32 exec_lo, exec_lo, s1
	s_waitcnt lgkmcnt(0)
	v_mul_f32_e32 v9, s18, v20
	v_mul_f32_e32 v18, s18, v40
	;; [unrolled: 1-line block ×5, first 2 shown]
	v_bfe_u32 v20, v9, 16, 1
	v_or_b32_e32 v37, 0x400000, v9
	v_bfe_u32 v39, v18, 16, 1
	v_cmp_u_f32_e64 s1, v9, v9
	v_or_b32_e32 v42, 0x400000, v18
	v_add3_u32 v20, v20, v9, 0x7fff
	v_bfe_u32 v43, v19, 16, 1
	v_add3_u32 v39, v39, v18, 0x7fff
	v_or_b32_e32 v44, 0x400000, v19
	v_cmp_eq_u32_e32 vcc_lo, s40, v17
	v_cndmask_b32_e64 v9, v20, v37, s1
	v_cmp_u_f32_e64 s1, v18, v18
	v_bfe_u32 v20, v40, 16, 1
	v_add3_u32 v43, v43, v19, 0x7fff
	v_add_nc_u32_e32 v50, 1, v28
	v_lshrrev_b32_e32 v37, 16, v9
	v_cndmask_b32_e64 v18, v39, v42, s1
	v_cmp_u_f32_e64 s1, v19, v19
	v_mul_f32_e32 v19, s18, v36
	v_add3_u32 v20, v20, v40, 0x7fff
	v_or_b32_e32 v42, 0x400000, v40
	v_lshrrev_b32_e32 v36, 16, v18
	v_cndmask_b32_e64 v9, v43, v44, s1
	v_cmp_u_f32_e64 s1, v40, v40
	v_or_b32_e32 v40, 0x400000, v19
	v_or_b32_e32 v44, 0x400000, v21
	v_add_nc_u32_e32 v49, 2, v28
	v_lshrrev_b32_e32 v39, 16, v9
	v_bfe_u32 v9, v19, 16, 1
	v_cndmask_b32_e64 v18, v20, v42, s1
	v_mul_f32_e32 v20, s18, v38
	v_mul_f32_e32 v38, s18, v41
	v_cmp_u_f32_e64 s1, v19, v19
	v_add3_u32 v9, v9, v19, 0x7fff
	v_bfe_u32 v19, v21, 16, 1
	v_bfe_u32 v41, v20, 16, 1
	;; [unrolled: 1-line block ×3, first 2 shown]
	v_or_b32_e32 v43, 0x400000, v38
	v_cndmask_b32_e64 v9, v9, v40, s1
	v_cmp_u_f32_e64 s1, v20, v20
	v_add3_u32 v40, v41, v20, 0x7fff
	v_or_b32_e32 v41, 0x400000, v20
	v_add3_u32 v42, v42, v38, 0x7fff
	v_add3_u32 v19, v19, v21, 0x7fff
	v_add_nc_u32_e32 v48, 3, v28
	v_add_nc_u32_e32 v47, 4, v28
	v_cndmask_b32_e64 v20, v40, v41, s1
	v_cmp_u_f32_e64 s1, v38, v38
	v_lshrrev_b32_e32 v41, 16, v18
	v_add_nc_u32_e32 v46, 5, v28
	v_add_nc_u32_e32 v45, 6, v28
	v_cndmask_b32_e64 v38, v42, v43, s1
	v_cmp_u_f32_e64 s1, v21, v21
	v_lshrrev_b32_e32 v43, 16, v9
	v_lshrrev_b32_e32 v42, 16, v20
	;; [unrolled: 1-line block ×3, first 2 shown]
	v_cndmask_b32_e64 v19, v19, v44, s1
	v_add_nc_u32_e32 v44, 7, v28
	v_lshrrev_b32_e32 v40, 16, v19
	s_and_saveexec_b32 s21, vcc_lo
	s_cbranch_execz .LBB337_361
; %bb.360:                              ;   in Loop: Header=BB337_298 Depth=1
	v_cmp_gt_i32_e64 s1, s31, v28
	v_cndmask_b32_e64 v42, 0, v42, s1
	v_cmp_gt_i32_e64 s1, s31, v50
	v_cndmask_b32_e64 v43, 0, v43, s1
	;; [unrolled: 2-line block ×8, first 2 shown]
.LBB337_361:                            ;   in Loop: Header=BB337_298 Depth=1
	s_or_b32 exec_lo, exec_lo, s21
	global_load_dwordx2 v[18:19], v[15:16], off offset:256
	v_mov_b32_e32 v52, 0
	v_mov_b32_e32 v53, 0
	s_waitcnt vmcnt(0)
	v_cmp_ne_u16_sdwa s1, v18, v10 src0_sel:BYTE_0 src1_sel:DWORD
	s_and_saveexec_b32 s21, s1
	s_cbranch_execz .LBB337_367
; %bb.362:                              ;   in Loop: Header=BB337_298 Depth=1
	v_cmp_ne_u16_sdwa s1, v18, v30 src0_sel:BYTE_0 src1_sel:DWORD
	v_bfrev_b32_e32 v53, 1
	s_and_saveexec_b32 s22, s1
	s_cbranch_execz .LBB337_366
; %bb.363:                              ;   in Loop: Header=BB337_298 Depth=1
	v_and_b32_e32 v9, 0x7f, v18
	v_mov_b32_e32 v53, 0x7f800001
	s_mov_b32 s24, exec_lo
	v_cmpx_ne_u32_e32 0x7f, v9
	s_cbranch_execz .LBB337_365
; %bb.364:                              ;   in Loop: Header=BB337_298 Depth=1
	v_and_b32_e32 v20, 7, v18
	v_lshrrev_b32_e32 v21, 3, v9
	v_cmp_gt_u32_e64 s1, 8, v9
	v_ffbh_u32_e32 v20, v20
	v_min_u32_e32 v20, 32, v20
	v_subrev_nc_u32_e32 v51, 28, v20
	v_sub_nc_u32_e32 v20, 29, v20
	v_cndmask_b32_e64 v9, v21, v20, s1
	v_cndmask_b32_e64 v20, 0, v51, s1
	v_lshl_add_u32 v9, v9, 23, 0x3c000000
	v_lshlrev_b64 v[20:21], v20, v[18:19]
	v_lshlrev_b32_e32 v21, 24, v18
	v_lshlrev_b32_e32 v20, 20, v20
	v_and_b32_e32 v21, 0x80000000, v21
	v_and_b32_e32 v20, 0x700000, v20
	v_or3_b32 v53, v20, v21, v9
.LBB337_365:                            ;   in Loop: Header=BB337_298 Depth=1
	s_or_b32 exec_lo, exec_lo, s24
.LBB337_366:                            ;   in Loop: Header=BB337_298 Depth=1
	s_or_b32 exec_lo, exec_lo, s22
.LBB337_367:                            ;   in Loop: Header=BB337_298 Depth=1
	s_or_b32 exec_lo, exec_lo, s21
	v_cmp_ne_u16_sdwa s1, v18, v10 src0_sel:BYTE_1 src1_sel:DWORD
	s_and_saveexec_b32 s21, s1
	s_cbranch_execz .LBB337_375
; %bb.368:                              ;   in Loop: Header=BB337_298 Depth=1
	v_cmp_ne_u16_sdwa s1, v18, v30 src0_sel:BYTE_1 src1_sel:DWORD
	v_bfrev_b32_e32 v52, 1
	s_and_saveexec_b32 s22, s1
	s_cbranch_execz .LBB337_374
; %bb.369:                              ;   in Loop: Header=BB337_298 Depth=1
	v_and_b32_sdwa v9, v31, v18 dst_sel:DWORD dst_unused:UNUSED_PAD src0_sel:DWORD src1_sel:BYTE_1
	v_mov_b32_e32 v52, 0x7f800001
	s_mov_b32 s24, exec_lo
	v_and_b32_e32 v21, 0x7f, v9
	v_cmpx_ne_u32_e32 0x7f, v21
	s_cbranch_execz .LBB337_373
; %bb.370:                              ;   in Loop: Header=BB337_298 Depth=1
	v_and_b32_e32 v9, 7, v9
	v_lshrrev_b32_e32 v20, 3, v21
	s_mov_b32 s25, exec_lo
	v_cmpx_gt_u32_e32 8, v21
; %bb.371:                              ;   in Loop: Header=BB337_298 Depth=1
	v_ffbh_u32_e32 v20, v9
	v_min_u32_e32 v20, 32, v20
	v_subrev_nc_u32_e32 v21, 28, v20
	v_sub_nc_u32_e32 v20, 29, v20
	v_lshlrev_b64 v[51:52], v21, v[9:10]
	v_and_b32_e32 v9, 7, v51
; %bb.372:                              ;   in Loop: Header=BB337_298 Depth=1
	s_or_b32 exec_lo, exec_lo, s25
	v_lshlrev_b32_e32 v21, 16, v18
	v_lshlrev_b32_e32 v9, 20, v9
	v_lshl_add_u32 v20, v20, 23, 0x3c000000
	v_and_b32_e32 v21, 0x80000000, v21
	v_or3_b32 v52, v9, v21, v20
.LBB337_373:                            ;   in Loop: Header=BB337_298 Depth=1
	s_or_b32 exec_lo, exec_lo, s24
.LBB337_374:                            ;   in Loop: Header=BB337_298 Depth=1
	s_or_b32 exec_lo, exec_lo, s22
.LBB337_375:                            ;   in Loop: Header=BB337_298 Depth=1
	s_or_b32 exec_lo, exec_lo, s21
	v_and_b32_sdwa v9, v18, v32 dst_sel:DWORD dst_unused:UNUSED_PAD src0_sel:WORD_1 src1_sel:DWORD
	v_mov_b32_e32 v54, 0
	v_mov_b32_e32 v51, 0
	s_mov_b32 s21, exec_lo
	v_cmpx_ne_u16_e32 0, v9
	s_cbranch_execz .LBB337_383
; %bb.376:                              ;   in Loop: Header=BB337_298 Depth=1
	v_bfrev_b32_e32 v51, 1
	s_mov_b32 s22, exec_lo
	v_cmpx_ne_u16_e32 0x80, v9
	s_cbranch_execz .LBB337_382
; %bb.377:                              ;   in Loop: Header=BB337_298 Depth=1
	v_bfe_u32 v21, v18, 16, 7
	v_mov_b32_e32 v51, 0x7f800001
	s_mov_b32 s24, exec_lo
	v_cmpx_ne_u32_e32 0x7f, v21
	s_cbranch_execz .LBB337_381
; %bb.378:                              ;   in Loop: Header=BB337_298 Depth=1
	v_and_b32_sdwa v9, v18, v33 dst_sel:DWORD dst_unused:UNUSED_PAD src0_sel:WORD_1 src1_sel:DWORD
	v_lshrrev_b32_e32 v20, 3, v21
	s_mov_b32 s25, exec_lo
	v_cmpx_gt_u32_e32 8, v21
; %bb.379:                              ;   in Loop: Header=BB337_298 Depth=1
	v_ffbh_u32_e32 v20, v9
	v_min_u32_e32 v20, 32, v20
	v_subrev_nc_u32_e32 v21, 28, v20
	v_sub_nc_u32_e32 v20, 29, v20
	v_lshlrev_b64 v[55:56], v21, v[9:10]
	v_and_b32_e32 v9, 7, v55
; %bb.380:                              ;   in Loop: Header=BB337_298 Depth=1
	s_or_b32 exec_lo, exec_lo, s25
	v_lshlrev_b32_sdwa v21, v34, v18 dst_sel:DWORD dst_unused:UNUSED_PAD src0_sel:DWORD src1_sel:WORD_1
	v_lshlrev_b32_e32 v9, 20, v9
	v_lshl_add_u32 v20, v20, 23, 0x3c000000
	v_and_b32_e32 v21, 0x80000000, v21
	v_or3_b32 v51, v9, v21, v20
.LBB337_381:                            ;   in Loop: Header=BB337_298 Depth=1
	s_or_b32 exec_lo, exec_lo, s24
.LBB337_382:                            ;   in Loop: Header=BB337_298 Depth=1
	s_or_b32 exec_lo, exec_lo, s22
.LBB337_383:                            ;   in Loop: Header=BB337_298 Depth=1
	s_or_b32 exec_lo, exec_lo, s21
	s_mov_b32 s21, exec_lo
	v_cmpx_lt_u32_e32 0xffffff, v18
	s_cbranch_execz .LBB337_391
; %bb.384:                              ;   in Loop: Header=BB337_298 Depth=1
	v_cmp_ne_u32_sdwa s1, v18, v30 src0_sel:BYTE_3 src1_sel:DWORD
	v_bfrev_b32_e32 v54, 1
	s_and_saveexec_b32 s22, s1
	s_cbranch_execz .LBB337_390
; %bb.385:                              ;   in Loop: Header=BB337_298 Depth=1
	v_bfe_u32 v21, v18, 24, 7
	v_mov_b32_e32 v54, 0x7f800001
	s_mov_b32 s24, exec_lo
	v_cmpx_ne_u32_e32 0x7f, v21
	s_cbranch_execz .LBB337_389
; %bb.386:                              ;   in Loop: Header=BB337_298 Depth=1
	v_and_b32_sdwa v9, v18, v33 dst_sel:DWORD dst_unused:UNUSED_PAD src0_sel:BYTE_3 src1_sel:DWORD
	v_lshrrev_b32_e32 v20, 3, v21
	s_mov_b32 s25, exec_lo
	v_cmpx_gt_u32_e32 8, v21
; %bb.387:                              ;   in Loop: Header=BB337_298 Depth=1
	v_ffbh_u32_e32 v20, v9
	v_min_u32_e32 v20, 32, v20
	v_subrev_nc_u32_e32 v21, 28, v20
	v_sub_nc_u32_e32 v20, 29, v20
	v_lshlrev_b64 v[54:55], v21, v[9:10]
	v_and_b32_e32 v9, 7, v54
; %bb.388:                              ;   in Loop: Header=BB337_298 Depth=1
	s_or_b32 exec_lo, exec_lo, s25
	v_lshlrev_b32_sdwa v21, v34, v18 dst_sel:DWORD dst_unused:UNUSED_PAD src0_sel:DWORD src1_sel:BYTE_3
	v_lshlrev_b32_e32 v9, 20, v9
	v_lshl_add_u32 v20, v20, 23, 0x3c000000
	v_and_b32_e32 v21, 0x80000000, v21
	v_or3_b32 v54, v9, v21, v20
.LBB337_389:                            ;   in Loop: Header=BB337_298 Depth=1
	s_or_b32 exec_lo, exec_lo, s24
.LBB337_390:                            ;   in Loop: Header=BB337_298 Depth=1
	s_or_b32 exec_lo, exec_lo, s22
.LBB337_391:                            ;   in Loop: Header=BB337_298 Depth=1
	s_or_b32 exec_lo, exec_lo, s21
	v_mov_b32_e32 v9, v19
	v_cmp_ne_u16_sdwa s1, v19, v10 src0_sel:BYTE_0 src1_sel:DWORD
	v_mov_b32_e32 v20, 0
	v_mov_b32_e32 v55, 0
	s_and_saveexec_b32 s21, s1
	s_cbranch_execz .LBB337_397
; %bb.392:                              ;   in Loop: Header=BB337_298 Depth=1
	v_cmp_ne_u16_sdwa s1, v19, v30 src0_sel:BYTE_0 src1_sel:DWORD
	v_bfrev_b32_e32 v55, 1
	s_and_saveexec_b32 s22, s1
	s_cbranch_execz .LBB337_396
; %bb.393:                              ;   in Loop: Header=BB337_298 Depth=1
	v_and_b32_e32 v21, 0x7f, v19
	v_mov_b32_e32 v55, 0x7f800001
	s_mov_b32 s24, exec_lo
	v_cmpx_ne_u32_e32 0x7f, v21
	s_cbranch_execz .LBB337_395
; %bb.394:                              ;   in Loop: Header=BB337_298 Depth=1
	v_and_b32_e32 v55, 7, v19
	v_lshrrev_b32_e32 v56, 3, v21
	v_cmp_gt_u32_e64 s1, 8, v21
	v_ffbh_u32_e32 v55, v55
	v_min_u32_e32 v55, 32, v55
	v_subrev_nc_u32_e32 v57, 28, v55
	v_sub_nc_u32_e32 v55, 29, v55
	v_cndmask_b32_e64 v21, v56, v55, s1
	v_cndmask_b32_e64 v55, 0, v57, s1
	v_lshl_add_u32 v21, v21, 23, 0x3c000000
	v_lshlrev_b64 v[55:56], v55, v[9:10]
	v_lshlrev_b32_e32 v56, 24, v9
	v_lshlrev_b32_e32 v55, 20, v55
	v_and_b32_e32 v56, 0x80000000, v56
	v_and_b32_e32 v55, 0x700000, v55
	v_or3_b32 v55, v55, v56, v21
.LBB337_395:                            ;   in Loop: Header=BB337_298 Depth=1
	s_or_b32 exec_lo, exec_lo, s24
.LBB337_396:                            ;   in Loop: Header=BB337_298 Depth=1
	s_or_b32 exec_lo, exec_lo, s22
.LBB337_397:                            ;   in Loop: Header=BB337_298 Depth=1
	s_or_b32 exec_lo, exec_lo, s21
	v_cmp_ne_u16_sdwa s1, v9, v10 src0_sel:BYTE_1 src1_sel:DWORD
	s_and_saveexec_b32 s21, s1
	s_cbranch_execz .LBB337_405
; %bb.398:                              ;   in Loop: Header=BB337_298 Depth=1
	v_cmp_ne_u16_sdwa s1, v9, v30 src0_sel:BYTE_1 src1_sel:DWORD
	v_bfrev_b32_e32 v20, 1
	s_and_saveexec_b32 s22, s1
	s_cbranch_execz .LBB337_404
; %bb.399:                              ;   in Loop: Header=BB337_298 Depth=1
	v_and_b32_sdwa v21, v31, v9 dst_sel:DWORD dst_unused:UNUSED_PAD src0_sel:DWORD src1_sel:BYTE_1
	v_mov_b32_e32 v20, 0x7f800001
	s_mov_b32 s24, exec_lo
	v_and_b32_e32 v57, 0x7f, v21
	v_cmpx_ne_u32_e32 0x7f, v57
	s_cbranch_execz .LBB337_403
; %bb.400:                              ;   in Loop: Header=BB337_298 Depth=1
	v_and_b32_e32 v20, 7, v21
	v_mov_b32_e32 v21, v10
	v_lshrrev_b32_e32 v56, 3, v57
	s_mov_b32 s25, exec_lo
	v_cmpx_gt_u32_e32 8, v57
; %bb.401:                              ;   in Loop: Header=BB337_298 Depth=1
	v_ffbh_u32_e32 v56, v20
	v_min_u32_e32 v56, 32, v56
	v_subrev_nc_u32_e32 v57, 28, v56
	v_sub_nc_u32_e32 v56, 29, v56
	v_lshlrev_b64 v[20:21], v57, v[20:21]
	v_and_b32_e32 v20, 7, v20
; %bb.402:                              ;   in Loop: Header=BB337_298 Depth=1
	s_or_b32 exec_lo, exec_lo, s25
	v_lshlrev_b32_e32 v9, 16, v9
	v_lshlrev_b32_e32 v20, 20, v20
	v_lshl_add_u32 v21, v56, 23, 0x3c000000
	v_and_b32_e32 v9, 0x80000000, v9
	v_or3_b32 v20, v20, v9, v21
.LBB337_403:                            ;   in Loop: Header=BB337_298 Depth=1
	s_or_b32 exec_lo, exec_lo, s24
.LBB337_404:                            ;   in Loop: Header=BB337_298 Depth=1
	s_or_b32 exec_lo, exec_lo, s22
.LBB337_405:                            ;   in Loop: Header=BB337_298 Depth=1
	s_or_b32 exec_lo, exec_lo, s21
	v_and_b32_sdwa v9, v19, v32 dst_sel:DWORD dst_unused:UNUSED_PAD src0_sel:WORD_1 src1_sel:DWORD
	v_mov_b32_e32 v21, 0
	v_mov_b32_e32 v56, 0
	s_mov_b32 s21, exec_lo
	v_cmpx_ne_u16_e32 0, v9
	s_cbranch_execz .LBB337_413
; %bb.406:                              ;   in Loop: Header=BB337_298 Depth=1
	v_bfrev_b32_e32 v56, 1
	s_mov_b32 s22, exec_lo
	v_cmpx_ne_u16_e32 0x80, v9
	s_cbranch_execz .LBB337_412
; %bb.407:                              ;   in Loop: Header=BB337_298 Depth=1
	v_bfe_u32 v57, v19, 16, 7
	v_mov_b32_e32 v56, 0x7f800001
	s_mov_b32 s24, exec_lo
	v_cmpx_ne_u32_e32 0x7f, v57
	s_cbranch_execz .LBB337_411
; %bb.408:                              ;   in Loop: Header=BB337_298 Depth=1
	v_and_b32_sdwa v9, v19, v33 dst_sel:DWORD dst_unused:UNUSED_PAD src0_sel:WORD_1 src1_sel:DWORD
	v_lshrrev_b32_e32 v56, 3, v57
	s_mov_b32 s25, exec_lo
	v_cmpx_gt_u32_e32 8, v57
; %bb.409:                              ;   in Loop: Header=BB337_298 Depth=1
	v_ffbh_u32_e32 v56, v9
	v_min_u32_e32 v56, 32, v56
	v_subrev_nc_u32_e32 v57, 28, v56
	v_sub_nc_u32_e32 v56, 29, v56
	v_lshlrev_b64 v[57:58], v57, v[9:10]
	v_and_b32_e32 v9, 7, v57
; %bb.410:                              ;   in Loop: Header=BB337_298 Depth=1
	s_or_b32 exec_lo, exec_lo, s25
	v_lshlrev_b32_sdwa v57, v34, v19 dst_sel:DWORD dst_unused:UNUSED_PAD src0_sel:DWORD src1_sel:WORD_1
	v_lshlrev_b32_e32 v9, 20, v9
	v_lshl_add_u32 v56, v56, 23, 0x3c000000
	v_and_b32_e32 v57, 0x80000000, v57
	v_or3_b32 v56, v9, v57, v56
.LBB337_411:                            ;   in Loop: Header=BB337_298 Depth=1
	s_or_b32 exec_lo, exec_lo, s24
.LBB337_412:                            ;   in Loop: Header=BB337_298 Depth=1
	s_or_b32 exec_lo, exec_lo, s22
.LBB337_413:                            ;   in Loop: Header=BB337_298 Depth=1
	s_or_b32 exec_lo, exec_lo, s21
	s_mov_b32 s21, exec_lo
	v_cmpx_lt_u64_e64 s[4:5], v[18:19]
	s_cbranch_execz .LBB337_421
; %bb.414:                              ;   in Loop: Header=BB337_298 Depth=1
	v_cmp_ne_u32_sdwa s1, v19, v30 src0_sel:BYTE_3 src1_sel:DWORD
	v_bfrev_b32_e32 v21, 1
	s_and_saveexec_b32 s22, s1
	s_cbranch_execz .LBB337_420
; %bb.415:                              ;   in Loop: Header=BB337_298 Depth=1
	v_bfe_u32 v57, v19, 24, 7
	v_mov_b32_e32 v21, 0x7f800001
	s_mov_b32 s24, exec_lo
	v_cmpx_ne_u32_e32 0x7f, v57
	s_cbranch_execz .LBB337_419
; %bb.416:                              ;   in Loop: Header=BB337_298 Depth=1
	v_and_b32_sdwa v9, v19, v33 dst_sel:DWORD dst_unused:UNUSED_PAD src0_sel:BYTE_3 src1_sel:DWORD
	v_lshrrev_b32_e32 v18, 3, v57
	s_mov_b32 s25, exec_lo
	v_cmpx_gt_u32_e32 8, v57
; %bb.417:                              ;   in Loop: Header=BB337_298 Depth=1
	v_ffbh_u32_e32 v18, v9
	v_min_u32_e32 v18, 32, v18
	v_subrev_nc_u32_e32 v21, 28, v18
	v_sub_nc_u32_e32 v18, 29, v18
	v_lshlrev_b64 v[57:58], v21, v[9:10]
	v_and_b32_e32 v9, 7, v57
; %bb.418:                              ;   in Loop: Header=BB337_298 Depth=1
	s_or_b32 exec_lo, exec_lo, s25
	v_lshlrev_b32_sdwa v19, v34, v19 dst_sel:DWORD dst_unused:UNUSED_PAD src0_sel:DWORD src1_sel:BYTE_3
	v_lshlrev_b32_e32 v9, 20, v9
	v_lshl_add_u32 v18, v18, 23, 0x3c000000
	v_and_b32_e32 v19, 0x80000000, v19
	v_or3_b32 v21, v9, v19, v18
.LBB337_419:                            ;   in Loop: Header=BB337_298 Depth=1
	s_or_b32 exec_lo, exec_lo, s24
.LBB337_420:                            ;   in Loop: Header=BB337_298 Depth=1
	s_or_b32 exec_lo, exec_lo, s22
.LBB337_421:                            ;   in Loop: Header=BB337_298 Depth=1
	s_or_b32 exec_lo, exec_lo, s21
	v_mul_f32_e32 v9, s18, v20
	v_mul_f32_e32 v18, s18, v55
	;; [unrolled: 1-line block ×5, first 2 shown]
	v_bfe_u32 v51, v9, 16, 1
	v_or_b32_e32 v54, 0x400000, v9
	v_bfe_u32 v55, v18, 16, 1
	v_cmp_u_f32_e64 s1, v9, v9
	v_or_b32_e32 v57, 0x400000, v18
	v_add3_u32 v51, v51, v9, 0x7fff
	v_bfe_u32 v58, v19, 16, 1
	v_add3_u32 v55, v55, v18, 0x7fff
	v_or_b32_e32 v59, 0x400000, v19
	v_bfe_u32 v60, v20, 16, 1
	v_cndmask_b32_e64 v9, v51, v54, s1
	v_cmp_u_f32_e64 s1, v18, v18
	v_add3_u32 v58, v58, v19, 0x7fff
	v_lshrrev_b32_e32 v51, 16, v9
	v_cndmask_b32_e64 v18, v55, v57, s1
	v_cmp_u_f32_e64 s1, v19, v19
	v_mul_f32_e32 v9, s18, v52
	v_add3_u32 v55, v60, v20, 0x7fff
	v_or_b32_e32 v57, 0x400000, v20
	v_lshrrev_b32_e32 v52, 16, v18
	v_cndmask_b32_e64 v19, v58, v59, s1
	v_bfe_u32 v18, v9, 16, 1
	v_cmp_u_f32_e64 s1, v20, v20
	v_mul_f32_e32 v20, s18, v53
	v_mul_f32_e32 v53, s18, v56
	v_lshrrev_b32_e32 v54, 16, v19
	v_add3_u32 v18, v18, v9, 0x7fff
	v_cndmask_b32_e64 v19, v55, v57, s1
	v_or_b32_e32 v55, 0x400000, v9
	v_bfe_u32 v56, v20, 16, 1
	v_cmp_u_f32_e64 s1, v9, v9
	v_bfe_u32 v57, v53, 16, 1
	v_or_b32_e32 v58, 0x400000, v53
	v_or_b32_e32 v59, 0x400000, v21
	v_cndmask_b32_e64 v9, v18, v55, s1
	v_add3_u32 v55, v56, v20, 0x7fff
	v_or_b32_e32 v56, 0x400000, v20
	v_cmp_u_f32_e64 s1, v20, v20
	v_bfe_u32 v18, v21, 16, 1
	v_add3_u32 v57, v57, v53, 0x7fff
	v_cndmask_b32_e64 v20, v55, v56, s1
	v_cmp_u_f32_e64 s1, v53, v53
	v_add3_u32 v18, v18, v21, 0x7fff
	v_lshrrev_b32_e32 v56, 16, v19
	v_cndmask_b32_e64 v53, v57, v58, s1
	v_cmp_u_f32_e64 s1, v21, v21
	v_lshrrev_b32_e32 v58, 16, v9
	v_lshrrev_b32_e32 v57, 16, v20
	;; [unrolled: 1-line block ×3, first 2 shown]
	v_cndmask_b32_e64 v18, v18, v59, s1
	v_lshrrev_b32_e32 v55, 16, v18
	s_and_saveexec_b32 s21, vcc_lo
	s_cbranch_execz .LBB337_423
; %bb.422:                              ;   in Loop: Header=BB337_298 Depth=1
	v_cmp_gt_i32_e64 s1, s31, v28
	v_cndmask_b32_e64 v57, 0, v57, s1
	v_cmp_gt_i32_e64 s1, s31, v50
	v_cndmask_b32_e64 v58, 0, v58, s1
	;; [unrolled: 2-line block ×8, first 2 shown]
.LBB337_423:                            ;   in Loop: Header=BB337_298 Depth=1
	s_or_b32 exec_lo, exec_lo, s21
	global_load_dwordx2 v[18:19], v[15:16], off offset:512
	v_mov_b32_e32 v60, 0
	v_mov_b32_e32 v59, 0
	s_waitcnt vmcnt(0)
	v_cmp_ne_u16_sdwa s1, v18, v10 src0_sel:BYTE_0 src1_sel:DWORD
	s_and_saveexec_b32 s21, s1
	s_cbranch_execz .LBB337_429
; %bb.424:                              ;   in Loop: Header=BB337_298 Depth=1
	v_cmp_ne_u16_sdwa s1, v18, v30 src0_sel:BYTE_0 src1_sel:DWORD
	v_bfrev_b32_e32 v59, 1
	s_and_saveexec_b32 s22, s1
	s_cbranch_execz .LBB337_428
; %bb.425:                              ;   in Loop: Header=BB337_298 Depth=1
	v_and_b32_e32 v9, 0x7f, v18
	v_mov_b32_e32 v59, 0x7f800001
	s_mov_b32 s24, exec_lo
	v_cmpx_ne_u32_e32 0x7f, v9
	s_cbranch_execz .LBB337_427
; %bb.426:                              ;   in Loop: Header=BB337_298 Depth=1
	v_and_b32_e32 v20, 7, v18
	v_lshrrev_b32_e32 v21, 3, v9
	v_cmp_gt_u32_e64 s1, 8, v9
	v_ffbh_u32_e32 v20, v20
	v_min_u32_e32 v20, 32, v20
	v_subrev_nc_u32_e32 v59, 28, v20
	v_sub_nc_u32_e32 v20, 29, v20
	v_cndmask_b32_e64 v9, v21, v20, s1
	v_cndmask_b32_e64 v20, 0, v59, s1
	v_lshl_add_u32 v9, v9, 23, 0x3c000000
	v_lshlrev_b64 v[20:21], v20, v[18:19]
	v_lshlrev_b32_e32 v21, 24, v18
	v_lshlrev_b32_e32 v20, 20, v20
	v_and_b32_e32 v21, 0x80000000, v21
	v_and_b32_e32 v20, 0x700000, v20
	v_or3_b32 v59, v20, v21, v9
.LBB337_427:                            ;   in Loop: Header=BB337_298 Depth=1
	s_or_b32 exec_lo, exec_lo, s24
.LBB337_428:                            ;   in Loop: Header=BB337_298 Depth=1
	s_or_b32 exec_lo, exec_lo, s22
.LBB337_429:                            ;   in Loop: Header=BB337_298 Depth=1
	s_or_b32 exec_lo, exec_lo, s21
	v_cmp_ne_u16_sdwa s1, v18, v10 src0_sel:BYTE_1 src1_sel:DWORD
	s_and_saveexec_b32 s21, s1
	s_cbranch_execz .LBB337_437
; %bb.430:                              ;   in Loop: Header=BB337_298 Depth=1
	v_cmp_ne_u16_sdwa s1, v18, v30 src0_sel:BYTE_1 src1_sel:DWORD
	v_bfrev_b32_e32 v60, 1
	s_and_saveexec_b32 s22, s1
	s_cbranch_execz .LBB337_436
; %bb.431:                              ;   in Loop: Header=BB337_298 Depth=1
	v_and_b32_sdwa v9, v31, v18 dst_sel:DWORD dst_unused:UNUSED_PAD src0_sel:DWORD src1_sel:BYTE_1
	v_mov_b32_e32 v60, 0x7f800001
	s_mov_b32 s24, exec_lo
	v_and_b32_e32 v21, 0x7f, v9
	v_cmpx_ne_u32_e32 0x7f, v21
	s_cbranch_execz .LBB337_435
; %bb.432:                              ;   in Loop: Header=BB337_298 Depth=1
	v_and_b32_e32 v9, 7, v9
	v_lshrrev_b32_e32 v20, 3, v21
	s_mov_b32 s25, exec_lo
	v_cmpx_gt_u32_e32 8, v21
; %bb.433:                              ;   in Loop: Header=BB337_298 Depth=1
	v_ffbh_u32_e32 v20, v9
	v_min_u32_e32 v20, 32, v20
	v_subrev_nc_u32_e32 v21, 28, v20
	v_sub_nc_u32_e32 v20, 29, v20
	v_lshlrev_b64 v[60:61], v21, v[9:10]
	v_and_b32_e32 v9, 7, v60
; %bb.434:                              ;   in Loop: Header=BB337_298 Depth=1
	s_or_b32 exec_lo, exec_lo, s25
	v_lshlrev_b32_e32 v21, 16, v18
	v_lshlrev_b32_e32 v9, 20, v9
	v_lshl_add_u32 v20, v20, 23, 0x3c000000
	v_and_b32_e32 v21, 0x80000000, v21
	v_or3_b32 v60, v9, v21, v20
.LBB337_435:                            ;   in Loop: Header=BB337_298 Depth=1
	s_or_b32 exec_lo, exec_lo, s24
.LBB337_436:                            ;   in Loop: Header=BB337_298 Depth=1
	s_or_b32 exec_lo, exec_lo, s22
.LBB337_437:                            ;   in Loop: Header=BB337_298 Depth=1
	s_or_b32 exec_lo, exec_lo, s21
	v_and_b32_sdwa v9, v18, v32 dst_sel:DWORD dst_unused:UNUSED_PAD src0_sel:WORD_1 src1_sel:DWORD
	v_mov_b32_e32 v62, 0
	v_mov_b32_e32 v61, 0
	s_mov_b32 s21, exec_lo
	v_cmpx_ne_u16_e32 0, v9
	s_cbranch_execz .LBB337_445
; %bb.438:                              ;   in Loop: Header=BB337_298 Depth=1
	v_bfrev_b32_e32 v61, 1
	s_mov_b32 s22, exec_lo
	v_cmpx_ne_u16_e32 0x80, v9
	s_cbranch_execz .LBB337_444
; %bb.439:                              ;   in Loop: Header=BB337_298 Depth=1
	v_bfe_u32 v21, v18, 16, 7
	v_mov_b32_e32 v61, 0x7f800001
	s_mov_b32 s24, exec_lo
	v_cmpx_ne_u32_e32 0x7f, v21
	s_cbranch_execz .LBB337_443
; %bb.440:                              ;   in Loop: Header=BB337_298 Depth=1
	v_and_b32_sdwa v9, v18, v33 dst_sel:DWORD dst_unused:UNUSED_PAD src0_sel:WORD_1 src1_sel:DWORD
	v_lshrrev_b32_e32 v20, 3, v21
	s_mov_b32 s25, exec_lo
	v_cmpx_gt_u32_e32 8, v21
; %bb.441:                              ;   in Loop: Header=BB337_298 Depth=1
	v_ffbh_u32_e32 v20, v9
	v_min_u32_e32 v20, 32, v20
	v_subrev_nc_u32_e32 v21, 28, v20
	v_sub_nc_u32_e32 v20, 29, v20
	v_lshlrev_b64 v[63:64], v21, v[9:10]
	v_and_b32_e32 v9, 7, v63
; %bb.442:                              ;   in Loop: Header=BB337_298 Depth=1
	s_or_b32 exec_lo, exec_lo, s25
	v_lshlrev_b32_sdwa v21, v34, v18 dst_sel:DWORD dst_unused:UNUSED_PAD src0_sel:DWORD src1_sel:WORD_1
	v_lshlrev_b32_e32 v9, 20, v9
	v_lshl_add_u32 v20, v20, 23, 0x3c000000
	v_and_b32_e32 v21, 0x80000000, v21
	v_or3_b32 v61, v9, v21, v20
.LBB337_443:                            ;   in Loop: Header=BB337_298 Depth=1
	s_or_b32 exec_lo, exec_lo, s24
.LBB337_444:                            ;   in Loop: Header=BB337_298 Depth=1
	s_or_b32 exec_lo, exec_lo, s22
.LBB337_445:                            ;   in Loop: Header=BB337_298 Depth=1
	s_or_b32 exec_lo, exec_lo, s21
	s_mov_b32 s21, exec_lo
	v_cmpx_lt_u32_e32 0xffffff, v18
	s_cbranch_execz .LBB337_453
; %bb.446:                              ;   in Loop: Header=BB337_298 Depth=1
	v_cmp_ne_u32_sdwa s1, v18, v30 src0_sel:BYTE_3 src1_sel:DWORD
	v_bfrev_b32_e32 v62, 1
	s_and_saveexec_b32 s22, s1
	s_cbranch_execz .LBB337_452
; %bb.447:                              ;   in Loop: Header=BB337_298 Depth=1
	v_bfe_u32 v21, v18, 24, 7
	v_mov_b32_e32 v62, 0x7f800001
	s_mov_b32 s24, exec_lo
	v_cmpx_ne_u32_e32 0x7f, v21
	s_cbranch_execz .LBB337_451
; %bb.448:                              ;   in Loop: Header=BB337_298 Depth=1
	v_and_b32_sdwa v9, v18, v33 dst_sel:DWORD dst_unused:UNUSED_PAD src0_sel:BYTE_3 src1_sel:DWORD
	v_lshrrev_b32_e32 v20, 3, v21
	s_mov_b32 s25, exec_lo
	v_cmpx_gt_u32_e32 8, v21
; %bb.449:                              ;   in Loop: Header=BB337_298 Depth=1
	v_ffbh_u32_e32 v20, v9
	v_min_u32_e32 v20, 32, v20
	v_subrev_nc_u32_e32 v21, 28, v20
	v_sub_nc_u32_e32 v20, 29, v20
	v_lshlrev_b64 v[62:63], v21, v[9:10]
	v_and_b32_e32 v9, 7, v62
; %bb.450:                              ;   in Loop: Header=BB337_298 Depth=1
	s_or_b32 exec_lo, exec_lo, s25
	v_lshlrev_b32_sdwa v21, v34, v18 dst_sel:DWORD dst_unused:UNUSED_PAD src0_sel:DWORD src1_sel:BYTE_3
	v_lshlrev_b32_e32 v9, 20, v9
	v_lshl_add_u32 v20, v20, 23, 0x3c000000
	v_and_b32_e32 v21, 0x80000000, v21
	v_or3_b32 v62, v9, v21, v20
.LBB337_451:                            ;   in Loop: Header=BB337_298 Depth=1
	s_or_b32 exec_lo, exec_lo, s24
.LBB337_452:                            ;   in Loop: Header=BB337_298 Depth=1
	s_or_b32 exec_lo, exec_lo, s22
.LBB337_453:                            ;   in Loop: Header=BB337_298 Depth=1
	s_or_b32 exec_lo, exec_lo, s21
	v_mov_b32_e32 v9, v19
	v_cmp_ne_u16_sdwa s1, v19, v10 src0_sel:BYTE_0 src1_sel:DWORD
	v_mov_b32_e32 v20, 0
	v_mov_b32_e32 v63, 0
	s_and_saveexec_b32 s21, s1
	s_cbranch_execz .LBB337_459
; %bb.454:                              ;   in Loop: Header=BB337_298 Depth=1
	v_cmp_ne_u16_sdwa s1, v19, v30 src0_sel:BYTE_0 src1_sel:DWORD
	v_bfrev_b32_e32 v63, 1
	s_and_saveexec_b32 s22, s1
	s_cbranch_execz .LBB337_458
; %bb.455:                              ;   in Loop: Header=BB337_298 Depth=1
	v_and_b32_e32 v21, 0x7f, v19
	v_mov_b32_e32 v63, 0x7f800001
	s_mov_b32 s24, exec_lo
	v_cmpx_ne_u32_e32 0x7f, v21
	s_cbranch_execz .LBB337_457
; %bb.456:                              ;   in Loop: Header=BB337_298 Depth=1
	v_and_b32_e32 v63, 7, v19
	v_lshrrev_b32_e32 v64, 3, v21
	v_cmp_gt_u32_e64 s1, 8, v21
	v_ffbh_u32_e32 v63, v63
	v_min_u32_e32 v63, 32, v63
	v_subrev_nc_u32_e32 v65, 28, v63
	v_sub_nc_u32_e32 v63, 29, v63
	v_cndmask_b32_e64 v21, v64, v63, s1
	v_cndmask_b32_e64 v63, 0, v65, s1
	v_lshl_add_u32 v21, v21, 23, 0x3c000000
	v_lshlrev_b64 v[63:64], v63, v[9:10]
	v_lshlrev_b32_e32 v64, 24, v9
	v_lshlrev_b32_e32 v63, 20, v63
	v_and_b32_e32 v64, 0x80000000, v64
	v_and_b32_e32 v63, 0x700000, v63
	v_or3_b32 v63, v63, v64, v21
.LBB337_457:                            ;   in Loop: Header=BB337_298 Depth=1
	s_or_b32 exec_lo, exec_lo, s24
.LBB337_458:                            ;   in Loop: Header=BB337_298 Depth=1
	s_or_b32 exec_lo, exec_lo, s22
.LBB337_459:                            ;   in Loop: Header=BB337_298 Depth=1
	s_or_b32 exec_lo, exec_lo, s21
	v_cmp_ne_u16_sdwa s1, v9, v10 src0_sel:BYTE_1 src1_sel:DWORD
	s_and_saveexec_b32 s21, s1
	s_cbranch_execz .LBB337_467
; %bb.460:                              ;   in Loop: Header=BB337_298 Depth=1
	v_cmp_ne_u16_sdwa s1, v9, v30 src0_sel:BYTE_1 src1_sel:DWORD
	v_bfrev_b32_e32 v20, 1
	s_and_saveexec_b32 s22, s1
	s_cbranch_execz .LBB337_466
; %bb.461:                              ;   in Loop: Header=BB337_298 Depth=1
	v_and_b32_sdwa v21, v31, v9 dst_sel:DWORD dst_unused:UNUSED_PAD src0_sel:DWORD src1_sel:BYTE_1
	v_mov_b32_e32 v20, 0x7f800001
	s_mov_b32 s24, exec_lo
	v_and_b32_e32 v65, 0x7f, v21
	v_cmpx_ne_u32_e32 0x7f, v65
	s_cbranch_execz .LBB337_465
; %bb.462:                              ;   in Loop: Header=BB337_298 Depth=1
	v_and_b32_e32 v20, 7, v21
	v_mov_b32_e32 v21, v10
	v_lshrrev_b32_e32 v64, 3, v65
	s_mov_b32 s25, exec_lo
	v_cmpx_gt_u32_e32 8, v65
; %bb.463:                              ;   in Loop: Header=BB337_298 Depth=1
	v_ffbh_u32_e32 v64, v20
	v_min_u32_e32 v64, 32, v64
	v_subrev_nc_u32_e32 v65, 28, v64
	v_sub_nc_u32_e32 v64, 29, v64
	v_lshlrev_b64 v[20:21], v65, v[20:21]
	v_and_b32_e32 v20, 7, v20
; %bb.464:                              ;   in Loop: Header=BB337_298 Depth=1
	s_or_b32 exec_lo, exec_lo, s25
	v_lshlrev_b32_e32 v9, 16, v9
	v_lshlrev_b32_e32 v20, 20, v20
	v_lshl_add_u32 v21, v64, 23, 0x3c000000
	v_and_b32_e32 v9, 0x80000000, v9
	v_or3_b32 v20, v20, v9, v21
.LBB337_465:                            ;   in Loop: Header=BB337_298 Depth=1
	s_or_b32 exec_lo, exec_lo, s24
.LBB337_466:                            ;   in Loop: Header=BB337_298 Depth=1
	s_or_b32 exec_lo, exec_lo, s22
.LBB337_467:                            ;   in Loop: Header=BB337_298 Depth=1
	s_or_b32 exec_lo, exec_lo, s21
	v_and_b32_sdwa v9, v19, v32 dst_sel:DWORD dst_unused:UNUSED_PAD src0_sel:WORD_1 src1_sel:DWORD
	v_mov_b32_e32 v64, 0
	v_mov_b32_e32 v65, 0
	s_mov_b32 s21, exec_lo
	v_cmpx_ne_u16_e32 0, v9
	s_cbranch_execz .LBB337_475
; %bb.468:                              ;   in Loop: Header=BB337_298 Depth=1
	v_bfrev_b32_e32 v65, 1
	s_mov_b32 s22, exec_lo
	v_cmpx_ne_u16_e32 0x80, v9
	s_cbranch_execz .LBB337_474
; %bb.469:                              ;   in Loop: Header=BB337_298 Depth=1
	v_bfe_u32 v66, v19, 16, 7
	v_mov_b32_e32 v65, 0x7f800001
	s_mov_b32 s24, exec_lo
	v_cmpx_ne_u32_e32 0x7f, v66
	s_cbranch_execz .LBB337_473
; %bb.470:                              ;   in Loop: Header=BB337_298 Depth=1
	v_and_b32_sdwa v9, v19, v33 dst_sel:DWORD dst_unused:UNUSED_PAD src0_sel:WORD_1 src1_sel:DWORD
	v_lshrrev_b32_e32 v21, 3, v66
	s_mov_b32 s25, exec_lo
	v_cmpx_gt_u32_e32 8, v66
; %bb.471:                              ;   in Loop: Header=BB337_298 Depth=1
	v_ffbh_u32_e32 v21, v9
	v_min_u32_e32 v21, 32, v21
	v_subrev_nc_u32_e32 v65, 28, v21
	v_sub_nc_u32_e32 v21, 29, v21
	v_lshlrev_b64 v[65:66], v65, v[9:10]
	v_and_b32_e32 v9, 7, v65
; %bb.472:                              ;   in Loop: Header=BB337_298 Depth=1
	s_or_b32 exec_lo, exec_lo, s25
	v_lshlrev_b32_sdwa v65, v34, v19 dst_sel:DWORD dst_unused:UNUSED_PAD src0_sel:DWORD src1_sel:WORD_1
	v_lshlrev_b32_e32 v9, 20, v9
	v_lshl_add_u32 v21, v21, 23, 0x3c000000
	v_and_b32_e32 v65, 0x80000000, v65
	v_or3_b32 v65, v9, v65, v21
.LBB337_473:                            ;   in Loop: Header=BB337_298 Depth=1
	s_or_b32 exec_lo, exec_lo, s24
.LBB337_474:                            ;   in Loop: Header=BB337_298 Depth=1
	s_or_b32 exec_lo, exec_lo, s22
.LBB337_475:                            ;   in Loop: Header=BB337_298 Depth=1
	s_or_b32 exec_lo, exec_lo, s21
	s_mov_b32 s21, exec_lo
	v_cmpx_lt_u64_e64 s[4:5], v[18:19]
	s_cbranch_execz .LBB337_483
; %bb.476:                              ;   in Loop: Header=BB337_298 Depth=1
	v_cmp_ne_u32_sdwa s1, v19, v30 src0_sel:BYTE_3 src1_sel:DWORD
	v_bfrev_b32_e32 v64, 1
	s_and_saveexec_b32 s22, s1
	s_cbranch_execz .LBB337_482
; %bb.477:                              ;   in Loop: Header=BB337_298 Depth=1
	v_bfe_u32 v21, v19, 24, 7
	v_mov_b32_e32 v64, 0x7f800001
	s_mov_b32 s24, exec_lo
	v_cmpx_ne_u32_e32 0x7f, v21
	s_cbranch_execz .LBB337_481
; %bb.478:                              ;   in Loop: Header=BB337_298 Depth=1
	v_and_b32_sdwa v9, v19, v33 dst_sel:DWORD dst_unused:UNUSED_PAD src0_sel:BYTE_3 src1_sel:DWORD
	v_lshrrev_b32_e32 v18, 3, v21
	s_mov_b32 s25, exec_lo
	v_cmpx_gt_u32_e32 8, v21
; %bb.479:                              ;   in Loop: Header=BB337_298 Depth=1
	v_ffbh_u32_e32 v18, v9
	v_min_u32_e32 v18, 32, v18
	v_subrev_nc_u32_e32 v21, 28, v18
	v_sub_nc_u32_e32 v18, 29, v18
	v_lshlrev_b64 v[66:67], v21, v[9:10]
	v_and_b32_e32 v9, 7, v66
; %bb.480:                              ;   in Loop: Header=BB337_298 Depth=1
	s_or_b32 exec_lo, exec_lo, s25
	v_lshlrev_b32_sdwa v19, v34, v19 dst_sel:DWORD dst_unused:UNUSED_PAD src0_sel:DWORD src1_sel:BYTE_3
	v_lshlrev_b32_e32 v9, 20, v9
	v_lshl_add_u32 v18, v18, 23, 0x3c000000
	v_and_b32_e32 v19, 0x80000000, v19
	v_or3_b32 v64, v9, v19, v18
.LBB337_481:                            ;   in Loop: Header=BB337_298 Depth=1
	s_or_b32 exec_lo, exec_lo, s24
.LBB337_482:                            ;   in Loop: Header=BB337_298 Depth=1
	s_or_b32 exec_lo, exec_lo, s22
.LBB337_483:                            ;   in Loop: Header=BB337_298 Depth=1
	s_or_b32 exec_lo, exec_lo, s21
	v_mul_f32_e32 v9, s18, v20
	v_mul_f32_e32 v18, s18, v63
	;; [unrolled: 1-line block ×5, first 2 shown]
	v_bfe_u32 v20, v9, 16, 1
	v_or_b32_e32 v21, 0x400000, v9
	v_bfe_u32 v61, v18, 16, 1
	v_cmp_u_f32_e64 s1, v9, v9
	v_or_b32_e32 v63, 0x400000, v18
	v_add3_u32 v20, v20, v9, 0x7fff
	v_bfe_u32 v66, v19, 16, 1
	v_add3_u32 v61, v61, v18, 0x7fff
	v_or_b32_e32 v67, 0x400000, v19
	v_bfe_u32 v68, v62, 16, 1
	v_cndmask_b32_e64 v9, v20, v21, s1
	v_cmp_u_f32_e64 s1, v18, v18
	v_add3_u32 v66, v66, v19, 0x7fff
	v_lshrrev_b32_e32 v20, 16, v9
	v_cndmask_b32_e64 v18, v61, v63, s1
	v_cmp_u_f32_e64 s1, v19, v19
	v_mul_f32_e32 v9, s18, v60
	v_add3_u32 v60, v68, v62, 0x7fff
	v_or_b32_e32 v63, 0x400000, v62
	v_lshrrev_b32_e32 v21, 16, v18
	v_cndmask_b32_e64 v19, v66, v67, s1
	v_bfe_u32 v18, v9, 16, 1
	v_cmp_u_f32_e64 s1, v62, v62
	v_or_b32_e32 v62, 0x400000, v9
	v_lshrrev_b32_e32 v61, 16, v19
	v_add3_u32 v18, v18, v9, 0x7fff
	v_cndmask_b32_e64 v19, v60, v63, s1
	v_mul_f32_e32 v60, s18, v65
	v_mul_f32_e32 v63, s18, v64
	v_bfe_u32 v64, v59, 16, 1
	v_cmp_u_f32_e64 s1, v9, v9
	v_bfe_u32 v65, v60, 16, 1
	v_or_b32_e32 v66, 0x400000, v60
	v_or_b32_e32 v67, 0x400000, v63
	v_cndmask_b32_e64 v9, v18, v62, s1
	v_add3_u32 v62, v64, v59, 0x7fff
	v_or_b32_e32 v64, 0x400000, v59
	v_cmp_u_f32_e64 s1, v59, v59
	v_bfe_u32 v18, v63, 16, 1
	v_add3_u32 v65, v65, v60, 0x7fff
	v_cndmask_b32_e64 v59, v62, v64, s1
	v_cmp_u_f32_e64 s1, v60, v60
	v_add3_u32 v18, v18, v63, 0x7fff
	v_lshrrev_b32_e32 v62, 16, v19
	v_lshrrev_b32_e32 v64, 16, v9
	v_cndmask_b32_e64 v60, v65, v66, s1
	v_cmp_u_f32_e64 s1, v63, v63
	v_lshrrev_b32_e32 v63, 16, v59
	v_lshrrev_b32_e32 v59, 16, v60
	v_cndmask_b32_e64 v18, v18, v67, s1
	v_lshrrev_b32_e32 v60, 16, v18
	s_and_saveexec_b32 s21, vcc_lo
	s_cbranch_execz .LBB337_485
; %bb.484:                              ;   in Loop: Header=BB337_298 Depth=1
	v_cmp_gt_i32_e64 s1, s31, v28
	v_cndmask_b32_e64 v63, 0, v63, s1
	v_cmp_gt_i32_e64 s1, s31, v50
	v_cndmask_b32_e64 v64, 0, v64, s1
	;; [unrolled: 2-line block ×8, first 2 shown]
.LBB337_485:                            ;   in Loop: Header=BB337_298 Depth=1
	s_or_b32 exec_lo, exec_lo, s21
	global_load_dwordx2 v[15:16], v[15:16], off offset:768
	v_mov_b32_e32 v66, 0
	v_mov_b32_e32 v65, 0
	s_waitcnt vmcnt(0)
	v_cmp_ne_u16_sdwa s1, v15, v10 src0_sel:BYTE_0 src1_sel:DWORD
	s_and_saveexec_b32 s21, s1
	s_cbranch_execz .LBB337_491
; %bb.486:                              ;   in Loop: Header=BB337_298 Depth=1
	v_cmp_ne_u16_sdwa s1, v15, v30 src0_sel:BYTE_0 src1_sel:DWORD
	v_bfrev_b32_e32 v65, 1
	s_and_saveexec_b32 s22, s1
	s_cbranch_execz .LBB337_490
; %bb.487:                              ;   in Loop: Header=BB337_298 Depth=1
	v_and_b32_e32 v9, 0x7f, v15
	v_mov_b32_e32 v65, 0x7f800001
	s_mov_b32 s24, exec_lo
	v_cmpx_ne_u32_e32 0x7f, v9
	s_cbranch_execz .LBB337_489
; %bb.488:                              ;   in Loop: Header=BB337_298 Depth=1
	v_and_b32_e32 v18, 7, v15
	v_lshrrev_b32_e32 v19, 3, v9
	v_cmp_gt_u32_e64 s1, 8, v9
	v_ffbh_u32_e32 v18, v18
	v_min_u32_e32 v18, 32, v18
	v_subrev_nc_u32_e32 v65, 28, v18
	v_sub_nc_u32_e32 v18, 29, v18
	v_cndmask_b32_e64 v9, v19, v18, s1
	v_cndmask_b32_e64 v18, 0, v65, s1
	v_lshl_add_u32 v9, v9, 23, 0x3c000000
	v_lshlrev_b64 v[18:19], v18, v[15:16]
	v_lshlrev_b32_e32 v19, 24, v15
	v_lshlrev_b32_e32 v18, 20, v18
	v_and_b32_e32 v19, 0x80000000, v19
	v_and_b32_e32 v18, 0x700000, v18
	v_or3_b32 v65, v18, v19, v9
.LBB337_489:                            ;   in Loop: Header=BB337_298 Depth=1
	s_or_b32 exec_lo, exec_lo, s24
.LBB337_490:                            ;   in Loop: Header=BB337_298 Depth=1
	s_or_b32 exec_lo, exec_lo, s22
.LBB337_491:                            ;   in Loop: Header=BB337_298 Depth=1
	s_or_b32 exec_lo, exec_lo, s21
	v_cmp_ne_u16_sdwa s1, v15, v10 src0_sel:BYTE_1 src1_sel:DWORD
	s_and_saveexec_b32 s21, s1
	s_cbranch_execz .LBB337_499
; %bb.492:                              ;   in Loop: Header=BB337_298 Depth=1
	v_cmp_ne_u16_sdwa s1, v15, v30 src0_sel:BYTE_1 src1_sel:DWORD
	v_bfrev_b32_e32 v66, 1
	s_and_saveexec_b32 s22, s1
	s_cbranch_execz .LBB337_498
; %bb.493:                              ;   in Loop: Header=BB337_298 Depth=1
	v_and_b32_sdwa v9, v31, v15 dst_sel:DWORD dst_unused:UNUSED_PAD src0_sel:DWORD src1_sel:BYTE_1
	v_mov_b32_e32 v66, 0x7f800001
	s_mov_b32 s24, exec_lo
	v_and_b32_e32 v19, 0x7f, v9
	v_cmpx_ne_u32_e32 0x7f, v19
	s_cbranch_execz .LBB337_497
; %bb.494:                              ;   in Loop: Header=BB337_298 Depth=1
	v_and_b32_e32 v9, 7, v9
	v_lshrrev_b32_e32 v18, 3, v19
	s_mov_b32 s25, exec_lo
	v_cmpx_gt_u32_e32 8, v19
; %bb.495:                              ;   in Loop: Header=BB337_298 Depth=1
	v_ffbh_u32_e32 v18, v9
	v_min_u32_e32 v18, 32, v18
	v_subrev_nc_u32_e32 v19, 28, v18
	v_sub_nc_u32_e32 v18, 29, v18
	v_lshlrev_b64 v[66:67], v19, v[9:10]
	v_and_b32_e32 v9, 7, v66
; %bb.496:                              ;   in Loop: Header=BB337_298 Depth=1
	s_or_b32 exec_lo, exec_lo, s25
	v_lshlrev_b32_e32 v19, 16, v15
	v_lshlrev_b32_e32 v9, 20, v9
	v_lshl_add_u32 v18, v18, 23, 0x3c000000
	v_and_b32_e32 v19, 0x80000000, v19
	v_or3_b32 v66, v9, v19, v18
.LBB337_497:                            ;   in Loop: Header=BB337_298 Depth=1
	s_or_b32 exec_lo, exec_lo, s24
.LBB337_498:                            ;   in Loop: Header=BB337_298 Depth=1
	s_or_b32 exec_lo, exec_lo, s22
.LBB337_499:                            ;   in Loop: Header=BB337_298 Depth=1
	s_or_b32 exec_lo, exec_lo, s21
	v_and_b32_sdwa v9, v15, v32 dst_sel:DWORD dst_unused:UNUSED_PAD src0_sel:WORD_1 src1_sel:DWORD
	v_mov_b32_e32 v68, 0
	v_mov_b32_e32 v67, 0
	s_mov_b32 s21, exec_lo
	v_cmpx_ne_u16_e32 0, v9
	s_cbranch_execz .LBB337_507
; %bb.500:                              ;   in Loop: Header=BB337_298 Depth=1
	v_bfrev_b32_e32 v67, 1
	s_mov_b32 s22, exec_lo
	v_cmpx_ne_u16_e32 0x80, v9
	s_cbranch_execz .LBB337_506
; %bb.501:                              ;   in Loop: Header=BB337_298 Depth=1
	v_bfe_u32 v19, v15, 16, 7
	v_mov_b32_e32 v67, 0x7f800001
	s_mov_b32 s24, exec_lo
	v_cmpx_ne_u32_e32 0x7f, v19
	s_cbranch_execz .LBB337_505
; %bb.502:                              ;   in Loop: Header=BB337_298 Depth=1
	v_and_b32_sdwa v9, v15, v33 dst_sel:DWORD dst_unused:UNUSED_PAD src0_sel:WORD_1 src1_sel:DWORD
	v_lshrrev_b32_e32 v18, 3, v19
	s_mov_b32 s25, exec_lo
	v_cmpx_gt_u32_e32 8, v19
; %bb.503:                              ;   in Loop: Header=BB337_298 Depth=1
	v_ffbh_u32_e32 v18, v9
	v_min_u32_e32 v18, 32, v18
	v_subrev_nc_u32_e32 v19, 28, v18
	v_sub_nc_u32_e32 v18, 29, v18
	v_lshlrev_b64 v[69:70], v19, v[9:10]
	v_and_b32_e32 v9, 7, v69
; %bb.504:                              ;   in Loop: Header=BB337_298 Depth=1
	s_or_b32 exec_lo, exec_lo, s25
	v_lshlrev_b32_sdwa v19, v34, v15 dst_sel:DWORD dst_unused:UNUSED_PAD src0_sel:DWORD src1_sel:WORD_1
	v_lshlrev_b32_e32 v9, 20, v9
	v_lshl_add_u32 v18, v18, 23, 0x3c000000
	v_and_b32_e32 v19, 0x80000000, v19
	v_or3_b32 v67, v9, v19, v18
.LBB337_505:                            ;   in Loop: Header=BB337_298 Depth=1
	s_or_b32 exec_lo, exec_lo, s24
.LBB337_506:                            ;   in Loop: Header=BB337_298 Depth=1
	s_or_b32 exec_lo, exec_lo, s22
.LBB337_507:                            ;   in Loop: Header=BB337_298 Depth=1
	s_or_b32 exec_lo, exec_lo, s21
	s_mov_b32 s21, exec_lo
	v_cmpx_lt_u32_e32 0xffffff, v15
	s_cbranch_execz .LBB337_515
; %bb.508:                              ;   in Loop: Header=BB337_298 Depth=1
	v_cmp_ne_u32_sdwa s1, v15, v30 src0_sel:BYTE_3 src1_sel:DWORD
	v_bfrev_b32_e32 v68, 1
	s_and_saveexec_b32 s22, s1
	s_cbranch_execz .LBB337_514
; %bb.509:                              ;   in Loop: Header=BB337_298 Depth=1
	v_bfe_u32 v19, v15, 24, 7
	v_mov_b32_e32 v68, 0x7f800001
	s_mov_b32 s24, exec_lo
	v_cmpx_ne_u32_e32 0x7f, v19
	s_cbranch_execz .LBB337_513
; %bb.510:                              ;   in Loop: Header=BB337_298 Depth=1
	v_and_b32_sdwa v9, v15, v33 dst_sel:DWORD dst_unused:UNUSED_PAD src0_sel:BYTE_3 src1_sel:DWORD
	v_lshrrev_b32_e32 v18, 3, v19
	s_mov_b32 s25, exec_lo
	v_cmpx_gt_u32_e32 8, v19
; %bb.511:                              ;   in Loop: Header=BB337_298 Depth=1
	v_ffbh_u32_e32 v18, v9
	v_min_u32_e32 v18, 32, v18
	v_subrev_nc_u32_e32 v19, 28, v18
	v_sub_nc_u32_e32 v18, 29, v18
	v_lshlrev_b64 v[68:69], v19, v[9:10]
	v_and_b32_e32 v9, 7, v68
; %bb.512:                              ;   in Loop: Header=BB337_298 Depth=1
	s_or_b32 exec_lo, exec_lo, s25
	v_lshlrev_b32_sdwa v19, v34, v15 dst_sel:DWORD dst_unused:UNUSED_PAD src0_sel:DWORD src1_sel:BYTE_3
	v_lshlrev_b32_e32 v9, 20, v9
	v_lshl_add_u32 v18, v18, 23, 0x3c000000
	v_and_b32_e32 v19, 0x80000000, v19
	v_or3_b32 v68, v9, v19, v18
.LBB337_513:                            ;   in Loop: Header=BB337_298 Depth=1
	s_or_b32 exec_lo, exec_lo, s24
.LBB337_514:                            ;   in Loop: Header=BB337_298 Depth=1
	s_or_b32 exec_lo, exec_lo, s22
.LBB337_515:                            ;   in Loop: Header=BB337_298 Depth=1
	s_or_b32 exec_lo, exec_lo, s21
	v_mov_b32_e32 v9, v16
	v_cmp_ne_u16_sdwa s1, v16, v10 src0_sel:BYTE_0 src1_sel:DWORD
	v_mov_b32_e32 v18, 0
	v_mov_b32_e32 v69, 0
	s_and_saveexec_b32 s21, s1
	s_cbranch_execz .LBB337_521
; %bb.516:                              ;   in Loop: Header=BB337_298 Depth=1
	v_cmp_ne_u16_sdwa s1, v16, v30 src0_sel:BYTE_0 src1_sel:DWORD
	v_bfrev_b32_e32 v69, 1
	s_and_saveexec_b32 s22, s1
	s_cbranch_execz .LBB337_520
; %bb.517:                              ;   in Loop: Header=BB337_298 Depth=1
	v_and_b32_e32 v19, 0x7f, v16
	v_mov_b32_e32 v69, 0x7f800001
	s_mov_b32 s24, exec_lo
	v_cmpx_ne_u32_e32 0x7f, v19
	s_cbranch_execz .LBB337_519
; %bb.518:                              ;   in Loop: Header=BB337_298 Depth=1
	v_and_b32_e32 v69, 7, v16
	v_lshrrev_b32_e32 v70, 3, v19
	v_cmp_gt_u32_e64 s1, 8, v19
	v_ffbh_u32_e32 v69, v69
	v_min_u32_e32 v69, 32, v69
	v_subrev_nc_u32_e32 v71, 28, v69
	v_sub_nc_u32_e32 v69, 29, v69
	v_cndmask_b32_e64 v19, v70, v69, s1
	v_cndmask_b32_e64 v69, 0, v71, s1
	v_lshl_add_u32 v19, v19, 23, 0x3c000000
	v_lshlrev_b64 v[69:70], v69, v[9:10]
	v_lshlrev_b32_e32 v70, 24, v9
	v_lshlrev_b32_e32 v69, 20, v69
	v_and_b32_e32 v70, 0x80000000, v70
	v_and_b32_e32 v69, 0x700000, v69
	v_or3_b32 v69, v69, v70, v19
.LBB337_519:                            ;   in Loop: Header=BB337_298 Depth=1
	s_or_b32 exec_lo, exec_lo, s24
.LBB337_520:                            ;   in Loop: Header=BB337_298 Depth=1
	s_or_b32 exec_lo, exec_lo, s22
.LBB337_521:                            ;   in Loop: Header=BB337_298 Depth=1
	s_or_b32 exec_lo, exec_lo, s21
	v_cmp_ne_u16_sdwa s1, v9, v10 src0_sel:BYTE_1 src1_sel:DWORD
	s_and_saveexec_b32 s21, s1
	s_cbranch_execz .LBB337_529
; %bb.522:                              ;   in Loop: Header=BB337_298 Depth=1
	v_cmp_ne_u16_sdwa s1, v9, v30 src0_sel:BYTE_1 src1_sel:DWORD
	v_bfrev_b32_e32 v18, 1
	s_and_saveexec_b32 s22, s1
	s_cbranch_execz .LBB337_528
; %bb.523:                              ;   in Loop: Header=BB337_298 Depth=1
	v_and_b32_sdwa v19, v31, v9 dst_sel:DWORD dst_unused:UNUSED_PAD src0_sel:DWORD src1_sel:BYTE_1
	v_mov_b32_e32 v18, 0x7f800001
	s_mov_b32 s24, exec_lo
	v_and_b32_e32 v71, 0x7f, v19
	v_cmpx_ne_u32_e32 0x7f, v71
	s_cbranch_execz .LBB337_527
; %bb.524:                              ;   in Loop: Header=BB337_298 Depth=1
	v_and_b32_e32 v18, 7, v19
	v_mov_b32_e32 v19, v10
	v_lshrrev_b32_e32 v70, 3, v71
	s_mov_b32 s25, exec_lo
	v_cmpx_gt_u32_e32 8, v71
; %bb.525:                              ;   in Loop: Header=BB337_298 Depth=1
	v_ffbh_u32_e32 v70, v18
	v_min_u32_e32 v70, 32, v70
	v_subrev_nc_u32_e32 v71, 28, v70
	v_sub_nc_u32_e32 v70, 29, v70
	v_lshlrev_b64 v[18:19], v71, v[18:19]
	v_and_b32_e32 v18, 7, v18
; %bb.526:                              ;   in Loop: Header=BB337_298 Depth=1
	s_or_b32 exec_lo, exec_lo, s25
	v_lshlrev_b32_e32 v9, 16, v9
	v_lshlrev_b32_e32 v18, 20, v18
	v_lshl_add_u32 v19, v70, 23, 0x3c000000
	v_and_b32_e32 v9, 0x80000000, v9
	v_or3_b32 v18, v18, v9, v19
.LBB337_527:                            ;   in Loop: Header=BB337_298 Depth=1
	s_or_b32 exec_lo, exec_lo, s24
.LBB337_528:                            ;   in Loop: Header=BB337_298 Depth=1
	s_or_b32 exec_lo, exec_lo, s22
.LBB337_529:                            ;   in Loop: Header=BB337_298 Depth=1
	s_or_b32 exec_lo, exec_lo, s21
	v_and_b32_sdwa v9, v16, v32 dst_sel:DWORD dst_unused:UNUSED_PAD src0_sel:WORD_1 src1_sel:DWORD
	v_mov_b32_e32 v19, 0
	v_mov_b32_e32 v70, 0
	s_mov_b32 s21, exec_lo
	v_cmpx_ne_u16_e32 0, v9
	s_cbranch_execz .LBB337_537
; %bb.530:                              ;   in Loop: Header=BB337_298 Depth=1
	v_bfrev_b32_e32 v70, 1
	s_mov_b32 s22, exec_lo
	v_cmpx_ne_u16_e32 0x80, v9
	s_cbranch_execz .LBB337_536
; %bb.531:                              ;   in Loop: Header=BB337_298 Depth=1
	v_bfe_u32 v71, v16, 16, 7
	v_mov_b32_e32 v70, 0x7f800001
	s_mov_b32 s24, exec_lo
	v_cmpx_ne_u32_e32 0x7f, v71
	s_cbranch_execz .LBB337_535
; %bb.532:                              ;   in Loop: Header=BB337_298 Depth=1
	v_and_b32_sdwa v9, v16, v33 dst_sel:DWORD dst_unused:UNUSED_PAD src0_sel:WORD_1 src1_sel:DWORD
	v_lshrrev_b32_e32 v70, 3, v71
	s_mov_b32 s25, exec_lo
	v_cmpx_gt_u32_e32 8, v71
; %bb.533:                              ;   in Loop: Header=BB337_298 Depth=1
	v_ffbh_u32_e32 v70, v9
	v_min_u32_e32 v70, 32, v70
	v_subrev_nc_u32_e32 v71, 28, v70
	v_sub_nc_u32_e32 v70, 29, v70
	v_lshlrev_b64 v[71:72], v71, v[9:10]
	v_and_b32_e32 v9, 7, v71
; %bb.534:                              ;   in Loop: Header=BB337_298 Depth=1
	s_or_b32 exec_lo, exec_lo, s25
	v_lshlrev_b32_sdwa v71, v34, v16 dst_sel:DWORD dst_unused:UNUSED_PAD src0_sel:DWORD src1_sel:WORD_1
	v_lshlrev_b32_e32 v9, 20, v9
	v_lshl_add_u32 v70, v70, 23, 0x3c000000
	v_and_b32_e32 v71, 0x80000000, v71
	v_or3_b32 v70, v9, v71, v70
.LBB337_535:                            ;   in Loop: Header=BB337_298 Depth=1
	s_or_b32 exec_lo, exec_lo, s24
.LBB337_536:                            ;   in Loop: Header=BB337_298 Depth=1
	s_or_b32 exec_lo, exec_lo, s22
.LBB337_537:                            ;   in Loop: Header=BB337_298 Depth=1
	s_or_b32 exec_lo, exec_lo, s21
	s_mov_b32 s21, exec_lo
	v_cmpx_lt_u64_e64 s[4:5], v[15:16]
	s_cbranch_execz .LBB337_545
; %bb.538:                              ;   in Loop: Header=BB337_298 Depth=1
	v_cmp_ne_u32_sdwa s1, v16, v30 src0_sel:BYTE_3 src1_sel:DWORD
	v_bfrev_b32_e32 v19, 1
	s_and_saveexec_b32 s22, s1
	s_cbranch_execz .LBB337_544
; %bb.539:                              ;   in Loop: Header=BB337_298 Depth=1
	v_bfe_u32 v71, v16, 24, 7
	v_mov_b32_e32 v19, 0x7f800001
	s_mov_b32 s24, exec_lo
	v_cmpx_ne_u32_e32 0x7f, v71
	s_cbranch_execz .LBB337_543
; %bb.540:                              ;   in Loop: Header=BB337_298 Depth=1
	v_and_b32_sdwa v9, v16, v33 dst_sel:DWORD dst_unused:UNUSED_PAD src0_sel:BYTE_3 src1_sel:DWORD
	v_lshrrev_b32_e32 v15, 3, v71
	s_mov_b32 s25, exec_lo
	v_cmpx_gt_u32_e32 8, v71
; %bb.541:                              ;   in Loop: Header=BB337_298 Depth=1
	v_ffbh_u32_e32 v15, v9
	v_min_u32_e32 v15, 32, v15
	v_subrev_nc_u32_e32 v19, 28, v15
	v_sub_nc_u32_e32 v15, 29, v15
	v_lshlrev_b64 v[71:72], v19, v[9:10]
	v_and_b32_e32 v9, 7, v71
; %bb.542:                              ;   in Loop: Header=BB337_298 Depth=1
	s_or_b32 exec_lo, exec_lo, s25
	v_lshlrev_b32_sdwa v16, v34, v16 dst_sel:DWORD dst_unused:UNUSED_PAD src0_sel:DWORD src1_sel:BYTE_3
	v_lshlrev_b32_e32 v9, 20, v9
	v_lshl_add_u32 v15, v15, 23, 0x3c000000
	v_and_b32_e32 v16, 0x80000000, v16
	v_or3_b32 v19, v9, v16, v15
.LBB337_543:                            ;   in Loop: Header=BB337_298 Depth=1
	s_or_b32 exec_lo, exec_lo, s24
.LBB337_544:                            ;   in Loop: Header=BB337_298 Depth=1
	s_or_b32 exec_lo, exec_lo, s22
.LBB337_545:                            ;   in Loop: Header=BB337_298 Depth=1
	s_or_b32 exec_lo, exec_lo, s21
	v_mul_f32_e32 v9, s18, v18
	v_mul_f32_e32 v15, s18, v69
	;; [unrolled: 1-line block ×5, first 2 shown]
	v_bfe_u32 v18, v9, 16, 1
	v_or_b32_e32 v68, 0x400000, v9
	v_bfe_u32 v69, v15, 16, 1
	v_cmp_u_f32_e64 s1, v9, v9
	v_or_b32_e32 v71, 0x400000, v15
	v_add3_u32 v18, v18, v9, 0x7fff
	v_bfe_u32 v72, v16, 16, 1
	v_add3_u32 v69, v69, v15, 0x7fff
	v_or_b32_e32 v73, 0x400000, v16
	v_bfe_u32 v74, v67, 16, 1
	v_cndmask_b32_e64 v9, v18, v68, s1
	v_cmp_u_f32_e64 s1, v15, v15
	v_add3_u32 v72, v72, v16, 0x7fff
	v_mul_f32_e32 v65, s18, v65
	v_add3_u32 v68, v74, v67, 0x7fff
	v_lshrrev_b32_e32 v15, 16, v9
	v_cndmask_b32_e64 v18, v69, v71, s1
	v_cmp_u_f32_e64 s1, v16, v16
	v_or_b32_e32 v69, 0x400000, v67
	v_mul_f32_e32 v19, s18, v19
	v_lshrrev_b32_e32 v9, 16, v18
	v_cndmask_b32_e64 v16, v72, v73, s1
	v_cmp_u_f32_e64 s1, v67, v67
	v_or_b32_e32 v73, 0x400000, v19
	v_lshrrev_b32_e32 v18, 16, v16
	v_bfe_u32 v16, v66, 16, 1
	v_cndmask_b32_e64 v67, v68, v69, s1
	v_mul_f32_e32 v68, s18, v70
	v_or_b32_e32 v69, 0x400000, v66
	v_bfe_u32 v70, v65, 16, 1
	v_add3_u32 v16, v16, v66, 0x7fff
	v_cmp_u_f32_e64 s1, v66, v66
	v_bfe_u32 v71, v68, 16, 1
	v_bfe_u32 v66, v19, 16, 1
	v_or_b32_e32 v72, 0x400000, v68
	v_cndmask_b32_e64 v16, v16, v69, s1
	v_add3_u32 v69, v70, v65, 0x7fff
	v_or_b32_e32 v70, 0x400000, v65
	v_cmp_u_f32_e64 s1, v65, v65
	v_add3_u32 v71, v71, v68, 0x7fff
	v_add3_u32 v66, v66, v19, 0x7fff
	v_lshrrev_b32_e32 v65, 16, v67
	v_lshrrev_b32_e32 v67, 16, v16
	v_cndmask_b32_e64 v69, v69, v70, s1
	v_cmp_u_f32_e64 s1, v68, v68
	v_cndmask_b32_e64 v68, v71, v72, s1
	v_cmp_u_f32_e64 s1, v19, v19
	v_lshrrev_b32_e32 v16, 16, v68
	v_cndmask_b32_e64 v19, v66, v73, s1
	v_lshrrev_b32_e32 v66, 16, v69
	v_lshrrev_b32_e32 v19, 16, v19
	s_and_saveexec_b32 s1, vcc_lo
	s_cbranch_execz .LBB337_296
; %bb.546:                              ;   in Loop: Header=BB337_298 Depth=1
	v_cmp_gt_i32_e32 vcc_lo, s31, v28
	v_cndmask_b32_e32 v66, 0, v66, vcc_lo
	v_cmp_gt_i32_e32 vcc_lo, s31, v50
	v_cndmask_b32_e32 v67, 0, v67, vcc_lo
	;; [unrolled: 2-line block ×8, first 2 shown]
	s_branch .LBB337_296
.LBB337_547:
	s_or_b32 exec_lo, exec_lo, s13
.LBB337_548:
	s_or_b32 exec_lo, exec_lo, s3
	v_lshl_add_u32 v2, v22, 2, 0x120
	v_and_b32_e32 v3, 0x3c0, v0
	s_mov_b32 s1, exec_lo
	s_waitcnt_vscnt null, 0x0
	s_barrier
	v_lshl_add_u32 v1, v27, 9, v2
	buffer_gl0_inv
	v_cmpx_eq_u32_e32 64, v3
	s_cbranch_execz .LBB337_550
; %bb.549:
	v_add_nc_u32_e32 v3, 0xfffffc00, v1
	v_add_nc_u32_e32 v4, 0xfffffc80, v1
	;; [unrolled: 1-line block ×4, first 2 shown]
	ds_write_b32 v3, v26
	ds_write_b32 v4, v25
	;; [unrolled: 1-line block ×4, first 2 shown]
.LBB337_550:
	s_or_b32 exec_lo, exec_lo, s1
	s_waitcnt lgkmcnt(0)
	s_barrier
	buffer_gl0_inv
	s_and_saveexec_b32 s1, s0
	s_cbranch_execz .LBB337_552
; %bb.551:
	ds_read2_b32 v[3:4], v1 offset1:32
	ds_read2_b32 v[5:6], v1 offset0:64 offset1:96
	s_waitcnt lgkmcnt(1)
	v_add_f32_e32 v26, v26, v3
	v_add_f32_e32 v25, v25, v4
	s_waitcnt lgkmcnt(0)
	v_add_f32_e32 v24, v24, v5
	v_add_f32_e32 v23, v23, v6
.LBB337_552:
	s_or_b32 exec_lo, exec_lo, s1
	v_and_b32_e32 v3, 0x3e0, v0
	s_mov_b32 s0, exec_lo
	s_barrier
	buffer_gl0_inv
	v_cmpx_eq_u32_e32 32, v3
	s_cbranch_execz .LBB337_554
; %bb.553:
	ds_write2_b32 v2, v26, v25 offset1:32
	ds_write2_b32 v2, v24, v23 offset0:64 offset1:96
.LBB337_554:
	s_or_b32 exec_lo, exec_lo, s0
	v_cmp_gt_u32_e32 vcc_lo, 32, v0
	s_waitcnt lgkmcnt(0)
	s_barrier
	buffer_gl0_inv
	s_and_saveexec_b32 s0, vcc_lo
	s_cbranch_execz .LBB337_556
; %bb.555:
	ds_read2_b32 v[2:3], v1 offset1:32
	ds_read2_b32 v[4:5], v1 offset0:64 offset1:96
	s_waitcnt lgkmcnt(1)
	v_add_f32_e32 v26, v26, v2
	v_add_f32_e32 v25, v25, v3
	s_waitcnt lgkmcnt(0)
	v_add_f32_e32 v24, v24, v4
	v_add_f32_e32 v23, v23, v5
.LBB337_556:
	s_or_b32 exec_lo, exec_lo, s0
	s_barrier
	buffer_gl0_inv
	s_and_saveexec_b32 s0, vcc_lo
	s_cbranch_execz .LBB337_558
; %bb.557:
	v_bfe_u32 v1, v26, 16, 1
	v_or_b32_e32 v2, 0x400000, v26
	v_bfe_u32 v3, v25, 16, 1
	v_cmp_u_f32_e32 vcc_lo, v26, v26
	s_lshl_b32 s0, s2, 7
	v_add3_u32 v1, v1, v26, 0x7fff
	s_ashr_i32 s1, s0, 31
	v_bfe_u32 v4, v24, 16, 1
	s_lshl_b64 s[0:1], s[0:1], 1
	v_add3_u32 v3, v3, v25, 0x7fff
	v_cndmask_b32_e32 v1, v1, v2, vcc_lo
	v_or_b32_e32 v5, 0x400000, v25
	v_cmp_u_f32_e32 vcc_lo, v25, v25
	s_mul_i32 s2, s7, s10
	s_add_u32 s4, s28, s0
	s_addc_u32 s5, s29, s1
	s_ashr_i32 s3, s2, 31
	v_bfe_u32 v2, v23, 16, 1
	s_lshl_b64 s[0:1], s[2:3], 1
	v_add3_u32 v4, v4, v24, 0x7fff
	v_or_b32_e32 v6, 0x400000, v24
	v_cndmask_b32_e32 v3, v3, v5, vcc_lo
	v_cmp_u_f32_e32 vcc_lo, v24, v24
	s_add_u32 s2, s4, s0
	s_addc_u32 s3, s5, s1
	s_lshl_b32 s0, s8, 7
	v_add3_u32 v2, v2, v23, 0x7fff
	s_ashr_i32 s1, s0, 31
	v_or_b32_e32 v7, 0x400000, v23
	v_cndmask_b32_e32 v4, v4, v6, vcc_lo
	v_cmp_u_f32_e32 vcc_lo, v23, v23
	v_lshlrev_b32_e32 v0, 1, v0
	s_lshl_b64 s[0:1], s[0:1], 1
	s_add_u32 s0, s2, s0
	s_addc_u32 s1, s3, s1
	v_cndmask_b32_e32 v2, v2, v7, vcc_lo
	global_store_short_d16_hi v0, v1, s[0:1]
	global_store_short_d16_hi v0, v3, s[0:1] offset:64
	global_store_short_d16_hi v0, v4, s[0:1] offset:128
	global_store_short_d16_hi v0, v2, s[0:1] offset:192
.LBB337_558:
	s_endpgm
	.section	.rodata,"a",@progbits
	.p2align	6, 0x0
	.amdhsa_kernel _ZN4vllm25paged_attention_v2_kernelI14__hip_bfloat16hLi128ELi8ELi128ELNS_18Fp8KVCacheDataTypeE1ELb1ELi512EEEvPfS3_PT_PKS4_PKT0_SA_ifPKiSC_iPKfiiiSE_SE_iiiii
		.amdhsa_group_segment_fixed_size 288
		.amdhsa_private_segment_fixed_size 0
		.amdhsa_kernarg_size 400
		.amdhsa_user_sgpr_count 6
		.amdhsa_user_sgpr_private_segment_buffer 1
		.amdhsa_user_sgpr_dispatch_ptr 0
		.amdhsa_user_sgpr_queue_ptr 0
		.amdhsa_user_sgpr_kernarg_segment_ptr 1
		.amdhsa_user_sgpr_dispatch_id 0
		.amdhsa_user_sgpr_flat_scratch_init 0
		.amdhsa_user_sgpr_private_segment_size 0
		.amdhsa_wavefront_size32 1
		.amdhsa_uses_dynamic_stack 0
		.amdhsa_system_sgpr_private_segment_wavefront_offset 0
		.amdhsa_system_sgpr_workgroup_id_x 1
		.amdhsa_system_sgpr_workgroup_id_y 1
		.amdhsa_system_sgpr_workgroup_id_z 1
		.amdhsa_system_sgpr_workgroup_info 0
		.amdhsa_system_vgpr_workitem_id 0
		.amdhsa_next_free_vgpr 90
		.amdhsa_next_free_sgpr 54
		.amdhsa_reserve_vcc 1
		.amdhsa_reserve_flat_scratch 0
		.amdhsa_float_round_mode_32 0
		.amdhsa_float_round_mode_16_64 0
		.amdhsa_float_denorm_mode_32 3
		.amdhsa_float_denorm_mode_16_64 3
		.amdhsa_dx10_clamp 1
		.amdhsa_ieee_mode 1
		.amdhsa_fp16_overflow 0
		.amdhsa_workgroup_processor_mode 1
		.amdhsa_memory_ordered 1
		.amdhsa_forward_progress 1
		.amdhsa_shared_vgpr_count 0
		.amdhsa_exception_fp_ieee_invalid_op 0
		.amdhsa_exception_fp_denorm_src 0
		.amdhsa_exception_fp_ieee_div_zero 0
		.amdhsa_exception_fp_ieee_overflow 0
		.amdhsa_exception_fp_ieee_underflow 0
		.amdhsa_exception_fp_ieee_inexact 0
		.amdhsa_exception_int_div_zero 0
	.end_amdhsa_kernel
	.section	.text._ZN4vllm25paged_attention_v2_kernelI14__hip_bfloat16hLi128ELi8ELi128ELNS_18Fp8KVCacheDataTypeE1ELb1ELi512EEEvPfS3_PT_PKS4_PKT0_SA_ifPKiSC_iPKfiiiSE_SE_iiiii,"axG",@progbits,_ZN4vllm25paged_attention_v2_kernelI14__hip_bfloat16hLi128ELi8ELi128ELNS_18Fp8KVCacheDataTypeE1ELb1ELi512EEEvPfS3_PT_PKS4_PKT0_SA_ifPKiSC_iPKfiiiSE_SE_iiiii,comdat
.Lfunc_end337:
	.size	_ZN4vllm25paged_attention_v2_kernelI14__hip_bfloat16hLi128ELi8ELi128ELNS_18Fp8KVCacheDataTypeE1ELb1ELi512EEEvPfS3_PT_PKS4_PKT0_SA_ifPKiSC_iPKfiiiSE_SE_iiiii, .Lfunc_end337-_ZN4vllm25paged_attention_v2_kernelI14__hip_bfloat16hLi128ELi8ELi128ELNS_18Fp8KVCacheDataTypeE1ELb1ELi512EEEvPfS3_PT_PKS4_PKT0_SA_ifPKiSC_iPKfiiiSE_SE_iiiii
                                        ; -- End function
	.set _ZN4vllm25paged_attention_v2_kernelI14__hip_bfloat16hLi128ELi8ELi128ELNS_18Fp8KVCacheDataTypeE1ELb1ELi512EEEvPfS3_PT_PKS4_PKT0_SA_ifPKiSC_iPKfiiiSE_SE_iiiii.num_vgpr, 90
	.set _ZN4vllm25paged_attention_v2_kernelI14__hip_bfloat16hLi128ELi8ELi128ELNS_18Fp8KVCacheDataTypeE1ELb1ELi512EEEvPfS3_PT_PKS4_PKT0_SA_ifPKiSC_iPKfiiiSE_SE_iiiii.num_agpr, 0
	.set _ZN4vllm25paged_attention_v2_kernelI14__hip_bfloat16hLi128ELi8ELi128ELNS_18Fp8KVCacheDataTypeE1ELb1ELi512EEEvPfS3_PT_PKS4_PKT0_SA_ifPKiSC_iPKfiiiSE_SE_iiiii.numbered_sgpr, 54
	.set _ZN4vllm25paged_attention_v2_kernelI14__hip_bfloat16hLi128ELi8ELi128ELNS_18Fp8KVCacheDataTypeE1ELb1ELi512EEEvPfS3_PT_PKS4_PKT0_SA_ifPKiSC_iPKfiiiSE_SE_iiiii.num_named_barrier, 0
	.set _ZN4vllm25paged_attention_v2_kernelI14__hip_bfloat16hLi128ELi8ELi128ELNS_18Fp8KVCacheDataTypeE1ELb1ELi512EEEvPfS3_PT_PKS4_PKT0_SA_ifPKiSC_iPKfiiiSE_SE_iiiii.private_seg_size, 0
	.set _ZN4vllm25paged_attention_v2_kernelI14__hip_bfloat16hLi128ELi8ELi128ELNS_18Fp8KVCacheDataTypeE1ELb1ELi512EEEvPfS3_PT_PKS4_PKT0_SA_ifPKiSC_iPKfiiiSE_SE_iiiii.uses_vcc, 1
	.set _ZN4vllm25paged_attention_v2_kernelI14__hip_bfloat16hLi128ELi8ELi128ELNS_18Fp8KVCacheDataTypeE1ELb1ELi512EEEvPfS3_PT_PKS4_PKT0_SA_ifPKiSC_iPKfiiiSE_SE_iiiii.uses_flat_scratch, 0
	.set _ZN4vllm25paged_attention_v2_kernelI14__hip_bfloat16hLi128ELi8ELi128ELNS_18Fp8KVCacheDataTypeE1ELb1ELi512EEEvPfS3_PT_PKS4_PKT0_SA_ifPKiSC_iPKfiiiSE_SE_iiiii.has_dyn_sized_stack, 0
	.set _ZN4vllm25paged_attention_v2_kernelI14__hip_bfloat16hLi128ELi8ELi128ELNS_18Fp8KVCacheDataTypeE1ELb1ELi512EEEvPfS3_PT_PKS4_PKT0_SA_ifPKiSC_iPKfiiiSE_SE_iiiii.has_recursion, 0
	.set _ZN4vllm25paged_attention_v2_kernelI14__hip_bfloat16hLi128ELi8ELi128ELNS_18Fp8KVCacheDataTypeE1ELb1ELi512EEEvPfS3_PT_PKS4_PKT0_SA_ifPKiSC_iPKfiiiSE_SE_iiiii.has_indirect_call, 0
	.section	.AMDGPU.csdata,"",@progbits
; Kernel info:
; codeLenInByte = 21756
; TotalNumSgprs: 56
; NumVgprs: 90
; ScratchSize: 0
; MemoryBound: 0
; FloatMode: 240
; IeeeMode: 1
; LDSByteSize: 288 bytes/workgroup (compile time only)
; SGPRBlocks: 0
; VGPRBlocks: 11
; NumSGPRsForWavesPerEU: 56
; NumVGPRsForWavesPerEU: 90
; Occupancy: 10
; WaveLimiterHint : 1
; COMPUTE_PGM_RSRC2:SCRATCH_EN: 0
; COMPUTE_PGM_RSRC2:USER_SGPR: 6
; COMPUTE_PGM_RSRC2:TRAP_HANDLER: 0
; COMPUTE_PGM_RSRC2:TGID_X_EN: 1
; COMPUTE_PGM_RSRC2:TGID_Y_EN: 1
; COMPUTE_PGM_RSRC2:TGID_Z_EN: 1
; COMPUTE_PGM_RSRC2:TIDIG_COMP_CNT: 0
	.section	.text._ZN4vllm25paged_attention_v2_kernelI14__hip_bfloat16hLi192ELi8ELi128ELNS_18Fp8KVCacheDataTypeE1ELb1ELi512EEEvPfS3_PT_PKS4_PKT0_SA_ifPKiSC_iPKfiiiSE_SE_iiiii,"axG",@progbits,_ZN4vllm25paged_attention_v2_kernelI14__hip_bfloat16hLi192ELi8ELi128ELNS_18Fp8KVCacheDataTypeE1ELb1ELi512EEEvPfS3_PT_PKS4_PKT0_SA_ifPKiSC_iPKfiiiSE_SE_iiiii,comdat
	.protected	_ZN4vllm25paged_attention_v2_kernelI14__hip_bfloat16hLi192ELi8ELi128ELNS_18Fp8KVCacheDataTypeE1ELb1ELi512EEEvPfS3_PT_PKS4_PKT0_SA_ifPKiSC_iPKfiiiSE_SE_iiiii ; -- Begin function _ZN4vllm25paged_attention_v2_kernelI14__hip_bfloat16hLi192ELi8ELi128ELNS_18Fp8KVCacheDataTypeE1ELb1ELi512EEEvPfS3_PT_PKS4_PKT0_SA_ifPKiSC_iPKfiiiSE_SE_iiiii
	.globl	_ZN4vllm25paged_attention_v2_kernelI14__hip_bfloat16hLi192ELi8ELi128ELNS_18Fp8KVCacheDataTypeE1ELb1ELi512EEEvPfS3_PT_PKS4_PKT0_SA_ifPKiSC_iPKfiiiSE_SE_iiiii
	.p2align	8
	.type	_ZN4vllm25paged_attention_v2_kernelI14__hip_bfloat16hLi192ELi8ELi128ELNS_18Fp8KVCacheDataTypeE1ELb1ELi512EEEvPfS3_PT_PKS4_PKT0_SA_ifPKiSC_iPKfiiiSE_SE_iiiii,@function
_ZN4vllm25paged_attention_v2_kernelI14__hip_bfloat16hLi192ELi8ELi128ELNS_18Fp8KVCacheDataTypeE1ELb1ELi512EEEvPfS3_PT_PKS4_PKT0_SA_ifPKiSC_iPKfiiiSE_SE_iiiii: ; @_ZN4vllm25paged_attention_v2_kernelI14__hip_bfloat16hLi192ELi8ELi128ELNS_18Fp8KVCacheDataTypeE1ELb1ELi512EEEvPfS3_PT_PKS4_PKT0_SA_ifPKiSC_iPKfiiiSE_SE_iiiii
; %bb.0:
	s_load_dwordx2 s[0:1], s[4:5], 0x40
	s_mov_b32 s30, s7
	s_ashr_i32 s31, s7, 31
	s_lshl_b64 s[2:3], s[30:31], 2
	s_waitcnt lgkmcnt(0)
	s_add_u32 s0, s0, s2
	s_addc_u32 s1, s1, s3
	s_lshl_b32 s33, s8, 9
	s_load_dword s31, s[0:1], 0x0
	s_waitcnt lgkmcnt(0)
	s_cmp_ge_i32 s33, s31
	s_cbranch_scc1 .LBB338_810
; %bb.1:
	s_clause 0x1
	s_load_dword s9, s[4:5], 0x90
	s_load_dwordx2 s[40:41], s[4:5], 0x30
	s_mov_b32 s43, 0
	s_waitcnt lgkmcnt(0)
	s_abs_i32 s3, s9
	s_abs_i32 s0, s40
	v_cvt_f32_u32_e32 v1, s0
	s_sub_i32 s2, 0, s0
	v_rcp_iflag_f32_e32 v1, v1
	v_mul_f32_e32 v1, 0x4f7ffffe, v1
	v_cvt_u32_f32_e32 v1, v1
	v_readfirstlane_b32 s1, v1
	s_mul_i32 s2, s2, s1
	s_mul_hi_u32 s2, s1, s2
	s_add_i32 s1, s1, s2
	s_xor_b32 s2, s9, s40
	s_mul_hi_u32 s1, s3, s1
	s_ashr_i32 s2, s2, 31
	s_mul_i32 s7, s1, s0
	s_sub_i32 s3, s3, s7
	s_add_i32 s7, s1, 1
	s_sub_i32 s10, s3, s0
	s_cmp_ge_u32 s3, s0
	s_cselect_b32 s1, s7, s1
	s_cselect_b32 s3, s10, s3
	s_add_i32 s7, s1, 1
	s_cmp_ge_u32 s3, s0
	s_cselect_b32 s0, s7, s1
	s_xor_b32 s0, s0, s2
	s_sub_i32 s10, s0, s2
	s_load_dwordx2 s[0:1], s[4:5], 0x50
	s_abs_i32 s2, s10
	v_cvt_f32_u32_e32 v1, s2
	s_sub_i32 s3, 0, s2
	v_rcp_iflag_f32_e32 v1, v1
	v_mul_f32_e32 v1, 0x4f7ffffe, v1
	v_cvt_u32_f32_e32 v1, v1
	v_readfirstlane_b32 s7, v1
	s_mul_i32 s3, s3, s7
	s_mul_hi_u32 s11, s7, s3
	s_abs_i32 s3, s6
	s_add_i32 s7, s7, s11
	s_waitcnt lgkmcnt(0)
	s_cmp_eq_u64 s[0:1], 0
	s_mul_hi_u32 s12, s3, s7
	s_cbranch_scc1 .LBB338_3
; %bb.2:
	s_ashr_i32 s7, s6, 31
	s_lshl_b64 s[14:15], s[6:7], 2
	s_add_u32 s0, s0, s14
	s_addc_u32 s1, s1, s15
	s_load_dword s43, s[0:1], 0x0
.LBB338_3:
	s_load_dwordx4 s[16:19], s[4:5], 0x58
	v_and_b32_e32 v1, 3, v0
	s_ashr_i32 s0, s6, 31
	s_ashr_i32 s1, s10, 31
	s_mul_i32 s10, s6, 0xc0
	s_mov_b32 s7, exec_lo
	v_cmpx_gt_u32_e32 0x60, v0
	s_cbranch_execz .LBB338_5
; %bb.4:
	s_load_dwordx2 s[14:15], s[4:5], 0x18
	s_waitcnt lgkmcnt(0)
	s_mul_i32 s20, s16, s30
	v_lshlrev_b32_e32 v2, 2, v0
	s_ashr_i32 s21, s20, 31
	v_and_b32_e32 v3, 0x3fc, v0
	s_lshl_b64 s[20:21], s[20:21], 1
	v_mad_u32_u24 v3, 0x60, v1, v3
	s_add_u32 s13, s14, s20
	s_addc_u32 s16, s15, s21
	s_ashr_i32 s11, s10, 31
	s_lshl_b64 s[14:15], s[10:11], 1
	s_add_u32 s14, s13, s14
	s_addc_u32 s15, s16, s15
	global_load_dword v2, v2, s[14:15]
	s_waitcnt vmcnt(0)
	ds_write_b32 v3, v2
.LBB338_5:
	s_or_b32 exec_lo, exec_lo, s7
	s_load_dwordx4 s[20:23], s[4:5], 0x78
	s_mul_i32 s7, s12, s2
	s_xor_b32 s0, s0, s1
	s_sub_i32 s1, s3, s7
	s_add_i32 s3, s12, 1
	s_sub_i32 s7, s1, s2
	s_cmp_ge_u32 s1, s2
                                        ; implicit-def: $sgpr19
	s_cselect_b32 s3, s3, s12
	s_cselect_b32 s1, s7, s1
	s_add_i32 s7, s3, 1
	s_cmp_ge_u32 s1, s2
	s_mov_b32 s12, -1
	s_cselect_b32 s1, s7, s3
	s_load_dword s3, s[4:5], 0x88
	s_xor_b32 s1, s1, s0
	s_add_i32 s7, s31, -1
	s_sub_i32 s1, s1, s0
	s_abs_i32 s2, s7
	s_waitcnt lgkmcnt(0)
	s_abs_i32 s11, s23
	s_barrier
	v_cvt_f32_u32_e32 v2, s11
	s_sub_i32 s0, 0, s11
	buffer_gl0_inv
	v_rcp_iflag_f32_e32 v2, v2
	v_mul_f32_e32 v2, 0x4f7ffffe, v2
	v_cvt_u32_f32_e32 v2, v2
	v_readfirstlane_b32 s16, v2
	s_mul_i32 s0, s0, s16
	s_mul_hi_u32 s0, s16, s0
	s_add_i32 s16, s16, s0
	s_cmp_lt_i32 s3, 0
	s_mul_hi_u32 s0, s2, s16
	s_cbranch_scc0 .LBB338_7
; %bb.6:
	s_mul_i32 s12, s20, s40
	s_add_i32 s12, s1, s12
	s_mul_i32 s12, s12, s3
	s_sub_i32 s19, 1, s12
	s_mov_b32 s12, 0
.LBB338_7:
	s_load_dwordx2 s[34:35], s[4:5], 0x38
	s_ashr_i32 s36, s7, 31
	s_andn2_b32 vcc_lo, exec_lo, s12
	s_ashr_i32 s23, s23, 31
	s_cbranch_vccnz .LBB338_9
; %bb.8:
	s_mul_i32 s7, s9, s20
	s_add_i32 s7, s7, s6
	s_mul_i32 s3, s7, s3
	s_add_i32 s19, s3, 1
.LBB338_9:
	s_clause 0x5
	s_load_dword s3, s[4:5], 0x48
	s_load_dwordx2 s[38:39], s[4:5], 0x28
	s_load_dwordx4 s[24:27], s[4:5], 0x0
	s_load_dwordx2 s[28:29], s[4:5], 0x10
	s_load_dword s7, s[4:5], 0x98
	s_load_dwordx4 s[12:15], s[4:5], 0x68
	s_mul_i32 s20, s0, s11
	s_xor_b32 s42, s36, s23
	s_sub_i32 s2, s2, s20
	s_add_i32 s40, s0, 1
	v_lshrrev_b32_e32 v35, 5, v0
	v_mov_b32_e32 v38, 0xff7fffff
	v_mbcnt_lo_u32_b32 v37, -1, 0
	s_mul_i32 s18, s1, s18
	v_lshl_add_u32 v36, v35, 3, s33
	s_waitcnt lgkmcnt(0)
	s_mul_i32 s36, s3, s30
	s_sub_i32 s3, s2, s11
	s_ashr_i32 s37, s36, 31
	s_cmp_ge_u32 s2, s11
	s_cselect_b32 s0, s40, s0
	s_cselect_b32 s2, s3, s2
	s_add_i32 s3, s0, 1
	s_cmp_ge_u32 s2, s11
	s_cselect_b32 s0, s3, s0
	s_add_i32 s2, s31, 7
	s_lshl_b32 s44, s8, 6
	s_ashr_i32 s3, s2, 31
	v_or_b32_e32 v25, s44, v35
	s_lshr_b32 s3, s3, 29
	s_add_i32 s2, s2, s3
	s_add_i32 s3, s44, 64
	s_ashr_i32 s40, s2, 3
	s_xor_b32 s2, s0, s42
	s_min_i32 s20, s3, s40
	v_ashrrev_i32_e32 v26, 31, v25
	v_cmp_gt_i32_e64 s0, s20, v25
	s_sub_i32 s42, s2, s42
	s_and_saveexec_b32 s45, s0
	s_cbranch_execz .LBB338_405
; %bb.10:
	s_load_dwordx2 s[2:3], s[4:5], 0x20
	s_sub_i32 s4, s42, s21
	s_ashr_i32 s1, s18, 31
	v_bfe_u32 v39, v0, 2, 3
	v_cmp_eq_u32_e32 vcc_lo, 0, v1
	v_lshlrev_b32_e32 v4, 1, v1
	v_mul_u32_u24_e32 v40, 0x60, v1
	v_mov_b32_e32 v28, 0
	v_lshlrev_b32_e32 v5, 2, v39
	v_subrev_nc_u32_e32 v6, s31, v39
	v_lshlrev_b32_e32 v7, 4, v39
	v_lshl_add_u32 v41, v35, 3, s33
	v_mov_b32_e32 v42, 0xff7fffff
	v_lshl_or_b32 v5, v35, 5, v5
	v_add_nc_u32_e32 v45, 1, v6
	v_mov_b32_e32 v43, 0x80
	v_mov_b32_e32 v44, 0xffff
	v_mov_b32_e32 v38, 0xff7fffff
	v_add_nc_u32_e32 v46, 0x1a0, v5
	v_mov_b32_e32 v48, v25
	s_waitcnt lgkmcnt(0)
	s_add_u32 s46, s2, s18
	s_addc_u32 s47, s3, s1
	s_abs_i32 s5, s22
	v_add_co_u32 v6, s46, s46, v7
	v_cvt_f32_u32_e32 v2, s5
	s_sub_i32 s2, 0, s5
	v_add_co_ci_u32_e64 v7, null, s47, 0, s46
	v_cmp_neq_f32_e64 s1, s43, 0
	v_rcp_iflag_f32_e32 v3, v2
	v_lshlrev_b64 v[1:2], 2, v[25:26]
	s_mov_b32 s46, 0
	s_mov_b32 s47, s17
	v_mul_f32_e32 v3, 0x4f7ffffe, v3
	v_cvt_u32_f32_e32 v3, v3
	v_mul_lo_u32 v5, s2, v3
	s_lshl_b64 s[2:3], s[36:37], 2
	s_add_u32 s2, s34, s2
	s_addc_u32 s3, s35, s3
	v_add_co_u32 v29, s2, s2, v1
	v_add_co_ci_u32_e64 v30, null, s3, v2, s2
	v_mul_hi_u32 v5, v3, v5
	v_add_co_u32 v31, s2, v6, v4
	v_add_co_ci_u32_e64 v32, null, 0, v7, s2
	v_add_nc_u32_e32 v47, v3, v5
	s_branch .LBB338_13
.LBB338_11:                             ;   in Loop: Header=BB338_13 Depth=1
	s_or_b32 exec_lo, exec_lo, s48
.LBB338_12:                             ;   in Loop: Header=BB338_13 Depth=1
	s_or_b32 exec_lo, exec_lo, s3
	v_add_nc_u32_e32 v48, 4, v48
	v_add_co_u32 v29, s3, v29, 16
	v_add_co_ci_u32_e64 v30, null, 0, v30, s3
	v_cmp_le_i32_e64 s2, s20, v48
	v_add_nc_u32_e32 v41, 32, v41
	v_add_nc_u32_e32 v46, 0x80, v46
	s_or_b32 s46, s2, s46
	s_andn2_b32 exec_lo, exec_lo, s46
	s_cbranch_execz .LBB338_404
.LBB338_13:                             ; =>This Inner Loop Header: Depth=1
	v_sub_nc_u32_e32 v1, 0, v41
	v_max_i32_e32 v1, v41, v1
	s_waitcnt lgkmcnt(0)
	v_mul_hi_u32 v2, v1, s16
	v_mul_lo_u32 v3, v2, s11
	v_sub_nc_u32_e32 v1, v1, v3
	v_add_nc_u32_e32 v3, 1, v2
	v_subrev_nc_u32_e32 v4, s11, v1
	v_cmp_le_u32_e64 s2, s11, v1
	v_cndmask_b32_e64 v2, v2, v3, s2
	v_cndmask_b32_e64 v1, v1, v4, s2
	v_ashrrev_i32_e32 v3, 31, v41
	v_add_nc_u32_e32 v4, 1, v2
	v_cmp_le_u32_e64 s2, s11, v1
	v_xor_b32_e32 v3, s23, v3
	v_cndmask_b32_e64 v1, v2, v4, s2
	v_xor_b32_e32 v1, v1, v3
	v_sub_nc_u32_e32 v1, v1, v3
	v_add_nc_u32_e32 v2, s19, v1
	v_cmp_ge_i32_e64 s3, s4, v1
	v_sub_nc_u32_e32 v3, 0, v2
	v_max_i32_e32 v3, v2, v3
	v_ashrrev_i32_e32 v2, 31, v2
	v_mul_hi_u32 v4, v3, v47
	v_mul_lo_u32 v4, v4, s5
	v_sub_nc_u32_e32 v3, v3, v4
	v_subrev_nc_u32_e32 v4, s5, v3
	v_cmp_le_u32_e64 s2, s5, v3
	v_cndmask_b32_e64 v3, v3, v4, s2
	v_subrev_nc_u32_e32 v4, s5, v3
	v_cmp_le_u32_e64 s2, s5, v3
	v_cndmask_b32_e64 v3, v3, v4, s2
	v_xor_b32_e32 v3, v3, v2
	v_sub_nc_u32_e32 v2, v3, v2
	v_cmp_ne_u32_e64 s2, 0, v2
	s_and_b32 s2, s2, s3
	s_and_saveexec_b32 s3, s2
	s_xor_b32 s2, exec_lo, s3
	s_cbranch_execz .LBB338_17
; %bb.14:                               ;   in Loop: Header=BB338_13 Depth=1
	s_and_saveexec_b32 s3, vcc_lo
; %bb.15:                               ;   in Loop: Header=BB338_13 Depth=1
	ds_write_b32 v46, v42
; %bb.16:                               ;   in Loop: Header=BB338_13 Depth=1
	s_or_b32 exec_lo, exec_lo, s3
.LBB338_17:                             ;   in Loop: Header=BB338_13 Depth=1
	s_andn2_saveexec_b32 s3, s2
	s_cbranch_execz .LBB338_12
; %bb.18:                               ;   in Loop: Header=BB338_13 Depth=1
	global_load_dword v1, v[29:30], off
	v_mov_b32_e32 v49, 0
	v_mov_b32_e32 v50, 0
	s_waitcnt vmcnt(0)
	v_mad_i64_i32 v[33:34], null, v1, s47, v[31:32]
	global_load_ushort v27, v[33:34], off
	ds_read_b128 v[21:24], v40
	ds_read_b128 v[17:20], v40 offset:16
	ds_read_b128 v[13:16], v40 offset:32
	;; [unrolled: 1-line block ×5, first 2 shown]
	s_load_dword s48, s[12:13], 0x0
	s_waitcnt vmcnt(0)
	v_and_b32_e32 v51, 0xffff, v27
	v_cmp_ne_u16_sdwa s2, v27, v28 src0_sel:BYTE_0 src1_sel:DWORD
	s_and_saveexec_b32 s49, s2
	s_cbranch_execz .LBB338_26
; %bb.19:                               ;   in Loop: Header=BB338_13 Depth=1
	v_cmp_ne_u16_sdwa s2, v51, v43 src0_sel:BYTE_0 src1_sel:DWORD
	v_bfrev_b32_e32 v50, 1
	s_and_saveexec_b32 s50, s2
	s_cbranch_execz .LBB338_25
; %bb.20:                               ;   in Loop: Header=BB338_13 Depth=1
	v_and_b32_e32 v52, 0x7f, v51
	v_mov_b32_e32 v50, 0x7f800001
	s_mov_b32 s51, exec_lo
	v_cmpx_ne_u32_e32 0x7f, v52
	s_cbranch_execz .LBB338_24
; %bb.21:                               ;   in Loop: Header=BB338_13 Depth=1
	v_and_b32_e32 v27, 7, v51
	v_lshrrev_b32_e32 v50, 3, v52
	s_mov_b32 s52, exec_lo
	v_cmpx_gt_u32_e32 8, v52
; %bb.22:                               ;   in Loop: Header=BB338_13 Depth=1
	v_ffbh_u32_e32 v50, v27
	v_min_u32_e32 v50, 32, v50
	v_subrev_nc_u32_e32 v52, 28, v50
	v_sub_nc_u32_e32 v50, 29, v50
	v_lshlrev_b64 v[52:53], v52, v[27:28]
	v_and_b32_e32 v27, 7, v52
; %bb.23:                               ;   in Loop: Header=BB338_13 Depth=1
	s_or_b32 exec_lo, exec_lo, s52
	v_lshlrev_b32_e32 v52, 24, v51
	v_lshlrev_b32_e32 v27, 20, v27
	v_lshl_add_u32 v50, v50, 23, 0x3c000000
	v_and_b32_e32 v52, 0x80000000, v52
	v_or3_b32 v50, v27, v52, v50
.LBB338_24:                             ;   in Loop: Header=BB338_13 Depth=1
	s_or_b32 exec_lo, exec_lo, s51
.LBB338_25:                             ;   in Loop: Header=BB338_13 Depth=1
	s_or_b32 exec_lo, exec_lo, s50
.LBB338_26:                             ;   in Loop: Header=BB338_13 Depth=1
	s_or_b32 exec_lo, exec_lo, s49
	v_cmp_ne_u16_sdwa s2, v51, v28 src0_sel:BYTE_1 src1_sel:DWORD
	s_and_saveexec_b32 s49, s2
	s_cbranch_execz .LBB338_34
; %bb.27:                               ;   in Loop: Header=BB338_13 Depth=1
	v_cmp_ne_u16_sdwa s2, v51, v43 src0_sel:BYTE_1 src1_sel:DWORD
	v_bfrev_b32_e32 v49, 1
	s_and_saveexec_b32 s50, s2
	s_cbranch_execz .LBB338_33
; %bb.28:                               ;   in Loop: Header=BB338_13 Depth=1
	v_and_b32_sdwa v27, v44, v51 dst_sel:DWORD dst_unused:UNUSED_PAD src0_sel:DWORD src1_sel:BYTE_1
	v_mov_b32_e32 v49, 0x7f800001
	s_mov_b32 s51, exec_lo
	v_and_b32_e32 v52, 0x7f, v27
	v_cmpx_ne_u32_e32 0x7f, v52
	s_cbranch_execz .LBB338_32
; %bb.29:                               ;   in Loop: Header=BB338_13 Depth=1
	v_and_b32_e32 v27, 7, v27
	v_lshrrev_b32_e32 v49, 3, v52
	s_mov_b32 s52, exec_lo
	v_cmpx_gt_u32_e32 8, v52
; %bb.30:                               ;   in Loop: Header=BB338_13 Depth=1
	v_ffbh_u32_e32 v49, v27
	v_min_u32_e32 v49, 32, v49
	v_subrev_nc_u32_e32 v52, 28, v49
	v_sub_nc_u32_e32 v49, 29, v49
	v_lshlrev_b64 v[52:53], v52, v[27:28]
	v_and_b32_e32 v27, 7, v52
; %bb.31:                               ;   in Loop: Header=BB338_13 Depth=1
	s_or_b32 exec_lo, exec_lo, s52
	v_lshlrev_b32_e32 v51, 16, v51
	v_lshlrev_b32_e32 v27, 20, v27
	v_lshl_add_u32 v49, v49, 23, 0x3c000000
	v_and_b32_e32 v51, 0x80000000, v51
	v_or3_b32 v49, v27, v51, v49
.LBB338_32:                             ;   in Loop: Header=BB338_13 Depth=1
	s_or_b32 exec_lo, exec_lo, s51
.LBB338_33:                             ;   in Loop: Header=BB338_13 Depth=1
	s_or_b32 exec_lo, exec_lo, s50
.LBB338_34:                             ;   in Loop: Header=BB338_13 Depth=1
	s_or_b32 exec_lo, exec_lo, s49
	global_load_ushort v27, v[33:34], off offset:8
	v_mov_b32_e32 v51, 0
	v_mov_b32_e32 v52, 0
	s_waitcnt vmcnt(0)
	v_and_b32_e32 v53, 0xffff, v27
	v_cmp_ne_u16_sdwa s2, v27, v28 src0_sel:BYTE_0 src1_sel:DWORD
	s_and_saveexec_b32 s49, s2
	s_cbranch_execz .LBB338_42
; %bb.35:                               ;   in Loop: Header=BB338_13 Depth=1
	v_cmp_ne_u16_sdwa s2, v53, v43 src0_sel:BYTE_0 src1_sel:DWORD
	v_bfrev_b32_e32 v52, 1
	s_and_saveexec_b32 s50, s2
	s_cbranch_execz .LBB338_41
; %bb.36:                               ;   in Loop: Header=BB338_13 Depth=1
	v_and_b32_e32 v54, 0x7f, v53
	v_mov_b32_e32 v52, 0x7f800001
	s_mov_b32 s51, exec_lo
	v_cmpx_ne_u32_e32 0x7f, v54
	s_cbranch_execz .LBB338_40
; %bb.37:                               ;   in Loop: Header=BB338_13 Depth=1
	v_and_b32_e32 v27, 7, v53
	v_lshrrev_b32_e32 v52, 3, v54
	s_mov_b32 s52, exec_lo
	v_cmpx_gt_u32_e32 8, v54
; %bb.38:                               ;   in Loop: Header=BB338_13 Depth=1
	v_ffbh_u32_e32 v52, v27
	v_min_u32_e32 v52, 32, v52
	v_subrev_nc_u32_e32 v54, 28, v52
	v_sub_nc_u32_e32 v52, 29, v52
	v_lshlrev_b64 v[54:55], v54, v[27:28]
	v_and_b32_e32 v27, 7, v54
; %bb.39:                               ;   in Loop: Header=BB338_13 Depth=1
	s_or_b32 exec_lo, exec_lo, s52
	v_lshlrev_b32_e32 v54, 24, v53
	v_lshlrev_b32_e32 v27, 20, v27
	v_lshl_add_u32 v52, v52, 23, 0x3c000000
	v_and_b32_e32 v54, 0x80000000, v54
	v_or3_b32 v52, v27, v54, v52
.LBB338_40:                             ;   in Loop: Header=BB338_13 Depth=1
	s_or_b32 exec_lo, exec_lo, s51
.LBB338_41:                             ;   in Loop: Header=BB338_13 Depth=1
	s_or_b32 exec_lo, exec_lo, s50
.LBB338_42:                             ;   in Loop: Header=BB338_13 Depth=1
	s_or_b32 exec_lo, exec_lo, s49
	v_cmp_ne_u16_sdwa s2, v53, v28 src0_sel:BYTE_1 src1_sel:DWORD
	s_and_saveexec_b32 s49, s2
	s_cbranch_execz .LBB338_50
; %bb.43:                               ;   in Loop: Header=BB338_13 Depth=1
	v_cmp_ne_u16_sdwa s2, v53, v43 src0_sel:BYTE_1 src1_sel:DWORD
	v_bfrev_b32_e32 v51, 1
	s_and_saveexec_b32 s50, s2
	s_cbranch_execz .LBB338_49
; %bb.44:                               ;   in Loop: Header=BB338_13 Depth=1
	v_and_b32_sdwa v27, v44, v53 dst_sel:DWORD dst_unused:UNUSED_PAD src0_sel:DWORD src1_sel:BYTE_1
	v_mov_b32_e32 v51, 0x7f800001
	s_mov_b32 s51, exec_lo
	v_and_b32_e32 v54, 0x7f, v27
	v_cmpx_ne_u32_e32 0x7f, v54
	s_cbranch_execz .LBB338_48
; %bb.45:                               ;   in Loop: Header=BB338_13 Depth=1
	v_and_b32_e32 v27, 7, v27
	v_lshrrev_b32_e32 v51, 3, v54
	s_mov_b32 s52, exec_lo
	v_cmpx_gt_u32_e32 8, v54
; %bb.46:                               ;   in Loop: Header=BB338_13 Depth=1
	v_ffbh_u32_e32 v51, v27
	v_min_u32_e32 v51, 32, v51
	v_subrev_nc_u32_e32 v54, 28, v51
	v_sub_nc_u32_e32 v51, 29, v51
	v_lshlrev_b64 v[54:55], v54, v[27:28]
	v_and_b32_e32 v27, 7, v54
; %bb.47:                               ;   in Loop: Header=BB338_13 Depth=1
	s_or_b32 exec_lo, exec_lo, s52
	v_lshlrev_b32_e32 v53, 16, v53
	v_lshlrev_b32_e32 v27, 20, v27
	v_lshl_add_u32 v51, v51, 23, 0x3c000000
	v_and_b32_e32 v53, 0x80000000, v53
	v_or3_b32 v51, v27, v53, v51
.LBB338_48:                             ;   in Loop: Header=BB338_13 Depth=1
	s_or_b32 exec_lo, exec_lo, s51
.LBB338_49:                             ;   in Loop: Header=BB338_13 Depth=1
	s_or_b32 exec_lo, exec_lo, s50
.LBB338_50:                             ;   in Loop: Header=BB338_13 Depth=1
	s_or_b32 exec_lo, exec_lo, s49
	global_load_ushort v27, v[33:34], off offset:128
	v_mov_b32_e32 v53, 0
	v_mov_b32_e32 v54, 0
	s_waitcnt vmcnt(0)
	v_and_b32_e32 v55, 0xffff, v27
	v_cmp_ne_u16_sdwa s2, v27, v28 src0_sel:BYTE_0 src1_sel:DWORD
	s_and_saveexec_b32 s49, s2
	s_cbranch_execz .LBB338_58
; %bb.51:                               ;   in Loop: Header=BB338_13 Depth=1
	v_cmp_ne_u16_sdwa s2, v55, v43 src0_sel:BYTE_0 src1_sel:DWORD
	v_bfrev_b32_e32 v54, 1
	s_and_saveexec_b32 s50, s2
	s_cbranch_execz .LBB338_57
; %bb.52:                               ;   in Loop: Header=BB338_13 Depth=1
	v_and_b32_e32 v56, 0x7f, v55
	v_mov_b32_e32 v54, 0x7f800001
	s_mov_b32 s51, exec_lo
	v_cmpx_ne_u32_e32 0x7f, v56
	s_cbranch_execz .LBB338_56
; %bb.53:                               ;   in Loop: Header=BB338_13 Depth=1
	v_and_b32_e32 v27, 7, v55
	v_lshrrev_b32_e32 v54, 3, v56
	s_mov_b32 s52, exec_lo
	v_cmpx_gt_u32_e32 8, v56
; %bb.54:                               ;   in Loop: Header=BB338_13 Depth=1
	v_ffbh_u32_e32 v54, v27
	v_min_u32_e32 v54, 32, v54
	v_subrev_nc_u32_e32 v56, 28, v54
	v_sub_nc_u32_e32 v54, 29, v54
	v_lshlrev_b64 v[56:57], v56, v[27:28]
	v_and_b32_e32 v27, 7, v56
; %bb.55:                               ;   in Loop: Header=BB338_13 Depth=1
	s_or_b32 exec_lo, exec_lo, s52
	v_lshlrev_b32_e32 v56, 24, v55
	v_lshlrev_b32_e32 v27, 20, v27
	v_lshl_add_u32 v54, v54, 23, 0x3c000000
	v_and_b32_e32 v56, 0x80000000, v56
	v_or3_b32 v54, v27, v56, v54
.LBB338_56:                             ;   in Loop: Header=BB338_13 Depth=1
	s_or_b32 exec_lo, exec_lo, s51
.LBB338_57:                             ;   in Loop: Header=BB338_13 Depth=1
	s_or_b32 exec_lo, exec_lo, s50
.LBB338_58:                             ;   in Loop: Header=BB338_13 Depth=1
	s_or_b32 exec_lo, exec_lo, s49
	v_cmp_ne_u16_sdwa s2, v55, v28 src0_sel:BYTE_1 src1_sel:DWORD
	s_and_saveexec_b32 s49, s2
	s_cbranch_execz .LBB338_66
; %bb.59:                               ;   in Loop: Header=BB338_13 Depth=1
	v_cmp_ne_u16_sdwa s2, v55, v43 src0_sel:BYTE_1 src1_sel:DWORD
	v_bfrev_b32_e32 v53, 1
	s_and_saveexec_b32 s50, s2
	s_cbranch_execz .LBB338_65
; %bb.60:                               ;   in Loop: Header=BB338_13 Depth=1
	v_and_b32_sdwa v27, v44, v55 dst_sel:DWORD dst_unused:UNUSED_PAD src0_sel:DWORD src1_sel:BYTE_1
	v_mov_b32_e32 v53, 0x7f800001
	s_mov_b32 s51, exec_lo
	v_and_b32_e32 v56, 0x7f, v27
	v_cmpx_ne_u32_e32 0x7f, v56
	s_cbranch_execz .LBB338_64
; %bb.61:                               ;   in Loop: Header=BB338_13 Depth=1
	v_and_b32_e32 v27, 7, v27
	v_lshrrev_b32_e32 v53, 3, v56
	s_mov_b32 s52, exec_lo
	v_cmpx_gt_u32_e32 8, v56
; %bb.62:                               ;   in Loop: Header=BB338_13 Depth=1
	v_ffbh_u32_e32 v53, v27
	v_min_u32_e32 v53, 32, v53
	v_subrev_nc_u32_e32 v56, 28, v53
	v_sub_nc_u32_e32 v53, 29, v53
	v_lshlrev_b64 v[56:57], v56, v[27:28]
	v_and_b32_e32 v27, 7, v56
; %bb.63:                               ;   in Loop: Header=BB338_13 Depth=1
	s_or_b32 exec_lo, exec_lo, s52
	v_lshlrev_b32_e32 v55, 16, v55
	v_lshlrev_b32_e32 v27, 20, v27
	v_lshl_add_u32 v53, v53, 23, 0x3c000000
	v_and_b32_e32 v55, 0x80000000, v55
	v_or3_b32 v53, v27, v55, v53
.LBB338_64:                             ;   in Loop: Header=BB338_13 Depth=1
	s_or_b32 exec_lo, exec_lo, s51
.LBB338_65:                             ;   in Loop: Header=BB338_13 Depth=1
	s_or_b32 exec_lo, exec_lo, s50
.LBB338_66:                             ;   in Loop: Header=BB338_13 Depth=1
	s_or_b32 exec_lo, exec_lo, s49
	global_load_ushort v27, v[33:34], off offset:136
	v_mov_b32_e32 v55, 0
	v_mov_b32_e32 v56, 0
	s_waitcnt vmcnt(0)
	v_and_b32_e32 v57, 0xffff, v27
	v_cmp_ne_u16_sdwa s2, v27, v28 src0_sel:BYTE_0 src1_sel:DWORD
	s_and_saveexec_b32 s49, s2
	s_cbranch_execz .LBB338_74
; %bb.67:                               ;   in Loop: Header=BB338_13 Depth=1
	v_cmp_ne_u16_sdwa s2, v57, v43 src0_sel:BYTE_0 src1_sel:DWORD
	v_bfrev_b32_e32 v56, 1
	s_and_saveexec_b32 s50, s2
	s_cbranch_execz .LBB338_73
; %bb.68:                               ;   in Loop: Header=BB338_13 Depth=1
	v_and_b32_e32 v58, 0x7f, v57
	v_mov_b32_e32 v56, 0x7f800001
	s_mov_b32 s51, exec_lo
	v_cmpx_ne_u32_e32 0x7f, v58
	s_cbranch_execz .LBB338_72
; %bb.69:                               ;   in Loop: Header=BB338_13 Depth=1
	v_and_b32_e32 v27, 7, v57
	v_lshrrev_b32_e32 v56, 3, v58
	s_mov_b32 s52, exec_lo
	v_cmpx_gt_u32_e32 8, v58
; %bb.70:                               ;   in Loop: Header=BB338_13 Depth=1
	v_ffbh_u32_e32 v56, v27
	v_min_u32_e32 v56, 32, v56
	v_subrev_nc_u32_e32 v58, 28, v56
	v_sub_nc_u32_e32 v56, 29, v56
	v_lshlrev_b64 v[58:59], v58, v[27:28]
	v_and_b32_e32 v27, 7, v58
; %bb.71:                               ;   in Loop: Header=BB338_13 Depth=1
	s_or_b32 exec_lo, exec_lo, s52
	v_lshlrev_b32_e32 v58, 24, v57
	v_lshlrev_b32_e32 v27, 20, v27
	v_lshl_add_u32 v56, v56, 23, 0x3c000000
	v_and_b32_e32 v58, 0x80000000, v58
	v_or3_b32 v56, v27, v58, v56
.LBB338_72:                             ;   in Loop: Header=BB338_13 Depth=1
	s_or_b32 exec_lo, exec_lo, s51
.LBB338_73:                             ;   in Loop: Header=BB338_13 Depth=1
	s_or_b32 exec_lo, exec_lo, s50
.LBB338_74:                             ;   in Loop: Header=BB338_13 Depth=1
	s_or_b32 exec_lo, exec_lo, s49
	v_cmp_ne_u16_sdwa s2, v57, v28 src0_sel:BYTE_1 src1_sel:DWORD
	s_and_saveexec_b32 s49, s2
	s_cbranch_execz .LBB338_82
; %bb.75:                               ;   in Loop: Header=BB338_13 Depth=1
	v_cmp_ne_u16_sdwa s2, v57, v43 src0_sel:BYTE_1 src1_sel:DWORD
	v_bfrev_b32_e32 v55, 1
	s_and_saveexec_b32 s50, s2
	s_cbranch_execz .LBB338_81
; %bb.76:                               ;   in Loop: Header=BB338_13 Depth=1
	v_and_b32_sdwa v27, v44, v57 dst_sel:DWORD dst_unused:UNUSED_PAD src0_sel:DWORD src1_sel:BYTE_1
	v_mov_b32_e32 v55, 0x7f800001
	s_mov_b32 s51, exec_lo
	v_and_b32_e32 v58, 0x7f, v27
	v_cmpx_ne_u32_e32 0x7f, v58
	s_cbranch_execz .LBB338_80
; %bb.77:                               ;   in Loop: Header=BB338_13 Depth=1
	v_and_b32_e32 v27, 7, v27
	v_lshrrev_b32_e32 v55, 3, v58
	s_mov_b32 s52, exec_lo
	v_cmpx_gt_u32_e32 8, v58
; %bb.78:                               ;   in Loop: Header=BB338_13 Depth=1
	v_ffbh_u32_e32 v55, v27
	v_min_u32_e32 v55, 32, v55
	v_subrev_nc_u32_e32 v58, 28, v55
	v_sub_nc_u32_e32 v55, 29, v55
	v_lshlrev_b64 v[58:59], v58, v[27:28]
	v_and_b32_e32 v27, 7, v58
; %bb.79:                               ;   in Loop: Header=BB338_13 Depth=1
	s_or_b32 exec_lo, exec_lo, s52
	v_lshlrev_b32_e32 v57, 16, v57
	v_lshlrev_b32_e32 v27, 20, v27
	v_lshl_add_u32 v55, v55, 23, 0x3c000000
	v_and_b32_e32 v57, 0x80000000, v57
	v_or3_b32 v55, v27, v57, v55
.LBB338_80:                             ;   in Loop: Header=BB338_13 Depth=1
	s_or_b32 exec_lo, exec_lo, s51
.LBB338_81:                             ;   in Loop: Header=BB338_13 Depth=1
	s_or_b32 exec_lo, exec_lo, s50
.LBB338_82:                             ;   in Loop: Header=BB338_13 Depth=1
	s_or_b32 exec_lo, exec_lo, s49
	global_load_ushort v27, v[33:34], off offset:256
	v_mov_b32_e32 v57, 0
	v_mov_b32_e32 v58, 0
	s_waitcnt vmcnt(0)
	v_and_b32_e32 v59, 0xffff, v27
	v_cmp_ne_u16_sdwa s2, v27, v28 src0_sel:BYTE_0 src1_sel:DWORD
	s_and_saveexec_b32 s49, s2
	s_cbranch_execz .LBB338_90
; %bb.83:                               ;   in Loop: Header=BB338_13 Depth=1
	v_cmp_ne_u16_sdwa s2, v59, v43 src0_sel:BYTE_0 src1_sel:DWORD
	v_bfrev_b32_e32 v58, 1
	s_and_saveexec_b32 s50, s2
	s_cbranch_execz .LBB338_89
; %bb.84:                               ;   in Loop: Header=BB338_13 Depth=1
	v_and_b32_e32 v60, 0x7f, v59
	v_mov_b32_e32 v58, 0x7f800001
	s_mov_b32 s51, exec_lo
	v_cmpx_ne_u32_e32 0x7f, v60
	s_cbranch_execz .LBB338_88
; %bb.85:                               ;   in Loop: Header=BB338_13 Depth=1
	v_and_b32_e32 v27, 7, v59
	v_lshrrev_b32_e32 v58, 3, v60
	s_mov_b32 s52, exec_lo
	v_cmpx_gt_u32_e32 8, v60
; %bb.86:                               ;   in Loop: Header=BB338_13 Depth=1
	v_ffbh_u32_e32 v58, v27
	v_min_u32_e32 v58, 32, v58
	v_subrev_nc_u32_e32 v60, 28, v58
	v_sub_nc_u32_e32 v58, 29, v58
	v_lshlrev_b64 v[60:61], v60, v[27:28]
	v_and_b32_e32 v27, 7, v60
; %bb.87:                               ;   in Loop: Header=BB338_13 Depth=1
	s_or_b32 exec_lo, exec_lo, s52
	v_lshlrev_b32_e32 v60, 24, v59
	v_lshlrev_b32_e32 v27, 20, v27
	v_lshl_add_u32 v58, v58, 23, 0x3c000000
	v_and_b32_e32 v60, 0x80000000, v60
	v_or3_b32 v58, v27, v60, v58
.LBB338_88:                             ;   in Loop: Header=BB338_13 Depth=1
	s_or_b32 exec_lo, exec_lo, s51
.LBB338_89:                             ;   in Loop: Header=BB338_13 Depth=1
	s_or_b32 exec_lo, exec_lo, s50
.LBB338_90:                             ;   in Loop: Header=BB338_13 Depth=1
	s_or_b32 exec_lo, exec_lo, s49
	v_cmp_ne_u16_sdwa s2, v59, v28 src0_sel:BYTE_1 src1_sel:DWORD
	s_and_saveexec_b32 s49, s2
	s_cbranch_execz .LBB338_98
; %bb.91:                               ;   in Loop: Header=BB338_13 Depth=1
	v_cmp_ne_u16_sdwa s2, v59, v43 src0_sel:BYTE_1 src1_sel:DWORD
	v_bfrev_b32_e32 v57, 1
	s_and_saveexec_b32 s50, s2
	s_cbranch_execz .LBB338_97
; %bb.92:                               ;   in Loop: Header=BB338_13 Depth=1
	v_and_b32_sdwa v27, v44, v59 dst_sel:DWORD dst_unused:UNUSED_PAD src0_sel:DWORD src1_sel:BYTE_1
	v_mov_b32_e32 v57, 0x7f800001
	s_mov_b32 s51, exec_lo
	v_and_b32_e32 v60, 0x7f, v27
	v_cmpx_ne_u32_e32 0x7f, v60
	s_cbranch_execz .LBB338_96
; %bb.93:                               ;   in Loop: Header=BB338_13 Depth=1
	v_and_b32_e32 v27, 7, v27
	v_lshrrev_b32_e32 v57, 3, v60
	s_mov_b32 s52, exec_lo
	v_cmpx_gt_u32_e32 8, v60
; %bb.94:                               ;   in Loop: Header=BB338_13 Depth=1
	v_ffbh_u32_e32 v57, v27
	v_min_u32_e32 v57, 32, v57
	v_subrev_nc_u32_e32 v60, 28, v57
	v_sub_nc_u32_e32 v57, 29, v57
	v_lshlrev_b64 v[60:61], v60, v[27:28]
	v_and_b32_e32 v27, 7, v60
; %bb.95:                               ;   in Loop: Header=BB338_13 Depth=1
	s_or_b32 exec_lo, exec_lo, s52
	v_lshlrev_b32_e32 v59, 16, v59
	v_lshlrev_b32_e32 v27, 20, v27
	v_lshl_add_u32 v57, v57, 23, 0x3c000000
	v_and_b32_e32 v59, 0x80000000, v59
	v_or3_b32 v57, v27, v59, v57
.LBB338_96:                             ;   in Loop: Header=BB338_13 Depth=1
	s_or_b32 exec_lo, exec_lo, s51
.LBB338_97:                             ;   in Loop: Header=BB338_13 Depth=1
	s_or_b32 exec_lo, exec_lo, s50
.LBB338_98:                             ;   in Loop: Header=BB338_13 Depth=1
	s_or_b32 exec_lo, exec_lo, s49
	global_load_ushort v27, v[33:34], off offset:264
	v_mov_b32_e32 v59, 0
	v_mov_b32_e32 v60, 0
	s_waitcnt vmcnt(0)
	v_and_b32_e32 v61, 0xffff, v27
	v_cmp_ne_u16_sdwa s2, v27, v28 src0_sel:BYTE_0 src1_sel:DWORD
	s_and_saveexec_b32 s49, s2
	s_cbranch_execz .LBB338_106
; %bb.99:                               ;   in Loop: Header=BB338_13 Depth=1
	v_cmp_ne_u16_sdwa s2, v61, v43 src0_sel:BYTE_0 src1_sel:DWORD
	v_bfrev_b32_e32 v60, 1
	s_and_saveexec_b32 s50, s2
	s_cbranch_execz .LBB338_105
; %bb.100:                              ;   in Loop: Header=BB338_13 Depth=1
	v_and_b32_e32 v62, 0x7f, v61
	v_mov_b32_e32 v60, 0x7f800001
	s_mov_b32 s51, exec_lo
	v_cmpx_ne_u32_e32 0x7f, v62
	s_cbranch_execz .LBB338_104
; %bb.101:                              ;   in Loop: Header=BB338_13 Depth=1
	v_and_b32_e32 v27, 7, v61
	v_lshrrev_b32_e32 v60, 3, v62
	s_mov_b32 s52, exec_lo
	v_cmpx_gt_u32_e32 8, v62
; %bb.102:                              ;   in Loop: Header=BB338_13 Depth=1
	v_ffbh_u32_e32 v60, v27
	v_min_u32_e32 v60, 32, v60
	v_subrev_nc_u32_e32 v62, 28, v60
	v_sub_nc_u32_e32 v60, 29, v60
	v_lshlrev_b64 v[62:63], v62, v[27:28]
	v_and_b32_e32 v27, 7, v62
; %bb.103:                              ;   in Loop: Header=BB338_13 Depth=1
	s_or_b32 exec_lo, exec_lo, s52
	v_lshlrev_b32_e32 v62, 24, v61
	v_lshlrev_b32_e32 v27, 20, v27
	v_lshl_add_u32 v60, v60, 23, 0x3c000000
	v_and_b32_e32 v62, 0x80000000, v62
	v_or3_b32 v60, v27, v62, v60
.LBB338_104:                            ;   in Loop: Header=BB338_13 Depth=1
	s_or_b32 exec_lo, exec_lo, s51
.LBB338_105:                            ;   in Loop: Header=BB338_13 Depth=1
	s_or_b32 exec_lo, exec_lo, s50
.LBB338_106:                            ;   in Loop: Header=BB338_13 Depth=1
	s_or_b32 exec_lo, exec_lo, s49
	v_cmp_ne_u16_sdwa s2, v61, v28 src0_sel:BYTE_1 src1_sel:DWORD
	s_and_saveexec_b32 s49, s2
	s_cbranch_execz .LBB338_114
; %bb.107:                              ;   in Loop: Header=BB338_13 Depth=1
	v_cmp_ne_u16_sdwa s2, v61, v43 src0_sel:BYTE_1 src1_sel:DWORD
	v_bfrev_b32_e32 v59, 1
	s_and_saveexec_b32 s50, s2
	s_cbranch_execz .LBB338_113
; %bb.108:                              ;   in Loop: Header=BB338_13 Depth=1
	v_and_b32_sdwa v27, v44, v61 dst_sel:DWORD dst_unused:UNUSED_PAD src0_sel:DWORD src1_sel:BYTE_1
	v_mov_b32_e32 v59, 0x7f800001
	s_mov_b32 s51, exec_lo
	v_and_b32_e32 v62, 0x7f, v27
	v_cmpx_ne_u32_e32 0x7f, v62
	s_cbranch_execz .LBB338_112
; %bb.109:                              ;   in Loop: Header=BB338_13 Depth=1
	v_and_b32_e32 v27, 7, v27
	v_lshrrev_b32_e32 v59, 3, v62
	s_mov_b32 s52, exec_lo
	v_cmpx_gt_u32_e32 8, v62
; %bb.110:                              ;   in Loop: Header=BB338_13 Depth=1
	v_ffbh_u32_e32 v59, v27
	v_min_u32_e32 v59, 32, v59
	v_subrev_nc_u32_e32 v62, 28, v59
	v_sub_nc_u32_e32 v59, 29, v59
	v_lshlrev_b64 v[62:63], v62, v[27:28]
	v_and_b32_e32 v27, 7, v62
; %bb.111:                              ;   in Loop: Header=BB338_13 Depth=1
	s_or_b32 exec_lo, exec_lo, s52
	v_lshlrev_b32_e32 v61, 16, v61
	v_lshlrev_b32_e32 v27, 20, v27
	v_lshl_add_u32 v59, v59, 23, 0x3c000000
	v_and_b32_e32 v61, 0x80000000, v61
	v_or3_b32 v59, v27, v61, v59
.LBB338_112:                            ;   in Loop: Header=BB338_13 Depth=1
	s_or_b32 exec_lo, exec_lo, s51
.LBB338_113:                            ;   in Loop: Header=BB338_13 Depth=1
	s_or_b32 exec_lo, exec_lo, s50
.LBB338_114:                            ;   in Loop: Header=BB338_13 Depth=1
	s_or_b32 exec_lo, exec_lo, s49
	global_load_ushort v27, v[33:34], off offset:384
	v_mov_b32_e32 v61, 0
	v_mov_b32_e32 v62, 0
	s_waitcnt vmcnt(0)
	v_and_b32_e32 v63, 0xffff, v27
	v_cmp_ne_u16_sdwa s2, v27, v28 src0_sel:BYTE_0 src1_sel:DWORD
	s_and_saveexec_b32 s49, s2
	s_cbranch_execz .LBB338_122
; %bb.115:                              ;   in Loop: Header=BB338_13 Depth=1
	v_cmp_ne_u16_sdwa s2, v63, v43 src0_sel:BYTE_0 src1_sel:DWORD
	v_bfrev_b32_e32 v62, 1
	s_and_saveexec_b32 s50, s2
	s_cbranch_execz .LBB338_121
; %bb.116:                              ;   in Loop: Header=BB338_13 Depth=1
	v_and_b32_e32 v64, 0x7f, v63
	v_mov_b32_e32 v62, 0x7f800001
	s_mov_b32 s51, exec_lo
	v_cmpx_ne_u32_e32 0x7f, v64
	s_cbranch_execz .LBB338_120
; %bb.117:                              ;   in Loop: Header=BB338_13 Depth=1
	v_and_b32_e32 v27, 7, v63
	v_lshrrev_b32_e32 v62, 3, v64
	s_mov_b32 s52, exec_lo
	v_cmpx_gt_u32_e32 8, v64
; %bb.118:                              ;   in Loop: Header=BB338_13 Depth=1
	v_ffbh_u32_e32 v62, v27
	v_min_u32_e32 v62, 32, v62
	v_subrev_nc_u32_e32 v64, 28, v62
	v_sub_nc_u32_e32 v62, 29, v62
	v_lshlrev_b64 v[64:65], v64, v[27:28]
	v_and_b32_e32 v27, 7, v64
; %bb.119:                              ;   in Loop: Header=BB338_13 Depth=1
	s_or_b32 exec_lo, exec_lo, s52
	v_lshlrev_b32_e32 v64, 24, v63
	v_lshlrev_b32_e32 v27, 20, v27
	v_lshl_add_u32 v62, v62, 23, 0x3c000000
	v_and_b32_e32 v64, 0x80000000, v64
	v_or3_b32 v62, v27, v64, v62
.LBB338_120:                            ;   in Loop: Header=BB338_13 Depth=1
	s_or_b32 exec_lo, exec_lo, s51
.LBB338_121:                            ;   in Loop: Header=BB338_13 Depth=1
	s_or_b32 exec_lo, exec_lo, s50
.LBB338_122:                            ;   in Loop: Header=BB338_13 Depth=1
	s_or_b32 exec_lo, exec_lo, s49
	v_cmp_ne_u16_sdwa s2, v63, v28 src0_sel:BYTE_1 src1_sel:DWORD
	s_and_saveexec_b32 s49, s2
	s_cbranch_execz .LBB338_130
; %bb.123:                              ;   in Loop: Header=BB338_13 Depth=1
	v_cmp_ne_u16_sdwa s2, v63, v43 src0_sel:BYTE_1 src1_sel:DWORD
	v_bfrev_b32_e32 v61, 1
	s_and_saveexec_b32 s50, s2
	s_cbranch_execz .LBB338_129
; %bb.124:                              ;   in Loop: Header=BB338_13 Depth=1
	v_and_b32_sdwa v27, v44, v63 dst_sel:DWORD dst_unused:UNUSED_PAD src0_sel:DWORD src1_sel:BYTE_1
	v_mov_b32_e32 v61, 0x7f800001
	s_mov_b32 s51, exec_lo
	v_and_b32_e32 v64, 0x7f, v27
	v_cmpx_ne_u32_e32 0x7f, v64
	s_cbranch_execz .LBB338_128
; %bb.125:                              ;   in Loop: Header=BB338_13 Depth=1
	v_and_b32_e32 v27, 7, v27
	v_lshrrev_b32_e32 v61, 3, v64
	s_mov_b32 s52, exec_lo
	v_cmpx_gt_u32_e32 8, v64
; %bb.126:                              ;   in Loop: Header=BB338_13 Depth=1
	v_ffbh_u32_e32 v61, v27
	v_min_u32_e32 v61, 32, v61
	v_subrev_nc_u32_e32 v64, 28, v61
	v_sub_nc_u32_e32 v61, 29, v61
	v_lshlrev_b64 v[64:65], v64, v[27:28]
	v_and_b32_e32 v27, 7, v64
; %bb.127:                              ;   in Loop: Header=BB338_13 Depth=1
	s_or_b32 exec_lo, exec_lo, s52
	v_lshlrev_b32_e32 v63, 16, v63
	v_lshlrev_b32_e32 v27, 20, v27
	v_lshl_add_u32 v61, v61, 23, 0x3c000000
	v_and_b32_e32 v63, 0x80000000, v63
	v_or3_b32 v61, v27, v63, v61
.LBB338_128:                            ;   in Loop: Header=BB338_13 Depth=1
	s_or_b32 exec_lo, exec_lo, s51
.LBB338_129:                            ;   in Loop: Header=BB338_13 Depth=1
	s_or_b32 exec_lo, exec_lo, s50
.LBB338_130:                            ;   in Loop: Header=BB338_13 Depth=1
	s_or_b32 exec_lo, exec_lo, s49
	global_load_ushort v27, v[33:34], off offset:392
	v_mov_b32_e32 v63, 0
	v_mov_b32_e32 v64, 0
	s_waitcnt vmcnt(0)
	v_and_b32_e32 v65, 0xffff, v27
	v_cmp_ne_u16_sdwa s2, v27, v28 src0_sel:BYTE_0 src1_sel:DWORD
	s_and_saveexec_b32 s49, s2
	s_cbranch_execz .LBB338_138
; %bb.131:                              ;   in Loop: Header=BB338_13 Depth=1
	v_cmp_ne_u16_sdwa s2, v65, v43 src0_sel:BYTE_0 src1_sel:DWORD
	v_bfrev_b32_e32 v64, 1
	s_and_saveexec_b32 s50, s2
	s_cbranch_execz .LBB338_137
; %bb.132:                              ;   in Loop: Header=BB338_13 Depth=1
	v_and_b32_e32 v66, 0x7f, v65
	v_mov_b32_e32 v64, 0x7f800001
	s_mov_b32 s51, exec_lo
	v_cmpx_ne_u32_e32 0x7f, v66
	s_cbranch_execz .LBB338_136
; %bb.133:                              ;   in Loop: Header=BB338_13 Depth=1
	v_and_b32_e32 v27, 7, v65
	v_lshrrev_b32_e32 v64, 3, v66
	s_mov_b32 s52, exec_lo
	v_cmpx_gt_u32_e32 8, v66
; %bb.134:                              ;   in Loop: Header=BB338_13 Depth=1
	v_ffbh_u32_e32 v64, v27
	v_min_u32_e32 v64, 32, v64
	v_subrev_nc_u32_e32 v66, 28, v64
	v_sub_nc_u32_e32 v64, 29, v64
	v_lshlrev_b64 v[66:67], v66, v[27:28]
	v_and_b32_e32 v27, 7, v66
; %bb.135:                              ;   in Loop: Header=BB338_13 Depth=1
	s_or_b32 exec_lo, exec_lo, s52
	v_lshlrev_b32_e32 v66, 24, v65
	v_lshlrev_b32_e32 v27, 20, v27
	v_lshl_add_u32 v64, v64, 23, 0x3c000000
	v_and_b32_e32 v66, 0x80000000, v66
	v_or3_b32 v64, v27, v66, v64
.LBB338_136:                            ;   in Loop: Header=BB338_13 Depth=1
	s_or_b32 exec_lo, exec_lo, s51
.LBB338_137:                            ;   in Loop: Header=BB338_13 Depth=1
	s_or_b32 exec_lo, exec_lo, s50
.LBB338_138:                            ;   in Loop: Header=BB338_13 Depth=1
	s_or_b32 exec_lo, exec_lo, s49
	v_cmp_ne_u16_sdwa s2, v65, v28 src0_sel:BYTE_1 src1_sel:DWORD
	s_and_saveexec_b32 s49, s2
	s_cbranch_execz .LBB338_146
; %bb.139:                              ;   in Loop: Header=BB338_13 Depth=1
	v_cmp_ne_u16_sdwa s2, v65, v43 src0_sel:BYTE_1 src1_sel:DWORD
	v_bfrev_b32_e32 v63, 1
	s_and_saveexec_b32 s50, s2
	s_cbranch_execz .LBB338_145
; %bb.140:                              ;   in Loop: Header=BB338_13 Depth=1
	v_and_b32_sdwa v27, v44, v65 dst_sel:DWORD dst_unused:UNUSED_PAD src0_sel:DWORD src1_sel:BYTE_1
	v_mov_b32_e32 v63, 0x7f800001
	s_mov_b32 s51, exec_lo
	v_and_b32_e32 v66, 0x7f, v27
	v_cmpx_ne_u32_e32 0x7f, v66
	s_cbranch_execz .LBB338_144
; %bb.141:                              ;   in Loop: Header=BB338_13 Depth=1
	v_and_b32_e32 v27, 7, v27
	v_lshrrev_b32_e32 v63, 3, v66
	s_mov_b32 s52, exec_lo
	v_cmpx_gt_u32_e32 8, v66
; %bb.142:                              ;   in Loop: Header=BB338_13 Depth=1
	v_ffbh_u32_e32 v63, v27
	v_min_u32_e32 v63, 32, v63
	v_subrev_nc_u32_e32 v66, 28, v63
	v_sub_nc_u32_e32 v63, 29, v63
	v_lshlrev_b64 v[66:67], v66, v[27:28]
	v_and_b32_e32 v27, 7, v66
; %bb.143:                              ;   in Loop: Header=BB338_13 Depth=1
	s_or_b32 exec_lo, exec_lo, s52
	v_lshlrev_b32_e32 v65, 16, v65
	v_lshlrev_b32_e32 v27, 20, v27
	v_lshl_add_u32 v63, v63, 23, 0x3c000000
	v_and_b32_e32 v65, 0x80000000, v65
	v_or3_b32 v63, v27, v65, v63
.LBB338_144:                            ;   in Loop: Header=BB338_13 Depth=1
	s_or_b32 exec_lo, exec_lo, s51
.LBB338_145:                            ;   in Loop: Header=BB338_13 Depth=1
	s_or_b32 exec_lo, exec_lo, s50
.LBB338_146:                            ;   in Loop: Header=BB338_13 Depth=1
	s_or_b32 exec_lo, exec_lo, s49
	global_load_ushort v27, v[33:34], off offset:512
	v_mov_b32_e32 v65, 0
	v_mov_b32_e32 v66, 0
	s_waitcnt vmcnt(0)
	v_and_b32_e32 v67, 0xffff, v27
	v_cmp_ne_u16_sdwa s2, v27, v28 src0_sel:BYTE_0 src1_sel:DWORD
	s_and_saveexec_b32 s49, s2
	s_cbranch_execz .LBB338_154
; %bb.147:                              ;   in Loop: Header=BB338_13 Depth=1
	v_cmp_ne_u16_sdwa s2, v67, v43 src0_sel:BYTE_0 src1_sel:DWORD
	v_bfrev_b32_e32 v66, 1
	s_and_saveexec_b32 s50, s2
	s_cbranch_execz .LBB338_153
; %bb.148:                              ;   in Loop: Header=BB338_13 Depth=1
	v_and_b32_e32 v68, 0x7f, v67
	v_mov_b32_e32 v66, 0x7f800001
	s_mov_b32 s51, exec_lo
	v_cmpx_ne_u32_e32 0x7f, v68
	s_cbranch_execz .LBB338_152
; %bb.149:                              ;   in Loop: Header=BB338_13 Depth=1
	v_and_b32_e32 v27, 7, v67
	v_lshrrev_b32_e32 v66, 3, v68
	s_mov_b32 s52, exec_lo
	v_cmpx_gt_u32_e32 8, v68
; %bb.150:                              ;   in Loop: Header=BB338_13 Depth=1
	v_ffbh_u32_e32 v66, v27
	v_min_u32_e32 v66, 32, v66
	v_subrev_nc_u32_e32 v68, 28, v66
	v_sub_nc_u32_e32 v66, 29, v66
	v_lshlrev_b64 v[68:69], v68, v[27:28]
	v_and_b32_e32 v27, 7, v68
; %bb.151:                              ;   in Loop: Header=BB338_13 Depth=1
	s_or_b32 exec_lo, exec_lo, s52
	v_lshlrev_b32_e32 v68, 24, v67
	v_lshlrev_b32_e32 v27, 20, v27
	v_lshl_add_u32 v66, v66, 23, 0x3c000000
	v_and_b32_e32 v68, 0x80000000, v68
	v_or3_b32 v66, v27, v68, v66
.LBB338_152:                            ;   in Loop: Header=BB338_13 Depth=1
	s_or_b32 exec_lo, exec_lo, s51
.LBB338_153:                            ;   in Loop: Header=BB338_13 Depth=1
	s_or_b32 exec_lo, exec_lo, s50
.LBB338_154:                            ;   in Loop: Header=BB338_13 Depth=1
	s_or_b32 exec_lo, exec_lo, s49
	v_cmp_ne_u16_sdwa s2, v67, v28 src0_sel:BYTE_1 src1_sel:DWORD
	s_and_saveexec_b32 s49, s2
	s_cbranch_execz .LBB338_162
; %bb.155:                              ;   in Loop: Header=BB338_13 Depth=1
	v_cmp_ne_u16_sdwa s2, v67, v43 src0_sel:BYTE_1 src1_sel:DWORD
	v_bfrev_b32_e32 v65, 1
	s_and_saveexec_b32 s50, s2
	s_cbranch_execz .LBB338_161
; %bb.156:                              ;   in Loop: Header=BB338_13 Depth=1
	v_and_b32_sdwa v27, v44, v67 dst_sel:DWORD dst_unused:UNUSED_PAD src0_sel:DWORD src1_sel:BYTE_1
	v_mov_b32_e32 v65, 0x7f800001
	s_mov_b32 s51, exec_lo
	v_and_b32_e32 v68, 0x7f, v27
	v_cmpx_ne_u32_e32 0x7f, v68
	s_cbranch_execz .LBB338_160
; %bb.157:                              ;   in Loop: Header=BB338_13 Depth=1
	v_and_b32_e32 v27, 7, v27
	v_lshrrev_b32_e32 v65, 3, v68
	s_mov_b32 s52, exec_lo
	v_cmpx_gt_u32_e32 8, v68
; %bb.158:                              ;   in Loop: Header=BB338_13 Depth=1
	v_ffbh_u32_e32 v65, v27
	v_min_u32_e32 v65, 32, v65
	v_subrev_nc_u32_e32 v68, 28, v65
	v_sub_nc_u32_e32 v65, 29, v65
	v_lshlrev_b64 v[68:69], v68, v[27:28]
	v_and_b32_e32 v27, 7, v68
; %bb.159:                              ;   in Loop: Header=BB338_13 Depth=1
	s_or_b32 exec_lo, exec_lo, s52
	v_lshlrev_b32_e32 v67, 16, v67
	v_lshlrev_b32_e32 v27, 20, v27
	v_lshl_add_u32 v65, v65, 23, 0x3c000000
	v_and_b32_e32 v67, 0x80000000, v67
	v_or3_b32 v65, v27, v67, v65
.LBB338_160:                            ;   in Loop: Header=BB338_13 Depth=1
	s_or_b32 exec_lo, exec_lo, s51
.LBB338_161:                            ;   in Loop: Header=BB338_13 Depth=1
	s_or_b32 exec_lo, exec_lo, s50
.LBB338_162:                            ;   in Loop: Header=BB338_13 Depth=1
	s_or_b32 exec_lo, exec_lo, s49
	global_load_ushort v27, v[33:34], off offset:520
	v_mov_b32_e32 v67, 0
	v_mov_b32_e32 v68, 0
	s_waitcnt vmcnt(0)
	v_and_b32_e32 v69, 0xffff, v27
	v_cmp_ne_u16_sdwa s2, v27, v28 src0_sel:BYTE_0 src1_sel:DWORD
	s_and_saveexec_b32 s49, s2
	s_cbranch_execz .LBB338_170
; %bb.163:                              ;   in Loop: Header=BB338_13 Depth=1
	v_cmp_ne_u16_sdwa s2, v69, v43 src0_sel:BYTE_0 src1_sel:DWORD
	v_bfrev_b32_e32 v68, 1
	s_and_saveexec_b32 s50, s2
	s_cbranch_execz .LBB338_169
; %bb.164:                              ;   in Loop: Header=BB338_13 Depth=1
	v_and_b32_e32 v70, 0x7f, v69
	v_mov_b32_e32 v68, 0x7f800001
	s_mov_b32 s51, exec_lo
	v_cmpx_ne_u32_e32 0x7f, v70
	s_cbranch_execz .LBB338_168
; %bb.165:                              ;   in Loop: Header=BB338_13 Depth=1
	v_and_b32_e32 v27, 7, v69
	v_lshrrev_b32_e32 v68, 3, v70
	s_mov_b32 s52, exec_lo
	v_cmpx_gt_u32_e32 8, v70
; %bb.166:                              ;   in Loop: Header=BB338_13 Depth=1
	v_ffbh_u32_e32 v68, v27
	v_min_u32_e32 v68, 32, v68
	v_subrev_nc_u32_e32 v70, 28, v68
	v_sub_nc_u32_e32 v68, 29, v68
	v_lshlrev_b64 v[70:71], v70, v[27:28]
	v_and_b32_e32 v27, 7, v70
; %bb.167:                              ;   in Loop: Header=BB338_13 Depth=1
	s_or_b32 exec_lo, exec_lo, s52
	v_lshlrev_b32_e32 v70, 24, v69
	v_lshlrev_b32_e32 v27, 20, v27
	v_lshl_add_u32 v68, v68, 23, 0x3c000000
	v_and_b32_e32 v70, 0x80000000, v70
	v_or3_b32 v68, v27, v70, v68
.LBB338_168:                            ;   in Loop: Header=BB338_13 Depth=1
	s_or_b32 exec_lo, exec_lo, s51
.LBB338_169:                            ;   in Loop: Header=BB338_13 Depth=1
	s_or_b32 exec_lo, exec_lo, s50
.LBB338_170:                            ;   in Loop: Header=BB338_13 Depth=1
	s_or_b32 exec_lo, exec_lo, s49
	v_cmp_ne_u16_sdwa s2, v69, v28 src0_sel:BYTE_1 src1_sel:DWORD
	s_and_saveexec_b32 s49, s2
	s_cbranch_execz .LBB338_178
; %bb.171:                              ;   in Loop: Header=BB338_13 Depth=1
	v_cmp_ne_u16_sdwa s2, v69, v43 src0_sel:BYTE_1 src1_sel:DWORD
	v_bfrev_b32_e32 v67, 1
	s_and_saveexec_b32 s50, s2
	s_cbranch_execz .LBB338_177
; %bb.172:                              ;   in Loop: Header=BB338_13 Depth=1
	v_and_b32_sdwa v27, v44, v69 dst_sel:DWORD dst_unused:UNUSED_PAD src0_sel:DWORD src1_sel:BYTE_1
	v_mov_b32_e32 v67, 0x7f800001
	s_mov_b32 s51, exec_lo
	v_and_b32_e32 v70, 0x7f, v27
	v_cmpx_ne_u32_e32 0x7f, v70
	s_cbranch_execz .LBB338_176
; %bb.173:                              ;   in Loop: Header=BB338_13 Depth=1
	v_and_b32_e32 v27, 7, v27
	v_lshrrev_b32_e32 v67, 3, v70
	s_mov_b32 s52, exec_lo
	v_cmpx_gt_u32_e32 8, v70
; %bb.174:                              ;   in Loop: Header=BB338_13 Depth=1
	v_ffbh_u32_e32 v67, v27
	v_min_u32_e32 v67, 32, v67
	v_subrev_nc_u32_e32 v70, 28, v67
	v_sub_nc_u32_e32 v67, 29, v67
	v_lshlrev_b64 v[70:71], v70, v[27:28]
	v_and_b32_e32 v27, 7, v70
; %bb.175:                              ;   in Loop: Header=BB338_13 Depth=1
	s_or_b32 exec_lo, exec_lo, s52
	v_lshlrev_b32_e32 v69, 16, v69
	v_lshlrev_b32_e32 v27, 20, v27
	v_lshl_add_u32 v67, v67, 23, 0x3c000000
	v_and_b32_e32 v69, 0x80000000, v69
	v_or3_b32 v67, v27, v69, v67
.LBB338_176:                            ;   in Loop: Header=BB338_13 Depth=1
	s_or_b32 exec_lo, exec_lo, s51
.LBB338_177:                            ;   in Loop: Header=BB338_13 Depth=1
	s_or_b32 exec_lo, exec_lo, s50
.LBB338_178:                            ;   in Loop: Header=BB338_13 Depth=1
	s_or_b32 exec_lo, exec_lo, s49
	global_load_ushort v27, v[33:34], off offset:640
	v_mov_b32_e32 v69, 0
	v_mov_b32_e32 v70, 0
	s_waitcnt vmcnt(0)
	v_and_b32_e32 v71, 0xffff, v27
	v_cmp_ne_u16_sdwa s2, v27, v28 src0_sel:BYTE_0 src1_sel:DWORD
	s_and_saveexec_b32 s49, s2
	s_cbranch_execz .LBB338_186
; %bb.179:                              ;   in Loop: Header=BB338_13 Depth=1
	v_cmp_ne_u16_sdwa s2, v71, v43 src0_sel:BYTE_0 src1_sel:DWORD
	v_bfrev_b32_e32 v70, 1
	s_and_saveexec_b32 s50, s2
	s_cbranch_execz .LBB338_185
; %bb.180:                              ;   in Loop: Header=BB338_13 Depth=1
	v_and_b32_e32 v72, 0x7f, v71
	v_mov_b32_e32 v70, 0x7f800001
	s_mov_b32 s51, exec_lo
	v_cmpx_ne_u32_e32 0x7f, v72
	s_cbranch_execz .LBB338_184
; %bb.181:                              ;   in Loop: Header=BB338_13 Depth=1
	v_and_b32_e32 v27, 7, v71
	v_lshrrev_b32_e32 v70, 3, v72
	s_mov_b32 s52, exec_lo
	v_cmpx_gt_u32_e32 8, v72
; %bb.182:                              ;   in Loop: Header=BB338_13 Depth=1
	v_ffbh_u32_e32 v70, v27
	v_min_u32_e32 v70, 32, v70
	v_subrev_nc_u32_e32 v72, 28, v70
	v_sub_nc_u32_e32 v70, 29, v70
	v_lshlrev_b64 v[72:73], v72, v[27:28]
	v_and_b32_e32 v27, 7, v72
; %bb.183:                              ;   in Loop: Header=BB338_13 Depth=1
	s_or_b32 exec_lo, exec_lo, s52
	v_lshlrev_b32_e32 v72, 24, v71
	v_lshlrev_b32_e32 v27, 20, v27
	v_lshl_add_u32 v70, v70, 23, 0x3c000000
	v_and_b32_e32 v72, 0x80000000, v72
	v_or3_b32 v70, v27, v72, v70
.LBB338_184:                            ;   in Loop: Header=BB338_13 Depth=1
	s_or_b32 exec_lo, exec_lo, s51
.LBB338_185:                            ;   in Loop: Header=BB338_13 Depth=1
	s_or_b32 exec_lo, exec_lo, s50
.LBB338_186:                            ;   in Loop: Header=BB338_13 Depth=1
	s_or_b32 exec_lo, exec_lo, s49
	v_cmp_ne_u16_sdwa s2, v71, v28 src0_sel:BYTE_1 src1_sel:DWORD
	s_and_saveexec_b32 s49, s2
	s_cbranch_execz .LBB338_194
; %bb.187:                              ;   in Loop: Header=BB338_13 Depth=1
	v_cmp_ne_u16_sdwa s2, v71, v43 src0_sel:BYTE_1 src1_sel:DWORD
	v_bfrev_b32_e32 v69, 1
	s_and_saveexec_b32 s50, s2
	s_cbranch_execz .LBB338_193
; %bb.188:                              ;   in Loop: Header=BB338_13 Depth=1
	v_and_b32_sdwa v27, v44, v71 dst_sel:DWORD dst_unused:UNUSED_PAD src0_sel:DWORD src1_sel:BYTE_1
	v_mov_b32_e32 v69, 0x7f800001
	s_mov_b32 s51, exec_lo
	v_and_b32_e32 v72, 0x7f, v27
	v_cmpx_ne_u32_e32 0x7f, v72
	s_cbranch_execz .LBB338_192
; %bb.189:                              ;   in Loop: Header=BB338_13 Depth=1
	v_and_b32_e32 v27, 7, v27
	v_lshrrev_b32_e32 v69, 3, v72
	s_mov_b32 s52, exec_lo
	v_cmpx_gt_u32_e32 8, v72
; %bb.190:                              ;   in Loop: Header=BB338_13 Depth=1
	v_ffbh_u32_e32 v69, v27
	v_min_u32_e32 v69, 32, v69
	v_subrev_nc_u32_e32 v72, 28, v69
	v_sub_nc_u32_e32 v69, 29, v69
	v_lshlrev_b64 v[72:73], v72, v[27:28]
	v_and_b32_e32 v27, 7, v72
; %bb.191:                              ;   in Loop: Header=BB338_13 Depth=1
	s_or_b32 exec_lo, exec_lo, s52
	v_lshlrev_b32_e32 v71, 16, v71
	v_lshlrev_b32_e32 v27, 20, v27
	v_lshl_add_u32 v69, v69, 23, 0x3c000000
	v_and_b32_e32 v71, 0x80000000, v71
	v_or3_b32 v69, v27, v71, v69
.LBB338_192:                            ;   in Loop: Header=BB338_13 Depth=1
	s_or_b32 exec_lo, exec_lo, s51
.LBB338_193:                            ;   in Loop: Header=BB338_13 Depth=1
	s_or_b32 exec_lo, exec_lo, s50
.LBB338_194:                            ;   in Loop: Header=BB338_13 Depth=1
	s_or_b32 exec_lo, exec_lo, s49
	global_load_ushort v27, v[33:34], off offset:648
	v_mov_b32_e32 v71, 0
	v_mov_b32_e32 v72, 0
	s_waitcnt vmcnt(0)
	v_and_b32_e32 v73, 0xffff, v27
	v_cmp_ne_u16_sdwa s2, v27, v28 src0_sel:BYTE_0 src1_sel:DWORD
	s_and_saveexec_b32 s49, s2
	s_cbranch_execz .LBB338_202
; %bb.195:                              ;   in Loop: Header=BB338_13 Depth=1
	v_cmp_ne_u16_sdwa s2, v73, v43 src0_sel:BYTE_0 src1_sel:DWORD
	v_bfrev_b32_e32 v72, 1
	s_and_saveexec_b32 s50, s2
	s_cbranch_execz .LBB338_201
; %bb.196:                              ;   in Loop: Header=BB338_13 Depth=1
	v_and_b32_e32 v74, 0x7f, v73
	v_mov_b32_e32 v72, 0x7f800001
	s_mov_b32 s51, exec_lo
	v_cmpx_ne_u32_e32 0x7f, v74
	s_cbranch_execz .LBB338_200
; %bb.197:                              ;   in Loop: Header=BB338_13 Depth=1
	v_and_b32_e32 v27, 7, v73
	v_lshrrev_b32_e32 v72, 3, v74
	s_mov_b32 s52, exec_lo
	v_cmpx_gt_u32_e32 8, v74
; %bb.198:                              ;   in Loop: Header=BB338_13 Depth=1
	v_ffbh_u32_e32 v72, v27
	v_min_u32_e32 v72, 32, v72
	v_subrev_nc_u32_e32 v74, 28, v72
	v_sub_nc_u32_e32 v72, 29, v72
	v_lshlrev_b64 v[74:75], v74, v[27:28]
	v_and_b32_e32 v27, 7, v74
; %bb.199:                              ;   in Loop: Header=BB338_13 Depth=1
	s_or_b32 exec_lo, exec_lo, s52
	v_lshlrev_b32_e32 v74, 24, v73
	v_lshlrev_b32_e32 v27, 20, v27
	v_lshl_add_u32 v72, v72, 23, 0x3c000000
	v_and_b32_e32 v74, 0x80000000, v74
	v_or3_b32 v72, v27, v74, v72
.LBB338_200:                            ;   in Loop: Header=BB338_13 Depth=1
	s_or_b32 exec_lo, exec_lo, s51
.LBB338_201:                            ;   in Loop: Header=BB338_13 Depth=1
	s_or_b32 exec_lo, exec_lo, s50
.LBB338_202:                            ;   in Loop: Header=BB338_13 Depth=1
	s_or_b32 exec_lo, exec_lo, s49
	v_cmp_ne_u16_sdwa s2, v73, v28 src0_sel:BYTE_1 src1_sel:DWORD
	s_and_saveexec_b32 s49, s2
	s_cbranch_execz .LBB338_210
; %bb.203:                              ;   in Loop: Header=BB338_13 Depth=1
	v_cmp_ne_u16_sdwa s2, v73, v43 src0_sel:BYTE_1 src1_sel:DWORD
	v_bfrev_b32_e32 v71, 1
	s_and_saveexec_b32 s50, s2
	s_cbranch_execz .LBB338_209
; %bb.204:                              ;   in Loop: Header=BB338_13 Depth=1
	v_and_b32_sdwa v27, v44, v73 dst_sel:DWORD dst_unused:UNUSED_PAD src0_sel:DWORD src1_sel:BYTE_1
	v_mov_b32_e32 v71, 0x7f800001
	s_mov_b32 s51, exec_lo
	v_and_b32_e32 v74, 0x7f, v27
	v_cmpx_ne_u32_e32 0x7f, v74
	s_cbranch_execz .LBB338_208
; %bb.205:                              ;   in Loop: Header=BB338_13 Depth=1
	v_and_b32_e32 v27, 7, v27
	v_lshrrev_b32_e32 v71, 3, v74
	s_mov_b32 s52, exec_lo
	v_cmpx_gt_u32_e32 8, v74
; %bb.206:                              ;   in Loop: Header=BB338_13 Depth=1
	v_ffbh_u32_e32 v71, v27
	v_min_u32_e32 v71, 32, v71
	v_subrev_nc_u32_e32 v74, 28, v71
	v_sub_nc_u32_e32 v71, 29, v71
	v_lshlrev_b64 v[74:75], v74, v[27:28]
	v_and_b32_e32 v27, 7, v74
; %bb.207:                              ;   in Loop: Header=BB338_13 Depth=1
	s_or_b32 exec_lo, exec_lo, s52
	v_lshlrev_b32_e32 v73, 16, v73
	v_lshlrev_b32_e32 v27, 20, v27
	v_lshl_add_u32 v71, v71, 23, 0x3c000000
	v_and_b32_e32 v73, 0x80000000, v73
	v_or3_b32 v71, v27, v73, v71
.LBB338_208:                            ;   in Loop: Header=BB338_13 Depth=1
	s_or_b32 exec_lo, exec_lo, s51
.LBB338_209:                            ;   in Loop: Header=BB338_13 Depth=1
	s_or_b32 exec_lo, exec_lo, s50
.LBB338_210:                            ;   in Loop: Header=BB338_13 Depth=1
	s_or_b32 exec_lo, exec_lo, s49
	global_load_ushort v27, v[33:34], off offset:768
	v_mov_b32_e32 v73, 0
	v_mov_b32_e32 v74, 0
	s_waitcnt vmcnt(0)
	v_and_b32_e32 v75, 0xffff, v27
	v_cmp_ne_u16_sdwa s2, v27, v28 src0_sel:BYTE_0 src1_sel:DWORD
	s_and_saveexec_b32 s49, s2
	s_cbranch_execz .LBB338_218
; %bb.211:                              ;   in Loop: Header=BB338_13 Depth=1
	v_cmp_ne_u16_sdwa s2, v75, v43 src0_sel:BYTE_0 src1_sel:DWORD
	v_bfrev_b32_e32 v74, 1
	s_and_saveexec_b32 s50, s2
	s_cbranch_execz .LBB338_217
; %bb.212:                              ;   in Loop: Header=BB338_13 Depth=1
	v_and_b32_e32 v76, 0x7f, v75
	v_mov_b32_e32 v74, 0x7f800001
	s_mov_b32 s51, exec_lo
	v_cmpx_ne_u32_e32 0x7f, v76
	s_cbranch_execz .LBB338_216
; %bb.213:                              ;   in Loop: Header=BB338_13 Depth=1
	v_and_b32_e32 v27, 7, v75
	v_lshrrev_b32_e32 v74, 3, v76
	s_mov_b32 s52, exec_lo
	v_cmpx_gt_u32_e32 8, v76
; %bb.214:                              ;   in Loop: Header=BB338_13 Depth=1
	v_ffbh_u32_e32 v74, v27
	v_min_u32_e32 v74, 32, v74
	v_subrev_nc_u32_e32 v76, 28, v74
	v_sub_nc_u32_e32 v74, 29, v74
	v_lshlrev_b64 v[76:77], v76, v[27:28]
	v_and_b32_e32 v27, 7, v76
; %bb.215:                              ;   in Loop: Header=BB338_13 Depth=1
	s_or_b32 exec_lo, exec_lo, s52
	v_lshlrev_b32_e32 v76, 24, v75
	v_lshlrev_b32_e32 v27, 20, v27
	v_lshl_add_u32 v74, v74, 23, 0x3c000000
	v_and_b32_e32 v76, 0x80000000, v76
	v_or3_b32 v74, v27, v76, v74
.LBB338_216:                            ;   in Loop: Header=BB338_13 Depth=1
	s_or_b32 exec_lo, exec_lo, s51
.LBB338_217:                            ;   in Loop: Header=BB338_13 Depth=1
	s_or_b32 exec_lo, exec_lo, s50
.LBB338_218:                            ;   in Loop: Header=BB338_13 Depth=1
	s_or_b32 exec_lo, exec_lo, s49
	v_cmp_ne_u16_sdwa s2, v75, v28 src0_sel:BYTE_1 src1_sel:DWORD
	s_and_saveexec_b32 s49, s2
	s_cbranch_execz .LBB338_226
; %bb.219:                              ;   in Loop: Header=BB338_13 Depth=1
	v_cmp_ne_u16_sdwa s2, v75, v43 src0_sel:BYTE_1 src1_sel:DWORD
	v_bfrev_b32_e32 v73, 1
	s_and_saveexec_b32 s50, s2
	s_cbranch_execz .LBB338_225
; %bb.220:                              ;   in Loop: Header=BB338_13 Depth=1
	v_and_b32_sdwa v27, v44, v75 dst_sel:DWORD dst_unused:UNUSED_PAD src0_sel:DWORD src1_sel:BYTE_1
	v_mov_b32_e32 v73, 0x7f800001
	s_mov_b32 s51, exec_lo
	v_and_b32_e32 v76, 0x7f, v27
	v_cmpx_ne_u32_e32 0x7f, v76
	s_cbranch_execz .LBB338_224
; %bb.221:                              ;   in Loop: Header=BB338_13 Depth=1
	v_and_b32_e32 v27, 7, v27
	v_lshrrev_b32_e32 v73, 3, v76
	s_mov_b32 s52, exec_lo
	v_cmpx_gt_u32_e32 8, v76
; %bb.222:                              ;   in Loop: Header=BB338_13 Depth=1
	v_ffbh_u32_e32 v73, v27
	v_min_u32_e32 v73, 32, v73
	v_subrev_nc_u32_e32 v76, 28, v73
	v_sub_nc_u32_e32 v73, 29, v73
	v_lshlrev_b64 v[76:77], v76, v[27:28]
	v_and_b32_e32 v27, 7, v76
; %bb.223:                              ;   in Loop: Header=BB338_13 Depth=1
	s_or_b32 exec_lo, exec_lo, s52
	v_lshlrev_b32_e32 v75, 16, v75
	v_lshlrev_b32_e32 v27, 20, v27
	v_lshl_add_u32 v73, v73, 23, 0x3c000000
	v_and_b32_e32 v75, 0x80000000, v75
	v_or3_b32 v73, v27, v75, v73
.LBB338_224:                            ;   in Loop: Header=BB338_13 Depth=1
	s_or_b32 exec_lo, exec_lo, s51
.LBB338_225:                            ;   in Loop: Header=BB338_13 Depth=1
	s_or_b32 exec_lo, exec_lo, s50
.LBB338_226:                            ;   in Loop: Header=BB338_13 Depth=1
	s_or_b32 exec_lo, exec_lo, s49
	global_load_ushort v27, v[33:34], off offset:776
	v_mov_b32_e32 v75, 0
	v_mov_b32_e32 v76, 0
	s_waitcnt vmcnt(0)
	v_and_b32_e32 v77, 0xffff, v27
	v_cmp_ne_u16_sdwa s2, v27, v28 src0_sel:BYTE_0 src1_sel:DWORD
	s_and_saveexec_b32 s49, s2
	s_cbranch_execz .LBB338_234
; %bb.227:                              ;   in Loop: Header=BB338_13 Depth=1
	v_cmp_ne_u16_sdwa s2, v77, v43 src0_sel:BYTE_0 src1_sel:DWORD
	v_bfrev_b32_e32 v76, 1
	s_and_saveexec_b32 s50, s2
	s_cbranch_execz .LBB338_233
; %bb.228:                              ;   in Loop: Header=BB338_13 Depth=1
	v_and_b32_e32 v78, 0x7f, v77
	v_mov_b32_e32 v76, 0x7f800001
	s_mov_b32 s51, exec_lo
	v_cmpx_ne_u32_e32 0x7f, v78
	s_cbranch_execz .LBB338_232
; %bb.229:                              ;   in Loop: Header=BB338_13 Depth=1
	v_and_b32_e32 v27, 7, v77
	v_lshrrev_b32_e32 v76, 3, v78
	s_mov_b32 s52, exec_lo
	v_cmpx_gt_u32_e32 8, v78
; %bb.230:                              ;   in Loop: Header=BB338_13 Depth=1
	v_ffbh_u32_e32 v76, v27
	v_min_u32_e32 v76, 32, v76
	v_subrev_nc_u32_e32 v78, 28, v76
	v_sub_nc_u32_e32 v76, 29, v76
	v_lshlrev_b64 v[78:79], v78, v[27:28]
	v_and_b32_e32 v27, 7, v78
; %bb.231:                              ;   in Loop: Header=BB338_13 Depth=1
	s_or_b32 exec_lo, exec_lo, s52
	v_lshlrev_b32_e32 v78, 24, v77
	v_lshlrev_b32_e32 v27, 20, v27
	v_lshl_add_u32 v76, v76, 23, 0x3c000000
	v_and_b32_e32 v78, 0x80000000, v78
	v_or3_b32 v76, v27, v78, v76
.LBB338_232:                            ;   in Loop: Header=BB338_13 Depth=1
	s_or_b32 exec_lo, exec_lo, s51
.LBB338_233:                            ;   in Loop: Header=BB338_13 Depth=1
	s_or_b32 exec_lo, exec_lo, s50
.LBB338_234:                            ;   in Loop: Header=BB338_13 Depth=1
	s_or_b32 exec_lo, exec_lo, s49
	v_cmp_ne_u16_sdwa s2, v77, v28 src0_sel:BYTE_1 src1_sel:DWORD
	s_and_saveexec_b32 s49, s2
	s_cbranch_execz .LBB338_242
; %bb.235:                              ;   in Loop: Header=BB338_13 Depth=1
	v_cmp_ne_u16_sdwa s2, v77, v43 src0_sel:BYTE_1 src1_sel:DWORD
	v_bfrev_b32_e32 v75, 1
	s_and_saveexec_b32 s50, s2
	s_cbranch_execz .LBB338_241
; %bb.236:                              ;   in Loop: Header=BB338_13 Depth=1
	v_and_b32_sdwa v27, v44, v77 dst_sel:DWORD dst_unused:UNUSED_PAD src0_sel:DWORD src1_sel:BYTE_1
	v_mov_b32_e32 v75, 0x7f800001
	s_mov_b32 s51, exec_lo
	v_and_b32_e32 v78, 0x7f, v27
	v_cmpx_ne_u32_e32 0x7f, v78
	s_cbranch_execz .LBB338_240
; %bb.237:                              ;   in Loop: Header=BB338_13 Depth=1
	v_and_b32_e32 v27, 7, v27
	v_lshrrev_b32_e32 v75, 3, v78
	s_mov_b32 s52, exec_lo
	v_cmpx_gt_u32_e32 8, v78
; %bb.238:                              ;   in Loop: Header=BB338_13 Depth=1
	v_ffbh_u32_e32 v75, v27
	v_min_u32_e32 v75, 32, v75
	v_subrev_nc_u32_e32 v78, 28, v75
	v_sub_nc_u32_e32 v75, 29, v75
	v_lshlrev_b64 v[78:79], v78, v[27:28]
	v_and_b32_e32 v27, 7, v78
; %bb.239:                              ;   in Loop: Header=BB338_13 Depth=1
	s_or_b32 exec_lo, exec_lo, s52
	v_lshlrev_b32_e32 v77, 16, v77
	v_lshlrev_b32_e32 v27, 20, v27
	v_lshl_add_u32 v75, v75, 23, 0x3c000000
	v_and_b32_e32 v77, 0x80000000, v77
	v_or3_b32 v75, v27, v77, v75
.LBB338_240:                            ;   in Loop: Header=BB338_13 Depth=1
	s_or_b32 exec_lo, exec_lo, s51
.LBB338_241:                            ;   in Loop: Header=BB338_13 Depth=1
	s_or_b32 exec_lo, exec_lo, s50
.LBB338_242:                            ;   in Loop: Header=BB338_13 Depth=1
	s_or_b32 exec_lo, exec_lo, s49
	global_load_ushort v27, v[33:34], off offset:896
	v_mov_b32_e32 v77, 0
	v_mov_b32_e32 v78, 0
	s_waitcnt vmcnt(0)
	v_and_b32_e32 v79, 0xffff, v27
	v_cmp_ne_u16_sdwa s2, v27, v28 src0_sel:BYTE_0 src1_sel:DWORD
	s_and_saveexec_b32 s49, s2
	s_cbranch_execz .LBB338_250
; %bb.243:                              ;   in Loop: Header=BB338_13 Depth=1
	v_cmp_ne_u16_sdwa s2, v79, v43 src0_sel:BYTE_0 src1_sel:DWORD
	v_bfrev_b32_e32 v78, 1
	s_and_saveexec_b32 s50, s2
	s_cbranch_execz .LBB338_249
; %bb.244:                              ;   in Loop: Header=BB338_13 Depth=1
	v_and_b32_e32 v80, 0x7f, v79
	v_mov_b32_e32 v78, 0x7f800001
	s_mov_b32 s51, exec_lo
	v_cmpx_ne_u32_e32 0x7f, v80
	s_cbranch_execz .LBB338_248
; %bb.245:                              ;   in Loop: Header=BB338_13 Depth=1
	v_and_b32_e32 v27, 7, v79
	v_lshrrev_b32_e32 v78, 3, v80
	s_mov_b32 s52, exec_lo
	v_cmpx_gt_u32_e32 8, v80
; %bb.246:                              ;   in Loop: Header=BB338_13 Depth=1
	v_ffbh_u32_e32 v78, v27
	v_min_u32_e32 v78, 32, v78
	v_subrev_nc_u32_e32 v80, 28, v78
	v_sub_nc_u32_e32 v78, 29, v78
	v_lshlrev_b64 v[80:81], v80, v[27:28]
	v_and_b32_e32 v27, 7, v80
; %bb.247:                              ;   in Loop: Header=BB338_13 Depth=1
	s_or_b32 exec_lo, exec_lo, s52
	v_lshlrev_b32_e32 v80, 24, v79
	v_lshlrev_b32_e32 v27, 20, v27
	v_lshl_add_u32 v78, v78, 23, 0x3c000000
	v_and_b32_e32 v80, 0x80000000, v80
	v_or3_b32 v78, v27, v80, v78
.LBB338_248:                            ;   in Loop: Header=BB338_13 Depth=1
	s_or_b32 exec_lo, exec_lo, s51
.LBB338_249:                            ;   in Loop: Header=BB338_13 Depth=1
	s_or_b32 exec_lo, exec_lo, s50
.LBB338_250:                            ;   in Loop: Header=BB338_13 Depth=1
	s_or_b32 exec_lo, exec_lo, s49
	v_cmp_ne_u16_sdwa s2, v79, v28 src0_sel:BYTE_1 src1_sel:DWORD
	s_and_saveexec_b32 s49, s2
	s_cbranch_execz .LBB338_258
; %bb.251:                              ;   in Loop: Header=BB338_13 Depth=1
	v_cmp_ne_u16_sdwa s2, v79, v43 src0_sel:BYTE_1 src1_sel:DWORD
	v_bfrev_b32_e32 v77, 1
	s_and_saveexec_b32 s50, s2
	s_cbranch_execz .LBB338_257
; %bb.252:                              ;   in Loop: Header=BB338_13 Depth=1
	v_and_b32_sdwa v27, v44, v79 dst_sel:DWORD dst_unused:UNUSED_PAD src0_sel:DWORD src1_sel:BYTE_1
	v_mov_b32_e32 v77, 0x7f800001
	s_mov_b32 s51, exec_lo
	v_and_b32_e32 v80, 0x7f, v27
	v_cmpx_ne_u32_e32 0x7f, v80
	s_cbranch_execz .LBB338_256
; %bb.253:                              ;   in Loop: Header=BB338_13 Depth=1
	v_and_b32_e32 v27, 7, v27
	v_lshrrev_b32_e32 v77, 3, v80
	s_mov_b32 s52, exec_lo
	v_cmpx_gt_u32_e32 8, v80
; %bb.254:                              ;   in Loop: Header=BB338_13 Depth=1
	v_ffbh_u32_e32 v77, v27
	v_min_u32_e32 v77, 32, v77
	v_subrev_nc_u32_e32 v80, 28, v77
	v_sub_nc_u32_e32 v77, 29, v77
	v_lshlrev_b64 v[80:81], v80, v[27:28]
	v_and_b32_e32 v27, 7, v80
; %bb.255:                              ;   in Loop: Header=BB338_13 Depth=1
	s_or_b32 exec_lo, exec_lo, s52
	v_lshlrev_b32_e32 v79, 16, v79
	v_lshlrev_b32_e32 v27, 20, v27
	v_lshl_add_u32 v77, v77, 23, 0x3c000000
	v_and_b32_e32 v79, 0x80000000, v79
	v_or3_b32 v77, v27, v79, v77
.LBB338_256:                            ;   in Loop: Header=BB338_13 Depth=1
	s_or_b32 exec_lo, exec_lo, s51
.LBB338_257:                            ;   in Loop: Header=BB338_13 Depth=1
	s_or_b32 exec_lo, exec_lo, s50
.LBB338_258:                            ;   in Loop: Header=BB338_13 Depth=1
	s_or_b32 exec_lo, exec_lo, s49
	global_load_ushort v27, v[33:34], off offset:904
	v_mov_b32_e32 v79, 0
	v_mov_b32_e32 v80, 0
	s_waitcnt vmcnt(0)
	v_and_b32_e32 v81, 0xffff, v27
	v_cmp_ne_u16_sdwa s2, v27, v28 src0_sel:BYTE_0 src1_sel:DWORD
	s_and_saveexec_b32 s49, s2
	s_cbranch_execz .LBB338_266
; %bb.259:                              ;   in Loop: Header=BB338_13 Depth=1
	v_cmp_ne_u16_sdwa s2, v81, v43 src0_sel:BYTE_0 src1_sel:DWORD
	v_bfrev_b32_e32 v80, 1
	s_and_saveexec_b32 s50, s2
	s_cbranch_execz .LBB338_265
; %bb.260:                              ;   in Loop: Header=BB338_13 Depth=1
	v_and_b32_e32 v82, 0x7f, v81
	v_mov_b32_e32 v80, 0x7f800001
	s_mov_b32 s51, exec_lo
	v_cmpx_ne_u32_e32 0x7f, v82
	s_cbranch_execz .LBB338_264
; %bb.261:                              ;   in Loop: Header=BB338_13 Depth=1
	v_and_b32_e32 v27, 7, v81
	v_lshrrev_b32_e32 v80, 3, v82
	s_mov_b32 s52, exec_lo
	v_cmpx_gt_u32_e32 8, v82
; %bb.262:                              ;   in Loop: Header=BB338_13 Depth=1
	v_ffbh_u32_e32 v80, v27
	v_min_u32_e32 v80, 32, v80
	v_subrev_nc_u32_e32 v82, 28, v80
	v_sub_nc_u32_e32 v80, 29, v80
	v_lshlrev_b64 v[82:83], v82, v[27:28]
	v_and_b32_e32 v27, 7, v82
; %bb.263:                              ;   in Loop: Header=BB338_13 Depth=1
	s_or_b32 exec_lo, exec_lo, s52
	v_lshlrev_b32_e32 v82, 24, v81
	v_lshlrev_b32_e32 v27, 20, v27
	v_lshl_add_u32 v80, v80, 23, 0x3c000000
	v_and_b32_e32 v82, 0x80000000, v82
	v_or3_b32 v80, v27, v82, v80
.LBB338_264:                            ;   in Loop: Header=BB338_13 Depth=1
	s_or_b32 exec_lo, exec_lo, s51
.LBB338_265:                            ;   in Loop: Header=BB338_13 Depth=1
	s_or_b32 exec_lo, exec_lo, s50
.LBB338_266:                            ;   in Loop: Header=BB338_13 Depth=1
	s_or_b32 exec_lo, exec_lo, s49
	v_cmp_ne_u16_sdwa s2, v81, v28 src0_sel:BYTE_1 src1_sel:DWORD
	s_and_saveexec_b32 s49, s2
	s_cbranch_execz .LBB338_274
; %bb.267:                              ;   in Loop: Header=BB338_13 Depth=1
	v_cmp_ne_u16_sdwa s2, v81, v43 src0_sel:BYTE_1 src1_sel:DWORD
	v_bfrev_b32_e32 v79, 1
	s_and_saveexec_b32 s50, s2
	s_cbranch_execz .LBB338_273
; %bb.268:                              ;   in Loop: Header=BB338_13 Depth=1
	v_and_b32_sdwa v27, v44, v81 dst_sel:DWORD dst_unused:UNUSED_PAD src0_sel:DWORD src1_sel:BYTE_1
	v_mov_b32_e32 v79, 0x7f800001
	s_mov_b32 s51, exec_lo
	v_and_b32_e32 v82, 0x7f, v27
	v_cmpx_ne_u32_e32 0x7f, v82
	s_cbranch_execz .LBB338_272
; %bb.269:                              ;   in Loop: Header=BB338_13 Depth=1
	v_and_b32_e32 v27, 7, v27
	v_lshrrev_b32_e32 v79, 3, v82
	s_mov_b32 s52, exec_lo
	v_cmpx_gt_u32_e32 8, v82
; %bb.270:                              ;   in Loop: Header=BB338_13 Depth=1
	v_ffbh_u32_e32 v79, v27
	v_min_u32_e32 v79, 32, v79
	v_subrev_nc_u32_e32 v82, 28, v79
	v_sub_nc_u32_e32 v79, 29, v79
	v_lshlrev_b64 v[82:83], v82, v[27:28]
	v_and_b32_e32 v27, 7, v82
; %bb.271:                              ;   in Loop: Header=BB338_13 Depth=1
	s_or_b32 exec_lo, exec_lo, s52
	v_lshlrev_b32_e32 v81, 16, v81
	v_lshlrev_b32_e32 v27, 20, v27
	v_lshl_add_u32 v79, v79, 23, 0x3c000000
	v_and_b32_e32 v81, 0x80000000, v81
	v_or3_b32 v79, v27, v81, v79
.LBB338_272:                            ;   in Loop: Header=BB338_13 Depth=1
	s_or_b32 exec_lo, exec_lo, s51
.LBB338_273:                            ;   in Loop: Header=BB338_13 Depth=1
	s_or_b32 exec_lo, exec_lo, s50
.LBB338_274:                            ;   in Loop: Header=BB338_13 Depth=1
	s_or_b32 exec_lo, exec_lo, s49
	global_load_ushort v27, v[33:34], off offset:1024
	v_mov_b32_e32 v81, 0
	v_mov_b32_e32 v82, 0
	s_waitcnt vmcnt(0)
	v_and_b32_e32 v83, 0xffff, v27
	v_cmp_ne_u16_sdwa s2, v27, v28 src0_sel:BYTE_0 src1_sel:DWORD
	s_and_saveexec_b32 s49, s2
	s_cbranch_execz .LBB338_282
; %bb.275:                              ;   in Loop: Header=BB338_13 Depth=1
	v_cmp_ne_u16_sdwa s2, v83, v43 src0_sel:BYTE_0 src1_sel:DWORD
	v_bfrev_b32_e32 v82, 1
	s_and_saveexec_b32 s50, s2
	s_cbranch_execz .LBB338_281
; %bb.276:                              ;   in Loop: Header=BB338_13 Depth=1
	v_and_b32_e32 v84, 0x7f, v83
	v_mov_b32_e32 v82, 0x7f800001
	s_mov_b32 s51, exec_lo
	v_cmpx_ne_u32_e32 0x7f, v84
	s_cbranch_execz .LBB338_280
; %bb.277:                              ;   in Loop: Header=BB338_13 Depth=1
	v_and_b32_e32 v27, 7, v83
	v_lshrrev_b32_e32 v82, 3, v84
	s_mov_b32 s52, exec_lo
	v_cmpx_gt_u32_e32 8, v84
; %bb.278:                              ;   in Loop: Header=BB338_13 Depth=1
	v_ffbh_u32_e32 v82, v27
	v_min_u32_e32 v82, 32, v82
	v_subrev_nc_u32_e32 v84, 28, v82
	v_sub_nc_u32_e32 v82, 29, v82
	v_lshlrev_b64 v[84:85], v84, v[27:28]
	v_and_b32_e32 v27, 7, v84
; %bb.279:                              ;   in Loop: Header=BB338_13 Depth=1
	s_or_b32 exec_lo, exec_lo, s52
	v_lshlrev_b32_e32 v84, 24, v83
	v_lshlrev_b32_e32 v27, 20, v27
	v_lshl_add_u32 v82, v82, 23, 0x3c000000
	v_and_b32_e32 v84, 0x80000000, v84
	v_or3_b32 v82, v27, v84, v82
.LBB338_280:                            ;   in Loop: Header=BB338_13 Depth=1
	s_or_b32 exec_lo, exec_lo, s51
.LBB338_281:                            ;   in Loop: Header=BB338_13 Depth=1
	s_or_b32 exec_lo, exec_lo, s50
.LBB338_282:                            ;   in Loop: Header=BB338_13 Depth=1
	s_or_b32 exec_lo, exec_lo, s49
	v_cmp_ne_u16_sdwa s2, v83, v28 src0_sel:BYTE_1 src1_sel:DWORD
	s_and_saveexec_b32 s49, s2
	s_cbranch_execz .LBB338_290
; %bb.283:                              ;   in Loop: Header=BB338_13 Depth=1
	v_cmp_ne_u16_sdwa s2, v83, v43 src0_sel:BYTE_1 src1_sel:DWORD
	v_bfrev_b32_e32 v81, 1
	s_and_saveexec_b32 s50, s2
	s_cbranch_execz .LBB338_289
; %bb.284:                              ;   in Loop: Header=BB338_13 Depth=1
	v_and_b32_sdwa v27, v44, v83 dst_sel:DWORD dst_unused:UNUSED_PAD src0_sel:DWORD src1_sel:BYTE_1
	v_mov_b32_e32 v81, 0x7f800001
	s_mov_b32 s51, exec_lo
	v_and_b32_e32 v84, 0x7f, v27
	v_cmpx_ne_u32_e32 0x7f, v84
	s_cbranch_execz .LBB338_288
; %bb.285:                              ;   in Loop: Header=BB338_13 Depth=1
	v_and_b32_e32 v27, 7, v27
	v_lshrrev_b32_e32 v81, 3, v84
	s_mov_b32 s52, exec_lo
	v_cmpx_gt_u32_e32 8, v84
; %bb.286:                              ;   in Loop: Header=BB338_13 Depth=1
	v_ffbh_u32_e32 v81, v27
	v_min_u32_e32 v81, 32, v81
	v_subrev_nc_u32_e32 v84, 28, v81
	v_sub_nc_u32_e32 v81, 29, v81
	v_lshlrev_b64 v[84:85], v84, v[27:28]
	v_and_b32_e32 v27, 7, v84
; %bb.287:                              ;   in Loop: Header=BB338_13 Depth=1
	s_or_b32 exec_lo, exec_lo, s52
	v_lshlrev_b32_e32 v83, 16, v83
	v_lshlrev_b32_e32 v27, 20, v27
	v_lshl_add_u32 v81, v81, 23, 0x3c000000
	v_and_b32_e32 v83, 0x80000000, v83
	v_or3_b32 v81, v27, v83, v81
.LBB338_288:                            ;   in Loop: Header=BB338_13 Depth=1
	s_or_b32 exec_lo, exec_lo, s51
.LBB338_289:                            ;   in Loop: Header=BB338_13 Depth=1
	s_or_b32 exec_lo, exec_lo, s50
.LBB338_290:                            ;   in Loop: Header=BB338_13 Depth=1
	s_or_b32 exec_lo, exec_lo, s49
	global_load_ushort v27, v[33:34], off offset:1032
	v_mov_b32_e32 v83, 0
	v_mov_b32_e32 v84, 0
	s_waitcnt vmcnt(0)
	v_and_b32_e32 v85, 0xffff, v27
	v_cmp_ne_u16_sdwa s2, v27, v28 src0_sel:BYTE_0 src1_sel:DWORD
	s_and_saveexec_b32 s49, s2
	s_cbranch_execz .LBB338_298
; %bb.291:                              ;   in Loop: Header=BB338_13 Depth=1
	v_cmp_ne_u16_sdwa s2, v85, v43 src0_sel:BYTE_0 src1_sel:DWORD
	v_bfrev_b32_e32 v84, 1
	s_and_saveexec_b32 s50, s2
	s_cbranch_execz .LBB338_297
; %bb.292:                              ;   in Loop: Header=BB338_13 Depth=1
	v_and_b32_e32 v86, 0x7f, v85
	v_mov_b32_e32 v84, 0x7f800001
	s_mov_b32 s51, exec_lo
	v_cmpx_ne_u32_e32 0x7f, v86
	s_cbranch_execz .LBB338_296
; %bb.293:                              ;   in Loop: Header=BB338_13 Depth=1
	v_and_b32_e32 v27, 7, v85
	v_lshrrev_b32_e32 v84, 3, v86
	s_mov_b32 s52, exec_lo
	v_cmpx_gt_u32_e32 8, v86
; %bb.294:                              ;   in Loop: Header=BB338_13 Depth=1
	v_ffbh_u32_e32 v84, v27
	v_min_u32_e32 v84, 32, v84
	v_subrev_nc_u32_e32 v86, 28, v84
	v_sub_nc_u32_e32 v84, 29, v84
	v_lshlrev_b64 v[86:87], v86, v[27:28]
	v_and_b32_e32 v27, 7, v86
; %bb.295:                              ;   in Loop: Header=BB338_13 Depth=1
	s_or_b32 exec_lo, exec_lo, s52
	v_lshlrev_b32_e32 v86, 24, v85
	v_lshlrev_b32_e32 v27, 20, v27
	v_lshl_add_u32 v84, v84, 23, 0x3c000000
	v_and_b32_e32 v86, 0x80000000, v86
	v_or3_b32 v84, v27, v86, v84
.LBB338_296:                            ;   in Loop: Header=BB338_13 Depth=1
	s_or_b32 exec_lo, exec_lo, s51
.LBB338_297:                            ;   in Loop: Header=BB338_13 Depth=1
	s_or_b32 exec_lo, exec_lo, s50
.LBB338_298:                            ;   in Loop: Header=BB338_13 Depth=1
	s_or_b32 exec_lo, exec_lo, s49
	v_cmp_ne_u16_sdwa s2, v85, v28 src0_sel:BYTE_1 src1_sel:DWORD
	s_and_saveexec_b32 s49, s2
	s_cbranch_execz .LBB338_306
; %bb.299:                              ;   in Loop: Header=BB338_13 Depth=1
	v_cmp_ne_u16_sdwa s2, v85, v43 src0_sel:BYTE_1 src1_sel:DWORD
	v_bfrev_b32_e32 v83, 1
	s_and_saveexec_b32 s50, s2
	s_cbranch_execz .LBB338_305
; %bb.300:                              ;   in Loop: Header=BB338_13 Depth=1
	v_and_b32_sdwa v27, v44, v85 dst_sel:DWORD dst_unused:UNUSED_PAD src0_sel:DWORD src1_sel:BYTE_1
	v_mov_b32_e32 v83, 0x7f800001
	s_mov_b32 s51, exec_lo
	v_and_b32_e32 v86, 0x7f, v27
	v_cmpx_ne_u32_e32 0x7f, v86
	s_cbranch_execz .LBB338_304
; %bb.301:                              ;   in Loop: Header=BB338_13 Depth=1
	v_and_b32_e32 v27, 7, v27
	v_lshrrev_b32_e32 v83, 3, v86
	s_mov_b32 s52, exec_lo
	v_cmpx_gt_u32_e32 8, v86
; %bb.302:                              ;   in Loop: Header=BB338_13 Depth=1
	v_ffbh_u32_e32 v83, v27
	v_min_u32_e32 v83, 32, v83
	v_subrev_nc_u32_e32 v86, 28, v83
	v_sub_nc_u32_e32 v83, 29, v83
	v_lshlrev_b64 v[86:87], v86, v[27:28]
	v_and_b32_e32 v27, 7, v86
; %bb.303:                              ;   in Loop: Header=BB338_13 Depth=1
	s_or_b32 exec_lo, exec_lo, s52
	v_lshlrev_b32_e32 v85, 16, v85
	v_lshlrev_b32_e32 v27, 20, v27
	v_lshl_add_u32 v83, v83, 23, 0x3c000000
	v_and_b32_e32 v85, 0x80000000, v85
	v_or3_b32 v83, v27, v85, v83
.LBB338_304:                            ;   in Loop: Header=BB338_13 Depth=1
	s_or_b32 exec_lo, exec_lo, s51
.LBB338_305:                            ;   in Loop: Header=BB338_13 Depth=1
	s_or_b32 exec_lo, exec_lo, s50
.LBB338_306:                            ;   in Loop: Header=BB338_13 Depth=1
	s_or_b32 exec_lo, exec_lo, s49
	global_load_ushort v27, v[33:34], off offset:1152
	v_mov_b32_e32 v85, 0
	v_mov_b32_e32 v86, 0
	s_waitcnt vmcnt(0)
	v_and_b32_e32 v87, 0xffff, v27
	v_cmp_ne_u16_sdwa s2, v27, v28 src0_sel:BYTE_0 src1_sel:DWORD
	s_and_saveexec_b32 s49, s2
	s_cbranch_execz .LBB338_314
; %bb.307:                              ;   in Loop: Header=BB338_13 Depth=1
	v_cmp_ne_u16_sdwa s2, v87, v43 src0_sel:BYTE_0 src1_sel:DWORD
	v_bfrev_b32_e32 v86, 1
	s_and_saveexec_b32 s50, s2
	s_cbranch_execz .LBB338_313
; %bb.308:                              ;   in Loop: Header=BB338_13 Depth=1
	v_and_b32_e32 v88, 0x7f, v87
	v_mov_b32_e32 v86, 0x7f800001
	s_mov_b32 s51, exec_lo
	v_cmpx_ne_u32_e32 0x7f, v88
	s_cbranch_execz .LBB338_312
; %bb.309:                              ;   in Loop: Header=BB338_13 Depth=1
	v_and_b32_e32 v27, 7, v87
	v_lshrrev_b32_e32 v86, 3, v88
	s_mov_b32 s52, exec_lo
	v_cmpx_gt_u32_e32 8, v88
; %bb.310:                              ;   in Loop: Header=BB338_13 Depth=1
	v_ffbh_u32_e32 v86, v27
	v_min_u32_e32 v86, 32, v86
	v_subrev_nc_u32_e32 v88, 28, v86
	v_sub_nc_u32_e32 v86, 29, v86
	v_lshlrev_b64 v[88:89], v88, v[27:28]
	v_and_b32_e32 v27, 7, v88
; %bb.311:                              ;   in Loop: Header=BB338_13 Depth=1
	s_or_b32 exec_lo, exec_lo, s52
	v_lshlrev_b32_e32 v88, 24, v87
	v_lshlrev_b32_e32 v27, 20, v27
	v_lshl_add_u32 v86, v86, 23, 0x3c000000
	v_and_b32_e32 v88, 0x80000000, v88
	v_or3_b32 v86, v27, v88, v86
.LBB338_312:                            ;   in Loop: Header=BB338_13 Depth=1
	s_or_b32 exec_lo, exec_lo, s51
.LBB338_313:                            ;   in Loop: Header=BB338_13 Depth=1
	s_or_b32 exec_lo, exec_lo, s50
.LBB338_314:                            ;   in Loop: Header=BB338_13 Depth=1
	s_or_b32 exec_lo, exec_lo, s49
	v_cmp_ne_u16_sdwa s2, v87, v28 src0_sel:BYTE_1 src1_sel:DWORD
	s_and_saveexec_b32 s49, s2
	s_cbranch_execz .LBB338_322
; %bb.315:                              ;   in Loop: Header=BB338_13 Depth=1
	v_cmp_ne_u16_sdwa s2, v87, v43 src0_sel:BYTE_1 src1_sel:DWORD
	v_bfrev_b32_e32 v85, 1
	s_and_saveexec_b32 s50, s2
	s_cbranch_execz .LBB338_321
; %bb.316:                              ;   in Loop: Header=BB338_13 Depth=1
	v_and_b32_sdwa v27, v44, v87 dst_sel:DWORD dst_unused:UNUSED_PAD src0_sel:DWORD src1_sel:BYTE_1
	v_mov_b32_e32 v85, 0x7f800001
	s_mov_b32 s51, exec_lo
	v_and_b32_e32 v88, 0x7f, v27
	v_cmpx_ne_u32_e32 0x7f, v88
	s_cbranch_execz .LBB338_320
; %bb.317:                              ;   in Loop: Header=BB338_13 Depth=1
	v_and_b32_e32 v27, 7, v27
	v_lshrrev_b32_e32 v85, 3, v88
	s_mov_b32 s52, exec_lo
	v_cmpx_gt_u32_e32 8, v88
; %bb.318:                              ;   in Loop: Header=BB338_13 Depth=1
	v_ffbh_u32_e32 v85, v27
	v_min_u32_e32 v85, 32, v85
	v_subrev_nc_u32_e32 v88, 28, v85
	v_sub_nc_u32_e32 v85, 29, v85
	v_lshlrev_b64 v[88:89], v88, v[27:28]
	v_and_b32_e32 v27, 7, v88
; %bb.319:                              ;   in Loop: Header=BB338_13 Depth=1
	s_or_b32 exec_lo, exec_lo, s52
	v_lshlrev_b32_e32 v87, 16, v87
	v_lshlrev_b32_e32 v27, 20, v27
	v_lshl_add_u32 v85, v85, 23, 0x3c000000
	v_and_b32_e32 v87, 0x80000000, v87
	v_or3_b32 v85, v27, v87, v85
.LBB338_320:                            ;   in Loop: Header=BB338_13 Depth=1
	s_or_b32 exec_lo, exec_lo, s51
.LBB338_321:                            ;   in Loop: Header=BB338_13 Depth=1
	s_or_b32 exec_lo, exec_lo, s50
.LBB338_322:                            ;   in Loop: Header=BB338_13 Depth=1
	s_or_b32 exec_lo, exec_lo, s49
	global_load_ushort v27, v[33:34], off offset:1160
	v_mov_b32_e32 v87, 0
	v_mov_b32_e32 v88, 0
	s_waitcnt vmcnt(0)
	v_and_b32_e32 v89, 0xffff, v27
	v_cmp_ne_u16_sdwa s2, v27, v28 src0_sel:BYTE_0 src1_sel:DWORD
	s_and_saveexec_b32 s49, s2
	s_cbranch_execz .LBB338_330
; %bb.323:                              ;   in Loop: Header=BB338_13 Depth=1
	v_cmp_ne_u16_sdwa s2, v89, v43 src0_sel:BYTE_0 src1_sel:DWORD
	v_bfrev_b32_e32 v88, 1
	s_and_saveexec_b32 s50, s2
	s_cbranch_execz .LBB338_329
; %bb.324:                              ;   in Loop: Header=BB338_13 Depth=1
	v_and_b32_e32 v90, 0x7f, v89
	v_mov_b32_e32 v88, 0x7f800001
	s_mov_b32 s51, exec_lo
	v_cmpx_ne_u32_e32 0x7f, v90
	s_cbranch_execz .LBB338_328
; %bb.325:                              ;   in Loop: Header=BB338_13 Depth=1
	v_and_b32_e32 v27, 7, v89
	v_lshrrev_b32_e32 v88, 3, v90
	s_mov_b32 s52, exec_lo
	v_cmpx_gt_u32_e32 8, v90
; %bb.326:                              ;   in Loop: Header=BB338_13 Depth=1
	v_ffbh_u32_e32 v88, v27
	v_min_u32_e32 v88, 32, v88
	v_subrev_nc_u32_e32 v90, 28, v88
	v_sub_nc_u32_e32 v88, 29, v88
	v_lshlrev_b64 v[90:91], v90, v[27:28]
	v_and_b32_e32 v27, 7, v90
; %bb.327:                              ;   in Loop: Header=BB338_13 Depth=1
	s_or_b32 exec_lo, exec_lo, s52
	v_lshlrev_b32_e32 v90, 24, v89
	v_lshlrev_b32_e32 v27, 20, v27
	v_lshl_add_u32 v88, v88, 23, 0x3c000000
	v_and_b32_e32 v90, 0x80000000, v90
	v_or3_b32 v88, v27, v90, v88
.LBB338_328:                            ;   in Loop: Header=BB338_13 Depth=1
	s_or_b32 exec_lo, exec_lo, s51
.LBB338_329:                            ;   in Loop: Header=BB338_13 Depth=1
	s_or_b32 exec_lo, exec_lo, s50
.LBB338_330:                            ;   in Loop: Header=BB338_13 Depth=1
	s_or_b32 exec_lo, exec_lo, s49
	v_cmp_ne_u16_sdwa s2, v89, v28 src0_sel:BYTE_1 src1_sel:DWORD
	s_and_saveexec_b32 s49, s2
	s_cbranch_execz .LBB338_338
; %bb.331:                              ;   in Loop: Header=BB338_13 Depth=1
	v_cmp_ne_u16_sdwa s2, v89, v43 src0_sel:BYTE_1 src1_sel:DWORD
	v_bfrev_b32_e32 v87, 1
	s_and_saveexec_b32 s50, s2
	s_cbranch_execz .LBB338_337
; %bb.332:                              ;   in Loop: Header=BB338_13 Depth=1
	v_and_b32_sdwa v27, v44, v89 dst_sel:DWORD dst_unused:UNUSED_PAD src0_sel:DWORD src1_sel:BYTE_1
	v_mov_b32_e32 v87, 0x7f800001
	s_mov_b32 s51, exec_lo
	v_and_b32_e32 v90, 0x7f, v27
	v_cmpx_ne_u32_e32 0x7f, v90
	s_cbranch_execz .LBB338_336
; %bb.333:                              ;   in Loop: Header=BB338_13 Depth=1
	v_and_b32_e32 v27, 7, v27
	v_lshrrev_b32_e32 v87, 3, v90
	s_mov_b32 s52, exec_lo
	v_cmpx_gt_u32_e32 8, v90
; %bb.334:                              ;   in Loop: Header=BB338_13 Depth=1
	v_ffbh_u32_e32 v87, v27
	v_min_u32_e32 v87, 32, v87
	v_subrev_nc_u32_e32 v90, 28, v87
	v_sub_nc_u32_e32 v87, 29, v87
	v_lshlrev_b64 v[90:91], v90, v[27:28]
	v_and_b32_e32 v27, 7, v90
; %bb.335:                              ;   in Loop: Header=BB338_13 Depth=1
	s_or_b32 exec_lo, exec_lo, s52
	v_lshlrev_b32_e32 v89, 16, v89
	v_lshlrev_b32_e32 v27, 20, v27
	v_lshl_add_u32 v87, v87, 23, 0x3c000000
	v_and_b32_e32 v89, 0x80000000, v89
	v_or3_b32 v87, v27, v89, v87
.LBB338_336:                            ;   in Loop: Header=BB338_13 Depth=1
	s_or_b32 exec_lo, exec_lo, s51
.LBB338_337:                            ;   in Loop: Header=BB338_13 Depth=1
	s_or_b32 exec_lo, exec_lo, s50
.LBB338_338:                            ;   in Loop: Header=BB338_13 Depth=1
	s_or_b32 exec_lo, exec_lo, s49
	global_load_ushort v27, v[33:34], off offset:1280
	v_mov_b32_e32 v90, 0
	v_mov_b32_e32 v89, 0
	s_waitcnt vmcnt(0)
	v_and_b32_e32 v91, 0xffff, v27
	v_cmp_ne_u16_sdwa s2, v27, v28 src0_sel:BYTE_0 src1_sel:DWORD
	s_and_saveexec_b32 s49, s2
	s_cbranch_execz .LBB338_346
; %bb.339:                              ;   in Loop: Header=BB338_13 Depth=1
	v_cmp_ne_u16_sdwa s2, v91, v43 src0_sel:BYTE_0 src1_sel:DWORD
	v_bfrev_b32_e32 v89, 1
	s_and_saveexec_b32 s50, s2
	s_cbranch_execz .LBB338_345
; %bb.340:                              ;   in Loop: Header=BB338_13 Depth=1
	v_and_b32_e32 v92, 0x7f, v91
	v_mov_b32_e32 v89, 0x7f800001
	s_mov_b32 s51, exec_lo
	v_cmpx_ne_u32_e32 0x7f, v92
	s_cbranch_execz .LBB338_344
; %bb.341:                              ;   in Loop: Header=BB338_13 Depth=1
	v_and_b32_e32 v27, 7, v91
	v_lshrrev_b32_e32 v89, 3, v92
	s_mov_b32 s52, exec_lo
	v_cmpx_gt_u32_e32 8, v92
; %bb.342:                              ;   in Loop: Header=BB338_13 Depth=1
	v_ffbh_u32_e32 v89, v27
	v_min_u32_e32 v89, 32, v89
	v_subrev_nc_u32_e32 v92, 28, v89
	v_sub_nc_u32_e32 v89, 29, v89
	v_lshlrev_b64 v[92:93], v92, v[27:28]
	v_and_b32_e32 v27, 7, v92
; %bb.343:                              ;   in Loop: Header=BB338_13 Depth=1
	s_or_b32 exec_lo, exec_lo, s52
	v_lshlrev_b32_e32 v92, 24, v91
	v_lshlrev_b32_e32 v27, 20, v27
	v_lshl_add_u32 v89, v89, 23, 0x3c000000
	v_and_b32_e32 v92, 0x80000000, v92
	v_or3_b32 v89, v27, v92, v89
.LBB338_344:                            ;   in Loop: Header=BB338_13 Depth=1
	s_or_b32 exec_lo, exec_lo, s51
.LBB338_345:                            ;   in Loop: Header=BB338_13 Depth=1
	s_or_b32 exec_lo, exec_lo, s50
.LBB338_346:                            ;   in Loop: Header=BB338_13 Depth=1
	s_or_b32 exec_lo, exec_lo, s49
	v_cmp_ne_u16_sdwa s2, v91, v28 src0_sel:BYTE_1 src1_sel:DWORD
	s_and_saveexec_b32 s49, s2
	s_cbranch_execz .LBB338_354
; %bb.347:                              ;   in Loop: Header=BB338_13 Depth=1
	v_cmp_ne_u16_sdwa s2, v91, v43 src0_sel:BYTE_1 src1_sel:DWORD
	v_bfrev_b32_e32 v90, 1
	s_and_saveexec_b32 s50, s2
	s_cbranch_execz .LBB338_353
; %bb.348:                              ;   in Loop: Header=BB338_13 Depth=1
	v_and_b32_sdwa v27, v44, v91 dst_sel:DWORD dst_unused:UNUSED_PAD src0_sel:DWORD src1_sel:BYTE_1
	v_mov_b32_e32 v90, 0x7f800001
	s_mov_b32 s51, exec_lo
	v_and_b32_e32 v92, 0x7f, v27
	v_cmpx_ne_u32_e32 0x7f, v92
	s_cbranch_execz .LBB338_352
; %bb.349:                              ;   in Loop: Header=BB338_13 Depth=1
	v_and_b32_e32 v27, 7, v27
	v_lshrrev_b32_e32 v90, 3, v92
	s_mov_b32 s52, exec_lo
	v_cmpx_gt_u32_e32 8, v92
; %bb.350:                              ;   in Loop: Header=BB338_13 Depth=1
	v_ffbh_u32_e32 v90, v27
	v_min_u32_e32 v90, 32, v90
	v_subrev_nc_u32_e32 v92, 28, v90
	v_sub_nc_u32_e32 v90, 29, v90
	v_lshlrev_b64 v[92:93], v92, v[27:28]
	v_and_b32_e32 v27, 7, v92
; %bb.351:                              ;   in Loop: Header=BB338_13 Depth=1
	s_or_b32 exec_lo, exec_lo, s52
	v_lshlrev_b32_e32 v91, 16, v91
	v_lshlrev_b32_e32 v27, 20, v27
	v_lshl_add_u32 v90, v90, 23, 0x3c000000
	v_and_b32_e32 v91, 0x80000000, v91
	v_or3_b32 v90, v27, v91, v90
.LBB338_352:                            ;   in Loop: Header=BB338_13 Depth=1
	s_or_b32 exec_lo, exec_lo, s51
.LBB338_353:                            ;   in Loop: Header=BB338_13 Depth=1
	s_or_b32 exec_lo, exec_lo, s50
.LBB338_354:                            ;   in Loop: Header=BB338_13 Depth=1
	s_or_b32 exec_lo, exec_lo, s49
	global_load_ushort v27, v[33:34], off offset:1288
	v_mov_b32_e32 v92, 0
	v_mov_b32_e32 v91, 0
	s_waitcnt vmcnt(0)
	v_and_b32_e32 v93, 0xffff, v27
	v_cmp_ne_u16_sdwa s2, v27, v28 src0_sel:BYTE_0 src1_sel:DWORD
	s_and_saveexec_b32 s49, s2
	s_cbranch_execz .LBB338_362
; %bb.355:                              ;   in Loop: Header=BB338_13 Depth=1
	v_cmp_ne_u16_sdwa s2, v93, v43 src0_sel:BYTE_0 src1_sel:DWORD
	v_bfrev_b32_e32 v91, 1
	s_and_saveexec_b32 s50, s2
	s_cbranch_execz .LBB338_361
; %bb.356:                              ;   in Loop: Header=BB338_13 Depth=1
	v_and_b32_e32 v94, 0x7f, v93
	v_mov_b32_e32 v91, 0x7f800001
	s_mov_b32 s51, exec_lo
	v_cmpx_ne_u32_e32 0x7f, v94
	s_cbranch_execz .LBB338_360
; %bb.357:                              ;   in Loop: Header=BB338_13 Depth=1
	v_and_b32_e32 v27, 7, v93
	v_lshrrev_b32_e32 v91, 3, v94
	s_mov_b32 s52, exec_lo
	v_cmpx_gt_u32_e32 8, v94
; %bb.358:                              ;   in Loop: Header=BB338_13 Depth=1
	v_ffbh_u32_e32 v91, v27
	v_min_u32_e32 v91, 32, v91
	v_subrev_nc_u32_e32 v94, 28, v91
	v_sub_nc_u32_e32 v91, 29, v91
	v_lshlrev_b64 v[94:95], v94, v[27:28]
	v_and_b32_e32 v27, 7, v94
; %bb.359:                              ;   in Loop: Header=BB338_13 Depth=1
	s_or_b32 exec_lo, exec_lo, s52
	v_lshlrev_b32_e32 v94, 24, v93
	v_lshlrev_b32_e32 v27, 20, v27
	v_lshl_add_u32 v91, v91, 23, 0x3c000000
	v_and_b32_e32 v94, 0x80000000, v94
	v_or3_b32 v91, v27, v94, v91
.LBB338_360:                            ;   in Loop: Header=BB338_13 Depth=1
	s_or_b32 exec_lo, exec_lo, s51
.LBB338_361:                            ;   in Loop: Header=BB338_13 Depth=1
	s_or_b32 exec_lo, exec_lo, s50
.LBB338_362:                            ;   in Loop: Header=BB338_13 Depth=1
	s_or_b32 exec_lo, exec_lo, s49
	v_cmp_ne_u16_sdwa s2, v93, v28 src0_sel:BYTE_1 src1_sel:DWORD
	s_and_saveexec_b32 s49, s2
	s_cbranch_execz .LBB338_370
; %bb.363:                              ;   in Loop: Header=BB338_13 Depth=1
	v_cmp_ne_u16_sdwa s2, v93, v43 src0_sel:BYTE_1 src1_sel:DWORD
	v_bfrev_b32_e32 v92, 1
	s_and_saveexec_b32 s50, s2
	s_cbranch_execz .LBB338_369
; %bb.364:                              ;   in Loop: Header=BB338_13 Depth=1
	v_and_b32_sdwa v27, v44, v93 dst_sel:DWORD dst_unused:UNUSED_PAD src0_sel:DWORD src1_sel:BYTE_1
	v_mov_b32_e32 v92, 0x7f800001
	s_mov_b32 s51, exec_lo
	v_and_b32_e32 v94, 0x7f, v27
	v_cmpx_ne_u32_e32 0x7f, v94
	s_cbranch_execz .LBB338_368
; %bb.365:                              ;   in Loop: Header=BB338_13 Depth=1
	v_and_b32_e32 v27, 7, v27
	v_lshrrev_b32_e32 v92, 3, v94
	s_mov_b32 s52, exec_lo
	v_cmpx_gt_u32_e32 8, v94
; %bb.366:                              ;   in Loop: Header=BB338_13 Depth=1
	v_ffbh_u32_e32 v92, v27
	v_min_u32_e32 v92, 32, v92
	v_subrev_nc_u32_e32 v94, 28, v92
	v_sub_nc_u32_e32 v92, 29, v92
	v_lshlrev_b64 v[94:95], v94, v[27:28]
	v_and_b32_e32 v27, 7, v94
; %bb.367:                              ;   in Loop: Header=BB338_13 Depth=1
	s_or_b32 exec_lo, exec_lo, s52
	v_lshlrev_b32_e32 v93, 16, v93
	v_lshlrev_b32_e32 v27, 20, v27
	v_lshl_add_u32 v92, v92, 23, 0x3c000000
	v_and_b32_e32 v93, 0x80000000, v93
	v_or3_b32 v92, v27, v93, v92
.LBB338_368:                            ;   in Loop: Header=BB338_13 Depth=1
	s_or_b32 exec_lo, exec_lo, s51
.LBB338_369:                            ;   in Loop: Header=BB338_13 Depth=1
	s_or_b32 exec_lo, exec_lo, s50
.LBB338_370:                            ;   in Loop: Header=BB338_13 Depth=1
	s_or_b32 exec_lo, exec_lo, s49
	global_load_ushort v27, v[33:34], off offset:1408
	v_mov_b32_e32 v94, 0
	v_mov_b32_e32 v93, 0
	s_waitcnt vmcnt(0)
	v_and_b32_e32 v95, 0xffff, v27
	v_cmp_ne_u16_sdwa s2, v27, v28 src0_sel:BYTE_0 src1_sel:DWORD
	s_and_saveexec_b32 s49, s2
	s_cbranch_execz .LBB338_378
; %bb.371:                              ;   in Loop: Header=BB338_13 Depth=1
	v_cmp_ne_u16_sdwa s2, v95, v43 src0_sel:BYTE_0 src1_sel:DWORD
	v_bfrev_b32_e32 v93, 1
	s_and_saveexec_b32 s50, s2
	s_cbranch_execz .LBB338_377
; %bb.372:                              ;   in Loop: Header=BB338_13 Depth=1
	v_and_b32_e32 v96, 0x7f, v95
	v_mov_b32_e32 v93, 0x7f800001
	s_mov_b32 s51, exec_lo
	v_cmpx_ne_u32_e32 0x7f, v96
	s_cbranch_execz .LBB338_376
; %bb.373:                              ;   in Loop: Header=BB338_13 Depth=1
	v_and_b32_e32 v27, 7, v95
	v_lshrrev_b32_e32 v93, 3, v96
	s_mov_b32 s52, exec_lo
	v_cmpx_gt_u32_e32 8, v96
; %bb.374:                              ;   in Loop: Header=BB338_13 Depth=1
	v_ffbh_u32_e32 v93, v27
	v_min_u32_e32 v93, 32, v93
	v_subrev_nc_u32_e32 v96, 28, v93
	v_sub_nc_u32_e32 v93, 29, v93
	v_lshlrev_b64 v[96:97], v96, v[27:28]
	v_and_b32_e32 v27, 7, v96
; %bb.375:                              ;   in Loop: Header=BB338_13 Depth=1
	s_or_b32 exec_lo, exec_lo, s52
	v_lshlrev_b32_e32 v96, 24, v95
	v_lshlrev_b32_e32 v27, 20, v27
	v_lshl_add_u32 v93, v93, 23, 0x3c000000
	v_and_b32_e32 v96, 0x80000000, v96
	v_or3_b32 v93, v27, v96, v93
.LBB338_376:                            ;   in Loop: Header=BB338_13 Depth=1
	s_or_b32 exec_lo, exec_lo, s51
.LBB338_377:                            ;   in Loop: Header=BB338_13 Depth=1
	s_or_b32 exec_lo, exec_lo, s50
.LBB338_378:                            ;   in Loop: Header=BB338_13 Depth=1
	s_or_b32 exec_lo, exec_lo, s49
	v_cmp_ne_u16_sdwa s2, v95, v28 src0_sel:BYTE_1 src1_sel:DWORD
	s_and_saveexec_b32 s49, s2
	s_cbranch_execz .LBB338_386
; %bb.379:                              ;   in Loop: Header=BB338_13 Depth=1
	v_cmp_ne_u16_sdwa s2, v95, v43 src0_sel:BYTE_1 src1_sel:DWORD
	v_bfrev_b32_e32 v94, 1
	s_and_saveexec_b32 s50, s2
	s_cbranch_execz .LBB338_385
; %bb.380:                              ;   in Loop: Header=BB338_13 Depth=1
	v_and_b32_sdwa v27, v44, v95 dst_sel:DWORD dst_unused:UNUSED_PAD src0_sel:DWORD src1_sel:BYTE_1
	v_mov_b32_e32 v94, 0x7f800001
	s_mov_b32 s51, exec_lo
	v_and_b32_e32 v96, 0x7f, v27
	v_cmpx_ne_u32_e32 0x7f, v96
	s_cbranch_execz .LBB338_384
; %bb.381:                              ;   in Loop: Header=BB338_13 Depth=1
	v_and_b32_e32 v27, 7, v27
	v_lshrrev_b32_e32 v94, 3, v96
	s_mov_b32 s52, exec_lo
	v_cmpx_gt_u32_e32 8, v96
; %bb.382:                              ;   in Loop: Header=BB338_13 Depth=1
	v_ffbh_u32_e32 v94, v27
	v_min_u32_e32 v94, 32, v94
	v_subrev_nc_u32_e32 v96, 28, v94
	v_sub_nc_u32_e32 v94, 29, v94
	v_lshlrev_b64 v[96:97], v96, v[27:28]
	v_and_b32_e32 v27, 7, v96
; %bb.383:                              ;   in Loop: Header=BB338_13 Depth=1
	s_or_b32 exec_lo, exec_lo, s52
	v_lshlrev_b32_e32 v95, 16, v95
	v_lshlrev_b32_e32 v27, 20, v27
	v_lshl_add_u32 v94, v94, 23, 0x3c000000
	v_and_b32_e32 v95, 0x80000000, v95
	v_or3_b32 v94, v27, v95, v94
.LBB338_384:                            ;   in Loop: Header=BB338_13 Depth=1
	s_or_b32 exec_lo, exec_lo, s51
.LBB338_385:                            ;   in Loop: Header=BB338_13 Depth=1
	s_or_b32 exec_lo, exec_lo, s50
.LBB338_386:                            ;   in Loop: Header=BB338_13 Depth=1
	s_or_b32 exec_lo, exec_lo, s49
	global_load_ushort v27, v[33:34], off offset:1416
	v_mov_b32_e32 v33, 0
	v_mov_b32_e32 v34, 0
	s_waitcnt vmcnt(0)
	v_and_b32_e32 v95, 0xffff, v27
	v_cmp_ne_u16_sdwa s2, v27, v28 src0_sel:BYTE_0 src1_sel:DWORD
	s_and_saveexec_b32 s49, s2
	s_cbranch_execz .LBB338_394
; %bb.387:                              ;   in Loop: Header=BB338_13 Depth=1
	v_cmp_ne_u16_sdwa s2, v95, v43 src0_sel:BYTE_0 src1_sel:DWORD
	v_bfrev_b32_e32 v34, 1
	s_and_saveexec_b32 s50, s2
	s_cbranch_execz .LBB338_393
; %bb.388:                              ;   in Loop: Header=BB338_13 Depth=1
	v_and_b32_e32 v96, 0x7f, v95
	v_mov_b32_e32 v34, 0x7f800001
	s_mov_b32 s51, exec_lo
	v_cmpx_ne_u32_e32 0x7f, v96
	s_cbranch_execz .LBB338_392
; %bb.389:                              ;   in Loop: Header=BB338_13 Depth=1
	v_and_b32_e32 v27, 7, v95
	v_lshrrev_b32_e32 v34, 3, v96
	s_mov_b32 s52, exec_lo
	v_cmpx_gt_u32_e32 8, v96
; %bb.390:                              ;   in Loop: Header=BB338_13 Depth=1
	v_ffbh_u32_e32 v34, v27
	v_min_u32_e32 v34, 32, v34
	v_subrev_nc_u32_e32 v96, 28, v34
	v_sub_nc_u32_e32 v34, 29, v34
	v_lshlrev_b64 v[96:97], v96, v[27:28]
	v_and_b32_e32 v27, 7, v96
; %bb.391:                              ;   in Loop: Header=BB338_13 Depth=1
	s_or_b32 exec_lo, exec_lo, s52
	v_lshlrev_b32_e32 v96, 24, v95
	v_lshlrev_b32_e32 v27, 20, v27
	v_lshl_add_u32 v34, v34, 23, 0x3c000000
	v_and_b32_e32 v96, 0x80000000, v96
	v_or3_b32 v34, v27, v96, v34
.LBB338_392:                            ;   in Loop: Header=BB338_13 Depth=1
	s_or_b32 exec_lo, exec_lo, s51
.LBB338_393:                            ;   in Loop: Header=BB338_13 Depth=1
	s_or_b32 exec_lo, exec_lo, s50
.LBB338_394:                            ;   in Loop: Header=BB338_13 Depth=1
	s_or_b32 exec_lo, exec_lo, s49
	v_cmp_ne_u16_sdwa s2, v95, v28 src0_sel:BYTE_1 src1_sel:DWORD
	s_and_saveexec_b32 s49, s2
	s_cbranch_execz .LBB338_402
; %bb.395:                              ;   in Loop: Header=BB338_13 Depth=1
	v_cmp_ne_u16_sdwa s2, v95, v43 src0_sel:BYTE_1 src1_sel:DWORD
	v_bfrev_b32_e32 v33, 1
	s_and_saveexec_b32 s50, s2
	s_cbranch_execz .LBB338_401
; %bb.396:                              ;   in Loop: Header=BB338_13 Depth=1
	v_and_b32_sdwa v27, v44, v95 dst_sel:DWORD dst_unused:UNUSED_PAD src0_sel:DWORD src1_sel:BYTE_1
	v_mov_b32_e32 v33, 0x7f800001
	s_mov_b32 s51, exec_lo
	v_and_b32_e32 v96, 0x7f, v27
	v_cmpx_ne_u32_e32 0x7f, v96
	s_cbranch_execz .LBB338_400
; %bb.397:                              ;   in Loop: Header=BB338_13 Depth=1
	v_and_b32_e32 v27, 7, v27
	v_lshrrev_b32_e32 v33, 3, v96
	s_mov_b32 s52, exec_lo
	v_cmpx_gt_u32_e32 8, v96
; %bb.398:                              ;   in Loop: Header=BB338_13 Depth=1
	v_ffbh_u32_e32 v33, v27
	v_min_u32_e32 v33, 32, v33
	v_subrev_nc_u32_e32 v96, 28, v33
	v_sub_nc_u32_e32 v33, 29, v33
	v_lshlrev_b64 v[96:97], v96, v[27:28]
	v_and_b32_e32 v27, 7, v96
; %bb.399:                              ;   in Loop: Header=BB338_13 Depth=1
	s_or_b32 exec_lo, exec_lo, s52
	v_lshlrev_b32_e32 v95, 16, v95
	v_lshlrev_b32_e32 v27, 20, v27
	v_lshl_add_u32 v33, v33, 23, 0x3c000000
	v_and_b32_e32 v95, 0x80000000, v95
	v_or3_b32 v33, v27, v95, v33
.LBB338_400:                            ;   in Loop: Header=BB338_13 Depth=1
	s_or_b32 exec_lo, exec_lo, s51
.LBB338_401:                            ;   in Loop: Header=BB338_13 Depth=1
	s_or_b32 exec_lo, exec_lo, s50
.LBB338_402:                            ;   in Loop: Header=BB338_13 Depth=1
	s_or_b32 exec_lo, exec_lo, s49
	s_waitcnt lgkmcnt(0)
	v_lshlrev_b32_e32 v102, 16, v23
	v_lshlrev_b32_e32 v103, 16, v24
	v_and_b32_e32 v106, 0xffff0000, v23
	v_and_b32_e32 v107, 0xffff0000, v24
	v_lshlrev_b32_e32 v108, 16, v17
	v_lshlrev_b32_e32 v109, 16, v18
	v_and_b32_e32 v112, 0xffff0000, v17
	v_and_b32_e32 v113, 0xffff0000, v18
	;; [unrolled: 4-line block ×4, first 2 shown]
	v_lshlrev_b32_e32 v11, 16, v6
	v_and_b32_e32 v12, 0xffff0000, v6
	v_mul_f32_e32 v6, s48, v52
	v_lshlrev_b32_e32 v100, 16, v21
	v_lshlrev_b32_e32 v101, 16, v22
	v_and_b32_e32 v104, 0xffff0000, v21
	v_and_b32_e32 v105, 0xffff0000, v22
	v_lshlrev_b32_e32 v99, 16, v13
	v_lshlrev_b32_e32 v97, 16, v14
	v_and_b32_e32 v98, 0xffff0000, v13
	v_and_b32_e32 v96, 0xffff0000, v14
	v_lshlrev_b32_e32 v22, 16, v9
	v_and_b32_e32 v21, 0xffff0000, v9
	v_lshlrev_b32_e32 v14, 16, v5
	v_lshlrev_b32_e32 v9, 16, v8
	v_and_b32_e32 v13, 0xffff0000, v5
	v_and_b32_e32 v5, 0xffff0000, v8
	v_bfe_u32 v8, v6, 16, 1
	v_or_b32_e32 v52, 0x400000, v6
	v_cmp_u_f32_e64 s2, v6, v6
	v_mul_f32_e32 v49, s48, v49
	v_lshlrev_b32_e32 v110, 16, v19
	v_add3_u32 v8, v8, v6, 0x7fff
	v_and_b32_e32 v114, 0xffff0000, v19
	v_lshlrev_b32_e32 v111, 16, v20
	v_and_b32_e32 v115, 0xffff0000, v20
	v_lshlrev_b32_e32 v20, 16, v10
	v_cndmask_b32_e64 v6, v8, v52, s2
	v_mul_f32_e32 v8, s48, v50
	v_and_b32_e32 v19, 0xffff0000, v10
	v_lshlrev_b32_e32 v10, 16, v7
	v_and_b32_e32 v7, 0xffff0000, v7
	v_and_b32_e32 v6, 0xffff0000, v6
	v_bfe_u32 v50, v8, 16, 1
	v_or_b32_e32 v52, 0x400000, v8
	v_cmp_u_f32_e64 s2, v8, v8
	v_mul_f32_e32 v6, v101, v6
	v_add3_u32 v50, v50, v8, 0x7fff
	v_cndmask_b32_e64 v8, v50, v52, s2
	v_and_b32_e32 v8, 0xffff0000, v8
	v_fmac_f32_e32 v6, v100, v8
	v_mul_f32_e32 v8, s48, v51
	v_bfe_u32 v50, v8, 16, 1
	v_or_b32_e32 v51, 0x400000, v8
	v_cmp_u_f32_e64 s2, v8, v8
	v_add3_u32 v50, v50, v8, 0x7fff
	v_cndmask_b32_e64 v8, v50, v51, s2
	v_bfe_u32 v50, v49, 16, 1
	v_or_b32_e32 v51, 0x400000, v49
	v_cmp_u_f32_e64 s2, v49, v49
	v_and_b32_e32 v8, 0xffff0000, v8
	v_add3_u32 v50, v50, v49, 0x7fff
	v_mul_f32_e32 v8, v105, v8
	v_cndmask_b32_e64 v49, v50, v51, s2
	v_and_b32_e32 v49, 0xffff0000, v49
	v_fmac_f32_e32 v8, v104, v49
	v_mul_f32_e32 v49, s48, v54
	v_bfe_u32 v50, v49, 16, 1
	v_or_b32_e32 v51, 0x400000, v49
	v_cmp_u_f32_e64 s2, v49, v49
	v_add3_u32 v50, v50, v49, 0x7fff
	v_cndmask_b32_e64 v49, v50, v51, s2
	v_and_b32_e32 v49, 0xffff0000, v49
	v_fmac_f32_e32 v6, v102, v49
	v_mul_f32_e32 v49, s48, v53
	v_bfe_u32 v50, v49, 16, 1
	v_or_b32_e32 v51, 0x400000, v49
	v_cmp_u_f32_e64 s2, v49, v49
	v_add3_u32 v50, v50, v49, 0x7fff
	;; [unrolled: 8-line block ×25, first 2 shown]
	v_cndmask_b32_e64 v19, v20, v21, s2
	v_mul_f32_e32 v21, s48, v88
	v_and_b32_e32 v19, 0xffff0000, v19
	v_bfe_u32 v22, v21, 16, 1
	v_fmac_f32_e32 v6, v18, v19
	v_mul_f32_e32 v18, s48, v77
	v_add3_u32 v22, v22, v21, 0x7fff
	v_bfe_u32 v19, v18, 16, 1
	v_or_b32_e32 v20, 0x400000, v18
	v_cmp_u_f32_e64 s2, v18, v18
	v_add3_u32 v19, v19, v18, 0x7fff
	v_cndmask_b32_e64 v18, v19, v20, s2
	v_and_b32_e32 v18, 0xffff0000, v18
	v_fmac_f32_e32 v8, v17, v18
	v_mul_f32_e32 v17, s48, v80
	v_bfe_u32 v18, v17, 16, 1
	v_or_b32_e32 v19, 0x400000, v17
	v_cmp_u_f32_e64 s2, v17, v17
	v_add3_u32 v18, v18, v17, 0x7fff
	v_cndmask_b32_e64 v17, v18, v19, s2
	v_and_b32_e32 v17, 0xffff0000, v17
	v_fmac_f32_e32 v6, v16, v17
	v_mul_f32_e32 v16, s48, v79
	;; [unrolled: 8-line block ×5, first 2 shown]
	v_bfe_u32 v14, v13, 16, 1
	v_or_b32_e32 v15, 0x400000, v13
	v_cmp_u_f32_e64 s2, v13, v13
	v_add3_u32 v14, v14, v13, 0x7fff
	v_mul_f32_e32 v13, s48, v83
	v_cndmask_b32_e64 v14, v14, v15, s2
	v_bfe_u32 v15, v13, 16, 1
	v_or_b32_e32 v16, 0x400000, v13
	v_cmp_u_f32_e64 s2, v13, v13
	v_add3_u32 v15, v15, v13, 0x7fff
	v_mul_f32_e32 v13, s48, v86
	v_cndmask_b32_e64 v15, v15, v16, s2
	v_bfe_u32 v16, v13, 16, 1
	v_or_b32_e32 v17, 0x400000, v13
	v_cmp_u_f32_e64 s2, v13, v13
	v_and_b32_e32 v15, 0xffff0000, v15
	v_add3_u32 v16, v16, v13, 0x7fff
	v_and_b32_e32 v13, 0xffff0000, v14
	v_mul_f32_e32 v14, s48, v34
	v_or_b32_e32 v34, 0x400000, v21
	v_fmac_f32_e32 v8, v12, v15
	v_cndmask_b32_e64 v16, v16, v17, s2
	v_fmac_f32_e32 v6, v11, v13
	v_bfe_u32 v11, v14, 16, 1
	v_mul_f32_e32 v12, s48, v94
	v_mul_f32_e32 v15, s48, v93
	v_and_b32_e32 v13, 0xffff0000, v16
	v_or_b32_e32 v16, 0x400000, v14
	v_add3_u32 v11, v11, v14, 0x7fff
	v_bfe_u32 v17, v12, 16, 1
	v_cmp_u_f32_e64 s2, v14, v14
	v_fmac_f32_e32 v6, v10, v13
	v_bfe_u32 v10, v15, 16, 1
	v_or_b32_e32 v14, 0x400000, v12
	v_add3_u32 v13, v17, v12, 0x7fff
	v_cndmask_b32_e64 v11, v11, v16, s2
	v_mul_f32_e32 v16, s48, v92
	v_cmp_u_f32_e64 s2, v12, v12
	v_add3_u32 v10, v10, v15, 0x7fff
	v_mul_f32_e32 v17, s48, v91
	v_or_b32_e32 v18, 0x400000, v15
	v_cndmask_b32_e64 v12, v13, v14, s2
	v_bfe_u32 v13, v16, 16, 1
	v_cmp_u_f32_e64 s2, v15, v15
	v_bfe_u32 v14, v17, 16, 1
	v_mul_f32_e32 v15, s48, v90
	v_or_b32_e32 v19, 0x400000, v17
	v_add3_u32 v13, v13, v16, 0x7fff
	v_cndmask_b32_e64 v10, v10, v18, s2
	v_or_b32_e32 v18, 0x400000, v16
	v_cmp_u_f32_e64 s2, v16, v16
	v_add3_u32 v14, v14, v17, 0x7fff
	v_bfe_u32 v20, v15, 16, 1
	v_mul_f32_e32 v16, s48, v89
	v_cndmask_b32_e64 v13, v13, v18, s2
	v_cmp_u_f32_e64 s2, v17, v17
	v_add3_u32 v17, v20, v15, 0x7fff
	v_or_b32_e32 v18, 0x400000, v15
	v_bfe_u32 v20, v16, 16, 1
	v_or_b32_e32 v23, 0x400000, v16
	v_cndmask_b32_e64 v14, v14, v19, s2
	v_mul_f32_e32 v19, s48, v85
	v_cmp_u_f32_e64 s2, v15, v15
	v_or_b32_e32 v24, 0x400000, v19
	v_cndmask_b32_e64 v15, v17, v18, s2
	v_bfe_u32 v17, v19, 16, 1
	v_cmp_u_f32_e64 s2, v19, v19
	v_add3_u32 v18, v20, v16, 0x7fff
	v_mul_f32_e32 v20, s48, v87
	v_add3_u32 v17, v17, v19, 0x7fff
	v_bfe_u32 v27, v20, 16, 1
	v_cndmask_b32_e64 v17, v17, v24, s2
	v_cmp_u_f32_e64 s2, v21, v21
	v_or_b32_e32 v24, 0x400000, v20
	v_add3_u32 v19, v27, v20, 0x7fff
	v_and_b32_e32 v17, 0xffff0000, v17
	v_cndmask_b32_e64 v21, v22, v34, s2
	v_cmp_u_f32_e64 s2, v16, v16
	v_fmac_f32_e32 v8, v7, v17
	v_and_b32_e32 v7, 0xffff0000, v21
	v_cndmask_b32_e64 v16, v18, v23, s2
	v_cmp_u_f32_e64 s2, v20, v20
	v_mul_f32_e32 v20, s48, v33
	v_lshlrev_b32_e32 v17, 16, v1
	v_fmac_f32_e32 v6, v9, v7
	v_and_b32_e32 v16, 0xffff0000, v16
	v_cndmask_b32_e64 v18, v19, v24, s2
	v_and_b32_e32 v1, 0xffff0000, v1
	v_lshlrev_b32_e32 v19, 16, v2
	v_and_b32_e32 v2, 0xffff0000, v2
	v_fmac_f32_e32 v6, v17, v16
	v_and_b32_e32 v18, 0xffff0000, v18
	v_cmp_u_f32_e64 s2, v20, v20
	v_lshlrev_b32_e32 v7, 16, v3
	v_xor_b32_e32 v16, 2, v37
	v_and_b32_e32 v3, 0xffff0000, v3
	v_fmac_f32_e32 v8, v5, v18
	v_and_b32_e32 v5, 0xffff0000, v15
	v_bfe_u32 v15, v20, 16, 1
	v_lshlrev_b32_e32 v9, 16, v4
	v_and_b32_e32 v4, 0xffff0000, v4
	v_fmac_f32_e32 v8, v1, v5
	v_and_b32_e32 v1, 0xffff0000, v14
	v_and_b32_e32 v5, 0xffff0000, v13
	v_add3_u32 v13, v15, v20, 0x7fff
	v_or_b32_e32 v14, 0x400000, v20
	v_fmac_f32_e32 v6, v19, v1
	v_fmac_f32_e32 v8, v2, v5
	v_and_b32_e32 v1, 0xffff0000, v10
	v_and_b32_e32 v2, 0xffff0000, v12
	v_cndmask_b32_e64 v5, v13, v14, s2
	v_cmp_gt_i32_e64 s2, 32, v16
	v_fmac_f32_e32 v6, v7, v1
	v_fmac_f32_e32 v8, v3, v2
	v_and_b32_e32 v1, 0xffff0000, v11
	v_and_b32_e32 v2, 0xffff0000, v5
	v_cndmask_b32_e64 v3, v37, v16, s2
	v_fmac_f32_e32 v6, v9, v1
	v_fmac_f32_e32 v8, v4, v2
	v_lshlrev_b32_e32 v1, 2, v3
	v_xor_b32_e32 v3, 1, v37
	v_add_f32_e32 v2, v6, v8
	v_cmp_gt_i32_e64 s2, 32, v3
	ds_bpermute_b32 v1, v1, v2
	v_cndmask_b32_e64 v3, v37, v3, s2
	v_lshlrev_b32_e32 v3, 2, v3
	s_waitcnt lgkmcnt(0)
	v_add_f32_e32 v1, v2, v1
	ds_bpermute_b32 v2, v3, v1
	s_and_saveexec_b32 s48, vcc_lo
	s_cbranch_execz .LBB338_11
; %bb.403:                              ;   in Loop: Header=BB338_13 Depth=1
	v_add_nc_u32_e32 v3, v45, v41
	s_waitcnt lgkmcnt(0)
	v_add_f32_e32 v1, v1, v2
	v_cvt_f32_i32_e32 v3, v3
	v_mul_f32_e32 v3, s43, v3
	v_cndmask_b32_e64 v2, 0, v3, s1
	v_max_f32_e32 v3, v38, v38
	v_fmac_f32_e32 v2, s41, v1
	v_add_nc_u32_e32 v1, v39, v41
	v_max_f32_e32 v3, v3, v2
	v_cmp_gt_i32_e64 s2, s31, v1
	v_cndmask_b32_e64 v1, 0, v2, s2
	v_cndmask_b32_e64 v38, v38, v3, s2
	ds_write_b32 v46, v1
	s_branch .LBB338_11
.LBB338_404:
	s_or_b32 exec_lo, exec_lo, s46
.LBB338_405:
	s_or_b32 exec_lo, exec_lo, s45
	v_xor_b32_e32 v1, 16, v37
	v_xor_b32_e32 v3, 8, v37
	v_max_f32_e32 v5, v38, v38
	v_and_b32_e32 v21, 31, v0
	v_cmp_gt_i32_e32 vcc_lo, 32, v1
	v_cndmask_b32_e32 v1, v37, v1, vcc_lo
	v_cmp_gt_i32_e32 vcc_lo, 32, v3
	s_waitcnt lgkmcnt(0)
	v_lshlrev_b32_e32 v2, 2, v1
	v_cndmask_b32_e32 v3, v37, v3, vcc_lo
	ds_bpermute_b32 v1, v2, v38
	v_lshlrev_b32_e32 v4, 2, v3
	s_waitcnt lgkmcnt(0)
	v_max_f32_e32 v1, v1, v1
	v_max_f32_e32 v1, v5, v1
	v_xor_b32_e32 v5, 4, v37
	ds_bpermute_b32 v3, v4, v1
	v_cmp_gt_i32_e32 vcc_lo, 32, v5
	v_cndmask_b32_e32 v5, v37, v5, vcc_lo
	v_cmp_eq_u32_e32 vcc_lo, 0, v21
	v_lshlrev_b32_e32 v7, 2, v5
	v_lshlrev_b32_e32 v5, 2, v35
	s_waitcnt lgkmcnt(0)
	v_max_f32_e32 v3, v3, v3
	v_max_f32_e32 v1, v1, v3
	ds_bpermute_b32 v3, v7, v1
	s_and_saveexec_b32 s1, vcc_lo
	s_cbranch_execz .LBB338_407
; %bb.406:
	s_waitcnt lgkmcnt(0)
	v_max_f32_e32 v3, v3, v3
	v_max_f32_e32 v1, v1, v1
	;; [unrolled: 1-line block ×3, first 2 shown]
	ds_write_b32 v5, v1 offset:384
.LBB338_407:
	s_or_b32 exec_lo, exec_lo, s1
	v_cmp_gt_u32_e64 s1, 4, v21
	v_mov_b32_e32 v1, 0xff7fffff
	v_lshlrev_b32_e32 v6, 2, v21
	s_waitcnt lgkmcnt(0)
	s_barrier
	buffer_gl0_inv
	s_and_saveexec_b32 s2, s1
; %bb.408:
	ds_read_b32 v1, v6 offset:384
; %bb.409:
	s_or_b32 exec_lo, exec_lo, s2
	v_xor_b32_e32 v3, 2, v37
	v_xor_b32_e32 v9, 1, v37
	v_mov_b32_e32 v10, 0
	v_cmp_gt_i32_e64 s2, 32, v3
	v_cndmask_b32_e64 v3, v37, v3, s2
	v_cmp_gt_i32_e64 s2, 32, v9
	v_lshlrev_b32_e32 v8, 2, v3
	v_cndmask_b32_e64 v9, v37, v9, s2
	s_sub_i32 s2, s20, s44
	s_lshl_b32 s2, s2, 3
	s_waitcnt lgkmcnt(0)
	ds_bpermute_b32 v3, v8, v1
	v_max_f32_e32 v1, v1, v1
	v_lshlrev_b32_e32 v9, 2, v9
	s_add_i32 s2, s2, s33
	s_min_i32 s2, s2, s31
	s_sub_i32 s4, s2, s33
	v_cmp_gt_i32_e64 s2, s4, v0
	s_waitcnt lgkmcnt(0)
	v_max_f32_e32 v3, v3, v3
	v_max_f32_e32 v1, v1, v3
	ds_bpermute_b32 v3, v9, v1
	s_waitcnt lgkmcnt(0)
	v_max_f32_e32 v3, v3, v3
	v_max_f32_e32 v1, v1, v3
	v_lshl_add_u32 v3, v0, 2, 0x1a0
	ds_bpermute_b32 v1, v10, v1
	s_and_saveexec_b32 s5, s2
	s_cbranch_execz .LBB338_413
; %bb.410:
	v_lshl_add_u32 v11, v0, 2, 0x1a0
	v_mov_b32_e32 v10, 0
	v_mov_b32_e32 v12, v0
	s_mov_b32 s12, 0
	.p2align	6
.LBB338_411:                            ; =>This Inner Loop Header: Depth=1
	ds_read_b32 v13, v11
	v_add_nc_u32_e32 v12, 0x80, v12
	v_cmp_le_i32_e64 s3, s4, v12
	s_or_b32 s12, s3, s12
	s_waitcnt lgkmcnt(0)
	v_sub_f32_e32 v13, v13, v1
	v_mul_f32_e32 v13, 0x3fb8aa3b, v13
	v_exp_f32_e32 v13, v13
	ds_write_b32 v11, v13
	v_add_f32_e32 v10, v10, v13
	v_add_nc_u32_e32 v11, 0x200, v11
	s_andn2_b32 exec_lo, exec_lo, s12
	s_cbranch_execnz .LBB338_411
; %bb.412:
	s_or_b32 exec_lo, exec_lo, s12
.LBB338_413:
	s_or_b32 exec_lo, exec_lo, s5
	ds_bpermute_b32 v2, v2, v10
	s_waitcnt lgkmcnt(0)
	v_add_f32_e32 v2, v10, v2
	ds_bpermute_b32 v4, v4, v2
	s_waitcnt lgkmcnt(0)
	v_add_f32_e32 v2, v2, v4
	;; [unrolled: 3-line block ×5, first 2 shown]
	s_and_saveexec_b32 s3, vcc_lo
; %bb.414:
	ds_write_b32 v5, v2 offset:400
; %bb.415:
	s_or_b32 exec_lo, exec_lo, s3
	s_waitcnt lgkmcnt(0)
	s_barrier
	buffer_gl0_inv
	s_and_saveexec_b32 s3, s1
; %bb.416:
	ds_read_b32 v2, v6 offset:400
; %bb.417:
	s_or_b32 exec_lo, exec_lo, s3
	s_waitcnt lgkmcnt(0)
	ds_bpermute_b32 v4, v8, v2
	s_waitcnt lgkmcnt(0)
	v_add_f32_e32 v2, v2, v4
	ds_bpermute_b32 v4, v9, v2
	s_waitcnt lgkmcnt(0)
	v_add_f32_e32 v2, v2, v4
	v_mov_b32_e32 v4, 0
	ds_bpermute_b32 v2, v4, v2
	s_and_saveexec_b32 s1, s2
	s_cbranch_execz .LBB338_420
; %bb.418:
	s_waitcnt lgkmcnt(0)
	v_add_f32_e32 v4, 0x358637bd, v2
	s_mov_b32 s2, 0
	v_div_scale_f32 v5, null, v4, v4, 1.0
	v_div_scale_f32 v8, vcc_lo, 1.0, v4, 1.0
	v_rcp_f32_e32 v6, v5
	v_fma_f32 v7, -v5, v6, 1.0
	v_fmac_f32_e32 v6, v7, v6
	v_mul_f32_e32 v7, v8, v6
	v_fma_f32 v9, -v5, v7, v8
	v_fmac_f32_e32 v7, v9, v6
	v_fma_f32 v5, -v5, v7, v8
	v_div_fmas_f32 v5, v5, v6, v7
	v_div_fixup_f32 v4, v5, v4, 1.0
	v_mov_b32_e32 v5, v0
.LBB338_419:                            ; =>This Inner Loop Header: Depth=1
	ds_read_b32 v6, v3
	v_add_nc_u32_e32 v5, 0x80, v5
	v_cmp_le_i32_e32 vcc_lo, s4, v5
	s_or_b32 s2, vcc_lo, s2
	s_waitcnt lgkmcnt(0)
	v_mul_f32_e32 v6, v4, v6
	ds_write_b32 v3, v6
	v_add_nc_u32_e32 v3, 0x200, v3
	s_andn2_b32 exec_lo, exec_lo, s2
	s_cbranch_execnz .LBB338_419
.LBB338_420:
	s_or_b32 exec_lo, exec_lo, s1
	s_mul_i32 s1, s7, s30
	s_waitcnt lgkmcnt(0)
	s_mul_i32 s2, s1, s9
	s_mov_b32 s1, exec_lo
	s_barrier
	buffer_gl0_inv
	v_cmpx_eq_u32_e32 0, v0
	s_cbranch_execz .LBB338_422
; %bb.421:
	s_ashr_i32 s3, s2, 31
	s_mul_i32 s12, s7, s6
	s_lshl_b64 s[4:5], s[2:3], 2
	v_mov_b32_e32 v3, 0
	s_add_u32 s3, s26, s4
	s_addc_u32 s6, s27, s5
	s_ashr_i32 s13, s12, 31
	s_lshl_b64 s[12:13], s[12:13], 2
	s_add_u32 s3, s3, s12
	s_addc_u32 s6, s6, s13
	s_ashr_i32 s9, s8, 31
	s_lshl_b64 s[26:27], s[8:9], 2
	s_add_u32 s44, s3, s26
	s_addc_u32 s45, s6, s27
	s_add_u32 s3, s24, s4
	s_addc_u32 s4, s25, s5
	;; [unrolled: 2-line block ×4, first 2 shown]
	global_store_dword v3, v1, s[44:45]
	global_store_dword v3, v2, s[4:5]
.LBB338_422:
	s_or_b32 exec_lo, exec_lo, s1
	v_mov_b32_e32 v29, 0
	v_mov_b32_e32 v28, 0
	;; [unrolled: 1-line block ×6, first 2 shown]
	s_and_saveexec_b32 s1, s0
	s_cbranch_execz .LBB338_800
; %bb.423:
	s_sub_i32 s3, s42, s21
	s_ashr_i32 s0, s18, 31
	s_add_u32 s12, s38, s18
	s_addc_u32 s0, s39, s0
	s_abs_i32 s6, s22
	v_lshlrev_b32_e32 v3, 3, v21
	v_cvt_f32_u32_e32 v1, s6
	s_sub_i32 s4, 0, s6
	s_add_i32 s40, s40, -1
	v_mov_b32_e32 v10, 0
	v_add_co_u32 v11, s12, s12, v3
	v_rcp_iflag_f32_e32 v1, v1
	v_add_co_ci_u32_e64 v12, null, s0, 0, s12
	v_mov_b32_e32 v30, 0x80
	v_mov_b32_e32 v31, 0xffff
	;; [unrolled: 1-line block ×7, first 2 shown]
	v_mul_f32_e32 v4, 0x4f7ffffe, v1
	v_lshlrev_b64 v[1:2], 2, v[25:26]
	v_lshl_add_u32 v26, v35, 5, 0x1a0
	v_mov_b32_e32 v24, 0
	v_mov_b32_e32 v27, 0
	v_cvt_u32_f32_e32 v4, v4
	v_mov_b32_e32 v28, 0
	v_mov_b32_e32 v29, 0
	s_mov_b32 s9, s17
	s_mov_b32 s12, 0
	v_mul_lo_u32 v5, s4, v4
	s_lshl_b64 s[4:5], s[36:37], 2
	s_add_u32 s0, s34, s4
	s_addc_u32 s4, s35, s5
	v_add_co_u32 v13, vcc_lo, s0, v1
	v_add_co_ci_u32_e64 v14, null, s4, v2, vcc_lo
	v_mul_hi_u32 v5, v4, v5
	s_mov_b32 s4, -1
	s_mov_b32 s5, 0xffffff
	v_add_nc_u32_e32 v37, v4, v5
	s_branch .LBB338_426
.LBB338_424:                            ;   in Loop: Header=BB338_426 Depth=1
	s_or_b32 exec_lo, exec_lo, s0
	v_bfe_u32 v46, v5, 16, 1
	v_or_b32_e32 v47, 0x400000, v5
	v_bfe_u32 v48, v6, 16, 1
	v_cmp_u_f32_e32 vcc_lo, v5, v5
	v_bfe_u32 v49, v7, 16, 1
	v_add3_u32 v46, v46, v5, 0x7fff
	v_or_b32_e32 v50, 0x400000, v6
	v_add3_u32 v48, v48, v6, 0x7fff
	v_or_b32_e32 v51, 0x400000, v7
	v_add3_u32 v49, v49, v7, 0x7fff
	v_cndmask_b32_e32 v5, v46, v47, vcc_lo
	v_cmp_u_f32_e32 vcc_lo, v6, v6
	v_bfe_u32 v46, v8, 16, 1
	v_bfe_u32 v47, v1, 16, 1
	v_lshlrev_b32_e32 v19, 16, v19
	v_lshlrev_b32_e32 v78, 16, v78
	v_cndmask_b32_e32 v6, v48, v50, vcc_lo
	v_cmp_u_f32_e32 vcc_lo, v7, v7
	v_add3_u32 v46, v46, v8, 0x7fff
	v_or_b32_e32 v48, 0x400000, v8
	v_add3_u32 v47, v47, v1, 0x7fff
	v_bfe_u32 v50, v2, 16, 1
	v_cndmask_b32_e32 v7, v49, v51, vcc_lo
	v_cmp_u_f32_e32 vcc_lo, v8, v8
	v_or_b32_e32 v49, 0x400000, v1
	v_lshlrev_b32_e32 v63, 16, v63
	v_lshlrev_b32_e32 v58, 16, v58
	;; [unrolled: 1-line block ×3, first 2 shown]
	v_cndmask_b32_e32 v8, v46, v48, vcc_lo
	v_cmp_u_f32_e32 vcc_lo, v1, v1
	v_or_b32_e32 v48, 0x400000, v2
	v_and_b32_e32 v1, 0xffff0000, v6
	v_lshlrev_b32_e32 v6, 16, v82
	v_lshlrev_b32_e32 v54, 16, v54
	v_cndmask_b32_e32 v46, v47, v49, vcc_lo
	v_add3_u32 v47, v50, v2, 0x7fff
	v_bfe_u32 v49, v3, 16, 1
	v_cmp_u_f32_e32 vcc_lo, v2, v2
	v_bfe_u32 v50, v4, 16, 1
	v_mul_f32_e32 v6, v1, v6
	v_and_b32_e32 v2, 0xffff0000, v5
	v_lshlrev_b32_e32 v5, 16, v81
	v_cndmask_b32_e32 v47, v47, v48, vcc_lo
	v_add3_u32 v48, v49, v3, 0x7fff
	v_or_b32_e32 v49, 0x400000, v3
	v_cmp_u_f32_e32 vcc_lo, v3, v3
	v_add3_u32 v3, v50, v4, 0x7fff
	v_bfe_u32 v50, v6, 16, 1
	v_mul_f32_e32 v51, v2, v5
	v_and_b32_e32 v5, 0xffff0000, v8
	v_cndmask_b32_e32 v48, v48, v49, vcc_lo
	v_or_b32_e32 v49, 0x400000, v4
	v_lshlrev_b32_e32 v8, 16, v79
	v_cmp_u_f32_e32 vcc_lo, v4, v4
	v_bfe_u32 v52, v51, 16, 1
	v_and_b32_e32 v4, 0xffff0000, v7
	v_lshlrev_b32_e32 v7, 16, v80
	v_mul_f32_e32 v8, v5, v8
	v_cndmask_b32_e32 v3, v3, v49, vcc_lo
	v_add3_u32 v49, v50, v6, 0x7fff
	v_or_b32_e32 v50, 0x400000, v6
	v_cmp_u_f32_e32 vcc_lo, v6, v6
	v_bfe_u32 v79, v8, 16, 1
	v_mul_f32_e32 v80, v4, v7
	v_and_b32_e32 v6, 0xffff0000, v47
	v_lshlrev_b32_e32 v7, 16, v20
	v_cndmask_b32_e32 v49, v49, v50, vcc_lo
	v_add3_u32 v50, v52, v51, 0x7fff
	v_or_b32_e32 v52, 0x400000, v51
	v_cmp_u_f32_e32 vcc_lo, v51, v51
	v_add3_u32 v47, v79, v8, 0x7fff
	v_bfe_u32 v51, v80, 16, 1
	v_and_b32_e32 v3, 0xffff0000, v3
	v_and_b32_e32 v49, 0xffff0000, v49
	v_cndmask_b32_e32 v20, v50, v52, vcc_lo
	v_or_b32_e32 v50, 0x400000, v8
	v_mul_f32_e32 v52, v6, v7
	v_and_b32_e32 v7, 0xffff0000, v46
	v_cmp_u_f32_e32 vcc_lo, v8, v8
	v_and_b32_e32 v8, 0xffff0000, v48
	v_lshlrev_b32_e32 v48, 16, v77
	v_mul_f32_e32 v77, v3, v78
	v_mul_f32_e32 v19, v7, v19
	v_cndmask_b32_e32 v46, v47, v50, vcc_lo
	v_add3_u32 v47, v51, v80, 0x7fff
	v_or_b32_e32 v50, 0x400000, v80
	v_bfe_u32 v51, v52, 16, 1
	v_cmp_u_f32_e32 vcc_lo, v80, v80
	v_mul_f32_e32 v48, v8, v48
	v_or_b32_e32 v78, 0x400000, v52
	v_or_b32_e32 v79, 0x400000, v19
	v_add3_u32 v51, v51, v52, 0x7fff
	v_cndmask_b32_e32 v47, v47, v50, vcc_lo
	v_bfe_u32 v50, v19, 16, 1
	v_cmp_u_f32_e32 vcc_lo, v52, v52
	v_bfe_u32 v81, v48, 16, 1
	v_bfe_u32 v80, v77, 16, 1
	v_and_b32_e32 v20, 0xffff0000, v20
	v_add3_u32 v50, v50, v19, 0x7fff
	v_cndmask_b32_e32 v51, v51, v78, vcc_lo
	v_cmp_u_f32_e32 vcc_lo, v19, v19
	v_add3_u32 v52, v81, v48, 0x7fff
	v_or_b32_e32 v78, 0x400000, v48
	v_and_b32_e32 v47, 0xffff0000, v47
	v_and_b32_e32 v46, 0xffff0000, v46
	v_cndmask_b32_e32 v19, v50, v79, vcc_lo
	v_cmp_u_f32_e32 vcc_lo, v48, v48
	v_add3_u32 v50, v80, v77, 0x7fff
	v_or_b32_e32 v79, 0x400000, v77
	v_add_f32_e32 v20, v20, v49
	v_add_f32_e32 v46, v47, v46
	v_cndmask_b32_e32 v48, v52, v78, vcc_lo
	v_cmp_u_f32_e32 vcc_lo, v77, v77
	v_and_b32_e32 v19, 0xffff0000, v19
	v_and_b32_e32 v47, 0xffff0000, v51
	v_add_f32_e32 v20, v46, v20
	v_and_b32_e32 v46, 0xffff0000, v48
	v_cndmask_b32_e32 v49, v50, v79, vcc_lo
	v_lshlrev_b32_e32 v48, 16, v76
	v_add_f32_e32 v19, v19, v47
	v_lshlrev_b32_e32 v51, 16, v74
	v_lshlrev_b32_e32 v57, 16, v57
	v_and_b32_e32 v47, 0xffff0000, v49
	v_lshlrev_b32_e32 v49, 16, v75
	v_add_f32_e32 v19, v19, v20
	v_lshlrev_b32_e32 v55, 16, v55
	v_lshlrev_b32_e32 v45, 16, v45
	v_add_f32_e32 v20, v46, v47
	v_mul_f32_e32 v46, v1, v48
	v_mul_f32_e32 v47, v2, v49
	v_lshlrev_b32_e32 v49, 16, v72
	v_mul_f32_e32 v55, v8, v55
	v_add_f32_e32 v19, v20, v19
	v_bfe_u32 v20, v46, 16, 1
	v_bfe_u32 v48, v47, 16, 1
	v_cmp_u_f32_e32 vcc_lo, v46, v46
	v_mul_f32_e32 v49, v5, v49
	v_add_f32_e32 v23, v23, v19
	v_add3_u32 v19, v20, v46, 0x7fff
	v_or_b32_e32 v20, 0x400000, v46
	v_add3_u32 v48, v48, v47, 0x7fff
	v_or_b32_e32 v50, 0x400000, v47
	v_mul_f32_e32 v45, v1, v45
	v_lshlrev_b32_e32 v44, 16, v44
	v_cndmask_b32_e32 v19, v19, v20, vcc_lo
	v_cmp_u_f32_e32 vcc_lo, v47, v47
	v_bfe_u32 v20, v49, 16, 1
	v_mul_f32_e32 v47, v4, v51
	v_lshlrev_b32_e32 v51, 16, v70
	v_and_b32_e32 v19, 0xffff0000, v19
	v_cndmask_b32_e32 v46, v48, v50, vcc_lo
	v_lshlrev_b32_e32 v48, 16, v69
	v_add3_u32 v20, v20, v49, 0x7fff
	v_or_b32_e32 v50, 0x400000, v49
	v_bfe_u32 v52, v47, 16, 1
	v_cmp_u_f32_e32 vcc_lo, v49, v49
	v_mul_f32_e32 v48, v6, v48
	v_mul_f32_e32 v49, v7, v51
	v_or_b32_e32 v51, 0x400000, v47
	v_lshlrev_b32_e32 v69, 16, v73
	v_cndmask_b32_e32 v20, v20, v50, vcc_lo
	v_add3_u32 v50, v52, v47, 0x7fff
	v_bfe_u32 v52, v48, 16, 1
	v_bfe_u32 v70, v49, 16, 1
	v_cmp_u_f32_e32 vcc_lo, v47, v47
	v_and_b32_e32 v20, 0xffff0000, v20
	v_and_b32_e32 v46, 0xffff0000, v46
	v_lshlrev_b32_e32 v41, 16, v41
	v_mul_f32_e32 v44, v2, v44
	v_cndmask_b32_e32 v47, v50, v51, vcc_lo
	v_add3_u32 v50, v52, v48, 0x7fff
	v_mul_f32_e32 v51, v3, v69
	v_or_b32_e32 v52, 0x400000, v48
	v_add3_u32 v69, v70, v49, 0x7fff
	v_lshlrev_b32_e32 v70, 16, v71
	v_cmp_u_f32_e32 vcc_lo, v48, v48
	v_or_b32_e32 v71, 0x400000, v49
	v_bfe_u32 v72, v51, 16, 1
	v_and_b32_e32 v47, 0xffff0000, v47
	v_add_f32_e32 v19, v46, v19
	v_cndmask_b32_e32 v48, v50, v52, vcc_lo
	v_mul_f32_e32 v50, v8, v70
	v_cmp_u_f32_e32 vcc_lo, v49, v49
	v_add3_u32 v52, v72, v51, 0x7fff
	v_add_f32_e32 v20, v47, v20
	v_and_b32_e32 v47, 0xffff0000, v48
	v_bfe_u32 v70, v50, 16, 1
	v_cndmask_b32_e32 v49, v69, v71, vcc_lo
	v_or_b32_e32 v69, 0x400000, v51
	v_cmp_u_f32_e32 vcc_lo, v51, v51
	v_lshlrev_b32_e32 v48, 16, v68
	v_add_f32_e32 v19, v20, v19
	v_and_b32_e32 v46, 0xffff0000, v49
	v_lshlrev_b32_e32 v49, 16, v67
	v_cndmask_b32_e32 v51, v52, v69, vcc_lo
	v_add3_u32 v52, v70, v50, 0x7fff
	v_or_b32_e32 v69, 0x400000, v50
	v_cmp_u_f32_e32 vcc_lo, v50, v50
	v_mul_f32_e32 v48, v1, v48
	v_add_f32_e32 v20, v46, v47
	v_mul_f32_e32 v46, v2, v49
	v_and_b32_e32 v49, 0xffff0000, v51
	v_cndmask_b32_e32 v50, v52, v69, vcc_lo
	v_lshlrev_b32_e32 v52, 16, v64
	v_add_f32_e32 v19, v20, v19
	v_bfe_u32 v51, v46, 16, 1
	v_cmp_u_f32_e32 vcc_lo, v48, v48
	v_and_b32_e32 v47, 0xffff0000, v50
	v_bfe_u32 v50, v48, 16, 1
	v_lshlrev_b32_e32 v64, 16, v66
	v_mul_f32_e32 v41, v5, v41
	v_lshlrev_b32_e32 v43, 16, v43
	v_add_f32_e32 v20, v47, v49
	v_add3_u32 v47, v50, v48, 0x7fff
	v_or_b32_e32 v49, 0x400000, v48
	v_add3_u32 v50, v51, v46, 0x7fff
	v_mul_f32_e32 v51, v5, v52
	v_or_b32_e32 v52, 0x400000, v46
	v_lshlrev_b32_e32 v39, 16, v39
	v_cndmask_b32_e32 v47, v47, v49, vcc_lo
	v_cmp_u_f32_e32 vcc_lo, v46, v46
	v_bfe_u32 v48, v51, 16, 1
	v_mul_f32_e32 v49, v4, v64
	v_lshlrev_b32_e32 v64, 16, v65
	v_and_b32_e32 v47, 0xffff0000, v47
	v_cndmask_b32_e32 v46, v50, v52, vcc_lo
	v_lshlrev_b32_e32 v50, 16, v61
	v_add3_u32 v48, v48, v51, 0x7fff
	v_or_b32_e32 v52, 0x400000, v51
	v_lshlrev_b32_e32 v61, 16, v62
	v_bfe_u32 v62, v49, 16, 1
	v_mul_f32_e32 v50, v6, v50
	v_cmp_u_f32_e32 vcc_lo, v51, v51
	v_and_b32_e32 v46, 0xffff0000, v46
	v_mul_f32_e32 v51, v7, v61
	v_or_b32_e32 v61, 0x400000, v49
	v_mul_f32_e32 v43, v4, v43
	v_cndmask_b32_e32 v48, v48, v52, vcc_lo
	v_add3_u32 v52, v62, v49, 0x7fff
	v_bfe_u32 v62, v50, 16, 1
	v_cmp_u_f32_e32 vcc_lo, v49, v49
	v_bfe_u32 v65, v51, 16, 1
	v_and_b32_e32 v48, 0xffff0000, v48
	v_add_f32_e32 v46, v46, v47
	v_mul_f32_e32 v39, v6, v39
	v_cndmask_b32_e32 v49, v52, v61, vcc_lo
	v_add3_u32 v52, v62, v50, 0x7fff
	v_mul_f32_e32 v61, v3, v64
	v_or_b32_e32 v62, 0x400000, v50
	v_cmp_u_f32_e32 vcc_lo, v50, v50
	v_add3_u32 v64, v65, v51, 0x7fff
	v_or_b32_e32 v65, 0x400000, v51
	v_bfe_u32 v66, v61, 16, 1
	v_and_b32_e32 v49, 0xffff0000, v49
	v_cndmask_b32_e32 v50, v52, v62, vcc_lo
	v_mul_f32_e32 v52, v8, v63
	v_cmp_u_f32_e32 vcc_lo, v51, v51
	v_add3_u32 v62, v66, v61, 0x7fff
	v_or_b32_e32 v63, 0x400000, v61
	v_add_f32_e32 v47, v49, v48
	v_and_b32_e32 v49, 0xffff0000, v50
	v_cndmask_b32_e32 v51, v64, v65, vcc_lo
	v_bfe_u32 v64, v52, 16, 1
	v_cmp_u_f32_e32 vcc_lo, v61, v61
	v_lshlrev_b32_e32 v50, 16, v60
	v_add_f32_e32 v46, v47, v46
	v_and_b32_e32 v48, 0xffff0000, v51
	v_lshlrev_b32_e32 v38, 16, v38
	v_cndmask_b32_e32 v61, v62, v63, vcc_lo
	v_add3_u32 v62, v64, v52, 0x7fff
	v_or_b32_e32 v63, 0x400000, v52
	v_cmp_u_f32_e32 vcc_lo, v52, v52
	v_lshlrev_b32_e32 v52, 16, v59
	v_add_f32_e32 v47, v48, v49
	v_mul_f32_e32 v48, v1, v50
	v_lshlrev_b32_e32 v42, 16, v42
	v_cndmask_b32_e32 v51, v62, v63, vcc_lo
	v_mul_f32_e32 v50, v2, v52
	v_lshlrev_b32_e32 v52, 16, v56
	v_bfe_u32 v56, v48, 16, 1
	v_add_f32_e32 v46, v47, v46
	v_and_b32_e32 v49, 0xffff0000, v51
	v_and_b32_e32 v51, 0xffff0000, v61
	v_bfe_u32 v59, v50, 16, 1
	v_cmp_u_f32_e32 vcc_lo, v48, v48
	v_mul_f32_e32 v38, v7, v38
	v_mul_f32_e32 v42, v3, v42
	v_add_f32_e32 v47, v49, v51
	v_mul_f32_e32 v49, v5, v52
	v_add3_u32 v51, v56, v48, 0x7fff
	v_or_b32_e32 v52, 0x400000, v48
	v_add3_u32 v56, v59, v50, 0x7fff
	v_or_b32_e32 v59, 0x400000, v50
	v_bfe_u32 v60, v49, 16, 1
	v_lshlrev_b32_e32 v40, 16, v40
	v_cndmask_b32_e32 v48, v51, v52, vcc_lo
	v_cmp_u_f32_e32 vcc_lo, v50, v50
	v_mul_f32_e32 v51, v4, v58
	v_add3_u32 v52, v60, v49, 0x7fff
	v_mul_f32_e32 v40, v8, v40
	v_and_b32_e32 v48, 0xffff0000, v48
	v_cndmask_b32_e32 v50, v56, v59, vcc_lo
	v_or_b32_e32 v56, 0x400000, v49
	v_cmp_u_f32_e32 vcc_lo, v49, v49
	v_bfe_u32 v58, v51, 16, 1
	v_lshlrev_b32_e32 v17, 16, v17
	v_and_b32_e32 v50, 0xffff0000, v50
	v_lshlrev_b32_e32 v15, 16, v15
	v_cndmask_b32_e32 v49, v52, v56, vcc_lo
	v_mul_f32_e32 v52, v6, v53
	v_mul_f32_e32 v53, v7, v54
	v_add3_u32 v54, v58, v51, 0x7fff
	v_or_b32_e32 v56, 0x400000, v51
	v_cmp_u_f32_e32 vcc_lo, v51, v51
	v_bfe_u32 v58, v52, 16, 1
	v_bfe_u32 v59, v53, 16, 1
	v_and_b32_e32 v49, 0xffff0000, v49
	v_add_f32_e32 v48, v50, v48
	v_cndmask_b32_e32 v51, v54, v56, vcc_lo
	v_mul_f32_e32 v54, v3, v57
	v_add3_u32 v56, v58, v52, 0x7fff
	v_or_b32_e32 v57, 0x400000, v52
	v_cmp_u_f32_e32 vcc_lo, v52, v52
	v_add3_u32 v58, v59, v53, 0x7fff
	v_or_b32_e32 v59, 0x400000, v53
	v_bfe_u32 v60, v54, 16, 1
	v_and_b32_e32 v51, 0xffff0000, v51
	v_cndmask_b32_e32 v52, v56, v57, vcc_lo
	v_cmp_u_f32_e32 vcc_lo, v53, v53
	v_or_b32_e32 v57, 0x400000, v54
	v_add3_u32 v56, v60, v54, 0x7fff
	v_add_f32_e32 v49, v51, v49
	v_and_b32_e32 v51, 0xffff0000, v52
	v_cndmask_b32_e32 v53, v58, v59, vcc_lo
	v_cmp_u_f32_e32 vcc_lo, v54, v54
	v_mul_f32_e32 v5, v5, v17
	v_add_f32_e32 v48, v49, v48
	v_lshlrev_b32_e32 v17, 16, v83
	v_and_b32_e32 v50, 0xffff0000, v53
	v_cndmask_b32_e32 v54, v56, v57, vcc_lo
	v_bfe_u32 v56, v55, 16, 1
	v_or_b32_e32 v53, 0x400000, v55
	v_cmp_u_f32_e32 vcc_lo, v55, v55
	v_add_f32_e32 v49, v50, v51
	v_bfe_u32 v51, v45, 16, 1
	v_add3_u32 v52, v56, v55, 0x7fff
	v_mul_f32_e32 v4, v4, v17
	v_mul_f32_e32 v6, v6, v15
	v_add_f32_e32 v48, v49, v48
	v_lshlrev_b32_e32 v9, 16, v9
	v_cndmask_b32_e32 v50, v52, v53, vcc_lo
	v_bfe_u32 v53, v44, 16, 1
	v_cmp_u_f32_e32 vcc_lo, v45, v45
	v_and_b32_e32 v52, 0xffff0000, v54
	v_or_b32_e32 v54, 0x400000, v41
	v_and_b32_e32 v49, 0xffff0000, v50
	v_add3_u32 v50, v51, v45, 0x7fff
	v_or_b32_e32 v51, 0x400000, v45
	v_mul_f32_e32 v7, v7, v9
	v_lshlrev_b32_e32 v9, 16, v18
	v_lshlrev_b32_e32 v16, 16, v16
	v_cndmask_b32_e32 v45, v50, v51, vcc_lo
	v_bfe_u32 v50, v41, 16, 1
	v_add3_u32 v51, v53, v44, 0x7fff
	v_or_b32_e32 v53, 0x400000, v44
	v_cmp_u_f32_e32 vcc_lo, v44, v44
	v_and_b32_e32 v45, 0xffff0000, v45
	v_add3_u32 v50, v50, v41, 0x7fff
	v_mul_f32_e32 v3, v3, v9
	v_mul_f32_e32 v8, v8, v16
	v_cndmask_b32_e32 v44, v51, v53, vcc_lo
	v_bfe_u32 v51, v43, 16, 1
	v_cmp_u_f32_e32 vcc_lo, v41, v41
	v_or_b32_e32 v53, 0x400000, v43
	v_or_b32_e32 v9, 0x400000, v6
	v_and_b32_e32 v44, 0xffff0000, v44
	v_add3_u32 v51, v51, v43, 0x7fff
	v_cndmask_b32_e32 v41, v50, v54, vcc_lo
	v_bfe_u32 v50, v39, 16, 1
	v_cmp_u_f32_e32 vcc_lo, v43, v43
	v_or_b32_e32 v54, 0x400000, v39
	v_add_f32_e32 v44, v44, v45
	v_and_b32_e32 v41, 0xffff0000, v41
	v_add3_u32 v50, v50, v39, 0x7fff
	v_cndmask_b32_e32 v43, v51, v53, vcc_lo
	v_bfe_u32 v51, v38, 16, 1
	v_cmp_u_f32_e32 vcc_lo, v39, v39
	v_bfe_u32 v53, v42, 16, 1
	v_or_b32_e32 v16, 0x400000, v7
	v_and_b32_e32 v43, 0xffff0000, v43
	v_bfe_u32 v18, v3, 16, 1
	v_cndmask_b32_e32 v39, v50, v54, vcc_lo
	v_add3_u32 v50, v51, v38, 0x7fff
	v_or_b32_e32 v51, 0x400000, v38
	v_cmp_u_f32_e32 vcc_lo, v38, v38
	v_add3_u32 v53, v53, v42, 0x7fff
	v_or_b32_e32 v54, 0x400000, v42
	v_add_f32_e32 v41, v43, v41
	v_lshlrev_b32_e32 v43, 16, v84
	v_cndmask_b32_e32 v38, v50, v51, vcc_lo
	v_cmp_u_f32_e32 vcc_lo, v42, v42
	v_bfe_u32 v50, v40, 16, 1
	v_or_b32_e32 v51, 0x400000, v40
	v_and_b32_e32 v39, 0xffff0000, v39
	v_and_b32_e32 v38, 0xffff0000, v38
	v_cndmask_b32_e32 v42, v53, v54, vcc_lo
	v_lshlrev_b32_e32 v53, 16, v85
	v_add3_u32 v50, v50, v40, 0x7fff
	v_cmp_u_f32_e32 vcc_lo, v40, v40
	v_add_f32_e32 v41, v41, v44
	v_mul_f32_e32 v2, v2, v43
	v_mul_f32_e32 v1, v1, v53
	v_add_f32_e32 v38, v38, v39
	v_cndmask_b32_e32 v40, v50, v51, vcc_lo
	v_bfe_u32 v44, v1, 16, 1
	v_or_b32_e32 v43, 0x400000, v1
	v_and_b32_e32 v39, 0xffff0000, v40
	v_cmp_u_f32_e32 vcc_lo, v1, v1
	v_add3_u32 v40, v44, v1, 0x7fff
	v_bfe_u32 v44, v2, 16, 1
	v_cndmask_b32_e32 v1, v40, v43, vcc_lo
	v_add3_u32 v40, v44, v2, 0x7fff
	v_or_b32_e32 v43, 0x400000, v2
	v_bfe_u32 v44, v5, 16, 1
	v_cmp_u_f32_e32 vcc_lo, v2, v2
	v_and_b32_e32 v1, 0xffff0000, v1
	v_add3_u32 v17, v44, v5, 0x7fff
	v_cndmask_b32_e32 v2, v40, v43, vcc_lo
	v_or_b32_e32 v40, 0x400000, v5
	v_bfe_u32 v43, v4, 16, 1
	v_cmp_u_f32_e32 vcc_lo, v5, v5
	v_and_b32_e32 v2, 0xffff0000, v2
	v_add3_u32 v15, v43, v4, 0x7fff
	v_cndmask_b32_e32 v5, v17, v40, vcc_lo
	v_or_b32_e32 v17, 0x400000, v4
	v_bfe_u32 v40, v6, 16, 1
	v_cmp_u_f32_e32 vcc_lo, v4, v4
	v_add_f32_e32 v1, v2, v1
	v_and_b32_e32 v5, 0xffff0000, v5
	v_cndmask_b32_e32 v4, v15, v17, vcc_lo
	v_bfe_u32 v15, v7, 16, 1
	v_add3_u32 v17, v40, v6, 0x7fff
	v_cmp_u_f32_e32 vcc_lo, v6, v6
	v_bfe_u32 v40, v8, 16, 1
	v_and_b32_e32 v4, 0xffff0000, v4
	v_add3_u32 v15, v15, v7, 0x7fff
	v_cndmask_b32_e32 v6, v17, v9, vcc_lo
	v_cmp_u_f32_e32 vcc_lo, v7, v7
	v_add3_u32 v9, v18, v3, 0x7fff
	v_or_b32_e32 v17, 0x400000, v3
	v_add_f32_e32 v2, v4, v5
	v_and_b32_e32 v5, 0xffff0000, v6
	v_cndmask_b32_e32 v7, v15, v16, vcc_lo
	v_add3_u32 v15, v40, v8, 0x7fff
	v_or_b32_e32 v16, 0x400000, v8
	v_cmp_u_f32_e32 vcc_lo, v8, v8
	v_and_b32_e32 v6, 0xffff0000, v42
	v_and_b32_e32 v4, 0xffff0000, v7
	v_add_f32_e32 v1, v2, v1
	v_add_f32_e32 v7, v38, v41
	v_cndmask_b32_e32 v8, v15, v16, vcc_lo
	v_cmp_u_f32_e32 vcc_lo, v3, v3
	v_add_f32_e32 v2, v4, v5
	v_add_f32_e32 v5, v49, v52
	;; [unrolled: 1-line block ×3, first 2 shown]
	v_and_b32_e32 v4, 0xffff0000, v8
	v_cndmask_b32_e32 v3, v9, v17, vcc_lo
	v_add_f32_e32 v1, v2, v1
	v_add_f32_e32 v5, v5, v48
	;; [unrolled: 1-line block ×3, first 2 shown]
	v_and_b32_e32 v3, 0xffff0000, v3
	v_add_f32_e32 v28, v28, v5
	v_add_f32_e32 v29, v29, v6
	;; [unrolled: 1-line block ×9, first 2 shown]
.LBB338_425:                            ;   in Loop: Header=BB338_426 Depth=1
	s_or_b32 exec_lo, exec_lo, s13
	v_add_nc_u32_e32 v25, 4, v25
	v_add_co_u32 v13, s0, v13, 16
	v_add_co_ci_u32_e64 v14, null, 0, v14, s0
	v_cmp_le_i32_e32 vcc_lo, s20, v25
	v_add_nc_u32_e32 v36, 32, v36
	v_add_nc_u32_e32 v26, 0x80, v26
	s_or_b32 s12, vcc_lo, s12
	s_andn2_b32 exec_lo, exec_lo, s12
	s_cbranch_execz .LBB338_799
.LBB338_426:                            ; =>This Inner Loop Header: Depth=1
	v_sub_nc_u32_e32 v1, 0, v36
	v_max_i32_e32 v1, v36, v1
	v_mul_hi_u32 v2, v1, s16
	v_mul_lo_u32 v3, v2, s11
	v_sub_nc_u32_e32 v1, v1, v3
	v_add_nc_u32_e32 v3, 1, v2
	v_subrev_nc_u32_e32 v4, s11, v1
	v_cmp_le_u32_e32 vcc_lo, s11, v1
	v_cndmask_b32_e32 v2, v2, v3, vcc_lo
	v_cndmask_b32_e32 v1, v1, v4, vcc_lo
	v_ashrrev_i32_e32 v3, 31, v36
	v_add_nc_u32_e32 v4, 1, v2
	v_cmp_le_u32_e32 vcc_lo, s11, v1
	v_xor_b32_e32 v3, s23, v3
	v_cndmask_b32_e32 v1, v2, v4, vcc_lo
	v_xor_b32_e32 v1, v1, v3
	v_sub_nc_u32_e32 v1, v1, v3
	v_add_nc_u32_e32 v2, s19, v1
	v_cmp_lt_i32_e64 s0, s3, v1
	v_sub_nc_u32_e32 v3, 0, v2
	v_max_i32_e32 v3, v2, v3
	v_ashrrev_i32_e32 v2, 31, v2
	v_mul_hi_u32 v4, v3, v37
	v_mul_lo_u32 v4, v4, s6
	v_sub_nc_u32_e32 v3, v3, v4
	v_subrev_nc_u32_e32 v4, s6, v3
	v_cmp_le_u32_e32 vcc_lo, s6, v3
	v_cndmask_b32_e32 v3, v3, v4, vcc_lo
	v_subrev_nc_u32_e32 v4, s6, v3
	v_cmp_le_u32_e32 vcc_lo, s6, v3
	v_cndmask_b32_e32 v3, v3, v4, vcc_lo
	v_xor_b32_e32 v3, v3, v2
	v_sub_nc_u32_e32 v2, v3, v2
	v_cmp_eq_u32_e32 vcc_lo, 0, v2
	s_or_b32 s0, vcc_lo, s0
	s_and_saveexec_b32 s13, s0
	s_cbranch_execz .LBB338_425
; %bb.427:                              ;   in Loop: Header=BB338_426 Depth=1
	global_load_dword v1, v[13:14], off
	v_mov_b32_e32 v38, 0
	v_mov_b32_e32 v40, 0
	s_waitcnt vmcnt(0)
	v_mad_i64_i32 v[15:16], null, v1, s9, v[11:12]
	global_load_dwordx2 v[17:18], v[15:16], off
	ds_read2_b64 v[5:8], v26 offset1:1
	ds_read2_b64 v[1:4], v26 offset0:2 offset1:3
	s_load_dword s17, s[14:15], 0x0
	s_waitcnt vmcnt(0)
	v_cmp_ne_u16_sdwa s18, v17, v10 src0_sel:BYTE_0 src1_sel:DWORD
	s_and_saveexec_b32 s0, s18
	s_cbranch_execz .LBB338_433
; %bb.428:                              ;   in Loop: Header=BB338_426 Depth=1
	v_cmp_ne_u16_sdwa s21, v17, v30 src0_sel:BYTE_0 src1_sel:DWORD
	v_bfrev_b32_e32 v40, 1
	s_and_saveexec_b32 s18, s21
	s_cbranch_execz .LBB338_432
; %bb.429:                              ;   in Loop: Header=BB338_426 Depth=1
	v_and_b32_e32 v9, 0x7f, v17
	v_mov_b32_e32 v40, 0x7f800001
	s_mov_b32 s21, exec_lo
	v_cmpx_ne_u32_e32 0x7f, v9
	s_cbranch_execz .LBB338_431
; %bb.430:                              ;   in Loop: Header=BB338_426 Depth=1
	v_and_b32_e32 v19, 7, v17
	v_lshrrev_b32_e32 v20, 3, v9
	v_cmp_gt_u32_e32 vcc_lo, 8, v9
	v_ffbh_u32_e32 v19, v19
	v_min_u32_e32 v19, 32, v19
	v_subrev_nc_u32_e32 v39, 28, v19
	v_sub_nc_u32_e32 v19, 29, v19
	v_cndmask_b32_e32 v9, v20, v19, vcc_lo
	v_cndmask_b32_e32 v19, 0, v39, vcc_lo
	v_lshl_add_u32 v9, v9, 23, 0x3c000000
	v_lshlrev_b64 v[19:20], v19, v[17:18]
	v_lshlrev_b32_e32 v20, 24, v17
	v_lshlrev_b32_e32 v19, 20, v19
	v_and_b32_e32 v20, 0x80000000, v20
	v_and_b32_e32 v19, 0x700000, v19
	v_or3_b32 v40, v19, v20, v9
.LBB338_431:                            ;   in Loop: Header=BB338_426 Depth=1
	s_or_b32 exec_lo, exec_lo, s21
.LBB338_432:                            ;   in Loop: Header=BB338_426 Depth=1
	s_or_b32 exec_lo, exec_lo, s18
.LBB338_433:                            ;   in Loop: Header=BB338_426 Depth=1
	s_or_b32 exec_lo, exec_lo, s0
	v_cmp_ne_u16_sdwa s18, v17, v10 src0_sel:BYTE_1 src1_sel:DWORD
	s_and_saveexec_b32 s0, s18
	s_cbranch_execz .LBB338_441
; %bb.434:                              ;   in Loop: Header=BB338_426 Depth=1
	v_cmp_ne_u16_sdwa s21, v17, v30 src0_sel:BYTE_1 src1_sel:DWORD
	v_bfrev_b32_e32 v38, 1
	s_and_saveexec_b32 s18, s21
	s_cbranch_execz .LBB338_440
; %bb.435:                              ;   in Loop: Header=BB338_426 Depth=1
	v_and_b32_sdwa v9, v31, v17 dst_sel:DWORD dst_unused:UNUSED_PAD src0_sel:DWORD src1_sel:BYTE_1
	v_mov_b32_e32 v38, 0x7f800001
	s_mov_b32 s21, exec_lo
	v_and_b32_e32 v20, 0x7f, v9
	v_cmpx_ne_u32_e32 0x7f, v20
	s_cbranch_execz .LBB338_439
; %bb.436:                              ;   in Loop: Header=BB338_426 Depth=1
	v_and_b32_e32 v9, 7, v9
	v_lshrrev_b32_e32 v19, 3, v20
	s_mov_b32 s22, exec_lo
	v_cmpx_gt_u32_e32 8, v20
; %bb.437:                              ;   in Loop: Header=BB338_426 Depth=1
	v_ffbh_u32_e32 v19, v9
	v_min_u32_e32 v19, 32, v19
	v_subrev_nc_u32_e32 v20, 28, v19
	v_sub_nc_u32_e32 v19, 29, v19
	v_lshlrev_b64 v[38:39], v20, v[9:10]
	v_and_b32_e32 v9, 7, v38
; %bb.438:                              ;   in Loop: Header=BB338_426 Depth=1
	s_or_b32 exec_lo, exec_lo, s22
	v_lshlrev_b32_e32 v20, 16, v17
	v_lshlrev_b32_e32 v9, 20, v9
	v_lshl_add_u32 v19, v19, 23, 0x3c000000
	v_and_b32_e32 v20, 0x80000000, v20
	v_or3_b32 v38, v9, v20, v19
.LBB338_439:                            ;   in Loop: Header=BB338_426 Depth=1
	s_or_b32 exec_lo, exec_lo, s21
.LBB338_440:                            ;   in Loop: Header=BB338_426 Depth=1
	s_or_b32 exec_lo, exec_lo, s18
.LBB338_441:                            ;   in Loop: Header=BB338_426 Depth=1
	s_or_b32 exec_lo, exec_lo, s0
	v_and_b32_sdwa v9, v17, v32 dst_sel:DWORD dst_unused:UNUSED_PAD src0_sel:WORD_1 src1_sel:DWORD
	v_mov_b32_e32 v41, 0
	v_mov_b32_e32 v39, 0
	s_mov_b32 s0, exec_lo
	v_cmpx_ne_u16_e32 0, v9
	s_cbranch_execz .LBB338_449
; %bb.442:                              ;   in Loop: Header=BB338_426 Depth=1
	v_bfrev_b32_e32 v39, 1
	s_mov_b32 s18, exec_lo
	v_cmpx_ne_u16_e32 0x80, v9
	s_cbranch_execz .LBB338_448
; %bb.443:                              ;   in Loop: Header=BB338_426 Depth=1
	v_bfe_u32 v20, v17, 16, 7
	v_mov_b32_e32 v39, 0x7f800001
	s_mov_b32 s21, exec_lo
	v_cmpx_ne_u32_e32 0x7f, v20
	s_cbranch_execz .LBB338_447
; %bb.444:                              ;   in Loop: Header=BB338_426 Depth=1
	v_and_b32_sdwa v9, v17, v33 dst_sel:DWORD dst_unused:UNUSED_PAD src0_sel:WORD_1 src1_sel:DWORD
	v_lshrrev_b32_e32 v19, 3, v20
	s_mov_b32 s22, exec_lo
	v_cmpx_gt_u32_e32 8, v20
; %bb.445:                              ;   in Loop: Header=BB338_426 Depth=1
	v_ffbh_u32_e32 v19, v9
	v_min_u32_e32 v19, 32, v19
	v_subrev_nc_u32_e32 v20, 28, v19
	v_sub_nc_u32_e32 v19, 29, v19
	v_lshlrev_b64 v[42:43], v20, v[9:10]
	v_and_b32_e32 v9, 7, v42
; %bb.446:                              ;   in Loop: Header=BB338_426 Depth=1
	s_or_b32 exec_lo, exec_lo, s22
	v_lshlrev_b32_sdwa v20, v34, v17 dst_sel:DWORD dst_unused:UNUSED_PAD src0_sel:DWORD src1_sel:WORD_1
	v_lshlrev_b32_e32 v9, 20, v9
	v_lshl_add_u32 v19, v19, 23, 0x3c000000
	v_and_b32_e32 v20, 0x80000000, v20
	v_or3_b32 v39, v9, v20, v19
.LBB338_447:                            ;   in Loop: Header=BB338_426 Depth=1
	s_or_b32 exec_lo, exec_lo, s21
.LBB338_448:                            ;   in Loop: Header=BB338_426 Depth=1
	s_or_b32 exec_lo, exec_lo, s18
.LBB338_449:                            ;   in Loop: Header=BB338_426 Depth=1
	s_or_b32 exec_lo, exec_lo, s0
	s_mov_b32 s0, exec_lo
	v_cmpx_lt_u32_e32 0xffffff, v17
	s_cbranch_execz .LBB338_457
; %bb.450:                              ;   in Loop: Header=BB338_426 Depth=1
	v_cmp_ne_u32_sdwa s21, v17, v30 src0_sel:BYTE_3 src1_sel:DWORD
	v_bfrev_b32_e32 v41, 1
	s_and_saveexec_b32 s18, s21
	s_cbranch_execz .LBB338_456
; %bb.451:                              ;   in Loop: Header=BB338_426 Depth=1
	v_bfe_u32 v20, v17, 24, 7
	v_mov_b32_e32 v41, 0x7f800001
	s_mov_b32 s21, exec_lo
	v_cmpx_ne_u32_e32 0x7f, v20
	s_cbranch_execz .LBB338_455
; %bb.452:                              ;   in Loop: Header=BB338_426 Depth=1
	v_and_b32_sdwa v9, v17, v33 dst_sel:DWORD dst_unused:UNUSED_PAD src0_sel:BYTE_3 src1_sel:DWORD
	v_lshrrev_b32_e32 v19, 3, v20
	s_mov_b32 s22, exec_lo
	v_cmpx_gt_u32_e32 8, v20
; %bb.453:                              ;   in Loop: Header=BB338_426 Depth=1
	v_ffbh_u32_e32 v19, v9
	v_min_u32_e32 v19, 32, v19
	v_subrev_nc_u32_e32 v20, 28, v19
	v_sub_nc_u32_e32 v19, 29, v19
	v_lshlrev_b64 v[41:42], v20, v[9:10]
	v_and_b32_e32 v9, 7, v41
; %bb.454:                              ;   in Loop: Header=BB338_426 Depth=1
	s_or_b32 exec_lo, exec_lo, s22
	v_lshlrev_b32_sdwa v20, v34, v17 dst_sel:DWORD dst_unused:UNUSED_PAD src0_sel:DWORD src1_sel:BYTE_3
	v_lshlrev_b32_e32 v9, 20, v9
	v_lshl_add_u32 v19, v19, 23, 0x3c000000
	v_and_b32_e32 v20, 0x80000000, v20
	v_or3_b32 v41, v9, v20, v19
.LBB338_455:                            ;   in Loop: Header=BB338_426 Depth=1
	s_or_b32 exec_lo, exec_lo, s21
.LBB338_456:                            ;   in Loop: Header=BB338_426 Depth=1
	s_or_b32 exec_lo, exec_lo, s18
.LBB338_457:                            ;   in Loop: Header=BB338_426 Depth=1
	s_or_b32 exec_lo, exec_lo, s0
	v_mov_b32_e32 v9, v18
	v_cmp_ne_u16_sdwa s18, v18, v10 src0_sel:BYTE_0 src1_sel:DWORD
	v_mov_b32_e32 v19, 0
	v_mov_b32_e32 v42, 0
	s_and_saveexec_b32 s0, s18
	s_cbranch_execz .LBB338_463
; %bb.458:                              ;   in Loop: Header=BB338_426 Depth=1
	v_cmp_ne_u16_sdwa s21, v18, v30 src0_sel:BYTE_0 src1_sel:DWORD
	v_bfrev_b32_e32 v42, 1
	s_and_saveexec_b32 s18, s21
	s_cbranch_execz .LBB338_462
; %bb.459:                              ;   in Loop: Header=BB338_426 Depth=1
	v_and_b32_e32 v20, 0x7f, v18
	v_mov_b32_e32 v42, 0x7f800001
	s_mov_b32 s21, exec_lo
	v_cmpx_ne_u32_e32 0x7f, v20
	s_cbranch_execz .LBB338_461
; %bb.460:                              ;   in Loop: Header=BB338_426 Depth=1
	v_and_b32_e32 v42, 7, v18
	v_lshrrev_b32_e32 v43, 3, v20
	v_cmp_gt_u32_e32 vcc_lo, 8, v20
	v_ffbh_u32_e32 v42, v42
	v_min_u32_e32 v42, 32, v42
	v_subrev_nc_u32_e32 v44, 28, v42
	v_sub_nc_u32_e32 v42, 29, v42
	v_cndmask_b32_e32 v20, v43, v42, vcc_lo
	v_cndmask_b32_e32 v42, 0, v44, vcc_lo
	v_lshl_add_u32 v20, v20, 23, 0x3c000000
	v_lshlrev_b64 v[42:43], v42, v[9:10]
	v_lshlrev_b32_e32 v43, 24, v9
	v_lshlrev_b32_e32 v42, 20, v42
	v_and_b32_e32 v43, 0x80000000, v43
	v_and_b32_e32 v42, 0x700000, v42
	v_or3_b32 v42, v42, v43, v20
.LBB338_461:                            ;   in Loop: Header=BB338_426 Depth=1
	s_or_b32 exec_lo, exec_lo, s21
.LBB338_462:                            ;   in Loop: Header=BB338_426 Depth=1
	s_or_b32 exec_lo, exec_lo, s18
.LBB338_463:                            ;   in Loop: Header=BB338_426 Depth=1
	s_or_b32 exec_lo, exec_lo, s0
	v_cmp_ne_u16_sdwa s18, v9, v10 src0_sel:BYTE_1 src1_sel:DWORD
	s_and_saveexec_b32 s0, s18
	s_cbranch_execz .LBB338_471
; %bb.464:                              ;   in Loop: Header=BB338_426 Depth=1
	v_cmp_ne_u16_sdwa s21, v9, v30 src0_sel:BYTE_1 src1_sel:DWORD
	v_bfrev_b32_e32 v19, 1
	s_and_saveexec_b32 s18, s21
	s_cbranch_execz .LBB338_470
; %bb.465:                              ;   in Loop: Header=BB338_426 Depth=1
	v_and_b32_sdwa v20, v31, v9 dst_sel:DWORD dst_unused:UNUSED_PAD src0_sel:DWORD src1_sel:BYTE_1
	v_mov_b32_e32 v19, 0x7f800001
	s_mov_b32 s21, exec_lo
	v_and_b32_e32 v44, 0x7f, v20
	v_cmpx_ne_u32_e32 0x7f, v44
	s_cbranch_execz .LBB338_469
; %bb.466:                              ;   in Loop: Header=BB338_426 Depth=1
	v_and_b32_e32 v19, 7, v20
	v_mov_b32_e32 v20, v10
	v_lshrrev_b32_e32 v43, 3, v44
	s_mov_b32 s22, exec_lo
	v_cmpx_gt_u32_e32 8, v44
; %bb.467:                              ;   in Loop: Header=BB338_426 Depth=1
	v_ffbh_u32_e32 v43, v19
	v_min_u32_e32 v43, 32, v43
	v_subrev_nc_u32_e32 v44, 28, v43
	v_sub_nc_u32_e32 v43, 29, v43
	v_lshlrev_b64 v[19:20], v44, v[19:20]
	v_and_b32_e32 v19, 7, v19
; %bb.468:                              ;   in Loop: Header=BB338_426 Depth=1
	s_or_b32 exec_lo, exec_lo, s22
	v_lshlrev_b32_e32 v9, 16, v9
	v_lshlrev_b32_e32 v19, 20, v19
	v_lshl_add_u32 v20, v43, 23, 0x3c000000
	v_and_b32_e32 v9, 0x80000000, v9
	v_or3_b32 v19, v19, v9, v20
.LBB338_469:                            ;   in Loop: Header=BB338_426 Depth=1
	s_or_b32 exec_lo, exec_lo, s21
.LBB338_470:                            ;   in Loop: Header=BB338_426 Depth=1
	s_or_b32 exec_lo, exec_lo, s18
.LBB338_471:                            ;   in Loop: Header=BB338_426 Depth=1
	s_or_b32 exec_lo, exec_lo, s0
	v_and_b32_sdwa v9, v18, v32 dst_sel:DWORD dst_unused:UNUSED_PAD src0_sel:WORD_1 src1_sel:DWORD
	v_mov_b32_e32 v20, 0
	v_mov_b32_e32 v43, 0
	s_mov_b32 s0, exec_lo
	v_cmpx_ne_u16_e32 0, v9
	s_cbranch_execz .LBB338_479
; %bb.472:                              ;   in Loop: Header=BB338_426 Depth=1
	v_bfrev_b32_e32 v43, 1
	s_mov_b32 s18, exec_lo
	v_cmpx_ne_u16_e32 0x80, v9
	s_cbranch_execz .LBB338_478
; %bb.473:                              ;   in Loop: Header=BB338_426 Depth=1
	v_bfe_u32 v44, v18, 16, 7
	v_mov_b32_e32 v43, 0x7f800001
	s_mov_b32 s21, exec_lo
	v_cmpx_ne_u32_e32 0x7f, v44
	s_cbranch_execz .LBB338_477
; %bb.474:                              ;   in Loop: Header=BB338_426 Depth=1
	v_and_b32_sdwa v9, v18, v33 dst_sel:DWORD dst_unused:UNUSED_PAD src0_sel:WORD_1 src1_sel:DWORD
	v_lshrrev_b32_e32 v43, 3, v44
	s_mov_b32 s22, exec_lo
	v_cmpx_gt_u32_e32 8, v44
; %bb.475:                              ;   in Loop: Header=BB338_426 Depth=1
	v_ffbh_u32_e32 v43, v9
	v_min_u32_e32 v43, 32, v43
	v_subrev_nc_u32_e32 v44, 28, v43
	v_sub_nc_u32_e32 v43, 29, v43
	v_lshlrev_b64 v[44:45], v44, v[9:10]
	v_and_b32_e32 v9, 7, v44
; %bb.476:                              ;   in Loop: Header=BB338_426 Depth=1
	s_or_b32 exec_lo, exec_lo, s22
	v_lshlrev_b32_sdwa v44, v34, v18 dst_sel:DWORD dst_unused:UNUSED_PAD src0_sel:DWORD src1_sel:WORD_1
	v_lshlrev_b32_e32 v9, 20, v9
	v_lshl_add_u32 v43, v43, 23, 0x3c000000
	v_and_b32_e32 v44, 0x80000000, v44
	v_or3_b32 v43, v9, v44, v43
.LBB338_477:                            ;   in Loop: Header=BB338_426 Depth=1
	s_or_b32 exec_lo, exec_lo, s21
.LBB338_478:                            ;   in Loop: Header=BB338_426 Depth=1
	s_or_b32 exec_lo, exec_lo, s18
.LBB338_479:                            ;   in Loop: Header=BB338_426 Depth=1
	s_or_b32 exec_lo, exec_lo, s0
	s_mov_b32 s0, exec_lo
	v_cmpx_lt_u64_e64 s[4:5], v[17:18]
	s_cbranch_execz .LBB338_487
; %bb.480:                              ;   in Loop: Header=BB338_426 Depth=1
	v_cmp_ne_u32_sdwa s21, v18, v30 src0_sel:BYTE_3 src1_sel:DWORD
	v_bfrev_b32_e32 v20, 1
	s_and_saveexec_b32 s18, s21
	s_cbranch_execz .LBB338_486
; %bb.481:                              ;   in Loop: Header=BB338_426 Depth=1
	v_bfe_u32 v44, v18, 24, 7
	v_mov_b32_e32 v20, 0x7f800001
	s_mov_b32 s21, exec_lo
	v_cmpx_ne_u32_e32 0x7f, v44
	s_cbranch_execz .LBB338_485
; %bb.482:                              ;   in Loop: Header=BB338_426 Depth=1
	v_and_b32_sdwa v9, v18, v33 dst_sel:DWORD dst_unused:UNUSED_PAD src0_sel:BYTE_3 src1_sel:DWORD
	v_lshrrev_b32_e32 v17, 3, v44
	s_mov_b32 s22, exec_lo
	v_cmpx_gt_u32_e32 8, v44
; %bb.483:                              ;   in Loop: Header=BB338_426 Depth=1
	v_ffbh_u32_e32 v17, v9
	v_min_u32_e32 v17, 32, v17
	v_subrev_nc_u32_e32 v20, 28, v17
	v_sub_nc_u32_e32 v17, 29, v17
	v_lshlrev_b64 v[44:45], v20, v[9:10]
	v_and_b32_e32 v9, 7, v44
; %bb.484:                              ;   in Loop: Header=BB338_426 Depth=1
	s_or_b32 exec_lo, exec_lo, s22
	v_lshlrev_b32_sdwa v18, v34, v18 dst_sel:DWORD dst_unused:UNUSED_PAD src0_sel:DWORD src1_sel:BYTE_3
	v_lshlrev_b32_e32 v9, 20, v9
	v_lshl_add_u32 v17, v17, 23, 0x3c000000
	v_and_b32_e32 v18, 0x80000000, v18
	v_or3_b32 v20, v9, v18, v17
.LBB338_485:                            ;   in Loop: Header=BB338_426 Depth=1
	s_or_b32 exec_lo, exec_lo, s21
.LBB338_486:                            ;   in Loop: Header=BB338_426 Depth=1
	s_or_b32 exec_lo, exec_lo, s18
.LBB338_487:                            ;   in Loop: Header=BB338_426 Depth=1
	s_or_b32 exec_lo, exec_lo, s0
	s_waitcnt lgkmcnt(0)
	v_mul_f32_e32 v9, s17, v19
	v_mul_f32_e32 v17, s17, v42
	;; [unrolled: 1-line block ×5, first 2 shown]
	v_bfe_u32 v19, v9, 16, 1
	v_or_b32_e32 v39, 0x400000, v9
	v_bfe_u32 v41, v17, 16, 1
	v_cmp_u_f32_e64 s0, v9, v9
	v_or_b32_e32 v44, 0x400000, v17
	v_add3_u32 v19, v19, v9, 0x7fff
	v_bfe_u32 v45, v18, 16, 1
	v_add3_u32 v41, v41, v17, 0x7fff
	v_or_b32_e32 v46, 0x400000, v18
	v_cmp_eq_u32_e32 vcc_lo, s40, v25
	v_cndmask_b32_e64 v9, v19, v39, s0
	v_cmp_u_f32_e64 s0, v17, v17
	v_bfe_u32 v19, v42, 16, 1
	v_add3_u32 v45, v45, v18, 0x7fff
	v_add_nc_u32_e32 v52, 1, v36
	v_lshrrev_b32_e32 v39, 16, v9
	v_cndmask_b32_e64 v17, v41, v44, s0
	v_cmp_u_f32_e64 s0, v18, v18
	v_mul_f32_e32 v18, s17, v38
	v_add3_u32 v19, v19, v42, 0x7fff
	v_or_b32_e32 v44, 0x400000, v42
	v_lshrrev_b32_e32 v38, 16, v17
	v_cndmask_b32_e64 v9, v45, v46, s0
	v_cmp_u_f32_e64 s0, v42, v42
	v_or_b32_e32 v42, 0x400000, v18
	v_or_b32_e32 v46, 0x400000, v20
	v_add_nc_u32_e32 v51, 2, v36
	v_lshrrev_b32_e32 v41, 16, v9
	v_bfe_u32 v9, v18, 16, 1
	v_cndmask_b32_e64 v17, v19, v44, s0
	v_mul_f32_e32 v19, s17, v40
	v_mul_f32_e32 v40, s17, v43
	v_cmp_u_f32_e64 s0, v18, v18
	v_add3_u32 v9, v9, v18, 0x7fff
	v_bfe_u32 v18, v20, 16, 1
	v_bfe_u32 v43, v19, 16, 1
	;; [unrolled: 1-line block ×3, first 2 shown]
	v_or_b32_e32 v45, 0x400000, v40
	v_cndmask_b32_e64 v9, v9, v42, s0
	v_cmp_u_f32_e64 s0, v19, v19
	v_add3_u32 v42, v43, v19, 0x7fff
	v_or_b32_e32 v43, 0x400000, v19
	v_add3_u32 v44, v44, v40, 0x7fff
	v_add3_u32 v18, v18, v20, 0x7fff
	v_add_nc_u32_e32 v50, 3, v36
	v_add_nc_u32_e32 v49, 4, v36
	v_cndmask_b32_e64 v19, v42, v43, s0
	v_cmp_u_f32_e64 s0, v40, v40
	v_lshrrev_b32_e32 v43, 16, v17
	v_add_nc_u32_e32 v48, 5, v36
	v_add_nc_u32_e32 v47, 6, v36
	v_cndmask_b32_e64 v40, v44, v45, s0
	v_cmp_u_f32_e64 s0, v20, v20
	v_lshrrev_b32_e32 v45, 16, v9
	v_lshrrev_b32_e32 v44, 16, v19
	;; [unrolled: 1-line block ×3, first 2 shown]
	v_cndmask_b32_e64 v18, v18, v46, s0
	v_add_nc_u32_e32 v46, 7, v36
	v_lshrrev_b32_e32 v42, 16, v18
	s_and_saveexec_b32 s18, vcc_lo
	s_cbranch_execz .LBB338_489
; %bb.488:                              ;   in Loop: Header=BB338_426 Depth=1
	v_cmp_gt_i32_e64 s0, s31, v36
	v_cndmask_b32_e64 v44, 0, v44, s0
	v_cmp_gt_i32_e64 s0, s31, v52
	v_cndmask_b32_e64 v45, 0, v45, s0
	;; [unrolled: 2-line block ×8, first 2 shown]
.LBB338_489:                            ;   in Loop: Header=BB338_426 Depth=1
	s_or_b32 exec_lo, exec_lo, s18
	global_load_dwordx2 v[17:18], v[15:16], off offset:256
	v_mov_b32_e32 v54, 0
	v_mov_b32_e32 v55, 0
	s_waitcnt vmcnt(0)
	v_cmp_ne_u16_sdwa s0, v17, v10 src0_sel:BYTE_0 src1_sel:DWORD
	s_and_saveexec_b32 s18, s0
	s_cbranch_execz .LBB338_495
; %bb.490:                              ;   in Loop: Header=BB338_426 Depth=1
	v_cmp_ne_u16_sdwa s0, v17, v30 src0_sel:BYTE_0 src1_sel:DWORD
	v_bfrev_b32_e32 v55, 1
	s_and_saveexec_b32 s21, s0
	s_cbranch_execz .LBB338_494
; %bb.491:                              ;   in Loop: Header=BB338_426 Depth=1
	v_and_b32_e32 v9, 0x7f, v17
	v_mov_b32_e32 v55, 0x7f800001
	s_mov_b32 s22, exec_lo
	v_cmpx_ne_u32_e32 0x7f, v9
	s_cbranch_execz .LBB338_493
; %bb.492:                              ;   in Loop: Header=BB338_426 Depth=1
	v_and_b32_e32 v19, 7, v17
	v_lshrrev_b32_e32 v20, 3, v9
	v_cmp_gt_u32_e64 s0, 8, v9
	v_ffbh_u32_e32 v19, v19
	v_min_u32_e32 v19, 32, v19
	v_subrev_nc_u32_e32 v53, 28, v19
	v_sub_nc_u32_e32 v19, 29, v19
	v_cndmask_b32_e64 v9, v20, v19, s0
	v_cndmask_b32_e64 v19, 0, v53, s0
	v_lshl_add_u32 v9, v9, 23, 0x3c000000
	v_lshlrev_b64 v[19:20], v19, v[17:18]
	v_lshlrev_b32_e32 v20, 24, v17
	v_lshlrev_b32_e32 v19, 20, v19
	v_and_b32_e32 v20, 0x80000000, v20
	v_and_b32_e32 v19, 0x700000, v19
	v_or3_b32 v55, v19, v20, v9
.LBB338_493:                            ;   in Loop: Header=BB338_426 Depth=1
	s_or_b32 exec_lo, exec_lo, s22
.LBB338_494:                            ;   in Loop: Header=BB338_426 Depth=1
	s_or_b32 exec_lo, exec_lo, s21
.LBB338_495:                            ;   in Loop: Header=BB338_426 Depth=1
	s_or_b32 exec_lo, exec_lo, s18
	v_cmp_ne_u16_sdwa s0, v17, v10 src0_sel:BYTE_1 src1_sel:DWORD
	s_and_saveexec_b32 s18, s0
	s_cbranch_execz .LBB338_503
; %bb.496:                              ;   in Loop: Header=BB338_426 Depth=1
	v_cmp_ne_u16_sdwa s0, v17, v30 src0_sel:BYTE_1 src1_sel:DWORD
	v_bfrev_b32_e32 v54, 1
	s_and_saveexec_b32 s21, s0
	s_cbranch_execz .LBB338_502
; %bb.497:                              ;   in Loop: Header=BB338_426 Depth=1
	v_and_b32_sdwa v9, v31, v17 dst_sel:DWORD dst_unused:UNUSED_PAD src0_sel:DWORD src1_sel:BYTE_1
	v_mov_b32_e32 v54, 0x7f800001
	s_mov_b32 s22, exec_lo
	v_and_b32_e32 v20, 0x7f, v9
	v_cmpx_ne_u32_e32 0x7f, v20
	s_cbranch_execz .LBB338_501
; %bb.498:                              ;   in Loop: Header=BB338_426 Depth=1
	v_and_b32_e32 v9, 7, v9
	v_lshrrev_b32_e32 v19, 3, v20
	s_mov_b32 s24, exec_lo
	v_cmpx_gt_u32_e32 8, v20
; %bb.499:                              ;   in Loop: Header=BB338_426 Depth=1
	v_ffbh_u32_e32 v19, v9
	v_min_u32_e32 v19, 32, v19
	v_subrev_nc_u32_e32 v20, 28, v19
	v_sub_nc_u32_e32 v19, 29, v19
	v_lshlrev_b64 v[53:54], v20, v[9:10]
	v_and_b32_e32 v9, 7, v53
; %bb.500:                              ;   in Loop: Header=BB338_426 Depth=1
	s_or_b32 exec_lo, exec_lo, s24
	v_lshlrev_b32_e32 v20, 16, v17
	v_lshlrev_b32_e32 v9, 20, v9
	v_lshl_add_u32 v19, v19, 23, 0x3c000000
	v_and_b32_e32 v20, 0x80000000, v20
	v_or3_b32 v54, v9, v20, v19
.LBB338_501:                            ;   in Loop: Header=BB338_426 Depth=1
	s_or_b32 exec_lo, exec_lo, s22
.LBB338_502:                            ;   in Loop: Header=BB338_426 Depth=1
	s_or_b32 exec_lo, exec_lo, s21
.LBB338_503:                            ;   in Loop: Header=BB338_426 Depth=1
	s_or_b32 exec_lo, exec_lo, s18
	v_and_b32_sdwa v9, v17, v32 dst_sel:DWORD dst_unused:UNUSED_PAD src0_sel:WORD_1 src1_sel:DWORD
	v_mov_b32_e32 v56, 0
	v_mov_b32_e32 v53, 0
	s_mov_b32 s18, exec_lo
	v_cmpx_ne_u16_e32 0, v9
	s_cbranch_execz .LBB338_511
; %bb.504:                              ;   in Loop: Header=BB338_426 Depth=1
	v_bfrev_b32_e32 v53, 1
	s_mov_b32 s21, exec_lo
	v_cmpx_ne_u16_e32 0x80, v9
	s_cbranch_execz .LBB338_510
; %bb.505:                              ;   in Loop: Header=BB338_426 Depth=1
	v_bfe_u32 v20, v17, 16, 7
	v_mov_b32_e32 v53, 0x7f800001
	s_mov_b32 s22, exec_lo
	v_cmpx_ne_u32_e32 0x7f, v20
	s_cbranch_execz .LBB338_509
; %bb.506:                              ;   in Loop: Header=BB338_426 Depth=1
	v_and_b32_sdwa v9, v17, v33 dst_sel:DWORD dst_unused:UNUSED_PAD src0_sel:WORD_1 src1_sel:DWORD
	v_lshrrev_b32_e32 v19, 3, v20
	s_mov_b32 s24, exec_lo
	v_cmpx_gt_u32_e32 8, v20
; %bb.507:                              ;   in Loop: Header=BB338_426 Depth=1
	v_ffbh_u32_e32 v19, v9
	v_min_u32_e32 v19, 32, v19
	v_subrev_nc_u32_e32 v20, 28, v19
	v_sub_nc_u32_e32 v19, 29, v19
	v_lshlrev_b64 v[57:58], v20, v[9:10]
	v_and_b32_e32 v9, 7, v57
; %bb.508:                              ;   in Loop: Header=BB338_426 Depth=1
	s_or_b32 exec_lo, exec_lo, s24
	v_lshlrev_b32_sdwa v20, v34, v17 dst_sel:DWORD dst_unused:UNUSED_PAD src0_sel:DWORD src1_sel:WORD_1
	v_lshlrev_b32_e32 v9, 20, v9
	v_lshl_add_u32 v19, v19, 23, 0x3c000000
	v_and_b32_e32 v20, 0x80000000, v20
	v_or3_b32 v53, v9, v20, v19
.LBB338_509:                            ;   in Loop: Header=BB338_426 Depth=1
	s_or_b32 exec_lo, exec_lo, s22
.LBB338_510:                            ;   in Loop: Header=BB338_426 Depth=1
	s_or_b32 exec_lo, exec_lo, s21
.LBB338_511:                            ;   in Loop: Header=BB338_426 Depth=1
	s_or_b32 exec_lo, exec_lo, s18
	s_mov_b32 s18, exec_lo
	v_cmpx_lt_u32_e32 0xffffff, v17
	s_cbranch_execz .LBB338_519
; %bb.512:                              ;   in Loop: Header=BB338_426 Depth=1
	v_cmp_ne_u32_sdwa s0, v17, v30 src0_sel:BYTE_3 src1_sel:DWORD
	v_bfrev_b32_e32 v56, 1
	s_and_saveexec_b32 s21, s0
	s_cbranch_execz .LBB338_518
; %bb.513:                              ;   in Loop: Header=BB338_426 Depth=1
	v_bfe_u32 v20, v17, 24, 7
	v_mov_b32_e32 v56, 0x7f800001
	s_mov_b32 s22, exec_lo
	v_cmpx_ne_u32_e32 0x7f, v20
	s_cbranch_execz .LBB338_517
; %bb.514:                              ;   in Loop: Header=BB338_426 Depth=1
	v_and_b32_sdwa v9, v17, v33 dst_sel:DWORD dst_unused:UNUSED_PAD src0_sel:BYTE_3 src1_sel:DWORD
	v_lshrrev_b32_e32 v19, 3, v20
	s_mov_b32 s24, exec_lo
	v_cmpx_gt_u32_e32 8, v20
; %bb.515:                              ;   in Loop: Header=BB338_426 Depth=1
	v_ffbh_u32_e32 v19, v9
	v_min_u32_e32 v19, 32, v19
	v_subrev_nc_u32_e32 v20, 28, v19
	v_sub_nc_u32_e32 v19, 29, v19
	v_lshlrev_b64 v[56:57], v20, v[9:10]
	v_and_b32_e32 v9, 7, v56
; %bb.516:                              ;   in Loop: Header=BB338_426 Depth=1
	s_or_b32 exec_lo, exec_lo, s24
	v_lshlrev_b32_sdwa v20, v34, v17 dst_sel:DWORD dst_unused:UNUSED_PAD src0_sel:DWORD src1_sel:BYTE_3
	v_lshlrev_b32_e32 v9, 20, v9
	v_lshl_add_u32 v19, v19, 23, 0x3c000000
	v_and_b32_e32 v20, 0x80000000, v20
	v_or3_b32 v56, v9, v20, v19
.LBB338_517:                            ;   in Loop: Header=BB338_426 Depth=1
	s_or_b32 exec_lo, exec_lo, s22
.LBB338_518:                            ;   in Loop: Header=BB338_426 Depth=1
	s_or_b32 exec_lo, exec_lo, s21
.LBB338_519:                            ;   in Loop: Header=BB338_426 Depth=1
	s_or_b32 exec_lo, exec_lo, s18
	v_mov_b32_e32 v9, v18
	v_cmp_ne_u16_sdwa s0, v18, v10 src0_sel:BYTE_0 src1_sel:DWORD
	v_mov_b32_e32 v19, 0
	v_mov_b32_e32 v57, 0
	s_and_saveexec_b32 s18, s0
	s_cbranch_execz .LBB338_525
; %bb.520:                              ;   in Loop: Header=BB338_426 Depth=1
	v_cmp_ne_u16_sdwa s0, v18, v30 src0_sel:BYTE_0 src1_sel:DWORD
	v_bfrev_b32_e32 v57, 1
	s_and_saveexec_b32 s21, s0
	s_cbranch_execz .LBB338_524
; %bb.521:                              ;   in Loop: Header=BB338_426 Depth=1
	v_and_b32_e32 v20, 0x7f, v18
	v_mov_b32_e32 v57, 0x7f800001
	s_mov_b32 s22, exec_lo
	v_cmpx_ne_u32_e32 0x7f, v20
	s_cbranch_execz .LBB338_523
; %bb.522:                              ;   in Loop: Header=BB338_426 Depth=1
	v_and_b32_e32 v57, 7, v18
	v_lshrrev_b32_e32 v58, 3, v20
	v_cmp_gt_u32_e64 s0, 8, v20
	v_ffbh_u32_e32 v57, v57
	v_min_u32_e32 v57, 32, v57
	v_subrev_nc_u32_e32 v59, 28, v57
	v_sub_nc_u32_e32 v57, 29, v57
	v_cndmask_b32_e64 v20, v58, v57, s0
	v_cndmask_b32_e64 v57, 0, v59, s0
	v_lshl_add_u32 v20, v20, 23, 0x3c000000
	v_lshlrev_b64 v[57:58], v57, v[9:10]
	v_lshlrev_b32_e32 v58, 24, v9
	v_lshlrev_b32_e32 v57, 20, v57
	v_and_b32_e32 v58, 0x80000000, v58
	v_and_b32_e32 v57, 0x700000, v57
	v_or3_b32 v57, v57, v58, v20
.LBB338_523:                            ;   in Loop: Header=BB338_426 Depth=1
	s_or_b32 exec_lo, exec_lo, s22
.LBB338_524:                            ;   in Loop: Header=BB338_426 Depth=1
	s_or_b32 exec_lo, exec_lo, s21
.LBB338_525:                            ;   in Loop: Header=BB338_426 Depth=1
	s_or_b32 exec_lo, exec_lo, s18
	v_cmp_ne_u16_sdwa s0, v9, v10 src0_sel:BYTE_1 src1_sel:DWORD
	s_and_saveexec_b32 s18, s0
	s_cbranch_execz .LBB338_533
; %bb.526:                              ;   in Loop: Header=BB338_426 Depth=1
	v_cmp_ne_u16_sdwa s0, v9, v30 src0_sel:BYTE_1 src1_sel:DWORD
	v_bfrev_b32_e32 v19, 1
	s_and_saveexec_b32 s21, s0
	s_cbranch_execz .LBB338_532
; %bb.527:                              ;   in Loop: Header=BB338_426 Depth=1
	v_and_b32_sdwa v20, v31, v9 dst_sel:DWORD dst_unused:UNUSED_PAD src0_sel:DWORD src1_sel:BYTE_1
	v_mov_b32_e32 v19, 0x7f800001
	s_mov_b32 s22, exec_lo
	v_and_b32_e32 v59, 0x7f, v20
	v_cmpx_ne_u32_e32 0x7f, v59
	s_cbranch_execz .LBB338_531
; %bb.528:                              ;   in Loop: Header=BB338_426 Depth=1
	v_and_b32_e32 v19, 7, v20
	v_mov_b32_e32 v20, v10
	v_lshrrev_b32_e32 v58, 3, v59
	s_mov_b32 s24, exec_lo
	v_cmpx_gt_u32_e32 8, v59
; %bb.529:                              ;   in Loop: Header=BB338_426 Depth=1
	v_ffbh_u32_e32 v58, v19
	v_min_u32_e32 v58, 32, v58
	v_subrev_nc_u32_e32 v59, 28, v58
	v_sub_nc_u32_e32 v58, 29, v58
	v_lshlrev_b64 v[19:20], v59, v[19:20]
	v_and_b32_e32 v19, 7, v19
; %bb.530:                              ;   in Loop: Header=BB338_426 Depth=1
	s_or_b32 exec_lo, exec_lo, s24
	v_lshlrev_b32_e32 v9, 16, v9
	v_lshlrev_b32_e32 v19, 20, v19
	v_lshl_add_u32 v20, v58, 23, 0x3c000000
	v_and_b32_e32 v9, 0x80000000, v9
	v_or3_b32 v19, v19, v9, v20
.LBB338_531:                            ;   in Loop: Header=BB338_426 Depth=1
	s_or_b32 exec_lo, exec_lo, s22
.LBB338_532:                            ;   in Loop: Header=BB338_426 Depth=1
	s_or_b32 exec_lo, exec_lo, s21
.LBB338_533:                            ;   in Loop: Header=BB338_426 Depth=1
	s_or_b32 exec_lo, exec_lo, s18
	v_and_b32_sdwa v9, v18, v32 dst_sel:DWORD dst_unused:UNUSED_PAD src0_sel:WORD_1 src1_sel:DWORD
	v_mov_b32_e32 v20, 0
	v_mov_b32_e32 v58, 0
	s_mov_b32 s18, exec_lo
	v_cmpx_ne_u16_e32 0, v9
	s_cbranch_execz .LBB338_541
; %bb.534:                              ;   in Loop: Header=BB338_426 Depth=1
	v_bfrev_b32_e32 v58, 1
	s_mov_b32 s21, exec_lo
	v_cmpx_ne_u16_e32 0x80, v9
	s_cbranch_execz .LBB338_540
; %bb.535:                              ;   in Loop: Header=BB338_426 Depth=1
	v_bfe_u32 v59, v18, 16, 7
	v_mov_b32_e32 v58, 0x7f800001
	s_mov_b32 s22, exec_lo
	v_cmpx_ne_u32_e32 0x7f, v59
	s_cbranch_execz .LBB338_539
; %bb.536:                              ;   in Loop: Header=BB338_426 Depth=1
	v_and_b32_sdwa v9, v18, v33 dst_sel:DWORD dst_unused:UNUSED_PAD src0_sel:WORD_1 src1_sel:DWORD
	v_lshrrev_b32_e32 v58, 3, v59
	s_mov_b32 s24, exec_lo
	v_cmpx_gt_u32_e32 8, v59
; %bb.537:                              ;   in Loop: Header=BB338_426 Depth=1
	v_ffbh_u32_e32 v58, v9
	v_min_u32_e32 v58, 32, v58
	v_subrev_nc_u32_e32 v59, 28, v58
	v_sub_nc_u32_e32 v58, 29, v58
	v_lshlrev_b64 v[59:60], v59, v[9:10]
	v_and_b32_e32 v9, 7, v59
; %bb.538:                              ;   in Loop: Header=BB338_426 Depth=1
	s_or_b32 exec_lo, exec_lo, s24
	v_lshlrev_b32_sdwa v59, v34, v18 dst_sel:DWORD dst_unused:UNUSED_PAD src0_sel:DWORD src1_sel:WORD_1
	v_lshlrev_b32_e32 v9, 20, v9
	v_lshl_add_u32 v58, v58, 23, 0x3c000000
	v_and_b32_e32 v59, 0x80000000, v59
	v_or3_b32 v58, v9, v59, v58
.LBB338_539:                            ;   in Loop: Header=BB338_426 Depth=1
	s_or_b32 exec_lo, exec_lo, s22
.LBB338_540:                            ;   in Loop: Header=BB338_426 Depth=1
	s_or_b32 exec_lo, exec_lo, s21
.LBB338_541:                            ;   in Loop: Header=BB338_426 Depth=1
	s_or_b32 exec_lo, exec_lo, s18
	s_mov_b32 s18, exec_lo
	v_cmpx_lt_u64_e64 s[4:5], v[17:18]
	s_cbranch_execz .LBB338_549
; %bb.542:                              ;   in Loop: Header=BB338_426 Depth=1
	v_cmp_ne_u32_sdwa s0, v18, v30 src0_sel:BYTE_3 src1_sel:DWORD
	v_bfrev_b32_e32 v20, 1
	s_and_saveexec_b32 s21, s0
	s_cbranch_execz .LBB338_548
; %bb.543:                              ;   in Loop: Header=BB338_426 Depth=1
	v_bfe_u32 v59, v18, 24, 7
	v_mov_b32_e32 v20, 0x7f800001
	s_mov_b32 s22, exec_lo
	v_cmpx_ne_u32_e32 0x7f, v59
	s_cbranch_execz .LBB338_547
; %bb.544:                              ;   in Loop: Header=BB338_426 Depth=1
	v_and_b32_sdwa v9, v18, v33 dst_sel:DWORD dst_unused:UNUSED_PAD src0_sel:BYTE_3 src1_sel:DWORD
	v_lshrrev_b32_e32 v17, 3, v59
	s_mov_b32 s24, exec_lo
	v_cmpx_gt_u32_e32 8, v59
; %bb.545:                              ;   in Loop: Header=BB338_426 Depth=1
	v_ffbh_u32_e32 v17, v9
	v_min_u32_e32 v17, 32, v17
	v_subrev_nc_u32_e32 v20, 28, v17
	v_sub_nc_u32_e32 v17, 29, v17
	v_lshlrev_b64 v[59:60], v20, v[9:10]
	v_and_b32_e32 v9, 7, v59
; %bb.546:                              ;   in Loop: Header=BB338_426 Depth=1
	s_or_b32 exec_lo, exec_lo, s24
	v_lshlrev_b32_sdwa v18, v34, v18 dst_sel:DWORD dst_unused:UNUSED_PAD src0_sel:DWORD src1_sel:BYTE_3
	v_lshlrev_b32_e32 v9, 20, v9
	v_lshl_add_u32 v17, v17, 23, 0x3c000000
	v_and_b32_e32 v18, 0x80000000, v18
	v_or3_b32 v20, v9, v18, v17
.LBB338_547:                            ;   in Loop: Header=BB338_426 Depth=1
	s_or_b32 exec_lo, exec_lo, s22
.LBB338_548:                            ;   in Loop: Header=BB338_426 Depth=1
	s_or_b32 exec_lo, exec_lo, s21
.LBB338_549:                            ;   in Loop: Header=BB338_426 Depth=1
	s_or_b32 exec_lo, exec_lo, s18
	v_mul_f32_e32 v9, s17, v19
	v_mul_f32_e32 v17, s17, v57
	;; [unrolled: 1-line block ×5, first 2 shown]
	v_bfe_u32 v53, v9, 16, 1
	v_or_b32_e32 v56, 0x400000, v9
	v_bfe_u32 v57, v17, 16, 1
	v_cmp_u_f32_e64 s0, v9, v9
	v_or_b32_e32 v59, 0x400000, v17
	v_add3_u32 v53, v53, v9, 0x7fff
	v_bfe_u32 v60, v18, 16, 1
	v_add3_u32 v57, v57, v17, 0x7fff
	v_or_b32_e32 v61, 0x400000, v18
	v_bfe_u32 v62, v19, 16, 1
	v_cndmask_b32_e64 v9, v53, v56, s0
	v_cmp_u_f32_e64 s0, v17, v17
	v_add3_u32 v60, v60, v18, 0x7fff
	v_lshrrev_b32_e32 v53, 16, v9
	v_cndmask_b32_e64 v17, v57, v59, s0
	v_cmp_u_f32_e64 s0, v18, v18
	v_mul_f32_e32 v9, s17, v54
	v_add3_u32 v57, v62, v19, 0x7fff
	v_or_b32_e32 v59, 0x400000, v19
	v_lshrrev_b32_e32 v54, 16, v17
	v_cndmask_b32_e64 v18, v60, v61, s0
	v_bfe_u32 v17, v9, 16, 1
	v_cmp_u_f32_e64 s0, v19, v19
	v_mul_f32_e32 v19, s17, v55
	v_mul_f32_e32 v55, s17, v58
	v_lshrrev_b32_e32 v56, 16, v18
	v_add3_u32 v17, v17, v9, 0x7fff
	v_cndmask_b32_e64 v18, v57, v59, s0
	v_or_b32_e32 v57, 0x400000, v9
	v_bfe_u32 v58, v19, 16, 1
	v_cmp_u_f32_e64 s0, v9, v9
	v_bfe_u32 v59, v55, 16, 1
	v_or_b32_e32 v60, 0x400000, v55
	v_or_b32_e32 v61, 0x400000, v20
	v_cndmask_b32_e64 v9, v17, v57, s0
	v_add3_u32 v57, v58, v19, 0x7fff
	v_or_b32_e32 v58, 0x400000, v19
	v_cmp_u_f32_e64 s0, v19, v19
	v_bfe_u32 v17, v20, 16, 1
	v_add3_u32 v59, v59, v55, 0x7fff
	v_cndmask_b32_e64 v19, v57, v58, s0
	v_cmp_u_f32_e64 s0, v55, v55
	v_add3_u32 v17, v17, v20, 0x7fff
	v_lshrrev_b32_e32 v58, 16, v18
	v_cndmask_b32_e64 v55, v59, v60, s0
	v_cmp_u_f32_e64 s0, v20, v20
	v_lshrrev_b32_e32 v60, 16, v9
	v_lshrrev_b32_e32 v59, 16, v19
	;; [unrolled: 1-line block ×3, first 2 shown]
	v_cndmask_b32_e64 v17, v17, v61, s0
	v_lshrrev_b32_e32 v57, 16, v17
	s_and_saveexec_b32 s18, vcc_lo
	s_cbranch_execz .LBB338_551
; %bb.550:                              ;   in Loop: Header=BB338_426 Depth=1
	v_cmp_gt_i32_e64 s0, s31, v36
	v_cndmask_b32_e64 v59, 0, v59, s0
	v_cmp_gt_i32_e64 s0, s31, v52
	v_cndmask_b32_e64 v60, 0, v60, s0
	;; [unrolled: 2-line block ×8, first 2 shown]
.LBB338_551:                            ;   in Loop: Header=BB338_426 Depth=1
	s_or_b32 exec_lo, exec_lo, s18
	global_load_dwordx2 v[17:18], v[15:16], off offset:512
	v_mov_b32_e32 v62, 0
	v_mov_b32_e32 v63, 0
	s_waitcnt vmcnt(0)
	v_cmp_ne_u16_sdwa s0, v17, v10 src0_sel:BYTE_0 src1_sel:DWORD
	s_and_saveexec_b32 s18, s0
	s_cbranch_execz .LBB338_557
; %bb.552:                              ;   in Loop: Header=BB338_426 Depth=1
	v_cmp_ne_u16_sdwa s0, v17, v30 src0_sel:BYTE_0 src1_sel:DWORD
	v_bfrev_b32_e32 v63, 1
	s_and_saveexec_b32 s21, s0
	s_cbranch_execz .LBB338_556
; %bb.553:                              ;   in Loop: Header=BB338_426 Depth=1
	v_and_b32_e32 v9, 0x7f, v17
	v_mov_b32_e32 v63, 0x7f800001
	s_mov_b32 s22, exec_lo
	v_cmpx_ne_u32_e32 0x7f, v9
	s_cbranch_execz .LBB338_555
; %bb.554:                              ;   in Loop: Header=BB338_426 Depth=1
	v_and_b32_e32 v19, 7, v17
	v_lshrrev_b32_e32 v20, 3, v9
	v_cmp_gt_u32_e64 s0, 8, v9
	v_ffbh_u32_e32 v19, v19
	v_min_u32_e32 v19, 32, v19
	v_subrev_nc_u32_e32 v61, 28, v19
	v_sub_nc_u32_e32 v19, 29, v19
	v_cndmask_b32_e64 v9, v20, v19, s0
	v_cndmask_b32_e64 v19, 0, v61, s0
	v_lshl_add_u32 v9, v9, 23, 0x3c000000
	v_lshlrev_b64 v[19:20], v19, v[17:18]
	v_lshlrev_b32_e32 v20, 24, v17
	v_lshlrev_b32_e32 v19, 20, v19
	v_and_b32_e32 v20, 0x80000000, v20
	v_and_b32_e32 v19, 0x700000, v19
	v_or3_b32 v63, v19, v20, v9
.LBB338_555:                            ;   in Loop: Header=BB338_426 Depth=1
	s_or_b32 exec_lo, exec_lo, s22
.LBB338_556:                            ;   in Loop: Header=BB338_426 Depth=1
	s_or_b32 exec_lo, exec_lo, s21
.LBB338_557:                            ;   in Loop: Header=BB338_426 Depth=1
	s_or_b32 exec_lo, exec_lo, s18
	v_cmp_ne_u16_sdwa s0, v17, v10 src0_sel:BYTE_1 src1_sel:DWORD
	s_and_saveexec_b32 s18, s0
	s_cbranch_execz .LBB338_565
; %bb.558:                              ;   in Loop: Header=BB338_426 Depth=1
	v_cmp_ne_u16_sdwa s0, v17, v30 src0_sel:BYTE_1 src1_sel:DWORD
	v_bfrev_b32_e32 v62, 1
	s_and_saveexec_b32 s21, s0
	s_cbranch_execz .LBB338_564
; %bb.559:                              ;   in Loop: Header=BB338_426 Depth=1
	v_and_b32_sdwa v9, v31, v17 dst_sel:DWORD dst_unused:UNUSED_PAD src0_sel:DWORD src1_sel:BYTE_1
	v_mov_b32_e32 v62, 0x7f800001
	s_mov_b32 s22, exec_lo
	v_and_b32_e32 v20, 0x7f, v9
	v_cmpx_ne_u32_e32 0x7f, v20
	s_cbranch_execz .LBB338_563
; %bb.560:                              ;   in Loop: Header=BB338_426 Depth=1
	v_and_b32_e32 v9, 7, v9
	v_lshrrev_b32_e32 v19, 3, v20
	s_mov_b32 s24, exec_lo
	v_cmpx_gt_u32_e32 8, v20
; %bb.561:                              ;   in Loop: Header=BB338_426 Depth=1
	v_ffbh_u32_e32 v19, v9
	v_min_u32_e32 v19, 32, v19
	v_subrev_nc_u32_e32 v20, 28, v19
	v_sub_nc_u32_e32 v19, 29, v19
	v_lshlrev_b64 v[61:62], v20, v[9:10]
	v_and_b32_e32 v9, 7, v61
; %bb.562:                              ;   in Loop: Header=BB338_426 Depth=1
	s_or_b32 exec_lo, exec_lo, s24
	v_lshlrev_b32_e32 v20, 16, v17
	v_lshlrev_b32_e32 v9, 20, v9
	v_lshl_add_u32 v19, v19, 23, 0x3c000000
	v_and_b32_e32 v20, 0x80000000, v20
	v_or3_b32 v62, v9, v20, v19
.LBB338_563:                            ;   in Loop: Header=BB338_426 Depth=1
	s_or_b32 exec_lo, exec_lo, s22
.LBB338_564:                            ;   in Loop: Header=BB338_426 Depth=1
	s_or_b32 exec_lo, exec_lo, s21
.LBB338_565:                            ;   in Loop: Header=BB338_426 Depth=1
	s_or_b32 exec_lo, exec_lo, s18
	v_and_b32_sdwa v9, v17, v32 dst_sel:DWORD dst_unused:UNUSED_PAD src0_sel:WORD_1 src1_sel:DWORD
	v_mov_b32_e32 v64, 0
	v_mov_b32_e32 v61, 0
	s_mov_b32 s18, exec_lo
	v_cmpx_ne_u16_e32 0, v9
	s_cbranch_execz .LBB338_573
; %bb.566:                              ;   in Loop: Header=BB338_426 Depth=1
	v_bfrev_b32_e32 v61, 1
	s_mov_b32 s21, exec_lo
	v_cmpx_ne_u16_e32 0x80, v9
	s_cbranch_execz .LBB338_572
; %bb.567:                              ;   in Loop: Header=BB338_426 Depth=1
	v_bfe_u32 v20, v17, 16, 7
	v_mov_b32_e32 v61, 0x7f800001
	s_mov_b32 s22, exec_lo
	v_cmpx_ne_u32_e32 0x7f, v20
	s_cbranch_execz .LBB338_571
; %bb.568:                              ;   in Loop: Header=BB338_426 Depth=1
	v_and_b32_sdwa v9, v17, v33 dst_sel:DWORD dst_unused:UNUSED_PAD src0_sel:WORD_1 src1_sel:DWORD
	v_lshrrev_b32_e32 v19, 3, v20
	s_mov_b32 s24, exec_lo
	v_cmpx_gt_u32_e32 8, v20
; %bb.569:                              ;   in Loop: Header=BB338_426 Depth=1
	v_ffbh_u32_e32 v19, v9
	v_min_u32_e32 v19, 32, v19
	v_subrev_nc_u32_e32 v20, 28, v19
	v_sub_nc_u32_e32 v19, 29, v19
	v_lshlrev_b64 v[65:66], v20, v[9:10]
	v_and_b32_e32 v9, 7, v65
; %bb.570:                              ;   in Loop: Header=BB338_426 Depth=1
	s_or_b32 exec_lo, exec_lo, s24
	v_lshlrev_b32_sdwa v20, v34, v17 dst_sel:DWORD dst_unused:UNUSED_PAD src0_sel:DWORD src1_sel:WORD_1
	v_lshlrev_b32_e32 v9, 20, v9
	v_lshl_add_u32 v19, v19, 23, 0x3c000000
	v_and_b32_e32 v20, 0x80000000, v20
	v_or3_b32 v61, v9, v20, v19
.LBB338_571:                            ;   in Loop: Header=BB338_426 Depth=1
	s_or_b32 exec_lo, exec_lo, s22
.LBB338_572:                            ;   in Loop: Header=BB338_426 Depth=1
	s_or_b32 exec_lo, exec_lo, s21
.LBB338_573:                            ;   in Loop: Header=BB338_426 Depth=1
	s_or_b32 exec_lo, exec_lo, s18
	s_mov_b32 s18, exec_lo
	v_cmpx_lt_u32_e32 0xffffff, v17
	s_cbranch_execz .LBB338_581
; %bb.574:                              ;   in Loop: Header=BB338_426 Depth=1
	v_cmp_ne_u32_sdwa s0, v17, v30 src0_sel:BYTE_3 src1_sel:DWORD
	v_bfrev_b32_e32 v64, 1
	s_and_saveexec_b32 s21, s0
	s_cbranch_execz .LBB338_580
; %bb.575:                              ;   in Loop: Header=BB338_426 Depth=1
	v_bfe_u32 v20, v17, 24, 7
	v_mov_b32_e32 v64, 0x7f800001
	s_mov_b32 s22, exec_lo
	v_cmpx_ne_u32_e32 0x7f, v20
	s_cbranch_execz .LBB338_579
; %bb.576:                              ;   in Loop: Header=BB338_426 Depth=1
	v_and_b32_sdwa v9, v17, v33 dst_sel:DWORD dst_unused:UNUSED_PAD src0_sel:BYTE_3 src1_sel:DWORD
	v_lshrrev_b32_e32 v19, 3, v20
	s_mov_b32 s24, exec_lo
	v_cmpx_gt_u32_e32 8, v20
; %bb.577:                              ;   in Loop: Header=BB338_426 Depth=1
	v_ffbh_u32_e32 v19, v9
	v_min_u32_e32 v19, 32, v19
	v_subrev_nc_u32_e32 v20, 28, v19
	v_sub_nc_u32_e32 v19, 29, v19
	v_lshlrev_b64 v[64:65], v20, v[9:10]
	v_and_b32_e32 v9, 7, v64
; %bb.578:                              ;   in Loop: Header=BB338_426 Depth=1
	s_or_b32 exec_lo, exec_lo, s24
	v_lshlrev_b32_sdwa v20, v34, v17 dst_sel:DWORD dst_unused:UNUSED_PAD src0_sel:DWORD src1_sel:BYTE_3
	v_lshlrev_b32_e32 v9, 20, v9
	v_lshl_add_u32 v19, v19, 23, 0x3c000000
	v_and_b32_e32 v20, 0x80000000, v20
	v_or3_b32 v64, v9, v20, v19
.LBB338_579:                            ;   in Loop: Header=BB338_426 Depth=1
	s_or_b32 exec_lo, exec_lo, s22
.LBB338_580:                            ;   in Loop: Header=BB338_426 Depth=1
	s_or_b32 exec_lo, exec_lo, s21
.LBB338_581:                            ;   in Loop: Header=BB338_426 Depth=1
	s_or_b32 exec_lo, exec_lo, s18
	v_mov_b32_e32 v9, v18
	v_cmp_ne_u16_sdwa s0, v18, v10 src0_sel:BYTE_0 src1_sel:DWORD
	v_mov_b32_e32 v19, 0
	v_mov_b32_e32 v65, 0
	s_and_saveexec_b32 s18, s0
	s_cbranch_execz .LBB338_587
; %bb.582:                              ;   in Loop: Header=BB338_426 Depth=1
	v_cmp_ne_u16_sdwa s0, v18, v30 src0_sel:BYTE_0 src1_sel:DWORD
	v_bfrev_b32_e32 v65, 1
	s_and_saveexec_b32 s21, s0
	s_cbranch_execz .LBB338_586
; %bb.583:                              ;   in Loop: Header=BB338_426 Depth=1
	v_and_b32_e32 v20, 0x7f, v18
	v_mov_b32_e32 v65, 0x7f800001
	s_mov_b32 s22, exec_lo
	v_cmpx_ne_u32_e32 0x7f, v20
	s_cbranch_execz .LBB338_585
; %bb.584:                              ;   in Loop: Header=BB338_426 Depth=1
	v_and_b32_e32 v65, 7, v18
	v_lshrrev_b32_e32 v66, 3, v20
	v_cmp_gt_u32_e64 s0, 8, v20
	v_ffbh_u32_e32 v65, v65
	v_min_u32_e32 v65, 32, v65
	v_subrev_nc_u32_e32 v67, 28, v65
	v_sub_nc_u32_e32 v65, 29, v65
	v_cndmask_b32_e64 v20, v66, v65, s0
	v_cndmask_b32_e64 v65, 0, v67, s0
	v_lshl_add_u32 v20, v20, 23, 0x3c000000
	v_lshlrev_b64 v[65:66], v65, v[9:10]
	v_lshlrev_b32_e32 v66, 24, v9
	v_lshlrev_b32_e32 v65, 20, v65
	v_and_b32_e32 v66, 0x80000000, v66
	v_and_b32_e32 v65, 0x700000, v65
	v_or3_b32 v65, v65, v66, v20
.LBB338_585:                            ;   in Loop: Header=BB338_426 Depth=1
	s_or_b32 exec_lo, exec_lo, s22
.LBB338_586:                            ;   in Loop: Header=BB338_426 Depth=1
	s_or_b32 exec_lo, exec_lo, s21
.LBB338_587:                            ;   in Loop: Header=BB338_426 Depth=1
	s_or_b32 exec_lo, exec_lo, s18
	v_cmp_ne_u16_sdwa s0, v9, v10 src0_sel:BYTE_1 src1_sel:DWORD
	s_and_saveexec_b32 s18, s0
	s_cbranch_execz .LBB338_595
; %bb.588:                              ;   in Loop: Header=BB338_426 Depth=1
	v_cmp_ne_u16_sdwa s0, v9, v30 src0_sel:BYTE_1 src1_sel:DWORD
	v_bfrev_b32_e32 v19, 1
	s_and_saveexec_b32 s21, s0
	s_cbranch_execz .LBB338_594
; %bb.589:                              ;   in Loop: Header=BB338_426 Depth=1
	v_and_b32_sdwa v20, v31, v9 dst_sel:DWORD dst_unused:UNUSED_PAD src0_sel:DWORD src1_sel:BYTE_1
	v_mov_b32_e32 v19, 0x7f800001
	s_mov_b32 s22, exec_lo
	v_and_b32_e32 v67, 0x7f, v20
	v_cmpx_ne_u32_e32 0x7f, v67
	s_cbranch_execz .LBB338_593
; %bb.590:                              ;   in Loop: Header=BB338_426 Depth=1
	v_and_b32_e32 v19, 7, v20
	v_mov_b32_e32 v20, v10
	v_lshrrev_b32_e32 v66, 3, v67
	s_mov_b32 s24, exec_lo
	v_cmpx_gt_u32_e32 8, v67
; %bb.591:                              ;   in Loop: Header=BB338_426 Depth=1
	v_ffbh_u32_e32 v66, v19
	v_min_u32_e32 v66, 32, v66
	v_subrev_nc_u32_e32 v67, 28, v66
	v_sub_nc_u32_e32 v66, 29, v66
	v_lshlrev_b64 v[19:20], v67, v[19:20]
	v_and_b32_e32 v19, 7, v19
; %bb.592:                              ;   in Loop: Header=BB338_426 Depth=1
	s_or_b32 exec_lo, exec_lo, s24
	v_lshlrev_b32_e32 v9, 16, v9
	v_lshlrev_b32_e32 v19, 20, v19
	v_lshl_add_u32 v20, v66, 23, 0x3c000000
	v_and_b32_e32 v9, 0x80000000, v9
	v_or3_b32 v19, v19, v9, v20
.LBB338_593:                            ;   in Loop: Header=BB338_426 Depth=1
	s_or_b32 exec_lo, exec_lo, s22
.LBB338_594:                            ;   in Loop: Header=BB338_426 Depth=1
	s_or_b32 exec_lo, exec_lo, s21
.LBB338_595:                            ;   in Loop: Header=BB338_426 Depth=1
	s_or_b32 exec_lo, exec_lo, s18
	v_and_b32_sdwa v9, v18, v32 dst_sel:DWORD dst_unused:UNUSED_PAD src0_sel:WORD_1 src1_sel:DWORD
	v_mov_b32_e32 v20, 0
	v_mov_b32_e32 v66, 0
	s_mov_b32 s18, exec_lo
	v_cmpx_ne_u16_e32 0, v9
	s_cbranch_execz .LBB338_603
; %bb.596:                              ;   in Loop: Header=BB338_426 Depth=1
	v_bfrev_b32_e32 v66, 1
	s_mov_b32 s21, exec_lo
	v_cmpx_ne_u16_e32 0x80, v9
	s_cbranch_execz .LBB338_602
; %bb.597:                              ;   in Loop: Header=BB338_426 Depth=1
	v_bfe_u32 v67, v18, 16, 7
	v_mov_b32_e32 v66, 0x7f800001
	s_mov_b32 s22, exec_lo
	v_cmpx_ne_u32_e32 0x7f, v67
	s_cbranch_execz .LBB338_601
; %bb.598:                              ;   in Loop: Header=BB338_426 Depth=1
	v_and_b32_sdwa v9, v18, v33 dst_sel:DWORD dst_unused:UNUSED_PAD src0_sel:WORD_1 src1_sel:DWORD
	v_lshrrev_b32_e32 v66, 3, v67
	s_mov_b32 s24, exec_lo
	v_cmpx_gt_u32_e32 8, v67
; %bb.599:                              ;   in Loop: Header=BB338_426 Depth=1
	v_ffbh_u32_e32 v66, v9
	v_min_u32_e32 v66, 32, v66
	v_subrev_nc_u32_e32 v67, 28, v66
	v_sub_nc_u32_e32 v66, 29, v66
	v_lshlrev_b64 v[67:68], v67, v[9:10]
	v_and_b32_e32 v9, 7, v67
; %bb.600:                              ;   in Loop: Header=BB338_426 Depth=1
	s_or_b32 exec_lo, exec_lo, s24
	v_lshlrev_b32_sdwa v67, v34, v18 dst_sel:DWORD dst_unused:UNUSED_PAD src0_sel:DWORD src1_sel:WORD_1
	v_lshlrev_b32_e32 v9, 20, v9
	v_lshl_add_u32 v66, v66, 23, 0x3c000000
	v_and_b32_e32 v67, 0x80000000, v67
	v_or3_b32 v66, v9, v67, v66
.LBB338_601:                            ;   in Loop: Header=BB338_426 Depth=1
	s_or_b32 exec_lo, exec_lo, s22
.LBB338_602:                            ;   in Loop: Header=BB338_426 Depth=1
	s_or_b32 exec_lo, exec_lo, s21
.LBB338_603:                            ;   in Loop: Header=BB338_426 Depth=1
	s_or_b32 exec_lo, exec_lo, s18
	s_mov_b32 s18, exec_lo
	v_cmpx_lt_u64_e64 s[4:5], v[17:18]
	s_cbranch_execz .LBB338_611
; %bb.604:                              ;   in Loop: Header=BB338_426 Depth=1
	v_cmp_ne_u32_sdwa s0, v18, v30 src0_sel:BYTE_3 src1_sel:DWORD
	v_bfrev_b32_e32 v20, 1
	s_and_saveexec_b32 s21, s0
	s_cbranch_execz .LBB338_610
; %bb.605:                              ;   in Loop: Header=BB338_426 Depth=1
	v_bfe_u32 v67, v18, 24, 7
	v_mov_b32_e32 v20, 0x7f800001
	s_mov_b32 s22, exec_lo
	v_cmpx_ne_u32_e32 0x7f, v67
	s_cbranch_execz .LBB338_609
; %bb.606:                              ;   in Loop: Header=BB338_426 Depth=1
	v_and_b32_sdwa v9, v18, v33 dst_sel:DWORD dst_unused:UNUSED_PAD src0_sel:BYTE_3 src1_sel:DWORD
	v_lshrrev_b32_e32 v17, 3, v67
	s_mov_b32 s24, exec_lo
	v_cmpx_gt_u32_e32 8, v67
; %bb.607:                              ;   in Loop: Header=BB338_426 Depth=1
	v_ffbh_u32_e32 v17, v9
	v_min_u32_e32 v17, 32, v17
	v_subrev_nc_u32_e32 v20, 28, v17
	v_sub_nc_u32_e32 v17, 29, v17
	v_lshlrev_b64 v[67:68], v20, v[9:10]
	v_and_b32_e32 v9, 7, v67
; %bb.608:                              ;   in Loop: Header=BB338_426 Depth=1
	s_or_b32 exec_lo, exec_lo, s24
	v_lshlrev_b32_sdwa v18, v34, v18 dst_sel:DWORD dst_unused:UNUSED_PAD src0_sel:DWORD src1_sel:BYTE_3
	v_lshlrev_b32_e32 v9, 20, v9
	v_lshl_add_u32 v17, v17, 23, 0x3c000000
	v_and_b32_e32 v18, 0x80000000, v18
	v_or3_b32 v20, v9, v18, v17
.LBB338_609:                            ;   in Loop: Header=BB338_426 Depth=1
	s_or_b32 exec_lo, exec_lo, s22
.LBB338_610:                            ;   in Loop: Header=BB338_426 Depth=1
	s_or_b32 exec_lo, exec_lo, s21
.LBB338_611:                            ;   in Loop: Header=BB338_426 Depth=1
	s_or_b32 exec_lo, exec_lo, s18
	v_mul_f32_e32 v9, s17, v19
	v_mul_f32_e32 v17, s17, v65
	;; [unrolled: 1-line block ×5, first 2 shown]
	v_bfe_u32 v61, v9, 16, 1
	v_or_b32_e32 v64, 0x400000, v9
	v_bfe_u32 v65, v17, 16, 1
	v_cmp_u_f32_e64 s0, v9, v9
	v_or_b32_e32 v67, 0x400000, v17
	v_add3_u32 v61, v61, v9, 0x7fff
	v_bfe_u32 v68, v18, 16, 1
	v_add3_u32 v65, v65, v17, 0x7fff
	v_or_b32_e32 v69, 0x400000, v18
	v_bfe_u32 v70, v19, 16, 1
	v_cndmask_b32_e64 v9, v61, v64, s0
	v_cmp_u_f32_e64 s0, v17, v17
	v_add3_u32 v68, v68, v18, 0x7fff
	v_lshrrev_b32_e32 v61, 16, v9
	v_cndmask_b32_e64 v17, v65, v67, s0
	v_cmp_u_f32_e64 s0, v18, v18
	v_mul_f32_e32 v9, s17, v62
	v_add3_u32 v65, v70, v19, 0x7fff
	v_or_b32_e32 v67, 0x400000, v19
	v_lshrrev_b32_e32 v62, 16, v17
	v_cndmask_b32_e64 v18, v68, v69, s0
	v_bfe_u32 v17, v9, 16, 1
	v_cmp_u_f32_e64 s0, v19, v19
	v_mul_f32_e32 v19, s17, v63
	v_mul_f32_e32 v63, s17, v66
	v_lshrrev_b32_e32 v64, 16, v18
	v_add3_u32 v17, v17, v9, 0x7fff
	v_cndmask_b32_e64 v18, v65, v67, s0
	v_or_b32_e32 v65, 0x400000, v9
	v_bfe_u32 v66, v19, 16, 1
	v_cmp_u_f32_e64 s0, v9, v9
	v_bfe_u32 v67, v63, 16, 1
	v_or_b32_e32 v68, 0x400000, v63
	v_or_b32_e32 v69, 0x400000, v20
	v_cndmask_b32_e64 v9, v17, v65, s0
	v_add3_u32 v65, v66, v19, 0x7fff
	v_or_b32_e32 v66, 0x400000, v19
	v_cmp_u_f32_e64 s0, v19, v19
	v_bfe_u32 v17, v20, 16, 1
	v_add3_u32 v67, v67, v63, 0x7fff
	v_cndmask_b32_e64 v19, v65, v66, s0
	v_cmp_u_f32_e64 s0, v63, v63
	v_add3_u32 v17, v17, v20, 0x7fff
	v_lshrrev_b32_e32 v66, 16, v18
	v_cndmask_b32_e64 v63, v67, v68, s0
	v_cmp_u_f32_e64 s0, v20, v20
	v_lshrrev_b32_e32 v68, 16, v9
	v_lshrrev_b32_e32 v67, 16, v19
	;; [unrolled: 1-line block ×3, first 2 shown]
	v_cndmask_b32_e64 v17, v17, v69, s0
	v_lshrrev_b32_e32 v65, 16, v17
	s_and_saveexec_b32 s18, vcc_lo
	s_cbranch_execz .LBB338_613
; %bb.612:                              ;   in Loop: Header=BB338_426 Depth=1
	v_cmp_gt_i32_e64 s0, s31, v36
	v_cndmask_b32_e64 v67, 0, v67, s0
	v_cmp_gt_i32_e64 s0, s31, v52
	v_cndmask_b32_e64 v68, 0, v68, s0
	v_cmp_gt_i32_e64 s0, s31, v51
	v_cndmask_b32_e64 v66, 0, v66, s0
	v_cmp_gt_i32_e64 s0, s31, v50
	v_cndmask_b32_e64 v64, 0, v64, s0
	v_cmp_gt_i32_e64 s0, s31, v49
	v_cndmask_b32_e64 v62, 0, v62, s0
	v_cmp_gt_i32_e64 s0, s31, v48
	v_cndmask_b32_e64 v61, 0, v61, s0
	v_cmp_gt_i32_e64 s0, s31, v47
	v_cndmask_b32_e64 v63, 0, v63, s0
	v_cmp_gt_i32_e64 s0, s31, v46
	v_cndmask_b32_e64 v65, 0, v65, s0
.LBB338_613:                            ;   in Loop: Header=BB338_426 Depth=1
	s_or_b32 exec_lo, exec_lo, s18
	global_load_dwordx2 v[17:18], v[15:16], off offset:768
	v_mov_b32_e32 v70, 0
	v_mov_b32_e32 v71, 0
	s_waitcnt vmcnt(0)
	v_cmp_ne_u16_sdwa s0, v17, v10 src0_sel:BYTE_0 src1_sel:DWORD
	s_and_saveexec_b32 s18, s0
	s_cbranch_execz .LBB338_619
; %bb.614:                              ;   in Loop: Header=BB338_426 Depth=1
	v_cmp_ne_u16_sdwa s0, v17, v30 src0_sel:BYTE_0 src1_sel:DWORD
	v_bfrev_b32_e32 v71, 1
	s_and_saveexec_b32 s21, s0
	s_cbranch_execz .LBB338_618
; %bb.615:                              ;   in Loop: Header=BB338_426 Depth=1
	v_and_b32_e32 v9, 0x7f, v17
	v_mov_b32_e32 v71, 0x7f800001
	s_mov_b32 s22, exec_lo
	v_cmpx_ne_u32_e32 0x7f, v9
	s_cbranch_execz .LBB338_617
; %bb.616:                              ;   in Loop: Header=BB338_426 Depth=1
	v_and_b32_e32 v19, 7, v17
	v_lshrrev_b32_e32 v20, 3, v9
	v_cmp_gt_u32_e64 s0, 8, v9
	v_ffbh_u32_e32 v19, v19
	v_min_u32_e32 v19, 32, v19
	v_subrev_nc_u32_e32 v69, 28, v19
	v_sub_nc_u32_e32 v19, 29, v19
	v_cndmask_b32_e64 v9, v20, v19, s0
	v_cndmask_b32_e64 v19, 0, v69, s0
	v_lshl_add_u32 v9, v9, 23, 0x3c000000
	v_lshlrev_b64 v[19:20], v19, v[17:18]
	v_lshlrev_b32_e32 v20, 24, v17
	v_lshlrev_b32_e32 v19, 20, v19
	v_and_b32_e32 v20, 0x80000000, v20
	v_and_b32_e32 v19, 0x700000, v19
	v_or3_b32 v71, v19, v20, v9
.LBB338_617:                            ;   in Loop: Header=BB338_426 Depth=1
	s_or_b32 exec_lo, exec_lo, s22
.LBB338_618:                            ;   in Loop: Header=BB338_426 Depth=1
	s_or_b32 exec_lo, exec_lo, s21
.LBB338_619:                            ;   in Loop: Header=BB338_426 Depth=1
	s_or_b32 exec_lo, exec_lo, s18
	v_cmp_ne_u16_sdwa s0, v17, v10 src0_sel:BYTE_1 src1_sel:DWORD
	s_and_saveexec_b32 s18, s0
	s_cbranch_execz .LBB338_627
; %bb.620:                              ;   in Loop: Header=BB338_426 Depth=1
	v_cmp_ne_u16_sdwa s0, v17, v30 src0_sel:BYTE_1 src1_sel:DWORD
	v_bfrev_b32_e32 v70, 1
	s_and_saveexec_b32 s21, s0
	s_cbranch_execz .LBB338_626
; %bb.621:                              ;   in Loop: Header=BB338_426 Depth=1
	v_and_b32_sdwa v9, v31, v17 dst_sel:DWORD dst_unused:UNUSED_PAD src0_sel:DWORD src1_sel:BYTE_1
	v_mov_b32_e32 v70, 0x7f800001
	s_mov_b32 s22, exec_lo
	v_and_b32_e32 v20, 0x7f, v9
	v_cmpx_ne_u32_e32 0x7f, v20
	s_cbranch_execz .LBB338_625
; %bb.622:                              ;   in Loop: Header=BB338_426 Depth=1
	v_and_b32_e32 v9, 7, v9
	v_lshrrev_b32_e32 v19, 3, v20
	s_mov_b32 s24, exec_lo
	v_cmpx_gt_u32_e32 8, v20
; %bb.623:                              ;   in Loop: Header=BB338_426 Depth=1
	v_ffbh_u32_e32 v19, v9
	v_min_u32_e32 v19, 32, v19
	v_subrev_nc_u32_e32 v20, 28, v19
	v_sub_nc_u32_e32 v19, 29, v19
	v_lshlrev_b64 v[69:70], v20, v[9:10]
	v_and_b32_e32 v9, 7, v69
; %bb.624:                              ;   in Loop: Header=BB338_426 Depth=1
	s_or_b32 exec_lo, exec_lo, s24
	v_lshlrev_b32_e32 v20, 16, v17
	v_lshlrev_b32_e32 v9, 20, v9
	v_lshl_add_u32 v19, v19, 23, 0x3c000000
	v_and_b32_e32 v20, 0x80000000, v20
	v_or3_b32 v70, v9, v20, v19
.LBB338_625:                            ;   in Loop: Header=BB338_426 Depth=1
	s_or_b32 exec_lo, exec_lo, s22
.LBB338_626:                            ;   in Loop: Header=BB338_426 Depth=1
	s_or_b32 exec_lo, exec_lo, s21
.LBB338_627:                            ;   in Loop: Header=BB338_426 Depth=1
	s_or_b32 exec_lo, exec_lo, s18
	v_and_b32_sdwa v9, v17, v32 dst_sel:DWORD dst_unused:UNUSED_PAD src0_sel:WORD_1 src1_sel:DWORD
	v_mov_b32_e32 v72, 0
	v_mov_b32_e32 v69, 0
	s_mov_b32 s18, exec_lo
	v_cmpx_ne_u16_e32 0, v9
	s_cbranch_execz .LBB338_635
; %bb.628:                              ;   in Loop: Header=BB338_426 Depth=1
	v_bfrev_b32_e32 v69, 1
	s_mov_b32 s21, exec_lo
	v_cmpx_ne_u16_e32 0x80, v9
	s_cbranch_execz .LBB338_634
; %bb.629:                              ;   in Loop: Header=BB338_426 Depth=1
	v_bfe_u32 v20, v17, 16, 7
	v_mov_b32_e32 v69, 0x7f800001
	s_mov_b32 s22, exec_lo
	v_cmpx_ne_u32_e32 0x7f, v20
	s_cbranch_execz .LBB338_633
; %bb.630:                              ;   in Loop: Header=BB338_426 Depth=1
	v_and_b32_sdwa v9, v17, v33 dst_sel:DWORD dst_unused:UNUSED_PAD src0_sel:WORD_1 src1_sel:DWORD
	v_lshrrev_b32_e32 v19, 3, v20
	s_mov_b32 s24, exec_lo
	v_cmpx_gt_u32_e32 8, v20
; %bb.631:                              ;   in Loop: Header=BB338_426 Depth=1
	v_ffbh_u32_e32 v19, v9
	v_min_u32_e32 v19, 32, v19
	v_subrev_nc_u32_e32 v20, 28, v19
	v_sub_nc_u32_e32 v19, 29, v19
	v_lshlrev_b64 v[73:74], v20, v[9:10]
	v_and_b32_e32 v9, 7, v73
; %bb.632:                              ;   in Loop: Header=BB338_426 Depth=1
	s_or_b32 exec_lo, exec_lo, s24
	v_lshlrev_b32_sdwa v20, v34, v17 dst_sel:DWORD dst_unused:UNUSED_PAD src0_sel:DWORD src1_sel:WORD_1
	v_lshlrev_b32_e32 v9, 20, v9
	v_lshl_add_u32 v19, v19, 23, 0x3c000000
	v_and_b32_e32 v20, 0x80000000, v20
	v_or3_b32 v69, v9, v20, v19
.LBB338_633:                            ;   in Loop: Header=BB338_426 Depth=1
	s_or_b32 exec_lo, exec_lo, s22
.LBB338_634:                            ;   in Loop: Header=BB338_426 Depth=1
	s_or_b32 exec_lo, exec_lo, s21
.LBB338_635:                            ;   in Loop: Header=BB338_426 Depth=1
	s_or_b32 exec_lo, exec_lo, s18
	s_mov_b32 s18, exec_lo
	v_cmpx_lt_u32_e32 0xffffff, v17
	s_cbranch_execz .LBB338_643
; %bb.636:                              ;   in Loop: Header=BB338_426 Depth=1
	v_cmp_ne_u32_sdwa s0, v17, v30 src0_sel:BYTE_3 src1_sel:DWORD
	v_bfrev_b32_e32 v72, 1
	s_and_saveexec_b32 s21, s0
	s_cbranch_execz .LBB338_642
; %bb.637:                              ;   in Loop: Header=BB338_426 Depth=1
	v_bfe_u32 v20, v17, 24, 7
	v_mov_b32_e32 v72, 0x7f800001
	s_mov_b32 s22, exec_lo
	v_cmpx_ne_u32_e32 0x7f, v20
	s_cbranch_execz .LBB338_641
; %bb.638:                              ;   in Loop: Header=BB338_426 Depth=1
	v_and_b32_sdwa v9, v17, v33 dst_sel:DWORD dst_unused:UNUSED_PAD src0_sel:BYTE_3 src1_sel:DWORD
	v_lshrrev_b32_e32 v19, 3, v20
	s_mov_b32 s24, exec_lo
	v_cmpx_gt_u32_e32 8, v20
; %bb.639:                              ;   in Loop: Header=BB338_426 Depth=1
	v_ffbh_u32_e32 v19, v9
	v_min_u32_e32 v19, 32, v19
	v_subrev_nc_u32_e32 v20, 28, v19
	v_sub_nc_u32_e32 v19, 29, v19
	v_lshlrev_b64 v[72:73], v20, v[9:10]
	v_and_b32_e32 v9, 7, v72
; %bb.640:                              ;   in Loop: Header=BB338_426 Depth=1
	s_or_b32 exec_lo, exec_lo, s24
	v_lshlrev_b32_sdwa v20, v34, v17 dst_sel:DWORD dst_unused:UNUSED_PAD src0_sel:DWORD src1_sel:BYTE_3
	v_lshlrev_b32_e32 v9, 20, v9
	v_lshl_add_u32 v19, v19, 23, 0x3c000000
	v_and_b32_e32 v20, 0x80000000, v20
	v_or3_b32 v72, v9, v20, v19
.LBB338_641:                            ;   in Loop: Header=BB338_426 Depth=1
	s_or_b32 exec_lo, exec_lo, s22
.LBB338_642:                            ;   in Loop: Header=BB338_426 Depth=1
	s_or_b32 exec_lo, exec_lo, s21
.LBB338_643:                            ;   in Loop: Header=BB338_426 Depth=1
	s_or_b32 exec_lo, exec_lo, s18
	v_mov_b32_e32 v9, v18
	v_cmp_ne_u16_sdwa s0, v18, v10 src0_sel:BYTE_0 src1_sel:DWORD
	v_mov_b32_e32 v19, 0
	v_mov_b32_e32 v73, 0
	s_and_saveexec_b32 s18, s0
	s_cbranch_execz .LBB338_649
; %bb.644:                              ;   in Loop: Header=BB338_426 Depth=1
	v_cmp_ne_u16_sdwa s0, v18, v30 src0_sel:BYTE_0 src1_sel:DWORD
	v_bfrev_b32_e32 v73, 1
	s_and_saveexec_b32 s21, s0
	s_cbranch_execz .LBB338_648
; %bb.645:                              ;   in Loop: Header=BB338_426 Depth=1
	v_and_b32_e32 v20, 0x7f, v18
	v_mov_b32_e32 v73, 0x7f800001
	s_mov_b32 s22, exec_lo
	v_cmpx_ne_u32_e32 0x7f, v20
	s_cbranch_execz .LBB338_647
; %bb.646:                              ;   in Loop: Header=BB338_426 Depth=1
	v_and_b32_e32 v73, 7, v18
	v_lshrrev_b32_e32 v74, 3, v20
	v_cmp_gt_u32_e64 s0, 8, v20
	v_ffbh_u32_e32 v73, v73
	v_min_u32_e32 v73, 32, v73
	v_subrev_nc_u32_e32 v75, 28, v73
	v_sub_nc_u32_e32 v73, 29, v73
	v_cndmask_b32_e64 v20, v74, v73, s0
	v_cndmask_b32_e64 v73, 0, v75, s0
	v_lshl_add_u32 v20, v20, 23, 0x3c000000
	v_lshlrev_b64 v[73:74], v73, v[9:10]
	v_lshlrev_b32_e32 v74, 24, v9
	v_lshlrev_b32_e32 v73, 20, v73
	v_and_b32_e32 v74, 0x80000000, v74
	v_and_b32_e32 v73, 0x700000, v73
	v_or3_b32 v73, v73, v74, v20
.LBB338_647:                            ;   in Loop: Header=BB338_426 Depth=1
	s_or_b32 exec_lo, exec_lo, s22
.LBB338_648:                            ;   in Loop: Header=BB338_426 Depth=1
	s_or_b32 exec_lo, exec_lo, s21
.LBB338_649:                            ;   in Loop: Header=BB338_426 Depth=1
	s_or_b32 exec_lo, exec_lo, s18
	v_cmp_ne_u16_sdwa s0, v9, v10 src0_sel:BYTE_1 src1_sel:DWORD
	s_and_saveexec_b32 s18, s0
	s_cbranch_execz .LBB338_657
; %bb.650:                              ;   in Loop: Header=BB338_426 Depth=1
	v_cmp_ne_u16_sdwa s0, v9, v30 src0_sel:BYTE_1 src1_sel:DWORD
	v_bfrev_b32_e32 v19, 1
	s_and_saveexec_b32 s21, s0
	s_cbranch_execz .LBB338_656
; %bb.651:                              ;   in Loop: Header=BB338_426 Depth=1
	v_and_b32_sdwa v20, v31, v9 dst_sel:DWORD dst_unused:UNUSED_PAD src0_sel:DWORD src1_sel:BYTE_1
	v_mov_b32_e32 v19, 0x7f800001
	s_mov_b32 s22, exec_lo
	v_and_b32_e32 v75, 0x7f, v20
	v_cmpx_ne_u32_e32 0x7f, v75
	s_cbranch_execz .LBB338_655
; %bb.652:                              ;   in Loop: Header=BB338_426 Depth=1
	v_and_b32_e32 v19, 7, v20
	v_mov_b32_e32 v20, v10
	v_lshrrev_b32_e32 v74, 3, v75
	s_mov_b32 s24, exec_lo
	v_cmpx_gt_u32_e32 8, v75
; %bb.653:                              ;   in Loop: Header=BB338_426 Depth=1
	v_ffbh_u32_e32 v74, v19
	v_min_u32_e32 v74, 32, v74
	v_subrev_nc_u32_e32 v75, 28, v74
	v_sub_nc_u32_e32 v74, 29, v74
	v_lshlrev_b64 v[19:20], v75, v[19:20]
	v_and_b32_e32 v19, 7, v19
; %bb.654:                              ;   in Loop: Header=BB338_426 Depth=1
	s_or_b32 exec_lo, exec_lo, s24
	v_lshlrev_b32_e32 v9, 16, v9
	v_lshlrev_b32_e32 v19, 20, v19
	v_lshl_add_u32 v20, v74, 23, 0x3c000000
	v_and_b32_e32 v9, 0x80000000, v9
	v_or3_b32 v19, v19, v9, v20
.LBB338_655:                            ;   in Loop: Header=BB338_426 Depth=1
	s_or_b32 exec_lo, exec_lo, s22
.LBB338_656:                            ;   in Loop: Header=BB338_426 Depth=1
	s_or_b32 exec_lo, exec_lo, s21
.LBB338_657:                            ;   in Loop: Header=BB338_426 Depth=1
	s_or_b32 exec_lo, exec_lo, s18
	v_and_b32_sdwa v9, v18, v32 dst_sel:DWORD dst_unused:UNUSED_PAD src0_sel:WORD_1 src1_sel:DWORD
	v_mov_b32_e32 v20, 0
	v_mov_b32_e32 v74, 0
	s_mov_b32 s18, exec_lo
	v_cmpx_ne_u16_e32 0, v9
	s_cbranch_execz .LBB338_665
; %bb.658:                              ;   in Loop: Header=BB338_426 Depth=1
	v_bfrev_b32_e32 v74, 1
	s_mov_b32 s21, exec_lo
	v_cmpx_ne_u16_e32 0x80, v9
	s_cbranch_execz .LBB338_664
; %bb.659:                              ;   in Loop: Header=BB338_426 Depth=1
	v_bfe_u32 v75, v18, 16, 7
	v_mov_b32_e32 v74, 0x7f800001
	s_mov_b32 s22, exec_lo
	v_cmpx_ne_u32_e32 0x7f, v75
	s_cbranch_execz .LBB338_663
; %bb.660:                              ;   in Loop: Header=BB338_426 Depth=1
	v_and_b32_sdwa v9, v18, v33 dst_sel:DWORD dst_unused:UNUSED_PAD src0_sel:WORD_1 src1_sel:DWORD
	v_lshrrev_b32_e32 v74, 3, v75
	s_mov_b32 s24, exec_lo
	v_cmpx_gt_u32_e32 8, v75
; %bb.661:                              ;   in Loop: Header=BB338_426 Depth=1
	v_ffbh_u32_e32 v74, v9
	v_min_u32_e32 v74, 32, v74
	v_subrev_nc_u32_e32 v75, 28, v74
	v_sub_nc_u32_e32 v74, 29, v74
	v_lshlrev_b64 v[75:76], v75, v[9:10]
	v_and_b32_e32 v9, 7, v75
; %bb.662:                              ;   in Loop: Header=BB338_426 Depth=1
	s_or_b32 exec_lo, exec_lo, s24
	v_lshlrev_b32_sdwa v75, v34, v18 dst_sel:DWORD dst_unused:UNUSED_PAD src0_sel:DWORD src1_sel:WORD_1
	v_lshlrev_b32_e32 v9, 20, v9
	v_lshl_add_u32 v74, v74, 23, 0x3c000000
	v_and_b32_e32 v75, 0x80000000, v75
	v_or3_b32 v74, v9, v75, v74
.LBB338_663:                            ;   in Loop: Header=BB338_426 Depth=1
	s_or_b32 exec_lo, exec_lo, s22
.LBB338_664:                            ;   in Loop: Header=BB338_426 Depth=1
	s_or_b32 exec_lo, exec_lo, s21
.LBB338_665:                            ;   in Loop: Header=BB338_426 Depth=1
	s_or_b32 exec_lo, exec_lo, s18
	s_mov_b32 s18, exec_lo
	v_cmpx_lt_u64_e64 s[4:5], v[17:18]
	s_cbranch_execz .LBB338_673
; %bb.666:                              ;   in Loop: Header=BB338_426 Depth=1
	v_cmp_ne_u32_sdwa s0, v18, v30 src0_sel:BYTE_3 src1_sel:DWORD
	v_bfrev_b32_e32 v20, 1
	s_and_saveexec_b32 s21, s0
	s_cbranch_execz .LBB338_672
; %bb.667:                              ;   in Loop: Header=BB338_426 Depth=1
	v_bfe_u32 v75, v18, 24, 7
	v_mov_b32_e32 v20, 0x7f800001
	s_mov_b32 s22, exec_lo
	v_cmpx_ne_u32_e32 0x7f, v75
	s_cbranch_execz .LBB338_671
; %bb.668:                              ;   in Loop: Header=BB338_426 Depth=1
	v_and_b32_sdwa v9, v18, v33 dst_sel:DWORD dst_unused:UNUSED_PAD src0_sel:BYTE_3 src1_sel:DWORD
	v_lshrrev_b32_e32 v17, 3, v75
	s_mov_b32 s24, exec_lo
	v_cmpx_gt_u32_e32 8, v75
; %bb.669:                              ;   in Loop: Header=BB338_426 Depth=1
	v_ffbh_u32_e32 v17, v9
	v_min_u32_e32 v17, 32, v17
	v_subrev_nc_u32_e32 v20, 28, v17
	v_sub_nc_u32_e32 v17, 29, v17
	v_lshlrev_b64 v[75:76], v20, v[9:10]
	v_and_b32_e32 v9, 7, v75
; %bb.670:                              ;   in Loop: Header=BB338_426 Depth=1
	s_or_b32 exec_lo, exec_lo, s24
	v_lshlrev_b32_sdwa v18, v34, v18 dst_sel:DWORD dst_unused:UNUSED_PAD src0_sel:DWORD src1_sel:BYTE_3
	v_lshlrev_b32_e32 v9, 20, v9
	v_lshl_add_u32 v17, v17, 23, 0x3c000000
	v_and_b32_e32 v18, 0x80000000, v18
	v_or3_b32 v20, v9, v18, v17
.LBB338_671:                            ;   in Loop: Header=BB338_426 Depth=1
	s_or_b32 exec_lo, exec_lo, s22
.LBB338_672:                            ;   in Loop: Header=BB338_426 Depth=1
	s_or_b32 exec_lo, exec_lo, s21
.LBB338_673:                            ;   in Loop: Header=BB338_426 Depth=1
	s_or_b32 exec_lo, exec_lo, s18
	v_mul_f32_e32 v9, s17, v19
	v_mul_f32_e32 v17, s17, v73
	;; [unrolled: 1-line block ×5, first 2 shown]
	v_bfe_u32 v69, v9, 16, 1
	v_or_b32_e32 v72, 0x400000, v9
	v_bfe_u32 v73, v17, 16, 1
	v_cmp_u_f32_e64 s0, v9, v9
	v_or_b32_e32 v75, 0x400000, v17
	v_add3_u32 v69, v69, v9, 0x7fff
	v_bfe_u32 v76, v18, 16, 1
	v_add3_u32 v73, v73, v17, 0x7fff
	v_or_b32_e32 v77, 0x400000, v18
	v_bfe_u32 v78, v19, 16, 1
	v_cndmask_b32_e64 v9, v69, v72, s0
	v_cmp_u_f32_e64 s0, v17, v17
	v_add3_u32 v76, v76, v18, 0x7fff
	v_lshrrev_b32_e32 v69, 16, v9
	v_cndmask_b32_e64 v17, v73, v75, s0
	v_cmp_u_f32_e64 s0, v18, v18
	v_mul_f32_e32 v9, s17, v70
	v_add3_u32 v73, v78, v19, 0x7fff
	v_or_b32_e32 v75, 0x400000, v19
	v_lshrrev_b32_e32 v70, 16, v17
	v_cndmask_b32_e64 v18, v76, v77, s0
	v_bfe_u32 v17, v9, 16, 1
	v_cmp_u_f32_e64 s0, v19, v19
	v_mul_f32_e32 v19, s17, v71
	v_mul_f32_e32 v71, s17, v74
	v_lshrrev_b32_e32 v72, 16, v18
	v_add3_u32 v17, v17, v9, 0x7fff
	v_cndmask_b32_e64 v18, v73, v75, s0
	v_or_b32_e32 v73, 0x400000, v9
	v_bfe_u32 v74, v19, 16, 1
	v_cmp_u_f32_e64 s0, v9, v9
	v_bfe_u32 v75, v71, 16, 1
	v_or_b32_e32 v76, 0x400000, v71
	v_or_b32_e32 v77, 0x400000, v20
	v_cndmask_b32_e64 v9, v17, v73, s0
	v_add3_u32 v73, v74, v19, 0x7fff
	v_or_b32_e32 v74, 0x400000, v19
	v_cmp_u_f32_e64 s0, v19, v19
	v_bfe_u32 v17, v20, 16, 1
	v_add3_u32 v75, v75, v71, 0x7fff
	v_cndmask_b32_e64 v19, v73, v74, s0
	v_cmp_u_f32_e64 s0, v71, v71
	v_add3_u32 v17, v17, v20, 0x7fff
	v_lshrrev_b32_e32 v74, 16, v18
	v_cndmask_b32_e64 v71, v75, v76, s0
	v_cmp_u_f32_e64 s0, v20, v20
	v_lshrrev_b32_e32 v76, 16, v9
	v_lshrrev_b32_e32 v75, 16, v19
	;; [unrolled: 1-line block ×3, first 2 shown]
	v_cndmask_b32_e64 v17, v17, v77, s0
	v_lshrrev_b32_e32 v73, 16, v17
	s_and_saveexec_b32 s18, vcc_lo
	s_cbranch_execz .LBB338_675
; %bb.674:                              ;   in Loop: Header=BB338_426 Depth=1
	v_cmp_gt_i32_e64 s0, s31, v36
	v_cndmask_b32_e64 v75, 0, v75, s0
	v_cmp_gt_i32_e64 s0, s31, v52
	v_cndmask_b32_e64 v76, 0, v76, s0
	;; [unrolled: 2-line block ×8, first 2 shown]
.LBB338_675:                            ;   in Loop: Header=BB338_426 Depth=1
	s_or_b32 exec_lo, exec_lo, s18
	global_load_dwordx2 v[17:18], v[15:16], off offset:1024
	v_mov_b32_e32 v78, 0
	v_mov_b32_e32 v77, 0
	s_waitcnt vmcnt(0)
	v_cmp_ne_u16_sdwa s0, v17, v10 src0_sel:BYTE_0 src1_sel:DWORD
	s_and_saveexec_b32 s18, s0
	s_cbranch_execz .LBB338_681
; %bb.676:                              ;   in Loop: Header=BB338_426 Depth=1
	v_cmp_ne_u16_sdwa s0, v17, v30 src0_sel:BYTE_0 src1_sel:DWORD
	v_bfrev_b32_e32 v77, 1
	s_and_saveexec_b32 s21, s0
	s_cbranch_execz .LBB338_680
; %bb.677:                              ;   in Loop: Header=BB338_426 Depth=1
	v_and_b32_e32 v9, 0x7f, v17
	v_mov_b32_e32 v77, 0x7f800001
	s_mov_b32 s22, exec_lo
	v_cmpx_ne_u32_e32 0x7f, v9
	s_cbranch_execz .LBB338_679
; %bb.678:                              ;   in Loop: Header=BB338_426 Depth=1
	v_and_b32_e32 v19, 7, v17
	v_lshrrev_b32_e32 v20, 3, v9
	v_cmp_gt_u32_e64 s0, 8, v9
	v_ffbh_u32_e32 v19, v19
	v_min_u32_e32 v19, 32, v19
	v_subrev_nc_u32_e32 v77, 28, v19
	v_sub_nc_u32_e32 v19, 29, v19
	v_cndmask_b32_e64 v9, v20, v19, s0
	v_cndmask_b32_e64 v19, 0, v77, s0
	v_lshl_add_u32 v9, v9, 23, 0x3c000000
	v_lshlrev_b64 v[19:20], v19, v[17:18]
	v_lshlrev_b32_e32 v20, 24, v17
	v_lshlrev_b32_e32 v19, 20, v19
	v_and_b32_e32 v20, 0x80000000, v20
	v_and_b32_e32 v19, 0x700000, v19
	v_or3_b32 v77, v19, v20, v9
.LBB338_679:                            ;   in Loop: Header=BB338_426 Depth=1
	s_or_b32 exec_lo, exec_lo, s22
.LBB338_680:                            ;   in Loop: Header=BB338_426 Depth=1
	s_or_b32 exec_lo, exec_lo, s21
.LBB338_681:                            ;   in Loop: Header=BB338_426 Depth=1
	s_or_b32 exec_lo, exec_lo, s18
	v_cmp_ne_u16_sdwa s0, v17, v10 src0_sel:BYTE_1 src1_sel:DWORD
	s_and_saveexec_b32 s18, s0
	s_cbranch_execz .LBB338_689
; %bb.682:                              ;   in Loop: Header=BB338_426 Depth=1
	v_cmp_ne_u16_sdwa s0, v17, v30 src0_sel:BYTE_1 src1_sel:DWORD
	v_bfrev_b32_e32 v78, 1
	s_and_saveexec_b32 s21, s0
	s_cbranch_execz .LBB338_688
; %bb.683:                              ;   in Loop: Header=BB338_426 Depth=1
	v_and_b32_sdwa v9, v31, v17 dst_sel:DWORD dst_unused:UNUSED_PAD src0_sel:DWORD src1_sel:BYTE_1
	v_mov_b32_e32 v78, 0x7f800001
	s_mov_b32 s22, exec_lo
	v_and_b32_e32 v20, 0x7f, v9
	v_cmpx_ne_u32_e32 0x7f, v20
	s_cbranch_execz .LBB338_687
; %bb.684:                              ;   in Loop: Header=BB338_426 Depth=1
	v_and_b32_e32 v9, 7, v9
	v_lshrrev_b32_e32 v19, 3, v20
	s_mov_b32 s24, exec_lo
	v_cmpx_gt_u32_e32 8, v20
; %bb.685:                              ;   in Loop: Header=BB338_426 Depth=1
	v_ffbh_u32_e32 v19, v9
	v_min_u32_e32 v19, 32, v19
	v_subrev_nc_u32_e32 v20, 28, v19
	v_sub_nc_u32_e32 v19, 29, v19
	v_lshlrev_b64 v[78:79], v20, v[9:10]
	v_and_b32_e32 v9, 7, v78
; %bb.686:                              ;   in Loop: Header=BB338_426 Depth=1
	s_or_b32 exec_lo, exec_lo, s24
	v_lshlrev_b32_e32 v20, 16, v17
	v_lshlrev_b32_e32 v9, 20, v9
	v_lshl_add_u32 v19, v19, 23, 0x3c000000
	v_and_b32_e32 v20, 0x80000000, v20
	v_or3_b32 v78, v9, v20, v19
.LBB338_687:                            ;   in Loop: Header=BB338_426 Depth=1
	s_or_b32 exec_lo, exec_lo, s22
.LBB338_688:                            ;   in Loop: Header=BB338_426 Depth=1
	s_or_b32 exec_lo, exec_lo, s21
.LBB338_689:                            ;   in Loop: Header=BB338_426 Depth=1
	s_or_b32 exec_lo, exec_lo, s18
	v_and_b32_sdwa v9, v17, v32 dst_sel:DWORD dst_unused:UNUSED_PAD src0_sel:WORD_1 src1_sel:DWORD
	v_mov_b32_e32 v80, 0
	v_mov_b32_e32 v79, 0
	s_mov_b32 s18, exec_lo
	v_cmpx_ne_u16_e32 0, v9
	s_cbranch_execz .LBB338_697
; %bb.690:                              ;   in Loop: Header=BB338_426 Depth=1
	v_bfrev_b32_e32 v79, 1
	s_mov_b32 s21, exec_lo
	v_cmpx_ne_u16_e32 0x80, v9
	s_cbranch_execz .LBB338_696
; %bb.691:                              ;   in Loop: Header=BB338_426 Depth=1
	v_bfe_u32 v20, v17, 16, 7
	v_mov_b32_e32 v79, 0x7f800001
	s_mov_b32 s22, exec_lo
	v_cmpx_ne_u32_e32 0x7f, v20
	s_cbranch_execz .LBB338_695
; %bb.692:                              ;   in Loop: Header=BB338_426 Depth=1
	v_and_b32_sdwa v9, v17, v33 dst_sel:DWORD dst_unused:UNUSED_PAD src0_sel:WORD_1 src1_sel:DWORD
	v_lshrrev_b32_e32 v19, 3, v20
	s_mov_b32 s24, exec_lo
	v_cmpx_gt_u32_e32 8, v20
; %bb.693:                              ;   in Loop: Header=BB338_426 Depth=1
	v_ffbh_u32_e32 v19, v9
	v_min_u32_e32 v19, 32, v19
	v_subrev_nc_u32_e32 v20, 28, v19
	v_sub_nc_u32_e32 v19, 29, v19
	v_lshlrev_b64 v[81:82], v20, v[9:10]
	v_and_b32_e32 v9, 7, v81
; %bb.694:                              ;   in Loop: Header=BB338_426 Depth=1
	s_or_b32 exec_lo, exec_lo, s24
	v_lshlrev_b32_sdwa v20, v34, v17 dst_sel:DWORD dst_unused:UNUSED_PAD src0_sel:DWORD src1_sel:WORD_1
	v_lshlrev_b32_e32 v9, 20, v9
	v_lshl_add_u32 v19, v19, 23, 0x3c000000
	v_and_b32_e32 v20, 0x80000000, v20
	v_or3_b32 v79, v9, v20, v19
.LBB338_695:                            ;   in Loop: Header=BB338_426 Depth=1
	s_or_b32 exec_lo, exec_lo, s22
.LBB338_696:                            ;   in Loop: Header=BB338_426 Depth=1
	s_or_b32 exec_lo, exec_lo, s21
.LBB338_697:                            ;   in Loop: Header=BB338_426 Depth=1
	s_or_b32 exec_lo, exec_lo, s18
	s_mov_b32 s18, exec_lo
	v_cmpx_lt_u32_e32 0xffffff, v17
	s_cbranch_execz .LBB338_705
; %bb.698:                              ;   in Loop: Header=BB338_426 Depth=1
	v_cmp_ne_u32_sdwa s0, v17, v30 src0_sel:BYTE_3 src1_sel:DWORD
	v_bfrev_b32_e32 v80, 1
	s_and_saveexec_b32 s21, s0
	s_cbranch_execz .LBB338_704
; %bb.699:                              ;   in Loop: Header=BB338_426 Depth=1
	v_bfe_u32 v20, v17, 24, 7
	v_mov_b32_e32 v80, 0x7f800001
	s_mov_b32 s22, exec_lo
	v_cmpx_ne_u32_e32 0x7f, v20
	s_cbranch_execz .LBB338_703
; %bb.700:                              ;   in Loop: Header=BB338_426 Depth=1
	v_and_b32_sdwa v9, v17, v33 dst_sel:DWORD dst_unused:UNUSED_PAD src0_sel:BYTE_3 src1_sel:DWORD
	v_lshrrev_b32_e32 v19, 3, v20
	s_mov_b32 s24, exec_lo
	v_cmpx_gt_u32_e32 8, v20
; %bb.701:                              ;   in Loop: Header=BB338_426 Depth=1
	v_ffbh_u32_e32 v19, v9
	v_min_u32_e32 v19, 32, v19
	v_subrev_nc_u32_e32 v20, 28, v19
	v_sub_nc_u32_e32 v19, 29, v19
	v_lshlrev_b64 v[80:81], v20, v[9:10]
	v_and_b32_e32 v9, 7, v80
; %bb.702:                              ;   in Loop: Header=BB338_426 Depth=1
	s_or_b32 exec_lo, exec_lo, s24
	v_lshlrev_b32_sdwa v20, v34, v17 dst_sel:DWORD dst_unused:UNUSED_PAD src0_sel:DWORD src1_sel:BYTE_3
	v_lshlrev_b32_e32 v9, 20, v9
	v_lshl_add_u32 v19, v19, 23, 0x3c000000
	v_and_b32_e32 v20, 0x80000000, v20
	v_or3_b32 v80, v9, v20, v19
.LBB338_703:                            ;   in Loop: Header=BB338_426 Depth=1
	s_or_b32 exec_lo, exec_lo, s22
.LBB338_704:                            ;   in Loop: Header=BB338_426 Depth=1
	s_or_b32 exec_lo, exec_lo, s21
.LBB338_705:                            ;   in Loop: Header=BB338_426 Depth=1
	s_or_b32 exec_lo, exec_lo, s18
	v_mov_b32_e32 v9, v18
	v_cmp_ne_u16_sdwa s0, v18, v10 src0_sel:BYTE_0 src1_sel:DWORD
	v_mov_b32_e32 v19, 0
	v_mov_b32_e32 v81, 0
	s_and_saveexec_b32 s18, s0
	s_cbranch_execz .LBB338_711
; %bb.706:                              ;   in Loop: Header=BB338_426 Depth=1
	v_cmp_ne_u16_sdwa s0, v18, v30 src0_sel:BYTE_0 src1_sel:DWORD
	v_bfrev_b32_e32 v81, 1
	s_and_saveexec_b32 s21, s0
	s_cbranch_execz .LBB338_710
; %bb.707:                              ;   in Loop: Header=BB338_426 Depth=1
	v_and_b32_e32 v20, 0x7f, v18
	v_mov_b32_e32 v81, 0x7f800001
	s_mov_b32 s22, exec_lo
	v_cmpx_ne_u32_e32 0x7f, v20
	s_cbranch_execz .LBB338_709
; %bb.708:                              ;   in Loop: Header=BB338_426 Depth=1
	v_and_b32_e32 v81, 7, v18
	v_lshrrev_b32_e32 v82, 3, v20
	v_cmp_gt_u32_e64 s0, 8, v20
	v_ffbh_u32_e32 v81, v81
	v_min_u32_e32 v81, 32, v81
	v_subrev_nc_u32_e32 v83, 28, v81
	v_sub_nc_u32_e32 v81, 29, v81
	v_cndmask_b32_e64 v20, v82, v81, s0
	v_cndmask_b32_e64 v81, 0, v83, s0
	v_lshl_add_u32 v20, v20, 23, 0x3c000000
	v_lshlrev_b64 v[81:82], v81, v[9:10]
	v_lshlrev_b32_e32 v82, 24, v9
	v_lshlrev_b32_e32 v81, 20, v81
	v_and_b32_e32 v82, 0x80000000, v82
	v_and_b32_e32 v81, 0x700000, v81
	v_or3_b32 v81, v81, v82, v20
.LBB338_709:                            ;   in Loop: Header=BB338_426 Depth=1
	s_or_b32 exec_lo, exec_lo, s22
.LBB338_710:                            ;   in Loop: Header=BB338_426 Depth=1
	s_or_b32 exec_lo, exec_lo, s21
.LBB338_711:                            ;   in Loop: Header=BB338_426 Depth=1
	s_or_b32 exec_lo, exec_lo, s18
	v_cmp_ne_u16_sdwa s0, v9, v10 src0_sel:BYTE_1 src1_sel:DWORD
	s_and_saveexec_b32 s18, s0
	s_cbranch_execz .LBB338_719
; %bb.712:                              ;   in Loop: Header=BB338_426 Depth=1
	v_cmp_ne_u16_sdwa s0, v9, v30 src0_sel:BYTE_1 src1_sel:DWORD
	v_bfrev_b32_e32 v19, 1
	s_and_saveexec_b32 s21, s0
	s_cbranch_execz .LBB338_718
; %bb.713:                              ;   in Loop: Header=BB338_426 Depth=1
	v_and_b32_sdwa v20, v31, v9 dst_sel:DWORD dst_unused:UNUSED_PAD src0_sel:DWORD src1_sel:BYTE_1
	v_mov_b32_e32 v19, 0x7f800001
	s_mov_b32 s22, exec_lo
	v_and_b32_e32 v83, 0x7f, v20
	v_cmpx_ne_u32_e32 0x7f, v83
	s_cbranch_execz .LBB338_717
; %bb.714:                              ;   in Loop: Header=BB338_426 Depth=1
	v_and_b32_e32 v19, 7, v20
	v_mov_b32_e32 v20, v10
	v_lshrrev_b32_e32 v82, 3, v83
	s_mov_b32 s24, exec_lo
	v_cmpx_gt_u32_e32 8, v83
; %bb.715:                              ;   in Loop: Header=BB338_426 Depth=1
	v_ffbh_u32_e32 v82, v19
	v_min_u32_e32 v82, 32, v82
	v_subrev_nc_u32_e32 v83, 28, v82
	v_sub_nc_u32_e32 v82, 29, v82
	v_lshlrev_b64 v[19:20], v83, v[19:20]
	v_and_b32_e32 v19, 7, v19
; %bb.716:                              ;   in Loop: Header=BB338_426 Depth=1
	s_or_b32 exec_lo, exec_lo, s24
	v_lshlrev_b32_e32 v9, 16, v9
	v_lshlrev_b32_e32 v19, 20, v19
	v_lshl_add_u32 v20, v82, 23, 0x3c000000
	v_and_b32_e32 v9, 0x80000000, v9
	v_or3_b32 v19, v19, v9, v20
.LBB338_717:                            ;   in Loop: Header=BB338_426 Depth=1
	s_or_b32 exec_lo, exec_lo, s22
.LBB338_718:                            ;   in Loop: Header=BB338_426 Depth=1
	s_or_b32 exec_lo, exec_lo, s21
.LBB338_719:                            ;   in Loop: Header=BB338_426 Depth=1
	s_or_b32 exec_lo, exec_lo, s18
	v_and_b32_sdwa v9, v18, v32 dst_sel:DWORD dst_unused:UNUSED_PAD src0_sel:WORD_1 src1_sel:DWORD
	v_mov_b32_e32 v82, 0
	v_mov_b32_e32 v83, 0
	s_mov_b32 s18, exec_lo
	v_cmpx_ne_u16_e32 0, v9
	s_cbranch_execz .LBB338_727
; %bb.720:                              ;   in Loop: Header=BB338_426 Depth=1
	v_bfrev_b32_e32 v83, 1
	s_mov_b32 s21, exec_lo
	v_cmpx_ne_u16_e32 0x80, v9
	s_cbranch_execz .LBB338_726
; %bb.721:                              ;   in Loop: Header=BB338_426 Depth=1
	v_bfe_u32 v84, v18, 16, 7
	v_mov_b32_e32 v83, 0x7f800001
	s_mov_b32 s22, exec_lo
	v_cmpx_ne_u32_e32 0x7f, v84
	s_cbranch_execz .LBB338_725
; %bb.722:                              ;   in Loop: Header=BB338_426 Depth=1
	v_and_b32_sdwa v9, v18, v33 dst_sel:DWORD dst_unused:UNUSED_PAD src0_sel:WORD_1 src1_sel:DWORD
	v_lshrrev_b32_e32 v20, 3, v84
	s_mov_b32 s24, exec_lo
	v_cmpx_gt_u32_e32 8, v84
; %bb.723:                              ;   in Loop: Header=BB338_426 Depth=1
	v_ffbh_u32_e32 v20, v9
	v_min_u32_e32 v20, 32, v20
	v_subrev_nc_u32_e32 v83, 28, v20
	v_sub_nc_u32_e32 v20, 29, v20
	v_lshlrev_b64 v[83:84], v83, v[9:10]
	v_and_b32_e32 v9, 7, v83
; %bb.724:                              ;   in Loop: Header=BB338_426 Depth=1
	s_or_b32 exec_lo, exec_lo, s24
	v_lshlrev_b32_sdwa v83, v34, v18 dst_sel:DWORD dst_unused:UNUSED_PAD src0_sel:DWORD src1_sel:WORD_1
	v_lshlrev_b32_e32 v9, 20, v9
	v_lshl_add_u32 v20, v20, 23, 0x3c000000
	v_and_b32_e32 v83, 0x80000000, v83
	v_or3_b32 v83, v9, v83, v20
.LBB338_725:                            ;   in Loop: Header=BB338_426 Depth=1
	s_or_b32 exec_lo, exec_lo, s22
.LBB338_726:                            ;   in Loop: Header=BB338_426 Depth=1
	s_or_b32 exec_lo, exec_lo, s21
.LBB338_727:                            ;   in Loop: Header=BB338_426 Depth=1
	s_or_b32 exec_lo, exec_lo, s18
	s_mov_b32 s18, exec_lo
	v_cmpx_lt_u64_e64 s[4:5], v[17:18]
	s_cbranch_execz .LBB338_735
; %bb.728:                              ;   in Loop: Header=BB338_426 Depth=1
	v_cmp_ne_u32_sdwa s0, v18, v30 src0_sel:BYTE_3 src1_sel:DWORD
	v_bfrev_b32_e32 v82, 1
	s_and_saveexec_b32 s21, s0
	s_cbranch_execz .LBB338_734
; %bb.729:                              ;   in Loop: Header=BB338_426 Depth=1
	v_bfe_u32 v20, v18, 24, 7
	v_mov_b32_e32 v82, 0x7f800001
	s_mov_b32 s22, exec_lo
	v_cmpx_ne_u32_e32 0x7f, v20
	s_cbranch_execz .LBB338_733
; %bb.730:                              ;   in Loop: Header=BB338_426 Depth=1
	v_and_b32_sdwa v9, v18, v33 dst_sel:DWORD dst_unused:UNUSED_PAD src0_sel:BYTE_3 src1_sel:DWORD
	v_lshrrev_b32_e32 v17, 3, v20
	s_mov_b32 s24, exec_lo
	v_cmpx_gt_u32_e32 8, v20
; %bb.731:                              ;   in Loop: Header=BB338_426 Depth=1
	v_ffbh_u32_e32 v17, v9
	v_min_u32_e32 v17, 32, v17
	v_subrev_nc_u32_e32 v20, 28, v17
	v_sub_nc_u32_e32 v17, 29, v17
	v_lshlrev_b64 v[84:85], v20, v[9:10]
	v_and_b32_e32 v9, 7, v84
; %bb.732:                              ;   in Loop: Header=BB338_426 Depth=1
	s_or_b32 exec_lo, exec_lo, s24
	v_lshlrev_b32_sdwa v18, v34, v18 dst_sel:DWORD dst_unused:UNUSED_PAD src0_sel:DWORD src1_sel:BYTE_3
	v_lshlrev_b32_e32 v9, 20, v9
	v_lshl_add_u32 v17, v17, 23, 0x3c000000
	v_and_b32_e32 v18, 0x80000000, v18
	v_or3_b32 v82, v9, v18, v17
.LBB338_733:                            ;   in Loop: Header=BB338_426 Depth=1
	s_or_b32 exec_lo, exec_lo, s22
.LBB338_734:                            ;   in Loop: Header=BB338_426 Depth=1
	s_or_b32 exec_lo, exec_lo, s21
.LBB338_735:                            ;   in Loop: Header=BB338_426 Depth=1
	s_or_b32 exec_lo, exec_lo, s18
	v_mul_f32_e32 v9, s17, v19
	v_mul_f32_e32 v17, s17, v81
	;; [unrolled: 1-line block ×5, first 2 shown]
	v_bfe_u32 v19, v9, 16, 1
	v_or_b32_e32 v20, 0x400000, v9
	v_bfe_u32 v79, v17, 16, 1
	v_cmp_u_f32_e64 s0, v9, v9
	v_or_b32_e32 v81, 0x400000, v17
	v_add3_u32 v19, v19, v9, 0x7fff
	v_bfe_u32 v84, v18, 16, 1
	v_add3_u32 v79, v79, v17, 0x7fff
	v_or_b32_e32 v85, 0x400000, v18
	v_bfe_u32 v86, v80, 16, 1
	v_cndmask_b32_e64 v9, v19, v20, s0
	v_cmp_u_f32_e64 s0, v17, v17
	v_add3_u32 v84, v84, v18, 0x7fff
	v_lshrrev_b32_e32 v20, 16, v9
	v_cndmask_b32_e64 v17, v79, v81, s0
	v_cmp_u_f32_e64 s0, v18, v18
	v_mul_f32_e32 v9, s17, v78
	v_add3_u32 v78, v86, v80, 0x7fff
	v_or_b32_e32 v81, 0x400000, v80
	v_lshrrev_b32_e32 v19, 16, v17
	v_cndmask_b32_e64 v18, v84, v85, s0
	v_bfe_u32 v17, v9, 16, 1
	v_cmp_u_f32_e64 s0, v80, v80
	v_or_b32_e32 v80, 0x400000, v9
	v_lshrrev_b32_e32 v79, 16, v18
	v_add3_u32 v17, v17, v9, 0x7fff
	v_cndmask_b32_e64 v18, v78, v81, s0
	v_mul_f32_e32 v78, s17, v83
	v_mul_f32_e32 v81, s17, v82
	v_bfe_u32 v82, v77, 16, 1
	v_cmp_u_f32_e64 s0, v9, v9
	v_bfe_u32 v83, v78, 16, 1
	v_or_b32_e32 v84, 0x400000, v78
	v_or_b32_e32 v85, 0x400000, v81
	v_cndmask_b32_e64 v9, v17, v80, s0
	v_add3_u32 v80, v82, v77, 0x7fff
	v_or_b32_e32 v82, 0x400000, v77
	v_cmp_u_f32_e64 s0, v77, v77
	v_bfe_u32 v17, v81, 16, 1
	v_add3_u32 v83, v83, v78, 0x7fff
	v_cndmask_b32_e64 v77, v80, v82, s0
	v_cmp_u_f32_e64 s0, v78, v78
	v_add3_u32 v17, v17, v81, 0x7fff
	v_lshrrev_b32_e32 v80, 16, v18
	v_lshrrev_b32_e32 v82, 16, v9
	v_cndmask_b32_e64 v78, v83, v84, s0
	v_cmp_u_f32_e64 s0, v81, v81
	v_lshrrev_b32_e32 v81, 16, v77
	v_lshrrev_b32_e32 v77, 16, v78
	v_cndmask_b32_e64 v17, v17, v85, s0
	v_lshrrev_b32_e32 v78, 16, v17
	s_and_saveexec_b32 s18, vcc_lo
	s_cbranch_execz .LBB338_737
; %bb.736:                              ;   in Loop: Header=BB338_426 Depth=1
	v_cmp_gt_i32_e64 s0, s31, v36
	v_cndmask_b32_e64 v81, 0, v81, s0
	v_cmp_gt_i32_e64 s0, s31, v52
	v_cndmask_b32_e64 v82, 0, v82, s0
	;; [unrolled: 2-line block ×8, first 2 shown]
.LBB338_737:                            ;   in Loop: Header=BB338_426 Depth=1
	s_or_b32 exec_lo, exec_lo, s18
	global_load_dwordx2 v[15:16], v[15:16], off offset:1280
	v_mov_b32_e32 v84, 0
	v_mov_b32_e32 v83, 0
	s_waitcnt vmcnt(0)
	v_cmp_ne_u16_sdwa s0, v15, v10 src0_sel:BYTE_0 src1_sel:DWORD
	s_and_saveexec_b32 s18, s0
	s_cbranch_execz .LBB338_743
; %bb.738:                              ;   in Loop: Header=BB338_426 Depth=1
	v_cmp_ne_u16_sdwa s0, v15, v30 src0_sel:BYTE_0 src1_sel:DWORD
	v_bfrev_b32_e32 v83, 1
	s_and_saveexec_b32 s21, s0
	s_cbranch_execz .LBB338_742
; %bb.739:                              ;   in Loop: Header=BB338_426 Depth=1
	v_and_b32_e32 v9, 0x7f, v15
	v_mov_b32_e32 v83, 0x7f800001
	s_mov_b32 s22, exec_lo
	v_cmpx_ne_u32_e32 0x7f, v9
	s_cbranch_execz .LBB338_741
; %bb.740:                              ;   in Loop: Header=BB338_426 Depth=1
	v_and_b32_e32 v17, 7, v15
	v_lshrrev_b32_e32 v18, 3, v9
	v_cmp_gt_u32_e64 s0, 8, v9
	v_ffbh_u32_e32 v17, v17
	v_min_u32_e32 v17, 32, v17
	v_subrev_nc_u32_e32 v83, 28, v17
	v_sub_nc_u32_e32 v17, 29, v17
	v_cndmask_b32_e64 v9, v18, v17, s0
	v_cndmask_b32_e64 v17, 0, v83, s0
	v_lshl_add_u32 v9, v9, 23, 0x3c000000
	v_lshlrev_b64 v[17:18], v17, v[15:16]
	v_lshlrev_b32_e32 v18, 24, v15
	v_lshlrev_b32_e32 v17, 20, v17
	v_and_b32_e32 v18, 0x80000000, v18
	v_and_b32_e32 v17, 0x700000, v17
	v_or3_b32 v83, v17, v18, v9
.LBB338_741:                            ;   in Loop: Header=BB338_426 Depth=1
	s_or_b32 exec_lo, exec_lo, s22
.LBB338_742:                            ;   in Loop: Header=BB338_426 Depth=1
	s_or_b32 exec_lo, exec_lo, s21
.LBB338_743:                            ;   in Loop: Header=BB338_426 Depth=1
	s_or_b32 exec_lo, exec_lo, s18
	v_cmp_ne_u16_sdwa s0, v15, v10 src0_sel:BYTE_1 src1_sel:DWORD
	s_and_saveexec_b32 s18, s0
	s_cbranch_execz .LBB338_751
; %bb.744:                              ;   in Loop: Header=BB338_426 Depth=1
	v_cmp_ne_u16_sdwa s0, v15, v30 src0_sel:BYTE_1 src1_sel:DWORD
	v_bfrev_b32_e32 v84, 1
	s_and_saveexec_b32 s21, s0
	s_cbranch_execz .LBB338_750
; %bb.745:                              ;   in Loop: Header=BB338_426 Depth=1
	v_and_b32_sdwa v9, v31, v15 dst_sel:DWORD dst_unused:UNUSED_PAD src0_sel:DWORD src1_sel:BYTE_1
	v_mov_b32_e32 v84, 0x7f800001
	s_mov_b32 s22, exec_lo
	v_and_b32_e32 v18, 0x7f, v9
	v_cmpx_ne_u32_e32 0x7f, v18
	s_cbranch_execz .LBB338_749
; %bb.746:                              ;   in Loop: Header=BB338_426 Depth=1
	v_and_b32_e32 v9, 7, v9
	v_lshrrev_b32_e32 v17, 3, v18
	s_mov_b32 s24, exec_lo
	v_cmpx_gt_u32_e32 8, v18
; %bb.747:                              ;   in Loop: Header=BB338_426 Depth=1
	v_ffbh_u32_e32 v17, v9
	v_min_u32_e32 v17, 32, v17
	v_subrev_nc_u32_e32 v18, 28, v17
	v_sub_nc_u32_e32 v17, 29, v17
	v_lshlrev_b64 v[84:85], v18, v[9:10]
	v_and_b32_e32 v9, 7, v84
; %bb.748:                              ;   in Loop: Header=BB338_426 Depth=1
	s_or_b32 exec_lo, exec_lo, s24
	v_lshlrev_b32_e32 v18, 16, v15
	v_lshlrev_b32_e32 v9, 20, v9
	v_lshl_add_u32 v17, v17, 23, 0x3c000000
	v_and_b32_e32 v18, 0x80000000, v18
	v_or3_b32 v84, v9, v18, v17
.LBB338_749:                            ;   in Loop: Header=BB338_426 Depth=1
	s_or_b32 exec_lo, exec_lo, s22
.LBB338_750:                            ;   in Loop: Header=BB338_426 Depth=1
	s_or_b32 exec_lo, exec_lo, s21
.LBB338_751:                            ;   in Loop: Header=BB338_426 Depth=1
	s_or_b32 exec_lo, exec_lo, s18
	v_and_b32_sdwa v9, v15, v32 dst_sel:DWORD dst_unused:UNUSED_PAD src0_sel:WORD_1 src1_sel:DWORD
	v_mov_b32_e32 v86, 0
	v_mov_b32_e32 v85, 0
	s_mov_b32 s18, exec_lo
	v_cmpx_ne_u16_e32 0, v9
	s_cbranch_execz .LBB338_759
; %bb.752:                              ;   in Loop: Header=BB338_426 Depth=1
	v_bfrev_b32_e32 v85, 1
	s_mov_b32 s21, exec_lo
	v_cmpx_ne_u16_e32 0x80, v9
	s_cbranch_execz .LBB338_758
; %bb.753:                              ;   in Loop: Header=BB338_426 Depth=1
	v_bfe_u32 v18, v15, 16, 7
	v_mov_b32_e32 v85, 0x7f800001
	s_mov_b32 s22, exec_lo
	v_cmpx_ne_u32_e32 0x7f, v18
	s_cbranch_execz .LBB338_757
; %bb.754:                              ;   in Loop: Header=BB338_426 Depth=1
	v_and_b32_sdwa v9, v15, v33 dst_sel:DWORD dst_unused:UNUSED_PAD src0_sel:WORD_1 src1_sel:DWORD
	v_lshrrev_b32_e32 v17, 3, v18
	s_mov_b32 s24, exec_lo
	v_cmpx_gt_u32_e32 8, v18
; %bb.755:                              ;   in Loop: Header=BB338_426 Depth=1
	v_ffbh_u32_e32 v17, v9
	v_min_u32_e32 v17, 32, v17
	v_subrev_nc_u32_e32 v18, 28, v17
	v_sub_nc_u32_e32 v17, 29, v17
	v_lshlrev_b64 v[87:88], v18, v[9:10]
	v_and_b32_e32 v9, 7, v87
; %bb.756:                              ;   in Loop: Header=BB338_426 Depth=1
	s_or_b32 exec_lo, exec_lo, s24
	v_lshlrev_b32_sdwa v18, v34, v15 dst_sel:DWORD dst_unused:UNUSED_PAD src0_sel:DWORD src1_sel:WORD_1
	v_lshlrev_b32_e32 v9, 20, v9
	v_lshl_add_u32 v17, v17, 23, 0x3c000000
	v_and_b32_e32 v18, 0x80000000, v18
	v_or3_b32 v85, v9, v18, v17
.LBB338_757:                            ;   in Loop: Header=BB338_426 Depth=1
	s_or_b32 exec_lo, exec_lo, s22
.LBB338_758:                            ;   in Loop: Header=BB338_426 Depth=1
	s_or_b32 exec_lo, exec_lo, s21
.LBB338_759:                            ;   in Loop: Header=BB338_426 Depth=1
	s_or_b32 exec_lo, exec_lo, s18
	s_mov_b32 s18, exec_lo
	v_cmpx_lt_u32_e32 0xffffff, v15
	s_cbranch_execz .LBB338_767
; %bb.760:                              ;   in Loop: Header=BB338_426 Depth=1
	v_cmp_ne_u32_sdwa s0, v15, v30 src0_sel:BYTE_3 src1_sel:DWORD
	v_bfrev_b32_e32 v86, 1
	s_and_saveexec_b32 s21, s0
	s_cbranch_execz .LBB338_766
; %bb.761:                              ;   in Loop: Header=BB338_426 Depth=1
	v_bfe_u32 v18, v15, 24, 7
	v_mov_b32_e32 v86, 0x7f800001
	s_mov_b32 s22, exec_lo
	v_cmpx_ne_u32_e32 0x7f, v18
	s_cbranch_execz .LBB338_765
; %bb.762:                              ;   in Loop: Header=BB338_426 Depth=1
	v_and_b32_sdwa v9, v15, v33 dst_sel:DWORD dst_unused:UNUSED_PAD src0_sel:BYTE_3 src1_sel:DWORD
	v_lshrrev_b32_e32 v17, 3, v18
	s_mov_b32 s24, exec_lo
	v_cmpx_gt_u32_e32 8, v18
; %bb.763:                              ;   in Loop: Header=BB338_426 Depth=1
	v_ffbh_u32_e32 v17, v9
	v_min_u32_e32 v17, 32, v17
	v_subrev_nc_u32_e32 v18, 28, v17
	v_sub_nc_u32_e32 v17, 29, v17
	v_lshlrev_b64 v[86:87], v18, v[9:10]
	v_and_b32_e32 v9, 7, v86
; %bb.764:                              ;   in Loop: Header=BB338_426 Depth=1
	s_or_b32 exec_lo, exec_lo, s24
	v_lshlrev_b32_sdwa v18, v34, v15 dst_sel:DWORD dst_unused:UNUSED_PAD src0_sel:DWORD src1_sel:BYTE_3
	v_lshlrev_b32_e32 v9, 20, v9
	v_lshl_add_u32 v17, v17, 23, 0x3c000000
	v_and_b32_e32 v18, 0x80000000, v18
	v_or3_b32 v86, v9, v18, v17
.LBB338_765:                            ;   in Loop: Header=BB338_426 Depth=1
	s_or_b32 exec_lo, exec_lo, s22
.LBB338_766:                            ;   in Loop: Header=BB338_426 Depth=1
	s_or_b32 exec_lo, exec_lo, s21
.LBB338_767:                            ;   in Loop: Header=BB338_426 Depth=1
	s_or_b32 exec_lo, exec_lo, s18
	v_mov_b32_e32 v9, v16
	v_cmp_ne_u16_sdwa s0, v16, v10 src0_sel:BYTE_0 src1_sel:DWORD
	v_mov_b32_e32 v17, 0
	v_mov_b32_e32 v87, 0
	s_and_saveexec_b32 s18, s0
	s_cbranch_execz .LBB338_773
; %bb.768:                              ;   in Loop: Header=BB338_426 Depth=1
	v_cmp_ne_u16_sdwa s0, v16, v30 src0_sel:BYTE_0 src1_sel:DWORD
	v_bfrev_b32_e32 v87, 1
	s_and_saveexec_b32 s21, s0
	s_cbranch_execz .LBB338_772
; %bb.769:                              ;   in Loop: Header=BB338_426 Depth=1
	v_and_b32_e32 v18, 0x7f, v16
	v_mov_b32_e32 v87, 0x7f800001
	s_mov_b32 s22, exec_lo
	v_cmpx_ne_u32_e32 0x7f, v18
	s_cbranch_execz .LBB338_771
; %bb.770:                              ;   in Loop: Header=BB338_426 Depth=1
	v_and_b32_e32 v87, 7, v16
	v_lshrrev_b32_e32 v88, 3, v18
	v_cmp_gt_u32_e64 s0, 8, v18
	v_ffbh_u32_e32 v87, v87
	v_min_u32_e32 v87, 32, v87
	v_subrev_nc_u32_e32 v89, 28, v87
	v_sub_nc_u32_e32 v87, 29, v87
	v_cndmask_b32_e64 v18, v88, v87, s0
	v_cndmask_b32_e64 v87, 0, v89, s0
	v_lshl_add_u32 v18, v18, 23, 0x3c000000
	v_lshlrev_b64 v[87:88], v87, v[9:10]
	v_lshlrev_b32_e32 v88, 24, v9
	v_lshlrev_b32_e32 v87, 20, v87
	v_and_b32_e32 v88, 0x80000000, v88
	v_and_b32_e32 v87, 0x700000, v87
	v_or3_b32 v87, v87, v88, v18
.LBB338_771:                            ;   in Loop: Header=BB338_426 Depth=1
	s_or_b32 exec_lo, exec_lo, s22
.LBB338_772:                            ;   in Loop: Header=BB338_426 Depth=1
	s_or_b32 exec_lo, exec_lo, s21
.LBB338_773:                            ;   in Loop: Header=BB338_426 Depth=1
	s_or_b32 exec_lo, exec_lo, s18
	v_cmp_ne_u16_sdwa s0, v9, v10 src0_sel:BYTE_1 src1_sel:DWORD
	s_and_saveexec_b32 s18, s0
	s_cbranch_execz .LBB338_781
; %bb.774:                              ;   in Loop: Header=BB338_426 Depth=1
	v_cmp_ne_u16_sdwa s0, v9, v30 src0_sel:BYTE_1 src1_sel:DWORD
	v_bfrev_b32_e32 v17, 1
	s_and_saveexec_b32 s21, s0
	s_cbranch_execz .LBB338_780
; %bb.775:                              ;   in Loop: Header=BB338_426 Depth=1
	v_and_b32_sdwa v18, v31, v9 dst_sel:DWORD dst_unused:UNUSED_PAD src0_sel:DWORD src1_sel:BYTE_1
	v_mov_b32_e32 v17, 0x7f800001
	s_mov_b32 s22, exec_lo
	v_and_b32_e32 v89, 0x7f, v18
	v_cmpx_ne_u32_e32 0x7f, v89
	s_cbranch_execz .LBB338_779
; %bb.776:                              ;   in Loop: Header=BB338_426 Depth=1
	v_and_b32_e32 v17, 7, v18
	v_mov_b32_e32 v18, v10
	v_lshrrev_b32_e32 v88, 3, v89
	s_mov_b32 s24, exec_lo
	v_cmpx_gt_u32_e32 8, v89
; %bb.777:                              ;   in Loop: Header=BB338_426 Depth=1
	v_ffbh_u32_e32 v88, v17
	v_min_u32_e32 v88, 32, v88
	v_subrev_nc_u32_e32 v89, 28, v88
	v_sub_nc_u32_e32 v88, 29, v88
	v_lshlrev_b64 v[17:18], v89, v[17:18]
	v_and_b32_e32 v17, 7, v17
; %bb.778:                              ;   in Loop: Header=BB338_426 Depth=1
	s_or_b32 exec_lo, exec_lo, s24
	v_lshlrev_b32_e32 v9, 16, v9
	v_lshlrev_b32_e32 v17, 20, v17
	v_lshl_add_u32 v18, v88, 23, 0x3c000000
	v_and_b32_e32 v9, 0x80000000, v9
	v_or3_b32 v17, v17, v9, v18
.LBB338_779:                            ;   in Loop: Header=BB338_426 Depth=1
	s_or_b32 exec_lo, exec_lo, s22
.LBB338_780:                            ;   in Loop: Header=BB338_426 Depth=1
	s_or_b32 exec_lo, exec_lo, s21
.LBB338_781:                            ;   in Loop: Header=BB338_426 Depth=1
	s_or_b32 exec_lo, exec_lo, s18
	v_and_b32_sdwa v9, v16, v32 dst_sel:DWORD dst_unused:UNUSED_PAD src0_sel:WORD_1 src1_sel:DWORD
	v_mov_b32_e32 v18, 0
	v_mov_b32_e32 v88, 0
	s_mov_b32 s18, exec_lo
	v_cmpx_ne_u16_e32 0, v9
	s_cbranch_execz .LBB338_789
; %bb.782:                              ;   in Loop: Header=BB338_426 Depth=1
	v_bfrev_b32_e32 v88, 1
	s_mov_b32 s21, exec_lo
	v_cmpx_ne_u16_e32 0x80, v9
	s_cbranch_execz .LBB338_788
; %bb.783:                              ;   in Loop: Header=BB338_426 Depth=1
	v_bfe_u32 v89, v16, 16, 7
	v_mov_b32_e32 v88, 0x7f800001
	s_mov_b32 s22, exec_lo
	v_cmpx_ne_u32_e32 0x7f, v89
	s_cbranch_execz .LBB338_787
; %bb.784:                              ;   in Loop: Header=BB338_426 Depth=1
	v_and_b32_sdwa v9, v16, v33 dst_sel:DWORD dst_unused:UNUSED_PAD src0_sel:WORD_1 src1_sel:DWORD
	v_lshrrev_b32_e32 v88, 3, v89
	s_mov_b32 s24, exec_lo
	v_cmpx_gt_u32_e32 8, v89
; %bb.785:                              ;   in Loop: Header=BB338_426 Depth=1
	v_ffbh_u32_e32 v88, v9
	v_min_u32_e32 v88, 32, v88
	v_subrev_nc_u32_e32 v89, 28, v88
	v_sub_nc_u32_e32 v88, 29, v88
	v_lshlrev_b64 v[89:90], v89, v[9:10]
	v_and_b32_e32 v9, 7, v89
; %bb.786:                              ;   in Loop: Header=BB338_426 Depth=1
	s_or_b32 exec_lo, exec_lo, s24
	v_lshlrev_b32_sdwa v89, v34, v16 dst_sel:DWORD dst_unused:UNUSED_PAD src0_sel:DWORD src1_sel:WORD_1
	v_lshlrev_b32_e32 v9, 20, v9
	v_lshl_add_u32 v88, v88, 23, 0x3c000000
	v_and_b32_e32 v89, 0x80000000, v89
	v_or3_b32 v88, v9, v89, v88
.LBB338_787:                            ;   in Loop: Header=BB338_426 Depth=1
	s_or_b32 exec_lo, exec_lo, s22
.LBB338_788:                            ;   in Loop: Header=BB338_426 Depth=1
	s_or_b32 exec_lo, exec_lo, s21
.LBB338_789:                            ;   in Loop: Header=BB338_426 Depth=1
	s_or_b32 exec_lo, exec_lo, s18
	s_mov_b32 s18, exec_lo
	v_cmpx_lt_u64_e64 s[4:5], v[15:16]
	s_cbranch_execz .LBB338_797
; %bb.790:                              ;   in Loop: Header=BB338_426 Depth=1
	v_cmp_ne_u32_sdwa s0, v16, v30 src0_sel:BYTE_3 src1_sel:DWORD
	v_bfrev_b32_e32 v18, 1
	s_and_saveexec_b32 s21, s0
	s_cbranch_execz .LBB338_796
; %bb.791:                              ;   in Loop: Header=BB338_426 Depth=1
	v_bfe_u32 v89, v16, 24, 7
	v_mov_b32_e32 v18, 0x7f800001
	s_mov_b32 s22, exec_lo
	v_cmpx_ne_u32_e32 0x7f, v89
	s_cbranch_execz .LBB338_795
; %bb.792:                              ;   in Loop: Header=BB338_426 Depth=1
	v_and_b32_sdwa v9, v16, v33 dst_sel:DWORD dst_unused:UNUSED_PAD src0_sel:BYTE_3 src1_sel:DWORD
	v_lshrrev_b32_e32 v15, 3, v89
	s_mov_b32 s24, exec_lo
	v_cmpx_gt_u32_e32 8, v89
; %bb.793:                              ;   in Loop: Header=BB338_426 Depth=1
	v_ffbh_u32_e32 v15, v9
	v_min_u32_e32 v15, 32, v15
	v_subrev_nc_u32_e32 v18, 28, v15
	v_sub_nc_u32_e32 v15, 29, v15
	v_lshlrev_b64 v[89:90], v18, v[9:10]
	v_and_b32_e32 v9, 7, v89
; %bb.794:                              ;   in Loop: Header=BB338_426 Depth=1
	s_or_b32 exec_lo, exec_lo, s24
	v_lshlrev_b32_sdwa v16, v34, v16 dst_sel:DWORD dst_unused:UNUSED_PAD src0_sel:DWORD src1_sel:BYTE_3
	v_lshlrev_b32_e32 v9, 20, v9
	v_lshl_add_u32 v15, v15, 23, 0x3c000000
	v_and_b32_e32 v16, 0x80000000, v16
	v_or3_b32 v18, v9, v16, v15
.LBB338_795:                            ;   in Loop: Header=BB338_426 Depth=1
	s_or_b32 exec_lo, exec_lo, s22
.LBB338_796:                            ;   in Loop: Header=BB338_426 Depth=1
	s_or_b32 exec_lo, exec_lo, s21
.LBB338_797:                            ;   in Loop: Header=BB338_426 Depth=1
	s_or_b32 exec_lo, exec_lo, s18
	v_mul_f32_e32 v9, s17, v17
	v_mul_f32_e32 v15, s17, v87
	;; [unrolled: 1-line block ×5, first 2 shown]
	v_bfe_u32 v17, v9, 16, 1
	v_or_b32_e32 v86, 0x400000, v9
	v_bfe_u32 v87, v15, 16, 1
	v_cmp_u_f32_e64 s0, v9, v9
	v_or_b32_e32 v89, 0x400000, v15
	v_add3_u32 v17, v17, v9, 0x7fff
	v_bfe_u32 v90, v16, 16, 1
	v_add3_u32 v87, v87, v15, 0x7fff
	v_or_b32_e32 v91, 0x400000, v16
	v_bfe_u32 v92, v85, 16, 1
	v_cndmask_b32_e64 v9, v17, v86, s0
	v_cmp_u_f32_e64 s0, v15, v15
	v_add3_u32 v90, v90, v16, 0x7fff
	v_mul_f32_e32 v83, s17, v83
	v_add3_u32 v86, v92, v85, 0x7fff
	v_lshrrev_b32_e32 v15, 16, v9
	v_cndmask_b32_e64 v17, v87, v89, s0
	v_cmp_u_f32_e64 s0, v16, v16
	v_or_b32_e32 v87, 0x400000, v85
	v_mul_f32_e32 v18, s17, v18
	v_lshrrev_b32_e32 v9, 16, v17
	v_cndmask_b32_e64 v16, v90, v91, s0
	v_cmp_u_f32_e64 s0, v85, v85
	v_or_b32_e32 v91, 0x400000, v18
	v_lshrrev_b32_e32 v17, 16, v16
	v_bfe_u32 v16, v84, 16, 1
	v_cndmask_b32_e64 v85, v86, v87, s0
	v_mul_f32_e32 v86, s17, v88
	v_or_b32_e32 v87, 0x400000, v84
	v_bfe_u32 v88, v83, 16, 1
	v_add3_u32 v16, v16, v84, 0x7fff
	v_cmp_u_f32_e64 s0, v84, v84
	v_bfe_u32 v89, v86, 16, 1
	v_bfe_u32 v84, v18, 16, 1
	v_or_b32_e32 v90, 0x400000, v86
	v_cndmask_b32_e64 v16, v16, v87, s0
	v_add3_u32 v87, v88, v83, 0x7fff
	v_or_b32_e32 v88, 0x400000, v83
	v_cmp_u_f32_e64 s0, v83, v83
	v_add3_u32 v89, v89, v86, 0x7fff
	v_add3_u32 v84, v84, v18, 0x7fff
	v_lshrrev_b32_e32 v83, 16, v85
	v_lshrrev_b32_e32 v85, 16, v16
	v_cndmask_b32_e64 v87, v87, v88, s0
	v_cmp_u_f32_e64 s0, v86, v86
	v_cndmask_b32_e64 v86, v89, v90, s0
	v_cmp_u_f32_e64 s0, v18, v18
	v_lshrrev_b32_e32 v16, 16, v86
	v_cndmask_b32_e64 v18, v84, v91, s0
	v_lshrrev_b32_e32 v84, 16, v87
	v_lshrrev_b32_e32 v18, 16, v18
	s_and_saveexec_b32 s0, vcc_lo
	s_cbranch_execz .LBB338_424
; %bb.798:                              ;   in Loop: Header=BB338_426 Depth=1
	v_cmp_gt_i32_e32 vcc_lo, s31, v36
	v_cndmask_b32_e32 v84, 0, v84, vcc_lo
	v_cmp_gt_i32_e32 vcc_lo, s31, v52
	v_cndmask_b32_e32 v85, 0, v85, vcc_lo
	;; [unrolled: 2-line block ×8, first 2 shown]
	s_branch .LBB338_424
.LBB338_799:
	s_or_b32 exec_lo, exec_lo, s12
.LBB338_800:
	s_or_b32 exec_lo, exec_lo, s1
	v_lshl_add_u32 v2, v21, 2, 0x1a0
	v_and_b32_e32 v3, 0x3c0, v0
	s_mov_b32 s0, exec_lo
	s_waitcnt_vscnt null, 0x0
	s_barrier
	v_mad_u32_u24 v1, 0x300, v35, v2
	buffer_gl0_inv
	v_cmpx_eq_u32_e32 64, v3
	s_cbranch_execz .LBB338_802
; %bb.801:
	v_add_nc_u32_e32 v3, 0xfffffa00, v1
	v_add_nc_u32_e32 v4, 0xfffffa80, v1
	;; [unrolled: 1-line block ×5, first 2 shown]
	ds_write_b32 v3, v29
	v_add_nc_u32_e32 v3, 0xfffffc80, v1
	ds_write_b32 v4, v28
	ds_write_b32 v5, v27
	;; [unrolled: 1-line block ×5, first 2 shown]
.LBB338_802:
	s_or_b32 exec_lo, exec_lo, s0
	s_mov_b32 s0, exec_lo
	s_waitcnt lgkmcnt(0)
	s_barrier
	buffer_gl0_inv
	v_cmpx_gt_u32_e32 64, v0
	s_cbranch_execz .LBB338_804
; %bb.803:
	ds_read2_b32 v[3:4], v1 offset1:32
	ds_read2_b32 v[5:6], v1 offset0:64 offset1:96
	ds_read2_b32 v[7:8], v1 offset0:128 offset1:160
	s_waitcnt lgkmcnt(2)
	v_add_f32_e32 v29, v29, v3
	v_add_f32_e32 v28, v28, v4
	s_waitcnt lgkmcnt(1)
	v_add_f32_e32 v27, v27, v5
	v_add_f32_e32 v24, v24, v6
	;; [unrolled: 3-line block ×3, first 2 shown]
.LBB338_804:
	s_or_b32 exec_lo, exec_lo, s0
	v_and_b32_e32 v3, 0x3e0, v0
	s_mov_b32 s0, exec_lo
	s_barrier
	buffer_gl0_inv
	v_cmpx_eq_u32_e32 32, v3
	s_cbranch_execz .LBB338_806
; %bb.805:
	ds_write2_b32 v2, v29, v28 offset1:32
	ds_write2_b32 v2, v27, v24 offset0:64 offset1:96
	ds_write2_b32 v2, v23, v22 offset0:128 offset1:160
.LBB338_806:
	s_or_b32 exec_lo, exec_lo, s0
	v_cmp_gt_u32_e32 vcc_lo, 32, v0
	s_waitcnt lgkmcnt(0)
	s_barrier
	buffer_gl0_inv
	s_and_saveexec_b32 s0, vcc_lo
	s_cbranch_execz .LBB338_808
; %bb.807:
	ds_read2_b32 v[2:3], v1 offset1:32
	ds_read2_b32 v[4:5], v1 offset0:64 offset1:96
	ds_read2_b32 v[6:7], v1 offset0:128 offset1:160
	s_waitcnt lgkmcnt(2)
	v_add_f32_e32 v29, v29, v2
	v_add_f32_e32 v28, v28, v3
	s_waitcnt lgkmcnt(1)
	v_add_f32_e32 v27, v27, v4
	v_add_f32_e32 v24, v24, v5
	;; [unrolled: 3-line block ×3, first 2 shown]
.LBB338_808:
	s_or_b32 exec_lo, exec_lo, s0
	s_barrier
	buffer_gl0_inv
	s_and_saveexec_b32 s0, vcc_lo
	s_cbranch_execz .LBB338_810
; %bb.809:
	s_mul_i32 s0, s2, 0xc0
	v_bfe_u32 v1, v29, 16, 1
	s_ashr_i32 s1, s0, 31
	s_mul_i32 s2, s7, s10
	s_lshl_b64 s[0:1], s[0:1], 1
	v_or_b32_e32 v2, 0x400000, v29
	s_add_u32 s4, s28, s0
	s_addc_u32 s1, s29, s1
	s_ashr_i32 s3, s2, 31
	v_add3_u32 v1, v1, v29, 0x7fff
	s_lshl_b64 s[2:3], s[2:3], 1
	v_bfe_u32 v3, v28, 16, 1
	v_cmp_u_f32_e32 vcc_lo, v29, v29
	s_mul_i32 s0, s8, 0xc0
	s_add_u32 s2, s4, s2
	s_addc_u32 s3, s1, s3
	s_ashr_i32 s1, s0, 31
	v_lshlrev_b32_e32 v0, 1, v0
	s_lshl_b64 s[0:1], s[0:1], 1
	v_cndmask_b32_e32 v1, v1, v2, vcc_lo
	v_bfe_u32 v2, v27, 16, 1
	v_add3_u32 v3, v3, v28, 0x7fff
	v_or_b32_e32 v4, 0x400000, v28
	v_cmp_u_f32_e32 vcc_lo, v28, v28
	s_add_u32 s0, s2, s0
	s_addc_u32 s1, s3, s1
	v_bfe_u32 v5, v23, 16, 1
	global_store_short_d16_hi v0, v1, s[0:1]
	v_add3_u32 v1, v2, v27, 0x7fff
	v_or_b32_e32 v2, 0x400000, v27
	v_cndmask_b32_e32 v3, v3, v4, vcc_lo
	v_bfe_u32 v4, v24, 16, 1
	v_cmp_u_f32_e32 vcc_lo, v27, v27
	v_or_b32_e32 v6, 0x400000, v24
	v_add3_u32 v5, v5, v23, 0x7fff
	v_or_b32_e32 v7, 0x400000, v23
	v_add3_u32 v4, v4, v24, 0x7fff
	v_cndmask_b32_e32 v1, v1, v2, vcc_lo
	v_cmp_u_f32_e32 vcc_lo, v24, v24
	v_bfe_u32 v2, v22, 16, 1
	v_or_b32_e32 v8, 0x400000, v22
	v_cndmask_b32_e32 v4, v4, v6, vcc_lo
	v_cmp_u_f32_e32 vcc_lo, v23, v23
	v_add3_u32 v2, v2, v22, 0x7fff
	v_cndmask_b32_e32 v5, v5, v7, vcc_lo
	v_cmp_u_f32_e32 vcc_lo, v22, v22
	v_cndmask_b32_e32 v2, v2, v8, vcc_lo
	global_store_short_d16_hi v0, v3, s[0:1] offset:64
	global_store_short_d16_hi v0, v1, s[0:1] offset:128
	;; [unrolled: 1-line block ×5, first 2 shown]
.LBB338_810:
	s_endpgm
	.section	.rodata,"a",@progbits
	.p2align	6, 0x0
	.amdhsa_kernel _ZN4vllm25paged_attention_v2_kernelI14__hip_bfloat16hLi192ELi8ELi128ELNS_18Fp8KVCacheDataTypeE1ELb1ELi512EEEvPfS3_PT_PKS4_PKT0_SA_ifPKiSC_iPKfiiiSE_SE_iiiii
		.amdhsa_group_segment_fixed_size 416
		.amdhsa_private_segment_fixed_size 0
		.amdhsa_kernarg_size 400
		.amdhsa_user_sgpr_count 6
		.amdhsa_user_sgpr_private_segment_buffer 1
		.amdhsa_user_sgpr_dispatch_ptr 0
		.amdhsa_user_sgpr_queue_ptr 0
		.amdhsa_user_sgpr_kernarg_segment_ptr 1
		.amdhsa_user_sgpr_dispatch_id 0
		.amdhsa_user_sgpr_flat_scratch_init 0
		.amdhsa_user_sgpr_private_segment_size 0
		.amdhsa_wavefront_size32 1
		.amdhsa_uses_dynamic_stack 0
		.amdhsa_system_sgpr_private_segment_wavefront_offset 0
		.amdhsa_system_sgpr_workgroup_id_x 1
		.amdhsa_system_sgpr_workgroup_id_y 1
		.amdhsa_system_sgpr_workgroup_id_z 1
		.amdhsa_system_sgpr_workgroup_info 0
		.amdhsa_system_vgpr_workitem_id 0
		.amdhsa_next_free_vgpr 116
		.amdhsa_next_free_sgpr 53
		.amdhsa_reserve_vcc 1
		.amdhsa_reserve_flat_scratch 0
		.amdhsa_float_round_mode_32 0
		.amdhsa_float_round_mode_16_64 0
		.amdhsa_float_denorm_mode_32 3
		.amdhsa_float_denorm_mode_16_64 3
		.amdhsa_dx10_clamp 1
		.amdhsa_ieee_mode 1
		.amdhsa_fp16_overflow 0
		.amdhsa_workgroup_processor_mode 1
		.amdhsa_memory_ordered 1
		.amdhsa_forward_progress 1
		.amdhsa_shared_vgpr_count 0
		.amdhsa_exception_fp_ieee_invalid_op 0
		.amdhsa_exception_fp_denorm_src 0
		.amdhsa_exception_fp_ieee_div_zero 0
		.amdhsa_exception_fp_ieee_overflow 0
		.amdhsa_exception_fp_ieee_underflow 0
		.amdhsa_exception_fp_ieee_inexact 0
		.amdhsa_exception_int_div_zero 0
	.end_amdhsa_kernel
	.section	.text._ZN4vllm25paged_attention_v2_kernelI14__hip_bfloat16hLi192ELi8ELi128ELNS_18Fp8KVCacheDataTypeE1ELb1ELi512EEEvPfS3_PT_PKS4_PKT0_SA_ifPKiSC_iPKfiiiSE_SE_iiiii,"axG",@progbits,_ZN4vllm25paged_attention_v2_kernelI14__hip_bfloat16hLi192ELi8ELi128ELNS_18Fp8KVCacheDataTypeE1ELb1ELi512EEEvPfS3_PT_PKS4_PKT0_SA_ifPKiSC_iPKfiiiSE_SE_iiiii,comdat
.Lfunc_end338:
	.size	_ZN4vllm25paged_attention_v2_kernelI14__hip_bfloat16hLi192ELi8ELi128ELNS_18Fp8KVCacheDataTypeE1ELb1ELi512EEEvPfS3_PT_PKS4_PKT0_SA_ifPKiSC_iPKfiiiSE_SE_iiiii, .Lfunc_end338-_ZN4vllm25paged_attention_v2_kernelI14__hip_bfloat16hLi192ELi8ELi128ELNS_18Fp8KVCacheDataTypeE1ELb1ELi512EEEvPfS3_PT_PKS4_PKT0_SA_ifPKiSC_iPKfiiiSE_SE_iiiii
                                        ; -- End function
	.set _ZN4vllm25paged_attention_v2_kernelI14__hip_bfloat16hLi192ELi8ELi128ELNS_18Fp8KVCacheDataTypeE1ELb1ELi512EEEvPfS3_PT_PKS4_PKT0_SA_ifPKiSC_iPKfiiiSE_SE_iiiii.num_vgpr, 116
	.set _ZN4vllm25paged_attention_v2_kernelI14__hip_bfloat16hLi192ELi8ELi128ELNS_18Fp8KVCacheDataTypeE1ELb1ELi512EEEvPfS3_PT_PKS4_PKT0_SA_ifPKiSC_iPKfiiiSE_SE_iiiii.num_agpr, 0
	.set _ZN4vllm25paged_attention_v2_kernelI14__hip_bfloat16hLi192ELi8ELi128ELNS_18Fp8KVCacheDataTypeE1ELb1ELi512EEEvPfS3_PT_PKS4_PKT0_SA_ifPKiSC_iPKfiiiSE_SE_iiiii.numbered_sgpr, 53
	.set _ZN4vllm25paged_attention_v2_kernelI14__hip_bfloat16hLi192ELi8ELi128ELNS_18Fp8KVCacheDataTypeE1ELb1ELi512EEEvPfS3_PT_PKS4_PKT0_SA_ifPKiSC_iPKfiiiSE_SE_iiiii.num_named_barrier, 0
	.set _ZN4vllm25paged_attention_v2_kernelI14__hip_bfloat16hLi192ELi8ELi128ELNS_18Fp8KVCacheDataTypeE1ELb1ELi512EEEvPfS3_PT_PKS4_PKT0_SA_ifPKiSC_iPKfiiiSE_SE_iiiii.private_seg_size, 0
	.set _ZN4vllm25paged_attention_v2_kernelI14__hip_bfloat16hLi192ELi8ELi128ELNS_18Fp8KVCacheDataTypeE1ELb1ELi512EEEvPfS3_PT_PKS4_PKT0_SA_ifPKiSC_iPKfiiiSE_SE_iiiii.uses_vcc, 1
	.set _ZN4vllm25paged_attention_v2_kernelI14__hip_bfloat16hLi192ELi8ELi128ELNS_18Fp8KVCacheDataTypeE1ELb1ELi512EEEvPfS3_PT_PKS4_PKT0_SA_ifPKiSC_iPKfiiiSE_SE_iiiii.uses_flat_scratch, 0
	.set _ZN4vllm25paged_attention_v2_kernelI14__hip_bfloat16hLi192ELi8ELi128ELNS_18Fp8KVCacheDataTypeE1ELb1ELi512EEEvPfS3_PT_PKS4_PKT0_SA_ifPKiSC_iPKfiiiSE_SE_iiiii.has_dyn_sized_stack, 0
	.set _ZN4vllm25paged_attention_v2_kernelI14__hip_bfloat16hLi192ELi8ELi128ELNS_18Fp8KVCacheDataTypeE1ELb1ELi512EEEvPfS3_PT_PKS4_PKT0_SA_ifPKiSC_iPKfiiiSE_SE_iiiii.has_recursion, 0
	.set _ZN4vllm25paged_attention_v2_kernelI14__hip_bfloat16hLi192ELi8ELi128ELNS_18Fp8KVCacheDataTypeE1ELb1ELi512EEEvPfS3_PT_PKS4_PKT0_SA_ifPKiSC_iPKfiiiSE_SE_iiiii.has_indirect_call, 0
	.section	.AMDGPU.csdata,"",@progbits
; Kernel info:
; codeLenInByte = 30836
; TotalNumSgprs: 55
; NumVgprs: 116
; ScratchSize: 0
; MemoryBound: 0
; FloatMode: 240
; IeeeMode: 1
; LDSByteSize: 416 bytes/workgroup (compile time only)
; SGPRBlocks: 0
; VGPRBlocks: 14
; NumSGPRsForWavesPerEU: 55
; NumVGPRsForWavesPerEU: 116
; Occupancy: 8
; WaveLimiterHint : 1
; COMPUTE_PGM_RSRC2:SCRATCH_EN: 0
; COMPUTE_PGM_RSRC2:USER_SGPR: 6
; COMPUTE_PGM_RSRC2:TRAP_HANDLER: 0
; COMPUTE_PGM_RSRC2:TGID_X_EN: 1
; COMPUTE_PGM_RSRC2:TGID_Y_EN: 1
; COMPUTE_PGM_RSRC2:TGID_Z_EN: 1
; COMPUTE_PGM_RSRC2:TIDIG_COMP_CNT: 0
	.section	.text._ZN4vllm25paged_attention_v2_kernelI14__hip_bfloat16hLi256ELi8ELi128ELNS_18Fp8KVCacheDataTypeE1ELb1ELi512EEEvPfS3_PT_PKS4_PKT0_SA_ifPKiSC_iPKfiiiSE_SE_iiiii,"axG",@progbits,_ZN4vllm25paged_attention_v2_kernelI14__hip_bfloat16hLi256ELi8ELi128ELNS_18Fp8KVCacheDataTypeE1ELb1ELi512EEEvPfS3_PT_PKS4_PKT0_SA_ifPKiSC_iPKfiiiSE_SE_iiiii,comdat
	.protected	_ZN4vllm25paged_attention_v2_kernelI14__hip_bfloat16hLi256ELi8ELi128ELNS_18Fp8KVCacheDataTypeE1ELb1ELi512EEEvPfS3_PT_PKS4_PKT0_SA_ifPKiSC_iPKfiiiSE_SE_iiiii ; -- Begin function _ZN4vllm25paged_attention_v2_kernelI14__hip_bfloat16hLi256ELi8ELi128ELNS_18Fp8KVCacheDataTypeE1ELb1ELi512EEEvPfS3_PT_PKS4_PKT0_SA_ifPKiSC_iPKfiiiSE_SE_iiiii
	.globl	_ZN4vllm25paged_attention_v2_kernelI14__hip_bfloat16hLi256ELi8ELi128ELNS_18Fp8KVCacheDataTypeE1ELb1ELi512EEEvPfS3_PT_PKS4_PKT0_SA_ifPKiSC_iPKfiiiSE_SE_iiiii
	.p2align	8
	.type	_ZN4vllm25paged_attention_v2_kernelI14__hip_bfloat16hLi256ELi8ELi128ELNS_18Fp8KVCacheDataTypeE1ELb1ELi512EEEvPfS3_PT_PKS4_PKT0_SA_ifPKiSC_iPKfiiiSE_SE_iiiii,@function
_ZN4vllm25paged_attention_v2_kernelI14__hip_bfloat16hLi256ELi8ELi128ELNS_18Fp8KVCacheDataTypeE1ELb1ELi512EEEvPfS3_PT_PKS4_PKT0_SA_ifPKiSC_iPKfiiiSE_SE_iiiii: ; @_ZN4vllm25paged_attention_v2_kernelI14__hip_bfloat16hLi256ELi8ELi128ELNS_18Fp8KVCacheDataTypeE1ELb1ELi512EEEvPfS3_PT_PKS4_PKT0_SA_ifPKiSC_iPKfiiiSE_SE_iiiii
; %bb.0:
	s_mov_b64 s[58:59], s[2:3]
	s_mov_b64 s[56:57], s[0:1]
	s_load_dwordx2 s[0:1], s[4:5], 0x40
	s_add_u32 s56, s56, s9
	s_addc_u32 s57, s57, 0
	s_mov_b32 s30, s7
	s_ashr_i32 s31, s7, 31
	s_lshl_b64 s[2:3], s[30:31], 2
	s_waitcnt lgkmcnt(0)
	s_add_u32 s0, s0, s2
	s_addc_u32 s1, s1, s3
	s_lshl_b32 s42, s8, 9
	s_load_dword s31, s[0:1], 0x0
	s_waitcnt lgkmcnt(0)
	s_cmp_ge_i32 s42, s31
	s_cbranch_scc1 .LBB339_1062
; %bb.1:
	s_clause 0x1
	s_load_dword s9, s[4:5], 0x90
	s_load_dwordx2 s[40:41], s[4:5], 0x30
	s_mov_b32 s43, 0
	s_waitcnt lgkmcnt(0)
	s_abs_i32 s3, s9
	s_abs_i32 s0, s40
	v_cvt_f32_u32_e32 v1, s0
	s_sub_i32 s2, 0, s0
	v_rcp_iflag_f32_e32 v1, v1
	v_mul_f32_e32 v1, 0x4f7ffffe, v1
	v_cvt_u32_f32_e32 v1, v1
	v_readfirstlane_b32 s1, v1
	s_mul_i32 s2, s2, s1
	s_mul_hi_u32 s2, s1, s2
	s_add_i32 s1, s1, s2
	s_xor_b32 s2, s9, s40
	s_mul_hi_u32 s1, s3, s1
	s_ashr_i32 s2, s2, 31
	s_mul_i32 s7, s1, s0
	s_sub_i32 s3, s3, s7
	s_add_i32 s7, s1, 1
	s_sub_i32 s10, s3, s0
	s_cmp_ge_u32 s3, s0
	s_cselect_b32 s1, s7, s1
	s_cselect_b32 s3, s10, s3
	s_add_i32 s7, s1, 1
	s_cmp_ge_u32 s3, s0
	s_cselect_b32 s0, s7, s1
	s_xor_b32 s0, s0, s2
	s_sub_i32 s10, s0, s2
	s_load_dwordx2 s[0:1], s[4:5], 0x50
	s_abs_i32 s2, s10
	v_cvt_f32_u32_e32 v1, s2
	s_sub_i32 s3, 0, s2
	v_rcp_iflag_f32_e32 v1, v1
	v_mul_f32_e32 v1, 0x4f7ffffe, v1
	v_cvt_u32_f32_e32 v1, v1
	v_readfirstlane_b32 s7, v1
	s_mul_i32 s3, s3, s7
	s_mul_hi_u32 s11, s7, s3
	s_abs_i32 s3, s6
	s_add_i32 s7, s7, s11
	s_waitcnt lgkmcnt(0)
	s_cmp_eq_u64 s[0:1], 0
	s_mul_hi_u32 s12, s3, s7
	s_cbranch_scc1 .LBB339_3
; %bb.2:
	s_ashr_i32 s7, s6, 31
	s_lshl_b64 s[14:15], s[6:7], 2
	s_add_u32 s0, s0, s14
	s_addc_u32 s1, s1, s15
	s_load_dword s43, s[0:1], 0x0
.LBB339_3:
	s_load_dwordx4 s[16:19], s[4:5], 0x58
	v_and_b32_e32 v1, 3, v0
	s_ashr_i32 s0, s6, 31
	s_ashr_i32 s1, s10, 31
	s_lshl_b32 s10, s6, 8
	s_mov_b32 s7, exec_lo
	v_cmpx_gt_u32_e32 0x80, v0
	s_cbranch_execz .LBB339_5
; %bb.4:
	s_load_dwordx2 s[14:15], s[4:5], 0x18
	s_waitcnt lgkmcnt(0)
	s_mul_i32 s20, s16, s30
	v_lshlrev_b32_e32 v2, 2, v0
	s_ashr_i32 s21, s20, 31
	v_and_b32_e32 v3, 0x3fc, v0
	s_lshl_b64 s[20:21], s[20:21], 1
	v_lshl_add_u32 v3, v1, 7, v3
	s_add_u32 s13, s14, s20
	s_addc_u32 s16, s15, s21
	s_ashr_i32 s11, s10, 31
	s_lshl_b64 s[14:15], s[10:11], 1
	s_add_u32 s14, s13, s14
	s_addc_u32 s15, s16, s15
	global_load_dword v2, v2, s[14:15]
	s_waitcnt vmcnt(0)
	ds_write_b32 v3, v2
.LBB339_5:
	s_or_b32 exec_lo, exec_lo, s7
	s_load_dwordx4 s[20:23], s[4:5], 0x78
	s_mul_i32 s7, s12, s2
	s_xor_b32 s0, s0, s1
	s_sub_i32 s1, s3, s7
	s_add_i32 s3, s12, 1
	s_sub_i32 s7, s1, s2
	s_cmp_ge_u32 s1, s2
                                        ; implicit-def: $sgpr19
	s_cselect_b32 s3, s3, s12
	s_cselect_b32 s1, s7, s1
	s_add_i32 s7, s3, 1
	s_cmp_ge_u32 s1, s2
	s_mov_b32 s12, -1
	s_cselect_b32 s1, s7, s3
	s_load_dword s3, s[4:5], 0x88
	s_xor_b32 s1, s1, s0
	s_add_i32 s7, s31, -1
	s_sub_i32 s1, s1, s0
	s_abs_i32 s2, s7
	s_waitcnt lgkmcnt(0)
	s_abs_i32 s11, s23
	s_barrier
	v_cvt_f32_u32_e32 v2, s11
	s_sub_i32 s0, 0, s11
	buffer_gl0_inv
	v_rcp_iflag_f32_e32 v2, v2
	v_mul_f32_e32 v2, 0x4f7ffffe, v2
	v_cvt_u32_f32_e32 v2, v2
	v_readfirstlane_b32 s16, v2
	s_mul_i32 s0, s0, s16
	s_mul_hi_u32 s0, s16, s0
	s_add_i32 s16, s16, s0
	s_cmp_lt_i32 s3, 0
	s_mul_hi_u32 s0, s2, s16
	s_cbranch_scc0 .LBB339_7
; %bb.6:
	s_mul_i32 s12, s20, s40
	s_add_i32 s12, s1, s12
	s_mul_i32 s12, s12, s3
	s_sub_i32 s19, 1, s12
	s_mov_b32 s12, 0
.LBB339_7:
	s_load_dwordx2 s[34:35], s[4:5], 0x38
	s_ashr_i32 s33, s7, 31
	s_andn2_b32 vcc_lo, exec_lo, s12
	s_ashr_i32 s23, s23, 31
	s_cbranch_vccnz .LBB339_9
; %bb.8:
	s_mul_i32 s7, s9, s20
	s_add_i32 s7, s7, s6
	s_mul_i32 s3, s7, s3
	s_add_i32 s19, s3, 1
.LBB339_9:
	s_clause 0x5
	s_load_dword s3, s[4:5], 0x48
	s_load_dwordx2 s[38:39], s[4:5], 0x28
	s_load_dwordx4 s[24:27], s[4:5], 0x0
	s_load_dwordx2 s[28:29], s[4:5], 0x10
	s_load_dword s7, s[4:5], 0x98
	s_load_dwordx4 s[12:15], s[4:5], 0x68
	s_mul_i32 s20, s0, s11
	s_xor_b32 s40, s33, s23
	s_sub_i32 s2, s2, s20
	s_add_i32 s33, s0, 1
	buffer_store_dword v0, off, s[56:59], 0 offset:24 ; 4-byte Folded Spill
	v_lshrrev_b32_e32 v0, 5, v0
	v_mov_b32_e32 v4, 0xff7fffff
	v_mbcnt_lo_u32_b32 v37, -1, 0
	s_mul_i32 s18, s1, s18
	v_lshl_add_u32 v36, v0, 3, s42
	buffer_store_dword v0, off, s[56:59], 0 offset:28 ; 4-byte Folded Spill
	s_waitcnt lgkmcnt(0)
	s_mul_i32 s36, s3, s30
	s_sub_i32 s3, s2, s11
	s_ashr_i32 s37, s36, 31
	s_cmp_ge_u32 s2, s11
	s_cselect_b32 s0, s33, s0
	s_cselect_b32 s2, s3, s2
	s_add_i32 s3, s0, 1
	s_cmp_ge_u32 s2, s11
	s_cselect_b32 s0, s3, s0
	s_add_i32 s2, s31, 7
	s_lshl_b32 s44, s8, 6
	s_ashr_i32 s3, s2, 31
	v_or_b32_e32 v25, s44, v0
	s_lshr_b32 s3, s3, 29
	s_add_i32 s2, s2, s3
	s_add_i32 s3, s44, 64
	s_ashr_i32 s33, s2, 3
	s_xor_b32 s2, s0, s40
	s_min_i32 s20, s3, s33
	v_ashrrev_i32_e32 v26, 31, v25
	v_cmp_gt_i32_e64 s0, s20, v25
	s_sub_i32 s40, s2, s40
	s_and_saveexec_b32 s45, s0
	s_cbranch_execz .LBB339_533
; %bb.10:
	buffer_load_dword v0, off, s[56:59], 0 offset:24 ; 4-byte Folded Reload
	s_load_dwordx2 s[2:3], s[4:5], 0x20
	s_sub_i32 s4, s40, s21
	s_ashr_i32 s1, s18, 31
	v_mov_b32_e32 v7, 0xff7fffff
	v_cmp_eq_u32_e32 vcc_lo, 0, v1
	v_lshlrev_b32_e32 v4, 1, v1
	v_lshlrev_b32_e32 v40, 7, v1
	v_mov_b32_e32 v28, 0
	buffer_store_dword v7, off, s[56:59], 0 offset:4 ; 4-byte Folded Spill
	v_mov_b32_e32 v42, 0x80
	v_mov_b32_e32 v43, 0xffff
	v_mov_b32_e32 v47, v25
	s_waitcnt lgkmcnt(0)
	s_add_u32 s46, s2, s18
	s_addc_u32 s47, s3, s1
	s_abs_i32 s5, s22
	v_cmp_neq_f32_e64 s1, s43, 0
	v_cvt_f32_u32_e32 v2, s5
	s_sub_i32 s2, 0, s5
	v_rcp_iflag_f32_e32 v3, v2
	v_lshlrev_b64 v[1:2], 2, v[25:26]
	v_mul_f32_e32 v3, 0x4f7ffffe, v3
	v_cvt_u32_f32_e32 v3, v3
	s_waitcnt vmcnt(0)
	v_bfe_u32 v8, v0, 2, 3
	buffer_load_dword v0, off, s[56:59], 0 offset:28 ; 4-byte Folded Reload
	v_lshlrev_b32_e32 v5, 2, v8
	v_subrev_nc_u32_e32 v6, s31, v8
	v_lshlrev_b32_e32 v7, 4, v8
	buffer_store_dword v8, off, s[56:59], 0 offset:16 ; 4-byte Folded Spill
	s_waitcnt vmcnt(0)
	v_lshl_or_b32 v5, v0, 5, v5
	v_lshl_add_u32 v41, v0, 3, s42
	v_add_nc_u32_e32 v0, 1, v6
	v_add_co_u32 v6, s46, s46, v7
	v_add_nc_u32_e32 v45, 0x220, v5
	v_mul_lo_u32 v5, s2, v3
	s_lshl_b64 s[2:3], s[36:37], 2
	v_add_co_ci_u32_e64 v7, null, s47, 0, s46
	s_add_u32 s2, s34, s2
	s_addc_u32 s3, s35, s3
	v_add_co_u32 v29, s2, s2, v1
	buffer_store_dword v0, off, s[56:59], 0 offset:20 ; 4-byte Folded Spill
	v_mul_hi_u32 v5, v3, v5
	v_add_co_ci_u32_e64 v30, null, s3, v2, s2
	v_add_co_u32 v0, s2, v6, v4
	v_add_co_ci_u32_e64 v1, null, 0, v7, s2
	buffer_store_dword v0, off, s[56:59], 0 offset:8 ; 4-byte Folded Spill
	buffer_store_dword v1, off, s[56:59], 0 offset:12 ; 4-byte Folded Spill
	v_add_nc_u32_e32 v0, v3, v5
	s_mov_b32 s46, 0
	s_mov_b32 s47, s17
	buffer_store_dword v0, off, s[56:59], 0 ; 4-byte Folded Spill
	s_branch .LBB339_13
.LBB339_11:                             ;   in Loop: Header=BB339_13 Depth=1
	s_or_b32 exec_lo, exec_lo, s3
.LBB339_12:                             ;   in Loop: Header=BB339_13 Depth=1
	s_or_b32 exec_lo, exec_lo, s48
	v_add_nc_u32_e32 v47, 4, v47
	v_add_co_u32 v29, s3, v29, 16
	v_add_co_ci_u32_e64 v30, null, 0, v30, s3
	v_cmp_le_i32_e64 s2, s20, v47
	v_add_nc_u32_e32 v41, 32, v41
	v_add_nc_u32_e32 v45, 0x80, v45
	s_or_b32 s46, s2, s46
	s_andn2_b32 exec_lo, exec_lo, s46
	s_cbranch_execz .LBB339_532
.LBB339_13:                             ; =>This Inner Loop Header: Depth=1
	buffer_load_dword v0, off, s[56:59], 0  ; 4-byte Folded Reload
	v_sub_nc_u32_e32 v1, 0, v41
	v_max_i32_e32 v1, v41, v1
	s_waitcnt lgkmcnt(0)
	v_mul_hi_u32 v2, v1, s16
	v_mul_lo_u32 v3, v2, s11
	v_sub_nc_u32_e32 v1, v1, v3
	v_add_nc_u32_e32 v3, 1, v2
	v_subrev_nc_u32_e32 v4, s11, v1
	v_cmp_le_u32_e64 s2, s11, v1
	v_cndmask_b32_e64 v2, v2, v3, s2
	v_cndmask_b32_e64 v1, v1, v4, s2
	v_ashrrev_i32_e32 v3, 31, v41
	v_add_nc_u32_e32 v4, 1, v2
	v_cmp_le_u32_e64 s2, s11, v1
	v_xor_b32_e32 v3, s23, v3
	v_cndmask_b32_e64 v1, v2, v4, s2
	v_xor_b32_e32 v1, v1, v3
	v_sub_nc_u32_e32 v1, v1, v3
	v_add_nc_u32_e32 v2, s19, v1
	v_cmp_ge_i32_e64 s3, s4, v1
	v_sub_nc_u32_e32 v3, 0, v2
	v_max_i32_e32 v3, v2, v3
	v_ashrrev_i32_e32 v2, 31, v2
	s_waitcnt vmcnt(0)
	v_mul_hi_u32 v4, v3, v0
	v_mul_lo_u32 v4, v4, s5
	v_sub_nc_u32_e32 v3, v3, v4
	v_subrev_nc_u32_e32 v4, s5, v3
	v_cmp_le_u32_e64 s2, s5, v3
	v_cndmask_b32_e64 v3, v3, v4, s2
	v_subrev_nc_u32_e32 v4, s5, v3
	v_cmp_le_u32_e64 s2, s5, v3
	v_cndmask_b32_e64 v3, v3, v4, s2
	v_xor_b32_e32 v3, v3, v2
	v_sub_nc_u32_e32 v2, v3, v2
	v_cmp_ne_u32_e64 s2, 0, v2
	s_and_b32 s2, s2, s3
	s_and_saveexec_b32 s3, s2
	s_xor_b32 s2, exec_lo, s3
	s_cbranch_execz .LBB339_17
; %bb.14:                               ;   in Loop: Header=BB339_13 Depth=1
	s_and_saveexec_b32 s3, vcc_lo
; %bb.15:                               ;   in Loop: Header=BB339_13 Depth=1
	v_mov_b32_e32 v1, 0xff7fffff
	ds_write_b32 v45, v1
; %bb.16:                               ;   in Loop: Header=BB339_13 Depth=1
	s_or_b32 exec_lo, exec_lo, s3
.LBB339_17:                             ;   in Loop: Header=BB339_13 Depth=1
	s_andn2_saveexec_b32 s48, s2
	s_cbranch_execz .LBB339_12
; %bb.18:                               ;   in Loop: Header=BB339_13 Depth=1
	global_load_dword v1, v[29:30], off
	s_clause 0x1
	buffer_load_dword v2, off, s[56:59], 0 offset:8
	buffer_load_dword v3, off, s[56:59], 0 offset:12
	v_mov_b32_e32 v49, 0
	v_mov_b32_e32 v50, 0
	s_waitcnt vmcnt(0)
	v_mad_i64_i32 v[33:34], null, v1, s47, v[2:3]
	global_load_ushort v27, v[33:34], off
	ds_read_b128 v[21:24], v40
	ds_read_b128 v[17:20], v40 offset:16
	ds_read_b128 v[13:16], v40 offset:32
	;; [unrolled: 1-line block ×5, first 2 shown]
	ds_read_b32 v48, v40 offset:96
	s_load_dword s49, s[12:13], 0x0
	s_waitcnt vmcnt(0)
	v_and_b32_e32 v35, 0xffff, v27
	v_cmp_ne_u16_sdwa s2, v27, v28 src0_sel:BYTE_0 src1_sel:DWORD
	s_and_saveexec_b32 s3, s2
	s_cbranch_execz .LBB339_26
; %bb.19:                               ;   in Loop: Header=BB339_13 Depth=1
	v_cmp_ne_u16_sdwa s2, v35, v42 src0_sel:BYTE_0 src1_sel:DWORD
	v_bfrev_b32_e32 v50, 1
	s_and_saveexec_b32 s50, s2
	s_cbranch_execz .LBB339_25
; %bb.20:                               ;   in Loop: Header=BB339_13 Depth=1
	v_and_b32_e32 v51, 0x7f, v35
	v_mov_b32_e32 v50, 0x7f800001
	s_mov_b32 s51, exec_lo
	v_cmpx_ne_u32_e32 0x7f, v51
	s_cbranch_execz .LBB339_24
; %bb.21:                               ;   in Loop: Header=BB339_13 Depth=1
	v_and_b32_e32 v27, 7, v35
	v_lshrrev_b32_e32 v39, 3, v51
	s_mov_b32 s52, exec_lo
	v_cmpx_gt_u32_e32 8, v51
; %bb.22:                               ;   in Loop: Header=BB339_13 Depth=1
	v_ffbh_u32_e32 v39, v27
	v_min_u32_e32 v39, 32, v39
	v_subrev_nc_u32_e32 v50, 28, v39
	v_sub_nc_u32_e32 v39, 29, v39
	v_lshlrev_b64 v[50:51], v50, v[27:28]
	v_and_b32_e32 v27, 7, v50
; %bb.23:                               ;   in Loop: Header=BB339_13 Depth=1
	s_or_b32 exec_lo, exec_lo, s52
	v_lshlrev_b32_e32 v50, 24, v35
	v_lshlrev_b32_e32 v27, 20, v27
	v_lshl_add_u32 v39, v39, 23, 0x3c000000
	v_and_b32_e32 v50, 0x80000000, v50
	v_or3_b32 v50, v27, v50, v39
.LBB339_24:                             ;   in Loop: Header=BB339_13 Depth=1
	s_or_b32 exec_lo, exec_lo, s51
.LBB339_25:                             ;   in Loop: Header=BB339_13 Depth=1
	s_or_b32 exec_lo, exec_lo, s50
.LBB339_26:                             ;   in Loop: Header=BB339_13 Depth=1
	s_or_b32 exec_lo, exec_lo, s3
	v_cmp_ne_u16_sdwa s2, v35, v28 src0_sel:BYTE_1 src1_sel:DWORD
	s_and_saveexec_b32 s3, s2
	s_cbranch_execz .LBB339_34
; %bb.27:                               ;   in Loop: Header=BB339_13 Depth=1
	v_cmp_ne_u16_sdwa s2, v35, v42 src0_sel:BYTE_1 src1_sel:DWORD
	v_bfrev_b32_e32 v49, 1
	s_and_saveexec_b32 s50, s2
	s_cbranch_execz .LBB339_33
; %bb.28:                               ;   in Loop: Header=BB339_13 Depth=1
	v_and_b32_sdwa v27, v43, v35 dst_sel:DWORD dst_unused:UNUSED_PAD src0_sel:DWORD src1_sel:BYTE_1
	v_mov_b32_e32 v49, 0x7f800001
	s_mov_b32 s51, exec_lo
	v_and_b32_e32 v51, 0x7f, v27
	v_cmpx_ne_u32_e32 0x7f, v51
	s_cbranch_execz .LBB339_32
; %bb.29:                               ;   in Loop: Header=BB339_13 Depth=1
	v_and_b32_e32 v27, 7, v27
	v_lshrrev_b32_e32 v39, 3, v51
	s_mov_b32 s52, exec_lo
	v_cmpx_gt_u32_e32 8, v51
; %bb.30:                               ;   in Loop: Header=BB339_13 Depth=1
	v_ffbh_u32_e32 v39, v27
	v_min_u32_e32 v39, 32, v39
	v_subrev_nc_u32_e32 v49, 28, v39
	v_sub_nc_u32_e32 v39, 29, v39
	v_lshlrev_b64 v[51:52], v49, v[27:28]
	v_and_b32_e32 v27, 7, v51
; %bb.31:                               ;   in Loop: Header=BB339_13 Depth=1
	s_or_b32 exec_lo, exec_lo, s52
	v_lshlrev_b32_e32 v35, 16, v35
	v_lshlrev_b32_e32 v27, 20, v27
	v_lshl_add_u32 v39, v39, 23, 0x3c000000
	v_and_b32_e32 v35, 0x80000000, v35
	v_or3_b32 v49, v27, v35, v39
.LBB339_32:                             ;   in Loop: Header=BB339_13 Depth=1
	s_or_b32 exec_lo, exec_lo, s51
.LBB339_33:                             ;   in Loop: Header=BB339_13 Depth=1
	s_or_b32 exec_lo, exec_lo, s50
.LBB339_34:                             ;   in Loop: Header=BB339_13 Depth=1
	s_or_b32 exec_lo, exec_lo, s3
	global_load_ushort v27, v[33:34], off offset:8
	v_mov_b32_e32 v51, 0
	v_mov_b32_e32 v52, 0
	s_waitcnt vmcnt(0)
	v_and_b32_e32 v35, 0xffff, v27
	v_cmp_ne_u16_sdwa s2, v27, v28 src0_sel:BYTE_0 src1_sel:DWORD
	s_and_saveexec_b32 s3, s2
	s_cbranch_execz .LBB339_42
; %bb.35:                               ;   in Loop: Header=BB339_13 Depth=1
	v_cmp_ne_u16_sdwa s2, v35, v42 src0_sel:BYTE_0 src1_sel:DWORD
	v_bfrev_b32_e32 v52, 1
	s_and_saveexec_b32 s50, s2
	s_cbranch_execz .LBB339_41
; %bb.36:                               ;   in Loop: Header=BB339_13 Depth=1
	v_and_b32_e32 v53, 0x7f, v35
	v_mov_b32_e32 v52, 0x7f800001
	s_mov_b32 s51, exec_lo
	v_cmpx_ne_u32_e32 0x7f, v53
	s_cbranch_execz .LBB339_40
; %bb.37:                               ;   in Loop: Header=BB339_13 Depth=1
	v_and_b32_e32 v27, 7, v35
	v_lshrrev_b32_e32 v39, 3, v53
	s_mov_b32 s52, exec_lo
	v_cmpx_gt_u32_e32 8, v53
; %bb.38:                               ;   in Loop: Header=BB339_13 Depth=1
	v_ffbh_u32_e32 v39, v27
	v_min_u32_e32 v39, 32, v39
	v_subrev_nc_u32_e32 v52, 28, v39
	v_sub_nc_u32_e32 v39, 29, v39
	v_lshlrev_b64 v[52:53], v52, v[27:28]
	v_and_b32_e32 v27, 7, v52
; %bb.39:                               ;   in Loop: Header=BB339_13 Depth=1
	s_or_b32 exec_lo, exec_lo, s52
	v_lshlrev_b32_e32 v52, 24, v35
	v_lshlrev_b32_e32 v27, 20, v27
	v_lshl_add_u32 v39, v39, 23, 0x3c000000
	v_and_b32_e32 v52, 0x80000000, v52
	v_or3_b32 v52, v27, v52, v39
.LBB339_40:                             ;   in Loop: Header=BB339_13 Depth=1
	s_or_b32 exec_lo, exec_lo, s51
.LBB339_41:                             ;   in Loop: Header=BB339_13 Depth=1
	s_or_b32 exec_lo, exec_lo, s50
.LBB339_42:                             ;   in Loop: Header=BB339_13 Depth=1
	s_or_b32 exec_lo, exec_lo, s3
	v_cmp_ne_u16_sdwa s2, v35, v28 src0_sel:BYTE_1 src1_sel:DWORD
	s_and_saveexec_b32 s3, s2
	s_cbranch_execz .LBB339_50
; %bb.43:                               ;   in Loop: Header=BB339_13 Depth=1
	v_cmp_ne_u16_sdwa s2, v35, v42 src0_sel:BYTE_1 src1_sel:DWORD
	v_bfrev_b32_e32 v51, 1
	s_and_saveexec_b32 s50, s2
	s_cbranch_execz .LBB339_49
; %bb.44:                               ;   in Loop: Header=BB339_13 Depth=1
	v_and_b32_sdwa v27, v43, v35 dst_sel:DWORD dst_unused:UNUSED_PAD src0_sel:DWORD src1_sel:BYTE_1
	v_mov_b32_e32 v51, 0x7f800001
	s_mov_b32 s51, exec_lo
	v_and_b32_e32 v53, 0x7f, v27
	v_cmpx_ne_u32_e32 0x7f, v53
	s_cbranch_execz .LBB339_48
; %bb.45:                               ;   in Loop: Header=BB339_13 Depth=1
	v_and_b32_e32 v27, 7, v27
	v_lshrrev_b32_e32 v39, 3, v53
	s_mov_b32 s52, exec_lo
	v_cmpx_gt_u32_e32 8, v53
; %bb.46:                               ;   in Loop: Header=BB339_13 Depth=1
	v_ffbh_u32_e32 v39, v27
	v_min_u32_e32 v39, 32, v39
	v_subrev_nc_u32_e32 v51, 28, v39
	v_sub_nc_u32_e32 v39, 29, v39
	v_lshlrev_b64 v[53:54], v51, v[27:28]
	v_and_b32_e32 v27, 7, v53
; %bb.47:                               ;   in Loop: Header=BB339_13 Depth=1
	s_or_b32 exec_lo, exec_lo, s52
	v_lshlrev_b32_e32 v35, 16, v35
	v_lshlrev_b32_e32 v27, 20, v27
	v_lshl_add_u32 v39, v39, 23, 0x3c000000
	v_and_b32_e32 v35, 0x80000000, v35
	v_or3_b32 v51, v27, v35, v39
.LBB339_48:                             ;   in Loop: Header=BB339_13 Depth=1
	s_or_b32 exec_lo, exec_lo, s51
.LBB339_49:                             ;   in Loop: Header=BB339_13 Depth=1
	s_or_b32 exec_lo, exec_lo, s50
.LBB339_50:                             ;   in Loop: Header=BB339_13 Depth=1
	s_or_b32 exec_lo, exec_lo, s3
	global_load_ushort v27, v[33:34], off offset:128
	v_mov_b32_e32 v53, 0
	v_mov_b32_e32 v54, 0
	s_waitcnt vmcnt(0)
	v_and_b32_e32 v35, 0xffff, v27
	v_cmp_ne_u16_sdwa s2, v27, v28 src0_sel:BYTE_0 src1_sel:DWORD
	s_and_saveexec_b32 s3, s2
	s_cbranch_execz .LBB339_58
; %bb.51:                               ;   in Loop: Header=BB339_13 Depth=1
	v_cmp_ne_u16_sdwa s2, v35, v42 src0_sel:BYTE_0 src1_sel:DWORD
	v_bfrev_b32_e32 v54, 1
	s_and_saveexec_b32 s50, s2
	s_cbranch_execz .LBB339_57
; %bb.52:                               ;   in Loop: Header=BB339_13 Depth=1
	v_and_b32_e32 v55, 0x7f, v35
	v_mov_b32_e32 v54, 0x7f800001
	s_mov_b32 s51, exec_lo
	v_cmpx_ne_u32_e32 0x7f, v55
	s_cbranch_execz .LBB339_56
; %bb.53:                               ;   in Loop: Header=BB339_13 Depth=1
	v_and_b32_e32 v27, 7, v35
	v_lshrrev_b32_e32 v39, 3, v55
	s_mov_b32 s52, exec_lo
	v_cmpx_gt_u32_e32 8, v55
; %bb.54:                               ;   in Loop: Header=BB339_13 Depth=1
	v_ffbh_u32_e32 v39, v27
	v_min_u32_e32 v39, 32, v39
	v_subrev_nc_u32_e32 v54, 28, v39
	v_sub_nc_u32_e32 v39, 29, v39
	v_lshlrev_b64 v[54:55], v54, v[27:28]
	v_and_b32_e32 v27, 7, v54
; %bb.55:                               ;   in Loop: Header=BB339_13 Depth=1
	s_or_b32 exec_lo, exec_lo, s52
	v_lshlrev_b32_e32 v54, 24, v35
	v_lshlrev_b32_e32 v27, 20, v27
	v_lshl_add_u32 v39, v39, 23, 0x3c000000
	v_and_b32_e32 v54, 0x80000000, v54
	v_or3_b32 v54, v27, v54, v39
.LBB339_56:                             ;   in Loop: Header=BB339_13 Depth=1
	s_or_b32 exec_lo, exec_lo, s51
.LBB339_57:                             ;   in Loop: Header=BB339_13 Depth=1
	s_or_b32 exec_lo, exec_lo, s50
.LBB339_58:                             ;   in Loop: Header=BB339_13 Depth=1
	s_or_b32 exec_lo, exec_lo, s3
	v_cmp_ne_u16_sdwa s2, v35, v28 src0_sel:BYTE_1 src1_sel:DWORD
	s_and_saveexec_b32 s3, s2
	s_cbranch_execz .LBB339_66
; %bb.59:                               ;   in Loop: Header=BB339_13 Depth=1
	v_cmp_ne_u16_sdwa s2, v35, v42 src0_sel:BYTE_1 src1_sel:DWORD
	v_bfrev_b32_e32 v53, 1
	s_and_saveexec_b32 s50, s2
	s_cbranch_execz .LBB339_65
; %bb.60:                               ;   in Loop: Header=BB339_13 Depth=1
	v_and_b32_sdwa v27, v43, v35 dst_sel:DWORD dst_unused:UNUSED_PAD src0_sel:DWORD src1_sel:BYTE_1
	v_mov_b32_e32 v53, 0x7f800001
	s_mov_b32 s51, exec_lo
	v_and_b32_e32 v55, 0x7f, v27
	v_cmpx_ne_u32_e32 0x7f, v55
	s_cbranch_execz .LBB339_64
; %bb.61:                               ;   in Loop: Header=BB339_13 Depth=1
	v_and_b32_e32 v27, 7, v27
	v_lshrrev_b32_e32 v39, 3, v55
	s_mov_b32 s52, exec_lo
	v_cmpx_gt_u32_e32 8, v55
; %bb.62:                               ;   in Loop: Header=BB339_13 Depth=1
	v_ffbh_u32_e32 v39, v27
	v_min_u32_e32 v39, 32, v39
	v_subrev_nc_u32_e32 v53, 28, v39
	v_sub_nc_u32_e32 v39, 29, v39
	v_lshlrev_b64 v[55:56], v53, v[27:28]
	v_and_b32_e32 v27, 7, v55
; %bb.63:                               ;   in Loop: Header=BB339_13 Depth=1
	s_or_b32 exec_lo, exec_lo, s52
	v_lshlrev_b32_e32 v35, 16, v35
	v_lshlrev_b32_e32 v27, 20, v27
	v_lshl_add_u32 v39, v39, 23, 0x3c000000
	v_and_b32_e32 v35, 0x80000000, v35
	v_or3_b32 v53, v27, v35, v39
.LBB339_64:                             ;   in Loop: Header=BB339_13 Depth=1
	s_or_b32 exec_lo, exec_lo, s51
.LBB339_65:                             ;   in Loop: Header=BB339_13 Depth=1
	s_or_b32 exec_lo, exec_lo, s50
.LBB339_66:                             ;   in Loop: Header=BB339_13 Depth=1
	s_or_b32 exec_lo, exec_lo, s3
	global_load_ushort v27, v[33:34], off offset:136
	v_mov_b32_e32 v55, 0
	v_mov_b32_e32 v56, 0
	s_waitcnt vmcnt(0)
	v_and_b32_e32 v35, 0xffff, v27
	v_cmp_ne_u16_sdwa s2, v27, v28 src0_sel:BYTE_0 src1_sel:DWORD
	s_and_saveexec_b32 s3, s2
	s_cbranch_execz .LBB339_74
; %bb.67:                               ;   in Loop: Header=BB339_13 Depth=1
	v_cmp_ne_u16_sdwa s2, v35, v42 src0_sel:BYTE_0 src1_sel:DWORD
	v_bfrev_b32_e32 v56, 1
	s_and_saveexec_b32 s50, s2
	s_cbranch_execz .LBB339_73
; %bb.68:                               ;   in Loop: Header=BB339_13 Depth=1
	v_and_b32_e32 v57, 0x7f, v35
	v_mov_b32_e32 v56, 0x7f800001
	s_mov_b32 s51, exec_lo
	v_cmpx_ne_u32_e32 0x7f, v57
	s_cbranch_execz .LBB339_72
; %bb.69:                               ;   in Loop: Header=BB339_13 Depth=1
	v_and_b32_e32 v27, 7, v35
	v_lshrrev_b32_e32 v39, 3, v57
	s_mov_b32 s52, exec_lo
	v_cmpx_gt_u32_e32 8, v57
; %bb.70:                               ;   in Loop: Header=BB339_13 Depth=1
	v_ffbh_u32_e32 v39, v27
	v_min_u32_e32 v39, 32, v39
	v_subrev_nc_u32_e32 v56, 28, v39
	v_sub_nc_u32_e32 v39, 29, v39
	v_lshlrev_b64 v[56:57], v56, v[27:28]
	v_and_b32_e32 v27, 7, v56
; %bb.71:                               ;   in Loop: Header=BB339_13 Depth=1
	s_or_b32 exec_lo, exec_lo, s52
	v_lshlrev_b32_e32 v56, 24, v35
	v_lshlrev_b32_e32 v27, 20, v27
	v_lshl_add_u32 v39, v39, 23, 0x3c000000
	v_and_b32_e32 v56, 0x80000000, v56
	v_or3_b32 v56, v27, v56, v39
.LBB339_72:                             ;   in Loop: Header=BB339_13 Depth=1
	s_or_b32 exec_lo, exec_lo, s51
.LBB339_73:                             ;   in Loop: Header=BB339_13 Depth=1
	s_or_b32 exec_lo, exec_lo, s50
.LBB339_74:                             ;   in Loop: Header=BB339_13 Depth=1
	s_or_b32 exec_lo, exec_lo, s3
	v_cmp_ne_u16_sdwa s2, v35, v28 src0_sel:BYTE_1 src1_sel:DWORD
	s_and_saveexec_b32 s3, s2
	s_cbranch_execz .LBB339_82
; %bb.75:                               ;   in Loop: Header=BB339_13 Depth=1
	v_cmp_ne_u16_sdwa s2, v35, v42 src0_sel:BYTE_1 src1_sel:DWORD
	v_bfrev_b32_e32 v55, 1
	s_and_saveexec_b32 s50, s2
	s_cbranch_execz .LBB339_81
; %bb.76:                               ;   in Loop: Header=BB339_13 Depth=1
	v_and_b32_sdwa v27, v43, v35 dst_sel:DWORD dst_unused:UNUSED_PAD src0_sel:DWORD src1_sel:BYTE_1
	v_mov_b32_e32 v55, 0x7f800001
	s_mov_b32 s51, exec_lo
	v_and_b32_e32 v57, 0x7f, v27
	v_cmpx_ne_u32_e32 0x7f, v57
	s_cbranch_execz .LBB339_80
; %bb.77:                               ;   in Loop: Header=BB339_13 Depth=1
	v_and_b32_e32 v27, 7, v27
	v_lshrrev_b32_e32 v39, 3, v57
	s_mov_b32 s52, exec_lo
	v_cmpx_gt_u32_e32 8, v57
; %bb.78:                               ;   in Loop: Header=BB339_13 Depth=1
	v_ffbh_u32_e32 v39, v27
	v_min_u32_e32 v39, 32, v39
	v_subrev_nc_u32_e32 v55, 28, v39
	v_sub_nc_u32_e32 v39, 29, v39
	v_lshlrev_b64 v[57:58], v55, v[27:28]
	v_and_b32_e32 v27, 7, v57
; %bb.79:                               ;   in Loop: Header=BB339_13 Depth=1
	s_or_b32 exec_lo, exec_lo, s52
	v_lshlrev_b32_e32 v35, 16, v35
	v_lshlrev_b32_e32 v27, 20, v27
	v_lshl_add_u32 v39, v39, 23, 0x3c000000
	v_and_b32_e32 v35, 0x80000000, v35
	v_or3_b32 v55, v27, v35, v39
.LBB339_80:                             ;   in Loop: Header=BB339_13 Depth=1
	s_or_b32 exec_lo, exec_lo, s51
.LBB339_81:                             ;   in Loop: Header=BB339_13 Depth=1
	s_or_b32 exec_lo, exec_lo, s50
.LBB339_82:                             ;   in Loop: Header=BB339_13 Depth=1
	s_or_b32 exec_lo, exec_lo, s3
	global_load_ushort v27, v[33:34], off offset:256
	v_mov_b32_e32 v57, 0
	v_mov_b32_e32 v58, 0
	s_waitcnt vmcnt(0)
	v_and_b32_e32 v35, 0xffff, v27
	v_cmp_ne_u16_sdwa s2, v27, v28 src0_sel:BYTE_0 src1_sel:DWORD
	s_and_saveexec_b32 s3, s2
	s_cbranch_execz .LBB339_90
; %bb.83:                               ;   in Loop: Header=BB339_13 Depth=1
	v_cmp_ne_u16_sdwa s2, v35, v42 src0_sel:BYTE_0 src1_sel:DWORD
	v_bfrev_b32_e32 v58, 1
	s_and_saveexec_b32 s50, s2
	s_cbranch_execz .LBB339_89
; %bb.84:                               ;   in Loop: Header=BB339_13 Depth=1
	v_and_b32_e32 v59, 0x7f, v35
	v_mov_b32_e32 v58, 0x7f800001
	s_mov_b32 s51, exec_lo
	v_cmpx_ne_u32_e32 0x7f, v59
	s_cbranch_execz .LBB339_88
; %bb.85:                               ;   in Loop: Header=BB339_13 Depth=1
	v_and_b32_e32 v27, 7, v35
	v_lshrrev_b32_e32 v39, 3, v59
	s_mov_b32 s52, exec_lo
	v_cmpx_gt_u32_e32 8, v59
; %bb.86:                               ;   in Loop: Header=BB339_13 Depth=1
	v_ffbh_u32_e32 v39, v27
	v_min_u32_e32 v39, 32, v39
	v_subrev_nc_u32_e32 v58, 28, v39
	v_sub_nc_u32_e32 v39, 29, v39
	v_lshlrev_b64 v[58:59], v58, v[27:28]
	v_and_b32_e32 v27, 7, v58
; %bb.87:                               ;   in Loop: Header=BB339_13 Depth=1
	s_or_b32 exec_lo, exec_lo, s52
	v_lshlrev_b32_e32 v58, 24, v35
	v_lshlrev_b32_e32 v27, 20, v27
	v_lshl_add_u32 v39, v39, 23, 0x3c000000
	v_and_b32_e32 v58, 0x80000000, v58
	v_or3_b32 v58, v27, v58, v39
.LBB339_88:                             ;   in Loop: Header=BB339_13 Depth=1
	s_or_b32 exec_lo, exec_lo, s51
.LBB339_89:                             ;   in Loop: Header=BB339_13 Depth=1
	s_or_b32 exec_lo, exec_lo, s50
.LBB339_90:                             ;   in Loop: Header=BB339_13 Depth=1
	s_or_b32 exec_lo, exec_lo, s3
	v_cmp_ne_u16_sdwa s2, v35, v28 src0_sel:BYTE_1 src1_sel:DWORD
	s_and_saveexec_b32 s3, s2
	s_cbranch_execz .LBB339_98
; %bb.91:                               ;   in Loop: Header=BB339_13 Depth=1
	v_cmp_ne_u16_sdwa s2, v35, v42 src0_sel:BYTE_1 src1_sel:DWORD
	v_bfrev_b32_e32 v57, 1
	s_and_saveexec_b32 s50, s2
	s_cbranch_execz .LBB339_97
; %bb.92:                               ;   in Loop: Header=BB339_13 Depth=1
	v_and_b32_sdwa v27, v43, v35 dst_sel:DWORD dst_unused:UNUSED_PAD src0_sel:DWORD src1_sel:BYTE_1
	v_mov_b32_e32 v57, 0x7f800001
	s_mov_b32 s51, exec_lo
	v_and_b32_e32 v59, 0x7f, v27
	v_cmpx_ne_u32_e32 0x7f, v59
	s_cbranch_execz .LBB339_96
; %bb.93:                               ;   in Loop: Header=BB339_13 Depth=1
	v_and_b32_e32 v27, 7, v27
	v_lshrrev_b32_e32 v39, 3, v59
	s_mov_b32 s52, exec_lo
	v_cmpx_gt_u32_e32 8, v59
; %bb.94:                               ;   in Loop: Header=BB339_13 Depth=1
	v_ffbh_u32_e32 v39, v27
	v_min_u32_e32 v39, 32, v39
	v_subrev_nc_u32_e32 v57, 28, v39
	v_sub_nc_u32_e32 v39, 29, v39
	v_lshlrev_b64 v[59:60], v57, v[27:28]
	v_and_b32_e32 v27, 7, v59
; %bb.95:                               ;   in Loop: Header=BB339_13 Depth=1
	s_or_b32 exec_lo, exec_lo, s52
	v_lshlrev_b32_e32 v35, 16, v35
	v_lshlrev_b32_e32 v27, 20, v27
	v_lshl_add_u32 v39, v39, 23, 0x3c000000
	v_and_b32_e32 v35, 0x80000000, v35
	v_or3_b32 v57, v27, v35, v39
.LBB339_96:                             ;   in Loop: Header=BB339_13 Depth=1
	s_or_b32 exec_lo, exec_lo, s51
.LBB339_97:                             ;   in Loop: Header=BB339_13 Depth=1
	s_or_b32 exec_lo, exec_lo, s50
.LBB339_98:                             ;   in Loop: Header=BB339_13 Depth=1
	s_or_b32 exec_lo, exec_lo, s3
	global_load_ushort v27, v[33:34], off offset:264
	v_mov_b32_e32 v59, 0
	v_mov_b32_e32 v60, 0
	s_waitcnt vmcnt(0)
	v_and_b32_e32 v35, 0xffff, v27
	v_cmp_ne_u16_sdwa s2, v27, v28 src0_sel:BYTE_0 src1_sel:DWORD
	s_and_saveexec_b32 s3, s2
	s_cbranch_execz .LBB339_106
; %bb.99:                               ;   in Loop: Header=BB339_13 Depth=1
	v_cmp_ne_u16_sdwa s2, v35, v42 src0_sel:BYTE_0 src1_sel:DWORD
	v_bfrev_b32_e32 v60, 1
	s_and_saveexec_b32 s50, s2
	s_cbranch_execz .LBB339_105
; %bb.100:                              ;   in Loop: Header=BB339_13 Depth=1
	v_and_b32_e32 v61, 0x7f, v35
	v_mov_b32_e32 v60, 0x7f800001
	s_mov_b32 s51, exec_lo
	v_cmpx_ne_u32_e32 0x7f, v61
	s_cbranch_execz .LBB339_104
; %bb.101:                              ;   in Loop: Header=BB339_13 Depth=1
	v_and_b32_e32 v27, 7, v35
	v_lshrrev_b32_e32 v39, 3, v61
	s_mov_b32 s52, exec_lo
	v_cmpx_gt_u32_e32 8, v61
; %bb.102:                              ;   in Loop: Header=BB339_13 Depth=1
	v_ffbh_u32_e32 v39, v27
	v_min_u32_e32 v39, 32, v39
	v_subrev_nc_u32_e32 v60, 28, v39
	v_sub_nc_u32_e32 v39, 29, v39
	v_lshlrev_b64 v[60:61], v60, v[27:28]
	v_and_b32_e32 v27, 7, v60
; %bb.103:                              ;   in Loop: Header=BB339_13 Depth=1
	s_or_b32 exec_lo, exec_lo, s52
	v_lshlrev_b32_e32 v60, 24, v35
	v_lshlrev_b32_e32 v27, 20, v27
	v_lshl_add_u32 v39, v39, 23, 0x3c000000
	v_and_b32_e32 v60, 0x80000000, v60
	v_or3_b32 v60, v27, v60, v39
.LBB339_104:                            ;   in Loop: Header=BB339_13 Depth=1
	s_or_b32 exec_lo, exec_lo, s51
.LBB339_105:                            ;   in Loop: Header=BB339_13 Depth=1
	s_or_b32 exec_lo, exec_lo, s50
.LBB339_106:                            ;   in Loop: Header=BB339_13 Depth=1
	s_or_b32 exec_lo, exec_lo, s3
	v_cmp_ne_u16_sdwa s2, v35, v28 src0_sel:BYTE_1 src1_sel:DWORD
	s_and_saveexec_b32 s3, s2
	s_cbranch_execz .LBB339_114
; %bb.107:                              ;   in Loop: Header=BB339_13 Depth=1
	v_cmp_ne_u16_sdwa s2, v35, v42 src0_sel:BYTE_1 src1_sel:DWORD
	v_bfrev_b32_e32 v59, 1
	s_and_saveexec_b32 s50, s2
	s_cbranch_execz .LBB339_113
; %bb.108:                              ;   in Loop: Header=BB339_13 Depth=1
	v_and_b32_sdwa v27, v43, v35 dst_sel:DWORD dst_unused:UNUSED_PAD src0_sel:DWORD src1_sel:BYTE_1
	v_mov_b32_e32 v59, 0x7f800001
	s_mov_b32 s51, exec_lo
	v_and_b32_e32 v61, 0x7f, v27
	v_cmpx_ne_u32_e32 0x7f, v61
	s_cbranch_execz .LBB339_112
; %bb.109:                              ;   in Loop: Header=BB339_13 Depth=1
	v_and_b32_e32 v27, 7, v27
	v_lshrrev_b32_e32 v39, 3, v61
	s_mov_b32 s52, exec_lo
	v_cmpx_gt_u32_e32 8, v61
; %bb.110:                              ;   in Loop: Header=BB339_13 Depth=1
	v_ffbh_u32_e32 v39, v27
	v_min_u32_e32 v39, 32, v39
	v_subrev_nc_u32_e32 v59, 28, v39
	v_sub_nc_u32_e32 v39, 29, v39
	v_lshlrev_b64 v[61:62], v59, v[27:28]
	v_and_b32_e32 v27, 7, v61
; %bb.111:                              ;   in Loop: Header=BB339_13 Depth=1
	s_or_b32 exec_lo, exec_lo, s52
	v_lshlrev_b32_e32 v35, 16, v35
	v_lshlrev_b32_e32 v27, 20, v27
	v_lshl_add_u32 v39, v39, 23, 0x3c000000
	v_and_b32_e32 v35, 0x80000000, v35
	v_or3_b32 v59, v27, v35, v39
.LBB339_112:                            ;   in Loop: Header=BB339_13 Depth=1
	s_or_b32 exec_lo, exec_lo, s51
.LBB339_113:                            ;   in Loop: Header=BB339_13 Depth=1
	s_or_b32 exec_lo, exec_lo, s50
.LBB339_114:                            ;   in Loop: Header=BB339_13 Depth=1
	s_or_b32 exec_lo, exec_lo, s3
	global_load_ushort v27, v[33:34], off offset:384
	v_mov_b32_e32 v61, 0
	v_mov_b32_e32 v62, 0
	s_waitcnt vmcnt(0)
	v_and_b32_e32 v35, 0xffff, v27
	v_cmp_ne_u16_sdwa s2, v27, v28 src0_sel:BYTE_0 src1_sel:DWORD
	s_and_saveexec_b32 s3, s2
	s_cbranch_execz .LBB339_122
; %bb.115:                              ;   in Loop: Header=BB339_13 Depth=1
	v_cmp_ne_u16_sdwa s2, v35, v42 src0_sel:BYTE_0 src1_sel:DWORD
	v_bfrev_b32_e32 v62, 1
	s_and_saveexec_b32 s50, s2
	s_cbranch_execz .LBB339_121
; %bb.116:                              ;   in Loop: Header=BB339_13 Depth=1
	v_and_b32_e32 v63, 0x7f, v35
	v_mov_b32_e32 v62, 0x7f800001
	s_mov_b32 s51, exec_lo
	v_cmpx_ne_u32_e32 0x7f, v63
	s_cbranch_execz .LBB339_120
; %bb.117:                              ;   in Loop: Header=BB339_13 Depth=1
	v_and_b32_e32 v27, 7, v35
	v_lshrrev_b32_e32 v39, 3, v63
	s_mov_b32 s52, exec_lo
	v_cmpx_gt_u32_e32 8, v63
; %bb.118:                              ;   in Loop: Header=BB339_13 Depth=1
	v_ffbh_u32_e32 v39, v27
	v_min_u32_e32 v39, 32, v39
	v_subrev_nc_u32_e32 v62, 28, v39
	v_sub_nc_u32_e32 v39, 29, v39
	v_lshlrev_b64 v[62:63], v62, v[27:28]
	v_and_b32_e32 v27, 7, v62
; %bb.119:                              ;   in Loop: Header=BB339_13 Depth=1
	s_or_b32 exec_lo, exec_lo, s52
	v_lshlrev_b32_e32 v62, 24, v35
	v_lshlrev_b32_e32 v27, 20, v27
	v_lshl_add_u32 v39, v39, 23, 0x3c000000
	v_and_b32_e32 v62, 0x80000000, v62
	v_or3_b32 v62, v27, v62, v39
.LBB339_120:                            ;   in Loop: Header=BB339_13 Depth=1
	s_or_b32 exec_lo, exec_lo, s51
.LBB339_121:                            ;   in Loop: Header=BB339_13 Depth=1
	s_or_b32 exec_lo, exec_lo, s50
.LBB339_122:                            ;   in Loop: Header=BB339_13 Depth=1
	s_or_b32 exec_lo, exec_lo, s3
	v_cmp_ne_u16_sdwa s2, v35, v28 src0_sel:BYTE_1 src1_sel:DWORD
	s_and_saveexec_b32 s3, s2
	s_cbranch_execz .LBB339_130
; %bb.123:                              ;   in Loop: Header=BB339_13 Depth=1
	v_cmp_ne_u16_sdwa s2, v35, v42 src0_sel:BYTE_1 src1_sel:DWORD
	v_bfrev_b32_e32 v61, 1
	s_and_saveexec_b32 s50, s2
	s_cbranch_execz .LBB339_129
; %bb.124:                              ;   in Loop: Header=BB339_13 Depth=1
	v_and_b32_sdwa v27, v43, v35 dst_sel:DWORD dst_unused:UNUSED_PAD src0_sel:DWORD src1_sel:BYTE_1
	v_mov_b32_e32 v61, 0x7f800001
	s_mov_b32 s51, exec_lo
	v_and_b32_e32 v63, 0x7f, v27
	v_cmpx_ne_u32_e32 0x7f, v63
	s_cbranch_execz .LBB339_128
; %bb.125:                              ;   in Loop: Header=BB339_13 Depth=1
	v_and_b32_e32 v27, 7, v27
	v_lshrrev_b32_e32 v39, 3, v63
	s_mov_b32 s52, exec_lo
	v_cmpx_gt_u32_e32 8, v63
; %bb.126:                              ;   in Loop: Header=BB339_13 Depth=1
	v_ffbh_u32_e32 v39, v27
	v_min_u32_e32 v39, 32, v39
	v_subrev_nc_u32_e32 v61, 28, v39
	v_sub_nc_u32_e32 v39, 29, v39
	v_lshlrev_b64 v[63:64], v61, v[27:28]
	v_and_b32_e32 v27, 7, v63
; %bb.127:                              ;   in Loop: Header=BB339_13 Depth=1
	s_or_b32 exec_lo, exec_lo, s52
	v_lshlrev_b32_e32 v35, 16, v35
	v_lshlrev_b32_e32 v27, 20, v27
	v_lshl_add_u32 v39, v39, 23, 0x3c000000
	v_and_b32_e32 v35, 0x80000000, v35
	v_or3_b32 v61, v27, v35, v39
.LBB339_128:                            ;   in Loop: Header=BB339_13 Depth=1
	s_or_b32 exec_lo, exec_lo, s51
.LBB339_129:                            ;   in Loop: Header=BB339_13 Depth=1
	s_or_b32 exec_lo, exec_lo, s50
.LBB339_130:                            ;   in Loop: Header=BB339_13 Depth=1
	s_or_b32 exec_lo, exec_lo, s3
	global_load_ushort v27, v[33:34], off offset:392
	v_mov_b32_e32 v63, 0
	v_mov_b32_e32 v64, 0
	s_waitcnt vmcnt(0)
	v_and_b32_e32 v35, 0xffff, v27
	v_cmp_ne_u16_sdwa s2, v27, v28 src0_sel:BYTE_0 src1_sel:DWORD
	s_and_saveexec_b32 s3, s2
	s_cbranch_execz .LBB339_138
; %bb.131:                              ;   in Loop: Header=BB339_13 Depth=1
	v_cmp_ne_u16_sdwa s2, v35, v42 src0_sel:BYTE_0 src1_sel:DWORD
	v_bfrev_b32_e32 v64, 1
	s_and_saveexec_b32 s50, s2
	s_cbranch_execz .LBB339_137
; %bb.132:                              ;   in Loop: Header=BB339_13 Depth=1
	v_and_b32_e32 v65, 0x7f, v35
	v_mov_b32_e32 v64, 0x7f800001
	s_mov_b32 s51, exec_lo
	v_cmpx_ne_u32_e32 0x7f, v65
	s_cbranch_execz .LBB339_136
; %bb.133:                              ;   in Loop: Header=BB339_13 Depth=1
	v_and_b32_e32 v27, 7, v35
	v_lshrrev_b32_e32 v39, 3, v65
	s_mov_b32 s52, exec_lo
	v_cmpx_gt_u32_e32 8, v65
; %bb.134:                              ;   in Loop: Header=BB339_13 Depth=1
	v_ffbh_u32_e32 v39, v27
	v_min_u32_e32 v39, 32, v39
	v_subrev_nc_u32_e32 v64, 28, v39
	v_sub_nc_u32_e32 v39, 29, v39
	v_lshlrev_b64 v[64:65], v64, v[27:28]
	v_and_b32_e32 v27, 7, v64
; %bb.135:                              ;   in Loop: Header=BB339_13 Depth=1
	s_or_b32 exec_lo, exec_lo, s52
	v_lshlrev_b32_e32 v64, 24, v35
	v_lshlrev_b32_e32 v27, 20, v27
	v_lshl_add_u32 v39, v39, 23, 0x3c000000
	v_and_b32_e32 v64, 0x80000000, v64
	v_or3_b32 v64, v27, v64, v39
.LBB339_136:                            ;   in Loop: Header=BB339_13 Depth=1
	s_or_b32 exec_lo, exec_lo, s51
.LBB339_137:                            ;   in Loop: Header=BB339_13 Depth=1
	s_or_b32 exec_lo, exec_lo, s50
.LBB339_138:                            ;   in Loop: Header=BB339_13 Depth=1
	s_or_b32 exec_lo, exec_lo, s3
	v_cmp_ne_u16_sdwa s2, v35, v28 src0_sel:BYTE_1 src1_sel:DWORD
	s_and_saveexec_b32 s3, s2
	s_cbranch_execz .LBB339_146
; %bb.139:                              ;   in Loop: Header=BB339_13 Depth=1
	v_cmp_ne_u16_sdwa s2, v35, v42 src0_sel:BYTE_1 src1_sel:DWORD
	v_bfrev_b32_e32 v63, 1
	s_and_saveexec_b32 s50, s2
	s_cbranch_execz .LBB339_145
; %bb.140:                              ;   in Loop: Header=BB339_13 Depth=1
	v_and_b32_sdwa v27, v43, v35 dst_sel:DWORD dst_unused:UNUSED_PAD src0_sel:DWORD src1_sel:BYTE_1
	v_mov_b32_e32 v63, 0x7f800001
	s_mov_b32 s51, exec_lo
	v_and_b32_e32 v65, 0x7f, v27
	v_cmpx_ne_u32_e32 0x7f, v65
	s_cbranch_execz .LBB339_144
; %bb.141:                              ;   in Loop: Header=BB339_13 Depth=1
	v_and_b32_e32 v27, 7, v27
	v_lshrrev_b32_e32 v39, 3, v65
	s_mov_b32 s52, exec_lo
	v_cmpx_gt_u32_e32 8, v65
; %bb.142:                              ;   in Loop: Header=BB339_13 Depth=1
	v_ffbh_u32_e32 v39, v27
	v_min_u32_e32 v39, 32, v39
	v_subrev_nc_u32_e32 v63, 28, v39
	v_sub_nc_u32_e32 v39, 29, v39
	v_lshlrev_b64 v[65:66], v63, v[27:28]
	v_and_b32_e32 v27, 7, v65
; %bb.143:                              ;   in Loop: Header=BB339_13 Depth=1
	s_or_b32 exec_lo, exec_lo, s52
	v_lshlrev_b32_e32 v35, 16, v35
	v_lshlrev_b32_e32 v27, 20, v27
	v_lshl_add_u32 v39, v39, 23, 0x3c000000
	v_and_b32_e32 v35, 0x80000000, v35
	v_or3_b32 v63, v27, v35, v39
.LBB339_144:                            ;   in Loop: Header=BB339_13 Depth=1
	s_or_b32 exec_lo, exec_lo, s51
.LBB339_145:                            ;   in Loop: Header=BB339_13 Depth=1
	s_or_b32 exec_lo, exec_lo, s50
.LBB339_146:                            ;   in Loop: Header=BB339_13 Depth=1
	s_or_b32 exec_lo, exec_lo, s3
	global_load_ushort v27, v[33:34], off offset:512
	v_mov_b32_e32 v65, 0
	v_mov_b32_e32 v66, 0
	s_waitcnt vmcnt(0)
	v_and_b32_e32 v35, 0xffff, v27
	v_cmp_ne_u16_sdwa s2, v27, v28 src0_sel:BYTE_0 src1_sel:DWORD
	s_and_saveexec_b32 s3, s2
	s_cbranch_execz .LBB339_154
; %bb.147:                              ;   in Loop: Header=BB339_13 Depth=1
	v_cmp_ne_u16_sdwa s2, v35, v42 src0_sel:BYTE_0 src1_sel:DWORD
	v_bfrev_b32_e32 v66, 1
	s_and_saveexec_b32 s50, s2
	s_cbranch_execz .LBB339_153
; %bb.148:                              ;   in Loop: Header=BB339_13 Depth=1
	v_and_b32_e32 v67, 0x7f, v35
	v_mov_b32_e32 v66, 0x7f800001
	s_mov_b32 s51, exec_lo
	v_cmpx_ne_u32_e32 0x7f, v67
	s_cbranch_execz .LBB339_152
; %bb.149:                              ;   in Loop: Header=BB339_13 Depth=1
	v_and_b32_e32 v27, 7, v35
	v_lshrrev_b32_e32 v39, 3, v67
	s_mov_b32 s52, exec_lo
	v_cmpx_gt_u32_e32 8, v67
; %bb.150:                              ;   in Loop: Header=BB339_13 Depth=1
	v_ffbh_u32_e32 v39, v27
	v_min_u32_e32 v39, 32, v39
	v_subrev_nc_u32_e32 v66, 28, v39
	v_sub_nc_u32_e32 v39, 29, v39
	v_lshlrev_b64 v[66:67], v66, v[27:28]
	v_and_b32_e32 v27, 7, v66
; %bb.151:                              ;   in Loop: Header=BB339_13 Depth=1
	s_or_b32 exec_lo, exec_lo, s52
	v_lshlrev_b32_e32 v66, 24, v35
	v_lshlrev_b32_e32 v27, 20, v27
	v_lshl_add_u32 v39, v39, 23, 0x3c000000
	v_and_b32_e32 v66, 0x80000000, v66
	v_or3_b32 v66, v27, v66, v39
.LBB339_152:                            ;   in Loop: Header=BB339_13 Depth=1
	s_or_b32 exec_lo, exec_lo, s51
.LBB339_153:                            ;   in Loop: Header=BB339_13 Depth=1
	s_or_b32 exec_lo, exec_lo, s50
.LBB339_154:                            ;   in Loop: Header=BB339_13 Depth=1
	s_or_b32 exec_lo, exec_lo, s3
	v_cmp_ne_u16_sdwa s2, v35, v28 src0_sel:BYTE_1 src1_sel:DWORD
	s_and_saveexec_b32 s3, s2
	s_cbranch_execz .LBB339_162
; %bb.155:                              ;   in Loop: Header=BB339_13 Depth=1
	v_cmp_ne_u16_sdwa s2, v35, v42 src0_sel:BYTE_1 src1_sel:DWORD
	v_bfrev_b32_e32 v65, 1
	s_and_saveexec_b32 s50, s2
	s_cbranch_execz .LBB339_161
; %bb.156:                              ;   in Loop: Header=BB339_13 Depth=1
	v_and_b32_sdwa v27, v43, v35 dst_sel:DWORD dst_unused:UNUSED_PAD src0_sel:DWORD src1_sel:BYTE_1
	v_mov_b32_e32 v65, 0x7f800001
	s_mov_b32 s51, exec_lo
	v_and_b32_e32 v67, 0x7f, v27
	v_cmpx_ne_u32_e32 0x7f, v67
	s_cbranch_execz .LBB339_160
; %bb.157:                              ;   in Loop: Header=BB339_13 Depth=1
	v_and_b32_e32 v27, 7, v27
	v_lshrrev_b32_e32 v39, 3, v67
	s_mov_b32 s52, exec_lo
	v_cmpx_gt_u32_e32 8, v67
; %bb.158:                              ;   in Loop: Header=BB339_13 Depth=1
	v_ffbh_u32_e32 v39, v27
	v_min_u32_e32 v39, 32, v39
	v_subrev_nc_u32_e32 v65, 28, v39
	v_sub_nc_u32_e32 v39, 29, v39
	v_lshlrev_b64 v[67:68], v65, v[27:28]
	v_and_b32_e32 v27, 7, v67
; %bb.159:                              ;   in Loop: Header=BB339_13 Depth=1
	s_or_b32 exec_lo, exec_lo, s52
	v_lshlrev_b32_e32 v35, 16, v35
	v_lshlrev_b32_e32 v27, 20, v27
	v_lshl_add_u32 v39, v39, 23, 0x3c000000
	v_and_b32_e32 v35, 0x80000000, v35
	v_or3_b32 v65, v27, v35, v39
.LBB339_160:                            ;   in Loop: Header=BB339_13 Depth=1
	s_or_b32 exec_lo, exec_lo, s51
.LBB339_161:                            ;   in Loop: Header=BB339_13 Depth=1
	s_or_b32 exec_lo, exec_lo, s50
.LBB339_162:                            ;   in Loop: Header=BB339_13 Depth=1
	s_or_b32 exec_lo, exec_lo, s3
	global_load_ushort v27, v[33:34], off offset:520
	v_mov_b32_e32 v67, 0
	v_mov_b32_e32 v68, 0
	s_waitcnt vmcnt(0)
	v_and_b32_e32 v35, 0xffff, v27
	v_cmp_ne_u16_sdwa s2, v27, v28 src0_sel:BYTE_0 src1_sel:DWORD
	s_and_saveexec_b32 s3, s2
	s_cbranch_execz .LBB339_170
; %bb.163:                              ;   in Loop: Header=BB339_13 Depth=1
	v_cmp_ne_u16_sdwa s2, v35, v42 src0_sel:BYTE_0 src1_sel:DWORD
	v_bfrev_b32_e32 v68, 1
	s_and_saveexec_b32 s50, s2
	s_cbranch_execz .LBB339_169
; %bb.164:                              ;   in Loop: Header=BB339_13 Depth=1
	v_and_b32_e32 v69, 0x7f, v35
	v_mov_b32_e32 v68, 0x7f800001
	s_mov_b32 s51, exec_lo
	v_cmpx_ne_u32_e32 0x7f, v69
	s_cbranch_execz .LBB339_168
; %bb.165:                              ;   in Loop: Header=BB339_13 Depth=1
	v_and_b32_e32 v27, 7, v35
	v_lshrrev_b32_e32 v39, 3, v69
	s_mov_b32 s52, exec_lo
	v_cmpx_gt_u32_e32 8, v69
; %bb.166:                              ;   in Loop: Header=BB339_13 Depth=1
	v_ffbh_u32_e32 v39, v27
	v_min_u32_e32 v39, 32, v39
	v_subrev_nc_u32_e32 v68, 28, v39
	v_sub_nc_u32_e32 v39, 29, v39
	v_lshlrev_b64 v[68:69], v68, v[27:28]
	v_and_b32_e32 v27, 7, v68
; %bb.167:                              ;   in Loop: Header=BB339_13 Depth=1
	s_or_b32 exec_lo, exec_lo, s52
	v_lshlrev_b32_e32 v68, 24, v35
	v_lshlrev_b32_e32 v27, 20, v27
	v_lshl_add_u32 v39, v39, 23, 0x3c000000
	v_and_b32_e32 v68, 0x80000000, v68
	v_or3_b32 v68, v27, v68, v39
.LBB339_168:                            ;   in Loop: Header=BB339_13 Depth=1
	s_or_b32 exec_lo, exec_lo, s51
.LBB339_169:                            ;   in Loop: Header=BB339_13 Depth=1
	s_or_b32 exec_lo, exec_lo, s50
.LBB339_170:                            ;   in Loop: Header=BB339_13 Depth=1
	s_or_b32 exec_lo, exec_lo, s3
	v_cmp_ne_u16_sdwa s2, v35, v28 src0_sel:BYTE_1 src1_sel:DWORD
	s_and_saveexec_b32 s3, s2
	s_cbranch_execz .LBB339_178
; %bb.171:                              ;   in Loop: Header=BB339_13 Depth=1
	v_cmp_ne_u16_sdwa s2, v35, v42 src0_sel:BYTE_1 src1_sel:DWORD
	v_bfrev_b32_e32 v67, 1
	s_and_saveexec_b32 s50, s2
	s_cbranch_execz .LBB339_177
; %bb.172:                              ;   in Loop: Header=BB339_13 Depth=1
	v_and_b32_sdwa v27, v43, v35 dst_sel:DWORD dst_unused:UNUSED_PAD src0_sel:DWORD src1_sel:BYTE_1
	v_mov_b32_e32 v67, 0x7f800001
	s_mov_b32 s51, exec_lo
	v_and_b32_e32 v69, 0x7f, v27
	v_cmpx_ne_u32_e32 0x7f, v69
	s_cbranch_execz .LBB339_176
; %bb.173:                              ;   in Loop: Header=BB339_13 Depth=1
	v_and_b32_e32 v27, 7, v27
	v_lshrrev_b32_e32 v39, 3, v69
	s_mov_b32 s52, exec_lo
	v_cmpx_gt_u32_e32 8, v69
; %bb.174:                              ;   in Loop: Header=BB339_13 Depth=1
	v_ffbh_u32_e32 v39, v27
	v_min_u32_e32 v39, 32, v39
	v_subrev_nc_u32_e32 v67, 28, v39
	v_sub_nc_u32_e32 v39, 29, v39
	v_lshlrev_b64 v[69:70], v67, v[27:28]
	v_and_b32_e32 v27, 7, v69
; %bb.175:                              ;   in Loop: Header=BB339_13 Depth=1
	s_or_b32 exec_lo, exec_lo, s52
	v_lshlrev_b32_e32 v35, 16, v35
	v_lshlrev_b32_e32 v27, 20, v27
	v_lshl_add_u32 v39, v39, 23, 0x3c000000
	v_and_b32_e32 v35, 0x80000000, v35
	v_or3_b32 v67, v27, v35, v39
.LBB339_176:                            ;   in Loop: Header=BB339_13 Depth=1
	s_or_b32 exec_lo, exec_lo, s51
.LBB339_177:                            ;   in Loop: Header=BB339_13 Depth=1
	s_or_b32 exec_lo, exec_lo, s50
.LBB339_178:                            ;   in Loop: Header=BB339_13 Depth=1
	s_or_b32 exec_lo, exec_lo, s3
	global_load_ushort v27, v[33:34], off offset:640
	v_mov_b32_e32 v69, 0
	v_mov_b32_e32 v70, 0
	s_waitcnt vmcnt(0)
	v_and_b32_e32 v35, 0xffff, v27
	v_cmp_ne_u16_sdwa s2, v27, v28 src0_sel:BYTE_0 src1_sel:DWORD
	s_and_saveexec_b32 s3, s2
	s_cbranch_execz .LBB339_186
; %bb.179:                              ;   in Loop: Header=BB339_13 Depth=1
	v_cmp_ne_u16_sdwa s2, v35, v42 src0_sel:BYTE_0 src1_sel:DWORD
	v_bfrev_b32_e32 v70, 1
	s_and_saveexec_b32 s50, s2
	s_cbranch_execz .LBB339_185
; %bb.180:                              ;   in Loop: Header=BB339_13 Depth=1
	v_and_b32_e32 v71, 0x7f, v35
	v_mov_b32_e32 v70, 0x7f800001
	s_mov_b32 s51, exec_lo
	v_cmpx_ne_u32_e32 0x7f, v71
	s_cbranch_execz .LBB339_184
; %bb.181:                              ;   in Loop: Header=BB339_13 Depth=1
	v_and_b32_e32 v27, 7, v35
	v_lshrrev_b32_e32 v39, 3, v71
	s_mov_b32 s52, exec_lo
	v_cmpx_gt_u32_e32 8, v71
; %bb.182:                              ;   in Loop: Header=BB339_13 Depth=1
	v_ffbh_u32_e32 v39, v27
	v_min_u32_e32 v39, 32, v39
	v_subrev_nc_u32_e32 v70, 28, v39
	v_sub_nc_u32_e32 v39, 29, v39
	v_lshlrev_b64 v[70:71], v70, v[27:28]
	v_and_b32_e32 v27, 7, v70
; %bb.183:                              ;   in Loop: Header=BB339_13 Depth=1
	s_or_b32 exec_lo, exec_lo, s52
	v_lshlrev_b32_e32 v70, 24, v35
	v_lshlrev_b32_e32 v27, 20, v27
	v_lshl_add_u32 v39, v39, 23, 0x3c000000
	v_and_b32_e32 v70, 0x80000000, v70
	v_or3_b32 v70, v27, v70, v39
.LBB339_184:                            ;   in Loop: Header=BB339_13 Depth=1
	s_or_b32 exec_lo, exec_lo, s51
.LBB339_185:                            ;   in Loop: Header=BB339_13 Depth=1
	s_or_b32 exec_lo, exec_lo, s50
.LBB339_186:                            ;   in Loop: Header=BB339_13 Depth=1
	s_or_b32 exec_lo, exec_lo, s3
	v_cmp_ne_u16_sdwa s2, v35, v28 src0_sel:BYTE_1 src1_sel:DWORD
	s_and_saveexec_b32 s3, s2
	s_cbranch_execz .LBB339_194
; %bb.187:                              ;   in Loop: Header=BB339_13 Depth=1
	v_cmp_ne_u16_sdwa s2, v35, v42 src0_sel:BYTE_1 src1_sel:DWORD
	v_bfrev_b32_e32 v69, 1
	s_and_saveexec_b32 s50, s2
	s_cbranch_execz .LBB339_193
; %bb.188:                              ;   in Loop: Header=BB339_13 Depth=1
	v_and_b32_sdwa v27, v43, v35 dst_sel:DWORD dst_unused:UNUSED_PAD src0_sel:DWORD src1_sel:BYTE_1
	v_mov_b32_e32 v69, 0x7f800001
	s_mov_b32 s51, exec_lo
	v_and_b32_e32 v71, 0x7f, v27
	v_cmpx_ne_u32_e32 0x7f, v71
	s_cbranch_execz .LBB339_192
; %bb.189:                              ;   in Loop: Header=BB339_13 Depth=1
	v_and_b32_e32 v27, 7, v27
	v_lshrrev_b32_e32 v39, 3, v71
	s_mov_b32 s52, exec_lo
	v_cmpx_gt_u32_e32 8, v71
; %bb.190:                              ;   in Loop: Header=BB339_13 Depth=1
	v_ffbh_u32_e32 v39, v27
	v_min_u32_e32 v39, 32, v39
	v_subrev_nc_u32_e32 v69, 28, v39
	v_sub_nc_u32_e32 v39, 29, v39
	v_lshlrev_b64 v[71:72], v69, v[27:28]
	v_and_b32_e32 v27, 7, v71
; %bb.191:                              ;   in Loop: Header=BB339_13 Depth=1
	s_or_b32 exec_lo, exec_lo, s52
	v_lshlrev_b32_e32 v35, 16, v35
	v_lshlrev_b32_e32 v27, 20, v27
	v_lshl_add_u32 v39, v39, 23, 0x3c000000
	v_and_b32_e32 v35, 0x80000000, v35
	v_or3_b32 v69, v27, v35, v39
.LBB339_192:                            ;   in Loop: Header=BB339_13 Depth=1
	s_or_b32 exec_lo, exec_lo, s51
.LBB339_193:                            ;   in Loop: Header=BB339_13 Depth=1
	s_or_b32 exec_lo, exec_lo, s50
.LBB339_194:                            ;   in Loop: Header=BB339_13 Depth=1
	s_or_b32 exec_lo, exec_lo, s3
	global_load_ushort v27, v[33:34], off offset:648
	v_mov_b32_e32 v71, 0
	v_mov_b32_e32 v72, 0
	s_waitcnt vmcnt(0)
	v_and_b32_e32 v35, 0xffff, v27
	v_cmp_ne_u16_sdwa s2, v27, v28 src0_sel:BYTE_0 src1_sel:DWORD
	s_and_saveexec_b32 s3, s2
	s_cbranch_execz .LBB339_202
; %bb.195:                              ;   in Loop: Header=BB339_13 Depth=1
	v_cmp_ne_u16_sdwa s2, v35, v42 src0_sel:BYTE_0 src1_sel:DWORD
	v_bfrev_b32_e32 v72, 1
	s_and_saveexec_b32 s50, s2
	s_cbranch_execz .LBB339_201
; %bb.196:                              ;   in Loop: Header=BB339_13 Depth=1
	v_and_b32_e32 v73, 0x7f, v35
	v_mov_b32_e32 v72, 0x7f800001
	s_mov_b32 s51, exec_lo
	v_cmpx_ne_u32_e32 0x7f, v73
	s_cbranch_execz .LBB339_200
; %bb.197:                              ;   in Loop: Header=BB339_13 Depth=1
	v_and_b32_e32 v27, 7, v35
	v_lshrrev_b32_e32 v39, 3, v73
	s_mov_b32 s52, exec_lo
	v_cmpx_gt_u32_e32 8, v73
; %bb.198:                              ;   in Loop: Header=BB339_13 Depth=1
	v_ffbh_u32_e32 v39, v27
	v_min_u32_e32 v39, 32, v39
	v_subrev_nc_u32_e32 v72, 28, v39
	v_sub_nc_u32_e32 v39, 29, v39
	v_lshlrev_b64 v[72:73], v72, v[27:28]
	v_and_b32_e32 v27, 7, v72
; %bb.199:                              ;   in Loop: Header=BB339_13 Depth=1
	s_or_b32 exec_lo, exec_lo, s52
	v_lshlrev_b32_e32 v72, 24, v35
	v_lshlrev_b32_e32 v27, 20, v27
	v_lshl_add_u32 v39, v39, 23, 0x3c000000
	v_and_b32_e32 v72, 0x80000000, v72
	v_or3_b32 v72, v27, v72, v39
.LBB339_200:                            ;   in Loop: Header=BB339_13 Depth=1
	s_or_b32 exec_lo, exec_lo, s51
.LBB339_201:                            ;   in Loop: Header=BB339_13 Depth=1
	s_or_b32 exec_lo, exec_lo, s50
.LBB339_202:                            ;   in Loop: Header=BB339_13 Depth=1
	s_or_b32 exec_lo, exec_lo, s3
	v_cmp_ne_u16_sdwa s2, v35, v28 src0_sel:BYTE_1 src1_sel:DWORD
	s_and_saveexec_b32 s3, s2
	s_cbranch_execz .LBB339_210
; %bb.203:                              ;   in Loop: Header=BB339_13 Depth=1
	v_cmp_ne_u16_sdwa s2, v35, v42 src0_sel:BYTE_1 src1_sel:DWORD
	v_bfrev_b32_e32 v71, 1
	s_and_saveexec_b32 s50, s2
	s_cbranch_execz .LBB339_209
; %bb.204:                              ;   in Loop: Header=BB339_13 Depth=1
	v_and_b32_sdwa v27, v43, v35 dst_sel:DWORD dst_unused:UNUSED_PAD src0_sel:DWORD src1_sel:BYTE_1
	v_mov_b32_e32 v71, 0x7f800001
	s_mov_b32 s51, exec_lo
	v_and_b32_e32 v73, 0x7f, v27
	v_cmpx_ne_u32_e32 0x7f, v73
	s_cbranch_execz .LBB339_208
; %bb.205:                              ;   in Loop: Header=BB339_13 Depth=1
	v_and_b32_e32 v27, 7, v27
	v_lshrrev_b32_e32 v39, 3, v73
	s_mov_b32 s52, exec_lo
	v_cmpx_gt_u32_e32 8, v73
; %bb.206:                              ;   in Loop: Header=BB339_13 Depth=1
	v_ffbh_u32_e32 v39, v27
	v_min_u32_e32 v39, 32, v39
	v_subrev_nc_u32_e32 v71, 28, v39
	v_sub_nc_u32_e32 v39, 29, v39
	v_lshlrev_b64 v[73:74], v71, v[27:28]
	v_and_b32_e32 v27, 7, v73
; %bb.207:                              ;   in Loop: Header=BB339_13 Depth=1
	s_or_b32 exec_lo, exec_lo, s52
	v_lshlrev_b32_e32 v35, 16, v35
	v_lshlrev_b32_e32 v27, 20, v27
	v_lshl_add_u32 v39, v39, 23, 0x3c000000
	v_and_b32_e32 v35, 0x80000000, v35
	v_or3_b32 v71, v27, v35, v39
.LBB339_208:                            ;   in Loop: Header=BB339_13 Depth=1
	s_or_b32 exec_lo, exec_lo, s51
.LBB339_209:                            ;   in Loop: Header=BB339_13 Depth=1
	s_or_b32 exec_lo, exec_lo, s50
.LBB339_210:                            ;   in Loop: Header=BB339_13 Depth=1
	s_or_b32 exec_lo, exec_lo, s3
	global_load_ushort v27, v[33:34], off offset:768
	v_mov_b32_e32 v73, 0
	v_mov_b32_e32 v74, 0
	s_waitcnt vmcnt(0)
	v_and_b32_e32 v35, 0xffff, v27
	v_cmp_ne_u16_sdwa s2, v27, v28 src0_sel:BYTE_0 src1_sel:DWORD
	s_and_saveexec_b32 s3, s2
	s_cbranch_execz .LBB339_218
; %bb.211:                              ;   in Loop: Header=BB339_13 Depth=1
	v_cmp_ne_u16_sdwa s2, v35, v42 src0_sel:BYTE_0 src1_sel:DWORD
	v_bfrev_b32_e32 v74, 1
	s_and_saveexec_b32 s50, s2
	s_cbranch_execz .LBB339_217
; %bb.212:                              ;   in Loop: Header=BB339_13 Depth=1
	v_and_b32_e32 v75, 0x7f, v35
	v_mov_b32_e32 v74, 0x7f800001
	s_mov_b32 s51, exec_lo
	v_cmpx_ne_u32_e32 0x7f, v75
	s_cbranch_execz .LBB339_216
; %bb.213:                              ;   in Loop: Header=BB339_13 Depth=1
	v_and_b32_e32 v27, 7, v35
	v_lshrrev_b32_e32 v39, 3, v75
	s_mov_b32 s52, exec_lo
	v_cmpx_gt_u32_e32 8, v75
; %bb.214:                              ;   in Loop: Header=BB339_13 Depth=1
	v_ffbh_u32_e32 v39, v27
	v_min_u32_e32 v39, 32, v39
	v_subrev_nc_u32_e32 v74, 28, v39
	v_sub_nc_u32_e32 v39, 29, v39
	v_lshlrev_b64 v[74:75], v74, v[27:28]
	v_and_b32_e32 v27, 7, v74
; %bb.215:                              ;   in Loop: Header=BB339_13 Depth=1
	s_or_b32 exec_lo, exec_lo, s52
	v_lshlrev_b32_e32 v74, 24, v35
	v_lshlrev_b32_e32 v27, 20, v27
	v_lshl_add_u32 v39, v39, 23, 0x3c000000
	v_and_b32_e32 v74, 0x80000000, v74
	v_or3_b32 v74, v27, v74, v39
.LBB339_216:                            ;   in Loop: Header=BB339_13 Depth=1
	s_or_b32 exec_lo, exec_lo, s51
.LBB339_217:                            ;   in Loop: Header=BB339_13 Depth=1
	s_or_b32 exec_lo, exec_lo, s50
.LBB339_218:                            ;   in Loop: Header=BB339_13 Depth=1
	s_or_b32 exec_lo, exec_lo, s3
	v_cmp_ne_u16_sdwa s2, v35, v28 src0_sel:BYTE_1 src1_sel:DWORD
	s_and_saveexec_b32 s3, s2
	s_cbranch_execz .LBB339_226
; %bb.219:                              ;   in Loop: Header=BB339_13 Depth=1
	v_cmp_ne_u16_sdwa s2, v35, v42 src0_sel:BYTE_1 src1_sel:DWORD
	v_bfrev_b32_e32 v73, 1
	s_and_saveexec_b32 s50, s2
	s_cbranch_execz .LBB339_225
; %bb.220:                              ;   in Loop: Header=BB339_13 Depth=1
	v_and_b32_sdwa v27, v43, v35 dst_sel:DWORD dst_unused:UNUSED_PAD src0_sel:DWORD src1_sel:BYTE_1
	v_mov_b32_e32 v73, 0x7f800001
	s_mov_b32 s51, exec_lo
	v_and_b32_e32 v75, 0x7f, v27
	v_cmpx_ne_u32_e32 0x7f, v75
	s_cbranch_execz .LBB339_224
; %bb.221:                              ;   in Loop: Header=BB339_13 Depth=1
	v_and_b32_e32 v27, 7, v27
	v_lshrrev_b32_e32 v39, 3, v75
	s_mov_b32 s52, exec_lo
	v_cmpx_gt_u32_e32 8, v75
; %bb.222:                              ;   in Loop: Header=BB339_13 Depth=1
	v_ffbh_u32_e32 v39, v27
	v_min_u32_e32 v39, 32, v39
	v_subrev_nc_u32_e32 v73, 28, v39
	v_sub_nc_u32_e32 v39, 29, v39
	v_lshlrev_b64 v[75:76], v73, v[27:28]
	v_and_b32_e32 v27, 7, v75
; %bb.223:                              ;   in Loop: Header=BB339_13 Depth=1
	s_or_b32 exec_lo, exec_lo, s52
	v_lshlrev_b32_e32 v35, 16, v35
	v_lshlrev_b32_e32 v27, 20, v27
	v_lshl_add_u32 v39, v39, 23, 0x3c000000
	v_and_b32_e32 v35, 0x80000000, v35
	v_or3_b32 v73, v27, v35, v39
.LBB339_224:                            ;   in Loop: Header=BB339_13 Depth=1
	s_or_b32 exec_lo, exec_lo, s51
.LBB339_225:                            ;   in Loop: Header=BB339_13 Depth=1
	s_or_b32 exec_lo, exec_lo, s50
.LBB339_226:                            ;   in Loop: Header=BB339_13 Depth=1
	s_or_b32 exec_lo, exec_lo, s3
	global_load_ushort v27, v[33:34], off offset:776
	v_mov_b32_e32 v75, 0
	v_mov_b32_e32 v76, 0
	s_waitcnt vmcnt(0)
	v_and_b32_e32 v35, 0xffff, v27
	v_cmp_ne_u16_sdwa s2, v27, v28 src0_sel:BYTE_0 src1_sel:DWORD
	s_and_saveexec_b32 s3, s2
	s_cbranch_execz .LBB339_234
; %bb.227:                              ;   in Loop: Header=BB339_13 Depth=1
	v_cmp_ne_u16_sdwa s2, v35, v42 src0_sel:BYTE_0 src1_sel:DWORD
	v_bfrev_b32_e32 v76, 1
	s_and_saveexec_b32 s50, s2
	s_cbranch_execz .LBB339_233
; %bb.228:                              ;   in Loop: Header=BB339_13 Depth=1
	v_and_b32_e32 v77, 0x7f, v35
	v_mov_b32_e32 v76, 0x7f800001
	s_mov_b32 s51, exec_lo
	v_cmpx_ne_u32_e32 0x7f, v77
	s_cbranch_execz .LBB339_232
; %bb.229:                              ;   in Loop: Header=BB339_13 Depth=1
	v_and_b32_e32 v27, 7, v35
	v_lshrrev_b32_e32 v39, 3, v77
	s_mov_b32 s52, exec_lo
	v_cmpx_gt_u32_e32 8, v77
; %bb.230:                              ;   in Loop: Header=BB339_13 Depth=1
	v_ffbh_u32_e32 v39, v27
	v_min_u32_e32 v39, 32, v39
	v_subrev_nc_u32_e32 v76, 28, v39
	v_sub_nc_u32_e32 v39, 29, v39
	v_lshlrev_b64 v[76:77], v76, v[27:28]
	v_and_b32_e32 v27, 7, v76
; %bb.231:                              ;   in Loop: Header=BB339_13 Depth=1
	s_or_b32 exec_lo, exec_lo, s52
	v_lshlrev_b32_e32 v76, 24, v35
	v_lshlrev_b32_e32 v27, 20, v27
	v_lshl_add_u32 v39, v39, 23, 0x3c000000
	v_and_b32_e32 v76, 0x80000000, v76
	v_or3_b32 v76, v27, v76, v39
.LBB339_232:                            ;   in Loop: Header=BB339_13 Depth=1
	s_or_b32 exec_lo, exec_lo, s51
.LBB339_233:                            ;   in Loop: Header=BB339_13 Depth=1
	s_or_b32 exec_lo, exec_lo, s50
.LBB339_234:                            ;   in Loop: Header=BB339_13 Depth=1
	s_or_b32 exec_lo, exec_lo, s3
	v_cmp_ne_u16_sdwa s2, v35, v28 src0_sel:BYTE_1 src1_sel:DWORD
	s_and_saveexec_b32 s3, s2
	s_cbranch_execz .LBB339_242
; %bb.235:                              ;   in Loop: Header=BB339_13 Depth=1
	v_cmp_ne_u16_sdwa s2, v35, v42 src0_sel:BYTE_1 src1_sel:DWORD
	v_bfrev_b32_e32 v75, 1
	s_and_saveexec_b32 s50, s2
	s_cbranch_execz .LBB339_241
; %bb.236:                              ;   in Loop: Header=BB339_13 Depth=1
	v_and_b32_sdwa v27, v43, v35 dst_sel:DWORD dst_unused:UNUSED_PAD src0_sel:DWORD src1_sel:BYTE_1
	v_mov_b32_e32 v75, 0x7f800001
	s_mov_b32 s51, exec_lo
	v_and_b32_e32 v77, 0x7f, v27
	v_cmpx_ne_u32_e32 0x7f, v77
	s_cbranch_execz .LBB339_240
; %bb.237:                              ;   in Loop: Header=BB339_13 Depth=1
	v_and_b32_e32 v27, 7, v27
	v_lshrrev_b32_e32 v39, 3, v77
	s_mov_b32 s52, exec_lo
	v_cmpx_gt_u32_e32 8, v77
; %bb.238:                              ;   in Loop: Header=BB339_13 Depth=1
	v_ffbh_u32_e32 v39, v27
	v_min_u32_e32 v39, 32, v39
	v_subrev_nc_u32_e32 v75, 28, v39
	v_sub_nc_u32_e32 v39, 29, v39
	v_lshlrev_b64 v[77:78], v75, v[27:28]
	v_and_b32_e32 v27, 7, v77
; %bb.239:                              ;   in Loop: Header=BB339_13 Depth=1
	s_or_b32 exec_lo, exec_lo, s52
	v_lshlrev_b32_e32 v35, 16, v35
	v_lshlrev_b32_e32 v27, 20, v27
	v_lshl_add_u32 v39, v39, 23, 0x3c000000
	v_and_b32_e32 v35, 0x80000000, v35
	v_or3_b32 v75, v27, v35, v39
.LBB339_240:                            ;   in Loop: Header=BB339_13 Depth=1
	s_or_b32 exec_lo, exec_lo, s51
.LBB339_241:                            ;   in Loop: Header=BB339_13 Depth=1
	s_or_b32 exec_lo, exec_lo, s50
.LBB339_242:                            ;   in Loop: Header=BB339_13 Depth=1
	s_or_b32 exec_lo, exec_lo, s3
	global_load_ushort v27, v[33:34], off offset:896
	v_mov_b32_e32 v77, 0
	v_mov_b32_e32 v78, 0
	s_waitcnt vmcnt(0)
	v_and_b32_e32 v35, 0xffff, v27
	v_cmp_ne_u16_sdwa s2, v27, v28 src0_sel:BYTE_0 src1_sel:DWORD
	s_and_saveexec_b32 s3, s2
	s_cbranch_execz .LBB339_250
; %bb.243:                              ;   in Loop: Header=BB339_13 Depth=1
	v_cmp_ne_u16_sdwa s2, v35, v42 src0_sel:BYTE_0 src1_sel:DWORD
	v_bfrev_b32_e32 v78, 1
	s_and_saveexec_b32 s50, s2
	s_cbranch_execz .LBB339_249
; %bb.244:                              ;   in Loop: Header=BB339_13 Depth=1
	v_and_b32_e32 v79, 0x7f, v35
	v_mov_b32_e32 v78, 0x7f800001
	s_mov_b32 s51, exec_lo
	v_cmpx_ne_u32_e32 0x7f, v79
	s_cbranch_execz .LBB339_248
; %bb.245:                              ;   in Loop: Header=BB339_13 Depth=1
	v_and_b32_e32 v27, 7, v35
	v_lshrrev_b32_e32 v39, 3, v79
	s_mov_b32 s52, exec_lo
	v_cmpx_gt_u32_e32 8, v79
; %bb.246:                              ;   in Loop: Header=BB339_13 Depth=1
	v_ffbh_u32_e32 v39, v27
	v_min_u32_e32 v39, 32, v39
	v_subrev_nc_u32_e32 v78, 28, v39
	v_sub_nc_u32_e32 v39, 29, v39
	v_lshlrev_b64 v[78:79], v78, v[27:28]
	v_and_b32_e32 v27, 7, v78
; %bb.247:                              ;   in Loop: Header=BB339_13 Depth=1
	s_or_b32 exec_lo, exec_lo, s52
	v_lshlrev_b32_e32 v78, 24, v35
	v_lshlrev_b32_e32 v27, 20, v27
	v_lshl_add_u32 v39, v39, 23, 0x3c000000
	v_and_b32_e32 v78, 0x80000000, v78
	v_or3_b32 v78, v27, v78, v39
.LBB339_248:                            ;   in Loop: Header=BB339_13 Depth=1
	s_or_b32 exec_lo, exec_lo, s51
.LBB339_249:                            ;   in Loop: Header=BB339_13 Depth=1
	s_or_b32 exec_lo, exec_lo, s50
.LBB339_250:                            ;   in Loop: Header=BB339_13 Depth=1
	s_or_b32 exec_lo, exec_lo, s3
	v_cmp_ne_u16_sdwa s2, v35, v28 src0_sel:BYTE_1 src1_sel:DWORD
	s_and_saveexec_b32 s3, s2
	s_cbranch_execz .LBB339_258
; %bb.251:                              ;   in Loop: Header=BB339_13 Depth=1
	v_cmp_ne_u16_sdwa s2, v35, v42 src0_sel:BYTE_1 src1_sel:DWORD
	v_bfrev_b32_e32 v77, 1
	s_and_saveexec_b32 s50, s2
	s_cbranch_execz .LBB339_257
; %bb.252:                              ;   in Loop: Header=BB339_13 Depth=1
	v_and_b32_sdwa v27, v43, v35 dst_sel:DWORD dst_unused:UNUSED_PAD src0_sel:DWORD src1_sel:BYTE_1
	v_mov_b32_e32 v77, 0x7f800001
	s_mov_b32 s51, exec_lo
	v_and_b32_e32 v79, 0x7f, v27
	v_cmpx_ne_u32_e32 0x7f, v79
	s_cbranch_execz .LBB339_256
; %bb.253:                              ;   in Loop: Header=BB339_13 Depth=1
	v_and_b32_e32 v27, 7, v27
	v_lshrrev_b32_e32 v39, 3, v79
	s_mov_b32 s52, exec_lo
	v_cmpx_gt_u32_e32 8, v79
; %bb.254:                              ;   in Loop: Header=BB339_13 Depth=1
	v_ffbh_u32_e32 v39, v27
	v_min_u32_e32 v39, 32, v39
	v_subrev_nc_u32_e32 v77, 28, v39
	v_sub_nc_u32_e32 v39, 29, v39
	v_lshlrev_b64 v[79:80], v77, v[27:28]
	v_and_b32_e32 v27, 7, v79
; %bb.255:                              ;   in Loop: Header=BB339_13 Depth=1
	s_or_b32 exec_lo, exec_lo, s52
	v_lshlrev_b32_e32 v35, 16, v35
	v_lshlrev_b32_e32 v27, 20, v27
	v_lshl_add_u32 v39, v39, 23, 0x3c000000
	v_and_b32_e32 v35, 0x80000000, v35
	v_or3_b32 v77, v27, v35, v39
.LBB339_256:                            ;   in Loop: Header=BB339_13 Depth=1
	s_or_b32 exec_lo, exec_lo, s51
.LBB339_257:                            ;   in Loop: Header=BB339_13 Depth=1
	s_or_b32 exec_lo, exec_lo, s50
.LBB339_258:                            ;   in Loop: Header=BB339_13 Depth=1
	s_or_b32 exec_lo, exec_lo, s3
	global_load_ushort v27, v[33:34], off offset:904
	v_mov_b32_e32 v79, 0
	v_mov_b32_e32 v80, 0
	s_waitcnt vmcnt(0)
	v_and_b32_e32 v35, 0xffff, v27
	v_cmp_ne_u16_sdwa s2, v27, v28 src0_sel:BYTE_0 src1_sel:DWORD
	s_and_saveexec_b32 s3, s2
	s_cbranch_execz .LBB339_266
; %bb.259:                              ;   in Loop: Header=BB339_13 Depth=1
	v_cmp_ne_u16_sdwa s2, v35, v42 src0_sel:BYTE_0 src1_sel:DWORD
	v_bfrev_b32_e32 v80, 1
	s_and_saveexec_b32 s50, s2
	s_cbranch_execz .LBB339_265
; %bb.260:                              ;   in Loop: Header=BB339_13 Depth=1
	v_and_b32_e32 v81, 0x7f, v35
	v_mov_b32_e32 v80, 0x7f800001
	s_mov_b32 s51, exec_lo
	v_cmpx_ne_u32_e32 0x7f, v81
	s_cbranch_execz .LBB339_264
; %bb.261:                              ;   in Loop: Header=BB339_13 Depth=1
	v_and_b32_e32 v27, 7, v35
	v_lshrrev_b32_e32 v39, 3, v81
	s_mov_b32 s52, exec_lo
	v_cmpx_gt_u32_e32 8, v81
; %bb.262:                              ;   in Loop: Header=BB339_13 Depth=1
	v_ffbh_u32_e32 v39, v27
	v_min_u32_e32 v39, 32, v39
	v_subrev_nc_u32_e32 v80, 28, v39
	v_sub_nc_u32_e32 v39, 29, v39
	v_lshlrev_b64 v[80:81], v80, v[27:28]
	v_and_b32_e32 v27, 7, v80
; %bb.263:                              ;   in Loop: Header=BB339_13 Depth=1
	s_or_b32 exec_lo, exec_lo, s52
	v_lshlrev_b32_e32 v80, 24, v35
	v_lshlrev_b32_e32 v27, 20, v27
	v_lshl_add_u32 v39, v39, 23, 0x3c000000
	v_and_b32_e32 v80, 0x80000000, v80
	v_or3_b32 v80, v27, v80, v39
.LBB339_264:                            ;   in Loop: Header=BB339_13 Depth=1
	s_or_b32 exec_lo, exec_lo, s51
.LBB339_265:                            ;   in Loop: Header=BB339_13 Depth=1
	s_or_b32 exec_lo, exec_lo, s50
.LBB339_266:                            ;   in Loop: Header=BB339_13 Depth=1
	s_or_b32 exec_lo, exec_lo, s3
	v_cmp_ne_u16_sdwa s2, v35, v28 src0_sel:BYTE_1 src1_sel:DWORD
	s_and_saveexec_b32 s3, s2
	s_cbranch_execz .LBB339_274
; %bb.267:                              ;   in Loop: Header=BB339_13 Depth=1
	v_cmp_ne_u16_sdwa s2, v35, v42 src0_sel:BYTE_1 src1_sel:DWORD
	v_bfrev_b32_e32 v79, 1
	s_and_saveexec_b32 s50, s2
	s_cbranch_execz .LBB339_273
; %bb.268:                              ;   in Loop: Header=BB339_13 Depth=1
	v_and_b32_sdwa v27, v43, v35 dst_sel:DWORD dst_unused:UNUSED_PAD src0_sel:DWORD src1_sel:BYTE_1
	v_mov_b32_e32 v79, 0x7f800001
	s_mov_b32 s51, exec_lo
	v_and_b32_e32 v81, 0x7f, v27
	v_cmpx_ne_u32_e32 0x7f, v81
	s_cbranch_execz .LBB339_272
; %bb.269:                              ;   in Loop: Header=BB339_13 Depth=1
	v_and_b32_e32 v27, 7, v27
	v_lshrrev_b32_e32 v39, 3, v81
	s_mov_b32 s52, exec_lo
	v_cmpx_gt_u32_e32 8, v81
; %bb.270:                              ;   in Loop: Header=BB339_13 Depth=1
	v_ffbh_u32_e32 v39, v27
	v_min_u32_e32 v39, 32, v39
	v_subrev_nc_u32_e32 v79, 28, v39
	v_sub_nc_u32_e32 v39, 29, v39
	v_lshlrev_b64 v[81:82], v79, v[27:28]
	v_and_b32_e32 v27, 7, v81
; %bb.271:                              ;   in Loop: Header=BB339_13 Depth=1
	s_or_b32 exec_lo, exec_lo, s52
	v_lshlrev_b32_e32 v35, 16, v35
	v_lshlrev_b32_e32 v27, 20, v27
	v_lshl_add_u32 v39, v39, 23, 0x3c000000
	v_and_b32_e32 v35, 0x80000000, v35
	v_or3_b32 v79, v27, v35, v39
.LBB339_272:                            ;   in Loop: Header=BB339_13 Depth=1
	s_or_b32 exec_lo, exec_lo, s51
.LBB339_273:                            ;   in Loop: Header=BB339_13 Depth=1
	s_or_b32 exec_lo, exec_lo, s50
.LBB339_274:                            ;   in Loop: Header=BB339_13 Depth=1
	s_or_b32 exec_lo, exec_lo, s3
	global_load_ushort v27, v[33:34], off offset:1024
	v_mov_b32_e32 v81, 0
	v_mov_b32_e32 v82, 0
	s_waitcnt vmcnt(0)
	v_and_b32_e32 v35, 0xffff, v27
	v_cmp_ne_u16_sdwa s2, v27, v28 src0_sel:BYTE_0 src1_sel:DWORD
	s_and_saveexec_b32 s3, s2
	s_cbranch_execz .LBB339_282
; %bb.275:                              ;   in Loop: Header=BB339_13 Depth=1
	v_cmp_ne_u16_sdwa s2, v35, v42 src0_sel:BYTE_0 src1_sel:DWORD
	v_bfrev_b32_e32 v82, 1
	s_and_saveexec_b32 s50, s2
	s_cbranch_execz .LBB339_281
; %bb.276:                              ;   in Loop: Header=BB339_13 Depth=1
	v_and_b32_e32 v83, 0x7f, v35
	v_mov_b32_e32 v82, 0x7f800001
	s_mov_b32 s51, exec_lo
	v_cmpx_ne_u32_e32 0x7f, v83
	s_cbranch_execz .LBB339_280
; %bb.277:                              ;   in Loop: Header=BB339_13 Depth=1
	v_and_b32_e32 v27, 7, v35
	v_lshrrev_b32_e32 v39, 3, v83
	s_mov_b32 s52, exec_lo
	v_cmpx_gt_u32_e32 8, v83
; %bb.278:                              ;   in Loop: Header=BB339_13 Depth=1
	v_ffbh_u32_e32 v39, v27
	v_min_u32_e32 v39, 32, v39
	v_subrev_nc_u32_e32 v82, 28, v39
	v_sub_nc_u32_e32 v39, 29, v39
	v_lshlrev_b64 v[82:83], v82, v[27:28]
	v_and_b32_e32 v27, 7, v82
; %bb.279:                              ;   in Loop: Header=BB339_13 Depth=1
	s_or_b32 exec_lo, exec_lo, s52
	v_lshlrev_b32_e32 v82, 24, v35
	v_lshlrev_b32_e32 v27, 20, v27
	v_lshl_add_u32 v39, v39, 23, 0x3c000000
	v_and_b32_e32 v82, 0x80000000, v82
	v_or3_b32 v82, v27, v82, v39
.LBB339_280:                            ;   in Loop: Header=BB339_13 Depth=1
	s_or_b32 exec_lo, exec_lo, s51
.LBB339_281:                            ;   in Loop: Header=BB339_13 Depth=1
	s_or_b32 exec_lo, exec_lo, s50
.LBB339_282:                            ;   in Loop: Header=BB339_13 Depth=1
	s_or_b32 exec_lo, exec_lo, s3
	v_cmp_ne_u16_sdwa s2, v35, v28 src0_sel:BYTE_1 src1_sel:DWORD
	s_and_saveexec_b32 s3, s2
	s_cbranch_execz .LBB339_290
; %bb.283:                              ;   in Loop: Header=BB339_13 Depth=1
	v_cmp_ne_u16_sdwa s2, v35, v42 src0_sel:BYTE_1 src1_sel:DWORD
	v_bfrev_b32_e32 v81, 1
	s_and_saveexec_b32 s50, s2
	s_cbranch_execz .LBB339_289
; %bb.284:                              ;   in Loop: Header=BB339_13 Depth=1
	v_and_b32_sdwa v27, v43, v35 dst_sel:DWORD dst_unused:UNUSED_PAD src0_sel:DWORD src1_sel:BYTE_1
	v_mov_b32_e32 v81, 0x7f800001
	s_mov_b32 s51, exec_lo
	v_and_b32_e32 v83, 0x7f, v27
	v_cmpx_ne_u32_e32 0x7f, v83
	s_cbranch_execz .LBB339_288
; %bb.285:                              ;   in Loop: Header=BB339_13 Depth=1
	v_and_b32_e32 v27, 7, v27
	v_lshrrev_b32_e32 v39, 3, v83
	s_mov_b32 s52, exec_lo
	v_cmpx_gt_u32_e32 8, v83
; %bb.286:                              ;   in Loop: Header=BB339_13 Depth=1
	v_ffbh_u32_e32 v39, v27
	v_min_u32_e32 v39, 32, v39
	v_subrev_nc_u32_e32 v81, 28, v39
	v_sub_nc_u32_e32 v39, 29, v39
	v_lshlrev_b64 v[83:84], v81, v[27:28]
	v_and_b32_e32 v27, 7, v83
; %bb.287:                              ;   in Loop: Header=BB339_13 Depth=1
	s_or_b32 exec_lo, exec_lo, s52
	v_lshlrev_b32_e32 v35, 16, v35
	v_lshlrev_b32_e32 v27, 20, v27
	v_lshl_add_u32 v39, v39, 23, 0x3c000000
	v_and_b32_e32 v35, 0x80000000, v35
	v_or3_b32 v81, v27, v35, v39
.LBB339_288:                            ;   in Loop: Header=BB339_13 Depth=1
	s_or_b32 exec_lo, exec_lo, s51
.LBB339_289:                            ;   in Loop: Header=BB339_13 Depth=1
	s_or_b32 exec_lo, exec_lo, s50
.LBB339_290:                            ;   in Loop: Header=BB339_13 Depth=1
	s_or_b32 exec_lo, exec_lo, s3
	global_load_ushort v27, v[33:34], off offset:1032
	v_mov_b32_e32 v83, 0
	v_mov_b32_e32 v84, 0
	s_waitcnt vmcnt(0)
	v_and_b32_e32 v35, 0xffff, v27
	v_cmp_ne_u16_sdwa s2, v27, v28 src0_sel:BYTE_0 src1_sel:DWORD
	s_and_saveexec_b32 s3, s2
	s_cbranch_execz .LBB339_298
; %bb.291:                              ;   in Loop: Header=BB339_13 Depth=1
	v_cmp_ne_u16_sdwa s2, v35, v42 src0_sel:BYTE_0 src1_sel:DWORD
	v_bfrev_b32_e32 v84, 1
	s_and_saveexec_b32 s50, s2
	s_cbranch_execz .LBB339_297
; %bb.292:                              ;   in Loop: Header=BB339_13 Depth=1
	v_and_b32_e32 v85, 0x7f, v35
	v_mov_b32_e32 v84, 0x7f800001
	s_mov_b32 s51, exec_lo
	v_cmpx_ne_u32_e32 0x7f, v85
	s_cbranch_execz .LBB339_296
; %bb.293:                              ;   in Loop: Header=BB339_13 Depth=1
	v_and_b32_e32 v27, 7, v35
	v_lshrrev_b32_e32 v39, 3, v85
	s_mov_b32 s52, exec_lo
	v_cmpx_gt_u32_e32 8, v85
; %bb.294:                              ;   in Loop: Header=BB339_13 Depth=1
	v_ffbh_u32_e32 v39, v27
	v_min_u32_e32 v39, 32, v39
	v_subrev_nc_u32_e32 v84, 28, v39
	v_sub_nc_u32_e32 v39, 29, v39
	v_lshlrev_b64 v[84:85], v84, v[27:28]
	v_and_b32_e32 v27, 7, v84
; %bb.295:                              ;   in Loop: Header=BB339_13 Depth=1
	s_or_b32 exec_lo, exec_lo, s52
	v_lshlrev_b32_e32 v84, 24, v35
	v_lshlrev_b32_e32 v27, 20, v27
	v_lshl_add_u32 v39, v39, 23, 0x3c000000
	v_and_b32_e32 v84, 0x80000000, v84
	v_or3_b32 v84, v27, v84, v39
.LBB339_296:                            ;   in Loop: Header=BB339_13 Depth=1
	s_or_b32 exec_lo, exec_lo, s51
.LBB339_297:                            ;   in Loop: Header=BB339_13 Depth=1
	s_or_b32 exec_lo, exec_lo, s50
.LBB339_298:                            ;   in Loop: Header=BB339_13 Depth=1
	s_or_b32 exec_lo, exec_lo, s3
	v_cmp_ne_u16_sdwa s2, v35, v28 src0_sel:BYTE_1 src1_sel:DWORD
	s_and_saveexec_b32 s3, s2
	s_cbranch_execz .LBB339_306
; %bb.299:                              ;   in Loop: Header=BB339_13 Depth=1
	v_cmp_ne_u16_sdwa s2, v35, v42 src0_sel:BYTE_1 src1_sel:DWORD
	v_bfrev_b32_e32 v83, 1
	s_and_saveexec_b32 s50, s2
	s_cbranch_execz .LBB339_305
; %bb.300:                              ;   in Loop: Header=BB339_13 Depth=1
	v_and_b32_sdwa v27, v43, v35 dst_sel:DWORD dst_unused:UNUSED_PAD src0_sel:DWORD src1_sel:BYTE_1
	v_mov_b32_e32 v83, 0x7f800001
	s_mov_b32 s51, exec_lo
	v_and_b32_e32 v85, 0x7f, v27
	v_cmpx_ne_u32_e32 0x7f, v85
	s_cbranch_execz .LBB339_304
; %bb.301:                              ;   in Loop: Header=BB339_13 Depth=1
	v_and_b32_e32 v27, 7, v27
	v_lshrrev_b32_e32 v39, 3, v85
	s_mov_b32 s52, exec_lo
	v_cmpx_gt_u32_e32 8, v85
; %bb.302:                              ;   in Loop: Header=BB339_13 Depth=1
	v_ffbh_u32_e32 v39, v27
	v_min_u32_e32 v39, 32, v39
	v_subrev_nc_u32_e32 v83, 28, v39
	v_sub_nc_u32_e32 v39, 29, v39
	v_lshlrev_b64 v[85:86], v83, v[27:28]
	v_and_b32_e32 v27, 7, v85
; %bb.303:                              ;   in Loop: Header=BB339_13 Depth=1
	s_or_b32 exec_lo, exec_lo, s52
	v_lshlrev_b32_e32 v35, 16, v35
	v_lshlrev_b32_e32 v27, 20, v27
	v_lshl_add_u32 v39, v39, 23, 0x3c000000
	v_and_b32_e32 v35, 0x80000000, v35
	v_or3_b32 v83, v27, v35, v39
.LBB339_304:                            ;   in Loop: Header=BB339_13 Depth=1
	s_or_b32 exec_lo, exec_lo, s51
.LBB339_305:                            ;   in Loop: Header=BB339_13 Depth=1
	s_or_b32 exec_lo, exec_lo, s50
.LBB339_306:                            ;   in Loop: Header=BB339_13 Depth=1
	s_or_b32 exec_lo, exec_lo, s3
	global_load_ushort v27, v[33:34], off offset:1152
	v_mov_b32_e32 v85, 0
	v_mov_b32_e32 v86, 0
	s_waitcnt vmcnt(0)
	v_and_b32_e32 v35, 0xffff, v27
	v_cmp_ne_u16_sdwa s2, v27, v28 src0_sel:BYTE_0 src1_sel:DWORD
	s_and_saveexec_b32 s3, s2
	s_cbranch_execz .LBB339_314
; %bb.307:                              ;   in Loop: Header=BB339_13 Depth=1
	v_cmp_ne_u16_sdwa s2, v35, v42 src0_sel:BYTE_0 src1_sel:DWORD
	v_bfrev_b32_e32 v86, 1
	s_and_saveexec_b32 s50, s2
	s_cbranch_execz .LBB339_313
; %bb.308:                              ;   in Loop: Header=BB339_13 Depth=1
	v_and_b32_e32 v87, 0x7f, v35
	v_mov_b32_e32 v86, 0x7f800001
	s_mov_b32 s51, exec_lo
	v_cmpx_ne_u32_e32 0x7f, v87
	s_cbranch_execz .LBB339_312
; %bb.309:                              ;   in Loop: Header=BB339_13 Depth=1
	v_and_b32_e32 v27, 7, v35
	v_lshrrev_b32_e32 v39, 3, v87
	s_mov_b32 s52, exec_lo
	v_cmpx_gt_u32_e32 8, v87
; %bb.310:                              ;   in Loop: Header=BB339_13 Depth=1
	v_ffbh_u32_e32 v39, v27
	v_min_u32_e32 v39, 32, v39
	v_subrev_nc_u32_e32 v86, 28, v39
	v_sub_nc_u32_e32 v39, 29, v39
	v_lshlrev_b64 v[86:87], v86, v[27:28]
	v_and_b32_e32 v27, 7, v86
; %bb.311:                              ;   in Loop: Header=BB339_13 Depth=1
	s_or_b32 exec_lo, exec_lo, s52
	v_lshlrev_b32_e32 v86, 24, v35
	v_lshlrev_b32_e32 v27, 20, v27
	v_lshl_add_u32 v39, v39, 23, 0x3c000000
	v_and_b32_e32 v86, 0x80000000, v86
	v_or3_b32 v86, v27, v86, v39
.LBB339_312:                            ;   in Loop: Header=BB339_13 Depth=1
	s_or_b32 exec_lo, exec_lo, s51
.LBB339_313:                            ;   in Loop: Header=BB339_13 Depth=1
	s_or_b32 exec_lo, exec_lo, s50
.LBB339_314:                            ;   in Loop: Header=BB339_13 Depth=1
	s_or_b32 exec_lo, exec_lo, s3
	v_cmp_ne_u16_sdwa s2, v35, v28 src0_sel:BYTE_1 src1_sel:DWORD
	s_and_saveexec_b32 s3, s2
	s_cbranch_execz .LBB339_322
; %bb.315:                              ;   in Loop: Header=BB339_13 Depth=1
	v_cmp_ne_u16_sdwa s2, v35, v42 src0_sel:BYTE_1 src1_sel:DWORD
	v_bfrev_b32_e32 v85, 1
	s_and_saveexec_b32 s50, s2
	s_cbranch_execz .LBB339_321
; %bb.316:                              ;   in Loop: Header=BB339_13 Depth=1
	v_and_b32_sdwa v27, v43, v35 dst_sel:DWORD dst_unused:UNUSED_PAD src0_sel:DWORD src1_sel:BYTE_1
	v_mov_b32_e32 v85, 0x7f800001
	s_mov_b32 s51, exec_lo
	v_and_b32_e32 v87, 0x7f, v27
	v_cmpx_ne_u32_e32 0x7f, v87
	s_cbranch_execz .LBB339_320
; %bb.317:                              ;   in Loop: Header=BB339_13 Depth=1
	v_and_b32_e32 v27, 7, v27
	v_lshrrev_b32_e32 v39, 3, v87
	s_mov_b32 s52, exec_lo
	v_cmpx_gt_u32_e32 8, v87
; %bb.318:                              ;   in Loop: Header=BB339_13 Depth=1
	v_ffbh_u32_e32 v39, v27
	v_min_u32_e32 v39, 32, v39
	v_subrev_nc_u32_e32 v85, 28, v39
	v_sub_nc_u32_e32 v39, 29, v39
	v_lshlrev_b64 v[87:88], v85, v[27:28]
	v_and_b32_e32 v27, 7, v87
; %bb.319:                              ;   in Loop: Header=BB339_13 Depth=1
	s_or_b32 exec_lo, exec_lo, s52
	v_lshlrev_b32_e32 v35, 16, v35
	v_lshlrev_b32_e32 v27, 20, v27
	v_lshl_add_u32 v39, v39, 23, 0x3c000000
	v_and_b32_e32 v35, 0x80000000, v35
	v_or3_b32 v85, v27, v35, v39
.LBB339_320:                            ;   in Loop: Header=BB339_13 Depth=1
	s_or_b32 exec_lo, exec_lo, s51
.LBB339_321:                            ;   in Loop: Header=BB339_13 Depth=1
	s_or_b32 exec_lo, exec_lo, s50
.LBB339_322:                            ;   in Loop: Header=BB339_13 Depth=1
	s_or_b32 exec_lo, exec_lo, s3
	global_load_ushort v27, v[33:34], off offset:1160
	v_mov_b32_e32 v87, 0
	v_mov_b32_e32 v88, 0
	s_waitcnt vmcnt(0)
	v_and_b32_e32 v35, 0xffff, v27
	v_cmp_ne_u16_sdwa s2, v27, v28 src0_sel:BYTE_0 src1_sel:DWORD
	s_and_saveexec_b32 s3, s2
	s_cbranch_execz .LBB339_330
; %bb.323:                              ;   in Loop: Header=BB339_13 Depth=1
	v_cmp_ne_u16_sdwa s2, v35, v42 src0_sel:BYTE_0 src1_sel:DWORD
	v_bfrev_b32_e32 v88, 1
	s_and_saveexec_b32 s50, s2
	s_cbranch_execz .LBB339_329
; %bb.324:                              ;   in Loop: Header=BB339_13 Depth=1
	v_and_b32_e32 v89, 0x7f, v35
	v_mov_b32_e32 v88, 0x7f800001
	s_mov_b32 s51, exec_lo
	v_cmpx_ne_u32_e32 0x7f, v89
	s_cbranch_execz .LBB339_328
; %bb.325:                              ;   in Loop: Header=BB339_13 Depth=1
	v_and_b32_e32 v27, 7, v35
	v_lshrrev_b32_e32 v39, 3, v89
	s_mov_b32 s52, exec_lo
	v_cmpx_gt_u32_e32 8, v89
; %bb.326:                              ;   in Loop: Header=BB339_13 Depth=1
	v_ffbh_u32_e32 v39, v27
	v_min_u32_e32 v39, 32, v39
	v_subrev_nc_u32_e32 v88, 28, v39
	v_sub_nc_u32_e32 v39, 29, v39
	v_lshlrev_b64 v[88:89], v88, v[27:28]
	v_and_b32_e32 v27, 7, v88
; %bb.327:                              ;   in Loop: Header=BB339_13 Depth=1
	s_or_b32 exec_lo, exec_lo, s52
	v_lshlrev_b32_e32 v88, 24, v35
	v_lshlrev_b32_e32 v27, 20, v27
	v_lshl_add_u32 v39, v39, 23, 0x3c000000
	v_and_b32_e32 v88, 0x80000000, v88
	v_or3_b32 v88, v27, v88, v39
.LBB339_328:                            ;   in Loop: Header=BB339_13 Depth=1
	s_or_b32 exec_lo, exec_lo, s51
.LBB339_329:                            ;   in Loop: Header=BB339_13 Depth=1
	s_or_b32 exec_lo, exec_lo, s50
.LBB339_330:                            ;   in Loop: Header=BB339_13 Depth=1
	s_or_b32 exec_lo, exec_lo, s3
	v_cmp_ne_u16_sdwa s2, v35, v28 src0_sel:BYTE_1 src1_sel:DWORD
	s_and_saveexec_b32 s3, s2
	s_cbranch_execz .LBB339_338
; %bb.331:                              ;   in Loop: Header=BB339_13 Depth=1
	v_cmp_ne_u16_sdwa s2, v35, v42 src0_sel:BYTE_1 src1_sel:DWORD
	v_bfrev_b32_e32 v87, 1
	s_and_saveexec_b32 s50, s2
	s_cbranch_execz .LBB339_337
; %bb.332:                              ;   in Loop: Header=BB339_13 Depth=1
	v_and_b32_sdwa v27, v43, v35 dst_sel:DWORD dst_unused:UNUSED_PAD src0_sel:DWORD src1_sel:BYTE_1
	v_mov_b32_e32 v87, 0x7f800001
	s_mov_b32 s51, exec_lo
	v_and_b32_e32 v89, 0x7f, v27
	v_cmpx_ne_u32_e32 0x7f, v89
	s_cbranch_execz .LBB339_336
; %bb.333:                              ;   in Loop: Header=BB339_13 Depth=1
	v_and_b32_e32 v27, 7, v27
	v_lshrrev_b32_e32 v39, 3, v89
	s_mov_b32 s52, exec_lo
	v_cmpx_gt_u32_e32 8, v89
; %bb.334:                              ;   in Loop: Header=BB339_13 Depth=1
	v_ffbh_u32_e32 v39, v27
	v_min_u32_e32 v39, 32, v39
	v_subrev_nc_u32_e32 v87, 28, v39
	v_sub_nc_u32_e32 v39, 29, v39
	v_lshlrev_b64 v[89:90], v87, v[27:28]
	v_and_b32_e32 v27, 7, v89
; %bb.335:                              ;   in Loop: Header=BB339_13 Depth=1
	s_or_b32 exec_lo, exec_lo, s52
	v_lshlrev_b32_e32 v35, 16, v35
	v_lshlrev_b32_e32 v27, 20, v27
	v_lshl_add_u32 v39, v39, 23, 0x3c000000
	v_and_b32_e32 v35, 0x80000000, v35
	v_or3_b32 v87, v27, v35, v39
.LBB339_336:                            ;   in Loop: Header=BB339_13 Depth=1
	s_or_b32 exec_lo, exec_lo, s51
.LBB339_337:                            ;   in Loop: Header=BB339_13 Depth=1
	s_or_b32 exec_lo, exec_lo, s50
.LBB339_338:                            ;   in Loop: Header=BB339_13 Depth=1
	s_or_b32 exec_lo, exec_lo, s3
	global_load_ushort v27, v[33:34], off offset:1280
	v_mov_b32_e32 v89, 0
	v_mov_b32_e32 v90, 0
	s_waitcnt vmcnt(0)
	v_and_b32_e32 v35, 0xffff, v27
	v_cmp_ne_u16_sdwa s2, v27, v28 src0_sel:BYTE_0 src1_sel:DWORD
	s_and_saveexec_b32 s3, s2
	s_cbranch_execz .LBB339_346
; %bb.339:                              ;   in Loop: Header=BB339_13 Depth=1
	v_cmp_ne_u16_sdwa s2, v35, v42 src0_sel:BYTE_0 src1_sel:DWORD
	v_bfrev_b32_e32 v90, 1
	s_and_saveexec_b32 s50, s2
	s_cbranch_execz .LBB339_345
; %bb.340:                              ;   in Loop: Header=BB339_13 Depth=1
	v_and_b32_e32 v91, 0x7f, v35
	v_mov_b32_e32 v90, 0x7f800001
	s_mov_b32 s51, exec_lo
	v_cmpx_ne_u32_e32 0x7f, v91
	s_cbranch_execz .LBB339_344
; %bb.341:                              ;   in Loop: Header=BB339_13 Depth=1
	v_and_b32_e32 v27, 7, v35
	v_lshrrev_b32_e32 v39, 3, v91
	s_mov_b32 s52, exec_lo
	v_cmpx_gt_u32_e32 8, v91
; %bb.342:                              ;   in Loop: Header=BB339_13 Depth=1
	v_ffbh_u32_e32 v39, v27
	v_min_u32_e32 v39, 32, v39
	v_subrev_nc_u32_e32 v90, 28, v39
	v_sub_nc_u32_e32 v39, 29, v39
	v_lshlrev_b64 v[90:91], v90, v[27:28]
	v_and_b32_e32 v27, 7, v90
; %bb.343:                              ;   in Loop: Header=BB339_13 Depth=1
	s_or_b32 exec_lo, exec_lo, s52
	v_lshlrev_b32_e32 v90, 24, v35
	v_lshlrev_b32_e32 v27, 20, v27
	v_lshl_add_u32 v39, v39, 23, 0x3c000000
	v_and_b32_e32 v90, 0x80000000, v90
	v_or3_b32 v90, v27, v90, v39
.LBB339_344:                            ;   in Loop: Header=BB339_13 Depth=1
	s_or_b32 exec_lo, exec_lo, s51
.LBB339_345:                            ;   in Loop: Header=BB339_13 Depth=1
	s_or_b32 exec_lo, exec_lo, s50
.LBB339_346:                            ;   in Loop: Header=BB339_13 Depth=1
	s_or_b32 exec_lo, exec_lo, s3
	v_cmp_ne_u16_sdwa s2, v35, v28 src0_sel:BYTE_1 src1_sel:DWORD
	s_and_saveexec_b32 s3, s2
	s_cbranch_execz .LBB339_354
; %bb.347:                              ;   in Loop: Header=BB339_13 Depth=1
	v_cmp_ne_u16_sdwa s2, v35, v42 src0_sel:BYTE_1 src1_sel:DWORD
	v_bfrev_b32_e32 v89, 1
	s_and_saveexec_b32 s50, s2
	s_cbranch_execz .LBB339_353
; %bb.348:                              ;   in Loop: Header=BB339_13 Depth=1
	v_and_b32_sdwa v27, v43, v35 dst_sel:DWORD dst_unused:UNUSED_PAD src0_sel:DWORD src1_sel:BYTE_1
	v_mov_b32_e32 v89, 0x7f800001
	s_mov_b32 s51, exec_lo
	v_and_b32_e32 v91, 0x7f, v27
	v_cmpx_ne_u32_e32 0x7f, v91
	s_cbranch_execz .LBB339_352
; %bb.349:                              ;   in Loop: Header=BB339_13 Depth=1
	v_and_b32_e32 v27, 7, v27
	v_lshrrev_b32_e32 v39, 3, v91
	s_mov_b32 s52, exec_lo
	v_cmpx_gt_u32_e32 8, v91
; %bb.350:                              ;   in Loop: Header=BB339_13 Depth=1
	v_ffbh_u32_e32 v39, v27
	v_min_u32_e32 v39, 32, v39
	v_subrev_nc_u32_e32 v89, 28, v39
	v_sub_nc_u32_e32 v39, 29, v39
	v_lshlrev_b64 v[91:92], v89, v[27:28]
	v_and_b32_e32 v27, 7, v91
; %bb.351:                              ;   in Loop: Header=BB339_13 Depth=1
	s_or_b32 exec_lo, exec_lo, s52
	v_lshlrev_b32_e32 v35, 16, v35
	v_lshlrev_b32_e32 v27, 20, v27
	v_lshl_add_u32 v39, v39, 23, 0x3c000000
	v_and_b32_e32 v35, 0x80000000, v35
	v_or3_b32 v89, v27, v35, v39
.LBB339_352:                            ;   in Loop: Header=BB339_13 Depth=1
	s_or_b32 exec_lo, exec_lo, s51
.LBB339_353:                            ;   in Loop: Header=BB339_13 Depth=1
	s_or_b32 exec_lo, exec_lo, s50
.LBB339_354:                            ;   in Loop: Header=BB339_13 Depth=1
	s_or_b32 exec_lo, exec_lo, s3
	global_load_ushort v27, v[33:34], off offset:1288
	v_mov_b32_e32 v91, 0
	v_mov_b32_e32 v92, 0
	s_waitcnt vmcnt(0)
	v_and_b32_e32 v35, 0xffff, v27
	v_cmp_ne_u16_sdwa s2, v27, v28 src0_sel:BYTE_0 src1_sel:DWORD
	s_and_saveexec_b32 s3, s2
	s_cbranch_execz .LBB339_362
; %bb.355:                              ;   in Loop: Header=BB339_13 Depth=1
	v_cmp_ne_u16_sdwa s2, v35, v42 src0_sel:BYTE_0 src1_sel:DWORD
	v_bfrev_b32_e32 v92, 1
	s_and_saveexec_b32 s50, s2
	s_cbranch_execz .LBB339_361
; %bb.356:                              ;   in Loop: Header=BB339_13 Depth=1
	v_and_b32_e32 v93, 0x7f, v35
	v_mov_b32_e32 v92, 0x7f800001
	s_mov_b32 s51, exec_lo
	v_cmpx_ne_u32_e32 0x7f, v93
	s_cbranch_execz .LBB339_360
; %bb.357:                              ;   in Loop: Header=BB339_13 Depth=1
	v_and_b32_e32 v27, 7, v35
	v_lshrrev_b32_e32 v39, 3, v93
	s_mov_b32 s52, exec_lo
	v_cmpx_gt_u32_e32 8, v93
; %bb.358:                              ;   in Loop: Header=BB339_13 Depth=1
	v_ffbh_u32_e32 v39, v27
	v_min_u32_e32 v39, 32, v39
	v_subrev_nc_u32_e32 v92, 28, v39
	v_sub_nc_u32_e32 v39, 29, v39
	v_lshlrev_b64 v[92:93], v92, v[27:28]
	v_and_b32_e32 v27, 7, v92
; %bb.359:                              ;   in Loop: Header=BB339_13 Depth=1
	s_or_b32 exec_lo, exec_lo, s52
	v_lshlrev_b32_e32 v92, 24, v35
	v_lshlrev_b32_e32 v27, 20, v27
	v_lshl_add_u32 v39, v39, 23, 0x3c000000
	v_and_b32_e32 v92, 0x80000000, v92
	v_or3_b32 v92, v27, v92, v39
.LBB339_360:                            ;   in Loop: Header=BB339_13 Depth=1
	s_or_b32 exec_lo, exec_lo, s51
.LBB339_361:                            ;   in Loop: Header=BB339_13 Depth=1
	s_or_b32 exec_lo, exec_lo, s50
.LBB339_362:                            ;   in Loop: Header=BB339_13 Depth=1
	s_or_b32 exec_lo, exec_lo, s3
	v_cmp_ne_u16_sdwa s2, v35, v28 src0_sel:BYTE_1 src1_sel:DWORD
	s_and_saveexec_b32 s3, s2
	s_cbranch_execz .LBB339_370
; %bb.363:                              ;   in Loop: Header=BB339_13 Depth=1
	v_cmp_ne_u16_sdwa s2, v35, v42 src0_sel:BYTE_1 src1_sel:DWORD
	v_bfrev_b32_e32 v91, 1
	s_and_saveexec_b32 s50, s2
	s_cbranch_execz .LBB339_369
; %bb.364:                              ;   in Loop: Header=BB339_13 Depth=1
	v_and_b32_sdwa v27, v43, v35 dst_sel:DWORD dst_unused:UNUSED_PAD src0_sel:DWORD src1_sel:BYTE_1
	v_mov_b32_e32 v91, 0x7f800001
	s_mov_b32 s51, exec_lo
	v_and_b32_e32 v93, 0x7f, v27
	v_cmpx_ne_u32_e32 0x7f, v93
	s_cbranch_execz .LBB339_368
; %bb.365:                              ;   in Loop: Header=BB339_13 Depth=1
	v_and_b32_e32 v27, 7, v27
	v_lshrrev_b32_e32 v39, 3, v93
	s_mov_b32 s52, exec_lo
	v_cmpx_gt_u32_e32 8, v93
; %bb.366:                              ;   in Loop: Header=BB339_13 Depth=1
	v_ffbh_u32_e32 v39, v27
	v_min_u32_e32 v39, 32, v39
	v_subrev_nc_u32_e32 v91, 28, v39
	v_sub_nc_u32_e32 v39, 29, v39
	v_lshlrev_b64 v[93:94], v91, v[27:28]
	v_and_b32_e32 v27, 7, v93
; %bb.367:                              ;   in Loop: Header=BB339_13 Depth=1
	s_or_b32 exec_lo, exec_lo, s52
	v_lshlrev_b32_e32 v35, 16, v35
	v_lshlrev_b32_e32 v27, 20, v27
	v_lshl_add_u32 v39, v39, 23, 0x3c000000
	v_and_b32_e32 v35, 0x80000000, v35
	v_or3_b32 v91, v27, v35, v39
.LBB339_368:                            ;   in Loop: Header=BB339_13 Depth=1
	s_or_b32 exec_lo, exec_lo, s51
.LBB339_369:                            ;   in Loop: Header=BB339_13 Depth=1
	s_or_b32 exec_lo, exec_lo, s50
.LBB339_370:                            ;   in Loop: Header=BB339_13 Depth=1
	s_or_b32 exec_lo, exec_lo, s3
	global_load_ushort v27, v[33:34], off offset:1408
	v_mov_b32_e32 v93, 0
	v_mov_b32_e32 v94, 0
	s_waitcnt vmcnt(0)
	v_and_b32_e32 v35, 0xffff, v27
	v_cmp_ne_u16_sdwa s2, v27, v28 src0_sel:BYTE_0 src1_sel:DWORD
	s_and_saveexec_b32 s3, s2
	s_cbranch_execz .LBB339_378
; %bb.371:                              ;   in Loop: Header=BB339_13 Depth=1
	v_cmp_ne_u16_sdwa s2, v35, v42 src0_sel:BYTE_0 src1_sel:DWORD
	v_bfrev_b32_e32 v94, 1
	s_and_saveexec_b32 s50, s2
	s_cbranch_execz .LBB339_377
; %bb.372:                              ;   in Loop: Header=BB339_13 Depth=1
	v_and_b32_e32 v95, 0x7f, v35
	v_mov_b32_e32 v94, 0x7f800001
	s_mov_b32 s51, exec_lo
	v_cmpx_ne_u32_e32 0x7f, v95
	s_cbranch_execz .LBB339_376
; %bb.373:                              ;   in Loop: Header=BB339_13 Depth=1
	v_and_b32_e32 v27, 7, v35
	v_lshrrev_b32_e32 v39, 3, v95
	s_mov_b32 s52, exec_lo
	v_cmpx_gt_u32_e32 8, v95
; %bb.374:                              ;   in Loop: Header=BB339_13 Depth=1
	v_ffbh_u32_e32 v39, v27
	v_min_u32_e32 v39, 32, v39
	v_subrev_nc_u32_e32 v94, 28, v39
	v_sub_nc_u32_e32 v39, 29, v39
	v_lshlrev_b64 v[94:95], v94, v[27:28]
	v_and_b32_e32 v27, 7, v94
; %bb.375:                              ;   in Loop: Header=BB339_13 Depth=1
	s_or_b32 exec_lo, exec_lo, s52
	v_lshlrev_b32_e32 v94, 24, v35
	v_lshlrev_b32_e32 v27, 20, v27
	v_lshl_add_u32 v39, v39, 23, 0x3c000000
	v_and_b32_e32 v94, 0x80000000, v94
	v_or3_b32 v94, v27, v94, v39
.LBB339_376:                            ;   in Loop: Header=BB339_13 Depth=1
	s_or_b32 exec_lo, exec_lo, s51
.LBB339_377:                            ;   in Loop: Header=BB339_13 Depth=1
	s_or_b32 exec_lo, exec_lo, s50
.LBB339_378:                            ;   in Loop: Header=BB339_13 Depth=1
	s_or_b32 exec_lo, exec_lo, s3
	v_cmp_ne_u16_sdwa s2, v35, v28 src0_sel:BYTE_1 src1_sel:DWORD
	s_and_saveexec_b32 s3, s2
	s_cbranch_execz .LBB339_386
; %bb.379:                              ;   in Loop: Header=BB339_13 Depth=1
	v_cmp_ne_u16_sdwa s2, v35, v42 src0_sel:BYTE_1 src1_sel:DWORD
	v_bfrev_b32_e32 v93, 1
	s_and_saveexec_b32 s50, s2
	s_cbranch_execz .LBB339_385
; %bb.380:                              ;   in Loop: Header=BB339_13 Depth=1
	v_and_b32_sdwa v27, v43, v35 dst_sel:DWORD dst_unused:UNUSED_PAD src0_sel:DWORD src1_sel:BYTE_1
	v_mov_b32_e32 v93, 0x7f800001
	s_mov_b32 s51, exec_lo
	v_and_b32_e32 v95, 0x7f, v27
	v_cmpx_ne_u32_e32 0x7f, v95
	s_cbranch_execz .LBB339_384
; %bb.381:                              ;   in Loop: Header=BB339_13 Depth=1
	v_and_b32_e32 v27, 7, v27
	v_lshrrev_b32_e32 v39, 3, v95
	s_mov_b32 s52, exec_lo
	v_cmpx_gt_u32_e32 8, v95
; %bb.382:                              ;   in Loop: Header=BB339_13 Depth=1
	v_ffbh_u32_e32 v39, v27
	v_min_u32_e32 v39, 32, v39
	v_subrev_nc_u32_e32 v93, 28, v39
	v_sub_nc_u32_e32 v39, 29, v39
	v_lshlrev_b64 v[95:96], v93, v[27:28]
	v_and_b32_e32 v27, 7, v95
; %bb.383:                              ;   in Loop: Header=BB339_13 Depth=1
	s_or_b32 exec_lo, exec_lo, s52
	v_lshlrev_b32_e32 v35, 16, v35
	v_lshlrev_b32_e32 v27, 20, v27
	v_lshl_add_u32 v39, v39, 23, 0x3c000000
	v_and_b32_e32 v35, 0x80000000, v35
	v_or3_b32 v93, v27, v35, v39
.LBB339_384:                            ;   in Loop: Header=BB339_13 Depth=1
	s_or_b32 exec_lo, exec_lo, s51
.LBB339_385:                            ;   in Loop: Header=BB339_13 Depth=1
	s_or_b32 exec_lo, exec_lo, s50
.LBB339_386:                            ;   in Loop: Header=BB339_13 Depth=1
	s_or_b32 exec_lo, exec_lo, s3
	global_load_ushort v27, v[33:34], off offset:1416
	v_mov_b32_e32 v95, 0
	v_mov_b32_e32 v96, 0
	s_waitcnt vmcnt(0)
	v_and_b32_e32 v35, 0xffff, v27
	v_cmp_ne_u16_sdwa s2, v27, v28 src0_sel:BYTE_0 src1_sel:DWORD
	s_and_saveexec_b32 s3, s2
	s_cbranch_execz .LBB339_394
; %bb.387:                              ;   in Loop: Header=BB339_13 Depth=1
	v_cmp_ne_u16_sdwa s2, v35, v42 src0_sel:BYTE_0 src1_sel:DWORD
	v_bfrev_b32_e32 v96, 1
	s_and_saveexec_b32 s50, s2
	s_cbranch_execz .LBB339_393
; %bb.388:                              ;   in Loop: Header=BB339_13 Depth=1
	v_and_b32_e32 v97, 0x7f, v35
	v_mov_b32_e32 v96, 0x7f800001
	s_mov_b32 s51, exec_lo
	v_cmpx_ne_u32_e32 0x7f, v97
	s_cbranch_execz .LBB339_392
; %bb.389:                              ;   in Loop: Header=BB339_13 Depth=1
	v_and_b32_e32 v27, 7, v35
	v_lshrrev_b32_e32 v39, 3, v97
	s_mov_b32 s52, exec_lo
	v_cmpx_gt_u32_e32 8, v97
; %bb.390:                              ;   in Loop: Header=BB339_13 Depth=1
	v_ffbh_u32_e32 v39, v27
	v_min_u32_e32 v39, 32, v39
	v_subrev_nc_u32_e32 v96, 28, v39
	v_sub_nc_u32_e32 v39, 29, v39
	v_lshlrev_b64 v[96:97], v96, v[27:28]
	v_and_b32_e32 v27, 7, v96
; %bb.391:                              ;   in Loop: Header=BB339_13 Depth=1
	s_or_b32 exec_lo, exec_lo, s52
	v_lshlrev_b32_e32 v96, 24, v35
	v_lshlrev_b32_e32 v27, 20, v27
	v_lshl_add_u32 v39, v39, 23, 0x3c000000
	v_and_b32_e32 v96, 0x80000000, v96
	v_or3_b32 v96, v27, v96, v39
.LBB339_392:                            ;   in Loop: Header=BB339_13 Depth=1
	s_or_b32 exec_lo, exec_lo, s51
.LBB339_393:                            ;   in Loop: Header=BB339_13 Depth=1
	s_or_b32 exec_lo, exec_lo, s50
.LBB339_394:                            ;   in Loop: Header=BB339_13 Depth=1
	s_or_b32 exec_lo, exec_lo, s3
	v_cmp_ne_u16_sdwa s2, v35, v28 src0_sel:BYTE_1 src1_sel:DWORD
	s_and_saveexec_b32 s3, s2
	s_cbranch_execz .LBB339_402
; %bb.395:                              ;   in Loop: Header=BB339_13 Depth=1
	v_cmp_ne_u16_sdwa s2, v35, v42 src0_sel:BYTE_1 src1_sel:DWORD
	v_bfrev_b32_e32 v95, 1
	s_and_saveexec_b32 s50, s2
	s_cbranch_execz .LBB339_401
; %bb.396:                              ;   in Loop: Header=BB339_13 Depth=1
	v_and_b32_sdwa v27, v43, v35 dst_sel:DWORD dst_unused:UNUSED_PAD src0_sel:DWORD src1_sel:BYTE_1
	v_mov_b32_e32 v95, 0x7f800001
	s_mov_b32 s51, exec_lo
	v_and_b32_e32 v97, 0x7f, v27
	v_cmpx_ne_u32_e32 0x7f, v97
	s_cbranch_execz .LBB339_400
; %bb.397:                              ;   in Loop: Header=BB339_13 Depth=1
	v_and_b32_e32 v27, 7, v27
	v_lshrrev_b32_e32 v39, 3, v97
	s_mov_b32 s52, exec_lo
	v_cmpx_gt_u32_e32 8, v97
; %bb.398:                              ;   in Loop: Header=BB339_13 Depth=1
	v_ffbh_u32_e32 v39, v27
	v_min_u32_e32 v39, 32, v39
	v_subrev_nc_u32_e32 v95, 28, v39
	v_sub_nc_u32_e32 v39, 29, v39
	v_lshlrev_b64 v[97:98], v95, v[27:28]
	v_and_b32_e32 v27, 7, v97
; %bb.399:                              ;   in Loop: Header=BB339_13 Depth=1
	s_or_b32 exec_lo, exec_lo, s52
	v_lshlrev_b32_e32 v35, 16, v35
	v_lshlrev_b32_e32 v27, 20, v27
	v_lshl_add_u32 v39, v39, 23, 0x3c000000
	v_and_b32_e32 v35, 0x80000000, v35
	v_or3_b32 v95, v27, v35, v39
.LBB339_400:                            ;   in Loop: Header=BB339_13 Depth=1
	s_or_b32 exec_lo, exec_lo, s51
.LBB339_401:                            ;   in Loop: Header=BB339_13 Depth=1
	s_or_b32 exec_lo, exec_lo, s50
.LBB339_402:                            ;   in Loop: Header=BB339_13 Depth=1
	s_or_b32 exec_lo, exec_lo, s3
	global_load_ushort v27, v[33:34], off offset:1536
	v_mov_b32_e32 v98, 0
	v_mov_b32_e32 v99, 0
	s_waitcnt vmcnt(0)
	v_and_b32_e32 v35, 0xffff, v27
	v_cmp_ne_u16_sdwa s2, v27, v28 src0_sel:BYTE_0 src1_sel:DWORD
	s_and_saveexec_b32 s3, s2
	s_cbranch_execz .LBB339_410
; %bb.403:                              ;   in Loop: Header=BB339_13 Depth=1
	v_cmp_ne_u16_sdwa s2, v35, v42 src0_sel:BYTE_0 src1_sel:DWORD
	v_bfrev_b32_e32 v99, 1
	s_and_saveexec_b32 s50, s2
	s_cbranch_execz .LBB339_409
; %bb.404:                              ;   in Loop: Header=BB339_13 Depth=1
	v_and_b32_e32 v97, 0x7f, v35
	v_mov_b32_e32 v99, 0x7f800001
	s_mov_b32 s51, exec_lo
	v_cmpx_ne_u32_e32 0x7f, v97
	s_cbranch_execz .LBB339_408
; %bb.405:                              ;   in Loop: Header=BB339_13 Depth=1
	v_and_b32_e32 v27, 7, v35
	v_lshrrev_b32_e32 v39, 3, v97
	s_mov_b32 s52, exec_lo
	v_cmpx_gt_u32_e32 8, v97
; %bb.406:                              ;   in Loop: Header=BB339_13 Depth=1
	v_ffbh_u32_e32 v39, v27
	v_min_u32_e32 v39, 32, v39
	v_subrev_nc_u32_e32 v97, 28, v39
	v_sub_nc_u32_e32 v39, 29, v39
	v_lshlrev_b64 v[99:100], v97, v[27:28]
	v_and_b32_e32 v27, 7, v99
; %bb.407:                              ;   in Loop: Header=BB339_13 Depth=1
	s_or_b32 exec_lo, exec_lo, s52
	v_lshlrev_b32_e32 v97, 24, v35
	v_lshlrev_b32_e32 v27, 20, v27
	v_lshl_add_u32 v39, v39, 23, 0x3c000000
	v_and_b32_e32 v97, 0x80000000, v97
	v_or3_b32 v99, v27, v97, v39
.LBB339_408:                            ;   in Loop: Header=BB339_13 Depth=1
	s_or_b32 exec_lo, exec_lo, s51
.LBB339_409:                            ;   in Loop: Header=BB339_13 Depth=1
	s_or_b32 exec_lo, exec_lo, s50
.LBB339_410:                            ;   in Loop: Header=BB339_13 Depth=1
	s_or_b32 exec_lo, exec_lo, s3
	v_cmp_ne_u16_sdwa s2, v35, v28 src0_sel:BYTE_1 src1_sel:DWORD
	s_and_saveexec_b32 s3, s2
	s_cbranch_execz .LBB339_418
; %bb.411:                              ;   in Loop: Header=BB339_13 Depth=1
	v_cmp_ne_u16_sdwa s2, v35, v42 src0_sel:BYTE_1 src1_sel:DWORD
	v_bfrev_b32_e32 v98, 1
	s_and_saveexec_b32 s50, s2
	s_cbranch_execz .LBB339_417
; %bb.412:                              ;   in Loop: Header=BB339_13 Depth=1
	v_and_b32_sdwa v27, v43, v35 dst_sel:DWORD dst_unused:UNUSED_PAD src0_sel:DWORD src1_sel:BYTE_1
	v_mov_b32_e32 v98, 0x7f800001
	s_mov_b32 s51, exec_lo
	v_and_b32_e32 v97, 0x7f, v27
	v_cmpx_ne_u32_e32 0x7f, v97
	s_cbranch_execz .LBB339_416
; %bb.413:                              ;   in Loop: Header=BB339_13 Depth=1
	v_and_b32_e32 v27, 7, v27
	v_lshrrev_b32_e32 v39, 3, v97
	s_mov_b32 s52, exec_lo
	v_cmpx_gt_u32_e32 8, v97
; %bb.414:                              ;   in Loop: Header=BB339_13 Depth=1
	v_ffbh_u32_e32 v39, v27
	v_min_u32_e32 v39, 32, v39
	v_subrev_nc_u32_e32 v97, 28, v39
	v_sub_nc_u32_e32 v39, 29, v39
	v_lshlrev_b64 v[97:98], v97, v[27:28]
	v_and_b32_e32 v27, 7, v97
; %bb.415:                              ;   in Loop: Header=BB339_13 Depth=1
	s_or_b32 exec_lo, exec_lo, s52
	v_lshlrev_b32_e32 v35, 16, v35
	v_lshlrev_b32_e32 v27, 20, v27
	v_lshl_add_u32 v39, v39, 23, 0x3c000000
	v_and_b32_e32 v35, 0x80000000, v35
	v_or3_b32 v98, v27, v35, v39
.LBB339_416:                            ;   in Loop: Header=BB339_13 Depth=1
	s_or_b32 exec_lo, exec_lo, s51
.LBB339_417:                            ;   in Loop: Header=BB339_13 Depth=1
	s_or_b32 exec_lo, exec_lo, s50
.LBB339_418:                            ;   in Loop: Header=BB339_13 Depth=1
	s_or_b32 exec_lo, exec_lo, s3
	global_load_ushort v27, v[33:34], off offset:1544
	v_mov_b32_e32 v97, 0
	v_mov_b32_e32 v102, 0
	s_waitcnt vmcnt(0)
	v_and_b32_e32 v35, 0xffff, v27
	v_cmp_ne_u16_sdwa s2, v27, v28 src0_sel:BYTE_0 src1_sel:DWORD
	s_and_saveexec_b32 s3, s2
	s_cbranch_execz .LBB339_426
; %bb.419:                              ;   in Loop: Header=BB339_13 Depth=1
	v_cmp_ne_u16_sdwa s2, v35, v42 src0_sel:BYTE_0 src1_sel:DWORD
	v_bfrev_b32_e32 v102, 1
	s_and_saveexec_b32 s50, s2
	s_cbranch_execz .LBB339_425
; %bb.420:                              ;   in Loop: Header=BB339_13 Depth=1
	v_and_b32_e32 v100, 0x7f, v35
	v_mov_b32_e32 v102, 0x7f800001
	s_mov_b32 s51, exec_lo
	v_cmpx_ne_u32_e32 0x7f, v100
	s_cbranch_execz .LBB339_424
; %bb.421:                              ;   in Loop: Header=BB339_13 Depth=1
	v_and_b32_e32 v27, 7, v35
	v_lshrrev_b32_e32 v39, 3, v100
	s_mov_b32 s52, exec_lo
	v_cmpx_gt_u32_e32 8, v100
; %bb.422:                              ;   in Loop: Header=BB339_13 Depth=1
	v_ffbh_u32_e32 v39, v27
	v_min_u32_e32 v39, 32, v39
	v_subrev_nc_u32_e32 v100, 28, v39
	v_sub_nc_u32_e32 v39, 29, v39
	v_lshlrev_b64 v[100:101], v100, v[27:28]
	v_and_b32_e32 v27, 7, v100
; %bb.423:                              ;   in Loop: Header=BB339_13 Depth=1
	s_or_b32 exec_lo, exec_lo, s52
	v_lshlrev_b32_e32 v100, 24, v35
	v_lshlrev_b32_e32 v27, 20, v27
	v_lshl_add_u32 v39, v39, 23, 0x3c000000
	v_and_b32_e32 v100, 0x80000000, v100
	v_or3_b32 v102, v27, v100, v39
.LBB339_424:                            ;   in Loop: Header=BB339_13 Depth=1
	s_or_b32 exec_lo, exec_lo, s51
.LBB339_425:                            ;   in Loop: Header=BB339_13 Depth=1
	s_or_b32 exec_lo, exec_lo, s50
.LBB339_426:                            ;   in Loop: Header=BB339_13 Depth=1
	s_or_b32 exec_lo, exec_lo, s3
	v_cmp_ne_u16_sdwa s2, v35, v28 src0_sel:BYTE_1 src1_sel:DWORD
	s_and_saveexec_b32 s3, s2
	s_cbranch_execz .LBB339_434
; %bb.427:                              ;   in Loop: Header=BB339_13 Depth=1
	v_cmp_ne_u16_sdwa s2, v35, v42 src0_sel:BYTE_1 src1_sel:DWORD
	v_bfrev_b32_e32 v97, 1
	s_and_saveexec_b32 s50, s2
	s_cbranch_execz .LBB339_433
; %bb.428:                              ;   in Loop: Header=BB339_13 Depth=1
	v_and_b32_sdwa v27, v43, v35 dst_sel:DWORD dst_unused:UNUSED_PAD src0_sel:DWORD src1_sel:BYTE_1
	v_mov_b32_e32 v97, 0x7f800001
	s_mov_b32 s51, exec_lo
	v_and_b32_e32 v100, 0x7f, v27
	v_cmpx_ne_u32_e32 0x7f, v100
	s_cbranch_execz .LBB339_432
; %bb.429:                              ;   in Loop: Header=BB339_13 Depth=1
	v_and_b32_e32 v27, 7, v27
	v_lshrrev_b32_e32 v39, 3, v100
	s_mov_b32 s52, exec_lo
	v_cmpx_gt_u32_e32 8, v100
; %bb.430:                              ;   in Loop: Header=BB339_13 Depth=1
	v_ffbh_u32_e32 v39, v27
	v_min_u32_e32 v39, 32, v39
	v_subrev_nc_u32_e32 v97, 28, v39
	v_sub_nc_u32_e32 v39, 29, v39
	v_lshlrev_b64 v[100:101], v97, v[27:28]
	v_and_b32_e32 v27, 7, v100
; %bb.431:                              ;   in Loop: Header=BB339_13 Depth=1
	s_or_b32 exec_lo, exec_lo, s52
	v_lshlrev_b32_e32 v35, 16, v35
	v_lshlrev_b32_e32 v27, 20, v27
	v_lshl_add_u32 v39, v39, 23, 0x3c000000
	v_and_b32_e32 v35, 0x80000000, v35
	v_or3_b32 v97, v27, v35, v39
.LBB339_432:                            ;   in Loop: Header=BB339_13 Depth=1
	s_or_b32 exec_lo, exec_lo, s51
.LBB339_433:                            ;   in Loop: Header=BB339_13 Depth=1
	s_or_b32 exec_lo, exec_lo, s50
.LBB339_434:                            ;   in Loop: Header=BB339_13 Depth=1
	s_or_b32 exec_lo, exec_lo, s3
	global_load_ushort v27, v[33:34], off offset:1664
	v_mov_b32_e32 v100, 0
	v_mov_b32_e32 v101, 0
	s_waitcnt vmcnt(0)
	v_and_b32_e32 v35, 0xffff, v27
	v_cmp_ne_u16_sdwa s2, v27, v28 src0_sel:BYTE_0 src1_sel:DWORD
	s_and_saveexec_b32 s3, s2
	s_cbranch_execz .LBB339_442
; %bb.435:                              ;   in Loop: Header=BB339_13 Depth=1
	v_cmp_ne_u16_sdwa s2, v35, v42 src0_sel:BYTE_0 src1_sel:DWORD
	v_bfrev_b32_e32 v101, 1
	s_and_saveexec_b32 s50, s2
	s_cbranch_execz .LBB339_441
; %bb.436:                              ;   in Loop: Header=BB339_13 Depth=1
	v_and_b32_e32 v103, 0x7f, v35
	v_mov_b32_e32 v101, 0x7f800001
	s_mov_b32 s51, exec_lo
	v_cmpx_ne_u32_e32 0x7f, v103
	s_cbranch_execz .LBB339_440
; %bb.437:                              ;   in Loop: Header=BB339_13 Depth=1
	v_and_b32_e32 v27, 7, v35
	v_lshrrev_b32_e32 v39, 3, v103
	s_mov_b32 s52, exec_lo
	v_cmpx_gt_u32_e32 8, v103
; %bb.438:                              ;   in Loop: Header=BB339_13 Depth=1
	v_ffbh_u32_e32 v39, v27
	v_min_u32_e32 v39, 32, v39
	v_subrev_nc_u32_e32 v101, 28, v39
	v_sub_nc_u32_e32 v39, 29, v39
	v_lshlrev_b64 v[103:104], v101, v[27:28]
	v_and_b32_e32 v27, 7, v103
; %bb.439:                              ;   in Loop: Header=BB339_13 Depth=1
	s_or_b32 exec_lo, exec_lo, s52
	v_lshlrev_b32_e32 v101, 24, v35
	v_lshlrev_b32_e32 v27, 20, v27
	v_lshl_add_u32 v39, v39, 23, 0x3c000000
	v_and_b32_e32 v101, 0x80000000, v101
	v_or3_b32 v101, v27, v101, v39
.LBB339_440:                            ;   in Loop: Header=BB339_13 Depth=1
	s_or_b32 exec_lo, exec_lo, s51
.LBB339_441:                            ;   in Loop: Header=BB339_13 Depth=1
	s_or_b32 exec_lo, exec_lo, s50
.LBB339_442:                            ;   in Loop: Header=BB339_13 Depth=1
	s_or_b32 exec_lo, exec_lo, s3
	v_cmp_ne_u16_sdwa s2, v35, v28 src0_sel:BYTE_1 src1_sel:DWORD
	s_and_saveexec_b32 s3, s2
	s_cbranch_execz .LBB339_450
; %bb.443:                              ;   in Loop: Header=BB339_13 Depth=1
	v_cmp_ne_u16_sdwa s2, v35, v42 src0_sel:BYTE_1 src1_sel:DWORD
	v_bfrev_b32_e32 v100, 1
	s_and_saveexec_b32 s50, s2
	s_cbranch_execz .LBB339_449
; %bb.444:                              ;   in Loop: Header=BB339_13 Depth=1
	v_and_b32_sdwa v27, v43, v35 dst_sel:DWORD dst_unused:UNUSED_PAD src0_sel:DWORD src1_sel:BYTE_1
	v_mov_b32_e32 v100, 0x7f800001
	s_mov_b32 s51, exec_lo
	v_and_b32_e32 v103, 0x7f, v27
	v_cmpx_ne_u32_e32 0x7f, v103
	s_cbranch_execz .LBB339_448
; %bb.445:                              ;   in Loop: Header=BB339_13 Depth=1
	v_and_b32_e32 v27, 7, v27
	v_lshrrev_b32_e32 v39, 3, v103
	s_mov_b32 s52, exec_lo
	v_cmpx_gt_u32_e32 8, v103
; %bb.446:                              ;   in Loop: Header=BB339_13 Depth=1
	v_ffbh_u32_e32 v39, v27
	v_min_u32_e32 v39, 32, v39
	v_subrev_nc_u32_e32 v100, 28, v39
	v_sub_nc_u32_e32 v39, 29, v39
	v_lshlrev_b64 v[103:104], v100, v[27:28]
	v_and_b32_e32 v27, 7, v103
; %bb.447:                              ;   in Loop: Header=BB339_13 Depth=1
	s_or_b32 exec_lo, exec_lo, s52
	v_lshlrev_b32_e32 v35, 16, v35
	v_lshlrev_b32_e32 v27, 20, v27
	v_lshl_add_u32 v39, v39, 23, 0x3c000000
	v_and_b32_e32 v35, 0x80000000, v35
	v_or3_b32 v100, v27, v35, v39
.LBB339_448:                            ;   in Loop: Header=BB339_13 Depth=1
	s_or_b32 exec_lo, exec_lo, s51
.LBB339_449:                            ;   in Loop: Header=BB339_13 Depth=1
	s_or_b32 exec_lo, exec_lo, s50
.LBB339_450:                            ;   in Loop: Header=BB339_13 Depth=1
	s_or_b32 exec_lo, exec_lo, s3
	global_load_ushort v27, v[33:34], off offset:1672
	v_mov_b32_e32 v104, 0
	v_mov_b32_e32 v103, 0
	s_waitcnt vmcnt(0)
	v_and_b32_e32 v35, 0xffff, v27
	v_cmp_ne_u16_sdwa s2, v27, v28 src0_sel:BYTE_0 src1_sel:DWORD
	s_and_saveexec_b32 s3, s2
	s_cbranch_execz .LBB339_458
; %bb.451:                              ;   in Loop: Header=BB339_13 Depth=1
	v_cmp_ne_u16_sdwa s2, v35, v42 src0_sel:BYTE_0 src1_sel:DWORD
	v_bfrev_b32_e32 v103, 1
	s_and_saveexec_b32 s50, s2
	s_cbranch_execz .LBB339_457
; %bb.452:                              ;   in Loop: Header=BB339_13 Depth=1
	v_and_b32_e32 v105, 0x7f, v35
	v_mov_b32_e32 v103, 0x7f800001
	s_mov_b32 s51, exec_lo
	v_cmpx_ne_u32_e32 0x7f, v105
	s_cbranch_execz .LBB339_456
; %bb.453:                              ;   in Loop: Header=BB339_13 Depth=1
	v_and_b32_e32 v27, 7, v35
	v_lshrrev_b32_e32 v39, 3, v105
	s_mov_b32 s52, exec_lo
	v_cmpx_gt_u32_e32 8, v105
; %bb.454:                              ;   in Loop: Header=BB339_13 Depth=1
	v_ffbh_u32_e32 v39, v27
	v_min_u32_e32 v39, 32, v39
	v_subrev_nc_u32_e32 v103, 28, v39
	v_sub_nc_u32_e32 v39, 29, v39
	v_lshlrev_b64 v[105:106], v103, v[27:28]
	v_and_b32_e32 v27, 7, v105
; %bb.455:                              ;   in Loop: Header=BB339_13 Depth=1
	s_or_b32 exec_lo, exec_lo, s52
	v_lshlrev_b32_e32 v103, 24, v35
	v_lshlrev_b32_e32 v27, 20, v27
	v_lshl_add_u32 v39, v39, 23, 0x3c000000
	v_and_b32_e32 v103, 0x80000000, v103
	v_or3_b32 v103, v27, v103, v39
.LBB339_456:                            ;   in Loop: Header=BB339_13 Depth=1
	s_or_b32 exec_lo, exec_lo, s51
.LBB339_457:                            ;   in Loop: Header=BB339_13 Depth=1
	s_or_b32 exec_lo, exec_lo, s50
.LBB339_458:                            ;   in Loop: Header=BB339_13 Depth=1
	s_or_b32 exec_lo, exec_lo, s3
	v_cmp_ne_u16_sdwa s2, v35, v28 src0_sel:BYTE_1 src1_sel:DWORD
	s_and_saveexec_b32 s3, s2
	s_cbranch_execz .LBB339_466
; %bb.459:                              ;   in Loop: Header=BB339_13 Depth=1
	v_cmp_ne_u16_sdwa s2, v35, v42 src0_sel:BYTE_1 src1_sel:DWORD
	v_bfrev_b32_e32 v104, 1
	s_and_saveexec_b32 s50, s2
	s_cbranch_execz .LBB339_465
; %bb.460:                              ;   in Loop: Header=BB339_13 Depth=1
	v_and_b32_sdwa v27, v43, v35 dst_sel:DWORD dst_unused:UNUSED_PAD src0_sel:DWORD src1_sel:BYTE_1
	v_mov_b32_e32 v104, 0x7f800001
	s_mov_b32 s51, exec_lo
	v_and_b32_e32 v105, 0x7f, v27
	v_cmpx_ne_u32_e32 0x7f, v105
	s_cbranch_execz .LBB339_464
; %bb.461:                              ;   in Loop: Header=BB339_13 Depth=1
	v_and_b32_e32 v27, 7, v27
	v_lshrrev_b32_e32 v39, 3, v105
	s_mov_b32 s52, exec_lo
	v_cmpx_gt_u32_e32 8, v105
; %bb.462:                              ;   in Loop: Header=BB339_13 Depth=1
	v_ffbh_u32_e32 v39, v27
	v_min_u32_e32 v39, 32, v39
	v_subrev_nc_u32_e32 v104, 28, v39
	v_sub_nc_u32_e32 v39, 29, v39
	v_lshlrev_b64 v[104:105], v104, v[27:28]
	v_and_b32_e32 v27, 7, v104
; %bb.463:                              ;   in Loop: Header=BB339_13 Depth=1
	s_or_b32 exec_lo, exec_lo, s52
	v_lshlrev_b32_e32 v35, 16, v35
	v_lshlrev_b32_e32 v27, 20, v27
	v_lshl_add_u32 v39, v39, 23, 0x3c000000
	v_and_b32_e32 v35, 0x80000000, v35
	v_or3_b32 v104, v27, v35, v39
.LBB339_464:                            ;   in Loop: Header=BB339_13 Depth=1
	s_or_b32 exec_lo, exec_lo, s51
.LBB339_465:                            ;   in Loop: Header=BB339_13 Depth=1
	s_or_b32 exec_lo, exec_lo, s50
.LBB339_466:                            ;   in Loop: Header=BB339_13 Depth=1
	s_or_b32 exec_lo, exec_lo, s3
	global_load_ushort v27, v[33:34], off offset:1792
	v_mov_b32_e32 v106, 0
	v_mov_b32_e32 v105, 0
	s_waitcnt vmcnt(0)
	v_and_b32_e32 v35, 0xffff, v27
	v_cmp_ne_u16_sdwa s2, v27, v28 src0_sel:BYTE_0 src1_sel:DWORD
	s_and_saveexec_b32 s3, s2
	s_cbranch_execz .LBB339_474
; %bb.467:                              ;   in Loop: Header=BB339_13 Depth=1
	v_cmp_ne_u16_sdwa s2, v35, v42 src0_sel:BYTE_0 src1_sel:DWORD
	v_bfrev_b32_e32 v105, 1
	s_and_saveexec_b32 s50, s2
	s_cbranch_execz .LBB339_473
; %bb.468:                              ;   in Loop: Header=BB339_13 Depth=1
	v_and_b32_e32 v107, 0x7f, v35
	v_mov_b32_e32 v105, 0x7f800001
	s_mov_b32 s51, exec_lo
	v_cmpx_ne_u32_e32 0x7f, v107
	s_cbranch_execz .LBB339_472
; %bb.469:                              ;   in Loop: Header=BB339_13 Depth=1
	v_and_b32_e32 v27, 7, v35
	v_lshrrev_b32_e32 v39, 3, v107
	s_mov_b32 s52, exec_lo
	v_cmpx_gt_u32_e32 8, v107
; %bb.470:                              ;   in Loop: Header=BB339_13 Depth=1
	v_ffbh_u32_e32 v39, v27
	v_min_u32_e32 v39, 32, v39
	v_subrev_nc_u32_e32 v105, 28, v39
	v_sub_nc_u32_e32 v39, 29, v39
	v_lshlrev_b64 v[107:108], v105, v[27:28]
	v_and_b32_e32 v27, 7, v107
; %bb.471:                              ;   in Loop: Header=BB339_13 Depth=1
	s_or_b32 exec_lo, exec_lo, s52
	v_lshlrev_b32_e32 v105, 24, v35
	v_lshlrev_b32_e32 v27, 20, v27
	v_lshl_add_u32 v39, v39, 23, 0x3c000000
	v_and_b32_e32 v105, 0x80000000, v105
	v_or3_b32 v105, v27, v105, v39
.LBB339_472:                            ;   in Loop: Header=BB339_13 Depth=1
	s_or_b32 exec_lo, exec_lo, s51
.LBB339_473:                            ;   in Loop: Header=BB339_13 Depth=1
	s_or_b32 exec_lo, exec_lo, s50
.LBB339_474:                            ;   in Loop: Header=BB339_13 Depth=1
	s_or_b32 exec_lo, exec_lo, s3
	v_cmp_ne_u16_sdwa s2, v35, v28 src0_sel:BYTE_1 src1_sel:DWORD
	s_and_saveexec_b32 s3, s2
	s_cbranch_execz .LBB339_482
; %bb.475:                              ;   in Loop: Header=BB339_13 Depth=1
	v_cmp_ne_u16_sdwa s2, v35, v42 src0_sel:BYTE_1 src1_sel:DWORD
	v_bfrev_b32_e32 v106, 1
	s_and_saveexec_b32 s50, s2
	s_cbranch_execz .LBB339_481
; %bb.476:                              ;   in Loop: Header=BB339_13 Depth=1
	v_and_b32_sdwa v27, v43, v35 dst_sel:DWORD dst_unused:UNUSED_PAD src0_sel:DWORD src1_sel:BYTE_1
	v_mov_b32_e32 v106, 0x7f800001
	s_mov_b32 s51, exec_lo
	v_and_b32_e32 v107, 0x7f, v27
	v_cmpx_ne_u32_e32 0x7f, v107
	s_cbranch_execz .LBB339_480
; %bb.477:                              ;   in Loop: Header=BB339_13 Depth=1
	v_and_b32_e32 v27, 7, v27
	v_lshrrev_b32_e32 v39, 3, v107
	s_mov_b32 s52, exec_lo
	v_cmpx_gt_u32_e32 8, v107
; %bb.478:                              ;   in Loop: Header=BB339_13 Depth=1
	v_ffbh_u32_e32 v39, v27
	v_min_u32_e32 v39, 32, v39
	v_subrev_nc_u32_e32 v106, 28, v39
	v_sub_nc_u32_e32 v39, 29, v39
	v_lshlrev_b64 v[106:107], v106, v[27:28]
	v_and_b32_e32 v27, 7, v106
; %bb.479:                              ;   in Loop: Header=BB339_13 Depth=1
	s_or_b32 exec_lo, exec_lo, s52
	v_lshlrev_b32_e32 v35, 16, v35
	v_lshlrev_b32_e32 v27, 20, v27
	v_lshl_add_u32 v39, v39, 23, 0x3c000000
	v_and_b32_e32 v35, 0x80000000, v35
	v_or3_b32 v106, v27, v35, v39
.LBB339_480:                            ;   in Loop: Header=BB339_13 Depth=1
	s_or_b32 exec_lo, exec_lo, s51
.LBB339_481:                            ;   in Loop: Header=BB339_13 Depth=1
	s_or_b32 exec_lo, exec_lo, s50
.LBB339_482:                            ;   in Loop: Header=BB339_13 Depth=1
	s_or_b32 exec_lo, exec_lo, s3
	global_load_ushort v27, v[33:34], off offset:1800
	v_mov_b32_e32 v108, 0
	v_mov_b32_e32 v107, 0
	s_waitcnt vmcnt(0)
	v_and_b32_e32 v35, 0xffff, v27
	v_cmp_ne_u16_sdwa s2, v27, v28 src0_sel:BYTE_0 src1_sel:DWORD
	s_and_saveexec_b32 s3, s2
	s_cbranch_execz .LBB339_490
; %bb.483:                              ;   in Loop: Header=BB339_13 Depth=1
	v_cmp_ne_u16_sdwa s2, v35, v42 src0_sel:BYTE_0 src1_sel:DWORD
	v_bfrev_b32_e32 v107, 1
	s_and_saveexec_b32 s50, s2
	s_cbranch_execz .LBB339_489
; %bb.484:                              ;   in Loop: Header=BB339_13 Depth=1
	v_and_b32_e32 v109, 0x7f, v35
	v_mov_b32_e32 v107, 0x7f800001
	s_mov_b32 s51, exec_lo
	v_cmpx_ne_u32_e32 0x7f, v109
	s_cbranch_execz .LBB339_488
; %bb.485:                              ;   in Loop: Header=BB339_13 Depth=1
	v_and_b32_e32 v27, 7, v35
	v_lshrrev_b32_e32 v39, 3, v109
	s_mov_b32 s52, exec_lo
	v_cmpx_gt_u32_e32 8, v109
; %bb.486:                              ;   in Loop: Header=BB339_13 Depth=1
	v_ffbh_u32_e32 v39, v27
	v_min_u32_e32 v39, 32, v39
	v_subrev_nc_u32_e32 v107, 28, v39
	v_sub_nc_u32_e32 v39, 29, v39
	v_lshlrev_b64 v[109:110], v107, v[27:28]
	v_and_b32_e32 v27, 7, v109
; %bb.487:                              ;   in Loop: Header=BB339_13 Depth=1
	s_or_b32 exec_lo, exec_lo, s52
	v_lshlrev_b32_e32 v107, 24, v35
	v_lshlrev_b32_e32 v27, 20, v27
	v_lshl_add_u32 v39, v39, 23, 0x3c000000
	v_and_b32_e32 v107, 0x80000000, v107
	v_or3_b32 v107, v27, v107, v39
.LBB339_488:                            ;   in Loop: Header=BB339_13 Depth=1
	s_or_b32 exec_lo, exec_lo, s51
.LBB339_489:                            ;   in Loop: Header=BB339_13 Depth=1
	s_or_b32 exec_lo, exec_lo, s50
.LBB339_490:                            ;   in Loop: Header=BB339_13 Depth=1
	s_or_b32 exec_lo, exec_lo, s3
	v_cmp_ne_u16_sdwa s2, v35, v28 src0_sel:BYTE_1 src1_sel:DWORD
	s_and_saveexec_b32 s3, s2
	s_cbranch_execz .LBB339_498
; %bb.491:                              ;   in Loop: Header=BB339_13 Depth=1
	v_cmp_ne_u16_sdwa s2, v35, v42 src0_sel:BYTE_1 src1_sel:DWORD
	v_bfrev_b32_e32 v108, 1
	s_and_saveexec_b32 s50, s2
	s_cbranch_execz .LBB339_497
; %bb.492:                              ;   in Loop: Header=BB339_13 Depth=1
	v_and_b32_sdwa v27, v43, v35 dst_sel:DWORD dst_unused:UNUSED_PAD src0_sel:DWORD src1_sel:BYTE_1
	v_mov_b32_e32 v108, 0x7f800001
	s_mov_b32 s51, exec_lo
	v_and_b32_e32 v109, 0x7f, v27
	v_cmpx_ne_u32_e32 0x7f, v109
	s_cbranch_execz .LBB339_496
; %bb.493:                              ;   in Loop: Header=BB339_13 Depth=1
	v_and_b32_e32 v27, 7, v27
	v_lshrrev_b32_e32 v39, 3, v109
	s_mov_b32 s52, exec_lo
	v_cmpx_gt_u32_e32 8, v109
; %bb.494:                              ;   in Loop: Header=BB339_13 Depth=1
	v_ffbh_u32_e32 v39, v27
	v_min_u32_e32 v39, 32, v39
	v_subrev_nc_u32_e32 v108, 28, v39
	v_sub_nc_u32_e32 v39, 29, v39
	v_lshlrev_b64 v[108:109], v108, v[27:28]
	v_and_b32_e32 v27, 7, v108
; %bb.495:                              ;   in Loop: Header=BB339_13 Depth=1
	s_or_b32 exec_lo, exec_lo, s52
	v_lshlrev_b32_e32 v35, 16, v35
	v_lshlrev_b32_e32 v27, 20, v27
	v_lshl_add_u32 v39, v39, 23, 0x3c000000
	v_and_b32_e32 v35, 0x80000000, v35
	v_or3_b32 v108, v27, v35, v39
.LBB339_496:                            ;   in Loop: Header=BB339_13 Depth=1
	s_or_b32 exec_lo, exec_lo, s51
.LBB339_497:                            ;   in Loop: Header=BB339_13 Depth=1
	s_or_b32 exec_lo, exec_lo, s50
.LBB339_498:                            ;   in Loop: Header=BB339_13 Depth=1
	s_or_b32 exec_lo, exec_lo, s3
	global_load_ushort v27, v[33:34], off offset:1920
	v_mov_b32_e32 v110, 0
	v_mov_b32_e32 v109, 0
	s_waitcnt vmcnt(0)
	v_and_b32_e32 v35, 0xffff, v27
	v_cmp_ne_u16_sdwa s2, v27, v28 src0_sel:BYTE_0 src1_sel:DWORD
	s_and_saveexec_b32 s3, s2
	s_cbranch_execz .LBB339_506
; %bb.499:                              ;   in Loop: Header=BB339_13 Depth=1
	v_cmp_ne_u16_sdwa s2, v35, v42 src0_sel:BYTE_0 src1_sel:DWORD
	v_bfrev_b32_e32 v109, 1
	s_and_saveexec_b32 s50, s2
	s_cbranch_execz .LBB339_505
; %bb.500:                              ;   in Loop: Header=BB339_13 Depth=1
	v_and_b32_e32 v111, 0x7f, v35
	v_mov_b32_e32 v109, 0x7f800001
	s_mov_b32 s51, exec_lo
	v_cmpx_ne_u32_e32 0x7f, v111
	s_cbranch_execz .LBB339_504
; %bb.501:                              ;   in Loop: Header=BB339_13 Depth=1
	v_and_b32_e32 v27, 7, v35
	v_lshrrev_b32_e32 v39, 3, v111
	s_mov_b32 s52, exec_lo
	v_cmpx_gt_u32_e32 8, v111
; %bb.502:                              ;   in Loop: Header=BB339_13 Depth=1
	v_ffbh_u32_e32 v39, v27
	v_min_u32_e32 v39, 32, v39
	v_subrev_nc_u32_e32 v109, 28, v39
	v_sub_nc_u32_e32 v39, 29, v39
	v_lshlrev_b64 v[111:112], v109, v[27:28]
	v_and_b32_e32 v27, 7, v111
; %bb.503:                              ;   in Loop: Header=BB339_13 Depth=1
	s_or_b32 exec_lo, exec_lo, s52
	v_lshlrev_b32_e32 v109, 24, v35
	v_lshlrev_b32_e32 v27, 20, v27
	v_lshl_add_u32 v39, v39, 23, 0x3c000000
	v_and_b32_e32 v109, 0x80000000, v109
	v_or3_b32 v109, v27, v109, v39
.LBB339_504:                            ;   in Loop: Header=BB339_13 Depth=1
	s_or_b32 exec_lo, exec_lo, s51
.LBB339_505:                            ;   in Loop: Header=BB339_13 Depth=1
	s_or_b32 exec_lo, exec_lo, s50
.LBB339_506:                            ;   in Loop: Header=BB339_13 Depth=1
	s_or_b32 exec_lo, exec_lo, s3
	v_cmp_ne_u16_sdwa s2, v35, v28 src0_sel:BYTE_1 src1_sel:DWORD
	s_and_saveexec_b32 s3, s2
	s_cbranch_execz .LBB339_514
; %bb.507:                              ;   in Loop: Header=BB339_13 Depth=1
	v_cmp_ne_u16_sdwa s2, v35, v42 src0_sel:BYTE_1 src1_sel:DWORD
	v_bfrev_b32_e32 v110, 1
	s_and_saveexec_b32 s50, s2
	s_cbranch_execz .LBB339_513
; %bb.508:                              ;   in Loop: Header=BB339_13 Depth=1
	v_and_b32_sdwa v27, v43, v35 dst_sel:DWORD dst_unused:UNUSED_PAD src0_sel:DWORD src1_sel:BYTE_1
	v_mov_b32_e32 v110, 0x7f800001
	s_mov_b32 s51, exec_lo
	v_and_b32_e32 v111, 0x7f, v27
	v_cmpx_ne_u32_e32 0x7f, v111
	s_cbranch_execz .LBB339_512
; %bb.509:                              ;   in Loop: Header=BB339_13 Depth=1
	v_and_b32_e32 v27, 7, v27
	v_lshrrev_b32_e32 v39, 3, v111
	s_mov_b32 s52, exec_lo
	v_cmpx_gt_u32_e32 8, v111
; %bb.510:                              ;   in Loop: Header=BB339_13 Depth=1
	v_ffbh_u32_e32 v39, v27
	v_min_u32_e32 v39, 32, v39
	v_subrev_nc_u32_e32 v110, 28, v39
	v_sub_nc_u32_e32 v39, 29, v39
	v_lshlrev_b64 v[110:111], v110, v[27:28]
	v_and_b32_e32 v27, 7, v110
; %bb.511:                              ;   in Loop: Header=BB339_13 Depth=1
	s_or_b32 exec_lo, exec_lo, s52
	v_lshlrev_b32_e32 v35, 16, v35
	v_lshlrev_b32_e32 v27, 20, v27
	v_lshl_add_u32 v39, v39, 23, 0x3c000000
	v_and_b32_e32 v35, 0x80000000, v35
	v_or3_b32 v110, v27, v35, v39
.LBB339_512:                            ;   in Loop: Header=BB339_13 Depth=1
	s_or_b32 exec_lo, exec_lo, s51
.LBB339_513:                            ;   in Loop: Header=BB339_13 Depth=1
	s_or_b32 exec_lo, exec_lo, s50
.LBB339_514:                            ;   in Loop: Header=BB339_13 Depth=1
	s_or_b32 exec_lo, exec_lo, s3
	global_load_ushort v27, v[33:34], off offset:1928
	v_mov_b32_e32 v33, 0
	v_mov_b32_e32 v34, 0
	s_waitcnt vmcnt(0)
	v_and_b32_e32 v35, 0xffff, v27
	v_cmp_ne_u16_sdwa s2, v27, v28 src0_sel:BYTE_0 src1_sel:DWORD
	s_and_saveexec_b32 s3, s2
	s_cbranch_execz .LBB339_522
; %bb.515:                              ;   in Loop: Header=BB339_13 Depth=1
	v_cmp_ne_u16_sdwa s2, v35, v42 src0_sel:BYTE_0 src1_sel:DWORD
	v_bfrev_b32_e32 v34, 1
	s_and_saveexec_b32 s50, s2
	s_cbranch_execz .LBB339_521
; %bb.516:                              ;   in Loop: Header=BB339_13 Depth=1
	v_and_b32_e32 v39, 0x7f, v35
	v_mov_b32_e32 v34, 0x7f800001
	s_mov_b32 s51, exec_lo
	v_cmpx_ne_u32_e32 0x7f, v39
	s_cbranch_execz .LBB339_520
; %bb.517:                              ;   in Loop: Header=BB339_13 Depth=1
	v_and_b32_e32 v27, 7, v35
	v_lshrrev_b32_e32 v34, 3, v39
	s_mov_b32 s52, exec_lo
	v_cmpx_gt_u32_e32 8, v39
; %bb.518:                              ;   in Loop: Header=BB339_13 Depth=1
	v_ffbh_u32_e32 v34, v27
	v_min_u32_e32 v34, 32, v34
	v_subrev_nc_u32_e32 v39, 28, v34
	v_sub_nc_u32_e32 v34, 29, v34
	v_lshlrev_b64 v[111:112], v39, v[27:28]
	v_and_b32_e32 v27, 7, v111
; %bb.519:                              ;   in Loop: Header=BB339_13 Depth=1
	s_or_b32 exec_lo, exec_lo, s52
	v_lshlrev_b32_e32 v39, 24, v35
	v_lshlrev_b32_e32 v27, 20, v27
	v_lshl_add_u32 v34, v34, 23, 0x3c000000
	v_and_b32_e32 v39, 0x80000000, v39
	v_or3_b32 v34, v27, v39, v34
.LBB339_520:                            ;   in Loop: Header=BB339_13 Depth=1
	s_or_b32 exec_lo, exec_lo, s51
.LBB339_521:                            ;   in Loop: Header=BB339_13 Depth=1
	s_or_b32 exec_lo, exec_lo, s50
.LBB339_522:                            ;   in Loop: Header=BB339_13 Depth=1
	s_or_b32 exec_lo, exec_lo, s3
	v_cmp_ne_u16_sdwa s2, v35, v28 src0_sel:BYTE_1 src1_sel:DWORD
	s_and_saveexec_b32 s3, s2
	s_cbranch_execz .LBB339_530
; %bb.523:                              ;   in Loop: Header=BB339_13 Depth=1
	v_cmp_ne_u16_sdwa s2, v35, v42 src0_sel:BYTE_1 src1_sel:DWORD
	v_bfrev_b32_e32 v33, 1
	s_and_saveexec_b32 s50, s2
	s_cbranch_execz .LBB339_529
; %bb.524:                              ;   in Loop: Header=BB339_13 Depth=1
	v_and_b32_sdwa v27, v43, v35 dst_sel:DWORD dst_unused:UNUSED_PAD src0_sel:DWORD src1_sel:BYTE_1
	v_mov_b32_e32 v33, 0x7f800001
	s_mov_b32 s51, exec_lo
	v_and_b32_e32 v39, 0x7f, v27
	v_cmpx_ne_u32_e32 0x7f, v39
	s_cbranch_execz .LBB339_528
; %bb.525:                              ;   in Loop: Header=BB339_13 Depth=1
	v_and_b32_e32 v27, 7, v27
	v_lshrrev_b32_e32 v33, 3, v39
	s_mov_b32 s52, exec_lo
	v_cmpx_gt_u32_e32 8, v39
; %bb.526:                              ;   in Loop: Header=BB339_13 Depth=1
	v_ffbh_u32_e32 v33, v27
	v_min_u32_e32 v33, 32, v33
	v_subrev_nc_u32_e32 v39, 28, v33
	v_sub_nc_u32_e32 v33, 29, v33
	v_lshlrev_b64 v[111:112], v39, v[27:28]
	v_and_b32_e32 v27, 7, v111
; %bb.527:                              ;   in Loop: Header=BB339_13 Depth=1
	s_or_b32 exec_lo, exec_lo, s52
	v_lshlrev_b32_e32 v35, 16, v35
	v_lshlrev_b32_e32 v27, 20, v27
	v_lshl_add_u32 v33, v33, 23, 0x3c000000
	v_and_b32_e32 v35, 0x80000000, v35
	v_or3_b32 v33, v27, v35, v33
.LBB339_528:                            ;   in Loop: Header=BB339_13 Depth=1
	s_or_b32 exec_lo, exec_lo, s51
.LBB339_529:                            ;   in Loop: Header=BB339_13 Depth=1
	s_or_b32 exec_lo, exec_lo, s50
.LBB339_530:                            ;   in Loop: Header=BB339_13 Depth=1
	s_or_b32 exec_lo, exec_lo, s3
	s_waitcnt lgkmcnt(0)
	v_lshlrev_b32_e32 v32, 16, v23
	v_lshlrev_b32_e32 v127, 16, v24
	v_and_b32_e32 v46, 0xffff0000, v23
	v_and_b32_e32 v39, 0xffff0000, v24
	v_lshlrev_b32_e32 v119, 16, v13
	v_lshlrev_b32_e32 v117, 16, v14
	v_and_b32_e32 v118, 0xffff0000, v13
	v_and_b32_e32 v116, 0xffff0000, v14
	v_lshlrev_b32_e32 v111, 16, v9
	v_lshlrev_b32_e32 v24, 16, v10
	v_and_b32_e32 v27, 0xffff0000, v9
	v_and_b32_e32 v23, 0xffff0000, v10
	v_lshlrev_b32_e32 v14, 16, v7
	v_and_b32_e32 v13, 0xffff0000, v7
	v_lshlrev_b32_e32 v10, 16, v1
	v_lshlrev_b32_e32 v7, 16, v3
	v_and_b32_e32 v9, 0xffff0000, v1
	v_and_b32_e32 v1, 0xffff0000, v3
	v_mul_f32_e32 v3, s49, v52
	v_lshlrev_b32_e32 v35, 16, v17
	v_lshlrev_b32_e32 v125, 16, v18
	v_and_b32_e32 v126, 0xffff0000, v17
	v_and_b32_e32 v124, 0xffff0000, v18
	v_lshlrev_b32_e32 v115, 16, v15
	v_lshlrev_b32_e32 v113, 16, v16
	v_and_b32_e32 v114, 0xffff0000, v15
	v_and_b32_e32 v112, 0xffff0000, v16
	;; [unrolled: 4-line block ×3, first 2 shown]
	v_lshlrev_b32_e32 v6, 16, v4
	v_and_b32_e32 v5, 0xffff0000, v4
	v_bfe_u32 v4, v3, 16, 1
	v_or_b32_e32 v52, 0x400000, v3
	v_cmp_u_f32_e64 s2, v3, v3
	v_lshlrev_b32_e32 v31, 16, v22
	v_lshlrev_b32_e32 v44, 16, v21
	v_add3_u32 v4, v4, v3, 0x7fff
	v_and_b32_e32 v0, 0xffff0000, v22
	v_and_b32_e32 v38, 0xffff0000, v21
	v_lshlrev_b32_e32 v123, 16, v19
	v_and_b32_e32 v122, 0xffff0000, v19
	v_cndmask_b32_e64 v3, v4, v52, s2
	v_mul_f32_e32 v4, s49, v50
	v_lshlrev_b32_e32 v121, 16, v20
	v_and_b32_e32 v120, 0xffff0000, v20
	v_lshlrev_b32_e32 v22, 16, v11
	v_and_b32_e32 v3, 0xffff0000, v3
	v_bfe_u32 v50, v4, 16, 1
	v_or_b32_e32 v52, 0x400000, v4
	v_cmp_u_f32_e64 s2, v4, v4
	v_and_b32_e32 v21, 0xffff0000, v11
	v_mul_f32_e32 v3, v31, v3
	v_add3_u32 v50, v50, v4, 0x7fff
	v_lshlrev_b32_e32 v20, 16, v12
	v_and_b32_e32 v19, 0xffff0000, v12
	v_lshlrev_b32_e32 v12, 16, v8
	v_and_b32_e32 v11, 0xffff0000, v8
	v_cndmask_b32_e64 v4, v50, v52, s2
	v_lshlrev_b32_e32 v8, 16, v2
	v_and_b32_e32 v2, 0xffff0000, v2
	v_and_b32_e32 v4, 0xffff0000, v4
	v_fmac_f32_e32 v3, v44, v4
	v_mul_f32_e32 v4, s49, v51
	v_bfe_u32 v31, v4, 16, 1
	v_or_b32_e32 v44, 0x400000, v4
	v_cmp_u_f32_e64 s2, v4, v4
	v_add3_u32 v31, v31, v4, 0x7fff
	v_cndmask_b32_e64 v4, v31, v44, s2
	v_mul_f32_e32 v31, s49, v49
	v_and_b32_e32 v4, 0xffff0000, v4
	v_bfe_u32 v44, v31, 16, 1
	v_or_b32_e32 v49, 0x400000, v31
	v_cmp_u_f32_e64 s2, v31, v31
	v_mul_f32_e32 v4, v0, v4
	v_add3_u32 v44, v44, v31, 0x7fff
	v_cndmask_b32_e64 v31, v44, v49, s2
	v_and_b32_e32 v0, 0xffff0000, v31
	v_fmac_f32_e32 v4, v38, v0
	v_mul_f32_e32 v0, s49, v54
	v_bfe_u32 v31, v0, 16, 1
	v_or_b32_e32 v38, 0x400000, v0
	v_cmp_u_f32_e64 s2, v0, v0
	v_add3_u32 v31, v31, v0, 0x7fff
	v_cndmask_b32_e64 v0, v31, v38, s2
	v_and_b32_e32 v0, 0xffff0000, v0
	v_fmac_f32_e32 v3, v32, v0
	v_mul_f32_e32 v0, s49, v53
	v_bfe_u32 v31, v0, 16, 1
	v_or_b32_e32 v32, 0x400000, v0
	v_cmp_u_f32_e64 s2, v0, v0
	;; [unrolled: 8-line block ×27, first 2 shown]
	v_add3_u32 v21, v21, v0, 0x7fff
	v_cndmask_b32_e64 v0, v21, v22, s2
	v_mul_f32_e32 v22, s49, v103
	v_and_b32_e32 v0, 0xffff0000, v0
	v_fmac_f32_e32 v3, v20, v0
	v_mul_f32_e32 v0, s49, v79
	v_bfe_u32 v20, v0, 16, 1
	v_or_b32_e32 v21, 0x400000, v0
	v_cmp_u_f32_e64 s2, v0, v0
	v_add3_u32 v20, v20, v0, 0x7fff
	v_cndmask_b32_e64 v0, v20, v21, s2
	v_mul_f32_e32 v21, s49, v101
	v_and_b32_e32 v0, 0xffff0000, v0
	v_fmac_f32_e32 v4, v19, v0
	v_mul_f32_e32 v0, s49, v82
	v_bfe_u32 v19, v0, 16, 1
	v_or_b32_e32 v20, 0x400000, v0
	v_cmp_u_f32_e64 s2, v0, v0
	v_add3_u32 v19, v19, v0, 0x7fff
	v_cndmask_b32_e64 v0, v19, v20, s2
	v_and_b32_e32 v0, 0xffff0000, v0
	v_fmac_f32_e32 v3, v18, v0
	v_mul_f32_e32 v0, s49, v81
	v_bfe_u32 v18, v0, 16, 1
	v_or_b32_e32 v19, 0x400000, v0
	v_cmp_u_f32_e64 s2, v0, v0
	v_add3_u32 v18, v18, v0, 0x7fff
	v_cndmask_b32_e64 v0, v18, v19, s2
	v_mul_f32_e32 v19, s49, v104
	v_and_b32_e32 v0, 0xffff0000, v0
	v_fmac_f32_e32 v4, v17, v0
	v_mul_f32_e32 v0, s49, v84
	v_bfe_u32 v17, v0, 16, 1
	v_or_b32_e32 v18, 0x400000, v0
	v_cmp_u_f32_e64 s2, v0, v0
	v_add3_u32 v17, v17, v0, 0x7fff
	v_cndmask_b32_e64 v0, v17, v18, s2
	v_and_b32_e32 v0, 0xffff0000, v0
	v_fmac_f32_e32 v3, v16, v0
	v_mul_f32_e32 v0, s49, v83
	v_bfe_u32 v16, v0, 16, 1
	v_or_b32_e32 v17, 0x400000, v0
	v_cmp_u_f32_e64 s2, v0, v0
	v_add3_u32 v16, v16, v0, 0x7fff
	v_cndmask_b32_e64 v0, v16, v17, s2
	;; [unrolled: 8-line block ×3, first 2 shown]
	v_mul_f32_e32 v16, s49, v107
	v_and_b32_e32 v0, 0xffff0000, v0
	v_bfe_u32 v17, v16, 16, 1
	v_fmac_f32_e32 v3, v14, v0
	v_mul_f32_e32 v0, s49, v85
	v_bfe_u32 v14, v0, 16, 1
	v_or_b32_e32 v15, 0x400000, v0
	v_cmp_u_f32_e64 s2, v0, v0
	v_add3_u32 v14, v14, v0, 0x7fff
	v_cndmask_b32_e64 v0, v14, v15, s2
	v_and_b32_e32 v0, 0xffff0000, v0
	v_fmac_f32_e32 v4, v13, v0
	v_mul_f32_e32 v0, s49, v88
	v_bfe_u32 v13, v0, 16, 1
	v_or_b32_e32 v14, 0x400000, v0
	v_cmp_u_f32_e64 s2, v0, v0
	v_add3_u32 v13, v13, v0, 0x7fff
	v_cndmask_b32_e64 v0, v13, v14, s2
	v_and_b32_e32 v0, 0xffff0000, v0
	;; [unrolled: 8-line block ×3, first 2 shown]
	v_fmac_f32_e32 v4, v11, v0
	v_mul_f32_e32 v0, s49, v90
	v_bfe_u32 v11, v0, 16, 1
	v_or_b32_e32 v12, 0x400000, v0
	v_cmp_u_f32_e64 s2, v0, v0
	v_add3_u32 v11, v11, v0, 0x7fff
	v_cndmask_b32_e64 v0, v11, v12, s2
	v_mul_f32_e32 v12, s49, v109
	v_and_b32_e32 v0, 0xffff0000, v0
	v_bfe_u32 v14, v12, 16, 1
	v_or_b32_e32 v15, 0x400000, v12
	v_fmac_f32_e32 v3, v10, v0
	v_mul_f32_e32 v0, s49, v89
	v_add3_u32 v14, v14, v12, 0x7fff
	v_bfe_u32 v10, v0, 16, 1
	v_or_b32_e32 v11, 0x400000, v0
	v_cmp_u_f32_e64 s2, v0, v0
	v_add3_u32 v10, v10, v0, 0x7fff
	v_cndmask_b32_e64 v0, v10, v11, s2
	v_and_b32_e32 v0, 0xffff0000, v0
	v_fmac_f32_e32 v4, v9, v0
	v_mul_f32_e32 v0, s49, v92
	v_bfe_u32 v9, v0, 16, 1
	v_or_b32_e32 v10, 0x400000, v0
	v_cmp_u_f32_e64 s2, v0, v0
	v_add3_u32 v9, v9, v0, 0x7fff
	v_cndmask_b32_e64 v0, v9, v10, s2
	v_mul_f32_e32 v10, s49, v98
	v_and_b32_e32 v0, 0xffff0000, v0
	v_fmac_f32_e32 v3, v8, v0
	v_mul_f32_e32 v0, s49, v91
	v_bfe_u32 v8, v0, 16, 1
	v_or_b32_e32 v9, 0x400000, v0
	v_cmp_u_f32_e64 s2, v0, v0
	v_add3_u32 v8, v8, v0, 0x7fff
	v_cndmask_b32_e64 v0, v8, v9, s2
	v_mul_f32_e32 v9, s49, v99
	v_and_b32_e32 v0, 0xffff0000, v0
	v_fmac_f32_e32 v4, v2, v0
	v_mul_f32_e32 v0, s49, v94
	v_bfe_u32 v2, v0, 16, 1
	v_or_b32_e32 v8, 0x400000, v0
	v_cmp_u_f32_e64 s2, v0, v0
	v_add3_u32 v2, v2, v0, 0x7fff
	v_cndmask_b32_e64 v0, v2, v8, s2
	v_and_b32_e32 v0, 0xffff0000, v0
	v_fmac_f32_e32 v3, v7, v0
	v_mul_f32_e32 v0, s49, v93
	v_bfe_u32 v2, v0, 16, 1
	v_or_b32_e32 v7, 0x400000, v0
	v_cmp_u_f32_e64 s2, v0, v0
	v_add3_u32 v2, v2, v0, 0x7fff
	v_mul_f32_e32 v0, s49, v96
	v_cndmask_b32_e64 v2, v2, v7, s2
	v_bfe_u32 v7, v0, 16, 1
	v_or_b32_e32 v8, 0x400000, v0
	v_cmp_u_f32_e64 s2, v0, v0
	v_and_b32_e32 v2, 0xffff0000, v2
	v_add3_u32 v7, v7, v0, 0x7fff
	v_mul_f32_e32 v0, s49, v95
	v_fmac_f32_e32 v4, v1, v2
	v_cndmask_b32_e64 v7, v7, v8, s2
	v_bfe_u32 v8, v0, 16, 1
	v_or_b32_e32 v2, 0x400000, v0
	v_cmp_u_f32_e64 s2, v0, v0
	v_and_b32_e32 v7, 0xffff0000, v7
	v_add3_u32 v1, v8, v0, 0x7fff
	v_bfe_u32 v8, v9, 16, 1
	v_fmac_f32_e32 v3, v6, v7
	v_cndmask_b32_e64 v0, v1, v2, s2
	v_add3_u32 v1, v8, v9, 0x7fff
	v_or_b32_e32 v2, 0x400000, v9
	v_bfe_u32 v8, v10, 16, 1
	v_cmp_u_f32_e64 s2, v9, v9
	v_and_b32_e32 v0, 0xffff0000, v0
	v_mul_f32_e32 v9, s49, v102
	v_add3_u32 v7, v8, v10, 0x7fff
	v_cndmask_b32_e64 v6, v1, v2, s2
	v_or_b32_e32 v8, 0x400000, v10
	ds_read2_b32 v[1:2], v40 offset0:25 offset1:26
	v_cmp_u_f32_e64 s2, v10, v10
	v_fmac_f32_e32 v4, v5, v0
	v_bfe_u32 v5, v9, 16, 1
	v_or_b32_e32 v10, 0x400000, v9
	v_and_b32_e32 v6, 0xffff0000, v6
	v_cndmask_b32_e64 v0, v7, v8, s2
	v_and_b32_e32 v8, 0xffff0000, v48
	v_add3_u32 v5, v5, v9, 0x7fff
	v_cmp_u_f32_e64 s2, v9, v9
	v_lshlrev_b32_e32 v7, 16, v48
	v_and_b32_e32 v0, 0xffff0000, v0
	v_mul_f32_e32 v9, s49, v110
	v_fmac_f32_e32 v3, v7, v6
	v_fmac_f32_e32 v4, v8, v0
	v_cndmask_b32_e64 v0, v5, v10, s2
	v_bfe_u32 v13, v9, 16, 1
	v_cmp_u_f32_e64 s2, v12, v12
	s_waitcnt lgkmcnt(0)
	v_lshlrev_b32_e32 v11, 16, v1
	v_cmp_u_f32_e64 s3, v9, v9
	v_and_b32_e32 v0, 0xffff0000, v0
	v_and_b32_e32 v1, 0xffff0000, v1
	v_cndmask_b32_e64 v14, v14, v15, s2
	v_or_b32_e32 v15, 0x400000, v16
	ds_read2_b32 v[5:6], v40 offset0:27 offset1:28
	ds_read2_b32 v[7:8], v40 offset0:29 offset1:30
	ds_read_b32 v10, v40 offset:124
	v_fmac_f32_e32 v3, v0, v11
	v_mul_f32_e32 v11, s49, v108
	v_add3_u32 v0, v13, v9, 0x7fff
	v_or_b32_e32 v13, 0x400000, v9
	v_bfe_u32 v12, v11, 16, 1
	v_cmp_u_f32_e64 s2, v11, v11
	v_cndmask_b32_e64 v0, v0, v13, s3
	v_mul_f32_e32 v13, s49, v106
	v_add3_u32 v9, v12, v11, 0x7fff
	v_or_b32_e32 v12, 0x400000, v11
	v_and_b32_e32 v0, 0xffff0000, v0
	v_bfe_u32 v11, v13, 16, 1
	v_or_b32_e32 v18, 0x400000, v13
	v_cmp_u_f32_e64 s3, v13, v13
	v_cndmask_b32_e64 v9, v9, v12, s2
	v_add3_u32 v12, v17, v16, 0x7fff
	v_mul_f32_e32 v17, s49, v97
	v_cmp_u_f32_e64 s2, v16, v16
	v_add3_u32 v11, v11, v13, 0x7fff
	v_mul_f32_e32 v16, s49, v105
	v_bfe_u32 v20, v17, 16, 1
	v_cndmask_b32_e64 v12, v12, v15, s2
	v_cndmask_b32_e64 v11, v11, v18, s3
	v_cmp_u_f32_e64 s2, v17, v17
	v_bfe_u32 v15, v19, 16, 1
	v_add3_u32 v18, v20, v17, 0x7fff
	v_or_b32_e32 v20, 0x400000, v17
	v_or_b32_e32 v17, 0x400000, v19
	v_bfe_u32 v13, v16, 16, 1
	v_add3_u32 v15, v15, v19, 0x7fff
	v_cndmask_b32_e64 v18, v18, v20, s2
	v_cmp_u_f32_e64 s2, v19, v19
	v_bfe_u32 v19, v21, 16, 1
	v_mul_f32_e32 v20, s49, v100
	v_add3_u32 v13, v13, v16, 0x7fff
	v_and_b32_e32 v18, 0xffff0000, v18
	v_cndmask_b32_e64 v15, v15, v17, s2
	v_add3_u32 v17, v19, v21, 0x7fff
	v_bfe_u32 v19, v20, 16, 1
	v_cmp_u_f32_e64 s2, v21, v21
	v_fmac_f32_e32 v4, v18, v1
	v_or_b32_e32 v1, 0x400000, v21
	v_bfe_u32 v18, v22, 16, 1
	v_add3_u32 v19, v19, v20, 0x7fff
	v_or_b32_e32 v21, 0x400000, v20
	v_and_b32_e32 v15, 0xffff0000, v15
	v_cndmask_b32_e64 v1, v17, v1, s2
	v_cmp_u_f32_e64 s2, v20, v20
	v_add3_u32 v18, v18, v22, 0x7fff
	v_or_b32_e32 v20, 0x400000, v22
	v_or_b32_e32 v17, 0x400000, v16
	v_and_b32_e32 v1, 0xffff0000, v1
	v_cndmask_b32_e64 v19, v19, v21, s2
	v_cmp_u_f32_e64 s2, v22, v22
	v_lshlrev_b32_e32 v21, 16, v2
	v_and_b32_e32 v2, 0xffff0000, v2
	v_and_b32_e32 v19, 0xffff0000, v19
	v_cndmask_b32_e64 v18, v18, v20, s2
	v_cmp_u_f32_e64 s2, v16, v16
	v_mul_f32_e32 v20, s49, v34
	v_fmac_f32_e32 v3, v1, v21
	v_fmac_f32_e32 v4, v19, v2
	s_waitcnt lgkmcnt(2)
	v_lshlrev_b32_e32 v1, 16, v5
	v_and_b32_e32 v2, 0xffff0000, v5
	v_and_b32_e32 v5, 0xffff0000, v18
	v_cndmask_b32_e64 v13, v13, v17, s2
	v_bfe_u32 v16, v20, 16, 1
	v_mul_f32_e32 v17, s49, v33
	v_fmac_f32_e32 v4, v15, v2
	v_fmac_f32_e32 v3, v5, v1
	v_lshlrev_b32_e32 v1, 16, v6
	v_and_b32_e32 v2, 0xffff0000, v13
	v_and_b32_e32 v5, 0xffff0000, v6
	;; [unrolled: 1-line block ×3, first 2 shown]
	v_add3_u32 v11, v16, v20, 0x7fff
	v_or_b32_e32 v13, 0x400000, v20
	v_bfe_u32 v15, v17, 16, 1
	v_fmac_f32_e32 v3, v2, v1
	v_fmac_f32_e32 v4, v6, v5
	s_waitcnt lgkmcnt(1)
	v_and_b32_e32 v2, 0xffff0000, v7
	v_and_b32_e32 v6, 0xffff0000, v9
	v_cmp_u_f32_e64 s2, v20, v20
	v_lshlrev_b32_e32 v1, 16, v7
	v_and_b32_e32 v5, 0xffff0000, v12
	v_add3_u32 v9, v15, v17, 0x7fff
	v_or_b32_e32 v12, 0x400000, v17
	v_fmac_f32_e32 v4, v6, v2
	v_cndmask_b32_e64 v6, v11, v13, s2
	v_cmp_u_f32_e64 s2, v17, v17
	v_xor_b32_e32 v7, 2, v37
	v_fmac_f32_e32 v3, v5, v1
	v_lshlrev_b32_e32 v1, 16, v8
	v_and_b32_e32 v2, 0xffff0000, v8
	v_and_b32_e32 v5, 0xffff0000, v14
	v_cndmask_b32_e64 v8, v9, v12, s2
	v_cmp_gt_i32_e64 s2, 32, v7
	v_fmac_f32_e32 v4, v0, v2
	v_fmac_f32_e32 v3, v5, v1
	s_waitcnt lgkmcnt(0)
	v_lshlrev_b32_e32 v0, 16, v10
	v_and_b32_e32 v1, 0xffff0000, v10
	v_and_b32_e32 v2, 0xffff0000, v6
	;; [unrolled: 1-line block ×3, first 2 shown]
	v_cndmask_b32_e64 v6, v37, v7, s2
	v_fmac_f32_e32 v3, v2, v0
	v_fmac_f32_e32 v4, v5, v1
	v_lshlrev_b32_e32 v0, 2, v6
	v_xor_b32_e32 v2, 1, v37
	v_add_f32_e32 v1, v3, v4
	v_cmp_gt_i32_e64 s2, 32, v2
	ds_bpermute_b32 v0, v0, v1
	v_cndmask_b32_e64 v2, v37, v2, s2
	v_lshlrev_b32_e32 v2, 2, v2
	s_waitcnt lgkmcnt(0)
	v_add_f32_e32 v1, v1, v0
	ds_bpermute_b32 v2, v2, v1
	s_and_saveexec_b32 s3, vcc_lo
	s_cbranch_execz .LBB339_11
; %bb.531:                              ;   in Loop: Header=BB339_13 Depth=1
	buffer_load_dword v0, off, s[56:59], 0 offset:20 ; 4-byte Folded Reload
	s_waitcnt lgkmcnt(0)
	v_add_f32_e32 v1, v1, v2
	buffer_load_dword v3, off, s[56:59], 0 offset:4 ; 4-byte Folded Reload
	s_waitcnt vmcnt(1)
	v_add_nc_u32_e32 v0, v0, v41
	v_cvt_f32_i32_e32 v0, v0
	v_mul_f32_e32 v0, s43, v0
	v_cndmask_b32_e64 v0, 0, v0, s1
	v_fmac_f32_e32 v0, s41, v1
	buffer_load_dword v1, off, s[56:59], 0 offset:16 ; 4-byte Folded Reload
	s_waitcnt vmcnt(1)
	v_max_f32_e32 v2, v3, v3
	v_max_f32_e32 v2, v2, v0
	s_waitcnt vmcnt(0)
	v_add_nc_u32_e32 v1, v1, v41
	v_cmp_gt_i32_e64 s2, s31, v1
	v_cndmask_b32_e64 v0, 0, v0, s2
	v_cndmask_b32_e64 v3, v3, v2, s2
	ds_write_b32 v45, v0
	buffer_store_dword v3, off, s[56:59], 0 offset:4 ; 4-byte Folded Spill
	s_branch .LBB339_11
.LBB339_532:
	s_or_b32 exec_lo, exec_lo, s46
	buffer_load_dword v4, off, s[56:59], 0 offset:4 ; 4-byte Folded Reload
.LBB339_533:
	s_or_b32 exec_lo, exec_lo, s45
	buffer_load_dword v0, off, s[56:59], 0 offset:24 ; 4-byte Folded Reload
	v_xor_b32_e32 v1, 16, v37
	v_xor_b32_e32 v3, 8, v37
	s_waitcnt vmcnt(1)
	v_max_f32_e32 v5, v4, v4
	v_cmp_gt_i32_e32 vcc_lo, 32, v1
	v_cndmask_b32_e32 v1, v37, v1, vcc_lo
	v_cmp_gt_i32_e32 vcc_lo, 32, v3
	s_waitcnt lgkmcnt(0)
	v_lshlrev_b32_e32 v2, 2, v1
	v_cndmask_b32_e32 v3, v37, v3, vcc_lo
	ds_bpermute_b32 v1, v2, v4
	v_lshlrev_b32_e32 v4, 2, v3
	s_waitcnt lgkmcnt(0)
	v_max_f32_e32 v1, v1, v1
	v_max_f32_e32 v1, v5, v1
	v_xor_b32_e32 v5, 4, v37
	ds_bpermute_b32 v3, v4, v1
	v_cmp_gt_i32_e32 vcc_lo, 32, v5
	v_cndmask_b32_e32 v5, v37, v5, vcc_lo
	v_lshlrev_b32_e32 v7, 2, v5
	s_waitcnt lgkmcnt(0)
	v_max_f32_e32 v3, v3, v3
	v_max_f32_e32 v1, v1, v3
	ds_bpermute_b32 v3, v7, v1
	s_waitcnt vmcnt(0)
	v_and_b32_e32 v21, 31, v0
	buffer_load_dword v0, off, s[56:59], 0 offset:28 ; 4-byte Folded Reload
	v_cmp_eq_u32_e32 vcc_lo, 0, v21
	s_waitcnt vmcnt(0)
	v_lshlrev_b32_e32 v5, 2, v0
	s_and_saveexec_b32 s1, vcc_lo
	s_cbranch_execz .LBB339_535
; %bb.534:
	s_waitcnt lgkmcnt(0)
	v_max_f32_e32 v0, v3, v3
	v_max_f32_e32 v1, v1, v1
	;; [unrolled: 1-line block ×3, first 2 shown]
	ds_write_b32 v5, v0 offset:512
.LBB339_535:
	s_or_b32 exec_lo, exec_lo, s1
	v_cmp_gt_u32_e64 s1, 4, v21
	v_mov_b32_e32 v1, 0xff7fffff
	v_lshlrev_b32_e32 v6, 2, v21
	s_waitcnt lgkmcnt(0)
	s_waitcnt_vscnt null, 0x0
	s_barrier
	buffer_gl0_inv
	s_and_saveexec_b32 s2, s1
; %bb.536:
	ds_read_b32 v1, v6 offset:512
; %bb.537:
	s_or_b32 exec_lo, exec_lo, s2
	buffer_load_dword v13, off, s[56:59], 0 offset:24 ; 4-byte Folded Reload
	v_xor_b32_e32 v0, 2, v37
	v_xor_b32_e32 v3, 1, v37
	v_mov_b32_e32 v10, 0
	v_cmp_gt_i32_e64 s2, 32, v0
	v_cndmask_b32_e64 v0, v37, v0, s2
	v_cmp_gt_i32_e64 s2, 32, v3
	v_lshlrev_b32_e32 v8, 2, v0
	v_cndmask_b32_e64 v3, v37, v3, s2
	s_sub_i32 s2, s20, s44
	s_lshl_b32 s2, s2, 3
	s_waitcnt lgkmcnt(0)
	ds_bpermute_b32 v0, v8, v1
	v_max_f32_e32 v1, v1, v1
	v_lshlrev_b32_e32 v9, 2, v3
	s_add_i32 s2, s2, s42
	s_min_i32 s2, s2, s31
	s_sub_i32 s4, s2, s42
	s_waitcnt lgkmcnt(0)
	v_max_f32_e32 v0, v0, v0
	v_max_f32_e32 v0, v1, v0
	ds_bpermute_b32 v1, v9, v0
	s_waitcnt lgkmcnt(0)
	v_max_f32_e32 v1, v1, v1
	v_max_f32_e32 v0, v0, v1
	ds_bpermute_b32 v1, v10, v0
	s_waitcnt vmcnt(0)
	v_cmp_gt_i32_e64 s2, s4, v13
	v_lshl_add_u32 v3, v13, 2, 0x220
	s_and_saveexec_b32 s5, s2
	s_cbranch_execz .LBB339_541
; %bb.538:
	v_lshl_add_u32 v11, v13, 2, 0x220
	v_mov_b32_e32 v10, 0
	v_mov_b32_e32 v12, v13
	s_mov_b32 s12, 0
	.p2align	6
.LBB339_539:                            ; =>This Inner Loop Header: Depth=1
	ds_read_b32 v0, v11
	v_add_nc_u32_e32 v12, 0x80, v12
	v_cmp_le_i32_e64 s3, s4, v12
	s_or_b32 s12, s3, s12
	s_waitcnt lgkmcnt(0)
	v_sub_f32_e32 v0, v0, v1
	v_mul_f32_e32 v0, 0x3fb8aa3b, v0
	v_exp_f32_e32 v0, v0
	ds_write_b32 v11, v0
	v_add_f32_e32 v10, v10, v0
	v_add_nc_u32_e32 v11, 0x200, v11
	s_andn2_b32 exec_lo, exec_lo, s12
	s_cbranch_execnz .LBB339_539
; %bb.540:
	s_or_b32 exec_lo, exec_lo, s12
.LBB339_541:
	s_or_b32 exec_lo, exec_lo, s5
	ds_bpermute_b32 v0, v2, v10
	s_waitcnt lgkmcnt(0)
	v_add_f32_e32 v0, v10, v0
	ds_bpermute_b32 v2, v4, v0
	s_waitcnt lgkmcnt(0)
	v_add_f32_e32 v0, v0, v2
	;; [unrolled: 3-line block ×5, first 2 shown]
	s_and_saveexec_b32 s3, vcc_lo
; %bb.542:
	ds_write_b32 v5, v2 offset:528
; %bb.543:
	s_or_b32 exec_lo, exec_lo, s3
	s_waitcnt lgkmcnt(0)
	s_barrier
	buffer_gl0_inv
	s_and_saveexec_b32 s3, s1
; %bb.544:
	ds_read_b32 v2, v6 offset:528
; %bb.545:
	s_or_b32 exec_lo, exec_lo, s3
	s_waitcnt lgkmcnt(0)
	ds_bpermute_b32 v0, v8, v2
	s_waitcnt lgkmcnt(0)
	v_add_f32_e32 v0, v2, v0
	ds_bpermute_b32 v2, v9, v0
	s_waitcnt lgkmcnt(0)
	v_add_f32_e32 v0, v0, v2
	v_mov_b32_e32 v2, 0
	ds_bpermute_b32 v2, v2, v0
	s_and_saveexec_b32 s1, s2
	s_cbranch_execz .LBB339_548
; %bb.546:
	s_waitcnt lgkmcnt(0)
	v_add_f32_e32 v0, 0x358637bd, v2
	s_mov_b32 s2, 0
	v_div_scale_f32 v4, null, v0, v0, 1.0
	v_div_scale_f32 v7, vcc_lo, 1.0, v0, 1.0
	v_rcp_f32_e32 v5, v4
	v_fma_f32 v6, -v4, v5, 1.0
	v_fmac_f32_e32 v5, v6, v5
	v_mul_f32_e32 v6, v7, v5
	v_fma_f32 v8, -v4, v6, v7
	v_fmac_f32_e32 v6, v8, v5
	v_fma_f32 v4, -v4, v6, v7
	v_div_fmas_f32 v4, v4, v5, v6
	v_mov_b32_e32 v5, v13
	v_div_fixup_f32 v4, v4, v0, 1.0
.LBB339_547:                            ; =>This Inner Loop Header: Depth=1
	ds_read_b32 v0, v3
	v_add_nc_u32_e32 v5, 0x80, v5
	v_cmp_le_i32_e32 vcc_lo, s4, v5
	s_or_b32 s2, vcc_lo, s2
	s_waitcnt lgkmcnt(0)
	v_mul_f32_e32 v0, v4, v0
	ds_write_b32 v3, v0
	v_add_nc_u32_e32 v3, 0x200, v3
	s_andn2_b32 exec_lo, exec_lo, s2
	s_cbranch_execnz .LBB339_547
.LBB339_548:
	s_or_b32 exec_lo, exec_lo, s1
	s_mul_i32 s1, s7, s30
	s_waitcnt lgkmcnt(0)
	s_mul_i32 s2, s1, s9
	s_mov_b32 s1, exec_lo
	s_barrier
	buffer_gl0_inv
	v_cmpx_eq_u32_e32 0, v13
	s_cbranch_execz .LBB339_550
; %bb.549:
	s_ashr_i32 s3, s2, 31
	s_mul_i32 s12, s7, s6
	s_lshl_b64 s[4:5], s[2:3], 2
	v_mov_b32_e32 v0, 0
	s_add_u32 s3, s26, s4
	s_addc_u32 s6, s27, s5
	s_ashr_i32 s13, s12, 31
	s_lshl_b64 s[12:13], s[12:13], 2
	s_add_u32 s3, s3, s12
	s_addc_u32 s6, s6, s13
	s_ashr_i32 s9, s8, 31
	s_lshl_b64 s[26:27], s[8:9], 2
	s_add_u32 s42, s3, s26
	s_addc_u32 s43, s6, s27
	s_add_u32 s3, s24, s4
	s_addc_u32 s4, s25, s5
	s_add_u32 s3, s3, s12
	s_addc_u32 s5, s4, s13
	s_add_u32 s4, s3, s26
	s_addc_u32 s5, s5, s27
	global_store_dword v0, v1, s[42:43]
	global_store_dword v0, v2, s[4:5]
.LBB339_550:
	s_or_b32 exec_lo, exec_lo, s1
	v_mov_b32_e32 v31, 0
	v_mov_b32_e32 v30, 0
	;; [unrolled: 1-line block ×8, first 2 shown]
	s_and_saveexec_b32 s1, s0
	s_cbranch_execz .LBB339_1052
; %bb.551:
	buffer_load_dword v4, off, s[56:59], 0 offset:28 ; 4-byte Folded Reload
	s_sub_i32 s3, s40, s21
	s_ashr_i32 s0, s18, 31
	s_add_u32 s12, s38, s18
	s_addc_u32 s0, s39, s0
	s_abs_i32 s6, s22
	v_lshlrev_b64 v[1:2], 2, v[25:26]
	v_cvt_f32_u32_e32 v0, s6
	s_sub_i32 s4, 0, s6
	v_lshlrev_b32_e32 v3, 3, v21
	s_add_i32 s33, s33, -1
	v_mov_b32_e32 v10, 0
	v_rcp_iflag_f32_e32 v0, v0
	v_mov_b32_e32 v32, 0x80
	v_add_co_u32 v11, s12, s12, v3
	v_add_co_ci_u32_e64 v12, null, s0, 0, s12
	v_mov_b32_e32 v33, 0xffff
	v_mov_b32_e32 v34, 0xff
	;; [unrolled: 1-line block ×4, first 2 shown]
	v_mul_f32_e32 v0, 0x4f7ffffe, v0
	v_mov_b32_e32 v22, 0
	v_mov_b32_e32 v23, 0
	;; [unrolled: 1-line block ×4, first 2 shown]
	v_cvt_u32_f32_e32 v0, v0
	v_mov_b32_e32 v28, 0
	v_mov_b32_e32 v29, 0
	;; [unrolled: 1-line block ×4, first 2 shown]
	s_mov_b32 s9, s17
	s_mov_b32 s12, 0
	s_waitcnt vmcnt(0)
	v_lshl_add_u32 v26, v4, 5, 0x220
	v_mul_lo_u32 v4, s4, v0
	s_lshl_b64 s[4:5], s[36:37], 2
	s_add_u32 s0, s34, s4
	s_addc_u32 s4, s35, s5
	v_add_co_u32 v13, vcc_lo, s0, v1
	v_add_co_ci_u32_e64 v14, null, s4, v2, vcc_lo
	v_mul_hi_u32 v4, v0, v4
	s_mov_b32 s4, -1
	s_mov_b32 s5, 0xffffff
	v_add_nc_u32_e32 v39, v0, v4
	s_branch .LBB339_554
.LBB339_552:                            ;   in Loop: Header=BB339_554 Depth=1
	s_or_b32 exec_lo, exec_lo, s0
	v_bfe_u32 v0, v5, 16, 1
	v_or_b32_e32 v35, 0x400000, v5
	v_bfe_u32 v53, v6, 16, 1
	v_cmp_u_f32_e32 vcc_lo, v5, v5
	v_bfe_u32 v54, v7, 16, 1
	v_add3_u32 v0, v0, v5, 0x7fff
	v_or_b32_e32 v55, 0x400000, v6
	v_add3_u32 v53, v53, v6, 0x7fff
	v_or_b32_e32 v56, 0x400000, v7
	v_add3_u32 v54, v54, v7, 0x7fff
	v_cndmask_b32_e32 v0, v0, v35, vcc_lo
	v_cmp_u_f32_e32 vcc_lo, v6, v6
	v_bfe_u32 v5, v8, 16, 1
	v_bfe_u32 v35, v1, 16, 1
	v_lshlrev_b32_e32 v80, 16, v80
	v_lshlrev_b32_e32 v79, 16, v79
	v_cndmask_b32_e32 v6, v53, v55, vcc_lo
	v_cmp_u_f32_e32 vcc_lo, v7, v7
	v_add3_u32 v5, v5, v8, 0x7fff
	v_or_b32_e32 v53, 0x400000, v8
	v_add3_u32 v35, v35, v1, 0x7fff
	v_bfe_u32 v55, v2, 16, 1
	v_cndmask_b32_e32 v7, v54, v56, vcc_lo
	v_cmp_u_f32_e32 vcc_lo, v8, v8
	v_or_b32_e32 v54, 0x400000, v1
	v_lshlrev_b32_e32 v56, 16, v100
	v_lshlrev_b32_e32 v83, 16, v83
	;; [unrolled: 1-line block ×3, first 2 shown]
	v_cndmask_b32_e32 v5, v5, v53, vcc_lo
	v_cmp_u_f32_e32 vcc_lo, v1, v1
	v_or_b32_e32 v53, 0x400000, v2
	v_and_b32_e32 v1, 0xffff0000, v6
	v_lshlrev_b32_e32 v6, 16, v103
	v_and_b32_e32 v5, 0xffff0000, v5
	v_cndmask_b32_e32 v8, v35, v54, vcc_lo
	v_add3_u32 v35, v55, v2, 0x7fff
	v_bfe_u32 v54, v3, 16, 1
	v_cmp_u_f32_e32 vcc_lo, v2, v2
	v_bfe_u32 v55, v4, 16, 1
	v_mul_f32_e32 v6, v1, v6
	v_and_b32_e32 v2, 0xffff0000, v0
	v_lshlrev_b32_e32 v0, 16, v102
	v_cndmask_b32_e32 v35, v35, v53, vcc_lo
	v_add3_u32 v53, v54, v3, 0x7fff
	v_or_b32_e32 v54, 0x400000, v3
	v_cmp_u_f32_e32 vcc_lo, v3, v3
	v_add3_u32 v3, v55, v4, 0x7fff
	v_bfe_u32 v55, v6, 16, 1
	v_mul_f32_e32 v0, v2, v0
	v_mul_f32_e32 v56, v5, v56
	v_cndmask_b32_e32 v53, v53, v54, vcc_lo
	v_or_b32_e32 v54, 0x400000, v4
	v_cmp_u_f32_e32 vcc_lo, v4, v4
	v_bfe_u32 v57, v0, 16, 1
	v_and_b32_e32 v4, 0xffff0000, v7
	v_lshlrev_b32_e32 v7, 16, v101
	v_bfe_u32 v58, v56, 16, 1
	v_cndmask_b32_e32 v3, v3, v54, vcc_lo
	v_add3_u32 v54, v55, v6, 0x7fff
	v_or_b32_e32 v55, 0x400000, v6
	v_cmp_u_f32_e32 vcc_lo, v6, v6
	v_mul_f32_e32 v59, v4, v7
	v_and_b32_e32 v6, 0xffff0000, v35
	v_lshlrev_b32_e32 v7, 16, v95
	v_add3_u32 v35, v58, v56, 0x7fff
	v_cndmask_b32_e32 v54, v54, v55, vcc_lo
	v_add3_u32 v55, v57, v0, 0x7fff
	v_or_b32_e32 v57, 0x400000, v0
	v_cmp_u_f32_e32 vcc_lo, v0, v0
	v_mul_f32_e32 v58, v6, v7
	v_and_b32_e32 v7, 0xffff0000, v8
	v_lshlrev_b32_e32 v8, 16, v20
	v_and_b32_e32 v3, 0xffff0000, v3
	v_cndmask_b32_e32 v0, v55, v57, vcc_lo
	v_or_b32_e32 v55, 0x400000, v56
	v_bfe_u32 v57, v59, 16, 1
	v_cmp_u_f32_e32 vcc_lo, v56, v56
	v_bfe_u32 v56, v58, 16, 1
	v_or_b32_e32 v95, 0x400000, v58
	v_and_b32_e32 v0, 0xffff0000, v0
	v_and_b32_e32 v54, 0xffff0000, v54
	v_cndmask_b32_e32 v20, v35, v55, vcc_lo
	v_add3_u32 v35, v57, v59, 0x7fff
	v_mul_f32_e32 v57, v7, v8
	v_lshlrev_b32_e32 v8, 16, v99
	v_or_b32_e32 v55, 0x400000, v59
	v_cmp_u_f32_e32 vcc_lo, v59, v59
	v_and_b32_e32 v20, 0xffff0000, v20
	v_add_f32_e32 v0, v0, v54
	v_mul_f32_e32 v59, v3, v8
	v_and_b32_e32 v8, 0xffff0000, v53
	v_lshlrev_b32_e32 v53, 16, v98
	v_cndmask_b32_e32 v35, v35, v55, vcc_lo
	v_add3_u32 v55, v56, v58, 0x7fff
	v_bfe_u32 v56, v57, 16, 1
	v_cmp_u_f32_e32 vcc_lo, v58, v58
	v_mul_f32_e32 v53, v8, v53
	v_or_b32_e32 v98, 0x400000, v57
	v_bfe_u32 v99, v59, 16, 1
	v_add3_u32 v56, v56, v57, 0x7fff
	v_cndmask_b32_e32 v55, v55, v95, vcc_lo
	v_cmp_u_f32_e32 vcc_lo, v57, v57
	v_bfe_u32 v58, v53, 16, 1
	v_and_b32_e32 v35, 0xffff0000, v35
	v_add3_u32 v57, v99, v59, 0x7fff
	v_or_b32_e32 v95, 0x400000, v59
	v_cndmask_b32_e32 v56, v56, v98, vcc_lo
	v_add3_u32 v58, v58, v53, 0x7fff
	v_or_b32_e32 v98, 0x400000, v53
	v_cmp_u_f32_e32 vcc_lo, v53, v53
	v_add_f32_e32 v20, v35, v20
	v_and_b32_e32 v35, 0xffff0000, v56
	v_and_b32_e32 v54, 0xffff0000, v55
	v_mul_f32_e32 v80, v6, v80
	v_cndmask_b32_e32 v53, v58, v98, vcc_lo
	v_cmp_u_f32_e32 vcc_lo, v59, v59
	v_add_f32_e32 v0, v20, v0
	v_add_f32_e32 v20, v35, v54
	v_lshlrev_b32_e32 v35, 16, v94
	v_and_b32_e32 v53, 0xffff0000, v53
	v_cndmask_b32_e32 v55, v57, v95, vcc_lo
	v_lshlrev_b32_e32 v54, 16, v93
	v_add_f32_e32 v0, v20, v0
	v_mul_f32_e32 v35, v1, v35
	v_lshlrev_b32_e32 v59, 16, v92
	v_and_b32_e32 v55, 0xffff0000, v55
	v_mul_f32_e32 v20, v2, v54
	v_lshlrev_b32_e32 v54, 16, v90
	v_cmp_u_f32_e32 vcc_lo, v35, v35
	v_mul_f32_e32 v79, v7, v79
	v_add_f32_e32 v53, v53, v55
	v_bfe_u32 v55, v35, 16, 1
	v_bfe_u32 v56, v20, 16, 1
	v_or_b32_e32 v57, 0x400000, v20
	v_mul_f32_e32 v81, v8, v81
	v_add_f32_e32 v0, v53, v0
	v_mul_f32_e32 v53, v5, v54
	v_add3_u32 v54, v55, v35, 0x7fff
	v_or_b32_e32 v55, 0x400000, v35
	v_add3_u32 v56, v56, v20, 0x7fff
	v_add_f32_e32 v23, v23, v0
	v_bfe_u32 v58, v53, 16, 1
	v_lshlrev_b32_e32 v65, 16, v65
	v_cndmask_b32_e32 v35, v54, v55, vcc_lo
	v_cmp_u_f32_e32 vcc_lo, v20, v20
	v_mul_f32_e32 v54, v4, v59
	v_add3_u32 v55, v58, v53, 0x7fff
	v_lshlrev_b32_e32 v58, 16, v88
	v_and_b32_e32 v35, 0xffff0000, v35
	v_cndmask_b32_e32 v20, v56, v57, vcc_lo
	v_or_b32_e32 v56, 0x400000, v53
	v_lshlrev_b32_e32 v57, 16, v87
	v_cmp_u_f32_e32 vcc_lo, v53, v53
	v_bfe_u32 v59, v54, 16, 1
	v_and_b32_e32 v20, 0xffff0000, v20
	v_lshlrev_b32_e32 v60, 16, v60
	v_lshlrev_b32_e32 v48, 16, v48
	v_cndmask_b32_e32 v53, v55, v56, vcc_lo
	v_mul_f32_e32 v55, v6, v57
	v_mul_f32_e32 v56, v7, v58
	v_add3_u32 v57, v59, v54, 0x7fff
	v_or_b32_e32 v58, 0x400000, v54
	v_lshlrev_b32_e32 v59, 16, v91
	v_bfe_u32 v87, v55, 16, 1
	v_cmp_u_f32_e32 vcc_lo, v54, v54
	v_bfe_u32 v88, v56, 16, 1
	v_and_b32_e32 v53, 0xffff0000, v53
	v_add_f32_e32 v20, v20, v35
	v_lshlrev_b32_e32 v49, 16, v49
	v_cndmask_b32_e32 v54, v57, v58, vcc_lo
	v_mul_f32_e32 v57, v3, v59
	v_add3_u32 v58, v87, v55, 0x7fff
	v_or_b32_e32 v59, 0x400000, v55
	v_cmp_u_f32_e32 vcc_lo, v55, v55
	v_add3_u32 v87, v88, v56, 0x7fff
	v_or_b32_e32 v88, 0x400000, v56
	v_bfe_u32 v90, v57, 16, 1
	v_and_b32_e32 v54, 0xffff0000, v54
	v_cndmask_b32_e32 v55, v58, v59, vcc_lo
	v_lshlrev_b32_e32 v58, 16, v89
	v_cmp_u_f32_e32 vcc_lo, v56, v56
	v_add3_u32 v59, v90, v57, 0x7fff
	v_add_f32_e32 v35, v54, v53
	v_lshlrev_b32_e32 v54, 16, v86
	v_mul_f32_e32 v58, v8, v58
	v_cndmask_b32_e32 v56, v87, v88, vcc_lo
	v_or_b32_e32 v87, 0x400000, v57
	v_cmp_u_f32_e32 vcc_lo, v57, v57
	v_and_b32_e32 v55, 0xffff0000, v55
	v_add_f32_e32 v20, v35, v20
	v_and_b32_e32 v53, 0xffff0000, v56
	v_mul_f32_e32 v35, v1, v54
	v_cndmask_b32_e32 v57, v59, v87, vcc_lo
	v_bfe_u32 v59, v58, 16, 1
	v_lshlrev_b32_e32 v54, 16, v85
	v_add_f32_e32 v53, v53, v55
	v_cmp_u_f32_e32 vcc_lo, v58, v58
	v_bfe_u32 v86, v81, 16, 1
	v_add3_u32 v56, v59, v58, 0x7fff
	v_or_b32_e32 v59, 0x400000, v58
	v_add_f32_e32 v20, v53, v20
	v_mul_f32_e32 v53, v2, v54
	v_lshlrev_b32_e32 v54, 16, v82
	v_or_b32_e32 v58, 0x400000, v35
	v_cndmask_b32_e32 v55, v56, v59, vcc_lo
	v_bfe_u32 v56, v35, 16, 1
	v_bfe_u32 v59, v53, 16, 1
	v_mul_f32_e32 v54, v5, v54
	v_lshlrev_b32_e32 v82, 16, v84
	v_cmp_u_f32_e32 vcc_lo, v35, v35
	v_add3_u32 v56, v56, v35, 0x7fff
	v_or_b32_e32 v84, 0x400000, v79
	v_and_b32_e32 v55, 0xffff0000, v55
	v_mul_f32_e32 v82, v4, v82
	v_and_b32_e32 v57, 0xffff0000, v57
	v_cndmask_b32_e32 v35, v56, v58, vcc_lo
	v_add3_u32 v56, v59, v53, 0x7fff
	v_or_b32_e32 v58, 0x400000, v53
	v_bfe_u32 v59, v54, 16, 1
	v_cmp_u_f32_e32 vcc_lo, v53, v53
	v_and_b32_e32 v35, 0xffff0000, v35
	v_add_f32_e32 v55, v55, v57
	v_lshlrev_b32_e32 v57, 16, v77
	v_mul_f32_e32 v48, v6, v48
	v_cndmask_b32_e32 v53, v56, v58, vcc_lo
	v_add3_u32 v56, v59, v54, 0x7fff
	v_or_b32_e32 v58, 0x400000, v54
	v_bfe_u32 v59, v82, 16, 1
	v_cmp_u_f32_e32 vcc_lo, v54, v54
	v_and_b32_e32 v53, 0xffff0000, v53
	v_add_f32_e32 v20, v55, v20
	v_mul_f32_e32 v55, v2, v57
	v_lshlrev_b32_e32 v57, 16, v76
	v_cndmask_b32_e32 v54, v56, v58, vcc_lo
	v_add3_u32 v56, v59, v82, 0x7fff
	v_or_b32_e32 v58, 0x400000, v82
	v_bfe_u32 v59, v80, 16, 1
	v_cmp_u_f32_e32 vcc_lo, v82, v82
	v_mul_f32_e32 v82, v3, v83
	v_or_b32_e32 v83, 0x400000, v80
	v_and_b32_e32 v54, 0xffff0000, v54
	v_add3_u32 v59, v59, v80, 0x7fff
	v_cndmask_b32_e32 v56, v56, v58, vcc_lo
	v_bfe_u32 v58, v79, 16, 1
	v_cmp_u_f32_e32 vcc_lo, v80, v80
	v_bfe_u32 v85, v82, 16, 1
	v_add3_u32 v80, v86, v81, 0x7fff
	v_and_b32_e32 v56, 0xffff0000, v56
	v_add3_u32 v58, v58, v79, 0x7fff
	v_cndmask_b32_e32 v59, v59, v83, vcc_lo
	v_cmp_u_f32_e32 vcc_lo, v79, v79
	v_or_b32_e32 v83, 0x400000, v81
	v_add3_u32 v79, v85, v82, 0x7fff
	v_add_f32_e32 v35, v53, v35
	v_add_f32_e32 v53, v56, v54
	v_cndmask_b32_e32 v58, v58, v84, vcc_lo
	v_cmp_u_f32_e32 vcc_lo, v81, v81
	v_or_b32_e32 v84, 0x400000, v82
	v_and_b32_e32 v56, 0xffff0000, v59
	v_add_f32_e32 v35, v53, v35
	v_and_b32_e32 v54, 0xffff0000, v58
	v_cndmask_b32_e32 v80, v80, v83, vcc_lo
	v_cmp_u_f32_e32 vcc_lo, v82, v82
	v_add_f32_e32 v24, v24, v20
	v_bfe_u32 v20, v55, 16, 1
	v_add_f32_e32 v53, v54, v56
	v_and_b32_e32 v54, 0xffff0000, v80
	v_cndmask_b32_e32 v58, v79, v84, vcc_lo
	v_lshlrev_b32_e32 v59, 16, v75
	v_add3_u32 v20, v20, v55, 0x7fff
	v_add_f32_e32 v35, v53, v35
	v_mul_f32_e32 v49, v7, v49
	v_and_b32_e32 v56, 0xffff0000, v58
	v_lshlrev_b32_e32 v58, 16, v78
	v_lshlrev_b32_e32 v52, 16, v52
	;; [unrolled: 1-line block ×4, first 2 shown]
	v_add_f32_e32 v53, v54, v56
	v_mul_f32_e32 v54, v1, v58
	v_or_b32_e32 v56, 0x400000, v55
	v_mul_f32_e32 v52, v3, v52
	v_mul_f32_e32 v50, v8, v50
	v_add_f32_e32 v0, v53, v35
	v_bfe_u32 v35, v54, 16, 1
	v_lshlrev_b32_e32 v53, 16, v74
	v_cmp_u_f32_e32 vcc_lo, v54, v54
	v_lshlrev_b32_e32 v46, 16, v46
	v_add_f32_e32 v27, v27, v0
	v_add3_u32 v0, v35, v54, 0x7fff
	v_or_b32_e32 v35, 0x400000, v54
	v_mul_f32_e32 v53, v5, v53
	v_mul_f32_e32 v54, v4, v57
	v_lshlrev_b32_e32 v57, 16, v72
	v_lshlrev_b32_e32 v43, 16, v43
	v_cndmask_b32_e32 v0, v0, v35, vcc_lo
	v_bfe_u32 v35, v53, 16, 1
	v_cmp_u_f32_e32 vcc_lo, v55, v55
	v_lshlrev_b32_e32 v55, 16, v71
	v_bfe_u32 v58, v54, 16, 1
	v_and_b32_e32 v0, 0xffff0000, v0
	v_add3_u32 v35, v35, v53, 0x7fff
	v_cndmask_b32_e32 v20, v20, v56, vcc_lo
	v_or_b32_e32 v56, 0x400000, v53
	v_mul_f32_e32 v55, v6, v55
	v_cmp_u_f32_e32 vcc_lo, v53, v53
	v_mul_f32_e32 v53, v7, v57
	v_or_b32_e32 v57, 0x400000, v54
	v_and_b32_e32 v20, 0xffff0000, v20
	v_mul_f32_e32 v46, v2, v46
	v_cndmask_b32_e32 v35, v35, v56, vcc_lo
	v_add3_u32 v56, v58, v54, 0x7fff
	v_bfe_u32 v58, v55, 16, 1
	v_bfe_u32 v71, v53, 16, 1
	v_cmp_u_f32_e32 vcc_lo, v54, v54
	v_or_b32_e32 v72, 0x400000, v53
	v_and_b32_e32 v35, 0xffff0000, v35
	v_add_f32_e32 v0, v20, v0
	v_mul_f32_e32 v43, v5, v43
	v_cndmask_b32_e32 v54, v56, v57, vcc_lo
	v_add3_u32 v56, v58, v55, 0x7fff
	v_mul_f32_e32 v57, v3, v59
	v_or_b32_e32 v58, 0x400000, v55
	v_add3_u32 v59, v71, v53, 0x7fff
	v_lshlrev_b32_e32 v71, 16, v73
	v_cmp_u_f32_e32 vcc_lo, v55, v55
	v_bfe_u32 v73, v57, 16, 1
	v_and_b32_e32 v54, 0xffff0000, v54
	v_lshlrev_b32_e32 v45, 16, v45
	v_lshlrev_b32_e32 v41, 16, v41
	v_cndmask_b32_e32 v55, v56, v58, vcc_lo
	v_mul_f32_e32 v56, v8, v71
	v_cmp_u_f32_e32 vcc_lo, v53, v53
	v_add3_u32 v58, v73, v57, 0x7fff
	v_add_f32_e32 v20, v54, v35
	v_lshlrev_b32_e32 v54, 16, v70
	v_bfe_u32 v71, v56, 16, 1
	v_cndmask_b32_e32 v53, v59, v72, vcc_lo
	v_or_b32_e32 v59, 0x400000, v57
	v_cmp_u_f32_e32 vcc_lo, v57, v57
	v_mul_f32_e32 v54, v1, v54
	v_add_f32_e32 v0, v20, v0
	v_and_b32_e32 v35, 0xffff0000, v53
	v_and_b32_e32 v53, 0xffff0000, v55
	v_cndmask_b32_e32 v57, v58, v59, vcc_lo
	v_add3_u32 v58, v71, v56, 0x7fff
	v_or_b32_e32 v59, 0x400000, v56
	v_cmp_u_f32_e32 vcc_lo, v56, v56
	v_lshlrev_b32_e32 v55, 16, v69
	v_add_f32_e32 v20, v35, v53
	v_mul_f32_e32 v45, v4, v45
	v_mul_f32_e32 v41, v6, v41
	v_cndmask_b32_e32 v56, v58, v59, vcc_lo
	v_mul_f32_e32 v35, v2, v55
	v_and_b32_e32 v55, 0xffff0000, v57
	v_lshlrev_b32_e32 v57, 16, v66
	v_add_f32_e32 v20, v20, v0
	v_and_b32_e32 v53, 0xffff0000, v56
	v_bfe_u32 v56, v54, 16, 1
	v_bfe_u32 v0, v35, 16, 1
	v_mul_f32_e32 v57, v5, v57
	v_lshlrev_b32_e32 v59, 16, v68
	v_add_f32_e32 v53, v53, v55
	v_add3_u32 v55, v56, v54, 0x7fff
	v_or_b32_e32 v56, 0x400000, v54
	v_cmp_u_f32_e32 vcc_lo, v54, v54
	v_add3_u32 v0, v0, v35, 0x7fff
	v_or_b32_e32 v58, 0x400000, v35
	v_lshlrev_b32_e32 v40, 16, v40
	v_lshlrev_b32_e32 v44, 16, v44
	v_cndmask_b32_e32 v54, v55, v56, vcc_lo
	v_bfe_u32 v55, v57, 16, 1
	v_cmp_u_f32_e32 vcc_lo, v35, v35
	v_mul_f32_e32 v35, v4, v59
	v_lshlrev_b32_e32 v56, 16, v63
	v_lshlrev_b32_e32 v59, 16, v64
	v_add3_u32 v55, v55, v57, 0x7fff
	v_cndmask_b32_e32 v0, v0, v58, vcc_lo
	v_or_b32_e32 v58, 0x400000, v57
	v_bfe_u32 v63, v35, 16, 1
	v_mul_f32_e32 v56, v6, v56
	v_cmp_u_f32_e32 vcc_lo, v57, v57
	v_mul_f32_e32 v57, v7, v59
	v_or_b32_e32 v59, 0x400000, v35
	v_lshlrev_b32_e32 v64, 16, v67
	v_and_b32_e32 v0, 0xffff0000, v0
	v_cndmask_b32_e32 v55, v55, v58, vcc_lo
	v_add3_u32 v58, v63, v35, 0x7fff
	v_bfe_u32 v63, v56, 16, 1
	v_cmp_u_f32_e32 vcc_lo, v35, v35
	v_bfe_u32 v66, v57, 16, 1
	v_and_b32_e32 v54, 0xffff0000, v54
	v_and_b32_e32 v55, 0xffff0000, v55
	v_mul_f32_e32 v40, v7, v40
	v_cndmask_b32_e32 v35, v58, v59, vcc_lo
	v_add3_u32 v58, v63, v56, 0x7fff
	v_mul_f32_e32 v59, v3, v64
	v_or_b32_e32 v63, 0x400000, v56
	v_cmp_u_f32_e32 vcc_lo, v56, v56
	v_add3_u32 v64, v66, v57, 0x7fff
	v_or_b32_e32 v66, 0x400000, v57
	v_bfe_u32 v67, v59, 16, 1
	v_and_b32_e32 v35, 0xffff0000, v35
	v_cndmask_b32_e32 v56, v58, v63, vcc_lo
	v_mul_f32_e32 v58, v8, v65
	v_cmp_u_f32_e32 vcc_lo, v57, v57
	v_add3_u32 v63, v67, v59, 0x7fff
	v_add_f32_e32 v0, v0, v54
	v_add_f32_e32 v35, v35, v55
	v_bfe_u32 v65, v58, 16, 1
	v_cndmask_b32_e32 v57, v64, v66, vcc_lo
	v_or_b32_e32 v64, 0x400000, v59
	v_cmp_u_f32_e32 vcc_lo, v59, v59
	v_and_b32_e32 v55, 0xffff0000, v56
	v_lshlrev_b32_e32 v56, 16, v62
	v_and_b32_e32 v54, 0xffff0000, v57
	v_add_f32_e32 v0, v35, v0
	v_cndmask_b32_e32 v59, v63, v64, vcc_lo
	v_add3_u32 v63, v65, v58, 0x7fff
	v_or_b32_e32 v64, 0x400000, v58
	v_cmp_u_f32_e32 vcc_lo, v58, v58
	v_lshlrev_b32_e32 v58, 16, v61
	v_add_f32_e32 v35, v54, v55
	v_mul_f32_e32 v55, v1, v56
	v_mul_f32_e32 v44, v3, v44
	v_cndmask_b32_e32 v57, v63, v64, vcc_lo
	v_mul_f32_e32 v56, v2, v58
	v_lshlrev_b32_e32 v58, 16, v51
	v_add_f32_e32 v51, v35, v0
	v_cmp_u_f32_e32 vcc_lo, v55, v55
	v_and_b32_e32 v54, 0xffff0000, v57
	v_and_b32_e32 v57, 0xffff0000, v59
	v_bfe_u32 v59, v55, 16, 1
	v_bfe_u32 v0, v56, 16, 1
	v_mul_f32_e32 v35, v5, v58
	v_or_b32_e32 v58, 0x400000, v55
	v_add_f32_e32 v54, v54, v57
	v_add3_u32 v57, v59, v55, 0x7fff
	v_add3_u32 v0, v0, v56, 0x7fff
	v_or_b32_e32 v59, 0x400000, v56
	v_bfe_u32 v61, v35, 16, 1
	v_lshlrev_b32_e32 v42, 16, v42
	v_cndmask_b32_e32 v55, v57, v58, vcc_lo
	v_cmp_u_f32_e32 vcc_lo, v56, v56
	v_mul_f32_e32 v56, v4, v60
	v_add3_u32 v57, v61, v35, 0x7fff
	v_or_b32_e32 v58, 0x400000, v35
	v_bfe_u32 v60, v49, 16, 1
	v_cndmask_b32_e32 v0, v0, v59, vcc_lo
	v_bfe_u32 v59, v56, 16, 1
	v_cmp_u_f32_e32 vcc_lo, v35, v35
	v_bfe_u32 v61, v52, 16, 1
	v_and_b32_e32 v55, 0xffff0000, v55
	v_and_b32_e32 v0, 0xffff0000, v0
	v_mul_f32_e32 v42, v8, v42
	v_cndmask_b32_e32 v35, v57, v58, vcc_lo
	v_add3_u32 v57, v59, v56, 0x7fff
	v_or_b32_e32 v58, 0x400000, v56
	v_bfe_u32 v59, v48, 16, 1
	v_cmp_u_f32_e32 vcc_lo, v56, v56
	v_and_b32_e32 v35, 0xffff0000, v35
	v_add_f32_e32 v0, v0, v55
	v_lshlrev_b32_e32 v17, 16, v17
	v_lshlrev_b32_e32 v15, 16, v15
	v_cndmask_b32_e32 v56, v57, v58, vcc_lo
	v_add3_u32 v57, v59, v48, 0x7fff
	v_or_b32_e32 v58, 0x400000, v48
	v_cmp_u_f32_e32 vcc_lo, v48, v48
	v_add3_u32 v59, v60, v49, 0x7fff
	v_or_b32_e32 v60, 0x400000, v49
	v_and_b32_e32 v56, 0xffff0000, v56
	v_mul_f32_e32 v5, v5, v17
	v_cndmask_b32_e32 v48, v57, v58, vcc_lo
	v_cmp_u_f32_e32 vcc_lo, v49, v49
	v_add3_u32 v57, v61, v52, 0x7fff
	v_or_b32_e32 v58, 0x400000, v52
	v_add_f32_e32 v35, v56, v35
	v_and_b32_e32 v48, 0xffff0000, v48
	v_cndmask_b32_e32 v49, v59, v60, vcc_lo
	v_cmp_u_f32_e32 vcc_lo, v52, v52
	v_or_b32_e32 v56, 0x400000, v50
	v_add_f32_e32 v0, v35, v0
	v_mul_f32_e32 v35, v1, v47
	v_and_b32_e32 v49, 0xffff0000, v49
	v_cndmask_b32_e32 v52, v57, v58, vcc_lo
	v_bfe_u32 v57, v50, 16, 1
	v_cmp_u_f32_e32 vcc_lo, v50, v50
	v_lshlrev_b32_e32 v17, 16, v19
	v_add_f32_e32 v47, v49, v48
	v_bfe_u32 v49, v35, 16, 1
	v_add3_u32 v55, v57, v50, 0x7fff
	v_and_b32_e32 v50, 0xffff0000, v52
	v_bfe_u32 v52, v46, 16, 1
	v_add_f32_e32 v0, v47, v0
	v_mul_f32_e32 v4, v4, v17
	v_cndmask_b32_e32 v48, v55, v56, vcc_lo
	v_cmp_u_f32_e32 vcc_lo, v35, v35
	v_or_b32_e32 v55, 0x400000, v43
	v_mul_f32_e32 v6, v6, v15
	v_lshlrev_b32_e32 v9, 16, v9
	v_and_b32_e32 v47, 0xffff0000, v48
	v_add3_u32 v48, v49, v35, 0x7fff
	v_or_b32_e32 v49, 0x400000, v35
	v_lshlrev_b32_e32 v16, 16, v16
	v_mul_f32_e32 v7, v7, v9
	v_lshlrev_b32_e32 v9, 16, v18
	v_cndmask_b32_e32 v35, v48, v49, vcc_lo
	v_bfe_u32 v48, v43, 16, 1
	v_add3_u32 v49, v52, v46, 0x7fff
	v_or_b32_e32 v52, 0x400000, v46
	v_cmp_u_f32_e32 vcc_lo, v46, v46
	v_and_b32_e32 v35, 0xffff0000, v35
	v_add3_u32 v48, v48, v43, 0x7fff
	v_mul_f32_e32 v3, v3, v9
	v_mul_f32_e32 v8, v8, v16
	v_cndmask_b32_e32 v46, v49, v52, vcc_lo
	v_bfe_u32 v49, v45, 16, 1
	v_cmp_u_f32_e32 vcc_lo, v43, v43
	v_or_b32_e32 v52, 0x400000, v45
	v_or_b32_e32 v9, 0x400000, v6
	v_and_b32_e32 v46, 0xffff0000, v46
	v_add3_u32 v49, v49, v45, 0x7fff
	v_cndmask_b32_e32 v43, v48, v55, vcc_lo
	v_bfe_u32 v48, v41, 16, 1
	v_cmp_u_f32_e32 vcc_lo, v45, v45
	v_or_b32_e32 v55, 0x400000, v41
	v_add_f32_e32 v35, v46, v35
	v_and_b32_e32 v43, 0xffff0000, v43
	v_add3_u32 v48, v48, v41, 0x7fff
	v_cndmask_b32_e32 v45, v49, v52, vcc_lo
	v_bfe_u32 v49, v40, 16, 1
	v_cmp_u_f32_e32 vcc_lo, v41, v41
	v_bfe_u32 v52, v44, 16, 1
	v_or_b32_e32 v16, 0x400000, v7
	v_and_b32_e32 v45, 0xffff0000, v45
	v_bfe_u32 v18, v3, 16, 1
	v_cndmask_b32_e32 v41, v48, v55, vcc_lo
	v_add3_u32 v48, v49, v40, 0x7fff
	v_or_b32_e32 v49, 0x400000, v40
	v_cmp_u_f32_e32 vcc_lo, v40, v40
	v_add3_u32 v52, v52, v44, 0x7fff
	v_or_b32_e32 v55, 0x400000, v44
	v_add_f32_e32 v43, v45, v43
	v_lshlrev_b32_e32 v45, 16, v96
	v_cndmask_b32_e32 v40, v48, v49, vcc_lo
	v_cmp_u_f32_e32 vcc_lo, v44, v44
	v_bfe_u32 v48, v42, 16, 1
	v_or_b32_e32 v49, 0x400000, v42
	v_and_b32_e32 v41, 0xffff0000, v41
	v_and_b32_e32 v40, 0xffff0000, v40
	v_cndmask_b32_e32 v44, v52, v55, vcc_lo
	v_lshlrev_b32_e32 v52, 16, v97
	v_add3_u32 v48, v48, v42, 0x7fff
	v_cmp_u_f32_e32 vcc_lo, v42, v42
	v_add_f32_e32 v35, v43, v35
	v_mul_f32_e32 v2, v2, v45
	v_mul_f32_e32 v1, v1, v52
	v_add_f32_e32 v40, v40, v41
	v_cndmask_b32_e32 v42, v48, v49, vcc_lo
	v_bfe_u32 v45, v2, 16, 1
	v_bfe_u32 v43, v1, 16, 1
	v_cmp_u_f32_e32 vcc_lo, v1, v1
	v_and_b32_e32 v41, 0xffff0000, v42
	v_add3_u32 v19, v45, v2, 0x7fff
	v_add3_u32 v42, v43, v1, 0x7fff
	v_or_b32_e32 v43, 0x400000, v1
	v_cndmask_b32_e32 v1, v42, v43, vcc_lo
	v_or_b32_e32 v42, 0x400000, v2
	v_bfe_u32 v43, v5, 16, 1
	v_cmp_u_f32_e32 vcc_lo, v2, v2
	v_and_b32_e32 v1, 0xffff0000, v1
	v_add3_u32 v17, v43, v5, 0x7fff
	v_cndmask_b32_e32 v2, v19, v42, vcc_lo
	v_or_b32_e32 v19, 0x400000, v5
	v_bfe_u32 v42, v4, 16, 1
	v_cmp_u_f32_e32 vcc_lo, v5, v5
	v_and_b32_e32 v2, 0xffff0000, v2
	v_add3_u32 v15, v42, v4, 0x7fff
	v_cndmask_b32_e32 v5, v17, v19, vcc_lo
	v_or_b32_e32 v17, 0x400000, v4
	v_bfe_u32 v19, v6, 16, 1
	v_cmp_u_f32_e32 vcc_lo, v4, v4
	v_add_f32_e32 v1, v2, v1
	v_and_b32_e32 v5, 0xffff0000, v5
	v_cndmask_b32_e32 v4, v15, v17, vcc_lo
	v_bfe_u32 v15, v7, 16, 1
	v_add3_u32 v17, v19, v6, 0x7fff
	v_cmp_u_f32_e32 vcc_lo, v6, v6
	v_bfe_u32 v19, v8, 16, 1
	v_and_b32_e32 v4, 0xffff0000, v4
	v_add3_u32 v15, v15, v7, 0x7fff
	v_cndmask_b32_e32 v6, v17, v9, vcc_lo
	v_cmp_u_f32_e32 vcc_lo, v7, v7
	v_add3_u32 v9, v18, v3, 0x7fff
	v_or_b32_e32 v17, 0x400000, v3
	v_add_f32_e32 v2, v4, v5
	v_and_b32_e32 v5, 0xffff0000, v6
	v_cndmask_b32_e32 v7, v15, v16, vcc_lo
	v_add3_u32 v15, v19, v8, 0x7fff
	v_or_b32_e32 v16, 0x400000, v8
	v_cmp_u_f32_e32 vcc_lo, v8, v8
	v_and_b32_e32 v6, 0xffff0000, v44
	v_and_b32_e32 v4, 0xffff0000, v7
	v_add_f32_e32 v1, v2, v1
	v_add_f32_e32 v7, v40, v35
	v_cndmask_b32_e32 v8, v15, v16, vcc_lo
	v_cmp_u_f32_e32 vcc_lo, v3, v3
	v_add_f32_e32 v2, v4, v5
	v_add_f32_e32 v5, v47, v50
	v_add_f32_e32 v6, v41, v6
	v_and_b32_e32 v4, 0xffff0000, v8
	v_cndmask_b32_e32 v3, v9, v17, vcc_lo
	v_add_f32_e32 v1, v2, v1
	v_add_f32_e32 v0, v5, v0
	;; [unrolled: 1-line block ×3, first 2 shown]
	v_and_b32_e32 v3, 0xffff0000, v3
	v_add_f32_e32 v30, v30, v0
	v_add_f32_e32 v31, v31, v5
	;; [unrolled: 1-line block ×9, first 2 shown]
.LBB339_553:                            ;   in Loop: Header=BB339_554 Depth=1
	s_or_b32 exec_lo, exec_lo, s13
	v_add_nc_u32_e32 v25, 4, v25
	v_add_co_u32 v13, s0, v13, 16
	v_add_co_ci_u32_e64 v14, null, 0, v14, s0
	v_cmp_le_i32_e32 vcc_lo, s20, v25
	v_add_nc_u32_e32 v36, 32, v36
	v_add_nc_u32_e32 v26, 0x80, v26
	s_or_b32 s12, vcc_lo, s12
	s_andn2_b32 exec_lo, exec_lo, s12
	s_cbranch_execz .LBB339_1051
.LBB339_554:                            ; =>This Inner Loop Header: Depth=1
	v_sub_nc_u32_e32 v0, 0, v36
	v_max_i32_e32 v0, v36, v0
	v_mul_hi_u32 v1, v0, s16
	v_mul_lo_u32 v2, v1, s11
	v_sub_nc_u32_e32 v0, v0, v2
	v_add_nc_u32_e32 v2, 1, v1
	v_subrev_nc_u32_e32 v3, s11, v0
	v_cmp_le_u32_e32 vcc_lo, s11, v0
	v_cndmask_b32_e32 v1, v1, v2, vcc_lo
	v_cndmask_b32_e32 v0, v0, v3, vcc_lo
	v_ashrrev_i32_e32 v2, 31, v36
	v_add_nc_u32_e32 v3, 1, v1
	v_cmp_le_u32_e32 vcc_lo, s11, v0
	v_xor_b32_e32 v2, s23, v2
	v_cndmask_b32_e32 v0, v1, v3, vcc_lo
	v_xor_b32_e32 v0, v0, v2
	v_sub_nc_u32_e32 v0, v0, v2
	v_add_nc_u32_e32 v1, s19, v0
	v_cmp_lt_i32_e64 s0, s3, v0
	v_sub_nc_u32_e32 v2, 0, v1
	v_max_i32_e32 v2, v1, v2
	v_ashrrev_i32_e32 v1, 31, v1
	v_mul_hi_u32 v3, v2, v39
	v_mul_lo_u32 v3, v3, s6
	v_sub_nc_u32_e32 v2, v2, v3
	v_subrev_nc_u32_e32 v3, s6, v2
	v_cmp_le_u32_e32 vcc_lo, s6, v2
	v_cndmask_b32_e32 v2, v2, v3, vcc_lo
	v_subrev_nc_u32_e32 v3, s6, v2
	v_cmp_le_u32_e32 vcc_lo, s6, v2
	v_cndmask_b32_e32 v2, v2, v3, vcc_lo
	v_xor_b32_e32 v2, v2, v1
	v_sub_nc_u32_e32 v1, v2, v1
	v_cmp_eq_u32_e32 vcc_lo, 0, v1
	s_or_b32 s0, vcc_lo, s0
	s_and_saveexec_b32 s13, s0
	s_cbranch_execz .LBB339_553
; %bb.555:                              ;   in Loop: Header=BB339_554 Depth=1
	global_load_dword v0, v[13:14], off
	v_mov_b32_e32 v40, 0
	v_mov_b32_e32 v42, 0
	s_waitcnt vmcnt(0)
	v_mad_i64_i32 v[15:16], null, v0, s9, v[11:12]
	global_load_dwordx2 v[17:18], v[15:16], off
	ds_read2_b64 v[5:8], v26 offset1:1
	ds_read2_b64 v[1:4], v26 offset0:2 offset1:3
	s_load_dword s17, s[14:15], 0x0
	s_waitcnt vmcnt(0)
	v_cmp_ne_u16_sdwa s18, v17, v10 src0_sel:BYTE_0 src1_sel:DWORD
	s_and_saveexec_b32 s0, s18
	s_cbranch_execz .LBB339_561
; %bb.556:                              ;   in Loop: Header=BB339_554 Depth=1
	v_cmp_ne_u16_sdwa s21, v17, v32 src0_sel:BYTE_0 src1_sel:DWORD
	v_bfrev_b32_e32 v42, 1
	s_and_saveexec_b32 s18, s21
	s_cbranch_execz .LBB339_560
; %bb.557:                              ;   in Loop: Header=BB339_554 Depth=1
	v_and_b32_e32 v9, 0x7f, v17
	v_mov_b32_e32 v42, 0x7f800001
	s_mov_b32 s21, exec_lo
	v_cmpx_ne_u32_e32 0x7f, v9
	s_cbranch_execz .LBB339_559
; %bb.558:                              ;   in Loop: Header=BB339_554 Depth=1
	v_and_b32_e32 v0, 7, v17
	v_cmp_gt_u32_e32 vcc_lo, 8, v9
	v_lshrrev_b32_e32 v19, 3, v9
	v_ffbh_u32_e32 v0, v0
	v_min_u32_e32 v0, 32, v0
	v_subrev_nc_u32_e32 v20, 28, v0
	v_sub_nc_u32_e32 v0, 29, v0
	v_cndmask_b32_e32 v9, 0, v20, vcc_lo
	v_cndmask_b32_e32 v0, v19, v0, vcc_lo
	v_lshlrev_b64 v[19:20], v9, v[17:18]
	v_lshlrev_b32_e32 v9, 24, v17
	v_lshl_add_u32 v0, v0, 23, 0x3c000000
	v_and_b32_e32 v9, 0x80000000, v9
	v_lshlrev_b32_e32 v19, 20, v19
	v_and_b32_e32 v19, 0x700000, v19
	v_or3_b32 v42, v19, v9, v0
.LBB339_559:                            ;   in Loop: Header=BB339_554 Depth=1
	s_or_b32 exec_lo, exec_lo, s21
.LBB339_560:                            ;   in Loop: Header=BB339_554 Depth=1
	s_or_b32 exec_lo, exec_lo, s18
.LBB339_561:                            ;   in Loop: Header=BB339_554 Depth=1
	s_or_b32 exec_lo, exec_lo, s0
	v_cmp_ne_u16_sdwa s18, v17, v10 src0_sel:BYTE_1 src1_sel:DWORD
	s_and_saveexec_b32 s0, s18
	s_cbranch_execz .LBB339_569
; %bb.562:                              ;   in Loop: Header=BB339_554 Depth=1
	v_cmp_ne_u16_sdwa s21, v17, v32 src0_sel:BYTE_1 src1_sel:DWORD
	v_bfrev_b32_e32 v40, 1
	s_and_saveexec_b32 s18, s21
	s_cbranch_execz .LBB339_568
; %bb.563:                              ;   in Loop: Header=BB339_554 Depth=1
	v_and_b32_sdwa v9, v33, v17 dst_sel:DWORD dst_unused:UNUSED_PAD src0_sel:DWORD src1_sel:BYTE_1
	v_mov_b32_e32 v40, 0x7f800001
	s_mov_b32 s21, exec_lo
	v_and_b32_e32 v20, 0x7f, v9
	v_cmpx_ne_u32_e32 0x7f, v20
	s_cbranch_execz .LBB339_567
; %bb.564:                              ;   in Loop: Header=BB339_554 Depth=1
	v_and_b32_e32 v9, 7, v9
	v_lshrrev_b32_e32 v19, 3, v20
	s_mov_b32 s22, exec_lo
	v_cmpx_gt_u32_e32 8, v20
; %bb.565:                              ;   in Loop: Header=BB339_554 Depth=1
	v_ffbh_u32_e32 v0, v9
	v_min_u32_e32 v0, 32, v0
	v_subrev_nc_u32_e32 v19, 28, v0
	v_lshlrev_b64 v[40:41], v19, v[9:10]
	v_sub_nc_u32_e32 v19, 29, v0
	v_and_b32_e32 v9, 7, v40
; %bb.566:                              ;   in Loop: Header=BB339_554 Depth=1
	s_or_b32 exec_lo, exec_lo, s22
	v_lshlrev_b32_e32 v0, 16, v17
	v_lshlrev_b32_e32 v9, 20, v9
	v_lshl_add_u32 v19, v19, 23, 0x3c000000
	v_and_b32_e32 v0, 0x80000000, v0
	v_or3_b32 v40, v9, v0, v19
.LBB339_567:                            ;   in Loop: Header=BB339_554 Depth=1
	s_or_b32 exec_lo, exec_lo, s21
.LBB339_568:                            ;   in Loop: Header=BB339_554 Depth=1
	s_or_b32 exec_lo, exec_lo, s18
.LBB339_569:                            ;   in Loop: Header=BB339_554 Depth=1
	s_or_b32 exec_lo, exec_lo, s0
	v_and_b32_sdwa v9, v17, v34 dst_sel:DWORD dst_unused:UNUSED_PAD src0_sel:WORD_1 src1_sel:DWORD
	v_mov_b32_e32 v43, 0
	v_mov_b32_e32 v41, 0
	s_mov_b32 s0, exec_lo
	v_cmpx_ne_u16_e32 0, v9
	s_cbranch_execz .LBB339_577
; %bb.570:                              ;   in Loop: Header=BB339_554 Depth=1
	v_bfrev_b32_e32 v41, 1
	s_mov_b32 s18, exec_lo
	v_cmpx_ne_u16_e32 0x80, v9
	s_cbranch_execz .LBB339_576
; %bb.571:                              ;   in Loop: Header=BB339_554 Depth=1
	v_bfe_u32 v20, v17, 16, 7
	v_mov_b32_e32 v41, 0x7f800001
	s_mov_b32 s21, exec_lo
	v_cmpx_ne_u32_e32 0x7f, v20
	s_cbranch_execz .LBB339_575
; %bb.572:                              ;   in Loop: Header=BB339_554 Depth=1
	v_and_b32_sdwa v9, v17, v37 dst_sel:DWORD dst_unused:UNUSED_PAD src0_sel:WORD_1 src1_sel:DWORD
	v_lshrrev_b32_e32 v19, 3, v20
	s_mov_b32 s22, exec_lo
	v_cmpx_gt_u32_e32 8, v20
; %bb.573:                              ;   in Loop: Header=BB339_554 Depth=1
	v_ffbh_u32_e32 v0, v9
	v_min_u32_e32 v0, 32, v0
	v_subrev_nc_u32_e32 v19, 28, v0
	v_lshlrev_b64 v[44:45], v19, v[9:10]
	v_sub_nc_u32_e32 v19, 29, v0
	v_and_b32_e32 v9, 7, v44
; %bb.574:                              ;   in Loop: Header=BB339_554 Depth=1
	s_or_b32 exec_lo, exec_lo, s22
	v_lshlrev_b32_sdwa v0, v38, v17 dst_sel:DWORD dst_unused:UNUSED_PAD src0_sel:DWORD src1_sel:WORD_1
	v_lshlrev_b32_e32 v9, 20, v9
	v_lshl_add_u32 v19, v19, 23, 0x3c000000
	v_and_b32_e32 v0, 0x80000000, v0
	v_or3_b32 v41, v9, v0, v19
.LBB339_575:                            ;   in Loop: Header=BB339_554 Depth=1
	s_or_b32 exec_lo, exec_lo, s21
.LBB339_576:                            ;   in Loop: Header=BB339_554 Depth=1
	s_or_b32 exec_lo, exec_lo, s18
.LBB339_577:                            ;   in Loop: Header=BB339_554 Depth=1
	s_or_b32 exec_lo, exec_lo, s0
	s_mov_b32 s0, exec_lo
	v_cmpx_lt_u32_e32 0xffffff, v17
	s_cbranch_execz .LBB339_585
; %bb.578:                              ;   in Loop: Header=BB339_554 Depth=1
	v_cmp_ne_u32_sdwa s21, v17, v32 src0_sel:BYTE_3 src1_sel:DWORD
	v_bfrev_b32_e32 v43, 1
	s_and_saveexec_b32 s18, s21
	s_cbranch_execz .LBB339_584
; %bb.579:                              ;   in Loop: Header=BB339_554 Depth=1
	v_bfe_u32 v20, v17, 24, 7
	v_mov_b32_e32 v43, 0x7f800001
	s_mov_b32 s21, exec_lo
	v_cmpx_ne_u32_e32 0x7f, v20
	s_cbranch_execz .LBB339_583
; %bb.580:                              ;   in Loop: Header=BB339_554 Depth=1
	v_and_b32_sdwa v9, v17, v37 dst_sel:DWORD dst_unused:UNUSED_PAD src0_sel:BYTE_3 src1_sel:DWORD
	v_lshrrev_b32_e32 v19, 3, v20
	s_mov_b32 s22, exec_lo
	v_cmpx_gt_u32_e32 8, v20
; %bb.581:                              ;   in Loop: Header=BB339_554 Depth=1
	v_ffbh_u32_e32 v0, v9
	v_min_u32_e32 v0, 32, v0
	v_subrev_nc_u32_e32 v19, 28, v0
	v_lshlrev_b64 v[43:44], v19, v[9:10]
	v_sub_nc_u32_e32 v19, 29, v0
	v_and_b32_e32 v9, 7, v43
; %bb.582:                              ;   in Loop: Header=BB339_554 Depth=1
	s_or_b32 exec_lo, exec_lo, s22
	v_lshlrev_b32_sdwa v0, v38, v17 dst_sel:DWORD dst_unused:UNUSED_PAD src0_sel:DWORD src1_sel:BYTE_3
	v_lshlrev_b32_e32 v9, 20, v9
	v_lshl_add_u32 v19, v19, 23, 0x3c000000
	v_and_b32_e32 v0, 0x80000000, v0
	v_or3_b32 v43, v9, v0, v19
.LBB339_583:                            ;   in Loop: Header=BB339_554 Depth=1
	s_or_b32 exec_lo, exec_lo, s21
.LBB339_584:                            ;   in Loop: Header=BB339_554 Depth=1
	s_or_b32 exec_lo, exec_lo, s18
.LBB339_585:                            ;   in Loop: Header=BB339_554 Depth=1
	s_or_b32 exec_lo, exec_lo, s0
	v_mov_b32_e32 v9, v18
	v_cmp_ne_u16_sdwa s18, v18, v10 src0_sel:BYTE_0 src1_sel:DWORD
	v_mov_b32_e32 v19, 0
	v_mov_b32_e32 v35, 0
	s_and_saveexec_b32 s0, s18
	s_cbranch_execz .LBB339_591
; %bb.586:                              ;   in Loop: Header=BB339_554 Depth=1
	v_cmp_ne_u16_sdwa s21, v18, v32 src0_sel:BYTE_0 src1_sel:DWORD
	v_bfrev_b32_e32 v35, 1
	s_and_saveexec_b32 s18, s21
	s_cbranch_execz .LBB339_590
; %bb.587:                              ;   in Loop: Header=BB339_554 Depth=1
	v_and_b32_e32 v20, 0x7f, v18
	v_mov_b32_e32 v35, 0x7f800001
	s_mov_b32 s21, exec_lo
	v_cmpx_ne_u32_e32 0x7f, v20
	s_cbranch_execz .LBB339_589
; %bb.588:                              ;   in Loop: Header=BB339_554 Depth=1
	v_and_b32_e32 v0, 7, v18
	v_cmp_gt_u32_e32 vcc_lo, 8, v20
	v_lshrrev_b32_e32 v35, 3, v20
	v_ffbh_u32_e32 v0, v0
	v_min_u32_e32 v0, 32, v0
	v_subrev_nc_u32_e32 v44, 28, v0
	v_sub_nc_u32_e32 v0, 29, v0
	v_cndmask_b32_e32 v20, 0, v44, vcc_lo
	v_cndmask_b32_e32 v0, v35, v0, vcc_lo
	v_lshlrev_b64 v[44:45], v20, v[9:10]
	v_lshlrev_b32_e32 v20, 24, v9
	v_lshl_add_u32 v0, v0, 23, 0x3c000000
	v_and_b32_e32 v20, 0x80000000, v20
	v_lshlrev_b32_e32 v35, 20, v44
	v_and_b32_e32 v35, 0x700000, v35
	v_or3_b32 v35, v35, v20, v0
.LBB339_589:                            ;   in Loop: Header=BB339_554 Depth=1
	s_or_b32 exec_lo, exec_lo, s21
.LBB339_590:                            ;   in Loop: Header=BB339_554 Depth=1
	s_or_b32 exec_lo, exec_lo, s18
.LBB339_591:                            ;   in Loop: Header=BB339_554 Depth=1
	s_or_b32 exec_lo, exec_lo, s0
	v_cmp_ne_u16_sdwa s18, v9, v10 src0_sel:BYTE_1 src1_sel:DWORD
	s_and_saveexec_b32 s0, s18
	s_cbranch_execz .LBB339_599
; %bb.592:                              ;   in Loop: Header=BB339_554 Depth=1
	v_cmp_ne_u16_sdwa s21, v9, v32 src0_sel:BYTE_1 src1_sel:DWORD
	v_bfrev_b32_e32 v19, 1
	s_and_saveexec_b32 s18, s21
	s_cbranch_execz .LBB339_598
; %bb.593:                              ;   in Loop: Header=BB339_554 Depth=1
	v_and_b32_sdwa v20, v33, v9 dst_sel:DWORD dst_unused:UNUSED_PAD src0_sel:DWORD src1_sel:BYTE_1
	v_mov_b32_e32 v19, 0x7f800001
	s_mov_b32 s21, exec_lo
	v_and_b32_e32 v45, 0x7f, v20
	v_cmpx_ne_u32_e32 0x7f, v45
	s_cbranch_execz .LBB339_597
; %bb.594:                              ;   in Loop: Header=BB339_554 Depth=1
	v_and_b32_e32 v19, 7, v20
	v_mov_b32_e32 v20, v10
	v_lshrrev_b32_e32 v44, 3, v45
	s_mov_b32 s22, exec_lo
	v_cmpx_gt_u32_e32 8, v45
; %bb.595:                              ;   in Loop: Header=BB339_554 Depth=1
	v_ffbh_u32_e32 v0, v19
	v_min_u32_e32 v0, 32, v0
	v_subrev_nc_u32_e32 v44, 28, v0
	v_lshlrev_b64 v[19:20], v44, v[19:20]
	v_sub_nc_u32_e32 v44, 29, v0
	v_and_b32_e32 v19, 7, v19
; %bb.596:                              ;   in Loop: Header=BB339_554 Depth=1
	s_or_b32 exec_lo, exec_lo, s22
	v_lshlrev_b32_e32 v0, 16, v9
	v_lshlrev_b32_e32 v9, 20, v19
	v_lshl_add_u32 v19, v44, 23, 0x3c000000
	v_and_b32_e32 v0, 0x80000000, v0
	v_or3_b32 v19, v9, v0, v19
.LBB339_597:                            ;   in Loop: Header=BB339_554 Depth=1
	s_or_b32 exec_lo, exec_lo, s21
.LBB339_598:                            ;   in Loop: Header=BB339_554 Depth=1
	s_or_b32 exec_lo, exec_lo, s18
.LBB339_599:                            ;   in Loop: Header=BB339_554 Depth=1
	s_or_b32 exec_lo, exec_lo, s0
	v_and_b32_sdwa v9, v18, v34 dst_sel:DWORD dst_unused:UNUSED_PAD src0_sel:WORD_1 src1_sel:DWORD
	v_mov_b32_e32 v20, 0
	v_mov_b32_e32 v44, 0
	s_mov_b32 s0, exec_lo
	v_cmpx_ne_u16_e32 0, v9
	s_cbranch_execz .LBB339_607
; %bb.600:                              ;   in Loop: Header=BB339_554 Depth=1
	v_bfrev_b32_e32 v44, 1
	s_mov_b32 s18, exec_lo
	v_cmpx_ne_u16_e32 0x80, v9
	s_cbranch_execz .LBB339_606
; %bb.601:                              ;   in Loop: Header=BB339_554 Depth=1
	v_bfe_u32 v45, v18, 16, 7
	v_mov_b32_e32 v44, 0x7f800001
	s_mov_b32 s21, exec_lo
	v_cmpx_ne_u32_e32 0x7f, v45
	s_cbranch_execz .LBB339_605
; %bb.602:                              ;   in Loop: Header=BB339_554 Depth=1
	v_and_b32_sdwa v9, v18, v37 dst_sel:DWORD dst_unused:UNUSED_PAD src0_sel:WORD_1 src1_sel:DWORD
	v_lshrrev_b32_e32 v44, 3, v45
	s_mov_b32 s22, exec_lo
	v_cmpx_gt_u32_e32 8, v45
; %bb.603:                              ;   in Loop: Header=BB339_554 Depth=1
	v_ffbh_u32_e32 v0, v9
	v_min_u32_e32 v0, 32, v0
	v_subrev_nc_u32_e32 v44, 28, v0
	v_lshlrev_b64 v[45:46], v44, v[9:10]
	v_sub_nc_u32_e32 v44, 29, v0
	v_and_b32_e32 v9, 7, v45
; %bb.604:                              ;   in Loop: Header=BB339_554 Depth=1
	s_or_b32 exec_lo, exec_lo, s22
	v_lshlrev_b32_sdwa v0, v38, v18 dst_sel:DWORD dst_unused:UNUSED_PAD src0_sel:DWORD src1_sel:WORD_1
	v_lshlrev_b32_e32 v9, 20, v9
	v_lshl_add_u32 v44, v44, 23, 0x3c000000
	v_and_b32_e32 v0, 0x80000000, v0
	v_or3_b32 v44, v9, v0, v44
.LBB339_605:                            ;   in Loop: Header=BB339_554 Depth=1
	s_or_b32 exec_lo, exec_lo, s21
.LBB339_606:                            ;   in Loop: Header=BB339_554 Depth=1
	s_or_b32 exec_lo, exec_lo, s18
.LBB339_607:                            ;   in Loop: Header=BB339_554 Depth=1
	s_or_b32 exec_lo, exec_lo, s0
	s_mov_b32 s0, exec_lo
	v_cmpx_lt_u64_e64 s[4:5], v[17:18]
	s_cbranch_execz .LBB339_615
; %bb.608:                              ;   in Loop: Header=BB339_554 Depth=1
	v_cmp_ne_u32_sdwa s21, v18, v32 src0_sel:BYTE_3 src1_sel:DWORD
	v_bfrev_b32_e32 v20, 1
	s_and_saveexec_b32 s18, s21
	s_cbranch_execz .LBB339_614
; %bb.609:                              ;   in Loop: Header=BB339_554 Depth=1
	v_bfe_u32 v45, v18, 24, 7
	v_mov_b32_e32 v20, 0x7f800001
	s_mov_b32 s21, exec_lo
	v_cmpx_ne_u32_e32 0x7f, v45
	s_cbranch_execz .LBB339_613
; %bb.610:                              ;   in Loop: Header=BB339_554 Depth=1
	v_and_b32_sdwa v9, v18, v37 dst_sel:DWORD dst_unused:UNUSED_PAD src0_sel:BYTE_3 src1_sel:DWORD
	v_lshrrev_b32_e32 v17, 3, v45
	s_mov_b32 s22, exec_lo
	v_cmpx_gt_u32_e32 8, v45
; %bb.611:                              ;   in Loop: Header=BB339_554 Depth=1
	v_ffbh_u32_e32 v0, v9
	v_min_u32_e32 v0, 32, v0
	v_subrev_nc_u32_e32 v17, 28, v0
	v_lshlrev_b64 v[45:46], v17, v[9:10]
	v_sub_nc_u32_e32 v17, 29, v0
	v_and_b32_e32 v9, 7, v45
; %bb.612:                              ;   in Loop: Header=BB339_554 Depth=1
	s_or_b32 exec_lo, exec_lo, s22
	v_lshlrev_b32_sdwa v0, v38, v18 dst_sel:DWORD dst_unused:UNUSED_PAD src0_sel:DWORD src1_sel:BYTE_3
	v_lshlrev_b32_e32 v9, 20, v9
	v_lshl_add_u32 v17, v17, 23, 0x3c000000
	v_and_b32_e32 v0, 0x80000000, v0
	v_or3_b32 v20, v9, v0, v17
.LBB339_613:                            ;   in Loop: Header=BB339_554 Depth=1
	s_or_b32 exec_lo, exec_lo, s21
.LBB339_614:                            ;   in Loop: Header=BB339_554 Depth=1
	s_or_b32 exec_lo, exec_lo, s18
.LBB339_615:                            ;   in Loop: Header=BB339_554 Depth=1
	s_or_b32 exec_lo, exec_lo, s0
	s_waitcnt lgkmcnt(0)
	v_mul_f32_e32 v0, s17, v19
	v_mul_f32_e32 v9, s17, v35
	;; [unrolled: 1-line block ×5, first 2 shown]
	v_bfe_u32 v18, v0, 16, 1
	v_or_b32_e32 v35, 0x400000, v0
	v_bfe_u32 v41, v9, 16, 1
	v_cmp_u_f32_e64 s0, v0, v0
	v_or_b32_e32 v43, 0x400000, v9
	v_add3_u32 v18, v18, v0, 0x7fff
	v_bfe_u32 v45, v17, 16, 1
	v_add3_u32 v41, v41, v9, 0x7fff
	v_or_b32_e32 v46, 0x400000, v17
	v_cmp_eq_u32_e32 vcc_lo, s33, v25
	v_cndmask_b32_e64 v0, v18, v35, s0
	v_cmp_u_f32_e64 s0, v9, v9
	v_bfe_u32 v18, v19, 16, 1
	v_add3_u32 v35, v45, v17, 0x7fff
	v_add_nc_u32_e32 v59, 1, v36
	v_add_nc_u32_e32 v58, 2, v36
	v_cndmask_b32_e64 v9, v41, v43, s0
	v_cmp_u_f32_e64 s0, v17, v17
	v_lshrrev_b32_e32 v41, 16, v0
	v_mul_f32_e32 v17, s17, v40
	v_add3_u32 v18, v18, v19, 0x7fff
	v_lshrrev_b32_e32 v40, 16, v9
	v_cndmask_b32_e64 v0, v35, v46, s0
	v_or_b32_e32 v35, 0x400000, v19
	v_cmp_u_f32_e64 s0, v19, v19
	v_mul_f32_e32 v19, s17, v44
	v_or_b32_e32 v46, 0x400000, v20
	v_lshrrev_b32_e32 v43, 16, v0
	v_bfe_u32 v0, v17, 16, 1
	v_cndmask_b32_e64 v9, v18, v35, s0
	v_mul_f32_e32 v18, s17, v42
	v_or_b32_e32 v35, 0x400000, v17
	v_cmp_u_f32_e64 s0, v17, v17
	v_add3_u32 v0, v0, v17, 0x7fff
	v_bfe_u32 v44, v19, 16, 1
	v_bfe_u32 v42, v18, 16, 1
	;; [unrolled: 1-line block ×3, first 2 shown]
	v_or_b32_e32 v45, 0x400000, v19
	v_cndmask_b32_e64 v0, v0, v35, s0
	v_cmp_u_f32_e64 s0, v18, v18
	v_add3_u32 v35, v42, v18, 0x7fff
	v_or_b32_e32 v42, 0x400000, v18
	v_add3_u32 v44, v44, v19, 0x7fff
	v_add3_u32 v17, v17, v20, 0x7fff
	v_lshrrev_b32_e32 v47, 16, v0
	v_add_nc_u32_e32 v57, 3, v36
	v_cndmask_b32_e64 v18, v35, v42, s0
	v_cmp_u_f32_e64 s0, v19, v19
	v_add_nc_u32_e32 v56, 4, v36
	v_add_nc_u32_e32 v55, 5, v36
	;; [unrolled: 1-line block ×4, first 2 shown]
	v_cndmask_b32_e64 v19, v44, v45, s0
	v_cmp_u_f32_e64 s0, v20, v20
	v_lshrrev_b32_e32 v45, 16, v9
	v_lshrrev_b32_e32 v42, 16, v19
	v_cndmask_b32_e64 v17, v17, v46, s0
	v_lshrrev_b32_e32 v46, 16, v18
	v_lshrrev_b32_e32 v44, 16, v17
	s_and_saveexec_b32 s18, vcc_lo
	s_cbranch_execz .LBB339_617
; %bb.616:                              ;   in Loop: Header=BB339_554 Depth=1
	v_cmp_gt_i32_e64 s0, s31, v36
	v_cndmask_b32_e64 v46, 0, v46, s0
	v_cmp_gt_i32_e64 s0, s31, v59
	v_cndmask_b32_e64 v47, 0, v47, s0
	;; [unrolled: 2-line block ×8, first 2 shown]
.LBB339_617:                            ;   in Loop: Header=BB339_554 Depth=1
	s_or_b32 exec_lo, exec_lo, s18
	global_load_dwordx2 v[17:18], v[15:16], off offset:256
	v_mov_b32_e32 v49, 0
	v_mov_b32_e32 v50, 0
	s_waitcnt vmcnt(0)
	v_cmp_ne_u16_sdwa s0, v17, v10 src0_sel:BYTE_0 src1_sel:DWORD
	s_and_saveexec_b32 s18, s0
	s_cbranch_execz .LBB339_623
; %bb.618:                              ;   in Loop: Header=BB339_554 Depth=1
	v_cmp_ne_u16_sdwa s0, v17, v32 src0_sel:BYTE_0 src1_sel:DWORD
	v_bfrev_b32_e32 v50, 1
	s_and_saveexec_b32 s21, s0
	s_cbranch_execz .LBB339_622
; %bb.619:                              ;   in Loop: Header=BB339_554 Depth=1
	v_and_b32_e32 v9, 0x7f, v17
	v_mov_b32_e32 v50, 0x7f800001
	s_mov_b32 s22, exec_lo
	v_cmpx_ne_u32_e32 0x7f, v9
	s_cbranch_execz .LBB339_621
; %bb.620:                              ;   in Loop: Header=BB339_554 Depth=1
	v_and_b32_e32 v0, 7, v17
	v_cmp_gt_u32_e64 s0, 8, v9
	v_lshrrev_b32_e32 v19, 3, v9
	v_ffbh_u32_e32 v0, v0
	v_min_u32_e32 v0, 32, v0
	v_subrev_nc_u32_e32 v20, 28, v0
	v_sub_nc_u32_e32 v0, 29, v0
	v_cndmask_b32_e64 v9, 0, v20, s0
	v_cndmask_b32_e64 v0, v19, v0, s0
	v_lshlrev_b64 v[19:20], v9, v[17:18]
	v_lshlrev_b32_e32 v9, 24, v17
	v_lshl_add_u32 v0, v0, 23, 0x3c000000
	v_and_b32_e32 v9, 0x80000000, v9
	v_lshlrev_b32_e32 v19, 20, v19
	v_and_b32_e32 v19, 0x700000, v19
	v_or3_b32 v50, v19, v9, v0
.LBB339_621:                            ;   in Loop: Header=BB339_554 Depth=1
	s_or_b32 exec_lo, exec_lo, s22
.LBB339_622:                            ;   in Loop: Header=BB339_554 Depth=1
	s_or_b32 exec_lo, exec_lo, s21
.LBB339_623:                            ;   in Loop: Header=BB339_554 Depth=1
	s_or_b32 exec_lo, exec_lo, s18
	v_cmp_ne_u16_sdwa s0, v17, v10 src0_sel:BYTE_1 src1_sel:DWORD
	s_and_saveexec_b32 s18, s0
	s_cbranch_execz .LBB339_631
; %bb.624:                              ;   in Loop: Header=BB339_554 Depth=1
	v_cmp_ne_u16_sdwa s0, v17, v32 src0_sel:BYTE_1 src1_sel:DWORD
	v_bfrev_b32_e32 v49, 1
	s_and_saveexec_b32 s21, s0
	s_cbranch_execz .LBB339_630
; %bb.625:                              ;   in Loop: Header=BB339_554 Depth=1
	v_and_b32_sdwa v9, v33, v17 dst_sel:DWORD dst_unused:UNUSED_PAD src0_sel:DWORD src1_sel:BYTE_1
	v_mov_b32_e32 v49, 0x7f800001
	s_mov_b32 s22, exec_lo
	v_and_b32_e32 v20, 0x7f, v9
	v_cmpx_ne_u32_e32 0x7f, v20
	s_cbranch_execz .LBB339_629
; %bb.626:                              ;   in Loop: Header=BB339_554 Depth=1
	v_and_b32_e32 v9, 7, v9
	v_lshrrev_b32_e32 v19, 3, v20
	s_mov_b32 s24, exec_lo
	v_cmpx_gt_u32_e32 8, v20
; %bb.627:                              ;   in Loop: Header=BB339_554 Depth=1
	v_ffbh_u32_e32 v0, v9
	v_min_u32_e32 v0, 32, v0
	v_subrev_nc_u32_e32 v19, 28, v0
	v_lshlrev_b64 v[48:49], v19, v[9:10]
	v_sub_nc_u32_e32 v19, 29, v0
	v_and_b32_e32 v9, 7, v48
; %bb.628:                              ;   in Loop: Header=BB339_554 Depth=1
	s_or_b32 exec_lo, exec_lo, s24
	v_lshlrev_b32_e32 v0, 16, v17
	v_lshlrev_b32_e32 v9, 20, v9
	v_lshl_add_u32 v19, v19, 23, 0x3c000000
	v_and_b32_e32 v0, 0x80000000, v0
	v_or3_b32 v49, v9, v0, v19
.LBB339_629:                            ;   in Loop: Header=BB339_554 Depth=1
	s_or_b32 exec_lo, exec_lo, s22
.LBB339_630:                            ;   in Loop: Header=BB339_554 Depth=1
	s_or_b32 exec_lo, exec_lo, s21
.LBB339_631:                            ;   in Loop: Header=BB339_554 Depth=1
	s_or_b32 exec_lo, exec_lo, s18
	v_and_b32_sdwa v9, v17, v34 dst_sel:DWORD dst_unused:UNUSED_PAD src0_sel:WORD_1 src1_sel:DWORD
	v_mov_b32_e32 v51, 0
	v_mov_b32_e32 v48, 0
	s_mov_b32 s18, exec_lo
	v_cmpx_ne_u16_e32 0, v9
	s_cbranch_execz .LBB339_639
; %bb.632:                              ;   in Loop: Header=BB339_554 Depth=1
	v_bfrev_b32_e32 v48, 1
	s_mov_b32 s21, exec_lo
	v_cmpx_ne_u16_e32 0x80, v9
	s_cbranch_execz .LBB339_638
; %bb.633:                              ;   in Loop: Header=BB339_554 Depth=1
	v_bfe_u32 v20, v17, 16, 7
	v_mov_b32_e32 v48, 0x7f800001
	s_mov_b32 s22, exec_lo
	v_cmpx_ne_u32_e32 0x7f, v20
	s_cbranch_execz .LBB339_637
; %bb.634:                              ;   in Loop: Header=BB339_554 Depth=1
	v_and_b32_sdwa v9, v17, v37 dst_sel:DWORD dst_unused:UNUSED_PAD src0_sel:WORD_1 src1_sel:DWORD
	v_lshrrev_b32_e32 v19, 3, v20
	s_mov_b32 s24, exec_lo
	v_cmpx_gt_u32_e32 8, v20
; %bb.635:                              ;   in Loop: Header=BB339_554 Depth=1
	v_ffbh_u32_e32 v0, v9
	v_min_u32_e32 v0, 32, v0
	v_subrev_nc_u32_e32 v19, 28, v0
	v_lshlrev_b64 v[60:61], v19, v[9:10]
	v_sub_nc_u32_e32 v19, 29, v0
	v_and_b32_e32 v9, 7, v60
; %bb.636:                              ;   in Loop: Header=BB339_554 Depth=1
	s_or_b32 exec_lo, exec_lo, s24
	v_lshlrev_b32_sdwa v0, v38, v17 dst_sel:DWORD dst_unused:UNUSED_PAD src0_sel:DWORD src1_sel:WORD_1
	v_lshlrev_b32_e32 v9, 20, v9
	v_lshl_add_u32 v19, v19, 23, 0x3c000000
	v_and_b32_e32 v0, 0x80000000, v0
	v_or3_b32 v48, v9, v0, v19
.LBB339_637:                            ;   in Loop: Header=BB339_554 Depth=1
	s_or_b32 exec_lo, exec_lo, s22
.LBB339_638:                            ;   in Loop: Header=BB339_554 Depth=1
	s_or_b32 exec_lo, exec_lo, s21
.LBB339_639:                            ;   in Loop: Header=BB339_554 Depth=1
	s_or_b32 exec_lo, exec_lo, s18
	s_mov_b32 s18, exec_lo
	v_cmpx_lt_u32_e32 0xffffff, v17
	s_cbranch_execz .LBB339_647
; %bb.640:                              ;   in Loop: Header=BB339_554 Depth=1
	v_cmp_ne_u32_sdwa s0, v17, v32 src0_sel:BYTE_3 src1_sel:DWORD
	v_bfrev_b32_e32 v51, 1
	s_and_saveexec_b32 s21, s0
	s_cbranch_execz .LBB339_646
; %bb.641:                              ;   in Loop: Header=BB339_554 Depth=1
	v_bfe_u32 v20, v17, 24, 7
	v_mov_b32_e32 v51, 0x7f800001
	s_mov_b32 s22, exec_lo
	v_cmpx_ne_u32_e32 0x7f, v20
	s_cbranch_execz .LBB339_645
; %bb.642:                              ;   in Loop: Header=BB339_554 Depth=1
	v_and_b32_sdwa v9, v17, v37 dst_sel:DWORD dst_unused:UNUSED_PAD src0_sel:BYTE_3 src1_sel:DWORD
	v_lshrrev_b32_e32 v19, 3, v20
	s_mov_b32 s24, exec_lo
	v_cmpx_gt_u32_e32 8, v20
; %bb.643:                              ;   in Loop: Header=BB339_554 Depth=1
	v_ffbh_u32_e32 v0, v9
	v_min_u32_e32 v0, 32, v0
	v_subrev_nc_u32_e32 v19, 28, v0
	v_lshlrev_b64 v[51:52], v19, v[9:10]
	v_sub_nc_u32_e32 v19, 29, v0
	v_and_b32_e32 v9, 7, v51
; %bb.644:                              ;   in Loop: Header=BB339_554 Depth=1
	s_or_b32 exec_lo, exec_lo, s24
	v_lshlrev_b32_sdwa v0, v38, v17 dst_sel:DWORD dst_unused:UNUSED_PAD src0_sel:DWORD src1_sel:BYTE_3
	v_lshlrev_b32_e32 v9, 20, v9
	v_lshl_add_u32 v19, v19, 23, 0x3c000000
	v_and_b32_e32 v0, 0x80000000, v0
	v_or3_b32 v51, v9, v0, v19
.LBB339_645:                            ;   in Loop: Header=BB339_554 Depth=1
	s_or_b32 exec_lo, exec_lo, s22
.LBB339_646:                            ;   in Loop: Header=BB339_554 Depth=1
	s_or_b32 exec_lo, exec_lo, s21
.LBB339_647:                            ;   in Loop: Header=BB339_554 Depth=1
	s_or_b32 exec_lo, exec_lo, s18
	v_mov_b32_e32 v9, v18
	v_cmp_ne_u16_sdwa s0, v18, v10 src0_sel:BYTE_0 src1_sel:DWORD
	v_mov_b32_e32 v19, 0
	v_mov_b32_e32 v35, 0
	s_and_saveexec_b32 s18, s0
	s_cbranch_execz .LBB339_653
; %bb.648:                              ;   in Loop: Header=BB339_554 Depth=1
	v_cmp_ne_u16_sdwa s0, v18, v32 src0_sel:BYTE_0 src1_sel:DWORD
	v_bfrev_b32_e32 v35, 1
	s_and_saveexec_b32 s21, s0
	s_cbranch_execz .LBB339_652
; %bb.649:                              ;   in Loop: Header=BB339_554 Depth=1
	v_and_b32_e32 v20, 0x7f, v18
	v_mov_b32_e32 v35, 0x7f800001
	s_mov_b32 s22, exec_lo
	v_cmpx_ne_u32_e32 0x7f, v20
	s_cbranch_execz .LBB339_651
; %bb.650:                              ;   in Loop: Header=BB339_554 Depth=1
	v_and_b32_e32 v0, 7, v18
	v_cmp_gt_u32_e64 s0, 8, v20
	v_lshrrev_b32_e32 v35, 3, v20
	v_ffbh_u32_e32 v0, v0
	v_min_u32_e32 v0, 32, v0
	v_subrev_nc_u32_e32 v52, 28, v0
	v_sub_nc_u32_e32 v0, 29, v0
	v_cndmask_b32_e64 v20, 0, v52, s0
	v_cndmask_b32_e64 v0, v35, v0, s0
	v_lshlrev_b64 v[60:61], v20, v[9:10]
	v_lshlrev_b32_e32 v20, 24, v9
	v_lshl_add_u32 v0, v0, 23, 0x3c000000
	v_and_b32_e32 v20, 0x80000000, v20
	v_lshlrev_b32_e32 v35, 20, v60
	v_and_b32_e32 v35, 0x700000, v35
	v_or3_b32 v35, v35, v20, v0
.LBB339_651:                            ;   in Loop: Header=BB339_554 Depth=1
	s_or_b32 exec_lo, exec_lo, s22
.LBB339_652:                            ;   in Loop: Header=BB339_554 Depth=1
	s_or_b32 exec_lo, exec_lo, s21
.LBB339_653:                            ;   in Loop: Header=BB339_554 Depth=1
	s_or_b32 exec_lo, exec_lo, s18
	v_cmp_ne_u16_sdwa s0, v9, v10 src0_sel:BYTE_1 src1_sel:DWORD
	s_and_saveexec_b32 s18, s0
	s_cbranch_execz .LBB339_661
; %bb.654:                              ;   in Loop: Header=BB339_554 Depth=1
	v_cmp_ne_u16_sdwa s0, v9, v32 src0_sel:BYTE_1 src1_sel:DWORD
	v_bfrev_b32_e32 v19, 1
	s_and_saveexec_b32 s21, s0
	s_cbranch_execz .LBB339_660
; %bb.655:                              ;   in Loop: Header=BB339_554 Depth=1
	v_and_b32_sdwa v20, v33, v9 dst_sel:DWORD dst_unused:UNUSED_PAD src0_sel:DWORD src1_sel:BYTE_1
	v_mov_b32_e32 v19, 0x7f800001
	s_mov_b32 s22, exec_lo
	v_and_b32_e32 v60, 0x7f, v20
	v_cmpx_ne_u32_e32 0x7f, v60
	s_cbranch_execz .LBB339_659
; %bb.656:                              ;   in Loop: Header=BB339_554 Depth=1
	v_and_b32_e32 v19, 7, v20
	v_mov_b32_e32 v20, v10
	v_lshrrev_b32_e32 v52, 3, v60
	s_mov_b32 s24, exec_lo
	v_cmpx_gt_u32_e32 8, v60
; %bb.657:                              ;   in Loop: Header=BB339_554 Depth=1
	v_ffbh_u32_e32 v0, v19
	v_min_u32_e32 v0, 32, v0
	v_subrev_nc_u32_e32 v52, 28, v0
	v_lshlrev_b64 v[19:20], v52, v[19:20]
	v_sub_nc_u32_e32 v52, 29, v0
	v_and_b32_e32 v19, 7, v19
; %bb.658:                              ;   in Loop: Header=BB339_554 Depth=1
	s_or_b32 exec_lo, exec_lo, s24
	v_lshlrev_b32_e32 v0, 16, v9
	v_lshlrev_b32_e32 v9, 20, v19
	v_lshl_add_u32 v19, v52, 23, 0x3c000000
	v_and_b32_e32 v0, 0x80000000, v0
	v_or3_b32 v19, v9, v0, v19
.LBB339_659:                            ;   in Loop: Header=BB339_554 Depth=1
	s_or_b32 exec_lo, exec_lo, s22
.LBB339_660:                            ;   in Loop: Header=BB339_554 Depth=1
	s_or_b32 exec_lo, exec_lo, s21
.LBB339_661:                            ;   in Loop: Header=BB339_554 Depth=1
	s_or_b32 exec_lo, exec_lo, s18
	v_and_b32_sdwa v9, v18, v34 dst_sel:DWORD dst_unused:UNUSED_PAD src0_sel:WORD_1 src1_sel:DWORD
	v_mov_b32_e32 v20, 0
	v_mov_b32_e32 v52, 0
	s_mov_b32 s18, exec_lo
	v_cmpx_ne_u16_e32 0, v9
	s_cbranch_execz .LBB339_669
; %bb.662:                              ;   in Loop: Header=BB339_554 Depth=1
	v_bfrev_b32_e32 v52, 1
	s_mov_b32 s21, exec_lo
	v_cmpx_ne_u16_e32 0x80, v9
	s_cbranch_execz .LBB339_668
; %bb.663:                              ;   in Loop: Header=BB339_554 Depth=1
	v_bfe_u32 v60, v18, 16, 7
	v_mov_b32_e32 v52, 0x7f800001
	s_mov_b32 s22, exec_lo
	v_cmpx_ne_u32_e32 0x7f, v60
	s_cbranch_execz .LBB339_667
; %bb.664:                              ;   in Loop: Header=BB339_554 Depth=1
	v_and_b32_sdwa v9, v18, v37 dst_sel:DWORD dst_unused:UNUSED_PAD src0_sel:WORD_1 src1_sel:DWORD
	v_lshrrev_b32_e32 v52, 3, v60
	s_mov_b32 s24, exec_lo
	v_cmpx_gt_u32_e32 8, v60
; %bb.665:                              ;   in Loop: Header=BB339_554 Depth=1
	v_ffbh_u32_e32 v0, v9
	v_min_u32_e32 v0, 32, v0
	v_subrev_nc_u32_e32 v52, 28, v0
	v_lshlrev_b64 v[60:61], v52, v[9:10]
	v_sub_nc_u32_e32 v52, 29, v0
	v_and_b32_e32 v9, 7, v60
; %bb.666:                              ;   in Loop: Header=BB339_554 Depth=1
	s_or_b32 exec_lo, exec_lo, s24
	v_lshlrev_b32_sdwa v0, v38, v18 dst_sel:DWORD dst_unused:UNUSED_PAD src0_sel:DWORD src1_sel:WORD_1
	v_lshlrev_b32_e32 v9, 20, v9
	v_lshl_add_u32 v52, v52, 23, 0x3c000000
	v_and_b32_e32 v0, 0x80000000, v0
	v_or3_b32 v52, v9, v0, v52
.LBB339_667:                            ;   in Loop: Header=BB339_554 Depth=1
	s_or_b32 exec_lo, exec_lo, s22
.LBB339_668:                            ;   in Loop: Header=BB339_554 Depth=1
	s_or_b32 exec_lo, exec_lo, s21
.LBB339_669:                            ;   in Loop: Header=BB339_554 Depth=1
	s_or_b32 exec_lo, exec_lo, s18
	s_mov_b32 s18, exec_lo
	v_cmpx_lt_u64_e64 s[4:5], v[17:18]
	s_cbranch_execz .LBB339_677
; %bb.670:                              ;   in Loop: Header=BB339_554 Depth=1
	v_cmp_ne_u32_sdwa s0, v18, v32 src0_sel:BYTE_3 src1_sel:DWORD
	v_bfrev_b32_e32 v20, 1
	s_and_saveexec_b32 s21, s0
	s_cbranch_execz .LBB339_676
; %bb.671:                              ;   in Loop: Header=BB339_554 Depth=1
	v_bfe_u32 v60, v18, 24, 7
	v_mov_b32_e32 v20, 0x7f800001
	s_mov_b32 s22, exec_lo
	v_cmpx_ne_u32_e32 0x7f, v60
	s_cbranch_execz .LBB339_675
; %bb.672:                              ;   in Loop: Header=BB339_554 Depth=1
	v_and_b32_sdwa v9, v18, v37 dst_sel:DWORD dst_unused:UNUSED_PAD src0_sel:BYTE_3 src1_sel:DWORD
	v_lshrrev_b32_e32 v17, 3, v60
	s_mov_b32 s24, exec_lo
	v_cmpx_gt_u32_e32 8, v60
; %bb.673:                              ;   in Loop: Header=BB339_554 Depth=1
	v_ffbh_u32_e32 v0, v9
	v_min_u32_e32 v0, 32, v0
	v_subrev_nc_u32_e32 v17, 28, v0
	v_lshlrev_b64 v[60:61], v17, v[9:10]
	v_sub_nc_u32_e32 v17, 29, v0
	v_and_b32_e32 v9, 7, v60
; %bb.674:                              ;   in Loop: Header=BB339_554 Depth=1
	s_or_b32 exec_lo, exec_lo, s24
	v_lshlrev_b32_sdwa v0, v38, v18 dst_sel:DWORD dst_unused:UNUSED_PAD src0_sel:DWORD src1_sel:BYTE_3
	v_lshlrev_b32_e32 v9, 20, v9
	v_lshl_add_u32 v17, v17, 23, 0x3c000000
	v_and_b32_e32 v0, 0x80000000, v0
	v_or3_b32 v20, v9, v0, v17
.LBB339_675:                            ;   in Loop: Header=BB339_554 Depth=1
	s_or_b32 exec_lo, exec_lo, s22
.LBB339_676:                            ;   in Loop: Header=BB339_554 Depth=1
	s_or_b32 exec_lo, exec_lo, s21
.LBB339_677:                            ;   in Loop: Header=BB339_554 Depth=1
	s_or_b32 exec_lo, exec_lo, s18
	v_mul_f32_e32 v0, s17, v19
	v_mul_f32_e32 v9, s17, v35
	;; [unrolled: 1-line block ×5, first 2 shown]
	v_bfe_u32 v19, v0, 16, 1
	v_or_b32_e32 v35, 0x400000, v0
	v_bfe_u32 v48, v9, 16, 1
	v_cmp_u_f32_e64 s0, v0, v0
	v_or_b32_e32 v51, 0x400000, v9
	v_add3_u32 v19, v19, v0, 0x7fff
	v_bfe_u32 v60, v17, 16, 1
	v_add3_u32 v48, v48, v9, 0x7fff
	v_or_b32_e32 v61, 0x400000, v17
	v_bfe_u32 v62, v18, 16, 1
	v_cndmask_b32_e64 v0, v19, v35, s0
	v_cmp_u_f32_e64 s0, v9, v9
	v_add3_u32 v60, v60, v17, 0x7fff
	v_or_b32_e32 v35, 0x400000, v18
	v_add3_u32 v19, v62, v18, 0x7fff
	v_cndmask_b32_e64 v9, v48, v51, s0
	v_cmp_u_f32_e64 s0, v17, v17
	v_lshrrev_b32_e32 v48, 16, v0
	v_mul_f32_e32 v0, s17, v49
	v_lshrrev_b32_e32 v49, 16, v9
	v_cndmask_b32_e64 v17, v60, v61, s0
	v_cmp_u_f32_e64 s0, v18, v18
	v_bfe_u32 v9, v0, 16, 1
	v_mul_f32_e32 v18, s17, v50
	v_or_b32_e32 v61, 0x400000, v20
	v_lshrrev_b32_e32 v51, 16, v17
	v_cndmask_b32_e64 v17, v19, v35, s0
	v_mul_f32_e32 v19, s17, v52
	v_add3_u32 v9, v9, v0, 0x7fff
	v_or_b32_e32 v35, 0x400000, v0
	v_bfe_u32 v50, v18, 16, 1
	v_cmp_u_f32_e64 s0, v0, v0
	v_bfe_u32 v52, v19, 16, 1
	v_or_b32_e32 v60, 0x400000, v19
	v_cndmask_b32_e64 v0, v9, v35, s0
	v_add3_u32 v35, v50, v18, 0x7fff
	v_or_b32_e32 v50, 0x400000, v18
	v_cmp_u_f32_e64 s0, v18, v18
	v_bfe_u32 v9, v20, 16, 1
	v_add3_u32 v52, v52, v19, 0x7fff
	v_lshrrev_b32_e32 v62, 16, v0
	v_cndmask_b32_e64 v18, v35, v50, s0
	v_cmp_u_f32_e64 s0, v19, v19
	v_add3_u32 v9, v9, v20, 0x7fff
	v_cndmask_b32_e64 v19, v52, v60, s0
	v_cmp_u_f32_e64 s0, v20, v20
	v_lshrrev_b32_e32 v60, 16, v17
	v_lshrrev_b32_e32 v50, 16, v19
	v_cndmask_b32_e64 v9, v9, v61, s0
	v_lshrrev_b32_e32 v61, 16, v18
	v_lshrrev_b32_e32 v52, 16, v9
	s_and_saveexec_b32 s18, vcc_lo
	s_cbranch_execz .LBB339_679
; %bb.678:                              ;   in Loop: Header=BB339_554 Depth=1
	v_cmp_gt_i32_e64 s0, s31, v36
	v_cndmask_b32_e64 v61, 0, v61, s0
	v_cmp_gt_i32_e64 s0, s31, v59
	v_cndmask_b32_e64 v62, 0, v62, s0
	;; [unrolled: 2-line block ×8, first 2 shown]
.LBB339_679:                            ;   in Loop: Header=BB339_554 Depth=1
	s_or_b32 exec_lo, exec_lo, s18
	global_load_dwordx2 v[17:18], v[15:16], off offset:512
	v_mov_b32_e32 v64, 0
	v_mov_b32_e32 v65, 0
	s_waitcnt vmcnt(0)
	v_cmp_ne_u16_sdwa s0, v17, v10 src0_sel:BYTE_0 src1_sel:DWORD
	s_and_saveexec_b32 s18, s0
	s_cbranch_execz .LBB339_685
; %bb.680:                              ;   in Loop: Header=BB339_554 Depth=1
	v_cmp_ne_u16_sdwa s0, v17, v32 src0_sel:BYTE_0 src1_sel:DWORD
	v_bfrev_b32_e32 v65, 1
	s_and_saveexec_b32 s21, s0
	s_cbranch_execz .LBB339_684
; %bb.681:                              ;   in Loop: Header=BB339_554 Depth=1
	v_and_b32_e32 v9, 0x7f, v17
	v_mov_b32_e32 v65, 0x7f800001
	s_mov_b32 s22, exec_lo
	v_cmpx_ne_u32_e32 0x7f, v9
	s_cbranch_execz .LBB339_683
; %bb.682:                              ;   in Loop: Header=BB339_554 Depth=1
	v_and_b32_e32 v0, 7, v17
	v_cmp_gt_u32_e64 s0, 8, v9
	v_lshrrev_b32_e32 v19, 3, v9
	v_ffbh_u32_e32 v0, v0
	v_min_u32_e32 v0, 32, v0
	v_subrev_nc_u32_e32 v20, 28, v0
	v_sub_nc_u32_e32 v0, 29, v0
	v_cndmask_b32_e64 v9, 0, v20, s0
	v_cndmask_b32_e64 v0, v19, v0, s0
	v_lshlrev_b64 v[19:20], v9, v[17:18]
	v_lshlrev_b32_e32 v9, 24, v17
	v_lshl_add_u32 v0, v0, 23, 0x3c000000
	v_and_b32_e32 v9, 0x80000000, v9
	v_lshlrev_b32_e32 v19, 20, v19
	v_and_b32_e32 v19, 0x700000, v19
	v_or3_b32 v65, v19, v9, v0
.LBB339_683:                            ;   in Loop: Header=BB339_554 Depth=1
	s_or_b32 exec_lo, exec_lo, s22
.LBB339_684:                            ;   in Loop: Header=BB339_554 Depth=1
	s_or_b32 exec_lo, exec_lo, s21
.LBB339_685:                            ;   in Loop: Header=BB339_554 Depth=1
	s_or_b32 exec_lo, exec_lo, s18
	v_cmp_ne_u16_sdwa s0, v17, v10 src0_sel:BYTE_1 src1_sel:DWORD
	s_and_saveexec_b32 s18, s0
	s_cbranch_execz .LBB339_693
; %bb.686:                              ;   in Loop: Header=BB339_554 Depth=1
	v_cmp_ne_u16_sdwa s0, v17, v32 src0_sel:BYTE_1 src1_sel:DWORD
	v_bfrev_b32_e32 v64, 1
	s_and_saveexec_b32 s21, s0
	s_cbranch_execz .LBB339_692
; %bb.687:                              ;   in Loop: Header=BB339_554 Depth=1
	v_and_b32_sdwa v9, v33, v17 dst_sel:DWORD dst_unused:UNUSED_PAD src0_sel:DWORD src1_sel:BYTE_1
	v_mov_b32_e32 v64, 0x7f800001
	s_mov_b32 s22, exec_lo
	v_and_b32_e32 v20, 0x7f, v9
	v_cmpx_ne_u32_e32 0x7f, v20
	s_cbranch_execz .LBB339_691
; %bb.688:                              ;   in Loop: Header=BB339_554 Depth=1
	v_and_b32_e32 v9, 7, v9
	v_lshrrev_b32_e32 v19, 3, v20
	s_mov_b32 s24, exec_lo
	v_cmpx_gt_u32_e32 8, v20
; %bb.689:                              ;   in Loop: Header=BB339_554 Depth=1
	v_ffbh_u32_e32 v0, v9
	v_min_u32_e32 v0, 32, v0
	v_subrev_nc_u32_e32 v19, 28, v0
	v_lshlrev_b64 v[63:64], v19, v[9:10]
	v_sub_nc_u32_e32 v19, 29, v0
	v_and_b32_e32 v9, 7, v63
; %bb.690:                              ;   in Loop: Header=BB339_554 Depth=1
	s_or_b32 exec_lo, exec_lo, s24
	v_lshlrev_b32_e32 v0, 16, v17
	v_lshlrev_b32_e32 v9, 20, v9
	v_lshl_add_u32 v19, v19, 23, 0x3c000000
	v_and_b32_e32 v0, 0x80000000, v0
	v_or3_b32 v64, v9, v0, v19
.LBB339_691:                            ;   in Loop: Header=BB339_554 Depth=1
	s_or_b32 exec_lo, exec_lo, s22
.LBB339_692:                            ;   in Loop: Header=BB339_554 Depth=1
	s_or_b32 exec_lo, exec_lo, s21
.LBB339_693:                            ;   in Loop: Header=BB339_554 Depth=1
	s_or_b32 exec_lo, exec_lo, s18
	v_and_b32_sdwa v9, v17, v34 dst_sel:DWORD dst_unused:UNUSED_PAD src0_sel:WORD_1 src1_sel:DWORD
	v_mov_b32_e32 v66, 0
	v_mov_b32_e32 v63, 0
	s_mov_b32 s18, exec_lo
	v_cmpx_ne_u16_e32 0, v9
	s_cbranch_execz .LBB339_701
; %bb.694:                              ;   in Loop: Header=BB339_554 Depth=1
	v_bfrev_b32_e32 v63, 1
	s_mov_b32 s21, exec_lo
	v_cmpx_ne_u16_e32 0x80, v9
	s_cbranch_execz .LBB339_700
; %bb.695:                              ;   in Loop: Header=BB339_554 Depth=1
	v_bfe_u32 v20, v17, 16, 7
	v_mov_b32_e32 v63, 0x7f800001
	s_mov_b32 s22, exec_lo
	v_cmpx_ne_u32_e32 0x7f, v20
	s_cbranch_execz .LBB339_699
; %bb.696:                              ;   in Loop: Header=BB339_554 Depth=1
	v_and_b32_sdwa v9, v17, v37 dst_sel:DWORD dst_unused:UNUSED_PAD src0_sel:WORD_1 src1_sel:DWORD
	v_lshrrev_b32_e32 v19, 3, v20
	s_mov_b32 s24, exec_lo
	v_cmpx_gt_u32_e32 8, v20
; %bb.697:                              ;   in Loop: Header=BB339_554 Depth=1
	v_ffbh_u32_e32 v0, v9
	v_min_u32_e32 v0, 32, v0
	v_subrev_nc_u32_e32 v19, 28, v0
	v_lshlrev_b64 v[67:68], v19, v[9:10]
	v_sub_nc_u32_e32 v19, 29, v0
	v_and_b32_e32 v9, 7, v67
; %bb.698:                              ;   in Loop: Header=BB339_554 Depth=1
	s_or_b32 exec_lo, exec_lo, s24
	v_lshlrev_b32_sdwa v0, v38, v17 dst_sel:DWORD dst_unused:UNUSED_PAD src0_sel:DWORD src1_sel:WORD_1
	v_lshlrev_b32_e32 v9, 20, v9
	v_lshl_add_u32 v19, v19, 23, 0x3c000000
	v_and_b32_e32 v0, 0x80000000, v0
	v_or3_b32 v63, v9, v0, v19
.LBB339_699:                            ;   in Loop: Header=BB339_554 Depth=1
	s_or_b32 exec_lo, exec_lo, s22
.LBB339_700:                            ;   in Loop: Header=BB339_554 Depth=1
	s_or_b32 exec_lo, exec_lo, s21
.LBB339_701:                            ;   in Loop: Header=BB339_554 Depth=1
	s_or_b32 exec_lo, exec_lo, s18
	s_mov_b32 s18, exec_lo
	v_cmpx_lt_u32_e32 0xffffff, v17
	s_cbranch_execz .LBB339_709
; %bb.702:                              ;   in Loop: Header=BB339_554 Depth=1
	v_cmp_ne_u32_sdwa s0, v17, v32 src0_sel:BYTE_3 src1_sel:DWORD
	v_bfrev_b32_e32 v66, 1
	s_and_saveexec_b32 s21, s0
	s_cbranch_execz .LBB339_708
; %bb.703:                              ;   in Loop: Header=BB339_554 Depth=1
	v_bfe_u32 v20, v17, 24, 7
	v_mov_b32_e32 v66, 0x7f800001
	s_mov_b32 s22, exec_lo
	v_cmpx_ne_u32_e32 0x7f, v20
	s_cbranch_execz .LBB339_707
; %bb.704:                              ;   in Loop: Header=BB339_554 Depth=1
	v_and_b32_sdwa v9, v17, v37 dst_sel:DWORD dst_unused:UNUSED_PAD src0_sel:BYTE_3 src1_sel:DWORD
	v_lshrrev_b32_e32 v19, 3, v20
	s_mov_b32 s24, exec_lo
	v_cmpx_gt_u32_e32 8, v20
; %bb.705:                              ;   in Loop: Header=BB339_554 Depth=1
	v_ffbh_u32_e32 v0, v9
	v_min_u32_e32 v0, 32, v0
	v_subrev_nc_u32_e32 v19, 28, v0
	v_lshlrev_b64 v[66:67], v19, v[9:10]
	v_sub_nc_u32_e32 v19, 29, v0
	v_and_b32_e32 v9, 7, v66
; %bb.706:                              ;   in Loop: Header=BB339_554 Depth=1
	s_or_b32 exec_lo, exec_lo, s24
	v_lshlrev_b32_sdwa v0, v38, v17 dst_sel:DWORD dst_unused:UNUSED_PAD src0_sel:DWORD src1_sel:BYTE_3
	v_lshlrev_b32_e32 v9, 20, v9
	v_lshl_add_u32 v19, v19, 23, 0x3c000000
	v_and_b32_e32 v0, 0x80000000, v0
	v_or3_b32 v66, v9, v0, v19
.LBB339_707:                            ;   in Loop: Header=BB339_554 Depth=1
	s_or_b32 exec_lo, exec_lo, s22
.LBB339_708:                            ;   in Loop: Header=BB339_554 Depth=1
	s_or_b32 exec_lo, exec_lo, s21
.LBB339_709:                            ;   in Loop: Header=BB339_554 Depth=1
	s_or_b32 exec_lo, exec_lo, s18
	v_mov_b32_e32 v9, v18
	v_cmp_ne_u16_sdwa s0, v18, v10 src0_sel:BYTE_0 src1_sel:DWORD
	v_mov_b32_e32 v19, 0
	v_mov_b32_e32 v35, 0
	s_and_saveexec_b32 s18, s0
	s_cbranch_execz .LBB339_715
; %bb.710:                              ;   in Loop: Header=BB339_554 Depth=1
	v_cmp_ne_u16_sdwa s0, v18, v32 src0_sel:BYTE_0 src1_sel:DWORD
	v_bfrev_b32_e32 v35, 1
	s_and_saveexec_b32 s21, s0
	s_cbranch_execz .LBB339_714
; %bb.711:                              ;   in Loop: Header=BB339_554 Depth=1
	v_and_b32_e32 v20, 0x7f, v18
	v_mov_b32_e32 v35, 0x7f800001
	s_mov_b32 s22, exec_lo
	v_cmpx_ne_u32_e32 0x7f, v20
	s_cbranch_execz .LBB339_713
; %bb.712:                              ;   in Loop: Header=BB339_554 Depth=1
	v_and_b32_e32 v0, 7, v18
	v_cmp_gt_u32_e64 s0, 8, v20
	v_lshrrev_b32_e32 v35, 3, v20
	v_ffbh_u32_e32 v0, v0
	v_min_u32_e32 v0, 32, v0
	v_subrev_nc_u32_e32 v67, 28, v0
	v_sub_nc_u32_e32 v0, 29, v0
	v_cndmask_b32_e64 v20, 0, v67, s0
	v_cndmask_b32_e64 v0, v35, v0, s0
	v_lshlrev_b64 v[67:68], v20, v[9:10]
	v_lshlrev_b32_e32 v20, 24, v9
	v_lshl_add_u32 v0, v0, 23, 0x3c000000
	v_and_b32_e32 v20, 0x80000000, v20
	v_lshlrev_b32_e32 v35, 20, v67
	v_and_b32_e32 v35, 0x700000, v35
	v_or3_b32 v35, v35, v20, v0
.LBB339_713:                            ;   in Loop: Header=BB339_554 Depth=1
	s_or_b32 exec_lo, exec_lo, s22
.LBB339_714:                            ;   in Loop: Header=BB339_554 Depth=1
	s_or_b32 exec_lo, exec_lo, s21
.LBB339_715:                            ;   in Loop: Header=BB339_554 Depth=1
	s_or_b32 exec_lo, exec_lo, s18
	v_cmp_ne_u16_sdwa s0, v9, v10 src0_sel:BYTE_1 src1_sel:DWORD
	s_and_saveexec_b32 s18, s0
	s_cbranch_execz .LBB339_723
; %bb.716:                              ;   in Loop: Header=BB339_554 Depth=1
	v_cmp_ne_u16_sdwa s0, v9, v32 src0_sel:BYTE_1 src1_sel:DWORD
	v_bfrev_b32_e32 v19, 1
	s_and_saveexec_b32 s21, s0
	s_cbranch_execz .LBB339_722
; %bb.717:                              ;   in Loop: Header=BB339_554 Depth=1
	v_and_b32_sdwa v20, v33, v9 dst_sel:DWORD dst_unused:UNUSED_PAD src0_sel:DWORD src1_sel:BYTE_1
	v_mov_b32_e32 v19, 0x7f800001
	s_mov_b32 s22, exec_lo
	v_and_b32_e32 v68, 0x7f, v20
	v_cmpx_ne_u32_e32 0x7f, v68
	s_cbranch_execz .LBB339_721
; %bb.718:                              ;   in Loop: Header=BB339_554 Depth=1
	v_and_b32_e32 v19, 7, v20
	v_mov_b32_e32 v20, v10
	v_lshrrev_b32_e32 v67, 3, v68
	s_mov_b32 s24, exec_lo
	v_cmpx_gt_u32_e32 8, v68
; %bb.719:                              ;   in Loop: Header=BB339_554 Depth=1
	v_ffbh_u32_e32 v0, v19
	v_min_u32_e32 v0, 32, v0
	v_subrev_nc_u32_e32 v67, 28, v0
	v_lshlrev_b64 v[19:20], v67, v[19:20]
	v_sub_nc_u32_e32 v67, 29, v0
	v_and_b32_e32 v19, 7, v19
; %bb.720:                              ;   in Loop: Header=BB339_554 Depth=1
	s_or_b32 exec_lo, exec_lo, s24
	v_lshlrev_b32_e32 v0, 16, v9
	v_lshlrev_b32_e32 v9, 20, v19
	v_lshl_add_u32 v19, v67, 23, 0x3c000000
	v_and_b32_e32 v0, 0x80000000, v0
	v_or3_b32 v19, v9, v0, v19
.LBB339_721:                            ;   in Loop: Header=BB339_554 Depth=1
	s_or_b32 exec_lo, exec_lo, s22
.LBB339_722:                            ;   in Loop: Header=BB339_554 Depth=1
	s_or_b32 exec_lo, exec_lo, s21
.LBB339_723:                            ;   in Loop: Header=BB339_554 Depth=1
	s_or_b32 exec_lo, exec_lo, s18
	v_and_b32_sdwa v9, v18, v34 dst_sel:DWORD dst_unused:UNUSED_PAD src0_sel:WORD_1 src1_sel:DWORD
	v_mov_b32_e32 v20, 0
	v_mov_b32_e32 v67, 0
	s_mov_b32 s18, exec_lo
	v_cmpx_ne_u16_e32 0, v9
	s_cbranch_execz .LBB339_731
; %bb.724:                              ;   in Loop: Header=BB339_554 Depth=1
	v_bfrev_b32_e32 v67, 1
	s_mov_b32 s21, exec_lo
	v_cmpx_ne_u16_e32 0x80, v9
	s_cbranch_execz .LBB339_730
; %bb.725:                              ;   in Loop: Header=BB339_554 Depth=1
	v_bfe_u32 v68, v18, 16, 7
	v_mov_b32_e32 v67, 0x7f800001
	s_mov_b32 s22, exec_lo
	v_cmpx_ne_u32_e32 0x7f, v68
	s_cbranch_execz .LBB339_729
; %bb.726:                              ;   in Loop: Header=BB339_554 Depth=1
	v_and_b32_sdwa v9, v18, v37 dst_sel:DWORD dst_unused:UNUSED_PAD src0_sel:WORD_1 src1_sel:DWORD
	v_lshrrev_b32_e32 v67, 3, v68
	s_mov_b32 s24, exec_lo
	v_cmpx_gt_u32_e32 8, v68
; %bb.727:                              ;   in Loop: Header=BB339_554 Depth=1
	v_ffbh_u32_e32 v0, v9
	v_min_u32_e32 v0, 32, v0
	v_subrev_nc_u32_e32 v67, 28, v0
	v_lshlrev_b64 v[68:69], v67, v[9:10]
	v_sub_nc_u32_e32 v67, 29, v0
	v_and_b32_e32 v9, 7, v68
; %bb.728:                              ;   in Loop: Header=BB339_554 Depth=1
	s_or_b32 exec_lo, exec_lo, s24
	v_lshlrev_b32_sdwa v0, v38, v18 dst_sel:DWORD dst_unused:UNUSED_PAD src0_sel:DWORD src1_sel:WORD_1
	v_lshlrev_b32_e32 v9, 20, v9
	v_lshl_add_u32 v67, v67, 23, 0x3c000000
	v_and_b32_e32 v0, 0x80000000, v0
	v_or3_b32 v67, v9, v0, v67
.LBB339_729:                            ;   in Loop: Header=BB339_554 Depth=1
	s_or_b32 exec_lo, exec_lo, s22
.LBB339_730:                            ;   in Loop: Header=BB339_554 Depth=1
	s_or_b32 exec_lo, exec_lo, s21
.LBB339_731:                            ;   in Loop: Header=BB339_554 Depth=1
	s_or_b32 exec_lo, exec_lo, s18
	s_mov_b32 s18, exec_lo
	v_cmpx_lt_u64_e64 s[4:5], v[17:18]
	s_cbranch_execz .LBB339_739
; %bb.732:                              ;   in Loop: Header=BB339_554 Depth=1
	v_cmp_ne_u32_sdwa s0, v18, v32 src0_sel:BYTE_3 src1_sel:DWORD
	v_bfrev_b32_e32 v20, 1
	s_and_saveexec_b32 s21, s0
	s_cbranch_execz .LBB339_738
; %bb.733:                              ;   in Loop: Header=BB339_554 Depth=1
	v_bfe_u32 v68, v18, 24, 7
	v_mov_b32_e32 v20, 0x7f800001
	s_mov_b32 s22, exec_lo
	v_cmpx_ne_u32_e32 0x7f, v68
	s_cbranch_execz .LBB339_737
; %bb.734:                              ;   in Loop: Header=BB339_554 Depth=1
	v_and_b32_sdwa v9, v18, v37 dst_sel:DWORD dst_unused:UNUSED_PAD src0_sel:BYTE_3 src1_sel:DWORD
	v_lshrrev_b32_e32 v17, 3, v68
	s_mov_b32 s24, exec_lo
	v_cmpx_gt_u32_e32 8, v68
; %bb.735:                              ;   in Loop: Header=BB339_554 Depth=1
	v_ffbh_u32_e32 v0, v9
	v_min_u32_e32 v0, 32, v0
	v_subrev_nc_u32_e32 v17, 28, v0
	v_lshlrev_b64 v[68:69], v17, v[9:10]
	v_sub_nc_u32_e32 v17, 29, v0
	v_and_b32_e32 v9, 7, v68
; %bb.736:                              ;   in Loop: Header=BB339_554 Depth=1
	s_or_b32 exec_lo, exec_lo, s24
	v_lshlrev_b32_sdwa v0, v38, v18 dst_sel:DWORD dst_unused:UNUSED_PAD src0_sel:DWORD src1_sel:BYTE_3
	v_lshlrev_b32_e32 v9, 20, v9
	v_lshl_add_u32 v17, v17, 23, 0x3c000000
	v_and_b32_e32 v0, 0x80000000, v0
	v_or3_b32 v20, v9, v0, v17
.LBB339_737:                            ;   in Loop: Header=BB339_554 Depth=1
	s_or_b32 exec_lo, exec_lo, s22
.LBB339_738:                            ;   in Loop: Header=BB339_554 Depth=1
	s_or_b32 exec_lo, exec_lo, s21
.LBB339_739:                            ;   in Loop: Header=BB339_554 Depth=1
	s_or_b32 exec_lo, exec_lo, s18
	v_mul_f32_e32 v0, s17, v19
	v_mul_f32_e32 v9, s17, v35
	v_mul_f32_e32 v17, s17, v66
	v_mul_f32_e32 v18, s17, v63
	v_mul_f32_e32 v20, s17, v20
	v_bfe_u32 v19, v0, 16, 1
	v_or_b32_e32 v35, 0x400000, v0
	v_bfe_u32 v63, v9, 16, 1
	v_cmp_u_f32_e64 s0, v0, v0
	v_or_b32_e32 v66, 0x400000, v9
	v_add3_u32 v19, v19, v0, 0x7fff
	v_bfe_u32 v68, v17, 16, 1
	v_add3_u32 v63, v63, v9, 0x7fff
	v_or_b32_e32 v69, 0x400000, v17
	v_bfe_u32 v70, v18, 16, 1
	v_cndmask_b32_e64 v0, v19, v35, s0
	v_cmp_u_f32_e64 s0, v9, v9
	v_add3_u32 v68, v68, v17, 0x7fff
	v_or_b32_e32 v35, 0x400000, v18
	v_add3_u32 v19, v70, v18, 0x7fff
	v_cndmask_b32_e64 v9, v63, v66, s0
	v_cmp_u_f32_e64 s0, v17, v17
	v_lshrrev_b32_e32 v63, 16, v0
	v_mul_f32_e32 v0, s17, v64
	v_lshrrev_b32_e32 v64, 16, v9
	v_cndmask_b32_e64 v17, v68, v69, s0
	v_cmp_u_f32_e64 s0, v18, v18
	v_bfe_u32 v9, v0, 16, 1
	v_mul_f32_e32 v18, s17, v65
	v_or_b32_e32 v69, 0x400000, v20
	v_lshrrev_b32_e32 v66, 16, v17
	v_cndmask_b32_e64 v17, v19, v35, s0
	v_mul_f32_e32 v19, s17, v67
	v_add3_u32 v9, v9, v0, 0x7fff
	v_or_b32_e32 v35, 0x400000, v0
	v_bfe_u32 v65, v18, 16, 1
	v_cmp_u_f32_e64 s0, v0, v0
	v_bfe_u32 v67, v19, 16, 1
	v_or_b32_e32 v68, 0x400000, v19
	v_cndmask_b32_e64 v0, v9, v35, s0
	v_add3_u32 v35, v65, v18, 0x7fff
	v_or_b32_e32 v65, 0x400000, v18
	v_cmp_u_f32_e64 s0, v18, v18
	v_bfe_u32 v9, v20, 16, 1
	v_add3_u32 v67, v67, v19, 0x7fff
	v_lshrrev_b32_e32 v70, 16, v0
	v_cndmask_b32_e64 v18, v35, v65, s0
	v_cmp_u_f32_e64 s0, v19, v19
	v_add3_u32 v9, v9, v20, 0x7fff
	v_cndmask_b32_e64 v19, v67, v68, s0
	v_cmp_u_f32_e64 s0, v20, v20
	v_lshrrev_b32_e32 v68, 16, v17
	v_lshrrev_b32_e32 v65, 16, v19
	v_cndmask_b32_e64 v9, v9, v69, s0
	v_lshrrev_b32_e32 v69, 16, v18
	v_lshrrev_b32_e32 v67, 16, v9
	s_and_saveexec_b32 s18, vcc_lo
	s_cbranch_execz .LBB339_741
; %bb.740:                              ;   in Loop: Header=BB339_554 Depth=1
	v_cmp_gt_i32_e64 s0, s31, v36
	v_cndmask_b32_e64 v69, 0, v69, s0
	v_cmp_gt_i32_e64 s0, s31, v59
	v_cndmask_b32_e64 v70, 0, v70, s0
	;; [unrolled: 2-line block ×8, first 2 shown]
.LBB339_741:                            ;   in Loop: Header=BB339_554 Depth=1
	s_or_b32 exec_lo, exec_lo, s18
	global_load_dwordx2 v[17:18], v[15:16], off offset:768
	v_mov_b32_e32 v72, 0
	v_mov_b32_e32 v73, 0
	s_waitcnt vmcnt(0)
	v_cmp_ne_u16_sdwa s0, v17, v10 src0_sel:BYTE_0 src1_sel:DWORD
	s_and_saveexec_b32 s18, s0
	s_cbranch_execz .LBB339_747
; %bb.742:                              ;   in Loop: Header=BB339_554 Depth=1
	v_cmp_ne_u16_sdwa s0, v17, v32 src0_sel:BYTE_0 src1_sel:DWORD
	v_bfrev_b32_e32 v73, 1
	s_and_saveexec_b32 s21, s0
	s_cbranch_execz .LBB339_746
; %bb.743:                              ;   in Loop: Header=BB339_554 Depth=1
	v_and_b32_e32 v9, 0x7f, v17
	v_mov_b32_e32 v73, 0x7f800001
	s_mov_b32 s22, exec_lo
	v_cmpx_ne_u32_e32 0x7f, v9
	s_cbranch_execz .LBB339_745
; %bb.744:                              ;   in Loop: Header=BB339_554 Depth=1
	v_and_b32_e32 v0, 7, v17
	v_cmp_gt_u32_e64 s0, 8, v9
	v_lshrrev_b32_e32 v19, 3, v9
	v_ffbh_u32_e32 v0, v0
	v_min_u32_e32 v0, 32, v0
	v_subrev_nc_u32_e32 v20, 28, v0
	v_sub_nc_u32_e32 v0, 29, v0
	v_cndmask_b32_e64 v9, 0, v20, s0
	v_cndmask_b32_e64 v0, v19, v0, s0
	v_lshlrev_b64 v[19:20], v9, v[17:18]
	v_lshlrev_b32_e32 v9, 24, v17
	v_lshl_add_u32 v0, v0, 23, 0x3c000000
	v_and_b32_e32 v9, 0x80000000, v9
	v_lshlrev_b32_e32 v19, 20, v19
	v_and_b32_e32 v19, 0x700000, v19
	v_or3_b32 v73, v19, v9, v0
.LBB339_745:                            ;   in Loop: Header=BB339_554 Depth=1
	s_or_b32 exec_lo, exec_lo, s22
.LBB339_746:                            ;   in Loop: Header=BB339_554 Depth=1
	s_or_b32 exec_lo, exec_lo, s21
.LBB339_747:                            ;   in Loop: Header=BB339_554 Depth=1
	s_or_b32 exec_lo, exec_lo, s18
	v_cmp_ne_u16_sdwa s0, v17, v10 src0_sel:BYTE_1 src1_sel:DWORD
	s_and_saveexec_b32 s18, s0
	s_cbranch_execz .LBB339_755
; %bb.748:                              ;   in Loop: Header=BB339_554 Depth=1
	v_cmp_ne_u16_sdwa s0, v17, v32 src0_sel:BYTE_1 src1_sel:DWORD
	v_bfrev_b32_e32 v72, 1
	s_and_saveexec_b32 s21, s0
	s_cbranch_execz .LBB339_754
; %bb.749:                              ;   in Loop: Header=BB339_554 Depth=1
	v_and_b32_sdwa v9, v33, v17 dst_sel:DWORD dst_unused:UNUSED_PAD src0_sel:DWORD src1_sel:BYTE_1
	v_mov_b32_e32 v72, 0x7f800001
	s_mov_b32 s22, exec_lo
	v_and_b32_e32 v20, 0x7f, v9
	v_cmpx_ne_u32_e32 0x7f, v20
	s_cbranch_execz .LBB339_753
; %bb.750:                              ;   in Loop: Header=BB339_554 Depth=1
	v_and_b32_e32 v9, 7, v9
	v_lshrrev_b32_e32 v19, 3, v20
	s_mov_b32 s24, exec_lo
	v_cmpx_gt_u32_e32 8, v20
; %bb.751:                              ;   in Loop: Header=BB339_554 Depth=1
	v_ffbh_u32_e32 v0, v9
	v_min_u32_e32 v0, 32, v0
	v_subrev_nc_u32_e32 v19, 28, v0
	v_lshlrev_b64 v[71:72], v19, v[9:10]
	v_sub_nc_u32_e32 v19, 29, v0
	v_and_b32_e32 v9, 7, v71
; %bb.752:                              ;   in Loop: Header=BB339_554 Depth=1
	s_or_b32 exec_lo, exec_lo, s24
	v_lshlrev_b32_e32 v0, 16, v17
	v_lshlrev_b32_e32 v9, 20, v9
	v_lshl_add_u32 v19, v19, 23, 0x3c000000
	v_and_b32_e32 v0, 0x80000000, v0
	v_or3_b32 v72, v9, v0, v19
.LBB339_753:                            ;   in Loop: Header=BB339_554 Depth=1
	s_or_b32 exec_lo, exec_lo, s22
.LBB339_754:                            ;   in Loop: Header=BB339_554 Depth=1
	s_or_b32 exec_lo, exec_lo, s21
.LBB339_755:                            ;   in Loop: Header=BB339_554 Depth=1
	s_or_b32 exec_lo, exec_lo, s18
	v_and_b32_sdwa v9, v17, v34 dst_sel:DWORD dst_unused:UNUSED_PAD src0_sel:WORD_1 src1_sel:DWORD
	v_mov_b32_e32 v74, 0
	v_mov_b32_e32 v71, 0
	s_mov_b32 s18, exec_lo
	v_cmpx_ne_u16_e32 0, v9
	s_cbranch_execz .LBB339_763
; %bb.756:                              ;   in Loop: Header=BB339_554 Depth=1
	v_bfrev_b32_e32 v71, 1
	s_mov_b32 s21, exec_lo
	v_cmpx_ne_u16_e32 0x80, v9
	s_cbranch_execz .LBB339_762
; %bb.757:                              ;   in Loop: Header=BB339_554 Depth=1
	v_bfe_u32 v20, v17, 16, 7
	v_mov_b32_e32 v71, 0x7f800001
	s_mov_b32 s22, exec_lo
	v_cmpx_ne_u32_e32 0x7f, v20
	s_cbranch_execz .LBB339_761
; %bb.758:                              ;   in Loop: Header=BB339_554 Depth=1
	v_and_b32_sdwa v9, v17, v37 dst_sel:DWORD dst_unused:UNUSED_PAD src0_sel:WORD_1 src1_sel:DWORD
	v_lshrrev_b32_e32 v19, 3, v20
	s_mov_b32 s24, exec_lo
	v_cmpx_gt_u32_e32 8, v20
; %bb.759:                              ;   in Loop: Header=BB339_554 Depth=1
	v_ffbh_u32_e32 v0, v9
	v_min_u32_e32 v0, 32, v0
	v_subrev_nc_u32_e32 v19, 28, v0
	v_lshlrev_b64 v[75:76], v19, v[9:10]
	v_sub_nc_u32_e32 v19, 29, v0
	v_and_b32_e32 v9, 7, v75
; %bb.760:                              ;   in Loop: Header=BB339_554 Depth=1
	s_or_b32 exec_lo, exec_lo, s24
	v_lshlrev_b32_sdwa v0, v38, v17 dst_sel:DWORD dst_unused:UNUSED_PAD src0_sel:DWORD src1_sel:WORD_1
	v_lshlrev_b32_e32 v9, 20, v9
	v_lshl_add_u32 v19, v19, 23, 0x3c000000
	v_and_b32_e32 v0, 0x80000000, v0
	v_or3_b32 v71, v9, v0, v19
.LBB339_761:                            ;   in Loop: Header=BB339_554 Depth=1
	s_or_b32 exec_lo, exec_lo, s22
.LBB339_762:                            ;   in Loop: Header=BB339_554 Depth=1
	s_or_b32 exec_lo, exec_lo, s21
.LBB339_763:                            ;   in Loop: Header=BB339_554 Depth=1
	s_or_b32 exec_lo, exec_lo, s18
	s_mov_b32 s18, exec_lo
	v_cmpx_lt_u32_e32 0xffffff, v17
	s_cbranch_execz .LBB339_771
; %bb.764:                              ;   in Loop: Header=BB339_554 Depth=1
	v_cmp_ne_u32_sdwa s0, v17, v32 src0_sel:BYTE_3 src1_sel:DWORD
	v_bfrev_b32_e32 v74, 1
	s_and_saveexec_b32 s21, s0
	s_cbranch_execz .LBB339_770
; %bb.765:                              ;   in Loop: Header=BB339_554 Depth=1
	v_bfe_u32 v20, v17, 24, 7
	v_mov_b32_e32 v74, 0x7f800001
	s_mov_b32 s22, exec_lo
	v_cmpx_ne_u32_e32 0x7f, v20
	s_cbranch_execz .LBB339_769
; %bb.766:                              ;   in Loop: Header=BB339_554 Depth=1
	v_and_b32_sdwa v9, v17, v37 dst_sel:DWORD dst_unused:UNUSED_PAD src0_sel:BYTE_3 src1_sel:DWORD
	v_lshrrev_b32_e32 v19, 3, v20
	s_mov_b32 s24, exec_lo
	v_cmpx_gt_u32_e32 8, v20
; %bb.767:                              ;   in Loop: Header=BB339_554 Depth=1
	v_ffbh_u32_e32 v0, v9
	v_min_u32_e32 v0, 32, v0
	v_subrev_nc_u32_e32 v19, 28, v0
	v_lshlrev_b64 v[74:75], v19, v[9:10]
	v_sub_nc_u32_e32 v19, 29, v0
	v_and_b32_e32 v9, 7, v74
; %bb.768:                              ;   in Loop: Header=BB339_554 Depth=1
	s_or_b32 exec_lo, exec_lo, s24
	v_lshlrev_b32_sdwa v0, v38, v17 dst_sel:DWORD dst_unused:UNUSED_PAD src0_sel:DWORD src1_sel:BYTE_3
	v_lshlrev_b32_e32 v9, 20, v9
	v_lshl_add_u32 v19, v19, 23, 0x3c000000
	v_and_b32_e32 v0, 0x80000000, v0
	v_or3_b32 v74, v9, v0, v19
.LBB339_769:                            ;   in Loop: Header=BB339_554 Depth=1
	s_or_b32 exec_lo, exec_lo, s22
.LBB339_770:                            ;   in Loop: Header=BB339_554 Depth=1
	s_or_b32 exec_lo, exec_lo, s21
.LBB339_771:                            ;   in Loop: Header=BB339_554 Depth=1
	s_or_b32 exec_lo, exec_lo, s18
	v_mov_b32_e32 v9, v18
	v_cmp_ne_u16_sdwa s0, v18, v10 src0_sel:BYTE_0 src1_sel:DWORD
	v_mov_b32_e32 v19, 0
	v_mov_b32_e32 v35, 0
	s_and_saveexec_b32 s18, s0
	s_cbranch_execz .LBB339_777
; %bb.772:                              ;   in Loop: Header=BB339_554 Depth=1
	v_cmp_ne_u16_sdwa s0, v18, v32 src0_sel:BYTE_0 src1_sel:DWORD
	v_bfrev_b32_e32 v35, 1
	s_and_saveexec_b32 s21, s0
	s_cbranch_execz .LBB339_776
; %bb.773:                              ;   in Loop: Header=BB339_554 Depth=1
	v_and_b32_e32 v20, 0x7f, v18
	v_mov_b32_e32 v35, 0x7f800001
	s_mov_b32 s22, exec_lo
	v_cmpx_ne_u32_e32 0x7f, v20
	s_cbranch_execz .LBB339_775
; %bb.774:                              ;   in Loop: Header=BB339_554 Depth=1
	v_and_b32_e32 v0, 7, v18
	v_cmp_gt_u32_e64 s0, 8, v20
	v_lshrrev_b32_e32 v35, 3, v20
	v_ffbh_u32_e32 v0, v0
	v_min_u32_e32 v0, 32, v0
	v_subrev_nc_u32_e32 v75, 28, v0
	v_sub_nc_u32_e32 v0, 29, v0
	v_cndmask_b32_e64 v20, 0, v75, s0
	v_cndmask_b32_e64 v0, v35, v0, s0
	v_lshlrev_b64 v[75:76], v20, v[9:10]
	v_lshlrev_b32_e32 v20, 24, v9
	v_lshl_add_u32 v0, v0, 23, 0x3c000000
	v_and_b32_e32 v20, 0x80000000, v20
	v_lshlrev_b32_e32 v35, 20, v75
	v_and_b32_e32 v35, 0x700000, v35
	v_or3_b32 v35, v35, v20, v0
.LBB339_775:                            ;   in Loop: Header=BB339_554 Depth=1
	s_or_b32 exec_lo, exec_lo, s22
.LBB339_776:                            ;   in Loop: Header=BB339_554 Depth=1
	s_or_b32 exec_lo, exec_lo, s21
.LBB339_777:                            ;   in Loop: Header=BB339_554 Depth=1
	s_or_b32 exec_lo, exec_lo, s18
	v_cmp_ne_u16_sdwa s0, v9, v10 src0_sel:BYTE_1 src1_sel:DWORD
	s_and_saveexec_b32 s18, s0
	s_cbranch_execz .LBB339_785
; %bb.778:                              ;   in Loop: Header=BB339_554 Depth=1
	v_cmp_ne_u16_sdwa s0, v9, v32 src0_sel:BYTE_1 src1_sel:DWORD
	v_bfrev_b32_e32 v19, 1
	s_and_saveexec_b32 s21, s0
	s_cbranch_execz .LBB339_784
; %bb.779:                              ;   in Loop: Header=BB339_554 Depth=1
	v_and_b32_sdwa v20, v33, v9 dst_sel:DWORD dst_unused:UNUSED_PAD src0_sel:DWORD src1_sel:BYTE_1
	v_mov_b32_e32 v19, 0x7f800001
	s_mov_b32 s22, exec_lo
	v_and_b32_e32 v76, 0x7f, v20
	v_cmpx_ne_u32_e32 0x7f, v76
	s_cbranch_execz .LBB339_783
; %bb.780:                              ;   in Loop: Header=BB339_554 Depth=1
	v_and_b32_e32 v19, 7, v20
	v_mov_b32_e32 v20, v10
	v_lshrrev_b32_e32 v75, 3, v76
	s_mov_b32 s24, exec_lo
	v_cmpx_gt_u32_e32 8, v76
; %bb.781:                              ;   in Loop: Header=BB339_554 Depth=1
	v_ffbh_u32_e32 v0, v19
	v_min_u32_e32 v0, 32, v0
	v_subrev_nc_u32_e32 v75, 28, v0
	v_lshlrev_b64 v[19:20], v75, v[19:20]
	v_sub_nc_u32_e32 v75, 29, v0
	v_and_b32_e32 v19, 7, v19
; %bb.782:                              ;   in Loop: Header=BB339_554 Depth=1
	s_or_b32 exec_lo, exec_lo, s24
	v_lshlrev_b32_e32 v0, 16, v9
	v_lshlrev_b32_e32 v9, 20, v19
	v_lshl_add_u32 v19, v75, 23, 0x3c000000
	v_and_b32_e32 v0, 0x80000000, v0
	v_or3_b32 v19, v9, v0, v19
.LBB339_783:                            ;   in Loop: Header=BB339_554 Depth=1
	s_or_b32 exec_lo, exec_lo, s22
.LBB339_784:                            ;   in Loop: Header=BB339_554 Depth=1
	s_or_b32 exec_lo, exec_lo, s21
.LBB339_785:                            ;   in Loop: Header=BB339_554 Depth=1
	s_or_b32 exec_lo, exec_lo, s18
	v_and_b32_sdwa v9, v18, v34 dst_sel:DWORD dst_unused:UNUSED_PAD src0_sel:WORD_1 src1_sel:DWORD
	v_mov_b32_e32 v20, 0
	v_mov_b32_e32 v75, 0
	s_mov_b32 s18, exec_lo
	v_cmpx_ne_u16_e32 0, v9
	s_cbranch_execz .LBB339_793
; %bb.786:                              ;   in Loop: Header=BB339_554 Depth=1
	v_bfrev_b32_e32 v75, 1
	s_mov_b32 s21, exec_lo
	v_cmpx_ne_u16_e32 0x80, v9
	s_cbranch_execz .LBB339_792
; %bb.787:                              ;   in Loop: Header=BB339_554 Depth=1
	v_bfe_u32 v76, v18, 16, 7
	v_mov_b32_e32 v75, 0x7f800001
	s_mov_b32 s22, exec_lo
	v_cmpx_ne_u32_e32 0x7f, v76
	s_cbranch_execz .LBB339_791
; %bb.788:                              ;   in Loop: Header=BB339_554 Depth=1
	v_and_b32_sdwa v9, v18, v37 dst_sel:DWORD dst_unused:UNUSED_PAD src0_sel:WORD_1 src1_sel:DWORD
	v_lshrrev_b32_e32 v75, 3, v76
	s_mov_b32 s24, exec_lo
	v_cmpx_gt_u32_e32 8, v76
; %bb.789:                              ;   in Loop: Header=BB339_554 Depth=1
	v_ffbh_u32_e32 v0, v9
	v_min_u32_e32 v0, 32, v0
	v_subrev_nc_u32_e32 v75, 28, v0
	v_lshlrev_b64 v[76:77], v75, v[9:10]
	v_sub_nc_u32_e32 v75, 29, v0
	v_and_b32_e32 v9, 7, v76
; %bb.790:                              ;   in Loop: Header=BB339_554 Depth=1
	s_or_b32 exec_lo, exec_lo, s24
	v_lshlrev_b32_sdwa v0, v38, v18 dst_sel:DWORD dst_unused:UNUSED_PAD src0_sel:DWORD src1_sel:WORD_1
	v_lshlrev_b32_e32 v9, 20, v9
	v_lshl_add_u32 v75, v75, 23, 0x3c000000
	v_and_b32_e32 v0, 0x80000000, v0
	v_or3_b32 v75, v9, v0, v75
.LBB339_791:                            ;   in Loop: Header=BB339_554 Depth=1
	s_or_b32 exec_lo, exec_lo, s22
.LBB339_792:                            ;   in Loop: Header=BB339_554 Depth=1
	s_or_b32 exec_lo, exec_lo, s21
.LBB339_793:                            ;   in Loop: Header=BB339_554 Depth=1
	s_or_b32 exec_lo, exec_lo, s18
	s_mov_b32 s18, exec_lo
	v_cmpx_lt_u64_e64 s[4:5], v[17:18]
	s_cbranch_execz .LBB339_801
; %bb.794:                              ;   in Loop: Header=BB339_554 Depth=1
	v_cmp_ne_u32_sdwa s0, v18, v32 src0_sel:BYTE_3 src1_sel:DWORD
	v_bfrev_b32_e32 v20, 1
	s_and_saveexec_b32 s21, s0
	s_cbranch_execz .LBB339_800
; %bb.795:                              ;   in Loop: Header=BB339_554 Depth=1
	v_bfe_u32 v76, v18, 24, 7
	v_mov_b32_e32 v20, 0x7f800001
	s_mov_b32 s22, exec_lo
	v_cmpx_ne_u32_e32 0x7f, v76
	s_cbranch_execz .LBB339_799
; %bb.796:                              ;   in Loop: Header=BB339_554 Depth=1
	v_and_b32_sdwa v9, v18, v37 dst_sel:DWORD dst_unused:UNUSED_PAD src0_sel:BYTE_3 src1_sel:DWORD
	v_lshrrev_b32_e32 v17, 3, v76
	s_mov_b32 s24, exec_lo
	v_cmpx_gt_u32_e32 8, v76
; %bb.797:                              ;   in Loop: Header=BB339_554 Depth=1
	v_ffbh_u32_e32 v0, v9
	v_min_u32_e32 v0, 32, v0
	v_subrev_nc_u32_e32 v17, 28, v0
	v_lshlrev_b64 v[76:77], v17, v[9:10]
	v_sub_nc_u32_e32 v17, 29, v0
	v_and_b32_e32 v9, 7, v76
; %bb.798:                              ;   in Loop: Header=BB339_554 Depth=1
	s_or_b32 exec_lo, exec_lo, s24
	v_lshlrev_b32_sdwa v0, v38, v18 dst_sel:DWORD dst_unused:UNUSED_PAD src0_sel:DWORD src1_sel:BYTE_3
	v_lshlrev_b32_e32 v9, 20, v9
	v_lshl_add_u32 v17, v17, 23, 0x3c000000
	v_and_b32_e32 v0, 0x80000000, v0
	v_or3_b32 v20, v9, v0, v17
.LBB339_799:                            ;   in Loop: Header=BB339_554 Depth=1
	s_or_b32 exec_lo, exec_lo, s22
.LBB339_800:                            ;   in Loop: Header=BB339_554 Depth=1
	s_or_b32 exec_lo, exec_lo, s21
.LBB339_801:                            ;   in Loop: Header=BB339_554 Depth=1
	s_or_b32 exec_lo, exec_lo, s18
	v_mul_f32_e32 v0, s17, v19
	v_mul_f32_e32 v9, s17, v35
	;; [unrolled: 1-line block ×5, first 2 shown]
	v_bfe_u32 v19, v0, 16, 1
	v_or_b32_e32 v35, 0x400000, v0
	v_bfe_u32 v71, v9, 16, 1
	v_cmp_u_f32_e64 s0, v0, v0
	v_or_b32_e32 v74, 0x400000, v9
	v_add3_u32 v19, v19, v0, 0x7fff
	v_bfe_u32 v76, v17, 16, 1
	v_add3_u32 v71, v71, v9, 0x7fff
	v_or_b32_e32 v77, 0x400000, v17
	v_bfe_u32 v78, v18, 16, 1
	v_cndmask_b32_e64 v0, v19, v35, s0
	v_cmp_u_f32_e64 s0, v9, v9
	v_add3_u32 v76, v76, v17, 0x7fff
	v_or_b32_e32 v35, 0x400000, v18
	v_add3_u32 v19, v78, v18, 0x7fff
	v_cndmask_b32_e64 v9, v71, v74, s0
	v_cmp_u_f32_e64 s0, v17, v17
	v_lshrrev_b32_e32 v71, 16, v0
	v_mul_f32_e32 v0, s17, v72
	v_lshrrev_b32_e32 v72, 16, v9
	v_cndmask_b32_e64 v17, v76, v77, s0
	v_cmp_u_f32_e64 s0, v18, v18
	v_bfe_u32 v9, v0, 16, 1
	v_mul_f32_e32 v18, s17, v73
	v_or_b32_e32 v77, 0x400000, v20
	v_lshrrev_b32_e32 v74, 16, v17
	v_cndmask_b32_e64 v17, v19, v35, s0
	v_mul_f32_e32 v19, s17, v75
	v_add3_u32 v9, v9, v0, 0x7fff
	v_or_b32_e32 v35, 0x400000, v0
	v_bfe_u32 v73, v18, 16, 1
	v_cmp_u_f32_e64 s0, v0, v0
	v_bfe_u32 v75, v19, 16, 1
	v_or_b32_e32 v76, 0x400000, v19
	v_cndmask_b32_e64 v0, v9, v35, s0
	v_add3_u32 v35, v73, v18, 0x7fff
	v_or_b32_e32 v73, 0x400000, v18
	v_cmp_u_f32_e64 s0, v18, v18
	v_bfe_u32 v9, v20, 16, 1
	v_add3_u32 v75, v75, v19, 0x7fff
	v_lshrrev_b32_e32 v78, 16, v0
	v_cndmask_b32_e64 v18, v35, v73, s0
	v_cmp_u_f32_e64 s0, v19, v19
	v_add3_u32 v9, v9, v20, 0x7fff
	v_cndmask_b32_e64 v19, v75, v76, s0
	v_cmp_u_f32_e64 s0, v20, v20
	v_lshrrev_b32_e32 v76, 16, v17
	v_lshrrev_b32_e32 v73, 16, v19
	v_cndmask_b32_e64 v9, v9, v77, s0
	v_lshrrev_b32_e32 v77, 16, v18
	v_lshrrev_b32_e32 v75, 16, v9
	s_and_saveexec_b32 s18, vcc_lo
	s_cbranch_execz .LBB339_803
; %bb.802:                              ;   in Loop: Header=BB339_554 Depth=1
	v_cmp_gt_i32_e64 s0, s31, v36
	v_cndmask_b32_e64 v77, 0, v77, s0
	v_cmp_gt_i32_e64 s0, s31, v59
	v_cndmask_b32_e64 v78, 0, v78, s0
	;; [unrolled: 2-line block ×8, first 2 shown]
.LBB339_803:                            ;   in Loop: Header=BB339_554 Depth=1
	s_or_b32 exec_lo, exec_lo, s18
	global_load_dwordx2 v[17:18], v[15:16], off offset:1024
	v_mov_b32_e32 v79, 0
	v_mov_b32_e32 v81, 0
	s_waitcnt vmcnt(0)
	v_cmp_ne_u16_sdwa s0, v17, v10 src0_sel:BYTE_0 src1_sel:DWORD
	s_and_saveexec_b32 s18, s0
	s_cbranch_execz .LBB339_809
; %bb.804:                              ;   in Loop: Header=BB339_554 Depth=1
	v_cmp_ne_u16_sdwa s0, v17, v32 src0_sel:BYTE_0 src1_sel:DWORD
	v_bfrev_b32_e32 v81, 1
	s_and_saveexec_b32 s21, s0
	s_cbranch_execz .LBB339_808
; %bb.805:                              ;   in Loop: Header=BB339_554 Depth=1
	v_and_b32_e32 v9, 0x7f, v17
	v_mov_b32_e32 v81, 0x7f800001
	s_mov_b32 s22, exec_lo
	v_cmpx_ne_u32_e32 0x7f, v9
	s_cbranch_execz .LBB339_807
; %bb.806:                              ;   in Loop: Header=BB339_554 Depth=1
	v_and_b32_e32 v0, 7, v17
	v_cmp_gt_u32_e64 s0, 8, v9
	v_lshrrev_b32_e32 v19, 3, v9
	v_ffbh_u32_e32 v0, v0
	v_min_u32_e32 v0, 32, v0
	v_subrev_nc_u32_e32 v20, 28, v0
	v_sub_nc_u32_e32 v0, 29, v0
	v_cndmask_b32_e64 v9, 0, v20, s0
	v_cndmask_b32_e64 v0, v19, v0, s0
	v_lshlrev_b64 v[19:20], v9, v[17:18]
	v_lshlrev_b32_e32 v9, 24, v17
	v_lshl_add_u32 v0, v0, 23, 0x3c000000
	v_and_b32_e32 v9, 0x80000000, v9
	v_lshlrev_b32_e32 v19, 20, v19
	v_and_b32_e32 v19, 0x700000, v19
	v_or3_b32 v81, v19, v9, v0
.LBB339_807:                            ;   in Loop: Header=BB339_554 Depth=1
	s_or_b32 exec_lo, exec_lo, s22
.LBB339_808:                            ;   in Loop: Header=BB339_554 Depth=1
	s_or_b32 exec_lo, exec_lo, s21
.LBB339_809:                            ;   in Loop: Header=BB339_554 Depth=1
	s_or_b32 exec_lo, exec_lo, s18
	v_cmp_ne_u16_sdwa s0, v17, v10 src0_sel:BYTE_1 src1_sel:DWORD
	s_and_saveexec_b32 s18, s0
	s_cbranch_execz .LBB339_817
; %bb.810:                              ;   in Loop: Header=BB339_554 Depth=1
	v_cmp_ne_u16_sdwa s0, v17, v32 src0_sel:BYTE_1 src1_sel:DWORD
	v_bfrev_b32_e32 v79, 1
	s_and_saveexec_b32 s21, s0
	s_cbranch_execz .LBB339_816
; %bb.811:                              ;   in Loop: Header=BB339_554 Depth=1
	v_and_b32_sdwa v9, v33, v17 dst_sel:DWORD dst_unused:UNUSED_PAD src0_sel:DWORD src1_sel:BYTE_1
	v_mov_b32_e32 v79, 0x7f800001
	s_mov_b32 s22, exec_lo
	v_and_b32_e32 v20, 0x7f, v9
	v_cmpx_ne_u32_e32 0x7f, v20
	s_cbranch_execz .LBB339_815
; %bb.812:                              ;   in Loop: Header=BB339_554 Depth=1
	v_and_b32_e32 v9, 7, v9
	v_lshrrev_b32_e32 v19, 3, v20
	s_mov_b32 s24, exec_lo
	v_cmpx_gt_u32_e32 8, v20
; %bb.813:                              ;   in Loop: Header=BB339_554 Depth=1
	v_ffbh_u32_e32 v0, v9
	v_min_u32_e32 v0, 32, v0
	v_subrev_nc_u32_e32 v19, 28, v0
	v_lshlrev_b64 v[79:80], v19, v[9:10]
	v_sub_nc_u32_e32 v19, 29, v0
	v_and_b32_e32 v9, 7, v79
; %bb.814:                              ;   in Loop: Header=BB339_554 Depth=1
	s_or_b32 exec_lo, exec_lo, s24
	v_lshlrev_b32_e32 v0, 16, v17
	v_lshlrev_b32_e32 v9, 20, v9
	v_lshl_add_u32 v19, v19, 23, 0x3c000000
	v_and_b32_e32 v0, 0x80000000, v0
	v_or3_b32 v79, v9, v0, v19
.LBB339_815:                            ;   in Loop: Header=BB339_554 Depth=1
	s_or_b32 exec_lo, exec_lo, s22
.LBB339_816:                            ;   in Loop: Header=BB339_554 Depth=1
	s_or_b32 exec_lo, exec_lo, s21
.LBB339_817:                            ;   in Loop: Header=BB339_554 Depth=1
	s_or_b32 exec_lo, exec_lo, s18
	v_and_b32_sdwa v9, v17, v34 dst_sel:DWORD dst_unused:UNUSED_PAD src0_sel:WORD_1 src1_sel:DWORD
	v_mov_b32_e32 v82, 0
	v_mov_b32_e32 v80, 0
	s_mov_b32 s18, exec_lo
	v_cmpx_ne_u16_e32 0, v9
	s_cbranch_execz .LBB339_825
; %bb.818:                              ;   in Loop: Header=BB339_554 Depth=1
	v_bfrev_b32_e32 v80, 1
	s_mov_b32 s21, exec_lo
	v_cmpx_ne_u16_e32 0x80, v9
	s_cbranch_execz .LBB339_824
; %bb.819:                              ;   in Loop: Header=BB339_554 Depth=1
	v_bfe_u32 v20, v17, 16, 7
	v_mov_b32_e32 v80, 0x7f800001
	s_mov_b32 s22, exec_lo
	v_cmpx_ne_u32_e32 0x7f, v20
	s_cbranch_execz .LBB339_823
; %bb.820:                              ;   in Loop: Header=BB339_554 Depth=1
	v_and_b32_sdwa v9, v17, v37 dst_sel:DWORD dst_unused:UNUSED_PAD src0_sel:WORD_1 src1_sel:DWORD
	v_lshrrev_b32_e32 v19, 3, v20
	s_mov_b32 s24, exec_lo
	v_cmpx_gt_u32_e32 8, v20
; %bb.821:                              ;   in Loop: Header=BB339_554 Depth=1
	v_ffbh_u32_e32 v0, v9
	v_min_u32_e32 v0, 32, v0
	v_subrev_nc_u32_e32 v19, 28, v0
	v_lshlrev_b64 v[83:84], v19, v[9:10]
	v_sub_nc_u32_e32 v19, 29, v0
	v_and_b32_e32 v9, 7, v83
; %bb.822:                              ;   in Loop: Header=BB339_554 Depth=1
	s_or_b32 exec_lo, exec_lo, s24
	v_lshlrev_b32_sdwa v0, v38, v17 dst_sel:DWORD dst_unused:UNUSED_PAD src0_sel:DWORD src1_sel:WORD_1
	v_lshlrev_b32_e32 v9, 20, v9
	v_lshl_add_u32 v19, v19, 23, 0x3c000000
	v_and_b32_e32 v0, 0x80000000, v0
	v_or3_b32 v80, v9, v0, v19
.LBB339_823:                            ;   in Loop: Header=BB339_554 Depth=1
	s_or_b32 exec_lo, exec_lo, s22
.LBB339_824:                            ;   in Loop: Header=BB339_554 Depth=1
	s_or_b32 exec_lo, exec_lo, s21
.LBB339_825:                            ;   in Loop: Header=BB339_554 Depth=1
	s_or_b32 exec_lo, exec_lo, s18
	s_mov_b32 s18, exec_lo
	v_cmpx_lt_u32_e32 0xffffff, v17
	s_cbranch_execz .LBB339_833
; %bb.826:                              ;   in Loop: Header=BB339_554 Depth=1
	v_cmp_ne_u32_sdwa s0, v17, v32 src0_sel:BYTE_3 src1_sel:DWORD
	v_bfrev_b32_e32 v82, 1
	s_and_saveexec_b32 s21, s0
	s_cbranch_execz .LBB339_832
; %bb.827:                              ;   in Loop: Header=BB339_554 Depth=1
	v_bfe_u32 v20, v17, 24, 7
	v_mov_b32_e32 v82, 0x7f800001
	s_mov_b32 s22, exec_lo
	v_cmpx_ne_u32_e32 0x7f, v20
	s_cbranch_execz .LBB339_831
; %bb.828:                              ;   in Loop: Header=BB339_554 Depth=1
	v_and_b32_sdwa v9, v17, v37 dst_sel:DWORD dst_unused:UNUSED_PAD src0_sel:BYTE_3 src1_sel:DWORD
	v_lshrrev_b32_e32 v19, 3, v20
	s_mov_b32 s24, exec_lo
	v_cmpx_gt_u32_e32 8, v20
; %bb.829:                              ;   in Loop: Header=BB339_554 Depth=1
	v_ffbh_u32_e32 v0, v9
	v_min_u32_e32 v0, 32, v0
	v_subrev_nc_u32_e32 v19, 28, v0
	v_lshlrev_b64 v[82:83], v19, v[9:10]
	v_sub_nc_u32_e32 v19, 29, v0
	v_and_b32_e32 v9, 7, v82
; %bb.830:                              ;   in Loop: Header=BB339_554 Depth=1
	s_or_b32 exec_lo, exec_lo, s24
	v_lshlrev_b32_sdwa v0, v38, v17 dst_sel:DWORD dst_unused:UNUSED_PAD src0_sel:DWORD src1_sel:BYTE_3
	v_lshlrev_b32_e32 v9, 20, v9
	v_lshl_add_u32 v19, v19, 23, 0x3c000000
	v_and_b32_e32 v0, 0x80000000, v0
	v_or3_b32 v82, v9, v0, v19
.LBB339_831:                            ;   in Loop: Header=BB339_554 Depth=1
	s_or_b32 exec_lo, exec_lo, s22
.LBB339_832:                            ;   in Loop: Header=BB339_554 Depth=1
	s_or_b32 exec_lo, exec_lo, s21
.LBB339_833:                            ;   in Loop: Header=BB339_554 Depth=1
	s_or_b32 exec_lo, exec_lo, s18
	v_mov_b32_e32 v9, v18
	v_cmp_ne_u16_sdwa s0, v18, v10 src0_sel:BYTE_0 src1_sel:DWORD
	v_mov_b32_e32 v19, 0
	v_mov_b32_e32 v35, 0
	s_and_saveexec_b32 s18, s0
	s_cbranch_execz .LBB339_839
; %bb.834:                              ;   in Loop: Header=BB339_554 Depth=1
	v_cmp_ne_u16_sdwa s0, v18, v32 src0_sel:BYTE_0 src1_sel:DWORD
	v_bfrev_b32_e32 v35, 1
	s_and_saveexec_b32 s21, s0
	s_cbranch_execz .LBB339_838
; %bb.835:                              ;   in Loop: Header=BB339_554 Depth=1
	v_and_b32_e32 v20, 0x7f, v18
	v_mov_b32_e32 v35, 0x7f800001
	s_mov_b32 s22, exec_lo
	v_cmpx_ne_u32_e32 0x7f, v20
	s_cbranch_execz .LBB339_837
; %bb.836:                              ;   in Loop: Header=BB339_554 Depth=1
	v_and_b32_e32 v0, 7, v18
	v_cmp_gt_u32_e64 s0, 8, v20
	v_lshrrev_b32_e32 v35, 3, v20
	v_ffbh_u32_e32 v0, v0
	v_min_u32_e32 v0, 32, v0
	v_subrev_nc_u32_e32 v83, 28, v0
	v_sub_nc_u32_e32 v0, 29, v0
	v_cndmask_b32_e64 v20, 0, v83, s0
	v_cndmask_b32_e64 v0, v35, v0, s0
	v_lshlrev_b64 v[83:84], v20, v[9:10]
	v_lshlrev_b32_e32 v20, 24, v9
	v_lshl_add_u32 v0, v0, 23, 0x3c000000
	v_and_b32_e32 v20, 0x80000000, v20
	v_lshlrev_b32_e32 v35, 20, v83
	v_and_b32_e32 v35, 0x700000, v35
	v_or3_b32 v35, v35, v20, v0
.LBB339_837:                            ;   in Loop: Header=BB339_554 Depth=1
	s_or_b32 exec_lo, exec_lo, s22
.LBB339_838:                            ;   in Loop: Header=BB339_554 Depth=1
	s_or_b32 exec_lo, exec_lo, s21
.LBB339_839:                            ;   in Loop: Header=BB339_554 Depth=1
	s_or_b32 exec_lo, exec_lo, s18
	v_cmp_ne_u16_sdwa s0, v9, v10 src0_sel:BYTE_1 src1_sel:DWORD
	s_and_saveexec_b32 s18, s0
	s_cbranch_execz .LBB339_847
; %bb.840:                              ;   in Loop: Header=BB339_554 Depth=1
	v_cmp_ne_u16_sdwa s0, v9, v32 src0_sel:BYTE_1 src1_sel:DWORD
	v_bfrev_b32_e32 v19, 1
	s_and_saveexec_b32 s21, s0
	s_cbranch_execz .LBB339_846
; %bb.841:                              ;   in Loop: Header=BB339_554 Depth=1
	v_and_b32_sdwa v20, v33, v9 dst_sel:DWORD dst_unused:UNUSED_PAD src0_sel:DWORD src1_sel:BYTE_1
	v_mov_b32_e32 v19, 0x7f800001
	s_mov_b32 s22, exec_lo
	v_and_b32_e32 v84, 0x7f, v20
	v_cmpx_ne_u32_e32 0x7f, v84
	s_cbranch_execz .LBB339_845
; %bb.842:                              ;   in Loop: Header=BB339_554 Depth=1
	v_and_b32_e32 v19, 7, v20
	v_mov_b32_e32 v20, v10
	v_lshrrev_b32_e32 v83, 3, v84
	s_mov_b32 s24, exec_lo
	v_cmpx_gt_u32_e32 8, v84
; %bb.843:                              ;   in Loop: Header=BB339_554 Depth=1
	v_ffbh_u32_e32 v0, v19
	v_min_u32_e32 v0, 32, v0
	v_subrev_nc_u32_e32 v83, 28, v0
	v_lshlrev_b64 v[19:20], v83, v[19:20]
	v_sub_nc_u32_e32 v83, 29, v0
	v_and_b32_e32 v19, 7, v19
; %bb.844:                              ;   in Loop: Header=BB339_554 Depth=1
	s_or_b32 exec_lo, exec_lo, s24
	v_lshlrev_b32_e32 v0, 16, v9
	v_lshlrev_b32_e32 v9, 20, v19
	v_lshl_add_u32 v19, v83, 23, 0x3c000000
	v_and_b32_e32 v0, 0x80000000, v0
	v_or3_b32 v19, v9, v0, v19
.LBB339_845:                            ;   in Loop: Header=BB339_554 Depth=1
	s_or_b32 exec_lo, exec_lo, s22
.LBB339_846:                            ;   in Loop: Header=BB339_554 Depth=1
	s_or_b32 exec_lo, exec_lo, s21
.LBB339_847:                            ;   in Loop: Header=BB339_554 Depth=1
	s_or_b32 exec_lo, exec_lo, s18
	v_and_b32_sdwa v9, v18, v34 dst_sel:DWORD dst_unused:UNUSED_PAD src0_sel:WORD_1 src1_sel:DWORD
	v_mov_b32_e32 v20, 0
	v_mov_b32_e32 v83, 0
	s_mov_b32 s18, exec_lo
	v_cmpx_ne_u16_e32 0, v9
	s_cbranch_execz .LBB339_855
; %bb.848:                              ;   in Loop: Header=BB339_554 Depth=1
	v_bfrev_b32_e32 v83, 1
	s_mov_b32 s21, exec_lo
	v_cmpx_ne_u16_e32 0x80, v9
	s_cbranch_execz .LBB339_854
; %bb.849:                              ;   in Loop: Header=BB339_554 Depth=1
	v_bfe_u32 v84, v18, 16, 7
	v_mov_b32_e32 v83, 0x7f800001
	s_mov_b32 s22, exec_lo
	v_cmpx_ne_u32_e32 0x7f, v84
	s_cbranch_execz .LBB339_853
; %bb.850:                              ;   in Loop: Header=BB339_554 Depth=1
	v_and_b32_sdwa v9, v18, v37 dst_sel:DWORD dst_unused:UNUSED_PAD src0_sel:WORD_1 src1_sel:DWORD
	v_lshrrev_b32_e32 v83, 3, v84
	s_mov_b32 s24, exec_lo
	v_cmpx_gt_u32_e32 8, v84
; %bb.851:                              ;   in Loop: Header=BB339_554 Depth=1
	v_ffbh_u32_e32 v0, v9
	v_min_u32_e32 v0, 32, v0
	v_subrev_nc_u32_e32 v83, 28, v0
	v_lshlrev_b64 v[84:85], v83, v[9:10]
	v_sub_nc_u32_e32 v83, 29, v0
	v_and_b32_e32 v9, 7, v84
; %bb.852:                              ;   in Loop: Header=BB339_554 Depth=1
	s_or_b32 exec_lo, exec_lo, s24
	v_lshlrev_b32_sdwa v0, v38, v18 dst_sel:DWORD dst_unused:UNUSED_PAD src0_sel:DWORD src1_sel:WORD_1
	v_lshlrev_b32_e32 v9, 20, v9
	v_lshl_add_u32 v83, v83, 23, 0x3c000000
	v_and_b32_e32 v0, 0x80000000, v0
	v_or3_b32 v83, v9, v0, v83
.LBB339_853:                            ;   in Loop: Header=BB339_554 Depth=1
	s_or_b32 exec_lo, exec_lo, s22
.LBB339_854:                            ;   in Loop: Header=BB339_554 Depth=1
	s_or_b32 exec_lo, exec_lo, s21
.LBB339_855:                            ;   in Loop: Header=BB339_554 Depth=1
	s_or_b32 exec_lo, exec_lo, s18
	s_mov_b32 s18, exec_lo
	v_cmpx_lt_u64_e64 s[4:5], v[17:18]
	s_cbranch_execz .LBB339_863
; %bb.856:                              ;   in Loop: Header=BB339_554 Depth=1
	v_cmp_ne_u32_sdwa s0, v18, v32 src0_sel:BYTE_3 src1_sel:DWORD
	v_bfrev_b32_e32 v20, 1
	s_and_saveexec_b32 s21, s0
	s_cbranch_execz .LBB339_862
; %bb.857:                              ;   in Loop: Header=BB339_554 Depth=1
	v_bfe_u32 v84, v18, 24, 7
	v_mov_b32_e32 v20, 0x7f800001
	s_mov_b32 s22, exec_lo
	v_cmpx_ne_u32_e32 0x7f, v84
	s_cbranch_execz .LBB339_861
; %bb.858:                              ;   in Loop: Header=BB339_554 Depth=1
	v_and_b32_sdwa v9, v18, v37 dst_sel:DWORD dst_unused:UNUSED_PAD src0_sel:BYTE_3 src1_sel:DWORD
	v_lshrrev_b32_e32 v17, 3, v84
	s_mov_b32 s24, exec_lo
	v_cmpx_gt_u32_e32 8, v84
; %bb.859:                              ;   in Loop: Header=BB339_554 Depth=1
	v_ffbh_u32_e32 v0, v9
	v_min_u32_e32 v0, 32, v0
	v_subrev_nc_u32_e32 v17, 28, v0
	v_lshlrev_b64 v[84:85], v17, v[9:10]
	v_sub_nc_u32_e32 v17, 29, v0
	v_and_b32_e32 v9, 7, v84
; %bb.860:                              ;   in Loop: Header=BB339_554 Depth=1
	s_or_b32 exec_lo, exec_lo, s24
	v_lshlrev_b32_sdwa v0, v38, v18 dst_sel:DWORD dst_unused:UNUSED_PAD src0_sel:DWORD src1_sel:BYTE_3
	v_lshlrev_b32_e32 v9, 20, v9
	v_lshl_add_u32 v17, v17, 23, 0x3c000000
	v_and_b32_e32 v0, 0x80000000, v0
	v_or3_b32 v20, v9, v0, v17
.LBB339_861:                            ;   in Loop: Header=BB339_554 Depth=1
	s_or_b32 exec_lo, exec_lo, s22
.LBB339_862:                            ;   in Loop: Header=BB339_554 Depth=1
	s_or_b32 exec_lo, exec_lo, s21
.LBB339_863:                            ;   in Loop: Header=BB339_554 Depth=1
	s_or_b32 exec_lo, exec_lo, s18
	v_mul_f32_e32 v0, s17, v19
	v_mul_f32_e32 v9, s17, v35
	;; [unrolled: 1-line block ×5, first 2 shown]
	v_bfe_u32 v19, v0, 16, 1
	v_or_b32_e32 v35, 0x400000, v0
	v_bfe_u32 v80, v9, 16, 1
	v_cmp_u_f32_e64 s0, v0, v0
	v_or_b32_e32 v82, 0x400000, v9
	v_add3_u32 v19, v19, v0, 0x7fff
	v_bfe_u32 v84, v17, 16, 1
	v_add3_u32 v80, v80, v9, 0x7fff
	v_or_b32_e32 v85, 0x400000, v17
	v_bfe_u32 v86, v18, 16, 1
	v_cndmask_b32_e64 v0, v19, v35, s0
	v_cmp_u_f32_e64 s0, v9, v9
	v_add3_u32 v84, v84, v17, 0x7fff
	v_or_b32_e32 v35, 0x400000, v18
	v_add3_u32 v19, v86, v18, 0x7fff
	v_cndmask_b32_e64 v9, v80, v82, s0
	v_cmp_u_f32_e64 s0, v17, v17
	v_lshrrev_b32_e32 v80, 16, v0
	v_mul_f32_e32 v0, s17, v79
	v_lshrrev_b32_e32 v79, 16, v9
	v_cndmask_b32_e64 v17, v84, v85, s0
	v_cmp_u_f32_e64 s0, v18, v18
	v_bfe_u32 v9, v0, 16, 1
	v_mul_f32_e32 v18, s17, v81
	v_or_b32_e32 v85, 0x400000, v20
	v_lshrrev_b32_e32 v82, 16, v17
	v_cndmask_b32_e64 v17, v19, v35, s0
	v_mul_f32_e32 v19, s17, v83
	v_add3_u32 v9, v9, v0, 0x7fff
	v_or_b32_e32 v35, 0x400000, v0
	v_bfe_u32 v81, v18, 16, 1
	v_cmp_u_f32_e64 s0, v0, v0
	v_bfe_u32 v83, v19, 16, 1
	v_or_b32_e32 v84, 0x400000, v19
	v_cndmask_b32_e64 v0, v9, v35, s0
	v_add3_u32 v35, v81, v18, 0x7fff
	v_or_b32_e32 v81, 0x400000, v18
	v_cmp_u_f32_e64 s0, v18, v18
	v_bfe_u32 v9, v20, 16, 1
	v_add3_u32 v83, v83, v19, 0x7fff
	v_lshrrev_b32_e32 v86, 16, v0
	v_cndmask_b32_e64 v18, v35, v81, s0
	v_cmp_u_f32_e64 s0, v19, v19
	v_add3_u32 v9, v9, v20, 0x7fff
	v_cndmask_b32_e64 v19, v83, v84, s0
	v_cmp_u_f32_e64 s0, v20, v20
	v_lshrrev_b32_e32 v84, 16, v17
	v_lshrrev_b32_e32 v81, 16, v19
	v_cndmask_b32_e64 v9, v9, v85, s0
	v_lshrrev_b32_e32 v85, 16, v18
	v_lshrrev_b32_e32 v83, 16, v9
	s_and_saveexec_b32 s18, vcc_lo
	s_cbranch_execz .LBB339_865
; %bb.864:                              ;   in Loop: Header=BB339_554 Depth=1
	v_cmp_gt_i32_e64 s0, s31, v36
	v_cndmask_b32_e64 v85, 0, v85, s0
	v_cmp_gt_i32_e64 s0, s31, v59
	v_cndmask_b32_e64 v86, 0, v86, s0
	;; [unrolled: 2-line block ×8, first 2 shown]
.LBB339_865:                            ;   in Loop: Header=BB339_554 Depth=1
	s_or_b32 exec_lo, exec_lo, s18
	global_load_dwordx2 v[17:18], v[15:16], off offset:1280
	v_mov_b32_e32 v88, 0
	v_mov_b32_e32 v89, 0
	s_waitcnt vmcnt(0)
	v_cmp_ne_u16_sdwa s0, v17, v10 src0_sel:BYTE_0 src1_sel:DWORD
	s_and_saveexec_b32 s18, s0
	s_cbranch_execz .LBB339_871
; %bb.866:                              ;   in Loop: Header=BB339_554 Depth=1
	v_cmp_ne_u16_sdwa s0, v17, v32 src0_sel:BYTE_0 src1_sel:DWORD
	v_bfrev_b32_e32 v89, 1
	s_and_saveexec_b32 s21, s0
	s_cbranch_execz .LBB339_870
; %bb.867:                              ;   in Loop: Header=BB339_554 Depth=1
	v_and_b32_e32 v9, 0x7f, v17
	v_mov_b32_e32 v89, 0x7f800001
	s_mov_b32 s22, exec_lo
	v_cmpx_ne_u32_e32 0x7f, v9
	s_cbranch_execz .LBB339_869
; %bb.868:                              ;   in Loop: Header=BB339_554 Depth=1
	v_and_b32_e32 v0, 7, v17
	v_cmp_gt_u32_e64 s0, 8, v9
	v_lshrrev_b32_e32 v19, 3, v9
	v_ffbh_u32_e32 v0, v0
	v_min_u32_e32 v0, 32, v0
	v_subrev_nc_u32_e32 v20, 28, v0
	v_sub_nc_u32_e32 v0, 29, v0
	v_cndmask_b32_e64 v9, 0, v20, s0
	v_cndmask_b32_e64 v0, v19, v0, s0
	v_lshlrev_b64 v[19:20], v9, v[17:18]
	v_lshlrev_b32_e32 v9, 24, v17
	v_lshl_add_u32 v0, v0, 23, 0x3c000000
	v_and_b32_e32 v9, 0x80000000, v9
	v_lshlrev_b32_e32 v19, 20, v19
	v_and_b32_e32 v19, 0x700000, v19
	v_or3_b32 v89, v19, v9, v0
.LBB339_869:                            ;   in Loop: Header=BB339_554 Depth=1
	s_or_b32 exec_lo, exec_lo, s22
.LBB339_870:                            ;   in Loop: Header=BB339_554 Depth=1
	s_or_b32 exec_lo, exec_lo, s21
.LBB339_871:                            ;   in Loop: Header=BB339_554 Depth=1
	s_or_b32 exec_lo, exec_lo, s18
	v_cmp_ne_u16_sdwa s0, v17, v10 src0_sel:BYTE_1 src1_sel:DWORD
	s_and_saveexec_b32 s18, s0
	s_cbranch_execz .LBB339_879
; %bb.872:                              ;   in Loop: Header=BB339_554 Depth=1
	v_cmp_ne_u16_sdwa s0, v17, v32 src0_sel:BYTE_1 src1_sel:DWORD
	v_bfrev_b32_e32 v88, 1
	s_and_saveexec_b32 s21, s0
	s_cbranch_execz .LBB339_878
; %bb.873:                              ;   in Loop: Header=BB339_554 Depth=1
	v_and_b32_sdwa v9, v33, v17 dst_sel:DWORD dst_unused:UNUSED_PAD src0_sel:DWORD src1_sel:BYTE_1
	v_mov_b32_e32 v88, 0x7f800001
	s_mov_b32 s22, exec_lo
	v_and_b32_e32 v20, 0x7f, v9
	v_cmpx_ne_u32_e32 0x7f, v20
	s_cbranch_execz .LBB339_877
; %bb.874:                              ;   in Loop: Header=BB339_554 Depth=1
	v_and_b32_e32 v9, 7, v9
	v_lshrrev_b32_e32 v19, 3, v20
	s_mov_b32 s24, exec_lo
	v_cmpx_gt_u32_e32 8, v20
; %bb.875:                              ;   in Loop: Header=BB339_554 Depth=1
	v_ffbh_u32_e32 v0, v9
	v_min_u32_e32 v0, 32, v0
	v_subrev_nc_u32_e32 v19, 28, v0
	v_lshlrev_b64 v[87:88], v19, v[9:10]
	v_sub_nc_u32_e32 v19, 29, v0
	v_and_b32_e32 v9, 7, v87
; %bb.876:                              ;   in Loop: Header=BB339_554 Depth=1
	s_or_b32 exec_lo, exec_lo, s24
	v_lshlrev_b32_e32 v0, 16, v17
	v_lshlrev_b32_e32 v9, 20, v9
	v_lshl_add_u32 v19, v19, 23, 0x3c000000
	v_and_b32_e32 v0, 0x80000000, v0
	v_or3_b32 v88, v9, v0, v19
.LBB339_877:                            ;   in Loop: Header=BB339_554 Depth=1
	s_or_b32 exec_lo, exec_lo, s22
.LBB339_878:                            ;   in Loop: Header=BB339_554 Depth=1
	s_or_b32 exec_lo, exec_lo, s21
.LBB339_879:                            ;   in Loop: Header=BB339_554 Depth=1
	s_or_b32 exec_lo, exec_lo, s18
	v_and_b32_sdwa v9, v17, v34 dst_sel:DWORD dst_unused:UNUSED_PAD src0_sel:WORD_1 src1_sel:DWORD
	v_mov_b32_e32 v90, 0
	v_mov_b32_e32 v87, 0
	s_mov_b32 s18, exec_lo
	v_cmpx_ne_u16_e32 0, v9
	s_cbranch_execz .LBB339_887
; %bb.880:                              ;   in Loop: Header=BB339_554 Depth=1
	v_bfrev_b32_e32 v87, 1
	s_mov_b32 s21, exec_lo
	v_cmpx_ne_u16_e32 0x80, v9
	s_cbranch_execz .LBB339_886
; %bb.881:                              ;   in Loop: Header=BB339_554 Depth=1
	v_bfe_u32 v20, v17, 16, 7
	v_mov_b32_e32 v87, 0x7f800001
	s_mov_b32 s22, exec_lo
	v_cmpx_ne_u32_e32 0x7f, v20
	s_cbranch_execz .LBB339_885
; %bb.882:                              ;   in Loop: Header=BB339_554 Depth=1
	v_and_b32_sdwa v9, v17, v37 dst_sel:DWORD dst_unused:UNUSED_PAD src0_sel:WORD_1 src1_sel:DWORD
	v_lshrrev_b32_e32 v19, 3, v20
	s_mov_b32 s24, exec_lo
	v_cmpx_gt_u32_e32 8, v20
; %bb.883:                              ;   in Loop: Header=BB339_554 Depth=1
	v_ffbh_u32_e32 v0, v9
	v_min_u32_e32 v0, 32, v0
	v_subrev_nc_u32_e32 v19, 28, v0
	v_lshlrev_b64 v[91:92], v19, v[9:10]
	v_sub_nc_u32_e32 v19, 29, v0
	v_and_b32_e32 v9, 7, v91
; %bb.884:                              ;   in Loop: Header=BB339_554 Depth=1
	s_or_b32 exec_lo, exec_lo, s24
	v_lshlrev_b32_sdwa v0, v38, v17 dst_sel:DWORD dst_unused:UNUSED_PAD src0_sel:DWORD src1_sel:WORD_1
	v_lshlrev_b32_e32 v9, 20, v9
	v_lshl_add_u32 v19, v19, 23, 0x3c000000
	v_and_b32_e32 v0, 0x80000000, v0
	v_or3_b32 v87, v9, v0, v19
.LBB339_885:                            ;   in Loop: Header=BB339_554 Depth=1
	s_or_b32 exec_lo, exec_lo, s22
.LBB339_886:                            ;   in Loop: Header=BB339_554 Depth=1
	s_or_b32 exec_lo, exec_lo, s21
.LBB339_887:                            ;   in Loop: Header=BB339_554 Depth=1
	s_or_b32 exec_lo, exec_lo, s18
	s_mov_b32 s18, exec_lo
	v_cmpx_lt_u32_e32 0xffffff, v17
	s_cbranch_execz .LBB339_895
; %bb.888:                              ;   in Loop: Header=BB339_554 Depth=1
	v_cmp_ne_u32_sdwa s0, v17, v32 src0_sel:BYTE_3 src1_sel:DWORD
	v_bfrev_b32_e32 v90, 1
	s_and_saveexec_b32 s21, s0
	s_cbranch_execz .LBB339_894
; %bb.889:                              ;   in Loop: Header=BB339_554 Depth=1
	v_bfe_u32 v20, v17, 24, 7
	v_mov_b32_e32 v90, 0x7f800001
	s_mov_b32 s22, exec_lo
	v_cmpx_ne_u32_e32 0x7f, v20
	s_cbranch_execz .LBB339_893
; %bb.890:                              ;   in Loop: Header=BB339_554 Depth=1
	v_and_b32_sdwa v9, v17, v37 dst_sel:DWORD dst_unused:UNUSED_PAD src0_sel:BYTE_3 src1_sel:DWORD
	v_lshrrev_b32_e32 v19, 3, v20
	s_mov_b32 s24, exec_lo
	v_cmpx_gt_u32_e32 8, v20
; %bb.891:                              ;   in Loop: Header=BB339_554 Depth=1
	v_ffbh_u32_e32 v0, v9
	v_min_u32_e32 v0, 32, v0
	v_subrev_nc_u32_e32 v19, 28, v0
	v_lshlrev_b64 v[90:91], v19, v[9:10]
	v_sub_nc_u32_e32 v19, 29, v0
	v_and_b32_e32 v9, 7, v90
; %bb.892:                              ;   in Loop: Header=BB339_554 Depth=1
	s_or_b32 exec_lo, exec_lo, s24
	v_lshlrev_b32_sdwa v0, v38, v17 dst_sel:DWORD dst_unused:UNUSED_PAD src0_sel:DWORD src1_sel:BYTE_3
	v_lshlrev_b32_e32 v9, 20, v9
	v_lshl_add_u32 v19, v19, 23, 0x3c000000
	v_and_b32_e32 v0, 0x80000000, v0
	v_or3_b32 v90, v9, v0, v19
.LBB339_893:                            ;   in Loop: Header=BB339_554 Depth=1
	s_or_b32 exec_lo, exec_lo, s22
.LBB339_894:                            ;   in Loop: Header=BB339_554 Depth=1
	s_or_b32 exec_lo, exec_lo, s21
.LBB339_895:                            ;   in Loop: Header=BB339_554 Depth=1
	s_or_b32 exec_lo, exec_lo, s18
	v_mov_b32_e32 v9, v18
	v_cmp_ne_u16_sdwa s0, v18, v10 src0_sel:BYTE_0 src1_sel:DWORD
	v_mov_b32_e32 v19, 0
	v_mov_b32_e32 v35, 0
	s_and_saveexec_b32 s18, s0
	s_cbranch_execz .LBB339_901
; %bb.896:                              ;   in Loop: Header=BB339_554 Depth=1
	v_cmp_ne_u16_sdwa s0, v18, v32 src0_sel:BYTE_0 src1_sel:DWORD
	v_bfrev_b32_e32 v35, 1
	s_and_saveexec_b32 s21, s0
	s_cbranch_execz .LBB339_900
; %bb.897:                              ;   in Loop: Header=BB339_554 Depth=1
	v_and_b32_e32 v20, 0x7f, v18
	v_mov_b32_e32 v35, 0x7f800001
	s_mov_b32 s22, exec_lo
	v_cmpx_ne_u32_e32 0x7f, v20
	s_cbranch_execz .LBB339_899
; %bb.898:                              ;   in Loop: Header=BB339_554 Depth=1
	v_and_b32_e32 v0, 7, v18
	v_cmp_gt_u32_e64 s0, 8, v20
	v_lshrrev_b32_e32 v35, 3, v20
	v_ffbh_u32_e32 v0, v0
	v_min_u32_e32 v0, 32, v0
	v_subrev_nc_u32_e32 v91, 28, v0
	v_sub_nc_u32_e32 v0, 29, v0
	v_cndmask_b32_e64 v20, 0, v91, s0
	v_cndmask_b32_e64 v0, v35, v0, s0
	v_lshlrev_b64 v[91:92], v20, v[9:10]
	v_lshlrev_b32_e32 v20, 24, v9
	v_lshl_add_u32 v0, v0, 23, 0x3c000000
	v_and_b32_e32 v20, 0x80000000, v20
	v_lshlrev_b32_e32 v35, 20, v91
	v_and_b32_e32 v35, 0x700000, v35
	v_or3_b32 v35, v35, v20, v0
.LBB339_899:                            ;   in Loop: Header=BB339_554 Depth=1
	s_or_b32 exec_lo, exec_lo, s22
.LBB339_900:                            ;   in Loop: Header=BB339_554 Depth=1
	s_or_b32 exec_lo, exec_lo, s21
.LBB339_901:                            ;   in Loop: Header=BB339_554 Depth=1
	s_or_b32 exec_lo, exec_lo, s18
	v_cmp_ne_u16_sdwa s0, v9, v10 src0_sel:BYTE_1 src1_sel:DWORD
	s_and_saveexec_b32 s18, s0
	s_cbranch_execz .LBB339_909
; %bb.902:                              ;   in Loop: Header=BB339_554 Depth=1
	v_cmp_ne_u16_sdwa s0, v9, v32 src0_sel:BYTE_1 src1_sel:DWORD
	v_bfrev_b32_e32 v19, 1
	s_and_saveexec_b32 s21, s0
	s_cbranch_execz .LBB339_908
; %bb.903:                              ;   in Loop: Header=BB339_554 Depth=1
	v_and_b32_sdwa v20, v33, v9 dst_sel:DWORD dst_unused:UNUSED_PAD src0_sel:DWORD src1_sel:BYTE_1
	v_mov_b32_e32 v19, 0x7f800001
	s_mov_b32 s22, exec_lo
	v_and_b32_e32 v92, 0x7f, v20
	v_cmpx_ne_u32_e32 0x7f, v92
	s_cbranch_execz .LBB339_907
; %bb.904:                              ;   in Loop: Header=BB339_554 Depth=1
	v_and_b32_e32 v19, 7, v20
	v_mov_b32_e32 v20, v10
	v_lshrrev_b32_e32 v91, 3, v92
	s_mov_b32 s24, exec_lo
	v_cmpx_gt_u32_e32 8, v92
; %bb.905:                              ;   in Loop: Header=BB339_554 Depth=1
	v_ffbh_u32_e32 v0, v19
	v_min_u32_e32 v0, 32, v0
	v_subrev_nc_u32_e32 v91, 28, v0
	v_lshlrev_b64 v[19:20], v91, v[19:20]
	v_sub_nc_u32_e32 v91, 29, v0
	v_and_b32_e32 v19, 7, v19
; %bb.906:                              ;   in Loop: Header=BB339_554 Depth=1
	s_or_b32 exec_lo, exec_lo, s24
	v_lshlrev_b32_e32 v0, 16, v9
	v_lshlrev_b32_e32 v9, 20, v19
	v_lshl_add_u32 v19, v91, 23, 0x3c000000
	v_and_b32_e32 v0, 0x80000000, v0
	v_or3_b32 v19, v9, v0, v19
.LBB339_907:                            ;   in Loop: Header=BB339_554 Depth=1
	s_or_b32 exec_lo, exec_lo, s22
.LBB339_908:                            ;   in Loop: Header=BB339_554 Depth=1
	s_or_b32 exec_lo, exec_lo, s21
.LBB339_909:                            ;   in Loop: Header=BB339_554 Depth=1
	s_or_b32 exec_lo, exec_lo, s18
	v_and_b32_sdwa v9, v18, v34 dst_sel:DWORD dst_unused:UNUSED_PAD src0_sel:WORD_1 src1_sel:DWORD
	v_mov_b32_e32 v20, 0
	v_mov_b32_e32 v91, 0
	s_mov_b32 s18, exec_lo
	v_cmpx_ne_u16_e32 0, v9
	s_cbranch_execz .LBB339_917
; %bb.910:                              ;   in Loop: Header=BB339_554 Depth=1
	v_bfrev_b32_e32 v91, 1
	s_mov_b32 s21, exec_lo
	v_cmpx_ne_u16_e32 0x80, v9
	s_cbranch_execz .LBB339_916
; %bb.911:                              ;   in Loop: Header=BB339_554 Depth=1
	v_bfe_u32 v92, v18, 16, 7
	v_mov_b32_e32 v91, 0x7f800001
	s_mov_b32 s22, exec_lo
	v_cmpx_ne_u32_e32 0x7f, v92
	s_cbranch_execz .LBB339_915
; %bb.912:                              ;   in Loop: Header=BB339_554 Depth=1
	v_and_b32_sdwa v9, v18, v37 dst_sel:DWORD dst_unused:UNUSED_PAD src0_sel:WORD_1 src1_sel:DWORD
	v_lshrrev_b32_e32 v91, 3, v92
	s_mov_b32 s24, exec_lo
	v_cmpx_gt_u32_e32 8, v92
; %bb.913:                              ;   in Loop: Header=BB339_554 Depth=1
	v_ffbh_u32_e32 v0, v9
	v_min_u32_e32 v0, 32, v0
	v_subrev_nc_u32_e32 v91, 28, v0
	v_lshlrev_b64 v[92:93], v91, v[9:10]
	v_sub_nc_u32_e32 v91, 29, v0
	v_and_b32_e32 v9, 7, v92
; %bb.914:                              ;   in Loop: Header=BB339_554 Depth=1
	s_or_b32 exec_lo, exec_lo, s24
	v_lshlrev_b32_sdwa v0, v38, v18 dst_sel:DWORD dst_unused:UNUSED_PAD src0_sel:DWORD src1_sel:WORD_1
	v_lshlrev_b32_e32 v9, 20, v9
	v_lshl_add_u32 v91, v91, 23, 0x3c000000
	v_and_b32_e32 v0, 0x80000000, v0
	v_or3_b32 v91, v9, v0, v91
.LBB339_915:                            ;   in Loop: Header=BB339_554 Depth=1
	s_or_b32 exec_lo, exec_lo, s22
.LBB339_916:                            ;   in Loop: Header=BB339_554 Depth=1
	s_or_b32 exec_lo, exec_lo, s21
.LBB339_917:                            ;   in Loop: Header=BB339_554 Depth=1
	s_or_b32 exec_lo, exec_lo, s18
	s_mov_b32 s18, exec_lo
	v_cmpx_lt_u64_e64 s[4:5], v[17:18]
	s_cbranch_execz .LBB339_925
; %bb.918:                              ;   in Loop: Header=BB339_554 Depth=1
	v_cmp_ne_u32_sdwa s0, v18, v32 src0_sel:BYTE_3 src1_sel:DWORD
	v_bfrev_b32_e32 v20, 1
	s_and_saveexec_b32 s21, s0
	s_cbranch_execz .LBB339_924
; %bb.919:                              ;   in Loop: Header=BB339_554 Depth=1
	v_bfe_u32 v92, v18, 24, 7
	v_mov_b32_e32 v20, 0x7f800001
	s_mov_b32 s22, exec_lo
	v_cmpx_ne_u32_e32 0x7f, v92
	s_cbranch_execz .LBB339_923
; %bb.920:                              ;   in Loop: Header=BB339_554 Depth=1
	v_and_b32_sdwa v9, v18, v37 dst_sel:DWORD dst_unused:UNUSED_PAD src0_sel:BYTE_3 src1_sel:DWORD
	v_lshrrev_b32_e32 v17, 3, v92
	s_mov_b32 s24, exec_lo
	v_cmpx_gt_u32_e32 8, v92
; %bb.921:                              ;   in Loop: Header=BB339_554 Depth=1
	v_ffbh_u32_e32 v0, v9
	v_min_u32_e32 v0, 32, v0
	v_subrev_nc_u32_e32 v17, 28, v0
	v_lshlrev_b64 v[92:93], v17, v[9:10]
	v_sub_nc_u32_e32 v17, 29, v0
	v_and_b32_e32 v9, 7, v92
; %bb.922:                              ;   in Loop: Header=BB339_554 Depth=1
	s_or_b32 exec_lo, exec_lo, s24
	v_lshlrev_b32_sdwa v0, v38, v18 dst_sel:DWORD dst_unused:UNUSED_PAD src0_sel:DWORD src1_sel:BYTE_3
	v_lshlrev_b32_e32 v9, 20, v9
	v_lshl_add_u32 v17, v17, 23, 0x3c000000
	v_and_b32_e32 v0, 0x80000000, v0
	v_or3_b32 v20, v9, v0, v17
.LBB339_923:                            ;   in Loop: Header=BB339_554 Depth=1
	s_or_b32 exec_lo, exec_lo, s22
.LBB339_924:                            ;   in Loop: Header=BB339_554 Depth=1
	s_or_b32 exec_lo, exec_lo, s21
.LBB339_925:                            ;   in Loop: Header=BB339_554 Depth=1
	s_or_b32 exec_lo, exec_lo, s18
	v_mul_f32_e32 v0, s17, v19
	v_mul_f32_e32 v9, s17, v35
	;; [unrolled: 1-line block ×5, first 2 shown]
	v_bfe_u32 v19, v0, 16, 1
	v_or_b32_e32 v35, 0x400000, v0
	v_bfe_u32 v87, v9, 16, 1
	v_cmp_u_f32_e64 s0, v0, v0
	v_or_b32_e32 v90, 0x400000, v9
	v_add3_u32 v19, v19, v0, 0x7fff
	v_bfe_u32 v92, v17, 16, 1
	v_add3_u32 v87, v87, v9, 0x7fff
	v_or_b32_e32 v93, 0x400000, v17
	v_bfe_u32 v94, v18, 16, 1
	v_cndmask_b32_e64 v0, v19, v35, s0
	v_cmp_u_f32_e64 s0, v9, v9
	v_add3_u32 v92, v92, v17, 0x7fff
	v_or_b32_e32 v35, 0x400000, v18
	v_add3_u32 v19, v94, v18, 0x7fff
	v_cndmask_b32_e64 v9, v87, v90, s0
	v_cmp_u_f32_e64 s0, v17, v17
	v_lshrrev_b32_e32 v87, 16, v0
	v_mul_f32_e32 v0, s17, v88
	v_lshrrev_b32_e32 v88, 16, v9
	v_cndmask_b32_e64 v17, v92, v93, s0
	v_cmp_u_f32_e64 s0, v18, v18
	v_bfe_u32 v9, v0, 16, 1
	v_mul_f32_e32 v18, s17, v89
	v_or_b32_e32 v93, 0x400000, v20
	v_lshrrev_b32_e32 v90, 16, v17
	v_cndmask_b32_e64 v17, v19, v35, s0
	v_mul_f32_e32 v19, s17, v91
	v_add3_u32 v9, v9, v0, 0x7fff
	v_or_b32_e32 v35, 0x400000, v0
	v_bfe_u32 v89, v18, 16, 1
	v_cmp_u_f32_e64 s0, v0, v0
	v_bfe_u32 v91, v19, 16, 1
	v_or_b32_e32 v92, 0x400000, v19
	v_cndmask_b32_e64 v0, v9, v35, s0
	v_add3_u32 v35, v89, v18, 0x7fff
	v_or_b32_e32 v89, 0x400000, v18
	v_cmp_u_f32_e64 s0, v18, v18
	v_bfe_u32 v9, v20, 16, 1
	v_add3_u32 v91, v91, v19, 0x7fff
	v_lshrrev_b32_e32 v94, 16, v0
	v_cndmask_b32_e64 v18, v35, v89, s0
	v_cmp_u_f32_e64 s0, v19, v19
	v_add3_u32 v9, v9, v20, 0x7fff
	v_cndmask_b32_e64 v19, v91, v92, s0
	v_cmp_u_f32_e64 s0, v20, v20
	v_lshrrev_b32_e32 v92, 16, v17
	v_lshrrev_b32_e32 v89, 16, v19
	v_cndmask_b32_e64 v9, v9, v93, s0
	v_lshrrev_b32_e32 v93, 16, v18
	v_lshrrev_b32_e32 v91, 16, v9
	s_and_saveexec_b32 s18, vcc_lo
	s_cbranch_execz .LBB339_927
; %bb.926:                              ;   in Loop: Header=BB339_554 Depth=1
	v_cmp_gt_i32_e64 s0, s31, v36
	v_cndmask_b32_e64 v93, 0, v93, s0
	v_cmp_gt_i32_e64 s0, s31, v59
	v_cndmask_b32_e64 v94, 0, v94, s0
	;; [unrolled: 2-line block ×8, first 2 shown]
.LBB339_927:                            ;   in Loop: Header=BB339_554 Depth=1
	s_or_b32 exec_lo, exec_lo, s18
	global_load_dwordx2 v[17:18], v[15:16], off offset:1536
	v_mov_b32_e32 v97, 0
	v_mov_b32_e32 v96, 0
	s_waitcnt vmcnt(0)
	v_cmp_ne_u16_sdwa s0, v17, v10 src0_sel:BYTE_0 src1_sel:DWORD
	s_and_saveexec_b32 s18, s0
	s_cbranch_execz .LBB339_933
; %bb.928:                              ;   in Loop: Header=BB339_554 Depth=1
	v_cmp_ne_u16_sdwa s0, v17, v32 src0_sel:BYTE_0 src1_sel:DWORD
	v_bfrev_b32_e32 v96, 1
	s_and_saveexec_b32 s21, s0
	s_cbranch_execz .LBB339_932
; %bb.929:                              ;   in Loop: Header=BB339_554 Depth=1
	v_and_b32_e32 v9, 0x7f, v17
	v_mov_b32_e32 v96, 0x7f800001
	s_mov_b32 s22, exec_lo
	v_cmpx_ne_u32_e32 0x7f, v9
	s_cbranch_execz .LBB339_931
; %bb.930:                              ;   in Loop: Header=BB339_554 Depth=1
	v_and_b32_e32 v0, 7, v17
	v_cmp_gt_u32_e64 s0, 8, v9
	v_lshrrev_b32_e32 v19, 3, v9
	v_ffbh_u32_e32 v0, v0
	v_min_u32_e32 v0, 32, v0
	v_subrev_nc_u32_e32 v20, 28, v0
	v_sub_nc_u32_e32 v0, 29, v0
	v_cndmask_b32_e64 v9, 0, v20, s0
	v_cndmask_b32_e64 v0, v19, v0, s0
	v_lshlrev_b64 v[19:20], v9, v[17:18]
	v_lshlrev_b32_e32 v9, 24, v17
	v_lshl_add_u32 v0, v0, 23, 0x3c000000
	v_and_b32_e32 v9, 0x80000000, v9
	v_lshlrev_b32_e32 v19, 20, v19
	v_and_b32_e32 v19, 0x700000, v19
	v_or3_b32 v96, v19, v9, v0
.LBB339_931:                            ;   in Loop: Header=BB339_554 Depth=1
	s_or_b32 exec_lo, exec_lo, s22
.LBB339_932:                            ;   in Loop: Header=BB339_554 Depth=1
	s_or_b32 exec_lo, exec_lo, s21
.LBB339_933:                            ;   in Loop: Header=BB339_554 Depth=1
	s_or_b32 exec_lo, exec_lo, s18
	v_cmp_ne_u16_sdwa s0, v17, v10 src0_sel:BYTE_1 src1_sel:DWORD
	s_and_saveexec_b32 s18, s0
	s_cbranch_execz .LBB339_941
; %bb.934:                              ;   in Loop: Header=BB339_554 Depth=1
	v_cmp_ne_u16_sdwa s0, v17, v32 src0_sel:BYTE_1 src1_sel:DWORD
	v_bfrev_b32_e32 v97, 1
	s_and_saveexec_b32 s21, s0
	s_cbranch_execz .LBB339_940
; %bb.935:                              ;   in Loop: Header=BB339_554 Depth=1
	v_and_b32_sdwa v9, v33, v17 dst_sel:DWORD dst_unused:UNUSED_PAD src0_sel:DWORD src1_sel:BYTE_1
	v_mov_b32_e32 v97, 0x7f800001
	s_mov_b32 s22, exec_lo
	v_and_b32_e32 v20, 0x7f, v9
	v_cmpx_ne_u32_e32 0x7f, v20
	s_cbranch_execz .LBB339_939
; %bb.936:                              ;   in Loop: Header=BB339_554 Depth=1
	v_and_b32_e32 v9, 7, v9
	v_lshrrev_b32_e32 v19, 3, v20
	s_mov_b32 s24, exec_lo
	v_cmpx_gt_u32_e32 8, v20
; %bb.937:                              ;   in Loop: Header=BB339_554 Depth=1
	v_ffbh_u32_e32 v0, v9
	v_min_u32_e32 v0, 32, v0
	v_subrev_nc_u32_e32 v19, 28, v0
	v_lshlrev_b64 v[97:98], v19, v[9:10]
	v_sub_nc_u32_e32 v19, 29, v0
	v_and_b32_e32 v9, 7, v97
; %bb.938:                              ;   in Loop: Header=BB339_554 Depth=1
	s_or_b32 exec_lo, exec_lo, s24
	v_lshlrev_b32_e32 v0, 16, v17
	v_lshlrev_b32_e32 v9, 20, v9
	v_lshl_add_u32 v19, v19, 23, 0x3c000000
	v_and_b32_e32 v0, 0x80000000, v0
	v_or3_b32 v97, v9, v0, v19
.LBB339_939:                            ;   in Loop: Header=BB339_554 Depth=1
	s_or_b32 exec_lo, exec_lo, s22
.LBB339_940:                            ;   in Loop: Header=BB339_554 Depth=1
	s_or_b32 exec_lo, exec_lo, s21
.LBB339_941:                            ;   in Loop: Header=BB339_554 Depth=1
	s_or_b32 exec_lo, exec_lo, s18
	v_and_b32_sdwa v9, v17, v34 dst_sel:DWORD dst_unused:UNUSED_PAD src0_sel:WORD_1 src1_sel:DWORD
	v_mov_b32_e32 v98, 0
	v_mov_b32_e32 v95, 0
	s_mov_b32 s18, exec_lo
	v_cmpx_ne_u16_e32 0, v9
	s_cbranch_execz .LBB339_949
; %bb.942:                              ;   in Loop: Header=BB339_554 Depth=1
	v_bfrev_b32_e32 v95, 1
	s_mov_b32 s21, exec_lo
	v_cmpx_ne_u16_e32 0x80, v9
	s_cbranch_execz .LBB339_948
; %bb.943:                              ;   in Loop: Header=BB339_554 Depth=1
	v_bfe_u32 v20, v17, 16, 7
	v_mov_b32_e32 v95, 0x7f800001
	s_mov_b32 s22, exec_lo
	v_cmpx_ne_u32_e32 0x7f, v20
	s_cbranch_execz .LBB339_947
; %bb.944:                              ;   in Loop: Header=BB339_554 Depth=1
	v_and_b32_sdwa v9, v17, v37 dst_sel:DWORD dst_unused:UNUSED_PAD src0_sel:WORD_1 src1_sel:DWORD
	v_lshrrev_b32_e32 v19, 3, v20
	s_mov_b32 s24, exec_lo
	v_cmpx_gt_u32_e32 8, v20
; %bb.945:                              ;   in Loop: Header=BB339_554 Depth=1
	v_ffbh_u32_e32 v0, v9
	v_min_u32_e32 v0, 32, v0
	v_subrev_nc_u32_e32 v19, 28, v0
	v_lshlrev_b64 v[99:100], v19, v[9:10]
	v_sub_nc_u32_e32 v19, 29, v0
	v_and_b32_e32 v9, 7, v99
; %bb.946:                              ;   in Loop: Header=BB339_554 Depth=1
	s_or_b32 exec_lo, exec_lo, s24
	v_lshlrev_b32_sdwa v0, v38, v17 dst_sel:DWORD dst_unused:UNUSED_PAD src0_sel:DWORD src1_sel:WORD_1
	v_lshlrev_b32_e32 v9, 20, v9
	v_lshl_add_u32 v19, v19, 23, 0x3c000000
	v_and_b32_e32 v0, 0x80000000, v0
	v_or3_b32 v95, v9, v0, v19
.LBB339_947:                            ;   in Loop: Header=BB339_554 Depth=1
	s_or_b32 exec_lo, exec_lo, s22
.LBB339_948:                            ;   in Loop: Header=BB339_554 Depth=1
	s_or_b32 exec_lo, exec_lo, s21
.LBB339_949:                            ;   in Loop: Header=BB339_554 Depth=1
	s_or_b32 exec_lo, exec_lo, s18
	s_mov_b32 s18, exec_lo
	v_cmpx_lt_u32_e32 0xffffff, v17
	s_cbranch_execz .LBB339_957
; %bb.950:                              ;   in Loop: Header=BB339_554 Depth=1
	v_cmp_ne_u32_sdwa s0, v17, v32 src0_sel:BYTE_3 src1_sel:DWORD
	v_bfrev_b32_e32 v98, 1
	s_and_saveexec_b32 s21, s0
	s_cbranch_execz .LBB339_956
; %bb.951:                              ;   in Loop: Header=BB339_554 Depth=1
	v_bfe_u32 v20, v17, 24, 7
	v_mov_b32_e32 v98, 0x7f800001
	s_mov_b32 s22, exec_lo
	v_cmpx_ne_u32_e32 0x7f, v20
	s_cbranch_execz .LBB339_955
; %bb.952:                              ;   in Loop: Header=BB339_554 Depth=1
	v_and_b32_sdwa v9, v17, v37 dst_sel:DWORD dst_unused:UNUSED_PAD src0_sel:BYTE_3 src1_sel:DWORD
	v_lshrrev_b32_e32 v19, 3, v20
	s_mov_b32 s24, exec_lo
	v_cmpx_gt_u32_e32 8, v20
; %bb.953:                              ;   in Loop: Header=BB339_554 Depth=1
	v_ffbh_u32_e32 v0, v9
	v_min_u32_e32 v0, 32, v0
	v_subrev_nc_u32_e32 v19, 28, v0
	v_lshlrev_b64 v[98:99], v19, v[9:10]
	v_sub_nc_u32_e32 v19, 29, v0
	v_and_b32_e32 v9, 7, v98
; %bb.954:                              ;   in Loop: Header=BB339_554 Depth=1
	s_or_b32 exec_lo, exec_lo, s24
	v_lshlrev_b32_sdwa v0, v38, v17 dst_sel:DWORD dst_unused:UNUSED_PAD src0_sel:DWORD src1_sel:BYTE_3
	v_lshlrev_b32_e32 v9, 20, v9
	v_lshl_add_u32 v19, v19, 23, 0x3c000000
	v_and_b32_e32 v0, 0x80000000, v0
	v_or3_b32 v98, v9, v0, v19
.LBB339_955:                            ;   in Loop: Header=BB339_554 Depth=1
	s_or_b32 exec_lo, exec_lo, s22
.LBB339_956:                            ;   in Loop: Header=BB339_554 Depth=1
	s_or_b32 exec_lo, exec_lo, s21
.LBB339_957:                            ;   in Loop: Header=BB339_554 Depth=1
	s_or_b32 exec_lo, exec_lo, s18
	v_mov_b32_e32 v9, v18
	v_cmp_ne_u16_sdwa s0, v18, v10 src0_sel:BYTE_0 src1_sel:DWORD
	v_mov_b32_e32 v19, 0
	v_mov_b32_e32 v35, 0
	s_and_saveexec_b32 s18, s0
	s_cbranch_execz .LBB339_963
; %bb.958:                              ;   in Loop: Header=BB339_554 Depth=1
	v_cmp_ne_u16_sdwa s0, v18, v32 src0_sel:BYTE_0 src1_sel:DWORD
	v_bfrev_b32_e32 v35, 1
	s_and_saveexec_b32 s21, s0
	s_cbranch_execz .LBB339_962
; %bb.959:                              ;   in Loop: Header=BB339_554 Depth=1
	v_and_b32_e32 v20, 0x7f, v18
	v_mov_b32_e32 v35, 0x7f800001
	s_mov_b32 s22, exec_lo
	v_cmpx_ne_u32_e32 0x7f, v20
	s_cbranch_execz .LBB339_961
; %bb.960:                              ;   in Loop: Header=BB339_554 Depth=1
	v_and_b32_e32 v0, 7, v18
	v_cmp_gt_u32_e64 s0, 8, v20
	v_lshrrev_b32_e32 v35, 3, v20
	v_ffbh_u32_e32 v0, v0
	v_min_u32_e32 v0, 32, v0
	v_subrev_nc_u32_e32 v99, 28, v0
	v_sub_nc_u32_e32 v0, 29, v0
	v_cndmask_b32_e64 v20, 0, v99, s0
	v_cndmask_b32_e64 v0, v35, v0, s0
	v_lshlrev_b64 v[99:100], v20, v[9:10]
	v_lshlrev_b32_e32 v20, 24, v9
	v_lshl_add_u32 v0, v0, 23, 0x3c000000
	v_and_b32_e32 v20, 0x80000000, v20
	v_lshlrev_b32_e32 v35, 20, v99
	v_and_b32_e32 v35, 0x700000, v35
	v_or3_b32 v35, v35, v20, v0
.LBB339_961:                            ;   in Loop: Header=BB339_554 Depth=1
	s_or_b32 exec_lo, exec_lo, s22
.LBB339_962:                            ;   in Loop: Header=BB339_554 Depth=1
	s_or_b32 exec_lo, exec_lo, s21
.LBB339_963:                            ;   in Loop: Header=BB339_554 Depth=1
	s_or_b32 exec_lo, exec_lo, s18
	v_cmp_ne_u16_sdwa s0, v9, v10 src0_sel:BYTE_1 src1_sel:DWORD
	s_and_saveexec_b32 s18, s0
	s_cbranch_execz .LBB339_971
; %bb.964:                              ;   in Loop: Header=BB339_554 Depth=1
	v_cmp_ne_u16_sdwa s0, v9, v32 src0_sel:BYTE_1 src1_sel:DWORD
	v_bfrev_b32_e32 v19, 1
	s_and_saveexec_b32 s21, s0
	s_cbranch_execz .LBB339_970
; %bb.965:                              ;   in Loop: Header=BB339_554 Depth=1
	v_and_b32_sdwa v20, v33, v9 dst_sel:DWORD dst_unused:UNUSED_PAD src0_sel:DWORD src1_sel:BYTE_1
	v_mov_b32_e32 v19, 0x7f800001
	s_mov_b32 s22, exec_lo
	v_and_b32_e32 v100, 0x7f, v20
	v_cmpx_ne_u32_e32 0x7f, v100
	s_cbranch_execz .LBB339_969
; %bb.966:                              ;   in Loop: Header=BB339_554 Depth=1
	v_and_b32_e32 v19, 7, v20
	v_mov_b32_e32 v20, v10
	v_lshrrev_b32_e32 v99, 3, v100
	s_mov_b32 s24, exec_lo
	v_cmpx_gt_u32_e32 8, v100
; %bb.967:                              ;   in Loop: Header=BB339_554 Depth=1
	v_ffbh_u32_e32 v0, v19
	v_min_u32_e32 v0, 32, v0
	v_subrev_nc_u32_e32 v99, 28, v0
	v_lshlrev_b64 v[19:20], v99, v[19:20]
	v_sub_nc_u32_e32 v99, 29, v0
	v_and_b32_e32 v19, 7, v19
; %bb.968:                              ;   in Loop: Header=BB339_554 Depth=1
	s_or_b32 exec_lo, exec_lo, s24
	v_lshlrev_b32_e32 v0, 16, v9
	v_lshlrev_b32_e32 v9, 20, v19
	v_lshl_add_u32 v19, v99, 23, 0x3c000000
	v_and_b32_e32 v0, 0x80000000, v0
	v_or3_b32 v19, v9, v0, v19
.LBB339_969:                            ;   in Loop: Header=BB339_554 Depth=1
	s_or_b32 exec_lo, exec_lo, s22
.LBB339_970:                            ;   in Loop: Header=BB339_554 Depth=1
	s_or_b32 exec_lo, exec_lo, s21
.LBB339_971:                            ;   in Loop: Header=BB339_554 Depth=1
	s_or_b32 exec_lo, exec_lo, s18
	v_and_b32_sdwa v9, v18, v34 dst_sel:DWORD dst_unused:UNUSED_PAD src0_sel:WORD_1 src1_sel:DWORD
	v_mov_b32_e32 v99, 0
	v_mov_b32_e32 v101, 0
	s_mov_b32 s18, exec_lo
	v_cmpx_ne_u16_e32 0, v9
	s_cbranch_execz .LBB339_979
; %bb.972:                              ;   in Loop: Header=BB339_554 Depth=1
	v_bfrev_b32_e32 v101, 1
	s_mov_b32 s21, exec_lo
	v_cmpx_ne_u16_e32 0x80, v9
	s_cbranch_execz .LBB339_978
; %bb.973:                              ;   in Loop: Header=BB339_554 Depth=1
	v_bfe_u32 v100, v18, 16, 7
	v_mov_b32_e32 v101, 0x7f800001
	s_mov_b32 s22, exec_lo
	v_cmpx_ne_u32_e32 0x7f, v100
	s_cbranch_execz .LBB339_977
; %bb.974:                              ;   in Loop: Header=BB339_554 Depth=1
	v_and_b32_sdwa v9, v18, v37 dst_sel:DWORD dst_unused:UNUSED_PAD src0_sel:WORD_1 src1_sel:DWORD
	v_lshrrev_b32_e32 v20, 3, v100
	s_mov_b32 s24, exec_lo
	v_cmpx_gt_u32_e32 8, v100
; %bb.975:                              ;   in Loop: Header=BB339_554 Depth=1
	v_ffbh_u32_e32 v0, v9
	v_min_u32_e32 v0, 32, v0
	v_subrev_nc_u32_e32 v20, 28, v0
	v_lshlrev_b64 v[100:101], v20, v[9:10]
	v_sub_nc_u32_e32 v20, 29, v0
	v_and_b32_e32 v9, 7, v100
; %bb.976:                              ;   in Loop: Header=BB339_554 Depth=1
	s_or_b32 exec_lo, exec_lo, s24
	v_lshlrev_b32_sdwa v0, v38, v18 dst_sel:DWORD dst_unused:UNUSED_PAD src0_sel:DWORD src1_sel:WORD_1
	v_lshlrev_b32_e32 v9, 20, v9
	v_lshl_add_u32 v20, v20, 23, 0x3c000000
	v_and_b32_e32 v0, 0x80000000, v0
	v_or3_b32 v101, v9, v0, v20
.LBB339_977:                            ;   in Loop: Header=BB339_554 Depth=1
	s_or_b32 exec_lo, exec_lo, s22
.LBB339_978:                            ;   in Loop: Header=BB339_554 Depth=1
	s_or_b32 exec_lo, exec_lo, s21
.LBB339_979:                            ;   in Loop: Header=BB339_554 Depth=1
	s_or_b32 exec_lo, exec_lo, s18
	s_mov_b32 s18, exec_lo
	v_cmpx_lt_u64_e64 s[4:5], v[17:18]
	s_cbranch_execz .LBB339_987
; %bb.980:                              ;   in Loop: Header=BB339_554 Depth=1
	v_cmp_ne_u32_sdwa s0, v18, v32 src0_sel:BYTE_3 src1_sel:DWORD
	v_bfrev_b32_e32 v99, 1
	s_and_saveexec_b32 s21, s0
	s_cbranch_execz .LBB339_986
; %bb.981:                              ;   in Loop: Header=BB339_554 Depth=1
	v_bfe_u32 v20, v18, 24, 7
	v_mov_b32_e32 v99, 0x7f800001
	s_mov_b32 s22, exec_lo
	v_cmpx_ne_u32_e32 0x7f, v20
	s_cbranch_execz .LBB339_985
; %bb.982:                              ;   in Loop: Header=BB339_554 Depth=1
	v_and_b32_sdwa v9, v18, v37 dst_sel:DWORD dst_unused:UNUSED_PAD src0_sel:BYTE_3 src1_sel:DWORD
	v_lshrrev_b32_e32 v17, 3, v20
	s_mov_b32 s24, exec_lo
	v_cmpx_gt_u32_e32 8, v20
; %bb.983:                              ;   in Loop: Header=BB339_554 Depth=1
	v_ffbh_u32_e32 v0, v9
	v_min_u32_e32 v0, 32, v0
	v_subrev_nc_u32_e32 v17, 28, v0
	v_lshlrev_b64 v[99:100], v17, v[9:10]
	v_sub_nc_u32_e32 v17, 29, v0
	v_and_b32_e32 v9, 7, v99
; %bb.984:                              ;   in Loop: Header=BB339_554 Depth=1
	s_or_b32 exec_lo, exec_lo, s24
	v_lshlrev_b32_sdwa v0, v38, v18 dst_sel:DWORD dst_unused:UNUSED_PAD src0_sel:DWORD src1_sel:BYTE_3
	v_lshlrev_b32_e32 v9, 20, v9
	v_lshl_add_u32 v17, v17, 23, 0x3c000000
	v_and_b32_e32 v0, 0x80000000, v0
	v_or3_b32 v99, v9, v0, v17
.LBB339_985:                            ;   in Loop: Header=BB339_554 Depth=1
	s_or_b32 exec_lo, exec_lo, s22
.LBB339_986:                            ;   in Loop: Header=BB339_554 Depth=1
	s_or_b32 exec_lo, exec_lo, s21
.LBB339_987:                            ;   in Loop: Header=BB339_554 Depth=1
	s_or_b32 exec_lo, exec_lo, s18
	v_mul_f32_e32 v0, s17, v19
	v_mul_f32_e32 v9, s17, v35
	;; [unrolled: 1-line block ×4, first 2 shown]
	v_bfe_u32 v19, v0, 16, 1
	v_or_b32_e32 v20, 0x400000, v0
	v_bfe_u32 v35, v9, 16, 1
	v_cmp_u_f32_e64 s0, v0, v0
	v_or_b32_e32 v95, 0x400000, v9
	v_add3_u32 v19, v19, v0, 0x7fff
	v_bfe_u32 v98, v17, 16, 1
	v_add3_u32 v35, v35, v9, 0x7fff
	v_or_b32_e32 v100, 0x400000, v17
	v_bfe_u32 v102, v18, 16, 1
	v_cndmask_b32_e64 v0, v19, v20, s0
	v_cmp_u_f32_e64 s0, v9, v9
	v_add3_u32 v98, v98, v17, 0x7fff
	v_add3_u32 v19, v102, v18, 0x7fff
	v_cndmask_b32_e64 v9, v35, v95, s0
	v_cmp_u_f32_e64 s0, v17, v17
	v_lshrrev_b32_e32 v95, 16, v0
	v_mul_f32_e32 v0, s17, v97
	v_or_b32_e32 v35, 0x400000, v18
	v_lshrrev_b32_e32 v20, 16, v9
	v_cndmask_b32_e64 v17, v98, v100, s0
	v_cmp_u_f32_e64 s0, v18, v18
	v_bfe_u32 v9, v0, 16, 1
	v_mul_f32_e32 v18, s17, v96
	v_mul_f32_e32 v96, s17, v99
	v_lshrrev_b32_e32 v100, 16, v17
	v_cndmask_b32_e64 v17, v19, v35, s0
	v_mul_f32_e32 v19, s17, v101
	v_add3_u32 v9, v9, v0, 0x7fff
	v_or_b32_e32 v35, 0x400000, v0
	v_bfe_u32 v97, v18, 16, 1
	v_cmp_u_f32_e64 s0, v0, v0
	v_bfe_u32 v98, v19, 16, 1
	v_or_b32_e32 v99, 0x400000, v19
	v_or_b32_e32 v101, 0x400000, v96
	v_cndmask_b32_e64 v0, v9, v35, s0
	v_add3_u32 v35, v97, v18, 0x7fff
	v_or_b32_e32 v97, 0x400000, v18
	v_cmp_u_f32_e64 s0, v18, v18
	v_bfe_u32 v9, v96, 16, 1
	v_add3_u32 v98, v98, v19, 0x7fff
	v_lshrrev_b32_e32 v103, 16, v0
	v_cndmask_b32_e64 v18, v35, v97, s0
	v_cmp_u_f32_e64 s0, v19, v19
	v_add3_u32 v9, v9, v96, 0x7fff
	v_lshrrev_b32_e32 v102, 16, v18
	v_cndmask_b32_e64 v19, v98, v99, s0
	v_cmp_u_f32_e64 s0, v96, v96
	v_lshrrev_b32_e32 v98, 16, v19
	v_cndmask_b32_e64 v9, v9, v101, s0
	v_lshrrev_b32_e32 v101, 16, v17
	v_lshrrev_b32_e32 v99, 16, v9
	s_and_saveexec_b32 s18, vcc_lo
	s_cbranch_execz .LBB339_989
; %bb.988:                              ;   in Loop: Header=BB339_554 Depth=1
	v_cmp_gt_i32_e64 s0, s31, v36
	v_cndmask_b32_e64 v102, 0, v102, s0
	v_cmp_gt_i32_e64 s0, s31, v59
	v_cndmask_b32_e64 v103, 0, v103, s0
	;; [unrolled: 2-line block ×8, first 2 shown]
.LBB339_989:                            ;   in Loop: Header=BB339_554 Depth=1
	s_or_b32 exec_lo, exec_lo, s18
	global_load_dwordx2 v[15:16], v[15:16], off offset:1792
	v_mov_b32_e32 v96, 0
	v_mov_b32_e32 v19, 0
	s_waitcnt vmcnt(0)
	v_cmp_ne_u16_sdwa s0, v15, v10 src0_sel:BYTE_0 src1_sel:DWORD
	s_and_saveexec_b32 s18, s0
	s_cbranch_execz .LBB339_995
; %bb.990:                              ;   in Loop: Header=BB339_554 Depth=1
	v_cmp_ne_u16_sdwa s0, v15, v32 src0_sel:BYTE_0 src1_sel:DWORD
	v_bfrev_b32_e32 v19, 1
	s_and_saveexec_b32 s21, s0
	s_cbranch_execz .LBB339_994
; %bb.991:                              ;   in Loop: Header=BB339_554 Depth=1
	v_and_b32_e32 v9, 0x7f, v15
	v_mov_b32_e32 v19, 0x7f800001
	s_mov_b32 s22, exec_lo
	v_cmpx_ne_u32_e32 0x7f, v9
	s_cbranch_execz .LBB339_993
; %bb.992:                              ;   in Loop: Header=BB339_554 Depth=1
	v_and_b32_e32 v0, 7, v15
	v_cmp_gt_u32_e64 s0, 8, v9
	v_lshrrev_b32_e32 v17, 3, v9
	v_ffbh_u32_e32 v0, v0
	v_min_u32_e32 v0, 32, v0
	v_subrev_nc_u32_e32 v18, 28, v0
	v_sub_nc_u32_e32 v0, 29, v0
	v_cndmask_b32_e64 v9, 0, v18, s0
	v_cndmask_b32_e64 v0, v17, v0, s0
	v_lshlrev_b64 v[17:18], v9, v[15:16]
	v_lshlrev_b32_e32 v9, 24, v15
	v_lshl_add_u32 v0, v0, 23, 0x3c000000
	v_and_b32_e32 v9, 0x80000000, v9
	v_lshlrev_b32_e32 v17, 20, v17
	v_and_b32_e32 v17, 0x700000, v17
	v_or3_b32 v19, v17, v9, v0
.LBB339_993:                            ;   in Loop: Header=BB339_554 Depth=1
	s_or_b32 exec_lo, exec_lo, s22
.LBB339_994:                            ;   in Loop: Header=BB339_554 Depth=1
	s_or_b32 exec_lo, exec_lo, s21
.LBB339_995:                            ;   in Loop: Header=BB339_554 Depth=1
	s_or_b32 exec_lo, exec_lo, s18
	v_cmp_ne_u16_sdwa s0, v15, v10 src0_sel:BYTE_1 src1_sel:DWORD
	s_and_saveexec_b32 s18, s0
	s_cbranch_execz .LBB339_1003
; %bb.996:                              ;   in Loop: Header=BB339_554 Depth=1
	v_cmp_ne_u16_sdwa s0, v15, v32 src0_sel:BYTE_1 src1_sel:DWORD
	v_bfrev_b32_e32 v96, 1
	s_and_saveexec_b32 s21, s0
	s_cbranch_execz .LBB339_1002
; %bb.997:                              ;   in Loop: Header=BB339_554 Depth=1
	v_and_b32_sdwa v9, v33, v15 dst_sel:DWORD dst_unused:UNUSED_PAD src0_sel:DWORD src1_sel:BYTE_1
	v_mov_b32_e32 v96, 0x7f800001
	s_mov_b32 s22, exec_lo
	v_and_b32_e32 v18, 0x7f, v9
	v_cmpx_ne_u32_e32 0x7f, v18
	s_cbranch_execz .LBB339_1001
; %bb.998:                              ;   in Loop: Header=BB339_554 Depth=1
	v_and_b32_e32 v9, 7, v9
	v_lshrrev_b32_e32 v17, 3, v18
	s_mov_b32 s24, exec_lo
	v_cmpx_gt_u32_e32 8, v18
; %bb.999:                              ;   in Loop: Header=BB339_554 Depth=1
	v_ffbh_u32_e32 v0, v9
	v_min_u32_e32 v0, 32, v0
	v_subrev_nc_u32_e32 v17, 28, v0
	v_lshlrev_b64 v[96:97], v17, v[9:10]
	v_sub_nc_u32_e32 v17, 29, v0
	v_and_b32_e32 v9, 7, v96
; %bb.1000:                             ;   in Loop: Header=BB339_554 Depth=1
	s_or_b32 exec_lo, exec_lo, s24
	v_lshlrev_b32_e32 v0, 16, v15
	v_lshlrev_b32_e32 v9, 20, v9
	v_lshl_add_u32 v17, v17, 23, 0x3c000000
	v_and_b32_e32 v0, 0x80000000, v0
	v_or3_b32 v96, v9, v0, v17
.LBB339_1001:                           ;   in Loop: Header=BB339_554 Depth=1
	s_or_b32 exec_lo, exec_lo, s22
.LBB339_1002:                           ;   in Loop: Header=BB339_554 Depth=1
	s_or_b32 exec_lo, exec_lo, s21
.LBB339_1003:                           ;   in Loop: Header=BB339_554 Depth=1
	s_or_b32 exec_lo, exec_lo, s18
	v_and_b32_sdwa v9, v15, v34 dst_sel:DWORD dst_unused:UNUSED_PAD src0_sel:WORD_1 src1_sel:DWORD
	v_mov_b32_e32 v104, 0
	v_mov_b32_e32 v97, 0
	s_mov_b32 s18, exec_lo
	v_cmpx_ne_u16_e32 0, v9
	s_cbranch_execz .LBB339_1011
; %bb.1004:                             ;   in Loop: Header=BB339_554 Depth=1
	v_bfrev_b32_e32 v97, 1
	s_mov_b32 s21, exec_lo
	v_cmpx_ne_u16_e32 0x80, v9
	s_cbranch_execz .LBB339_1010
; %bb.1005:                             ;   in Loop: Header=BB339_554 Depth=1
	v_bfe_u32 v18, v15, 16, 7
	v_mov_b32_e32 v97, 0x7f800001
	s_mov_b32 s22, exec_lo
	v_cmpx_ne_u32_e32 0x7f, v18
	s_cbranch_execz .LBB339_1009
; %bb.1006:                             ;   in Loop: Header=BB339_554 Depth=1
	v_and_b32_sdwa v9, v15, v37 dst_sel:DWORD dst_unused:UNUSED_PAD src0_sel:WORD_1 src1_sel:DWORD
	v_lshrrev_b32_e32 v17, 3, v18
	s_mov_b32 s24, exec_lo
	v_cmpx_gt_u32_e32 8, v18
; %bb.1007:                             ;   in Loop: Header=BB339_554 Depth=1
	v_ffbh_u32_e32 v0, v9
	v_min_u32_e32 v0, 32, v0
	v_subrev_nc_u32_e32 v17, 28, v0
	v_lshlrev_b64 v[105:106], v17, v[9:10]
	v_sub_nc_u32_e32 v17, 29, v0
	v_and_b32_e32 v9, 7, v105
; %bb.1008:                             ;   in Loop: Header=BB339_554 Depth=1
	s_or_b32 exec_lo, exec_lo, s24
	v_lshlrev_b32_sdwa v0, v38, v15 dst_sel:DWORD dst_unused:UNUSED_PAD src0_sel:DWORD src1_sel:WORD_1
	v_lshlrev_b32_e32 v9, 20, v9
	v_lshl_add_u32 v17, v17, 23, 0x3c000000
	v_and_b32_e32 v0, 0x80000000, v0
	v_or3_b32 v97, v9, v0, v17
.LBB339_1009:                           ;   in Loop: Header=BB339_554 Depth=1
	s_or_b32 exec_lo, exec_lo, s22
.LBB339_1010:                           ;   in Loop: Header=BB339_554 Depth=1
	s_or_b32 exec_lo, exec_lo, s21
.LBB339_1011:                           ;   in Loop: Header=BB339_554 Depth=1
	s_or_b32 exec_lo, exec_lo, s18
	s_mov_b32 s18, exec_lo
	v_cmpx_lt_u32_e32 0xffffff, v15
	s_cbranch_execz .LBB339_1019
; %bb.1012:                             ;   in Loop: Header=BB339_554 Depth=1
	v_cmp_ne_u32_sdwa s0, v15, v32 src0_sel:BYTE_3 src1_sel:DWORD
	v_bfrev_b32_e32 v104, 1
	s_and_saveexec_b32 s21, s0
	s_cbranch_execz .LBB339_1018
; %bb.1013:                             ;   in Loop: Header=BB339_554 Depth=1
	v_bfe_u32 v18, v15, 24, 7
	v_mov_b32_e32 v104, 0x7f800001
	s_mov_b32 s22, exec_lo
	v_cmpx_ne_u32_e32 0x7f, v18
	s_cbranch_execz .LBB339_1017
; %bb.1014:                             ;   in Loop: Header=BB339_554 Depth=1
	v_and_b32_sdwa v9, v15, v37 dst_sel:DWORD dst_unused:UNUSED_PAD src0_sel:BYTE_3 src1_sel:DWORD
	v_lshrrev_b32_e32 v17, 3, v18
	s_mov_b32 s24, exec_lo
	v_cmpx_gt_u32_e32 8, v18
; %bb.1015:                             ;   in Loop: Header=BB339_554 Depth=1
	v_ffbh_u32_e32 v0, v9
	v_min_u32_e32 v0, 32, v0
	v_subrev_nc_u32_e32 v17, 28, v0
	v_lshlrev_b64 v[104:105], v17, v[9:10]
	v_sub_nc_u32_e32 v17, 29, v0
	v_and_b32_e32 v9, 7, v104
; %bb.1016:                             ;   in Loop: Header=BB339_554 Depth=1
	s_or_b32 exec_lo, exec_lo, s24
	v_lshlrev_b32_sdwa v0, v38, v15 dst_sel:DWORD dst_unused:UNUSED_PAD src0_sel:DWORD src1_sel:BYTE_3
	v_lshlrev_b32_e32 v9, 20, v9
	v_lshl_add_u32 v17, v17, 23, 0x3c000000
	v_and_b32_e32 v0, 0x80000000, v0
	v_or3_b32 v104, v9, v0, v17
.LBB339_1017:                           ;   in Loop: Header=BB339_554 Depth=1
	s_or_b32 exec_lo, exec_lo, s22
.LBB339_1018:                           ;   in Loop: Header=BB339_554 Depth=1
	s_or_b32 exec_lo, exec_lo, s21
.LBB339_1019:                           ;   in Loop: Header=BB339_554 Depth=1
	s_or_b32 exec_lo, exec_lo, s18
	v_mov_b32_e32 v9, v16
	v_cmp_ne_u16_sdwa s0, v16, v10 src0_sel:BYTE_0 src1_sel:DWORD
	v_mov_b32_e32 v17, 0
	v_mov_b32_e32 v35, 0
	s_and_saveexec_b32 s18, s0
	s_cbranch_execz .LBB339_1025
; %bb.1020:                             ;   in Loop: Header=BB339_554 Depth=1
	v_cmp_ne_u16_sdwa s0, v16, v32 src0_sel:BYTE_0 src1_sel:DWORD
	v_bfrev_b32_e32 v35, 1
	s_and_saveexec_b32 s21, s0
	s_cbranch_execz .LBB339_1024
; %bb.1021:                             ;   in Loop: Header=BB339_554 Depth=1
	v_and_b32_e32 v18, 0x7f, v16
	v_mov_b32_e32 v35, 0x7f800001
	s_mov_b32 s22, exec_lo
	v_cmpx_ne_u32_e32 0x7f, v18
	s_cbranch_execz .LBB339_1023
; %bb.1022:                             ;   in Loop: Header=BB339_554 Depth=1
	v_and_b32_e32 v0, 7, v16
	v_cmp_gt_u32_e64 s0, 8, v18
	v_lshrrev_b32_e32 v35, 3, v18
	v_ffbh_u32_e32 v0, v0
	v_min_u32_e32 v0, 32, v0
	v_subrev_nc_u32_e32 v105, 28, v0
	v_sub_nc_u32_e32 v0, 29, v0
	v_cndmask_b32_e64 v18, 0, v105, s0
	v_cndmask_b32_e64 v0, v35, v0, s0
	v_lshlrev_b64 v[105:106], v18, v[9:10]
	v_lshlrev_b32_e32 v18, 24, v9
	v_lshl_add_u32 v0, v0, 23, 0x3c000000
	v_and_b32_e32 v18, 0x80000000, v18
	v_lshlrev_b32_e32 v35, 20, v105
	v_and_b32_e32 v35, 0x700000, v35
	v_or3_b32 v35, v35, v18, v0
.LBB339_1023:                           ;   in Loop: Header=BB339_554 Depth=1
	s_or_b32 exec_lo, exec_lo, s22
.LBB339_1024:                           ;   in Loop: Header=BB339_554 Depth=1
	s_or_b32 exec_lo, exec_lo, s21
.LBB339_1025:                           ;   in Loop: Header=BB339_554 Depth=1
	s_or_b32 exec_lo, exec_lo, s18
	v_cmp_ne_u16_sdwa s0, v9, v10 src0_sel:BYTE_1 src1_sel:DWORD
	s_and_saveexec_b32 s18, s0
	s_cbranch_execz .LBB339_1033
; %bb.1026:                             ;   in Loop: Header=BB339_554 Depth=1
	v_cmp_ne_u16_sdwa s0, v9, v32 src0_sel:BYTE_1 src1_sel:DWORD
	v_bfrev_b32_e32 v17, 1
	s_and_saveexec_b32 s21, s0
	s_cbranch_execz .LBB339_1032
; %bb.1027:                             ;   in Loop: Header=BB339_554 Depth=1
	v_and_b32_sdwa v18, v33, v9 dst_sel:DWORD dst_unused:UNUSED_PAD src0_sel:DWORD src1_sel:BYTE_1
	v_mov_b32_e32 v17, 0x7f800001
	s_mov_b32 s22, exec_lo
	v_and_b32_e32 v106, 0x7f, v18
	v_cmpx_ne_u32_e32 0x7f, v106
	s_cbranch_execz .LBB339_1031
; %bb.1028:                             ;   in Loop: Header=BB339_554 Depth=1
	v_and_b32_e32 v17, 7, v18
	v_mov_b32_e32 v18, v10
	v_lshrrev_b32_e32 v105, 3, v106
	s_mov_b32 s24, exec_lo
	v_cmpx_gt_u32_e32 8, v106
; %bb.1029:                             ;   in Loop: Header=BB339_554 Depth=1
	v_ffbh_u32_e32 v0, v17
	v_min_u32_e32 v0, 32, v0
	v_subrev_nc_u32_e32 v105, 28, v0
	v_lshlrev_b64 v[17:18], v105, v[17:18]
	v_sub_nc_u32_e32 v105, 29, v0
	v_and_b32_e32 v17, 7, v17
; %bb.1030:                             ;   in Loop: Header=BB339_554 Depth=1
	s_or_b32 exec_lo, exec_lo, s24
	v_lshlrev_b32_e32 v0, 16, v9
	v_lshlrev_b32_e32 v9, 20, v17
	v_lshl_add_u32 v17, v105, 23, 0x3c000000
	v_and_b32_e32 v0, 0x80000000, v0
	v_or3_b32 v17, v9, v0, v17
.LBB339_1031:                           ;   in Loop: Header=BB339_554 Depth=1
	s_or_b32 exec_lo, exec_lo, s22
.LBB339_1032:                           ;   in Loop: Header=BB339_554 Depth=1
	s_or_b32 exec_lo, exec_lo, s21
.LBB339_1033:                           ;   in Loop: Header=BB339_554 Depth=1
	s_or_b32 exec_lo, exec_lo, s18
	v_and_b32_sdwa v9, v16, v34 dst_sel:DWORD dst_unused:UNUSED_PAD src0_sel:WORD_1 src1_sel:DWORD
	v_mov_b32_e32 v18, 0
	v_mov_b32_e32 v105, 0
	s_mov_b32 s18, exec_lo
	v_cmpx_ne_u16_e32 0, v9
	s_cbranch_execz .LBB339_1041
; %bb.1034:                             ;   in Loop: Header=BB339_554 Depth=1
	v_bfrev_b32_e32 v105, 1
	s_mov_b32 s21, exec_lo
	v_cmpx_ne_u16_e32 0x80, v9
	s_cbranch_execz .LBB339_1040
; %bb.1035:                             ;   in Loop: Header=BB339_554 Depth=1
	v_bfe_u32 v106, v16, 16, 7
	v_mov_b32_e32 v105, 0x7f800001
	s_mov_b32 s22, exec_lo
	v_cmpx_ne_u32_e32 0x7f, v106
	s_cbranch_execz .LBB339_1039
; %bb.1036:                             ;   in Loop: Header=BB339_554 Depth=1
	v_and_b32_sdwa v9, v16, v37 dst_sel:DWORD dst_unused:UNUSED_PAD src0_sel:WORD_1 src1_sel:DWORD
	v_lshrrev_b32_e32 v105, 3, v106
	s_mov_b32 s24, exec_lo
	v_cmpx_gt_u32_e32 8, v106
; %bb.1037:                             ;   in Loop: Header=BB339_554 Depth=1
	v_ffbh_u32_e32 v0, v9
	v_min_u32_e32 v0, 32, v0
	v_subrev_nc_u32_e32 v105, 28, v0
	v_lshlrev_b64 v[106:107], v105, v[9:10]
	v_sub_nc_u32_e32 v105, 29, v0
	v_and_b32_e32 v9, 7, v106
; %bb.1038:                             ;   in Loop: Header=BB339_554 Depth=1
	s_or_b32 exec_lo, exec_lo, s24
	v_lshlrev_b32_sdwa v0, v38, v16 dst_sel:DWORD dst_unused:UNUSED_PAD src0_sel:DWORD src1_sel:WORD_1
	v_lshlrev_b32_e32 v9, 20, v9
	v_lshl_add_u32 v105, v105, 23, 0x3c000000
	v_and_b32_e32 v0, 0x80000000, v0
	v_or3_b32 v105, v9, v0, v105
.LBB339_1039:                           ;   in Loop: Header=BB339_554 Depth=1
	s_or_b32 exec_lo, exec_lo, s22
.LBB339_1040:                           ;   in Loop: Header=BB339_554 Depth=1
	s_or_b32 exec_lo, exec_lo, s21
.LBB339_1041:                           ;   in Loop: Header=BB339_554 Depth=1
	s_or_b32 exec_lo, exec_lo, s18
	s_mov_b32 s18, exec_lo
	v_cmpx_lt_u64_e64 s[4:5], v[15:16]
	s_cbranch_execz .LBB339_1049
; %bb.1042:                             ;   in Loop: Header=BB339_554 Depth=1
	v_cmp_ne_u32_sdwa s0, v16, v32 src0_sel:BYTE_3 src1_sel:DWORD
	v_bfrev_b32_e32 v18, 1
	s_and_saveexec_b32 s21, s0
	s_cbranch_execz .LBB339_1048
; %bb.1043:                             ;   in Loop: Header=BB339_554 Depth=1
	v_bfe_u32 v106, v16, 24, 7
	v_mov_b32_e32 v18, 0x7f800001
	s_mov_b32 s22, exec_lo
	v_cmpx_ne_u32_e32 0x7f, v106
	s_cbranch_execz .LBB339_1047
; %bb.1044:                             ;   in Loop: Header=BB339_554 Depth=1
	v_and_b32_sdwa v9, v16, v37 dst_sel:DWORD dst_unused:UNUSED_PAD src0_sel:BYTE_3 src1_sel:DWORD
	v_lshrrev_b32_e32 v15, 3, v106
	s_mov_b32 s24, exec_lo
	v_cmpx_gt_u32_e32 8, v106
; %bb.1045:                             ;   in Loop: Header=BB339_554 Depth=1
	v_ffbh_u32_e32 v0, v9
	v_min_u32_e32 v0, 32, v0
	v_subrev_nc_u32_e32 v15, 28, v0
	v_lshlrev_b64 v[106:107], v15, v[9:10]
	v_sub_nc_u32_e32 v15, 29, v0
	v_and_b32_e32 v9, 7, v106
; %bb.1046:                             ;   in Loop: Header=BB339_554 Depth=1
	s_or_b32 exec_lo, exec_lo, s24
	v_lshlrev_b32_sdwa v0, v38, v16 dst_sel:DWORD dst_unused:UNUSED_PAD src0_sel:DWORD src1_sel:BYTE_3
	v_lshlrev_b32_e32 v9, 20, v9
	v_lshl_add_u32 v15, v15, 23, 0x3c000000
	v_and_b32_e32 v0, 0x80000000, v0
	v_or3_b32 v18, v9, v0, v15
.LBB339_1047:                           ;   in Loop: Header=BB339_554 Depth=1
	s_or_b32 exec_lo, exec_lo, s22
.LBB339_1048:                           ;   in Loop: Header=BB339_554 Depth=1
	s_or_b32 exec_lo, exec_lo, s21
.LBB339_1049:                           ;   in Loop: Header=BB339_554 Depth=1
	s_or_b32 exec_lo, exec_lo, s18
	v_mul_f32_e32 v0, s17, v17
	v_mul_f32_e32 v9, s17, v35
	;; [unrolled: 1-line block ×5, first 2 shown]
	v_bfe_u32 v17, v0, 16, 1
	v_or_b32_e32 v35, 0x400000, v0
	v_bfe_u32 v97, v9, 16, 1
	v_cmp_u_f32_e64 s0, v0, v0
	v_or_b32_e32 v104, 0x400000, v9
	v_add3_u32 v17, v17, v0, 0x7fff
	v_bfe_u32 v106, v15, 16, 1
	v_add3_u32 v97, v97, v9, 0x7fff
	v_or_b32_e32 v107, 0x400000, v15
	v_bfe_u32 v108, v16, 16, 1
	v_cndmask_b32_e64 v0, v17, v35, s0
	v_cmp_u_f32_e64 s0, v9, v9
	v_add3_u32 v106, v106, v15, 0x7fff
	v_mul_f32_e32 v18, s17, v18
	v_add3_u32 v35, v108, v16, 0x7fff
	v_cndmask_b32_e64 v9, v97, v104, s0
	v_cmp_u_f32_e64 s0, v15, v15
	v_lshrrev_b32_e32 v15, 16, v0
	v_mul_f32_e32 v0, s17, v96
	v_or_b32_e32 v96, 0x400000, v16
	v_bfe_u32 v104, v19, 16, 1
	v_cndmask_b32_e64 v17, v106, v107, s0
	v_cmp_u_f32_e64 s0, v16, v16
	v_bfe_u32 v97, v0, 16, 1
	v_or_b32_e32 v107, 0x400000, v18
	v_lshrrev_b32_e32 v9, 16, v9
	v_lshrrev_b32_e32 v17, 16, v17
	v_cndmask_b32_e64 v16, v35, v96, s0
	v_mul_f32_e32 v35, s17, v105
	v_add3_u32 v96, v97, v0, 0x7fff
	v_or_b32_e32 v97, 0x400000, v0
	v_cmp_u_f32_e64 s0, v0, v0
	v_bfe_u32 v105, v35, 16, 1
	v_or_b32_e32 v106, 0x400000, v35
	v_cndmask_b32_e64 v0, v96, v97, s0
	v_add3_u32 v97, v104, v19, 0x7fff
	v_or_b32_e32 v104, 0x400000, v19
	v_cmp_u_f32_e64 s0, v19, v19
	v_bfe_u32 v96, v18, 16, 1
	v_add3_u32 v105, v105, v35, 0x7fff
	v_lshrrev_b32_e32 v19, 16, v16
	v_cndmask_b32_e64 v104, v97, v104, s0
	v_cmp_u_f32_e64 s0, v35, v35
	v_add3_u32 v96, v96, v18, 0x7fff
	v_lshrrev_b32_e32 v97, 16, v0
	v_cndmask_b32_e64 v35, v105, v106, s0
	v_cmp_u_f32_e64 s0, v18, v18
	v_lshrrev_b32_e32 v16, 16, v35
	v_cndmask_b32_e64 v18, v96, v107, s0
	v_lshrrev_b32_e32 v96, 16, v104
	v_lshrrev_b32_e32 v18, 16, v18
	s_and_saveexec_b32 s0, vcc_lo
	s_cbranch_execz .LBB339_552
; %bb.1050:                             ;   in Loop: Header=BB339_554 Depth=1
	v_cmp_gt_i32_e32 vcc_lo, s31, v36
	v_cndmask_b32_e32 v96, 0, v96, vcc_lo
	v_cmp_gt_i32_e32 vcc_lo, s31, v59
	v_cndmask_b32_e32 v97, 0, v97, vcc_lo
	;; [unrolled: 2-line block ×8, first 2 shown]
	s_branch .LBB339_552
.LBB339_1051:
	s_or_b32 exec_lo, exec_lo, s12
	buffer_load_dword v13, off, s[56:59], 0 offset:24 ; 4-byte Folded Reload
.LBB339_1052:
	s_or_b32 exec_lo, exec_lo, s1
	buffer_load_dword v1, off, s[56:59], 0 offset:28 ; 4-byte Folded Reload
	v_lshl_add_u32 v2, v21, 2, 0x220
	s_waitcnt vmcnt(1)
	v_and_b32_e32 v0, 0x3c0, v13
	s_mov_b32 s0, exec_lo
	s_waitcnt vmcnt(0)
	s_waitcnt_vscnt null, 0x0
	s_barrier
	buffer_gl0_inv
	v_lshl_add_u32 v1, v1, 10, v2
	v_cmpx_eq_u32_e32 64, v0
	s_cbranch_execz .LBB339_1054
; %bb.1053:
	v_add_nc_u32_e32 v0, 0xfffff800, v1
	v_add_nc_u32_e32 v3, 0xfffff880, v1
	v_add_nc_u32_e32 v4, 0xfffff900, v1
	v_add_nc_u32_e32 v5, 0xfffffb00, v1
	v_add_nc_u32_e32 v6, 0xfffffb80, v1
	ds_write_b32 v0, v31
	ds_write_b32 v3, v30
	;; [unrolled: 1-line block ×3, first 2 shown]
	v_add_nc_u32_e32 v0, 0xfffff980, v1
	v_add_nc_u32_e32 v3, 0xfffffa00, v1
	;; [unrolled: 1-line block ×3, first 2 shown]
	ds_write_b32 v0, v28
	ds_write_b32 v3, v27
	;; [unrolled: 1-line block ×5, first 2 shown]
.LBB339_1054:
	s_or_b32 exec_lo, exec_lo, s0
	s_mov_b32 s0, exec_lo
	s_waitcnt lgkmcnt(0)
	s_barrier
	buffer_gl0_inv
	v_cmpx_gt_u32_e32 64, v13
	s_cbranch_execz .LBB339_1056
; %bb.1055:
	ds_read2_b32 v[3:4], v1 offset1:32
	ds_read2_b32 v[5:6], v1 offset0:64 offset1:96
	ds_read2_b32 v[7:8], v1 offset0:128 offset1:160
	;; [unrolled: 1-line block ×3, first 2 shown]
	s_waitcnt lgkmcnt(3)
	v_add_f32_e32 v31, v31, v3
	v_add_f32_e32 v30, v30, v4
	s_waitcnt lgkmcnt(2)
	v_add_f32_e32 v29, v29, v5
	v_add_f32_e32 v28, v28, v6
	;; [unrolled: 3-line block ×4, first 2 shown]
.LBB339_1056:
	s_or_b32 exec_lo, exec_lo, s0
	v_and_b32_e32 v0, 0x3e0, v13
	s_mov_b32 s0, exec_lo
	s_barrier
	buffer_gl0_inv
	v_cmpx_eq_u32_e32 32, v0
	s_cbranch_execz .LBB339_1058
; %bb.1057:
	ds_write2_b32 v2, v31, v30 offset1:32
	ds_write2_b32 v2, v29, v28 offset0:64 offset1:96
	ds_write2_b32 v2, v27, v24 offset0:128 offset1:160
	;; [unrolled: 1-line block ×3, first 2 shown]
.LBB339_1058:
	s_or_b32 exec_lo, exec_lo, s0
	v_cmp_gt_u32_e32 vcc_lo, 32, v13
	s_waitcnt lgkmcnt(0)
	s_barrier
	buffer_gl0_inv
	s_and_saveexec_b32 s0, vcc_lo
	s_cbranch_execz .LBB339_1060
; %bb.1059:
	ds_read2_b32 v[2:3], v1 offset1:32
	ds_read2_b32 v[4:5], v1 offset0:64 offset1:96
	ds_read2_b32 v[6:7], v1 offset0:128 offset1:160
	;; [unrolled: 1-line block ×3, first 2 shown]
	s_waitcnt lgkmcnt(3)
	v_add_f32_e32 v31, v31, v2
	v_add_f32_e32 v30, v30, v3
	s_waitcnt lgkmcnt(2)
	v_add_f32_e32 v29, v29, v4
	v_add_f32_e32 v28, v28, v5
	;; [unrolled: 3-line block ×4, first 2 shown]
.LBB339_1060:
	s_or_b32 exec_lo, exec_lo, s0
	s_barrier
	buffer_gl0_inv
	s_and_saveexec_b32 s0, vcc_lo
	s_cbranch_execz .LBB339_1062
; %bb.1061:
	s_lshl_b32 s0, s2, 8
	s_mul_i32 s2, s7, s10
	s_ashr_i32 s1, s0, 31
	v_bfe_u32 v1, v31, 16, 1
	s_lshl_b64 s[0:1], s[0:1], 1
	v_or_b32_e32 v2, 0x400000, v31
	s_add_u32 s4, s28, s0
	s_addc_u32 s5, s29, s1
	s_ashr_i32 s3, s2, 31
	v_add3_u32 v1, v1, v31, 0x7fff
	s_lshl_b64 s[0:1], s[2:3], 1
	v_bfe_u32 v3, v30, 16, 1
	s_add_u32 s2, s4, s0
	v_cmp_u_f32_e32 vcc_lo, v31, v31
	s_addc_u32 s3, s5, s1
	s_lshl_b32 s0, s8, 8
	v_lshlrev_b32_e32 v0, 1, v13
	s_ashr_i32 s1, s0, 31
	v_cndmask_b32_e32 v1, v1, v2, vcc_lo
	s_lshl_b64 s[0:1], s[0:1], 1
	v_bfe_u32 v2, v29, 16, 1
	v_add3_u32 v3, v3, v30, 0x7fff
	v_or_b32_e32 v4, 0x400000, v30
	v_cmp_u_f32_e32 vcc_lo, v30, v30
	s_add_u32 s0, s2, s0
	s_addc_u32 s1, s3, s1
	v_bfe_u32 v5, v23, 16, 1
	global_store_short_d16_hi v0, v1, s[0:1]
	v_add3_u32 v1, v2, v29, 0x7fff
	v_or_b32_e32 v2, 0x400000, v29
	v_cndmask_b32_e32 v3, v3, v4, vcc_lo
	v_bfe_u32 v4, v28, 16, 1
	v_cmp_u_f32_e32 vcc_lo, v29, v29
	v_or_b32_e32 v6, 0x400000, v24
	v_add3_u32 v5, v5, v23, 0x7fff
	global_store_short_d16_hi v0, v3, s[0:1] offset:64
	v_add3_u32 v3, v4, v28, 0x7fff
	v_cndmask_b32_e32 v1, v1, v2, vcc_lo
	v_bfe_u32 v2, v27, 16, 1
	v_or_b32_e32 v4, 0x400000, v28
	v_cmp_u_f32_e32 vcc_lo, v28, v28
	v_or_b32_e32 v7, 0x400000, v23
	global_store_short_d16_hi v0, v1, s[0:1] offset:128
	v_add3_u32 v1, v2, v27, 0x7fff
	v_or_b32_e32 v2, 0x400000, v27
	v_cndmask_b32_e32 v3, v3, v4, vcc_lo
	v_bfe_u32 v4, v24, 16, 1
	v_cmp_u_f32_e32 vcc_lo, v27, v27
	v_or_b32_e32 v8, 0x400000, v22
	v_add3_u32 v4, v4, v24, 0x7fff
	v_cndmask_b32_e32 v1, v1, v2, vcc_lo
	v_cmp_u_f32_e32 vcc_lo, v24, v24
	v_bfe_u32 v2, v22, 16, 1
	v_cndmask_b32_e32 v4, v4, v6, vcc_lo
	v_cmp_u_f32_e32 vcc_lo, v23, v23
	v_add3_u32 v2, v2, v22, 0x7fff
	v_cndmask_b32_e32 v5, v5, v7, vcc_lo
	v_cmp_u_f32_e32 vcc_lo, v22, v22
	v_cndmask_b32_e32 v2, v2, v8, vcc_lo
	global_store_short_d16_hi v0, v3, s[0:1] offset:192
	global_store_short_d16_hi v0, v1, s[0:1] offset:256
	;; [unrolled: 1-line block ×5, first 2 shown]
.LBB339_1062:
	s_endpgm
	.section	.rodata,"a",@progbits
	.p2align	6, 0x0
	.amdhsa_kernel _ZN4vllm25paged_attention_v2_kernelI14__hip_bfloat16hLi256ELi8ELi128ELNS_18Fp8KVCacheDataTypeE1ELb1ELi512EEEvPfS3_PT_PKS4_PKT0_SA_ifPKiSC_iPKfiiiSE_SE_iiiii
		.amdhsa_group_segment_fixed_size 544
		.amdhsa_private_segment_fixed_size 36
		.amdhsa_kernarg_size 400
		.amdhsa_user_sgpr_count 6
		.amdhsa_user_sgpr_private_segment_buffer 1
		.amdhsa_user_sgpr_dispatch_ptr 0
		.amdhsa_user_sgpr_queue_ptr 0
		.amdhsa_user_sgpr_kernarg_segment_ptr 1
		.amdhsa_user_sgpr_dispatch_id 0
		.amdhsa_user_sgpr_flat_scratch_init 0
		.amdhsa_user_sgpr_private_segment_size 0
		.amdhsa_wavefront_size32 1
		.amdhsa_uses_dynamic_stack 0
		.amdhsa_system_sgpr_private_segment_wavefront_offset 1
		.amdhsa_system_sgpr_workgroup_id_x 1
		.amdhsa_system_sgpr_workgroup_id_y 1
		.amdhsa_system_sgpr_workgroup_id_z 1
		.amdhsa_system_sgpr_workgroup_info 0
		.amdhsa_system_vgpr_workitem_id 0
		.amdhsa_next_free_vgpr 128
		.amdhsa_next_free_sgpr 60
		.amdhsa_reserve_vcc 1
		.amdhsa_reserve_flat_scratch 0
		.amdhsa_float_round_mode_32 0
		.amdhsa_float_round_mode_16_64 0
		.amdhsa_float_denorm_mode_32 3
		.amdhsa_float_denorm_mode_16_64 3
		.amdhsa_dx10_clamp 1
		.amdhsa_ieee_mode 1
		.amdhsa_fp16_overflow 0
		.amdhsa_workgroup_processor_mode 1
		.amdhsa_memory_ordered 1
		.amdhsa_forward_progress 1
		.amdhsa_shared_vgpr_count 0
		.amdhsa_exception_fp_ieee_invalid_op 0
		.amdhsa_exception_fp_denorm_src 0
		.amdhsa_exception_fp_ieee_div_zero 0
		.amdhsa_exception_fp_ieee_overflow 0
		.amdhsa_exception_fp_ieee_underflow 0
		.amdhsa_exception_fp_ieee_inexact 0
		.amdhsa_exception_int_div_zero 0
	.end_amdhsa_kernel
	.section	.text._ZN4vllm25paged_attention_v2_kernelI14__hip_bfloat16hLi256ELi8ELi128ELNS_18Fp8KVCacheDataTypeE1ELb1ELi512EEEvPfS3_PT_PKS4_PKT0_SA_ifPKiSC_iPKfiiiSE_SE_iiiii,"axG",@progbits,_ZN4vllm25paged_attention_v2_kernelI14__hip_bfloat16hLi256ELi8ELi128ELNS_18Fp8KVCacheDataTypeE1ELb1ELi512EEEvPfS3_PT_PKS4_PKT0_SA_ifPKiSC_iPKfiiiSE_SE_iiiii,comdat
.Lfunc_end339:
	.size	_ZN4vllm25paged_attention_v2_kernelI14__hip_bfloat16hLi256ELi8ELi128ELNS_18Fp8KVCacheDataTypeE1ELb1ELi512EEEvPfS3_PT_PKS4_PKT0_SA_ifPKiSC_iPKfiiiSE_SE_iiiii, .Lfunc_end339-_ZN4vllm25paged_attention_v2_kernelI14__hip_bfloat16hLi256ELi8ELi128ELNS_18Fp8KVCacheDataTypeE1ELb1ELi512EEEvPfS3_PT_PKS4_PKT0_SA_ifPKiSC_iPKfiiiSE_SE_iiiii
                                        ; -- End function
	.set _ZN4vllm25paged_attention_v2_kernelI14__hip_bfloat16hLi256ELi8ELi128ELNS_18Fp8KVCacheDataTypeE1ELb1ELi512EEEvPfS3_PT_PKS4_PKT0_SA_ifPKiSC_iPKfiiiSE_SE_iiiii.num_vgpr, 128
	.set _ZN4vllm25paged_attention_v2_kernelI14__hip_bfloat16hLi256ELi8ELi128ELNS_18Fp8KVCacheDataTypeE1ELb1ELi512EEEvPfS3_PT_PKS4_PKT0_SA_ifPKiSC_iPKfiiiSE_SE_iiiii.num_agpr, 0
	.set _ZN4vllm25paged_attention_v2_kernelI14__hip_bfloat16hLi256ELi8ELi128ELNS_18Fp8KVCacheDataTypeE1ELb1ELi512EEEvPfS3_PT_PKS4_PKT0_SA_ifPKiSC_iPKfiiiSE_SE_iiiii.numbered_sgpr, 60
	.set _ZN4vllm25paged_attention_v2_kernelI14__hip_bfloat16hLi256ELi8ELi128ELNS_18Fp8KVCacheDataTypeE1ELb1ELi512EEEvPfS3_PT_PKS4_PKT0_SA_ifPKiSC_iPKfiiiSE_SE_iiiii.num_named_barrier, 0
	.set _ZN4vllm25paged_attention_v2_kernelI14__hip_bfloat16hLi256ELi8ELi128ELNS_18Fp8KVCacheDataTypeE1ELb1ELi512EEEvPfS3_PT_PKS4_PKT0_SA_ifPKiSC_iPKfiiiSE_SE_iiiii.private_seg_size, 36
	.set _ZN4vllm25paged_attention_v2_kernelI14__hip_bfloat16hLi256ELi8ELi128ELNS_18Fp8KVCacheDataTypeE1ELb1ELi512EEEvPfS3_PT_PKS4_PKT0_SA_ifPKiSC_iPKfiiiSE_SE_iiiii.uses_vcc, 1
	.set _ZN4vllm25paged_attention_v2_kernelI14__hip_bfloat16hLi256ELi8ELi128ELNS_18Fp8KVCacheDataTypeE1ELb1ELi512EEEvPfS3_PT_PKS4_PKT0_SA_ifPKiSC_iPKfiiiSE_SE_iiiii.uses_flat_scratch, 0
	.set _ZN4vllm25paged_attention_v2_kernelI14__hip_bfloat16hLi256ELi8ELi128ELNS_18Fp8KVCacheDataTypeE1ELb1ELi512EEEvPfS3_PT_PKS4_PKT0_SA_ifPKiSC_iPKfiiiSE_SE_iiiii.has_dyn_sized_stack, 0
	.set _ZN4vllm25paged_attention_v2_kernelI14__hip_bfloat16hLi256ELi8ELi128ELNS_18Fp8KVCacheDataTypeE1ELb1ELi512EEEvPfS3_PT_PKS4_PKT0_SA_ifPKiSC_iPKfiiiSE_SE_iiiii.has_recursion, 0
	.set _ZN4vllm25paged_attention_v2_kernelI14__hip_bfloat16hLi256ELi8ELi128ELNS_18Fp8KVCacheDataTypeE1ELb1ELi512EEEvPfS3_PT_PKS4_PKT0_SA_ifPKiSC_iPKfiiiSE_SE_iiiii.has_indirect_call, 0
	.section	.AMDGPU.csdata,"",@progbits
; Kernel info:
; codeLenInByte = 40244
; TotalNumSgprs: 62
; NumVgprs: 128
; ScratchSize: 36
; MemoryBound: 0
; FloatMode: 240
; IeeeMode: 1
; LDSByteSize: 544 bytes/workgroup (compile time only)
; SGPRBlocks: 0
; VGPRBlocks: 15
; NumSGPRsForWavesPerEU: 62
; NumVGPRsForWavesPerEU: 128
; Occupancy: 8
; WaveLimiterHint : 1
; COMPUTE_PGM_RSRC2:SCRATCH_EN: 1
; COMPUTE_PGM_RSRC2:USER_SGPR: 6
; COMPUTE_PGM_RSRC2:TRAP_HANDLER: 0
; COMPUTE_PGM_RSRC2:TGID_X_EN: 1
; COMPUTE_PGM_RSRC2:TGID_Y_EN: 1
; COMPUTE_PGM_RSRC2:TGID_Z_EN: 1
; COMPUTE_PGM_RSRC2:TIDIG_COMP_CNT: 0
	.section	.text._ZN4vllm25paged_attention_v2_kernelI14__hip_bfloat16hLi32ELi8ELi128ELNS_18Fp8KVCacheDataTypeE1ELb0ELi512EEEvPfS3_PT_PKS4_PKT0_SA_ifPKiSC_iPKfiiiSE_SE_iiiii,"axG",@progbits,_ZN4vllm25paged_attention_v2_kernelI14__hip_bfloat16hLi32ELi8ELi128ELNS_18Fp8KVCacheDataTypeE1ELb0ELi512EEEvPfS3_PT_PKS4_PKT0_SA_ifPKiSC_iPKfiiiSE_SE_iiiii,comdat
	.protected	_ZN4vllm25paged_attention_v2_kernelI14__hip_bfloat16hLi32ELi8ELi128ELNS_18Fp8KVCacheDataTypeE1ELb0ELi512EEEvPfS3_PT_PKS4_PKT0_SA_ifPKiSC_iPKfiiiSE_SE_iiiii ; -- Begin function _ZN4vllm25paged_attention_v2_kernelI14__hip_bfloat16hLi32ELi8ELi128ELNS_18Fp8KVCacheDataTypeE1ELb0ELi512EEEvPfS3_PT_PKS4_PKT0_SA_ifPKiSC_iPKfiiiSE_SE_iiiii
	.globl	_ZN4vllm25paged_attention_v2_kernelI14__hip_bfloat16hLi32ELi8ELi128ELNS_18Fp8KVCacheDataTypeE1ELb0ELi512EEEvPfS3_PT_PKS4_PKT0_SA_ifPKiSC_iPKfiiiSE_SE_iiiii
	.p2align	8
	.type	_ZN4vllm25paged_attention_v2_kernelI14__hip_bfloat16hLi32ELi8ELi128ELNS_18Fp8KVCacheDataTypeE1ELb0ELi512EEEvPfS3_PT_PKS4_PKT0_SA_ifPKiSC_iPKfiiiSE_SE_iiiii,@function
_ZN4vllm25paged_attention_v2_kernelI14__hip_bfloat16hLi32ELi8ELi128ELNS_18Fp8KVCacheDataTypeE1ELb0ELi512EEEvPfS3_PT_PKS4_PKT0_SA_ifPKiSC_iPKfiiiSE_SE_iiiii: ; @_ZN4vllm25paged_attention_v2_kernelI14__hip_bfloat16hLi32ELi8ELi128ELNS_18Fp8KVCacheDataTypeE1ELb0ELi512EEEvPfS3_PT_PKS4_PKT0_SA_ifPKiSC_iPKfiiiSE_SE_iiiii
; %bb.0:
	s_load_dwordx2 s[0:1], s[4:5], 0x40
	s_mov_b32 s26, s7
	s_ashr_i32 s27, s7, 31
	s_lshl_b64 s[2:3], s[26:27], 2
	s_waitcnt lgkmcnt(0)
	s_add_u32 s0, s0, s2
	s_addc_u32 s1, s1, s3
	s_lshl_b32 s33, s8, 9
	s_load_dword s27, s[0:1], 0x0
	s_waitcnt lgkmcnt(0)
	s_cmp_ge_i32 s33, s27
	s_cbranch_scc1 .LBB340_174
; %bb.1:
	s_clause 0x1
	s_load_dword s9, s[4:5], 0x90
	s_load_dwordx2 s[36:37], s[4:5], 0x30
	s_waitcnt lgkmcnt(0)
	s_abs_i32 s3, s9
	s_abs_i32 s0, s36
	v_cvt_f32_u32_e32 v1, s0
	s_sub_i32 s2, 0, s0
	v_rcp_iflag_f32_e32 v1, v1
	v_mul_f32_e32 v1, 0x4f7ffffe, v1
	v_cvt_u32_f32_e32 v1, v1
	v_readfirstlane_b32 s1, v1
	s_mul_i32 s2, s2, s1
	s_mul_hi_u32 s2, s1, s2
	s_add_i32 s1, s1, s2
	s_xor_b32 s2, s9, s36
	s_mul_hi_u32 s1, s3, s1
	s_ashr_i32 s2, s2, 31
	s_mul_i32 s7, s1, s0
	s_mov_b32 s36, 0
	s_sub_i32 s3, s3, s7
	s_add_i32 s7, s1, 1
	s_sub_i32 s10, s3, s0
	s_cmp_ge_u32 s3, s0
	s_cselect_b32 s1, s7, s1
	s_cselect_b32 s3, s10, s3
	s_add_i32 s7, s1, 1
	s_cmp_ge_u32 s3, s0
	s_cselect_b32 s0, s7, s1
	s_abs_i32 s16, s6
	s_xor_b32 s0, s0, s2
	s_sub_i32 s10, s0, s2
	s_load_dwordx2 s[0:1], s[4:5], 0x50
	s_abs_i32 s2, s10
	v_cvt_f32_u32_e32 v1, s2
	s_sub_i32 s7, 0, s2
	v_rcp_iflag_f32_e32 v1, v1
	v_mul_f32_e32 v1, 0x4f7ffffe, v1
	v_cvt_u32_f32_e32 v1, v1
	v_readfirstlane_b32 s3, v1
	s_mul_i32 s7, s7, s3
	s_mul_hi_u32 s7, s3, s7
	s_add_i32 s3, s3, s7
	s_waitcnt lgkmcnt(0)
	s_cmp_eq_u64 s[0:1], 0
	s_mul_hi_u32 s3, s16, s3
	s_cbranch_scc1 .LBB340_3
; %bb.2:
	s_ashr_i32 s7, s6, 31
	s_lshl_b64 s[12:13], s[6:7], 2
	s_add_u32 s0, s0, s12
	s_addc_u32 s1, s1, s13
	s_load_dword s36, s[0:1], 0x0
.LBB340_3:
	s_load_dwordx4 s[12:15], s[4:5], 0x58
	v_and_b32_e32 v1, 3, v0
	s_ashr_i32 s0, s6, 31
	s_ashr_i32 s1, s10, 31
	s_lshl_b32 s10, s6, 5
	s_mov_b32 s7, exec_lo
	v_cmpx_gt_u32_e32 16, v0
	s_cbranch_execz .LBB340_5
; %bb.4:
	s_load_dwordx2 s[18:19], s[4:5], 0x18
	s_waitcnt lgkmcnt(0)
	s_mul_i32 s20, s12, s26
	v_lshlrev_b32_e32 v2, 2, v0
	s_ashr_i32 s21, s20, 31
	v_and_b32_e32 v3, 0x3fc, v0
	s_lshl_b64 s[20:21], s[20:21], 1
	v_lshl_add_u32 v3, v1, 4, v3
	s_add_u32 s12, s18, s20
	s_addc_u32 s15, s19, s21
	s_ashr_i32 s11, s10, 31
	s_lshl_b64 s[18:19], s[10:11], 1
	s_add_u32 s18, s12, s18
	s_addc_u32 s19, s15, s19
	global_load_dword v2, v2, s[18:19]
	s_waitcnt vmcnt(0)
	ds_write_b32 v3, v2
.LBB340_5:
	s_or_b32 exec_lo, exec_lo, s7
	s_add_i32 s7, s27, 7
	s_clause 0x1
	s_load_dwordx2 s[28:29], s[4:5], 0x38
	s_load_dword s17, s[4:5], 0x48
	s_ashr_i32 s11, s7, 31
	s_waitcnt lgkmcnt(0)
	s_lshl_b32 s15, s8, 6
	s_lshr_b32 s11, s11, 29
	s_xor_b32 s0, s0, s1
	s_add_i32 s7, s7, s11
	s_add_i32 s1, s15, 64
	s_ashr_i32 s12, s7, 3
	s_mul_i32 s7, s3, s2
	s_min_i32 s11, s1, s12
	s_sub_i32 s1, s16, s7
	s_add_i32 s7, s3, 1
	s_sub_i32 s16, s1, s2
	s_cmp_ge_u32 s1, s2
	v_lshrrev_b32_e32 v19, 5, v0
	s_cselect_b32 s3, s7, s3
	s_cselect_b32 s1, s16, s1
	s_add_i32 s7, s3, 1
	s_cmp_ge_u32 s1, s2
	v_or_b32_e32 v9, s15, v19
	s_cselect_b32 s1, s7, s3
	v_mbcnt_lo_u32_b32 v11, -1, 0
	s_xor_b32 s1, s1, s0
	s_mul_i32 s30, s17, s26
	s_sub_i32 s1, s1, s0
	v_cmp_gt_i32_e64 s0, s11, v9
	s_ashr_i32 s31, s30, 31
	s_mov_b32 s2, exec_lo
	s_barrier
	buffer_gl0_inv
                                        ; implicit-def: $vgpr2
                                        ; implicit-def: $vgpr12
	v_cmpx_le_i32_e64 s11, v9
	s_xor_b32 s2, exec_lo, s2
; %bb.6:
	v_mov_b32_e32 v2, 0
	v_mbcnt_lo_u32_b32 v11, -1, 0
	v_mov_b32_e32 v12, 32
                                        ; implicit-def: $vgpr1
; %bb.7:
	s_or_saveexec_b32 s38, s2
	s_clause 0x4
	s_load_dwordx4 s[20:23], s[4:5], 0x0
	s_load_dwordx2 s[24:25], s[4:5], 0x10
	s_load_dword s7, s[4:5], 0x98
	s_load_dwordx2 s[34:35], s[4:5], 0x28
	s_load_dwordx4 s[16:19], s[4:5], 0x68
	v_mov_b32_e32 v16, 0xff7fffff
	v_ashrrev_i32_e32 v10, 31, v9
	v_lshlrev_b32_e32 v14, 3, v19
	s_mul_i32 s14, s1, s14
	s_xor_b32 exec_lo, exec_lo, s38
	s_cbranch_execz .LBB340_77
; %bb.8:
	s_load_dwordx2 s[2:3], s[4:5], 0x20
	v_lshlrev_b32_e32 v2, 4, v1
	v_xor_b32_e32 v8, 2, v11
	v_bfe_u32 v7, v0, 2, 3
	v_xor_b32_e32 v12, 1, v11
	s_ashr_i32 s1, s14, 31
	ds_read_b128 v[3:6], v2
	v_cmp_gt_i32_e32 vcc_lo, 32, v8
	v_lshlrev_b32_e32 v13, 4, v7
	s_waitcnt lgkmcnt(0)
	s_load_dword s4, s[16:17], 0x0
	v_lshlrev_b32_e32 v16, 1, v1
	v_mov_b32_e32 v2, 0
	v_cndmask_b32_e32 v8, v11, v8, vcc_lo
	v_cmp_gt_i32_e32 vcc_lo, 32, v12
	v_mov_b32_e32 v28, 0x80
	v_mov_b32_e32 v29, 0xffff
	;; [unrolled: 1-line block ×3, first 2 shown]
	v_lshlrev_b32_e32 v24, 2, v8
	v_cndmask_b32_e32 v25, v11, v12, vcc_lo
	v_cmp_eq_u32_e32 vcc_lo, 0, v1
	s_add_u32 s2, s2, s14
	s_addc_u32 s1, s3, s1
	v_add_co_u32 v26, s2, s2, v13
	v_add_co_ci_u32_e64 v27, null, s1, 0, s2
	v_lshlrev_b32_e32 v1, 2, v7
	v_lshlrev_b32_e32 v13, 16, v3
	v_and_b32_e32 v15, 0xffff0000, v3
	v_lshlrev_b32_e32 v20, 16, v5
	v_and_b32_e32 v21, 0xffff0000, v5
	;; [unrolled: 2-line block ×3, first 2 shown]
	v_add_co_u32 v3, s2, v26, v16
	v_lshlrev_b64 v[5:6], 2, v[9:10]
	v_lshlrev_b32_e32 v17, 16, v4
	v_and_b32_e32 v18, 0xffff0000, v4
	v_add_co_ci_u32_e64 v4, null, 0, v27, s2
	s_lshl_b64 s[2:3], s[30:31], 2
	v_lshl_or_b32 v1, v19, 5, v1
	s_sub_i32 s5, 1, s27
	s_add_u32 s2, s28, s2
	s_addc_u32 s3, s29, s3
	v_add_co_u32 v5, s2, s2, v5
	v_mov_b32_e32 v12, 32
	v_lshlrev_b32_e32 v25, 2, v25
	v_cmp_neq_f32_e64 s1, s36, 0
	v_add3_u32 v26, s33, v14, v7
	v_add_nc_u32_e32 v27, 0x60, v1
	v_add_co_ci_u32_e64 v6, null, s3, v6, s2
	v_mov_b32_e32 v16, 0xff7fffff
	s_mov_b32 s17, s13
	s_mov_b32 s16, 0
	s_branch .LBB340_10
.LBB340_9:                              ;   in Loop: Header=BB340_10 Depth=1
	s_or_b32 exec_lo, exec_lo, s3
	v_add_nc_u32_e32 v30, 4, v30
	v_add_co_u32 v5, s3, v5, 16
	v_add_nc_u32_e32 v26, 32, v26
	v_add_nc_u32_e32 v27, 0x80, v27
	v_cmp_le_i32_e64 s2, s11, v30
	v_add_co_ci_u32_e64 v6, null, 0, v6, s3
	s_or_b32 s16, s2, s16
	s_andn2_b32 exec_lo, exec_lo, s16
	s_cbranch_execz .LBB340_76
.LBB340_10:                             ; =>This Inner Loop Header: Depth=1
	global_load_dword v1, v[5:6], off
	v_mov_b32_e32 v31, 0
	s_waitcnt vmcnt(0) lgkmcnt(0)
	v_mad_i64_i32 v[7:8], null, v1, s17, v[3:4]
	global_load_ushort v1, v[7:8], off
	s_waitcnt vmcnt(0)
	v_and_b32_e32 v33, 0xffff, v1
	v_cmp_ne_u16_sdwa s2, v1, v2 src0_sel:BYTE_0 src1_sel:DWORD
	s_and_saveexec_b32 s3, s2
	s_cbranch_execz .LBB340_18
; %bb.11:                               ;   in Loop: Header=BB340_10 Depth=1
	v_cmp_ne_u16_sdwa s2, v33, v28 src0_sel:BYTE_0 src1_sel:DWORD
	v_bfrev_b32_e32 v31, 1
	s_and_saveexec_b32 s39, s2
	s_cbranch_execz .LBB340_17
; %bb.12:                               ;   in Loop: Header=BB340_10 Depth=1
	v_and_b32_e32 v32, 0x7f, v33
	v_mov_b32_e32 v31, 0x7f800001
	s_mov_b32 s40, exec_lo
	v_cmpx_ne_u32_e32 0x7f, v32
	s_cbranch_execz .LBB340_16
; %bb.13:                               ;   in Loop: Header=BB340_10 Depth=1
	v_and_b32_e32 v1, 7, v33
	v_lshrrev_b32_e32 v31, 3, v32
	s_mov_b32 s41, exec_lo
	v_cmpx_gt_u32_e32 8, v32
; %bb.14:                               ;   in Loop: Header=BB340_10 Depth=1
	v_ffbh_u32_e32 v31, v1
	v_min_u32_e32 v31, 32, v31
	v_subrev_nc_u32_e32 v32, 28, v31
	v_sub_nc_u32_e32 v31, 29, v31
	v_lshlrev_b64 v[34:35], v32, v[1:2]
	v_and_b32_e32 v1, 7, v34
; %bb.15:                               ;   in Loop: Header=BB340_10 Depth=1
	s_or_b32 exec_lo, exec_lo, s41
	v_lshlrev_b32_e32 v32, 24, v33
	v_lshlrev_b32_e32 v1, 20, v1
	v_lshl_add_u32 v31, v31, 23, 0x3c000000
	v_and_b32_e32 v32, 0x80000000, v32
	v_or3_b32 v31, v1, v32, v31
.LBB340_16:                             ;   in Loop: Header=BB340_10 Depth=1
	s_or_b32 exec_lo, exec_lo, s40
.LBB340_17:                             ;   in Loop: Header=BB340_10 Depth=1
	s_or_b32 exec_lo, exec_lo, s39
.LBB340_18:                             ;   in Loop: Header=BB340_10 Depth=1
	s_or_b32 exec_lo, exec_lo, s3
	v_cmp_ne_u16_sdwa s2, v33, v2 src0_sel:BYTE_1 src1_sel:DWORD
	v_mov_b32_e32 v32, 0
	s_and_saveexec_b32 s3, s2
	s_cbranch_execz .LBB340_26
; %bb.19:                               ;   in Loop: Header=BB340_10 Depth=1
	v_cmp_ne_u16_sdwa s2, v33, v28 src0_sel:BYTE_1 src1_sel:DWORD
	v_bfrev_b32_e32 v32, 1
	s_and_saveexec_b32 s39, s2
	s_cbranch_execz .LBB340_25
; %bb.20:                               ;   in Loop: Header=BB340_10 Depth=1
	v_and_b32_sdwa v1, v29, v33 dst_sel:DWORD dst_unused:UNUSED_PAD src0_sel:DWORD src1_sel:BYTE_1
	v_mov_b32_e32 v32, 0x7f800001
	s_mov_b32 s40, exec_lo
	v_and_b32_e32 v34, 0x7f, v1
	v_cmpx_ne_u32_e32 0x7f, v34
	s_cbranch_execz .LBB340_24
; %bb.21:                               ;   in Loop: Header=BB340_10 Depth=1
	v_and_b32_e32 v1, 7, v1
	v_lshrrev_b32_e32 v32, 3, v34
	s_mov_b32 s41, exec_lo
	v_cmpx_gt_u32_e32 8, v34
; %bb.22:                               ;   in Loop: Header=BB340_10 Depth=1
	v_ffbh_u32_e32 v32, v1
	v_min_u32_e32 v32, 32, v32
	v_subrev_nc_u32_e32 v34, 28, v32
	v_sub_nc_u32_e32 v32, 29, v32
	v_lshlrev_b64 v[34:35], v34, v[1:2]
	v_and_b32_e32 v1, 7, v34
; %bb.23:                               ;   in Loop: Header=BB340_10 Depth=1
	s_or_b32 exec_lo, exec_lo, s41
	v_lshlrev_b32_e32 v33, 16, v33
	v_lshlrev_b32_e32 v1, 20, v1
	v_lshl_add_u32 v32, v32, 23, 0x3c000000
	v_and_b32_e32 v33, 0x80000000, v33
	v_or3_b32 v32, v1, v33, v32
.LBB340_24:                             ;   in Loop: Header=BB340_10 Depth=1
	s_or_b32 exec_lo, exec_lo, s40
.LBB340_25:                             ;   in Loop: Header=BB340_10 Depth=1
	s_or_b32 exec_lo, exec_lo, s39
.LBB340_26:                             ;   in Loop: Header=BB340_10 Depth=1
	s_or_b32 exec_lo, exec_lo, s3
	global_load_ushort v1, v[7:8], off offset:8
	v_mov_b32_e32 v34, 0
	v_mov_b32_e32 v33, 0
	s_waitcnt vmcnt(0)
	v_and_b32_e32 v35, 0xffff, v1
	v_cmp_ne_u16_sdwa s2, v1, v2 src0_sel:BYTE_0 src1_sel:DWORD
	s_and_saveexec_b32 s3, s2
	s_cbranch_execz .LBB340_34
; %bb.27:                               ;   in Loop: Header=BB340_10 Depth=1
	v_cmp_ne_u16_sdwa s2, v35, v28 src0_sel:BYTE_0 src1_sel:DWORD
	v_bfrev_b32_e32 v33, 1
	s_and_saveexec_b32 s39, s2
	s_cbranch_execz .LBB340_33
; %bb.28:                               ;   in Loop: Header=BB340_10 Depth=1
	v_and_b32_e32 v36, 0x7f, v35
	v_mov_b32_e32 v33, 0x7f800001
	s_mov_b32 s40, exec_lo
	v_cmpx_ne_u32_e32 0x7f, v36
	s_cbranch_execz .LBB340_32
; %bb.29:                               ;   in Loop: Header=BB340_10 Depth=1
	v_and_b32_e32 v1, 7, v35
	v_lshrrev_b32_e32 v33, 3, v36
	s_mov_b32 s41, exec_lo
	v_cmpx_gt_u32_e32 8, v36
; %bb.30:                               ;   in Loop: Header=BB340_10 Depth=1
	v_ffbh_u32_e32 v33, v1
	v_min_u32_e32 v33, 32, v33
	v_subrev_nc_u32_e32 v36, 28, v33
	v_sub_nc_u32_e32 v33, 29, v33
	v_lshlrev_b64 v[36:37], v36, v[1:2]
	v_and_b32_e32 v1, 7, v36
; %bb.31:                               ;   in Loop: Header=BB340_10 Depth=1
	s_or_b32 exec_lo, exec_lo, s41
	v_lshlrev_b32_e32 v36, 24, v35
	v_lshlrev_b32_e32 v1, 20, v1
	v_lshl_add_u32 v33, v33, 23, 0x3c000000
	v_and_b32_e32 v36, 0x80000000, v36
	v_or3_b32 v33, v1, v36, v33
.LBB340_32:                             ;   in Loop: Header=BB340_10 Depth=1
	s_or_b32 exec_lo, exec_lo, s40
.LBB340_33:                             ;   in Loop: Header=BB340_10 Depth=1
	s_or_b32 exec_lo, exec_lo, s39
.LBB340_34:                             ;   in Loop: Header=BB340_10 Depth=1
	s_or_b32 exec_lo, exec_lo, s3
	v_cmp_ne_u16_sdwa s2, v35, v2 src0_sel:BYTE_1 src1_sel:DWORD
	s_and_saveexec_b32 s3, s2
	s_cbranch_execz .LBB340_42
; %bb.35:                               ;   in Loop: Header=BB340_10 Depth=1
	v_cmp_ne_u16_sdwa s2, v35, v28 src0_sel:BYTE_1 src1_sel:DWORD
	v_bfrev_b32_e32 v34, 1
	s_and_saveexec_b32 s39, s2
	s_cbranch_execz .LBB340_41
; %bb.36:                               ;   in Loop: Header=BB340_10 Depth=1
	v_and_b32_sdwa v1, v29, v35 dst_sel:DWORD dst_unused:UNUSED_PAD src0_sel:DWORD src1_sel:BYTE_1
	v_mov_b32_e32 v34, 0x7f800001
	s_mov_b32 s40, exec_lo
	v_and_b32_e32 v36, 0x7f, v1
	v_cmpx_ne_u32_e32 0x7f, v36
	s_cbranch_execz .LBB340_40
; %bb.37:                               ;   in Loop: Header=BB340_10 Depth=1
	v_and_b32_e32 v1, 7, v1
	v_lshrrev_b32_e32 v34, 3, v36
	s_mov_b32 s41, exec_lo
	v_cmpx_gt_u32_e32 8, v36
; %bb.38:                               ;   in Loop: Header=BB340_10 Depth=1
	v_ffbh_u32_e32 v34, v1
	v_min_u32_e32 v34, 32, v34
	v_subrev_nc_u32_e32 v36, 28, v34
	v_sub_nc_u32_e32 v34, 29, v34
	v_lshlrev_b64 v[36:37], v36, v[1:2]
	v_and_b32_e32 v1, 7, v36
; %bb.39:                               ;   in Loop: Header=BB340_10 Depth=1
	s_or_b32 exec_lo, exec_lo, s41
	v_lshlrev_b32_e32 v35, 16, v35
	v_lshlrev_b32_e32 v1, 20, v1
	v_lshl_add_u32 v34, v34, 23, 0x3c000000
	v_and_b32_e32 v35, 0x80000000, v35
	v_or3_b32 v34, v1, v35, v34
.LBB340_40:                             ;   in Loop: Header=BB340_10 Depth=1
	s_or_b32 exec_lo, exec_lo, s40
.LBB340_41:                             ;   in Loop: Header=BB340_10 Depth=1
	s_or_b32 exec_lo, exec_lo, s39
.LBB340_42:                             ;   in Loop: Header=BB340_10 Depth=1
	s_or_b32 exec_lo, exec_lo, s3
	global_load_ushort v1, v[7:8], off offset:128
	v_mov_b32_e32 v36, 0
	v_mov_b32_e32 v35, 0
	s_waitcnt vmcnt(0)
	v_and_b32_e32 v37, 0xffff, v1
	v_cmp_ne_u16_sdwa s2, v1, v2 src0_sel:BYTE_0 src1_sel:DWORD
	s_and_saveexec_b32 s3, s2
	s_cbranch_execz .LBB340_50
; %bb.43:                               ;   in Loop: Header=BB340_10 Depth=1
	v_cmp_ne_u16_sdwa s2, v37, v28 src0_sel:BYTE_0 src1_sel:DWORD
	v_bfrev_b32_e32 v35, 1
	s_and_saveexec_b32 s39, s2
	s_cbranch_execz .LBB340_49
; %bb.44:                               ;   in Loop: Header=BB340_10 Depth=1
	v_and_b32_e32 v38, 0x7f, v37
	v_mov_b32_e32 v35, 0x7f800001
	s_mov_b32 s40, exec_lo
	v_cmpx_ne_u32_e32 0x7f, v38
	s_cbranch_execz .LBB340_48
; %bb.45:                               ;   in Loop: Header=BB340_10 Depth=1
	v_and_b32_e32 v1, 7, v37
	v_lshrrev_b32_e32 v35, 3, v38
	s_mov_b32 s41, exec_lo
	v_cmpx_gt_u32_e32 8, v38
; %bb.46:                               ;   in Loop: Header=BB340_10 Depth=1
	v_ffbh_u32_e32 v35, v1
	v_min_u32_e32 v35, 32, v35
	v_subrev_nc_u32_e32 v38, 28, v35
	v_sub_nc_u32_e32 v35, 29, v35
	v_lshlrev_b64 v[38:39], v38, v[1:2]
	v_and_b32_e32 v1, 7, v38
; %bb.47:                               ;   in Loop: Header=BB340_10 Depth=1
	s_or_b32 exec_lo, exec_lo, s41
	v_lshlrev_b32_e32 v38, 24, v37
	v_lshlrev_b32_e32 v1, 20, v1
	v_lshl_add_u32 v35, v35, 23, 0x3c000000
	v_and_b32_e32 v38, 0x80000000, v38
	v_or3_b32 v35, v1, v38, v35
.LBB340_48:                             ;   in Loop: Header=BB340_10 Depth=1
	s_or_b32 exec_lo, exec_lo, s40
.LBB340_49:                             ;   in Loop: Header=BB340_10 Depth=1
	s_or_b32 exec_lo, exec_lo, s39
.LBB340_50:                             ;   in Loop: Header=BB340_10 Depth=1
	s_or_b32 exec_lo, exec_lo, s3
	v_cmp_ne_u16_sdwa s2, v37, v2 src0_sel:BYTE_1 src1_sel:DWORD
	s_and_saveexec_b32 s3, s2
	s_cbranch_execz .LBB340_58
; %bb.51:                               ;   in Loop: Header=BB340_10 Depth=1
	v_cmp_ne_u16_sdwa s2, v37, v28 src0_sel:BYTE_1 src1_sel:DWORD
	v_bfrev_b32_e32 v36, 1
	s_and_saveexec_b32 s39, s2
	s_cbranch_execz .LBB340_57
; %bb.52:                               ;   in Loop: Header=BB340_10 Depth=1
	v_and_b32_sdwa v1, v29, v37 dst_sel:DWORD dst_unused:UNUSED_PAD src0_sel:DWORD src1_sel:BYTE_1
	v_mov_b32_e32 v36, 0x7f800001
	s_mov_b32 s40, exec_lo
	v_and_b32_e32 v38, 0x7f, v1
	v_cmpx_ne_u32_e32 0x7f, v38
	s_cbranch_execz .LBB340_56
; %bb.53:                               ;   in Loop: Header=BB340_10 Depth=1
	v_and_b32_e32 v1, 7, v1
	v_lshrrev_b32_e32 v36, 3, v38
	s_mov_b32 s41, exec_lo
	v_cmpx_gt_u32_e32 8, v38
; %bb.54:                               ;   in Loop: Header=BB340_10 Depth=1
	v_ffbh_u32_e32 v36, v1
	v_min_u32_e32 v36, 32, v36
	v_subrev_nc_u32_e32 v38, 28, v36
	v_sub_nc_u32_e32 v36, 29, v36
	v_lshlrev_b64 v[38:39], v38, v[1:2]
	v_and_b32_e32 v1, 7, v38
; %bb.55:                               ;   in Loop: Header=BB340_10 Depth=1
	s_or_b32 exec_lo, exec_lo, s41
	v_lshlrev_b32_e32 v37, 16, v37
	v_lshlrev_b32_e32 v1, 20, v1
	v_lshl_add_u32 v36, v36, 23, 0x3c000000
	v_and_b32_e32 v37, 0x80000000, v37
	v_or3_b32 v36, v1, v37, v36
.LBB340_56:                             ;   in Loop: Header=BB340_10 Depth=1
	s_or_b32 exec_lo, exec_lo, s40
.LBB340_57:                             ;   in Loop: Header=BB340_10 Depth=1
	s_or_b32 exec_lo, exec_lo, s39
.LBB340_58:                             ;   in Loop: Header=BB340_10 Depth=1
	s_or_b32 exec_lo, exec_lo, s3
	global_load_ushort v1, v[7:8], off offset:136
	v_mov_b32_e32 v7, 0
	v_mov_b32_e32 v37, 0
	s_waitcnt vmcnt(0)
	v_and_b32_e32 v8, 0xffff, v1
	v_cmp_ne_u16_sdwa s2, v1, v2 src0_sel:BYTE_0 src1_sel:DWORD
	s_and_saveexec_b32 s3, s2
	s_cbranch_execz .LBB340_66
; %bb.59:                               ;   in Loop: Header=BB340_10 Depth=1
	v_cmp_ne_u16_sdwa s2, v8, v28 src0_sel:BYTE_0 src1_sel:DWORD
	v_bfrev_b32_e32 v37, 1
	s_and_saveexec_b32 s39, s2
	s_cbranch_execz .LBB340_65
; %bb.60:                               ;   in Loop: Header=BB340_10 Depth=1
	v_and_b32_e32 v38, 0x7f, v8
	v_mov_b32_e32 v37, 0x7f800001
	s_mov_b32 s40, exec_lo
	v_cmpx_ne_u32_e32 0x7f, v38
	s_cbranch_execz .LBB340_64
; %bb.61:                               ;   in Loop: Header=BB340_10 Depth=1
	v_and_b32_e32 v1, 7, v8
	v_lshrrev_b32_e32 v37, 3, v38
	s_mov_b32 s41, exec_lo
	v_cmpx_gt_u32_e32 8, v38
; %bb.62:                               ;   in Loop: Header=BB340_10 Depth=1
	v_ffbh_u32_e32 v37, v1
	v_min_u32_e32 v37, 32, v37
	v_subrev_nc_u32_e32 v38, 28, v37
	v_sub_nc_u32_e32 v37, 29, v37
	v_lshlrev_b64 v[38:39], v38, v[1:2]
	v_and_b32_e32 v1, 7, v38
; %bb.63:                               ;   in Loop: Header=BB340_10 Depth=1
	s_or_b32 exec_lo, exec_lo, s41
	v_lshlrev_b32_e32 v38, 24, v8
	v_lshlrev_b32_e32 v1, 20, v1
	v_lshl_add_u32 v37, v37, 23, 0x3c000000
	v_and_b32_e32 v38, 0x80000000, v38
	v_or3_b32 v37, v1, v38, v37
.LBB340_64:                             ;   in Loop: Header=BB340_10 Depth=1
	s_or_b32 exec_lo, exec_lo, s40
.LBB340_65:                             ;   in Loop: Header=BB340_10 Depth=1
	s_or_b32 exec_lo, exec_lo, s39
.LBB340_66:                             ;   in Loop: Header=BB340_10 Depth=1
	s_or_b32 exec_lo, exec_lo, s3
	v_cmp_ne_u16_sdwa s2, v8, v2 src0_sel:BYTE_1 src1_sel:DWORD
	s_and_saveexec_b32 s3, s2
	s_cbranch_execz .LBB340_74
; %bb.67:                               ;   in Loop: Header=BB340_10 Depth=1
	v_cmp_ne_u16_sdwa s2, v8, v28 src0_sel:BYTE_1 src1_sel:DWORD
	v_bfrev_b32_e32 v7, 1
	s_and_saveexec_b32 s39, s2
	s_cbranch_execz .LBB340_73
; %bb.68:                               ;   in Loop: Header=BB340_10 Depth=1
	v_and_b32_sdwa v1, v29, v8 dst_sel:DWORD dst_unused:UNUSED_PAD src0_sel:DWORD src1_sel:BYTE_1
	v_mov_b32_e32 v7, 0x7f800001
	s_mov_b32 s40, exec_lo
	v_and_b32_e32 v38, 0x7f, v1
	v_cmpx_ne_u32_e32 0x7f, v38
	s_cbranch_execz .LBB340_72
; %bb.69:                               ;   in Loop: Header=BB340_10 Depth=1
	v_and_b32_e32 v1, 7, v1
	v_lshrrev_b32_e32 v7, 3, v38
	s_mov_b32 s41, exec_lo
	v_cmpx_gt_u32_e32 8, v38
; %bb.70:                               ;   in Loop: Header=BB340_10 Depth=1
	v_ffbh_u32_e32 v7, v1
	v_min_u32_e32 v7, 32, v7
	v_subrev_nc_u32_e32 v38, 28, v7
	v_sub_nc_u32_e32 v7, 29, v7
	v_lshlrev_b64 v[38:39], v38, v[1:2]
	v_and_b32_e32 v1, 7, v38
; %bb.71:                               ;   in Loop: Header=BB340_10 Depth=1
	s_or_b32 exec_lo, exec_lo, s41
	v_lshlrev_b32_e32 v8, 16, v8
	v_lshlrev_b32_e32 v1, 20, v1
	v_lshl_add_u32 v7, v7, 23, 0x3c000000
	v_and_b32_e32 v8, 0x80000000, v8
	v_or3_b32 v7, v1, v8, v7
.LBB340_72:                             ;   in Loop: Header=BB340_10 Depth=1
	s_or_b32 exec_lo, exec_lo, s40
.LBB340_73:                             ;   in Loop: Header=BB340_10 Depth=1
	s_or_b32 exec_lo, exec_lo, s39
.LBB340_74:                             ;   in Loop: Header=BB340_10 Depth=1
	s_or_b32 exec_lo, exec_lo, s3
	s_waitcnt lgkmcnt(0)
	v_mul_f32_e32 v1, s4, v37
	v_mul_f32_e32 v8, s4, v36
	;; [unrolled: 1-line block ×5, first 2 shown]
	v_bfe_u32 v36, v1, 16, 1
	v_bfe_u32 v37, v8, 16, 1
	v_or_b32_e32 v38, 0x400000, v1
	v_cmp_u_f32_e64 s2, v1, v1
	v_or_b32_e32 v39, 0x400000, v8
	v_add3_u32 v36, v36, v1, 0x7fff
	v_bfe_u32 v40, v35, 16, 1
	v_add3_u32 v37, v37, v8, 0x7fff
	v_bfe_u32 v41, v34, 16, 1
	v_mul_f32_e32 v31, s4, v31
	v_cndmask_b32_e64 v1, v36, v38, s2
	v_cmp_u_f32_e64 s2, v8, v8
	v_add3_u32 v36, v40, v35, 0x7fff
	v_add3_u32 v38, v41, v34, 0x7fff
	v_bfe_u32 v40, v33, 16, 1
	v_mul_f32_e32 v32, s4, v32
	v_cndmask_b32_e64 v8, v37, v39, s2
	v_or_b32_e32 v39, 0x400000, v34
	v_cmp_u_f32_e64 s2, v34, v34
	v_bfe_u32 v41, v31, 16, 1
	v_or_b32_e32 v42, 0x400000, v31
	v_mul_f32_e32 v7, s4, v7
	v_or_b32_e32 v37, 0x400000, v35
	v_cndmask_b32_e64 v34, v38, v39, s2
	v_add3_u32 v38, v40, v33, 0x7fff
	v_or_b32_e32 v39, 0x400000, v33
	v_cmp_u_f32_e64 s2, v33, v33
	v_bfe_u32 v40, v32, 16, 1
	v_add3_u32 v41, v41, v31, 0x7fff
	v_and_b32_e32 v34, 0xffff0000, v34
	v_and_b32_e32 v8, 0xffff0000, v8
	v_cndmask_b32_e64 v33, v38, v39, s2
	v_cmp_u_f32_e64 s2, v31, v31
	v_add3_u32 v38, v40, v32, 0x7fff
	v_or_b32_e32 v39, 0x400000, v32
	v_mul_f32_e32 v34, v18, v34
	v_and_b32_e32 v33, 0xffff0000, v33
	v_cndmask_b32_e64 v31, v41, v42, s2
	v_cmp_u_f32_e64 s2, v32, v32
	v_and_b32_e32 v1, 0xffff0000, v1
	v_mul_f32_e32 v33, v17, v33
	v_and_b32_e32 v31, 0xffff0000, v31
	v_cndmask_b32_e64 v32, v38, v39, s2
	v_bfe_u32 v38, v7, 16, 1
	v_cmp_u_f32_e64 s2, v35, v35
	v_fmac_f32_e32 v33, v13, v31
	v_and_b32_e32 v32, 0xffff0000, v32
	v_cndmask_b32_e64 v35, v36, v37, s2
	v_add3_u32 v36, v38, v7, 0x7fff
	v_or_b32_e32 v37, 0x400000, v7
	v_cmp_u_f32_e64 s2, v7, v7
	v_fmac_f32_e32 v34, v15, v32
	v_and_b32_e32 v31, 0xffff0000, v35
	v_cndmask_b32_e64 v7, v36, v37, s2
	v_fmac_f32_e32 v34, v21, v8
	v_fmac_f32_e32 v33, v20, v31
	v_and_b32_e32 v7, 0xffff0000, v7
	v_fmac_f32_e32 v33, v22, v1
	v_fmac_f32_e32 v34, v23, v7
	v_add_f32_e32 v1, v33, v34
	ds_bpermute_b32 v7, v24, v1
	s_waitcnt lgkmcnt(0)
	v_add_f32_e32 v1, v1, v7
	ds_bpermute_b32 v7, v25, v1
	s_and_saveexec_b32 s3, vcc_lo
	s_cbranch_execz .LBB340_9
; %bb.75:                               ;   in Loop: Header=BB340_10 Depth=1
	v_add_nc_u32_e32 v8, s5, v26
	s_waitcnt lgkmcnt(0)
	v_add_f32_e32 v1, v1, v7
	v_cmp_gt_i32_e64 s2, s27, v26
	v_cvt_f32_i32_e32 v8, v8
	v_mul_f32_e32 v8, s36, v8
	v_cndmask_b32_e64 v7, 0, v8, s1
	v_max_f32_e32 v8, v16, v16
	v_fmac_f32_e32 v7, s37, v1
	v_max_f32_e32 v1, v8, v7
	v_cndmask_b32_e64 v7, 0, v7, s2
	v_cndmask_b32_e64 v16, v16, v1, s2
	ds_write_b32 v27, v7
	s_branch .LBB340_9
.LBB340_76:
	s_or_b32 exec_lo, exec_lo, s16
.LBB340_77:
	s_or_b32 exec_lo, exec_lo, s38
	v_xor_b32_e32 v1, 16, v11
	v_xor_b32_e32 v4, 8, v11
	v_max_f32_e32 v5, v16, v16
	v_xor_b32_e32 v6, 4, v11
	v_and_b32_e32 v20, 31, v0
	v_cmp_lt_i32_e32 vcc_lo, v1, v12
	v_cndmask_b32_e32 v1, v11, v1, vcc_lo
	v_cmp_lt_i32_e32 vcc_lo, v4, v12
	v_lshlrev_b32_e32 v3, 2, v1
	v_cndmask_b32_e32 v4, v11, v4, vcc_lo
	v_cmp_lt_i32_e32 vcc_lo, v6, v12
	ds_bpermute_b32 v1, v3, v16
	v_lshlrev_b32_e32 v4, 2, v4
	v_cndmask_b32_e32 v6, v11, v6, vcc_lo
	v_cmp_eq_u32_e32 vcc_lo, 0, v20
	s_waitcnt lgkmcnt(0)
	v_lshlrev_b32_e32 v7, 2, v6
	v_max_f32_e32 v1, v1, v1
	v_max_f32_e32 v1, v5, v1
	ds_bpermute_b32 v5, v4, v1
	s_waitcnt lgkmcnt(0)
	v_max_f32_e32 v5, v5, v5
	v_max_f32_e32 v1, v1, v5
	v_lshlrev_b32_e32 v5, 2, v19
	ds_bpermute_b32 v6, v7, v1
	s_and_saveexec_b32 s1, vcc_lo
	s_cbranch_execz .LBB340_79
; %bb.78:
	s_waitcnt lgkmcnt(0)
	v_max_f32_e32 v6, v6, v6
	v_max_f32_e32 v1, v1, v1
	;; [unrolled: 1-line block ×3, first 2 shown]
	ds_write_b32 v5, v1 offset:64
.LBB340_79:
	s_or_b32 exec_lo, exec_lo, s1
	v_cmp_gt_u32_e64 s1, 4, v20
	v_mov_b32_e32 v1, 0xff7fffff
	s_waitcnt lgkmcnt(0)
	v_lshlrev_b32_e32 v6, 2, v20
	s_barrier
	buffer_gl0_inv
	s_and_saveexec_b32 s2, s1
; %bb.80:
	ds_read_b32 v1, v6 offset:64
; %bb.81:
	s_or_b32 exec_lo, exec_lo, s2
	v_xor_b32_e32 v8, 2, v11
	v_xor_b32_e32 v15, 1, v11
	v_lshlrev_b32_e32 v2, 2, v2
	v_cmp_lt_i32_e64 s2, v8, v12
	v_cndmask_b32_e64 v8, v11, v8, s2
	v_cmp_lt_i32_e64 s2, v15, v12
	v_lshlrev_b32_e32 v8, 2, v8
	v_cndmask_b32_e64 v12, v11, v15, s2
	s_sub_i32 s2, s11, s15
	s_lshl_b32 s2, s2, 3
	s_waitcnt lgkmcnt(0)
	ds_bpermute_b32 v13, v8, v1
	v_max_f32_e32 v1, v1, v1
	v_lshlrev_b32_e32 v12, 2, v12
	s_add_i32 s2, s2, s33
	s_min_i32 s2, s2, s27
	s_sub_i32 s4, s2, s33
	v_cmp_gt_i32_e64 s2, s4, v0
	s_waitcnt lgkmcnt(0)
	v_max_f32_e32 v13, v13, v13
	v_max_f32_e32 v1, v1, v13
	ds_bpermute_b32 v13, v12, v1
	s_waitcnt lgkmcnt(0)
	v_max_f32_e32 v13, v13, v13
	v_max_f32_e32 v1, v1, v13
	v_mov_b32_e32 v13, 0
	ds_bpermute_b32 v1, v2, v1
	v_lshl_add_u32 v2, v0, 2, 0x60
	s_and_saveexec_b32 s5, s2
	s_cbranch_execz .LBB340_85
; %bb.82:
	v_lshl_add_u32 v15, v0, 2, 0x60
	v_mov_b32_e32 v13, 0
	v_mov_b32_e32 v16, v0
	s_mov_b32 s15, 0
	.p2align	6
.LBB340_83:                             ; =>This Inner Loop Header: Depth=1
	ds_read_b32 v17, v15
	v_add_nc_u32_e32 v16, 0x80, v16
	v_cmp_le_i32_e64 s3, s4, v16
	s_or_b32 s15, s3, s15
	s_waitcnt lgkmcnt(0)
	v_sub_f32_e32 v17, v17, v1
	v_mul_f32_e32 v17, 0x3fb8aa3b, v17
	v_exp_f32_e32 v17, v17
	ds_write_b32 v15, v17
	v_add_f32_e32 v13, v13, v17
	v_add_nc_u32_e32 v15, 0x200, v15
	s_andn2_b32 exec_lo, exec_lo, s15
	s_cbranch_execnz .LBB340_83
; %bb.84:
	s_or_b32 exec_lo, exec_lo, s15
.LBB340_85:
	s_or_b32 exec_lo, exec_lo, s5
	ds_bpermute_b32 v3, v3, v13
	s_waitcnt lgkmcnt(0)
	v_add_f32_e32 v3, v13, v3
	ds_bpermute_b32 v4, v4, v3
	s_waitcnt lgkmcnt(0)
	v_add_f32_e32 v3, v3, v4
	;; [unrolled: 3-line block ×5, first 2 shown]
	s_and_saveexec_b32 s3, vcc_lo
; %bb.86:
	ds_write_b32 v5, v3 offset:80
; %bb.87:
	s_or_b32 exec_lo, exec_lo, s3
	s_waitcnt lgkmcnt(0)
	s_barrier
	buffer_gl0_inv
	s_and_saveexec_b32 s3, s1
; %bb.88:
	ds_read_b32 v3, v6 offset:80
; %bb.89:
	s_or_b32 exec_lo, exec_lo, s3
	s_waitcnt lgkmcnt(0)
	ds_bpermute_b32 v4, v8, v3
	v_lshlrev_b32_e32 v5, 2, v11
	s_waitcnt lgkmcnt(0)
	v_add_f32_e32 v3, v3, v4
	ds_bpermute_b32 v4, v12, v3
	s_waitcnt lgkmcnt(0)
	v_add_f32_e32 v3, v3, v4
	v_and_b32_e32 v4, 0xffffff80, v5
	ds_bpermute_b32 v3, v4, v3
	s_and_saveexec_b32 s1, s2
	s_cbranch_execz .LBB340_92
; %bb.90:
	s_waitcnt lgkmcnt(0)
	v_add_f32_e32 v4, 0x358637bd, v3
	s_mov_b32 s2, 0
	v_div_scale_f32 v5, null, v4, v4, 1.0
	v_div_scale_f32 v8, vcc_lo, 1.0, v4, 1.0
	v_rcp_f32_e32 v6, v5
	v_fma_f32 v7, -v5, v6, 1.0
	v_fmac_f32_e32 v6, v7, v6
	v_mul_f32_e32 v7, v8, v6
	v_fma_f32 v11, -v5, v7, v8
	v_fmac_f32_e32 v7, v11, v6
	v_fma_f32 v5, -v5, v7, v8
	v_div_fmas_f32 v5, v5, v6, v7
	v_div_fixup_f32 v4, v5, v4, 1.0
	v_mov_b32_e32 v5, v0
.LBB340_91:                             ; =>This Inner Loop Header: Depth=1
	ds_read_b32 v6, v2
	v_add_nc_u32_e32 v5, 0x80, v5
	v_cmp_le_i32_e32 vcc_lo, s4, v5
	s_or_b32 s2, vcc_lo, s2
	s_waitcnt lgkmcnt(0)
	v_mul_f32_e32 v6, v4, v6
	ds_write_b32 v2, v6
	v_add_nc_u32_e32 v2, 0x200, v2
	s_andn2_b32 exec_lo, exec_lo, s2
	s_cbranch_execnz .LBB340_91
.LBB340_92:
	s_or_b32 exec_lo, exec_lo, s1
	s_mul_i32 s1, s7, s26
	s_waitcnt lgkmcnt(0)
	s_mul_i32 s2, s1, s9
	s_mov_b32 s1, exec_lo
	s_barrier
	buffer_gl0_inv
	v_cmpx_eq_u32_e32 0, v0
	s_cbranch_execz .LBB340_94
; %bb.93:
	s_ashr_i32 s3, s2, 31
	s_mul_i32 s16, s7, s6
	s_lshl_b64 s[4:5], s[2:3], 2
	v_mov_b32_e32 v2, 0
	s_add_u32 s3, s22, s4
	s_addc_u32 s6, s23, s5
	s_ashr_i32 s17, s16, 31
	s_lshl_b64 s[16:17], s[16:17], 2
	s_add_u32 s3, s3, s16
	s_addc_u32 s6, s6, s17
	s_ashr_i32 s9, s8, 31
	s_lshl_b64 s[22:23], s[8:9], 2
	s_add_u32 s36, s3, s22
	s_addc_u32 s37, s6, s23
	s_add_u32 s3, s20, s4
	s_addc_u32 s4, s21, s5
	;; [unrolled: 2-line block ×4, first 2 shown]
	global_store_dword v2, v1, s[36:37]
	global_store_dword v2, v3, s[4:5]
.LBB340_94:
	s_or_b32 exec_lo, exec_lo, s1
	v_mov_b32_e32 v21, 0
	s_and_saveexec_b32 s3, s0
	s_cbranch_execz .LBB340_164
; %bb.95:
	s_load_dword s9, s[18:19], 0x0
	v_lshlrev_b32_e32 v1, 3, v20
	s_ashr_i32 s0, s14, 31
	s_add_u32 s1, s34, s14
	s_addc_u32 s0, s35, s0
	s_add_i32 s12, s12, -1
	v_add_co_u32 v12, s1, s1, v1
	v_lshlrev_b64 v[1:2], 2, v[9:10]
	v_add_co_ci_u32_e64 v13, null, s0, 0, s1
	s_lshl_b64 s[0:1], s[30:31], 2
	v_add3_u32 v22, s33, v14, 7
	s_add_u32 s0, s28, s0
	s_addc_u32 s1, s29, s1
	v_add_co_u32 v14, vcc_lo, s0, v1
	v_mov_b32_e32 v11, 0
	v_lshl_add_u32 v23, v19, 5, 0x60
	v_add_co_ci_u32_e64 v15, null, s1, v2, vcc_lo
	v_mov_b32_e32 v24, 0x7f
	v_mov_b32_e32 v25, 0x80
	;; [unrolled: 1-line block ×4, first 2 shown]
	v_bfrev_b32_e32 v28, 1
	v_mov_b32_e32 v21, 0
	s_mov_b32 s4, 0
	s_mov_b32 s6, s13
	;; [unrolled: 1-line block ×4, first 2 shown]
	s_branch .LBB340_97
.LBB340_96:                             ;   in Loop: Header=BB340_97 Depth=1
	s_or_b32 exec_lo, exec_lo, s0
	v_bfe_u32 v33, v5, 16, 1
	v_or_b32_e32 v34, 0x400000, v5
	v_bfe_u32 v35, v6, 16, 1
	v_cmp_u_f32_e32 vcc_lo, v5, v5
	v_bfe_u32 v36, v7, 16, 1
	v_add3_u32 v33, v33, v5, 0x7fff
	v_or_b32_e32 v37, 0x400000, v6
	v_add3_u32 v35, v35, v6, 0x7fff
	v_or_b32_e32 v38, 0x400000, v7
	v_add3_u32 v36, v36, v7, 0x7fff
	v_cndmask_b32_e32 v5, v33, v34, vcc_lo
	v_cmp_u_f32_e32 vcc_lo, v6, v6
	v_bfe_u32 v33, v8, 16, 1
	v_bfe_u32 v34, v1, 16, 1
	v_lshlrev_b32_e32 v32, 16, v32
	v_and_b32_e32 v5, 0xffff0000, v5
	v_cndmask_b32_e32 v6, v35, v37, vcc_lo
	v_cmp_u_f32_e32 vcc_lo, v7, v7
	v_add3_u32 v33, v33, v8, 0x7fff
	v_or_b32_e32 v35, 0x400000, v8
	v_add3_u32 v34, v34, v1, 0x7fff
	v_bfe_u32 v37, v2, 16, 1
	v_cndmask_b32_e32 v7, v36, v38, vcc_lo
	v_cmp_u_f32_e32 vcc_lo, v8, v8
	v_or_b32_e32 v36, 0x400000, v1
	v_mul_f32_e32 v5, v5, v32
	v_and_b32_e32 v6, 0xffff0000, v6
	v_lshlrev_b32_e32 v31, 16, v31
	v_cndmask_b32_e32 v8, v33, v35, vcc_lo
	v_cmp_u_f32_e32 vcc_lo, v1, v1
	v_add3_u32 v33, v37, v2, 0x7fff
	v_bfe_u32 v35, v3, 16, 1
	v_mul_f32_e32 v6, v6, v31
	v_and_b32_e32 v7, 0xffff0000, v7
	v_cndmask_b32_e32 v1, v34, v36, vcc_lo
	v_or_b32_e32 v34, 0x400000, v2
	v_cmp_u_f32_e32 vcc_lo, v2, v2
	v_lshlrev_b32_e32 v30, 16, v30
	v_and_b32_e32 v8, 0xffff0000, v8
	v_lshlrev_b32_e32 v17, 16, v17
	v_and_b32_e32 v1, 0xffff0000, v1
	v_cndmask_b32_e32 v2, v33, v34, vcc_lo
	v_add3_u32 v33, v35, v3, 0x7fff
	v_or_b32_e32 v34, 0x400000, v3
	v_bfe_u32 v35, v4, 16, 1
	v_cmp_u_f32_e32 vcc_lo, v3, v3
	v_mul_f32_e32 v7, v7, v30
	v_mul_f32_e32 v8, v8, v17
	v_lshlrev_b32_e32 v16, 16, v16
	v_add3_u32 v32, v35, v4, 0x7fff
	v_cndmask_b32_e32 v3, v33, v34, vcc_lo
	v_or_b32_e32 v33, 0x400000, v4
	v_bfe_u32 v34, v5, 16, 1
	v_cmp_u_f32_e32 vcc_lo, v4, v4
	v_mul_f32_e32 v1, v1, v16
	v_and_b32_e32 v2, 0xffff0000, v2
	v_lshlrev_b32_e32 v10, 16, v10
	v_add3_u32 v31, v34, v5, 0x7fff
	v_cndmask_b32_e32 v4, v32, v33, vcc_lo
	v_or_b32_e32 v32, 0x400000, v5
	v_bfe_u32 v33, v6, 16, 1
	v_cmp_u_f32_e32 vcc_lo, v5, v5
	v_mul_f32_e32 v2, v2, v10
	v_and_b32_e32 v3, 0xffff0000, v3
	v_lshlrev_b32_e32 v10, 16, v29
	v_add3_u32 v30, v33, v6, 0x7fff
	v_cndmask_b32_e32 v5, v31, v32, vcc_lo
	v_or_b32_e32 v31, 0x400000, v6
	v_bfe_u32 v32, v7, 16, 1
	v_cmp_u_f32_e32 vcc_lo, v6, v6
	v_and_b32_e32 v4, 0xffff0000, v4
	v_lshlrev_b32_e32 v18, 16, v18
	v_mul_f32_e32 v3, v3, v10
	v_add3_u32 v17, v32, v7, 0x7fff
	v_cndmask_b32_e32 v6, v30, v31, vcc_lo
	v_or_b32_e32 v30, 0x400000, v7
	v_bfe_u32 v31, v8, 16, 1
	v_cmp_u_f32_e32 vcc_lo, v7, v7
	v_mul_f32_e32 v4, v4, v18
	v_or_b32_e32 v10, 0x400000, v1
	v_or_b32_e32 v18, 0x400000, v2
	v_add3_u32 v16, v31, v8, 0x7fff
	v_cndmask_b32_e32 v7, v17, v30, vcc_lo
	v_or_b32_e32 v17, 0x400000, v8
	v_bfe_u32 v30, v1, 16, 1
	v_cmp_u_f32_e32 vcc_lo, v8, v8
	v_bfe_u32 v29, v3, 16, 1
	v_and_b32_e32 v6, 0xffff0000, v6
	v_and_b32_e32 v5, 0xffff0000, v5
	;; [unrolled: 1-line block ×3, first 2 shown]
	v_cndmask_b32_e32 v8, v16, v17, vcc_lo
	v_bfe_u32 v16, v2, 16, 1
	v_add3_u32 v17, v30, v1, 0x7fff
	v_cmp_u_f32_e32 vcc_lo, v1, v1
	v_bfe_u32 v30, v4, 16, 1
	v_and_b32_e32 v8, 0xffff0000, v8
	v_add3_u32 v16, v16, v2, 0x7fff
	v_add_f32_e32 v5, v5, v6
	v_cndmask_b32_e32 v1, v17, v10, vcc_lo
	v_cmp_u_f32_e32 vcc_lo, v2, v2
	v_or_b32_e32 v17, 0x400000, v4
	v_add3_u32 v10, v29, v3, 0x7fff
	v_add_f32_e32 v6, v7, v8
	v_and_b32_e32 v1, 0xffff0000, v1
	v_cndmask_b32_e32 v2, v16, v18, vcc_lo
	v_add3_u32 v16, v30, v4, 0x7fff
	v_cmp_u_f32_e32 vcc_lo, v4, v4
	v_or_b32_e32 v18, 0x400000, v3
	v_add_f32_e32 v5, v6, v5
	v_and_b32_e32 v2, 0xffff0000, v2
	v_add_nc_u32_e32 v9, 4, v9
	v_cndmask_b32_e32 v4, v16, v17, vcc_lo
	v_cmp_u_f32_e32 vcc_lo, v3, v3
	v_add_co_u32 v14, s0, v14, 16
	v_add_f32_e32 v1, v1, v2
	v_and_b32_e32 v2, 0xffff0000, v4
	v_cndmask_b32_e32 v3, v10, v18, vcc_lo
	v_cmp_le_i32_e32 vcc_lo, s11, v9
	v_add_nc_u32_e32 v22, 32, v22
	v_add_f32_e32 v1, v1, v5
	v_add_nc_u32_e32 v23, 0x80, v23
	v_and_b32_e32 v3, 0xffff0000, v3
	v_add_co_ci_u32_e64 v15, null, 0, v15, s0
	s_or_b32 s13, vcc_lo, s13
	v_add_f32_e32 v2, v3, v2
	v_add_f32_e32 v1, v2, v1
	v_add_f32_e32 v21, v21, v1
	s_andn2_b32 exec_lo, exec_lo, s13
	s_cbranch_execz .LBB340_163
.LBB340_97:                             ; =>This Inner Loop Header: Depth=1
	global_load_dword v1, v[14:15], off
	s_mov_b32 s1, 0
	s_waitcnt vmcnt(0)
	v_mad_i64_i32 v[1:2], null, v1, s6, v[12:13]
	global_load_dwordx2 v[16:17], v[1:2], off
	ds_read2_b64 v[5:8], v23 offset1:1
	ds_read2_b64 v[1:4], v23 offset0:2 offset1:3
	s_waitcnt vmcnt(0)
	v_cmp_gt_i16_sdwa s0, v16, v24 src0_sel:BYTE_0 src1_sel:DWORD
	s_and_saveexec_b32 s14, s0
	s_xor_b32 s0, exec_lo, s14
	s_cbranch_execnz .LBB340_100
; %bb.98:                               ;   in Loop: Header=BB340_97 Depth=1
	s_or_saveexec_b32 s0, s0
	v_bfrev_b32_e32 v29, 1
	s_xor_b32 exec_lo, exec_lo, s0
	s_cbranch_execnz .LBB340_103
.LBB340_99:                             ;   in Loop: Header=BB340_97 Depth=1
	s_or_b32 exec_lo, exec_lo, s0
	s_and_saveexec_b32 s0, s1
	s_cbranch_execnz .LBB340_104
	s_branch .LBB340_107
.LBB340_100:                            ;   in Loop: Header=BB340_97 Depth=1
	v_cmp_eq_u16_sdwa s15, v16, v25 src0_sel:BYTE_0 src1_sel:DWORD
	s_mov_b32 s1, -1
	s_and_saveexec_b32 s14, s15
; %bb.101:                              ;   in Loop: Header=BB340_97 Depth=1
	s_xor_b32 s1, exec_lo, -1
; %bb.102:                              ;   in Loop: Header=BB340_97 Depth=1
	s_or_b32 exec_lo, exec_lo, s14
	s_and_b32 s1, s1, exec_lo
	s_or_saveexec_b32 s0, s0
	v_bfrev_b32_e32 v29, 1
	s_xor_b32 exec_lo, exec_lo, s0
	s_cbranch_execz .LBB340_99
.LBB340_103:                            ;   in Loop: Header=BB340_97 Depth=1
	v_cmp_ne_u16_sdwa s14, v16, v11 src0_sel:BYTE_0 src1_sel:DWORD
	v_mov_b32_e32 v29, 0
	s_andn2_b32 s1, s1, exec_lo
	s_and_b32 s14, s14, exec_lo
	s_or_b32 s1, s1, s14
	s_or_b32 exec_lo, exec_lo, s0
	s_and_saveexec_b32 s0, s1
	s_cbranch_execz .LBB340_107
.LBB340_104:                            ;   in Loop: Header=BB340_97 Depth=1
	v_and_b32_e32 v10, 0x7f, v16
	v_mov_b32_e32 v29, 0x7f800001
	s_mov_b32 s1, exec_lo
	v_cmpx_ne_u32_e32 0x7f, v10
	s_cbranch_execz .LBB340_106
; %bb.105:                              ;   in Loop: Header=BB340_97 Depth=1
	v_and_b32_e32 v18, 7, v16
	v_lshrrev_b32_e32 v29, 3, v10
	v_cmp_gt_u32_e32 vcc_lo, 8, v10
	v_ffbh_u32_e32 v18, v18
	v_min_u32_e32 v18, 32, v18
	v_subrev_nc_u32_e32 v30, 28, v18
	v_sub_nc_u32_e32 v18, 29, v18
	v_cndmask_b32_e32 v10, v29, v18, vcc_lo
	v_cndmask_b32_e32 v18, 0, v30, vcc_lo
	v_lshl_add_u32 v10, v10, 23, 0x3c000000
	v_lshlrev_b64 v[29:30], v18, v[16:17]
	v_lshlrev_b32_e32 v18, 24, v16
	v_and_b32_e32 v18, 0x80000000, v18
	v_lshlrev_b32_e32 v29, 20, v29
	v_and_b32_e32 v29, 0x700000, v29
	v_or3_b32 v29, v29, v18, v10
.LBB340_106:                            ;   in Loop: Header=BB340_97 Depth=1
	s_or_b32 exec_lo, exec_lo, s1
.LBB340_107:                            ;   in Loop: Header=BB340_97 Depth=1
	s_or_b32 exec_lo, exec_lo, s0
	v_cmp_gt_i16_sdwa s0, v16, v24 src0_sel:BYTE_1 src1_sel:DWORD
	s_mov_b32 s1, 0
	s_and_saveexec_b32 s14, s0
	s_xor_b32 s0, exec_lo, s14
	s_cbranch_execnz .LBB340_110
; %bb.108:                              ;   in Loop: Header=BB340_97 Depth=1
	s_or_saveexec_b32 s0, s0
	v_bfrev_b32_e32 v30, 1
	s_xor_b32 exec_lo, exec_lo, s0
	s_cbranch_execnz .LBB340_113
.LBB340_109:                            ;   in Loop: Header=BB340_97 Depth=1
	s_or_b32 exec_lo, exec_lo, s0
	s_and_saveexec_b32 s0, s1
	s_cbranch_execnz .LBB340_114
	s_branch .LBB340_117
.LBB340_110:                            ;   in Loop: Header=BB340_97 Depth=1
	v_cmp_eq_u16_sdwa s15, v16, v25 src0_sel:BYTE_1 src1_sel:DWORD
	s_mov_b32 s1, -1
	s_and_saveexec_b32 s14, s15
; %bb.111:                              ;   in Loop: Header=BB340_97 Depth=1
	s_xor_b32 s1, exec_lo, -1
; %bb.112:                              ;   in Loop: Header=BB340_97 Depth=1
	s_or_b32 exec_lo, exec_lo, s14
	s_and_b32 s1, s1, exec_lo
	s_or_saveexec_b32 s0, s0
	v_bfrev_b32_e32 v30, 1
	s_xor_b32 exec_lo, exec_lo, s0
	s_cbranch_execz .LBB340_109
.LBB340_113:                            ;   in Loop: Header=BB340_97 Depth=1
	v_cmp_ne_u16_sdwa s14, v16, v11 src0_sel:BYTE_1 src1_sel:DWORD
	v_mov_b32_e32 v30, 0
	s_andn2_b32 s1, s1, exec_lo
	s_and_b32 s14, s14, exec_lo
	s_or_b32 s1, s1, s14
	s_or_b32 exec_lo, exec_lo, s0
	s_and_saveexec_b32 s0, s1
	s_cbranch_execz .LBB340_117
.LBB340_114:                            ;   in Loop: Header=BB340_97 Depth=1
	v_and_b32_sdwa v10, v26, v16 dst_sel:DWORD dst_unused:UNUSED_PAD src0_sel:DWORD src1_sel:BYTE_1
	v_mov_b32_e32 v30, 0x7f800001
	s_mov_b32 s1, exec_lo
	v_and_b32_e32 v18, 0x7f, v10
	v_cmpx_ne_u32_e32 0x7f, v18
	s_cbranch_execz .LBB340_116
; %bb.115:                              ;   in Loop: Header=BB340_97 Depth=1
	v_and_b32_e32 v32, 7, v10
	v_cmp_gt_u32_e32 vcc_lo, 8, v18
	v_ffbh_u32_e32 v30, v32
	v_min_u32_e32 v33, 32, v30
	v_subrev_nc_u32_e32 v30, 28, v33
	v_lshlrev_b64 v[30:31], v30, v[10:11]
	v_lshrrev_b32_e32 v10, 3, v18
	v_sub_nc_u32_e32 v31, 29, v33
	v_and_b32_e32 v18, 7, v30
	v_lshlrev_b32_sdwa v30, v27, v16 dst_sel:DWORD dst_unused:UNUSED_PAD src0_sel:DWORD src1_sel:BYTE_1
	v_cndmask_b32_e32 v10, v10, v31, vcc_lo
	v_cndmask_b32_e32 v18, v32, v18, vcc_lo
	v_and_b32_e32 v30, 0x80000000, v30
	v_lshl_add_u32 v10, v10, 23, 0x3c000000
	v_lshlrev_b32_e32 v18, 20, v18
	v_or3_b32 v30, v18, v30, v10
.LBB340_116:                            ;   in Loop: Header=BB340_97 Depth=1
	s_or_b32 exec_lo, exec_lo, s1
.LBB340_117:                            ;   in Loop: Header=BB340_97 Depth=1
	s_or_b32 exec_lo, exec_lo, s0
	v_lshrrev_b32_e32 v10, 16, v16
	s_mov_b32 s1, 0
	v_cmp_gt_i16_sdwa s0, v10, v24 src0_sel:BYTE_0 src1_sel:DWORD
	s_and_saveexec_b32 s14, s0
	s_xor_b32 s0, exec_lo, s14
	s_cbranch_execnz .LBB340_120
; %bb.118:                              ;   in Loop: Header=BB340_97 Depth=1
	s_or_saveexec_b32 s0, s0
	v_bfrev_b32_e32 v31, 1
	s_xor_b32 exec_lo, exec_lo, s0
	s_cbranch_execnz .LBB340_123
.LBB340_119:                            ;   in Loop: Header=BB340_97 Depth=1
	s_or_b32 exec_lo, exec_lo, s0
	s_and_saveexec_b32 s0, s1
	s_cbranch_execnz .LBB340_124
	s_branch .LBB340_127
.LBB340_120:                            ;   in Loop: Header=BB340_97 Depth=1
	v_cmp_eq_u16_sdwa s15, v10, v25 src0_sel:BYTE_0 src1_sel:DWORD
	s_mov_b32 s1, -1
	s_and_saveexec_b32 s14, s15
; %bb.121:                              ;   in Loop: Header=BB340_97 Depth=1
	s_xor_b32 s1, exec_lo, -1
; %bb.122:                              ;   in Loop: Header=BB340_97 Depth=1
	s_or_b32 exec_lo, exec_lo, s14
	s_and_b32 s1, s1, exec_lo
	s_or_saveexec_b32 s0, s0
	v_bfrev_b32_e32 v31, 1
	s_xor_b32 exec_lo, exec_lo, s0
	s_cbranch_execz .LBB340_119
.LBB340_123:                            ;   in Loop: Header=BB340_97 Depth=1
	v_cmp_ne_u16_sdwa s14, v10, v11 src0_sel:BYTE_0 src1_sel:DWORD
	v_mov_b32_e32 v31, 0
	s_andn2_b32 s1, s1, exec_lo
	s_and_b32 s14, s14, exec_lo
	s_or_b32 s1, s1, s14
	s_or_b32 exec_lo, exec_lo, s0
	s_and_saveexec_b32 s0, s1
	s_cbranch_execz .LBB340_127
.LBB340_124:                            ;   in Loop: Header=BB340_97 Depth=1
	v_and_b32_e32 v18, 0x7f, v10
	v_mov_b32_e32 v31, 0x7f800001
	s_mov_b32 s1, exec_lo
	v_cmpx_ne_u32_e32 0x7f, v18
	s_cbranch_execz .LBB340_126
; %bb.125:                              ;   in Loop: Header=BB340_97 Depth=1
	v_and_b32_e32 v33, 7, v10
	v_cmp_gt_u32_e32 vcc_lo, 8, v18
	v_ffbh_u32_e32 v31, v33
	v_min_u32_e32 v34, 32, v31
	v_subrev_nc_u32_e32 v31, 28, v34
	v_sub_nc_u32_e32 v34, 29, v34
	v_lshlrev_b64 v[31:32], v31, v[10:11]
	v_lshrrev_b32_e32 v32, 3, v18
	v_lshlrev_b32_e32 v10, 24, v10
	v_and_b32_e32 v18, 7, v31
	v_cndmask_b32_e32 v31, v32, v34, vcc_lo
	v_and_b32_e32 v10, 0x80000000, v10
	v_cndmask_b32_e32 v18, v33, v18, vcc_lo
	v_lshl_add_u32 v31, v31, 23, 0x3c000000
	v_lshlrev_b32_e32 v18, 20, v18
	v_or3_b32 v31, v18, v10, v31
.LBB340_126:                            ;   in Loop: Header=BB340_97 Depth=1
	s_or_b32 exec_lo, exec_lo, s1
.LBB340_127:                            ;   in Loop: Header=BB340_97 Depth=1
	s_or_b32 exec_lo, exec_lo, s0
	v_lshrrev_b32_e32 v10, 24, v16
	v_bfe_u32 v18, v16, 24, 7
	v_cmp_gt_u32_e64 s1, 0x1000000, v16
	v_cmp_eq_u32_e32 vcc_lo, 0x80, v10
	v_cmp_eq_u32_e64 s0, 0x7f, v18
	v_cndmask_b32_e32 v32, 0x7f800001, v28, vcc_lo
	s_or_b32 s0, vcc_lo, s0
	v_cndmask_b32_e64 v32, v32, 0, s1
	s_nor_b32 s1, s1, s0
	s_and_saveexec_b32 s0, s1
	s_cbranch_execz .LBB340_129
; %bb.128:                              ;   in Loop: Header=BB340_97 Depth=1
	v_and_b32_e32 v34, 7, v10
	v_cmp_gt_u32_e32 vcc_lo, 8, v18
	v_ffbh_u32_e32 v32, v34
	v_min_u32_e32 v35, 32, v32
	v_subrev_nc_u32_e32 v32, 28, v35
	v_sub_nc_u32_e32 v35, 29, v35
	v_lshlrev_b64 v[32:33], v32, v[10:11]
	v_lshrrev_b32_e32 v33, 3, v18
	v_lshlrev_b32_e32 v10, 24, v10
	v_and_b32_e32 v18, 7, v32
	v_cndmask_b32_e32 v32, v33, v35, vcc_lo
	v_and_b32_e32 v10, 0x80000000, v10
	v_cndmask_b32_e32 v18, v34, v18, vcc_lo
	v_lshl_add_u32 v32, v32, 23, 0x3c000000
	v_lshlrev_b32_e32 v18, 20, v18
	v_or3_b32 v32, v18, v10, v32
.LBB340_129:                            ;   in Loop: Header=BB340_97 Depth=1
	s_or_b32 exec_lo, exec_lo, s0
	v_cmp_gt_i16_sdwa s0, v17, v24 src0_sel:BYTE_0 src1_sel:DWORD
	s_mov_b32 s1, 0
	s_and_saveexec_b32 s14, s0
	s_xor_b32 s0, exec_lo, s14
	s_cbranch_execnz .LBB340_132
; %bb.130:                              ;   in Loop: Header=BB340_97 Depth=1
	s_or_saveexec_b32 s0, s0
	v_bfrev_b32_e32 v33, 1
	s_xor_b32 exec_lo, exec_lo, s0
	s_cbranch_execnz .LBB340_135
.LBB340_131:                            ;   in Loop: Header=BB340_97 Depth=1
	s_or_b32 exec_lo, exec_lo, s0
	v_mov_b32_e32 v10, v17
	s_and_saveexec_b32 s0, s1
	s_cbranch_execnz .LBB340_136
	s_branch .LBB340_139
.LBB340_132:                            ;   in Loop: Header=BB340_97 Depth=1
	v_cmp_eq_u16_sdwa s15, v17, v25 src0_sel:BYTE_0 src1_sel:DWORD
	s_mov_b32 s1, -1
	s_and_saveexec_b32 s14, s15
; %bb.133:                              ;   in Loop: Header=BB340_97 Depth=1
	s_xor_b32 s1, exec_lo, -1
; %bb.134:                              ;   in Loop: Header=BB340_97 Depth=1
	s_or_b32 exec_lo, exec_lo, s14
	s_and_b32 s1, s1, exec_lo
	s_or_saveexec_b32 s0, s0
	v_bfrev_b32_e32 v33, 1
	s_xor_b32 exec_lo, exec_lo, s0
	s_cbranch_execz .LBB340_131
.LBB340_135:                            ;   in Loop: Header=BB340_97 Depth=1
	v_cmp_ne_u16_sdwa s14, v17, v11 src0_sel:BYTE_0 src1_sel:DWORD
	v_mov_b32_e32 v33, 0
	s_andn2_b32 s1, s1, exec_lo
	s_and_b32 s14, s14, exec_lo
	s_or_b32 s1, s1, s14
	s_or_b32 exec_lo, exec_lo, s0
	v_mov_b32_e32 v10, v17
	s_and_saveexec_b32 s0, s1
	s_cbranch_execz .LBB340_139
.LBB340_136:                            ;   in Loop: Header=BB340_97 Depth=1
	v_and_b32_e32 v18, 0x7f, v17
	v_mov_b32_e32 v33, 0x7f800001
	s_mov_b32 s1, exec_lo
	v_cmpx_ne_u32_e32 0x7f, v18
	s_cbranch_execz .LBB340_138
; %bb.137:                              ;   in Loop: Header=BB340_97 Depth=1
	v_and_b32_e32 v33, 7, v17
	v_lshrrev_b32_e32 v34, 3, v18
	v_cmp_gt_u32_e32 vcc_lo, 8, v18
	v_ffbh_u32_e32 v33, v33
	v_min_u32_e32 v33, 32, v33
	v_subrev_nc_u32_e32 v35, 28, v33
	v_sub_nc_u32_e32 v33, 29, v33
	v_cndmask_b32_e32 v18, v34, v33, vcc_lo
	v_cndmask_b32_e32 v33, 0, v35, vcc_lo
	v_lshl_add_u32 v18, v18, 23, 0x3c000000
	v_lshlrev_b64 v[33:34], v33, v[10:11]
	v_lshlrev_b32_e32 v34, 24, v10
	v_lshlrev_b32_e32 v33, 20, v33
	v_and_b32_e32 v34, 0x80000000, v34
	v_and_b32_e32 v33, 0x700000, v33
	v_or3_b32 v33, v33, v34, v18
.LBB340_138:                            ;   in Loop: Header=BB340_97 Depth=1
	s_or_b32 exec_lo, exec_lo, s1
.LBB340_139:                            ;   in Loop: Header=BB340_97 Depth=1
	s_or_b32 exec_lo, exec_lo, s0
	v_cmp_gt_i16_sdwa s0, v10, v24 src0_sel:BYTE_1 src1_sel:DWORD
	s_mov_b32 s1, 0
	s_and_saveexec_b32 s14, s0
	s_xor_b32 s0, exec_lo, s14
	s_cbranch_execnz .LBB340_142
; %bb.140:                              ;   in Loop: Header=BB340_97 Depth=1
	s_or_saveexec_b32 s0, s0
	v_bfrev_b32_e32 v34, 1
	s_xor_b32 exec_lo, exec_lo, s0
	s_cbranch_execnz .LBB340_145
.LBB340_141:                            ;   in Loop: Header=BB340_97 Depth=1
	s_or_b32 exec_lo, exec_lo, s0
	s_and_saveexec_b32 s0, s1
	s_cbranch_execnz .LBB340_146
	s_branch .LBB340_149
.LBB340_142:                            ;   in Loop: Header=BB340_97 Depth=1
	v_cmp_eq_u16_sdwa s15, v10, v25 src0_sel:BYTE_1 src1_sel:DWORD
	s_mov_b32 s1, -1
	s_and_saveexec_b32 s14, s15
; %bb.143:                              ;   in Loop: Header=BB340_97 Depth=1
	s_xor_b32 s1, exec_lo, -1
; %bb.144:                              ;   in Loop: Header=BB340_97 Depth=1
	s_or_b32 exec_lo, exec_lo, s14
	s_and_b32 s1, s1, exec_lo
	s_or_saveexec_b32 s0, s0
	v_bfrev_b32_e32 v34, 1
	s_xor_b32 exec_lo, exec_lo, s0
	s_cbranch_execz .LBB340_141
.LBB340_145:                            ;   in Loop: Header=BB340_97 Depth=1
	v_cmp_ne_u16_sdwa s14, v10, v11 src0_sel:BYTE_1 src1_sel:DWORD
	v_mov_b32_e32 v34, 0
	s_andn2_b32 s1, s1, exec_lo
	s_and_b32 s14, s14, exec_lo
	s_or_b32 s1, s1, s14
	s_or_b32 exec_lo, exec_lo, s0
	s_and_saveexec_b32 s0, s1
	s_cbranch_execz .LBB340_149
.LBB340_146:                            ;   in Loop: Header=BB340_97 Depth=1
	v_and_b32_sdwa v18, v26, v10 dst_sel:DWORD dst_unused:UNUSED_PAD src0_sel:DWORD src1_sel:BYTE_1
	v_mov_b32_e32 v34, 0x7f800001
	s_mov_b32 s1, exec_lo
	v_and_b32_e32 v35, 0x7f, v18
	v_cmpx_ne_u32_e32 0x7f, v35
	s_cbranch_execz .LBB340_148
; %bb.147:                              ;   in Loop: Header=BB340_97 Depth=1
	v_and_b32_e32 v34, 7, v18
	v_cmp_gt_u32_e32 vcc_lo, 8, v35
	v_lshlrev_b32_sdwa v10, v27, v10 dst_sel:DWORD dst_unused:UNUSED_PAD src0_sel:DWORD src1_sel:BYTE_1
	v_ffbh_u32_e32 v36, v34
	v_and_b32_e32 v10, 0x80000000, v10
	v_min_u32_e32 v38, 32, v36
	v_subrev_nc_u32_e32 v36, 28, v38
	v_lshlrev_b64 v[36:37], v36, v[18:19]
	v_lshrrev_b32_e32 v18, 3, v35
	v_sub_nc_u32_e32 v37, 29, v38
	v_and_b32_e32 v35, 7, v36
	v_cndmask_b32_e32 v18, v18, v37, vcc_lo
	v_cndmask_b32_e32 v34, v34, v35, vcc_lo
	v_lshl_add_u32 v18, v18, 23, 0x3c000000
	v_lshlrev_b32_e32 v34, 20, v34
	v_or3_b32 v34, v34, v10, v18
.LBB340_148:                            ;   in Loop: Header=BB340_97 Depth=1
	s_or_b32 exec_lo, exec_lo, s1
.LBB340_149:                            ;   in Loop: Header=BB340_97 Depth=1
	s_or_b32 exec_lo, exec_lo, s0
	v_lshrrev_b32_e32 v10, 16, v17
	s_mov_b32 s1, 0
	v_cmp_gt_i16_sdwa s0, v10, v24 src0_sel:BYTE_0 src1_sel:DWORD
	s_and_saveexec_b32 s14, s0
	s_xor_b32 s0, exec_lo, s14
	s_cbranch_execnz .LBB340_152
; %bb.150:                              ;   in Loop: Header=BB340_97 Depth=1
	s_or_saveexec_b32 s0, s0
	v_bfrev_b32_e32 v18, 1
	s_xor_b32 exec_lo, exec_lo, s0
	s_cbranch_execnz .LBB340_155
.LBB340_151:                            ;   in Loop: Header=BB340_97 Depth=1
	s_or_b32 exec_lo, exec_lo, s0
	s_and_saveexec_b32 s0, s1
	s_cbranch_execnz .LBB340_156
	s_branch .LBB340_159
.LBB340_152:                            ;   in Loop: Header=BB340_97 Depth=1
	v_cmp_eq_u16_sdwa s15, v10, v25 src0_sel:BYTE_0 src1_sel:DWORD
	s_mov_b32 s1, -1
	s_and_saveexec_b32 s14, s15
; %bb.153:                              ;   in Loop: Header=BB340_97 Depth=1
	s_xor_b32 s1, exec_lo, -1
; %bb.154:                              ;   in Loop: Header=BB340_97 Depth=1
	s_or_b32 exec_lo, exec_lo, s14
	s_and_b32 s1, s1, exec_lo
	s_or_saveexec_b32 s0, s0
	v_bfrev_b32_e32 v18, 1
	s_xor_b32 exec_lo, exec_lo, s0
	s_cbranch_execz .LBB340_151
.LBB340_155:                            ;   in Loop: Header=BB340_97 Depth=1
	v_cmp_ne_u16_sdwa s14, v10, v11 src0_sel:BYTE_0 src1_sel:DWORD
	v_mov_b32_e32 v18, 0
	s_andn2_b32 s1, s1, exec_lo
	s_and_b32 s14, s14, exec_lo
	s_or_b32 s1, s1, s14
	s_or_b32 exec_lo, exec_lo, s0
	s_and_saveexec_b32 s0, s1
	s_cbranch_execz .LBB340_159
.LBB340_156:                            ;   in Loop: Header=BB340_97 Depth=1
	v_and_b32_e32 v35, 0x7f, v10
	v_mov_b32_e32 v18, 0x7f800001
	s_mov_b32 s1, exec_lo
	v_cmpx_ne_u32_e32 0x7f, v35
	s_cbranch_execz .LBB340_158
; %bb.157:                              ;   in Loop: Header=BB340_97 Depth=1
	v_and_b32_e32 v18, 7, v10
	v_cmp_gt_u32_e32 vcc_lo, 8, v35
	v_ffbh_u32_e32 v36, v18
	v_min_u32_e32 v38, 32, v36
	v_subrev_nc_u32_e32 v36, 28, v38
	v_sub_nc_u32_e32 v38, 29, v38
	v_lshlrev_b64 v[36:37], v36, v[10:11]
	v_lshrrev_b32_e32 v37, 3, v35
	v_lshlrev_b32_e32 v10, 24, v10
	v_and_b32_e32 v35, 7, v36
	v_cndmask_b32_e32 v36, v37, v38, vcc_lo
	v_and_b32_e32 v10, 0x80000000, v10
	v_cndmask_b32_e32 v18, v18, v35, vcc_lo
	v_lshl_add_u32 v35, v36, 23, 0x3c000000
	v_lshlrev_b32_e32 v18, 20, v18
	v_or3_b32 v18, v18, v10, v35
.LBB340_158:                            ;   in Loop: Header=BB340_97 Depth=1
	s_or_b32 exec_lo, exec_lo, s1
.LBB340_159:                            ;   in Loop: Header=BB340_97 Depth=1
	s_or_b32 exec_lo, exec_lo, s0
	v_lshrrev_b32_e32 v10, 24, v17
	v_bfe_u32 v36, v17, 24, 7
	v_cmp_gt_u64_e64 s1, s[4:5], v[16:17]
	v_cmp_eq_u32_e32 vcc_lo, 0x80, v10
	v_cmp_eq_u32_e64 s0, 0x7f, v36
	v_cndmask_b32_e32 v35, 0x7f800001, v28, vcc_lo
	s_or_b32 s0, vcc_lo, s0
	v_cndmask_b32_e64 v35, v35, 0, s1
	s_nor_b32 s1, s1, s0
	s_and_saveexec_b32 s0, s1
	s_cbranch_execz .LBB340_161
; %bb.160:                              ;   in Loop: Header=BB340_97 Depth=1
	v_and_b32_e32 v35, 7, v10
	v_cmp_gt_u32_e32 vcc_lo, 8, v36
	v_ffbh_u32_e32 v16, v35
	v_min_u32_e32 v37, 32, v16
	v_subrev_nc_u32_e32 v16, 28, v37
	v_sub_nc_u32_e32 v37, 29, v37
	v_lshlrev_b64 v[16:17], v16, v[10:11]
	v_lshrrev_b32_e32 v17, 3, v36
	v_lshlrev_b32_e32 v10, 24, v10
	v_and_b32_e32 v16, 7, v16
	v_cndmask_b32_e32 v17, v17, v37, vcc_lo
	v_and_b32_e32 v10, 0x80000000, v10
	v_cndmask_b32_e32 v16, v35, v16, vcc_lo
	v_lshl_add_u32 v17, v17, 23, 0x3c000000
	v_lshlrev_b32_e32 v16, 20, v16
	v_or3_b32 v35, v16, v10, v17
.LBB340_161:                            ;   in Loop: Header=BB340_97 Depth=1
	s_or_b32 exec_lo, exec_lo, s0
	s_waitcnt lgkmcnt(0)
	v_mul_f32_e32 v10, s9, v34
	v_mul_f32_e32 v16, s9, v33
	;; [unrolled: 1-line block ×5, first 2 shown]
	v_bfe_u32 v32, v10, 16, 1
	v_or_b32_e32 v33, 0x400000, v10
	v_bfe_u32 v34, v16, 16, 1
	v_cmp_u_f32_e64 s0, v10, v10
	v_or_b32_e32 v36, 0x400000, v16
	v_add3_u32 v32, v32, v10, 0x7fff
	v_bfe_u32 v37, v17, 16, 1
	v_add3_u32 v34, v34, v16, 0x7fff
	v_or_b32_e32 v38, 0x400000, v17
	v_mul_f32_e32 v29, s9, v29
	v_cndmask_b32_e64 v10, v32, v33, s0
	v_cmp_u_f32_e64 s0, v16, v16
	v_bfe_u32 v32, v31, 16, 1
	v_add3_u32 v33, v37, v17, 0x7fff
	v_mul_f32_e32 v18, s9, v18
	v_cmp_eq_u32_e32 vcc_lo, s12, v9
	v_cndmask_b32_e64 v16, v34, v36, s0
	v_cmp_u_f32_e64 s0, v17, v17
	v_add3_u32 v32, v32, v31, 0x7fff
	v_bfe_u32 v34, v30, 16, 1
	v_bfe_u32 v36, v18, 16, 1
	v_or_b32_e32 v37, 0x400000, v18
	v_cndmask_b32_e64 v17, v33, v38, s0
	v_or_b32_e32 v33, 0x400000, v31
	v_cmp_u_f32_e64 s0, v31, v31
	v_add3_u32 v36, v36, v18, 0x7fff
	v_lshrrev_b32_e32 v10, 16, v10
	v_lshrrev_b32_e32 v16, 16, v16
	;; [unrolled: 1-line block ×3, first 2 shown]
	v_cndmask_b32_e64 v31, v32, v33, s0
	v_add3_u32 v32, v34, v30, 0x7fff
	v_or_b32_e32 v33, 0x400000, v30
	v_mul_f32_e32 v34, s9, v35
	v_bfe_u32 v35, v29, 16, 1
	v_cmp_u_f32_e64 s0, v30, v30
	v_bfe_u32 v30, v34, 16, 1
	v_or_b32_e32 v38, 0x400000, v34
	v_cndmask_b32_e64 v32, v32, v33, s0
	v_add3_u32 v33, v35, v29, 0x7fff
	v_or_b32_e32 v35, 0x400000, v29
	v_cmp_u_f32_e64 s0, v29, v29
	v_add3_u32 v30, v30, v34, 0x7fff
	v_cndmask_b32_e64 v29, v33, v35, s0
	v_cmp_u_f32_e64 s0, v18, v18
	v_cndmask_b32_e64 v18, v36, v37, s0
	v_cmp_u_f32_e64 s0, v34, v34
	v_cndmask_b32_e64 v33, v30, v38, s0
	v_lshrrev_b32_e32 v30, 16, v31
	v_lshrrev_b32_e32 v31, 16, v32
	;; [unrolled: 1-line block ×5, first 2 shown]
	s_and_saveexec_b32 s0, vcc_lo
	s_cbranch_execz .LBB340_96
; %bb.162:                              ;   in Loop: Header=BB340_97 Depth=1
	v_add_nc_u32_e32 v33, -7, v22
	v_add_nc_u32_e32 v34, -6, v22
	;; [unrolled: 1-line block ×3, first 2 shown]
	v_cmp_gt_i32_e32 vcc_lo, s27, v33
	v_add_nc_u32_e32 v33, -4, v22
	v_cndmask_b32_e32 v32, 0, v32, vcc_lo
	v_cmp_gt_i32_e32 vcc_lo, s27, v34
	v_add_nc_u32_e32 v34, -3, v22
	v_cndmask_b32_e32 v31, 0, v31, vcc_lo
	;; [unrolled: 3-line block ×4, first 2 shown]
	v_cmp_gt_i32_e32 vcc_lo, s27, v34
	v_cndmask_b32_e32 v16, 0, v16, vcc_lo
	v_cmp_gt_i32_e32 vcc_lo, s27, v35
	v_cndmask_b32_e32 v10, 0, v10, vcc_lo
	;; [unrolled: 2-line block ×4, first 2 shown]
	s_branch .LBB340_96
.LBB340_163:
	s_or_b32 exec_lo, exec_lo, s13
.LBB340_164:
	s_or_b32 exec_lo, exec_lo, s3
	v_and_b32_e32 v2, 0x3c0, v0
	v_lshl_add_u32 v1, v20, 2, 0x60
	s_mov_b32 s0, exec_lo
	s_waitcnt_vscnt null, 0x0
	s_barrier
	buffer_gl0_inv
	v_cmpx_eq_u32_e32 64, v2
; %bb.165:
	v_lshlrev_b32_e32 v2, 7, v19
	v_add3_u32 v2, v1, v2, 0xffffff00
	ds_write_b32 v2, v21
; %bb.166:
	s_or_b32 exec_lo, exec_lo, s0
	v_and_b32_e32 v3, 0x3e0, v0
	s_mov_b32 s0, exec_lo
	s_waitcnt lgkmcnt(0)
	s_barrier
	buffer_gl0_inv
	v_lshl_add_u32 v2, v3, 2, v1
	v_cmpx_gt_u32_e32 64, v0
	s_cbranch_execz .LBB340_168
; %bb.167:
	ds_read_b32 v4, v2
	s_waitcnt lgkmcnt(0)
	v_add_f32_e32 v21, v21, v4
.LBB340_168:
	s_or_b32 exec_lo, exec_lo, s0
	s_mov_b32 s0, exec_lo
	s_barrier
	buffer_gl0_inv
	v_cmpx_eq_u32_e32 32, v3
; %bb.169:
	ds_write_b32 v1, v21
; %bb.170:
	s_or_b32 exec_lo, exec_lo, s0
	v_cmp_gt_u32_e32 vcc_lo, 32, v0
	s_waitcnt lgkmcnt(0)
	s_barrier
	buffer_gl0_inv
	s_and_saveexec_b32 s0, vcc_lo
	s_cbranch_execz .LBB340_172
; %bb.171:
	ds_read_b32 v0, v2
	s_waitcnt lgkmcnt(0)
	v_add_f32_e32 v21, v21, v0
.LBB340_172:
	s_or_b32 exec_lo, exec_lo, s0
	s_barrier
	buffer_gl0_inv
	s_and_saveexec_b32 s0, vcc_lo
	s_cbranch_execz .LBB340_174
; %bb.173:
	s_lshl_b32 s0, s2, 5
	s_mul_i32 s2, s7, s10
	s_ashr_i32 s1, s0, 31
	v_bfe_u32 v0, v21, 16, 1
	s_lshl_b64 s[0:1], s[0:1], 1
	v_or_b32_e32 v1, 0x400000, v21
	s_add_u32 s4, s24, s0
	s_addc_u32 s5, s25, s1
	s_ashr_i32 s3, s2, 31
	v_add3_u32 v0, v0, v21, 0x7fff
	s_lshl_b64 s[0:1], s[2:3], 1
	v_cmp_u_f32_e32 vcc_lo, v21, v21
	s_add_u32 s2, s4, s0
	s_addc_u32 s3, s5, s1
	s_lshl_b32 s0, s8, 5
	v_lshlrev_b32_e32 v2, 1, v20
	s_ashr_i32 s1, s0, 31
	v_cndmask_b32_e32 v0, v0, v1, vcc_lo
	s_lshl_b64 s[0:1], s[0:1], 1
	s_add_u32 s0, s2, s0
	s_addc_u32 s1, s3, s1
	global_store_short_d16_hi v2, v0, s[0:1]
.LBB340_174:
	s_endpgm
	.section	.rodata,"a",@progbits
	.p2align	6, 0x0
	.amdhsa_kernel _ZN4vllm25paged_attention_v2_kernelI14__hip_bfloat16hLi32ELi8ELi128ELNS_18Fp8KVCacheDataTypeE1ELb0ELi512EEEvPfS3_PT_PKS4_PKT0_SA_ifPKiSC_iPKfiiiSE_SE_iiiii
		.amdhsa_group_segment_fixed_size 96
		.amdhsa_private_segment_fixed_size 0
		.amdhsa_kernarg_size 400
		.amdhsa_user_sgpr_count 6
		.amdhsa_user_sgpr_private_segment_buffer 1
		.amdhsa_user_sgpr_dispatch_ptr 0
		.amdhsa_user_sgpr_queue_ptr 0
		.amdhsa_user_sgpr_kernarg_segment_ptr 1
		.amdhsa_user_sgpr_dispatch_id 0
		.amdhsa_user_sgpr_flat_scratch_init 0
		.amdhsa_user_sgpr_private_segment_size 0
		.amdhsa_wavefront_size32 1
		.amdhsa_uses_dynamic_stack 0
		.amdhsa_system_sgpr_private_segment_wavefront_offset 0
		.amdhsa_system_sgpr_workgroup_id_x 1
		.amdhsa_system_sgpr_workgroup_id_y 1
		.amdhsa_system_sgpr_workgroup_id_z 1
		.amdhsa_system_sgpr_workgroup_info 0
		.amdhsa_system_vgpr_workitem_id 0
		.amdhsa_next_free_vgpr 43
		.amdhsa_next_free_sgpr 42
		.amdhsa_reserve_vcc 1
		.amdhsa_reserve_flat_scratch 0
		.amdhsa_float_round_mode_32 0
		.amdhsa_float_round_mode_16_64 0
		.amdhsa_float_denorm_mode_32 3
		.amdhsa_float_denorm_mode_16_64 3
		.amdhsa_dx10_clamp 1
		.amdhsa_ieee_mode 1
		.amdhsa_fp16_overflow 0
		.amdhsa_workgroup_processor_mode 1
		.amdhsa_memory_ordered 1
		.amdhsa_forward_progress 1
		.amdhsa_shared_vgpr_count 0
		.amdhsa_exception_fp_ieee_invalid_op 0
		.amdhsa_exception_fp_denorm_src 0
		.amdhsa_exception_fp_ieee_div_zero 0
		.amdhsa_exception_fp_ieee_overflow 0
		.amdhsa_exception_fp_ieee_underflow 0
		.amdhsa_exception_fp_ieee_inexact 0
		.amdhsa_exception_int_div_zero 0
	.end_amdhsa_kernel
	.section	.text._ZN4vllm25paged_attention_v2_kernelI14__hip_bfloat16hLi32ELi8ELi128ELNS_18Fp8KVCacheDataTypeE1ELb0ELi512EEEvPfS3_PT_PKS4_PKT0_SA_ifPKiSC_iPKfiiiSE_SE_iiiii,"axG",@progbits,_ZN4vllm25paged_attention_v2_kernelI14__hip_bfloat16hLi32ELi8ELi128ELNS_18Fp8KVCacheDataTypeE1ELb0ELi512EEEvPfS3_PT_PKS4_PKT0_SA_ifPKiSC_iPKfiiiSE_SE_iiiii,comdat
.Lfunc_end340:
	.size	_ZN4vllm25paged_attention_v2_kernelI14__hip_bfloat16hLi32ELi8ELi128ELNS_18Fp8KVCacheDataTypeE1ELb0ELi512EEEvPfS3_PT_PKS4_PKT0_SA_ifPKiSC_iPKfiiiSE_SE_iiiii, .Lfunc_end340-_ZN4vllm25paged_attention_v2_kernelI14__hip_bfloat16hLi32ELi8ELi128ELNS_18Fp8KVCacheDataTypeE1ELb0ELi512EEEvPfS3_PT_PKS4_PKT0_SA_ifPKiSC_iPKfiiiSE_SE_iiiii
                                        ; -- End function
	.set _ZN4vllm25paged_attention_v2_kernelI14__hip_bfloat16hLi32ELi8ELi128ELNS_18Fp8KVCacheDataTypeE1ELb0ELi512EEEvPfS3_PT_PKS4_PKT0_SA_ifPKiSC_iPKfiiiSE_SE_iiiii.num_vgpr, 43
	.set _ZN4vllm25paged_attention_v2_kernelI14__hip_bfloat16hLi32ELi8ELi128ELNS_18Fp8KVCacheDataTypeE1ELb0ELi512EEEvPfS3_PT_PKS4_PKT0_SA_ifPKiSC_iPKfiiiSE_SE_iiiii.num_agpr, 0
	.set _ZN4vllm25paged_attention_v2_kernelI14__hip_bfloat16hLi32ELi8ELi128ELNS_18Fp8KVCacheDataTypeE1ELb0ELi512EEEvPfS3_PT_PKS4_PKT0_SA_ifPKiSC_iPKfiiiSE_SE_iiiii.numbered_sgpr, 42
	.set _ZN4vllm25paged_attention_v2_kernelI14__hip_bfloat16hLi32ELi8ELi128ELNS_18Fp8KVCacheDataTypeE1ELb0ELi512EEEvPfS3_PT_PKS4_PKT0_SA_ifPKiSC_iPKfiiiSE_SE_iiiii.num_named_barrier, 0
	.set _ZN4vllm25paged_attention_v2_kernelI14__hip_bfloat16hLi32ELi8ELi128ELNS_18Fp8KVCacheDataTypeE1ELb0ELi512EEEvPfS3_PT_PKS4_PKT0_SA_ifPKiSC_iPKfiiiSE_SE_iiiii.private_seg_size, 0
	.set _ZN4vllm25paged_attention_v2_kernelI14__hip_bfloat16hLi32ELi8ELi128ELNS_18Fp8KVCacheDataTypeE1ELb0ELi512EEEvPfS3_PT_PKS4_PKT0_SA_ifPKiSC_iPKfiiiSE_SE_iiiii.uses_vcc, 1
	.set _ZN4vllm25paged_attention_v2_kernelI14__hip_bfloat16hLi32ELi8ELi128ELNS_18Fp8KVCacheDataTypeE1ELb0ELi512EEEvPfS3_PT_PKS4_PKT0_SA_ifPKiSC_iPKfiiiSE_SE_iiiii.uses_flat_scratch, 0
	.set _ZN4vllm25paged_attention_v2_kernelI14__hip_bfloat16hLi32ELi8ELi128ELNS_18Fp8KVCacheDataTypeE1ELb0ELi512EEEvPfS3_PT_PKS4_PKT0_SA_ifPKiSC_iPKfiiiSE_SE_iiiii.has_dyn_sized_stack, 0
	.set _ZN4vllm25paged_attention_v2_kernelI14__hip_bfloat16hLi32ELi8ELi128ELNS_18Fp8KVCacheDataTypeE1ELb0ELi512EEEvPfS3_PT_PKS4_PKT0_SA_ifPKiSC_iPKfiiiSE_SE_iiiii.has_recursion, 0
	.set _ZN4vllm25paged_attention_v2_kernelI14__hip_bfloat16hLi32ELi8ELi128ELNS_18Fp8KVCacheDataTypeE1ELb0ELi512EEEvPfS3_PT_PKS4_PKT0_SA_ifPKiSC_iPKfiiiSE_SE_iiiii.has_indirect_call, 0
	.section	.AMDGPU.csdata,"",@progbits
; Kernel info:
; codeLenInByte = 7976
; TotalNumSgprs: 44
; NumVgprs: 43
; ScratchSize: 0
; MemoryBound: 0
; FloatMode: 240
; IeeeMode: 1
; LDSByteSize: 96 bytes/workgroup (compile time only)
; SGPRBlocks: 0
; VGPRBlocks: 5
; NumSGPRsForWavesPerEU: 44
; NumVGPRsForWavesPerEU: 43
; Occupancy: 16
; WaveLimiterHint : 1
; COMPUTE_PGM_RSRC2:SCRATCH_EN: 0
; COMPUTE_PGM_RSRC2:USER_SGPR: 6
; COMPUTE_PGM_RSRC2:TRAP_HANDLER: 0
; COMPUTE_PGM_RSRC2:TGID_X_EN: 1
; COMPUTE_PGM_RSRC2:TGID_Y_EN: 1
; COMPUTE_PGM_RSRC2:TGID_Z_EN: 1
; COMPUTE_PGM_RSRC2:TIDIG_COMP_CNT: 0
	.section	.text._ZN4vllm25paged_attention_v2_kernelI14__hip_bfloat16hLi64ELi8ELi128ELNS_18Fp8KVCacheDataTypeE1ELb0ELi512EEEvPfS3_PT_PKS4_PKT0_SA_ifPKiSC_iPKfiiiSE_SE_iiiii,"axG",@progbits,_ZN4vllm25paged_attention_v2_kernelI14__hip_bfloat16hLi64ELi8ELi128ELNS_18Fp8KVCacheDataTypeE1ELb0ELi512EEEvPfS3_PT_PKS4_PKT0_SA_ifPKiSC_iPKfiiiSE_SE_iiiii,comdat
	.protected	_ZN4vllm25paged_attention_v2_kernelI14__hip_bfloat16hLi64ELi8ELi128ELNS_18Fp8KVCacheDataTypeE1ELb0ELi512EEEvPfS3_PT_PKS4_PKT0_SA_ifPKiSC_iPKfiiiSE_SE_iiiii ; -- Begin function _ZN4vllm25paged_attention_v2_kernelI14__hip_bfloat16hLi64ELi8ELi128ELNS_18Fp8KVCacheDataTypeE1ELb0ELi512EEEvPfS3_PT_PKS4_PKT0_SA_ifPKiSC_iPKfiiiSE_SE_iiiii
	.globl	_ZN4vllm25paged_attention_v2_kernelI14__hip_bfloat16hLi64ELi8ELi128ELNS_18Fp8KVCacheDataTypeE1ELb0ELi512EEEvPfS3_PT_PKS4_PKT0_SA_ifPKiSC_iPKfiiiSE_SE_iiiii
	.p2align	8
	.type	_ZN4vllm25paged_attention_v2_kernelI14__hip_bfloat16hLi64ELi8ELi128ELNS_18Fp8KVCacheDataTypeE1ELb0ELi512EEEvPfS3_PT_PKS4_PKT0_SA_ifPKiSC_iPKfiiiSE_SE_iiiii,@function
_ZN4vllm25paged_attention_v2_kernelI14__hip_bfloat16hLi64ELi8ELi128ELNS_18Fp8KVCacheDataTypeE1ELb0ELi512EEEvPfS3_PT_PKS4_PKT0_SA_ifPKiSC_iPKfiiiSE_SE_iiiii: ; @_ZN4vllm25paged_attention_v2_kernelI14__hip_bfloat16hLi64ELi8ELi128ELNS_18Fp8KVCacheDataTypeE1ELb0ELi512EEEvPfS3_PT_PKS4_PKT0_SA_ifPKiSC_iPKfiiiSE_SE_iiiii
; %bb.0:
	s_load_dwordx2 s[0:1], s[4:5], 0x40
	s_mov_b32 s26, s7
	s_ashr_i32 s27, s7, 31
	s_lshl_b64 s[2:3], s[26:27], 2
	s_waitcnt lgkmcnt(0)
	s_add_u32 s0, s0, s2
	s_addc_u32 s1, s1, s3
	s_lshl_b32 s33, s8, 9
	s_load_dword s27, s[0:1], 0x0
	s_waitcnt lgkmcnt(0)
	s_cmp_ge_i32 s33, s27
	s_cbranch_scc1 .LBB341_296
; %bb.1:
	s_clause 0x1
	s_load_dword s9, s[4:5], 0x90
	s_load_dwordx2 s[36:37], s[4:5], 0x30
	s_waitcnt lgkmcnt(0)
	s_abs_i32 s3, s9
	s_abs_i32 s0, s36
	v_cvt_f32_u32_e32 v1, s0
	s_sub_i32 s2, 0, s0
	v_rcp_iflag_f32_e32 v1, v1
	v_mul_f32_e32 v1, 0x4f7ffffe, v1
	v_cvt_u32_f32_e32 v1, v1
	v_readfirstlane_b32 s1, v1
	s_mul_i32 s2, s2, s1
	s_mul_hi_u32 s2, s1, s2
	s_add_i32 s1, s1, s2
	s_xor_b32 s2, s9, s36
	s_mul_hi_u32 s1, s3, s1
	s_ashr_i32 s2, s2, 31
	s_mul_i32 s7, s1, s0
	s_mov_b32 s36, 0
	s_sub_i32 s3, s3, s7
	s_add_i32 s7, s1, 1
	s_sub_i32 s10, s3, s0
	s_cmp_ge_u32 s3, s0
	s_cselect_b32 s1, s7, s1
	s_cselect_b32 s3, s10, s3
	s_add_i32 s7, s1, 1
	s_cmp_ge_u32 s3, s0
	s_cselect_b32 s0, s7, s1
	s_abs_i32 s16, s6
	s_xor_b32 s0, s0, s2
	s_sub_i32 s10, s0, s2
	s_load_dwordx2 s[0:1], s[4:5], 0x50
	s_abs_i32 s2, s10
	v_cvt_f32_u32_e32 v1, s2
	s_sub_i32 s7, 0, s2
	v_rcp_iflag_f32_e32 v1, v1
	v_mul_f32_e32 v1, 0x4f7ffffe, v1
	v_cvt_u32_f32_e32 v1, v1
	v_readfirstlane_b32 s3, v1
	s_mul_i32 s7, s7, s3
	s_mul_hi_u32 s7, s3, s7
	s_add_i32 s3, s3, s7
	s_waitcnt lgkmcnt(0)
	s_cmp_eq_u64 s[0:1], 0
	s_mul_hi_u32 s3, s16, s3
	s_cbranch_scc1 .LBB341_3
; %bb.2:
	s_ashr_i32 s7, s6, 31
	s_lshl_b64 s[12:13], s[6:7], 2
	s_add_u32 s0, s0, s12
	s_addc_u32 s1, s1, s13
	s_load_dword s36, s[0:1], 0x0
.LBB341_3:
	s_load_dwordx4 s[12:15], s[4:5], 0x58
	v_and_b32_e32 v1, 3, v0
	v_cmp_gt_u32_e64 s0, 32, v0
	s_ashr_i32 s1, s6, 31
	s_ashr_i32 s7, s10, 31
	s_lshl_b32 s10, s6, 6
	s_waitcnt lgkmcnt(0)
	s_and_saveexec_b32 s15, s0
	s_cbranch_execz .LBB341_5
; %bb.4:
	s_load_dwordx2 s[18:19], s[4:5], 0x18
	s_mul_i32 s20, s12, s26
	v_lshlrev_b32_e32 v2, 2, v0
	s_ashr_i32 s21, s20, 31
	v_and_b32_e32 v3, 0x3fc, v0
	s_lshl_b64 s[20:21], s[20:21], 1
	v_lshl_add_u32 v3, v1, 5, v3
	s_waitcnt lgkmcnt(0)
	s_add_u32 s12, s18, s20
	s_addc_u32 s17, s19, s21
	s_ashr_i32 s11, s10, 31
	s_lshl_b64 s[18:19], s[10:11], 1
	s_add_u32 s18, s12, s18
	s_addc_u32 s19, s17, s19
	global_load_dword v2, v2, s[18:19]
	s_waitcnt vmcnt(0)
	ds_write_b32 v3, v2
.LBB341_5:
	s_or_b32 exec_lo, exec_lo, s15
	s_add_i32 s11, s27, 7
	s_lshl_b32 s12, s8, 6
	s_ashr_i32 s15, s11, 31
	s_xor_b32 s1, s1, s7
	s_lshr_b32 s15, s15, 29
	s_add_i32 s7, s12, 64
	s_add_i32 s11, s11, s15
	s_mul_i32 s17, s3, s2
	s_ashr_i32 s15, s11, 3
	s_sub_i32 s16, s16, s17
	s_min_i32 s11, s7, s15
	s_clause 0x1
	s_load_dwordx2 s[28:29], s[4:5], 0x38
	s_load_dword s7, s[4:5], 0x48
	s_add_i32 s17, s3, 1
	s_sub_i32 s18, s16, s2
	s_cmp_ge_u32 s16, s2
	v_lshrrev_b32_e32 v22, 5, v0
	s_cselect_b32 s3, s17, s3
	s_cselect_b32 s16, s18, s16
	s_add_i32 s17, s3, 1
	s_cmp_ge_u32 s16, s2
	v_or_b32_e32 v9, s12, v22
	s_cselect_b32 s2, s17, s3
	v_mbcnt_lo_u32_b32 v11, -1, 0
	s_xor_b32 s2, s2, s1
	s_mov_b32 s3, exec_lo
	s_sub_i32 s2, s2, s1
	v_cmp_gt_i32_e64 s1, s11, v9
	s_waitcnt lgkmcnt(0)
	s_barrier
	buffer_gl0_inv
                                        ; implicit-def: $vgpr2
                                        ; implicit-def: $vgpr12
	s_mul_i32 s30, s7, s26
	s_ashr_i32 s31, s30, 31
	v_cmpx_le_i32_e64 s11, v9
	s_xor_b32 s3, exec_lo, s3
; %bb.6:
	v_mov_b32_e32 v2, 0
	v_mbcnt_lo_u32_b32 v11, -1, 0
	v_mov_b32_e32 v12, 32
                                        ; implicit-def: $vgpr1
; %bb.7:
	s_or_saveexec_b32 s38, s3
	s_clause 0x4
	s_load_dwordx4 s[20:23], s[4:5], 0x0
	s_load_dwordx2 s[24:25], s[4:5], 0x10
	s_load_dword s7, s[4:5], 0x98
	s_load_dwordx2 s[34:35], s[4:5], 0x28
	s_load_dwordx4 s[16:19], s[4:5], 0x68
	v_mov_b32_e32 v29, 0xff7fffff
	v_ashrrev_i32_e32 v10, 31, v9
	v_lshlrev_b32_e32 v14, 3, v22
	s_mul_i32 s14, s2, s14
	s_xor_b32 exec_lo, exec_lo, s38
	s_cbranch_execz .LBB341_141
; %bb.8:
	v_lshlrev_b32_e32 v2, 5, v1
	s_load_dwordx2 s[2:3], s[4:5], 0x20
	v_bfe_u32 v7, v0, 2, 3
	s_waitcnt lgkmcnt(0)
	s_load_dword s5, s[16:17], 0x0
	s_ashr_i32 s4, s14, 31
	ds_read_b128 v[3:6], v2
	ds_read_b128 v[26:29], v2 offset:16
	v_lshlrev_b32_e32 v8, 4, v7
	v_lshlrev_b32_e32 v34, 1, v1
	v_mov_b32_e32 v2, 0
	v_mov_b32_e32 v12, 32
	;; [unrolled: 1-line block ×5, first 2 shown]
	s_mov_b32 s39, s13
	s_mov_b32 s17, 0
	s_add_u32 s2, s2, s14
	s_addc_u32 s3, s3, s4
	v_add_co_u32 v8, s2, s2, v8
	s_waitcnt lgkmcnt(0)
	v_lshlrev_b32_e32 v13, 16, v3
	v_and_b32_e32 v15, 0xffff0000, v3
	v_xor_b32_e32 v3, 2, v11
	v_lshlrev_b32_e32 v16, 16, v4
	v_and_b32_e32 v17, 0xffff0000, v4
	v_xor_b32_e32 v4, 1, v11
	v_add_co_ci_u32_e64 v35, null, s3, 0, s2
	v_cmp_gt_i32_e32 vcc_lo, 32, v3
	v_lshlrev_b32_e32 v18, 16, v5
	v_and_b32_e32 v19, 0xffff0000, v5
	v_lshlrev_b32_e32 v20, 16, v6
	v_and_b32_e32 v21, 0xffff0000, v6
	v_cndmask_b32_e32 v3, v11, v3, vcc_lo
	v_cmp_gt_i32_e32 vcc_lo, 32, v4
	v_lshlrev_b64 v[5:6], 2, v[9:10]
	s_lshl_b64 s[40:41], s[30:31], 2
	s_sub_i32 s16, 1, s27
	v_lshlrev_b32_e32 v32, 2, v3
	v_cndmask_b32_e32 v4, v11, v4, vcc_lo
	v_cmp_eq_u32_e32 vcc_lo, 0, v1
	v_lshlrev_b32_e32 v1, 2, v7
	v_add_co_u32 v3, s3, v8, v34
	v_lshlrev_b32_e32 v33, 2, v4
	v_add_co_ci_u32_e64 v4, null, 0, v35, s3
	v_lshl_or_b32 v1, v22, 5, v1
	s_add_u32 s3, s28, s40
	s_addc_u32 s4, s29, s41
	v_add_co_u32 v5, s3, s3, v5
	v_lshlrev_b32_e32 v23, 16, v26
	v_and_b32_e32 v24, 0xffff0000, v26
	v_lshlrev_b32_e32 v25, 16, v27
	v_and_b32_e32 v26, 0xffff0000, v27
	v_lshlrev_b32_e32 v27, 16, v28
	v_and_b32_e32 v28, 0xffff0000, v28
	v_lshlrev_b32_e32 v30, 16, v29
	v_and_b32_e32 v31, 0xffff0000, v29
	v_cmp_neq_f32_e64 s2, s36, 0
	v_add3_u32 v34, s33, v14, v7
	v_add_nc_u32_e32 v35, 0xa0, v1
	v_add_co_ci_u32_e64 v6, null, s4, v6, s3
	v_mov_b32_e32 v29, 0xff7fffff
	s_branch .LBB341_10
.LBB341_9:                              ;   in Loop: Header=BB341_10 Depth=1
	s_or_b32 exec_lo, exec_lo, s4
	v_add_nc_u32_e32 v38, 4, v38
	v_add_co_u32 v5, s4, v5, 16
	v_add_nc_u32_e32 v34, 32, v34
	v_add_nc_u32_e32 v35, 0x80, v35
	v_cmp_le_i32_e64 s3, s11, v38
	v_add_co_ci_u32_e64 v6, null, 0, v6, s4
	s_or_b32 s17, s3, s17
	s_andn2_b32 exec_lo, exec_lo, s17
	s_cbranch_execz .LBB341_140
.LBB341_10:                             ; =>This Inner Loop Header: Depth=1
	global_load_dword v1, v[5:6], off
	v_mov_b32_e32 v39, 0
	s_waitcnt vmcnt(0) lgkmcnt(0)
	v_mad_i64_i32 v[7:8], null, v1, s39, v[3:4]
	global_load_ushort v1, v[7:8], off
	s_waitcnt vmcnt(0)
	v_and_b32_e32 v41, 0xffff, v1
	v_cmp_ne_u16_sdwa s3, v1, v2 src0_sel:BYTE_0 src1_sel:DWORD
	s_and_saveexec_b32 s4, s3
	s_cbranch_execz .LBB341_18
; %bb.11:                               ;   in Loop: Header=BB341_10 Depth=1
	v_cmp_ne_u16_sdwa s3, v41, v36 src0_sel:BYTE_0 src1_sel:DWORD
	v_bfrev_b32_e32 v39, 1
	s_and_saveexec_b32 s40, s3
	s_cbranch_execz .LBB341_17
; %bb.12:                               ;   in Loop: Header=BB341_10 Depth=1
	v_and_b32_e32 v40, 0x7f, v41
	v_mov_b32_e32 v39, 0x7f800001
	s_mov_b32 s41, exec_lo
	v_cmpx_ne_u32_e32 0x7f, v40
	s_cbranch_execz .LBB341_16
; %bb.13:                               ;   in Loop: Header=BB341_10 Depth=1
	v_and_b32_e32 v1, 7, v41
	v_lshrrev_b32_e32 v39, 3, v40
	s_mov_b32 s42, exec_lo
	v_cmpx_gt_u32_e32 8, v40
; %bb.14:                               ;   in Loop: Header=BB341_10 Depth=1
	v_ffbh_u32_e32 v39, v1
	v_min_u32_e32 v39, 32, v39
	v_subrev_nc_u32_e32 v40, 28, v39
	v_sub_nc_u32_e32 v39, 29, v39
	v_lshlrev_b64 v[42:43], v40, v[1:2]
	v_and_b32_e32 v1, 7, v42
; %bb.15:                               ;   in Loop: Header=BB341_10 Depth=1
	s_or_b32 exec_lo, exec_lo, s42
	v_lshlrev_b32_e32 v40, 24, v41
	v_lshlrev_b32_e32 v1, 20, v1
	v_lshl_add_u32 v39, v39, 23, 0x3c000000
	v_and_b32_e32 v40, 0x80000000, v40
	v_or3_b32 v39, v1, v40, v39
.LBB341_16:                             ;   in Loop: Header=BB341_10 Depth=1
	s_or_b32 exec_lo, exec_lo, s41
.LBB341_17:                             ;   in Loop: Header=BB341_10 Depth=1
	s_or_b32 exec_lo, exec_lo, s40
.LBB341_18:                             ;   in Loop: Header=BB341_10 Depth=1
	s_or_b32 exec_lo, exec_lo, s4
	v_cmp_ne_u16_sdwa s3, v41, v2 src0_sel:BYTE_1 src1_sel:DWORD
	v_mov_b32_e32 v40, 0
	s_and_saveexec_b32 s4, s3
	s_cbranch_execz .LBB341_26
; %bb.19:                               ;   in Loop: Header=BB341_10 Depth=1
	v_cmp_ne_u16_sdwa s3, v41, v36 src0_sel:BYTE_1 src1_sel:DWORD
	v_bfrev_b32_e32 v40, 1
	s_and_saveexec_b32 s40, s3
	s_cbranch_execz .LBB341_25
; %bb.20:                               ;   in Loop: Header=BB341_10 Depth=1
	v_and_b32_sdwa v1, v37, v41 dst_sel:DWORD dst_unused:UNUSED_PAD src0_sel:DWORD src1_sel:BYTE_1
	v_mov_b32_e32 v40, 0x7f800001
	s_mov_b32 s41, exec_lo
	v_and_b32_e32 v42, 0x7f, v1
	v_cmpx_ne_u32_e32 0x7f, v42
	s_cbranch_execz .LBB341_24
; %bb.21:                               ;   in Loop: Header=BB341_10 Depth=1
	v_and_b32_e32 v1, 7, v1
	v_lshrrev_b32_e32 v40, 3, v42
	s_mov_b32 s42, exec_lo
	v_cmpx_gt_u32_e32 8, v42
; %bb.22:                               ;   in Loop: Header=BB341_10 Depth=1
	v_ffbh_u32_e32 v40, v1
	v_min_u32_e32 v40, 32, v40
	v_subrev_nc_u32_e32 v42, 28, v40
	v_sub_nc_u32_e32 v40, 29, v40
	v_lshlrev_b64 v[42:43], v42, v[1:2]
	v_and_b32_e32 v1, 7, v42
; %bb.23:                               ;   in Loop: Header=BB341_10 Depth=1
	s_or_b32 exec_lo, exec_lo, s42
	v_lshlrev_b32_e32 v41, 16, v41
	v_lshlrev_b32_e32 v1, 20, v1
	v_lshl_add_u32 v40, v40, 23, 0x3c000000
	v_and_b32_e32 v41, 0x80000000, v41
	v_or3_b32 v40, v1, v41, v40
.LBB341_24:                             ;   in Loop: Header=BB341_10 Depth=1
	s_or_b32 exec_lo, exec_lo, s41
.LBB341_25:                             ;   in Loop: Header=BB341_10 Depth=1
	s_or_b32 exec_lo, exec_lo, s40
.LBB341_26:                             ;   in Loop: Header=BB341_10 Depth=1
	s_or_b32 exec_lo, exec_lo, s4
	global_load_ushort v1, v[7:8], off offset:8
	v_mov_b32_e32 v42, 0
	v_mov_b32_e32 v41, 0
	s_waitcnt vmcnt(0)
	v_and_b32_e32 v43, 0xffff, v1
	v_cmp_ne_u16_sdwa s3, v1, v2 src0_sel:BYTE_0 src1_sel:DWORD
	s_and_saveexec_b32 s4, s3
	s_cbranch_execz .LBB341_34
; %bb.27:                               ;   in Loop: Header=BB341_10 Depth=1
	v_cmp_ne_u16_sdwa s3, v43, v36 src0_sel:BYTE_0 src1_sel:DWORD
	v_bfrev_b32_e32 v41, 1
	s_and_saveexec_b32 s40, s3
	s_cbranch_execz .LBB341_33
; %bb.28:                               ;   in Loop: Header=BB341_10 Depth=1
	v_and_b32_e32 v44, 0x7f, v43
	v_mov_b32_e32 v41, 0x7f800001
	s_mov_b32 s41, exec_lo
	v_cmpx_ne_u32_e32 0x7f, v44
	s_cbranch_execz .LBB341_32
; %bb.29:                               ;   in Loop: Header=BB341_10 Depth=1
	v_and_b32_e32 v1, 7, v43
	v_lshrrev_b32_e32 v41, 3, v44
	s_mov_b32 s42, exec_lo
	v_cmpx_gt_u32_e32 8, v44
; %bb.30:                               ;   in Loop: Header=BB341_10 Depth=1
	v_ffbh_u32_e32 v41, v1
	v_min_u32_e32 v41, 32, v41
	v_subrev_nc_u32_e32 v44, 28, v41
	v_sub_nc_u32_e32 v41, 29, v41
	v_lshlrev_b64 v[44:45], v44, v[1:2]
	v_and_b32_e32 v1, 7, v44
; %bb.31:                               ;   in Loop: Header=BB341_10 Depth=1
	s_or_b32 exec_lo, exec_lo, s42
	v_lshlrev_b32_e32 v44, 24, v43
	v_lshlrev_b32_e32 v1, 20, v1
	v_lshl_add_u32 v41, v41, 23, 0x3c000000
	v_and_b32_e32 v44, 0x80000000, v44
	v_or3_b32 v41, v1, v44, v41
.LBB341_32:                             ;   in Loop: Header=BB341_10 Depth=1
	s_or_b32 exec_lo, exec_lo, s41
.LBB341_33:                             ;   in Loop: Header=BB341_10 Depth=1
	s_or_b32 exec_lo, exec_lo, s40
.LBB341_34:                             ;   in Loop: Header=BB341_10 Depth=1
	s_or_b32 exec_lo, exec_lo, s4
	v_cmp_ne_u16_sdwa s3, v43, v2 src0_sel:BYTE_1 src1_sel:DWORD
	s_and_saveexec_b32 s4, s3
	s_cbranch_execz .LBB341_42
; %bb.35:                               ;   in Loop: Header=BB341_10 Depth=1
	v_cmp_ne_u16_sdwa s3, v43, v36 src0_sel:BYTE_1 src1_sel:DWORD
	v_bfrev_b32_e32 v42, 1
	s_and_saveexec_b32 s40, s3
	s_cbranch_execz .LBB341_41
; %bb.36:                               ;   in Loop: Header=BB341_10 Depth=1
	v_and_b32_sdwa v1, v37, v43 dst_sel:DWORD dst_unused:UNUSED_PAD src0_sel:DWORD src1_sel:BYTE_1
	v_mov_b32_e32 v42, 0x7f800001
	s_mov_b32 s41, exec_lo
	v_and_b32_e32 v44, 0x7f, v1
	v_cmpx_ne_u32_e32 0x7f, v44
	s_cbranch_execz .LBB341_40
; %bb.37:                               ;   in Loop: Header=BB341_10 Depth=1
	v_and_b32_e32 v1, 7, v1
	v_lshrrev_b32_e32 v42, 3, v44
	s_mov_b32 s42, exec_lo
	v_cmpx_gt_u32_e32 8, v44
; %bb.38:                               ;   in Loop: Header=BB341_10 Depth=1
	v_ffbh_u32_e32 v42, v1
	v_min_u32_e32 v42, 32, v42
	v_subrev_nc_u32_e32 v44, 28, v42
	v_sub_nc_u32_e32 v42, 29, v42
	v_lshlrev_b64 v[44:45], v44, v[1:2]
	v_and_b32_e32 v1, 7, v44
; %bb.39:                               ;   in Loop: Header=BB341_10 Depth=1
	s_or_b32 exec_lo, exec_lo, s42
	v_lshlrev_b32_e32 v43, 16, v43
	v_lshlrev_b32_e32 v1, 20, v1
	v_lshl_add_u32 v42, v42, 23, 0x3c000000
	v_and_b32_e32 v43, 0x80000000, v43
	v_or3_b32 v42, v1, v43, v42
.LBB341_40:                             ;   in Loop: Header=BB341_10 Depth=1
	s_or_b32 exec_lo, exec_lo, s41
.LBB341_41:                             ;   in Loop: Header=BB341_10 Depth=1
	s_or_b32 exec_lo, exec_lo, s40
.LBB341_42:                             ;   in Loop: Header=BB341_10 Depth=1
	s_or_b32 exec_lo, exec_lo, s4
	global_load_ushort v1, v[7:8], off offset:128
	v_mov_b32_e32 v44, 0
	v_mov_b32_e32 v43, 0
	s_waitcnt vmcnt(0)
	v_and_b32_e32 v45, 0xffff, v1
	v_cmp_ne_u16_sdwa s3, v1, v2 src0_sel:BYTE_0 src1_sel:DWORD
	s_and_saveexec_b32 s4, s3
	s_cbranch_execz .LBB341_50
; %bb.43:                               ;   in Loop: Header=BB341_10 Depth=1
	v_cmp_ne_u16_sdwa s3, v45, v36 src0_sel:BYTE_0 src1_sel:DWORD
	v_bfrev_b32_e32 v43, 1
	s_and_saveexec_b32 s40, s3
	s_cbranch_execz .LBB341_49
; %bb.44:                               ;   in Loop: Header=BB341_10 Depth=1
	v_and_b32_e32 v46, 0x7f, v45
	v_mov_b32_e32 v43, 0x7f800001
	s_mov_b32 s41, exec_lo
	v_cmpx_ne_u32_e32 0x7f, v46
	s_cbranch_execz .LBB341_48
; %bb.45:                               ;   in Loop: Header=BB341_10 Depth=1
	v_and_b32_e32 v1, 7, v45
	v_lshrrev_b32_e32 v43, 3, v46
	s_mov_b32 s42, exec_lo
	v_cmpx_gt_u32_e32 8, v46
; %bb.46:                               ;   in Loop: Header=BB341_10 Depth=1
	v_ffbh_u32_e32 v43, v1
	v_min_u32_e32 v43, 32, v43
	v_subrev_nc_u32_e32 v46, 28, v43
	v_sub_nc_u32_e32 v43, 29, v43
	v_lshlrev_b64 v[46:47], v46, v[1:2]
	v_and_b32_e32 v1, 7, v46
; %bb.47:                               ;   in Loop: Header=BB341_10 Depth=1
	s_or_b32 exec_lo, exec_lo, s42
	v_lshlrev_b32_e32 v46, 24, v45
	v_lshlrev_b32_e32 v1, 20, v1
	v_lshl_add_u32 v43, v43, 23, 0x3c000000
	v_and_b32_e32 v46, 0x80000000, v46
	v_or3_b32 v43, v1, v46, v43
.LBB341_48:                             ;   in Loop: Header=BB341_10 Depth=1
	s_or_b32 exec_lo, exec_lo, s41
.LBB341_49:                             ;   in Loop: Header=BB341_10 Depth=1
	s_or_b32 exec_lo, exec_lo, s40
.LBB341_50:                             ;   in Loop: Header=BB341_10 Depth=1
	s_or_b32 exec_lo, exec_lo, s4
	v_cmp_ne_u16_sdwa s3, v45, v2 src0_sel:BYTE_1 src1_sel:DWORD
	s_and_saveexec_b32 s4, s3
	s_cbranch_execz .LBB341_58
; %bb.51:                               ;   in Loop: Header=BB341_10 Depth=1
	v_cmp_ne_u16_sdwa s3, v45, v36 src0_sel:BYTE_1 src1_sel:DWORD
	v_bfrev_b32_e32 v44, 1
	s_and_saveexec_b32 s40, s3
	s_cbranch_execz .LBB341_57
; %bb.52:                               ;   in Loop: Header=BB341_10 Depth=1
	v_and_b32_sdwa v1, v37, v45 dst_sel:DWORD dst_unused:UNUSED_PAD src0_sel:DWORD src1_sel:BYTE_1
	v_mov_b32_e32 v44, 0x7f800001
	s_mov_b32 s41, exec_lo
	v_and_b32_e32 v46, 0x7f, v1
	v_cmpx_ne_u32_e32 0x7f, v46
	s_cbranch_execz .LBB341_56
; %bb.53:                               ;   in Loop: Header=BB341_10 Depth=1
	v_and_b32_e32 v1, 7, v1
	v_lshrrev_b32_e32 v44, 3, v46
	s_mov_b32 s42, exec_lo
	v_cmpx_gt_u32_e32 8, v46
; %bb.54:                               ;   in Loop: Header=BB341_10 Depth=1
	v_ffbh_u32_e32 v44, v1
	v_min_u32_e32 v44, 32, v44
	v_subrev_nc_u32_e32 v46, 28, v44
	v_sub_nc_u32_e32 v44, 29, v44
	v_lshlrev_b64 v[46:47], v46, v[1:2]
	v_and_b32_e32 v1, 7, v46
; %bb.55:                               ;   in Loop: Header=BB341_10 Depth=1
	s_or_b32 exec_lo, exec_lo, s42
	v_lshlrev_b32_e32 v45, 16, v45
	v_lshlrev_b32_e32 v1, 20, v1
	v_lshl_add_u32 v44, v44, 23, 0x3c000000
	v_and_b32_e32 v45, 0x80000000, v45
	v_or3_b32 v44, v1, v45, v44
.LBB341_56:                             ;   in Loop: Header=BB341_10 Depth=1
	s_or_b32 exec_lo, exec_lo, s41
.LBB341_57:                             ;   in Loop: Header=BB341_10 Depth=1
	s_or_b32 exec_lo, exec_lo, s40
.LBB341_58:                             ;   in Loop: Header=BB341_10 Depth=1
	s_or_b32 exec_lo, exec_lo, s4
	global_load_ushort v1, v[7:8], off offset:136
	v_mov_b32_e32 v46, 0
	v_mov_b32_e32 v45, 0
	s_waitcnt vmcnt(0)
	v_and_b32_e32 v47, 0xffff, v1
	v_cmp_ne_u16_sdwa s3, v1, v2 src0_sel:BYTE_0 src1_sel:DWORD
	s_and_saveexec_b32 s4, s3
	s_cbranch_execz .LBB341_66
; %bb.59:                               ;   in Loop: Header=BB341_10 Depth=1
	v_cmp_ne_u16_sdwa s3, v47, v36 src0_sel:BYTE_0 src1_sel:DWORD
	v_bfrev_b32_e32 v45, 1
	s_and_saveexec_b32 s40, s3
	s_cbranch_execz .LBB341_65
; %bb.60:                               ;   in Loop: Header=BB341_10 Depth=1
	v_and_b32_e32 v48, 0x7f, v47
	v_mov_b32_e32 v45, 0x7f800001
	s_mov_b32 s41, exec_lo
	v_cmpx_ne_u32_e32 0x7f, v48
	s_cbranch_execz .LBB341_64
; %bb.61:                               ;   in Loop: Header=BB341_10 Depth=1
	v_and_b32_e32 v1, 7, v47
	v_lshrrev_b32_e32 v45, 3, v48
	s_mov_b32 s42, exec_lo
	v_cmpx_gt_u32_e32 8, v48
; %bb.62:                               ;   in Loop: Header=BB341_10 Depth=1
	v_ffbh_u32_e32 v45, v1
	v_min_u32_e32 v45, 32, v45
	v_subrev_nc_u32_e32 v48, 28, v45
	v_sub_nc_u32_e32 v45, 29, v45
	v_lshlrev_b64 v[48:49], v48, v[1:2]
	v_and_b32_e32 v1, 7, v48
; %bb.63:                               ;   in Loop: Header=BB341_10 Depth=1
	s_or_b32 exec_lo, exec_lo, s42
	v_lshlrev_b32_e32 v48, 24, v47
	v_lshlrev_b32_e32 v1, 20, v1
	v_lshl_add_u32 v45, v45, 23, 0x3c000000
	v_and_b32_e32 v48, 0x80000000, v48
	v_or3_b32 v45, v1, v48, v45
.LBB341_64:                             ;   in Loop: Header=BB341_10 Depth=1
	s_or_b32 exec_lo, exec_lo, s41
.LBB341_65:                             ;   in Loop: Header=BB341_10 Depth=1
	s_or_b32 exec_lo, exec_lo, s40
.LBB341_66:                             ;   in Loop: Header=BB341_10 Depth=1
	s_or_b32 exec_lo, exec_lo, s4
	v_cmp_ne_u16_sdwa s3, v47, v2 src0_sel:BYTE_1 src1_sel:DWORD
	s_and_saveexec_b32 s4, s3
	s_cbranch_execz .LBB341_74
; %bb.67:                               ;   in Loop: Header=BB341_10 Depth=1
	v_cmp_ne_u16_sdwa s3, v47, v36 src0_sel:BYTE_1 src1_sel:DWORD
	v_bfrev_b32_e32 v46, 1
	s_and_saveexec_b32 s40, s3
	s_cbranch_execz .LBB341_73
; %bb.68:                               ;   in Loop: Header=BB341_10 Depth=1
	v_and_b32_sdwa v1, v37, v47 dst_sel:DWORD dst_unused:UNUSED_PAD src0_sel:DWORD src1_sel:BYTE_1
	v_mov_b32_e32 v46, 0x7f800001
	s_mov_b32 s41, exec_lo
	v_and_b32_e32 v48, 0x7f, v1
	v_cmpx_ne_u32_e32 0x7f, v48
	s_cbranch_execz .LBB341_72
; %bb.69:                               ;   in Loop: Header=BB341_10 Depth=1
	v_and_b32_e32 v1, 7, v1
	v_lshrrev_b32_e32 v46, 3, v48
	s_mov_b32 s42, exec_lo
	v_cmpx_gt_u32_e32 8, v48
; %bb.70:                               ;   in Loop: Header=BB341_10 Depth=1
	v_ffbh_u32_e32 v46, v1
	v_min_u32_e32 v46, 32, v46
	v_subrev_nc_u32_e32 v48, 28, v46
	v_sub_nc_u32_e32 v46, 29, v46
	v_lshlrev_b64 v[48:49], v48, v[1:2]
	v_and_b32_e32 v1, 7, v48
; %bb.71:                               ;   in Loop: Header=BB341_10 Depth=1
	s_or_b32 exec_lo, exec_lo, s42
	v_lshlrev_b32_e32 v47, 16, v47
	v_lshlrev_b32_e32 v1, 20, v1
	v_lshl_add_u32 v46, v46, 23, 0x3c000000
	v_and_b32_e32 v47, 0x80000000, v47
	v_or3_b32 v46, v1, v47, v46
.LBB341_72:                             ;   in Loop: Header=BB341_10 Depth=1
	s_or_b32 exec_lo, exec_lo, s41
.LBB341_73:                             ;   in Loop: Header=BB341_10 Depth=1
	s_or_b32 exec_lo, exec_lo, s40
.LBB341_74:                             ;   in Loop: Header=BB341_10 Depth=1
	s_or_b32 exec_lo, exec_lo, s4
	global_load_ushort v1, v[7:8], off offset:256
	v_mov_b32_e32 v48, 0
	v_mov_b32_e32 v47, 0
	s_waitcnt vmcnt(0)
	v_and_b32_e32 v49, 0xffff, v1
	v_cmp_ne_u16_sdwa s3, v1, v2 src0_sel:BYTE_0 src1_sel:DWORD
	s_and_saveexec_b32 s4, s3
	s_cbranch_execz .LBB341_82
; %bb.75:                               ;   in Loop: Header=BB341_10 Depth=1
	v_cmp_ne_u16_sdwa s3, v49, v36 src0_sel:BYTE_0 src1_sel:DWORD
	v_bfrev_b32_e32 v47, 1
	s_and_saveexec_b32 s40, s3
	s_cbranch_execz .LBB341_81
; %bb.76:                               ;   in Loop: Header=BB341_10 Depth=1
	v_and_b32_e32 v50, 0x7f, v49
	v_mov_b32_e32 v47, 0x7f800001
	s_mov_b32 s41, exec_lo
	v_cmpx_ne_u32_e32 0x7f, v50
	s_cbranch_execz .LBB341_80
; %bb.77:                               ;   in Loop: Header=BB341_10 Depth=1
	v_and_b32_e32 v1, 7, v49
	v_lshrrev_b32_e32 v47, 3, v50
	s_mov_b32 s42, exec_lo
	v_cmpx_gt_u32_e32 8, v50
; %bb.78:                               ;   in Loop: Header=BB341_10 Depth=1
	v_ffbh_u32_e32 v47, v1
	v_min_u32_e32 v47, 32, v47
	v_subrev_nc_u32_e32 v50, 28, v47
	v_sub_nc_u32_e32 v47, 29, v47
	v_lshlrev_b64 v[50:51], v50, v[1:2]
	v_and_b32_e32 v1, 7, v50
; %bb.79:                               ;   in Loop: Header=BB341_10 Depth=1
	s_or_b32 exec_lo, exec_lo, s42
	v_lshlrev_b32_e32 v50, 24, v49
	v_lshlrev_b32_e32 v1, 20, v1
	v_lshl_add_u32 v47, v47, 23, 0x3c000000
	v_and_b32_e32 v50, 0x80000000, v50
	v_or3_b32 v47, v1, v50, v47
.LBB341_80:                             ;   in Loop: Header=BB341_10 Depth=1
	s_or_b32 exec_lo, exec_lo, s41
.LBB341_81:                             ;   in Loop: Header=BB341_10 Depth=1
	s_or_b32 exec_lo, exec_lo, s40
.LBB341_82:                             ;   in Loop: Header=BB341_10 Depth=1
	s_or_b32 exec_lo, exec_lo, s4
	v_cmp_ne_u16_sdwa s3, v49, v2 src0_sel:BYTE_1 src1_sel:DWORD
	s_and_saveexec_b32 s4, s3
	s_cbranch_execz .LBB341_90
; %bb.83:                               ;   in Loop: Header=BB341_10 Depth=1
	v_cmp_ne_u16_sdwa s3, v49, v36 src0_sel:BYTE_1 src1_sel:DWORD
	v_bfrev_b32_e32 v48, 1
	s_and_saveexec_b32 s40, s3
	s_cbranch_execz .LBB341_89
; %bb.84:                               ;   in Loop: Header=BB341_10 Depth=1
	v_and_b32_sdwa v1, v37, v49 dst_sel:DWORD dst_unused:UNUSED_PAD src0_sel:DWORD src1_sel:BYTE_1
	v_mov_b32_e32 v48, 0x7f800001
	s_mov_b32 s41, exec_lo
	v_and_b32_e32 v50, 0x7f, v1
	v_cmpx_ne_u32_e32 0x7f, v50
	s_cbranch_execz .LBB341_88
; %bb.85:                               ;   in Loop: Header=BB341_10 Depth=1
	v_and_b32_e32 v1, 7, v1
	v_lshrrev_b32_e32 v48, 3, v50
	s_mov_b32 s42, exec_lo
	v_cmpx_gt_u32_e32 8, v50
; %bb.86:                               ;   in Loop: Header=BB341_10 Depth=1
	v_ffbh_u32_e32 v48, v1
	v_min_u32_e32 v48, 32, v48
	v_subrev_nc_u32_e32 v50, 28, v48
	v_sub_nc_u32_e32 v48, 29, v48
	v_lshlrev_b64 v[50:51], v50, v[1:2]
	v_and_b32_e32 v1, 7, v50
; %bb.87:                               ;   in Loop: Header=BB341_10 Depth=1
	s_or_b32 exec_lo, exec_lo, s42
	v_lshlrev_b32_e32 v49, 16, v49
	v_lshlrev_b32_e32 v1, 20, v1
	v_lshl_add_u32 v48, v48, 23, 0x3c000000
	v_and_b32_e32 v49, 0x80000000, v49
	v_or3_b32 v48, v1, v49, v48
.LBB341_88:                             ;   in Loop: Header=BB341_10 Depth=1
	s_or_b32 exec_lo, exec_lo, s41
.LBB341_89:                             ;   in Loop: Header=BB341_10 Depth=1
	s_or_b32 exec_lo, exec_lo, s40
.LBB341_90:                             ;   in Loop: Header=BB341_10 Depth=1
	s_or_b32 exec_lo, exec_lo, s4
	global_load_ushort v1, v[7:8], off offset:264
	v_mov_b32_e32 v50, 0
	v_mov_b32_e32 v49, 0
	s_waitcnt vmcnt(0)
	v_and_b32_e32 v51, 0xffff, v1
	v_cmp_ne_u16_sdwa s3, v1, v2 src0_sel:BYTE_0 src1_sel:DWORD
	s_and_saveexec_b32 s4, s3
	s_cbranch_execz .LBB341_98
; %bb.91:                               ;   in Loop: Header=BB341_10 Depth=1
	v_cmp_ne_u16_sdwa s3, v51, v36 src0_sel:BYTE_0 src1_sel:DWORD
	v_bfrev_b32_e32 v49, 1
	s_and_saveexec_b32 s40, s3
	s_cbranch_execz .LBB341_97
; %bb.92:                               ;   in Loop: Header=BB341_10 Depth=1
	v_and_b32_e32 v52, 0x7f, v51
	v_mov_b32_e32 v49, 0x7f800001
	s_mov_b32 s41, exec_lo
	v_cmpx_ne_u32_e32 0x7f, v52
	s_cbranch_execz .LBB341_96
; %bb.93:                               ;   in Loop: Header=BB341_10 Depth=1
	v_and_b32_e32 v1, 7, v51
	v_lshrrev_b32_e32 v49, 3, v52
	s_mov_b32 s42, exec_lo
	v_cmpx_gt_u32_e32 8, v52
; %bb.94:                               ;   in Loop: Header=BB341_10 Depth=1
	v_ffbh_u32_e32 v49, v1
	v_min_u32_e32 v49, 32, v49
	v_subrev_nc_u32_e32 v52, 28, v49
	v_sub_nc_u32_e32 v49, 29, v49
	v_lshlrev_b64 v[52:53], v52, v[1:2]
	v_and_b32_e32 v1, 7, v52
; %bb.95:                               ;   in Loop: Header=BB341_10 Depth=1
	s_or_b32 exec_lo, exec_lo, s42
	v_lshlrev_b32_e32 v52, 24, v51
	v_lshlrev_b32_e32 v1, 20, v1
	v_lshl_add_u32 v49, v49, 23, 0x3c000000
	v_and_b32_e32 v52, 0x80000000, v52
	v_or3_b32 v49, v1, v52, v49
.LBB341_96:                             ;   in Loop: Header=BB341_10 Depth=1
	s_or_b32 exec_lo, exec_lo, s41
.LBB341_97:                             ;   in Loop: Header=BB341_10 Depth=1
	s_or_b32 exec_lo, exec_lo, s40
.LBB341_98:                             ;   in Loop: Header=BB341_10 Depth=1
	s_or_b32 exec_lo, exec_lo, s4
	v_cmp_ne_u16_sdwa s3, v51, v2 src0_sel:BYTE_1 src1_sel:DWORD
	s_and_saveexec_b32 s4, s3
	s_cbranch_execz .LBB341_106
; %bb.99:                               ;   in Loop: Header=BB341_10 Depth=1
	v_cmp_ne_u16_sdwa s3, v51, v36 src0_sel:BYTE_1 src1_sel:DWORD
	v_bfrev_b32_e32 v50, 1
	s_and_saveexec_b32 s40, s3
	s_cbranch_execz .LBB341_105
; %bb.100:                              ;   in Loop: Header=BB341_10 Depth=1
	v_and_b32_sdwa v1, v37, v51 dst_sel:DWORD dst_unused:UNUSED_PAD src0_sel:DWORD src1_sel:BYTE_1
	v_mov_b32_e32 v50, 0x7f800001
	s_mov_b32 s41, exec_lo
	v_and_b32_e32 v52, 0x7f, v1
	v_cmpx_ne_u32_e32 0x7f, v52
	s_cbranch_execz .LBB341_104
; %bb.101:                              ;   in Loop: Header=BB341_10 Depth=1
	v_and_b32_e32 v1, 7, v1
	v_lshrrev_b32_e32 v50, 3, v52
	s_mov_b32 s42, exec_lo
	v_cmpx_gt_u32_e32 8, v52
; %bb.102:                              ;   in Loop: Header=BB341_10 Depth=1
	v_ffbh_u32_e32 v50, v1
	v_min_u32_e32 v50, 32, v50
	v_subrev_nc_u32_e32 v52, 28, v50
	v_sub_nc_u32_e32 v50, 29, v50
	v_lshlrev_b64 v[52:53], v52, v[1:2]
	v_and_b32_e32 v1, 7, v52
; %bb.103:                              ;   in Loop: Header=BB341_10 Depth=1
	s_or_b32 exec_lo, exec_lo, s42
	v_lshlrev_b32_e32 v51, 16, v51
	v_lshlrev_b32_e32 v1, 20, v1
	v_lshl_add_u32 v50, v50, 23, 0x3c000000
	v_and_b32_e32 v51, 0x80000000, v51
	v_or3_b32 v50, v1, v51, v50
.LBB341_104:                            ;   in Loop: Header=BB341_10 Depth=1
	s_or_b32 exec_lo, exec_lo, s41
.LBB341_105:                            ;   in Loop: Header=BB341_10 Depth=1
	s_or_b32 exec_lo, exec_lo, s40
.LBB341_106:                            ;   in Loop: Header=BB341_10 Depth=1
	s_or_b32 exec_lo, exec_lo, s4
	global_load_ushort v1, v[7:8], off offset:384
	v_mov_b32_e32 v52, 0
	v_mov_b32_e32 v51, 0
	s_waitcnt vmcnt(0)
	v_and_b32_e32 v53, 0xffff, v1
	v_cmp_ne_u16_sdwa s3, v1, v2 src0_sel:BYTE_0 src1_sel:DWORD
	s_and_saveexec_b32 s4, s3
	s_cbranch_execz .LBB341_114
; %bb.107:                              ;   in Loop: Header=BB341_10 Depth=1
	v_cmp_ne_u16_sdwa s3, v53, v36 src0_sel:BYTE_0 src1_sel:DWORD
	v_bfrev_b32_e32 v51, 1
	s_and_saveexec_b32 s40, s3
	s_cbranch_execz .LBB341_113
; %bb.108:                              ;   in Loop: Header=BB341_10 Depth=1
	v_and_b32_e32 v54, 0x7f, v53
	v_mov_b32_e32 v51, 0x7f800001
	s_mov_b32 s41, exec_lo
	v_cmpx_ne_u32_e32 0x7f, v54
	s_cbranch_execz .LBB341_112
; %bb.109:                              ;   in Loop: Header=BB341_10 Depth=1
	v_and_b32_e32 v1, 7, v53
	v_lshrrev_b32_e32 v51, 3, v54
	s_mov_b32 s42, exec_lo
	v_cmpx_gt_u32_e32 8, v54
; %bb.110:                              ;   in Loop: Header=BB341_10 Depth=1
	v_ffbh_u32_e32 v51, v1
	v_min_u32_e32 v51, 32, v51
	v_subrev_nc_u32_e32 v54, 28, v51
	v_sub_nc_u32_e32 v51, 29, v51
	v_lshlrev_b64 v[54:55], v54, v[1:2]
	v_and_b32_e32 v1, 7, v54
; %bb.111:                              ;   in Loop: Header=BB341_10 Depth=1
	s_or_b32 exec_lo, exec_lo, s42
	v_lshlrev_b32_e32 v54, 24, v53
	v_lshlrev_b32_e32 v1, 20, v1
	v_lshl_add_u32 v51, v51, 23, 0x3c000000
	v_and_b32_e32 v54, 0x80000000, v54
	v_or3_b32 v51, v1, v54, v51
.LBB341_112:                            ;   in Loop: Header=BB341_10 Depth=1
	s_or_b32 exec_lo, exec_lo, s41
.LBB341_113:                            ;   in Loop: Header=BB341_10 Depth=1
	s_or_b32 exec_lo, exec_lo, s40
.LBB341_114:                            ;   in Loop: Header=BB341_10 Depth=1
	s_or_b32 exec_lo, exec_lo, s4
	v_cmp_ne_u16_sdwa s3, v53, v2 src0_sel:BYTE_1 src1_sel:DWORD
	s_and_saveexec_b32 s4, s3
	s_cbranch_execz .LBB341_122
; %bb.115:                              ;   in Loop: Header=BB341_10 Depth=1
	v_cmp_ne_u16_sdwa s3, v53, v36 src0_sel:BYTE_1 src1_sel:DWORD
	v_bfrev_b32_e32 v52, 1
	s_and_saveexec_b32 s40, s3
	s_cbranch_execz .LBB341_121
; %bb.116:                              ;   in Loop: Header=BB341_10 Depth=1
	v_and_b32_sdwa v1, v37, v53 dst_sel:DWORD dst_unused:UNUSED_PAD src0_sel:DWORD src1_sel:BYTE_1
	v_mov_b32_e32 v52, 0x7f800001
	s_mov_b32 s41, exec_lo
	v_and_b32_e32 v54, 0x7f, v1
	v_cmpx_ne_u32_e32 0x7f, v54
	s_cbranch_execz .LBB341_120
; %bb.117:                              ;   in Loop: Header=BB341_10 Depth=1
	v_and_b32_e32 v1, 7, v1
	v_lshrrev_b32_e32 v52, 3, v54
	s_mov_b32 s42, exec_lo
	v_cmpx_gt_u32_e32 8, v54
; %bb.118:                              ;   in Loop: Header=BB341_10 Depth=1
	v_ffbh_u32_e32 v52, v1
	v_min_u32_e32 v52, 32, v52
	v_subrev_nc_u32_e32 v54, 28, v52
	v_sub_nc_u32_e32 v52, 29, v52
	v_lshlrev_b64 v[54:55], v54, v[1:2]
	v_and_b32_e32 v1, 7, v54
; %bb.119:                              ;   in Loop: Header=BB341_10 Depth=1
	s_or_b32 exec_lo, exec_lo, s42
	v_lshlrev_b32_e32 v53, 16, v53
	v_lshlrev_b32_e32 v1, 20, v1
	v_lshl_add_u32 v52, v52, 23, 0x3c000000
	v_and_b32_e32 v53, 0x80000000, v53
	v_or3_b32 v52, v1, v53, v52
.LBB341_120:                            ;   in Loop: Header=BB341_10 Depth=1
	s_or_b32 exec_lo, exec_lo, s41
.LBB341_121:                            ;   in Loop: Header=BB341_10 Depth=1
	s_or_b32 exec_lo, exec_lo, s40
.LBB341_122:                            ;   in Loop: Header=BB341_10 Depth=1
	s_or_b32 exec_lo, exec_lo, s4
	global_load_ushort v1, v[7:8], off offset:392
	v_mov_b32_e32 v7, 0
	v_mov_b32_e32 v53, 0
	s_waitcnt vmcnt(0)
	v_and_b32_e32 v8, 0xffff, v1
	v_cmp_ne_u16_sdwa s3, v1, v2 src0_sel:BYTE_0 src1_sel:DWORD
	s_and_saveexec_b32 s4, s3
	s_cbranch_execz .LBB341_130
; %bb.123:                              ;   in Loop: Header=BB341_10 Depth=1
	v_cmp_ne_u16_sdwa s3, v8, v36 src0_sel:BYTE_0 src1_sel:DWORD
	v_bfrev_b32_e32 v53, 1
	s_and_saveexec_b32 s40, s3
	s_cbranch_execz .LBB341_129
; %bb.124:                              ;   in Loop: Header=BB341_10 Depth=1
	v_and_b32_e32 v54, 0x7f, v8
	v_mov_b32_e32 v53, 0x7f800001
	s_mov_b32 s41, exec_lo
	v_cmpx_ne_u32_e32 0x7f, v54
	s_cbranch_execz .LBB341_128
; %bb.125:                              ;   in Loop: Header=BB341_10 Depth=1
	v_and_b32_e32 v1, 7, v8
	v_lshrrev_b32_e32 v53, 3, v54
	s_mov_b32 s42, exec_lo
	v_cmpx_gt_u32_e32 8, v54
; %bb.126:                              ;   in Loop: Header=BB341_10 Depth=1
	v_ffbh_u32_e32 v53, v1
	v_min_u32_e32 v53, 32, v53
	v_subrev_nc_u32_e32 v54, 28, v53
	v_sub_nc_u32_e32 v53, 29, v53
	v_lshlrev_b64 v[54:55], v54, v[1:2]
	v_and_b32_e32 v1, 7, v54
; %bb.127:                              ;   in Loop: Header=BB341_10 Depth=1
	s_or_b32 exec_lo, exec_lo, s42
	v_lshlrev_b32_e32 v54, 24, v8
	v_lshlrev_b32_e32 v1, 20, v1
	v_lshl_add_u32 v53, v53, 23, 0x3c000000
	v_and_b32_e32 v54, 0x80000000, v54
	v_or3_b32 v53, v1, v54, v53
.LBB341_128:                            ;   in Loop: Header=BB341_10 Depth=1
	s_or_b32 exec_lo, exec_lo, s41
.LBB341_129:                            ;   in Loop: Header=BB341_10 Depth=1
	s_or_b32 exec_lo, exec_lo, s40
.LBB341_130:                            ;   in Loop: Header=BB341_10 Depth=1
	s_or_b32 exec_lo, exec_lo, s4
	v_cmp_ne_u16_sdwa s3, v8, v2 src0_sel:BYTE_1 src1_sel:DWORD
	s_and_saveexec_b32 s4, s3
	s_cbranch_execz .LBB341_138
; %bb.131:                              ;   in Loop: Header=BB341_10 Depth=1
	v_cmp_ne_u16_sdwa s3, v8, v36 src0_sel:BYTE_1 src1_sel:DWORD
	v_bfrev_b32_e32 v7, 1
	s_and_saveexec_b32 s40, s3
	s_cbranch_execz .LBB341_137
; %bb.132:                              ;   in Loop: Header=BB341_10 Depth=1
	v_and_b32_sdwa v1, v37, v8 dst_sel:DWORD dst_unused:UNUSED_PAD src0_sel:DWORD src1_sel:BYTE_1
	v_mov_b32_e32 v7, 0x7f800001
	s_mov_b32 s41, exec_lo
	v_and_b32_e32 v54, 0x7f, v1
	v_cmpx_ne_u32_e32 0x7f, v54
	s_cbranch_execz .LBB341_136
; %bb.133:                              ;   in Loop: Header=BB341_10 Depth=1
	v_and_b32_e32 v1, 7, v1
	v_lshrrev_b32_e32 v7, 3, v54
	s_mov_b32 s42, exec_lo
	v_cmpx_gt_u32_e32 8, v54
; %bb.134:                              ;   in Loop: Header=BB341_10 Depth=1
	v_ffbh_u32_e32 v7, v1
	v_min_u32_e32 v7, 32, v7
	v_subrev_nc_u32_e32 v54, 28, v7
	v_sub_nc_u32_e32 v7, 29, v7
	v_lshlrev_b64 v[54:55], v54, v[1:2]
	v_and_b32_e32 v1, 7, v54
; %bb.135:                              ;   in Loop: Header=BB341_10 Depth=1
	s_or_b32 exec_lo, exec_lo, s42
	v_lshlrev_b32_e32 v8, 16, v8
	v_lshlrev_b32_e32 v1, 20, v1
	v_lshl_add_u32 v7, v7, 23, 0x3c000000
	v_and_b32_e32 v8, 0x80000000, v8
	v_or3_b32 v7, v1, v8, v7
.LBB341_136:                            ;   in Loop: Header=BB341_10 Depth=1
	s_or_b32 exec_lo, exec_lo, s41
.LBB341_137:                            ;   in Loop: Header=BB341_10 Depth=1
	s_or_b32 exec_lo, exec_lo, s40
.LBB341_138:                            ;   in Loop: Header=BB341_10 Depth=1
	s_or_b32 exec_lo, exec_lo, s4
	v_mul_f32_e32 v1, s5, v53
	v_mul_f32_e32 v8, s5, v52
	;; [unrolled: 1-line block ×5, first 2 shown]
	v_bfe_u32 v52, v1, 16, 1
	v_bfe_u32 v53, v8, 16, 1
	v_or_b32_e32 v54, 0x400000, v1
	v_cmp_u_f32_e64 s3, v1, v1
	v_or_b32_e32 v55, 0x400000, v8
	v_add3_u32 v52, v52, v1, 0x7fff
	v_add3_u32 v53, v53, v8, 0x7fff
	v_bfe_u32 v57, v50, 16, 1
	v_bfe_u32 v58, v48, 16, 1
	v_mul_f32_e32 v46, s5, v46
	v_cndmask_b32_e64 v1, v52, v54, s3
	v_cmp_u_f32_e64 s3, v8, v8
	v_bfe_u32 v54, v49, 16, 1
	v_mul_f32_e32 v42, s5, v42
	v_or_b32_e32 v61, 0x400000, v46
	v_mul_f32_e32 v41, s5, v41
	v_cndmask_b32_e64 v8, v53, v55, s3
	v_add3_u32 v55, v57, v50, 0x7fff
	v_add3_u32 v54, v54, v49, 0x7fff
	v_or_b32_e32 v57, 0x400000, v49
	v_cmp_u_f32_e64 s3, v49, v49
	v_bfe_u32 v64, v42, 16, 1
	v_mul_f32_e32 v40, s5, v40
	v_or_b32_e32 v66, 0x400000, v42
	v_bfe_u32 v67, v41, 16, 1
	v_cndmask_b32_e64 v49, v54, v57, s3
	v_add3_u32 v54, v58, v48, 0x7fff
	v_bfe_u32 v58, v46, 16, 1
	v_cmp_u_f32_e64 s3, v46, v46
	v_add3_u32 v64, v64, v42, 0x7fff
	v_mul_f32_e32 v39, s5, v39
	v_bfe_u32 v68, v40, 16, 1
	v_add3_u32 v58, v58, v46, 0x7fff
	v_mul_f32_e32 v43, s5, v43
	v_or_b32_e32 v69, 0x400000, v40
	v_mul_f32_e32 v45, s5, v45
	v_add3_u32 v68, v68, v40, 0x7fff
	v_cndmask_b32_e64 v46, v58, v61, s3
	v_cmp_u_f32_e64 s3, v42, v42
	v_mul_f32_e32 v44, s5, v44
	v_bfe_u32 v58, v43, 16, 1
	v_or_b32_e32 v70, 0x400000, v39
	v_bfe_u32 v62, v45, 16, 1
	v_cndmask_b32_e64 v42, v64, v66, s3
	v_add3_u32 v66, v67, v41, 0x7fff
	v_or_b32_e32 v67, 0x400000, v41
	v_cmp_u_f32_e64 s3, v41, v41
	v_bfe_u32 v64, v39, 16, 1
	v_bfe_u32 v63, v44, 16, 1
	v_add3_u32 v58, v58, v43, 0x7fff
	v_or_b32_e32 v65, 0x400000, v43
	v_cndmask_b32_e64 v41, v66, v67, s3
	v_cmp_u_f32_e64 s3, v40, v40
	v_add3_u32 v64, v64, v39, 0x7fff
	v_mul_f32_e32 v47, s5, v47
	v_add3_u32 v61, v62, v45, 0x7fff
	v_add3_u32 v62, v63, v44, 0x7fff
	v_cndmask_b32_e64 v40, v68, v69, s3
	v_cmp_u_f32_e64 s3, v39, v39
	v_or_b32_e32 v63, 0x400000, v44
	v_and_b32_e32 v41, 0xffff0000, v41
	v_bfe_u32 v59, v47, 16, 1
	v_and_b32_e32 v42, 0xffff0000, v42
	v_cndmask_b32_e64 v39, v64, v70, s3
	v_cmp_u_f32_e64 s3, v43, v43
	v_mul_f32_e32 v41, v16, v41
	v_mul_f32_e32 v51, s5, v51
	v_add3_u32 v59, v59, v47, 0x7fff
	v_and_b32_e32 v39, 0xffff0000, v39
	v_cndmask_b32_e64 v43, v58, v65, s3
	v_cmp_u_f32_e64 s3, v44, v44
	v_or_b32_e32 v58, 0x400000, v45
	v_or_b32_e32 v60, 0x400000, v47
	v_and_b32_e32 v40, 0xffff0000, v40
	v_mul_f32_e32 v42, v17, v42
	v_cndmask_b32_e64 v44, v62, v63, s3
	v_cmp_u_f32_e64 s3, v45, v45
	v_fmac_f32_e32 v41, v13, v39
	v_and_b32_e32 v39, 0xffff0000, v43
	v_bfe_u32 v56, v51, 16, 1
	v_or_b32_e32 v57, 0x400000, v48
	v_cndmask_b32_e64 v43, v61, v58, s3
	v_cmp_u_f32_e64 s3, v47, v47
	v_fmac_f32_e32 v42, v15, v40
	v_and_b32_e32 v40, 0xffff0000, v44
	v_add3_u32 v52, v56, v51, 0x7fff
	v_or_b32_e32 v56, 0x400000, v50
	v_cndmask_b32_e64 v44, v59, v60, s3
	v_cmp_u_f32_e64 s3, v48, v48
	v_fmac_f32_e32 v41, v18, v39
	v_fmac_f32_e32 v42, v19, v40
	v_and_b32_e32 v39, 0xffff0000, v43
	v_and_b32_e32 v40, 0xffff0000, v46
	v_cndmask_b32_e64 v43, v54, v57, s3
	v_mul_f32_e32 v7, s5, v7
	v_cmp_u_f32_e64 s3, v50, v50
	v_or_b32_e32 v53, 0x400000, v51
	v_fmac_f32_e32 v41, v20, v39
	v_fmac_f32_e32 v42, v21, v40
	v_and_b32_e32 v39, 0xffff0000, v44
	v_and_b32_e32 v40, 0xffff0000, v43
	v_cndmask_b32_e64 v43, v55, v56, s3
	v_bfe_u32 v44, v7, 16, 1
	v_cmp_u_f32_e64 s3, v51, v51
	v_fmac_f32_e32 v41, v23, v39
	v_fmac_f32_e32 v42, v24, v40
	v_and_b32_e32 v39, 0xffff0000, v49
	v_and_b32_e32 v40, 0xffff0000, v43
	v_cndmask_b32_e64 v43, v52, v53, s3
	v_add3_u32 v44, v44, v7, 0x7fff
	v_or_b32_e32 v45, 0x400000, v7
	v_cmp_u_f32_e64 s3, v7, v7
	v_fmac_f32_e32 v41, v25, v39
	v_fmac_f32_e32 v42, v26, v40
	v_and_b32_e32 v39, 0xffff0000, v43
	v_and_b32_e32 v8, 0xffff0000, v8
	v_cndmask_b32_e64 v7, v44, v45, s3
	v_and_b32_e32 v1, 0xffff0000, v1
	v_fmac_f32_e32 v41, v27, v39
	v_fmac_f32_e32 v42, v28, v8
	v_and_b32_e32 v7, 0xffff0000, v7
	v_fmac_f32_e32 v41, v30, v1
	v_fmac_f32_e32 v42, v31, v7
	v_add_f32_e32 v1, v41, v42
	ds_bpermute_b32 v7, v32, v1
	s_waitcnt lgkmcnt(0)
	v_add_f32_e32 v1, v1, v7
	ds_bpermute_b32 v7, v33, v1
	s_and_saveexec_b32 s4, vcc_lo
	s_cbranch_execz .LBB341_9
; %bb.139:                              ;   in Loop: Header=BB341_10 Depth=1
	v_add_nc_u32_e32 v8, s16, v34
	s_waitcnt lgkmcnt(0)
	v_add_f32_e32 v1, v1, v7
	v_cmp_gt_i32_e64 s3, s27, v34
	v_cvt_f32_i32_e32 v8, v8
	v_mul_f32_e32 v8, s36, v8
	v_cndmask_b32_e64 v7, 0, v8, s2
	v_max_f32_e32 v8, v29, v29
	v_fmac_f32_e32 v7, s37, v1
	v_max_f32_e32 v1, v8, v7
	v_cndmask_b32_e64 v7, 0, v7, s3
	v_cndmask_b32_e64 v29, v29, v1, s3
	ds_write_b32 v35, v7
	s_branch .LBB341_9
.LBB341_140:
	s_or_b32 exec_lo, exec_lo, s17
.LBB341_141:
	s_or_b32 exec_lo, exec_lo, s38
	v_xor_b32_e32 v1, 16, v11
	v_xor_b32_e32 v4, 8, v11
	v_max_f32_e32 v5, v29, v29
	v_xor_b32_e32 v6, 4, v11
	v_and_b32_e32 v23, 31, v0
	v_cmp_lt_i32_e32 vcc_lo, v1, v12
	v_cndmask_b32_e32 v1, v11, v1, vcc_lo
	v_cmp_lt_i32_e32 vcc_lo, v4, v12
	v_lshlrev_b32_e32 v3, 2, v1
	v_cndmask_b32_e32 v4, v11, v4, vcc_lo
	v_cmp_lt_i32_e32 vcc_lo, v6, v12
	ds_bpermute_b32 v1, v3, v29
	v_lshlrev_b32_e32 v4, 2, v4
	v_cndmask_b32_e32 v6, v11, v6, vcc_lo
	v_cmp_eq_u32_e32 vcc_lo, 0, v23
	s_waitcnt lgkmcnt(0)
	v_lshlrev_b32_e32 v7, 2, v6
	v_max_f32_e32 v1, v1, v1
	v_max_f32_e32 v1, v5, v1
	ds_bpermute_b32 v5, v4, v1
	s_waitcnt lgkmcnt(0)
	v_max_f32_e32 v5, v5, v5
	v_max_f32_e32 v1, v1, v5
	v_lshlrev_b32_e32 v5, 2, v22
	ds_bpermute_b32 v6, v7, v1
	s_and_saveexec_b32 s2, vcc_lo
	s_cbranch_execz .LBB341_143
; %bb.142:
	s_waitcnt lgkmcnt(0)
	v_max_f32_e32 v6, v6, v6
	v_max_f32_e32 v1, v1, v1
	;; [unrolled: 1-line block ×3, first 2 shown]
	ds_write_b32 v5, v1 offset:128
.LBB341_143:
	s_or_b32 exec_lo, exec_lo, s2
	v_cmp_gt_u32_e64 s2, 4, v23
	v_mov_b32_e32 v1, 0xff7fffff
	s_waitcnt lgkmcnt(0)
	v_lshlrev_b32_e32 v6, 2, v23
	s_barrier
	buffer_gl0_inv
	s_and_saveexec_b32 s3, s2
; %bb.144:
	ds_read_b32 v1, v6 offset:128
; %bb.145:
	s_or_b32 exec_lo, exec_lo, s3
	v_xor_b32_e32 v8, 2, v11
	v_xor_b32_e32 v15, 1, v11
	v_lshlrev_b32_e32 v2, 2, v2
	v_cmp_lt_i32_e64 s3, v8, v12
	v_cndmask_b32_e64 v8, v11, v8, s3
	v_cmp_lt_i32_e64 s3, v15, v12
	v_lshlrev_b32_e32 v8, 2, v8
	v_cndmask_b32_e64 v12, v11, v15, s3
	s_sub_i32 s3, s11, s12
	s_lshl_b32 s3, s3, 3
	s_waitcnt lgkmcnt(0)
	ds_bpermute_b32 v13, v8, v1
	v_max_f32_e32 v1, v1, v1
	v_lshlrev_b32_e32 v12, 2, v12
	s_add_i32 s3, s3, s33
	s_min_i32 s3, s3, s27
	s_sub_i32 s5, s3, s33
	v_cmp_gt_i32_e64 s3, s5, v0
	s_waitcnt lgkmcnt(0)
	v_max_f32_e32 v13, v13, v13
	v_max_f32_e32 v1, v1, v13
	ds_bpermute_b32 v13, v12, v1
	s_waitcnt lgkmcnt(0)
	v_max_f32_e32 v13, v13, v13
	v_max_f32_e32 v1, v1, v13
	v_mov_b32_e32 v13, 0
	ds_bpermute_b32 v1, v2, v1
	v_lshl_add_u32 v2, v0, 2, 0xa0
	s_and_saveexec_b32 s16, s3
	s_cbranch_execz .LBB341_149
; %bb.146:
	v_lshl_add_u32 v15, v0, 2, 0xa0
	v_mov_b32_e32 v13, 0
	v_mov_b32_e32 v16, v0
	s_mov_b32 s17, 0
	.p2align	6
.LBB341_147:                            ; =>This Inner Loop Header: Depth=1
	ds_read_b32 v17, v15
	v_add_nc_u32_e32 v16, 0x80, v16
	v_cmp_le_i32_e64 s4, s5, v16
	s_or_b32 s17, s4, s17
	s_waitcnt lgkmcnt(0)
	v_sub_f32_e32 v17, v17, v1
	v_mul_f32_e32 v17, 0x3fb8aa3b, v17
	v_exp_f32_e32 v17, v17
	ds_write_b32 v15, v17
	v_add_f32_e32 v13, v13, v17
	v_add_nc_u32_e32 v15, 0x200, v15
	s_andn2_b32 exec_lo, exec_lo, s17
	s_cbranch_execnz .LBB341_147
; %bb.148:
	s_or_b32 exec_lo, exec_lo, s17
.LBB341_149:
	s_or_b32 exec_lo, exec_lo, s16
	ds_bpermute_b32 v3, v3, v13
	s_waitcnt lgkmcnt(0)
	v_add_f32_e32 v3, v13, v3
	ds_bpermute_b32 v4, v4, v3
	s_waitcnt lgkmcnt(0)
	v_add_f32_e32 v3, v3, v4
	;; [unrolled: 3-line block ×5, first 2 shown]
	s_and_saveexec_b32 s4, vcc_lo
; %bb.150:
	ds_write_b32 v5, v3 offset:144
; %bb.151:
	s_or_b32 exec_lo, exec_lo, s4
	s_waitcnt lgkmcnt(0)
	s_barrier
	buffer_gl0_inv
	s_and_saveexec_b32 s4, s2
; %bb.152:
	ds_read_b32 v3, v6 offset:144
; %bb.153:
	s_or_b32 exec_lo, exec_lo, s4
	s_waitcnt lgkmcnt(0)
	ds_bpermute_b32 v4, v8, v3
	v_lshlrev_b32_e32 v5, 2, v11
	s_waitcnt lgkmcnt(0)
	v_add_f32_e32 v3, v3, v4
	ds_bpermute_b32 v4, v12, v3
	s_waitcnt lgkmcnt(0)
	v_add_f32_e32 v3, v3, v4
	v_and_b32_e32 v4, 0xffffff80, v5
	ds_bpermute_b32 v3, v4, v3
	s_and_saveexec_b32 s2, s3
	s_cbranch_execz .LBB341_156
; %bb.154:
	s_waitcnt lgkmcnt(0)
	v_add_f32_e32 v4, 0x358637bd, v3
	s_mov_b32 s3, 0
	v_div_scale_f32 v5, null, v4, v4, 1.0
	v_div_scale_f32 v8, vcc_lo, 1.0, v4, 1.0
	v_rcp_f32_e32 v6, v5
	v_fma_f32 v7, -v5, v6, 1.0
	v_fmac_f32_e32 v6, v7, v6
	v_mul_f32_e32 v7, v8, v6
	v_fma_f32 v11, -v5, v7, v8
	v_fmac_f32_e32 v7, v11, v6
	v_fma_f32 v5, -v5, v7, v8
	v_div_fmas_f32 v5, v5, v6, v7
	v_div_fixup_f32 v4, v5, v4, 1.0
	v_mov_b32_e32 v5, v0
.LBB341_155:                            ; =>This Inner Loop Header: Depth=1
	ds_read_b32 v6, v2
	v_add_nc_u32_e32 v5, 0x80, v5
	v_cmp_le_i32_e32 vcc_lo, s5, v5
	s_or_b32 s3, vcc_lo, s3
	s_waitcnt lgkmcnt(0)
	v_mul_f32_e32 v6, v4, v6
	ds_write_b32 v2, v6
	v_add_nc_u32_e32 v2, 0x200, v2
	s_andn2_b32 exec_lo, exec_lo, s3
	s_cbranch_execnz .LBB341_155
.LBB341_156:
	s_or_b32 exec_lo, exec_lo, s2
	s_mul_i32 s2, s7, s26
	s_mov_b32 s4, exec_lo
	s_mul_i32 s2, s2, s9
	s_waitcnt lgkmcnt(0)
	s_barrier
	buffer_gl0_inv
	v_cmpx_eq_u32_e32 0, v0
	s_cbranch_execz .LBB341_158
; %bb.157:
	s_ashr_i32 s3, s2, 31
	s_mul_i32 s36, s7, s6
	s_lshl_b64 s[16:17], s[2:3], 2
	v_mov_b32_e32 v2, 0
	s_add_u32 s3, s22, s16
	s_addc_u32 s5, s23, s17
	s_ashr_i32 s37, s36, 31
	s_lshl_b64 s[22:23], s[36:37], 2
	s_add_u32 s3, s3, s22
	s_addc_u32 s5, s5, s23
	s_ashr_i32 s9, s8, 31
	s_lshl_b64 s[8:9], s[8:9], 2
	s_add_u32 s36, s3, s8
	s_addc_u32 s37, s5, s9
	s_add_u32 s3, s20, s16
	s_addc_u32 s5, s21, s17
	;; [unrolled: 2-line block ×4, first 2 shown]
	global_store_dword v2, v1, s[36:37]
	global_store_dword v2, v3, s[8:9]
.LBB341_158:
	s_or_b32 exec_lo, exec_lo, s4
	v_mov_b32_e32 v24, 0
	v_mov_b32_e32 v25, 0
	s_and_saveexec_b32 s3, s1
	s_cbranch_execz .LBB341_286
; %bb.159:
	s_load_dword s8, s[18:19], 0x0
	v_lshlrev_b32_e32 v1, 3, v23
	s_ashr_i32 s1, s14, 31
	s_add_u32 s4, s34, s14
	s_addc_u32 s1, s35, s1
	s_add_i32 s15, s15, -1
	v_add_co_u32 v12, s4, s4, v1
	v_lshlrev_b64 v[1:2], 2, v[9:10]
	v_add_co_ci_u32_e64 v13, null, s1, 0, s4
	s_lshl_b64 s[4:5], s[30:31], 2
	v_add3_u32 v26, s33, v14, 7
	s_add_u32 s1, s28, s4
	s_addc_u32 s4, s29, s5
	v_add_co_u32 v14, vcc_lo, s1, v1
	v_mov_b32_e32 v11, 0
	v_lshl_add_u32 v27, v22, 5, 0xa0
	v_add_co_ci_u32_e64 v15, null, s4, v2, vcc_lo
	v_mov_b32_e32 v28, 0x80
	v_mov_b32_e32 v29, 0xffff
	v_mov_b32_e32 v30, 0xff
	v_mov_b32_e32 v31, 7
	v_mov_b32_e32 v32, 24
	v_mov_b32_e32 v25, 0
	v_mov_b32_e32 v24, 0
	s_mov_b32 s4, -1
	s_mov_b32 s6, s13
	s_mov_b32 s5, 0xffffff
	;; [unrolled: 1-line block ×3, first 2 shown]
	s_branch .LBB341_161
.LBB341_160:                            ;   in Loop: Header=BB341_161 Depth=1
	s_or_b32 exec_lo, exec_lo, s1
	v_bfe_u32 v38, v5, 16, 1
	v_or_b32_e32 v40, 0x400000, v5
	v_bfe_u32 v41, v6, 16, 1
	v_cmp_u_f32_e32 vcc_lo, v5, v5
	v_bfe_u32 v42, v7, 16, 1
	v_add3_u32 v38, v38, v5, 0x7fff
	v_or_b32_e32 v43, 0x400000, v6
	v_add3_u32 v41, v41, v6, 0x7fff
	v_or_b32_e32 v44, 0x400000, v7
	v_add3_u32 v42, v42, v7, 0x7fff
	v_cndmask_b32_e32 v5, v38, v40, vcc_lo
	v_cmp_u_f32_e32 vcc_lo, v6, v6
	v_bfe_u32 v38, v8, 16, 1
	v_bfe_u32 v40, v1, 16, 1
	v_lshlrev_b32_e32 v39, 16, v39
	v_and_b32_e32 v5, 0xffff0000, v5
	v_cndmask_b32_e32 v6, v41, v43, vcc_lo
	v_cmp_u_f32_e32 vcc_lo, v7, v7
	v_add3_u32 v38, v38, v8, 0x7fff
	v_or_b32_e32 v41, 0x400000, v8
	v_add3_u32 v40, v40, v1, 0x7fff
	v_bfe_u32 v43, v2, 16, 1
	v_cndmask_b32_e32 v7, v42, v44, vcc_lo
	v_cmp_u_f32_e32 vcc_lo, v8, v8
	v_or_b32_e32 v42, 0x400000, v1
	v_mul_f32_e32 v39, v5, v39
	v_and_b32_e32 v6, 0xffff0000, v6
	v_lshlrev_b32_e32 v37, 16, v37
	v_cndmask_b32_e32 v8, v38, v41, vcc_lo
	v_cmp_u_f32_e32 vcc_lo, v1, v1
	v_add3_u32 v38, v43, v2, 0x7fff
	v_bfe_u32 v41, v3, 16, 1
	v_mul_f32_e32 v37, v6, v37
	v_and_b32_e32 v7, 0xffff0000, v7
	v_cndmask_b32_e32 v1, v40, v42, vcc_lo
	v_or_b32_e32 v40, 0x400000, v2
	v_cmp_u_f32_e32 vcc_lo, v2, v2
	v_lshlrev_b32_e32 v36, 16, v36
	v_and_b32_e32 v8, 0xffff0000, v8
	v_lshlrev_b32_e32 v34, 16, v34
	v_and_b32_e32 v1, 0xffff0000, v1
	v_cndmask_b32_e32 v2, v38, v40, vcc_lo
	v_add3_u32 v38, v41, v3, 0x7fff
	v_or_b32_e32 v40, 0x400000, v3
	v_bfe_u32 v41, v4, 16, 1
	v_cmp_u_f32_e32 vcc_lo, v3, v3
	v_mul_f32_e32 v36, v7, v36
	v_mul_f32_e32 v34, v8, v34
	v_lshlrev_b32_e32 v21, 16, v21
	v_and_b32_e32 v2, 0xffff0000, v2
	v_cndmask_b32_e32 v3, v38, v40, vcc_lo
	v_add3_u32 v38, v41, v4, 0x7fff
	v_or_b32_e32 v40, 0x400000, v4
	v_bfe_u32 v41, v39, 16, 1
	v_cmp_u_f32_e32 vcc_lo, v4, v4
	v_or_b32_e32 v42, 0x400000, v36
	v_bfe_u32 v43, v34, 16, 1
	v_mul_f32_e32 v21, v1, v21
	v_lshlrev_b32_e32 v20, 16, v20
	v_cndmask_b32_e32 v4, v38, v40, vcc_lo
	v_add3_u32 v38, v41, v39, 0x7fff
	v_or_b32_e32 v40, 0x400000, v39
	v_bfe_u32 v41, v37, 16, 1
	v_cmp_u_f32_e32 vcc_lo, v39, v39
	v_mul_f32_e32 v20, v2, v20
	v_and_b32_e32 v3, 0xffff0000, v3
	v_lshlrev_b32_e32 v35, 16, v35
	v_add3_u32 v39, v41, v37, 0x7fff
	v_cndmask_b32_e32 v38, v38, v40, vcc_lo
	v_bfe_u32 v40, v36, 16, 1
	v_or_b32_e32 v41, 0x400000, v37
	v_cmp_u_f32_e32 vcc_lo, v37, v37
	v_mul_f32_e32 v35, v3, v35
	v_and_b32_e32 v4, 0xffff0000, v4
	v_add3_u32 v40, v40, v36, 0x7fff
	v_lshlrev_b32_e32 v33, 16, v33
	v_cndmask_b32_e32 v37, v39, v41, vcc_lo
	v_cmp_u_f32_e32 vcc_lo, v36, v36
	v_add3_u32 v39, v43, v34, 0x7fff
	v_or_b32_e32 v41, 0x400000, v34
	v_mul_f32_e32 v33, v4, v33
	v_and_b32_e32 v37, 0xffff0000, v37
	v_cndmask_b32_e32 v36, v40, v42, vcc_lo
	v_bfe_u32 v40, v21, 16, 1
	v_cmp_u_f32_e32 vcc_lo, v34, v34
	v_or_b32_e32 v42, 0x400000, v21
	v_and_b32_e32 v38, 0xffff0000, v38
	v_and_b32_e32 v36, 0xffff0000, v36
	v_add3_u32 v40, v40, v21, 0x7fff
	v_cndmask_b32_e32 v34, v39, v41, vcc_lo
	v_bfe_u32 v39, v20, 16, 1
	v_cmp_u_f32_e32 vcc_lo, v21, v21
	v_or_b32_e32 v41, 0x400000, v20
	v_add_f32_e32 v37, v38, v37
	v_and_b32_e32 v34, 0xffff0000, v34
	v_add3_u32 v39, v39, v20, 0x7fff
	v_cndmask_b32_e32 v21, v40, v42, vcc_lo
	v_cmp_u_f32_e32 vcc_lo, v20, v20
	v_bfe_u32 v40, v35, 16, 1
	v_or_b32_e32 v42, 0x400000, v35
	v_add_f32_e32 v34, v36, v34
	v_and_b32_e32 v21, 0xffff0000, v21
	v_cndmask_b32_e32 v20, v39, v41, vcc_lo
	v_lshlrev_b32_e32 v41, 16, v48
	v_add3_u32 v40, v40, v35, 0x7fff
	v_cmp_u_f32_e32 vcc_lo, v35, v35
	v_bfe_u32 v39, v33, 16, 1
	v_and_b32_e32 v20, 0xffff0000, v20
	v_mul_f32_e32 v5, v5, v41
	v_lshlrev_b32_e32 v36, 16, v47
	v_cndmask_b32_e32 v35, v40, v42, vcc_lo
	v_add3_u32 v39, v39, v33, 0x7fff
	v_or_b32_e32 v40, 0x400000, v33
	v_cmp_u_f32_e32 vcc_lo, v33, v33
	v_add_f32_e32 v34, v34, v37
	v_bfe_u32 v37, v5, 16, 1
	v_add_f32_e32 v20, v21, v20
	v_mul_f32_e32 v6, v6, v36
	v_lshlrev_b32_e32 v21, 16, v46
	v_cndmask_b32_e32 v33, v39, v40, vcc_lo
	v_add3_u32 v36, v37, v5, 0x7fff
	v_or_b32_e32 v37, 0x400000, v5
	v_bfe_u32 v38, v6, 16, 1
	v_mul_f32_e32 v7, v7, v21
	v_lshlrev_b32_e32 v17, 16, v17
	v_cmp_u_f32_e32 vcc_lo, v5, v5
	v_lshlrev_b32_e32 v16, 16, v16
	v_add3_u32 v21, v38, v6, 0x7fff
	v_lshlrev_b32_e32 v10, 16, v10
	v_mul_f32_e32 v8, v8, v17
	v_cndmask_b32_e32 v5, v36, v37, vcc_lo
	v_or_b32_e32 v36, 0x400000, v6
	v_bfe_u32 v37, v7, 16, 1
	v_cmp_u_f32_e32 vcc_lo, v6, v6
	v_mul_f32_e32 v1, v1, v16
	v_mul_f32_e32 v2, v2, v10
	v_lshlrev_b32_e32 v10, 16, v19
	v_add3_u32 v17, v37, v7, 0x7fff
	v_cndmask_b32_e32 v6, v21, v36, vcc_lo
	v_or_b32_e32 v21, 0x400000, v7
	v_bfe_u32 v36, v8, 16, 1
	v_cmp_u_f32_e32 vcc_lo, v7, v7
	v_lshlrev_b32_e32 v18, 16, v18
	v_mul_f32_e32 v3, v3, v10
	v_or_b32_e32 v10, 0x400000, v1
	v_add3_u32 v16, v36, v8, 0x7fff
	v_cndmask_b32_e32 v7, v17, v21, vcc_lo
	v_or_b32_e32 v17, 0x400000, v8
	v_bfe_u32 v21, v1, 16, 1
	v_cmp_u_f32_e32 vcc_lo, v8, v8
	v_mul_f32_e32 v4, v4, v18
	v_or_b32_e32 v18, 0x400000, v2
	v_bfe_u32 v19, v3, 16, 1
	v_and_b32_e32 v6, 0xffff0000, v6
	v_cndmask_b32_e32 v8, v16, v17, vcc_lo
	v_bfe_u32 v16, v2, 16, 1
	v_add3_u32 v17, v21, v1, 0x7fff
	v_cmp_u_f32_e32 vcc_lo, v1, v1
	v_bfe_u32 v21, v4, 16, 1
	v_and_b32_e32 v5, 0xffff0000, v5
	v_add3_u32 v16, v16, v2, 0x7fff
	v_and_b32_e32 v8, 0xffff0000, v8
	v_cndmask_b32_e32 v1, v17, v10, vcc_lo
	v_cmp_u_f32_e32 vcc_lo, v2, v2
	v_or_b32_e32 v17, 0x400000, v4
	v_add3_u32 v10, v19, v3, 0x7fff
	v_and_b32_e32 v7, 0xffff0000, v7
	v_add_f32_e32 v5, v5, v6
	v_cndmask_b32_e32 v2, v16, v18, vcc_lo
	v_add3_u32 v16, v21, v4, 0x7fff
	v_cmp_u_f32_e32 vcc_lo, v4, v4
	v_or_b32_e32 v18, 0x400000, v3
	v_add_f32_e32 v6, v7, v8
	v_and_b32_e32 v2, 0xffff0000, v2
	v_and_b32_e32 v1, 0xffff0000, v1
	v_cndmask_b32_e32 v4, v16, v17, vcc_lo
	v_cmp_u_f32_e32 vcc_lo, v3, v3
	v_and_b32_e32 v33, 0xffff0000, v33
	v_and_b32_e32 v7, 0xffff0000, v35
	v_add_f32_e32 v5, v6, v5
	v_add_f32_e32 v1, v1, v2
	v_cndmask_b32_e32 v3, v10, v18, vcc_lo
	v_and_b32_e32 v2, 0xffff0000, v4
	v_add_f32_e32 v4, v20, v34
	v_add_f32_e32 v6, v7, v33
	;; [unrolled: 1-line block ×3, first 2 shown]
	v_and_b32_e32 v3, 0xffff0000, v3
	v_add_nc_u32_e32 v9, 4, v9
	v_add_co_u32 v14, s1, v14, 16
	v_add_nc_u32_e32 v26, 32, v26
	v_add_f32_e32 v2, v3, v2
	v_add_f32_e32 v3, v6, v4
	v_cmp_le_i32_e32 vcc_lo, s11, v9
	v_add_nc_u32_e32 v27, 0x80, v27
	v_add_co_ci_u32_e64 v15, null, 0, v15, s1
	v_add_f32_e32 v1, v2, v1
	v_add_f32_e32 v25, v25, v3
	s_or_b32 s9, vcc_lo, s9
	v_add_f32_e32 v24, v24, v1
	s_andn2_b32 exec_lo, exec_lo, s9
	s_cbranch_execz .LBB341_285
.LBB341_161:                            ; =>This Inner Loop Header: Depth=1
	global_load_dword v1, v[14:15], off
	v_mov_b32_e32 v33, 0
	s_waitcnt vmcnt(0)
	v_mad_i64_i32 v[16:17], null, v1, s6, v[12:13]
	global_load_dwordx2 v[18:19], v[16:17], off
	ds_read2_b64 v[5:8], v27 offset1:1
	ds_read2_b64 v[1:4], v27 offset0:2 offset1:3
	s_waitcnt vmcnt(0)
	v_cmp_ne_u16_sdwa s13, v18, v11 src0_sel:BYTE_0 src1_sel:DWORD
	s_and_saveexec_b32 s1, s13
	s_cbranch_execz .LBB341_167
; %bb.162:                              ;   in Loop: Header=BB341_161 Depth=1
	v_cmp_ne_u16_sdwa s14, v18, v28 src0_sel:BYTE_0 src1_sel:DWORD
	v_bfrev_b32_e32 v33, 1
	s_and_saveexec_b32 s13, s14
	s_cbranch_execz .LBB341_166
; %bb.163:                              ;   in Loop: Header=BB341_161 Depth=1
	v_and_b32_e32 v10, 0x7f, v18
	v_mov_b32_e32 v33, 0x7f800001
	s_mov_b32 s14, exec_lo
	v_cmpx_ne_u32_e32 0x7f, v10
	s_cbranch_execz .LBB341_165
; %bb.164:                              ;   in Loop: Header=BB341_161 Depth=1
	v_and_b32_e32 v20, 7, v18
	v_lshrrev_b32_e32 v21, 3, v10
	v_cmp_gt_u32_e32 vcc_lo, 8, v10
	v_ffbh_u32_e32 v20, v20
	v_min_u32_e32 v20, 32, v20
	v_subrev_nc_u32_e32 v33, 28, v20
	v_sub_nc_u32_e32 v20, 29, v20
	v_cndmask_b32_e32 v10, v21, v20, vcc_lo
	v_cndmask_b32_e32 v20, 0, v33, vcc_lo
	v_lshl_add_u32 v10, v10, 23, 0x3c000000
	v_lshlrev_b64 v[20:21], v20, v[18:19]
	v_lshlrev_b32_e32 v21, 24, v18
	v_lshlrev_b32_e32 v20, 20, v20
	v_and_b32_e32 v21, 0x80000000, v21
	v_and_b32_e32 v20, 0x700000, v20
	v_or3_b32 v33, v20, v21, v10
.LBB341_165:                            ;   in Loop: Header=BB341_161 Depth=1
	s_or_b32 exec_lo, exec_lo, s14
.LBB341_166:                            ;   in Loop: Header=BB341_161 Depth=1
	s_or_b32 exec_lo, exec_lo, s13
.LBB341_167:                            ;   in Loop: Header=BB341_161 Depth=1
	s_or_b32 exec_lo, exec_lo, s1
	v_cmp_ne_u16_sdwa s13, v18, v11 src0_sel:BYTE_1 src1_sel:DWORD
	v_mov_b32_e32 v35, 0
	v_mov_b32_e32 v34, 0
	s_and_saveexec_b32 s1, s13
	s_cbranch_execz .LBB341_175
; %bb.168:                              ;   in Loop: Header=BB341_161 Depth=1
	v_cmp_ne_u16_sdwa s14, v18, v28 src0_sel:BYTE_1 src1_sel:DWORD
	v_bfrev_b32_e32 v34, 1
	s_and_saveexec_b32 s13, s14
	s_cbranch_execz .LBB341_174
; %bb.169:                              ;   in Loop: Header=BB341_161 Depth=1
	v_and_b32_sdwa v10, v29, v18 dst_sel:DWORD dst_unused:UNUSED_PAD src0_sel:DWORD src1_sel:BYTE_1
	v_mov_b32_e32 v34, 0x7f800001
	s_mov_b32 s14, exec_lo
	v_and_b32_e32 v21, 0x7f, v10
	v_cmpx_ne_u32_e32 0x7f, v21
	s_cbranch_execz .LBB341_173
; %bb.170:                              ;   in Loop: Header=BB341_161 Depth=1
	v_and_b32_e32 v10, 7, v10
	v_lshrrev_b32_e32 v20, 3, v21
	s_mov_b32 s16, exec_lo
	v_cmpx_gt_u32_e32 8, v21
; %bb.171:                              ;   in Loop: Header=BB341_161 Depth=1
	v_ffbh_u32_e32 v20, v10
	v_min_u32_e32 v20, 32, v20
	v_subrev_nc_u32_e32 v21, 28, v20
	v_sub_nc_u32_e32 v20, 29, v20
	v_lshlrev_b64 v[36:37], v21, v[10:11]
	v_and_b32_e32 v10, 7, v36
; %bb.172:                              ;   in Loop: Header=BB341_161 Depth=1
	s_or_b32 exec_lo, exec_lo, s16
	v_lshlrev_b32_e32 v21, 16, v18
	v_lshlrev_b32_e32 v10, 20, v10
	v_lshl_add_u32 v20, v20, 23, 0x3c000000
	v_and_b32_e32 v21, 0x80000000, v21
	v_or3_b32 v34, v10, v21, v20
.LBB341_173:                            ;   in Loop: Header=BB341_161 Depth=1
	s_or_b32 exec_lo, exec_lo, s14
.LBB341_174:                            ;   in Loop: Header=BB341_161 Depth=1
	s_or_b32 exec_lo, exec_lo, s13
.LBB341_175:                            ;   in Loop: Header=BB341_161 Depth=1
	s_or_b32 exec_lo, exec_lo, s1
	v_and_b32_sdwa v10, v18, v30 dst_sel:DWORD dst_unused:UNUSED_PAD src0_sel:WORD_1 src1_sel:DWORD
	s_mov_b32 s1, exec_lo
	v_cmpx_ne_u16_e32 0, v10
	s_cbranch_execz .LBB341_183
; %bb.176:                              ;   in Loop: Header=BB341_161 Depth=1
	v_bfrev_b32_e32 v35, 1
	s_mov_b32 s13, exec_lo
	v_cmpx_ne_u16_e32 0x80, v10
	s_cbranch_execz .LBB341_182
; %bb.177:                              ;   in Loop: Header=BB341_161 Depth=1
	v_bfe_u32 v21, v18, 16, 7
	v_mov_b32_e32 v35, 0x7f800001
	s_mov_b32 s14, exec_lo
	v_cmpx_ne_u32_e32 0x7f, v21
	s_cbranch_execz .LBB341_181
; %bb.178:                              ;   in Loop: Header=BB341_161 Depth=1
	v_and_b32_sdwa v10, v18, v31 dst_sel:DWORD dst_unused:UNUSED_PAD src0_sel:WORD_1 src1_sel:DWORD
	v_lshrrev_b32_e32 v20, 3, v21
	s_mov_b32 s16, exec_lo
	v_cmpx_gt_u32_e32 8, v21
; %bb.179:                              ;   in Loop: Header=BB341_161 Depth=1
	v_ffbh_u32_e32 v20, v10
	v_min_u32_e32 v20, 32, v20
	v_subrev_nc_u32_e32 v21, 28, v20
	v_sub_nc_u32_e32 v20, 29, v20
	v_lshlrev_b64 v[35:36], v21, v[10:11]
	v_and_b32_e32 v10, 7, v35
; %bb.180:                              ;   in Loop: Header=BB341_161 Depth=1
	s_or_b32 exec_lo, exec_lo, s16
	v_lshlrev_b32_sdwa v21, v32, v18 dst_sel:DWORD dst_unused:UNUSED_PAD src0_sel:DWORD src1_sel:WORD_1
	v_lshlrev_b32_e32 v10, 20, v10
	v_lshl_add_u32 v20, v20, 23, 0x3c000000
	v_and_b32_e32 v21, 0x80000000, v21
	v_or3_b32 v35, v10, v21, v20
.LBB341_181:                            ;   in Loop: Header=BB341_161 Depth=1
	s_or_b32 exec_lo, exec_lo, s14
.LBB341_182:                            ;   in Loop: Header=BB341_161 Depth=1
	s_or_b32 exec_lo, exec_lo, s13
.LBB341_183:                            ;   in Loop: Header=BB341_161 Depth=1
	s_or_b32 exec_lo, exec_lo, s1
	v_mov_b32_e32 v36, 0
	v_mov_b32_e32 v37, 0
	s_mov_b32 s1, exec_lo
	v_cmpx_lt_u32_e32 0xffffff, v18
	s_cbranch_execz .LBB341_191
; %bb.184:                              ;   in Loop: Header=BB341_161 Depth=1
	v_cmp_ne_u32_sdwa s14, v18, v28 src0_sel:BYTE_3 src1_sel:DWORD
	v_bfrev_b32_e32 v37, 1
	s_and_saveexec_b32 s13, s14
	s_cbranch_execz .LBB341_190
; %bb.185:                              ;   in Loop: Header=BB341_161 Depth=1
	v_bfe_u32 v21, v18, 24, 7
	v_mov_b32_e32 v37, 0x7f800001
	s_mov_b32 s14, exec_lo
	v_cmpx_ne_u32_e32 0x7f, v21
	s_cbranch_execz .LBB341_189
; %bb.186:                              ;   in Loop: Header=BB341_161 Depth=1
	v_and_b32_sdwa v10, v18, v31 dst_sel:DWORD dst_unused:UNUSED_PAD src0_sel:BYTE_3 src1_sel:DWORD
	v_lshrrev_b32_e32 v20, 3, v21
	s_mov_b32 s16, exec_lo
	v_cmpx_gt_u32_e32 8, v21
; %bb.187:                              ;   in Loop: Header=BB341_161 Depth=1
	v_ffbh_u32_e32 v20, v10
	v_min_u32_e32 v20, 32, v20
	v_subrev_nc_u32_e32 v21, 28, v20
	v_sub_nc_u32_e32 v20, 29, v20
	v_lshlrev_b64 v[37:38], v21, v[10:11]
	v_and_b32_e32 v10, 7, v37
; %bb.188:                              ;   in Loop: Header=BB341_161 Depth=1
	s_or_b32 exec_lo, exec_lo, s16
	v_lshlrev_b32_sdwa v21, v32, v18 dst_sel:DWORD dst_unused:UNUSED_PAD src0_sel:DWORD src1_sel:BYTE_3
	v_lshlrev_b32_e32 v10, 20, v10
	v_lshl_add_u32 v20, v20, 23, 0x3c000000
	v_and_b32_e32 v21, 0x80000000, v21
	v_or3_b32 v37, v10, v21, v20
.LBB341_189:                            ;   in Loop: Header=BB341_161 Depth=1
	s_or_b32 exec_lo, exec_lo, s14
.LBB341_190:                            ;   in Loop: Header=BB341_161 Depth=1
	s_or_b32 exec_lo, exec_lo, s13
.LBB341_191:                            ;   in Loop: Header=BB341_161 Depth=1
	s_or_b32 exec_lo, exec_lo, s1
	v_mov_b32_e32 v10, v19
	v_cmp_ne_u16_sdwa s13, v19, v11 src0_sel:BYTE_0 src1_sel:DWORD
	s_and_saveexec_b32 s1, s13
	s_cbranch_execz .LBB341_197
; %bb.192:                              ;   in Loop: Header=BB341_161 Depth=1
	v_cmp_ne_u16_sdwa s14, v19, v28 src0_sel:BYTE_0 src1_sel:DWORD
	v_bfrev_b32_e32 v36, 1
	s_and_saveexec_b32 s13, s14
	s_cbranch_execz .LBB341_196
; %bb.193:                              ;   in Loop: Header=BB341_161 Depth=1
	v_and_b32_e32 v20, 0x7f, v19
	v_mov_b32_e32 v36, 0x7f800001
	s_mov_b32 s14, exec_lo
	v_cmpx_ne_u32_e32 0x7f, v20
	s_cbranch_execz .LBB341_195
; %bb.194:                              ;   in Loop: Header=BB341_161 Depth=1
	v_and_b32_e32 v21, 7, v19
	v_cmp_gt_u32_e32 vcc_lo, 8, v20
	v_lshrrev_b32_e32 v36, 3, v20
	v_ffbh_u32_e32 v21, v21
	v_min_u32_e32 v21, 32, v21
	v_subrev_nc_u32_e32 v38, 28, v21
	v_sub_nc_u32_e32 v21, 29, v21
	v_cndmask_b32_e32 v20, 0, v38, vcc_lo
	v_cndmask_b32_e32 v36, v36, v21, vcc_lo
	v_lshlrev_b64 v[20:21], v20, v[10:11]
	v_lshlrev_b32_e32 v21, 24, v10
	v_lshl_add_u32 v36, v36, 23, 0x3c000000
	v_lshlrev_b32_e32 v20, 20, v20
	v_and_b32_e32 v21, 0x80000000, v21
	v_and_b32_e32 v20, 0x700000, v20
	v_or3_b32 v36, v20, v21, v36
.LBB341_195:                            ;   in Loop: Header=BB341_161 Depth=1
	s_or_b32 exec_lo, exec_lo, s14
.LBB341_196:                            ;   in Loop: Header=BB341_161 Depth=1
	s_or_b32 exec_lo, exec_lo, s13
.LBB341_197:                            ;   in Loop: Header=BB341_161 Depth=1
	s_or_b32 exec_lo, exec_lo, s1
	v_cmp_ne_u16_sdwa s13, v10, v11 src0_sel:BYTE_1 src1_sel:DWORD
	v_mov_b32_e32 v39, 0
	v_mov_b32_e32 v20, 0
	s_and_saveexec_b32 s1, s13
	s_cbranch_execz .LBB341_205
; %bb.198:                              ;   in Loop: Header=BB341_161 Depth=1
	v_cmp_ne_u16_sdwa s14, v10, v28 src0_sel:BYTE_1 src1_sel:DWORD
	v_bfrev_b32_e32 v20, 1
	s_and_saveexec_b32 s13, s14
	s_cbranch_execz .LBB341_204
; %bb.199:                              ;   in Loop: Header=BB341_161 Depth=1
	v_and_b32_sdwa v21, v29, v10 dst_sel:DWORD dst_unused:UNUSED_PAD src0_sel:DWORD src1_sel:BYTE_1
	v_mov_b32_e32 v20, 0x7f800001
	s_mov_b32 s14, exec_lo
	v_and_b32_e32 v40, 0x7f, v21
	v_cmpx_ne_u32_e32 0x7f, v40
	s_cbranch_execz .LBB341_203
; %bb.200:                              ;   in Loop: Header=BB341_161 Depth=1
	v_and_b32_e32 v20, 7, v21
	v_mov_b32_e32 v21, v11
	v_lshrrev_b32_e32 v38, 3, v40
	s_mov_b32 s16, exec_lo
	v_cmpx_gt_u32_e32 8, v40
; %bb.201:                              ;   in Loop: Header=BB341_161 Depth=1
	v_ffbh_u32_e32 v38, v20
	v_min_u32_e32 v38, 32, v38
	v_subrev_nc_u32_e32 v40, 28, v38
	v_sub_nc_u32_e32 v38, 29, v38
	v_lshlrev_b64 v[20:21], v40, v[20:21]
	v_and_b32_e32 v20, 7, v20
; %bb.202:                              ;   in Loop: Header=BB341_161 Depth=1
	s_or_b32 exec_lo, exec_lo, s16
	v_lshlrev_b32_e32 v10, 16, v10
	v_lshlrev_b32_e32 v20, 20, v20
	v_lshl_add_u32 v21, v38, 23, 0x3c000000
	v_and_b32_e32 v10, 0x80000000, v10
	v_or3_b32 v20, v20, v10, v21
.LBB341_203:                            ;   in Loop: Header=BB341_161 Depth=1
	s_or_b32 exec_lo, exec_lo, s14
.LBB341_204:                            ;   in Loop: Header=BB341_161 Depth=1
	s_or_b32 exec_lo, exec_lo, s13
.LBB341_205:                            ;   in Loop: Header=BB341_161 Depth=1
	s_or_b32 exec_lo, exec_lo, s1
	v_and_b32_sdwa v10, v19, v30 dst_sel:DWORD dst_unused:UNUSED_PAD src0_sel:WORD_1 src1_sel:DWORD
	s_mov_b32 s1, exec_lo
	v_cmpx_ne_u16_e32 0, v10
	s_cbranch_execz .LBB341_213
; %bb.206:                              ;   in Loop: Header=BB341_161 Depth=1
	v_bfrev_b32_e32 v39, 1
	s_mov_b32 s13, exec_lo
	v_cmpx_ne_u16_e32 0x80, v10
	s_cbranch_execz .LBB341_212
; %bb.207:                              ;   in Loop: Header=BB341_161 Depth=1
	v_bfe_u32 v38, v19, 16, 7
	v_mov_b32_e32 v39, 0x7f800001
	s_mov_b32 s14, exec_lo
	v_cmpx_ne_u32_e32 0x7f, v38
	s_cbranch_execz .LBB341_211
; %bb.208:                              ;   in Loop: Header=BB341_161 Depth=1
	v_and_b32_sdwa v10, v19, v31 dst_sel:DWORD dst_unused:UNUSED_PAD src0_sel:WORD_1 src1_sel:DWORD
	v_lshrrev_b32_e32 v21, 3, v38
	s_mov_b32 s16, exec_lo
	v_cmpx_gt_u32_e32 8, v38
; %bb.209:                              ;   in Loop: Header=BB341_161 Depth=1
	v_ffbh_u32_e32 v21, v10
	v_min_u32_e32 v21, 32, v21
	v_subrev_nc_u32_e32 v38, 28, v21
	v_sub_nc_u32_e32 v21, 29, v21
	v_lshlrev_b64 v[38:39], v38, v[10:11]
	v_and_b32_e32 v10, 7, v38
; %bb.210:                              ;   in Loop: Header=BB341_161 Depth=1
	s_or_b32 exec_lo, exec_lo, s16
	v_lshlrev_b32_sdwa v38, v32, v19 dst_sel:DWORD dst_unused:UNUSED_PAD src0_sel:DWORD src1_sel:WORD_1
	v_lshlrev_b32_e32 v10, 20, v10
	v_lshl_add_u32 v21, v21, 23, 0x3c000000
	v_and_b32_e32 v38, 0x80000000, v38
	v_or3_b32 v39, v10, v38, v21
.LBB341_211:                            ;   in Loop: Header=BB341_161 Depth=1
	s_or_b32 exec_lo, exec_lo, s14
.LBB341_212:                            ;   in Loop: Header=BB341_161 Depth=1
	s_or_b32 exec_lo, exec_lo, s13
.LBB341_213:                            ;   in Loop: Header=BB341_161 Depth=1
	s_or_b32 exec_lo, exec_lo, s1
	v_mov_b32_e32 v10, 0
	s_mov_b32 s1, exec_lo
	v_cmpx_lt_u64_e64 s[4:5], v[18:19]
	s_cbranch_execz .LBB341_221
; %bb.214:                              ;   in Loop: Header=BB341_161 Depth=1
	v_cmp_ne_u32_sdwa s14, v19, v28 src0_sel:BYTE_3 src1_sel:DWORD
	v_bfrev_b32_e32 v10, 1
	s_and_saveexec_b32 s13, s14
	s_cbranch_execz .LBB341_220
; %bb.215:                              ;   in Loop: Header=BB341_161 Depth=1
	v_bfe_u32 v21, v19, 24, 7
	v_mov_b32_e32 v10, 0x7f800001
	s_mov_b32 s14, exec_lo
	v_cmpx_ne_u32_e32 0x7f, v21
	s_cbranch_execz .LBB341_219
; %bb.216:                              ;   in Loop: Header=BB341_161 Depth=1
	v_and_b32_sdwa v10, v19, v31 dst_sel:DWORD dst_unused:UNUSED_PAD src0_sel:BYTE_3 src1_sel:DWORD
	v_lshrrev_b32_e32 v18, 3, v21
	s_mov_b32 s16, exec_lo
	v_cmpx_gt_u32_e32 8, v21
; %bb.217:                              ;   in Loop: Header=BB341_161 Depth=1
	v_ffbh_u32_e32 v18, v10
	v_min_u32_e32 v18, 32, v18
	v_subrev_nc_u32_e32 v21, 28, v18
	v_sub_nc_u32_e32 v18, 29, v18
	v_lshlrev_b64 v[40:41], v21, v[10:11]
	v_and_b32_e32 v10, 7, v40
; %bb.218:                              ;   in Loop: Header=BB341_161 Depth=1
	s_or_b32 exec_lo, exec_lo, s16
	v_lshlrev_b32_sdwa v19, v32, v19 dst_sel:DWORD dst_unused:UNUSED_PAD src0_sel:DWORD src1_sel:BYTE_3
	v_lshlrev_b32_e32 v10, 20, v10
	v_lshl_add_u32 v18, v18, 23, 0x3c000000
	v_and_b32_e32 v19, 0x80000000, v19
	v_or3_b32 v10, v10, v19, v18
.LBB341_219:                            ;   in Loop: Header=BB341_161 Depth=1
	s_or_b32 exec_lo, exec_lo, s14
.LBB341_220:                            ;   in Loop: Header=BB341_161 Depth=1
	s_or_b32 exec_lo, exec_lo, s13
.LBB341_221:                            ;   in Loop: Header=BB341_161 Depth=1
	s_or_b32 exec_lo, exec_lo, s1
	s_waitcnt lgkmcnt(0)
	v_mul_f32_e32 v18, s8, v20
	v_mul_f32_e32 v19, s8, v36
	;; [unrolled: 1-line block ×5, first 2 shown]
	v_bfe_u32 v20, v18, 16, 1
	v_or_b32_e32 v36, 0x400000, v18
	v_bfe_u32 v37, v19, 16, 1
	v_cmp_u_f32_e64 s1, v18, v18
	v_or_b32_e32 v40, 0x400000, v19
	v_add3_u32 v20, v20, v18, 0x7fff
	v_bfe_u32 v41, v21, 16, 1
	v_add3_u32 v37, v37, v19, 0x7fff
	v_or_b32_e32 v42, 0x400000, v21
	v_mul_f32_e32 v10, s8, v10
	v_cndmask_b32_e64 v18, v20, v36, s1
	v_cmp_u_f32_e64 s1, v19, v19
	v_add3_u32 v41, v41, v21, 0x7fff
	v_bfe_u32 v36, v35, 16, 1
	v_add_nc_u32_e32 v38, -7, v26
	v_lshrrev_b32_e32 v20, 16, v18
	v_cndmask_b32_e64 v19, v37, v40, s1
	v_cmp_u_f32_e64 s1, v21, v21
	v_mul_f32_e32 v37, s8, v34
	v_add3_u32 v36, v36, v35, 0x7fff
	v_or_b32_e32 v40, 0x400000, v35
	v_lshrrev_b32_e32 v21, 16, v19
	v_cndmask_b32_e64 v18, v41, v42, s1
	v_cmp_u_f32_e64 s1, v35, v35
	v_mul_f32_e32 v35, s8, v39
	v_bfe_u32 v39, v33, 16, 1
	v_or_b32_e32 v42, 0x400000, v10
	v_lshrrev_b32_e32 v34, 16, v18
	v_bfe_u32 v18, v37, 16, 1
	v_cndmask_b32_e64 v19, v36, v40, s1
	v_or_b32_e32 v36, 0x400000, v37
	v_cmp_u_f32_e64 s1, v37, v37
	v_bfe_u32 v40, v35, 16, 1
	v_add3_u32 v18, v18, v37, 0x7fff
	v_add3_u32 v37, v39, v33, 0x7fff
	v_or_b32_e32 v39, 0x400000, v33
	v_or_b32_e32 v41, 0x400000, v35
	v_add3_u32 v40, v40, v35, 0x7fff
	v_cndmask_b32_e64 v18, v18, v36, s1
	v_cmp_u_f32_e64 s1, v33, v33
	v_bfe_u32 v36, v10, 16, 1
	v_cmp_eq_u32_e32 vcc_lo, s15, v9
	v_add_nc_u32_e32 v45, -6, v26
	v_add_nc_u32_e32 v44, -5, v26
	v_cndmask_b32_e64 v33, v37, v39, s1
	v_cmp_u_f32_e64 s1, v35, v35
	v_add3_u32 v36, v36, v10, 0x7fff
	v_lshrrev_b32_e32 v37, 16, v18
	v_add_nc_u32_e32 v43, -4, v26
	v_lshrrev_b32_e32 v39, 16, v33
	v_cndmask_b32_e64 v35, v40, v41, s1
	v_cmp_u_f32_e64 s1, v10, v10
	v_add_nc_u32_e32 v41, -2, v26
	v_add_nc_u32_e32 v40, -1, v26
	v_lshrrev_b32_e32 v35, 16, v35
	v_cndmask_b32_e64 v10, v36, v42, s1
	v_lshrrev_b32_e32 v36, 16, v19
	v_add_nc_u32_e32 v42, -3, v26
	v_lshrrev_b32_e32 v33, 16, v10
	s_and_saveexec_b32 s13, vcc_lo
	s_cbranch_execz .LBB341_223
; %bb.222:                              ;   in Loop: Header=BB341_161 Depth=1
	v_cmp_gt_i32_e64 s1, s27, v38
	v_cndmask_b32_e64 v39, 0, v39, s1
	v_cmp_gt_i32_e64 s1, s27, v45
	v_cndmask_b32_e64 v37, 0, v37, s1
	;; [unrolled: 2-line block ×8, first 2 shown]
.LBB341_223:                            ;   in Loop: Header=BB341_161 Depth=1
	s_or_b32 exec_lo, exec_lo, s13
	global_load_dwordx2 v[16:17], v[16:17], off offset:256
	v_mov_b32_e32 v47, 0
	v_mov_b32_e32 v46, 0
	s_waitcnt vmcnt(0)
	v_cmp_ne_u16_sdwa s1, v16, v11 src0_sel:BYTE_0 src1_sel:DWORD
	s_and_saveexec_b32 s13, s1
	s_cbranch_execz .LBB341_229
; %bb.224:                              ;   in Loop: Header=BB341_161 Depth=1
	v_cmp_ne_u16_sdwa s1, v16, v28 src0_sel:BYTE_0 src1_sel:DWORD
	v_bfrev_b32_e32 v46, 1
	s_and_saveexec_b32 s14, s1
	s_cbranch_execz .LBB341_228
; %bb.225:                              ;   in Loop: Header=BB341_161 Depth=1
	v_and_b32_e32 v10, 0x7f, v16
	v_mov_b32_e32 v46, 0x7f800001
	s_mov_b32 s16, exec_lo
	v_cmpx_ne_u32_e32 0x7f, v10
	s_cbranch_execz .LBB341_227
; %bb.226:                              ;   in Loop: Header=BB341_161 Depth=1
	v_and_b32_e32 v18, 7, v16
	v_lshrrev_b32_e32 v19, 3, v10
	v_cmp_gt_u32_e64 s1, 8, v10
	v_ffbh_u32_e32 v18, v18
	v_min_u32_e32 v18, 32, v18
	v_subrev_nc_u32_e32 v46, 28, v18
	v_sub_nc_u32_e32 v18, 29, v18
	v_cndmask_b32_e64 v10, v19, v18, s1
	v_cndmask_b32_e64 v18, 0, v46, s1
	v_lshl_add_u32 v10, v10, 23, 0x3c000000
	v_lshlrev_b64 v[18:19], v18, v[16:17]
	v_lshlrev_b32_e32 v19, 24, v16
	v_lshlrev_b32_e32 v18, 20, v18
	v_and_b32_e32 v19, 0x80000000, v19
	v_and_b32_e32 v18, 0x700000, v18
	v_or3_b32 v46, v18, v19, v10
.LBB341_227:                            ;   in Loop: Header=BB341_161 Depth=1
	s_or_b32 exec_lo, exec_lo, s16
.LBB341_228:                            ;   in Loop: Header=BB341_161 Depth=1
	s_or_b32 exec_lo, exec_lo, s14
.LBB341_229:                            ;   in Loop: Header=BB341_161 Depth=1
	s_or_b32 exec_lo, exec_lo, s13
	v_cmp_ne_u16_sdwa s1, v16, v11 src0_sel:BYTE_1 src1_sel:DWORD
	s_and_saveexec_b32 s13, s1
	s_cbranch_execz .LBB341_237
; %bb.230:                              ;   in Loop: Header=BB341_161 Depth=1
	v_cmp_ne_u16_sdwa s1, v16, v28 src0_sel:BYTE_1 src1_sel:DWORD
	v_bfrev_b32_e32 v47, 1
	s_and_saveexec_b32 s14, s1
	s_cbranch_execz .LBB341_236
; %bb.231:                              ;   in Loop: Header=BB341_161 Depth=1
	v_and_b32_sdwa v10, v29, v16 dst_sel:DWORD dst_unused:UNUSED_PAD src0_sel:DWORD src1_sel:BYTE_1
	v_mov_b32_e32 v47, 0x7f800001
	s_mov_b32 s16, exec_lo
	v_and_b32_e32 v19, 0x7f, v10
	v_cmpx_ne_u32_e32 0x7f, v19
	s_cbranch_execz .LBB341_235
; %bb.232:                              ;   in Loop: Header=BB341_161 Depth=1
	v_and_b32_e32 v10, 7, v10
	v_lshrrev_b32_e32 v18, 3, v19
	s_mov_b32 s17, exec_lo
	v_cmpx_gt_u32_e32 8, v19
; %bb.233:                              ;   in Loop: Header=BB341_161 Depth=1
	v_ffbh_u32_e32 v18, v10
	v_min_u32_e32 v18, 32, v18
	v_subrev_nc_u32_e32 v19, 28, v18
	v_sub_nc_u32_e32 v18, 29, v18
	v_lshlrev_b64 v[47:48], v19, v[10:11]
	v_and_b32_e32 v10, 7, v47
; %bb.234:                              ;   in Loop: Header=BB341_161 Depth=1
	s_or_b32 exec_lo, exec_lo, s17
	v_lshlrev_b32_e32 v19, 16, v16
	v_lshlrev_b32_e32 v10, 20, v10
	v_lshl_add_u32 v18, v18, 23, 0x3c000000
	v_and_b32_e32 v19, 0x80000000, v19
	v_or3_b32 v47, v10, v19, v18
.LBB341_235:                            ;   in Loop: Header=BB341_161 Depth=1
	s_or_b32 exec_lo, exec_lo, s16
.LBB341_236:                            ;   in Loop: Header=BB341_161 Depth=1
	s_or_b32 exec_lo, exec_lo, s14
.LBB341_237:                            ;   in Loop: Header=BB341_161 Depth=1
	s_or_b32 exec_lo, exec_lo, s13
	v_and_b32_sdwa v10, v16, v30 dst_sel:DWORD dst_unused:UNUSED_PAD src0_sel:WORD_1 src1_sel:DWORD
	v_mov_b32_e32 v49, 0
	v_mov_b32_e32 v48, 0
	s_mov_b32 s13, exec_lo
	v_cmpx_ne_u16_e32 0, v10
	s_cbranch_execz .LBB341_245
; %bb.238:                              ;   in Loop: Header=BB341_161 Depth=1
	v_bfrev_b32_e32 v48, 1
	s_mov_b32 s14, exec_lo
	v_cmpx_ne_u16_e32 0x80, v10
	s_cbranch_execz .LBB341_244
; %bb.239:                              ;   in Loop: Header=BB341_161 Depth=1
	v_bfe_u32 v19, v16, 16, 7
	v_mov_b32_e32 v48, 0x7f800001
	s_mov_b32 s16, exec_lo
	v_cmpx_ne_u32_e32 0x7f, v19
	s_cbranch_execz .LBB341_243
; %bb.240:                              ;   in Loop: Header=BB341_161 Depth=1
	v_and_b32_sdwa v10, v16, v31 dst_sel:DWORD dst_unused:UNUSED_PAD src0_sel:WORD_1 src1_sel:DWORD
	v_lshrrev_b32_e32 v18, 3, v19
	s_mov_b32 s17, exec_lo
	v_cmpx_gt_u32_e32 8, v19
; %bb.241:                              ;   in Loop: Header=BB341_161 Depth=1
	v_ffbh_u32_e32 v18, v10
	v_min_u32_e32 v18, 32, v18
	v_subrev_nc_u32_e32 v19, 28, v18
	v_sub_nc_u32_e32 v18, 29, v18
	v_lshlrev_b64 v[50:51], v19, v[10:11]
	v_and_b32_e32 v10, 7, v50
; %bb.242:                              ;   in Loop: Header=BB341_161 Depth=1
	s_or_b32 exec_lo, exec_lo, s17
	v_lshlrev_b32_sdwa v19, v32, v16 dst_sel:DWORD dst_unused:UNUSED_PAD src0_sel:DWORD src1_sel:WORD_1
	v_lshlrev_b32_e32 v10, 20, v10
	v_lshl_add_u32 v18, v18, 23, 0x3c000000
	v_and_b32_e32 v19, 0x80000000, v19
	v_or3_b32 v48, v10, v19, v18
.LBB341_243:                            ;   in Loop: Header=BB341_161 Depth=1
	s_or_b32 exec_lo, exec_lo, s16
.LBB341_244:                            ;   in Loop: Header=BB341_161 Depth=1
	s_or_b32 exec_lo, exec_lo, s14
.LBB341_245:                            ;   in Loop: Header=BB341_161 Depth=1
	s_or_b32 exec_lo, exec_lo, s13
	s_mov_b32 s13, exec_lo
	v_cmpx_lt_u32_e32 0xffffff, v16
	s_cbranch_execz .LBB341_253
; %bb.246:                              ;   in Loop: Header=BB341_161 Depth=1
	v_cmp_ne_u32_sdwa s1, v16, v28 src0_sel:BYTE_3 src1_sel:DWORD
	v_bfrev_b32_e32 v49, 1
	s_and_saveexec_b32 s14, s1
	s_cbranch_execz .LBB341_252
; %bb.247:                              ;   in Loop: Header=BB341_161 Depth=1
	v_bfe_u32 v19, v16, 24, 7
	v_mov_b32_e32 v49, 0x7f800001
	s_mov_b32 s16, exec_lo
	v_cmpx_ne_u32_e32 0x7f, v19
	s_cbranch_execz .LBB341_251
; %bb.248:                              ;   in Loop: Header=BB341_161 Depth=1
	v_and_b32_sdwa v10, v16, v31 dst_sel:DWORD dst_unused:UNUSED_PAD src0_sel:BYTE_3 src1_sel:DWORD
	v_lshrrev_b32_e32 v18, 3, v19
	s_mov_b32 s17, exec_lo
	v_cmpx_gt_u32_e32 8, v19
; %bb.249:                              ;   in Loop: Header=BB341_161 Depth=1
	v_ffbh_u32_e32 v18, v10
	v_min_u32_e32 v18, 32, v18
	v_subrev_nc_u32_e32 v19, 28, v18
	v_sub_nc_u32_e32 v18, 29, v18
	v_lshlrev_b64 v[49:50], v19, v[10:11]
	v_and_b32_e32 v10, 7, v49
; %bb.250:                              ;   in Loop: Header=BB341_161 Depth=1
	s_or_b32 exec_lo, exec_lo, s17
	v_lshlrev_b32_sdwa v19, v32, v16 dst_sel:DWORD dst_unused:UNUSED_PAD src0_sel:DWORD src1_sel:BYTE_3
	v_lshlrev_b32_e32 v10, 20, v10
	v_lshl_add_u32 v18, v18, 23, 0x3c000000
	v_and_b32_e32 v19, 0x80000000, v19
	v_or3_b32 v49, v10, v19, v18
.LBB341_251:                            ;   in Loop: Header=BB341_161 Depth=1
	s_or_b32 exec_lo, exec_lo, s16
.LBB341_252:                            ;   in Loop: Header=BB341_161 Depth=1
	s_or_b32 exec_lo, exec_lo, s14
.LBB341_253:                            ;   in Loop: Header=BB341_161 Depth=1
	s_or_b32 exec_lo, exec_lo, s13
	v_mov_b32_e32 v10, v17
	v_cmp_ne_u16_sdwa s1, v17, v11 src0_sel:BYTE_0 src1_sel:DWORD
	v_mov_b32_e32 v18, 0
	v_mov_b32_e32 v50, 0
	s_and_saveexec_b32 s13, s1
	s_cbranch_execz .LBB341_259
; %bb.254:                              ;   in Loop: Header=BB341_161 Depth=1
	v_cmp_ne_u16_sdwa s1, v17, v28 src0_sel:BYTE_0 src1_sel:DWORD
	v_bfrev_b32_e32 v50, 1
	s_and_saveexec_b32 s14, s1
	s_cbranch_execz .LBB341_258
; %bb.255:                              ;   in Loop: Header=BB341_161 Depth=1
	v_and_b32_e32 v19, 0x7f, v17
	v_mov_b32_e32 v50, 0x7f800001
	s_mov_b32 s16, exec_lo
	v_cmpx_ne_u32_e32 0x7f, v19
	s_cbranch_execz .LBB341_257
; %bb.256:                              ;   in Loop: Header=BB341_161 Depth=1
	v_and_b32_e32 v50, 7, v17
	v_lshrrev_b32_e32 v51, 3, v19
	v_cmp_gt_u32_e64 s1, 8, v19
	v_ffbh_u32_e32 v50, v50
	v_min_u32_e32 v50, 32, v50
	v_subrev_nc_u32_e32 v52, 28, v50
	v_sub_nc_u32_e32 v50, 29, v50
	v_cndmask_b32_e64 v19, v51, v50, s1
	v_cndmask_b32_e64 v50, 0, v52, s1
	v_lshl_add_u32 v19, v19, 23, 0x3c000000
	v_lshlrev_b64 v[50:51], v50, v[10:11]
	v_lshlrev_b32_e32 v51, 24, v10
	v_lshlrev_b32_e32 v50, 20, v50
	v_and_b32_e32 v51, 0x80000000, v51
	v_and_b32_e32 v50, 0x700000, v50
	v_or3_b32 v50, v50, v51, v19
.LBB341_257:                            ;   in Loop: Header=BB341_161 Depth=1
	s_or_b32 exec_lo, exec_lo, s16
.LBB341_258:                            ;   in Loop: Header=BB341_161 Depth=1
	s_or_b32 exec_lo, exec_lo, s14
.LBB341_259:                            ;   in Loop: Header=BB341_161 Depth=1
	s_or_b32 exec_lo, exec_lo, s13
	v_cmp_ne_u16_sdwa s1, v10, v11 src0_sel:BYTE_1 src1_sel:DWORD
	s_and_saveexec_b32 s13, s1
	s_cbranch_execz .LBB341_267
; %bb.260:                              ;   in Loop: Header=BB341_161 Depth=1
	v_cmp_ne_u16_sdwa s1, v10, v28 src0_sel:BYTE_1 src1_sel:DWORD
	v_bfrev_b32_e32 v18, 1
	s_and_saveexec_b32 s14, s1
	s_cbranch_execz .LBB341_266
; %bb.261:                              ;   in Loop: Header=BB341_161 Depth=1
	v_and_b32_sdwa v19, v29, v10 dst_sel:DWORD dst_unused:UNUSED_PAD src0_sel:DWORD src1_sel:BYTE_1
	v_mov_b32_e32 v18, 0x7f800001
	s_mov_b32 s16, exec_lo
	v_and_b32_e32 v52, 0x7f, v19
	v_cmpx_ne_u32_e32 0x7f, v52
	s_cbranch_execz .LBB341_265
; %bb.262:                              ;   in Loop: Header=BB341_161 Depth=1
	v_and_b32_e32 v18, 7, v19
	v_mov_b32_e32 v19, v11
	v_lshrrev_b32_e32 v51, 3, v52
	s_mov_b32 s17, exec_lo
	v_cmpx_gt_u32_e32 8, v52
; %bb.263:                              ;   in Loop: Header=BB341_161 Depth=1
	v_ffbh_u32_e32 v51, v18
	v_min_u32_e32 v51, 32, v51
	v_subrev_nc_u32_e32 v52, 28, v51
	v_sub_nc_u32_e32 v51, 29, v51
	v_lshlrev_b64 v[18:19], v52, v[18:19]
	v_and_b32_e32 v18, 7, v18
; %bb.264:                              ;   in Loop: Header=BB341_161 Depth=1
	s_or_b32 exec_lo, exec_lo, s17
	v_lshlrev_b32_e32 v10, 16, v10
	v_lshlrev_b32_e32 v18, 20, v18
	v_lshl_add_u32 v19, v51, 23, 0x3c000000
	v_and_b32_e32 v10, 0x80000000, v10
	v_or3_b32 v18, v18, v10, v19
.LBB341_265:                            ;   in Loop: Header=BB341_161 Depth=1
	s_or_b32 exec_lo, exec_lo, s16
.LBB341_266:                            ;   in Loop: Header=BB341_161 Depth=1
	s_or_b32 exec_lo, exec_lo, s14
.LBB341_267:                            ;   in Loop: Header=BB341_161 Depth=1
	s_or_b32 exec_lo, exec_lo, s13
	v_and_b32_sdwa v10, v17, v30 dst_sel:DWORD dst_unused:UNUSED_PAD src0_sel:WORD_1 src1_sel:DWORD
	v_mov_b32_e32 v19, 0
	v_mov_b32_e32 v51, 0
	s_mov_b32 s13, exec_lo
	v_cmpx_ne_u16_e32 0, v10
	s_cbranch_execz .LBB341_275
; %bb.268:                              ;   in Loop: Header=BB341_161 Depth=1
	v_bfrev_b32_e32 v51, 1
	s_mov_b32 s14, exec_lo
	v_cmpx_ne_u16_e32 0x80, v10
	s_cbranch_execz .LBB341_274
; %bb.269:                              ;   in Loop: Header=BB341_161 Depth=1
	v_bfe_u32 v52, v17, 16, 7
	v_mov_b32_e32 v51, 0x7f800001
	s_mov_b32 s16, exec_lo
	v_cmpx_ne_u32_e32 0x7f, v52
	s_cbranch_execz .LBB341_273
; %bb.270:                              ;   in Loop: Header=BB341_161 Depth=1
	v_and_b32_sdwa v10, v17, v31 dst_sel:DWORD dst_unused:UNUSED_PAD src0_sel:WORD_1 src1_sel:DWORD
	v_lshrrev_b32_e32 v51, 3, v52
	s_mov_b32 s17, exec_lo
	v_cmpx_gt_u32_e32 8, v52
; %bb.271:                              ;   in Loop: Header=BB341_161 Depth=1
	v_ffbh_u32_e32 v51, v10
	v_min_u32_e32 v51, 32, v51
	v_subrev_nc_u32_e32 v52, 28, v51
	v_sub_nc_u32_e32 v51, 29, v51
	v_lshlrev_b64 v[52:53], v52, v[10:11]
	v_and_b32_e32 v10, 7, v52
; %bb.272:                              ;   in Loop: Header=BB341_161 Depth=1
	s_or_b32 exec_lo, exec_lo, s17
	v_lshlrev_b32_sdwa v52, v32, v17 dst_sel:DWORD dst_unused:UNUSED_PAD src0_sel:DWORD src1_sel:WORD_1
	v_lshlrev_b32_e32 v10, 20, v10
	v_lshl_add_u32 v51, v51, 23, 0x3c000000
	v_and_b32_e32 v52, 0x80000000, v52
	v_or3_b32 v51, v10, v52, v51
.LBB341_273:                            ;   in Loop: Header=BB341_161 Depth=1
	s_or_b32 exec_lo, exec_lo, s16
.LBB341_274:                            ;   in Loop: Header=BB341_161 Depth=1
	s_or_b32 exec_lo, exec_lo, s14
.LBB341_275:                            ;   in Loop: Header=BB341_161 Depth=1
	s_or_b32 exec_lo, exec_lo, s13
	s_mov_b32 s13, exec_lo
	v_cmpx_lt_u64_e64 s[4:5], v[16:17]
	s_cbranch_execz .LBB341_283
; %bb.276:                              ;   in Loop: Header=BB341_161 Depth=1
	v_cmp_ne_u32_sdwa s1, v17, v28 src0_sel:BYTE_3 src1_sel:DWORD
	v_bfrev_b32_e32 v19, 1
	s_and_saveexec_b32 s14, s1
	s_cbranch_execz .LBB341_282
; %bb.277:                              ;   in Loop: Header=BB341_161 Depth=1
	v_bfe_u32 v52, v17, 24, 7
	v_mov_b32_e32 v19, 0x7f800001
	s_mov_b32 s16, exec_lo
	v_cmpx_ne_u32_e32 0x7f, v52
	s_cbranch_execz .LBB341_281
; %bb.278:                              ;   in Loop: Header=BB341_161 Depth=1
	v_and_b32_sdwa v10, v17, v31 dst_sel:DWORD dst_unused:UNUSED_PAD src0_sel:BYTE_3 src1_sel:DWORD
	v_lshrrev_b32_e32 v16, 3, v52
	s_mov_b32 s17, exec_lo
	v_cmpx_gt_u32_e32 8, v52
; %bb.279:                              ;   in Loop: Header=BB341_161 Depth=1
	v_ffbh_u32_e32 v16, v10
	v_min_u32_e32 v16, 32, v16
	v_subrev_nc_u32_e32 v19, 28, v16
	v_sub_nc_u32_e32 v16, 29, v16
	v_lshlrev_b64 v[52:53], v19, v[10:11]
	v_and_b32_e32 v10, 7, v52
; %bb.280:                              ;   in Loop: Header=BB341_161 Depth=1
	s_or_b32 exec_lo, exec_lo, s17
	v_lshlrev_b32_sdwa v17, v32, v17 dst_sel:DWORD dst_unused:UNUSED_PAD src0_sel:DWORD src1_sel:BYTE_3
	v_lshlrev_b32_e32 v10, 20, v10
	v_lshl_add_u32 v16, v16, 23, 0x3c000000
	v_and_b32_e32 v17, 0x80000000, v17
	v_or3_b32 v19, v10, v17, v16
.LBB341_281:                            ;   in Loop: Header=BB341_161 Depth=1
	s_or_b32 exec_lo, exec_lo, s16
.LBB341_282:                            ;   in Loop: Header=BB341_161 Depth=1
	s_or_b32 exec_lo, exec_lo, s14
.LBB341_283:                            ;   in Loop: Header=BB341_161 Depth=1
	s_or_b32 exec_lo, exec_lo, s13
	v_mul_f32_e32 v10, s8, v18
	v_mul_f32_e32 v16, s8, v50
	;; [unrolled: 1-line block ×5, first 2 shown]
	v_bfe_u32 v48, v10, 16, 1
	v_or_b32_e32 v49, 0x400000, v10
	v_bfe_u32 v50, v16, 16, 1
	v_cmp_u_f32_e64 s1, v10, v10
	v_or_b32_e32 v52, 0x400000, v16
	v_add3_u32 v48, v48, v10, 0x7fff
	v_bfe_u32 v53, v17, 16, 1
	v_add3_u32 v50, v50, v16, 0x7fff
	v_or_b32_e32 v54, 0x400000, v17
	v_bfe_u32 v55, v18, 16, 1
	v_cndmask_b32_e64 v10, v48, v49, s1
	v_cmp_u_f32_e64 s1, v16, v16
	v_add3_u32 v53, v53, v17, 0x7fff
	v_or_b32_e32 v49, 0x400000, v18
	v_add3_u32 v48, v55, v18, 0x7fff
	v_mul_f32_e32 v46, s8, v46
	v_cndmask_b32_e64 v16, v50, v52, s1
	v_cmp_u_f32_e64 s1, v17, v17
	v_bfe_u32 v50, v47, 16, 1
	v_mul_f32_e32 v19, s8, v19
	v_lshrrev_b32_e32 v10, 16, v10
	v_lshrrev_b32_e32 v16, 16, v16
	v_cndmask_b32_e64 v17, v53, v54, s1
	v_cmp_u_f32_e64 s1, v18, v18
	v_or_b32_e32 v54, 0x400000, v19
	v_lshrrev_b32_e32 v17, 16, v17
	v_cndmask_b32_e64 v18, v48, v49, s1
	v_mul_f32_e32 v48, s8, v51
	v_add3_u32 v49, v50, v47, 0x7fff
	v_or_b32_e32 v50, 0x400000, v47
	v_bfe_u32 v51, v46, 16, 1
	v_cmp_u_f32_e64 s1, v47, v47
	v_bfe_u32 v52, v48, 16, 1
	v_or_b32_e32 v53, 0x400000, v48
	v_cndmask_b32_e64 v47, v49, v50, s1
	v_add3_u32 v50, v51, v46, 0x7fff
	v_or_b32_e32 v51, 0x400000, v46
	v_cmp_u_f32_e64 s1, v46, v46
	v_bfe_u32 v49, v19, 16, 1
	v_add3_u32 v52, v52, v48, 0x7fff
	v_lshrrev_b32_e32 v46, 16, v18
	v_lshrrev_b32_e32 v47, 16, v47
	v_cndmask_b32_e64 v50, v50, v51, s1
	v_cmp_u_f32_e64 s1, v48, v48
	v_add3_u32 v49, v49, v19, 0x7fff
	v_lshrrev_b32_e32 v48, 16, v50
	v_cndmask_b32_e64 v51, v52, v53, s1
	v_cmp_u_f32_e64 s1, v19, v19
	v_lshrrev_b32_e32 v19, 16, v51
	v_cndmask_b32_e64 v49, v49, v54, s1
	v_lshrrev_b32_e32 v18, 16, v49
	s_and_saveexec_b32 s1, vcc_lo
	s_cbranch_execz .LBB341_160
; %bb.284:                              ;   in Loop: Header=BB341_161 Depth=1
	v_cmp_gt_i32_e32 vcc_lo, s27, v38
	v_cndmask_b32_e32 v48, 0, v48, vcc_lo
	v_cmp_gt_i32_e32 vcc_lo, s27, v45
	v_cndmask_b32_e32 v47, 0, v47, vcc_lo
	;; [unrolled: 2-line block ×8, first 2 shown]
	s_branch .LBB341_160
.LBB341_285:
	s_or_b32 exec_lo, exec_lo, s9
.LBB341_286:
	s_or_b32 exec_lo, exec_lo, s3
	v_lshl_add_u32 v2, v23, 2, 0xa0
	v_and_b32_e32 v3, 0x3c0, v0
	s_mov_b32 s1, exec_lo
	s_waitcnt_vscnt null, 0x0
	s_barrier
	v_lshl_add_u32 v1, v22, 8, v2
	buffer_gl0_inv
	v_cmpx_eq_u32_e32 64, v3
	s_cbranch_execz .LBB341_288
; %bb.287:
	v_add_nc_u32_e32 v3, 0xfffffe00, v1
	v_add_nc_u32_e32 v4, 0xfffffe80, v1
	ds_write_b32 v3, v25
	ds_write_b32 v4, v24
.LBB341_288:
	s_or_b32 exec_lo, exec_lo, s1
	s_mov_b32 s1, exec_lo
	s_waitcnt lgkmcnt(0)
	s_barrier
	buffer_gl0_inv
	v_cmpx_gt_u32_e32 64, v0
	s_cbranch_execz .LBB341_290
; %bb.289:
	ds_read2_b32 v[3:4], v1 offset1:32
	s_waitcnt lgkmcnt(0)
	v_add_f32_e32 v25, v25, v3
	v_add_f32_e32 v24, v24, v4
.LBB341_290:
	s_or_b32 exec_lo, exec_lo, s1
	v_and_b32_e32 v3, 0x3e0, v0
	s_mov_b32 s1, exec_lo
	s_barrier
	buffer_gl0_inv
	v_cmpx_eq_u32_e32 32, v3
; %bb.291:
	ds_write2_b32 v2, v25, v24 offset1:32
; %bb.292:
	s_or_b32 exec_lo, exec_lo, s1
	s_waitcnt lgkmcnt(0)
	s_barrier
	buffer_gl0_inv
	s_and_saveexec_b32 s1, s0
	s_cbranch_execz .LBB341_294
; %bb.293:
	ds_read2_b32 v[1:2], v1 offset1:32
	s_waitcnt lgkmcnt(0)
	v_add_f32_e32 v25, v25, v1
	v_add_f32_e32 v24, v24, v2
.LBB341_294:
	s_or_b32 exec_lo, exec_lo, s1
	s_barrier
	buffer_gl0_inv
	s_and_saveexec_b32 s1, s0
	s_cbranch_execz .LBB341_296
; %bb.295:
	s_lshl_b32 s0, s2, 6
	v_bfe_u32 v1, v25, 16, 1
	s_ashr_i32 s1, s0, 31
	s_mul_i32 s2, s7, s10
	s_lshl_b64 s[0:1], s[0:1], 1
	v_bfe_u32 v2, v24, 16, 1
	v_add3_u32 v1, v1, v25, 0x7fff
	v_or_b32_e32 v3, 0x400000, v25
	v_cmp_u_f32_e32 vcc_lo, v25, v25
	s_add_u32 s4, s24, s0
	s_addc_u32 s5, s25, s1
	s_ashr_i32 s3, s2, 31
	v_add3_u32 v2, v2, v24, 0x7fff
	s_lshl_b64 s[0:1], s[2:3], 1
	v_or_b32_e32 v4, 0x400000, v24
	v_cndmask_b32_e32 v1, v1, v3, vcc_lo
	v_cmp_u_f32_e32 vcc_lo, v24, v24
	s_add_u32 s2, s4, s0
	s_addc_u32 s3, s5, s1
	s_ashr_i32 s13, s12, 31
	v_lshlrev_b32_e32 v0, 1, v0
	s_lshl_b64 s[0:1], s[12:13], 1
	v_cndmask_b32_e32 v2, v2, v4, vcc_lo
	s_add_u32 s0, s2, s0
	s_addc_u32 s1, s3, s1
	global_store_short_d16_hi v0, v1, s[0:1]
	global_store_short_d16_hi v0, v2, s[0:1] offset:64
.LBB341_296:
	s_endpgm
	.section	.rodata,"a",@progbits
	.p2align	6, 0x0
	.amdhsa_kernel _ZN4vllm25paged_attention_v2_kernelI14__hip_bfloat16hLi64ELi8ELi128ELNS_18Fp8KVCacheDataTypeE1ELb0ELi512EEEvPfS3_PT_PKS4_PKT0_SA_ifPKiSC_iPKfiiiSE_SE_iiiii
		.amdhsa_group_segment_fixed_size 160
		.amdhsa_private_segment_fixed_size 0
		.amdhsa_kernarg_size 400
		.amdhsa_user_sgpr_count 6
		.amdhsa_user_sgpr_private_segment_buffer 1
		.amdhsa_user_sgpr_dispatch_ptr 0
		.amdhsa_user_sgpr_queue_ptr 0
		.amdhsa_user_sgpr_kernarg_segment_ptr 1
		.amdhsa_user_sgpr_dispatch_id 0
		.amdhsa_user_sgpr_flat_scratch_init 0
		.amdhsa_user_sgpr_private_segment_size 0
		.amdhsa_wavefront_size32 1
		.amdhsa_uses_dynamic_stack 0
		.amdhsa_system_sgpr_private_segment_wavefront_offset 0
		.amdhsa_system_sgpr_workgroup_id_x 1
		.amdhsa_system_sgpr_workgroup_id_y 1
		.amdhsa_system_sgpr_workgroup_id_z 1
		.amdhsa_system_sgpr_workgroup_info 0
		.amdhsa_system_vgpr_workitem_id 0
		.amdhsa_next_free_vgpr 71
		.amdhsa_next_free_sgpr 43
		.amdhsa_reserve_vcc 1
		.amdhsa_reserve_flat_scratch 0
		.amdhsa_float_round_mode_32 0
		.amdhsa_float_round_mode_16_64 0
		.amdhsa_float_denorm_mode_32 3
		.amdhsa_float_denorm_mode_16_64 3
		.amdhsa_dx10_clamp 1
		.amdhsa_ieee_mode 1
		.amdhsa_fp16_overflow 0
		.amdhsa_workgroup_processor_mode 1
		.amdhsa_memory_ordered 1
		.amdhsa_forward_progress 1
		.amdhsa_shared_vgpr_count 0
		.amdhsa_exception_fp_ieee_invalid_op 0
		.amdhsa_exception_fp_denorm_src 0
		.amdhsa_exception_fp_ieee_div_zero 0
		.amdhsa_exception_fp_ieee_overflow 0
		.amdhsa_exception_fp_ieee_underflow 0
		.amdhsa_exception_fp_ieee_inexact 0
		.amdhsa_exception_int_div_zero 0
	.end_amdhsa_kernel
	.section	.text._ZN4vllm25paged_attention_v2_kernelI14__hip_bfloat16hLi64ELi8ELi128ELNS_18Fp8KVCacheDataTypeE1ELb0ELi512EEEvPfS3_PT_PKS4_PKT0_SA_ifPKiSC_iPKfiiiSE_SE_iiiii,"axG",@progbits,_ZN4vllm25paged_attention_v2_kernelI14__hip_bfloat16hLi64ELi8ELi128ELNS_18Fp8KVCacheDataTypeE1ELb0ELi512EEEvPfS3_PT_PKS4_PKT0_SA_ifPKiSC_iPKfiiiSE_SE_iiiii,comdat
.Lfunc_end341:
	.size	_ZN4vllm25paged_attention_v2_kernelI14__hip_bfloat16hLi64ELi8ELi128ELNS_18Fp8KVCacheDataTypeE1ELb0ELi512EEEvPfS3_PT_PKS4_PKT0_SA_ifPKiSC_iPKfiiiSE_SE_iiiii, .Lfunc_end341-_ZN4vllm25paged_attention_v2_kernelI14__hip_bfloat16hLi64ELi8ELi128ELNS_18Fp8KVCacheDataTypeE1ELb0ELi512EEEvPfS3_PT_PKS4_PKT0_SA_ifPKiSC_iPKfiiiSE_SE_iiiii
                                        ; -- End function
	.set _ZN4vllm25paged_attention_v2_kernelI14__hip_bfloat16hLi64ELi8ELi128ELNS_18Fp8KVCacheDataTypeE1ELb0ELi512EEEvPfS3_PT_PKS4_PKT0_SA_ifPKiSC_iPKfiiiSE_SE_iiiii.num_vgpr, 71
	.set _ZN4vllm25paged_attention_v2_kernelI14__hip_bfloat16hLi64ELi8ELi128ELNS_18Fp8KVCacheDataTypeE1ELb0ELi512EEEvPfS3_PT_PKS4_PKT0_SA_ifPKiSC_iPKfiiiSE_SE_iiiii.num_agpr, 0
	.set _ZN4vllm25paged_attention_v2_kernelI14__hip_bfloat16hLi64ELi8ELi128ELNS_18Fp8KVCacheDataTypeE1ELb0ELi512EEEvPfS3_PT_PKS4_PKT0_SA_ifPKiSC_iPKfiiiSE_SE_iiiii.numbered_sgpr, 43
	.set _ZN4vllm25paged_attention_v2_kernelI14__hip_bfloat16hLi64ELi8ELi128ELNS_18Fp8KVCacheDataTypeE1ELb0ELi512EEEvPfS3_PT_PKS4_PKT0_SA_ifPKiSC_iPKfiiiSE_SE_iiiii.num_named_barrier, 0
	.set _ZN4vllm25paged_attention_v2_kernelI14__hip_bfloat16hLi64ELi8ELi128ELNS_18Fp8KVCacheDataTypeE1ELb0ELi512EEEvPfS3_PT_PKS4_PKT0_SA_ifPKiSC_iPKfiiiSE_SE_iiiii.private_seg_size, 0
	.set _ZN4vllm25paged_attention_v2_kernelI14__hip_bfloat16hLi64ELi8ELi128ELNS_18Fp8KVCacheDataTypeE1ELb0ELi512EEEvPfS3_PT_PKS4_PKT0_SA_ifPKiSC_iPKfiiiSE_SE_iiiii.uses_vcc, 1
	.set _ZN4vllm25paged_attention_v2_kernelI14__hip_bfloat16hLi64ELi8ELi128ELNS_18Fp8KVCacheDataTypeE1ELb0ELi512EEEvPfS3_PT_PKS4_PKT0_SA_ifPKiSC_iPKfiiiSE_SE_iiiii.uses_flat_scratch, 0
	.set _ZN4vllm25paged_attention_v2_kernelI14__hip_bfloat16hLi64ELi8ELi128ELNS_18Fp8KVCacheDataTypeE1ELb0ELi512EEEvPfS3_PT_PKS4_PKT0_SA_ifPKiSC_iPKfiiiSE_SE_iiiii.has_dyn_sized_stack, 0
	.set _ZN4vllm25paged_attention_v2_kernelI14__hip_bfloat16hLi64ELi8ELi128ELNS_18Fp8KVCacheDataTypeE1ELb0ELi512EEEvPfS3_PT_PKS4_PKT0_SA_ifPKiSC_iPKfiiiSE_SE_iiiii.has_recursion, 0
	.set _ZN4vllm25paged_attention_v2_kernelI14__hip_bfloat16hLi64ELi8ELi128ELNS_18Fp8KVCacheDataTypeE1ELb0ELi512EEEvPfS3_PT_PKS4_PKT0_SA_ifPKiSC_iPKfiiiSE_SE_iiiii.has_indirect_call, 0
	.section	.AMDGPU.csdata,"",@progbits
; Kernel info:
; codeLenInByte = 11964
; TotalNumSgprs: 45
; NumVgprs: 71
; ScratchSize: 0
; MemoryBound: 0
; FloatMode: 240
; IeeeMode: 1
; LDSByteSize: 160 bytes/workgroup (compile time only)
; SGPRBlocks: 0
; VGPRBlocks: 8
; NumSGPRsForWavesPerEU: 45
; NumVGPRsForWavesPerEU: 71
; Occupancy: 12
; WaveLimiterHint : 1
; COMPUTE_PGM_RSRC2:SCRATCH_EN: 0
; COMPUTE_PGM_RSRC2:USER_SGPR: 6
; COMPUTE_PGM_RSRC2:TRAP_HANDLER: 0
; COMPUTE_PGM_RSRC2:TGID_X_EN: 1
; COMPUTE_PGM_RSRC2:TGID_Y_EN: 1
; COMPUTE_PGM_RSRC2:TGID_Z_EN: 1
; COMPUTE_PGM_RSRC2:TIDIG_COMP_CNT: 0
	.section	.text._ZN4vllm25paged_attention_v2_kernelI14__hip_bfloat16hLi80ELi8ELi128ELNS_18Fp8KVCacheDataTypeE1ELb0ELi512EEEvPfS3_PT_PKS4_PKT0_SA_ifPKiSC_iPKfiiiSE_SE_iiiii,"axG",@progbits,_ZN4vllm25paged_attention_v2_kernelI14__hip_bfloat16hLi80ELi8ELi128ELNS_18Fp8KVCacheDataTypeE1ELb0ELi512EEEvPfS3_PT_PKS4_PKT0_SA_ifPKiSC_iPKfiiiSE_SE_iiiii,comdat
	.protected	_ZN4vllm25paged_attention_v2_kernelI14__hip_bfloat16hLi80ELi8ELi128ELNS_18Fp8KVCacheDataTypeE1ELb0ELi512EEEvPfS3_PT_PKS4_PKT0_SA_ifPKiSC_iPKfiiiSE_SE_iiiii ; -- Begin function _ZN4vllm25paged_attention_v2_kernelI14__hip_bfloat16hLi80ELi8ELi128ELNS_18Fp8KVCacheDataTypeE1ELb0ELi512EEEvPfS3_PT_PKS4_PKT0_SA_ifPKiSC_iPKfiiiSE_SE_iiiii
	.globl	_ZN4vllm25paged_attention_v2_kernelI14__hip_bfloat16hLi80ELi8ELi128ELNS_18Fp8KVCacheDataTypeE1ELb0ELi512EEEvPfS3_PT_PKS4_PKT0_SA_ifPKiSC_iPKfiiiSE_SE_iiiii
	.p2align	8
	.type	_ZN4vllm25paged_attention_v2_kernelI14__hip_bfloat16hLi80ELi8ELi128ELNS_18Fp8KVCacheDataTypeE1ELb0ELi512EEEvPfS3_PT_PKS4_PKT0_SA_ifPKiSC_iPKfiiiSE_SE_iiiii,@function
_ZN4vllm25paged_attention_v2_kernelI14__hip_bfloat16hLi80ELi8ELi128ELNS_18Fp8KVCacheDataTypeE1ELb0ELi512EEEvPfS3_PT_PKS4_PKT0_SA_ifPKiSC_iPKfiiiSE_SE_iiiii: ; @_ZN4vllm25paged_attention_v2_kernelI14__hip_bfloat16hLi80ELi8ELi128ELNS_18Fp8KVCacheDataTypeE1ELb0ELi512EEEvPfS3_PT_PKS4_PKT0_SA_ifPKiSC_iPKfiiiSE_SE_iiiii
; %bb.0:
	s_load_dwordx2 s[0:1], s[4:5], 0x40
	s_mov_b32 s26, s7
	s_ashr_i32 s27, s7, 31
	s_lshl_b64 s[2:3], s[26:27], 2
	s_waitcnt lgkmcnt(0)
	s_add_u32 s0, s0, s2
	s_addc_u32 s1, s1, s3
	s_lshl_b32 s33, s8, 9
	s_load_dword s27, s[0:1], 0x0
	s_waitcnt lgkmcnt(0)
	s_cmp_ge_i32 s33, s27
	s_cbranch_scc1 .LBB342_399
; %bb.1:
	s_clause 0x1
	s_load_dword s9, s[4:5], 0x90
	s_load_dwordx2 s[36:37], s[4:5], 0x30
	s_waitcnt lgkmcnt(0)
	s_abs_i32 s3, s9
	s_abs_i32 s0, s36
	v_cvt_f32_u32_e32 v1, s0
	s_sub_i32 s2, 0, s0
	v_rcp_iflag_f32_e32 v1, v1
	v_mul_f32_e32 v1, 0x4f7ffffe, v1
	v_cvt_u32_f32_e32 v1, v1
	v_readfirstlane_b32 s1, v1
	s_mul_i32 s2, s2, s1
	s_mul_hi_u32 s2, s1, s2
	s_add_i32 s1, s1, s2
	s_xor_b32 s2, s9, s36
	s_mul_hi_u32 s1, s3, s1
	s_ashr_i32 s2, s2, 31
	s_mul_i32 s7, s1, s0
	s_mov_b32 s36, 0
	s_sub_i32 s3, s3, s7
	s_add_i32 s7, s1, 1
	s_sub_i32 s10, s3, s0
	s_cmp_ge_u32 s3, s0
	s_cselect_b32 s1, s7, s1
	s_cselect_b32 s3, s10, s3
	s_add_i32 s7, s1, 1
	s_cmp_ge_u32 s3, s0
	s_cselect_b32 s0, s7, s1
	s_abs_i32 s16, s6
	s_xor_b32 s0, s0, s2
	s_sub_i32 s10, s0, s2
	s_load_dwordx2 s[0:1], s[4:5], 0x50
	s_abs_i32 s2, s10
	v_cvt_f32_u32_e32 v1, s2
	s_sub_i32 s7, 0, s2
	v_rcp_iflag_f32_e32 v1, v1
	v_mul_f32_e32 v1, 0x4f7ffffe, v1
	v_cvt_u32_f32_e32 v1, v1
	v_readfirstlane_b32 s3, v1
	s_mul_i32 s7, s7, s3
	s_mul_hi_u32 s7, s3, s7
	s_add_i32 s3, s3, s7
	s_waitcnt lgkmcnt(0)
	s_cmp_eq_u64 s[0:1], 0
	s_mul_hi_u32 s3, s16, s3
	s_cbranch_scc1 .LBB342_3
; %bb.2:
	s_ashr_i32 s7, s6, 31
	s_lshl_b64 s[12:13], s[6:7], 2
	s_add_u32 s0, s0, s12
	s_addc_u32 s1, s1, s13
	s_load_dword s36, s[0:1], 0x0
.LBB342_3:
	s_load_dwordx4 s[12:15], s[4:5], 0x58
	v_and_b32_e32 v1, 3, v0
	s_ashr_i32 s0, s6, 31
	s_ashr_i32 s1, s10, 31
	s_mul_i32 s10, s6, 0x50
	s_mov_b32 s7, exec_lo
	v_cmpx_gt_u32_e32 40, v0
	s_cbranch_execz .LBB342_5
; %bb.4:
	s_load_dwordx2 s[18:19], s[4:5], 0x18
	s_waitcnt lgkmcnt(0)
	s_mul_i32 s20, s12, s26
	v_lshlrev_b32_e32 v2, 2, v0
	s_ashr_i32 s21, s20, 31
	v_and_b32_e32 v3, 0x3fc, v0
	s_lshl_b64 s[20:21], s[20:21], 1
	v_mad_u32_u24 v3, v1, 40, v3
	s_add_u32 s12, s18, s20
	s_addc_u32 s15, s19, s21
	s_ashr_i32 s11, s10, 31
	s_lshl_b64 s[18:19], s[10:11], 1
	s_add_u32 s18, s12, s18
	s_addc_u32 s19, s15, s19
	global_load_dword v2, v2, s[18:19]
	s_waitcnt vmcnt(0)
	ds_write_b32 v3, v2
.LBB342_5:
	s_or_b32 exec_lo, exec_lo, s7
	s_add_i32 s7, s27, 7
	s_clause 0x1
	s_load_dwordx2 s[28:29], s[4:5], 0x38
	s_load_dword s17, s[4:5], 0x48
	s_ashr_i32 s11, s7, 31
	s_waitcnt lgkmcnt(0)
	s_lshl_b32 s15, s8, 6
	s_lshr_b32 s11, s11, 29
	s_xor_b32 s0, s0, s1
	s_add_i32 s7, s7, s11
	s_add_i32 s1, s15, 64
	s_ashr_i32 s7, s7, 3
	s_mul_i32 s11, s3, s2
	s_min_i32 s12, s1, s7
	s_sub_i32 s1, s16, s11
	s_add_i32 s11, s3, 1
	s_sub_i32 s16, s1, s2
	s_cmp_ge_u32 s1, s2
	v_lshrrev_b32_e32 v22, 5, v0
	s_cselect_b32 s3, s11, s3
	s_cselect_b32 s1, s16, s1
	s_add_i32 s11, s3, 1
	s_cmp_ge_u32 s1, s2
	v_or_b32_e32 v9, s15, v22
	s_cselect_b32 s1, s11, s3
	v_mbcnt_lo_u32_b32 v11, -1, 0
	s_xor_b32 s1, s1, s0
	s_mul_i32 s30, s17, s26
	s_sub_i32 s1, s1, s0
	v_cmp_gt_i32_e64 s0, s12, v9
	s_ashr_i32 s31, s30, 31
	s_mov_b32 s2, exec_lo
	s_barrier
	buffer_gl0_inv
                                        ; implicit-def: $vgpr2
                                        ; implicit-def: $vgpr13
	v_cmpx_le_i32_e64 s12, v9
	s_xor_b32 s2, exec_lo, s2
; %bb.6:
	v_mov_b32_e32 v2, 0
	v_mbcnt_lo_u32_b32 v11, -1, 0
	v_mov_b32_e32 v13, 32
                                        ; implicit-def: $vgpr1
; %bb.7:
	s_or_saveexec_b32 s38, s2
	s_clause 0x4
	s_load_dwordx4 s[20:23], s[4:5], 0x0
	s_load_dwordx2 s[24:25], s[4:5], 0x10
	s_load_dword s11, s[4:5], 0x98
	s_load_dwordx2 s[34:35], s[4:5], 0x28
	s_load_dwordx4 s[16:19], s[4:5], 0x68
	v_mov_b32_e32 v33, 0xff7fffff
	v_ashrrev_i32_e32 v10, 31, v9
	v_lshlrev_b32_e32 v12, 3, v22
	s_mul_i32 s14, s1, s14
	s_xor_b32 exec_lo, exec_lo, s38
	s_cbranch_execz .LBB342_173
; %bb.8:
	v_mul_u32_u24_e32 v7, 40, v1
	s_load_dwordx2 s[2:3], s[4:5], 0x20
	v_bfe_u32 v33, v0, 2, 3
	s_ashr_i32 s1, s14, 31
	s_waitcnt lgkmcnt(0)
	s_load_dword s4, s[16:17], 0x0
	ds_read2_b64 v[3:6], v7 offset1:1
	ds_read2_b64 v[27:30], v7 offset0:2 offset1:3
	ds_read_b64 v[7:8], v7 offset:32
	v_lshlrev_b32_e32 v13, 4, v33
	v_lshlrev_b32_e32 v38, 1, v1
	v_mov_b32_e32 v2, 0
	v_mov_b32_e32 v41, 0xffff
	;; [unrolled: 1-line block ×3, first 2 shown]
	s_mov_b32 s17, s13
	s_mov_b32 s16, 0
	s_add_u32 s2, s2, s14
	s_addc_u32 s1, s3, s1
	v_add_co_u32 v39, s2, s2, v13
	s_waitcnt lgkmcnt(0)
	v_lshlrev_b32_e32 v14, 16, v3
	v_and_b32_e32 v15, 0xffff0000, v3
	v_xor_b32_e32 v3, 2, v11
	v_lshlrev_b32_e32 v16, 16, v4
	v_and_b32_e32 v17, 0xffff0000, v4
	v_xor_b32_e32 v4, 1, v11
	v_add_co_ci_u32_e64 v40, null, s1, 0, s2
	v_cmp_gt_i32_e32 vcc_lo, 32, v3
	v_lshlrev_b32_e32 v18, 16, v5
	v_and_b32_e32 v19, 0xffff0000, v5
	v_lshlrev_b32_e32 v20, 16, v6
	v_and_b32_e32 v21, 0xffff0000, v6
	v_cndmask_b32_e32 v3, v11, v3, vcc_lo
	v_cmp_gt_i32_e32 vcc_lo, 32, v4
	v_lshlrev_b64 v[5:6], 2, v[9:10]
	s_sub_i32 s5, 1, s27
	v_lshlrev_b32_e32 v23, 16, v27
	v_lshlrev_b32_e32 v36, 2, v3
	v_cndmask_b32_e32 v4, v11, v4, vcc_lo
	v_cmp_eq_u32_e32 vcc_lo, 0, v1
	v_lshlrev_b32_e32 v1, 2, v33
	v_add_co_u32 v3, s2, v39, v38
	v_lshlrev_b32_e32 v37, 2, v4
	v_add_co_ci_u32_e64 v4, null, 0, v40, s2
	s_lshl_b64 s[2:3], s[30:31], 2
	v_lshl_or_b32 v1, v22, 5, v1
	s_add_u32 s2, s28, s2
	s_addc_u32 s3, s29, s3
	v_add_co_u32 v5, s2, s2, v5
	v_and_b32_e32 v24, 0xffff0000, v27
	v_lshlrev_b32_e32 v25, 16, v28
	v_and_b32_e32 v26, 0xffff0000, v28
	v_lshlrev_b32_e32 v27, 16, v29
	;; [unrolled: 2-line block ×5, first 2 shown]
	v_and_b32_e32 v35, 0xffff0000, v8
	v_mov_b32_e32 v13, 32
	v_cmp_neq_f32_e64 s1, s36, 0
	v_add3_u32 v38, s33, v12, v33
	v_add_nc_u32_e32 v39, 0xc0, v1
	v_add_co_ci_u32_e64 v6, null, s3, v6, s2
	v_mov_b32_e32 v33, 0xff7fffff
	v_mov_b32_e32 v40, 0x80
	s_branch .LBB342_10
.LBB342_9:                              ;   in Loop: Header=BB342_10 Depth=1
	s_or_b32 exec_lo, exec_lo, s3
	v_add_nc_u32_e32 v42, 4, v42
	v_add_co_u32 v5, s3, v5, 16
	v_add_nc_u32_e32 v38, 32, v38
	v_add_nc_u32_e32 v39, 0x80, v39
	v_cmp_le_i32_e64 s2, s12, v42
	v_add_co_ci_u32_e64 v6, null, 0, v6, s3
	s_or_b32 s16, s2, s16
	s_andn2_b32 exec_lo, exec_lo, s16
	s_cbranch_execz .LBB342_172
.LBB342_10:                             ; =>This Inner Loop Header: Depth=1
	global_load_dword v1, v[5:6], off
	v_mov_b32_e32 v43, 0
	s_waitcnt vmcnt(0) lgkmcnt(0)
	v_mad_i64_i32 v[7:8], null, v1, s17, v[3:4]
	global_load_ushort v1, v[7:8], off
	s_waitcnt vmcnt(0)
	v_and_b32_e32 v45, 0xffff, v1
	v_cmp_ne_u16_sdwa s2, v1, v2 src0_sel:BYTE_0 src1_sel:DWORD
	s_and_saveexec_b32 s3, s2
	s_cbranch_execz .LBB342_18
; %bb.11:                               ;   in Loop: Header=BB342_10 Depth=1
	v_cmp_ne_u16_sdwa s2, v45, v40 src0_sel:BYTE_0 src1_sel:DWORD
	v_bfrev_b32_e32 v43, 1
	s_and_saveexec_b32 s39, s2
	s_cbranch_execz .LBB342_17
; %bb.12:                               ;   in Loop: Header=BB342_10 Depth=1
	v_and_b32_e32 v44, 0x7f, v45
	v_mov_b32_e32 v43, 0x7f800001
	s_mov_b32 s40, exec_lo
	v_cmpx_ne_u32_e32 0x7f, v44
	s_cbranch_execz .LBB342_16
; %bb.13:                               ;   in Loop: Header=BB342_10 Depth=1
	v_and_b32_e32 v1, 7, v45
	v_lshrrev_b32_e32 v43, 3, v44
	s_mov_b32 s41, exec_lo
	v_cmpx_gt_u32_e32 8, v44
; %bb.14:                               ;   in Loop: Header=BB342_10 Depth=1
	v_ffbh_u32_e32 v43, v1
	v_min_u32_e32 v43, 32, v43
	v_subrev_nc_u32_e32 v44, 28, v43
	v_sub_nc_u32_e32 v43, 29, v43
	v_lshlrev_b64 v[46:47], v44, v[1:2]
	v_and_b32_e32 v1, 7, v46
; %bb.15:                               ;   in Loop: Header=BB342_10 Depth=1
	s_or_b32 exec_lo, exec_lo, s41
	v_lshlrev_b32_e32 v44, 24, v45
	v_lshlrev_b32_e32 v1, 20, v1
	v_lshl_add_u32 v43, v43, 23, 0x3c000000
	v_and_b32_e32 v44, 0x80000000, v44
	v_or3_b32 v43, v1, v44, v43
.LBB342_16:                             ;   in Loop: Header=BB342_10 Depth=1
	s_or_b32 exec_lo, exec_lo, s40
.LBB342_17:                             ;   in Loop: Header=BB342_10 Depth=1
	s_or_b32 exec_lo, exec_lo, s39
.LBB342_18:                             ;   in Loop: Header=BB342_10 Depth=1
	s_or_b32 exec_lo, exec_lo, s3
	v_cmp_ne_u16_sdwa s2, v45, v2 src0_sel:BYTE_1 src1_sel:DWORD
	v_mov_b32_e32 v44, 0
	s_and_saveexec_b32 s3, s2
	s_cbranch_execz .LBB342_26
; %bb.19:                               ;   in Loop: Header=BB342_10 Depth=1
	v_cmp_ne_u16_sdwa s2, v45, v40 src0_sel:BYTE_1 src1_sel:DWORD
	v_bfrev_b32_e32 v44, 1
	s_and_saveexec_b32 s39, s2
	s_cbranch_execz .LBB342_25
; %bb.20:                               ;   in Loop: Header=BB342_10 Depth=1
	v_and_b32_sdwa v1, v41, v45 dst_sel:DWORD dst_unused:UNUSED_PAD src0_sel:DWORD src1_sel:BYTE_1
	v_mov_b32_e32 v44, 0x7f800001
	s_mov_b32 s40, exec_lo
	v_and_b32_e32 v46, 0x7f, v1
	v_cmpx_ne_u32_e32 0x7f, v46
	s_cbranch_execz .LBB342_24
; %bb.21:                               ;   in Loop: Header=BB342_10 Depth=1
	v_and_b32_e32 v1, 7, v1
	v_lshrrev_b32_e32 v44, 3, v46
	s_mov_b32 s41, exec_lo
	v_cmpx_gt_u32_e32 8, v46
; %bb.22:                               ;   in Loop: Header=BB342_10 Depth=1
	v_ffbh_u32_e32 v44, v1
	v_min_u32_e32 v44, 32, v44
	v_subrev_nc_u32_e32 v46, 28, v44
	v_sub_nc_u32_e32 v44, 29, v44
	v_lshlrev_b64 v[46:47], v46, v[1:2]
	v_and_b32_e32 v1, 7, v46
; %bb.23:                               ;   in Loop: Header=BB342_10 Depth=1
	s_or_b32 exec_lo, exec_lo, s41
	v_lshlrev_b32_e32 v45, 16, v45
	v_lshlrev_b32_e32 v1, 20, v1
	v_lshl_add_u32 v44, v44, 23, 0x3c000000
	v_and_b32_e32 v45, 0x80000000, v45
	v_or3_b32 v44, v1, v45, v44
.LBB342_24:                             ;   in Loop: Header=BB342_10 Depth=1
	s_or_b32 exec_lo, exec_lo, s40
.LBB342_25:                             ;   in Loop: Header=BB342_10 Depth=1
	s_or_b32 exec_lo, exec_lo, s39
.LBB342_26:                             ;   in Loop: Header=BB342_10 Depth=1
	s_or_b32 exec_lo, exec_lo, s3
	global_load_ushort v1, v[7:8], off offset:8
	v_mov_b32_e32 v46, 0
	v_mov_b32_e32 v45, 0
	s_waitcnt vmcnt(0)
	v_and_b32_e32 v47, 0xffff, v1
	v_cmp_ne_u16_sdwa s2, v1, v2 src0_sel:BYTE_0 src1_sel:DWORD
	s_and_saveexec_b32 s3, s2
	s_cbranch_execz .LBB342_34
; %bb.27:                               ;   in Loop: Header=BB342_10 Depth=1
	v_cmp_ne_u16_sdwa s2, v47, v40 src0_sel:BYTE_0 src1_sel:DWORD
	v_bfrev_b32_e32 v45, 1
	s_and_saveexec_b32 s39, s2
	s_cbranch_execz .LBB342_33
; %bb.28:                               ;   in Loop: Header=BB342_10 Depth=1
	v_and_b32_e32 v48, 0x7f, v47
	v_mov_b32_e32 v45, 0x7f800001
	s_mov_b32 s40, exec_lo
	v_cmpx_ne_u32_e32 0x7f, v48
	s_cbranch_execz .LBB342_32
; %bb.29:                               ;   in Loop: Header=BB342_10 Depth=1
	v_and_b32_e32 v1, 7, v47
	v_lshrrev_b32_e32 v45, 3, v48
	s_mov_b32 s41, exec_lo
	v_cmpx_gt_u32_e32 8, v48
; %bb.30:                               ;   in Loop: Header=BB342_10 Depth=1
	v_ffbh_u32_e32 v45, v1
	v_min_u32_e32 v45, 32, v45
	v_subrev_nc_u32_e32 v48, 28, v45
	v_sub_nc_u32_e32 v45, 29, v45
	v_lshlrev_b64 v[48:49], v48, v[1:2]
	v_and_b32_e32 v1, 7, v48
; %bb.31:                               ;   in Loop: Header=BB342_10 Depth=1
	s_or_b32 exec_lo, exec_lo, s41
	v_lshlrev_b32_e32 v48, 24, v47
	v_lshlrev_b32_e32 v1, 20, v1
	v_lshl_add_u32 v45, v45, 23, 0x3c000000
	v_and_b32_e32 v48, 0x80000000, v48
	v_or3_b32 v45, v1, v48, v45
.LBB342_32:                             ;   in Loop: Header=BB342_10 Depth=1
	s_or_b32 exec_lo, exec_lo, s40
.LBB342_33:                             ;   in Loop: Header=BB342_10 Depth=1
	s_or_b32 exec_lo, exec_lo, s39
.LBB342_34:                             ;   in Loop: Header=BB342_10 Depth=1
	s_or_b32 exec_lo, exec_lo, s3
	v_cmp_ne_u16_sdwa s2, v47, v2 src0_sel:BYTE_1 src1_sel:DWORD
	s_and_saveexec_b32 s3, s2
	s_cbranch_execz .LBB342_42
; %bb.35:                               ;   in Loop: Header=BB342_10 Depth=1
	v_cmp_ne_u16_sdwa s2, v47, v40 src0_sel:BYTE_1 src1_sel:DWORD
	v_bfrev_b32_e32 v46, 1
	s_and_saveexec_b32 s39, s2
	s_cbranch_execz .LBB342_41
; %bb.36:                               ;   in Loop: Header=BB342_10 Depth=1
	v_and_b32_sdwa v1, v41, v47 dst_sel:DWORD dst_unused:UNUSED_PAD src0_sel:DWORD src1_sel:BYTE_1
	v_mov_b32_e32 v46, 0x7f800001
	s_mov_b32 s40, exec_lo
	v_and_b32_e32 v48, 0x7f, v1
	v_cmpx_ne_u32_e32 0x7f, v48
	s_cbranch_execz .LBB342_40
; %bb.37:                               ;   in Loop: Header=BB342_10 Depth=1
	v_and_b32_e32 v1, 7, v1
	v_lshrrev_b32_e32 v46, 3, v48
	s_mov_b32 s41, exec_lo
	v_cmpx_gt_u32_e32 8, v48
; %bb.38:                               ;   in Loop: Header=BB342_10 Depth=1
	v_ffbh_u32_e32 v46, v1
	v_min_u32_e32 v46, 32, v46
	v_subrev_nc_u32_e32 v48, 28, v46
	v_sub_nc_u32_e32 v46, 29, v46
	v_lshlrev_b64 v[48:49], v48, v[1:2]
	v_and_b32_e32 v1, 7, v48
; %bb.39:                               ;   in Loop: Header=BB342_10 Depth=1
	s_or_b32 exec_lo, exec_lo, s41
	v_lshlrev_b32_e32 v47, 16, v47
	v_lshlrev_b32_e32 v1, 20, v1
	v_lshl_add_u32 v46, v46, 23, 0x3c000000
	v_and_b32_e32 v47, 0x80000000, v47
	v_or3_b32 v46, v1, v47, v46
.LBB342_40:                             ;   in Loop: Header=BB342_10 Depth=1
	s_or_b32 exec_lo, exec_lo, s40
.LBB342_41:                             ;   in Loop: Header=BB342_10 Depth=1
	s_or_b32 exec_lo, exec_lo, s39
.LBB342_42:                             ;   in Loop: Header=BB342_10 Depth=1
	s_or_b32 exec_lo, exec_lo, s3
	global_load_ushort v1, v[7:8], off offset:128
	v_mov_b32_e32 v48, 0
	v_mov_b32_e32 v47, 0
	s_waitcnt vmcnt(0)
	v_and_b32_e32 v49, 0xffff, v1
	v_cmp_ne_u16_sdwa s2, v1, v2 src0_sel:BYTE_0 src1_sel:DWORD
	s_and_saveexec_b32 s3, s2
	s_cbranch_execz .LBB342_50
; %bb.43:                               ;   in Loop: Header=BB342_10 Depth=1
	v_cmp_ne_u16_sdwa s2, v49, v40 src0_sel:BYTE_0 src1_sel:DWORD
	v_bfrev_b32_e32 v47, 1
	s_and_saveexec_b32 s39, s2
	s_cbranch_execz .LBB342_49
; %bb.44:                               ;   in Loop: Header=BB342_10 Depth=1
	v_and_b32_e32 v50, 0x7f, v49
	v_mov_b32_e32 v47, 0x7f800001
	s_mov_b32 s40, exec_lo
	v_cmpx_ne_u32_e32 0x7f, v50
	s_cbranch_execz .LBB342_48
; %bb.45:                               ;   in Loop: Header=BB342_10 Depth=1
	v_and_b32_e32 v1, 7, v49
	v_lshrrev_b32_e32 v47, 3, v50
	s_mov_b32 s41, exec_lo
	v_cmpx_gt_u32_e32 8, v50
; %bb.46:                               ;   in Loop: Header=BB342_10 Depth=1
	v_ffbh_u32_e32 v47, v1
	v_min_u32_e32 v47, 32, v47
	v_subrev_nc_u32_e32 v50, 28, v47
	v_sub_nc_u32_e32 v47, 29, v47
	v_lshlrev_b64 v[50:51], v50, v[1:2]
	v_and_b32_e32 v1, 7, v50
; %bb.47:                               ;   in Loop: Header=BB342_10 Depth=1
	s_or_b32 exec_lo, exec_lo, s41
	v_lshlrev_b32_e32 v50, 24, v49
	v_lshlrev_b32_e32 v1, 20, v1
	v_lshl_add_u32 v47, v47, 23, 0x3c000000
	v_and_b32_e32 v50, 0x80000000, v50
	v_or3_b32 v47, v1, v50, v47
.LBB342_48:                             ;   in Loop: Header=BB342_10 Depth=1
	s_or_b32 exec_lo, exec_lo, s40
.LBB342_49:                             ;   in Loop: Header=BB342_10 Depth=1
	s_or_b32 exec_lo, exec_lo, s39
.LBB342_50:                             ;   in Loop: Header=BB342_10 Depth=1
	s_or_b32 exec_lo, exec_lo, s3
	v_cmp_ne_u16_sdwa s2, v49, v2 src0_sel:BYTE_1 src1_sel:DWORD
	s_and_saveexec_b32 s3, s2
	s_cbranch_execz .LBB342_58
; %bb.51:                               ;   in Loop: Header=BB342_10 Depth=1
	v_cmp_ne_u16_sdwa s2, v49, v40 src0_sel:BYTE_1 src1_sel:DWORD
	v_bfrev_b32_e32 v48, 1
	s_and_saveexec_b32 s39, s2
	s_cbranch_execz .LBB342_57
; %bb.52:                               ;   in Loop: Header=BB342_10 Depth=1
	v_and_b32_sdwa v1, v41, v49 dst_sel:DWORD dst_unused:UNUSED_PAD src0_sel:DWORD src1_sel:BYTE_1
	v_mov_b32_e32 v48, 0x7f800001
	s_mov_b32 s40, exec_lo
	v_and_b32_e32 v50, 0x7f, v1
	v_cmpx_ne_u32_e32 0x7f, v50
	s_cbranch_execz .LBB342_56
; %bb.53:                               ;   in Loop: Header=BB342_10 Depth=1
	v_and_b32_e32 v1, 7, v1
	v_lshrrev_b32_e32 v48, 3, v50
	s_mov_b32 s41, exec_lo
	v_cmpx_gt_u32_e32 8, v50
; %bb.54:                               ;   in Loop: Header=BB342_10 Depth=1
	v_ffbh_u32_e32 v48, v1
	v_min_u32_e32 v48, 32, v48
	v_subrev_nc_u32_e32 v50, 28, v48
	v_sub_nc_u32_e32 v48, 29, v48
	v_lshlrev_b64 v[50:51], v50, v[1:2]
	v_and_b32_e32 v1, 7, v50
; %bb.55:                               ;   in Loop: Header=BB342_10 Depth=1
	s_or_b32 exec_lo, exec_lo, s41
	v_lshlrev_b32_e32 v49, 16, v49
	v_lshlrev_b32_e32 v1, 20, v1
	v_lshl_add_u32 v48, v48, 23, 0x3c000000
	v_and_b32_e32 v49, 0x80000000, v49
	v_or3_b32 v48, v1, v49, v48
.LBB342_56:                             ;   in Loop: Header=BB342_10 Depth=1
	s_or_b32 exec_lo, exec_lo, s40
.LBB342_57:                             ;   in Loop: Header=BB342_10 Depth=1
	s_or_b32 exec_lo, exec_lo, s39
.LBB342_58:                             ;   in Loop: Header=BB342_10 Depth=1
	s_or_b32 exec_lo, exec_lo, s3
	global_load_ushort v1, v[7:8], off offset:136
	v_mov_b32_e32 v50, 0
	v_mov_b32_e32 v49, 0
	s_waitcnt vmcnt(0)
	v_and_b32_e32 v51, 0xffff, v1
	v_cmp_ne_u16_sdwa s2, v1, v2 src0_sel:BYTE_0 src1_sel:DWORD
	s_and_saveexec_b32 s3, s2
	s_cbranch_execz .LBB342_66
; %bb.59:                               ;   in Loop: Header=BB342_10 Depth=1
	v_cmp_ne_u16_sdwa s2, v51, v40 src0_sel:BYTE_0 src1_sel:DWORD
	v_bfrev_b32_e32 v49, 1
	s_and_saveexec_b32 s39, s2
	s_cbranch_execz .LBB342_65
; %bb.60:                               ;   in Loop: Header=BB342_10 Depth=1
	v_and_b32_e32 v52, 0x7f, v51
	v_mov_b32_e32 v49, 0x7f800001
	s_mov_b32 s40, exec_lo
	v_cmpx_ne_u32_e32 0x7f, v52
	s_cbranch_execz .LBB342_64
; %bb.61:                               ;   in Loop: Header=BB342_10 Depth=1
	v_and_b32_e32 v1, 7, v51
	v_lshrrev_b32_e32 v49, 3, v52
	s_mov_b32 s41, exec_lo
	v_cmpx_gt_u32_e32 8, v52
; %bb.62:                               ;   in Loop: Header=BB342_10 Depth=1
	v_ffbh_u32_e32 v49, v1
	v_min_u32_e32 v49, 32, v49
	v_subrev_nc_u32_e32 v52, 28, v49
	v_sub_nc_u32_e32 v49, 29, v49
	v_lshlrev_b64 v[52:53], v52, v[1:2]
	v_and_b32_e32 v1, 7, v52
; %bb.63:                               ;   in Loop: Header=BB342_10 Depth=1
	s_or_b32 exec_lo, exec_lo, s41
	v_lshlrev_b32_e32 v52, 24, v51
	v_lshlrev_b32_e32 v1, 20, v1
	v_lshl_add_u32 v49, v49, 23, 0x3c000000
	v_and_b32_e32 v52, 0x80000000, v52
	v_or3_b32 v49, v1, v52, v49
.LBB342_64:                             ;   in Loop: Header=BB342_10 Depth=1
	s_or_b32 exec_lo, exec_lo, s40
.LBB342_65:                             ;   in Loop: Header=BB342_10 Depth=1
	s_or_b32 exec_lo, exec_lo, s39
.LBB342_66:                             ;   in Loop: Header=BB342_10 Depth=1
	s_or_b32 exec_lo, exec_lo, s3
	v_cmp_ne_u16_sdwa s2, v51, v2 src0_sel:BYTE_1 src1_sel:DWORD
	s_and_saveexec_b32 s3, s2
	s_cbranch_execz .LBB342_74
; %bb.67:                               ;   in Loop: Header=BB342_10 Depth=1
	v_cmp_ne_u16_sdwa s2, v51, v40 src0_sel:BYTE_1 src1_sel:DWORD
	v_bfrev_b32_e32 v50, 1
	s_and_saveexec_b32 s39, s2
	s_cbranch_execz .LBB342_73
; %bb.68:                               ;   in Loop: Header=BB342_10 Depth=1
	v_and_b32_sdwa v1, v41, v51 dst_sel:DWORD dst_unused:UNUSED_PAD src0_sel:DWORD src1_sel:BYTE_1
	v_mov_b32_e32 v50, 0x7f800001
	s_mov_b32 s40, exec_lo
	v_and_b32_e32 v52, 0x7f, v1
	v_cmpx_ne_u32_e32 0x7f, v52
	s_cbranch_execz .LBB342_72
; %bb.69:                               ;   in Loop: Header=BB342_10 Depth=1
	v_and_b32_e32 v1, 7, v1
	v_lshrrev_b32_e32 v50, 3, v52
	s_mov_b32 s41, exec_lo
	v_cmpx_gt_u32_e32 8, v52
; %bb.70:                               ;   in Loop: Header=BB342_10 Depth=1
	v_ffbh_u32_e32 v50, v1
	v_min_u32_e32 v50, 32, v50
	v_subrev_nc_u32_e32 v52, 28, v50
	v_sub_nc_u32_e32 v50, 29, v50
	v_lshlrev_b64 v[52:53], v52, v[1:2]
	v_and_b32_e32 v1, 7, v52
; %bb.71:                               ;   in Loop: Header=BB342_10 Depth=1
	s_or_b32 exec_lo, exec_lo, s41
	v_lshlrev_b32_e32 v51, 16, v51
	v_lshlrev_b32_e32 v1, 20, v1
	v_lshl_add_u32 v50, v50, 23, 0x3c000000
	v_and_b32_e32 v51, 0x80000000, v51
	v_or3_b32 v50, v1, v51, v50
.LBB342_72:                             ;   in Loop: Header=BB342_10 Depth=1
	s_or_b32 exec_lo, exec_lo, s40
.LBB342_73:                             ;   in Loop: Header=BB342_10 Depth=1
	s_or_b32 exec_lo, exec_lo, s39
.LBB342_74:                             ;   in Loop: Header=BB342_10 Depth=1
	s_or_b32 exec_lo, exec_lo, s3
	global_load_ushort v1, v[7:8], off offset:256
	v_mov_b32_e32 v52, 0
	v_mov_b32_e32 v51, 0
	s_waitcnt vmcnt(0)
	v_and_b32_e32 v53, 0xffff, v1
	v_cmp_ne_u16_sdwa s2, v1, v2 src0_sel:BYTE_0 src1_sel:DWORD
	s_and_saveexec_b32 s3, s2
	s_cbranch_execz .LBB342_82
; %bb.75:                               ;   in Loop: Header=BB342_10 Depth=1
	v_cmp_ne_u16_sdwa s2, v53, v40 src0_sel:BYTE_0 src1_sel:DWORD
	v_bfrev_b32_e32 v51, 1
	s_and_saveexec_b32 s39, s2
	s_cbranch_execz .LBB342_81
; %bb.76:                               ;   in Loop: Header=BB342_10 Depth=1
	v_and_b32_e32 v54, 0x7f, v53
	v_mov_b32_e32 v51, 0x7f800001
	s_mov_b32 s40, exec_lo
	v_cmpx_ne_u32_e32 0x7f, v54
	s_cbranch_execz .LBB342_80
; %bb.77:                               ;   in Loop: Header=BB342_10 Depth=1
	v_and_b32_e32 v1, 7, v53
	v_lshrrev_b32_e32 v51, 3, v54
	s_mov_b32 s41, exec_lo
	v_cmpx_gt_u32_e32 8, v54
; %bb.78:                               ;   in Loop: Header=BB342_10 Depth=1
	v_ffbh_u32_e32 v51, v1
	v_min_u32_e32 v51, 32, v51
	v_subrev_nc_u32_e32 v54, 28, v51
	v_sub_nc_u32_e32 v51, 29, v51
	v_lshlrev_b64 v[54:55], v54, v[1:2]
	v_and_b32_e32 v1, 7, v54
; %bb.79:                               ;   in Loop: Header=BB342_10 Depth=1
	s_or_b32 exec_lo, exec_lo, s41
	v_lshlrev_b32_e32 v54, 24, v53
	v_lshlrev_b32_e32 v1, 20, v1
	v_lshl_add_u32 v51, v51, 23, 0x3c000000
	v_and_b32_e32 v54, 0x80000000, v54
	v_or3_b32 v51, v1, v54, v51
.LBB342_80:                             ;   in Loop: Header=BB342_10 Depth=1
	s_or_b32 exec_lo, exec_lo, s40
.LBB342_81:                             ;   in Loop: Header=BB342_10 Depth=1
	s_or_b32 exec_lo, exec_lo, s39
.LBB342_82:                             ;   in Loop: Header=BB342_10 Depth=1
	s_or_b32 exec_lo, exec_lo, s3
	v_cmp_ne_u16_sdwa s2, v53, v2 src0_sel:BYTE_1 src1_sel:DWORD
	s_and_saveexec_b32 s3, s2
	s_cbranch_execz .LBB342_90
; %bb.83:                               ;   in Loop: Header=BB342_10 Depth=1
	v_cmp_ne_u16_sdwa s2, v53, v40 src0_sel:BYTE_1 src1_sel:DWORD
	v_bfrev_b32_e32 v52, 1
	s_and_saveexec_b32 s39, s2
	s_cbranch_execz .LBB342_89
; %bb.84:                               ;   in Loop: Header=BB342_10 Depth=1
	v_and_b32_sdwa v1, v41, v53 dst_sel:DWORD dst_unused:UNUSED_PAD src0_sel:DWORD src1_sel:BYTE_1
	v_mov_b32_e32 v52, 0x7f800001
	s_mov_b32 s40, exec_lo
	v_and_b32_e32 v54, 0x7f, v1
	v_cmpx_ne_u32_e32 0x7f, v54
	s_cbranch_execz .LBB342_88
; %bb.85:                               ;   in Loop: Header=BB342_10 Depth=1
	v_and_b32_e32 v1, 7, v1
	v_lshrrev_b32_e32 v52, 3, v54
	s_mov_b32 s41, exec_lo
	v_cmpx_gt_u32_e32 8, v54
; %bb.86:                               ;   in Loop: Header=BB342_10 Depth=1
	v_ffbh_u32_e32 v52, v1
	v_min_u32_e32 v52, 32, v52
	v_subrev_nc_u32_e32 v54, 28, v52
	v_sub_nc_u32_e32 v52, 29, v52
	v_lshlrev_b64 v[54:55], v54, v[1:2]
	v_and_b32_e32 v1, 7, v54
; %bb.87:                               ;   in Loop: Header=BB342_10 Depth=1
	s_or_b32 exec_lo, exec_lo, s41
	v_lshlrev_b32_e32 v53, 16, v53
	v_lshlrev_b32_e32 v1, 20, v1
	v_lshl_add_u32 v52, v52, 23, 0x3c000000
	v_and_b32_e32 v53, 0x80000000, v53
	v_or3_b32 v52, v1, v53, v52
.LBB342_88:                             ;   in Loop: Header=BB342_10 Depth=1
	s_or_b32 exec_lo, exec_lo, s40
.LBB342_89:                             ;   in Loop: Header=BB342_10 Depth=1
	s_or_b32 exec_lo, exec_lo, s39
.LBB342_90:                             ;   in Loop: Header=BB342_10 Depth=1
	s_or_b32 exec_lo, exec_lo, s3
	global_load_ushort v1, v[7:8], off offset:264
	v_mov_b32_e32 v54, 0
	v_mov_b32_e32 v53, 0
	s_waitcnt vmcnt(0)
	v_and_b32_e32 v55, 0xffff, v1
	v_cmp_ne_u16_sdwa s2, v1, v2 src0_sel:BYTE_0 src1_sel:DWORD
	s_and_saveexec_b32 s3, s2
	s_cbranch_execz .LBB342_98
; %bb.91:                               ;   in Loop: Header=BB342_10 Depth=1
	v_cmp_ne_u16_sdwa s2, v55, v40 src0_sel:BYTE_0 src1_sel:DWORD
	v_bfrev_b32_e32 v53, 1
	s_and_saveexec_b32 s39, s2
	s_cbranch_execz .LBB342_97
; %bb.92:                               ;   in Loop: Header=BB342_10 Depth=1
	v_and_b32_e32 v56, 0x7f, v55
	v_mov_b32_e32 v53, 0x7f800001
	s_mov_b32 s40, exec_lo
	v_cmpx_ne_u32_e32 0x7f, v56
	s_cbranch_execz .LBB342_96
; %bb.93:                               ;   in Loop: Header=BB342_10 Depth=1
	v_and_b32_e32 v1, 7, v55
	v_lshrrev_b32_e32 v53, 3, v56
	s_mov_b32 s41, exec_lo
	v_cmpx_gt_u32_e32 8, v56
; %bb.94:                               ;   in Loop: Header=BB342_10 Depth=1
	v_ffbh_u32_e32 v53, v1
	v_min_u32_e32 v53, 32, v53
	v_subrev_nc_u32_e32 v56, 28, v53
	v_sub_nc_u32_e32 v53, 29, v53
	v_lshlrev_b64 v[56:57], v56, v[1:2]
	v_and_b32_e32 v1, 7, v56
; %bb.95:                               ;   in Loop: Header=BB342_10 Depth=1
	s_or_b32 exec_lo, exec_lo, s41
	v_lshlrev_b32_e32 v56, 24, v55
	v_lshlrev_b32_e32 v1, 20, v1
	v_lshl_add_u32 v53, v53, 23, 0x3c000000
	v_and_b32_e32 v56, 0x80000000, v56
	v_or3_b32 v53, v1, v56, v53
.LBB342_96:                             ;   in Loop: Header=BB342_10 Depth=1
	s_or_b32 exec_lo, exec_lo, s40
.LBB342_97:                             ;   in Loop: Header=BB342_10 Depth=1
	s_or_b32 exec_lo, exec_lo, s39
.LBB342_98:                             ;   in Loop: Header=BB342_10 Depth=1
	s_or_b32 exec_lo, exec_lo, s3
	v_cmp_ne_u16_sdwa s2, v55, v2 src0_sel:BYTE_1 src1_sel:DWORD
	s_and_saveexec_b32 s3, s2
	s_cbranch_execz .LBB342_106
; %bb.99:                               ;   in Loop: Header=BB342_10 Depth=1
	v_cmp_ne_u16_sdwa s2, v55, v40 src0_sel:BYTE_1 src1_sel:DWORD
	v_bfrev_b32_e32 v54, 1
	s_and_saveexec_b32 s39, s2
	s_cbranch_execz .LBB342_105
; %bb.100:                              ;   in Loop: Header=BB342_10 Depth=1
	v_and_b32_sdwa v1, v41, v55 dst_sel:DWORD dst_unused:UNUSED_PAD src0_sel:DWORD src1_sel:BYTE_1
	v_mov_b32_e32 v54, 0x7f800001
	s_mov_b32 s40, exec_lo
	v_and_b32_e32 v56, 0x7f, v1
	v_cmpx_ne_u32_e32 0x7f, v56
	s_cbranch_execz .LBB342_104
; %bb.101:                              ;   in Loop: Header=BB342_10 Depth=1
	v_and_b32_e32 v1, 7, v1
	v_lshrrev_b32_e32 v54, 3, v56
	s_mov_b32 s41, exec_lo
	v_cmpx_gt_u32_e32 8, v56
; %bb.102:                              ;   in Loop: Header=BB342_10 Depth=1
	v_ffbh_u32_e32 v54, v1
	v_min_u32_e32 v54, 32, v54
	v_subrev_nc_u32_e32 v56, 28, v54
	v_sub_nc_u32_e32 v54, 29, v54
	v_lshlrev_b64 v[56:57], v56, v[1:2]
	v_and_b32_e32 v1, 7, v56
; %bb.103:                              ;   in Loop: Header=BB342_10 Depth=1
	s_or_b32 exec_lo, exec_lo, s41
	v_lshlrev_b32_e32 v55, 16, v55
	v_lshlrev_b32_e32 v1, 20, v1
	v_lshl_add_u32 v54, v54, 23, 0x3c000000
	v_and_b32_e32 v55, 0x80000000, v55
	v_or3_b32 v54, v1, v55, v54
.LBB342_104:                            ;   in Loop: Header=BB342_10 Depth=1
	s_or_b32 exec_lo, exec_lo, s40
.LBB342_105:                            ;   in Loop: Header=BB342_10 Depth=1
	s_or_b32 exec_lo, exec_lo, s39
.LBB342_106:                            ;   in Loop: Header=BB342_10 Depth=1
	s_or_b32 exec_lo, exec_lo, s3
	global_load_ushort v1, v[7:8], off offset:384
	v_mov_b32_e32 v56, 0
	v_mov_b32_e32 v55, 0
	s_waitcnt vmcnt(0)
	v_and_b32_e32 v57, 0xffff, v1
	v_cmp_ne_u16_sdwa s2, v1, v2 src0_sel:BYTE_0 src1_sel:DWORD
	s_and_saveexec_b32 s3, s2
	s_cbranch_execz .LBB342_114
; %bb.107:                              ;   in Loop: Header=BB342_10 Depth=1
	v_cmp_ne_u16_sdwa s2, v57, v40 src0_sel:BYTE_0 src1_sel:DWORD
	v_bfrev_b32_e32 v55, 1
	s_and_saveexec_b32 s39, s2
	s_cbranch_execz .LBB342_113
; %bb.108:                              ;   in Loop: Header=BB342_10 Depth=1
	v_and_b32_e32 v58, 0x7f, v57
	v_mov_b32_e32 v55, 0x7f800001
	s_mov_b32 s40, exec_lo
	v_cmpx_ne_u32_e32 0x7f, v58
	s_cbranch_execz .LBB342_112
; %bb.109:                              ;   in Loop: Header=BB342_10 Depth=1
	v_and_b32_e32 v1, 7, v57
	v_lshrrev_b32_e32 v55, 3, v58
	s_mov_b32 s41, exec_lo
	v_cmpx_gt_u32_e32 8, v58
; %bb.110:                              ;   in Loop: Header=BB342_10 Depth=1
	v_ffbh_u32_e32 v55, v1
	v_min_u32_e32 v55, 32, v55
	v_subrev_nc_u32_e32 v58, 28, v55
	v_sub_nc_u32_e32 v55, 29, v55
	v_lshlrev_b64 v[58:59], v58, v[1:2]
	v_and_b32_e32 v1, 7, v58
; %bb.111:                              ;   in Loop: Header=BB342_10 Depth=1
	s_or_b32 exec_lo, exec_lo, s41
	v_lshlrev_b32_e32 v58, 24, v57
	v_lshlrev_b32_e32 v1, 20, v1
	v_lshl_add_u32 v55, v55, 23, 0x3c000000
	v_and_b32_e32 v58, 0x80000000, v58
	v_or3_b32 v55, v1, v58, v55
.LBB342_112:                            ;   in Loop: Header=BB342_10 Depth=1
	s_or_b32 exec_lo, exec_lo, s40
.LBB342_113:                            ;   in Loop: Header=BB342_10 Depth=1
	s_or_b32 exec_lo, exec_lo, s39
.LBB342_114:                            ;   in Loop: Header=BB342_10 Depth=1
	s_or_b32 exec_lo, exec_lo, s3
	v_cmp_ne_u16_sdwa s2, v57, v2 src0_sel:BYTE_1 src1_sel:DWORD
	s_and_saveexec_b32 s3, s2
	s_cbranch_execz .LBB342_122
; %bb.115:                              ;   in Loop: Header=BB342_10 Depth=1
	v_cmp_ne_u16_sdwa s2, v57, v40 src0_sel:BYTE_1 src1_sel:DWORD
	v_bfrev_b32_e32 v56, 1
	s_and_saveexec_b32 s39, s2
	s_cbranch_execz .LBB342_121
; %bb.116:                              ;   in Loop: Header=BB342_10 Depth=1
	v_and_b32_sdwa v1, v41, v57 dst_sel:DWORD dst_unused:UNUSED_PAD src0_sel:DWORD src1_sel:BYTE_1
	v_mov_b32_e32 v56, 0x7f800001
	s_mov_b32 s40, exec_lo
	v_and_b32_e32 v58, 0x7f, v1
	v_cmpx_ne_u32_e32 0x7f, v58
	s_cbranch_execz .LBB342_120
; %bb.117:                              ;   in Loop: Header=BB342_10 Depth=1
	v_and_b32_e32 v1, 7, v1
	v_lshrrev_b32_e32 v56, 3, v58
	s_mov_b32 s41, exec_lo
	v_cmpx_gt_u32_e32 8, v58
; %bb.118:                              ;   in Loop: Header=BB342_10 Depth=1
	v_ffbh_u32_e32 v56, v1
	v_min_u32_e32 v56, 32, v56
	v_subrev_nc_u32_e32 v58, 28, v56
	v_sub_nc_u32_e32 v56, 29, v56
	v_lshlrev_b64 v[58:59], v58, v[1:2]
	v_and_b32_e32 v1, 7, v58
; %bb.119:                              ;   in Loop: Header=BB342_10 Depth=1
	s_or_b32 exec_lo, exec_lo, s41
	v_lshlrev_b32_e32 v57, 16, v57
	v_lshlrev_b32_e32 v1, 20, v1
	v_lshl_add_u32 v56, v56, 23, 0x3c000000
	v_and_b32_e32 v57, 0x80000000, v57
	v_or3_b32 v56, v1, v57, v56
.LBB342_120:                            ;   in Loop: Header=BB342_10 Depth=1
	s_or_b32 exec_lo, exec_lo, s40
.LBB342_121:                            ;   in Loop: Header=BB342_10 Depth=1
	s_or_b32 exec_lo, exec_lo, s39
.LBB342_122:                            ;   in Loop: Header=BB342_10 Depth=1
	s_or_b32 exec_lo, exec_lo, s3
	global_load_ushort v1, v[7:8], off offset:392
	v_mov_b32_e32 v58, 0
	v_mov_b32_e32 v57, 0
	s_waitcnt vmcnt(0)
	v_and_b32_e32 v59, 0xffff, v1
	v_cmp_ne_u16_sdwa s2, v1, v2 src0_sel:BYTE_0 src1_sel:DWORD
	s_and_saveexec_b32 s3, s2
	s_cbranch_execz .LBB342_130
; %bb.123:                              ;   in Loop: Header=BB342_10 Depth=1
	v_cmp_ne_u16_sdwa s2, v59, v40 src0_sel:BYTE_0 src1_sel:DWORD
	v_bfrev_b32_e32 v57, 1
	s_and_saveexec_b32 s39, s2
	s_cbranch_execz .LBB342_129
; %bb.124:                              ;   in Loop: Header=BB342_10 Depth=1
	v_and_b32_e32 v60, 0x7f, v59
	v_mov_b32_e32 v57, 0x7f800001
	s_mov_b32 s40, exec_lo
	v_cmpx_ne_u32_e32 0x7f, v60
	s_cbranch_execz .LBB342_128
; %bb.125:                              ;   in Loop: Header=BB342_10 Depth=1
	v_and_b32_e32 v1, 7, v59
	v_lshrrev_b32_e32 v57, 3, v60
	s_mov_b32 s41, exec_lo
	v_cmpx_gt_u32_e32 8, v60
; %bb.126:                              ;   in Loop: Header=BB342_10 Depth=1
	v_ffbh_u32_e32 v57, v1
	v_min_u32_e32 v57, 32, v57
	v_subrev_nc_u32_e32 v60, 28, v57
	v_sub_nc_u32_e32 v57, 29, v57
	v_lshlrev_b64 v[60:61], v60, v[1:2]
	v_and_b32_e32 v1, 7, v60
; %bb.127:                              ;   in Loop: Header=BB342_10 Depth=1
	s_or_b32 exec_lo, exec_lo, s41
	v_lshlrev_b32_e32 v60, 24, v59
	v_lshlrev_b32_e32 v1, 20, v1
	v_lshl_add_u32 v57, v57, 23, 0x3c000000
	v_and_b32_e32 v60, 0x80000000, v60
	v_or3_b32 v57, v1, v60, v57
.LBB342_128:                            ;   in Loop: Header=BB342_10 Depth=1
	s_or_b32 exec_lo, exec_lo, s40
.LBB342_129:                            ;   in Loop: Header=BB342_10 Depth=1
	s_or_b32 exec_lo, exec_lo, s39
.LBB342_130:                            ;   in Loop: Header=BB342_10 Depth=1
	s_or_b32 exec_lo, exec_lo, s3
	v_cmp_ne_u16_sdwa s2, v59, v2 src0_sel:BYTE_1 src1_sel:DWORD
	s_and_saveexec_b32 s3, s2
	s_cbranch_execz .LBB342_138
; %bb.131:                              ;   in Loop: Header=BB342_10 Depth=1
	v_cmp_ne_u16_sdwa s2, v59, v40 src0_sel:BYTE_1 src1_sel:DWORD
	v_bfrev_b32_e32 v58, 1
	s_and_saveexec_b32 s39, s2
	s_cbranch_execz .LBB342_137
; %bb.132:                              ;   in Loop: Header=BB342_10 Depth=1
	v_and_b32_sdwa v1, v41, v59 dst_sel:DWORD dst_unused:UNUSED_PAD src0_sel:DWORD src1_sel:BYTE_1
	v_mov_b32_e32 v58, 0x7f800001
	s_mov_b32 s40, exec_lo
	v_and_b32_e32 v60, 0x7f, v1
	v_cmpx_ne_u32_e32 0x7f, v60
	s_cbranch_execz .LBB342_136
; %bb.133:                              ;   in Loop: Header=BB342_10 Depth=1
	v_and_b32_e32 v1, 7, v1
	v_lshrrev_b32_e32 v58, 3, v60
	s_mov_b32 s41, exec_lo
	v_cmpx_gt_u32_e32 8, v60
; %bb.134:                              ;   in Loop: Header=BB342_10 Depth=1
	v_ffbh_u32_e32 v58, v1
	v_min_u32_e32 v58, 32, v58
	v_subrev_nc_u32_e32 v60, 28, v58
	v_sub_nc_u32_e32 v58, 29, v58
	v_lshlrev_b64 v[60:61], v60, v[1:2]
	v_and_b32_e32 v1, 7, v60
; %bb.135:                              ;   in Loop: Header=BB342_10 Depth=1
	s_or_b32 exec_lo, exec_lo, s41
	v_lshlrev_b32_e32 v59, 16, v59
	v_lshlrev_b32_e32 v1, 20, v1
	v_lshl_add_u32 v58, v58, 23, 0x3c000000
	v_and_b32_e32 v59, 0x80000000, v59
	v_or3_b32 v58, v1, v59, v58
.LBB342_136:                            ;   in Loop: Header=BB342_10 Depth=1
	s_or_b32 exec_lo, exec_lo, s40
.LBB342_137:                            ;   in Loop: Header=BB342_10 Depth=1
	s_or_b32 exec_lo, exec_lo, s39
.LBB342_138:                            ;   in Loop: Header=BB342_10 Depth=1
	s_or_b32 exec_lo, exec_lo, s3
	global_load_ushort v1, v[7:8], off offset:512
	v_mov_b32_e32 v60, 0
	v_mov_b32_e32 v59, 0
	s_waitcnt vmcnt(0)
	v_and_b32_e32 v61, 0xffff, v1
	v_cmp_ne_u16_sdwa s2, v1, v2 src0_sel:BYTE_0 src1_sel:DWORD
	s_and_saveexec_b32 s3, s2
	s_cbranch_execz .LBB342_146
; %bb.139:                              ;   in Loop: Header=BB342_10 Depth=1
	v_cmp_ne_u16_sdwa s2, v61, v40 src0_sel:BYTE_0 src1_sel:DWORD
	v_bfrev_b32_e32 v59, 1
	s_and_saveexec_b32 s39, s2
	s_cbranch_execz .LBB342_145
; %bb.140:                              ;   in Loop: Header=BB342_10 Depth=1
	v_and_b32_e32 v62, 0x7f, v61
	v_mov_b32_e32 v59, 0x7f800001
	s_mov_b32 s40, exec_lo
	v_cmpx_ne_u32_e32 0x7f, v62
	s_cbranch_execz .LBB342_144
; %bb.141:                              ;   in Loop: Header=BB342_10 Depth=1
	v_and_b32_e32 v1, 7, v61
	v_lshrrev_b32_e32 v59, 3, v62
	s_mov_b32 s41, exec_lo
	v_cmpx_gt_u32_e32 8, v62
; %bb.142:                              ;   in Loop: Header=BB342_10 Depth=1
	v_ffbh_u32_e32 v59, v1
	v_min_u32_e32 v59, 32, v59
	v_subrev_nc_u32_e32 v62, 28, v59
	v_sub_nc_u32_e32 v59, 29, v59
	v_lshlrev_b64 v[62:63], v62, v[1:2]
	v_and_b32_e32 v1, 7, v62
; %bb.143:                              ;   in Loop: Header=BB342_10 Depth=1
	s_or_b32 exec_lo, exec_lo, s41
	v_lshlrev_b32_e32 v62, 24, v61
	v_lshlrev_b32_e32 v1, 20, v1
	v_lshl_add_u32 v59, v59, 23, 0x3c000000
	v_and_b32_e32 v62, 0x80000000, v62
	v_or3_b32 v59, v1, v62, v59
.LBB342_144:                            ;   in Loop: Header=BB342_10 Depth=1
	s_or_b32 exec_lo, exec_lo, s40
.LBB342_145:                            ;   in Loop: Header=BB342_10 Depth=1
	s_or_b32 exec_lo, exec_lo, s39
.LBB342_146:                            ;   in Loop: Header=BB342_10 Depth=1
	s_or_b32 exec_lo, exec_lo, s3
	v_cmp_ne_u16_sdwa s2, v61, v2 src0_sel:BYTE_1 src1_sel:DWORD
	s_and_saveexec_b32 s3, s2
	s_cbranch_execz .LBB342_154
; %bb.147:                              ;   in Loop: Header=BB342_10 Depth=1
	v_cmp_ne_u16_sdwa s2, v61, v40 src0_sel:BYTE_1 src1_sel:DWORD
	v_bfrev_b32_e32 v60, 1
	s_and_saveexec_b32 s39, s2
	s_cbranch_execz .LBB342_153
; %bb.148:                              ;   in Loop: Header=BB342_10 Depth=1
	v_and_b32_sdwa v1, v41, v61 dst_sel:DWORD dst_unused:UNUSED_PAD src0_sel:DWORD src1_sel:BYTE_1
	v_mov_b32_e32 v60, 0x7f800001
	s_mov_b32 s40, exec_lo
	v_and_b32_e32 v62, 0x7f, v1
	v_cmpx_ne_u32_e32 0x7f, v62
	s_cbranch_execz .LBB342_152
; %bb.149:                              ;   in Loop: Header=BB342_10 Depth=1
	v_and_b32_e32 v1, 7, v1
	v_lshrrev_b32_e32 v60, 3, v62
	s_mov_b32 s41, exec_lo
	v_cmpx_gt_u32_e32 8, v62
; %bb.150:                              ;   in Loop: Header=BB342_10 Depth=1
	v_ffbh_u32_e32 v60, v1
	v_min_u32_e32 v60, 32, v60
	v_subrev_nc_u32_e32 v62, 28, v60
	v_sub_nc_u32_e32 v60, 29, v60
	v_lshlrev_b64 v[62:63], v62, v[1:2]
	v_and_b32_e32 v1, 7, v62
; %bb.151:                              ;   in Loop: Header=BB342_10 Depth=1
	s_or_b32 exec_lo, exec_lo, s41
	v_lshlrev_b32_e32 v61, 16, v61
	v_lshlrev_b32_e32 v1, 20, v1
	v_lshl_add_u32 v60, v60, 23, 0x3c000000
	v_and_b32_e32 v61, 0x80000000, v61
	v_or3_b32 v60, v1, v61, v60
.LBB342_152:                            ;   in Loop: Header=BB342_10 Depth=1
	s_or_b32 exec_lo, exec_lo, s40
.LBB342_153:                            ;   in Loop: Header=BB342_10 Depth=1
	s_or_b32 exec_lo, exec_lo, s39
.LBB342_154:                            ;   in Loop: Header=BB342_10 Depth=1
	s_or_b32 exec_lo, exec_lo, s3
	global_load_ushort v1, v[7:8], off offset:520
	v_mov_b32_e32 v7, 0
	v_mov_b32_e32 v61, 0
	s_waitcnt vmcnt(0)
	v_and_b32_e32 v8, 0xffff, v1
	v_cmp_ne_u16_sdwa s2, v1, v2 src0_sel:BYTE_0 src1_sel:DWORD
	s_and_saveexec_b32 s3, s2
	s_cbranch_execz .LBB342_162
; %bb.155:                              ;   in Loop: Header=BB342_10 Depth=1
	v_cmp_ne_u16_sdwa s2, v8, v40 src0_sel:BYTE_0 src1_sel:DWORD
	v_bfrev_b32_e32 v61, 1
	s_and_saveexec_b32 s39, s2
	s_cbranch_execz .LBB342_161
; %bb.156:                              ;   in Loop: Header=BB342_10 Depth=1
	v_and_b32_e32 v62, 0x7f, v8
	v_mov_b32_e32 v61, 0x7f800001
	s_mov_b32 s40, exec_lo
	v_cmpx_ne_u32_e32 0x7f, v62
	s_cbranch_execz .LBB342_160
; %bb.157:                              ;   in Loop: Header=BB342_10 Depth=1
	v_and_b32_e32 v1, 7, v8
	v_lshrrev_b32_e32 v61, 3, v62
	s_mov_b32 s41, exec_lo
	v_cmpx_gt_u32_e32 8, v62
; %bb.158:                              ;   in Loop: Header=BB342_10 Depth=1
	v_ffbh_u32_e32 v61, v1
	v_min_u32_e32 v61, 32, v61
	v_subrev_nc_u32_e32 v62, 28, v61
	v_sub_nc_u32_e32 v61, 29, v61
	v_lshlrev_b64 v[62:63], v62, v[1:2]
	v_and_b32_e32 v1, 7, v62
; %bb.159:                              ;   in Loop: Header=BB342_10 Depth=1
	s_or_b32 exec_lo, exec_lo, s41
	v_lshlrev_b32_e32 v62, 24, v8
	v_lshlrev_b32_e32 v1, 20, v1
	v_lshl_add_u32 v61, v61, 23, 0x3c000000
	v_and_b32_e32 v62, 0x80000000, v62
	v_or3_b32 v61, v1, v62, v61
.LBB342_160:                            ;   in Loop: Header=BB342_10 Depth=1
	s_or_b32 exec_lo, exec_lo, s40
.LBB342_161:                            ;   in Loop: Header=BB342_10 Depth=1
	s_or_b32 exec_lo, exec_lo, s39
.LBB342_162:                            ;   in Loop: Header=BB342_10 Depth=1
	s_or_b32 exec_lo, exec_lo, s3
	v_cmp_ne_u16_sdwa s2, v8, v2 src0_sel:BYTE_1 src1_sel:DWORD
	s_and_saveexec_b32 s3, s2
	s_cbranch_execz .LBB342_170
; %bb.163:                              ;   in Loop: Header=BB342_10 Depth=1
	v_cmp_ne_u16_sdwa s2, v8, v40 src0_sel:BYTE_1 src1_sel:DWORD
	v_bfrev_b32_e32 v7, 1
	s_and_saveexec_b32 s39, s2
	s_cbranch_execz .LBB342_169
; %bb.164:                              ;   in Loop: Header=BB342_10 Depth=1
	v_and_b32_sdwa v1, v41, v8 dst_sel:DWORD dst_unused:UNUSED_PAD src0_sel:DWORD src1_sel:BYTE_1
	v_mov_b32_e32 v7, 0x7f800001
	s_mov_b32 s40, exec_lo
	v_and_b32_e32 v62, 0x7f, v1
	v_cmpx_ne_u32_e32 0x7f, v62
	s_cbranch_execz .LBB342_168
; %bb.165:                              ;   in Loop: Header=BB342_10 Depth=1
	v_and_b32_e32 v1, 7, v1
	v_lshrrev_b32_e32 v7, 3, v62
	s_mov_b32 s41, exec_lo
	v_cmpx_gt_u32_e32 8, v62
; %bb.166:                              ;   in Loop: Header=BB342_10 Depth=1
	v_ffbh_u32_e32 v7, v1
	v_min_u32_e32 v7, 32, v7
	v_subrev_nc_u32_e32 v62, 28, v7
	v_sub_nc_u32_e32 v7, 29, v7
	v_lshlrev_b64 v[62:63], v62, v[1:2]
	v_and_b32_e32 v1, 7, v62
; %bb.167:                              ;   in Loop: Header=BB342_10 Depth=1
	s_or_b32 exec_lo, exec_lo, s41
	v_lshlrev_b32_e32 v8, 16, v8
	v_lshlrev_b32_e32 v1, 20, v1
	v_lshl_add_u32 v7, v7, 23, 0x3c000000
	v_and_b32_e32 v8, 0x80000000, v8
	v_or3_b32 v7, v1, v8, v7
.LBB342_168:                            ;   in Loop: Header=BB342_10 Depth=1
	s_or_b32 exec_lo, exec_lo, s40
.LBB342_169:                            ;   in Loop: Header=BB342_10 Depth=1
	s_or_b32 exec_lo, exec_lo, s39
.LBB342_170:                            ;   in Loop: Header=BB342_10 Depth=1
	s_or_b32 exec_lo, exec_lo, s3
	v_mul_f32_e32 v1, s4, v61
	v_mul_f32_e32 v8, s4, v60
	;; [unrolled: 1-line block ×5, first 2 shown]
	v_bfe_u32 v60, v1, 16, 1
	v_bfe_u32 v61, v8, 16, 1
	v_or_b32_e32 v62, 0x400000, v1
	v_cmp_u_f32_e64 s2, v1, v1
	v_or_b32_e32 v63, 0x400000, v8
	v_add3_u32 v60, v60, v1, 0x7fff
	v_add3_u32 v61, v61, v8, 0x7fff
	v_bfe_u32 v65, v58, 16, 1
	v_bfe_u32 v66, v56, 16, 1
	v_mul_f32_e32 v54, s4, v54
	v_cndmask_b32_e64 v1, v60, v62, s2
	v_cmp_u_f32_e64 s2, v8, v8
	v_bfe_u32 v62, v57, 16, 1
	v_mul_f32_e32 v50, s4, v50
	v_or_b32_e32 v69, 0x400000, v54
	v_mul_f32_e32 v46, s4, v46
	v_cndmask_b32_e64 v8, v61, v63, s2
	v_add3_u32 v63, v65, v58, 0x7fff
	v_add3_u32 v62, v62, v57, 0x7fff
	v_or_b32_e32 v65, 0x400000, v57
	v_cmp_u_f32_e64 s2, v57, v57
	v_bfe_u32 v72, v50, 16, 1
	v_or_b32_e32 v74, 0x400000, v50
	v_bfe_u32 v77, v46, 16, 1
	v_mul_f32_e32 v45, s4, v45
	v_cndmask_b32_e64 v57, v62, v65, s2
	v_add3_u32 v62, v66, v56, 0x7fff
	v_bfe_u32 v66, v54, 16, 1
	v_cmp_u_f32_e64 s2, v54, v54
	v_add3_u32 v72, v72, v50, 0x7fff
	v_mul_f32_e32 v44, s4, v44
	v_add3_u32 v77, v77, v46, 0x7fff
	v_add3_u32 v66, v66, v54, 0x7fff
	v_or_b32_e32 v79, 0x400000, v46
	v_bfe_u32 v80, v45, 16, 1
	v_mul_f32_e32 v43, s4, v43
	v_bfe_u32 v81, v44, 16, 1
	v_cndmask_b32_e64 v54, v66, v69, s2
	v_cmp_u_f32_e64 s2, v50, v50
	v_mul_f32_e32 v47, s4, v47
	v_or_b32_e32 v82, 0x400000, v44
	v_add3_u32 v81, v81, v44, 0x7fff
	v_mul_f32_e32 v49, s4, v49
	v_cndmask_b32_e64 v50, v72, v74, s2
	v_cmp_u_f32_e64 s2, v46, v46
	v_mul_f32_e32 v48, s4, v48
	v_bfe_u32 v72, v47, 16, 1
	v_or_b32_e32 v83, 0x400000, v43
	v_bfe_u32 v75, v49, 16, 1
	v_cndmask_b32_e64 v46, v77, v79, s2
	v_add3_u32 v79, v80, v45, 0x7fff
	v_or_b32_e32 v80, 0x400000, v45
	v_cmp_u_f32_e64 s2, v45, v45
	v_bfe_u32 v77, v43, 16, 1
	v_bfe_u32 v76, v48, 16, 1
	v_add3_u32 v72, v72, v47, 0x7fff
	v_or_b32_e32 v78, 0x400000, v47
	v_cndmask_b32_e64 v45, v79, v80, s2
	v_cmp_u_f32_e64 s2, v44, v44
	v_add3_u32 v77, v77, v43, 0x7fff
	v_mul_f32_e32 v51, s4, v51
	v_add3_u32 v74, v75, v49, 0x7fff
	v_add3_u32 v75, v76, v48, 0x7fff
	v_cndmask_b32_e64 v44, v81, v82, s2
	v_cmp_u_f32_e64 s2, v43, v43
	v_or_b32_e32 v76, 0x400000, v48
	v_and_b32_e32 v45, 0xffff0000, v45
	v_mul_f32_e32 v53, s4, v53
	v_mul_f32_e32 v52, s4, v52
	v_cndmask_b32_e64 v43, v77, v83, s2
	v_cmp_u_f32_e64 s2, v47, v47
	v_bfe_u32 v66, v51, 16, 1
	v_and_b32_e32 v46, 0xffff0000, v46
	v_mul_f32_e32 v45, v16, v45
	v_and_b32_e32 v43, 0xffff0000, v43
	v_cndmask_b32_e64 v47, v72, v78, s2
	v_cmp_u_f32_e64 s2, v48, v48
	v_or_b32_e32 v72, 0x400000, v49
	v_bfe_u32 v70, v53, 16, 1
	v_bfe_u32 v71, v52, 16, 1
	v_add3_u32 v66, v66, v51, 0x7fff
	v_cndmask_b32_e64 v48, v75, v76, s2
	v_cmp_u_f32_e64 s2, v49, v49
	v_or_b32_e32 v73, 0x400000, v51
	v_and_b32_e32 v44, 0xffff0000, v44
	v_mul_f32_e32 v46, v17, v46
	v_fmac_f32_e32 v45, v14, v43
	v_and_b32_e32 v43, 0xffff0000, v47
	v_cndmask_b32_e64 v47, v74, v72, s2
	v_cmp_u_f32_e64 s2, v51, v51
	v_mul_f32_e32 v55, s4, v55
	v_add3_u32 v69, v70, v53, 0x7fff
	v_add3_u32 v70, v71, v52, 0x7fff
	v_or_b32_e32 v71, 0x400000, v52
	v_fmac_f32_e32 v46, v15, v44
	v_and_b32_e32 v44, 0xffff0000, v48
	v_cndmask_b32_e64 v48, v66, v73, s2
	v_cmp_u_f32_e64 s2, v52, v52
	v_bfe_u32 v67, v55, 16, 1
	v_fmac_f32_e32 v45, v18, v43
	v_fmac_f32_e32 v46, v19, v44
	v_and_b32_e32 v43, 0xffff0000, v47
	v_and_b32_e32 v44, 0xffff0000, v50
	v_cndmask_b32_e64 v47, v70, v71, s2
	v_or_b32_e32 v49, 0x400000, v53
	v_cmp_u_f32_e64 s2, v53, v53
	v_mul_f32_e32 v59, s4, v59
	v_add3_u32 v67, v67, v55, 0x7fff
	v_or_b32_e32 v68, 0x400000, v55
	v_fmac_f32_e32 v46, v21, v44
	v_and_b32_e32 v44, 0xffff0000, v47
	v_cndmask_b32_e64 v47, v69, v49, s2
	v_cmp_u_f32_e64 s2, v55, v55
	v_bfe_u32 v64, v59, 16, 1
	v_or_b32_e32 v65, 0x400000, v56
	v_fmac_f32_e32 v45, v20, v43
	v_and_b32_e32 v43, 0xffff0000, v48
	v_cndmask_b32_e64 v48, v67, v68, s2
	v_cmp_u_f32_e64 s2, v56, v56
	v_add3_u32 v60, v64, v59, 0x7fff
	v_or_b32_e32 v64, 0x400000, v58
	v_fmac_f32_e32 v45, v23, v43
	v_fmac_f32_e32 v46, v24, v44
	v_and_b32_e32 v43, 0xffff0000, v47
	v_and_b32_e32 v44, 0xffff0000, v54
	v_cndmask_b32_e64 v47, v62, v65, s2
	v_mul_f32_e32 v7, s4, v7
	v_cmp_u_f32_e64 s2, v58, v58
	v_or_b32_e32 v61, 0x400000, v59
	v_fmac_f32_e32 v45, v25, v43
	v_fmac_f32_e32 v46, v26, v44
	v_and_b32_e32 v43, 0xffff0000, v48
	v_and_b32_e32 v44, 0xffff0000, v47
	v_cndmask_b32_e64 v47, v63, v64, s2
	v_bfe_u32 v48, v7, 16, 1
	v_cmp_u_f32_e64 s2, v59, v59
	v_fmac_f32_e32 v45, v27, v43
	v_fmac_f32_e32 v46, v28, v44
	v_and_b32_e32 v43, 0xffff0000, v57
	v_and_b32_e32 v44, 0xffff0000, v47
	v_cndmask_b32_e64 v47, v60, v61, s2
	v_add3_u32 v48, v48, v7, 0x7fff
	v_or_b32_e32 v49, 0x400000, v7
	v_cmp_u_f32_e64 s2, v7, v7
	v_fmac_f32_e32 v45, v29, v43
	v_fmac_f32_e32 v46, v30, v44
	v_and_b32_e32 v43, 0xffff0000, v47
	v_and_b32_e32 v8, 0xffff0000, v8
	v_cndmask_b32_e64 v7, v48, v49, s2
	v_and_b32_e32 v1, 0xffff0000, v1
	v_fmac_f32_e32 v45, v31, v43
	v_fmac_f32_e32 v46, v32, v8
	v_and_b32_e32 v7, 0xffff0000, v7
	v_fmac_f32_e32 v45, v34, v1
	v_fmac_f32_e32 v46, v35, v7
	v_add_f32_e32 v1, v45, v46
	ds_bpermute_b32 v7, v36, v1
	s_waitcnt lgkmcnt(0)
	v_add_f32_e32 v1, v1, v7
	ds_bpermute_b32 v7, v37, v1
	s_and_saveexec_b32 s3, vcc_lo
	s_cbranch_execz .LBB342_9
; %bb.171:                              ;   in Loop: Header=BB342_10 Depth=1
	v_add_nc_u32_e32 v8, s5, v38
	s_waitcnt lgkmcnt(0)
	v_add_f32_e32 v1, v1, v7
	v_cmp_gt_i32_e64 s2, s27, v38
	v_cvt_f32_i32_e32 v8, v8
	v_mul_f32_e32 v8, s36, v8
	v_cndmask_b32_e64 v7, 0, v8, s1
	v_max_f32_e32 v8, v33, v33
	v_fmac_f32_e32 v7, s37, v1
	v_max_f32_e32 v1, v8, v7
	v_cndmask_b32_e64 v7, 0, v7, s2
	v_cndmask_b32_e64 v33, v33, v1, s2
	ds_write_b32 v39, v7
	s_branch .LBB342_9
.LBB342_172:
	s_or_b32 exec_lo, exec_lo, s16
.LBB342_173:
	s_or_b32 exec_lo, exec_lo, s38
	v_xor_b32_e32 v1, 16, v11
	v_xor_b32_e32 v4, 8, v11
	v_max_f32_e32 v5, v33, v33
	v_xor_b32_e32 v6, 4, v11
	v_and_b32_e32 v23, 31, v0
	v_cmp_lt_i32_e32 vcc_lo, v1, v13
	v_cndmask_b32_e32 v1, v11, v1, vcc_lo
	v_cmp_lt_i32_e32 vcc_lo, v4, v13
	v_lshlrev_b32_e32 v3, 2, v1
	v_cndmask_b32_e32 v4, v11, v4, vcc_lo
	v_cmp_lt_i32_e32 vcc_lo, v6, v13
	ds_bpermute_b32 v1, v3, v33
	v_lshlrev_b32_e32 v4, 2, v4
	v_cndmask_b32_e32 v6, v11, v6, vcc_lo
	v_cmp_eq_u32_e32 vcc_lo, 0, v23
	s_waitcnt lgkmcnt(0)
	v_lshlrev_b32_e32 v7, 2, v6
	v_max_f32_e32 v1, v1, v1
	v_max_f32_e32 v1, v5, v1
	ds_bpermute_b32 v5, v4, v1
	s_waitcnt lgkmcnt(0)
	v_max_f32_e32 v5, v5, v5
	v_max_f32_e32 v1, v1, v5
	v_lshlrev_b32_e32 v5, 2, v22
	ds_bpermute_b32 v6, v7, v1
	s_and_saveexec_b32 s1, vcc_lo
	s_cbranch_execz .LBB342_175
; %bb.174:
	s_waitcnt lgkmcnt(0)
	v_max_f32_e32 v6, v6, v6
	v_max_f32_e32 v1, v1, v1
	;; [unrolled: 1-line block ×3, first 2 shown]
	ds_write_b32 v5, v1 offset:160
.LBB342_175:
	s_or_b32 exec_lo, exec_lo, s1
	v_cmp_gt_u32_e64 s1, 4, v23
	v_mov_b32_e32 v1, 0xff7fffff
	s_waitcnt lgkmcnt(0)
	v_lshlrev_b32_e32 v6, 2, v23
	s_barrier
	buffer_gl0_inv
	s_and_saveexec_b32 s2, s1
; %bb.176:
	ds_read_b32 v1, v6 offset:160
; %bb.177:
	s_or_b32 exec_lo, exec_lo, s2
	v_xor_b32_e32 v8, 2, v11
	v_xor_b32_e32 v15, 1, v11
	v_lshlrev_b32_e32 v2, 2, v2
	v_lshl_add_u32 v24, v0, 2, 0xc0
	v_cmp_lt_i32_e64 s2, v8, v13
	v_cndmask_b32_e64 v8, v11, v8, s2
	v_cmp_lt_i32_e64 s2, v15, v13
	v_lshlrev_b32_e32 v8, 2, v8
	v_cndmask_b32_e64 v13, v11, v15, s2
	s_sub_i32 s2, s12, s15
	s_lshl_b32 s2, s2, 3
	s_waitcnt lgkmcnt(0)
	ds_bpermute_b32 v14, v8, v1
	v_max_f32_e32 v1, v1, v1
	v_lshlrev_b32_e32 v13, 2, v13
	s_add_i32 s2, s2, s33
	s_min_i32 s2, s2, s27
	s_sub_i32 s4, s2, s33
	v_cmp_gt_i32_e64 s2, s4, v0
	s_waitcnt lgkmcnt(0)
	v_max_f32_e32 v14, v14, v14
	v_max_f32_e32 v1, v1, v14
	ds_bpermute_b32 v14, v13, v1
	s_waitcnt lgkmcnt(0)
	v_max_f32_e32 v14, v14, v14
	v_max_f32_e32 v1, v1, v14
	ds_bpermute_b32 v1, v2, v1
	v_mov_b32_e32 v2, 0
	s_and_saveexec_b32 s5, s2
	s_cbranch_execz .LBB342_181
; %bb.178:
	v_lshl_add_u32 v14, v0, 2, 0xc0
	v_mov_b32_e32 v2, 0
	v_mov_b32_e32 v15, v0
	s_mov_b32 s15, 0
	.p2align	6
.LBB342_179:                            ; =>This Inner Loop Header: Depth=1
	ds_read_b32 v16, v14
	v_add_nc_u32_e32 v15, 0x80, v15
	v_cmp_le_i32_e64 s3, s4, v15
	s_or_b32 s15, s3, s15
	s_waitcnt lgkmcnt(0)
	v_sub_f32_e32 v16, v16, v1
	v_mul_f32_e32 v16, 0x3fb8aa3b, v16
	v_exp_f32_e32 v16, v16
	ds_write_b32 v14, v16
	v_add_f32_e32 v2, v2, v16
	v_add_nc_u32_e32 v14, 0x200, v14
	s_andn2_b32 exec_lo, exec_lo, s15
	s_cbranch_execnz .LBB342_179
; %bb.180:
	s_or_b32 exec_lo, exec_lo, s15
.LBB342_181:
	s_or_b32 exec_lo, exec_lo, s5
	ds_bpermute_b32 v3, v3, v2
	s_waitcnt lgkmcnt(0)
	v_add_f32_e32 v2, v2, v3
	ds_bpermute_b32 v3, v4, v2
	s_waitcnt lgkmcnt(0)
	v_add_f32_e32 v2, v2, v3
	;; [unrolled: 3-line block ×5, first 2 shown]
	s_and_saveexec_b32 s3, vcc_lo
; %bb.182:
	ds_write_b32 v5, v2 offset:176
; %bb.183:
	s_or_b32 exec_lo, exec_lo, s3
	s_waitcnt lgkmcnt(0)
	s_barrier
	buffer_gl0_inv
	s_and_saveexec_b32 s3, s1
; %bb.184:
	ds_read_b32 v2, v6 offset:176
; %bb.185:
	s_or_b32 exec_lo, exec_lo, s3
	s_waitcnt lgkmcnt(0)
	ds_bpermute_b32 v3, v8, v2
	v_lshlrev_b32_e32 v4, 2, v11
	s_waitcnt lgkmcnt(0)
	v_add_f32_e32 v2, v2, v3
	ds_bpermute_b32 v3, v13, v2
	s_waitcnt lgkmcnt(0)
	v_add_f32_e32 v2, v2, v3
	v_and_b32_e32 v3, 0xffffff80, v4
	ds_bpermute_b32 v2, v3, v2
	s_and_saveexec_b32 s1, s2
	s_cbranch_execz .LBB342_188
; %bb.186:
	s_waitcnt lgkmcnt(0)
	v_add_f32_e32 v4, 0x358637bd, v2
	s_mov_b32 s2, 0
	v_div_scale_f32 v3, null, v4, v4, 1.0
	v_div_scale_f32 v7, vcc_lo, 1.0, v4, 1.0
	v_rcp_f32_e32 v5, v3
	v_fma_f32 v6, -v3, v5, 1.0
	v_fmac_f32_e32 v5, v6, v5
	v_mul_f32_e32 v6, v7, v5
	v_fma_f32 v8, -v3, v6, v7
	v_fmac_f32_e32 v6, v8, v5
	v_fma_f32 v3, -v3, v6, v7
	v_div_fmas_f32 v5, v3, v5, v6
	v_mov_b32_e32 v3, v24
	v_div_fixup_f32 v4, v5, v4, 1.0
	v_mov_b32_e32 v5, v0
.LBB342_187:                            ; =>This Inner Loop Header: Depth=1
	ds_read_b32 v6, v3
	v_add_nc_u32_e32 v5, 0x80, v5
	v_cmp_le_i32_e32 vcc_lo, s4, v5
	s_or_b32 s2, vcc_lo, s2
	s_waitcnt lgkmcnt(0)
	v_mul_f32_e32 v6, v4, v6
	ds_write_b32 v3, v6
	v_add_nc_u32_e32 v3, 0x200, v3
	s_andn2_b32 exec_lo, exec_lo, s2
	s_cbranch_execnz .LBB342_187
.LBB342_188:
	s_or_b32 exec_lo, exec_lo, s1
	s_mul_i32 s1, s11, s26
	s_waitcnt lgkmcnt(0)
	s_mul_i32 s2, s1, s9
	s_mov_b32 s1, exec_lo
	s_barrier
	buffer_gl0_inv
	v_cmpx_eq_u32_e32 0, v0
	s_cbranch_execz .LBB342_190
; %bb.189:
	s_ashr_i32 s3, s2, 31
	s_mul_i32 s16, s11, s6
	s_lshl_b64 s[4:5], s[2:3], 2
	v_mov_b32_e32 v3, 0
	s_add_u32 s3, s22, s4
	s_addc_u32 s6, s23, s5
	s_ashr_i32 s17, s16, 31
	s_lshl_b64 s[16:17], s[16:17], 2
	s_add_u32 s3, s3, s16
	s_addc_u32 s6, s6, s17
	s_ashr_i32 s9, s8, 31
	s_lshl_b64 s[22:23], s[8:9], 2
	s_add_u32 s36, s3, s22
	s_addc_u32 s37, s6, s23
	s_add_u32 s3, s20, s4
	s_addc_u32 s4, s21, s5
	;; [unrolled: 2-line block ×4, first 2 shown]
	global_store_dword v3, v1, s[36:37]
	global_store_dword v3, v2, s[4:5]
.LBB342_190:
	s_or_b32 exec_lo, exec_lo, s1
	v_mov_b32_e32 v27, 0
	v_or_b32_e32 v28, 64, v23
	v_mov_b32_e32 v26, 0
	v_mov_b32_e32 v25, 0
	s_and_saveexec_b32 s3, s0
	s_cbranch_execz .LBB342_382
; %bb.191:
	s_ashr_i32 s0, s14, 31
	s_add_u32 s4, s34, s14
	s_load_dword s14, s[18:19], 0x0
	v_lshlrev_b64 v[1:2], 2, v[9:10]
	s_addc_u32 s5, s35, s0
	s_lshl_b64 s[0:1], s[30:31], 2
	s_mov_b32 s9, s13
	s_add_i32 s13, s7, -1
	s_add_u32 s0, s28, s0
	v_add3_u32 v31, s33, v12, 7
	s_addc_u32 s1, s29, s1
	v_add_co_u32 v12, s0, s0, v1
	v_lshlrev_b32_e32 v29, 3, v23
	v_mov_b32_e32 v11, 0
	v_lshlrev_b32_e32 v30, 3, v28
	v_lshl_add_u32 v32, v22, 5, 0xc0
	v_add_co_ci_u32_e64 v13, null, s1, v2, s0
	v_mov_b32_e32 v33, 0x80
	v_mov_b32_e32 v34, 0xffff
	;; [unrolled: 1-line block ×8, first 2 shown]
	s_mov_b32 s6, -1
	s_mov_b32 s7, 0xffffff
	s_mov_b32 s15, 0
	v_cmp_gt_u32_e32 vcc_lo, 0x50, v28
	s_branch .LBB342_194
.LBB342_192:                            ;   in Loop: Header=BB342_194 Depth=1
	s_or_b32 exec_lo, exec_lo, s1
	v_and_b32_e32 v44, 0xffff0000, v8
	v_lshlrev_b32_e32 v49, 16, v49
	v_lshlrev_b32_e32 v50, 16, v8
	;; [unrolled: 1-line block ×3, first 2 shown]
	v_and_b32_e32 v51, 0xffff0000, v7
	v_lshlrev_b32_e32 v10, 16, v10
	v_mul_f32_e32 v44, v44, v49
	v_lshlrev_b32_e32 v49, 16, v7
	v_lshlrev_b32_e32 v14, 16, v14
	v_mul_f32_e32 v15, v50, v15
	v_mul_f32_e32 v10, v51, v10
	v_bfe_u32 v50, v44, 16, 1
	v_or_b32_e32 v51, 0x400000, v44
	v_mul_f32_e32 v14, v49, v14
	v_bfe_u32 v49, v15, 16, 1
	v_cmp_u_f32_e64 s0, v44, v44
	v_add3_u32 v50, v50, v44, 0x7fff
	v_or_b32_e32 v52, 0x400000, v15
	v_bfe_u32 v53, v10, 16, 1
	v_add3_u32 v49, v49, v15, 0x7fff
	v_lshlrev_b32_e32 v2, 16, v2
	v_cndmask_b32_e64 v44, v50, v51, s0
	v_and_b32_e32 v50, 0xffff0000, v6
	v_cmp_u_f32_e64 s0, v15, v15
	v_or_b32_e32 v51, 0x400000, v10
	v_lshlrev_b32_e32 v1, 16, v1
	v_lshlrev_b32_e32 v4, 16, v4
	v_mul_f32_e32 v2, v50, v2
	v_cndmask_b32_e64 v15, v49, v52, s0
	v_add3_u32 v49, v53, v10, 0x7fff
	v_bfe_u32 v52, v14, 16, 1
	v_lshlrev_b32_e32 v50, 16, v6
	v_cmp_u_f32_e64 s0, v10, v10
	v_lshlrev_b32_e32 v53, 16, v5
	v_lshlrev_b32_e32 v3, 16, v3
	v_and_b32_e32 v15, 0xffff0000, v15
	v_mul_f32_e32 v1, v50, v1
	v_cndmask_b32_e64 v10, v49, v51, s0
	v_add3_u32 v49, v52, v14, 0x7fff
	v_or_b32_e32 v51, 0x400000, v14
	v_bfe_u32 v52, v2, 16, 1
	v_and_b32_e32 v50, 0xffff0000, v5
	v_cmp_u_f32_e64 s0, v14, v14
	v_mul_f32_e32 v3, v53, v3
	v_and_b32_e32 v44, 0xffff0000, v44
	v_and_b32_e32 v10, 0xffff0000, v10
	v_mul_f32_e32 v4, v50, v4
	v_cndmask_b32_e64 v14, v49, v51, s0
	v_bfe_u32 v49, v1, 16, 1
	v_add3_u32 v51, v52, v2, 0x7fff
	v_or_b32_e32 v50, 0x400000, v2
	v_cmp_u_f32_e64 s0, v2, v2
	v_or_b32_e32 v52, 0x400000, v1
	v_add3_u32 v49, v49, v1, 0x7fff
	v_bfe_u32 v54, v3, 16, 1
	v_bfe_u32 v53, v4, 16, 1
	v_cndmask_b32_e64 v2, v51, v50, s0
	v_cmp_u_f32_e64 s0, v1, v1
	v_or_b32_e32 v51, 0x400000, v3
	v_add3_u32 v50, v54, v3, 0x7fff
	v_and_b32_e32 v14, 0xffff0000, v14
	v_add_f32_e32 v15, v15, v44
	v_cndmask_b32_e64 v1, v49, v52, s0
	v_cmp_u_f32_e64 s0, v3, v3
	v_add3_u32 v49, v53, v4, 0x7fff
	v_or_b32_e32 v52, 0x400000, v4
	v_add_f32_e32 v10, v14, v10
	v_and_b32_e32 v1, 0xffff0000, v1
	v_cndmask_b32_e64 v3, v50, v51, s0
	v_cmp_u_f32_e64 s0, v4, v4
	v_and_b32_e32 v2, 0xffff0000, v2
	v_add_f32_e32 v10, v10, v15
	v_cndmask_b32_e64 v4, v49, v52, s0
	v_add_f32_e32 v1, v1, v2
	v_and_b32_e32 v2, 0xffff0000, v3
	v_and_b32_e32 v3, 0xffff0000, v4
	v_add_f32_e32 v1, v1, v10
	v_add_f32_e32 v2, v2, v3
	;; [unrolled: 1-line block ×4, first 2 shown]
.LBB342_193:                            ;   in Loop: Header=BB342_194 Depth=1
	s_or_b32 exec_lo, exec_lo, s16
	v_and_b32_e32 v1, 0xffff0000, v8
	v_lshlrev_b32_e32 v2, 16, v48
	v_lshlrev_b32_e32 v3, 16, v8
	;; [unrolled: 1-line block ×3, first 2 shown]
	v_and_b32_e32 v8, 0xffff0000, v7
	v_lshlrev_b32_e32 v10, 16, v45
	v_mul_f32_e32 v2, v1, v2
	v_lshlrev_b32_e32 v7, 16, v7
	v_mul_f32_e32 v4, v3, v4
	;; [unrolled: 2-line block ×3, first 2 shown]
	v_bfe_u32 v15, v2, 16, 1
	v_or_b32_e32 v46, 0x400000, v2
	v_bfe_u32 v45, v4, 16, 1
	v_cmp_u_f32_e64 s0, v2, v2
	v_and_b32_e32 v44, 0xffff0000, v6
	v_add3_u32 v15, v15, v2, 0x7fff
	v_mul_f32_e32 v14, v7, v14
	v_bfe_u32 v47, v10, 16, 1
	v_add3_u32 v45, v45, v4, 0x7fff
	v_lshlrev_b32_e32 v6, 16, v6
	v_cndmask_b32_e64 v2, v15, v46, s0
	v_lshlrev_b32_e32 v15, 16, v17
	v_or_b32_e32 v17, 0x400000, v4
	v_cmp_u_f32_e64 s0, v4, v4
	v_add3_u32 v46, v47, v10, 0x7fff
	v_or_b32_e32 v47, 0x400000, v10
	v_bfe_u32 v48, v14, 16, 1
	v_mul_f32_e32 v15, v44, v15
	v_cndmask_b32_e64 v4, v45, v17, s0
	v_cmp_u_f32_e64 s0, v10, v10
	v_lshlrev_b32_e32 v16, 16, v16
	v_add3_u32 v17, v48, v14, 0x7fff
	v_bfe_u32 v45, v15, 16, 1
	v_lshlrev_b32_e32 v19, 16, v19
	v_cndmask_b32_e64 v10, v46, v47, s0
	v_and_b32_e32 v46, 0xffff0000, v5
	v_or_b32_e32 v47, 0x400000, v14
	v_mul_f32_e32 v16, v6, v16
	v_cmp_u_f32_e64 s0, v14, v14
	v_add3_u32 v45, v45, v15, 0x7fff
	v_or_b32_e32 v48, 0x400000, v15
	v_mul_f32_e32 v19, v46, v19
	v_lshlrev_b32_e32 v5, 16, v5
	v_cndmask_b32_e64 v14, v17, v47, s0
	v_bfe_u32 v17, v16, 16, 1
	v_cmp_u_f32_e64 s0, v15, v15
	v_lshlrev_b32_e32 v18, 16, v18
	v_or_b32_e32 v47, 0x400000, v16
	v_and_b32_e32 v4, 0xffff0000, v4
	v_add3_u32 v17, v17, v16, 0x7fff
	v_cndmask_b32_e64 v15, v45, v48, s0
	v_bfe_u32 v45, v19, 16, 1
	v_mul_f32_e32 v18, v5, v18
	v_cmp_u_f32_e64 s0, v16, v16
	v_or_b32_e32 v48, 0x400000, v19
	v_and_b32_e32 v2, 0xffff0000, v2
	v_add3_u32 v45, v45, v19, 0x7fff
	v_and_b32_e32 v14, 0xffff0000, v14
	v_cndmask_b32_e64 v16, v17, v47, s0
	v_cmp_u_f32_e64 s0, v19, v19
	v_bfe_u32 v19, v18, 16, 1
	v_and_b32_e32 v10, 0xffff0000, v10
	v_lshlrev_b32_e32 v43, 16, v43
	v_add_f32_e32 v2, v4, v2
	v_cndmask_b32_e64 v17, v45, v48, s0
	v_add3_u32 v19, v19, v18, 0x7fff
	v_or_b32_e32 v45, 0x400000, v18
	v_add_f32_e32 v4, v14, v10
	v_and_b32_e32 v10, 0xffff0000, v16
	v_and_b32_e32 v14, 0xffff0000, v15
	v_mul_f32_e32 v1, v1, v43
	v_lshlrev_b32_e32 v15, 16, v42
	v_cmp_u_f32_e64 s0, v18, v18
	v_add_f32_e32 v2, v4, v2
	v_add_f32_e32 v10, v10, v14
	v_bfe_u32 v4, v1, 16, 1
	v_mul_f32_e32 v3, v3, v15
	v_cndmask_b32_e64 v16, v19, v45, s0
	v_lshlrev_b32_e32 v14, 16, v39
	v_cmp_u_f32_e64 s0, v1, v1
	v_add3_u32 v4, v4, v1, 0x7fff
	v_bfe_u32 v18, v3, 16, 1
	v_and_b32_e32 v15, 0xffff0000, v16
	v_or_b32_e32 v16, 0x400000, v1
	v_mul_f32_e32 v8, v8, v14
	v_lshlrev_b32_e32 v14, 16, v41
	v_lshlrev_b32_e32 v19, 16, v21
	v_add_f32_e32 v2, v10, v2
	v_cndmask_b32_e64 v1, v4, v16, s0
	v_add3_u32 v4, v18, v3, 0x7fff
	v_or_b32_e32 v16, 0x400000, v3
	v_bfe_u32 v18, v8, 16, 1
	v_mul_f32_e32 v7, v7, v14
	v_lshlrev_b32_e32 v14, 16, v20
	v_cmp_u_f32_e64 s0, v3, v3
	v_mul_f32_e32 v6, v6, v19
	v_lshlrev_b32_e32 v19, 16, v40
	v_lshlrev_b32_e32 v20, 16, v38
	v_mul_f32_e32 v14, v44, v14
	v_cndmask_b32_e64 v3, v4, v16, s0
	v_add3_u32 v4, v18, v8, 0x7fff
	v_or_b32_e32 v16, 0x400000, v8
	v_bfe_u32 v18, v7, 16, 1
	v_cmp_u_f32_e64 s0, v8, v8
	v_mul_f32_e32 v5, v5, v20
	v_or_b32_e32 v20, 0x400000, v6
	v_and_b32_e32 v3, 0xffff0000, v3
	v_add3_u32 v8, v18, v7, 0x7fff
	v_cndmask_b32_e64 v4, v4, v16, s0
	v_or_b32_e32 v16, 0x400000, v7
	v_bfe_u32 v18, v14, 16, 1
	v_cmp_u_f32_e64 s0, v7, v7
	v_bfe_u32 v38, v5, 16, 1
	v_and_b32_e32 v1, 0xffff0000, v1
	v_and_b32_e32 v4, 0xffff0000, v4
	v_add_nc_u32_e32 v9, 4, v9
	v_cndmask_b32_e64 v7, v8, v16, s0
	v_bfe_u32 v8, v6, 16, 1
	v_add3_u32 v16, v18, v14, 0x7fff
	v_mul_f32_e32 v18, v46, v19
	v_or_b32_e32 v19, 0x400000, v14
	v_cmp_u_f32_e64 s0, v14, v14
	v_add3_u32 v8, v8, v6, 0x7fff
	v_and_b32_e32 v7, 0xffff0000, v7
	v_bfe_u32 v21, v18, 16, 1
	v_add_f32_e32 v1, v3, v1
	v_cndmask_b32_e64 v14, v16, v19, s0
	v_cmp_u_f32_e64 s0, v6, v6
	v_add3_u32 v16, v38, v5, 0x7fff
	v_or_b32_e32 v19, 0x400000, v5
	v_add_f32_e32 v3, v7, v4
	v_add_co_u32 v12, s1, v12, 16
	v_cndmask_b32_e64 v6, v8, v20, s0
	v_cmp_u_f32_e64 s0, v5, v5
	v_add3_u32 v8, v21, v18, 0x7fff
	v_or_b32_e32 v20, 0x400000, v18
	v_add_f32_e32 v1, v3, v1
	v_and_b32_e32 v4, 0xffff0000, v6
	v_cndmask_b32_e64 v5, v16, v19, s0
	v_cmp_u_f32_e64 s0, v18, v18
	v_and_b32_e32 v6, 0xffff0000, v14
	v_add_nc_u32_e32 v31, 32, v31
	v_add_nc_u32_e32 v32, 0x80, v32
	v_add_co_ci_u32_e64 v13, null, 0, v13, s1
	v_cndmask_b32_e64 v7, v8, v20, s0
	v_and_b32_e32 v8, 0xffff0000, v17
	v_add_f32_e32 v3, v4, v6
	v_and_b32_e32 v4, 0xffff0000, v5
	v_cmp_le_i32_e64 s0, s12, v9
	v_and_b32_e32 v5, 0xffff0000, v7
	v_add_f32_e32 v6, v15, v8
	v_add_f32_e32 v1, v3, v1
	s_or_b32 s15, s0, s15
	v_add_f32_e32 v3, v4, v5
	v_add_f32_e32 v2, v6, v2
	;; [unrolled: 1-line block ×5, first 2 shown]
	s_andn2_b32 exec_lo, exec_lo, s15
	s_cbranch_execz .LBB342_381
.LBB342_194:                            ; =>This Inner Loop Header: Depth=1
	global_load_dword v1, v[12:13], off
	v_mov_b32_e32 v38, 0
	s_waitcnt vmcnt(0)
	v_mad_i64_i32 v[14:15], null, v1, s9, s[4:5]
	v_add_co_u32 v16, s0, v14, v29
	v_add_co_ci_u32_e64 v17, null, 0, v15, s0
	global_load_dwordx2 v[18:19], v[16:17], off
	ds_read2_b64 v[5:8], v32 offset1:1
	ds_read2_b64 v[1:4], v32 offset0:2 offset1:3
	s_waitcnt vmcnt(0)
	v_cmp_ne_u16_sdwa s0, v18, v11 src0_sel:BYTE_0 src1_sel:DWORD
	s_and_saveexec_b32 s1, s0
	s_cbranch_execz .LBB342_200
; %bb.195:                              ;   in Loop: Header=BB342_194 Depth=1
	v_cmp_ne_u16_sdwa s0, v18, v33 src0_sel:BYTE_0 src1_sel:DWORD
	v_bfrev_b32_e32 v38, 1
	s_and_saveexec_b32 s16, s0
	s_cbranch_execz .LBB342_199
; %bb.196:                              ;   in Loop: Header=BB342_194 Depth=1
	v_and_b32_e32 v10, 0x7f, v18
	v_mov_b32_e32 v38, 0x7f800001
	s_mov_b32 s17, exec_lo
	v_cmpx_ne_u32_e32 0x7f, v10
	s_cbranch_execz .LBB342_198
; %bb.197:                              ;   in Loop: Header=BB342_194 Depth=1
	v_and_b32_e32 v20, 7, v18
	v_lshrrev_b32_e32 v21, 3, v10
	v_cmp_gt_u32_e64 s0, 8, v10
	v_ffbh_u32_e32 v20, v20
	v_min_u32_e32 v20, 32, v20
	v_subrev_nc_u32_e32 v38, 28, v20
	v_sub_nc_u32_e32 v20, 29, v20
	v_cndmask_b32_e64 v10, v21, v20, s0
	v_cndmask_b32_e64 v20, 0, v38, s0
	v_lshl_add_u32 v10, v10, 23, 0x3c000000
	v_lshlrev_b64 v[20:21], v20, v[18:19]
	v_lshlrev_b32_e32 v21, 24, v18
	v_lshlrev_b32_e32 v20, 20, v20
	v_and_b32_e32 v21, 0x80000000, v21
	v_and_b32_e32 v20, 0x700000, v20
	v_or3_b32 v38, v20, v21, v10
.LBB342_198:                            ;   in Loop: Header=BB342_194 Depth=1
	s_or_b32 exec_lo, exec_lo, s17
.LBB342_199:                            ;   in Loop: Header=BB342_194 Depth=1
	s_or_b32 exec_lo, exec_lo, s16
.LBB342_200:                            ;   in Loop: Header=BB342_194 Depth=1
	s_or_b32 exec_lo, exec_lo, s1
	v_cmp_ne_u16_sdwa s0, v18, v11 src0_sel:BYTE_1 src1_sel:DWORD
	v_mov_b32_e32 v40, 0
	v_mov_b32_e32 v39, 0
	s_and_saveexec_b32 s1, s0
	s_cbranch_execz .LBB342_208
; %bb.201:                              ;   in Loop: Header=BB342_194 Depth=1
	v_cmp_ne_u16_sdwa s0, v18, v33 src0_sel:BYTE_1 src1_sel:DWORD
	v_bfrev_b32_e32 v39, 1
	s_and_saveexec_b32 s16, s0
	s_cbranch_execz .LBB342_207
; %bb.202:                              ;   in Loop: Header=BB342_194 Depth=1
	v_and_b32_sdwa v10, v34, v18 dst_sel:DWORD dst_unused:UNUSED_PAD src0_sel:DWORD src1_sel:BYTE_1
	v_mov_b32_e32 v39, 0x7f800001
	s_mov_b32 s17, exec_lo
	v_and_b32_e32 v21, 0x7f, v10
	v_cmpx_ne_u32_e32 0x7f, v21
	s_cbranch_execz .LBB342_206
; %bb.203:                              ;   in Loop: Header=BB342_194 Depth=1
	v_and_b32_e32 v10, 7, v10
	v_lshrrev_b32_e32 v20, 3, v21
	s_mov_b32 s18, exec_lo
	v_cmpx_gt_u32_e32 8, v21
; %bb.204:                              ;   in Loop: Header=BB342_194 Depth=1
	v_ffbh_u32_e32 v20, v10
	v_min_u32_e32 v20, 32, v20
	v_subrev_nc_u32_e32 v21, 28, v20
	v_sub_nc_u32_e32 v20, 29, v20
	v_lshlrev_b64 v[41:42], v21, v[10:11]
	v_and_b32_e32 v10, 7, v41
; %bb.205:                              ;   in Loop: Header=BB342_194 Depth=1
	s_or_b32 exec_lo, exec_lo, s18
	v_lshlrev_b32_e32 v21, 16, v18
	v_lshlrev_b32_e32 v10, 20, v10
	v_lshl_add_u32 v20, v20, 23, 0x3c000000
	v_and_b32_e32 v21, 0x80000000, v21
	v_or3_b32 v39, v10, v21, v20
.LBB342_206:                            ;   in Loop: Header=BB342_194 Depth=1
	s_or_b32 exec_lo, exec_lo, s17
.LBB342_207:                            ;   in Loop: Header=BB342_194 Depth=1
	s_or_b32 exec_lo, exec_lo, s16
.LBB342_208:                            ;   in Loop: Header=BB342_194 Depth=1
	s_or_b32 exec_lo, exec_lo, s1
	v_and_b32_sdwa v10, v18, v35 dst_sel:DWORD dst_unused:UNUSED_PAD src0_sel:WORD_1 src1_sel:DWORD
	s_mov_b32 s1, exec_lo
	v_cmpx_ne_u16_e32 0, v10
	s_cbranch_execz .LBB342_216
; %bb.209:                              ;   in Loop: Header=BB342_194 Depth=1
	v_bfrev_b32_e32 v40, 1
	s_mov_b32 s16, exec_lo
	v_cmpx_ne_u16_e32 0x80, v10
	s_cbranch_execz .LBB342_215
; %bb.210:                              ;   in Loop: Header=BB342_194 Depth=1
	v_bfe_u32 v21, v18, 16, 7
	v_mov_b32_e32 v40, 0x7f800001
	s_mov_b32 s17, exec_lo
	v_cmpx_ne_u32_e32 0x7f, v21
	s_cbranch_execz .LBB342_214
; %bb.211:                              ;   in Loop: Header=BB342_194 Depth=1
	v_and_b32_sdwa v10, v18, v36 dst_sel:DWORD dst_unused:UNUSED_PAD src0_sel:WORD_1 src1_sel:DWORD
	v_lshrrev_b32_e32 v20, 3, v21
	s_mov_b32 s18, exec_lo
	v_cmpx_gt_u32_e32 8, v21
; %bb.212:                              ;   in Loop: Header=BB342_194 Depth=1
	v_ffbh_u32_e32 v20, v10
	v_min_u32_e32 v20, 32, v20
	v_subrev_nc_u32_e32 v21, 28, v20
	v_sub_nc_u32_e32 v20, 29, v20
	v_lshlrev_b64 v[40:41], v21, v[10:11]
	v_and_b32_e32 v10, 7, v40
; %bb.213:                              ;   in Loop: Header=BB342_194 Depth=1
	s_or_b32 exec_lo, exec_lo, s18
	v_lshlrev_b32_sdwa v21, v37, v18 dst_sel:DWORD dst_unused:UNUSED_PAD src0_sel:DWORD src1_sel:WORD_1
	v_lshlrev_b32_e32 v10, 20, v10
	v_lshl_add_u32 v20, v20, 23, 0x3c000000
	v_and_b32_e32 v21, 0x80000000, v21
	v_or3_b32 v40, v10, v21, v20
.LBB342_214:                            ;   in Loop: Header=BB342_194 Depth=1
	s_or_b32 exec_lo, exec_lo, s17
.LBB342_215:                            ;   in Loop: Header=BB342_194 Depth=1
	s_or_b32 exec_lo, exec_lo, s16
.LBB342_216:                            ;   in Loop: Header=BB342_194 Depth=1
	s_or_b32 exec_lo, exec_lo, s1
	v_mov_b32_e32 v41, 0
	v_mov_b32_e32 v42, 0
	s_mov_b32 s1, exec_lo
	v_cmpx_lt_u32_e32 0xffffff, v18
	s_cbranch_execz .LBB342_224
; %bb.217:                              ;   in Loop: Header=BB342_194 Depth=1
	v_cmp_ne_u32_sdwa s0, v18, v33 src0_sel:BYTE_3 src1_sel:DWORD
	v_bfrev_b32_e32 v42, 1
	s_and_saveexec_b32 s16, s0
	s_cbranch_execz .LBB342_223
; %bb.218:                              ;   in Loop: Header=BB342_194 Depth=1
	v_bfe_u32 v21, v18, 24, 7
	v_mov_b32_e32 v42, 0x7f800001
	s_mov_b32 s17, exec_lo
	v_cmpx_ne_u32_e32 0x7f, v21
	s_cbranch_execz .LBB342_222
; %bb.219:                              ;   in Loop: Header=BB342_194 Depth=1
	v_and_b32_sdwa v10, v18, v36 dst_sel:DWORD dst_unused:UNUSED_PAD src0_sel:BYTE_3 src1_sel:DWORD
	v_lshrrev_b32_e32 v20, 3, v21
	s_mov_b32 s18, exec_lo
	v_cmpx_gt_u32_e32 8, v21
; %bb.220:                              ;   in Loop: Header=BB342_194 Depth=1
	v_ffbh_u32_e32 v20, v10
	v_min_u32_e32 v20, 32, v20
	v_subrev_nc_u32_e32 v21, 28, v20
	v_sub_nc_u32_e32 v20, 29, v20
	v_lshlrev_b64 v[42:43], v21, v[10:11]
	v_and_b32_e32 v10, 7, v42
; %bb.221:                              ;   in Loop: Header=BB342_194 Depth=1
	s_or_b32 exec_lo, exec_lo, s18
	v_lshlrev_b32_sdwa v21, v37, v18 dst_sel:DWORD dst_unused:UNUSED_PAD src0_sel:DWORD src1_sel:BYTE_3
	v_lshlrev_b32_e32 v10, 20, v10
	v_lshl_add_u32 v20, v20, 23, 0x3c000000
	v_and_b32_e32 v21, 0x80000000, v21
	v_or3_b32 v42, v10, v21, v20
.LBB342_222:                            ;   in Loop: Header=BB342_194 Depth=1
	s_or_b32 exec_lo, exec_lo, s17
.LBB342_223:                            ;   in Loop: Header=BB342_194 Depth=1
	s_or_b32 exec_lo, exec_lo, s16
.LBB342_224:                            ;   in Loop: Header=BB342_194 Depth=1
	s_or_b32 exec_lo, exec_lo, s1
	v_mov_b32_e32 v10, v19
	v_cmp_ne_u16_sdwa s0, v19, v11 src0_sel:BYTE_0 src1_sel:DWORD
	s_and_saveexec_b32 s1, s0
	s_cbranch_execz .LBB342_230
; %bb.225:                              ;   in Loop: Header=BB342_194 Depth=1
	v_cmp_ne_u16_sdwa s0, v19, v33 src0_sel:BYTE_0 src1_sel:DWORD
	v_bfrev_b32_e32 v41, 1
	s_and_saveexec_b32 s16, s0
	s_cbranch_execz .LBB342_229
; %bb.226:                              ;   in Loop: Header=BB342_194 Depth=1
	v_and_b32_e32 v20, 0x7f, v19
	v_mov_b32_e32 v41, 0x7f800001
	s_mov_b32 s17, exec_lo
	v_cmpx_ne_u32_e32 0x7f, v20
	s_cbranch_execz .LBB342_228
; %bb.227:                              ;   in Loop: Header=BB342_194 Depth=1
	v_and_b32_e32 v21, 7, v19
	v_cmp_gt_u32_e64 s0, 8, v20
	v_lshrrev_b32_e32 v41, 3, v20
	v_ffbh_u32_e32 v21, v21
	v_min_u32_e32 v21, 32, v21
	v_subrev_nc_u32_e32 v43, 28, v21
	v_sub_nc_u32_e32 v21, 29, v21
	v_cndmask_b32_e64 v20, 0, v43, s0
	v_cndmask_b32_e64 v41, v41, v21, s0
	v_lshlrev_b64 v[20:21], v20, v[10:11]
	v_lshlrev_b32_e32 v21, 24, v10
	v_lshl_add_u32 v41, v41, 23, 0x3c000000
	v_lshlrev_b32_e32 v20, 20, v20
	v_and_b32_e32 v21, 0x80000000, v21
	v_and_b32_e32 v20, 0x700000, v20
	v_or3_b32 v41, v20, v21, v41
.LBB342_228:                            ;   in Loop: Header=BB342_194 Depth=1
	s_or_b32 exec_lo, exec_lo, s17
.LBB342_229:                            ;   in Loop: Header=BB342_194 Depth=1
	s_or_b32 exec_lo, exec_lo, s16
.LBB342_230:                            ;   in Loop: Header=BB342_194 Depth=1
	s_or_b32 exec_lo, exec_lo, s1
	v_cmp_ne_u16_sdwa s0, v10, v11 src0_sel:BYTE_1 src1_sel:DWORD
	v_mov_b32_e32 v43, 0
	v_mov_b32_e32 v20, 0
	s_and_saveexec_b32 s1, s0
	s_cbranch_execz .LBB342_238
; %bb.231:                              ;   in Loop: Header=BB342_194 Depth=1
	v_cmp_ne_u16_sdwa s0, v10, v33 src0_sel:BYTE_1 src1_sel:DWORD
	v_bfrev_b32_e32 v20, 1
	s_and_saveexec_b32 s16, s0
	s_cbranch_execz .LBB342_237
; %bb.232:                              ;   in Loop: Header=BB342_194 Depth=1
	v_and_b32_sdwa v21, v34, v10 dst_sel:DWORD dst_unused:UNUSED_PAD src0_sel:DWORD src1_sel:BYTE_1
	v_mov_b32_e32 v20, 0x7f800001
	s_mov_b32 s17, exec_lo
	v_and_b32_e32 v45, 0x7f, v21
	v_cmpx_ne_u32_e32 0x7f, v45
	s_cbranch_execz .LBB342_236
; %bb.233:                              ;   in Loop: Header=BB342_194 Depth=1
	v_and_b32_e32 v20, 7, v21
	v_mov_b32_e32 v21, v11
	v_lshrrev_b32_e32 v44, 3, v45
	s_mov_b32 s18, exec_lo
	v_cmpx_gt_u32_e32 8, v45
; %bb.234:                              ;   in Loop: Header=BB342_194 Depth=1
	v_ffbh_u32_e32 v44, v20
	v_min_u32_e32 v44, 32, v44
	v_subrev_nc_u32_e32 v45, 28, v44
	v_sub_nc_u32_e32 v44, 29, v44
	v_lshlrev_b64 v[20:21], v45, v[20:21]
	v_and_b32_e32 v20, 7, v20
; %bb.235:                              ;   in Loop: Header=BB342_194 Depth=1
	s_or_b32 exec_lo, exec_lo, s18
	v_lshlrev_b32_e32 v10, 16, v10
	v_lshlrev_b32_e32 v20, 20, v20
	v_lshl_add_u32 v21, v44, 23, 0x3c000000
	v_and_b32_e32 v10, 0x80000000, v10
	v_or3_b32 v20, v20, v10, v21
.LBB342_236:                            ;   in Loop: Header=BB342_194 Depth=1
	s_or_b32 exec_lo, exec_lo, s17
.LBB342_237:                            ;   in Loop: Header=BB342_194 Depth=1
	s_or_b32 exec_lo, exec_lo, s16
.LBB342_238:                            ;   in Loop: Header=BB342_194 Depth=1
	s_or_b32 exec_lo, exec_lo, s1
	v_and_b32_sdwa v10, v19, v35 dst_sel:DWORD dst_unused:UNUSED_PAD src0_sel:WORD_1 src1_sel:DWORD
	s_mov_b32 s1, exec_lo
	v_cmpx_ne_u16_e32 0, v10
	s_cbranch_execz .LBB342_246
; %bb.239:                              ;   in Loop: Header=BB342_194 Depth=1
	v_bfrev_b32_e32 v43, 1
	s_mov_b32 s16, exec_lo
	v_cmpx_ne_u16_e32 0x80, v10
	s_cbranch_execz .LBB342_245
; %bb.240:                              ;   in Loop: Header=BB342_194 Depth=1
	v_bfe_u32 v44, v19, 16, 7
	v_mov_b32_e32 v43, 0x7f800001
	s_mov_b32 s17, exec_lo
	v_cmpx_ne_u32_e32 0x7f, v44
	s_cbranch_execz .LBB342_244
; %bb.241:                              ;   in Loop: Header=BB342_194 Depth=1
	v_and_b32_sdwa v10, v19, v36 dst_sel:DWORD dst_unused:UNUSED_PAD src0_sel:WORD_1 src1_sel:DWORD
	v_lshrrev_b32_e32 v21, 3, v44
	s_mov_b32 s18, exec_lo
	v_cmpx_gt_u32_e32 8, v44
; %bb.242:                              ;   in Loop: Header=BB342_194 Depth=1
	v_ffbh_u32_e32 v21, v10
	v_min_u32_e32 v21, 32, v21
	v_subrev_nc_u32_e32 v43, 28, v21
	v_sub_nc_u32_e32 v21, 29, v21
	v_lshlrev_b64 v[43:44], v43, v[10:11]
	v_and_b32_e32 v10, 7, v43
; %bb.243:                              ;   in Loop: Header=BB342_194 Depth=1
	s_or_b32 exec_lo, exec_lo, s18
	v_lshlrev_b32_sdwa v43, v37, v19 dst_sel:DWORD dst_unused:UNUSED_PAD src0_sel:DWORD src1_sel:WORD_1
	v_lshlrev_b32_e32 v10, 20, v10
	v_lshl_add_u32 v21, v21, 23, 0x3c000000
	v_and_b32_e32 v43, 0x80000000, v43
	v_or3_b32 v43, v10, v43, v21
.LBB342_244:                            ;   in Loop: Header=BB342_194 Depth=1
	s_or_b32 exec_lo, exec_lo, s17
.LBB342_245:                            ;   in Loop: Header=BB342_194 Depth=1
	s_or_b32 exec_lo, exec_lo, s16
.LBB342_246:                            ;   in Loop: Header=BB342_194 Depth=1
	s_or_b32 exec_lo, exec_lo, s1
	v_mov_b32_e32 v10, 0
	s_mov_b32 s1, exec_lo
	v_cmpx_lt_u64_e64 s[6:7], v[18:19]
	s_cbranch_execz .LBB342_254
; %bb.247:                              ;   in Loop: Header=BB342_194 Depth=1
	v_cmp_ne_u32_sdwa s0, v19, v33 src0_sel:BYTE_3 src1_sel:DWORD
	v_bfrev_b32_e32 v10, 1
	s_and_saveexec_b32 s16, s0
	s_cbranch_execz .LBB342_253
; %bb.248:                              ;   in Loop: Header=BB342_194 Depth=1
	v_bfe_u32 v21, v19, 24, 7
	v_mov_b32_e32 v10, 0x7f800001
	s_mov_b32 s17, exec_lo
	v_cmpx_ne_u32_e32 0x7f, v21
	s_cbranch_execz .LBB342_252
; %bb.249:                              ;   in Loop: Header=BB342_194 Depth=1
	v_and_b32_sdwa v10, v19, v36 dst_sel:DWORD dst_unused:UNUSED_PAD src0_sel:BYTE_3 src1_sel:DWORD
	v_lshrrev_b32_e32 v18, 3, v21
	s_mov_b32 s18, exec_lo
	v_cmpx_gt_u32_e32 8, v21
; %bb.250:                              ;   in Loop: Header=BB342_194 Depth=1
	v_ffbh_u32_e32 v18, v10
	v_min_u32_e32 v18, 32, v18
	v_subrev_nc_u32_e32 v21, 28, v18
	v_sub_nc_u32_e32 v18, 29, v18
	v_lshlrev_b64 v[44:45], v21, v[10:11]
	v_and_b32_e32 v10, 7, v44
; %bb.251:                              ;   in Loop: Header=BB342_194 Depth=1
	s_or_b32 exec_lo, exec_lo, s18
	v_lshlrev_b32_sdwa v19, v37, v19 dst_sel:DWORD dst_unused:UNUSED_PAD src0_sel:DWORD src1_sel:BYTE_3
	v_lshlrev_b32_e32 v10, 20, v10
	v_lshl_add_u32 v18, v18, 23, 0x3c000000
	v_and_b32_e32 v19, 0x80000000, v19
	v_or3_b32 v10, v10, v19, v18
.LBB342_252:                            ;   in Loop: Header=BB342_194 Depth=1
	s_or_b32 exec_lo, exec_lo, s17
.LBB342_253:                            ;   in Loop: Header=BB342_194 Depth=1
	s_or_b32 exec_lo, exec_lo, s16
.LBB342_254:                            ;   in Loop: Header=BB342_194 Depth=1
	s_or_b32 exec_lo, exec_lo, s1
	s_waitcnt lgkmcnt(0)
	v_mul_f32_e32 v18, s14, v20
	v_mul_f32_e32 v19, s14, v41
	;; [unrolled: 1-line block ×5, first 2 shown]
	v_bfe_u32 v20, v18, 16, 1
	v_or_b32_e32 v41, 0x400000, v18
	v_bfe_u32 v42, v19, 16, 1
	v_cmp_u_f32_e64 s1, v18, v18
	v_or_b32_e32 v45, 0x400000, v19
	v_add3_u32 v20, v20, v18, 0x7fff
	v_bfe_u32 v46, v21, 16, 1
	v_add3_u32 v42, v42, v19, 0x7fff
	v_or_b32_e32 v47, 0x400000, v21
	v_mul_f32_e32 v10, s14, v10
	v_cndmask_b32_e64 v18, v20, v41, s1
	v_cmp_u_f32_e64 s1, v19, v19
	v_add3_u32 v46, v46, v21, 0x7fff
	v_bfe_u32 v41, v40, 16, 1
	v_add_nc_u32_e32 v44, -7, v31
	v_lshrrev_b32_e32 v20, 16, v18
	v_cndmask_b32_e64 v19, v42, v45, s1
	v_cmp_u_f32_e64 s1, v21, v21
	v_mul_f32_e32 v42, s14, v39
	v_add3_u32 v41, v41, v40, 0x7fff
	v_or_b32_e32 v45, 0x400000, v40
	v_lshrrev_b32_e32 v21, 16, v19
	v_cndmask_b32_e64 v18, v46, v47, s1
	v_cmp_u_f32_e64 s1, v40, v40
	v_mul_f32_e32 v40, s14, v43
	v_bfe_u32 v43, v38, 16, 1
	v_or_b32_e32 v47, 0x400000, v10
	v_lshrrev_b32_e32 v39, 16, v18
	v_bfe_u32 v18, v42, 16, 1
	v_cndmask_b32_e64 v19, v41, v45, s1
	v_or_b32_e32 v41, 0x400000, v42
	v_cmp_u_f32_e64 s1, v42, v42
	v_bfe_u32 v45, v40, 16, 1
	v_add3_u32 v18, v18, v42, 0x7fff
	v_add3_u32 v42, v43, v38, 0x7fff
	v_or_b32_e32 v43, 0x400000, v38
	v_or_b32_e32 v46, 0x400000, v40
	v_add3_u32 v45, v45, v40, 0x7fff
	v_cndmask_b32_e64 v18, v18, v41, s1
	v_cmp_u_f32_e64 s1, v38, v38
	v_bfe_u32 v41, v10, 16, 1
	v_cmp_eq_u32_e64 s0, s13, v9
	v_cndmask_b32_e64 v38, v42, v43, s1
	v_cmp_u_f32_e64 s1, v40, v40
	v_add3_u32 v41, v41, v10, 0x7fff
	v_lshrrev_b32_e32 v43, 16, v18
	v_lshrrev_b32_e32 v42, 16, v38
	v_cndmask_b32_e64 v40, v45, v46, s1
	v_cmp_u_f32_e64 s1, v10, v10
	v_lshrrev_b32_e32 v38, 16, v40
	v_cndmask_b32_e64 v10, v41, v47, s1
	v_lshrrev_b32_e32 v41, 16, v19
	v_lshrrev_b32_e32 v40, 16, v10
	s_and_saveexec_b32 s16, s0
	s_cbranch_execz .LBB342_256
; %bb.255:                              ;   in Loop: Header=BB342_194 Depth=1
	v_add_nc_u32_e32 v10, -6, v31
	v_cmp_gt_i32_e64 s1, s27, v44
	v_add_nc_u32_e32 v18, -5, v31
	v_add_nc_u32_e32 v19, -2, v31
	v_cndmask_b32_e64 v42, 0, v42, s1
	v_cmp_gt_i32_e64 s1, s27, v10
	v_add_nc_u32_e32 v10, -4, v31
	v_cndmask_b32_e64 v43, 0, v43, s1
	v_cmp_gt_i32_e64 s1, s27, v18
	;; [unrolled: 3-line block ×4, first 2 shown]
	v_cndmask_b32_e64 v21, 0, v21, s1
	v_cmp_gt_i32_e64 s1, s27, v19
	v_cndmask_b32_e64 v20, 0, v20, s1
	v_cmp_gt_i32_e64 s1, s27, v10
	;; [unrolled: 2-line block ×3, first 2 shown]
	v_cndmask_b32_e64 v40, 0, v40, s1
.LBB342_256:                            ;   in Loop: Header=BB342_194 Depth=1
	s_or_b32 exec_lo, exec_lo, s16
	global_load_dwordx2 v[16:17], v[16:17], off offset:256
	v_mov_b32_e32 v45, 0
	v_mov_b32_e32 v46, 0
	s_waitcnt vmcnt(0)
	v_cmp_ne_u16_sdwa s1, v16, v11 src0_sel:BYTE_0 src1_sel:DWORD
	s_and_saveexec_b32 s16, s1
	s_cbranch_execz .LBB342_262
; %bb.257:                              ;   in Loop: Header=BB342_194 Depth=1
	v_cmp_ne_u16_sdwa s1, v16, v33 src0_sel:BYTE_0 src1_sel:DWORD
	v_bfrev_b32_e32 v46, 1
	s_and_saveexec_b32 s17, s1
	s_cbranch_execz .LBB342_261
; %bb.258:                              ;   in Loop: Header=BB342_194 Depth=1
	v_and_b32_e32 v10, 0x7f, v16
	v_mov_b32_e32 v46, 0x7f800001
	s_mov_b32 s18, exec_lo
	v_cmpx_ne_u32_e32 0x7f, v10
	s_cbranch_execz .LBB342_260
; %bb.259:                              ;   in Loop: Header=BB342_194 Depth=1
	v_and_b32_e32 v18, 7, v16
	v_lshrrev_b32_e32 v19, 3, v10
	v_cmp_gt_u32_e64 s1, 8, v10
	v_ffbh_u32_e32 v18, v18
	v_min_u32_e32 v18, 32, v18
	v_subrev_nc_u32_e32 v46, 28, v18
	v_sub_nc_u32_e32 v18, 29, v18
	v_cndmask_b32_e64 v10, v19, v18, s1
	v_cndmask_b32_e64 v18, 0, v46, s1
	v_lshl_add_u32 v10, v10, 23, 0x3c000000
	v_lshlrev_b64 v[18:19], v18, v[16:17]
	v_lshlrev_b32_e32 v19, 24, v16
	v_lshlrev_b32_e32 v18, 20, v18
	v_and_b32_e32 v19, 0x80000000, v19
	v_and_b32_e32 v18, 0x700000, v18
	v_or3_b32 v46, v18, v19, v10
.LBB342_260:                            ;   in Loop: Header=BB342_194 Depth=1
	s_or_b32 exec_lo, exec_lo, s18
.LBB342_261:                            ;   in Loop: Header=BB342_194 Depth=1
	s_or_b32 exec_lo, exec_lo, s17
.LBB342_262:                            ;   in Loop: Header=BB342_194 Depth=1
	s_or_b32 exec_lo, exec_lo, s16
	v_cmp_ne_u16_sdwa s1, v16, v11 src0_sel:BYTE_1 src1_sel:DWORD
	s_and_saveexec_b32 s16, s1
	s_cbranch_execz .LBB342_270
; %bb.263:                              ;   in Loop: Header=BB342_194 Depth=1
	v_cmp_ne_u16_sdwa s1, v16, v33 src0_sel:BYTE_1 src1_sel:DWORD
	v_bfrev_b32_e32 v45, 1
	s_and_saveexec_b32 s17, s1
	s_cbranch_execz .LBB342_269
; %bb.264:                              ;   in Loop: Header=BB342_194 Depth=1
	v_and_b32_sdwa v10, v34, v16 dst_sel:DWORD dst_unused:UNUSED_PAD src0_sel:DWORD src1_sel:BYTE_1
	v_mov_b32_e32 v45, 0x7f800001
	s_mov_b32 s18, exec_lo
	v_and_b32_e32 v19, 0x7f, v10
	v_cmpx_ne_u32_e32 0x7f, v19
	s_cbranch_execz .LBB342_268
; %bb.265:                              ;   in Loop: Header=BB342_194 Depth=1
	v_and_b32_e32 v10, 7, v10
	v_lshrrev_b32_e32 v18, 3, v19
	s_mov_b32 s19, exec_lo
	v_cmpx_gt_u32_e32 8, v19
; %bb.266:                              ;   in Loop: Header=BB342_194 Depth=1
	v_ffbh_u32_e32 v18, v10
	v_min_u32_e32 v18, 32, v18
	v_subrev_nc_u32_e32 v19, 28, v18
	v_sub_nc_u32_e32 v18, 29, v18
	v_lshlrev_b64 v[47:48], v19, v[10:11]
	v_and_b32_e32 v10, 7, v47
; %bb.267:                              ;   in Loop: Header=BB342_194 Depth=1
	s_or_b32 exec_lo, exec_lo, s19
	v_lshlrev_b32_e32 v19, 16, v16
	v_lshlrev_b32_e32 v10, 20, v10
	v_lshl_add_u32 v18, v18, 23, 0x3c000000
	v_and_b32_e32 v19, 0x80000000, v19
	v_or3_b32 v45, v10, v19, v18
.LBB342_268:                            ;   in Loop: Header=BB342_194 Depth=1
	s_or_b32 exec_lo, exec_lo, s18
.LBB342_269:                            ;   in Loop: Header=BB342_194 Depth=1
	s_or_b32 exec_lo, exec_lo, s17
.LBB342_270:                            ;   in Loop: Header=BB342_194 Depth=1
	s_or_b32 exec_lo, exec_lo, s16
	v_and_b32_sdwa v10, v16, v35 dst_sel:DWORD dst_unused:UNUSED_PAD src0_sel:WORD_1 src1_sel:DWORD
	v_mov_b32_e32 v48, 0
	v_mov_b32_e32 v47, 0
	s_mov_b32 s16, exec_lo
	v_cmpx_ne_u16_e32 0, v10
	s_cbranch_execz .LBB342_278
; %bb.271:                              ;   in Loop: Header=BB342_194 Depth=1
	v_bfrev_b32_e32 v47, 1
	s_mov_b32 s17, exec_lo
	v_cmpx_ne_u16_e32 0x80, v10
	s_cbranch_execz .LBB342_277
; %bb.272:                              ;   in Loop: Header=BB342_194 Depth=1
	v_bfe_u32 v19, v16, 16, 7
	v_mov_b32_e32 v47, 0x7f800001
	s_mov_b32 s18, exec_lo
	v_cmpx_ne_u32_e32 0x7f, v19
	s_cbranch_execz .LBB342_276
; %bb.273:                              ;   in Loop: Header=BB342_194 Depth=1
	v_and_b32_sdwa v10, v16, v36 dst_sel:DWORD dst_unused:UNUSED_PAD src0_sel:WORD_1 src1_sel:DWORD
	v_lshrrev_b32_e32 v18, 3, v19
	s_mov_b32 s19, exec_lo
	v_cmpx_gt_u32_e32 8, v19
; %bb.274:                              ;   in Loop: Header=BB342_194 Depth=1
	v_ffbh_u32_e32 v18, v10
	v_min_u32_e32 v18, 32, v18
	v_subrev_nc_u32_e32 v19, 28, v18
	v_sub_nc_u32_e32 v18, 29, v18
	v_lshlrev_b64 v[49:50], v19, v[10:11]
	v_and_b32_e32 v10, 7, v49
; %bb.275:                              ;   in Loop: Header=BB342_194 Depth=1
	s_or_b32 exec_lo, exec_lo, s19
	v_lshlrev_b32_sdwa v19, v37, v16 dst_sel:DWORD dst_unused:UNUSED_PAD src0_sel:DWORD src1_sel:WORD_1
	v_lshlrev_b32_e32 v10, 20, v10
	v_lshl_add_u32 v18, v18, 23, 0x3c000000
	v_and_b32_e32 v19, 0x80000000, v19
	v_or3_b32 v47, v10, v19, v18
.LBB342_276:                            ;   in Loop: Header=BB342_194 Depth=1
	s_or_b32 exec_lo, exec_lo, s18
.LBB342_277:                            ;   in Loop: Header=BB342_194 Depth=1
	s_or_b32 exec_lo, exec_lo, s17
.LBB342_278:                            ;   in Loop: Header=BB342_194 Depth=1
	s_or_b32 exec_lo, exec_lo, s16
	s_mov_b32 s16, exec_lo
	v_cmpx_lt_u32_e32 0xffffff, v16
	s_cbranch_execz .LBB342_286
; %bb.279:                              ;   in Loop: Header=BB342_194 Depth=1
	v_cmp_ne_u32_sdwa s1, v16, v33 src0_sel:BYTE_3 src1_sel:DWORD
	v_bfrev_b32_e32 v48, 1
	s_and_saveexec_b32 s17, s1
	s_cbranch_execz .LBB342_285
; %bb.280:                              ;   in Loop: Header=BB342_194 Depth=1
	v_bfe_u32 v19, v16, 24, 7
	v_mov_b32_e32 v48, 0x7f800001
	s_mov_b32 s18, exec_lo
	v_cmpx_ne_u32_e32 0x7f, v19
	s_cbranch_execz .LBB342_284
; %bb.281:                              ;   in Loop: Header=BB342_194 Depth=1
	v_and_b32_sdwa v10, v16, v36 dst_sel:DWORD dst_unused:UNUSED_PAD src0_sel:BYTE_3 src1_sel:DWORD
	v_lshrrev_b32_e32 v18, 3, v19
	s_mov_b32 s19, exec_lo
	v_cmpx_gt_u32_e32 8, v19
; %bb.282:                              ;   in Loop: Header=BB342_194 Depth=1
	v_ffbh_u32_e32 v18, v10
	v_min_u32_e32 v18, 32, v18
	v_subrev_nc_u32_e32 v19, 28, v18
	v_sub_nc_u32_e32 v18, 29, v18
	v_lshlrev_b64 v[48:49], v19, v[10:11]
	v_and_b32_e32 v10, 7, v48
; %bb.283:                              ;   in Loop: Header=BB342_194 Depth=1
	s_or_b32 exec_lo, exec_lo, s19
	v_lshlrev_b32_sdwa v19, v37, v16 dst_sel:DWORD dst_unused:UNUSED_PAD src0_sel:DWORD src1_sel:BYTE_3
	v_lshlrev_b32_e32 v10, 20, v10
	v_lshl_add_u32 v18, v18, 23, 0x3c000000
	v_and_b32_e32 v19, 0x80000000, v19
	v_or3_b32 v48, v10, v19, v18
.LBB342_284:                            ;   in Loop: Header=BB342_194 Depth=1
	s_or_b32 exec_lo, exec_lo, s18
.LBB342_285:                            ;   in Loop: Header=BB342_194 Depth=1
	s_or_b32 exec_lo, exec_lo, s17
.LBB342_286:                            ;   in Loop: Header=BB342_194 Depth=1
	s_or_b32 exec_lo, exec_lo, s16
	v_mov_b32_e32 v10, v17
	v_cmp_ne_u16_sdwa s1, v17, v11 src0_sel:BYTE_0 src1_sel:DWORD
	v_mov_b32_e32 v18, 0
	v_mov_b32_e32 v49, 0
	s_and_saveexec_b32 s16, s1
	s_cbranch_execz .LBB342_292
; %bb.287:                              ;   in Loop: Header=BB342_194 Depth=1
	v_cmp_ne_u16_sdwa s1, v17, v33 src0_sel:BYTE_0 src1_sel:DWORD
	v_bfrev_b32_e32 v49, 1
	s_and_saveexec_b32 s17, s1
	s_cbranch_execz .LBB342_291
; %bb.288:                              ;   in Loop: Header=BB342_194 Depth=1
	v_and_b32_e32 v19, 0x7f, v17
	v_mov_b32_e32 v49, 0x7f800001
	s_mov_b32 s18, exec_lo
	v_cmpx_ne_u32_e32 0x7f, v19
	s_cbranch_execz .LBB342_290
; %bb.289:                              ;   in Loop: Header=BB342_194 Depth=1
	v_and_b32_e32 v49, 7, v17
	v_lshrrev_b32_e32 v50, 3, v19
	v_cmp_gt_u32_e64 s1, 8, v19
	v_ffbh_u32_e32 v49, v49
	v_min_u32_e32 v49, 32, v49
	v_subrev_nc_u32_e32 v51, 28, v49
	v_sub_nc_u32_e32 v49, 29, v49
	v_cndmask_b32_e64 v19, v50, v49, s1
	v_cndmask_b32_e64 v49, 0, v51, s1
	v_lshl_add_u32 v19, v19, 23, 0x3c000000
	v_lshlrev_b64 v[49:50], v49, v[10:11]
	v_lshlrev_b32_e32 v50, 24, v10
	v_lshlrev_b32_e32 v49, 20, v49
	v_and_b32_e32 v50, 0x80000000, v50
	v_and_b32_e32 v49, 0x700000, v49
	v_or3_b32 v49, v49, v50, v19
.LBB342_290:                            ;   in Loop: Header=BB342_194 Depth=1
	s_or_b32 exec_lo, exec_lo, s18
.LBB342_291:                            ;   in Loop: Header=BB342_194 Depth=1
	s_or_b32 exec_lo, exec_lo, s17
.LBB342_292:                            ;   in Loop: Header=BB342_194 Depth=1
	s_or_b32 exec_lo, exec_lo, s16
	v_cmp_ne_u16_sdwa s1, v10, v11 src0_sel:BYTE_1 src1_sel:DWORD
	s_and_saveexec_b32 s16, s1
	s_cbranch_execz .LBB342_300
; %bb.293:                              ;   in Loop: Header=BB342_194 Depth=1
	v_cmp_ne_u16_sdwa s1, v10, v33 src0_sel:BYTE_1 src1_sel:DWORD
	v_bfrev_b32_e32 v18, 1
	s_and_saveexec_b32 s17, s1
	s_cbranch_execz .LBB342_299
; %bb.294:                              ;   in Loop: Header=BB342_194 Depth=1
	v_and_b32_sdwa v19, v34, v10 dst_sel:DWORD dst_unused:UNUSED_PAD src0_sel:DWORD src1_sel:BYTE_1
	v_mov_b32_e32 v18, 0x7f800001
	s_mov_b32 s18, exec_lo
	v_and_b32_e32 v51, 0x7f, v19
	v_cmpx_ne_u32_e32 0x7f, v51
	s_cbranch_execz .LBB342_298
; %bb.295:                              ;   in Loop: Header=BB342_194 Depth=1
	v_and_b32_e32 v18, 7, v19
	v_mov_b32_e32 v19, v11
	v_lshrrev_b32_e32 v50, 3, v51
	s_mov_b32 s19, exec_lo
	v_cmpx_gt_u32_e32 8, v51
; %bb.296:                              ;   in Loop: Header=BB342_194 Depth=1
	v_ffbh_u32_e32 v50, v18
	v_min_u32_e32 v50, 32, v50
	v_subrev_nc_u32_e32 v51, 28, v50
	v_sub_nc_u32_e32 v50, 29, v50
	v_lshlrev_b64 v[18:19], v51, v[18:19]
	v_and_b32_e32 v18, 7, v18
; %bb.297:                              ;   in Loop: Header=BB342_194 Depth=1
	s_or_b32 exec_lo, exec_lo, s19
	v_lshlrev_b32_e32 v10, 16, v10
	v_lshlrev_b32_e32 v18, 20, v18
	v_lshl_add_u32 v19, v50, 23, 0x3c000000
	v_and_b32_e32 v10, 0x80000000, v10
	v_or3_b32 v18, v18, v10, v19
.LBB342_298:                            ;   in Loop: Header=BB342_194 Depth=1
	s_or_b32 exec_lo, exec_lo, s18
.LBB342_299:                            ;   in Loop: Header=BB342_194 Depth=1
	s_or_b32 exec_lo, exec_lo, s17
.LBB342_300:                            ;   in Loop: Header=BB342_194 Depth=1
	s_or_b32 exec_lo, exec_lo, s16
	v_and_b32_sdwa v10, v17, v35 dst_sel:DWORD dst_unused:UNUSED_PAD src0_sel:WORD_1 src1_sel:DWORD
	v_mov_b32_e32 v19, 0
	v_mov_b32_e32 v50, 0
	s_mov_b32 s16, exec_lo
	v_cmpx_ne_u16_e32 0, v10
	s_cbranch_execz .LBB342_308
; %bb.301:                              ;   in Loop: Header=BB342_194 Depth=1
	v_bfrev_b32_e32 v50, 1
	s_mov_b32 s17, exec_lo
	v_cmpx_ne_u16_e32 0x80, v10
	s_cbranch_execz .LBB342_307
; %bb.302:                              ;   in Loop: Header=BB342_194 Depth=1
	v_bfe_u32 v51, v17, 16, 7
	v_mov_b32_e32 v50, 0x7f800001
	s_mov_b32 s18, exec_lo
	v_cmpx_ne_u32_e32 0x7f, v51
	s_cbranch_execz .LBB342_306
; %bb.303:                              ;   in Loop: Header=BB342_194 Depth=1
	v_and_b32_sdwa v10, v17, v36 dst_sel:DWORD dst_unused:UNUSED_PAD src0_sel:WORD_1 src1_sel:DWORD
	v_lshrrev_b32_e32 v50, 3, v51
	s_mov_b32 s19, exec_lo
	v_cmpx_gt_u32_e32 8, v51
; %bb.304:                              ;   in Loop: Header=BB342_194 Depth=1
	v_ffbh_u32_e32 v50, v10
	v_min_u32_e32 v50, 32, v50
	v_subrev_nc_u32_e32 v51, 28, v50
	v_sub_nc_u32_e32 v50, 29, v50
	v_lshlrev_b64 v[51:52], v51, v[10:11]
	v_and_b32_e32 v10, 7, v51
; %bb.305:                              ;   in Loop: Header=BB342_194 Depth=1
	s_or_b32 exec_lo, exec_lo, s19
	v_lshlrev_b32_sdwa v51, v37, v17 dst_sel:DWORD dst_unused:UNUSED_PAD src0_sel:DWORD src1_sel:WORD_1
	v_lshlrev_b32_e32 v10, 20, v10
	v_lshl_add_u32 v50, v50, 23, 0x3c000000
	v_and_b32_e32 v51, 0x80000000, v51
	v_or3_b32 v50, v10, v51, v50
.LBB342_306:                            ;   in Loop: Header=BB342_194 Depth=1
	s_or_b32 exec_lo, exec_lo, s18
.LBB342_307:                            ;   in Loop: Header=BB342_194 Depth=1
	s_or_b32 exec_lo, exec_lo, s17
.LBB342_308:                            ;   in Loop: Header=BB342_194 Depth=1
	s_or_b32 exec_lo, exec_lo, s16
	s_mov_b32 s16, exec_lo
	v_cmpx_lt_u64_e64 s[6:7], v[16:17]
	s_cbranch_execz .LBB342_316
; %bb.309:                              ;   in Loop: Header=BB342_194 Depth=1
	v_cmp_ne_u32_sdwa s1, v17, v33 src0_sel:BYTE_3 src1_sel:DWORD
	v_bfrev_b32_e32 v19, 1
	s_and_saveexec_b32 s17, s1
	s_cbranch_execz .LBB342_315
; %bb.310:                              ;   in Loop: Header=BB342_194 Depth=1
	v_bfe_u32 v51, v17, 24, 7
	v_mov_b32_e32 v19, 0x7f800001
	s_mov_b32 s18, exec_lo
	v_cmpx_ne_u32_e32 0x7f, v51
	s_cbranch_execz .LBB342_314
; %bb.311:                              ;   in Loop: Header=BB342_194 Depth=1
	v_and_b32_sdwa v10, v17, v36 dst_sel:DWORD dst_unused:UNUSED_PAD src0_sel:BYTE_3 src1_sel:DWORD
	v_lshrrev_b32_e32 v16, 3, v51
	s_mov_b32 s19, exec_lo
	v_cmpx_gt_u32_e32 8, v51
; %bb.312:                              ;   in Loop: Header=BB342_194 Depth=1
	v_ffbh_u32_e32 v16, v10
	v_min_u32_e32 v16, 32, v16
	v_subrev_nc_u32_e32 v19, 28, v16
	v_sub_nc_u32_e32 v16, 29, v16
	v_lshlrev_b64 v[51:52], v19, v[10:11]
	v_and_b32_e32 v10, 7, v51
; %bb.313:                              ;   in Loop: Header=BB342_194 Depth=1
	s_or_b32 exec_lo, exec_lo, s19
	v_lshlrev_b32_sdwa v17, v37, v17 dst_sel:DWORD dst_unused:UNUSED_PAD src0_sel:DWORD src1_sel:BYTE_3
	v_lshlrev_b32_e32 v10, 20, v10
	v_lshl_add_u32 v16, v16, 23, 0x3c000000
	v_and_b32_e32 v17, 0x80000000, v17
	v_or3_b32 v19, v10, v17, v16
.LBB342_314:                            ;   in Loop: Header=BB342_194 Depth=1
	s_or_b32 exec_lo, exec_lo, s18
.LBB342_315:                            ;   in Loop: Header=BB342_194 Depth=1
	s_or_b32 exec_lo, exec_lo, s17
.LBB342_316:                            ;   in Loop: Header=BB342_194 Depth=1
	s_or_b32 exec_lo, exec_lo, s16
	v_mul_f32_e32 v10, s14, v18
	v_mul_f32_e32 v16, s14, v49
	;; [unrolled: 1-line block ×5, first 2 shown]
	v_bfe_u32 v47, v10, 16, 1
	v_or_b32_e32 v48, 0x400000, v10
	v_bfe_u32 v49, v16, 16, 1
	v_cmp_u_f32_e64 s1, v10, v10
	v_or_b32_e32 v51, 0x400000, v16
	v_add3_u32 v47, v47, v10, 0x7fff
	v_bfe_u32 v52, v17, 16, 1
	v_add3_u32 v49, v49, v16, 0x7fff
	v_or_b32_e32 v53, 0x400000, v17
	v_bfe_u32 v54, v18, 16, 1
	v_cndmask_b32_e64 v10, v47, v48, s1
	v_cmp_u_f32_e64 s1, v16, v16
	v_add3_u32 v52, v52, v17, 0x7fff
	v_mul_f32_e32 v19, s14, v19
	v_add3_u32 v48, v54, v18, 0x7fff
	v_cndmask_b32_e64 v16, v49, v51, s1
	v_cmp_u_f32_e64 s1, v17, v17
	v_lshrrev_b32_e32 v17, 16, v10
	v_mul_f32_e32 v10, s14, v45
	v_or_b32_e32 v49, 0x400000, v18
	v_lshrrev_b32_e32 v16, 16, v16
	v_cndmask_b32_e64 v47, v52, v53, s1
	v_cmp_u_f32_e64 s1, v18, v18
	v_or_b32_e32 v53, 0x400000, v19
	v_lshrrev_b32_e32 v45, 16, v47
	v_bfe_u32 v47, v10, 16, 1
	v_cndmask_b32_e64 v18, v48, v49, s1
	v_mul_f32_e32 v48, s14, v50
	v_or_b32_e32 v49, 0x400000, v10
	v_bfe_u32 v50, v46, 16, 1
	v_add3_u32 v47, v47, v10, 0x7fff
	v_cmp_u_f32_e64 s1, v10, v10
	v_bfe_u32 v51, v48, 16, 1
	v_or_b32_e32 v52, 0x400000, v48
	v_cndmask_b32_e64 v10, v47, v49, s1
	v_add3_u32 v49, v50, v46, 0x7fff
	v_or_b32_e32 v50, 0x400000, v46
	v_cmp_u_f32_e64 s1, v46, v46
	v_bfe_u32 v47, v19, 16, 1
	v_add3_u32 v51, v51, v48, 0x7fff
	v_lshrrev_b32_e32 v46, 16, v18
	v_cndmask_b32_e64 v49, v49, v50, s1
	v_cmp_u_f32_e64 s1, v48, v48
	v_add3_u32 v47, v47, v19, 0x7fff
	v_lshrrev_b32_e32 v48, 16, v10
	v_cndmask_b32_e64 v50, v51, v52, s1
	v_cmp_u_f32_e64 s1, v19, v19
	v_lshrrev_b32_e32 v18, 16, v50
	v_cndmask_b32_e64 v19, v47, v53, s1
	v_lshrrev_b32_e32 v47, 16, v49
	v_lshrrev_b32_e32 v19, 16, v19
	s_and_saveexec_b32 s16, s0
	s_cbranch_execz .LBB342_318
; %bb.317:                              ;   in Loop: Header=BB342_194 Depth=1
	v_add_nc_u32_e32 v10, -6, v31
	v_cmp_gt_i32_e64 s1, s27, v44
	v_add_nc_u32_e32 v49, -5, v31
	v_add_nc_u32_e32 v50, -2, v31
	v_cndmask_b32_e64 v47, 0, v47, s1
	v_cmp_gt_i32_e64 s1, s27, v10
	v_add_nc_u32_e32 v10, -4, v31
	v_cndmask_b32_e64 v48, 0, v48, s1
	v_cmp_gt_i32_e64 s1, s27, v49
	;; [unrolled: 3-line block ×4, first 2 shown]
	v_cndmask_b32_e64 v16, 0, v16, s1
	v_cmp_gt_i32_e64 s1, s27, v50
	v_cndmask_b32_e64 v17, 0, v17, s1
	v_cmp_gt_i32_e64 s1, s27, v10
	;; [unrolled: 2-line block ×3, first 2 shown]
	v_cndmask_b32_e64 v19, 0, v19, s1
.LBB342_318:                            ;   in Loop: Header=BB342_194 Depth=1
	s_or_b32 exec_lo, exec_lo, s16
	v_bfe_u32 v10, v5, 16, 1
	v_bfe_u32 v49, v6, 16, 1
	v_or_b32_e32 v50, 0x400000, v5
	v_cmp_u_f32_e64 s1, v5, v5
	v_or_b32_e32 v51, 0x400000, v6
	v_add3_u32 v10, v10, v5, 0x7fff
	v_bfe_u32 v52, v7, 16, 1
	v_add3_u32 v49, v49, v6, 0x7fff
	v_bfe_u32 v53, v8, 16, 1
	v_cndmask_b32_e64 v5, v10, v50, s1
	v_cmp_u_f32_e64 s1, v6, v6
	v_add3_u32 v10, v52, v7, 0x7fff
	v_bfe_u32 v50, v1, 16, 1
	v_or_b32_e32 v52, 0x400000, v8
	v_cndmask_b32_e64 v6, v49, v51, s1
	v_or_b32_e32 v49, 0x400000, v7
	v_cmp_u_f32_e64 s1, v7, v7
	v_add3_u32 v51, v53, v8, 0x7fff
	v_or_b32_e32 v53, 0x400000, v4
	v_cndmask_b32_e64 v7, v10, v49, s1
	v_cmp_u_f32_e64 s1, v8, v8
	v_add3_u32 v10, v50, v1, 0x7fff
	v_or_b32_e32 v49, 0x400000, v1
	v_bfe_u32 v8, v2, 16, 1
	v_cndmask_b32_e64 v50, v51, v52, s1
	v_cmp_u_f32_e64 s1, v1, v1
	v_bfe_u32 v51, v3, 16, 1
	v_add3_u32 v8, v8, v2, 0x7fff
	v_or_b32_e32 v52, 0x400000, v3
	v_perm_b32 v7, v50, v7, 0x7060302
	v_cndmask_b32_e64 v1, v10, v49, s1
	v_or_b32_e32 v49, 0x400000, v2
	v_cmp_u_f32_e64 s1, v2, v2
	v_bfe_u32 v10, v4, 16, 1
	v_add3_u32 v51, v51, v3, 0x7fff
	v_cndmask_b32_e64 v2, v8, v49, s1
	v_cmp_u_f32_e64 s1, v3, v3
	v_add3_u32 v10, v10, v4, 0x7fff
	v_perm_b32 v8, v6, v5, 0x7060302
	v_perm_b32 v6, v2, v1, 0x7060302
	v_cndmask_b32_e64 v3, v51, v52, s1
	v_cmp_u_f32_e64 s1, v4, v4
	v_cndmask_b32_e64 v4, v10, v53, s1
	v_perm_b32 v5, v4, v3, 0x7060302
	s_and_saveexec_b32 s16, vcc_lo
	s_cbranch_execz .LBB342_193
; %bb.319:                              ;   in Loop: Header=BB342_194 Depth=1
	v_add_co_u32 v1, s1, v14, v30
	v_add_co_ci_u32_e64 v2, null, 0, v15, s1
	v_mov_b32_e32 v15, 0
	v_mov_b32_e32 v14, 0
	global_load_dwordx2 v[1:2], v[1:2], off
	s_waitcnt vmcnt(0)
	v_cmp_ne_u16_sdwa s1, v1, v11 src0_sel:BYTE_0 src1_sel:DWORD
	s_and_saveexec_b32 s17, s1
	s_cbranch_execz .LBB342_325
; %bb.320:                              ;   in Loop: Header=BB342_194 Depth=1
	v_cmp_ne_u16_sdwa s1, v1, v33 src0_sel:BYTE_0 src1_sel:DWORD
	v_bfrev_b32_e32 v14, 1
	s_and_saveexec_b32 s18, s1
	s_cbranch_execz .LBB342_324
; %bb.321:                              ;   in Loop: Header=BB342_194 Depth=1
	v_and_b32_e32 v3, 0x7f, v1
	v_mov_b32_e32 v14, 0x7f800001
	s_mov_b32 s19, exec_lo
	v_cmpx_ne_u32_e32 0x7f, v3
	s_cbranch_execz .LBB342_323
; %bb.322:                              ;   in Loop: Header=BB342_194 Depth=1
	v_and_b32_e32 v4, 7, v1
	v_cmp_gt_u32_e64 s1, 8, v3
	v_lshrrev_b32_e32 v10, 3, v3
	v_ffbh_u32_e32 v4, v4
	v_min_u32_e32 v4, 32, v4
	v_subrev_nc_u32_e32 v14, 28, v4
	v_sub_nc_u32_e32 v4, 29, v4
	v_cndmask_b32_e64 v3, 0, v14, s1
	v_cndmask_b32_e64 v10, v10, v4, s1
	v_lshlrev_b64 v[3:4], v3, v[1:2]
	v_lshlrev_b32_e32 v4, 24, v1
	v_lshl_add_u32 v10, v10, 23, 0x3c000000
	v_lshlrev_b32_e32 v3, 20, v3
	v_and_b32_e32 v4, 0x80000000, v4
	v_and_b32_e32 v3, 0x700000, v3
	v_or3_b32 v14, v3, v4, v10
.LBB342_323:                            ;   in Loop: Header=BB342_194 Depth=1
	s_or_b32 exec_lo, exec_lo, s19
.LBB342_324:                            ;   in Loop: Header=BB342_194 Depth=1
	s_or_b32 exec_lo, exec_lo, s18
.LBB342_325:                            ;   in Loop: Header=BB342_194 Depth=1
	s_or_b32 exec_lo, exec_lo, s17
	v_cmp_ne_u16_sdwa s1, v1, v11 src0_sel:BYTE_1 src1_sel:DWORD
	s_and_saveexec_b32 s17, s1
	s_cbranch_execz .LBB342_333
; %bb.326:                              ;   in Loop: Header=BB342_194 Depth=1
	v_cmp_ne_u16_sdwa s1, v1, v33 src0_sel:BYTE_1 src1_sel:DWORD
	v_bfrev_b32_e32 v15, 1
	s_and_saveexec_b32 s18, s1
	s_cbranch_execz .LBB342_332
; %bb.327:                              ;   in Loop: Header=BB342_194 Depth=1
	v_and_b32_sdwa v3, v34, v1 dst_sel:DWORD dst_unused:UNUSED_PAD src0_sel:DWORD src1_sel:BYTE_1
	v_mov_b32_e32 v15, 0x7f800001
	s_mov_b32 s19, exec_lo
	v_and_b32_e32 v4, 0x7f, v3
	v_cmpx_ne_u32_e32 0x7f, v4
	s_cbranch_execz .LBB342_331
; %bb.328:                              ;   in Loop: Header=BB342_194 Depth=1
	v_and_b32_e32 v10, 7, v3
	v_lshrrev_b32_e32 v3, 3, v4
	s_mov_b32 s20, exec_lo
	v_cmpx_gt_u32_e32 8, v4
; %bb.329:                              ;   in Loop: Header=BB342_194 Depth=1
	v_ffbh_u32_e32 v3, v10
	v_min_u32_e32 v3, 32, v3
	v_subrev_nc_u32_e32 v4, 28, v3
	v_sub_nc_u32_e32 v3, 29, v3
	v_lshlrev_b64 v[49:50], v4, v[10:11]
	v_and_b32_e32 v10, 7, v49
; %bb.330:                              ;   in Loop: Header=BB342_194 Depth=1
	s_or_b32 exec_lo, exec_lo, s20
	v_lshlrev_b32_e32 v4, 16, v1
	v_lshlrev_b32_e32 v10, 20, v10
	v_lshl_add_u32 v3, v3, 23, 0x3c000000
	v_and_b32_e32 v4, 0x80000000, v4
	v_or3_b32 v15, v10, v4, v3
.LBB342_331:                            ;   in Loop: Header=BB342_194 Depth=1
	s_or_b32 exec_lo, exec_lo, s19
.LBB342_332:                            ;   in Loop: Header=BB342_194 Depth=1
	s_or_b32 exec_lo, exec_lo, s18
.LBB342_333:                            ;   in Loop: Header=BB342_194 Depth=1
	s_or_b32 exec_lo, exec_lo, s17
	v_and_b32_sdwa v3, v1, v35 dst_sel:DWORD dst_unused:UNUSED_PAD src0_sel:WORD_1 src1_sel:DWORD
	v_mov_b32_e32 v50, 0
	v_mov_b32_e32 v49, 0
	s_mov_b32 s17, exec_lo
	v_cmpx_ne_u16_e32 0, v3
	s_cbranch_execz .LBB342_341
; %bb.334:                              ;   in Loop: Header=BB342_194 Depth=1
	v_bfrev_b32_e32 v49, 1
	s_mov_b32 s18, exec_lo
	v_cmpx_ne_u16_e32 0x80, v3
	s_cbranch_execz .LBB342_340
; %bb.335:                              ;   in Loop: Header=BB342_194 Depth=1
	v_bfe_u32 v4, v1, 16, 7
	v_mov_b32_e32 v49, 0x7f800001
	s_mov_b32 s19, exec_lo
	v_cmpx_ne_u32_e32 0x7f, v4
	s_cbranch_execz .LBB342_339
; %bb.336:                              ;   in Loop: Header=BB342_194 Depth=1
	v_and_b32_sdwa v10, v1, v36 dst_sel:DWORD dst_unused:UNUSED_PAD src0_sel:WORD_1 src1_sel:DWORD
	v_lshrrev_b32_e32 v3, 3, v4
	s_mov_b32 s20, exec_lo
	v_cmpx_gt_u32_e32 8, v4
; %bb.337:                              ;   in Loop: Header=BB342_194 Depth=1
	v_ffbh_u32_e32 v3, v10
	v_min_u32_e32 v3, 32, v3
	v_subrev_nc_u32_e32 v4, 28, v3
	v_sub_nc_u32_e32 v3, 29, v3
	v_lshlrev_b64 v[51:52], v4, v[10:11]
	v_and_b32_e32 v10, 7, v51
; %bb.338:                              ;   in Loop: Header=BB342_194 Depth=1
	s_or_b32 exec_lo, exec_lo, s20
	v_lshlrev_b32_sdwa v4, v37, v1 dst_sel:DWORD dst_unused:UNUSED_PAD src0_sel:DWORD src1_sel:WORD_1
	v_lshlrev_b32_e32 v10, 20, v10
	v_lshl_add_u32 v3, v3, 23, 0x3c000000
	v_and_b32_e32 v4, 0x80000000, v4
	v_or3_b32 v49, v10, v4, v3
.LBB342_339:                            ;   in Loop: Header=BB342_194 Depth=1
	s_or_b32 exec_lo, exec_lo, s19
.LBB342_340:                            ;   in Loop: Header=BB342_194 Depth=1
	s_or_b32 exec_lo, exec_lo, s18
.LBB342_341:                            ;   in Loop: Header=BB342_194 Depth=1
	s_or_b32 exec_lo, exec_lo, s17
	s_mov_b32 s17, exec_lo
	v_cmpx_lt_u32_e32 0xffffff, v1
	s_cbranch_execz .LBB342_349
; %bb.342:                              ;   in Loop: Header=BB342_194 Depth=1
	v_cmp_ne_u32_sdwa s1, v1, v33 src0_sel:BYTE_3 src1_sel:DWORD
	v_bfrev_b32_e32 v50, 1
	s_and_saveexec_b32 s18, s1
	s_cbranch_execz .LBB342_348
; %bb.343:                              ;   in Loop: Header=BB342_194 Depth=1
	v_bfe_u32 v4, v1, 24, 7
	v_mov_b32_e32 v50, 0x7f800001
	s_mov_b32 s19, exec_lo
	v_cmpx_ne_u32_e32 0x7f, v4
	s_cbranch_execz .LBB342_347
; %bb.344:                              ;   in Loop: Header=BB342_194 Depth=1
	v_and_b32_sdwa v10, v1, v36 dst_sel:DWORD dst_unused:UNUSED_PAD src0_sel:BYTE_3 src1_sel:DWORD
	v_lshrrev_b32_e32 v3, 3, v4
	s_mov_b32 s20, exec_lo
	v_cmpx_gt_u32_e32 8, v4
; %bb.345:                              ;   in Loop: Header=BB342_194 Depth=1
	v_ffbh_u32_e32 v3, v10
	v_min_u32_e32 v3, 32, v3
	v_subrev_nc_u32_e32 v4, 28, v3
	v_sub_nc_u32_e32 v3, 29, v3
	v_lshlrev_b64 v[50:51], v4, v[10:11]
	v_and_b32_e32 v10, 7, v50
; %bb.346:                              ;   in Loop: Header=BB342_194 Depth=1
	s_or_b32 exec_lo, exec_lo, s20
	v_lshlrev_b32_sdwa v4, v37, v1 dst_sel:DWORD dst_unused:UNUSED_PAD src0_sel:DWORD src1_sel:BYTE_3
	v_lshlrev_b32_e32 v10, 20, v10
	v_lshl_add_u32 v3, v3, 23, 0x3c000000
	v_and_b32_e32 v4, 0x80000000, v4
	v_or3_b32 v50, v10, v4, v3
.LBB342_347:                            ;   in Loop: Header=BB342_194 Depth=1
	s_or_b32 exec_lo, exec_lo, s19
.LBB342_348:                            ;   in Loop: Header=BB342_194 Depth=1
	s_or_b32 exec_lo, exec_lo, s18
.LBB342_349:                            ;   in Loop: Header=BB342_194 Depth=1
	s_or_b32 exec_lo, exec_lo, s17
	v_mov_b32_e32 v10, v2
	v_cmp_ne_u16_sdwa s1, v2, v11 src0_sel:BYTE_0 src1_sel:DWORD
	v_mov_b32_e32 v3, 0
	v_mov_b32_e32 v51, 0
	s_and_saveexec_b32 s17, s1
	s_cbranch_execz .LBB342_355
; %bb.350:                              ;   in Loop: Header=BB342_194 Depth=1
	v_cmp_ne_u16_sdwa s1, v2, v33 src0_sel:BYTE_0 src1_sel:DWORD
	v_bfrev_b32_e32 v51, 1
	s_and_saveexec_b32 s18, s1
	s_cbranch_execz .LBB342_354
; %bb.351:                              ;   in Loop: Header=BB342_194 Depth=1
	v_and_b32_e32 v4, 0x7f, v2
	v_mov_b32_e32 v51, 0x7f800001
	s_mov_b32 s19, exec_lo
	v_cmpx_ne_u32_e32 0x7f, v4
	s_cbranch_execz .LBB342_353
; %bb.352:                              ;   in Loop: Header=BB342_194 Depth=1
	v_and_b32_e32 v51, 7, v2
	v_lshrrev_b32_e32 v52, 3, v4
	v_cmp_gt_u32_e64 s1, 8, v4
	v_ffbh_u32_e32 v51, v51
	v_min_u32_e32 v51, 32, v51
	v_subrev_nc_u32_e32 v53, 28, v51
	v_sub_nc_u32_e32 v51, 29, v51
	v_cndmask_b32_e64 v4, v52, v51, s1
	v_cndmask_b32_e64 v51, 0, v53, s1
	v_lshl_add_u32 v4, v4, 23, 0x3c000000
	v_lshlrev_b64 v[51:52], v51, v[10:11]
	v_lshlrev_b32_e32 v52, 24, v10
	v_lshlrev_b32_e32 v51, 20, v51
	v_and_b32_e32 v52, 0x80000000, v52
	v_and_b32_e32 v51, 0x700000, v51
	v_or3_b32 v51, v51, v52, v4
.LBB342_353:                            ;   in Loop: Header=BB342_194 Depth=1
	s_or_b32 exec_lo, exec_lo, s19
.LBB342_354:                            ;   in Loop: Header=BB342_194 Depth=1
	s_or_b32 exec_lo, exec_lo, s18
.LBB342_355:                            ;   in Loop: Header=BB342_194 Depth=1
	s_or_b32 exec_lo, exec_lo, s17
	v_cmp_ne_u16_sdwa s1, v10, v11 src0_sel:BYTE_1 src1_sel:DWORD
	s_and_saveexec_b32 s17, s1
	s_cbranch_execz .LBB342_363
; %bb.356:                              ;   in Loop: Header=BB342_194 Depth=1
	v_cmp_ne_u16_sdwa s1, v10, v33 src0_sel:BYTE_1 src1_sel:DWORD
	v_bfrev_b32_e32 v3, 1
	s_and_saveexec_b32 s18, s1
	s_cbranch_execz .LBB342_362
; %bb.357:                              ;   in Loop: Header=BB342_194 Depth=1
	v_and_b32_sdwa v4, v34, v10 dst_sel:DWORD dst_unused:UNUSED_PAD src0_sel:DWORD src1_sel:BYTE_1
	v_mov_b32_e32 v3, 0x7f800001
	s_mov_b32 s19, exec_lo
	v_and_b32_e32 v53, 0x7f, v4
	v_cmpx_ne_u32_e32 0x7f, v53
	s_cbranch_execz .LBB342_361
; %bb.358:                              ;   in Loop: Header=BB342_194 Depth=1
	v_and_b32_e32 v3, 7, v4
	v_mov_b32_e32 v4, v11
	v_lshrrev_b32_e32 v52, 3, v53
	s_mov_b32 s20, exec_lo
	v_cmpx_gt_u32_e32 8, v53
; %bb.359:                              ;   in Loop: Header=BB342_194 Depth=1
	v_ffbh_u32_e32 v52, v3
	v_min_u32_e32 v52, 32, v52
	v_subrev_nc_u32_e32 v53, 28, v52
	v_sub_nc_u32_e32 v52, 29, v52
	v_lshlrev_b64 v[3:4], v53, v[3:4]
	v_and_b32_e32 v3, 7, v3
; %bb.360:                              ;   in Loop: Header=BB342_194 Depth=1
	s_or_b32 exec_lo, exec_lo, s20
	v_lshlrev_b32_e32 v4, 16, v10
	v_lshlrev_b32_e32 v3, 20, v3
	v_lshl_add_u32 v10, v52, 23, 0x3c000000
	v_and_b32_e32 v4, 0x80000000, v4
	v_or3_b32 v3, v3, v4, v10
.LBB342_361:                            ;   in Loop: Header=BB342_194 Depth=1
	s_or_b32 exec_lo, exec_lo, s19
.LBB342_362:                            ;   in Loop: Header=BB342_194 Depth=1
	s_or_b32 exec_lo, exec_lo, s18
.LBB342_363:                            ;   in Loop: Header=BB342_194 Depth=1
	s_or_b32 exec_lo, exec_lo, s17
	v_and_b32_sdwa v10, v2, v35 dst_sel:DWORD dst_unused:UNUSED_PAD src0_sel:WORD_1 src1_sel:DWORD
	v_mov_b32_e32 v4, 0
	v_mov_b32_e32 v52, 0
	s_mov_b32 s17, exec_lo
	v_cmpx_ne_u16_e32 0, v10
	s_cbranch_execz .LBB342_371
; %bb.364:                              ;   in Loop: Header=BB342_194 Depth=1
	v_bfrev_b32_e32 v52, 1
	s_mov_b32 s18, exec_lo
	v_cmpx_ne_u16_e32 0x80, v10
	s_cbranch_execz .LBB342_370
; %bb.365:                              ;   in Loop: Header=BB342_194 Depth=1
	v_bfe_u32 v53, v2, 16, 7
	v_mov_b32_e32 v52, 0x7f800001
	s_mov_b32 s19, exec_lo
	v_cmpx_ne_u32_e32 0x7f, v53
	s_cbranch_execz .LBB342_369
; %bb.366:                              ;   in Loop: Header=BB342_194 Depth=1
	v_and_b32_sdwa v10, v2, v36 dst_sel:DWORD dst_unused:UNUSED_PAD src0_sel:WORD_1 src1_sel:DWORD
	v_lshrrev_b32_e32 v52, 3, v53
	s_mov_b32 s20, exec_lo
	v_cmpx_gt_u32_e32 8, v53
; %bb.367:                              ;   in Loop: Header=BB342_194 Depth=1
	v_ffbh_u32_e32 v52, v10
	v_min_u32_e32 v52, 32, v52
	v_subrev_nc_u32_e32 v53, 28, v52
	v_sub_nc_u32_e32 v52, 29, v52
	v_lshlrev_b64 v[53:54], v53, v[10:11]
	v_and_b32_e32 v10, 7, v53
; %bb.368:                              ;   in Loop: Header=BB342_194 Depth=1
	s_or_b32 exec_lo, exec_lo, s20
	v_lshlrev_b32_sdwa v53, v37, v2 dst_sel:DWORD dst_unused:UNUSED_PAD src0_sel:DWORD src1_sel:WORD_1
	v_lshlrev_b32_e32 v10, 20, v10
	v_lshl_add_u32 v52, v52, 23, 0x3c000000
	v_and_b32_e32 v53, 0x80000000, v53
	v_or3_b32 v52, v10, v53, v52
.LBB342_369:                            ;   in Loop: Header=BB342_194 Depth=1
	s_or_b32 exec_lo, exec_lo, s19
.LBB342_370:                            ;   in Loop: Header=BB342_194 Depth=1
	s_or_b32 exec_lo, exec_lo, s18
.LBB342_371:                            ;   in Loop: Header=BB342_194 Depth=1
	s_or_b32 exec_lo, exec_lo, s17
	s_mov_b32 s17, exec_lo
	v_cmpx_lt_u64_e64 s[6:7], v[1:2]
	s_cbranch_execz .LBB342_379
; %bb.372:                              ;   in Loop: Header=BB342_194 Depth=1
	v_cmp_ne_u32_sdwa s1, v2, v33 src0_sel:BYTE_3 src1_sel:DWORD
	v_bfrev_b32_e32 v4, 1
	s_and_saveexec_b32 s18, s1
	s_cbranch_execz .LBB342_378
; %bb.373:                              ;   in Loop: Header=BB342_194 Depth=1
	v_bfe_u32 v53, v2, 24, 7
	v_mov_b32_e32 v4, 0x7f800001
	s_mov_b32 s19, exec_lo
	v_cmpx_ne_u32_e32 0x7f, v53
	s_cbranch_execz .LBB342_377
; %bb.374:                              ;   in Loop: Header=BB342_194 Depth=1
	v_and_b32_sdwa v10, v2, v36 dst_sel:DWORD dst_unused:UNUSED_PAD src0_sel:BYTE_3 src1_sel:DWORD
	v_lshrrev_b32_e32 v1, 3, v53
	s_mov_b32 s20, exec_lo
	v_cmpx_gt_u32_e32 8, v53
; %bb.375:                              ;   in Loop: Header=BB342_194 Depth=1
	v_ffbh_u32_e32 v1, v10
	v_min_u32_e32 v1, 32, v1
	v_subrev_nc_u32_e32 v4, 28, v1
	v_sub_nc_u32_e32 v1, 29, v1
	v_lshlrev_b64 v[53:54], v4, v[10:11]
	v_and_b32_e32 v10, 7, v53
; %bb.376:                              ;   in Loop: Header=BB342_194 Depth=1
	s_or_b32 exec_lo, exec_lo, s20
	v_lshlrev_b32_sdwa v2, v37, v2 dst_sel:DWORD dst_unused:UNUSED_PAD src0_sel:DWORD src1_sel:BYTE_3
	v_lshlrev_b32_e32 v4, 20, v10
	v_lshl_add_u32 v1, v1, 23, 0x3c000000
	v_and_b32_e32 v2, 0x80000000, v2
	v_or3_b32 v4, v4, v2, v1
.LBB342_377:                            ;   in Loop: Header=BB342_194 Depth=1
	s_or_b32 exec_lo, exec_lo, s19
.LBB342_378:                            ;   in Loop: Header=BB342_194 Depth=1
	s_or_b32 exec_lo, exec_lo, s18
.LBB342_379:                            ;   in Loop: Header=BB342_194 Depth=1
	s_or_b32 exec_lo, exec_lo, s17
	v_mul_f32_e32 v1, s14, v3
	v_mul_f32_e32 v2, s14, v51
	;; [unrolled: 1-line block ×5, first 2 shown]
	v_bfe_u32 v10, v1, 16, 1
	v_or_b32_e32 v50, 0x400000, v1
	v_bfe_u32 v51, v2, 16, 1
	v_cmp_u_f32_e64 s1, v1, v1
	v_or_b32_e32 v53, 0x400000, v2
	v_add3_u32 v10, v10, v1, 0x7fff
	v_bfe_u32 v54, v3, 16, 1
	v_add3_u32 v51, v51, v2, 0x7fff
	v_or_b32_e32 v55, 0x400000, v3
	v_bfe_u32 v56, v49, 16, 1
	v_cndmask_b32_e64 v1, v10, v50, s1
	v_cmp_u_f32_e64 s1, v2, v2
	v_add3_u32 v54, v54, v3, 0x7fff
	v_mul_f32_e32 v14, s14, v14
	v_add3_u32 v50, v56, v49, 0x7fff
	v_lshrrev_b32_e32 v2, 16, v1
	v_cndmask_b32_e64 v10, v51, v53, s1
	v_cmp_u_f32_e64 s1, v3, v3
	v_or_b32_e32 v51, 0x400000, v49
	v_mul_f32_e32 v4, s14, v4
	v_lshrrev_b32_e32 v1, 16, v10
	v_cndmask_b32_e64 v3, v54, v55, s1
	v_cmp_u_f32_e64 s1, v49, v49
	v_or_b32_e32 v55, 0x400000, v4
	v_lshrrev_b32_e32 v10, 16, v3
	v_bfe_u32 v3, v15, 16, 1
	v_cndmask_b32_e64 v49, v50, v51, s1
	v_mul_f32_e32 v50, s14, v52
	v_or_b32_e32 v51, 0x400000, v15
	v_bfe_u32 v52, v14, 16, 1
	v_add3_u32 v3, v3, v15, 0x7fff
	v_cmp_u_f32_e64 s1, v15, v15
	v_bfe_u32 v53, v50, 16, 1
	v_bfe_u32 v15, v4, 16, 1
	v_or_b32_e32 v54, 0x400000, v50
	v_cndmask_b32_e64 v3, v3, v51, s1
	v_add3_u32 v51, v52, v14, 0x7fff
	v_or_b32_e32 v52, 0x400000, v14
	v_cmp_u_f32_e64 s1, v14, v14
	v_add3_u32 v53, v53, v50, 0x7fff
	v_add3_u32 v15, v15, v4, 0x7fff
	v_lshrrev_b32_e32 v14, 16, v49
	v_lshrrev_b32_e32 v49, 16, v3
	v_cndmask_b32_e64 v51, v51, v52, s1
	v_cmp_u_f32_e64 s1, v50, v50
	v_cndmask_b32_e64 v50, v53, v54, s1
	v_cmp_u_f32_e64 s1, v4, v4
	v_lshrrev_b32_e32 v3, 16, v50
	v_cndmask_b32_e64 v4, v15, v55, s1
	v_lshrrev_b32_e32 v15, 16, v51
	v_lshrrev_b32_e32 v4, 16, v4
	s_and_saveexec_b32 s1, s0
	s_cbranch_execz .LBB342_192
; %bb.380:                              ;   in Loop: Header=BB342_194 Depth=1
	v_add_nc_u32_e32 v50, -6, v31
	v_cmp_gt_i32_e64 s0, s27, v44
	v_add_nc_u32_e32 v51, -5, v31
	v_add_nc_u32_e32 v44, -4, v31
	v_cndmask_b32_e64 v15, 0, v15, s0
	v_cmp_gt_i32_e64 s0, s27, v50
	v_add_nc_u32_e32 v50, -3, v31
	v_cndmask_b32_e64 v49, 0, v49, s0
	v_cmp_gt_i32_e64 s0, s27, v51
	;; [unrolled: 3-line block ×4, first 2 shown]
	v_cndmask_b32_e64 v1, 0, v1, s0
	v_cmp_gt_i32_e64 s0, s27, v51
	v_cndmask_b32_e64 v2, 0, v2, s0
	v_cmp_gt_i32_e64 s0, s27, v44
	v_cndmask_b32_e64 v3, 0, v3, s0
	v_cmp_gt_i32_e64 s0, s27, v31
	v_cndmask_b32_e64 v4, 0, v4, s0
	s_branch .LBB342_192
.LBB342_381:
	s_or_b32 exec_lo, exec_lo, s15
.LBB342_382:
	s_or_b32 exec_lo, exec_lo, s3
	s_movk_i32 s0, 0x140
	v_and_b32_e32 v2, 0x3c0, v0
	v_mad_u32_u24 v1, v22, s0, 0xc0
	s_mov_b32 s0, exec_lo
	s_waitcnt_vscnt null, 0x0
	s_barrier
	buffer_gl0_inv
	v_cmpx_eq_u32_e32 64, v2
	s_cbranch_execz .LBB342_385
; %bb.383:
	v_add_nc_u32_e32 v2, 0xfffffd80, v1
	v_cmp_gt_u32_e32 vcc_lo, 0x50, v28
	v_lshl_add_u32 v3, v23, 2, v2
	ds_write2_b32 v3, v27, v26 offset1:32
	s_and_b32 exec_lo, exec_lo, vcc_lo
; %bb.384:
	v_lshl_add_u32 v2, v28, 2, v2
	ds_write_b32 v2, v25
.LBB342_385:
	s_or_b32 exec_lo, exec_lo, s0
	v_lshl_add_u32 v3, v23, 2, v1
	s_mov_b32 s0, exec_lo
	s_waitcnt lgkmcnt(0)
	s_barrier
	buffer_gl0_inv
	v_cmpx_gt_u32_e32 64, v0
	s_cbranch_execz .LBB342_389
; %bb.386:
	v_lshl_or_b32 v2, v0, 2, 0x80
	s_mov_b32 s1, exec_lo
	v_add_nc_u32_e32 v4, v1, v2
	ds_read_b32 v2, v3
	ds_read_b32 v4, v4
	v_cmpx_gt_u32_e32 0x50, v28
	s_cbranch_execz .LBB342_388
; %bb.387:
	ds_read_b32 v5, v3 offset:256
	s_waitcnt lgkmcnt(0)
	v_add_f32_e32 v25, v25, v5
.LBB342_388:
	s_or_b32 exec_lo, exec_lo, s1
	s_waitcnt lgkmcnt(1)
	v_add_f32_e32 v27, v27, v2
	s_waitcnt lgkmcnt(0)
	v_add_f32_e32 v26, v26, v4
.LBB342_389:
	s_or_b32 exec_lo, exec_lo, s0
	v_and_b32_e32 v2, 0x3e0, v0
	s_mov_b32 s0, exec_lo
	s_barrier
	buffer_gl0_inv
	v_cmpx_eq_u32_e32 32, v2
	s_cbranch_execz .LBB342_392
; %bb.390:
	v_lshl_add_u32 v2, v23, 2, 0xc0
	v_cmp_gt_u32_e32 vcc_lo, 0x50, v28
	ds_write_b32 v2, v27
	ds_write_b32 v24, v26
	s_and_b32 exec_lo, exec_lo, vcc_lo
; %bb.391:
	ds_write_b32 v2, v25 offset:256
.LBB342_392:
	s_or_b32 exec_lo, exec_lo, s0
	v_cmp_gt_u32_e32 vcc_lo, 32, v0
	v_or_b32_e32 v2, 64, v0
	s_waitcnt lgkmcnt(0)
	s_barrier
	buffer_gl0_inv
	s_and_saveexec_b32 s1, vcc_lo
	s_cbranch_execz .LBB342_396
; %bb.393:
	v_lshl_add_u32 v4, v0, 2, v1
	s_mov_b32 s3, exec_lo
	ds_read_b32 v1, v3
	ds_read_b32 v3, v4 offset:128
	v_cmpx_gt_u32_e32 0x50, v2
	s_cbranch_execz .LBB342_395
; %bb.394:
	ds_read_b32 v4, v4 offset:256
	s_waitcnt lgkmcnt(0)
	v_add_f32_e32 v25, v25, v4
.LBB342_395:
	s_or_b32 exec_lo, exec_lo, s3
	s_waitcnt lgkmcnt(1)
	v_add_f32_e32 v27, v27, v1
	s_waitcnt lgkmcnt(0)
	v_add_f32_e32 v26, v26, v3
.LBB342_396:
	s_or_b32 exec_lo, exec_lo, s1
	s_barrier
	buffer_gl0_inv
	s_and_saveexec_b32 s0, vcc_lo
	s_cbranch_execz .LBB342_399
; %bb.397:
	v_bfe_u32 v1, v27, 16, 1
	s_mul_i32 s0, s2, 0x50
	v_bfe_u32 v3, v26, 16, 1
	s_ashr_i32 s1, s0, 31
	v_or_b32_e32 v4, 0x400000, v27
	s_lshl_b64 s[0:1], s[0:1], 1
	v_add3_u32 v1, v1, v27, 0x7fff
	v_cmp_u_f32_e32 vcc_lo, v27, v27
	s_mul_i32 s2, s11, s10
	s_add_u32 s4, s24, s0
	s_addc_u32 s1, s25, s1
	s_ashr_i32 s3, s2, 31
	v_add3_u32 v3, v3, v26, 0x7fff
	s_lshl_b64 s[2:3], s[2:3], 1
	v_or_b32_e32 v5, 0x400000, v26
	v_cndmask_b32_e32 v1, v1, v4, vcc_lo
	v_cmp_u_f32_e32 vcc_lo, v26, v26
	s_mul_i32 s0, s8, 0x50
	s_add_u32 s2, s4, s2
	s_addc_u32 s3, s1, s3
	s_ashr_i32 s1, s0, 31
	v_lshlrev_b32_e32 v0, 1, v0
	s_lshl_b64 s[0:1], s[0:1], 1
	v_cndmask_b32_e32 v3, v3, v5, vcc_lo
	v_cmp_gt_u32_e32 vcc_lo, 0x50, v2
	s_add_u32 s0, s2, s0
	s_addc_u32 s1, s3, s1
	global_store_short_d16_hi v0, v1, s[0:1]
	global_store_short_d16_hi v0, v3, s[0:1] offset:64
	s_and_b32 exec_lo, exec_lo, vcc_lo
	s_cbranch_execz .LBB342_399
; %bb.398:
	v_bfe_u32 v1, v25, 16, 1
	v_or_b32_e32 v2, 0x400000, v25
	v_cmp_u_f32_e32 vcc_lo, v25, v25
	v_add_co_u32 v0, s0, s0, v0
	v_add3_u32 v3, v1, v25, 0x7fff
	v_add_co_ci_u32_e64 v1, null, s1, 0, s0
	v_cndmask_b32_e32 v2, v3, v2, vcc_lo
	global_store_short_d16_hi v[0:1], v2, off offset:128
.LBB342_399:
	s_endpgm
	.section	.rodata,"a",@progbits
	.p2align	6, 0x0
	.amdhsa_kernel _ZN4vllm25paged_attention_v2_kernelI14__hip_bfloat16hLi80ELi8ELi128ELNS_18Fp8KVCacheDataTypeE1ELb0ELi512EEEvPfS3_PT_PKS4_PKT0_SA_ifPKiSC_iPKfiiiSE_SE_iiiii
		.amdhsa_group_segment_fixed_size 192
		.amdhsa_private_segment_fixed_size 0
		.amdhsa_kernarg_size 400
		.amdhsa_user_sgpr_count 6
		.amdhsa_user_sgpr_private_segment_buffer 1
		.amdhsa_user_sgpr_dispatch_ptr 0
		.amdhsa_user_sgpr_queue_ptr 0
		.amdhsa_user_sgpr_kernarg_segment_ptr 1
		.amdhsa_user_sgpr_dispatch_id 0
		.amdhsa_user_sgpr_flat_scratch_init 0
		.amdhsa_user_sgpr_private_segment_size 0
		.amdhsa_wavefront_size32 1
		.amdhsa_uses_dynamic_stack 0
		.amdhsa_system_sgpr_private_segment_wavefront_offset 0
		.amdhsa_system_sgpr_workgroup_id_x 1
		.amdhsa_system_sgpr_workgroup_id_y 1
		.amdhsa_system_sgpr_workgroup_id_z 1
		.amdhsa_system_sgpr_workgroup_info 0
		.amdhsa_system_vgpr_workitem_id 0
		.amdhsa_next_free_vgpr 84
		.amdhsa_next_free_sgpr 42
		.amdhsa_reserve_vcc 1
		.amdhsa_reserve_flat_scratch 0
		.amdhsa_float_round_mode_32 0
		.amdhsa_float_round_mode_16_64 0
		.amdhsa_float_denorm_mode_32 3
		.amdhsa_float_denorm_mode_16_64 3
		.amdhsa_dx10_clamp 1
		.amdhsa_ieee_mode 1
		.amdhsa_fp16_overflow 0
		.amdhsa_workgroup_processor_mode 1
		.amdhsa_memory_ordered 1
		.amdhsa_forward_progress 1
		.amdhsa_shared_vgpr_count 0
		.amdhsa_exception_fp_ieee_invalid_op 0
		.amdhsa_exception_fp_denorm_src 0
		.amdhsa_exception_fp_ieee_div_zero 0
		.amdhsa_exception_fp_ieee_overflow 0
		.amdhsa_exception_fp_ieee_underflow 0
		.amdhsa_exception_fp_ieee_inexact 0
		.amdhsa_exception_int_div_zero 0
	.end_amdhsa_kernel
	.section	.text._ZN4vllm25paged_attention_v2_kernelI14__hip_bfloat16hLi80ELi8ELi128ELNS_18Fp8KVCacheDataTypeE1ELb0ELi512EEEvPfS3_PT_PKS4_PKT0_SA_ifPKiSC_iPKfiiiSE_SE_iiiii,"axG",@progbits,_ZN4vllm25paged_attention_v2_kernelI14__hip_bfloat16hLi80ELi8ELi128ELNS_18Fp8KVCacheDataTypeE1ELb0ELi512EEEvPfS3_PT_PKS4_PKT0_SA_ifPKiSC_iPKfiiiSE_SE_iiiii,comdat
.Lfunc_end342:
	.size	_ZN4vllm25paged_attention_v2_kernelI14__hip_bfloat16hLi80ELi8ELi128ELNS_18Fp8KVCacheDataTypeE1ELb0ELi512EEEvPfS3_PT_PKS4_PKT0_SA_ifPKiSC_iPKfiiiSE_SE_iiiii, .Lfunc_end342-_ZN4vllm25paged_attention_v2_kernelI14__hip_bfloat16hLi80ELi8ELi128ELNS_18Fp8KVCacheDataTypeE1ELb0ELi512EEEvPfS3_PT_PKS4_PKT0_SA_ifPKiSC_iPKfiiiSE_SE_iiiii
                                        ; -- End function
	.set _ZN4vllm25paged_attention_v2_kernelI14__hip_bfloat16hLi80ELi8ELi128ELNS_18Fp8KVCacheDataTypeE1ELb0ELi512EEEvPfS3_PT_PKS4_PKT0_SA_ifPKiSC_iPKfiiiSE_SE_iiiii.num_vgpr, 84
	.set _ZN4vllm25paged_attention_v2_kernelI14__hip_bfloat16hLi80ELi8ELi128ELNS_18Fp8KVCacheDataTypeE1ELb0ELi512EEEvPfS3_PT_PKS4_PKT0_SA_ifPKiSC_iPKfiiiSE_SE_iiiii.num_agpr, 0
	.set _ZN4vllm25paged_attention_v2_kernelI14__hip_bfloat16hLi80ELi8ELi128ELNS_18Fp8KVCacheDataTypeE1ELb0ELi512EEEvPfS3_PT_PKS4_PKT0_SA_ifPKiSC_iPKfiiiSE_SE_iiiii.numbered_sgpr, 42
	.set _ZN4vllm25paged_attention_v2_kernelI14__hip_bfloat16hLi80ELi8ELi128ELNS_18Fp8KVCacheDataTypeE1ELb0ELi512EEEvPfS3_PT_PKS4_PKT0_SA_ifPKiSC_iPKfiiiSE_SE_iiiii.num_named_barrier, 0
	.set _ZN4vllm25paged_attention_v2_kernelI14__hip_bfloat16hLi80ELi8ELi128ELNS_18Fp8KVCacheDataTypeE1ELb0ELi512EEEvPfS3_PT_PKS4_PKT0_SA_ifPKiSC_iPKfiiiSE_SE_iiiii.private_seg_size, 0
	.set _ZN4vllm25paged_attention_v2_kernelI14__hip_bfloat16hLi80ELi8ELi128ELNS_18Fp8KVCacheDataTypeE1ELb0ELi512EEEvPfS3_PT_PKS4_PKT0_SA_ifPKiSC_iPKfiiiSE_SE_iiiii.uses_vcc, 1
	.set _ZN4vllm25paged_attention_v2_kernelI14__hip_bfloat16hLi80ELi8ELi128ELNS_18Fp8KVCacheDataTypeE1ELb0ELi512EEEvPfS3_PT_PKS4_PKT0_SA_ifPKiSC_iPKfiiiSE_SE_iiiii.uses_flat_scratch, 0
	.set _ZN4vllm25paged_attention_v2_kernelI14__hip_bfloat16hLi80ELi8ELi128ELNS_18Fp8KVCacheDataTypeE1ELb0ELi512EEEvPfS3_PT_PKS4_PKT0_SA_ifPKiSC_iPKfiiiSE_SE_iiiii.has_dyn_sized_stack, 0
	.set _ZN4vllm25paged_attention_v2_kernelI14__hip_bfloat16hLi80ELi8ELi128ELNS_18Fp8KVCacheDataTypeE1ELb0ELi512EEEvPfS3_PT_PKS4_PKT0_SA_ifPKiSC_iPKfiiiSE_SE_iiiii.has_recursion, 0
	.set _ZN4vllm25paged_attention_v2_kernelI14__hip_bfloat16hLi80ELi8ELi128ELNS_18Fp8KVCacheDataTypeE1ELb0ELi512EEEvPfS3_PT_PKS4_PKT0_SA_ifPKiSC_iPKfiiiSE_SE_iiiii.has_indirect_call, 0
	.section	.AMDGPU.csdata,"",@progbits
; Kernel info:
; codeLenInByte = 16264
; TotalNumSgprs: 44
; NumVgprs: 84
; ScratchSize: 0
; MemoryBound: 0
; FloatMode: 240
; IeeeMode: 1
; LDSByteSize: 192 bytes/workgroup (compile time only)
; SGPRBlocks: 0
; VGPRBlocks: 10
; NumSGPRsForWavesPerEU: 44
; NumVGPRsForWavesPerEU: 84
; Occupancy: 10
; WaveLimiterHint : 1
; COMPUTE_PGM_RSRC2:SCRATCH_EN: 0
; COMPUTE_PGM_RSRC2:USER_SGPR: 6
; COMPUTE_PGM_RSRC2:TRAP_HANDLER: 0
; COMPUTE_PGM_RSRC2:TGID_X_EN: 1
; COMPUTE_PGM_RSRC2:TGID_Y_EN: 1
; COMPUTE_PGM_RSRC2:TGID_Z_EN: 1
; COMPUTE_PGM_RSRC2:TIDIG_COMP_CNT: 0
	.section	.text._ZN4vllm25paged_attention_v2_kernelI14__hip_bfloat16hLi96ELi8ELi128ELNS_18Fp8KVCacheDataTypeE1ELb0ELi512EEEvPfS3_PT_PKS4_PKT0_SA_ifPKiSC_iPKfiiiSE_SE_iiiii,"axG",@progbits,_ZN4vllm25paged_attention_v2_kernelI14__hip_bfloat16hLi96ELi8ELi128ELNS_18Fp8KVCacheDataTypeE1ELb0ELi512EEEvPfS3_PT_PKS4_PKT0_SA_ifPKiSC_iPKfiiiSE_SE_iiiii,comdat
	.protected	_ZN4vllm25paged_attention_v2_kernelI14__hip_bfloat16hLi96ELi8ELi128ELNS_18Fp8KVCacheDataTypeE1ELb0ELi512EEEvPfS3_PT_PKS4_PKT0_SA_ifPKiSC_iPKfiiiSE_SE_iiiii ; -- Begin function _ZN4vllm25paged_attention_v2_kernelI14__hip_bfloat16hLi96ELi8ELi128ELNS_18Fp8KVCacheDataTypeE1ELb0ELi512EEEvPfS3_PT_PKS4_PKT0_SA_ifPKiSC_iPKfiiiSE_SE_iiiii
	.globl	_ZN4vllm25paged_attention_v2_kernelI14__hip_bfloat16hLi96ELi8ELi128ELNS_18Fp8KVCacheDataTypeE1ELb0ELi512EEEvPfS3_PT_PKS4_PKT0_SA_ifPKiSC_iPKfiiiSE_SE_iiiii
	.p2align	8
	.type	_ZN4vllm25paged_attention_v2_kernelI14__hip_bfloat16hLi96ELi8ELi128ELNS_18Fp8KVCacheDataTypeE1ELb0ELi512EEEvPfS3_PT_PKS4_PKT0_SA_ifPKiSC_iPKfiiiSE_SE_iiiii,@function
_ZN4vllm25paged_attention_v2_kernelI14__hip_bfloat16hLi96ELi8ELi128ELNS_18Fp8KVCacheDataTypeE1ELb0ELi512EEEvPfS3_PT_PKS4_PKT0_SA_ifPKiSC_iPKfiiiSE_SE_iiiii: ; @_ZN4vllm25paged_attention_v2_kernelI14__hip_bfloat16hLi96ELi8ELi128ELNS_18Fp8KVCacheDataTypeE1ELb0ELi512EEEvPfS3_PT_PKS4_PKT0_SA_ifPKiSC_iPKfiiiSE_SE_iiiii
; %bb.0:
	s_load_dwordx2 s[0:1], s[4:5], 0x40
	s_mov_b32 s26, s7
	s_ashr_i32 s27, s7, 31
	s_lshl_b64 s[2:3], s[26:27], 2
	s_waitcnt lgkmcnt(0)
	s_add_u32 s0, s0, s2
	s_addc_u32 s1, s1, s3
	s_lshl_b32 s33, s8, 9
	s_load_dword s27, s[0:1], 0x0
	s_waitcnt lgkmcnt(0)
	s_cmp_ge_i32 s33, s27
	s_cbranch_scc1 .LBB343_422
; %bb.1:
	s_clause 0x1
	s_load_dword s9, s[4:5], 0x90
	s_load_dwordx2 s[36:37], s[4:5], 0x30
	s_waitcnt lgkmcnt(0)
	s_abs_i32 s3, s9
	s_abs_i32 s0, s36
	v_cvt_f32_u32_e32 v1, s0
	s_sub_i32 s2, 0, s0
	v_rcp_iflag_f32_e32 v1, v1
	v_mul_f32_e32 v1, 0x4f7ffffe, v1
	v_cvt_u32_f32_e32 v1, v1
	v_readfirstlane_b32 s1, v1
	s_mul_i32 s2, s2, s1
	s_mul_hi_u32 s2, s1, s2
	s_add_i32 s1, s1, s2
	s_xor_b32 s2, s9, s36
	s_mul_hi_u32 s1, s3, s1
	s_ashr_i32 s2, s2, 31
	s_mul_i32 s7, s1, s0
	s_mov_b32 s36, 0
	s_sub_i32 s3, s3, s7
	s_add_i32 s7, s1, 1
	s_sub_i32 s10, s3, s0
	s_cmp_ge_u32 s3, s0
	s_cselect_b32 s1, s7, s1
	s_cselect_b32 s3, s10, s3
	s_add_i32 s7, s1, 1
	s_cmp_ge_u32 s3, s0
	s_cselect_b32 s0, s7, s1
	s_abs_i32 s16, s6
	s_xor_b32 s0, s0, s2
	s_sub_i32 s10, s0, s2
	s_load_dwordx2 s[0:1], s[4:5], 0x50
	s_abs_i32 s2, s10
	v_cvt_f32_u32_e32 v1, s2
	s_sub_i32 s7, 0, s2
	v_rcp_iflag_f32_e32 v1, v1
	v_mul_f32_e32 v1, 0x4f7ffffe, v1
	v_cvt_u32_f32_e32 v1, v1
	v_readfirstlane_b32 s3, v1
	s_mul_i32 s7, s7, s3
	s_mul_hi_u32 s7, s3, s7
	s_add_i32 s3, s3, s7
	s_waitcnt lgkmcnt(0)
	s_cmp_eq_u64 s[0:1], 0
	s_mul_hi_u32 s3, s16, s3
	s_cbranch_scc1 .LBB343_3
; %bb.2:
	s_ashr_i32 s7, s6, 31
	s_lshl_b64 s[12:13], s[6:7], 2
	s_add_u32 s0, s0, s12
	s_addc_u32 s1, s1, s13
	s_load_dword s36, s[0:1], 0x0
.LBB343_3:
	s_load_dwordx4 s[12:15], s[4:5], 0x58
	v_and_b32_e32 v1, 3, v0
	s_ashr_i32 s0, s6, 31
	s_ashr_i32 s1, s10, 31
	s_mul_i32 s10, s6, 0x60
	s_mov_b32 s7, exec_lo
	v_cmpx_gt_u32_e32 48, v0
	s_cbranch_execz .LBB343_5
; %bb.4:
	s_load_dwordx2 s[18:19], s[4:5], 0x18
	s_waitcnt lgkmcnt(0)
	s_mul_i32 s20, s12, s26
	v_lshlrev_b32_e32 v2, 2, v0
	s_ashr_i32 s21, s20, 31
	v_and_b32_e32 v3, 0x3fc, v0
	s_lshl_b64 s[20:21], s[20:21], 1
	v_mad_u32_u24 v3, v1, 48, v3
	s_add_u32 s12, s18, s20
	s_addc_u32 s15, s19, s21
	s_ashr_i32 s11, s10, 31
	s_lshl_b64 s[18:19], s[10:11], 1
	s_add_u32 s18, s12, s18
	s_addc_u32 s19, s15, s19
	global_load_dword v2, v2, s[18:19]
	s_waitcnt vmcnt(0)
	ds_write_b32 v3, v2
.LBB343_5:
	s_or_b32 exec_lo, exec_lo, s7
	s_add_i32 s7, s27, 7
	s_clause 0x1
	s_load_dwordx2 s[28:29], s[4:5], 0x38
	s_load_dword s17, s[4:5], 0x48
	s_ashr_i32 s11, s7, 31
	s_waitcnt lgkmcnt(0)
	s_lshl_b32 s15, s8, 6
	s_lshr_b32 s11, s11, 29
	s_xor_b32 s0, s0, s1
	s_add_i32 s7, s7, s11
	s_add_i32 s1, s15, 64
	s_ashr_i32 s12, s7, 3
	s_mul_i32 s7, s3, s2
	s_min_i32 s11, s1, s12
	s_sub_i32 s1, s16, s7
	s_add_i32 s7, s3, 1
	s_sub_i32 s16, s1, s2
	s_cmp_ge_u32 s1, s2
	v_lshrrev_b32_e32 v22, 5, v0
	s_cselect_b32 s3, s7, s3
	s_cselect_b32 s1, s16, s1
	s_add_i32 s7, s3, 1
	s_cmp_ge_u32 s1, s2
	v_or_b32_e32 v9, s15, v22
	s_cselect_b32 s1, s7, s3
	v_mbcnt_lo_u32_b32 v11, -1, 0
	s_xor_b32 s1, s1, s0
	s_mul_i32 s30, s17, s26
	s_sub_i32 s1, s1, s0
	v_cmp_gt_i32_e64 s0, s11, v9
	s_ashr_i32 s31, s30, 31
	s_mov_b32 s2, exec_lo
	s_barrier
	buffer_gl0_inv
                                        ; implicit-def: $vgpr2
                                        ; implicit-def: $vgpr12
	v_cmpx_le_i32_e64 s11, v9
	s_xor_b32 s2, exec_lo, s2
; %bb.6:
	v_mov_b32_e32 v2, 0
	v_mbcnt_lo_u32_b32 v11, -1, 0
	v_mov_b32_e32 v12, 32
                                        ; implicit-def: $vgpr1
; %bb.7:
	s_or_saveexec_b32 s38, s2
	s_clause 0x4
	s_load_dwordx4 s[20:23], s[4:5], 0x0
	s_load_dwordx2 s[24:25], s[4:5], 0x10
	s_load_dword s7, s[4:5], 0x98
	s_load_dwordx2 s[34:35], s[4:5], 0x28
	s_load_dwordx4 s[16:19], s[4:5], 0x68
	v_mov_b32_e32 v37, 0xff7fffff
	v_ashrrev_i32_e32 v10, 31, v9
	v_lshlrev_b32_e32 v14, 3, v22
	s_mul_i32 s14, s1, s14
	s_xor_b32 exec_lo, exec_lo, s38
	s_cbranch_execz .LBB343_205
; %bb.8:
	v_mul_u32_u24_e32 v7, 48, v1
	s_load_dwordx2 s[2:3], s[4:5], 0x20
	v_bfe_u32 v8, v0, 2, 3
	s_ashr_i32 s1, s14, 31
	s_waitcnt lgkmcnt(0)
	s_load_dword s4, s[16:17], 0x0
	ds_read_b128 v[3:6], v7
	ds_read_b128 v[27:30], v7 offset:16
	ds_read_b128 v[34:37], v7 offset:32
	v_lshlrev_b32_e32 v12, 4, v8
	v_lshlrev_b32_e32 v42, 1, v1
	v_mov_b32_e32 v2, 0
	v_mov_b32_e32 v44, 0x80
	;; [unrolled: 1-line block ×4, first 2 shown]
	s_mov_b32 s17, s13
	s_mov_b32 s16, 0
	s_add_u32 s2, s2, s14
	s_addc_u32 s1, s3, s1
	v_add_co_u32 v7, s2, s2, v12
	s_waitcnt lgkmcnt(0)
	v_lshlrev_b32_e32 v13, 16, v3
	v_and_b32_e32 v15, 0xffff0000, v3
	v_xor_b32_e32 v3, 2, v11
	v_lshlrev_b32_e32 v16, 16, v4
	v_and_b32_e32 v17, 0xffff0000, v4
	v_xor_b32_e32 v4, 1, v11
	v_add_co_ci_u32_e64 v43, null, s1, 0, s2
	v_cmp_gt_i32_e32 vcc_lo, 32, v3
	v_lshlrev_b32_e32 v18, 16, v5
	v_and_b32_e32 v19, 0xffff0000, v5
	v_lshlrev_b32_e32 v20, 16, v6
	v_and_b32_e32 v21, 0xffff0000, v6
	v_cndmask_b32_e32 v3, v11, v3, vcc_lo
	v_cmp_gt_i32_e32 vcc_lo, 32, v4
	v_lshlrev_b64 v[5:6], 2, v[9:10]
	s_sub_i32 s5, 1, s27
	v_lshlrev_b32_e32 v23, 16, v27
	v_lshlrev_b32_e32 v40, 2, v3
	v_cndmask_b32_e32 v4, v11, v4, vcc_lo
	v_cmp_eq_u32_e32 vcc_lo, 0, v1
	v_lshlrev_b32_e32 v1, 2, v8
	v_add_co_u32 v3, s2, v7, v42
	v_lshlrev_b32_e32 v41, 2, v4
	v_add_co_ci_u32_e64 v4, null, 0, v43, s2
	s_lshl_b64 s[2:3], s[30:31], 2
	v_lshl_or_b32 v1, v22, 5, v1
	s_add_u32 s2, s28, s2
	s_addc_u32 s3, s29, s3
	v_add_co_u32 v5, s2, s2, v5
	v_and_b32_e32 v24, 0xffff0000, v27
	v_lshlrev_b32_e32 v25, 16, v28
	v_and_b32_e32 v26, 0xffff0000, v28
	v_lshlrev_b32_e32 v27, 16, v29
	;; [unrolled: 2-line block ×7, first 2 shown]
	v_and_b32_e32 v39, 0xffff0000, v37
	v_mov_b32_e32 v12, 32
	v_cmp_neq_f32_e64 s1, s36, 0
	v_add3_u32 v42, s33, v14, v8
	v_add_nc_u32_e32 v43, 0xe0, v1
	v_add_co_ci_u32_e64 v6, null, s3, v6, s2
	v_mov_b32_e32 v37, 0xff7fffff
	s_branch .LBB343_10
.LBB343_9:                              ;   in Loop: Header=BB343_10 Depth=1
	s_or_b32 exec_lo, exec_lo, s3
	v_add_nc_u32_e32 v46, 4, v46
	v_add_co_u32 v5, s3, v5, 16
	v_add_nc_u32_e32 v42, 32, v42
	v_add_nc_u32_e32 v43, 0x80, v43
	v_cmp_le_i32_e64 s2, s11, v46
	v_add_co_ci_u32_e64 v6, null, 0, v6, s3
	s_or_b32 s16, s2, s16
	s_andn2_b32 exec_lo, exec_lo, s16
	s_cbranch_execz .LBB343_204
.LBB343_10:                             ; =>This Inner Loop Header: Depth=1
	global_load_dword v1, v[5:6], off
	v_mov_b32_e32 v47, 0
	s_waitcnt vmcnt(0) lgkmcnt(0)
	v_mad_i64_i32 v[7:8], null, v1, s17, v[3:4]
	global_load_ushort v1, v[7:8], off
	s_waitcnt vmcnt(0)
	v_and_b32_e32 v49, 0xffff, v1
	v_cmp_ne_u16_sdwa s2, v1, v2 src0_sel:BYTE_0 src1_sel:DWORD
	s_and_saveexec_b32 s3, s2
	s_cbranch_execz .LBB343_18
; %bb.11:                               ;   in Loop: Header=BB343_10 Depth=1
	v_cmp_ne_u16_sdwa s2, v49, v44 src0_sel:BYTE_0 src1_sel:DWORD
	v_bfrev_b32_e32 v47, 1
	s_and_saveexec_b32 s39, s2
	s_cbranch_execz .LBB343_17
; %bb.12:                               ;   in Loop: Header=BB343_10 Depth=1
	v_and_b32_e32 v48, 0x7f, v49
	v_mov_b32_e32 v47, 0x7f800001
	s_mov_b32 s40, exec_lo
	v_cmpx_ne_u32_e32 0x7f, v48
	s_cbranch_execz .LBB343_16
; %bb.13:                               ;   in Loop: Header=BB343_10 Depth=1
	v_and_b32_e32 v1, 7, v49
	v_lshrrev_b32_e32 v47, 3, v48
	s_mov_b32 s41, exec_lo
	v_cmpx_gt_u32_e32 8, v48
; %bb.14:                               ;   in Loop: Header=BB343_10 Depth=1
	v_ffbh_u32_e32 v47, v1
	v_min_u32_e32 v47, 32, v47
	v_subrev_nc_u32_e32 v48, 28, v47
	v_sub_nc_u32_e32 v47, 29, v47
	v_lshlrev_b64 v[50:51], v48, v[1:2]
	v_and_b32_e32 v1, 7, v50
; %bb.15:                               ;   in Loop: Header=BB343_10 Depth=1
	s_or_b32 exec_lo, exec_lo, s41
	v_lshlrev_b32_e32 v48, 24, v49
	v_lshlrev_b32_e32 v1, 20, v1
	v_lshl_add_u32 v47, v47, 23, 0x3c000000
	v_and_b32_e32 v48, 0x80000000, v48
	v_or3_b32 v47, v1, v48, v47
.LBB343_16:                             ;   in Loop: Header=BB343_10 Depth=1
	s_or_b32 exec_lo, exec_lo, s40
.LBB343_17:                             ;   in Loop: Header=BB343_10 Depth=1
	s_or_b32 exec_lo, exec_lo, s39
.LBB343_18:                             ;   in Loop: Header=BB343_10 Depth=1
	s_or_b32 exec_lo, exec_lo, s3
	v_cmp_ne_u16_sdwa s2, v49, v2 src0_sel:BYTE_1 src1_sel:DWORD
	v_mov_b32_e32 v48, 0
	s_and_saveexec_b32 s3, s2
	s_cbranch_execz .LBB343_26
; %bb.19:                               ;   in Loop: Header=BB343_10 Depth=1
	v_cmp_ne_u16_sdwa s2, v49, v44 src0_sel:BYTE_1 src1_sel:DWORD
	v_bfrev_b32_e32 v48, 1
	s_and_saveexec_b32 s39, s2
	s_cbranch_execz .LBB343_25
; %bb.20:                               ;   in Loop: Header=BB343_10 Depth=1
	v_and_b32_sdwa v1, v45, v49 dst_sel:DWORD dst_unused:UNUSED_PAD src0_sel:DWORD src1_sel:BYTE_1
	v_mov_b32_e32 v48, 0x7f800001
	s_mov_b32 s40, exec_lo
	v_and_b32_e32 v50, 0x7f, v1
	v_cmpx_ne_u32_e32 0x7f, v50
	s_cbranch_execz .LBB343_24
; %bb.21:                               ;   in Loop: Header=BB343_10 Depth=1
	v_and_b32_e32 v1, 7, v1
	v_lshrrev_b32_e32 v48, 3, v50
	s_mov_b32 s41, exec_lo
	v_cmpx_gt_u32_e32 8, v50
; %bb.22:                               ;   in Loop: Header=BB343_10 Depth=1
	v_ffbh_u32_e32 v48, v1
	v_min_u32_e32 v48, 32, v48
	v_subrev_nc_u32_e32 v50, 28, v48
	v_sub_nc_u32_e32 v48, 29, v48
	v_lshlrev_b64 v[50:51], v50, v[1:2]
	v_and_b32_e32 v1, 7, v50
; %bb.23:                               ;   in Loop: Header=BB343_10 Depth=1
	s_or_b32 exec_lo, exec_lo, s41
	v_lshlrev_b32_e32 v49, 16, v49
	v_lshlrev_b32_e32 v1, 20, v1
	v_lshl_add_u32 v48, v48, 23, 0x3c000000
	v_and_b32_e32 v49, 0x80000000, v49
	v_or3_b32 v48, v1, v49, v48
.LBB343_24:                             ;   in Loop: Header=BB343_10 Depth=1
	s_or_b32 exec_lo, exec_lo, s40
.LBB343_25:                             ;   in Loop: Header=BB343_10 Depth=1
	s_or_b32 exec_lo, exec_lo, s39
.LBB343_26:                             ;   in Loop: Header=BB343_10 Depth=1
	s_or_b32 exec_lo, exec_lo, s3
	global_load_ushort v1, v[7:8], off offset:8
	v_mov_b32_e32 v50, 0
	v_mov_b32_e32 v49, 0
	s_waitcnt vmcnt(0)
	v_and_b32_e32 v51, 0xffff, v1
	v_cmp_ne_u16_sdwa s2, v1, v2 src0_sel:BYTE_0 src1_sel:DWORD
	s_and_saveexec_b32 s3, s2
	s_cbranch_execz .LBB343_34
; %bb.27:                               ;   in Loop: Header=BB343_10 Depth=1
	v_cmp_ne_u16_sdwa s2, v51, v44 src0_sel:BYTE_0 src1_sel:DWORD
	v_bfrev_b32_e32 v49, 1
	s_and_saveexec_b32 s39, s2
	s_cbranch_execz .LBB343_33
; %bb.28:                               ;   in Loop: Header=BB343_10 Depth=1
	v_and_b32_e32 v52, 0x7f, v51
	v_mov_b32_e32 v49, 0x7f800001
	s_mov_b32 s40, exec_lo
	v_cmpx_ne_u32_e32 0x7f, v52
	s_cbranch_execz .LBB343_32
; %bb.29:                               ;   in Loop: Header=BB343_10 Depth=1
	v_and_b32_e32 v1, 7, v51
	v_lshrrev_b32_e32 v49, 3, v52
	s_mov_b32 s41, exec_lo
	v_cmpx_gt_u32_e32 8, v52
; %bb.30:                               ;   in Loop: Header=BB343_10 Depth=1
	v_ffbh_u32_e32 v49, v1
	v_min_u32_e32 v49, 32, v49
	v_subrev_nc_u32_e32 v52, 28, v49
	v_sub_nc_u32_e32 v49, 29, v49
	v_lshlrev_b64 v[52:53], v52, v[1:2]
	v_and_b32_e32 v1, 7, v52
; %bb.31:                               ;   in Loop: Header=BB343_10 Depth=1
	s_or_b32 exec_lo, exec_lo, s41
	v_lshlrev_b32_e32 v52, 24, v51
	v_lshlrev_b32_e32 v1, 20, v1
	v_lshl_add_u32 v49, v49, 23, 0x3c000000
	v_and_b32_e32 v52, 0x80000000, v52
	v_or3_b32 v49, v1, v52, v49
.LBB343_32:                             ;   in Loop: Header=BB343_10 Depth=1
	s_or_b32 exec_lo, exec_lo, s40
.LBB343_33:                             ;   in Loop: Header=BB343_10 Depth=1
	s_or_b32 exec_lo, exec_lo, s39
.LBB343_34:                             ;   in Loop: Header=BB343_10 Depth=1
	s_or_b32 exec_lo, exec_lo, s3
	v_cmp_ne_u16_sdwa s2, v51, v2 src0_sel:BYTE_1 src1_sel:DWORD
	s_and_saveexec_b32 s3, s2
	s_cbranch_execz .LBB343_42
; %bb.35:                               ;   in Loop: Header=BB343_10 Depth=1
	v_cmp_ne_u16_sdwa s2, v51, v44 src0_sel:BYTE_1 src1_sel:DWORD
	v_bfrev_b32_e32 v50, 1
	s_and_saveexec_b32 s39, s2
	s_cbranch_execz .LBB343_41
; %bb.36:                               ;   in Loop: Header=BB343_10 Depth=1
	v_and_b32_sdwa v1, v45, v51 dst_sel:DWORD dst_unused:UNUSED_PAD src0_sel:DWORD src1_sel:BYTE_1
	v_mov_b32_e32 v50, 0x7f800001
	s_mov_b32 s40, exec_lo
	v_and_b32_e32 v52, 0x7f, v1
	v_cmpx_ne_u32_e32 0x7f, v52
	s_cbranch_execz .LBB343_40
; %bb.37:                               ;   in Loop: Header=BB343_10 Depth=1
	v_and_b32_e32 v1, 7, v1
	v_lshrrev_b32_e32 v50, 3, v52
	s_mov_b32 s41, exec_lo
	v_cmpx_gt_u32_e32 8, v52
; %bb.38:                               ;   in Loop: Header=BB343_10 Depth=1
	v_ffbh_u32_e32 v50, v1
	v_min_u32_e32 v50, 32, v50
	v_subrev_nc_u32_e32 v52, 28, v50
	v_sub_nc_u32_e32 v50, 29, v50
	v_lshlrev_b64 v[52:53], v52, v[1:2]
	v_and_b32_e32 v1, 7, v52
; %bb.39:                               ;   in Loop: Header=BB343_10 Depth=1
	s_or_b32 exec_lo, exec_lo, s41
	v_lshlrev_b32_e32 v51, 16, v51
	v_lshlrev_b32_e32 v1, 20, v1
	v_lshl_add_u32 v50, v50, 23, 0x3c000000
	v_and_b32_e32 v51, 0x80000000, v51
	v_or3_b32 v50, v1, v51, v50
.LBB343_40:                             ;   in Loop: Header=BB343_10 Depth=1
	s_or_b32 exec_lo, exec_lo, s40
.LBB343_41:                             ;   in Loop: Header=BB343_10 Depth=1
	s_or_b32 exec_lo, exec_lo, s39
.LBB343_42:                             ;   in Loop: Header=BB343_10 Depth=1
	s_or_b32 exec_lo, exec_lo, s3
	global_load_ushort v1, v[7:8], off offset:128
	v_mov_b32_e32 v51, 0
	v_mov_b32_e32 v52, 0
	s_waitcnt vmcnt(0)
	v_and_b32_e32 v53, 0xffff, v1
	v_cmp_ne_u16_sdwa s2, v1, v2 src0_sel:BYTE_0 src1_sel:DWORD
	s_and_saveexec_b32 s3, s2
	s_cbranch_execz .LBB343_50
; %bb.43:                               ;   in Loop: Header=BB343_10 Depth=1
	v_cmp_ne_u16_sdwa s2, v53, v44 src0_sel:BYTE_0 src1_sel:DWORD
	v_bfrev_b32_e32 v52, 1
	s_and_saveexec_b32 s39, s2
	s_cbranch_execz .LBB343_49
; %bb.44:                               ;   in Loop: Header=BB343_10 Depth=1
	v_and_b32_e32 v54, 0x7f, v53
	v_mov_b32_e32 v52, 0x7f800001
	s_mov_b32 s40, exec_lo
	v_cmpx_ne_u32_e32 0x7f, v54
	s_cbranch_execz .LBB343_48
; %bb.45:                               ;   in Loop: Header=BB343_10 Depth=1
	v_and_b32_e32 v1, 7, v53
	v_lshrrev_b32_e32 v52, 3, v54
	s_mov_b32 s41, exec_lo
	v_cmpx_gt_u32_e32 8, v54
; %bb.46:                               ;   in Loop: Header=BB343_10 Depth=1
	v_ffbh_u32_e32 v52, v1
	v_min_u32_e32 v52, 32, v52
	v_subrev_nc_u32_e32 v54, 28, v52
	v_sub_nc_u32_e32 v52, 29, v52
	v_lshlrev_b64 v[54:55], v54, v[1:2]
	v_and_b32_e32 v1, 7, v54
; %bb.47:                               ;   in Loop: Header=BB343_10 Depth=1
	s_or_b32 exec_lo, exec_lo, s41
	v_lshlrev_b32_e32 v54, 24, v53
	v_lshlrev_b32_e32 v1, 20, v1
	v_lshl_add_u32 v52, v52, 23, 0x3c000000
	v_and_b32_e32 v54, 0x80000000, v54
	v_or3_b32 v52, v1, v54, v52
.LBB343_48:                             ;   in Loop: Header=BB343_10 Depth=1
	s_or_b32 exec_lo, exec_lo, s40
.LBB343_49:                             ;   in Loop: Header=BB343_10 Depth=1
	s_or_b32 exec_lo, exec_lo, s39
.LBB343_50:                             ;   in Loop: Header=BB343_10 Depth=1
	s_or_b32 exec_lo, exec_lo, s3
	v_cmp_ne_u16_sdwa s2, v53, v2 src0_sel:BYTE_1 src1_sel:DWORD
	s_and_saveexec_b32 s3, s2
	s_cbranch_execz .LBB343_58
; %bb.51:                               ;   in Loop: Header=BB343_10 Depth=1
	v_cmp_ne_u16_sdwa s2, v53, v44 src0_sel:BYTE_1 src1_sel:DWORD
	v_bfrev_b32_e32 v51, 1
	s_and_saveexec_b32 s39, s2
	s_cbranch_execz .LBB343_57
; %bb.52:                               ;   in Loop: Header=BB343_10 Depth=1
	v_and_b32_sdwa v1, v45, v53 dst_sel:DWORD dst_unused:UNUSED_PAD src0_sel:DWORD src1_sel:BYTE_1
	v_mov_b32_e32 v51, 0x7f800001
	s_mov_b32 s40, exec_lo
	v_and_b32_e32 v54, 0x7f, v1
	v_cmpx_ne_u32_e32 0x7f, v54
	s_cbranch_execz .LBB343_56
; %bb.53:                               ;   in Loop: Header=BB343_10 Depth=1
	v_and_b32_e32 v1, 7, v1
	v_lshrrev_b32_e32 v51, 3, v54
	s_mov_b32 s41, exec_lo
	v_cmpx_gt_u32_e32 8, v54
; %bb.54:                               ;   in Loop: Header=BB343_10 Depth=1
	v_ffbh_u32_e32 v51, v1
	v_min_u32_e32 v51, 32, v51
	v_subrev_nc_u32_e32 v54, 28, v51
	v_sub_nc_u32_e32 v51, 29, v51
	v_lshlrev_b64 v[54:55], v54, v[1:2]
	v_and_b32_e32 v1, 7, v54
; %bb.55:                               ;   in Loop: Header=BB343_10 Depth=1
	s_or_b32 exec_lo, exec_lo, s41
	v_lshlrev_b32_e32 v53, 16, v53
	v_lshlrev_b32_e32 v1, 20, v1
	v_lshl_add_u32 v51, v51, 23, 0x3c000000
	v_and_b32_e32 v53, 0x80000000, v53
	v_or3_b32 v51, v1, v53, v51
.LBB343_56:                             ;   in Loop: Header=BB343_10 Depth=1
	s_or_b32 exec_lo, exec_lo, s40
.LBB343_57:                             ;   in Loop: Header=BB343_10 Depth=1
	s_or_b32 exec_lo, exec_lo, s39
.LBB343_58:                             ;   in Loop: Header=BB343_10 Depth=1
	s_or_b32 exec_lo, exec_lo, s3
	global_load_ushort v1, v[7:8], off offset:136
	v_mov_b32_e32 v54, 0
	v_mov_b32_e32 v53, 0
	s_waitcnt vmcnt(0)
	v_and_b32_e32 v55, 0xffff, v1
	v_cmp_ne_u16_sdwa s2, v1, v2 src0_sel:BYTE_0 src1_sel:DWORD
	s_and_saveexec_b32 s3, s2
	s_cbranch_execz .LBB343_66
; %bb.59:                               ;   in Loop: Header=BB343_10 Depth=1
	v_cmp_ne_u16_sdwa s2, v55, v44 src0_sel:BYTE_0 src1_sel:DWORD
	v_bfrev_b32_e32 v53, 1
	s_and_saveexec_b32 s39, s2
	s_cbranch_execz .LBB343_65
; %bb.60:                               ;   in Loop: Header=BB343_10 Depth=1
	v_and_b32_e32 v56, 0x7f, v55
	v_mov_b32_e32 v53, 0x7f800001
	s_mov_b32 s40, exec_lo
	v_cmpx_ne_u32_e32 0x7f, v56
	s_cbranch_execz .LBB343_64
; %bb.61:                               ;   in Loop: Header=BB343_10 Depth=1
	v_and_b32_e32 v1, 7, v55
	v_lshrrev_b32_e32 v53, 3, v56
	s_mov_b32 s41, exec_lo
	v_cmpx_gt_u32_e32 8, v56
; %bb.62:                               ;   in Loop: Header=BB343_10 Depth=1
	v_ffbh_u32_e32 v53, v1
	v_min_u32_e32 v53, 32, v53
	v_subrev_nc_u32_e32 v56, 28, v53
	v_sub_nc_u32_e32 v53, 29, v53
	v_lshlrev_b64 v[56:57], v56, v[1:2]
	v_and_b32_e32 v1, 7, v56
; %bb.63:                               ;   in Loop: Header=BB343_10 Depth=1
	s_or_b32 exec_lo, exec_lo, s41
	v_lshlrev_b32_e32 v56, 24, v55
	v_lshlrev_b32_e32 v1, 20, v1
	v_lshl_add_u32 v53, v53, 23, 0x3c000000
	v_and_b32_e32 v56, 0x80000000, v56
	v_or3_b32 v53, v1, v56, v53
.LBB343_64:                             ;   in Loop: Header=BB343_10 Depth=1
	s_or_b32 exec_lo, exec_lo, s40
.LBB343_65:                             ;   in Loop: Header=BB343_10 Depth=1
	s_or_b32 exec_lo, exec_lo, s39
.LBB343_66:                             ;   in Loop: Header=BB343_10 Depth=1
	s_or_b32 exec_lo, exec_lo, s3
	v_cmp_ne_u16_sdwa s2, v55, v2 src0_sel:BYTE_1 src1_sel:DWORD
	s_and_saveexec_b32 s3, s2
	s_cbranch_execz .LBB343_74
; %bb.67:                               ;   in Loop: Header=BB343_10 Depth=1
	v_cmp_ne_u16_sdwa s2, v55, v44 src0_sel:BYTE_1 src1_sel:DWORD
	v_bfrev_b32_e32 v54, 1
	s_and_saveexec_b32 s39, s2
	s_cbranch_execz .LBB343_73
; %bb.68:                               ;   in Loop: Header=BB343_10 Depth=1
	v_and_b32_sdwa v1, v45, v55 dst_sel:DWORD dst_unused:UNUSED_PAD src0_sel:DWORD src1_sel:BYTE_1
	v_mov_b32_e32 v54, 0x7f800001
	s_mov_b32 s40, exec_lo
	v_and_b32_e32 v56, 0x7f, v1
	v_cmpx_ne_u32_e32 0x7f, v56
	s_cbranch_execz .LBB343_72
; %bb.69:                               ;   in Loop: Header=BB343_10 Depth=1
	v_and_b32_e32 v1, 7, v1
	v_lshrrev_b32_e32 v54, 3, v56
	s_mov_b32 s41, exec_lo
	v_cmpx_gt_u32_e32 8, v56
; %bb.70:                               ;   in Loop: Header=BB343_10 Depth=1
	v_ffbh_u32_e32 v54, v1
	v_min_u32_e32 v54, 32, v54
	v_subrev_nc_u32_e32 v56, 28, v54
	v_sub_nc_u32_e32 v54, 29, v54
	v_lshlrev_b64 v[56:57], v56, v[1:2]
	v_and_b32_e32 v1, 7, v56
; %bb.71:                               ;   in Loop: Header=BB343_10 Depth=1
	s_or_b32 exec_lo, exec_lo, s41
	v_lshlrev_b32_e32 v55, 16, v55
	v_lshlrev_b32_e32 v1, 20, v1
	v_lshl_add_u32 v54, v54, 23, 0x3c000000
	v_and_b32_e32 v55, 0x80000000, v55
	v_or3_b32 v54, v1, v55, v54
.LBB343_72:                             ;   in Loop: Header=BB343_10 Depth=1
	s_or_b32 exec_lo, exec_lo, s40
.LBB343_73:                             ;   in Loop: Header=BB343_10 Depth=1
	s_or_b32 exec_lo, exec_lo, s39
.LBB343_74:                             ;   in Loop: Header=BB343_10 Depth=1
	s_or_b32 exec_lo, exec_lo, s3
	global_load_ushort v1, v[7:8], off offset:256
	v_mov_b32_e32 v56, 0
	v_mov_b32_e32 v55, 0
	s_waitcnt vmcnt(0)
	v_and_b32_e32 v57, 0xffff, v1
	v_cmp_ne_u16_sdwa s2, v1, v2 src0_sel:BYTE_0 src1_sel:DWORD
	s_and_saveexec_b32 s3, s2
	s_cbranch_execz .LBB343_82
; %bb.75:                               ;   in Loop: Header=BB343_10 Depth=1
	v_cmp_ne_u16_sdwa s2, v57, v44 src0_sel:BYTE_0 src1_sel:DWORD
	v_bfrev_b32_e32 v55, 1
	s_and_saveexec_b32 s39, s2
	s_cbranch_execz .LBB343_81
; %bb.76:                               ;   in Loop: Header=BB343_10 Depth=1
	v_and_b32_e32 v58, 0x7f, v57
	v_mov_b32_e32 v55, 0x7f800001
	s_mov_b32 s40, exec_lo
	v_cmpx_ne_u32_e32 0x7f, v58
	s_cbranch_execz .LBB343_80
; %bb.77:                               ;   in Loop: Header=BB343_10 Depth=1
	v_and_b32_e32 v1, 7, v57
	v_lshrrev_b32_e32 v55, 3, v58
	s_mov_b32 s41, exec_lo
	v_cmpx_gt_u32_e32 8, v58
; %bb.78:                               ;   in Loop: Header=BB343_10 Depth=1
	v_ffbh_u32_e32 v55, v1
	v_min_u32_e32 v55, 32, v55
	v_subrev_nc_u32_e32 v58, 28, v55
	v_sub_nc_u32_e32 v55, 29, v55
	v_lshlrev_b64 v[58:59], v58, v[1:2]
	v_and_b32_e32 v1, 7, v58
; %bb.79:                               ;   in Loop: Header=BB343_10 Depth=1
	s_or_b32 exec_lo, exec_lo, s41
	v_lshlrev_b32_e32 v58, 24, v57
	v_lshlrev_b32_e32 v1, 20, v1
	v_lshl_add_u32 v55, v55, 23, 0x3c000000
	v_and_b32_e32 v58, 0x80000000, v58
	v_or3_b32 v55, v1, v58, v55
.LBB343_80:                             ;   in Loop: Header=BB343_10 Depth=1
	s_or_b32 exec_lo, exec_lo, s40
.LBB343_81:                             ;   in Loop: Header=BB343_10 Depth=1
	s_or_b32 exec_lo, exec_lo, s39
.LBB343_82:                             ;   in Loop: Header=BB343_10 Depth=1
	s_or_b32 exec_lo, exec_lo, s3
	v_cmp_ne_u16_sdwa s2, v57, v2 src0_sel:BYTE_1 src1_sel:DWORD
	s_and_saveexec_b32 s3, s2
	s_cbranch_execz .LBB343_90
; %bb.83:                               ;   in Loop: Header=BB343_10 Depth=1
	v_cmp_ne_u16_sdwa s2, v57, v44 src0_sel:BYTE_1 src1_sel:DWORD
	v_bfrev_b32_e32 v56, 1
	s_and_saveexec_b32 s39, s2
	s_cbranch_execz .LBB343_89
; %bb.84:                               ;   in Loop: Header=BB343_10 Depth=1
	v_and_b32_sdwa v1, v45, v57 dst_sel:DWORD dst_unused:UNUSED_PAD src0_sel:DWORD src1_sel:BYTE_1
	v_mov_b32_e32 v56, 0x7f800001
	s_mov_b32 s40, exec_lo
	v_and_b32_e32 v58, 0x7f, v1
	v_cmpx_ne_u32_e32 0x7f, v58
	s_cbranch_execz .LBB343_88
; %bb.85:                               ;   in Loop: Header=BB343_10 Depth=1
	v_and_b32_e32 v1, 7, v1
	v_lshrrev_b32_e32 v56, 3, v58
	s_mov_b32 s41, exec_lo
	v_cmpx_gt_u32_e32 8, v58
; %bb.86:                               ;   in Loop: Header=BB343_10 Depth=1
	v_ffbh_u32_e32 v56, v1
	v_min_u32_e32 v56, 32, v56
	v_subrev_nc_u32_e32 v58, 28, v56
	v_sub_nc_u32_e32 v56, 29, v56
	v_lshlrev_b64 v[58:59], v58, v[1:2]
	v_and_b32_e32 v1, 7, v58
; %bb.87:                               ;   in Loop: Header=BB343_10 Depth=1
	s_or_b32 exec_lo, exec_lo, s41
	v_lshlrev_b32_e32 v57, 16, v57
	v_lshlrev_b32_e32 v1, 20, v1
	v_lshl_add_u32 v56, v56, 23, 0x3c000000
	v_and_b32_e32 v57, 0x80000000, v57
	v_or3_b32 v56, v1, v57, v56
.LBB343_88:                             ;   in Loop: Header=BB343_10 Depth=1
	s_or_b32 exec_lo, exec_lo, s40
.LBB343_89:                             ;   in Loop: Header=BB343_10 Depth=1
	s_or_b32 exec_lo, exec_lo, s39
.LBB343_90:                             ;   in Loop: Header=BB343_10 Depth=1
	s_or_b32 exec_lo, exec_lo, s3
	global_load_ushort v1, v[7:8], off offset:264
	v_mov_b32_e32 v58, 0
	v_mov_b32_e32 v57, 0
	s_waitcnt vmcnt(0)
	v_and_b32_e32 v59, 0xffff, v1
	v_cmp_ne_u16_sdwa s2, v1, v2 src0_sel:BYTE_0 src1_sel:DWORD
	s_and_saveexec_b32 s3, s2
	s_cbranch_execz .LBB343_98
; %bb.91:                               ;   in Loop: Header=BB343_10 Depth=1
	v_cmp_ne_u16_sdwa s2, v59, v44 src0_sel:BYTE_0 src1_sel:DWORD
	v_bfrev_b32_e32 v57, 1
	s_and_saveexec_b32 s39, s2
	s_cbranch_execz .LBB343_97
; %bb.92:                               ;   in Loop: Header=BB343_10 Depth=1
	v_and_b32_e32 v60, 0x7f, v59
	v_mov_b32_e32 v57, 0x7f800001
	s_mov_b32 s40, exec_lo
	v_cmpx_ne_u32_e32 0x7f, v60
	s_cbranch_execz .LBB343_96
; %bb.93:                               ;   in Loop: Header=BB343_10 Depth=1
	v_and_b32_e32 v1, 7, v59
	v_lshrrev_b32_e32 v57, 3, v60
	s_mov_b32 s41, exec_lo
	v_cmpx_gt_u32_e32 8, v60
; %bb.94:                               ;   in Loop: Header=BB343_10 Depth=1
	v_ffbh_u32_e32 v57, v1
	v_min_u32_e32 v57, 32, v57
	v_subrev_nc_u32_e32 v60, 28, v57
	v_sub_nc_u32_e32 v57, 29, v57
	v_lshlrev_b64 v[60:61], v60, v[1:2]
	v_and_b32_e32 v1, 7, v60
; %bb.95:                               ;   in Loop: Header=BB343_10 Depth=1
	s_or_b32 exec_lo, exec_lo, s41
	v_lshlrev_b32_e32 v60, 24, v59
	v_lshlrev_b32_e32 v1, 20, v1
	v_lshl_add_u32 v57, v57, 23, 0x3c000000
	v_and_b32_e32 v60, 0x80000000, v60
	v_or3_b32 v57, v1, v60, v57
.LBB343_96:                             ;   in Loop: Header=BB343_10 Depth=1
	s_or_b32 exec_lo, exec_lo, s40
.LBB343_97:                             ;   in Loop: Header=BB343_10 Depth=1
	s_or_b32 exec_lo, exec_lo, s39
.LBB343_98:                             ;   in Loop: Header=BB343_10 Depth=1
	s_or_b32 exec_lo, exec_lo, s3
	v_cmp_ne_u16_sdwa s2, v59, v2 src0_sel:BYTE_1 src1_sel:DWORD
	s_and_saveexec_b32 s3, s2
	s_cbranch_execz .LBB343_106
; %bb.99:                               ;   in Loop: Header=BB343_10 Depth=1
	v_cmp_ne_u16_sdwa s2, v59, v44 src0_sel:BYTE_1 src1_sel:DWORD
	v_bfrev_b32_e32 v58, 1
	s_and_saveexec_b32 s39, s2
	s_cbranch_execz .LBB343_105
; %bb.100:                              ;   in Loop: Header=BB343_10 Depth=1
	v_and_b32_sdwa v1, v45, v59 dst_sel:DWORD dst_unused:UNUSED_PAD src0_sel:DWORD src1_sel:BYTE_1
	v_mov_b32_e32 v58, 0x7f800001
	s_mov_b32 s40, exec_lo
	v_and_b32_e32 v60, 0x7f, v1
	v_cmpx_ne_u32_e32 0x7f, v60
	s_cbranch_execz .LBB343_104
; %bb.101:                              ;   in Loop: Header=BB343_10 Depth=1
	v_and_b32_e32 v1, 7, v1
	v_lshrrev_b32_e32 v58, 3, v60
	s_mov_b32 s41, exec_lo
	v_cmpx_gt_u32_e32 8, v60
; %bb.102:                              ;   in Loop: Header=BB343_10 Depth=1
	v_ffbh_u32_e32 v58, v1
	v_min_u32_e32 v58, 32, v58
	v_subrev_nc_u32_e32 v60, 28, v58
	v_sub_nc_u32_e32 v58, 29, v58
	v_lshlrev_b64 v[60:61], v60, v[1:2]
	v_and_b32_e32 v1, 7, v60
; %bb.103:                              ;   in Loop: Header=BB343_10 Depth=1
	s_or_b32 exec_lo, exec_lo, s41
	v_lshlrev_b32_e32 v59, 16, v59
	v_lshlrev_b32_e32 v1, 20, v1
	v_lshl_add_u32 v58, v58, 23, 0x3c000000
	v_and_b32_e32 v59, 0x80000000, v59
	v_or3_b32 v58, v1, v59, v58
.LBB343_104:                            ;   in Loop: Header=BB343_10 Depth=1
	s_or_b32 exec_lo, exec_lo, s40
.LBB343_105:                            ;   in Loop: Header=BB343_10 Depth=1
	s_or_b32 exec_lo, exec_lo, s39
.LBB343_106:                            ;   in Loop: Header=BB343_10 Depth=1
	s_or_b32 exec_lo, exec_lo, s3
	global_load_ushort v1, v[7:8], off offset:384
	v_mov_b32_e32 v60, 0
	v_mov_b32_e32 v59, 0
	s_waitcnt vmcnt(0)
	v_and_b32_e32 v61, 0xffff, v1
	v_cmp_ne_u16_sdwa s2, v1, v2 src0_sel:BYTE_0 src1_sel:DWORD
	s_and_saveexec_b32 s3, s2
	s_cbranch_execz .LBB343_114
; %bb.107:                              ;   in Loop: Header=BB343_10 Depth=1
	v_cmp_ne_u16_sdwa s2, v61, v44 src0_sel:BYTE_0 src1_sel:DWORD
	v_bfrev_b32_e32 v59, 1
	s_and_saveexec_b32 s39, s2
	s_cbranch_execz .LBB343_113
; %bb.108:                              ;   in Loop: Header=BB343_10 Depth=1
	v_and_b32_e32 v62, 0x7f, v61
	v_mov_b32_e32 v59, 0x7f800001
	s_mov_b32 s40, exec_lo
	v_cmpx_ne_u32_e32 0x7f, v62
	s_cbranch_execz .LBB343_112
; %bb.109:                              ;   in Loop: Header=BB343_10 Depth=1
	v_and_b32_e32 v1, 7, v61
	v_lshrrev_b32_e32 v59, 3, v62
	s_mov_b32 s41, exec_lo
	v_cmpx_gt_u32_e32 8, v62
; %bb.110:                              ;   in Loop: Header=BB343_10 Depth=1
	v_ffbh_u32_e32 v59, v1
	v_min_u32_e32 v59, 32, v59
	v_subrev_nc_u32_e32 v62, 28, v59
	v_sub_nc_u32_e32 v59, 29, v59
	v_lshlrev_b64 v[62:63], v62, v[1:2]
	v_and_b32_e32 v1, 7, v62
; %bb.111:                              ;   in Loop: Header=BB343_10 Depth=1
	s_or_b32 exec_lo, exec_lo, s41
	v_lshlrev_b32_e32 v62, 24, v61
	v_lshlrev_b32_e32 v1, 20, v1
	v_lshl_add_u32 v59, v59, 23, 0x3c000000
	v_and_b32_e32 v62, 0x80000000, v62
	v_or3_b32 v59, v1, v62, v59
.LBB343_112:                            ;   in Loop: Header=BB343_10 Depth=1
	s_or_b32 exec_lo, exec_lo, s40
.LBB343_113:                            ;   in Loop: Header=BB343_10 Depth=1
	s_or_b32 exec_lo, exec_lo, s39
.LBB343_114:                            ;   in Loop: Header=BB343_10 Depth=1
	s_or_b32 exec_lo, exec_lo, s3
	v_cmp_ne_u16_sdwa s2, v61, v2 src0_sel:BYTE_1 src1_sel:DWORD
	s_and_saveexec_b32 s3, s2
	s_cbranch_execz .LBB343_122
; %bb.115:                              ;   in Loop: Header=BB343_10 Depth=1
	v_cmp_ne_u16_sdwa s2, v61, v44 src0_sel:BYTE_1 src1_sel:DWORD
	v_bfrev_b32_e32 v60, 1
	s_and_saveexec_b32 s39, s2
	s_cbranch_execz .LBB343_121
; %bb.116:                              ;   in Loop: Header=BB343_10 Depth=1
	v_and_b32_sdwa v1, v45, v61 dst_sel:DWORD dst_unused:UNUSED_PAD src0_sel:DWORD src1_sel:BYTE_1
	v_mov_b32_e32 v60, 0x7f800001
	s_mov_b32 s40, exec_lo
	v_and_b32_e32 v62, 0x7f, v1
	v_cmpx_ne_u32_e32 0x7f, v62
	s_cbranch_execz .LBB343_120
; %bb.117:                              ;   in Loop: Header=BB343_10 Depth=1
	v_and_b32_e32 v1, 7, v1
	v_lshrrev_b32_e32 v60, 3, v62
	s_mov_b32 s41, exec_lo
	v_cmpx_gt_u32_e32 8, v62
; %bb.118:                              ;   in Loop: Header=BB343_10 Depth=1
	v_ffbh_u32_e32 v60, v1
	v_min_u32_e32 v60, 32, v60
	v_subrev_nc_u32_e32 v62, 28, v60
	v_sub_nc_u32_e32 v60, 29, v60
	v_lshlrev_b64 v[62:63], v62, v[1:2]
	v_and_b32_e32 v1, 7, v62
; %bb.119:                              ;   in Loop: Header=BB343_10 Depth=1
	s_or_b32 exec_lo, exec_lo, s41
	v_lshlrev_b32_e32 v61, 16, v61
	v_lshlrev_b32_e32 v1, 20, v1
	v_lshl_add_u32 v60, v60, 23, 0x3c000000
	v_and_b32_e32 v61, 0x80000000, v61
	v_or3_b32 v60, v1, v61, v60
.LBB343_120:                            ;   in Loop: Header=BB343_10 Depth=1
	s_or_b32 exec_lo, exec_lo, s40
.LBB343_121:                            ;   in Loop: Header=BB343_10 Depth=1
	s_or_b32 exec_lo, exec_lo, s39
.LBB343_122:                            ;   in Loop: Header=BB343_10 Depth=1
	s_or_b32 exec_lo, exec_lo, s3
	global_load_ushort v1, v[7:8], off offset:392
	v_mov_b32_e32 v62, 0
	v_mov_b32_e32 v61, 0
	s_waitcnt vmcnt(0)
	v_and_b32_e32 v63, 0xffff, v1
	v_cmp_ne_u16_sdwa s2, v1, v2 src0_sel:BYTE_0 src1_sel:DWORD
	s_and_saveexec_b32 s3, s2
	s_cbranch_execz .LBB343_130
; %bb.123:                              ;   in Loop: Header=BB343_10 Depth=1
	v_cmp_ne_u16_sdwa s2, v63, v44 src0_sel:BYTE_0 src1_sel:DWORD
	v_bfrev_b32_e32 v61, 1
	s_and_saveexec_b32 s39, s2
	s_cbranch_execz .LBB343_129
; %bb.124:                              ;   in Loop: Header=BB343_10 Depth=1
	v_and_b32_e32 v64, 0x7f, v63
	v_mov_b32_e32 v61, 0x7f800001
	s_mov_b32 s40, exec_lo
	v_cmpx_ne_u32_e32 0x7f, v64
	s_cbranch_execz .LBB343_128
; %bb.125:                              ;   in Loop: Header=BB343_10 Depth=1
	v_and_b32_e32 v1, 7, v63
	v_lshrrev_b32_e32 v61, 3, v64
	s_mov_b32 s41, exec_lo
	v_cmpx_gt_u32_e32 8, v64
; %bb.126:                              ;   in Loop: Header=BB343_10 Depth=1
	v_ffbh_u32_e32 v61, v1
	v_min_u32_e32 v61, 32, v61
	v_subrev_nc_u32_e32 v64, 28, v61
	v_sub_nc_u32_e32 v61, 29, v61
	v_lshlrev_b64 v[64:65], v64, v[1:2]
	v_and_b32_e32 v1, 7, v64
; %bb.127:                              ;   in Loop: Header=BB343_10 Depth=1
	s_or_b32 exec_lo, exec_lo, s41
	v_lshlrev_b32_e32 v64, 24, v63
	v_lshlrev_b32_e32 v1, 20, v1
	v_lshl_add_u32 v61, v61, 23, 0x3c000000
	v_and_b32_e32 v64, 0x80000000, v64
	v_or3_b32 v61, v1, v64, v61
.LBB343_128:                            ;   in Loop: Header=BB343_10 Depth=1
	s_or_b32 exec_lo, exec_lo, s40
.LBB343_129:                            ;   in Loop: Header=BB343_10 Depth=1
	s_or_b32 exec_lo, exec_lo, s39
.LBB343_130:                            ;   in Loop: Header=BB343_10 Depth=1
	s_or_b32 exec_lo, exec_lo, s3
	v_cmp_ne_u16_sdwa s2, v63, v2 src0_sel:BYTE_1 src1_sel:DWORD
	s_and_saveexec_b32 s3, s2
	s_cbranch_execz .LBB343_138
; %bb.131:                              ;   in Loop: Header=BB343_10 Depth=1
	v_cmp_ne_u16_sdwa s2, v63, v44 src0_sel:BYTE_1 src1_sel:DWORD
	v_bfrev_b32_e32 v62, 1
	s_and_saveexec_b32 s39, s2
	s_cbranch_execz .LBB343_137
; %bb.132:                              ;   in Loop: Header=BB343_10 Depth=1
	v_and_b32_sdwa v1, v45, v63 dst_sel:DWORD dst_unused:UNUSED_PAD src0_sel:DWORD src1_sel:BYTE_1
	v_mov_b32_e32 v62, 0x7f800001
	s_mov_b32 s40, exec_lo
	v_and_b32_e32 v64, 0x7f, v1
	v_cmpx_ne_u32_e32 0x7f, v64
	s_cbranch_execz .LBB343_136
; %bb.133:                              ;   in Loop: Header=BB343_10 Depth=1
	v_and_b32_e32 v1, 7, v1
	v_lshrrev_b32_e32 v62, 3, v64
	s_mov_b32 s41, exec_lo
	v_cmpx_gt_u32_e32 8, v64
; %bb.134:                              ;   in Loop: Header=BB343_10 Depth=1
	v_ffbh_u32_e32 v62, v1
	v_min_u32_e32 v62, 32, v62
	v_subrev_nc_u32_e32 v64, 28, v62
	v_sub_nc_u32_e32 v62, 29, v62
	v_lshlrev_b64 v[64:65], v64, v[1:2]
	v_and_b32_e32 v1, 7, v64
; %bb.135:                              ;   in Loop: Header=BB343_10 Depth=1
	s_or_b32 exec_lo, exec_lo, s41
	v_lshlrev_b32_e32 v63, 16, v63
	v_lshlrev_b32_e32 v1, 20, v1
	v_lshl_add_u32 v62, v62, 23, 0x3c000000
	v_and_b32_e32 v63, 0x80000000, v63
	v_or3_b32 v62, v1, v63, v62
.LBB343_136:                            ;   in Loop: Header=BB343_10 Depth=1
	s_or_b32 exec_lo, exec_lo, s40
.LBB343_137:                            ;   in Loop: Header=BB343_10 Depth=1
	s_or_b32 exec_lo, exec_lo, s39
.LBB343_138:                            ;   in Loop: Header=BB343_10 Depth=1
	s_or_b32 exec_lo, exec_lo, s3
	global_load_ushort v1, v[7:8], off offset:512
	v_mov_b32_e32 v64, 0
	v_mov_b32_e32 v63, 0
	s_waitcnt vmcnt(0)
	v_and_b32_e32 v65, 0xffff, v1
	v_cmp_ne_u16_sdwa s2, v1, v2 src0_sel:BYTE_0 src1_sel:DWORD
	s_and_saveexec_b32 s3, s2
	s_cbranch_execz .LBB343_146
; %bb.139:                              ;   in Loop: Header=BB343_10 Depth=1
	v_cmp_ne_u16_sdwa s2, v65, v44 src0_sel:BYTE_0 src1_sel:DWORD
	v_bfrev_b32_e32 v63, 1
	s_and_saveexec_b32 s39, s2
	s_cbranch_execz .LBB343_145
; %bb.140:                              ;   in Loop: Header=BB343_10 Depth=1
	v_and_b32_e32 v66, 0x7f, v65
	v_mov_b32_e32 v63, 0x7f800001
	s_mov_b32 s40, exec_lo
	v_cmpx_ne_u32_e32 0x7f, v66
	s_cbranch_execz .LBB343_144
; %bb.141:                              ;   in Loop: Header=BB343_10 Depth=1
	v_and_b32_e32 v1, 7, v65
	v_lshrrev_b32_e32 v63, 3, v66
	s_mov_b32 s41, exec_lo
	v_cmpx_gt_u32_e32 8, v66
; %bb.142:                              ;   in Loop: Header=BB343_10 Depth=1
	v_ffbh_u32_e32 v63, v1
	v_min_u32_e32 v63, 32, v63
	v_subrev_nc_u32_e32 v66, 28, v63
	v_sub_nc_u32_e32 v63, 29, v63
	v_lshlrev_b64 v[66:67], v66, v[1:2]
	v_and_b32_e32 v1, 7, v66
; %bb.143:                              ;   in Loop: Header=BB343_10 Depth=1
	s_or_b32 exec_lo, exec_lo, s41
	v_lshlrev_b32_e32 v66, 24, v65
	v_lshlrev_b32_e32 v1, 20, v1
	v_lshl_add_u32 v63, v63, 23, 0x3c000000
	v_and_b32_e32 v66, 0x80000000, v66
	v_or3_b32 v63, v1, v66, v63
.LBB343_144:                            ;   in Loop: Header=BB343_10 Depth=1
	s_or_b32 exec_lo, exec_lo, s40
.LBB343_145:                            ;   in Loop: Header=BB343_10 Depth=1
	s_or_b32 exec_lo, exec_lo, s39
.LBB343_146:                            ;   in Loop: Header=BB343_10 Depth=1
	s_or_b32 exec_lo, exec_lo, s3
	v_cmp_ne_u16_sdwa s2, v65, v2 src0_sel:BYTE_1 src1_sel:DWORD
	s_and_saveexec_b32 s3, s2
	s_cbranch_execz .LBB343_154
; %bb.147:                              ;   in Loop: Header=BB343_10 Depth=1
	v_cmp_ne_u16_sdwa s2, v65, v44 src0_sel:BYTE_1 src1_sel:DWORD
	v_bfrev_b32_e32 v64, 1
	s_and_saveexec_b32 s39, s2
	s_cbranch_execz .LBB343_153
; %bb.148:                              ;   in Loop: Header=BB343_10 Depth=1
	v_and_b32_sdwa v1, v45, v65 dst_sel:DWORD dst_unused:UNUSED_PAD src0_sel:DWORD src1_sel:BYTE_1
	v_mov_b32_e32 v64, 0x7f800001
	s_mov_b32 s40, exec_lo
	v_and_b32_e32 v66, 0x7f, v1
	v_cmpx_ne_u32_e32 0x7f, v66
	s_cbranch_execz .LBB343_152
; %bb.149:                              ;   in Loop: Header=BB343_10 Depth=1
	v_and_b32_e32 v1, 7, v1
	v_lshrrev_b32_e32 v64, 3, v66
	s_mov_b32 s41, exec_lo
	v_cmpx_gt_u32_e32 8, v66
; %bb.150:                              ;   in Loop: Header=BB343_10 Depth=1
	v_ffbh_u32_e32 v64, v1
	v_min_u32_e32 v64, 32, v64
	v_subrev_nc_u32_e32 v66, 28, v64
	v_sub_nc_u32_e32 v64, 29, v64
	v_lshlrev_b64 v[66:67], v66, v[1:2]
	v_and_b32_e32 v1, 7, v66
; %bb.151:                              ;   in Loop: Header=BB343_10 Depth=1
	s_or_b32 exec_lo, exec_lo, s41
	v_lshlrev_b32_e32 v65, 16, v65
	v_lshlrev_b32_e32 v1, 20, v1
	v_lshl_add_u32 v64, v64, 23, 0x3c000000
	v_and_b32_e32 v65, 0x80000000, v65
	v_or3_b32 v64, v1, v65, v64
.LBB343_152:                            ;   in Loop: Header=BB343_10 Depth=1
	s_or_b32 exec_lo, exec_lo, s40
.LBB343_153:                            ;   in Loop: Header=BB343_10 Depth=1
	s_or_b32 exec_lo, exec_lo, s39
.LBB343_154:                            ;   in Loop: Header=BB343_10 Depth=1
	s_or_b32 exec_lo, exec_lo, s3
	global_load_ushort v1, v[7:8], off offset:520
	v_mov_b32_e32 v66, 0
	v_mov_b32_e32 v65, 0
	s_waitcnt vmcnt(0)
	v_and_b32_e32 v67, 0xffff, v1
	v_cmp_ne_u16_sdwa s2, v1, v2 src0_sel:BYTE_0 src1_sel:DWORD
	s_and_saveexec_b32 s3, s2
	s_cbranch_execz .LBB343_162
; %bb.155:                              ;   in Loop: Header=BB343_10 Depth=1
	v_cmp_ne_u16_sdwa s2, v67, v44 src0_sel:BYTE_0 src1_sel:DWORD
	v_bfrev_b32_e32 v65, 1
	s_and_saveexec_b32 s39, s2
	s_cbranch_execz .LBB343_161
; %bb.156:                              ;   in Loop: Header=BB343_10 Depth=1
	v_and_b32_e32 v68, 0x7f, v67
	v_mov_b32_e32 v65, 0x7f800001
	s_mov_b32 s40, exec_lo
	v_cmpx_ne_u32_e32 0x7f, v68
	s_cbranch_execz .LBB343_160
; %bb.157:                              ;   in Loop: Header=BB343_10 Depth=1
	v_and_b32_e32 v1, 7, v67
	v_lshrrev_b32_e32 v65, 3, v68
	s_mov_b32 s41, exec_lo
	v_cmpx_gt_u32_e32 8, v68
; %bb.158:                              ;   in Loop: Header=BB343_10 Depth=1
	v_ffbh_u32_e32 v65, v1
	v_min_u32_e32 v65, 32, v65
	v_subrev_nc_u32_e32 v68, 28, v65
	v_sub_nc_u32_e32 v65, 29, v65
	v_lshlrev_b64 v[68:69], v68, v[1:2]
	v_and_b32_e32 v1, 7, v68
; %bb.159:                              ;   in Loop: Header=BB343_10 Depth=1
	s_or_b32 exec_lo, exec_lo, s41
	v_lshlrev_b32_e32 v68, 24, v67
	v_lshlrev_b32_e32 v1, 20, v1
	v_lshl_add_u32 v65, v65, 23, 0x3c000000
	v_and_b32_e32 v68, 0x80000000, v68
	v_or3_b32 v65, v1, v68, v65
.LBB343_160:                            ;   in Loop: Header=BB343_10 Depth=1
	s_or_b32 exec_lo, exec_lo, s40
.LBB343_161:                            ;   in Loop: Header=BB343_10 Depth=1
	s_or_b32 exec_lo, exec_lo, s39
.LBB343_162:                            ;   in Loop: Header=BB343_10 Depth=1
	s_or_b32 exec_lo, exec_lo, s3
	v_cmp_ne_u16_sdwa s2, v67, v2 src0_sel:BYTE_1 src1_sel:DWORD
	s_and_saveexec_b32 s3, s2
	s_cbranch_execz .LBB343_170
; %bb.163:                              ;   in Loop: Header=BB343_10 Depth=1
	v_cmp_ne_u16_sdwa s2, v67, v44 src0_sel:BYTE_1 src1_sel:DWORD
	v_bfrev_b32_e32 v66, 1
	s_and_saveexec_b32 s39, s2
	s_cbranch_execz .LBB343_169
; %bb.164:                              ;   in Loop: Header=BB343_10 Depth=1
	v_and_b32_sdwa v1, v45, v67 dst_sel:DWORD dst_unused:UNUSED_PAD src0_sel:DWORD src1_sel:BYTE_1
	v_mov_b32_e32 v66, 0x7f800001
	s_mov_b32 s40, exec_lo
	v_and_b32_e32 v68, 0x7f, v1
	v_cmpx_ne_u32_e32 0x7f, v68
	s_cbranch_execz .LBB343_168
; %bb.165:                              ;   in Loop: Header=BB343_10 Depth=1
	v_and_b32_e32 v1, 7, v1
	v_lshrrev_b32_e32 v66, 3, v68
	s_mov_b32 s41, exec_lo
	v_cmpx_gt_u32_e32 8, v68
; %bb.166:                              ;   in Loop: Header=BB343_10 Depth=1
	v_ffbh_u32_e32 v66, v1
	v_min_u32_e32 v66, 32, v66
	v_subrev_nc_u32_e32 v68, 28, v66
	v_sub_nc_u32_e32 v66, 29, v66
	v_lshlrev_b64 v[68:69], v68, v[1:2]
	v_and_b32_e32 v1, 7, v68
; %bb.167:                              ;   in Loop: Header=BB343_10 Depth=1
	s_or_b32 exec_lo, exec_lo, s41
	v_lshlrev_b32_e32 v67, 16, v67
	v_lshlrev_b32_e32 v1, 20, v1
	v_lshl_add_u32 v66, v66, 23, 0x3c000000
	v_and_b32_e32 v67, 0x80000000, v67
	v_or3_b32 v66, v1, v67, v66
.LBB343_168:                            ;   in Loop: Header=BB343_10 Depth=1
	s_or_b32 exec_lo, exec_lo, s40
.LBB343_169:                            ;   in Loop: Header=BB343_10 Depth=1
	s_or_b32 exec_lo, exec_lo, s39
.LBB343_170:                            ;   in Loop: Header=BB343_10 Depth=1
	s_or_b32 exec_lo, exec_lo, s3
	global_load_ushort v1, v[7:8], off offset:640
	v_mov_b32_e32 v68, 0
	v_mov_b32_e32 v67, 0
	s_waitcnt vmcnt(0)
	v_and_b32_e32 v69, 0xffff, v1
	v_cmp_ne_u16_sdwa s2, v1, v2 src0_sel:BYTE_0 src1_sel:DWORD
	s_and_saveexec_b32 s3, s2
	s_cbranch_execz .LBB343_178
; %bb.171:                              ;   in Loop: Header=BB343_10 Depth=1
	v_cmp_ne_u16_sdwa s2, v69, v44 src0_sel:BYTE_0 src1_sel:DWORD
	v_bfrev_b32_e32 v67, 1
	s_and_saveexec_b32 s39, s2
	s_cbranch_execz .LBB343_177
; %bb.172:                              ;   in Loop: Header=BB343_10 Depth=1
	v_and_b32_e32 v70, 0x7f, v69
	v_mov_b32_e32 v67, 0x7f800001
	s_mov_b32 s40, exec_lo
	v_cmpx_ne_u32_e32 0x7f, v70
	s_cbranch_execz .LBB343_176
; %bb.173:                              ;   in Loop: Header=BB343_10 Depth=1
	v_and_b32_e32 v1, 7, v69
	v_lshrrev_b32_e32 v67, 3, v70
	s_mov_b32 s41, exec_lo
	v_cmpx_gt_u32_e32 8, v70
; %bb.174:                              ;   in Loop: Header=BB343_10 Depth=1
	v_ffbh_u32_e32 v67, v1
	v_min_u32_e32 v67, 32, v67
	v_subrev_nc_u32_e32 v70, 28, v67
	v_sub_nc_u32_e32 v67, 29, v67
	v_lshlrev_b64 v[70:71], v70, v[1:2]
	v_and_b32_e32 v1, 7, v70
; %bb.175:                              ;   in Loop: Header=BB343_10 Depth=1
	s_or_b32 exec_lo, exec_lo, s41
	v_lshlrev_b32_e32 v70, 24, v69
	v_lshlrev_b32_e32 v1, 20, v1
	v_lshl_add_u32 v67, v67, 23, 0x3c000000
	v_and_b32_e32 v70, 0x80000000, v70
	v_or3_b32 v67, v1, v70, v67
.LBB343_176:                            ;   in Loop: Header=BB343_10 Depth=1
	s_or_b32 exec_lo, exec_lo, s40
.LBB343_177:                            ;   in Loop: Header=BB343_10 Depth=1
	s_or_b32 exec_lo, exec_lo, s39
.LBB343_178:                            ;   in Loop: Header=BB343_10 Depth=1
	s_or_b32 exec_lo, exec_lo, s3
	v_cmp_ne_u16_sdwa s2, v69, v2 src0_sel:BYTE_1 src1_sel:DWORD
	s_and_saveexec_b32 s3, s2
	s_cbranch_execz .LBB343_186
; %bb.179:                              ;   in Loop: Header=BB343_10 Depth=1
	v_cmp_ne_u16_sdwa s2, v69, v44 src0_sel:BYTE_1 src1_sel:DWORD
	v_bfrev_b32_e32 v68, 1
	s_and_saveexec_b32 s39, s2
	s_cbranch_execz .LBB343_185
; %bb.180:                              ;   in Loop: Header=BB343_10 Depth=1
	v_and_b32_sdwa v1, v45, v69 dst_sel:DWORD dst_unused:UNUSED_PAD src0_sel:DWORD src1_sel:BYTE_1
	v_mov_b32_e32 v68, 0x7f800001
	s_mov_b32 s40, exec_lo
	v_and_b32_e32 v70, 0x7f, v1
	v_cmpx_ne_u32_e32 0x7f, v70
	s_cbranch_execz .LBB343_184
; %bb.181:                              ;   in Loop: Header=BB343_10 Depth=1
	v_and_b32_e32 v1, 7, v1
	v_lshrrev_b32_e32 v68, 3, v70
	s_mov_b32 s41, exec_lo
	v_cmpx_gt_u32_e32 8, v70
; %bb.182:                              ;   in Loop: Header=BB343_10 Depth=1
	v_ffbh_u32_e32 v68, v1
	v_min_u32_e32 v68, 32, v68
	v_subrev_nc_u32_e32 v70, 28, v68
	v_sub_nc_u32_e32 v68, 29, v68
	v_lshlrev_b64 v[70:71], v70, v[1:2]
	v_and_b32_e32 v1, 7, v70
; %bb.183:                              ;   in Loop: Header=BB343_10 Depth=1
	s_or_b32 exec_lo, exec_lo, s41
	v_lshlrev_b32_e32 v69, 16, v69
	v_lshlrev_b32_e32 v1, 20, v1
	v_lshl_add_u32 v68, v68, 23, 0x3c000000
	v_and_b32_e32 v69, 0x80000000, v69
	v_or3_b32 v68, v1, v69, v68
.LBB343_184:                            ;   in Loop: Header=BB343_10 Depth=1
	s_or_b32 exec_lo, exec_lo, s40
.LBB343_185:                            ;   in Loop: Header=BB343_10 Depth=1
	s_or_b32 exec_lo, exec_lo, s39
.LBB343_186:                            ;   in Loop: Header=BB343_10 Depth=1
	s_or_b32 exec_lo, exec_lo, s3
	global_load_ushort v1, v[7:8], off offset:648
	v_mov_b32_e32 v7, 0
	v_mov_b32_e32 v69, 0
	s_waitcnt vmcnt(0)
	v_and_b32_e32 v8, 0xffff, v1
	v_cmp_ne_u16_sdwa s2, v1, v2 src0_sel:BYTE_0 src1_sel:DWORD
	s_and_saveexec_b32 s3, s2
	s_cbranch_execz .LBB343_194
; %bb.187:                              ;   in Loop: Header=BB343_10 Depth=1
	v_cmp_ne_u16_sdwa s2, v8, v44 src0_sel:BYTE_0 src1_sel:DWORD
	v_bfrev_b32_e32 v69, 1
	s_and_saveexec_b32 s39, s2
	s_cbranch_execz .LBB343_193
; %bb.188:                              ;   in Loop: Header=BB343_10 Depth=1
	v_and_b32_e32 v70, 0x7f, v8
	v_mov_b32_e32 v69, 0x7f800001
	s_mov_b32 s40, exec_lo
	v_cmpx_ne_u32_e32 0x7f, v70
	s_cbranch_execz .LBB343_192
; %bb.189:                              ;   in Loop: Header=BB343_10 Depth=1
	v_and_b32_e32 v1, 7, v8
	v_lshrrev_b32_e32 v69, 3, v70
	s_mov_b32 s41, exec_lo
	v_cmpx_gt_u32_e32 8, v70
; %bb.190:                              ;   in Loop: Header=BB343_10 Depth=1
	v_ffbh_u32_e32 v69, v1
	v_min_u32_e32 v69, 32, v69
	v_subrev_nc_u32_e32 v70, 28, v69
	v_sub_nc_u32_e32 v69, 29, v69
	v_lshlrev_b64 v[70:71], v70, v[1:2]
	v_and_b32_e32 v1, 7, v70
; %bb.191:                              ;   in Loop: Header=BB343_10 Depth=1
	s_or_b32 exec_lo, exec_lo, s41
	v_lshlrev_b32_e32 v70, 24, v8
	v_lshlrev_b32_e32 v1, 20, v1
	v_lshl_add_u32 v69, v69, 23, 0x3c000000
	v_and_b32_e32 v70, 0x80000000, v70
	v_or3_b32 v69, v1, v70, v69
.LBB343_192:                            ;   in Loop: Header=BB343_10 Depth=1
	s_or_b32 exec_lo, exec_lo, s40
.LBB343_193:                            ;   in Loop: Header=BB343_10 Depth=1
	s_or_b32 exec_lo, exec_lo, s39
.LBB343_194:                            ;   in Loop: Header=BB343_10 Depth=1
	s_or_b32 exec_lo, exec_lo, s3
	v_cmp_ne_u16_sdwa s2, v8, v2 src0_sel:BYTE_1 src1_sel:DWORD
	s_and_saveexec_b32 s3, s2
	s_cbranch_execz .LBB343_202
; %bb.195:                              ;   in Loop: Header=BB343_10 Depth=1
	v_cmp_ne_u16_sdwa s2, v8, v44 src0_sel:BYTE_1 src1_sel:DWORD
	v_bfrev_b32_e32 v7, 1
	s_and_saveexec_b32 s39, s2
	s_cbranch_execz .LBB343_201
; %bb.196:                              ;   in Loop: Header=BB343_10 Depth=1
	v_and_b32_sdwa v1, v45, v8 dst_sel:DWORD dst_unused:UNUSED_PAD src0_sel:DWORD src1_sel:BYTE_1
	v_mov_b32_e32 v7, 0x7f800001
	s_mov_b32 s40, exec_lo
	v_and_b32_e32 v70, 0x7f, v1
	v_cmpx_ne_u32_e32 0x7f, v70
	s_cbranch_execz .LBB343_200
; %bb.197:                              ;   in Loop: Header=BB343_10 Depth=1
	v_and_b32_e32 v1, 7, v1
	v_lshrrev_b32_e32 v7, 3, v70
	s_mov_b32 s41, exec_lo
	v_cmpx_gt_u32_e32 8, v70
; %bb.198:                              ;   in Loop: Header=BB343_10 Depth=1
	v_ffbh_u32_e32 v7, v1
	v_min_u32_e32 v7, 32, v7
	v_subrev_nc_u32_e32 v70, 28, v7
	v_sub_nc_u32_e32 v7, 29, v7
	v_lshlrev_b64 v[70:71], v70, v[1:2]
	v_and_b32_e32 v1, 7, v70
; %bb.199:                              ;   in Loop: Header=BB343_10 Depth=1
	s_or_b32 exec_lo, exec_lo, s41
	v_lshlrev_b32_e32 v8, 16, v8
	v_lshlrev_b32_e32 v1, 20, v1
	v_lshl_add_u32 v7, v7, 23, 0x3c000000
	v_and_b32_e32 v8, 0x80000000, v8
	v_or3_b32 v7, v1, v8, v7
.LBB343_200:                            ;   in Loop: Header=BB343_10 Depth=1
	s_or_b32 exec_lo, exec_lo, s40
.LBB343_201:                            ;   in Loop: Header=BB343_10 Depth=1
	s_or_b32 exec_lo, exec_lo, s39
.LBB343_202:                            ;   in Loop: Header=BB343_10 Depth=1
	s_or_b32 exec_lo, exec_lo, s3
	v_mul_f32_e32 v68, s4, v68
	v_mul_f32_e32 v8, s4, v67
	;; [unrolled: 1-line block ×5, first 2 shown]
	v_bfe_u32 v66, v68, 16, 1
	v_or_b32_e32 v71, 0x400000, v68
	v_cmp_u_f32_e64 s2, v68, v68
	v_bfe_u32 v74, v67, 16, 1
	v_bfe_u32 v75, v73, 16, 1
	v_add3_u32 v72, v66, v68, 0x7fff
	v_bfe_u32 v79, v77, 16, 1
	v_mul_f32_e32 v80, s4, v59
	v_mul_f32_e32 v54, s4, v54
	;; [unrolled: 1-line block ×3, first 2 shown]
	v_cndmask_b32_e64 v68, v72, v71, s2
	v_mul_f32_e32 v71, s4, v64
	v_mul_f32_e32 v72, s4, v63
	v_add3_u32 v64, v74, v67, 0x7fff
	v_add3_u32 v74, v75, v73, 0x7fff
	v_or_b32_e32 v75, 0x400000, v73
	v_bfe_u32 v76, v71, 16, 1
	v_bfe_u32 v78, v72, 16, 1
	v_cmp_u_f32_e64 s2, v73, v73
	v_bfe_u32 v85, v54, 16, 1
	v_or_b32_e32 v88, 0x400000, v54
	v_add3_u32 v73, v76, v71, 0x7fff
	v_mul_f32_e32 v76, s4, v60
	v_cndmask_b32_e64 v62, v74, v75, s2
	v_add3_u32 v75, v78, v72, 0x7fff
	v_add3_u32 v78, v79, v77, 0x7fff
	v_or_b32_e32 v79, 0x400000, v77
	v_bfe_u32 v82, v76, 16, 1
	v_cmp_u_f32_e64 s2, v77, v77
	v_mul_f32_e32 v77, s4, v58
	v_add3_u32 v85, v85, v54, 0x7fff
	v_mul_f32_e32 v49, s4, v49
	v_bfe_u32 v89, v50, 16, 1
	v_cndmask_b32_e64 v59, v78, v79, s2
	v_add3_u32 v79, v82, v76, 0x7fff
	v_bfe_u32 v82, v77, 16, 1
	v_or_b32_e32 v84, 0x400000, v77
	v_cmp_u_f32_e64 s2, v77, v77
	v_mul_f32_e32 v48, s4, v48
	v_mul_f32_e32 v47, s4, v47
	v_add3_u32 v82, v82, v77, 0x7fff
	v_mul_f32_e32 v52, s4, v52
	v_mul_f32_e32 v51, s4, v51
	;; [unrolled: 1-line block ×4, first 2 shown]
	v_cndmask_b32_e64 v77, v82, v84, s2
	v_cmp_u_f32_e64 s2, v54, v54
	v_bfe_u32 v82, v49, 16, 1
	v_add3_u32 v84, v89, v50, 0x7fff
	v_bfe_u32 v89, v48, 16, 1
	v_mul_f32_e32 v56, s4, v56
	v_cndmask_b32_e64 v54, v85, v88, s2
	v_or_b32_e32 v85, 0x400000, v50
	v_cmp_u_f32_e64 s2, v50, v50
	v_add3_u32 v82, v82, v49, 0x7fff
	v_or_b32_e32 v88, 0x400000, v49
	v_mul_f32_e32 v57, s4, v57
	v_bfe_u32 v87, v56, 16, 1
	v_cndmask_b32_e64 v50, v84, v85, s2
	v_cmp_u_f32_e64 s2, v49, v49
	v_add3_u32 v85, v89, v48, 0x7fff
	v_bfe_u32 v84, v52, 16, 1
	v_bfe_u32 v89, v55, 16, 1
	v_and_b32_e32 v50, 0xffff0000, v50
	v_cndmask_b32_e64 v49, v82, v88, s2
	v_bfe_u32 v82, v47, 16, 1
	v_or_b32_e32 v88, 0x400000, v48
	v_cmp_u_f32_e64 s2, v48, v48
	v_add3_u32 v84, v84, v52, 0x7fff
	v_and_b32_e32 v49, 0xffff0000, v49
	v_add3_u32 v82, v82, v47, 0x7fff
	v_mul_f32_e32 v50, v17, v50
	v_cndmask_b32_e64 v48, v85, v88, s2
	v_or_b32_e32 v85, 0x400000, v47
	v_cmp_u_f32_e64 s2, v47, v47
	v_or_b32_e32 v88, 0x400000, v52
	v_mul_f32_e32 v49, v16, v49
	v_and_b32_e32 v48, 0xffff0000, v48
	v_bfe_u32 v86, v57, 16, 1
	v_cndmask_b32_e64 v47, v82, v85, s2
	v_bfe_u32 v82, v51, 16, 1
	v_cmp_u_f32_e64 s2, v52, v52
	v_or_b32_e32 v85, 0x400000, v51
	v_fmac_f32_e32 v50, v15, v48
	v_and_b32_e32 v47, 0xffff0000, v47
	v_add3_u32 v82, v82, v51, 0x7fff
	v_cndmask_b32_e64 v52, v84, v88, s2
	v_cmp_u_f32_e64 s2, v51, v51
	v_add3_u32 v88, v89, v55, 0x7fff
	v_fmac_f32_e32 v49, v13, v47
	v_or_b32_e32 v47, 0x400000, v55
	v_and_b32_e32 v48, 0xffff0000, v52
	v_cndmask_b32_e64 v51, v82, v85, s2
	v_bfe_u32 v82, v53, 16, 1
	v_or_b32_e32 v85, 0x400000, v53
	v_cmp_u_f32_e64 s2, v53, v53
	v_add3_u32 v87, v87, v56, 0x7fff
	v_or_b32_e32 v84, 0x400000, v56
	v_add3_u32 v82, v82, v53, 0x7fff
	v_mul_f32_e32 v61, s4, v61
	v_bfe_u32 v78, v80, 16, 1
	v_add3_u32 v86, v86, v57, 0x7fff
	v_and_b32_e32 v51, 0xffff0000, v51
	v_cndmask_b32_e64 v52, v82, v85, s2
	v_cmp_u_f32_e64 s2, v55, v55
	v_fmac_f32_e32 v49, v18, v48
	v_or_b32_e32 v53, 0x400000, v57
	v_bfe_u32 v81, v61, 16, 1
	v_and_b32_e32 v48, 0xffff0000, v52
	v_cndmask_b32_e64 v47, v88, v47, s2
	v_cmp_u_f32_e64 s2, v56, v56
	v_add3_u32 v78, v78, v80, 0x7fff
	v_or_b32_e32 v83, 0x400000, v80
	v_fmac_f32_e32 v50, v19, v51
	v_and_b32_e32 v51, 0xffff0000, v54
	v_cndmask_b32_e64 v52, v87, v84, s2
	v_cmp_u_f32_e64 s2, v57, v57
	v_fmac_f32_e32 v49, v20, v48
	v_add3_u32 v58, v81, v61, 0x7fff
	v_or_b32_e32 v81, 0x400000, v76
	v_fmac_f32_e32 v50, v21, v51
	v_cndmask_b32_e64 v48, v86, v53, s2
	v_cmp_u_f32_e64 s2, v80, v80
	v_and_b32_e32 v47, 0xffff0000, v47
	v_and_b32_e32 v51, 0xffff0000, v52
	v_or_b32_e32 v53, 0x400000, v61
	v_or_b32_e32 v60, 0x400000, v72
	v_cndmask_b32_e64 v52, v78, v83, s2
	v_cmp_u_f32_e64 s2, v76, v76
	v_fmac_f32_e32 v49, v23, v47
	v_and_b32_e32 v47, 0xffff0000, v48
	v_fmac_f32_e32 v50, v24, v51
	v_and_b32_e32 v48, 0xffff0000, v77
	v_cndmask_b32_e64 v51, v79, v81, s2
	v_cmp_u_f32_e64 s2, v61, v61
	v_mul_f32_e32 v1, s4, v69
	v_or_b32_e32 v74, 0x400000, v71
	v_fmac_f32_e32 v50, v26, v48
	v_and_b32_e32 v48, 0xffff0000, v51
	v_cndmask_b32_e64 v51, v58, v53, s2
	v_cmp_u_f32_e64 s2, v72, v72
	v_fmac_f32_e32 v49, v25, v47
	v_and_b32_e32 v47, 0xffff0000, v52
	v_bfe_u32 v69, v1, 16, 1
	v_bfe_u32 v70, v8, 16, 1
	v_cndmask_b32_e64 v52, v75, v60, s2
	v_cmp_u_f32_e64 s2, v71, v71
	v_or_b32_e32 v63, 0x400000, v67
	v_fmac_f32_e32 v49, v27, v47
	v_fmac_f32_e32 v50, v28, v48
	v_and_b32_e32 v47, 0xffff0000, v51
	v_and_b32_e32 v48, 0xffff0000, v59
	v_cndmask_b32_e64 v51, v73, v74, s2
	v_cmp_u_f32_e64 s2, v67, v67
	v_add3_u32 v66, v69, v1, 0x7fff
	v_add3_u32 v69, v70, v8, 0x7fff
	v_or_b32_e32 v70, 0x400000, v8
	v_mul_f32_e32 v7, s4, v7
	v_fmac_f32_e32 v50, v30, v48
	v_and_b32_e32 v48, 0xffff0000, v51
	v_cndmask_b32_e64 v51, v64, v63, s2
	v_cmp_u_f32_e64 s2, v8, v8
	v_or_b32_e32 v65, 0x400000, v1
	v_fmac_f32_e32 v49, v29, v47
	v_and_b32_e32 v47, 0xffff0000, v52
	v_bfe_u32 v52, v7, 16, 1
	v_cndmask_b32_e64 v8, v69, v70, s2
	v_cmp_u_f32_e64 s2, v1, v1
	v_fmac_f32_e32 v50, v32, v48
	v_fmac_f32_e32 v49, v31, v47
	v_and_b32_e32 v47, 0xffff0000, v62
	v_and_b32_e32 v48, 0xffff0000, v51
	v_add3_u32 v51, v52, v7, 0x7fff
	v_or_b32_e32 v52, 0x400000, v7
	v_cndmask_b32_e64 v1, v66, v65, s2
	v_cmp_u_f32_e64 s2, v7, v7
	v_fmac_f32_e32 v49, v33, v47
	v_fmac_f32_e32 v50, v34, v48
	v_and_b32_e32 v8, 0xffff0000, v8
	v_and_b32_e32 v47, 0xffff0000, v68
	v_cndmask_b32_e64 v7, v51, v52, s2
	v_and_b32_e32 v1, 0xffff0000, v1
	v_fmac_f32_e32 v49, v35, v8
	v_fmac_f32_e32 v50, v36, v47
	v_and_b32_e32 v7, 0xffff0000, v7
	v_fmac_f32_e32 v49, v38, v1
	v_fmac_f32_e32 v50, v39, v7
	v_add_f32_e32 v1, v49, v50
	ds_bpermute_b32 v7, v40, v1
	s_waitcnt lgkmcnt(0)
	v_add_f32_e32 v1, v1, v7
	ds_bpermute_b32 v7, v41, v1
	s_and_saveexec_b32 s3, vcc_lo
	s_cbranch_execz .LBB343_9
; %bb.203:                              ;   in Loop: Header=BB343_10 Depth=1
	v_add_nc_u32_e32 v8, s5, v42
	s_waitcnt lgkmcnt(0)
	v_add_f32_e32 v1, v1, v7
	v_cmp_gt_i32_e64 s2, s27, v42
	v_cvt_f32_i32_e32 v8, v8
	v_mul_f32_e32 v8, s36, v8
	v_cndmask_b32_e64 v7, 0, v8, s1
	v_max_f32_e32 v8, v37, v37
	v_fmac_f32_e32 v7, s37, v1
	v_max_f32_e32 v1, v8, v7
	v_cndmask_b32_e64 v7, 0, v7, s2
	v_cndmask_b32_e64 v37, v37, v1, s2
	ds_write_b32 v43, v7
	s_branch .LBB343_9
.LBB343_204:
	s_or_b32 exec_lo, exec_lo, s16
.LBB343_205:
	s_or_b32 exec_lo, exec_lo, s38
	v_xor_b32_e32 v1, 16, v11
	v_xor_b32_e32 v4, 8, v11
	v_max_f32_e32 v5, v37, v37
	v_xor_b32_e32 v6, 4, v11
	v_and_b32_e32 v23, 31, v0
	v_cmp_lt_i32_e32 vcc_lo, v1, v12
	v_cndmask_b32_e32 v1, v11, v1, vcc_lo
	v_cmp_lt_i32_e32 vcc_lo, v4, v12
	v_lshlrev_b32_e32 v3, 2, v1
	v_cndmask_b32_e32 v4, v11, v4, vcc_lo
	v_cmp_lt_i32_e32 vcc_lo, v6, v12
	ds_bpermute_b32 v1, v3, v37
	v_lshlrev_b32_e32 v4, 2, v4
	v_cndmask_b32_e32 v6, v11, v6, vcc_lo
	v_cmp_eq_u32_e32 vcc_lo, 0, v23
	s_waitcnt lgkmcnt(0)
	v_lshlrev_b32_e32 v7, 2, v6
	v_max_f32_e32 v1, v1, v1
	v_max_f32_e32 v1, v5, v1
	ds_bpermute_b32 v5, v4, v1
	s_waitcnt lgkmcnt(0)
	v_max_f32_e32 v5, v5, v5
	v_max_f32_e32 v1, v1, v5
	v_lshlrev_b32_e32 v5, 2, v22
	ds_bpermute_b32 v6, v7, v1
	s_and_saveexec_b32 s1, vcc_lo
	s_cbranch_execz .LBB343_207
; %bb.206:
	s_waitcnt lgkmcnt(0)
	v_max_f32_e32 v6, v6, v6
	v_max_f32_e32 v1, v1, v1
	;; [unrolled: 1-line block ×3, first 2 shown]
	ds_write_b32 v5, v1 offset:192
.LBB343_207:
	s_or_b32 exec_lo, exec_lo, s1
	v_cmp_gt_u32_e64 s1, 4, v23
	v_mov_b32_e32 v1, 0xff7fffff
	s_waitcnt lgkmcnt(0)
	v_lshlrev_b32_e32 v6, 2, v23
	s_barrier
	buffer_gl0_inv
	s_and_saveexec_b32 s2, s1
; %bb.208:
	ds_read_b32 v1, v6 offset:192
; %bb.209:
	s_or_b32 exec_lo, exec_lo, s2
	v_xor_b32_e32 v8, 2, v11
	v_xor_b32_e32 v15, 1, v11
	v_lshlrev_b32_e32 v2, 2, v2
	v_cmp_lt_i32_e64 s2, v8, v12
	v_cndmask_b32_e64 v8, v11, v8, s2
	v_cmp_lt_i32_e64 s2, v15, v12
	v_lshlrev_b32_e32 v8, 2, v8
	v_cndmask_b32_e64 v12, v11, v15, s2
	s_sub_i32 s2, s11, s15
	s_lshl_b32 s2, s2, 3
	s_waitcnt lgkmcnt(0)
	ds_bpermute_b32 v13, v8, v1
	v_max_f32_e32 v1, v1, v1
	v_lshlrev_b32_e32 v12, 2, v12
	s_add_i32 s2, s2, s33
	s_min_i32 s2, s2, s27
	s_sub_i32 s4, s2, s33
	v_cmp_gt_i32_e64 s2, s4, v0
	s_waitcnt lgkmcnt(0)
	v_max_f32_e32 v13, v13, v13
	v_max_f32_e32 v1, v1, v13
	ds_bpermute_b32 v13, v12, v1
	s_waitcnt lgkmcnt(0)
	v_max_f32_e32 v13, v13, v13
	v_max_f32_e32 v1, v1, v13
	v_mov_b32_e32 v13, 0
	ds_bpermute_b32 v1, v2, v1
	v_lshl_add_u32 v2, v0, 2, 0xe0
	s_and_saveexec_b32 s5, s2
	s_cbranch_execz .LBB343_213
; %bb.210:
	v_lshl_add_u32 v15, v0, 2, 0xe0
	v_mov_b32_e32 v13, 0
	v_mov_b32_e32 v16, v0
	s_mov_b32 s15, 0
	.p2align	6
.LBB343_211:                            ; =>This Inner Loop Header: Depth=1
	ds_read_b32 v17, v15
	v_add_nc_u32_e32 v16, 0x80, v16
	v_cmp_le_i32_e64 s3, s4, v16
	s_or_b32 s15, s3, s15
	s_waitcnt lgkmcnt(0)
	v_sub_f32_e32 v17, v17, v1
	v_mul_f32_e32 v17, 0x3fb8aa3b, v17
	v_exp_f32_e32 v17, v17
	ds_write_b32 v15, v17
	v_add_f32_e32 v13, v13, v17
	v_add_nc_u32_e32 v15, 0x200, v15
	s_andn2_b32 exec_lo, exec_lo, s15
	s_cbranch_execnz .LBB343_211
; %bb.212:
	s_or_b32 exec_lo, exec_lo, s15
.LBB343_213:
	s_or_b32 exec_lo, exec_lo, s5
	ds_bpermute_b32 v3, v3, v13
	s_waitcnt lgkmcnt(0)
	v_add_f32_e32 v3, v13, v3
	ds_bpermute_b32 v4, v4, v3
	s_waitcnt lgkmcnt(0)
	v_add_f32_e32 v3, v3, v4
	;; [unrolled: 3-line block ×5, first 2 shown]
	s_and_saveexec_b32 s3, vcc_lo
; %bb.214:
	ds_write_b32 v5, v3 offset:208
; %bb.215:
	s_or_b32 exec_lo, exec_lo, s3
	s_waitcnt lgkmcnt(0)
	s_barrier
	buffer_gl0_inv
	s_and_saveexec_b32 s3, s1
; %bb.216:
	ds_read_b32 v3, v6 offset:208
; %bb.217:
	s_or_b32 exec_lo, exec_lo, s3
	s_waitcnt lgkmcnt(0)
	ds_bpermute_b32 v4, v8, v3
	v_lshlrev_b32_e32 v5, 2, v11
	s_waitcnt lgkmcnt(0)
	v_add_f32_e32 v3, v3, v4
	ds_bpermute_b32 v4, v12, v3
	s_waitcnt lgkmcnt(0)
	v_add_f32_e32 v3, v3, v4
	v_and_b32_e32 v4, 0xffffff80, v5
	ds_bpermute_b32 v3, v4, v3
	s_and_saveexec_b32 s1, s2
	s_cbranch_execz .LBB343_220
; %bb.218:
	s_waitcnt lgkmcnt(0)
	v_add_f32_e32 v4, 0x358637bd, v3
	s_mov_b32 s2, 0
	v_div_scale_f32 v5, null, v4, v4, 1.0
	v_div_scale_f32 v8, vcc_lo, 1.0, v4, 1.0
	v_rcp_f32_e32 v6, v5
	v_fma_f32 v7, -v5, v6, 1.0
	v_fmac_f32_e32 v6, v7, v6
	v_mul_f32_e32 v7, v8, v6
	v_fma_f32 v11, -v5, v7, v8
	v_fmac_f32_e32 v7, v11, v6
	v_fma_f32 v5, -v5, v7, v8
	v_div_fmas_f32 v5, v5, v6, v7
	v_div_fixup_f32 v4, v5, v4, 1.0
	v_mov_b32_e32 v5, v0
.LBB343_219:                            ; =>This Inner Loop Header: Depth=1
	ds_read_b32 v6, v2
	v_add_nc_u32_e32 v5, 0x80, v5
	v_cmp_le_i32_e32 vcc_lo, s4, v5
	s_or_b32 s2, vcc_lo, s2
	s_waitcnt lgkmcnt(0)
	v_mul_f32_e32 v6, v4, v6
	ds_write_b32 v2, v6
	v_add_nc_u32_e32 v2, 0x200, v2
	s_andn2_b32 exec_lo, exec_lo, s2
	s_cbranch_execnz .LBB343_219
.LBB343_220:
	s_or_b32 exec_lo, exec_lo, s1
	s_mul_i32 s1, s7, s26
	s_waitcnt lgkmcnt(0)
	s_mul_i32 s2, s1, s9
	s_mov_b32 s1, exec_lo
	s_barrier
	buffer_gl0_inv
	v_cmpx_eq_u32_e32 0, v0
	s_cbranch_execz .LBB343_222
; %bb.221:
	s_ashr_i32 s3, s2, 31
	s_mul_i32 s16, s7, s6
	s_lshl_b64 s[4:5], s[2:3], 2
	v_mov_b32_e32 v2, 0
	s_add_u32 s3, s22, s4
	s_addc_u32 s6, s23, s5
	s_ashr_i32 s17, s16, 31
	s_lshl_b64 s[16:17], s[16:17], 2
	s_add_u32 s3, s3, s16
	s_addc_u32 s6, s6, s17
	s_ashr_i32 s9, s8, 31
	s_lshl_b64 s[22:23], s[8:9], 2
	s_add_u32 s36, s3, s22
	s_addc_u32 s37, s6, s23
	s_add_u32 s3, s20, s4
	s_addc_u32 s4, s21, s5
	s_add_u32 s3, s3, s16
	s_addc_u32 s5, s4, s17
	s_add_u32 s4, s3, s22
	s_addc_u32 s5, s5, s23
	global_store_dword v2, v1, s[36:37]
	global_store_dword v2, v3, s[4:5]
.LBB343_222:
	s_or_b32 exec_lo, exec_lo, s1
	v_mov_b32_e32 v26, 0
	v_mov_b32_e32 v25, 0
	;; [unrolled: 1-line block ×3, first 2 shown]
	s_and_saveexec_b32 s1, s0
	s_cbranch_execz .LBB343_412
; %bb.223:
	s_load_dword s6, s[18:19], 0x0
	v_lshlrev_b32_e32 v1, 3, v23
	s_ashr_i32 s0, s14, 31
	s_add_u32 s4, s34, s14
	s_addc_u32 s0, s35, s0
	s_add_i32 s12, s12, -1
	v_add_co_u32 v12, s4, s4, v1
	v_lshlrev_b64 v[1:2], 2, v[9:10]
	v_add_co_ci_u32_e64 v13, null, s0, 0, s4
	s_lshl_b64 s[4:5], s[30:31], 2
	v_add3_u32 v27, s33, v14, 7
	s_add_u32 s0, s28, s4
	s_addc_u32 s4, s29, s5
	v_add_co_u32 v14, vcc_lo, s0, v1
	v_mov_b32_e32 v11, 0
	v_lshl_add_u32 v28, v22, 5, 0xe0
	v_add_co_ci_u32_e64 v15, null, s4, v2, vcc_lo
	v_mov_b32_e32 v29, 0x80
	v_mov_b32_e32 v30, 0xffff
	v_mov_b32_e32 v31, 0xff
	v_mov_b32_e32 v32, 7
	v_mov_b32_e32 v33, 24
	v_mov_b32_e32 v24, 0
	v_mov_b32_e32 v25, 0
	v_mov_b32_e32 v26, 0
	s_mov_b32 s4, -1
	s_mov_b32 s3, s13
	s_mov_b32 s5, 0xffffff
	;; [unrolled: 1-line block ×3, first 2 shown]
	s_branch .LBB343_225
.LBB343_224:                            ;   in Loop: Header=BB343_225 Depth=1
	s_or_b32 exec_lo, exec_lo, s0
	v_bfe_u32 v42, v5, 16, 1
	v_bfe_u32 v43, v6, 16, 1
	v_or_b32_e32 v44, 0x400000, v5
	v_cmp_u_f32_e32 vcc_lo, v5, v5
	v_or_b32_e32 v45, 0x400000, v6
	v_add3_u32 v42, v42, v5, 0x7fff
	v_bfe_u32 v46, v7, 16, 1
	v_add3_u32 v43, v43, v6, 0x7fff
	v_bfe_u32 v47, v8, 16, 1
	v_lshlrev_b32_e32 v21, 16, v21
	v_cndmask_b32_e32 v5, v42, v44, vcc_lo
	v_cmp_u_f32_e32 vcc_lo, v6, v6
	v_add3_u32 v42, v46, v7, 0x7fff
	v_bfe_u32 v44, v1, 16, 1
	v_or_b32_e32 v46, 0x400000, v8
	v_and_b32_e32 v5, 0xffff0000, v5
	v_cndmask_b32_e32 v6, v43, v45, vcc_lo
	v_or_b32_e32 v43, 0x400000, v7
	v_cmp_u_f32_e32 vcc_lo, v7, v7
	v_add3_u32 v45, v47, v8, 0x7fff
	v_lshlrev_b32_e32 v20, 16, v20
	v_lshlrev_b32_e32 v50, 16, v50
	v_lshlrev_b32_e32 v49, 16, v49
	v_cndmask_b32_e32 v7, v42, v43, vcc_lo
	v_cmp_u_f32_e32 vcc_lo, v8, v8
	v_add3_u32 v42, v44, v1, 0x7fff
	v_or_b32_e32 v43, 0x400000, v1
	v_bfe_u32 v44, v2, 16, 1
	v_and_b32_e32 v7, 0xffff0000, v7
	v_cndmask_b32_e32 v8, v45, v46, vcc_lo
	v_cmp_u_f32_e32 vcc_lo, v1, v1
	v_and_b32_e32 v1, 0xffff0000, v6
	v_lshlrev_b32_e32 v6, 16, v54
	v_add3_u32 v44, v44, v2, 0x7fff
	v_or_b32_e32 v45, 0x400000, v2
	v_cndmask_b32_e32 v42, v42, v43, vcc_lo
	v_bfe_u32 v43, v3, 16, 1
	v_mul_f32_e32 v6, v1, v6
	v_cmp_u_f32_e32 vcc_lo, v2, v2
	v_or_b32_e32 v46, 0x400000, v3
	v_and_b32_e32 v42, 0xffff0000, v42
	v_add3_u32 v43, v43, v3, 0x7fff
	v_or_b32_e32 v48, 0x400000, v6
	v_cndmask_b32_e32 v2, v44, v45, vcc_lo
	v_bfe_u32 v44, v4, 16, 1
	v_cmp_u_f32_e32 vcc_lo, v3, v3
	v_bfe_u32 v3, v6, 16, 1
	v_lshlrev_b32_e32 v45, 16, v53
	v_and_b32_e32 v2, 0xffff0000, v2
	v_add3_u32 v44, v44, v4, 0x7fff
	v_cndmask_b32_e32 v43, v43, v46, vcc_lo
	v_or_b32_e32 v46, 0x400000, v4
	v_add3_u32 v47, v3, v6, 0x7fff
	v_mul_f32_e32 v45, v5, v45
	v_and_b32_e32 v3, 0xffff0000, v8
	v_lshlrev_b32_e32 v8, 16, v51
	v_cmp_u_f32_e32 vcc_lo, v4, v4
	v_mul_f32_e32 v21, v2, v21
	v_mul_f32_e32 v20, v42, v20
	v_and_b32_e32 v43, 0xffff0000, v43
	v_mul_f32_e32 v8, v3, v8
	v_cndmask_b32_e32 v4, v44, v46, vcc_lo
	v_cmp_u_f32_e32 vcc_lo, v6, v6
	v_bfe_u32 v44, v45, 16, 1
	v_lshlrev_b32_e32 v46, 16, v52
	v_bfe_u32 v51, v21, 16, 1
	v_and_b32_e32 v4, 0xffff0000, v4
	v_cndmask_b32_e32 v6, v47, v48, vcc_lo
	v_add3_u32 v44, v44, v45, 0x7fff
	v_or_b32_e32 v47, 0x400000, v45
	v_bfe_u32 v48, v8, 16, 1
	v_mul_f32_e32 v46, v7, v46
	v_cmp_u_f32_e32 vcc_lo, v45, v45
	v_bfe_u32 v52, v20, 16, 1
	v_and_b32_e32 v6, 0xffff0000, v6
	v_add3_u32 v45, v48, v8, 0x7fff
	v_bfe_u32 v48, v46, 16, 1
	v_cndmask_b32_e32 v44, v44, v47, vcc_lo
	v_or_b32_e32 v47, 0x400000, v8
	v_cmp_u_f32_e32 vcc_lo, v8, v8
	v_mul_f32_e32 v49, v43, v49
	v_lshlrev_b32_e32 v41, 16, v41
	v_and_b32_e32 v44, 0xffff0000, v44
	v_lshlrev_b32_e32 v40, 16, v40
	v_cndmask_b32_e32 v8, v45, v47, vcc_lo
	v_add3_u32 v45, v48, v46, 0x7fff
	v_or_b32_e32 v47, 0x400000, v46
	v_cmp_u_f32_e32 vcc_lo, v46, v46
	v_add3_u32 v48, v51, v21, 0x7fff
	v_or_b32_e32 v51, 0x400000, v21
	v_mul_f32_e32 v46, v4, v50
	v_and_b32_e32 v8, 0xffff0000, v8
	v_cndmask_b32_e32 v45, v45, v47, vcc_lo
	v_cmp_u_f32_e32 vcc_lo, v21, v21
	v_add3_u32 v47, v52, v20, 0x7fff
	v_bfe_u32 v50, v46, 16, 1
	v_add_f32_e32 v6, v44, v6
	v_and_b32_e32 v45, 0xffff0000, v45
	v_cndmask_b32_e32 v21, v48, v51, vcc_lo
	v_or_b32_e32 v48, 0x400000, v20
	v_cmp_u_f32_e32 vcc_lo, v20, v20
	v_lshlrev_b32_e32 v39, 16, v39
	v_add_f32_e32 v8, v45, v8
	v_and_b32_e32 v21, 0xffff0000, v21
	v_or_b32_e32 v45, 0x400000, v49
	v_cndmask_b32_e32 v20, v47, v48, vcc_lo
	v_add3_u32 v47, v50, v46, 0x7fff
	v_or_b32_e32 v48, 0x400000, v46
	v_cmp_u_f32_e32 vcc_lo, v46, v46
	v_add_f32_e32 v6, v8, v6
	v_and_b32_e32 v20, 0xffff0000, v20
	v_mul_f32_e32 v8, v1, v41
	v_lshlrev_b32_e32 v35, 16, v35
	v_cndmask_b32_e32 v46, v47, v48, vcc_lo
	v_bfe_u32 v47, v49, 16, 1
	v_add_f32_e32 v20, v20, v21
	v_cmp_u_f32_e32 vcc_lo, v49, v49
	v_bfe_u32 v41, v8, 16, 1
	v_mul_f32_e32 v39, v7, v39
	v_add3_u32 v44, v47, v49, 0x7fff
	v_add_f32_e32 v6, v20, v6
	v_lshlrev_b32_e32 v20, 16, v37
	v_mul_f32_e32 v37, v5, v40
	v_add3_u32 v40, v41, v8, 0x7fff
	v_cndmask_b32_e32 v21, v44, v45, vcc_lo
	v_or_b32_e32 v41, 0x400000, v8
	v_mul_f32_e32 v20, v3, v20
	v_bfe_u32 v45, v37, 16, 1
	v_cmp_u_f32_e32 vcc_lo, v8, v8
	v_and_b32_e32 v44, 0xffff0000, v46
	v_mul_f32_e32 v35, v2, v35
	v_or_b32_e32 v46, 0x400000, v20
	v_lshlrev_b32_e32 v34, 16, v34
	v_cndmask_b32_e32 v8, v40, v41, vcc_lo
	v_bfe_u32 v40, v20, 16, 1
	v_add3_u32 v41, v45, v37, 0x7fff
	v_or_b32_e32 v45, 0x400000, v37
	v_cmp_u_f32_e32 vcc_lo, v37, v37
	v_lshlrev_b32_e32 v38, 16, v38
	v_add3_u32 v40, v40, v20, 0x7fff
	v_mul_f32_e32 v34, v42, v34
	v_lshlrev_b32_e32 v36, 16, v36
	v_cndmask_b32_e32 v37, v41, v45, vcc_lo
	v_bfe_u32 v41, v39, 16, 1
	v_cmp_u_f32_e32 vcc_lo, v20, v20
	v_or_b32_e32 v45, 0x400000, v39
	v_mul_f32_e32 v38, v4, v38
	v_mul_f32_e32 v36, v43, v36
	v_add3_u32 v41, v41, v39, 0x7fff
	v_cndmask_b32_e32 v20, v40, v46, vcc_lo
	v_bfe_u32 v40, v35, 16, 1
	v_cmp_u_f32_e32 vcc_lo, v39, v39
	v_or_b32_e32 v46, 0x400000, v35
	v_and_b32_e32 v37, 0xffff0000, v37
	v_and_b32_e32 v8, 0xffff0000, v8
	v_add3_u32 v40, v40, v35, 0x7fff
	v_cndmask_b32_e32 v39, v41, v45, vcc_lo
	v_bfe_u32 v41, v34, 16, 1
	v_cmp_u_f32_e32 vcc_lo, v35, v35
	v_bfe_u32 v45, v38, 16, 1
	v_and_b32_e32 v20, 0xffff0000, v20
	v_and_b32_e32 v39, 0xffff0000, v39
	v_add_f32_e32 v8, v37, v8
	v_cndmask_b32_e32 v35, v40, v46, vcc_lo
	v_add3_u32 v40, v41, v34, 0x7fff
	v_or_b32_e32 v41, 0x400000, v34
	v_cmp_u_f32_e32 vcc_lo, v34, v34
	v_add3_u32 v45, v45, v38, 0x7fff
	v_or_b32_e32 v46, 0x400000, v38
	v_add_f32_e32 v20, v39, v20
	v_and_b32_e32 v35, 0xffff0000, v35
	v_cndmask_b32_e32 v34, v40, v41, vcc_lo
	v_cmp_u_f32_e32 vcc_lo, v38, v38
	v_bfe_u32 v40, v36, 16, 1
	v_lshlrev_b32_e32 v37, 16, v56
	v_or_b32_e32 v41, 0x400000, v36
	v_and_b32_e32 v34, 0xffff0000, v34
	v_cndmask_b32_e32 v38, v45, v46, vcc_lo
	v_lshlrev_b32_e32 v45, 16, v57
	v_add3_u32 v40, v40, v36, 0x7fff
	v_cmp_u_f32_e32 vcc_lo, v36, v36
	v_add_f32_e32 v8, v20, v8
	v_add_f32_e32 v34, v34, v35
	v_mul_f32_e32 v5, v5, v45
	v_mul_f32_e32 v1, v1, v37
	v_lshlrev_b32_e32 v35, 16, v55
	v_cndmask_b32_e32 v36, v40, v41, vcc_lo
	v_lshlrev_b32_e32 v17, 16, v17
	v_bfe_u32 v20, v5, 16, 1
	v_or_b32_e32 v37, 0x400000, v5
	v_bfe_u32 v39, v1, 16, 1
	v_mul_f32_e32 v7, v7, v35
	v_cmp_u_f32_e32 vcc_lo, v5, v5
	v_add3_u32 v20, v20, v5, 0x7fff
	v_or_b32_e32 v35, 0x400000, v1
	v_mul_f32_e32 v3, v3, v17
	v_lshlrev_b32_e32 v16, 16, v16
	v_lshlrev_b32_e32 v10, 16, v10
	v_cndmask_b32_e32 v5, v20, v37, vcc_lo
	v_add3_u32 v20, v39, v1, 0x7fff
	v_bfe_u32 v37, v7, 16, 1
	v_cmp_u_f32_e32 vcc_lo, v1, v1
	v_mul_f32_e32 v16, v42, v16
	v_mul_f32_e32 v2, v2, v10
	v_lshlrev_b32_e32 v18, 16, v18
	v_add3_u32 v17, v37, v7, 0x7fff
	v_cndmask_b32_e32 v1, v20, v35, vcc_lo
	v_or_b32_e32 v20, 0x400000, v7
	v_bfe_u32 v35, v3, 16, 1
	v_cmp_u_f32_e32 vcc_lo, v7, v7
	v_lshlrev_b32_e32 v10, 16, v19
	v_mul_f32_e32 v4, v4, v18
	v_or_b32_e32 v18, 0x400000, v16
	v_and_b32_e32 v1, 0xffff0000, v1
	v_cndmask_b32_e32 v7, v17, v20, vcc_lo
	v_add3_u32 v17, v35, v3, 0x7fff
	v_or_b32_e32 v20, 0x400000, v3
	v_bfe_u32 v35, v16, 16, 1
	v_cmp_u_f32_e32 vcc_lo, v3, v3
	v_mul_f32_e32 v10, v43, v10
	v_bfe_u32 v37, v4, 16, 1
	v_and_b32_e32 v5, 0xffff0000, v5
	v_add3_u32 v19, v35, v16, 0x7fff
	v_cndmask_b32_e32 v3, v17, v20, vcc_lo
	v_bfe_u32 v17, v2, 16, 1
	v_cmp_u_f32_e32 vcc_lo, v16, v16
	v_or_b32_e32 v20, 0x400000, v2
	v_bfe_u32 v35, v10, 16, 1
	v_and_b32_e32 v3, 0xffff0000, v3
	v_add3_u32 v17, v17, v2, 0x7fff
	v_cndmask_b32_e32 v16, v19, v18, vcc_lo
	v_cmp_u_f32_e32 vcc_lo, v2, v2
	v_add3_u32 v18, v37, v4, 0x7fff
	v_or_b32_e32 v19, 0x400000, v4
	v_and_b32_e32 v7, 0xffff0000, v7
	v_add_f32_e32 v1, v5, v1
	v_cndmask_b32_e32 v2, v17, v20, vcc_lo
	v_cmp_u_f32_e32 vcc_lo, v4, v4
	v_add3_u32 v17, v35, v10, 0x7fff
	v_or_b32_e32 v20, 0x400000, v10
	v_add_f32_e32 v3, v7, v3
	v_and_b32_e32 v2, 0xffff0000, v2
	v_cndmask_b32_e32 v4, v18, v19, vcc_lo
	v_cmp_u_f32_e32 vcc_lo, v10, v10
	v_and_b32_e32 v5, 0xffff0000, v16
	v_and_b32_e32 v21, 0xffff0000, v21
	;; [unrolled: 1-line block ×4, first 2 shown]
	v_cndmask_b32_e32 v7, v17, v20, vcc_lo
	v_add_f32_e32 v1, v3, v1
	v_add_f32_e32 v2, v5, v2
	v_and_b32_e32 v3, 0xffff0000, v4
	v_add_f32_e32 v5, v21, v44
	v_and_b32_e32 v4, 0xffff0000, v7
	v_add_f32_e32 v7, v34, v8
	v_add_f32_e32 v8, v36, v10
	;; [unrolled: 1-line block ×3, first 2 shown]
	v_add_nc_u32_e32 v9, 4, v9
	v_add_f32_e32 v2, v4, v3
	v_add_f32_e32 v3, v5, v6
	;; [unrolled: 1-line block ×3, first 2 shown]
	v_add_co_u32 v14, s0, v14, 16
	v_add_f32_e32 v1, v2, v1
	v_cmp_le_i32_e32 vcc_lo, s11, v9
	v_add_f32_e32 v25, v25, v3
	v_add_f32_e32 v26, v26, v4
	v_add_nc_u32_e32 v27, 32, v27
	v_add_f32_e32 v24, v24, v1
	v_add_nc_u32_e32 v28, 0x80, v28
	v_add_co_ci_u32_e64 v15, null, 0, v15, s0
	s_or_b32 s9, vcc_lo, s9
	s_andn2_b32 exec_lo, exec_lo, s9
	s_cbranch_execz .LBB343_411
.LBB343_225:                            ; =>This Inner Loop Header: Depth=1
	global_load_dword v1, v[14:15], off
	v_mov_b32_e32 v36, 0
	s_waitcnt vmcnt(0)
	v_mad_i64_i32 v[16:17], null, v1, s3, v[12:13]
	global_load_dwordx2 v[18:19], v[16:17], off
	ds_read2_b64 v[5:8], v28 offset1:1
	ds_read2_b64 v[1:4], v28 offset0:2 offset1:3
	s_waitcnt vmcnt(0)
	v_cmp_ne_u16_sdwa s13, v18, v11 src0_sel:BYTE_0 src1_sel:DWORD
	s_and_saveexec_b32 s0, s13
	s_cbranch_execz .LBB343_231
; %bb.226:                              ;   in Loop: Header=BB343_225 Depth=1
	v_cmp_ne_u16_sdwa s14, v18, v29 src0_sel:BYTE_0 src1_sel:DWORD
	v_bfrev_b32_e32 v36, 1
	s_and_saveexec_b32 s13, s14
	s_cbranch_execz .LBB343_230
; %bb.227:                              ;   in Loop: Header=BB343_225 Depth=1
	v_and_b32_e32 v10, 0x7f, v18
	v_mov_b32_e32 v36, 0x7f800001
	s_mov_b32 s14, exec_lo
	v_cmpx_ne_u32_e32 0x7f, v10
	s_cbranch_execz .LBB343_229
; %bb.228:                              ;   in Loop: Header=BB343_225 Depth=1
	v_and_b32_e32 v20, 7, v18
	v_lshrrev_b32_e32 v21, 3, v10
	v_cmp_gt_u32_e32 vcc_lo, 8, v10
	v_ffbh_u32_e32 v20, v20
	v_min_u32_e32 v20, 32, v20
	v_subrev_nc_u32_e32 v34, 28, v20
	v_sub_nc_u32_e32 v20, 29, v20
	v_cndmask_b32_e32 v10, v21, v20, vcc_lo
	v_cndmask_b32_e32 v20, 0, v34, vcc_lo
	v_lshl_add_u32 v10, v10, 23, 0x3c000000
	v_lshlrev_b64 v[20:21], v20, v[18:19]
	v_lshlrev_b32_e32 v21, 24, v18
	v_lshlrev_b32_e32 v20, 20, v20
	v_and_b32_e32 v21, 0x80000000, v21
	v_and_b32_e32 v20, 0x700000, v20
	v_or3_b32 v36, v20, v21, v10
.LBB343_229:                            ;   in Loop: Header=BB343_225 Depth=1
	s_or_b32 exec_lo, exec_lo, s14
.LBB343_230:                            ;   in Loop: Header=BB343_225 Depth=1
	s_or_b32 exec_lo, exec_lo, s13
.LBB343_231:                            ;   in Loop: Header=BB343_225 Depth=1
	s_or_b32 exec_lo, exec_lo, s0
	v_cmp_ne_u16_sdwa s13, v18, v11 src0_sel:BYTE_1 src1_sel:DWORD
	v_mov_b32_e32 v35, 0
	v_mov_b32_e32 v34, 0
	s_and_saveexec_b32 s0, s13
	s_cbranch_execz .LBB343_239
; %bb.232:                              ;   in Loop: Header=BB343_225 Depth=1
	v_cmp_ne_u16_sdwa s14, v18, v29 src0_sel:BYTE_1 src1_sel:DWORD
	v_bfrev_b32_e32 v34, 1
	s_and_saveexec_b32 s13, s14
	s_cbranch_execz .LBB343_238
; %bb.233:                              ;   in Loop: Header=BB343_225 Depth=1
	v_and_b32_sdwa v10, v30, v18 dst_sel:DWORD dst_unused:UNUSED_PAD src0_sel:DWORD src1_sel:BYTE_1
	v_mov_b32_e32 v34, 0x7f800001
	s_mov_b32 s14, exec_lo
	v_and_b32_e32 v21, 0x7f, v10
	v_cmpx_ne_u32_e32 0x7f, v21
	s_cbranch_execz .LBB343_237
; %bb.234:                              ;   in Loop: Header=BB343_225 Depth=1
	v_and_b32_e32 v10, 7, v10
	v_lshrrev_b32_e32 v20, 3, v21
	s_mov_b32 s15, exec_lo
	v_cmpx_gt_u32_e32 8, v21
; %bb.235:                              ;   in Loop: Header=BB343_225 Depth=1
	v_ffbh_u32_e32 v20, v10
	v_min_u32_e32 v20, 32, v20
	v_subrev_nc_u32_e32 v21, 28, v20
	v_sub_nc_u32_e32 v20, 29, v20
	v_lshlrev_b64 v[37:38], v21, v[10:11]
	v_and_b32_e32 v10, 7, v37
; %bb.236:                              ;   in Loop: Header=BB343_225 Depth=1
	s_or_b32 exec_lo, exec_lo, s15
	v_lshlrev_b32_e32 v21, 16, v18
	v_lshlrev_b32_e32 v10, 20, v10
	v_lshl_add_u32 v20, v20, 23, 0x3c000000
	v_and_b32_e32 v21, 0x80000000, v21
	v_or3_b32 v34, v10, v21, v20
.LBB343_237:                            ;   in Loop: Header=BB343_225 Depth=1
	s_or_b32 exec_lo, exec_lo, s14
.LBB343_238:                            ;   in Loop: Header=BB343_225 Depth=1
	s_or_b32 exec_lo, exec_lo, s13
.LBB343_239:                            ;   in Loop: Header=BB343_225 Depth=1
	s_or_b32 exec_lo, exec_lo, s0
	v_and_b32_sdwa v10, v18, v31 dst_sel:DWORD dst_unused:UNUSED_PAD src0_sel:WORD_1 src1_sel:DWORD
	s_mov_b32 s0, exec_lo
	v_cmpx_ne_u16_e32 0, v10
	s_cbranch_execz .LBB343_247
; %bb.240:                              ;   in Loop: Header=BB343_225 Depth=1
	v_bfrev_b32_e32 v35, 1
	s_mov_b32 s13, exec_lo
	v_cmpx_ne_u16_e32 0x80, v10
	s_cbranch_execz .LBB343_246
; %bb.241:                              ;   in Loop: Header=BB343_225 Depth=1
	v_bfe_u32 v21, v18, 16, 7
	v_mov_b32_e32 v35, 0x7f800001
	s_mov_b32 s14, exec_lo
	v_cmpx_ne_u32_e32 0x7f, v21
	s_cbranch_execz .LBB343_245
; %bb.242:                              ;   in Loop: Header=BB343_225 Depth=1
	v_and_b32_sdwa v10, v18, v32 dst_sel:DWORD dst_unused:UNUSED_PAD src0_sel:WORD_1 src1_sel:DWORD
	v_lshrrev_b32_e32 v20, 3, v21
	s_mov_b32 s15, exec_lo
	v_cmpx_gt_u32_e32 8, v21
; %bb.243:                              ;   in Loop: Header=BB343_225 Depth=1
	v_ffbh_u32_e32 v20, v10
	v_min_u32_e32 v20, 32, v20
	v_subrev_nc_u32_e32 v21, 28, v20
	v_sub_nc_u32_e32 v20, 29, v20
	v_lshlrev_b64 v[37:38], v21, v[10:11]
	v_and_b32_e32 v10, 7, v37
; %bb.244:                              ;   in Loop: Header=BB343_225 Depth=1
	s_or_b32 exec_lo, exec_lo, s15
	v_lshlrev_b32_sdwa v21, v33, v18 dst_sel:DWORD dst_unused:UNUSED_PAD src0_sel:DWORD src1_sel:WORD_1
	v_lshlrev_b32_e32 v10, 20, v10
	v_lshl_add_u32 v20, v20, 23, 0x3c000000
	v_and_b32_e32 v21, 0x80000000, v21
	v_or3_b32 v35, v10, v21, v20
.LBB343_245:                            ;   in Loop: Header=BB343_225 Depth=1
	s_or_b32 exec_lo, exec_lo, s14
.LBB343_246:                            ;   in Loop: Header=BB343_225 Depth=1
	s_or_b32 exec_lo, exec_lo, s13
.LBB343_247:                            ;   in Loop: Header=BB343_225 Depth=1
	s_or_b32 exec_lo, exec_lo, s0
	v_mov_b32_e32 v37, 0
	v_mov_b32_e32 v38, 0
	s_mov_b32 s0, exec_lo
	v_cmpx_lt_u32_e32 0xffffff, v18
	s_cbranch_execz .LBB343_255
; %bb.248:                              ;   in Loop: Header=BB343_225 Depth=1
	v_cmp_ne_u32_sdwa s14, v18, v29 src0_sel:BYTE_3 src1_sel:DWORD
	v_bfrev_b32_e32 v38, 1
	s_and_saveexec_b32 s13, s14
	s_cbranch_execz .LBB343_254
; %bb.249:                              ;   in Loop: Header=BB343_225 Depth=1
	v_bfe_u32 v21, v18, 24, 7
	v_mov_b32_e32 v38, 0x7f800001
	s_mov_b32 s14, exec_lo
	v_cmpx_ne_u32_e32 0x7f, v21
	s_cbranch_execz .LBB343_253
; %bb.250:                              ;   in Loop: Header=BB343_225 Depth=1
	v_and_b32_sdwa v10, v18, v32 dst_sel:DWORD dst_unused:UNUSED_PAD src0_sel:BYTE_3 src1_sel:DWORD
	v_lshrrev_b32_e32 v20, 3, v21
	s_mov_b32 s15, exec_lo
	v_cmpx_gt_u32_e32 8, v21
; %bb.251:                              ;   in Loop: Header=BB343_225 Depth=1
	v_ffbh_u32_e32 v20, v10
	v_min_u32_e32 v20, 32, v20
	v_subrev_nc_u32_e32 v21, 28, v20
	v_sub_nc_u32_e32 v20, 29, v20
	v_lshlrev_b64 v[38:39], v21, v[10:11]
	v_and_b32_e32 v10, 7, v38
; %bb.252:                              ;   in Loop: Header=BB343_225 Depth=1
	s_or_b32 exec_lo, exec_lo, s15
	v_lshlrev_b32_sdwa v21, v33, v18 dst_sel:DWORD dst_unused:UNUSED_PAD src0_sel:DWORD src1_sel:BYTE_3
	v_lshlrev_b32_e32 v10, 20, v10
	v_lshl_add_u32 v20, v20, 23, 0x3c000000
	v_and_b32_e32 v21, 0x80000000, v21
	v_or3_b32 v38, v10, v21, v20
.LBB343_253:                            ;   in Loop: Header=BB343_225 Depth=1
	s_or_b32 exec_lo, exec_lo, s14
.LBB343_254:                            ;   in Loop: Header=BB343_225 Depth=1
	s_or_b32 exec_lo, exec_lo, s13
.LBB343_255:                            ;   in Loop: Header=BB343_225 Depth=1
	s_or_b32 exec_lo, exec_lo, s0
	v_mov_b32_e32 v10, v19
	v_cmp_ne_u16_sdwa s13, v19, v11 src0_sel:BYTE_0 src1_sel:DWORD
	s_and_saveexec_b32 s0, s13
	s_cbranch_execz .LBB343_261
; %bb.256:                              ;   in Loop: Header=BB343_225 Depth=1
	v_cmp_ne_u16_sdwa s14, v19, v29 src0_sel:BYTE_0 src1_sel:DWORD
	v_bfrev_b32_e32 v37, 1
	s_and_saveexec_b32 s13, s14
	s_cbranch_execz .LBB343_260
; %bb.257:                              ;   in Loop: Header=BB343_225 Depth=1
	v_and_b32_e32 v20, 0x7f, v19
	v_mov_b32_e32 v37, 0x7f800001
	s_mov_b32 s14, exec_lo
	v_cmpx_ne_u32_e32 0x7f, v20
	s_cbranch_execz .LBB343_259
; %bb.258:                              ;   in Loop: Header=BB343_225 Depth=1
	v_and_b32_e32 v21, 7, v19
	v_cmp_gt_u32_e32 vcc_lo, 8, v20
	v_lshrrev_b32_e32 v37, 3, v20
	v_ffbh_u32_e32 v21, v21
	v_min_u32_e32 v21, 32, v21
	v_subrev_nc_u32_e32 v39, 28, v21
	v_sub_nc_u32_e32 v21, 29, v21
	v_cndmask_b32_e32 v20, 0, v39, vcc_lo
	v_cndmask_b32_e32 v37, v37, v21, vcc_lo
	v_lshlrev_b64 v[20:21], v20, v[10:11]
	v_lshlrev_b32_e32 v21, 24, v10
	v_lshl_add_u32 v37, v37, 23, 0x3c000000
	v_lshlrev_b32_e32 v20, 20, v20
	v_and_b32_e32 v21, 0x80000000, v21
	v_and_b32_e32 v20, 0x700000, v20
	v_or3_b32 v37, v20, v21, v37
.LBB343_259:                            ;   in Loop: Header=BB343_225 Depth=1
	s_or_b32 exec_lo, exec_lo, s14
.LBB343_260:                            ;   in Loop: Header=BB343_225 Depth=1
	s_or_b32 exec_lo, exec_lo, s13
.LBB343_261:                            ;   in Loop: Header=BB343_225 Depth=1
	s_or_b32 exec_lo, exec_lo, s0
	v_cmp_ne_u16_sdwa s13, v10, v11 src0_sel:BYTE_1 src1_sel:DWORD
	v_mov_b32_e32 v39, 0
	v_mov_b32_e32 v20, 0
	s_and_saveexec_b32 s0, s13
	s_cbranch_execz .LBB343_269
; %bb.262:                              ;   in Loop: Header=BB343_225 Depth=1
	v_cmp_ne_u16_sdwa s14, v10, v29 src0_sel:BYTE_1 src1_sel:DWORD
	v_bfrev_b32_e32 v20, 1
	s_and_saveexec_b32 s13, s14
	s_cbranch_execz .LBB343_268
; %bb.263:                              ;   in Loop: Header=BB343_225 Depth=1
	v_and_b32_sdwa v21, v30, v10 dst_sel:DWORD dst_unused:UNUSED_PAD src0_sel:DWORD src1_sel:BYTE_1
	v_mov_b32_e32 v20, 0x7f800001
	s_mov_b32 s14, exec_lo
	v_and_b32_e32 v41, 0x7f, v21
	v_cmpx_ne_u32_e32 0x7f, v41
	s_cbranch_execz .LBB343_267
; %bb.264:                              ;   in Loop: Header=BB343_225 Depth=1
	v_and_b32_e32 v20, 7, v21
	v_mov_b32_e32 v21, v11
	v_lshrrev_b32_e32 v40, 3, v41
	s_mov_b32 s15, exec_lo
	v_cmpx_gt_u32_e32 8, v41
; %bb.265:                              ;   in Loop: Header=BB343_225 Depth=1
	v_ffbh_u32_e32 v40, v20
	v_min_u32_e32 v40, 32, v40
	v_subrev_nc_u32_e32 v41, 28, v40
	v_sub_nc_u32_e32 v40, 29, v40
	v_lshlrev_b64 v[20:21], v41, v[20:21]
	v_and_b32_e32 v20, 7, v20
; %bb.266:                              ;   in Loop: Header=BB343_225 Depth=1
	s_or_b32 exec_lo, exec_lo, s15
	v_lshlrev_b32_e32 v10, 16, v10
	v_lshlrev_b32_e32 v20, 20, v20
	v_lshl_add_u32 v21, v40, 23, 0x3c000000
	v_and_b32_e32 v10, 0x80000000, v10
	v_or3_b32 v20, v20, v10, v21
.LBB343_267:                            ;   in Loop: Header=BB343_225 Depth=1
	s_or_b32 exec_lo, exec_lo, s14
.LBB343_268:                            ;   in Loop: Header=BB343_225 Depth=1
	s_or_b32 exec_lo, exec_lo, s13
.LBB343_269:                            ;   in Loop: Header=BB343_225 Depth=1
	s_or_b32 exec_lo, exec_lo, s0
	v_and_b32_sdwa v10, v19, v31 dst_sel:DWORD dst_unused:UNUSED_PAD src0_sel:WORD_1 src1_sel:DWORD
	s_mov_b32 s0, exec_lo
	v_cmpx_ne_u16_e32 0, v10
	s_cbranch_execz .LBB343_277
; %bb.270:                              ;   in Loop: Header=BB343_225 Depth=1
	v_bfrev_b32_e32 v39, 1
	s_mov_b32 s13, exec_lo
	v_cmpx_ne_u16_e32 0x80, v10
	s_cbranch_execz .LBB343_276
; %bb.271:                              ;   in Loop: Header=BB343_225 Depth=1
	v_bfe_u32 v40, v19, 16, 7
	v_mov_b32_e32 v39, 0x7f800001
	s_mov_b32 s14, exec_lo
	v_cmpx_ne_u32_e32 0x7f, v40
	s_cbranch_execz .LBB343_275
; %bb.272:                              ;   in Loop: Header=BB343_225 Depth=1
	v_and_b32_sdwa v10, v19, v32 dst_sel:DWORD dst_unused:UNUSED_PAD src0_sel:WORD_1 src1_sel:DWORD
	v_lshrrev_b32_e32 v21, 3, v40
	s_mov_b32 s15, exec_lo
	v_cmpx_gt_u32_e32 8, v40
; %bb.273:                              ;   in Loop: Header=BB343_225 Depth=1
	v_ffbh_u32_e32 v21, v10
	v_min_u32_e32 v21, 32, v21
	v_subrev_nc_u32_e32 v39, 28, v21
	v_sub_nc_u32_e32 v21, 29, v21
	v_lshlrev_b64 v[39:40], v39, v[10:11]
	v_and_b32_e32 v10, 7, v39
; %bb.274:                              ;   in Loop: Header=BB343_225 Depth=1
	s_or_b32 exec_lo, exec_lo, s15
	v_lshlrev_b32_sdwa v39, v33, v19 dst_sel:DWORD dst_unused:UNUSED_PAD src0_sel:DWORD src1_sel:WORD_1
	v_lshlrev_b32_e32 v10, 20, v10
	v_lshl_add_u32 v21, v21, 23, 0x3c000000
	v_and_b32_e32 v39, 0x80000000, v39
	v_or3_b32 v39, v10, v39, v21
.LBB343_275:                            ;   in Loop: Header=BB343_225 Depth=1
	s_or_b32 exec_lo, exec_lo, s14
.LBB343_276:                            ;   in Loop: Header=BB343_225 Depth=1
	s_or_b32 exec_lo, exec_lo, s13
.LBB343_277:                            ;   in Loop: Header=BB343_225 Depth=1
	s_or_b32 exec_lo, exec_lo, s0
	v_mov_b32_e32 v10, 0
	s_mov_b32 s0, exec_lo
	v_cmpx_lt_u64_e64 s[4:5], v[18:19]
	s_cbranch_execz .LBB343_285
; %bb.278:                              ;   in Loop: Header=BB343_225 Depth=1
	v_cmp_ne_u32_sdwa s14, v19, v29 src0_sel:BYTE_3 src1_sel:DWORD
	v_bfrev_b32_e32 v10, 1
	s_and_saveexec_b32 s13, s14
	s_cbranch_execz .LBB343_284
; %bb.279:                              ;   in Loop: Header=BB343_225 Depth=1
	v_bfe_u32 v21, v19, 24, 7
	v_mov_b32_e32 v10, 0x7f800001
	s_mov_b32 s14, exec_lo
	v_cmpx_ne_u32_e32 0x7f, v21
	s_cbranch_execz .LBB343_283
; %bb.280:                              ;   in Loop: Header=BB343_225 Depth=1
	v_and_b32_sdwa v10, v19, v32 dst_sel:DWORD dst_unused:UNUSED_PAD src0_sel:BYTE_3 src1_sel:DWORD
	v_lshrrev_b32_e32 v18, 3, v21
	s_mov_b32 s15, exec_lo
	v_cmpx_gt_u32_e32 8, v21
; %bb.281:                              ;   in Loop: Header=BB343_225 Depth=1
	v_ffbh_u32_e32 v18, v10
	v_min_u32_e32 v18, 32, v18
	v_subrev_nc_u32_e32 v21, 28, v18
	v_sub_nc_u32_e32 v18, 29, v18
	v_lshlrev_b64 v[40:41], v21, v[10:11]
	v_and_b32_e32 v10, 7, v40
; %bb.282:                              ;   in Loop: Header=BB343_225 Depth=1
	s_or_b32 exec_lo, exec_lo, s15
	v_lshlrev_b32_sdwa v19, v33, v19 dst_sel:DWORD dst_unused:UNUSED_PAD src0_sel:DWORD src1_sel:BYTE_3
	v_lshlrev_b32_e32 v10, 20, v10
	v_lshl_add_u32 v18, v18, 23, 0x3c000000
	v_and_b32_e32 v19, 0x80000000, v19
	v_or3_b32 v10, v10, v19, v18
.LBB343_283:                            ;   in Loop: Header=BB343_225 Depth=1
	s_or_b32 exec_lo, exec_lo, s14
.LBB343_284:                            ;   in Loop: Header=BB343_225 Depth=1
	s_or_b32 exec_lo, exec_lo, s13
.LBB343_285:                            ;   in Loop: Header=BB343_225 Depth=1
	s_or_b32 exec_lo, exec_lo, s0
	s_waitcnt lgkmcnt(0)
	v_mul_f32_e32 v18, s6, v20
	v_mul_f32_e32 v19, s6, v37
	;; [unrolled: 1-line block ×5, first 2 shown]
	v_bfe_u32 v21, v18, 16, 1
	v_or_b32_e32 v35, 0x400000, v18
	v_bfe_u32 v37, v19, 16, 1
	v_cmp_u_f32_e64 s0, v18, v18
	v_or_b32_e32 v40, 0x400000, v19
	v_add3_u32 v21, v21, v18, 0x7fff
	v_bfe_u32 v41, v20, 16, 1
	v_add3_u32 v37, v37, v19, 0x7fff
	v_or_b32_e32 v43, 0x400000, v20
	v_add_nc_u32_e32 v42, -7, v27
	v_cndmask_b32_e64 v18, v21, v35, s0
	v_cmp_u_f32_e64 s0, v19, v19
	v_bfe_u32 v21, v38, 16, 1
	v_add3_u32 v41, v41, v20, 0x7fff
	v_cmp_eq_u32_e32 vcc_lo, s12, v9
	v_lshrrev_b32_e32 v35, 16, v18
	v_cndmask_b32_e64 v19, v37, v40, s0
	v_cmp_u_f32_e64 s0, v20, v20
	v_mul_f32_e32 v20, s6, v34
	v_add3_u32 v21, v21, v38, 0x7fff
	v_or_b32_e32 v40, 0x400000, v38
	v_lshrrev_b32_e32 v34, 16, v19
	v_cndmask_b32_e64 v18, v41, v43, s0
	v_cmp_u_f32_e64 s0, v38, v38
	v_or_b32_e32 v38, 0x400000, v20
	v_or_b32_e32 v43, 0x400000, v10
	v_add_nc_u32_e32 v48, -6, v27
	v_lshrrev_b32_e32 v37, 16, v18
	v_bfe_u32 v18, v20, 16, 1
	v_cndmask_b32_e64 v19, v21, v40, s0
	v_mul_f32_e32 v21, s6, v36
	v_mul_f32_e32 v36, s6, v39
	v_cmp_u_f32_e64 s0, v20, v20
	v_add3_u32 v18, v18, v20, 0x7fff
	v_bfe_u32 v20, v10, 16, 1
	v_bfe_u32 v39, v21, 16, 1
	;; [unrolled: 1-line block ×3, first 2 shown]
	v_or_b32_e32 v41, 0x400000, v36
	v_cndmask_b32_e64 v18, v18, v38, s0
	v_cmp_u_f32_e64 s0, v21, v21
	v_add3_u32 v38, v39, v21, 0x7fff
	v_or_b32_e32 v39, 0x400000, v21
	v_add3_u32 v40, v40, v36, 0x7fff
	v_add3_u32 v20, v20, v10, 0x7fff
	v_add_nc_u32_e32 v47, -5, v27
	v_add_nc_u32_e32 v46, -4, v27
	v_cndmask_b32_e64 v21, v38, v39, s0
	v_cmp_u_f32_e64 s0, v36, v36
	v_lshrrev_b32_e32 v39, 16, v19
	v_add_nc_u32_e32 v45, -3, v27
	v_add_nc_u32_e32 v44, -2, v27
	v_cndmask_b32_e64 v36, v40, v41, s0
	v_cmp_u_f32_e64 s0, v10, v10
	v_lshrrev_b32_e32 v41, 16, v18
	v_lshrrev_b32_e32 v40, 16, v21
	;; [unrolled: 1-line block ×3, first 2 shown]
	v_cndmask_b32_e64 v10, v20, v43, s0
	v_add_nc_u32_e32 v43, -1, v27
	v_lshrrev_b32_e32 v38, 16, v10
	s_and_saveexec_b32 s13, vcc_lo
	s_cbranch_execz .LBB343_287
; %bb.286:                              ;   in Loop: Header=BB343_225 Depth=1
	v_cmp_gt_i32_e64 s0, s27, v42
	v_cndmask_b32_e64 v40, 0, v40, s0
	v_cmp_gt_i32_e64 s0, s27, v48
	v_cndmask_b32_e64 v41, 0, v41, s0
	;; [unrolled: 2-line block ×8, first 2 shown]
.LBB343_287:                            ;   in Loop: Header=BB343_225 Depth=1
	s_or_b32 exec_lo, exec_lo, s13
	global_load_dwordx2 v[18:19], v[16:17], off offset:256
	v_mov_b32_e32 v50, 0
	v_mov_b32_e32 v49, 0
	s_waitcnt vmcnt(0)
	v_cmp_ne_u16_sdwa s0, v18, v11 src0_sel:BYTE_0 src1_sel:DWORD
	s_and_saveexec_b32 s13, s0
	s_cbranch_execz .LBB343_293
; %bb.288:                              ;   in Loop: Header=BB343_225 Depth=1
	v_cmp_ne_u16_sdwa s0, v18, v29 src0_sel:BYTE_0 src1_sel:DWORD
	v_bfrev_b32_e32 v49, 1
	s_and_saveexec_b32 s14, s0
	s_cbranch_execz .LBB343_292
; %bb.289:                              ;   in Loop: Header=BB343_225 Depth=1
	v_and_b32_e32 v10, 0x7f, v18
	v_mov_b32_e32 v49, 0x7f800001
	s_mov_b32 s15, exec_lo
	v_cmpx_ne_u32_e32 0x7f, v10
	s_cbranch_execz .LBB343_291
; %bb.290:                              ;   in Loop: Header=BB343_225 Depth=1
	v_and_b32_e32 v20, 7, v18
	v_lshrrev_b32_e32 v21, 3, v10
	v_cmp_gt_u32_e64 s0, 8, v10
	v_ffbh_u32_e32 v20, v20
	v_min_u32_e32 v20, 32, v20
	v_subrev_nc_u32_e32 v49, 28, v20
	v_sub_nc_u32_e32 v20, 29, v20
	v_cndmask_b32_e64 v10, v21, v20, s0
	v_cndmask_b32_e64 v20, 0, v49, s0
	v_lshl_add_u32 v10, v10, 23, 0x3c000000
	v_lshlrev_b64 v[20:21], v20, v[18:19]
	v_lshlrev_b32_e32 v21, 24, v18
	v_lshlrev_b32_e32 v20, 20, v20
	v_and_b32_e32 v21, 0x80000000, v21
	v_and_b32_e32 v20, 0x700000, v20
	v_or3_b32 v49, v20, v21, v10
.LBB343_291:                            ;   in Loop: Header=BB343_225 Depth=1
	s_or_b32 exec_lo, exec_lo, s15
.LBB343_292:                            ;   in Loop: Header=BB343_225 Depth=1
	s_or_b32 exec_lo, exec_lo, s14
.LBB343_293:                            ;   in Loop: Header=BB343_225 Depth=1
	s_or_b32 exec_lo, exec_lo, s13
	v_cmp_ne_u16_sdwa s0, v18, v11 src0_sel:BYTE_1 src1_sel:DWORD
	s_and_saveexec_b32 s13, s0
	s_cbranch_execz .LBB343_301
; %bb.294:                              ;   in Loop: Header=BB343_225 Depth=1
	v_cmp_ne_u16_sdwa s0, v18, v29 src0_sel:BYTE_1 src1_sel:DWORD
	v_bfrev_b32_e32 v50, 1
	s_and_saveexec_b32 s14, s0
	s_cbranch_execz .LBB343_300
; %bb.295:                              ;   in Loop: Header=BB343_225 Depth=1
	v_and_b32_sdwa v10, v30, v18 dst_sel:DWORD dst_unused:UNUSED_PAD src0_sel:DWORD src1_sel:BYTE_1
	v_mov_b32_e32 v50, 0x7f800001
	s_mov_b32 s15, exec_lo
	v_and_b32_e32 v21, 0x7f, v10
	v_cmpx_ne_u32_e32 0x7f, v21
	s_cbranch_execz .LBB343_299
; %bb.296:                              ;   in Loop: Header=BB343_225 Depth=1
	v_and_b32_e32 v10, 7, v10
	v_lshrrev_b32_e32 v20, 3, v21
	s_mov_b32 s16, exec_lo
	v_cmpx_gt_u32_e32 8, v21
; %bb.297:                              ;   in Loop: Header=BB343_225 Depth=1
	v_ffbh_u32_e32 v20, v10
	v_min_u32_e32 v20, 32, v20
	v_subrev_nc_u32_e32 v21, 28, v20
	v_sub_nc_u32_e32 v20, 29, v20
	v_lshlrev_b64 v[50:51], v21, v[10:11]
	v_and_b32_e32 v10, 7, v50
; %bb.298:                              ;   in Loop: Header=BB343_225 Depth=1
	s_or_b32 exec_lo, exec_lo, s16
	v_lshlrev_b32_e32 v21, 16, v18
	v_lshlrev_b32_e32 v10, 20, v10
	v_lshl_add_u32 v20, v20, 23, 0x3c000000
	v_and_b32_e32 v21, 0x80000000, v21
	v_or3_b32 v50, v10, v21, v20
.LBB343_299:                            ;   in Loop: Header=BB343_225 Depth=1
	s_or_b32 exec_lo, exec_lo, s15
.LBB343_300:                            ;   in Loop: Header=BB343_225 Depth=1
	s_or_b32 exec_lo, exec_lo, s14
.LBB343_301:                            ;   in Loop: Header=BB343_225 Depth=1
	s_or_b32 exec_lo, exec_lo, s13
	v_and_b32_sdwa v10, v18, v31 dst_sel:DWORD dst_unused:UNUSED_PAD src0_sel:WORD_1 src1_sel:DWORD
	v_mov_b32_e32 v52, 0
	v_mov_b32_e32 v51, 0
	s_mov_b32 s13, exec_lo
	v_cmpx_ne_u16_e32 0, v10
	s_cbranch_execz .LBB343_309
; %bb.302:                              ;   in Loop: Header=BB343_225 Depth=1
	v_bfrev_b32_e32 v51, 1
	s_mov_b32 s14, exec_lo
	v_cmpx_ne_u16_e32 0x80, v10
	s_cbranch_execz .LBB343_308
; %bb.303:                              ;   in Loop: Header=BB343_225 Depth=1
	v_bfe_u32 v21, v18, 16, 7
	v_mov_b32_e32 v51, 0x7f800001
	s_mov_b32 s15, exec_lo
	v_cmpx_ne_u32_e32 0x7f, v21
	s_cbranch_execz .LBB343_307
; %bb.304:                              ;   in Loop: Header=BB343_225 Depth=1
	v_and_b32_sdwa v10, v18, v32 dst_sel:DWORD dst_unused:UNUSED_PAD src0_sel:WORD_1 src1_sel:DWORD
	v_lshrrev_b32_e32 v20, 3, v21
	s_mov_b32 s16, exec_lo
	v_cmpx_gt_u32_e32 8, v21
; %bb.305:                              ;   in Loop: Header=BB343_225 Depth=1
	v_ffbh_u32_e32 v20, v10
	v_min_u32_e32 v20, 32, v20
	v_subrev_nc_u32_e32 v21, 28, v20
	v_sub_nc_u32_e32 v20, 29, v20
	v_lshlrev_b64 v[53:54], v21, v[10:11]
	v_and_b32_e32 v10, 7, v53
; %bb.306:                              ;   in Loop: Header=BB343_225 Depth=1
	s_or_b32 exec_lo, exec_lo, s16
	v_lshlrev_b32_sdwa v21, v33, v18 dst_sel:DWORD dst_unused:UNUSED_PAD src0_sel:DWORD src1_sel:WORD_1
	v_lshlrev_b32_e32 v10, 20, v10
	v_lshl_add_u32 v20, v20, 23, 0x3c000000
	v_and_b32_e32 v21, 0x80000000, v21
	v_or3_b32 v51, v10, v21, v20
.LBB343_307:                            ;   in Loop: Header=BB343_225 Depth=1
	s_or_b32 exec_lo, exec_lo, s15
.LBB343_308:                            ;   in Loop: Header=BB343_225 Depth=1
	s_or_b32 exec_lo, exec_lo, s14
.LBB343_309:                            ;   in Loop: Header=BB343_225 Depth=1
	s_or_b32 exec_lo, exec_lo, s13
	s_mov_b32 s13, exec_lo
	v_cmpx_lt_u32_e32 0xffffff, v18
	s_cbranch_execz .LBB343_317
; %bb.310:                              ;   in Loop: Header=BB343_225 Depth=1
	v_cmp_ne_u32_sdwa s0, v18, v29 src0_sel:BYTE_3 src1_sel:DWORD
	v_bfrev_b32_e32 v52, 1
	s_and_saveexec_b32 s14, s0
	s_cbranch_execz .LBB343_316
; %bb.311:                              ;   in Loop: Header=BB343_225 Depth=1
	v_bfe_u32 v21, v18, 24, 7
	v_mov_b32_e32 v52, 0x7f800001
	s_mov_b32 s15, exec_lo
	v_cmpx_ne_u32_e32 0x7f, v21
	s_cbranch_execz .LBB343_315
; %bb.312:                              ;   in Loop: Header=BB343_225 Depth=1
	v_and_b32_sdwa v10, v18, v32 dst_sel:DWORD dst_unused:UNUSED_PAD src0_sel:BYTE_3 src1_sel:DWORD
	v_lshrrev_b32_e32 v20, 3, v21
	s_mov_b32 s16, exec_lo
	v_cmpx_gt_u32_e32 8, v21
; %bb.313:                              ;   in Loop: Header=BB343_225 Depth=1
	v_ffbh_u32_e32 v20, v10
	v_min_u32_e32 v20, 32, v20
	v_subrev_nc_u32_e32 v21, 28, v20
	v_sub_nc_u32_e32 v20, 29, v20
	v_lshlrev_b64 v[52:53], v21, v[10:11]
	v_and_b32_e32 v10, 7, v52
; %bb.314:                              ;   in Loop: Header=BB343_225 Depth=1
	s_or_b32 exec_lo, exec_lo, s16
	v_lshlrev_b32_sdwa v21, v33, v18 dst_sel:DWORD dst_unused:UNUSED_PAD src0_sel:DWORD src1_sel:BYTE_3
	v_lshlrev_b32_e32 v10, 20, v10
	v_lshl_add_u32 v20, v20, 23, 0x3c000000
	v_and_b32_e32 v21, 0x80000000, v21
	v_or3_b32 v52, v10, v21, v20
.LBB343_315:                            ;   in Loop: Header=BB343_225 Depth=1
	s_or_b32 exec_lo, exec_lo, s15
.LBB343_316:                            ;   in Loop: Header=BB343_225 Depth=1
	s_or_b32 exec_lo, exec_lo, s14
.LBB343_317:                            ;   in Loop: Header=BB343_225 Depth=1
	s_or_b32 exec_lo, exec_lo, s13
	v_mov_b32_e32 v10, v19
	v_cmp_ne_u16_sdwa s0, v19, v11 src0_sel:BYTE_0 src1_sel:DWORD
	v_mov_b32_e32 v20, 0
	v_mov_b32_e32 v53, 0
	s_and_saveexec_b32 s13, s0
	s_cbranch_execz .LBB343_323
; %bb.318:                              ;   in Loop: Header=BB343_225 Depth=1
	v_cmp_ne_u16_sdwa s0, v19, v29 src0_sel:BYTE_0 src1_sel:DWORD
	v_bfrev_b32_e32 v53, 1
	s_and_saveexec_b32 s14, s0
	s_cbranch_execz .LBB343_322
; %bb.319:                              ;   in Loop: Header=BB343_225 Depth=1
	v_and_b32_e32 v21, 0x7f, v19
	v_mov_b32_e32 v53, 0x7f800001
	s_mov_b32 s15, exec_lo
	v_cmpx_ne_u32_e32 0x7f, v21
	s_cbranch_execz .LBB343_321
; %bb.320:                              ;   in Loop: Header=BB343_225 Depth=1
	v_and_b32_e32 v53, 7, v19
	v_lshrrev_b32_e32 v54, 3, v21
	v_cmp_gt_u32_e64 s0, 8, v21
	v_ffbh_u32_e32 v53, v53
	v_min_u32_e32 v53, 32, v53
	v_subrev_nc_u32_e32 v55, 28, v53
	v_sub_nc_u32_e32 v53, 29, v53
	v_cndmask_b32_e64 v21, v54, v53, s0
	v_cndmask_b32_e64 v53, 0, v55, s0
	v_lshl_add_u32 v21, v21, 23, 0x3c000000
	v_lshlrev_b64 v[53:54], v53, v[10:11]
	v_lshlrev_b32_e32 v54, 24, v10
	v_lshlrev_b32_e32 v53, 20, v53
	v_and_b32_e32 v54, 0x80000000, v54
	v_and_b32_e32 v53, 0x700000, v53
	v_or3_b32 v53, v53, v54, v21
.LBB343_321:                            ;   in Loop: Header=BB343_225 Depth=1
	s_or_b32 exec_lo, exec_lo, s15
.LBB343_322:                            ;   in Loop: Header=BB343_225 Depth=1
	s_or_b32 exec_lo, exec_lo, s14
.LBB343_323:                            ;   in Loop: Header=BB343_225 Depth=1
	s_or_b32 exec_lo, exec_lo, s13
	v_cmp_ne_u16_sdwa s0, v10, v11 src0_sel:BYTE_1 src1_sel:DWORD
	s_and_saveexec_b32 s13, s0
	s_cbranch_execz .LBB343_331
; %bb.324:                              ;   in Loop: Header=BB343_225 Depth=1
	v_cmp_ne_u16_sdwa s0, v10, v29 src0_sel:BYTE_1 src1_sel:DWORD
	v_bfrev_b32_e32 v20, 1
	s_and_saveexec_b32 s14, s0
	s_cbranch_execz .LBB343_330
; %bb.325:                              ;   in Loop: Header=BB343_225 Depth=1
	v_and_b32_sdwa v21, v30, v10 dst_sel:DWORD dst_unused:UNUSED_PAD src0_sel:DWORD src1_sel:BYTE_1
	v_mov_b32_e32 v20, 0x7f800001
	s_mov_b32 s15, exec_lo
	v_and_b32_e32 v55, 0x7f, v21
	v_cmpx_ne_u32_e32 0x7f, v55
	s_cbranch_execz .LBB343_329
; %bb.326:                              ;   in Loop: Header=BB343_225 Depth=1
	v_and_b32_e32 v20, 7, v21
	v_mov_b32_e32 v21, v11
	v_lshrrev_b32_e32 v54, 3, v55
	s_mov_b32 s16, exec_lo
	v_cmpx_gt_u32_e32 8, v55
; %bb.327:                              ;   in Loop: Header=BB343_225 Depth=1
	v_ffbh_u32_e32 v54, v20
	v_min_u32_e32 v54, 32, v54
	v_subrev_nc_u32_e32 v55, 28, v54
	v_sub_nc_u32_e32 v54, 29, v54
	v_lshlrev_b64 v[20:21], v55, v[20:21]
	v_and_b32_e32 v20, 7, v20
; %bb.328:                              ;   in Loop: Header=BB343_225 Depth=1
	s_or_b32 exec_lo, exec_lo, s16
	v_lshlrev_b32_e32 v10, 16, v10
	v_lshlrev_b32_e32 v20, 20, v20
	v_lshl_add_u32 v21, v54, 23, 0x3c000000
	v_and_b32_e32 v10, 0x80000000, v10
	v_or3_b32 v20, v20, v10, v21
.LBB343_329:                            ;   in Loop: Header=BB343_225 Depth=1
	s_or_b32 exec_lo, exec_lo, s15
.LBB343_330:                            ;   in Loop: Header=BB343_225 Depth=1
	s_or_b32 exec_lo, exec_lo, s14
.LBB343_331:                            ;   in Loop: Header=BB343_225 Depth=1
	s_or_b32 exec_lo, exec_lo, s13
	v_and_b32_sdwa v10, v19, v31 dst_sel:DWORD dst_unused:UNUSED_PAD src0_sel:WORD_1 src1_sel:DWORD
	v_mov_b32_e32 v54, 0
	v_mov_b32_e32 v55, 0
	s_mov_b32 s13, exec_lo
	v_cmpx_ne_u16_e32 0, v10
	s_cbranch_execz .LBB343_339
; %bb.332:                              ;   in Loop: Header=BB343_225 Depth=1
	v_bfrev_b32_e32 v55, 1
	s_mov_b32 s14, exec_lo
	v_cmpx_ne_u16_e32 0x80, v10
	s_cbranch_execz .LBB343_338
; %bb.333:                              ;   in Loop: Header=BB343_225 Depth=1
	v_bfe_u32 v56, v19, 16, 7
	v_mov_b32_e32 v55, 0x7f800001
	s_mov_b32 s15, exec_lo
	v_cmpx_ne_u32_e32 0x7f, v56
	s_cbranch_execz .LBB343_337
; %bb.334:                              ;   in Loop: Header=BB343_225 Depth=1
	v_and_b32_sdwa v10, v19, v32 dst_sel:DWORD dst_unused:UNUSED_PAD src0_sel:WORD_1 src1_sel:DWORD
	v_lshrrev_b32_e32 v21, 3, v56
	s_mov_b32 s16, exec_lo
	v_cmpx_gt_u32_e32 8, v56
; %bb.335:                              ;   in Loop: Header=BB343_225 Depth=1
	v_ffbh_u32_e32 v21, v10
	v_min_u32_e32 v21, 32, v21
	v_subrev_nc_u32_e32 v55, 28, v21
	v_sub_nc_u32_e32 v21, 29, v21
	v_lshlrev_b64 v[55:56], v55, v[10:11]
	v_and_b32_e32 v10, 7, v55
; %bb.336:                              ;   in Loop: Header=BB343_225 Depth=1
	s_or_b32 exec_lo, exec_lo, s16
	v_lshlrev_b32_sdwa v55, v33, v19 dst_sel:DWORD dst_unused:UNUSED_PAD src0_sel:DWORD src1_sel:WORD_1
	v_lshlrev_b32_e32 v10, 20, v10
	v_lshl_add_u32 v21, v21, 23, 0x3c000000
	v_and_b32_e32 v55, 0x80000000, v55
	v_or3_b32 v55, v10, v55, v21
.LBB343_337:                            ;   in Loop: Header=BB343_225 Depth=1
	s_or_b32 exec_lo, exec_lo, s15
.LBB343_338:                            ;   in Loop: Header=BB343_225 Depth=1
	s_or_b32 exec_lo, exec_lo, s14
.LBB343_339:                            ;   in Loop: Header=BB343_225 Depth=1
	s_or_b32 exec_lo, exec_lo, s13
	s_mov_b32 s13, exec_lo
	v_cmpx_lt_u64_e64 s[4:5], v[18:19]
	s_cbranch_execz .LBB343_347
; %bb.340:                              ;   in Loop: Header=BB343_225 Depth=1
	v_cmp_ne_u32_sdwa s0, v19, v29 src0_sel:BYTE_3 src1_sel:DWORD
	v_bfrev_b32_e32 v54, 1
	s_and_saveexec_b32 s14, s0
	s_cbranch_execz .LBB343_346
; %bb.341:                              ;   in Loop: Header=BB343_225 Depth=1
	v_bfe_u32 v21, v19, 24, 7
	v_mov_b32_e32 v54, 0x7f800001
	s_mov_b32 s15, exec_lo
	v_cmpx_ne_u32_e32 0x7f, v21
	s_cbranch_execz .LBB343_345
; %bb.342:                              ;   in Loop: Header=BB343_225 Depth=1
	v_and_b32_sdwa v10, v19, v32 dst_sel:DWORD dst_unused:UNUSED_PAD src0_sel:BYTE_3 src1_sel:DWORD
	v_lshrrev_b32_e32 v18, 3, v21
	s_mov_b32 s16, exec_lo
	v_cmpx_gt_u32_e32 8, v21
; %bb.343:                              ;   in Loop: Header=BB343_225 Depth=1
	v_ffbh_u32_e32 v18, v10
	v_min_u32_e32 v18, 32, v18
	v_subrev_nc_u32_e32 v21, 28, v18
	v_sub_nc_u32_e32 v18, 29, v18
	v_lshlrev_b64 v[56:57], v21, v[10:11]
	v_and_b32_e32 v10, 7, v56
; %bb.344:                              ;   in Loop: Header=BB343_225 Depth=1
	s_or_b32 exec_lo, exec_lo, s16
	v_lshlrev_b32_sdwa v19, v33, v19 dst_sel:DWORD dst_unused:UNUSED_PAD src0_sel:DWORD src1_sel:BYTE_3
	v_lshlrev_b32_e32 v10, 20, v10
	v_lshl_add_u32 v18, v18, 23, 0x3c000000
	v_and_b32_e32 v19, 0x80000000, v19
	v_or3_b32 v54, v10, v19, v18
.LBB343_345:                            ;   in Loop: Header=BB343_225 Depth=1
	s_or_b32 exec_lo, exec_lo, s15
.LBB343_346:                            ;   in Loop: Header=BB343_225 Depth=1
	s_or_b32 exec_lo, exec_lo, s14
.LBB343_347:                            ;   in Loop: Header=BB343_225 Depth=1
	s_or_b32 exec_lo, exec_lo, s13
	v_mul_f32_e32 v10, s6, v20
	v_mul_f32_e32 v18, s6, v53
	v_mul_f32_e32 v19, s6, v52
	v_mul_f32_e32 v52, s6, v51
	v_mul_f32_e32 v49, s6, v49
	v_bfe_u32 v20, v10, 16, 1
	v_or_b32_e32 v21, 0x400000, v10
	v_bfe_u32 v51, v18, 16, 1
	v_cmp_u_f32_e64 s0, v10, v10
	v_or_b32_e32 v53, 0x400000, v18
	v_add3_u32 v20, v20, v10, 0x7fff
	v_bfe_u32 v56, v19, 16, 1
	v_add3_u32 v51, v51, v18, 0x7fff
	v_or_b32_e32 v57, 0x400000, v19
	v_bfe_u32 v58, v52, 16, 1
	v_cndmask_b32_e64 v10, v20, v21, s0
	v_cmp_u_f32_e64 s0, v18, v18
	v_add3_u32 v56, v56, v19, 0x7fff
	v_lshrrev_b32_e32 v21, 16, v10
	v_cndmask_b32_e64 v18, v51, v53, s0
	v_cmp_u_f32_e64 s0, v19, v19
	v_mul_f32_e32 v10, s6, v50
	v_add3_u32 v50, v58, v52, 0x7fff
	v_or_b32_e32 v53, 0x400000, v52
	v_lshrrev_b32_e32 v20, 16, v18
	v_cndmask_b32_e64 v19, v56, v57, s0
	v_bfe_u32 v18, v10, 16, 1
	v_cmp_u_f32_e64 s0, v52, v52
	v_or_b32_e32 v52, 0x400000, v10
	v_lshrrev_b32_e32 v51, 16, v19
	v_add3_u32 v18, v18, v10, 0x7fff
	v_cndmask_b32_e64 v19, v50, v53, s0
	v_mul_f32_e32 v50, s6, v55
	v_mul_f32_e32 v53, s6, v54
	v_bfe_u32 v54, v49, 16, 1
	v_cmp_u_f32_e64 s0, v10, v10
	v_bfe_u32 v55, v50, 16, 1
	v_or_b32_e32 v56, 0x400000, v50
	v_or_b32_e32 v57, 0x400000, v53
	v_cndmask_b32_e64 v10, v18, v52, s0
	v_add3_u32 v52, v54, v49, 0x7fff
	v_or_b32_e32 v54, 0x400000, v49
	v_cmp_u_f32_e64 s0, v49, v49
	v_bfe_u32 v18, v53, 16, 1
	v_add3_u32 v55, v55, v50, 0x7fff
	v_cndmask_b32_e64 v49, v52, v54, s0
	v_cmp_u_f32_e64 s0, v50, v50
	v_add3_u32 v18, v18, v53, 0x7fff
	v_lshrrev_b32_e32 v52, 16, v19
	v_lshrrev_b32_e32 v54, 16, v10
	v_cndmask_b32_e64 v50, v55, v56, s0
	v_cmp_u_f32_e64 s0, v53, v53
	v_lshrrev_b32_e32 v53, 16, v49
	v_lshrrev_b32_e32 v49, 16, v50
	v_cndmask_b32_e64 v18, v18, v57, s0
	v_lshrrev_b32_e32 v50, 16, v18
	s_and_saveexec_b32 s13, vcc_lo
	s_cbranch_execz .LBB343_349
; %bb.348:                              ;   in Loop: Header=BB343_225 Depth=1
	v_cmp_gt_i32_e64 s0, s27, v42
	v_cndmask_b32_e64 v53, 0, v53, s0
	v_cmp_gt_i32_e64 s0, s27, v48
	v_cndmask_b32_e64 v54, 0, v54, s0
	;; [unrolled: 2-line block ×8, first 2 shown]
.LBB343_349:                            ;   in Loop: Header=BB343_225 Depth=1
	s_or_b32 exec_lo, exec_lo, s13
	global_load_dwordx2 v[16:17], v[16:17], off offset:512
	v_mov_b32_e32 v56, 0
	v_mov_b32_e32 v55, 0
	s_waitcnt vmcnt(0)
	v_cmp_ne_u16_sdwa s0, v16, v11 src0_sel:BYTE_0 src1_sel:DWORD
	s_and_saveexec_b32 s13, s0
	s_cbranch_execz .LBB343_355
; %bb.350:                              ;   in Loop: Header=BB343_225 Depth=1
	v_cmp_ne_u16_sdwa s0, v16, v29 src0_sel:BYTE_0 src1_sel:DWORD
	v_bfrev_b32_e32 v55, 1
	s_and_saveexec_b32 s14, s0
	s_cbranch_execz .LBB343_354
; %bb.351:                              ;   in Loop: Header=BB343_225 Depth=1
	v_and_b32_e32 v10, 0x7f, v16
	v_mov_b32_e32 v55, 0x7f800001
	s_mov_b32 s15, exec_lo
	v_cmpx_ne_u32_e32 0x7f, v10
	s_cbranch_execz .LBB343_353
; %bb.352:                              ;   in Loop: Header=BB343_225 Depth=1
	v_and_b32_e32 v18, 7, v16
	v_lshrrev_b32_e32 v19, 3, v10
	v_cmp_gt_u32_e64 s0, 8, v10
	v_ffbh_u32_e32 v18, v18
	v_min_u32_e32 v18, 32, v18
	v_subrev_nc_u32_e32 v55, 28, v18
	v_sub_nc_u32_e32 v18, 29, v18
	v_cndmask_b32_e64 v10, v19, v18, s0
	v_cndmask_b32_e64 v18, 0, v55, s0
	v_lshl_add_u32 v10, v10, 23, 0x3c000000
	v_lshlrev_b64 v[18:19], v18, v[16:17]
	v_lshlrev_b32_e32 v19, 24, v16
	v_lshlrev_b32_e32 v18, 20, v18
	v_and_b32_e32 v19, 0x80000000, v19
	v_and_b32_e32 v18, 0x700000, v18
	v_or3_b32 v55, v18, v19, v10
.LBB343_353:                            ;   in Loop: Header=BB343_225 Depth=1
	s_or_b32 exec_lo, exec_lo, s15
.LBB343_354:                            ;   in Loop: Header=BB343_225 Depth=1
	s_or_b32 exec_lo, exec_lo, s14
.LBB343_355:                            ;   in Loop: Header=BB343_225 Depth=1
	s_or_b32 exec_lo, exec_lo, s13
	v_cmp_ne_u16_sdwa s0, v16, v11 src0_sel:BYTE_1 src1_sel:DWORD
	s_and_saveexec_b32 s13, s0
	s_cbranch_execz .LBB343_363
; %bb.356:                              ;   in Loop: Header=BB343_225 Depth=1
	v_cmp_ne_u16_sdwa s0, v16, v29 src0_sel:BYTE_1 src1_sel:DWORD
	v_bfrev_b32_e32 v56, 1
	s_and_saveexec_b32 s14, s0
	s_cbranch_execz .LBB343_362
; %bb.357:                              ;   in Loop: Header=BB343_225 Depth=1
	v_and_b32_sdwa v10, v30, v16 dst_sel:DWORD dst_unused:UNUSED_PAD src0_sel:DWORD src1_sel:BYTE_1
	v_mov_b32_e32 v56, 0x7f800001
	s_mov_b32 s15, exec_lo
	v_and_b32_e32 v19, 0x7f, v10
	v_cmpx_ne_u32_e32 0x7f, v19
	s_cbranch_execz .LBB343_361
; %bb.358:                              ;   in Loop: Header=BB343_225 Depth=1
	v_and_b32_e32 v10, 7, v10
	v_lshrrev_b32_e32 v18, 3, v19
	s_mov_b32 s16, exec_lo
	v_cmpx_gt_u32_e32 8, v19
; %bb.359:                              ;   in Loop: Header=BB343_225 Depth=1
	v_ffbh_u32_e32 v18, v10
	v_min_u32_e32 v18, 32, v18
	v_subrev_nc_u32_e32 v19, 28, v18
	v_sub_nc_u32_e32 v18, 29, v18
	v_lshlrev_b64 v[56:57], v19, v[10:11]
	v_and_b32_e32 v10, 7, v56
; %bb.360:                              ;   in Loop: Header=BB343_225 Depth=1
	s_or_b32 exec_lo, exec_lo, s16
	v_lshlrev_b32_e32 v19, 16, v16
	v_lshlrev_b32_e32 v10, 20, v10
	v_lshl_add_u32 v18, v18, 23, 0x3c000000
	v_and_b32_e32 v19, 0x80000000, v19
	v_or3_b32 v56, v10, v19, v18
.LBB343_361:                            ;   in Loop: Header=BB343_225 Depth=1
	s_or_b32 exec_lo, exec_lo, s15
.LBB343_362:                            ;   in Loop: Header=BB343_225 Depth=1
	s_or_b32 exec_lo, exec_lo, s14
.LBB343_363:                            ;   in Loop: Header=BB343_225 Depth=1
	s_or_b32 exec_lo, exec_lo, s13
	v_and_b32_sdwa v10, v16, v31 dst_sel:DWORD dst_unused:UNUSED_PAD src0_sel:WORD_1 src1_sel:DWORD
	v_mov_b32_e32 v58, 0
	v_mov_b32_e32 v57, 0
	s_mov_b32 s13, exec_lo
	v_cmpx_ne_u16_e32 0, v10
	s_cbranch_execz .LBB343_371
; %bb.364:                              ;   in Loop: Header=BB343_225 Depth=1
	v_bfrev_b32_e32 v57, 1
	s_mov_b32 s14, exec_lo
	v_cmpx_ne_u16_e32 0x80, v10
	s_cbranch_execz .LBB343_370
; %bb.365:                              ;   in Loop: Header=BB343_225 Depth=1
	v_bfe_u32 v19, v16, 16, 7
	v_mov_b32_e32 v57, 0x7f800001
	s_mov_b32 s15, exec_lo
	v_cmpx_ne_u32_e32 0x7f, v19
	s_cbranch_execz .LBB343_369
; %bb.366:                              ;   in Loop: Header=BB343_225 Depth=1
	v_and_b32_sdwa v10, v16, v32 dst_sel:DWORD dst_unused:UNUSED_PAD src0_sel:WORD_1 src1_sel:DWORD
	v_lshrrev_b32_e32 v18, 3, v19
	s_mov_b32 s16, exec_lo
	v_cmpx_gt_u32_e32 8, v19
; %bb.367:                              ;   in Loop: Header=BB343_225 Depth=1
	v_ffbh_u32_e32 v18, v10
	v_min_u32_e32 v18, 32, v18
	v_subrev_nc_u32_e32 v19, 28, v18
	v_sub_nc_u32_e32 v18, 29, v18
	v_lshlrev_b64 v[59:60], v19, v[10:11]
	v_and_b32_e32 v10, 7, v59
; %bb.368:                              ;   in Loop: Header=BB343_225 Depth=1
	s_or_b32 exec_lo, exec_lo, s16
	v_lshlrev_b32_sdwa v19, v33, v16 dst_sel:DWORD dst_unused:UNUSED_PAD src0_sel:DWORD src1_sel:WORD_1
	v_lshlrev_b32_e32 v10, 20, v10
	v_lshl_add_u32 v18, v18, 23, 0x3c000000
	v_and_b32_e32 v19, 0x80000000, v19
	v_or3_b32 v57, v10, v19, v18
.LBB343_369:                            ;   in Loop: Header=BB343_225 Depth=1
	s_or_b32 exec_lo, exec_lo, s15
.LBB343_370:                            ;   in Loop: Header=BB343_225 Depth=1
	s_or_b32 exec_lo, exec_lo, s14
.LBB343_371:                            ;   in Loop: Header=BB343_225 Depth=1
	s_or_b32 exec_lo, exec_lo, s13
	s_mov_b32 s13, exec_lo
	v_cmpx_lt_u32_e32 0xffffff, v16
	s_cbranch_execz .LBB343_379
; %bb.372:                              ;   in Loop: Header=BB343_225 Depth=1
	v_cmp_ne_u32_sdwa s0, v16, v29 src0_sel:BYTE_3 src1_sel:DWORD
	v_bfrev_b32_e32 v58, 1
	s_and_saveexec_b32 s14, s0
	s_cbranch_execz .LBB343_378
; %bb.373:                              ;   in Loop: Header=BB343_225 Depth=1
	v_bfe_u32 v19, v16, 24, 7
	v_mov_b32_e32 v58, 0x7f800001
	s_mov_b32 s15, exec_lo
	v_cmpx_ne_u32_e32 0x7f, v19
	s_cbranch_execz .LBB343_377
; %bb.374:                              ;   in Loop: Header=BB343_225 Depth=1
	v_and_b32_sdwa v10, v16, v32 dst_sel:DWORD dst_unused:UNUSED_PAD src0_sel:BYTE_3 src1_sel:DWORD
	v_lshrrev_b32_e32 v18, 3, v19
	s_mov_b32 s16, exec_lo
	v_cmpx_gt_u32_e32 8, v19
; %bb.375:                              ;   in Loop: Header=BB343_225 Depth=1
	v_ffbh_u32_e32 v18, v10
	v_min_u32_e32 v18, 32, v18
	v_subrev_nc_u32_e32 v19, 28, v18
	v_sub_nc_u32_e32 v18, 29, v18
	v_lshlrev_b64 v[58:59], v19, v[10:11]
	v_and_b32_e32 v10, 7, v58
; %bb.376:                              ;   in Loop: Header=BB343_225 Depth=1
	s_or_b32 exec_lo, exec_lo, s16
	v_lshlrev_b32_sdwa v19, v33, v16 dst_sel:DWORD dst_unused:UNUSED_PAD src0_sel:DWORD src1_sel:BYTE_3
	v_lshlrev_b32_e32 v10, 20, v10
	v_lshl_add_u32 v18, v18, 23, 0x3c000000
	v_and_b32_e32 v19, 0x80000000, v19
	v_or3_b32 v58, v10, v19, v18
.LBB343_377:                            ;   in Loop: Header=BB343_225 Depth=1
	s_or_b32 exec_lo, exec_lo, s15
.LBB343_378:                            ;   in Loop: Header=BB343_225 Depth=1
	s_or_b32 exec_lo, exec_lo, s14
.LBB343_379:                            ;   in Loop: Header=BB343_225 Depth=1
	s_or_b32 exec_lo, exec_lo, s13
	v_mov_b32_e32 v10, v17
	v_cmp_ne_u16_sdwa s0, v17, v11 src0_sel:BYTE_0 src1_sel:DWORD
	v_mov_b32_e32 v18, 0
	v_mov_b32_e32 v59, 0
	s_and_saveexec_b32 s13, s0
	s_cbranch_execz .LBB343_385
; %bb.380:                              ;   in Loop: Header=BB343_225 Depth=1
	v_cmp_ne_u16_sdwa s0, v17, v29 src0_sel:BYTE_0 src1_sel:DWORD
	v_bfrev_b32_e32 v59, 1
	s_and_saveexec_b32 s14, s0
	s_cbranch_execz .LBB343_384
; %bb.381:                              ;   in Loop: Header=BB343_225 Depth=1
	v_and_b32_e32 v19, 0x7f, v17
	v_mov_b32_e32 v59, 0x7f800001
	s_mov_b32 s15, exec_lo
	v_cmpx_ne_u32_e32 0x7f, v19
	s_cbranch_execz .LBB343_383
; %bb.382:                              ;   in Loop: Header=BB343_225 Depth=1
	v_and_b32_e32 v59, 7, v17
	v_lshrrev_b32_e32 v60, 3, v19
	v_cmp_gt_u32_e64 s0, 8, v19
	v_ffbh_u32_e32 v59, v59
	v_min_u32_e32 v59, 32, v59
	v_subrev_nc_u32_e32 v61, 28, v59
	v_sub_nc_u32_e32 v59, 29, v59
	v_cndmask_b32_e64 v19, v60, v59, s0
	v_cndmask_b32_e64 v59, 0, v61, s0
	v_lshl_add_u32 v19, v19, 23, 0x3c000000
	v_lshlrev_b64 v[59:60], v59, v[10:11]
	v_lshlrev_b32_e32 v60, 24, v10
	v_lshlrev_b32_e32 v59, 20, v59
	v_and_b32_e32 v60, 0x80000000, v60
	v_and_b32_e32 v59, 0x700000, v59
	v_or3_b32 v59, v59, v60, v19
.LBB343_383:                            ;   in Loop: Header=BB343_225 Depth=1
	s_or_b32 exec_lo, exec_lo, s15
.LBB343_384:                            ;   in Loop: Header=BB343_225 Depth=1
	s_or_b32 exec_lo, exec_lo, s14
.LBB343_385:                            ;   in Loop: Header=BB343_225 Depth=1
	s_or_b32 exec_lo, exec_lo, s13
	v_cmp_ne_u16_sdwa s0, v10, v11 src0_sel:BYTE_1 src1_sel:DWORD
	s_and_saveexec_b32 s13, s0
	s_cbranch_execz .LBB343_393
; %bb.386:                              ;   in Loop: Header=BB343_225 Depth=1
	v_cmp_ne_u16_sdwa s0, v10, v29 src0_sel:BYTE_1 src1_sel:DWORD
	v_bfrev_b32_e32 v18, 1
	s_and_saveexec_b32 s14, s0
	s_cbranch_execz .LBB343_392
; %bb.387:                              ;   in Loop: Header=BB343_225 Depth=1
	v_and_b32_sdwa v19, v30, v10 dst_sel:DWORD dst_unused:UNUSED_PAD src0_sel:DWORD src1_sel:BYTE_1
	v_mov_b32_e32 v18, 0x7f800001
	s_mov_b32 s15, exec_lo
	v_and_b32_e32 v61, 0x7f, v19
	v_cmpx_ne_u32_e32 0x7f, v61
	s_cbranch_execz .LBB343_391
; %bb.388:                              ;   in Loop: Header=BB343_225 Depth=1
	v_and_b32_e32 v18, 7, v19
	v_mov_b32_e32 v19, v11
	v_lshrrev_b32_e32 v60, 3, v61
	s_mov_b32 s16, exec_lo
	v_cmpx_gt_u32_e32 8, v61
; %bb.389:                              ;   in Loop: Header=BB343_225 Depth=1
	v_ffbh_u32_e32 v60, v18
	v_min_u32_e32 v60, 32, v60
	v_subrev_nc_u32_e32 v61, 28, v60
	v_sub_nc_u32_e32 v60, 29, v60
	v_lshlrev_b64 v[18:19], v61, v[18:19]
	v_and_b32_e32 v18, 7, v18
; %bb.390:                              ;   in Loop: Header=BB343_225 Depth=1
	s_or_b32 exec_lo, exec_lo, s16
	v_lshlrev_b32_e32 v10, 16, v10
	v_lshlrev_b32_e32 v18, 20, v18
	v_lshl_add_u32 v19, v60, 23, 0x3c000000
	v_and_b32_e32 v10, 0x80000000, v10
	v_or3_b32 v18, v18, v10, v19
.LBB343_391:                            ;   in Loop: Header=BB343_225 Depth=1
	s_or_b32 exec_lo, exec_lo, s15
.LBB343_392:                            ;   in Loop: Header=BB343_225 Depth=1
	s_or_b32 exec_lo, exec_lo, s14
.LBB343_393:                            ;   in Loop: Header=BB343_225 Depth=1
	s_or_b32 exec_lo, exec_lo, s13
	v_and_b32_sdwa v10, v17, v31 dst_sel:DWORD dst_unused:UNUSED_PAD src0_sel:WORD_1 src1_sel:DWORD
	v_mov_b32_e32 v19, 0
	v_mov_b32_e32 v60, 0
	s_mov_b32 s13, exec_lo
	v_cmpx_ne_u16_e32 0, v10
	s_cbranch_execz .LBB343_401
; %bb.394:                              ;   in Loop: Header=BB343_225 Depth=1
	v_bfrev_b32_e32 v60, 1
	s_mov_b32 s14, exec_lo
	v_cmpx_ne_u16_e32 0x80, v10
	s_cbranch_execz .LBB343_400
; %bb.395:                              ;   in Loop: Header=BB343_225 Depth=1
	v_bfe_u32 v61, v17, 16, 7
	v_mov_b32_e32 v60, 0x7f800001
	s_mov_b32 s15, exec_lo
	v_cmpx_ne_u32_e32 0x7f, v61
	s_cbranch_execz .LBB343_399
; %bb.396:                              ;   in Loop: Header=BB343_225 Depth=1
	v_and_b32_sdwa v10, v17, v32 dst_sel:DWORD dst_unused:UNUSED_PAD src0_sel:WORD_1 src1_sel:DWORD
	v_lshrrev_b32_e32 v60, 3, v61
	s_mov_b32 s16, exec_lo
	v_cmpx_gt_u32_e32 8, v61
; %bb.397:                              ;   in Loop: Header=BB343_225 Depth=1
	v_ffbh_u32_e32 v60, v10
	v_min_u32_e32 v60, 32, v60
	v_subrev_nc_u32_e32 v61, 28, v60
	v_sub_nc_u32_e32 v60, 29, v60
	v_lshlrev_b64 v[61:62], v61, v[10:11]
	v_and_b32_e32 v10, 7, v61
; %bb.398:                              ;   in Loop: Header=BB343_225 Depth=1
	s_or_b32 exec_lo, exec_lo, s16
	v_lshlrev_b32_sdwa v61, v33, v17 dst_sel:DWORD dst_unused:UNUSED_PAD src0_sel:DWORD src1_sel:WORD_1
	v_lshlrev_b32_e32 v10, 20, v10
	v_lshl_add_u32 v60, v60, 23, 0x3c000000
	v_and_b32_e32 v61, 0x80000000, v61
	v_or3_b32 v60, v10, v61, v60
.LBB343_399:                            ;   in Loop: Header=BB343_225 Depth=1
	s_or_b32 exec_lo, exec_lo, s15
.LBB343_400:                            ;   in Loop: Header=BB343_225 Depth=1
	s_or_b32 exec_lo, exec_lo, s14
.LBB343_401:                            ;   in Loop: Header=BB343_225 Depth=1
	s_or_b32 exec_lo, exec_lo, s13
	s_mov_b32 s13, exec_lo
	v_cmpx_lt_u64_e64 s[4:5], v[16:17]
	s_cbranch_execz .LBB343_409
; %bb.402:                              ;   in Loop: Header=BB343_225 Depth=1
	v_cmp_ne_u32_sdwa s0, v17, v29 src0_sel:BYTE_3 src1_sel:DWORD
	v_bfrev_b32_e32 v19, 1
	s_and_saveexec_b32 s14, s0
	s_cbranch_execz .LBB343_408
; %bb.403:                              ;   in Loop: Header=BB343_225 Depth=1
	v_bfe_u32 v61, v17, 24, 7
	v_mov_b32_e32 v19, 0x7f800001
	s_mov_b32 s15, exec_lo
	v_cmpx_ne_u32_e32 0x7f, v61
	s_cbranch_execz .LBB343_407
; %bb.404:                              ;   in Loop: Header=BB343_225 Depth=1
	v_and_b32_sdwa v10, v17, v32 dst_sel:DWORD dst_unused:UNUSED_PAD src0_sel:BYTE_3 src1_sel:DWORD
	v_lshrrev_b32_e32 v16, 3, v61
	s_mov_b32 s16, exec_lo
	v_cmpx_gt_u32_e32 8, v61
; %bb.405:                              ;   in Loop: Header=BB343_225 Depth=1
	v_ffbh_u32_e32 v16, v10
	v_min_u32_e32 v16, 32, v16
	v_subrev_nc_u32_e32 v19, 28, v16
	v_sub_nc_u32_e32 v16, 29, v16
	v_lshlrev_b64 v[61:62], v19, v[10:11]
	v_and_b32_e32 v10, 7, v61
; %bb.406:                              ;   in Loop: Header=BB343_225 Depth=1
	s_or_b32 exec_lo, exec_lo, s16
	v_lshlrev_b32_sdwa v17, v33, v17 dst_sel:DWORD dst_unused:UNUSED_PAD src0_sel:DWORD src1_sel:BYTE_3
	v_lshlrev_b32_e32 v10, 20, v10
	v_lshl_add_u32 v16, v16, 23, 0x3c000000
	v_and_b32_e32 v17, 0x80000000, v17
	v_or3_b32 v19, v10, v17, v16
.LBB343_407:                            ;   in Loop: Header=BB343_225 Depth=1
	s_or_b32 exec_lo, exec_lo, s15
.LBB343_408:                            ;   in Loop: Header=BB343_225 Depth=1
	s_or_b32 exec_lo, exec_lo, s14
.LBB343_409:                            ;   in Loop: Header=BB343_225 Depth=1
	s_or_b32 exec_lo, exec_lo, s13
	v_mul_f32_e32 v10, s6, v18
	v_mul_f32_e32 v16, s6, v59
	;; [unrolled: 1-line block ×5, first 2 shown]
	v_bfe_u32 v57, v10, 16, 1
	v_or_b32_e32 v58, 0x400000, v10
	v_bfe_u32 v59, v16, 16, 1
	v_cmp_u_f32_e64 s0, v10, v10
	v_or_b32_e32 v61, 0x400000, v16
	v_add3_u32 v57, v57, v10, 0x7fff
	v_bfe_u32 v62, v17, 16, 1
	v_add3_u32 v59, v59, v16, 0x7fff
	v_or_b32_e32 v63, 0x400000, v17
	v_bfe_u32 v64, v18, 16, 1
	v_cndmask_b32_e64 v10, v57, v58, s0
	v_cmp_u_f32_e64 s0, v16, v16
	v_add3_u32 v62, v62, v17, 0x7fff
	v_or_b32_e32 v58, 0x400000, v18
	v_add3_u32 v57, v64, v18, 0x7fff
	v_mul_f32_e32 v55, s6, v55
	v_cndmask_b32_e64 v16, v59, v61, s0
	v_cmp_u_f32_e64 s0, v17, v17
	v_bfe_u32 v59, v56, 16, 1
	v_mul_f32_e32 v19, s6, v19
	v_lshrrev_b32_e32 v10, 16, v10
	v_lshrrev_b32_e32 v16, 16, v16
	v_cndmask_b32_e64 v17, v62, v63, s0
	v_cmp_u_f32_e64 s0, v18, v18
	v_or_b32_e32 v63, 0x400000, v19
	v_lshrrev_b32_e32 v17, 16, v17
	v_cndmask_b32_e64 v18, v57, v58, s0
	v_mul_f32_e32 v57, s6, v60
	v_add3_u32 v58, v59, v56, 0x7fff
	v_or_b32_e32 v59, 0x400000, v56
	v_bfe_u32 v60, v55, 16, 1
	v_cmp_u_f32_e64 s0, v56, v56
	v_bfe_u32 v61, v57, 16, 1
	v_or_b32_e32 v62, 0x400000, v57
	v_cndmask_b32_e64 v56, v58, v59, s0
	v_add3_u32 v59, v60, v55, 0x7fff
	v_or_b32_e32 v60, 0x400000, v55
	v_cmp_u_f32_e64 s0, v55, v55
	v_bfe_u32 v58, v19, 16, 1
	v_add3_u32 v61, v61, v57, 0x7fff
	v_lshrrev_b32_e32 v55, 16, v18
	v_lshrrev_b32_e32 v56, 16, v56
	v_cndmask_b32_e64 v59, v59, v60, s0
	v_cmp_u_f32_e64 s0, v57, v57
	v_add3_u32 v58, v58, v19, 0x7fff
	v_lshrrev_b32_e32 v57, 16, v59
	v_cndmask_b32_e64 v60, v61, v62, s0
	v_cmp_u_f32_e64 s0, v19, v19
	v_lshrrev_b32_e32 v19, 16, v60
	v_cndmask_b32_e64 v58, v58, v63, s0
	v_lshrrev_b32_e32 v18, 16, v58
	s_and_saveexec_b32 s0, vcc_lo
	s_cbranch_execz .LBB343_224
; %bb.410:                              ;   in Loop: Header=BB343_225 Depth=1
	v_cmp_gt_i32_e32 vcc_lo, s27, v42
	v_cndmask_b32_e32 v57, 0, v57, vcc_lo
	v_cmp_gt_i32_e32 vcc_lo, s27, v48
	v_cndmask_b32_e32 v56, 0, v56, vcc_lo
	;; [unrolled: 2-line block ×8, first 2 shown]
	s_branch .LBB343_224
.LBB343_411:
	s_or_b32 exec_lo, exec_lo, s9
.LBB343_412:
	s_or_b32 exec_lo, exec_lo, s1
	v_lshl_add_u32 v2, v23, 2, 0xe0
	v_and_b32_e32 v3, 0x3c0, v0
	s_mov_b32 s0, exec_lo
	s_waitcnt_vscnt null, 0x0
	s_barrier
	v_mad_u32_u24 v1, 0x180, v22, v2
	buffer_gl0_inv
	v_cmpx_eq_u32_e32 64, v3
	s_cbranch_execz .LBB343_414
; %bb.413:
	v_add_nc_u32_e32 v3, 0xfffffd00, v1
	v_add_nc_u32_e32 v4, 0xfffffd80, v1
	;; [unrolled: 1-line block ×3, first 2 shown]
	ds_write_b32 v3, v26
	ds_write_b32 v4, v25
	;; [unrolled: 1-line block ×3, first 2 shown]
.LBB343_414:
	s_or_b32 exec_lo, exec_lo, s0
	s_mov_b32 s0, exec_lo
	s_waitcnt lgkmcnt(0)
	s_barrier
	buffer_gl0_inv
	v_cmpx_gt_u32_e32 64, v0
	s_cbranch_execz .LBB343_416
; %bb.415:
	ds_read2_b32 v[3:4], v1 offset1:32
	ds_read_b32 v5, v1 offset:256
	s_waitcnt lgkmcnt(1)
	v_add_f32_e32 v26, v26, v3
	v_add_f32_e32 v25, v25, v4
	s_waitcnt lgkmcnt(0)
	v_add_f32_e32 v24, v24, v5
.LBB343_416:
	s_or_b32 exec_lo, exec_lo, s0
	v_and_b32_e32 v3, 0x3e0, v0
	s_mov_b32 s0, exec_lo
	s_barrier
	buffer_gl0_inv
	v_cmpx_eq_u32_e32 32, v3
	s_cbranch_execz .LBB343_418
; %bb.417:
	ds_write2_b32 v2, v26, v25 offset1:32
	ds_write_b32 v2, v24 offset:256
.LBB343_418:
	s_or_b32 exec_lo, exec_lo, s0
	v_cmp_gt_u32_e32 vcc_lo, 32, v0
	s_waitcnt lgkmcnt(0)
	s_barrier
	buffer_gl0_inv
	s_and_saveexec_b32 s0, vcc_lo
	s_cbranch_execz .LBB343_420
; %bb.419:
	ds_read2_b32 v[2:3], v1 offset1:32
	ds_read_b32 v1, v1 offset:256
	s_waitcnt lgkmcnt(1)
	v_add_f32_e32 v26, v26, v2
	v_add_f32_e32 v25, v25, v3
	s_waitcnt lgkmcnt(0)
	v_add_f32_e32 v24, v24, v1
.LBB343_420:
	s_or_b32 exec_lo, exec_lo, s0
	s_barrier
	buffer_gl0_inv
	s_and_saveexec_b32 s0, vcc_lo
	s_cbranch_execz .LBB343_422
; %bb.421:
	v_bfe_u32 v1, v26, 16, 1
	s_mul_i32 s0, s2, 0x60
	v_bfe_u32 v2, v25, 16, 1
	v_or_b32_e32 v4, 0x400000, v26
	v_cmp_u_f32_e32 vcc_lo, v26, v26
	v_add3_u32 v1, v1, v26, 0x7fff
	s_ashr_i32 s1, s0, 31
	s_mul_i32 s2, s7, s10
	s_lshl_b64 s[0:1], s[0:1], 1
	v_bfe_u32 v3, v24, 16, 1
	s_add_u32 s4, s24, s0
	v_add3_u32 v2, v2, v25, 0x7fff
	v_or_b32_e32 v5, 0x400000, v25
	v_cndmask_b32_e32 v1, v1, v4, vcc_lo
	v_cmp_u_f32_e32 vcc_lo, v25, v25
	s_addc_u32 s1, s25, s1
	s_ashr_i32 s3, s2, 31
	s_mul_i32 s0, s8, 0x60
	s_lshl_b64 s[2:3], s[2:3], 1
	v_add3_u32 v3, v3, v24, 0x7fff
	s_add_u32 s2, s4, s2
	v_or_b32_e32 v6, 0x400000, v24
	v_cndmask_b32_e32 v2, v2, v5, vcc_lo
	v_cmp_u_f32_e32 vcc_lo, v24, v24
	s_addc_u32 s3, s1, s3
	s_ashr_i32 s1, s0, 31
	v_lshlrev_b32_e32 v0, 1, v0
	s_lshl_b64 s[0:1], s[0:1], 1
	v_cndmask_b32_e32 v3, v3, v6, vcc_lo
	s_add_u32 s0, s2, s0
	s_addc_u32 s1, s3, s1
	global_store_short_d16_hi v0, v1, s[0:1]
	global_store_short_d16_hi v0, v2, s[0:1] offset:64
	global_store_short_d16_hi v0, v3, s[0:1] offset:128
.LBB343_422:
	s_endpgm
	.section	.rodata,"a",@progbits
	.p2align	6, 0x0
	.amdhsa_kernel _ZN4vllm25paged_attention_v2_kernelI14__hip_bfloat16hLi96ELi8ELi128ELNS_18Fp8KVCacheDataTypeE1ELb0ELi512EEEvPfS3_PT_PKS4_PKT0_SA_ifPKiSC_iPKfiiiSE_SE_iiiii
		.amdhsa_group_segment_fixed_size 224
		.amdhsa_private_segment_fixed_size 0
		.amdhsa_kernarg_size 400
		.amdhsa_user_sgpr_count 6
		.amdhsa_user_sgpr_private_segment_buffer 1
		.amdhsa_user_sgpr_dispatch_ptr 0
		.amdhsa_user_sgpr_queue_ptr 0
		.amdhsa_user_sgpr_kernarg_segment_ptr 1
		.amdhsa_user_sgpr_dispatch_id 0
		.amdhsa_user_sgpr_flat_scratch_init 0
		.amdhsa_user_sgpr_private_segment_size 0
		.amdhsa_wavefront_size32 1
		.amdhsa_uses_dynamic_stack 0
		.amdhsa_system_sgpr_private_segment_wavefront_offset 0
		.amdhsa_system_sgpr_workgroup_id_x 1
		.amdhsa_system_sgpr_workgroup_id_y 1
		.amdhsa_system_sgpr_workgroup_id_z 1
		.amdhsa_system_sgpr_workgroup_info 0
		.amdhsa_system_vgpr_workitem_id 0
		.amdhsa_next_free_vgpr 90
		.amdhsa_next_free_sgpr 42
		.amdhsa_reserve_vcc 1
		.amdhsa_reserve_flat_scratch 0
		.amdhsa_float_round_mode_32 0
		.amdhsa_float_round_mode_16_64 0
		.amdhsa_float_denorm_mode_32 3
		.amdhsa_float_denorm_mode_16_64 3
		.amdhsa_dx10_clamp 1
		.amdhsa_ieee_mode 1
		.amdhsa_fp16_overflow 0
		.amdhsa_workgroup_processor_mode 1
		.amdhsa_memory_ordered 1
		.amdhsa_forward_progress 1
		.amdhsa_shared_vgpr_count 0
		.amdhsa_exception_fp_ieee_invalid_op 0
		.amdhsa_exception_fp_denorm_src 0
		.amdhsa_exception_fp_ieee_div_zero 0
		.amdhsa_exception_fp_ieee_overflow 0
		.amdhsa_exception_fp_ieee_underflow 0
		.amdhsa_exception_fp_ieee_inexact 0
		.amdhsa_exception_int_div_zero 0
	.end_amdhsa_kernel
	.section	.text._ZN4vllm25paged_attention_v2_kernelI14__hip_bfloat16hLi96ELi8ELi128ELNS_18Fp8KVCacheDataTypeE1ELb0ELi512EEEvPfS3_PT_PKS4_PKT0_SA_ifPKiSC_iPKfiiiSE_SE_iiiii,"axG",@progbits,_ZN4vllm25paged_attention_v2_kernelI14__hip_bfloat16hLi96ELi8ELi128ELNS_18Fp8KVCacheDataTypeE1ELb0ELi512EEEvPfS3_PT_PKS4_PKT0_SA_ifPKiSC_iPKfiiiSE_SE_iiiii,comdat
.Lfunc_end343:
	.size	_ZN4vllm25paged_attention_v2_kernelI14__hip_bfloat16hLi96ELi8ELi128ELNS_18Fp8KVCacheDataTypeE1ELb0ELi512EEEvPfS3_PT_PKS4_PKT0_SA_ifPKiSC_iPKfiiiSE_SE_iiiii, .Lfunc_end343-_ZN4vllm25paged_attention_v2_kernelI14__hip_bfloat16hLi96ELi8ELi128ELNS_18Fp8KVCacheDataTypeE1ELb0ELi512EEEvPfS3_PT_PKS4_PKT0_SA_ifPKiSC_iPKfiiiSE_SE_iiiii
                                        ; -- End function
	.set _ZN4vllm25paged_attention_v2_kernelI14__hip_bfloat16hLi96ELi8ELi128ELNS_18Fp8KVCacheDataTypeE1ELb0ELi512EEEvPfS3_PT_PKS4_PKT0_SA_ifPKiSC_iPKfiiiSE_SE_iiiii.num_vgpr, 90
	.set _ZN4vllm25paged_attention_v2_kernelI14__hip_bfloat16hLi96ELi8ELi128ELNS_18Fp8KVCacheDataTypeE1ELb0ELi512EEEvPfS3_PT_PKS4_PKT0_SA_ifPKiSC_iPKfiiiSE_SE_iiiii.num_agpr, 0
	.set _ZN4vllm25paged_attention_v2_kernelI14__hip_bfloat16hLi96ELi8ELi128ELNS_18Fp8KVCacheDataTypeE1ELb0ELi512EEEvPfS3_PT_PKS4_PKT0_SA_ifPKiSC_iPKfiiiSE_SE_iiiii.numbered_sgpr, 42
	.set _ZN4vllm25paged_attention_v2_kernelI14__hip_bfloat16hLi96ELi8ELi128ELNS_18Fp8KVCacheDataTypeE1ELb0ELi512EEEvPfS3_PT_PKS4_PKT0_SA_ifPKiSC_iPKfiiiSE_SE_iiiii.num_named_barrier, 0
	.set _ZN4vllm25paged_attention_v2_kernelI14__hip_bfloat16hLi96ELi8ELi128ELNS_18Fp8KVCacheDataTypeE1ELb0ELi512EEEvPfS3_PT_PKS4_PKT0_SA_ifPKiSC_iPKfiiiSE_SE_iiiii.private_seg_size, 0
	.set _ZN4vllm25paged_attention_v2_kernelI14__hip_bfloat16hLi96ELi8ELi128ELNS_18Fp8KVCacheDataTypeE1ELb0ELi512EEEvPfS3_PT_PKS4_PKT0_SA_ifPKiSC_iPKfiiiSE_SE_iiiii.uses_vcc, 1
	.set _ZN4vllm25paged_attention_v2_kernelI14__hip_bfloat16hLi96ELi8ELi128ELNS_18Fp8KVCacheDataTypeE1ELb0ELi512EEEvPfS3_PT_PKS4_PKT0_SA_ifPKiSC_iPKfiiiSE_SE_iiiii.uses_flat_scratch, 0
	.set _ZN4vllm25paged_attention_v2_kernelI14__hip_bfloat16hLi96ELi8ELi128ELNS_18Fp8KVCacheDataTypeE1ELb0ELi512EEEvPfS3_PT_PKS4_PKT0_SA_ifPKiSC_iPKfiiiSE_SE_iiiii.has_dyn_sized_stack, 0
	.set _ZN4vllm25paged_attention_v2_kernelI14__hip_bfloat16hLi96ELi8ELi128ELNS_18Fp8KVCacheDataTypeE1ELb0ELi512EEEvPfS3_PT_PKS4_PKT0_SA_ifPKiSC_iPKfiiiSE_SE_iiiii.has_recursion, 0
	.set _ZN4vllm25paged_attention_v2_kernelI14__hip_bfloat16hLi96ELi8ELi128ELNS_18Fp8KVCacheDataTypeE1ELb0ELi512EEEvPfS3_PT_PKS4_PKT0_SA_ifPKiSC_iPKfiiiSE_SE_iiiii.has_indirect_call, 0
	.section	.AMDGPU.csdata,"",@progbits
; Kernel info:
; codeLenInByte = 16536
; TotalNumSgprs: 44
; NumVgprs: 90
; ScratchSize: 0
; MemoryBound: 0
; FloatMode: 240
; IeeeMode: 1
; LDSByteSize: 224 bytes/workgroup (compile time only)
; SGPRBlocks: 0
; VGPRBlocks: 11
; NumSGPRsForWavesPerEU: 44
; NumVGPRsForWavesPerEU: 90
; Occupancy: 10
; WaveLimiterHint : 1
; COMPUTE_PGM_RSRC2:SCRATCH_EN: 0
; COMPUTE_PGM_RSRC2:USER_SGPR: 6
; COMPUTE_PGM_RSRC2:TRAP_HANDLER: 0
; COMPUTE_PGM_RSRC2:TGID_X_EN: 1
; COMPUTE_PGM_RSRC2:TGID_Y_EN: 1
; COMPUTE_PGM_RSRC2:TGID_Z_EN: 1
; COMPUTE_PGM_RSRC2:TIDIG_COMP_CNT: 0
	.section	.text._ZN4vllm25paged_attention_v2_kernelI14__hip_bfloat16hLi112ELi8ELi128ELNS_18Fp8KVCacheDataTypeE1ELb0ELi512EEEvPfS3_PT_PKS4_PKT0_SA_ifPKiSC_iPKfiiiSE_SE_iiiii,"axG",@progbits,_ZN4vllm25paged_attention_v2_kernelI14__hip_bfloat16hLi112ELi8ELi128ELNS_18Fp8KVCacheDataTypeE1ELb0ELi512EEEvPfS3_PT_PKS4_PKT0_SA_ifPKiSC_iPKfiiiSE_SE_iiiii,comdat
	.protected	_ZN4vllm25paged_attention_v2_kernelI14__hip_bfloat16hLi112ELi8ELi128ELNS_18Fp8KVCacheDataTypeE1ELb0ELi512EEEvPfS3_PT_PKS4_PKT0_SA_ifPKiSC_iPKfiiiSE_SE_iiiii ; -- Begin function _ZN4vllm25paged_attention_v2_kernelI14__hip_bfloat16hLi112ELi8ELi128ELNS_18Fp8KVCacheDataTypeE1ELb0ELi512EEEvPfS3_PT_PKS4_PKT0_SA_ifPKiSC_iPKfiiiSE_SE_iiiii
	.globl	_ZN4vllm25paged_attention_v2_kernelI14__hip_bfloat16hLi112ELi8ELi128ELNS_18Fp8KVCacheDataTypeE1ELb0ELi512EEEvPfS3_PT_PKS4_PKT0_SA_ifPKiSC_iPKfiiiSE_SE_iiiii
	.p2align	8
	.type	_ZN4vllm25paged_attention_v2_kernelI14__hip_bfloat16hLi112ELi8ELi128ELNS_18Fp8KVCacheDataTypeE1ELb0ELi512EEEvPfS3_PT_PKS4_PKT0_SA_ifPKiSC_iPKfiiiSE_SE_iiiii,@function
_ZN4vllm25paged_attention_v2_kernelI14__hip_bfloat16hLi112ELi8ELi128ELNS_18Fp8KVCacheDataTypeE1ELb0ELi512EEEvPfS3_PT_PKS4_PKT0_SA_ifPKiSC_iPKfiiiSE_SE_iiiii: ; @_ZN4vllm25paged_attention_v2_kernelI14__hip_bfloat16hLi112ELi8ELi128ELNS_18Fp8KVCacheDataTypeE1ELb0ELi512EEEvPfS3_PT_PKS4_PKT0_SA_ifPKiSC_iPKfiiiSE_SE_iiiii
; %bb.0:
	s_load_dwordx2 s[0:1], s[4:5], 0x40
	s_mov_b32 s26, s7
	s_ashr_i32 s27, s7, 31
	s_lshl_b64 s[2:3], s[26:27], 2
	s_waitcnt lgkmcnt(0)
	s_add_u32 s0, s0, s2
	s_addc_u32 s1, s1, s3
	s_lshl_b32 s33, s8, 9
	s_load_dword s27, s[0:1], 0x0
	s_waitcnt lgkmcnt(0)
	s_cmp_ge_i32 s33, s27
	s_cbranch_scc1 .LBB344_525
; %bb.1:
	s_clause 0x1
	s_load_dword s9, s[4:5], 0x90
	s_load_dwordx2 s[36:37], s[4:5], 0x30
	s_waitcnt lgkmcnt(0)
	s_abs_i32 s3, s9
	s_abs_i32 s0, s36
	v_cvt_f32_u32_e32 v1, s0
	s_sub_i32 s2, 0, s0
	v_rcp_iflag_f32_e32 v1, v1
	v_mul_f32_e32 v1, 0x4f7ffffe, v1
	v_cvt_u32_f32_e32 v1, v1
	v_readfirstlane_b32 s1, v1
	s_mul_i32 s2, s2, s1
	s_mul_hi_u32 s2, s1, s2
	s_add_i32 s1, s1, s2
	s_xor_b32 s2, s9, s36
	s_mul_hi_u32 s1, s3, s1
	s_ashr_i32 s2, s2, 31
	s_mul_i32 s7, s1, s0
	s_mov_b32 s36, 0
	s_sub_i32 s3, s3, s7
	s_add_i32 s7, s1, 1
	s_sub_i32 s10, s3, s0
	s_cmp_ge_u32 s3, s0
	s_cselect_b32 s1, s7, s1
	s_cselect_b32 s3, s10, s3
	s_add_i32 s7, s1, 1
	s_cmp_ge_u32 s3, s0
	s_cselect_b32 s0, s7, s1
	s_abs_i32 s16, s6
	s_xor_b32 s0, s0, s2
	s_sub_i32 s10, s0, s2
	s_load_dwordx2 s[0:1], s[4:5], 0x50
	s_abs_i32 s2, s10
	v_cvt_f32_u32_e32 v1, s2
	s_sub_i32 s7, 0, s2
	v_rcp_iflag_f32_e32 v1, v1
	v_mul_f32_e32 v1, 0x4f7ffffe, v1
	v_cvt_u32_f32_e32 v1, v1
	v_readfirstlane_b32 s3, v1
	s_mul_i32 s7, s7, s3
	s_mul_hi_u32 s7, s3, s7
	s_add_i32 s3, s3, s7
	s_waitcnt lgkmcnt(0)
	s_cmp_eq_u64 s[0:1], 0
	s_mul_hi_u32 s3, s16, s3
	s_cbranch_scc1 .LBB344_3
; %bb.2:
	s_ashr_i32 s7, s6, 31
	s_lshl_b64 s[12:13], s[6:7], 2
	s_add_u32 s0, s0, s12
	s_addc_u32 s1, s1, s13
	s_load_dword s36, s[0:1], 0x0
.LBB344_3:
	s_load_dwordx4 s[12:15], s[4:5], 0x58
	v_and_b32_e32 v1, 3, v0
	s_ashr_i32 s0, s6, 31
	s_ashr_i32 s1, s10, 31
	s_mul_i32 s10, s6, 0x70
	s_mov_b32 s7, exec_lo
	v_cmpx_gt_u32_e32 56, v0
	s_cbranch_execz .LBB344_5
; %bb.4:
	s_load_dwordx2 s[18:19], s[4:5], 0x18
	s_waitcnt lgkmcnt(0)
	s_mul_i32 s20, s12, s26
	v_lshlrev_b32_e32 v2, 2, v0
	s_ashr_i32 s21, s20, 31
	v_and_b32_e32 v3, 0x3fc, v0
	s_lshl_b64 s[20:21], s[20:21], 1
	v_mad_u32_u24 v3, v1, 56, v3
	s_add_u32 s12, s18, s20
	s_addc_u32 s15, s19, s21
	s_ashr_i32 s11, s10, 31
	s_lshl_b64 s[18:19], s[10:11], 1
	s_add_u32 s18, s12, s18
	s_addc_u32 s19, s15, s19
	global_load_dword v2, v2, s[18:19]
	s_waitcnt vmcnt(0)
	ds_write_b32 v3, v2
.LBB344_5:
	s_or_b32 exec_lo, exec_lo, s7
	s_add_i32 s7, s27, 7
	s_clause 0x1
	s_load_dwordx2 s[28:29], s[4:5], 0x38
	s_load_dword s17, s[4:5], 0x48
	s_ashr_i32 s11, s7, 31
	s_waitcnt lgkmcnt(0)
	s_lshl_b32 s15, s8, 6
	s_lshr_b32 s11, s11, 29
	s_xor_b32 s0, s0, s1
	s_add_i32 s7, s7, s11
	s_add_i32 s1, s15, 64
	s_ashr_i32 s7, s7, 3
	s_mul_i32 s11, s3, s2
	s_min_i32 s12, s1, s7
	s_sub_i32 s1, s16, s11
	s_add_i32 s11, s3, 1
	s_sub_i32 s16, s1, s2
	s_cmp_ge_u32 s1, s2
	v_lshrrev_b32_e32 v22, 5, v0
	s_cselect_b32 s3, s11, s3
	s_cselect_b32 s1, s16, s1
	s_add_i32 s11, s3, 1
	s_cmp_ge_u32 s1, s2
	v_or_b32_e32 v9, s15, v22
	s_cselect_b32 s1, s11, s3
	v_mbcnt_lo_u32_b32 v11, -1, 0
	s_xor_b32 s1, s1, s0
	s_mul_i32 s30, s17, s26
	s_sub_i32 s1, s1, s0
	v_cmp_gt_i32_e64 s0, s12, v9
	s_ashr_i32 s31, s30, 31
	s_mov_b32 s2, exec_lo
	s_barrier
	buffer_gl0_inv
                                        ; implicit-def: $vgpr2
                                        ; implicit-def: $vgpr13
	v_cmpx_le_i32_e64 s12, v9
	s_xor_b32 s2, exec_lo, s2
; %bb.6:
	v_mov_b32_e32 v2, 0
	v_mbcnt_lo_u32_b32 v11, -1, 0
	v_mov_b32_e32 v13, 32
                                        ; implicit-def: $vgpr1
; %bb.7:
	s_or_saveexec_b32 s38, s2
	s_clause 0x4
	s_load_dwordx4 s[20:23], s[4:5], 0x0
	s_load_dwordx2 s[24:25], s[4:5], 0x10
	s_load_dword s11, s[4:5], 0x98
	s_load_dwordx2 s[34:35], s[4:5], 0x28
	s_load_dwordx4 s[16:19], s[4:5], 0x68
	v_mov_b32_e32 v41, 0xff7fffff
	v_ashrrev_i32_e32 v10, 31, v9
	v_lshlrev_b32_e32 v12, 3, v22
	s_mul_i32 s14, s1, s14
	s_xor_b32 exec_lo, exec_lo, s38
	s_cbranch_execz .LBB344_237
; %bb.8:
	v_mul_u32_u24_e32 v7, 56, v1
	s_load_dwordx2 s[2:3], s[4:5], 0x20
	v_bfe_u32 v41, v0, 2, 3
	s_ashr_i32 s1, s14, 31
	v_lshlrev_b32_e32 v46, 1, v1
	ds_read2_b64 v[3:6], v7 offset1:1
	ds_read2_b64 v[27:30], v7 offset0:2 offset1:3
	ds_read2_b64 v[35:38], v7 offset0:4 offset1:5
	ds_read_b64 v[7:8], v7 offset:48
	v_lshlrev_b32_e32 v13, 4, v41
	s_waitcnt lgkmcnt(0)
	s_load_dword s4, s[16:17], 0x0
	v_mov_b32_e32 v2, 0
	v_mov_b32_e32 v49, 0xffff
	;; [unrolled: 1-line block ×3, first 2 shown]
	s_mov_b32 s17, s13
	s_mov_b32 s16, 0
	s_add_u32 s2, s2, s14
	s_addc_u32 s1, s3, s1
	v_add_co_u32 v47, s2, s2, v13
	v_lshlrev_b32_e32 v14, 16, v3
	v_and_b32_e32 v15, 0xffff0000, v3
	v_xor_b32_e32 v3, 2, v11
	v_lshlrev_b32_e32 v16, 16, v4
	v_and_b32_e32 v17, 0xffff0000, v4
	v_xor_b32_e32 v4, 1, v11
	v_add_co_ci_u32_e64 v48, null, s1, 0, s2
	v_cmp_gt_i32_e32 vcc_lo, 32, v3
	v_lshlrev_b32_e32 v18, 16, v5
	v_and_b32_e32 v19, 0xffff0000, v5
	v_lshlrev_b32_e32 v20, 16, v6
	v_and_b32_e32 v21, 0xffff0000, v6
	v_cndmask_b32_e32 v3, v11, v3, vcc_lo
	v_cmp_gt_i32_e32 vcc_lo, 32, v4
	v_lshlrev_b64 v[5:6], 2, v[9:10]
	s_sub_i32 s5, 1, s27
	v_lshlrev_b32_e32 v23, 16, v27
	v_lshlrev_b32_e32 v44, 2, v3
	v_cndmask_b32_e32 v4, v11, v4, vcc_lo
	v_cmp_eq_u32_e32 vcc_lo, 0, v1
	v_lshlrev_b32_e32 v1, 2, v41
	v_add_co_u32 v3, s2, v47, v46
	v_lshlrev_b32_e32 v45, 2, v4
	v_add_co_ci_u32_e64 v4, null, 0, v48, s2
	s_lshl_b64 s[2:3], s[30:31], 2
	v_lshl_or_b32 v1, v22, 5, v1
	s_add_u32 s2, s28, s2
	s_addc_u32 s3, s29, s3
	v_add_co_u32 v5, s2, s2, v5
	v_and_b32_e32 v24, 0xffff0000, v27
	v_lshlrev_b32_e32 v25, 16, v28
	v_and_b32_e32 v26, 0xffff0000, v28
	v_lshlrev_b32_e32 v27, 16, v29
	;; [unrolled: 2-line block ×9, first 2 shown]
	v_and_b32_e32 v43, 0xffff0000, v8
	v_mov_b32_e32 v13, 32
	v_cmp_neq_f32_e64 s1, s36, 0
	v_add3_u32 v46, s33, v12, v41
	v_add_nc_u32_e32 v47, 0x100, v1
	v_add_co_ci_u32_e64 v6, null, s3, v6, s2
	v_mov_b32_e32 v41, 0xff7fffff
	v_mov_b32_e32 v48, 0x80
	s_branch .LBB344_10
.LBB344_9:                              ;   in Loop: Header=BB344_10 Depth=1
	s_or_b32 exec_lo, exec_lo, s3
	v_add_nc_u32_e32 v50, 4, v50
	v_add_co_u32 v5, s3, v5, 16
	v_add_nc_u32_e32 v46, 32, v46
	v_add_nc_u32_e32 v47, 0x80, v47
	v_cmp_le_i32_e64 s2, s12, v50
	v_add_co_ci_u32_e64 v6, null, 0, v6, s3
	s_or_b32 s16, s2, s16
	s_andn2_b32 exec_lo, exec_lo, s16
	s_cbranch_execz .LBB344_236
.LBB344_10:                             ; =>This Inner Loop Header: Depth=1
	global_load_dword v1, v[5:6], off
	v_mov_b32_e32 v51, 0
	s_waitcnt vmcnt(0) lgkmcnt(0)
	v_mad_i64_i32 v[7:8], null, v1, s17, v[3:4]
	global_load_ushort v1, v[7:8], off
	s_waitcnt vmcnt(0)
	v_and_b32_e32 v53, 0xffff, v1
	v_cmp_ne_u16_sdwa s2, v1, v2 src0_sel:BYTE_0 src1_sel:DWORD
	s_and_saveexec_b32 s3, s2
	s_cbranch_execz .LBB344_18
; %bb.11:                               ;   in Loop: Header=BB344_10 Depth=1
	v_cmp_ne_u16_sdwa s2, v53, v48 src0_sel:BYTE_0 src1_sel:DWORD
	v_bfrev_b32_e32 v51, 1
	s_and_saveexec_b32 s39, s2
	s_cbranch_execz .LBB344_17
; %bb.12:                               ;   in Loop: Header=BB344_10 Depth=1
	v_and_b32_e32 v52, 0x7f, v53
	v_mov_b32_e32 v51, 0x7f800001
	s_mov_b32 s40, exec_lo
	v_cmpx_ne_u32_e32 0x7f, v52
	s_cbranch_execz .LBB344_16
; %bb.13:                               ;   in Loop: Header=BB344_10 Depth=1
	v_and_b32_e32 v1, 7, v53
	v_lshrrev_b32_e32 v51, 3, v52
	s_mov_b32 s41, exec_lo
	v_cmpx_gt_u32_e32 8, v52
; %bb.14:                               ;   in Loop: Header=BB344_10 Depth=1
	v_ffbh_u32_e32 v51, v1
	v_min_u32_e32 v51, 32, v51
	v_subrev_nc_u32_e32 v52, 28, v51
	v_sub_nc_u32_e32 v51, 29, v51
	v_lshlrev_b64 v[54:55], v52, v[1:2]
	v_and_b32_e32 v1, 7, v54
; %bb.15:                               ;   in Loop: Header=BB344_10 Depth=1
	s_or_b32 exec_lo, exec_lo, s41
	v_lshlrev_b32_e32 v52, 24, v53
	v_lshlrev_b32_e32 v1, 20, v1
	v_lshl_add_u32 v51, v51, 23, 0x3c000000
	v_and_b32_e32 v52, 0x80000000, v52
	v_or3_b32 v51, v1, v52, v51
.LBB344_16:                             ;   in Loop: Header=BB344_10 Depth=1
	s_or_b32 exec_lo, exec_lo, s40
.LBB344_17:                             ;   in Loop: Header=BB344_10 Depth=1
	s_or_b32 exec_lo, exec_lo, s39
.LBB344_18:                             ;   in Loop: Header=BB344_10 Depth=1
	s_or_b32 exec_lo, exec_lo, s3
	v_cmp_ne_u16_sdwa s2, v53, v2 src0_sel:BYTE_1 src1_sel:DWORD
	v_mov_b32_e32 v52, 0
	s_and_saveexec_b32 s3, s2
	s_cbranch_execz .LBB344_26
; %bb.19:                               ;   in Loop: Header=BB344_10 Depth=1
	v_cmp_ne_u16_sdwa s2, v53, v48 src0_sel:BYTE_1 src1_sel:DWORD
	v_bfrev_b32_e32 v52, 1
	s_and_saveexec_b32 s39, s2
	s_cbranch_execz .LBB344_25
; %bb.20:                               ;   in Loop: Header=BB344_10 Depth=1
	v_and_b32_sdwa v1, v49, v53 dst_sel:DWORD dst_unused:UNUSED_PAD src0_sel:DWORD src1_sel:BYTE_1
	v_mov_b32_e32 v52, 0x7f800001
	s_mov_b32 s40, exec_lo
	v_and_b32_e32 v54, 0x7f, v1
	v_cmpx_ne_u32_e32 0x7f, v54
	s_cbranch_execz .LBB344_24
; %bb.21:                               ;   in Loop: Header=BB344_10 Depth=1
	v_and_b32_e32 v1, 7, v1
	v_lshrrev_b32_e32 v52, 3, v54
	s_mov_b32 s41, exec_lo
	v_cmpx_gt_u32_e32 8, v54
; %bb.22:                               ;   in Loop: Header=BB344_10 Depth=1
	v_ffbh_u32_e32 v52, v1
	v_min_u32_e32 v52, 32, v52
	v_subrev_nc_u32_e32 v54, 28, v52
	v_sub_nc_u32_e32 v52, 29, v52
	v_lshlrev_b64 v[54:55], v54, v[1:2]
	v_and_b32_e32 v1, 7, v54
; %bb.23:                               ;   in Loop: Header=BB344_10 Depth=1
	s_or_b32 exec_lo, exec_lo, s41
	v_lshlrev_b32_e32 v53, 16, v53
	v_lshlrev_b32_e32 v1, 20, v1
	v_lshl_add_u32 v52, v52, 23, 0x3c000000
	v_and_b32_e32 v53, 0x80000000, v53
	v_or3_b32 v52, v1, v53, v52
.LBB344_24:                             ;   in Loop: Header=BB344_10 Depth=1
	s_or_b32 exec_lo, exec_lo, s40
.LBB344_25:                             ;   in Loop: Header=BB344_10 Depth=1
	s_or_b32 exec_lo, exec_lo, s39
.LBB344_26:                             ;   in Loop: Header=BB344_10 Depth=1
	s_or_b32 exec_lo, exec_lo, s3
	global_load_ushort v1, v[7:8], off offset:8
	v_mov_b32_e32 v54, 0
	v_mov_b32_e32 v53, 0
	s_waitcnt vmcnt(0)
	v_and_b32_e32 v55, 0xffff, v1
	v_cmp_ne_u16_sdwa s2, v1, v2 src0_sel:BYTE_0 src1_sel:DWORD
	s_and_saveexec_b32 s3, s2
	s_cbranch_execz .LBB344_34
; %bb.27:                               ;   in Loop: Header=BB344_10 Depth=1
	v_cmp_ne_u16_sdwa s2, v55, v48 src0_sel:BYTE_0 src1_sel:DWORD
	v_bfrev_b32_e32 v53, 1
	s_and_saveexec_b32 s39, s2
	s_cbranch_execz .LBB344_33
; %bb.28:                               ;   in Loop: Header=BB344_10 Depth=1
	v_and_b32_e32 v56, 0x7f, v55
	v_mov_b32_e32 v53, 0x7f800001
	s_mov_b32 s40, exec_lo
	v_cmpx_ne_u32_e32 0x7f, v56
	s_cbranch_execz .LBB344_32
; %bb.29:                               ;   in Loop: Header=BB344_10 Depth=1
	v_and_b32_e32 v1, 7, v55
	v_lshrrev_b32_e32 v53, 3, v56
	s_mov_b32 s41, exec_lo
	v_cmpx_gt_u32_e32 8, v56
; %bb.30:                               ;   in Loop: Header=BB344_10 Depth=1
	v_ffbh_u32_e32 v53, v1
	v_min_u32_e32 v53, 32, v53
	v_subrev_nc_u32_e32 v56, 28, v53
	v_sub_nc_u32_e32 v53, 29, v53
	v_lshlrev_b64 v[56:57], v56, v[1:2]
	v_and_b32_e32 v1, 7, v56
; %bb.31:                               ;   in Loop: Header=BB344_10 Depth=1
	s_or_b32 exec_lo, exec_lo, s41
	v_lshlrev_b32_e32 v56, 24, v55
	v_lshlrev_b32_e32 v1, 20, v1
	v_lshl_add_u32 v53, v53, 23, 0x3c000000
	v_and_b32_e32 v56, 0x80000000, v56
	v_or3_b32 v53, v1, v56, v53
.LBB344_32:                             ;   in Loop: Header=BB344_10 Depth=1
	s_or_b32 exec_lo, exec_lo, s40
.LBB344_33:                             ;   in Loop: Header=BB344_10 Depth=1
	s_or_b32 exec_lo, exec_lo, s39
.LBB344_34:                             ;   in Loop: Header=BB344_10 Depth=1
	s_or_b32 exec_lo, exec_lo, s3
	v_cmp_ne_u16_sdwa s2, v55, v2 src0_sel:BYTE_1 src1_sel:DWORD
	s_and_saveexec_b32 s3, s2
	s_cbranch_execz .LBB344_42
; %bb.35:                               ;   in Loop: Header=BB344_10 Depth=1
	v_cmp_ne_u16_sdwa s2, v55, v48 src0_sel:BYTE_1 src1_sel:DWORD
	v_bfrev_b32_e32 v54, 1
	s_and_saveexec_b32 s39, s2
	s_cbranch_execz .LBB344_41
; %bb.36:                               ;   in Loop: Header=BB344_10 Depth=1
	v_and_b32_sdwa v1, v49, v55 dst_sel:DWORD dst_unused:UNUSED_PAD src0_sel:DWORD src1_sel:BYTE_1
	v_mov_b32_e32 v54, 0x7f800001
	s_mov_b32 s40, exec_lo
	v_and_b32_e32 v56, 0x7f, v1
	v_cmpx_ne_u32_e32 0x7f, v56
	s_cbranch_execz .LBB344_40
; %bb.37:                               ;   in Loop: Header=BB344_10 Depth=1
	v_and_b32_e32 v1, 7, v1
	v_lshrrev_b32_e32 v54, 3, v56
	s_mov_b32 s41, exec_lo
	v_cmpx_gt_u32_e32 8, v56
; %bb.38:                               ;   in Loop: Header=BB344_10 Depth=1
	v_ffbh_u32_e32 v54, v1
	v_min_u32_e32 v54, 32, v54
	v_subrev_nc_u32_e32 v56, 28, v54
	v_sub_nc_u32_e32 v54, 29, v54
	v_lshlrev_b64 v[56:57], v56, v[1:2]
	v_and_b32_e32 v1, 7, v56
; %bb.39:                               ;   in Loop: Header=BB344_10 Depth=1
	s_or_b32 exec_lo, exec_lo, s41
	v_lshlrev_b32_e32 v55, 16, v55
	v_lshlrev_b32_e32 v1, 20, v1
	v_lshl_add_u32 v54, v54, 23, 0x3c000000
	v_and_b32_e32 v55, 0x80000000, v55
	v_or3_b32 v54, v1, v55, v54
.LBB344_40:                             ;   in Loop: Header=BB344_10 Depth=1
	s_or_b32 exec_lo, exec_lo, s40
.LBB344_41:                             ;   in Loop: Header=BB344_10 Depth=1
	s_or_b32 exec_lo, exec_lo, s39
.LBB344_42:                             ;   in Loop: Header=BB344_10 Depth=1
	s_or_b32 exec_lo, exec_lo, s3
	global_load_ushort v1, v[7:8], off offset:128
	v_mov_b32_e32 v56, 0
	v_mov_b32_e32 v55, 0
	s_waitcnt vmcnt(0)
	v_and_b32_e32 v57, 0xffff, v1
	v_cmp_ne_u16_sdwa s2, v1, v2 src0_sel:BYTE_0 src1_sel:DWORD
	s_and_saveexec_b32 s3, s2
	s_cbranch_execz .LBB344_50
; %bb.43:                               ;   in Loop: Header=BB344_10 Depth=1
	v_cmp_ne_u16_sdwa s2, v57, v48 src0_sel:BYTE_0 src1_sel:DWORD
	v_bfrev_b32_e32 v55, 1
	s_and_saveexec_b32 s39, s2
	s_cbranch_execz .LBB344_49
; %bb.44:                               ;   in Loop: Header=BB344_10 Depth=1
	v_and_b32_e32 v58, 0x7f, v57
	v_mov_b32_e32 v55, 0x7f800001
	s_mov_b32 s40, exec_lo
	v_cmpx_ne_u32_e32 0x7f, v58
	s_cbranch_execz .LBB344_48
; %bb.45:                               ;   in Loop: Header=BB344_10 Depth=1
	v_and_b32_e32 v1, 7, v57
	v_lshrrev_b32_e32 v55, 3, v58
	s_mov_b32 s41, exec_lo
	v_cmpx_gt_u32_e32 8, v58
; %bb.46:                               ;   in Loop: Header=BB344_10 Depth=1
	v_ffbh_u32_e32 v55, v1
	v_min_u32_e32 v55, 32, v55
	v_subrev_nc_u32_e32 v58, 28, v55
	v_sub_nc_u32_e32 v55, 29, v55
	v_lshlrev_b64 v[58:59], v58, v[1:2]
	v_and_b32_e32 v1, 7, v58
; %bb.47:                               ;   in Loop: Header=BB344_10 Depth=1
	s_or_b32 exec_lo, exec_lo, s41
	v_lshlrev_b32_e32 v58, 24, v57
	v_lshlrev_b32_e32 v1, 20, v1
	v_lshl_add_u32 v55, v55, 23, 0x3c000000
	v_and_b32_e32 v58, 0x80000000, v58
	v_or3_b32 v55, v1, v58, v55
.LBB344_48:                             ;   in Loop: Header=BB344_10 Depth=1
	s_or_b32 exec_lo, exec_lo, s40
.LBB344_49:                             ;   in Loop: Header=BB344_10 Depth=1
	s_or_b32 exec_lo, exec_lo, s39
.LBB344_50:                             ;   in Loop: Header=BB344_10 Depth=1
	s_or_b32 exec_lo, exec_lo, s3
	v_cmp_ne_u16_sdwa s2, v57, v2 src0_sel:BYTE_1 src1_sel:DWORD
	s_and_saveexec_b32 s3, s2
	s_cbranch_execz .LBB344_58
; %bb.51:                               ;   in Loop: Header=BB344_10 Depth=1
	v_cmp_ne_u16_sdwa s2, v57, v48 src0_sel:BYTE_1 src1_sel:DWORD
	v_bfrev_b32_e32 v56, 1
	s_and_saveexec_b32 s39, s2
	s_cbranch_execz .LBB344_57
; %bb.52:                               ;   in Loop: Header=BB344_10 Depth=1
	v_and_b32_sdwa v1, v49, v57 dst_sel:DWORD dst_unused:UNUSED_PAD src0_sel:DWORD src1_sel:BYTE_1
	v_mov_b32_e32 v56, 0x7f800001
	s_mov_b32 s40, exec_lo
	v_and_b32_e32 v58, 0x7f, v1
	v_cmpx_ne_u32_e32 0x7f, v58
	s_cbranch_execz .LBB344_56
; %bb.53:                               ;   in Loop: Header=BB344_10 Depth=1
	v_and_b32_e32 v1, 7, v1
	v_lshrrev_b32_e32 v56, 3, v58
	s_mov_b32 s41, exec_lo
	v_cmpx_gt_u32_e32 8, v58
; %bb.54:                               ;   in Loop: Header=BB344_10 Depth=1
	v_ffbh_u32_e32 v56, v1
	v_min_u32_e32 v56, 32, v56
	v_subrev_nc_u32_e32 v58, 28, v56
	v_sub_nc_u32_e32 v56, 29, v56
	v_lshlrev_b64 v[58:59], v58, v[1:2]
	v_and_b32_e32 v1, 7, v58
; %bb.55:                               ;   in Loop: Header=BB344_10 Depth=1
	s_or_b32 exec_lo, exec_lo, s41
	v_lshlrev_b32_e32 v57, 16, v57
	v_lshlrev_b32_e32 v1, 20, v1
	v_lshl_add_u32 v56, v56, 23, 0x3c000000
	v_and_b32_e32 v57, 0x80000000, v57
	v_or3_b32 v56, v1, v57, v56
.LBB344_56:                             ;   in Loop: Header=BB344_10 Depth=1
	s_or_b32 exec_lo, exec_lo, s40
.LBB344_57:                             ;   in Loop: Header=BB344_10 Depth=1
	s_or_b32 exec_lo, exec_lo, s39
.LBB344_58:                             ;   in Loop: Header=BB344_10 Depth=1
	s_or_b32 exec_lo, exec_lo, s3
	global_load_ushort v1, v[7:8], off offset:136
	v_mov_b32_e32 v58, 0
	v_mov_b32_e32 v57, 0
	s_waitcnt vmcnt(0)
	v_and_b32_e32 v59, 0xffff, v1
	v_cmp_ne_u16_sdwa s2, v1, v2 src0_sel:BYTE_0 src1_sel:DWORD
	s_and_saveexec_b32 s3, s2
	s_cbranch_execz .LBB344_66
; %bb.59:                               ;   in Loop: Header=BB344_10 Depth=1
	v_cmp_ne_u16_sdwa s2, v59, v48 src0_sel:BYTE_0 src1_sel:DWORD
	v_bfrev_b32_e32 v57, 1
	s_and_saveexec_b32 s39, s2
	s_cbranch_execz .LBB344_65
; %bb.60:                               ;   in Loop: Header=BB344_10 Depth=1
	v_and_b32_e32 v60, 0x7f, v59
	v_mov_b32_e32 v57, 0x7f800001
	s_mov_b32 s40, exec_lo
	v_cmpx_ne_u32_e32 0x7f, v60
	s_cbranch_execz .LBB344_64
; %bb.61:                               ;   in Loop: Header=BB344_10 Depth=1
	v_and_b32_e32 v1, 7, v59
	v_lshrrev_b32_e32 v57, 3, v60
	s_mov_b32 s41, exec_lo
	v_cmpx_gt_u32_e32 8, v60
; %bb.62:                               ;   in Loop: Header=BB344_10 Depth=1
	v_ffbh_u32_e32 v57, v1
	v_min_u32_e32 v57, 32, v57
	v_subrev_nc_u32_e32 v60, 28, v57
	v_sub_nc_u32_e32 v57, 29, v57
	v_lshlrev_b64 v[60:61], v60, v[1:2]
	v_and_b32_e32 v1, 7, v60
; %bb.63:                               ;   in Loop: Header=BB344_10 Depth=1
	s_or_b32 exec_lo, exec_lo, s41
	v_lshlrev_b32_e32 v60, 24, v59
	v_lshlrev_b32_e32 v1, 20, v1
	v_lshl_add_u32 v57, v57, 23, 0x3c000000
	v_and_b32_e32 v60, 0x80000000, v60
	v_or3_b32 v57, v1, v60, v57
.LBB344_64:                             ;   in Loop: Header=BB344_10 Depth=1
	s_or_b32 exec_lo, exec_lo, s40
.LBB344_65:                             ;   in Loop: Header=BB344_10 Depth=1
	s_or_b32 exec_lo, exec_lo, s39
.LBB344_66:                             ;   in Loop: Header=BB344_10 Depth=1
	s_or_b32 exec_lo, exec_lo, s3
	v_cmp_ne_u16_sdwa s2, v59, v2 src0_sel:BYTE_1 src1_sel:DWORD
	s_and_saveexec_b32 s3, s2
	s_cbranch_execz .LBB344_74
; %bb.67:                               ;   in Loop: Header=BB344_10 Depth=1
	v_cmp_ne_u16_sdwa s2, v59, v48 src0_sel:BYTE_1 src1_sel:DWORD
	v_bfrev_b32_e32 v58, 1
	s_and_saveexec_b32 s39, s2
	s_cbranch_execz .LBB344_73
; %bb.68:                               ;   in Loop: Header=BB344_10 Depth=1
	v_and_b32_sdwa v1, v49, v59 dst_sel:DWORD dst_unused:UNUSED_PAD src0_sel:DWORD src1_sel:BYTE_1
	v_mov_b32_e32 v58, 0x7f800001
	s_mov_b32 s40, exec_lo
	v_and_b32_e32 v60, 0x7f, v1
	v_cmpx_ne_u32_e32 0x7f, v60
	s_cbranch_execz .LBB344_72
; %bb.69:                               ;   in Loop: Header=BB344_10 Depth=1
	v_and_b32_e32 v1, 7, v1
	v_lshrrev_b32_e32 v58, 3, v60
	s_mov_b32 s41, exec_lo
	v_cmpx_gt_u32_e32 8, v60
; %bb.70:                               ;   in Loop: Header=BB344_10 Depth=1
	v_ffbh_u32_e32 v58, v1
	v_min_u32_e32 v58, 32, v58
	v_subrev_nc_u32_e32 v60, 28, v58
	v_sub_nc_u32_e32 v58, 29, v58
	v_lshlrev_b64 v[60:61], v60, v[1:2]
	v_and_b32_e32 v1, 7, v60
; %bb.71:                               ;   in Loop: Header=BB344_10 Depth=1
	s_or_b32 exec_lo, exec_lo, s41
	v_lshlrev_b32_e32 v59, 16, v59
	v_lshlrev_b32_e32 v1, 20, v1
	v_lshl_add_u32 v58, v58, 23, 0x3c000000
	v_and_b32_e32 v59, 0x80000000, v59
	v_or3_b32 v58, v1, v59, v58
.LBB344_72:                             ;   in Loop: Header=BB344_10 Depth=1
	s_or_b32 exec_lo, exec_lo, s40
.LBB344_73:                             ;   in Loop: Header=BB344_10 Depth=1
	s_or_b32 exec_lo, exec_lo, s39
.LBB344_74:                             ;   in Loop: Header=BB344_10 Depth=1
	s_or_b32 exec_lo, exec_lo, s3
	global_load_ushort v1, v[7:8], off offset:256
	v_mov_b32_e32 v60, 0
	v_mov_b32_e32 v59, 0
	s_waitcnt vmcnt(0)
	v_and_b32_e32 v61, 0xffff, v1
	v_cmp_ne_u16_sdwa s2, v1, v2 src0_sel:BYTE_0 src1_sel:DWORD
	s_and_saveexec_b32 s3, s2
	s_cbranch_execz .LBB344_82
; %bb.75:                               ;   in Loop: Header=BB344_10 Depth=1
	v_cmp_ne_u16_sdwa s2, v61, v48 src0_sel:BYTE_0 src1_sel:DWORD
	v_bfrev_b32_e32 v59, 1
	s_and_saveexec_b32 s39, s2
	s_cbranch_execz .LBB344_81
; %bb.76:                               ;   in Loop: Header=BB344_10 Depth=1
	v_and_b32_e32 v62, 0x7f, v61
	v_mov_b32_e32 v59, 0x7f800001
	s_mov_b32 s40, exec_lo
	v_cmpx_ne_u32_e32 0x7f, v62
	s_cbranch_execz .LBB344_80
; %bb.77:                               ;   in Loop: Header=BB344_10 Depth=1
	v_and_b32_e32 v1, 7, v61
	v_lshrrev_b32_e32 v59, 3, v62
	s_mov_b32 s41, exec_lo
	v_cmpx_gt_u32_e32 8, v62
; %bb.78:                               ;   in Loop: Header=BB344_10 Depth=1
	v_ffbh_u32_e32 v59, v1
	v_min_u32_e32 v59, 32, v59
	v_subrev_nc_u32_e32 v62, 28, v59
	v_sub_nc_u32_e32 v59, 29, v59
	v_lshlrev_b64 v[62:63], v62, v[1:2]
	v_and_b32_e32 v1, 7, v62
; %bb.79:                               ;   in Loop: Header=BB344_10 Depth=1
	s_or_b32 exec_lo, exec_lo, s41
	v_lshlrev_b32_e32 v62, 24, v61
	v_lshlrev_b32_e32 v1, 20, v1
	v_lshl_add_u32 v59, v59, 23, 0x3c000000
	v_and_b32_e32 v62, 0x80000000, v62
	v_or3_b32 v59, v1, v62, v59
.LBB344_80:                             ;   in Loop: Header=BB344_10 Depth=1
	s_or_b32 exec_lo, exec_lo, s40
.LBB344_81:                             ;   in Loop: Header=BB344_10 Depth=1
	s_or_b32 exec_lo, exec_lo, s39
.LBB344_82:                             ;   in Loop: Header=BB344_10 Depth=1
	s_or_b32 exec_lo, exec_lo, s3
	v_cmp_ne_u16_sdwa s2, v61, v2 src0_sel:BYTE_1 src1_sel:DWORD
	s_and_saveexec_b32 s3, s2
	s_cbranch_execz .LBB344_90
; %bb.83:                               ;   in Loop: Header=BB344_10 Depth=1
	v_cmp_ne_u16_sdwa s2, v61, v48 src0_sel:BYTE_1 src1_sel:DWORD
	v_bfrev_b32_e32 v60, 1
	s_and_saveexec_b32 s39, s2
	s_cbranch_execz .LBB344_89
; %bb.84:                               ;   in Loop: Header=BB344_10 Depth=1
	v_and_b32_sdwa v1, v49, v61 dst_sel:DWORD dst_unused:UNUSED_PAD src0_sel:DWORD src1_sel:BYTE_1
	v_mov_b32_e32 v60, 0x7f800001
	s_mov_b32 s40, exec_lo
	v_and_b32_e32 v62, 0x7f, v1
	v_cmpx_ne_u32_e32 0x7f, v62
	s_cbranch_execz .LBB344_88
; %bb.85:                               ;   in Loop: Header=BB344_10 Depth=1
	v_and_b32_e32 v1, 7, v1
	v_lshrrev_b32_e32 v60, 3, v62
	s_mov_b32 s41, exec_lo
	v_cmpx_gt_u32_e32 8, v62
; %bb.86:                               ;   in Loop: Header=BB344_10 Depth=1
	v_ffbh_u32_e32 v60, v1
	v_min_u32_e32 v60, 32, v60
	v_subrev_nc_u32_e32 v62, 28, v60
	v_sub_nc_u32_e32 v60, 29, v60
	v_lshlrev_b64 v[62:63], v62, v[1:2]
	v_and_b32_e32 v1, 7, v62
; %bb.87:                               ;   in Loop: Header=BB344_10 Depth=1
	s_or_b32 exec_lo, exec_lo, s41
	v_lshlrev_b32_e32 v61, 16, v61
	v_lshlrev_b32_e32 v1, 20, v1
	v_lshl_add_u32 v60, v60, 23, 0x3c000000
	v_and_b32_e32 v61, 0x80000000, v61
	v_or3_b32 v60, v1, v61, v60
.LBB344_88:                             ;   in Loop: Header=BB344_10 Depth=1
	s_or_b32 exec_lo, exec_lo, s40
.LBB344_89:                             ;   in Loop: Header=BB344_10 Depth=1
	s_or_b32 exec_lo, exec_lo, s39
.LBB344_90:                             ;   in Loop: Header=BB344_10 Depth=1
	s_or_b32 exec_lo, exec_lo, s3
	global_load_ushort v1, v[7:8], off offset:264
	v_mov_b32_e32 v62, 0
	v_mov_b32_e32 v61, 0
	s_waitcnt vmcnt(0)
	v_and_b32_e32 v63, 0xffff, v1
	v_cmp_ne_u16_sdwa s2, v1, v2 src0_sel:BYTE_0 src1_sel:DWORD
	s_and_saveexec_b32 s3, s2
	s_cbranch_execz .LBB344_98
; %bb.91:                               ;   in Loop: Header=BB344_10 Depth=1
	v_cmp_ne_u16_sdwa s2, v63, v48 src0_sel:BYTE_0 src1_sel:DWORD
	v_bfrev_b32_e32 v61, 1
	s_and_saveexec_b32 s39, s2
	s_cbranch_execz .LBB344_97
; %bb.92:                               ;   in Loop: Header=BB344_10 Depth=1
	v_and_b32_e32 v64, 0x7f, v63
	v_mov_b32_e32 v61, 0x7f800001
	s_mov_b32 s40, exec_lo
	v_cmpx_ne_u32_e32 0x7f, v64
	s_cbranch_execz .LBB344_96
; %bb.93:                               ;   in Loop: Header=BB344_10 Depth=1
	v_and_b32_e32 v1, 7, v63
	v_lshrrev_b32_e32 v61, 3, v64
	s_mov_b32 s41, exec_lo
	v_cmpx_gt_u32_e32 8, v64
; %bb.94:                               ;   in Loop: Header=BB344_10 Depth=1
	v_ffbh_u32_e32 v61, v1
	v_min_u32_e32 v61, 32, v61
	v_subrev_nc_u32_e32 v64, 28, v61
	v_sub_nc_u32_e32 v61, 29, v61
	v_lshlrev_b64 v[64:65], v64, v[1:2]
	v_and_b32_e32 v1, 7, v64
; %bb.95:                               ;   in Loop: Header=BB344_10 Depth=1
	s_or_b32 exec_lo, exec_lo, s41
	v_lshlrev_b32_e32 v64, 24, v63
	v_lshlrev_b32_e32 v1, 20, v1
	v_lshl_add_u32 v61, v61, 23, 0x3c000000
	v_and_b32_e32 v64, 0x80000000, v64
	v_or3_b32 v61, v1, v64, v61
.LBB344_96:                             ;   in Loop: Header=BB344_10 Depth=1
	s_or_b32 exec_lo, exec_lo, s40
.LBB344_97:                             ;   in Loop: Header=BB344_10 Depth=1
	s_or_b32 exec_lo, exec_lo, s39
.LBB344_98:                             ;   in Loop: Header=BB344_10 Depth=1
	s_or_b32 exec_lo, exec_lo, s3
	v_cmp_ne_u16_sdwa s2, v63, v2 src0_sel:BYTE_1 src1_sel:DWORD
	s_and_saveexec_b32 s3, s2
	s_cbranch_execz .LBB344_106
; %bb.99:                               ;   in Loop: Header=BB344_10 Depth=1
	v_cmp_ne_u16_sdwa s2, v63, v48 src0_sel:BYTE_1 src1_sel:DWORD
	v_bfrev_b32_e32 v62, 1
	s_and_saveexec_b32 s39, s2
	s_cbranch_execz .LBB344_105
; %bb.100:                              ;   in Loop: Header=BB344_10 Depth=1
	v_and_b32_sdwa v1, v49, v63 dst_sel:DWORD dst_unused:UNUSED_PAD src0_sel:DWORD src1_sel:BYTE_1
	v_mov_b32_e32 v62, 0x7f800001
	s_mov_b32 s40, exec_lo
	v_and_b32_e32 v64, 0x7f, v1
	v_cmpx_ne_u32_e32 0x7f, v64
	s_cbranch_execz .LBB344_104
; %bb.101:                              ;   in Loop: Header=BB344_10 Depth=1
	v_and_b32_e32 v1, 7, v1
	v_lshrrev_b32_e32 v62, 3, v64
	s_mov_b32 s41, exec_lo
	v_cmpx_gt_u32_e32 8, v64
; %bb.102:                              ;   in Loop: Header=BB344_10 Depth=1
	v_ffbh_u32_e32 v62, v1
	v_min_u32_e32 v62, 32, v62
	v_subrev_nc_u32_e32 v64, 28, v62
	v_sub_nc_u32_e32 v62, 29, v62
	v_lshlrev_b64 v[64:65], v64, v[1:2]
	v_and_b32_e32 v1, 7, v64
; %bb.103:                              ;   in Loop: Header=BB344_10 Depth=1
	s_or_b32 exec_lo, exec_lo, s41
	v_lshlrev_b32_e32 v63, 16, v63
	v_lshlrev_b32_e32 v1, 20, v1
	v_lshl_add_u32 v62, v62, 23, 0x3c000000
	v_and_b32_e32 v63, 0x80000000, v63
	v_or3_b32 v62, v1, v63, v62
.LBB344_104:                            ;   in Loop: Header=BB344_10 Depth=1
	s_or_b32 exec_lo, exec_lo, s40
.LBB344_105:                            ;   in Loop: Header=BB344_10 Depth=1
	s_or_b32 exec_lo, exec_lo, s39
.LBB344_106:                            ;   in Loop: Header=BB344_10 Depth=1
	s_or_b32 exec_lo, exec_lo, s3
	global_load_ushort v1, v[7:8], off offset:384
	v_mov_b32_e32 v64, 0
	v_mov_b32_e32 v63, 0
	s_waitcnt vmcnt(0)
	v_and_b32_e32 v65, 0xffff, v1
	v_cmp_ne_u16_sdwa s2, v1, v2 src0_sel:BYTE_0 src1_sel:DWORD
	s_and_saveexec_b32 s3, s2
	s_cbranch_execz .LBB344_114
; %bb.107:                              ;   in Loop: Header=BB344_10 Depth=1
	v_cmp_ne_u16_sdwa s2, v65, v48 src0_sel:BYTE_0 src1_sel:DWORD
	v_bfrev_b32_e32 v63, 1
	s_and_saveexec_b32 s39, s2
	s_cbranch_execz .LBB344_113
; %bb.108:                              ;   in Loop: Header=BB344_10 Depth=1
	v_and_b32_e32 v66, 0x7f, v65
	v_mov_b32_e32 v63, 0x7f800001
	s_mov_b32 s40, exec_lo
	v_cmpx_ne_u32_e32 0x7f, v66
	s_cbranch_execz .LBB344_112
; %bb.109:                              ;   in Loop: Header=BB344_10 Depth=1
	v_and_b32_e32 v1, 7, v65
	v_lshrrev_b32_e32 v63, 3, v66
	s_mov_b32 s41, exec_lo
	v_cmpx_gt_u32_e32 8, v66
; %bb.110:                              ;   in Loop: Header=BB344_10 Depth=1
	v_ffbh_u32_e32 v63, v1
	v_min_u32_e32 v63, 32, v63
	v_subrev_nc_u32_e32 v66, 28, v63
	v_sub_nc_u32_e32 v63, 29, v63
	v_lshlrev_b64 v[66:67], v66, v[1:2]
	v_and_b32_e32 v1, 7, v66
; %bb.111:                              ;   in Loop: Header=BB344_10 Depth=1
	s_or_b32 exec_lo, exec_lo, s41
	v_lshlrev_b32_e32 v66, 24, v65
	v_lshlrev_b32_e32 v1, 20, v1
	v_lshl_add_u32 v63, v63, 23, 0x3c000000
	v_and_b32_e32 v66, 0x80000000, v66
	v_or3_b32 v63, v1, v66, v63
.LBB344_112:                            ;   in Loop: Header=BB344_10 Depth=1
	s_or_b32 exec_lo, exec_lo, s40
.LBB344_113:                            ;   in Loop: Header=BB344_10 Depth=1
	s_or_b32 exec_lo, exec_lo, s39
.LBB344_114:                            ;   in Loop: Header=BB344_10 Depth=1
	s_or_b32 exec_lo, exec_lo, s3
	v_cmp_ne_u16_sdwa s2, v65, v2 src0_sel:BYTE_1 src1_sel:DWORD
	s_and_saveexec_b32 s3, s2
	s_cbranch_execz .LBB344_122
; %bb.115:                              ;   in Loop: Header=BB344_10 Depth=1
	v_cmp_ne_u16_sdwa s2, v65, v48 src0_sel:BYTE_1 src1_sel:DWORD
	v_bfrev_b32_e32 v64, 1
	s_and_saveexec_b32 s39, s2
	s_cbranch_execz .LBB344_121
; %bb.116:                              ;   in Loop: Header=BB344_10 Depth=1
	v_and_b32_sdwa v1, v49, v65 dst_sel:DWORD dst_unused:UNUSED_PAD src0_sel:DWORD src1_sel:BYTE_1
	v_mov_b32_e32 v64, 0x7f800001
	s_mov_b32 s40, exec_lo
	v_and_b32_e32 v66, 0x7f, v1
	v_cmpx_ne_u32_e32 0x7f, v66
	s_cbranch_execz .LBB344_120
; %bb.117:                              ;   in Loop: Header=BB344_10 Depth=1
	v_and_b32_e32 v1, 7, v1
	v_lshrrev_b32_e32 v64, 3, v66
	s_mov_b32 s41, exec_lo
	v_cmpx_gt_u32_e32 8, v66
; %bb.118:                              ;   in Loop: Header=BB344_10 Depth=1
	v_ffbh_u32_e32 v64, v1
	v_min_u32_e32 v64, 32, v64
	v_subrev_nc_u32_e32 v66, 28, v64
	v_sub_nc_u32_e32 v64, 29, v64
	v_lshlrev_b64 v[66:67], v66, v[1:2]
	v_and_b32_e32 v1, 7, v66
; %bb.119:                              ;   in Loop: Header=BB344_10 Depth=1
	s_or_b32 exec_lo, exec_lo, s41
	v_lshlrev_b32_e32 v65, 16, v65
	v_lshlrev_b32_e32 v1, 20, v1
	v_lshl_add_u32 v64, v64, 23, 0x3c000000
	v_and_b32_e32 v65, 0x80000000, v65
	v_or3_b32 v64, v1, v65, v64
.LBB344_120:                            ;   in Loop: Header=BB344_10 Depth=1
	s_or_b32 exec_lo, exec_lo, s40
.LBB344_121:                            ;   in Loop: Header=BB344_10 Depth=1
	s_or_b32 exec_lo, exec_lo, s39
.LBB344_122:                            ;   in Loop: Header=BB344_10 Depth=1
	s_or_b32 exec_lo, exec_lo, s3
	global_load_ushort v1, v[7:8], off offset:392
	v_mov_b32_e32 v66, 0
	v_mov_b32_e32 v65, 0
	s_waitcnt vmcnt(0)
	v_and_b32_e32 v67, 0xffff, v1
	v_cmp_ne_u16_sdwa s2, v1, v2 src0_sel:BYTE_0 src1_sel:DWORD
	s_and_saveexec_b32 s3, s2
	s_cbranch_execz .LBB344_130
; %bb.123:                              ;   in Loop: Header=BB344_10 Depth=1
	v_cmp_ne_u16_sdwa s2, v67, v48 src0_sel:BYTE_0 src1_sel:DWORD
	v_bfrev_b32_e32 v65, 1
	s_and_saveexec_b32 s39, s2
	s_cbranch_execz .LBB344_129
; %bb.124:                              ;   in Loop: Header=BB344_10 Depth=1
	v_and_b32_e32 v68, 0x7f, v67
	v_mov_b32_e32 v65, 0x7f800001
	s_mov_b32 s40, exec_lo
	v_cmpx_ne_u32_e32 0x7f, v68
	s_cbranch_execz .LBB344_128
; %bb.125:                              ;   in Loop: Header=BB344_10 Depth=1
	v_and_b32_e32 v1, 7, v67
	v_lshrrev_b32_e32 v65, 3, v68
	s_mov_b32 s41, exec_lo
	v_cmpx_gt_u32_e32 8, v68
; %bb.126:                              ;   in Loop: Header=BB344_10 Depth=1
	v_ffbh_u32_e32 v65, v1
	v_min_u32_e32 v65, 32, v65
	v_subrev_nc_u32_e32 v68, 28, v65
	v_sub_nc_u32_e32 v65, 29, v65
	v_lshlrev_b64 v[68:69], v68, v[1:2]
	v_and_b32_e32 v1, 7, v68
; %bb.127:                              ;   in Loop: Header=BB344_10 Depth=1
	s_or_b32 exec_lo, exec_lo, s41
	v_lshlrev_b32_e32 v68, 24, v67
	v_lshlrev_b32_e32 v1, 20, v1
	v_lshl_add_u32 v65, v65, 23, 0x3c000000
	v_and_b32_e32 v68, 0x80000000, v68
	v_or3_b32 v65, v1, v68, v65
.LBB344_128:                            ;   in Loop: Header=BB344_10 Depth=1
	s_or_b32 exec_lo, exec_lo, s40
.LBB344_129:                            ;   in Loop: Header=BB344_10 Depth=1
	s_or_b32 exec_lo, exec_lo, s39
.LBB344_130:                            ;   in Loop: Header=BB344_10 Depth=1
	s_or_b32 exec_lo, exec_lo, s3
	v_cmp_ne_u16_sdwa s2, v67, v2 src0_sel:BYTE_1 src1_sel:DWORD
	s_and_saveexec_b32 s3, s2
	s_cbranch_execz .LBB344_138
; %bb.131:                              ;   in Loop: Header=BB344_10 Depth=1
	v_cmp_ne_u16_sdwa s2, v67, v48 src0_sel:BYTE_1 src1_sel:DWORD
	v_bfrev_b32_e32 v66, 1
	s_and_saveexec_b32 s39, s2
	s_cbranch_execz .LBB344_137
; %bb.132:                              ;   in Loop: Header=BB344_10 Depth=1
	v_and_b32_sdwa v1, v49, v67 dst_sel:DWORD dst_unused:UNUSED_PAD src0_sel:DWORD src1_sel:BYTE_1
	v_mov_b32_e32 v66, 0x7f800001
	s_mov_b32 s40, exec_lo
	v_and_b32_e32 v68, 0x7f, v1
	v_cmpx_ne_u32_e32 0x7f, v68
	s_cbranch_execz .LBB344_136
; %bb.133:                              ;   in Loop: Header=BB344_10 Depth=1
	v_and_b32_e32 v1, 7, v1
	v_lshrrev_b32_e32 v66, 3, v68
	s_mov_b32 s41, exec_lo
	v_cmpx_gt_u32_e32 8, v68
; %bb.134:                              ;   in Loop: Header=BB344_10 Depth=1
	v_ffbh_u32_e32 v66, v1
	v_min_u32_e32 v66, 32, v66
	v_subrev_nc_u32_e32 v68, 28, v66
	v_sub_nc_u32_e32 v66, 29, v66
	v_lshlrev_b64 v[68:69], v68, v[1:2]
	v_and_b32_e32 v1, 7, v68
; %bb.135:                              ;   in Loop: Header=BB344_10 Depth=1
	s_or_b32 exec_lo, exec_lo, s41
	v_lshlrev_b32_e32 v67, 16, v67
	v_lshlrev_b32_e32 v1, 20, v1
	v_lshl_add_u32 v66, v66, 23, 0x3c000000
	v_and_b32_e32 v67, 0x80000000, v67
	v_or3_b32 v66, v1, v67, v66
.LBB344_136:                            ;   in Loop: Header=BB344_10 Depth=1
	s_or_b32 exec_lo, exec_lo, s40
.LBB344_137:                            ;   in Loop: Header=BB344_10 Depth=1
	s_or_b32 exec_lo, exec_lo, s39
.LBB344_138:                            ;   in Loop: Header=BB344_10 Depth=1
	s_or_b32 exec_lo, exec_lo, s3
	global_load_ushort v1, v[7:8], off offset:512
	v_mov_b32_e32 v68, 0
	v_mov_b32_e32 v67, 0
	s_waitcnt vmcnt(0)
	v_and_b32_e32 v69, 0xffff, v1
	v_cmp_ne_u16_sdwa s2, v1, v2 src0_sel:BYTE_0 src1_sel:DWORD
	s_and_saveexec_b32 s3, s2
	s_cbranch_execz .LBB344_146
; %bb.139:                              ;   in Loop: Header=BB344_10 Depth=1
	v_cmp_ne_u16_sdwa s2, v69, v48 src0_sel:BYTE_0 src1_sel:DWORD
	v_bfrev_b32_e32 v67, 1
	s_and_saveexec_b32 s39, s2
	s_cbranch_execz .LBB344_145
; %bb.140:                              ;   in Loop: Header=BB344_10 Depth=1
	v_and_b32_e32 v70, 0x7f, v69
	v_mov_b32_e32 v67, 0x7f800001
	s_mov_b32 s40, exec_lo
	v_cmpx_ne_u32_e32 0x7f, v70
	s_cbranch_execz .LBB344_144
; %bb.141:                              ;   in Loop: Header=BB344_10 Depth=1
	v_and_b32_e32 v1, 7, v69
	v_lshrrev_b32_e32 v67, 3, v70
	s_mov_b32 s41, exec_lo
	v_cmpx_gt_u32_e32 8, v70
; %bb.142:                              ;   in Loop: Header=BB344_10 Depth=1
	v_ffbh_u32_e32 v67, v1
	v_min_u32_e32 v67, 32, v67
	v_subrev_nc_u32_e32 v70, 28, v67
	v_sub_nc_u32_e32 v67, 29, v67
	v_lshlrev_b64 v[70:71], v70, v[1:2]
	v_and_b32_e32 v1, 7, v70
; %bb.143:                              ;   in Loop: Header=BB344_10 Depth=1
	s_or_b32 exec_lo, exec_lo, s41
	v_lshlrev_b32_e32 v70, 24, v69
	v_lshlrev_b32_e32 v1, 20, v1
	v_lshl_add_u32 v67, v67, 23, 0x3c000000
	v_and_b32_e32 v70, 0x80000000, v70
	v_or3_b32 v67, v1, v70, v67
.LBB344_144:                            ;   in Loop: Header=BB344_10 Depth=1
	s_or_b32 exec_lo, exec_lo, s40
.LBB344_145:                            ;   in Loop: Header=BB344_10 Depth=1
	s_or_b32 exec_lo, exec_lo, s39
.LBB344_146:                            ;   in Loop: Header=BB344_10 Depth=1
	s_or_b32 exec_lo, exec_lo, s3
	v_cmp_ne_u16_sdwa s2, v69, v2 src0_sel:BYTE_1 src1_sel:DWORD
	s_and_saveexec_b32 s3, s2
	s_cbranch_execz .LBB344_154
; %bb.147:                              ;   in Loop: Header=BB344_10 Depth=1
	v_cmp_ne_u16_sdwa s2, v69, v48 src0_sel:BYTE_1 src1_sel:DWORD
	v_bfrev_b32_e32 v68, 1
	s_and_saveexec_b32 s39, s2
	s_cbranch_execz .LBB344_153
; %bb.148:                              ;   in Loop: Header=BB344_10 Depth=1
	v_and_b32_sdwa v1, v49, v69 dst_sel:DWORD dst_unused:UNUSED_PAD src0_sel:DWORD src1_sel:BYTE_1
	v_mov_b32_e32 v68, 0x7f800001
	s_mov_b32 s40, exec_lo
	v_and_b32_e32 v70, 0x7f, v1
	v_cmpx_ne_u32_e32 0x7f, v70
	s_cbranch_execz .LBB344_152
; %bb.149:                              ;   in Loop: Header=BB344_10 Depth=1
	v_and_b32_e32 v1, 7, v1
	v_lshrrev_b32_e32 v68, 3, v70
	s_mov_b32 s41, exec_lo
	v_cmpx_gt_u32_e32 8, v70
; %bb.150:                              ;   in Loop: Header=BB344_10 Depth=1
	v_ffbh_u32_e32 v68, v1
	v_min_u32_e32 v68, 32, v68
	v_subrev_nc_u32_e32 v70, 28, v68
	v_sub_nc_u32_e32 v68, 29, v68
	v_lshlrev_b64 v[70:71], v70, v[1:2]
	v_and_b32_e32 v1, 7, v70
; %bb.151:                              ;   in Loop: Header=BB344_10 Depth=1
	s_or_b32 exec_lo, exec_lo, s41
	v_lshlrev_b32_e32 v69, 16, v69
	v_lshlrev_b32_e32 v1, 20, v1
	v_lshl_add_u32 v68, v68, 23, 0x3c000000
	v_and_b32_e32 v69, 0x80000000, v69
	v_or3_b32 v68, v1, v69, v68
.LBB344_152:                            ;   in Loop: Header=BB344_10 Depth=1
	s_or_b32 exec_lo, exec_lo, s40
.LBB344_153:                            ;   in Loop: Header=BB344_10 Depth=1
	s_or_b32 exec_lo, exec_lo, s39
.LBB344_154:                            ;   in Loop: Header=BB344_10 Depth=1
	s_or_b32 exec_lo, exec_lo, s3
	global_load_ushort v1, v[7:8], off offset:520
	v_mov_b32_e32 v70, 0
	v_mov_b32_e32 v69, 0
	s_waitcnt vmcnt(0)
	v_and_b32_e32 v71, 0xffff, v1
	v_cmp_ne_u16_sdwa s2, v1, v2 src0_sel:BYTE_0 src1_sel:DWORD
	s_and_saveexec_b32 s3, s2
	s_cbranch_execz .LBB344_162
; %bb.155:                              ;   in Loop: Header=BB344_10 Depth=1
	v_cmp_ne_u16_sdwa s2, v71, v48 src0_sel:BYTE_0 src1_sel:DWORD
	v_bfrev_b32_e32 v69, 1
	s_and_saveexec_b32 s39, s2
	s_cbranch_execz .LBB344_161
; %bb.156:                              ;   in Loop: Header=BB344_10 Depth=1
	v_and_b32_e32 v72, 0x7f, v71
	v_mov_b32_e32 v69, 0x7f800001
	s_mov_b32 s40, exec_lo
	v_cmpx_ne_u32_e32 0x7f, v72
	s_cbranch_execz .LBB344_160
; %bb.157:                              ;   in Loop: Header=BB344_10 Depth=1
	v_and_b32_e32 v1, 7, v71
	v_lshrrev_b32_e32 v69, 3, v72
	s_mov_b32 s41, exec_lo
	v_cmpx_gt_u32_e32 8, v72
; %bb.158:                              ;   in Loop: Header=BB344_10 Depth=1
	v_ffbh_u32_e32 v69, v1
	v_min_u32_e32 v69, 32, v69
	v_subrev_nc_u32_e32 v72, 28, v69
	v_sub_nc_u32_e32 v69, 29, v69
	v_lshlrev_b64 v[72:73], v72, v[1:2]
	v_and_b32_e32 v1, 7, v72
; %bb.159:                              ;   in Loop: Header=BB344_10 Depth=1
	s_or_b32 exec_lo, exec_lo, s41
	v_lshlrev_b32_e32 v72, 24, v71
	v_lshlrev_b32_e32 v1, 20, v1
	v_lshl_add_u32 v69, v69, 23, 0x3c000000
	v_and_b32_e32 v72, 0x80000000, v72
	v_or3_b32 v69, v1, v72, v69
.LBB344_160:                            ;   in Loop: Header=BB344_10 Depth=1
	s_or_b32 exec_lo, exec_lo, s40
.LBB344_161:                            ;   in Loop: Header=BB344_10 Depth=1
	s_or_b32 exec_lo, exec_lo, s39
.LBB344_162:                            ;   in Loop: Header=BB344_10 Depth=1
	s_or_b32 exec_lo, exec_lo, s3
	v_cmp_ne_u16_sdwa s2, v71, v2 src0_sel:BYTE_1 src1_sel:DWORD
	s_and_saveexec_b32 s3, s2
	s_cbranch_execz .LBB344_170
; %bb.163:                              ;   in Loop: Header=BB344_10 Depth=1
	v_cmp_ne_u16_sdwa s2, v71, v48 src0_sel:BYTE_1 src1_sel:DWORD
	v_bfrev_b32_e32 v70, 1
	s_and_saveexec_b32 s39, s2
	s_cbranch_execz .LBB344_169
; %bb.164:                              ;   in Loop: Header=BB344_10 Depth=1
	v_and_b32_sdwa v1, v49, v71 dst_sel:DWORD dst_unused:UNUSED_PAD src0_sel:DWORD src1_sel:BYTE_1
	v_mov_b32_e32 v70, 0x7f800001
	s_mov_b32 s40, exec_lo
	v_and_b32_e32 v72, 0x7f, v1
	v_cmpx_ne_u32_e32 0x7f, v72
	s_cbranch_execz .LBB344_168
; %bb.165:                              ;   in Loop: Header=BB344_10 Depth=1
	v_and_b32_e32 v1, 7, v1
	v_lshrrev_b32_e32 v70, 3, v72
	s_mov_b32 s41, exec_lo
	v_cmpx_gt_u32_e32 8, v72
; %bb.166:                              ;   in Loop: Header=BB344_10 Depth=1
	v_ffbh_u32_e32 v70, v1
	v_min_u32_e32 v70, 32, v70
	v_subrev_nc_u32_e32 v72, 28, v70
	v_sub_nc_u32_e32 v70, 29, v70
	v_lshlrev_b64 v[72:73], v72, v[1:2]
	v_and_b32_e32 v1, 7, v72
; %bb.167:                              ;   in Loop: Header=BB344_10 Depth=1
	s_or_b32 exec_lo, exec_lo, s41
	v_lshlrev_b32_e32 v71, 16, v71
	v_lshlrev_b32_e32 v1, 20, v1
	v_lshl_add_u32 v70, v70, 23, 0x3c000000
	v_and_b32_e32 v71, 0x80000000, v71
	v_or3_b32 v70, v1, v71, v70
.LBB344_168:                            ;   in Loop: Header=BB344_10 Depth=1
	s_or_b32 exec_lo, exec_lo, s40
.LBB344_169:                            ;   in Loop: Header=BB344_10 Depth=1
	s_or_b32 exec_lo, exec_lo, s39
.LBB344_170:                            ;   in Loop: Header=BB344_10 Depth=1
	s_or_b32 exec_lo, exec_lo, s3
	global_load_ushort v1, v[7:8], off offset:640
	v_mov_b32_e32 v72, 0
	v_mov_b32_e32 v71, 0
	s_waitcnt vmcnt(0)
	v_and_b32_e32 v73, 0xffff, v1
	v_cmp_ne_u16_sdwa s2, v1, v2 src0_sel:BYTE_0 src1_sel:DWORD
	s_and_saveexec_b32 s3, s2
	s_cbranch_execz .LBB344_178
; %bb.171:                              ;   in Loop: Header=BB344_10 Depth=1
	v_cmp_ne_u16_sdwa s2, v73, v48 src0_sel:BYTE_0 src1_sel:DWORD
	v_bfrev_b32_e32 v71, 1
	s_and_saveexec_b32 s39, s2
	s_cbranch_execz .LBB344_177
; %bb.172:                              ;   in Loop: Header=BB344_10 Depth=1
	v_and_b32_e32 v74, 0x7f, v73
	v_mov_b32_e32 v71, 0x7f800001
	s_mov_b32 s40, exec_lo
	v_cmpx_ne_u32_e32 0x7f, v74
	s_cbranch_execz .LBB344_176
; %bb.173:                              ;   in Loop: Header=BB344_10 Depth=1
	v_and_b32_e32 v1, 7, v73
	v_lshrrev_b32_e32 v71, 3, v74
	s_mov_b32 s41, exec_lo
	v_cmpx_gt_u32_e32 8, v74
; %bb.174:                              ;   in Loop: Header=BB344_10 Depth=1
	v_ffbh_u32_e32 v71, v1
	v_min_u32_e32 v71, 32, v71
	v_subrev_nc_u32_e32 v74, 28, v71
	v_sub_nc_u32_e32 v71, 29, v71
	v_lshlrev_b64 v[74:75], v74, v[1:2]
	v_and_b32_e32 v1, 7, v74
; %bb.175:                              ;   in Loop: Header=BB344_10 Depth=1
	s_or_b32 exec_lo, exec_lo, s41
	v_lshlrev_b32_e32 v74, 24, v73
	v_lshlrev_b32_e32 v1, 20, v1
	v_lshl_add_u32 v71, v71, 23, 0x3c000000
	v_and_b32_e32 v74, 0x80000000, v74
	v_or3_b32 v71, v1, v74, v71
.LBB344_176:                            ;   in Loop: Header=BB344_10 Depth=1
	s_or_b32 exec_lo, exec_lo, s40
.LBB344_177:                            ;   in Loop: Header=BB344_10 Depth=1
	s_or_b32 exec_lo, exec_lo, s39
.LBB344_178:                            ;   in Loop: Header=BB344_10 Depth=1
	s_or_b32 exec_lo, exec_lo, s3
	v_cmp_ne_u16_sdwa s2, v73, v2 src0_sel:BYTE_1 src1_sel:DWORD
	s_and_saveexec_b32 s3, s2
	s_cbranch_execz .LBB344_186
; %bb.179:                              ;   in Loop: Header=BB344_10 Depth=1
	v_cmp_ne_u16_sdwa s2, v73, v48 src0_sel:BYTE_1 src1_sel:DWORD
	v_bfrev_b32_e32 v72, 1
	s_and_saveexec_b32 s39, s2
	s_cbranch_execz .LBB344_185
; %bb.180:                              ;   in Loop: Header=BB344_10 Depth=1
	v_and_b32_sdwa v1, v49, v73 dst_sel:DWORD dst_unused:UNUSED_PAD src0_sel:DWORD src1_sel:BYTE_1
	v_mov_b32_e32 v72, 0x7f800001
	s_mov_b32 s40, exec_lo
	v_and_b32_e32 v74, 0x7f, v1
	v_cmpx_ne_u32_e32 0x7f, v74
	s_cbranch_execz .LBB344_184
; %bb.181:                              ;   in Loop: Header=BB344_10 Depth=1
	v_and_b32_e32 v1, 7, v1
	v_lshrrev_b32_e32 v72, 3, v74
	s_mov_b32 s41, exec_lo
	v_cmpx_gt_u32_e32 8, v74
; %bb.182:                              ;   in Loop: Header=BB344_10 Depth=1
	v_ffbh_u32_e32 v72, v1
	v_min_u32_e32 v72, 32, v72
	v_subrev_nc_u32_e32 v74, 28, v72
	v_sub_nc_u32_e32 v72, 29, v72
	v_lshlrev_b64 v[74:75], v74, v[1:2]
	v_and_b32_e32 v1, 7, v74
; %bb.183:                              ;   in Loop: Header=BB344_10 Depth=1
	s_or_b32 exec_lo, exec_lo, s41
	v_lshlrev_b32_e32 v73, 16, v73
	v_lshlrev_b32_e32 v1, 20, v1
	v_lshl_add_u32 v72, v72, 23, 0x3c000000
	v_and_b32_e32 v73, 0x80000000, v73
	v_or3_b32 v72, v1, v73, v72
.LBB344_184:                            ;   in Loop: Header=BB344_10 Depth=1
	s_or_b32 exec_lo, exec_lo, s40
.LBB344_185:                            ;   in Loop: Header=BB344_10 Depth=1
	s_or_b32 exec_lo, exec_lo, s39
.LBB344_186:                            ;   in Loop: Header=BB344_10 Depth=1
	s_or_b32 exec_lo, exec_lo, s3
	global_load_ushort v1, v[7:8], off offset:648
	v_mov_b32_e32 v74, 0
	v_mov_b32_e32 v73, 0
	s_waitcnt vmcnt(0)
	v_and_b32_e32 v75, 0xffff, v1
	v_cmp_ne_u16_sdwa s2, v1, v2 src0_sel:BYTE_0 src1_sel:DWORD
	s_and_saveexec_b32 s3, s2
	s_cbranch_execz .LBB344_194
; %bb.187:                              ;   in Loop: Header=BB344_10 Depth=1
	v_cmp_ne_u16_sdwa s2, v75, v48 src0_sel:BYTE_0 src1_sel:DWORD
	v_bfrev_b32_e32 v73, 1
	s_and_saveexec_b32 s39, s2
	s_cbranch_execz .LBB344_193
; %bb.188:                              ;   in Loop: Header=BB344_10 Depth=1
	v_and_b32_e32 v76, 0x7f, v75
	v_mov_b32_e32 v73, 0x7f800001
	s_mov_b32 s40, exec_lo
	v_cmpx_ne_u32_e32 0x7f, v76
	s_cbranch_execz .LBB344_192
; %bb.189:                              ;   in Loop: Header=BB344_10 Depth=1
	v_and_b32_e32 v1, 7, v75
	v_lshrrev_b32_e32 v73, 3, v76
	s_mov_b32 s41, exec_lo
	v_cmpx_gt_u32_e32 8, v76
; %bb.190:                              ;   in Loop: Header=BB344_10 Depth=1
	v_ffbh_u32_e32 v73, v1
	v_min_u32_e32 v73, 32, v73
	v_subrev_nc_u32_e32 v76, 28, v73
	v_sub_nc_u32_e32 v73, 29, v73
	v_lshlrev_b64 v[76:77], v76, v[1:2]
	v_and_b32_e32 v1, 7, v76
; %bb.191:                              ;   in Loop: Header=BB344_10 Depth=1
	s_or_b32 exec_lo, exec_lo, s41
	v_lshlrev_b32_e32 v76, 24, v75
	v_lshlrev_b32_e32 v1, 20, v1
	v_lshl_add_u32 v73, v73, 23, 0x3c000000
	v_and_b32_e32 v76, 0x80000000, v76
	v_or3_b32 v73, v1, v76, v73
.LBB344_192:                            ;   in Loop: Header=BB344_10 Depth=1
	s_or_b32 exec_lo, exec_lo, s40
.LBB344_193:                            ;   in Loop: Header=BB344_10 Depth=1
	s_or_b32 exec_lo, exec_lo, s39
.LBB344_194:                            ;   in Loop: Header=BB344_10 Depth=1
	s_or_b32 exec_lo, exec_lo, s3
	v_cmp_ne_u16_sdwa s2, v75, v2 src0_sel:BYTE_1 src1_sel:DWORD
	s_and_saveexec_b32 s3, s2
	s_cbranch_execz .LBB344_202
; %bb.195:                              ;   in Loop: Header=BB344_10 Depth=1
	v_cmp_ne_u16_sdwa s2, v75, v48 src0_sel:BYTE_1 src1_sel:DWORD
	v_bfrev_b32_e32 v74, 1
	s_and_saveexec_b32 s39, s2
	s_cbranch_execz .LBB344_201
; %bb.196:                              ;   in Loop: Header=BB344_10 Depth=1
	v_and_b32_sdwa v1, v49, v75 dst_sel:DWORD dst_unused:UNUSED_PAD src0_sel:DWORD src1_sel:BYTE_1
	v_mov_b32_e32 v74, 0x7f800001
	s_mov_b32 s40, exec_lo
	v_and_b32_e32 v76, 0x7f, v1
	v_cmpx_ne_u32_e32 0x7f, v76
	s_cbranch_execz .LBB344_200
; %bb.197:                              ;   in Loop: Header=BB344_10 Depth=1
	v_and_b32_e32 v1, 7, v1
	v_lshrrev_b32_e32 v74, 3, v76
	s_mov_b32 s41, exec_lo
	v_cmpx_gt_u32_e32 8, v76
; %bb.198:                              ;   in Loop: Header=BB344_10 Depth=1
	v_ffbh_u32_e32 v74, v1
	v_min_u32_e32 v74, 32, v74
	v_subrev_nc_u32_e32 v76, 28, v74
	v_sub_nc_u32_e32 v74, 29, v74
	v_lshlrev_b64 v[76:77], v76, v[1:2]
	v_and_b32_e32 v1, 7, v76
; %bb.199:                              ;   in Loop: Header=BB344_10 Depth=1
	s_or_b32 exec_lo, exec_lo, s41
	v_lshlrev_b32_e32 v75, 16, v75
	v_lshlrev_b32_e32 v1, 20, v1
	v_lshl_add_u32 v74, v74, 23, 0x3c000000
	v_and_b32_e32 v75, 0x80000000, v75
	v_or3_b32 v74, v1, v75, v74
.LBB344_200:                            ;   in Loop: Header=BB344_10 Depth=1
	s_or_b32 exec_lo, exec_lo, s40
.LBB344_201:                            ;   in Loop: Header=BB344_10 Depth=1
	s_or_b32 exec_lo, exec_lo, s39
.LBB344_202:                            ;   in Loop: Header=BB344_10 Depth=1
	s_or_b32 exec_lo, exec_lo, s3
	global_load_ushort v1, v[7:8], off offset:768
	v_mov_b32_e32 v76, 0
	v_mov_b32_e32 v75, 0
	s_waitcnt vmcnt(0)
	v_and_b32_e32 v77, 0xffff, v1
	v_cmp_ne_u16_sdwa s2, v1, v2 src0_sel:BYTE_0 src1_sel:DWORD
	s_and_saveexec_b32 s3, s2
	s_cbranch_execz .LBB344_210
; %bb.203:                              ;   in Loop: Header=BB344_10 Depth=1
	v_cmp_ne_u16_sdwa s2, v77, v48 src0_sel:BYTE_0 src1_sel:DWORD
	v_bfrev_b32_e32 v75, 1
	s_and_saveexec_b32 s39, s2
	s_cbranch_execz .LBB344_209
; %bb.204:                              ;   in Loop: Header=BB344_10 Depth=1
	v_and_b32_e32 v78, 0x7f, v77
	v_mov_b32_e32 v75, 0x7f800001
	s_mov_b32 s40, exec_lo
	v_cmpx_ne_u32_e32 0x7f, v78
	s_cbranch_execz .LBB344_208
; %bb.205:                              ;   in Loop: Header=BB344_10 Depth=1
	v_and_b32_e32 v1, 7, v77
	v_lshrrev_b32_e32 v75, 3, v78
	s_mov_b32 s41, exec_lo
	v_cmpx_gt_u32_e32 8, v78
; %bb.206:                              ;   in Loop: Header=BB344_10 Depth=1
	v_ffbh_u32_e32 v75, v1
	v_min_u32_e32 v75, 32, v75
	v_subrev_nc_u32_e32 v78, 28, v75
	v_sub_nc_u32_e32 v75, 29, v75
	v_lshlrev_b64 v[78:79], v78, v[1:2]
	v_and_b32_e32 v1, 7, v78
; %bb.207:                              ;   in Loop: Header=BB344_10 Depth=1
	s_or_b32 exec_lo, exec_lo, s41
	v_lshlrev_b32_e32 v78, 24, v77
	v_lshlrev_b32_e32 v1, 20, v1
	v_lshl_add_u32 v75, v75, 23, 0x3c000000
	v_and_b32_e32 v78, 0x80000000, v78
	v_or3_b32 v75, v1, v78, v75
.LBB344_208:                            ;   in Loop: Header=BB344_10 Depth=1
	s_or_b32 exec_lo, exec_lo, s40
.LBB344_209:                            ;   in Loop: Header=BB344_10 Depth=1
	s_or_b32 exec_lo, exec_lo, s39
.LBB344_210:                            ;   in Loop: Header=BB344_10 Depth=1
	s_or_b32 exec_lo, exec_lo, s3
	v_cmp_ne_u16_sdwa s2, v77, v2 src0_sel:BYTE_1 src1_sel:DWORD
	s_and_saveexec_b32 s3, s2
	s_cbranch_execz .LBB344_218
; %bb.211:                              ;   in Loop: Header=BB344_10 Depth=1
	v_cmp_ne_u16_sdwa s2, v77, v48 src0_sel:BYTE_1 src1_sel:DWORD
	v_bfrev_b32_e32 v76, 1
	s_and_saveexec_b32 s39, s2
	s_cbranch_execz .LBB344_217
; %bb.212:                              ;   in Loop: Header=BB344_10 Depth=1
	v_and_b32_sdwa v1, v49, v77 dst_sel:DWORD dst_unused:UNUSED_PAD src0_sel:DWORD src1_sel:BYTE_1
	v_mov_b32_e32 v76, 0x7f800001
	s_mov_b32 s40, exec_lo
	v_and_b32_e32 v78, 0x7f, v1
	v_cmpx_ne_u32_e32 0x7f, v78
	s_cbranch_execz .LBB344_216
; %bb.213:                              ;   in Loop: Header=BB344_10 Depth=1
	v_and_b32_e32 v1, 7, v1
	v_lshrrev_b32_e32 v76, 3, v78
	s_mov_b32 s41, exec_lo
	v_cmpx_gt_u32_e32 8, v78
; %bb.214:                              ;   in Loop: Header=BB344_10 Depth=1
	v_ffbh_u32_e32 v76, v1
	v_min_u32_e32 v76, 32, v76
	v_subrev_nc_u32_e32 v78, 28, v76
	v_sub_nc_u32_e32 v76, 29, v76
	v_lshlrev_b64 v[78:79], v78, v[1:2]
	v_and_b32_e32 v1, 7, v78
; %bb.215:                              ;   in Loop: Header=BB344_10 Depth=1
	s_or_b32 exec_lo, exec_lo, s41
	v_lshlrev_b32_e32 v77, 16, v77
	v_lshlrev_b32_e32 v1, 20, v1
	v_lshl_add_u32 v76, v76, 23, 0x3c000000
	v_and_b32_e32 v77, 0x80000000, v77
	v_or3_b32 v76, v1, v77, v76
.LBB344_216:                            ;   in Loop: Header=BB344_10 Depth=1
	s_or_b32 exec_lo, exec_lo, s40
.LBB344_217:                            ;   in Loop: Header=BB344_10 Depth=1
	s_or_b32 exec_lo, exec_lo, s39
.LBB344_218:                            ;   in Loop: Header=BB344_10 Depth=1
	s_or_b32 exec_lo, exec_lo, s3
	global_load_ushort v1, v[7:8], off offset:776
	v_mov_b32_e32 v7, 0
	v_mov_b32_e32 v77, 0
	s_waitcnt vmcnt(0)
	v_and_b32_e32 v8, 0xffff, v1
	v_cmp_ne_u16_sdwa s2, v1, v2 src0_sel:BYTE_0 src1_sel:DWORD
	s_and_saveexec_b32 s3, s2
	s_cbranch_execz .LBB344_226
; %bb.219:                              ;   in Loop: Header=BB344_10 Depth=1
	v_cmp_ne_u16_sdwa s2, v8, v48 src0_sel:BYTE_0 src1_sel:DWORD
	v_bfrev_b32_e32 v77, 1
	s_and_saveexec_b32 s39, s2
	s_cbranch_execz .LBB344_225
; %bb.220:                              ;   in Loop: Header=BB344_10 Depth=1
	v_and_b32_e32 v78, 0x7f, v8
	v_mov_b32_e32 v77, 0x7f800001
	s_mov_b32 s40, exec_lo
	v_cmpx_ne_u32_e32 0x7f, v78
	s_cbranch_execz .LBB344_224
; %bb.221:                              ;   in Loop: Header=BB344_10 Depth=1
	v_and_b32_e32 v1, 7, v8
	v_lshrrev_b32_e32 v77, 3, v78
	s_mov_b32 s41, exec_lo
	v_cmpx_gt_u32_e32 8, v78
; %bb.222:                              ;   in Loop: Header=BB344_10 Depth=1
	v_ffbh_u32_e32 v77, v1
	v_min_u32_e32 v77, 32, v77
	v_subrev_nc_u32_e32 v78, 28, v77
	v_sub_nc_u32_e32 v77, 29, v77
	v_lshlrev_b64 v[78:79], v78, v[1:2]
	v_and_b32_e32 v1, 7, v78
; %bb.223:                              ;   in Loop: Header=BB344_10 Depth=1
	s_or_b32 exec_lo, exec_lo, s41
	v_lshlrev_b32_e32 v78, 24, v8
	v_lshlrev_b32_e32 v1, 20, v1
	v_lshl_add_u32 v77, v77, 23, 0x3c000000
	v_and_b32_e32 v78, 0x80000000, v78
	v_or3_b32 v77, v1, v78, v77
.LBB344_224:                            ;   in Loop: Header=BB344_10 Depth=1
	s_or_b32 exec_lo, exec_lo, s40
.LBB344_225:                            ;   in Loop: Header=BB344_10 Depth=1
	s_or_b32 exec_lo, exec_lo, s39
.LBB344_226:                            ;   in Loop: Header=BB344_10 Depth=1
	s_or_b32 exec_lo, exec_lo, s3
	v_cmp_ne_u16_sdwa s2, v8, v2 src0_sel:BYTE_1 src1_sel:DWORD
	s_and_saveexec_b32 s3, s2
	s_cbranch_execz .LBB344_234
; %bb.227:                              ;   in Loop: Header=BB344_10 Depth=1
	v_cmp_ne_u16_sdwa s2, v8, v48 src0_sel:BYTE_1 src1_sel:DWORD
	v_bfrev_b32_e32 v7, 1
	s_and_saveexec_b32 s39, s2
	s_cbranch_execz .LBB344_233
; %bb.228:                              ;   in Loop: Header=BB344_10 Depth=1
	v_and_b32_sdwa v1, v49, v8 dst_sel:DWORD dst_unused:UNUSED_PAD src0_sel:DWORD src1_sel:BYTE_1
	v_mov_b32_e32 v7, 0x7f800001
	s_mov_b32 s40, exec_lo
	v_and_b32_e32 v78, 0x7f, v1
	v_cmpx_ne_u32_e32 0x7f, v78
	s_cbranch_execz .LBB344_232
; %bb.229:                              ;   in Loop: Header=BB344_10 Depth=1
	v_and_b32_e32 v1, 7, v1
	v_lshrrev_b32_e32 v7, 3, v78
	s_mov_b32 s41, exec_lo
	v_cmpx_gt_u32_e32 8, v78
; %bb.230:                              ;   in Loop: Header=BB344_10 Depth=1
	v_ffbh_u32_e32 v7, v1
	v_min_u32_e32 v7, 32, v7
	v_subrev_nc_u32_e32 v78, 28, v7
	v_sub_nc_u32_e32 v7, 29, v7
	v_lshlrev_b64 v[78:79], v78, v[1:2]
	v_and_b32_e32 v1, 7, v78
; %bb.231:                              ;   in Loop: Header=BB344_10 Depth=1
	s_or_b32 exec_lo, exec_lo, s41
	v_lshlrev_b32_e32 v8, 16, v8
	v_lshlrev_b32_e32 v1, 20, v1
	v_lshl_add_u32 v7, v7, 23, 0x3c000000
	v_and_b32_e32 v8, 0x80000000, v8
	v_or3_b32 v7, v1, v8, v7
.LBB344_232:                            ;   in Loop: Header=BB344_10 Depth=1
	s_or_b32 exec_lo, exec_lo, s40
.LBB344_233:                            ;   in Loop: Header=BB344_10 Depth=1
	s_or_b32 exec_lo, exec_lo, s39
.LBB344_234:                            ;   in Loop: Header=BB344_10 Depth=1
	s_or_b32 exec_lo, exec_lo, s3
	s_waitcnt lgkmcnt(0)
	v_mul_f32_e32 v76, s4, v76
	v_mul_f32_e32 v8, s4, v75
	;; [unrolled: 1-line block ×5, first 2 shown]
	v_bfe_u32 v74, v76, 16, 1
	v_or_b32_e32 v79, 0x400000, v76
	v_cmp_u_f32_e64 s2, v76, v76
	v_bfe_u32 v82, v75, 16, 1
	v_bfe_u32 v83, v81, 16, 1
	v_add3_u32 v80, v74, v76, 0x7fff
	v_mul_f32_e32 v85, s4, v70
	v_bfe_u32 v89, v69, 16, 1
	v_mul_f32_e32 v91, s4, v66
	v_mul_f32_e32 v95, s4, v62
	v_cndmask_b32_e64 v76, v80, v79, s2
	v_mul_f32_e32 v79, s4, v72
	v_add3_u32 v72, v82, v75, 0x7fff
	v_mul_f32_e32 v80, s4, v71
	v_add3_u32 v82, v83, v81, 0x7fff
	v_or_b32_e32 v83, 0x400000, v81
	v_bfe_u32 v84, v79, 16, 1
	v_cmp_u_f32_e64 s2, v81, v81
	v_bfe_u32 v86, v80, 16, 1
	v_bfe_u32 v87, v85, 16, 1
	v_add3_u32 v66, v89, v69, 0x7fff
	v_add3_u32 v81, v84, v79, 0x7fff
	v_mul_f32_e32 v84, s4, v68
	v_mul_f32_e32 v89, s4, v65
	v_cndmask_b32_e64 v70, v82, v83, s2
	v_add3_u32 v83, v86, v80, 0x7fff
	v_add3_u32 v86, v87, v85, 0x7fff
	v_bfe_u32 v90, v84, 16, 1
	v_or_b32_e32 v88, 0x400000, v85
	v_cmp_u_f32_e64 s2, v85, v85
	v_bfe_u32 v93, v89, 16, 1
	v_mul_f32_e32 v87, s4, v67
	v_add3_u32 v85, v90, v84, 0x7fff
	v_bfe_u32 v90, v91, 16, 1
	v_cndmask_b32_e64 v67, v86, v88, s2
	v_or_b32_e32 v92, 0x400000, v91
	v_cmp_u_f32_e64 s2, v91, v91
	v_mul_f32_e32 v58, s4, v58
	v_add3_u32 v90, v90, v91, 0x7fff
	v_add3_u32 v91, v93, v89, 0x7fff
	v_bfe_u32 v93, v95, 16, 1
	v_or_b32_e32 v96, 0x400000, v95
	v_bfe_u32 v100, v58, 16, 1
	v_cndmask_b32_e64 v62, v90, v92, s2
	v_cmp_u_f32_e64 s2, v95, v95
	v_add3_u32 v93, v93, v95, 0x7fff
	v_mul_f32_e32 v54, s4, v54
	v_add3_u32 v100, v100, v58, 0x7fff
	v_or_b32_e32 v102, 0x400000, v58
	v_mul_f32_e32 v53, s4, v53
	v_cndmask_b32_e64 v93, v93, v96, s2
	v_bfe_u32 v101, v54, 16, 1
	v_cmp_u_f32_e64 s2, v58, v58
	v_mul_f32_e32 v52, s4, v52
	v_or_b32_e32 v103, 0x400000, v54
	v_bfe_u32 v104, v53, 16, 1
	v_add3_u32 v101, v101, v54, 0x7fff
	v_cndmask_b32_e64 v58, v100, v102, s2
	v_cmp_u_f32_e64 s2, v54, v54
	v_mul_f32_e32 v51, s4, v51
	v_bfe_u32 v100, v52, 16, 1
	v_add3_u32 v102, v104, v53, 0x7fff
	v_mul_f32_e32 v55, s4, v55
	v_cndmask_b32_e64 v54, v101, v103, s2
	v_or_b32_e32 v103, 0x400000, v53
	v_cmp_u_f32_e64 s2, v53, v53
	v_bfe_u32 v101, v51, 16, 1
	v_add3_u32 v100, v100, v52, 0x7fff
	v_or_b32_e32 v104, 0x400000, v52
	v_mul_f32_e32 v56, s4, v56
	v_cndmask_b32_e64 v53, v102, v103, s2
	v_cmp_u_f32_e64 s2, v52, v52
	v_bfe_u32 v102, v55, 16, 1
	v_add3_u32 v101, v101, v51, 0x7fff
	v_mul_f32_e32 v57, s4, v57
	v_bfe_u32 v103, v56, 16, 1
	v_cndmask_b32_e64 v52, v100, v104, s2
	v_or_b32_e32 v100, 0x400000, v51
	v_cmp_u_f32_e64 s2, v51, v51
	v_add3_u32 v102, v102, v55, 0x7fff
	v_or_b32_e32 v104, 0x400000, v55
	v_mul_f32_e32 v59, s4, v59
	v_bfe_u32 v105, v57, 16, 1
	v_cndmask_b32_e64 v51, v101, v100, s2
	v_cmp_u_f32_e64 s2, v55, v55
	v_add3_u32 v103, v103, v56, 0x7fff
	v_and_b32_e32 v54, 0xffff0000, v54
	v_mul_f32_e32 v61, s4, v61
	v_mul_f32_e32 v60, s4, v60
	v_cndmask_b32_e64 v55, v102, v104, s2
	v_or_b32_e32 v102, 0x400000, v56
	v_cmp_u_f32_e64 s2, v56, v56
	v_bfe_u32 v95, v59, 16, 1
	v_add3_u32 v101, v105, v57, 0x7fff
	v_and_b32_e32 v53, 0xffff0000, v53
	v_and_b32_e32 v52, 0xffff0000, v52
	v_mul_f32_e32 v54, v17, v54
	v_cndmask_b32_e64 v56, v103, v102, s2
	v_or_b32_e32 v102, 0x400000, v57
	v_cmp_u_f32_e64 s2, v57, v57
	v_bfe_u32 v98, v61, 16, 1
	v_bfe_u32 v99, v60, 16, 1
	v_add3_u32 v95, v95, v59, 0x7fff
	v_or_b32_e32 v100, 0x400000, v59
	v_and_b32_e32 v51, 0xffff0000, v51
	v_mul_f32_e32 v53, v16, v53
	v_fmac_f32_e32 v54, v15, v52
	v_cndmask_b32_e64 v52, v101, v102, s2
	v_cmp_u_f32_e64 s2, v59, v59
	v_mul_f32_e32 v63, s4, v63
	v_add3_u32 v96, v98, v61, 0x7fff
	v_add3_u32 v98, v99, v60, 0x7fff
	v_or_b32_e32 v99, 0x400000, v60
	v_fmac_f32_e32 v53, v14, v51
	v_and_b32_e32 v51, 0xffff0000, v55
	v_and_b32_e32 v55, 0xffff0000, v56
	v_cndmask_b32_e64 v56, v95, v100, s2
	v_cmp_u_f32_e64 s2, v60, v60
	v_mul_f32_e32 v64, s4, v64
	v_bfe_u32 v90, v63, 16, 1
	v_fmac_f32_e32 v53, v18, v51
	v_and_b32_e32 v51, 0xffff0000, v52
	v_fmac_f32_e32 v54, v19, v55
	v_and_b32_e32 v52, 0xffff0000, v58
	v_cndmask_b32_e64 v55, v98, v99, s2
	v_or_b32_e32 v57, 0x400000, v61
	v_cmp_u_f32_e64 s2, v61, v61
	v_bfe_u32 v94, v64, 16, 1
	v_add3_u32 v90, v90, v63, 0x7fff
	v_or_b32_e32 v97, 0x400000, v63
	v_fmac_f32_e32 v54, v21, v52
	v_and_b32_e32 v52, 0xffff0000, v55
	v_cndmask_b32_e64 v55, v96, v57, s2
	v_cmp_u_f32_e64 s2, v63, v63
	v_add3_u32 v92, v94, v64, 0x7fff
	v_or_b32_e32 v94, 0x400000, v64
	v_fmac_f32_e32 v53, v20, v51
	v_and_b32_e32 v51, 0xffff0000, v56
	v_cndmask_b32_e64 v56, v90, v97, s2
	v_cmp_u_f32_e64 s2, v64, v64
	v_bfe_u32 v88, v87, 16, 1
	v_fmac_f32_e32 v54, v24, v52
	v_fmac_f32_e32 v53, v23, v51
	v_and_b32_e32 v51, 0xffff0000, v55
	v_and_b32_e32 v52, 0xffff0000, v93
	v_cndmask_b32_e64 v55, v92, v94, s2
	v_or_b32_e32 v57, 0x400000, v89
	v_cmp_u_f32_e64 s2, v89, v89
	v_add3_u32 v88, v88, v87, 0x7fff
	v_or_b32_e32 v65, 0x400000, v87
	v_fmac_f32_e32 v54, v26, v52
	v_or_b32_e32 v86, 0x400000, v84
	v_cndmask_b32_e64 v52, v91, v57, s2
	v_cmp_u_f32_e64 s2, v87, v87
	v_fmac_f32_e32 v53, v25, v51
	v_and_b32_e32 v51, 0xffff0000, v56
	v_and_b32_e32 v55, 0xffff0000, v55
	v_or_b32_e32 v57, 0x400000, v69
	v_cndmask_b32_e64 v56, v88, v65, s2
	v_cmp_u_f32_e64 s2, v84, v84
	v_fmac_f32_e32 v53, v27, v51
	v_and_b32_e32 v51, 0xffff0000, v52
	v_fmac_f32_e32 v54, v28, v55
	v_and_b32_e32 v52, 0xffff0000, v62
	v_cndmask_b32_e64 v55, v85, v86, s2
	v_cmp_u_f32_e64 s2, v69, v69
	v_or_b32_e32 v68, 0x400000, v80
	v_mul_f32_e32 v1, s4, v77
	v_fmac_f32_e32 v54, v30, v52
	v_and_b32_e32 v52, 0xffff0000, v55
	v_cndmask_b32_e64 v55, v66, v57, s2
	v_cmp_u_f32_e64 s2, v80, v80
	v_or_b32_e32 v82, 0x400000, v79
	v_fmac_f32_e32 v53, v29, v51
	v_and_b32_e32 v51, 0xffff0000, v56
	v_bfe_u32 v77, v1, 16, 1
	v_cndmask_b32_e64 v56, v83, v68, s2
	v_cmp_u_f32_e64 s2, v79, v79
	v_bfe_u32 v78, v8, 16, 1
	v_or_b32_e32 v71, 0x400000, v75
	v_fmac_f32_e32 v53, v31, v51
	v_fmac_f32_e32 v54, v32, v52
	v_and_b32_e32 v51, 0xffff0000, v55
	v_and_b32_e32 v52, 0xffff0000, v67
	v_cndmask_b32_e64 v55, v81, v82, s2
	v_cmp_u_f32_e64 s2, v75, v75
	v_add3_u32 v74, v77, v1, 0x7fff
	v_add3_u32 v77, v78, v8, 0x7fff
	v_or_b32_e32 v78, 0x400000, v8
	v_mul_f32_e32 v7, s4, v7
	v_fmac_f32_e32 v54, v34, v52
	v_and_b32_e32 v52, 0xffff0000, v55
	v_cndmask_b32_e64 v55, v72, v71, s2
	v_cmp_u_f32_e64 s2, v8, v8
	v_or_b32_e32 v73, 0x400000, v1
	v_fmac_f32_e32 v53, v33, v51
	v_and_b32_e32 v51, 0xffff0000, v56
	v_bfe_u32 v56, v7, 16, 1
	v_cndmask_b32_e64 v8, v77, v78, s2
	v_cmp_u_f32_e64 s2, v1, v1
	v_fmac_f32_e32 v54, v36, v52
	v_fmac_f32_e32 v53, v35, v51
	v_and_b32_e32 v51, 0xffff0000, v70
	v_and_b32_e32 v52, 0xffff0000, v55
	v_add3_u32 v55, v56, v7, 0x7fff
	v_or_b32_e32 v56, 0x400000, v7
	v_cndmask_b32_e64 v1, v74, v73, s2
	v_cmp_u_f32_e64 s2, v7, v7
	v_fmac_f32_e32 v53, v37, v51
	v_fmac_f32_e32 v54, v38, v52
	v_and_b32_e32 v8, 0xffff0000, v8
	v_and_b32_e32 v51, 0xffff0000, v76
	v_cndmask_b32_e64 v7, v55, v56, s2
	v_and_b32_e32 v1, 0xffff0000, v1
	v_fmac_f32_e32 v53, v39, v8
	v_fmac_f32_e32 v54, v40, v51
	v_and_b32_e32 v7, 0xffff0000, v7
	v_fmac_f32_e32 v53, v42, v1
	v_fmac_f32_e32 v54, v43, v7
	v_add_f32_e32 v1, v53, v54
	ds_bpermute_b32 v7, v44, v1
	s_waitcnt lgkmcnt(0)
	v_add_f32_e32 v1, v1, v7
	ds_bpermute_b32 v7, v45, v1
	s_and_saveexec_b32 s3, vcc_lo
	s_cbranch_execz .LBB344_9
; %bb.235:                              ;   in Loop: Header=BB344_10 Depth=1
	v_add_nc_u32_e32 v8, s5, v46
	s_waitcnt lgkmcnt(0)
	v_add_f32_e32 v1, v1, v7
	v_cmp_gt_i32_e64 s2, s27, v46
	v_cvt_f32_i32_e32 v8, v8
	v_mul_f32_e32 v8, s36, v8
	v_cndmask_b32_e64 v7, 0, v8, s1
	v_max_f32_e32 v8, v41, v41
	v_fmac_f32_e32 v7, s37, v1
	v_max_f32_e32 v1, v8, v7
	v_cndmask_b32_e64 v7, 0, v7, s2
	v_cndmask_b32_e64 v41, v41, v1, s2
	ds_write_b32 v47, v7
	s_branch .LBB344_9
.LBB344_236:
	s_or_b32 exec_lo, exec_lo, s16
.LBB344_237:
	s_or_b32 exec_lo, exec_lo, s38
	v_xor_b32_e32 v1, 16, v11
	v_xor_b32_e32 v4, 8, v11
	v_max_f32_e32 v5, v41, v41
	v_xor_b32_e32 v6, 4, v11
	v_and_b32_e32 v23, 31, v0
	v_cmp_lt_i32_e32 vcc_lo, v1, v13
	v_cndmask_b32_e32 v1, v11, v1, vcc_lo
	v_cmp_lt_i32_e32 vcc_lo, v4, v13
	v_lshlrev_b32_e32 v3, 2, v1
	v_cndmask_b32_e32 v4, v11, v4, vcc_lo
	v_cmp_lt_i32_e32 vcc_lo, v6, v13
	ds_bpermute_b32 v1, v3, v41
	v_lshlrev_b32_e32 v4, 2, v4
	v_cndmask_b32_e32 v6, v11, v6, vcc_lo
	v_cmp_eq_u32_e32 vcc_lo, 0, v23
	s_waitcnt lgkmcnt(0)
	v_lshlrev_b32_e32 v7, 2, v6
	v_max_f32_e32 v1, v1, v1
	v_max_f32_e32 v1, v5, v1
	ds_bpermute_b32 v5, v4, v1
	s_waitcnt lgkmcnt(0)
	v_max_f32_e32 v5, v5, v5
	v_max_f32_e32 v1, v1, v5
	v_lshlrev_b32_e32 v5, 2, v22
	ds_bpermute_b32 v6, v7, v1
	s_and_saveexec_b32 s1, vcc_lo
	s_cbranch_execz .LBB344_239
; %bb.238:
	s_waitcnt lgkmcnt(0)
	v_max_f32_e32 v6, v6, v6
	v_max_f32_e32 v1, v1, v1
	;; [unrolled: 1-line block ×3, first 2 shown]
	ds_write_b32 v5, v1 offset:224
.LBB344_239:
	s_or_b32 exec_lo, exec_lo, s1
	v_cmp_gt_u32_e64 s1, 4, v23
	v_mov_b32_e32 v1, 0xff7fffff
	s_waitcnt lgkmcnt(0)
	v_lshlrev_b32_e32 v6, 2, v23
	s_barrier
	buffer_gl0_inv
	s_and_saveexec_b32 s2, s1
; %bb.240:
	ds_read_b32 v1, v6 offset:224
; %bb.241:
	s_or_b32 exec_lo, exec_lo, s2
	v_xor_b32_e32 v8, 2, v11
	v_xor_b32_e32 v15, 1, v11
	v_lshlrev_b32_e32 v2, 2, v2
	v_lshl_add_u32 v24, v0, 2, 0x100
	v_cmp_lt_i32_e64 s2, v8, v13
	v_cndmask_b32_e64 v8, v11, v8, s2
	v_cmp_lt_i32_e64 s2, v15, v13
	v_lshlrev_b32_e32 v8, 2, v8
	v_cndmask_b32_e64 v13, v11, v15, s2
	s_sub_i32 s2, s12, s15
	s_lshl_b32 s2, s2, 3
	s_waitcnt lgkmcnt(0)
	ds_bpermute_b32 v14, v8, v1
	v_max_f32_e32 v1, v1, v1
	v_lshlrev_b32_e32 v13, 2, v13
	s_add_i32 s2, s2, s33
	s_min_i32 s2, s2, s27
	s_sub_i32 s4, s2, s33
	v_cmp_gt_i32_e64 s2, s4, v0
	s_waitcnt lgkmcnt(0)
	v_max_f32_e32 v14, v14, v14
	v_max_f32_e32 v1, v1, v14
	ds_bpermute_b32 v14, v13, v1
	s_waitcnt lgkmcnt(0)
	v_max_f32_e32 v14, v14, v14
	v_max_f32_e32 v1, v1, v14
	ds_bpermute_b32 v1, v2, v1
	v_mov_b32_e32 v2, 0
	s_and_saveexec_b32 s5, s2
	s_cbranch_execz .LBB344_245
; %bb.242:
	v_lshl_add_u32 v14, v0, 2, 0x100
	v_mov_b32_e32 v2, 0
	v_mov_b32_e32 v15, v0
	s_mov_b32 s15, 0
	.p2align	6
.LBB344_243:                            ; =>This Inner Loop Header: Depth=1
	ds_read_b32 v16, v14
	v_add_nc_u32_e32 v15, 0x80, v15
	v_cmp_le_i32_e64 s3, s4, v15
	s_or_b32 s15, s3, s15
	s_waitcnt lgkmcnt(0)
	v_sub_f32_e32 v16, v16, v1
	v_mul_f32_e32 v16, 0x3fb8aa3b, v16
	v_exp_f32_e32 v16, v16
	ds_write_b32 v14, v16
	v_add_f32_e32 v2, v2, v16
	v_add_nc_u32_e32 v14, 0x200, v14
	s_andn2_b32 exec_lo, exec_lo, s15
	s_cbranch_execnz .LBB344_243
; %bb.244:
	s_or_b32 exec_lo, exec_lo, s15
.LBB344_245:
	s_or_b32 exec_lo, exec_lo, s5
	ds_bpermute_b32 v3, v3, v2
	s_waitcnt lgkmcnt(0)
	v_add_f32_e32 v2, v2, v3
	ds_bpermute_b32 v3, v4, v2
	s_waitcnt lgkmcnt(0)
	v_add_f32_e32 v2, v2, v3
	;; [unrolled: 3-line block ×5, first 2 shown]
	s_and_saveexec_b32 s3, vcc_lo
; %bb.246:
	ds_write_b32 v5, v2 offset:240
; %bb.247:
	s_or_b32 exec_lo, exec_lo, s3
	s_waitcnt lgkmcnt(0)
	s_barrier
	buffer_gl0_inv
	s_and_saveexec_b32 s3, s1
; %bb.248:
	ds_read_b32 v2, v6 offset:240
; %bb.249:
	s_or_b32 exec_lo, exec_lo, s3
	s_waitcnt lgkmcnt(0)
	ds_bpermute_b32 v3, v8, v2
	v_lshlrev_b32_e32 v4, 2, v11
	s_waitcnt lgkmcnt(0)
	v_add_f32_e32 v2, v2, v3
	ds_bpermute_b32 v3, v13, v2
	s_waitcnt lgkmcnt(0)
	v_add_f32_e32 v2, v2, v3
	v_and_b32_e32 v3, 0xffffff80, v4
	ds_bpermute_b32 v2, v3, v2
	s_and_saveexec_b32 s1, s2
	s_cbranch_execz .LBB344_252
; %bb.250:
	s_waitcnt lgkmcnt(0)
	v_add_f32_e32 v4, 0x358637bd, v2
	s_mov_b32 s2, 0
	v_div_scale_f32 v3, null, v4, v4, 1.0
	v_div_scale_f32 v7, vcc_lo, 1.0, v4, 1.0
	v_rcp_f32_e32 v5, v3
	v_fma_f32 v6, -v3, v5, 1.0
	v_fmac_f32_e32 v5, v6, v5
	v_mul_f32_e32 v6, v7, v5
	v_fma_f32 v8, -v3, v6, v7
	v_fmac_f32_e32 v6, v8, v5
	v_fma_f32 v3, -v3, v6, v7
	v_div_fmas_f32 v5, v3, v5, v6
	v_mov_b32_e32 v3, v24
	v_div_fixup_f32 v4, v5, v4, 1.0
	v_mov_b32_e32 v5, v0
.LBB344_251:                            ; =>This Inner Loop Header: Depth=1
	ds_read_b32 v6, v3
	v_add_nc_u32_e32 v5, 0x80, v5
	v_cmp_le_i32_e32 vcc_lo, s4, v5
	s_or_b32 s2, vcc_lo, s2
	s_waitcnt lgkmcnt(0)
	v_mul_f32_e32 v6, v4, v6
	ds_write_b32 v3, v6
	v_add_nc_u32_e32 v3, 0x200, v3
	s_andn2_b32 exec_lo, exec_lo, s2
	s_cbranch_execnz .LBB344_251
.LBB344_252:
	s_or_b32 exec_lo, exec_lo, s1
	s_mul_i32 s1, s11, s26
	s_waitcnt lgkmcnt(0)
	s_mul_i32 s2, s1, s9
	s_mov_b32 s1, exec_lo
	s_barrier
	buffer_gl0_inv
	v_cmpx_eq_u32_e32 0, v0
	s_cbranch_execz .LBB344_254
; %bb.253:
	s_ashr_i32 s3, s2, 31
	s_mul_i32 s16, s11, s6
	s_lshl_b64 s[4:5], s[2:3], 2
	v_mov_b32_e32 v3, 0
	s_add_u32 s3, s22, s4
	s_addc_u32 s6, s23, s5
	s_ashr_i32 s17, s16, 31
	s_lshl_b64 s[16:17], s[16:17], 2
	s_add_u32 s3, s3, s16
	s_addc_u32 s6, s6, s17
	s_ashr_i32 s9, s8, 31
	s_lshl_b64 s[22:23], s[8:9], 2
	s_add_u32 s36, s3, s22
	s_addc_u32 s37, s6, s23
	s_add_u32 s3, s20, s4
	s_addc_u32 s4, s21, s5
	;; [unrolled: 2-line block ×4, first 2 shown]
	global_store_dword v3, v1, s[36:37]
	global_store_dword v3, v2, s[4:5]
.LBB344_254:
	s_or_b32 exec_lo, exec_lo, s1
	v_mov_b32_e32 v28, 0
	v_mov_b32_e32 v27, 0
	;; [unrolled: 1-line block ×4, first 2 shown]
	s_and_saveexec_b32 s3, s0
	s_cbranch_execz .LBB344_508
; %bb.255:
	s_ashr_i32 s0, s14, 31
	s_add_u32 s4, s34, s14
	s_load_dword s14, s[18:19], 0x0
	v_or_b32_e32 v1, 0x60, v23
	s_addc_u32 s5, s35, s0
	s_lshl_b64 s[0:1], s[30:31], 2
	s_mov_b32 s9, s13
	s_add_i32 s13, s7, -1
	v_cmp_gt_u32_e32 vcc_lo, 0x70, v1
	v_lshlrev_b32_e32 v30, 3, v1
	v_lshlrev_b64 v[1:2], 2, v[9:10]
	s_add_u32 s0, s28, s0
	v_add3_u32 v31, s33, v12, 7
	s_addc_u32 s1, s29, s1
	v_lshlrev_b32_e32 v29, 3, v23
	v_mov_b32_e32 v11, 0
	v_add_co_u32 v12, s0, s0, v1
	v_lshl_add_u32 v32, v22, 5, 0x100
	v_add_co_ci_u32_e64 v13, null, s1, v2, s0
	v_mov_b32_e32 v33, 0x80
	v_mov_b32_e32 v34, 0xffff
	;; [unrolled: 1-line block ×9, first 2 shown]
	s_mov_b32 s6, -1
	s_mov_b32 s7, 0xffffff
	s_mov_b32 s15, 0
	s_branch .LBB344_258
.LBB344_256:                            ;   in Loop: Header=BB344_258 Depth=1
	s_or_b32 exec_lo, exec_lo, s1
	v_and_b32_e32 v46, 0xffff0000, v8
	v_lshlrev_b32_e32 v57, 16, v57
	v_lshlrev_b32_e32 v58, 16, v8
	v_lshlrev_b32_e32 v15, 16, v15
	v_and_b32_e32 v59, 0xffff0000, v7
	v_lshlrev_b32_e32 v10, 16, v10
	v_mul_f32_e32 v46, v46, v57
	v_lshlrev_b32_e32 v57, 16, v7
	v_lshlrev_b32_e32 v14, 16, v14
	v_mul_f32_e32 v15, v58, v15
	v_mul_f32_e32 v10, v59, v10
	v_bfe_u32 v58, v46, 16, 1
	v_or_b32_e32 v59, 0x400000, v46
	v_mul_f32_e32 v14, v57, v14
	v_bfe_u32 v57, v15, 16, 1
	v_cmp_u_f32_e64 s0, v46, v46
	v_add3_u32 v58, v58, v46, 0x7fff
	v_or_b32_e32 v60, 0x400000, v15
	v_bfe_u32 v61, v10, 16, 1
	v_add3_u32 v57, v57, v15, 0x7fff
	v_lshlrev_b32_e32 v2, 16, v2
	v_cndmask_b32_e64 v46, v58, v59, s0
	v_and_b32_e32 v58, 0xffff0000, v6
	v_cmp_u_f32_e64 s0, v15, v15
	v_or_b32_e32 v59, 0x400000, v10
	v_lshlrev_b32_e32 v1, 16, v1
	v_lshlrev_b32_e32 v4, 16, v4
	v_mul_f32_e32 v2, v58, v2
	v_cndmask_b32_e64 v15, v57, v60, s0
	v_add3_u32 v57, v61, v10, 0x7fff
	v_bfe_u32 v60, v14, 16, 1
	v_lshlrev_b32_e32 v58, 16, v6
	v_cmp_u_f32_e64 s0, v10, v10
	v_lshlrev_b32_e32 v61, 16, v5
	v_lshlrev_b32_e32 v3, 16, v3
	v_and_b32_e32 v15, 0xffff0000, v15
	v_mul_f32_e32 v1, v58, v1
	v_cndmask_b32_e64 v10, v57, v59, s0
	v_add3_u32 v57, v60, v14, 0x7fff
	v_or_b32_e32 v59, 0x400000, v14
	v_bfe_u32 v60, v2, 16, 1
	v_and_b32_e32 v58, 0xffff0000, v5
	v_cmp_u_f32_e64 s0, v14, v14
	v_mul_f32_e32 v3, v61, v3
	v_and_b32_e32 v46, 0xffff0000, v46
	v_and_b32_e32 v10, 0xffff0000, v10
	v_mul_f32_e32 v4, v58, v4
	v_cndmask_b32_e64 v14, v57, v59, s0
	v_bfe_u32 v57, v1, 16, 1
	v_add3_u32 v59, v60, v2, 0x7fff
	v_or_b32_e32 v58, 0x400000, v2
	v_cmp_u_f32_e64 s0, v2, v2
	v_or_b32_e32 v60, 0x400000, v1
	v_add3_u32 v57, v57, v1, 0x7fff
	v_bfe_u32 v62, v3, 16, 1
	v_bfe_u32 v61, v4, 16, 1
	v_cndmask_b32_e64 v2, v59, v58, s0
	v_cmp_u_f32_e64 s0, v1, v1
	v_or_b32_e32 v59, 0x400000, v3
	v_add3_u32 v58, v62, v3, 0x7fff
	v_and_b32_e32 v14, 0xffff0000, v14
	v_add_f32_e32 v15, v15, v46
	v_cndmask_b32_e64 v1, v57, v60, s0
	v_cmp_u_f32_e64 s0, v3, v3
	v_add3_u32 v57, v61, v4, 0x7fff
	v_or_b32_e32 v60, 0x400000, v4
	v_add_f32_e32 v10, v14, v10
	v_and_b32_e32 v1, 0xffff0000, v1
	v_cndmask_b32_e64 v3, v58, v59, s0
	v_cmp_u_f32_e64 s0, v4, v4
	v_and_b32_e32 v2, 0xffff0000, v2
	v_add_f32_e32 v10, v10, v15
	v_cndmask_b32_e64 v4, v57, v60, s0
	v_add_f32_e32 v1, v1, v2
	v_and_b32_e32 v2, 0xffff0000, v3
	v_and_b32_e32 v3, 0xffff0000, v4
	v_add_f32_e32 v1, v1, v10
	v_add_f32_e32 v2, v2, v3
	;; [unrolled: 1-line block ×4, first 2 shown]
.LBB344_257:                            ;   in Loop: Header=BB344_258 Depth=1
	s_or_b32 exec_lo, exec_lo, s16
	v_and_b32_e32 v1, 0xffff0000, v8
	v_lshlrev_b32_e32 v2, 16, v56
	v_lshlrev_b32_e32 v3, 16, v8
	;; [unrolled: 1-line block ×3, first 2 shown]
	v_and_b32_e32 v8, 0xffff0000, v7
	v_lshlrev_b32_e32 v10, 16, v53
	v_mul_f32_e32 v2, v1, v2
	v_lshlrev_b32_e32 v7, 16, v7
	v_mul_f32_e32 v4, v3, v4
	v_lshlrev_b32_e32 v14, 16, v54
	v_and_b32_e32 v46, 0xffff0000, v6
	v_bfe_u32 v15, v2, 16, 1
	v_lshlrev_b32_e32 v17, 16, v17
	v_bfe_u32 v53, v4, 16, 1
	v_or_b32_e32 v54, 0x400000, v2
	v_mul_f32_e32 v10, v8, v10
	v_add3_u32 v15, v15, v2, 0x7fff
	v_cmp_u_f32_e64 s0, v2, v2
	v_or_b32_e32 v55, 0x400000, v4
	v_add3_u32 v53, v53, v4, 0x7fff
	v_mul_f32_e32 v14, v7, v14
	v_mul_f32_e32 v17, v46, v17
	v_cndmask_b32_e64 v2, v15, v54, s0
	v_bfe_u32 v15, v10, 16, 1
	v_cmp_u_f32_e64 s0, v4, v4
	v_bfe_u32 v54, v14, 16, 1
	v_lshlrev_b32_e32 v6, 16, v6
	v_lshlrev_b32_e32 v16, 16, v16
	v_add3_u32 v15, v15, v10, 0x7fff
	v_cndmask_b32_e64 v4, v53, v55, s0
	v_or_b32_e32 v53, 0x400000, v10
	v_bfe_u32 v55, v17, 16, 1
	v_cmp_u_f32_e64 s0, v10, v10
	v_mul_f32_e32 v16, v6, v16
	v_lshlrev_b32_e32 v19, 16, v19
	v_or_b32_e32 v56, 0x400000, v17
	v_lshlrev_b32_e32 v18, 16, v18
	v_cndmask_b32_e64 v10, v15, v53, s0
	v_add3_u32 v15, v54, v14, 0x7fff
	v_or_b32_e32 v53, 0x400000, v14
	v_add3_u32 v54, v55, v17, 0x7fff
	v_and_b32_e32 v55, 0xffff0000, v5
	v_cmp_u_f32_e64 s0, v14, v14
	v_bfe_u32 v57, v16, 16, 1
	v_lshlrev_b32_e32 v5, 16, v5
	v_and_b32_e32 v4, 0xffff0000, v4
	v_and_b32_e32 v2, 0xffff0000, v2
	v_cndmask_b32_e64 v14, v15, v53, s0
	v_mul_f32_e32 v15, v55, v19
	v_cmp_u_f32_e64 s0, v17, v17
	v_add3_u32 v19, v57, v16, 0x7fff
	v_or_b32_e32 v53, 0x400000, v16
	v_mul_f32_e32 v18, v5, v18
	v_and_b32_e32 v14, 0xffff0000, v14
	v_cndmask_b32_e64 v17, v54, v56, s0
	v_bfe_u32 v54, v15, 16, 1
	v_cmp_u_f32_e64 s0, v16, v16
	v_and_b32_e32 v10, 0xffff0000, v10
	v_add_f32_e32 v2, v4, v2
	v_lshlrev_b32_e32 v21, 16, v21
	v_lshlrev_b32_e32 v20, 16, v20
	v_cndmask_b32_e64 v16, v19, v53, s0
	v_add3_u32 v19, v54, v15, 0x7fff
	v_or_b32_e32 v53, 0x400000, v15
	v_cmp_u_f32_e64 s0, v15, v15
	v_add_f32_e32 v4, v14, v10
	v_lshlrev_b32_e32 v14, 16, v52
	v_and_b32_e32 v10, 0xffff0000, v16
	v_and_b32_e32 v16, 0xffff0000, v17
	v_cndmask_b32_e64 v15, v19, v53, s0
	v_bfe_u32 v19, v18, 16, 1
	v_add_f32_e32 v2, v4, v2
	v_mul_f32_e32 v4, v1, v14
	v_cmp_u_f32_e64 s0, v18, v18
	v_add_f32_e32 v10, v10, v16
	v_add3_u32 v17, v19, v18, 0x7fff
	v_or_b32_e32 v19, 0x400000, v18
	v_lshlrev_b32_e32 v16, 16, v51
	v_or_b32_e32 v18, 0x400000, v4
	v_add_f32_e32 v2, v10, v2
	v_lshlrev_b32_e32 v10, 16, v48
	v_cndmask_b32_e64 v14, v17, v19, s0
	v_bfe_u32 v17, v4, 16, 1
	v_mul_f32_e32 v16, v3, v16
	v_cmp_u_f32_e64 s0, v4, v4
	v_mul_f32_e32 v10, v8, v10
	v_mul_f32_e32 v21, v46, v21
	v_add3_u32 v17, v17, v4, 0x7fff
	v_bfe_u32 v19, v16, 16, 1
	v_or_b32_e32 v48, 0x400000, v16
	v_mul_f32_e32 v20, v6, v20
	v_lshlrev_b32_e32 v45, 16, v45
	v_cndmask_b32_e64 v4, v17, v18, s0
	v_lshlrev_b32_e32 v18, 16, v50
	v_bfe_u32 v17, v10, 16, 1
	v_add3_u32 v19, v19, v16, 0x7fff
	v_cmp_u_f32_e64 s0, v16, v16
	v_or_b32_e32 v50, 0x400000, v10
	v_mul_f32_e32 v18, v7, v18
	v_add3_u32 v17, v17, v10, 0x7fff
	v_and_b32_e32 v4, 0xffff0000, v4
	v_cndmask_b32_e64 v16, v19, v48, s0
	v_cmp_u_f32_e64 s0, v10, v10
	v_bfe_u32 v19, v18, 16, 1
	v_lshlrev_b32_e32 v48, 16, v49
	v_or_b32_e32 v49, 0x400000, v18
	v_and_b32_e32 v16, 0xffff0000, v16
	v_cndmask_b32_e64 v10, v17, v50, s0
	v_bfe_u32 v17, v21, 16, 1
	v_add3_u32 v19, v19, v18, 0x7fff
	v_cmp_u_f32_e64 s0, v18, v18
	v_mul_f32_e32 v48, v55, v48
	v_or_b32_e32 v50, 0x400000, v21
	v_add3_u32 v17, v17, v21, 0x7fff
	v_and_b32_e32 v10, 0xffff0000, v10
	v_cndmask_b32_e64 v18, v19, v49, s0
	v_bfe_u32 v19, v20, 16, 1
	v_cmp_u_f32_e64 s0, v21, v21
	v_lshlrev_b32_e32 v21, 16, v47
	v_bfe_u32 v49, v48, 16, 1
	v_or_b32_e32 v47, 0x400000, v20
	v_add3_u32 v19, v19, v20, 0x7fff
	v_cndmask_b32_e64 v17, v17, v50, s0
	v_mul_f32_e32 v21, v5, v21
	v_cmp_u_f32_e64 s0, v20, v20
	v_add3_u32 v49, v49, v48, 0x7fff
	v_or_b32_e32 v50, 0x400000, v48
	v_and_b32_e32 v18, 0xffff0000, v18
	v_add_f32_e32 v4, v16, v4
	v_cndmask_b32_e64 v19, v19, v47, s0
	v_cmp_u_f32_e64 s0, v48, v48
	v_bfe_u32 v47, v21, 16, 1
	v_or_b32_e32 v48, 0x400000, v21
	v_add_f32_e32 v10, v18, v10
	v_and_b32_e32 v16, 0xffff0000, v19
	v_cndmask_b32_e64 v20, v49, v50, s0
	v_add3_u32 v47, v47, v21, 0x7fff
	v_and_b32_e32 v17, 0xffff0000, v17
	v_mul_f32_e32 v1, v1, v45
	v_lshlrev_b32_e32 v18, 16, v44
	v_cmp_u_f32_e64 s0, v21, v21
	v_add_f32_e32 v4, v10, v4
	v_add_f32_e32 v16, v16, v17
	v_bfe_u32 v10, v1, 16, 1
	v_mul_f32_e32 v3, v3, v18
	v_cndmask_b32_e64 v19, v47, v48, s0
	v_lshlrev_b32_e32 v17, 16, v41
	v_cmp_u_f32_e64 s0, v1, v1
	v_add3_u32 v10, v10, v1, 0x7fff
	v_bfe_u32 v21, v3, 16, 1
	v_and_b32_e32 v18, 0xffff0000, v19
	v_or_b32_e32 v19, 0x400000, v1
	v_mul_f32_e32 v8, v8, v17
	v_lshlrev_b32_e32 v17, 16, v43
	v_and_b32_e32 v14, 0xffff0000, v14
	v_and_b32_e32 v15, 0xffff0000, v15
	v_cndmask_b32_e64 v1, v10, v19, s0
	v_add3_u32 v10, v21, v3, 0x7fff
	v_or_b32_e32 v19, 0x400000, v3
	v_bfe_u32 v21, v8, 16, 1
	v_mul_f32_e32 v7, v7, v17
	v_lshlrev_b32_e32 v17, 16, v38
	v_cmp_u_f32_e64 s0, v3, v3
	v_lshlrev_b32_e32 v38, 16, v39
	v_lshlrev_b32_e32 v39, 16, v40
	v_and_b32_e32 v1, 0xffff0000, v1
	v_mul_f32_e32 v17, v46, v17
	v_cndmask_b32_e64 v3, v10, v19, s0
	v_add3_u32 v10, v21, v8, 0x7fff
	v_or_b32_e32 v19, 0x400000, v8
	v_bfe_u32 v21, v7, 16, 1
	v_cmp_u_f32_e64 s0, v8, v8
	v_mul_f32_e32 v6, v6, v38
	v_lshlrev_b32_e32 v38, 16, v42
	v_mul_f32_e32 v5, v5, v39
	v_and_b32_e32 v3, 0xffff0000, v3
	v_cndmask_b32_e64 v8, v10, v19, s0
	v_add3_u32 v10, v21, v7, 0x7fff
	v_or_b32_e32 v19, 0x400000, v7
	v_bfe_u32 v21, v17, 16, 1
	v_cmp_u_f32_e64 s0, v7, v7
	v_or_b32_e32 v39, 0x400000, v6
	v_bfe_u32 v41, v5, 16, 1
	v_and_b32_e32 v8, 0xffff0000, v8
	v_add_f32_e32 v1, v3, v1
	v_cndmask_b32_e64 v7, v10, v19, s0
	v_bfe_u32 v10, v6, 16, 1
	v_add3_u32 v19, v21, v17, 0x7fff
	v_mul_f32_e32 v21, v55, v38
	v_or_b32_e32 v38, 0x400000, v17
	v_cmp_u_f32_e64 s0, v17, v17
	v_add3_u32 v10, v10, v6, 0x7fff
	v_and_b32_e32 v7, 0xffff0000, v7
	v_bfe_u32 v40, v21, 16, 1
	v_add_f32_e32 v4, v16, v4
	v_cndmask_b32_e64 v17, v19, v38, s0
	v_cmp_u_f32_e64 s0, v6, v6
	v_add3_u32 v19, v41, v5, 0x7fff
	v_or_b32_e32 v38, 0x400000, v5
	v_add_f32_e32 v3, v7, v8
	v_and_b32_e32 v7, 0xffff0000, v17
	v_cndmask_b32_e64 v6, v10, v39, s0
	v_cmp_u_f32_e64 s0, v5, v5
	v_add3_u32 v10, v40, v21, 0x7fff
	v_or_b32_e32 v39, 0x400000, v21
	v_add_f32_e32 v1, v3, v1
	v_and_b32_e32 v6, 0xffff0000, v6
	v_cndmask_b32_e64 v5, v19, v38, s0
	v_cmp_u_f32_e64 s0, v21, v21
	v_add_nc_u32_e32 v9, 4, v9
	v_add_co_u32 v12, s1, v12, 16
	v_add_f32_e32 v3, v6, v7
	v_cndmask_b32_e64 v8, v10, v39, s0
	v_and_b32_e32 v10, 0xffff0000, v20
	v_and_b32_e32 v5, 0xffff0000, v5
	v_add_f32_e32 v7, v14, v15
	v_add_f32_e32 v1, v3, v1
	v_and_b32_e32 v6, 0xffff0000, v8
	v_add_f32_e32 v8, v18, v10
	v_cmp_le_i32_e64 s0, s12, v9
	v_add_f32_e32 v2, v7, v2
	v_add_nc_u32_e32 v31, 32, v31
	v_add_f32_e32 v3, v5, v6
	v_add_f32_e32 v4, v8, v4
	v_add_nc_u32_e32 v32, 0x80, v32
	v_add_f32_e32 v26, v26, v2
	v_add_co_ci_u32_e64 v13, null, 0, v13, s1
	v_add_f32_e32 v1, v3, v1
	v_add_f32_e32 v27, v27, v4
	s_or_b32 s15, s0, s15
	v_add_f32_e32 v28, v28, v1
	s_andn2_b32 exec_lo, exec_lo, s15
	s_cbranch_execz .LBB344_507
.LBB344_258:                            ; =>This Inner Loop Header: Depth=1
	global_load_dword v1, v[12:13], off
	v_mov_b32_e32 v40, 0
	s_waitcnt vmcnt(0)
	v_mad_i64_i32 v[14:15], null, v1, s9, s[4:5]
	v_add_co_u32 v16, s0, v14, v29
	v_add_co_ci_u32_e64 v17, null, 0, v15, s0
	global_load_dwordx2 v[18:19], v[16:17], off
	ds_read2_b64 v[5:8], v32 offset1:1
	ds_read2_b64 v[1:4], v32 offset0:2 offset1:3
	s_waitcnt vmcnt(0)
	v_cmp_ne_u16_sdwa s0, v18, v11 src0_sel:BYTE_0 src1_sel:DWORD
	s_and_saveexec_b32 s1, s0
	s_cbranch_execz .LBB344_264
; %bb.259:                              ;   in Loop: Header=BB344_258 Depth=1
	v_cmp_ne_u16_sdwa s0, v18, v33 src0_sel:BYTE_0 src1_sel:DWORD
	v_bfrev_b32_e32 v40, 1
	s_and_saveexec_b32 s16, s0
	s_cbranch_execz .LBB344_263
; %bb.260:                              ;   in Loop: Header=BB344_258 Depth=1
	v_and_b32_e32 v10, 0x7f, v18
	v_mov_b32_e32 v40, 0x7f800001
	s_mov_b32 s17, exec_lo
	v_cmpx_ne_u32_e32 0x7f, v10
	s_cbranch_execz .LBB344_262
; %bb.261:                              ;   in Loop: Header=BB344_258 Depth=1
	v_and_b32_e32 v20, 7, v18
	v_lshrrev_b32_e32 v21, 3, v10
	v_cmp_gt_u32_e64 s0, 8, v10
	v_ffbh_u32_e32 v20, v20
	v_min_u32_e32 v20, 32, v20
	v_subrev_nc_u32_e32 v38, 28, v20
	v_sub_nc_u32_e32 v20, 29, v20
	v_cndmask_b32_e64 v10, v21, v20, s0
	v_cndmask_b32_e64 v20, 0, v38, s0
	v_lshl_add_u32 v10, v10, 23, 0x3c000000
	v_lshlrev_b64 v[20:21], v20, v[18:19]
	v_lshlrev_b32_e32 v21, 24, v18
	v_lshlrev_b32_e32 v20, 20, v20
	v_and_b32_e32 v21, 0x80000000, v21
	v_and_b32_e32 v20, 0x700000, v20
	v_or3_b32 v40, v20, v21, v10
.LBB344_262:                            ;   in Loop: Header=BB344_258 Depth=1
	s_or_b32 exec_lo, exec_lo, s17
.LBB344_263:                            ;   in Loop: Header=BB344_258 Depth=1
	s_or_b32 exec_lo, exec_lo, s16
.LBB344_264:                            ;   in Loop: Header=BB344_258 Depth=1
	s_or_b32 exec_lo, exec_lo, s1
	v_cmp_ne_u16_sdwa s0, v18, v11 src0_sel:BYTE_1 src1_sel:DWORD
	v_mov_b32_e32 v38, 0
	v_mov_b32_e32 v39, 0
	s_and_saveexec_b32 s1, s0
	s_cbranch_execz .LBB344_272
; %bb.265:                              ;   in Loop: Header=BB344_258 Depth=1
	v_cmp_ne_u16_sdwa s0, v18, v33 src0_sel:BYTE_1 src1_sel:DWORD
	v_bfrev_b32_e32 v39, 1
	s_and_saveexec_b32 s16, s0
	s_cbranch_execz .LBB344_271
; %bb.266:                              ;   in Loop: Header=BB344_258 Depth=1
	v_and_b32_sdwa v10, v34, v18 dst_sel:DWORD dst_unused:UNUSED_PAD src0_sel:DWORD src1_sel:BYTE_1
	v_mov_b32_e32 v39, 0x7f800001
	s_mov_b32 s17, exec_lo
	v_and_b32_e32 v21, 0x7f, v10
	v_cmpx_ne_u32_e32 0x7f, v21
	s_cbranch_execz .LBB344_270
; %bb.267:                              ;   in Loop: Header=BB344_258 Depth=1
	v_and_b32_e32 v10, 7, v10
	v_lshrrev_b32_e32 v20, 3, v21
	s_mov_b32 s18, exec_lo
	v_cmpx_gt_u32_e32 8, v21
; %bb.268:                              ;   in Loop: Header=BB344_258 Depth=1
	v_ffbh_u32_e32 v20, v10
	v_min_u32_e32 v20, 32, v20
	v_subrev_nc_u32_e32 v21, 28, v20
	v_sub_nc_u32_e32 v20, 29, v20
	v_lshlrev_b64 v[41:42], v21, v[10:11]
	v_and_b32_e32 v10, 7, v41
; %bb.269:                              ;   in Loop: Header=BB344_258 Depth=1
	s_or_b32 exec_lo, exec_lo, s18
	v_lshlrev_b32_e32 v21, 16, v18
	v_lshlrev_b32_e32 v10, 20, v10
	v_lshl_add_u32 v20, v20, 23, 0x3c000000
	v_and_b32_e32 v21, 0x80000000, v21
	v_or3_b32 v39, v10, v21, v20
.LBB344_270:                            ;   in Loop: Header=BB344_258 Depth=1
	s_or_b32 exec_lo, exec_lo, s17
.LBB344_271:                            ;   in Loop: Header=BB344_258 Depth=1
	s_or_b32 exec_lo, exec_lo, s16
.LBB344_272:                            ;   in Loop: Header=BB344_258 Depth=1
	s_or_b32 exec_lo, exec_lo, s1
	v_and_b32_sdwa v10, v18, v35 dst_sel:DWORD dst_unused:UNUSED_PAD src0_sel:WORD_1 src1_sel:DWORD
	s_mov_b32 s1, exec_lo
	v_cmpx_ne_u16_e32 0, v10
	s_cbranch_execz .LBB344_280
; %bb.273:                              ;   in Loop: Header=BB344_258 Depth=1
	v_bfrev_b32_e32 v38, 1
	s_mov_b32 s16, exec_lo
	v_cmpx_ne_u16_e32 0x80, v10
	s_cbranch_execz .LBB344_279
; %bb.274:                              ;   in Loop: Header=BB344_258 Depth=1
	v_bfe_u32 v21, v18, 16, 7
	v_mov_b32_e32 v38, 0x7f800001
	s_mov_b32 s17, exec_lo
	v_cmpx_ne_u32_e32 0x7f, v21
	s_cbranch_execz .LBB344_278
; %bb.275:                              ;   in Loop: Header=BB344_258 Depth=1
	v_and_b32_sdwa v10, v18, v36 dst_sel:DWORD dst_unused:UNUSED_PAD src0_sel:WORD_1 src1_sel:DWORD
	v_lshrrev_b32_e32 v20, 3, v21
	s_mov_b32 s18, exec_lo
	v_cmpx_gt_u32_e32 8, v21
; %bb.276:                              ;   in Loop: Header=BB344_258 Depth=1
	v_ffbh_u32_e32 v20, v10
	v_min_u32_e32 v20, 32, v20
	v_subrev_nc_u32_e32 v21, 28, v20
	v_sub_nc_u32_e32 v20, 29, v20
	v_lshlrev_b64 v[41:42], v21, v[10:11]
	v_and_b32_e32 v10, 7, v41
; %bb.277:                              ;   in Loop: Header=BB344_258 Depth=1
	s_or_b32 exec_lo, exec_lo, s18
	v_lshlrev_b32_sdwa v21, v37, v18 dst_sel:DWORD dst_unused:UNUSED_PAD src0_sel:DWORD src1_sel:WORD_1
	v_lshlrev_b32_e32 v10, 20, v10
	v_lshl_add_u32 v20, v20, 23, 0x3c000000
	v_and_b32_e32 v21, 0x80000000, v21
	v_or3_b32 v38, v10, v21, v20
.LBB344_278:                            ;   in Loop: Header=BB344_258 Depth=1
	s_or_b32 exec_lo, exec_lo, s17
.LBB344_279:                            ;   in Loop: Header=BB344_258 Depth=1
	s_or_b32 exec_lo, exec_lo, s16
.LBB344_280:                            ;   in Loop: Header=BB344_258 Depth=1
	s_or_b32 exec_lo, exec_lo, s1
	v_mov_b32_e32 v41, 0
	v_mov_b32_e32 v42, 0
	s_mov_b32 s1, exec_lo
	v_cmpx_lt_u32_e32 0xffffff, v18
	s_cbranch_execz .LBB344_288
; %bb.281:                              ;   in Loop: Header=BB344_258 Depth=1
	v_cmp_ne_u32_sdwa s0, v18, v33 src0_sel:BYTE_3 src1_sel:DWORD
	v_bfrev_b32_e32 v42, 1
	s_and_saveexec_b32 s16, s0
	s_cbranch_execz .LBB344_287
; %bb.282:                              ;   in Loop: Header=BB344_258 Depth=1
	v_bfe_u32 v21, v18, 24, 7
	v_mov_b32_e32 v42, 0x7f800001
	s_mov_b32 s17, exec_lo
	v_cmpx_ne_u32_e32 0x7f, v21
	s_cbranch_execz .LBB344_286
; %bb.283:                              ;   in Loop: Header=BB344_258 Depth=1
	v_and_b32_sdwa v10, v18, v36 dst_sel:DWORD dst_unused:UNUSED_PAD src0_sel:BYTE_3 src1_sel:DWORD
	v_lshrrev_b32_e32 v20, 3, v21
	s_mov_b32 s18, exec_lo
	v_cmpx_gt_u32_e32 8, v21
; %bb.284:                              ;   in Loop: Header=BB344_258 Depth=1
	v_ffbh_u32_e32 v20, v10
	v_min_u32_e32 v20, 32, v20
	v_subrev_nc_u32_e32 v21, 28, v20
	v_sub_nc_u32_e32 v20, 29, v20
	v_lshlrev_b64 v[42:43], v21, v[10:11]
	v_and_b32_e32 v10, 7, v42
; %bb.285:                              ;   in Loop: Header=BB344_258 Depth=1
	s_or_b32 exec_lo, exec_lo, s18
	v_lshlrev_b32_sdwa v21, v37, v18 dst_sel:DWORD dst_unused:UNUSED_PAD src0_sel:DWORD src1_sel:BYTE_3
	v_lshlrev_b32_e32 v10, 20, v10
	v_lshl_add_u32 v20, v20, 23, 0x3c000000
	v_and_b32_e32 v21, 0x80000000, v21
	v_or3_b32 v42, v10, v21, v20
.LBB344_286:                            ;   in Loop: Header=BB344_258 Depth=1
	s_or_b32 exec_lo, exec_lo, s17
.LBB344_287:                            ;   in Loop: Header=BB344_258 Depth=1
	s_or_b32 exec_lo, exec_lo, s16
.LBB344_288:                            ;   in Loop: Header=BB344_258 Depth=1
	s_or_b32 exec_lo, exec_lo, s1
	v_mov_b32_e32 v10, v19
	v_cmp_ne_u16_sdwa s0, v19, v11 src0_sel:BYTE_0 src1_sel:DWORD
	s_and_saveexec_b32 s1, s0
	s_cbranch_execz .LBB344_294
; %bb.289:                              ;   in Loop: Header=BB344_258 Depth=1
	v_cmp_ne_u16_sdwa s0, v19, v33 src0_sel:BYTE_0 src1_sel:DWORD
	v_bfrev_b32_e32 v41, 1
	s_and_saveexec_b32 s16, s0
	s_cbranch_execz .LBB344_293
; %bb.290:                              ;   in Loop: Header=BB344_258 Depth=1
	v_and_b32_e32 v20, 0x7f, v19
	v_mov_b32_e32 v41, 0x7f800001
	s_mov_b32 s17, exec_lo
	v_cmpx_ne_u32_e32 0x7f, v20
	s_cbranch_execz .LBB344_292
; %bb.291:                              ;   in Loop: Header=BB344_258 Depth=1
	v_and_b32_e32 v21, 7, v19
	v_cmp_gt_u32_e64 s0, 8, v20
	v_lshrrev_b32_e32 v41, 3, v20
	v_ffbh_u32_e32 v21, v21
	v_min_u32_e32 v21, 32, v21
	v_subrev_nc_u32_e32 v43, 28, v21
	v_sub_nc_u32_e32 v21, 29, v21
	v_cndmask_b32_e64 v20, 0, v43, s0
	v_cndmask_b32_e64 v41, v41, v21, s0
	v_lshlrev_b64 v[20:21], v20, v[10:11]
	v_lshlrev_b32_e32 v21, 24, v10
	v_lshl_add_u32 v41, v41, 23, 0x3c000000
	v_lshlrev_b32_e32 v20, 20, v20
	v_and_b32_e32 v21, 0x80000000, v21
	v_and_b32_e32 v20, 0x700000, v20
	v_or3_b32 v41, v20, v21, v41
.LBB344_292:                            ;   in Loop: Header=BB344_258 Depth=1
	s_or_b32 exec_lo, exec_lo, s17
.LBB344_293:                            ;   in Loop: Header=BB344_258 Depth=1
	s_or_b32 exec_lo, exec_lo, s16
.LBB344_294:                            ;   in Loop: Header=BB344_258 Depth=1
	s_or_b32 exec_lo, exec_lo, s1
	v_cmp_ne_u16_sdwa s0, v10, v11 src0_sel:BYTE_1 src1_sel:DWORD
	v_mov_b32_e32 v43, 0
	v_mov_b32_e32 v20, 0
	s_and_saveexec_b32 s1, s0
	s_cbranch_execz .LBB344_302
; %bb.295:                              ;   in Loop: Header=BB344_258 Depth=1
	v_cmp_ne_u16_sdwa s0, v10, v33 src0_sel:BYTE_1 src1_sel:DWORD
	v_bfrev_b32_e32 v20, 1
	s_and_saveexec_b32 s16, s0
	s_cbranch_execz .LBB344_301
; %bb.296:                              ;   in Loop: Header=BB344_258 Depth=1
	v_and_b32_sdwa v21, v34, v10 dst_sel:DWORD dst_unused:UNUSED_PAD src0_sel:DWORD src1_sel:BYTE_1
	v_mov_b32_e32 v20, 0x7f800001
	s_mov_b32 s17, exec_lo
	v_and_b32_e32 v45, 0x7f, v21
	v_cmpx_ne_u32_e32 0x7f, v45
	s_cbranch_execz .LBB344_300
; %bb.297:                              ;   in Loop: Header=BB344_258 Depth=1
	v_and_b32_e32 v20, 7, v21
	v_mov_b32_e32 v21, v11
	v_lshrrev_b32_e32 v44, 3, v45
	s_mov_b32 s18, exec_lo
	v_cmpx_gt_u32_e32 8, v45
; %bb.298:                              ;   in Loop: Header=BB344_258 Depth=1
	v_ffbh_u32_e32 v44, v20
	v_min_u32_e32 v44, 32, v44
	v_subrev_nc_u32_e32 v45, 28, v44
	v_sub_nc_u32_e32 v44, 29, v44
	v_lshlrev_b64 v[20:21], v45, v[20:21]
	v_and_b32_e32 v20, 7, v20
; %bb.299:                              ;   in Loop: Header=BB344_258 Depth=1
	s_or_b32 exec_lo, exec_lo, s18
	v_lshlrev_b32_e32 v10, 16, v10
	v_lshlrev_b32_e32 v20, 20, v20
	v_lshl_add_u32 v21, v44, 23, 0x3c000000
	v_and_b32_e32 v10, 0x80000000, v10
	v_or3_b32 v20, v20, v10, v21
.LBB344_300:                            ;   in Loop: Header=BB344_258 Depth=1
	s_or_b32 exec_lo, exec_lo, s17
.LBB344_301:                            ;   in Loop: Header=BB344_258 Depth=1
	s_or_b32 exec_lo, exec_lo, s16
.LBB344_302:                            ;   in Loop: Header=BB344_258 Depth=1
	s_or_b32 exec_lo, exec_lo, s1
	v_and_b32_sdwa v10, v19, v35 dst_sel:DWORD dst_unused:UNUSED_PAD src0_sel:WORD_1 src1_sel:DWORD
	s_mov_b32 s1, exec_lo
	v_cmpx_ne_u16_e32 0, v10
	s_cbranch_execz .LBB344_310
; %bb.303:                              ;   in Loop: Header=BB344_258 Depth=1
	v_bfrev_b32_e32 v43, 1
	s_mov_b32 s16, exec_lo
	v_cmpx_ne_u16_e32 0x80, v10
	s_cbranch_execz .LBB344_309
; %bb.304:                              ;   in Loop: Header=BB344_258 Depth=1
	v_bfe_u32 v44, v19, 16, 7
	v_mov_b32_e32 v43, 0x7f800001
	s_mov_b32 s17, exec_lo
	v_cmpx_ne_u32_e32 0x7f, v44
	s_cbranch_execz .LBB344_308
; %bb.305:                              ;   in Loop: Header=BB344_258 Depth=1
	v_and_b32_sdwa v10, v19, v36 dst_sel:DWORD dst_unused:UNUSED_PAD src0_sel:WORD_1 src1_sel:DWORD
	v_lshrrev_b32_e32 v21, 3, v44
	s_mov_b32 s18, exec_lo
	v_cmpx_gt_u32_e32 8, v44
; %bb.306:                              ;   in Loop: Header=BB344_258 Depth=1
	v_ffbh_u32_e32 v21, v10
	v_min_u32_e32 v21, 32, v21
	v_subrev_nc_u32_e32 v43, 28, v21
	v_sub_nc_u32_e32 v21, 29, v21
	v_lshlrev_b64 v[43:44], v43, v[10:11]
	v_and_b32_e32 v10, 7, v43
; %bb.307:                              ;   in Loop: Header=BB344_258 Depth=1
	s_or_b32 exec_lo, exec_lo, s18
	v_lshlrev_b32_sdwa v43, v37, v19 dst_sel:DWORD dst_unused:UNUSED_PAD src0_sel:DWORD src1_sel:WORD_1
	v_lshlrev_b32_e32 v10, 20, v10
	v_lshl_add_u32 v21, v21, 23, 0x3c000000
	v_and_b32_e32 v43, 0x80000000, v43
	v_or3_b32 v43, v10, v43, v21
.LBB344_308:                            ;   in Loop: Header=BB344_258 Depth=1
	s_or_b32 exec_lo, exec_lo, s17
.LBB344_309:                            ;   in Loop: Header=BB344_258 Depth=1
	s_or_b32 exec_lo, exec_lo, s16
.LBB344_310:                            ;   in Loop: Header=BB344_258 Depth=1
	s_or_b32 exec_lo, exec_lo, s1
	v_mov_b32_e32 v10, 0
	s_mov_b32 s1, exec_lo
	v_cmpx_lt_u64_e64 s[6:7], v[18:19]
	s_cbranch_execz .LBB344_318
; %bb.311:                              ;   in Loop: Header=BB344_258 Depth=1
	v_cmp_ne_u32_sdwa s0, v19, v33 src0_sel:BYTE_3 src1_sel:DWORD
	v_bfrev_b32_e32 v10, 1
	s_and_saveexec_b32 s16, s0
	s_cbranch_execz .LBB344_317
; %bb.312:                              ;   in Loop: Header=BB344_258 Depth=1
	v_bfe_u32 v21, v19, 24, 7
	v_mov_b32_e32 v10, 0x7f800001
	s_mov_b32 s17, exec_lo
	v_cmpx_ne_u32_e32 0x7f, v21
	s_cbranch_execz .LBB344_316
; %bb.313:                              ;   in Loop: Header=BB344_258 Depth=1
	v_and_b32_sdwa v10, v19, v36 dst_sel:DWORD dst_unused:UNUSED_PAD src0_sel:BYTE_3 src1_sel:DWORD
	v_lshrrev_b32_e32 v18, 3, v21
	s_mov_b32 s18, exec_lo
	v_cmpx_gt_u32_e32 8, v21
; %bb.314:                              ;   in Loop: Header=BB344_258 Depth=1
	v_ffbh_u32_e32 v18, v10
	v_min_u32_e32 v18, 32, v18
	v_subrev_nc_u32_e32 v21, 28, v18
	v_sub_nc_u32_e32 v18, 29, v18
	v_lshlrev_b64 v[44:45], v21, v[10:11]
	v_and_b32_e32 v10, 7, v44
; %bb.315:                              ;   in Loop: Header=BB344_258 Depth=1
	s_or_b32 exec_lo, exec_lo, s18
	v_lshlrev_b32_sdwa v19, v37, v19 dst_sel:DWORD dst_unused:UNUSED_PAD src0_sel:DWORD src1_sel:BYTE_3
	v_lshlrev_b32_e32 v10, 20, v10
	v_lshl_add_u32 v18, v18, 23, 0x3c000000
	v_and_b32_e32 v19, 0x80000000, v19
	v_or3_b32 v10, v10, v19, v18
.LBB344_316:                            ;   in Loop: Header=BB344_258 Depth=1
	s_or_b32 exec_lo, exec_lo, s17
.LBB344_317:                            ;   in Loop: Header=BB344_258 Depth=1
	s_or_b32 exec_lo, exec_lo, s16
.LBB344_318:                            ;   in Loop: Header=BB344_258 Depth=1
	s_or_b32 exec_lo, exec_lo, s1
	s_waitcnt lgkmcnt(0)
	v_mul_f32_e32 v18, s14, v20
	v_mul_f32_e32 v19, s14, v41
	;; [unrolled: 1-line block ×5, first 2 shown]
	v_bfe_u32 v21, v18, 16, 1
	v_or_b32_e32 v38, 0x400000, v18
	v_bfe_u32 v41, v19, 16, 1
	v_cmp_u_f32_e64 s1, v18, v18
	v_or_b32_e32 v44, 0x400000, v19
	v_add3_u32 v21, v21, v18, 0x7fff
	v_bfe_u32 v45, v20, 16, 1
	v_add3_u32 v41, v41, v19, 0x7fff
	v_or_b32_e32 v47, 0x400000, v20
	v_add_nc_u32_e32 v46, -7, v31
	v_cndmask_b32_e64 v18, v21, v38, s1
	v_cmp_u_f32_e64 s1, v19, v19
	v_bfe_u32 v21, v42, 16, 1
	v_add3_u32 v45, v45, v20, 0x7fff
	v_cmp_eq_u32_e64 s0, s13, v9
	v_lshrrev_b32_e32 v38, 16, v18
	v_cndmask_b32_e64 v19, v41, v44, s1
	v_cmp_u_f32_e64 s1, v20, v20
	v_mul_f32_e32 v20, s14, v39
	v_add3_u32 v21, v21, v42, 0x7fff
	v_or_b32_e32 v44, 0x400000, v42
	v_lshrrev_b32_e32 v39, 16, v19
	v_cndmask_b32_e64 v18, v45, v47, s1
	v_cmp_u_f32_e64 s1, v42, v42
	v_or_b32_e32 v42, 0x400000, v20
	v_or_b32_e32 v47, 0x400000, v10
	v_lshrrev_b32_e32 v41, 16, v18
	v_bfe_u32 v18, v20, 16, 1
	v_cndmask_b32_e64 v19, v21, v44, s1
	v_mul_f32_e32 v21, s14, v40
	v_mul_f32_e32 v40, s14, v43
	v_cmp_u_f32_e64 s1, v20, v20
	v_add3_u32 v18, v18, v20, 0x7fff
	v_bfe_u32 v20, v10, 16, 1
	v_bfe_u32 v43, v21, 16, 1
	;; [unrolled: 1-line block ×3, first 2 shown]
	v_or_b32_e32 v45, 0x400000, v40
	v_cndmask_b32_e64 v18, v18, v42, s1
	v_cmp_u_f32_e64 s1, v21, v21
	v_add3_u32 v42, v43, v21, 0x7fff
	v_or_b32_e32 v43, 0x400000, v21
	v_add3_u32 v44, v44, v40, 0x7fff
	v_add3_u32 v20, v20, v10, 0x7fff
	v_cndmask_b32_e64 v21, v42, v43, s1
	v_cmp_u_f32_e64 s1, v40, v40
	v_lshrrev_b32_e32 v43, 16, v19
	v_cndmask_b32_e64 v40, v44, v45, s1
	v_cmp_u_f32_e64 s1, v10, v10
	v_lshrrev_b32_e32 v45, 16, v18
	v_lshrrev_b32_e32 v44, 16, v21
	;; [unrolled: 1-line block ×3, first 2 shown]
	v_cndmask_b32_e64 v10, v20, v47, s1
	v_lshrrev_b32_e32 v42, 16, v10
	s_and_saveexec_b32 s16, s0
	s_cbranch_execz .LBB344_320
; %bb.319:                              ;   in Loop: Header=BB344_258 Depth=1
	v_add_nc_u32_e32 v10, -6, v31
	v_cmp_gt_i32_e64 s1, s27, v46
	v_add_nc_u32_e32 v18, -5, v31
	v_add_nc_u32_e32 v19, -2, v31
	v_cndmask_b32_e64 v44, 0, v44, s1
	v_cmp_gt_i32_e64 s1, s27, v10
	v_add_nc_u32_e32 v10, -4, v31
	v_cndmask_b32_e64 v45, 0, v45, s1
	v_cmp_gt_i32_e64 s1, s27, v18
	;; [unrolled: 3-line block ×4, first 2 shown]
	v_cndmask_b32_e64 v39, 0, v39, s1
	v_cmp_gt_i32_e64 s1, s27, v19
	v_cndmask_b32_e64 v38, 0, v38, s1
	v_cmp_gt_i32_e64 s1, s27, v10
	;; [unrolled: 2-line block ×3, first 2 shown]
	v_cndmask_b32_e64 v42, 0, v42, s1
.LBB344_320:                            ;   in Loop: Header=BB344_258 Depth=1
	s_or_b32 exec_lo, exec_lo, s16
	global_load_dwordx2 v[18:19], v[16:17], off offset:256
	v_mov_b32_e32 v48, 0
	v_mov_b32_e32 v47, 0
	s_waitcnt vmcnt(0)
	v_cmp_ne_u16_sdwa s1, v18, v11 src0_sel:BYTE_0 src1_sel:DWORD
	s_and_saveexec_b32 s16, s1
	s_cbranch_execz .LBB344_326
; %bb.321:                              ;   in Loop: Header=BB344_258 Depth=1
	v_cmp_ne_u16_sdwa s1, v18, v33 src0_sel:BYTE_0 src1_sel:DWORD
	v_bfrev_b32_e32 v47, 1
	s_and_saveexec_b32 s17, s1
	s_cbranch_execz .LBB344_325
; %bb.322:                              ;   in Loop: Header=BB344_258 Depth=1
	v_and_b32_e32 v10, 0x7f, v18
	v_mov_b32_e32 v47, 0x7f800001
	s_mov_b32 s18, exec_lo
	v_cmpx_ne_u32_e32 0x7f, v10
	s_cbranch_execz .LBB344_324
; %bb.323:                              ;   in Loop: Header=BB344_258 Depth=1
	v_and_b32_e32 v20, 7, v18
	v_lshrrev_b32_e32 v21, 3, v10
	v_cmp_gt_u32_e64 s1, 8, v10
	v_ffbh_u32_e32 v20, v20
	v_min_u32_e32 v20, 32, v20
	v_subrev_nc_u32_e32 v47, 28, v20
	v_sub_nc_u32_e32 v20, 29, v20
	v_cndmask_b32_e64 v10, v21, v20, s1
	v_cndmask_b32_e64 v20, 0, v47, s1
	v_lshl_add_u32 v10, v10, 23, 0x3c000000
	v_lshlrev_b64 v[20:21], v20, v[18:19]
	v_lshlrev_b32_e32 v21, 24, v18
	v_lshlrev_b32_e32 v20, 20, v20
	v_and_b32_e32 v21, 0x80000000, v21
	v_and_b32_e32 v20, 0x700000, v20
	v_or3_b32 v47, v20, v21, v10
.LBB344_324:                            ;   in Loop: Header=BB344_258 Depth=1
	s_or_b32 exec_lo, exec_lo, s18
.LBB344_325:                            ;   in Loop: Header=BB344_258 Depth=1
	s_or_b32 exec_lo, exec_lo, s17
.LBB344_326:                            ;   in Loop: Header=BB344_258 Depth=1
	s_or_b32 exec_lo, exec_lo, s16
	v_cmp_ne_u16_sdwa s1, v18, v11 src0_sel:BYTE_1 src1_sel:DWORD
	s_and_saveexec_b32 s16, s1
	s_cbranch_execz .LBB344_334
; %bb.327:                              ;   in Loop: Header=BB344_258 Depth=1
	v_cmp_ne_u16_sdwa s1, v18, v33 src0_sel:BYTE_1 src1_sel:DWORD
	v_bfrev_b32_e32 v48, 1
	s_and_saveexec_b32 s17, s1
	s_cbranch_execz .LBB344_333
; %bb.328:                              ;   in Loop: Header=BB344_258 Depth=1
	v_and_b32_sdwa v10, v34, v18 dst_sel:DWORD dst_unused:UNUSED_PAD src0_sel:DWORD src1_sel:BYTE_1
	v_mov_b32_e32 v48, 0x7f800001
	s_mov_b32 s18, exec_lo
	v_and_b32_e32 v21, 0x7f, v10
	v_cmpx_ne_u32_e32 0x7f, v21
	s_cbranch_execz .LBB344_332
; %bb.329:                              ;   in Loop: Header=BB344_258 Depth=1
	v_and_b32_e32 v10, 7, v10
	v_lshrrev_b32_e32 v20, 3, v21
	s_mov_b32 s19, exec_lo
	v_cmpx_gt_u32_e32 8, v21
; %bb.330:                              ;   in Loop: Header=BB344_258 Depth=1
	v_ffbh_u32_e32 v20, v10
	v_min_u32_e32 v20, 32, v20
	v_subrev_nc_u32_e32 v21, 28, v20
	v_sub_nc_u32_e32 v20, 29, v20
	v_lshlrev_b64 v[48:49], v21, v[10:11]
	v_and_b32_e32 v10, 7, v48
; %bb.331:                              ;   in Loop: Header=BB344_258 Depth=1
	s_or_b32 exec_lo, exec_lo, s19
	v_lshlrev_b32_e32 v21, 16, v18
	v_lshlrev_b32_e32 v10, 20, v10
	v_lshl_add_u32 v20, v20, 23, 0x3c000000
	v_and_b32_e32 v21, 0x80000000, v21
	v_or3_b32 v48, v10, v21, v20
.LBB344_332:                            ;   in Loop: Header=BB344_258 Depth=1
	s_or_b32 exec_lo, exec_lo, s18
.LBB344_333:                            ;   in Loop: Header=BB344_258 Depth=1
	s_or_b32 exec_lo, exec_lo, s17
.LBB344_334:                            ;   in Loop: Header=BB344_258 Depth=1
	s_or_b32 exec_lo, exec_lo, s16
	v_and_b32_sdwa v10, v18, v35 dst_sel:DWORD dst_unused:UNUSED_PAD src0_sel:WORD_1 src1_sel:DWORD
	v_mov_b32_e32 v50, 0
	v_mov_b32_e32 v49, 0
	s_mov_b32 s16, exec_lo
	v_cmpx_ne_u16_e32 0, v10
	s_cbranch_execz .LBB344_342
; %bb.335:                              ;   in Loop: Header=BB344_258 Depth=1
	v_bfrev_b32_e32 v49, 1
	s_mov_b32 s17, exec_lo
	v_cmpx_ne_u16_e32 0x80, v10
	s_cbranch_execz .LBB344_341
; %bb.336:                              ;   in Loop: Header=BB344_258 Depth=1
	v_bfe_u32 v21, v18, 16, 7
	v_mov_b32_e32 v49, 0x7f800001
	s_mov_b32 s18, exec_lo
	v_cmpx_ne_u32_e32 0x7f, v21
	s_cbranch_execz .LBB344_340
; %bb.337:                              ;   in Loop: Header=BB344_258 Depth=1
	v_and_b32_sdwa v10, v18, v36 dst_sel:DWORD dst_unused:UNUSED_PAD src0_sel:WORD_1 src1_sel:DWORD
	v_lshrrev_b32_e32 v20, 3, v21
	s_mov_b32 s19, exec_lo
	v_cmpx_gt_u32_e32 8, v21
; %bb.338:                              ;   in Loop: Header=BB344_258 Depth=1
	v_ffbh_u32_e32 v20, v10
	v_min_u32_e32 v20, 32, v20
	v_subrev_nc_u32_e32 v21, 28, v20
	v_sub_nc_u32_e32 v20, 29, v20
	v_lshlrev_b64 v[51:52], v21, v[10:11]
	v_and_b32_e32 v10, 7, v51
; %bb.339:                              ;   in Loop: Header=BB344_258 Depth=1
	s_or_b32 exec_lo, exec_lo, s19
	v_lshlrev_b32_sdwa v21, v37, v18 dst_sel:DWORD dst_unused:UNUSED_PAD src0_sel:DWORD src1_sel:WORD_1
	v_lshlrev_b32_e32 v10, 20, v10
	v_lshl_add_u32 v20, v20, 23, 0x3c000000
	v_and_b32_e32 v21, 0x80000000, v21
	v_or3_b32 v49, v10, v21, v20
.LBB344_340:                            ;   in Loop: Header=BB344_258 Depth=1
	s_or_b32 exec_lo, exec_lo, s18
.LBB344_341:                            ;   in Loop: Header=BB344_258 Depth=1
	s_or_b32 exec_lo, exec_lo, s17
.LBB344_342:                            ;   in Loop: Header=BB344_258 Depth=1
	s_or_b32 exec_lo, exec_lo, s16
	s_mov_b32 s16, exec_lo
	v_cmpx_lt_u32_e32 0xffffff, v18
	s_cbranch_execz .LBB344_350
; %bb.343:                              ;   in Loop: Header=BB344_258 Depth=1
	v_cmp_ne_u32_sdwa s1, v18, v33 src0_sel:BYTE_3 src1_sel:DWORD
	v_bfrev_b32_e32 v50, 1
	s_and_saveexec_b32 s17, s1
	s_cbranch_execz .LBB344_349
; %bb.344:                              ;   in Loop: Header=BB344_258 Depth=1
	v_bfe_u32 v21, v18, 24, 7
	v_mov_b32_e32 v50, 0x7f800001
	s_mov_b32 s18, exec_lo
	v_cmpx_ne_u32_e32 0x7f, v21
	s_cbranch_execz .LBB344_348
; %bb.345:                              ;   in Loop: Header=BB344_258 Depth=1
	v_and_b32_sdwa v10, v18, v36 dst_sel:DWORD dst_unused:UNUSED_PAD src0_sel:BYTE_3 src1_sel:DWORD
	v_lshrrev_b32_e32 v20, 3, v21
	s_mov_b32 s19, exec_lo
	v_cmpx_gt_u32_e32 8, v21
; %bb.346:                              ;   in Loop: Header=BB344_258 Depth=1
	v_ffbh_u32_e32 v20, v10
	v_min_u32_e32 v20, 32, v20
	v_subrev_nc_u32_e32 v21, 28, v20
	v_sub_nc_u32_e32 v20, 29, v20
	v_lshlrev_b64 v[50:51], v21, v[10:11]
	v_and_b32_e32 v10, 7, v50
; %bb.347:                              ;   in Loop: Header=BB344_258 Depth=1
	s_or_b32 exec_lo, exec_lo, s19
	v_lshlrev_b32_sdwa v21, v37, v18 dst_sel:DWORD dst_unused:UNUSED_PAD src0_sel:DWORD src1_sel:BYTE_3
	v_lshlrev_b32_e32 v10, 20, v10
	v_lshl_add_u32 v20, v20, 23, 0x3c000000
	v_and_b32_e32 v21, 0x80000000, v21
	v_or3_b32 v50, v10, v21, v20
.LBB344_348:                            ;   in Loop: Header=BB344_258 Depth=1
	s_or_b32 exec_lo, exec_lo, s18
.LBB344_349:                            ;   in Loop: Header=BB344_258 Depth=1
	s_or_b32 exec_lo, exec_lo, s17
.LBB344_350:                            ;   in Loop: Header=BB344_258 Depth=1
	s_or_b32 exec_lo, exec_lo, s16
	v_mov_b32_e32 v10, v19
	v_cmp_ne_u16_sdwa s1, v19, v11 src0_sel:BYTE_0 src1_sel:DWORD
	v_mov_b32_e32 v20, 0
	v_mov_b32_e32 v51, 0
	s_and_saveexec_b32 s16, s1
	s_cbranch_execz .LBB344_356
; %bb.351:                              ;   in Loop: Header=BB344_258 Depth=1
	v_cmp_ne_u16_sdwa s1, v19, v33 src0_sel:BYTE_0 src1_sel:DWORD
	v_bfrev_b32_e32 v51, 1
	s_and_saveexec_b32 s17, s1
	s_cbranch_execz .LBB344_355
; %bb.352:                              ;   in Loop: Header=BB344_258 Depth=1
	v_and_b32_e32 v21, 0x7f, v19
	v_mov_b32_e32 v51, 0x7f800001
	s_mov_b32 s18, exec_lo
	v_cmpx_ne_u32_e32 0x7f, v21
	s_cbranch_execz .LBB344_354
; %bb.353:                              ;   in Loop: Header=BB344_258 Depth=1
	v_and_b32_e32 v51, 7, v19
	v_lshrrev_b32_e32 v52, 3, v21
	v_cmp_gt_u32_e64 s1, 8, v21
	v_ffbh_u32_e32 v51, v51
	v_min_u32_e32 v51, 32, v51
	v_subrev_nc_u32_e32 v53, 28, v51
	v_sub_nc_u32_e32 v51, 29, v51
	v_cndmask_b32_e64 v21, v52, v51, s1
	v_cndmask_b32_e64 v51, 0, v53, s1
	v_lshl_add_u32 v21, v21, 23, 0x3c000000
	v_lshlrev_b64 v[51:52], v51, v[10:11]
	v_lshlrev_b32_e32 v52, 24, v10
	v_lshlrev_b32_e32 v51, 20, v51
	v_and_b32_e32 v52, 0x80000000, v52
	v_and_b32_e32 v51, 0x700000, v51
	v_or3_b32 v51, v51, v52, v21
.LBB344_354:                            ;   in Loop: Header=BB344_258 Depth=1
	s_or_b32 exec_lo, exec_lo, s18
.LBB344_355:                            ;   in Loop: Header=BB344_258 Depth=1
	s_or_b32 exec_lo, exec_lo, s17
.LBB344_356:                            ;   in Loop: Header=BB344_258 Depth=1
	s_or_b32 exec_lo, exec_lo, s16
	v_cmp_ne_u16_sdwa s1, v10, v11 src0_sel:BYTE_1 src1_sel:DWORD
	s_and_saveexec_b32 s16, s1
	s_cbranch_execz .LBB344_364
; %bb.357:                              ;   in Loop: Header=BB344_258 Depth=1
	v_cmp_ne_u16_sdwa s1, v10, v33 src0_sel:BYTE_1 src1_sel:DWORD
	v_bfrev_b32_e32 v20, 1
	s_and_saveexec_b32 s17, s1
	s_cbranch_execz .LBB344_363
; %bb.358:                              ;   in Loop: Header=BB344_258 Depth=1
	v_and_b32_sdwa v21, v34, v10 dst_sel:DWORD dst_unused:UNUSED_PAD src0_sel:DWORD src1_sel:BYTE_1
	v_mov_b32_e32 v20, 0x7f800001
	s_mov_b32 s18, exec_lo
	v_and_b32_e32 v53, 0x7f, v21
	v_cmpx_ne_u32_e32 0x7f, v53
	s_cbranch_execz .LBB344_362
; %bb.359:                              ;   in Loop: Header=BB344_258 Depth=1
	v_and_b32_e32 v20, 7, v21
	v_mov_b32_e32 v21, v11
	v_lshrrev_b32_e32 v52, 3, v53
	s_mov_b32 s19, exec_lo
	v_cmpx_gt_u32_e32 8, v53
; %bb.360:                              ;   in Loop: Header=BB344_258 Depth=1
	v_ffbh_u32_e32 v52, v20
	v_min_u32_e32 v52, 32, v52
	v_subrev_nc_u32_e32 v53, 28, v52
	v_sub_nc_u32_e32 v52, 29, v52
	v_lshlrev_b64 v[20:21], v53, v[20:21]
	v_and_b32_e32 v20, 7, v20
; %bb.361:                              ;   in Loop: Header=BB344_258 Depth=1
	s_or_b32 exec_lo, exec_lo, s19
	v_lshlrev_b32_e32 v10, 16, v10
	v_lshlrev_b32_e32 v20, 20, v20
	v_lshl_add_u32 v21, v52, 23, 0x3c000000
	v_and_b32_e32 v10, 0x80000000, v10
	v_or3_b32 v20, v20, v10, v21
.LBB344_362:                            ;   in Loop: Header=BB344_258 Depth=1
	s_or_b32 exec_lo, exec_lo, s18
.LBB344_363:                            ;   in Loop: Header=BB344_258 Depth=1
	s_or_b32 exec_lo, exec_lo, s17
.LBB344_364:                            ;   in Loop: Header=BB344_258 Depth=1
	s_or_b32 exec_lo, exec_lo, s16
	v_and_b32_sdwa v10, v19, v35 dst_sel:DWORD dst_unused:UNUSED_PAD src0_sel:WORD_1 src1_sel:DWORD
	v_mov_b32_e32 v52, 0
	v_mov_b32_e32 v53, 0
	s_mov_b32 s16, exec_lo
	v_cmpx_ne_u16_e32 0, v10
	s_cbranch_execz .LBB344_372
; %bb.365:                              ;   in Loop: Header=BB344_258 Depth=1
	v_bfrev_b32_e32 v53, 1
	s_mov_b32 s17, exec_lo
	v_cmpx_ne_u16_e32 0x80, v10
	s_cbranch_execz .LBB344_371
; %bb.366:                              ;   in Loop: Header=BB344_258 Depth=1
	v_bfe_u32 v54, v19, 16, 7
	v_mov_b32_e32 v53, 0x7f800001
	s_mov_b32 s18, exec_lo
	v_cmpx_ne_u32_e32 0x7f, v54
	s_cbranch_execz .LBB344_370
; %bb.367:                              ;   in Loop: Header=BB344_258 Depth=1
	v_and_b32_sdwa v10, v19, v36 dst_sel:DWORD dst_unused:UNUSED_PAD src0_sel:WORD_1 src1_sel:DWORD
	v_lshrrev_b32_e32 v21, 3, v54
	s_mov_b32 s19, exec_lo
	v_cmpx_gt_u32_e32 8, v54
; %bb.368:                              ;   in Loop: Header=BB344_258 Depth=1
	v_ffbh_u32_e32 v21, v10
	v_min_u32_e32 v21, 32, v21
	v_subrev_nc_u32_e32 v53, 28, v21
	v_sub_nc_u32_e32 v21, 29, v21
	v_lshlrev_b64 v[53:54], v53, v[10:11]
	v_and_b32_e32 v10, 7, v53
; %bb.369:                              ;   in Loop: Header=BB344_258 Depth=1
	s_or_b32 exec_lo, exec_lo, s19
	v_lshlrev_b32_sdwa v53, v37, v19 dst_sel:DWORD dst_unused:UNUSED_PAD src0_sel:DWORD src1_sel:WORD_1
	v_lshlrev_b32_e32 v10, 20, v10
	v_lshl_add_u32 v21, v21, 23, 0x3c000000
	v_and_b32_e32 v53, 0x80000000, v53
	v_or3_b32 v53, v10, v53, v21
.LBB344_370:                            ;   in Loop: Header=BB344_258 Depth=1
	s_or_b32 exec_lo, exec_lo, s18
.LBB344_371:                            ;   in Loop: Header=BB344_258 Depth=1
	s_or_b32 exec_lo, exec_lo, s17
.LBB344_372:                            ;   in Loop: Header=BB344_258 Depth=1
	s_or_b32 exec_lo, exec_lo, s16
	s_mov_b32 s16, exec_lo
	v_cmpx_lt_u64_e64 s[6:7], v[18:19]
	s_cbranch_execz .LBB344_380
; %bb.373:                              ;   in Loop: Header=BB344_258 Depth=1
	v_cmp_ne_u32_sdwa s1, v19, v33 src0_sel:BYTE_3 src1_sel:DWORD
	v_bfrev_b32_e32 v52, 1
	s_and_saveexec_b32 s17, s1
	s_cbranch_execz .LBB344_379
; %bb.374:                              ;   in Loop: Header=BB344_258 Depth=1
	v_bfe_u32 v21, v19, 24, 7
	v_mov_b32_e32 v52, 0x7f800001
	s_mov_b32 s18, exec_lo
	v_cmpx_ne_u32_e32 0x7f, v21
	s_cbranch_execz .LBB344_378
; %bb.375:                              ;   in Loop: Header=BB344_258 Depth=1
	v_and_b32_sdwa v10, v19, v36 dst_sel:DWORD dst_unused:UNUSED_PAD src0_sel:BYTE_3 src1_sel:DWORD
	v_lshrrev_b32_e32 v18, 3, v21
	s_mov_b32 s19, exec_lo
	v_cmpx_gt_u32_e32 8, v21
; %bb.376:                              ;   in Loop: Header=BB344_258 Depth=1
	v_ffbh_u32_e32 v18, v10
	v_min_u32_e32 v18, 32, v18
	v_subrev_nc_u32_e32 v21, 28, v18
	v_sub_nc_u32_e32 v18, 29, v18
	v_lshlrev_b64 v[54:55], v21, v[10:11]
	v_and_b32_e32 v10, 7, v54
; %bb.377:                              ;   in Loop: Header=BB344_258 Depth=1
	s_or_b32 exec_lo, exec_lo, s19
	v_lshlrev_b32_sdwa v19, v37, v19 dst_sel:DWORD dst_unused:UNUSED_PAD src0_sel:DWORD src1_sel:BYTE_3
	v_lshlrev_b32_e32 v10, 20, v10
	v_lshl_add_u32 v18, v18, 23, 0x3c000000
	v_and_b32_e32 v19, 0x80000000, v19
	v_or3_b32 v52, v10, v19, v18
.LBB344_378:                            ;   in Loop: Header=BB344_258 Depth=1
	s_or_b32 exec_lo, exec_lo, s18
.LBB344_379:                            ;   in Loop: Header=BB344_258 Depth=1
	s_or_b32 exec_lo, exec_lo, s17
.LBB344_380:                            ;   in Loop: Header=BB344_258 Depth=1
	s_or_b32 exec_lo, exec_lo, s16
	v_mul_f32_e32 v10, s14, v20
	v_mul_f32_e32 v18, s14, v51
	;; [unrolled: 1-line block ×5, first 2 shown]
	v_bfe_u32 v20, v10, 16, 1
	v_or_b32_e32 v21, 0x400000, v10
	v_bfe_u32 v50, v18, 16, 1
	v_cmp_u_f32_e64 s1, v10, v10
	v_or_b32_e32 v51, 0x400000, v18
	v_add3_u32 v20, v20, v10, 0x7fff
	v_bfe_u32 v54, v19, 16, 1
	v_add3_u32 v50, v50, v18, 0x7fff
	v_or_b32_e32 v55, 0x400000, v19
	v_bfe_u32 v56, v49, 16, 1
	v_cndmask_b32_e64 v10, v20, v21, s1
	v_cmp_u_f32_e64 s1, v18, v18
	v_add3_u32 v54, v54, v19, 0x7fff
	v_lshrrev_b32_e32 v21, 16, v10
	v_cndmask_b32_e64 v18, v50, v51, s1
	v_cmp_u_f32_e64 s1, v19, v19
	v_mul_f32_e32 v10, s14, v48
	v_add3_u32 v50, v56, v49, 0x7fff
	v_or_b32_e32 v51, 0x400000, v49
	v_lshrrev_b32_e32 v20, 16, v18
	v_cndmask_b32_e64 v19, v54, v55, s1
	v_bfe_u32 v18, v10, 16, 1
	v_cmp_u_f32_e64 s1, v49, v49
	v_mul_f32_e32 v49, s14, v53
	v_lshrrev_b32_e32 v48, 16, v19
	v_add3_u32 v18, v18, v10, 0x7fff
	v_cndmask_b32_e64 v19, v50, v51, s1
	v_or_b32_e32 v50, 0x400000, v10
	v_mul_f32_e32 v51, s14, v52
	v_bfe_u32 v52, v47, 16, 1
	v_cmp_u_f32_e64 s1, v10, v10
	v_bfe_u32 v53, v49, 16, 1
	v_or_b32_e32 v54, 0x400000, v49
	v_or_b32_e32 v55, 0x400000, v51
	v_cndmask_b32_e64 v10, v18, v50, s1
	v_add3_u32 v50, v52, v47, 0x7fff
	v_or_b32_e32 v52, 0x400000, v47
	v_cmp_u_f32_e64 s1, v47, v47
	v_bfe_u32 v18, v51, 16, 1
	v_add3_u32 v53, v53, v49, 0x7fff
	v_cndmask_b32_e64 v47, v50, v52, s1
	v_cmp_u_f32_e64 s1, v49, v49
	v_add3_u32 v18, v18, v51, 0x7fff
	v_lshrrev_b32_e32 v50, 16, v19
	v_lshrrev_b32_e32 v52, 16, v10
	v_cndmask_b32_e64 v49, v53, v54, s1
	v_cmp_u_f32_e64 s1, v51, v51
	v_lshrrev_b32_e32 v51, 16, v47
	v_lshrrev_b32_e32 v47, 16, v49
	v_cndmask_b32_e64 v18, v18, v55, s1
	v_lshrrev_b32_e32 v49, 16, v18
	s_and_saveexec_b32 s16, s0
	s_cbranch_execz .LBB344_382
; %bb.381:                              ;   in Loop: Header=BB344_258 Depth=1
	v_add_nc_u32_e32 v10, -6, v31
	v_cmp_gt_i32_e64 s1, s27, v46
	v_add_nc_u32_e32 v18, -5, v31
	v_add_nc_u32_e32 v19, -2, v31
	v_cndmask_b32_e64 v51, 0, v51, s1
	v_cmp_gt_i32_e64 s1, s27, v10
	v_add_nc_u32_e32 v10, -4, v31
	v_cndmask_b32_e64 v52, 0, v52, s1
	v_cmp_gt_i32_e64 s1, s27, v18
	;; [unrolled: 3-line block ×4, first 2 shown]
	v_cndmask_b32_e64 v20, 0, v20, s1
	v_cmp_gt_i32_e64 s1, s27, v19
	v_cndmask_b32_e64 v21, 0, v21, s1
	v_cmp_gt_i32_e64 s1, s27, v10
	;; [unrolled: 2-line block ×3, first 2 shown]
	v_cndmask_b32_e64 v49, 0, v49, s1
.LBB344_382:                            ;   in Loop: Header=BB344_258 Depth=1
	s_or_b32 exec_lo, exec_lo, s16
	global_load_dwordx2 v[16:17], v[16:17], off offset:512
	v_mov_b32_e32 v53, 0
	v_mov_b32_e32 v54, 0
	s_waitcnt vmcnt(0)
	v_cmp_ne_u16_sdwa s1, v16, v11 src0_sel:BYTE_0 src1_sel:DWORD
	s_and_saveexec_b32 s16, s1
	s_cbranch_execz .LBB344_388
; %bb.383:                              ;   in Loop: Header=BB344_258 Depth=1
	v_cmp_ne_u16_sdwa s1, v16, v33 src0_sel:BYTE_0 src1_sel:DWORD
	v_bfrev_b32_e32 v54, 1
	s_and_saveexec_b32 s17, s1
	s_cbranch_execz .LBB344_387
; %bb.384:                              ;   in Loop: Header=BB344_258 Depth=1
	v_and_b32_e32 v10, 0x7f, v16
	v_mov_b32_e32 v54, 0x7f800001
	s_mov_b32 s18, exec_lo
	v_cmpx_ne_u32_e32 0x7f, v10
	s_cbranch_execz .LBB344_386
; %bb.385:                              ;   in Loop: Header=BB344_258 Depth=1
	v_and_b32_e32 v18, 7, v16
	v_lshrrev_b32_e32 v19, 3, v10
	v_cmp_gt_u32_e64 s1, 8, v10
	v_ffbh_u32_e32 v18, v18
	v_min_u32_e32 v18, 32, v18
	v_subrev_nc_u32_e32 v54, 28, v18
	v_sub_nc_u32_e32 v18, 29, v18
	v_cndmask_b32_e64 v10, v19, v18, s1
	v_cndmask_b32_e64 v18, 0, v54, s1
	v_lshl_add_u32 v10, v10, 23, 0x3c000000
	v_lshlrev_b64 v[18:19], v18, v[16:17]
	v_lshlrev_b32_e32 v19, 24, v16
	v_lshlrev_b32_e32 v18, 20, v18
	v_and_b32_e32 v19, 0x80000000, v19
	v_and_b32_e32 v18, 0x700000, v18
	v_or3_b32 v54, v18, v19, v10
.LBB344_386:                            ;   in Loop: Header=BB344_258 Depth=1
	s_or_b32 exec_lo, exec_lo, s18
.LBB344_387:                            ;   in Loop: Header=BB344_258 Depth=1
	s_or_b32 exec_lo, exec_lo, s17
.LBB344_388:                            ;   in Loop: Header=BB344_258 Depth=1
	s_or_b32 exec_lo, exec_lo, s16
	v_cmp_ne_u16_sdwa s1, v16, v11 src0_sel:BYTE_1 src1_sel:DWORD
	s_and_saveexec_b32 s16, s1
	s_cbranch_execz .LBB344_396
; %bb.389:                              ;   in Loop: Header=BB344_258 Depth=1
	v_cmp_ne_u16_sdwa s1, v16, v33 src0_sel:BYTE_1 src1_sel:DWORD
	v_bfrev_b32_e32 v53, 1
	s_and_saveexec_b32 s17, s1
	s_cbranch_execz .LBB344_395
; %bb.390:                              ;   in Loop: Header=BB344_258 Depth=1
	v_and_b32_sdwa v10, v34, v16 dst_sel:DWORD dst_unused:UNUSED_PAD src0_sel:DWORD src1_sel:BYTE_1
	v_mov_b32_e32 v53, 0x7f800001
	s_mov_b32 s18, exec_lo
	v_and_b32_e32 v19, 0x7f, v10
	v_cmpx_ne_u32_e32 0x7f, v19
	s_cbranch_execz .LBB344_394
; %bb.391:                              ;   in Loop: Header=BB344_258 Depth=1
	v_and_b32_e32 v10, 7, v10
	v_lshrrev_b32_e32 v18, 3, v19
	s_mov_b32 s19, exec_lo
	v_cmpx_gt_u32_e32 8, v19
; %bb.392:                              ;   in Loop: Header=BB344_258 Depth=1
	v_ffbh_u32_e32 v18, v10
	v_min_u32_e32 v18, 32, v18
	v_subrev_nc_u32_e32 v19, 28, v18
	v_sub_nc_u32_e32 v18, 29, v18
	v_lshlrev_b64 v[55:56], v19, v[10:11]
	v_and_b32_e32 v10, 7, v55
; %bb.393:                              ;   in Loop: Header=BB344_258 Depth=1
	s_or_b32 exec_lo, exec_lo, s19
	v_lshlrev_b32_e32 v19, 16, v16
	v_lshlrev_b32_e32 v10, 20, v10
	v_lshl_add_u32 v18, v18, 23, 0x3c000000
	v_and_b32_e32 v19, 0x80000000, v19
	v_or3_b32 v53, v10, v19, v18
.LBB344_394:                            ;   in Loop: Header=BB344_258 Depth=1
	s_or_b32 exec_lo, exec_lo, s18
.LBB344_395:                            ;   in Loop: Header=BB344_258 Depth=1
	s_or_b32 exec_lo, exec_lo, s17
.LBB344_396:                            ;   in Loop: Header=BB344_258 Depth=1
	s_or_b32 exec_lo, exec_lo, s16
	v_and_b32_sdwa v10, v16, v35 dst_sel:DWORD dst_unused:UNUSED_PAD src0_sel:WORD_1 src1_sel:DWORD
	v_mov_b32_e32 v56, 0
	v_mov_b32_e32 v55, 0
	s_mov_b32 s16, exec_lo
	v_cmpx_ne_u16_e32 0, v10
	s_cbranch_execz .LBB344_404
; %bb.397:                              ;   in Loop: Header=BB344_258 Depth=1
	v_bfrev_b32_e32 v55, 1
	s_mov_b32 s17, exec_lo
	v_cmpx_ne_u16_e32 0x80, v10
	s_cbranch_execz .LBB344_403
; %bb.398:                              ;   in Loop: Header=BB344_258 Depth=1
	v_bfe_u32 v19, v16, 16, 7
	v_mov_b32_e32 v55, 0x7f800001
	s_mov_b32 s18, exec_lo
	v_cmpx_ne_u32_e32 0x7f, v19
	s_cbranch_execz .LBB344_402
; %bb.399:                              ;   in Loop: Header=BB344_258 Depth=1
	v_and_b32_sdwa v10, v16, v36 dst_sel:DWORD dst_unused:UNUSED_PAD src0_sel:WORD_1 src1_sel:DWORD
	v_lshrrev_b32_e32 v18, 3, v19
	s_mov_b32 s19, exec_lo
	v_cmpx_gt_u32_e32 8, v19
; %bb.400:                              ;   in Loop: Header=BB344_258 Depth=1
	v_ffbh_u32_e32 v18, v10
	v_min_u32_e32 v18, 32, v18
	v_subrev_nc_u32_e32 v19, 28, v18
	v_sub_nc_u32_e32 v18, 29, v18
	v_lshlrev_b64 v[57:58], v19, v[10:11]
	v_and_b32_e32 v10, 7, v57
; %bb.401:                              ;   in Loop: Header=BB344_258 Depth=1
	s_or_b32 exec_lo, exec_lo, s19
	v_lshlrev_b32_sdwa v19, v37, v16 dst_sel:DWORD dst_unused:UNUSED_PAD src0_sel:DWORD src1_sel:WORD_1
	v_lshlrev_b32_e32 v10, 20, v10
	v_lshl_add_u32 v18, v18, 23, 0x3c000000
	v_and_b32_e32 v19, 0x80000000, v19
	v_or3_b32 v55, v10, v19, v18
.LBB344_402:                            ;   in Loop: Header=BB344_258 Depth=1
	s_or_b32 exec_lo, exec_lo, s18
.LBB344_403:                            ;   in Loop: Header=BB344_258 Depth=1
	s_or_b32 exec_lo, exec_lo, s17
.LBB344_404:                            ;   in Loop: Header=BB344_258 Depth=1
	s_or_b32 exec_lo, exec_lo, s16
	s_mov_b32 s16, exec_lo
	v_cmpx_lt_u32_e32 0xffffff, v16
	s_cbranch_execz .LBB344_412
; %bb.405:                              ;   in Loop: Header=BB344_258 Depth=1
	v_cmp_ne_u32_sdwa s1, v16, v33 src0_sel:BYTE_3 src1_sel:DWORD
	v_bfrev_b32_e32 v56, 1
	s_and_saveexec_b32 s17, s1
	s_cbranch_execz .LBB344_411
; %bb.406:                              ;   in Loop: Header=BB344_258 Depth=1
	v_bfe_u32 v19, v16, 24, 7
	v_mov_b32_e32 v56, 0x7f800001
	s_mov_b32 s18, exec_lo
	v_cmpx_ne_u32_e32 0x7f, v19
	s_cbranch_execz .LBB344_410
; %bb.407:                              ;   in Loop: Header=BB344_258 Depth=1
	v_and_b32_sdwa v10, v16, v36 dst_sel:DWORD dst_unused:UNUSED_PAD src0_sel:BYTE_3 src1_sel:DWORD
	v_lshrrev_b32_e32 v18, 3, v19
	s_mov_b32 s19, exec_lo
	v_cmpx_gt_u32_e32 8, v19
; %bb.408:                              ;   in Loop: Header=BB344_258 Depth=1
	v_ffbh_u32_e32 v18, v10
	v_min_u32_e32 v18, 32, v18
	v_subrev_nc_u32_e32 v19, 28, v18
	v_sub_nc_u32_e32 v18, 29, v18
	v_lshlrev_b64 v[56:57], v19, v[10:11]
	v_and_b32_e32 v10, 7, v56
; %bb.409:                              ;   in Loop: Header=BB344_258 Depth=1
	s_or_b32 exec_lo, exec_lo, s19
	v_lshlrev_b32_sdwa v19, v37, v16 dst_sel:DWORD dst_unused:UNUSED_PAD src0_sel:DWORD src1_sel:BYTE_3
	v_lshlrev_b32_e32 v10, 20, v10
	v_lshl_add_u32 v18, v18, 23, 0x3c000000
	v_and_b32_e32 v19, 0x80000000, v19
	v_or3_b32 v56, v10, v19, v18
.LBB344_410:                            ;   in Loop: Header=BB344_258 Depth=1
	s_or_b32 exec_lo, exec_lo, s18
.LBB344_411:                            ;   in Loop: Header=BB344_258 Depth=1
	s_or_b32 exec_lo, exec_lo, s17
.LBB344_412:                            ;   in Loop: Header=BB344_258 Depth=1
	s_or_b32 exec_lo, exec_lo, s16
	v_mov_b32_e32 v10, v17
	v_cmp_ne_u16_sdwa s1, v17, v11 src0_sel:BYTE_0 src1_sel:DWORD
	v_mov_b32_e32 v18, 0
	v_mov_b32_e32 v57, 0
	s_and_saveexec_b32 s16, s1
	s_cbranch_execz .LBB344_418
; %bb.413:                              ;   in Loop: Header=BB344_258 Depth=1
	v_cmp_ne_u16_sdwa s1, v17, v33 src0_sel:BYTE_0 src1_sel:DWORD
	v_bfrev_b32_e32 v57, 1
	s_and_saveexec_b32 s17, s1
	s_cbranch_execz .LBB344_417
; %bb.414:                              ;   in Loop: Header=BB344_258 Depth=1
	v_and_b32_e32 v19, 0x7f, v17
	v_mov_b32_e32 v57, 0x7f800001
	s_mov_b32 s18, exec_lo
	v_cmpx_ne_u32_e32 0x7f, v19
	s_cbranch_execz .LBB344_416
; %bb.415:                              ;   in Loop: Header=BB344_258 Depth=1
	v_and_b32_e32 v57, 7, v17
	v_lshrrev_b32_e32 v58, 3, v19
	v_cmp_gt_u32_e64 s1, 8, v19
	v_ffbh_u32_e32 v57, v57
	v_min_u32_e32 v57, 32, v57
	v_subrev_nc_u32_e32 v59, 28, v57
	v_sub_nc_u32_e32 v57, 29, v57
	v_cndmask_b32_e64 v19, v58, v57, s1
	v_cndmask_b32_e64 v57, 0, v59, s1
	v_lshl_add_u32 v19, v19, 23, 0x3c000000
	v_lshlrev_b64 v[57:58], v57, v[10:11]
	v_lshlrev_b32_e32 v58, 24, v10
	v_lshlrev_b32_e32 v57, 20, v57
	v_and_b32_e32 v58, 0x80000000, v58
	v_and_b32_e32 v57, 0x700000, v57
	v_or3_b32 v57, v57, v58, v19
.LBB344_416:                            ;   in Loop: Header=BB344_258 Depth=1
	s_or_b32 exec_lo, exec_lo, s18
.LBB344_417:                            ;   in Loop: Header=BB344_258 Depth=1
	s_or_b32 exec_lo, exec_lo, s17
.LBB344_418:                            ;   in Loop: Header=BB344_258 Depth=1
	s_or_b32 exec_lo, exec_lo, s16
	v_cmp_ne_u16_sdwa s1, v10, v11 src0_sel:BYTE_1 src1_sel:DWORD
	s_and_saveexec_b32 s16, s1
	s_cbranch_execz .LBB344_426
; %bb.419:                              ;   in Loop: Header=BB344_258 Depth=1
	v_cmp_ne_u16_sdwa s1, v10, v33 src0_sel:BYTE_1 src1_sel:DWORD
	v_bfrev_b32_e32 v18, 1
	s_and_saveexec_b32 s17, s1
	s_cbranch_execz .LBB344_425
; %bb.420:                              ;   in Loop: Header=BB344_258 Depth=1
	v_and_b32_sdwa v19, v34, v10 dst_sel:DWORD dst_unused:UNUSED_PAD src0_sel:DWORD src1_sel:BYTE_1
	v_mov_b32_e32 v18, 0x7f800001
	s_mov_b32 s18, exec_lo
	v_and_b32_e32 v59, 0x7f, v19
	v_cmpx_ne_u32_e32 0x7f, v59
	s_cbranch_execz .LBB344_424
; %bb.421:                              ;   in Loop: Header=BB344_258 Depth=1
	v_and_b32_e32 v18, 7, v19
	v_mov_b32_e32 v19, v11
	v_lshrrev_b32_e32 v58, 3, v59
	s_mov_b32 s19, exec_lo
	v_cmpx_gt_u32_e32 8, v59
; %bb.422:                              ;   in Loop: Header=BB344_258 Depth=1
	v_ffbh_u32_e32 v58, v18
	v_min_u32_e32 v58, 32, v58
	v_subrev_nc_u32_e32 v59, 28, v58
	v_sub_nc_u32_e32 v58, 29, v58
	v_lshlrev_b64 v[18:19], v59, v[18:19]
	v_and_b32_e32 v18, 7, v18
; %bb.423:                              ;   in Loop: Header=BB344_258 Depth=1
	s_or_b32 exec_lo, exec_lo, s19
	v_lshlrev_b32_e32 v10, 16, v10
	v_lshlrev_b32_e32 v18, 20, v18
	v_lshl_add_u32 v19, v58, 23, 0x3c000000
	v_and_b32_e32 v10, 0x80000000, v10
	v_or3_b32 v18, v18, v10, v19
.LBB344_424:                            ;   in Loop: Header=BB344_258 Depth=1
	s_or_b32 exec_lo, exec_lo, s18
.LBB344_425:                            ;   in Loop: Header=BB344_258 Depth=1
	s_or_b32 exec_lo, exec_lo, s17
.LBB344_426:                            ;   in Loop: Header=BB344_258 Depth=1
	s_or_b32 exec_lo, exec_lo, s16
	v_and_b32_sdwa v10, v17, v35 dst_sel:DWORD dst_unused:UNUSED_PAD src0_sel:WORD_1 src1_sel:DWORD
	v_mov_b32_e32 v19, 0
	v_mov_b32_e32 v58, 0
	s_mov_b32 s16, exec_lo
	v_cmpx_ne_u16_e32 0, v10
	s_cbranch_execz .LBB344_434
; %bb.427:                              ;   in Loop: Header=BB344_258 Depth=1
	v_bfrev_b32_e32 v58, 1
	s_mov_b32 s17, exec_lo
	v_cmpx_ne_u16_e32 0x80, v10
	s_cbranch_execz .LBB344_433
; %bb.428:                              ;   in Loop: Header=BB344_258 Depth=1
	v_bfe_u32 v59, v17, 16, 7
	v_mov_b32_e32 v58, 0x7f800001
	s_mov_b32 s18, exec_lo
	v_cmpx_ne_u32_e32 0x7f, v59
	s_cbranch_execz .LBB344_432
; %bb.429:                              ;   in Loop: Header=BB344_258 Depth=1
	v_and_b32_sdwa v10, v17, v36 dst_sel:DWORD dst_unused:UNUSED_PAD src0_sel:WORD_1 src1_sel:DWORD
	v_lshrrev_b32_e32 v58, 3, v59
	s_mov_b32 s19, exec_lo
	v_cmpx_gt_u32_e32 8, v59
; %bb.430:                              ;   in Loop: Header=BB344_258 Depth=1
	v_ffbh_u32_e32 v58, v10
	v_min_u32_e32 v58, 32, v58
	v_subrev_nc_u32_e32 v59, 28, v58
	v_sub_nc_u32_e32 v58, 29, v58
	v_lshlrev_b64 v[59:60], v59, v[10:11]
	v_and_b32_e32 v10, 7, v59
; %bb.431:                              ;   in Loop: Header=BB344_258 Depth=1
	s_or_b32 exec_lo, exec_lo, s19
	v_lshlrev_b32_sdwa v59, v37, v17 dst_sel:DWORD dst_unused:UNUSED_PAD src0_sel:DWORD src1_sel:WORD_1
	v_lshlrev_b32_e32 v10, 20, v10
	v_lshl_add_u32 v58, v58, 23, 0x3c000000
	v_and_b32_e32 v59, 0x80000000, v59
	v_or3_b32 v58, v10, v59, v58
.LBB344_432:                            ;   in Loop: Header=BB344_258 Depth=1
	s_or_b32 exec_lo, exec_lo, s18
.LBB344_433:                            ;   in Loop: Header=BB344_258 Depth=1
	s_or_b32 exec_lo, exec_lo, s17
.LBB344_434:                            ;   in Loop: Header=BB344_258 Depth=1
	s_or_b32 exec_lo, exec_lo, s16
	s_mov_b32 s16, exec_lo
	v_cmpx_lt_u64_e64 s[6:7], v[16:17]
	s_cbranch_execz .LBB344_442
; %bb.435:                              ;   in Loop: Header=BB344_258 Depth=1
	v_cmp_ne_u32_sdwa s1, v17, v33 src0_sel:BYTE_3 src1_sel:DWORD
	v_bfrev_b32_e32 v19, 1
	s_and_saveexec_b32 s17, s1
	s_cbranch_execz .LBB344_441
; %bb.436:                              ;   in Loop: Header=BB344_258 Depth=1
	v_bfe_u32 v59, v17, 24, 7
	v_mov_b32_e32 v19, 0x7f800001
	s_mov_b32 s18, exec_lo
	v_cmpx_ne_u32_e32 0x7f, v59
	s_cbranch_execz .LBB344_440
; %bb.437:                              ;   in Loop: Header=BB344_258 Depth=1
	v_and_b32_sdwa v10, v17, v36 dst_sel:DWORD dst_unused:UNUSED_PAD src0_sel:BYTE_3 src1_sel:DWORD
	v_lshrrev_b32_e32 v16, 3, v59
	s_mov_b32 s19, exec_lo
	v_cmpx_gt_u32_e32 8, v59
; %bb.438:                              ;   in Loop: Header=BB344_258 Depth=1
	v_ffbh_u32_e32 v16, v10
	v_min_u32_e32 v16, 32, v16
	v_subrev_nc_u32_e32 v19, 28, v16
	v_sub_nc_u32_e32 v16, 29, v16
	v_lshlrev_b64 v[59:60], v19, v[10:11]
	v_and_b32_e32 v10, 7, v59
; %bb.439:                              ;   in Loop: Header=BB344_258 Depth=1
	s_or_b32 exec_lo, exec_lo, s19
	v_lshlrev_b32_sdwa v17, v37, v17 dst_sel:DWORD dst_unused:UNUSED_PAD src0_sel:DWORD src1_sel:BYTE_3
	v_lshlrev_b32_e32 v10, 20, v10
	v_lshl_add_u32 v16, v16, 23, 0x3c000000
	v_and_b32_e32 v17, 0x80000000, v17
	v_or3_b32 v19, v10, v17, v16
.LBB344_440:                            ;   in Loop: Header=BB344_258 Depth=1
	s_or_b32 exec_lo, exec_lo, s18
.LBB344_441:                            ;   in Loop: Header=BB344_258 Depth=1
	s_or_b32 exec_lo, exec_lo, s17
.LBB344_442:                            ;   in Loop: Header=BB344_258 Depth=1
	s_or_b32 exec_lo, exec_lo, s16
	v_mul_f32_e32 v10, s14, v18
	v_mul_f32_e32 v16, s14, v57
	;; [unrolled: 1-line block ×5, first 2 shown]
	v_bfe_u32 v55, v10, 16, 1
	v_or_b32_e32 v56, 0x400000, v10
	v_bfe_u32 v57, v16, 16, 1
	v_cmp_u_f32_e64 s1, v10, v10
	v_or_b32_e32 v59, 0x400000, v16
	v_add3_u32 v55, v55, v10, 0x7fff
	v_bfe_u32 v60, v17, 16, 1
	v_add3_u32 v57, v57, v16, 0x7fff
	v_or_b32_e32 v61, 0x400000, v17
	v_bfe_u32 v62, v18, 16, 1
	v_cndmask_b32_e64 v10, v55, v56, s1
	v_cmp_u_f32_e64 s1, v16, v16
	v_add3_u32 v60, v60, v17, 0x7fff
	v_mul_f32_e32 v19, s14, v19
	v_add3_u32 v56, v62, v18, 0x7fff
	v_cndmask_b32_e64 v16, v57, v59, s1
	v_cmp_u_f32_e64 s1, v17, v17
	v_lshrrev_b32_e32 v17, 16, v10
	v_mul_f32_e32 v10, s14, v53
	v_or_b32_e32 v57, 0x400000, v18
	v_lshrrev_b32_e32 v16, 16, v16
	v_cndmask_b32_e64 v55, v60, v61, s1
	v_cmp_u_f32_e64 s1, v18, v18
	v_or_b32_e32 v61, 0x400000, v19
	v_lshrrev_b32_e32 v53, 16, v55
	v_bfe_u32 v55, v10, 16, 1
	v_cndmask_b32_e64 v18, v56, v57, s1
	v_mul_f32_e32 v56, s14, v58
	v_or_b32_e32 v57, 0x400000, v10
	v_bfe_u32 v58, v54, 16, 1
	v_add3_u32 v55, v55, v10, 0x7fff
	v_cmp_u_f32_e64 s1, v10, v10
	v_bfe_u32 v59, v56, 16, 1
	v_or_b32_e32 v60, 0x400000, v56
	v_cndmask_b32_e64 v10, v55, v57, s1
	v_add3_u32 v57, v58, v54, 0x7fff
	v_or_b32_e32 v58, 0x400000, v54
	v_cmp_u_f32_e64 s1, v54, v54
	v_bfe_u32 v55, v19, 16, 1
	v_add3_u32 v59, v59, v56, 0x7fff
	v_lshrrev_b32_e32 v54, 16, v18
	v_cndmask_b32_e64 v57, v57, v58, s1
	v_cmp_u_f32_e64 s1, v56, v56
	v_add3_u32 v55, v55, v19, 0x7fff
	v_lshrrev_b32_e32 v56, 16, v10
	v_cndmask_b32_e64 v58, v59, v60, s1
	v_cmp_u_f32_e64 s1, v19, v19
	v_lshrrev_b32_e32 v18, 16, v58
	v_cndmask_b32_e64 v19, v55, v61, s1
	v_lshrrev_b32_e32 v55, 16, v57
	v_lshrrev_b32_e32 v19, 16, v19
	s_and_saveexec_b32 s16, s0
	s_cbranch_execz .LBB344_444
; %bb.443:                              ;   in Loop: Header=BB344_258 Depth=1
	v_add_nc_u32_e32 v10, -6, v31
	v_cmp_gt_i32_e64 s1, s27, v46
	v_add_nc_u32_e32 v57, -5, v31
	v_add_nc_u32_e32 v58, -2, v31
	v_cndmask_b32_e64 v55, 0, v55, s1
	v_cmp_gt_i32_e64 s1, s27, v10
	v_add_nc_u32_e32 v10, -4, v31
	v_cndmask_b32_e64 v56, 0, v56, s1
	v_cmp_gt_i32_e64 s1, s27, v57
	;; [unrolled: 3-line block ×4, first 2 shown]
	v_cndmask_b32_e64 v16, 0, v16, s1
	v_cmp_gt_i32_e64 s1, s27, v58
	v_cndmask_b32_e64 v17, 0, v17, s1
	v_cmp_gt_i32_e64 s1, s27, v10
	;; [unrolled: 2-line block ×3, first 2 shown]
	v_cndmask_b32_e64 v19, 0, v19, s1
.LBB344_444:                            ;   in Loop: Header=BB344_258 Depth=1
	s_or_b32 exec_lo, exec_lo, s16
	v_bfe_u32 v10, v5, 16, 1
	v_bfe_u32 v57, v6, 16, 1
	v_or_b32_e32 v58, 0x400000, v5
	v_cmp_u_f32_e64 s1, v5, v5
	v_or_b32_e32 v59, 0x400000, v6
	v_add3_u32 v10, v10, v5, 0x7fff
	v_bfe_u32 v60, v7, 16, 1
	v_add3_u32 v57, v57, v6, 0x7fff
	v_bfe_u32 v61, v8, 16, 1
	v_cndmask_b32_e64 v5, v10, v58, s1
	v_cmp_u_f32_e64 s1, v6, v6
	v_add3_u32 v10, v60, v7, 0x7fff
	v_bfe_u32 v58, v1, 16, 1
	v_or_b32_e32 v60, 0x400000, v8
	v_cndmask_b32_e64 v6, v57, v59, s1
	v_or_b32_e32 v57, 0x400000, v7
	v_cmp_u_f32_e64 s1, v7, v7
	v_add3_u32 v59, v61, v8, 0x7fff
	v_or_b32_e32 v61, 0x400000, v4
	v_cndmask_b32_e64 v7, v10, v57, s1
	v_cmp_u_f32_e64 s1, v8, v8
	v_add3_u32 v10, v58, v1, 0x7fff
	v_or_b32_e32 v57, 0x400000, v1
	v_bfe_u32 v8, v2, 16, 1
	v_cndmask_b32_e64 v58, v59, v60, s1
	v_cmp_u_f32_e64 s1, v1, v1
	v_bfe_u32 v59, v3, 16, 1
	v_add3_u32 v8, v8, v2, 0x7fff
	v_or_b32_e32 v60, 0x400000, v3
	v_perm_b32 v7, v58, v7, 0x7060302
	v_cndmask_b32_e64 v1, v10, v57, s1
	v_or_b32_e32 v57, 0x400000, v2
	v_cmp_u_f32_e64 s1, v2, v2
	v_bfe_u32 v10, v4, 16, 1
	v_add3_u32 v59, v59, v3, 0x7fff
	v_cndmask_b32_e64 v2, v8, v57, s1
	v_cmp_u_f32_e64 s1, v3, v3
	v_add3_u32 v10, v10, v4, 0x7fff
	v_perm_b32 v8, v6, v5, 0x7060302
	v_perm_b32 v6, v2, v1, 0x7060302
	v_cndmask_b32_e64 v3, v59, v60, s1
	v_cmp_u_f32_e64 s1, v4, v4
	v_cndmask_b32_e64 v4, v10, v61, s1
	v_perm_b32 v5, v4, v3, 0x7060302
	s_and_saveexec_b32 s16, vcc_lo
	s_cbranch_execz .LBB344_257
; %bb.445:                              ;   in Loop: Header=BB344_258 Depth=1
	v_add_co_u32 v1, s1, v14, v30
	v_add_co_ci_u32_e64 v2, null, 0, v15, s1
	v_mov_b32_e32 v15, 0
	v_mov_b32_e32 v14, 0
	global_load_dwordx2 v[1:2], v[1:2], off
	s_waitcnt vmcnt(0)
	v_cmp_ne_u16_sdwa s1, v1, v11 src0_sel:BYTE_0 src1_sel:DWORD
	s_and_saveexec_b32 s17, s1
	s_cbranch_execz .LBB344_451
; %bb.446:                              ;   in Loop: Header=BB344_258 Depth=1
	v_cmp_ne_u16_sdwa s1, v1, v33 src0_sel:BYTE_0 src1_sel:DWORD
	v_bfrev_b32_e32 v14, 1
	s_and_saveexec_b32 s18, s1
	s_cbranch_execz .LBB344_450
; %bb.447:                              ;   in Loop: Header=BB344_258 Depth=1
	v_and_b32_e32 v3, 0x7f, v1
	v_mov_b32_e32 v14, 0x7f800001
	s_mov_b32 s19, exec_lo
	v_cmpx_ne_u32_e32 0x7f, v3
	s_cbranch_execz .LBB344_449
; %bb.448:                              ;   in Loop: Header=BB344_258 Depth=1
	v_and_b32_e32 v4, 7, v1
	v_cmp_gt_u32_e64 s1, 8, v3
	v_lshrrev_b32_e32 v10, 3, v3
	v_ffbh_u32_e32 v4, v4
	v_min_u32_e32 v4, 32, v4
	v_subrev_nc_u32_e32 v14, 28, v4
	v_sub_nc_u32_e32 v4, 29, v4
	v_cndmask_b32_e64 v3, 0, v14, s1
	v_cndmask_b32_e64 v10, v10, v4, s1
	v_lshlrev_b64 v[3:4], v3, v[1:2]
	v_lshlrev_b32_e32 v4, 24, v1
	v_lshl_add_u32 v10, v10, 23, 0x3c000000
	v_lshlrev_b32_e32 v3, 20, v3
	v_and_b32_e32 v4, 0x80000000, v4
	v_and_b32_e32 v3, 0x700000, v3
	v_or3_b32 v14, v3, v4, v10
.LBB344_449:                            ;   in Loop: Header=BB344_258 Depth=1
	s_or_b32 exec_lo, exec_lo, s19
.LBB344_450:                            ;   in Loop: Header=BB344_258 Depth=1
	s_or_b32 exec_lo, exec_lo, s18
.LBB344_451:                            ;   in Loop: Header=BB344_258 Depth=1
	s_or_b32 exec_lo, exec_lo, s17
	v_cmp_ne_u16_sdwa s1, v1, v11 src0_sel:BYTE_1 src1_sel:DWORD
	s_and_saveexec_b32 s17, s1
	s_cbranch_execz .LBB344_459
; %bb.452:                              ;   in Loop: Header=BB344_258 Depth=1
	v_cmp_ne_u16_sdwa s1, v1, v33 src0_sel:BYTE_1 src1_sel:DWORD
	v_bfrev_b32_e32 v15, 1
	s_and_saveexec_b32 s18, s1
	s_cbranch_execz .LBB344_458
; %bb.453:                              ;   in Loop: Header=BB344_258 Depth=1
	v_and_b32_sdwa v3, v34, v1 dst_sel:DWORD dst_unused:UNUSED_PAD src0_sel:DWORD src1_sel:BYTE_1
	v_mov_b32_e32 v15, 0x7f800001
	s_mov_b32 s19, exec_lo
	v_and_b32_e32 v4, 0x7f, v3
	v_cmpx_ne_u32_e32 0x7f, v4
	s_cbranch_execz .LBB344_457
; %bb.454:                              ;   in Loop: Header=BB344_258 Depth=1
	v_and_b32_e32 v10, 7, v3
	v_lshrrev_b32_e32 v3, 3, v4
	s_mov_b32 s20, exec_lo
	v_cmpx_gt_u32_e32 8, v4
; %bb.455:                              ;   in Loop: Header=BB344_258 Depth=1
	v_ffbh_u32_e32 v3, v10
	v_min_u32_e32 v3, 32, v3
	v_subrev_nc_u32_e32 v4, 28, v3
	v_sub_nc_u32_e32 v3, 29, v3
	v_lshlrev_b64 v[57:58], v4, v[10:11]
	v_and_b32_e32 v10, 7, v57
; %bb.456:                              ;   in Loop: Header=BB344_258 Depth=1
	s_or_b32 exec_lo, exec_lo, s20
	v_lshlrev_b32_e32 v4, 16, v1
	v_lshlrev_b32_e32 v10, 20, v10
	v_lshl_add_u32 v3, v3, 23, 0x3c000000
	v_and_b32_e32 v4, 0x80000000, v4
	v_or3_b32 v15, v10, v4, v3
.LBB344_457:                            ;   in Loop: Header=BB344_258 Depth=1
	s_or_b32 exec_lo, exec_lo, s19
.LBB344_458:                            ;   in Loop: Header=BB344_258 Depth=1
	s_or_b32 exec_lo, exec_lo, s18
.LBB344_459:                            ;   in Loop: Header=BB344_258 Depth=1
	s_or_b32 exec_lo, exec_lo, s17
	v_and_b32_sdwa v3, v1, v35 dst_sel:DWORD dst_unused:UNUSED_PAD src0_sel:WORD_1 src1_sel:DWORD
	v_mov_b32_e32 v58, 0
	v_mov_b32_e32 v57, 0
	s_mov_b32 s17, exec_lo
	v_cmpx_ne_u16_e32 0, v3
	s_cbranch_execz .LBB344_467
; %bb.460:                              ;   in Loop: Header=BB344_258 Depth=1
	v_bfrev_b32_e32 v57, 1
	s_mov_b32 s18, exec_lo
	v_cmpx_ne_u16_e32 0x80, v3
	s_cbranch_execz .LBB344_466
; %bb.461:                              ;   in Loop: Header=BB344_258 Depth=1
	v_bfe_u32 v4, v1, 16, 7
	v_mov_b32_e32 v57, 0x7f800001
	s_mov_b32 s19, exec_lo
	v_cmpx_ne_u32_e32 0x7f, v4
	s_cbranch_execz .LBB344_465
; %bb.462:                              ;   in Loop: Header=BB344_258 Depth=1
	v_and_b32_sdwa v10, v1, v36 dst_sel:DWORD dst_unused:UNUSED_PAD src0_sel:WORD_1 src1_sel:DWORD
	v_lshrrev_b32_e32 v3, 3, v4
	s_mov_b32 s20, exec_lo
	v_cmpx_gt_u32_e32 8, v4
; %bb.463:                              ;   in Loop: Header=BB344_258 Depth=1
	v_ffbh_u32_e32 v3, v10
	v_min_u32_e32 v3, 32, v3
	v_subrev_nc_u32_e32 v4, 28, v3
	v_sub_nc_u32_e32 v3, 29, v3
	v_lshlrev_b64 v[59:60], v4, v[10:11]
	v_and_b32_e32 v10, 7, v59
; %bb.464:                              ;   in Loop: Header=BB344_258 Depth=1
	s_or_b32 exec_lo, exec_lo, s20
	v_lshlrev_b32_sdwa v4, v37, v1 dst_sel:DWORD dst_unused:UNUSED_PAD src0_sel:DWORD src1_sel:WORD_1
	v_lshlrev_b32_e32 v10, 20, v10
	v_lshl_add_u32 v3, v3, 23, 0x3c000000
	v_and_b32_e32 v4, 0x80000000, v4
	v_or3_b32 v57, v10, v4, v3
.LBB344_465:                            ;   in Loop: Header=BB344_258 Depth=1
	s_or_b32 exec_lo, exec_lo, s19
.LBB344_466:                            ;   in Loop: Header=BB344_258 Depth=1
	s_or_b32 exec_lo, exec_lo, s18
.LBB344_467:                            ;   in Loop: Header=BB344_258 Depth=1
	s_or_b32 exec_lo, exec_lo, s17
	s_mov_b32 s17, exec_lo
	v_cmpx_lt_u32_e32 0xffffff, v1
	s_cbranch_execz .LBB344_475
; %bb.468:                              ;   in Loop: Header=BB344_258 Depth=1
	v_cmp_ne_u32_sdwa s1, v1, v33 src0_sel:BYTE_3 src1_sel:DWORD
	v_bfrev_b32_e32 v58, 1
	s_and_saveexec_b32 s18, s1
	s_cbranch_execz .LBB344_474
; %bb.469:                              ;   in Loop: Header=BB344_258 Depth=1
	v_bfe_u32 v4, v1, 24, 7
	v_mov_b32_e32 v58, 0x7f800001
	s_mov_b32 s19, exec_lo
	v_cmpx_ne_u32_e32 0x7f, v4
	s_cbranch_execz .LBB344_473
; %bb.470:                              ;   in Loop: Header=BB344_258 Depth=1
	v_and_b32_sdwa v10, v1, v36 dst_sel:DWORD dst_unused:UNUSED_PAD src0_sel:BYTE_3 src1_sel:DWORD
	v_lshrrev_b32_e32 v3, 3, v4
	s_mov_b32 s20, exec_lo
	v_cmpx_gt_u32_e32 8, v4
; %bb.471:                              ;   in Loop: Header=BB344_258 Depth=1
	v_ffbh_u32_e32 v3, v10
	v_min_u32_e32 v3, 32, v3
	v_subrev_nc_u32_e32 v4, 28, v3
	v_sub_nc_u32_e32 v3, 29, v3
	v_lshlrev_b64 v[58:59], v4, v[10:11]
	v_and_b32_e32 v10, 7, v58
; %bb.472:                              ;   in Loop: Header=BB344_258 Depth=1
	s_or_b32 exec_lo, exec_lo, s20
	v_lshlrev_b32_sdwa v4, v37, v1 dst_sel:DWORD dst_unused:UNUSED_PAD src0_sel:DWORD src1_sel:BYTE_3
	v_lshlrev_b32_e32 v10, 20, v10
	v_lshl_add_u32 v3, v3, 23, 0x3c000000
	v_and_b32_e32 v4, 0x80000000, v4
	v_or3_b32 v58, v10, v4, v3
.LBB344_473:                            ;   in Loop: Header=BB344_258 Depth=1
	s_or_b32 exec_lo, exec_lo, s19
.LBB344_474:                            ;   in Loop: Header=BB344_258 Depth=1
	s_or_b32 exec_lo, exec_lo, s18
.LBB344_475:                            ;   in Loop: Header=BB344_258 Depth=1
	s_or_b32 exec_lo, exec_lo, s17
	v_mov_b32_e32 v10, v2
	v_cmp_ne_u16_sdwa s1, v2, v11 src0_sel:BYTE_0 src1_sel:DWORD
	v_mov_b32_e32 v3, 0
	v_mov_b32_e32 v59, 0
	s_and_saveexec_b32 s17, s1
	s_cbranch_execz .LBB344_481
; %bb.476:                              ;   in Loop: Header=BB344_258 Depth=1
	v_cmp_ne_u16_sdwa s1, v2, v33 src0_sel:BYTE_0 src1_sel:DWORD
	v_bfrev_b32_e32 v59, 1
	s_and_saveexec_b32 s18, s1
	s_cbranch_execz .LBB344_480
; %bb.477:                              ;   in Loop: Header=BB344_258 Depth=1
	v_and_b32_e32 v4, 0x7f, v2
	v_mov_b32_e32 v59, 0x7f800001
	s_mov_b32 s19, exec_lo
	v_cmpx_ne_u32_e32 0x7f, v4
	s_cbranch_execz .LBB344_479
; %bb.478:                              ;   in Loop: Header=BB344_258 Depth=1
	v_and_b32_e32 v59, 7, v2
	v_lshrrev_b32_e32 v60, 3, v4
	v_cmp_gt_u32_e64 s1, 8, v4
	v_ffbh_u32_e32 v59, v59
	v_min_u32_e32 v59, 32, v59
	v_subrev_nc_u32_e32 v61, 28, v59
	v_sub_nc_u32_e32 v59, 29, v59
	v_cndmask_b32_e64 v4, v60, v59, s1
	v_cndmask_b32_e64 v59, 0, v61, s1
	v_lshl_add_u32 v4, v4, 23, 0x3c000000
	v_lshlrev_b64 v[59:60], v59, v[10:11]
	v_lshlrev_b32_e32 v60, 24, v10
	v_lshlrev_b32_e32 v59, 20, v59
	v_and_b32_e32 v60, 0x80000000, v60
	v_and_b32_e32 v59, 0x700000, v59
	v_or3_b32 v59, v59, v60, v4
.LBB344_479:                            ;   in Loop: Header=BB344_258 Depth=1
	s_or_b32 exec_lo, exec_lo, s19
.LBB344_480:                            ;   in Loop: Header=BB344_258 Depth=1
	s_or_b32 exec_lo, exec_lo, s18
.LBB344_481:                            ;   in Loop: Header=BB344_258 Depth=1
	s_or_b32 exec_lo, exec_lo, s17
	v_cmp_ne_u16_sdwa s1, v10, v11 src0_sel:BYTE_1 src1_sel:DWORD
	s_and_saveexec_b32 s17, s1
	s_cbranch_execz .LBB344_489
; %bb.482:                              ;   in Loop: Header=BB344_258 Depth=1
	v_cmp_ne_u16_sdwa s1, v10, v33 src0_sel:BYTE_1 src1_sel:DWORD
	v_bfrev_b32_e32 v3, 1
	s_and_saveexec_b32 s18, s1
	s_cbranch_execz .LBB344_488
; %bb.483:                              ;   in Loop: Header=BB344_258 Depth=1
	v_and_b32_sdwa v4, v34, v10 dst_sel:DWORD dst_unused:UNUSED_PAD src0_sel:DWORD src1_sel:BYTE_1
	v_mov_b32_e32 v3, 0x7f800001
	s_mov_b32 s19, exec_lo
	v_and_b32_e32 v61, 0x7f, v4
	v_cmpx_ne_u32_e32 0x7f, v61
	s_cbranch_execz .LBB344_487
; %bb.484:                              ;   in Loop: Header=BB344_258 Depth=1
	v_and_b32_e32 v3, 7, v4
	v_mov_b32_e32 v4, v11
	v_lshrrev_b32_e32 v60, 3, v61
	s_mov_b32 s20, exec_lo
	v_cmpx_gt_u32_e32 8, v61
; %bb.485:                              ;   in Loop: Header=BB344_258 Depth=1
	v_ffbh_u32_e32 v60, v3
	v_min_u32_e32 v60, 32, v60
	v_subrev_nc_u32_e32 v61, 28, v60
	v_sub_nc_u32_e32 v60, 29, v60
	v_lshlrev_b64 v[3:4], v61, v[3:4]
	v_and_b32_e32 v3, 7, v3
; %bb.486:                              ;   in Loop: Header=BB344_258 Depth=1
	s_or_b32 exec_lo, exec_lo, s20
	v_lshlrev_b32_e32 v4, 16, v10
	v_lshlrev_b32_e32 v3, 20, v3
	v_lshl_add_u32 v10, v60, 23, 0x3c000000
	v_and_b32_e32 v4, 0x80000000, v4
	v_or3_b32 v3, v3, v4, v10
.LBB344_487:                            ;   in Loop: Header=BB344_258 Depth=1
	s_or_b32 exec_lo, exec_lo, s19
.LBB344_488:                            ;   in Loop: Header=BB344_258 Depth=1
	s_or_b32 exec_lo, exec_lo, s18
.LBB344_489:                            ;   in Loop: Header=BB344_258 Depth=1
	s_or_b32 exec_lo, exec_lo, s17
	v_and_b32_sdwa v10, v2, v35 dst_sel:DWORD dst_unused:UNUSED_PAD src0_sel:WORD_1 src1_sel:DWORD
	v_mov_b32_e32 v4, 0
	v_mov_b32_e32 v60, 0
	s_mov_b32 s17, exec_lo
	v_cmpx_ne_u16_e32 0, v10
	s_cbranch_execz .LBB344_497
; %bb.490:                              ;   in Loop: Header=BB344_258 Depth=1
	v_bfrev_b32_e32 v60, 1
	s_mov_b32 s18, exec_lo
	v_cmpx_ne_u16_e32 0x80, v10
	s_cbranch_execz .LBB344_496
; %bb.491:                              ;   in Loop: Header=BB344_258 Depth=1
	v_bfe_u32 v61, v2, 16, 7
	v_mov_b32_e32 v60, 0x7f800001
	s_mov_b32 s19, exec_lo
	v_cmpx_ne_u32_e32 0x7f, v61
	s_cbranch_execz .LBB344_495
; %bb.492:                              ;   in Loop: Header=BB344_258 Depth=1
	v_and_b32_sdwa v10, v2, v36 dst_sel:DWORD dst_unused:UNUSED_PAD src0_sel:WORD_1 src1_sel:DWORD
	v_lshrrev_b32_e32 v60, 3, v61
	s_mov_b32 s20, exec_lo
	v_cmpx_gt_u32_e32 8, v61
; %bb.493:                              ;   in Loop: Header=BB344_258 Depth=1
	v_ffbh_u32_e32 v60, v10
	v_min_u32_e32 v60, 32, v60
	v_subrev_nc_u32_e32 v61, 28, v60
	v_sub_nc_u32_e32 v60, 29, v60
	v_lshlrev_b64 v[61:62], v61, v[10:11]
	v_and_b32_e32 v10, 7, v61
; %bb.494:                              ;   in Loop: Header=BB344_258 Depth=1
	s_or_b32 exec_lo, exec_lo, s20
	v_lshlrev_b32_sdwa v61, v37, v2 dst_sel:DWORD dst_unused:UNUSED_PAD src0_sel:DWORD src1_sel:WORD_1
	v_lshlrev_b32_e32 v10, 20, v10
	v_lshl_add_u32 v60, v60, 23, 0x3c000000
	v_and_b32_e32 v61, 0x80000000, v61
	v_or3_b32 v60, v10, v61, v60
.LBB344_495:                            ;   in Loop: Header=BB344_258 Depth=1
	s_or_b32 exec_lo, exec_lo, s19
.LBB344_496:                            ;   in Loop: Header=BB344_258 Depth=1
	s_or_b32 exec_lo, exec_lo, s18
.LBB344_497:                            ;   in Loop: Header=BB344_258 Depth=1
	s_or_b32 exec_lo, exec_lo, s17
	s_mov_b32 s17, exec_lo
	v_cmpx_lt_u64_e64 s[6:7], v[1:2]
	s_cbranch_execz .LBB344_505
; %bb.498:                              ;   in Loop: Header=BB344_258 Depth=1
	v_cmp_ne_u32_sdwa s1, v2, v33 src0_sel:BYTE_3 src1_sel:DWORD
	v_bfrev_b32_e32 v4, 1
	s_and_saveexec_b32 s18, s1
	s_cbranch_execz .LBB344_504
; %bb.499:                              ;   in Loop: Header=BB344_258 Depth=1
	v_bfe_u32 v61, v2, 24, 7
	v_mov_b32_e32 v4, 0x7f800001
	s_mov_b32 s19, exec_lo
	v_cmpx_ne_u32_e32 0x7f, v61
	s_cbranch_execz .LBB344_503
; %bb.500:                              ;   in Loop: Header=BB344_258 Depth=1
	v_and_b32_sdwa v10, v2, v36 dst_sel:DWORD dst_unused:UNUSED_PAD src0_sel:BYTE_3 src1_sel:DWORD
	v_lshrrev_b32_e32 v1, 3, v61
	s_mov_b32 s20, exec_lo
	v_cmpx_gt_u32_e32 8, v61
; %bb.501:                              ;   in Loop: Header=BB344_258 Depth=1
	v_ffbh_u32_e32 v1, v10
	v_min_u32_e32 v1, 32, v1
	v_subrev_nc_u32_e32 v4, 28, v1
	v_sub_nc_u32_e32 v1, 29, v1
	v_lshlrev_b64 v[61:62], v4, v[10:11]
	v_and_b32_e32 v10, 7, v61
; %bb.502:                              ;   in Loop: Header=BB344_258 Depth=1
	s_or_b32 exec_lo, exec_lo, s20
	v_lshlrev_b32_sdwa v2, v37, v2 dst_sel:DWORD dst_unused:UNUSED_PAD src0_sel:DWORD src1_sel:BYTE_3
	v_lshlrev_b32_e32 v4, 20, v10
	v_lshl_add_u32 v1, v1, 23, 0x3c000000
	v_and_b32_e32 v2, 0x80000000, v2
	v_or3_b32 v4, v4, v2, v1
.LBB344_503:                            ;   in Loop: Header=BB344_258 Depth=1
	s_or_b32 exec_lo, exec_lo, s19
.LBB344_504:                            ;   in Loop: Header=BB344_258 Depth=1
	s_or_b32 exec_lo, exec_lo, s18
.LBB344_505:                            ;   in Loop: Header=BB344_258 Depth=1
	s_or_b32 exec_lo, exec_lo, s17
	v_mul_f32_e32 v1, s14, v3
	v_mul_f32_e32 v2, s14, v59
	;; [unrolled: 1-line block ×5, first 2 shown]
	v_bfe_u32 v10, v1, 16, 1
	v_or_b32_e32 v58, 0x400000, v1
	v_bfe_u32 v59, v2, 16, 1
	v_cmp_u_f32_e64 s1, v1, v1
	v_or_b32_e32 v61, 0x400000, v2
	v_add3_u32 v10, v10, v1, 0x7fff
	v_bfe_u32 v62, v3, 16, 1
	v_add3_u32 v59, v59, v2, 0x7fff
	v_or_b32_e32 v63, 0x400000, v3
	v_bfe_u32 v64, v57, 16, 1
	v_cndmask_b32_e64 v1, v10, v58, s1
	v_cmp_u_f32_e64 s1, v2, v2
	v_add3_u32 v62, v62, v3, 0x7fff
	v_mul_f32_e32 v14, s14, v14
	v_add3_u32 v58, v64, v57, 0x7fff
	v_lshrrev_b32_e32 v2, 16, v1
	v_cndmask_b32_e64 v10, v59, v61, s1
	v_cmp_u_f32_e64 s1, v3, v3
	v_or_b32_e32 v59, 0x400000, v57
	v_mul_f32_e32 v4, s14, v4
	v_lshrrev_b32_e32 v1, 16, v10
	v_cndmask_b32_e64 v3, v62, v63, s1
	v_cmp_u_f32_e64 s1, v57, v57
	v_or_b32_e32 v63, 0x400000, v4
	v_lshrrev_b32_e32 v10, 16, v3
	v_bfe_u32 v3, v15, 16, 1
	v_cndmask_b32_e64 v57, v58, v59, s1
	v_mul_f32_e32 v58, s14, v60
	v_or_b32_e32 v59, 0x400000, v15
	v_bfe_u32 v60, v14, 16, 1
	v_add3_u32 v3, v3, v15, 0x7fff
	v_cmp_u_f32_e64 s1, v15, v15
	v_bfe_u32 v61, v58, 16, 1
	v_bfe_u32 v15, v4, 16, 1
	v_or_b32_e32 v62, 0x400000, v58
	v_cndmask_b32_e64 v3, v3, v59, s1
	v_add3_u32 v59, v60, v14, 0x7fff
	v_or_b32_e32 v60, 0x400000, v14
	v_cmp_u_f32_e64 s1, v14, v14
	v_add3_u32 v61, v61, v58, 0x7fff
	v_add3_u32 v15, v15, v4, 0x7fff
	v_lshrrev_b32_e32 v14, 16, v57
	v_lshrrev_b32_e32 v57, 16, v3
	v_cndmask_b32_e64 v59, v59, v60, s1
	v_cmp_u_f32_e64 s1, v58, v58
	v_cndmask_b32_e64 v58, v61, v62, s1
	v_cmp_u_f32_e64 s1, v4, v4
	v_lshrrev_b32_e32 v3, 16, v58
	v_cndmask_b32_e64 v4, v15, v63, s1
	v_lshrrev_b32_e32 v15, 16, v59
	v_lshrrev_b32_e32 v4, 16, v4
	s_and_saveexec_b32 s1, s0
	s_cbranch_execz .LBB344_256
; %bb.506:                              ;   in Loop: Header=BB344_258 Depth=1
	v_add_nc_u32_e32 v58, -6, v31
	v_cmp_gt_i32_e64 s0, s27, v46
	v_add_nc_u32_e32 v59, -5, v31
	v_add_nc_u32_e32 v46, -4, v31
	v_cndmask_b32_e64 v15, 0, v15, s0
	v_cmp_gt_i32_e64 s0, s27, v58
	v_add_nc_u32_e32 v58, -3, v31
	v_cndmask_b32_e64 v57, 0, v57, s0
	v_cmp_gt_i32_e64 s0, s27, v59
	;; [unrolled: 3-line block ×4, first 2 shown]
	v_cndmask_b32_e64 v1, 0, v1, s0
	v_cmp_gt_i32_e64 s0, s27, v59
	v_cndmask_b32_e64 v2, 0, v2, s0
	v_cmp_gt_i32_e64 s0, s27, v46
	;; [unrolled: 2-line block ×3, first 2 shown]
	v_cndmask_b32_e64 v4, 0, v4, s0
	s_branch .LBB344_256
.LBB344_507:
	s_or_b32 exec_lo, exec_lo, s15
.LBB344_508:
	s_or_b32 exec_lo, exec_lo, s3
	s_movk_i32 s0, 0x1c0
	v_and_b32_e32 v1, 0x3c0, v0
	v_mad_u32_u24 v4, v22, s0, 0x100
	v_or_b32_e32 v3, 0x60, v0
	s_mov_b32 s0, exec_lo
	s_waitcnt_vscnt null, 0x0
	s_barrier
	buffer_gl0_inv
	v_cmpx_eq_u32_e32 64, v1
	s_cbranch_execz .LBB344_511
; %bb.509:
	v_add_nc_u32_e32 v1, 0xfffffc80, v4
	v_cmp_gt_u32_e32 vcc_lo, 0x70, v3
	v_lshl_add_u32 v2, v23, 2, v1
	ds_write2_b32 v2, v28, v27 offset1:32
	ds_write_b32 v2, v26 offset:256
	s_and_b32 exec_lo, exec_lo, vcc_lo
; %bb.510:
	v_lshl_add_u32 v1, v3, 2, v1
	ds_write_b32 v1, v25
.LBB344_511:
	s_or_b32 exec_lo, exec_lo, s0
	v_lshl_add_u32 v5, v23, 2, v4
	s_mov_b32 s0, exec_lo
	s_waitcnt lgkmcnt(0)
	s_barrier
	buffer_gl0_inv
	v_cmpx_gt_u32_e32 64, v0
	s_cbranch_execz .LBB344_515
; %bb.512:
	v_lshl_or_b32 v1, v0, 2, 0x80
	s_mov_b32 s1, exec_lo
	v_add_nc_u32_e32 v6, v4, v1
	ds_read2st64_b32 v[1:2], v5 offset1:1
	ds_read_b32 v6, v6
	v_cmpx_gt_u32_e32 0x70, v3
	s_cbranch_execz .LBB344_514
; %bb.513:
	v_lshl_add_u32 v7, v3, 2, v4
	ds_read_b32 v7, v7
	s_waitcnt lgkmcnt(0)
	v_add_f32_e32 v25, v25, v7
.LBB344_514:
	s_or_b32 exec_lo, exec_lo, s1
	s_waitcnt lgkmcnt(1)
	v_add_f32_e32 v28, v28, v1
	s_waitcnt lgkmcnt(0)
	v_add_f32_e32 v27, v27, v6
	v_add_f32_e32 v26, v26, v2
.LBB344_515:
	s_or_b32 exec_lo, exec_lo, s0
	v_and_b32_e32 v1, 0x3e0, v0
	s_mov_b32 s0, exec_lo
	s_barrier
	buffer_gl0_inv
	v_cmpx_eq_u32_e32 32, v1
	s_cbranch_execz .LBB344_518
; %bb.516:
	v_lshl_add_u32 v1, v23, 2, 0x100
	v_cmp_gt_u32_e32 vcc_lo, 0x70, v3
	ds_write_b32 v1, v28
	ds_write_b32 v24, v27
	ds_write_b32 v1, v26 offset:256
	s_and_b32 exec_lo, exec_lo, vcc_lo
; %bb.517:
	v_lshl_add_u32 v1, v3, 2, 0x100
	ds_write_b32 v1, v25
.LBB344_518:
	s_or_b32 exec_lo, exec_lo, s0
	v_cmp_gt_u32_e32 vcc_lo, 32, v0
	s_waitcnt lgkmcnt(0)
	s_barrier
	buffer_gl0_inv
	s_and_saveexec_b32 s1, vcc_lo
	s_cbranch_execz .LBB344_522
; %bb.519:
	v_lshl_add_u32 v6, v0, 2, v4
	s_mov_b32 s3, exec_lo
	ds_read_b32 v4, v5
	ds_read2_b32 v[1:2], v6 offset0:32 offset1:64
	v_cmpx_gt_u32_e32 0x70, v3
	s_cbranch_execz .LBB344_521
; %bb.520:
	ds_read_b32 v5, v6 offset:384
	s_waitcnt lgkmcnt(0)
	v_add_f32_e32 v25, v25, v5
.LBB344_521:
	s_or_b32 exec_lo, exec_lo, s3
	s_waitcnt lgkmcnt(1)
	v_add_f32_e32 v28, v28, v4
	s_waitcnt lgkmcnt(0)
	v_add_f32_e32 v27, v27, v1
	v_add_f32_e32 v26, v26, v2
.LBB344_522:
	s_or_b32 exec_lo, exec_lo, s1
	s_barrier
	buffer_gl0_inv
	s_and_saveexec_b32 s0, vcc_lo
	s_cbranch_execz .LBB344_525
; %bb.523:
	v_bfe_u32 v1, v28, 16, 1
	v_bfe_u32 v2, v27, 16, 1
	v_or_b32_e32 v5, 0x400000, v28
	v_cmp_u_f32_e32 vcc_lo, v28, v28
	s_mul_i32 s0, s2, 0x70
	v_add3_u32 v1, v1, v28, 0x7fff
	s_ashr_i32 s1, s0, 31
	v_bfe_u32 v4, v26, 16, 1
	s_lshl_b64 s[0:1], s[0:1], 1
	v_add3_u32 v2, v2, v27, 0x7fff
	v_or_b32_e32 v6, 0x400000, v27
	v_cndmask_b32_e32 v1, v1, v5, vcc_lo
	v_cmp_u_f32_e32 vcc_lo, v27, v27
	s_mul_i32 s2, s11, s10
	s_add_u32 s4, s24, s0
	s_addc_u32 s1, s25, s1
	s_ashr_i32 s3, s2, 31
	v_add3_u32 v4, v4, v26, 0x7fff
	s_lshl_b64 s[2:3], s[2:3], 1
	v_or_b32_e32 v7, 0x400000, v26
	v_cndmask_b32_e32 v2, v2, v6, vcc_lo
	v_cmp_u_f32_e32 vcc_lo, v26, v26
	s_mul_i32 s0, s8, 0x70
	s_add_u32 s2, s4, s2
	s_addc_u32 s3, s1, s3
	s_ashr_i32 s1, s0, 31
	v_lshlrev_b32_e32 v0, 1, v0
	s_lshl_b64 s[0:1], s[0:1], 1
	v_cndmask_b32_e32 v4, v4, v7, vcc_lo
	v_cmp_gt_u32_e32 vcc_lo, 0x70, v3
	s_add_u32 s0, s2, s0
	s_addc_u32 s1, s3, s1
	global_store_short_d16_hi v0, v1, s[0:1]
	global_store_short_d16_hi v0, v2, s[0:1] offset:64
	global_store_short_d16_hi v0, v4, s[0:1] offset:128
	s_and_b32 exec_lo, exec_lo, vcc_lo
	s_cbranch_execz .LBB344_525
; %bb.524:
	v_bfe_u32 v1, v25, 16, 1
	v_or_b32_e32 v2, 0x400000, v25
	v_cmp_u_f32_e32 vcc_lo, v25, v25
	v_add_co_u32 v0, s0, s0, v0
	v_add3_u32 v3, v1, v25, 0x7fff
	v_add_co_ci_u32_e64 v1, null, s1, 0, s0
	v_cndmask_b32_e32 v2, v3, v2, vcc_lo
	global_store_short_d16_hi v[0:1], v2, off offset:192
.LBB344_525:
	s_endpgm
	.section	.rodata,"a",@progbits
	.p2align	6, 0x0
	.amdhsa_kernel _ZN4vllm25paged_attention_v2_kernelI14__hip_bfloat16hLi112ELi8ELi128ELNS_18Fp8KVCacheDataTypeE1ELb0ELi512EEEvPfS3_PT_PKS4_PKT0_SA_ifPKiSC_iPKfiiiSE_SE_iiiii
		.amdhsa_group_segment_fixed_size 256
		.amdhsa_private_segment_fixed_size 0
		.amdhsa_kernarg_size 400
		.amdhsa_user_sgpr_count 6
		.amdhsa_user_sgpr_private_segment_buffer 1
		.amdhsa_user_sgpr_dispatch_ptr 0
		.amdhsa_user_sgpr_queue_ptr 0
		.amdhsa_user_sgpr_kernarg_segment_ptr 1
		.amdhsa_user_sgpr_dispatch_id 0
		.amdhsa_user_sgpr_flat_scratch_init 0
		.amdhsa_user_sgpr_private_segment_size 0
		.amdhsa_wavefront_size32 1
		.amdhsa_uses_dynamic_stack 0
		.amdhsa_system_sgpr_private_segment_wavefront_offset 0
		.amdhsa_system_sgpr_workgroup_id_x 1
		.amdhsa_system_sgpr_workgroup_id_y 1
		.amdhsa_system_sgpr_workgroup_id_z 1
		.amdhsa_system_sgpr_workgroup_info 0
		.amdhsa_system_vgpr_workitem_id 0
		.amdhsa_next_free_vgpr 106
		.amdhsa_next_free_sgpr 42
		.amdhsa_reserve_vcc 1
		.amdhsa_reserve_flat_scratch 0
		.amdhsa_float_round_mode_32 0
		.amdhsa_float_round_mode_16_64 0
		.amdhsa_float_denorm_mode_32 3
		.amdhsa_float_denorm_mode_16_64 3
		.amdhsa_dx10_clamp 1
		.amdhsa_ieee_mode 1
		.amdhsa_fp16_overflow 0
		.amdhsa_workgroup_processor_mode 1
		.amdhsa_memory_ordered 1
		.amdhsa_forward_progress 1
		.amdhsa_shared_vgpr_count 0
		.amdhsa_exception_fp_ieee_invalid_op 0
		.amdhsa_exception_fp_denorm_src 0
		.amdhsa_exception_fp_ieee_div_zero 0
		.amdhsa_exception_fp_ieee_overflow 0
		.amdhsa_exception_fp_ieee_underflow 0
		.amdhsa_exception_fp_ieee_inexact 0
		.amdhsa_exception_int_div_zero 0
	.end_amdhsa_kernel
	.section	.text._ZN4vllm25paged_attention_v2_kernelI14__hip_bfloat16hLi112ELi8ELi128ELNS_18Fp8KVCacheDataTypeE1ELb0ELi512EEEvPfS3_PT_PKS4_PKT0_SA_ifPKiSC_iPKfiiiSE_SE_iiiii,"axG",@progbits,_ZN4vllm25paged_attention_v2_kernelI14__hip_bfloat16hLi112ELi8ELi128ELNS_18Fp8KVCacheDataTypeE1ELb0ELi512EEEvPfS3_PT_PKS4_PKT0_SA_ifPKiSC_iPKfiiiSE_SE_iiiii,comdat
.Lfunc_end344:
	.size	_ZN4vllm25paged_attention_v2_kernelI14__hip_bfloat16hLi112ELi8ELi128ELNS_18Fp8KVCacheDataTypeE1ELb0ELi512EEEvPfS3_PT_PKS4_PKT0_SA_ifPKiSC_iPKfiiiSE_SE_iiiii, .Lfunc_end344-_ZN4vllm25paged_attention_v2_kernelI14__hip_bfloat16hLi112ELi8ELi128ELNS_18Fp8KVCacheDataTypeE1ELb0ELi512EEEvPfS3_PT_PKS4_PKT0_SA_ifPKiSC_iPKfiiiSE_SE_iiiii
                                        ; -- End function
	.set _ZN4vllm25paged_attention_v2_kernelI14__hip_bfloat16hLi112ELi8ELi128ELNS_18Fp8KVCacheDataTypeE1ELb0ELi512EEEvPfS3_PT_PKS4_PKT0_SA_ifPKiSC_iPKfiiiSE_SE_iiiii.num_vgpr, 106
	.set _ZN4vllm25paged_attention_v2_kernelI14__hip_bfloat16hLi112ELi8ELi128ELNS_18Fp8KVCacheDataTypeE1ELb0ELi512EEEvPfS3_PT_PKS4_PKT0_SA_ifPKiSC_iPKfiiiSE_SE_iiiii.num_agpr, 0
	.set _ZN4vllm25paged_attention_v2_kernelI14__hip_bfloat16hLi112ELi8ELi128ELNS_18Fp8KVCacheDataTypeE1ELb0ELi512EEEvPfS3_PT_PKS4_PKT0_SA_ifPKiSC_iPKfiiiSE_SE_iiiii.numbered_sgpr, 42
	.set _ZN4vllm25paged_attention_v2_kernelI14__hip_bfloat16hLi112ELi8ELi128ELNS_18Fp8KVCacheDataTypeE1ELb0ELi512EEEvPfS3_PT_PKS4_PKT0_SA_ifPKiSC_iPKfiiiSE_SE_iiiii.num_named_barrier, 0
	.set _ZN4vllm25paged_attention_v2_kernelI14__hip_bfloat16hLi112ELi8ELi128ELNS_18Fp8KVCacheDataTypeE1ELb0ELi512EEEvPfS3_PT_PKS4_PKT0_SA_ifPKiSC_iPKfiiiSE_SE_iiiii.private_seg_size, 0
	.set _ZN4vllm25paged_attention_v2_kernelI14__hip_bfloat16hLi112ELi8ELi128ELNS_18Fp8KVCacheDataTypeE1ELb0ELi512EEEvPfS3_PT_PKS4_PKT0_SA_ifPKiSC_iPKfiiiSE_SE_iiiii.uses_vcc, 1
	.set _ZN4vllm25paged_attention_v2_kernelI14__hip_bfloat16hLi112ELi8ELi128ELNS_18Fp8KVCacheDataTypeE1ELb0ELi512EEEvPfS3_PT_PKS4_PKT0_SA_ifPKiSC_iPKfiiiSE_SE_iiiii.uses_flat_scratch, 0
	.set _ZN4vllm25paged_attention_v2_kernelI14__hip_bfloat16hLi112ELi8ELi128ELNS_18Fp8KVCacheDataTypeE1ELb0ELi512EEEvPfS3_PT_PKS4_PKT0_SA_ifPKiSC_iPKfiiiSE_SE_iiiii.has_dyn_sized_stack, 0
	.set _ZN4vllm25paged_attention_v2_kernelI14__hip_bfloat16hLi112ELi8ELi128ELNS_18Fp8KVCacheDataTypeE1ELb0ELi512EEEvPfS3_PT_PKS4_PKT0_SA_ifPKiSC_iPKfiiiSE_SE_iiiii.has_recursion, 0
	.set _ZN4vllm25paged_attention_v2_kernelI14__hip_bfloat16hLi112ELi8ELi128ELNS_18Fp8KVCacheDataTypeE1ELb0ELi512EEEvPfS3_PT_PKS4_PKT0_SA_ifPKiSC_iPKfiiiSE_SE_iiiii.has_indirect_call, 0
	.section	.AMDGPU.csdata,"",@progbits
; Kernel info:
; codeLenInByte = 20896
; TotalNumSgprs: 44
; NumVgprs: 106
; ScratchSize: 0
; MemoryBound: 0
; FloatMode: 240
; IeeeMode: 1
; LDSByteSize: 256 bytes/workgroup (compile time only)
; SGPRBlocks: 0
; VGPRBlocks: 13
; NumSGPRsForWavesPerEU: 44
; NumVGPRsForWavesPerEU: 106
; Occupancy: 9
; WaveLimiterHint : 1
; COMPUTE_PGM_RSRC2:SCRATCH_EN: 0
; COMPUTE_PGM_RSRC2:USER_SGPR: 6
; COMPUTE_PGM_RSRC2:TRAP_HANDLER: 0
; COMPUTE_PGM_RSRC2:TGID_X_EN: 1
; COMPUTE_PGM_RSRC2:TGID_Y_EN: 1
; COMPUTE_PGM_RSRC2:TGID_Z_EN: 1
; COMPUTE_PGM_RSRC2:TIDIG_COMP_CNT: 0
	.section	.text._ZN4vllm25paged_attention_v2_kernelI14__hip_bfloat16hLi120ELi8ELi128ELNS_18Fp8KVCacheDataTypeE1ELb0ELi512EEEvPfS3_PT_PKS4_PKT0_SA_ifPKiSC_iPKfiiiSE_SE_iiiii,"axG",@progbits,_ZN4vllm25paged_attention_v2_kernelI14__hip_bfloat16hLi120ELi8ELi128ELNS_18Fp8KVCacheDataTypeE1ELb0ELi512EEEvPfS3_PT_PKS4_PKT0_SA_ifPKiSC_iPKfiiiSE_SE_iiiii,comdat
	.protected	_ZN4vllm25paged_attention_v2_kernelI14__hip_bfloat16hLi120ELi8ELi128ELNS_18Fp8KVCacheDataTypeE1ELb0ELi512EEEvPfS3_PT_PKS4_PKT0_SA_ifPKiSC_iPKfiiiSE_SE_iiiii ; -- Begin function _ZN4vllm25paged_attention_v2_kernelI14__hip_bfloat16hLi120ELi8ELi128ELNS_18Fp8KVCacheDataTypeE1ELb0ELi512EEEvPfS3_PT_PKS4_PKT0_SA_ifPKiSC_iPKfiiiSE_SE_iiiii
	.globl	_ZN4vllm25paged_attention_v2_kernelI14__hip_bfloat16hLi120ELi8ELi128ELNS_18Fp8KVCacheDataTypeE1ELb0ELi512EEEvPfS3_PT_PKS4_PKT0_SA_ifPKiSC_iPKfiiiSE_SE_iiiii
	.p2align	8
	.type	_ZN4vllm25paged_attention_v2_kernelI14__hip_bfloat16hLi120ELi8ELi128ELNS_18Fp8KVCacheDataTypeE1ELb0ELi512EEEvPfS3_PT_PKS4_PKT0_SA_ifPKiSC_iPKfiiiSE_SE_iiiii,@function
_ZN4vllm25paged_attention_v2_kernelI14__hip_bfloat16hLi120ELi8ELi128ELNS_18Fp8KVCacheDataTypeE1ELb0ELi512EEEvPfS3_PT_PKS4_PKT0_SA_ifPKiSC_iPKfiiiSE_SE_iiiii: ; @_ZN4vllm25paged_attention_v2_kernelI14__hip_bfloat16hLi120ELi8ELi128ELNS_18Fp8KVCacheDataTypeE1ELb0ELi512EEEvPfS3_PT_PKS4_PKT0_SA_ifPKiSC_iPKfiiiSE_SE_iiiii
; %bb.0:
	s_load_dwordx2 s[0:1], s[4:5], 0x40
	s_mov_b32 s26, s7
	s_ashr_i32 s27, s7, 31
	s_lshl_b64 s[2:3], s[26:27], 2
	s_waitcnt lgkmcnt(0)
	s_add_u32 s0, s0, s2
	s_addc_u32 s1, s1, s3
	s_lshl_b32 s33, s8, 9
	s_load_dword s27, s[0:1], 0x0
	s_waitcnt lgkmcnt(0)
	s_cmp_ge_i32 s33, s27
	s_cbranch_scc1 .LBB345_541
; %bb.1:
	s_clause 0x1
	s_load_dword s9, s[4:5], 0x90
	s_load_dwordx2 s[36:37], s[4:5], 0x30
	s_waitcnt lgkmcnt(0)
	s_abs_i32 s3, s9
	s_abs_i32 s0, s36
	v_cvt_f32_u32_e32 v1, s0
	s_sub_i32 s2, 0, s0
	v_rcp_iflag_f32_e32 v1, v1
	v_mul_f32_e32 v1, 0x4f7ffffe, v1
	v_cvt_u32_f32_e32 v1, v1
	v_readfirstlane_b32 s1, v1
	s_mul_i32 s2, s2, s1
	s_mul_hi_u32 s2, s1, s2
	s_add_i32 s1, s1, s2
	s_xor_b32 s2, s9, s36
	s_mul_hi_u32 s1, s3, s1
	s_ashr_i32 s2, s2, 31
	s_mul_i32 s7, s1, s0
	s_mov_b32 s36, 0
	s_sub_i32 s3, s3, s7
	s_add_i32 s7, s1, 1
	s_sub_i32 s10, s3, s0
	s_cmp_ge_u32 s3, s0
	s_cselect_b32 s1, s7, s1
	s_cselect_b32 s3, s10, s3
	s_add_i32 s7, s1, 1
	s_cmp_ge_u32 s3, s0
	s_cselect_b32 s0, s7, s1
	s_abs_i32 s16, s6
	s_xor_b32 s0, s0, s2
	s_sub_i32 s10, s0, s2
	s_load_dwordx2 s[0:1], s[4:5], 0x50
	s_abs_i32 s2, s10
	v_cvt_f32_u32_e32 v1, s2
	s_sub_i32 s7, 0, s2
	v_rcp_iflag_f32_e32 v1, v1
	v_mul_f32_e32 v1, 0x4f7ffffe, v1
	v_cvt_u32_f32_e32 v1, v1
	v_readfirstlane_b32 s3, v1
	s_mul_i32 s7, s7, s3
	s_mul_hi_u32 s7, s3, s7
	s_add_i32 s3, s3, s7
	s_waitcnt lgkmcnt(0)
	s_cmp_eq_u64 s[0:1], 0
	s_mul_hi_u32 s3, s16, s3
	s_cbranch_scc1 .LBB345_3
; %bb.2:
	s_ashr_i32 s7, s6, 31
	s_lshl_b64 s[12:13], s[6:7], 2
	s_add_u32 s0, s0, s12
	s_addc_u32 s1, s1, s13
	s_load_dword s36, s[0:1], 0x0
.LBB345_3:
	s_load_dwordx4 s[12:15], s[4:5], 0x58
	v_and_b32_e32 v1, 3, v0
	s_ashr_i32 s0, s6, 31
	s_ashr_i32 s1, s10, 31
	s_mul_i32 s10, s6, 0x78
	s_mov_b32 s7, exec_lo
	v_cmpx_gt_u32_e32 60, v0
	s_cbranch_execz .LBB345_5
; %bb.4:
	s_load_dwordx2 s[18:19], s[4:5], 0x18
	s_waitcnt lgkmcnt(0)
	s_mul_i32 s20, s12, s26
	v_lshlrev_b32_e32 v2, 2, v0
	s_ashr_i32 s21, s20, 31
	v_and_b32_e32 v3, 0x3fc, v0
	s_lshl_b64 s[20:21], s[20:21], 1
	v_mad_u32_u24 v3, v1, 60, v3
	s_add_u32 s12, s18, s20
	s_addc_u32 s15, s19, s21
	s_ashr_i32 s11, s10, 31
	s_lshl_b64 s[18:19], s[10:11], 1
	s_add_u32 s18, s12, s18
	s_addc_u32 s19, s15, s19
	global_load_dword v2, v2, s[18:19]
	s_waitcnt vmcnt(0)
	ds_write_b32 v3, v2
.LBB345_5:
	s_or_b32 exec_lo, exec_lo, s7
	s_add_i32 s7, s27, 7
	s_clause 0x1
	s_load_dwordx2 s[28:29], s[4:5], 0x38
	s_load_dword s17, s[4:5], 0x48
	s_ashr_i32 s11, s7, 31
	s_waitcnt lgkmcnt(0)
	s_lshl_b32 s15, s8, 6
	s_lshr_b32 s11, s11, 29
	s_xor_b32 s0, s0, s1
	s_add_i32 s7, s7, s11
	s_add_i32 s1, s15, 64
	s_ashr_i32 s7, s7, 3
	s_mul_i32 s11, s3, s2
	s_min_i32 s12, s1, s7
	s_sub_i32 s1, s16, s11
	s_add_i32 s11, s3, 1
	s_sub_i32 s16, s1, s2
	s_cmp_ge_u32 s1, s2
	v_lshrrev_b32_e32 v22, 5, v0
	s_cselect_b32 s3, s11, s3
	s_cselect_b32 s1, s16, s1
	s_add_i32 s11, s3, 1
	s_cmp_ge_u32 s1, s2
	v_or_b32_e32 v9, s15, v22
	s_cselect_b32 s1, s11, s3
	v_mbcnt_lo_u32_b32 v11, -1, 0
	s_xor_b32 s1, s1, s0
	s_mul_i32 s30, s17, s26
	s_sub_i32 s1, s1, s0
	v_cmp_gt_i32_e64 s0, s12, v9
	s_ashr_i32 s31, s30, 31
	s_mov_b32 s2, exec_lo
	s_barrier
	buffer_gl0_inv
                                        ; implicit-def: $vgpr2
                                        ; implicit-def: $vgpr13
	v_cmpx_le_i32_e64 s12, v9
	s_xor_b32 s2, exec_lo, s2
; %bb.6:
	v_mov_b32_e32 v2, 0
	v_mbcnt_lo_u32_b32 v11, -1, 0
	v_mov_b32_e32 v13, 32
                                        ; implicit-def: $vgpr1
; %bb.7:
	s_or_saveexec_b32 s38, s2
	s_clause 0x4
	s_load_dwordx4 s[20:23], s[4:5], 0x0
	s_load_dwordx2 s[24:25], s[4:5], 0x10
	s_load_dword s11, s[4:5], 0x98
	s_load_dwordx2 s[34:35], s[4:5], 0x28
	s_load_dwordx4 s[16:19], s[4:5], 0x68
	v_mov_b32_e32 v43, 0xff7fffff
	v_ashrrev_i32_e32 v10, 31, v9
	v_lshlrev_b32_e32 v12, 3, v22
	s_mul_i32 s14, s1, s14
	s_xor_b32 exec_lo, exec_lo, s38
	s_cbranch_execz .LBB345_253
; %bb.8:
	v_mul_u32_u24_e32 v13, 60, v1
	s_load_dwordx2 s[2:3], s[4:5], 0x20
	v_bfe_u32 v43, v0, 2, 3
	s_ashr_i32 s1, s14, 31
	v_lshlrev_b32_e32 v48, 1, v1
	ds_read2_b32 v[3:4], v13 offset1:1
	ds_read2_b32 v[5:6], v13 offset0:2 offset1:3
	ds_read2_b32 v[7:8], v13 offset0:4 offset1:5
	v_lshlrev_b32_e32 v14, 4, v43
	ds_read2_b32 v[29:30], v13 offset0:6 offset1:7
	ds_read2_b32 v[33:34], v13 offset0:8 offset1:9
	;; [unrolled: 1-line block ×4, first 2 shown]
	s_waitcnt lgkmcnt(0)
	s_load_dword s4, s[16:17], 0x0
	v_mov_b32_e32 v2, 0
	v_mov_b32_e32 v51, 0xffff
	;; [unrolled: 1-line block ×3, first 2 shown]
	s_mov_b32 s17, s13
	s_mov_b32 s16, 0
	s_add_u32 s2, s2, s14
	s_addc_u32 s1, s3, s1
	v_add_co_u32 v49, s2, s2, v14
	v_lshlrev_b32_e32 v14, 16, v3
	v_and_b32_e32 v15, 0xffff0000, v3
	v_lshlrev_b32_e32 v16, 16, v4
	v_and_b32_e32 v17, 0xffff0000, v4
	ds_read_b32 v3, v13 offset:56
	v_xor_b32_e32 v4, 2, v11
	v_lshlrev_b32_e32 v18, 16, v5
	v_and_b32_e32 v19, 0xffff0000, v5
	v_xor_b32_e32 v5, 1, v11
	v_add_co_ci_u32_e64 v50, null, s1, 0, s2
	v_cmp_gt_i32_e32 vcc_lo, 32, v4
	v_lshlrev_b32_e32 v20, 16, v6
	v_and_b32_e32 v21, 0xffff0000, v6
	s_sub_i32 s5, 1, s27
	v_lshlrev_b32_e32 v23, 16, v7
	v_cndmask_b32_e32 v4, v11, v4, vcc_lo
	v_cmp_gt_i32_e32 vcc_lo, 32, v5
	v_and_b32_e32 v24, 0xffff0000, v7
	v_lshlrev_b32_e32 v25, 16, v8
	v_and_b32_e32 v26, 0xffff0000, v8
	v_lshlrev_b32_e32 v46, 2, v4
	v_cndmask_b32_e32 v5, v11, v5, vcc_lo
	v_cmp_eq_u32_e32 vcc_lo, 0, v1
	v_lshlrev_b32_e32 v1, 2, v43
	s_waitcnt lgkmcnt(0)
	v_lshlrev_b32_e32 v44, 16, v3
	v_and_b32_e32 v45, 0xffff0000, v3
	v_lshlrev_b32_e32 v47, 2, v5
	v_add_co_u32 v3, s2, v49, v48
	v_lshlrev_b64 v[5:6], 2, v[9:10]
	v_add_co_ci_u32_e64 v4, null, 0, v50, s2
	s_lshl_b64 s[2:3], s[30:31], 2
	v_lshl_or_b32 v1, v22, 5, v1
	s_add_u32 s2, s28, s2
	s_addc_u32 s3, s29, s3
	v_add_co_u32 v5, s2, s2, v5
	v_lshlrev_b32_e32 v27, 16, v29
	v_and_b32_e32 v28, 0xffff0000, v29
	v_lshlrev_b32_e32 v29, 16, v30
	v_and_b32_e32 v30, 0xffff0000, v30
	;; [unrolled: 2-line block ×8, first 2 shown]
	v_mov_b32_e32 v13, 32
	v_cmp_neq_f32_e64 s1, s36, 0
	v_add3_u32 v48, s33, v12, v43
	v_add_nc_u32_e32 v49, 0x110, v1
	v_add_co_ci_u32_e64 v6, null, s3, v6, s2
	v_mov_b32_e32 v43, 0xff7fffff
	v_mov_b32_e32 v50, 0x80
	s_branch .LBB345_10
.LBB345_9:                              ;   in Loop: Header=BB345_10 Depth=1
	s_or_b32 exec_lo, exec_lo, s3
	v_add_nc_u32_e32 v52, 4, v52
	v_add_co_u32 v5, s3, v5, 16
	v_add_nc_u32_e32 v48, 32, v48
	v_add_nc_u32_e32 v49, 0x80, v49
	v_cmp_le_i32_e64 s2, s12, v52
	v_add_co_ci_u32_e64 v6, null, 0, v6, s3
	s_or_b32 s16, s2, s16
	s_andn2_b32 exec_lo, exec_lo, s16
	s_cbranch_execz .LBB345_252
.LBB345_10:                             ; =>This Inner Loop Header: Depth=1
	global_load_dword v1, v[5:6], off
	v_mov_b32_e32 v53, 0
	s_waitcnt vmcnt(0) lgkmcnt(0)
	v_mad_i64_i32 v[7:8], null, v1, s17, v[3:4]
	global_load_ushort v1, v[7:8], off
	s_waitcnt vmcnt(0)
	v_and_b32_e32 v55, 0xffff, v1
	v_cmp_ne_u16_sdwa s2, v1, v2 src0_sel:BYTE_0 src1_sel:DWORD
	s_and_saveexec_b32 s3, s2
	s_cbranch_execz .LBB345_18
; %bb.11:                               ;   in Loop: Header=BB345_10 Depth=1
	v_cmp_ne_u16_sdwa s2, v55, v50 src0_sel:BYTE_0 src1_sel:DWORD
	v_bfrev_b32_e32 v53, 1
	s_and_saveexec_b32 s39, s2
	s_cbranch_execz .LBB345_17
; %bb.12:                               ;   in Loop: Header=BB345_10 Depth=1
	v_and_b32_e32 v54, 0x7f, v55
	v_mov_b32_e32 v53, 0x7f800001
	s_mov_b32 s40, exec_lo
	v_cmpx_ne_u32_e32 0x7f, v54
	s_cbranch_execz .LBB345_16
; %bb.13:                               ;   in Loop: Header=BB345_10 Depth=1
	v_and_b32_e32 v1, 7, v55
	v_lshrrev_b32_e32 v53, 3, v54
	s_mov_b32 s41, exec_lo
	v_cmpx_gt_u32_e32 8, v54
; %bb.14:                               ;   in Loop: Header=BB345_10 Depth=1
	v_ffbh_u32_e32 v53, v1
	v_min_u32_e32 v53, 32, v53
	v_subrev_nc_u32_e32 v54, 28, v53
	v_sub_nc_u32_e32 v53, 29, v53
	v_lshlrev_b64 v[56:57], v54, v[1:2]
	v_and_b32_e32 v1, 7, v56
; %bb.15:                               ;   in Loop: Header=BB345_10 Depth=1
	s_or_b32 exec_lo, exec_lo, s41
	v_lshlrev_b32_e32 v54, 24, v55
	v_lshlrev_b32_e32 v1, 20, v1
	v_lshl_add_u32 v53, v53, 23, 0x3c000000
	v_and_b32_e32 v54, 0x80000000, v54
	v_or3_b32 v53, v1, v54, v53
.LBB345_16:                             ;   in Loop: Header=BB345_10 Depth=1
	s_or_b32 exec_lo, exec_lo, s40
.LBB345_17:                             ;   in Loop: Header=BB345_10 Depth=1
	s_or_b32 exec_lo, exec_lo, s39
.LBB345_18:                             ;   in Loop: Header=BB345_10 Depth=1
	s_or_b32 exec_lo, exec_lo, s3
	v_cmp_ne_u16_sdwa s2, v55, v2 src0_sel:BYTE_1 src1_sel:DWORD
	v_mov_b32_e32 v54, 0
	s_and_saveexec_b32 s3, s2
	s_cbranch_execz .LBB345_26
; %bb.19:                               ;   in Loop: Header=BB345_10 Depth=1
	v_cmp_ne_u16_sdwa s2, v55, v50 src0_sel:BYTE_1 src1_sel:DWORD
	v_bfrev_b32_e32 v54, 1
	s_and_saveexec_b32 s39, s2
	s_cbranch_execz .LBB345_25
; %bb.20:                               ;   in Loop: Header=BB345_10 Depth=1
	v_and_b32_sdwa v1, v51, v55 dst_sel:DWORD dst_unused:UNUSED_PAD src0_sel:DWORD src1_sel:BYTE_1
	v_mov_b32_e32 v54, 0x7f800001
	s_mov_b32 s40, exec_lo
	v_and_b32_e32 v56, 0x7f, v1
	v_cmpx_ne_u32_e32 0x7f, v56
	s_cbranch_execz .LBB345_24
; %bb.21:                               ;   in Loop: Header=BB345_10 Depth=1
	v_and_b32_e32 v1, 7, v1
	v_lshrrev_b32_e32 v54, 3, v56
	s_mov_b32 s41, exec_lo
	v_cmpx_gt_u32_e32 8, v56
; %bb.22:                               ;   in Loop: Header=BB345_10 Depth=1
	v_ffbh_u32_e32 v54, v1
	v_min_u32_e32 v54, 32, v54
	v_subrev_nc_u32_e32 v56, 28, v54
	v_sub_nc_u32_e32 v54, 29, v54
	v_lshlrev_b64 v[56:57], v56, v[1:2]
	v_and_b32_e32 v1, 7, v56
; %bb.23:                               ;   in Loop: Header=BB345_10 Depth=1
	s_or_b32 exec_lo, exec_lo, s41
	v_lshlrev_b32_e32 v55, 16, v55
	v_lshlrev_b32_e32 v1, 20, v1
	v_lshl_add_u32 v54, v54, 23, 0x3c000000
	v_and_b32_e32 v55, 0x80000000, v55
	v_or3_b32 v54, v1, v55, v54
.LBB345_24:                             ;   in Loop: Header=BB345_10 Depth=1
	s_or_b32 exec_lo, exec_lo, s40
.LBB345_25:                             ;   in Loop: Header=BB345_10 Depth=1
	s_or_b32 exec_lo, exec_lo, s39
.LBB345_26:                             ;   in Loop: Header=BB345_10 Depth=1
	s_or_b32 exec_lo, exec_lo, s3
	global_load_ushort v1, v[7:8], off offset:8
	v_mov_b32_e32 v56, 0
	v_mov_b32_e32 v55, 0
	s_waitcnt vmcnt(0)
	v_and_b32_e32 v57, 0xffff, v1
	v_cmp_ne_u16_sdwa s2, v1, v2 src0_sel:BYTE_0 src1_sel:DWORD
	s_and_saveexec_b32 s3, s2
	s_cbranch_execz .LBB345_34
; %bb.27:                               ;   in Loop: Header=BB345_10 Depth=1
	v_cmp_ne_u16_sdwa s2, v57, v50 src0_sel:BYTE_0 src1_sel:DWORD
	v_bfrev_b32_e32 v55, 1
	s_and_saveexec_b32 s39, s2
	s_cbranch_execz .LBB345_33
; %bb.28:                               ;   in Loop: Header=BB345_10 Depth=1
	v_and_b32_e32 v58, 0x7f, v57
	v_mov_b32_e32 v55, 0x7f800001
	s_mov_b32 s40, exec_lo
	v_cmpx_ne_u32_e32 0x7f, v58
	s_cbranch_execz .LBB345_32
; %bb.29:                               ;   in Loop: Header=BB345_10 Depth=1
	v_and_b32_e32 v1, 7, v57
	v_lshrrev_b32_e32 v55, 3, v58
	s_mov_b32 s41, exec_lo
	v_cmpx_gt_u32_e32 8, v58
; %bb.30:                               ;   in Loop: Header=BB345_10 Depth=1
	v_ffbh_u32_e32 v55, v1
	v_min_u32_e32 v55, 32, v55
	v_subrev_nc_u32_e32 v58, 28, v55
	v_sub_nc_u32_e32 v55, 29, v55
	v_lshlrev_b64 v[58:59], v58, v[1:2]
	v_and_b32_e32 v1, 7, v58
; %bb.31:                               ;   in Loop: Header=BB345_10 Depth=1
	s_or_b32 exec_lo, exec_lo, s41
	v_lshlrev_b32_e32 v58, 24, v57
	v_lshlrev_b32_e32 v1, 20, v1
	v_lshl_add_u32 v55, v55, 23, 0x3c000000
	v_and_b32_e32 v58, 0x80000000, v58
	v_or3_b32 v55, v1, v58, v55
.LBB345_32:                             ;   in Loop: Header=BB345_10 Depth=1
	s_or_b32 exec_lo, exec_lo, s40
.LBB345_33:                             ;   in Loop: Header=BB345_10 Depth=1
	s_or_b32 exec_lo, exec_lo, s39
.LBB345_34:                             ;   in Loop: Header=BB345_10 Depth=1
	s_or_b32 exec_lo, exec_lo, s3
	v_cmp_ne_u16_sdwa s2, v57, v2 src0_sel:BYTE_1 src1_sel:DWORD
	s_and_saveexec_b32 s3, s2
	s_cbranch_execz .LBB345_42
; %bb.35:                               ;   in Loop: Header=BB345_10 Depth=1
	v_cmp_ne_u16_sdwa s2, v57, v50 src0_sel:BYTE_1 src1_sel:DWORD
	v_bfrev_b32_e32 v56, 1
	s_and_saveexec_b32 s39, s2
	s_cbranch_execz .LBB345_41
; %bb.36:                               ;   in Loop: Header=BB345_10 Depth=1
	v_and_b32_sdwa v1, v51, v57 dst_sel:DWORD dst_unused:UNUSED_PAD src0_sel:DWORD src1_sel:BYTE_1
	v_mov_b32_e32 v56, 0x7f800001
	s_mov_b32 s40, exec_lo
	v_and_b32_e32 v58, 0x7f, v1
	v_cmpx_ne_u32_e32 0x7f, v58
	s_cbranch_execz .LBB345_40
; %bb.37:                               ;   in Loop: Header=BB345_10 Depth=1
	v_and_b32_e32 v1, 7, v1
	v_lshrrev_b32_e32 v56, 3, v58
	s_mov_b32 s41, exec_lo
	v_cmpx_gt_u32_e32 8, v58
; %bb.38:                               ;   in Loop: Header=BB345_10 Depth=1
	v_ffbh_u32_e32 v56, v1
	v_min_u32_e32 v56, 32, v56
	v_subrev_nc_u32_e32 v58, 28, v56
	v_sub_nc_u32_e32 v56, 29, v56
	v_lshlrev_b64 v[58:59], v58, v[1:2]
	v_and_b32_e32 v1, 7, v58
; %bb.39:                               ;   in Loop: Header=BB345_10 Depth=1
	s_or_b32 exec_lo, exec_lo, s41
	v_lshlrev_b32_e32 v57, 16, v57
	v_lshlrev_b32_e32 v1, 20, v1
	v_lshl_add_u32 v56, v56, 23, 0x3c000000
	v_and_b32_e32 v57, 0x80000000, v57
	v_or3_b32 v56, v1, v57, v56
.LBB345_40:                             ;   in Loop: Header=BB345_10 Depth=1
	s_or_b32 exec_lo, exec_lo, s40
.LBB345_41:                             ;   in Loop: Header=BB345_10 Depth=1
	s_or_b32 exec_lo, exec_lo, s39
.LBB345_42:                             ;   in Loop: Header=BB345_10 Depth=1
	s_or_b32 exec_lo, exec_lo, s3
	global_load_ushort v1, v[7:8], off offset:128
	v_mov_b32_e32 v58, 0
	v_mov_b32_e32 v57, 0
	s_waitcnt vmcnt(0)
	v_and_b32_e32 v59, 0xffff, v1
	v_cmp_ne_u16_sdwa s2, v1, v2 src0_sel:BYTE_0 src1_sel:DWORD
	s_and_saveexec_b32 s3, s2
	s_cbranch_execz .LBB345_50
; %bb.43:                               ;   in Loop: Header=BB345_10 Depth=1
	v_cmp_ne_u16_sdwa s2, v59, v50 src0_sel:BYTE_0 src1_sel:DWORD
	v_bfrev_b32_e32 v57, 1
	s_and_saveexec_b32 s39, s2
	s_cbranch_execz .LBB345_49
; %bb.44:                               ;   in Loop: Header=BB345_10 Depth=1
	v_and_b32_e32 v60, 0x7f, v59
	v_mov_b32_e32 v57, 0x7f800001
	s_mov_b32 s40, exec_lo
	v_cmpx_ne_u32_e32 0x7f, v60
	s_cbranch_execz .LBB345_48
; %bb.45:                               ;   in Loop: Header=BB345_10 Depth=1
	v_and_b32_e32 v1, 7, v59
	v_lshrrev_b32_e32 v57, 3, v60
	s_mov_b32 s41, exec_lo
	v_cmpx_gt_u32_e32 8, v60
; %bb.46:                               ;   in Loop: Header=BB345_10 Depth=1
	v_ffbh_u32_e32 v57, v1
	v_min_u32_e32 v57, 32, v57
	v_subrev_nc_u32_e32 v60, 28, v57
	v_sub_nc_u32_e32 v57, 29, v57
	v_lshlrev_b64 v[60:61], v60, v[1:2]
	v_and_b32_e32 v1, 7, v60
; %bb.47:                               ;   in Loop: Header=BB345_10 Depth=1
	s_or_b32 exec_lo, exec_lo, s41
	v_lshlrev_b32_e32 v60, 24, v59
	v_lshlrev_b32_e32 v1, 20, v1
	v_lshl_add_u32 v57, v57, 23, 0x3c000000
	v_and_b32_e32 v60, 0x80000000, v60
	v_or3_b32 v57, v1, v60, v57
.LBB345_48:                             ;   in Loop: Header=BB345_10 Depth=1
	s_or_b32 exec_lo, exec_lo, s40
.LBB345_49:                             ;   in Loop: Header=BB345_10 Depth=1
	s_or_b32 exec_lo, exec_lo, s39
.LBB345_50:                             ;   in Loop: Header=BB345_10 Depth=1
	s_or_b32 exec_lo, exec_lo, s3
	v_cmp_ne_u16_sdwa s2, v59, v2 src0_sel:BYTE_1 src1_sel:DWORD
	s_and_saveexec_b32 s3, s2
	s_cbranch_execz .LBB345_58
; %bb.51:                               ;   in Loop: Header=BB345_10 Depth=1
	v_cmp_ne_u16_sdwa s2, v59, v50 src0_sel:BYTE_1 src1_sel:DWORD
	v_bfrev_b32_e32 v58, 1
	s_and_saveexec_b32 s39, s2
	s_cbranch_execz .LBB345_57
; %bb.52:                               ;   in Loop: Header=BB345_10 Depth=1
	v_and_b32_sdwa v1, v51, v59 dst_sel:DWORD dst_unused:UNUSED_PAD src0_sel:DWORD src1_sel:BYTE_1
	v_mov_b32_e32 v58, 0x7f800001
	s_mov_b32 s40, exec_lo
	v_and_b32_e32 v60, 0x7f, v1
	v_cmpx_ne_u32_e32 0x7f, v60
	s_cbranch_execz .LBB345_56
; %bb.53:                               ;   in Loop: Header=BB345_10 Depth=1
	v_and_b32_e32 v1, 7, v1
	v_lshrrev_b32_e32 v58, 3, v60
	s_mov_b32 s41, exec_lo
	v_cmpx_gt_u32_e32 8, v60
; %bb.54:                               ;   in Loop: Header=BB345_10 Depth=1
	v_ffbh_u32_e32 v58, v1
	v_min_u32_e32 v58, 32, v58
	v_subrev_nc_u32_e32 v60, 28, v58
	v_sub_nc_u32_e32 v58, 29, v58
	v_lshlrev_b64 v[60:61], v60, v[1:2]
	v_and_b32_e32 v1, 7, v60
; %bb.55:                               ;   in Loop: Header=BB345_10 Depth=1
	s_or_b32 exec_lo, exec_lo, s41
	v_lshlrev_b32_e32 v59, 16, v59
	v_lshlrev_b32_e32 v1, 20, v1
	v_lshl_add_u32 v58, v58, 23, 0x3c000000
	v_and_b32_e32 v59, 0x80000000, v59
	v_or3_b32 v58, v1, v59, v58
.LBB345_56:                             ;   in Loop: Header=BB345_10 Depth=1
	s_or_b32 exec_lo, exec_lo, s40
.LBB345_57:                             ;   in Loop: Header=BB345_10 Depth=1
	s_or_b32 exec_lo, exec_lo, s39
.LBB345_58:                             ;   in Loop: Header=BB345_10 Depth=1
	s_or_b32 exec_lo, exec_lo, s3
	global_load_ushort v1, v[7:8], off offset:136
	v_mov_b32_e32 v59, 0
	v_mov_b32_e32 v60, 0
	s_waitcnt vmcnt(0)
	v_and_b32_e32 v61, 0xffff, v1
	v_cmp_ne_u16_sdwa s2, v1, v2 src0_sel:BYTE_0 src1_sel:DWORD
	s_and_saveexec_b32 s3, s2
	s_cbranch_execz .LBB345_66
; %bb.59:                               ;   in Loop: Header=BB345_10 Depth=1
	v_cmp_ne_u16_sdwa s2, v61, v50 src0_sel:BYTE_0 src1_sel:DWORD
	v_bfrev_b32_e32 v60, 1
	s_and_saveexec_b32 s39, s2
	s_cbranch_execz .LBB345_65
; %bb.60:                               ;   in Loop: Header=BB345_10 Depth=1
	v_and_b32_e32 v62, 0x7f, v61
	v_mov_b32_e32 v60, 0x7f800001
	s_mov_b32 s40, exec_lo
	v_cmpx_ne_u32_e32 0x7f, v62
	s_cbranch_execz .LBB345_64
; %bb.61:                               ;   in Loop: Header=BB345_10 Depth=1
	v_and_b32_e32 v1, 7, v61
	v_lshrrev_b32_e32 v60, 3, v62
	s_mov_b32 s41, exec_lo
	v_cmpx_gt_u32_e32 8, v62
; %bb.62:                               ;   in Loop: Header=BB345_10 Depth=1
	v_ffbh_u32_e32 v60, v1
	v_min_u32_e32 v60, 32, v60
	v_subrev_nc_u32_e32 v62, 28, v60
	v_sub_nc_u32_e32 v60, 29, v60
	v_lshlrev_b64 v[62:63], v62, v[1:2]
	v_and_b32_e32 v1, 7, v62
; %bb.63:                               ;   in Loop: Header=BB345_10 Depth=1
	s_or_b32 exec_lo, exec_lo, s41
	v_lshlrev_b32_e32 v62, 24, v61
	v_lshlrev_b32_e32 v1, 20, v1
	v_lshl_add_u32 v60, v60, 23, 0x3c000000
	v_and_b32_e32 v62, 0x80000000, v62
	v_or3_b32 v60, v1, v62, v60
.LBB345_64:                             ;   in Loop: Header=BB345_10 Depth=1
	s_or_b32 exec_lo, exec_lo, s40
.LBB345_65:                             ;   in Loop: Header=BB345_10 Depth=1
	s_or_b32 exec_lo, exec_lo, s39
.LBB345_66:                             ;   in Loop: Header=BB345_10 Depth=1
	s_or_b32 exec_lo, exec_lo, s3
	v_cmp_ne_u16_sdwa s2, v61, v2 src0_sel:BYTE_1 src1_sel:DWORD
	s_and_saveexec_b32 s3, s2
	s_cbranch_execz .LBB345_74
; %bb.67:                               ;   in Loop: Header=BB345_10 Depth=1
	v_cmp_ne_u16_sdwa s2, v61, v50 src0_sel:BYTE_1 src1_sel:DWORD
	v_bfrev_b32_e32 v59, 1
	s_and_saveexec_b32 s39, s2
	s_cbranch_execz .LBB345_73
; %bb.68:                               ;   in Loop: Header=BB345_10 Depth=1
	v_and_b32_sdwa v1, v51, v61 dst_sel:DWORD dst_unused:UNUSED_PAD src0_sel:DWORD src1_sel:BYTE_1
	v_mov_b32_e32 v59, 0x7f800001
	s_mov_b32 s40, exec_lo
	v_and_b32_e32 v62, 0x7f, v1
	v_cmpx_ne_u32_e32 0x7f, v62
	s_cbranch_execz .LBB345_72
; %bb.69:                               ;   in Loop: Header=BB345_10 Depth=1
	v_and_b32_e32 v1, 7, v1
	v_lshrrev_b32_e32 v59, 3, v62
	s_mov_b32 s41, exec_lo
	v_cmpx_gt_u32_e32 8, v62
; %bb.70:                               ;   in Loop: Header=BB345_10 Depth=1
	v_ffbh_u32_e32 v59, v1
	v_min_u32_e32 v59, 32, v59
	v_subrev_nc_u32_e32 v62, 28, v59
	v_sub_nc_u32_e32 v59, 29, v59
	v_lshlrev_b64 v[62:63], v62, v[1:2]
	v_and_b32_e32 v1, 7, v62
; %bb.71:                               ;   in Loop: Header=BB345_10 Depth=1
	s_or_b32 exec_lo, exec_lo, s41
	v_lshlrev_b32_e32 v61, 16, v61
	v_lshlrev_b32_e32 v1, 20, v1
	v_lshl_add_u32 v59, v59, 23, 0x3c000000
	v_and_b32_e32 v61, 0x80000000, v61
	v_or3_b32 v59, v1, v61, v59
.LBB345_72:                             ;   in Loop: Header=BB345_10 Depth=1
	s_or_b32 exec_lo, exec_lo, s40
.LBB345_73:                             ;   in Loop: Header=BB345_10 Depth=1
	s_or_b32 exec_lo, exec_lo, s39
.LBB345_74:                             ;   in Loop: Header=BB345_10 Depth=1
	s_or_b32 exec_lo, exec_lo, s3
	global_load_ushort v1, v[7:8], off offset:256
	v_mov_b32_e32 v62, 0
	v_mov_b32_e32 v61, 0
	s_waitcnt vmcnt(0)
	v_and_b32_e32 v63, 0xffff, v1
	v_cmp_ne_u16_sdwa s2, v1, v2 src0_sel:BYTE_0 src1_sel:DWORD
	s_and_saveexec_b32 s3, s2
	s_cbranch_execz .LBB345_82
; %bb.75:                               ;   in Loop: Header=BB345_10 Depth=1
	v_cmp_ne_u16_sdwa s2, v63, v50 src0_sel:BYTE_0 src1_sel:DWORD
	v_bfrev_b32_e32 v61, 1
	s_and_saveexec_b32 s39, s2
	s_cbranch_execz .LBB345_81
; %bb.76:                               ;   in Loop: Header=BB345_10 Depth=1
	v_and_b32_e32 v64, 0x7f, v63
	v_mov_b32_e32 v61, 0x7f800001
	s_mov_b32 s40, exec_lo
	v_cmpx_ne_u32_e32 0x7f, v64
	s_cbranch_execz .LBB345_80
; %bb.77:                               ;   in Loop: Header=BB345_10 Depth=1
	v_and_b32_e32 v1, 7, v63
	v_lshrrev_b32_e32 v61, 3, v64
	s_mov_b32 s41, exec_lo
	v_cmpx_gt_u32_e32 8, v64
; %bb.78:                               ;   in Loop: Header=BB345_10 Depth=1
	v_ffbh_u32_e32 v61, v1
	v_min_u32_e32 v61, 32, v61
	v_subrev_nc_u32_e32 v64, 28, v61
	v_sub_nc_u32_e32 v61, 29, v61
	v_lshlrev_b64 v[64:65], v64, v[1:2]
	v_and_b32_e32 v1, 7, v64
; %bb.79:                               ;   in Loop: Header=BB345_10 Depth=1
	s_or_b32 exec_lo, exec_lo, s41
	v_lshlrev_b32_e32 v64, 24, v63
	v_lshlrev_b32_e32 v1, 20, v1
	v_lshl_add_u32 v61, v61, 23, 0x3c000000
	v_and_b32_e32 v64, 0x80000000, v64
	v_or3_b32 v61, v1, v64, v61
.LBB345_80:                             ;   in Loop: Header=BB345_10 Depth=1
	s_or_b32 exec_lo, exec_lo, s40
.LBB345_81:                             ;   in Loop: Header=BB345_10 Depth=1
	s_or_b32 exec_lo, exec_lo, s39
.LBB345_82:                             ;   in Loop: Header=BB345_10 Depth=1
	s_or_b32 exec_lo, exec_lo, s3
	v_cmp_ne_u16_sdwa s2, v63, v2 src0_sel:BYTE_1 src1_sel:DWORD
	s_and_saveexec_b32 s3, s2
	s_cbranch_execz .LBB345_90
; %bb.83:                               ;   in Loop: Header=BB345_10 Depth=1
	v_cmp_ne_u16_sdwa s2, v63, v50 src0_sel:BYTE_1 src1_sel:DWORD
	v_bfrev_b32_e32 v62, 1
	s_and_saveexec_b32 s39, s2
	s_cbranch_execz .LBB345_89
; %bb.84:                               ;   in Loop: Header=BB345_10 Depth=1
	v_and_b32_sdwa v1, v51, v63 dst_sel:DWORD dst_unused:UNUSED_PAD src0_sel:DWORD src1_sel:BYTE_1
	v_mov_b32_e32 v62, 0x7f800001
	s_mov_b32 s40, exec_lo
	v_and_b32_e32 v64, 0x7f, v1
	v_cmpx_ne_u32_e32 0x7f, v64
	s_cbranch_execz .LBB345_88
; %bb.85:                               ;   in Loop: Header=BB345_10 Depth=1
	v_and_b32_e32 v1, 7, v1
	v_lshrrev_b32_e32 v62, 3, v64
	s_mov_b32 s41, exec_lo
	v_cmpx_gt_u32_e32 8, v64
; %bb.86:                               ;   in Loop: Header=BB345_10 Depth=1
	v_ffbh_u32_e32 v62, v1
	v_min_u32_e32 v62, 32, v62
	v_subrev_nc_u32_e32 v64, 28, v62
	v_sub_nc_u32_e32 v62, 29, v62
	v_lshlrev_b64 v[64:65], v64, v[1:2]
	v_and_b32_e32 v1, 7, v64
; %bb.87:                               ;   in Loop: Header=BB345_10 Depth=1
	s_or_b32 exec_lo, exec_lo, s41
	v_lshlrev_b32_e32 v63, 16, v63
	v_lshlrev_b32_e32 v1, 20, v1
	v_lshl_add_u32 v62, v62, 23, 0x3c000000
	v_and_b32_e32 v63, 0x80000000, v63
	v_or3_b32 v62, v1, v63, v62
.LBB345_88:                             ;   in Loop: Header=BB345_10 Depth=1
	s_or_b32 exec_lo, exec_lo, s40
.LBB345_89:                             ;   in Loop: Header=BB345_10 Depth=1
	s_or_b32 exec_lo, exec_lo, s39
.LBB345_90:                             ;   in Loop: Header=BB345_10 Depth=1
	s_or_b32 exec_lo, exec_lo, s3
	global_load_ushort v1, v[7:8], off offset:264
	v_mov_b32_e32 v64, 0
	v_mov_b32_e32 v63, 0
	s_waitcnt vmcnt(0)
	v_and_b32_e32 v65, 0xffff, v1
	v_cmp_ne_u16_sdwa s2, v1, v2 src0_sel:BYTE_0 src1_sel:DWORD
	s_and_saveexec_b32 s3, s2
	s_cbranch_execz .LBB345_98
; %bb.91:                               ;   in Loop: Header=BB345_10 Depth=1
	v_cmp_ne_u16_sdwa s2, v65, v50 src0_sel:BYTE_0 src1_sel:DWORD
	v_bfrev_b32_e32 v63, 1
	s_and_saveexec_b32 s39, s2
	s_cbranch_execz .LBB345_97
; %bb.92:                               ;   in Loop: Header=BB345_10 Depth=1
	v_and_b32_e32 v66, 0x7f, v65
	v_mov_b32_e32 v63, 0x7f800001
	s_mov_b32 s40, exec_lo
	v_cmpx_ne_u32_e32 0x7f, v66
	s_cbranch_execz .LBB345_96
; %bb.93:                               ;   in Loop: Header=BB345_10 Depth=1
	v_and_b32_e32 v1, 7, v65
	v_lshrrev_b32_e32 v63, 3, v66
	s_mov_b32 s41, exec_lo
	v_cmpx_gt_u32_e32 8, v66
; %bb.94:                               ;   in Loop: Header=BB345_10 Depth=1
	v_ffbh_u32_e32 v63, v1
	v_min_u32_e32 v63, 32, v63
	v_subrev_nc_u32_e32 v66, 28, v63
	v_sub_nc_u32_e32 v63, 29, v63
	v_lshlrev_b64 v[66:67], v66, v[1:2]
	v_and_b32_e32 v1, 7, v66
; %bb.95:                               ;   in Loop: Header=BB345_10 Depth=1
	s_or_b32 exec_lo, exec_lo, s41
	v_lshlrev_b32_e32 v66, 24, v65
	v_lshlrev_b32_e32 v1, 20, v1
	v_lshl_add_u32 v63, v63, 23, 0x3c000000
	v_and_b32_e32 v66, 0x80000000, v66
	v_or3_b32 v63, v1, v66, v63
.LBB345_96:                             ;   in Loop: Header=BB345_10 Depth=1
	s_or_b32 exec_lo, exec_lo, s40
.LBB345_97:                             ;   in Loop: Header=BB345_10 Depth=1
	s_or_b32 exec_lo, exec_lo, s39
.LBB345_98:                             ;   in Loop: Header=BB345_10 Depth=1
	s_or_b32 exec_lo, exec_lo, s3
	v_cmp_ne_u16_sdwa s2, v65, v2 src0_sel:BYTE_1 src1_sel:DWORD
	s_and_saveexec_b32 s3, s2
	s_cbranch_execz .LBB345_106
; %bb.99:                               ;   in Loop: Header=BB345_10 Depth=1
	v_cmp_ne_u16_sdwa s2, v65, v50 src0_sel:BYTE_1 src1_sel:DWORD
	v_bfrev_b32_e32 v64, 1
	s_and_saveexec_b32 s39, s2
	s_cbranch_execz .LBB345_105
; %bb.100:                              ;   in Loop: Header=BB345_10 Depth=1
	v_and_b32_sdwa v1, v51, v65 dst_sel:DWORD dst_unused:UNUSED_PAD src0_sel:DWORD src1_sel:BYTE_1
	v_mov_b32_e32 v64, 0x7f800001
	s_mov_b32 s40, exec_lo
	v_and_b32_e32 v66, 0x7f, v1
	v_cmpx_ne_u32_e32 0x7f, v66
	s_cbranch_execz .LBB345_104
; %bb.101:                              ;   in Loop: Header=BB345_10 Depth=1
	v_and_b32_e32 v1, 7, v1
	v_lshrrev_b32_e32 v64, 3, v66
	s_mov_b32 s41, exec_lo
	v_cmpx_gt_u32_e32 8, v66
; %bb.102:                              ;   in Loop: Header=BB345_10 Depth=1
	v_ffbh_u32_e32 v64, v1
	v_min_u32_e32 v64, 32, v64
	v_subrev_nc_u32_e32 v66, 28, v64
	v_sub_nc_u32_e32 v64, 29, v64
	v_lshlrev_b64 v[66:67], v66, v[1:2]
	v_and_b32_e32 v1, 7, v66
; %bb.103:                              ;   in Loop: Header=BB345_10 Depth=1
	s_or_b32 exec_lo, exec_lo, s41
	v_lshlrev_b32_e32 v65, 16, v65
	v_lshlrev_b32_e32 v1, 20, v1
	v_lshl_add_u32 v64, v64, 23, 0x3c000000
	v_and_b32_e32 v65, 0x80000000, v65
	v_or3_b32 v64, v1, v65, v64
.LBB345_104:                            ;   in Loop: Header=BB345_10 Depth=1
	s_or_b32 exec_lo, exec_lo, s40
.LBB345_105:                            ;   in Loop: Header=BB345_10 Depth=1
	s_or_b32 exec_lo, exec_lo, s39
.LBB345_106:                            ;   in Loop: Header=BB345_10 Depth=1
	s_or_b32 exec_lo, exec_lo, s3
	global_load_ushort v1, v[7:8], off offset:384
	v_mov_b32_e32 v66, 0
	v_mov_b32_e32 v65, 0
	s_waitcnt vmcnt(0)
	v_and_b32_e32 v67, 0xffff, v1
	v_cmp_ne_u16_sdwa s2, v1, v2 src0_sel:BYTE_0 src1_sel:DWORD
	s_and_saveexec_b32 s3, s2
	s_cbranch_execz .LBB345_114
; %bb.107:                              ;   in Loop: Header=BB345_10 Depth=1
	v_cmp_ne_u16_sdwa s2, v67, v50 src0_sel:BYTE_0 src1_sel:DWORD
	v_bfrev_b32_e32 v65, 1
	s_and_saveexec_b32 s39, s2
	s_cbranch_execz .LBB345_113
; %bb.108:                              ;   in Loop: Header=BB345_10 Depth=1
	v_and_b32_e32 v68, 0x7f, v67
	v_mov_b32_e32 v65, 0x7f800001
	s_mov_b32 s40, exec_lo
	v_cmpx_ne_u32_e32 0x7f, v68
	s_cbranch_execz .LBB345_112
; %bb.109:                              ;   in Loop: Header=BB345_10 Depth=1
	v_and_b32_e32 v1, 7, v67
	v_lshrrev_b32_e32 v65, 3, v68
	s_mov_b32 s41, exec_lo
	v_cmpx_gt_u32_e32 8, v68
; %bb.110:                              ;   in Loop: Header=BB345_10 Depth=1
	v_ffbh_u32_e32 v65, v1
	v_min_u32_e32 v65, 32, v65
	v_subrev_nc_u32_e32 v68, 28, v65
	v_sub_nc_u32_e32 v65, 29, v65
	v_lshlrev_b64 v[68:69], v68, v[1:2]
	v_and_b32_e32 v1, 7, v68
; %bb.111:                              ;   in Loop: Header=BB345_10 Depth=1
	s_or_b32 exec_lo, exec_lo, s41
	v_lshlrev_b32_e32 v68, 24, v67
	v_lshlrev_b32_e32 v1, 20, v1
	v_lshl_add_u32 v65, v65, 23, 0x3c000000
	v_and_b32_e32 v68, 0x80000000, v68
	v_or3_b32 v65, v1, v68, v65
.LBB345_112:                            ;   in Loop: Header=BB345_10 Depth=1
	s_or_b32 exec_lo, exec_lo, s40
.LBB345_113:                            ;   in Loop: Header=BB345_10 Depth=1
	s_or_b32 exec_lo, exec_lo, s39
.LBB345_114:                            ;   in Loop: Header=BB345_10 Depth=1
	s_or_b32 exec_lo, exec_lo, s3
	v_cmp_ne_u16_sdwa s2, v67, v2 src0_sel:BYTE_1 src1_sel:DWORD
	s_and_saveexec_b32 s3, s2
	s_cbranch_execz .LBB345_122
; %bb.115:                              ;   in Loop: Header=BB345_10 Depth=1
	v_cmp_ne_u16_sdwa s2, v67, v50 src0_sel:BYTE_1 src1_sel:DWORD
	v_bfrev_b32_e32 v66, 1
	s_and_saveexec_b32 s39, s2
	s_cbranch_execz .LBB345_121
; %bb.116:                              ;   in Loop: Header=BB345_10 Depth=1
	v_and_b32_sdwa v1, v51, v67 dst_sel:DWORD dst_unused:UNUSED_PAD src0_sel:DWORD src1_sel:BYTE_1
	v_mov_b32_e32 v66, 0x7f800001
	s_mov_b32 s40, exec_lo
	v_and_b32_e32 v68, 0x7f, v1
	v_cmpx_ne_u32_e32 0x7f, v68
	s_cbranch_execz .LBB345_120
; %bb.117:                              ;   in Loop: Header=BB345_10 Depth=1
	v_and_b32_e32 v1, 7, v1
	v_lshrrev_b32_e32 v66, 3, v68
	s_mov_b32 s41, exec_lo
	v_cmpx_gt_u32_e32 8, v68
; %bb.118:                              ;   in Loop: Header=BB345_10 Depth=1
	v_ffbh_u32_e32 v66, v1
	v_min_u32_e32 v66, 32, v66
	v_subrev_nc_u32_e32 v68, 28, v66
	v_sub_nc_u32_e32 v66, 29, v66
	v_lshlrev_b64 v[68:69], v68, v[1:2]
	v_and_b32_e32 v1, 7, v68
; %bb.119:                              ;   in Loop: Header=BB345_10 Depth=1
	s_or_b32 exec_lo, exec_lo, s41
	v_lshlrev_b32_e32 v67, 16, v67
	v_lshlrev_b32_e32 v1, 20, v1
	v_lshl_add_u32 v66, v66, 23, 0x3c000000
	v_and_b32_e32 v67, 0x80000000, v67
	v_or3_b32 v66, v1, v67, v66
.LBB345_120:                            ;   in Loop: Header=BB345_10 Depth=1
	s_or_b32 exec_lo, exec_lo, s40
.LBB345_121:                            ;   in Loop: Header=BB345_10 Depth=1
	s_or_b32 exec_lo, exec_lo, s39
.LBB345_122:                            ;   in Loop: Header=BB345_10 Depth=1
	s_or_b32 exec_lo, exec_lo, s3
	global_load_ushort v1, v[7:8], off offset:392
	v_mov_b32_e32 v68, 0
	v_mov_b32_e32 v67, 0
	s_waitcnt vmcnt(0)
	v_and_b32_e32 v69, 0xffff, v1
	v_cmp_ne_u16_sdwa s2, v1, v2 src0_sel:BYTE_0 src1_sel:DWORD
	s_and_saveexec_b32 s3, s2
	s_cbranch_execz .LBB345_130
; %bb.123:                              ;   in Loop: Header=BB345_10 Depth=1
	v_cmp_ne_u16_sdwa s2, v69, v50 src0_sel:BYTE_0 src1_sel:DWORD
	v_bfrev_b32_e32 v67, 1
	s_and_saveexec_b32 s39, s2
	s_cbranch_execz .LBB345_129
; %bb.124:                              ;   in Loop: Header=BB345_10 Depth=1
	v_and_b32_e32 v70, 0x7f, v69
	v_mov_b32_e32 v67, 0x7f800001
	s_mov_b32 s40, exec_lo
	v_cmpx_ne_u32_e32 0x7f, v70
	s_cbranch_execz .LBB345_128
; %bb.125:                              ;   in Loop: Header=BB345_10 Depth=1
	v_and_b32_e32 v1, 7, v69
	v_lshrrev_b32_e32 v67, 3, v70
	s_mov_b32 s41, exec_lo
	v_cmpx_gt_u32_e32 8, v70
; %bb.126:                              ;   in Loop: Header=BB345_10 Depth=1
	v_ffbh_u32_e32 v67, v1
	v_min_u32_e32 v67, 32, v67
	v_subrev_nc_u32_e32 v70, 28, v67
	v_sub_nc_u32_e32 v67, 29, v67
	v_lshlrev_b64 v[70:71], v70, v[1:2]
	v_and_b32_e32 v1, 7, v70
; %bb.127:                              ;   in Loop: Header=BB345_10 Depth=1
	s_or_b32 exec_lo, exec_lo, s41
	v_lshlrev_b32_e32 v70, 24, v69
	v_lshlrev_b32_e32 v1, 20, v1
	v_lshl_add_u32 v67, v67, 23, 0x3c000000
	v_and_b32_e32 v70, 0x80000000, v70
	v_or3_b32 v67, v1, v70, v67
.LBB345_128:                            ;   in Loop: Header=BB345_10 Depth=1
	s_or_b32 exec_lo, exec_lo, s40
.LBB345_129:                            ;   in Loop: Header=BB345_10 Depth=1
	s_or_b32 exec_lo, exec_lo, s39
.LBB345_130:                            ;   in Loop: Header=BB345_10 Depth=1
	s_or_b32 exec_lo, exec_lo, s3
	v_cmp_ne_u16_sdwa s2, v69, v2 src0_sel:BYTE_1 src1_sel:DWORD
	s_and_saveexec_b32 s3, s2
	s_cbranch_execz .LBB345_138
; %bb.131:                              ;   in Loop: Header=BB345_10 Depth=1
	v_cmp_ne_u16_sdwa s2, v69, v50 src0_sel:BYTE_1 src1_sel:DWORD
	v_bfrev_b32_e32 v68, 1
	s_and_saveexec_b32 s39, s2
	s_cbranch_execz .LBB345_137
; %bb.132:                              ;   in Loop: Header=BB345_10 Depth=1
	v_and_b32_sdwa v1, v51, v69 dst_sel:DWORD dst_unused:UNUSED_PAD src0_sel:DWORD src1_sel:BYTE_1
	v_mov_b32_e32 v68, 0x7f800001
	s_mov_b32 s40, exec_lo
	v_and_b32_e32 v70, 0x7f, v1
	v_cmpx_ne_u32_e32 0x7f, v70
	s_cbranch_execz .LBB345_136
; %bb.133:                              ;   in Loop: Header=BB345_10 Depth=1
	v_and_b32_e32 v1, 7, v1
	v_lshrrev_b32_e32 v68, 3, v70
	s_mov_b32 s41, exec_lo
	v_cmpx_gt_u32_e32 8, v70
; %bb.134:                              ;   in Loop: Header=BB345_10 Depth=1
	v_ffbh_u32_e32 v68, v1
	v_min_u32_e32 v68, 32, v68
	v_subrev_nc_u32_e32 v70, 28, v68
	v_sub_nc_u32_e32 v68, 29, v68
	v_lshlrev_b64 v[70:71], v70, v[1:2]
	v_and_b32_e32 v1, 7, v70
; %bb.135:                              ;   in Loop: Header=BB345_10 Depth=1
	s_or_b32 exec_lo, exec_lo, s41
	v_lshlrev_b32_e32 v69, 16, v69
	v_lshlrev_b32_e32 v1, 20, v1
	v_lshl_add_u32 v68, v68, 23, 0x3c000000
	v_and_b32_e32 v69, 0x80000000, v69
	v_or3_b32 v68, v1, v69, v68
.LBB345_136:                            ;   in Loop: Header=BB345_10 Depth=1
	s_or_b32 exec_lo, exec_lo, s40
.LBB345_137:                            ;   in Loop: Header=BB345_10 Depth=1
	s_or_b32 exec_lo, exec_lo, s39
.LBB345_138:                            ;   in Loop: Header=BB345_10 Depth=1
	s_or_b32 exec_lo, exec_lo, s3
	global_load_ushort v1, v[7:8], off offset:512
	v_mov_b32_e32 v70, 0
	v_mov_b32_e32 v69, 0
	s_waitcnt vmcnt(0)
	v_and_b32_e32 v71, 0xffff, v1
	v_cmp_ne_u16_sdwa s2, v1, v2 src0_sel:BYTE_0 src1_sel:DWORD
	s_and_saveexec_b32 s3, s2
	s_cbranch_execz .LBB345_146
; %bb.139:                              ;   in Loop: Header=BB345_10 Depth=1
	v_cmp_ne_u16_sdwa s2, v71, v50 src0_sel:BYTE_0 src1_sel:DWORD
	v_bfrev_b32_e32 v69, 1
	s_and_saveexec_b32 s39, s2
	s_cbranch_execz .LBB345_145
; %bb.140:                              ;   in Loop: Header=BB345_10 Depth=1
	v_and_b32_e32 v72, 0x7f, v71
	v_mov_b32_e32 v69, 0x7f800001
	s_mov_b32 s40, exec_lo
	v_cmpx_ne_u32_e32 0x7f, v72
	s_cbranch_execz .LBB345_144
; %bb.141:                              ;   in Loop: Header=BB345_10 Depth=1
	v_and_b32_e32 v1, 7, v71
	v_lshrrev_b32_e32 v69, 3, v72
	s_mov_b32 s41, exec_lo
	v_cmpx_gt_u32_e32 8, v72
; %bb.142:                              ;   in Loop: Header=BB345_10 Depth=1
	v_ffbh_u32_e32 v69, v1
	v_min_u32_e32 v69, 32, v69
	v_subrev_nc_u32_e32 v72, 28, v69
	v_sub_nc_u32_e32 v69, 29, v69
	v_lshlrev_b64 v[72:73], v72, v[1:2]
	v_and_b32_e32 v1, 7, v72
; %bb.143:                              ;   in Loop: Header=BB345_10 Depth=1
	s_or_b32 exec_lo, exec_lo, s41
	v_lshlrev_b32_e32 v72, 24, v71
	v_lshlrev_b32_e32 v1, 20, v1
	v_lshl_add_u32 v69, v69, 23, 0x3c000000
	v_and_b32_e32 v72, 0x80000000, v72
	v_or3_b32 v69, v1, v72, v69
.LBB345_144:                            ;   in Loop: Header=BB345_10 Depth=1
	s_or_b32 exec_lo, exec_lo, s40
.LBB345_145:                            ;   in Loop: Header=BB345_10 Depth=1
	s_or_b32 exec_lo, exec_lo, s39
.LBB345_146:                            ;   in Loop: Header=BB345_10 Depth=1
	s_or_b32 exec_lo, exec_lo, s3
	v_cmp_ne_u16_sdwa s2, v71, v2 src0_sel:BYTE_1 src1_sel:DWORD
	s_and_saveexec_b32 s3, s2
	s_cbranch_execz .LBB345_154
; %bb.147:                              ;   in Loop: Header=BB345_10 Depth=1
	v_cmp_ne_u16_sdwa s2, v71, v50 src0_sel:BYTE_1 src1_sel:DWORD
	v_bfrev_b32_e32 v70, 1
	s_and_saveexec_b32 s39, s2
	s_cbranch_execz .LBB345_153
; %bb.148:                              ;   in Loop: Header=BB345_10 Depth=1
	v_and_b32_sdwa v1, v51, v71 dst_sel:DWORD dst_unused:UNUSED_PAD src0_sel:DWORD src1_sel:BYTE_1
	v_mov_b32_e32 v70, 0x7f800001
	s_mov_b32 s40, exec_lo
	v_and_b32_e32 v72, 0x7f, v1
	v_cmpx_ne_u32_e32 0x7f, v72
	s_cbranch_execz .LBB345_152
; %bb.149:                              ;   in Loop: Header=BB345_10 Depth=1
	v_and_b32_e32 v1, 7, v1
	v_lshrrev_b32_e32 v70, 3, v72
	s_mov_b32 s41, exec_lo
	v_cmpx_gt_u32_e32 8, v72
; %bb.150:                              ;   in Loop: Header=BB345_10 Depth=1
	v_ffbh_u32_e32 v70, v1
	v_min_u32_e32 v70, 32, v70
	v_subrev_nc_u32_e32 v72, 28, v70
	v_sub_nc_u32_e32 v70, 29, v70
	v_lshlrev_b64 v[72:73], v72, v[1:2]
	v_and_b32_e32 v1, 7, v72
; %bb.151:                              ;   in Loop: Header=BB345_10 Depth=1
	s_or_b32 exec_lo, exec_lo, s41
	v_lshlrev_b32_e32 v71, 16, v71
	v_lshlrev_b32_e32 v1, 20, v1
	v_lshl_add_u32 v70, v70, 23, 0x3c000000
	v_and_b32_e32 v71, 0x80000000, v71
	v_or3_b32 v70, v1, v71, v70
.LBB345_152:                            ;   in Loop: Header=BB345_10 Depth=1
	s_or_b32 exec_lo, exec_lo, s40
.LBB345_153:                            ;   in Loop: Header=BB345_10 Depth=1
	s_or_b32 exec_lo, exec_lo, s39
.LBB345_154:                            ;   in Loop: Header=BB345_10 Depth=1
	s_or_b32 exec_lo, exec_lo, s3
	global_load_ushort v1, v[7:8], off offset:520
	v_mov_b32_e32 v72, 0
	v_mov_b32_e32 v71, 0
	s_waitcnt vmcnt(0)
	v_and_b32_e32 v73, 0xffff, v1
	v_cmp_ne_u16_sdwa s2, v1, v2 src0_sel:BYTE_0 src1_sel:DWORD
	s_and_saveexec_b32 s3, s2
	s_cbranch_execz .LBB345_162
; %bb.155:                              ;   in Loop: Header=BB345_10 Depth=1
	v_cmp_ne_u16_sdwa s2, v73, v50 src0_sel:BYTE_0 src1_sel:DWORD
	v_bfrev_b32_e32 v71, 1
	s_and_saveexec_b32 s39, s2
	s_cbranch_execz .LBB345_161
; %bb.156:                              ;   in Loop: Header=BB345_10 Depth=1
	v_and_b32_e32 v74, 0x7f, v73
	v_mov_b32_e32 v71, 0x7f800001
	s_mov_b32 s40, exec_lo
	v_cmpx_ne_u32_e32 0x7f, v74
	s_cbranch_execz .LBB345_160
; %bb.157:                              ;   in Loop: Header=BB345_10 Depth=1
	v_and_b32_e32 v1, 7, v73
	v_lshrrev_b32_e32 v71, 3, v74
	s_mov_b32 s41, exec_lo
	v_cmpx_gt_u32_e32 8, v74
; %bb.158:                              ;   in Loop: Header=BB345_10 Depth=1
	v_ffbh_u32_e32 v71, v1
	v_min_u32_e32 v71, 32, v71
	v_subrev_nc_u32_e32 v74, 28, v71
	v_sub_nc_u32_e32 v71, 29, v71
	v_lshlrev_b64 v[74:75], v74, v[1:2]
	v_and_b32_e32 v1, 7, v74
; %bb.159:                              ;   in Loop: Header=BB345_10 Depth=1
	s_or_b32 exec_lo, exec_lo, s41
	v_lshlrev_b32_e32 v74, 24, v73
	v_lshlrev_b32_e32 v1, 20, v1
	v_lshl_add_u32 v71, v71, 23, 0x3c000000
	v_and_b32_e32 v74, 0x80000000, v74
	v_or3_b32 v71, v1, v74, v71
.LBB345_160:                            ;   in Loop: Header=BB345_10 Depth=1
	s_or_b32 exec_lo, exec_lo, s40
.LBB345_161:                            ;   in Loop: Header=BB345_10 Depth=1
	s_or_b32 exec_lo, exec_lo, s39
.LBB345_162:                            ;   in Loop: Header=BB345_10 Depth=1
	s_or_b32 exec_lo, exec_lo, s3
	v_cmp_ne_u16_sdwa s2, v73, v2 src0_sel:BYTE_1 src1_sel:DWORD
	s_and_saveexec_b32 s3, s2
	s_cbranch_execz .LBB345_170
; %bb.163:                              ;   in Loop: Header=BB345_10 Depth=1
	v_cmp_ne_u16_sdwa s2, v73, v50 src0_sel:BYTE_1 src1_sel:DWORD
	v_bfrev_b32_e32 v72, 1
	s_and_saveexec_b32 s39, s2
	s_cbranch_execz .LBB345_169
; %bb.164:                              ;   in Loop: Header=BB345_10 Depth=1
	v_and_b32_sdwa v1, v51, v73 dst_sel:DWORD dst_unused:UNUSED_PAD src0_sel:DWORD src1_sel:BYTE_1
	v_mov_b32_e32 v72, 0x7f800001
	s_mov_b32 s40, exec_lo
	v_and_b32_e32 v74, 0x7f, v1
	v_cmpx_ne_u32_e32 0x7f, v74
	s_cbranch_execz .LBB345_168
; %bb.165:                              ;   in Loop: Header=BB345_10 Depth=1
	v_and_b32_e32 v1, 7, v1
	v_lshrrev_b32_e32 v72, 3, v74
	s_mov_b32 s41, exec_lo
	v_cmpx_gt_u32_e32 8, v74
; %bb.166:                              ;   in Loop: Header=BB345_10 Depth=1
	v_ffbh_u32_e32 v72, v1
	v_min_u32_e32 v72, 32, v72
	v_subrev_nc_u32_e32 v74, 28, v72
	v_sub_nc_u32_e32 v72, 29, v72
	v_lshlrev_b64 v[74:75], v74, v[1:2]
	v_and_b32_e32 v1, 7, v74
; %bb.167:                              ;   in Loop: Header=BB345_10 Depth=1
	s_or_b32 exec_lo, exec_lo, s41
	v_lshlrev_b32_e32 v73, 16, v73
	v_lshlrev_b32_e32 v1, 20, v1
	v_lshl_add_u32 v72, v72, 23, 0x3c000000
	v_and_b32_e32 v73, 0x80000000, v73
	v_or3_b32 v72, v1, v73, v72
.LBB345_168:                            ;   in Loop: Header=BB345_10 Depth=1
	s_or_b32 exec_lo, exec_lo, s40
.LBB345_169:                            ;   in Loop: Header=BB345_10 Depth=1
	s_or_b32 exec_lo, exec_lo, s39
.LBB345_170:                            ;   in Loop: Header=BB345_10 Depth=1
	s_or_b32 exec_lo, exec_lo, s3
	global_load_ushort v1, v[7:8], off offset:640
	v_mov_b32_e32 v74, 0
	v_mov_b32_e32 v73, 0
	s_waitcnt vmcnt(0)
	v_and_b32_e32 v75, 0xffff, v1
	v_cmp_ne_u16_sdwa s2, v1, v2 src0_sel:BYTE_0 src1_sel:DWORD
	s_and_saveexec_b32 s3, s2
	s_cbranch_execz .LBB345_178
; %bb.171:                              ;   in Loop: Header=BB345_10 Depth=1
	v_cmp_ne_u16_sdwa s2, v75, v50 src0_sel:BYTE_0 src1_sel:DWORD
	v_bfrev_b32_e32 v73, 1
	s_and_saveexec_b32 s39, s2
	s_cbranch_execz .LBB345_177
; %bb.172:                              ;   in Loop: Header=BB345_10 Depth=1
	v_and_b32_e32 v76, 0x7f, v75
	v_mov_b32_e32 v73, 0x7f800001
	s_mov_b32 s40, exec_lo
	v_cmpx_ne_u32_e32 0x7f, v76
	s_cbranch_execz .LBB345_176
; %bb.173:                              ;   in Loop: Header=BB345_10 Depth=1
	v_and_b32_e32 v1, 7, v75
	v_lshrrev_b32_e32 v73, 3, v76
	s_mov_b32 s41, exec_lo
	v_cmpx_gt_u32_e32 8, v76
; %bb.174:                              ;   in Loop: Header=BB345_10 Depth=1
	v_ffbh_u32_e32 v73, v1
	v_min_u32_e32 v73, 32, v73
	v_subrev_nc_u32_e32 v76, 28, v73
	v_sub_nc_u32_e32 v73, 29, v73
	v_lshlrev_b64 v[76:77], v76, v[1:2]
	v_and_b32_e32 v1, 7, v76
; %bb.175:                              ;   in Loop: Header=BB345_10 Depth=1
	s_or_b32 exec_lo, exec_lo, s41
	v_lshlrev_b32_e32 v76, 24, v75
	v_lshlrev_b32_e32 v1, 20, v1
	v_lshl_add_u32 v73, v73, 23, 0x3c000000
	v_and_b32_e32 v76, 0x80000000, v76
	v_or3_b32 v73, v1, v76, v73
.LBB345_176:                            ;   in Loop: Header=BB345_10 Depth=1
	s_or_b32 exec_lo, exec_lo, s40
.LBB345_177:                            ;   in Loop: Header=BB345_10 Depth=1
	s_or_b32 exec_lo, exec_lo, s39
.LBB345_178:                            ;   in Loop: Header=BB345_10 Depth=1
	s_or_b32 exec_lo, exec_lo, s3
	v_cmp_ne_u16_sdwa s2, v75, v2 src0_sel:BYTE_1 src1_sel:DWORD
	s_and_saveexec_b32 s3, s2
	s_cbranch_execz .LBB345_186
; %bb.179:                              ;   in Loop: Header=BB345_10 Depth=1
	v_cmp_ne_u16_sdwa s2, v75, v50 src0_sel:BYTE_1 src1_sel:DWORD
	v_bfrev_b32_e32 v74, 1
	s_and_saveexec_b32 s39, s2
	s_cbranch_execz .LBB345_185
; %bb.180:                              ;   in Loop: Header=BB345_10 Depth=1
	v_and_b32_sdwa v1, v51, v75 dst_sel:DWORD dst_unused:UNUSED_PAD src0_sel:DWORD src1_sel:BYTE_1
	v_mov_b32_e32 v74, 0x7f800001
	s_mov_b32 s40, exec_lo
	v_and_b32_e32 v76, 0x7f, v1
	v_cmpx_ne_u32_e32 0x7f, v76
	s_cbranch_execz .LBB345_184
; %bb.181:                              ;   in Loop: Header=BB345_10 Depth=1
	v_and_b32_e32 v1, 7, v1
	v_lshrrev_b32_e32 v74, 3, v76
	s_mov_b32 s41, exec_lo
	v_cmpx_gt_u32_e32 8, v76
; %bb.182:                              ;   in Loop: Header=BB345_10 Depth=1
	v_ffbh_u32_e32 v74, v1
	v_min_u32_e32 v74, 32, v74
	v_subrev_nc_u32_e32 v76, 28, v74
	v_sub_nc_u32_e32 v74, 29, v74
	v_lshlrev_b64 v[76:77], v76, v[1:2]
	v_and_b32_e32 v1, 7, v76
; %bb.183:                              ;   in Loop: Header=BB345_10 Depth=1
	s_or_b32 exec_lo, exec_lo, s41
	v_lshlrev_b32_e32 v75, 16, v75
	v_lshlrev_b32_e32 v1, 20, v1
	v_lshl_add_u32 v74, v74, 23, 0x3c000000
	v_and_b32_e32 v75, 0x80000000, v75
	v_or3_b32 v74, v1, v75, v74
.LBB345_184:                            ;   in Loop: Header=BB345_10 Depth=1
	s_or_b32 exec_lo, exec_lo, s40
.LBB345_185:                            ;   in Loop: Header=BB345_10 Depth=1
	s_or_b32 exec_lo, exec_lo, s39
.LBB345_186:                            ;   in Loop: Header=BB345_10 Depth=1
	s_or_b32 exec_lo, exec_lo, s3
	global_load_ushort v1, v[7:8], off offset:648
	v_mov_b32_e32 v76, 0
	v_mov_b32_e32 v75, 0
	s_waitcnt vmcnt(0)
	v_and_b32_e32 v77, 0xffff, v1
	v_cmp_ne_u16_sdwa s2, v1, v2 src0_sel:BYTE_0 src1_sel:DWORD
	s_and_saveexec_b32 s3, s2
	s_cbranch_execz .LBB345_194
; %bb.187:                              ;   in Loop: Header=BB345_10 Depth=1
	v_cmp_ne_u16_sdwa s2, v77, v50 src0_sel:BYTE_0 src1_sel:DWORD
	v_bfrev_b32_e32 v75, 1
	s_and_saveexec_b32 s39, s2
	s_cbranch_execz .LBB345_193
; %bb.188:                              ;   in Loop: Header=BB345_10 Depth=1
	v_and_b32_e32 v78, 0x7f, v77
	v_mov_b32_e32 v75, 0x7f800001
	s_mov_b32 s40, exec_lo
	v_cmpx_ne_u32_e32 0x7f, v78
	s_cbranch_execz .LBB345_192
; %bb.189:                              ;   in Loop: Header=BB345_10 Depth=1
	v_and_b32_e32 v1, 7, v77
	v_lshrrev_b32_e32 v75, 3, v78
	s_mov_b32 s41, exec_lo
	v_cmpx_gt_u32_e32 8, v78
; %bb.190:                              ;   in Loop: Header=BB345_10 Depth=1
	v_ffbh_u32_e32 v75, v1
	v_min_u32_e32 v75, 32, v75
	v_subrev_nc_u32_e32 v78, 28, v75
	v_sub_nc_u32_e32 v75, 29, v75
	v_lshlrev_b64 v[78:79], v78, v[1:2]
	v_and_b32_e32 v1, 7, v78
; %bb.191:                              ;   in Loop: Header=BB345_10 Depth=1
	s_or_b32 exec_lo, exec_lo, s41
	v_lshlrev_b32_e32 v78, 24, v77
	v_lshlrev_b32_e32 v1, 20, v1
	v_lshl_add_u32 v75, v75, 23, 0x3c000000
	v_and_b32_e32 v78, 0x80000000, v78
	v_or3_b32 v75, v1, v78, v75
.LBB345_192:                            ;   in Loop: Header=BB345_10 Depth=1
	s_or_b32 exec_lo, exec_lo, s40
.LBB345_193:                            ;   in Loop: Header=BB345_10 Depth=1
	s_or_b32 exec_lo, exec_lo, s39
.LBB345_194:                            ;   in Loop: Header=BB345_10 Depth=1
	s_or_b32 exec_lo, exec_lo, s3
	v_cmp_ne_u16_sdwa s2, v77, v2 src0_sel:BYTE_1 src1_sel:DWORD
	s_and_saveexec_b32 s3, s2
	s_cbranch_execz .LBB345_202
; %bb.195:                              ;   in Loop: Header=BB345_10 Depth=1
	v_cmp_ne_u16_sdwa s2, v77, v50 src0_sel:BYTE_1 src1_sel:DWORD
	v_bfrev_b32_e32 v76, 1
	s_and_saveexec_b32 s39, s2
	s_cbranch_execz .LBB345_201
; %bb.196:                              ;   in Loop: Header=BB345_10 Depth=1
	v_and_b32_sdwa v1, v51, v77 dst_sel:DWORD dst_unused:UNUSED_PAD src0_sel:DWORD src1_sel:BYTE_1
	v_mov_b32_e32 v76, 0x7f800001
	s_mov_b32 s40, exec_lo
	v_and_b32_e32 v78, 0x7f, v1
	v_cmpx_ne_u32_e32 0x7f, v78
	s_cbranch_execz .LBB345_200
; %bb.197:                              ;   in Loop: Header=BB345_10 Depth=1
	v_and_b32_e32 v1, 7, v1
	v_lshrrev_b32_e32 v76, 3, v78
	s_mov_b32 s41, exec_lo
	v_cmpx_gt_u32_e32 8, v78
; %bb.198:                              ;   in Loop: Header=BB345_10 Depth=1
	v_ffbh_u32_e32 v76, v1
	v_min_u32_e32 v76, 32, v76
	v_subrev_nc_u32_e32 v78, 28, v76
	v_sub_nc_u32_e32 v76, 29, v76
	v_lshlrev_b64 v[78:79], v78, v[1:2]
	v_and_b32_e32 v1, 7, v78
; %bb.199:                              ;   in Loop: Header=BB345_10 Depth=1
	s_or_b32 exec_lo, exec_lo, s41
	v_lshlrev_b32_e32 v77, 16, v77
	v_lshlrev_b32_e32 v1, 20, v1
	v_lshl_add_u32 v76, v76, 23, 0x3c000000
	v_and_b32_e32 v77, 0x80000000, v77
	v_or3_b32 v76, v1, v77, v76
.LBB345_200:                            ;   in Loop: Header=BB345_10 Depth=1
	s_or_b32 exec_lo, exec_lo, s40
.LBB345_201:                            ;   in Loop: Header=BB345_10 Depth=1
	s_or_b32 exec_lo, exec_lo, s39
.LBB345_202:                            ;   in Loop: Header=BB345_10 Depth=1
	s_or_b32 exec_lo, exec_lo, s3
	global_load_ushort v1, v[7:8], off offset:768
	v_mov_b32_e32 v78, 0
	v_mov_b32_e32 v77, 0
	s_waitcnt vmcnt(0)
	v_and_b32_e32 v79, 0xffff, v1
	v_cmp_ne_u16_sdwa s2, v1, v2 src0_sel:BYTE_0 src1_sel:DWORD
	s_and_saveexec_b32 s3, s2
	s_cbranch_execz .LBB345_210
; %bb.203:                              ;   in Loop: Header=BB345_10 Depth=1
	v_cmp_ne_u16_sdwa s2, v79, v50 src0_sel:BYTE_0 src1_sel:DWORD
	v_bfrev_b32_e32 v77, 1
	s_and_saveexec_b32 s39, s2
	s_cbranch_execz .LBB345_209
; %bb.204:                              ;   in Loop: Header=BB345_10 Depth=1
	v_and_b32_e32 v80, 0x7f, v79
	v_mov_b32_e32 v77, 0x7f800001
	s_mov_b32 s40, exec_lo
	v_cmpx_ne_u32_e32 0x7f, v80
	s_cbranch_execz .LBB345_208
; %bb.205:                              ;   in Loop: Header=BB345_10 Depth=1
	v_and_b32_e32 v1, 7, v79
	v_lshrrev_b32_e32 v77, 3, v80
	s_mov_b32 s41, exec_lo
	v_cmpx_gt_u32_e32 8, v80
; %bb.206:                              ;   in Loop: Header=BB345_10 Depth=1
	v_ffbh_u32_e32 v77, v1
	v_min_u32_e32 v77, 32, v77
	v_subrev_nc_u32_e32 v80, 28, v77
	v_sub_nc_u32_e32 v77, 29, v77
	v_lshlrev_b64 v[80:81], v80, v[1:2]
	v_and_b32_e32 v1, 7, v80
; %bb.207:                              ;   in Loop: Header=BB345_10 Depth=1
	s_or_b32 exec_lo, exec_lo, s41
	v_lshlrev_b32_e32 v80, 24, v79
	v_lshlrev_b32_e32 v1, 20, v1
	v_lshl_add_u32 v77, v77, 23, 0x3c000000
	v_and_b32_e32 v80, 0x80000000, v80
	v_or3_b32 v77, v1, v80, v77
.LBB345_208:                            ;   in Loop: Header=BB345_10 Depth=1
	s_or_b32 exec_lo, exec_lo, s40
.LBB345_209:                            ;   in Loop: Header=BB345_10 Depth=1
	s_or_b32 exec_lo, exec_lo, s39
.LBB345_210:                            ;   in Loop: Header=BB345_10 Depth=1
	s_or_b32 exec_lo, exec_lo, s3
	v_cmp_ne_u16_sdwa s2, v79, v2 src0_sel:BYTE_1 src1_sel:DWORD
	s_and_saveexec_b32 s3, s2
	s_cbranch_execz .LBB345_218
; %bb.211:                              ;   in Loop: Header=BB345_10 Depth=1
	v_cmp_ne_u16_sdwa s2, v79, v50 src0_sel:BYTE_1 src1_sel:DWORD
	v_bfrev_b32_e32 v78, 1
	s_and_saveexec_b32 s39, s2
	s_cbranch_execz .LBB345_217
; %bb.212:                              ;   in Loop: Header=BB345_10 Depth=1
	v_and_b32_sdwa v1, v51, v79 dst_sel:DWORD dst_unused:UNUSED_PAD src0_sel:DWORD src1_sel:BYTE_1
	v_mov_b32_e32 v78, 0x7f800001
	s_mov_b32 s40, exec_lo
	v_and_b32_e32 v80, 0x7f, v1
	v_cmpx_ne_u32_e32 0x7f, v80
	s_cbranch_execz .LBB345_216
; %bb.213:                              ;   in Loop: Header=BB345_10 Depth=1
	v_and_b32_e32 v1, 7, v1
	v_lshrrev_b32_e32 v78, 3, v80
	s_mov_b32 s41, exec_lo
	v_cmpx_gt_u32_e32 8, v80
; %bb.214:                              ;   in Loop: Header=BB345_10 Depth=1
	v_ffbh_u32_e32 v78, v1
	v_min_u32_e32 v78, 32, v78
	v_subrev_nc_u32_e32 v80, 28, v78
	v_sub_nc_u32_e32 v78, 29, v78
	v_lshlrev_b64 v[80:81], v80, v[1:2]
	v_and_b32_e32 v1, 7, v80
; %bb.215:                              ;   in Loop: Header=BB345_10 Depth=1
	s_or_b32 exec_lo, exec_lo, s41
	v_lshlrev_b32_e32 v79, 16, v79
	v_lshlrev_b32_e32 v1, 20, v1
	v_lshl_add_u32 v78, v78, 23, 0x3c000000
	v_and_b32_e32 v79, 0x80000000, v79
	v_or3_b32 v78, v1, v79, v78
.LBB345_216:                            ;   in Loop: Header=BB345_10 Depth=1
	s_or_b32 exec_lo, exec_lo, s40
.LBB345_217:                            ;   in Loop: Header=BB345_10 Depth=1
	s_or_b32 exec_lo, exec_lo, s39
.LBB345_218:                            ;   in Loop: Header=BB345_10 Depth=1
	s_or_b32 exec_lo, exec_lo, s3
	global_load_ushort v1, v[7:8], off offset:776
	v_mov_b32_e32 v80, 0
	v_mov_b32_e32 v79, 0
	s_waitcnt vmcnt(0)
	v_and_b32_e32 v81, 0xffff, v1
	v_cmp_ne_u16_sdwa s2, v1, v2 src0_sel:BYTE_0 src1_sel:DWORD
	s_and_saveexec_b32 s3, s2
	s_cbranch_execz .LBB345_226
; %bb.219:                              ;   in Loop: Header=BB345_10 Depth=1
	v_cmp_ne_u16_sdwa s2, v81, v50 src0_sel:BYTE_0 src1_sel:DWORD
	v_bfrev_b32_e32 v79, 1
	s_and_saveexec_b32 s39, s2
	s_cbranch_execz .LBB345_225
; %bb.220:                              ;   in Loop: Header=BB345_10 Depth=1
	v_and_b32_e32 v82, 0x7f, v81
	v_mov_b32_e32 v79, 0x7f800001
	s_mov_b32 s40, exec_lo
	v_cmpx_ne_u32_e32 0x7f, v82
	s_cbranch_execz .LBB345_224
; %bb.221:                              ;   in Loop: Header=BB345_10 Depth=1
	v_and_b32_e32 v1, 7, v81
	v_lshrrev_b32_e32 v79, 3, v82
	s_mov_b32 s41, exec_lo
	v_cmpx_gt_u32_e32 8, v82
; %bb.222:                              ;   in Loop: Header=BB345_10 Depth=1
	v_ffbh_u32_e32 v79, v1
	v_min_u32_e32 v79, 32, v79
	v_subrev_nc_u32_e32 v82, 28, v79
	v_sub_nc_u32_e32 v79, 29, v79
	v_lshlrev_b64 v[82:83], v82, v[1:2]
	v_and_b32_e32 v1, 7, v82
; %bb.223:                              ;   in Loop: Header=BB345_10 Depth=1
	s_or_b32 exec_lo, exec_lo, s41
	v_lshlrev_b32_e32 v82, 24, v81
	v_lshlrev_b32_e32 v1, 20, v1
	v_lshl_add_u32 v79, v79, 23, 0x3c000000
	v_and_b32_e32 v82, 0x80000000, v82
	v_or3_b32 v79, v1, v82, v79
.LBB345_224:                            ;   in Loop: Header=BB345_10 Depth=1
	s_or_b32 exec_lo, exec_lo, s40
.LBB345_225:                            ;   in Loop: Header=BB345_10 Depth=1
	s_or_b32 exec_lo, exec_lo, s39
.LBB345_226:                            ;   in Loop: Header=BB345_10 Depth=1
	s_or_b32 exec_lo, exec_lo, s3
	v_cmp_ne_u16_sdwa s2, v81, v2 src0_sel:BYTE_1 src1_sel:DWORD
	s_and_saveexec_b32 s3, s2
	s_cbranch_execz .LBB345_234
; %bb.227:                              ;   in Loop: Header=BB345_10 Depth=1
	v_cmp_ne_u16_sdwa s2, v81, v50 src0_sel:BYTE_1 src1_sel:DWORD
	v_bfrev_b32_e32 v80, 1
	s_and_saveexec_b32 s39, s2
	s_cbranch_execz .LBB345_233
; %bb.228:                              ;   in Loop: Header=BB345_10 Depth=1
	v_and_b32_sdwa v1, v51, v81 dst_sel:DWORD dst_unused:UNUSED_PAD src0_sel:DWORD src1_sel:BYTE_1
	v_mov_b32_e32 v80, 0x7f800001
	s_mov_b32 s40, exec_lo
	v_and_b32_e32 v82, 0x7f, v1
	v_cmpx_ne_u32_e32 0x7f, v82
	s_cbranch_execz .LBB345_232
; %bb.229:                              ;   in Loop: Header=BB345_10 Depth=1
	v_and_b32_e32 v1, 7, v1
	v_lshrrev_b32_e32 v80, 3, v82
	s_mov_b32 s41, exec_lo
	v_cmpx_gt_u32_e32 8, v82
; %bb.230:                              ;   in Loop: Header=BB345_10 Depth=1
	v_ffbh_u32_e32 v80, v1
	v_min_u32_e32 v80, 32, v80
	v_subrev_nc_u32_e32 v82, 28, v80
	v_sub_nc_u32_e32 v80, 29, v80
	v_lshlrev_b64 v[82:83], v82, v[1:2]
	v_and_b32_e32 v1, 7, v82
; %bb.231:                              ;   in Loop: Header=BB345_10 Depth=1
	s_or_b32 exec_lo, exec_lo, s41
	v_lshlrev_b32_e32 v81, 16, v81
	v_lshlrev_b32_e32 v1, 20, v1
	v_lshl_add_u32 v80, v80, 23, 0x3c000000
	v_and_b32_e32 v81, 0x80000000, v81
	v_or3_b32 v80, v1, v81, v80
.LBB345_232:                            ;   in Loop: Header=BB345_10 Depth=1
	s_or_b32 exec_lo, exec_lo, s40
.LBB345_233:                            ;   in Loop: Header=BB345_10 Depth=1
	s_or_b32 exec_lo, exec_lo, s39
.LBB345_234:                            ;   in Loop: Header=BB345_10 Depth=1
	s_or_b32 exec_lo, exec_lo, s3
	global_load_ushort v1, v[7:8], off offset:896
	v_mov_b32_e32 v7, 0
	v_mov_b32_e32 v81, 0
	s_waitcnt vmcnt(0)
	v_and_b32_e32 v8, 0xffff, v1
	v_cmp_ne_u16_sdwa s2, v1, v2 src0_sel:BYTE_0 src1_sel:DWORD
	s_and_saveexec_b32 s3, s2
	s_cbranch_execz .LBB345_242
; %bb.235:                              ;   in Loop: Header=BB345_10 Depth=1
	v_cmp_ne_u16_sdwa s2, v8, v50 src0_sel:BYTE_0 src1_sel:DWORD
	v_bfrev_b32_e32 v81, 1
	s_and_saveexec_b32 s39, s2
	s_cbranch_execz .LBB345_241
; %bb.236:                              ;   in Loop: Header=BB345_10 Depth=1
	v_and_b32_e32 v82, 0x7f, v8
	v_mov_b32_e32 v81, 0x7f800001
	s_mov_b32 s40, exec_lo
	v_cmpx_ne_u32_e32 0x7f, v82
	s_cbranch_execz .LBB345_240
; %bb.237:                              ;   in Loop: Header=BB345_10 Depth=1
	v_and_b32_e32 v1, 7, v8
	v_lshrrev_b32_e32 v81, 3, v82
	s_mov_b32 s41, exec_lo
	v_cmpx_gt_u32_e32 8, v82
; %bb.238:                              ;   in Loop: Header=BB345_10 Depth=1
	v_ffbh_u32_e32 v81, v1
	v_min_u32_e32 v81, 32, v81
	v_subrev_nc_u32_e32 v82, 28, v81
	v_sub_nc_u32_e32 v81, 29, v81
	v_lshlrev_b64 v[82:83], v82, v[1:2]
	v_and_b32_e32 v1, 7, v82
; %bb.239:                              ;   in Loop: Header=BB345_10 Depth=1
	s_or_b32 exec_lo, exec_lo, s41
	v_lshlrev_b32_e32 v82, 24, v8
	v_lshlrev_b32_e32 v1, 20, v1
	v_lshl_add_u32 v81, v81, 23, 0x3c000000
	v_and_b32_e32 v82, 0x80000000, v82
	v_or3_b32 v81, v1, v82, v81
.LBB345_240:                            ;   in Loop: Header=BB345_10 Depth=1
	s_or_b32 exec_lo, exec_lo, s40
.LBB345_241:                            ;   in Loop: Header=BB345_10 Depth=1
	s_or_b32 exec_lo, exec_lo, s39
.LBB345_242:                            ;   in Loop: Header=BB345_10 Depth=1
	s_or_b32 exec_lo, exec_lo, s3
	v_cmp_ne_u16_sdwa s2, v8, v2 src0_sel:BYTE_1 src1_sel:DWORD
	s_and_saveexec_b32 s3, s2
	s_cbranch_execz .LBB345_250
; %bb.243:                              ;   in Loop: Header=BB345_10 Depth=1
	v_cmp_ne_u16_sdwa s2, v8, v50 src0_sel:BYTE_1 src1_sel:DWORD
	v_bfrev_b32_e32 v7, 1
	s_and_saveexec_b32 s39, s2
	s_cbranch_execz .LBB345_249
; %bb.244:                              ;   in Loop: Header=BB345_10 Depth=1
	v_and_b32_sdwa v1, v51, v8 dst_sel:DWORD dst_unused:UNUSED_PAD src0_sel:DWORD src1_sel:BYTE_1
	v_mov_b32_e32 v7, 0x7f800001
	s_mov_b32 s40, exec_lo
	v_and_b32_e32 v82, 0x7f, v1
	v_cmpx_ne_u32_e32 0x7f, v82
	s_cbranch_execz .LBB345_248
; %bb.245:                              ;   in Loop: Header=BB345_10 Depth=1
	v_and_b32_e32 v1, 7, v1
	v_lshrrev_b32_e32 v7, 3, v82
	s_mov_b32 s41, exec_lo
	v_cmpx_gt_u32_e32 8, v82
; %bb.246:                              ;   in Loop: Header=BB345_10 Depth=1
	v_ffbh_u32_e32 v7, v1
	v_min_u32_e32 v7, 32, v7
	v_subrev_nc_u32_e32 v82, 28, v7
	v_sub_nc_u32_e32 v7, 29, v7
	v_lshlrev_b64 v[82:83], v82, v[1:2]
	v_and_b32_e32 v1, 7, v82
; %bb.247:                              ;   in Loop: Header=BB345_10 Depth=1
	s_or_b32 exec_lo, exec_lo, s41
	v_lshlrev_b32_e32 v8, 16, v8
	v_lshlrev_b32_e32 v1, 20, v1
	v_lshl_add_u32 v7, v7, 23, 0x3c000000
	v_and_b32_e32 v8, 0x80000000, v8
	v_or3_b32 v7, v1, v8, v7
.LBB345_248:                            ;   in Loop: Header=BB345_10 Depth=1
	s_or_b32 exec_lo, exec_lo, s40
.LBB345_249:                            ;   in Loop: Header=BB345_10 Depth=1
	s_or_b32 exec_lo, exec_lo, s39
.LBB345_250:                            ;   in Loop: Header=BB345_10 Depth=1
	s_or_b32 exec_lo, exec_lo, s3
	v_mul_f32_e32 v80, s4, v80
	v_mul_f32_e32 v8, s4, v79
	;; [unrolled: 1-line block ×5, first 2 shown]
	v_bfe_u32 v78, v80, 16, 1
	v_or_b32_e32 v83, 0x400000, v80
	v_bfe_u32 v86, v79, 16, 1
	v_cmp_u_f32_e64 s2, v80, v80
	v_bfe_u32 v87, v85, 16, 1
	v_add3_u32 v84, v78, v80, 0x7fff
	v_mul_f32_e32 v72, s4, v72
	v_bfe_u32 v91, v89, 16, 1
	v_or_b32_e32 v92, 0x400000, v89
	v_mul_f32_e32 v94, s4, v70
	v_cndmask_b32_e64 v80, v84, v83, s2
	v_mul_f32_e32 v83, s4, v76
	v_add3_u32 v76, v86, v79, 0x7fff
	v_add3_u32 v86, v87, v85, 0x7fff
	v_or_b32_e32 v87, 0x400000, v85
	v_cmp_u_f32_e64 s2, v85, v85
	v_bfe_u32 v93, v72, 16, 1
	v_add3_u32 v91, v91, v89, 0x7fff
	v_bfe_u32 v95, v94, 16, 1
	v_mul_f32_e32 v100, s4, v66
	v_cndmask_b32_e64 v74, v86, v87, s2
	v_cmp_u_f32_e64 s2, v89, v89
	v_add3_u32 v89, v93, v72, 0x7fff
	v_mul_f32_e32 v93, s4, v68
	v_add3_u32 v95, v95, v94, 0x7fff
	v_or_b32_e32 v97, 0x400000, v94
	v_cndmask_b32_e64 v70, v91, v92, s2
	v_cmp_u_f32_e64 s2, v94, v94
	v_bfe_u32 v99, v93, 16, 1
	v_mul_f32_e32 v62, s4, v62
	v_mul_f32_e32 v96, s4, v67
	;; [unrolled: 1-line block ×3, first 2 shown]
	v_cndmask_b32_e64 v67, v95, v97, s2
	v_add3_u32 v94, v99, v93, 0x7fff
	v_bfe_u32 v99, v100, 16, 1
	v_or_b32_e32 v101, 0x400000, v100
	v_bfe_u32 v102, v62, 16, 1
	v_cmp_u_f32_e64 s2, v100, v100
	v_bfe_u32 v104, v58, 16, 1
	v_add3_u32 v99, v99, v100, 0x7fff
	v_mul_f32_e32 v56, s4, v56
	v_add3_u32 v100, v102, v62, 0x7fff
	v_mul_f32_e32 v55, s4, v55
	v_add3_u32 v102, v104, v58, 0x7fff
	v_cndmask_b32_e64 v99, v99, v101, s2
	v_or_b32_e32 v101, 0x400000, v62
	v_cmp_u_f32_e64 s2, v62, v62
	v_or_b32_e32 v104, 0x400000, v58
	v_bfe_u32 v105, v56, 16, 1
	v_mul_f32_e32 v53, s4, v53
	v_mul_f32_e32 v54, s4, v54
	v_cndmask_b32_e64 v62, v100, v101, s2
	v_cmp_u_f32_e64 s2, v58, v58
	v_bfe_u32 v100, v55, 16, 1
	v_add3_u32 v101, v105, v56, 0x7fff
	v_bfe_u32 v105, v54, 16, 1
	v_mul_f32_e32 v57, s4, v57
	v_cndmask_b32_e64 v58, v102, v104, s2
	v_or_b32_e32 v102, 0x400000, v56
	v_cmp_u_f32_e64 s2, v56, v56
	v_add3_u32 v100, v100, v55, 0x7fff
	v_or_b32_e32 v104, 0x400000, v55
	v_mul_f32_e32 v60, s4, v60
	v_or_b32_e32 v106, 0x400000, v57
	v_cndmask_b32_e64 v56, v101, v102, s2
	v_bfe_u32 v101, v53, 16, 1
	v_cmp_u_f32_e64 s2, v55, v55
	v_add3_u32 v102, v105, v54, 0x7fff
	v_or_b32_e32 v105, 0x400000, v54
	v_mul_f32_e32 v59, s4, v59
	v_add3_u32 v101, v101, v53, 0x7fff
	v_cndmask_b32_e64 v55, v100, v104, s2
	v_or_b32_e32 v104, 0x400000, v53
	v_cmp_u_f32_e64 s2, v53, v53
	v_bfe_u32 v100, v57, 16, 1
	v_and_b32_e32 v56, 0xffff0000, v56
	v_and_b32_e32 v55, 0xffff0000, v55
	v_mul_f32_e32 v61, s4, v61
	v_cndmask_b32_e64 v53, v101, v104, s2
	v_cmp_u_f32_e64 s2, v54, v54
	v_add3_u32 v100, v100, v57, 0x7fff
	v_bfe_u32 v101, v60, 16, 1
	v_or_b32_e32 v104, 0x400000, v60
	v_and_b32_e32 v53, 0xffff0000, v53
	v_cndmask_b32_e64 v54, v102, v105, s2
	v_cmp_u_f32_e64 s2, v57, v57
	v_add3_u32 v101, v101, v60, 0x7fff
	v_mul_f32_e32 v55, v16, v55
	v_mul_f32_e32 v56, v17, v56
	v_and_b32_e32 v54, 0xffff0000, v54
	v_cndmask_b32_e64 v57, v100, v106, s2
	v_cmp_u_f32_e64 s2, v60, v60
	v_mul_f32_e32 v69, s4, v69
	v_mul_f32_e32 v63, s4, v63
	v_fmac_f32_e32 v55, v14, v53
	v_or_b32_e32 v53, 0x400000, v59
	v_cndmask_b32_e64 v60, v101, v104, s2
	v_bfe_u32 v101, v59, 16, 1
	v_fmac_f32_e32 v56, v15, v54
	v_bfe_u32 v54, v61, 16, 1
	v_cmp_u_f32_e64 s2, v59, v59
	v_bfe_u32 v98, v69, 16, 1
	v_add3_u32 v101, v101, v59, 0x7fff
	v_mul_f32_e32 v64, s4, v64
	v_bfe_u32 v100, v63, 16, 1
	v_add3_u32 v54, v54, v61, 0x7fff
	v_add3_u32 v66, v98, v69, 0x7fff
	v_cndmask_b32_e64 v53, v101, v53, s2
	v_or_b32_e32 v101, 0x400000, v61
	v_cmp_u_f32_e64 s2, v61, v61
	v_mul_f32_e32 v98, s4, v65
	v_bfe_u32 v102, v64, 16, 1
	v_add3_u32 v100, v100, v63, 0x7fff
	v_and_b32_e32 v57, 0xffff0000, v57
	v_and_b32_e32 v58, 0xffff0000, v58
	v_or_b32_e32 v59, 0x400000, v63
	v_cndmask_b32_e64 v54, v54, v101, s2
	v_cmp_u_f32_e64 s2, v63, v63
	v_bfe_u32 v103, v98, 16, 1
	v_add3_u32 v102, v102, v64, 0x7fff
	v_or_b32_e32 v104, 0x400000, v64
	v_fmac_f32_e32 v55, v18, v57
	v_fmac_f32_e32 v56, v19, v58
	v_and_b32_e32 v57, 0xffff0000, v60
	v_cndmask_b32_e64 v58, v100, v59, s2
	v_cmp_u_f32_e64 s2, v64, v64
	v_mul_f32_e32 v84, s4, v75
	v_bfe_u32 v97, v96, 16, 1
	v_add3_u32 v103, v103, v98, 0x7fff
	v_and_b32_e32 v53, 0xffff0000, v53
	v_fmac_f32_e32 v55, v20, v57
	v_and_b32_e32 v54, 0xffff0000, v54
	v_cndmask_b32_e64 v57, v102, v104, s2
	v_or_b32_e32 v59, 0x400000, v98
	v_cmp_u_f32_e64 s2, v98, v98
	v_bfe_u32 v90, v84, 16, 1
	v_add3_u32 v97, v97, v96, 0x7fff
	v_or_b32_e32 v65, 0x400000, v96
	v_fmac_f32_e32 v56, v21, v53
	v_and_b32_e32 v53, 0xffff0000, v62
	v_fmac_f32_e32 v55, v23, v54
	v_and_b32_e32 v54, 0xffff0000, v57
	v_cndmask_b32_e64 v57, v103, v59, s2
	v_cmp_u_f32_e64 s2, v96, v96
	v_add3_u32 v87, v90, v84, 0x7fff
	v_mul_f32_e32 v90, s4, v71
	v_or_b32_e32 v95, 0x400000, v93
	v_fmac_f32_e32 v56, v24, v53
	v_and_b32_e32 v53, 0xffff0000, v58
	v_cndmask_b32_e64 v58, v97, v65, s2
	v_cmp_u_f32_e64 s2, v93, v93
	v_bfe_u32 v88, v83, 16, 1
	v_bfe_u32 v92, v90, 16, 1
	v_fmac_f32_e32 v55, v25, v53
	v_fmac_f32_e32 v56, v26, v54
	v_and_b32_e32 v53, 0xffff0000, v57
	v_and_b32_e32 v54, 0xffff0000, v99
	v_cndmask_b32_e64 v57, v94, v95, s2
	v_or_b32_e32 v59, 0x400000, v69
	v_cmp_u_f32_e64 s2, v69, v69
	v_add3_u32 v85, v88, v83, 0x7fff
	v_mul_f32_e32 v88, s4, v73
	v_add3_u32 v92, v92, v90, 0x7fff
	v_or_b32_e32 v68, 0x400000, v90
	v_fmac_f32_e32 v56, v28, v54
	v_cndmask_b32_e64 v54, v66, v59, s2
	v_cmp_u_f32_e64 s2, v90, v90
	v_bfe_u32 v71, v88, 16, 1
	v_or_b32_e32 v91, 0x400000, v72
	v_fmac_f32_e32 v55, v27, v53
	v_and_b32_e32 v53, 0xffff0000, v58
	v_and_b32_e32 v57, 0xffff0000, v57
	v_cndmask_b32_e64 v58, v92, v68, s2
	v_cmp_u_f32_e64 s2, v72, v72
	v_add3_u32 v71, v71, v88, 0x7fff
	v_fmac_f32_e32 v55, v29, v53
	v_and_b32_e32 v53, 0xffff0000, v54
	v_fmac_f32_e32 v56, v30, v57
	v_and_b32_e32 v54, 0xffff0000, v67
	v_cndmask_b32_e64 v57, v89, v91, s2
	v_or_b32_e32 v59, 0x400000, v88
	v_cmp_u_f32_e64 s2, v88, v88
	v_or_b32_e32 v73, 0x400000, v84
	v_fmac_f32_e32 v56, v32, v54
	v_and_b32_e32 v54, 0xffff0000, v57
	v_mul_f32_e32 v1, s4, v81
	v_cndmask_b32_e64 v57, v71, v59, s2
	v_cmp_u_f32_e64 s2, v84, v84
	v_or_b32_e32 v86, 0x400000, v83
	v_fmac_f32_e32 v55, v31, v53
	v_and_b32_e32 v53, 0xffff0000, v58
	v_bfe_u32 v81, v1, 16, 1
	v_cndmask_b32_e64 v58, v87, v73, s2
	v_cmp_u_f32_e64 s2, v83, v83
	v_bfe_u32 v82, v8, 16, 1
	v_or_b32_e32 v75, 0x400000, v79
	v_fmac_f32_e32 v55, v33, v53
	v_fmac_f32_e32 v56, v34, v54
	v_and_b32_e32 v53, 0xffff0000, v57
	v_and_b32_e32 v54, 0xffff0000, v70
	v_cndmask_b32_e64 v57, v85, v86, s2
	v_cmp_u_f32_e64 s2, v79, v79
	v_add3_u32 v78, v81, v1, 0x7fff
	v_add3_u32 v81, v82, v8, 0x7fff
	v_or_b32_e32 v82, 0x400000, v8
	v_mul_f32_e32 v7, s4, v7
	v_fmac_f32_e32 v56, v36, v54
	v_and_b32_e32 v54, 0xffff0000, v57
	v_cndmask_b32_e64 v57, v76, v75, s2
	v_cmp_u_f32_e64 s2, v8, v8
	v_or_b32_e32 v77, 0x400000, v1
	v_fmac_f32_e32 v55, v35, v53
	v_and_b32_e32 v53, 0xffff0000, v58
	v_bfe_u32 v58, v7, 16, 1
	v_cndmask_b32_e64 v8, v81, v82, s2
	v_cmp_u_f32_e64 s2, v1, v1
	v_fmac_f32_e32 v56, v38, v54
	v_fmac_f32_e32 v55, v37, v53
	v_and_b32_e32 v53, 0xffff0000, v74
	v_and_b32_e32 v54, 0xffff0000, v57
	v_add3_u32 v57, v58, v7, 0x7fff
	v_or_b32_e32 v58, 0x400000, v7
	v_cndmask_b32_e64 v1, v78, v77, s2
	v_cmp_u_f32_e64 s2, v7, v7
	v_fmac_f32_e32 v55, v39, v53
	v_fmac_f32_e32 v56, v40, v54
	v_and_b32_e32 v8, 0xffff0000, v8
	v_and_b32_e32 v53, 0xffff0000, v80
	v_cndmask_b32_e64 v7, v57, v58, s2
	v_and_b32_e32 v1, 0xffff0000, v1
	v_fmac_f32_e32 v55, v41, v8
	v_fmac_f32_e32 v56, v42, v53
	v_and_b32_e32 v7, 0xffff0000, v7
	v_fmac_f32_e32 v55, v44, v1
	v_fmac_f32_e32 v56, v45, v7
	v_add_f32_e32 v1, v55, v56
	ds_bpermute_b32 v7, v46, v1
	s_waitcnt lgkmcnt(0)
	v_add_f32_e32 v1, v1, v7
	ds_bpermute_b32 v7, v47, v1
	s_and_saveexec_b32 s3, vcc_lo
	s_cbranch_execz .LBB345_9
; %bb.251:                              ;   in Loop: Header=BB345_10 Depth=1
	v_add_nc_u32_e32 v8, s5, v48
	s_waitcnt lgkmcnt(0)
	v_add_f32_e32 v1, v1, v7
	v_cmp_gt_i32_e64 s2, s27, v48
	v_cvt_f32_i32_e32 v8, v8
	v_mul_f32_e32 v8, s36, v8
	v_cndmask_b32_e64 v7, 0, v8, s1
	v_max_f32_e32 v8, v43, v43
	v_fmac_f32_e32 v7, s37, v1
	v_max_f32_e32 v1, v8, v7
	v_cndmask_b32_e64 v7, 0, v7, s2
	v_cndmask_b32_e64 v43, v43, v1, s2
	ds_write_b32 v49, v7
	s_branch .LBB345_9
.LBB345_252:
	s_or_b32 exec_lo, exec_lo, s16
.LBB345_253:
	s_or_b32 exec_lo, exec_lo, s38
	v_xor_b32_e32 v1, 16, v11
	v_xor_b32_e32 v4, 8, v11
	v_max_f32_e32 v5, v43, v43
	v_xor_b32_e32 v6, 4, v11
	v_and_b32_e32 v23, 31, v0
	v_cmp_lt_i32_e32 vcc_lo, v1, v13
	v_cndmask_b32_e32 v1, v11, v1, vcc_lo
	v_cmp_lt_i32_e32 vcc_lo, v4, v13
	v_lshlrev_b32_e32 v3, 2, v1
	v_cndmask_b32_e32 v4, v11, v4, vcc_lo
	v_cmp_lt_i32_e32 vcc_lo, v6, v13
	ds_bpermute_b32 v1, v3, v43
	v_lshlrev_b32_e32 v4, 2, v4
	v_cndmask_b32_e32 v6, v11, v6, vcc_lo
	v_cmp_eq_u32_e32 vcc_lo, 0, v23
	s_waitcnt lgkmcnt(0)
	v_lshlrev_b32_e32 v7, 2, v6
	v_max_f32_e32 v1, v1, v1
	v_max_f32_e32 v1, v5, v1
	ds_bpermute_b32 v5, v4, v1
	s_waitcnt lgkmcnt(0)
	v_max_f32_e32 v5, v5, v5
	v_max_f32_e32 v1, v1, v5
	v_lshlrev_b32_e32 v5, 2, v22
	ds_bpermute_b32 v6, v7, v1
	s_and_saveexec_b32 s1, vcc_lo
	s_cbranch_execz .LBB345_255
; %bb.254:
	s_waitcnt lgkmcnt(0)
	v_max_f32_e32 v6, v6, v6
	v_max_f32_e32 v1, v1, v1
	;; [unrolled: 1-line block ×3, first 2 shown]
	ds_write_b32 v5, v1 offset:240
.LBB345_255:
	s_or_b32 exec_lo, exec_lo, s1
	v_cmp_gt_u32_e64 s1, 4, v23
	v_mov_b32_e32 v1, 0xff7fffff
	s_waitcnt lgkmcnt(0)
	v_lshlrev_b32_e32 v6, 2, v23
	s_barrier
	buffer_gl0_inv
	s_and_saveexec_b32 s2, s1
; %bb.256:
	ds_read_b32 v1, v6 offset:240
; %bb.257:
	s_or_b32 exec_lo, exec_lo, s2
	v_xor_b32_e32 v8, 2, v11
	v_xor_b32_e32 v15, 1, v11
	v_lshlrev_b32_e32 v2, 2, v2
	v_lshl_add_u32 v24, v0, 2, 0x110
	v_cmp_lt_i32_e64 s2, v8, v13
	v_cndmask_b32_e64 v8, v11, v8, s2
	v_cmp_lt_i32_e64 s2, v15, v13
	v_lshlrev_b32_e32 v8, 2, v8
	v_cndmask_b32_e64 v13, v11, v15, s2
	s_sub_i32 s2, s12, s15
	s_lshl_b32 s2, s2, 3
	s_waitcnt lgkmcnt(0)
	ds_bpermute_b32 v14, v8, v1
	v_max_f32_e32 v1, v1, v1
	v_lshlrev_b32_e32 v13, 2, v13
	s_add_i32 s2, s2, s33
	s_min_i32 s2, s2, s27
	s_sub_i32 s4, s2, s33
	v_cmp_gt_i32_e64 s2, s4, v0
	s_waitcnt lgkmcnt(0)
	v_max_f32_e32 v14, v14, v14
	v_max_f32_e32 v1, v1, v14
	ds_bpermute_b32 v14, v13, v1
	s_waitcnt lgkmcnt(0)
	v_max_f32_e32 v14, v14, v14
	v_max_f32_e32 v1, v1, v14
	ds_bpermute_b32 v1, v2, v1
	v_mov_b32_e32 v2, 0
	s_and_saveexec_b32 s5, s2
	s_cbranch_execz .LBB345_261
; %bb.258:
	v_lshl_add_u32 v14, v0, 2, 0x110
	v_mov_b32_e32 v2, 0
	v_mov_b32_e32 v15, v0
	s_mov_b32 s15, 0
	.p2align	6
.LBB345_259:                            ; =>This Inner Loop Header: Depth=1
	ds_read_b32 v16, v14
	v_add_nc_u32_e32 v15, 0x80, v15
	v_cmp_le_i32_e64 s3, s4, v15
	s_or_b32 s15, s3, s15
	s_waitcnt lgkmcnt(0)
	v_sub_f32_e32 v16, v16, v1
	v_mul_f32_e32 v16, 0x3fb8aa3b, v16
	v_exp_f32_e32 v16, v16
	ds_write_b32 v14, v16
	v_add_f32_e32 v2, v2, v16
	v_add_nc_u32_e32 v14, 0x200, v14
	s_andn2_b32 exec_lo, exec_lo, s15
	s_cbranch_execnz .LBB345_259
; %bb.260:
	s_or_b32 exec_lo, exec_lo, s15
.LBB345_261:
	s_or_b32 exec_lo, exec_lo, s5
	ds_bpermute_b32 v3, v3, v2
	s_waitcnt lgkmcnt(0)
	v_add_f32_e32 v2, v2, v3
	ds_bpermute_b32 v3, v4, v2
	s_waitcnt lgkmcnt(0)
	v_add_f32_e32 v2, v2, v3
	;; [unrolled: 3-line block ×5, first 2 shown]
	s_and_saveexec_b32 s3, vcc_lo
; %bb.262:
	ds_write_b32 v5, v2 offset:256
; %bb.263:
	s_or_b32 exec_lo, exec_lo, s3
	s_waitcnt lgkmcnt(0)
	s_barrier
	buffer_gl0_inv
	s_and_saveexec_b32 s3, s1
; %bb.264:
	ds_read_b32 v2, v6 offset:256
; %bb.265:
	s_or_b32 exec_lo, exec_lo, s3
	s_waitcnt lgkmcnt(0)
	ds_bpermute_b32 v3, v8, v2
	v_lshlrev_b32_e32 v4, 2, v11
	s_waitcnt lgkmcnt(0)
	v_add_f32_e32 v2, v2, v3
	ds_bpermute_b32 v3, v13, v2
	s_waitcnt lgkmcnt(0)
	v_add_f32_e32 v2, v2, v3
	v_and_b32_e32 v3, 0xffffff80, v4
	ds_bpermute_b32 v2, v3, v2
	s_and_saveexec_b32 s1, s2
	s_cbranch_execz .LBB345_268
; %bb.266:
	s_waitcnt lgkmcnt(0)
	v_add_f32_e32 v4, 0x358637bd, v2
	s_mov_b32 s2, 0
	v_div_scale_f32 v3, null, v4, v4, 1.0
	v_div_scale_f32 v7, vcc_lo, 1.0, v4, 1.0
	v_rcp_f32_e32 v5, v3
	v_fma_f32 v6, -v3, v5, 1.0
	v_fmac_f32_e32 v5, v6, v5
	v_mul_f32_e32 v6, v7, v5
	v_fma_f32 v8, -v3, v6, v7
	v_fmac_f32_e32 v6, v8, v5
	v_fma_f32 v3, -v3, v6, v7
	v_div_fmas_f32 v5, v3, v5, v6
	v_mov_b32_e32 v3, v24
	v_div_fixup_f32 v4, v5, v4, 1.0
	v_mov_b32_e32 v5, v0
.LBB345_267:                            ; =>This Inner Loop Header: Depth=1
	ds_read_b32 v6, v3
	v_add_nc_u32_e32 v5, 0x80, v5
	v_cmp_le_i32_e32 vcc_lo, s4, v5
	s_or_b32 s2, vcc_lo, s2
	s_waitcnt lgkmcnt(0)
	v_mul_f32_e32 v6, v4, v6
	ds_write_b32 v3, v6
	v_add_nc_u32_e32 v3, 0x200, v3
	s_andn2_b32 exec_lo, exec_lo, s2
	s_cbranch_execnz .LBB345_267
.LBB345_268:
	s_or_b32 exec_lo, exec_lo, s1
	s_mul_i32 s1, s11, s26
	s_waitcnt lgkmcnt(0)
	s_mul_i32 s2, s1, s9
	s_mov_b32 s1, exec_lo
	s_barrier
	buffer_gl0_inv
	v_cmpx_eq_u32_e32 0, v0
	s_cbranch_execz .LBB345_270
; %bb.269:
	s_ashr_i32 s3, s2, 31
	s_mul_i32 s16, s11, s6
	s_lshl_b64 s[4:5], s[2:3], 2
	v_mov_b32_e32 v3, 0
	s_add_u32 s3, s22, s4
	s_addc_u32 s6, s23, s5
	s_ashr_i32 s17, s16, 31
	s_lshl_b64 s[16:17], s[16:17], 2
	s_add_u32 s3, s3, s16
	s_addc_u32 s6, s6, s17
	s_ashr_i32 s9, s8, 31
	s_lshl_b64 s[22:23], s[8:9], 2
	s_add_u32 s36, s3, s22
	s_addc_u32 s37, s6, s23
	s_add_u32 s3, s20, s4
	s_addc_u32 s4, s21, s5
	;; [unrolled: 2-line block ×4, first 2 shown]
	global_store_dword v3, v1, s[36:37]
	global_store_dword v3, v2, s[4:5]
.LBB345_270:
	s_or_b32 exec_lo, exec_lo, s1
	v_mov_b32_e32 v28, 0
	v_mov_b32_e32 v27, 0
	;; [unrolled: 1-line block ×4, first 2 shown]
	s_and_saveexec_b32 s3, s0
	s_cbranch_execz .LBB345_524
; %bb.271:
	s_ashr_i32 s0, s14, 31
	s_add_u32 s4, s34, s14
	s_load_dword s14, s[18:19], 0x0
	v_or_b32_e32 v1, 0x60, v23
	s_addc_u32 s5, s35, s0
	s_lshl_b64 s[0:1], s[30:31], 2
	s_mov_b32 s9, s13
	s_add_i32 s13, s7, -1
	v_cmp_gt_u32_e32 vcc_lo, 0x78, v1
	v_lshlrev_b32_e32 v30, 3, v1
	v_lshlrev_b64 v[1:2], 2, v[9:10]
	s_add_u32 s0, s28, s0
	v_add3_u32 v31, s33, v12, 7
	s_addc_u32 s1, s29, s1
	v_lshlrev_b32_e32 v29, 3, v23
	v_mov_b32_e32 v11, 0
	v_add_co_u32 v12, s0, s0, v1
	v_lshl_add_u32 v32, v22, 5, 0x110
	v_add_co_ci_u32_e64 v13, null, s1, v2, s0
	v_mov_b32_e32 v33, 0x80
	v_mov_b32_e32 v34, 0xffff
	;; [unrolled: 1-line block ×9, first 2 shown]
	s_mov_b32 s6, -1
	s_mov_b32 s7, 0xffffff
	s_mov_b32 s15, 0
	s_branch .LBB345_274
.LBB345_272:                            ;   in Loop: Header=BB345_274 Depth=1
	s_or_b32 exec_lo, exec_lo, s1
	v_and_b32_e32 v46, 0xffff0000, v8
	v_lshlrev_b32_e32 v57, 16, v57
	v_lshlrev_b32_e32 v58, 16, v8
	;; [unrolled: 1-line block ×3, first 2 shown]
	v_and_b32_e32 v59, 0xffff0000, v7
	v_lshlrev_b32_e32 v10, 16, v10
	v_mul_f32_e32 v46, v46, v57
	v_lshlrev_b32_e32 v57, 16, v7
	v_lshlrev_b32_e32 v14, 16, v14
	v_mul_f32_e32 v15, v58, v15
	v_mul_f32_e32 v10, v59, v10
	v_bfe_u32 v58, v46, 16, 1
	v_or_b32_e32 v59, 0x400000, v46
	v_mul_f32_e32 v14, v57, v14
	v_bfe_u32 v57, v15, 16, 1
	v_cmp_u_f32_e64 s0, v46, v46
	v_add3_u32 v58, v58, v46, 0x7fff
	v_or_b32_e32 v60, 0x400000, v15
	v_bfe_u32 v61, v10, 16, 1
	v_add3_u32 v57, v57, v15, 0x7fff
	v_lshlrev_b32_e32 v2, 16, v2
	v_cndmask_b32_e64 v46, v58, v59, s0
	v_and_b32_e32 v58, 0xffff0000, v6
	v_cmp_u_f32_e64 s0, v15, v15
	v_or_b32_e32 v59, 0x400000, v10
	v_lshlrev_b32_e32 v1, 16, v1
	v_lshlrev_b32_e32 v4, 16, v4
	v_mul_f32_e32 v2, v58, v2
	v_cndmask_b32_e64 v15, v57, v60, s0
	v_add3_u32 v57, v61, v10, 0x7fff
	v_bfe_u32 v60, v14, 16, 1
	v_lshlrev_b32_e32 v58, 16, v6
	v_cmp_u_f32_e64 s0, v10, v10
	v_lshlrev_b32_e32 v61, 16, v5
	v_lshlrev_b32_e32 v3, 16, v3
	v_and_b32_e32 v15, 0xffff0000, v15
	v_mul_f32_e32 v1, v58, v1
	v_cndmask_b32_e64 v10, v57, v59, s0
	v_add3_u32 v57, v60, v14, 0x7fff
	v_or_b32_e32 v59, 0x400000, v14
	v_bfe_u32 v60, v2, 16, 1
	v_and_b32_e32 v58, 0xffff0000, v5
	v_cmp_u_f32_e64 s0, v14, v14
	v_mul_f32_e32 v3, v61, v3
	v_and_b32_e32 v46, 0xffff0000, v46
	v_and_b32_e32 v10, 0xffff0000, v10
	v_mul_f32_e32 v4, v58, v4
	v_cndmask_b32_e64 v14, v57, v59, s0
	v_bfe_u32 v57, v1, 16, 1
	v_add3_u32 v59, v60, v2, 0x7fff
	v_or_b32_e32 v58, 0x400000, v2
	v_cmp_u_f32_e64 s0, v2, v2
	v_or_b32_e32 v60, 0x400000, v1
	v_add3_u32 v57, v57, v1, 0x7fff
	v_bfe_u32 v62, v3, 16, 1
	v_bfe_u32 v61, v4, 16, 1
	v_cndmask_b32_e64 v2, v59, v58, s0
	v_cmp_u_f32_e64 s0, v1, v1
	v_or_b32_e32 v59, 0x400000, v3
	v_add3_u32 v58, v62, v3, 0x7fff
	v_and_b32_e32 v14, 0xffff0000, v14
	v_add_f32_e32 v15, v15, v46
	v_cndmask_b32_e64 v1, v57, v60, s0
	v_cmp_u_f32_e64 s0, v3, v3
	v_add3_u32 v57, v61, v4, 0x7fff
	v_or_b32_e32 v60, 0x400000, v4
	v_add_f32_e32 v10, v14, v10
	v_and_b32_e32 v1, 0xffff0000, v1
	v_cndmask_b32_e64 v3, v58, v59, s0
	v_cmp_u_f32_e64 s0, v4, v4
	v_and_b32_e32 v2, 0xffff0000, v2
	v_add_f32_e32 v10, v10, v15
	v_cndmask_b32_e64 v4, v57, v60, s0
	v_add_f32_e32 v1, v1, v2
	v_and_b32_e32 v2, 0xffff0000, v3
	v_and_b32_e32 v3, 0xffff0000, v4
	v_add_f32_e32 v1, v1, v10
	v_add_f32_e32 v2, v2, v3
	;; [unrolled: 1-line block ×4, first 2 shown]
.LBB345_273:                            ;   in Loop: Header=BB345_274 Depth=1
	s_or_b32 exec_lo, exec_lo, s16
	v_and_b32_e32 v1, 0xffff0000, v8
	v_lshlrev_b32_e32 v2, 16, v56
	v_lshlrev_b32_e32 v3, 16, v8
	;; [unrolled: 1-line block ×3, first 2 shown]
	v_and_b32_e32 v8, 0xffff0000, v7
	v_lshlrev_b32_e32 v10, 16, v53
	v_mul_f32_e32 v2, v1, v2
	v_lshlrev_b32_e32 v7, 16, v7
	v_mul_f32_e32 v4, v3, v4
	v_lshlrev_b32_e32 v14, 16, v54
	v_and_b32_e32 v46, 0xffff0000, v6
	v_bfe_u32 v15, v2, 16, 1
	v_lshlrev_b32_e32 v17, 16, v17
	v_bfe_u32 v53, v4, 16, 1
	v_or_b32_e32 v54, 0x400000, v2
	v_mul_f32_e32 v10, v8, v10
	v_add3_u32 v15, v15, v2, 0x7fff
	v_cmp_u_f32_e64 s0, v2, v2
	v_or_b32_e32 v55, 0x400000, v4
	v_add3_u32 v53, v53, v4, 0x7fff
	v_mul_f32_e32 v14, v7, v14
	v_mul_f32_e32 v17, v46, v17
	v_cndmask_b32_e64 v2, v15, v54, s0
	v_bfe_u32 v15, v10, 16, 1
	v_cmp_u_f32_e64 s0, v4, v4
	v_bfe_u32 v54, v14, 16, 1
	v_lshlrev_b32_e32 v6, 16, v6
	v_lshlrev_b32_e32 v16, 16, v16
	v_add3_u32 v15, v15, v10, 0x7fff
	v_cndmask_b32_e64 v4, v53, v55, s0
	v_or_b32_e32 v53, 0x400000, v10
	v_bfe_u32 v55, v17, 16, 1
	v_cmp_u_f32_e64 s0, v10, v10
	v_mul_f32_e32 v16, v6, v16
	v_lshlrev_b32_e32 v19, 16, v19
	v_or_b32_e32 v56, 0x400000, v17
	v_lshlrev_b32_e32 v18, 16, v18
	v_cndmask_b32_e64 v10, v15, v53, s0
	v_add3_u32 v15, v54, v14, 0x7fff
	v_or_b32_e32 v53, 0x400000, v14
	v_add3_u32 v54, v55, v17, 0x7fff
	v_and_b32_e32 v55, 0xffff0000, v5
	v_cmp_u_f32_e64 s0, v14, v14
	v_bfe_u32 v57, v16, 16, 1
	v_lshlrev_b32_e32 v5, 16, v5
	v_and_b32_e32 v4, 0xffff0000, v4
	v_and_b32_e32 v2, 0xffff0000, v2
	v_cndmask_b32_e64 v14, v15, v53, s0
	v_mul_f32_e32 v15, v55, v19
	v_cmp_u_f32_e64 s0, v17, v17
	v_add3_u32 v19, v57, v16, 0x7fff
	v_or_b32_e32 v53, 0x400000, v16
	v_mul_f32_e32 v18, v5, v18
	v_and_b32_e32 v14, 0xffff0000, v14
	v_cndmask_b32_e64 v17, v54, v56, s0
	v_bfe_u32 v54, v15, 16, 1
	v_cmp_u_f32_e64 s0, v16, v16
	v_and_b32_e32 v10, 0xffff0000, v10
	v_add_f32_e32 v2, v4, v2
	v_lshlrev_b32_e32 v21, 16, v21
	v_lshlrev_b32_e32 v20, 16, v20
	v_cndmask_b32_e64 v16, v19, v53, s0
	v_add3_u32 v19, v54, v15, 0x7fff
	v_or_b32_e32 v53, 0x400000, v15
	v_cmp_u_f32_e64 s0, v15, v15
	v_add_f32_e32 v4, v14, v10
	v_lshlrev_b32_e32 v14, 16, v52
	v_and_b32_e32 v10, 0xffff0000, v16
	v_and_b32_e32 v16, 0xffff0000, v17
	v_cndmask_b32_e64 v15, v19, v53, s0
	v_bfe_u32 v19, v18, 16, 1
	v_add_f32_e32 v2, v4, v2
	v_mul_f32_e32 v4, v1, v14
	v_cmp_u_f32_e64 s0, v18, v18
	v_add_f32_e32 v10, v10, v16
	v_add3_u32 v17, v19, v18, 0x7fff
	v_or_b32_e32 v19, 0x400000, v18
	v_lshlrev_b32_e32 v16, 16, v51
	v_or_b32_e32 v18, 0x400000, v4
	v_add_f32_e32 v2, v10, v2
	v_lshlrev_b32_e32 v10, 16, v48
	v_cndmask_b32_e64 v14, v17, v19, s0
	v_bfe_u32 v17, v4, 16, 1
	v_mul_f32_e32 v16, v3, v16
	v_cmp_u_f32_e64 s0, v4, v4
	v_mul_f32_e32 v10, v8, v10
	v_mul_f32_e32 v21, v46, v21
	v_add3_u32 v17, v17, v4, 0x7fff
	v_bfe_u32 v19, v16, 16, 1
	v_or_b32_e32 v48, 0x400000, v16
	v_mul_f32_e32 v20, v6, v20
	v_lshlrev_b32_e32 v45, 16, v45
	v_cndmask_b32_e64 v4, v17, v18, s0
	v_lshlrev_b32_e32 v18, 16, v50
	v_bfe_u32 v17, v10, 16, 1
	v_add3_u32 v19, v19, v16, 0x7fff
	v_cmp_u_f32_e64 s0, v16, v16
	v_or_b32_e32 v50, 0x400000, v10
	v_mul_f32_e32 v18, v7, v18
	v_add3_u32 v17, v17, v10, 0x7fff
	v_and_b32_e32 v4, 0xffff0000, v4
	v_cndmask_b32_e64 v16, v19, v48, s0
	v_cmp_u_f32_e64 s0, v10, v10
	v_bfe_u32 v19, v18, 16, 1
	v_lshlrev_b32_e32 v48, 16, v49
	v_or_b32_e32 v49, 0x400000, v18
	v_and_b32_e32 v16, 0xffff0000, v16
	v_cndmask_b32_e64 v10, v17, v50, s0
	v_bfe_u32 v17, v21, 16, 1
	v_add3_u32 v19, v19, v18, 0x7fff
	v_cmp_u_f32_e64 s0, v18, v18
	v_mul_f32_e32 v48, v55, v48
	v_or_b32_e32 v50, 0x400000, v21
	v_add3_u32 v17, v17, v21, 0x7fff
	v_and_b32_e32 v10, 0xffff0000, v10
	v_cndmask_b32_e64 v18, v19, v49, s0
	v_bfe_u32 v19, v20, 16, 1
	v_cmp_u_f32_e64 s0, v21, v21
	v_lshlrev_b32_e32 v21, 16, v47
	v_bfe_u32 v49, v48, 16, 1
	v_or_b32_e32 v47, 0x400000, v20
	v_add3_u32 v19, v19, v20, 0x7fff
	v_cndmask_b32_e64 v17, v17, v50, s0
	v_mul_f32_e32 v21, v5, v21
	v_cmp_u_f32_e64 s0, v20, v20
	v_add3_u32 v49, v49, v48, 0x7fff
	v_or_b32_e32 v50, 0x400000, v48
	v_and_b32_e32 v18, 0xffff0000, v18
	v_add_f32_e32 v4, v16, v4
	v_cndmask_b32_e64 v19, v19, v47, s0
	v_cmp_u_f32_e64 s0, v48, v48
	v_bfe_u32 v47, v21, 16, 1
	v_or_b32_e32 v48, 0x400000, v21
	v_add_f32_e32 v10, v18, v10
	v_and_b32_e32 v16, 0xffff0000, v19
	v_cndmask_b32_e64 v20, v49, v50, s0
	v_add3_u32 v47, v47, v21, 0x7fff
	v_and_b32_e32 v17, 0xffff0000, v17
	v_mul_f32_e32 v1, v1, v45
	v_lshlrev_b32_e32 v18, 16, v44
	v_cmp_u_f32_e64 s0, v21, v21
	v_add_f32_e32 v4, v10, v4
	v_add_f32_e32 v16, v16, v17
	v_bfe_u32 v10, v1, 16, 1
	v_mul_f32_e32 v3, v3, v18
	v_cndmask_b32_e64 v19, v47, v48, s0
	v_lshlrev_b32_e32 v17, 16, v41
	v_cmp_u_f32_e64 s0, v1, v1
	v_add3_u32 v10, v10, v1, 0x7fff
	v_bfe_u32 v21, v3, 16, 1
	v_and_b32_e32 v18, 0xffff0000, v19
	v_or_b32_e32 v19, 0x400000, v1
	v_mul_f32_e32 v8, v8, v17
	v_lshlrev_b32_e32 v17, 16, v43
	v_and_b32_e32 v14, 0xffff0000, v14
	v_and_b32_e32 v15, 0xffff0000, v15
	v_cndmask_b32_e64 v1, v10, v19, s0
	v_add3_u32 v10, v21, v3, 0x7fff
	v_or_b32_e32 v19, 0x400000, v3
	v_bfe_u32 v21, v8, 16, 1
	v_mul_f32_e32 v7, v7, v17
	v_lshlrev_b32_e32 v17, 16, v38
	v_cmp_u_f32_e64 s0, v3, v3
	v_lshlrev_b32_e32 v38, 16, v39
	v_lshlrev_b32_e32 v39, 16, v40
	v_and_b32_e32 v1, 0xffff0000, v1
	v_mul_f32_e32 v17, v46, v17
	v_cndmask_b32_e64 v3, v10, v19, s0
	v_add3_u32 v10, v21, v8, 0x7fff
	v_or_b32_e32 v19, 0x400000, v8
	v_bfe_u32 v21, v7, 16, 1
	v_cmp_u_f32_e64 s0, v8, v8
	v_mul_f32_e32 v6, v6, v38
	v_lshlrev_b32_e32 v38, 16, v42
	v_mul_f32_e32 v5, v5, v39
	v_and_b32_e32 v3, 0xffff0000, v3
	v_cndmask_b32_e64 v8, v10, v19, s0
	v_add3_u32 v10, v21, v7, 0x7fff
	v_or_b32_e32 v19, 0x400000, v7
	v_bfe_u32 v21, v17, 16, 1
	v_cmp_u_f32_e64 s0, v7, v7
	v_or_b32_e32 v39, 0x400000, v6
	v_bfe_u32 v41, v5, 16, 1
	v_and_b32_e32 v8, 0xffff0000, v8
	v_add_f32_e32 v1, v3, v1
	v_cndmask_b32_e64 v7, v10, v19, s0
	v_bfe_u32 v10, v6, 16, 1
	v_add3_u32 v19, v21, v17, 0x7fff
	v_mul_f32_e32 v21, v55, v38
	v_or_b32_e32 v38, 0x400000, v17
	v_cmp_u_f32_e64 s0, v17, v17
	v_add3_u32 v10, v10, v6, 0x7fff
	v_and_b32_e32 v7, 0xffff0000, v7
	v_bfe_u32 v40, v21, 16, 1
	v_add_f32_e32 v4, v16, v4
	v_cndmask_b32_e64 v17, v19, v38, s0
	v_cmp_u_f32_e64 s0, v6, v6
	v_add3_u32 v19, v41, v5, 0x7fff
	v_or_b32_e32 v38, 0x400000, v5
	v_add_f32_e32 v3, v7, v8
	v_and_b32_e32 v7, 0xffff0000, v17
	v_cndmask_b32_e64 v6, v10, v39, s0
	v_cmp_u_f32_e64 s0, v5, v5
	v_add3_u32 v10, v40, v21, 0x7fff
	v_or_b32_e32 v39, 0x400000, v21
	v_add_f32_e32 v1, v3, v1
	v_and_b32_e32 v6, 0xffff0000, v6
	v_cndmask_b32_e64 v5, v19, v38, s0
	v_cmp_u_f32_e64 s0, v21, v21
	v_add_nc_u32_e32 v9, 4, v9
	v_add_co_u32 v12, s1, v12, 16
	v_add_f32_e32 v3, v6, v7
	v_cndmask_b32_e64 v8, v10, v39, s0
	v_and_b32_e32 v10, 0xffff0000, v20
	v_and_b32_e32 v5, 0xffff0000, v5
	v_add_f32_e32 v7, v14, v15
	v_add_f32_e32 v1, v3, v1
	v_and_b32_e32 v6, 0xffff0000, v8
	v_add_f32_e32 v8, v18, v10
	v_cmp_le_i32_e64 s0, s12, v9
	v_add_f32_e32 v2, v7, v2
	v_add_nc_u32_e32 v31, 32, v31
	v_add_f32_e32 v3, v5, v6
	v_add_f32_e32 v4, v8, v4
	v_add_nc_u32_e32 v32, 0x80, v32
	v_add_f32_e32 v26, v26, v2
	v_add_co_ci_u32_e64 v13, null, 0, v13, s1
	v_add_f32_e32 v1, v3, v1
	v_add_f32_e32 v27, v27, v4
	s_or_b32 s15, s0, s15
	v_add_f32_e32 v28, v28, v1
	s_andn2_b32 exec_lo, exec_lo, s15
	s_cbranch_execz .LBB345_523
.LBB345_274:                            ; =>This Inner Loop Header: Depth=1
	global_load_dword v1, v[12:13], off
	v_mov_b32_e32 v40, 0
	s_waitcnt vmcnt(0)
	v_mad_i64_i32 v[14:15], null, v1, s9, s[4:5]
	v_add_co_u32 v16, s0, v14, v29
	v_add_co_ci_u32_e64 v17, null, 0, v15, s0
	global_load_dwordx2 v[18:19], v[16:17], off
	ds_read2_b64 v[5:8], v32 offset1:1
	ds_read2_b64 v[1:4], v32 offset0:2 offset1:3
	s_waitcnt vmcnt(0)
	v_cmp_ne_u16_sdwa s0, v18, v11 src0_sel:BYTE_0 src1_sel:DWORD
	s_and_saveexec_b32 s1, s0
	s_cbranch_execz .LBB345_280
; %bb.275:                              ;   in Loop: Header=BB345_274 Depth=1
	v_cmp_ne_u16_sdwa s0, v18, v33 src0_sel:BYTE_0 src1_sel:DWORD
	v_bfrev_b32_e32 v40, 1
	s_and_saveexec_b32 s16, s0
	s_cbranch_execz .LBB345_279
; %bb.276:                              ;   in Loop: Header=BB345_274 Depth=1
	v_and_b32_e32 v10, 0x7f, v18
	v_mov_b32_e32 v40, 0x7f800001
	s_mov_b32 s17, exec_lo
	v_cmpx_ne_u32_e32 0x7f, v10
	s_cbranch_execz .LBB345_278
; %bb.277:                              ;   in Loop: Header=BB345_274 Depth=1
	v_and_b32_e32 v20, 7, v18
	v_lshrrev_b32_e32 v21, 3, v10
	v_cmp_gt_u32_e64 s0, 8, v10
	v_ffbh_u32_e32 v20, v20
	v_min_u32_e32 v20, 32, v20
	v_subrev_nc_u32_e32 v38, 28, v20
	v_sub_nc_u32_e32 v20, 29, v20
	v_cndmask_b32_e64 v10, v21, v20, s0
	v_cndmask_b32_e64 v20, 0, v38, s0
	v_lshl_add_u32 v10, v10, 23, 0x3c000000
	v_lshlrev_b64 v[20:21], v20, v[18:19]
	v_lshlrev_b32_e32 v21, 24, v18
	v_lshlrev_b32_e32 v20, 20, v20
	v_and_b32_e32 v21, 0x80000000, v21
	v_and_b32_e32 v20, 0x700000, v20
	v_or3_b32 v40, v20, v21, v10
.LBB345_278:                            ;   in Loop: Header=BB345_274 Depth=1
	s_or_b32 exec_lo, exec_lo, s17
.LBB345_279:                            ;   in Loop: Header=BB345_274 Depth=1
	s_or_b32 exec_lo, exec_lo, s16
.LBB345_280:                            ;   in Loop: Header=BB345_274 Depth=1
	s_or_b32 exec_lo, exec_lo, s1
	v_cmp_ne_u16_sdwa s0, v18, v11 src0_sel:BYTE_1 src1_sel:DWORD
	v_mov_b32_e32 v38, 0
	v_mov_b32_e32 v39, 0
	s_and_saveexec_b32 s1, s0
	s_cbranch_execz .LBB345_288
; %bb.281:                              ;   in Loop: Header=BB345_274 Depth=1
	v_cmp_ne_u16_sdwa s0, v18, v33 src0_sel:BYTE_1 src1_sel:DWORD
	v_bfrev_b32_e32 v39, 1
	s_and_saveexec_b32 s16, s0
	s_cbranch_execz .LBB345_287
; %bb.282:                              ;   in Loop: Header=BB345_274 Depth=1
	v_and_b32_sdwa v10, v34, v18 dst_sel:DWORD dst_unused:UNUSED_PAD src0_sel:DWORD src1_sel:BYTE_1
	v_mov_b32_e32 v39, 0x7f800001
	s_mov_b32 s17, exec_lo
	v_and_b32_e32 v21, 0x7f, v10
	v_cmpx_ne_u32_e32 0x7f, v21
	s_cbranch_execz .LBB345_286
; %bb.283:                              ;   in Loop: Header=BB345_274 Depth=1
	v_and_b32_e32 v10, 7, v10
	v_lshrrev_b32_e32 v20, 3, v21
	s_mov_b32 s18, exec_lo
	v_cmpx_gt_u32_e32 8, v21
; %bb.284:                              ;   in Loop: Header=BB345_274 Depth=1
	v_ffbh_u32_e32 v20, v10
	v_min_u32_e32 v20, 32, v20
	v_subrev_nc_u32_e32 v21, 28, v20
	v_sub_nc_u32_e32 v20, 29, v20
	v_lshlrev_b64 v[41:42], v21, v[10:11]
	v_and_b32_e32 v10, 7, v41
; %bb.285:                              ;   in Loop: Header=BB345_274 Depth=1
	s_or_b32 exec_lo, exec_lo, s18
	v_lshlrev_b32_e32 v21, 16, v18
	v_lshlrev_b32_e32 v10, 20, v10
	v_lshl_add_u32 v20, v20, 23, 0x3c000000
	v_and_b32_e32 v21, 0x80000000, v21
	v_or3_b32 v39, v10, v21, v20
.LBB345_286:                            ;   in Loop: Header=BB345_274 Depth=1
	s_or_b32 exec_lo, exec_lo, s17
.LBB345_287:                            ;   in Loop: Header=BB345_274 Depth=1
	s_or_b32 exec_lo, exec_lo, s16
.LBB345_288:                            ;   in Loop: Header=BB345_274 Depth=1
	s_or_b32 exec_lo, exec_lo, s1
	v_and_b32_sdwa v10, v18, v35 dst_sel:DWORD dst_unused:UNUSED_PAD src0_sel:WORD_1 src1_sel:DWORD
	s_mov_b32 s1, exec_lo
	v_cmpx_ne_u16_e32 0, v10
	s_cbranch_execz .LBB345_296
; %bb.289:                              ;   in Loop: Header=BB345_274 Depth=1
	v_bfrev_b32_e32 v38, 1
	s_mov_b32 s16, exec_lo
	v_cmpx_ne_u16_e32 0x80, v10
	s_cbranch_execz .LBB345_295
; %bb.290:                              ;   in Loop: Header=BB345_274 Depth=1
	v_bfe_u32 v21, v18, 16, 7
	v_mov_b32_e32 v38, 0x7f800001
	s_mov_b32 s17, exec_lo
	v_cmpx_ne_u32_e32 0x7f, v21
	s_cbranch_execz .LBB345_294
; %bb.291:                              ;   in Loop: Header=BB345_274 Depth=1
	v_and_b32_sdwa v10, v18, v36 dst_sel:DWORD dst_unused:UNUSED_PAD src0_sel:WORD_1 src1_sel:DWORD
	v_lshrrev_b32_e32 v20, 3, v21
	s_mov_b32 s18, exec_lo
	v_cmpx_gt_u32_e32 8, v21
; %bb.292:                              ;   in Loop: Header=BB345_274 Depth=1
	v_ffbh_u32_e32 v20, v10
	v_min_u32_e32 v20, 32, v20
	v_subrev_nc_u32_e32 v21, 28, v20
	v_sub_nc_u32_e32 v20, 29, v20
	v_lshlrev_b64 v[41:42], v21, v[10:11]
	v_and_b32_e32 v10, 7, v41
; %bb.293:                              ;   in Loop: Header=BB345_274 Depth=1
	s_or_b32 exec_lo, exec_lo, s18
	v_lshlrev_b32_sdwa v21, v37, v18 dst_sel:DWORD dst_unused:UNUSED_PAD src0_sel:DWORD src1_sel:WORD_1
	v_lshlrev_b32_e32 v10, 20, v10
	v_lshl_add_u32 v20, v20, 23, 0x3c000000
	v_and_b32_e32 v21, 0x80000000, v21
	v_or3_b32 v38, v10, v21, v20
.LBB345_294:                            ;   in Loop: Header=BB345_274 Depth=1
	s_or_b32 exec_lo, exec_lo, s17
.LBB345_295:                            ;   in Loop: Header=BB345_274 Depth=1
	s_or_b32 exec_lo, exec_lo, s16
.LBB345_296:                            ;   in Loop: Header=BB345_274 Depth=1
	s_or_b32 exec_lo, exec_lo, s1
	v_mov_b32_e32 v41, 0
	v_mov_b32_e32 v42, 0
	s_mov_b32 s1, exec_lo
	v_cmpx_lt_u32_e32 0xffffff, v18
	s_cbranch_execz .LBB345_304
; %bb.297:                              ;   in Loop: Header=BB345_274 Depth=1
	v_cmp_ne_u32_sdwa s0, v18, v33 src0_sel:BYTE_3 src1_sel:DWORD
	v_bfrev_b32_e32 v42, 1
	s_and_saveexec_b32 s16, s0
	s_cbranch_execz .LBB345_303
; %bb.298:                              ;   in Loop: Header=BB345_274 Depth=1
	v_bfe_u32 v21, v18, 24, 7
	v_mov_b32_e32 v42, 0x7f800001
	s_mov_b32 s17, exec_lo
	v_cmpx_ne_u32_e32 0x7f, v21
	s_cbranch_execz .LBB345_302
; %bb.299:                              ;   in Loop: Header=BB345_274 Depth=1
	v_and_b32_sdwa v10, v18, v36 dst_sel:DWORD dst_unused:UNUSED_PAD src0_sel:BYTE_3 src1_sel:DWORD
	v_lshrrev_b32_e32 v20, 3, v21
	s_mov_b32 s18, exec_lo
	v_cmpx_gt_u32_e32 8, v21
; %bb.300:                              ;   in Loop: Header=BB345_274 Depth=1
	v_ffbh_u32_e32 v20, v10
	v_min_u32_e32 v20, 32, v20
	v_subrev_nc_u32_e32 v21, 28, v20
	v_sub_nc_u32_e32 v20, 29, v20
	v_lshlrev_b64 v[42:43], v21, v[10:11]
	v_and_b32_e32 v10, 7, v42
; %bb.301:                              ;   in Loop: Header=BB345_274 Depth=1
	s_or_b32 exec_lo, exec_lo, s18
	v_lshlrev_b32_sdwa v21, v37, v18 dst_sel:DWORD dst_unused:UNUSED_PAD src0_sel:DWORD src1_sel:BYTE_3
	v_lshlrev_b32_e32 v10, 20, v10
	v_lshl_add_u32 v20, v20, 23, 0x3c000000
	v_and_b32_e32 v21, 0x80000000, v21
	v_or3_b32 v42, v10, v21, v20
.LBB345_302:                            ;   in Loop: Header=BB345_274 Depth=1
	s_or_b32 exec_lo, exec_lo, s17
.LBB345_303:                            ;   in Loop: Header=BB345_274 Depth=1
	s_or_b32 exec_lo, exec_lo, s16
.LBB345_304:                            ;   in Loop: Header=BB345_274 Depth=1
	s_or_b32 exec_lo, exec_lo, s1
	v_mov_b32_e32 v10, v19
	v_cmp_ne_u16_sdwa s0, v19, v11 src0_sel:BYTE_0 src1_sel:DWORD
	s_and_saveexec_b32 s1, s0
	s_cbranch_execz .LBB345_310
; %bb.305:                              ;   in Loop: Header=BB345_274 Depth=1
	v_cmp_ne_u16_sdwa s0, v19, v33 src0_sel:BYTE_0 src1_sel:DWORD
	v_bfrev_b32_e32 v41, 1
	s_and_saveexec_b32 s16, s0
	s_cbranch_execz .LBB345_309
; %bb.306:                              ;   in Loop: Header=BB345_274 Depth=1
	v_and_b32_e32 v20, 0x7f, v19
	v_mov_b32_e32 v41, 0x7f800001
	s_mov_b32 s17, exec_lo
	v_cmpx_ne_u32_e32 0x7f, v20
	s_cbranch_execz .LBB345_308
; %bb.307:                              ;   in Loop: Header=BB345_274 Depth=1
	v_and_b32_e32 v21, 7, v19
	v_cmp_gt_u32_e64 s0, 8, v20
	v_lshrrev_b32_e32 v41, 3, v20
	v_ffbh_u32_e32 v21, v21
	v_min_u32_e32 v21, 32, v21
	v_subrev_nc_u32_e32 v43, 28, v21
	v_sub_nc_u32_e32 v21, 29, v21
	v_cndmask_b32_e64 v20, 0, v43, s0
	v_cndmask_b32_e64 v41, v41, v21, s0
	v_lshlrev_b64 v[20:21], v20, v[10:11]
	v_lshlrev_b32_e32 v21, 24, v10
	v_lshl_add_u32 v41, v41, 23, 0x3c000000
	v_lshlrev_b32_e32 v20, 20, v20
	v_and_b32_e32 v21, 0x80000000, v21
	v_and_b32_e32 v20, 0x700000, v20
	v_or3_b32 v41, v20, v21, v41
.LBB345_308:                            ;   in Loop: Header=BB345_274 Depth=1
	s_or_b32 exec_lo, exec_lo, s17
.LBB345_309:                            ;   in Loop: Header=BB345_274 Depth=1
	s_or_b32 exec_lo, exec_lo, s16
.LBB345_310:                            ;   in Loop: Header=BB345_274 Depth=1
	s_or_b32 exec_lo, exec_lo, s1
	v_cmp_ne_u16_sdwa s0, v10, v11 src0_sel:BYTE_1 src1_sel:DWORD
	v_mov_b32_e32 v43, 0
	v_mov_b32_e32 v20, 0
	s_and_saveexec_b32 s1, s0
	s_cbranch_execz .LBB345_318
; %bb.311:                              ;   in Loop: Header=BB345_274 Depth=1
	v_cmp_ne_u16_sdwa s0, v10, v33 src0_sel:BYTE_1 src1_sel:DWORD
	v_bfrev_b32_e32 v20, 1
	s_and_saveexec_b32 s16, s0
	s_cbranch_execz .LBB345_317
; %bb.312:                              ;   in Loop: Header=BB345_274 Depth=1
	v_and_b32_sdwa v21, v34, v10 dst_sel:DWORD dst_unused:UNUSED_PAD src0_sel:DWORD src1_sel:BYTE_1
	v_mov_b32_e32 v20, 0x7f800001
	s_mov_b32 s17, exec_lo
	v_and_b32_e32 v45, 0x7f, v21
	v_cmpx_ne_u32_e32 0x7f, v45
	s_cbranch_execz .LBB345_316
; %bb.313:                              ;   in Loop: Header=BB345_274 Depth=1
	v_and_b32_e32 v20, 7, v21
	v_mov_b32_e32 v21, v11
	v_lshrrev_b32_e32 v44, 3, v45
	s_mov_b32 s18, exec_lo
	v_cmpx_gt_u32_e32 8, v45
; %bb.314:                              ;   in Loop: Header=BB345_274 Depth=1
	v_ffbh_u32_e32 v44, v20
	v_min_u32_e32 v44, 32, v44
	v_subrev_nc_u32_e32 v45, 28, v44
	v_sub_nc_u32_e32 v44, 29, v44
	v_lshlrev_b64 v[20:21], v45, v[20:21]
	v_and_b32_e32 v20, 7, v20
; %bb.315:                              ;   in Loop: Header=BB345_274 Depth=1
	s_or_b32 exec_lo, exec_lo, s18
	v_lshlrev_b32_e32 v10, 16, v10
	v_lshlrev_b32_e32 v20, 20, v20
	v_lshl_add_u32 v21, v44, 23, 0x3c000000
	v_and_b32_e32 v10, 0x80000000, v10
	v_or3_b32 v20, v20, v10, v21
.LBB345_316:                            ;   in Loop: Header=BB345_274 Depth=1
	s_or_b32 exec_lo, exec_lo, s17
.LBB345_317:                            ;   in Loop: Header=BB345_274 Depth=1
	s_or_b32 exec_lo, exec_lo, s16
.LBB345_318:                            ;   in Loop: Header=BB345_274 Depth=1
	s_or_b32 exec_lo, exec_lo, s1
	v_and_b32_sdwa v10, v19, v35 dst_sel:DWORD dst_unused:UNUSED_PAD src0_sel:WORD_1 src1_sel:DWORD
	s_mov_b32 s1, exec_lo
	v_cmpx_ne_u16_e32 0, v10
	s_cbranch_execz .LBB345_326
; %bb.319:                              ;   in Loop: Header=BB345_274 Depth=1
	v_bfrev_b32_e32 v43, 1
	s_mov_b32 s16, exec_lo
	v_cmpx_ne_u16_e32 0x80, v10
	s_cbranch_execz .LBB345_325
; %bb.320:                              ;   in Loop: Header=BB345_274 Depth=1
	v_bfe_u32 v44, v19, 16, 7
	v_mov_b32_e32 v43, 0x7f800001
	s_mov_b32 s17, exec_lo
	v_cmpx_ne_u32_e32 0x7f, v44
	s_cbranch_execz .LBB345_324
; %bb.321:                              ;   in Loop: Header=BB345_274 Depth=1
	v_and_b32_sdwa v10, v19, v36 dst_sel:DWORD dst_unused:UNUSED_PAD src0_sel:WORD_1 src1_sel:DWORD
	v_lshrrev_b32_e32 v21, 3, v44
	s_mov_b32 s18, exec_lo
	v_cmpx_gt_u32_e32 8, v44
; %bb.322:                              ;   in Loop: Header=BB345_274 Depth=1
	v_ffbh_u32_e32 v21, v10
	v_min_u32_e32 v21, 32, v21
	v_subrev_nc_u32_e32 v43, 28, v21
	v_sub_nc_u32_e32 v21, 29, v21
	v_lshlrev_b64 v[43:44], v43, v[10:11]
	v_and_b32_e32 v10, 7, v43
; %bb.323:                              ;   in Loop: Header=BB345_274 Depth=1
	s_or_b32 exec_lo, exec_lo, s18
	v_lshlrev_b32_sdwa v43, v37, v19 dst_sel:DWORD dst_unused:UNUSED_PAD src0_sel:DWORD src1_sel:WORD_1
	v_lshlrev_b32_e32 v10, 20, v10
	v_lshl_add_u32 v21, v21, 23, 0x3c000000
	v_and_b32_e32 v43, 0x80000000, v43
	v_or3_b32 v43, v10, v43, v21
.LBB345_324:                            ;   in Loop: Header=BB345_274 Depth=1
	s_or_b32 exec_lo, exec_lo, s17
.LBB345_325:                            ;   in Loop: Header=BB345_274 Depth=1
	s_or_b32 exec_lo, exec_lo, s16
.LBB345_326:                            ;   in Loop: Header=BB345_274 Depth=1
	s_or_b32 exec_lo, exec_lo, s1
	v_mov_b32_e32 v10, 0
	s_mov_b32 s1, exec_lo
	v_cmpx_lt_u64_e64 s[6:7], v[18:19]
	s_cbranch_execz .LBB345_334
; %bb.327:                              ;   in Loop: Header=BB345_274 Depth=1
	v_cmp_ne_u32_sdwa s0, v19, v33 src0_sel:BYTE_3 src1_sel:DWORD
	v_bfrev_b32_e32 v10, 1
	s_and_saveexec_b32 s16, s0
	s_cbranch_execz .LBB345_333
; %bb.328:                              ;   in Loop: Header=BB345_274 Depth=1
	v_bfe_u32 v21, v19, 24, 7
	v_mov_b32_e32 v10, 0x7f800001
	s_mov_b32 s17, exec_lo
	v_cmpx_ne_u32_e32 0x7f, v21
	s_cbranch_execz .LBB345_332
; %bb.329:                              ;   in Loop: Header=BB345_274 Depth=1
	v_and_b32_sdwa v10, v19, v36 dst_sel:DWORD dst_unused:UNUSED_PAD src0_sel:BYTE_3 src1_sel:DWORD
	v_lshrrev_b32_e32 v18, 3, v21
	s_mov_b32 s18, exec_lo
	v_cmpx_gt_u32_e32 8, v21
; %bb.330:                              ;   in Loop: Header=BB345_274 Depth=1
	v_ffbh_u32_e32 v18, v10
	v_min_u32_e32 v18, 32, v18
	v_subrev_nc_u32_e32 v21, 28, v18
	v_sub_nc_u32_e32 v18, 29, v18
	v_lshlrev_b64 v[44:45], v21, v[10:11]
	v_and_b32_e32 v10, 7, v44
; %bb.331:                              ;   in Loop: Header=BB345_274 Depth=1
	s_or_b32 exec_lo, exec_lo, s18
	v_lshlrev_b32_sdwa v19, v37, v19 dst_sel:DWORD dst_unused:UNUSED_PAD src0_sel:DWORD src1_sel:BYTE_3
	v_lshlrev_b32_e32 v10, 20, v10
	v_lshl_add_u32 v18, v18, 23, 0x3c000000
	v_and_b32_e32 v19, 0x80000000, v19
	v_or3_b32 v10, v10, v19, v18
.LBB345_332:                            ;   in Loop: Header=BB345_274 Depth=1
	s_or_b32 exec_lo, exec_lo, s17
.LBB345_333:                            ;   in Loop: Header=BB345_274 Depth=1
	s_or_b32 exec_lo, exec_lo, s16
.LBB345_334:                            ;   in Loop: Header=BB345_274 Depth=1
	s_or_b32 exec_lo, exec_lo, s1
	s_waitcnt lgkmcnt(0)
	v_mul_f32_e32 v18, s14, v20
	v_mul_f32_e32 v19, s14, v41
	;; [unrolled: 1-line block ×5, first 2 shown]
	v_bfe_u32 v21, v18, 16, 1
	v_or_b32_e32 v38, 0x400000, v18
	v_bfe_u32 v41, v19, 16, 1
	v_cmp_u_f32_e64 s1, v18, v18
	v_or_b32_e32 v44, 0x400000, v19
	v_add3_u32 v21, v21, v18, 0x7fff
	v_bfe_u32 v45, v20, 16, 1
	v_add3_u32 v41, v41, v19, 0x7fff
	v_or_b32_e32 v47, 0x400000, v20
	v_add_nc_u32_e32 v46, -7, v31
	v_cndmask_b32_e64 v18, v21, v38, s1
	v_cmp_u_f32_e64 s1, v19, v19
	v_bfe_u32 v21, v42, 16, 1
	v_add3_u32 v45, v45, v20, 0x7fff
	v_cmp_eq_u32_e64 s0, s13, v9
	v_lshrrev_b32_e32 v38, 16, v18
	v_cndmask_b32_e64 v19, v41, v44, s1
	v_cmp_u_f32_e64 s1, v20, v20
	v_mul_f32_e32 v20, s14, v39
	v_add3_u32 v21, v21, v42, 0x7fff
	v_or_b32_e32 v44, 0x400000, v42
	v_lshrrev_b32_e32 v39, 16, v19
	v_cndmask_b32_e64 v18, v45, v47, s1
	v_cmp_u_f32_e64 s1, v42, v42
	v_or_b32_e32 v42, 0x400000, v20
	v_or_b32_e32 v47, 0x400000, v10
	v_lshrrev_b32_e32 v41, 16, v18
	v_bfe_u32 v18, v20, 16, 1
	v_cndmask_b32_e64 v19, v21, v44, s1
	v_mul_f32_e32 v21, s14, v40
	v_mul_f32_e32 v40, s14, v43
	v_cmp_u_f32_e64 s1, v20, v20
	v_add3_u32 v18, v18, v20, 0x7fff
	v_bfe_u32 v20, v10, 16, 1
	v_bfe_u32 v43, v21, 16, 1
	v_bfe_u32 v44, v40, 16, 1
	v_or_b32_e32 v45, 0x400000, v40
	v_cndmask_b32_e64 v18, v18, v42, s1
	v_cmp_u_f32_e64 s1, v21, v21
	v_add3_u32 v42, v43, v21, 0x7fff
	v_or_b32_e32 v43, 0x400000, v21
	v_add3_u32 v44, v44, v40, 0x7fff
	v_add3_u32 v20, v20, v10, 0x7fff
	v_cndmask_b32_e64 v21, v42, v43, s1
	v_cmp_u_f32_e64 s1, v40, v40
	v_lshrrev_b32_e32 v43, 16, v19
	v_cndmask_b32_e64 v40, v44, v45, s1
	v_cmp_u_f32_e64 s1, v10, v10
	v_lshrrev_b32_e32 v45, 16, v18
	v_lshrrev_b32_e32 v44, 16, v21
	;; [unrolled: 1-line block ×3, first 2 shown]
	v_cndmask_b32_e64 v10, v20, v47, s1
	v_lshrrev_b32_e32 v42, 16, v10
	s_and_saveexec_b32 s16, s0
	s_cbranch_execz .LBB345_336
; %bb.335:                              ;   in Loop: Header=BB345_274 Depth=1
	v_add_nc_u32_e32 v10, -6, v31
	v_cmp_gt_i32_e64 s1, s27, v46
	v_add_nc_u32_e32 v18, -5, v31
	v_add_nc_u32_e32 v19, -2, v31
	v_cndmask_b32_e64 v44, 0, v44, s1
	v_cmp_gt_i32_e64 s1, s27, v10
	v_add_nc_u32_e32 v10, -4, v31
	v_cndmask_b32_e64 v45, 0, v45, s1
	v_cmp_gt_i32_e64 s1, s27, v18
	;; [unrolled: 3-line block ×4, first 2 shown]
	v_cndmask_b32_e64 v39, 0, v39, s1
	v_cmp_gt_i32_e64 s1, s27, v19
	v_cndmask_b32_e64 v38, 0, v38, s1
	v_cmp_gt_i32_e64 s1, s27, v10
	;; [unrolled: 2-line block ×3, first 2 shown]
	v_cndmask_b32_e64 v42, 0, v42, s1
.LBB345_336:                            ;   in Loop: Header=BB345_274 Depth=1
	s_or_b32 exec_lo, exec_lo, s16
	global_load_dwordx2 v[18:19], v[16:17], off offset:256
	v_mov_b32_e32 v48, 0
	v_mov_b32_e32 v47, 0
	s_waitcnt vmcnt(0)
	v_cmp_ne_u16_sdwa s1, v18, v11 src0_sel:BYTE_0 src1_sel:DWORD
	s_and_saveexec_b32 s16, s1
	s_cbranch_execz .LBB345_342
; %bb.337:                              ;   in Loop: Header=BB345_274 Depth=1
	v_cmp_ne_u16_sdwa s1, v18, v33 src0_sel:BYTE_0 src1_sel:DWORD
	v_bfrev_b32_e32 v47, 1
	s_and_saveexec_b32 s17, s1
	s_cbranch_execz .LBB345_341
; %bb.338:                              ;   in Loop: Header=BB345_274 Depth=1
	v_and_b32_e32 v10, 0x7f, v18
	v_mov_b32_e32 v47, 0x7f800001
	s_mov_b32 s18, exec_lo
	v_cmpx_ne_u32_e32 0x7f, v10
	s_cbranch_execz .LBB345_340
; %bb.339:                              ;   in Loop: Header=BB345_274 Depth=1
	v_and_b32_e32 v20, 7, v18
	v_lshrrev_b32_e32 v21, 3, v10
	v_cmp_gt_u32_e64 s1, 8, v10
	v_ffbh_u32_e32 v20, v20
	v_min_u32_e32 v20, 32, v20
	v_subrev_nc_u32_e32 v47, 28, v20
	v_sub_nc_u32_e32 v20, 29, v20
	v_cndmask_b32_e64 v10, v21, v20, s1
	v_cndmask_b32_e64 v20, 0, v47, s1
	v_lshl_add_u32 v10, v10, 23, 0x3c000000
	v_lshlrev_b64 v[20:21], v20, v[18:19]
	v_lshlrev_b32_e32 v21, 24, v18
	v_lshlrev_b32_e32 v20, 20, v20
	v_and_b32_e32 v21, 0x80000000, v21
	v_and_b32_e32 v20, 0x700000, v20
	v_or3_b32 v47, v20, v21, v10
.LBB345_340:                            ;   in Loop: Header=BB345_274 Depth=1
	s_or_b32 exec_lo, exec_lo, s18
.LBB345_341:                            ;   in Loop: Header=BB345_274 Depth=1
	s_or_b32 exec_lo, exec_lo, s17
.LBB345_342:                            ;   in Loop: Header=BB345_274 Depth=1
	s_or_b32 exec_lo, exec_lo, s16
	v_cmp_ne_u16_sdwa s1, v18, v11 src0_sel:BYTE_1 src1_sel:DWORD
	s_and_saveexec_b32 s16, s1
	s_cbranch_execz .LBB345_350
; %bb.343:                              ;   in Loop: Header=BB345_274 Depth=1
	v_cmp_ne_u16_sdwa s1, v18, v33 src0_sel:BYTE_1 src1_sel:DWORD
	v_bfrev_b32_e32 v48, 1
	s_and_saveexec_b32 s17, s1
	s_cbranch_execz .LBB345_349
; %bb.344:                              ;   in Loop: Header=BB345_274 Depth=1
	v_and_b32_sdwa v10, v34, v18 dst_sel:DWORD dst_unused:UNUSED_PAD src0_sel:DWORD src1_sel:BYTE_1
	v_mov_b32_e32 v48, 0x7f800001
	s_mov_b32 s18, exec_lo
	v_and_b32_e32 v21, 0x7f, v10
	v_cmpx_ne_u32_e32 0x7f, v21
	s_cbranch_execz .LBB345_348
; %bb.345:                              ;   in Loop: Header=BB345_274 Depth=1
	v_and_b32_e32 v10, 7, v10
	v_lshrrev_b32_e32 v20, 3, v21
	s_mov_b32 s19, exec_lo
	v_cmpx_gt_u32_e32 8, v21
; %bb.346:                              ;   in Loop: Header=BB345_274 Depth=1
	v_ffbh_u32_e32 v20, v10
	v_min_u32_e32 v20, 32, v20
	v_subrev_nc_u32_e32 v21, 28, v20
	v_sub_nc_u32_e32 v20, 29, v20
	v_lshlrev_b64 v[48:49], v21, v[10:11]
	v_and_b32_e32 v10, 7, v48
; %bb.347:                              ;   in Loop: Header=BB345_274 Depth=1
	s_or_b32 exec_lo, exec_lo, s19
	v_lshlrev_b32_e32 v21, 16, v18
	v_lshlrev_b32_e32 v10, 20, v10
	v_lshl_add_u32 v20, v20, 23, 0x3c000000
	v_and_b32_e32 v21, 0x80000000, v21
	v_or3_b32 v48, v10, v21, v20
.LBB345_348:                            ;   in Loop: Header=BB345_274 Depth=1
	s_or_b32 exec_lo, exec_lo, s18
.LBB345_349:                            ;   in Loop: Header=BB345_274 Depth=1
	s_or_b32 exec_lo, exec_lo, s17
.LBB345_350:                            ;   in Loop: Header=BB345_274 Depth=1
	s_or_b32 exec_lo, exec_lo, s16
	v_and_b32_sdwa v10, v18, v35 dst_sel:DWORD dst_unused:UNUSED_PAD src0_sel:WORD_1 src1_sel:DWORD
	v_mov_b32_e32 v50, 0
	v_mov_b32_e32 v49, 0
	s_mov_b32 s16, exec_lo
	v_cmpx_ne_u16_e32 0, v10
	s_cbranch_execz .LBB345_358
; %bb.351:                              ;   in Loop: Header=BB345_274 Depth=1
	v_bfrev_b32_e32 v49, 1
	s_mov_b32 s17, exec_lo
	v_cmpx_ne_u16_e32 0x80, v10
	s_cbranch_execz .LBB345_357
; %bb.352:                              ;   in Loop: Header=BB345_274 Depth=1
	v_bfe_u32 v21, v18, 16, 7
	v_mov_b32_e32 v49, 0x7f800001
	s_mov_b32 s18, exec_lo
	v_cmpx_ne_u32_e32 0x7f, v21
	s_cbranch_execz .LBB345_356
; %bb.353:                              ;   in Loop: Header=BB345_274 Depth=1
	v_and_b32_sdwa v10, v18, v36 dst_sel:DWORD dst_unused:UNUSED_PAD src0_sel:WORD_1 src1_sel:DWORD
	v_lshrrev_b32_e32 v20, 3, v21
	s_mov_b32 s19, exec_lo
	v_cmpx_gt_u32_e32 8, v21
; %bb.354:                              ;   in Loop: Header=BB345_274 Depth=1
	v_ffbh_u32_e32 v20, v10
	v_min_u32_e32 v20, 32, v20
	v_subrev_nc_u32_e32 v21, 28, v20
	v_sub_nc_u32_e32 v20, 29, v20
	v_lshlrev_b64 v[51:52], v21, v[10:11]
	v_and_b32_e32 v10, 7, v51
; %bb.355:                              ;   in Loop: Header=BB345_274 Depth=1
	s_or_b32 exec_lo, exec_lo, s19
	v_lshlrev_b32_sdwa v21, v37, v18 dst_sel:DWORD dst_unused:UNUSED_PAD src0_sel:DWORD src1_sel:WORD_1
	v_lshlrev_b32_e32 v10, 20, v10
	v_lshl_add_u32 v20, v20, 23, 0x3c000000
	v_and_b32_e32 v21, 0x80000000, v21
	v_or3_b32 v49, v10, v21, v20
.LBB345_356:                            ;   in Loop: Header=BB345_274 Depth=1
	s_or_b32 exec_lo, exec_lo, s18
.LBB345_357:                            ;   in Loop: Header=BB345_274 Depth=1
	s_or_b32 exec_lo, exec_lo, s17
.LBB345_358:                            ;   in Loop: Header=BB345_274 Depth=1
	s_or_b32 exec_lo, exec_lo, s16
	s_mov_b32 s16, exec_lo
	v_cmpx_lt_u32_e32 0xffffff, v18
	s_cbranch_execz .LBB345_366
; %bb.359:                              ;   in Loop: Header=BB345_274 Depth=1
	v_cmp_ne_u32_sdwa s1, v18, v33 src0_sel:BYTE_3 src1_sel:DWORD
	v_bfrev_b32_e32 v50, 1
	s_and_saveexec_b32 s17, s1
	s_cbranch_execz .LBB345_365
; %bb.360:                              ;   in Loop: Header=BB345_274 Depth=1
	v_bfe_u32 v21, v18, 24, 7
	v_mov_b32_e32 v50, 0x7f800001
	s_mov_b32 s18, exec_lo
	v_cmpx_ne_u32_e32 0x7f, v21
	s_cbranch_execz .LBB345_364
; %bb.361:                              ;   in Loop: Header=BB345_274 Depth=1
	v_and_b32_sdwa v10, v18, v36 dst_sel:DWORD dst_unused:UNUSED_PAD src0_sel:BYTE_3 src1_sel:DWORD
	v_lshrrev_b32_e32 v20, 3, v21
	s_mov_b32 s19, exec_lo
	v_cmpx_gt_u32_e32 8, v21
; %bb.362:                              ;   in Loop: Header=BB345_274 Depth=1
	v_ffbh_u32_e32 v20, v10
	v_min_u32_e32 v20, 32, v20
	v_subrev_nc_u32_e32 v21, 28, v20
	v_sub_nc_u32_e32 v20, 29, v20
	v_lshlrev_b64 v[50:51], v21, v[10:11]
	v_and_b32_e32 v10, 7, v50
; %bb.363:                              ;   in Loop: Header=BB345_274 Depth=1
	s_or_b32 exec_lo, exec_lo, s19
	v_lshlrev_b32_sdwa v21, v37, v18 dst_sel:DWORD dst_unused:UNUSED_PAD src0_sel:DWORD src1_sel:BYTE_3
	v_lshlrev_b32_e32 v10, 20, v10
	v_lshl_add_u32 v20, v20, 23, 0x3c000000
	v_and_b32_e32 v21, 0x80000000, v21
	v_or3_b32 v50, v10, v21, v20
.LBB345_364:                            ;   in Loop: Header=BB345_274 Depth=1
	s_or_b32 exec_lo, exec_lo, s18
.LBB345_365:                            ;   in Loop: Header=BB345_274 Depth=1
	s_or_b32 exec_lo, exec_lo, s17
.LBB345_366:                            ;   in Loop: Header=BB345_274 Depth=1
	s_or_b32 exec_lo, exec_lo, s16
	v_mov_b32_e32 v10, v19
	v_cmp_ne_u16_sdwa s1, v19, v11 src0_sel:BYTE_0 src1_sel:DWORD
	v_mov_b32_e32 v20, 0
	v_mov_b32_e32 v51, 0
	s_and_saveexec_b32 s16, s1
	s_cbranch_execz .LBB345_372
; %bb.367:                              ;   in Loop: Header=BB345_274 Depth=1
	v_cmp_ne_u16_sdwa s1, v19, v33 src0_sel:BYTE_0 src1_sel:DWORD
	v_bfrev_b32_e32 v51, 1
	s_and_saveexec_b32 s17, s1
	s_cbranch_execz .LBB345_371
; %bb.368:                              ;   in Loop: Header=BB345_274 Depth=1
	v_and_b32_e32 v21, 0x7f, v19
	v_mov_b32_e32 v51, 0x7f800001
	s_mov_b32 s18, exec_lo
	v_cmpx_ne_u32_e32 0x7f, v21
	s_cbranch_execz .LBB345_370
; %bb.369:                              ;   in Loop: Header=BB345_274 Depth=1
	v_and_b32_e32 v51, 7, v19
	v_lshrrev_b32_e32 v52, 3, v21
	v_cmp_gt_u32_e64 s1, 8, v21
	v_ffbh_u32_e32 v51, v51
	v_min_u32_e32 v51, 32, v51
	v_subrev_nc_u32_e32 v53, 28, v51
	v_sub_nc_u32_e32 v51, 29, v51
	v_cndmask_b32_e64 v21, v52, v51, s1
	v_cndmask_b32_e64 v51, 0, v53, s1
	v_lshl_add_u32 v21, v21, 23, 0x3c000000
	v_lshlrev_b64 v[51:52], v51, v[10:11]
	v_lshlrev_b32_e32 v52, 24, v10
	v_lshlrev_b32_e32 v51, 20, v51
	v_and_b32_e32 v52, 0x80000000, v52
	v_and_b32_e32 v51, 0x700000, v51
	v_or3_b32 v51, v51, v52, v21
.LBB345_370:                            ;   in Loop: Header=BB345_274 Depth=1
	s_or_b32 exec_lo, exec_lo, s18
.LBB345_371:                            ;   in Loop: Header=BB345_274 Depth=1
	s_or_b32 exec_lo, exec_lo, s17
.LBB345_372:                            ;   in Loop: Header=BB345_274 Depth=1
	s_or_b32 exec_lo, exec_lo, s16
	v_cmp_ne_u16_sdwa s1, v10, v11 src0_sel:BYTE_1 src1_sel:DWORD
	s_and_saveexec_b32 s16, s1
	s_cbranch_execz .LBB345_380
; %bb.373:                              ;   in Loop: Header=BB345_274 Depth=1
	v_cmp_ne_u16_sdwa s1, v10, v33 src0_sel:BYTE_1 src1_sel:DWORD
	v_bfrev_b32_e32 v20, 1
	s_and_saveexec_b32 s17, s1
	s_cbranch_execz .LBB345_379
; %bb.374:                              ;   in Loop: Header=BB345_274 Depth=1
	v_and_b32_sdwa v21, v34, v10 dst_sel:DWORD dst_unused:UNUSED_PAD src0_sel:DWORD src1_sel:BYTE_1
	v_mov_b32_e32 v20, 0x7f800001
	s_mov_b32 s18, exec_lo
	v_and_b32_e32 v53, 0x7f, v21
	v_cmpx_ne_u32_e32 0x7f, v53
	s_cbranch_execz .LBB345_378
; %bb.375:                              ;   in Loop: Header=BB345_274 Depth=1
	v_and_b32_e32 v20, 7, v21
	v_mov_b32_e32 v21, v11
	v_lshrrev_b32_e32 v52, 3, v53
	s_mov_b32 s19, exec_lo
	v_cmpx_gt_u32_e32 8, v53
; %bb.376:                              ;   in Loop: Header=BB345_274 Depth=1
	v_ffbh_u32_e32 v52, v20
	v_min_u32_e32 v52, 32, v52
	v_subrev_nc_u32_e32 v53, 28, v52
	v_sub_nc_u32_e32 v52, 29, v52
	v_lshlrev_b64 v[20:21], v53, v[20:21]
	v_and_b32_e32 v20, 7, v20
; %bb.377:                              ;   in Loop: Header=BB345_274 Depth=1
	s_or_b32 exec_lo, exec_lo, s19
	v_lshlrev_b32_e32 v10, 16, v10
	v_lshlrev_b32_e32 v20, 20, v20
	v_lshl_add_u32 v21, v52, 23, 0x3c000000
	v_and_b32_e32 v10, 0x80000000, v10
	v_or3_b32 v20, v20, v10, v21
.LBB345_378:                            ;   in Loop: Header=BB345_274 Depth=1
	s_or_b32 exec_lo, exec_lo, s18
.LBB345_379:                            ;   in Loop: Header=BB345_274 Depth=1
	s_or_b32 exec_lo, exec_lo, s17
.LBB345_380:                            ;   in Loop: Header=BB345_274 Depth=1
	s_or_b32 exec_lo, exec_lo, s16
	v_and_b32_sdwa v10, v19, v35 dst_sel:DWORD dst_unused:UNUSED_PAD src0_sel:WORD_1 src1_sel:DWORD
	v_mov_b32_e32 v52, 0
	v_mov_b32_e32 v53, 0
	s_mov_b32 s16, exec_lo
	v_cmpx_ne_u16_e32 0, v10
	s_cbranch_execz .LBB345_388
; %bb.381:                              ;   in Loop: Header=BB345_274 Depth=1
	v_bfrev_b32_e32 v53, 1
	s_mov_b32 s17, exec_lo
	v_cmpx_ne_u16_e32 0x80, v10
	s_cbranch_execz .LBB345_387
; %bb.382:                              ;   in Loop: Header=BB345_274 Depth=1
	v_bfe_u32 v54, v19, 16, 7
	v_mov_b32_e32 v53, 0x7f800001
	s_mov_b32 s18, exec_lo
	v_cmpx_ne_u32_e32 0x7f, v54
	s_cbranch_execz .LBB345_386
; %bb.383:                              ;   in Loop: Header=BB345_274 Depth=1
	v_and_b32_sdwa v10, v19, v36 dst_sel:DWORD dst_unused:UNUSED_PAD src0_sel:WORD_1 src1_sel:DWORD
	v_lshrrev_b32_e32 v21, 3, v54
	s_mov_b32 s19, exec_lo
	v_cmpx_gt_u32_e32 8, v54
; %bb.384:                              ;   in Loop: Header=BB345_274 Depth=1
	v_ffbh_u32_e32 v21, v10
	v_min_u32_e32 v21, 32, v21
	v_subrev_nc_u32_e32 v53, 28, v21
	v_sub_nc_u32_e32 v21, 29, v21
	v_lshlrev_b64 v[53:54], v53, v[10:11]
	v_and_b32_e32 v10, 7, v53
; %bb.385:                              ;   in Loop: Header=BB345_274 Depth=1
	s_or_b32 exec_lo, exec_lo, s19
	v_lshlrev_b32_sdwa v53, v37, v19 dst_sel:DWORD dst_unused:UNUSED_PAD src0_sel:DWORD src1_sel:WORD_1
	v_lshlrev_b32_e32 v10, 20, v10
	v_lshl_add_u32 v21, v21, 23, 0x3c000000
	v_and_b32_e32 v53, 0x80000000, v53
	v_or3_b32 v53, v10, v53, v21
.LBB345_386:                            ;   in Loop: Header=BB345_274 Depth=1
	s_or_b32 exec_lo, exec_lo, s18
.LBB345_387:                            ;   in Loop: Header=BB345_274 Depth=1
	s_or_b32 exec_lo, exec_lo, s17
.LBB345_388:                            ;   in Loop: Header=BB345_274 Depth=1
	s_or_b32 exec_lo, exec_lo, s16
	s_mov_b32 s16, exec_lo
	v_cmpx_lt_u64_e64 s[6:7], v[18:19]
	s_cbranch_execz .LBB345_396
; %bb.389:                              ;   in Loop: Header=BB345_274 Depth=1
	v_cmp_ne_u32_sdwa s1, v19, v33 src0_sel:BYTE_3 src1_sel:DWORD
	v_bfrev_b32_e32 v52, 1
	s_and_saveexec_b32 s17, s1
	s_cbranch_execz .LBB345_395
; %bb.390:                              ;   in Loop: Header=BB345_274 Depth=1
	v_bfe_u32 v21, v19, 24, 7
	v_mov_b32_e32 v52, 0x7f800001
	s_mov_b32 s18, exec_lo
	v_cmpx_ne_u32_e32 0x7f, v21
	s_cbranch_execz .LBB345_394
; %bb.391:                              ;   in Loop: Header=BB345_274 Depth=1
	v_and_b32_sdwa v10, v19, v36 dst_sel:DWORD dst_unused:UNUSED_PAD src0_sel:BYTE_3 src1_sel:DWORD
	v_lshrrev_b32_e32 v18, 3, v21
	s_mov_b32 s19, exec_lo
	v_cmpx_gt_u32_e32 8, v21
; %bb.392:                              ;   in Loop: Header=BB345_274 Depth=1
	v_ffbh_u32_e32 v18, v10
	v_min_u32_e32 v18, 32, v18
	v_subrev_nc_u32_e32 v21, 28, v18
	v_sub_nc_u32_e32 v18, 29, v18
	v_lshlrev_b64 v[54:55], v21, v[10:11]
	v_and_b32_e32 v10, 7, v54
; %bb.393:                              ;   in Loop: Header=BB345_274 Depth=1
	s_or_b32 exec_lo, exec_lo, s19
	v_lshlrev_b32_sdwa v19, v37, v19 dst_sel:DWORD dst_unused:UNUSED_PAD src0_sel:DWORD src1_sel:BYTE_3
	v_lshlrev_b32_e32 v10, 20, v10
	v_lshl_add_u32 v18, v18, 23, 0x3c000000
	v_and_b32_e32 v19, 0x80000000, v19
	v_or3_b32 v52, v10, v19, v18
.LBB345_394:                            ;   in Loop: Header=BB345_274 Depth=1
	s_or_b32 exec_lo, exec_lo, s18
.LBB345_395:                            ;   in Loop: Header=BB345_274 Depth=1
	s_or_b32 exec_lo, exec_lo, s17
.LBB345_396:                            ;   in Loop: Header=BB345_274 Depth=1
	s_or_b32 exec_lo, exec_lo, s16
	v_mul_f32_e32 v10, s14, v20
	v_mul_f32_e32 v18, s14, v51
	;; [unrolled: 1-line block ×5, first 2 shown]
	v_bfe_u32 v20, v10, 16, 1
	v_or_b32_e32 v21, 0x400000, v10
	v_bfe_u32 v50, v18, 16, 1
	v_cmp_u_f32_e64 s1, v10, v10
	v_or_b32_e32 v51, 0x400000, v18
	v_add3_u32 v20, v20, v10, 0x7fff
	v_bfe_u32 v54, v19, 16, 1
	v_add3_u32 v50, v50, v18, 0x7fff
	v_or_b32_e32 v55, 0x400000, v19
	v_bfe_u32 v56, v49, 16, 1
	v_cndmask_b32_e64 v10, v20, v21, s1
	v_cmp_u_f32_e64 s1, v18, v18
	v_add3_u32 v54, v54, v19, 0x7fff
	v_lshrrev_b32_e32 v21, 16, v10
	v_cndmask_b32_e64 v18, v50, v51, s1
	v_cmp_u_f32_e64 s1, v19, v19
	v_mul_f32_e32 v10, s14, v48
	v_add3_u32 v50, v56, v49, 0x7fff
	v_or_b32_e32 v51, 0x400000, v49
	v_lshrrev_b32_e32 v20, 16, v18
	v_cndmask_b32_e64 v19, v54, v55, s1
	v_bfe_u32 v18, v10, 16, 1
	v_cmp_u_f32_e64 s1, v49, v49
	v_mul_f32_e32 v49, s14, v53
	v_lshrrev_b32_e32 v48, 16, v19
	v_add3_u32 v18, v18, v10, 0x7fff
	v_cndmask_b32_e64 v19, v50, v51, s1
	v_or_b32_e32 v50, 0x400000, v10
	v_mul_f32_e32 v51, s14, v52
	v_bfe_u32 v52, v47, 16, 1
	v_cmp_u_f32_e64 s1, v10, v10
	v_bfe_u32 v53, v49, 16, 1
	v_or_b32_e32 v54, 0x400000, v49
	v_or_b32_e32 v55, 0x400000, v51
	v_cndmask_b32_e64 v10, v18, v50, s1
	v_add3_u32 v50, v52, v47, 0x7fff
	v_or_b32_e32 v52, 0x400000, v47
	v_cmp_u_f32_e64 s1, v47, v47
	v_bfe_u32 v18, v51, 16, 1
	v_add3_u32 v53, v53, v49, 0x7fff
	v_cndmask_b32_e64 v47, v50, v52, s1
	v_cmp_u_f32_e64 s1, v49, v49
	v_add3_u32 v18, v18, v51, 0x7fff
	v_lshrrev_b32_e32 v50, 16, v19
	v_lshrrev_b32_e32 v52, 16, v10
	v_cndmask_b32_e64 v49, v53, v54, s1
	v_cmp_u_f32_e64 s1, v51, v51
	v_lshrrev_b32_e32 v51, 16, v47
	v_lshrrev_b32_e32 v47, 16, v49
	v_cndmask_b32_e64 v18, v18, v55, s1
	v_lshrrev_b32_e32 v49, 16, v18
	s_and_saveexec_b32 s16, s0
	s_cbranch_execz .LBB345_398
; %bb.397:                              ;   in Loop: Header=BB345_274 Depth=1
	v_add_nc_u32_e32 v10, -6, v31
	v_cmp_gt_i32_e64 s1, s27, v46
	v_add_nc_u32_e32 v18, -5, v31
	v_add_nc_u32_e32 v19, -2, v31
	v_cndmask_b32_e64 v51, 0, v51, s1
	v_cmp_gt_i32_e64 s1, s27, v10
	v_add_nc_u32_e32 v10, -4, v31
	v_cndmask_b32_e64 v52, 0, v52, s1
	v_cmp_gt_i32_e64 s1, s27, v18
	;; [unrolled: 3-line block ×4, first 2 shown]
	v_cndmask_b32_e64 v20, 0, v20, s1
	v_cmp_gt_i32_e64 s1, s27, v19
	v_cndmask_b32_e64 v21, 0, v21, s1
	v_cmp_gt_i32_e64 s1, s27, v10
	;; [unrolled: 2-line block ×3, first 2 shown]
	v_cndmask_b32_e64 v49, 0, v49, s1
.LBB345_398:                            ;   in Loop: Header=BB345_274 Depth=1
	s_or_b32 exec_lo, exec_lo, s16
	global_load_dwordx2 v[16:17], v[16:17], off offset:512
	v_mov_b32_e32 v53, 0
	v_mov_b32_e32 v54, 0
	s_waitcnt vmcnt(0)
	v_cmp_ne_u16_sdwa s1, v16, v11 src0_sel:BYTE_0 src1_sel:DWORD
	s_and_saveexec_b32 s16, s1
	s_cbranch_execz .LBB345_404
; %bb.399:                              ;   in Loop: Header=BB345_274 Depth=1
	v_cmp_ne_u16_sdwa s1, v16, v33 src0_sel:BYTE_0 src1_sel:DWORD
	v_bfrev_b32_e32 v54, 1
	s_and_saveexec_b32 s17, s1
	s_cbranch_execz .LBB345_403
; %bb.400:                              ;   in Loop: Header=BB345_274 Depth=1
	v_and_b32_e32 v10, 0x7f, v16
	v_mov_b32_e32 v54, 0x7f800001
	s_mov_b32 s18, exec_lo
	v_cmpx_ne_u32_e32 0x7f, v10
	s_cbranch_execz .LBB345_402
; %bb.401:                              ;   in Loop: Header=BB345_274 Depth=1
	v_and_b32_e32 v18, 7, v16
	v_lshrrev_b32_e32 v19, 3, v10
	v_cmp_gt_u32_e64 s1, 8, v10
	v_ffbh_u32_e32 v18, v18
	v_min_u32_e32 v18, 32, v18
	v_subrev_nc_u32_e32 v54, 28, v18
	v_sub_nc_u32_e32 v18, 29, v18
	v_cndmask_b32_e64 v10, v19, v18, s1
	v_cndmask_b32_e64 v18, 0, v54, s1
	v_lshl_add_u32 v10, v10, 23, 0x3c000000
	v_lshlrev_b64 v[18:19], v18, v[16:17]
	v_lshlrev_b32_e32 v19, 24, v16
	v_lshlrev_b32_e32 v18, 20, v18
	v_and_b32_e32 v19, 0x80000000, v19
	v_and_b32_e32 v18, 0x700000, v18
	v_or3_b32 v54, v18, v19, v10
.LBB345_402:                            ;   in Loop: Header=BB345_274 Depth=1
	s_or_b32 exec_lo, exec_lo, s18
.LBB345_403:                            ;   in Loop: Header=BB345_274 Depth=1
	s_or_b32 exec_lo, exec_lo, s17
.LBB345_404:                            ;   in Loop: Header=BB345_274 Depth=1
	s_or_b32 exec_lo, exec_lo, s16
	v_cmp_ne_u16_sdwa s1, v16, v11 src0_sel:BYTE_1 src1_sel:DWORD
	s_and_saveexec_b32 s16, s1
	s_cbranch_execz .LBB345_412
; %bb.405:                              ;   in Loop: Header=BB345_274 Depth=1
	v_cmp_ne_u16_sdwa s1, v16, v33 src0_sel:BYTE_1 src1_sel:DWORD
	v_bfrev_b32_e32 v53, 1
	s_and_saveexec_b32 s17, s1
	s_cbranch_execz .LBB345_411
; %bb.406:                              ;   in Loop: Header=BB345_274 Depth=1
	v_and_b32_sdwa v10, v34, v16 dst_sel:DWORD dst_unused:UNUSED_PAD src0_sel:DWORD src1_sel:BYTE_1
	v_mov_b32_e32 v53, 0x7f800001
	s_mov_b32 s18, exec_lo
	v_and_b32_e32 v19, 0x7f, v10
	v_cmpx_ne_u32_e32 0x7f, v19
	s_cbranch_execz .LBB345_410
; %bb.407:                              ;   in Loop: Header=BB345_274 Depth=1
	v_and_b32_e32 v10, 7, v10
	v_lshrrev_b32_e32 v18, 3, v19
	s_mov_b32 s19, exec_lo
	v_cmpx_gt_u32_e32 8, v19
; %bb.408:                              ;   in Loop: Header=BB345_274 Depth=1
	v_ffbh_u32_e32 v18, v10
	v_min_u32_e32 v18, 32, v18
	v_subrev_nc_u32_e32 v19, 28, v18
	v_sub_nc_u32_e32 v18, 29, v18
	v_lshlrev_b64 v[55:56], v19, v[10:11]
	v_and_b32_e32 v10, 7, v55
; %bb.409:                              ;   in Loop: Header=BB345_274 Depth=1
	s_or_b32 exec_lo, exec_lo, s19
	v_lshlrev_b32_e32 v19, 16, v16
	v_lshlrev_b32_e32 v10, 20, v10
	v_lshl_add_u32 v18, v18, 23, 0x3c000000
	v_and_b32_e32 v19, 0x80000000, v19
	v_or3_b32 v53, v10, v19, v18
.LBB345_410:                            ;   in Loop: Header=BB345_274 Depth=1
	s_or_b32 exec_lo, exec_lo, s18
.LBB345_411:                            ;   in Loop: Header=BB345_274 Depth=1
	s_or_b32 exec_lo, exec_lo, s17
.LBB345_412:                            ;   in Loop: Header=BB345_274 Depth=1
	s_or_b32 exec_lo, exec_lo, s16
	v_and_b32_sdwa v10, v16, v35 dst_sel:DWORD dst_unused:UNUSED_PAD src0_sel:WORD_1 src1_sel:DWORD
	v_mov_b32_e32 v56, 0
	v_mov_b32_e32 v55, 0
	s_mov_b32 s16, exec_lo
	v_cmpx_ne_u16_e32 0, v10
	s_cbranch_execz .LBB345_420
; %bb.413:                              ;   in Loop: Header=BB345_274 Depth=1
	v_bfrev_b32_e32 v55, 1
	s_mov_b32 s17, exec_lo
	v_cmpx_ne_u16_e32 0x80, v10
	s_cbranch_execz .LBB345_419
; %bb.414:                              ;   in Loop: Header=BB345_274 Depth=1
	v_bfe_u32 v19, v16, 16, 7
	v_mov_b32_e32 v55, 0x7f800001
	s_mov_b32 s18, exec_lo
	v_cmpx_ne_u32_e32 0x7f, v19
	s_cbranch_execz .LBB345_418
; %bb.415:                              ;   in Loop: Header=BB345_274 Depth=1
	v_and_b32_sdwa v10, v16, v36 dst_sel:DWORD dst_unused:UNUSED_PAD src0_sel:WORD_1 src1_sel:DWORD
	v_lshrrev_b32_e32 v18, 3, v19
	s_mov_b32 s19, exec_lo
	v_cmpx_gt_u32_e32 8, v19
; %bb.416:                              ;   in Loop: Header=BB345_274 Depth=1
	v_ffbh_u32_e32 v18, v10
	v_min_u32_e32 v18, 32, v18
	v_subrev_nc_u32_e32 v19, 28, v18
	v_sub_nc_u32_e32 v18, 29, v18
	v_lshlrev_b64 v[57:58], v19, v[10:11]
	v_and_b32_e32 v10, 7, v57
; %bb.417:                              ;   in Loop: Header=BB345_274 Depth=1
	s_or_b32 exec_lo, exec_lo, s19
	v_lshlrev_b32_sdwa v19, v37, v16 dst_sel:DWORD dst_unused:UNUSED_PAD src0_sel:DWORD src1_sel:WORD_1
	v_lshlrev_b32_e32 v10, 20, v10
	v_lshl_add_u32 v18, v18, 23, 0x3c000000
	v_and_b32_e32 v19, 0x80000000, v19
	v_or3_b32 v55, v10, v19, v18
.LBB345_418:                            ;   in Loop: Header=BB345_274 Depth=1
	s_or_b32 exec_lo, exec_lo, s18
.LBB345_419:                            ;   in Loop: Header=BB345_274 Depth=1
	s_or_b32 exec_lo, exec_lo, s17
.LBB345_420:                            ;   in Loop: Header=BB345_274 Depth=1
	s_or_b32 exec_lo, exec_lo, s16
	s_mov_b32 s16, exec_lo
	v_cmpx_lt_u32_e32 0xffffff, v16
	s_cbranch_execz .LBB345_428
; %bb.421:                              ;   in Loop: Header=BB345_274 Depth=1
	v_cmp_ne_u32_sdwa s1, v16, v33 src0_sel:BYTE_3 src1_sel:DWORD
	v_bfrev_b32_e32 v56, 1
	s_and_saveexec_b32 s17, s1
	s_cbranch_execz .LBB345_427
; %bb.422:                              ;   in Loop: Header=BB345_274 Depth=1
	v_bfe_u32 v19, v16, 24, 7
	v_mov_b32_e32 v56, 0x7f800001
	s_mov_b32 s18, exec_lo
	v_cmpx_ne_u32_e32 0x7f, v19
	s_cbranch_execz .LBB345_426
; %bb.423:                              ;   in Loop: Header=BB345_274 Depth=1
	v_and_b32_sdwa v10, v16, v36 dst_sel:DWORD dst_unused:UNUSED_PAD src0_sel:BYTE_3 src1_sel:DWORD
	v_lshrrev_b32_e32 v18, 3, v19
	s_mov_b32 s19, exec_lo
	v_cmpx_gt_u32_e32 8, v19
; %bb.424:                              ;   in Loop: Header=BB345_274 Depth=1
	v_ffbh_u32_e32 v18, v10
	v_min_u32_e32 v18, 32, v18
	v_subrev_nc_u32_e32 v19, 28, v18
	v_sub_nc_u32_e32 v18, 29, v18
	v_lshlrev_b64 v[56:57], v19, v[10:11]
	v_and_b32_e32 v10, 7, v56
; %bb.425:                              ;   in Loop: Header=BB345_274 Depth=1
	s_or_b32 exec_lo, exec_lo, s19
	v_lshlrev_b32_sdwa v19, v37, v16 dst_sel:DWORD dst_unused:UNUSED_PAD src0_sel:DWORD src1_sel:BYTE_3
	v_lshlrev_b32_e32 v10, 20, v10
	v_lshl_add_u32 v18, v18, 23, 0x3c000000
	v_and_b32_e32 v19, 0x80000000, v19
	v_or3_b32 v56, v10, v19, v18
.LBB345_426:                            ;   in Loop: Header=BB345_274 Depth=1
	s_or_b32 exec_lo, exec_lo, s18
.LBB345_427:                            ;   in Loop: Header=BB345_274 Depth=1
	s_or_b32 exec_lo, exec_lo, s17
.LBB345_428:                            ;   in Loop: Header=BB345_274 Depth=1
	s_or_b32 exec_lo, exec_lo, s16
	v_mov_b32_e32 v10, v17
	v_cmp_ne_u16_sdwa s1, v17, v11 src0_sel:BYTE_0 src1_sel:DWORD
	v_mov_b32_e32 v18, 0
	v_mov_b32_e32 v57, 0
	s_and_saveexec_b32 s16, s1
	s_cbranch_execz .LBB345_434
; %bb.429:                              ;   in Loop: Header=BB345_274 Depth=1
	v_cmp_ne_u16_sdwa s1, v17, v33 src0_sel:BYTE_0 src1_sel:DWORD
	v_bfrev_b32_e32 v57, 1
	s_and_saveexec_b32 s17, s1
	s_cbranch_execz .LBB345_433
; %bb.430:                              ;   in Loop: Header=BB345_274 Depth=1
	v_and_b32_e32 v19, 0x7f, v17
	v_mov_b32_e32 v57, 0x7f800001
	s_mov_b32 s18, exec_lo
	v_cmpx_ne_u32_e32 0x7f, v19
	s_cbranch_execz .LBB345_432
; %bb.431:                              ;   in Loop: Header=BB345_274 Depth=1
	v_and_b32_e32 v57, 7, v17
	v_lshrrev_b32_e32 v58, 3, v19
	v_cmp_gt_u32_e64 s1, 8, v19
	v_ffbh_u32_e32 v57, v57
	v_min_u32_e32 v57, 32, v57
	v_subrev_nc_u32_e32 v59, 28, v57
	v_sub_nc_u32_e32 v57, 29, v57
	v_cndmask_b32_e64 v19, v58, v57, s1
	v_cndmask_b32_e64 v57, 0, v59, s1
	v_lshl_add_u32 v19, v19, 23, 0x3c000000
	v_lshlrev_b64 v[57:58], v57, v[10:11]
	v_lshlrev_b32_e32 v58, 24, v10
	v_lshlrev_b32_e32 v57, 20, v57
	v_and_b32_e32 v58, 0x80000000, v58
	v_and_b32_e32 v57, 0x700000, v57
	v_or3_b32 v57, v57, v58, v19
.LBB345_432:                            ;   in Loop: Header=BB345_274 Depth=1
	s_or_b32 exec_lo, exec_lo, s18
.LBB345_433:                            ;   in Loop: Header=BB345_274 Depth=1
	s_or_b32 exec_lo, exec_lo, s17
.LBB345_434:                            ;   in Loop: Header=BB345_274 Depth=1
	s_or_b32 exec_lo, exec_lo, s16
	v_cmp_ne_u16_sdwa s1, v10, v11 src0_sel:BYTE_1 src1_sel:DWORD
	s_and_saveexec_b32 s16, s1
	s_cbranch_execz .LBB345_442
; %bb.435:                              ;   in Loop: Header=BB345_274 Depth=1
	v_cmp_ne_u16_sdwa s1, v10, v33 src0_sel:BYTE_1 src1_sel:DWORD
	v_bfrev_b32_e32 v18, 1
	s_and_saveexec_b32 s17, s1
	s_cbranch_execz .LBB345_441
; %bb.436:                              ;   in Loop: Header=BB345_274 Depth=1
	v_and_b32_sdwa v19, v34, v10 dst_sel:DWORD dst_unused:UNUSED_PAD src0_sel:DWORD src1_sel:BYTE_1
	v_mov_b32_e32 v18, 0x7f800001
	s_mov_b32 s18, exec_lo
	v_and_b32_e32 v59, 0x7f, v19
	v_cmpx_ne_u32_e32 0x7f, v59
	s_cbranch_execz .LBB345_440
; %bb.437:                              ;   in Loop: Header=BB345_274 Depth=1
	v_and_b32_e32 v18, 7, v19
	v_mov_b32_e32 v19, v11
	v_lshrrev_b32_e32 v58, 3, v59
	s_mov_b32 s19, exec_lo
	v_cmpx_gt_u32_e32 8, v59
; %bb.438:                              ;   in Loop: Header=BB345_274 Depth=1
	v_ffbh_u32_e32 v58, v18
	v_min_u32_e32 v58, 32, v58
	v_subrev_nc_u32_e32 v59, 28, v58
	v_sub_nc_u32_e32 v58, 29, v58
	v_lshlrev_b64 v[18:19], v59, v[18:19]
	v_and_b32_e32 v18, 7, v18
; %bb.439:                              ;   in Loop: Header=BB345_274 Depth=1
	s_or_b32 exec_lo, exec_lo, s19
	v_lshlrev_b32_e32 v10, 16, v10
	v_lshlrev_b32_e32 v18, 20, v18
	v_lshl_add_u32 v19, v58, 23, 0x3c000000
	v_and_b32_e32 v10, 0x80000000, v10
	v_or3_b32 v18, v18, v10, v19
.LBB345_440:                            ;   in Loop: Header=BB345_274 Depth=1
	s_or_b32 exec_lo, exec_lo, s18
.LBB345_441:                            ;   in Loop: Header=BB345_274 Depth=1
	s_or_b32 exec_lo, exec_lo, s17
.LBB345_442:                            ;   in Loop: Header=BB345_274 Depth=1
	s_or_b32 exec_lo, exec_lo, s16
	v_and_b32_sdwa v10, v17, v35 dst_sel:DWORD dst_unused:UNUSED_PAD src0_sel:WORD_1 src1_sel:DWORD
	v_mov_b32_e32 v19, 0
	v_mov_b32_e32 v58, 0
	s_mov_b32 s16, exec_lo
	v_cmpx_ne_u16_e32 0, v10
	s_cbranch_execz .LBB345_450
; %bb.443:                              ;   in Loop: Header=BB345_274 Depth=1
	v_bfrev_b32_e32 v58, 1
	s_mov_b32 s17, exec_lo
	v_cmpx_ne_u16_e32 0x80, v10
	s_cbranch_execz .LBB345_449
; %bb.444:                              ;   in Loop: Header=BB345_274 Depth=1
	v_bfe_u32 v59, v17, 16, 7
	v_mov_b32_e32 v58, 0x7f800001
	s_mov_b32 s18, exec_lo
	v_cmpx_ne_u32_e32 0x7f, v59
	s_cbranch_execz .LBB345_448
; %bb.445:                              ;   in Loop: Header=BB345_274 Depth=1
	v_and_b32_sdwa v10, v17, v36 dst_sel:DWORD dst_unused:UNUSED_PAD src0_sel:WORD_1 src1_sel:DWORD
	v_lshrrev_b32_e32 v58, 3, v59
	s_mov_b32 s19, exec_lo
	v_cmpx_gt_u32_e32 8, v59
; %bb.446:                              ;   in Loop: Header=BB345_274 Depth=1
	v_ffbh_u32_e32 v58, v10
	v_min_u32_e32 v58, 32, v58
	v_subrev_nc_u32_e32 v59, 28, v58
	v_sub_nc_u32_e32 v58, 29, v58
	v_lshlrev_b64 v[59:60], v59, v[10:11]
	v_and_b32_e32 v10, 7, v59
; %bb.447:                              ;   in Loop: Header=BB345_274 Depth=1
	s_or_b32 exec_lo, exec_lo, s19
	v_lshlrev_b32_sdwa v59, v37, v17 dst_sel:DWORD dst_unused:UNUSED_PAD src0_sel:DWORD src1_sel:WORD_1
	v_lshlrev_b32_e32 v10, 20, v10
	v_lshl_add_u32 v58, v58, 23, 0x3c000000
	v_and_b32_e32 v59, 0x80000000, v59
	v_or3_b32 v58, v10, v59, v58
.LBB345_448:                            ;   in Loop: Header=BB345_274 Depth=1
	s_or_b32 exec_lo, exec_lo, s18
.LBB345_449:                            ;   in Loop: Header=BB345_274 Depth=1
	s_or_b32 exec_lo, exec_lo, s17
.LBB345_450:                            ;   in Loop: Header=BB345_274 Depth=1
	s_or_b32 exec_lo, exec_lo, s16
	s_mov_b32 s16, exec_lo
	v_cmpx_lt_u64_e64 s[6:7], v[16:17]
	s_cbranch_execz .LBB345_458
; %bb.451:                              ;   in Loop: Header=BB345_274 Depth=1
	v_cmp_ne_u32_sdwa s1, v17, v33 src0_sel:BYTE_3 src1_sel:DWORD
	v_bfrev_b32_e32 v19, 1
	s_and_saveexec_b32 s17, s1
	s_cbranch_execz .LBB345_457
; %bb.452:                              ;   in Loop: Header=BB345_274 Depth=1
	v_bfe_u32 v59, v17, 24, 7
	v_mov_b32_e32 v19, 0x7f800001
	s_mov_b32 s18, exec_lo
	v_cmpx_ne_u32_e32 0x7f, v59
	s_cbranch_execz .LBB345_456
; %bb.453:                              ;   in Loop: Header=BB345_274 Depth=1
	v_and_b32_sdwa v10, v17, v36 dst_sel:DWORD dst_unused:UNUSED_PAD src0_sel:BYTE_3 src1_sel:DWORD
	v_lshrrev_b32_e32 v16, 3, v59
	s_mov_b32 s19, exec_lo
	v_cmpx_gt_u32_e32 8, v59
; %bb.454:                              ;   in Loop: Header=BB345_274 Depth=1
	v_ffbh_u32_e32 v16, v10
	v_min_u32_e32 v16, 32, v16
	v_subrev_nc_u32_e32 v19, 28, v16
	v_sub_nc_u32_e32 v16, 29, v16
	v_lshlrev_b64 v[59:60], v19, v[10:11]
	v_and_b32_e32 v10, 7, v59
; %bb.455:                              ;   in Loop: Header=BB345_274 Depth=1
	s_or_b32 exec_lo, exec_lo, s19
	v_lshlrev_b32_sdwa v17, v37, v17 dst_sel:DWORD dst_unused:UNUSED_PAD src0_sel:DWORD src1_sel:BYTE_3
	v_lshlrev_b32_e32 v10, 20, v10
	v_lshl_add_u32 v16, v16, 23, 0x3c000000
	v_and_b32_e32 v17, 0x80000000, v17
	v_or3_b32 v19, v10, v17, v16
.LBB345_456:                            ;   in Loop: Header=BB345_274 Depth=1
	s_or_b32 exec_lo, exec_lo, s18
.LBB345_457:                            ;   in Loop: Header=BB345_274 Depth=1
	s_or_b32 exec_lo, exec_lo, s17
.LBB345_458:                            ;   in Loop: Header=BB345_274 Depth=1
	s_or_b32 exec_lo, exec_lo, s16
	v_mul_f32_e32 v10, s14, v18
	v_mul_f32_e32 v16, s14, v57
	;; [unrolled: 1-line block ×5, first 2 shown]
	v_bfe_u32 v55, v10, 16, 1
	v_or_b32_e32 v56, 0x400000, v10
	v_bfe_u32 v57, v16, 16, 1
	v_cmp_u_f32_e64 s1, v10, v10
	v_or_b32_e32 v59, 0x400000, v16
	v_add3_u32 v55, v55, v10, 0x7fff
	v_bfe_u32 v60, v17, 16, 1
	v_add3_u32 v57, v57, v16, 0x7fff
	v_or_b32_e32 v61, 0x400000, v17
	v_bfe_u32 v62, v18, 16, 1
	v_cndmask_b32_e64 v10, v55, v56, s1
	v_cmp_u_f32_e64 s1, v16, v16
	v_add3_u32 v60, v60, v17, 0x7fff
	v_mul_f32_e32 v19, s14, v19
	v_add3_u32 v56, v62, v18, 0x7fff
	v_cndmask_b32_e64 v16, v57, v59, s1
	v_cmp_u_f32_e64 s1, v17, v17
	v_lshrrev_b32_e32 v17, 16, v10
	v_mul_f32_e32 v10, s14, v53
	v_or_b32_e32 v57, 0x400000, v18
	v_lshrrev_b32_e32 v16, 16, v16
	v_cndmask_b32_e64 v55, v60, v61, s1
	v_cmp_u_f32_e64 s1, v18, v18
	v_or_b32_e32 v61, 0x400000, v19
	v_lshrrev_b32_e32 v53, 16, v55
	v_bfe_u32 v55, v10, 16, 1
	v_cndmask_b32_e64 v18, v56, v57, s1
	v_mul_f32_e32 v56, s14, v58
	v_or_b32_e32 v57, 0x400000, v10
	v_bfe_u32 v58, v54, 16, 1
	v_add3_u32 v55, v55, v10, 0x7fff
	v_cmp_u_f32_e64 s1, v10, v10
	v_bfe_u32 v59, v56, 16, 1
	v_or_b32_e32 v60, 0x400000, v56
	v_cndmask_b32_e64 v10, v55, v57, s1
	v_add3_u32 v57, v58, v54, 0x7fff
	v_or_b32_e32 v58, 0x400000, v54
	v_cmp_u_f32_e64 s1, v54, v54
	v_bfe_u32 v55, v19, 16, 1
	v_add3_u32 v59, v59, v56, 0x7fff
	v_lshrrev_b32_e32 v54, 16, v18
	v_cndmask_b32_e64 v57, v57, v58, s1
	v_cmp_u_f32_e64 s1, v56, v56
	v_add3_u32 v55, v55, v19, 0x7fff
	v_lshrrev_b32_e32 v56, 16, v10
	v_cndmask_b32_e64 v58, v59, v60, s1
	v_cmp_u_f32_e64 s1, v19, v19
	v_lshrrev_b32_e32 v18, 16, v58
	v_cndmask_b32_e64 v19, v55, v61, s1
	v_lshrrev_b32_e32 v55, 16, v57
	v_lshrrev_b32_e32 v19, 16, v19
	s_and_saveexec_b32 s16, s0
	s_cbranch_execz .LBB345_460
; %bb.459:                              ;   in Loop: Header=BB345_274 Depth=1
	v_add_nc_u32_e32 v10, -6, v31
	v_cmp_gt_i32_e64 s1, s27, v46
	v_add_nc_u32_e32 v57, -5, v31
	v_add_nc_u32_e32 v58, -2, v31
	v_cndmask_b32_e64 v55, 0, v55, s1
	v_cmp_gt_i32_e64 s1, s27, v10
	v_add_nc_u32_e32 v10, -4, v31
	v_cndmask_b32_e64 v56, 0, v56, s1
	v_cmp_gt_i32_e64 s1, s27, v57
	;; [unrolled: 3-line block ×4, first 2 shown]
	v_cndmask_b32_e64 v16, 0, v16, s1
	v_cmp_gt_i32_e64 s1, s27, v58
	v_cndmask_b32_e64 v17, 0, v17, s1
	v_cmp_gt_i32_e64 s1, s27, v10
	;; [unrolled: 2-line block ×3, first 2 shown]
	v_cndmask_b32_e64 v19, 0, v19, s1
.LBB345_460:                            ;   in Loop: Header=BB345_274 Depth=1
	s_or_b32 exec_lo, exec_lo, s16
	v_bfe_u32 v10, v5, 16, 1
	v_bfe_u32 v57, v6, 16, 1
	v_or_b32_e32 v58, 0x400000, v5
	v_cmp_u_f32_e64 s1, v5, v5
	v_or_b32_e32 v59, 0x400000, v6
	v_add3_u32 v10, v10, v5, 0x7fff
	v_bfe_u32 v60, v7, 16, 1
	v_add3_u32 v57, v57, v6, 0x7fff
	v_bfe_u32 v61, v8, 16, 1
	v_cndmask_b32_e64 v5, v10, v58, s1
	v_cmp_u_f32_e64 s1, v6, v6
	v_add3_u32 v10, v60, v7, 0x7fff
	v_bfe_u32 v58, v1, 16, 1
	v_or_b32_e32 v60, 0x400000, v8
	v_cndmask_b32_e64 v6, v57, v59, s1
	v_or_b32_e32 v57, 0x400000, v7
	v_cmp_u_f32_e64 s1, v7, v7
	v_add3_u32 v59, v61, v8, 0x7fff
	v_or_b32_e32 v61, 0x400000, v4
	v_cndmask_b32_e64 v7, v10, v57, s1
	v_cmp_u_f32_e64 s1, v8, v8
	v_add3_u32 v10, v58, v1, 0x7fff
	v_or_b32_e32 v57, 0x400000, v1
	v_bfe_u32 v8, v2, 16, 1
	v_cndmask_b32_e64 v58, v59, v60, s1
	v_cmp_u_f32_e64 s1, v1, v1
	v_bfe_u32 v59, v3, 16, 1
	v_add3_u32 v8, v8, v2, 0x7fff
	v_or_b32_e32 v60, 0x400000, v3
	v_perm_b32 v7, v58, v7, 0x7060302
	v_cndmask_b32_e64 v1, v10, v57, s1
	v_or_b32_e32 v57, 0x400000, v2
	v_cmp_u_f32_e64 s1, v2, v2
	v_bfe_u32 v10, v4, 16, 1
	v_add3_u32 v59, v59, v3, 0x7fff
	v_cndmask_b32_e64 v2, v8, v57, s1
	v_cmp_u_f32_e64 s1, v3, v3
	v_add3_u32 v10, v10, v4, 0x7fff
	v_perm_b32 v8, v6, v5, 0x7060302
	v_perm_b32 v6, v2, v1, 0x7060302
	v_cndmask_b32_e64 v3, v59, v60, s1
	v_cmp_u_f32_e64 s1, v4, v4
	v_cndmask_b32_e64 v4, v10, v61, s1
	v_perm_b32 v5, v4, v3, 0x7060302
	s_and_saveexec_b32 s16, vcc_lo
	s_cbranch_execz .LBB345_273
; %bb.461:                              ;   in Loop: Header=BB345_274 Depth=1
	v_add_co_u32 v1, s1, v14, v30
	v_add_co_ci_u32_e64 v2, null, 0, v15, s1
	v_mov_b32_e32 v15, 0
	v_mov_b32_e32 v14, 0
	global_load_dwordx2 v[1:2], v[1:2], off
	s_waitcnt vmcnt(0)
	v_cmp_ne_u16_sdwa s1, v1, v11 src0_sel:BYTE_0 src1_sel:DWORD
	s_and_saveexec_b32 s17, s1
	s_cbranch_execz .LBB345_467
; %bb.462:                              ;   in Loop: Header=BB345_274 Depth=1
	v_cmp_ne_u16_sdwa s1, v1, v33 src0_sel:BYTE_0 src1_sel:DWORD
	v_bfrev_b32_e32 v14, 1
	s_and_saveexec_b32 s18, s1
	s_cbranch_execz .LBB345_466
; %bb.463:                              ;   in Loop: Header=BB345_274 Depth=1
	v_and_b32_e32 v3, 0x7f, v1
	v_mov_b32_e32 v14, 0x7f800001
	s_mov_b32 s19, exec_lo
	v_cmpx_ne_u32_e32 0x7f, v3
	s_cbranch_execz .LBB345_465
; %bb.464:                              ;   in Loop: Header=BB345_274 Depth=1
	v_and_b32_e32 v4, 7, v1
	v_cmp_gt_u32_e64 s1, 8, v3
	v_lshrrev_b32_e32 v10, 3, v3
	v_ffbh_u32_e32 v4, v4
	v_min_u32_e32 v4, 32, v4
	v_subrev_nc_u32_e32 v14, 28, v4
	v_sub_nc_u32_e32 v4, 29, v4
	v_cndmask_b32_e64 v3, 0, v14, s1
	v_cndmask_b32_e64 v10, v10, v4, s1
	v_lshlrev_b64 v[3:4], v3, v[1:2]
	v_lshlrev_b32_e32 v4, 24, v1
	v_lshl_add_u32 v10, v10, 23, 0x3c000000
	v_lshlrev_b32_e32 v3, 20, v3
	v_and_b32_e32 v4, 0x80000000, v4
	v_and_b32_e32 v3, 0x700000, v3
	v_or3_b32 v14, v3, v4, v10
.LBB345_465:                            ;   in Loop: Header=BB345_274 Depth=1
	s_or_b32 exec_lo, exec_lo, s19
.LBB345_466:                            ;   in Loop: Header=BB345_274 Depth=1
	s_or_b32 exec_lo, exec_lo, s18
.LBB345_467:                            ;   in Loop: Header=BB345_274 Depth=1
	s_or_b32 exec_lo, exec_lo, s17
	v_cmp_ne_u16_sdwa s1, v1, v11 src0_sel:BYTE_1 src1_sel:DWORD
	s_and_saveexec_b32 s17, s1
	s_cbranch_execz .LBB345_475
; %bb.468:                              ;   in Loop: Header=BB345_274 Depth=1
	v_cmp_ne_u16_sdwa s1, v1, v33 src0_sel:BYTE_1 src1_sel:DWORD
	v_bfrev_b32_e32 v15, 1
	s_and_saveexec_b32 s18, s1
	s_cbranch_execz .LBB345_474
; %bb.469:                              ;   in Loop: Header=BB345_274 Depth=1
	v_and_b32_sdwa v3, v34, v1 dst_sel:DWORD dst_unused:UNUSED_PAD src0_sel:DWORD src1_sel:BYTE_1
	v_mov_b32_e32 v15, 0x7f800001
	s_mov_b32 s19, exec_lo
	v_and_b32_e32 v4, 0x7f, v3
	v_cmpx_ne_u32_e32 0x7f, v4
	s_cbranch_execz .LBB345_473
; %bb.470:                              ;   in Loop: Header=BB345_274 Depth=1
	v_and_b32_e32 v10, 7, v3
	v_lshrrev_b32_e32 v3, 3, v4
	s_mov_b32 s20, exec_lo
	v_cmpx_gt_u32_e32 8, v4
; %bb.471:                              ;   in Loop: Header=BB345_274 Depth=1
	v_ffbh_u32_e32 v3, v10
	v_min_u32_e32 v3, 32, v3
	v_subrev_nc_u32_e32 v4, 28, v3
	v_sub_nc_u32_e32 v3, 29, v3
	v_lshlrev_b64 v[57:58], v4, v[10:11]
	v_and_b32_e32 v10, 7, v57
; %bb.472:                              ;   in Loop: Header=BB345_274 Depth=1
	s_or_b32 exec_lo, exec_lo, s20
	v_lshlrev_b32_e32 v4, 16, v1
	v_lshlrev_b32_e32 v10, 20, v10
	v_lshl_add_u32 v3, v3, 23, 0x3c000000
	v_and_b32_e32 v4, 0x80000000, v4
	v_or3_b32 v15, v10, v4, v3
.LBB345_473:                            ;   in Loop: Header=BB345_274 Depth=1
	s_or_b32 exec_lo, exec_lo, s19
.LBB345_474:                            ;   in Loop: Header=BB345_274 Depth=1
	s_or_b32 exec_lo, exec_lo, s18
.LBB345_475:                            ;   in Loop: Header=BB345_274 Depth=1
	s_or_b32 exec_lo, exec_lo, s17
	v_and_b32_sdwa v3, v1, v35 dst_sel:DWORD dst_unused:UNUSED_PAD src0_sel:WORD_1 src1_sel:DWORD
	v_mov_b32_e32 v58, 0
	v_mov_b32_e32 v57, 0
	s_mov_b32 s17, exec_lo
	v_cmpx_ne_u16_e32 0, v3
	s_cbranch_execz .LBB345_483
; %bb.476:                              ;   in Loop: Header=BB345_274 Depth=1
	v_bfrev_b32_e32 v57, 1
	s_mov_b32 s18, exec_lo
	v_cmpx_ne_u16_e32 0x80, v3
	s_cbranch_execz .LBB345_482
; %bb.477:                              ;   in Loop: Header=BB345_274 Depth=1
	v_bfe_u32 v4, v1, 16, 7
	v_mov_b32_e32 v57, 0x7f800001
	s_mov_b32 s19, exec_lo
	v_cmpx_ne_u32_e32 0x7f, v4
	s_cbranch_execz .LBB345_481
; %bb.478:                              ;   in Loop: Header=BB345_274 Depth=1
	v_and_b32_sdwa v10, v1, v36 dst_sel:DWORD dst_unused:UNUSED_PAD src0_sel:WORD_1 src1_sel:DWORD
	v_lshrrev_b32_e32 v3, 3, v4
	s_mov_b32 s20, exec_lo
	v_cmpx_gt_u32_e32 8, v4
; %bb.479:                              ;   in Loop: Header=BB345_274 Depth=1
	v_ffbh_u32_e32 v3, v10
	v_min_u32_e32 v3, 32, v3
	v_subrev_nc_u32_e32 v4, 28, v3
	v_sub_nc_u32_e32 v3, 29, v3
	v_lshlrev_b64 v[59:60], v4, v[10:11]
	v_and_b32_e32 v10, 7, v59
; %bb.480:                              ;   in Loop: Header=BB345_274 Depth=1
	s_or_b32 exec_lo, exec_lo, s20
	v_lshlrev_b32_sdwa v4, v37, v1 dst_sel:DWORD dst_unused:UNUSED_PAD src0_sel:DWORD src1_sel:WORD_1
	v_lshlrev_b32_e32 v10, 20, v10
	v_lshl_add_u32 v3, v3, 23, 0x3c000000
	v_and_b32_e32 v4, 0x80000000, v4
	v_or3_b32 v57, v10, v4, v3
.LBB345_481:                            ;   in Loop: Header=BB345_274 Depth=1
	s_or_b32 exec_lo, exec_lo, s19
.LBB345_482:                            ;   in Loop: Header=BB345_274 Depth=1
	s_or_b32 exec_lo, exec_lo, s18
.LBB345_483:                            ;   in Loop: Header=BB345_274 Depth=1
	s_or_b32 exec_lo, exec_lo, s17
	s_mov_b32 s17, exec_lo
	v_cmpx_lt_u32_e32 0xffffff, v1
	s_cbranch_execz .LBB345_491
; %bb.484:                              ;   in Loop: Header=BB345_274 Depth=1
	v_cmp_ne_u32_sdwa s1, v1, v33 src0_sel:BYTE_3 src1_sel:DWORD
	v_bfrev_b32_e32 v58, 1
	s_and_saveexec_b32 s18, s1
	s_cbranch_execz .LBB345_490
; %bb.485:                              ;   in Loop: Header=BB345_274 Depth=1
	v_bfe_u32 v4, v1, 24, 7
	v_mov_b32_e32 v58, 0x7f800001
	s_mov_b32 s19, exec_lo
	v_cmpx_ne_u32_e32 0x7f, v4
	s_cbranch_execz .LBB345_489
; %bb.486:                              ;   in Loop: Header=BB345_274 Depth=1
	v_and_b32_sdwa v10, v1, v36 dst_sel:DWORD dst_unused:UNUSED_PAD src0_sel:BYTE_3 src1_sel:DWORD
	v_lshrrev_b32_e32 v3, 3, v4
	s_mov_b32 s20, exec_lo
	v_cmpx_gt_u32_e32 8, v4
; %bb.487:                              ;   in Loop: Header=BB345_274 Depth=1
	v_ffbh_u32_e32 v3, v10
	v_min_u32_e32 v3, 32, v3
	v_subrev_nc_u32_e32 v4, 28, v3
	v_sub_nc_u32_e32 v3, 29, v3
	v_lshlrev_b64 v[58:59], v4, v[10:11]
	v_and_b32_e32 v10, 7, v58
; %bb.488:                              ;   in Loop: Header=BB345_274 Depth=1
	s_or_b32 exec_lo, exec_lo, s20
	v_lshlrev_b32_sdwa v4, v37, v1 dst_sel:DWORD dst_unused:UNUSED_PAD src0_sel:DWORD src1_sel:BYTE_3
	v_lshlrev_b32_e32 v10, 20, v10
	v_lshl_add_u32 v3, v3, 23, 0x3c000000
	v_and_b32_e32 v4, 0x80000000, v4
	v_or3_b32 v58, v10, v4, v3
.LBB345_489:                            ;   in Loop: Header=BB345_274 Depth=1
	s_or_b32 exec_lo, exec_lo, s19
.LBB345_490:                            ;   in Loop: Header=BB345_274 Depth=1
	s_or_b32 exec_lo, exec_lo, s18
.LBB345_491:                            ;   in Loop: Header=BB345_274 Depth=1
	s_or_b32 exec_lo, exec_lo, s17
	v_mov_b32_e32 v10, v2
	v_cmp_ne_u16_sdwa s1, v2, v11 src0_sel:BYTE_0 src1_sel:DWORD
	v_mov_b32_e32 v3, 0
	v_mov_b32_e32 v59, 0
	s_and_saveexec_b32 s17, s1
	s_cbranch_execz .LBB345_497
; %bb.492:                              ;   in Loop: Header=BB345_274 Depth=1
	v_cmp_ne_u16_sdwa s1, v2, v33 src0_sel:BYTE_0 src1_sel:DWORD
	v_bfrev_b32_e32 v59, 1
	s_and_saveexec_b32 s18, s1
	s_cbranch_execz .LBB345_496
; %bb.493:                              ;   in Loop: Header=BB345_274 Depth=1
	v_and_b32_e32 v4, 0x7f, v2
	v_mov_b32_e32 v59, 0x7f800001
	s_mov_b32 s19, exec_lo
	v_cmpx_ne_u32_e32 0x7f, v4
	s_cbranch_execz .LBB345_495
; %bb.494:                              ;   in Loop: Header=BB345_274 Depth=1
	v_and_b32_e32 v59, 7, v2
	v_lshrrev_b32_e32 v60, 3, v4
	v_cmp_gt_u32_e64 s1, 8, v4
	v_ffbh_u32_e32 v59, v59
	v_min_u32_e32 v59, 32, v59
	v_subrev_nc_u32_e32 v61, 28, v59
	v_sub_nc_u32_e32 v59, 29, v59
	v_cndmask_b32_e64 v4, v60, v59, s1
	v_cndmask_b32_e64 v59, 0, v61, s1
	v_lshl_add_u32 v4, v4, 23, 0x3c000000
	v_lshlrev_b64 v[59:60], v59, v[10:11]
	v_lshlrev_b32_e32 v60, 24, v10
	v_lshlrev_b32_e32 v59, 20, v59
	v_and_b32_e32 v60, 0x80000000, v60
	v_and_b32_e32 v59, 0x700000, v59
	v_or3_b32 v59, v59, v60, v4
.LBB345_495:                            ;   in Loop: Header=BB345_274 Depth=1
	s_or_b32 exec_lo, exec_lo, s19
.LBB345_496:                            ;   in Loop: Header=BB345_274 Depth=1
	s_or_b32 exec_lo, exec_lo, s18
.LBB345_497:                            ;   in Loop: Header=BB345_274 Depth=1
	s_or_b32 exec_lo, exec_lo, s17
	v_cmp_ne_u16_sdwa s1, v10, v11 src0_sel:BYTE_1 src1_sel:DWORD
	s_and_saveexec_b32 s17, s1
	s_cbranch_execz .LBB345_505
; %bb.498:                              ;   in Loop: Header=BB345_274 Depth=1
	v_cmp_ne_u16_sdwa s1, v10, v33 src0_sel:BYTE_1 src1_sel:DWORD
	v_bfrev_b32_e32 v3, 1
	s_and_saveexec_b32 s18, s1
	s_cbranch_execz .LBB345_504
; %bb.499:                              ;   in Loop: Header=BB345_274 Depth=1
	v_and_b32_sdwa v4, v34, v10 dst_sel:DWORD dst_unused:UNUSED_PAD src0_sel:DWORD src1_sel:BYTE_1
	v_mov_b32_e32 v3, 0x7f800001
	s_mov_b32 s19, exec_lo
	v_and_b32_e32 v61, 0x7f, v4
	v_cmpx_ne_u32_e32 0x7f, v61
	s_cbranch_execz .LBB345_503
; %bb.500:                              ;   in Loop: Header=BB345_274 Depth=1
	v_and_b32_e32 v3, 7, v4
	v_mov_b32_e32 v4, v11
	v_lshrrev_b32_e32 v60, 3, v61
	s_mov_b32 s20, exec_lo
	v_cmpx_gt_u32_e32 8, v61
; %bb.501:                              ;   in Loop: Header=BB345_274 Depth=1
	v_ffbh_u32_e32 v60, v3
	v_min_u32_e32 v60, 32, v60
	v_subrev_nc_u32_e32 v61, 28, v60
	v_sub_nc_u32_e32 v60, 29, v60
	v_lshlrev_b64 v[3:4], v61, v[3:4]
	v_and_b32_e32 v3, 7, v3
; %bb.502:                              ;   in Loop: Header=BB345_274 Depth=1
	s_or_b32 exec_lo, exec_lo, s20
	v_lshlrev_b32_e32 v4, 16, v10
	v_lshlrev_b32_e32 v3, 20, v3
	v_lshl_add_u32 v10, v60, 23, 0x3c000000
	v_and_b32_e32 v4, 0x80000000, v4
	v_or3_b32 v3, v3, v4, v10
.LBB345_503:                            ;   in Loop: Header=BB345_274 Depth=1
	s_or_b32 exec_lo, exec_lo, s19
.LBB345_504:                            ;   in Loop: Header=BB345_274 Depth=1
	s_or_b32 exec_lo, exec_lo, s18
.LBB345_505:                            ;   in Loop: Header=BB345_274 Depth=1
	s_or_b32 exec_lo, exec_lo, s17
	v_and_b32_sdwa v10, v2, v35 dst_sel:DWORD dst_unused:UNUSED_PAD src0_sel:WORD_1 src1_sel:DWORD
	v_mov_b32_e32 v4, 0
	v_mov_b32_e32 v60, 0
	s_mov_b32 s17, exec_lo
	v_cmpx_ne_u16_e32 0, v10
	s_cbranch_execz .LBB345_513
; %bb.506:                              ;   in Loop: Header=BB345_274 Depth=1
	v_bfrev_b32_e32 v60, 1
	s_mov_b32 s18, exec_lo
	v_cmpx_ne_u16_e32 0x80, v10
	s_cbranch_execz .LBB345_512
; %bb.507:                              ;   in Loop: Header=BB345_274 Depth=1
	v_bfe_u32 v61, v2, 16, 7
	v_mov_b32_e32 v60, 0x7f800001
	s_mov_b32 s19, exec_lo
	v_cmpx_ne_u32_e32 0x7f, v61
	s_cbranch_execz .LBB345_511
; %bb.508:                              ;   in Loop: Header=BB345_274 Depth=1
	v_and_b32_sdwa v10, v2, v36 dst_sel:DWORD dst_unused:UNUSED_PAD src0_sel:WORD_1 src1_sel:DWORD
	v_lshrrev_b32_e32 v60, 3, v61
	s_mov_b32 s20, exec_lo
	v_cmpx_gt_u32_e32 8, v61
; %bb.509:                              ;   in Loop: Header=BB345_274 Depth=1
	v_ffbh_u32_e32 v60, v10
	v_min_u32_e32 v60, 32, v60
	v_subrev_nc_u32_e32 v61, 28, v60
	v_sub_nc_u32_e32 v60, 29, v60
	v_lshlrev_b64 v[61:62], v61, v[10:11]
	v_and_b32_e32 v10, 7, v61
; %bb.510:                              ;   in Loop: Header=BB345_274 Depth=1
	s_or_b32 exec_lo, exec_lo, s20
	v_lshlrev_b32_sdwa v61, v37, v2 dst_sel:DWORD dst_unused:UNUSED_PAD src0_sel:DWORD src1_sel:WORD_1
	v_lshlrev_b32_e32 v10, 20, v10
	v_lshl_add_u32 v60, v60, 23, 0x3c000000
	v_and_b32_e32 v61, 0x80000000, v61
	v_or3_b32 v60, v10, v61, v60
.LBB345_511:                            ;   in Loop: Header=BB345_274 Depth=1
	s_or_b32 exec_lo, exec_lo, s19
.LBB345_512:                            ;   in Loop: Header=BB345_274 Depth=1
	s_or_b32 exec_lo, exec_lo, s18
.LBB345_513:                            ;   in Loop: Header=BB345_274 Depth=1
	s_or_b32 exec_lo, exec_lo, s17
	s_mov_b32 s17, exec_lo
	v_cmpx_lt_u64_e64 s[6:7], v[1:2]
	s_cbranch_execz .LBB345_521
; %bb.514:                              ;   in Loop: Header=BB345_274 Depth=1
	v_cmp_ne_u32_sdwa s1, v2, v33 src0_sel:BYTE_3 src1_sel:DWORD
	v_bfrev_b32_e32 v4, 1
	s_and_saveexec_b32 s18, s1
	s_cbranch_execz .LBB345_520
; %bb.515:                              ;   in Loop: Header=BB345_274 Depth=1
	v_bfe_u32 v61, v2, 24, 7
	v_mov_b32_e32 v4, 0x7f800001
	s_mov_b32 s19, exec_lo
	v_cmpx_ne_u32_e32 0x7f, v61
	s_cbranch_execz .LBB345_519
; %bb.516:                              ;   in Loop: Header=BB345_274 Depth=1
	v_and_b32_sdwa v10, v2, v36 dst_sel:DWORD dst_unused:UNUSED_PAD src0_sel:BYTE_3 src1_sel:DWORD
	v_lshrrev_b32_e32 v1, 3, v61
	s_mov_b32 s20, exec_lo
	v_cmpx_gt_u32_e32 8, v61
; %bb.517:                              ;   in Loop: Header=BB345_274 Depth=1
	v_ffbh_u32_e32 v1, v10
	v_min_u32_e32 v1, 32, v1
	v_subrev_nc_u32_e32 v4, 28, v1
	v_sub_nc_u32_e32 v1, 29, v1
	v_lshlrev_b64 v[61:62], v4, v[10:11]
	v_and_b32_e32 v10, 7, v61
; %bb.518:                              ;   in Loop: Header=BB345_274 Depth=1
	s_or_b32 exec_lo, exec_lo, s20
	v_lshlrev_b32_sdwa v2, v37, v2 dst_sel:DWORD dst_unused:UNUSED_PAD src0_sel:DWORD src1_sel:BYTE_3
	v_lshlrev_b32_e32 v4, 20, v10
	v_lshl_add_u32 v1, v1, 23, 0x3c000000
	v_and_b32_e32 v2, 0x80000000, v2
	v_or3_b32 v4, v4, v2, v1
.LBB345_519:                            ;   in Loop: Header=BB345_274 Depth=1
	s_or_b32 exec_lo, exec_lo, s19
.LBB345_520:                            ;   in Loop: Header=BB345_274 Depth=1
	s_or_b32 exec_lo, exec_lo, s18
.LBB345_521:                            ;   in Loop: Header=BB345_274 Depth=1
	s_or_b32 exec_lo, exec_lo, s17
	v_mul_f32_e32 v1, s14, v3
	v_mul_f32_e32 v2, s14, v59
	;; [unrolled: 1-line block ×5, first 2 shown]
	v_bfe_u32 v10, v1, 16, 1
	v_or_b32_e32 v58, 0x400000, v1
	v_bfe_u32 v59, v2, 16, 1
	v_cmp_u_f32_e64 s1, v1, v1
	v_or_b32_e32 v61, 0x400000, v2
	v_add3_u32 v10, v10, v1, 0x7fff
	v_bfe_u32 v62, v3, 16, 1
	v_add3_u32 v59, v59, v2, 0x7fff
	v_or_b32_e32 v63, 0x400000, v3
	v_bfe_u32 v64, v57, 16, 1
	v_cndmask_b32_e64 v1, v10, v58, s1
	v_cmp_u_f32_e64 s1, v2, v2
	v_add3_u32 v62, v62, v3, 0x7fff
	v_mul_f32_e32 v14, s14, v14
	v_add3_u32 v58, v64, v57, 0x7fff
	v_lshrrev_b32_e32 v2, 16, v1
	v_cndmask_b32_e64 v10, v59, v61, s1
	v_cmp_u_f32_e64 s1, v3, v3
	v_or_b32_e32 v59, 0x400000, v57
	v_mul_f32_e32 v4, s14, v4
	v_lshrrev_b32_e32 v1, 16, v10
	v_cndmask_b32_e64 v3, v62, v63, s1
	v_cmp_u_f32_e64 s1, v57, v57
	v_or_b32_e32 v63, 0x400000, v4
	v_lshrrev_b32_e32 v10, 16, v3
	v_bfe_u32 v3, v15, 16, 1
	v_cndmask_b32_e64 v57, v58, v59, s1
	v_mul_f32_e32 v58, s14, v60
	v_or_b32_e32 v59, 0x400000, v15
	v_bfe_u32 v60, v14, 16, 1
	v_add3_u32 v3, v3, v15, 0x7fff
	v_cmp_u_f32_e64 s1, v15, v15
	v_bfe_u32 v61, v58, 16, 1
	v_bfe_u32 v15, v4, 16, 1
	v_or_b32_e32 v62, 0x400000, v58
	v_cndmask_b32_e64 v3, v3, v59, s1
	v_add3_u32 v59, v60, v14, 0x7fff
	v_or_b32_e32 v60, 0x400000, v14
	v_cmp_u_f32_e64 s1, v14, v14
	v_add3_u32 v61, v61, v58, 0x7fff
	v_add3_u32 v15, v15, v4, 0x7fff
	v_lshrrev_b32_e32 v14, 16, v57
	v_lshrrev_b32_e32 v57, 16, v3
	v_cndmask_b32_e64 v59, v59, v60, s1
	v_cmp_u_f32_e64 s1, v58, v58
	v_cndmask_b32_e64 v58, v61, v62, s1
	v_cmp_u_f32_e64 s1, v4, v4
	v_lshrrev_b32_e32 v3, 16, v58
	v_cndmask_b32_e64 v4, v15, v63, s1
	v_lshrrev_b32_e32 v15, 16, v59
	v_lshrrev_b32_e32 v4, 16, v4
	s_and_saveexec_b32 s1, s0
	s_cbranch_execz .LBB345_272
; %bb.522:                              ;   in Loop: Header=BB345_274 Depth=1
	v_add_nc_u32_e32 v58, -6, v31
	v_cmp_gt_i32_e64 s0, s27, v46
	v_add_nc_u32_e32 v59, -5, v31
	v_add_nc_u32_e32 v46, -4, v31
	v_cndmask_b32_e64 v15, 0, v15, s0
	v_cmp_gt_i32_e64 s0, s27, v58
	v_add_nc_u32_e32 v58, -3, v31
	v_cndmask_b32_e64 v57, 0, v57, s0
	v_cmp_gt_i32_e64 s0, s27, v59
	;; [unrolled: 3-line block ×4, first 2 shown]
	v_cndmask_b32_e64 v1, 0, v1, s0
	v_cmp_gt_i32_e64 s0, s27, v59
	v_cndmask_b32_e64 v2, 0, v2, s0
	v_cmp_gt_i32_e64 s0, s27, v46
	;; [unrolled: 2-line block ×3, first 2 shown]
	v_cndmask_b32_e64 v4, 0, v4, s0
	s_branch .LBB345_272
.LBB345_523:
	s_or_b32 exec_lo, exec_lo, s15
.LBB345_524:
	s_or_b32 exec_lo, exec_lo, s3
	s_movk_i32 s0, 0x1e0
	v_and_b32_e32 v1, 0x3c0, v0
	v_mad_u32_u24 v4, v22, s0, 0x110
	v_or_b32_e32 v3, 0x60, v0
	s_mov_b32 s0, exec_lo
	s_waitcnt_vscnt null, 0x0
	s_barrier
	buffer_gl0_inv
	v_cmpx_eq_u32_e32 64, v1
	s_cbranch_execz .LBB345_527
; %bb.525:
	v_add_nc_u32_e32 v1, 0xfffffc40, v4
	v_cmp_gt_u32_e32 vcc_lo, 0x78, v3
	v_lshl_add_u32 v2, v23, 2, v1
	ds_write2_b32 v2, v28, v27 offset1:32
	ds_write_b32 v2, v26 offset:256
	s_and_b32 exec_lo, exec_lo, vcc_lo
; %bb.526:
	v_lshl_add_u32 v1, v3, 2, v1
	ds_write_b32 v1, v25
.LBB345_527:
	s_or_b32 exec_lo, exec_lo, s0
	v_lshl_add_u32 v5, v23, 2, v4
	s_mov_b32 s0, exec_lo
	s_waitcnt lgkmcnt(0)
	s_barrier
	buffer_gl0_inv
	v_cmpx_gt_u32_e32 64, v0
	s_cbranch_execz .LBB345_531
; %bb.528:
	v_lshl_or_b32 v1, v0, 2, 0x80
	s_mov_b32 s1, exec_lo
	v_add_nc_u32_e32 v6, v4, v1
	ds_read2st64_b32 v[1:2], v5 offset1:1
	ds_read_b32 v6, v6
	v_cmpx_gt_u32_e32 0x78, v3
	s_cbranch_execz .LBB345_530
; %bb.529:
	v_lshl_add_u32 v7, v3, 2, v4
	ds_read_b32 v7, v7
	s_waitcnt lgkmcnt(0)
	v_add_f32_e32 v25, v25, v7
.LBB345_530:
	s_or_b32 exec_lo, exec_lo, s1
	s_waitcnt lgkmcnt(1)
	v_add_f32_e32 v28, v28, v1
	s_waitcnt lgkmcnt(0)
	v_add_f32_e32 v27, v27, v6
	v_add_f32_e32 v26, v26, v2
.LBB345_531:
	s_or_b32 exec_lo, exec_lo, s0
	v_and_b32_e32 v1, 0x3e0, v0
	s_mov_b32 s0, exec_lo
	s_barrier
	buffer_gl0_inv
	v_cmpx_eq_u32_e32 32, v1
	s_cbranch_execz .LBB345_534
; %bb.532:
	v_lshl_add_u32 v1, v23, 2, 0x110
	v_cmp_gt_u32_e32 vcc_lo, 0x78, v3
	ds_write_b32 v1, v28
	ds_write_b32 v24, v27
	ds_write_b32 v1, v26 offset:256
	s_and_b32 exec_lo, exec_lo, vcc_lo
; %bb.533:
	v_lshl_add_u32 v1, v3, 2, 0x110
	ds_write_b32 v1, v25
.LBB345_534:
	s_or_b32 exec_lo, exec_lo, s0
	v_cmp_gt_u32_e32 vcc_lo, 32, v0
	s_waitcnt lgkmcnt(0)
	s_barrier
	buffer_gl0_inv
	s_and_saveexec_b32 s1, vcc_lo
	s_cbranch_execz .LBB345_538
; %bb.535:
	v_lshl_add_u32 v6, v0, 2, v4
	s_mov_b32 s3, exec_lo
	ds_read_b32 v4, v5
	ds_read2_b32 v[1:2], v6 offset0:32 offset1:64
	v_cmpx_gt_u32_e32 0x78, v3
	s_cbranch_execz .LBB345_537
; %bb.536:
	ds_read_b32 v5, v6 offset:384
	s_waitcnt lgkmcnt(0)
	v_add_f32_e32 v25, v25, v5
.LBB345_537:
	s_or_b32 exec_lo, exec_lo, s3
	s_waitcnt lgkmcnt(1)
	v_add_f32_e32 v28, v28, v4
	s_waitcnt lgkmcnt(0)
	v_add_f32_e32 v27, v27, v1
	v_add_f32_e32 v26, v26, v2
.LBB345_538:
	s_or_b32 exec_lo, exec_lo, s1
	s_barrier
	buffer_gl0_inv
	s_and_saveexec_b32 s0, vcc_lo
	s_cbranch_execz .LBB345_541
; %bb.539:
	v_bfe_u32 v1, v28, 16, 1
	v_bfe_u32 v2, v27, 16, 1
	v_or_b32_e32 v5, 0x400000, v28
	v_cmp_u_f32_e32 vcc_lo, v28, v28
	s_mul_i32 s0, s2, 0x78
	v_add3_u32 v1, v1, v28, 0x7fff
	s_ashr_i32 s1, s0, 31
	v_bfe_u32 v4, v26, 16, 1
	s_lshl_b64 s[0:1], s[0:1], 1
	v_add3_u32 v2, v2, v27, 0x7fff
	v_or_b32_e32 v6, 0x400000, v27
	v_cndmask_b32_e32 v1, v1, v5, vcc_lo
	v_cmp_u_f32_e32 vcc_lo, v27, v27
	s_mul_i32 s2, s11, s10
	s_add_u32 s4, s24, s0
	s_addc_u32 s1, s25, s1
	s_ashr_i32 s3, s2, 31
	v_add3_u32 v4, v4, v26, 0x7fff
	s_lshl_b64 s[2:3], s[2:3], 1
	v_or_b32_e32 v7, 0x400000, v26
	v_cndmask_b32_e32 v2, v2, v6, vcc_lo
	v_cmp_u_f32_e32 vcc_lo, v26, v26
	s_mul_i32 s0, s8, 0x78
	s_add_u32 s2, s4, s2
	s_addc_u32 s3, s1, s3
	s_ashr_i32 s1, s0, 31
	v_lshlrev_b32_e32 v0, 1, v0
	s_lshl_b64 s[0:1], s[0:1], 1
	v_cndmask_b32_e32 v4, v4, v7, vcc_lo
	v_cmp_gt_u32_e32 vcc_lo, 0x78, v3
	s_add_u32 s0, s2, s0
	s_addc_u32 s1, s3, s1
	global_store_short_d16_hi v0, v1, s[0:1]
	global_store_short_d16_hi v0, v2, s[0:1] offset:64
	global_store_short_d16_hi v0, v4, s[0:1] offset:128
	s_and_b32 exec_lo, exec_lo, vcc_lo
	s_cbranch_execz .LBB345_541
; %bb.540:
	v_bfe_u32 v1, v25, 16, 1
	v_or_b32_e32 v2, 0x400000, v25
	v_cmp_u_f32_e32 vcc_lo, v25, v25
	v_add_co_u32 v0, s0, s0, v0
	v_add3_u32 v3, v1, v25, 0x7fff
	v_add_co_ci_u32_e64 v1, null, s1, 0, s0
	v_cndmask_b32_e32 v2, v3, v2, vcc_lo
	global_store_short_d16_hi v[0:1], v2, off offset:192
.LBB345_541:
	s_endpgm
	.section	.rodata,"a",@progbits
	.p2align	6, 0x0
	.amdhsa_kernel _ZN4vllm25paged_attention_v2_kernelI14__hip_bfloat16hLi120ELi8ELi128ELNS_18Fp8KVCacheDataTypeE1ELb0ELi512EEEvPfS3_PT_PKS4_PKT0_SA_ifPKiSC_iPKfiiiSE_SE_iiiii
		.amdhsa_group_segment_fixed_size 272
		.amdhsa_private_segment_fixed_size 0
		.amdhsa_kernarg_size 400
		.amdhsa_user_sgpr_count 6
		.amdhsa_user_sgpr_private_segment_buffer 1
		.amdhsa_user_sgpr_dispatch_ptr 0
		.amdhsa_user_sgpr_queue_ptr 0
		.amdhsa_user_sgpr_kernarg_segment_ptr 1
		.amdhsa_user_sgpr_dispatch_id 0
		.amdhsa_user_sgpr_flat_scratch_init 0
		.amdhsa_user_sgpr_private_segment_size 0
		.amdhsa_wavefront_size32 1
		.amdhsa_uses_dynamic_stack 0
		.amdhsa_system_sgpr_private_segment_wavefront_offset 0
		.amdhsa_system_sgpr_workgroup_id_x 1
		.amdhsa_system_sgpr_workgroup_id_y 1
		.amdhsa_system_sgpr_workgroup_id_z 1
		.amdhsa_system_sgpr_workgroup_info 0
		.amdhsa_system_vgpr_workitem_id 0
		.amdhsa_next_free_vgpr 107
		.amdhsa_next_free_sgpr 42
		.amdhsa_reserve_vcc 1
		.amdhsa_reserve_flat_scratch 0
		.amdhsa_float_round_mode_32 0
		.amdhsa_float_round_mode_16_64 0
		.amdhsa_float_denorm_mode_32 3
		.amdhsa_float_denorm_mode_16_64 3
		.amdhsa_dx10_clamp 1
		.amdhsa_ieee_mode 1
		.amdhsa_fp16_overflow 0
		.amdhsa_workgroup_processor_mode 1
		.amdhsa_memory_ordered 1
		.amdhsa_forward_progress 1
		.amdhsa_shared_vgpr_count 0
		.amdhsa_exception_fp_ieee_invalid_op 0
		.amdhsa_exception_fp_denorm_src 0
		.amdhsa_exception_fp_ieee_div_zero 0
		.amdhsa_exception_fp_ieee_overflow 0
		.amdhsa_exception_fp_ieee_underflow 0
		.amdhsa_exception_fp_ieee_inexact 0
		.amdhsa_exception_int_div_zero 0
	.end_amdhsa_kernel
	.section	.text._ZN4vllm25paged_attention_v2_kernelI14__hip_bfloat16hLi120ELi8ELi128ELNS_18Fp8KVCacheDataTypeE1ELb0ELi512EEEvPfS3_PT_PKS4_PKT0_SA_ifPKiSC_iPKfiiiSE_SE_iiiii,"axG",@progbits,_ZN4vllm25paged_attention_v2_kernelI14__hip_bfloat16hLi120ELi8ELi128ELNS_18Fp8KVCacheDataTypeE1ELb0ELi512EEEvPfS3_PT_PKS4_PKT0_SA_ifPKiSC_iPKfiiiSE_SE_iiiii,comdat
.Lfunc_end345:
	.size	_ZN4vllm25paged_attention_v2_kernelI14__hip_bfloat16hLi120ELi8ELi128ELNS_18Fp8KVCacheDataTypeE1ELb0ELi512EEEvPfS3_PT_PKS4_PKT0_SA_ifPKiSC_iPKfiiiSE_SE_iiiii, .Lfunc_end345-_ZN4vllm25paged_attention_v2_kernelI14__hip_bfloat16hLi120ELi8ELi128ELNS_18Fp8KVCacheDataTypeE1ELb0ELi512EEEvPfS3_PT_PKS4_PKT0_SA_ifPKiSC_iPKfiiiSE_SE_iiiii
                                        ; -- End function
	.set _ZN4vllm25paged_attention_v2_kernelI14__hip_bfloat16hLi120ELi8ELi128ELNS_18Fp8KVCacheDataTypeE1ELb0ELi512EEEvPfS3_PT_PKS4_PKT0_SA_ifPKiSC_iPKfiiiSE_SE_iiiii.num_vgpr, 107
	.set _ZN4vllm25paged_attention_v2_kernelI14__hip_bfloat16hLi120ELi8ELi128ELNS_18Fp8KVCacheDataTypeE1ELb0ELi512EEEvPfS3_PT_PKS4_PKT0_SA_ifPKiSC_iPKfiiiSE_SE_iiiii.num_agpr, 0
	.set _ZN4vllm25paged_attention_v2_kernelI14__hip_bfloat16hLi120ELi8ELi128ELNS_18Fp8KVCacheDataTypeE1ELb0ELi512EEEvPfS3_PT_PKS4_PKT0_SA_ifPKiSC_iPKfiiiSE_SE_iiiii.numbered_sgpr, 42
	.set _ZN4vllm25paged_attention_v2_kernelI14__hip_bfloat16hLi120ELi8ELi128ELNS_18Fp8KVCacheDataTypeE1ELb0ELi512EEEvPfS3_PT_PKS4_PKT0_SA_ifPKiSC_iPKfiiiSE_SE_iiiii.num_named_barrier, 0
	.set _ZN4vllm25paged_attention_v2_kernelI14__hip_bfloat16hLi120ELi8ELi128ELNS_18Fp8KVCacheDataTypeE1ELb0ELi512EEEvPfS3_PT_PKS4_PKT0_SA_ifPKiSC_iPKfiiiSE_SE_iiiii.private_seg_size, 0
	.set _ZN4vllm25paged_attention_v2_kernelI14__hip_bfloat16hLi120ELi8ELi128ELNS_18Fp8KVCacheDataTypeE1ELb0ELi512EEEvPfS3_PT_PKS4_PKT0_SA_ifPKiSC_iPKfiiiSE_SE_iiiii.uses_vcc, 1
	.set _ZN4vllm25paged_attention_v2_kernelI14__hip_bfloat16hLi120ELi8ELi128ELNS_18Fp8KVCacheDataTypeE1ELb0ELi512EEEvPfS3_PT_PKS4_PKT0_SA_ifPKiSC_iPKfiiiSE_SE_iiiii.uses_flat_scratch, 0
	.set _ZN4vllm25paged_attention_v2_kernelI14__hip_bfloat16hLi120ELi8ELi128ELNS_18Fp8KVCacheDataTypeE1ELb0ELi512EEEvPfS3_PT_PKS4_PKT0_SA_ifPKiSC_iPKfiiiSE_SE_iiiii.has_dyn_sized_stack, 0
	.set _ZN4vllm25paged_attention_v2_kernelI14__hip_bfloat16hLi120ELi8ELi128ELNS_18Fp8KVCacheDataTypeE1ELb0ELi512EEEvPfS3_PT_PKS4_PKT0_SA_ifPKiSC_iPKfiiiSE_SE_iiiii.has_recursion, 0
	.set _ZN4vllm25paged_attention_v2_kernelI14__hip_bfloat16hLi120ELi8ELi128ELNS_18Fp8KVCacheDataTypeE1ELb0ELi512EEEvPfS3_PT_PKS4_PKT0_SA_ifPKiSC_iPKfiiiSE_SE_iiiii.has_indirect_call, 0
	.section	.AMDGPU.csdata,"",@progbits
; Kernel info:
; codeLenInByte = 21408
; TotalNumSgprs: 44
; NumVgprs: 107
; ScratchSize: 0
; MemoryBound: 0
; FloatMode: 240
; IeeeMode: 1
; LDSByteSize: 272 bytes/workgroup (compile time only)
; SGPRBlocks: 0
; VGPRBlocks: 13
; NumSGPRsForWavesPerEU: 44
; NumVGPRsForWavesPerEU: 107
; Occupancy: 9
; WaveLimiterHint : 1
; COMPUTE_PGM_RSRC2:SCRATCH_EN: 0
; COMPUTE_PGM_RSRC2:USER_SGPR: 6
; COMPUTE_PGM_RSRC2:TRAP_HANDLER: 0
; COMPUTE_PGM_RSRC2:TGID_X_EN: 1
; COMPUTE_PGM_RSRC2:TGID_Y_EN: 1
; COMPUTE_PGM_RSRC2:TGID_Z_EN: 1
; COMPUTE_PGM_RSRC2:TIDIG_COMP_CNT: 0
	.section	.text._ZN4vllm25paged_attention_v2_kernelI14__hip_bfloat16hLi128ELi8ELi128ELNS_18Fp8KVCacheDataTypeE1ELb0ELi512EEEvPfS3_PT_PKS4_PKT0_SA_ifPKiSC_iPKfiiiSE_SE_iiiii,"axG",@progbits,_ZN4vllm25paged_attention_v2_kernelI14__hip_bfloat16hLi128ELi8ELi128ELNS_18Fp8KVCacheDataTypeE1ELb0ELi512EEEvPfS3_PT_PKS4_PKT0_SA_ifPKiSC_iPKfiiiSE_SE_iiiii,comdat
	.protected	_ZN4vllm25paged_attention_v2_kernelI14__hip_bfloat16hLi128ELi8ELi128ELNS_18Fp8KVCacheDataTypeE1ELb0ELi512EEEvPfS3_PT_PKS4_PKT0_SA_ifPKiSC_iPKfiiiSE_SE_iiiii ; -- Begin function _ZN4vllm25paged_attention_v2_kernelI14__hip_bfloat16hLi128ELi8ELi128ELNS_18Fp8KVCacheDataTypeE1ELb0ELi512EEEvPfS3_PT_PKS4_PKT0_SA_ifPKiSC_iPKfiiiSE_SE_iiiii
	.globl	_ZN4vllm25paged_attention_v2_kernelI14__hip_bfloat16hLi128ELi8ELi128ELNS_18Fp8KVCacheDataTypeE1ELb0ELi512EEEvPfS3_PT_PKS4_PKT0_SA_ifPKiSC_iPKfiiiSE_SE_iiiii
	.p2align	8
	.type	_ZN4vllm25paged_attention_v2_kernelI14__hip_bfloat16hLi128ELi8ELi128ELNS_18Fp8KVCacheDataTypeE1ELb0ELi512EEEvPfS3_PT_PKS4_PKT0_SA_ifPKiSC_iPKfiiiSE_SE_iiiii,@function
_ZN4vllm25paged_attention_v2_kernelI14__hip_bfloat16hLi128ELi8ELi128ELNS_18Fp8KVCacheDataTypeE1ELb0ELi512EEEvPfS3_PT_PKS4_PKT0_SA_ifPKiSC_iPKfiiiSE_SE_iiiii: ; @_ZN4vllm25paged_attention_v2_kernelI14__hip_bfloat16hLi128ELi8ELi128ELNS_18Fp8KVCacheDataTypeE1ELb0ELi512EEEvPfS3_PT_PKS4_PKT0_SA_ifPKiSC_iPKfiiiSE_SE_iiiii
; %bb.0:
	s_load_dwordx2 s[0:1], s[4:5], 0x40
	s_mov_b32 s26, s7
	s_ashr_i32 s27, s7, 31
	s_lshl_b64 s[2:3], s[26:27], 2
	s_waitcnt lgkmcnt(0)
	s_add_u32 s0, s0, s2
	s_addc_u32 s1, s1, s3
	s_lshl_b32 s33, s8, 9
	s_load_dword s27, s[0:1], 0x0
	s_waitcnt lgkmcnt(0)
	s_cmp_ge_i32 s33, s27
	s_cbranch_scc1 .LBB346_548
; %bb.1:
	s_clause 0x1
	s_load_dword s9, s[4:5], 0x90
	s_load_dwordx2 s[36:37], s[4:5], 0x30
	s_waitcnt lgkmcnt(0)
	s_abs_i32 s3, s9
	s_abs_i32 s0, s36
	v_cvt_f32_u32_e32 v1, s0
	s_sub_i32 s2, 0, s0
	v_rcp_iflag_f32_e32 v1, v1
	v_mul_f32_e32 v1, 0x4f7ffffe, v1
	v_cvt_u32_f32_e32 v1, v1
	v_readfirstlane_b32 s1, v1
	s_mul_i32 s2, s2, s1
	s_mul_hi_u32 s2, s1, s2
	s_add_i32 s1, s1, s2
	s_xor_b32 s2, s9, s36
	s_mul_hi_u32 s1, s3, s1
	s_ashr_i32 s2, s2, 31
	s_mul_i32 s7, s1, s0
	s_mov_b32 s36, 0
	s_sub_i32 s3, s3, s7
	s_add_i32 s7, s1, 1
	s_sub_i32 s10, s3, s0
	s_cmp_ge_u32 s3, s0
	s_cselect_b32 s1, s7, s1
	s_cselect_b32 s3, s10, s3
	s_add_i32 s7, s1, 1
	s_cmp_ge_u32 s3, s0
	s_cselect_b32 s0, s7, s1
	s_abs_i32 s16, s6
	s_xor_b32 s0, s0, s2
	s_sub_i32 s10, s0, s2
	s_load_dwordx2 s[0:1], s[4:5], 0x50
	s_abs_i32 s2, s10
	v_cvt_f32_u32_e32 v1, s2
	s_sub_i32 s7, 0, s2
	v_rcp_iflag_f32_e32 v1, v1
	v_mul_f32_e32 v1, 0x4f7ffffe, v1
	v_cvt_u32_f32_e32 v1, v1
	v_readfirstlane_b32 s3, v1
	s_mul_i32 s7, s7, s3
	s_mul_hi_u32 s7, s3, s7
	s_add_i32 s3, s3, s7
	s_waitcnt lgkmcnt(0)
	s_cmp_eq_u64 s[0:1], 0
	s_mul_hi_u32 s3, s16, s3
	s_cbranch_scc1 .LBB346_3
; %bb.2:
	s_ashr_i32 s7, s6, 31
	s_lshl_b64 s[12:13], s[6:7], 2
	s_add_u32 s0, s0, s12
	s_addc_u32 s1, s1, s13
	s_load_dword s36, s[0:1], 0x0
.LBB346_3:
	s_load_dwordx4 s[12:15], s[4:5], 0x58
	v_and_b32_e32 v1, 3, v0
	v_cmp_gt_u32_e64 s0, 64, v0
	s_ashr_i32 s1, s6, 31
	s_ashr_i32 s7, s10, 31
	s_lshl_b32 s10, s6, 7
	s_waitcnt lgkmcnt(0)
	s_and_saveexec_b32 s15, s0
	s_cbranch_execz .LBB346_5
; %bb.4:
	s_load_dwordx2 s[18:19], s[4:5], 0x18
	s_mul_i32 s20, s12, s26
	v_lshlrev_b32_e32 v2, 2, v0
	s_ashr_i32 s21, s20, 31
	v_and_b32_e32 v3, 0x3fc, v0
	s_lshl_b64 s[20:21], s[20:21], 1
	v_lshl_add_u32 v3, v1, 6, v3
	s_waitcnt lgkmcnt(0)
	s_add_u32 s12, s18, s20
	s_addc_u32 s17, s19, s21
	s_ashr_i32 s11, s10, 31
	s_lshl_b64 s[18:19], s[10:11], 1
	s_add_u32 s18, s12, s18
	s_addc_u32 s19, s17, s19
	global_load_dword v2, v2, s[18:19]
	s_waitcnt vmcnt(0)
	ds_write_b32 v3, v2
.LBB346_5:
	s_or_b32 exec_lo, exec_lo, s15
	s_add_i32 s11, s27, 7
	s_lshl_b32 s15, s8, 6
	s_ashr_i32 s12, s11, 31
	s_xor_b32 s1, s1, s7
	s_lshr_b32 s12, s12, 29
	s_add_i32 s7, s15, 64
	s_add_i32 s11, s11, s12
	s_mul_i32 s17, s3, s2
	s_ashr_i32 s12, s11, 3
	s_sub_i32 s16, s16, s17
	s_min_i32 s11, s7, s12
	s_clause 0x1
	s_load_dwordx2 s[28:29], s[4:5], 0x38
	s_load_dword s7, s[4:5], 0x48
	s_add_i32 s17, s3, 1
	s_sub_i32 s18, s16, s2
	s_cmp_ge_u32 s16, s2
	v_lshrrev_b32_e32 v22, 5, v0
	s_cselect_b32 s3, s17, s3
	s_cselect_b32 s16, s18, s16
	s_add_i32 s17, s3, 1
	s_cmp_ge_u32 s16, s2
	v_or_b32_e32 v9, s15, v22
	s_cselect_b32 s2, s17, s3
	v_mbcnt_lo_u32_b32 v11, -1, 0
	s_xor_b32 s2, s2, s1
	s_mov_b32 s3, exec_lo
	s_sub_i32 s2, s2, s1
	v_cmp_gt_i32_e64 s1, s11, v9
	s_waitcnt lgkmcnt(0)
	s_barrier
	buffer_gl0_inv
                                        ; implicit-def: $vgpr2
                                        ; implicit-def: $vgpr12
	s_mul_i32 s30, s7, s26
	s_ashr_i32 s31, s30, 31
	v_cmpx_le_i32_e64 s11, v9
	s_xor_b32 s3, exec_lo, s3
; %bb.6:
	v_mov_b32_e32 v2, 0
	v_mbcnt_lo_u32_b32 v11, -1, 0
	v_mov_b32_e32 v12, 32
                                        ; implicit-def: $vgpr1
; %bb.7:
	s_or_saveexec_b32 s38, s3
	s_clause 0x4
	s_load_dwordx4 s[20:23], s[4:5], 0x0
	s_load_dwordx2 s[24:25], s[4:5], 0x10
	s_load_dword s7, s[4:5], 0x98
	s_load_dwordx2 s[34:35], s[4:5], 0x28
	s_load_dwordx4 s[16:19], s[4:5], 0x68
	v_mov_b32_e32 v45, 0xff7fffff
	v_ashrrev_i32_e32 v10, 31, v9
	v_lshlrev_b32_e32 v14, 3, v22
	s_mul_i32 s14, s2, s14
	s_xor_b32 exec_lo, exec_lo, s38
	s_cbranch_execz .LBB346_269
; %bb.8:
	v_lshlrev_b32_e32 v7, 6, v1
	s_load_dwordx2 s[2:3], s[4:5], 0x20
	v_bfe_u32 v8, v0, 2, 3
	s_ashr_i32 s4, s14, 31
	v_lshlrev_b32_e32 v50, 1, v1
	ds_read_b128 v[3:6], v7
	ds_read_b128 v[27:30], v7 offset:16
	ds_read_b128 v[35:38], v7 offset:32
	;; [unrolled: 1-line block ×3, first 2 shown]
	v_lshlrev_b32_e32 v12, 4, v8
	s_waitcnt lgkmcnt(0)
	s_load_dword s5, s[16:17], 0x0
	v_mov_b32_e32 v2, 0
	v_mov_b32_e32 v52, 0x80
	;; [unrolled: 1-line block ×4, first 2 shown]
	s_mov_b32 s39, s13
	s_mov_b32 s17, 0
	s_add_u32 s2, s2, s14
	s_addc_u32 s3, s3, s4
	v_add_co_u32 v7, s2, s2, v12
	v_lshlrev_b32_e32 v13, 16, v3
	v_and_b32_e32 v15, 0xffff0000, v3
	v_xor_b32_e32 v3, 2, v11
	v_lshlrev_b32_e32 v16, 16, v4
	v_and_b32_e32 v17, 0xffff0000, v4
	v_xor_b32_e32 v4, 1, v11
	v_add_co_ci_u32_e64 v51, null, s3, 0, s2
	v_cmp_gt_i32_e32 vcc_lo, 32, v3
	v_lshlrev_b32_e32 v18, 16, v5
	v_and_b32_e32 v19, 0xffff0000, v5
	v_lshlrev_b32_e32 v20, 16, v6
	v_and_b32_e32 v21, 0xffff0000, v6
	v_cndmask_b32_e32 v3, v11, v3, vcc_lo
	v_cmp_gt_i32_e32 vcc_lo, 32, v4
	v_lshlrev_b64 v[5:6], 2, v[9:10]
	s_lshl_b64 s[40:41], s[30:31], 2
	s_sub_i32 s16, 1, s27
	v_lshlrev_b32_e32 v48, 2, v3
	v_cndmask_b32_e32 v4, v11, v4, vcc_lo
	v_cmp_eq_u32_e32 vcc_lo, 0, v1
	v_lshlrev_b32_e32 v1, 2, v8
	v_add_co_u32 v3, s3, v7, v50
	v_lshlrev_b32_e32 v49, 2, v4
	v_add_co_ci_u32_e64 v4, null, 0, v51, s3
	v_lshl_or_b32 v1, v22, 5, v1
	s_add_u32 s3, s28, s40
	s_addc_u32 s4, s29, s41
	v_add_co_u32 v5, s3, s3, v5
	v_lshlrev_b32_e32 v23, 16, v27
	v_and_b32_e32 v24, 0xffff0000, v27
	v_lshlrev_b32_e32 v25, 16, v28
	v_and_b32_e32 v26, 0xffff0000, v28
	;; [unrolled: 2-line block ×12, first 2 shown]
	v_mov_b32_e32 v12, 32
	v_cmp_neq_f32_e64 s2, s36, 0
	v_add3_u32 v50, s33, v14, v8
	v_add_nc_u32_e32 v51, 0x120, v1
	v_add_co_ci_u32_e64 v6, null, s4, v6, s3
	v_mov_b32_e32 v45, 0xff7fffff
	s_branch .LBB346_10
.LBB346_9:                              ;   in Loop: Header=BB346_10 Depth=1
	s_or_b32 exec_lo, exec_lo, s4
	v_add_nc_u32_e32 v54, 4, v54
	v_add_co_u32 v5, s4, v5, 16
	v_add_nc_u32_e32 v50, 32, v50
	v_add_nc_u32_e32 v51, 0x80, v51
	v_cmp_le_i32_e64 s3, s11, v54
	v_add_co_ci_u32_e64 v6, null, 0, v6, s4
	s_or_b32 s17, s3, s17
	s_andn2_b32 exec_lo, exec_lo, s17
	s_cbranch_execz .LBB346_268
.LBB346_10:                             ; =>This Inner Loop Header: Depth=1
	global_load_dword v1, v[5:6], off
	v_mov_b32_e32 v55, 0
	s_waitcnt vmcnt(0) lgkmcnt(0)
	v_mad_i64_i32 v[7:8], null, v1, s39, v[3:4]
	global_load_ushort v1, v[7:8], off
	s_waitcnt vmcnt(0)
	v_and_b32_e32 v57, 0xffff, v1
	v_cmp_ne_u16_sdwa s3, v1, v2 src0_sel:BYTE_0 src1_sel:DWORD
	s_and_saveexec_b32 s4, s3
	s_cbranch_execz .LBB346_18
; %bb.11:                               ;   in Loop: Header=BB346_10 Depth=1
	v_cmp_ne_u16_sdwa s3, v57, v52 src0_sel:BYTE_0 src1_sel:DWORD
	v_bfrev_b32_e32 v55, 1
	s_and_saveexec_b32 s40, s3
	s_cbranch_execz .LBB346_17
; %bb.12:                               ;   in Loop: Header=BB346_10 Depth=1
	v_and_b32_e32 v56, 0x7f, v57
	v_mov_b32_e32 v55, 0x7f800001
	s_mov_b32 s41, exec_lo
	v_cmpx_ne_u32_e32 0x7f, v56
	s_cbranch_execz .LBB346_16
; %bb.13:                               ;   in Loop: Header=BB346_10 Depth=1
	v_and_b32_e32 v1, 7, v57
	v_lshrrev_b32_e32 v55, 3, v56
	s_mov_b32 s42, exec_lo
	v_cmpx_gt_u32_e32 8, v56
; %bb.14:                               ;   in Loop: Header=BB346_10 Depth=1
	v_ffbh_u32_e32 v55, v1
	v_min_u32_e32 v55, 32, v55
	v_subrev_nc_u32_e32 v56, 28, v55
	v_sub_nc_u32_e32 v55, 29, v55
	v_lshlrev_b64 v[58:59], v56, v[1:2]
	v_and_b32_e32 v1, 7, v58
; %bb.15:                               ;   in Loop: Header=BB346_10 Depth=1
	s_or_b32 exec_lo, exec_lo, s42
	v_lshlrev_b32_e32 v56, 24, v57
	v_lshlrev_b32_e32 v1, 20, v1
	v_lshl_add_u32 v55, v55, 23, 0x3c000000
	v_and_b32_e32 v56, 0x80000000, v56
	v_or3_b32 v55, v1, v56, v55
.LBB346_16:                             ;   in Loop: Header=BB346_10 Depth=1
	s_or_b32 exec_lo, exec_lo, s41
.LBB346_17:                             ;   in Loop: Header=BB346_10 Depth=1
	s_or_b32 exec_lo, exec_lo, s40
.LBB346_18:                             ;   in Loop: Header=BB346_10 Depth=1
	s_or_b32 exec_lo, exec_lo, s4
	v_cmp_ne_u16_sdwa s3, v57, v2 src0_sel:BYTE_1 src1_sel:DWORD
	v_mov_b32_e32 v56, 0
	s_and_saveexec_b32 s4, s3
	s_cbranch_execz .LBB346_26
; %bb.19:                               ;   in Loop: Header=BB346_10 Depth=1
	v_cmp_ne_u16_sdwa s3, v57, v52 src0_sel:BYTE_1 src1_sel:DWORD
	v_bfrev_b32_e32 v56, 1
	s_and_saveexec_b32 s40, s3
	s_cbranch_execz .LBB346_25
; %bb.20:                               ;   in Loop: Header=BB346_10 Depth=1
	v_and_b32_sdwa v1, v53, v57 dst_sel:DWORD dst_unused:UNUSED_PAD src0_sel:DWORD src1_sel:BYTE_1
	v_mov_b32_e32 v56, 0x7f800001
	s_mov_b32 s41, exec_lo
	v_and_b32_e32 v58, 0x7f, v1
	v_cmpx_ne_u32_e32 0x7f, v58
	s_cbranch_execz .LBB346_24
; %bb.21:                               ;   in Loop: Header=BB346_10 Depth=1
	v_and_b32_e32 v1, 7, v1
	v_lshrrev_b32_e32 v56, 3, v58
	s_mov_b32 s42, exec_lo
	v_cmpx_gt_u32_e32 8, v58
; %bb.22:                               ;   in Loop: Header=BB346_10 Depth=1
	v_ffbh_u32_e32 v56, v1
	v_min_u32_e32 v56, 32, v56
	v_subrev_nc_u32_e32 v58, 28, v56
	v_sub_nc_u32_e32 v56, 29, v56
	v_lshlrev_b64 v[58:59], v58, v[1:2]
	v_and_b32_e32 v1, 7, v58
; %bb.23:                               ;   in Loop: Header=BB346_10 Depth=1
	s_or_b32 exec_lo, exec_lo, s42
	v_lshlrev_b32_e32 v57, 16, v57
	v_lshlrev_b32_e32 v1, 20, v1
	v_lshl_add_u32 v56, v56, 23, 0x3c000000
	v_and_b32_e32 v57, 0x80000000, v57
	v_or3_b32 v56, v1, v57, v56
.LBB346_24:                             ;   in Loop: Header=BB346_10 Depth=1
	s_or_b32 exec_lo, exec_lo, s41
.LBB346_25:                             ;   in Loop: Header=BB346_10 Depth=1
	s_or_b32 exec_lo, exec_lo, s40
.LBB346_26:                             ;   in Loop: Header=BB346_10 Depth=1
	s_or_b32 exec_lo, exec_lo, s4
	global_load_ushort v1, v[7:8], off offset:8
	v_mov_b32_e32 v58, 0
	v_mov_b32_e32 v57, 0
	s_waitcnt vmcnt(0)
	v_and_b32_e32 v59, 0xffff, v1
	v_cmp_ne_u16_sdwa s3, v1, v2 src0_sel:BYTE_0 src1_sel:DWORD
	s_and_saveexec_b32 s4, s3
	s_cbranch_execz .LBB346_34
; %bb.27:                               ;   in Loop: Header=BB346_10 Depth=1
	v_cmp_ne_u16_sdwa s3, v59, v52 src0_sel:BYTE_0 src1_sel:DWORD
	v_bfrev_b32_e32 v57, 1
	s_and_saveexec_b32 s40, s3
	s_cbranch_execz .LBB346_33
; %bb.28:                               ;   in Loop: Header=BB346_10 Depth=1
	v_and_b32_e32 v60, 0x7f, v59
	v_mov_b32_e32 v57, 0x7f800001
	s_mov_b32 s41, exec_lo
	v_cmpx_ne_u32_e32 0x7f, v60
	s_cbranch_execz .LBB346_32
; %bb.29:                               ;   in Loop: Header=BB346_10 Depth=1
	v_and_b32_e32 v1, 7, v59
	v_lshrrev_b32_e32 v57, 3, v60
	s_mov_b32 s42, exec_lo
	v_cmpx_gt_u32_e32 8, v60
; %bb.30:                               ;   in Loop: Header=BB346_10 Depth=1
	v_ffbh_u32_e32 v57, v1
	v_min_u32_e32 v57, 32, v57
	v_subrev_nc_u32_e32 v60, 28, v57
	v_sub_nc_u32_e32 v57, 29, v57
	v_lshlrev_b64 v[60:61], v60, v[1:2]
	v_and_b32_e32 v1, 7, v60
; %bb.31:                               ;   in Loop: Header=BB346_10 Depth=1
	s_or_b32 exec_lo, exec_lo, s42
	v_lshlrev_b32_e32 v60, 24, v59
	v_lshlrev_b32_e32 v1, 20, v1
	v_lshl_add_u32 v57, v57, 23, 0x3c000000
	v_and_b32_e32 v60, 0x80000000, v60
	v_or3_b32 v57, v1, v60, v57
.LBB346_32:                             ;   in Loop: Header=BB346_10 Depth=1
	s_or_b32 exec_lo, exec_lo, s41
.LBB346_33:                             ;   in Loop: Header=BB346_10 Depth=1
	s_or_b32 exec_lo, exec_lo, s40
.LBB346_34:                             ;   in Loop: Header=BB346_10 Depth=1
	s_or_b32 exec_lo, exec_lo, s4
	v_cmp_ne_u16_sdwa s3, v59, v2 src0_sel:BYTE_1 src1_sel:DWORD
	s_and_saveexec_b32 s4, s3
	s_cbranch_execz .LBB346_42
; %bb.35:                               ;   in Loop: Header=BB346_10 Depth=1
	v_cmp_ne_u16_sdwa s3, v59, v52 src0_sel:BYTE_1 src1_sel:DWORD
	v_bfrev_b32_e32 v58, 1
	s_and_saveexec_b32 s40, s3
	s_cbranch_execz .LBB346_41
; %bb.36:                               ;   in Loop: Header=BB346_10 Depth=1
	v_and_b32_sdwa v1, v53, v59 dst_sel:DWORD dst_unused:UNUSED_PAD src0_sel:DWORD src1_sel:BYTE_1
	v_mov_b32_e32 v58, 0x7f800001
	s_mov_b32 s41, exec_lo
	v_and_b32_e32 v60, 0x7f, v1
	v_cmpx_ne_u32_e32 0x7f, v60
	s_cbranch_execz .LBB346_40
; %bb.37:                               ;   in Loop: Header=BB346_10 Depth=1
	v_and_b32_e32 v1, 7, v1
	v_lshrrev_b32_e32 v58, 3, v60
	s_mov_b32 s42, exec_lo
	v_cmpx_gt_u32_e32 8, v60
; %bb.38:                               ;   in Loop: Header=BB346_10 Depth=1
	v_ffbh_u32_e32 v58, v1
	v_min_u32_e32 v58, 32, v58
	v_subrev_nc_u32_e32 v60, 28, v58
	v_sub_nc_u32_e32 v58, 29, v58
	v_lshlrev_b64 v[60:61], v60, v[1:2]
	v_and_b32_e32 v1, 7, v60
; %bb.39:                               ;   in Loop: Header=BB346_10 Depth=1
	s_or_b32 exec_lo, exec_lo, s42
	v_lshlrev_b32_e32 v59, 16, v59
	v_lshlrev_b32_e32 v1, 20, v1
	v_lshl_add_u32 v58, v58, 23, 0x3c000000
	v_and_b32_e32 v59, 0x80000000, v59
	v_or3_b32 v58, v1, v59, v58
.LBB346_40:                             ;   in Loop: Header=BB346_10 Depth=1
	s_or_b32 exec_lo, exec_lo, s41
.LBB346_41:                             ;   in Loop: Header=BB346_10 Depth=1
	s_or_b32 exec_lo, exec_lo, s40
.LBB346_42:                             ;   in Loop: Header=BB346_10 Depth=1
	s_or_b32 exec_lo, exec_lo, s4
	global_load_ushort v1, v[7:8], off offset:128
	v_mov_b32_e32 v60, 0
	v_mov_b32_e32 v59, 0
	s_waitcnt vmcnt(0)
	v_and_b32_e32 v61, 0xffff, v1
	v_cmp_ne_u16_sdwa s3, v1, v2 src0_sel:BYTE_0 src1_sel:DWORD
	s_and_saveexec_b32 s4, s3
	s_cbranch_execz .LBB346_50
; %bb.43:                               ;   in Loop: Header=BB346_10 Depth=1
	v_cmp_ne_u16_sdwa s3, v61, v52 src0_sel:BYTE_0 src1_sel:DWORD
	v_bfrev_b32_e32 v59, 1
	s_and_saveexec_b32 s40, s3
	s_cbranch_execz .LBB346_49
; %bb.44:                               ;   in Loop: Header=BB346_10 Depth=1
	v_and_b32_e32 v62, 0x7f, v61
	v_mov_b32_e32 v59, 0x7f800001
	s_mov_b32 s41, exec_lo
	v_cmpx_ne_u32_e32 0x7f, v62
	s_cbranch_execz .LBB346_48
; %bb.45:                               ;   in Loop: Header=BB346_10 Depth=1
	v_and_b32_e32 v1, 7, v61
	v_lshrrev_b32_e32 v59, 3, v62
	s_mov_b32 s42, exec_lo
	v_cmpx_gt_u32_e32 8, v62
; %bb.46:                               ;   in Loop: Header=BB346_10 Depth=1
	v_ffbh_u32_e32 v59, v1
	v_min_u32_e32 v59, 32, v59
	v_subrev_nc_u32_e32 v62, 28, v59
	v_sub_nc_u32_e32 v59, 29, v59
	v_lshlrev_b64 v[62:63], v62, v[1:2]
	v_and_b32_e32 v1, 7, v62
; %bb.47:                               ;   in Loop: Header=BB346_10 Depth=1
	s_or_b32 exec_lo, exec_lo, s42
	v_lshlrev_b32_e32 v62, 24, v61
	v_lshlrev_b32_e32 v1, 20, v1
	v_lshl_add_u32 v59, v59, 23, 0x3c000000
	v_and_b32_e32 v62, 0x80000000, v62
	v_or3_b32 v59, v1, v62, v59
.LBB346_48:                             ;   in Loop: Header=BB346_10 Depth=1
	s_or_b32 exec_lo, exec_lo, s41
.LBB346_49:                             ;   in Loop: Header=BB346_10 Depth=1
	s_or_b32 exec_lo, exec_lo, s40
.LBB346_50:                             ;   in Loop: Header=BB346_10 Depth=1
	s_or_b32 exec_lo, exec_lo, s4
	v_cmp_ne_u16_sdwa s3, v61, v2 src0_sel:BYTE_1 src1_sel:DWORD
	s_and_saveexec_b32 s4, s3
	s_cbranch_execz .LBB346_58
; %bb.51:                               ;   in Loop: Header=BB346_10 Depth=1
	v_cmp_ne_u16_sdwa s3, v61, v52 src0_sel:BYTE_1 src1_sel:DWORD
	v_bfrev_b32_e32 v60, 1
	s_and_saveexec_b32 s40, s3
	s_cbranch_execz .LBB346_57
; %bb.52:                               ;   in Loop: Header=BB346_10 Depth=1
	v_and_b32_sdwa v1, v53, v61 dst_sel:DWORD dst_unused:UNUSED_PAD src0_sel:DWORD src1_sel:BYTE_1
	v_mov_b32_e32 v60, 0x7f800001
	s_mov_b32 s41, exec_lo
	v_and_b32_e32 v62, 0x7f, v1
	v_cmpx_ne_u32_e32 0x7f, v62
	s_cbranch_execz .LBB346_56
; %bb.53:                               ;   in Loop: Header=BB346_10 Depth=1
	v_and_b32_e32 v1, 7, v1
	v_lshrrev_b32_e32 v60, 3, v62
	s_mov_b32 s42, exec_lo
	v_cmpx_gt_u32_e32 8, v62
; %bb.54:                               ;   in Loop: Header=BB346_10 Depth=1
	v_ffbh_u32_e32 v60, v1
	v_min_u32_e32 v60, 32, v60
	v_subrev_nc_u32_e32 v62, 28, v60
	v_sub_nc_u32_e32 v60, 29, v60
	v_lshlrev_b64 v[62:63], v62, v[1:2]
	v_and_b32_e32 v1, 7, v62
; %bb.55:                               ;   in Loop: Header=BB346_10 Depth=1
	s_or_b32 exec_lo, exec_lo, s42
	v_lshlrev_b32_e32 v61, 16, v61
	v_lshlrev_b32_e32 v1, 20, v1
	v_lshl_add_u32 v60, v60, 23, 0x3c000000
	v_and_b32_e32 v61, 0x80000000, v61
	v_or3_b32 v60, v1, v61, v60
.LBB346_56:                             ;   in Loop: Header=BB346_10 Depth=1
	s_or_b32 exec_lo, exec_lo, s41
.LBB346_57:                             ;   in Loop: Header=BB346_10 Depth=1
	s_or_b32 exec_lo, exec_lo, s40
.LBB346_58:                             ;   in Loop: Header=BB346_10 Depth=1
	s_or_b32 exec_lo, exec_lo, s4
	global_load_ushort v1, v[7:8], off offset:136
	v_mov_b32_e32 v63, 0
	v_mov_b32_e32 v62, 0
	s_waitcnt vmcnt(0)
	v_and_b32_e32 v61, 0xffff, v1
	v_cmp_ne_u16_sdwa s3, v1, v2 src0_sel:BYTE_0 src1_sel:DWORD
	s_and_saveexec_b32 s4, s3
	s_cbranch_execz .LBB346_66
; %bb.59:                               ;   in Loop: Header=BB346_10 Depth=1
	v_cmp_ne_u16_sdwa s3, v61, v52 src0_sel:BYTE_0 src1_sel:DWORD
	v_bfrev_b32_e32 v62, 1
	s_and_saveexec_b32 s40, s3
	s_cbranch_execz .LBB346_65
; %bb.60:                               ;   in Loop: Header=BB346_10 Depth=1
	v_and_b32_e32 v64, 0x7f, v61
	v_mov_b32_e32 v62, 0x7f800001
	s_mov_b32 s41, exec_lo
	v_cmpx_ne_u32_e32 0x7f, v64
	s_cbranch_execz .LBB346_64
; %bb.61:                               ;   in Loop: Header=BB346_10 Depth=1
	v_and_b32_e32 v1, 7, v61
	v_lshrrev_b32_e32 v62, 3, v64
	s_mov_b32 s42, exec_lo
	v_cmpx_gt_u32_e32 8, v64
; %bb.62:                               ;   in Loop: Header=BB346_10 Depth=1
	v_ffbh_u32_e32 v62, v1
	v_min_u32_e32 v62, 32, v62
	v_subrev_nc_u32_e32 v64, 28, v62
	v_sub_nc_u32_e32 v62, 29, v62
	v_lshlrev_b64 v[64:65], v64, v[1:2]
	v_and_b32_e32 v1, 7, v64
; %bb.63:                               ;   in Loop: Header=BB346_10 Depth=1
	s_or_b32 exec_lo, exec_lo, s42
	v_lshlrev_b32_e32 v64, 24, v61
	v_lshlrev_b32_e32 v1, 20, v1
	v_lshl_add_u32 v62, v62, 23, 0x3c000000
	v_and_b32_e32 v64, 0x80000000, v64
	v_or3_b32 v62, v1, v64, v62
.LBB346_64:                             ;   in Loop: Header=BB346_10 Depth=1
	s_or_b32 exec_lo, exec_lo, s41
.LBB346_65:                             ;   in Loop: Header=BB346_10 Depth=1
	s_or_b32 exec_lo, exec_lo, s40
.LBB346_66:                             ;   in Loop: Header=BB346_10 Depth=1
	s_or_b32 exec_lo, exec_lo, s4
	v_cmp_ne_u16_sdwa s3, v61, v2 src0_sel:BYTE_1 src1_sel:DWORD
	s_and_saveexec_b32 s4, s3
	s_cbranch_execz .LBB346_74
; %bb.67:                               ;   in Loop: Header=BB346_10 Depth=1
	v_cmp_ne_u16_sdwa s3, v61, v52 src0_sel:BYTE_1 src1_sel:DWORD
	v_bfrev_b32_e32 v63, 1
	s_and_saveexec_b32 s40, s3
	s_cbranch_execz .LBB346_73
; %bb.68:                               ;   in Loop: Header=BB346_10 Depth=1
	v_and_b32_sdwa v1, v53, v61 dst_sel:DWORD dst_unused:UNUSED_PAD src0_sel:DWORD src1_sel:BYTE_1
	v_mov_b32_e32 v63, 0x7f800001
	s_mov_b32 s41, exec_lo
	v_and_b32_e32 v64, 0x7f, v1
	v_cmpx_ne_u32_e32 0x7f, v64
	s_cbranch_execz .LBB346_72
; %bb.69:                               ;   in Loop: Header=BB346_10 Depth=1
	v_and_b32_e32 v1, 7, v1
	v_lshrrev_b32_e32 v63, 3, v64
	s_mov_b32 s42, exec_lo
	v_cmpx_gt_u32_e32 8, v64
; %bb.70:                               ;   in Loop: Header=BB346_10 Depth=1
	v_ffbh_u32_e32 v63, v1
	v_min_u32_e32 v63, 32, v63
	v_subrev_nc_u32_e32 v64, 28, v63
	v_sub_nc_u32_e32 v63, 29, v63
	v_lshlrev_b64 v[64:65], v64, v[1:2]
	v_and_b32_e32 v1, 7, v64
; %bb.71:                               ;   in Loop: Header=BB346_10 Depth=1
	s_or_b32 exec_lo, exec_lo, s42
	v_lshlrev_b32_e32 v61, 16, v61
	v_lshlrev_b32_e32 v1, 20, v1
	v_lshl_add_u32 v63, v63, 23, 0x3c000000
	v_and_b32_e32 v61, 0x80000000, v61
	v_or3_b32 v63, v1, v61, v63
.LBB346_72:                             ;   in Loop: Header=BB346_10 Depth=1
	s_or_b32 exec_lo, exec_lo, s41
.LBB346_73:                             ;   in Loop: Header=BB346_10 Depth=1
	s_or_b32 exec_lo, exec_lo, s40
.LBB346_74:                             ;   in Loop: Header=BB346_10 Depth=1
	s_or_b32 exec_lo, exec_lo, s4
	global_load_ushort v1, v[7:8], off offset:256
	v_mov_b32_e32 v61, 0
	v_mov_b32_e32 v64, 0
	s_waitcnt vmcnt(0)
	v_and_b32_e32 v65, 0xffff, v1
	v_cmp_ne_u16_sdwa s3, v1, v2 src0_sel:BYTE_0 src1_sel:DWORD
	s_and_saveexec_b32 s4, s3
	s_cbranch_execz .LBB346_82
; %bb.75:                               ;   in Loop: Header=BB346_10 Depth=1
	v_cmp_ne_u16_sdwa s3, v65, v52 src0_sel:BYTE_0 src1_sel:DWORD
	v_bfrev_b32_e32 v64, 1
	s_and_saveexec_b32 s40, s3
	s_cbranch_execz .LBB346_81
; %bb.76:                               ;   in Loop: Header=BB346_10 Depth=1
	v_and_b32_e32 v66, 0x7f, v65
	v_mov_b32_e32 v64, 0x7f800001
	s_mov_b32 s41, exec_lo
	v_cmpx_ne_u32_e32 0x7f, v66
	s_cbranch_execz .LBB346_80
; %bb.77:                               ;   in Loop: Header=BB346_10 Depth=1
	v_and_b32_e32 v1, 7, v65
	v_lshrrev_b32_e32 v64, 3, v66
	s_mov_b32 s42, exec_lo
	v_cmpx_gt_u32_e32 8, v66
; %bb.78:                               ;   in Loop: Header=BB346_10 Depth=1
	v_ffbh_u32_e32 v64, v1
	v_min_u32_e32 v64, 32, v64
	v_subrev_nc_u32_e32 v66, 28, v64
	v_sub_nc_u32_e32 v64, 29, v64
	v_lshlrev_b64 v[66:67], v66, v[1:2]
	v_and_b32_e32 v1, 7, v66
; %bb.79:                               ;   in Loop: Header=BB346_10 Depth=1
	s_or_b32 exec_lo, exec_lo, s42
	v_lshlrev_b32_e32 v66, 24, v65
	v_lshlrev_b32_e32 v1, 20, v1
	v_lshl_add_u32 v64, v64, 23, 0x3c000000
	v_and_b32_e32 v66, 0x80000000, v66
	v_or3_b32 v64, v1, v66, v64
.LBB346_80:                             ;   in Loop: Header=BB346_10 Depth=1
	s_or_b32 exec_lo, exec_lo, s41
.LBB346_81:                             ;   in Loop: Header=BB346_10 Depth=1
	s_or_b32 exec_lo, exec_lo, s40
.LBB346_82:                             ;   in Loop: Header=BB346_10 Depth=1
	s_or_b32 exec_lo, exec_lo, s4
	v_cmp_ne_u16_sdwa s3, v65, v2 src0_sel:BYTE_1 src1_sel:DWORD
	s_and_saveexec_b32 s4, s3
	s_cbranch_execz .LBB346_90
; %bb.83:                               ;   in Loop: Header=BB346_10 Depth=1
	v_cmp_ne_u16_sdwa s3, v65, v52 src0_sel:BYTE_1 src1_sel:DWORD
	v_bfrev_b32_e32 v61, 1
	s_and_saveexec_b32 s40, s3
	s_cbranch_execz .LBB346_89
; %bb.84:                               ;   in Loop: Header=BB346_10 Depth=1
	v_and_b32_sdwa v1, v53, v65 dst_sel:DWORD dst_unused:UNUSED_PAD src0_sel:DWORD src1_sel:BYTE_1
	v_mov_b32_e32 v61, 0x7f800001
	s_mov_b32 s41, exec_lo
	v_and_b32_e32 v66, 0x7f, v1
	v_cmpx_ne_u32_e32 0x7f, v66
	s_cbranch_execz .LBB346_88
; %bb.85:                               ;   in Loop: Header=BB346_10 Depth=1
	v_and_b32_e32 v1, 7, v1
	v_lshrrev_b32_e32 v61, 3, v66
	s_mov_b32 s42, exec_lo
	v_cmpx_gt_u32_e32 8, v66
; %bb.86:                               ;   in Loop: Header=BB346_10 Depth=1
	v_ffbh_u32_e32 v61, v1
	v_min_u32_e32 v61, 32, v61
	v_subrev_nc_u32_e32 v66, 28, v61
	v_sub_nc_u32_e32 v61, 29, v61
	v_lshlrev_b64 v[66:67], v66, v[1:2]
	v_and_b32_e32 v1, 7, v66
; %bb.87:                               ;   in Loop: Header=BB346_10 Depth=1
	s_or_b32 exec_lo, exec_lo, s42
	v_lshlrev_b32_e32 v65, 16, v65
	v_lshlrev_b32_e32 v1, 20, v1
	v_lshl_add_u32 v61, v61, 23, 0x3c000000
	v_and_b32_e32 v65, 0x80000000, v65
	v_or3_b32 v61, v1, v65, v61
.LBB346_88:                             ;   in Loop: Header=BB346_10 Depth=1
	s_or_b32 exec_lo, exec_lo, s41
.LBB346_89:                             ;   in Loop: Header=BB346_10 Depth=1
	s_or_b32 exec_lo, exec_lo, s40
.LBB346_90:                             ;   in Loop: Header=BB346_10 Depth=1
	s_or_b32 exec_lo, exec_lo, s4
	global_load_ushort v1, v[7:8], off offset:264
	v_mov_b32_e32 v68, 0
	v_mov_b32_e32 v65, 0
	s_waitcnt vmcnt(0)
	v_and_b32_e32 v66, 0xffff, v1
	v_cmp_ne_u16_sdwa s3, v1, v2 src0_sel:BYTE_0 src1_sel:DWORD
	s_and_saveexec_b32 s4, s3
	s_cbranch_execz .LBB346_98
; %bb.91:                               ;   in Loop: Header=BB346_10 Depth=1
	v_cmp_ne_u16_sdwa s3, v66, v52 src0_sel:BYTE_0 src1_sel:DWORD
	v_bfrev_b32_e32 v65, 1
	s_and_saveexec_b32 s40, s3
	s_cbranch_execz .LBB346_97
; %bb.92:                               ;   in Loop: Header=BB346_10 Depth=1
	v_and_b32_e32 v67, 0x7f, v66
	v_mov_b32_e32 v65, 0x7f800001
	s_mov_b32 s41, exec_lo
	v_cmpx_ne_u32_e32 0x7f, v67
	s_cbranch_execz .LBB346_96
; %bb.93:                               ;   in Loop: Header=BB346_10 Depth=1
	v_and_b32_e32 v1, 7, v66
	v_lshrrev_b32_e32 v65, 3, v67
	s_mov_b32 s42, exec_lo
	v_cmpx_gt_u32_e32 8, v67
; %bb.94:                               ;   in Loop: Header=BB346_10 Depth=1
	v_ffbh_u32_e32 v65, v1
	v_min_u32_e32 v65, 32, v65
	v_subrev_nc_u32_e32 v67, 28, v65
	v_sub_nc_u32_e32 v65, 29, v65
	v_lshlrev_b64 v[69:70], v67, v[1:2]
	v_and_b32_e32 v1, 7, v69
; %bb.95:                               ;   in Loop: Header=BB346_10 Depth=1
	s_or_b32 exec_lo, exec_lo, s42
	v_lshlrev_b32_e32 v67, 24, v66
	v_lshlrev_b32_e32 v1, 20, v1
	v_lshl_add_u32 v65, v65, 23, 0x3c000000
	v_and_b32_e32 v67, 0x80000000, v67
	v_or3_b32 v65, v1, v67, v65
.LBB346_96:                             ;   in Loop: Header=BB346_10 Depth=1
	s_or_b32 exec_lo, exec_lo, s41
.LBB346_97:                             ;   in Loop: Header=BB346_10 Depth=1
	s_or_b32 exec_lo, exec_lo, s40
.LBB346_98:                             ;   in Loop: Header=BB346_10 Depth=1
	s_or_b32 exec_lo, exec_lo, s4
	v_cmp_ne_u16_sdwa s3, v66, v2 src0_sel:BYTE_1 src1_sel:DWORD
	s_and_saveexec_b32 s4, s3
	s_cbranch_execz .LBB346_106
; %bb.99:                               ;   in Loop: Header=BB346_10 Depth=1
	v_cmp_ne_u16_sdwa s3, v66, v52 src0_sel:BYTE_1 src1_sel:DWORD
	v_bfrev_b32_e32 v68, 1
	s_and_saveexec_b32 s40, s3
	s_cbranch_execz .LBB346_105
; %bb.100:                              ;   in Loop: Header=BB346_10 Depth=1
	v_and_b32_sdwa v1, v53, v66 dst_sel:DWORD dst_unused:UNUSED_PAD src0_sel:DWORD src1_sel:BYTE_1
	v_mov_b32_e32 v68, 0x7f800001
	s_mov_b32 s41, exec_lo
	v_and_b32_e32 v69, 0x7f, v1
	v_cmpx_ne_u32_e32 0x7f, v69
	s_cbranch_execz .LBB346_104
; %bb.101:                              ;   in Loop: Header=BB346_10 Depth=1
	v_and_b32_e32 v1, 7, v1
	v_lshrrev_b32_e32 v67, 3, v69
	s_mov_b32 s42, exec_lo
	v_cmpx_gt_u32_e32 8, v69
; %bb.102:                              ;   in Loop: Header=BB346_10 Depth=1
	v_ffbh_u32_e32 v67, v1
	v_min_u32_e32 v67, 32, v67
	v_subrev_nc_u32_e32 v68, 28, v67
	v_sub_nc_u32_e32 v67, 29, v67
	v_lshlrev_b64 v[68:69], v68, v[1:2]
	v_and_b32_e32 v1, 7, v68
; %bb.103:                              ;   in Loop: Header=BB346_10 Depth=1
	s_or_b32 exec_lo, exec_lo, s42
	v_lshlrev_b32_e32 v66, 16, v66
	v_lshlrev_b32_e32 v1, 20, v1
	v_lshl_add_u32 v67, v67, 23, 0x3c000000
	v_and_b32_e32 v66, 0x80000000, v66
	v_or3_b32 v68, v1, v66, v67
.LBB346_104:                            ;   in Loop: Header=BB346_10 Depth=1
	s_or_b32 exec_lo, exec_lo, s41
.LBB346_105:                            ;   in Loop: Header=BB346_10 Depth=1
	s_or_b32 exec_lo, exec_lo, s40
.LBB346_106:                            ;   in Loop: Header=BB346_10 Depth=1
	s_or_b32 exec_lo, exec_lo, s4
	global_load_ushort v1, v[7:8], off offset:384
	v_mov_b32_e32 v67, 0
	v_mov_b32_e32 v66, 0
	s_waitcnt vmcnt(0)
	v_and_b32_e32 v69, 0xffff, v1
	v_cmp_ne_u16_sdwa s3, v1, v2 src0_sel:BYTE_0 src1_sel:DWORD
	s_and_saveexec_b32 s4, s3
	s_cbranch_execz .LBB346_114
; %bb.107:                              ;   in Loop: Header=BB346_10 Depth=1
	v_cmp_ne_u16_sdwa s3, v69, v52 src0_sel:BYTE_0 src1_sel:DWORD
	v_bfrev_b32_e32 v66, 1
	s_and_saveexec_b32 s40, s3
	s_cbranch_execz .LBB346_113
; %bb.108:                              ;   in Loop: Header=BB346_10 Depth=1
	v_and_b32_e32 v70, 0x7f, v69
	v_mov_b32_e32 v66, 0x7f800001
	s_mov_b32 s41, exec_lo
	v_cmpx_ne_u32_e32 0x7f, v70
	s_cbranch_execz .LBB346_112
; %bb.109:                              ;   in Loop: Header=BB346_10 Depth=1
	v_and_b32_e32 v1, 7, v69
	v_lshrrev_b32_e32 v66, 3, v70
	s_mov_b32 s42, exec_lo
	v_cmpx_gt_u32_e32 8, v70
; %bb.110:                              ;   in Loop: Header=BB346_10 Depth=1
	v_ffbh_u32_e32 v66, v1
	v_min_u32_e32 v66, 32, v66
	v_subrev_nc_u32_e32 v70, 28, v66
	v_sub_nc_u32_e32 v66, 29, v66
	v_lshlrev_b64 v[70:71], v70, v[1:2]
	v_and_b32_e32 v1, 7, v70
; %bb.111:                              ;   in Loop: Header=BB346_10 Depth=1
	s_or_b32 exec_lo, exec_lo, s42
	v_lshlrev_b32_e32 v70, 24, v69
	v_lshlrev_b32_e32 v1, 20, v1
	v_lshl_add_u32 v66, v66, 23, 0x3c000000
	v_and_b32_e32 v70, 0x80000000, v70
	v_or3_b32 v66, v1, v70, v66
.LBB346_112:                            ;   in Loop: Header=BB346_10 Depth=1
	s_or_b32 exec_lo, exec_lo, s41
.LBB346_113:                            ;   in Loop: Header=BB346_10 Depth=1
	s_or_b32 exec_lo, exec_lo, s40
.LBB346_114:                            ;   in Loop: Header=BB346_10 Depth=1
	s_or_b32 exec_lo, exec_lo, s4
	v_cmp_ne_u16_sdwa s3, v69, v2 src0_sel:BYTE_1 src1_sel:DWORD
	s_and_saveexec_b32 s4, s3
	s_cbranch_execz .LBB346_122
; %bb.115:                              ;   in Loop: Header=BB346_10 Depth=1
	v_cmp_ne_u16_sdwa s3, v69, v52 src0_sel:BYTE_1 src1_sel:DWORD
	v_bfrev_b32_e32 v67, 1
	s_and_saveexec_b32 s40, s3
	s_cbranch_execz .LBB346_121
; %bb.116:                              ;   in Loop: Header=BB346_10 Depth=1
	v_and_b32_sdwa v1, v53, v69 dst_sel:DWORD dst_unused:UNUSED_PAD src0_sel:DWORD src1_sel:BYTE_1
	v_mov_b32_e32 v67, 0x7f800001
	s_mov_b32 s41, exec_lo
	v_and_b32_e32 v70, 0x7f, v1
	v_cmpx_ne_u32_e32 0x7f, v70
	s_cbranch_execz .LBB346_120
; %bb.117:                              ;   in Loop: Header=BB346_10 Depth=1
	v_and_b32_e32 v1, 7, v1
	v_lshrrev_b32_e32 v67, 3, v70
	s_mov_b32 s42, exec_lo
	v_cmpx_gt_u32_e32 8, v70
; %bb.118:                              ;   in Loop: Header=BB346_10 Depth=1
	v_ffbh_u32_e32 v67, v1
	v_min_u32_e32 v67, 32, v67
	v_subrev_nc_u32_e32 v70, 28, v67
	v_sub_nc_u32_e32 v67, 29, v67
	v_lshlrev_b64 v[70:71], v70, v[1:2]
	v_and_b32_e32 v1, 7, v70
; %bb.119:                              ;   in Loop: Header=BB346_10 Depth=1
	s_or_b32 exec_lo, exec_lo, s42
	v_lshlrev_b32_e32 v69, 16, v69
	v_lshlrev_b32_e32 v1, 20, v1
	v_lshl_add_u32 v67, v67, 23, 0x3c000000
	v_and_b32_e32 v69, 0x80000000, v69
	v_or3_b32 v67, v1, v69, v67
.LBB346_120:                            ;   in Loop: Header=BB346_10 Depth=1
	s_or_b32 exec_lo, exec_lo, s41
.LBB346_121:                            ;   in Loop: Header=BB346_10 Depth=1
	s_or_b32 exec_lo, exec_lo, s40
.LBB346_122:                            ;   in Loop: Header=BB346_10 Depth=1
	s_or_b32 exec_lo, exec_lo, s4
	global_load_ushort v1, v[7:8], off offset:392
	v_mov_b32_e32 v70, 0
	v_mov_b32_e32 v69, 0
	s_waitcnt vmcnt(0)
	v_and_b32_e32 v71, 0xffff, v1
	v_cmp_ne_u16_sdwa s3, v1, v2 src0_sel:BYTE_0 src1_sel:DWORD
	s_and_saveexec_b32 s4, s3
	s_cbranch_execz .LBB346_130
; %bb.123:                              ;   in Loop: Header=BB346_10 Depth=1
	v_cmp_ne_u16_sdwa s3, v71, v52 src0_sel:BYTE_0 src1_sel:DWORD
	v_bfrev_b32_e32 v69, 1
	s_and_saveexec_b32 s40, s3
	s_cbranch_execz .LBB346_129
; %bb.124:                              ;   in Loop: Header=BB346_10 Depth=1
	v_and_b32_e32 v72, 0x7f, v71
	v_mov_b32_e32 v69, 0x7f800001
	s_mov_b32 s41, exec_lo
	v_cmpx_ne_u32_e32 0x7f, v72
	s_cbranch_execz .LBB346_128
; %bb.125:                              ;   in Loop: Header=BB346_10 Depth=1
	v_and_b32_e32 v1, 7, v71
	v_lshrrev_b32_e32 v69, 3, v72
	s_mov_b32 s42, exec_lo
	v_cmpx_gt_u32_e32 8, v72
; %bb.126:                              ;   in Loop: Header=BB346_10 Depth=1
	v_ffbh_u32_e32 v69, v1
	v_min_u32_e32 v69, 32, v69
	v_subrev_nc_u32_e32 v72, 28, v69
	v_sub_nc_u32_e32 v69, 29, v69
	v_lshlrev_b64 v[72:73], v72, v[1:2]
	v_and_b32_e32 v1, 7, v72
; %bb.127:                              ;   in Loop: Header=BB346_10 Depth=1
	s_or_b32 exec_lo, exec_lo, s42
	v_lshlrev_b32_e32 v72, 24, v71
	v_lshlrev_b32_e32 v1, 20, v1
	v_lshl_add_u32 v69, v69, 23, 0x3c000000
	v_and_b32_e32 v72, 0x80000000, v72
	v_or3_b32 v69, v1, v72, v69
.LBB346_128:                            ;   in Loop: Header=BB346_10 Depth=1
	s_or_b32 exec_lo, exec_lo, s41
.LBB346_129:                            ;   in Loop: Header=BB346_10 Depth=1
	s_or_b32 exec_lo, exec_lo, s40
.LBB346_130:                            ;   in Loop: Header=BB346_10 Depth=1
	s_or_b32 exec_lo, exec_lo, s4
	v_cmp_ne_u16_sdwa s3, v71, v2 src0_sel:BYTE_1 src1_sel:DWORD
	s_and_saveexec_b32 s4, s3
	s_cbranch_execz .LBB346_138
; %bb.131:                              ;   in Loop: Header=BB346_10 Depth=1
	v_cmp_ne_u16_sdwa s3, v71, v52 src0_sel:BYTE_1 src1_sel:DWORD
	v_bfrev_b32_e32 v70, 1
	s_and_saveexec_b32 s40, s3
	s_cbranch_execz .LBB346_137
; %bb.132:                              ;   in Loop: Header=BB346_10 Depth=1
	v_and_b32_sdwa v1, v53, v71 dst_sel:DWORD dst_unused:UNUSED_PAD src0_sel:DWORD src1_sel:BYTE_1
	v_mov_b32_e32 v70, 0x7f800001
	s_mov_b32 s41, exec_lo
	v_and_b32_e32 v72, 0x7f, v1
	v_cmpx_ne_u32_e32 0x7f, v72
	s_cbranch_execz .LBB346_136
; %bb.133:                              ;   in Loop: Header=BB346_10 Depth=1
	v_and_b32_e32 v1, 7, v1
	v_lshrrev_b32_e32 v70, 3, v72
	s_mov_b32 s42, exec_lo
	v_cmpx_gt_u32_e32 8, v72
; %bb.134:                              ;   in Loop: Header=BB346_10 Depth=1
	v_ffbh_u32_e32 v70, v1
	v_min_u32_e32 v70, 32, v70
	v_subrev_nc_u32_e32 v72, 28, v70
	v_sub_nc_u32_e32 v70, 29, v70
	v_lshlrev_b64 v[72:73], v72, v[1:2]
	v_and_b32_e32 v1, 7, v72
; %bb.135:                              ;   in Loop: Header=BB346_10 Depth=1
	s_or_b32 exec_lo, exec_lo, s42
	v_lshlrev_b32_e32 v71, 16, v71
	v_lshlrev_b32_e32 v1, 20, v1
	v_lshl_add_u32 v70, v70, 23, 0x3c000000
	v_and_b32_e32 v71, 0x80000000, v71
	v_or3_b32 v70, v1, v71, v70
.LBB346_136:                            ;   in Loop: Header=BB346_10 Depth=1
	s_or_b32 exec_lo, exec_lo, s41
.LBB346_137:                            ;   in Loop: Header=BB346_10 Depth=1
	s_or_b32 exec_lo, exec_lo, s40
.LBB346_138:                            ;   in Loop: Header=BB346_10 Depth=1
	s_or_b32 exec_lo, exec_lo, s4
	global_load_ushort v1, v[7:8], off offset:512
	v_mov_b32_e32 v72, 0
	v_mov_b32_e32 v71, 0
	s_waitcnt vmcnt(0)
	v_and_b32_e32 v73, 0xffff, v1
	v_cmp_ne_u16_sdwa s3, v1, v2 src0_sel:BYTE_0 src1_sel:DWORD
	s_and_saveexec_b32 s4, s3
	s_cbranch_execz .LBB346_146
; %bb.139:                              ;   in Loop: Header=BB346_10 Depth=1
	v_cmp_ne_u16_sdwa s3, v73, v52 src0_sel:BYTE_0 src1_sel:DWORD
	v_bfrev_b32_e32 v71, 1
	s_and_saveexec_b32 s40, s3
	s_cbranch_execz .LBB346_145
; %bb.140:                              ;   in Loop: Header=BB346_10 Depth=1
	v_and_b32_e32 v74, 0x7f, v73
	v_mov_b32_e32 v71, 0x7f800001
	s_mov_b32 s41, exec_lo
	v_cmpx_ne_u32_e32 0x7f, v74
	s_cbranch_execz .LBB346_144
; %bb.141:                              ;   in Loop: Header=BB346_10 Depth=1
	v_and_b32_e32 v1, 7, v73
	v_lshrrev_b32_e32 v71, 3, v74
	s_mov_b32 s42, exec_lo
	v_cmpx_gt_u32_e32 8, v74
; %bb.142:                              ;   in Loop: Header=BB346_10 Depth=1
	v_ffbh_u32_e32 v71, v1
	v_min_u32_e32 v71, 32, v71
	v_subrev_nc_u32_e32 v74, 28, v71
	v_sub_nc_u32_e32 v71, 29, v71
	v_lshlrev_b64 v[74:75], v74, v[1:2]
	v_and_b32_e32 v1, 7, v74
; %bb.143:                              ;   in Loop: Header=BB346_10 Depth=1
	s_or_b32 exec_lo, exec_lo, s42
	v_lshlrev_b32_e32 v74, 24, v73
	v_lshlrev_b32_e32 v1, 20, v1
	v_lshl_add_u32 v71, v71, 23, 0x3c000000
	v_and_b32_e32 v74, 0x80000000, v74
	v_or3_b32 v71, v1, v74, v71
.LBB346_144:                            ;   in Loop: Header=BB346_10 Depth=1
	s_or_b32 exec_lo, exec_lo, s41
.LBB346_145:                            ;   in Loop: Header=BB346_10 Depth=1
	s_or_b32 exec_lo, exec_lo, s40
.LBB346_146:                            ;   in Loop: Header=BB346_10 Depth=1
	s_or_b32 exec_lo, exec_lo, s4
	v_cmp_ne_u16_sdwa s3, v73, v2 src0_sel:BYTE_1 src1_sel:DWORD
	s_and_saveexec_b32 s4, s3
	s_cbranch_execz .LBB346_154
; %bb.147:                              ;   in Loop: Header=BB346_10 Depth=1
	v_cmp_ne_u16_sdwa s3, v73, v52 src0_sel:BYTE_1 src1_sel:DWORD
	v_bfrev_b32_e32 v72, 1
	s_and_saveexec_b32 s40, s3
	s_cbranch_execz .LBB346_153
; %bb.148:                              ;   in Loop: Header=BB346_10 Depth=1
	v_and_b32_sdwa v1, v53, v73 dst_sel:DWORD dst_unused:UNUSED_PAD src0_sel:DWORD src1_sel:BYTE_1
	v_mov_b32_e32 v72, 0x7f800001
	s_mov_b32 s41, exec_lo
	v_and_b32_e32 v74, 0x7f, v1
	v_cmpx_ne_u32_e32 0x7f, v74
	s_cbranch_execz .LBB346_152
; %bb.149:                              ;   in Loop: Header=BB346_10 Depth=1
	v_and_b32_e32 v1, 7, v1
	v_lshrrev_b32_e32 v72, 3, v74
	s_mov_b32 s42, exec_lo
	v_cmpx_gt_u32_e32 8, v74
; %bb.150:                              ;   in Loop: Header=BB346_10 Depth=1
	v_ffbh_u32_e32 v72, v1
	v_min_u32_e32 v72, 32, v72
	v_subrev_nc_u32_e32 v74, 28, v72
	v_sub_nc_u32_e32 v72, 29, v72
	v_lshlrev_b64 v[74:75], v74, v[1:2]
	v_and_b32_e32 v1, 7, v74
; %bb.151:                              ;   in Loop: Header=BB346_10 Depth=1
	s_or_b32 exec_lo, exec_lo, s42
	v_lshlrev_b32_e32 v73, 16, v73
	v_lshlrev_b32_e32 v1, 20, v1
	v_lshl_add_u32 v72, v72, 23, 0x3c000000
	v_and_b32_e32 v73, 0x80000000, v73
	v_or3_b32 v72, v1, v73, v72
.LBB346_152:                            ;   in Loop: Header=BB346_10 Depth=1
	s_or_b32 exec_lo, exec_lo, s41
.LBB346_153:                            ;   in Loop: Header=BB346_10 Depth=1
	s_or_b32 exec_lo, exec_lo, s40
.LBB346_154:                            ;   in Loop: Header=BB346_10 Depth=1
	s_or_b32 exec_lo, exec_lo, s4
	global_load_ushort v1, v[7:8], off offset:520
	v_mov_b32_e32 v74, 0
	v_mov_b32_e32 v73, 0
	s_waitcnt vmcnt(0)
	v_and_b32_e32 v75, 0xffff, v1
	v_cmp_ne_u16_sdwa s3, v1, v2 src0_sel:BYTE_0 src1_sel:DWORD
	s_and_saveexec_b32 s4, s3
	s_cbranch_execz .LBB346_162
; %bb.155:                              ;   in Loop: Header=BB346_10 Depth=1
	v_cmp_ne_u16_sdwa s3, v75, v52 src0_sel:BYTE_0 src1_sel:DWORD
	v_bfrev_b32_e32 v73, 1
	s_and_saveexec_b32 s40, s3
	s_cbranch_execz .LBB346_161
; %bb.156:                              ;   in Loop: Header=BB346_10 Depth=1
	v_and_b32_e32 v76, 0x7f, v75
	v_mov_b32_e32 v73, 0x7f800001
	s_mov_b32 s41, exec_lo
	v_cmpx_ne_u32_e32 0x7f, v76
	s_cbranch_execz .LBB346_160
; %bb.157:                              ;   in Loop: Header=BB346_10 Depth=1
	v_and_b32_e32 v1, 7, v75
	v_lshrrev_b32_e32 v73, 3, v76
	s_mov_b32 s42, exec_lo
	v_cmpx_gt_u32_e32 8, v76
; %bb.158:                              ;   in Loop: Header=BB346_10 Depth=1
	v_ffbh_u32_e32 v73, v1
	v_min_u32_e32 v73, 32, v73
	v_subrev_nc_u32_e32 v76, 28, v73
	v_sub_nc_u32_e32 v73, 29, v73
	v_lshlrev_b64 v[76:77], v76, v[1:2]
	v_and_b32_e32 v1, 7, v76
; %bb.159:                              ;   in Loop: Header=BB346_10 Depth=1
	s_or_b32 exec_lo, exec_lo, s42
	v_lshlrev_b32_e32 v76, 24, v75
	v_lshlrev_b32_e32 v1, 20, v1
	v_lshl_add_u32 v73, v73, 23, 0x3c000000
	v_and_b32_e32 v76, 0x80000000, v76
	v_or3_b32 v73, v1, v76, v73
.LBB346_160:                            ;   in Loop: Header=BB346_10 Depth=1
	s_or_b32 exec_lo, exec_lo, s41
.LBB346_161:                            ;   in Loop: Header=BB346_10 Depth=1
	s_or_b32 exec_lo, exec_lo, s40
.LBB346_162:                            ;   in Loop: Header=BB346_10 Depth=1
	s_or_b32 exec_lo, exec_lo, s4
	v_cmp_ne_u16_sdwa s3, v75, v2 src0_sel:BYTE_1 src1_sel:DWORD
	s_and_saveexec_b32 s4, s3
	s_cbranch_execz .LBB346_170
; %bb.163:                              ;   in Loop: Header=BB346_10 Depth=1
	v_cmp_ne_u16_sdwa s3, v75, v52 src0_sel:BYTE_1 src1_sel:DWORD
	v_bfrev_b32_e32 v74, 1
	s_and_saveexec_b32 s40, s3
	s_cbranch_execz .LBB346_169
; %bb.164:                              ;   in Loop: Header=BB346_10 Depth=1
	v_and_b32_sdwa v1, v53, v75 dst_sel:DWORD dst_unused:UNUSED_PAD src0_sel:DWORD src1_sel:BYTE_1
	v_mov_b32_e32 v74, 0x7f800001
	s_mov_b32 s41, exec_lo
	v_and_b32_e32 v76, 0x7f, v1
	v_cmpx_ne_u32_e32 0x7f, v76
	s_cbranch_execz .LBB346_168
; %bb.165:                              ;   in Loop: Header=BB346_10 Depth=1
	v_and_b32_e32 v1, 7, v1
	v_lshrrev_b32_e32 v74, 3, v76
	s_mov_b32 s42, exec_lo
	v_cmpx_gt_u32_e32 8, v76
; %bb.166:                              ;   in Loop: Header=BB346_10 Depth=1
	v_ffbh_u32_e32 v74, v1
	v_min_u32_e32 v74, 32, v74
	v_subrev_nc_u32_e32 v76, 28, v74
	v_sub_nc_u32_e32 v74, 29, v74
	v_lshlrev_b64 v[76:77], v76, v[1:2]
	v_and_b32_e32 v1, 7, v76
; %bb.167:                              ;   in Loop: Header=BB346_10 Depth=1
	s_or_b32 exec_lo, exec_lo, s42
	v_lshlrev_b32_e32 v75, 16, v75
	v_lshlrev_b32_e32 v1, 20, v1
	v_lshl_add_u32 v74, v74, 23, 0x3c000000
	v_and_b32_e32 v75, 0x80000000, v75
	v_or3_b32 v74, v1, v75, v74
.LBB346_168:                            ;   in Loop: Header=BB346_10 Depth=1
	s_or_b32 exec_lo, exec_lo, s41
.LBB346_169:                            ;   in Loop: Header=BB346_10 Depth=1
	s_or_b32 exec_lo, exec_lo, s40
.LBB346_170:                            ;   in Loop: Header=BB346_10 Depth=1
	s_or_b32 exec_lo, exec_lo, s4
	global_load_ushort v1, v[7:8], off offset:640
	v_mov_b32_e32 v76, 0
	v_mov_b32_e32 v75, 0
	s_waitcnt vmcnt(0)
	v_and_b32_e32 v77, 0xffff, v1
	v_cmp_ne_u16_sdwa s3, v1, v2 src0_sel:BYTE_0 src1_sel:DWORD
	s_and_saveexec_b32 s4, s3
	s_cbranch_execz .LBB346_178
; %bb.171:                              ;   in Loop: Header=BB346_10 Depth=1
	v_cmp_ne_u16_sdwa s3, v77, v52 src0_sel:BYTE_0 src1_sel:DWORD
	v_bfrev_b32_e32 v75, 1
	s_and_saveexec_b32 s40, s3
	s_cbranch_execz .LBB346_177
; %bb.172:                              ;   in Loop: Header=BB346_10 Depth=1
	v_and_b32_e32 v78, 0x7f, v77
	v_mov_b32_e32 v75, 0x7f800001
	s_mov_b32 s41, exec_lo
	v_cmpx_ne_u32_e32 0x7f, v78
	s_cbranch_execz .LBB346_176
; %bb.173:                              ;   in Loop: Header=BB346_10 Depth=1
	v_and_b32_e32 v1, 7, v77
	v_lshrrev_b32_e32 v75, 3, v78
	s_mov_b32 s42, exec_lo
	v_cmpx_gt_u32_e32 8, v78
; %bb.174:                              ;   in Loop: Header=BB346_10 Depth=1
	v_ffbh_u32_e32 v75, v1
	v_min_u32_e32 v75, 32, v75
	v_subrev_nc_u32_e32 v78, 28, v75
	v_sub_nc_u32_e32 v75, 29, v75
	v_lshlrev_b64 v[78:79], v78, v[1:2]
	v_and_b32_e32 v1, 7, v78
; %bb.175:                              ;   in Loop: Header=BB346_10 Depth=1
	s_or_b32 exec_lo, exec_lo, s42
	v_lshlrev_b32_e32 v78, 24, v77
	v_lshlrev_b32_e32 v1, 20, v1
	v_lshl_add_u32 v75, v75, 23, 0x3c000000
	v_and_b32_e32 v78, 0x80000000, v78
	v_or3_b32 v75, v1, v78, v75
.LBB346_176:                            ;   in Loop: Header=BB346_10 Depth=1
	s_or_b32 exec_lo, exec_lo, s41
.LBB346_177:                            ;   in Loop: Header=BB346_10 Depth=1
	s_or_b32 exec_lo, exec_lo, s40
.LBB346_178:                            ;   in Loop: Header=BB346_10 Depth=1
	s_or_b32 exec_lo, exec_lo, s4
	v_cmp_ne_u16_sdwa s3, v77, v2 src0_sel:BYTE_1 src1_sel:DWORD
	s_and_saveexec_b32 s4, s3
	s_cbranch_execz .LBB346_186
; %bb.179:                              ;   in Loop: Header=BB346_10 Depth=1
	v_cmp_ne_u16_sdwa s3, v77, v52 src0_sel:BYTE_1 src1_sel:DWORD
	v_bfrev_b32_e32 v76, 1
	s_and_saveexec_b32 s40, s3
	s_cbranch_execz .LBB346_185
; %bb.180:                              ;   in Loop: Header=BB346_10 Depth=1
	v_and_b32_sdwa v1, v53, v77 dst_sel:DWORD dst_unused:UNUSED_PAD src0_sel:DWORD src1_sel:BYTE_1
	v_mov_b32_e32 v76, 0x7f800001
	s_mov_b32 s41, exec_lo
	v_and_b32_e32 v78, 0x7f, v1
	v_cmpx_ne_u32_e32 0x7f, v78
	s_cbranch_execz .LBB346_184
; %bb.181:                              ;   in Loop: Header=BB346_10 Depth=1
	v_and_b32_e32 v1, 7, v1
	v_lshrrev_b32_e32 v76, 3, v78
	s_mov_b32 s42, exec_lo
	v_cmpx_gt_u32_e32 8, v78
; %bb.182:                              ;   in Loop: Header=BB346_10 Depth=1
	v_ffbh_u32_e32 v76, v1
	v_min_u32_e32 v76, 32, v76
	v_subrev_nc_u32_e32 v78, 28, v76
	v_sub_nc_u32_e32 v76, 29, v76
	v_lshlrev_b64 v[78:79], v78, v[1:2]
	v_and_b32_e32 v1, 7, v78
; %bb.183:                              ;   in Loop: Header=BB346_10 Depth=1
	s_or_b32 exec_lo, exec_lo, s42
	v_lshlrev_b32_e32 v77, 16, v77
	v_lshlrev_b32_e32 v1, 20, v1
	v_lshl_add_u32 v76, v76, 23, 0x3c000000
	v_and_b32_e32 v77, 0x80000000, v77
	v_or3_b32 v76, v1, v77, v76
.LBB346_184:                            ;   in Loop: Header=BB346_10 Depth=1
	s_or_b32 exec_lo, exec_lo, s41
.LBB346_185:                            ;   in Loop: Header=BB346_10 Depth=1
	s_or_b32 exec_lo, exec_lo, s40
.LBB346_186:                            ;   in Loop: Header=BB346_10 Depth=1
	s_or_b32 exec_lo, exec_lo, s4
	global_load_ushort v1, v[7:8], off offset:648
	v_mov_b32_e32 v78, 0
	v_mov_b32_e32 v77, 0
	s_waitcnt vmcnt(0)
	v_and_b32_e32 v79, 0xffff, v1
	v_cmp_ne_u16_sdwa s3, v1, v2 src0_sel:BYTE_0 src1_sel:DWORD
	s_and_saveexec_b32 s4, s3
	s_cbranch_execz .LBB346_194
; %bb.187:                              ;   in Loop: Header=BB346_10 Depth=1
	v_cmp_ne_u16_sdwa s3, v79, v52 src0_sel:BYTE_0 src1_sel:DWORD
	v_bfrev_b32_e32 v77, 1
	s_and_saveexec_b32 s40, s3
	s_cbranch_execz .LBB346_193
; %bb.188:                              ;   in Loop: Header=BB346_10 Depth=1
	v_and_b32_e32 v80, 0x7f, v79
	v_mov_b32_e32 v77, 0x7f800001
	s_mov_b32 s41, exec_lo
	v_cmpx_ne_u32_e32 0x7f, v80
	s_cbranch_execz .LBB346_192
; %bb.189:                              ;   in Loop: Header=BB346_10 Depth=1
	v_and_b32_e32 v1, 7, v79
	v_lshrrev_b32_e32 v77, 3, v80
	s_mov_b32 s42, exec_lo
	v_cmpx_gt_u32_e32 8, v80
; %bb.190:                              ;   in Loop: Header=BB346_10 Depth=1
	v_ffbh_u32_e32 v77, v1
	v_min_u32_e32 v77, 32, v77
	v_subrev_nc_u32_e32 v80, 28, v77
	v_sub_nc_u32_e32 v77, 29, v77
	v_lshlrev_b64 v[80:81], v80, v[1:2]
	v_and_b32_e32 v1, 7, v80
; %bb.191:                              ;   in Loop: Header=BB346_10 Depth=1
	s_or_b32 exec_lo, exec_lo, s42
	v_lshlrev_b32_e32 v80, 24, v79
	v_lshlrev_b32_e32 v1, 20, v1
	v_lshl_add_u32 v77, v77, 23, 0x3c000000
	v_and_b32_e32 v80, 0x80000000, v80
	v_or3_b32 v77, v1, v80, v77
.LBB346_192:                            ;   in Loop: Header=BB346_10 Depth=1
	s_or_b32 exec_lo, exec_lo, s41
.LBB346_193:                            ;   in Loop: Header=BB346_10 Depth=1
	s_or_b32 exec_lo, exec_lo, s40
.LBB346_194:                            ;   in Loop: Header=BB346_10 Depth=1
	s_or_b32 exec_lo, exec_lo, s4
	v_cmp_ne_u16_sdwa s3, v79, v2 src0_sel:BYTE_1 src1_sel:DWORD
	s_and_saveexec_b32 s4, s3
	s_cbranch_execz .LBB346_202
; %bb.195:                              ;   in Loop: Header=BB346_10 Depth=1
	v_cmp_ne_u16_sdwa s3, v79, v52 src0_sel:BYTE_1 src1_sel:DWORD
	v_bfrev_b32_e32 v78, 1
	s_and_saveexec_b32 s40, s3
	s_cbranch_execz .LBB346_201
; %bb.196:                              ;   in Loop: Header=BB346_10 Depth=1
	v_and_b32_sdwa v1, v53, v79 dst_sel:DWORD dst_unused:UNUSED_PAD src0_sel:DWORD src1_sel:BYTE_1
	v_mov_b32_e32 v78, 0x7f800001
	s_mov_b32 s41, exec_lo
	v_and_b32_e32 v80, 0x7f, v1
	v_cmpx_ne_u32_e32 0x7f, v80
	s_cbranch_execz .LBB346_200
; %bb.197:                              ;   in Loop: Header=BB346_10 Depth=1
	v_and_b32_e32 v1, 7, v1
	v_lshrrev_b32_e32 v78, 3, v80
	s_mov_b32 s42, exec_lo
	v_cmpx_gt_u32_e32 8, v80
; %bb.198:                              ;   in Loop: Header=BB346_10 Depth=1
	v_ffbh_u32_e32 v78, v1
	v_min_u32_e32 v78, 32, v78
	v_subrev_nc_u32_e32 v80, 28, v78
	v_sub_nc_u32_e32 v78, 29, v78
	v_lshlrev_b64 v[80:81], v80, v[1:2]
	v_and_b32_e32 v1, 7, v80
; %bb.199:                              ;   in Loop: Header=BB346_10 Depth=1
	s_or_b32 exec_lo, exec_lo, s42
	v_lshlrev_b32_e32 v79, 16, v79
	v_lshlrev_b32_e32 v1, 20, v1
	v_lshl_add_u32 v78, v78, 23, 0x3c000000
	v_and_b32_e32 v79, 0x80000000, v79
	v_or3_b32 v78, v1, v79, v78
.LBB346_200:                            ;   in Loop: Header=BB346_10 Depth=1
	s_or_b32 exec_lo, exec_lo, s41
.LBB346_201:                            ;   in Loop: Header=BB346_10 Depth=1
	s_or_b32 exec_lo, exec_lo, s40
.LBB346_202:                            ;   in Loop: Header=BB346_10 Depth=1
	s_or_b32 exec_lo, exec_lo, s4
	global_load_ushort v1, v[7:8], off offset:768
	v_mov_b32_e32 v80, 0
	v_mov_b32_e32 v79, 0
	s_waitcnt vmcnt(0)
	v_and_b32_e32 v81, 0xffff, v1
	v_cmp_ne_u16_sdwa s3, v1, v2 src0_sel:BYTE_0 src1_sel:DWORD
	s_and_saveexec_b32 s4, s3
	s_cbranch_execz .LBB346_210
; %bb.203:                              ;   in Loop: Header=BB346_10 Depth=1
	v_cmp_ne_u16_sdwa s3, v81, v52 src0_sel:BYTE_0 src1_sel:DWORD
	v_bfrev_b32_e32 v79, 1
	s_and_saveexec_b32 s40, s3
	s_cbranch_execz .LBB346_209
; %bb.204:                              ;   in Loop: Header=BB346_10 Depth=1
	v_and_b32_e32 v82, 0x7f, v81
	v_mov_b32_e32 v79, 0x7f800001
	s_mov_b32 s41, exec_lo
	v_cmpx_ne_u32_e32 0x7f, v82
	s_cbranch_execz .LBB346_208
; %bb.205:                              ;   in Loop: Header=BB346_10 Depth=1
	v_and_b32_e32 v1, 7, v81
	v_lshrrev_b32_e32 v79, 3, v82
	s_mov_b32 s42, exec_lo
	v_cmpx_gt_u32_e32 8, v82
; %bb.206:                              ;   in Loop: Header=BB346_10 Depth=1
	v_ffbh_u32_e32 v79, v1
	v_min_u32_e32 v79, 32, v79
	v_subrev_nc_u32_e32 v82, 28, v79
	v_sub_nc_u32_e32 v79, 29, v79
	v_lshlrev_b64 v[82:83], v82, v[1:2]
	v_and_b32_e32 v1, 7, v82
; %bb.207:                              ;   in Loop: Header=BB346_10 Depth=1
	s_or_b32 exec_lo, exec_lo, s42
	v_lshlrev_b32_e32 v82, 24, v81
	v_lshlrev_b32_e32 v1, 20, v1
	v_lshl_add_u32 v79, v79, 23, 0x3c000000
	v_and_b32_e32 v82, 0x80000000, v82
	v_or3_b32 v79, v1, v82, v79
.LBB346_208:                            ;   in Loop: Header=BB346_10 Depth=1
	s_or_b32 exec_lo, exec_lo, s41
.LBB346_209:                            ;   in Loop: Header=BB346_10 Depth=1
	s_or_b32 exec_lo, exec_lo, s40
.LBB346_210:                            ;   in Loop: Header=BB346_10 Depth=1
	s_or_b32 exec_lo, exec_lo, s4
	v_cmp_ne_u16_sdwa s3, v81, v2 src0_sel:BYTE_1 src1_sel:DWORD
	s_and_saveexec_b32 s4, s3
	s_cbranch_execz .LBB346_218
; %bb.211:                              ;   in Loop: Header=BB346_10 Depth=1
	v_cmp_ne_u16_sdwa s3, v81, v52 src0_sel:BYTE_1 src1_sel:DWORD
	v_bfrev_b32_e32 v80, 1
	s_and_saveexec_b32 s40, s3
	s_cbranch_execz .LBB346_217
; %bb.212:                              ;   in Loop: Header=BB346_10 Depth=1
	v_and_b32_sdwa v1, v53, v81 dst_sel:DWORD dst_unused:UNUSED_PAD src0_sel:DWORD src1_sel:BYTE_1
	v_mov_b32_e32 v80, 0x7f800001
	s_mov_b32 s41, exec_lo
	v_and_b32_e32 v82, 0x7f, v1
	v_cmpx_ne_u32_e32 0x7f, v82
	s_cbranch_execz .LBB346_216
; %bb.213:                              ;   in Loop: Header=BB346_10 Depth=1
	v_and_b32_e32 v1, 7, v1
	v_lshrrev_b32_e32 v80, 3, v82
	s_mov_b32 s42, exec_lo
	v_cmpx_gt_u32_e32 8, v82
; %bb.214:                              ;   in Loop: Header=BB346_10 Depth=1
	v_ffbh_u32_e32 v80, v1
	v_min_u32_e32 v80, 32, v80
	v_subrev_nc_u32_e32 v82, 28, v80
	v_sub_nc_u32_e32 v80, 29, v80
	v_lshlrev_b64 v[82:83], v82, v[1:2]
	v_and_b32_e32 v1, 7, v82
; %bb.215:                              ;   in Loop: Header=BB346_10 Depth=1
	s_or_b32 exec_lo, exec_lo, s42
	v_lshlrev_b32_e32 v81, 16, v81
	v_lshlrev_b32_e32 v1, 20, v1
	v_lshl_add_u32 v80, v80, 23, 0x3c000000
	v_and_b32_e32 v81, 0x80000000, v81
	v_or3_b32 v80, v1, v81, v80
.LBB346_216:                            ;   in Loop: Header=BB346_10 Depth=1
	s_or_b32 exec_lo, exec_lo, s41
.LBB346_217:                            ;   in Loop: Header=BB346_10 Depth=1
	s_or_b32 exec_lo, exec_lo, s40
.LBB346_218:                            ;   in Loop: Header=BB346_10 Depth=1
	s_or_b32 exec_lo, exec_lo, s4
	global_load_ushort v1, v[7:8], off offset:776
	v_mov_b32_e32 v82, 0
	v_mov_b32_e32 v81, 0
	s_waitcnt vmcnt(0)
	v_and_b32_e32 v83, 0xffff, v1
	v_cmp_ne_u16_sdwa s3, v1, v2 src0_sel:BYTE_0 src1_sel:DWORD
	s_and_saveexec_b32 s4, s3
	s_cbranch_execz .LBB346_226
; %bb.219:                              ;   in Loop: Header=BB346_10 Depth=1
	v_cmp_ne_u16_sdwa s3, v83, v52 src0_sel:BYTE_0 src1_sel:DWORD
	v_bfrev_b32_e32 v81, 1
	s_and_saveexec_b32 s40, s3
	s_cbranch_execz .LBB346_225
; %bb.220:                              ;   in Loop: Header=BB346_10 Depth=1
	v_and_b32_e32 v84, 0x7f, v83
	v_mov_b32_e32 v81, 0x7f800001
	s_mov_b32 s41, exec_lo
	v_cmpx_ne_u32_e32 0x7f, v84
	s_cbranch_execz .LBB346_224
; %bb.221:                              ;   in Loop: Header=BB346_10 Depth=1
	v_and_b32_e32 v1, 7, v83
	v_lshrrev_b32_e32 v81, 3, v84
	s_mov_b32 s42, exec_lo
	v_cmpx_gt_u32_e32 8, v84
; %bb.222:                              ;   in Loop: Header=BB346_10 Depth=1
	v_ffbh_u32_e32 v81, v1
	v_min_u32_e32 v81, 32, v81
	v_subrev_nc_u32_e32 v84, 28, v81
	v_sub_nc_u32_e32 v81, 29, v81
	v_lshlrev_b64 v[84:85], v84, v[1:2]
	v_and_b32_e32 v1, 7, v84
; %bb.223:                              ;   in Loop: Header=BB346_10 Depth=1
	s_or_b32 exec_lo, exec_lo, s42
	v_lshlrev_b32_e32 v84, 24, v83
	v_lshlrev_b32_e32 v1, 20, v1
	v_lshl_add_u32 v81, v81, 23, 0x3c000000
	v_and_b32_e32 v84, 0x80000000, v84
	v_or3_b32 v81, v1, v84, v81
.LBB346_224:                            ;   in Loop: Header=BB346_10 Depth=1
	s_or_b32 exec_lo, exec_lo, s41
.LBB346_225:                            ;   in Loop: Header=BB346_10 Depth=1
	s_or_b32 exec_lo, exec_lo, s40
.LBB346_226:                            ;   in Loop: Header=BB346_10 Depth=1
	s_or_b32 exec_lo, exec_lo, s4
	v_cmp_ne_u16_sdwa s3, v83, v2 src0_sel:BYTE_1 src1_sel:DWORD
	s_and_saveexec_b32 s4, s3
	s_cbranch_execz .LBB346_234
; %bb.227:                              ;   in Loop: Header=BB346_10 Depth=1
	v_cmp_ne_u16_sdwa s3, v83, v52 src0_sel:BYTE_1 src1_sel:DWORD
	v_bfrev_b32_e32 v82, 1
	s_and_saveexec_b32 s40, s3
	s_cbranch_execz .LBB346_233
; %bb.228:                              ;   in Loop: Header=BB346_10 Depth=1
	v_and_b32_sdwa v1, v53, v83 dst_sel:DWORD dst_unused:UNUSED_PAD src0_sel:DWORD src1_sel:BYTE_1
	v_mov_b32_e32 v82, 0x7f800001
	s_mov_b32 s41, exec_lo
	v_and_b32_e32 v84, 0x7f, v1
	v_cmpx_ne_u32_e32 0x7f, v84
	s_cbranch_execz .LBB346_232
; %bb.229:                              ;   in Loop: Header=BB346_10 Depth=1
	v_and_b32_e32 v1, 7, v1
	v_lshrrev_b32_e32 v82, 3, v84
	s_mov_b32 s42, exec_lo
	v_cmpx_gt_u32_e32 8, v84
; %bb.230:                              ;   in Loop: Header=BB346_10 Depth=1
	v_ffbh_u32_e32 v82, v1
	v_min_u32_e32 v82, 32, v82
	v_subrev_nc_u32_e32 v84, 28, v82
	v_sub_nc_u32_e32 v82, 29, v82
	v_lshlrev_b64 v[84:85], v84, v[1:2]
	v_and_b32_e32 v1, 7, v84
; %bb.231:                              ;   in Loop: Header=BB346_10 Depth=1
	s_or_b32 exec_lo, exec_lo, s42
	v_lshlrev_b32_e32 v83, 16, v83
	v_lshlrev_b32_e32 v1, 20, v1
	v_lshl_add_u32 v82, v82, 23, 0x3c000000
	v_and_b32_e32 v83, 0x80000000, v83
	v_or3_b32 v82, v1, v83, v82
.LBB346_232:                            ;   in Loop: Header=BB346_10 Depth=1
	s_or_b32 exec_lo, exec_lo, s41
.LBB346_233:                            ;   in Loop: Header=BB346_10 Depth=1
	s_or_b32 exec_lo, exec_lo, s40
.LBB346_234:                            ;   in Loop: Header=BB346_10 Depth=1
	s_or_b32 exec_lo, exec_lo, s4
	global_load_ushort v1, v[7:8], off offset:896
	v_mov_b32_e32 v84, 0
	v_mov_b32_e32 v83, 0
	s_waitcnt vmcnt(0)
	v_and_b32_e32 v85, 0xffff, v1
	v_cmp_ne_u16_sdwa s3, v1, v2 src0_sel:BYTE_0 src1_sel:DWORD
	s_and_saveexec_b32 s4, s3
	s_cbranch_execz .LBB346_242
; %bb.235:                              ;   in Loop: Header=BB346_10 Depth=1
	v_cmp_ne_u16_sdwa s3, v85, v52 src0_sel:BYTE_0 src1_sel:DWORD
	v_bfrev_b32_e32 v83, 1
	s_and_saveexec_b32 s40, s3
	s_cbranch_execz .LBB346_241
; %bb.236:                              ;   in Loop: Header=BB346_10 Depth=1
	v_and_b32_e32 v86, 0x7f, v85
	v_mov_b32_e32 v83, 0x7f800001
	s_mov_b32 s41, exec_lo
	v_cmpx_ne_u32_e32 0x7f, v86
	s_cbranch_execz .LBB346_240
; %bb.237:                              ;   in Loop: Header=BB346_10 Depth=1
	v_and_b32_e32 v1, 7, v85
	v_lshrrev_b32_e32 v83, 3, v86
	s_mov_b32 s42, exec_lo
	v_cmpx_gt_u32_e32 8, v86
; %bb.238:                              ;   in Loop: Header=BB346_10 Depth=1
	v_ffbh_u32_e32 v83, v1
	v_min_u32_e32 v83, 32, v83
	v_subrev_nc_u32_e32 v86, 28, v83
	v_sub_nc_u32_e32 v83, 29, v83
	v_lshlrev_b64 v[86:87], v86, v[1:2]
	v_and_b32_e32 v1, 7, v86
; %bb.239:                              ;   in Loop: Header=BB346_10 Depth=1
	s_or_b32 exec_lo, exec_lo, s42
	v_lshlrev_b32_e32 v86, 24, v85
	v_lshlrev_b32_e32 v1, 20, v1
	v_lshl_add_u32 v83, v83, 23, 0x3c000000
	v_and_b32_e32 v86, 0x80000000, v86
	v_or3_b32 v83, v1, v86, v83
.LBB346_240:                            ;   in Loop: Header=BB346_10 Depth=1
	s_or_b32 exec_lo, exec_lo, s41
.LBB346_241:                            ;   in Loop: Header=BB346_10 Depth=1
	s_or_b32 exec_lo, exec_lo, s40
.LBB346_242:                            ;   in Loop: Header=BB346_10 Depth=1
	s_or_b32 exec_lo, exec_lo, s4
	v_cmp_ne_u16_sdwa s3, v85, v2 src0_sel:BYTE_1 src1_sel:DWORD
	s_and_saveexec_b32 s4, s3
	s_cbranch_execz .LBB346_250
; %bb.243:                              ;   in Loop: Header=BB346_10 Depth=1
	v_cmp_ne_u16_sdwa s3, v85, v52 src0_sel:BYTE_1 src1_sel:DWORD
	v_bfrev_b32_e32 v84, 1
	s_and_saveexec_b32 s40, s3
	s_cbranch_execz .LBB346_249
; %bb.244:                              ;   in Loop: Header=BB346_10 Depth=1
	v_and_b32_sdwa v1, v53, v85 dst_sel:DWORD dst_unused:UNUSED_PAD src0_sel:DWORD src1_sel:BYTE_1
	v_mov_b32_e32 v84, 0x7f800001
	s_mov_b32 s41, exec_lo
	v_and_b32_e32 v86, 0x7f, v1
	v_cmpx_ne_u32_e32 0x7f, v86
	s_cbranch_execz .LBB346_248
; %bb.245:                              ;   in Loop: Header=BB346_10 Depth=1
	v_and_b32_e32 v1, 7, v1
	v_lshrrev_b32_e32 v84, 3, v86
	s_mov_b32 s42, exec_lo
	v_cmpx_gt_u32_e32 8, v86
; %bb.246:                              ;   in Loop: Header=BB346_10 Depth=1
	v_ffbh_u32_e32 v84, v1
	v_min_u32_e32 v84, 32, v84
	v_subrev_nc_u32_e32 v86, 28, v84
	v_sub_nc_u32_e32 v84, 29, v84
	v_lshlrev_b64 v[86:87], v86, v[1:2]
	v_and_b32_e32 v1, 7, v86
; %bb.247:                              ;   in Loop: Header=BB346_10 Depth=1
	s_or_b32 exec_lo, exec_lo, s42
	v_lshlrev_b32_e32 v85, 16, v85
	v_lshlrev_b32_e32 v1, 20, v1
	v_lshl_add_u32 v84, v84, 23, 0x3c000000
	v_and_b32_e32 v85, 0x80000000, v85
	v_or3_b32 v84, v1, v85, v84
.LBB346_248:                            ;   in Loop: Header=BB346_10 Depth=1
	s_or_b32 exec_lo, exec_lo, s41
.LBB346_249:                            ;   in Loop: Header=BB346_10 Depth=1
	s_or_b32 exec_lo, exec_lo, s40
.LBB346_250:                            ;   in Loop: Header=BB346_10 Depth=1
	s_or_b32 exec_lo, exec_lo, s4
	global_load_ushort v1, v[7:8], off offset:904
	v_mov_b32_e32 v7, 0
	v_mov_b32_e32 v85, 0
	s_waitcnt vmcnt(0)
	v_and_b32_e32 v8, 0xffff, v1
	v_cmp_ne_u16_sdwa s3, v1, v2 src0_sel:BYTE_0 src1_sel:DWORD
	s_and_saveexec_b32 s4, s3
	s_cbranch_execz .LBB346_258
; %bb.251:                              ;   in Loop: Header=BB346_10 Depth=1
	v_cmp_ne_u16_sdwa s3, v8, v52 src0_sel:BYTE_0 src1_sel:DWORD
	v_bfrev_b32_e32 v85, 1
	s_and_saveexec_b32 s40, s3
	s_cbranch_execz .LBB346_257
; %bb.252:                              ;   in Loop: Header=BB346_10 Depth=1
	v_and_b32_e32 v86, 0x7f, v8
	v_mov_b32_e32 v85, 0x7f800001
	s_mov_b32 s41, exec_lo
	v_cmpx_ne_u32_e32 0x7f, v86
	s_cbranch_execz .LBB346_256
; %bb.253:                              ;   in Loop: Header=BB346_10 Depth=1
	v_and_b32_e32 v1, 7, v8
	v_lshrrev_b32_e32 v85, 3, v86
	s_mov_b32 s42, exec_lo
	v_cmpx_gt_u32_e32 8, v86
; %bb.254:                              ;   in Loop: Header=BB346_10 Depth=1
	v_ffbh_u32_e32 v85, v1
	v_min_u32_e32 v85, 32, v85
	v_subrev_nc_u32_e32 v86, 28, v85
	v_sub_nc_u32_e32 v85, 29, v85
	v_lshlrev_b64 v[86:87], v86, v[1:2]
	v_and_b32_e32 v1, 7, v86
; %bb.255:                              ;   in Loop: Header=BB346_10 Depth=1
	s_or_b32 exec_lo, exec_lo, s42
	v_lshlrev_b32_e32 v86, 24, v8
	v_lshlrev_b32_e32 v1, 20, v1
	v_lshl_add_u32 v85, v85, 23, 0x3c000000
	v_and_b32_e32 v86, 0x80000000, v86
	v_or3_b32 v85, v1, v86, v85
.LBB346_256:                            ;   in Loop: Header=BB346_10 Depth=1
	s_or_b32 exec_lo, exec_lo, s41
.LBB346_257:                            ;   in Loop: Header=BB346_10 Depth=1
	s_or_b32 exec_lo, exec_lo, s40
.LBB346_258:                            ;   in Loop: Header=BB346_10 Depth=1
	s_or_b32 exec_lo, exec_lo, s4
	v_cmp_ne_u16_sdwa s3, v8, v2 src0_sel:BYTE_1 src1_sel:DWORD
	s_and_saveexec_b32 s4, s3
	s_cbranch_execz .LBB346_266
; %bb.259:                              ;   in Loop: Header=BB346_10 Depth=1
	v_cmp_ne_u16_sdwa s3, v8, v52 src0_sel:BYTE_1 src1_sel:DWORD
	v_bfrev_b32_e32 v7, 1
	s_and_saveexec_b32 s40, s3
	s_cbranch_execz .LBB346_265
; %bb.260:                              ;   in Loop: Header=BB346_10 Depth=1
	v_and_b32_sdwa v1, v53, v8 dst_sel:DWORD dst_unused:UNUSED_PAD src0_sel:DWORD src1_sel:BYTE_1
	v_mov_b32_e32 v7, 0x7f800001
	s_mov_b32 s41, exec_lo
	v_and_b32_e32 v86, 0x7f, v1
	v_cmpx_ne_u32_e32 0x7f, v86
	s_cbranch_execz .LBB346_264
; %bb.261:                              ;   in Loop: Header=BB346_10 Depth=1
	v_and_b32_e32 v1, 7, v1
	v_lshrrev_b32_e32 v7, 3, v86
	s_mov_b32 s42, exec_lo
	v_cmpx_gt_u32_e32 8, v86
; %bb.262:                              ;   in Loop: Header=BB346_10 Depth=1
	v_ffbh_u32_e32 v7, v1
	v_min_u32_e32 v7, 32, v7
	v_subrev_nc_u32_e32 v86, 28, v7
	v_sub_nc_u32_e32 v7, 29, v7
	v_lshlrev_b64 v[86:87], v86, v[1:2]
	v_and_b32_e32 v1, 7, v86
; %bb.263:                              ;   in Loop: Header=BB346_10 Depth=1
	s_or_b32 exec_lo, exec_lo, s42
	v_lshlrev_b32_e32 v8, 16, v8
	v_lshlrev_b32_e32 v1, 20, v1
	v_lshl_add_u32 v7, v7, 23, 0x3c000000
	v_and_b32_e32 v8, 0x80000000, v8
	v_or3_b32 v7, v1, v8, v7
.LBB346_264:                            ;   in Loop: Header=BB346_10 Depth=1
	s_or_b32 exec_lo, exec_lo, s41
.LBB346_265:                            ;   in Loop: Header=BB346_10 Depth=1
	s_or_b32 exec_lo, exec_lo, s40
.LBB346_266:                            ;   in Loop: Header=BB346_10 Depth=1
	s_or_b32 exec_lo, exec_lo, s4
	s_waitcnt lgkmcnt(0)
	v_mul_f32_e32 v84, s5, v84
	v_mul_f32_e32 v8, s5, v83
	;; [unrolled: 1-line block ×5, first 2 shown]
	v_bfe_u32 v82, v84, 16, 1
	v_or_b32_e32 v87, 0x400000, v84
	v_cmp_u_f32_e64 s3, v84, v84
	v_bfe_u32 v90, v83, 16, 1
	v_bfe_u32 v91, v89, 16, 1
	v_add3_u32 v88, v82, v84, 0x7fff
	v_mul_f32_e32 v77, s5, v77
	v_bfe_u32 v95, v93, 16, 1
	v_mul_f32_e32 v99, s5, v74
	v_or_b32_e32 v96, 0x400000, v93
	v_cndmask_b32_e64 v84, v88, v87, s3
	v_mul_f32_e32 v87, s5, v80
	v_add3_u32 v80, v90, v83, 0x7fff
	v_mul_f32_e32 v88, s5, v79
	v_add3_u32 v90, v91, v89, 0x7fff
	v_or_b32_e32 v91, 0x400000, v89
	v_bfe_u32 v92, v87, 16, 1
	v_cmp_u_f32_e64 s3, v89, v89
	v_bfe_u32 v94, v88, 16, 1
	v_bfe_u32 v97, v77, 16, 1
	v_mul_f32_e32 v100, s5, v68
	v_add3_u32 v89, v92, v87, 0x7fff
	v_mul_f32_e32 v92, s5, v76
	v_cndmask_b32_e64 v78, v90, v91, s3
	v_add3_u32 v91, v94, v88, 0x7fff
	v_add3_u32 v94, v95, v93, 0x7fff
	v_cmp_u_f32_e64 s3, v93, v93
	v_bfe_u32 v98, v92, 16, 1
	v_add3_u32 v74, v97, v77, 0x7fff
	v_bfe_u32 v97, v99, 16, 1
	v_mul_f32_e32 v95, s5, v75
	v_cndmask_b32_e64 v75, v94, v96, s3
	v_add3_u32 v93, v98, v92, 0x7fff
	v_mul_f32_e32 v98, s5, v70
	v_add3_u32 v97, v97, v99, 0x7fff
	v_or_b32_e32 v102, 0x400000, v99
	v_cmp_u_f32_e64 s3, v99, v99
	v_bfe_u32 v104, v100, 16, 1
	v_bfe_u32 v101, v98, 16, 1
	v_mul_f32_e32 v68, s5, v71
	v_mul_f32_e32 v63, s5, v63
	;; [unrolled: 1-line block ×3, first 2 shown]
	v_cndmask_b32_e64 v62, v97, v102, s3
	v_add3_u32 v71, v101, v98, 0x7fff
	v_or_b32_e32 v101, 0x400000, v98
	v_cmp_u_f32_e64 s3, v98, v98
	v_add3_u32 v104, v104, v100, 0x7fff
	v_or_b32_e32 v105, 0x400000, v100
	v_bfe_u32 v107, v63, 16, 1
	v_bfe_u32 v97, v106, 16, 1
	v_cndmask_b32_e64 v71, v71, v101, s3
	v_cmp_u_f32_e64 s3, v100, v100
	v_mul_f32_e32 v60, s5, v60
	v_add3_u32 v99, v107, v63, 0x7fff
	v_or_b32_e32 v100, 0x400000, v63
	v_add3_u32 v97, v97, v106, 0x7fff
	v_cndmask_b32_e64 v98, v104, v105, s3
	v_cmp_u_f32_e64 s3, v63, v63
	v_mul_f32_e32 v59, s5, v59
	v_bfe_u32 v101, v60, 16, 1
	v_or_b32_e32 v102, 0x400000, v106
	v_mul_f32_e32 v58, s5, v58
	v_cndmask_b32_e64 v63, v99, v100, s3
	v_cmp_u_f32_e64 s3, v106, v106
	v_bfe_u32 v99, v59, 16, 1
	v_add3_u32 v100, v101, v60, 0x7fff
	v_or_b32_e32 v101, 0x400000, v60
	v_mul_f32_e32 v57, s5, v57
	v_cndmask_b32_e64 v97, v97, v102, s3
	v_cmp_u_f32_e64 s3, v60, v60
	v_add3_u32 v99, v99, v59, 0x7fff
	v_bfe_u32 v102, v58, 16, 1
	v_mul_f32_e32 v55, s5, v55
	v_mul_f32_e32 v56, s5, v56
	v_cndmask_b32_e64 v60, v100, v101, s3
	v_or_b32_e32 v100, 0x400000, v59
	v_cmp_u_f32_e64 s3, v59, v59
	v_add3_u32 v101, v102, v58, 0x7fff
	v_or_b32_e32 v102, 0x400000, v58
	v_bfe_u32 v105, v55, 16, 1
	v_mul_f32_e32 v64, s5, v64
	v_cndmask_b32_e64 v59, v99, v100, s3
	v_bfe_u32 v99, v57, 16, 1
	v_cmp_u_f32_e64 s3, v58, v58
	v_mul_f32_e32 v61, s5, v61
	v_mul_f32_e32 v65, s5, v65
	;; [unrolled: 1-line block ×3, first 2 shown]
	v_add3_u32 v99, v99, v57, 0x7fff
	v_cndmask_b32_e64 v58, v101, v102, s3
	v_or_b32_e32 v101, 0x400000, v57
	v_cmp_u_f32_e64 s3, v57, v57
	v_add3_u32 v102, v105, v55, 0x7fff
	v_or_b32_e32 v105, 0x400000, v55
	v_and_b32_e32 v58, 0xffff0000, v58
	v_and_b32_e32 v60, 0xffff0000, v60
	v_cndmask_b32_e64 v57, v99, v101, s3
	v_bfe_u32 v99, v56, 16, 1
	v_cmp_u_f32_e64 s3, v55, v55
	v_mul_f32_e32 v58, v17, v58
	v_mul_f32_e32 v67, s5, v67
	v_and_b32_e32 v57, 0xffff0000, v57
	v_add3_u32 v99, v99, v56, 0x7fff
	v_cndmask_b32_e64 v55, v102, v105, s3
	v_or_b32_e32 v102, 0x400000, v56
	v_cmp_u_f32_e64 s3, v56, v56
	v_mul_f32_e32 v57, v16, v57
	v_and_b32_e32 v59, 0xffff0000, v59
	v_and_b32_e32 v55, 0xffff0000, v55
	;; [unrolled: 1-line block ×3, first 2 shown]
	v_cndmask_b32_e64 v56, v99, v102, s3
	v_bfe_u32 v99, v64, 16, 1
	v_or_b32_e32 v102, 0x400000, v64
	v_cmp_u_f32_e64 s3, v64, v64
	v_fmac_f32_e32 v57, v13, v55
	v_and_b32_e32 v56, 0xffff0000, v56
	v_add3_u32 v99, v99, v64, 0x7fff
	v_mul_f32_e32 v69, s5, v69
	v_or_b32_e32 v105, 0x400000, v66
	v_fmac_f32_e32 v57, v18, v59
	v_fmac_f32_e32 v58, v15, v56
	v_cndmask_b32_e64 v64, v99, v102, s3
	v_bfe_u32 v99, v61, 16, 1
	v_or_b32_e32 v102, 0x400000, v61
	v_cmp_u_f32_e64 s3, v61, v61
	v_fmac_f32_e32 v58, v19, v60
	v_and_b32_e32 v60, 0xffff0000, v97
	v_add3_u32 v99, v99, v61, 0x7fff
	v_bfe_u32 v97, v66, 16, 1
	v_bfe_u32 v59, v67, 16, 1
	v_fmac_f32_e32 v58, v21, v63
	v_and_b32_e32 v63, 0xffff0000, v64
	v_cndmask_b32_e64 v61, v99, v102, s3
	v_bfe_u32 v99, v65, 16, 1
	v_or_b32_e32 v102, 0x400000, v65
	v_cmp_u_f32_e64 s3, v65, v65
	v_add3_u32 v97, v97, v66, 0x7fff
	v_bfe_u32 v56, v69, 16, 1
	v_add3_u32 v99, v99, v65, 0x7fff
	v_add3_u32 v59, v59, v67, 0x7fff
	v_fmac_f32_e32 v57, v20, v60
	v_or_b32_e32 v60, 0x400000, v67
	v_mul_f32_e32 v72, s5, v72
	v_cndmask_b32_e64 v64, v99, v102, s3
	v_cmp_u_f32_e64 s3, v66, v66
	v_bfe_u32 v100, v68, 16, 1
	v_add3_u32 v56, v56, v69, 0x7fff
	v_and_b32_e32 v61, 0xffff0000, v61
	v_mul_f32_e32 v73, s5, v73
	v_cndmask_b32_e64 v65, v97, v105, s3
	v_cmp_u_f32_e64 s3, v67, v67
	v_bfe_u32 v104, v72, 16, 1
	v_add3_u32 v100, v100, v68, 0x7fff
	v_or_b32_e32 v55, 0x400000, v68
	v_fmac_f32_e32 v57, v23, v63
	v_cndmask_b32_e64 v59, v59, v60, s3
	v_or_b32_e32 v60, 0x400000, v69
	v_cmp_u_f32_e64 s3, v69, v69
	v_and_b32_e32 v63, 0xffff0000, v64
	v_fmac_f32_e32 v58, v24, v61
	v_and_b32_e32 v61, 0xffff0000, v98
	v_bfe_u32 v103, v73, 16, 1
	v_cndmask_b32_e64 v56, v56, v60, s3
	v_cmp_u_f32_e64 s3, v68, v68
	v_add3_u32 v104, v104, v72, 0x7fff
	v_or_b32_e32 v101, 0x400000, v72
	v_fmac_f32_e32 v57, v25, v63
	v_fmac_f32_e32 v58, v26, v61
	v_and_b32_e32 v61, 0xffff0000, v65
	v_cndmask_b32_e64 v55, v100, v55, s3
	v_cmp_u_f32_e64 s3, v72, v72
	v_bfe_u32 v96, v95, 16, 1
	v_add3_u32 v103, v103, v73, 0x7fff
	v_and_b32_e32 v59, 0xffff0000, v59
	v_fmac_f32_e32 v57, v27, v61
	v_and_b32_e32 v56, 0xffff0000, v56
	v_cndmask_b32_e64 v60, v104, v101, s3
	v_or_b32_e32 v61, 0x400000, v73
	v_cmp_u_f32_e64 s3, v73, v73
	v_add3_u32 v96, v96, v95, 0x7fff
	v_or_b32_e32 v70, 0x400000, v95
	v_fmac_f32_e32 v58, v28, v59
	v_and_b32_e32 v59, 0xffff0000, v71
	v_fmac_f32_e32 v57, v29, v56
	v_cndmask_b32_e64 v56, v103, v61, s3
	v_cmp_u_f32_e64 s3, v95, v95
	v_or_b32_e32 v94, 0x400000, v92
	v_fmac_f32_e32 v58, v30, v59
	v_and_b32_e32 v55, 0xffff0000, v55
	v_and_b32_e32 v59, 0xffff0000, v60
	v_cndmask_b32_e64 v60, v96, v70, s3
	v_cmp_u_f32_e64 s3, v92, v92
	v_or_b32_e32 v61, 0x400000, v77
	v_fmac_f32_e32 v57, v31, v55
	v_and_b32_e32 v55, 0xffff0000, v56
	v_fmac_f32_e32 v58, v32, v59
	v_and_b32_e32 v56, 0xffff0000, v62
	v_cndmask_b32_e64 v59, v93, v94, s3
	v_cmp_u_f32_e64 s3, v77, v77
	v_or_b32_e32 v76, 0x400000, v88
	v_mul_f32_e32 v1, s5, v85
	v_fmac_f32_e32 v58, v34, v56
	v_and_b32_e32 v56, 0xffff0000, v59
	v_cndmask_b32_e64 v59, v74, v61, s3
	v_cmp_u_f32_e64 s3, v88, v88
	v_or_b32_e32 v90, 0x400000, v87
	v_fmac_f32_e32 v57, v33, v55
	v_and_b32_e32 v55, 0xffff0000, v60
	v_bfe_u32 v85, v1, 16, 1
	v_cndmask_b32_e64 v60, v91, v76, s3
	v_cmp_u_f32_e64 s3, v87, v87
	v_bfe_u32 v86, v8, 16, 1
	v_or_b32_e32 v79, 0x400000, v83
	v_fmac_f32_e32 v57, v35, v55
	v_fmac_f32_e32 v58, v36, v56
	v_and_b32_e32 v55, 0xffff0000, v59
	v_and_b32_e32 v56, 0xffff0000, v75
	v_cndmask_b32_e64 v59, v89, v90, s3
	v_cmp_u_f32_e64 s3, v83, v83
	v_add3_u32 v82, v85, v1, 0x7fff
	v_add3_u32 v85, v86, v8, 0x7fff
	v_or_b32_e32 v86, 0x400000, v8
	v_mul_f32_e32 v7, s5, v7
	v_fmac_f32_e32 v58, v38, v56
	v_and_b32_e32 v56, 0xffff0000, v59
	v_cndmask_b32_e64 v59, v80, v79, s3
	v_cmp_u_f32_e64 s3, v8, v8
	v_or_b32_e32 v81, 0x400000, v1
	v_fmac_f32_e32 v57, v37, v55
	v_and_b32_e32 v55, 0xffff0000, v60
	v_bfe_u32 v60, v7, 16, 1
	v_cndmask_b32_e64 v8, v85, v86, s3
	v_cmp_u_f32_e64 s3, v1, v1
	v_fmac_f32_e32 v58, v40, v56
	v_fmac_f32_e32 v57, v39, v55
	v_and_b32_e32 v55, 0xffff0000, v78
	v_and_b32_e32 v56, 0xffff0000, v59
	v_add3_u32 v59, v60, v7, 0x7fff
	v_or_b32_e32 v60, 0x400000, v7
	v_cndmask_b32_e64 v1, v82, v81, s3
	v_cmp_u_f32_e64 s3, v7, v7
	v_fmac_f32_e32 v57, v41, v55
	v_fmac_f32_e32 v58, v42, v56
	v_and_b32_e32 v8, 0xffff0000, v8
	v_and_b32_e32 v55, 0xffff0000, v84
	v_cndmask_b32_e64 v7, v59, v60, s3
	v_and_b32_e32 v1, 0xffff0000, v1
	v_fmac_f32_e32 v57, v43, v8
	v_fmac_f32_e32 v58, v44, v55
	v_and_b32_e32 v7, 0xffff0000, v7
	v_fmac_f32_e32 v57, v46, v1
	v_fmac_f32_e32 v58, v47, v7
	v_add_f32_e32 v1, v57, v58
	ds_bpermute_b32 v7, v48, v1
	s_waitcnt lgkmcnt(0)
	v_add_f32_e32 v1, v1, v7
	ds_bpermute_b32 v7, v49, v1
	s_and_saveexec_b32 s4, vcc_lo
	s_cbranch_execz .LBB346_9
; %bb.267:                              ;   in Loop: Header=BB346_10 Depth=1
	v_add_nc_u32_e32 v8, s16, v50
	s_waitcnt lgkmcnt(0)
	v_add_f32_e32 v1, v1, v7
	v_cmp_gt_i32_e64 s3, s27, v50
	v_cvt_f32_i32_e32 v8, v8
	v_mul_f32_e32 v8, s36, v8
	v_cndmask_b32_e64 v7, 0, v8, s2
	v_max_f32_e32 v8, v45, v45
	v_fmac_f32_e32 v7, s37, v1
	v_max_f32_e32 v1, v8, v7
	v_cndmask_b32_e64 v7, 0, v7, s3
	v_cndmask_b32_e64 v45, v45, v1, s3
	ds_write_b32 v51, v7
	s_branch .LBB346_9
.LBB346_268:
	s_or_b32 exec_lo, exec_lo, s17
.LBB346_269:
	s_or_b32 exec_lo, exec_lo, s38
	v_xor_b32_e32 v1, 16, v11
	v_xor_b32_e32 v4, 8, v11
	v_max_f32_e32 v5, v45, v45
	v_xor_b32_e32 v6, 4, v11
	v_and_b32_e32 v23, 31, v0
	v_cmp_lt_i32_e32 vcc_lo, v1, v12
	v_cndmask_b32_e32 v1, v11, v1, vcc_lo
	v_cmp_lt_i32_e32 vcc_lo, v4, v12
	v_lshlrev_b32_e32 v3, 2, v1
	v_cndmask_b32_e32 v4, v11, v4, vcc_lo
	v_cmp_lt_i32_e32 vcc_lo, v6, v12
	ds_bpermute_b32 v1, v3, v45
	v_lshlrev_b32_e32 v4, 2, v4
	v_cndmask_b32_e32 v6, v11, v6, vcc_lo
	v_cmp_eq_u32_e32 vcc_lo, 0, v23
	s_waitcnt lgkmcnt(0)
	v_lshlrev_b32_e32 v7, 2, v6
	v_max_f32_e32 v1, v1, v1
	v_max_f32_e32 v1, v5, v1
	ds_bpermute_b32 v5, v4, v1
	s_waitcnt lgkmcnt(0)
	v_max_f32_e32 v5, v5, v5
	v_max_f32_e32 v1, v1, v5
	v_lshlrev_b32_e32 v5, 2, v22
	ds_bpermute_b32 v6, v7, v1
	s_and_saveexec_b32 s2, vcc_lo
	s_cbranch_execz .LBB346_271
; %bb.270:
	s_waitcnt lgkmcnt(0)
	v_max_f32_e32 v6, v6, v6
	v_max_f32_e32 v1, v1, v1
	;; [unrolled: 1-line block ×3, first 2 shown]
	ds_write_b32 v5, v1 offset:256
.LBB346_271:
	s_or_b32 exec_lo, exec_lo, s2
	v_cmp_gt_u32_e64 s2, 4, v23
	v_mov_b32_e32 v1, 0xff7fffff
	s_waitcnt lgkmcnt(0)
	v_lshlrev_b32_e32 v6, 2, v23
	s_barrier
	buffer_gl0_inv
	s_and_saveexec_b32 s3, s2
; %bb.272:
	ds_read_b32 v1, v6 offset:256
; %bb.273:
	s_or_b32 exec_lo, exec_lo, s3
	v_xor_b32_e32 v8, 2, v11
	v_xor_b32_e32 v15, 1, v11
	v_lshlrev_b32_e32 v2, 2, v2
	v_cmp_lt_i32_e64 s3, v8, v12
	v_cndmask_b32_e64 v8, v11, v8, s3
	v_cmp_lt_i32_e64 s3, v15, v12
	v_lshlrev_b32_e32 v8, 2, v8
	v_cndmask_b32_e64 v12, v11, v15, s3
	s_sub_i32 s3, s11, s15
	s_lshl_b32 s3, s3, 3
	s_waitcnt lgkmcnt(0)
	ds_bpermute_b32 v13, v8, v1
	v_max_f32_e32 v1, v1, v1
	v_lshlrev_b32_e32 v12, 2, v12
	s_add_i32 s3, s3, s33
	s_min_i32 s3, s3, s27
	s_sub_i32 s5, s3, s33
	v_cmp_gt_i32_e64 s3, s5, v0
	s_waitcnt lgkmcnt(0)
	v_max_f32_e32 v13, v13, v13
	v_max_f32_e32 v1, v1, v13
	ds_bpermute_b32 v13, v12, v1
	s_waitcnt lgkmcnt(0)
	v_max_f32_e32 v13, v13, v13
	v_max_f32_e32 v1, v1, v13
	v_mov_b32_e32 v13, 0
	ds_bpermute_b32 v1, v2, v1
	v_lshl_add_u32 v2, v0, 2, 0x120
	s_and_saveexec_b32 s15, s3
	s_cbranch_execz .LBB346_277
; %bb.274:
	v_lshl_add_u32 v15, v0, 2, 0x120
	v_mov_b32_e32 v13, 0
	v_mov_b32_e32 v16, v0
	s_mov_b32 s16, 0
	.p2align	6
.LBB346_275:                            ; =>This Inner Loop Header: Depth=1
	ds_read_b32 v17, v15
	v_add_nc_u32_e32 v16, 0x80, v16
	v_cmp_le_i32_e64 s4, s5, v16
	s_or_b32 s16, s4, s16
	s_waitcnt lgkmcnt(0)
	v_sub_f32_e32 v17, v17, v1
	v_mul_f32_e32 v17, 0x3fb8aa3b, v17
	v_exp_f32_e32 v17, v17
	ds_write_b32 v15, v17
	v_add_f32_e32 v13, v13, v17
	v_add_nc_u32_e32 v15, 0x200, v15
	s_andn2_b32 exec_lo, exec_lo, s16
	s_cbranch_execnz .LBB346_275
; %bb.276:
	s_or_b32 exec_lo, exec_lo, s16
.LBB346_277:
	s_or_b32 exec_lo, exec_lo, s15
	ds_bpermute_b32 v3, v3, v13
	s_waitcnt lgkmcnt(0)
	v_add_f32_e32 v3, v13, v3
	ds_bpermute_b32 v4, v4, v3
	s_waitcnt lgkmcnt(0)
	v_add_f32_e32 v3, v3, v4
	;; [unrolled: 3-line block ×5, first 2 shown]
	s_and_saveexec_b32 s4, vcc_lo
; %bb.278:
	ds_write_b32 v5, v3 offset:272
; %bb.279:
	s_or_b32 exec_lo, exec_lo, s4
	s_waitcnt lgkmcnt(0)
	s_barrier
	buffer_gl0_inv
	s_and_saveexec_b32 s4, s2
; %bb.280:
	ds_read_b32 v3, v6 offset:272
; %bb.281:
	s_or_b32 exec_lo, exec_lo, s4
	s_waitcnt lgkmcnt(0)
	ds_bpermute_b32 v4, v8, v3
	v_lshlrev_b32_e32 v5, 2, v11
	s_waitcnt lgkmcnt(0)
	v_add_f32_e32 v3, v3, v4
	ds_bpermute_b32 v4, v12, v3
	s_waitcnt lgkmcnt(0)
	v_add_f32_e32 v3, v3, v4
	v_and_b32_e32 v4, 0xffffff80, v5
	ds_bpermute_b32 v3, v4, v3
	s_and_saveexec_b32 s2, s3
	s_cbranch_execz .LBB346_284
; %bb.282:
	s_waitcnt lgkmcnt(0)
	v_add_f32_e32 v4, 0x358637bd, v3
	s_mov_b32 s3, 0
	v_div_scale_f32 v5, null, v4, v4, 1.0
	v_div_scale_f32 v8, vcc_lo, 1.0, v4, 1.0
	v_rcp_f32_e32 v6, v5
	v_fma_f32 v7, -v5, v6, 1.0
	v_fmac_f32_e32 v6, v7, v6
	v_mul_f32_e32 v7, v8, v6
	v_fma_f32 v11, -v5, v7, v8
	v_fmac_f32_e32 v7, v11, v6
	v_fma_f32 v5, -v5, v7, v8
	v_div_fmas_f32 v5, v5, v6, v7
	v_div_fixup_f32 v4, v5, v4, 1.0
	v_mov_b32_e32 v5, v0
.LBB346_283:                            ; =>This Inner Loop Header: Depth=1
	ds_read_b32 v6, v2
	v_add_nc_u32_e32 v5, 0x80, v5
	v_cmp_le_i32_e32 vcc_lo, s5, v5
	s_or_b32 s3, vcc_lo, s3
	s_waitcnt lgkmcnt(0)
	v_mul_f32_e32 v6, v4, v6
	ds_write_b32 v2, v6
	v_add_nc_u32_e32 v2, 0x200, v2
	s_andn2_b32 exec_lo, exec_lo, s3
	s_cbranch_execnz .LBB346_283
.LBB346_284:
	s_or_b32 exec_lo, exec_lo, s2
	s_mul_i32 s2, s7, s26
	s_mov_b32 s4, exec_lo
	s_mul_i32 s2, s2, s9
	s_waitcnt lgkmcnt(0)
	s_barrier
	buffer_gl0_inv
	v_cmpx_eq_u32_e32 0, v0
	s_cbranch_execz .LBB346_286
; %bb.285:
	s_ashr_i32 s3, s2, 31
	s_mul_i32 s36, s7, s6
	s_lshl_b64 s[16:17], s[2:3], 2
	v_mov_b32_e32 v2, 0
	s_add_u32 s3, s22, s16
	s_addc_u32 s5, s23, s17
	s_ashr_i32 s37, s36, 31
	s_lshl_b64 s[22:23], s[36:37], 2
	s_add_u32 s3, s3, s22
	s_addc_u32 s5, s5, s23
	s_ashr_i32 s9, s8, 31
	s_lshl_b64 s[36:37], s[8:9], 2
	s_add_u32 s38, s3, s36
	s_addc_u32 s39, s5, s37
	s_add_u32 s3, s20, s16
	s_addc_u32 s5, s21, s17
	s_add_u32 s3, s3, s22
	s_addc_u32 s5, s5, s23
	s_add_u32 s16, s3, s36
	s_addc_u32 s17, s5, s37
	global_store_dword v2, v1, s[38:39]
	global_store_dword v2, v3, s[16:17]
.LBB346_286:
	s_or_b32 exec_lo, exec_lo, s4
	v_mov_b32_e32 v27, 0
	v_mov_b32_e32 v26, 0
	;; [unrolled: 1-line block ×4, first 2 shown]
	s_and_saveexec_b32 s3, s1
	s_cbranch_execz .LBB346_538
; %bb.287:
	s_load_dword s9, s[18:19], 0x0
	v_lshlrev_b32_e32 v1, 3, v23
	s_ashr_i32 s1, s14, 31
	s_add_u32 s4, s34, s14
	s_addc_u32 s1, s35, s1
	s_add_i32 s12, s12, -1
	v_add_co_u32 v12, s4, s4, v1
	v_lshlrev_b64 v[1:2], 2, v[9:10]
	v_add_co_ci_u32_e64 v13, null, s1, 0, s4
	s_lshl_b64 s[4:5], s[30:31], 2
	v_add3_u32 v28, s33, v14, 7
	s_add_u32 s1, s28, s4
	s_addc_u32 s4, s29, s5
	v_add_co_u32 v14, vcc_lo, s1, v1
	v_mov_b32_e32 v11, 0
	v_lshl_add_u32 v29, v22, 5, 0x120
	v_add_co_ci_u32_e64 v15, null, s4, v2, vcc_lo
	v_mov_b32_e32 v30, 0x80
	v_mov_b32_e32 v31, 0xffff
	;; [unrolled: 1-line block ×9, first 2 shown]
	s_mov_b32 s4, -1
	s_mov_b32 s6, s13
	s_mov_b32 s5, 0xffffff
	;; [unrolled: 1-line block ×3, first 2 shown]
	s_branch .LBB346_289
.LBB346_288:                            ;   in Loop: Header=BB346_289 Depth=1
	s_or_b32 exec_lo, exec_lo, s1
	v_bfe_u32 v43, v5, 16, 1
	v_bfe_u32 v44, v6, 16, 1
	v_or_b32_e32 v45, 0x400000, v5
	v_cmp_u_f32_e32 vcc_lo, v5, v5
	v_or_b32_e32 v46, 0x400000, v6
	v_add3_u32 v43, v43, v5, 0x7fff
	v_bfe_u32 v47, v7, 16, 1
	v_add3_u32 v44, v44, v6, 0x7fff
	v_bfe_u32 v48, v8, 16, 1
	v_lshlrev_b32_e32 v20, 16, v20
	v_cndmask_b32_e32 v5, v43, v45, vcc_lo
	v_cmp_u_f32_e32 vcc_lo, v6, v6
	v_add3_u32 v43, v47, v7, 0x7fff
	v_add3_u32 v45, v48, v8, 0x7fff
	v_bfe_u32 v47, v1, 16, 1
	v_and_b32_e32 v5, 0xffff0000, v5
	v_cndmask_b32_e32 v6, v44, v46, vcc_lo
	v_or_b32_e32 v44, 0x400000, v7
	v_cmp_u_f32_e32 vcc_lo, v7, v7
	v_or_b32_e32 v46, 0x400000, v8
	v_or_b32_e32 v48, 0x400000, v4
	v_lshlrev_b32_e32 v21, 16, v21
	v_lshlrev_b32_e32 v59, 16, v59
	v_cndmask_b32_e32 v7, v43, v44, vcc_lo
	v_cmp_u_f32_e32 vcc_lo, v8, v8
	v_bfe_u32 v43, v2, 16, 1
	v_add3_u32 v44, v47, v1, 0x7fff
	v_bfe_u32 v47, v3, 16, 1
	v_lshlrev_b32_e32 v55, 16, v55
	v_cndmask_b32_e32 v8, v45, v46, vcc_lo
	v_or_b32_e32 v45, 0x400000, v1
	v_cmp_u_f32_e32 vcc_lo, v1, v1
	v_add3_u32 v43, v43, v2, 0x7fff
	v_or_b32_e32 v46, 0x400000, v2
	v_and_b32_e32 v1, 0xffff0000, v6
	v_lshlrev_b32_e32 v6, 16, v63
	v_cndmask_b32_e32 v44, v44, v45, vcc_lo
	v_cmp_u_f32_e32 vcc_lo, v2, v2
	v_add3_u32 v2, v47, v3, 0x7fff
	v_bfe_u32 v45, v4, 16, 1
	v_or_b32_e32 v47, 0x400000, v3
	v_mul_f32_e32 v6, v1, v6
	v_cndmask_b32_e32 v43, v43, v46, vcc_lo
	v_lshlrev_b32_e32 v46, 16, v62
	v_cmp_u_f32_e32 vcc_lo, v3, v3
	v_add3_u32 v45, v45, v4, 0x7fff
	v_bfe_u32 v3, v6, 16, 1
	v_lshlrev_b32_e32 v42, 16, v42
	v_mul_f32_e32 v46, v5, v46
	v_cndmask_b32_e32 v47, v2, v47, vcc_lo
	v_cmp_u_f32_e32 vcc_lo, v4, v4
	v_and_b32_e32 v2, 0xffff0000, v8
	v_lshlrev_b32_e32 v8, 16, v60
	v_add3_u32 v3, v3, v6, 0x7fff
	v_or_b32_e32 v49, 0x400000, v46
	v_cndmask_b32_e32 v4, v45, v48, vcc_lo
	v_bfe_u32 v45, v46, 16, 1
	v_or_b32_e32 v48, 0x400000, v6
	v_mul_f32_e32 v60, v2, v8
	v_and_b32_e32 v8, 0xffff0000, v7
	v_lshlrev_b32_e32 v7, 16, v61
	v_cmp_u_f32_e32 vcc_lo, v6, v6
	v_add3_u32 v45, v45, v46, 0x7fff
	v_and_b32_e32 v6, 0xffff0000, v44
	v_or_b32_e32 v44, 0x400000, v60
	v_mul_f32_e32 v7, v8, v7
	v_cndmask_b32_e32 v48, v3, v48, vcc_lo
	v_cmp_u_f32_e32 vcc_lo, v46, v46
	v_bfe_u32 v46, v60, 16, 1
	v_and_b32_e32 v3, 0xffff0000, v43
	v_mul_f32_e32 v21, v6, v21
	v_and_b32_e32 v4, 0xffff0000, v4
	v_cndmask_b32_e32 v45, v45, v49, vcc_lo
	v_add3_u32 v43, v46, v60, 0x7fff
	v_bfe_u32 v46, v7, 16, 1
	v_mul_f32_e32 v20, v3, v20
	v_cmp_u_f32_e32 vcc_lo, v60, v60
	v_bfe_u32 v60, v21, 16, 1
	v_mul_f32_e32 v59, v4, v59
	v_and_b32_e32 v45, 0xffff0000, v45
	v_bfe_u32 v49, v20, 16, 1
	v_cndmask_b32_e32 v43, v43, v44, vcc_lo
	v_add3_u32 v44, v46, v7, 0x7fff
	v_or_b32_e32 v46, 0x400000, v7
	v_cmp_u_f32_e32 vcc_lo, v7, v7
	v_and_b32_e32 v7, 0xffff0000, v47
	v_lshlrev_b32_e32 v47, 16, v58
	v_add3_u32 v60, v60, v21, 0x7fff
	v_or_b32_e32 v58, 0x400000, v21
	v_cndmask_b32_e32 v44, v44, v46, vcc_lo
	v_add3_u32 v46, v49, v20, 0x7fff
	v_or_b32_e32 v49, 0x400000, v20
	v_cmp_u_f32_e32 vcc_lo, v20, v20
	v_bfe_u32 v61, v59, 16, 1
	v_and_b32_e32 v44, 0xffff0000, v44
	v_and_b32_e32 v43, 0xffff0000, v43
	;; [unrolled: 1-line block ×3, first 2 shown]
	v_cndmask_b32_e32 v20, v46, v49, vcc_lo
	v_mul_f32_e32 v46, v7, v47
	v_cmp_u_f32_e32 vcc_lo, v21, v21
	v_add3_u32 v47, v61, v59, 0x7fff
	v_or_b32_e32 v49, 0x400000, v59
	v_add_f32_e32 v43, v44, v43
	v_lshlrev_b32_e32 v44, 16, v57
	v_cndmask_b32_e32 v21, v60, v58, vcc_lo
	v_bfe_u32 v58, v46, 16, 1
	v_cmp_u_f32_e32 vcc_lo, v59, v59
	v_add_f32_e32 v45, v45, v48
	v_and_b32_e32 v20, 0xffff0000, v20
	v_and_b32_e32 v21, 0xffff0000, v21
	v_lshlrev_b32_e32 v48, 16, v56
	v_cndmask_b32_e32 v47, v47, v49, vcc_lo
	v_add3_u32 v49, v58, v46, 0x7fff
	v_or_b32_e32 v58, 0x400000, v46
	v_cmp_u_f32_e32 vcc_lo, v46, v46
	v_mul_f32_e32 v44, v1, v44
	v_add_f32_e32 v43, v43, v45
	v_add_f32_e32 v20, v21, v20
	v_mul_f32_e32 v45, v5, v48
	v_cndmask_b32_e32 v46, v49, v58, vcc_lo
	v_bfe_u32 v48, v44, 16, 1
	v_cmp_u_f32_e32 vcc_lo, v44, v44
	v_add_f32_e32 v20, v20, v43
	v_bfe_u32 v43, v45, 16, 1
	v_and_b32_e32 v21, 0xffff0000, v46
	v_and_b32_e32 v46, 0xffff0000, v47
	v_lshlrev_b32_e32 v47, 16, v53
	v_or_b32_e32 v49, 0x400000, v45
	v_add3_u32 v43, v43, v45, 0x7fff
	v_mul_f32_e32 v42, v1, v42
	v_add_f32_e32 v21, v21, v46
	v_mul_f32_e32 v46, v2, v47
	v_add3_u32 v47, v48, v44, 0x7fff
	v_or_b32_e32 v48, 0x400000, v44
	v_lshlrev_b32_e32 v41, 16, v41
	v_lshlrev_b32_e32 v38, 16, v38
	v_bfe_u32 v53, v46, 16, 1
	v_lshlrev_b32_e32 v40, 16, v40
	v_cndmask_b32_e32 v44, v47, v48, vcc_lo
	v_cmp_u_f32_e32 vcc_lo, v45, v45
	v_mul_f32_e32 v45, v8, v55
	v_add3_u32 v47, v53, v46, 0x7fff
	v_or_b32_e32 v48, 0x400000, v46
	v_and_b32_e32 v44, 0xffff0000, v44
	v_cndmask_b32_e32 v43, v43, v49, vcc_lo
	v_lshlrev_b32_e32 v49, 16, v50
	v_cmp_u_f32_e32 vcc_lo, v46, v46
	v_lshlrev_b32_e32 v50, 16, v51
	v_bfe_u32 v51, v45, 16, 1
	v_and_b32_e32 v43, 0xffff0000, v43
	v_mul_f32_e32 v41, v5, v41
	v_cndmask_b32_e32 v46, v47, v48, vcc_lo
	v_mul_f32_e32 v47, v3, v49
	v_mul_f32_e32 v48, v6, v50
	v_add3_u32 v49, v51, v45, 0x7fff
	v_or_b32_e32 v50, 0x400000, v45
	v_lshlrev_b32_e32 v51, 16, v54
	v_bfe_u32 v53, v47, 16, 1
	v_cmp_u_f32_e32 vcc_lo, v45, v45
	v_bfe_u32 v54, v48, 16, 1
	v_and_b32_e32 v46, 0xffff0000, v46
	v_add_f32_e32 v43, v43, v44
	v_mul_f32_e32 v38, v2, v38
	v_cndmask_b32_e32 v45, v49, v50, vcc_lo
	v_mul_f32_e32 v49, v4, v51
	v_add3_u32 v50, v53, v47, 0x7fff
	v_or_b32_e32 v51, 0x400000, v47
	v_cmp_u_f32_e32 vcc_lo, v47, v47
	v_add3_u32 v53, v54, v48, 0x7fff
	v_or_b32_e32 v54, 0x400000, v48
	v_bfe_u32 v55, v49, 16, 1
	v_and_b32_e32 v45, 0xffff0000, v45
	v_cndmask_b32_e32 v47, v50, v51, vcc_lo
	v_lshlrev_b32_e32 v50, 16, v52
	v_cmp_u_f32_e32 vcc_lo, v48, v48
	v_add3_u32 v51, v55, v49, 0x7fff
	v_or_b32_e32 v52, 0x400000, v49
	v_add_f32_e32 v44, v45, v46
	v_mul_f32_e32 v50, v7, v50
	v_cndmask_b32_e32 v48, v53, v54, vcc_lo
	v_cmp_u_f32_e32 vcc_lo, v49, v49
	v_and_b32_e32 v46, 0xffff0000, v47
	v_add_f32_e32 v43, v44, v43
	v_lshlrev_b32_e32 v36, 16, v36
	v_and_b32_e32 v45, 0xffff0000, v48
	v_cndmask_b32_e32 v49, v51, v52, vcc_lo
	v_bfe_u32 v51, v50, 16, 1
	v_or_b32_e32 v48, 0x400000, v50
	v_cmp_u_f32_e32 vcc_lo, v50, v50
	v_add_f32_e32 v44, v45, v46
	v_bfe_u32 v46, v42, 16, 1
	v_add3_u32 v47, v51, v50, 0x7fff
	v_mul_f32_e32 v40, v8, v40
	v_mul_f32_e32 v36, v3, v36
	v_add_f32_e32 v43, v44, v43
	v_lshlrev_b32_e32 v35, 16, v35
	v_cndmask_b32_e32 v45, v47, v48, vcc_lo
	v_bfe_u32 v48, v41, 16, 1
	v_cmp_u_f32_e32 vcc_lo, v42, v42
	v_and_b32_e32 v47, 0xffff0000, v49
	v_or_b32_e32 v49, 0x400000, v38
	v_and_b32_e32 v44, 0xffff0000, v45
	v_add3_u32 v45, v46, v42, 0x7fff
	v_or_b32_e32 v46, 0x400000, v42
	v_lshlrev_b32_e32 v39, 16, v39
	v_mul_f32_e32 v35, v6, v35
	v_lshlrev_b32_e32 v37, 16, v37
	v_lshlrev_b32_e32 v17, 16, v17
	v_cndmask_b32_e32 v42, v45, v46, vcc_lo
	v_bfe_u32 v45, v38, 16, 1
	v_add3_u32 v46, v48, v41, 0x7fff
	v_or_b32_e32 v48, 0x400000, v41
	v_cmp_u_f32_e32 vcc_lo, v41, v41
	v_mul_f32_e32 v39, v4, v39
	v_add3_u32 v45, v45, v38, 0x7fff
	v_mul_f32_e32 v37, v7, v37
	v_and_b32_e32 v42, 0xffff0000, v42
	v_cndmask_b32_e32 v41, v46, v48, vcc_lo
	v_bfe_u32 v46, v40, 16, 1
	v_cmp_u_f32_e32 vcc_lo, v38, v38
	v_or_b32_e32 v48, 0x400000, v40
	v_mul_f32_e32 v2, v2, v17
	v_and_b32_e32 v41, 0xffff0000, v41
	v_add3_u32 v46, v46, v40, 0x7fff
	v_cndmask_b32_e32 v38, v45, v49, vcc_lo
	v_bfe_u32 v45, v36, 16, 1
	v_cmp_u_f32_e32 vcc_lo, v40, v40
	v_or_b32_e32 v49, 0x400000, v36
	v_add_f32_e32 v41, v41, v42
	v_and_b32_e32 v38, 0xffff0000, v38
	v_add3_u32 v45, v45, v36, 0x7fff
	v_cndmask_b32_e32 v40, v46, v48, vcc_lo
	v_bfe_u32 v46, v35, 16, 1
	v_cmp_u_f32_e32 vcc_lo, v36, v36
	v_bfe_u32 v48, v39, 16, 1
	v_lshlrev_b32_e32 v16, 16, v16
	v_and_b32_e32 v40, 0xffff0000, v40
	v_lshlrev_b32_e32 v10, 16, v10
	v_cndmask_b32_e32 v36, v45, v49, vcc_lo
	v_add3_u32 v45, v46, v35, 0x7fff
	v_or_b32_e32 v46, 0x400000, v35
	v_cmp_u_f32_e32 vcc_lo, v35, v35
	v_add3_u32 v48, v48, v39, 0x7fff
	v_or_b32_e32 v49, 0x400000, v39
	v_add_f32_e32 v38, v40, v38
	v_and_b32_e32 v36, 0xffff0000, v36
	v_cndmask_b32_e32 v35, v45, v46, vcc_lo
	v_cmp_u_f32_e32 vcc_lo, v39, v39
	v_bfe_u32 v45, v37, 16, 1
	v_lshlrev_b32_e32 v40, 16, v65
	v_or_b32_e32 v46, 0x400000, v37
	v_and_b32_e32 v35, 0xffff0000, v35
	v_cndmask_b32_e32 v39, v48, v49, vcc_lo
	v_lshlrev_b32_e32 v48, 16, v66
	v_add3_u32 v45, v45, v37, 0x7fff
	v_cmp_u_f32_e32 vcc_lo, v37, v37
	v_add_f32_e32 v38, v38, v41
	v_add_f32_e32 v35, v35, v36
	v_mul_f32_e32 v5, v5, v48
	v_mul_f32_e32 v1, v1, v40
	v_lshlrev_b32_e32 v36, 16, v64
	v_cndmask_b32_e32 v37, v45, v46, vcc_lo
	v_mul_f32_e32 v6, v6, v16
	v_bfe_u32 v41, v5, 16, 1
	v_bfe_u32 v42, v1, 16, 1
	v_mul_f32_e32 v8, v8, v36
	v_cmp_u_f32_e32 vcc_lo, v5, v5
	v_mul_f32_e32 v3, v3, v10
	v_add3_u32 v40, v41, v5, 0x7fff
	v_or_b32_e32 v41, 0x400000, v5
	v_add3_u32 v36, v42, v1, 0x7fff
	v_lshlrev_b32_e32 v10, 16, v19
	v_lshlrev_b32_e32 v18, 16, v18
	v_and_b32_e32 v37, 0xffff0000, v37
	v_cndmask_b32_e32 v5, v40, v41, vcc_lo
	v_or_b32_e32 v40, 0x400000, v1
	v_bfe_u32 v41, v8, 16, 1
	v_cmp_u_f32_e32 vcc_lo, v1, v1
	v_mul_f32_e32 v7, v7, v10
	v_mul_f32_e32 v4, v4, v18
	v_or_b32_e32 v10, 0x400000, v6
	v_add3_u32 v17, v41, v8, 0x7fff
	v_cndmask_b32_e32 v1, v36, v40, vcc_lo
	v_or_b32_e32 v36, 0x400000, v8
	v_bfe_u32 v40, v2, 16, 1
	v_cmp_u_f32_e32 vcc_lo, v8, v8
	v_or_b32_e32 v18, 0x400000, v3
	v_bfe_u32 v19, v7, 16, 1
	v_and_b32_e32 v1, 0xffff0000, v1
	v_add3_u32 v16, v40, v2, 0x7fff
	v_cndmask_b32_e32 v8, v17, v36, vcc_lo
	v_or_b32_e32 v17, 0x400000, v2
	v_bfe_u32 v36, v6, 16, 1
	v_cmp_u_f32_e32 vcc_lo, v2, v2
	v_and_b32_e32 v5, 0xffff0000, v5
	v_and_b32_e32 v8, 0xffff0000, v8
	v_add_nc_u32_e32 v9, 4, v9
	v_add_co_u32 v14, s1, v14, 16
	v_cndmask_b32_e32 v2, v16, v17, vcc_lo
	v_bfe_u32 v16, v3, 16, 1
	v_add3_u32 v17, v36, v6, 0x7fff
	v_cmp_u_f32_e32 vcc_lo, v6, v6
	v_bfe_u32 v36, v4, 16, 1
	v_and_b32_e32 v2, 0xffff0000, v2
	v_add3_u32 v16, v16, v3, 0x7fff
	v_add_f32_e32 v1, v5, v1
	v_cndmask_b32_e32 v6, v17, v10, vcc_lo
	v_cmp_u_f32_e32 vcc_lo, v3, v3
	v_or_b32_e32 v17, 0x400000, v4
	v_add3_u32 v10, v19, v7, 0x7fff
	v_add_f32_e32 v2, v8, v2
	v_and_b32_e32 v5, 0xffff0000, v6
	v_cndmask_b32_e32 v3, v16, v18, vcc_lo
	v_add3_u32 v16, v36, v4, 0x7fff
	v_cmp_u_f32_e32 vcc_lo, v4, v4
	v_or_b32_e32 v18, 0x400000, v7
	v_add_f32_e32 v1, v2, v1
	v_and_b32_e32 v3, 0xffff0000, v3
	v_add_nc_u32_e32 v28, 32, v28
	v_cndmask_b32_e32 v4, v16, v17, vcc_lo
	v_cmp_u_f32_e32 vcc_lo, v7, v7
	v_and_b32_e32 v7, 0xffff0000, v39
	v_add_f32_e32 v2, v5, v3
	v_add_f32_e32 v5, v44, v47
	v_and_b32_e32 v3, 0xffff0000, v4
	v_cndmask_b32_e32 v6, v10, v18, vcc_lo
	v_add_f32_e32 v7, v37, v7
	v_add_f32_e32 v1, v2, v1
	v_cmp_le_i32_e32 vcc_lo, s11, v9
	v_add_nc_u32_e32 v29, 0x80, v29
	v_and_b32_e32 v4, 0xffff0000, v6
	v_add_f32_e32 v6, v35, v38
	v_add_co_ci_u32_e64 v15, null, 0, v15, s1
	s_or_b32 s13, vcc_lo, s13
	v_add_f32_e32 v2, v4, v3
	v_add_f32_e32 v3, v21, v20
	;; [unrolled: 1-line block ×9, first 2 shown]
	s_andn2_b32 exec_lo, exec_lo, s13
	s_cbranch_execz .LBB346_537
.LBB346_289:                            ; =>This Inner Loop Header: Depth=1
	global_load_dword v1, v[14:15], off
	v_mov_b32_e32 v37, 0
	s_waitcnt vmcnt(0)
	v_mad_i64_i32 v[16:17], null, v1, s6, v[12:13]
	global_load_dwordx2 v[18:19], v[16:17], off
	ds_read2_b64 v[5:8], v29 offset1:1
	ds_read2_b64 v[1:4], v29 offset0:2 offset1:3
	s_waitcnt vmcnt(0)
	v_cmp_ne_u16_sdwa s14, v18, v11 src0_sel:BYTE_0 src1_sel:DWORD
	s_and_saveexec_b32 s1, s14
	s_cbranch_execz .LBB346_295
; %bb.290:                              ;   in Loop: Header=BB346_289 Depth=1
	v_cmp_ne_u16_sdwa s15, v18, v30 src0_sel:BYTE_0 src1_sel:DWORD
	v_bfrev_b32_e32 v37, 1
	s_and_saveexec_b32 s14, s15
	s_cbranch_execz .LBB346_294
; %bb.291:                              ;   in Loop: Header=BB346_289 Depth=1
	v_and_b32_e32 v10, 0x7f, v18
	v_mov_b32_e32 v37, 0x7f800001
	s_mov_b32 s15, exec_lo
	v_cmpx_ne_u32_e32 0x7f, v10
	s_cbranch_execz .LBB346_293
; %bb.292:                              ;   in Loop: Header=BB346_289 Depth=1
	v_and_b32_e32 v20, 7, v18
	v_lshrrev_b32_e32 v21, 3, v10
	v_cmp_gt_u32_e32 vcc_lo, 8, v10
	v_ffbh_u32_e32 v20, v20
	v_min_u32_e32 v20, 32, v20
	v_subrev_nc_u32_e32 v35, 28, v20
	v_sub_nc_u32_e32 v20, 29, v20
	v_cndmask_b32_e32 v10, v21, v20, vcc_lo
	v_cndmask_b32_e32 v20, 0, v35, vcc_lo
	v_lshl_add_u32 v10, v10, 23, 0x3c000000
	v_lshlrev_b64 v[20:21], v20, v[18:19]
	v_lshlrev_b32_e32 v21, 24, v18
	v_lshlrev_b32_e32 v20, 20, v20
	v_and_b32_e32 v21, 0x80000000, v21
	v_and_b32_e32 v20, 0x700000, v20
	v_or3_b32 v37, v20, v21, v10
.LBB346_293:                            ;   in Loop: Header=BB346_289 Depth=1
	s_or_b32 exec_lo, exec_lo, s15
.LBB346_294:                            ;   in Loop: Header=BB346_289 Depth=1
	s_or_b32 exec_lo, exec_lo, s14
.LBB346_295:                            ;   in Loop: Header=BB346_289 Depth=1
	s_or_b32 exec_lo, exec_lo, s1
	v_cmp_ne_u16_sdwa s14, v18, v11 src0_sel:BYTE_1 src1_sel:DWORD
	v_mov_b32_e32 v36, 0
	v_mov_b32_e32 v35, 0
	s_and_saveexec_b32 s1, s14
	s_cbranch_execz .LBB346_303
; %bb.296:                              ;   in Loop: Header=BB346_289 Depth=1
	v_cmp_ne_u16_sdwa s15, v18, v30 src0_sel:BYTE_1 src1_sel:DWORD
	v_bfrev_b32_e32 v35, 1
	s_and_saveexec_b32 s14, s15
	s_cbranch_execz .LBB346_302
; %bb.297:                              ;   in Loop: Header=BB346_289 Depth=1
	v_and_b32_sdwa v10, v31, v18 dst_sel:DWORD dst_unused:UNUSED_PAD src0_sel:DWORD src1_sel:BYTE_1
	v_mov_b32_e32 v35, 0x7f800001
	s_mov_b32 s15, exec_lo
	v_and_b32_e32 v21, 0x7f, v10
	v_cmpx_ne_u32_e32 0x7f, v21
	s_cbranch_execz .LBB346_301
; %bb.298:                              ;   in Loop: Header=BB346_289 Depth=1
	v_and_b32_e32 v10, 7, v10
	v_lshrrev_b32_e32 v20, 3, v21
	s_mov_b32 s16, exec_lo
	v_cmpx_gt_u32_e32 8, v21
; %bb.299:                              ;   in Loop: Header=BB346_289 Depth=1
	v_ffbh_u32_e32 v20, v10
	v_min_u32_e32 v20, 32, v20
	v_subrev_nc_u32_e32 v21, 28, v20
	v_sub_nc_u32_e32 v20, 29, v20
	v_lshlrev_b64 v[38:39], v21, v[10:11]
	v_and_b32_e32 v10, 7, v38
; %bb.300:                              ;   in Loop: Header=BB346_289 Depth=1
	s_or_b32 exec_lo, exec_lo, s16
	v_lshlrev_b32_e32 v21, 16, v18
	v_lshlrev_b32_e32 v10, 20, v10
	v_lshl_add_u32 v20, v20, 23, 0x3c000000
	v_and_b32_e32 v21, 0x80000000, v21
	v_or3_b32 v35, v10, v21, v20
.LBB346_301:                            ;   in Loop: Header=BB346_289 Depth=1
	s_or_b32 exec_lo, exec_lo, s15
.LBB346_302:                            ;   in Loop: Header=BB346_289 Depth=1
	s_or_b32 exec_lo, exec_lo, s14
.LBB346_303:                            ;   in Loop: Header=BB346_289 Depth=1
	s_or_b32 exec_lo, exec_lo, s1
	v_and_b32_sdwa v10, v18, v32 dst_sel:DWORD dst_unused:UNUSED_PAD src0_sel:WORD_1 src1_sel:DWORD
	s_mov_b32 s1, exec_lo
	v_cmpx_ne_u16_e32 0, v10
	s_cbranch_execz .LBB346_311
; %bb.304:                              ;   in Loop: Header=BB346_289 Depth=1
	v_bfrev_b32_e32 v36, 1
	s_mov_b32 s14, exec_lo
	v_cmpx_ne_u16_e32 0x80, v10
	s_cbranch_execz .LBB346_310
; %bb.305:                              ;   in Loop: Header=BB346_289 Depth=1
	v_bfe_u32 v21, v18, 16, 7
	v_mov_b32_e32 v36, 0x7f800001
	s_mov_b32 s15, exec_lo
	v_cmpx_ne_u32_e32 0x7f, v21
	s_cbranch_execz .LBB346_309
; %bb.306:                              ;   in Loop: Header=BB346_289 Depth=1
	v_and_b32_sdwa v10, v18, v33 dst_sel:DWORD dst_unused:UNUSED_PAD src0_sel:WORD_1 src1_sel:DWORD
	v_lshrrev_b32_e32 v20, 3, v21
	s_mov_b32 s16, exec_lo
	v_cmpx_gt_u32_e32 8, v21
; %bb.307:                              ;   in Loop: Header=BB346_289 Depth=1
	v_ffbh_u32_e32 v20, v10
	v_min_u32_e32 v20, 32, v20
	v_subrev_nc_u32_e32 v21, 28, v20
	v_sub_nc_u32_e32 v20, 29, v20
	v_lshlrev_b64 v[38:39], v21, v[10:11]
	v_and_b32_e32 v10, 7, v38
; %bb.308:                              ;   in Loop: Header=BB346_289 Depth=1
	s_or_b32 exec_lo, exec_lo, s16
	v_lshlrev_b32_sdwa v21, v34, v18 dst_sel:DWORD dst_unused:UNUSED_PAD src0_sel:DWORD src1_sel:WORD_1
	v_lshlrev_b32_e32 v10, 20, v10
	v_lshl_add_u32 v20, v20, 23, 0x3c000000
	v_and_b32_e32 v21, 0x80000000, v21
	v_or3_b32 v36, v10, v21, v20
.LBB346_309:                            ;   in Loop: Header=BB346_289 Depth=1
	s_or_b32 exec_lo, exec_lo, s15
.LBB346_310:                            ;   in Loop: Header=BB346_289 Depth=1
	s_or_b32 exec_lo, exec_lo, s14
.LBB346_311:                            ;   in Loop: Header=BB346_289 Depth=1
	s_or_b32 exec_lo, exec_lo, s1
	v_mov_b32_e32 v38, 0
	v_mov_b32_e32 v39, 0
	s_mov_b32 s1, exec_lo
	v_cmpx_lt_u32_e32 0xffffff, v18
	s_cbranch_execz .LBB346_319
; %bb.312:                              ;   in Loop: Header=BB346_289 Depth=1
	v_cmp_ne_u32_sdwa s15, v18, v30 src0_sel:BYTE_3 src1_sel:DWORD
	v_bfrev_b32_e32 v39, 1
	s_and_saveexec_b32 s14, s15
	s_cbranch_execz .LBB346_318
; %bb.313:                              ;   in Loop: Header=BB346_289 Depth=1
	v_bfe_u32 v21, v18, 24, 7
	v_mov_b32_e32 v39, 0x7f800001
	s_mov_b32 s15, exec_lo
	v_cmpx_ne_u32_e32 0x7f, v21
	s_cbranch_execz .LBB346_317
; %bb.314:                              ;   in Loop: Header=BB346_289 Depth=1
	v_and_b32_sdwa v10, v18, v33 dst_sel:DWORD dst_unused:UNUSED_PAD src0_sel:BYTE_3 src1_sel:DWORD
	v_lshrrev_b32_e32 v20, 3, v21
	s_mov_b32 s16, exec_lo
	v_cmpx_gt_u32_e32 8, v21
; %bb.315:                              ;   in Loop: Header=BB346_289 Depth=1
	v_ffbh_u32_e32 v20, v10
	v_min_u32_e32 v20, 32, v20
	v_subrev_nc_u32_e32 v21, 28, v20
	v_sub_nc_u32_e32 v20, 29, v20
	v_lshlrev_b64 v[39:40], v21, v[10:11]
	v_and_b32_e32 v10, 7, v39
; %bb.316:                              ;   in Loop: Header=BB346_289 Depth=1
	s_or_b32 exec_lo, exec_lo, s16
	v_lshlrev_b32_sdwa v21, v34, v18 dst_sel:DWORD dst_unused:UNUSED_PAD src0_sel:DWORD src1_sel:BYTE_3
	v_lshlrev_b32_e32 v10, 20, v10
	v_lshl_add_u32 v20, v20, 23, 0x3c000000
	v_and_b32_e32 v21, 0x80000000, v21
	v_or3_b32 v39, v10, v21, v20
.LBB346_317:                            ;   in Loop: Header=BB346_289 Depth=1
	s_or_b32 exec_lo, exec_lo, s15
.LBB346_318:                            ;   in Loop: Header=BB346_289 Depth=1
	s_or_b32 exec_lo, exec_lo, s14
.LBB346_319:                            ;   in Loop: Header=BB346_289 Depth=1
	s_or_b32 exec_lo, exec_lo, s1
	v_mov_b32_e32 v10, v19
	v_cmp_ne_u16_sdwa s14, v19, v11 src0_sel:BYTE_0 src1_sel:DWORD
	s_and_saveexec_b32 s1, s14
	s_cbranch_execz .LBB346_325
; %bb.320:                              ;   in Loop: Header=BB346_289 Depth=1
	v_cmp_ne_u16_sdwa s15, v19, v30 src0_sel:BYTE_0 src1_sel:DWORD
	v_bfrev_b32_e32 v38, 1
	s_and_saveexec_b32 s14, s15
	s_cbranch_execz .LBB346_324
; %bb.321:                              ;   in Loop: Header=BB346_289 Depth=1
	v_and_b32_e32 v20, 0x7f, v19
	v_mov_b32_e32 v38, 0x7f800001
	s_mov_b32 s15, exec_lo
	v_cmpx_ne_u32_e32 0x7f, v20
	s_cbranch_execz .LBB346_323
; %bb.322:                              ;   in Loop: Header=BB346_289 Depth=1
	v_and_b32_e32 v21, 7, v19
	v_cmp_gt_u32_e32 vcc_lo, 8, v20
	v_lshrrev_b32_e32 v38, 3, v20
	v_ffbh_u32_e32 v21, v21
	v_min_u32_e32 v21, 32, v21
	v_subrev_nc_u32_e32 v40, 28, v21
	v_sub_nc_u32_e32 v21, 29, v21
	v_cndmask_b32_e32 v20, 0, v40, vcc_lo
	v_cndmask_b32_e32 v38, v38, v21, vcc_lo
	v_lshlrev_b64 v[20:21], v20, v[10:11]
	v_lshlrev_b32_e32 v21, 24, v10
	v_lshl_add_u32 v38, v38, 23, 0x3c000000
	v_lshlrev_b32_e32 v20, 20, v20
	v_and_b32_e32 v21, 0x80000000, v21
	v_and_b32_e32 v20, 0x700000, v20
	v_or3_b32 v38, v20, v21, v38
.LBB346_323:                            ;   in Loop: Header=BB346_289 Depth=1
	s_or_b32 exec_lo, exec_lo, s15
.LBB346_324:                            ;   in Loop: Header=BB346_289 Depth=1
	s_or_b32 exec_lo, exec_lo, s14
.LBB346_325:                            ;   in Loop: Header=BB346_289 Depth=1
	s_or_b32 exec_lo, exec_lo, s1
	v_cmp_ne_u16_sdwa s14, v10, v11 src0_sel:BYTE_1 src1_sel:DWORD
	v_mov_b32_e32 v40, 0
	v_mov_b32_e32 v20, 0
	s_and_saveexec_b32 s1, s14
	s_cbranch_execz .LBB346_333
; %bb.326:                              ;   in Loop: Header=BB346_289 Depth=1
	v_cmp_ne_u16_sdwa s15, v10, v30 src0_sel:BYTE_1 src1_sel:DWORD
	v_bfrev_b32_e32 v20, 1
	s_and_saveexec_b32 s14, s15
	s_cbranch_execz .LBB346_332
; %bb.327:                              ;   in Loop: Header=BB346_289 Depth=1
	v_and_b32_sdwa v21, v31, v10 dst_sel:DWORD dst_unused:UNUSED_PAD src0_sel:DWORD src1_sel:BYTE_1
	v_mov_b32_e32 v20, 0x7f800001
	s_mov_b32 s15, exec_lo
	v_and_b32_e32 v42, 0x7f, v21
	v_cmpx_ne_u32_e32 0x7f, v42
	s_cbranch_execz .LBB346_331
; %bb.328:                              ;   in Loop: Header=BB346_289 Depth=1
	v_and_b32_e32 v20, 7, v21
	v_mov_b32_e32 v21, v11
	v_lshrrev_b32_e32 v41, 3, v42
	s_mov_b32 s16, exec_lo
	v_cmpx_gt_u32_e32 8, v42
; %bb.329:                              ;   in Loop: Header=BB346_289 Depth=1
	v_ffbh_u32_e32 v41, v20
	v_min_u32_e32 v41, 32, v41
	v_subrev_nc_u32_e32 v42, 28, v41
	v_sub_nc_u32_e32 v41, 29, v41
	v_lshlrev_b64 v[20:21], v42, v[20:21]
	v_and_b32_e32 v20, 7, v20
; %bb.330:                              ;   in Loop: Header=BB346_289 Depth=1
	s_or_b32 exec_lo, exec_lo, s16
	v_lshlrev_b32_e32 v10, 16, v10
	v_lshlrev_b32_e32 v20, 20, v20
	v_lshl_add_u32 v21, v41, 23, 0x3c000000
	v_and_b32_e32 v10, 0x80000000, v10
	v_or3_b32 v20, v20, v10, v21
.LBB346_331:                            ;   in Loop: Header=BB346_289 Depth=1
	s_or_b32 exec_lo, exec_lo, s15
.LBB346_332:                            ;   in Loop: Header=BB346_289 Depth=1
	s_or_b32 exec_lo, exec_lo, s14
.LBB346_333:                            ;   in Loop: Header=BB346_289 Depth=1
	s_or_b32 exec_lo, exec_lo, s1
	v_and_b32_sdwa v10, v19, v32 dst_sel:DWORD dst_unused:UNUSED_PAD src0_sel:WORD_1 src1_sel:DWORD
	s_mov_b32 s1, exec_lo
	v_cmpx_ne_u16_e32 0, v10
	s_cbranch_execz .LBB346_341
; %bb.334:                              ;   in Loop: Header=BB346_289 Depth=1
	v_bfrev_b32_e32 v40, 1
	s_mov_b32 s14, exec_lo
	v_cmpx_ne_u16_e32 0x80, v10
	s_cbranch_execz .LBB346_340
; %bb.335:                              ;   in Loop: Header=BB346_289 Depth=1
	v_bfe_u32 v41, v19, 16, 7
	v_mov_b32_e32 v40, 0x7f800001
	s_mov_b32 s15, exec_lo
	v_cmpx_ne_u32_e32 0x7f, v41
	s_cbranch_execz .LBB346_339
; %bb.336:                              ;   in Loop: Header=BB346_289 Depth=1
	v_and_b32_sdwa v10, v19, v33 dst_sel:DWORD dst_unused:UNUSED_PAD src0_sel:WORD_1 src1_sel:DWORD
	v_lshrrev_b32_e32 v21, 3, v41
	s_mov_b32 s16, exec_lo
	v_cmpx_gt_u32_e32 8, v41
; %bb.337:                              ;   in Loop: Header=BB346_289 Depth=1
	v_ffbh_u32_e32 v21, v10
	v_min_u32_e32 v21, 32, v21
	v_subrev_nc_u32_e32 v40, 28, v21
	v_sub_nc_u32_e32 v21, 29, v21
	v_lshlrev_b64 v[40:41], v40, v[10:11]
	v_and_b32_e32 v10, 7, v40
; %bb.338:                              ;   in Loop: Header=BB346_289 Depth=1
	s_or_b32 exec_lo, exec_lo, s16
	v_lshlrev_b32_sdwa v40, v34, v19 dst_sel:DWORD dst_unused:UNUSED_PAD src0_sel:DWORD src1_sel:WORD_1
	v_lshlrev_b32_e32 v10, 20, v10
	v_lshl_add_u32 v21, v21, 23, 0x3c000000
	v_and_b32_e32 v40, 0x80000000, v40
	v_or3_b32 v40, v10, v40, v21
.LBB346_339:                            ;   in Loop: Header=BB346_289 Depth=1
	s_or_b32 exec_lo, exec_lo, s15
.LBB346_340:                            ;   in Loop: Header=BB346_289 Depth=1
	s_or_b32 exec_lo, exec_lo, s14
.LBB346_341:                            ;   in Loop: Header=BB346_289 Depth=1
	s_or_b32 exec_lo, exec_lo, s1
	v_mov_b32_e32 v10, 0
	s_mov_b32 s1, exec_lo
	v_cmpx_lt_u64_e64 s[4:5], v[18:19]
	s_cbranch_execz .LBB346_349
; %bb.342:                              ;   in Loop: Header=BB346_289 Depth=1
	v_cmp_ne_u32_sdwa s15, v19, v30 src0_sel:BYTE_3 src1_sel:DWORD
	v_bfrev_b32_e32 v10, 1
	s_and_saveexec_b32 s14, s15
	s_cbranch_execz .LBB346_348
; %bb.343:                              ;   in Loop: Header=BB346_289 Depth=1
	v_bfe_u32 v21, v19, 24, 7
	v_mov_b32_e32 v10, 0x7f800001
	s_mov_b32 s15, exec_lo
	v_cmpx_ne_u32_e32 0x7f, v21
	s_cbranch_execz .LBB346_347
; %bb.344:                              ;   in Loop: Header=BB346_289 Depth=1
	v_and_b32_sdwa v10, v19, v33 dst_sel:DWORD dst_unused:UNUSED_PAD src0_sel:BYTE_3 src1_sel:DWORD
	v_lshrrev_b32_e32 v18, 3, v21
	s_mov_b32 s16, exec_lo
	v_cmpx_gt_u32_e32 8, v21
; %bb.345:                              ;   in Loop: Header=BB346_289 Depth=1
	v_ffbh_u32_e32 v18, v10
	v_min_u32_e32 v18, 32, v18
	v_subrev_nc_u32_e32 v21, 28, v18
	v_sub_nc_u32_e32 v18, 29, v18
	v_lshlrev_b64 v[41:42], v21, v[10:11]
	v_and_b32_e32 v10, 7, v41
; %bb.346:                              ;   in Loop: Header=BB346_289 Depth=1
	s_or_b32 exec_lo, exec_lo, s16
	v_lshlrev_b32_sdwa v19, v34, v19 dst_sel:DWORD dst_unused:UNUSED_PAD src0_sel:DWORD src1_sel:BYTE_3
	v_lshlrev_b32_e32 v10, 20, v10
	v_lshl_add_u32 v18, v18, 23, 0x3c000000
	v_and_b32_e32 v19, 0x80000000, v19
	v_or3_b32 v10, v10, v19, v18
.LBB346_347:                            ;   in Loop: Header=BB346_289 Depth=1
	s_or_b32 exec_lo, exec_lo, s15
.LBB346_348:                            ;   in Loop: Header=BB346_289 Depth=1
	s_or_b32 exec_lo, exec_lo, s14
.LBB346_349:                            ;   in Loop: Header=BB346_289 Depth=1
	s_or_b32 exec_lo, exec_lo, s1
	s_waitcnt lgkmcnt(0)
	v_mul_f32_e32 v18, s9, v20
	v_mul_f32_e32 v19, s9, v38
	;; [unrolled: 1-line block ×5, first 2 shown]
	v_bfe_u32 v21, v18, 16, 1
	v_or_b32_e32 v36, 0x400000, v18
	v_bfe_u32 v38, v19, 16, 1
	v_cmp_u_f32_e64 s1, v18, v18
	v_or_b32_e32 v41, 0x400000, v19
	v_add3_u32 v21, v21, v18, 0x7fff
	v_bfe_u32 v42, v20, 16, 1
	v_add3_u32 v38, v38, v19, 0x7fff
	v_or_b32_e32 v44, 0x400000, v20
	v_add_nc_u32_e32 v43, -7, v28
	v_cndmask_b32_e64 v18, v21, v36, s1
	v_cmp_u_f32_e64 s1, v19, v19
	v_bfe_u32 v21, v39, 16, 1
	v_add3_u32 v42, v42, v20, 0x7fff
	v_cmp_eq_u32_e32 vcc_lo, s12, v9
	v_lshrrev_b32_e32 v36, 16, v18
	v_cndmask_b32_e64 v19, v38, v41, s1
	v_cmp_u_f32_e64 s1, v20, v20
	v_mul_f32_e32 v20, s9, v35
	v_add3_u32 v21, v21, v39, 0x7fff
	v_or_b32_e32 v41, 0x400000, v39
	v_lshrrev_b32_e32 v35, 16, v19
	v_cndmask_b32_e64 v18, v42, v44, s1
	v_cmp_u_f32_e64 s1, v39, v39
	v_or_b32_e32 v39, 0x400000, v20
	v_or_b32_e32 v44, 0x400000, v10
	v_add_nc_u32_e32 v49, -6, v28
	v_lshrrev_b32_e32 v38, 16, v18
	v_bfe_u32 v18, v20, 16, 1
	v_cndmask_b32_e64 v19, v21, v41, s1
	v_mul_f32_e32 v21, s9, v37
	v_mul_f32_e32 v37, s9, v40
	v_cmp_u_f32_e64 s1, v20, v20
	v_add3_u32 v18, v18, v20, 0x7fff
	v_bfe_u32 v20, v10, 16, 1
	v_bfe_u32 v40, v21, 16, 1
	;; [unrolled: 1-line block ×3, first 2 shown]
	v_or_b32_e32 v42, 0x400000, v37
	v_cndmask_b32_e64 v18, v18, v39, s1
	v_cmp_u_f32_e64 s1, v21, v21
	v_add3_u32 v39, v40, v21, 0x7fff
	v_or_b32_e32 v40, 0x400000, v21
	v_add3_u32 v41, v41, v37, 0x7fff
	v_add3_u32 v20, v20, v10, 0x7fff
	v_add_nc_u32_e32 v48, -5, v28
	v_add_nc_u32_e32 v47, -4, v28
	v_cndmask_b32_e64 v21, v39, v40, s1
	v_cmp_u_f32_e64 s1, v37, v37
	v_lshrrev_b32_e32 v40, 16, v19
	v_add_nc_u32_e32 v46, -3, v28
	v_add_nc_u32_e32 v45, -2, v28
	v_cndmask_b32_e64 v37, v41, v42, s1
	v_cmp_u_f32_e64 s1, v10, v10
	v_lshrrev_b32_e32 v42, 16, v18
	v_lshrrev_b32_e32 v41, 16, v21
	;; [unrolled: 1-line block ×3, first 2 shown]
	v_cndmask_b32_e64 v10, v20, v44, s1
	v_add_nc_u32_e32 v44, -1, v28
	v_lshrrev_b32_e32 v39, 16, v10
	s_and_saveexec_b32 s14, vcc_lo
	s_cbranch_execz .LBB346_351
; %bb.350:                              ;   in Loop: Header=BB346_289 Depth=1
	v_cmp_gt_i32_e64 s1, s27, v43
	v_cndmask_b32_e64 v41, 0, v41, s1
	v_cmp_gt_i32_e64 s1, s27, v49
	v_cndmask_b32_e64 v42, 0, v42, s1
	;; [unrolled: 2-line block ×8, first 2 shown]
.LBB346_351:                            ;   in Loop: Header=BB346_289 Depth=1
	s_or_b32 exec_lo, exec_lo, s14
	global_load_dwordx2 v[18:19], v[16:17], off offset:256
	v_mov_b32_e32 v51, 0
	v_mov_b32_e32 v52, 0
	s_waitcnt vmcnt(0)
	v_cmp_ne_u16_sdwa s1, v18, v11 src0_sel:BYTE_0 src1_sel:DWORD
	s_and_saveexec_b32 s14, s1
	s_cbranch_execz .LBB346_357
; %bb.352:                              ;   in Loop: Header=BB346_289 Depth=1
	v_cmp_ne_u16_sdwa s1, v18, v30 src0_sel:BYTE_0 src1_sel:DWORD
	v_bfrev_b32_e32 v52, 1
	s_and_saveexec_b32 s15, s1
	s_cbranch_execz .LBB346_356
; %bb.353:                              ;   in Loop: Header=BB346_289 Depth=1
	v_and_b32_e32 v10, 0x7f, v18
	v_mov_b32_e32 v52, 0x7f800001
	s_mov_b32 s16, exec_lo
	v_cmpx_ne_u32_e32 0x7f, v10
	s_cbranch_execz .LBB346_355
; %bb.354:                              ;   in Loop: Header=BB346_289 Depth=1
	v_and_b32_e32 v20, 7, v18
	v_lshrrev_b32_e32 v21, 3, v10
	v_cmp_gt_u32_e64 s1, 8, v10
	v_ffbh_u32_e32 v20, v20
	v_min_u32_e32 v20, 32, v20
	v_subrev_nc_u32_e32 v50, 28, v20
	v_sub_nc_u32_e32 v20, 29, v20
	v_cndmask_b32_e64 v10, v21, v20, s1
	v_cndmask_b32_e64 v20, 0, v50, s1
	v_lshl_add_u32 v10, v10, 23, 0x3c000000
	v_lshlrev_b64 v[20:21], v20, v[18:19]
	v_lshlrev_b32_e32 v21, 24, v18
	v_lshlrev_b32_e32 v20, 20, v20
	v_and_b32_e32 v21, 0x80000000, v21
	v_and_b32_e32 v20, 0x700000, v20
	v_or3_b32 v52, v20, v21, v10
.LBB346_355:                            ;   in Loop: Header=BB346_289 Depth=1
	s_or_b32 exec_lo, exec_lo, s16
.LBB346_356:                            ;   in Loop: Header=BB346_289 Depth=1
	s_or_b32 exec_lo, exec_lo, s15
.LBB346_357:                            ;   in Loop: Header=BB346_289 Depth=1
	s_or_b32 exec_lo, exec_lo, s14
	v_cmp_ne_u16_sdwa s1, v18, v11 src0_sel:BYTE_1 src1_sel:DWORD
	s_and_saveexec_b32 s14, s1
	s_cbranch_execz .LBB346_365
; %bb.358:                              ;   in Loop: Header=BB346_289 Depth=1
	v_cmp_ne_u16_sdwa s1, v18, v30 src0_sel:BYTE_1 src1_sel:DWORD
	v_bfrev_b32_e32 v51, 1
	s_and_saveexec_b32 s15, s1
	s_cbranch_execz .LBB346_364
; %bb.359:                              ;   in Loop: Header=BB346_289 Depth=1
	v_and_b32_sdwa v10, v31, v18 dst_sel:DWORD dst_unused:UNUSED_PAD src0_sel:DWORD src1_sel:BYTE_1
	v_mov_b32_e32 v51, 0x7f800001
	s_mov_b32 s16, exec_lo
	v_and_b32_e32 v21, 0x7f, v10
	v_cmpx_ne_u32_e32 0x7f, v21
	s_cbranch_execz .LBB346_363
; %bb.360:                              ;   in Loop: Header=BB346_289 Depth=1
	v_and_b32_e32 v10, 7, v10
	v_lshrrev_b32_e32 v20, 3, v21
	s_mov_b32 s17, exec_lo
	v_cmpx_gt_u32_e32 8, v21
; %bb.361:                              ;   in Loop: Header=BB346_289 Depth=1
	v_ffbh_u32_e32 v20, v10
	v_min_u32_e32 v20, 32, v20
	v_subrev_nc_u32_e32 v21, 28, v20
	v_sub_nc_u32_e32 v20, 29, v20
	v_lshlrev_b64 v[50:51], v21, v[10:11]
	v_and_b32_e32 v10, 7, v50
; %bb.362:                              ;   in Loop: Header=BB346_289 Depth=1
	s_or_b32 exec_lo, exec_lo, s17
	v_lshlrev_b32_e32 v21, 16, v18
	v_lshlrev_b32_e32 v10, 20, v10
	v_lshl_add_u32 v20, v20, 23, 0x3c000000
	v_and_b32_e32 v21, 0x80000000, v21
	v_or3_b32 v51, v10, v21, v20
.LBB346_363:                            ;   in Loop: Header=BB346_289 Depth=1
	s_or_b32 exec_lo, exec_lo, s16
.LBB346_364:                            ;   in Loop: Header=BB346_289 Depth=1
	s_or_b32 exec_lo, exec_lo, s15
.LBB346_365:                            ;   in Loop: Header=BB346_289 Depth=1
	s_or_b32 exec_lo, exec_lo, s14
	v_and_b32_sdwa v10, v18, v32 dst_sel:DWORD dst_unused:UNUSED_PAD src0_sel:WORD_1 src1_sel:DWORD
	v_mov_b32_e32 v53, 0
	v_mov_b32_e32 v50, 0
	s_mov_b32 s14, exec_lo
	v_cmpx_ne_u16_e32 0, v10
	s_cbranch_execz .LBB346_373
; %bb.366:                              ;   in Loop: Header=BB346_289 Depth=1
	v_bfrev_b32_e32 v50, 1
	s_mov_b32 s15, exec_lo
	v_cmpx_ne_u16_e32 0x80, v10
	s_cbranch_execz .LBB346_372
; %bb.367:                              ;   in Loop: Header=BB346_289 Depth=1
	v_bfe_u32 v21, v18, 16, 7
	v_mov_b32_e32 v50, 0x7f800001
	s_mov_b32 s16, exec_lo
	v_cmpx_ne_u32_e32 0x7f, v21
	s_cbranch_execz .LBB346_371
; %bb.368:                              ;   in Loop: Header=BB346_289 Depth=1
	v_and_b32_sdwa v10, v18, v33 dst_sel:DWORD dst_unused:UNUSED_PAD src0_sel:WORD_1 src1_sel:DWORD
	v_lshrrev_b32_e32 v20, 3, v21
	s_mov_b32 s17, exec_lo
	v_cmpx_gt_u32_e32 8, v21
; %bb.369:                              ;   in Loop: Header=BB346_289 Depth=1
	v_ffbh_u32_e32 v20, v10
	v_min_u32_e32 v20, 32, v20
	v_subrev_nc_u32_e32 v21, 28, v20
	v_sub_nc_u32_e32 v20, 29, v20
	v_lshlrev_b64 v[54:55], v21, v[10:11]
	v_and_b32_e32 v10, 7, v54
; %bb.370:                              ;   in Loop: Header=BB346_289 Depth=1
	s_or_b32 exec_lo, exec_lo, s17
	v_lshlrev_b32_sdwa v21, v34, v18 dst_sel:DWORD dst_unused:UNUSED_PAD src0_sel:DWORD src1_sel:WORD_1
	v_lshlrev_b32_e32 v10, 20, v10
	v_lshl_add_u32 v20, v20, 23, 0x3c000000
	v_and_b32_e32 v21, 0x80000000, v21
	v_or3_b32 v50, v10, v21, v20
.LBB346_371:                            ;   in Loop: Header=BB346_289 Depth=1
	s_or_b32 exec_lo, exec_lo, s16
.LBB346_372:                            ;   in Loop: Header=BB346_289 Depth=1
	s_or_b32 exec_lo, exec_lo, s15
.LBB346_373:                            ;   in Loop: Header=BB346_289 Depth=1
	s_or_b32 exec_lo, exec_lo, s14
	s_mov_b32 s14, exec_lo
	v_cmpx_lt_u32_e32 0xffffff, v18
	s_cbranch_execz .LBB346_381
; %bb.374:                              ;   in Loop: Header=BB346_289 Depth=1
	v_cmp_ne_u32_sdwa s1, v18, v30 src0_sel:BYTE_3 src1_sel:DWORD
	v_bfrev_b32_e32 v53, 1
	s_and_saveexec_b32 s15, s1
	s_cbranch_execz .LBB346_380
; %bb.375:                              ;   in Loop: Header=BB346_289 Depth=1
	v_bfe_u32 v21, v18, 24, 7
	v_mov_b32_e32 v53, 0x7f800001
	s_mov_b32 s16, exec_lo
	v_cmpx_ne_u32_e32 0x7f, v21
	s_cbranch_execz .LBB346_379
; %bb.376:                              ;   in Loop: Header=BB346_289 Depth=1
	v_and_b32_sdwa v10, v18, v33 dst_sel:DWORD dst_unused:UNUSED_PAD src0_sel:BYTE_3 src1_sel:DWORD
	v_lshrrev_b32_e32 v20, 3, v21
	s_mov_b32 s17, exec_lo
	v_cmpx_gt_u32_e32 8, v21
; %bb.377:                              ;   in Loop: Header=BB346_289 Depth=1
	v_ffbh_u32_e32 v20, v10
	v_min_u32_e32 v20, 32, v20
	v_subrev_nc_u32_e32 v21, 28, v20
	v_sub_nc_u32_e32 v20, 29, v20
	v_lshlrev_b64 v[53:54], v21, v[10:11]
	v_and_b32_e32 v10, 7, v53
; %bb.378:                              ;   in Loop: Header=BB346_289 Depth=1
	s_or_b32 exec_lo, exec_lo, s17
	v_lshlrev_b32_sdwa v21, v34, v18 dst_sel:DWORD dst_unused:UNUSED_PAD src0_sel:DWORD src1_sel:BYTE_3
	v_lshlrev_b32_e32 v10, 20, v10
	v_lshl_add_u32 v20, v20, 23, 0x3c000000
	v_and_b32_e32 v21, 0x80000000, v21
	v_or3_b32 v53, v10, v21, v20
.LBB346_379:                            ;   in Loop: Header=BB346_289 Depth=1
	s_or_b32 exec_lo, exec_lo, s16
.LBB346_380:                            ;   in Loop: Header=BB346_289 Depth=1
	s_or_b32 exec_lo, exec_lo, s15
.LBB346_381:                            ;   in Loop: Header=BB346_289 Depth=1
	s_or_b32 exec_lo, exec_lo, s14
	v_mov_b32_e32 v10, v19
	v_cmp_ne_u16_sdwa s1, v19, v11 src0_sel:BYTE_0 src1_sel:DWORD
	v_mov_b32_e32 v20, 0
	v_mov_b32_e32 v54, 0
	s_and_saveexec_b32 s14, s1
	s_cbranch_execz .LBB346_387
; %bb.382:                              ;   in Loop: Header=BB346_289 Depth=1
	v_cmp_ne_u16_sdwa s1, v19, v30 src0_sel:BYTE_0 src1_sel:DWORD
	v_bfrev_b32_e32 v54, 1
	s_and_saveexec_b32 s15, s1
	s_cbranch_execz .LBB346_386
; %bb.383:                              ;   in Loop: Header=BB346_289 Depth=1
	v_and_b32_e32 v21, 0x7f, v19
	v_mov_b32_e32 v54, 0x7f800001
	s_mov_b32 s16, exec_lo
	v_cmpx_ne_u32_e32 0x7f, v21
	s_cbranch_execz .LBB346_385
; %bb.384:                              ;   in Loop: Header=BB346_289 Depth=1
	v_and_b32_e32 v54, 7, v19
	v_lshrrev_b32_e32 v55, 3, v21
	v_cmp_gt_u32_e64 s1, 8, v21
	v_ffbh_u32_e32 v54, v54
	v_min_u32_e32 v54, 32, v54
	v_subrev_nc_u32_e32 v56, 28, v54
	v_sub_nc_u32_e32 v54, 29, v54
	v_cndmask_b32_e64 v21, v55, v54, s1
	v_cndmask_b32_e64 v54, 0, v56, s1
	v_lshl_add_u32 v21, v21, 23, 0x3c000000
	v_lshlrev_b64 v[54:55], v54, v[10:11]
	v_lshlrev_b32_e32 v55, 24, v10
	v_lshlrev_b32_e32 v54, 20, v54
	v_and_b32_e32 v55, 0x80000000, v55
	v_and_b32_e32 v54, 0x700000, v54
	v_or3_b32 v54, v54, v55, v21
.LBB346_385:                            ;   in Loop: Header=BB346_289 Depth=1
	s_or_b32 exec_lo, exec_lo, s16
.LBB346_386:                            ;   in Loop: Header=BB346_289 Depth=1
	s_or_b32 exec_lo, exec_lo, s15
.LBB346_387:                            ;   in Loop: Header=BB346_289 Depth=1
	s_or_b32 exec_lo, exec_lo, s14
	v_cmp_ne_u16_sdwa s1, v10, v11 src0_sel:BYTE_1 src1_sel:DWORD
	s_and_saveexec_b32 s14, s1
	s_cbranch_execz .LBB346_395
; %bb.388:                              ;   in Loop: Header=BB346_289 Depth=1
	v_cmp_ne_u16_sdwa s1, v10, v30 src0_sel:BYTE_1 src1_sel:DWORD
	v_bfrev_b32_e32 v20, 1
	s_and_saveexec_b32 s15, s1
	s_cbranch_execz .LBB346_394
; %bb.389:                              ;   in Loop: Header=BB346_289 Depth=1
	v_and_b32_sdwa v21, v31, v10 dst_sel:DWORD dst_unused:UNUSED_PAD src0_sel:DWORD src1_sel:BYTE_1
	v_mov_b32_e32 v20, 0x7f800001
	s_mov_b32 s16, exec_lo
	v_and_b32_e32 v56, 0x7f, v21
	v_cmpx_ne_u32_e32 0x7f, v56
	s_cbranch_execz .LBB346_393
; %bb.390:                              ;   in Loop: Header=BB346_289 Depth=1
	v_and_b32_e32 v20, 7, v21
	v_mov_b32_e32 v21, v11
	v_lshrrev_b32_e32 v55, 3, v56
	s_mov_b32 s17, exec_lo
	v_cmpx_gt_u32_e32 8, v56
; %bb.391:                              ;   in Loop: Header=BB346_289 Depth=1
	v_ffbh_u32_e32 v55, v20
	v_min_u32_e32 v55, 32, v55
	v_subrev_nc_u32_e32 v56, 28, v55
	v_sub_nc_u32_e32 v55, 29, v55
	v_lshlrev_b64 v[20:21], v56, v[20:21]
	v_and_b32_e32 v20, 7, v20
; %bb.392:                              ;   in Loop: Header=BB346_289 Depth=1
	s_or_b32 exec_lo, exec_lo, s17
	v_lshlrev_b32_e32 v10, 16, v10
	v_lshlrev_b32_e32 v20, 20, v20
	v_lshl_add_u32 v21, v55, 23, 0x3c000000
	v_and_b32_e32 v10, 0x80000000, v10
	v_or3_b32 v20, v20, v10, v21
.LBB346_393:                            ;   in Loop: Header=BB346_289 Depth=1
	s_or_b32 exec_lo, exec_lo, s16
.LBB346_394:                            ;   in Loop: Header=BB346_289 Depth=1
	s_or_b32 exec_lo, exec_lo, s15
.LBB346_395:                            ;   in Loop: Header=BB346_289 Depth=1
	s_or_b32 exec_lo, exec_lo, s14
	v_and_b32_sdwa v10, v19, v32 dst_sel:DWORD dst_unused:UNUSED_PAD src0_sel:WORD_1 src1_sel:DWORD
	v_mov_b32_e32 v21, 0
	v_mov_b32_e32 v55, 0
	s_mov_b32 s14, exec_lo
	v_cmpx_ne_u16_e32 0, v10
	s_cbranch_execz .LBB346_403
; %bb.396:                              ;   in Loop: Header=BB346_289 Depth=1
	v_bfrev_b32_e32 v55, 1
	s_mov_b32 s15, exec_lo
	v_cmpx_ne_u16_e32 0x80, v10
	s_cbranch_execz .LBB346_402
; %bb.397:                              ;   in Loop: Header=BB346_289 Depth=1
	v_bfe_u32 v56, v19, 16, 7
	v_mov_b32_e32 v55, 0x7f800001
	s_mov_b32 s16, exec_lo
	v_cmpx_ne_u32_e32 0x7f, v56
	s_cbranch_execz .LBB346_401
; %bb.398:                              ;   in Loop: Header=BB346_289 Depth=1
	v_and_b32_sdwa v10, v19, v33 dst_sel:DWORD dst_unused:UNUSED_PAD src0_sel:WORD_1 src1_sel:DWORD
	v_lshrrev_b32_e32 v55, 3, v56
	s_mov_b32 s17, exec_lo
	v_cmpx_gt_u32_e32 8, v56
; %bb.399:                              ;   in Loop: Header=BB346_289 Depth=1
	v_ffbh_u32_e32 v55, v10
	v_min_u32_e32 v55, 32, v55
	v_subrev_nc_u32_e32 v56, 28, v55
	v_sub_nc_u32_e32 v55, 29, v55
	v_lshlrev_b64 v[56:57], v56, v[10:11]
	v_and_b32_e32 v10, 7, v56
; %bb.400:                              ;   in Loop: Header=BB346_289 Depth=1
	s_or_b32 exec_lo, exec_lo, s17
	v_lshlrev_b32_sdwa v56, v34, v19 dst_sel:DWORD dst_unused:UNUSED_PAD src0_sel:DWORD src1_sel:WORD_1
	v_lshlrev_b32_e32 v10, 20, v10
	v_lshl_add_u32 v55, v55, 23, 0x3c000000
	v_and_b32_e32 v56, 0x80000000, v56
	v_or3_b32 v55, v10, v56, v55
.LBB346_401:                            ;   in Loop: Header=BB346_289 Depth=1
	s_or_b32 exec_lo, exec_lo, s16
.LBB346_402:                            ;   in Loop: Header=BB346_289 Depth=1
	s_or_b32 exec_lo, exec_lo, s15
.LBB346_403:                            ;   in Loop: Header=BB346_289 Depth=1
	s_or_b32 exec_lo, exec_lo, s14
	s_mov_b32 s14, exec_lo
	v_cmpx_lt_u64_e64 s[4:5], v[18:19]
	s_cbranch_execz .LBB346_411
; %bb.404:                              ;   in Loop: Header=BB346_289 Depth=1
	v_cmp_ne_u32_sdwa s1, v19, v30 src0_sel:BYTE_3 src1_sel:DWORD
	v_bfrev_b32_e32 v21, 1
	s_and_saveexec_b32 s15, s1
	s_cbranch_execz .LBB346_410
; %bb.405:                              ;   in Loop: Header=BB346_289 Depth=1
	v_bfe_u32 v56, v19, 24, 7
	v_mov_b32_e32 v21, 0x7f800001
	s_mov_b32 s16, exec_lo
	v_cmpx_ne_u32_e32 0x7f, v56
	s_cbranch_execz .LBB346_409
; %bb.406:                              ;   in Loop: Header=BB346_289 Depth=1
	v_and_b32_sdwa v10, v19, v33 dst_sel:DWORD dst_unused:UNUSED_PAD src0_sel:BYTE_3 src1_sel:DWORD
	v_lshrrev_b32_e32 v18, 3, v56
	s_mov_b32 s17, exec_lo
	v_cmpx_gt_u32_e32 8, v56
; %bb.407:                              ;   in Loop: Header=BB346_289 Depth=1
	v_ffbh_u32_e32 v18, v10
	v_min_u32_e32 v18, 32, v18
	v_subrev_nc_u32_e32 v21, 28, v18
	v_sub_nc_u32_e32 v18, 29, v18
	v_lshlrev_b64 v[56:57], v21, v[10:11]
	v_and_b32_e32 v10, 7, v56
; %bb.408:                              ;   in Loop: Header=BB346_289 Depth=1
	s_or_b32 exec_lo, exec_lo, s17
	v_lshlrev_b32_sdwa v19, v34, v19 dst_sel:DWORD dst_unused:UNUSED_PAD src0_sel:DWORD src1_sel:BYTE_3
	v_lshlrev_b32_e32 v10, 20, v10
	v_lshl_add_u32 v18, v18, 23, 0x3c000000
	v_and_b32_e32 v19, 0x80000000, v19
	v_or3_b32 v21, v10, v19, v18
.LBB346_409:                            ;   in Loop: Header=BB346_289 Depth=1
	s_or_b32 exec_lo, exec_lo, s16
.LBB346_410:                            ;   in Loop: Header=BB346_289 Depth=1
	s_or_b32 exec_lo, exec_lo, s15
.LBB346_411:                            ;   in Loop: Header=BB346_289 Depth=1
	s_or_b32 exec_lo, exec_lo, s14
	v_mul_f32_e32 v10, s9, v20
	v_mul_f32_e32 v18, s9, v54
	;; [unrolled: 1-line block ×5, first 2 shown]
	v_bfe_u32 v50, v10, 16, 1
	v_or_b32_e32 v53, 0x400000, v10
	v_bfe_u32 v54, v18, 16, 1
	v_cmp_u_f32_e64 s1, v10, v10
	v_or_b32_e32 v56, 0x400000, v18
	v_add3_u32 v50, v50, v10, 0x7fff
	v_bfe_u32 v57, v19, 16, 1
	v_add3_u32 v54, v54, v18, 0x7fff
	v_or_b32_e32 v58, 0x400000, v19
	v_bfe_u32 v59, v20, 16, 1
	v_cndmask_b32_e64 v10, v50, v53, s1
	v_cmp_u_f32_e64 s1, v18, v18
	v_add3_u32 v57, v57, v19, 0x7fff
	v_lshrrev_b32_e32 v50, 16, v10
	v_cndmask_b32_e64 v18, v54, v56, s1
	v_cmp_u_f32_e64 s1, v19, v19
	v_mul_f32_e32 v10, s9, v51
	v_add3_u32 v54, v59, v20, 0x7fff
	v_or_b32_e32 v56, 0x400000, v20
	v_lshrrev_b32_e32 v51, 16, v18
	v_cndmask_b32_e64 v19, v57, v58, s1
	v_bfe_u32 v18, v10, 16, 1
	v_cmp_u_f32_e64 s1, v20, v20
	v_mul_f32_e32 v20, s9, v52
	v_mul_f32_e32 v52, s9, v55
	v_lshrrev_b32_e32 v53, 16, v19
	v_add3_u32 v18, v18, v10, 0x7fff
	v_cndmask_b32_e64 v19, v54, v56, s1
	v_or_b32_e32 v54, 0x400000, v10
	v_bfe_u32 v55, v20, 16, 1
	v_cmp_u_f32_e64 s1, v10, v10
	v_bfe_u32 v56, v52, 16, 1
	v_or_b32_e32 v57, 0x400000, v52
	v_or_b32_e32 v58, 0x400000, v21
	v_cndmask_b32_e64 v10, v18, v54, s1
	v_add3_u32 v54, v55, v20, 0x7fff
	v_or_b32_e32 v55, 0x400000, v20
	v_cmp_u_f32_e64 s1, v20, v20
	v_bfe_u32 v18, v21, 16, 1
	v_add3_u32 v56, v56, v52, 0x7fff
	v_cndmask_b32_e64 v20, v54, v55, s1
	v_cmp_u_f32_e64 s1, v52, v52
	v_add3_u32 v18, v18, v21, 0x7fff
	v_lshrrev_b32_e32 v55, 16, v19
	v_cndmask_b32_e64 v52, v56, v57, s1
	v_cmp_u_f32_e64 s1, v21, v21
	v_lshrrev_b32_e32 v57, 16, v10
	v_lshrrev_b32_e32 v56, 16, v20
	;; [unrolled: 1-line block ×3, first 2 shown]
	v_cndmask_b32_e64 v18, v18, v58, s1
	v_lshrrev_b32_e32 v54, 16, v18
	s_and_saveexec_b32 s14, vcc_lo
	s_cbranch_execz .LBB346_413
; %bb.412:                              ;   in Loop: Header=BB346_289 Depth=1
	v_cmp_gt_i32_e64 s1, s27, v43
	v_cndmask_b32_e64 v56, 0, v56, s1
	v_cmp_gt_i32_e64 s1, s27, v49
	v_cndmask_b32_e64 v57, 0, v57, s1
	;; [unrolled: 2-line block ×8, first 2 shown]
.LBB346_413:                            ;   in Loop: Header=BB346_289 Depth=1
	s_or_b32 exec_lo, exec_lo, s14
	global_load_dwordx2 v[18:19], v[16:17], off offset:512
	v_mov_b32_e32 v59, 0
	v_mov_b32_e32 v58, 0
	s_waitcnt vmcnt(0)
	v_cmp_ne_u16_sdwa s1, v18, v11 src0_sel:BYTE_0 src1_sel:DWORD
	s_and_saveexec_b32 s14, s1
	s_cbranch_execz .LBB346_419
; %bb.414:                              ;   in Loop: Header=BB346_289 Depth=1
	v_cmp_ne_u16_sdwa s1, v18, v30 src0_sel:BYTE_0 src1_sel:DWORD
	v_bfrev_b32_e32 v58, 1
	s_and_saveexec_b32 s15, s1
	s_cbranch_execz .LBB346_418
; %bb.415:                              ;   in Loop: Header=BB346_289 Depth=1
	v_and_b32_e32 v10, 0x7f, v18
	v_mov_b32_e32 v58, 0x7f800001
	s_mov_b32 s16, exec_lo
	v_cmpx_ne_u32_e32 0x7f, v10
	s_cbranch_execz .LBB346_417
; %bb.416:                              ;   in Loop: Header=BB346_289 Depth=1
	v_and_b32_e32 v20, 7, v18
	v_lshrrev_b32_e32 v21, 3, v10
	v_cmp_gt_u32_e64 s1, 8, v10
	v_ffbh_u32_e32 v20, v20
	v_min_u32_e32 v20, 32, v20
	v_subrev_nc_u32_e32 v58, 28, v20
	v_sub_nc_u32_e32 v20, 29, v20
	v_cndmask_b32_e64 v10, v21, v20, s1
	v_cndmask_b32_e64 v20, 0, v58, s1
	v_lshl_add_u32 v10, v10, 23, 0x3c000000
	v_lshlrev_b64 v[20:21], v20, v[18:19]
	v_lshlrev_b32_e32 v21, 24, v18
	v_lshlrev_b32_e32 v20, 20, v20
	v_and_b32_e32 v21, 0x80000000, v21
	v_and_b32_e32 v20, 0x700000, v20
	v_or3_b32 v58, v20, v21, v10
.LBB346_417:                            ;   in Loop: Header=BB346_289 Depth=1
	s_or_b32 exec_lo, exec_lo, s16
.LBB346_418:                            ;   in Loop: Header=BB346_289 Depth=1
	s_or_b32 exec_lo, exec_lo, s15
.LBB346_419:                            ;   in Loop: Header=BB346_289 Depth=1
	s_or_b32 exec_lo, exec_lo, s14
	v_cmp_ne_u16_sdwa s1, v18, v11 src0_sel:BYTE_1 src1_sel:DWORD
	s_and_saveexec_b32 s14, s1
	s_cbranch_execz .LBB346_427
; %bb.420:                              ;   in Loop: Header=BB346_289 Depth=1
	v_cmp_ne_u16_sdwa s1, v18, v30 src0_sel:BYTE_1 src1_sel:DWORD
	v_bfrev_b32_e32 v59, 1
	s_and_saveexec_b32 s15, s1
	s_cbranch_execz .LBB346_426
; %bb.421:                              ;   in Loop: Header=BB346_289 Depth=1
	v_and_b32_sdwa v10, v31, v18 dst_sel:DWORD dst_unused:UNUSED_PAD src0_sel:DWORD src1_sel:BYTE_1
	v_mov_b32_e32 v59, 0x7f800001
	s_mov_b32 s16, exec_lo
	v_and_b32_e32 v21, 0x7f, v10
	v_cmpx_ne_u32_e32 0x7f, v21
	s_cbranch_execz .LBB346_425
; %bb.422:                              ;   in Loop: Header=BB346_289 Depth=1
	v_and_b32_e32 v10, 7, v10
	v_lshrrev_b32_e32 v20, 3, v21
	s_mov_b32 s17, exec_lo
	v_cmpx_gt_u32_e32 8, v21
; %bb.423:                              ;   in Loop: Header=BB346_289 Depth=1
	v_ffbh_u32_e32 v20, v10
	v_min_u32_e32 v20, 32, v20
	v_subrev_nc_u32_e32 v21, 28, v20
	v_sub_nc_u32_e32 v20, 29, v20
	v_lshlrev_b64 v[59:60], v21, v[10:11]
	v_and_b32_e32 v10, 7, v59
; %bb.424:                              ;   in Loop: Header=BB346_289 Depth=1
	s_or_b32 exec_lo, exec_lo, s17
	v_lshlrev_b32_e32 v21, 16, v18
	v_lshlrev_b32_e32 v10, 20, v10
	v_lshl_add_u32 v20, v20, 23, 0x3c000000
	v_and_b32_e32 v21, 0x80000000, v21
	v_or3_b32 v59, v10, v21, v20
.LBB346_425:                            ;   in Loop: Header=BB346_289 Depth=1
	s_or_b32 exec_lo, exec_lo, s16
.LBB346_426:                            ;   in Loop: Header=BB346_289 Depth=1
	s_or_b32 exec_lo, exec_lo, s15
.LBB346_427:                            ;   in Loop: Header=BB346_289 Depth=1
	s_or_b32 exec_lo, exec_lo, s14
	v_and_b32_sdwa v10, v18, v32 dst_sel:DWORD dst_unused:UNUSED_PAD src0_sel:WORD_1 src1_sel:DWORD
	v_mov_b32_e32 v61, 0
	v_mov_b32_e32 v60, 0
	s_mov_b32 s14, exec_lo
	v_cmpx_ne_u16_e32 0, v10
	s_cbranch_execz .LBB346_435
; %bb.428:                              ;   in Loop: Header=BB346_289 Depth=1
	v_bfrev_b32_e32 v60, 1
	s_mov_b32 s15, exec_lo
	v_cmpx_ne_u16_e32 0x80, v10
	s_cbranch_execz .LBB346_434
; %bb.429:                              ;   in Loop: Header=BB346_289 Depth=1
	v_bfe_u32 v21, v18, 16, 7
	v_mov_b32_e32 v60, 0x7f800001
	s_mov_b32 s16, exec_lo
	v_cmpx_ne_u32_e32 0x7f, v21
	s_cbranch_execz .LBB346_433
; %bb.430:                              ;   in Loop: Header=BB346_289 Depth=1
	v_and_b32_sdwa v10, v18, v33 dst_sel:DWORD dst_unused:UNUSED_PAD src0_sel:WORD_1 src1_sel:DWORD
	v_lshrrev_b32_e32 v20, 3, v21
	s_mov_b32 s17, exec_lo
	v_cmpx_gt_u32_e32 8, v21
; %bb.431:                              ;   in Loop: Header=BB346_289 Depth=1
	v_ffbh_u32_e32 v20, v10
	v_min_u32_e32 v20, 32, v20
	v_subrev_nc_u32_e32 v21, 28, v20
	v_sub_nc_u32_e32 v20, 29, v20
	v_lshlrev_b64 v[62:63], v21, v[10:11]
	v_and_b32_e32 v10, 7, v62
; %bb.432:                              ;   in Loop: Header=BB346_289 Depth=1
	s_or_b32 exec_lo, exec_lo, s17
	v_lshlrev_b32_sdwa v21, v34, v18 dst_sel:DWORD dst_unused:UNUSED_PAD src0_sel:DWORD src1_sel:WORD_1
	v_lshlrev_b32_e32 v10, 20, v10
	v_lshl_add_u32 v20, v20, 23, 0x3c000000
	v_and_b32_e32 v21, 0x80000000, v21
	v_or3_b32 v60, v10, v21, v20
.LBB346_433:                            ;   in Loop: Header=BB346_289 Depth=1
	s_or_b32 exec_lo, exec_lo, s16
.LBB346_434:                            ;   in Loop: Header=BB346_289 Depth=1
	s_or_b32 exec_lo, exec_lo, s15
.LBB346_435:                            ;   in Loop: Header=BB346_289 Depth=1
	s_or_b32 exec_lo, exec_lo, s14
	s_mov_b32 s14, exec_lo
	v_cmpx_lt_u32_e32 0xffffff, v18
	s_cbranch_execz .LBB346_443
; %bb.436:                              ;   in Loop: Header=BB346_289 Depth=1
	v_cmp_ne_u32_sdwa s1, v18, v30 src0_sel:BYTE_3 src1_sel:DWORD
	v_bfrev_b32_e32 v61, 1
	s_and_saveexec_b32 s15, s1
	s_cbranch_execz .LBB346_442
; %bb.437:                              ;   in Loop: Header=BB346_289 Depth=1
	v_bfe_u32 v21, v18, 24, 7
	v_mov_b32_e32 v61, 0x7f800001
	s_mov_b32 s16, exec_lo
	v_cmpx_ne_u32_e32 0x7f, v21
	s_cbranch_execz .LBB346_441
; %bb.438:                              ;   in Loop: Header=BB346_289 Depth=1
	v_and_b32_sdwa v10, v18, v33 dst_sel:DWORD dst_unused:UNUSED_PAD src0_sel:BYTE_3 src1_sel:DWORD
	v_lshrrev_b32_e32 v20, 3, v21
	s_mov_b32 s17, exec_lo
	v_cmpx_gt_u32_e32 8, v21
; %bb.439:                              ;   in Loop: Header=BB346_289 Depth=1
	v_ffbh_u32_e32 v20, v10
	v_min_u32_e32 v20, 32, v20
	v_subrev_nc_u32_e32 v21, 28, v20
	v_sub_nc_u32_e32 v20, 29, v20
	v_lshlrev_b64 v[61:62], v21, v[10:11]
	v_and_b32_e32 v10, 7, v61
; %bb.440:                              ;   in Loop: Header=BB346_289 Depth=1
	s_or_b32 exec_lo, exec_lo, s17
	v_lshlrev_b32_sdwa v21, v34, v18 dst_sel:DWORD dst_unused:UNUSED_PAD src0_sel:DWORD src1_sel:BYTE_3
	v_lshlrev_b32_e32 v10, 20, v10
	v_lshl_add_u32 v20, v20, 23, 0x3c000000
	v_and_b32_e32 v21, 0x80000000, v21
	v_or3_b32 v61, v10, v21, v20
.LBB346_441:                            ;   in Loop: Header=BB346_289 Depth=1
	s_or_b32 exec_lo, exec_lo, s16
.LBB346_442:                            ;   in Loop: Header=BB346_289 Depth=1
	s_or_b32 exec_lo, exec_lo, s15
.LBB346_443:                            ;   in Loop: Header=BB346_289 Depth=1
	s_or_b32 exec_lo, exec_lo, s14
	v_mov_b32_e32 v10, v19
	v_cmp_ne_u16_sdwa s1, v19, v11 src0_sel:BYTE_0 src1_sel:DWORD
	v_mov_b32_e32 v20, 0
	v_mov_b32_e32 v62, 0
	s_and_saveexec_b32 s14, s1
	s_cbranch_execz .LBB346_449
; %bb.444:                              ;   in Loop: Header=BB346_289 Depth=1
	v_cmp_ne_u16_sdwa s1, v19, v30 src0_sel:BYTE_0 src1_sel:DWORD
	v_bfrev_b32_e32 v62, 1
	s_and_saveexec_b32 s15, s1
	s_cbranch_execz .LBB346_448
; %bb.445:                              ;   in Loop: Header=BB346_289 Depth=1
	v_and_b32_e32 v21, 0x7f, v19
	v_mov_b32_e32 v62, 0x7f800001
	s_mov_b32 s16, exec_lo
	v_cmpx_ne_u32_e32 0x7f, v21
	s_cbranch_execz .LBB346_447
; %bb.446:                              ;   in Loop: Header=BB346_289 Depth=1
	v_and_b32_e32 v62, 7, v19
	v_lshrrev_b32_e32 v63, 3, v21
	v_cmp_gt_u32_e64 s1, 8, v21
	v_ffbh_u32_e32 v62, v62
	v_min_u32_e32 v62, 32, v62
	v_subrev_nc_u32_e32 v64, 28, v62
	v_sub_nc_u32_e32 v62, 29, v62
	v_cndmask_b32_e64 v21, v63, v62, s1
	v_cndmask_b32_e64 v62, 0, v64, s1
	v_lshl_add_u32 v21, v21, 23, 0x3c000000
	v_lshlrev_b64 v[62:63], v62, v[10:11]
	v_lshlrev_b32_e32 v63, 24, v10
	v_lshlrev_b32_e32 v62, 20, v62
	v_and_b32_e32 v63, 0x80000000, v63
	v_and_b32_e32 v62, 0x700000, v62
	v_or3_b32 v62, v62, v63, v21
.LBB346_447:                            ;   in Loop: Header=BB346_289 Depth=1
	s_or_b32 exec_lo, exec_lo, s16
.LBB346_448:                            ;   in Loop: Header=BB346_289 Depth=1
	s_or_b32 exec_lo, exec_lo, s15
.LBB346_449:                            ;   in Loop: Header=BB346_289 Depth=1
	s_or_b32 exec_lo, exec_lo, s14
	v_cmp_ne_u16_sdwa s1, v10, v11 src0_sel:BYTE_1 src1_sel:DWORD
	s_and_saveexec_b32 s14, s1
	s_cbranch_execz .LBB346_457
; %bb.450:                              ;   in Loop: Header=BB346_289 Depth=1
	v_cmp_ne_u16_sdwa s1, v10, v30 src0_sel:BYTE_1 src1_sel:DWORD
	v_bfrev_b32_e32 v20, 1
	s_and_saveexec_b32 s15, s1
	s_cbranch_execz .LBB346_456
; %bb.451:                              ;   in Loop: Header=BB346_289 Depth=1
	v_and_b32_sdwa v21, v31, v10 dst_sel:DWORD dst_unused:UNUSED_PAD src0_sel:DWORD src1_sel:BYTE_1
	v_mov_b32_e32 v20, 0x7f800001
	s_mov_b32 s16, exec_lo
	v_and_b32_e32 v64, 0x7f, v21
	v_cmpx_ne_u32_e32 0x7f, v64
	s_cbranch_execz .LBB346_455
; %bb.452:                              ;   in Loop: Header=BB346_289 Depth=1
	v_and_b32_e32 v20, 7, v21
	v_mov_b32_e32 v21, v11
	v_lshrrev_b32_e32 v63, 3, v64
	s_mov_b32 s17, exec_lo
	v_cmpx_gt_u32_e32 8, v64
; %bb.453:                              ;   in Loop: Header=BB346_289 Depth=1
	v_ffbh_u32_e32 v63, v20
	v_min_u32_e32 v63, 32, v63
	v_subrev_nc_u32_e32 v64, 28, v63
	v_sub_nc_u32_e32 v63, 29, v63
	v_lshlrev_b64 v[20:21], v64, v[20:21]
	v_and_b32_e32 v20, 7, v20
; %bb.454:                              ;   in Loop: Header=BB346_289 Depth=1
	s_or_b32 exec_lo, exec_lo, s17
	v_lshlrev_b32_e32 v10, 16, v10
	v_lshlrev_b32_e32 v20, 20, v20
	v_lshl_add_u32 v21, v63, 23, 0x3c000000
	v_and_b32_e32 v10, 0x80000000, v10
	v_or3_b32 v20, v20, v10, v21
.LBB346_455:                            ;   in Loop: Header=BB346_289 Depth=1
	s_or_b32 exec_lo, exec_lo, s16
.LBB346_456:                            ;   in Loop: Header=BB346_289 Depth=1
	s_or_b32 exec_lo, exec_lo, s15
.LBB346_457:                            ;   in Loop: Header=BB346_289 Depth=1
	s_or_b32 exec_lo, exec_lo, s14
	v_and_b32_sdwa v10, v19, v32 dst_sel:DWORD dst_unused:UNUSED_PAD src0_sel:WORD_1 src1_sel:DWORD
	v_mov_b32_e32 v63, 0
	v_mov_b32_e32 v64, 0
	s_mov_b32 s14, exec_lo
	v_cmpx_ne_u16_e32 0, v10
	s_cbranch_execz .LBB346_465
; %bb.458:                              ;   in Loop: Header=BB346_289 Depth=1
	v_bfrev_b32_e32 v64, 1
	s_mov_b32 s15, exec_lo
	v_cmpx_ne_u16_e32 0x80, v10
	s_cbranch_execz .LBB346_464
; %bb.459:                              ;   in Loop: Header=BB346_289 Depth=1
	v_bfe_u32 v65, v19, 16, 7
	v_mov_b32_e32 v64, 0x7f800001
	s_mov_b32 s16, exec_lo
	v_cmpx_ne_u32_e32 0x7f, v65
	s_cbranch_execz .LBB346_463
; %bb.460:                              ;   in Loop: Header=BB346_289 Depth=1
	v_and_b32_sdwa v10, v19, v33 dst_sel:DWORD dst_unused:UNUSED_PAD src0_sel:WORD_1 src1_sel:DWORD
	v_lshrrev_b32_e32 v21, 3, v65
	s_mov_b32 s17, exec_lo
	v_cmpx_gt_u32_e32 8, v65
; %bb.461:                              ;   in Loop: Header=BB346_289 Depth=1
	v_ffbh_u32_e32 v21, v10
	v_min_u32_e32 v21, 32, v21
	v_subrev_nc_u32_e32 v64, 28, v21
	v_sub_nc_u32_e32 v21, 29, v21
	v_lshlrev_b64 v[64:65], v64, v[10:11]
	v_and_b32_e32 v10, 7, v64
; %bb.462:                              ;   in Loop: Header=BB346_289 Depth=1
	s_or_b32 exec_lo, exec_lo, s17
	v_lshlrev_b32_sdwa v64, v34, v19 dst_sel:DWORD dst_unused:UNUSED_PAD src0_sel:DWORD src1_sel:WORD_1
	v_lshlrev_b32_e32 v10, 20, v10
	v_lshl_add_u32 v21, v21, 23, 0x3c000000
	v_and_b32_e32 v64, 0x80000000, v64
	v_or3_b32 v64, v10, v64, v21
.LBB346_463:                            ;   in Loop: Header=BB346_289 Depth=1
	s_or_b32 exec_lo, exec_lo, s16
.LBB346_464:                            ;   in Loop: Header=BB346_289 Depth=1
	s_or_b32 exec_lo, exec_lo, s15
.LBB346_465:                            ;   in Loop: Header=BB346_289 Depth=1
	s_or_b32 exec_lo, exec_lo, s14
	s_mov_b32 s14, exec_lo
	v_cmpx_lt_u64_e64 s[4:5], v[18:19]
	s_cbranch_execz .LBB346_473
; %bb.466:                              ;   in Loop: Header=BB346_289 Depth=1
	v_cmp_ne_u32_sdwa s1, v19, v30 src0_sel:BYTE_3 src1_sel:DWORD
	v_bfrev_b32_e32 v63, 1
	s_and_saveexec_b32 s15, s1
	s_cbranch_execz .LBB346_472
; %bb.467:                              ;   in Loop: Header=BB346_289 Depth=1
	v_bfe_u32 v21, v19, 24, 7
	v_mov_b32_e32 v63, 0x7f800001
	s_mov_b32 s16, exec_lo
	v_cmpx_ne_u32_e32 0x7f, v21
	s_cbranch_execz .LBB346_471
; %bb.468:                              ;   in Loop: Header=BB346_289 Depth=1
	v_and_b32_sdwa v10, v19, v33 dst_sel:DWORD dst_unused:UNUSED_PAD src0_sel:BYTE_3 src1_sel:DWORD
	v_lshrrev_b32_e32 v18, 3, v21
	s_mov_b32 s17, exec_lo
	v_cmpx_gt_u32_e32 8, v21
; %bb.469:                              ;   in Loop: Header=BB346_289 Depth=1
	v_ffbh_u32_e32 v18, v10
	v_min_u32_e32 v18, 32, v18
	v_subrev_nc_u32_e32 v21, 28, v18
	v_sub_nc_u32_e32 v18, 29, v18
	v_lshlrev_b64 v[65:66], v21, v[10:11]
	v_and_b32_e32 v10, 7, v65
; %bb.470:                              ;   in Loop: Header=BB346_289 Depth=1
	s_or_b32 exec_lo, exec_lo, s17
	v_lshlrev_b32_sdwa v19, v34, v19 dst_sel:DWORD dst_unused:UNUSED_PAD src0_sel:DWORD src1_sel:BYTE_3
	v_lshlrev_b32_e32 v10, 20, v10
	v_lshl_add_u32 v18, v18, 23, 0x3c000000
	v_and_b32_e32 v19, 0x80000000, v19
	v_or3_b32 v63, v10, v19, v18
.LBB346_471:                            ;   in Loop: Header=BB346_289 Depth=1
	s_or_b32 exec_lo, exec_lo, s16
.LBB346_472:                            ;   in Loop: Header=BB346_289 Depth=1
	s_or_b32 exec_lo, exec_lo, s15
.LBB346_473:                            ;   in Loop: Header=BB346_289 Depth=1
	s_or_b32 exec_lo, exec_lo, s14
	v_mul_f32_e32 v10, s9, v20
	v_mul_f32_e32 v18, s9, v62
	;; [unrolled: 1-line block ×5, first 2 shown]
	v_bfe_u32 v20, v10, 16, 1
	v_or_b32_e32 v21, 0x400000, v10
	v_bfe_u32 v60, v18, 16, 1
	v_cmp_u_f32_e64 s1, v10, v10
	v_or_b32_e32 v62, 0x400000, v18
	v_add3_u32 v20, v20, v10, 0x7fff
	v_bfe_u32 v65, v19, 16, 1
	v_add3_u32 v60, v60, v18, 0x7fff
	v_or_b32_e32 v66, 0x400000, v19
	v_bfe_u32 v67, v61, 16, 1
	v_cndmask_b32_e64 v10, v20, v21, s1
	v_cmp_u_f32_e64 s1, v18, v18
	v_add3_u32 v65, v65, v19, 0x7fff
	v_lshrrev_b32_e32 v20, 16, v10
	v_cndmask_b32_e64 v18, v60, v62, s1
	v_cmp_u_f32_e64 s1, v19, v19
	v_mul_f32_e32 v10, s9, v59
	v_add3_u32 v59, v67, v61, 0x7fff
	v_or_b32_e32 v62, 0x400000, v61
	v_lshrrev_b32_e32 v21, 16, v18
	v_cndmask_b32_e64 v19, v65, v66, s1
	v_bfe_u32 v18, v10, 16, 1
	v_cmp_u_f32_e64 s1, v61, v61
	v_or_b32_e32 v61, 0x400000, v10
	v_lshrrev_b32_e32 v60, 16, v19
	v_add3_u32 v18, v18, v10, 0x7fff
	v_cndmask_b32_e64 v19, v59, v62, s1
	v_mul_f32_e32 v59, s9, v64
	v_mul_f32_e32 v62, s9, v63
	v_bfe_u32 v63, v58, 16, 1
	v_cmp_u_f32_e64 s1, v10, v10
	v_bfe_u32 v64, v59, 16, 1
	v_or_b32_e32 v65, 0x400000, v59
	v_or_b32_e32 v66, 0x400000, v62
	v_cndmask_b32_e64 v10, v18, v61, s1
	v_add3_u32 v61, v63, v58, 0x7fff
	v_or_b32_e32 v63, 0x400000, v58
	v_cmp_u_f32_e64 s1, v58, v58
	v_bfe_u32 v18, v62, 16, 1
	v_add3_u32 v64, v64, v59, 0x7fff
	v_cndmask_b32_e64 v58, v61, v63, s1
	v_cmp_u_f32_e64 s1, v59, v59
	v_add3_u32 v18, v18, v62, 0x7fff
	v_lshrrev_b32_e32 v61, 16, v19
	v_lshrrev_b32_e32 v63, 16, v10
	v_cndmask_b32_e64 v59, v64, v65, s1
	v_cmp_u_f32_e64 s1, v62, v62
	v_lshrrev_b32_e32 v62, 16, v58
	v_lshrrev_b32_e32 v58, 16, v59
	v_cndmask_b32_e64 v18, v18, v66, s1
	v_lshrrev_b32_e32 v59, 16, v18
	s_and_saveexec_b32 s14, vcc_lo
	s_cbranch_execz .LBB346_475
; %bb.474:                              ;   in Loop: Header=BB346_289 Depth=1
	v_cmp_gt_i32_e64 s1, s27, v43
	v_cndmask_b32_e64 v62, 0, v62, s1
	v_cmp_gt_i32_e64 s1, s27, v49
	v_cndmask_b32_e64 v63, 0, v63, s1
	;; [unrolled: 2-line block ×8, first 2 shown]
.LBB346_475:                            ;   in Loop: Header=BB346_289 Depth=1
	s_or_b32 exec_lo, exec_lo, s14
	global_load_dwordx2 v[16:17], v[16:17], off offset:768
	v_mov_b32_e32 v65, 0
	v_mov_b32_e32 v64, 0
	s_waitcnt vmcnt(0)
	v_cmp_ne_u16_sdwa s1, v16, v11 src0_sel:BYTE_0 src1_sel:DWORD
	s_and_saveexec_b32 s14, s1
	s_cbranch_execz .LBB346_481
; %bb.476:                              ;   in Loop: Header=BB346_289 Depth=1
	v_cmp_ne_u16_sdwa s1, v16, v30 src0_sel:BYTE_0 src1_sel:DWORD
	v_bfrev_b32_e32 v64, 1
	s_and_saveexec_b32 s15, s1
	s_cbranch_execz .LBB346_480
; %bb.477:                              ;   in Loop: Header=BB346_289 Depth=1
	v_and_b32_e32 v10, 0x7f, v16
	v_mov_b32_e32 v64, 0x7f800001
	s_mov_b32 s16, exec_lo
	v_cmpx_ne_u32_e32 0x7f, v10
	s_cbranch_execz .LBB346_479
; %bb.478:                              ;   in Loop: Header=BB346_289 Depth=1
	v_and_b32_e32 v18, 7, v16
	v_lshrrev_b32_e32 v19, 3, v10
	v_cmp_gt_u32_e64 s1, 8, v10
	v_ffbh_u32_e32 v18, v18
	v_min_u32_e32 v18, 32, v18
	v_subrev_nc_u32_e32 v64, 28, v18
	v_sub_nc_u32_e32 v18, 29, v18
	v_cndmask_b32_e64 v10, v19, v18, s1
	v_cndmask_b32_e64 v18, 0, v64, s1
	v_lshl_add_u32 v10, v10, 23, 0x3c000000
	v_lshlrev_b64 v[18:19], v18, v[16:17]
	v_lshlrev_b32_e32 v19, 24, v16
	v_lshlrev_b32_e32 v18, 20, v18
	v_and_b32_e32 v19, 0x80000000, v19
	v_and_b32_e32 v18, 0x700000, v18
	v_or3_b32 v64, v18, v19, v10
.LBB346_479:                            ;   in Loop: Header=BB346_289 Depth=1
	s_or_b32 exec_lo, exec_lo, s16
.LBB346_480:                            ;   in Loop: Header=BB346_289 Depth=1
	s_or_b32 exec_lo, exec_lo, s15
.LBB346_481:                            ;   in Loop: Header=BB346_289 Depth=1
	s_or_b32 exec_lo, exec_lo, s14
	v_cmp_ne_u16_sdwa s1, v16, v11 src0_sel:BYTE_1 src1_sel:DWORD
	s_and_saveexec_b32 s14, s1
	s_cbranch_execz .LBB346_489
; %bb.482:                              ;   in Loop: Header=BB346_289 Depth=1
	v_cmp_ne_u16_sdwa s1, v16, v30 src0_sel:BYTE_1 src1_sel:DWORD
	v_bfrev_b32_e32 v65, 1
	s_and_saveexec_b32 s15, s1
	s_cbranch_execz .LBB346_488
; %bb.483:                              ;   in Loop: Header=BB346_289 Depth=1
	v_and_b32_sdwa v10, v31, v16 dst_sel:DWORD dst_unused:UNUSED_PAD src0_sel:DWORD src1_sel:BYTE_1
	v_mov_b32_e32 v65, 0x7f800001
	s_mov_b32 s16, exec_lo
	v_and_b32_e32 v19, 0x7f, v10
	v_cmpx_ne_u32_e32 0x7f, v19
	s_cbranch_execz .LBB346_487
; %bb.484:                              ;   in Loop: Header=BB346_289 Depth=1
	v_and_b32_e32 v10, 7, v10
	v_lshrrev_b32_e32 v18, 3, v19
	s_mov_b32 s17, exec_lo
	v_cmpx_gt_u32_e32 8, v19
; %bb.485:                              ;   in Loop: Header=BB346_289 Depth=1
	v_ffbh_u32_e32 v18, v10
	v_min_u32_e32 v18, 32, v18
	v_subrev_nc_u32_e32 v19, 28, v18
	v_sub_nc_u32_e32 v18, 29, v18
	v_lshlrev_b64 v[65:66], v19, v[10:11]
	v_and_b32_e32 v10, 7, v65
; %bb.486:                              ;   in Loop: Header=BB346_289 Depth=1
	s_or_b32 exec_lo, exec_lo, s17
	v_lshlrev_b32_e32 v19, 16, v16
	v_lshlrev_b32_e32 v10, 20, v10
	v_lshl_add_u32 v18, v18, 23, 0x3c000000
	v_and_b32_e32 v19, 0x80000000, v19
	v_or3_b32 v65, v10, v19, v18
.LBB346_487:                            ;   in Loop: Header=BB346_289 Depth=1
	s_or_b32 exec_lo, exec_lo, s16
.LBB346_488:                            ;   in Loop: Header=BB346_289 Depth=1
	s_or_b32 exec_lo, exec_lo, s15
.LBB346_489:                            ;   in Loop: Header=BB346_289 Depth=1
	s_or_b32 exec_lo, exec_lo, s14
	v_and_b32_sdwa v10, v16, v32 dst_sel:DWORD dst_unused:UNUSED_PAD src0_sel:WORD_1 src1_sel:DWORD
	v_mov_b32_e32 v67, 0
	v_mov_b32_e32 v66, 0
	s_mov_b32 s14, exec_lo
	v_cmpx_ne_u16_e32 0, v10
	s_cbranch_execz .LBB346_497
; %bb.490:                              ;   in Loop: Header=BB346_289 Depth=1
	v_bfrev_b32_e32 v66, 1
	s_mov_b32 s15, exec_lo
	v_cmpx_ne_u16_e32 0x80, v10
	s_cbranch_execz .LBB346_496
; %bb.491:                              ;   in Loop: Header=BB346_289 Depth=1
	v_bfe_u32 v19, v16, 16, 7
	v_mov_b32_e32 v66, 0x7f800001
	s_mov_b32 s16, exec_lo
	v_cmpx_ne_u32_e32 0x7f, v19
	s_cbranch_execz .LBB346_495
; %bb.492:                              ;   in Loop: Header=BB346_289 Depth=1
	v_and_b32_sdwa v10, v16, v33 dst_sel:DWORD dst_unused:UNUSED_PAD src0_sel:WORD_1 src1_sel:DWORD
	v_lshrrev_b32_e32 v18, 3, v19
	s_mov_b32 s17, exec_lo
	v_cmpx_gt_u32_e32 8, v19
; %bb.493:                              ;   in Loop: Header=BB346_289 Depth=1
	v_ffbh_u32_e32 v18, v10
	v_min_u32_e32 v18, 32, v18
	v_subrev_nc_u32_e32 v19, 28, v18
	v_sub_nc_u32_e32 v18, 29, v18
	v_lshlrev_b64 v[68:69], v19, v[10:11]
	v_and_b32_e32 v10, 7, v68
; %bb.494:                              ;   in Loop: Header=BB346_289 Depth=1
	s_or_b32 exec_lo, exec_lo, s17
	v_lshlrev_b32_sdwa v19, v34, v16 dst_sel:DWORD dst_unused:UNUSED_PAD src0_sel:DWORD src1_sel:WORD_1
	v_lshlrev_b32_e32 v10, 20, v10
	v_lshl_add_u32 v18, v18, 23, 0x3c000000
	v_and_b32_e32 v19, 0x80000000, v19
	v_or3_b32 v66, v10, v19, v18
.LBB346_495:                            ;   in Loop: Header=BB346_289 Depth=1
	s_or_b32 exec_lo, exec_lo, s16
.LBB346_496:                            ;   in Loop: Header=BB346_289 Depth=1
	s_or_b32 exec_lo, exec_lo, s15
.LBB346_497:                            ;   in Loop: Header=BB346_289 Depth=1
	s_or_b32 exec_lo, exec_lo, s14
	s_mov_b32 s14, exec_lo
	v_cmpx_lt_u32_e32 0xffffff, v16
	s_cbranch_execz .LBB346_505
; %bb.498:                              ;   in Loop: Header=BB346_289 Depth=1
	v_cmp_ne_u32_sdwa s1, v16, v30 src0_sel:BYTE_3 src1_sel:DWORD
	v_bfrev_b32_e32 v67, 1
	s_and_saveexec_b32 s15, s1
	s_cbranch_execz .LBB346_504
; %bb.499:                              ;   in Loop: Header=BB346_289 Depth=1
	v_bfe_u32 v19, v16, 24, 7
	v_mov_b32_e32 v67, 0x7f800001
	s_mov_b32 s16, exec_lo
	v_cmpx_ne_u32_e32 0x7f, v19
	s_cbranch_execz .LBB346_503
; %bb.500:                              ;   in Loop: Header=BB346_289 Depth=1
	v_and_b32_sdwa v10, v16, v33 dst_sel:DWORD dst_unused:UNUSED_PAD src0_sel:BYTE_3 src1_sel:DWORD
	v_lshrrev_b32_e32 v18, 3, v19
	s_mov_b32 s17, exec_lo
	v_cmpx_gt_u32_e32 8, v19
; %bb.501:                              ;   in Loop: Header=BB346_289 Depth=1
	v_ffbh_u32_e32 v18, v10
	v_min_u32_e32 v18, 32, v18
	v_subrev_nc_u32_e32 v19, 28, v18
	v_sub_nc_u32_e32 v18, 29, v18
	v_lshlrev_b64 v[67:68], v19, v[10:11]
	v_and_b32_e32 v10, 7, v67
; %bb.502:                              ;   in Loop: Header=BB346_289 Depth=1
	s_or_b32 exec_lo, exec_lo, s17
	v_lshlrev_b32_sdwa v19, v34, v16 dst_sel:DWORD dst_unused:UNUSED_PAD src0_sel:DWORD src1_sel:BYTE_3
	v_lshlrev_b32_e32 v10, 20, v10
	v_lshl_add_u32 v18, v18, 23, 0x3c000000
	v_and_b32_e32 v19, 0x80000000, v19
	v_or3_b32 v67, v10, v19, v18
.LBB346_503:                            ;   in Loop: Header=BB346_289 Depth=1
	s_or_b32 exec_lo, exec_lo, s16
.LBB346_504:                            ;   in Loop: Header=BB346_289 Depth=1
	s_or_b32 exec_lo, exec_lo, s15
.LBB346_505:                            ;   in Loop: Header=BB346_289 Depth=1
	s_or_b32 exec_lo, exec_lo, s14
	v_mov_b32_e32 v10, v17
	v_cmp_ne_u16_sdwa s1, v17, v11 src0_sel:BYTE_0 src1_sel:DWORD
	v_mov_b32_e32 v18, 0
	v_mov_b32_e32 v68, 0
	s_and_saveexec_b32 s14, s1
	s_cbranch_execz .LBB346_511
; %bb.506:                              ;   in Loop: Header=BB346_289 Depth=1
	v_cmp_ne_u16_sdwa s1, v17, v30 src0_sel:BYTE_0 src1_sel:DWORD
	v_bfrev_b32_e32 v68, 1
	s_and_saveexec_b32 s15, s1
	s_cbranch_execz .LBB346_510
; %bb.507:                              ;   in Loop: Header=BB346_289 Depth=1
	v_and_b32_e32 v19, 0x7f, v17
	v_mov_b32_e32 v68, 0x7f800001
	s_mov_b32 s16, exec_lo
	v_cmpx_ne_u32_e32 0x7f, v19
	s_cbranch_execz .LBB346_509
; %bb.508:                              ;   in Loop: Header=BB346_289 Depth=1
	v_and_b32_e32 v68, 7, v17
	v_lshrrev_b32_e32 v69, 3, v19
	v_cmp_gt_u32_e64 s1, 8, v19
	v_ffbh_u32_e32 v68, v68
	v_min_u32_e32 v68, 32, v68
	v_subrev_nc_u32_e32 v70, 28, v68
	v_sub_nc_u32_e32 v68, 29, v68
	v_cndmask_b32_e64 v19, v69, v68, s1
	v_cndmask_b32_e64 v68, 0, v70, s1
	v_lshl_add_u32 v19, v19, 23, 0x3c000000
	v_lshlrev_b64 v[68:69], v68, v[10:11]
	v_lshlrev_b32_e32 v69, 24, v10
	v_lshlrev_b32_e32 v68, 20, v68
	v_and_b32_e32 v69, 0x80000000, v69
	v_and_b32_e32 v68, 0x700000, v68
	v_or3_b32 v68, v68, v69, v19
.LBB346_509:                            ;   in Loop: Header=BB346_289 Depth=1
	s_or_b32 exec_lo, exec_lo, s16
.LBB346_510:                            ;   in Loop: Header=BB346_289 Depth=1
	s_or_b32 exec_lo, exec_lo, s15
.LBB346_511:                            ;   in Loop: Header=BB346_289 Depth=1
	s_or_b32 exec_lo, exec_lo, s14
	v_cmp_ne_u16_sdwa s1, v10, v11 src0_sel:BYTE_1 src1_sel:DWORD
	s_and_saveexec_b32 s14, s1
	s_cbranch_execz .LBB346_519
; %bb.512:                              ;   in Loop: Header=BB346_289 Depth=1
	v_cmp_ne_u16_sdwa s1, v10, v30 src0_sel:BYTE_1 src1_sel:DWORD
	v_bfrev_b32_e32 v18, 1
	s_and_saveexec_b32 s15, s1
	s_cbranch_execz .LBB346_518
; %bb.513:                              ;   in Loop: Header=BB346_289 Depth=1
	v_and_b32_sdwa v19, v31, v10 dst_sel:DWORD dst_unused:UNUSED_PAD src0_sel:DWORD src1_sel:BYTE_1
	v_mov_b32_e32 v18, 0x7f800001
	s_mov_b32 s16, exec_lo
	v_and_b32_e32 v70, 0x7f, v19
	v_cmpx_ne_u32_e32 0x7f, v70
	s_cbranch_execz .LBB346_517
; %bb.514:                              ;   in Loop: Header=BB346_289 Depth=1
	v_and_b32_e32 v18, 7, v19
	v_mov_b32_e32 v19, v11
	v_lshrrev_b32_e32 v69, 3, v70
	s_mov_b32 s17, exec_lo
	v_cmpx_gt_u32_e32 8, v70
; %bb.515:                              ;   in Loop: Header=BB346_289 Depth=1
	v_ffbh_u32_e32 v69, v18
	v_min_u32_e32 v69, 32, v69
	v_subrev_nc_u32_e32 v70, 28, v69
	v_sub_nc_u32_e32 v69, 29, v69
	v_lshlrev_b64 v[18:19], v70, v[18:19]
	v_and_b32_e32 v18, 7, v18
; %bb.516:                              ;   in Loop: Header=BB346_289 Depth=1
	s_or_b32 exec_lo, exec_lo, s17
	v_lshlrev_b32_e32 v10, 16, v10
	v_lshlrev_b32_e32 v18, 20, v18
	v_lshl_add_u32 v19, v69, 23, 0x3c000000
	v_and_b32_e32 v10, 0x80000000, v10
	v_or3_b32 v18, v18, v10, v19
.LBB346_517:                            ;   in Loop: Header=BB346_289 Depth=1
	s_or_b32 exec_lo, exec_lo, s16
.LBB346_518:                            ;   in Loop: Header=BB346_289 Depth=1
	s_or_b32 exec_lo, exec_lo, s15
.LBB346_519:                            ;   in Loop: Header=BB346_289 Depth=1
	s_or_b32 exec_lo, exec_lo, s14
	v_and_b32_sdwa v10, v17, v32 dst_sel:DWORD dst_unused:UNUSED_PAD src0_sel:WORD_1 src1_sel:DWORD
	v_mov_b32_e32 v19, 0
	v_mov_b32_e32 v69, 0
	s_mov_b32 s14, exec_lo
	v_cmpx_ne_u16_e32 0, v10
	s_cbranch_execz .LBB346_527
; %bb.520:                              ;   in Loop: Header=BB346_289 Depth=1
	v_bfrev_b32_e32 v69, 1
	s_mov_b32 s15, exec_lo
	v_cmpx_ne_u16_e32 0x80, v10
	s_cbranch_execz .LBB346_526
; %bb.521:                              ;   in Loop: Header=BB346_289 Depth=1
	v_bfe_u32 v70, v17, 16, 7
	v_mov_b32_e32 v69, 0x7f800001
	s_mov_b32 s16, exec_lo
	v_cmpx_ne_u32_e32 0x7f, v70
	s_cbranch_execz .LBB346_525
; %bb.522:                              ;   in Loop: Header=BB346_289 Depth=1
	v_and_b32_sdwa v10, v17, v33 dst_sel:DWORD dst_unused:UNUSED_PAD src0_sel:WORD_1 src1_sel:DWORD
	v_lshrrev_b32_e32 v69, 3, v70
	s_mov_b32 s17, exec_lo
	v_cmpx_gt_u32_e32 8, v70
; %bb.523:                              ;   in Loop: Header=BB346_289 Depth=1
	v_ffbh_u32_e32 v69, v10
	v_min_u32_e32 v69, 32, v69
	v_subrev_nc_u32_e32 v70, 28, v69
	v_sub_nc_u32_e32 v69, 29, v69
	v_lshlrev_b64 v[70:71], v70, v[10:11]
	v_and_b32_e32 v10, 7, v70
; %bb.524:                              ;   in Loop: Header=BB346_289 Depth=1
	s_or_b32 exec_lo, exec_lo, s17
	v_lshlrev_b32_sdwa v70, v34, v17 dst_sel:DWORD dst_unused:UNUSED_PAD src0_sel:DWORD src1_sel:WORD_1
	v_lshlrev_b32_e32 v10, 20, v10
	v_lshl_add_u32 v69, v69, 23, 0x3c000000
	v_and_b32_e32 v70, 0x80000000, v70
	v_or3_b32 v69, v10, v70, v69
.LBB346_525:                            ;   in Loop: Header=BB346_289 Depth=1
	s_or_b32 exec_lo, exec_lo, s16
.LBB346_526:                            ;   in Loop: Header=BB346_289 Depth=1
	s_or_b32 exec_lo, exec_lo, s15
.LBB346_527:                            ;   in Loop: Header=BB346_289 Depth=1
	s_or_b32 exec_lo, exec_lo, s14
	s_mov_b32 s14, exec_lo
	v_cmpx_lt_u64_e64 s[4:5], v[16:17]
	s_cbranch_execz .LBB346_535
; %bb.528:                              ;   in Loop: Header=BB346_289 Depth=1
	v_cmp_ne_u32_sdwa s1, v17, v30 src0_sel:BYTE_3 src1_sel:DWORD
	v_bfrev_b32_e32 v19, 1
	s_and_saveexec_b32 s15, s1
	s_cbranch_execz .LBB346_534
; %bb.529:                              ;   in Loop: Header=BB346_289 Depth=1
	v_bfe_u32 v70, v17, 24, 7
	v_mov_b32_e32 v19, 0x7f800001
	s_mov_b32 s16, exec_lo
	v_cmpx_ne_u32_e32 0x7f, v70
	s_cbranch_execz .LBB346_533
; %bb.530:                              ;   in Loop: Header=BB346_289 Depth=1
	v_and_b32_sdwa v10, v17, v33 dst_sel:DWORD dst_unused:UNUSED_PAD src0_sel:BYTE_3 src1_sel:DWORD
	v_lshrrev_b32_e32 v16, 3, v70
	s_mov_b32 s17, exec_lo
	v_cmpx_gt_u32_e32 8, v70
; %bb.531:                              ;   in Loop: Header=BB346_289 Depth=1
	v_ffbh_u32_e32 v16, v10
	v_min_u32_e32 v16, 32, v16
	v_subrev_nc_u32_e32 v19, 28, v16
	v_sub_nc_u32_e32 v16, 29, v16
	v_lshlrev_b64 v[70:71], v19, v[10:11]
	v_and_b32_e32 v10, 7, v70
; %bb.532:                              ;   in Loop: Header=BB346_289 Depth=1
	s_or_b32 exec_lo, exec_lo, s17
	v_lshlrev_b32_sdwa v17, v34, v17 dst_sel:DWORD dst_unused:UNUSED_PAD src0_sel:DWORD src1_sel:BYTE_3
	v_lshlrev_b32_e32 v10, 20, v10
	v_lshl_add_u32 v16, v16, 23, 0x3c000000
	v_and_b32_e32 v17, 0x80000000, v17
	v_or3_b32 v19, v10, v17, v16
.LBB346_533:                            ;   in Loop: Header=BB346_289 Depth=1
	s_or_b32 exec_lo, exec_lo, s16
.LBB346_534:                            ;   in Loop: Header=BB346_289 Depth=1
	s_or_b32 exec_lo, exec_lo, s15
.LBB346_535:                            ;   in Loop: Header=BB346_289 Depth=1
	s_or_b32 exec_lo, exec_lo, s14
	v_mul_f32_e32 v10, s9, v18
	v_mul_f32_e32 v16, s9, v68
	;; [unrolled: 1-line block ×5, first 2 shown]
	v_bfe_u32 v66, v10, 16, 1
	v_or_b32_e32 v67, 0x400000, v10
	v_bfe_u32 v68, v16, 16, 1
	v_cmp_u_f32_e64 s1, v10, v10
	v_or_b32_e32 v70, 0x400000, v16
	v_add3_u32 v66, v66, v10, 0x7fff
	v_bfe_u32 v71, v17, 16, 1
	v_add3_u32 v68, v68, v16, 0x7fff
	v_or_b32_e32 v72, 0x400000, v17
	v_bfe_u32 v73, v18, 16, 1
	v_cndmask_b32_e64 v10, v66, v67, s1
	v_cmp_u_f32_e64 s1, v16, v16
	v_add3_u32 v71, v71, v17, 0x7fff
	v_or_b32_e32 v67, 0x400000, v18
	v_add3_u32 v66, v73, v18, 0x7fff
	v_mul_f32_e32 v64, s9, v64
	v_cndmask_b32_e64 v16, v68, v70, s1
	v_cmp_u_f32_e64 s1, v17, v17
	v_bfe_u32 v68, v65, 16, 1
	v_mul_f32_e32 v19, s9, v19
	v_lshrrev_b32_e32 v10, 16, v10
	v_lshrrev_b32_e32 v16, 16, v16
	v_cndmask_b32_e64 v17, v71, v72, s1
	v_cmp_u_f32_e64 s1, v18, v18
	v_or_b32_e32 v72, 0x400000, v19
	v_lshrrev_b32_e32 v17, 16, v17
	v_cndmask_b32_e64 v18, v66, v67, s1
	v_mul_f32_e32 v66, s9, v69
	v_add3_u32 v67, v68, v65, 0x7fff
	v_or_b32_e32 v68, 0x400000, v65
	v_bfe_u32 v69, v64, 16, 1
	v_cmp_u_f32_e64 s1, v65, v65
	v_bfe_u32 v70, v66, 16, 1
	v_or_b32_e32 v71, 0x400000, v66
	v_cndmask_b32_e64 v65, v67, v68, s1
	v_add3_u32 v68, v69, v64, 0x7fff
	v_or_b32_e32 v69, 0x400000, v64
	v_cmp_u_f32_e64 s1, v64, v64
	v_bfe_u32 v67, v19, 16, 1
	v_add3_u32 v70, v70, v66, 0x7fff
	v_lshrrev_b32_e32 v64, 16, v18
	v_lshrrev_b32_e32 v65, 16, v65
	v_cndmask_b32_e64 v68, v68, v69, s1
	v_cmp_u_f32_e64 s1, v66, v66
	v_add3_u32 v67, v67, v19, 0x7fff
	v_lshrrev_b32_e32 v66, 16, v68
	v_cndmask_b32_e64 v69, v70, v71, s1
	v_cmp_u_f32_e64 s1, v19, v19
	v_lshrrev_b32_e32 v19, 16, v69
	v_cndmask_b32_e64 v67, v67, v72, s1
	v_lshrrev_b32_e32 v18, 16, v67
	s_and_saveexec_b32 s1, vcc_lo
	s_cbranch_execz .LBB346_288
; %bb.536:                              ;   in Loop: Header=BB346_289 Depth=1
	v_cmp_gt_i32_e32 vcc_lo, s27, v43
	v_cndmask_b32_e32 v66, 0, v66, vcc_lo
	v_cmp_gt_i32_e32 vcc_lo, s27, v49
	v_cndmask_b32_e32 v65, 0, v65, vcc_lo
	;; [unrolled: 2-line block ×8, first 2 shown]
	s_branch .LBB346_288
.LBB346_537:
	s_or_b32 exec_lo, exec_lo, s13
.LBB346_538:
	s_or_b32 exec_lo, exec_lo, s3
	v_lshl_add_u32 v2, v23, 2, 0x120
	v_and_b32_e32 v3, 0x3c0, v0
	s_mov_b32 s1, exec_lo
	s_waitcnt_vscnt null, 0x0
	s_barrier
	v_lshl_add_u32 v1, v22, 9, v2
	buffer_gl0_inv
	v_cmpx_eq_u32_e32 64, v3
	s_cbranch_execz .LBB346_540
; %bb.539:
	v_add_nc_u32_e32 v3, 0xfffffc00, v1
	v_add_nc_u32_e32 v4, 0xfffffc80, v1
	;; [unrolled: 1-line block ×4, first 2 shown]
	ds_write_b32 v3, v27
	ds_write_b32 v4, v26
	;; [unrolled: 1-line block ×4, first 2 shown]
.LBB346_540:
	s_or_b32 exec_lo, exec_lo, s1
	s_waitcnt lgkmcnt(0)
	s_barrier
	buffer_gl0_inv
	s_and_saveexec_b32 s1, s0
	s_cbranch_execz .LBB346_542
; %bb.541:
	ds_read2_b32 v[3:4], v1 offset1:32
	ds_read2_b32 v[5:6], v1 offset0:64 offset1:96
	s_waitcnt lgkmcnt(1)
	v_add_f32_e32 v27, v27, v3
	v_add_f32_e32 v26, v26, v4
	s_waitcnt lgkmcnt(0)
	v_add_f32_e32 v25, v25, v5
	v_add_f32_e32 v24, v24, v6
.LBB346_542:
	s_or_b32 exec_lo, exec_lo, s1
	v_and_b32_e32 v3, 0x3e0, v0
	s_mov_b32 s0, exec_lo
	s_barrier
	buffer_gl0_inv
	v_cmpx_eq_u32_e32 32, v3
	s_cbranch_execz .LBB346_544
; %bb.543:
	ds_write2_b32 v2, v27, v26 offset1:32
	ds_write2_b32 v2, v25, v24 offset0:64 offset1:96
.LBB346_544:
	s_or_b32 exec_lo, exec_lo, s0
	v_cmp_gt_u32_e32 vcc_lo, 32, v0
	s_waitcnt lgkmcnt(0)
	s_barrier
	buffer_gl0_inv
	s_and_saveexec_b32 s0, vcc_lo
	s_cbranch_execz .LBB346_546
; %bb.545:
	ds_read2_b32 v[2:3], v1 offset1:32
	ds_read2_b32 v[4:5], v1 offset0:64 offset1:96
	s_waitcnt lgkmcnt(1)
	v_add_f32_e32 v27, v27, v2
	v_add_f32_e32 v26, v26, v3
	s_waitcnt lgkmcnt(0)
	v_add_f32_e32 v25, v25, v4
	v_add_f32_e32 v24, v24, v5
.LBB346_546:
	s_or_b32 exec_lo, exec_lo, s0
	s_barrier
	buffer_gl0_inv
	s_and_saveexec_b32 s0, vcc_lo
	s_cbranch_execz .LBB346_548
; %bb.547:
	v_bfe_u32 v1, v27, 16, 1
	v_or_b32_e32 v2, 0x400000, v27
	v_bfe_u32 v3, v26, 16, 1
	v_cmp_u_f32_e32 vcc_lo, v27, v27
	s_lshl_b32 s0, s2, 7
	v_add3_u32 v1, v1, v27, 0x7fff
	s_ashr_i32 s1, s0, 31
	v_bfe_u32 v4, v25, 16, 1
	s_lshl_b64 s[0:1], s[0:1], 1
	v_add3_u32 v3, v3, v26, 0x7fff
	v_cndmask_b32_e32 v1, v1, v2, vcc_lo
	v_or_b32_e32 v5, 0x400000, v26
	v_cmp_u_f32_e32 vcc_lo, v26, v26
	s_mul_i32 s2, s7, s10
	s_add_u32 s4, s24, s0
	s_addc_u32 s5, s25, s1
	s_ashr_i32 s3, s2, 31
	v_bfe_u32 v2, v24, 16, 1
	s_lshl_b64 s[0:1], s[2:3], 1
	v_add3_u32 v4, v4, v25, 0x7fff
	v_or_b32_e32 v6, 0x400000, v25
	v_cndmask_b32_e32 v3, v3, v5, vcc_lo
	v_cmp_u_f32_e32 vcc_lo, v25, v25
	s_add_u32 s2, s4, s0
	s_addc_u32 s3, s5, s1
	s_lshl_b32 s0, s8, 7
	v_add3_u32 v2, v2, v24, 0x7fff
	s_ashr_i32 s1, s0, 31
	v_or_b32_e32 v7, 0x400000, v24
	v_cndmask_b32_e32 v4, v4, v6, vcc_lo
	v_cmp_u_f32_e32 vcc_lo, v24, v24
	v_lshlrev_b32_e32 v0, 1, v0
	s_lshl_b64 s[0:1], s[0:1], 1
	s_add_u32 s0, s2, s0
	s_addc_u32 s1, s3, s1
	v_cndmask_b32_e32 v2, v2, v7, vcc_lo
	global_store_short_d16_hi v0, v1, s[0:1]
	global_store_short_d16_hi v0, v3, s[0:1] offset:64
	global_store_short_d16_hi v0, v4, s[0:1] offset:128
	;; [unrolled: 1-line block ×3, first 2 shown]
.LBB346_548:
	s_endpgm
	.section	.rodata,"a",@progbits
	.p2align	6, 0x0
	.amdhsa_kernel _ZN4vllm25paged_attention_v2_kernelI14__hip_bfloat16hLi128ELi8ELi128ELNS_18Fp8KVCacheDataTypeE1ELb0ELi512EEEvPfS3_PT_PKS4_PKT0_SA_ifPKiSC_iPKfiiiSE_SE_iiiii
		.amdhsa_group_segment_fixed_size 288
		.amdhsa_private_segment_fixed_size 0
		.amdhsa_kernarg_size 400
		.amdhsa_user_sgpr_count 6
		.amdhsa_user_sgpr_private_segment_buffer 1
		.amdhsa_user_sgpr_dispatch_ptr 0
		.amdhsa_user_sgpr_queue_ptr 0
		.amdhsa_user_sgpr_kernarg_segment_ptr 1
		.amdhsa_user_sgpr_dispatch_id 0
		.amdhsa_user_sgpr_flat_scratch_init 0
		.amdhsa_user_sgpr_private_segment_size 0
		.amdhsa_wavefront_size32 1
		.amdhsa_uses_dynamic_stack 0
		.amdhsa_system_sgpr_private_segment_wavefront_offset 0
		.amdhsa_system_sgpr_workgroup_id_x 1
		.amdhsa_system_sgpr_workgroup_id_y 1
		.amdhsa_system_sgpr_workgroup_id_z 1
		.amdhsa_system_sgpr_workgroup_info 0
		.amdhsa_system_vgpr_workitem_id 0
		.amdhsa_next_free_vgpr 108
		.amdhsa_next_free_sgpr 43
		.amdhsa_reserve_vcc 1
		.amdhsa_reserve_flat_scratch 0
		.amdhsa_float_round_mode_32 0
		.amdhsa_float_round_mode_16_64 0
		.amdhsa_float_denorm_mode_32 3
		.amdhsa_float_denorm_mode_16_64 3
		.amdhsa_dx10_clamp 1
		.amdhsa_ieee_mode 1
		.amdhsa_fp16_overflow 0
		.amdhsa_workgroup_processor_mode 1
		.amdhsa_memory_ordered 1
		.amdhsa_forward_progress 1
		.amdhsa_shared_vgpr_count 0
		.amdhsa_exception_fp_ieee_invalid_op 0
		.amdhsa_exception_fp_denorm_src 0
		.amdhsa_exception_fp_ieee_div_zero 0
		.amdhsa_exception_fp_ieee_overflow 0
		.amdhsa_exception_fp_ieee_underflow 0
		.amdhsa_exception_fp_ieee_inexact 0
		.amdhsa_exception_int_div_zero 0
	.end_amdhsa_kernel
	.section	.text._ZN4vllm25paged_attention_v2_kernelI14__hip_bfloat16hLi128ELi8ELi128ELNS_18Fp8KVCacheDataTypeE1ELb0ELi512EEEvPfS3_PT_PKS4_PKT0_SA_ifPKiSC_iPKfiiiSE_SE_iiiii,"axG",@progbits,_ZN4vllm25paged_attention_v2_kernelI14__hip_bfloat16hLi128ELi8ELi128ELNS_18Fp8KVCacheDataTypeE1ELb0ELi512EEEvPfS3_PT_PKS4_PKT0_SA_ifPKiSC_iPKfiiiSE_SE_iiiii,comdat
.Lfunc_end346:
	.size	_ZN4vllm25paged_attention_v2_kernelI14__hip_bfloat16hLi128ELi8ELi128ELNS_18Fp8KVCacheDataTypeE1ELb0ELi512EEEvPfS3_PT_PKS4_PKT0_SA_ifPKiSC_iPKfiiiSE_SE_iiiii, .Lfunc_end346-_ZN4vllm25paged_attention_v2_kernelI14__hip_bfloat16hLi128ELi8ELi128ELNS_18Fp8KVCacheDataTypeE1ELb0ELi512EEEvPfS3_PT_PKS4_PKT0_SA_ifPKiSC_iPKfiiiSE_SE_iiiii
                                        ; -- End function
	.set _ZN4vllm25paged_attention_v2_kernelI14__hip_bfloat16hLi128ELi8ELi128ELNS_18Fp8KVCacheDataTypeE1ELb0ELi512EEEvPfS3_PT_PKS4_PKT0_SA_ifPKiSC_iPKfiiiSE_SE_iiiii.num_vgpr, 108
	.set _ZN4vllm25paged_attention_v2_kernelI14__hip_bfloat16hLi128ELi8ELi128ELNS_18Fp8KVCacheDataTypeE1ELb0ELi512EEEvPfS3_PT_PKS4_PKT0_SA_ifPKiSC_iPKfiiiSE_SE_iiiii.num_agpr, 0
	.set _ZN4vllm25paged_attention_v2_kernelI14__hip_bfloat16hLi128ELi8ELi128ELNS_18Fp8KVCacheDataTypeE1ELb0ELi512EEEvPfS3_PT_PKS4_PKT0_SA_ifPKiSC_iPKfiiiSE_SE_iiiii.numbered_sgpr, 43
	.set _ZN4vllm25paged_attention_v2_kernelI14__hip_bfloat16hLi128ELi8ELi128ELNS_18Fp8KVCacheDataTypeE1ELb0ELi512EEEvPfS3_PT_PKS4_PKT0_SA_ifPKiSC_iPKfiiiSE_SE_iiiii.num_named_barrier, 0
	.set _ZN4vllm25paged_attention_v2_kernelI14__hip_bfloat16hLi128ELi8ELi128ELNS_18Fp8KVCacheDataTypeE1ELb0ELi512EEEvPfS3_PT_PKS4_PKT0_SA_ifPKiSC_iPKfiiiSE_SE_iiiii.private_seg_size, 0
	.set _ZN4vllm25paged_attention_v2_kernelI14__hip_bfloat16hLi128ELi8ELi128ELNS_18Fp8KVCacheDataTypeE1ELb0ELi512EEEvPfS3_PT_PKS4_PKT0_SA_ifPKiSC_iPKfiiiSE_SE_iiiii.uses_vcc, 1
	.set _ZN4vllm25paged_attention_v2_kernelI14__hip_bfloat16hLi128ELi8ELi128ELNS_18Fp8KVCacheDataTypeE1ELb0ELi512EEEvPfS3_PT_PKS4_PKT0_SA_ifPKiSC_iPKfiiiSE_SE_iiiii.uses_flat_scratch, 0
	.set _ZN4vllm25paged_attention_v2_kernelI14__hip_bfloat16hLi128ELi8ELi128ELNS_18Fp8KVCacheDataTypeE1ELb0ELi512EEEvPfS3_PT_PKS4_PKT0_SA_ifPKiSC_iPKfiiiSE_SE_iiiii.has_dyn_sized_stack, 0
	.set _ZN4vllm25paged_attention_v2_kernelI14__hip_bfloat16hLi128ELi8ELi128ELNS_18Fp8KVCacheDataTypeE1ELb0ELi512EEEvPfS3_PT_PKS4_PKT0_SA_ifPKiSC_iPKfiiiSE_SE_iiiii.has_recursion, 0
	.set _ZN4vllm25paged_attention_v2_kernelI14__hip_bfloat16hLi128ELi8ELi128ELNS_18Fp8KVCacheDataTypeE1ELb0ELi512EEEvPfS3_PT_PKS4_PKT0_SA_ifPKiSC_iPKfiiiSE_SE_iiiii.has_indirect_call, 0
	.section	.AMDGPU.csdata,"",@progbits
; Kernel info:
; codeLenInByte = 21100
; TotalNumSgprs: 45
; NumVgprs: 108
; ScratchSize: 0
; MemoryBound: 0
; FloatMode: 240
; IeeeMode: 1
; LDSByteSize: 288 bytes/workgroup (compile time only)
; SGPRBlocks: 0
; VGPRBlocks: 13
; NumSGPRsForWavesPerEU: 45
; NumVGPRsForWavesPerEU: 108
; Occupancy: 9
; WaveLimiterHint : 1
; COMPUTE_PGM_RSRC2:SCRATCH_EN: 0
; COMPUTE_PGM_RSRC2:USER_SGPR: 6
; COMPUTE_PGM_RSRC2:TRAP_HANDLER: 0
; COMPUTE_PGM_RSRC2:TGID_X_EN: 1
; COMPUTE_PGM_RSRC2:TGID_Y_EN: 1
; COMPUTE_PGM_RSRC2:TGID_Z_EN: 1
; COMPUTE_PGM_RSRC2:TIDIG_COMP_CNT: 0
	.section	.text._ZN4vllm25paged_attention_v2_kernelI14__hip_bfloat16hLi192ELi8ELi128ELNS_18Fp8KVCacheDataTypeE1ELb0ELi512EEEvPfS3_PT_PKS4_PKT0_SA_ifPKiSC_iPKfiiiSE_SE_iiiii,"axG",@progbits,_ZN4vllm25paged_attention_v2_kernelI14__hip_bfloat16hLi192ELi8ELi128ELNS_18Fp8KVCacheDataTypeE1ELb0ELi512EEEvPfS3_PT_PKS4_PKT0_SA_ifPKiSC_iPKfiiiSE_SE_iiiii,comdat
	.protected	_ZN4vllm25paged_attention_v2_kernelI14__hip_bfloat16hLi192ELi8ELi128ELNS_18Fp8KVCacheDataTypeE1ELb0ELi512EEEvPfS3_PT_PKS4_PKT0_SA_ifPKiSC_iPKfiiiSE_SE_iiiii ; -- Begin function _ZN4vllm25paged_attention_v2_kernelI14__hip_bfloat16hLi192ELi8ELi128ELNS_18Fp8KVCacheDataTypeE1ELb0ELi512EEEvPfS3_PT_PKS4_PKT0_SA_ifPKiSC_iPKfiiiSE_SE_iiiii
	.globl	_ZN4vllm25paged_attention_v2_kernelI14__hip_bfloat16hLi192ELi8ELi128ELNS_18Fp8KVCacheDataTypeE1ELb0ELi512EEEvPfS3_PT_PKS4_PKT0_SA_ifPKiSC_iPKfiiiSE_SE_iiiii
	.p2align	8
	.type	_ZN4vllm25paged_attention_v2_kernelI14__hip_bfloat16hLi192ELi8ELi128ELNS_18Fp8KVCacheDataTypeE1ELb0ELi512EEEvPfS3_PT_PKS4_PKT0_SA_ifPKiSC_iPKfiiiSE_SE_iiiii,@function
_ZN4vllm25paged_attention_v2_kernelI14__hip_bfloat16hLi192ELi8ELi128ELNS_18Fp8KVCacheDataTypeE1ELb0ELi512EEEvPfS3_PT_PKS4_PKT0_SA_ifPKiSC_iPKfiiiSE_SE_iiiii: ; @_ZN4vllm25paged_attention_v2_kernelI14__hip_bfloat16hLi192ELi8ELi128ELNS_18Fp8KVCacheDataTypeE1ELb0ELi512EEEvPfS3_PT_PKS4_PKT0_SA_ifPKiSC_iPKfiiiSE_SE_iiiii
; %bb.0:
	s_load_dwordx2 s[0:1], s[4:5], 0x40
	s_mov_b32 s26, s7
	s_ashr_i32 s27, s7, 31
	s_lshl_b64 s[2:3], s[26:27], 2
	s_waitcnt lgkmcnt(0)
	s_add_u32 s0, s0, s2
	s_addc_u32 s1, s1, s3
	s_lshl_b32 s33, s8, 9
	s_load_dword s27, s[0:1], 0x0
	s_waitcnt lgkmcnt(0)
	s_cmp_ge_i32 s33, s27
	s_cbranch_scc1 .LBB347_800
; %bb.1:
	s_clause 0x1
	s_load_dword s9, s[4:5], 0x90
	s_load_dwordx2 s[36:37], s[4:5], 0x30
	s_waitcnt lgkmcnt(0)
	s_abs_i32 s3, s9
	s_abs_i32 s0, s36
	v_cvt_f32_u32_e32 v1, s0
	s_sub_i32 s2, 0, s0
	v_rcp_iflag_f32_e32 v1, v1
	v_mul_f32_e32 v1, 0x4f7ffffe, v1
	v_cvt_u32_f32_e32 v1, v1
	v_readfirstlane_b32 s1, v1
	s_mul_i32 s2, s2, s1
	s_mul_hi_u32 s2, s1, s2
	s_add_i32 s1, s1, s2
	s_xor_b32 s2, s9, s36
	s_mul_hi_u32 s1, s3, s1
	s_ashr_i32 s2, s2, 31
	s_mul_i32 s7, s1, s0
	s_mov_b32 s36, 0
	s_sub_i32 s3, s3, s7
	s_add_i32 s7, s1, 1
	s_sub_i32 s10, s3, s0
	s_cmp_ge_u32 s3, s0
	s_cselect_b32 s1, s7, s1
	s_cselect_b32 s3, s10, s3
	s_add_i32 s7, s1, 1
	s_cmp_ge_u32 s3, s0
	s_cselect_b32 s0, s7, s1
	s_abs_i32 s16, s6
	s_xor_b32 s0, s0, s2
	s_sub_i32 s10, s0, s2
	s_load_dwordx2 s[0:1], s[4:5], 0x50
	s_abs_i32 s2, s10
	v_cvt_f32_u32_e32 v1, s2
	s_sub_i32 s7, 0, s2
	v_rcp_iflag_f32_e32 v1, v1
	v_mul_f32_e32 v1, 0x4f7ffffe, v1
	v_cvt_u32_f32_e32 v1, v1
	v_readfirstlane_b32 s3, v1
	s_mul_i32 s7, s7, s3
	s_mul_hi_u32 s7, s3, s7
	s_add_i32 s3, s3, s7
	s_waitcnt lgkmcnt(0)
	s_cmp_eq_u64 s[0:1], 0
	s_mul_hi_u32 s3, s16, s3
	s_cbranch_scc1 .LBB347_3
; %bb.2:
	s_ashr_i32 s7, s6, 31
	s_lshl_b64 s[12:13], s[6:7], 2
	s_add_u32 s0, s0, s12
	s_addc_u32 s1, s1, s13
	s_load_dword s36, s[0:1], 0x0
.LBB347_3:
	s_load_dwordx4 s[12:15], s[4:5], 0x58
	v_and_b32_e32 v1, 3, v0
	s_ashr_i32 s0, s6, 31
	s_ashr_i32 s1, s10, 31
	s_mul_i32 s10, s6, 0xc0
	s_mov_b32 s7, exec_lo
	v_cmpx_gt_u32_e32 0x60, v0
	s_cbranch_execz .LBB347_5
; %bb.4:
	s_load_dwordx2 s[18:19], s[4:5], 0x18
	s_waitcnt lgkmcnt(0)
	s_mul_i32 s20, s12, s26
	v_lshlrev_b32_e32 v2, 2, v0
	s_ashr_i32 s21, s20, 31
	v_and_b32_e32 v3, 0x3fc, v0
	s_lshl_b64 s[20:21], s[20:21], 1
	v_mad_u32_u24 v3, 0x60, v1, v3
	s_add_u32 s12, s18, s20
	s_addc_u32 s15, s19, s21
	s_ashr_i32 s11, s10, 31
	s_lshl_b64 s[18:19], s[10:11], 1
	s_add_u32 s18, s12, s18
	s_addc_u32 s19, s15, s19
	global_load_dword v2, v2, s[18:19]
	s_waitcnt vmcnt(0)
	ds_write_b32 v3, v2
.LBB347_5:
	s_or_b32 exec_lo, exec_lo, s7
	s_add_i32 s7, s27, 7
	s_clause 0x1
	s_load_dwordx2 s[28:29], s[4:5], 0x38
	s_load_dword s17, s[4:5], 0x48
	s_ashr_i32 s11, s7, 31
	s_waitcnt lgkmcnt(0)
	s_lshl_b32 s15, s8, 6
	s_lshr_b32 s11, s11, 29
	s_xor_b32 s0, s0, s1
	s_add_i32 s7, s7, s11
	s_add_i32 s1, s15, 64
	s_ashr_i32 s12, s7, 3
	s_mul_i32 s7, s3, s2
	s_min_i32 s11, s1, s12
	s_sub_i32 s1, s16, s7
	s_add_i32 s7, s3, 1
	s_sub_i32 s16, s1, s2
	s_cmp_ge_u32 s1, s2
	v_lshrrev_b32_e32 v22, 5, v0
	s_cselect_b32 s3, s7, s3
	s_cselect_b32 s1, s16, s1
	s_add_i32 s7, s3, 1
	s_cmp_ge_u32 s1, s2
	v_or_b32_e32 v9, s15, v22
	s_cselect_b32 s1, s7, s3
	v_mbcnt_lo_u32_b32 v11, -1, 0
	s_xor_b32 s1, s1, s0
	s_mul_i32 s30, s17, s26
	s_sub_i32 s1, s1, s0
	v_cmp_gt_i32_e64 s0, s11, v9
	s_ashr_i32 s31, s30, 31
	s_mov_b32 s2, exec_lo
	s_barrier
	buffer_gl0_inv
                                        ; implicit-def: $vgpr2
                                        ; implicit-def: $vgpr12
	v_cmpx_le_i32_e64 s11, v9
	s_xor_b32 s2, exec_lo, s2
; %bb.6:
	v_mov_b32_e32 v2, 0
	v_mbcnt_lo_u32_b32 v11, -1, 0
	v_mov_b32_e32 v12, 32
                                        ; implicit-def: $vgpr1
; %bb.7:
	s_or_saveexec_b32 s38, s2
	s_clause 0x4
	s_load_dwordx4 s[20:23], s[4:5], 0x0
	s_load_dwordx2 s[24:25], s[4:5], 0x10
	s_load_dword s7, s[4:5], 0x98
	s_load_dwordx2 s[34:35], s[4:5], 0x28
	s_load_dwordx4 s[16:19], s[4:5], 0x68
	v_mov_b32_e32 v63, 0xff7fffff
	v_ashrrev_i32_e32 v10, 31, v9
	v_lshlrev_b32_e32 v14, 3, v22
	s_mul_i32 s14, s1, s14
	s_xor_b32 exec_lo, exec_lo, s38
	s_cbranch_execz .LBB347_397
; %bb.8:
	v_mul_u32_u24_e32 v6, 0x60, v1
	s_load_dwordx2 s[2:3], s[4:5], 0x20
	s_ashr_i32 s1, s14, 31
	v_bfe_u32 v7, v0, 2, 3
	v_mov_b32_e32 v68, 0x80
	ds_read_b128 v[2:5], v6
	ds_read_b128 v[27:30], v6 offset:16
	ds_read_b128 v[35:38], v6 offset:32
	;; [unrolled: 1-line block ×4, first 2 shown]
	v_mov_b32_e32 v69, 0xffff
	v_lshlrev_b32_e32 v63, 2, v7
	v_add3_u32 v66, s33, v14, v7
	v_mov_b32_e32 v70, v9
	s_waitcnt lgkmcnt(0)
	s_add_u32 s5, s2, s14
	s_addc_u32 s1, s3, s1
	s_lshl_b64 s[2:3], s[30:31], 2
	v_lshlrev_b32_e32 v13, 16, v2
	v_and_b32_e32 v15, 0xffff0000, v2
	v_lshlrev_b32_e32 v16, 16, v3
	v_and_b32_e32 v17, 0xffff0000, v3
	;; [unrolled: 2-line block ×4, first 2 shown]
	ds_read_b128 v[2:5], v6 offset:80
	s_sub_i32 s4, 1, s27
	s_add_u32 s2, s28, s2
	s_addc_u32 s3, s29, s3
	v_xor_b32_e32 v6, 1, v11
	v_lshlrev_b32_e32 v23, 16, v27
	v_and_b32_e32 v24, 0xffff0000, v27
	v_lshlrev_b32_e32 v25, 16, v28
	v_and_b32_e32 v26, 0xffff0000, v28
	;; [unrolled: 2-line block ×7, first 2 shown]
	v_lshlrev_b32_e32 v37, 16, v38
	s_waitcnt lgkmcnt(0)
	v_lshlrev_b32_e32 v57, 16, v3
	v_and_b32_e32 v58, 0xffff0000, v3
	v_lshlrev_b32_e32 v59, 16, v4
	v_and_b32_e32 v60, 0xffff0000, v4
	v_lshlrev_b64 v[3:4], 2, v[9:10]
	v_lshlrev_b32_e32 v55, 16, v2
	v_and_b32_e32 v56, 0xffff0000, v2
	v_lshlrev_b32_e32 v2, 4, v7
	v_lshlrev_b32_e32 v61, 16, v5
	v_and_b32_e32 v62, 0xffff0000, v5
	v_add_co_u32 v3, vcc_lo, s2, v3
	v_add_co_ci_u32_e64 v4, null, s3, v4, vcc_lo
	v_lshlrev_b32_e32 v5, 1, v1
	v_cmp_eq_u32_e32 vcc_lo, 0, v1
	v_xor_b32_e32 v1, 2, v11
	v_add_co_u32 v2, s2, s5, v2
	v_add_co_ci_u32_e64 v8, null, s1, 0, s2
	v_cmp_gt_i32_e64 s1, 32, v1
	s_load_dword s5, s[16:17], 0x0
	v_and_b32_e32 v38, 0xffff0000, v38
	v_lshlrev_b32_e32 v39, 16, v43
	v_and_b32_e32 v40, 0xffff0000, v43
	v_cndmask_b32_e64 v1, v11, v1, s1
	v_cmp_gt_i32_e64 s1, 32, v6
	v_lshlrev_b32_e32 v41, 16, v44
	v_and_b32_e32 v42, 0xffff0000, v44
	v_lshlrev_b32_e32 v43, 16, v45
	v_and_b32_e32 v44, 0xffff0000, v45
	v_cndmask_b32_e64 v12, v11, v6, s1
	v_add_co_u32 v5, s1, v2, v5
	v_lshl_or_b32 v2, v22, 5, v63
	v_lshlrev_b32_e32 v45, 16, v46
	v_and_b32_e32 v46, 0xffff0000, v46
	v_lshlrev_b32_e32 v47, 16, v51
	v_and_b32_e32 v48, 0xffff0000, v51
	;; [unrolled: 2-line block ×5, first 2 shown]
	v_add_co_ci_u32_e64 v6, null, 0, v8, s1
	v_lshlrev_b32_e32 v64, 2, v1
	v_lshlrev_b32_e32 v65, 2, v12
	v_cmp_neq_f32_e64 s1, s36, 0
	v_add_nc_u32_e32 v67, 0x1a0, v2
	v_mov_b32_e32 v12, 32
	v_mov_b32_e32 v63, 0xff7fffff
	;; [unrolled: 1-line block ×3, first 2 shown]
	s_mov_b32 s17, s13
	s_mov_b32 s16, 0
	s_branch .LBB347_10
.LBB347_9:                              ;   in Loop: Header=BB347_10 Depth=1
	s_or_b32 exec_lo, exec_lo, s3
	v_add_nc_u32_e32 v70, 4, v70
	v_add_co_u32 v3, s3, v3, 16
	v_add_nc_u32_e32 v66, 32, v66
	v_add_nc_u32_e32 v67, 0x80, v67
	v_cmp_le_i32_e64 s2, s11, v70
	v_add_co_ci_u32_e64 v4, null, 0, v4, s3
	s_or_b32 s16, s2, s16
	s_andn2_b32 exec_lo, exec_lo, s16
	s_cbranch_execz .LBB347_396
.LBB347_10:                             ; =>This Inner Loop Header: Depth=1
	global_load_dword v1, v[3:4], off
	v_mov_b32_e32 v71, 0
	s_waitcnt vmcnt(0) lgkmcnt(0)
	v_mad_i64_i32 v[7:8], null, v1, s17, v[5:6]
	global_load_ushort v1, v[7:8], off
	s_waitcnt vmcnt(0)
	v_and_b32_e32 v73, 0xffff, v1
	v_cmp_ne_u16_sdwa s2, v1, v2 src0_sel:BYTE_0 src1_sel:DWORD
	s_and_saveexec_b32 s3, s2
	s_cbranch_execz .LBB347_18
; %bb.11:                               ;   in Loop: Header=BB347_10 Depth=1
	v_cmp_ne_u16_sdwa s2, v73, v68 src0_sel:BYTE_0 src1_sel:DWORD
	v_bfrev_b32_e32 v71, 1
	s_and_saveexec_b32 s39, s2
	s_cbranch_execz .LBB347_17
; %bb.12:                               ;   in Loop: Header=BB347_10 Depth=1
	v_and_b32_e32 v72, 0x7f, v73
	v_mov_b32_e32 v71, 0x7f800001
	s_mov_b32 s40, exec_lo
	v_cmpx_ne_u32_e32 0x7f, v72
	s_cbranch_execz .LBB347_16
; %bb.13:                               ;   in Loop: Header=BB347_10 Depth=1
	v_and_b32_e32 v1, 7, v73
	v_lshrrev_b32_e32 v71, 3, v72
	s_mov_b32 s41, exec_lo
	v_cmpx_gt_u32_e32 8, v72
; %bb.14:                               ;   in Loop: Header=BB347_10 Depth=1
	v_ffbh_u32_e32 v71, v1
	v_min_u32_e32 v71, 32, v71
	v_subrev_nc_u32_e32 v72, 28, v71
	v_sub_nc_u32_e32 v71, 29, v71
	v_lshlrev_b64 v[74:75], v72, v[1:2]
	v_and_b32_e32 v1, 7, v74
; %bb.15:                               ;   in Loop: Header=BB347_10 Depth=1
	s_or_b32 exec_lo, exec_lo, s41
	v_lshlrev_b32_e32 v72, 24, v73
	v_lshlrev_b32_e32 v1, 20, v1
	v_lshl_add_u32 v71, v71, 23, 0x3c000000
	v_and_b32_e32 v72, 0x80000000, v72
	v_or3_b32 v71, v1, v72, v71
.LBB347_16:                             ;   in Loop: Header=BB347_10 Depth=1
	s_or_b32 exec_lo, exec_lo, s40
.LBB347_17:                             ;   in Loop: Header=BB347_10 Depth=1
	s_or_b32 exec_lo, exec_lo, s39
.LBB347_18:                             ;   in Loop: Header=BB347_10 Depth=1
	s_or_b32 exec_lo, exec_lo, s3
	v_cmp_ne_u16_sdwa s2, v73, v2 src0_sel:BYTE_1 src1_sel:DWORD
	v_mov_b32_e32 v72, 0
	s_and_saveexec_b32 s3, s2
	s_cbranch_execz .LBB347_26
; %bb.19:                               ;   in Loop: Header=BB347_10 Depth=1
	v_cmp_ne_u16_sdwa s2, v73, v68 src0_sel:BYTE_1 src1_sel:DWORD
	v_bfrev_b32_e32 v72, 1
	s_and_saveexec_b32 s39, s2
	s_cbranch_execz .LBB347_25
; %bb.20:                               ;   in Loop: Header=BB347_10 Depth=1
	v_and_b32_sdwa v1, v69, v73 dst_sel:DWORD dst_unused:UNUSED_PAD src0_sel:DWORD src1_sel:BYTE_1
	v_mov_b32_e32 v72, 0x7f800001
	s_mov_b32 s40, exec_lo
	v_and_b32_e32 v74, 0x7f, v1
	v_cmpx_ne_u32_e32 0x7f, v74
	s_cbranch_execz .LBB347_24
; %bb.21:                               ;   in Loop: Header=BB347_10 Depth=1
	v_and_b32_e32 v1, 7, v1
	v_lshrrev_b32_e32 v72, 3, v74
	s_mov_b32 s41, exec_lo
	v_cmpx_gt_u32_e32 8, v74
; %bb.22:                               ;   in Loop: Header=BB347_10 Depth=1
	v_ffbh_u32_e32 v72, v1
	v_min_u32_e32 v72, 32, v72
	v_subrev_nc_u32_e32 v74, 28, v72
	v_sub_nc_u32_e32 v72, 29, v72
	v_lshlrev_b64 v[74:75], v74, v[1:2]
	v_and_b32_e32 v1, 7, v74
; %bb.23:                               ;   in Loop: Header=BB347_10 Depth=1
	s_or_b32 exec_lo, exec_lo, s41
	v_lshlrev_b32_e32 v73, 16, v73
	v_lshlrev_b32_e32 v1, 20, v1
	v_lshl_add_u32 v72, v72, 23, 0x3c000000
	v_and_b32_e32 v73, 0x80000000, v73
	v_or3_b32 v72, v1, v73, v72
.LBB347_24:                             ;   in Loop: Header=BB347_10 Depth=1
	s_or_b32 exec_lo, exec_lo, s40
.LBB347_25:                             ;   in Loop: Header=BB347_10 Depth=1
	s_or_b32 exec_lo, exec_lo, s39
.LBB347_26:                             ;   in Loop: Header=BB347_10 Depth=1
	s_or_b32 exec_lo, exec_lo, s3
	global_load_ushort v1, v[7:8], off offset:8
	v_mov_b32_e32 v74, 0
	v_mov_b32_e32 v73, 0
	s_waitcnt vmcnt(0)
	v_and_b32_e32 v75, 0xffff, v1
	v_cmp_ne_u16_sdwa s2, v1, v2 src0_sel:BYTE_0 src1_sel:DWORD
	s_and_saveexec_b32 s3, s2
	s_cbranch_execz .LBB347_34
; %bb.27:                               ;   in Loop: Header=BB347_10 Depth=1
	v_cmp_ne_u16_sdwa s2, v75, v68 src0_sel:BYTE_0 src1_sel:DWORD
	v_bfrev_b32_e32 v73, 1
	s_and_saveexec_b32 s39, s2
	s_cbranch_execz .LBB347_33
; %bb.28:                               ;   in Loop: Header=BB347_10 Depth=1
	v_and_b32_e32 v76, 0x7f, v75
	v_mov_b32_e32 v73, 0x7f800001
	s_mov_b32 s40, exec_lo
	v_cmpx_ne_u32_e32 0x7f, v76
	s_cbranch_execz .LBB347_32
; %bb.29:                               ;   in Loop: Header=BB347_10 Depth=1
	v_and_b32_e32 v1, 7, v75
	v_lshrrev_b32_e32 v73, 3, v76
	s_mov_b32 s41, exec_lo
	v_cmpx_gt_u32_e32 8, v76
; %bb.30:                               ;   in Loop: Header=BB347_10 Depth=1
	v_ffbh_u32_e32 v73, v1
	v_min_u32_e32 v73, 32, v73
	v_subrev_nc_u32_e32 v76, 28, v73
	v_sub_nc_u32_e32 v73, 29, v73
	v_lshlrev_b64 v[76:77], v76, v[1:2]
	v_and_b32_e32 v1, 7, v76
; %bb.31:                               ;   in Loop: Header=BB347_10 Depth=1
	s_or_b32 exec_lo, exec_lo, s41
	v_lshlrev_b32_e32 v76, 24, v75
	v_lshlrev_b32_e32 v1, 20, v1
	v_lshl_add_u32 v73, v73, 23, 0x3c000000
	v_and_b32_e32 v76, 0x80000000, v76
	v_or3_b32 v73, v1, v76, v73
.LBB347_32:                             ;   in Loop: Header=BB347_10 Depth=1
	s_or_b32 exec_lo, exec_lo, s40
.LBB347_33:                             ;   in Loop: Header=BB347_10 Depth=1
	s_or_b32 exec_lo, exec_lo, s39
.LBB347_34:                             ;   in Loop: Header=BB347_10 Depth=1
	s_or_b32 exec_lo, exec_lo, s3
	v_cmp_ne_u16_sdwa s2, v75, v2 src0_sel:BYTE_1 src1_sel:DWORD
	s_and_saveexec_b32 s3, s2
	s_cbranch_execz .LBB347_42
; %bb.35:                               ;   in Loop: Header=BB347_10 Depth=1
	v_cmp_ne_u16_sdwa s2, v75, v68 src0_sel:BYTE_1 src1_sel:DWORD
	v_bfrev_b32_e32 v74, 1
	s_and_saveexec_b32 s39, s2
	s_cbranch_execz .LBB347_41
; %bb.36:                               ;   in Loop: Header=BB347_10 Depth=1
	v_and_b32_sdwa v1, v69, v75 dst_sel:DWORD dst_unused:UNUSED_PAD src0_sel:DWORD src1_sel:BYTE_1
	v_mov_b32_e32 v74, 0x7f800001
	s_mov_b32 s40, exec_lo
	v_and_b32_e32 v76, 0x7f, v1
	v_cmpx_ne_u32_e32 0x7f, v76
	s_cbranch_execz .LBB347_40
; %bb.37:                               ;   in Loop: Header=BB347_10 Depth=1
	v_and_b32_e32 v1, 7, v1
	v_lshrrev_b32_e32 v74, 3, v76
	s_mov_b32 s41, exec_lo
	v_cmpx_gt_u32_e32 8, v76
; %bb.38:                               ;   in Loop: Header=BB347_10 Depth=1
	v_ffbh_u32_e32 v74, v1
	v_min_u32_e32 v74, 32, v74
	v_subrev_nc_u32_e32 v76, 28, v74
	v_sub_nc_u32_e32 v74, 29, v74
	v_lshlrev_b64 v[76:77], v76, v[1:2]
	v_and_b32_e32 v1, 7, v76
; %bb.39:                               ;   in Loop: Header=BB347_10 Depth=1
	s_or_b32 exec_lo, exec_lo, s41
	v_lshlrev_b32_e32 v75, 16, v75
	v_lshlrev_b32_e32 v1, 20, v1
	v_lshl_add_u32 v74, v74, 23, 0x3c000000
	v_and_b32_e32 v75, 0x80000000, v75
	v_or3_b32 v74, v1, v75, v74
.LBB347_40:                             ;   in Loop: Header=BB347_10 Depth=1
	s_or_b32 exec_lo, exec_lo, s40
.LBB347_41:                             ;   in Loop: Header=BB347_10 Depth=1
	s_or_b32 exec_lo, exec_lo, s39
.LBB347_42:                             ;   in Loop: Header=BB347_10 Depth=1
	s_or_b32 exec_lo, exec_lo, s3
	global_load_ushort v1, v[7:8], off offset:128
	v_mov_b32_e32 v76, 0
	v_mov_b32_e32 v75, 0
	s_waitcnt vmcnt(0)
	v_and_b32_e32 v77, 0xffff, v1
	v_cmp_ne_u16_sdwa s2, v1, v2 src0_sel:BYTE_0 src1_sel:DWORD
	s_and_saveexec_b32 s3, s2
	s_cbranch_execz .LBB347_50
; %bb.43:                               ;   in Loop: Header=BB347_10 Depth=1
	v_cmp_ne_u16_sdwa s2, v77, v68 src0_sel:BYTE_0 src1_sel:DWORD
	v_bfrev_b32_e32 v75, 1
	s_and_saveexec_b32 s39, s2
	s_cbranch_execz .LBB347_49
; %bb.44:                               ;   in Loop: Header=BB347_10 Depth=1
	v_and_b32_e32 v78, 0x7f, v77
	v_mov_b32_e32 v75, 0x7f800001
	s_mov_b32 s40, exec_lo
	v_cmpx_ne_u32_e32 0x7f, v78
	s_cbranch_execz .LBB347_48
; %bb.45:                               ;   in Loop: Header=BB347_10 Depth=1
	v_and_b32_e32 v1, 7, v77
	v_lshrrev_b32_e32 v75, 3, v78
	s_mov_b32 s41, exec_lo
	v_cmpx_gt_u32_e32 8, v78
; %bb.46:                               ;   in Loop: Header=BB347_10 Depth=1
	v_ffbh_u32_e32 v75, v1
	v_min_u32_e32 v75, 32, v75
	v_subrev_nc_u32_e32 v78, 28, v75
	v_sub_nc_u32_e32 v75, 29, v75
	v_lshlrev_b64 v[78:79], v78, v[1:2]
	v_and_b32_e32 v1, 7, v78
; %bb.47:                               ;   in Loop: Header=BB347_10 Depth=1
	s_or_b32 exec_lo, exec_lo, s41
	v_lshlrev_b32_e32 v78, 24, v77
	v_lshlrev_b32_e32 v1, 20, v1
	v_lshl_add_u32 v75, v75, 23, 0x3c000000
	v_and_b32_e32 v78, 0x80000000, v78
	v_or3_b32 v75, v1, v78, v75
.LBB347_48:                             ;   in Loop: Header=BB347_10 Depth=1
	s_or_b32 exec_lo, exec_lo, s40
.LBB347_49:                             ;   in Loop: Header=BB347_10 Depth=1
	s_or_b32 exec_lo, exec_lo, s39
.LBB347_50:                             ;   in Loop: Header=BB347_10 Depth=1
	s_or_b32 exec_lo, exec_lo, s3
	v_cmp_ne_u16_sdwa s2, v77, v2 src0_sel:BYTE_1 src1_sel:DWORD
	s_and_saveexec_b32 s3, s2
	s_cbranch_execz .LBB347_58
; %bb.51:                               ;   in Loop: Header=BB347_10 Depth=1
	v_cmp_ne_u16_sdwa s2, v77, v68 src0_sel:BYTE_1 src1_sel:DWORD
	v_bfrev_b32_e32 v76, 1
	s_and_saveexec_b32 s39, s2
	s_cbranch_execz .LBB347_57
; %bb.52:                               ;   in Loop: Header=BB347_10 Depth=1
	v_and_b32_sdwa v1, v69, v77 dst_sel:DWORD dst_unused:UNUSED_PAD src0_sel:DWORD src1_sel:BYTE_1
	v_mov_b32_e32 v76, 0x7f800001
	s_mov_b32 s40, exec_lo
	v_and_b32_e32 v78, 0x7f, v1
	v_cmpx_ne_u32_e32 0x7f, v78
	s_cbranch_execz .LBB347_56
; %bb.53:                               ;   in Loop: Header=BB347_10 Depth=1
	v_and_b32_e32 v1, 7, v1
	v_lshrrev_b32_e32 v76, 3, v78
	s_mov_b32 s41, exec_lo
	v_cmpx_gt_u32_e32 8, v78
; %bb.54:                               ;   in Loop: Header=BB347_10 Depth=1
	v_ffbh_u32_e32 v76, v1
	v_min_u32_e32 v76, 32, v76
	v_subrev_nc_u32_e32 v78, 28, v76
	v_sub_nc_u32_e32 v76, 29, v76
	v_lshlrev_b64 v[78:79], v78, v[1:2]
	v_and_b32_e32 v1, 7, v78
; %bb.55:                               ;   in Loop: Header=BB347_10 Depth=1
	s_or_b32 exec_lo, exec_lo, s41
	v_lshlrev_b32_e32 v77, 16, v77
	v_lshlrev_b32_e32 v1, 20, v1
	v_lshl_add_u32 v76, v76, 23, 0x3c000000
	v_and_b32_e32 v77, 0x80000000, v77
	v_or3_b32 v76, v1, v77, v76
.LBB347_56:                             ;   in Loop: Header=BB347_10 Depth=1
	s_or_b32 exec_lo, exec_lo, s40
.LBB347_57:                             ;   in Loop: Header=BB347_10 Depth=1
	s_or_b32 exec_lo, exec_lo, s39
.LBB347_58:                             ;   in Loop: Header=BB347_10 Depth=1
	s_or_b32 exec_lo, exec_lo, s3
	global_load_ushort v1, v[7:8], off offset:136
	v_mov_b32_e32 v78, 0
	v_mov_b32_e32 v77, 0
	s_waitcnt vmcnt(0)
	v_and_b32_e32 v79, 0xffff, v1
	v_cmp_ne_u16_sdwa s2, v1, v2 src0_sel:BYTE_0 src1_sel:DWORD
	s_and_saveexec_b32 s3, s2
	s_cbranch_execz .LBB347_66
; %bb.59:                               ;   in Loop: Header=BB347_10 Depth=1
	v_cmp_ne_u16_sdwa s2, v79, v68 src0_sel:BYTE_0 src1_sel:DWORD
	v_bfrev_b32_e32 v77, 1
	s_and_saveexec_b32 s39, s2
	s_cbranch_execz .LBB347_65
; %bb.60:                               ;   in Loop: Header=BB347_10 Depth=1
	v_and_b32_e32 v80, 0x7f, v79
	v_mov_b32_e32 v77, 0x7f800001
	s_mov_b32 s40, exec_lo
	v_cmpx_ne_u32_e32 0x7f, v80
	s_cbranch_execz .LBB347_64
; %bb.61:                               ;   in Loop: Header=BB347_10 Depth=1
	v_and_b32_e32 v1, 7, v79
	v_lshrrev_b32_e32 v77, 3, v80
	s_mov_b32 s41, exec_lo
	v_cmpx_gt_u32_e32 8, v80
; %bb.62:                               ;   in Loop: Header=BB347_10 Depth=1
	v_ffbh_u32_e32 v77, v1
	v_min_u32_e32 v77, 32, v77
	v_subrev_nc_u32_e32 v80, 28, v77
	v_sub_nc_u32_e32 v77, 29, v77
	v_lshlrev_b64 v[80:81], v80, v[1:2]
	v_and_b32_e32 v1, 7, v80
; %bb.63:                               ;   in Loop: Header=BB347_10 Depth=1
	s_or_b32 exec_lo, exec_lo, s41
	v_lshlrev_b32_e32 v80, 24, v79
	v_lshlrev_b32_e32 v1, 20, v1
	v_lshl_add_u32 v77, v77, 23, 0x3c000000
	v_and_b32_e32 v80, 0x80000000, v80
	v_or3_b32 v77, v1, v80, v77
.LBB347_64:                             ;   in Loop: Header=BB347_10 Depth=1
	s_or_b32 exec_lo, exec_lo, s40
.LBB347_65:                             ;   in Loop: Header=BB347_10 Depth=1
	s_or_b32 exec_lo, exec_lo, s39
.LBB347_66:                             ;   in Loop: Header=BB347_10 Depth=1
	s_or_b32 exec_lo, exec_lo, s3
	v_cmp_ne_u16_sdwa s2, v79, v2 src0_sel:BYTE_1 src1_sel:DWORD
	s_and_saveexec_b32 s3, s2
	s_cbranch_execz .LBB347_74
; %bb.67:                               ;   in Loop: Header=BB347_10 Depth=1
	v_cmp_ne_u16_sdwa s2, v79, v68 src0_sel:BYTE_1 src1_sel:DWORD
	v_bfrev_b32_e32 v78, 1
	s_and_saveexec_b32 s39, s2
	s_cbranch_execz .LBB347_73
; %bb.68:                               ;   in Loop: Header=BB347_10 Depth=1
	v_and_b32_sdwa v1, v69, v79 dst_sel:DWORD dst_unused:UNUSED_PAD src0_sel:DWORD src1_sel:BYTE_1
	v_mov_b32_e32 v78, 0x7f800001
	s_mov_b32 s40, exec_lo
	v_and_b32_e32 v80, 0x7f, v1
	v_cmpx_ne_u32_e32 0x7f, v80
	s_cbranch_execz .LBB347_72
; %bb.69:                               ;   in Loop: Header=BB347_10 Depth=1
	v_and_b32_e32 v1, 7, v1
	v_lshrrev_b32_e32 v78, 3, v80
	s_mov_b32 s41, exec_lo
	v_cmpx_gt_u32_e32 8, v80
; %bb.70:                               ;   in Loop: Header=BB347_10 Depth=1
	v_ffbh_u32_e32 v78, v1
	v_min_u32_e32 v78, 32, v78
	v_subrev_nc_u32_e32 v80, 28, v78
	v_sub_nc_u32_e32 v78, 29, v78
	v_lshlrev_b64 v[80:81], v80, v[1:2]
	v_and_b32_e32 v1, 7, v80
; %bb.71:                               ;   in Loop: Header=BB347_10 Depth=1
	s_or_b32 exec_lo, exec_lo, s41
	v_lshlrev_b32_e32 v79, 16, v79
	v_lshlrev_b32_e32 v1, 20, v1
	v_lshl_add_u32 v78, v78, 23, 0x3c000000
	v_and_b32_e32 v79, 0x80000000, v79
	v_or3_b32 v78, v1, v79, v78
.LBB347_72:                             ;   in Loop: Header=BB347_10 Depth=1
	s_or_b32 exec_lo, exec_lo, s40
.LBB347_73:                             ;   in Loop: Header=BB347_10 Depth=1
	s_or_b32 exec_lo, exec_lo, s39
.LBB347_74:                             ;   in Loop: Header=BB347_10 Depth=1
	s_or_b32 exec_lo, exec_lo, s3
	global_load_ushort v1, v[7:8], off offset:256
	v_mov_b32_e32 v80, 0
	v_mov_b32_e32 v79, 0
	s_waitcnt vmcnt(0)
	v_and_b32_e32 v81, 0xffff, v1
	v_cmp_ne_u16_sdwa s2, v1, v2 src0_sel:BYTE_0 src1_sel:DWORD
	s_and_saveexec_b32 s3, s2
	s_cbranch_execz .LBB347_82
; %bb.75:                               ;   in Loop: Header=BB347_10 Depth=1
	v_cmp_ne_u16_sdwa s2, v81, v68 src0_sel:BYTE_0 src1_sel:DWORD
	v_bfrev_b32_e32 v79, 1
	s_and_saveexec_b32 s39, s2
	s_cbranch_execz .LBB347_81
; %bb.76:                               ;   in Loop: Header=BB347_10 Depth=1
	v_and_b32_e32 v82, 0x7f, v81
	v_mov_b32_e32 v79, 0x7f800001
	s_mov_b32 s40, exec_lo
	v_cmpx_ne_u32_e32 0x7f, v82
	s_cbranch_execz .LBB347_80
; %bb.77:                               ;   in Loop: Header=BB347_10 Depth=1
	v_and_b32_e32 v1, 7, v81
	v_lshrrev_b32_e32 v79, 3, v82
	s_mov_b32 s41, exec_lo
	v_cmpx_gt_u32_e32 8, v82
; %bb.78:                               ;   in Loop: Header=BB347_10 Depth=1
	v_ffbh_u32_e32 v79, v1
	v_min_u32_e32 v79, 32, v79
	v_subrev_nc_u32_e32 v82, 28, v79
	v_sub_nc_u32_e32 v79, 29, v79
	v_lshlrev_b64 v[82:83], v82, v[1:2]
	v_and_b32_e32 v1, 7, v82
; %bb.79:                               ;   in Loop: Header=BB347_10 Depth=1
	s_or_b32 exec_lo, exec_lo, s41
	v_lshlrev_b32_e32 v82, 24, v81
	v_lshlrev_b32_e32 v1, 20, v1
	v_lshl_add_u32 v79, v79, 23, 0x3c000000
	v_and_b32_e32 v82, 0x80000000, v82
	v_or3_b32 v79, v1, v82, v79
.LBB347_80:                             ;   in Loop: Header=BB347_10 Depth=1
	s_or_b32 exec_lo, exec_lo, s40
.LBB347_81:                             ;   in Loop: Header=BB347_10 Depth=1
	s_or_b32 exec_lo, exec_lo, s39
.LBB347_82:                             ;   in Loop: Header=BB347_10 Depth=1
	s_or_b32 exec_lo, exec_lo, s3
	v_cmp_ne_u16_sdwa s2, v81, v2 src0_sel:BYTE_1 src1_sel:DWORD
	s_and_saveexec_b32 s3, s2
	s_cbranch_execz .LBB347_90
; %bb.83:                               ;   in Loop: Header=BB347_10 Depth=1
	v_cmp_ne_u16_sdwa s2, v81, v68 src0_sel:BYTE_1 src1_sel:DWORD
	v_bfrev_b32_e32 v80, 1
	s_and_saveexec_b32 s39, s2
	s_cbranch_execz .LBB347_89
; %bb.84:                               ;   in Loop: Header=BB347_10 Depth=1
	v_and_b32_sdwa v1, v69, v81 dst_sel:DWORD dst_unused:UNUSED_PAD src0_sel:DWORD src1_sel:BYTE_1
	v_mov_b32_e32 v80, 0x7f800001
	s_mov_b32 s40, exec_lo
	v_and_b32_e32 v82, 0x7f, v1
	v_cmpx_ne_u32_e32 0x7f, v82
	s_cbranch_execz .LBB347_88
; %bb.85:                               ;   in Loop: Header=BB347_10 Depth=1
	v_and_b32_e32 v1, 7, v1
	v_lshrrev_b32_e32 v80, 3, v82
	s_mov_b32 s41, exec_lo
	v_cmpx_gt_u32_e32 8, v82
; %bb.86:                               ;   in Loop: Header=BB347_10 Depth=1
	v_ffbh_u32_e32 v80, v1
	v_min_u32_e32 v80, 32, v80
	v_subrev_nc_u32_e32 v82, 28, v80
	v_sub_nc_u32_e32 v80, 29, v80
	v_lshlrev_b64 v[82:83], v82, v[1:2]
	v_and_b32_e32 v1, 7, v82
; %bb.87:                               ;   in Loop: Header=BB347_10 Depth=1
	s_or_b32 exec_lo, exec_lo, s41
	v_lshlrev_b32_e32 v81, 16, v81
	v_lshlrev_b32_e32 v1, 20, v1
	v_lshl_add_u32 v80, v80, 23, 0x3c000000
	v_and_b32_e32 v81, 0x80000000, v81
	v_or3_b32 v80, v1, v81, v80
.LBB347_88:                             ;   in Loop: Header=BB347_10 Depth=1
	s_or_b32 exec_lo, exec_lo, s40
.LBB347_89:                             ;   in Loop: Header=BB347_10 Depth=1
	s_or_b32 exec_lo, exec_lo, s39
.LBB347_90:                             ;   in Loop: Header=BB347_10 Depth=1
	s_or_b32 exec_lo, exec_lo, s3
	global_load_ushort v1, v[7:8], off offset:264
	v_mov_b32_e32 v82, 0
	v_mov_b32_e32 v81, 0
	s_waitcnt vmcnt(0)
	v_and_b32_e32 v83, 0xffff, v1
	v_cmp_ne_u16_sdwa s2, v1, v2 src0_sel:BYTE_0 src1_sel:DWORD
	s_and_saveexec_b32 s3, s2
	s_cbranch_execz .LBB347_98
; %bb.91:                               ;   in Loop: Header=BB347_10 Depth=1
	v_cmp_ne_u16_sdwa s2, v83, v68 src0_sel:BYTE_0 src1_sel:DWORD
	v_bfrev_b32_e32 v81, 1
	s_and_saveexec_b32 s39, s2
	s_cbranch_execz .LBB347_97
; %bb.92:                               ;   in Loop: Header=BB347_10 Depth=1
	v_and_b32_e32 v84, 0x7f, v83
	v_mov_b32_e32 v81, 0x7f800001
	s_mov_b32 s40, exec_lo
	v_cmpx_ne_u32_e32 0x7f, v84
	s_cbranch_execz .LBB347_96
; %bb.93:                               ;   in Loop: Header=BB347_10 Depth=1
	v_and_b32_e32 v1, 7, v83
	v_lshrrev_b32_e32 v81, 3, v84
	s_mov_b32 s41, exec_lo
	v_cmpx_gt_u32_e32 8, v84
; %bb.94:                               ;   in Loop: Header=BB347_10 Depth=1
	v_ffbh_u32_e32 v81, v1
	v_min_u32_e32 v81, 32, v81
	v_subrev_nc_u32_e32 v84, 28, v81
	v_sub_nc_u32_e32 v81, 29, v81
	v_lshlrev_b64 v[84:85], v84, v[1:2]
	v_and_b32_e32 v1, 7, v84
; %bb.95:                               ;   in Loop: Header=BB347_10 Depth=1
	s_or_b32 exec_lo, exec_lo, s41
	v_lshlrev_b32_e32 v84, 24, v83
	v_lshlrev_b32_e32 v1, 20, v1
	v_lshl_add_u32 v81, v81, 23, 0x3c000000
	v_and_b32_e32 v84, 0x80000000, v84
	v_or3_b32 v81, v1, v84, v81
.LBB347_96:                             ;   in Loop: Header=BB347_10 Depth=1
	s_or_b32 exec_lo, exec_lo, s40
.LBB347_97:                             ;   in Loop: Header=BB347_10 Depth=1
	s_or_b32 exec_lo, exec_lo, s39
.LBB347_98:                             ;   in Loop: Header=BB347_10 Depth=1
	s_or_b32 exec_lo, exec_lo, s3
	v_cmp_ne_u16_sdwa s2, v83, v2 src0_sel:BYTE_1 src1_sel:DWORD
	s_and_saveexec_b32 s3, s2
	s_cbranch_execz .LBB347_106
; %bb.99:                               ;   in Loop: Header=BB347_10 Depth=1
	v_cmp_ne_u16_sdwa s2, v83, v68 src0_sel:BYTE_1 src1_sel:DWORD
	v_bfrev_b32_e32 v82, 1
	s_and_saveexec_b32 s39, s2
	s_cbranch_execz .LBB347_105
; %bb.100:                              ;   in Loop: Header=BB347_10 Depth=1
	v_and_b32_sdwa v1, v69, v83 dst_sel:DWORD dst_unused:UNUSED_PAD src0_sel:DWORD src1_sel:BYTE_1
	v_mov_b32_e32 v82, 0x7f800001
	s_mov_b32 s40, exec_lo
	v_and_b32_e32 v84, 0x7f, v1
	v_cmpx_ne_u32_e32 0x7f, v84
	s_cbranch_execz .LBB347_104
; %bb.101:                              ;   in Loop: Header=BB347_10 Depth=1
	v_and_b32_e32 v1, 7, v1
	v_lshrrev_b32_e32 v82, 3, v84
	s_mov_b32 s41, exec_lo
	v_cmpx_gt_u32_e32 8, v84
; %bb.102:                              ;   in Loop: Header=BB347_10 Depth=1
	v_ffbh_u32_e32 v82, v1
	v_min_u32_e32 v82, 32, v82
	v_subrev_nc_u32_e32 v84, 28, v82
	v_sub_nc_u32_e32 v82, 29, v82
	v_lshlrev_b64 v[84:85], v84, v[1:2]
	v_and_b32_e32 v1, 7, v84
; %bb.103:                              ;   in Loop: Header=BB347_10 Depth=1
	s_or_b32 exec_lo, exec_lo, s41
	v_lshlrev_b32_e32 v83, 16, v83
	v_lshlrev_b32_e32 v1, 20, v1
	v_lshl_add_u32 v82, v82, 23, 0x3c000000
	v_and_b32_e32 v83, 0x80000000, v83
	v_or3_b32 v82, v1, v83, v82
.LBB347_104:                            ;   in Loop: Header=BB347_10 Depth=1
	s_or_b32 exec_lo, exec_lo, s40
.LBB347_105:                            ;   in Loop: Header=BB347_10 Depth=1
	s_or_b32 exec_lo, exec_lo, s39
.LBB347_106:                            ;   in Loop: Header=BB347_10 Depth=1
	s_or_b32 exec_lo, exec_lo, s3
	global_load_ushort v1, v[7:8], off offset:384
	v_mov_b32_e32 v84, 0
	v_mov_b32_e32 v83, 0
	s_waitcnt vmcnt(0)
	v_and_b32_e32 v85, 0xffff, v1
	v_cmp_ne_u16_sdwa s2, v1, v2 src0_sel:BYTE_0 src1_sel:DWORD
	s_and_saveexec_b32 s3, s2
	s_cbranch_execz .LBB347_114
; %bb.107:                              ;   in Loop: Header=BB347_10 Depth=1
	v_cmp_ne_u16_sdwa s2, v85, v68 src0_sel:BYTE_0 src1_sel:DWORD
	v_bfrev_b32_e32 v83, 1
	s_and_saveexec_b32 s39, s2
	s_cbranch_execz .LBB347_113
; %bb.108:                              ;   in Loop: Header=BB347_10 Depth=1
	v_and_b32_e32 v86, 0x7f, v85
	v_mov_b32_e32 v83, 0x7f800001
	s_mov_b32 s40, exec_lo
	v_cmpx_ne_u32_e32 0x7f, v86
	s_cbranch_execz .LBB347_112
; %bb.109:                              ;   in Loop: Header=BB347_10 Depth=1
	v_and_b32_e32 v1, 7, v85
	v_lshrrev_b32_e32 v83, 3, v86
	s_mov_b32 s41, exec_lo
	v_cmpx_gt_u32_e32 8, v86
; %bb.110:                              ;   in Loop: Header=BB347_10 Depth=1
	v_ffbh_u32_e32 v83, v1
	v_min_u32_e32 v83, 32, v83
	v_subrev_nc_u32_e32 v86, 28, v83
	v_sub_nc_u32_e32 v83, 29, v83
	v_lshlrev_b64 v[86:87], v86, v[1:2]
	v_and_b32_e32 v1, 7, v86
; %bb.111:                              ;   in Loop: Header=BB347_10 Depth=1
	s_or_b32 exec_lo, exec_lo, s41
	v_lshlrev_b32_e32 v86, 24, v85
	v_lshlrev_b32_e32 v1, 20, v1
	v_lshl_add_u32 v83, v83, 23, 0x3c000000
	v_and_b32_e32 v86, 0x80000000, v86
	v_or3_b32 v83, v1, v86, v83
.LBB347_112:                            ;   in Loop: Header=BB347_10 Depth=1
	s_or_b32 exec_lo, exec_lo, s40
.LBB347_113:                            ;   in Loop: Header=BB347_10 Depth=1
	s_or_b32 exec_lo, exec_lo, s39
.LBB347_114:                            ;   in Loop: Header=BB347_10 Depth=1
	s_or_b32 exec_lo, exec_lo, s3
	v_cmp_ne_u16_sdwa s2, v85, v2 src0_sel:BYTE_1 src1_sel:DWORD
	s_and_saveexec_b32 s3, s2
	s_cbranch_execz .LBB347_122
; %bb.115:                              ;   in Loop: Header=BB347_10 Depth=1
	v_cmp_ne_u16_sdwa s2, v85, v68 src0_sel:BYTE_1 src1_sel:DWORD
	v_bfrev_b32_e32 v84, 1
	s_and_saveexec_b32 s39, s2
	s_cbranch_execz .LBB347_121
; %bb.116:                              ;   in Loop: Header=BB347_10 Depth=1
	v_and_b32_sdwa v1, v69, v85 dst_sel:DWORD dst_unused:UNUSED_PAD src0_sel:DWORD src1_sel:BYTE_1
	v_mov_b32_e32 v84, 0x7f800001
	s_mov_b32 s40, exec_lo
	v_and_b32_e32 v86, 0x7f, v1
	v_cmpx_ne_u32_e32 0x7f, v86
	s_cbranch_execz .LBB347_120
; %bb.117:                              ;   in Loop: Header=BB347_10 Depth=1
	v_and_b32_e32 v1, 7, v1
	v_lshrrev_b32_e32 v84, 3, v86
	s_mov_b32 s41, exec_lo
	v_cmpx_gt_u32_e32 8, v86
; %bb.118:                              ;   in Loop: Header=BB347_10 Depth=1
	v_ffbh_u32_e32 v84, v1
	v_min_u32_e32 v84, 32, v84
	v_subrev_nc_u32_e32 v86, 28, v84
	v_sub_nc_u32_e32 v84, 29, v84
	v_lshlrev_b64 v[86:87], v86, v[1:2]
	v_and_b32_e32 v1, 7, v86
; %bb.119:                              ;   in Loop: Header=BB347_10 Depth=1
	s_or_b32 exec_lo, exec_lo, s41
	v_lshlrev_b32_e32 v85, 16, v85
	v_lshlrev_b32_e32 v1, 20, v1
	v_lshl_add_u32 v84, v84, 23, 0x3c000000
	v_and_b32_e32 v85, 0x80000000, v85
	v_or3_b32 v84, v1, v85, v84
.LBB347_120:                            ;   in Loop: Header=BB347_10 Depth=1
	s_or_b32 exec_lo, exec_lo, s40
.LBB347_121:                            ;   in Loop: Header=BB347_10 Depth=1
	s_or_b32 exec_lo, exec_lo, s39
.LBB347_122:                            ;   in Loop: Header=BB347_10 Depth=1
	s_or_b32 exec_lo, exec_lo, s3
	global_load_ushort v1, v[7:8], off offset:392
	v_mov_b32_e32 v86, 0
	v_mov_b32_e32 v85, 0
	s_waitcnt vmcnt(0)
	v_and_b32_e32 v87, 0xffff, v1
	v_cmp_ne_u16_sdwa s2, v1, v2 src0_sel:BYTE_0 src1_sel:DWORD
	s_and_saveexec_b32 s3, s2
	s_cbranch_execz .LBB347_130
; %bb.123:                              ;   in Loop: Header=BB347_10 Depth=1
	v_cmp_ne_u16_sdwa s2, v87, v68 src0_sel:BYTE_0 src1_sel:DWORD
	v_bfrev_b32_e32 v85, 1
	s_and_saveexec_b32 s39, s2
	s_cbranch_execz .LBB347_129
; %bb.124:                              ;   in Loop: Header=BB347_10 Depth=1
	v_and_b32_e32 v88, 0x7f, v87
	v_mov_b32_e32 v85, 0x7f800001
	s_mov_b32 s40, exec_lo
	v_cmpx_ne_u32_e32 0x7f, v88
	s_cbranch_execz .LBB347_128
; %bb.125:                              ;   in Loop: Header=BB347_10 Depth=1
	v_and_b32_e32 v1, 7, v87
	v_lshrrev_b32_e32 v85, 3, v88
	s_mov_b32 s41, exec_lo
	v_cmpx_gt_u32_e32 8, v88
; %bb.126:                              ;   in Loop: Header=BB347_10 Depth=1
	v_ffbh_u32_e32 v85, v1
	v_min_u32_e32 v85, 32, v85
	v_subrev_nc_u32_e32 v88, 28, v85
	v_sub_nc_u32_e32 v85, 29, v85
	v_lshlrev_b64 v[88:89], v88, v[1:2]
	v_and_b32_e32 v1, 7, v88
; %bb.127:                              ;   in Loop: Header=BB347_10 Depth=1
	s_or_b32 exec_lo, exec_lo, s41
	v_lshlrev_b32_e32 v88, 24, v87
	v_lshlrev_b32_e32 v1, 20, v1
	v_lshl_add_u32 v85, v85, 23, 0x3c000000
	v_and_b32_e32 v88, 0x80000000, v88
	v_or3_b32 v85, v1, v88, v85
.LBB347_128:                            ;   in Loop: Header=BB347_10 Depth=1
	s_or_b32 exec_lo, exec_lo, s40
.LBB347_129:                            ;   in Loop: Header=BB347_10 Depth=1
	s_or_b32 exec_lo, exec_lo, s39
.LBB347_130:                            ;   in Loop: Header=BB347_10 Depth=1
	s_or_b32 exec_lo, exec_lo, s3
	v_cmp_ne_u16_sdwa s2, v87, v2 src0_sel:BYTE_1 src1_sel:DWORD
	s_and_saveexec_b32 s3, s2
	s_cbranch_execz .LBB347_138
; %bb.131:                              ;   in Loop: Header=BB347_10 Depth=1
	v_cmp_ne_u16_sdwa s2, v87, v68 src0_sel:BYTE_1 src1_sel:DWORD
	v_bfrev_b32_e32 v86, 1
	s_and_saveexec_b32 s39, s2
	s_cbranch_execz .LBB347_137
; %bb.132:                              ;   in Loop: Header=BB347_10 Depth=1
	v_and_b32_sdwa v1, v69, v87 dst_sel:DWORD dst_unused:UNUSED_PAD src0_sel:DWORD src1_sel:BYTE_1
	v_mov_b32_e32 v86, 0x7f800001
	s_mov_b32 s40, exec_lo
	v_and_b32_e32 v88, 0x7f, v1
	v_cmpx_ne_u32_e32 0x7f, v88
	s_cbranch_execz .LBB347_136
; %bb.133:                              ;   in Loop: Header=BB347_10 Depth=1
	v_and_b32_e32 v1, 7, v1
	v_lshrrev_b32_e32 v86, 3, v88
	s_mov_b32 s41, exec_lo
	v_cmpx_gt_u32_e32 8, v88
; %bb.134:                              ;   in Loop: Header=BB347_10 Depth=1
	v_ffbh_u32_e32 v86, v1
	v_min_u32_e32 v86, 32, v86
	v_subrev_nc_u32_e32 v88, 28, v86
	v_sub_nc_u32_e32 v86, 29, v86
	v_lshlrev_b64 v[88:89], v88, v[1:2]
	v_and_b32_e32 v1, 7, v88
; %bb.135:                              ;   in Loop: Header=BB347_10 Depth=1
	s_or_b32 exec_lo, exec_lo, s41
	v_lshlrev_b32_e32 v87, 16, v87
	v_lshlrev_b32_e32 v1, 20, v1
	v_lshl_add_u32 v86, v86, 23, 0x3c000000
	v_and_b32_e32 v87, 0x80000000, v87
	v_or3_b32 v86, v1, v87, v86
.LBB347_136:                            ;   in Loop: Header=BB347_10 Depth=1
	s_or_b32 exec_lo, exec_lo, s40
.LBB347_137:                            ;   in Loop: Header=BB347_10 Depth=1
	s_or_b32 exec_lo, exec_lo, s39
.LBB347_138:                            ;   in Loop: Header=BB347_10 Depth=1
	s_or_b32 exec_lo, exec_lo, s3
	global_load_ushort v1, v[7:8], off offset:512
	v_mov_b32_e32 v88, 0
	v_mov_b32_e32 v87, 0
	s_waitcnt vmcnt(0)
	v_and_b32_e32 v89, 0xffff, v1
	v_cmp_ne_u16_sdwa s2, v1, v2 src0_sel:BYTE_0 src1_sel:DWORD
	s_and_saveexec_b32 s3, s2
	s_cbranch_execz .LBB347_146
; %bb.139:                              ;   in Loop: Header=BB347_10 Depth=1
	v_cmp_ne_u16_sdwa s2, v89, v68 src0_sel:BYTE_0 src1_sel:DWORD
	v_bfrev_b32_e32 v87, 1
	s_and_saveexec_b32 s39, s2
	s_cbranch_execz .LBB347_145
; %bb.140:                              ;   in Loop: Header=BB347_10 Depth=1
	v_and_b32_e32 v90, 0x7f, v89
	v_mov_b32_e32 v87, 0x7f800001
	s_mov_b32 s40, exec_lo
	v_cmpx_ne_u32_e32 0x7f, v90
	s_cbranch_execz .LBB347_144
; %bb.141:                              ;   in Loop: Header=BB347_10 Depth=1
	v_and_b32_e32 v1, 7, v89
	v_lshrrev_b32_e32 v87, 3, v90
	s_mov_b32 s41, exec_lo
	v_cmpx_gt_u32_e32 8, v90
; %bb.142:                              ;   in Loop: Header=BB347_10 Depth=1
	v_ffbh_u32_e32 v87, v1
	v_min_u32_e32 v87, 32, v87
	v_subrev_nc_u32_e32 v90, 28, v87
	v_sub_nc_u32_e32 v87, 29, v87
	v_lshlrev_b64 v[90:91], v90, v[1:2]
	v_and_b32_e32 v1, 7, v90
; %bb.143:                              ;   in Loop: Header=BB347_10 Depth=1
	s_or_b32 exec_lo, exec_lo, s41
	v_lshlrev_b32_e32 v90, 24, v89
	v_lshlrev_b32_e32 v1, 20, v1
	v_lshl_add_u32 v87, v87, 23, 0x3c000000
	v_and_b32_e32 v90, 0x80000000, v90
	v_or3_b32 v87, v1, v90, v87
.LBB347_144:                            ;   in Loop: Header=BB347_10 Depth=1
	s_or_b32 exec_lo, exec_lo, s40
.LBB347_145:                            ;   in Loop: Header=BB347_10 Depth=1
	s_or_b32 exec_lo, exec_lo, s39
.LBB347_146:                            ;   in Loop: Header=BB347_10 Depth=1
	s_or_b32 exec_lo, exec_lo, s3
	v_cmp_ne_u16_sdwa s2, v89, v2 src0_sel:BYTE_1 src1_sel:DWORD
	s_and_saveexec_b32 s3, s2
	s_cbranch_execz .LBB347_154
; %bb.147:                              ;   in Loop: Header=BB347_10 Depth=1
	v_cmp_ne_u16_sdwa s2, v89, v68 src0_sel:BYTE_1 src1_sel:DWORD
	v_bfrev_b32_e32 v88, 1
	s_and_saveexec_b32 s39, s2
	s_cbranch_execz .LBB347_153
; %bb.148:                              ;   in Loop: Header=BB347_10 Depth=1
	v_and_b32_sdwa v1, v69, v89 dst_sel:DWORD dst_unused:UNUSED_PAD src0_sel:DWORD src1_sel:BYTE_1
	v_mov_b32_e32 v88, 0x7f800001
	s_mov_b32 s40, exec_lo
	v_and_b32_e32 v90, 0x7f, v1
	v_cmpx_ne_u32_e32 0x7f, v90
	s_cbranch_execz .LBB347_152
; %bb.149:                              ;   in Loop: Header=BB347_10 Depth=1
	v_and_b32_e32 v1, 7, v1
	v_lshrrev_b32_e32 v88, 3, v90
	s_mov_b32 s41, exec_lo
	v_cmpx_gt_u32_e32 8, v90
; %bb.150:                              ;   in Loop: Header=BB347_10 Depth=1
	v_ffbh_u32_e32 v88, v1
	v_min_u32_e32 v88, 32, v88
	v_subrev_nc_u32_e32 v90, 28, v88
	v_sub_nc_u32_e32 v88, 29, v88
	v_lshlrev_b64 v[90:91], v90, v[1:2]
	v_and_b32_e32 v1, 7, v90
; %bb.151:                              ;   in Loop: Header=BB347_10 Depth=1
	s_or_b32 exec_lo, exec_lo, s41
	v_lshlrev_b32_e32 v89, 16, v89
	v_lshlrev_b32_e32 v1, 20, v1
	v_lshl_add_u32 v88, v88, 23, 0x3c000000
	v_and_b32_e32 v89, 0x80000000, v89
	v_or3_b32 v88, v1, v89, v88
.LBB347_152:                            ;   in Loop: Header=BB347_10 Depth=1
	s_or_b32 exec_lo, exec_lo, s40
.LBB347_153:                            ;   in Loop: Header=BB347_10 Depth=1
	s_or_b32 exec_lo, exec_lo, s39
.LBB347_154:                            ;   in Loop: Header=BB347_10 Depth=1
	s_or_b32 exec_lo, exec_lo, s3
	global_load_ushort v1, v[7:8], off offset:520
	v_mov_b32_e32 v90, 0
	v_mov_b32_e32 v89, 0
	s_waitcnt vmcnt(0)
	v_and_b32_e32 v91, 0xffff, v1
	v_cmp_ne_u16_sdwa s2, v1, v2 src0_sel:BYTE_0 src1_sel:DWORD
	s_and_saveexec_b32 s3, s2
	s_cbranch_execz .LBB347_162
; %bb.155:                              ;   in Loop: Header=BB347_10 Depth=1
	v_cmp_ne_u16_sdwa s2, v91, v68 src0_sel:BYTE_0 src1_sel:DWORD
	v_bfrev_b32_e32 v89, 1
	s_and_saveexec_b32 s39, s2
	s_cbranch_execz .LBB347_161
; %bb.156:                              ;   in Loop: Header=BB347_10 Depth=1
	v_and_b32_e32 v92, 0x7f, v91
	v_mov_b32_e32 v89, 0x7f800001
	s_mov_b32 s40, exec_lo
	v_cmpx_ne_u32_e32 0x7f, v92
	s_cbranch_execz .LBB347_160
; %bb.157:                              ;   in Loop: Header=BB347_10 Depth=1
	v_and_b32_e32 v1, 7, v91
	v_lshrrev_b32_e32 v89, 3, v92
	s_mov_b32 s41, exec_lo
	v_cmpx_gt_u32_e32 8, v92
; %bb.158:                              ;   in Loop: Header=BB347_10 Depth=1
	v_ffbh_u32_e32 v89, v1
	v_min_u32_e32 v89, 32, v89
	v_subrev_nc_u32_e32 v92, 28, v89
	v_sub_nc_u32_e32 v89, 29, v89
	v_lshlrev_b64 v[92:93], v92, v[1:2]
	v_and_b32_e32 v1, 7, v92
; %bb.159:                              ;   in Loop: Header=BB347_10 Depth=1
	s_or_b32 exec_lo, exec_lo, s41
	v_lshlrev_b32_e32 v92, 24, v91
	v_lshlrev_b32_e32 v1, 20, v1
	v_lshl_add_u32 v89, v89, 23, 0x3c000000
	v_and_b32_e32 v92, 0x80000000, v92
	v_or3_b32 v89, v1, v92, v89
.LBB347_160:                            ;   in Loop: Header=BB347_10 Depth=1
	s_or_b32 exec_lo, exec_lo, s40
.LBB347_161:                            ;   in Loop: Header=BB347_10 Depth=1
	s_or_b32 exec_lo, exec_lo, s39
.LBB347_162:                            ;   in Loop: Header=BB347_10 Depth=1
	s_or_b32 exec_lo, exec_lo, s3
	v_cmp_ne_u16_sdwa s2, v91, v2 src0_sel:BYTE_1 src1_sel:DWORD
	s_and_saveexec_b32 s3, s2
	s_cbranch_execz .LBB347_170
; %bb.163:                              ;   in Loop: Header=BB347_10 Depth=1
	v_cmp_ne_u16_sdwa s2, v91, v68 src0_sel:BYTE_1 src1_sel:DWORD
	v_bfrev_b32_e32 v90, 1
	s_and_saveexec_b32 s39, s2
	s_cbranch_execz .LBB347_169
; %bb.164:                              ;   in Loop: Header=BB347_10 Depth=1
	v_and_b32_sdwa v1, v69, v91 dst_sel:DWORD dst_unused:UNUSED_PAD src0_sel:DWORD src1_sel:BYTE_1
	v_mov_b32_e32 v90, 0x7f800001
	s_mov_b32 s40, exec_lo
	v_and_b32_e32 v92, 0x7f, v1
	v_cmpx_ne_u32_e32 0x7f, v92
	s_cbranch_execz .LBB347_168
; %bb.165:                              ;   in Loop: Header=BB347_10 Depth=1
	v_and_b32_e32 v1, 7, v1
	v_lshrrev_b32_e32 v90, 3, v92
	s_mov_b32 s41, exec_lo
	v_cmpx_gt_u32_e32 8, v92
; %bb.166:                              ;   in Loop: Header=BB347_10 Depth=1
	v_ffbh_u32_e32 v90, v1
	v_min_u32_e32 v90, 32, v90
	v_subrev_nc_u32_e32 v92, 28, v90
	v_sub_nc_u32_e32 v90, 29, v90
	v_lshlrev_b64 v[92:93], v92, v[1:2]
	v_and_b32_e32 v1, 7, v92
; %bb.167:                              ;   in Loop: Header=BB347_10 Depth=1
	s_or_b32 exec_lo, exec_lo, s41
	v_lshlrev_b32_e32 v91, 16, v91
	v_lshlrev_b32_e32 v1, 20, v1
	v_lshl_add_u32 v90, v90, 23, 0x3c000000
	v_and_b32_e32 v91, 0x80000000, v91
	v_or3_b32 v90, v1, v91, v90
.LBB347_168:                            ;   in Loop: Header=BB347_10 Depth=1
	s_or_b32 exec_lo, exec_lo, s40
.LBB347_169:                            ;   in Loop: Header=BB347_10 Depth=1
	s_or_b32 exec_lo, exec_lo, s39
.LBB347_170:                            ;   in Loop: Header=BB347_10 Depth=1
	s_or_b32 exec_lo, exec_lo, s3
	global_load_ushort v1, v[7:8], off offset:640
	v_mov_b32_e32 v92, 0
	v_mov_b32_e32 v91, 0
	s_waitcnt vmcnt(0)
	v_and_b32_e32 v93, 0xffff, v1
	v_cmp_ne_u16_sdwa s2, v1, v2 src0_sel:BYTE_0 src1_sel:DWORD
	s_and_saveexec_b32 s3, s2
	s_cbranch_execz .LBB347_178
; %bb.171:                              ;   in Loop: Header=BB347_10 Depth=1
	v_cmp_ne_u16_sdwa s2, v93, v68 src0_sel:BYTE_0 src1_sel:DWORD
	v_bfrev_b32_e32 v91, 1
	s_and_saveexec_b32 s39, s2
	s_cbranch_execz .LBB347_177
; %bb.172:                              ;   in Loop: Header=BB347_10 Depth=1
	v_and_b32_e32 v94, 0x7f, v93
	v_mov_b32_e32 v91, 0x7f800001
	s_mov_b32 s40, exec_lo
	v_cmpx_ne_u32_e32 0x7f, v94
	s_cbranch_execz .LBB347_176
; %bb.173:                              ;   in Loop: Header=BB347_10 Depth=1
	v_and_b32_e32 v1, 7, v93
	v_lshrrev_b32_e32 v91, 3, v94
	s_mov_b32 s41, exec_lo
	v_cmpx_gt_u32_e32 8, v94
; %bb.174:                              ;   in Loop: Header=BB347_10 Depth=1
	v_ffbh_u32_e32 v91, v1
	v_min_u32_e32 v91, 32, v91
	v_subrev_nc_u32_e32 v94, 28, v91
	v_sub_nc_u32_e32 v91, 29, v91
	v_lshlrev_b64 v[94:95], v94, v[1:2]
	v_and_b32_e32 v1, 7, v94
; %bb.175:                              ;   in Loop: Header=BB347_10 Depth=1
	s_or_b32 exec_lo, exec_lo, s41
	v_lshlrev_b32_e32 v94, 24, v93
	v_lshlrev_b32_e32 v1, 20, v1
	v_lshl_add_u32 v91, v91, 23, 0x3c000000
	v_and_b32_e32 v94, 0x80000000, v94
	v_or3_b32 v91, v1, v94, v91
.LBB347_176:                            ;   in Loop: Header=BB347_10 Depth=1
	s_or_b32 exec_lo, exec_lo, s40
.LBB347_177:                            ;   in Loop: Header=BB347_10 Depth=1
	s_or_b32 exec_lo, exec_lo, s39
.LBB347_178:                            ;   in Loop: Header=BB347_10 Depth=1
	s_or_b32 exec_lo, exec_lo, s3
	v_cmp_ne_u16_sdwa s2, v93, v2 src0_sel:BYTE_1 src1_sel:DWORD
	s_and_saveexec_b32 s3, s2
	s_cbranch_execz .LBB347_186
; %bb.179:                              ;   in Loop: Header=BB347_10 Depth=1
	v_cmp_ne_u16_sdwa s2, v93, v68 src0_sel:BYTE_1 src1_sel:DWORD
	v_bfrev_b32_e32 v92, 1
	s_and_saveexec_b32 s39, s2
	s_cbranch_execz .LBB347_185
; %bb.180:                              ;   in Loop: Header=BB347_10 Depth=1
	v_and_b32_sdwa v1, v69, v93 dst_sel:DWORD dst_unused:UNUSED_PAD src0_sel:DWORD src1_sel:BYTE_1
	v_mov_b32_e32 v92, 0x7f800001
	s_mov_b32 s40, exec_lo
	v_and_b32_e32 v94, 0x7f, v1
	v_cmpx_ne_u32_e32 0x7f, v94
	s_cbranch_execz .LBB347_184
; %bb.181:                              ;   in Loop: Header=BB347_10 Depth=1
	v_and_b32_e32 v1, 7, v1
	v_lshrrev_b32_e32 v92, 3, v94
	s_mov_b32 s41, exec_lo
	v_cmpx_gt_u32_e32 8, v94
; %bb.182:                              ;   in Loop: Header=BB347_10 Depth=1
	v_ffbh_u32_e32 v92, v1
	v_min_u32_e32 v92, 32, v92
	v_subrev_nc_u32_e32 v94, 28, v92
	v_sub_nc_u32_e32 v92, 29, v92
	v_lshlrev_b64 v[94:95], v94, v[1:2]
	v_and_b32_e32 v1, 7, v94
; %bb.183:                              ;   in Loop: Header=BB347_10 Depth=1
	s_or_b32 exec_lo, exec_lo, s41
	v_lshlrev_b32_e32 v93, 16, v93
	v_lshlrev_b32_e32 v1, 20, v1
	v_lshl_add_u32 v92, v92, 23, 0x3c000000
	v_and_b32_e32 v93, 0x80000000, v93
	v_or3_b32 v92, v1, v93, v92
.LBB347_184:                            ;   in Loop: Header=BB347_10 Depth=1
	s_or_b32 exec_lo, exec_lo, s40
.LBB347_185:                            ;   in Loop: Header=BB347_10 Depth=1
	s_or_b32 exec_lo, exec_lo, s39
.LBB347_186:                            ;   in Loop: Header=BB347_10 Depth=1
	s_or_b32 exec_lo, exec_lo, s3
	global_load_ushort v1, v[7:8], off offset:648
	v_mov_b32_e32 v94, 0
	v_mov_b32_e32 v93, 0
	s_waitcnt vmcnt(0)
	v_and_b32_e32 v95, 0xffff, v1
	v_cmp_ne_u16_sdwa s2, v1, v2 src0_sel:BYTE_0 src1_sel:DWORD
	s_and_saveexec_b32 s3, s2
	s_cbranch_execz .LBB347_194
; %bb.187:                              ;   in Loop: Header=BB347_10 Depth=1
	v_cmp_ne_u16_sdwa s2, v95, v68 src0_sel:BYTE_0 src1_sel:DWORD
	v_bfrev_b32_e32 v93, 1
	s_and_saveexec_b32 s39, s2
	s_cbranch_execz .LBB347_193
; %bb.188:                              ;   in Loop: Header=BB347_10 Depth=1
	v_and_b32_e32 v96, 0x7f, v95
	v_mov_b32_e32 v93, 0x7f800001
	s_mov_b32 s40, exec_lo
	v_cmpx_ne_u32_e32 0x7f, v96
	s_cbranch_execz .LBB347_192
; %bb.189:                              ;   in Loop: Header=BB347_10 Depth=1
	v_and_b32_e32 v1, 7, v95
	v_lshrrev_b32_e32 v93, 3, v96
	s_mov_b32 s41, exec_lo
	v_cmpx_gt_u32_e32 8, v96
; %bb.190:                              ;   in Loop: Header=BB347_10 Depth=1
	v_ffbh_u32_e32 v93, v1
	v_min_u32_e32 v93, 32, v93
	v_subrev_nc_u32_e32 v96, 28, v93
	v_sub_nc_u32_e32 v93, 29, v93
	v_lshlrev_b64 v[96:97], v96, v[1:2]
	v_and_b32_e32 v1, 7, v96
; %bb.191:                              ;   in Loop: Header=BB347_10 Depth=1
	s_or_b32 exec_lo, exec_lo, s41
	v_lshlrev_b32_e32 v96, 24, v95
	v_lshlrev_b32_e32 v1, 20, v1
	v_lshl_add_u32 v93, v93, 23, 0x3c000000
	v_and_b32_e32 v96, 0x80000000, v96
	v_or3_b32 v93, v1, v96, v93
.LBB347_192:                            ;   in Loop: Header=BB347_10 Depth=1
	s_or_b32 exec_lo, exec_lo, s40
.LBB347_193:                            ;   in Loop: Header=BB347_10 Depth=1
	s_or_b32 exec_lo, exec_lo, s39
.LBB347_194:                            ;   in Loop: Header=BB347_10 Depth=1
	s_or_b32 exec_lo, exec_lo, s3
	v_cmp_ne_u16_sdwa s2, v95, v2 src0_sel:BYTE_1 src1_sel:DWORD
	s_and_saveexec_b32 s3, s2
	s_cbranch_execz .LBB347_202
; %bb.195:                              ;   in Loop: Header=BB347_10 Depth=1
	v_cmp_ne_u16_sdwa s2, v95, v68 src0_sel:BYTE_1 src1_sel:DWORD
	v_bfrev_b32_e32 v94, 1
	s_and_saveexec_b32 s39, s2
	s_cbranch_execz .LBB347_201
; %bb.196:                              ;   in Loop: Header=BB347_10 Depth=1
	v_and_b32_sdwa v1, v69, v95 dst_sel:DWORD dst_unused:UNUSED_PAD src0_sel:DWORD src1_sel:BYTE_1
	v_mov_b32_e32 v94, 0x7f800001
	s_mov_b32 s40, exec_lo
	v_and_b32_e32 v96, 0x7f, v1
	v_cmpx_ne_u32_e32 0x7f, v96
	s_cbranch_execz .LBB347_200
; %bb.197:                              ;   in Loop: Header=BB347_10 Depth=1
	v_and_b32_e32 v1, 7, v1
	v_lshrrev_b32_e32 v94, 3, v96
	s_mov_b32 s41, exec_lo
	v_cmpx_gt_u32_e32 8, v96
; %bb.198:                              ;   in Loop: Header=BB347_10 Depth=1
	v_ffbh_u32_e32 v94, v1
	v_min_u32_e32 v94, 32, v94
	v_subrev_nc_u32_e32 v96, 28, v94
	v_sub_nc_u32_e32 v94, 29, v94
	v_lshlrev_b64 v[96:97], v96, v[1:2]
	v_and_b32_e32 v1, 7, v96
; %bb.199:                              ;   in Loop: Header=BB347_10 Depth=1
	s_or_b32 exec_lo, exec_lo, s41
	v_lshlrev_b32_e32 v95, 16, v95
	v_lshlrev_b32_e32 v1, 20, v1
	v_lshl_add_u32 v94, v94, 23, 0x3c000000
	v_and_b32_e32 v95, 0x80000000, v95
	v_or3_b32 v94, v1, v95, v94
.LBB347_200:                            ;   in Loop: Header=BB347_10 Depth=1
	s_or_b32 exec_lo, exec_lo, s40
.LBB347_201:                            ;   in Loop: Header=BB347_10 Depth=1
	s_or_b32 exec_lo, exec_lo, s39
.LBB347_202:                            ;   in Loop: Header=BB347_10 Depth=1
	s_or_b32 exec_lo, exec_lo, s3
	global_load_ushort v1, v[7:8], off offset:768
	v_mov_b32_e32 v96, 0
	v_mov_b32_e32 v95, 0
	s_waitcnt vmcnt(0)
	v_and_b32_e32 v97, 0xffff, v1
	v_cmp_ne_u16_sdwa s2, v1, v2 src0_sel:BYTE_0 src1_sel:DWORD
	s_and_saveexec_b32 s3, s2
	s_cbranch_execz .LBB347_210
; %bb.203:                              ;   in Loop: Header=BB347_10 Depth=1
	v_cmp_ne_u16_sdwa s2, v97, v68 src0_sel:BYTE_0 src1_sel:DWORD
	v_bfrev_b32_e32 v95, 1
	s_and_saveexec_b32 s39, s2
	s_cbranch_execz .LBB347_209
; %bb.204:                              ;   in Loop: Header=BB347_10 Depth=1
	v_and_b32_e32 v98, 0x7f, v97
	v_mov_b32_e32 v95, 0x7f800001
	s_mov_b32 s40, exec_lo
	v_cmpx_ne_u32_e32 0x7f, v98
	s_cbranch_execz .LBB347_208
; %bb.205:                              ;   in Loop: Header=BB347_10 Depth=1
	v_and_b32_e32 v1, 7, v97
	v_lshrrev_b32_e32 v95, 3, v98
	s_mov_b32 s41, exec_lo
	v_cmpx_gt_u32_e32 8, v98
; %bb.206:                              ;   in Loop: Header=BB347_10 Depth=1
	v_ffbh_u32_e32 v95, v1
	v_min_u32_e32 v95, 32, v95
	v_subrev_nc_u32_e32 v98, 28, v95
	v_sub_nc_u32_e32 v95, 29, v95
	v_lshlrev_b64 v[98:99], v98, v[1:2]
	v_and_b32_e32 v1, 7, v98
; %bb.207:                              ;   in Loop: Header=BB347_10 Depth=1
	s_or_b32 exec_lo, exec_lo, s41
	v_lshlrev_b32_e32 v98, 24, v97
	v_lshlrev_b32_e32 v1, 20, v1
	v_lshl_add_u32 v95, v95, 23, 0x3c000000
	v_and_b32_e32 v98, 0x80000000, v98
	v_or3_b32 v95, v1, v98, v95
.LBB347_208:                            ;   in Loop: Header=BB347_10 Depth=1
	s_or_b32 exec_lo, exec_lo, s40
.LBB347_209:                            ;   in Loop: Header=BB347_10 Depth=1
	s_or_b32 exec_lo, exec_lo, s39
.LBB347_210:                            ;   in Loop: Header=BB347_10 Depth=1
	s_or_b32 exec_lo, exec_lo, s3
	v_cmp_ne_u16_sdwa s2, v97, v2 src0_sel:BYTE_1 src1_sel:DWORD
	s_and_saveexec_b32 s3, s2
	s_cbranch_execz .LBB347_218
; %bb.211:                              ;   in Loop: Header=BB347_10 Depth=1
	v_cmp_ne_u16_sdwa s2, v97, v68 src0_sel:BYTE_1 src1_sel:DWORD
	v_bfrev_b32_e32 v96, 1
	s_and_saveexec_b32 s39, s2
	s_cbranch_execz .LBB347_217
; %bb.212:                              ;   in Loop: Header=BB347_10 Depth=1
	v_and_b32_sdwa v1, v69, v97 dst_sel:DWORD dst_unused:UNUSED_PAD src0_sel:DWORD src1_sel:BYTE_1
	v_mov_b32_e32 v96, 0x7f800001
	s_mov_b32 s40, exec_lo
	v_and_b32_e32 v98, 0x7f, v1
	v_cmpx_ne_u32_e32 0x7f, v98
	s_cbranch_execz .LBB347_216
; %bb.213:                              ;   in Loop: Header=BB347_10 Depth=1
	v_and_b32_e32 v1, 7, v1
	v_lshrrev_b32_e32 v96, 3, v98
	s_mov_b32 s41, exec_lo
	v_cmpx_gt_u32_e32 8, v98
; %bb.214:                              ;   in Loop: Header=BB347_10 Depth=1
	v_ffbh_u32_e32 v96, v1
	v_min_u32_e32 v96, 32, v96
	v_subrev_nc_u32_e32 v98, 28, v96
	v_sub_nc_u32_e32 v96, 29, v96
	v_lshlrev_b64 v[98:99], v98, v[1:2]
	v_and_b32_e32 v1, 7, v98
; %bb.215:                              ;   in Loop: Header=BB347_10 Depth=1
	s_or_b32 exec_lo, exec_lo, s41
	v_lshlrev_b32_e32 v97, 16, v97
	v_lshlrev_b32_e32 v1, 20, v1
	v_lshl_add_u32 v96, v96, 23, 0x3c000000
	v_and_b32_e32 v97, 0x80000000, v97
	v_or3_b32 v96, v1, v97, v96
.LBB347_216:                            ;   in Loop: Header=BB347_10 Depth=1
	s_or_b32 exec_lo, exec_lo, s40
.LBB347_217:                            ;   in Loop: Header=BB347_10 Depth=1
	s_or_b32 exec_lo, exec_lo, s39
.LBB347_218:                            ;   in Loop: Header=BB347_10 Depth=1
	s_or_b32 exec_lo, exec_lo, s3
	global_load_ushort v1, v[7:8], off offset:776
	v_mov_b32_e32 v98, 0
	v_mov_b32_e32 v97, 0
	s_waitcnt vmcnt(0)
	v_and_b32_e32 v99, 0xffff, v1
	v_cmp_ne_u16_sdwa s2, v1, v2 src0_sel:BYTE_0 src1_sel:DWORD
	s_and_saveexec_b32 s3, s2
	s_cbranch_execz .LBB347_226
; %bb.219:                              ;   in Loop: Header=BB347_10 Depth=1
	v_cmp_ne_u16_sdwa s2, v99, v68 src0_sel:BYTE_0 src1_sel:DWORD
	v_bfrev_b32_e32 v97, 1
	s_and_saveexec_b32 s39, s2
	s_cbranch_execz .LBB347_225
; %bb.220:                              ;   in Loop: Header=BB347_10 Depth=1
	v_and_b32_e32 v100, 0x7f, v99
	v_mov_b32_e32 v97, 0x7f800001
	s_mov_b32 s40, exec_lo
	v_cmpx_ne_u32_e32 0x7f, v100
	s_cbranch_execz .LBB347_224
; %bb.221:                              ;   in Loop: Header=BB347_10 Depth=1
	v_and_b32_e32 v1, 7, v99
	v_lshrrev_b32_e32 v97, 3, v100
	s_mov_b32 s41, exec_lo
	v_cmpx_gt_u32_e32 8, v100
; %bb.222:                              ;   in Loop: Header=BB347_10 Depth=1
	v_ffbh_u32_e32 v97, v1
	v_min_u32_e32 v97, 32, v97
	v_subrev_nc_u32_e32 v100, 28, v97
	v_sub_nc_u32_e32 v97, 29, v97
	v_lshlrev_b64 v[100:101], v100, v[1:2]
	v_and_b32_e32 v1, 7, v100
; %bb.223:                              ;   in Loop: Header=BB347_10 Depth=1
	s_or_b32 exec_lo, exec_lo, s41
	v_lshlrev_b32_e32 v100, 24, v99
	v_lshlrev_b32_e32 v1, 20, v1
	v_lshl_add_u32 v97, v97, 23, 0x3c000000
	v_and_b32_e32 v100, 0x80000000, v100
	v_or3_b32 v97, v1, v100, v97
.LBB347_224:                            ;   in Loop: Header=BB347_10 Depth=1
	s_or_b32 exec_lo, exec_lo, s40
.LBB347_225:                            ;   in Loop: Header=BB347_10 Depth=1
	s_or_b32 exec_lo, exec_lo, s39
.LBB347_226:                            ;   in Loop: Header=BB347_10 Depth=1
	s_or_b32 exec_lo, exec_lo, s3
	v_cmp_ne_u16_sdwa s2, v99, v2 src0_sel:BYTE_1 src1_sel:DWORD
	s_and_saveexec_b32 s3, s2
	s_cbranch_execz .LBB347_234
; %bb.227:                              ;   in Loop: Header=BB347_10 Depth=1
	v_cmp_ne_u16_sdwa s2, v99, v68 src0_sel:BYTE_1 src1_sel:DWORD
	v_bfrev_b32_e32 v98, 1
	s_and_saveexec_b32 s39, s2
	s_cbranch_execz .LBB347_233
; %bb.228:                              ;   in Loop: Header=BB347_10 Depth=1
	v_and_b32_sdwa v1, v69, v99 dst_sel:DWORD dst_unused:UNUSED_PAD src0_sel:DWORD src1_sel:BYTE_1
	v_mov_b32_e32 v98, 0x7f800001
	s_mov_b32 s40, exec_lo
	v_and_b32_e32 v100, 0x7f, v1
	v_cmpx_ne_u32_e32 0x7f, v100
	s_cbranch_execz .LBB347_232
; %bb.229:                              ;   in Loop: Header=BB347_10 Depth=1
	v_and_b32_e32 v1, 7, v1
	v_lshrrev_b32_e32 v98, 3, v100
	s_mov_b32 s41, exec_lo
	v_cmpx_gt_u32_e32 8, v100
; %bb.230:                              ;   in Loop: Header=BB347_10 Depth=1
	v_ffbh_u32_e32 v98, v1
	v_min_u32_e32 v98, 32, v98
	v_subrev_nc_u32_e32 v100, 28, v98
	v_sub_nc_u32_e32 v98, 29, v98
	v_lshlrev_b64 v[100:101], v100, v[1:2]
	v_and_b32_e32 v1, 7, v100
; %bb.231:                              ;   in Loop: Header=BB347_10 Depth=1
	s_or_b32 exec_lo, exec_lo, s41
	v_lshlrev_b32_e32 v99, 16, v99
	v_lshlrev_b32_e32 v1, 20, v1
	v_lshl_add_u32 v98, v98, 23, 0x3c000000
	v_and_b32_e32 v99, 0x80000000, v99
	v_or3_b32 v98, v1, v99, v98
.LBB347_232:                            ;   in Loop: Header=BB347_10 Depth=1
	s_or_b32 exec_lo, exec_lo, s40
.LBB347_233:                            ;   in Loop: Header=BB347_10 Depth=1
	s_or_b32 exec_lo, exec_lo, s39
.LBB347_234:                            ;   in Loop: Header=BB347_10 Depth=1
	s_or_b32 exec_lo, exec_lo, s3
	global_load_ushort v1, v[7:8], off offset:896
	v_mov_b32_e32 v100, 0
	v_mov_b32_e32 v99, 0
	s_waitcnt vmcnt(0)
	v_and_b32_e32 v101, 0xffff, v1
	v_cmp_ne_u16_sdwa s2, v1, v2 src0_sel:BYTE_0 src1_sel:DWORD
	s_and_saveexec_b32 s3, s2
	s_cbranch_execz .LBB347_242
; %bb.235:                              ;   in Loop: Header=BB347_10 Depth=1
	v_cmp_ne_u16_sdwa s2, v101, v68 src0_sel:BYTE_0 src1_sel:DWORD
	v_bfrev_b32_e32 v99, 1
	s_and_saveexec_b32 s39, s2
	s_cbranch_execz .LBB347_241
; %bb.236:                              ;   in Loop: Header=BB347_10 Depth=1
	v_and_b32_e32 v102, 0x7f, v101
	v_mov_b32_e32 v99, 0x7f800001
	s_mov_b32 s40, exec_lo
	v_cmpx_ne_u32_e32 0x7f, v102
	s_cbranch_execz .LBB347_240
; %bb.237:                              ;   in Loop: Header=BB347_10 Depth=1
	v_and_b32_e32 v1, 7, v101
	v_lshrrev_b32_e32 v99, 3, v102
	s_mov_b32 s41, exec_lo
	v_cmpx_gt_u32_e32 8, v102
; %bb.238:                              ;   in Loop: Header=BB347_10 Depth=1
	v_ffbh_u32_e32 v99, v1
	v_min_u32_e32 v99, 32, v99
	v_subrev_nc_u32_e32 v102, 28, v99
	v_sub_nc_u32_e32 v99, 29, v99
	v_lshlrev_b64 v[102:103], v102, v[1:2]
	v_and_b32_e32 v1, 7, v102
; %bb.239:                              ;   in Loop: Header=BB347_10 Depth=1
	s_or_b32 exec_lo, exec_lo, s41
	v_lshlrev_b32_e32 v102, 24, v101
	v_lshlrev_b32_e32 v1, 20, v1
	v_lshl_add_u32 v99, v99, 23, 0x3c000000
	v_and_b32_e32 v102, 0x80000000, v102
	v_or3_b32 v99, v1, v102, v99
.LBB347_240:                            ;   in Loop: Header=BB347_10 Depth=1
	s_or_b32 exec_lo, exec_lo, s40
.LBB347_241:                            ;   in Loop: Header=BB347_10 Depth=1
	s_or_b32 exec_lo, exec_lo, s39
.LBB347_242:                            ;   in Loop: Header=BB347_10 Depth=1
	s_or_b32 exec_lo, exec_lo, s3
	v_cmp_ne_u16_sdwa s2, v101, v2 src0_sel:BYTE_1 src1_sel:DWORD
	s_and_saveexec_b32 s3, s2
	s_cbranch_execz .LBB347_250
; %bb.243:                              ;   in Loop: Header=BB347_10 Depth=1
	v_cmp_ne_u16_sdwa s2, v101, v68 src0_sel:BYTE_1 src1_sel:DWORD
	v_bfrev_b32_e32 v100, 1
	s_and_saveexec_b32 s39, s2
	s_cbranch_execz .LBB347_249
; %bb.244:                              ;   in Loop: Header=BB347_10 Depth=1
	v_and_b32_sdwa v1, v69, v101 dst_sel:DWORD dst_unused:UNUSED_PAD src0_sel:DWORD src1_sel:BYTE_1
	v_mov_b32_e32 v100, 0x7f800001
	s_mov_b32 s40, exec_lo
	v_and_b32_e32 v102, 0x7f, v1
	v_cmpx_ne_u32_e32 0x7f, v102
	s_cbranch_execz .LBB347_248
; %bb.245:                              ;   in Loop: Header=BB347_10 Depth=1
	v_and_b32_e32 v1, 7, v1
	v_lshrrev_b32_e32 v100, 3, v102
	s_mov_b32 s41, exec_lo
	v_cmpx_gt_u32_e32 8, v102
; %bb.246:                              ;   in Loop: Header=BB347_10 Depth=1
	v_ffbh_u32_e32 v100, v1
	v_min_u32_e32 v100, 32, v100
	v_subrev_nc_u32_e32 v102, 28, v100
	v_sub_nc_u32_e32 v100, 29, v100
	v_lshlrev_b64 v[102:103], v102, v[1:2]
	v_and_b32_e32 v1, 7, v102
; %bb.247:                              ;   in Loop: Header=BB347_10 Depth=1
	s_or_b32 exec_lo, exec_lo, s41
	v_lshlrev_b32_e32 v101, 16, v101
	v_lshlrev_b32_e32 v1, 20, v1
	v_lshl_add_u32 v100, v100, 23, 0x3c000000
	v_and_b32_e32 v101, 0x80000000, v101
	v_or3_b32 v100, v1, v101, v100
.LBB347_248:                            ;   in Loop: Header=BB347_10 Depth=1
	s_or_b32 exec_lo, exec_lo, s40
.LBB347_249:                            ;   in Loop: Header=BB347_10 Depth=1
	s_or_b32 exec_lo, exec_lo, s39
.LBB347_250:                            ;   in Loop: Header=BB347_10 Depth=1
	s_or_b32 exec_lo, exec_lo, s3
	global_load_ushort v1, v[7:8], off offset:904
	v_mov_b32_e32 v102, 0
	v_mov_b32_e32 v101, 0
	s_waitcnt vmcnt(0)
	v_and_b32_e32 v103, 0xffff, v1
	v_cmp_ne_u16_sdwa s2, v1, v2 src0_sel:BYTE_0 src1_sel:DWORD
	s_and_saveexec_b32 s3, s2
	s_cbranch_execz .LBB347_258
; %bb.251:                              ;   in Loop: Header=BB347_10 Depth=1
	v_cmp_ne_u16_sdwa s2, v103, v68 src0_sel:BYTE_0 src1_sel:DWORD
	v_bfrev_b32_e32 v101, 1
	s_and_saveexec_b32 s39, s2
	s_cbranch_execz .LBB347_257
; %bb.252:                              ;   in Loop: Header=BB347_10 Depth=1
	v_and_b32_e32 v104, 0x7f, v103
	v_mov_b32_e32 v101, 0x7f800001
	s_mov_b32 s40, exec_lo
	v_cmpx_ne_u32_e32 0x7f, v104
	s_cbranch_execz .LBB347_256
; %bb.253:                              ;   in Loop: Header=BB347_10 Depth=1
	v_and_b32_e32 v1, 7, v103
	v_lshrrev_b32_e32 v101, 3, v104
	s_mov_b32 s41, exec_lo
	v_cmpx_gt_u32_e32 8, v104
; %bb.254:                              ;   in Loop: Header=BB347_10 Depth=1
	v_ffbh_u32_e32 v101, v1
	v_min_u32_e32 v101, 32, v101
	v_subrev_nc_u32_e32 v104, 28, v101
	v_sub_nc_u32_e32 v101, 29, v101
	v_lshlrev_b64 v[104:105], v104, v[1:2]
	v_and_b32_e32 v1, 7, v104
; %bb.255:                              ;   in Loop: Header=BB347_10 Depth=1
	s_or_b32 exec_lo, exec_lo, s41
	v_lshlrev_b32_e32 v104, 24, v103
	v_lshlrev_b32_e32 v1, 20, v1
	v_lshl_add_u32 v101, v101, 23, 0x3c000000
	v_and_b32_e32 v104, 0x80000000, v104
	v_or3_b32 v101, v1, v104, v101
.LBB347_256:                            ;   in Loop: Header=BB347_10 Depth=1
	s_or_b32 exec_lo, exec_lo, s40
.LBB347_257:                            ;   in Loop: Header=BB347_10 Depth=1
	s_or_b32 exec_lo, exec_lo, s39
.LBB347_258:                            ;   in Loop: Header=BB347_10 Depth=1
	s_or_b32 exec_lo, exec_lo, s3
	v_cmp_ne_u16_sdwa s2, v103, v2 src0_sel:BYTE_1 src1_sel:DWORD
	s_and_saveexec_b32 s3, s2
	s_cbranch_execz .LBB347_266
; %bb.259:                              ;   in Loop: Header=BB347_10 Depth=1
	v_cmp_ne_u16_sdwa s2, v103, v68 src0_sel:BYTE_1 src1_sel:DWORD
	v_bfrev_b32_e32 v102, 1
	s_and_saveexec_b32 s39, s2
	s_cbranch_execz .LBB347_265
; %bb.260:                              ;   in Loop: Header=BB347_10 Depth=1
	v_and_b32_sdwa v1, v69, v103 dst_sel:DWORD dst_unused:UNUSED_PAD src0_sel:DWORD src1_sel:BYTE_1
	v_mov_b32_e32 v102, 0x7f800001
	s_mov_b32 s40, exec_lo
	v_and_b32_e32 v104, 0x7f, v1
	v_cmpx_ne_u32_e32 0x7f, v104
	s_cbranch_execz .LBB347_264
; %bb.261:                              ;   in Loop: Header=BB347_10 Depth=1
	v_and_b32_e32 v1, 7, v1
	v_lshrrev_b32_e32 v102, 3, v104
	s_mov_b32 s41, exec_lo
	v_cmpx_gt_u32_e32 8, v104
; %bb.262:                              ;   in Loop: Header=BB347_10 Depth=1
	v_ffbh_u32_e32 v102, v1
	v_min_u32_e32 v102, 32, v102
	v_subrev_nc_u32_e32 v104, 28, v102
	v_sub_nc_u32_e32 v102, 29, v102
	v_lshlrev_b64 v[104:105], v104, v[1:2]
	v_and_b32_e32 v1, 7, v104
; %bb.263:                              ;   in Loop: Header=BB347_10 Depth=1
	s_or_b32 exec_lo, exec_lo, s41
	v_lshlrev_b32_e32 v103, 16, v103
	v_lshlrev_b32_e32 v1, 20, v1
	v_lshl_add_u32 v102, v102, 23, 0x3c000000
	v_and_b32_e32 v103, 0x80000000, v103
	v_or3_b32 v102, v1, v103, v102
.LBB347_264:                            ;   in Loop: Header=BB347_10 Depth=1
	s_or_b32 exec_lo, exec_lo, s40
.LBB347_265:                            ;   in Loop: Header=BB347_10 Depth=1
	s_or_b32 exec_lo, exec_lo, s39
.LBB347_266:                            ;   in Loop: Header=BB347_10 Depth=1
	s_or_b32 exec_lo, exec_lo, s3
	global_load_ushort v1, v[7:8], off offset:1024
	v_mov_b32_e32 v104, 0
	v_mov_b32_e32 v103, 0
	s_waitcnt vmcnt(0)
	v_and_b32_e32 v105, 0xffff, v1
	v_cmp_ne_u16_sdwa s2, v1, v2 src0_sel:BYTE_0 src1_sel:DWORD
	s_and_saveexec_b32 s3, s2
	s_cbranch_execz .LBB347_274
; %bb.267:                              ;   in Loop: Header=BB347_10 Depth=1
	v_cmp_ne_u16_sdwa s2, v105, v68 src0_sel:BYTE_0 src1_sel:DWORD
	v_bfrev_b32_e32 v103, 1
	s_and_saveexec_b32 s39, s2
	s_cbranch_execz .LBB347_273
; %bb.268:                              ;   in Loop: Header=BB347_10 Depth=1
	v_and_b32_e32 v106, 0x7f, v105
	v_mov_b32_e32 v103, 0x7f800001
	s_mov_b32 s40, exec_lo
	v_cmpx_ne_u32_e32 0x7f, v106
	s_cbranch_execz .LBB347_272
; %bb.269:                              ;   in Loop: Header=BB347_10 Depth=1
	v_and_b32_e32 v1, 7, v105
	v_lshrrev_b32_e32 v103, 3, v106
	s_mov_b32 s41, exec_lo
	v_cmpx_gt_u32_e32 8, v106
; %bb.270:                              ;   in Loop: Header=BB347_10 Depth=1
	v_ffbh_u32_e32 v103, v1
	v_min_u32_e32 v103, 32, v103
	v_subrev_nc_u32_e32 v106, 28, v103
	v_sub_nc_u32_e32 v103, 29, v103
	v_lshlrev_b64 v[106:107], v106, v[1:2]
	v_and_b32_e32 v1, 7, v106
; %bb.271:                              ;   in Loop: Header=BB347_10 Depth=1
	s_or_b32 exec_lo, exec_lo, s41
	v_lshlrev_b32_e32 v106, 24, v105
	v_lshlrev_b32_e32 v1, 20, v1
	v_lshl_add_u32 v103, v103, 23, 0x3c000000
	v_and_b32_e32 v106, 0x80000000, v106
	v_or3_b32 v103, v1, v106, v103
.LBB347_272:                            ;   in Loop: Header=BB347_10 Depth=1
	s_or_b32 exec_lo, exec_lo, s40
.LBB347_273:                            ;   in Loop: Header=BB347_10 Depth=1
	s_or_b32 exec_lo, exec_lo, s39
.LBB347_274:                            ;   in Loop: Header=BB347_10 Depth=1
	s_or_b32 exec_lo, exec_lo, s3
	v_cmp_ne_u16_sdwa s2, v105, v2 src0_sel:BYTE_1 src1_sel:DWORD
	s_and_saveexec_b32 s3, s2
	s_cbranch_execz .LBB347_282
; %bb.275:                              ;   in Loop: Header=BB347_10 Depth=1
	v_cmp_ne_u16_sdwa s2, v105, v68 src0_sel:BYTE_1 src1_sel:DWORD
	v_bfrev_b32_e32 v104, 1
	s_and_saveexec_b32 s39, s2
	s_cbranch_execz .LBB347_281
; %bb.276:                              ;   in Loop: Header=BB347_10 Depth=1
	v_and_b32_sdwa v1, v69, v105 dst_sel:DWORD dst_unused:UNUSED_PAD src0_sel:DWORD src1_sel:BYTE_1
	v_mov_b32_e32 v104, 0x7f800001
	s_mov_b32 s40, exec_lo
	v_and_b32_e32 v106, 0x7f, v1
	v_cmpx_ne_u32_e32 0x7f, v106
	s_cbranch_execz .LBB347_280
; %bb.277:                              ;   in Loop: Header=BB347_10 Depth=1
	v_and_b32_e32 v1, 7, v1
	v_lshrrev_b32_e32 v104, 3, v106
	s_mov_b32 s41, exec_lo
	v_cmpx_gt_u32_e32 8, v106
; %bb.278:                              ;   in Loop: Header=BB347_10 Depth=1
	v_ffbh_u32_e32 v104, v1
	v_min_u32_e32 v104, 32, v104
	v_subrev_nc_u32_e32 v106, 28, v104
	v_sub_nc_u32_e32 v104, 29, v104
	v_lshlrev_b64 v[106:107], v106, v[1:2]
	v_and_b32_e32 v1, 7, v106
; %bb.279:                              ;   in Loop: Header=BB347_10 Depth=1
	s_or_b32 exec_lo, exec_lo, s41
	v_lshlrev_b32_e32 v105, 16, v105
	v_lshlrev_b32_e32 v1, 20, v1
	v_lshl_add_u32 v104, v104, 23, 0x3c000000
	v_and_b32_e32 v105, 0x80000000, v105
	v_or3_b32 v104, v1, v105, v104
.LBB347_280:                            ;   in Loop: Header=BB347_10 Depth=1
	s_or_b32 exec_lo, exec_lo, s40
.LBB347_281:                            ;   in Loop: Header=BB347_10 Depth=1
	s_or_b32 exec_lo, exec_lo, s39
.LBB347_282:                            ;   in Loop: Header=BB347_10 Depth=1
	s_or_b32 exec_lo, exec_lo, s3
	global_load_ushort v1, v[7:8], off offset:1032
	v_mov_b32_e32 v106, 0
	v_mov_b32_e32 v105, 0
	s_waitcnt vmcnt(0)
	v_and_b32_e32 v107, 0xffff, v1
	v_cmp_ne_u16_sdwa s2, v1, v2 src0_sel:BYTE_0 src1_sel:DWORD
	s_and_saveexec_b32 s3, s2
	s_cbranch_execz .LBB347_290
; %bb.283:                              ;   in Loop: Header=BB347_10 Depth=1
	v_cmp_ne_u16_sdwa s2, v107, v68 src0_sel:BYTE_0 src1_sel:DWORD
	v_bfrev_b32_e32 v105, 1
	s_and_saveexec_b32 s39, s2
	s_cbranch_execz .LBB347_289
; %bb.284:                              ;   in Loop: Header=BB347_10 Depth=1
	v_and_b32_e32 v108, 0x7f, v107
	v_mov_b32_e32 v105, 0x7f800001
	s_mov_b32 s40, exec_lo
	v_cmpx_ne_u32_e32 0x7f, v108
	s_cbranch_execz .LBB347_288
; %bb.285:                              ;   in Loop: Header=BB347_10 Depth=1
	v_and_b32_e32 v1, 7, v107
	v_lshrrev_b32_e32 v105, 3, v108
	s_mov_b32 s41, exec_lo
	v_cmpx_gt_u32_e32 8, v108
; %bb.286:                              ;   in Loop: Header=BB347_10 Depth=1
	v_ffbh_u32_e32 v105, v1
	v_min_u32_e32 v105, 32, v105
	v_subrev_nc_u32_e32 v108, 28, v105
	v_sub_nc_u32_e32 v105, 29, v105
	v_lshlrev_b64 v[108:109], v108, v[1:2]
	v_and_b32_e32 v1, 7, v108
; %bb.287:                              ;   in Loop: Header=BB347_10 Depth=1
	s_or_b32 exec_lo, exec_lo, s41
	v_lshlrev_b32_e32 v108, 24, v107
	v_lshlrev_b32_e32 v1, 20, v1
	v_lshl_add_u32 v105, v105, 23, 0x3c000000
	v_and_b32_e32 v108, 0x80000000, v108
	v_or3_b32 v105, v1, v108, v105
.LBB347_288:                            ;   in Loop: Header=BB347_10 Depth=1
	s_or_b32 exec_lo, exec_lo, s40
.LBB347_289:                            ;   in Loop: Header=BB347_10 Depth=1
	s_or_b32 exec_lo, exec_lo, s39
.LBB347_290:                            ;   in Loop: Header=BB347_10 Depth=1
	s_or_b32 exec_lo, exec_lo, s3
	v_cmp_ne_u16_sdwa s2, v107, v2 src0_sel:BYTE_1 src1_sel:DWORD
	s_and_saveexec_b32 s3, s2
	s_cbranch_execz .LBB347_298
; %bb.291:                              ;   in Loop: Header=BB347_10 Depth=1
	v_cmp_ne_u16_sdwa s2, v107, v68 src0_sel:BYTE_1 src1_sel:DWORD
	v_bfrev_b32_e32 v106, 1
	s_and_saveexec_b32 s39, s2
	s_cbranch_execz .LBB347_297
; %bb.292:                              ;   in Loop: Header=BB347_10 Depth=1
	v_and_b32_sdwa v1, v69, v107 dst_sel:DWORD dst_unused:UNUSED_PAD src0_sel:DWORD src1_sel:BYTE_1
	v_mov_b32_e32 v106, 0x7f800001
	s_mov_b32 s40, exec_lo
	v_and_b32_e32 v108, 0x7f, v1
	v_cmpx_ne_u32_e32 0x7f, v108
	s_cbranch_execz .LBB347_296
; %bb.293:                              ;   in Loop: Header=BB347_10 Depth=1
	v_and_b32_e32 v1, 7, v1
	v_lshrrev_b32_e32 v106, 3, v108
	s_mov_b32 s41, exec_lo
	v_cmpx_gt_u32_e32 8, v108
; %bb.294:                              ;   in Loop: Header=BB347_10 Depth=1
	v_ffbh_u32_e32 v106, v1
	v_min_u32_e32 v106, 32, v106
	v_subrev_nc_u32_e32 v108, 28, v106
	v_sub_nc_u32_e32 v106, 29, v106
	v_lshlrev_b64 v[108:109], v108, v[1:2]
	v_and_b32_e32 v1, 7, v108
; %bb.295:                              ;   in Loop: Header=BB347_10 Depth=1
	s_or_b32 exec_lo, exec_lo, s41
	v_lshlrev_b32_e32 v107, 16, v107
	v_lshlrev_b32_e32 v1, 20, v1
	v_lshl_add_u32 v106, v106, 23, 0x3c000000
	v_and_b32_e32 v107, 0x80000000, v107
	v_or3_b32 v106, v1, v107, v106
.LBB347_296:                            ;   in Loop: Header=BB347_10 Depth=1
	s_or_b32 exec_lo, exec_lo, s40
.LBB347_297:                            ;   in Loop: Header=BB347_10 Depth=1
	s_or_b32 exec_lo, exec_lo, s39
.LBB347_298:                            ;   in Loop: Header=BB347_10 Depth=1
	s_or_b32 exec_lo, exec_lo, s3
	global_load_ushort v1, v[7:8], off offset:1152
	v_mov_b32_e32 v108, 0
	v_mov_b32_e32 v107, 0
	s_waitcnt vmcnt(0)
	v_and_b32_e32 v109, 0xffff, v1
	v_cmp_ne_u16_sdwa s2, v1, v2 src0_sel:BYTE_0 src1_sel:DWORD
	s_and_saveexec_b32 s3, s2
	s_cbranch_execz .LBB347_306
; %bb.299:                              ;   in Loop: Header=BB347_10 Depth=1
	v_cmp_ne_u16_sdwa s2, v109, v68 src0_sel:BYTE_0 src1_sel:DWORD
	v_bfrev_b32_e32 v107, 1
	s_and_saveexec_b32 s39, s2
	s_cbranch_execz .LBB347_305
; %bb.300:                              ;   in Loop: Header=BB347_10 Depth=1
	v_and_b32_e32 v110, 0x7f, v109
	v_mov_b32_e32 v107, 0x7f800001
	s_mov_b32 s40, exec_lo
	v_cmpx_ne_u32_e32 0x7f, v110
	s_cbranch_execz .LBB347_304
; %bb.301:                              ;   in Loop: Header=BB347_10 Depth=1
	v_and_b32_e32 v1, 7, v109
	v_lshrrev_b32_e32 v107, 3, v110
	s_mov_b32 s41, exec_lo
	v_cmpx_gt_u32_e32 8, v110
; %bb.302:                              ;   in Loop: Header=BB347_10 Depth=1
	v_ffbh_u32_e32 v107, v1
	v_min_u32_e32 v107, 32, v107
	v_subrev_nc_u32_e32 v110, 28, v107
	v_sub_nc_u32_e32 v107, 29, v107
	v_lshlrev_b64 v[110:111], v110, v[1:2]
	v_and_b32_e32 v1, 7, v110
; %bb.303:                              ;   in Loop: Header=BB347_10 Depth=1
	s_or_b32 exec_lo, exec_lo, s41
	v_lshlrev_b32_e32 v110, 24, v109
	v_lshlrev_b32_e32 v1, 20, v1
	v_lshl_add_u32 v107, v107, 23, 0x3c000000
	v_and_b32_e32 v110, 0x80000000, v110
	v_or3_b32 v107, v1, v110, v107
.LBB347_304:                            ;   in Loop: Header=BB347_10 Depth=1
	s_or_b32 exec_lo, exec_lo, s40
.LBB347_305:                            ;   in Loop: Header=BB347_10 Depth=1
	s_or_b32 exec_lo, exec_lo, s39
.LBB347_306:                            ;   in Loop: Header=BB347_10 Depth=1
	s_or_b32 exec_lo, exec_lo, s3
	v_cmp_ne_u16_sdwa s2, v109, v2 src0_sel:BYTE_1 src1_sel:DWORD
	s_and_saveexec_b32 s3, s2
	s_cbranch_execz .LBB347_314
; %bb.307:                              ;   in Loop: Header=BB347_10 Depth=1
	v_cmp_ne_u16_sdwa s2, v109, v68 src0_sel:BYTE_1 src1_sel:DWORD
	v_bfrev_b32_e32 v108, 1
	s_and_saveexec_b32 s39, s2
	s_cbranch_execz .LBB347_313
; %bb.308:                              ;   in Loop: Header=BB347_10 Depth=1
	v_and_b32_sdwa v1, v69, v109 dst_sel:DWORD dst_unused:UNUSED_PAD src0_sel:DWORD src1_sel:BYTE_1
	v_mov_b32_e32 v108, 0x7f800001
	s_mov_b32 s40, exec_lo
	v_and_b32_e32 v110, 0x7f, v1
	v_cmpx_ne_u32_e32 0x7f, v110
	s_cbranch_execz .LBB347_312
; %bb.309:                              ;   in Loop: Header=BB347_10 Depth=1
	v_and_b32_e32 v1, 7, v1
	v_lshrrev_b32_e32 v108, 3, v110
	s_mov_b32 s41, exec_lo
	v_cmpx_gt_u32_e32 8, v110
; %bb.310:                              ;   in Loop: Header=BB347_10 Depth=1
	v_ffbh_u32_e32 v108, v1
	v_min_u32_e32 v108, 32, v108
	v_subrev_nc_u32_e32 v110, 28, v108
	v_sub_nc_u32_e32 v108, 29, v108
	v_lshlrev_b64 v[110:111], v110, v[1:2]
	v_and_b32_e32 v1, 7, v110
; %bb.311:                              ;   in Loop: Header=BB347_10 Depth=1
	s_or_b32 exec_lo, exec_lo, s41
	v_lshlrev_b32_e32 v109, 16, v109
	v_lshlrev_b32_e32 v1, 20, v1
	v_lshl_add_u32 v108, v108, 23, 0x3c000000
	v_and_b32_e32 v109, 0x80000000, v109
	v_or3_b32 v108, v1, v109, v108
.LBB347_312:                            ;   in Loop: Header=BB347_10 Depth=1
	s_or_b32 exec_lo, exec_lo, s40
.LBB347_313:                            ;   in Loop: Header=BB347_10 Depth=1
	s_or_b32 exec_lo, exec_lo, s39
.LBB347_314:                            ;   in Loop: Header=BB347_10 Depth=1
	s_or_b32 exec_lo, exec_lo, s3
	global_load_ushort v1, v[7:8], off offset:1160
	v_mov_b32_e32 v113, 0
	v_mov_b32_e32 v114, 0
	s_waitcnt vmcnt(0)
	v_and_b32_e32 v109, 0xffff, v1
	v_cmp_ne_u16_sdwa s2, v1, v2 src0_sel:BYTE_0 src1_sel:DWORD
	s_and_saveexec_b32 s3, s2
	s_cbranch_execz .LBB347_322
; %bb.315:                              ;   in Loop: Header=BB347_10 Depth=1
	v_cmp_ne_u16_sdwa s2, v109, v68 src0_sel:BYTE_0 src1_sel:DWORD
	v_bfrev_b32_e32 v114, 1
	s_and_saveexec_b32 s39, s2
	s_cbranch_execz .LBB347_321
; %bb.316:                              ;   in Loop: Header=BB347_10 Depth=1
	v_and_b32_e32 v111, 0x7f, v109
	v_mov_b32_e32 v114, 0x7f800001
	s_mov_b32 s40, exec_lo
	v_cmpx_ne_u32_e32 0x7f, v111
	s_cbranch_execz .LBB347_320
; %bb.317:                              ;   in Loop: Header=BB347_10 Depth=1
	v_and_b32_e32 v1, 7, v109
	v_lshrrev_b32_e32 v110, 3, v111
	s_mov_b32 s41, exec_lo
	v_cmpx_gt_u32_e32 8, v111
; %bb.318:                              ;   in Loop: Header=BB347_10 Depth=1
	v_ffbh_u32_e32 v110, v1
	v_min_u32_e32 v110, 32, v110
	v_subrev_nc_u32_e32 v111, 28, v110
	v_sub_nc_u32_e32 v110, 29, v110
	v_lshlrev_b64 v[111:112], v111, v[1:2]
	v_and_b32_e32 v1, 7, v111
; %bb.319:                              ;   in Loop: Header=BB347_10 Depth=1
	s_or_b32 exec_lo, exec_lo, s41
	v_lshlrev_b32_e32 v111, 24, v109
	v_lshlrev_b32_e32 v1, 20, v1
	v_lshl_add_u32 v110, v110, 23, 0x3c000000
	v_and_b32_e32 v111, 0x80000000, v111
	v_or3_b32 v114, v1, v111, v110
.LBB347_320:                            ;   in Loop: Header=BB347_10 Depth=1
	s_or_b32 exec_lo, exec_lo, s40
.LBB347_321:                            ;   in Loop: Header=BB347_10 Depth=1
	s_or_b32 exec_lo, exec_lo, s39
.LBB347_322:                            ;   in Loop: Header=BB347_10 Depth=1
	s_or_b32 exec_lo, exec_lo, s3
	v_cmp_ne_u16_sdwa s2, v109, v2 src0_sel:BYTE_1 src1_sel:DWORD
	s_and_saveexec_b32 s3, s2
	s_cbranch_execz .LBB347_330
; %bb.323:                              ;   in Loop: Header=BB347_10 Depth=1
	v_cmp_ne_u16_sdwa s2, v109, v68 src0_sel:BYTE_1 src1_sel:DWORD
	v_bfrev_b32_e32 v113, 1
	s_and_saveexec_b32 s39, s2
	s_cbranch_execz .LBB347_329
; %bb.324:                              ;   in Loop: Header=BB347_10 Depth=1
	v_and_b32_sdwa v1, v69, v109 dst_sel:DWORD dst_unused:UNUSED_PAD src0_sel:DWORD src1_sel:BYTE_1
	v_mov_b32_e32 v113, 0x7f800001
	s_mov_b32 s40, exec_lo
	v_and_b32_e32 v111, 0x7f, v1
	v_cmpx_ne_u32_e32 0x7f, v111
	s_cbranch_execz .LBB347_328
; %bb.325:                              ;   in Loop: Header=BB347_10 Depth=1
	v_and_b32_e32 v1, 7, v1
	v_lshrrev_b32_e32 v110, 3, v111
	s_mov_b32 s41, exec_lo
	v_cmpx_gt_u32_e32 8, v111
; %bb.326:                              ;   in Loop: Header=BB347_10 Depth=1
	v_ffbh_u32_e32 v110, v1
	v_min_u32_e32 v110, 32, v110
	v_subrev_nc_u32_e32 v111, 28, v110
	v_sub_nc_u32_e32 v110, 29, v110
	v_lshlrev_b64 v[111:112], v111, v[1:2]
	v_and_b32_e32 v1, 7, v111
; %bb.327:                              ;   in Loop: Header=BB347_10 Depth=1
	s_or_b32 exec_lo, exec_lo, s41
	v_lshlrev_b32_e32 v109, 16, v109
	v_lshlrev_b32_e32 v1, 20, v1
	v_lshl_add_u32 v110, v110, 23, 0x3c000000
	v_and_b32_e32 v109, 0x80000000, v109
	v_or3_b32 v113, v1, v109, v110
.LBB347_328:                            ;   in Loop: Header=BB347_10 Depth=1
	s_or_b32 exec_lo, exec_lo, s40
.LBB347_329:                            ;   in Loop: Header=BB347_10 Depth=1
	s_or_b32 exec_lo, exec_lo, s39
.LBB347_330:                            ;   in Loop: Header=BB347_10 Depth=1
	s_or_b32 exec_lo, exec_lo, s3
	global_load_ushort v1, v[7:8], off offset:1280
	v_mov_b32_e32 v111, 0
	v_mov_b32_e32 v112, 0
	s_waitcnt vmcnt(0)
	v_and_b32_e32 v109, 0xffff, v1
	v_cmp_ne_u16_sdwa s2, v1, v2 src0_sel:BYTE_0 src1_sel:DWORD
	s_and_saveexec_b32 s3, s2
	s_cbranch_execz .LBB347_338
; %bb.331:                              ;   in Loop: Header=BB347_10 Depth=1
	v_cmp_ne_u16_sdwa s2, v109, v68 src0_sel:BYTE_0 src1_sel:DWORD
	v_bfrev_b32_e32 v112, 1
	s_and_saveexec_b32 s39, s2
	s_cbranch_execz .LBB347_337
; %bb.332:                              ;   in Loop: Header=BB347_10 Depth=1
	v_and_b32_e32 v115, 0x7f, v109
	v_mov_b32_e32 v112, 0x7f800001
	s_mov_b32 s40, exec_lo
	v_cmpx_ne_u32_e32 0x7f, v115
	s_cbranch_execz .LBB347_336
; %bb.333:                              ;   in Loop: Header=BB347_10 Depth=1
	v_and_b32_e32 v1, 7, v109
	v_lshrrev_b32_e32 v110, 3, v115
	s_mov_b32 s41, exec_lo
	v_cmpx_gt_u32_e32 8, v115
; %bb.334:                              ;   in Loop: Header=BB347_10 Depth=1
	v_ffbh_u32_e32 v110, v1
	v_min_u32_e32 v110, 32, v110
	v_subrev_nc_u32_e32 v112, 28, v110
	v_sub_nc_u32_e32 v110, 29, v110
	v_lshlrev_b64 v[115:116], v112, v[1:2]
	v_and_b32_e32 v1, 7, v115
; %bb.335:                              ;   in Loop: Header=BB347_10 Depth=1
	s_or_b32 exec_lo, exec_lo, s41
	v_lshlrev_b32_e32 v112, 24, v109
	v_lshlrev_b32_e32 v1, 20, v1
	v_lshl_add_u32 v110, v110, 23, 0x3c000000
	v_and_b32_e32 v112, 0x80000000, v112
	v_or3_b32 v112, v1, v112, v110
.LBB347_336:                            ;   in Loop: Header=BB347_10 Depth=1
	s_or_b32 exec_lo, exec_lo, s40
.LBB347_337:                            ;   in Loop: Header=BB347_10 Depth=1
	s_or_b32 exec_lo, exec_lo, s39
.LBB347_338:                            ;   in Loop: Header=BB347_10 Depth=1
	s_or_b32 exec_lo, exec_lo, s3
	v_cmp_ne_u16_sdwa s2, v109, v2 src0_sel:BYTE_1 src1_sel:DWORD
	s_and_saveexec_b32 s3, s2
	s_cbranch_execz .LBB347_346
; %bb.339:                              ;   in Loop: Header=BB347_10 Depth=1
	v_cmp_ne_u16_sdwa s2, v109, v68 src0_sel:BYTE_1 src1_sel:DWORD
	v_bfrev_b32_e32 v111, 1
	s_and_saveexec_b32 s39, s2
	s_cbranch_execz .LBB347_345
; %bb.340:                              ;   in Loop: Header=BB347_10 Depth=1
	v_and_b32_sdwa v1, v69, v109 dst_sel:DWORD dst_unused:UNUSED_PAD src0_sel:DWORD src1_sel:BYTE_1
	v_mov_b32_e32 v111, 0x7f800001
	s_mov_b32 s40, exec_lo
	v_and_b32_e32 v115, 0x7f, v1
	v_cmpx_ne_u32_e32 0x7f, v115
	s_cbranch_execz .LBB347_344
; %bb.341:                              ;   in Loop: Header=BB347_10 Depth=1
	v_and_b32_e32 v1, 7, v1
	v_lshrrev_b32_e32 v110, 3, v115
	s_mov_b32 s41, exec_lo
	v_cmpx_gt_u32_e32 8, v115
; %bb.342:                              ;   in Loop: Header=BB347_10 Depth=1
	v_ffbh_u32_e32 v110, v1
	v_min_u32_e32 v110, 32, v110
	v_subrev_nc_u32_e32 v111, 28, v110
	v_sub_nc_u32_e32 v110, 29, v110
	v_lshlrev_b64 v[115:116], v111, v[1:2]
	v_and_b32_e32 v1, 7, v115
; %bb.343:                              ;   in Loop: Header=BB347_10 Depth=1
	s_or_b32 exec_lo, exec_lo, s41
	v_lshlrev_b32_e32 v109, 16, v109
	v_lshlrev_b32_e32 v1, 20, v1
	v_lshl_add_u32 v110, v110, 23, 0x3c000000
	v_and_b32_e32 v109, 0x80000000, v109
	v_or3_b32 v111, v1, v109, v110
.LBB347_344:                            ;   in Loop: Header=BB347_10 Depth=1
	s_or_b32 exec_lo, exec_lo, s40
.LBB347_345:                            ;   in Loop: Header=BB347_10 Depth=1
	s_or_b32 exec_lo, exec_lo, s39
.LBB347_346:                            ;   in Loop: Header=BB347_10 Depth=1
	s_or_b32 exec_lo, exec_lo, s3
	global_load_ushort v1, v[7:8], off offset:1288
	v_mov_b32_e32 v109, 0
	v_mov_b32_e32 v110, 0
	s_waitcnt vmcnt(0)
	v_and_b32_e32 v115, 0xffff, v1
	v_cmp_ne_u16_sdwa s2, v1, v2 src0_sel:BYTE_0 src1_sel:DWORD
	s_and_saveexec_b32 s3, s2
	s_cbranch_execz .LBB347_354
; %bb.347:                              ;   in Loop: Header=BB347_10 Depth=1
	v_cmp_ne_u16_sdwa s2, v115, v68 src0_sel:BYTE_0 src1_sel:DWORD
	v_bfrev_b32_e32 v110, 1
	s_and_saveexec_b32 s39, s2
	s_cbranch_execz .LBB347_353
; %bb.348:                              ;   in Loop: Header=BB347_10 Depth=1
	v_and_b32_e32 v116, 0x7f, v115
	v_mov_b32_e32 v110, 0x7f800001
	s_mov_b32 s40, exec_lo
	v_cmpx_ne_u32_e32 0x7f, v116
	s_cbranch_execz .LBB347_352
; %bb.349:                              ;   in Loop: Header=BB347_10 Depth=1
	v_and_b32_e32 v1, 7, v115
	v_lshrrev_b32_e32 v110, 3, v116
	s_mov_b32 s41, exec_lo
	v_cmpx_gt_u32_e32 8, v116
; %bb.350:                              ;   in Loop: Header=BB347_10 Depth=1
	v_ffbh_u32_e32 v110, v1
	v_min_u32_e32 v110, 32, v110
	v_subrev_nc_u32_e32 v116, 28, v110
	v_sub_nc_u32_e32 v110, 29, v110
	v_lshlrev_b64 v[116:117], v116, v[1:2]
	v_and_b32_e32 v1, 7, v116
; %bb.351:                              ;   in Loop: Header=BB347_10 Depth=1
	s_or_b32 exec_lo, exec_lo, s41
	v_lshlrev_b32_e32 v116, 24, v115
	v_lshlrev_b32_e32 v1, 20, v1
	v_lshl_add_u32 v110, v110, 23, 0x3c000000
	v_and_b32_e32 v116, 0x80000000, v116
	v_or3_b32 v110, v1, v116, v110
.LBB347_352:                            ;   in Loop: Header=BB347_10 Depth=1
	s_or_b32 exec_lo, exec_lo, s40
.LBB347_353:                            ;   in Loop: Header=BB347_10 Depth=1
	s_or_b32 exec_lo, exec_lo, s39
.LBB347_354:                            ;   in Loop: Header=BB347_10 Depth=1
	s_or_b32 exec_lo, exec_lo, s3
	v_cmp_ne_u16_sdwa s2, v115, v2 src0_sel:BYTE_1 src1_sel:DWORD
	s_and_saveexec_b32 s3, s2
	s_cbranch_execz .LBB347_362
; %bb.355:                              ;   in Loop: Header=BB347_10 Depth=1
	v_cmp_ne_u16_sdwa s2, v115, v68 src0_sel:BYTE_1 src1_sel:DWORD
	v_bfrev_b32_e32 v109, 1
	s_and_saveexec_b32 s39, s2
	s_cbranch_execz .LBB347_361
; %bb.356:                              ;   in Loop: Header=BB347_10 Depth=1
	v_and_b32_sdwa v1, v69, v115 dst_sel:DWORD dst_unused:UNUSED_PAD src0_sel:DWORD src1_sel:BYTE_1
	v_mov_b32_e32 v109, 0x7f800001
	s_mov_b32 s40, exec_lo
	v_and_b32_e32 v116, 0x7f, v1
	v_cmpx_ne_u32_e32 0x7f, v116
	s_cbranch_execz .LBB347_360
; %bb.357:                              ;   in Loop: Header=BB347_10 Depth=1
	v_and_b32_e32 v1, 7, v1
	v_lshrrev_b32_e32 v109, 3, v116
	s_mov_b32 s41, exec_lo
	v_cmpx_gt_u32_e32 8, v116
; %bb.358:                              ;   in Loop: Header=BB347_10 Depth=1
	v_ffbh_u32_e32 v109, v1
	v_min_u32_e32 v109, 32, v109
	v_subrev_nc_u32_e32 v116, 28, v109
	v_sub_nc_u32_e32 v109, 29, v109
	v_lshlrev_b64 v[116:117], v116, v[1:2]
	v_and_b32_e32 v1, 7, v116
; %bb.359:                              ;   in Loop: Header=BB347_10 Depth=1
	s_or_b32 exec_lo, exec_lo, s41
	v_lshlrev_b32_e32 v115, 16, v115
	v_lshlrev_b32_e32 v1, 20, v1
	v_lshl_add_u32 v109, v109, 23, 0x3c000000
	v_and_b32_e32 v115, 0x80000000, v115
	v_or3_b32 v109, v1, v115, v109
.LBB347_360:                            ;   in Loop: Header=BB347_10 Depth=1
	s_or_b32 exec_lo, exec_lo, s40
.LBB347_361:                            ;   in Loop: Header=BB347_10 Depth=1
	s_or_b32 exec_lo, exec_lo, s39
.LBB347_362:                            ;   in Loop: Header=BB347_10 Depth=1
	s_or_b32 exec_lo, exec_lo, s3
	global_load_ushort v1, v[7:8], off offset:1408
	v_mov_b32_e32 v117, 0
	v_mov_b32_e32 v116, 0
	s_waitcnt vmcnt(0)
	v_and_b32_e32 v115, 0xffff, v1
	v_cmp_ne_u16_sdwa s2, v1, v2 src0_sel:BYTE_0 src1_sel:DWORD
	s_and_saveexec_b32 s3, s2
	s_cbranch_execz .LBB347_370
; %bb.363:                              ;   in Loop: Header=BB347_10 Depth=1
	v_cmp_ne_u16_sdwa s2, v115, v68 src0_sel:BYTE_0 src1_sel:DWORD
	v_bfrev_b32_e32 v116, 1
	s_and_saveexec_b32 s39, s2
	s_cbranch_execz .LBB347_369
; %bb.364:                              ;   in Loop: Header=BB347_10 Depth=1
	v_and_b32_e32 v118, 0x7f, v115
	v_mov_b32_e32 v116, 0x7f800001
	s_mov_b32 s40, exec_lo
	v_cmpx_ne_u32_e32 0x7f, v118
	s_cbranch_execz .LBB347_368
; %bb.365:                              ;   in Loop: Header=BB347_10 Depth=1
	v_and_b32_e32 v1, 7, v115
	v_lshrrev_b32_e32 v116, 3, v118
	s_mov_b32 s41, exec_lo
	v_cmpx_gt_u32_e32 8, v118
; %bb.366:                              ;   in Loop: Header=BB347_10 Depth=1
	v_ffbh_u32_e32 v116, v1
	v_min_u32_e32 v116, 32, v116
	v_subrev_nc_u32_e32 v118, 28, v116
	v_sub_nc_u32_e32 v116, 29, v116
	v_lshlrev_b64 v[118:119], v118, v[1:2]
	v_and_b32_e32 v1, 7, v118
; %bb.367:                              ;   in Loop: Header=BB347_10 Depth=1
	s_or_b32 exec_lo, exec_lo, s41
	v_lshlrev_b32_e32 v118, 24, v115
	v_lshlrev_b32_e32 v1, 20, v1
	v_lshl_add_u32 v116, v116, 23, 0x3c000000
	v_and_b32_e32 v118, 0x80000000, v118
	v_or3_b32 v116, v1, v118, v116
.LBB347_368:                            ;   in Loop: Header=BB347_10 Depth=1
	s_or_b32 exec_lo, exec_lo, s40
.LBB347_369:                            ;   in Loop: Header=BB347_10 Depth=1
	s_or_b32 exec_lo, exec_lo, s39
.LBB347_370:                            ;   in Loop: Header=BB347_10 Depth=1
	s_or_b32 exec_lo, exec_lo, s3
	v_cmp_ne_u16_sdwa s2, v115, v2 src0_sel:BYTE_1 src1_sel:DWORD
	s_and_saveexec_b32 s3, s2
	s_cbranch_execz .LBB347_378
; %bb.371:                              ;   in Loop: Header=BB347_10 Depth=1
	v_cmp_ne_u16_sdwa s2, v115, v68 src0_sel:BYTE_1 src1_sel:DWORD
	v_bfrev_b32_e32 v117, 1
	s_and_saveexec_b32 s39, s2
	s_cbranch_execz .LBB347_377
; %bb.372:                              ;   in Loop: Header=BB347_10 Depth=1
	v_and_b32_sdwa v1, v69, v115 dst_sel:DWORD dst_unused:UNUSED_PAD src0_sel:DWORD src1_sel:BYTE_1
	v_mov_b32_e32 v117, 0x7f800001
	s_mov_b32 s40, exec_lo
	v_and_b32_e32 v118, 0x7f, v1
	v_cmpx_ne_u32_e32 0x7f, v118
	s_cbranch_execz .LBB347_376
; %bb.373:                              ;   in Loop: Header=BB347_10 Depth=1
	v_and_b32_e32 v1, 7, v1
	v_lshrrev_b32_e32 v117, 3, v118
	s_mov_b32 s41, exec_lo
	v_cmpx_gt_u32_e32 8, v118
; %bb.374:                              ;   in Loop: Header=BB347_10 Depth=1
	v_ffbh_u32_e32 v117, v1
	v_min_u32_e32 v117, 32, v117
	v_subrev_nc_u32_e32 v118, 28, v117
	v_sub_nc_u32_e32 v117, 29, v117
	v_lshlrev_b64 v[118:119], v118, v[1:2]
	v_and_b32_e32 v1, 7, v118
; %bb.375:                              ;   in Loop: Header=BB347_10 Depth=1
	s_or_b32 exec_lo, exec_lo, s41
	v_lshlrev_b32_e32 v115, 16, v115
	v_lshlrev_b32_e32 v1, 20, v1
	v_lshl_add_u32 v117, v117, 23, 0x3c000000
	v_and_b32_e32 v115, 0x80000000, v115
	v_or3_b32 v117, v1, v115, v117
.LBB347_376:                            ;   in Loop: Header=BB347_10 Depth=1
	s_or_b32 exec_lo, exec_lo, s40
.LBB347_377:                            ;   in Loop: Header=BB347_10 Depth=1
	s_or_b32 exec_lo, exec_lo, s39
.LBB347_378:                            ;   in Loop: Header=BB347_10 Depth=1
	s_or_b32 exec_lo, exec_lo, s3
	global_load_ushort v1, v[7:8], off offset:1416
	v_mov_b32_e32 v115, 0
	v_mov_b32_e32 v8, 0
	s_waitcnt vmcnt(0)
	v_and_b32_e32 v7, 0xffff, v1
	v_cmp_ne_u16_sdwa s2, v1, v2 src0_sel:BYTE_0 src1_sel:DWORD
	s_and_saveexec_b32 s3, s2
	s_cbranch_execz .LBB347_386
; %bb.379:                              ;   in Loop: Header=BB347_10 Depth=1
	v_cmp_ne_u16_sdwa s2, v7, v68 src0_sel:BYTE_0 src1_sel:DWORD
	v_bfrev_b32_e32 v8, 1
	s_and_saveexec_b32 s39, s2
	s_cbranch_execz .LBB347_385
; %bb.380:                              ;   in Loop: Header=BB347_10 Depth=1
	v_and_b32_e32 v118, 0x7f, v7
	v_mov_b32_e32 v8, 0x7f800001
	s_mov_b32 s40, exec_lo
	v_cmpx_ne_u32_e32 0x7f, v118
	s_cbranch_execz .LBB347_384
; %bb.381:                              ;   in Loop: Header=BB347_10 Depth=1
	v_and_b32_e32 v1, 7, v7
	v_lshrrev_b32_e32 v8, 3, v118
	s_mov_b32 s41, exec_lo
	v_cmpx_gt_u32_e32 8, v118
; %bb.382:                              ;   in Loop: Header=BB347_10 Depth=1
	v_ffbh_u32_e32 v8, v1
	v_min_u32_e32 v8, 32, v8
	v_subrev_nc_u32_e32 v118, 28, v8
	v_sub_nc_u32_e32 v8, 29, v8
	v_lshlrev_b64 v[118:119], v118, v[1:2]
	v_and_b32_e32 v1, 7, v118
; %bb.383:                              ;   in Loop: Header=BB347_10 Depth=1
	s_or_b32 exec_lo, exec_lo, s41
	v_lshlrev_b32_e32 v118, 24, v7
	v_lshlrev_b32_e32 v1, 20, v1
	v_lshl_add_u32 v8, v8, 23, 0x3c000000
	v_and_b32_e32 v118, 0x80000000, v118
	v_or3_b32 v8, v1, v118, v8
.LBB347_384:                            ;   in Loop: Header=BB347_10 Depth=1
	s_or_b32 exec_lo, exec_lo, s40
.LBB347_385:                            ;   in Loop: Header=BB347_10 Depth=1
	s_or_b32 exec_lo, exec_lo, s39
.LBB347_386:                            ;   in Loop: Header=BB347_10 Depth=1
	s_or_b32 exec_lo, exec_lo, s3
	v_cmp_ne_u16_sdwa s2, v7, v2 src0_sel:BYTE_1 src1_sel:DWORD
	s_and_saveexec_b32 s3, s2
	s_cbranch_execz .LBB347_394
; %bb.387:                              ;   in Loop: Header=BB347_10 Depth=1
	v_cmp_ne_u16_sdwa s2, v7, v68 src0_sel:BYTE_1 src1_sel:DWORD
	v_bfrev_b32_e32 v115, 1
	s_and_saveexec_b32 s39, s2
	s_cbranch_execz .LBB347_393
; %bb.388:                              ;   in Loop: Header=BB347_10 Depth=1
	v_and_b32_sdwa v1, v69, v7 dst_sel:DWORD dst_unused:UNUSED_PAD src0_sel:DWORD src1_sel:BYTE_1
	v_mov_b32_e32 v115, 0x7f800001
	s_mov_b32 s40, exec_lo
	v_and_b32_e32 v118, 0x7f, v1
	v_cmpx_ne_u32_e32 0x7f, v118
	s_cbranch_execz .LBB347_392
; %bb.389:                              ;   in Loop: Header=BB347_10 Depth=1
	v_and_b32_e32 v1, 7, v1
	v_lshrrev_b32_e32 v115, 3, v118
	s_mov_b32 s41, exec_lo
	v_cmpx_gt_u32_e32 8, v118
; %bb.390:                              ;   in Loop: Header=BB347_10 Depth=1
	v_ffbh_u32_e32 v115, v1
	v_min_u32_e32 v115, 32, v115
	v_subrev_nc_u32_e32 v118, 28, v115
	v_sub_nc_u32_e32 v115, 29, v115
	v_lshlrev_b64 v[118:119], v118, v[1:2]
	v_and_b32_e32 v1, 7, v118
; %bb.391:                              ;   in Loop: Header=BB347_10 Depth=1
	s_or_b32 exec_lo, exec_lo, s41
	v_lshlrev_b32_e32 v7, 16, v7
	v_lshlrev_b32_e32 v1, 20, v1
	v_lshl_add_u32 v115, v115, 23, 0x3c000000
	v_and_b32_e32 v7, 0x80000000, v7
	v_or3_b32 v115, v1, v7, v115
.LBB347_392:                            ;   in Loop: Header=BB347_10 Depth=1
	s_or_b32 exec_lo, exec_lo, s40
.LBB347_393:                            ;   in Loop: Header=BB347_10 Depth=1
	s_or_b32 exec_lo, exec_lo, s39
.LBB347_394:                            ;   in Loop: Header=BB347_10 Depth=1
	s_or_b32 exec_lo, exec_lo, s3
	s_waitcnt lgkmcnt(0)
	v_mul_f32_e32 v1, s5, v8
	v_mul_f32_e32 v109, s5, v109
	v_mul_f32_e32 v110, s5, v110
	v_mul_f32_e32 v111, s5, v111
	v_mul_f32_e32 v112, s5, v112
	v_bfe_u32 v7, v1, 16, 1
	v_or_b32_e32 v8, 0x400000, v1
	v_cmp_u_f32_e64 s2, v1, v1
	v_mul_f32_e32 v113, s5, v113
	v_mul_f32_e32 v114, s5, v114
	v_add3_u32 v7, v7, v1, 0x7fff
	v_mul_f32_e32 v108, s5, v108
	v_mul_f32_e32 v107, s5, v107
	v_mul_f32_e32 v106, s5, v106
	v_mul_f32_e32 v105, s5, v105
	v_cndmask_b32_e64 v1, v7, v8, s2
	v_mul_f32_e32 v7, s5, v117
	v_mul_f32_e32 v104, s5, v104
	v_mul_f32_e32 v103, s5, v103
	v_mul_f32_e32 v102, s5, v102
	v_mul_f32_e32 v101, s5, v101
	v_bfe_u32 v8, v7, 16, 1
	v_or_b32_e32 v117, 0x400000, v7
	v_cmp_u_f32_e64 s2, v7, v7
	v_mul_f32_e32 v100, s5, v100
	v_mul_f32_e32 v99, s5, v99
	v_add3_u32 v8, v8, v7, 0x7fff
	v_mul_f32_e32 v98, s5, v98
	v_mul_f32_e32 v97, s5, v97
	v_mul_f32_e32 v96, s5, v96
	v_mul_f32_e32 v95, s5, v95
	v_cndmask_b32_e64 v7, v8, v117, s2
	;; [unrolled: 16-line block ×3, first 2 shown]
	v_bfe_u32 v116, v109, 16, 1
	v_or_b32_e32 v117, 0x400000, v109
	v_cmp_u_f32_e64 s2, v109, v109
	v_mul_f32_e32 v84, s5, v84
	v_mul_f32_e32 v83, s5, v83
	v_add3_u32 v116, v116, v109, 0x7fff
	v_mul_f32_e32 v82, s5, v82
	v_mul_f32_e32 v81, s5, v81
	;; [unrolled: 1-line block ×4, first 2 shown]
	v_cndmask_b32_e64 v109, v116, v117, s2
	v_bfe_u32 v116, v110, 16, 1
	v_or_b32_e32 v117, 0x400000, v110
	v_cmp_u_f32_e64 s2, v110, v110
	v_mul_f32_e32 v78, s5, v78
	v_mul_f32_e32 v77, s5, v77
	v_add3_u32 v116, v116, v110, 0x7fff
	v_mul_f32_e32 v76, s5, v76
	v_mul_f32_e32 v75, s5, v75
	;; [unrolled: 1-line block ×4, first 2 shown]
	v_cndmask_b32_e64 v110, v116, v117, s2
	v_bfe_u32 v116, v111, 16, 1
	v_or_b32_e32 v117, 0x400000, v111
	v_cmp_u_f32_e64 s2, v111, v111
	v_mul_f32_e32 v72, s5, v72
	v_mul_f32_e32 v71, s5, v71
	v_add3_u32 v116, v116, v111, 0x7fff
	v_and_b32_e32 v8, 0xffff0000, v8
	v_and_b32_e32 v7, 0xffff0000, v7
	;; [unrolled: 1-line block ×3, first 2 shown]
	v_cndmask_b32_e64 v111, v116, v117, s2
	v_bfe_u32 v116, v112, 16, 1
	v_or_b32_e32 v117, 0x400000, v112
	v_cmp_u_f32_e64 s2, v112, v112
	v_add3_u32 v116, v116, v112, 0x7fff
	v_cndmask_b32_e64 v112, v116, v117, s2
	v_bfe_u32 v116, v113, 16, 1
	v_or_b32_e32 v117, 0x400000, v113
	v_cmp_u_f32_e64 s2, v113, v113
	v_add3_u32 v116, v116, v113, 0x7fff
	;; [unrolled: 5-line block ×39, first 2 shown]
	v_cndmask_b32_e64 v73, v116, v117, s2
	v_bfe_u32 v116, v72, 16, 1
	v_or_b32_e32 v117, 0x400000, v72
	v_cmp_u_f32_e64 s2, v72, v72
	v_and_b32_e32 v73, 0xffff0000, v73
	v_add3_u32 v116, v116, v72, 0x7fff
	v_bfe_u32 v72, v71, 16, 1
	v_cndmask_b32_e64 v116, v116, v117, s2
	v_add3_u32 v72, v72, v71, 0x7fff
	v_or_b32_e32 v117, 0x400000, v71
	v_cmp_u_f32_e64 s2, v71, v71
	v_mul_f32_e32 v71, s5, v115
	v_cndmask_b32_e64 v72, v72, v117, s2
	v_bfe_u32 v115, v71, 16, 1
	v_or_b32_e32 v117, 0x400000, v71
	v_cmp_u_f32_e64 s2, v71, v71
	v_add3_u32 v115, v115, v71, 0x7fff
	v_cndmask_b32_e64 v71, v115, v117, s2
	v_and_b32_e32 v115, 0xffff0000, v72
	v_mul_f32_e32 v72, v16, v73
	v_and_b32_e32 v73, 0xffff0000, v74
	v_and_b32_e32 v74, 0xffff0000, v116
	v_fmac_f32_e32 v72, v13, v115
	v_mul_f32_e32 v73, v17, v73
	v_fmac_f32_e32 v73, v15, v74
	v_and_b32_e32 v74, 0xffff0000, v75
	v_fmac_f32_e32 v72, v18, v74
	v_and_b32_e32 v74, 0xffff0000, v76
	;; [unrolled: 2-line block ×40, first 2 shown]
	v_fmac_f32_e32 v72, v59, v8
	v_fmac_f32_e32 v73, v58, v74
	;; [unrolled: 1-line block ×4, first 2 shown]
	v_and_b32_e32 v1, 0xffff0000, v71
	v_fmac_f32_e32 v73, v62, v1
	v_add_f32_e32 v1, v72, v73
	ds_bpermute_b32 v7, v64, v1
	s_waitcnt lgkmcnt(0)
	v_add_f32_e32 v1, v1, v7
	ds_bpermute_b32 v7, v65, v1
	s_and_saveexec_b32 s3, vcc_lo
	s_cbranch_execz .LBB347_9
; %bb.395:                              ;   in Loop: Header=BB347_10 Depth=1
	v_add_nc_u32_e32 v8, s4, v66
	s_waitcnt lgkmcnt(0)
	v_add_f32_e32 v1, v1, v7
	v_cmp_gt_i32_e64 s2, s27, v66
	v_cvt_f32_i32_e32 v8, v8
	v_mul_f32_e32 v8, s36, v8
	v_cndmask_b32_e64 v7, 0, v8, s1
	v_max_f32_e32 v8, v63, v63
	v_fmac_f32_e32 v7, s37, v1
	v_max_f32_e32 v1, v8, v7
	v_cndmask_b32_e64 v7, 0, v7, s2
	v_cndmask_b32_e64 v63, v63, v1, s2
	ds_write_b32 v67, v7
	s_branch .LBB347_9
.LBB347_396:
	s_or_b32 exec_lo, exec_lo, s16
.LBB347_397:
	s_or_b32 exec_lo, exec_lo, s38
	v_xor_b32_e32 v1, 16, v11
	v_xor_b32_e32 v4, 8, v11
	v_max_f32_e32 v5, v63, v63
	v_xor_b32_e32 v6, 4, v11
	v_and_b32_e32 v23, 31, v0
	v_cmp_lt_i32_e32 vcc_lo, v1, v12
	v_cndmask_b32_e32 v1, v11, v1, vcc_lo
	v_cmp_lt_i32_e32 vcc_lo, v4, v12
	v_lshlrev_b32_e32 v3, 2, v1
	v_cndmask_b32_e32 v4, v11, v4, vcc_lo
	v_cmp_lt_i32_e32 vcc_lo, v6, v12
	ds_bpermute_b32 v1, v3, v63
	v_lshlrev_b32_e32 v4, 2, v4
	v_cndmask_b32_e32 v6, v11, v6, vcc_lo
	v_cmp_eq_u32_e32 vcc_lo, 0, v23
	s_waitcnt lgkmcnt(0)
	v_lshlrev_b32_e32 v7, 2, v6
	v_max_f32_e32 v1, v1, v1
	v_max_f32_e32 v1, v5, v1
	ds_bpermute_b32 v5, v4, v1
	s_waitcnt lgkmcnt(0)
	v_max_f32_e32 v5, v5, v5
	v_max_f32_e32 v1, v1, v5
	v_lshlrev_b32_e32 v5, 2, v22
	ds_bpermute_b32 v6, v7, v1
	s_and_saveexec_b32 s1, vcc_lo
	s_cbranch_execz .LBB347_399
; %bb.398:
	s_waitcnt lgkmcnt(0)
	v_max_f32_e32 v6, v6, v6
	v_max_f32_e32 v1, v1, v1
	;; [unrolled: 1-line block ×3, first 2 shown]
	ds_write_b32 v5, v1 offset:384
.LBB347_399:
	s_or_b32 exec_lo, exec_lo, s1
	v_cmp_gt_u32_e64 s1, 4, v23
	v_mov_b32_e32 v1, 0xff7fffff
	s_waitcnt lgkmcnt(0)
	v_lshlrev_b32_e32 v6, 2, v23
	s_barrier
	buffer_gl0_inv
	s_and_saveexec_b32 s2, s1
; %bb.400:
	ds_read_b32 v1, v6 offset:384
; %bb.401:
	s_or_b32 exec_lo, exec_lo, s2
	v_xor_b32_e32 v8, 2, v11
	v_xor_b32_e32 v15, 1, v11
	v_lshlrev_b32_e32 v2, 2, v2
	v_cmp_lt_i32_e64 s2, v8, v12
	v_cndmask_b32_e64 v8, v11, v8, s2
	v_cmp_lt_i32_e64 s2, v15, v12
	v_lshlrev_b32_e32 v8, 2, v8
	v_cndmask_b32_e64 v12, v11, v15, s2
	s_sub_i32 s2, s11, s15
	s_lshl_b32 s2, s2, 3
	s_waitcnt lgkmcnt(0)
	ds_bpermute_b32 v13, v8, v1
	v_max_f32_e32 v1, v1, v1
	v_lshlrev_b32_e32 v12, 2, v12
	s_add_i32 s2, s2, s33
	s_min_i32 s2, s2, s27
	s_sub_i32 s4, s2, s33
	v_cmp_gt_i32_e64 s2, s4, v0
	s_waitcnt lgkmcnt(0)
	v_max_f32_e32 v13, v13, v13
	v_max_f32_e32 v1, v1, v13
	ds_bpermute_b32 v13, v12, v1
	s_waitcnt lgkmcnt(0)
	v_max_f32_e32 v13, v13, v13
	v_max_f32_e32 v1, v1, v13
	v_mov_b32_e32 v13, 0
	ds_bpermute_b32 v1, v2, v1
	v_lshl_add_u32 v2, v0, 2, 0x1a0
	s_and_saveexec_b32 s5, s2
	s_cbranch_execz .LBB347_405
; %bb.402:
	v_lshl_add_u32 v15, v0, 2, 0x1a0
	v_mov_b32_e32 v13, 0
	v_mov_b32_e32 v16, v0
	s_mov_b32 s15, 0
	.p2align	6
.LBB347_403:                            ; =>This Inner Loop Header: Depth=1
	ds_read_b32 v17, v15
	v_add_nc_u32_e32 v16, 0x80, v16
	v_cmp_le_i32_e64 s3, s4, v16
	s_or_b32 s15, s3, s15
	s_waitcnt lgkmcnt(0)
	v_sub_f32_e32 v17, v17, v1
	v_mul_f32_e32 v17, 0x3fb8aa3b, v17
	v_exp_f32_e32 v17, v17
	ds_write_b32 v15, v17
	v_add_f32_e32 v13, v13, v17
	v_add_nc_u32_e32 v15, 0x200, v15
	s_andn2_b32 exec_lo, exec_lo, s15
	s_cbranch_execnz .LBB347_403
; %bb.404:
	s_or_b32 exec_lo, exec_lo, s15
.LBB347_405:
	s_or_b32 exec_lo, exec_lo, s5
	ds_bpermute_b32 v3, v3, v13
	s_waitcnt lgkmcnt(0)
	v_add_f32_e32 v3, v13, v3
	ds_bpermute_b32 v4, v4, v3
	s_waitcnt lgkmcnt(0)
	v_add_f32_e32 v3, v3, v4
	;; [unrolled: 3-line block ×5, first 2 shown]
	s_and_saveexec_b32 s3, vcc_lo
; %bb.406:
	ds_write_b32 v5, v3 offset:400
; %bb.407:
	s_or_b32 exec_lo, exec_lo, s3
	s_waitcnt lgkmcnt(0)
	s_barrier
	buffer_gl0_inv
	s_and_saveexec_b32 s3, s1
; %bb.408:
	ds_read_b32 v3, v6 offset:400
; %bb.409:
	s_or_b32 exec_lo, exec_lo, s3
	s_waitcnt lgkmcnt(0)
	ds_bpermute_b32 v4, v8, v3
	v_lshlrev_b32_e32 v5, 2, v11
	s_waitcnt lgkmcnt(0)
	v_add_f32_e32 v3, v3, v4
	ds_bpermute_b32 v4, v12, v3
	s_waitcnt lgkmcnt(0)
	v_add_f32_e32 v3, v3, v4
	v_and_b32_e32 v4, 0xffffff80, v5
	ds_bpermute_b32 v3, v4, v3
	s_and_saveexec_b32 s1, s2
	s_cbranch_execz .LBB347_412
; %bb.410:
	s_waitcnt lgkmcnt(0)
	v_add_f32_e32 v4, 0x358637bd, v3
	s_mov_b32 s2, 0
	v_div_scale_f32 v5, null, v4, v4, 1.0
	v_div_scale_f32 v8, vcc_lo, 1.0, v4, 1.0
	v_rcp_f32_e32 v6, v5
	v_fma_f32 v7, -v5, v6, 1.0
	v_fmac_f32_e32 v6, v7, v6
	v_mul_f32_e32 v7, v8, v6
	v_fma_f32 v11, -v5, v7, v8
	v_fmac_f32_e32 v7, v11, v6
	v_fma_f32 v5, -v5, v7, v8
	v_div_fmas_f32 v5, v5, v6, v7
	v_div_fixup_f32 v4, v5, v4, 1.0
	v_mov_b32_e32 v5, v0
.LBB347_411:                            ; =>This Inner Loop Header: Depth=1
	ds_read_b32 v6, v2
	v_add_nc_u32_e32 v5, 0x80, v5
	v_cmp_le_i32_e32 vcc_lo, s4, v5
	s_or_b32 s2, vcc_lo, s2
	s_waitcnt lgkmcnt(0)
	v_mul_f32_e32 v6, v4, v6
	ds_write_b32 v2, v6
	v_add_nc_u32_e32 v2, 0x200, v2
	s_andn2_b32 exec_lo, exec_lo, s2
	s_cbranch_execnz .LBB347_411
.LBB347_412:
	s_or_b32 exec_lo, exec_lo, s1
	s_mul_i32 s1, s7, s26
	s_waitcnt lgkmcnt(0)
	s_mul_i32 s2, s1, s9
	s_mov_b32 s1, exec_lo
	s_barrier
	buffer_gl0_inv
	v_cmpx_eq_u32_e32 0, v0
	s_cbranch_execz .LBB347_414
; %bb.413:
	s_ashr_i32 s3, s2, 31
	s_mul_i32 s16, s7, s6
	s_lshl_b64 s[4:5], s[2:3], 2
	v_mov_b32_e32 v2, 0
	s_add_u32 s3, s22, s4
	s_addc_u32 s6, s23, s5
	s_ashr_i32 s17, s16, 31
	s_lshl_b64 s[16:17], s[16:17], 2
	s_add_u32 s3, s3, s16
	s_addc_u32 s6, s6, s17
	s_ashr_i32 s9, s8, 31
	s_lshl_b64 s[22:23], s[8:9], 2
	s_add_u32 s36, s3, s22
	s_addc_u32 s37, s6, s23
	s_add_u32 s3, s20, s4
	s_addc_u32 s4, s21, s5
	;; [unrolled: 2-line block ×4, first 2 shown]
	global_store_dword v2, v1, s[36:37]
	global_store_dword v2, v3, s[4:5]
.LBB347_414:
	s_or_b32 exec_lo, exec_lo, s1
	v_mov_b32_e32 v29, 0
	v_mov_b32_e32 v28, 0
	;; [unrolled: 1-line block ×6, first 2 shown]
	s_and_saveexec_b32 s1, s0
	s_cbranch_execz .LBB347_790
; %bb.415:
	s_load_dword s6, s[18:19], 0x0
	v_lshlrev_b32_e32 v1, 3, v23
	s_ashr_i32 s0, s14, 31
	s_add_u32 s4, s34, s14
	s_addc_u32 s0, s35, s0
	s_add_i32 s12, s12, -1
	v_add_co_u32 v12, s4, s4, v1
	v_lshlrev_b64 v[1:2], 2, v[9:10]
	v_add_co_ci_u32_e64 v13, null, s0, 0, s4
	s_lshl_b64 s[4:5], s[30:31], 2
	v_add3_u32 v30, s33, v14, 7
	s_add_u32 s0, s28, s4
	s_addc_u32 s4, s29, s5
	v_add_co_u32 v14, vcc_lo, s0, v1
	v_mov_b32_e32 v11, 0
	v_lshl_add_u32 v31, v22, 5, 0x1a0
	v_add_co_ci_u32_e64 v15, null, s4, v2, vcc_lo
	v_mov_b32_e32 v32, 0x80
	v_mov_b32_e32 v33, 0xffff
	;; [unrolled: 1-line block ×11, first 2 shown]
	s_mov_b32 s4, -1
	s_mov_b32 s3, s13
	s_mov_b32 s5, 0xffffff
	;; [unrolled: 1-line block ×3, first 2 shown]
	s_branch .LBB347_417
.LBB347_416:                            ;   in Loop: Header=BB347_417 Depth=1
	s_or_b32 exec_lo, exec_lo, s0
	v_bfe_u32 v45, v5, 16, 1
	v_bfe_u32 v46, v6, 16, 1
	v_or_b32_e32 v47, 0x400000, v5
	v_cmp_u_f32_e32 vcc_lo, v5, v5
	v_or_b32_e32 v48, 0x400000, v6
	v_add3_u32 v45, v45, v5, 0x7fff
	v_bfe_u32 v49, v7, 16, 1
	v_add3_u32 v46, v46, v6, 0x7fff
	v_bfe_u32 v50, v8, 16, 1
	v_lshlrev_b32_e32 v20, 16, v20
	v_cndmask_b32_e32 v5, v45, v47, vcc_lo
	v_cmp_u_f32_e32 vcc_lo, v6, v6
	v_add3_u32 v45, v49, v7, 0x7fff
	v_add3_u32 v47, v50, v8, 0x7fff
	v_bfe_u32 v49, v1, 16, 1
	v_and_b32_e32 v5, 0xffff0000, v5
	v_cndmask_b32_e32 v6, v46, v48, vcc_lo
	v_or_b32_e32 v46, 0x400000, v7
	v_cmp_u_f32_e32 vcc_lo, v7, v7
	v_or_b32_e32 v48, 0x400000, v8
	v_or_b32_e32 v50, 0x400000, v4
	v_lshlrev_b32_e32 v21, 16, v21
	v_lshlrev_b32_e32 v77, 16, v77
	v_cndmask_b32_e32 v7, v45, v46, vcc_lo
	v_cmp_u_f32_e32 vcc_lo, v8, v8
	v_bfe_u32 v45, v2, 16, 1
	v_add3_u32 v46, v49, v1, 0x7fff
	v_bfe_u32 v49, v3, 16, 1
	v_lshlrev_b32_e32 v70, 16, v70
	v_cndmask_b32_e32 v8, v47, v48, vcc_lo
	v_or_b32_e32 v47, 0x400000, v1
	v_cmp_u_f32_e32 vcc_lo, v1, v1
	v_add3_u32 v45, v45, v2, 0x7fff
	v_or_b32_e32 v48, 0x400000, v2
	v_and_b32_e32 v1, 0xffff0000, v6
	v_lshlrev_b32_e32 v6, 16, v81
	v_cndmask_b32_e32 v46, v46, v47, vcc_lo
	v_cmp_u_f32_e32 vcc_lo, v2, v2
	v_add3_u32 v2, v49, v3, 0x7fff
	v_bfe_u32 v47, v4, 16, 1
	v_or_b32_e32 v49, 0x400000, v3
	v_mul_f32_e32 v6, v1, v6
	v_cndmask_b32_e32 v45, v45, v48, vcc_lo
	v_lshlrev_b32_e32 v48, 16, v80
	v_cmp_u_f32_e32 vcc_lo, v3, v3
	v_add3_u32 v47, v47, v4, 0x7fff
	v_bfe_u32 v3, v6, 16, 1
	v_lshlrev_b32_e32 v62, 16, v62
	v_mul_f32_e32 v48, v5, v48
	v_cndmask_b32_e32 v49, v2, v49, vcc_lo
	v_cmp_u_f32_e32 vcc_lo, v4, v4
	v_and_b32_e32 v2, 0xffff0000, v8
	v_lshlrev_b32_e32 v8, 16, v78
	v_add3_u32 v3, v3, v6, 0x7fff
	v_or_b32_e32 v51, 0x400000, v48
	v_cndmask_b32_e32 v4, v47, v50, vcc_lo
	v_bfe_u32 v47, v48, 16, 1
	v_or_b32_e32 v50, 0x400000, v6
	v_mul_f32_e32 v78, v2, v8
	v_and_b32_e32 v8, 0xffff0000, v7
	v_lshlrev_b32_e32 v7, 16, v79
	v_cmp_u_f32_e32 vcc_lo, v6, v6
	v_add3_u32 v47, v47, v48, 0x7fff
	v_and_b32_e32 v6, 0xffff0000, v46
	v_or_b32_e32 v46, 0x400000, v78
	v_mul_f32_e32 v7, v8, v7
	v_cndmask_b32_e32 v50, v3, v50, vcc_lo
	v_cmp_u_f32_e32 vcc_lo, v48, v48
	v_bfe_u32 v48, v78, 16, 1
	v_and_b32_e32 v3, 0xffff0000, v45
	v_mul_f32_e32 v21, v6, v21
	v_and_b32_e32 v4, 0xffff0000, v4
	v_cndmask_b32_e32 v47, v47, v51, vcc_lo
	v_add3_u32 v45, v48, v78, 0x7fff
	v_bfe_u32 v48, v7, 16, 1
	v_mul_f32_e32 v20, v3, v20
	v_cmp_u_f32_e32 vcc_lo, v78, v78
	v_bfe_u32 v78, v21, 16, 1
	v_mul_f32_e32 v77, v4, v77
	v_and_b32_e32 v47, 0xffff0000, v47
	v_bfe_u32 v51, v20, 16, 1
	v_cndmask_b32_e32 v45, v45, v46, vcc_lo
	v_add3_u32 v46, v48, v7, 0x7fff
	v_or_b32_e32 v48, 0x400000, v7
	v_cmp_u_f32_e32 vcc_lo, v7, v7
	v_and_b32_e32 v7, 0xffff0000, v49
	v_lshlrev_b32_e32 v49, 16, v76
	v_add3_u32 v78, v78, v21, 0x7fff
	v_or_b32_e32 v76, 0x400000, v21
	v_cndmask_b32_e32 v46, v46, v48, vcc_lo
	v_add3_u32 v48, v51, v20, 0x7fff
	v_or_b32_e32 v51, 0x400000, v20
	v_cmp_u_f32_e32 vcc_lo, v20, v20
	v_bfe_u32 v79, v77, 16, 1
	v_and_b32_e32 v46, 0xffff0000, v46
	v_and_b32_e32 v45, 0xffff0000, v45
	;; [unrolled: 1-line block ×3, first 2 shown]
	v_cndmask_b32_e32 v20, v48, v51, vcc_lo
	v_mul_f32_e32 v48, v7, v49
	v_cmp_u_f32_e32 vcc_lo, v21, v21
	v_add3_u32 v49, v79, v77, 0x7fff
	v_or_b32_e32 v51, 0x400000, v77
	v_add_f32_e32 v45, v46, v45
	v_lshlrev_b32_e32 v46, 16, v75
	v_cndmask_b32_e32 v21, v78, v76, vcc_lo
	v_bfe_u32 v76, v48, 16, 1
	v_cmp_u_f32_e32 vcc_lo, v77, v77
	v_add_f32_e32 v47, v47, v50
	v_and_b32_e32 v20, 0xffff0000, v20
	v_and_b32_e32 v21, 0xffff0000, v21
	v_lshlrev_b32_e32 v50, 16, v74
	v_cndmask_b32_e32 v49, v49, v51, vcc_lo
	v_add3_u32 v51, v76, v48, 0x7fff
	v_or_b32_e32 v76, 0x400000, v48
	v_cmp_u_f32_e32 vcc_lo, v48, v48
	v_mul_f32_e32 v46, v1, v46
	v_add_f32_e32 v45, v45, v47
	v_add_f32_e32 v20, v21, v20
	v_mul_f32_e32 v21, v5, v50
	v_cndmask_b32_e32 v48, v51, v76, vcc_lo
	v_lshlrev_b32_e32 v50, 16, v71
	v_cmp_u_f32_e32 vcc_lo, v46, v46
	v_add_f32_e32 v20, v20, v45
	v_bfe_u32 v45, v21, 16, 1
	v_and_b32_e32 v47, 0xffff0000, v48
	v_and_b32_e32 v48, 0xffff0000, v49
	v_bfe_u32 v49, v46, 16, 1
	v_mul_f32_e32 v50, v2, v50
	v_add3_u32 v45, v45, v21, 0x7fff
	v_or_b32_e32 v51, 0x400000, v21
	v_add_f32_e32 v47, v47, v48
	v_add3_u32 v48, v49, v46, 0x7fff
	v_or_b32_e32 v49, 0x400000, v46
	v_lshlrev_b32_e32 v71, 16, v73
	v_lshlrev_b32_e32 v57, 16, v57
	v_add_f32_e32 v20, v47, v20
	v_lshlrev_b32_e32 v52, 16, v52
	v_cndmask_b32_e32 v46, v48, v49, vcc_lo
	v_cmp_u_f32_e32 vcc_lo, v21, v21
	v_bfe_u32 v48, v50, 16, 1
	v_lshlrev_b32_e32 v49, 16, v68
	v_lshlrev_b32_e32 v68, 16, v69
	v_and_b32_e32 v46, 0xffff0000, v46
	v_cndmask_b32_e32 v21, v45, v51, vcc_lo
	v_mul_f32_e32 v45, v8, v71
	v_add3_u32 v48, v48, v50, 0x7fff
	v_or_b32_e32 v51, 0x400000, v50
	v_mul_f32_e32 v49, v3, v49
	v_cmp_u_f32_e32 vcc_lo, v50, v50
	v_bfe_u32 v69, v45, 16, 1
	v_mul_f32_e32 v50, v6, v68
	v_or_b32_e32 v68, 0x400000, v45
	v_lshlrev_b32_e32 v71, 16, v72
	v_cndmask_b32_e32 v48, v48, v51, vcc_lo
	v_add3_u32 v51, v69, v45, 0x7fff
	v_bfe_u32 v69, v49, 16, 1
	v_cmp_u_f32_e32 vcc_lo, v45, v45
	v_bfe_u32 v72, v50, 16, 1
	v_and_b32_e32 v21, 0xffff0000, v21
	v_and_b32_e32 v48, 0xffff0000, v48
	v_add_f32_e32 v25, v25, v20
	v_cndmask_b32_e32 v45, v51, v68, vcc_lo
	v_add3_u32 v51, v69, v49, 0x7fff
	v_mul_f32_e32 v68, v4, v71
	v_or_b32_e32 v69, 0x400000, v49
	v_cmp_u_f32_e32 vcc_lo, v49, v49
	v_add3_u32 v71, v72, v50, 0x7fff
	v_or_b32_e32 v72, 0x400000, v50
	v_bfe_u32 v73, v68, 16, 1
	v_and_b32_e32 v45, 0xffff0000, v45
	v_cndmask_b32_e32 v49, v51, v69, vcc_lo
	v_mul_f32_e32 v51, v7, v70
	v_cmp_u_f32_e32 vcc_lo, v50, v50
	v_add3_u32 v69, v73, v68, 0x7fff
	v_or_b32_e32 v70, 0x400000, v68
	v_add_f32_e32 v21, v21, v46
	v_add_f32_e32 v45, v45, v48
	v_cndmask_b32_e32 v50, v71, v72, vcc_lo
	v_bfe_u32 v71, v51, 16, 1
	v_cmp_u_f32_e32 vcc_lo, v68, v68
	v_and_b32_e32 v48, 0xffff0000, v49
	v_add_f32_e32 v21, v45, v21
	v_and_b32_e32 v46, 0xffff0000, v50
	v_lshlrev_b32_e32 v45, 16, v67
	v_cndmask_b32_e32 v68, v69, v70, vcc_lo
	v_add3_u32 v69, v71, v51, 0x7fff
	v_or_b32_e32 v70, 0x400000, v51
	v_cmp_u_f32_e32 vcc_lo, v51, v51
	v_add_f32_e32 v46, v46, v48
	v_lshlrev_b32_e32 v48, 16, v66
	v_and_b32_e32 v50, 0xffff0000, v68
	v_mul_f32_e32 v45, v1, v45
	v_cndmask_b32_e32 v49, v69, v70, vcc_lo
	v_add_f32_e32 v21, v46, v21
	v_mul_f32_e32 v47, v5, v48
	v_lshlrev_b32_e32 v51, 16, v65
	v_bfe_u32 v48, v45, 16, 1
	v_and_b32_e32 v49, 0xffff0000, v49
	v_cmp_u_f32_e32 vcc_lo, v45, v45
	v_lshlrev_b32_e32 v53, 16, v53
	v_lshlrev_b32_e32 v44, 16, v44
	;; [unrolled: 1-line block ×3, first 2 shown]
	v_add_f32_e32 v46, v49, v50
	v_bfe_u32 v49, v47, 16, 1
	v_lshlrev_b32_e32 v50, 16, v63
	v_mul_f32_e32 v44, v1, v44
	v_lshlrev_b32_e32 v40, 16, v40
	v_add_f32_e32 v20, v46, v21
	v_add3_u32 v21, v48, v45, 0x7fff
	v_or_b32_e32 v46, 0x400000, v45
	v_add3_u32 v48, v49, v47, 0x7fff
	v_mul_f32_e32 v49, v2, v50
	v_or_b32_e32 v50, 0x400000, v47
	v_mul_f32_e32 v43, v5, v43
	v_cndmask_b32_e32 v21, v21, v46, vcc_lo
	v_cmp_u_f32_e32 vcc_lo, v47, v47
	v_bfe_u32 v45, v49, 16, 1
	v_mul_f32_e32 v47, v8, v51
	v_lshlrev_b32_e32 v51, 16, v61
	v_lshlrev_b32_e32 v61, 16, v64
	v_cndmask_b32_e32 v46, v48, v50, vcc_lo
	v_lshlrev_b32_e32 v48, 16, v60
	v_add3_u32 v45, v45, v49, 0x7fff
	v_or_b32_e32 v50, 0x400000, v49
	v_bfe_u32 v60, v47, 16, 1
	v_cmp_u_f32_e32 vcc_lo, v49, v49
	v_mul_f32_e32 v48, v3, v48
	v_mul_f32_e32 v49, v6, v51
	v_or_b32_e32 v51, 0x400000, v47
	v_and_b32_e32 v46, 0xffff0000, v46
	v_cndmask_b32_e32 v45, v45, v50, vcc_lo
	v_add3_u32 v50, v60, v47, 0x7fff
	v_bfe_u32 v60, v48, 16, 1
	v_cmp_u_f32_e32 vcc_lo, v47, v47
	v_bfe_u32 v63, v49, 16, 1
	v_and_b32_e32 v21, 0xffff0000, v21
	v_and_b32_e32 v45, 0xffff0000, v45
	v_mul_f32_e32 v40, v2, v40
	v_cndmask_b32_e32 v47, v50, v51, vcc_lo
	v_add3_u32 v50, v60, v48, 0x7fff
	v_mul_f32_e32 v51, v4, v61
	v_or_b32_e32 v60, 0x400000, v48
	v_cmp_u_f32_e32 vcc_lo, v48, v48
	v_add3_u32 v61, v63, v49, 0x7fff
	v_or_b32_e32 v63, 0x400000, v49
	v_bfe_u32 v64, v51, 16, 1
	v_and_b32_e32 v47, 0xffff0000, v47
	v_cndmask_b32_e32 v48, v50, v60, vcc_lo
	v_mul_f32_e32 v50, v7, v62
	v_cmp_u_f32_e32 vcc_lo, v49, v49
	v_add3_u32 v60, v64, v51, 0x7fff
	v_add_f32_e32 v21, v46, v21
	v_add_f32_e32 v45, v47, v45
	v_bfe_u32 v62, v50, 16, 1
	v_cndmask_b32_e32 v49, v61, v63, vcc_lo
	v_or_b32_e32 v61, 0x400000, v51
	v_cmp_u_f32_e32 vcc_lo, v51, v51
	v_and_b32_e32 v47, 0xffff0000, v48
	v_lshlrev_b32_e32 v48, 16, v59
	v_and_b32_e32 v46, 0xffff0000, v49
	v_add_f32_e32 v21, v45, v21
	v_cndmask_b32_e32 v51, v60, v61, vcc_lo
	v_add3_u32 v60, v62, v50, 0x7fff
	v_or_b32_e32 v61, 0x400000, v50
	v_cmp_u_f32_e32 vcc_lo, v50, v50
	v_lshlrev_b32_e32 v50, 16, v58
	v_add_f32_e32 v45, v46, v47
	v_mul_f32_e32 v46, v1, v48
	v_lshlrev_b32_e32 v42, 16, v42
	v_cndmask_b32_e32 v49, v60, v61, vcc_lo
	v_mul_f32_e32 v48, v5, v50
	v_lshlrev_b32_e32 v50, 16, v55
	v_add_f32_e32 v21, v45, v21
	v_cmp_u_f32_e32 vcc_lo, v46, v46
	v_and_b32_e32 v47, 0xffff0000, v49
	v_and_b32_e32 v49, 0xffff0000, v51
	v_bfe_u32 v51, v46, 16, 1
	v_bfe_u32 v55, v48, 16, 1
	v_lshlrev_b32_e32 v38, 16, v38
	v_mul_f32_e32 v42, v8, v42
	v_add_f32_e32 v45, v47, v49
	v_mul_f32_e32 v47, v2, v50
	v_add3_u32 v49, v51, v46, 0x7fff
	v_or_b32_e32 v50, 0x400000, v46
	v_add3_u32 v51, v55, v48, 0x7fff
	v_or_b32_e32 v55, 0x400000, v48
	v_bfe_u32 v58, v47, 16, 1
	v_mul_f32_e32 v38, v3, v38
	v_cndmask_b32_e32 v46, v49, v50, vcc_lo
	v_cmp_u_f32_e32 vcc_lo, v48, v48
	v_mul_f32_e32 v49, v8, v57
	v_add3_u32 v50, v58, v47, 0x7fff
	v_lshlrev_b32_e32 v37, 16, v37
	v_and_b32_e32 v46, 0xffff0000, v46
	v_cndmask_b32_e32 v48, v51, v55, vcc_lo
	v_or_b32_e32 v51, 0x400000, v47
	v_cmp_u_f32_e32 vcc_lo, v47, v47
	v_bfe_u32 v55, v49, 16, 1
	v_lshlrev_b32_e32 v41, 16, v41
	v_and_b32_e32 v48, 0xffff0000, v48
	v_mul_f32_e32 v37, v6, v37
	v_cndmask_b32_e32 v47, v50, v51, vcc_lo
	v_mul_f32_e32 v50, v3, v52
	v_mul_f32_e32 v51, v6, v53
	v_add3_u32 v52, v55, v49, 0x7fff
	v_or_b32_e32 v53, 0x400000, v49
	v_lshlrev_b32_e32 v55, 16, v56
	v_bfe_u32 v56, v50, 16, 1
	v_cmp_u_f32_e32 vcc_lo, v49, v49
	v_bfe_u32 v57, v51, 16, 1
	v_and_b32_e32 v47, 0xffff0000, v47
	v_add_f32_e32 v46, v48, v46
	v_mul_f32_e32 v41, v4, v41
	v_cndmask_b32_e32 v49, v52, v53, vcc_lo
	v_mul_f32_e32 v52, v4, v55
	v_add3_u32 v53, v56, v50, 0x7fff
	v_or_b32_e32 v55, 0x400000, v50
	v_cmp_u_f32_e32 vcc_lo, v50, v50
	v_add3_u32 v56, v57, v51, 0x7fff
	v_or_b32_e32 v57, 0x400000, v51
	v_bfe_u32 v58, v52, 16, 1
	v_and_b32_e32 v49, 0xffff0000, v49
	v_cndmask_b32_e32 v50, v53, v55, vcc_lo
	v_lshlrev_b32_e32 v53, 16, v54
	v_cmp_u_f32_e32 vcc_lo, v51, v51
	v_add3_u32 v54, v58, v52, 0x7fff
	v_or_b32_e32 v55, 0x400000, v52
	v_add_f32_e32 v47, v49, v47
	v_mul_f32_e32 v53, v7, v53
	v_cndmask_b32_e32 v51, v56, v57, vcc_lo
	v_cmp_u_f32_e32 vcc_lo, v52, v52
	v_and_b32_e32 v49, 0xffff0000, v50
	v_add_f32_e32 v46, v47, v46
	v_lshlrev_b32_e32 v39, 16, v39
	v_and_b32_e32 v48, 0xffff0000, v51
	v_cndmask_b32_e32 v52, v54, v55, vcc_lo
	v_bfe_u32 v54, v53, 16, 1
	v_or_b32_e32 v51, 0x400000, v53
	v_cmp_u_f32_e32 vcc_lo, v53, v53
	v_add_f32_e32 v47, v48, v49
	v_bfe_u32 v49, v44, 16, 1
	v_add3_u32 v50, v54, v53, 0x7fff
	v_mul_f32_e32 v39, v7, v39
	v_lshlrev_b32_e32 v17, 16, v17
	v_add_f32_e32 v46, v47, v46
	v_lshlrev_b32_e32 v16, 16, v16
	v_cndmask_b32_e32 v48, v50, v51, vcc_lo
	v_bfe_u32 v51, v43, 16, 1
	v_cmp_u_f32_e32 vcc_lo, v44, v44
	v_and_b32_e32 v50, 0xffff0000, v52
	v_or_b32_e32 v52, 0x400000, v40
	v_and_b32_e32 v47, 0xffff0000, v48
	v_add3_u32 v48, v49, v44, 0x7fff
	v_or_b32_e32 v49, 0x400000, v44
	v_mul_f32_e32 v2, v2, v17
	v_mul_f32_e32 v6, v6, v16
	v_lshlrev_b32_e32 v10, 16, v10
	v_lshlrev_b32_e32 v18, 16, v18
	v_cndmask_b32_e32 v44, v48, v49, vcc_lo
	v_bfe_u32 v48, v40, 16, 1
	v_add3_u32 v49, v51, v43, 0x7fff
	v_or_b32_e32 v51, 0x400000, v43
	v_cmp_u_f32_e32 vcc_lo, v43, v43
	v_and_b32_e32 v44, 0xffff0000, v44
	v_add3_u32 v48, v48, v40, 0x7fff
	v_mul_f32_e32 v3, v3, v10
	v_lshlrev_b32_e32 v10, 16, v19
	v_cndmask_b32_e32 v43, v49, v51, vcc_lo
	v_bfe_u32 v49, v42, 16, 1
	v_cmp_u_f32_e32 vcc_lo, v40, v40
	v_or_b32_e32 v51, 0x400000, v42
	v_mul_f32_e32 v7, v7, v10
	v_and_b32_e32 v43, 0xffff0000, v43
	v_add3_u32 v49, v49, v42, 0x7fff
	v_cndmask_b32_e32 v40, v48, v52, vcc_lo
	v_bfe_u32 v48, v38, 16, 1
	v_cmp_u_f32_e32 vcc_lo, v42, v42
	v_or_b32_e32 v52, 0x400000, v38
	v_add_f32_e32 v43, v43, v44
	v_and_b32_e32 v40, 0xffff0000, v40
	v_add3_u32 v48, v48, v38, 0x7fff
	v_cndmask_b32_e32 v42, v49, v51, vcc_lo
	v_bfe_u32 v49, v37, 16, 1
	v_cmp_u_f32_e32 vcc_lo, v38, v38
	v_bfe_u32 v51, v41, 16, 1
	v_mul_f32_e32 v4, v4, v18
	v_and_b32_e32 v42, 0xffff0000, v42
	v_or_b32_e32 v10, 0x400000, v6
	v_cndmask_b32_e32 v38, v48, v52, vcc_lo
	v_add3_u32 v48, v49, v37, 0x7fff
	v_or_b32_e32 v49, 0x400000, v37
	v_cmp_u_f32_e32 vcc_lo, v37, v37
	v_add3_u32 v51, v51, v41, 0x7fff
	v_or_b32_e32 v52, 0x400000, v41
	v_add_f32_e32 v40, v42, v40
	v_and_b32_e32 v38, 0xffff0000, v38
	v_cndmask_b32_e32 v37, v48, v49, vcc_lo
	v_cmp_u_f32_e32 vcc_lo, v41, v41
	v_bfe_u32 v48, v39, 16, 1
	v_lshlrev_b32_e32 v42, 16, v83
	v_or_b32_e32 v49, 0x400000, v39
	v_and_b32_e32 v37, 0xffff0000, v37
	v_cndmask_b32_e32 v41, v51, v52, vcc_lo
	v_lshlrev_b32_e32 v51, 16, v84
	v_add3_u32 v48, v48, v39, 0x7fff
	v_cmp_u_f32_e32 vcc_lo, v39, v39
	v_add_f32_e32 v40, v40, v43
	v_add_f32_e32 v37, v37, v38
	v_mul_f32_e32 v5, v5, v51
	v_mul_f32_e32 v1, v1, v42
	v_lshlrev_b32_e32 v38, 16, v82
	v_cndmask_b32_e32 v39, v48, v49, vcc_lo
	v_or_b32_e32 v18, 0x400000, v3
	v_bfe_u32 v43, v5, 16, 1
	v_bfe_u32 v44, v1, 16, 1
	v_mul_f32_e32 v8, v8, v38
	v_cmp_u_f32_e32 vcc_lo, v5, v5
	v_bfe_u32 v19, v7, 16, 1
	v_add3_u32 v42, v43, v5, 0x7fff
	v_or_b32_e32 v43, 0x400000, v5
	v_add3_u32 v38, v44, v1, 0x7fff
	v_and_b32_e32 v39, 0xffff0000, v39
	v_add_nc_u32_e32 v9, 4, v9
	v_add_co_u32 v14, s0, v14, 16
	v_cndmask_b32_e32 v5, v42, v43, vcc_lo
	v_or_b32_e32 v42, 0x400000, v1
	v_bfe_u32 v43, v8, 16, 1
	v_cmp_u_f32_e32 vcc_lo, v1, v1
	v_add_f32_e32 v26, v26, v20
	v_and_b32_e32 v5, 0xffff0000, v5
	v_add_nc_u32_e32 v30, 32, v30
	v_add3_u32 v17, v43, v8, 0x7fff
	v_cndmask_b32_e32 v1, v38, v42, vcc_lo
	v_or_b32_e32 v38, 0x400000, v8
	v_bfe_u32 v42, v2, 16, 1
	v_cmp_u_f32_e32 vcc_lo, v8, v8
	v_add_nc_u32_e32 v31, 0x80, v31
	v_and_b32_e32 v1, 0xffff0000, v1
	v_add_co_ci_u32_e64 v15, null, 0, v15, s0
	v_cndmask_b32_e32 v8, v17, v38, vcc_lo
	v_add3_u32 v16, v42, v2, 0x7fff
	v_or_b32_e32 v17, 0x400000, v2
	v_bfe_u32 v38, v6, 16, 1
	v_cmp_u_f32_e32 vcc_lo, v2, v2
	v_and_b32_e32 v8, 0xffff0000, v8
	v_add_f32_e32 v1, v5, v1
	v_cndmask_b32_e32 v2, v16, v17, vcc_lo
	v_bfe_u32 v16, v3, 16, 1
	v_add3_u32 v17, v38, v6, 0x7fff
	v_cmp_u_f32_e32 vcc_lo, v6, v6
	v_bfe_u32 v38, v4, 16, 1
	v_and_b32_e32 v2, 0xffff0000, v2
	v_add3_u32 v16, v16, v3, 0x7fff
	v_cndmask_b32_e32 v6, v17, v10, vcc_lo
	v_cmp_u_f32_e32 vcc_lo, v3, v3
	v_or_b32_e32 v17, 0x400000, v4
	v_add3_u32 v10, v19, v7, 0x7fff
	v_add_f32_e32 v2, v8, v2
	v_and_b32_e32 v5, 0xffff0000, v6
	v_cndmask_b32_e32 v3, v16, v18, vcc_lo
	v_add3_u32 v16, v38, v4, 0x7fff
	v_cmp_u_f32_e32 vcc_lo, v4, v4
	v_or_b32_e32 v18, 0x400000, v7
	v_add_f32_e32 v1, v2, v1
	v_and_b32_e32 v3, 0xffff0000, v3
	v_cndmask_b32_e32 v4, v16, v17, vcc_lo
	v_cmp_u_f32_e32 vcc_lo, v7, v7
	v_and_b32_e32 v7, 0xffff0000, v41
	v_add_f32_e32 v2, v5, v3
	v_add_f32_e32 v5, v47, v50
	v_and_b32_e32 v3, 0xffff0000, v4
	v_cndmask_b32_e32 v6, v10, v18, vcc_lo
	v_add_f32_e32 v7, v39, v7
	v_add_f32_e32 v1, v2, v1
	v_cmp_le_i32_e32 vcc_lo, s11, v9
	v_and_b32_e32 v4, 0xffff0000, v6
	v_add_f32_e32 v6, v37, v40
	s_or_b32 s9, vcc_lo, s9
	v_add_f32_e32 v2, v4, v3
	v_add_f32_e32 v3, v45, v21
	v_add_f32_e32 v4, v5, v46
	v_add_f32_e32 v5, v7, v6
	v_add_f32_e32 v1, v2, v1
	v_add_f32_e32 v27, v27, v3
	v_add_f32_e32 v28, v28, v4
	v_add_f32_e32 v29, v29, v5
	v_add_f32_e32 v24, v24, v1
	s_andn2_b32 exec_lo, exec_lo, s9
	s_cbranch_execz .LBB347_789
.LBB347_417:                            ; =>This Inner Loop Header: Depth=1
	global_load_dword v1, v[14:15], off
	v_mov_b32_e32 v39, 0
	s_waitcnt vmcnt(0)
	v_mad_i64_i32 v[16:17], null, v1, s3, v[12:13]
	global_load_dwordx2 v[18:19], v[16:17], off
	ds_read2_b64 v[5:8], v31 offset1:1
	ds_read2_b64 v[1:4], v31 offset0:2 offset1:3
	s_waitcnt vmcnt(0)
	v_cmp_ne_u16_sdwa s13, v18, v11 src0_sel:BYTE_0 src1_sel:DWORD
	s_and_saveexec_b32 s0, s13
	s_cbranch_execz .LBB347_423
; %bb.418:                              ;   in Loop: Header=BB347_417 Depth=1
	v_cmp_ne_u16_sdwa s14, v18, v32 src0_sel:BYTE_0 src1_sel:DWORD
	v_bfrev_b32_e32 v39, 1
	s_and_saveexec_b32 s13, s14
	s_cbranch_execz .LBB347_422
; %bb.419:                              ;   in Loop: Header=BB347_417 Depth=1
	v_and_b32_e32 v10, 0x7f, v18
	v_mov_b32_e32 v39, 0x7f800001
	s_mov_b32 s14, exec_lo
	v_cmpx_ne_u32_e32 0x7f, v10
	s_cbranch_execz .LBB347_421
; %bb.420:                              ;   in Loop: Header=BB347_417 Depth=1
	v_and_b32_e32 v20, 7, v18
	v_lshrrev_b32_e32 v21, 3, v10
	v_cmp_gt_u32_e32 vcc_lo, 8, v10
	v_ffbh_u32_e32 v20, v20
	v_min_u32_e32 v20, 32, v20
	v_subrev_nc_u32_e32 v37, 28, v20
	v_sub_nc_u32_e32 v20, 29, v20
	v_cndmask_b32_e32 v10, v21, v20, vcc_lo
	v_cndmask_b32_e32 v20, 0, v37, vcc_lo
	v_lshl_add_u32 v10, v10, 23, 0x3c000000
	v_lshlrev_b64 v[20:21], v20, v[18:19]
	v_lshlrev_b32_e32 v21, 24, v18
	v_lshlrev_b32_e32 v20, 20, v20
	v_and_b32_e32 v21, 0x80000000, v21
	v_and_b32_e32 v20, 0x700000, v20
	v_or3_b32 v39, v20, v21, v10
.LBB347_421:                            ;   in Loop: Header=BB347_417 Depth=1
	s_or_b32 exec_lo, exec_lo, s14
.LBB347_422:                            ;   in Loop: Header=BB347_417 Depth=1
	s_or_b32 exec_lo, exec_lo, s13
.LBB347_423:                            ;   in Loop: Header=BB347_417 Depth=1
	s_or_b32 exec_lo, exec_lo, s0
	v_cmp_ne_u16_sdwa s13, v18, v11 src0_sel:BYTE_1 src1_sel:DWORD
	v_mov_b32_e32 v38, 0
	v_mov_b32_e32 v37, 0
	s_and_saveexec_b32 s0, s13
	s_cbranch_execz .LBB347_431
; %bb.424:                              ;   in Loop: Header=BB347_417 Depth=1
	v_cmp_ne_u16_sdwa s14, v18, v32 src0_sel:BYTE_1 src1_sel:DWORD
	v_bfrev_b32_e32 v37, 1
	s_and_saveexec_b32 s13, s14
	s_cbranch_execz .LBB347_430
; %bb.425:                              ;   in Loop: Header=BB347_417 Depth=1
	v_and_b32_sdwa v10, v33, v18 dst_sel:DWORD dst_unused:UNUSED_PAD src0_sel:DWORD src1_sel:BYTE_1
	v_mov_b32_e32 v37, 0x7f800001
	s_mov_b32 s14, exec_lo
	v_and_b32_e32 v21, 0x7f, v10
	v_cmpx_ne_u32_e32 0x7f, v21
	s_cbranch_execz .LBB347_429
; %bb.426:                              ;   in Loop: Header=BB347_417 Depth=1
	v_and_b32_e32 v10, 7, v10
	v_lshrrev_b32_e32 v20, 3, v21
	s_mov_b32 s15, exec_lo
	v_cmpx_gt_u32_e32 8, v21
; %bb.427:                              ;   in Loop: Header=BB347_417 Depth=1
	v_ffbh_u32_e32 v20, v10
	v_min_u32_e32 v20, 32, v20
	v_subrev_nc_u32_e32 v21, 28, v20
	v_sub_nc_u32_e32 v20, 29, v20
	v_lshlrev_b64 v[40:41], v21, v[10:11]
	v_and_b32_e32 v10, 7, v40
; %bb.428:                              ;   in Loop: Header=BB347_417 Depth=1
	s_or_b32 exec_lo, exec_lo, s15
	v_lshlrev_b32_e32 v21, 16, v18
	v_lshlrev_b32_e32 v10, 20, v10
	v_lshl_add_u32 v20, v20, 23, 0x3c000000
	v_and_b32_e32 v21, 0x80000000, v21
	v_or3_b32 v37, v10, v21, v20
.LBB347_429:                            ;   in Loop: Header=BB347_417 Depth=1
	s_or_b32 exec_lo, exec_lo, s14
.LBB347_430:                            ;   in Loop: Header=BB347_417 Depth=1
	s_or_b32 exec_lo, exec_lo, s13
.LBB347_431:                            ;   in Loop: Header=BB347_417 Depth=1
	s_or_b32 exec_lo, exec_lo, s0
	v_and_b32_sdwa v10, v18, v34 dst_sel:DWORD dst_unused:UNUSED_PAD src0_sel:WORD_1 src1_sel:DWORD
	s_mov_b32 s0, exec_lo
	v_cmpx_ne_u16_e32 0, v10
	s_cbranch_execz .LBB347_439
; %bb.432:                              ;   in Loop: Header=BB347_417 Depth=1
	v_bfrev_b32_e32 v38, 1
	s_mov_b32 s13, exec_lo
	v_cmpx_ne_u16_e32 0x80, v10
	s_cbranch_execz .LBB347_438
; %bb.433:                              ;   in Loop: Header=BB347_417 Depth=1
	v_bfe_u32 v21, v18, 16, 7
	v_mov_b32_e32 v38, 0x7f800001
	s_mov_b32 s14, exec_lo
	v_cmpx_ne_u32_e32 0x7f, v21
	s_cbranch_execz .LBB347_437
; %bb.434:                              ;   in Loop: Header=BB347_417 Depth=1
	v_and_b32_sdwa v10, v18, v35 dst_sel:DWORD dst_unused:UNUSED_PAD src0_sel:WORD_1 src1_sel:DWORD
	v_lshrrev_b32_e32 v20, 3, v21
	s_mov_b32 s15, exec_lo
	v_cmpx_gt_u32_e32 8, v21
; %bb.435:                              ;   in Loop: Header=BB347_417 Depth=1
	v_ffbh_u32_e32 v20, v10
	v_min_u32_e32 v20, 32, v20
	v_subrev_nc_u32_e32 v21, 28, v20
	v_sub_nc_u32_e32 v20, 29, v20
	v_lshlrev_b64 v[40:41], v21, v[10:11]
	v_and_b32_e32 v10, 7, v40
; %bb.436:                              ;   in Loop: Header=BB347_417 Depth=1
	s_or_b32 exec_lo, exec_lo, s15
	v_lshlrev_b32_sdwa v21, v36, v18 dst_sel:DWORD dst_unused:UNUSED_PAD src0_sel:DWORD src1_sel:WORD_1
	v_lshlrev_b32_e32 v10, 20, v10
	v_lshl_add_u32 v20, v20, 23, 0x3c000000
	v_and_b32_e32 v21, 0x80000000, v21
	v_or3_b32 v38, v10, v21, v20
.LBB347_437:                            ;   in Loop: Header=BB347_417 Depth=1
	s_or_b32 exec_lo, exec_lo, s14
.LBB347_438:                            ;   in Loop: Header=BB347_417 Depth=1
	s_or_b32 exec_lo, exec_lo, s13
.LBB347_439:                            ;   in Loop: Header=BB347_417 Depth=1
	s_or_b32 exec_lo, exec_lo, s0
	v_mov_b32_e32 v40, 0
	v_mov_b32_e32 v41, 0
	s_mov_b32 s0, exec_lo
	v_cmpx_lt_u32_e32 0xffffff, v18
	s_cbranch_execz .LBB347_447
; %bb.440:                              ;   in Loop: Header=BB347_417 Depth=1
	v_cmp_ne_u32_sdwa s14, v18, v32 src0_sel:BYTE_3 src1_sel:DWORD
	v_bfrev_b32_e32 v41, 1
	s_and_saveexec_b32 s13, s14
	s_cbranch_execz .LBB347_446
; %bb.441:                              ;   in Loop: Header=BB347_417 Depth=1
	v_bfe_u32 v21, v18, 24, 7
	v_mov_b32_e32 v41, 0x7f800001
	s_mov_b32 s14, exec_lo
	v_cmpx_ne_u32_e32 0x7f, v21
	s_cbranch_execz .LBB347_445
; %bb.442:                              ;   in Loop: Header=BB347_417 Depth=1
	v_and_b32_sdwa v10, v18, v35 dst_sel:DWORD dst_unused:UNUSED_PAD src0_sel:BYTE_3 src1_sel:DWORD
	v_lshrrev_b32_e32 v20, 3, v21
	s_mov_b32 s15, exec_lo
	v_cmpx_gt_u32_e32 8, v21
; %bb.443:                              ;   in Loop: Header=BB347_417 Depth=1
	v_ffbh_u32_e32 v20, v10
	v_min_u32_e32 v20, 32, v20
	v_subrev_nc_u32_e32 v21, 28, v20
	v_sub_nc_u32_e32 v20, 29, v20
	v_lshlrev_b64 v[41:42], v21, v[10:11]
	v_and_b32_e32 v10, 7, v41
; %bb.444:                              ;   in Loop: Header=BB347_417 Depth=1
	s_or_b32 exec_lo, exec_lo, s15
	v_lshlrev_b32_sdwa v21, v36, v18 dst_sel:DWORD dst_unused:UNUSED_PAD src0_sel:DWORD src1_sel:BYTE_3
	v_lshlrev_b32_e32 v10, 20, v10
	v_lshl_add_u32 v20, v20, 23, 0x3c000000
	v_and_b32_e32 v21, 0x80000000, v21
	v_or3_b32 v41, v10, v21, v20
.LBB347_445:                            ;   in Loop: Header=BB347_417 Depth=1
	s_or_b32 exec_lo, exec_lo, s14
.LBB347_446:                            ;   in Loop: Header=BB347_417 Depth=1
	s_or_b32 exec_lo, exec_lo, s13
.LBB347_447:                            ;   in Loop: Header=BB347_417 Depth=1
	s_or_b32 exec_lo, exec_lo, s0
	v_mov_b32_e32 v10, v19
	v_cmp_ne_u16_sdwa s13, v19, v11 src0_sel:BYTE_0 src1_sel:DWORD
	s_and_saveexec_b32 s0, s13
	s_cbranch_execz .LBB347_453
; %bb.448:                              ;   in Loop: Header=BB347_417 Depth=1
	v_cmp_ne_u16_sdwa s14, v19, v32 src0_sel:BYTE_0 src1_sel:DWORD
	v_bfrev_b32_e32 v40, 1
	s_and_saveexec_b32 s13, s14
	s_cbranch_execz .LBB347_452
; %bb.449:                              ;   in Loop: Header=BB347_417 Depth=1
	v_and_b32_e32 v20, 0x7f, v19
	v_mov_b32_e32 v40, 0x7f800001
	s_mov_b32 s14, exec_lo
	v_cmpx_ne_u32_e32 0x7f, v20
	s_cbranch_execz .LBB347_451
; %bb.450:                              ;   in Loop: Header=BB347_417 Depth=1
	v_and_b32_e32 v21, 7, v19
	v_cmp_gt_u32_e32 vcc_lo, 8, v20
	v_lshrrev_b32_e32 v40, 3, v20
	v_ffbh_u32_e32 v21, v21
	v_min_u32_e32 v21, 32, v21
	v_subrev_nc_u32_e32 v42, 28, v21
	v_sub_nc_u32_e32 v21, 29, v21
	v_cndmask_b32_e32 v20, 0, v42, vcc_lo
	v_cndmask_b32_e32 v40, v40, v21, vcc_lo
	v_lshlrev_b64 v[20:21], v20, v[10:11]
	v_lshlrev_b32_e32 v21, 24, v10
	v_lshl_add_u32 v40, v40, 23, 0x3c000000
	v_lshlrev_b32_e32 v20, 20, v20
	v_and_b32_e32 v21, 0x80000000, v21
	v_and_b32_e32 v20, 0x700000, v20
	v_or3_b32 v40, v20, v21, v40
.LBB347_451:                            ;   in Loop: Header=BB347_417 Depth=1
	s_or_b32 exec_lo, exec_lo, s14
.LBB347_452:                            ;   in Loop: Header=BB347_417 Depth=1
	s_or_b32 exec_lo, exec_lo, s13
.LBB347_453:                            ;   in Loop: Header=BB347_417 Depth=1
	s_or_b32 exec_lo, exec_lo, s0
	v_cmp_ne_u16_sdwa s13, v10, v11 src0_sel:BYTE_1 src1_sel:DWORD
	v_mov_b32_e32 v42, 0
	v_mov_b32_e32 v20, 0
	s_and_saveexec_b32 s0, s13
	s_cbranch_execz .LBB347_461
; %bb.454:                              ;   in Loop: Header=BB347_417 Depth=1
	v_cmp_ne_u16_sdwa s14, v10, v32 src0_sel:BYTE_1 src1_sel:DWORD
	v_bfrev_b32_e32 v20, 1
	s_and_saveexec_b32 s13, s14
	s_cbranch_execz .LBB347_460
; %bb.455:                              ;   in Loop: Header=BB347_417 Depth=1
	v_and_b32_sdwa v21, v33, v10 dst_sel:DWORD dst_unused:UNUSED_PAD src0_sel:DWORD src1_sel:BYTE_1
	v_mov_b32_e32 v20, 0x7f800001
	s_mov_b32 s14, exec_lo
	v_and_b32_e32 v44, 0x7f, v21
	v_cmpx_ne_u32_e32 0x7f, v44
	s_cbranch_execz .LBB347_459
; %bb.456:                              ;   in Loop: Header=BB347_417 Depth=1
	v_and_b32_e32 v20, 7, v21
	v_mov_b32_e32 v21, v11
	v_lshrrev_b32_e32 v43, 3, v44
	s_mov_b32 s15, exec_lo
	v_cmpx_gt_u32_e32 8, v44
; %bb.457:                              ;   in Loop: Header=BB347_417 Depth=1
	v_ffbh_u32_e32 v43, v20
	v_min_u32_e32 v43, 32, v43
	v_subrev_nc_u32_e32 v44, 28, v43
	v_sub_nc_u32_e32 v43, 29, v43
	v_lshlrev_b64 v[20:21], v44, v[20:21]
	v_and_b32_e32 v20, 7, v20
; %bb.458:                              ;   in Loop: Header=BB347_417 Depth=1
	s_or_b32 exec_lo, exec_lo, s15
	v_lshlrev_b32_e32 v10, 16, v10
	v_lshlrev_b32_e32 v20, 20, v20
	v_lshl_add_u32 v21, v43, 23, 0x3c000000
	v_and_b32_e32 v10, 0x80000000, v10
	v_or3_b32 v20, v20, v10, v21
.LBB347_459:                            ;   in Loop: Header=BB347_417 Depth=1
	s_or_b32 exec_lo, exec_lo, s14
.LBB347_460:                            ;   in Loop: Header=BB347_417 Depth=1
	s_or_b32 exec_lo, exec_lo, s13
.LBB347_461:                            ;   in Loop: Header=BB347_417 Depth=1
	s_or_b32 exec_lo, exec_lo, s0
	v_and_b32_sdwa v10, v19, v34 dst_sel:DWORD dst_unused:UNUSED_PAD src0_sel:WORD_1 src1_sel:DWORD
	s_mov_b32 s0, exec_lo
	v_cmpx_ne_u16_e32 0, v10
	s_cbranch_execz .LBB347_469
; %bb.462:                              ;   in Loop: Header=BB347_417 Depth=1
	v_bfrev_b32_e32 v42, 1
	s_mov_b32 s13, exec_lo
	v_cmpx_ne_u16_e32 0x80, v10
	s_cbranch_execz .LBB347_468
; %bb.463:                              ;   in Loop: Header=BB347_417 Depth=1
	v_bfe_u32 v43, v19, 16, 7
	v_mov_b32_e32 v42, 0x7f800001
	s_mov_b32 s14, exec_lo
	v_cmpx_ne_u32_e32 0x7f, v43
	s_cbranch_execz .LBB347_467
; %bb.464:                              ;   in Loop: Header=BB347_417 Depth=1
	v_and_b32_sdwa v10, v19, v35 dst_sel:DWORD dst_unused:UNUSED_PAD src0_sel:WORD_1 src1_sel:DWORD
	v_lshrrev_b32_e32 v21, 3, v43
	s_mov_b32 s15, exec_lo
	v_cmpx_gt_u32_e32 8, v43
; %bb.465:                              ;   in Loop: Header=BB347_417 Depth=1
	v_ffbh_u32_e32 v21, v10
	v_min_u32_e32 v21, 32, v21
	v_subrev_nc_u32_e32 v42, 28, v21
	v_sub_nc_u32_e32 v21, 29, v21
	v_lshlrev_b64 v[42:43], v42, v[10:11]
	v_and_b32_e32 v10, 7, v42
; %bb.466:                              ;   in Loop: Header=BB347_417 Depth=1
	s_or_b32 exec_lo, exec_lo, s15
	v_lshlrev_b32_sdwa v42, v36, v19 dst_sel:DWORD dst_unused:UNUSED_PAD src0_sel:DWORD src1_sel:WORD_1
	v_lshlrev_b32_e32 v10, 20, v10
	v_lshl_add_u32 v21, v21, 23, 0x3c000000
	v_and_b32_e32 v42, 0x80000000, v42
	v_or3_b32 v42, v10, v42, v21
.LBB347_467:                            ;   in Loop: Header=BB347_417 Depth=1
	s_or_b32 exec_lo, exec_lo, s14
.LBB347_468:                            ;   in Loop: Header=BB347_417 Depth=1
	s_or_b32 exec_lo, exec_lo, s13
.LBB347_469:                            ;   in Loop: Header=BB347_417 Depth=1
	s_or_b32 exec_lo, exec_lo, s0
	v_mov_b32_e32 v10, 0
	s_mov_b32 s0, exec_lo
	v_cmpx_lt_u64_e64 s[4:5], v[18:19]
	s_cbranch_execz .LBB347_477
; %bb.470:                              ;   in Loop: Header=BB347_417 Depth=1
	v_cmp_ne_u32_sdwa s14, v19, v32 src0_sel:BYTE_3 src1_sel:DWORD
	v_bfrev_b32_e32 v10, 1
	s_and_saveexec_b32 s13, s14
	s_cbranch_execz .LBB347_476
; %bb.471:                              ;   in Loop: Header=BB347_417 Depth=1
	v_bfe_u32 v21, v19, 24, 7
	v_mov_b32_e32 v10, 0x7f800001
	s_mov_b32 s14, exec_lo
	v_cmpx_ne_u32_e32 0x7f, v21
	s_cbranch_execz .LBB347_475
; %bb.472:                              ;   in Loop: Header=BB347_417 Depth=1
	v_and_b32_sdwa v10, v19, v35 dst_sel:DWORD dst_unused:UNUSED_PAD src0_sel:BYTE_3 src1_sel:DWORD
	v_lshrrev_b32_e32 v18, 3, v21
	s_mov_b32 s15, exec_lo
	v_cmpx_gt_u32_e32 8, v21
; %bb.473:                              ;   in Loop: Header=BB347_417 Depth=1
	v_ffbh_u32_e32 v18, v10
	v_min_u32_e32 v18, 32, v18
	v_subrev_nc_u32_e32 v21, 28, v18
	v_sub_nc_u32_e32 v18, 29, v18
	v_lshlrev_b64 v[43:44], v21, v[10:11]
	v_and_b32_e32 v10, 7, v43
; %bb.474:                              ;   in Loop: Header=BB347_417 Depth=1
	s_or_b32 exec_lo, exec_lo, s15
	v_lshlrev_b32_sdwa v19, v36, v19 dst_sel:DWORD dst_unused:UNUSED_PAD src0_sel:DWORD src1_sel:BYTE_3
	v_lshlrev_b32_e32 v10, 20, v10
	v_lshl_add_u32 v18, v18, 23, 0x3c000000
	v_and_b32_e32 v19, 0x80000000, v19
	v_or3_b32 v10, v10, v19, v18
.LBB347_475:                            ;   in Loop: Header=BB347_417 Depth=1
	s_or_b32 exec_lo, exec_lo, s14
.LBB347_476:                            ;   in Loop: Header=BB347_417 Depth=1
	s_or_b32 exec_lo, exec_lo, s13
.LBB347_477:                            ;   in Loop: Header=BB347_417 Depth=1
	s_or_b32 exec_lo, exec_lo, s0
	s_waitcnt lgkmcnt(0)
	v_mul_f32_e32 v18, s6, v20
	v_mul_f32_e32 v19, s6, v40
	;; [unrolled: 1-line block ×5, first 2 shown]
	v_bfe_u32 v21, v18, 16, 1
	v_or_b32_e32 v38, 0x400000, v18
	v_bfe_u32 v40, v19, 16, 1
	v_cmp_u_f32_e64 s0, v18, v18
	v_or_b32_e32 v43, 0x400000, v19
	v_add3_u32 v21, v21, v18, 0x7fff
	v_bfe_u32 v44, v20, 16, 1
	v_add3_u32 v40, v40, v19, 0x7fff
	v_or_b32_e32 v46, 0x400000, v20
	v_add_nc_u32_e32 v45, -7, v30
	v_cndmask_b32_e64 v18, v21, v38, s0
	v_cmp_u_f32_e64 s0, v19, v19
	v_bfe_u32 v21, v41, 16, 1
	v_add3_u32 v44, v44, v20, 0x7fff
	v_cmp_eq_u32_e32 vcc_lo, s12, v9
	v_lshrrev_b32_e32 v38, 16, v18
	v_cndmask_b32_e64 v19, v40, v43, s0
	v_cmp_u_f32_e64 s0, v20, v20
	v_mul_f32_e32 v20, s6, v37
	v_add3_u32 v21, v21, v41, 0x7fff
	v_or_b32_e32 v43, 0x400000, v41
	v_lshrrev_b32_e32 v37, 16, v19
	v_cndmask_b32_e64 v18, v44, v46, s0
	v_cmp_u_f32_e64 s0, v41, v41
	v_or_b32_e32 v41, 0x400000, v20
	v_or_b32_e32 v46, 0x400000, v10
	v_add_nc_u32_e32 v51, -6, v30
	v_lshrrev_b32_e32 v40, 16, v18
	v_bfe_u32 v18, v20, 16, 1
	v_cndmask_b32_e64 v19, v21, v43, s0
	v_mul_f32_e32 v21, s6, v39
	v_mul_f32_e32 v39, s6, v42
	v_cmp_u_f32_e64 s0, v20, v20
	v_add3_u32 v18, v18, v20, 0x7fff
	v_bfe_u32 v20, v10, 16, 1
	v_bfe_u32 v42, v21, 16, 1
	;; [unrolled: 1-line block ×3, first 2 shown]
	v_or_b32_e32 v44, 0x400000, v39
	v_cndmask_b32_e64 v18, v18, v41, s0
	v_cmp_u_f32_e64 s0, v21, v21
	v_add3_u32 v41, v42, v21, 0x7fff
	v_or_b32_e32 v42, 0x400000, v21
	v_add3_u32 v43, v43, v39, 0x7fff
	v_add3_u32 v20, v20, v10, 0x7fff
	v_add_nc_u32_e32 v50, -5, v30
	v_add_nc_u32_e32 v49, -4, v30
	v_cndmask_b32_e64 v21, v41, v42, s0
	v_cmp_u_f32_e64 s0, v39, v39
	v_lshrrev_b32_e32 v42, 16, v19
	v_add_nc_u32_e32 v48, -3, v30
	v_add_nc_u32_e32 v47, -2, v30
	v_cndmask_b32_e64 v39, v43, v44, s0
	v_cmp_u_f32_e64 s0, v10, v10
	v_lshrrev_b32_e32 v44, 16, v18
	v_lshrrev_b32_e32 v43, 16, v21
	;; [unrolled: 1-line block ×3, first 2 shown]
	v_cndmask_b32_e64 v10, v20, v46, s0
	v_add_nc_u32_e32 v46, -1, v30
	v_lshrrev_b32_e32 v41, 16, v10
	s_and_saveexec_b32 s13, vcc_lo
	s_cbranch_execz .LBB347_479
; %bb.478:                              ;   in Loop: Header=BB347_417 Depth=1
	v_cmp_gt_i32_e64 s0, s27, v45
	v_cndmask_b32_e64 v43, 0, v43, s0
	v_cmp_gt_i32_e64 s0, s27, v51
	v_cndmask_b32_e64 v44, 0, v44, s0
	;; [unrolled: 2-line block ×8, first 2 shown]
.LBB347_479:                            ;   in Loop: Header=BB347_417 Depth=1
	s_or_b32 exec_lo, exec_lo, s13
	global_load_dwordx2 v[18:19], v[16:17], off offset:256
	v_mov_b32_e32 v53, 0
	v_mov_b32_e32 v54, 0
	s_waitcnt vmcnt(0)
	v_cmp_ne_u16_sdwa s0, v18, v11 src0_sel:BYTE_0 src1_sel:DWORD
	s_and_saveexec_b32 s13, s0
	s_cbranch_execz .LBB347_485
; %bb.480:                              ;   in Loop: Header=BB347_417 Depth=1
	v_cmp_ne_u16_sdwa s0, v18, v32 src0_sel:BYTE_0 src1_sel:DWORD
	v_bfrev_b32_e32 v54, 1
	s_and_saveexec_b32 s14, s0
	s_cbranch_execz .LBB347_484
; %bb.481:                              ;   in Loop: Header=BB347_417 Depth=1
	v_and_b32_e32 v10, 0x7f, v18
	v_mov_b32_e32 v54, 0x7f800001
	s_mov_b32 s15, exec_lo
	v_cmpx_ne_u32_e32 0x7f, v10
	s_cbranch_execz .LBB347_483
; %bb.482:                              ;   in Loop: Header=BB347_417 Depth=1
	v_and_b32_e32 v20, 7, v18
	v_lshrrev_b32_e32 v21, 3, v10
	v_cmp_gt_u32_e64 s0, 8, v10
	v_ffbh_u32_e32 v20, v20
	v_min_u32_e32 v20, 32, v20
	v_subrev_nc_u32_e32 v52, 28, v20
	v_sub_nc_u32_e32 v20, 29, v20
	v_cndmask_b32_e64 v10, v21, v20, s0
	v_cndmask_b32_e64 v20, 0, v52, s0
	v_lshl_add_u32 v10, v10, 23, 0x3c000000
	v_lshlrev_b64 v[20:21], v20, v[18:19]
	v_lshlrev_b32_e32 v21, 24, v18
	v_lshlrev_b32_e32 v20, 20, v20
	v_and_b32_e32 v21, 0x80000000, v21
	v_and_b32_e32 v20, 0x700000, v20
	v_or3_b32 v54, v20, v21, v10
.LBB347_483:                            ;   in Loop: Header=BB347_417 Depth=1
	s_or_b32 exec_lo, exec_lo, s15
.LBB347_484:                            ;   in Loop: Header=BB347_417 Depth=1
	s_or_b32 exec_lo, exec_lo, s14
.LBB347_485:                            ;   in Loop: Header=BB347_417 Depth=1
	s_or_b32 exec_lo, exec_lo, s13
	v_cmp_ne_u16_sdwa s0, v18, v11 src0_sel:BYTE_1 src1_sel:DWORD
	s_and_saveexec_b32 s13, s0
	s_cbranch_execz .LBB347_493
; %bb.486:                              ;   in Loop: Header=BB347_417 Depth=1
	v_cmp_ne_u16_sdwa s0, v18, v32 src0_sel:BYTE_1 src1_sel:DWORD
	v_bfrev_b32_e32 v53, 1
	s_and_saveexec_b32 s14, s0
	s_cbranch_execz .LBB347_492
; %bb.487:                              ;   in Loop: Header=BB347_417 Depth=1
	v_and_b32_sdwa v10, v33, v18 dst_sel:DWORD dst_unused:UNUSED_PAD src0_sel:DWORD src1_sel:BYTE_1
	v_mov_b32_e32 v53, 0x7f800001
	s_mov_b32 s15, exec_lo
	v_and_b32_e32 v21, 0x7f, v10
	v_cmpx_ne_u32_e32 0x7f, v21
	s_cbranch_execz .LBB347_491
; %bb.488:                              ;   in Loop: Header=BB347_417 Depth=1
	v_and_b32_e32 v10, 7, v10
	v_lshrrev_b32_e32 v20, 3, v21
	s_mov_b32 s16, exec_lo
	v_cmpx_gt_u32_e32 8, v21
; %bb.489:                              ;   in Loop: Header=BB347_417 Depth=1
	v_ffbh_u32_e32 v20, v10
	v_min_u32_e32 v20, 32, v20
	v_subrev_nc_u32_e32 v21, 28, v20
	v_sub_nc_u32_e32 v20, 29, v20
	v_lshlrev_b64 v[52:53], v21, v[10:11]
	v_and_b32_e32 v10, 7, v52
; %bb.490:                              ;   in Loop: Header=BB347_417 Depth=1
	s_or_b32 exec_lo, exec_lo, s16
	v_lshlrev_b32_e32 v21, 16, v18
	v_lshlrev_b32_e32 v10, 20, v10
	v_lshl_add_u32 v20, v20, 23, 0x3c000000
	v_and_b32_e32 v21, 0x80000000, v21
	v_or3_b32 v53, v10, v21, v20
.LBB347_491:                            ;   in Loop: Header=BB347_417 Depth=1
	s_or_b32 exec_lo, exec_lo, s15
.LBB347_492:                            ;   in Loop: Header=BB347_417 Depth=1
	s_or_b32 exec_lo, exec_lo, s14
.LBB347_493:                            ;   in Loop: Header=BB347_417 Depth=1
	s_or_b32 exec_lo, exec_lo, s13
	v_and_b32_sdwa v10, v18, v34 dst_sel:DWORD dst_unused:UNUSED_PAD src0_sel:WORD_1 src1_sel:DWORD
	v_mov_b32_e32 v55, 0
	v_mov_b32_e32 v52, 0
	s_mov_b32 s13, exec_lo
	v_cmpx_ne_u16_e32 0, v10
	s_cbranch_execz .LBB347_501
; %bb.494:                              ;   in Loop: Header=BB347_417 Depth=1
	v_bfrev_b32_e32 v52, 1
	s_mov_b32 s14, exec_lo
	v_cmpx_ne_u16_e32 0x80, v10
	s_cbranch_execz .LBB347_500
; %bb.495:                              ;   in Loop: Header=BB347_417 Depth=1
	v_bfe_u32 v21, v18, 16, 7
	v_mov_b32_e32 v52, 0x7f800001
	s_mov_b32 s15, exec_lo
	v_cmpx_ne_u32_e32 0x7f, v21
	s_cbranch_execz .LBB347_499
; %bb.496:                              ;   in Loop: Header=BB347_417 Depth=1
	v_and_b32_sdwa v10, v18, v35 dst_sel:DWORD dst_unused:UNUSED_PAD src0_sel:WORD_1 src1_sel:DWORD
	v_lshrrev_b32_e32 v20, 3, v21
	s_mov_b32 s16, exec_lo
	v_cmpx_gt_u32_e32 8, v21
; %bb.497:                              ;   in Loop: Header=BB347_417 Depth=1
	v_ffbh_u32_e32 v20, v10
	v_min_u32_e32 v20, 32, v20
	v_subrev_nc_u32_e32 v21, 28, v20
	v_sub_nc_u32_e32 v20, 29, v20
	v_lshlrev_b64 v[56:57], v21, v[10:11]
	v_and_b32_e32 v10, 7, v56
; %bb.498:                              ;   in Loop: Header=BB347_417 Depth=1
	s_or_b32 exec_lo, exec_lo, s16
	v_lshlrev_b32_sdwa v21, v36, v18 dst_sel:DWORD dst_unused:UNUSED_PAD src0_sel:DWORD src1_sel:WORD_1
	v_lshlrev_b32_e32 v10, 20, v10
	v_lshl_add_u32 v20, v20, 23, 0x3c000000
	v_and_b32_e32 v21, 0x80000000, v21
	v_or3_b32 v52, v10, v21, v20
.LBB347_499:                            ;   in Loop: Header=BB347_417 Depth=1
	s_or_b32 exec_lo, exec_lo, s15
.LBB347_500:                            ;   in Loop: Header=BB347_417 Depth=1
	s_or_b32 exec_lo, exec_lo, s14
.LBB347_501:                            ;   in Loop: Header=BB347_417 Depth=1
	s_or_b32 exec_lo, exec_lo, s13
	s_mov_b32 s13, exec_lo
	v_cmpx_lt_u32_e32 0xffffff, v18
	s_cbranch_execz .LBB347_509
; %bb.502:                              ;   in Loop: Header=BB347_417 Depth=1
	v_cmp_ne_u32_sdwa s0, v18, v32 src0_sel:BYTE_3 src1_sel:DWORD
	v_bfrev_b32_e32 v55, 1
	s_and_saveexec_b32 s14, s0
	s_cbranch_execz .LBB347_508
; %bb.503:                              ;   in Loop: Header=BB347_417 Depth=1
	v_bfe_u32 v21, v18, 24, 7
	v_mov_b32_e32 v55, 0x7f800001
	s_mov_b32 s15, exec_lo
	v_cmpx_ne_u32_e32 0x7f, v21
	s_cbranch_execz .LBB347_507
; %bb.504:                              ;   in Loop: Header=BB347_417 Depth=1
	v_and_b32_sdwa v10, v18, v35 dst_sel:DWORD dst_unused:UNUSED_PAD src0_sel:BYTE_3 src1_sel:DWORD
	v_lshrrev_b32_e32 v20, 3, v21
	s_mov_b32 s16, exec_lo
	v_cmpx_gt_u32_e32 8, v21
; %bb.505:                              ;   in Loop: Header=BB347_417 Depth=1
	v_ffbh_u32_e32 v20, v10
	v_min_u32_e32 v20, 32, v20
	v_subrev_nc_u32_e32 v21, 28, v20
	v_sub_nc_u32_e32 v20, 29, v20
	v_lshlrev_b64 v[55:56], v21, v[10:11]
	v_and_b32_e32 v10, 7, v55
; %bb.506:                              ;   in Loop: Header=BB347_417 Depth=1
	s_or_b32 exec_lo, exec_lo, s16
	v_lshlrev_b32_sdwa v21, v36, v18 dst_sel:DWORD dst_unused:UNUSED_PAD src0_sel:DWORD src1_sel:BYTE_3
	v_lshlrev_b32_e32 v10, 20, v10
	v_lshl_add_u32 v20, v20, 23, 0x3c000000
	v_and_b32_e32 v21, 0x80000000, v21
	v_or3_b32 v55, v10, v21, v20
.LBB347_507:                            ;   in Loop: Header=BB347_417 Depth=1
	s_or_b32 exec_lo, exec_lo, s15
.LBB347_508:                            ;   in Loop: Header=BB347_417 Depth=1
	s_or_b32 exec_lo, exec_lo, s14
.LBB347_509:                            ;   in Loop: Header=BB347_417 Depth=1
	s_or_b32 exec_lo, exec_lo, s13
	v_mov_b32_e32 v10, v19
	v_cmp_ne_u16_sdwa s0, v19, v11 src0_sel:BYTE_0 src1_sel:DWORD
	v_mov_b32_e32 v20, 0
	v_mov_b32_e32 v56, 0
	s_and_saveexec_b32 s13, s0
	s_cbranch_execz .LBB347_515
; %bb.510:                              ;   in Loop: Header=BB347_417 Depth=1
	v_cmp_ne_u16_sdwa s0, v19, v32 src0_sel:BYTE_0 src1_sel:DWORD
	v_bfrev_b32_e32 v56, 1
	s_and_saveexec_b32 s14, s0
	s_cbranch_execz .LBB347_514
; %bb.511:                              ;   in Loop: Header=BB347_417 Depth=1
	v_and_b32_e32 v21, 0x7f, v19
	v_mov_b32_e32 v56, 0x7f800001
	s_mov_b32 s15, exec_lo
	v_cmpx_ne_u32_e32 0x7f, v21
	s_cbranch_execz .LBB347_513
; %bb.512:                              ;   in Loop: Header=BB347_417 Depth=1
	v_and_b32_e32 v56, 7, v19
	v_lshrrev_b32_e32 v57, 3, v21
	v_cmp_gt_u32_e64 s0, 8, v21
	v_ffbh_u32_e32 v56, v56
	v_min_u32_e32 v56, 32, v56
	v_subrev_nc_u32_e32 v58, 28, v56
	v_sub_nc_u32_e32 v56, 29, v56
	v_cndmask_b32_e64 v21, v57, v56, s0
	v_cndmask_b32_e64 v56, 0, v58, s0
	v_lshl_add_u32 v21, v21, 23, 0x3c000000
	v_lshlrev_b64 v[56:57], v56, v[10:11]
	v_lshlrev_b32_e32 v57, 24, v10
	v_lshlrev_b32_e32 v56, 20, v56
	v_and_b32_e32 v57, 0x80000000, v57
	v_and_b32_e32 v56, 0x700000, v56
	v_or3_b32 v56, v56, v57, v21
.LBB347_513:                            ;   in Loop: Header=BB347_417 Depth=1
	s_or_b32 exec_lo, exec_lo, s15
.LBB347_514:                            ;   in Loop: Header=BB347_417 Depth=1
	s_or_b32 exec_lo, exec_lo, s14
.LBB347_515:                            ;   in Loop: Header=BB347_417 Depth=1
	s_or_b32 exec_lo, exec_lo, s13
	v_cmp_ne_u16_sdwa s0, v10, v11 src0_sel:BYTE_1 src1_sel:DWORD
	s_and_saveexec_b32 s13, s0
	s_cbranch_execz .LBB347_523
; %bb.516:                              ;   in Loop: Header=BB347_417 Depth=1
	v_cmp_ne_u16_sdwa s0, v10, v32 src0_sel:BYTE_1 src1_sel:DWORD
	v_bfrev_b32_e32 v20, 1
	s_and_saveexec_b32 s14, s0
	s_cbranch_execz .LBB347_522
; %bb.517:                              ;   in Loop: Header=BB347_417 Depth=1
	v_and_b32_sdwa v21, v33, v10 dst_sel:DWORD dst_unused:UNUSED_PAD src0_sel:DWORD src1_sel:BYTE_1
	v_mov_b32_e32 v20, 0x7f800001
	s_mov_b32 s15, exec_lo
	v_and_b32_e32 v58, 0x7f, v21
	v_cmpx_ne_u32_e32 0x7f, v58
	s_cbranch_execz .LBB347_521
; %bb.518:                              ;   in Loop: Header=BB347_417 Depth=1
	v_and_b32_e32 v20, 7, v21
	v_mov_b32_e32 v21, v11
	v_lshrrev_b32_e32 v57, 3, v58
	s_mov_b32 s16, exec_lo
	v_cmpx_gt_u32_e32 8, v58
; %bb.519:                              ;   in Loop: Header=BB347_417 Depth=1
	v_ffbh_u32_e32 v57, v20
	v_min_u32_e32 v57, 32, v57
	v_subrev_nc_u32_e32 v58, 28, v57
	v_sub_nc_u32_e32 v57, 29, v57
	v_lshlrev_b64 v[20:21], v58, v[20:21]
	v_and_b32_e32 v20, 7, v20
; %bb.520:                              ;   in Loop: Header=BB347_417 Depth=1
	s_or_b32 exec_lo, exec_lo, s16
	v_lshlrev_b32_e32 v10, 16, v10
	v_lshlrev_b32_e32 v20, 20, v20
	v_lshl_add_u32 v21, v57, 23, 0x3c000000
	v_and_b32_e32 v10, 0x80000000, v10
	v_or3_b32 v20, v20, v10, v21
.LBB347_521:                            ;   in Loop: Header=BB347_417 Depth=1
	s_or_b32 exec_lo, exec_lo, s15
.LBB347_522:                            ;   in Loop: Header=BB347_417 Depth=1
	s_or_b32 exec_lo, exec_lo, s14
.LBB347_523:                            ;   in Loop: Header=BB347_417 Depth=1
	s_or_b32 exec_lo, exec_lo, s13
	v_and_b32_sdwa v10, v19, v34 dst_sel:DWORD dst_unused:UNUSED_PAD src0_sel:WORD_1 src1_sel:DWORD
	v_mov_b32_e32 v21, 0
	v_mov_b32_e32 v57, 0
	s_mov_b32 s13, exec_lo
	v_cmpx_ne_u16_e32 0, v10
	s_cbranch_execz .LBB347_531
; %bb.524:                              ;   in Loop: Header=BB347_417 Depth=1
	v_bfrev_b32_e32 v57, 1
	s_mov_b32 s14, exec_lo
	v_cmpx_ne_u16_e32 0x80, v10
	s_cbranch_execz .LBB347_530
; %bb.525:                              ;   in Loop: Header=BB347_417 Depth=1
	v_bfe_u32 v58, v19, 16, 7
	v_mov_b32_e32 v57, 0x7f800001
	s_mov_b32 s15, exec_lo
	v_cmpx_ne_u32_e32 0x7f, v58
	s_cbranch_execz .LBB347_529
; %bb.526:                              ;   in Loop: Header=BB347_417 Depth=1
	v_and_b32_sdwa v10, v19, v35 dst_sel:DWORD dst_unused:UNUSED_PAD src0_sel:WORD_1 src1_sel:DWORD
	v_lshrrev_b32_e32 v57, 3, v58
	s_mov_b32 s16, exec_lo
	v_cmpx_gt_u32_e32 8, v58
; %bb.527:                              ;   in Loop: Header=BB347_417 Depth=1
	v_ffbh_u32_e32 v57, v10
	v_min_u32_e32 v57, 32, v57
	v_subrev_nc_u32_e32 v58, 28, v57
	v_sub_nc_u32_e32 v57, 29, v57
	v_lshlrev_b64 v[58:59], v58, v[10:11]
	v_and_b32_e32 v10, 7, v58
; %bb.528:                              ;   in Loop: Header=BB347_417 Depth=1
	s_or_b32 exec_lo, exec_lo, s16
	v_lshlrev_b32_sdwa v58, v36, v19 dst_sel:DWORD dst_unused:UNUSED_PAD src0_sel:DWORD src1_sel:WORD_1
	v_lshlrev_b32_e32 v10, 20, v10
	v_lshl_add_u32 v57, v57, 23, 0x3c000000
	v_and_b32_e32 v58, 0x80000000, v58
	v_or3_b32 v57, v10, v58, v57
.LBB347_529:                            ;   in Loop: Header=BB347_417 Depth=1
	s_or_b32 exec_lo, exec_lo, s15
.LBB347_530:                            ;   in Loop: Header=BB347_417 Depth=1
	s_or_b32 exec_lo, exec_lo, s14
.LBB347_531:                            ;   in Loop: Header=BB347_417 Depth=1
	s_or_b32 exec_lo, exec_lo, s13
	s_mov_b32 s13, exec_lo
	v_cmpx_lt_u64_e64 s[4:5], v[18:19]
	s_cbranch_execz .LBB347_539
; %bb.532:                              ;   in Loop: Header=BB347_417 Depth=1
	v_cmp_ne_u32_sdwa s0, v19, v32 src0_sel:BYTE_3 src1_sel:DWORD
	v_bfrev_b32_e32 v21, 1
	s_and_saveexec_b32 s14, s0
	s_cbranch_execz .LBB347_538
; %bb.533:                              ;   in Loop: Header=BB347_417 Depth=1
	v_bfe_u32 v58, v19, 24, 7
	v_mov_b32_e32 v21, 0x7f800001
	s_mov_b32 s15, exec_lo
	v_cmpx_ne_u32_e32 0x7f, v58
	s_cbranch_execz .LBB347_537
; %bb.534:                              ;   in Loop: Header=BB347_417 Depth=1
	v_and_b32_sdwa v10, v19, v35 dst_sel:DWORD dst_unused:UNUSED_PAD src0_sel:BYTE_3 src1_sel:DWORD
	v_lshrrev_b32_e32 v18, 3, v58
	s_mov_b32 s16, exec_lo
	v_cmpx_gt_u32_e32 8, v58
; %bb.535:                              ;   in Loop: Header=BB347_417 Depth=1
	v_ffbh_u32_e32 v18, v10
	v_min_u32_e32 v18, 32, v18
	v_subrev_nc_u32_e32 v21, 28, v18
	v_sub_nc_u32_e32 v18, 29, v18
	v_lshlrev_b64 v[58:59], v21, v[10:11]
	v_and_b32_e32 v10, 7, v58
; %bb.536:                              ;   in Loop: Header=BB347_417 Depth=1
	s_or_b32 exec_lo, exec_lo, s16
	v_lshlrev_b32_sdwa v19, v36, v19 dst_sel:DWORD dst_unused:UNUSED_PAD src0_sel:DWORD src1_sel:BYTE_3
	v_lshlrev_b32_e32 v10, 20, v10
	v_lshl_add_u32 v18, v18, 23, 0x3c000000
	v_and_b32_e32 v19, 0x80000000, v19
	v_or3_b32 v21, v10, v19, v18
.LBB347_537:                            ;   in Loop: Header=BB347_417 Depth=1
	s_or_b32 exec_lo, exec_lo, s15
.LBB347_538:                            ;   in Loop: Header=BB347_417 Depth=1
	s_or_b32 exec_lo, exec_lo, s14
.LBB347_539:                            ;   in Loop: Header=BB347_417 Depth=1
	s_or_b32 exec_lo, exec_lo, s13
	v_mul_f32_e32 v10, s6, v20
	v_mul_f32_e32 v18, s6, v56
	;; [unrolled: 1-line block ×5, first 2 shown]
	v_bfe_u32 v52, v10, 16, 1
	v_or_b32_e32 v55, 0x400000, v10
	v_bfe_u32 v56, v18, 16, 1
	v_cmp_u_f32_e64 s0, v10, v10
	v_or_b32_e32 v58, 0x400000, v18
	v_add3_u32 v52, v52, v10, 0x7fff
	v_bfe_u32 v59, v19, 16, 1
	v_add3_u32 v56, v56, v18, 0x7fff
	v_or_b32_e32 v60, 0x400000, v19
	v_bfe_u32 v61, v20, 16, 1
	v_cndmask_b32_e64 v10, v52, v55, s0
	v_cmp_u_f32_e64 s0, v18, v18
	v_add3_u32 v59, v59, v19, 0x7fff
	v_lshrrev_b32_e32 v52, 16, v10
	v_cndmask_b32_e64 v18, v56, v58, s0
	v_cmp_u_f32_e64 s0, v19, v19
	v_mul_f32_e32 v10, s6, v53
	v_add3_u32 v56, v61, v20, 0x7fff
	v_or_b32_e32 v58, 0x400000, v20
	v_lshrrev_b32_e32 v53, 16, v18
	v_cndmask_b32_e64 v19, v59, v60, s0
	v_bfe_u32 v18, v10, 16, 1
	v_cmp_u_f32_e64 s0, v20, v20
	v_mul_f32_e32 v20, s6, v54
	v_mul_f32_e32 v54, s6, v57
	v_lshrrev_b32_e32 v55, 16, v19
	v_add3_u32 v18, v18, v10, 0x7fff
	v_cndmask_b32_e64 v19, v56, v58, s0
	v_or_b32_e32 v56, 0x400000, v10
	v_bfe_u32 v57, v20, 16, 1
	v_cmp_u_f32_e64 s0, v10, v10
	v_bfe_u32 v58, v54, 16, 1
	v_or_b32_e32 v59, 0x400000, v54
	v_or_b32_e32 v60, 0x400000, v21
	v_cndmask_b32_e64 v10, v18, v56, s0
	v_add3_u32 v56, v57, v20, 0x7fff
	v_or_b32_e32 v57, 0x400000, v20
	v_cmp_u_f32_e64 s0, v20, v20
	v_bfe_u32 v18, v21, 16, 1
	v_add3_u32 v58, v58, v54, 0x7fff
	v_cndmask_b32_e64 v20, v56, v57, s0
	v_cmp_u_f32_e64 s0, v54, v54
	v_add3_u32 v18, v18, v21, 0x7fff
	v_lshrrev_b32_e32 v57, 16, v19
	v_cndmask_b32_e64 v54, v58, v59, s0
	v_cmp_u_f32_e64 s0, v21, v21
	v_lshrrev_b32_e32 v59, 16, v10
	v_lshrrev_b32_e32 v58, 16, v20
	;; [unrolled: 1-line block ×3, first 2 shown]
	v_cndmask_b32_e64 v18, v18, v60, s0
	v_lshrrev_b32_e32 v56, 16, v18
	s_and_saveexec_b32 s13, vcc_lo
	s_cbranch_execz .LBB347_541
; %bb.540:                              ;   in Loop: Header=BB347_417 Depth=1
	v_cmp_gt_i32_e64 s0, s27, v45
	v_cndmask_b32_e64 v58, 0, v58, s0
	v_cmp_gt_i32_e64 s0, s27, v51
	v_cndmask_b32_e64 v59, 0, v59, s0
	;; [unrolled: 2-line block ×8, first 2 shown]
.LBB347_541:                            ;   in Loop: Header=BB347_417 Depth=1
	s_or_b32 exec_lo, exec_lo, s13
	global_load_dwordx2 v[18:19], v[16:17], off offset:512
	v_mov_b32_e32 v61, 0
	v_mov_b32_e32 v62, 0
	s_waitcnt vmcnt(0)
	v_cmp_ne_u16_sdwa s0, v18, v11 src0_sel:BYTE_0 src1_sel:DWORD
	s_and_saveexec_b32 s13, s0
	s_cbranch_execz .LBB347_547
; %bb.542:                              ;   in Loop: Header=BB347_417 Depth=1
	v_cmp_ne_u16_sdwa s0, v18, v32 src0_sel:BYTE_0 src1_sel:DWORD
	v_bfrev_b32_e32 v62, 1
	s_and_saveexec_b32 s14, s0
	s_cbranch_execz .LBB347_546
; %bb.543:                              ;   in Loop: Header=BB347_417 Depth=1
	v_and_b32_e32 v10, 0x7f, v18
	v_mov_b32_e32 v62, 0x7f800001
	s_mov_b32 s15, exec_lo
	v_cmpx_ne_u32_e32 0x7f, v10
	s_cbranch_execz .LBB347_545
; %bb.544:                              ;   in Loop: Header=BB347_417 Depth=1
	v_and_b32_e32 v20, 7, v18
	v_lshrrev_b32_e32 v21, 3, v10
	v_cmp_gt_u32_e64 s0, 8, v10
	v_ffbh_u32_e32 v20, v20
	v_min_u32_e32 v20, 32, v20
	v_subrev_nc_u32_e32 v60, 28, v20
	v_sub_nc_u32_e32 v20, 29, v20
	v_cndmask_b32_e64 v10, v21, v20, s0
	v_cndmask_b32_e64 v20, 0, v60, s0
	v_lshl_add_u32 v10, v10, 23, 0x3c000000
	v_lshlrev_b64 v[20:21], v20, v[18:19]
	v_lshlrev_b32_e32 v21, 24, v18
	v_lshlrev_b32_e32 v20, 20, v20
	v_and_b32_e32 v21, 0x80000000, v21
	v_and_b32_e32 v20, 0x700000, v20
	v_or3_b32 v62, v20, v21, v10
.LBB347_545:                            ;   in Loop: Header=BB347_417 Depth=1
	s_or_b32 exec_lo, exec_lo, s15
.LBB347_546:                            ;   in Loop: Header=BB347_417 Depth=1
	s_or_b32 exec_lo, exec_lo, s14
.LBB347_547:                            ;   in Loop: Header=BB347_417 Depth=1
	s_or_b32 exec_lo, exec_lo, s13
	v_cmp_ne_u16_sdwa s0, v18, v11 src0_sel:BYTE_1 src1_sel:DWORD
	s_and_saveexec_b32 s13, s0
	s_cbranch_execz .LBB347_555
; %bb.548:                              ;   in Loop: Header=BB347_417 Depth=1
	v_cmp_ne_u16_sdwa s0, v18, v32 src0_sel:BYTE_1 src1_sel:DWORD
	v_bfrev_b32_e32 v61, 1
	s_and_saveexec_b32 s14, s0
	s_cbranch_execz .LBB347_554
; %bb.549:                              ;   in Loop: Header=BB347_417 Depth=1
	v_and_b32_sdwa v10, v33, v18 dst_sel:DWORD dst_unused:UNUSED_PAD src0_sel:DWORD src1_sel:BYTE_1
	v_mov_b32_e32 v61, 0x7f800001
	s_mov_b32 s15, exec_lo
	v_and_b32_e32 v21, 0x7f, v10
	v_cmpx_ne_u32_e32 0x7f, v21
	s_cbranch_execz .LBB347_553
; %bb.550:                              ;   in Loop: Header=BB347_417 Depth=1
	v_and_b32_e32 v10, 7, v10
	v_lshrrev_b32_e32 v20, 3, v21
	s_mov_b32 s16, exec_lo
	v_cmpx_gt_u32_e32 8, v21
; %bb.551:                              ;   in Loop: Header=BB347_417 Depth=1
	v_ffbh_u32_e32 v20, v10
	v_min_u32_e32 v20, 32, v20
	v_subrev_nc_u32_e32 v21, 28, v20
	v_sub_nc_u32_e32 v20, 29, v20
	v_lshlrev_b64 v[60:61], v21, v[10:11]
	v_and_b32_e32 v10, 7, v60
; %bb.552:                              ;   in Loop: Header=BB347_417 Depth=1
	s_or_b32 exec_lo, exec_lo, s16
	v_lshlrev_b32_e32 v21, 16, v18
	v_lshlrev_b32_e32 v10, 20, v10
	v_lshl_add_u32 v20, v20, 23, 0x3c000000
	v_and_b32_e32 v21, 0x80000000, v21
	v_or3_b32 v61, v10, v21, v20
.LBB347_553:                            ;   in Loop: Header=BB347_417 Depth=1
	s_or_b32 exec_lo, exec_lo, s15
.LBB347_554:                            ;   in Loop: Header=BB347_417 Depth=1
	s_or_b32 exec_lo, exec_lo, s14
.LBB347_555:                            ;   in Loop: Header=BB347_417 Depth=1
	s_or_b32 exec_lo, exec_lo, s13
	v_and_b32_sdwa v10, v18, v34 dst_sel:DWORD dst_unused:UNUSED_PAD src0_sel:WORD_1 src1_sel:DWORD
	v_mov_b32_e32 v63, 0
	v_mov_b32_e32 v60, 0
	s_mov_b32 s13, exec_lo
	v_cmpx_ne_u16_e32 0, v10
	s_cbranch_execz .LBB347_563
; %bb.556:                              ;   in Loop: Header=BB347_417 Depth=1
	v_bfrev_b32_e32 v60, 1
	s_mov_b32 s14, exec_lo
	v_cmpx_ne_u16_e32 0x80, v10
	s_cbranch_execz .LBB347_562
; %bb.557:                              ;   in Loop: Header=BB347_417 Depth=1
	v_bfe_u32 v21, v18, 16, 7
	v_mov_b32_e32 v60, 0x7f800001
	s_mov_b32 s15, exec_lo
	v_cmpx_ne_u32_e32 0x7f, v21
	s_cbranch_execz .LBB347_561
; %bb.558:                              ;   in Loop: Header=BB347_417 Depth=1
	v_and_b32_sdwa v10, v18, v35 dst_sel:DWORD dst_unused:UNUSED_PAD src0_sel:WORD_1 src1_sel:DWORD
	v_lshrrev_b32_e32 v20, 3, v21
	s_mov_b32 s16, exec_lo
	v_cmpx_gt_u32_e32 8, v21
; %bb.559:                              ;   in Loop: Header=BB347_417 Depth=1
	v_ffbh_u32_e32 v20, v10
	v_min_u32_e32 v20, 32, v20
	v_subrev_nc_u32_e32 v21, 28, v20
	v_sub_nc_u32_e32 v20, 29, v20
	v_lshlrev_b64 v[64:65], v21, v[10:11]
	v_and_b32_e32 v10, 7, v64
; %bb.560:                              ;   in Loop: Header=BB347_417 Depth=1
	s_or_b32 exec_lo, exec_lo, s16
	v_lshlrev_b32_sdwa v21, v36, v18 dst_sel:DWORD dst_unused:UNUSED_PAD src0_sel:DWORD src1_sel:WORD_1
	v_lshlrev_b32_e32 v10, 20, v10
	v_lshl_add_u32 v20, v20, 23, 0x3c000000
	v_and_b32_e32 v21, 0x80000000, v21
	v_or3_b32 v60, v10, v21, v20
.LBB347_561:                            ;   in Loop: Header=BB347_417 Depth=1
	s_or_b32 exec_lo, exec_lo, s15
.LBB347_562:                            ;   in Loop: Header=BB347_417 Depth=1
	s_or_b32 exec_lo, exec_lo, s14
.LBB347_563:                            ;   in Loop: Header=BB347_417 Depth=1
	s_or_b32 exec_lo, exec_lo, s13
	s_mov_b32 s13, exec_lo
	v_cmpx_lt_u32_e32 0xffffff, v18
	s_cbranch_execz .LBB347_571
; %bb.564:                              ;   in Loop: Header=BB347_417 Depth=1
	v_cmp_ne_u32_sdwa s0, v18, v32 src0_sel:BYTE_3 src1_sel:DWORD
	v_bfrev_b32_e32 v63, 1
	s_and_saveexec_b32 s14, s0
	s_cbranch_execz .LBB347_570
; %bb.565:                              ;   in Loop: Header=BB347_417 Depth=1
	v_bfe_u32 v21, v18, 24, 7
	v_mov_b32_e32 v63, 0x7f800001
	s_mov_b32 s15, exec_lo
	v_cmpx_ne_u32_e32 0x7f, v21
	s_cbranch_execz .LBB347_569
; %bb.566:                              ;   in Loop: Header=BB347_417 Depth=1
	v_and_b32_sdwa v10, v18, v35 dst_sel:DWORD dst_unused:UNUSED_PAD src0_sel:BYTE_3 src1_sel:DWORD
	v_lshrrev_b32_e32 v20, 3, v21
	s_mov_b32 s16, exec_lo
	v_cmpx_gt_u32_e32 8, v21
; %bb.567:                              ;   in Loop: Header=BB347_417 Depth=1
	v_ffbh_u32_e32 v20, v10
	v_min_u32_e32 v20, 32, v20
	v_subrev_nc_u32_e32 v21, 28, v20
	v_sub_nc_u32_e32 v20, 29, v20
	v_lshlrev_b64 v[63:64], v21, v[10:11]
	v_and_b32_e32 v10, 7, v63
; %bb.568:                              ;   in Loop: Header=BB347_417 Depth=1
	s_or_b32 exec_lo, exec_lo, s16
	v_lshlrev_b32_sdwa v21, v36, v18 dst_sel:DWORD dst_unused:UNUSED_PAD src0_sel:DWORD src1_sel:BYTE_3
	v_lshlrev_b32_e32 v10, 20, v10
	v_lshl_add_u32 v20, v20, 23, 0x3c000000
	v_and_b32_e32 v21, 0x80000000, v21
	v_or3_b32 v63, v10, v21, v20
.LBB347_569:                            ;   in Loop: Header=BB347_417 Depth=1
	s_or_b32 exec_lo, exec_lo, s15
.LBB347_570:                            ;   in Loop: Header=BB347_417 Depth=1
	s_or_b32 exec_lo, exec_lo, s14
.LBB347_571:                            ;   in Loop: Header=BB347_417 Depth=1
	s_or_b32 exec_lo, exec_lo, s13
	v_mov_b32_e32 v10, v19
	v_cmp_ne_u16_sdwa s0, v19, v11 src0_sel:BYTE_0 src1_sel:DWORD
	v_mov_b32_e32 v20, 0
	v_mov_b32_e32 v64, 0
	s_and_saveexec_b32 s13, s0
	s_cbranch_execz .LBB347_577
; %bb.572:                              ;   in Loop: Header=BB347_417 Depth=1
	v_cmp_ne_u16_sdwa s0, v19, v32 src0_sel:BYTE_0 src1_sel:DWORD
	v_bfrev_b32_e32 v64, 1
	s_and_saveexec_b32 s14, s0
	s_cbranch_execz .LBB347_576
; %bb.573:                              ;   in Loop: Header=BB347_417 Depth=1
	v_and_b32_e32 v21, 0x7f, v19
	v_mov_b32_e32 v64, 0x7f800001
	s_mov_b32 s15, exec_lo
	v_cmpx_ne_u32_e32 0x7f, v21
	s_cbranch_execz .LBB347_575
; %bb.574:                              ;   in Loop: Header=BB347_417 Depth=1
	v_and_b32_e32 v64, 7, v19
	v_lshrrev_b32_e32 v65, 3, v21
	v_cmp_gt_u32_e64 s0, 8, v21
	v_ffbh_u32_e32 v64, v64
	v_min_u32_e32 v64, 32, v64
	v_subrev_nc_u32_e32 v66, 28, v64
	v_sub_nc_u32_e32 v64, 29, v64
	v_cndmask_b32_e64 v21, v65, v64, s0
	v_cndmask_b32_e64 v64, 0, v66, s0
	v_lshl_add_u32 v21, v21, 23, 0x3c000000
	v_lshlrev_b64 v[64:65], v64, v[10:11]
	v_lshlrev_b32_e32 v65, 24, v10
	v_lshlrev_b32_e32 v64, 20, v64
	v_and_b32_e32 v65, 0x80000000, v65
	v_and_b32_e32 v64, 0x700000, v64
	v_or3_b32 v64, v64, v65, v21
.LBB347_575:                            ;   in Loop: Header=BB347_417 Depth=1
	s_or_b32 exec_lo, exec_lo, s15
.LBB347_576:                            ;   in Loop: Header=BB347_417 Depth=1
	s_or_b32 exec_lo, exec_lo, s14
.LBB347_577:                            ;   in Loop: Header=BB347_417 Depth=1
	s_or_b32 exec_lo, exec_lo, s13
	v_cmp_ne_u16_sdwa s0, v10, v11 src0_sel:BYTE_1 src1_sel:DWORD
	s_and_saveexec_b32 s13, s0
	s_cbranch_execz .LBB347_585
; %bb.578:                              ;   in Loop: Header=BB347_417 Depth=1
	v_cmp_ne_u16_sdwa s0, v10, v32 src0_sel:BYTE_1 src1_sel:DWORD
	v_bfrev_b32_e32 v20, 1
	s_and_saveexec_b32 s14, s0
	s_cbranch_execz .LBB347_584
; %bb.579:                              ;   in Loop: Header=BB347_417 Depth=1
	v_and_b32_sdwa v21, v33, v10 dst_sel:DWORD dst_unused:UNUSED_PAD src0_sel:DWORD src1_sel:BYTE_1
	v_mov_b32_e32 v20, 0x7f800001
	s_mov_b32 s15, exec_lo
	v_and_b32_e32 v66, 0x7f, v21
	v_cmpx_ne_u32_e32 0x7f, v66
	s_cbranch_execz .LBB347_583
; %bb.580:                              ;   in Loop: Header=BB347_417 Depth=1
	v_and_b32_e32 v20, 7, v21
	v_mov_b32_e32 v21, v11
	v_lshrrev_b32_e32 v65, 3, v66
	s_mov_b32 s16, exec_lo
	v_cmpx_gt_u32_e32 8, v66
; %bb.581:                              ;   in Loop: Header=BB347_417 Depth=1
	v_ffbh_u32_e32 v65, v20
	v_min_u32_e32 v65, 32, v65
	v_subrev_nc_u32_e32 v66, 28, v65
	v_sub_nc_u32_e32 v65, 29, v65
	v_lshlrev_b64 v[20:21], v66, v[20:21]
	v_and_b32_e32 v20, 7, v20
; %bb.582:                              ;   in Loop: Header=BB347_417 Depth=1
	s_or_b32 exec_lo, exec_lo, s16
	v_lshlrev_b32_e32 v10, 16, v10
	v_lshlrev_b32_e32 v20, 20, v20
	v_lshl_add_u32 v21, v65, 23, 0x3c000000
	v_and_b32_e32 v10, 0x80000000, v10
	v_or3_b32 v20, v20, v10, v21
.LBB347_583:                            ;   in Loop: Header=BB347_417 Depth=1
	s_or_b32 exec_lo, exec_lo, s15
.LBB347_584:                            ;   in Loop: Header=BB347_417 Depth=1
	s_or_b32 exec_lo, exec_lo, s14
.LBB347_585:                            ;   in Loop: Header=BB347_417 Depth=1
	s_or_b32 exec_lo, exec_lo, s13
	v_and_b32_sdwa v10, v19, v34 dst_sel:DWORD dst_unused:UNUSED_PAD src0_sel:WORD_1 src1_sel:DWORD
	v_mov_b32_e32 v21, 0
	v_mov_b32_e32 v65, 0
	s_mov_b32 s13, exec_lo
	v_cmpx_ne_u16_e32 0, v10
	s_cbranch_execz .LBB347_593
; %bb.586:                              ;   in Loop: Header=BB347_417 Depth=1
	v_bfrev_b32_e32 v65, 1
	s_mov_b32 s14, exec_lo
	v_cmpx_ne_u16_e32 0x80, v10
	s_cbranch_execz .LBB347_592
; %bb.587:                              ;   in Loop: Header=BB347_417 Depth=1
	v_bfe_u32 v66, v19, 16, 7
	v_mov_b32_e32 v65, 0x7f800001
	s_mov_b32 s15, exec_lo
	v_cmpx_ne_u32_e32 0x7f, v66
	s_cbranch_execz .LBB347_591
; %bb.588:                              ;   in Loop: Header=BB347_417 Depth=1
	v_and_b32_sdwa v10, v19, v35 dst_sel:DWORD dst_unused:UNUSED_PAD src0_sel:WORD_1 src1_sel:DWORD
	v_lshrrev_b32_e32 v65, 3, v66
	s_mov_b32 s16, exec_lo
	v_cmpx_gt_u32_e32 8, v66
; %bb.589:                              ;   in Loop: Header=BB347_417 Depth=1
	v_ffbh_u32_e32 v65, v10
	v_min_u32_e32 v65, 32, v65
	v_subrev_nc_u32_e32 v66, 28, v65
	v_sub_nc_u32_e32 v65, 29, v65
	v_lshlrev_b64 v[66:67], v66, v[10:11]
	v_and_b32_e32 v10, 7, v66
; %bb.590:                              ;   in Loop: Header=BB347_417 Depth=1
	s_or_b32 exec_lo, exec_lo, s16
	v_lshlrev_b32_sdwa v66, v36, v19 dst_sel:DWORD dst_unused:UNUSED_PAD src0_sel:DWORD src1_sel:WORD_1
	v_lshlrev_b32_e32 v10, 20, v10
	v_lshl_add_u32 v65, v65, 23, 0x3c000000
	v_and_b32_e32 v66, 0x80000000, v66
	v_or3_b32 v65, v10, v66, v65
.LBB347_591:                            ;   in Loop: Header=BB347_417 Depth=1
	s_or_b32 exec_lo, exec_lo, s15
.LBB347_592:                            ;   in Loop: Header=BB347_417 Depth=1
	s_or_b32 exec_lo, exec_lo, s14
.LBB347_593:                            ;   in Loop: Header=BB347_417 Depth=1
	s_or_b32 exec_lo, exec_lo, s13
	s_mov_b32 s13, exec_lo
	v_cmpx_lt_u64_e64 s[4:5], v[18:19]
	s_cbranch_execz .LBB347_601
; %bb.594:                              ;   in Loop: Header=BB347_417 Depth=1
	v_cmp_ne_u32_sdwa s0, v19, v32 src0_sel:BYTE_3 src1_sel:DWORD
	v_bfrev_b32_e32 v21, 1
	s_and_saveexec_b32 s14, s0
	s_cbranch_execz .LBB347_600
; %bb.595:                              ;   in Loop: Header=BB347_417 Depth=1
	v_bfe_u32 v66, v19, 24, 7
	v_mov_b32_e32 v21, 0x7f800001
	s_mov_b32 s15, exec_lo
	v_cmpx_ne_u32_e32 0x7f, v66
	s_cbranch_execz .LBB347_599
; %bb.596:                              ;   in Loop: Header=BB347_417 Depth=1
	v_and_b32_sdwa v10, v19, v35 dst_sel:DWORD dst_unused:UNUSED_PAD src0_sel:BYTE_3 src1_sel:DWORD
	v_lshrrev_b32_e32 v18, 3, v66
	s_mov_b32 s16, exec_lo
	v_cmpx_gt_u32_e32 8, v66
; %bb.597:                              ;   in Loop: Header=BB347_417 Depth=1
	v_ffbh_u32_e32 v18, v10
	v_min_u32_e32 v18, 32, v18
	v_subrev_nc_u32_e32 v21, 28, v18
	v_sub_nc_u32_e32 v18, 29, v18
	v_lshlrev_b64 v[66:67], v21, v[10:11]
	v_and_b32_e32 v10, 7, v66
; %bb.598:                              ;   in Loop: Header=BB347_417 Depth=1
	s_or_b32 exec_lo, exec_lo, s16
	v_lshlrev_b32_sdwa v19, v36, v19 dst_sel:DWORD dst_unused:UNUSED_PAD src0_sel:DWORD src1_sel:BYTE_3
	v_lshlrev_b32_e32 v10, 20, v10
	v_lshl_add_u32 v18, v18, 23, 0x3c000000
	v_and_b32_e32 v19, 0x80000000, v19
	v_or3_b32 v21, v10, v19, v18
.LBB347_599:                            ;   in Loop: Header=BB347_417 Depth=1
	s_or_b32 exec_lo, exec_lo, s15
.LBB347_600:                            ;   in Loop: Header=BB347_417 Depth=1
	s_or_b32 exec_lo, exec_lo, s14
.LBB347_601:                            ;   in Loop: Header=BB347_417 Depth=1
	s_or_b32 exec_lo, exec_lo, s13
	v_mul_f32_e32 v10, s6, v20
	v_mul_f32_e32 v18, s6, v64
	;; [unrolled: 1-line block ×5, first 2 shown]
	v_bfe_u32 v60, v10, 16, 1
	v_or_b32_e32 v63, 0x400000, v10
	v_bfe_u32 v64, v18, 16, 1
	v_cmp_u_f32_e64 s0, v10, v10
	v_or_b32_e32 v66, 0x400000, v18
	v_add3_u32 v60, v60, v10, 0x7fff
	v_bfe_u32 v67, v19, 16, 1
	v_add3_u32 v64, v64, v18, 0x7fff
	v_or_b32_e32 v68, 0x400000, v19
	v_bfe_u32 v69, v20, 16, 1
	v_cndmask_b32_e64 v10, v60, v63, s0
	v_cmp_u_f32_e64 s0, v18, v18
	v_add3_u32 v67, v67, v19, 0x7fff
	v_lshrrev_b32_e32 v60, 16, v10
	v_cndmask_b32_e64 v18, v64, v66, s0
	v_cmp_u_f32_e64 s0, v19, v19
	v_mul_f32_e32 v10, s6, v61
	v_add3_u32 v64, v69, v20, 0x7fff
	v_or_b32_e32 v66, 0x400000, v20
	v_lshrrev_b32_e32 v61, 16, v18
	v_cndmask_b32_e64 v19, v67, v68, s0
	v_bfe_u32 v18, v10, 16, 1
	v_cmp_u_f32_e64 s0, v20, v20
	v_mul_f32_e32 v20, s6, v62
	v_mul_f32_e32 v62, s6, v65
	v_lshrrev_b32_e32 v63, 16, v19
	v_add3_u32 v18, v18, v10, 0x7fff
	v_cndmask_b32_e64 v19, v64, v66, s0
	v_or_b32_e32 v64, 0x400000, v10
	v_bfe_u32 v65, v20, 16, 1
	v_cmp_u_f32_e64 s0, v10, v10
	v_bfe_u32 v66, v62, 16, 1
	v_or_b32_e32 v67, 0x400000, v62
	v_or_b32_e32 v68, 0x400000, v21
	v_cndmask_b32_e64 v10, v18, v64, s0
	v_add3_u32 v64, v65, v20, 0x7fff
	v_or_b32_e32 v65, 0x400000, v20
	v_cmp_u_f32_e64 s0, v20, v20
	v_bfe_u32 v18, v21, 16, 1
	v_add3_u32 v66, v66, v62, 0x7fff
	v_cndmask_b32_e64 v20, v64, v65, s0
	v_cmp_u_f32_e64 s0, v62, v62
	v_add3_u32 v18, v18, v21, 0x7fff
	v_lshrrev_b32_e32 v65, 16, v19
	v_cndmask_b32_e64 v62, v66, v67, s0
	v_cmp_u_f32_e64 s0, v21, v21
	v_lshrrev_b32_e32 v67, 16, v10
	v_lshrrev_b32_e32 v66, 16, v20
	;; [unrolled: 1-line block ×3, first 2 shown]
	v_cndmask_b32_e64 v18, v18, v68, s0
	v_lshrrev_b32_e32 v64, 16, v18
	s_and_saveexec_b32 s13, vcc_lo
	s_cbranch_execz .LBB347_603
; %bb.602:                              ;   in Loop: Header=BB347_417 Depth=1
	v_cmp_gt_i32_e64 s0, s27, v45
	v_cndmask_b32_e64 v66, 0, v66, s0
	v_cmp_gt_i32_e64 s0, s27, v51
	v_cndmask_b32_e64 v67, 0, v67, s0
	;; [unrolled: 2-line block ×8, first 2 shown]
.LBB347_603:                            ;   in Loop: Header=BB347_417 Depth=1
	s_or_b32 exec_lo, exec_lo, s13
	global_load_dwordx2 v[18:19], v[16:17], off offset:768
	v_mov_b32_e32 v69, 0
	v_mov_b32_e32 v70, 0
	s_waitcnt vmcnt(0)
	v_cmp_ne_u16_sdwa s0, v18, v11 src0_sel:BYTE_0 src1_sel:DWORD
	s_and_saveexec_b32 s13, s0
	s_cbranch_execz .LBB347_609
; %bb.604:                              ;   in Loop: Header=BB347_417 Depth=1
	v_cmp_ne_u16_sdwa s0, v18, v32 src0_sel:BYTE_0 src1_sel:DWORD
	v_bfrev_b32_e32 v70, 1
	s_and_saveexec_b32 s14, s0
	s_cbranch_execz .LBB347_608
; %bb.605:                              ;   in Loop: Header=BB347_417 Depth=1
	v_and_b32_e32 v10, 0x7f, v18
	v_mov_b32_e32 v70, 0x7f800001
	s_mov_b32 s15, exec_lo
	v_cmpx_ne_u32_e32 0x7f, v10
	s_cbranch_execz .LBB347_607
; %bb.606:                              ;   in Loop: Header=BB347_417 Depth=1
	v_and_b32_e32 v20, 7, v18
	v_lshrrev_b32_e32 v21, 3, v10
	v_cmp_gt_u32_e64 s0, 8, v10
	v_ffbh_u32_e32 v20, v20
	v_min_u32_e32 v20, 32, v20
	v_subrev_nc_u32_e32 v68, 28, v20
	v_sub_nc_u32_e32 v20, 29, v20
	v_cndmask_b32_e64 v10, v21, v20, s0
	v_cndmask_b32_e64 v20, 0, v68, s0
	v_lshl_add_u32 v10, v10, 23, 0x3c000000
	v_lshlrev_b64 v[20:21], v20, v[18:19]
	v_lshlrev_b32_e32 v21, 24, v18
	v_lshlrev_b32_e32 v20, 20, v20
	v_and_b32_e32 v21, 0x80000000, v21
	v_and_b32_e32 v20, 0x700000, v20
	v_or3_b32 v70, v20, v21, v10
.LBB347_607:                            ;   in Loop: Header=BB347_417 Depth=1
	s_or_b32 exec_lo, exec_lo, s15
.LBB347_608:                            ;   in Loop: Header=BB347_417 Depth=1
	s_or_b32 exec_lo, exec_lo, s14
.LBB347_609:                            ;   in Loop: Header=BB347_417 Depth=1
	s_or_b32 exec_lo, exec_lo, s13
	v_cmp_ne_u16_sdwa s0, v18, v11 src0_sel:BYTE_1 src1_sel:DWORD
	s_and_saveexec_b32 s13, s0
	s_cbranch_execz .LBB347_617
; %bb.610:                              ;   in Loop: Header=BB347_417 Depth=1
	v_cmp_ne_u16_sdwa s0, v18, v32 src0_sel:BYTE_1 src1_sel:DWORD
	v_bfrev_b32_e32 v69, 1
	s_and_saveexec_b32 s14, s0
	s_cbranch_execz .LBB347_616
; %bb.611:                              ;   in Loop: Header=BB347_417 Depth=1
	v_and_b32_sdwa v10, v33, v18 dst_sel:DWORD dst_unused:UNUSED_PAD src0_sel:DWORD src1_sel:BYTE_1
	v_mov_b32_e32 v69, 0x7f800001
	s_mov_b32 s15, exec_lo
	v_and_b32_e32 v21, 0x7f, v10
	v_cmpx_ne_u32_e32 0x7f, v21
	s_cbranch_execz .LBB347_615
; %bb.612:                              ;   in Loop: Header=BB347_417 Depth=1
	v_and_b32_e32 v10, 7, v10
	v_lshrrev_b32_e32 v20, 3, v21
	s_mov_b32 s16, exec_lo
	v_cmpx_gt_u32_e32 8, v21
; %bb.613:                              ;   in Loop: Header=BB347_417 Depth=1
	v_ffbh_u32_e32 v20, v10
	v_min_u32_e32 v20, 32, v20
	v_subrev_nc_u32_e32 v21, 28, v20
	v_sub_nc_u32_e32 v20, 29, v20
	v_lshlrev_b64 v[68:69], v21, v[10:11]
	v_and_b32_e32 v10, 7, v68
; %bb.614:                              ;   in Loop: Header=BB347_417 Depth=1
	s_or_b32 exec_lo, exec_lo, s16
	v_lshlrev_b32_e32 v21, 16, v18
	v_lshlrev_b32_e32 v10, 20, v10
	v_lshl_add_u32 v20, v20, 23, 0x3c000000
	v_and_b32_e32 v21, 0x80000000, v21
	v_or3_b32 v69, v10, v21, v20
.LBB347_615:                            ;   in Loop: Header=BB347_417 Depth=1
	s_or_b32 exec_lo, exec_lo, s15
.LBB347_616:                            ;   in Loop: Header=BB347_417 Depth=1
	s_or_b32 exec_lo, exec_lo, s14
.LBB347_617:                            ;   in Loop: Header=BB347_417 Depth=1
	s_or_b32 exec_lo, exec_lo, s13
	v_and_b32_sdwa v10, v18, v34 dst_sel:DWORD dst_unused:UNUSED_PAD src0_sel:WORD_1 src1_sel:DWORD
	v_mov_b32_e32 v71, 0
	v_mov_b32_e32 v68, 0
	s_mov_b32 s13, exec_lo
	v_cmpx_ne_u16_e32 0, v10
	s_cbranch_execz .LBB347_625
; %bb.618:                              ;   in Loop: Header=BB347_417 Depth=1
	v_bfrev_b32_e32 v68, 1
	s_mov_b32 s14, exec_lo
	v_cmpx_ne_u16_e32 0x80, v10
	s_cbranch_execz .LBB347_624
; %bb.619:                              ;   in Loop: Header=BB347_417 Depth=1
	v_bfe_u32 v21, v18, 16, 7
	v_mov_b32_e32 v68, 0x7f800001
	s_mov_b32 s15, exec_lo
	v_cmpx_ne_u32_e32 0x7f, v21
	s_cbranch_execz .LBB347_623
; %bb.620:                              ;   in Loop: Header=BB347_417 Depth=1
	v_and_b32_sdwa v10, v18, v35 dst_sel:DWORD dst_unused:UNUSED_PAD src0_sel:WORD_1 src1_sel:DWORD
	v_lshrrev_b32_e32 v20, 3, v21
	s_mov_b32 s16, exec_lo
	v_cmpx_gt_u32_e32 8, v21
; %bb.621:                              ;   in Loop: Header=BB347_417 Depth=1
	v_ffbh_u32_e32 v20, v10
	v_min_u32_e32 v20, 32, v20
	v_subrev_nc_u32_e32 v21, 28, v20
	v_sub_nc_u32_e32 v20, 29, v20
	v_lshlrev_b64 v[72:73], v21, v[10:11]
	v_and_b32_e32 v10, 7, v72
; %bb.622:                              ;   in Loop: Header=BB347_417 Depth=1
	s_or_b32 exec_lo, exec_lo, s16
	v_lshlrev_b32_sdwa v21, v36, v18 dst_sel:DWORD dst_unused:UNUSED_PAD src0_sel:DWORD src1_sel:WORD_1
	v_lshlrev_b32_e32 v10, 20, v10
	v_lshl_add_u32 v20, v20, 23, 0x3c000000
	v_and_b32_e32 v21, 0x80000000, v21
	v_or3_b32 v68, v10, v21, v20
.LBB347_623:                            ;   in Loop: Header=BB347_417 Depth=1
	s_or_b32 exec_lo, exec_lo, s15
.LBB347_624:                            ;   in Loop: Header=BB347_417 Depth=1
	s_or_b32 exec_lo, exec_lo, s14
.LBB347_625:                            ;   in Loop: Header=BB347_417 Depth=1
	s_or_b32 exec_lo, exec_lo, s13
	s_mov_b32 s13, exec_lo
	v_cmpx_lt_u32_e32 0xffffff, v18
	s_cbranch_execz .LBB347_633
; %bb.626:                              ;   in Loop: Header=BB347_417 Depth=1
	v_cmp_ne_u32_sdwa s0, v18, v32 src0_sel:BYTE_3 src1_sel:DWORD
	v_bfrev_b32_e32 v71, 1
	s_and_saveexec_b32 s14, s0
	s_cbranch_execz .LBB347_632
; %bb.627:                              ;   in Loop: Header=BB347_417 Depth=1
	v_bfe_u32 v21, v18, 24, 7
	v_mov_b32_e32 v71, 0x7f800001
	s_mov_b32 s15, exec_lo
	v_cmpx_ne_u32_e32 0x7f, v21
	s_cbranch_execz .LBB347_631
; %bb.628:                              ;   in Loop: Header=BB347_417 Depth=1
	v_and_b32_sdwa v10, v18, v35 dst_sel:DWORD dst_unused:UNUSED_PAD src0_sel:BYTE_3 src1_sel:DWORD
	v_lshrrev_b32_e32 v20, 3, v21
	s_mov_b32 s16, exec_lo
	v_cmpx_gt_u32_e32 8, v21
; %bb.629:                              ;   in Loop: Header=BB347_417 Depth=1
	v_ffbh_u32_e32 v20, v10
	v_min_u32_e32 v20, 32, v20
	v_subrev_nc_u32_e32 v21, 28, v20
	v_sub_nc_u32_e32 v20, 29, v20
	v_lshlrev_b64 v[71:72], v21, v[10:11]
	v_and_b32_e32 v10, 7, v71
; %bb.630:                              ;   in Loop: Header=BB347_417 Depth=1
	s_or_b32 exec_lo, exec_lo, s16
	v_lshlrev_b32_sdwa v21, v36, v18 dst_sel:DWORD dst_unused:UNUSED_PAD src0_sel:DWORD src1_sel:BYTE_3
	v_lshlrev_b32_e32 v10, 20, v10
	v_lshl_add_u32 v20, v20, 23, 0x3c000000
	v_and_b32_e32 v21, 0x80000000, v21
	v_or3_b32 v71, v10, v21, v20
.LBB347_631:                            ;   in Loop: Header=BB347_417 Depth=1
	s_or_b32 exec_lo, exec_lo, s15
.LBB347_632:                            ;   in Loop: Header=BB347_417 Depth=1
	s_or_b32 exec_lo, exec_lo, s14
.LBB347_633:                            ;   in Loop: Header=BB347_417 Depth=1
	s_or_b32 exec_lo, exec_lo, s13
	v_mov_b32_e32 v10, v19
	v_cmp_ne_u16_sdwa s0, v19, v11 src0_sel:BYTE_0 src1_sel:DWORD
	v_mov_b32_e32 v20, 0
	v_mov_b32_e32 v72, 0
	s_and_saveexec_b32 s13, s0
	s_cbranch_execz .LBB347_639
; %bb.634:                              ;   in Loop: Header=BB347_417 Depth=1
	v_cmp_ne_u16_sdwa s0, v19, v32 src0_sel:BYTE_0 src1_sel:DWORD
	v_bfrev_b32_e32 v72, 1
	s_and_saveexec_b32 s14, s0
	s_cbranch_execz .LBB347_638
; %bb.635:                              ;   in Loop: Header=BB347_417 Depth=1
	v_and_b32_e32 v21, 0x7f, v19
	v_mov_b32_e32 v72, 0x7f800001
	s_mov_b32 s15, exec_lo
	v_cmpx_ne_u32_e32 0x7f, v21
	s_cbranch_execz .LBB347_637
; %bb.636:                              ;   in Loop: Header=BB347_417 Depth=1
	v_and_b32_e32 v72, 7, v19
	v_lshrrev_b32_e32 v73, 3, v21
	v_cmp_gt_u32_e64 s0, 8, v21
	v_ffbh_u32_e32 v72, v72
	v_min_u32_e32 v72, 32, v72
	v_subrev_nc_u32_e32 v74, 28, v72
	v_sub_nc_u32_e32 v72, 29, v72
	v_cndmask_b32_e64 v21, v73, v72, s0
	v_cndmask_b32_e64 v72, 0, v74, s0
	v_lshl_add_u32 v21, v21, 23, 0x3c000000
	v_lshlrev_b64 v[72:73], v72, v[10:11]
	v_lshlrev_b32_e32 v73, 24, v10
	v_lshlrev_b32_e32 v72, 20, v72
	v_and_b32_e32 v73, 0x80000000, v73
	v_and_b32_e32 v72, 0x700000, v72
	v_or3_b32 v72, v72, v73, v21
.LBB347_637:                            ;   in Loop: Header=BB347_417 Depth=1
	s_or_b32 exec_lo, exec_lo, s15
.LBB347_638:                            ;   in Loop: Header=BB347_417 Depth=1
	s_or_b32 exec_lo, exec_lo, s14
.LBB347_639:                            ;   in Loop: Header=BB347_417 Depth=1
	s_or_b32 exec_lo, exec_lo, s13
	v_cmp_ne_u16_sdwa s0, v10, v11 src0_sel:BYTE_1 src1_sel:DWORD
	s_and_saveexec_b32 s13, s0
	s_cbranch_execz .LBB347_647
; %bb.640:                              ;   in Loop: Header=BB347_417 Depth=1
	v_cmp_ne_u16_sdwa s0, v10, v32 src0_sel:BYTE_1 src1_sel:DWORD
	v_bfrev_b32_e32 v20, 1
	s_and_saveexec_b32 s14, s0
	s_cbranch_execz .LBB347_646
; %bb.641:                              ;   in Loop: Header=BB347_417 Depth=1
	v_and_b32_sdwa v21, v33, v10 dst_sel:DWORD dst_unused:UNUSED_PAD src0_sel:DWORD src1_sel:BYTE_1
	v_mov_b32_e32 v20, 0x7f800001
	s_mov_b32 s15, exec_lo
	v_and_b32_e32 v74, 0x7f, v21
	v_cmpx_ne_u32_e32 0x7f, v74
	s_cbranch_execz .LBB347_645
; %bb.642:                              ;   in Loop: Header=BB347_417 Depth=1
	v_and_b32_e32 v20, 7, v21
	v_mov_b32_e32 v21, v11
	v_lshrrev_b32_e32 v73, 3, v74
	s_mov_b32 s16, exec_lo
	v_cmpx_gt_u32_e32 8, v74
; %bb.643:                              ;   in Loop: Header=BB347_417 Depth=1
	v_ffbh_u32_e32 v73, v20
	v_min_u32_e32 v73, 32, v73
	v_subrev_nc_u32_e32 v74, 28, v73
	v_sub_nc_u32_e32 v73, 29, v73
	v_lshlrev_b64 v[20:21], v74, v[20:21]
	v_and_b32_e32 v20, 7, v20
; %bb.644:                              ;   in Loop: Header=BB347_417 Depth=1
	s_or_b32 exec_lo, exec_lo, s16
	v_lshlrev_b32_e32 v10, 16, v10
	v_lshlrev_b32_e32 v20, 20, v20
	v_lshl_add_u32 v21, v73, 23, 0x3c000000
	v_and_b32_e32 v10, 0x80000000, v10
	v_or3_b32 v20, v20, v10, v21
.LBB347_645:                            ;   in Loop: Header=BB347_417 Depth=1
	s_or_b32 exec_lo, exec_lo, s15
.LBB347_646:                            ;   in Loop: Header=BB347_417 Depth=1
	s_or_b32 exec_lo, exec_lo, s14
.LBB347_647:                            ;   in Loop: Header=BB347_417 Depth=1
	s_or_b32 exec_lo, exec_lo, s13
	v_and_b32_sdwa v10, v19, v34 dst_sel:DWORD dst_unused:UNUSED_PAD src0_sel:WORD_1 src1_sel:DWORD
	v_mov_b32_e32 v21, 0
	v_mov_b32_e32 v73, 0
	s_mov_b32 s13, exec_lo
	v_cmpx_ne_u16_e32 0, v10
	s_cbranch_execz .LBB347_655
; %bb.648:                              ;   in Loop: Header=BB347_417 Depth=1
	v_bfrev_b32_e32 v73, 1
	s_mov_b32 s14, exec_lo
	v_cmpx_ne_u16_e32 0x80, v10
	s_cbranch_execz .LBB347_654
; %bb.649:                              ;   in Loop: Header=BB347_417 Depth=1
	v_bfe_u32 v74, v19, 16, 7
	v_mov_b32_e32 v73, 0x7f800001
	s_mov_b32 s15, exec_lo
	v_cmpx_ne_u32_e32 0x7f, v74
	s_cbranch_execz .LBB347_653
; %bb.650:                              ;   in Loop: Header=BB347_417 Depth=1
	v_and_b32_sdwa v10, v19, v35 dst_sel:DWORD dst_unused:UNUSED_PAD src0_sel:WORD_1 src1_sel:DWORD
	v_lshrrev_b32_e32 v73, 3, v74
	s_mov_b32 s16, exec_lo
	v_cmpx_gt_u32_e32 8, v74
; %bb.651:                              ;   in Loop: Header=BB347_417 Depth=1
	v_ffbh_u32_e32 v73, v10
	v_min_u32_e32 v73, 32, v73
	v_subrev_nc_u32_e32 v74, 28, v73
	v_sub_nc_u32_e32 v73, 29, v73
	v_lshlrev_b64 v[74:75], v74, v[10:11]
	v_and_b32_e32 v10, 7, v74
; %bb.652:                              ;   in Loop: Header=BB347_417 Depth=1
	s_or_b32 exec_lo, exec_lo, s16
	v_lshlrev_b32_sdwa v74, v36, v19 dst_sel:DWORD dst_unused:UNUSED_PAD src0_sel:DWORD src1_sel:WORD_1
	v_lshlrev_b32_e32 v10, 20, v10
	v_lshl_add_u32 v73, v73, 23, 0x3c000000
	v_and_b32_e32 v74, 0x80000000, v74
	v_or3_b32 v73, v10, v74, v73
.LBB347_653:                            ;   in Loop: Header=BB347_417 Depth=1
	s_or_b32 exec_lo, exec_lo, s15
.LBB347_654:                            ;   in Loop: Header=BB347_417 Depth=1
	s_or_b32 exec_lo, exec_lo, s14
.LBB347_655:                            ;   in Loop: Header=BB347_417 Depth=1
	s_or_b32 exec_lo, exec_lo, s13
	s_mov_b32 s13, exec_lo
	v_cmpx_lt_u64_e64 s[4:5], v[18:19]
	s_cbranch_execz .LBB347_663
; %bb.656:                              ;   in Loop: Header=BB347_417 Depth=1
	v_cmp_ne_u32_sdwa s0, v19, v32 src0_sel:BYTE_3 src1_sel:DWORD
	v_bfrev_b32_e32 v21, 1
	s_and_saveexec_b32 s14, s0
	s_cbranch_execz .LBB347_662
; %bb.657:                              ;   in Loop: Header=BB347_417 Depth=1
	v_bfe_u32 v74, v19, 24, 7
	v_mov_b32_e32 v21, 0x7f800001
	s_mov_b32 s15, exec_lo
	v_cmpx_ne_u32_e32 0x7f, v74
	s_cbranch_execz .LBB347_661
; %bb.658:                              ;   in Loop: Header=BB347_417 Depth=1
	v_and_b32_sdwa v10, v19, v35 dst_sel:DWORD dst_unused:UNUSED_PAD src0_sel:BYTE_3 src1_sel:DWORD
	v_lshrrev_b32_e32 v18, 3, v74
	s_mov_b32 s16, exec_lo
	v_cmpx_gt_u32_e32 8, v74
; %bb.659:                              ;   in Loop: Header=BB347_417 Depth=1
	v_ffbh_u32_e32 v18, v10
	v_min_u32_e32 v18, 32, v18
	v_subrev_nc_u32_e32 v21, 28, v18
	v_sub_nc_u32_e32 v18, 29, v18
	v_lshlrev_b64 v[74:75], v21, v[10:11]
	v_and_b32_e32 v10, 7, v74
; %bb.660:                              ;   in Loop: Header=BB347_417 Depth=1
	s_or_b32 exec_lo, exec_lo, s16
	v_lshlrev_b32_sdwa v19, v36, v19 dst_sel:DWORD dst_unused:UNUSED_PAD src0_sel:DWORD src1_sel:BYTE_3
	v_lshlrev_b32_e32 v10, 20, v10
	v_lshl_add_u32 v18, v18, 23, 0x3c000000
	v_and_b32_e32 v19, 0x80000000, v19
	v_or3_b32 v21, v10, v19, v18
.LBB347_661:                            ;   in Loop: Header=BB347_417 Depth=1
	s_or_b32 exec_lo, exec_lo, s15
.LBB347_662:                            ;   in Loop: Header=BB347_417 Depth=1
	s_or_b32 exec_lo, exec_lo, s14
.LBB347_663:                            ;   in Loop: Header=BB347_417 Depth=1
	s_or_b32 exec_lo, exec_lo, s13
	v_mul_f32_e32 v10, s6, v20
	v_mul_f32_e32 v18, s6, v72
	;; [unrolled: 1-line block ×5, first 2 shown]
	v_bfe_u32 v68, v10, 16, 1
	v_or_b32_e32 v71, 0x400000, v10
	v_bfe_u32 v72, v18, 16, 1
	v_cmp_u_f32_e64 s0, v10, v10
	v_or_b32_e32 v74, 0x400000, v18
	v_add3_u32 v68, v68, v10, 0x7fff
	v_bfe_u32 v75, v19, 16, 1
	v_add3_u32 v72, v72, v18, 0x7fff
	v_or_b32_e32 v76, 0x400000, v19
	v_bfe_u32 v77, v20, 16, 1
	v_cndmask_b32_e64 v10, v68, v71, s0
	v_cmp_u_f32_e64 s0, v18, v18
	v_add3_u32 v75, v75, v19, 0x7fff
	v_lshrrev_b32_e32 v68, 16, v10
	v_cndmask_b32_e64 v18, v72, v74, s0
	v_cmp_u_f32_e64 s0, v19, v19
	v_mul_f32_e32 v10, s6, v69
	v_add3_u32 v72, v77, v20, 0x7fff
	v_or_b32_e32 v74, 0x400000, v20
	v_lshrrev_b32_e32 v69, 16, v18
	v_cndmask_b32_e64 v19, v75, v76, s0
	v_bfe_u32 v18, v10, 16, 1
	v_cmp_u_f32_e64 s0, v20, v20
	v_mul_f32_e32 v20, s6, v70
	v_mul_f32_e32 v70, s6, v73
	v_lshrrev_b32_e32 v71, 16, v19
	v_add3_u32 v18, v18, v10, 0x7fff
	v_cndmask_b32_e64 v19, v72, v74, s0
	v_or_b32_e32 v72, 0x400000, v10
	v_bfe_u32 v73, v20, 16, 1
	v_cmp_u_f32_e64 s0, v10, v10
	v_bfe_u32 v74, v70, 16, 1
	v_or_b32_e32 v75, 0x400000, v70
	v_or_b32_e32 v76, 0x400000, v21
	v_cndmask_b32_e64 v10, v18, v72, s0
	v_add3_u32 v72, v73, v20, 0x7fff
	v_or_b32_e32 v73, 0x400000, v20
	v_cmp_u_f32_e64 s0, v20, v20
	v_bfe_u32 v18, v21, 16, 1
	v_add3_u32 v74, v74, v70, 0x7fff
	v_cndmask_b32_e64 v20, v72, v73, s0
	v_cmp_u_f32_e64 s0, v70, v70
	v_add3_u32 v18, v18, v21, 0x7fff
	v_lshrrev_b32_e32 v73, 16, v19
	v_cndmask_b32_e64 v70, v74, v75, s0
	v_cmp_u_f32_e64 s0, v21, v21
	v_lshrrev_b32_e32 v75, 16, v10
	v_lshrrev_b32_e32 v74, 16, v20
	v_lshrrev_b32_e32 v70, 16, v70
	v_cndmask_b32_e64 v18, v18, v76, s0
	v_lshrrev_b32_e32 v72, 16, v18
	s_and_saveexec_b32 s13, vcc_lo
	s_cbranch_execz .LBB347_665
; %bb.664:                              ;   in Loop: Header=BB347_417 Depth=1
	v_cmp_gt_i32_e64 s0, s27, v45
	v_cndmask_b32_e64 v74, 0, v74, s0
	v_cmp_gt_i32_e64 s0, s27, v51
	v_cndmask_b32_e64 v75, 0, v75, s0
	;; [unrolled: 2-line block ×8, first 2 shown]
.LBB347_665:                            ;   in Loop: Header=BB347_417 Depth=1
	s_or_b32 exec_lo, exec_lo, s13
	global_load_dwordx2 v[18:19], v[16:17], off offset:1024
	v_mov_b32_e32 v77, 0
	v_mov_b32_e32 v76, 0
	s_waitcnt vmcnt(0)
	v_cmp_ne_u16_sdwa s0, v18, v11 src0_sel:BYTE_0 src1_sel:DWORD
	s_and_saveexec_b32 s13, s0
	s_cbranch_execz .LBB347_671
; %bb.666:                              ;   in Loop: Header=BB347_417 Depth=1
	v_cmp_ne_u16_sdwa s0, v18, v32 src0_sel:BYTE_0 src1_sel:DWORD
	v_bfrev_b32_e32 v76, 1
	s_and_saveexec_b32 s14, s0
	s_cbranch_execz .LBB347_670
; %bb.667:                              ;   in Loop: Header=BB347_417 Depth=1
	v_and_b32_e32 v10, 0x7f, v18
	v_mov_b32_e32 v76, 0x7f800001
	s_mov_b32 s15, exec_lo
	v_cmpx_ne_u32_e32 0x7f, v10
	s_cbranch_execz .LBB347_669
; %bb.668:                              ;   in Loop: Header=BB347_417 Depth=1
	v_and_b32_e32 v20, 7, v18
	v_lshrrev_b32_e32 v21, 3, v10
	v_cmp_gt_u32_e64 s0, 8, v10
	v_ffbh_u32_e32 v20, v20
	v_min_u32_e32 v20, 32, v20
	v_subrev_nc_u32_e32 v76, 28, v20
	v_sub_nc_u32_e32 v20, 29, v20
	v_cndmask_b32_e64 v10, v21, v20, s0
	v_cndmask_b32_e64 v20, 0, v76, s0
	v_lshl_add_u32 v10, v10, 23, 0x3c000000
	v_lshlrev_b64 v[20:21], v20, v[18:19]
	v_lshlrev_b32_e32 v21, 24, v18
	v_lshlrev_b32_e32 v20, 20, v20
	v_and_b32_e32 v21, 0x80000000, v21
	v_and_b32_e32 v20, 0x700000, v20
	v_or3_b32 v76, v20, v21, v10
.LBB347_669:                            ;   in Loop: Header=BB347_417 Depth=1
	s_or_b32 exec_lo, exec_lo, s15
.LBB347_670:                            ;   in Loop: Header=BB347_417 Depth=1
	s_or_b32 exec_lo, exec_lo, s14
.LBB347_671:                            ;   in Loop: Header=BB347_417 Depth=1
	s_or_b32 exec_lo, exec_lo, s13
	v_cmp_ne_u16_sdwa s0, v18, v11 src0_sel:BYTE_1 src1_sel:DWORD
	s_and_saveexec_b32 s13, s0
	s_cbranch_execz .LBB347_679
; %bb.672:                              ;   in Loop: Header=BB347_417 Depth=1
	v_cmp_ne_u16_sdwa s0, v18, v32 src0_sel:BYTE_1 src1_sel:DWORD
	v_bfrev_b32_e32 v77, 1
	s_and_saveexec_b32 s14, s0
	s_cbranch_execz .LBB347_678
; %bb.673:                              ;   in Loop: Header=BB347_417 Depth=1
	v_and_b32_sdwa v10, v33, v18 dst_sel:DWORD dst_unused:UNUSED_PAD src0_sel:DWORD src1_sel:BYTE_1
	v_mov_b32_e32 v77, 0x7f800001
	s_mov_b32 s15, exec_lo
	v_and_b32_e32 v21, 0x7f, v10
	v_cmpx_ne_u32_e32 0x7f, v21
	s_cbranch_execz .LBB347_677
; %bb.674:                              ;   in Loop: Header=BB347_417 Depth=1
	v_and_b32_e32 v10, 7, v10
	v_lshrrev_b32_e32 v20, 3, v21
	s_mov_b32 s16, exec_lo
	v_cmpx_gt_u32_e32 8, v21
; %bb.675:                              ;   in Loop: Header=BB347_417 Depth=1
	v_ffbh_u32_e32 v20, v10
	v_min_u32_e32 v20, 32, v20
	v_subrev_nc_u32_e32 v21, 28, v20
	v_sub_nc_u32_e32 v20, 29, v20
	v_lshlrev_b64 v[77:78], v21, v[10:11]
	v_and_b32_e32 v10, 7, v77
; %bb.676:                              ;   in Loop: Header=BB347_417 Depth=1
	s_or_b32 exec_lo, exec_lo, s16
	v_lshlrev_b32_e32 v21, 16, v18
	v_lshlrev_b32_e32 v10, 20, v10
	v_lshl_add_u32 v20, v20, 23, 0x3c000000
	v_and_b32_e32 v21, 0x80000000, v21
	v_or3_b32 v77, v10, v21, v20
.LBB347_677:                            ;   in Loop: Header=BB347_417 Depth=1
	s_or_b32 exec_lo, exec_lo, s15
.LBB347_678:                            ;   in Loop: Header=BB347_417 Depth=1
	s_or_b32 exec_lo, exec_lo, s14
.LBB347_679:                            ;   in Loop: Header=BB347_417 Depth=1
	s_or_b32 exec_lo, exec_lo, s13
	v_and_b32_sdwa v10, v18, v34 dst_sel:DWORD dst_unused:UNUSED_PAD src0_sel:WORD_1 src1_sel:DWORD
	v_mov_b32_e32 v79, 0
	v_mov_b32_e32 v78, 0
	s_mov_b32 s13, exec_lo
	v_cmpx_ne_u16_e32 0, v10
	s_cbranch_execz .LBB347_687
; %bb.680:                              ;   in Loop: Header=BB347_417 Depth=1
	v_bfrev_b32_e32 v78, 1
	s_mov_b32 s14, exec_lo
	v_cmpx_ne_u16_e32 0x80, v10
	s_cbranch_execz .LBB347_686
; %bb.681:                              ;   in Loop: Header=BB347_417 Depth=1
	v_bfe_u32 v21, v18, 16, 7
	v_mov_b32_e32 v78, 0x7f800001
	s_mov_b32 s15, exec_lo
	v_cmpx_ne_u32_e32 0x7f, v21
	s_cbranch_execz .LBB347_685
; %bb.682:                              ;   in Loop: Header=BB347_417 Depth=1
	v_and_b32_sdwa v10, v18, v35 dst_sel:DWORD dst_unused:UNUSED_PAD src0_sel:WORD_1 src1_sel:DWORD
	v_lshrrev_b32_e32 v20, 3, v21
	s_mov_b32 s16, exec_lo
	v_cmpx_gt_u32_e32 8, v21
; %bb.683:                              ;   in Loop: Header=BB347_417 Depth=1
	v_ffbh_u32_e32 v20, v10
	v_min_u32_e32 v20, 32, v20
	v_subrev_nc_u32_e32 v21, 28, v20
	v_sub_nc_u32_e32 v20, 29, v20
	v_lshlrev_b64 v[80:81], v21, v[10:11]
	v_and_b32_e32 v10, 7, v80
; %bb.684:                              ;   in Loop: Header=BB347_417 Depth=1
	s_or_b32 exec_lo, exec_lo, s16
	v_lshlrev_b32_sdwa v21, v36, v18 dst_sel:DWORD dst_unused:UNUSED_PAD src0_sel:DWORD src1_sel:WORD_1
	v_lshlrev_b32_e32 v10, 20, v10
	v_lshl_add_u32 v20, v20, 23, 0x3c000000
	v_and_b32_e32 v21, 0x80000000, v21
	v_or3_b32 v78, v10, v21, v20
.LBB347_685:                            ;   in Loop: Header=BB347_417 Depth=1
	s_or_b32 exec_lo, exec_lo, s15
.LBB347_686:                            ;   in Loop: Header=BB347_417 Depth=1
	s_or_b32 exec_lo, exec_lo, s14
.LBB347_687:                            ;   in Loop: Header=BB347_417 Depth=1
	s_or_b32 exec_lo, exec_lo, s13
	s_mov_b32 s13, exec_lo
	v_cmpx_lt_u32_e32 0xffffff, v18
	s_cbranch_execz .LBB347_695
; %bb.688:                              ;   in Loop: Header=BB347_417 Depth=1
	v_cmp_ne_u32_sdwa s0, v18, v32 src0_sel:BYTE_3 src1_sel:DWORD
	v_bfrev_b32_e32 v79, 1
	s_and_saveexec_b32 s14, s0
	s_cbranch_execz .LBB347_694
; %bb.689:                              ;   in Loop: Header=BB347_417 Depth=1
	v_bfe_u32 v21, v18, 24, 7
	v_mov_b32_e32 v79, 0x7f800001
	s_mov_b32 s15, exec_lo
	v_cmpx_ne_u32_e32 0x7f, v21
	s_cbranch_execz .LBB347_693
; %bb.690:                              ;   in Loop: Header=BB347_417 Depth=1
	v_and_b32_sdwa v10, v18, v35 dst_sel:DWORD dst_unused:UNUSED_PAD src0_sel:BYTE_3 src1_sel:DWORD
	v_lshrrev_b32_e32 v20, 3, v21
	s_mov_b32 s16, exec_lo
	v_cmpx_gt_u32_e32 8, v21
; %bb.691:                              ;   in Loop: Header=BB347_417 Depth=1
	v_ffbh_u32_e32 v20, v10
	v_min_u32_e32 v20, 32, v20
	v_subrev_nc_u32_e32 v21, 28, v20
	v_sub_nc_u32_e32 v20, 29, v20
	v_lshlrev_b64 v[79:80], v21, v[10:11]
	v_and_b32_e32 v10, 7, v79
; %bb.692:                              ;   in Loop: Header=BB347_417 Depth=1
	s_or_b32 exec_lo, exec_lo, s16
	v_lshlrev_b32_sdwa v21, v36, v18 dst_sel:DWORD dst_unused:UNUSED_PAD src0_sel:DWORD src1_sel:BYTE_3
	v_lshlrev_b32_e32 v10, 20, v10
	v_lshl_add_u32 v20, v20, 23, 0x3c000000
	v_and_b32_e32 v21, 0x80000000, v21
	v_or3_b32 v79, v10, v21, v20
.LBB347_693:                            ;   in Loop: Header=BB347_417 Depth=1
	s_or_b32 exec_lo, exec_lo, s15
.LBB347_694:                            ;   in Loop: Header=BB347_417 Depth=1
	s_or_b32 exec_lo, exec_lo, s14
.LBB347_695:                            ;   in Loop: Header=BB347_417 Depth=1
	s_or_b32 exec_lo, exec_lo, s13
	v_mov_b32_e32 v10, v19
	v_cmp_ne_u16_sdwa s0, v19, v11 src0_sel:BYTE_0 src1_sel:DWORD
	v_mov_b32_e32 v20, 0
	v_mov_b32_e32 v80, 0
	s_and_saveexec_b32 s13, s0
	s_cbranch_execz .LBB347_701
; %bb.696:                              ;   in Loop: Header=BB347_417 Depth=1
	v_cmp_ne_u16_sdwa s0, v19, v32 src0_sel:BYTE_0 src1_sel:DWORD
	v_bfrev_b32_e32 v80, 1
	s_and_saveexec_b32 s14, s0
	s_cbranch_execz .LBB347_700
; %bb.697:                              ;   in Loop: Header=BB347_417 Depth=1
	v_and_b32_e32 v21, 0x7f, v19
	v_mov_b32_e32 v80, 0x7f800001
	s_mov_b32 s15, exec_lo
	v_cmpx_ne_u32_e32 0x7f, v21
	s_cbranch_execz .LBB347_699
; %bb.698:                              ;   in Loop: Header=BB347_417 Depth=1
	v_and_b32_e32 v80, 7, v19
	v_lshrrev_b32_e32 v81, 3, v21
	v_cmp_gt_u32_e64 s0, 8, v21
	v_ffbh_u32_e32 v80, v80
	v_min_u32_e32 v80, 32, v80
	v_subrev_nc_u32_e32 v82, 28, v80
	v_sub_nc_u32_e32 v80, 29, v80
	v_cndmask_b32_e64 v21, v81, v80, s0
	v_cndmask_b32_e64 v80, 0, v82, s0
	v_lshl_add_u32 v21, v21, 23, 0x3c000000
	v_lshlrev_b64 v[80:81], v80, v[10:11]
	v_lshlrev_b32_e32 v81, 24, v10
	v_lshlrev_b32_e32 v80, 20, v80
	v_and_b32_e32 v81, 0x80000000, v81
	v_and_b32_e32 v80, 0x700000, v80
	v_or3_b32 v80, v80, v81, v21
.LBB347_699:                            ;   in Loop: Header=BB347_417 Depth=1
	s_or_b32 exec_lo, exec_lo, s15
.LBB347_700:                            ;   in Loop: Header=BB347_417 Depth=1
	s_or_b32 exec_lo, exec_lo, s14
.LBB347_701:                            ;   in Loop: Header=BB347_417 Depth=1
	s_or_b32 exec_lo, exec_lo, s13
	v_cmp_ne_u16_sdwa s0, v10, v11 src0_sel:BYTE_1 src1_sel:DWORD
	s_and_saveexec_b32 s13, s0
	s_cbranch_execz .LBB347_709
; %bb.702:                              ;   in Loop: Header=BB347_417 Depth=1
	v_cmp_ne_u16_sdwa s0, v10, v32 src0_sel:BYTE_1 src1_sel:DWORD
	v_bfrev_b32_e32 v20, 1
	s_and_saveexec_b32 s14, s0
	s_cbranch_execz .LBB347_708
; %bb.703:                              ;   in Loop: Header=BB347_417 Depth=1
	v_and_b32_sdwa v21, v33, v10 dst_sel:DWORD dst_unused:UNUSED_PAD src0_sel:DWORD src1_sel:BYTE_1
	v_mov_b32_e32 v20, 0x7f800001
	s_mov_b32 s15, exec_lo
	v_and_b32_e32 v82, 0x7f, v21
	v_cmpx_ne_u32_e32 0x7f, v82
	s_cbranch_execz .LBB347_707
; %bb.704:                              ;   in Loop: Header=BB347_417 Depth=1
	v_and_b32_e32 v20, 7, v21
	v_mov_b32_e32 v21, v11
	v_lshrrev_b32_e32 v81, 3, v82
	s_mov_b32 s16, exec_lo
	v_cmpx_gt_u32_e32 8, v82
; %bb.705:                              ;   in Loop: Header=BB347_417 Depth=1
	v_ffbh_u32_e32 v81, v20
	v_min_u32_e32 v81, 32, v81
	v_subrev_nc_u32_e32 v82, 28, v81
	v_sub_nc_u32_e32 v81, 29, v81
	v_lshlrev_b64 v[20:21], v82, v[20:21]
	v_and_b32_e32 v20, 7, v20
; %bb.706:                              ;   in Loop: Header=BB347_417 Depth=1
	s_or_b32 exec_lo, exec_lo, s16
	v_lshlrev_b32_e32 v10, 16, v10
	v_lshlrev_b32_e32 v20, 20, v20
	v_lshl_add_u32 v21, v81, 23, 0x3c000000
	v_and_b32_e32 v10, 0x80000000, v10
	v_or3_b32 v20, v20, v10, v21
.LBB347_707:                            ;   in Loop: Header=BB347_417 Depth=1
	s_or_b32 exec_lo, exec_lo, s15
.LBB347_708:                            ;   in Loop: Header=BB347_417 Depth=1
	s_or_b32 exec_lo, exec_lo, s14
.LBB347_709:                            ;   in Loop: Header=BB347_417 Depth=1
	s_or_b32 exec_lo, exec_lo, s13
	v_and_b32_sdwa v10, v19, v34 dst_sel:DWORD dst_unused:UNUSED_PAD src0_sel:WORD_1 src1_sel:DWORD
	v_mov_b32_e32 v81, 0
	v_mov_b32_e32 v82, 0
	s_mov_b32 s13, exec_lo
	v_cmpx_ne_u16_e32 0, v10
	s_cbranch_execz .LBB347_717
; %bb.710:                              ;   in Loop: Header=BB347_417 Depth=1
	v_bfrev_b32_e32 v82, 1
	s_mov_b32 s14, exec_lo
	v_cmpx_ne_u16_e32 0x80, v10
	s_cbranch_execz .LBB347_716
; %bb.711:                              ;   in Loop: Header=BB347_417 Depth=1
	v_bfe_u32 v83, v19, 16, 7
	v_mov_b32_e32 v82, 0x7f800001
	s_mov_b32 s15, exec_lo
	v_cmpx_ne_u32_e32 0x7f, v83
	s_cbranch_execz .LBB347_715
; %bb.712:                              ;   in Loop: Header=BB347_417 Depth=1
	v_and_b32_sdwa v10, v19, v35 dst_sel:DWORD dst_unused:UNUSED_PAD src0_sel:WORD_1 src1_sel:DWORD
	v_lshrrev_b32_e32 v21, 3, v83
	s_mov_b32 s16, exec_lo
	v_cmpx_gt_u32_e32 8, v83
; %bb.713:                              ;   in Loop: Header=BB347_417 Depth=1
	v_ffbh_u32_e32 v21, v10
	v_min_u32_e32 v21, 32, v21
	v_subrev_nc_u32_e32 v82, 28, v21
	v_sub_nc_u32_e32 v21, 29, v21
	v_lshlrev_b64 v[82:83], v82, v[10:11]
	v_and_b32_e32 v10, 7, v82
; %bb.714:                              ;   in Loop: Header=BB347_417 Depth=1
	s_or_b32 exec_lo, exec_lo, s16
	v_lshlrev_b32_sdwa v82, v36, v19 dst_sel:DWORD dst_unused:UNUSED_PAD src0_sel:DWORD src1_sel:WORD_1
	v_lshlrev_b32_e32 v10, 20, v10
	v_lshl_add_u32 v21, v21, 23, 0x3c000000
	v_and_b32_e32 v82, 0x80000000, v82
	v_or3_b32 v82, v10, v82, v21
.LBB347_715:                            ;   in Loop: Header=BB347_417 Depth=1
	s_or_b32 exec_lo, exec_lo, s15
.LBB347_716:                            ;   in Loop: Header=BB347_417 Depth=1
	s_or_b32 exec_lo, exec_lo, s14
.LBB347_717:                            ;   in Loop: Header=BB347_417 Depth=1
	s_or_b32 exec_lo, exec_lo, s13
	s_mov_b32 s13, exec_lo
	v_cmpx_lt_u64_e64 s[4:5], v[18:19]
	s_cbranch_execz .LBB347_725
; %bb.718:                              ;   in Loop: Header=BB347_417 Depth=1
	v_cmp_ne_u32_sdwa s0, v19, v32 src0_sel:BYTE_3 src1_sel:DWORD
	v_bfrev_b32_e32 v81, 1
	s_and_saveexec_b32 s14, s0
	s_cbranch_execz .LBB347_724
; %bb.719:                              ;   in Loop: Header=BB347_417 Depth=1
	v_bfe_u32 v21, v19, 24, 7
	v_mov_b32_e32 v81, 0x7f800001
	s_mov_b32 s15, exec_lo
	v_cmpx_ne_u32_e32 0x7f, v21
	s_cbranch_execz .LBB347_723
; %bb.720:                              ;   in Loop: Header=BB347_417 Depth=1
	v_and_b32_sdwa v10, v19, v35 dst_sel:DWORD dst_unused:UNUSED_PAD src0_sel:BYTE_3 src1_sel:DWORD
	v_lshrrev_b32_e32 v18, 3, v21
	s_mov_b32 s16, exec_lo
	v_cmpx_gt_u32_e32 8, v21
; %bb.721:                              ;   in Loop: Header=BB347_417 Depth=1
	v_ffbh_u32_e32 v18, v10
	v_min_u32_e32 v18, 32, v18
	v_subrev_nc_u32_e32 v21, 28, v18
	v_sub_nc_u32_e32 v18, 29, v18
	v_lshlrev_b64 v[83:84], v21, v[10:11]
	v_and_b32_e32 v10, 7, v83
; %bb.722:                              ;   in Loop: Header=BB347_417 Depth=1
	s_or_b32 exec_lo, exec_lo, s16
	v_lshlrev_b32_sdwa v19, v36, v19 dst_sel:DWORD dst_unused:UNUSED_PAD src0_sel:DWORD src1_sel:BYTE_3
	v_lshlrev_b32_e32 v10, 20, v10
	v_lshl_add_u32 v18, v18, 23, 0x3c000000
	v_and_b32_e32 v19, 0x80000000, v19
	v_or3_b32 v81, v10, v19, v18
.LBB347_723:                            ;   in Loop: Header=BB347_417 Depth=1
	s_or_b32 exec_lo, exec_lo, s15
.LBB347_724:                            ;   in Loop: Header=BB347_417 Depth=1
	s_or_b32 exec_lo, exec_lo, s14
.LBB347_725:                            ;   in Loop: Header=BB347_417 Depth=1
	s_or_b32 exec_lo, exec_lo, s13
	v_mul_f32_e32 v10, s6, v20
	v_mul_f32_e32 v18, s6, v80
	;; [unrolled: 1-line block ×5, first 2 shown]
	v_bfe_u32 v20, v10, 16, 1
	v_or_b32_e32 v21, 0x400000, v10
	v_bfe_u32 v78, v18, 16, 1
	v_cmp_u_f32_e64 s0, v10, v10
	v_or_b32_e32 v80, 0x400000, v18
	v_add3_u32 v20, v20, v10, 0x7fff
	v_bfe_u32 v83, v19, 16, 1
	v_add3_u32 v78, v78, v18, 0x7fff
	v_or_b32_e32 v84, 0x400000, v19
	v_bfe_u32 v85, v79, 16, 1
	v_cndmask_b32_e64 v10, v20, v21, s0
	v_cmp_u_f32_e64 s0, v18, v18
	v_add3_u32 v83, v83, v19, 0x7fff
	v_lshrrev_b32_e32 v20, 16, v10
	v_cndmask_b32_e64 v18, v78, v80, s0
	v_cmp_u_f32_e64 s0, v19, v19
	v_mul_f32_e32 v10, s6, v77
	v_add3_u32 v77, v85, v79, 0x7fff
	v_or_b32_e32 v80, 0x400000, v79
	v_lshrrev_b32_e32 v21, 16, v18
	v_cndmask_b32_e64 v19, v83, v84, s0
	v_bfe_u32 v18, v10, 16, 1
	v_cmp_u_f32_e64 s0, v79, v79
	v_or_b32_e32 v79, 0x400000, v10
	v_lshrrev_b32_e32 v78, 16, v19
	v_add3_u32 v18, v18, v10, 0x7fff
	v_cndmask_b32_e64 v19, v77, v80, s0
	v_mul_f32_e32 v77, s6, v82
	v_mul_f32_e32 v80, s6, v81
	v_bfe_u32 v81, v76, 16, 1
	v_cmp_u_f32_e64 s0, v10, v10
	v_bfe_u32 v82, v77, 16, 1
	v_or_b32_e32 v83, 0x400000, v77
	v_or_b32_e32 v84, 0x400000, v80
	v_cndmask_b32_e64 v10, v18, v79, s0
	v_add3_u32 v79, v81, v76, 0x7fff
	v_or_b32_e32 v81, 0x400000, v76
	v_cmp_u_f32_e64 s0, v76, v76
	v_bfe_u32 v18, v80, 16, 1
	v_add3_u32 v82, v82, v77, 0x7fff
	v_cndmask_b32_e64 v76, v79, v81, s0
	v_cmp_u_f32_e64 s0, v77, v77
	v_add3_u32 v18, v18, v80, 0x7fff
	v_lshrrev_b32_e32 v79, 16, v19
	v_lshrrev_b32_e32 v81, 16, v10
	v_cndmask_b32_e64 v77, v82, v83, s0
	v_cmp_u_f32_e64 s0, v80, v80
	v_lshrrev_b32_e32 v80, 16, v76
	v_lshrrev_b32_e32 v76, 16, v77
	v_cndmask_b32_e64 v18, v18, v84, s0
	v_lshrrev_b32_e32 v77, 16, v18
	s_and_saveexec_b32 s13, vcc_lo
	s_cbranch_execz .LBB347_727
; %bb.726:                              ;   in Loop: Header=BB347_417 Depth=1
	v_cmp_gt_i32_e64 s0, s27, v45
	v_cndmask_b32_e64 v80, 0, v80, s0
	v_cmp_gt_i32_e64 s0, s27, v51
	v_cndmask_b32_e64 v81, 0, v81, s0
	v_cmp_gt_i32_e64 s0, s27, v50
	v_cndmask_b32_e64 v79, 0, v79, s0
	v_cmp_gt_i32_e64 s0, s27, v49
	v_cndmask_b32_e64 v78, 0, v78, s0
	v_cmp_gt_i32_e64 s0, s27, v48
	v_cndmask_b32_e64 v21, 0, v21, s0
	v_cmp_gt_i32_e64 s0, s27, v47
	v_cndmask_b32_e64 v20, 0, v20, s0
	v_cmp_gt_i32_e64 s0, s27, v46
	v_cndmask_b32_e64 v76, 0, v76, s0
	v_cmp_gt_i32_e64 s0, s27, v30
	v_cndmask_b32_e64 v77, 0, v77, s0
.LBB347_727:                            ;   in Loop: Header=BB347_417 Depth=1
	s_or_b32 exec_lo, exec_lo, s13
	global_load_dwordx2 v[16:17], v[16:17], off offset:1280
	v_mov_b32_e32 v83, 0
	v_mov_b32_e32 v82, 0
	s_waitcnt vmcnt(0)
	v_cmp_ne_u16_sdwa s0, v16, v11 src0_sel:BYTE_0 src1_sel:DWORD
	s_and_saveexec_b32 s13, s0
	s_cbranch_execz .LBB347_733
; %bb.728:                              ;   in Loop: Header=BB347_417 Depth=1
	v_cmp_ne_u16_sdwa s0, v16, v32 src0_sel:BYTE_0 src1_sel:DWORD
	v_bfrev_b32_e32 v82, 1
	s_and_saveexec_b32 s14, s0
	s_cbranch_execz .LBB347_732
; %bb.729:                              ;   in Loop: Header=BB347_417 Depth=1
	v_and_b32_e32 v10, 0x7f, v16
	v_mov_b32_e32 v82, 0x7f800001
	s_mov_b32 s15, exec_lo
	v_cmpx_ne_u32_e32 0x7f, v10
	s_cbranch_execz .LBB347_731
; %bb.730:                              ;   in Loop: Header=BB347_417 Depth=1
	v_and_b32_e32 v18, 7, v16
	v_lshrrev_b32_e32 v19, 3, v10
	v_cmp_gt_u32_e64 s0, 8, v10
	v_ffbh_u32_e32 v18, v18
	v_min_u32_e32 v18, 32, v18
	v_subrev_nc_u32_e32 v82, 28, v18
	v_sub_nc_u32_e32 v18, 29, v18
	v_cndmask_b32_e64 v10, v19, v18, s0
	v_cndmask_b32_e64 v18, 0, v82, s0
	v_lshl_add_u32 v10, v10, 23, 0x3c000000
	v_lshlrev_b64 v[18:19], v18, v[16:17]
	v_lshlrev_b32_e32 v19, 24, v16
	v_lshlrev_b32_e32 v18, 20, v18
	v_and_b32_e32 v19, 0x80000000, v19
	v_and_b32_e32 v18, 0x700000, v18
	v_or3_b32 v82, v18, v19, v10
.LBB347_731:                            ;   in Loop: Header=BB347_417 Depth=1
	s_or_b32 exec_lo, exec_lo, s15
.LBB347_732:                            ;   in Loop: Header=BB347_417 Depth=1
	s_or_b32 exec_lo, exec_lo, s14
.LBB347_733:                            ;   in Loop: Header=BB347_417 Depth=1
	s_or_b32 exec_lo, exec_lo, s13
	v_cmp_ne_u16_sdwa s0, v16, v11 src0_sel:BYTE_1 src1_sel:DWORD
	s_and_saveexec_b32 s13, s0
	s_cbranch_execz .LBB347_741
; %bb.734:                              ;   in Loop: Header=BB347_417 Depth=1
	v_cmp_ne_u16_sdwa s0, v16, v32 src0_sel:BYTE_1 src1_sel:DWORD
	v_bfrev_b32_e32 v83, 1
	s_and_saveexec_b32 s14, s0
	s_cbranch_execz .LBB347_740
; %bb.735:                              ;   in Loop: Header=BB347_417 Depth=1
	v_and_b32_sdwa v10, v33, v16 dst_sel:DWORD dst_unused:UNUSED_PAD src0_sel:DWORD src1_sel:BYTE_1
	v_mov_b32_e32 v83, 0x7f800001
	s_mov_b32 s15, exec_lo
	v_and_b32_e32 v19, 0x7f, v10
	v_cmpx_ne_u32_e32 0x7f, v19
	s_cbranch_execz .LBB347_739
; %bb.736:                              ;   in Loop: Header=BB347_417 Depth=1
	v_and_b32_e32 v10, 7, v10
	v_lshrrev_b32_e32 v18, 3, v19
	s_mov_b32 s16, exec_lo
	v_cmpx_gt_u32_e32 8, v19
; %bb.737:                              ;   in Loop: Header=BB347_417 Depth=1
	v_ffbh_u32_e32 v18, v10
	v_min_u32_e32 v18, 32, v18
	v_subrev_nc_u32_e32 v19, 28, v18
	v_sub_nc_u32_e32 v18, 29, v18
	v_lshlrev_b64 v[83:84], v19, v[10:11]
	v_and_b32_e32 v10, 7, v83
; %bb.738:                              ;   in Loop: Header=BB347_417 Depth=1
	s_or_b32 exec_lo, exec_lo, s16
	v_lshlrev_b32_e32 v19, 16, v16
	v_lshlrev_b32_e32 v10, 20, v10
	v_lshl_add_u32 v18, v18, 23, 0x3c000000
	v_and_b32_e32 v19, 0x80000000, v19
	v_or3_b32 v83, v10, v19, v18
.LBB347_739:                            ;   in Loop: Header=BB347_417 Depth=1
	s_or_b32 exec_lo, exec_lo, s15
.LBB347_740:                            ;   in Loop: Header=BB347_417 Depth=1
	s_or_b32 exec_lo, exec_lo, s14
.LBB347_741:                            ;   in Loop: Header=BB347_417 Depth=1
	s_or_b32 exec_lo, exec_lo, s13
	v_and_b32_sdwa v10, v16, v34 dst_sel:DWORD dst_unused:UNUSED_PAD src0_sel:WORD_1 src1_sel:DWORD
	v_mov_b32_e32 v85, 0
	v_mov_b32_e32 v84, 0
	s_mov_b32 s13, exec_lo
	v_cmpx_ne_u16_e32 0, v10
	s_cbranch_execz .LBB347_749
; %bb.742:                              ;   in Loop: Header=BB347_417 Depth=1
	v_bfrev_b32_e32 v84, 1
	s_mov_b32 s14, exec_lo
	v_cmpx_ne_u16_e32 0x80, v10
	s_cbranch_execz .LBB347_748
; %bb.743:                              ;   in Loop: Header=BB347_417 Depth=1
	v_bfe_u32 v19, v16, 16, 7
	v_mov_b32_e32 v84, 0x7f800001
	s_mov_b32 s15, exec_lo
	v_cmpx_ne_u32_e32 0x7f, v19
	s_cbranch_execz .LBB347_747
; %bb.744:                              ;   in Loop: Header=BB347_417 Depth=1
	v_and_b32_sdwa v10, v16, v35 dst_sel:DWORD dst_unused:UNUSED_PAD src0_sel:WORD_1 src1_sel:DWORD
	v_lshrrev_b32_e32 v18, 3, v19
	s_mov_b32 s16, exec_lo
	v_cmpx_gt_u32_e32 8, v19
; %bb.745:                              ;   in Loop: Header=BB347_417 Depth=1
	v_ffbh_u32_e32 v18, v10
	v_min_u32_e32 v18, 32, v18
	v_subrev_nc_u32_e32 v19, 28, v18
	v_sub_nc_u32_e32 v18, 29, v18
	v_lshlrev_b64 v[86:87], v19, v[10:11]
	v_and_b32_e32 v10, 7, v86
; %bb.746:                              ;   in Loop: Header=BB347_417 Depth=1
	s_or_b32 exec_lo, exec_lo, s16
	v_lshlrev_b32_sdwa v19, v36, v16 dst_sel:DWORD dst_unused:UNUSED_PAD src0_sel:DWORD src1_sel:WORD_1
	v_lshlrev_b32_e32 v10, 20, v10
	v_lshl_add_u32 v18, v18, 23, 0x3c000000
	v_and_b32_e32 v19, 0x80000000, v19
	v_or3_b32 v84, v10, v19, v18
.LBB347_747:                            ;   in Loop: Header=BB347_417 Depth=1
	s_or_b32 exec_lo, exec_lo, s15
.LBB347_748:                            ;   in Loop: Header=BB347_417 Depth=1
	s_or_b32 exec_lo, exec_lo, s14
.LBB347_749:                            ;   in Loop: Header=BB347_417 Depth=1
	s_or_b32 exec_lo, exec_lo, s13
	s_mov_b32 s13, exec_lo
	v_cmpx_lt_u32_e32 0xffffff, v16
	s_cbranch_execz .LBB347_757
; %bb.750:                              ;   in Loop: Header=BB347_417 Depth=1
	v_cmp_ne_u32_sdwa s0, v16, v32 src0_sel:BYTE_3 src1_sel:DWORD
	v_bfrev_b32_e32 v85, 1
	s_and_saveexec_b32 s14, s0
	s_cbranch_execz .LBB347_756
; %bb.751:                              ;   in Loop: Header=BB347_417 Depth=1
	v_bfe_u32 v19, v16, 24, 7
	v_mov_b32_e32 v85, 0x7f800001
	s_mov_b32 s15, exec_lo
	v_cmpx_ne_u32_e32 0x7f, v19
	s_cbranch_execz .LBB347_755
; %bb.752:                              ;   in Loop: Header=BB347_417 Depth=1
	v_and_b32_sdwa v10, v16, v35 dst_sel:DWORD dst_unused:UNUSED_PAD src0_sel:BYTE_3 src1_sel:DWORD
	v_lshrrev_b32_e32 v18, 3, v19
	s_mov_b32 s16, exec_lo
	v_cmpx_gt_u32_e32 8, v19
; %bb.753:                              ;   in Loop: Header=BB347_417 Depth=1
	v_ffbh_u32_e32 v18, v10
	v_min_u32_e32 v18, 32, v18
	v_subrev_nc_u32_e32 v19, 28, v18
	v_sub_nc_u32_e32 v18, 29, v18
	v_lshlrev_b64 v[85:86], v19, v[10:11]
	v_and_b32_e32 v10, 7, v85
; %bb.754:                              ;   in Loop: Header=BB347_417 Depth=1
	s_or_b32 exec_lo, exec_lo, s16
	v_lshlrev_b32_sdwa v19, v36, v16 dst_sel:DWORD dst_unused:UNUSED_PAD src0_sel:DWORD src1_sel:BYTE_3
	v_lshlrev_b32_e32 v10, 20, v10
	v_lshl_add_u32 v18, v18, 23, 0x3c000000
	v_and_b32_e32 v19, 0x80000000, v19
	v_or3_b32 v85, v10, v19, v18
.LBB347_755:                            ;   in Loop: Header=BB347_417 Depth=1
	s_or_b32 exec_lo, exec_lo, s15
.LBB347_756:                            ;   in Loop: Header=BB347_417 Depth=1
	s_or_b32 exec_lo, exec_lo, s14
.LBB347_757:                            ;   in Loop: Header=BB347_417 Depth=1
	s_or_b32 exec_lo, exec_lo, s13
	v_mov_b32_e32 v10, v17
	v_cmp_ne_u16_sdwa s0, v17, v11 src0_sel:BYTE_0 src1_sel:DWORD
	v_mov_b32_e32 v18, 0
	v_mov_b32_e32 v86, 0
	s_and_saveexec_b32 s13, s0
	s_cbranch_execz .LBB347_763
; %bb.758:                              ;   in Loop: Header=BB347_417 Depth=1
	v_cmp_ne_u16_sdwa s0, v17, v32 src0_sel:BYTE_0 src1_sel:DWORD
	v_bfrev_b32_e32 v86, 1
	s_and_saveexec_b32 s14, s0
	s_cbranch_execz .LBB347_762
; %bb.759:                              ;   in Loop: Header=BB347_417 Depth=1
	v_and_b32_e32 v19, 0x7f, v17
	v_mov_b32_e32 v86, 0x7f800001
	s_mov_b32 s15, exec_lo
	v_cmpx_ne_u32_e32 0x7f, v19
	s_cbranch_execz .LBB347_761
; %bb.760:                              ;   in Loop: Header=BB347_417 Depth=1
	v_and_b32_e32 v86, 7, v17
	v_lshrrev_b32_e32 v87, 3, v19
	v_cmp_gt_u32_e64 s0, 8, v19
	v_ffbh_u32_e32 v86, v86
	v_min_u32_e32 v86, 32, v86
	v_subrev_nc_u32_e32 v88, 28, v86
	v_sub_nc_u32_e32 v86, 29, v86
	v_cndmask_b32_e64 v19, v87, v86, s0
	v_cndmask_b32_e64 v86, 0, v88, s0
	v_lshl_add_u32 v19, v19, 23, 0x3c000000
	v_lshlrev_b64 v[86:87], v86, v[10:11]
	v_lshlrev_b32_e32 v87, 24, v10
	v_lshlrev_b32_e32 v86, 20, v86
	v_and_b32_e32 v87, 0x80000000, v87
	v_and_b32_e32 v86, 0x700000, v86
	v_or3_b32 v86, v86, v87, v19
.LBB347_761:                            ;   in Loop: Header=BB347_417 Depth=1
	s_or_b32 exec_lo, exec_lo, s15
.LBB347_762:                            ;   in Loop: Header=BB347_417 Depth=1
	s_or_b32 exec_lo, exec_lo, s14
.LBB347_763:                            ;   in Loop: Header=BB347_417 Depth=1
	s_or_b32 exec_lo, exec_lo, s13
	v_cmp_ne_u16_sdwa s0, v10, v11 src0_sel:BYTE_1 src1_sel:DWORD
	s_and_saveexec_b32 s13, s0
	s_cbranch_execz .LBB347_771
; %bb.764:                              ;   in Loop: Header=BB347_417 Depth=1
	v_cmp_ne_u16_sdwa s0, v10, v32 src0_sel:BYTE_1 src1_sel:DWORD
	v_bfrev_b32_e32 v18, 1
	s_and_saveexec_b32 s14, s0
	s_cbranch_execz .LBB347_770
; %bb.765:                              ;   in Loop: Header=BB347_417 Depth=1
	v_and_b32_sdwa v19, v33, v10 dst_sel:DWORD dst_unused:UNUSED_PAD src0_sel:DWORD src1_sel:BYTE_1
	v_mov_b32_e32 v18, 0x7f800001
	s_mov_b32 s15, exec_lo
	v_and_b32_e32 v88, 0x7f, v19
	v_cmpx_ne_u32_e32 0x7f, v88
	s_cbranch_execz .LBB347_769
; %bb.766:                              ;   in Loop: Header=BB347_417 Depth=1
	v_and_b32_e32 v18, 7, v19
	v_mov_b32_e32 v19, v11
	v_lshrrev_b32_e32 v87, 3, v88
	s_mov_b32 s16, exec_lo
	v_cmpx_gt_u32_e32 8, v88
; %bb.767:                              ;   in Loop: Header=BB347_417 Depth=1
	v_ffbh_u32_e32 v87, v18
	v_min_u32_e32 v87, 32, v87
	v_subrev_nc_u32_e32 v88, 28, v87
	v_sub_nc_u32_e32 v87, 29, v87
	v_lshlrev_b64 v[18:19], v88, v[18:19]
	v_and_b32_e32 v18, 7, v18
; %bb.768:                              ;   in Loop: Header=BB347_417 Depth=1
	s_or_b32 exec_lo, exec_lo, s16
	v_lshlrev_b32_e32 v10, 16, v10
	v_lshlrev_b32_e32 v18, 20, v18
	v_lshl_add_u32 v19, v87, 23, 0x3c000000
	v_and_b32_e32 v10, 0x80000000, v10
	v_or3_b32 v18, v18, v10, v19
.LBB347_769:                            ;   in Loop: Header=BB347_417 Depth=1
	s_or_b32 exec_lo, exec_lo, s15
.LBB347_770:                            ;   in Loop: Header=BB347_417 Depth=1
	s_or_b32 exec_lo, exec_lo, s14
.LBB347_771:                            ;   in Loop: Header=BB347_417 Depth=1
	s_or_b32 exec_lo, exec_lo, s13
	v_and_b32_sdwa v10, v17, v34 dst_sel:DWORD dst_unused:UNUSED_PAD src0_sel:WORD_1 src1_sel:DWORD
	v_mov_b32_e32 v19, 0
	v_mov_b32_e32 v87, 0
	s_mov_b32 s13, exec_lo
	v_cmpx_ne_u16_e32 0, v10
	s_cbranch_execz .LBB347_779
; %bb.772:                              ;   in Loop: Header=BB347_417 Depth=1
	v_bfrev_b32_e32 v87, 1
	s_mov_b32 s14, exec_lo
	v_cmpx_ne_u16_e32 0x80, v10
	s_cbranch_execz .LBB347_778
; %bb.773:                              ;   in Loop: Header=BB347_417 Depth=1
	v_bfe_u32 v88, v17, 16, 7
	v_mov_b32_e32 v87, 0x7f800001
	s_mov_b32 s15, exec_lo
	v_cmpx_ne_u32_e32 0x7f, v88
	s_cbranch_execz .LBB347_777
; %bb.774:                              ;   in Loop: Header=BB347_417 Depth=1
	v_and_b32_sdwa v10, v17, v35 dst_sel:DWORD dst_unused:UNUSED_PAD src0_sel:WORD_1 src1_sel:DWORD
	v_lshrrev_b32_e32 v87, 3, v88
	s_mov_b32 s16, exec_lo
	v_cmpx_gt_u32_e32 8, v88
; %bb.775:                              ;   in Loop: Header=BB347_417 Depth=1
	v_ffbh_u32_e32 v87, v10
	v_min_u32_e32 v87, 32, v87
	v_subrev_nc_u32_e32 v88, 28, v87
	v_sub_nc_u32_e32 v87, 29, v87
	v_lshlrev_b64 v[88:89], v88, v[10:11]
	v_and_b32_e32 v10, 7, v88
; %bb.776:                              ;   in Loop: Header=BB347_417 Depth=1
	s_or_b32 exec_lo, exec_lo, s16
	v_lshlrev_b32_sdwa v88, v36, v17 dst_sel:DWORD dst_unused:UNUSED_PAD src0_sel:DWORD src1_sel:WORD_1
	v_lshlrev_b32_e32 v10, 20, v10
	v_lshl_add_u32 v87, v87, 23, 0x3c000000
	v_and_b32_e32 v88, 0x80000000, v88
	v_or3_b32 v87, v10, v88, v87
.LBB347_777:                            ;   in Loop: Header=BB347_417 Depth=1
	s_or_b32 exec_lo, exec_lo, s15
.LBB347_778:                            ;   in Loop: Header=BB347_417 Depth=1
	s_or_b32 exec_lo, exec_lo, s14
.LBB347_779:                            ;   in Loop: Header=BB347_417 Depth=1
	s_or_b32 exec_lo, exec_lo, s13
	s_mov_b32 s13, exec_lo
	v_cmpx_lt_u64_e64 s[4:5], v[16:17]
	s_cbranch_execz .LBB347_787
; %bb.780:                              ;   in Loop: Header=BB347_417 Depth=1
	v_cmp_ne_u32_sdwa s0, v17, v32 src0_sel:BYTE_3 src1_sel:DWORD
	v_bfrev_b32_e32 v19, 1
	s_and_saveexec_b32 s14, s0
	s_cbranch_execz .LBB347_786
; %bb.781:                              ;   in Loop: Header=BB347_417 Depth=1
	v_bfe_u32 v88, v17, 24, 7
	v_mov_b32_e32 v19, 0x7f800001
	s_mov_b32 s15, exec_lo
	v_cmpx_ne_u32_e32 0x7f, v88
	s_cbranch_execz .LBB347_785
; %bb.782:                              ;   in Loop: Header=BB347_417 Depth=1
	v_and_b32_sdwa v10, v17, v35 dst_sel:DWORD dst_unused:UNUSED_PAD src0_sel:BYTE_3 src1_sel:DWORD
	v_lshrrev_b32_e32 v16, 3, v88
	s_mov_b32 s16, exec_lo
	v_cmpx_gt_u32_e32 8, v88
; %bb.783:                              ;   in Loop: Header=BB347_417 Depth=1
	v_ffbh_u32_e32 v16, v10
	v_min_u32_e32 v16, 32, v16
	v_subrev_nc_u32_e32 v19, 28, v16
	v_sub_nc_u32_e32 v16, 29, v16
	v_lshlrev_b64 v[88:89], v19, v[10:11]
	v_and_b32_e32 v10, 7, v88
; %bb.784:                              ;   in Loop: Header=BB347_417 Depth=1
	s_or_b32 exec_lo, exec_lo, s16
	v_lshlrev_b32_sdwa v17, v36, v17 dst_sel:DWORD dst_unused:UNUSED_PAD src0_sel:DWORD src1_sel:BYTE_3
	v_lshlrev_b32_e32 v10, 20, v10
	v_lshl_add_u32 v16, v16, 23, 0x3c000000
	v_and_b32_e32 v17, 0x80000000, v17
	v_or3_b32 v19, v10, v17, v16
.LBB347_785:                            ;   in Loop: Header=BB347_417 Depth=1
	s_or_b32 exec_lo, exec_lo, s15
.LBB347_786:                            ;   in Loop: Header=BB347_417 Depth=1
	s_or_b32 exec_lo, exec_lo, s14
.LBB347_787:                            ;   in Loop: Header=BB347_417 Depth=1
	s_or_b32 exec_lo, exec_lo, s13
	v_mul_f32_e32 v10, s6, v18
	v_mul_f32_e32 v16, s6, v86
	;; [unrolled: 1-line block ×5, first 2 shown]
	v_bfe_u32 v84, v10, 16, 1
	v_or_b32_e32 v85, 0x400000, v10
	v_bfe_u32 v86, v16, 16, 1
	v_cmp_u_f32_e64 s0, v10, v10
	v_or_b32_e32 v88, 0x400000, v16
	v_add3_u32 v84, v84, v10, 0x7fff
	v_bfe_u32 v89, v17, 16, 1
	v_add3_u32 v86, v86, v16, 0x7fff
	v_or_b32_e32 v90, 0x400000, v17
	v_bfe_u32 v91, v18, 16, 1
	v_cndmask_b32_e64 v10, v84, v85, s0
	v_cmp_u_f32_e64 s0, v16, v16
	v_add3_u32 v89, v89, v17, 0x7fff
	v_or_b32_e32 v85, 0x400000, v18
	v_add3_u32 v84, v91, v18, 0x7fff
	v_mul_f32_e32 v82, s6, v82
	v_cndmask_b32_e64 v16, v86, v88, s0
	v_cmp_u_f32_e64 s0, v17, v17
	v_bfe_u32 v86, v83, 16, 1
	v_mul_f32_e32 v19, s6, v19
	v_lshrrev_b32_e32 v10, 16, v10
	v_lshrrev_b32_e32 v16, 16, v16
	v_cndmask_b32_e64 v17, v89, v90, s0
	v_cmp_u_f32_e64 s0, v18, v18
	v_or_b32_e32 v90, 0x400000, v19
	v_lshrrev_b32_e32 v17, 16, v17
	v_cndmask_b32_e64 v18, v84, v85, s0
	v_mul_f32_e32 v84, s6, v87
	v_add3_u32 v85, v86, v83, 0x7fff
	v_or_b32_e32 v86, 0x400000, v83
	v_bfe_u32 v87, v82, 16, 1
	v_cmp_u_f32_e64 s0, v83, v83
	v_bfe_u32 v88, v84, 16, 1
	v_or_b32_e32 v89, 0x400000, v84
	v_cndmask_b32_e64 v83, v85, v86, s0
	v_add3_u32 v86, v87, v82, 0x7fff
	v_or_b32_e32 v87, 0x400000, v82
	v_cmp_u_f32_e64 s0, v82, v82
	v_bfe_u32 v85, v19, 16, 1
	v_add3_u32 v88, v88, v84, 0x7fff
	v_lshrrev_b32_e32 v82, 16, v18
	v_lshrrev_b32_e32 v83, 16, v83
	v_cndmask_b32_e64 v86, v86, v87, s0
	v_cmp_u_f32_e64 s0, v84, v84
	v_add3_u32 v85, v85, v19, 0x7fff
	v_lshrrev_b32_e32 v84, 16, v86
	v_cndmask_b32_e64 v87, v88, v89, s0
	v_cmp_u_f32_e64 s0, v19, v19
	v_lshrrev_b32_e32 v19, 16, v87
	v_cndmask_b32_e64 v85, v85, v90, s0
	v_lshrrev_b32_e32 v18, 16, v85
	s_and_saveexec_b32 s0, vcc_lo
	s_cbranch_execz .LBB347_416
; %bb.788:                              ;   in Loop: Header=BB347_417 Depth=1
	v_cmp_gt_i32_e32 vcc_lo, s27, v45
	v_cndmask_b32_e32 v84, 0, v84, vcc_lo
	v_cmp_gt_i32_e32 vcc_lo, s27, v51
	v_cndmask_b32_e32 v83, 0, v83, vcc_lo
	;; [unrolled: 2-line block ×8, first 2 shown]
	s_branch .LBB347_416
.LBB347_789:
	s_or_b32 exec_lo, exec_lo, s9
.LBB347_790:
	s_or_b32 exec_lo, exec_lo, s1
	v_lshl_add_u32 v2, v23, 2, 0x1a0
	v_and_b32_e32 v3, 0x3c0, v0
	s_mov_b32 s0, exec_lo
	s_waitcnt_vscnt null, 0x0
	s_barrier
	v_mad_u32_u24 v1, 0x300, v22, v2
	buffer_gl0_inv
	v_cmpx_eq_u32_e32 64, v3
	s_cbranch_execz .LBB347_792
; %bb.791:
	v_add_nc_u32_e32 v3, 0xfffffa00, v1
	v_add_nc_u32_e32 v4, 0xfffffa80, v1
	v_add_nc_u32_e32 v5, 0xfffffb00, v1
	v_add_nc_u32_e32 v6, 0xfffffb80, v1
	v_add_nc_u32_e32 v7, 0xfffffc00, v1
	ds_write_b32 v3, v29
	v_add_nc_u32_e32 v3, 0xfffffc80, v1
	ds_write_b32 v4, v28
	ds_write_b32 v5, v27
	ds_write_b32 v6, v26
	ds_write_b32 v7, v25
	ds_write_b32 v3, v24
.LBB347_792:
	s_or_b32 exec_lo, exec_lo, s0
	s_mov_b32 s0, exec_lo
	s_waitcnt lgkmcnt(0)
	s_barrier
	buffer_gl0_inv
	v_cmpx_gt_u32_e32 64, v0
	s_cbranch_execz .LBB347_794
; %bb.793:
	ds_read2_b32 v[3:4], v1 offset1:32
	ds_read2_b32 v[5:6], v1 offset0:64 offset1:96
	ds_read2_b32 v[7:8], v1 offset0:128 offset1:160
	s_waitcnt lgkmcnt(2)
	v_add_f32_e32 v29, v29, v3
	v_add_f32_e32 v28, v28, v4
	s_waitcnt lgkmcnt(1)
	v_add_f32_e32 v27, v27, v5
	v_add_f32_e32 v26, v26, v6
	;; [unrolled: 3-line block ×3, first 2 shown]
.LBB347_794:
	s_or_b32 exec_lo, exec_lo, s0
	v_and_b32_e32 v3, 0x3e0, v0
	s_mov_b32 s0, exec_lo
	s_barrier
	buffer_gl0_inv
	v_cmpx_eq_u32_e32 32, v3
	s_cbranch_execz .LBB347_796
; %bb.795:
	ds_write2_b32 v2, v29, v28 offset1:32
	ds_write2_b32 v2, v27, v26 offset0:64 offset1:96
	ds_write2_b32 v2, v25, v24 offset0:128 offset1:160
.LBB347_796:
	s_or_b32 exec_lo, exec_lo, s0
	v_cmp_gt_u32_e32 vcc_lo, 32, v0
	s_waitcnt lgkmcnt(0)
	s_barrier
	buffer_gl0_inv
	s_and_saveexec_b32 s0, vcc_lo
	s_cbranch_execz .LBB347_798
; %bb.797:
	ds_read2_b32 v[2:3], v1 offset1:32
	ds_read2_b32 v[4:5], v1 offset0:64 offset1:96
	ds_read2_b32 v[6:7], v1 offset0:128 offset1:160
	s_waitcnt lgkmcnt(2)
	v_add_f32_e32 v29, v29, v2
	v_add_f32_e32 v28, v28, v3
	s_waitcnt lgkmcnt(1)
	v_add_f32_e32 v27, v27, v4
	v_add_f32_e32 v26, v26, v5
	s_waitcnt lgkmcnt(0)
	v_add_f32_e32 v25, v25, v6
	v_add_f32_e32 v24, v24, v7
.LBB347_798:
	s_or_b32 exec_lo, exec_lo, s0
	s_barrier
	buffer_gl0_inv
	s_and_saveexec_b32 s0, vcc_lo
	s_cbranch_execz .LBB347_800
; %bb.799:
	s_mul_i32 s0, s2, 0xc0
	v_bfe_u32 v1, v29, 16, 1
	s_ashr_i32 s1, s0, 31
	s_mul_i32 s2, s7, s10
	s_lshl_b64 s[0:1], s[0:1], 1
	v_or_b32_e32 v2, 0x400000, v29
	s_add_u32 s4, s24, s0
	s_addc_u32 s1, s25, s1
	s_ashr_i32 s3, s2, 31
	v_add3_u32 v1, v1, v29, 0x7fff
	s_lshl_b64 s[2:3], s[2:3], 1
	v_bfe_u32 v3, v28, 16, 1
	v_cmp_u_f32_e32 vcc_lo, v29, v29
	s_mul_i32 s0, s8, 0xc0
	s_add_u32 s2, s4, s2
	s_addc_u32 s3, s1, s3
	s_ashr_i32 s1, s0, 31
	v_lshlrev_b32_e32 v0, 1, v0
	s_lshl_b64 s[0:1], s[0:1], 1
	v_cndmask_b32_e32 v1, v1, v2, vcc_lo
	v_bfe_u32 v2, v27, 16, 1
	v_add3_u32 v3, v3, v28, 0x7fff
	v_or_b32_e32 v4, 0x400000, v28
	v_cmp_u_f32_e32 vcc_lo, v28, v28
	s_add_u32 s0, s2, s0
	s_addc_u32 s1, s3, s1
	v_bfe_u32 v5, v25, 16, 1
	global_store_short_d16_hi v0, v1, s[0:1]
	v_add3_u32 v1, v2, v27, 0x7fff
	v_or_b32_e32 v2, 0x400000, v27
	v_cndmask_b32_e32 v3, v3, v4, vcc_lo
	v_bfe_u32 v4, v26, 16, 1
	v_cmp_u_f32_e32 vcc_lo, v27, v27
	v_or_b32_e32 v6, 0x400000, v26
	v_add3_u32 v5, v5, v25, 0x7fff
	v_or_b32_e32 v7, 0x400000, v25
	v_add3_u32 v4, v4, v26, 0x7fff
	v_cndmask_b32_e32 v1, v1, v2, vcc_lo
	v_cmp_u_f32_e32 vcc_lo, v26, v26
	v_bfe_u32 v2, v24, 16, 1
	v_or_b32_e32 v8, 0x400000, v24
	v_cndmask_b32_e32 v4, v4, v6, vcc_lo
	v_cmp_u_f32_e32 vcc_lo, v25, v25
	v_add3_u32 v2, v2, v24, 0x7fff
	v_cndmask_b32_e32 v5, v5, v7, vcc_lo
	v_cmp_u_f32_e32 vcc_lo, v24, v24
	v_cndmask_b32_e32 v2, v2, v8, vcc_lo
	global_store_short_d16_hi v0, v3, s[0:1] offset:64
	global_store_short_d16_hi v0, v1, s[0:1] offset:128
	;; [unrolled: 1-line block ×5, first 2 shown]
.LBB347_800:
	s_endpgm
	.section	.rodata,"a",@progbits
	.p2align	6, 0x0
	.amdhsa_kernel _ZN4vllm25paged_attention_v2_kernelI14__hip_bfloat16hLi192ELi8ELi128ELNS_18Fp8KVCacheDataTypeE1ELb0ELi512EEEvPfS3_PT_PKS4_PKT0_SA_ifPKiSC_iPKfiiiSE_SE_iiiii
		.amdhsa_group_segment_fixed_size 416
		.amdhsa_private_segment_fixed_size 0
		.amdhsa_kernarg_size 400
		.amdhsa_user_sgpr_count 6
		.amdhsa_user_sgpr_private_segment_buffer 1
		.amdhsa_user_sgpr_dispatch_ptr 0
		.amdhsa_user_sgpr_queue_ptr 0
		.amdhsa_user_sgpr_kernarg_segment_ptr 1
		.amdhsa_user_sgpr_dispatch_id 0
		.amdhsa_user_sgpr_flat_scratch_init 0
		.amdhsa_user_sgpr_private_segment_size 0
		.amdhsa_wavefront_size32 1
		.amdhsa_uses_dynamic_stack 0
		.amdhsa_system_sgpr_private_segment_wavefront_offset 0
		.amdhsa_system_sgpr_workgroup_id_x 1
		.amdhsa_system_sgpr_workgroup_id_y 1
		.amdhsa_system_sgpr_workgroup_id_z 1
		.amdhsa_system_sgpr_workgroup_info 0
		.amdhsa_system_vgpr_workitem_id 0
		.amdhsa_next_free_vgpr 120
		.amdhsa_next_free_sgpr 42
		.amdhsa_reserve_vcc 1
		.amdhsa_reserve_flat_scratch 0
		.amdhsa_float_round_mode_32 0
		.amdhsa_float_round_mode_16_64 0
		.amdhsa_float_denorm_mode_32 3
		.amdhsa_float_denorm_mode_16_64 3
		.amdhsa_dx10_clamp 1
		.amdhsa_ieee_mode 1
		.amdhsa_fp16_overflow 0
		.amdhsa_workgroup_processor_mode 1
		.amdhsa_memory_ordered 1
		.amdhsa_forward_progress 1
		.amdhsa_shared_vgpr_count 0
		.amdhsa_exception_fp_ieee_invalid_op 0
		.amdhsa_exception_fp_denorm_src 0
		.amdhsa_exception_fp_ieee_div_zero 0
		.amdhsa_exception_fp_ieee_overflow 0
		.amdhsa_exception_fp_ieee_underflow 0
		.amdhsa_exception_fp_ieee_inexact 0
		.amdhsa_exception_int_div_zero 0
	.end_amdhsa_kernel
	.section	.text._ZN4vllm25paged_attention_v2_kernelI14__hip_bfloat16hLi192ELi8ELi128ELNS_18Fp8KVCacheDataTypeE1ELb0ELi512EEEvPfS3_PT_PKS4_PKT0_SA_ifPKiSC_iPKfiiiSE_SE_iiiii,"axG",@progbits,_ZN4vllm25paged_attention_v2_kernelI14__hip_bfloat16hLi192ELi8ELi128ELNS_18Fp8KVCacheDataTypeE1ELb0ELi512EEEvPfS3_PT_PKS4_PKT0_SA_ifPKiSC_iPKfiiiSE_SE_iiiii,comdat
.Lfunc_end347:
	.size	_ZN4vllm25paged_attention_v2_kernelI14__hip_bfloat16hLi192ELi8ELi128ELNS_18Fp8KVCacheDataTypeE1ELb0ELi512EEEvPfS3_PT_PKS4_PKT0_SA_ifPKiSC_iPKfiiiSE_SE_iiiii, .Lfunc_end347-_ZN4vllm25paged_attention_v2_kernelI14__hip_bfloat16hLi192ELi8ELi128ELNS_18Fp8KVCacheDataTypeE1ELb0ELi512EEEvPfS3_PT_PKS4_PKT0_SA_ifPKiSC_iPKfiiiSE_SE_iiiii
                                        ; -- End function
	.set _ZN4vllm25paged_attention_v2_kernelI14__hip_bfloat16hLi192ELi8ELi128ELNS_18Fp8KVCacheDataTypeE1ELb0ELi512EEEvPfS3_PT_PKS4_PKT0_SA_ifPKiSC_iPKfiiiSE_SE_iiiii.num_vgpr, 120
	.set _ZN4vllm25paged_attention_v2_kernelI14__hip_bfloat16hLi192ELi8ELi128ELNS_18Fp8KVCacheDataTypeE1ELb0ELi512EEEvPfS3_PT_PKS4_PKT0_SA_ifPKiSC_iPKfiiiSE_SE_iiiii.num_agpr, 0
	.set _ZN4vllm25paged_attention_v2_kernelI14__hip_bfloat16hLi192ELi8ELi128ELNS_18Fp8KVCacheDataTypeE1ELb0ELi512EEEvPfS3_PT_PKS4_PKT0_SA_ifPKiSC_iPKfiiiSE_SE_iiiii.numbered_sgpr, 42
	.set _ZN4vllm25paged_attention_v2_kernelI14__hip_bfloat16hLi192ELi8ELi128ELNS_18Fp8KVCacheDataTypeE1ELb0ELi512EEEvPfS3_PT_PKS4_PKT0_SA_ifPKiSC_iPKfiiiSE_SE_iiiii.num_named_barrier, 0
	.set _ZN4vllm25paged_attention_v2_kernelI14__hip_bfloat16hLi192ELi8ELi128ELNS_18Fp8KVCacheDataTypeE1ELb0ELi512EEEvPfS3_PT_PKS4_PKT0_SA_ifPKiSC_iPKfiiiSE_SE_iiiii.private_seg_size, 0
	.set _ZN4vllm25paged_attention_v2_kernelI14__hip_bfloat16hLi192ELi8ELi128ELNS_18Fp8KVCacheDataTypeE1ELb0ELi512EEEvPfS3_PT_PKS4_PKT0_SA_ifPKiSC_iPKfiiiSE_SE_iiiii.uses_vcc, 1
	.set _ZN4vllm25paged_attention_v2_kernelI14__hip_bfloat16hLi192ELi8ELi128ELNS_18Fp8KVCacheDataTypeE1ELb0ELi512EEEvPfS3_PT_PKS4_PKT0_SA_ifPKiSC_iPKfiiiSE_SE_iiiii.uses_flat_scratch, 0
	.set _ZN4vllm25paged_attention_v2_kernelI14__hip_bfloat16hLi192ELi8ELi128ELNS_18Fp8KVCacheDataTypeE1ELb0ELi512EEEvPfS3_PT_PKS4_PKT0_SA_ifPKiSC_iPKfiiiSE_SE_iiiii.has_dyn_sized_stack, 0
	.set _ZN4vllm25paged_attention_v2_kernelI14__hip_bfloat16hLi192ELi8ELi128ELNS_18Fp8KVCacheDataTypeE1ELb0ELi512EEEvPfS3_PT_PKS4_PKT0_SA_ifPKiSC_iPKfiiiSE_SE_iiiii.has_recursion, 0
	.set _ZN4vllm25paged_attention_v2_kernelI14__hip_bfloat16hLi192ELi8ELi128ELNS_18Fp8KVCacheDataTypeE1ELb0ELi512EEEvPfS3_PT_PKS4_PKT0_SA_ifPKiSC_iPKfiiiSE_SE_iiiii.has_indirect_call, 0
	.section	.AMDGPU.csdata,"",@progbits
; Kernel info:
; codeLenInByte = 30180
; TotalNumSgprs: 44
; NumVgprs: 120
; ScratchSize: 0
; MemoryBound: 0
; FloatMode: 240
; IeeeMode: 1
; LDSByteSize: 416 bytes/workgroup (compile time only)
; SGPRBlocks: 0
; VGPRBlocks: 14
; NumSGPRsForWavesPerEU: 44
; NumVGPRsForWavesPerEU: 120
; Occupancy: 8
; WaveLimiterHint : 1
; COMPUTE_PGM_RSRC2:SCRATCH_EN: 0
; COMPUTE_PGM_RSRC2:USER_SGPR: 6
; COMPUTE_PGM_RSRC2:TRAP_HANDLER: 0
; COMPUTE_PGM_RSRC2:TGID_X_EN: 1
; COMPUTE_PGM_RSRC2:TGID_Y_EN: 1
; COMPUTE_PGM_RSRC2:TGID_Z_EN: 1
; COMPUTE_PGM_RSRC2:TIDIG_COMP_CNT: 0
	.section	.text._ZN4vllm25paged_attention_v2_kernelI14__hip_bfloat16hLi256ELi8ELi128ELNS_18Fp8KVCacheDataTypeE1ELb0ELi512EEEvPfS3_PT_PKS4_PKT0_SA_ifPKiSC_iPKfiiiSE_SE_iiiii,"axG",@progbits,_ZN4vllm25paged_attention_v2_kernelI14__hip_bfloat16hLi256ELi8ELi128ELNS_18Fp8KVCacheDataTypeE1ELb0ELi512EEEvPfS3_PT_PKS4_PKT0_SA_ifPKiSC_iPKfiiiSE_SE_iiiii,comdat
	.protected	_ZN4vllm25paged_attention_v2_kernelI14__hip_bfloat16hLi256ELi8ELi128ELNS_18Fp8KVCacheDataTypeE1ELb0ELi512EEEvPfS3_PT_PKS4_PKT0_SA_ifPKiSC_iPKfiiiSE_SE_iiiii ; -- Begin function _ZN4vllm25paged_attention_v2_kernelI14__hip_bfloat16hLi256ELi8ELi128ELNS_18Fp8KVCacheDataTypeE1ELb0ELi512EEEvPfS3_PT_PKS4_PKT0_SA_ifPKiSC_iPKfiiiSE_SE_iiiii
	.globl	_ZN4vllm25paged_attention_v2_kernelI14__hip_bfloat16hLi256ELi8ELi128ELNS_18Fp8KVCacheDataTypeE1ELb0ELi512EEEvPfS3_PT_PKS4_PKT0_SA_ifPKiSC_iPKfiiiSE_SE_iiiii
	.p2align	8
	.type	_ZN4vllm25paged_attention_v2_kernelI14__hip_bfloat16hLi256ELi8ELi128ELNS_18Fp8KVCacheDataTypeE1ELb0ELi512EEEvPfS3_PT_PKS4_PKT0_SA_ifPKiSC_iPKfiiiSE_SE_iiiii,@function
_ZN4vllm25paged_attention_v2_kernelI14__hip_bfloat16hLi256ELi8ELi128ELNS_18Fp8KVCacheDataTypeE1ELb0ELi512EEEvPfS3_PT_PKS4_PKT0_SA_ifPKiSC_iPKfiiiSE_SE_iiiii: ; @_ZN4vllm25paged_attention_v2_kernelI14__hip_bfloat16hLi256ELi8ELi128ELNS_18Fp8KVCacheDataTypeE1ELb0ELi512EEEvPfS3_PT_PKS4_PKT0_SA_ifPKiSC_iPKfiiiSE_SE_iiiii
; %bb.0:
	s_mov_b64 s[46:47], s[2:3]
	s_mov_b64 s[44:45], s[0:1]
	s_load_dwordx2 s[0:1], s[4:5], 0x40
	s_add_u32 s44, s44, s9
	s_addc_u32 s45, s45, 0
	s_mov_b32 s26, s7
	s_ashr_i32 s27, s7, 31
	s_lshl_b64 s[2:3], s[26:27], 2
	s_waitcnt lgkmcnt(0)
	s_add_u32 s0, s0, s2
	s_addc_u32 s1, s1, s3
	s_lshl_b32 s33, s8, 9
	s_load_dword s27, s[0:1], 0x0
	s_waitcnt lgkmcnt(0)
	s_cmp_ge_i32 s33, s27
	s_cbranch_scc1 .LBB348_1052
; %bb.1:
	s_clause 0x1
	s_load_dword s9, s[4:5], 0x90
	s_load_dwordx2 s[36:37], s[4:5], 0x30
	v_mov_b32_e32 v32, v0
	s_waitcnt lgkmcnt(0)
	s_abs_i32 s3, s9
	s_abs_i32 s0, s36
	v_cvt_f32_u32_e32 v0, s0
	s_sub_i32 s2, 0, s0
	v_rcp_iflag_f32_e32 v0, v0
	v_mul_f32_e32 v0, 0x4f7ffffe, v0
	v_cvt_u32_f32_e32 v0, v0
	v_readfirstlane_b32 s1, v0
	s_mul_i32 s2, s2, s1
	s_mul_hi_u32 s2, s1, s2
	s_add_i32 s1, s1, s2
	s_xor_b32 s2, s9, s36
	s_mul_hi_u32 s1, s3, s1
	s_ashr_i32 s2, s2, 31
	s_mul_i32 s7, s1, s0
	s_mov_b32 s36, 0
	s_sub_i32 s3, s3, s7
	s_add_i32 s7, s1, 1
	s_sub_i32 s10, s3, s0
	s_cmp_ge_u32 s3, s0
	s_cselect_b32 s1, s7, s1
	s_cselect_b32 s3, s10, s3
	s_add_i32 s7, s1, 1
	s_cmp_ge_u32 s3, s0
	s_cselect_b32 s0, s7, s1
	s_abs_i32 s16, s6
	s_xor_b32 s0, s0, s2
	s_sub_i32 s10, s0, s2
	s_load_dwordx2 s[0:1], s[4:5], 0x50
	s_abs_i32 s2, s10
	v_cvt_f32_u32_e32 v0, s2
	s_sub_i32 s7, 0, s2
	v_rcp_iflag_f32_e32 v0, v0
	v_mul_f32_e32 v0, 0x4f7ffffe, v0
	v_cvt_u32_f32_e32 v0, v0
	v_readfirstlane_b32 s3, v0
	s_mul_i32 s7, s7, s3
	s_mul_hi_u32 s7, s3, s7
	s_add_i32 s3, s3, s7
	s_waitcnt lgkmcnt(0)
	s_cmp_eq_u64 s[0:1], 0
	s_mul_hi_u32 s3, s16, s3
	s_cbranch_scc1 .LBB348_3
; %bb.2:
	s_ashr_i32 s7, s6, 31
	s_lshl_b64 s[12:13], s[6:7], 2
	s_add_u32 s0, s0, s12
	s_addc_u32 s1, s1, s13
	s_load_dword s36, s[0:1], 0x0
.LBB348_3:
	s_load_dwordx4 s[12:15], s[4:5], 0x58
	v_and_b32_e32 v0, 3, v32
	s_ashr_i32 s0, s6, 31
	s_ashr_i32 s1, s10, 31
	s_lshl_b32 s10, s6, 8
	s_mov_b32 s7, exec_lo
	v_cmpx_gt_u32_e32 0x80, v32
	s_cbranch_execz .LBB348_5
; %bb.4:
	s_load_dwordx2 s[18:19], s[4:5], 0x18
	s_waitcnt lgkmcnt(0)
	s_mul_i32 s20, s12, s26
	v_lshlrev_b32_e32 v1, 2, v32
	s_ashr_i32 s21, s20, 31
	v_and_b32_e32 v2, 0x3fc, v32
	s_lshl_b64 s[20:21], s[20:21], 1
	v_lshl_add_u32 v2, v0, 7, v2
	s_add_u32 s12, s18, s20
	s_addc_u32 s15, s19, s21
	s_ashr_i32 s11, s10, 31
	s_lshl_b64 s[18:19], s[10:11], 1
	s_add_u32 s18, s12, s18
	s_addc_u32 s19, s15, s19
	global_load_dword v1, v1, s[18:19]
	s_waitcnt vmcnt(0)
	ds_write_b32 v2, v1
.LBB348_5:
	s_or_b32 exec_lo, exec_lo, s7
	s_add_i32 s7, s27, 7
	s_clause 0x1
	s_load_dwordx2 s[28:29], s[4:5], 0x38
	s_load_dword s17, s[4:5], 0x48
	s_ashr_i32 s11, s7, 31
	s_waitcnt lgkmcnt(0)
	s_lshl_b32 s15, s8, 6
	s_lshr_b32 s11, s11, 29
	s_xor_b32 s0, s0, s1
	s_add_i32 s7, s7, s11
	s_add_i32 s1, s15, 64
	s_ashr_i32 s12, s7, 3
	s_mul_i32 s7, s3, s2
	s_min_i32 s11, s1, s12
	s_sub_i32 s1, s16, s7
	s_add_i32 s7, s3, 1
	s_sub_i32 s16, s1, s2
	s_cmp_ge_u32 s1, s2
	v_lshrrev_b32_e32 v33, 5, v32
	s_cselect_b32 s3, s7, s3
	s_cselect_b32 s1, s16, s1
	s_add_i32 s7, s3, 1
	s_cmp_ge_u32 s1, s2
	v_or_b32_e32 v9, s15, v33
	s_cselect_b32 s1, s7, s3
	v_mbcnt_lo_u32_b32 v24, -1, 0
	s_xor_b32 s1, s1, s0
	s_mul_i32 s30, s17, s26
	s_sub_i32 s1, s1, s0
	v_cmp_gt_i32_e64 s0, s11, v9
	s_ashr_i32 s31, s30, 31
	s_mov_b32 s2, exec_lo
	s_barrier
	buffer_gl0_inv
                                        ; implicit-def: $vgpr2
                                        ; implicit-def: $vgpr12
	v_cmpx_le_i32_e64 s11, v9
	s_xor_b32 s2, exec_lo, s2
; %bb.6:
	v_mov_b32_e32 v2, 0
	v_mbcnt_lo_u32_b32 v24, -1, 0
	v_mov_b32_e32 v12, 32
                                        ; implicit-def: $vgpr0
; %bb.7:
	s_or_saveexec_b32 s38, s2
	s_clause 0x4
	s_load_dwordx4 s[20:23], s[4:5], 0x0
	s_load_dwordx2 s[24:25], s[4:5], 0x10
	s_load_dword s7, s[4:5], 0x98
	s_load_dwordx2 s[34:35], s[4:5], 0x28
	s_load_dwordx4 s[16:19], s[4:5], 0x68
	v_mov_b32_e32 v81, 0xff7fffff
	v_ashrrev_i32_e32 v10, 31, v9
	v_lshlrev_b32_e32 v34, 3, v33
	s_mul_i32 s14, s1, s14
	s_xor_b32 exec_lo, exec_lo, s38
	s_cbranch_execz .LBB348_525
; %bb.8:
	v_lshlrev_b32_e32 v23, 7, v0
	s_load_dwordx2 s[2:3], s[4:5], 0x20
	s_ashr_i32 s1, s14, 31
	v_mov_b32_e32 v81, 0xff7fffff
	v_mov_b32_e32 v86, 0x80
	ds_read_b128 v[1:4], v23
	ds_read_b128 v[5:8], v23 offset:16
	ds_read_b128 v[11:14], v23 offset:32
	;; [unrolled: 1-line block ×4, first 2 shown]
	v_mov_b32_e32 v87, 0xffff
	v_mov_b32_e32 v88, v9
	buffer_store_dword v32, off, s[44:47], 0 offset:76 ; 4-byte Folded Spill
	buffer_store_dword v24, off, s[44:47], 0 offset:88 ; 4-byte Folded Spill
	;; [unrolled: 1-line block ×4, first 2 shown]
	s_waitcnt lgkmcnt(0)
	s_add_u32 s5, s2, s14
	v_lshlrev_b32_e32 v25, 16, v1
	v_and_b32_e32 v1, 0xffff0000, v1
	v_and_b32_e32 v35, 0xffff0000, v12
	v_lshlrev_b32_e32 v36, 16, v13
	v_and_b32_e32 v37, 0xffff0000, v13
	v_lshlrev_b32_e32 v38, 16, v14
	buffer_store_dword v1, off, s[44:47], 0 offset:4 ; 4-byte Folded Spill
	v_lshlrev_b32_e32 v1, 16, v2
	v_and_b32_e32 v39, 0xffff0000, v14
	s_addc_u32 s1, s3, s1
	s_lshl_b64 s[2:3], s[30:31], 2
	s_sub_i32 s4, 1, s27
	buffer_store_dword v1, off, s[44:47], 0 offset:8 ; 4-byte Folded Spill
	v_and_b32_e32 v1, 0xffff0000, v2
	s_add_u32 s2, s28, s2
	s_addc_u32 s3, s29, s3
	v_lshlrev_b32_e32 v40, 16, v15
	v_and_b32_e32 v41, 0xffff0000, v15
	buffer_store_dword v1, off, s[44:47], 0 offset:12 ; 4-byte Folded Spill
	v_lshlrev_b32_e32 v1, 16, v3
	v_lshlrev_b32_e32 v42, 16, v16
	v_and_b32_e32 v43, 0xffff0000, v16
	v_lshlrev_b32_e32 v44, 16, v17
	v_and_b32_e32 v45, 0xffff0000, v17
	buffer_store_dword v1, off, s[44:47], 0 offset:16 ; 4-byte Folded Spill
	v_and_b32_e32 v1, 0xffff0000, v3
	v_lshlrev_b32_e32 v46, 16, v18
	v_and_b32_e32 v48, 0xffff0000, v18
	v_lshlrev_b32_e32 v49, 16, v19
	v_and_b32_e32 v50, 0xffff0000, v19
	buffer_store_dword v1, off, s[44:47], 0 offset:20 ; 4-byte Folded Spill
	v_lshlrev_b32_e32 v1, 16, v4
	v_lshlrev_b32_e32 v51, 16, v20
	v_and_b32_e32 v52, 0xffff0000, v20
	v_lshlrev_b32_e32 v53, 16, v21
	v_and_b32_e32 v54, 0xffff0000, v21
	buffer_store_dword v1, off, s[44:47], 0 offset:24 ; 4-byte Folded Spill
	v_and_b32_e32 v1, 0xffff0000, v4
	v_lshlrev_b32_e32 v55, 16, v22
	v_and_b32_e32 v56, 0xffff0000, v22
	buffer_store_dword v25, off, s[44:47], 0 ; 4-byte Folded Spill
	buffer_store_dword v1, off, s[44:47], 0 offset:28 ; 4-byte Folded Spill
	v_lshlrev_b32_e32 v1, 16, v5
	buffer_store_dword v1, off, s[44:47], 0 offset:32 ; 4-byte Folded Spill
	v_and_b32_e32 v1, 0xffff0000, v5
	buffer_store_dword v1, off, s[44:47], 0 offset:36 ; 4-byte Folded Spill
	v_lshlrev_b32_e32 v1, 16, v6
	buffer_store_dword v1, off, s[44:47], 0 offset:40 ; 4-byte Folded Spill
	v_and_b32_e32 v1, 0xffff0000, v6
	;; [unrolled: 4-line block ×4, first 2 shown]
	ds_read_b128 v[5:8], v23 offset:96
	buffer_store_dword v1, off, s[44:47], 0 offset:60 ; 4-byte Folded Spill
	v_lshlrev_b32_e32 v1, 16, v11
	buffer_store_dword v1, off, s[44:47], 0 offset:64 ; 4-byte Folded Spill
	v_and_b32_e32 v1, 0xffff0000, v11
	buffer_store_dword v1, off, s[44:47], 0 offset:68 ; 4-byte Folded Spill
	v_lshlrev_b32_e32 v1, 16, v12
	ds_read_b128 v[11:14], v23 offset:112
	s_waitcnt lgkmcnt(1)
	v_lshlrev_b32_e32 v69, 16, v7
	v_and_b32_e32 v70, 0xffff0000, v7
	buffer_store_dword v1, off, s[44:47], 0 offset:72 ; 4-byte Folded Spill
	ds_read_b128 v[1:4], v23 offset:80
	v_bfe_u32 v7, v32, 2, 3
	v_lshlrev_b32_e32 v65, 16, v5
	v_and_b32_e32 v66, 0xffff0000, v5
	v_lshlrev_b32_e32 v67, 16, v6
	v_and_b32_e32 v68, 0xffff0000, v6
	v_xor_b32_e32 v5, 1, v24
	v_lshlrev_b32_e32 v71, 16, v8
	v_and_b32_e32 v72, 0xffff0000, v8
	v_add3_u32 v84, s33, v34, v7
	s_waitcnt lgkmcnt(1)
	v_lshlrev_b32_e32 v73, 16, v11
	v_and_b32_e32 v74, 0xffff0000, v11
	v_lshlrev_b32_e32 v11, 2, v7
	v_lshlrev_b32_e32 v75, 16, v12
	v_and_b32_e32 v76, 0xffff0000, v12
	s_waitcnt lgkmcnt(0)
	v_lshlrev_b32_e32 v57, 16, v1
	v_and_b32_e32 v58, 0xffff0000, v1
	v_lshlrev_b32_e32 v59, 16, v2
	v_and_b32_e32 v60, 0xffff0000, v2
	v_lshlrev_b64 v[1:2], 2, v[9:10]
	v_lshlrev_b32_e32 v61, 16, v3
	v_and_b32_e32 v62, 0xffff0000, v3
	v_lshlrev_b32_e32 v63, 16, v4
	v_and_b32_e32 v64, 0xffff0000, v4
	v_lshlrev_b32_e32 v77, 16, v13
	v_add_co_u32 v3, vcc_lo, s2, v1
	v_lshlrev_b32_e32 v1, 4, v7
	v_add_co_ci_u32_e64 v4, null, s3, v2, vcc_lo
	v_xor_b32_e32 v2, 2, v24
	v_cmp_eq_u32_e32 vcc_lo, 0, v0
	v_add_co_u32 v1, s2, s5, v1
	v_add_co_ci_u32_e64 v6, null, s1, 0, s2
	v_cmp_gt_i32_e64 s1, 32, v2
	s_load_dword s5, s[16:17], 0x0
	v_lshlrev_b32_e32 v0, 1, v0
	v_and_b32_e32 v78, 0xffff0000, v13
	v_lshlrev_b32_e32 v79, 16, v14
	v_cndmask_b32_e64 v2, v24, v2, s1
	v_cmp_gt_i32_e64 s1, 32, v5
	v_and_b32_e32 v80, 0xffff0000, v14
	s_mov_b32 s17, s13
	s_mov_b32 s16, 0
	v_lshlrev_b32_e32 v82, 2, v2
	v_cndmask_b32_e64 v8, v24, v5, s1
	v_add_co_u32 v5, s1, v1, v0
	v_lshl_or_b32 v0, v33, 5, v11
	v_add_co_ci_u32_e64 v6, null, 0, v6, s1
	v_lshlrev_b32_e32 v83, 2, v8
	v_cmp_neq_f32_e64 s1, s36, 0
	v_add_nc_u32_e32 v85, 0x220, v0
	v_mov_b32_e32 v2, 0
	s_branch .LBB348_10
.LBB348_9:                              ;   in Loop: Header=BB348_10 Depth=1
	s_or_b32 exec_lo, exec_lo, s3
	v_add_nc_u32_e32 v88, 4, v88
	v_add_co_u32 v3, s3, v3, 16
	v_add_nc_u32_e32 v84, 32, v84
	v_add_nc_u32_e32 v85, 0x80, v85
	v_cmp_le_i32_e64 s2, s11, v88
	v_add_co_ci_u32_e64 v4, null, 0, v4, s3
	s_or_b32 s16, s2, s16
	s_andn2_b32 exec_lo, exec_lo, s16
	s_cbranch_execz .LBB348_524
.LBB348_10:                             ; =>This Inner Loop Header: Depth=1
	global_load_dword v0, v[3:4], off
	v_mov_b32_e32 v89, 0
	s_waitcnt vmcnt(0)
	v_mad_i64_i32 v[7:8], null, v0, s17, v[5:6]
	s_waitcnt lgkmcnt(0)
	global_load_ushort v1, v[7:8], off
	s_waitcnt vmcnt(0)
	v_and_b32_e32 v0, 0xffff, v1
	v_cmp_ne_u16_sdwa s2, v1, v2 src0_sel:BYTE_0 src1_sel:DWORD
	s_and_saveexec_b32 s3, s2
	s_cbranch_execz .LBB348_18
; %bb.11:                               ;   in Loop: Header=BB348_10 Depth=1
	v_cmp_ne_u16_sdwa s2, v0, v86 src0_sel:BYTE_0 src1_sel:DWORD
	v_bfrev_b32_e32 v89, 1
	s_and_saveexec_b32 s39, s2
	s_cbranch_execz .LBB348_17
; %bb.12:                               ;   in Loop: Header=BB348_10 Depth=1
	v_and_b32_e32 v12, 0x7f, v0
	v_mov_b32_e32 v89, 0x7f800001
	s_mov_b32 s40, exec_lo
	v_cmpx_ne_u32_e32 0x7f, v12
	s_cbranch_execz .LBB348_16
; %bb.13:                               ;   in Loop: Header=BB348_10 Depth=1
	v_and_b32_e32 v1, 7, v0
	v_lshrrev_b32_e32 v11, 3, v12
	s_mov_b32 s41, exec_lo
	v_cmpx_gt_u32_e32 8, v12
; %bb.14:                               ;   in Loop: Header=BB348_10 Depth=1
	v_ffbh_u32_e32 v11, v1
	v_min_u32_e32 v11, 32, v11
	v_subrev_nc_u32_e32 v12, 28, v11
	v_sub_nc_u32_e32 v11, 29, v11
	v_lshlrev_b64 v[12:13], v12, v[1:2]
	v_and_b32_e32 v1, 7, v12
; %bb.15:                               ;   in Loop: Header=BB348_10 Depth=1
	s_or_b32 exec_lo, exec_lo, s41
	v_lshlrev_b32_e32 v12, 24, v0
	v_lshlrev_b32_e32 v1, 20, v1
	v_lshl_add_u32 v11, v11, 23, 0x3c000000
	v_and_b32_e32 v12, 0x80000000, v12
	v_or3_b32 v89, v1, v12, v11
.LBB348_16:                             ;   in Loop: Header=BB348_10 Depth=1
	s_or_b32 exec_lo, exec_lo, s40
.LBB348_17:                             ;   in Loop: Header=BB348_10 Depth=1
	s_or_b32 exec_lo, exec_lo, s39
.LBB348_18:                             ;   in Loop: Header=BB348_10 Depth=1
	s_or_b32 exec_lo, exec_lo, s3
	v_cmp_ne_u16_sdwa s2, v0, v2 src0_sel:BYTE_1 src1_sel:DWORD
	v_mov_b32_e32 v90, 0
	s_and_saveexec_b32 s3, s2
	s_cbranch_execz .LBB348_26
; %bb.19:                               ;   in Loop: Header=BB348_10 Depth=1
	v_cmp_ne_u16_sdwa s2, v0, v86 src0_sel:BYTE_1 src1_sel:DWORD
	v_bfrev_b32_e32 v90, 1
	s_and_saveexec_b32 s39, s2
	s_cbranch_execz .LBB348_25
; %bb.20:                               ;   in Loop: Header=BB348_10 Depth=1
	v_and_b32_sdwa v1, v87, v0 dst_sel:DWORD dst_unused:UNUSED_PAD src0_sel:DWORD src1_sel:BYTE_1
	v_mov_b32_e32 v90, 0x7f800001
	s_mov_b32 s40, exec_lo
	v_and_b32_e32 v12, 0x7f, v1
	v_cmpx_ne_u32_e32 0x7f, v12
	s_cbranch_execz .LBB348_24
; %bb.21:                               ;   in Loop: Header=BB348_10 Depth=1
	v_and_b32_e32 v1, 7, v1
	v_lshrrev_b32_e32 v11, 3, v12
	s_mov_b32 s41, exec_lo
	v_cmpx_gt_u32_e32 8, v12
; %bb.22:                               ;   in Loop: Header=BB348_10 Depth=1
	v_ffbh_u32_e32 v11, v1
	v_min_u32_e32 v11, 32, v11
	v_subrev_nc_u32_e32 v12, 28, v11
	v_sub_nc_u32_e32 v11, 29, v11
	v_lshlrev_b64 v[12:13], v12, v[1:2]
	v_and_b32_e32 v1, 7, v12
; %bb.23:                               ;   in Loop: Header=BB348_10 Depth=1
	s_or_b32 exec_lo, exec_lo, s41
	v_lshlrev_b32_e32 v0, 16, v0
	v_lshlrev_b32_e32 v1, 20, v1
	v_lshl_add_u32 v11, v11, 23, 0x3c000000
	v_and_b32_e32 v0, 0x80000000, v0
	v_or3_b32 v90, v1, v0, v11
.LBB348_24:                             ;   in Loop: Header=BB348_10 Depth=1
	s_or_b32 exec_lo, exec_lo, s40
.LBB348_25:                             ;   in Loop: Header=BB348_10 Depth=1
	s_or_b32 exec_lo, exec_lo, s39
.LBB348_26:                             ;   in Loop: Header=BB348_10 Depth=1
	s_or_b32 exec_lo, exec_lo, s3
	global_load_ushort v1, v[7:8], off offset:8
	v_mov_b32_e32 v92, 0
	v_mov_b32_e32 v91, 0
	s_waitcnt vmcnt(0)
	v_and_b32_e32 v0, 0xffff, v1
	v_cmp_ne_u16_sdwa s2, v1, v2 src0_sel:BYTE_0 src1_sel:DWORD
	s_and_saveexec_b32 s3, s2
	s_cbranch_execz .LBB348_34
; %bb.27:                               ;   in Loop: Header=BB348_10 Depth=1
	v_cmp_ne_u16_sdwa s2, v0, v86 src0_sel:BYTE_0 src1_sel:DWORD
	v_bfrev_b32_e32 v91, 1
	s_and_saveexec_b32 s39, s2
	s_cbranch_execz .LBB348_33
; %bb.28:                               ;   in Loop: Header=BB348_10 Depth=1
	v_and_b32_e32 v12, 0x7f, v0
	v_mov_b32_e32 v91, 0x7f800001
	s_mov_b32 s40, exec_lo
	v_cmpx_ne_u32_e32 0x7f, v12
	s_cbranch_execz .LBB348_32
; %bb.29:                               ;   in Loop: Header=BB348_10 Depth=1
	v_and_b32_e32 v1, 7, v0
	v_lshrrev_b32_e32 v11, 3, v12
	s_mov_b32 s41, exec_lo
	v_cmpx_gt_u32_e32 8, v12
; %bb.30:                               ;   in Loop: Header=BB348_10 Depth=1
	v_ffbh_u32_e32 v11, v1
	v_min_u32_e32 v11, 32, v11
	v_subrev_nc_u32_e32 v12, 28, v11
	v_sub_nc_u32_e32 v11, 29, v11
	v_lshlrev_b64 v[12:13], v12, v[1:2]
	v_and_b32_e32 v1, 7, v12
; %bb.31:                               ;   in Loop: Header=BB348_10 Depth=1
	s_or_b32 exec_lo, exec_lo, s41
	v_lshlrev_b32_e32 v12, 24, v0
	v_lshlrev_b32_e32 v1, 20, v1
	v_lshl_add_u32 v11, v11, 23, 0x3c000000
	v_and_b32_e32 v12, 0x80000000, v12
	v_or3_b32 v91, v1, v12, v11
.LBB348_32:                             ;   in Loop: Header=BB348_10 Depth=1
	s_or_b32 exec_lo, exec_lo, s40
.LBB348_33:                             ;   in Loop: Header=BB348_10 Depth=1
	s_or_b32 exec_lo, exec_lo, s39
.LBB348_34:                             ;   in Loop: Header=BB348_10 Depth=1
	s_or_b32 exec_lo, exec_lo, s3
	v_cmp_ne_u16_sdwa s2, v0, v2 src0_sel:BYTE_1 src1_sel:DWORD
	s_and_saveexec_b32 s3, s2
	s_cbranch_execz .LBB348_42
; %bb.35:                               ;   in Loop: Header=BB348_10 Depth=1
	v_cmp_ne_u16_sdwa s2, v0, v86 src0_sel:BYTE_1 src1_sel:DWORD
	v_bfrev_b32_e32 v92, 1
	s_and_saveexec_b32 s39, s2
	s_cbranch_execz .LBB348_41
; %bb.36:                               ;   in Loop: Header=BB348_10 Depth=1
	v_and_b32_sdwa v1, v87, v0 dst_sel:DWORD dst_unused:UNUSED_PAD src0_sel:DWORD src1_sel:BYTE_1
	v_mov_b32_e32 v92, 0x7f800001
	s_mov_b32 s40, exec_lo
	v_and_b32_e32 v12, 0x7f, v1
	v_cmpx_ne_u32_e32 0x7f, v12
	s_cbranch_execz .LBB348_40
; %bb.37:                               ;   in Loop: Header=BB348_10 Depth=1
	v_and_b32_e32 v1, 7, v1
	v_lshrrev_b32_e32 v11, 3, v12
	s_mov_b32 s41, exec_lo
	v_cmpx_gt_u32_e32 8, v12
; %bb.38:                               ;   in Loop: Header=BB348_10 Depth=1
	v_ffbh_u32_e32 v11, v1
	v_min_u32_e32 v11, 32, v11
	v_subrev_nc_u32_e32 v12, 28, v11
	v_sub_nc_u32_e32 v11, 29, v11
	v_lshlrev_b64 v[12:13], v12, v[1:2]
	v_and_b32_e32 v1, 7, v12
; %bb.39:                               ;   in Loop: Header=BB348_10 Depth=1
	s_or_b32 exec_lo, exec_lo, s41
	v_lshlrev_b32_e32 v0, 16, v0
	v_lshlrev_b32_e32 v1, 20, v1
	v_lshl_add_u32 v11, v11, 23, 0x3c000000
	v_and_b32_e32 v0, 0x80000000, v0
	v_or3_b32 v92, v1, v0, v11
.LBB348_40:                             ;   in Loop: Header=BB348_10 Depth=1
	s_or_b32 exec_lo, exec_lo, s40
.LBB348_41:                             ;   in Loop: Header=BB348_10 Depth=1
	s_or_b32 exec_lo, exec_lo, s39
.LBB348_42:                             ;   in Loop: Header=BB348_10 Depth=1
	s_or_b32 exec_lo, exec_lo, s3
	global_load_ushort v1, v[7:8], off offset:128
	v_mov_b32_e32 v94, 0
	v_mov_b32_e32 v93, 0
	s_waitcnt vmcnt(0)
	v_and_b32_e32 v0, 0xffff, v1
	v_cmp_ne_u16_sdwa s2, v1, v2 src0_sel:BYTE_0 src1_sel:DWORD
	s_and_saveexec_b32 s3, s2
	s_cbranch_execz .LBB348_50
; %bb.43:                               ;   in Loop: Header=BB348_10 Depth=1
	v_cmp_ne_u16_sdwa s2, v0, v86 src0_sel:BYTE_0 src1_sel:DWORD
	v_bfrev_b32_e32 v93, 1
	s_and_saveexec_b32 s39, s2
	s_cbranch_execz .LBB348_49
; %bb.44:                               ;   in Loop: Header=BB348_10 Depth=1
	v_and_b32_e32 v12, 0x7f, v0
	v_mov_b32_e32 v93, 0x7f800001
	s_mov_b32 s40, exec_lo
	v_cmpx_ne_u32_e32 0x7f, v12
	s_cbranch_execz .LBB348_48
; %bb.45:                               ;   in Loop: Header=BB348_10 Depth=1
	v_and_b32_e32 v1, 7, v0
	v_lshrrev_b32_e32 v11, 3, v12
	s_mov_b32 s41, exec_lo
	v_cmpx_gt_u32_e32 8, v12
; %bb.46:                               ;   in Loop: Header=BB348_10 Depth=1
	v_ffbh_u32_e32 v11, v1
	v_min_u32_e32 v11, 32, v11
	v_subrev_nc_u32_e32 v12, 28, v11
	v_sub_nc_u32_e32 v11, 29, v11
	v_lshlrev_b64 v[12:13], v12, v[1:2]
	v_and_b32_e32 v1, 7, v12
; %bb.47:                               ;   in Loop: Header=BB348_10 Depth=1
	s_or_b32 exec_lo, exec_lo, s41
	v_lshlrev_b32_e32 v12, 24, v0
	v_lshlrev_b32_e32 v1, 20, v1
	v_lshl_add_u32 v11, v11, 23, 0x3c000000
	v_and_b32_e32 v12, 0x80000000, v12
	v_or3_b32 v93, v1, v12, v11
.LBB348_48:                             ;   in Loop: Header=BB348_10 Depth=1
	s_or_b32 exec_lo, exec_lo, s40
.LBB348_49:                             ;   in Loop: Header=BB348_10 Depth=1
	s_or_b32 exec_lo, exec_lo, s39
.LBB348_50:                             ;   in Loop: Header=BB348_10 Depth=1
	s_or_b32 exec_lo, exec_lo, s3
	v_cmp_ne_u16_sdwa s2, v0, v2 src0_sel:BYTE_1 src1_sel:DWORD
	s_and_saveexec_b32 s3, s2
	s_cbranch_execz .LBB348_58
; %bb.51:                               ;   in Loop: Header=BB348_10 Depth=1
	v_cmp_ne_u16_sdwa s2, v0, v86 src0_sel:BYTE_1 src1_sel:DWORD
	v_bfrev_b32_e32 v94, 1
	s_and_saveexec_b32 s39, s2
	s_cbranch_execz .LBB348_57
; %bb.52:                               ;   in Loop: Header=BB348_10 Depth=1
	v_and_b32_sdwa v1, v87, v0 dst_sel:DWORD dst_unused:UNUSED_PAD src0_sel:DWORD src1_sel:BYTE_1
	v_mov_b32_e32 v94, 0x7f800001
	s_mov_b32 s40, exec_lo
	v_and_b32_e32 v12, 0x7f, v1
	v_cmpx_ne_u32_e32 0x7f, v12
	s_cbranch_execz .LBB348_56
; %bb.53:                               ;   in Loop: Header=BB348_10 Depth=1
	v_and_b32_e32 v1, 7, v1
	v_lshrrev_b32_e32 v11, 3, v12
	s_mov_b32 s41, exec_lo
	v_cmpx_gt_u32_e32 8, v12
; %bb.54:                               ;   in Loop: Header=BB348_10 Depth=1
	v_ffbh_u32_e32 v11, v1
	v_min_u32_e32 v11, 32, v11
	v_subrev_nc_u32_e32 v12, 28, v11
	v_sub_nc_u32_e32 v11, 29, v11
	v_lshlrev_b64 v[12:13], v12, v[1:2]
	v_and_b32_e32 v1, 7, v12
; %bb.55:                               ;   in Loop: Header=BB348_10 Depth=1
	s_or_b32 exec_lo, exec_lo, s41
	v_lshlrev_b32_e32 v0, 16, v0
	v_lshlrev_b32_e32 v1, 20, v1
	v_lshl_add_u32 v11, v11, 23, 0x3c000000
	v_and_b32_e32 v0, 0x80000000, v0
	v_or3_b32 v94, v1, v0, v11
.LBB348_56:                             ;   in Loop: Header=BB348_10 Depth=1
	s_or_b32 exec_lo, exec_lo, s40
.LBB348_57:                             ;   in Loop: Header=BB348_10 Depth=1
	s_or_b32 exec_lo, exec_lo, s39
.LBB348_58:                             ;   in Loop: Header=BB348_10 Depth=1
	s_or_b32 exec_lo, exec_lo, s3
	global_load_ushort v1, v[7:8], off offset:136
	v_mov_b32_e32 v96, 0
	v_mov_b32_e32 v95, 0
	s_waitcnt vmcnt(0)
	v_and_b32_e32 v0, 0xffff, v1
	v_cmp_ne_u16_sdwa s2, v1, v2 src0_sel:BYTE_0 src1_sel:DWORD
	s_and_saveexec_b32 s3, s2
	s_cbranch_execz .LBB348_66
; %bb.59:                               ;   in Loop: Header=BB348_10 Depth=1
	v_cmp_ne_u16_sdwa s2, v0, v86 src0_sel:BYTE_0 src1_sel:DWORD
	v_bfrev_b32_e32 v95, 1
	s_and_saveexec_b32 s39, s2
	s_cbranch_execz .LBB348_65
; %bb.60:                               ;   in Loop: Header=BB348_10 Depth=1
	v_and_b32_e32 v12, 0x7f, v0
	v_mov_b32_e32 v95, 0x7f800001
	s_mov_b32 s40, exec_lo
	v_cmpx_ne_u32_e32 0x7f, v12
	s_cbranch_execz .LBB348_64
; %bb.61:                               ;   in Loop: Header=BB348_10 Depth=1
	v_and_b32_e32 v1, 7, v0
	v_lshrrev_b32_e32 v11, 3, v12
	s_mov_b32 s41, exec_lo
	v_cmpx_gt_u32_e32 8, v12
; %bb.62:                               ;   in Loop: Header=BB348_10 Depth=1
	v_ffbh_u32_e32 v11, v1
	v_min_u32_e32 v11, 32, v11
	v_subrev_nc_u32_e32 v12, 28, v11
	v_sub_nc_u32_e32 v11, 29, v11
	v_lshlrev_b64 v[12:13], v12, v[1:2]
	v_and_b32_e32 v1, 7, v12
; %bb.63:                               ;   in Loop: Header=BB348_10 Depth=1
	s_or_b32 exec_lo, exec_lo, s41
	v_lshlrev_b32_e32 v12, 24, v0
	v_lshlrev_b32_e32 v1, 20, v1
	v_lshl_add_u32 v11, v11, 23, 0x3c000000
	v_and_b32_e32 v12, 0x80000000, v12
	v_or3_b32 v95, v1, v12, v11
.LBB348_64:                             ;   in Loop: Header=BB348_10 Depth=1
	s_or_b32 exec_lo, exec_lo, s40
.LBB348_65:                             ;   in Loop: Header=BB348_10 Depth=1
	s_or_b32 exec_lo, exec_lo, s39
.LBB348_66:                             ;   in Loop: Header=BB348_10 Depth=1
	s_or_b32 exec_lo, exec_lo, s3
	v_cmp_ne_u16_sdwa s2, v0, v2 src0_sel:BYTE_1 src1_sel:DWORD
	s_and_saveexec_b32 s3, s2
	s_cbranch_execz .LBB348_74
; %bb.67:                               ;   in Loop: Header=BB348_10 Depth=1
	v_cmp_ne_u16_sdwa s2, v0, v86 src0_sel:BYTE_1 src1_sel:DWORD
	v_bfrev_b32_e32 v96, 1
	s_and_saveexec_b32 s39, s2
	s_cbranch_execz .LBB348_73
; %bb.68:                               ;   in Loop: Header=BB348_10 Depth=1
	v_and_b32_sdwa v1, v87, v0 dst_sel:DWORD dst_unused:UNUSED_PAD src0_sel:DWORD src1_sel:BYTE_1
	v_mov_b32_e32 v96, 0x7f800001
	s_mov_b32 s40, exec_lo
	v_and_b32_e32 v12, 0x7f, v1
	v_cmpx_ne_u32_e32 0x7f, v12
	s_cbranch_execz .LBB348_72
; %bb.69:                               ;   in Loop: Header=BB348_10 Depth=1
	v_and_b32_e32 v1, 7, v1
	v_lshrrev_b32_e32 v11, 3, v12
	s_mov_b32 s41, exec_lo
	v_cmpx_gt_u32_e32 8, v12
; %bb.70:                               ;   in Loop: Header=BB348_10 Depth=1
	v_ffbh_u32_e32 v11, v1
	v_min_u32_e32 v11, 32, v11
	v_subrev_nc_u32_e32 v12, 28, v11
	v_sub_nc_u32_e32 v11, 29, v11
	v_lshlrev_b64 v[12:13], v12, v[1:2]
	v_and_b32_e32 v1, 7, v12
; %bb.71:                               ;   in Loop: Header=BB348_10 Depth=1
	s_or_b32 exec_lo, exec_lo, s41
	v_lshlrev_b32_e32 v0, 16, v0
	v_lshlrev_b32_e32 v1, 20, v1
	v_lshl_add_u32 v11, v11, 23, 0x3c000000
	v_and_b32_e32 v0, 0x80000000, v0
	v_or3_b32 v96, v1, v0, v11
.LBB348_72:                             ;   in Loop: Header=BB348_10 Depth=1
	s_or_b32 exec_lo, exec_lo, s40
.LBB348_73:                             ;   in Loop: Header=BB348_10 Depth=1
	s_or_b32 exec_lo, exec_lo, s39
.LBB348_74:                             ;   in Loop: Header=BB348_10 Depth=1
	s_or_b32 exec_lo, exec_lo, s3
	global_load_ushort v1, v[7:8], off offset:256
	v_mov_b32_e32 v98, 0
	v_mov_b32_e32 v97, 0
	s_waitcnt vmcnt(0)
	v_and_b32_e32 v0, 0xffff, v1
	v_cmp_ne_u16_sdwa s2, v1, v2 src0_sel:BYTE_0 src1_sel:DWORD
	s_and_saveexec_b32 s3, s2
	s_cbranch_execz .LBB348_82
; %bb.75:                               ;   in Loop: Header=BB348_10 Depth=1
	v_cmp_ne_u16_sdwa s2, v0, v86 src0_sel:BYTE_0 src1_sel:DWORD
	v_bfrev_b32_e32 v97, 1
	s_and_saveexec_b32 s39, s2
	s_cbranch_execz .LBB348_81
; %bb.76:                               ;   in Loop: Header=BB348_10 Depth=1
	v_and_b32_e32 v12, 0x7f, v0
	v_mov_b32_e32 v97, 0x7f800001
	s_mov_b32 s40, exec_lo
	v_cmpx_ne_u32_e32 0x7f, v12
	s_cbranch_execz .LBB348_80
; %bb.77:                               ;   in Loop: Header=BB348_10 Depth=1
	v_and_b32_e32 v1, 7, v0
	v_lshrrev_b32_e32 v11, 3, v12
	s_mov_b32 s41, exec_lo
	v_cmpx_gt_u32_e32 8, v12
; %bb.78:                               ;   in Loop: Header=BB348_10 Depth=1
	v_ffbh_u32_e32 v11, v1
	v_min_u32_e32 v11, 32, v11
	v_subrev_nc_u32_e32 v12, 28, v11
	v_sub_nc_u32_e32 v11, 29, v11
	v_lshlrev_b64 v[12:13], v12, v[1:2]
	v_and_b32_e32 v1, 7, v12
; %bb.79:                               ;   in Loop: Header=BB348_10 Depth=1
	s_or_b32 exec_lo, exec_lo, s41
	v_lshlrev_b32_e32 v12, 24, v0
	v_lshlrev_b32_e32 v1, 20, v1
	v_lshl_add_u32 v11, v11, 23, 0x3c000000
	v_and_b32_e32 v12, 0x80000000, v12
	v_or3_b32 v97, v1, v12, v11
.LBB348_80:                             ;   in Loop: Header=BB348_10 Depth=1
	s_or_b32 exec_lo, exec_lo, s40
.LBB348_81:                             ;   in Loop: Header=BB348_10 Depth=1
	s_or_b32 exec_lo, exec_lo, s39
.LBB348_82:                             ;   in Loop: Header=BB348_10 Depth=1
	s_or_b32 exec_lo, exec_lo, s3
	v_cmp_ne_u16_sdwa s2, v0, v2 src0_sel:BYTE_1 src1_sel:DWORD
	s_and_saveexec_b32 s3, s2
	s_cbranch_execz .LBB348_90
; %bb.83:                               ;   in Loop: Header=BB348_10 Depth=1
	v_cmp_ne_u16_sdwa s2, v0, v86 src0_sel:BYTE_1 src1_sel:DWORD
	v_bfrev_b32_e32 v98, 1
	s_and_saveexec_b32 s39, s2
	s_cbranch_execz .LBB348_89
; %bb.84:                               ;   in Loop: Header=BB348_10 Depth=1
	v_and_b32_sdwa v1, v87, v0 dst_sel:DWORD dst_unused:UNUSED_PAD src0_sel:DWORD src1_sel:BYTE_1
	v_mov_b32_e32 v98, 0x7f800001
	s_mov_b32 s40, exec_lo
	v_and_b32_e32 v12, 0x7f, v1
	v_cmpx_ne_u32_e32 0x7f, v12
	s_cbranch_execz .LBB348_88
; %bb.85:                               ;   in Loop: Header=BB348_10 Depth=1
	v_and_b32_e32 v1, 7, v1
	v_lshrrev_b32_e32 v11, 3, v12
	s_mov_b32 s41, exec_lo
	v_cmpx_gt_u32_e32 8, v12
; %bb.86:                               ;   in Loop: Header=BB348_10 Depth=1
	v_ffbh_u32_e32 v11, v1
	v_min_u32_e32 v11, 32, v11
	v_subrev_nc_u32_e32 v12, 28, v11
	v_sub_nc_u32_e32 v11, 29, v11
	v_lshlrev_b64 v[12:13], v12, v[1:2]
	v_and_b32_e32 v1, 7, v12
; %bb.87:                               ;   in Loop: Header=BB348_10 Depth=1
	s_or_b32 exec_lo, exec_lo, s41
	v_lshlrev_b32_e32 v0, 16, v0
	v_lshlrev_b32_e32 v1, 20, v1
	v_lshl_add_u32 v11, v11, 23, 0x3c000000
	v_and_b32_e32 v0, 0x80000000, v0
	v_or3_b32 v98, v1, v0, v11
.LBB348_88:                             ;   in Loop: Header=BB348_10 Depth=1
	s_or_b32 exec_lo, exec_lo, s40
.LBB348_89:                             ;   in Loop: Header=BB348_10 Depth=1
	s_or_b32 exec_lo, exec_lo, s39
.LBB348_90:                             ;   in Loop: Header=BB348_10 Depth=1
	s_or_b32 exec_lo, exec_lo, s3
	global_load_ushort v1, v[7:8], off offset:264
	v_mov_b32_e32 v100, 0
	v_mov_b32_e32 v99, 0
	s_waitcnt vmcnt(0)
	v_and_b32_e32 v0, 0xffff, v1
	v_cmp_ne_u16_sdwa s2, v1, v2 src0_sel:BYTE_0 src1_sel:DWORD
	s_and_saveexec_b32 s3, s2
	s_cbranch_execz .LBB348_98
; %bb.91:                               ;   in Loop: Header=BB348_10 Depth=1
	v_cmp_ne_u16_sdwa s2, v0, v86 src0_sel:BYTE_0 src1_sel:DWORD
	v_bfrev_b32_e32 v99, 1
	s_and_saveexec_b32 s39, s2
	s_cbranch_execz .LBB348_97
; %bb.92:                               ;   in Loop: Header=BB348_10 Depth=1
	v_and_b32_e32 v12, 0x7f, v0
	v_mov_b32_e32 v99, 0x7f800001
	s_mov_b32 s40, exec_lo
	v_cmpx_ne_u32_e32 0x7f, v12
	s_cbranch_execz .LBB348_96
; %bb.93:                               ;   in Loop: Header=BB348_10 Depth=1
	v_and_b32_e32 v1, 7, v0
	v_lshrrev_b32_e32 v11, 3, v12
	s_mov_b32 s41, exec_lo
	v_cmpx_gt_u32_e32 8, v12
; %bb.94:                               ;   in Loop: Header=BB348_10 Depth=1
	v_ffbh_u32_e32 v11, v1
	v_min_u32_e32 v11, 32, v11
	v_subrev_nc_u32_e32 v12, 28, v11
	v_sub_nc_u32_e32 v11, 29, v11
	v_lshlrev_b64 v[12:13], v12, v[1:2]
	v_and_b32_e32 v1, 7, v12
; %bb.95:                               ;   in Loop: Header=BB348_10 Depth=1
	s_or_b32 exec_lo, exec_lo, s41
	v_lshlrev_b32_e32 v12, 24, v0
	v_lshlrev_b32_e32 v1, 20, v1
	v_lshl_add_u32 v11, v11, 23, 0x3c000000
	v_and_b32_e32 v12, 0x80000000, v12
	v_or3_b32 v99, v1, v12, v11
.LBB348_96:                             ;   in Loop: Header=BB348_10 Depth=1
	s_or_b32 exec_lo, exec_lo, s40
.LBB348_97:                             ;   in Loop: Header=BB348_10 Depth=1
	s_or_b32 exec_lo, exec_lo, s39
.LBB348_98:                             ;   in Loop: Header=BB348_10 Depth=1
	s_or_b32 exec_lo, exec_lo, s3
	v_cmp_ne_u16_sdwa s2, v0, v2 src0_sel:BYTE_1 src1_sel:DWORD
	s_and_saveexec_b32 s3, s2
	s_cbranch_execz .LBB348_106
; %bb.99:                               ;   in Loop: Header=BB348_10 Depth=1
	v_cmp_ne_u16_sdwa s2, v0, v86 src0_sel:BYTE_1 src1_sel:DWORD
	v_bfrev_b32_e32 v100, 1
	s_and_saveexec_b32 s39, s2
	s_cbranch_execz .LBB348_105
; %bb.100:                              ;   in Loop: Header=BB348_10 Depth=1
	v_and_b32_sdwa v1, v87, v0 dst_sel:DWORD dst_unused:UNUSED_PAD src0_sel:DWORD src1_sel:BYTE_1
	v_mov_b32_e32 v100, 0x7f800001
	s_mov_b32 s40, exec_lo
	v_and_b32_e32 v12, 0x7f, v1
	v_cmpx_ne_u32_e32 0x7f, v12
	s_cbranch_execz .LBB348_104
; %bb.101:                              ;   in Loop: Header=BB348_10 Depth=1
	v_and_b32_e32 v1, 7, v1
	v_lshrrev_b32_e32 v11, 3, v12
	s_mov_b32 s41, exec_lo
	v_cmpx_gt_u32_e32 8, v12
; %bb.102:                              ;   in Loop: Header=BB348_10 Depth=1
	v_ffbh_u32_e32 v11, v1
	v_min_u32_e32 v11, 32, v11
	v_subrev_nc_u32_e32 v12, 28, v11
	v_sub_nc_u32_e32 v11, 29, v11
	v_lshlrev_b64 v[12:13], v12, v[1:2]
	v_and_b32_e32 v1, 7, v12
; %bb.103:                              ;   in Loop: Header=BB348_10 Depth=1
	s_or_b32 exec_lo, exec_lo, s41
	v_lshlrev_b32_e32 v0, 16, v0
	v_lshlrev_b32_e32 v1, 20, v1
	v_lshl_add_u32 v11, v11, 23, 0x3c000000
	v_and_b32_e32 v0, 0x80000000, v0
	v_or3_b32 v100, v1, v0, v11
.LBB348_104:                            ;   in Loop: Header=BB348_10 Depth=1
	s_or_b32 exec_lo, exec_lo, s40
.LBB348_105:                            ;   in Loop: Header=BB348_10 Depth=1
	s_or_b32 exec_lo, exec_lo, s39
.LBB348_106:                            ;   in Loop: Header=BB348_10 Depth=1
	s_or_b32 exec_lo, exec_lo, s3
	global_load_ushort v1, v[7:8], off offset:384
	v_mov_b32_e32 v102, 0
	v_mov_b32_e32 v101, 0
	s_waitcnt vmcnt(0)
	v_and_b32_e32 v0, 0xffff, v1
	v_cmp_ne_u16_sdwa s2, v1, v2 src0_sel:BYTE_0 src1_sel:DWORD
	s_and_saveexec_b32 s3, s2
	s_cbranch_execz .LBB348_114
; %bb.107:                              ;   in Loop: Header=BB348_10 Depth=1
	v_cmp_ne_u16_sdwa s2, v0, v86 src0_sel:BYTE_0 src1_sel:DWORD
	v_bfrev_b32_e32 v101, 1
	s_and_saveexec_b32 s39, s2
	s_cbranch_execz .LBB348_113
; %bb.108:                              ;   in Loop: Header=BB348_10 Depth=1
	v_and_b32_e32 v12, 0x7f, v0
	v_mov_b32_e32 v101, 0x7f800001
	s_mov_b32 s40, exec_lo
	v_cmpx_ne_u32_e32 0x7f, v12
	s_cbranch_execz .LBB348_112
; %bb.109:                              ;   in Loop: Header=BB348_10 Depth=1
	v_and_b32_e32 v1, 7, v0
	v_lshrrev_b32_e32 v11, 3, v12
	s_mov_b32 s41, exec_lo
	v_cmpx_gt_u32_e32 8, v12
; %bb.110:                              ;   in Loop: Header=BB348_10 Depth=1
	v_ffbh_u32_e32 v11, v1
	v_min_u32_e32 v11, 32, v11
	v_subrev_nc_u32_e32 v12, 28, v11
	v_sub_nc_u32_e32 v11, 29, v11
	v_lshlrev_b64 v[12:13], v12, v[1:2]
	v_and_b32_e32 v1, 7, v12
; %bb.111:                              ;   in Loop: Header=BB348_10 Depth=1
	s_or_b32 exec_lo, exec_lo, s41
	v_lshlrev_b32_e32 v12, 24, v0
	v_lshlrev_b32_e32 v1, 20, v1
	v_lshl_add_u32 v11, v11, 23, 0x3c000000
	v_and_b32_e32 v12, 0x80000000, v12
	v_or3_b32 v101, v1, v12, v11
.LBB348_112:                            ;   in Loop: Header=BB348_10 Depth=1
	s_or_b32 exec_lo, exec_lo, s40
.LBB348_113:                            ;   in Loop: Header=BB348_10 Depth=1
	s_or_b32 exec_lo, exec_lo, s39
.LBB348_114:                            ;   in Loop: Header=BB348_10 Depth=1
	s_or_b32 exec_lo, exec_lo, s3
	v_cmp_ne_u16_sdwa s2, v0, v2 src0_sel:BYTE_1 src1_sel:DWORD
	s_and_saveexec_b32 s3, s2
	s_cbranch_execz .LBB348_122
; %bb.115:                              ;   in Loop: Header=BB348_10 Depth=1
	v_cmp_ne_u16_sdwa s2, v0, v86 src0_sel:BYTE_1 src1_sel:DWORD
	v_bfrev_b32_e32 v102, 1
	s_and_saveexec_b32 s39, s2
	s_cbranch_execz .LBB348_121
; %bb.116:                              ;   in Loop: Header=BB348_10 Depth=1
	v_and_b32_sdwa v1, v87, v0 dst_sel:DWORD dst_unused:UNUSED_PAD src0_sel:DWORD src1_sel:BYTE_1
	v_mov_b32_e32 v102, 0x7f800001
	s_mov_b32 s40, exec_lo
	v_and_b32_e32 v12, 0x7f, v1
	v_cmpx_ne_u32_e32 0x7f, v12
	s_cbranch_execz .LBB348_120
; %bb.117:                              ;   in Loop: Header=BB348_10 Depth=1
	v_and_b32_e32 v1, 7, v1
	v_lshrrev_b32_e32 v11, 3, v12
	s_mov_b32 s41, exec_lo
	v_cmpx_gt_u32_e32 8, v12
; %bb.118:                              ;   in Loop: Header=BB348_10 Depth=1
	v_ffbh_u32_e32 v11, v1
	v_min_u32_e32 v11, 32, v11
	v_subrev_nc_u32_e32 v12, 28, v11
	v_sub_nc_u32_e32 v11, 29, v11
	v_lshlrev_b64 v[12:13], v12, v[1:2]
	v_and_b32_e32 v1, 7, v12
; %bb.119:                              ;   in Loop: Header=BB348_10 Depth=1
	s_or_b32 exec_lo, exec_lo, s41
	v_lshlrev_b32_e32 v0, 16, v0
	v_lshlrev_b32_e32 v1, 20, v1
	v_lshl_add_u32 v11, v11, 23, 0x3c000000
	v_and_b32_e32 v0, 0x80000000, v0
	v_or3_b32 v102, v1, v0, v11
.LBB348_120:                            ;   in Loop: Header=BB348_10 Depth=1
	s_or_b32 exec_lo, exec_lo, s40
.LBB348_121:                            ;   in Loop: Header=BB348_10 Depth=1
	s_or_b32 exec_lo, exec_lo, s39
.LBB348_122:                            ;   in Loop: Header=BB348_10 Depth=1
	s_or_b32 exec_lo, exec_lo, s3
	global_load_ushort v1, v[7:8], off offset:392
	v_mov_b32_e32 v104, 0
	v_mov_b32_e32 v103, 0
	s_waitcnt vmcnt(0)
	v_and_b32_e32 v0, 0xffff, v1
	v_cmp_ne_u16_sdwa s2, v1, v2 src0_sel:BYTE_0 src1_sel:DWORD
	s_and_saveexec_b32 s3, s2
	s_cbranch_execz .LBB348_130
; %bb.123:                              ;   in Loop: Header=BB348_10 Depth=1
	v_cmp_ne_u16_sdwa s2, v0, v86 src0_sel:BYTE_0 src1_sel:DWORD
	v_bfrev_b32_e32 v103, 1
	s_and_saveexec_b32 s39, s2
	s_cbranch_execz .LBB348_129
; %bb.124:                              ;   in Loop: Header=BB348_10 Depth=1
	v_and_b32_e32 v12, 0x7f, v0
	v_mov_b32_e32 v103, 0x7f800001
	s_mov_b32 s40, exec_lo
	v_cmpx_ne_u32_e32 0x7f, v12
	s_cbranch_execz .LBB348_128
; %bb.125:                              ;   in Loop: Header=BB348_10 Depth=1
	v_and_b32_e32 v1, 7, v0
	v_lshrrev_b32_e32 v11, 3, v12
	s_mov_b32 s41, exec_lo
	v_cmpx_gt_u32_e32 8, v12
; %bb.126:                              ;   in Loop: Header=BB348_10 Depth=1
	v_ffbh_u32_e32 v11, v1
	v_min_u32_e32 v11, 32, v11
	v_subrev_nc_u32_e32 v12, 28, v11
	v_sub_nc_u32_e32 v11, 29, v11
	v_lshlrev_b64 v[12:13], v12, v[1:2]
	v_and_b32_e32 v1, 7, v12
; %bb.127:                              ;   in Loop: Header=BB348_10 Depth=1
	s_or_b32 exec_lo, exec_lo, s41
	v_lshlrev_b32_e32 v12, 24, v0
	v_lshlrev_b32_e32 v1, 20, v1
	v_lshl_add_u32 v11, v11, 23, 0x3c000000
	v_and_b32_e32 v12, 0x80000000, v12
	v_or3_b32 v103, v1, v12, v11
.LBB348_128:                            ;   in Loop: Header=BB348_10 Depth=1
	s_or_b32 exec_lo, exec_lo, s40
.LBB348_129:                            ;   in Loop: Header=BB348_10 Depth=1
	s_or_b32 exec_lo, exec_lo, s39
.LBB348_130:                            ;   in Loop: Header=BB348_10 Depth=1
	s_or_b32 exec_lo, exec_lo, s3
	v_cmp_ne_u16_sdwa s2, v0, v2 src0_sel:BYTE_1 src1_sel:DWORD
	s_and_saveexec_b32 s3, s2
	s_cbranch_execz .LBB348_138
; %bb.131:                              ;   in Loop: Header=BB348_10 Depth=1
	v_cmp_ne_u16_sdwa s2, v0, v86 src0_sel:BYTE_1 src1_sel:DWORD
	v_bfrev_b32_e32 v104, 1
	s_and_saveexec_b32 s39, s2
	s_cbranch_execz .LBB348_137
; %bb.132:                              ;   in Loop: Header=BB348_10 Depth=1
	v_and_b32_sdwa v1, v87, v0 dst_sel:DWORD dst_unused:UNUSED_PAD src0_sel:DWORD src1_sel:BYTE_1
	v_mov_b32_e32 v104, 0x7f800001
	s_mov_b32 s40, exec_lo
	v_and_b32_e32 v12, 0x7f, v1
	v_cmpx_ne_u32_e32 0x7f, v12
	s_cbranch_execz .LBB348_136
; %bb.133:                              ;   in Loop: Header=BB348_10 Depth=1
	v_and_b32_e32 v1, 7, v1
	v_lshrrev_b32_e32 v11, 3, v12
	s_mov_b32 s41, exec_lo
	v_cmpx_gt_u32_e32 8, v12
; %bb.134:                              ;   in Loop: Header=BB348_10 Depth=1
	v_ffbh_u32_e32 v11, v1
	v_min_u32_e32 v11, 32, v11
	v_subrev_nc_u32_e32 v12, 28, v11
	v_sub_nc_u32_e32 v11, 29, v11
	v_lshlrev_b64 v[12:13], v12, v[1:2]
	v_and_b32_e32 v1, 7, v12
; %bb.135:                              ;   in Loop: Header=BB348_10 Depth=1
	s_or_b32 exec_lo, exec_lo, s41
	v_lshlrev_b32_e32 v0, 16, v0
	v_lshlrev_b32_e32 v1, 20, v1
	v_lshl_add_u32 v11, v11, 23, 0x3c000000
	v_and_b32_e32 v0, 0x80000000, v0
	v_or3_b32 v104, v1, v0, v11
.LBB348_136:                            ;   in Loop: Header=BB348_10 Depth=1
	s_or_b32 exec_lo, exec_lo, s40
.LBB348_137:                            ;   in Loop: Header=BB348_10 Depth=1
	s_or_b32 exec_lo, exec_lo, s39
.LBB348_138:                            ;   in Loop: Header=BB348_10 Depth=1
	s_or_b32 exec_lo, exec_lo, s3
	global_load_ushort v1, v[7:8], off offset:512
	v_mov_b32_e32 v106, 0
	v_mov_b32_e32 v105, 0
	s_waitcnt vmcnt(0)
	v_and_b32_e32 v0, 0xffff, v1
	v_cmp_ne_u16_sdwa s2, v1, v2 src0_sel:BYTE_0 src1_sel:DWORD
	s_and_saveexec_b32 s3, s2
	s_cbranch_execz .LBB348_146
; %bb.139:                              ;   in Loop: Header=BB348_10 Depth=1
	v_cmp_ne_u16_sdwa s2, v0, v86 src0_sel:BYTE_0 src1_sel:DWORD
	v_bfrev_b32_e32 v105, 1
	s_and_saveexec_b32 s39, s2
	s_cbranch_execz .LBB348_145
; %bb.140:                              ;   in Loop: Header=BB348_10 Depth=1
	v_and_b32_e32 v12, 0x7f, v0
	v_mov_b32_e32 v105, 0x7f800001
	s_mov_b32 s40, exec_lo
	v_cmpx_ne_u32_e32 0x7f, v12
	s_cbranch_execz .LBB348_144
; %bb.141:                              ;   in Loop: Header=BB348_10 Depth=1
	v_and_b32_e32 v1, 7, v0
	v_lshrrev_b32_e32 v11, 3, v12
	s_mov_b32 s41, exec_lo
	v_cmpx_gt_u32_e32 8, v12
; %bb.142:                              ;   in Loop: Header=BB348_10 Depth=1
	v_ffbh_u32_e32 v11, v1
	v_min_u32_e32 v11, 32, v11
	v_subrev_nc_u32_e32 v12, 28, v11
	v_sub_nc_u32_e32 v11, 29, v11
	v_lshlrev_b64 v[12:13], v12, v[1:2]
	v_and_b32_e32 v1, 7, v12
; %bb.143:                              ;   in Loop: Header=BB348_10 Depth=1
	s_or_b32 exec_lo, exec_lo, s41
	v_lshlrev_b32_e32 v12, 24, v0
	v_lshlrev_b32_e32 v1, 20, v1
	v_lshl_add_u32 v11, v11, 23, 0x3c000000
	v_and_b32_e32 v12, 0x80000000, v12
	v_or3_b32 v105, v1, v12, v11
.LBB348_144:                            ;   in Loop: Header=BB348_10 Depth=1
	s_or_b32 exec_lo, exec_lo, s40
.LBB348_145:                            ;   in Loop: Header=BB348_10 Depth=1
	s_or_b32 exec_lo, exec_lo, s39
.LBB348_146:                            ;   in Loop: Header=BB348_10 Depth=1
	s_or_b32 exec_lo, exec_lo, s3
	v_cmp_ne_u16_sdwa s2, v0, v2 src0_sel:BYTE_1 src1_sel:DWORD
	s_and_saveexec_b32 s3, s2
	s_cbranch_execz .LBB348_154
; %bb.147:                              ;   in Loop: Header=BB348_10 Depth=1
	v_cmp_ne_u16_sdwa s2, v0, v86 src0_sel:BYTE_1 src1_sel:DWORD
	v_bfrev_b32_e32 v106, 1
	s_and_saveexec_b32 s39, s2
	s_cbranch_execz .LBB348_153
; %bb.148:                              ;   in Loop: Header=BB348_10 Depth=1
	v_and_b32_sdwa v1, v87, v0 dst_sel:DWORD dst_unused:UNUSED_PAD src0_sel:DWORD src1_sel:BYTE_1
	v_mov_b32_e32 v106, 0x7f800001
	s_mov_b32 s40, exec_lo
	v_and_b32_e32 v12, 0x7f, v1
	v_cmpx_ne_u32_e32 0x7f, v12
	s_cbranch_execz .LBB348_152
; %bb.149:                              ;   in Loop: Header=BB348_10 Depth=1
	v_and_b32_e32 v1, 7, v1
	v_lshrrev_b32_e32 v11, 3, v12
	s_mov_b32 s41, exec_lo
	v_cmpx_gt_u32_e32 8, v12
; %bb.150:                              ;   in Loop: Header=BB348_10 Depth=1
	v_ffbh_u32_e32 v11, v1
	v_min_u32_e32 v11, 32, v11
	v_subrev_nc_u32_e32 v12, 28, v11
	v_sub_nc_u32_e32 v11, 29, v11
	v_lshlrev_b64 v[12:13], v12, v[1:2]
	v_and_b32_e32 v1, 7, v12
; %bb.151:                              ;   in Loop: Header=BB348_10 Depth=1
	s_or_b32 exec_lo, exec_lo, s41
	v_lshlrev_b32_e32 v0, 16, v0
	v_lshlrev_b32_e32 v1, 20, v1
	v_lshl_add_u32 v11, v11, 23, 0x3c000000
	v_and_b32_e32 v0, 0x80000000, v0
	v_or3_b32 v106, v1, v0, v11
.LBB348_152:                            ;   in Loop: Header=BB348_10 Depth=1
	s_or_b32 exec_lo, exec_lo, s40
.LBB348_153:                            ;   in Loop: Header=BB348_10 Depth=1
	s_or_b32 exec_lo, exec_lo, s39
.LBB348_154:                            ;   in Loop: Header=BB348_10 Depth=1
	s_or_b32 exec_lo, exec_lo, s3
	global_load_ushort v1, v[7:8], off offset:520
	v_mov_b32_e32 v108, 0
	v_mov_b32_e32 v107, 0
	s_waitcnt vmcnt(0)
	v_and_b32_e32 v0, 0xffff, v1
	v_cmp_ne_u16_sdwa s2, v1, v2 src0_sel:BYTE_0 src1_sel:DWORD
	s_and_saveexec_b32 s3, s2
	s_cbranch_execz .LBB348_162
; %bb.155:                              ;   in Loop: Header=BB348_10 Depth=1
	v_cmp_ne_u16_sdwa s2, v0, v86 src0_sel:BYTE_0 src1_sel:DWORD
	v_bfrev_b32_e32 v107, 1
	s_and_saveexec_b32 s39, s2
	s_cbranch_execz .LBB348_161
; %bb.156:                              ;   in Loop: Header=BB348_10 Depth=1
	v_and_b32_e32 v12, 0x7f, v0
	v_mov_b32_e32 v107, 0x7f800001
	s_mov_b32 s40, exec_lo
	v_cmpx_ne_u32_e32 0x7f, v12
	s_cbranch_execz .LBB348_160
; %bb.157:                              ;   in Loop: Header=BB348_10 Depth=1
	v_and_b32_e32 v1, 7, v0
	v_lshrrev_b32_e32 v11, 3, v12
	s_mov_b32 s41, exec_lo
	v_cmpx_gt_u32_e32 8, v12
; %bb.158:                              ;   in Loop: Header=BB348_10 Depth=1
	v_ffbh_u32_e32 v11, v1
	v_min_u32_e32 v11, 32, v11
	v_subrev_nc_u32_e32 v12, 28, v11
	v_sub_nc_u32_e32 v11, 29, v11
	v_lshlrev_b64 v[12:13], v12, v[1:2]
	v_and_b32_e32 v1, 7, v12
; %bb.159:                              ;   in Loop: Header=BB348_10 Depth=1
	s_or_b32 exec_lo, exec_lo, s41
	v_lshlrev_b32_e32 v12, 24, v0
	v_lshlrev_b32_e32 v1, 20, v1
	v_lshl_add_u32 v11, v11, 23, 0x3c000000
	v_and_b32_e32 v12, 0x80000000, v12
	v_or3_b32 v107, v1, v12, v11
.LBB348_160:                            ;   in Loop: Header=BB348_10 Depth=1
	s_or_b32 exec_lo, exec_lo, s40
.LBB348_161:                            ;   in Loop: Header=BB348_10 Depth=1
	s_or_b32 exec_lo, exec_lo, s39
.LBB348_162:                            ;   in Loop: Header=BB348_10 Depth=1
	s_or_b32 exec_lo, exec_lo, s3
	v_cmp_ne_u16_sdwa s2, v0, v2 src0_sel:BYTE_1 src1_sel:DWORD
	s_and_saveexec_b32 s3, s2
	s_cbranch_execz .LBB348_170
; %bb.163:                              ;   in Loop: Header=BB348_10 Depth=1
	v_cmp_ne_u16_sdwa s2, v0, v86 src0_sel:BYTE_1 src1_sel:DWORD
	v_bfrev_b32_e32 v108, 1
	s_and_saveexec_b32 s39, s2
	s_cbranch_execz .LBB348_169
; %bb.164:                              ;   in Loop: Header=BB348_10 Depth=1
	v_and_b32_sdwa v1, v87, v0 dst_sel:DWORD dst_unused:UNUSED_PAD src0_sel:DWORD src1_sel:BYTE_1
	v_mov_b32_e32 v108, 0x7f800001
	s_mov_b32 s40, exec_lo
	v_and_b32_e32 v12, 0x7f, v1
	v_cmpx_ne_u32_e32 0x7f, v12
	s_cbranch_execz .LBB348_168
; %bb.165:                              ;   in Loop: Header=BB348_10 Depth=1
	v_and_b32_e32 v1, 7, v1
	v_lshrrev_b32_e32 v11, 3, v12
	s_mov_b32 s41, exec_lo
	v_cmpx_gt_u32_e32 8, v12
; %bb.166:                              ;   in Loop: Header=BB348_10 Depth=1
	v_ffbh_u32_e32 v11, v1
	v_min_u32_e32 v11, 32, v11
	v_subrev_nc_u32_e32 v12, 28, v11
	v_sub_nc_u32_e32 v11, 29, v11
	v_lshlrev_b64 v[12:13], v12, v[1:2]
	v_and_b32_e32 v1, 7, v12
; %bb.167:                              ;   in Loop: Header=BB348_10 Depth=1
	s_or_b32 exec_lo, exec_lo, s41
	v_lshlrev_b32_e32 v0, 16, v0
	v_lshlrev_b32_e32 v1, 20, v1
	v_lshl_add_u32 v11, v11, 23, 0x3c000000
	v_and_b32_e32 v0, 0x80000000, v0
	v_or3_b32 v108, v1, v0, v11
.LBB348_168:                            ;   in Loop: Header=BB348_10 Depth=1
	s_or_b32 exec_lo, exec_lo, s40
.LBB348_169:                            ;   in Loop: Header=BB348_10 Depth=1
	s_or_b32 exec_lo, exec_lo, s39
.LBB348_170:                            ;   in Loop: Header=BB348_10 Depth=1
	s_or_b32 exec_lo, exec_lo, s3
	global_load_ushort v1, v[7:8], off offset:640
	v_mov_b32_e32 v110, 0
	v_mov_b32_e32 v109, 0
	s_waitcnt vmcnt(0)
	v_and_b32_e32 v0, 0xffff, v1
	v_cmp_ne_u16_sdwa s2, v1, v2 src0_sel:BYTE_0 src1_sel:DWORD
	s_and_saveexec_b32 s3, s2
	s_cbranch_execz .LBB348_178
; %bb.171:                              ;   in Loop: Header=BB348_10 Depth=1
	v_cmp_ne_u16_sdwa s2, v0, v86 src0_sel:BYTE_0 src1_sel:DWORD
	v_bfrev_b32_e32 v109, 1
	s_and_saveexec_b32 s39, s2
	s_cbranch_execz .LBB348_177
; %bb.172:                              ;   in Loop: Header=BB348_10 Depth=1
	v_and_b32_e32 v12, 0x7f, v0
	v_mov_b32_e32 v109, 0x7f800001
	s_mov_b32 s40, exec_lo
	v_cmpx_ne_u32_e32 0x7f, v12
	s_cbranch_execz .LBB348_176
; %bb.173:                              ;   in Loop: Header=BB348_10 Depth=1
	v_and_b32_e32 v1, 7, v0
	v_lshrrev_b32_e32 v11, 3, v12
	s_mov_b32 s41, exec_lo
	v_cmpx_gt_u32_e32 8, v12
; %bb.174:                              ;   in Loop: Header=BB348_10 Depth=1
	v_ffbh_u32_e32 v11, v1
	v_min_u32_e32 v11, 32, v11
	v_subrev_nc_u32_e32 v12, 28, v11
	v_sub_nc_u32_e32 v11, 29, v11
	v_lshlrev_b64 v[12:13], v12, v[1:2]
	v_and_b32_e32 v1, 7, v12
; %bb.175:                              ;   in Loop: Header=BB348_10 Depth=1
	s_or_b32 exec_lo, exec_lo, s41
	v_lshlrev_b32_e32 v12, 24, v0
	v_lshlrev_b32_e32 v1, 20, v1
	v_lshl_add_u32 v11, v11, 23, 0x3c000000
	v_and_b32_e32 v12, 0x80000000, v12
	v_or3_b32 v109, v1, v12, v11
.LBB348_176:                            ;   in Loop: Header=BB348_10 Depth=1
	s_or_b32 exec_lo, exec_lo, s40
.LBB348_177:                            ;   in Loop: Header=BB348_10 Depth=1
	s_or_b32 exec_lo, exec_lo, s39
.LBB348_178:                            ;   in Loop: Header=BB348_10 Depth=1
	s_or_b32 exec_lo, exec_lo, s3
	v_cmp_ne_u16_sdwa s2, v0, v2 src0_sel:BYTE_1 src1_sel:DWORD
	s_and_saveexec_b32 s3, s2
	s_cbranch_execz .LBB348_186
; %bb.179:                              ;   in Loop: Header=BB348_10 Depth=1
	v_cmp_ne_u16_sdwa s2, v0, v86 src0_sel:BYTE_1 src1_sel:DWORD
	v_bfrev_b32_e32 v110, 1
	s_and_saveexec_b32 s39, s2
	s_cbranch_execz .LBB348_185
; %bb.180:                              ;   in Loop: Header=BB348_10 Depth=1
	v_and_b32_sdwa v1, v87, v0 dst_sel:DWORD dst_unused:UNUSED_PAD src0_sel:DWORD src1_sel:BYTE_1
	v_mov_b32_e32 v110, 0x7f800001
	s_mov_b32 s40, exec_lo
	v_and_b32_e32 v12, 0x7f, v1
	v_cmpx_ne_u32_e32 0x7f, v12
	s_cbranch_execz .LBB348_184
; %bb.181:                              ;   in Loop: Header=BB348_10 Depth=1
	v_and_b32_e32 v1, 7, v1
	v_lshrrev_b32_e32 v11, 3, v12
	s_mov_b32 s41, exec_lo
	v_cmpx_gt_u32_e32 8, v12
; %bb.182:                              ;   in Loop: Header=BB348_10 Depth=1
	v_ffbh_u32_e32 v11, v1
	v_min_u32_e32 v11, 32, v11
	v_subrev_nc_u32_e32 v12, 28, v11
	v_sub_nc_u32_e32 v11, 29, v11
	v_lshlrev_b64 v[12:13], v12, v[1:2]
	v_and_b32_e32 v1, 7, v12
; %bb.183:                              ;   in Loop: Header=BB348_10 Depth=1
	s_or_b32 exec_lo, exec_lo, s41
	v_lshlrev_b32_e32 v0, 16, v0
	v_lshlrev_b32_e32 v1, 20, v1
	v_lshl_add_u32 v11, v11, 23, 0x3c000000
	v_and_b32_e32 v0, 0x80000000, v0
	v_or3_b32 v110, v1, v0, v11
.LBB348_184:                            ;   in Loop: Header=BB348_10 Depth=1
	s_or_b32 exec_lo, exec_lo, s40
.LBB348_185:                            ;   in Loop: Header=BB348_10 Depth=1
	s_or_b32 exec_lo, exec_lo, s39
.LBB348_186:                            ;   in Loop: Header=BB348_10 Depth=1
	s_or_b32 exec_lo, exec_lo, s3
	global_load_ushort v1, v[7:8], off offset:648
	v_mov_b32_e32 v112, 0
	v_mov_b32_e32 v111, 0
	s_waitcnt vmcnt(0)
	v_and_b32_e32 v0, 0xffff, v1
	v_cmp_ne_u16_sdwa s2, v1, v2 src0_sel:BYTE_0 src1_sel:DWORD
	s_and_saveexec_b32 s3, s2
	s_cbranch_execz .LBB348_194
; %bb.187:                              ;   in Loop: Header=BB348_10 Depth=1
	v_cmp_ne_u16_sdwa s2, v0, v86 src0_sel:BYTE_0 src1_sel:DWORD
	v_bfrev_b32_e32 v111, 1
	s_and_saveexec_b32 s39, s2
	s_cbranch_execz .LBB348_193
; %bb.188:                              ;   in Loop: Header=BB348_10 Depth=1
	v_and_b32_e32 v12, 0x7f, v0
	v_mov_b32_e32 v111, 0x7f800001
	s_mov_b32 s40, exec_lo
	v_cmpx_ne_u32_e32 0x7f, v12
	s_cbranch_execz .LBB348_192
; %bb.189:                              ;   in Loop: Header=BB348_10 Depth=1
	v_and_b32_e32 v1, 7, v0
	v_lshrrev_b32_e32 v11, 3, v12
	s_mov_b32 s41, exec_lo
	v_cmpx_gt_u32_e32 8, v12
; %bb.190:                              ;   in Loop: Header=BB348_10 Depth=1
	v_ffbh_u32_e32 v11, v1
	v_min_u32_e32 v11, 32, v11
	v_subrev_nc_u32_e32 v12, 28, v11
	v_sub_nc_u32_e32 v11, 29, v11
	v_lshlrev_b64 v[12:13], v12, v[1:2]
	v_and_b32_e32 v1, 7, v12
; %bb.191:                              ;   in Loop: Header=BB348_10 Depth=1
	s_or_b32 exec_lo, exec_lo, s41
	v_lshlrev_b32_e32 v12, 24, v0
	v_lshlrev_b32_e32 v1, 20, v1
	v_lshl_add_u32 v11, v11, 23, 0x3c000000
	v_and_b32_e32 v12, 0x80000000, v12
	v_or3_b32 v111, v1, v12, v11
.LBB348_192:                            ;   in Loop: Header=BB348_10 Depth=1
	s_or_b32 exec_lo, exec_lo, s40
.LBB348_193:                            ;   in Loop: Header=BB348_10 Depth=1
	s_or_b32 exec_lo, exec_lo, s39
.LBB348_194:                            ;   in Loop: Header=BB348_10 Depth=1
	s_or_b32 exec_lo, exec_lo, s3
	v_cmp_ne_u16_sdwa s2, v0, v2 src0_sel:BYTE_1 src1_sel:DWORD
	s_and_saveexec_b32 s3, s2
	s_cbranch_execz .LBB348_202
; %bb.195:                              ;   in Loop: Header=BB348_10 Depth=1
	v_cmp_ne_u16_sdwa s2, v0, v86 src0_sel:BYTE_1 src1_sel:DWORD
	v_bfrev_b32_e32 v112, 1
	s_and_saveexec_b32 s39, s2
	s_cbranch_execz .LBB348_201
; %bb.196:                              ;   in Loop: Header=BB348_10 Depth=1
	v_and_b32_sdwa v1, v87, v0 dst_sel:DWORD dst_unused:UNUSED_PAD src0_sel:DWORD src1_sel:BYTE_1
	v_mov_b32_e32 v112, 0x7f800001
	s_mov_b32 s40, exec_lo
	v_and_b32_e32 v12, 0x7f, v1
	v_cmpx_ne_u32_e32 0x7f, v12
	s_cbranch_execz .LBB348_200
; %bb.197:                              ;   in Loop: Header=BB348_10 Depth=1
	v_and_b32_e32 v1, 7, v1
	v_lshrrev_b32_e32 v11, 3, v12
	s_mov_b32 s41, exec_lo
	v_cmpx_gt_u32_e32 8, v12
; %bb.198:                              ;   in Loop: Header=BB348_10 Depth=1
	v_ffbh_u32_e32 v11, v1
	v_min_u32_e32 v11, 32, v11
	v_subrev_nc_u32_e32 v12, 28, v11
	v_sub_nc_u32_e32 v11, 29, v11
	v_lshlrev_b64 v[12:13], v12, v[1:2]
	v_and_b32_e32 v1, 7, v12
; %bb.199:                              ;   in Loop: Header=BB348_10 Depth=1
	s_or_b32 exec_lo, exec_lo, s41
	v_lshlrev_b32_e32 v0, 16, v0
	v_lshlrev_b32_e32 v1, 20, v1
	v_lshl_add_u32 v11, v11, 23, 0x3c000000
	v_and_b32_e32 v0, 0x80000000, v0
	v_or3_b32 v112, v1, v0, v11
.LBB348_200:                            ;   in Loop: Header=BB348_10 Depth=1
	s_or_b32 exec_lo, exec_lo, s40
.LBB348_201:                            ;   in Loop: Header=BB348_10 Depth=1
	s_or_b32 exec_lo, exec_lo, s39
.LBB348_202:                            ;   in Loop: Header=BB348_10 Depth=1
	s_or_b32 exec_lo, exec_lo, s3
	global_load_ushort v1, v[7:8], off offset:768
	v_mov_b32_e32 v114, 0
	v_mov_b32_e32 v113, 0
	s_waitcnt vmcnt(0)
	v_and_b32_e32 v0, 0xffff, v1
	v_cmp_ne_u16_sdwa s2, v1, v2 src0_sel:BYTE_0 src1_sel:DWORD
	s_and_saveexec_b32 s3, s2
	s_cbranch_execz .LBB348_210
; %bb.203:                              ;   in Loop: Header=BB348_10 Depth=1
	v_cmp_ne_u16_sdwa s2, v0, v86 src0_sel:BYTE_0 src1_sel:DWORD
	v_bfrev_b32_e32 v113, 1
	s_and_saveexec_b32 s39, s2
	s_cbranch_execz .LBB348_209
; %bb.204:                              ;   in Loop: Header=BB348_10 Depth=1
	v_and_b32_e32 v12, 0x7f, v0
	v_mov_b32_e32 v113, 0x7f800001
	s_mov_b32 s40, exec_lo
	v_cmpx_ne_u32_e32 0x7f, v12
	s_cbranch_execz .LBB348_208
; %bb.205:                              ;   in Loop: Header=BB348_10 Depth=1
	v_and_b32_e32 v1, 7, v0
	v_lshrrev_b32_e32 v11, 3, v12
	s_mov_b32 s41, exec_lo
	v_cmpx_gt_u32_e32 8, v12
; %bb.206:                              ;   in Loop: Header=BB348_10 Depth=1
	v_ffbh_u32_e32 v11, v1
	v_min_u32_e32 v11, 32, v11
	v_subrev_nc_u32_e32 v12, 28, v11
	v_sub_nc_u32_e32 v11, 29, v11
	v_lshlrev_b64 v[12:13], v12, v[1:2]
	v_and_b32_e32 v1, 7, v12
; %bb.207:                              ;   in Loop: Header=BB348_10 Depth=1
	s_or_b32 exec_lo, exec_lo, s41
	v_lshlrev_b32_e32 v12, 24, v0
	v_lshlrev_b32_e32 v1, 20, v1
	v_lshl_add_u32 v11, v11, 23, 0x3c000000
	v_and_b32_e32 v12, 0x80000000, v12
	v_or3_b32 v113, v1, v12, v11
.LBB348_208:                            ;   in Loop: Header=BB348_10 Depth=1
	s_or_b32 exec_lo, exec_lo, s40
.LBB348_209:                            ;   in Loop: Header=BB348_10 Depth=1
	s_or_b32 exec_lo, exec_lo, s39
.LBB348_210:                            ;   in Loop: Header=BB348_10 Depth=1
	s_or_b32 exec_lo, exec_lo, s3
	v_cmp_ne_u16_sdwa s2, v0, v2 src0_sel:BYTE_1 src1_sel:DWORD
	s_and_saveexec_b32 s3, s2
	s_cbranch_execz .LBB348_218
; %bb.211:                              ;   in Loop: Header=BB348_10 Depth=1
	v_cmp_ne_u16_sdwa s2, v0, v86 src0_sel:BYTE_1 src1_sel:DWORD
	v_bfrev_b32_e32 v114, 1
	s_and_saveexec_b32 s39, s2
	s_cbranch_execz .LBB348_217
; %bb.212:                              ;   in Loop: Header=BB348_10 Depth=1
	v_and_b32_sdwa v1, v87, v0 dst_sel:DWORD dst_unused:UNUSED_PAD src0_sel:DWORD src1_sel:BYTE_1
	v_mov_b32_e32 v114, 0x7f800001
	s_mov_b32 s40, exec_lo
	v_and_b32_e32 v12, 0x7f, v1
	v_cmpx_ne_u32_e32 0x7f, v12
	s_cbranch_execz .LBB348_216
; %bb.213:                              ;   in Loop: Header=BB348_10 Depth=1
	v_and_b32_e32 v1, 7, v1
	v_lshrrev_b32_e32 v11, 3, v12
	s_mov_b32 s41, exec_lo
	v_cmpx_gt_u32_e32 8, v12
; %bb.214:                              ;   in Loop: Header=BB348_10 Depth=1
	v_ffbh_u32_e32 v11, v1
	v_min_u32_e32 v11, 32, v11
	v_subrev_nc_u32_e32 v12, 28, v11
	v_sub_nc_u32_e32 v11, 29, v11
	v_lshlrev_b64 v[12:13], v12, v[1:2]
	v_and_b32_e32 v1, 7, v12
; %bb.215:                              ;   in Loop: Header=BB348_10 Depth=1
	s_or_b32 exec_lo, exec_lo, s41
	v_lshlrev_b32_e32 v0, 16, v0
	v_lshlrev_b32_e32 v1, 20, v1
	v_lshl_add_u32 v11, v11, 23, 0x3c000000
	v_and_b32_e32 v0, 0x80000000, v0
	v_or3_b32 v114, v1, v0, v11
.LBB348_216:                            ;   in Loop: Header=BB348_10 Depth=1
	s_or_b32 exec_lo, exec_lo, s40
.LBB348_217:                            ;   in Loop: Header=BB348_10 Depth=1
	s_or_b32 exec_lo, exec_lo, s39
.LBB348_218:                            ;   in Loop: Header=BB348_10 Depth=1
	s_or_b32 exec_lo, exec_lo, s3
	global_load_ushort v1, v[7:8], off offset:776
	v_mov_b32_e32 v116, 0
	v_mov_b32_e32 v115, 0
	s_waitcnt vmcnt(0)
	v_and_b32_e32 v0, 0xffff, v1
	v_cmp_ne_u16_sdwa s2, v1, v2 src0_sel:BYTE_0 src1_sel:DWORD
	s_and_saveexec_b32 s3, s2
	s_cbranch_execz .LBB348_226
; %bb.219:                              ;   in Loop: Header=BB348_10 Depth=1
	v_cmp_ne_u16_sdwa s2, v0, v86 src0_sel:BYTE_0 src1_sel:DWORD
	v_bfrev_b32_e32 v115, 1
	s_and_saveexec_b32 s39, s2
	s_cbranch_execz .LBB348_225
; %bb.220:                              ;   in Loop: Header=BB348_10 Depth=1
	v_and_b32_e32 v12, 0x7f, v0
	v_mov_b32_e32 v115, 0x7f800001
	s_mov_b32 s40, exec_lo
	v_cmpx_ne_u32_e32 0x7f, v12
	s_cbranch_execz .LBB348_224
; %bb.221:                              ;   in Loop: Header=BB348_10 Depth=1
	v_and_b32_e32 v1, 7, v0
	v_lshrrev_b32_e32 v11, 3, v12
	s_mov_b32 s41, exec_lo
	v_cmpx_gt_u32_e32 8, v12
; %bb.222:                              ;   in Loop: Header=BB348_10 Depth=1
	v_ffbh_u32_e32 v11, v1
	v_min_u32_e32 v11, 32, v11
	v_subrev_nc_u32_e32 v12, 28, v11
	v_sub_nc_u32_e32 v11, 29, v11
	v_lshlrev_b64 v[12:13], v12, v[1:2]
	v_and_b32_e32 v1, 7, v12
; %bb.223:                              ;   in Loop: Header=BB348_10 Depth=1
	s_or_b32 exec_lo, exec_lo, s41
	v_lshlrev_b32_e32 v12, 24, v0
	v_lshlrev_b32_e32 v1, 20, v1
	v_lshl_add_u32 v11, v11, 23, 0x3c000000
	v_and_b32_e32 v12, 0x80000000, v12
	v_or3_b32 v115, v1, v12, v11
.LBB348_224:                            ;   in Loop: Header=BB348_10 Depth=1
	s_or_b32 exec_lo, exec_lo, s40
.LBB348_225:                            ;   in Loop: Header=BB348_10 Depth=1
	s_or_b32 exec_lo, exec_lo, s39
.LBB348_226:                            ;   in Loop: Header=BB348_10 Depth=1
	s_or_b32 exec_lo, exec_lo, s3
	v_cmp_ne_u16_sdwa s2, v0, v2 src0_sel:BYTE_1 src1_sel:DWORD
	s_and_saveexec_b32 s3, s2
	s_cbranch_execz .LBB348_234
; %bb.227:                              ;   in Loop: Header=BB348_10 Depth=1
	v_cmp_ne_u16_sdwa s2, v0, v86 src0_sel:BYTE_1 src1_sel:DWORD
	v_bfrev_b32_e32 v116, 1
	s_and_saveexec_b32 s39, s2
	s_cbranch_execz .LBB348_233
; %bb.228:                              ;   in Loop: Header=BB348_10 Depth=1
	v_and_b32_sdwa v1, v87, v0 dst_sel:DWORD dst_unused:UNUSED_PAD src0_sel:DWORD src1_sel:BYTE_1
	v_mov_b32_e32 v116, 0x7f800001
	s_mov_b32 s40, exec_lo
	v_and_b32_e32 v12, 0x7f, v1
	v_cmpx_ne_u32_e32 0x7f, v12
	s_cbranch_execz .LBB348_232
; %bb.229:                              ;   in Loop: Header=BB348_10 Depth=1
	v_and_b32_e32 v1, 7, v1
	v_lshrrev_b32_e32 v11, 3, v12
	s_mov_b32 s41, exec_lo
	v_cmpx_gt_u32_e32 8, v12
; %bb.230:                              ;   in Loop: Header=BB348_10 Depth=1
	v_ffbh_u32_e32 v11, v1
	v_min_u32_e32 v11, 32, v11
	v_subrev_nc_u32_e32 v12, 28, v11
	v_sub_nc_u32_e32 v11, 29, v11
	v_lshlrev_b64 v[12:13], v12, v[1:2]
	v_and_b32_e32 v1, 7, v12
; %bb.231:                              ;   in Loop: Header=BB348_10 Depth=1
	s_or_b32 exec_lo, exec_lo, s41
	v_lshlrev_b32_e32 v0, 16, v0
	v_lshlrev_b32_e32 v1, 20, v1
	v_lshl_add_u32 v11, v11, 23, 0x3c000000
	v_and_b32_e32 v0, 0x80000000, v0
	v_or3_b32 v116, v1, v0, v11
.LBB348_232:                            ;   in Loop: Header=BB348_10 Depth=1
	s_or_b32 exec_lo, exec_lo, s40
.LBB348_233:                            ;   in Loop: Header=BB348_10 Depth=1
	s_or_b32 exec_lo, exec_lo, s39
.LBB348_234:                            ;   in Loop: Header=BB348_10 Depth=1
	s_or_b32 exec_lo, exec_lo, s3
	global_load_ushort v1, v[7:8], off offset:896
	v_mov_b32_e32 v118, 0
	v_mov_b32_e32 v117, 0
	s_waitcnt vmcnt(0)
	v_and_b32_e32 v0, 0xffff, v1
	v_cmp_ne_u16_sdwa s2, v1, v2 src0_sel:BYTE_0 src1_sel:DWORD
	s_and_saveexec_b32 s3, s2
	s_cbranch_execz .LBB348_242
; %bb.235:                              ;   in Loop: Header=BB348_10 Depth=1
	v_cmp_ne_u16_sdwa s2, v0, v86 src0_sel:BYTE_0 src1_sel:DWORD
	v_bfrev_b32_e32 v117, 1
	s_and_saveexec_b32 s39, s2
	s_cbranch_execz .LBB348_241
; %bb.236:                              ;   in Loop: Header=BB348_10 Depth=1
	v_and_b32_e32 v12, 0x7f, v0
	v_mov_b32_e32 v117, 0x7f800001
	s_mov_b32 s40, exec_lo
	v_cmpx_ne_u32_e32 0x7f, v12
	s_cbranch_execz .LBB348_240
; %bb.237:                              ;   in Loop: Header=BB348_10 Depth=1
	v_and_b32_e32 v1, 7, v0
	v_lshrrev_b32_e32 v11, 3, v12
	s_mov_b32 s41, exec_lo
	v_cmpx_gt_u32_e32 8, v12
; %bb.238:                              ;   in Loop: Header=BB348_10 Depth=1
	v_ffbh_u32_e32 v11, v1
	v_min_u32_e32 v11, 32, v11
	v_subrev_nc_u32_e32 v12, 28, v11
	v_sub_nc_u32_e32 v11, 29, v11
	v_lshlrev_b64 v[12:13], v12, v[1:2]
	v_and_b32_e32 v1, 7, v12
; %bb.239:                              ;   in Loop: Header=BB348_10 Depth=1
	s_or_b32 exec_lo, exec_lo, s41
	v_lshlrev_b32_e32 v12, 24, v0
	v_lshlrev_b32_e32 v1, 20, v1
	v_lshl_add_u32 v11, v11, 23, 0x3c000000
	v_and_b32_e32 v12, 0x80000000, v12
	v_or3_b32 v117, v1, v12, v11
.LBB348_240:                            ;   in Loop: Header=BB348_10 Depth=1
	s_or_b32 exec_lo, exec_lo, s40
.LBB348_241:                            ;   in Loop: Header=BB348_10 Depth=1
	s_or_b32 exec_lo, exec_lo, s39
.LBB348_242:                            ;   in Loop: Header=BB348_10 Depth=1
	s_or_b32 exec_lo, exec_lo, s3
	v_cmp_ne_u16_sdwa s2, v0, v2 src0_sel:BYTE_1 src1_sel:DWORD
	s_and_saveexec_b32 s3, s2
	s_cbranch_execz .LBB348_250
; %bb.243:                              ;   in Loop: Header=BB348_10 Depth=1
	v_cmp_ne_u16_sdwa s2, v0, v86 src0_sel:BYTE_1 src1_sel:DWORD
	v_bfrev_b32_e32 v118, 1
	s_and_saveexec_b32 s39, s2
	s_cbranch_execz .LBB348_249
; %bb.244:                              ;   in Loop: Header=BB348_10 Depth=1
	v_and_b32_sdwa v1, v87, v0 dst_sel:DWORD dst_unused:UNUSED_PAD src0_sel:DWORD src1_sel:BYTE_1
	v_mov_b32_e32 v118, 0x7f800001
	s_mov_b32 s40, exec_lo
	v_and_b32_e32 v12, 0x7f, v1
	v_cmpx_ne_u32_e32 0x7f, v12
	s_cbranch_execz .LBB348_248
; %bb.245:                              ;   in Loop: Header=BB348_10 Depth=1
	v_and_b32_e32 v1, 7, v1
	v_lshrrev_b32_e32 v11, 3, v12
	s_mov_b32 s41, exec_lo
	v_cmpx_gt_u32_e32 8, v12
; %bb.246:                              ;   in Loop: Header=BB348_10 Depth=1
	v_ffbh_u32_e32 v11, v1
	v_min_u32_e32 v11, 32, v11
	v_subrev_nc_u32_e32 v12, 28, v11
	v_sub_nc_u32_e32 v11, 29, v11
	v_lshlrev_b64 v[12:13], v12, v[1:2]
	v_and_b32_e32 v1, 7, v12
; %bb.247:                              ;   in Loop: Header=BB348_10 Depth=1
	s_or_b32 exec_lo, exec_lo, s41
	v_lshlrev_b32_e32 v0, 16, v0
	v_lshlrev_b32_e32 v1, 20, v1
	v_lshl_add_u32 v11, v11, 23, 0x3c000000
	v_and_b32_e32 v0, 0x80000000, v0
	v_or3_b32 v118, v1, v0, v11
.LBB348_248:                            ;   in Loop: Header=BB348_10 Depth=1
	s_or_b32 exec_lo, exec_lo, s40
.LBB348_249:                            ;   in Loop: Header=BB348_10 Depth=1
	s_or_b32 exec_lo, exec_lo, s39
.LBB348_250:                            ;   in Loop: Header=BB348_10 Depth=1
	s_or_b32 exec_lo, exec_lo, s3
	global_load_ushort v1, v[7:8], off offset:904
	v_mov_b32_e32 v120, 0
	v_mov_b32_e32 v119, 0
	s_waitcnt vmcnt(0)
	v_and_b32_e32 v0, 0xffff, v1
	v_cmp_ne_u16_sdwa s2, v1, v2 src0_sel:BYTE_0 src1_sel:DWORD
	s_and_saveexec_b32 s3, s2
	s_cbranch_execz .LBB348_258
; %bb.251:                              ;   in Loop: Header=BB348_10 Depth=1
	v_cmp_ne_u16_sdwa s2, v0, v86 src0_sel:BYTE_0 src1_sel:DWORD
	v_bfrev_b32_e32 v119, 1
	s_and_saveexec_b32 s39, s2
	s_cbranch_execz .LBB348_257
; %bb.252:                              ;   in Loop: Header=BB348_10 Depth=1
	v_and_b32_e32 v12, 0x7f, v0
	v_mov_b32_e32 v119, 0x7f800001
	s_mov_b32 s40, exec_lo
	v_cmpx_ne_u32_e32 0x7f, v12
	s_cbranch_execz .LBB348_256
; %bb.253:                              ;   in Loop: Header=BB348_10 Depth=1
	v_and_b32_e32 v1, 7, v0
	v_lshrrev_b32_e32 v11, 3, v12
	s_mov_b32 s41, exec_lo
	v_cmpx_gt_u32_e32 8, v12
; %bb.254:                              ;   in Loop: Header=BB348_10 Depth=1
	v_ffbh_u32_e32 v11, v1
	v_min_u32_e32 v11, 32, v11
	v_subrev_nc_u32_e32 v12, 28, v11
	v_sub_nc_u32_e32 v11, 29, v11
	v_lshlrev_b64 v[12:13], v12, v[1:2]
	v_and_b32_e32 v1, 7, v12
; %bb.255:                              ;   in Loop: Header=BB348_10 Depth=1
	s_or_b32 exec_lo, exec_lo, s41
	v_lshlrev_b32_e32 v12, 24, v0
	v_lshlrev_b32_e32 v1, 20, v1
	v_lshl_add_u32 v11, v11, 23, 0x3c000000
	v_and_b32_e32 v12, 0x80000000, v12
	v_or3_b32 v119, v1, v12, v11
.LBB348_256:                            ;   in Loop: Header=BB348_10 Depth=1
	s_or_b32 exec_lo, exec_lo, s40
.LBB348_257:                            ;   in Loop: Header=BB348_10 Depth=1
	s_or_b32 exec_lo, exec_lo, s39
.LBB348_258:                            ;   in Loop: Header=BB348_10 Depth=1
	s_or_b32 exec_lo, exec_lo, s3
	v_cmp_ne_u16_sdwa s2, v0, v2 src0_sel:BYTE_1 src1_sel:DWORD
	s_and_saveexec_b32 s3, s2
	s_cbranch_execz .LBB348_266
; %bb.259:                              ;   in Loop: Header=BB348_10 Depth=1
	v_cmp_ne_u16_sdwa s2, v0, v86 src0_sel:BYTE_1 src1_sel:DWORD
	v_bfrev_b32_e32 v120, 1
	s_and_saveexec_b32 s39, s2
	s_cbranch_execz .LBB348_265
; %bb.260:                              ;   in Loop: Header=BB348_10 Depth=1
	v_and_b32_sdwa v1, v87, v0 dst_sel:DWORD dst_unused:UNUSED_PAD src0_sel:DWORD src1_sel:BYTE_1
	v_mov_b32_e32 v120, 0x7f800001
	s_mov_b32 s40, exec_lo
	v_and_b32_e32 v12, 0x7f, v1
	v_cmpx_ne_u32_e32 0x7f, v12
	s_cbranch_execz .LBB348_264
; %bb.261:                              ;   in Loop: Header=BB348_10 Depth=1
	v_and_b32_e32 v1, 7, v1
	v_lshrrev_b32_e32 v11, 3, v12
	s_mov_b32 s41, exec_lo
	v_cmpx_gt_u32_e32 8, v12
; %bb.262:                              ;   in Loop: Header=BB348_10 Depth=1
	v_ffbh_u32_e32 v11, v1
	v_min_u32_e32 v11, 32, v11
	v_subrev_nc_u32_e32 v12, 28, v11
	v_sub_nc_u32_e32 v11, 29, v11
	v_lshlrev_b64 v[12:13], v12, v[1:2]
	v_and_b32_e32 v1, 7, v12
; %bb.263:                              ;   in Loop: Header=BB348_10 Depth=1
	s_or_b32 exec_lo, exec_lo, s41
	v_lshlrev_b32_e32 v0, 16, v0
	v_lshlrev_b32_e32 v1, 20, v1
	v_lshl_add_u32 v11, v11, 23, 0x3c000000
	v_and_b32_e32 v0, 0x80000000, v0
	v_or3_b32 v120, v1, v0, v11
.LBB348_264:                            ;   in Loop: Header=BB348_10 Depth=1
	s_or_b32 exec_lo, exec_lo, s40
.LBB348_265:                            ;   in Loop: Header=BB348_10 Depth=1
	s_or_b32 exec_lo, exec_lo, s39
.LBB348_266:                            ;   in Loop: Header=BB348_10 Depth=1
	s_or_b32 exec_lo, exec_lo, s3
	global_load_ushort v1, v[7:8], off offset:1024
	v_mov_b32_e32 v122, 0
	v_mov_b32_e32 v121, 0
	s_waitcnt vmcnt(0)
	v_and_b32_e32 v0, 0xffff, v1
	v_cmp_ne_u16_sdwa s2, v1, v2 src0_sel:BYTE_0 src1_sel:DWORD
	s_and_saveexec_b32 s3, s2
	s_cbranch_execz .LBB348_274
; %bb.267:                              ;   in Loop: Header=BB348_10 Depth=1
	v_cmp_ne_u16_sdwa s2, v0, v86 src0_sel:BYTE_0 src1_sel:DWORD
	v_bfrev_b32_e32 v121, 1
	s_and_saveexec_b32 s39, s2
	s_cbranch_execz .LBB348_273
; %bb.268:                              ;   in Loop: Header=BB348_10 Depth=1
	v_and_b32_e32 v12, 0x7f, v0
	v_mov_b32_e32 v121, 0x7f800001
	s_mov_b32 s40, exec_lo
	v_cmpx_ne_u32_e32 0x7f, v12
	s_cbranch_execz .LBB348_272
; %bb.269:                              ;   in Loop: Header=BB348_10 Depth=1
	v_and_b32_e32 v1, 7, v0
	v_lshrrev_b32_e32 v11, 3, v12
	s_mov_b32 s41, exec_lo
	v_cmpx_gt_u32_e32 8, v12
; %bb.270:                              ;   in Loop: Header=BB348_10 Depth=1
	v_ffbh_u32_e32 v11, v1
	v_min_u32_e32 v11, 32, v11
	v_subrev_nc_u32_e32 v12, 28, v11
	v_sub_nc_u32_e32 v11, 29, v11
	v_lshlrev_b64 v[12:13], v12, v[1:2]
	v_and_b32_e32 v1, 7, v12
; %bb.271:                              ;   in Loop: Header=BB348_10 Depth=1
	s_or_b32 exec_lo, exec_lo, s41
	v_lshlrev_b32_e32 v12, 24, v0
	v_lshlrev_b32_e32 v1, 20, v1
	v_lshl_add_u32 v11, v11, 23, 0x3c000000
	v_and_b32_e32 v12, 0x80000000, v12
	v_or3_b32 v121, v1, v12, v11
.LBB348_272:                            ;   in Loop: Header=BB348_10 Depth=1
	s_or_b32 exec_lo, exec_lo, s40
.LBB348_273:                            ;   in Loop: Header=BB348_10 Depth=1
	s_or_b32 exec_lo, exec_lo, s39
.LBB348_274:                            ;   in Loop: Header=BB348_10 Depth=1
	s_or_b32 exec_lo, exec_lo, s3
	v_cmp_ne_u16_sdwa s2, v0, v2 src0_sel:BYTE_1 src1_sel:DWORD
	s_and_saveexec_b32 s3, s2
	s_cbranch_execz .LBB348_282
; %bb.275:                              ;   in Loop: Header=BB348_10 Depth=1
	v_cmp_ne_u16_sdwa s2, v0, v86 src0_sel:BYTE_1 src1_sel:DWORD
	v_bfrev_b32_e32 v122, 1
	s_and_saveexec_b32 s39, s2
	s_cbranch_execz .LBB348_281
; %bb.276:                              ;   in Loop: Header=BB348_10 Depth=1
	v_and_b32_sdwa v1, v87, v0 dst_sel:DWORD dst_unused:UNUSED_PAD src0_sel:DWORD src1_sel:BYTE_1
	v_mov_b32_e32 v122, 0x7f800001
	s_mov_b32 s40, exec_lo
	v_and_b32_e32 v12, 0x7f, v1
	v_cmpx_ne_u32_e32 0x7f, v12
	s_cbranch_execz .LBB348_280
; %bb.277:                              ;   in Loop: Header=BB348_10 Depth=1
	v_and_b32_e32 v1, 7, v1
	v_lshrrev_b32_e32 v11, 3, v12
	s_mov_b32 s41, exec_lo
	v_cmpx_gt_u32_e32 8, v12
; %bb.278:                              ;   in Loop: Header=BB348_10 Depth=1
	v_ffbh_u32_e32 v11, v1
	v_min_u32_e32 v11, 32, v11
	v_subrev_nc_u32_e32 v12, 28, v11
	v_sub_nc_u32_e32 v11, 29, v11
	v_lshlrev_b64 v[12:13], v12, v[1:2]
	v_and_b32_e32 v1, 7, v12
; %bb.279:                              ;   in Loop: Header=BB348_10 Depth=1
	s_or_b32 exec_lo, exec_lo, s41
	v_lshlrev_b32_e32 v0, 16, v0
	v_lshlrev_b32_e32 v1, 20, v1
	v_lshl_add_u32 v11, v11, 23, 0x3c000000
	v_and_b32_e32 v0, 0x80000000, v0
	v_or3_b32 v122, v1, v0, v11
.LBB348_280:                            ;   in Loop: Header=BB348_10 Depth=1
	s_or_b32 exec_lo, exec_lo, s40
.LBB348_281:                            ;   in Loop: Header=BB348_10 Depth=1
	s_or_b32 exec_lo, exec_lo, s39
.LBB348_282:                            ;   in Loop: Header=BB348_10 Depth=1
	s_or_b32 exec_lo, exec_lo, s3
	global_load_ushort v1, v[7:8], off offset:1032
	v_mov_b32_e32 v124, 0
	v_mov_b32_e32 v123, 0
	s_waitcnt vmcnt(0)
	v_and_b32_e32 v0, 0xffff, v1
	v_cmp_ne_u16_sdwa s2, v1, v2 src0_sel:BYTE_0 src1_sel:DWORD
	s_and_saveexec_b32 s3, s2
	s_cbranch_execz .LBB348_290
; %bb.283:                              ;   in Loop: Header=BB348_10 Depth=1
	v_cmp_ne_u16_sdwa s2, v0, v86 src0_sel:BYTE_0 src1_sel:DWORD
	v_bfrev_b32_e32 v123, 1
	s_and_saveexec_b32 s39, s2
	s_cbranch_execz .LBB348_289
; %bb.284:                              ;   in Loop: Header=BB348_10 Depth=1
	v_and_b32_e32 v12, 0x7f, v0
	v_mov_b32_e32 v123, 0x7f800001
	s_mov_b32 s40, exec_lo
	v_cmpx_ne_u32_e32 0x7f, v12
	s_cbranch_execz .LBB348_288
; %bb.285:                              ;   in Loop: Header=BB348_10 Depth=1
	v_and_b32_e32 v1, 7, v0
	v_lshrrev_b32_e32 v11, 3, v12
	s_mov_b32 s41, exec_lo
	v_cmpx_gt_u32_e32 8, v12
; %bb.286:                              ;   in Loop: Header=BB348_10 Depth=1
	v_ffbh_u32_e32 v11, v1
	v_min_u32_e32 v11, 32, v11
	v_subrev_nc_u32_e32 v12, 28, v11
	v_sub_nc_u32_e32 v11, 29, v11
	v_lshlrev_b64 v[12:13], v12, v[1:2]
	v_and_b32_e32 v1, 7, v12
; %bb.287:                              ;   in Loop: Header=BB348_10 Depth=1
	s_or_b32 exec_lo, exec_lo, s41
	v_lshlrev_b32_e32 v12, 24, v0
	v_lshlrev_b32_e32 v1, 20, v1
	v_lshl_add_u32 v11, v11, 23, 0x3c000000
	v_and_b32_e32 v12, 0x80000000, v12
	v_or3_b32 v123, v1, v12, v11
.LBB348_288:                            ;   in Loop: Header=BB348_10 Depth=1
	s_or_b32 exec_lo, exec_lo, s40
.LBB348_289:                            ;   in Loop: Header=BB348_10 Depth=1
	s_or_b32 exec_lo, exec_lo, s39
.LBB348_290:                            ;   in Loop: Header=BB348_10 Depth=1
	s_or_b32 exec_lo, exec_lo, s3
	v_cmp_ne_u16_sdwa s2, v0, v2 src0_sel:BYTE_1 src1_sel:DWORD
	s_and_saveexec_b32 s3, s2
	s_cbranch_execz .LBB348_298
; %bb.291:                              ;   in Loop: Header=BB348_10 Depth=1
	v_cmp_ne_u16_sdwa s2, v0, v86 src0_sel:BYTE_1 src1_sel:DWORD
	v_bfrev_b32_e32 v124, 1
	s_and_saveexec_b32 s39, s2
	s_cbranch_execz .LBB348_297
; %bb.292:                              ;   in Loop: Header=BB348_10 Depth=1
	v_and_b32_sdwa v1, v87, v0 dst_sel:DWORD dst_unused:UNUSED_PAD src0_sel:DWORD src1_sel:BYTE_1
	v_mov_b32_e32 v124, 0x7f800001
	s_mov_b32 s40, exec_lo
	v_and_b32_e32 v12, 0x7f, v1
	v_cmpx_ne_u32_e32 0x7f, v12
	s_cbranch_execz .LBB348_296
; %bb.293:                              ;   in Loop: Header=BB348_10 Depth=1
	v_and_b32_e32 v1, 7, v1
	v_lshrrev_b32_e32 v11, 3, v12
	s_mov_b32 s41, exec_lo
	v_cmpx_gt_u32_e32 8, v12
; %bb.294:                              ;   in Loop: Header=BB348_10 Depth=1
	v_ffbh_u32_e32 v11, v1
	v_min_u32_e32 v11, 32, v11
	v_subrev_nc_u32_e32 v12, 28, v11
	v_sub_nc_u32_e32 v11, 29, v11
	v_lshlrev_b64 v[12:13], v12, v[1:2]
	v_and_b32_e32 v1, 7, v12
; %bb.295:                              ;   in Loop: Header=BB348_10 Depth=1
	s_or_b32 exec_lo, exec_lo, s41
	v_lshlrev_b32_e32 v0, 16, v0
	v_lshlrev_b32_e32 v1, 20, v1
	v_lshl_add_u32 v11, v11, 23, 0x3c000000
	v_and_b32_e32 v0, 0x80000000, v0
	v_or3_b32 v124, v1, v0, v11
.LBB348_296:                            ;   in Loop: Header=BB348_10 Depth=1
	s_or_b32 exec_lo, exec_lo, s40
.LBB348_297:                            ;   in Loop: Header=BB348_10 Depth=1
	s_or_b32 exec_lo, exec_lo, s39
.LBB348_298:                            ;   in Loop: Header=BB348_10 Depth=1
	s_or_b32 exec_lo, exec_lo, s3
	global_load_ushort v1, v[7:8], off offset:1152
	v_mov_b32_e32 v126, 0
	v_mov_b32_e32 v125, 0
	s_waitcnt vmcnt(0)
	v_and_b32_e32 v0, 0xffff, v1
	v_cmp_ne_u16_sdwa s2, v1, v2 src0_sel:BYTE_0 src1_sel:DWORD
	s_and_saveexec_b32 s3, s2
	s_cbranch_execz .LBB348_306
; %bb.299:                              ;   in Loop: Header=BB348_10 Depth=1
	v_cmp_ne_u16_sdwa s2, v0, v86 src0_sel:BYTE_0 src1_sel:DWORD
	v_bfrev_b32_e32 v125, 1
	s_and_saveexec_b32 s39, s2
	s_cbranch_execz .LBB348_305
; %bb.300:                              ;   in Loop: Header=BB348_10 Depth=1
	v_and_b32_e32 v12, 0x7f, v0
	v_mov_b32_e32 v125, 0x7f800001
	s_mov_b32 s40, exec_lo
	v_cmpx_ne_u32_e32 0x7f, v12
	s_cbranch_execz .LBB348_304
; %bb.301:                              ;   in Loop: Header=BB348_10 Depth=1
	v_and_b32_e32 v1, 7, v0
	v_lshrrev_b32_e32 v11, 3, v12
	s_mov_b32 s41, exec_lo
	v_cmpx_gt_u32_e32 8, v12
; %bb.302:                              ;   in Loop: Header=BB348_10 Depth=1
	v_ffbh_u32_e32 v11, v1
	v_min_u32_e32 v11, 32, v11
	v_subrev_nc_u32_e32 v12, 28, v11
	v_sub_nc_u32_e32 v11, 29, v11
	v_lshlrev_b64 v[12:13], v12, v[1:2]
	v_and_b32_e32 v1, 7, v12
; %bb.303:                              ;   in Loop: Header=BB348_10 Depth=1
	s_or_b32 exec_lo, exec_lo, s41
	v_lshlrev_b32_e32 v12, 24, v0
	v_lshlrev_b32_e32 v1, 20, v1
	v_lshl_add_u32 v11, v11, 23, 0x3c000000
	v_and_b32_e32 v12, 0x80000000, v12
	v_or3_b32 v125, v1, v12, v11
.LBB348_304:                            ;   in Loop: Header=BB348_10 Depth=1
	s_or_b32 exec_lo, exec_lo, s40
.LBB348_305:                            ;   in Loop: Header=BB348_10 Depth=1
	s_or_b32 exec_lo, exec_lo, s39
.LBB348_306:                            ;   in Loop: Header=BB348_10 Depth=1
	s_or_b32 exec_lo, exec_lo, s3
	v_cmp_ne_u16_sdwa s2, v0, v2 src0_sel:BYTE_1 src1_sel:DWORD
	s_and_saveexec_b32 s3, s2
	s_cbranch_execz .LBB348_314
; %bb.307:                              ;   in Loop: Header=BB348_10 Depth=1
	v_cmp_ne_u16_sdwa s2, v0, v86 src0_sel:BYTE_1 src1_sel:DWORD
	v_bfrev_b32_e32 v126, 1
	s_and_saveexec_b32 s39, s2
	s_cbranch_execz .LBB348_313
; %bb.308:                              ;   in Loop: Header=BB348_10 Depth=1
	v_and_b32_sdwa v1, v87, v0 dst_sel:DWORD dst_unused:UNUSED_PAD src0_sel:DWORD src1_sel:BYTE_1
	v_mov_b32_e32 v126, 0x7f800001
	s_mov_b32 s40, exec_lo
	v_and_b32_e32 v12, 0x7f, v1
	v_cmpx_ne_u32_e32 0x7f, v12
	s_cbranch_execz .LBB348_312
; %bb.309:                              ;   in Loop: Header=BB348_10 Depth=1
	v_and_b32_e32 v1, 7, v1
	v_lshrrev_b32_e32 v11, 3, v12
	s_mov_b32 s41, exec_lo
	v_cmpx_gt_u32_e32 8, v12
; %bb.310:                              ;   in Loop: Header=BB348_10 Depth=1
	v_ffbh_u32_e32 v11, v1
	v_min_u32_e32 v11, 32, v11
	v_subrev_nc_u32_e32 v12, 28, v11
	v_sub_nc_u32_e32 v11, 29, v11
	v_lshlrev_b64 v[12:13], v12, v[1:2]
	v_and_b32_e32 v1, 7, v12
; %bb.311:                              ;   in Loop: Header=BB348_10 Depth=1
	s_or_b32 exec_lo, exec_lo, s41
	v_lshlrev_b32_e32 v0, 16, v0
	v_lshlrev_b32_e32 v1, 20, v1
	v_lshl_add_u32 v11, v11, 23, 0x3c000000
	v_and_b32_e32 v0, 0x80000000, v0
	v_or3_b32 v126, v1, v0, v11
.LBB348_312:                            ;   in Loop: Header=BB348_10 Depth=1
	s_or_b32 exec_lo, exec_lo, s40
.LBB348_313:                            ;   in Loop: Header=BB348_10 Depth=1
	s_or_b32 exec_lo, exec_lo, s39
.LBB348_314:                            ;   in Loop: Header=BB348_10 Depth=1
	s_or_b32 exec_lo, exec_lo, s3
	global_load_ushort v1, v[7:8], off offset:1160
	v_mov_b32_e32 v14, 0
	v_mov_b32_e32 v127, 0
	s_waitcnt vmcnt(0)
	v_and_b32_e32 v0, 0xffff, v1
	v_cmp_ne_u16_sdwa s2, v1, v2 src0_sel:BYTE_0 src1_sel:DWORD
	s_and_saveexec_b32 s3, s2
	s_cbranch_execz .LBB348_322
; %bb.315:                              ;   in Loop: Header=BB348_10 Depth=1
	v_cmp_ne_u16_sdwa s2, v0, v86 src0_sel:BYTE_0 src1_sel:DWORD
	v_bfrev_b32_e32 v127, 1
	s_and_saveexec_b32 s39, s2
	s_cbranch_execz .LBB348_321
; %bb.316:                              ;   in Loop: Header=BB348_10 Depth=1
	v_and_b32_e32 v12, 0x7f, v0
	v_mov_b32_e32 v127, 0x7f800001
	s_mov_b32 s40, exec_lo
	v_cmpx_ne_u32_e32 0x7f, v12
	s_cbranch_execz .LBB348_320
; %bb.317:                              ;   in Loop: Header=BB348_10 Depth=1
	v_and_b32_e32 v1, 7, v0
	v_lshrrev_b32_e32 v11, 3, v12
	s_mov_b32 s41, exec_lo
	v_cmpx_gt_u32_e32 8, v12
; %bb.318:                              ;   in Loop: Header=BB348_10 Depth=1
	v_ffbh_u32_e32 v11, v1
	v_min_u32_e32 v11, 32, v11
	v_subrev_nc_u32_e32 v12, 28, v11
	v_sub_nc_u32_e32 v11, 29, v11
	v_lshlrev_b64 v[12:13], v12, v[1:2]
	v_and_b32_e32 v1, 7, v12
; %bb.319:                              ;   in Loop: Header=BB348_10 Depth=1
	s_or_b32 exec_lo, exec_lo, s41
	v_lshlrev_b32_e32 v12, 24, v0
	v_lshlrev_b32_e32 v1, 20, v1
	v_lshl_add_u32 v11, v11, 23, 0x3c000000
	v_and_b32_e32 v12, 0x80000000, v12
	v_or3_b32 v127, v1, v12, v11
.LBB348_320:                            ;   in Loop: Header=BB348_10 Depth=1
	s_or_b32 exec_lo, exec_lo, s40
.LBB348_321:                            ;   in Loop: Header=BB348_10 Depth=1
	s_or_b32 exec_lo, exec_lo, s39
.LBB348_322:                            ;   in Loop: Header=BB348_10 Depth=1
	s_or_b32 exec_lo, exec_lo, s3
	v_cmp_ne_u16_sdwa s2, v0, v2 src0_sel:BYTE_1 src1_sel:DWORD
	s_and_saveexec_b32 s3, s2
	s_cbranch_execz .LBB348_330
; %bb.323:                              ;   in Loop: Header=BB348_10 Depth=1
	v_cmp_ne_u16_sdwa s2, v0, v86 src0_sel:BYTE_1 src1_sel:DWORD
	v_bfrev_b32_e32 v14, 1
	s_and_saveexec_b32 s39, s2
	s_cbranch_execz .LBB348_329
; %bb.324:                              ;   in Loop: Header=BB348_10 Depth=1
	v_and_b32_sdwa v1, v87, v0 dst_sel:DWORD dst_unused:UNUSED_PAD src0_sel:DWORD src1_sel:BYTE_1
	v_mov_b32_e32 v14, 0x7f800001
	s_mov_b32 s40, exec_lo
	v_and_b32_e32 v12, 0x7f, v1
	v_cmpx_ne_u32_e32 0x7f, v12
	s_cbranch_execz .LBB348_328
; %bb.325:                              ;   in Loop: Header=BB348_10 Depth=1
	v_and_b32_e32 v1, 7, v1
	v_lshrrev_b32_e32 v11, 3, v12
	s_mov_b32 s41, exec_lo
	v_cmpx_gt_u32_e32 8, v12
; %bb.326:                              ;   in Loop: Header=BB348_10 Depth=1
	v_ffbh_u32_e32 v11, v1
	v_min_u32_e32 v11, 32, v11
	v_subrev_nc_u32_e32 v12, 28, v11
	v_sub_nc_u32_e32 v11, 29, v11
	v_lshlrev_b64 v[12:13], v12, v[1:2]
	v_and_b32_e32 v1, 7, v12
; %bb.327:                              ;   in Loop: Header=BB348_10 Depth=1
	s_or_b32 exec_lo, exec_lo, s41
	v_lshlrev_b32_e32 v0, 16, v0
	v_lshlrev_b32_e32 v1, 20, v1
	v_lshl_add_u32 v11, v11, 23, 0x3c000000
	v_and_b32_e32 v0, 0x80000000, v0
	v_or3_b32 v14, v1, v0, v11
.LBB348_328:                            ;   in Loop: Header=BB348_10 Depth=1
	s_or_b32 exec_lo, exec_lo, s40
.LBB348_329:                            ;   in Loop: Header=BB348_10 Depth=1
	s_or_b32 exec_lo, exec_lo, s39
.LBB348_330:                            ;   in Loop: Header=BB348_10 Depth=1
	s_or_b32 exec_lo, exec_lo, s3
	global_load_ushort v1, v[7:8], off offset:1280
	v_mov_b32_e32 v47, 0
	v_mov_b32_e32 v22, 0
	s_waitcnt vmcnt(0)
	v_and_b32_e32 v0, 0xffff, v1
	v_cmp_ne_u16_sdwa s2, v1, v2 src0_sel:BYTE_0 src1_sel:DWORD
	s_and_saveexec_b32 s3, s2
	s_cbranch_execz .LBB348_338
; %bb.331:                              ;   in Loop: Header=BB348_10 Depth=1
	v_cmp_ne_u16_sdwa s2, v0, v86 src0_sel:BYTE_0 src1_sel:DWORD
	v_bfrev_b32_e32 v22, 1
	s_and_saveexec_b32 s39, s2
	s_cbranch_execz .LBB348_337
; %bb.332:                              ;   in Loop: Header=BB348_10 Depth=1
	v_and_b32_e32 v12, 0x7f, v0
	v_mov_b32_e32 v22, 0x7f800001
	s_mov_b32 s40, exec_lo
	v_cmpx_ne_u32_e32 0x7f, v12
	s_cbranch_execz .LBB348_336
; %bb.333:                              ;   in Loop: Header=BB348_10 Depth=1
	v_and_b32_e32 v1, 7, v0
	v_lshrrev_b32_e32 v11, 3, v12
	s_mov_b32 s41, exec_lo
	v_cmpx_gt_u32_e32 8, v12
; %bb.334:                              ;   in Loop: Header=BB348_10 Depth=1
	v_ffbh_u32_e32 v11, v1
	v_min_u32_e32 v11, 32, v11
	v_subrev_nc_u32_e32 v12, 28, v11
	v_sub_nc_u32_e32 v11, 29, v11
	v_lshlrev_b64 v[12:13], v12, v[1:2]
	v_and_b32_e32 v1, 7, v12
; %bb.335:                              ;   in Loop: Header=BB348_10 Depth=1
	s_or_b32 exec_lo, exec_lo, s41
	v_lshlrev_b32_e32 v12, 24, v0
	v_lshlrev_b32_e32 v1, 20, v1
	v_lshl_add_u32 v11, v11, 23, 0x3c000000
	v_and_b32_e32 v12, 0x80000000, v12
	v_or3_b32 v22, v1, v12, v11
.LBB348_336:                            ;   in Loop: Header=BB348_10 Depth=1
	s_or_b32 exec_lo, exec_lo, s40
.LBB348_337:                            ;   in Loop: Header=BB348_10 Depth=1
	s_or_b32 exec_lo, exec_lo, s39
.LBB348_338:                            ;   in Loop: Header=BB348_10 Depth=1
	s_or_b32 exec_lo, exec_lo, s3
	v_cmp_ne_u16_sdwa s2, v0, v2 src0_sel:BYTE_1 src1_sel:DWORD
	s_and_saveexec_b32 s3, s2
	s_cbranch_execz .LBB348_346
; %bb.339:                              ;   in Loop: Header=BB348_10 Depth=1
	v_cmp_ne_u16_sdwa s2, v0, v86 src0_sel:BYTE_1 src1_sel:DWORD
	v_bfrev_b32_e32 v47, 1
	s_and_saveexec_b32 s39, s2
	s_cbranch_execz .LBB348_345
; %bb.340:                              ;   in Loop: Header=BB348_10 Depth=1
	v_and_b32_sdwa v1, v87, v0 dst_sel:DWORD dst_unused:UNUSED_PAD src0_sel:DWORD src1_sel:BYTE_1
	v_mov_b32_e32 v47, 0x7f800001
	s_mov_b32 s40, exec_lo
	v_and_b32_e32 v12, 0x7f, v1
	v_cmpx_ne_u32_e32 0x7f, v12
	s_cbranch_execz .LBB348_344
; %bb.341:                              ;   in Loop: Header=BB348_10 Depth=1
	v_and_b32_e32 v1, 7, v1
	v_lshrrev_b32_e32 v11, 3, v12
	s_mov_b32 s41, exec_lo
	v_cmpx_gt_u32_e32 8, v12
; %bb.342:                              ;   in Loop: Header=BB348_10 Depth=1
	v_ffbh_u32_e32 v11, v1
	v_min_u32_e32 v11, 32, v11
	v_subrev_nc_u32_e32 v12, 28, v11
	v_sub_nc_u32_e32 v11, 29, v11
	v_lshlrev_b64 v[12:13], v12, v[1:2]
	v_and_b32_e32 v1, 7, v12
; %bb.343:                              ;   in Loop: Header=BB348_10 Depth=1
	s_or_b32 exec_lo, exec_lo, s41
	v_lshlrev_b32_e32 v0, 16, v0
	v_lshlrev_b32_e32 v1, 20, v1
	v_lshl_add_u32 v11, v11, 23, 0x3c000000
	v_and_b32_e32 v0, 0x80000000, v0
	v_or3_b32 v47, v1, v0, v11
.LBB348_344:                            ;   in Loop: Header=BB348_10 Depth=1
	s_or_b32 exec_lo, exec_lo, s40
.LBB348_345:                            ;   in Loop: Header=BB348_10 Depth=1
	s_or_b32 exec_lo, exec_lo, s39
.LBB348_346:                            ;   in Loop: Header=BB348_10 Depth=1
	s_or_b32 exec_lo, exec_lo, s3
	global_load_ushort v1, v[7:8], off offset:1288
	v_mov_b32_e32 v0, 0
	v_mov_b32_e32 v13, 0
	s_waitcnt vmcnt(0)
	v_and_b32_e32 v11, 0xffff, v1
	v_cmp_ne_u16_sdwa s2, v1, v2 src0_sel:BYTE_0 src1_sel:DWORD
	s_and_saveexec_b32 s3, s2
	s_cbranch_execz .LBB348_354
; %bb.347:                              ;   in Loop: Header=BB348_10 Depth=1
	v_cmp_ne_u16_sdwa s2, v11, v86 src0_sel:BYTE_0 src1_sel:DWORD
	v_bfrev_b32_e32 v13, 1
	s_and_saveexec_b32 s39, s2
	s_cbranch_execz .LBB348_353
; %bb.348:                              ;   in Loop: Header=BB348_10 Depth=1
	v_and_b32_e32 v15, 0x7f, v11
	v_mov_b32_e32 v13, 0x7f800001
	s_mov_b32 s40, exec_lo
	v_cmpx_ne_u32_e32 0x7f, v15
	s_cbranch_execz .LBB348_352
; %bb.349:                              ;   in Loop: Header=BB348_10 Depth=1
	v_and_b32_e32 v1, 7, v11
	v_lshrrev_b32_e32 v12, 3, v15
	s_mov_b32 s41, exec_lo
	v_cmpx_gt_u32_e32 8, v15
; %bb.350:                              ;   in Loop: Header=BB348_10 Depth=1
	v_ffbh_u32_e32 v12, v1
	v_min_u32_e32 v12, 32, v12
	v_subrev_nc_u32_e32 v13, 28, v12
	v_sub_nc_u32_e32 v12, 29, v12
	v_lshlrev_b64 v[15:16], v13, v[1:2]
	v_and_b32_e32 v1, 7, v15
; %bb.351:                              ;   in Loop: Header=BB348_10 Depth=1
	s_or_b32 exec_lo, exec_lo, s41
	v_lshlrev_b32_e32 v13, 24, v11
	v_lshlrev_b32_e32 v1, 20, v1
	v_lshl_add_u32 v12, v12, 23, 0x3c000000
	v_and_b32_e32 v13, 0x80000000, v13
	v_or3_b32 v13, v1, v13, v12
.LBB348_352:                            ;   in Loop: Header=BB348_10 Depth=1
	s_or_b32 exec_lo, exec_lo, s40
.LBB348_353:                            ;   in Loop: Header=BB348_10 Depth=1
	s_or_b32 exec_lo, exec_lo, s39
.LBB348_354:                            ;   in Loop: Header=BB348_10 Depth=1
	s_or_b32 exec_lo, exec_lo, s3
	v_cmp_ne_u16_sdwa s2, v11, v2 src0_sel:BYTE_1 src1_sel:DWORD
	s_and_saveexec_b32 s3, s2
	s_cbranch_execz .LBB348_362
; %bb.355:                              ;   in Loop: Header=BB348_10 Depth=1
	v_cmp_ne_u16_sdwa s2, v11, v86 src0_sel:BYTE_1 src1_sel:DWORD
	v_bfrev_b32_e32 v0, 1
	s_and_saveexec_b32 s39, s2
	s_cbranch_execz .LBB348_361
; %bb.356:                              ;   in Loop: Header=BB348_10 Depth=1
	v_and_b32_sdwa v1, v87, v11 dst_sel:DWORD dst_unused:UNUSED_PAD src0_sel:DWORD src1_sel:BYTE_1
	v_mov_b32_e32 v0, 0x7f800001
	s_mov_b32 s40, exec_lo
	v_and_b32_e32 v12, 0x7f, v1
	v_cmpx_ne_u32_e32 0x7f, v12
	s_cbranch_execz .LBB348_360
; %bb.357:                              ;   in Loop: Header=BB348_10 Depth=1
	v_and_b32_e32 v1, 7, v1
	v_lshrrev_b32_e32 v0, 3, v12
	s_mov_b32 s41, exec_lo
	v_cmpx_gt_u32_e32 8, v12
; %bb.358:                              ;   in Loop: Header=BB348_10 Depth=1
	v_ffbh_u32_e32 v0, v1
	v_min_u32_e32 v0, 32, v0
	v_subrev_nc_u32_e32 v12, 28, v0
	v_sub_nc_u32_e32 v0, 29, v0
	v_lshlrev_b64 v[15:16], v12, v[1:2]
	v_and_b32_e32 v1, 7, v15
; %bb.359:                              ;   in Loop: Header=BB348_10 Depth=1
	s_or_b32 exec_lo, exec_lo, s41
	v_lshlrev_b32_e32 v11, 16, v11
	v_lshlrev_b32_e32 v1, 20, v1
	v_lshl_add_u32 v0, v0, 23, 0x3c000000
	v_and_b32_e32 v11, 0x80000000, v11
	v_or3_b32 v0, v1, v11, v0
.LBB348_360:                            ;   in Loop: Header=BB348_10 Depth=1
	s_or_b32 exec_lo, exec_lo, s40
.LBB348_361:                            ;   in Loop: Header=BB348_10 Depth=1
	s_or_b32 exec_lo, exec_lo, s39
.LBB348_362:                            ;   in Loop: Header=BB348_10 Depth=1
	s_or_b32 exec_lo, exec_lo, s3
	global_load_ushort v1, v[7:8], off offset:1408
	v_mov_b32_e32 v16, 0
	v_mov_b32_e32 v15, 0
	s_waitcnt vmcnt(0)
	v_and_b32_e32 v11, 0xffff, v1
	v_cmp_ne_u16_sdwa s2, v1, v2 src0_sel:BYTE_0 src1_sel:DWORD
	s_and_saveexec_b32 s3, s2
	s_cbranch_execz .LBB348_370
; %bb.363:                              ;   in Loop: Header=BB348_10 Depth=1
	v_cmp_ne_u16_sdwa s2, v11, v86 src0_sel:BYTE_0 src1_sel:DWORD
	v_bfrev_b32_e32 v15, 1
	s_and_saveexec_b32 s39, s2
	s_cbranch_execz .LBB348_369
; %bb.364:                              ;   in Loop: Header=BB348_10 Depth=1
	v_and_b32_e32 v17, 0x7f, v11
	v_mov_b32_e32 v15, 0x7f800001
	s_mov_b32 s40, exec_lo
	v_cmpx_ne_u32_e32 0x7f, v17
	s_cbranch_execz .LBB348_368
; %bb.365:                              ;   in Loop: Header=BB348_10 Depth=1
	v_and_b32_e32 v1, 7, v11
	v_lshrrev_b32_e32 v12, 3, v17
	s_mov_b32 s41, exec_lo
	v_cmpx_gt_u32_e32 8, v17
; %bb.366:                              ;   in Loop: Header=BB348_10 Depth=1
	v_ffbh_u32_e32 v12, v1
	v_min_u32_e32 v12, 32, v12
	v_subrev_nc_u32_e32 v15, 28, v12
	v_sub_nc_u32_e32 v12, 29, v12
	v_lshlrev_b64 v[17:18], v15, v[1:2]
	v_and_b32_e32 v1, 7, v17
; %bb.367:                              ;   in Loop: Header=BB348_10 Depth=1
	s_or_b32 exec_lo, exec_lo, s41
	v_lshlrev_b32_e32 v15, 24, v11
	v_lshlrev_b32_e32 v1, 20, v1
	v_lshl_add_u32 v12, v12, 23, 0x3c000000
	v_and_b32_e32 v15, 0x80000000, v15
	v_or3_b32 v15, v1, v15, v12
.LBB348_368:                            ;   in Loop: Header=BB348_10 Depth=1
	s_or_b32 exec_lo, exec_lo, s40
.LBB348_369:                            ;   in Loop: Header=BB348_10 Depth=1
	s_or_b32 exec_lo, exec_lo, s39
.LBB348_370:                            ;   in Loop: Header=BB348_10 Depth=1
	s_or_b32 exec_lo, exec_lo, s3
	v_cmp_ne_u16_sdwa s2, v11, v2 src0_sel:BYTE_1 src1_sel:DWORD
	s_and_saveexec_b32 s3, s2
	s_cbranch_execz .LBB348_378
; %bb.371:                              ;   in Loop: Header=BB348_10 Depth=1
	v_cmp_ne_u16_sdwa s2, v11, v86 src0_sel:BYTE_1 src1_sel:DWORD
	v_bfrev_b32_e32 v16, 1
	s_and_saveexec_b32 s39, s2
	s_cbranch_execz .LBB348_377
; %bb.372:                              ;   in Loop: Header=BB348_10 Depth=1
	v_and_b32_sdwa v1, v87, v11 dst_sel:DWORD dst_unused:UNUSED_PAD src0_sel:DWORD src1_sel:BYTE_1
	v_mov_b32_e32 v16, 0x7f800001
	s_mov_b32 s40, exec_lo
	v_and_b32_e32 v17, 0x7f, v1
	v_cmpx_ne_u32_e32 0x7f, v17
	s_cbranch_execz .LBB348_376
; %bb.373:                              ;   in Loop: Header=BB348_10 Depth=1
	v_and_b32_e32 v1, 7, v1
	v_lshrrev_b32_e32 v12, 3, v17
	s_mov_b32 s41, exec_lo
	v_cmpx_gt_u32_e32 8, v17
; %bb.374:                              ;   in Loop: Header=BB348_10 Depth=1
	v_ffbh_u32_e32 v12, v1
	v_min_u32_e32 v12, 32, v12
	v_subrev_nc_u32_e32 v16, 28, v12
	v_sub_nc_u32_e32 v12, 29, v12
	v_lshlrev_b64 v[16:17], v16, v[1:2]
	v_and_b32_e32 v1, 7, v16
; %bb.375:                              ;   in Loop: Header=BB348_10 Depth=1
	s_or_b32 exec_lo, exec_lo, s41
	v_lshlrev_b32_e32 v11, 16, v11
	v_lshlrev_b32_e32 v1, 20, v1
	v_lshl_add_u32 v12, v12, 23, 0x3c000000
	v_and_b32_e32 v11, 0x80000000, v11
	v_or3_b32 v16, v1, v11, v12
.LBB348_376:                            ;   in Loop: Header=BB348_10 Depth=1
	s_or_b32 exec_lo, exec_lo, s40
.LBB348_377:                            ;   in Loop: Header=BB348_10 Depth=1
	s_or_b32 exec_lo, exec_lo, s39
.LBB348_378:                            ;   in Loop: Header=BB348_10 Depth=1
	s_or_b32 exec_lo, exec_lo, s3
	global_load_ushort v1, v[7:8], off offset:1416
	v_mov_b32_e32 v18, 0
	v_mov_b32_e32 v17, 0
	s_waitcnt vmcnt(0)
	v_and_b32_e32 v11, 0xffff, v1
	v_cmp_ne_u16_sdwa s2, v1, v2 src0_sel:BYTE_0 src1_sel:DWORD
	s_and_saveexec_b32 s3, s2
	s_cbranch_execz .LBB348_386
; %bb.379:                              ;   in Loop: Header=BB348_10 Depth=1
	v_cmp_ne_u16_sdwa s2, v11, v86 src0_sel:BYTE_0 src1_sel:DWORD
	v_bfrev_b32_e32 v17, 1
	s_and_saveexec_b32 s39, s2
	s_cbranch_execz .LBB348_385
; %bb.380:                              ;   in Loop: Header=BB348_10 Depth=1
	v_and_b32_e32 v19, 0x7f, v11
	v_mov_b32_e32 v17, 0x7f800001
	s_mov_b32 s40, exec_lo
	v_cmpx_ne_u32_e32 0x7f, v19
	s_cbranch_execz .LBB348_384
; %bb.381:                              ;   in Loop: Header=BB348_10 Depth=1
	v_and_b32_e32 v1, 7, v11
	v_lshrrev_b32_e32 v12, 3, v19
	s_mov_b32 s41, exec_lo
	v_cmpx_gt_u32_e32 8, v19
; %bb.382:                              ;   in Loop: Header=BB348_10 Depth=1
	v_ffbh_u32_e32 v12, v1
	v_min_u32_e32 v12, 32, v12
	v_subrev_nc_u32_e32 v17, 28, v12
	v_sub_nc_u32_e32 v12, 29, v12
	v_lshlrev_b64 v[19:20], v17, v[1:2]
	v_and_b32_e32 v1, 7, v19
; %bb.383:                              ;   in Loop: Header=BB348_10 Depth=1
	s_or_b32 exec_lo, exec_lo, s41
	v_lshlrev_b32_e32 v17, 24, v11
	v_lshlrev_b32_e32 v1, 20, v1
	v_lshl_add_u32 v12, v12, 23, 0x3c000000
	v_and_b32_e32 v17, 0x80000000, v17
	v_or3_b32 v17, v1, v17, v12
.LBB348_384:                            ;   in Loop: Header=BB348_10 Depth=1
	s_or_b32 exec_lo, exec_lo, s40
.LBB348_385:                            ;   in Loop: Header=BB348_10 Depth=1
	s_or_b32 exec_lo, exec_lo, s39
.LBB348_386:                            ;   in Loop: Header=BB348_10 Depth=1
	s_or_b32 exec_lo, exec_lo, s3
	v_cmp_ne_u16_sdwa s2, v11, v2 src0_sel:BYTE_1 src1_sel:DWORD
	s_and_saveexec_b32 s3, s2
	s_cbranch_execz .LBB348_394
; %bb.387:                              ;   in Loop: Header=BB348_10 Depth=1
	v_cmp_ne_u16_sdwa s2, v11, v86 src0_sel:BYTE_1 src1_sel:DWORD
	v_bfrev_b32_e32 v18, 1
	s_and_saveexec_b32 s39, s2
	s_cbranch_execz .LBB348_393
; %bb.388:                              ;   in Loop: Header=BB348_10 Depth=1
	v_and_b32_sdwa v1, v87, v11 dst_sel:DWORD dst_unused:UNUSED_PAD src0_sel:DWORD src1_sel:BYTE_1
	v_mov_b32_e32 v18, 0x7f800001
	s_mov_b32 s40, exec_lo
	v_and_b32_e32 v19, 0x7f, v1
	v_cmpx_ne_u32_e32 0x7f, v19
	s_cbranch_execz .LBB348_392
; %bb.389:                              ;   in Loop: Header=BB348_10 Depth=1
	v_and_b32_e32 v1, 7, v1
	v_lshrrev_b32_e32 v12, 3, v19
	s_mov_b32 s41, exec_lo
	v_cmpx_gt_u32_e32 8, v19
; %bb.390:                              ;   in Loop: Header=BB348_10 Depth=1
	v_ffbh_u32_e32 v12, v1
	v_min_u32_e32 v12, 32, v12
	v_subrev_nc_u32_e32 v18, 28, v12
	v_sub_nc_u32_e32 v12, 29, v12
	v_lshlrev_b64 v[18:19], v18, v[1:2]
	v_and_b32_e32 v1, 7, v18
; %bb.391:                              ;   in Loop: Header=BB348_10 Depth=1
	s_or_b32 exec_lo, exec_lo, s41
	v_lshlrev_b32_e32 v11, 16, v11
	v_lshlrev_b32_e32 v1, 20, v1
	v_lshl_add_u32 v12, v12, 23, 0x3c000000
	v_and_b32_e32 v11, 0x80000000, v11
	v_or3_b32 v18, v1, v11, v12
.LBB348_392:                            ;   in Loop: Header=BB348_10 Depth=1
	s_or_b32 exec_lo, exec_lo, s40
.LBB348_393:                            ;   in Loop: Header=BB348_10 Depth=1
	s_or_b32 exec_lo, exec_lo, s39
.LBB348_394:                            ;   in Loop: Header=BB348_10 Depth=1
	s_or_b32 exec_lo, exec_lo, s3
	global_load_ushort v1, v[7:8], off offset:1536
	v_mov_b32_e32 v20, 0
	v_mov_b32_e32 v19, 0
	s_waitcnt vmcnt(0)
	v_and_b32_e32 v11, 0xffff, v1
	v_cmp_ne_u16_sdwa s2, v1, v2 src0_sel:BYTE_0 src1_sel:DWORD
	s_and_saveexec_b32 s3, s2
	s_cbranch_execz .LBB348_402
; %bb.395:                              ;   in Loop: Header=BB348_10 Depth=1
	v_cmp_ne_u16_sdwa s2, v11, v86 src0_sel:BYTE_0 src1_sel:DWORD
	v_bfrev_b32_e32 v19, 1
	s_and_saveexec_b32 s39, s2
	s_cbranch_execz .LBB348_401
; %bb.396:                              ;   in Loop: Header=BB348_10 Depth=1
	v_and_b32_e32 v21, 0x7f, v11
	v_mov_b32_e32 v19, 0x7f800001
	s_mov_b32 s40, exec_lo
	v_cmpx_ne_u32_e32 0x7f, v21
	s_cbranch_execz .LBB348_400
; %bb.397:                              ;   in Loop: Header=BB348_10 Depth=1
	v_and_b32_e32 v1, 7, v11
	v_lshrrev_b32_e32 v12, 3, v21
	s_mov_b32 s41, exec_lo
	v_cmpx_gt_u32_e32 8, v21
; %bb.398:                              ;   in Loop: Header=BB348_10 Depth=1
	v_ffbh_u32_e32 v12, v1
	v_min_u32_e32 v12, 32, v12
	v_subrev_nc_u32_e32 v19, 28, v12
	v_sub_nc_u32_e32 v12, 29, v12
	v_lshlrev_b64 v[23:24], v19, v[1:2]
	v_and_b32_e32 v1, 7, v23
; %bb.399:                              ;   in Loop: Header=BB348_10 Depth=1
	s_or_b32 exec_lo, exec_lo, s41
	v_lshlrev_b32_e32 v19, 24, v11
	v_lshlrev_b32_e32 v1, 20, v1
	v_lshl_add_u32 v12, v12, 23, 0x3c000000
	v_and_b32_e32 v19, 0x80000000, v19
	v_or3_b32 v19, v1, v19, v12
.LBB348_400:                            ;   in Loop: Header=BB348_10 Depth=1
	s_or_b32 exec_lo, exec_lo, s40
.LBB348_401:                            ;   in Loop: Header=BB348_10 Depth=1
	s_or_b32 exec_lo, exec_lo, s39
.LBB348_402:                            ;   in Loop: Header=BB348_10 Depth=1
	s_or_b32 exec_lo, exec_lo, s3
	v_cmp_ne_u16_sdwa s2, v11, v2 src0_sel:BYTE_1 src1_sel:DWORD
	s_and_saveexec_b32 s3, s2
	s_cbranch_execz .LBB348_410
; %bb.403:                              ;   in Loop: Header=BB348_10 Depth=1
	v_cmp_ne_u16_sdwa s2, v11, v86 src0_sel:BYTE_1 src1_sel:DWORD
	v_bfrev_b32_e32 v20, 1
	s_and_saveexec_b32 s39, s2
	s_cbranch_execz .LBB348_409
; %bb.404:                              ;   in Loop: Header=BB348_10 Depth=1
	v_and_b32_sdwa v1, v87, v11 dst_sel:DWORD dst_unused:UNUSED_PAD src0_sel:DWORD src1_sel:BYTE_1
	v_mov_b32_e32 v20, 0x7f800001
	s_mov_b32 s40, exec_lo
	v_and_b32_e32 v21, 0x7f, v1
	v_cmpx_ne_u32_e32 0x7f, v21
	s_cbranch_execz .LBB348_408
; %bb.405:                              ;   in Loop: Header=BB348_10 Depth=1
	v_and_b32_e32 v1, 7, v1
	v_lshrrev_b32_e32 v12, 3, v21
	s_mov_b32 s41, exec_lo
	v_cmpx_gt_u32_e32 8, v21
; %bb.406:                              ;   in Loop: Header=BB348_10 Depth=1
	v_ffbh_u32_e32 v12, v1
	v_min_u32_e32 v12, 32, v12
	v_subrev_nc_u32_e32 v20, 28, v12
	v_sub_nc_u32_e32 v12, 29, v12
	v_lshlrev_b64 v[20:21], v20, v[1:2]
	v_and_b32_e32 v1, 7, v20
; %bb.407:                              ;   in Loop: Header=BB348_10 Depth=1
	s_or_b32 exec_lo, exec_lo, s41
	v_lshlrev_b32_e32 v11, 16, v11
	v_lshlrev_b32_e32 v1, 20, v1
	v_lshl_add_u32 v12, v12, 23, 0x3c000000
	v_and_b32_e32 v11, 0x80000000, v11
	v_or3_b32 v20, v1, v11, v12
.LBB348_408:                            ;   in Loop: Header=BB348_10 Depth=1
	s_or_b32 exec_lo, exec_lo, s40
.LBB348_409:                            ;   in Loop: Header=BB348_10 Depth=1
	s_or_b32 exec_lo, exec_lo, s39
.LBB348_410:                            ;   in Loop: Header=BB348_10 Depth=1
	s_or_b32 exec_lo, exec_lo, s3
	global_load_ushort v1, v[7:8], off offset:1544
	v_mov_b32_e32 v23, 0
	v_mov_b32_e32 v21, 0
	s_waitcnt vmcnt(0)
	v_and_b32_e32 v11, 0xffff, v1
	v_cmp_ne_u16_sdwa s2, v1, v2 src0_sel:BYTE_0 src1_sel:DWORD
	s_and_saveexec_b32 s3, s2
	s_cbranch_execz .LBB348_418
; %bb.411:                              ;   in Loop: Header=BB348_10 Depth=1
	v_cmp_ne_u16_sdwa s2, v11, v86 src0_sel:BYTE_0 src1_sel:DWORD
	v_bfrev_b32_e32 v21, 1
	s_and_saveexec_b32 s39, s2
	s_cbranch_execz .LBB348_417
; %bb.412:                              ;   in Loop: Header=BB348_10 Depth=1
	v_and_b32_e32 v24, 0x7f, v11
	v_mov_b32_e32 v21, 0x7f800001
	s_mov_b32 s40, exec_lo
	v_cmpx_ne_u32_e32 0x7f, v24
	s_cbranch_execz .LBB348_416
; %bb.413:                              ;   in Loop: Header=BB348_10 Depth=1
	v_and_b32_e32 v1, 7, v11
	v_lshrrev_b32_e32 v12, 3, v24
	s_mov_b32 s41, exec_lo
	v_cmpx_gt_u32_e32 8, v24
; %bb.414:                              ;   in Loop: Header=BB348_10 Depth=1
	v_ffbh_u32_e32 v12, v1
	v_min_u32_e32 v12, 32, v12
	v_subrev_nc_u32_e32 v21, 28, v12
	v_sub_nc_u32_e32 v12, 29, v12
	v_lshlrev_b64 v[24:25], v21, v[1:2]
	v_and_b32_e32 v1, 7, v24
; %bb.415:                              ;   in Loop: Header=BB348_10 Depth=1
	s_or_b32 exec_lo, exec_lo, s41
	v_lshlrev_b32_e32 v21, 24, v11
	v_lshlrev_b32_e32 v1, 20, v1
	v_lshl_add_u32 v12, v12, 23, 0x3c000000
	v_and_b32_e32 v21, 0x80000000, v21
	v_or3_b32 v21, v1, v21, v12
.LBB348_416:                            ;   in Loop: Header=BB348_10 Depth=1
	s_or_b32 exec_lo, exec_lo, s40
.LBB348_417:                            ;   in Loop: Header=BB348_10 Depth=1
	s_or_b32 exec_lo, exec_lo, s39
.LBB348_418:                            ;   in Loop: Header=BB348_10 Depth=1
	s_or_b32 exec_lo, exec_lo, s3
	v_cmp_ne_u16_sdwa s2, v11, v2 src0_sel:BYTE_1 src1_sel:DWORD
	s_and_saveexec_b32 s3, s2
	s_cbranch_execz .LBB348_426
; %bb.419:                              ;   in Loop: Header=BB348_10 Depth=1
	v_cmp_ne_u16_sdwa s2, v11, v86 src0_sel:BYTE_1 src1_sel:DWORD
	v_bfrev_b32_e32 v23, 1
	s_and_saveexec_b32 s39, s2
	s_cbranch_execz .LBB348_425
; %bb.420:                              ;   in Loop: Header=BB348_10 Depth=1
	v_and_b32_sdwa v1, v87, v11 dst_sel:DWORD dst_unused:UNUSED_PAD src0_sel:DWORD src1_sel:BYTE_1
	v_mov_b32_e32 v23, 0x7f800001
	s_mov_b32 s40, exec_lo
	v_and_b32_e32 v24, 0x7f, v1
	v_cmpx_ne_u32_e32 0x7f, v24
	s_cbranch_execz .LBB348_424
; %bb.421:                              ;   in Loop: Header=BB348_10 Depth=1
	v_and_b32_e32 v1, 7, v1
	v_lshrrev_b32_e32 v12, 3, v24
	s_mov_b32 s41, exec_lo
	v_cmpx_gt_u32_e32 8, v24
; %bb.422:                              ;   in Loop: Header=BB348_10 Depth=1
	v_ffbh_u32_e32 v12, v1
	v_min_u32_e32 v12, 32, v12
	v_subrev_nc_u32_e32 v23, 28, v12
	v_sub_nc_u32_e32 v12, 29, v12
	v_lshlrev_b64 v[23:24], v23, v[1:2]
	v_and_b32_e32 v1, 7, v23
; %bb.423:                              ;   in Loop: Header=BB348_10 Depth=1
	s_or_b32 exec_lo, exec_lo, s41
	v_lshlrev_b32_e32 v11, 16, v11
	v_lshlrev_b32_e32 v1, 20, v1
	v_lshl_add_u32 v12, v12, 23, 0x3c000000
	v_and_b32_e32 v11, 0x80000000, v11
	v_or3_b32 v23, v1, v11, v12
.LBB348_424:                            ;   in Loop: Header=BB348_10 Depth=1
	s_or_b32 exec_lo, exec_lo, s40
.LBB348_425:                            ;   in Loop: Header=BB348_10 Depth=1
	s_or_b32 exec_lo, exec_lo, s39
.LBB348_426:                            ;   in Loop: Header=BB348_10 Depth=1
	s_or_b32 exec_lo, exec_lo, s3
	global_load_ushort v1, v[7:8], off offset:1664
	v_mov_b32_e32 v25, 0
	v_mov_b32_e32 v24, 0
	s_waitcnt vmcnt(0)
	v_and_b32_e32 v11, 0xffff, v1
	v_cmp_ne_u16_sdwa s2, v1, v2 src0_sel:BYTE_0 src1_sel:DWORD
	s_and_saveexec_b32 s3, s2
	s_cbranch_execz .LBB348_434
; %bb.427:                              ;   in Loop: Header=BB348_10 Depth=1
	v_cmp_ne_u16_sdwa s2, v11, v86 src0_sel:BYTE_0 src1_sel:DWORD
	v_bfrev_b32_e32 v24, 1
	s_and_saveexec_b32 s39, s2
	s_cbranch_execz .LBB348_433
; %bb.428:                              ;   in Loop: Header=BB348_10 Depth=1
	v_and_b32_e32 v26, 0x7f, v11
	v_mov_b32_e32 v24, 0x7f800001
	s_mov_b32 s40, exec_lo
	v_cmpx_ne_u32_e32 0x7f, v26
	s_cbranch_execz .LBB348_432
; %bb.429:                              ;   in Loop: Header=BB348_10 Depth=1
	v_and_b32_e32 v1, 7, v11
	v_lshrrev_b32_e32 v12, 3, v26
	s_mov_b32 s41, exec_lo
	v_cmpx_gt_u32_e32 8, v26
; %bb.430:                              ;   in Loop: Header=BB348_10 Depth=1
	v_ffbh_u32_e32 v12, v1
	v_min_u32_e32 v12, 32, v12
	v_subrev_nc_u32_e32 v24, 28, v12
	v_sub_nc_u32_e32 v12, 29, v12
	v_lshlrev_b64 v[26:27], v24, v[1:2]
	v_and_b32_e32 v1, 7, v26
; %bb.431:                              ;   in Loop: Header=BB348_10 Depth=1
	s_or_b32 exec_lo, exec_lo, s41
	v_lshlrev_b32_e32 v24, 24, v11
	v_lshlrev_b32_e32 v1, 20, v1
	v_lshl_add_u32 v12, v12, 23, 0x3c000000
	v_and_b32_e32 v24, 0x80000000, v24
	v_or3_b32 v24, v1, v24, v12
.LBB348_432:                            ;   in Loop: Header=BB348_10 Depth=1
	s_or_b32 exec_lo, exec_lo, s40
.LBB348_433:                            ;   in Loop: Header=BB348_10 Depth=1
	s_or_b32 exec_lo, exec_lo, s39
.LBB348_434:                            ;   in Loop: Header=BB348_10 Depth=1
	s_or_b32 exec_lo, exec_lo, s3
	v_cmp_ne_u16_sdwa s2, v11, v2 src0_sel:BYTE_1 src1_sel:DWORD
	s_and_saveexec_b32 s3, s2
	s_cbranch_execz .LBB348_442
; %bb.435:                              ;   in Loop: Header=BB348_10 Depth=1
	v_cmp_ne_u16_sdwa s2, v11, v86 src0_sel:BYTE_1 src1_sel:DWORD
	v_bfrev_b32_e32 v25, 1
	s_and_saveexec_b32 s39, s2
	s_cbranch_execz .LBB348_441
; %bb.436:                              ;   in Loop: Header=BB348_10 Depth=1
	v_and_b32_sdwa v1, v87, v11 dst_sel:DWORD dst_unused:UNUSED_PAD src0_sel:DWORD src1_sel:BYTE_1
	v_mov_b32_e32 v25, 0x7f800001
	s_mov_b32 s40, exec_lo
	v_and_b32_e32 v26, 0x7f, v1
	v_cmpx_ne_u32_e32 0x7f, v26
	s_cbranch_execz .LBB348_440
; %bb.437:                              ;   in Loop: Header=BB348_10 Depth=1
	v_and_b32_e32 v1, 7, v1
	v_lshrrev_b32_e32 v12, 3, v26
	s_mov_b32 s41, exec_lo
	v_cmpx_gt_u32_e32 8, v26
; %bb.438:                              ;   in Loop: Header=BB348_10 Depth=1
	v_ffbh_u32_e32 v12, v1
	v_min_u32_e32 v12, 32, v12
	v_subrev_nc_u32_e32 v25, 28, v12
	v_sub_nc_u32_e32 v12, 29, v12
	v_lshlrev_b64 v[25:26], v25, v[1:2]
	v_and_b32_e32 v1, 7, v25
; %bb.439:                              ;   in Loop: Header=BB348_10 Depth=1
	s_or_b32 exec_lo, exec_lo, s41
	v_lshlrev_b32_e32 v11, 16, v11
	v_lshlrev_b32_e32 v1, 20, v1
	v_lshl_add_u32 v12, v12, 23, 0x3c000000
	v_and_b32_e32 v11, 0x80000000, v11
	v_or3_b32 v25, v1, v11, v12
.LBB348_440:                            ;   in Loop: Header=BB348_10 Depth=1
	s_or_b32 exec_lo, exec_lo, s40
.LBB348_441:                            ;   in Loop: Header=BB348_10 Depth=1
	s_or_b32 exec_lo, exec_lo, s39
.LBB348_442:                            ;   in Loop: Header=BB348_10 Depth=1
	s_or_b32 exec_lo, exec_lo, s3
	global_load_ushort v1, v[7:8], off offset:1672
	v_mov_b32_e32 v28, 0
	v_mov_b32_e32 v29, 0
	s_waitcnt vmcnt(0)
	v_and_b32_e32 v11, 0xffff, v1
	v_cmp_ne_u16_sdwa s2, v1, v2 src0_sel:BYTE_0 src1_sel:DWORD
	s_and_saveexec_b32 s3, s2
	s_cbranch_execz .LBB348_450
; %bb.443:                              ;   in Loop: Header=BB348_10 Depth=1
	v_cmp_ne_u16_sdwa s2, v11, v86 src0_sel:BYTE_0 src1_sel:DWORD
	v_bfrev_b32_e32 v29, 1
	s_and_saveexec_b32 s39, s2
	s_cbranch_execz .LBB348_449
; %bb.444:                              ;   in Loop: Header=BB348_10 Depth=1
	v_and_b32_e32 v26, 0x7f, v11
	v_mov_b32_e32 v29, 0x7f800001
	s_mov_b32 s40, exec_lo
	v_cmpx_ne_u32_e32 0x7f, v26
	s_cbranch_execz .LBB348_448
; %bb.445:                              ;   in Loop: Header=BB348_10 Depth=1
	v_and_b32_e32 v1, 7, v11
	v_lshrrev_b32_e32 v12, 3, v26
	s_mov_b32 s41, exec_lo
	v_cmpx_gt_u32_e32 8, v26
; %bb.446:                              ;   in Loop: Header=BB348_10 Depth=1
	v_ffbh_u32_e32 v12, v1
	v_min_u32_e32 v12, 32, v12
	v_subrev_nc_u32_e32 v26, 28, v12
	v_sub_nc_u32_e32 v12, 29, v12
	v_lshlrev_b64 v[26:27], v26, v[1:2]
	v_and_b32_e32 v1, 7, v26
; %bb.447:                              ;   in Loop: Header=BB348_10 Depth=1
	s_or_b32 exec_lo, exec_lo, s41
	v_lshlrev_b32_e32 v26, 24, v11
	v_lshlrev_b32_e32 v1, 20, v1
	v_lshl_add_u32 v12, v12, 23, 0x3c000000
	v_and_b32_e32 v26, 0x80000000, v26
	v_or3_b32 v29, v1, v26, v12
.LBB348_448:                            ;   in Loop: Header=BB348_10 Depth=1
	s_or_b32 exec_lo, exec_lo, s40
.LBB348_449:                            ;   in Loop: Header=BB348_10 Depth=1
	s_or_b32 exec_lo, exec_lo, s39
.LBB348_450:                            ;   in Loop: Header=BB348_10 Depth=1
	s_or_b32 exec_lo, exec_lo, s3
	v_cmp_ne_u16_sdwa s2, v11, v2 src0_sel:BYTE_1 src1_sel:DWORD
	s_and_saveexec_b32 s3, s2
	s_cbranch_execz .LBB348_458
; %bb.451:                              ;   in Loop: Header=BB348_10 Depth=1
	v_cmp_ne_u16_sdwa s2, v11, v86 src0_sel:BYTE_1 src1_sel:DWORD
	v_bfrev_b32_e32 v28, 1
	s_and_saveexec_b32 s39, s2
	s_cbranch_execz .LBB348_457
; %bb.452:                              ;   in Loop: Header=BB348_10 Depth=1
	v_and_b32_sdwa v1, v87, v11 dst_sel:DWORD dst_unused:UNUSED_PAD src0_sel:DWORD src1_sel:BYTE_1
	v_mov_b32_e32 v28, 0x7f800001
	s_mov_b32 s40, exec_lo
	v_and_b32_e32 v26, 0x7f, v1
	v_cmpx_ne_u32_e32 0x7f, v26
	s_cbranch_execz .LBB348_456
; %bb.453:                              ;   in Loop: Header=BB348_10 Depth=1
	v_and_b32_e32 v1, 7, v1
	v_lshrrev_b32_e32 v12, 3, v26
	s_mov_b32 s41, exec_lo
	v_cmpx_gt_u32_e32 8, v26
; %bb.454:                              ;   in Loop: Header=BB348_10 Depth=1
	v_ffbh_u32_e32 v12, v1
	v_min_u32_e32 v12, 32, v12
	v_subrev_nc_u32_e32 v26, 28, v12
	v_sub_nc_u32_e32 v12, 29, v12
	v_lshlrev_b64 v[26:27], v26, v[1:2]
	v_and_b32_e32 v1, 7, v26
; %bb.455:                              ;   in Loop: Header=BB348_10 Depth=1
	s_or_b32 exec_lo, exec_lo, s41
	v_lshlrev_b32_e32 v11, 16, v11
	v_lshlrev_b32_e32 v1, 20, v1
	v_lshl_add_u32 v12, v12, 23, 0x3c000000
	v_and_b32_e32 v11, 0x80000000, v11
	v_or3_b32 v28, v1, v11, v12
.LBB348_456:                            ;   in Loop: Header=BB348_10 Depth=1
	s_or_b32 exec_lo, exec_lo, s40
.LBB348_457:                            ;   in Loop: Header=BB348_10 Depth=1
	s_or_b32 exec_lo, exec_lo, s39
.LBB348_458:                            ;   in Loop: Header=BB348_10 Depth=1
	s_or_b32 exec_lo, exec_lo, s3
	global_load_ushort v1, v[7:8], off offset:1792
	v_mov_b32_e32 v26, 0
	v_mov_b32_e32 v27, 0
	s_waitcnt vmcnt(0)
	v_and_b32_e32 v11, 0xffff, v1
	v_cmp_ne_u16_sdwa s2, v1, v2 src0_sel:BYTE_0 src1_sel:DWORD
	s_and_saveexec_b32 s3, s2
	s_cbranch_execz .LBB348_466
; %bb.459:                              ;   in Loop: Header=BB348_10 Depth=1
	v_cmp_ne_u16_sdwa s2, v11, v86 src0_sel:BYTE_0 src1_sel:DWORD
	v_bfrev_b32_e32 v27, 1
	s_and_saveexec_b32 s39, s2
	s_cbranch_execz .LBB348_465
; %bb.460:                              ;   in Loop: Header=BB348_10 Depth=1
	v_and_b32_e32 v30, 0x7f, v11
	v_mov_b32_e32 v27, 0x7f800001
	s_mov_b32 s40, exec_lo
	v_cmpx_ne_u32_e32 0x7f, v30
	s_cbranch_execz .LBB348_464
; %bb.461:                              ;   in Loop: Header=BB348_10 Depth=1
	v_and_b32_e32 v1, 7, v11
	v_lshrrev_b32_e32 v12, 3, v30
	s_mov_b32 s41, exec_lo
	v_cmpx_gt_u32_e32 8, v30
; %bb.462:                              ;   in Loop: Header=BB348_10 Depth=1
	v_ffbh_u32_e32 v12, v1
	v_min_u32_e32 v12, 32, v12
	v_subrev_nc_u32_e32 v27, 28, v12
	v_sub_nc_u32_e32 v12, 29, v12
	v_lshlrev_b64 v[30:31], v27, v[1:2]
	v_and_b32_e32 v1, 7, v30
; %bb.463:                              ;   in Loop: Header=BB348_10 Depth=1
	s_or_b32 exec_lo, exec_lo, s41
	v_lshlrev_b32_e32 v27, 24, v11
	v_lshlrev_b32_e32 v1, 20, v1
	v_lshl_add_u32 v12, v12, 23, 0x3c000000
	v_and_b32_e32 v27, 0x80000000, v27
	v_or3_b32 v27, v1, v27, v12
.LBB348_464:                            ;   in Loop: Header=BB348_10 Depth=1
	s_or_b32 exec_lo, exec_lo, s40
.LBB348_465:                            ;   in Loop: Header=BB348_10 Depth=1
	s_or_b32 exec_lo, exec_lo, s39
.LBB348_466:                            ;   in Loop: Header=BB348_10 Depth=1
	s_or_b32 exec_lo, exec_lo, s3
	v_cmp_ne_u16_sdwa s2, v11, v2 src0_sel:BYTE_1 src1_sel:DWORD
	s_and_saveexec_b32 s3, s2
	s_cbranch_execz .LBB348_474
; %bb.467:                              ;   in Loop: Header=BB348_10 Depth=1
	v_cmp_ne_u16_sdwa s2, v11, v86 src0_sel:BYTE_1 src1_sel:DWORD
	v_bfrev_b32_e32 v26, 1
	s_and_saveexec_b32 s39, s2
	s_cbranch_execz .LBB348_473
; %bb.468:                              ;   in Loop: Header=BB348_10 Depth=1
	v_and_b32_sdwa v1, v87, v11 dst_sel:DWORD dst_unused:UNUSED_PAD src0_sel:DWORD src1_sel:BYTE_1
	v_mov_b32_e32 v26, 0x7f800001
	s_mov_b32 s40, exec_lo
	v_and_b32_e32 v30, 0x7f, v1
	v_cmpx_ne_u32_e32 0x7f, v30
	s_cbranch_execz .LBB348_472
; %bb.469:                              ;   in Loop: Header=BB348_10 Depth=1
	v_and_b32_e32 v1, 7, v1
	v_lshrrev_b32_e32 v12, 3, v30
	s_mov_b32 s41, exec_lo
	v_cmpx_gt_u32_e32 8, v30
; %bb.470:                              ;   in Loop: Header=BB348_10 Depth=1
	v_ffbh_u32_e32 v12, v1
	v_min_u32_e32 v12, 32, v12
	v_subrev_nc_u32_e32 v26, 28, v12
	v_sub_nc_u32_e32 v12, 29, v12
	v_lshlrev_b64 v[30:31], v26, v[1:2]
	v_and_b32_e32 v1, 7, v30
; %bb.471:                              ;   in Loop: Header=BB348_10 Depth=1
	s_or_b32 exec_lo, exec_lo, s41
	v_lshlrev_b32_e32 v11, 16, v11
	v_lshlrev_b32_e32 v1, 20, v1
	v_lshl_add_u32 v12, v12, 23, 0x3c000000
	v_and_b32_e32 v11, 0x80000000, v11
	v_or3_b32 v26, v1, v11, v12
.LBB348_472:                            ;   in Loop: Header=BB348_10 Depth=1
	s_or_b32 exec_lo, exec_lo, s40
.LBB348_473:                            ;   in Loop: Header=BB348_10 Depth=1
	s_or_b32 exec_lo, exec_lo, s39
.LBB348_474:                            ;   in Loop: Header=BB348_10 Depth=1
	s_or_b32 exec_lo, exec_lo, s3
	global_load_ushort v1, v[7:8], off offset:1800
	v_mov_b32_e32 v32, 0
	v_mov_b32_e32 v31, 0
	s_waitcnt vmcnt(0)
	v_and_b32_e32 v11, 0xffff, v1
	v_cmp_ne_u16_sdwa s2, v1, v2 src0_sel:BYTE_0 src1_sel:DWORD
	s_and_saveexec_b32 s3, s2
	s_cbranch_execz .LBB348_482
; %bb.475:                              ;   in Loop: Header=BB348_10 Depth=1
	v_cmp_ne_u16_sdwa s2, v11, v86 src0_sel:BYTE_0 src1_sel:DWORD
	v_bfrev_b32_e32 v31, 1
	s_and_saveexec_b32 s39, s2
	s_cbranch_execz .LBB348_481
; %bb.476:                              ;   in Loop: Header=BB348_10 Depth=1
	v_and_b32_e32 v30, 0x7f, v11
	v_mov_b32_e32 v31, 0x7f800001
	s_mov_b32 s40, exec_lo
	v_cmpx_ne_u32_e32 0x7f, v30
	s_cbranch_execz .LBB348_480
; %bb.477:                              ;   in Loop: Header=BB348_10 Depth=1
	v_and_b32_e32 v1, 7, v11
	v_lshrrev_b32_e32 v12, 3, v30
	s_mov_b32 s41, exec_lo
	v_cmpx_gt_u32_e32 8, v30
; %bb.478:                              ;   in Loop: Header=BB348_10 Depth=1
	v_ffbh_u32_e32 v12, v1
	v_min_u32_e32 v12, 32, v12
	v_subrev_nc_u32_e32 v30, 28, v12
	v_sub_nc_u32_e32 v12, 29, v12
	v_lshlrev_b64 v[30:31], v30, v[1:2]
	v_and_b32_e32 v1, 7, v30
; %bb.479:                              ;   in Loop: Header=BB348_10 Depth=1
	s_or_b32 exec_lo, exec_lo, s41
	v_lshlrev_b32_e32 v30, 24, v11
	v_lshlrev_b32_e32 v1, 20, v1
	v_lshl_add_u32 v12, v12, 23, 0x3c000000
	v_and_b32_e32 v30, 0x80000000, v30
	v_or3_b32 v31, v1, v30, v12
.LBB348_480:                            ;   in Loop: Header=BB348_10 Depth=1
	s_or_b32 exec_lo, exec_lo, s40
.LBB348_481:                            ;   in Loop: Header=BB348_10 Depth=1
	s_or_b32 exec_lo, exec_lo, s39
.LBB348_482:                            ;   in Loop: Header=BB348_10 Depth=1
	s_or_b32 exec_lo, exec_lo, s3
	v_cmp_ne_u16_sdwa s2, v11, v2 src0_sel:BYTE_1 src1_sel:DWORD
	s_and_saveexec_b32 s3, s2
	s_cbranch_execz .LBB348_490
; %bb.483:                              ;   in Loop: Header=BB348_10 Depth=1
	v_cmp_ne_u16_sdwa s2, v11, v86 src0_sel:BYTE_1 src1_sel:DWORD
	v_bfrev_b32_e32 v32, 1
	s_and_saveexec_b32 s39, s2
	s_cbranch_execz .LBB348_489
; %bb.484:                              ;   in Loop: Header=BB348_10 Depth=1
	v_and_b32_sdwa v1, v87, v11 dst_sel:DWORD dst_unused:UNUSED_PAD src0_sel:DWORD src1_sel:BYTE_1
	v_mov_b32_e32 v32, 0x7f800001
	s_mov_b32 s40, exec_lo
	v_and_b32_e32 v30, 0x7f, v1
	v_cmpx_ne_u32_e32 0x7f, v30
	s_cbranch_execz .LBB348_488
; %bb.485:                              ;   in Loop: Header=BB348_10 Depth=1
	v_and_b32_e32 v1, 7, v1
	v_lshrrev_b32_e32 v12, 3, v30
	s_mov_b32 s41, exec_lo
	v_cmpx_gt_u32_e32 8, v30
; %bb.486:                              ;   in Loop: Header=BB348_10 Depth=1
	v_ffbh_u32_e32 v12, v1
	v_min_u32_e32 v12, 32, v12
	v_subrev_nc_u32_e32 v30, 28, v12
	v_sub_nc_u32_e32 v12, 29, v12
	v_lshlrev_b64 v[32:33], v30, v[1:2]
	v_and_b32_e32 v1, 7, v32
; %bb.487:                              ;   in Loop: Header=BB348_10 Depth=1
	s_or_b32 exec_lo, exec_lo, s41
	v_lshlrev_b32_e32 v11, 16, v11
	v_lshlrev_b32_e32 v1, 20, v1
	v_lshl_add_u32 v12, v12, 23, 0x3c000000
	v_and_b32_e32 v11, 0x80000000, v11
	v_or3_b32 v32, v1, v11, v12
.LBB348_488:                            ;   in Loop: Header=BB348_10 Depth=1
	s_or_b32 exec_lo, exec_lo, s40
.LBB348_489:                            ;   in Loop: Header=BB348_10 Depth=1
	s_or_b32 exec_lo, exec_lo, s39
.LBB348_490:                            ;   in Loop: Header=BB348_10 Depth=1
	s_or_b32 exec_lo, exec_lo, s3
	global_load_ushort v1, v[7:8], off offset:1920
	v_mov_b32_e32 v11, 0
	v_mov_b32_e32 v33, 0
	s_waitcnt vmcnt(0)
	v_and_b32_e32 v30, 0xffff, v1
	v_cmp_ne_u16_sdwa s2, v1, v2 src0_sel:BYTE_0 src1_sel:DWORD
	s_and_saveexec_b32 s3, s2
	s_cbranch_execz .LBB348_498
; %bb.491:                              ;   in Loop: Header=BB348_10 Depth=1
	v_cmp_ne_u16_sdwa s2, v30, v86 src0_sel:BYTE_0 src1_sel:DWORD
	v_bfrev_b32_e32 v33, 1
	s_and_saveexec_b32 s39, s2
	s_cbranch_execz .LBB348_497
; %bb.492:                              ;   in Loop: Header=BB348_10 Depth=1
	v_and_b32_e32 v34, 0x7f, v30
	v_mov_b32_e32 v33, 0x7f800001
	s_mov_b32 s40, exec_lo
	v_cmpx_ne_u32_e32 0x7f, v34
	s_cbranch_execz .LBB348_496
; %bb.493:                              ;   in Loop: Header=BB348_10 Depth=1
	v_and_b32_e32 v1, 7, v30
	v_lshrrev_b32_e32 v12, 3, v34
	s_mov_b32 s41, exec_lo
	v_cmpx_gt_u32_e32 8, v34
; %bb.494:                              ;   in Loop: Header=BB348_10 Depth=1
	v_ffbh_u32_e32 v12, v1
	v_min_u32_e32 v12, 32, v12
	v_subrev_nc_u32_e32 v33, 28, v12
	v_sub_nc_u32_e32 v12, 29, v12
	v_lshlrev_b64 v[33:34], v33, v[1:2]
	v_and_b32_e32 v1, 7, v33
; %bb.495:                              ;   in Loop: Header=BB348_10 Depth=1
	s_or_b32 exec_lo, exec_lo, s41
	v_lshlrev_b32_e32 v33, 24, v30
	v_lshlrev_b32_e32 v1, 20, v1
	v_lshl_add_u32 v12, v12, 23, 0x3c000000
	v_and_b32_e32 v33, 0x80000000, v33
	v_or3_b32 v33, v1, v33, v12
.LBB348_496:                            ;   in Loop: Header=BB348_10 Depth=1
	s_or_b32 exec_lo, exec_lo, s40
.LBB348_497:                            ;   in Loop: Header=BB348_10 Depth=1
	s_or_b32 exec_lo, exec_lo, s39
.LBB348_498:                            ;   in Loop: Header=BB348_10 Depth=1
	s_or_b32 exec_lo, exec_lo, s3
	v_cmp_ne_u16_sdwa s2, v30, v2 src0_sel:BYTE_1 src1_sel:DWORD
	s_and_saveexec_b32 s3, s2
	s_cbranch_execz .LBB348_506
; %bb.499:                              ;   in Loop: Header=BB348_10 Depth=1
	v_cmp_ne_u16_sdwa s2, v30, v86 src0_sel:BYTE_1 src1_sel:DWORD
	v_bfrev_b32_e32 v11, 1
	s_and_saveexec_b32 s39, s2
	s_cbranch_execz .LBB348_505
; %bb.500:                              ;   in Loop: Header=BB348_10 Depth=1
	v_and_b32_sdwa v1, v87, v30 dst_sel:DWORD dst_unused:UNUSED_PAD src0_sel:DWORD src1_sel:BYTE_1
	v_mov_b32_e32 v11, 0x7f800001
	s_mov_b32 s40, exec_lo
	v_and_b32_e32 v12, 0x7f, v1
	v_cmpx_ne_u32_e32 0x7f, v12
	s_cbranch_execz .LBB348_504
; %bb.501:                              ;   in Loop: Header=BB348_10 Depth=1
	v_and_b32_e32 v1, 7, v1
	v_lshrrev_b32_e32 v34, 3, v12
	v_cmp_gt_u32_e64 s2, 8, v12
	v_mov_b32_e32 v12, v2
	v_mov_b32_e32 v11, v1
	s_and_saveexec_b32 s41, s2
; %bb.502:                              ;   in Loop: Header=BB348_10 Depth=1
	v_ffbh_u32_e32 v11, v1
	v_min_u32_e32 v34, 32, v11
	v_subrev_nc_u32_e32 v11, 28, v34
	v_sub_nc_u32_e32 v34, 29, v34
	v_lshlrev_b64 v[11:12], v11, v[1:2]
	v_and_b32_e32 v11, 7, v11
; %bb.503:                              ;   in Loop: Header=BB348_10 Depth=1
	s_or_b32 exec_lo, exec_lo, s41
	v_lshlrev_b32_e32 v1, 16, v30
	v_lshlrev_b32_e32 v11, 20, v11
	v_lshl_add_u32 v12, v34, 23, 0x3c000000
	v_and_b32_e32 v1, 0x80000000, v1
	v_or3_b32 v11, v11, v1, v12
.LBB348_504:                            ;   in Loop: Header=BB348_10 Depth=1
	s_or_b32 exec_lo, exec_lo, s40
.LBB348_505:                            ;   in Loop: Header=BB348_10 Depth=1
	s_or_b32 exec_lo, exec_lo, s39
.LBB348_506:                            ;   in Loop: Header=BB348_10 Depth=1
	s_or_b32 exec_lo, exec_lo, s3
	global_load_ushort v1, v[7:8], off offset:1928
	v_mov_b32_e32 v30, 0
	v_mov_b32_e32 v34, 0
	s_waitcnt vmcnt(0)
	v_and_b32_e32 v12, 0xffff, v1
	v_cmp_ne_u16_sdwa s2, v1, v2 src0_sel:BYTE_0 src1_sel:DWORD
	s_and_saveexec_b32 s3, s2
	s_cbranch_execz .LBB348_514
; %bb.507:                              ;   in Loop: Header=BB348_10 Depth=1
	v_cmp_ne_u16_sdwa s2, v12, v86 src0_sel:BYTE_0 src1_sel:DWORD
	v_bfrev_b32_e32 v34, 1
	s_and_saveexec_b32 s39, s2
	s_cbranch_execz .LBB348_513
; %bb.508:                              ;   in Loop: Header=BB348_10 Depth=1
	v_and_b32_e32 v7, 0x7f, v12
	v_mov_b32_e32 v34, 0x7f800001
	s_mov_b32 s40, exec_lo
	v_cmpx_ne_u32_e32 0x7f, v7
	s_cbranch_execz .LBB348_512
; %bb.509:                              ;   in Loop: Header=BB348_10 Depth=1
	v_and_b32_e32 v1, 7, v12
	v_lshrrev_b32_e32 v34, 3, v7
	v_cmp_gt_u32_e64 s2, 8, v7
	v_mov_b32_e32 v8, v2
	v_mov_b32_e32 v7, v1
	s_and_saveexec_b32 s41, s2
; %bb.510:                              ;   in Loop: Header=BB348_10 Depth=1
	v_ffbh_u32_e32 v7, v1
	v_min_u32_e32 v34, 32, v7
	v_subrev_nc_u32_e32 v7, 28, v34
	v_sub_nc_u32_e32 v34, 29, v34
	v_lshlrev_b64 v[7:8], v7, v[1:2]
	v_and_b32_e32 v7, 7, v7
; %bb.511:                              ;   in Loop: Header=BB348_10 Depth=1
	s_or_b32 exec_lo, exec_lo, s41
	v_lshlrev_b32_e32 v1, 24, v12
	v_lshlrev_b32_e32 v7, 20, v7
	v_lshl_add_u32 v8, v34, 23, 0x3c000000
	v_and_b32_e32 v1, 0x80000000, v1
	v_or3_b32 v34, v7, v1, v8
.LBB348_512:                            ;   in Loop: Header=BB348_10 Depth=1
	s_or_b32 exec_lo, exec_lo, s40
.LBB348_513:                            ;   in Loop: Header=BB348_10 Depth=1
	s_or_b32 exec_lo, exec_lo, s39
.LBB348_514:                            ;   in Loop: Header=BB348_10 Depth=1
	s_or_b32 exec_lo, exec_lo, s3
	v_cmp_ne_u16_sdwa s2, v12, v2 src0_sel:BYTE_1 src1_sel:DWORD
	s_and_saveexec_b32 s3, s2
	s_cbranch_execz .LBB348_522
; %bb.515:                              ;   in Loop: Header=BB348_10 Depth=1
	v_cmp_ne_u16_sdwa s2, v12, v86 src0_sel:BYTE_1 src1_sel:DWORD
	v_bfrev_b32_e32 v30, 1
	s_and_saveexec_b32 s39, s2
	s_cbranch_execz .LBB348_521
; %bb.516:                              ;   in Loop: Header=BB348_10 Depth=1
	v_and_b32_sdwa v1, v87, v12 dst_sel:DWORD dst_unused:UNUSED_PAD src0_sel:DWORD src1_sel:BYTE_1
	v_mov_b32_e32 v30, 0x7f800001
	s_mov_b32 s40, exec_lo
	v_and_b32_e32 v7, 0x7f, v1
	v_cmpx_ne_u32_e32 0x7f, v7
	s_cbranch_execz .LBB348_520
; %bb.517:                              ;   in Loop: Header=BB348_10 Depth=1
	v_and_b32_e32 v1, 7, v1
	v_lshrrev_b32_e32 v30, 3, v7
	v_cmp_gt_u32_e64 s2, 8, v7
	v_mov_b32_e32 v8, v2
	v_mov_b32_e32 v7, v1
	s_and_saveexec_b32 s41, s2
; %bb.518:                              ;   in Loop: Header=BB348_10 Depth=1
	v_ffbh_u32_e32 v7, v1
	v_min_u32_e32 v30, 32, v7
	v_subrev_nc_u32_e32 v7, 28, v30
	v_sub_nc_u32_e32 v30, 29, v30
	v_lshlrev_b64 v[7:8], v7, v[1:2]
	v_and_b32_e32 v7, 7, v7
; %bb.519:                              ;   in Loop: Header=BB348_10 Depth=1
	s_or_b32 exec_lo, exec_lo, s41
	v_lshlrev_b32_e32 v1, 16, v12
	v_lshlrev_b32_e32 v7, 20, v7
	v_lshl_add_u32 v8, v30, 23, 0x3c000000
	v_and_b32_e32 v1, 0x80000000, v1
	v_or3_b32 v30, v7, v1, v8
.LBB348_520:                            ;   in Loop: Header=BB348_10 Depth=1
	s_or_b32 exec_lo, exec_lo, s40
.LBB348_521:                            ;   in Loop: Header=BB348_10 Depth=1
	s_or_b32 exec_lo, exec_lo, s39
.LBB348_522:                            ;   in Loop: Header=BB348_10 Depth=1
	s_or_b32 exec_lo, exec_lo, s3
	s_waitcnt lgkmcnt(0)
	v_mul_f32_e32 v1, s5, v34
	v_mul_f32_e32 v26, s5, v26
	v_mul_f32_e32 v27, s5, v27
	v_mul_f32_e32 v28, s5, v28
	v_mul_f32_e32 v29, s5, v29
	v_bfe_u32 v7, v1, 16, 1
	v_or_b32_e32 v8, 0x400000, v1
	v_cmp_u_f32_e64 s2, v1, v1
	v_mul_f32_e32 v25, s5, v25
	v_mul_f32_e32 v24, s5, v24
	v_add3_u32 v7, v7, v1, 0x7fff
	v_mul_f32_e32 v23, s5, v23
	v_mul_f32_e32 v21, s5, v21
	v_mul_f32_e32 v20, s5, v20
	v_mul_f32_e32 v19, s5, v19
	v_cndmask_b32_e64 v1, v7, v8, s2
	v_mul_f32_e32 v7, s5, v11
	v_mul_f32_e32 v18, s5, v18
	v_mul_f32_e32 v17, s5, v17
	v_mul_f32_e32 v16, s5, v16
	v_mul_f32_e32 v15, s5, v15
	v_bfe_u32 v8, v7, 16, 1
	v_or_b32_e32 v11, 0x400000, v7
	v_cmp_u_f32_e64 s2, v7, v7
	v_mul_f32_e32 v0, s5, v0
	v_mul_f32_e32 v13, s5, v13
	v_add3_u32 v8, v8, v7, 0x7fff
	v_mul_f32_e32 v22, s5, v22
	v_mul_f32_e32 v14, s5, v14
	v_mul_f32_e32 v104, s5, v104
	v_mul_f32_e32 v103, s5, v103
	v_cndmask_b32_e64 v7, v8, v11, s2
	;; [unrolled: 16-line block ×3, first 2 shown]
	v_mul_f32_e32 v11, s5, v32
	v_mul_f32_e32 v92, s5, v92
	;; [unrolled: 1-line block ×5, first 2 shown]
	v_bfe_u32 v12, v11, 16, 1
	v_or_b32_e32 v32, 0x400000, v11
	v_cmp_u_f32_e64 s2, v11, v11
	v_mul_f32_e32 v30, s5, v30
	v_add3_u32 v12, v12, v11, 0x7fff
	v_cndmask_b32_e64 v11, v12, v32, s2
	v_mul_f32_e32 v12, s5, v31
	v_bfe_u32 v31, v12, 16, 1
	v_or_b32_e32 v32, 0x400000, v12
	v_cmp_u_f32_e64 s2, v12, v12
	v_add3_u32 v31, v31, v12, 0x7fff
	v_cndmask_b32_e64 v12, v31, v32, s2
	v_bfe_u32 v31, v26, 16, 1
	v_or_b32_e32 v32, 0x400000, v26
	v_cmp_u_f32_e64 s2, v26, v26
	v_add3_u32 v31, v31, v26, 0x7fff
	v_cndmask_b32_e64 v26, v31, v32, s2
	;; [unrolled: 5-line block ×16, first 2 shown]
	v_bfe_u32 v31, v13, 16, 1
	v_or_b32_e32 v32, 0x400000, v13
	v_cmp_u_f32_e64 s2, v13, v13
	v_and_b32_e32 v0, 0xffff0000, v0
	v_add3_u32 v31, v31, v13, 0x7fff
	v_cndmask_b32_e64 v13, v31, v32, s2
	v_mul_f32_e32 v31, s5, v47
	v_and_b32_e32 v13, 0xffff0000, v13
	v_bfe_u32 v32, v31, 16, 1
	v_or_b32_e32 v33, 0x400000, v31
	v_cmp_u_f32_e64 s2, v31, v31
	v_add3_u32 v32, v32, v31, 0x7fff
	v_bfe_u32 v31, v22, 16, 1
	v_cndmask_b32_e64 v47, v32, v33, s2
	v_add3_u32 v31, v31, v22, 0x7fff
	v_or_b32_e32 v32, 0x400000, v22
	v_cmp_u_f32_e64 s2, v22, v22
	v_cndmask_b32_e64 v22, v31, v32, s2
	v_bfe_u32 v31, v14, 16, 1
	v_or_b32_e32 v32, 0x400000, v14
	v_cmp_u_f32_e64 s2, v14, v14
	v_add3_u32 v31, v31, v14, 0x7fff
	v_cndmask_b32_e64 v14, v31, v32, s2
	v_mul_f32_e32 v31, s5, v127
	v_and_b32_e32 v14, 0xffff0000, v14
	v_bfe_u32 v32, v31, 16, 1
	v_or_b32_e32 v33, 0x400000, v31
	v_cmp_u_f32_e64 s2, v31, v31
	v_add3_u32 v32, v32, v31, 0x7fff
	v_mul_f32_e32 v31, s5, v126
	v_cndmask_b32_e64 v127, v32, v33, s2
	v_bfe_u32 v32, v31, 16, 1
	v_or_b32_e32 v33, 0x400000, v31
	v_cmp_u_f32_e64 s2, v31, v31
	v_add3_u32 v32, v32, v31, 0x7fff
	v_mul_f32_e32 v31, s5, v125
	v_cndmask_b32_e64 v126, v32, v33, s2
	;; [unrolled: 6-line block ×7, first 2 shown]
	v_bfe_u32 v32, v31, 16, 1
	v_or_b32_e32 v33, 0x400000, v31
	v_cmp_u_f32_e64 s2, v31, v31
	v_add3_u32 v32, v32, v31, 0x7fff
	v_cndmask_b32_e64 v31, v32, v33, s2
	v_mul_f32_e32 v32, s5, v119
	v_and_b32_e32 v31, 0xffff0000, v31
	v_bfe_u32 v33, v32, 16, 1
	v_or_b32_e32 v34, 0x400000, v32
	v_cmp_u_f32_e64 s2, v32, v32
	v_add3_u32 v33, v33, v32, 0x7fff
	v_cndmask_b32_e64 v32, v33, v34, s2
	v_mul_f32_e32 v33, s5, v118
	v_and_b32_e32 v32, 0xffff0000, v32
	v_bfe_u32 v34, v33, 16, 1
	v_or_b32_e32 v118, 0x400000, v33
	v_cmp_u_f32_e64 s2, v33, v33
	v_add3_u32 v34, v34, v33, 0x7fff
	v_mul_f32_e32 v33, s5, v117
	v_cndmask_b32_e64 v118, v34, v118, s2
	v_bfe_u32 v34, v33, 16, 1
	v_or_b32_e32 v117, 0x400000, v33
	v_cmp_u_f32_e64 s2, v33, v33
	v_add3_u32 v34, v34, v33, 0x7fff
	v_mul_f32_e32 v33, s5, v116
	v_cndmask_b32_e64 v117, v34, v117, s2
	;; [unrolled: 6-line block ×11, first 2 shown]
	v_bfe_u32 v34, v33, 16, 1
	v_or_b32_e32 v107, 0x400000, v33
	v_cmp_u_f32_e64 s2, v33, v33
	v_add3_u32 v34, v34, v33, 0x7fff
	v_cndmask_b32_e64 v33, v34, v107, s2
	v_mul_f32_e32 v34, s5, v106
	v_and_b32_e32 v33, 0xffff0000, v33
	v_bfe_u32 v106, v34, 16, 1
	v_or_b32_e32 v107, 0x400000, v34
	v_cmp_u_f32_e64 s2, v34, v34
	v_add3_u32 v106, v106, v34, 0x7fff
	v_mul_f32_e32 v34, s5, v105
	v_cndmask_b32_e64 v106, v106, v107, s2
	v_bfe_u32 v105, v34, 16, 1
	v_or_b32_e32 v107, 0x400000, v34
	v_cmp_u_f32_e64 s2, v34, v34
	v_add3_u32 v105, v105, v34, 0x7fff
	v_cndmask_b32_e64 v34, v105, v107, s2
	v_bfe_u32 v105, v104, 16, 1
	v_or_b32_e32 v107, 0x400000, v104
	v_cmp_u_f32_e64 s2, v104, v104
	v_and_b32_e32 v34, 0xffff0000, v34
	v_add3_u32 v105, v105, v104, 0x7fff
	v_cndmask_b32_e64 v104, v105, v107, s2
	v_bfe_u32 v105, v103, 16, 1
	v_or_b32_e32 v107, 0x400000, v103
	v_cmp_u_f32_e64 s2, v103, v103
	v_add3_u32 v105, v105, v103, 0x7fff
	v_cndmask_b32_e64 v103, v105, v107, s2
	v_bfe_u32 v105, v102, 16, 1
	v_or_b32_e32 v107, 0x400000, v102
	v_cmp_u_f32_e64 s2, v102, v102
	;; [unrolled: 5-line block ×14, first 2 shown]
	v_and_b32_e32 v91, 0xffff0000, v91
	v_add3_u32 v105, v105, v90, 0x7fff
	v_cndmask_b32_e64 v90, v105, v107, s2
	v_bfe_u32 v105, v89, 16, 1
	v_or_b32_e32 v107, 0x400000, v89
	v_cmp_u_f32_e64 s2, v89, v89
	v_add3_u32 v105, v105, v89, 0x7fff
	v_cndmask_b32_e64 v89, v105, v107, s2
	v_bfe_u32 v105, v30, 16, 1
	v_or_b32_e32 v107, 0x400000, v30
	v_cmp_u_f32_e64 s2, v30, v30
	v_add3_u32 v105, v105, v30, 0x7fff
	v_cndmask_b32_e64 v30, v105, v107, s2
	v_and_b32_e32 v105, 0xffff0000, v89
	buffer_load_dword v89, off, s[44:47], 0 offset:8 ; 4-byte Folded Reload
	s_waitcnt vmcnt(0)
	v_mul_f32_e32 v89, v89, v91
	buffer_load_dword v91, off, s[44:47], 0 ; 4-byte Folded Reload
	s_waitcnt vmcnt(0)
	v_fmac_f32_e32 v89, v91, v105
	v_and_b32_e32 v91, 0xffff0000, v92
	v_and_b32_e32 v92, 0xffff0000, v90
	buffer_load_dword v90, off, s[44:47], 0 offset:12 ; 4-byte Folded Reload
	s_waitcnt vmcnt(0)
	v_mul_f32_e32 v90, v90, v91
	buffer_load_dword v91, off, s[44:47], 0 offset:4 ; 4-byte Folded Reload
	s_waitcnt vmcnt(0)
	v_fmac_f32_e32 v90, v91, v92
	buffer_load_dword v92, off, s[44:47], 0 offset:16 ; 4-byte Folded Reload
	v_and_b32_e32 v91, 0xffff0000, v93
	s_waitcnt vmcnt(0)
	v_fmac_f32_e32 v89, v92, v91
	buffer_load_dword v92, off, s[44:47], 0 offset:20 ; 4-byte Folded Reload
	v_and_b32_e32 v91, 0xffff0000, v94
	;; [unrolled: 4-line block ×12, first 2 shown]
	s_waitcnt vmcnt(0)
	v_fmac_f32_e32 v90, v92, v91
	buffer_load_dword v91, off, s[44:47], 0 offset:64 ; 4-byte Folded Reload
	s_waitcnt vmcnt(0)
	v_fmac_f32_e32 v89, v91, v34
	buffer_load_dword v91, off, s[44:47], 0 offset:68 ; 4-byte Folded Reload
	v_and_b32_e32 v34, 0xffff0000, v106
	s_waitcnt vmcnt(0)
	v_fmac_f32_e32 v90, v91, v34
	buffer_load_dword v34, off, s[44:47], 0 offset:72 ; 4-byte Folded Reload
	s_waitcnt vmcnt(0)
	v_fmac_f32_e32 v89, v34, v33
	v_and_b32_e32 v33, 0xffff0000, v108
	v_fmac_f32_e32 v90, v35, v33
	v_and_b32_e32 v33, 0xffff0000, v109
	v_fmac_f32_e32 v89, v36, v33
	v_and_b32_e32 v33, 0xffff0000, v110
	v_fmac_f32_e32 v90, v37, v33
	v_and_b32_e32 v33, 0xffff0000, v111
	v_fmac_f32_e32 v89, v38, v33
	v_and_b32_e32 v33, 0xffff0000, v112
	v_fmac_f32_e32 v90, v39, v33
	v_and_b32_e32 v33, 0xffff0000, v113
	v_fmac_f32_e32 v89, v40, v33
	v_and_b32_e32 v33, 0xffff0000, v114
	v_fmac_f32_e32 v90, v41, v33
	v_and_b32_e32 v33, 0xffff0000, v115
	v_fmac_f32_e32 v89, v42, v33
	v_and_b32_e32 v33, 0xffff0000, v116
	v_fmac_f32_e32 v90, v43, v33
	v_and_b32_e32 v33, 0xffff0000, v117
	v_fmac_f32_e32 v89, v44, v33
	v_and_b32_e32 v33, 0xffff0000, v118
	v_fmac_f32_e32 v89, v46, v32
	v_fmac_f32_e32 v90, v45, v33
	;; [unrolled: 1-line block ×3, first 2 shown]
	v_and_b32_e32 v31, 0xffff0000, v121
	v_fmac_f32_e32 v89, v49, v31
	v_and_b32_e32 v31, 0xffff0000, v122
	v_fmac_f32_e32 v90, v50, v31
	;; [unrolled: 2-line block ×7, first 2 shown]
	v_fmac_f32_e32 v89, v55, v31
	v_and_b32_e32 v14, 0xffff0000, v22
	v_fmac_f32_e32 v89, v57, v14
	v_and_b32_e32 v14, 0xffff0000, v47
	v_fmac_f32_e32 v89, v59, v13
	v_fmac_f32_e32 v90, v58, v14
	;; [unrolled: 1-line block ×3, first 2 shown]
	v_and_b32_e32 v0, 0xffff0000, v15
	v_fmac_f32_e32 v89, v61, v0
	v_and_b32_e32 v0, 0xffff0000, v16
	v_fmac_f32_e32 v90, v62, v0
	;; [unrolled: 2-line block ×20, first 2 shown]
	v_add_f32_e32 v0, v89, v90
	ds_bpermute_b32 v1, v82, v0
	s_waitcnt lgkmcnt(0)
	v_add_f32_e32 v0, v0, v1
	ds_bpermute_b32 v1, v83, v0
	s_and_saveexec_b32 s3, vcc_lo
	s_cbranch_execz .LBB348_9
; %bb.523:                              ;   in Loop: Header=BB348_10 Depth=1
	v_add_nc_u32_e32 v7, s4, v84
	s_waitcnt lgkmcnt(0)
	v_add_f32_e32 v0, v0, v1
	v_cmp_gt_i32_e64 s2, s27, v84
	v_cvt_f32_i32_e32 v7, v7
	v_mul_f32_e32 v7, s36, v7
	v_cndmask_b32_e64 v1, 0, v7, s1
	v_max_f32_e32 v7, v81, v81
	v_fmac_f32_e32 v1, s37, v0
	v_max_f32_e32 v0, v7, v1
	v_cndmask_b32_e64 v1, 0, v1, s2
	v_cndmask_b32_e64 v81, v81, v0, s2
	ds_write_b32 v85, v1
	s_branch .LBB348_9
.LBB348_524:
	s_or_b32 exec_lo, exec_lo, s16
	s_clause 0x3
	buffer_load_dword v32, off, s[44:47], 0 offset:76
	buffer_load_dword v33, off, s[44:47], 0 offset:80
	;; [unrolled: 1-line block ×4, first 2 shown]
	v_mov_b32_e32 v12, 32
.LBB348_525:
	s_or_b32 exec_lo, exec_lo, s38
	s_waitcnt vmcnt(0)
	v_xor_b32_e32 v0, 16, v24
	v_xor_b32_e32 v3, 8, v24
	v_max_f32_e32 v4, v81, v81
	v_xor_b32_e32 v5, 4, v24
	v_and_b32_e32 v23, 31, v32
	v_cmp_lt_i32_e32 vcc_lo, v0, v12
	v_cndmask_b32_e32 v0, v24, v0, vcc_lo
	v_cmp_lt_i32_e32 vcc_lo, v3, v12
	s_waitcnt lgkmcnt(0)
	v_lshlrev_b32_e32 v1, 2, v0
	v_cndmask_b32_e32 v3, v24, v3, vcc_lo
	v_cmp_lt_i32_e32 vcc_lo, v5, v12
	ds_bpermute_b32 v0, v1, v81
	v_lshlrev_b32_e32 v3, 2, v3
	v_cndmask_b32_e32 v5, v24, v5, vcc_lo
	v_cmp_eq_u32_e32 vcc_lo, 0, v23
	v_lshlrev_b32_e32 v6, 2, v5
	s_waitcnt lgkmcnt(0)
	v_max_f32_e32 v0, v0, v0
	v_max_f32_e32 v0, v4, v0
	ds_bpermute_b32 v4, v3, v0
	s_waitcnt lgkmcnt(0)
	v_max_f32_e32 v4, v4, v4
	v_max_f32_e32 v0, v0, v4
	v_lshlrev_b32_e32 v4, 2, v33
	ds_bpermute_b32 v5, v6, v0
	s_and_saveexec_b32 s1, vcc_lo
	s_cbranch_execz .LBB348_527
; %bb.526:
	s_waitcnt lgkmcnt(0)
	v_max_f32_e32 v5, v5, v5
	v_max_f32_e32 v0, v0, v0
	;; [unrolled: 1-line block ×3, first 2 shown]
	ds_write_b32 v4, v0 offset:512
.LBB348_527:
	s_or_b32 exec_lo, exec_lo, s1
	v_cmp_gt_u32_e64 s1, 4, v23
	v_mov_b32_e32 v0, 0xff7fffff
	s_waitcnt lgkmcnt(0)
	v_lshlrev_b32_e32 v5, 2, v23
	s_waitcnt_vscnt null, 0x0
	s_barrier
	buffer_gl0_inv
	s_and_saveexec_b32 s2, s1
; %bb.528:
	ds_read_b32 v0, v5 offset:512
; %bb.529:
	s_or_b32 exec_lo, exec_lo, s2
	v_xor_b32_e32 v7, 2, v24
	v_xor_b32_e32 v11, 1, v24
	v_lshlrev_b32_e32 v2, 2, v2
	v_cmp_lt_i32_e64 s2, v7, v12
	v_cndmask_b32_e64 v7, v24, v7, s2
	v_cmp_lt_i32_e64 s2, v11, v12
	v_lshlrev_b32_e32 v7, 2, v7
	v_cndmask_b32_e64 v11, v24, v11, s2
	s_sub_i32 s2, s11, s15
	s_lshl_b32 s2, s2, 3
	s_waitcnt lgkmcnt(0)
	ds_bpermute_b32 v8, v7, v0
	v_max_f32_e32 v0, v0, v0
	s_add_i32 s2, s2, s33
	s_min_i32 s2, s2, s27
	s_sub_i32 s4, s2, s33
	v_cmp_gt_i32_e64 s2, s4, v32
	s_waitcnt lgkmcnt(0)
	v_max_f32_e32 v12, v8, v8
	v_lshlrev_b32_e32 v8, 2, v11
	v_max_f32_e32 v0, v0, v12
	ds_bpermute_b32 v11, v8, v0
	s_waitcnt lgkmcnt(0)
	v_max_f32_e32 v11, v11, v11
	v_max_f32_e32 v0, v0, v11
	v_mov_b32_e32 v11, 0
	ds_bpermute_b32 v0, v2, v0
	v_lshl_add_u32 v2, v32, 2, 0x220
	s_and_saveexec_b32 s5, s2
	s_cbranch_execz .LBB348_533
; %bb.530:
	v_lshl_add_u32 v12, v32, 2, 0x220
	v_mov_b32_e32 v11, 0
	v_mov_b32_e32 v13, v32
	s_mov_b32 s15, 0
	.p2align	6
.LBB348_531:                            ; =>This Inner Loop Header: Depth=1
	ds_read_b32 v14, v12
	v_add_nc_u32_e32 v13, 0x80, v13
	v_cmp_le_i32_e64 s3, s4, v13
	s_or_b32 s15, s3, s15
	s_waitcnt lgkmcnt(0)
	v_sub_f32_e32 v14, v14, v0
	v_mul_f32_e32 v14, 0x3fb8aa3b, v14
	v_exp_f32_e32 v14, v14
	ds_write_b32 v12, v14
	v_add_f32_e32 v11, v11, v14
	v_add_nc_u32_e32 v12, 0x200, v12
	s_andn2_b32 exec_lo, exec_lo, s15
	s_cbranch_execnz .LBB348_531
; %bb.532:
	s_or_b32 exec_lo, exec_lo, s15
.LBB348_533:
	s_or_b32 exec_lo, exec_lo, s5
	ds_bpermute_b32 v1, v1, v11
	s_waitcnt lgkmcnt(0)
	v_add_f32_e32 v1, v11, v1
	ds_bpermute_b32 v3, v3, v1
	s_waitcnt lgkmcnt(0)
	v_add_f32_e32 v1, v1, v3
	;; [unrolled: 3-line block ×5, first 2 shown]
	s_and_saveexec_b32 s3, vcc_lo
; %bb.534:
	ds_write_b32 v4, v1 offset:528
; %bb.535:
	s_or_b32 exec_lo, exec_lo, s3
	s_waitcnt lgkmcnt(0)
	s_barrier
	buffer_gl0_inv
	s_and_saveexec_b32 s3, s1
; %bb.536:
	ds_read_b32 v1, v5 offset:528
; %bb.537:
	s_or_b32 exec_lo, exec_lo, s3
	s_waitcnt lgkmcnt(0)
	ds_bpermute_b32 v3, v7, v1
	v_lshlrev_b32_e32 v4, 2, v24
	s_waitcnt lgkmcnt(0)
	v_add_f32_e32 v1, v1, v3
	ds_bpermute_b32 v3, v8, v1
	s_waitcnt lgkmcnt(0)
	v_add_f32_e32 v1, v1, v3
	v_and_b32_e32 v3, 0xffffff80, v4
	ds_bpermute_b32 v1, v3, v1
	s_and_saveexec_b32 s1, s2
	s_cbranch_execz .LBB348_540
; %bb.538:
	s_waitcnt lgkmcnt(0)
	v_add_f32_e32 v3, 0x358637bd, v1
	s_mov_b32 s2, 0
	v_div_scale_f32 v4, null, v3, v3, 1.0
	v_div_scale_f32 v7, vcc_lo, 1.0, v3, 1.0
	v_rcp_f32_e32 v5, v4
	v_fma_f32 v6, -v4, v5, 1.0
	v_fmac_f32_e32 v5, v6, v5
	v_mul_f32_e32 v6, v7, v5
	v_fma_f32 v8, -v4, v6, v7
	v_fmac_f32_e32 v6, v8, v5
	v_fma_f32 v4, -v4, v6, v7
	v_div_fmas_f32 v4, v4, v5, v6
	v_div_fixup_f32 v3, v4, v3, 1.0
	v_mov_b32_e32 v4, v32
.LBB348_539:                            ; =>This Inner Loop Header: Depth=1
	ds_read_b32 v5, v2
	v_add_nc_u32_e32 v4, 0x80, v4
	v_cmp_le_i32_e32 vcc_lo, s4, v4
	s_or_b32 s2, vcc_lo, s2
	s_waitcnt lgkmcnt(0)
	v_mul_f32_e32 v5, v3, v5
	ds_write_b32 v2, v5
	v_add_nc_u32_e32 v2, 0x200, v2
	s_andn2_b32 exec_lo, exec_lo, s2
	s_cbranch_execnz .LBB348_539
.LBB348_540:
	s_or_b32 exec_lo, exec_lo, s1
	s_mul_i32 s1, s7, s26
	s_waitcnt lgkmcnt(0)
	s_mul_i32 s2, s1, s9
	s_mov_b32 s1, exec_lo
	s_barrier
	buffer_gl0_inv
	v_cmpx_eq_u32_e32 0, v32
	s_cbranch_execz .LBB348_542
; %bb.541:
	s_ashr_i32 s3, s2, 31
	s_mul_i32 s16, s7, s6
	s_lshl_b64 s[4:5], s[2:3], 2
	v_mov_b32_e32 v2, 0
	s_add_u32 s3, s22, s4
	s_addc_u32 s6, s23, s5
	s_ashr_i32 s17, s16, 31
	s_lshl_b64 s[16:17], s[16:17], 2
	s_add_u32 s3, s3, s16
	s_addc_u32 s6, s6, s17
	s_ashr_i32 s9, s8, 31
	s_lshl_b64 s[22:23], s[8:9], 2
	s_add_u32 s36, s3, s22
	s_addc_u32 s37, s6, s23
	s_add_u32 s3, s20, s4
	s_addc_u32 s4, s21, s5
	;; [unrolled: 2-line block ×4, first 2 shown]
	global_store_dword v2, v0, s[36:37]
	global_store_dword v2, v1, s[4:5]
.LBB348_542:
	s_or_b32 exec_lo, exec_lo, s1
	v_mov_b32_e32 v31, 0
	v_mov_b32_e32 v30, 0
	v_mov_b32_e32 v29, 0
	v_mov_b32_e32 v28, 0
	v_mov_b32_e32 v27, 0
	v_mov_b32_e32 v26, 0
	v_mov_b32_e32 v25, 0
	v_mov_b32_e32 v24, 0
	s_and_saveexec_b32 s1, s0
	s_cbranch_execz .LBB348_1042
; %bb.543:
	s_load_dword s6, s[18:19], 0x0
	v_lshlrev_b32_e32 v0, 3, v23
	s_ashr_i32 s0, s14, 31
	s_add_u32 s4, s34, s14
	s_addc_u32 s0, s35, s0
	s_add_i32 s9, s12, -1
	v_add_co_u32 v12, s4, s4, v0
	v_lshlrev_b64 v[0:1], 2, v[9:10]
	v_add_co_ci_u32_e64 v13, null, s0, 0, s4
	s_lshl_b64 s[4:5], s[30:31], 2
	v_mov_b32_e32 v108, v32
	s_add_u32 s0, s28, s4
	s_addc_u32 s4, s29, s5
	v_add_co_u32 v14, vcc_lo, s0, v0
	v_mov_b32_e32 v11, 0
	v_add3_u32 v32, s33, v34, 7
	v_mov_b32_e32 v109, v33
	v_lshl_add_u32 v33, v33, 5, 0x220
	v_add_co_ci_u32_e64 v15, null, s4, v1, vcc_lo
	v_mov_b32_e32 v34, 0x80
	v_mov_b32_e32 v35, 0xffff
	;; [unrolled: 1-line block ×13, first 2 shown]
	s_mov_b32 s4, -1
	s_mov_b32 s3, s13
	s_mov_b32 s5, 0xffffff
	;; [unrolled: 1-line block ×3, first 2 shown]
	s_branch .LBB348_545
.LBB348_544:                            ;   in Loop: Header=BB348_545 Depth=1
	s_or_b32 exec_lo, exec_lo, s0
	v_bfe_u32 v47, v5, 16, 1
	v_bfe_u32 v53, v6, 16, 1
	v_or_b32_e32 v54, 0x400000, v5
	v_cmp_u_f32_e32 vcc_lo, v5, v5
	v_or_b32_e32 v55, 0x400000, v6
	v_add3_u32 v47, v47, v5, 0x7fff
	v_bfe_u32 v56, v7, 16, 1
	v_add3_u32 v53, v53, v6, 0x7fff
	v_bfe_u32 v57, v8, 16, 1
	v_lshlrev_b32_e32 v21, 16, v21
	v_cndmask_b32_e32 v5, v47, v54, vcc_lo
	v_cmp_u_f32_e32 vcc_lo, v6, v6
	v_add3_u32 v47, v56, v7, 0x7fff
	v_bfe_u32 v54, v1, 16, 1
	v_or_b32_e32 v56, 0x400000, v8
	v_and_b32_e32 v5, 0xffff0000, v5
	v_cndmask_b32_e32 v6, v53, v55, vcc_lo
	v_or_b32_e32 v53, 0x400000, v7
	v_cmp_u_f32_e32 vcc_lo, v7, v7
	v_add3_u32 v55, v57, v8, 0x7fff
	v_lshlrev_b32_e32 v89, 16, v89
	v_lshlrev_b32_e32 v22, 16, v22
	;; [unrolled: 1-line block ×3, first 2 shown]
	v_cndmask_b32_e32 v7, v47, v53, vcc_lo
	v_cmp_u_f32_e32 vcc_lo, v8, v8
	v_add3_u32 v47, v54, v1, 0x7fff
	v_or_b32_e32 v53, 0x400000, v1
	v_bfe_u32 v54, v2, 16, 1
	v_lshlrev_b32_e32 v86, 16, v86
	v_cndmask_b32_e32 v8, v55, v56, vcc_lo
	v_cmp_u_f32_e32 vcc_lo, v1, v1
	v_and_b32_e32 v1, 0xffff0000, v6
	v_lshlrev_b32_e32 v6, 16, v100
	v_add3_u32 v54, v54, v2, 0x7fff
	v_or_b32_e32 v55, 0x400000, v2
	v_cndmask_b32_e32 v47, v47, v53, vcc_lo
	v_bfe_u32 v53, v3, 16, 1
	v_cmp_u_f32_e32 vcc_lo, v2, v2
	v_or_b32_e32 v56, 0x400000, v3
	v_mul_f32_e32 v6, v1, v6
	v_lshlrev_b32_e32 v88, 16, v88
	v_add3_u32 v53, v53, v3, 0x7fff
	v_cndmask_b32_e32 v2, v54, v55, vcc_lo
	v_bfe_u32 v54, v4, 16, 1
	v_cmp_u_f32_e32 vcc_lo, v3, v3
	v_bfe_u32 v3, v6, 16, 1
	v_lshlrev_b32_e32 v55, 16, v99
	v_or_b32_e32 v58, 0x400000, v6
	v_add3_u32 v54, v54, v4, 0x7fff
	v_cndmask_b32_e32 v53, v53, v56, vcc_lo
	v_or_b32_e32 v56, 0x400000, v4
	v_cmp_u_f32_e32 vcc_lo, v4, v4
	v_add3_u32 v57, v3, v6, 0x7fff
	v_mul_f32_e32 v55, v5, v55
	v_and_b32_e32 v3, 0xffff0000, v8
	v_lshlrev_b32_e32 v8, 16, v97
	v_cndmask_b32_e32 v4, v54, v56, vcc_lo
	v_cmp_u_f32_e32 vcc_lo, v6, v6
	v_bfe_u32 v56, v55, 16, 1
	v_and_b32_e32 v6, 0xffff0000, v7
	v_lshlrev_b32_e32 v7, 16, v98
	v_and_b32_e32 v2, 0xffff0000, v2
	v_cndmask_b32_e32 v54, v57, v58, vcc_lo
	v_mul_f32_e32 v57, v3, v8
	v_lshlrev_b32_e32 v8, 16, v93
	v_add3_u32 v56, v56, v55, 0x7fff
	v_or_b32_e32 v58, 0x400000, v55
	v_mul_f32_e32 v7, v6, v7
	v_bfe_u32 v93, v57, 16, 1
	v_cmp_u_f32_e32 vcc_lo, v55, v55
	v_mul_f32_e32 v97, v2, v8
	v_and_b32_e32 v8, 0xffff0000, v47
	v_and_b32_e32 v4, 0xffff0000, v4
	;; [unrolled: 1-line block ×3, first 2 shown]
	v_cndmask_b32_e32 v55, v56, v58, vcc_lo
	v_add3_u32 v56, v93, v57, 0x7fff
	v_or_b32_e32 v58, 0x400000, v57
	v_bfe_u32 v93, v7, 16, 1
	v_cmp_u_f32_e32 vcc_lo, v57, v57
	v_bfe_u32 v98, v97, 16, 1
	v_or_b32_e32 v57, 0x400000, v7
	v_mul_f32_e32 v21, v8, v21
	v_and_b32_e32 v55, 0xffff0000, v55
	v_cndmask_b32_e32 v47, v56, v58, vcc_lo
	v_add3_u32 v56, v93, v7, 0x7fff
	v_cmp_u_f32_e32 vcc_lo, v7, v7
	v_add3_u32 v58, v98, v97, 0x7fff
	v_lshlrev_b32_e32 v93, 16, v96
	v_or_b32_e32 v96, 0x400000, v97
	v_bfe_u32 v98, v21, 16, 1
	v_cndmask_b32_e32 v56, v56, v57, vcc_lo
	v_cmp_u_f32_e32 vcc_lo, v97, v97
	v_mul_f32_e32 v57, v4, v93
	v_and_b32_e32 v7, 0xffff0000, v53
	v_add3_u32 v93, v98, v21, 0x7fff
	v_lshlrev_b32_e32 v53, 16, v95
	v_cndmask_b32_e32 v58, v58, v96, vcc_lo
	v_or_b32_e32 v96, 0x400000, v21
	v_cmp_u_f32_e32 vcc_lo, v21, v21
	v_bfe_u32 v97, v57, 16, 1
	v_and_b32_e32 v56, 0xffff0000, v56
	v_and_b32_e32 v47, 0xffff0000, v47
	v_or_b32_e32 v95, 0x400000, v57
	v_cndmask_b32_e32 v21, v93, v96, vcc_lo
	v_add3_u32 v93, v97, v57, 0x7fff
	v_mul_f32_e32 v53, v7, v53
	v_cmp_u_f32_e32 vcc_lo, v57, v57
	v_add_f32_e32 v54, v55, v54
	v_add_f32_e32 v47, v56, v47
	v_and_b32_e32 v21, 0xffff0000, v21
	v_lshlrev_b32_e32 v55, 16, v91
	v_and_b32_e32 v56, 0xffff0000, v58
	v_cndmask_b32_e32 v57, v93, v95, vcc_lo
	v_bfe_u32 v93, v53, 16, 1
	v_add_f32_e32 v47, v47, v54
	v_mul_f32_e32 v54, v1, v55
	v_add_f32_e32 v21, v21, v56
	v_lshlrev_b32_e32 v55, 16, v90
	v_add3_u32 v58, v93, v53, 0x7fff
	v_or_b32_e32 v91, 0x400000, v53
	v_cmp_u_f32_e32 vcc_lo, v53, v53
	v_bfe_u32 v56, v54, 16, 1
	v_add_f32_e32 v21, v21, v47
	v_mul_f32_e32 v47, v5, v55
	v_lshlrev_b32_e32 v55, 16, v87
	v_cndmask_b32_e32 v53, v58, v91, vcc_lo
	v_add3_u32 v56, v56, v54, 0x7fff
	v_or_b32_e32 v58, 0x400000, v54
	v_bfe_u32 v87, v47, 16, 1
	v_mul_f32_e32 v55, v3, v55
	v_cmp_u_f32_e32 vcc_lo, v54, v54
	v_mul_f32_e32 v89, v6, v89
	v_mul_f32_e32 v22, v2, v22
	;; [unrolled: 1-line block ×4, first 2 shown]
	v_cndmask_b32_e32 v54, v56, v58, vcc_lo
	v_add3_u32 v56, v87, v47, 0x7fff
	v_or_b32_e32 v58, 0x400000, v47
	v_bfe_u32 v87, v55, 16, 1
	v_cmp_u_f32_e32 vcc_lo, v47, v47
	v_mul_f32_e32 v88, v4, v88
	v_or_b32_e32 v90, 0x400000, v0
	v_bfe_u32 v93, v86, 16, 1
	v_and_b32_e32 v54, 0xffff0000, v54
	v_cndmask_b32_e32 v47, v56, v58, vcc_lo
	v_add3_u32 v56, v87, v55, 0x7fff
	v_or_b32_e32 v58, 0x400000, v55
	v_bfe_u32 v87, v89, 16, 1
	v_cmp_u_f32_e32 vcc_lo, v55, v55
	v_bfe_u32 v91, v88, 16, 1
	v_and_b32_e32 v47, 0xffff0000, v47
	v_and_b32_e32 v53, 0xffff0000, v53
	v_lshlrev_b32_e32 v72, 16, v72
	v_cndmask_b32_e32 v55, v56, v58, vcc_lo
	v_add3_u32 v56, v87, v89, 0x7fff
	v_or_b32_e32 v58, 0x400000, v89
	v_bfe_u32 v87, v22, 16, 1
	v_cmp_u_f32_e32 vcc_lo, v89, v89
	v_or_b32_e32 v89, 0x400000, v22
	v_and_b32_e32 v55, 0xffff0000, v55
	v_add_f32_e32 v47, v47, v54
	v_add3_u32 v87, v87, v22, 0x7fff
	v_cndmask_b32_e32 v56, v56, v58, vcc_lo
	v_bfe_u32 v58, v0, 16, 1
	v_cmp_u_f32_e32 vcc_lo, v22, v22
	v_lshlrev_b32_e32 v51, 16, v51
	v_lshlrev_b32_e32 v59, 16, v59
	v_and_b32_e32 v56, 0xffff0000, v56
	v_add3_u32 v58, v58, v0, 0x7fff
	v_cndmask_b32_e32 v22, v87, v89, vcc_lo
	v_cmp_u_f32_e32 vcc_lo, v0, v0
	v_add3_u32 v87, v93, v86, 0x7fff
	v_or_b32_e32 v89, 0x400000, v86
	v_add_f32_e32 v54, v56, v55
	v_and_b32_e32 v22, 0xffff0000, v22
	v_cndmask_b32_e32 v0, v58, v90, vcc_lo
	v_cmp_u_f32_e32 vcc_lo, v86, v86
	v_add3_u32 v58, v91, v88, 0x7fff
	v_or_b32_e32 v90, 0x400000, v88
	v_and_b32_e32 v56, 0xffff0000, v57
	v_and_b32_e32 v0, 0xffff0000, v0
	v_cndmask_b32_e32 v86, v87, v89, vcc_lo
	v_cmp_u_f32_e32 vcc_lo, v88, v88
	v_add_f32_e32 v47, v54, v47
	v_add_f32_e32 v53, v53, v56
	;; [unrolled: 1-line block ×3, first 2 shown]
	v_and_b32_e32 v22, 0xffff0000, v86
	v_cndmask_b32_e32 v55, v58, v90, vcc_lo
	v_lshlrev_b32_e32 v56, 16, v84
	v_add_f32_e32 v21, v53, v21
	v_add_f32_e32 v0, v0, v47
	v_lshlrev_b32_e32 v58, 16, v82
	v_and_b32_e32 v54, 0xffff0000, v55
	v_lshlrev_b32_e32 v55, 16, v85
	v_mul_f32_e32 v53, v5, v56
	v_add_f32_e32 v25, v25, v21
	v_lshlrev_b32_e32 v56, 16, v83
	v_add_f32_e32 v22, v22, v54
	v_mul_f32_e32 v47, v1, v55
	v_lshlrev_b32_e32 v54, 16, v81
	v_bfe_u32 v21, v53, 16, 1
	v_or_b32_e32 v55, 0x400000, v53
	v_add_f32_e32 v0, v22, v0
	v_bfe_u32 v22, v47, 16, 1
	v_mul_f32_e32 v54, v3, v54
	v_cmp_u_f32_e32 vcc_lo, v47, v47
	v_add3_u32 v21, v21, v53, 0x7fff
	v_add_f32_e32 v26, v26, v0
	v_add3_u32 v0, v22, v47, 0x7fff
	v_or_b32_e32 v22, 0x400000, v47
	v_mul_f32_e32 v47, v6, v56
	v_lshlrev_b32_e32 v56, 16, v79
	v_mul_f32_e32 v51, v3, v51
	v_lshlrev_b32_e32 v48, 16, v48
	v_cndmask_b32_e32 v0, v0, v22, vcc_lo
	v_bfe_u32 v22, v54, 16, 1
	v_cmp_u_f32_e32 vcc_lo, v53, v53
	v_lshlrev_b32_e32 v53, 16, v78
	v_bfe_u32 v57, v47, 16, 1
	v_and_b32_e32 v0, 0xffff0000, v0
	v_add3_u32 v22, v22, v54, 0x7fff
	v_cndmask_b32_e32 v21, v21, v55, vcc_lo
	v_or_b32_e32 v55, 0x400000, v54
	v_mul_f32_e32 v53, v2, v53
	v_cmp_u_f32_e32 vcc_lo, v54, v54
	v_mul_f32_e32 v54, v8, v56
	v_or_b32_e32 v56, 0x400000, v47
	v_and_b32_e32 v21, 0xffff0000, v21
	v_lshlrev_b32_e32 v49, 16, v49
	v_cndmask_b32_e32 v22, v22, v55, vcc_lo
	v_add3_u32 v55, v57, v47, 0x7fff
	v_bfe_u32 v57, v53, 16, 1
	v_bfe_u32 v78, v54, 16, 1
	v_cmp_u_f32_e32 vcc_lo, v47, v47
	v_or_b32_e32 v79, 0x400000, v54
	v_and_b32_e32 v22, 0xffff0000, v22
	v_add_f32_e32 v0, v21, v0
	v_mul_f32_e32 v48, v2, v48
	v_cndmask_b32_e32 v47, v55, v56, vcc_lo
	v_add3_u32 v55, v57, v53, 0x7fff
	v_mul_f32_e32 v56, v4, v58
	v_or_b32_e32 v57, 0x400000, v53
	v_add3_u32 v58, v78, v54, 0x7fff
	v_lshlrev_b32_e32 v78, 16, v80
	v_cmp_u_f32_e32 vcc_lo, v53, v53
	v_bfe_u32 v80, v56, 16, 1
	v_and_b32_e32 v47, 0xffff0000, v47
	v_mul_f32_e32 v49, v8, v49
	v_lshlrev_b32_e32 v52, 16, v52
	v_cndmask_b32_e32 v53, v55, v57, vcc_lo
	v_mul_f32_e32 v55, v7, v78
	v_cmp_u_f32_e32 vcc_lo, v54, v54
	v_add3_u32 v57, v80, v56, 0x7fff
	v_add_f32_e32 v21, v47, v22
	v_and_b32_e32 v47, 0xffff0000, v53
	v_bfe_u32 v78, v55, 16, 1
	v_cndmask_b32_e32 v54, v58, v79, vcc_lo
	v_or_b32_e32 v58, 0x400000, v56
	v_cmp_u_f32_e32 vcc_lo, v56, v56
	v_lshlrev_b32_e32 v53, 16, v77
	v_add_f32_e32 v0, v21, v0
	v_and_b32_e32 v22, 0xffff0000, v54
	v_lshlrev_b32_e32 v54, 16, v76
	v_cndmask_b32_e32 v56, v57, v58, vcc_lo
	v_add3_u32 v57, v78, v55, 0x7fff
	v_or_b32_e32 v58, 0x400000, v55
	v_cmp_u_f32_e32 vcc_lo, v55, v55
	v_mul_f32_e32 v21, v1, v53
	v_add_f32_e32 v22, v22, v47
	v_mul_f32_e32 v47, v5, v54
	v_and_b32_e32 v54, 0xffff0000, v56
	v_cndmask_b32_e32 v55, v57, v58, vcc_lo
	v_lshlrev_b32_e32 v56, 16, v73
	v_add_f32_e32 v0, v22, v0
	v_bfe_u32 v22, v47, 16, 1
	v_lshlrev_b32_e32 v58, 16, v75
	v_and_b32_e32 v53, 0xffff0000, v55
	v_bfe_u32 v55, v21, 16, 1
	v_mul_f32_e32 v56, v3, v56
	v_cmp_u_f32_e32 vcc_lo, v21, v21
	v_add3_u32 v22, v22, v47, 0x7fff
	v_add_f32_e32 v53, v53, v54
	v_add3_u32 v54, v55, v21, 0x7fff
	v_or_b32_e32 v55, 0x400000, v21
	v_or_b32_e32 v57, 0x400000, v47
	v_mul_f32_e32 v52, v4, v52
	v_add_f32_e32 v0, v53, v0
	v_lshlrev_b32_e32 v50, 16, v50
	v_cndmask_b32_e32 v21, v54, v55, vcc_lo
	v_bfe_u32 v54, v56, 16, 1
	v_cmp_u_f32_e32 vcc_lo, v47, v47
	v_mul_f32_e32 v47, v6, v58
	v_lshlrev_b32_e32 v55, 16, v70
	v_lshlrev_b32_e32 v58, 16, v71
	v_add3_u32 v54, v54, v56, 0x7fff
	v_cndmask_b32_e32 v22, v22, v57, vcc_lo
	v_or_b32_e32 v57, 0x400000, v56
	v_bfe_u32 v70, v47, 16, 1
	v_mul_f32_e32 v55, v2, v55
	v_cmp_u_f32_e32 vcc_lo, v56, v56
	v_mul_f32_e32 v56, v8, v58
	v_or_b32_e32 v58, 0x400000, v47
	v_lshlrev_b32_e32 v71, 16, v74
	v_and_b32_e32 v22, 0xffff0000, v22
	v_cndmask_b32_e32 v54, v54, v57, vcc_lo
	v_add3_u32 v57, v70, v47, 0x7fff
	v_bfe_u32 v70, v55, 16, 1
	v_cmp_u_f32_e32 vcc_lo, v47, v47
	v_bfe_u32 v73, v56, 16, 1
	v_and_b32_e32 v21, 0xffff0000, v21
	v_and_b32_e32 v54, 0xffff0000, v54
	v_add_f32_e32 v27, v27, v0
	v_cndmask_b32_e32 v47, v57, v58, vcc_lo
	v_add3_u32 v57, v70, v55, 0x7fff
	v_mul_f32_e32 v58, v4, v71
	v_or_b32_e32 v70, 0x400000, v55
	v_cmp_u_f32_e32 vcc_lo, v55, v55
	v_add3_u32 v71, v73, v56, 0x7fff
	v_or_b32_e32 v73, 0x400000, v56
	v_bfe_u32 v74, v58, 16, 1
	v_and_b32_e32 v47, 0xffff0000, v47
	v_cndmask_b32_e32 v55, v57, v70, vcc_lo
	v_mul_f32_e32 v57, v7, v72
	v_cmp_u_f32_e32 vcc_lo, v56, v56
	v_add3_u32 v70, v74, v58, 0x7fff
	v_add_f32_e32 v21, v22, v21
	v_add_f32_e32 v22, v47, v54
	v_bfe_u32 v72, v57, 16, 1
	v_cndmask_b32_e32 v56, v71, v73, vcc_lo
	v_or_b32_e32 v71, 0x400000, v58
	v_cmp_u_f32_e32 vcc_lo, v58, v58
	v_and_b32_e32 v54, 0xffff0000, v55
	v_add_f32_e32 v21, v22, v21
	v_and_b32_e32 v47, 0xffff0000, v56
	v_lshlrev_b32_e32 v22, 16, v69
	v_cndmask_b32_e32 v58, v70, v71, vcc_lo
	v_add3_u32 v70, v72, v57, 0x7fff
	v_or_b32_e32 v71, 0x400000, v57
	v_cmp_u_f32_e32 vcc_lo, v57, v57
	v_add_f32_e32 v47, v47, v54
	v_lshlrev_b32_e32 v54, 16, v68
	v_and_b32_e32 v56, 0xffff0000, v58
	v_mul_f32_e32 v22, v1, v22
	v_cndmask_b32_e32 v55, v70, v71, vcc_lo
	v_add_f32_e32 v21, v47, v21
	v_mul_f32_e32 v53, v5, v54
	v_lshlrev_b32_e32 v57, 16, v67
	v_bfe_u32 v54, v22, 16, 1
	v_and_b32_e32 v55, 0xffff0000, v55
	v_cmp_u_f32_e32 vcc_lo, v22, v22
	v_mul_f32_e32 v50, v7, v50
	v_lshlrev_b32_e32 v46, 16, v46
	v_lshlrev_b32_e32 v45, 16, v45
	v_add_f32_e32 v47, v55, v56
	v_bfe_u32 v55, v53, 16, 1
	v_lshlrev_b32_e32 v56, 16, v65
	v_mul_f32_e32 v46, v1, v46
	v_lshlrev_b32_e32 v42, 16, v42
	v_add_f32_e32 v0, v47, v21
	v_add3_u32 v21, v54, v22, 0x7fff
	v_or_b32_e32 v47, 0x400000, v22
	v_add3_u32 v54, v55, v53, 0x7fff
	v_mul_f32_e32 v55, v3, v56
	v_or_b32_e32 v56, 0x400000, v53
	v_mul_f32_e32 v45, v5, v45
	v_cndmask_b32_e32 v21, v21, v47, vcc_lo
	v_cmp_u_f32_e32 vcc_lo, v53, v53
	v_bfe_u32 v22, v55, 16, 1
	v_mul_f32_e32 v53, v6, v57
	v_lshlrev_b32_e32 v57, 16, v63
	v_and_b32_e32 v21, 0xffff0000, v21
	v_cndmask_b32_e32 v47, v54, v56, vcc_lo
	v_lshlrev_b32_e32 v54, 16, v62
	v_add3_u32 v22, v22, v55, 0x7fff
	v_or_b32_e32 v56, 0x400000, v55
	v_bfe_u32 v58, v53, 16, 1
	v_cmp_u_f32_e32 vcc_lo, v55, v55
	v_mul_f32_e32 v54, v2, v54
	v_mul_f32_e32 v55, v8, v57
	v_or_b32_e32 v57, 0x400000, v53
	v_lshlrev_b32_e32 v62, 16, v66
	v_cndmask_b32_e32 v22, v22, v56, vcc_lo
	v_add3_u32 v56, v58, v53, 0x7fff
	v_bfe_u32 v58, v54, 16, 1
	v_bfe_u32 v63, v55, 16, 1
	v_cmp_u_f32_e32 vcc_lo, v53, v53
	v_and_b32_e32 v47, 0xffff0000, v47
	v_and_b32_e32 v22, 0xffff0000, v22
	v_mul_f32_e32 v42, v3, v42
	v_lshlrev_b32_e32 v44, 16, v44
	v_cndmask_b32_e32 v53, v56, v57, vcc_lo
	v_add3_u32 v56, v58, v54, 0x7fff
	v_mul_f32_e32 v57, v4, v62
	v_or_b32_e32 v58, 0x400000, v54
	v_add3_u32 v62, v63, v55, 0x7fff
	v_lshlrev_b32_e32 v63, 16, v64
	v_cmp_u_f32_e32 vcc_lo, v54, v54
	v_or_b32_e32 v64, 0x400000, v55
	v_bfe_u32 v65, v57, 16, 1
	v_and_b32_e32 v53, 0xffff0000, v53
	v_add_f32_e32 v21, v47, v21
	v_cndmask_b32_e32 v54, v56, v58, vcc_lo
	v_mul_f32_e32 v56, v7, v63
	v_cmp_u_f32_e32 vcc_lo, v55, v55
	v_add3_u32 v58, v65, v57, 0x7fff
	v_add_f32_e32 v22, v53, v22
	v_and_b32_e32 v53, 0xffff0000, v54
	v_bfe_u32 v63, v56, 16, 1
	v_cndmask_b32_e32 v55, v62, v64, vcc_lo
	v_or_b32_e32 v62, 0x400000, v57
	v_cmp_u_f32_e32 vcc_lo, v57, v57
	v_lshlrev_b32_e32 v54, 16, v61
	v_add_f32_e32 v21, v22, v21
	v_and_b32_e32 v47, 0xffff0000, v55
	v_lshlrev_b32_e32 v40, 16, v40
	v_cndmask_b32_e32 v57, v58, v62, vcc_lo
	v_add3_u32 v58, v63, v56, 0x7fff
	v_or_b32_e32 v62, 0x400000, v56
	v_cmp_u_f32_e32 vcc_lo, v56, v56
	v_lshlrev_b32_e32 v56, 16, v60
	v_add_f32_e32 v22, v47, v53
	v_mul_f32_e32 v47, v1, v54
	v_mul_f32_e32 v44, v6, v44
	v_cndmask_b32_e32 v55, v58, v62, vcc_lo
	v_mul_f32_e32 v54, v5, v56
	v_add_f32_e32 v21, v22, v21
	v_bfe_u32 v56, v47, 16, 1
	v_cmp_u_f32_e32 vcc_lo, v47, v47
	v_and_b32_e32 v53, 0xffff0000, v55
	v_and_b32_e32 v55, 0xffff0000, v57
	v_bfe_u32 v57, v54, 16, 1
	v_bfe_u32 v58, v51, 16, 1
	v_mul_f32_e32 v40, v2, v40
	v_lshlrev_b32_e32 v39, 16, v39
	v_add_f32_e32 v22, v53, v55
	v_add3_u32 v53, v56, v47, 0x7fff
	v_or_b32_e32 v55, 0x400000, v47
	v_add3_u32 v56, v57, v54, 0x7fff
	v_or_b32_e32 v57, 0x400000, v54
	v_lshlrev_b32_e32 v43, 16, v43
	v_mul_f32_e32 v39, v8, v39
	v_cndmask_b32_e32 v47, v53, v55, vcc_lo
	v_cmp_u_f32_e32 vcc_lo, v54, v54
	v_mul_f32_e32 v54, v6, v59
	v_add3_u32 v55, v58, v51, 0x7fff
	v_bfe_u32 v58, v49, 16, 1
	v_bfe_u32 v59, v52, 16, 1
	v_cndmask_b32_e32 v53, v56, v57, vcc_lo
	v_or_b32_e32 v56, 0x400000, v51
	v_bfe_u32 v57, v54, 16, 1
	v_cmp_u_f32_e32 vcc_lo, v51, v51
	v_and_b32_e32 v47, 0xffff0000, v47
	v_and_b32_e32 v53, 0xffff0000, v53
	v_mul_f32_e32 v43, v4, v43
	v_lshlrev_b32_e32 v41, 16, v41
	v_cndmask_b32_e32 v51, v55, v56, vcc_lo
	v_add3_u32 v55, v57, v54, 0x7fff
	v_or_b32_e32 v56, 0x400000, v54
	v_bfe_u32 v57, v48, 16, 1
	v_cmp_u_f32_e32 vcc_lo, v54, v54
	v_and_b32_e32 v51, 0xffff0000, v51
	v_add_f32_e32 v47, v53, v47
	v_mul_f32_e32 v41, v7, v41
	v_lshlrev_b32_e32 v20, 16, v20
	v_cndmask_b32_e32 v54, v55, v56, vcc_lo
	v_add3_u32 v55, v57, v48, 0x7fff
	v_or_b32_e32 v56, 0x400000, v48
	v_cmp_u_f32_e32 vcc_lo, v48, v48
	v_add3_u32 v57, v58, v49, 0x7fff
	v_or_b32_e32 v58, 0x400000, v49
	v_and_b32_e32 v54, 0xffff0000, v54
	v_mul_f32_e32 v6, v6, v20
	v_cndmask_b32_e32 v48, v55, v56, vcc_lo
	v_cmp_u_f32_e32 vcc_lo, v49, v49
	v_add3_u32 v55, v59, v52, 0x7fff
	v_or_b32_e32 v56, 0x400000, v52
	v_add_f32_e32 v51, v54, v51
	v_and_b32_e32 v48, 0xffff0000, v48
	v_cndmask_b32_e32 v49, v57, v58, vcc_lo
	v_cmp_u_f32_e32 vcc_lo, v52, v52
	v_or_b32_e32 v54, 0x400000, v50
	v_add_f32_e32 v47, v51, v47
	v_lshlrev_b32_e32 v17, 16, v17
	v_and_b32_e32 v49, 0xffff0000, v49
	v_cndmask_b32_e32 v52, v55, v56, vcc_lo
	v_bfe_u32 v55, v50, 16, 1
	v_cmp_u_f32_e32 vcc_lo, v50, v50
	v_mul_f32_e32 v3, v3, v17
	v_add_f32_e32 v48, v49, v48
	v_and_b32_e32 v51, 0xffff0000, v52
	v_add3_u32 v53, v55, v50, 0x7fff
	v_bfe_u32 v50, v46, 16, 1
	v_bfe_u32 v52, v45, 16, 1
	v_add_f32_e32 v47, v48, v47
	v_lshlrev_b32_e32 v16, 16, v16
	v_cndmask_b32_e32 v49, v53, v54, vcc_lo
	v_cmp_u_f32_e32 vcc_lo, v46, v46
	v_or_b32_e32 v53, 0x400000, v42
	v_lshlrev_b32_e32 v10, 16, v10
	v_mul_f32_e32 v8, v8, v16
	v_and_b32_e32 v48, 0xffff0000, v49
	v_add3_u32 v49, v50, v46, 0x7fff
	v_or_b32_e32 v50, 0x400000, v46
	v_mul_f32_e32 v2, v2, v10
	v_lshlrev_b32_e32 v10, 16, v19
	v_lshlrev_b32_e32 v18, 16, v18
	v_add_nc_u32_e32 v9, 4, v9
	v_cndmask_b32_e32 v46, v49, v50, vcc_lo
	v_bfe_u32 v49, v42, 16, 1
	v_add3_u32 v50, v52, v45, 0x7fff
	v_or_b32_e32 v52, 0x400000, v45
	v_cmp_u_f32_e32 vcc_lo, v45, v45
	v_and_b32_e32 v46, 0xffff0000, v46
	v_add3_u32 v49, v49, v42, 0x7fff
	v_mul_f32_e32 v7, v7, v10
	v_mul_f32_e32 v4, v4, v18
	v_cndmask_b32_e32 v45, v50, v52, vcc_lo
	v_bfe_u32 v50, v44, 16, 1
	v_cmp_u_f32_e32 vcc_lo, v42, v42
	v_or_b32_e32 v52, 0x400000, v44
	v_or_b32_e32 v10, 0x400000, v8
	v_and_b32_e32 v45, 0xffff0000, v45
	v_add3_u32 v50, v50, v44, 0x7fff
	v_cndmask_b32_e32 v42, v49, v53, vcc_lo
	v_bfe_u32 v49, v40, 16, 1
	v_cmp_u_f32_e32 vcc_lo, v44, v44
	v_or_b32_e32 v53, 0x400000, v40
	v_add_f32_e32 v45, v45, v46
	v_and_b32_e32 v42, 0xffff0000, v42
	v_add3_u32 v49, v49, v40, 0x7fff
	v_cndmask_b32_e32 v44, v50, v52, vcc_lo
	v_bfe_u32 v50, v39, 16, 1
	v_cmp_u_f32_e32 vcc_lo, v40, v40
	v_bfe_u32 v52, v43, 16, 1
	v_or_b32_e32 v18, 0x400000, v2
	v_and_b32_e32 v44, 0xffff0000, v44
	v_bfe_u32 v19, v7, 16, 1
	v_cndmask_b32_e32 v40, v49, v53, vcc_lo
	v_add3_u32 v49, v50, v39, 0x7fff
	v_or_b32_e32 v50, 0x400000, v39
	v_cmp_u_f32_e32 vcc_lo, v39, v39
	v_add3_u32 v52, v52, v43, 0x7fff
	v_or_b32_e32 v53, 0x400000, v43
	v_add_f32_e32 v42, v44, v42
	v_lshlrev_b32_e32 v44, 16, v92
	v_cndmask_b32_e32 v39, v49, v50, vcc_lo
	v_cmp_u_f32_e32 vcc_lo, v43, v43
	v_bfe_u32 v49, v41, 16, 1
	v_or_b32_e32 v50, 0x400000, v41
	v_and_b32_e32 v40, 0xffff0000, v40
	v_and_b32_e32 v39, 0xffff0000, v39
	v_cndmask_b32_e32 v43, v52, v53, vcc_lo
	v_lshlrev_b32_e32 v52, 16, v94
	v_add3_u32 v49, v49, v41, 0x7fff
	v_cmp_u_f32_e32 vcc_lo, v41, v41
	v_add_f32_e32 v42, v42, v45
	v_mul_f32_e32 v1, v1, v44
	v_mul_f32_e32 v5, v5, v52
	v_add_f32_e32 v39, v39, v40
	v_cndmask_b32_e32 v41, v49, v50, vcc_lo
	v_add_f32_e32 v28, v28, v0
	v_add_co_u32 v14, s0, v14, 16
	v_bfe_u32 v45, v5, 16, 1
	v_and_b32_e32 v40, 0xffff0000, v41
	v_or_b32_e32 v44, 0x400000, v5
	v_cmp_u_f32_e32 vcc_lo, v5, v5
	v_add_nc_u32_e32 v32, 32, v32
	v_add3_u32 v41, v45, v5, 0x7fff
	v_bfe_u32 v45, v1, 16, 1
	v_add_nc_u32_e32 v33, 0x80, v33
	v_add_co_ci_u32_e64 v15, null, 0, v15, s0
	v_cndmask_b32_e32 v5, v41, v44, vcc_lo
	v_add3_u32 v20, v45, v1, 0x7fff
	v_or_b32_e32 v41, 0x400000, v1
	v_bfe_u32 v44, v6, 16, 1
	v_cmp_u_f32_e32 vcc_lo, v1, v1
	v_and_b32_e32 v5, 0xffff0000, v5
	v_add3_u32 v17, v44, v6, 0x7fff
	v_cndmask_b32_e32 v1, v20, v41, vcc_lo
	v_or_b32_e32 v20, 0x400000, v6
	v_bfe_u32 v41, v3, 16, 1
	v_cmp_u_f32_e32 vcc_lo, v6, v6
	v_and_b32_e32 v1, 0xffff0000, v1
	v_add3_u32 v16, v41, v3, 0x7fff
	v_cndmask_b32_e32 v6, v17, v20, vcc_lo
	v_or_b32_e32 v17, 0x400000, v3
	v_bfe_u32 v20, v8, 16, 1
	v_cmp_u_f32_e32 vcc_lo, v3, v3
	v_add_f32_e32 v1, v5, v1
	v_and_b32_e32 v6, 0xffff0000, v6
	v_cndmask_b32_e32 v3, v16, v17, vcc_lo
	v_bfe_u32 v16, v2, 16, 1
	v_add3_u32 v17, v20, v8, 0x7fff
	v_cmp_u_f32_e32 vcc_lo, v8, v8
	v_bfe_u32 v20, v4, 16, 1
	v_and_b32_e32 v3, 0xffff0000, v3
	v_add3_u32 v16, v16, v2, 0x7fff
	v_cndmask_b32_e32 v8, v17, v10, vcc_lo
	v_cmp_u_f32_e32 vcc_lo, v2, v2
	v_or_b32_e32 v17, 0x400000, v4
	v_add3_u32 v10, v19, v7, 0x7fff
	v_add_f32_e32 v3, v6, v3
	v_and_b32_e32 v5, 0xffff0000, v8
	v_cndmask_b32_e32 v2, v16, v18, vcc_lo
	v_add3_u32 v16, v20, v4, 0x7fff
	v_cmp_u_f32_e32 vcc_lo, v4, v4
	v_or_b32_e32 v18, 0x400000, v7
	v_add_f32_e32 v1, v3, v1
	v_and_b32_e32 v2, 0xffff0000, v2
	v_cndmask_b32_e32 v4, v16, v17, vcc_lo
	v_cmp_u_f32_e32 vcc_lo, v7, v7
	v_and_b32_e32 v7, 0xffff0000, v43
	v_add_f32_e32 v2, v5, v2
	v_add_f32_e32 v5, v48, v51
	v_and_b32_e32 v3, 0xffff0000, v4
	v_cndmask_b32_e32 v6, v10, v18, vcc_lo
	v_add_f32_e32 v7, v40, v7
	v_add_f32_e32 v1, v2, v1
	v_cmp_le_i32_e32 vcc_lo, s11, v9
	v_and_b32_e32 v4, 0xffff0000, v6
	v_add_f32_e32 v6, v39, v42
	s_or_b32 s12, vcc_lo, s12
	v_add_f32_e32 v2, v4, v3
	v_add_f32_e32 v3, v22, v21
	;; [unrolled: 1-line block ×9, first 2 shown]
	s_andn2_b32 exec_lo, exec_lo, s12
	s_cbranch_execz .LBB348_1041
.LBB348_545:                            ; =>This Inner Loop Header: Depth=1
	global_load_dword v0, v[14:15], off
	s_waitcnt vmcnt(0)
	v_mad_i64_i32 v[16:17], null, v0, s3, v[12:13]
	v_mov_b32_e32 v0, 0
	global_load_dwordx2 v[18:19], v[16:17], off
	ds_read2_b64 v[5:8], v33 offset1:1
	ds_read2_b64 v[1:4], v33 offset0:2 offset1:3
	s_waitcnt vmcnt(0)
	v_cmp_ne_u16_sdwa s13, v18, v11 src0_sel:BYTE_0 src1_sel:DWORD
	s_and_saveexec_b32 s0, s13
	s_cbranch_execz .LBB348_551
; %bb.546:                              ;   in Loop: Header=BB348_545 Depth=1
	v_cmp_ne_u16_sdwa s14, v18, v34 src0_sel:BYTE_0 src1_sel:DWORD
	v_bfrev_b32_e32 v0, 1
	s_and_saveexec_b32 s13, s14
	s_cbranch_execz .LBB348_550
; %bb.547:                              ;   in Loop: Header=BB348_545 Depth=1
	v_and_b32_e32 v10, 0x7f, v18
	v_mov_b32_e32 v0, 0x7f800001
	s_mov_b32 s14, exec_lo
	v_cmpx_ne_u32_e32 0x7f, v10
	s_cbranch_execz .LBB348_549
; %bb.548:                              ;   in Loop: Header=BB348_545 Depth=1
	v_and_b32_e32 v0, 7, v18
	v_cmp_gt_u32_e32 vcc_lo, 8, v10
	v_lshrrev_b32_e32 v20, 3, v10
	v_ffbh_u32_e32 v0, v0
	v_min_u32_e32 v0, 32, v0
	v_subrev_nc_u32_e32 v21, 28, v0
	v_sub_nc_u32_e32 v0, 29, v0
	v_cndmask_b32_e32 v10, 0, v21, vcc_lo
	v_cndmask_b32_e32 v0, v20, v0, vcc_lo
	v_lshlrev_b64 v[20:21], v10, v[18:19]
	v_lshlrev_b32_e32 v10, 24, v18
	v_lshl_add_u32 v0, v0, 23, 0x3c000000
	v_and_b32_e32 v10, 0x80000000, v10
	v_lshlrev_b32_e32 v20, 20, v20
	v_and_b32_e32 v20, 0x700000, v20
	v_or3_b32 v0, v20, v10, v0
.LBB348_549:                            ;   in Loop: Header=BB348_545 Depth=1
	s_or_b32 exec_lo, exec_lo, s14
.LBB348_550:                            ;   in Loop: Header=BB348_545 Depth=1
	s_or_b32 exec_lo, exec_lo, s13
.LBB348_551:                            ;   in Loop: Header=BB348_545 Depth=1
	s_or_b32 exec_lo, exec_lo, s0
	v_cmp_ne_u16_sdwa s13, v18, v11 src0_sel:BYTE_1 src1_sel:DWORD
	v_mov_b32_e32 v39, 0
	v_mov_b32_e32 v22, 0
	s_and_saveexec_b32 s0, s13
	s_cbranch_execz .LBB348_559
; %bb.552:                              ;   in Loop: Header=BB348_545 Depth=1
	v_cmp_ne_u16_sdwa s14, v18, v34 src0_sel:BYTE_1 src1_sel:DWORD
	v_bfrev_b32_e32 v22, 1
	s_and_saveexec_b32 s13, s14
	s_cbranch_execz .LBB348_558
; %bb.553:                              ;   in Loop: Header=BB348_545 Depth=1
	v_and_b32_sdwa v10, v35, v18 dst_sel:DWORD dst_unused:UNUSED_PAD src0_sel:DWORD src1_sel:BYTE_1
	v_mov_b32_e32 v22, 0x7f800001
	s_mov_b32 s14, exec_lo
	v_and_b32_e32 v21, 0x7f, v10
	v_cmpx_ne_u32_e32 0x7f, v21
	s_cbranch_execz .LBB348_557
; %bb.554:                              ;   in Loop: Header=BB348_545 Depth=1
	v_and_b32_e32 v10, 7, v10
	v_lshrrev_b32_e32 v20, 3, v21
	s_mov_b32 s15, exec_lo
	v_cmpx_gt_u32_e32 8, v21
; %bb.555:                              ;   in Loop: Header=BB348_545 Depth=1
	v_ffbh_u32_e32 v20, v10
	v_min_u32_e32 v20, 32, v20
	v_subrev_nc_u32_e32 v21, 28, v20
	v_sub_nc_u32_e32 v20, 29, v20
	v_lshlrev_b64 v[21:22], v21, v[10:11]
	v_and_b32_e32 v10, 7, v21
; %bb.556:                              ;   in Loop: Header=BB348_545 Depth=1
	s_or_b32 exec_lo, exec_lo, s15
	v_lshlrev_b32_e32 v21, 16, v18
	v_lshlrev_b32_e32 v10, 20, v10
	v_lshl_add_u32 v20, v20, 23, 0x3c000000
	v_and_b32_e32 v21, 0x80000000, v21
	v_or3_b32 v22, v10, v21, v20
.LBB348_557:                            ;   in Loop: Header=BB348_545 Depth=1
	s_or_b32 exec_lo, exec_lo, s14
.LBB348_558:                            ;   in Loop: Header=BB348_545 Depth=1
	s_or_b32 exec_lo, exec_lo, s13
.LBB348_559:                            ;   in Loop: Header=BB348_545 Depth=1
	s_or_b32 exec_lo, exec_lo, s0
	v_and_b32_sdwa v10, v18, v36 dst_sel:DWORD dst_unused:UNUSED_PAD src0_sel:WORD_1 src1_sel:DWORD
	s_mov_b32 s0, exec_lo
	v_cmpx_ne_u16_e32 0, v10
	s_cbranch_execz .LBB348_567
; %bb.560:                              ;   in Loop: Header=BB348_545 Depth=1
	v_bfrev_b32_e32 v39, 1
	s_mov_b32 s13, exec_lo
	v_cmpx_ne_u16_e32 0x80, v10
	s_cbranch_execz .LBB348_566
; %bb.561:                              ;   in Loop: Header=BB348_545 Depth=1
	v_bfe_u32 v21, v18, 16, 7
	v_mov_b32_e32 v39, 0x7f800001
	s_mov_b32 s14, exec_lo
	v_cmpx_ne_u32_e32 0x7f, v21
	s_cbranch_execz .LBB348_565
; %bb.562:                              ;   in Loop: Header=BB348_545 Depth=1
	v_and_b32_sdwa v10, v18, v37 dst_sel:DWORD dst_unused:UNUSED_PAD src0_sel:WORD_1 src1_sel:DWORD
	v_lshrrev_b32_e32 v20, 3, v21
	s_mov_b32 s15, exec_lo
	v_cmpx_gt_u32_e32 8, v21
; %bb.563:                              ;   in Loop: Header=BB348_545 Depth=1
	v_ffbh_u32_e32 v20, v10
	v_min_u32_e32 v20, 32, v20
	v_subrev_nc_u32_e32 v21, 28, v20
	v_sub_nc_u32_e32 v20, 29, v20
	v_lshlrev_b64 v[39:40], v21, v[10:11]
	v_and_b32_e32 v10, 7, v39
; %bb.564:                              ;   in Loop: Header=BB348_545 Depth=1
	s_or_b32 exec_lo, exec_lo, s15
	v_lshlrev_b32_sdwa v21, v38, v18 dst_sel:DWORD dst_unused:UNUSED_PAD src0_sel:DWORD src1_sel:WORD_1
	v_lshlrev_b32_e32 v10, 20, v10
	v_lshl_add_u32 v20, v20, 23, 0x3c000000
	v_and_b32_e32 v21, 0x80000000, v21
	v_or3_b32 v39, v10, v21, v20
.LBB348_565:                            ;   in Loop: Header=BB348_545 Depth=1
	s_or_b32 exec_lo, exec_lo, s14
.LBB348_566:                            ;   in Loop: Header=BB348_545 Depth=1
	s_or_b32 exec_lo, exec_lo, s13
.LBB348_567:                            ;   in Loop: Header=BB348_545 Depth=1
	s_or_b32 exec_lo, exec_lo, s0
	v_mov_b32_e32 v40, 0
	v_mov_b32_e32 v41, 0
	s_mov_b32 s0, exec_lo
	v_cmpx_lt_u32_e32 0xffffff, v18
	s_cbranch_execz .LBB348_575
; %bb.568:                              ;   in Loop: Header=BB348_545 Depth=1
	v_cmp_ne_u32_sdwa s14, v18, v34 src0_sel:BYTE_3 src1_sel:DWORD
	v_bfrev_b32_e32 v41, 1
	s_and_saveexec_b32 s13, s14
	s_cbranch_execz .LBB348_574
; %bb.569:                              ;   in Loop: Header=BB348_545 Depth=1
	v_bfe_u32 v21, v18, 24, 7
	v_mov_b32_e32 v41, 0x7f800001
	s_mov_b32 s14, exec_lo
	v_cmpx_ne_u32_e32 0x7f, v21
	s_cbranch_execz .LBB348_573
; %bb.570:                              ;   in Loop: Header=BB348_545 Depth=1
	v_and_b32_sdwa v10, v18, v37 dst_sel:DWORD dst_unused:UNUSED_PAD src0_sel:BYTE_3 src1_sel:DWORD
	v_lshrrev_b32_e32 v20, 3, v21
	s_mov_b32 s15, exec_lo
	v_cmpx_gt_u32_e32 8, v21
; %bb.571:                              ;   in Loop: Header=BB348_545 Depth=1
	v_ffbh_u32_e32 v20, v10
	v_min_u32_e32 v20, 32, v20
	v_subrev_nc_u32_e32 v21, 28, v20
	v_sub_nc_u32_e32 v20, 29, v20
	v_lshlrev_b64 v[41:42], v21, v[10:11]
	v_and_b32_e32 v10, 7, v41
; %bb.572:                              ;   in Loop: Header=BB348_545 Depth=1
	s_or_b32 exec_lo, exec_lo, s15
	v_lshlrev_b32_sdwa v21, v38, v18 dst_sel:DWORD dst_unused:UNUSED_PAD src0_sel:DWORD src1_sel:BYTE_3
	v_lshlrev_b32_e32 v10, 20, v10
	v_lshl_add_u32 v20, v20, 23, 0x3c000000
	v_and_b32_e32 v21, 0x80000000, v21
	v_or3_b32 v41, v10, v21, v20
.LBB348_573:                            ;   in Loop: Header=BB348_545 Depth=1
	s_or_b32 exec_lo, exec_lo, s14
.LBB348_574:                            ;   in Loop: Header=BB348_545 Depth=1
	s_or_b32 exec_lo, exec_lo, s13
.LBB348_575:                            ;   in Loop: Header=BB348_545 Depth=1
	s_or_b32 exec_lo, exec_lo, s0
	v_mov_b32_e32 v10, v19
	v_cmp_ne_u16_sdwa s13, v19, v11 src0_sel:BYTE_0 src1_sel:DWORD
	s_and_saveexec_b32 s0, s13
	s_cbranch_execz .LBB348_581
; %bb.576:                              ;   in Loop: Header=BB348_545 Depth=1
	v_cmp_ne_u16_sdwa s14, v19, v34 src0_sel:BYTE_0 src1_sel:DWORD
	v_bfrev_b32_e32 v40, 1
	s_and_saveexec_b32 s13, s14
	s_cbranch_execz .LBB348_580
; %bb.577:                              ;   in Loop: Header=BB348_545 Depth=1
	v_and_b32_e32 v20, 0x7f, v19
	v_mov_b32_e32 v40, 0x7f800001
	s_mov_b32 s14, exec_lo
	v_cmpx_ne_u32_e32 0x7f, v20
	s_cbranch_execz .LBB348_579
; %bb.578:                              ;   in Loop: Header=BB348_545 Depth=1
	v_and_b32_e32 v21, 7, v19
	v_cmp_gt_u32_e32 vcc_lo, 8, v20
	v_lshrrev_b32_e32 v40, 3, v20
	v_ffbh_u32_e32 v21, v21
	v_min_u32_e32 v21, 32, v21
	v_subrev_nc_u32_e32 v42, 28, v21
	v_sub_nc_u32_e32 v21, 29, v21
	v_cndmask_b32_e32 v20, 0, v42, vcc_lo
	v_cndmask_b32_e32 v40, v40, v21, vcc_lo
	v_lshlrev_b64 v[20:21], v20, v[10:11]
	v_lshlrev_b32_e32 v21, 24, v10
	v_lshl_add_u32 v40, v40, 23, 0x3c000000
	v_lshlrev_b32_e32 v20, 20, v20
	v_and_b32_e32 v21, 0x80000000, v21
	v_and_b32_e32 v20, 0x700000, v20
	v_or3_b32 v40, v20, v21, v40
.LBB348_579:                            ;   in Loop: Header=BB348_545 Depth=1
	s_or_b32 exec_lo, exec_lo, s14
.LBB348_580:                            ;   in Loop: Header=BB348_545 Depth=1
	s_or_b32 exec_lo, exec_lo, s13
.LBB348_581:                            ;   in Loop: Header=BB348_545 Depth=1
	s_or_b32 exec_lo, exec_lo, s0
	v_cmp_ne_u16_sdwa s13, v10, v11 src0_sel:BYTE_1 src1_sel:DWORD
	v_mov_b32_e32 v43, 0
	v_mov_b32_e32 v20, 0
	s_and_saveexec_b32 s0, s13
	s_cbranch_execz .LBB348_589
; %bb.582:                              ;   in Loop: Header=BB348_545 Depth=1
	v_cmp_ne_u16_sdwa s14, v10, v34 src0_sel:BYTE_1 src1_sel:DWORD
	v_bfrev_b32_e32 v20, 1
	s_and_saveexec_b32 s13, s14
	s_cbranch_execz .LBB348_588
; %bb.583:                              ;   in Loop: Header=BB348_545 Depth=1
	v_and_b32_sdwa v21, v35, v10 dst_sel:DWORD dst_unused:UNUSED_PAD src0_sel:DWORD src1_sel:BYTE_1
	v_mov_b32_e32 v20, 0x7f800001
	s_mov_b32 s14, exec_lo
	v_and_b32_e32 v44, 0x7f, v21
	v_cmpx_ne_u32_e32 0x7f, v44
	s_cbranch_execz .LBB348_587
; %bb.584:                              ;   in Loop: Header=BB348_545 Depth=1
	v_and_b32_e32 v20, 7, v21
	v_mov_b32_e32 v21, v11
	v_lshrrev_b32_e32 v42, 3, v44
	s_mov_b32 s15, exec_lo
	v_cmpx_gt_u32_e32 8, v44
; %bb.585:                              ;   in Loop: Header=BB348_545 Depth=1
	v_ffbh_u32_e32 v42, v20
	v_min_u32_e32 v42, 32, v42
	v_subrev_nc_u32_e32 v44, 28, v42
	v_sub_nc_u32_e32 v42, 29, v42
	v_lshlrev_b64 v[20:21], v44, v[20:21]
	v_and_b32_e32 v20, 7, v20
; %bb.586:                              ;   in Loop: Header=BB348_545 Depth=1
	s_or_b32 exec_lo, exec_lo, s15
	v_lshlrev_b32_e32 v10, 16, v10
	v_lshlrev_b32_e32 v20, 20, v20
	v_lshl_add_u32 v21, v42, 23, 0x3c000000
	v_and_b32_e32 v10, 0x80000000, v10
	v_or3_b32 v20, v20, v10, v21
.LBB348_587:                            ;   in Loop: Header=BB348_545 Depth=1
	s_or_b32 exec_lo, exec_lo, s14
.LBB348_588:                            ;   in Loop: Header=BB348_545 Depth=1
	s_or_b32 exec_lo, exec_lo, s13
.LBB348_589:                            ;   in Loop: Header=BB348_545 Depth=1
	s_or_b32 exec_lo, exec_lo, s0
	v_and_b32_sdwa v10, v19, v36 dst_sel:DWORD dst_unused:UNUSED_PAD src0_sel:WORD_1 src1_sel:DWORD
	s_mov_b32 s0, exec_lo
	v_cmpx_ne_u16_e32 0, v10
	s_cbranch_execz .LBB348_597
; %bb.590:                              ;   in Loop: Header=BB348_545 Depth=1
	v_bfrev_b32_e32 v43, 1
	s_mov_b32 s13, exec_lo
	v_cmpx_ne_u16_e32 0x80, v10
	s_cbranch_execz .LBB348_596
; %bb.591:                              ;   in Loop: Header=BB348_545 Depth=1
	v_bfe_u32 v42, v19, 16, 7
	v_mov_b32_e32 v43, 0x7f800001
	s_mov_b32 s14, exec_lo
	v_cmpx_ne_u32_e32 0x7f, v42
	s_cbranch_execz .LBB348_595
; %bb.592:                              ;   in Loop: Header=BB348_545 Depth=1
	v_and_b32_sdwa v10, v19, v37 dst_sel:DWORD dst_unused:UNUSED_PAD src0_sel:WORD_1 src1_sel:DWORD
	v_lshrrev_b32_e32 v21, 3, v42
	s_mov_b32 s15, exec_lo
	v_cmpx_gt_u32_e32 8, v42
; %bb.593:                              ;   in Loop: Header=BB348_545 Depth=1
	v_ffbh_u32_e32 v21, v10
	v_min_u32_e32 v21, 32, v21
	v_subrev_nc_u32_e32 v42, 28, v21
	v_sub_nc_u32_e32 v21, 29, v21
	v_lshlrev_b64 v[42:43], v42, v[10:11]
	v_and_b32_e32 v10, 7, v42
; %bb.594:                              ;   in Loop: Header=BB348_545 Depth=1
	s_or_b32 exec_lo, exec_lo, s15
	v_lshlrev_b32_sdwa v42, v38, v19 dst_sel:DWORD dst_unused:UNUSED_PAD src0_sel:DWORD src1_sel:WORD_1
	v_lshlrev_b32_e32 v10, 20, v10
	v_lshl_add_u32 v21, v21, 23, 0x3c000000
	v_and_b32_e32 v42, 0x80000000, v42
	v_or3_b32 v43, v10, v42, v21
.LBB348_595:                            ;   in Loop: Header=BB348_545 Depth=1
	s_or_b32 exec_lo, exec_lo, s14
.LBB348_596:                            ;   in Loop: Header=BB348_545 Depth=1
	s_or_b32 exec_lo, exec_lo, s13
.LBB348_597:                            ;   in Loop: Header=BB348_545 Depth=1
	s_or_b32 exec_lo, exec_lo, s0
	v_mov_b32_e32 v10, 0
	s_mov_b32 s0, exec_lo
	v_cmpx_lt_u64_e64 s[4:5], v[18:19]
	s_cbranch_execz .LBB348_605
; %bb.598:                              ;   in Loop: Header=BB348_545 Depth=1
	v_cmp_ne_u32_sdwa s14, v19, v34 src0_sel:BYTE_3 src1_sel:DWORD
	v_bfrev_b32_e32 v10, 1
	s_and_saveexec_b32 s13, s14
	s_cbranch_execz .LBB348_604
; %bb.599:                              ;   in Loop: Header=BB348_545 Depth=1
	v_bfe_u32 v21, v19, 24, 7
	v_mov_b32_e32 v10, 0x7f800001
	s_mov_b32 s14, exec_lo
	v_cmpx_ne_u32_e32 0x7f, v21
	s_cbranch_execz .LBB348_603
; %bb.600:                              ;   in Loop: Header=BB348_545 Depth=1
	v_and_b32_sdwa v10, v19, v37 dst_sel:DWORD dst_unused:UNUSED_PAD src0_sel:BYTE_3 src1_sel:DWORD
	v_lshrrev_b32_e32 v18, 3, v21
	s_mov_b32 s15, exec_lo
	v_cmpx_gt_u32_e32 8, v21
; %bb.601:                              ;   in Loop: Header=BB348_545 Depth=1
	v_ffbh_u32_e32 v18, v10
	v_min_u32_e32 v18, 32, v18
	v_subrev_nc_u32_e32 v21, 28, v18
	v_sub_nc_u32_e32 v18, 29, v18
	v_lshlrev_b64 v[44:45], v21, v[10:11]
	v_and_b32_e32 v10, 7, v44
; %bb.602:                              ;   in Loop: Header=BB348_545 Depth=1
	s_or_b32 exec_lo, exec_lo, s15
	v_lshlrev_b32_sdwa v19, v38, v19 dst_sel:DWORD dst_unused:UNUSED_PAD src0_sel:DWORD src1_sel:BYTE_3
	v_lshlrev_b32_e32 v10, 20, v10
	v_lshl_add_u32 v18, v18, 23, 0x3c000000
	v_and_b32_e32 v19, 0x80000000, v19
	v_or3_b32 v10, v10, v19, v18
.LBB348_603:                            ;   in Loop: Header=BB348_545 Depth=1
	s_or_b32 exec_lo, exec_lo, s14
.LBB348_604:                            ;   in Loop: Header=BB348_545 Depth=1
	s_or_b32 exec_lo, exec_lo, s13
.LBB348_605:                            ;   in Loop: Header=BB348_545 Depth=1
	s_or_b32 exec_lo, exec_lo, s0
	s_waitcnt lgkmcnt(0)
	v_mul_f32_e32 v18, s6, v20
	v_mul_f32_e32 v19, s6, v40
	;; [unrolled: 1-line block ×5, first 2 shown]
	v_bfe_u32 v21, v18, 16, 1
	v_or_b32_e32 v39, 0x400000, v18
	v_bfe_u32 v40, v19, 16, 1
	v_cmp_u_f32_e64 s0, v18, v18
	v_or_b32_e32 v42, 0x400000, v19
	v_add3_u32 v21, v21, v18, 0x7fff
	v_bfe_u32 v44, v20, 16, 1
	v_add3_u32 v40, v40, v19, 0x7fff
	v_or_b32_e32 v45, 0x400000, v20
	v_mul_f32_e32 v10, s6, v10
	v_cndmask_b32_e64 v18, v21, v39, s0
	v_cmp_u_f32_e64 s0, v19, v19
	v_add3_u32 v39, v44, v20, 0x7fff
	v_bfe_u32 v21, v41, 16, 1
	v_add_nc_u32_e32 v47, -7, v32
	v_cmp_eq_u32_e32 vcc_lo, s9, v9
	v_cndmask_b32_e64 v19, v40, v42, s0
	v_cmp_u_f32_e64 s0, v20, v20
	v_lshrrev_b32_e32 v40, 16, v18
	v_mul_f32_e32 v20, s6, v22
	v_add3_u32 v21, v21, v41, 0x7fff
	v_or_b32_e32 v22, 0x400000, v41
	v_cndmask_b32_e64 v18, v39, v45, s0
	v_cmp_u_f32_e64 s0, v41, v41
	v_lshrrev_b32_e32 v39, 16, v19
	v_bfe_u32 v41, v0, 16, 1
	v_or_b32_e32 v45, 0x400000, v10
	v_lshrrev_b32_e32 v42, 16, v18
	v_bfe_u32 v18, v20, 16, 1
	v_cndmask_b32_e64 v19, v21, v22, s0
	v_mul_f32_e32 v21, s6, v43
	v_or_b32_e32 v22, 0x400000, v20
	v_cmp_u_f32_e64 s0, v20, v20
	v_add3_u32 v18, v18, v20, 0x7fff
	v_bfe_u32 v20, v10, 16, 1
	v_bfe_u32 v43, v21, 16, 1
	v_or_b32_e32 v44, 0x400000, v21
	v_add_nc_u32_e32 v58, -6, v32
	v_cndmask_b32_e64 v18, v18, v22, s0
	v_add3_u32 v22, v41, v0, 0x7fff
	v_or_b32_e32 v41, 0x400000, v0
	v_cmp_u_f32_e64 s0, v0, v0
	v_add3_u32 v43, v43, v21, 0x7fff
	v_add3_u32 v20, v20, v10, 0x7fff
	v_lshrrev_b32_e32 v46, 16, v18
	v_add_nc_u32_e32 v57, -5, v32
	v_cndmask_b32_e64 v0, v22, v41, s0
	v_cmp_u_f32_e64 s0, v21, v21
	v_add_nc_u32_e32 v56, -4, v32
	v_add_nc_u32_e32 v55, -3, v32
	;; [unrolled: 1-line block ×4, first 2 shown]
	v_cndmask_b32_e64 v21, v43, v44, s0
	v_cmp_u_f32_e64 s0, v10, v10
	v_lshrrev_b32_e32 v44, 16, v19
	v_lshrrev_b32_e32 v41, 16, v21
	v_cndmask_b32_e64 v10, v20, v45, s0
	v_lshrrev_b32_e32 v45, 16, v0
	v_lshrrev_b32_e32 v43, 16, v10
	s_and_saveexec_b32 s13, vcc_lo
	s_cbranch_execz .LBB348_607
; %bb.606:                              ;   in Loop: Header=BB348_545 Depth=1
	v_cmp_gt_i32_e64 s0, s27, v47
	v_cndmask_b32_e64 v45, 0, v45, s0
	v_cmp_gt_i32_e64 s0, s27, v58
	v_cndmask_b32_e64 v46, 0, v46, s0
	;; [unrolled: 2-line block ×8, first 2 shown]
.LBB348_607:                            ;   in Loop: Header=BB348_545 Depth=1
	s_or_b32 exec_lo, exec_lo, s13
	global_load_dwordx2 v[18:19], v[16:17], off offset:256
	v_mov_b32_e32 v22, 0
	v_mov_b32_e32 v0, 0
	s_waitcnt vmcnt(0)
	v_cmp_ne_u16_sdwa s0, v18, v11 src0_sel:BYTE_0 src1_sel:DWORD
	s_and_saveexec_b32 s13, s0
	s_cbranch_execz .LBB348_613
; %bb.608:                              ;   in Loop: Header=BB348_545 Depth=1
	v_cmp_ne_u16_sdwa s0, v18, v34 src0_sel:BYTE_0 src1_sel:DWORD
	v_bfrev_b32_e32 v0, 1
	s_and_saveexec_b32 s14, s0
	s_cbranch_execz .LBB348_612
; %bb.609:                              ;   in Loop: Header=BB348_545 Depth=1
	v_and_b32_e32 v10, 0x7f, v18
	v_mov_b32_e32 v0, 0x7f800001
	s_mov_b32 s15, exec_lo
	v_cmpx_ne_u32_e32 0x7f, v10
	s_cbranch_execz .LBB348_611
; %bb.610:                              ;   in Loop: Header=BB348_545 Depth=1
	v_and_b32_e32 v0, 7, v18
	v_cmp_gt_u32_e64 s0, 8, v10
	v_lshrrev_b32_e32 v20, 3, v10
	v_ffbh_u32_e32 v0, v0
	v_min_u32_e32 v0, 32, v0
	v_subrev_nc_u32_e32 v21, 28, v0
	v_sub_nc_u32_e32 v0, 29, v0
	v_cndmask_b32_e64 v10, 0, v21, s0
	v_cndmask_b32_e64 v0, v20, v0, s0
	v_lshlrev_b64 v[20:21], v10, v[18:19]
	v_lshlrev_b32_e32 v10, 24, v18
	v_lshl_add_u32 v0, v0, 23, 0x3c000000
	v_and_b32_e32 v10, 0x80000000, v10
	v_lshlrev_b32_e32 v20, 20, v20
	v_and_b32_e32 v20, 0x700000, v20
	v_or3_b32 v0, v20, v10, v0
.LBB348_611:                            ;   in Loop: Header=BB348_545 Depth=1
	s_or_b32 exec_lo, exec_lo, s15
.LBB348_612:                            ;   in Loop: Header=BB348_545 Depth=1
	s_or_b32 exec_lo, exec_lo, s14
.LBB348_613:                            ;   in Loop: Header=BB348_545 Depth=1
	s_or_b32 exec_lo, exec_lo, s13
	v_cmp_ne_u16_sdwa s0, v18, v11 src0_sel:BYTE_1 src1_sel:DWORD
	s_and_saveexec_b32 s13, s0
	s_cbranch_execz .LBB348_621
; %bb.614:                              ;   in Loop: Header=BB348_545 Depth=1
	v_cmp_ne_u16_sdwa s0, v18, v34 src0_sel:BYTE_1 src1_sel:DWORD
	v_bfrev_b32_e32 v22, 1
	s_and_saveexec_b32 s14, s0
	s_cbranch_execz .LBB348_620
; %bb.615:                              ;   in Loop: Header=BB348_545 Depth=1
	v_and_b32_sdwa v10, v35, v18 dst_sel:DWORD dst_unused:UNUSED_PAD src0_sel:DWORD src1_sel:BYTE_1
	v_mov_b32_e32 v22, 0x7f800001
	s_mov_b32 s15, exec_lo
	v_and_b32_e32 v21, 0x7f, v10
	v_cmpx_ne_u32_e32 0x7f, v21
	s_cbranch_execz .LBB348_619
; %bb.616:                              ;   in Loop: Header=BB348_545 Depth=1
	v_and_b32_e32 v10, 7, v10
	v_lshrrev_b32_e32 v20, 3, v21
	s_mov_b32 s16, exec_lo
	v_cmpx_gt_u32_e32 8, v21
; %bb.617:                              ;   in Loop: Header=BB348_545 Depth=1
	v_ffbh_u32_e32 v20, v10
	v_min_u32_e32 v20, 32, v20
	v_subrev_nc_u32_e32 v21, 28, v20
	v_sub_nc_u32_e32 v20, 29, v20
	v_lshlrev_b64 v[21:22], v21, v[10:11]
	v_and_b32_e32 v10, 7, v21
; %bb.618:                              ;   in Loop: Header=BB348_545 Depth=1
	s_or_b32 exec_lo, exec_lo, s16
	v_lshlrev_b32_e32 v21, 16, v18
	v_lshlrev_b32_e32 v10, 20, v10
	v_lshl_add_u32 v20, v20, 23, 0x3c000000
	v_and_b32_e32 v21, 0x80000000, v21
	v_or3_b32 v22, v10, v21, v20
.LBB348_619:                            ;   in Loop: Header=BB348_545 Depth=1
	s_or_b32 exec_lo, exec_lo, s15
.LBB348_620:                            ;   in Loop: Header=BB348_545 Depth=1
	s_or_b32 exec_lo, exec_lo, s14
.LBB348_621:                            ;   in Loop: Header=BB348_545 Depth=1
	s_or_b32 exec_lo, exec_lo, s13
	v_and_b32_sdwa v10, v18, v36 dst_sel:DWORD dst_unused:UNUSED_PAD src0_sel:WORD_1 src1_sel:DWORD
	v_mov_b32_e32 v49, 0
	v_mov_b32_e32 v48, 0
	s_mov_b32 s13, exec_lo
	v_cmpx_ne_u16_e32 0, v10
	s_cbranch_execz .LBB348_629
; %bb.622:                              ;   in Loop: Header=BB348_545 Depth=1
	v_bfrev_b32_e32 v48, 1
	s_mov_b32 s14, exec_lo
	v_cmpx_ne_u16_e32 0x80, v10
	s_cbranch_execz .LBB348_628
; %bb.623:                              ;   in Loop: Header=BB348_545 Depth=1
	v_bfe_u32 v21, v18, 16, 7
	v_mov_b32_e32 v48, 0x7f800001
	s_mov_b32 s15, exec_lo
	v_cmpx_ne_u32_e32 0x7f, v21
	s_cbranch_execz .LBB348_627
; %bb.624:                              ;   in Loop: Header=BB348_545 Depth=1
	v_and_b32_sdwa v10, v18, v37 dst_sel:DWORD dst_unused:UNUSED_PAD src0_sel:WORD_1 src1_sel:DWORD
	v_lshrrev_b32_e32 v20, 3, v21
	s_mov_b32 s16, exec_lo
	v_cmpx_gt_u32_e32 8, v21
; %bb.625:                              ;   in Loop: Header=BB348_545 Depth=1
	v_ffbh_u32_e32 v20, v10
	v_min_u32_e32 v20, 32, v20
	v_subrev_nc_u32_e32 v21, 28, v20
	v_sub_nc_u32_e32 v20, 29, v20
	v_lshlrev_b64 v[50:51], v21, v[10:11]
	v_and_b32_e32 v10, 7, v50
; %bb.626:                              ;   in Loop: Header=BB348_545 Depth=1
	s_or_b32 exec_lo, exec_lo, s16
	v_lshlrev_b32_sdwa v21, v38, v18 dst_sel:DWORD dst_unused:UNUSED_PAD src0_sel:DWORD src1_sel:WORD_1
	v_lshlrev_b32_e32 v10, 20, v10
	v_lshl_add_u32 v20, v20, 23, 0x3c000000
	v_and_b32_e32 v21, 0x80000000, v21
	v_or3_b32 v48, v10, v21, v20
.LBB348_627:                            ;   in Loop: Header=BB348_545 Depth=1
	s_or_b32 exec_lo, exec_lo, s15
.LBB348_628:                            ;   in Loop: Header=BB348_545 Depth=1
	s_or_b32 exec_lo, exec_lo, s14
.LBB348_629:                            ;   in Loop: Header=BB348_545 Depth=1
	s_or_b32 exec_lo, exec_lo, s13
	s_mov_b32 s13, exec_lo
	v_cmpx_lt_u32_e32 0xffffff, v18
	s_cbranch_execz .LBB348_637
; %bb.630:                              ;   in Loop: Header=BB348_545 Depth=1
	v_cmp_ne_u32_sdwa s0, v18, v34 src0_sel:BYTE_3 src1_sel:DWORD
	v_bfrev_b32_e32 v49, 1
	s_and_saveexec_b32 s14, s0
	s_cbranch_execz .LBB348_636
; %bb.631:                              ;   in Loop: Header=BB348_545 Depth=1
	v_bfe_u32 v21, v18, 24, 7
	v_mov_b32_e32 v49, 0x7f800001
	s_mov_b32 s15, exec_lo
	v_cmpx_ne_u32_e32 0x7f, v21
	s_cbranch_execz .LBB348_635
; %bb.632:                              ;   in Loop: Header=BB348_545 Depth=1
	v_and_b32_sdwa v10, v18, v37 dst_sel:DWORD dst_unused:UNUSED_PAD src0_sel:BYTE_3 src1_sel:DWORD
	v_lshrrev_b32_e32 v20, 3, v21
	s_mov_b32 s16, exec_lo
	v_cmpx_gt_u32_e32 8, v21
; %bb.633:                              ;   in Loop: Header=BB348_545 Depth=1
	v_ffbh_u32_e32 v20, v10
	v_min_u32_e32 v20, 32, v20
	v_subrev_nc_u32_e32 v21, 28, v20
	v_sub_nc_u32_e32 v20, 29, v20
	v_lshlrev_b64 v[49:50], v21, v[10:11]
	v_and_b32_e32 v10, 7, v49
; %bb.634:                              ;   in Loop: Header=BB348_545 Depth=1
	s_or_b32 exec_lo, exec_lo, s16
	v_lshlrev_b32_sdwa v21, v38, v18 dst_sel:DWORD dst_unused:UNUSED_PAD src0_sel:DWORD src1_sel:BYTE_3
	v_lshlrev_b32_e32 v10, 20, v10
	v_lshl_add_u32 v20, v20, 23, 0x3c000000
	v_and_b32_e32 v21, 0x80000000, v21
	v_or3_b32 v49, v10, v21, v20
.LBB348_635:                            ;   in Loop: Header=BB348_545 Depth=1
	s_or_b32 exec_lo, exec_lo, s15
.LBB348_636:                            ;   in Loop: Header=BB348_545 Depth=1
	s_or_b32 exec_lo, exec_lo, s14
.LBB348_637:                            ;   in Loop: Header=BB348_545 Depth=1
	s_or_b32 exec_lo, exec_lo, s13
	v_mov_b32_e32 v10, v19
	v_cmp_ne_u16_sdwa s0, v19, v11 src0_sel:BYTE_0 src1_sel:DWORD
	v_mov_b32_e32 v20, 0
	v_mov_b32_e32 v50, 0
	s_and_saveexec_b32 s13, s0
	s_cbranch_execz .LBB348_643
; %bb.638:                              ;   in Loop: Header=BB348_545 Depth=1
	v_cmp_ne_u16_sdwa s0, v19, v34 src0_sel:BYTE_0 src1_sel:DWORD
	v_bfrev_b32_e32 v50, 1
	s_and_saveexec_b32 s14, s0
	s_cbranch_execz .LBB348_642
; %bb.639:                              ;   in Loop: Header=BB348_545 Depth=1
	v_and_b32_e32 v21, 0x7f, v19
	v_mov_b32_e32 v50, 0x7f800001
	s_mov_b32 s15, exec_lo
	v_cmpx_ne_u32_e32 0x7f, v21
	s_cbranch_execz .LBB348_641
; %bb.640:                              ;   in Loop: Header=BB348_545 Depth=1
	v_and_b32_e32 v50, 7, v19
	v_lshrrev_b32_e32 v51, 3, v21
	v_cmp_gt_u32_e64 s0, 8, v21
	v_ffbh_u32_e32 v50, v50
	v_min_u32_e32 v50, 32, v50
	v_subrev_nc_u32_e32 v52, 28, v50
	v_sub_nc_u32_e32 v50, 29, v50
	v_cndmask_b32_e64 v21, v51, v50, s0
	v_cndmask_b32_e64 v50, 0, v52, s0
	v_lshl_add_u32 v21, v21, 23, 0x3c000000
	v_lshlrev_b64 v[50:51], v50, v[10:11]
	v_lshlrev_b32_e32 v51, 24, v10
	v_lshlrev_b32_e32 v50, 20, v50
	v_and_b32_e32 v51, 0x80000000, v51
	v_and_b32_e32 v50, 0x700000, v50
	v_or3_b32 v50, v50, v51, v21
.LBB348_641:                            ;   in Loop: Header=BB348_545 Depth=1
	s_or_b32 exec_lo, exec_lo, s15
.LBB348_642:                            ;   in Loop: Header=BB348_545 Depth=1
	s_or_b32 exec_lo, exec_lo, s14
.LBB348_643:                            ;   in Loop: Header=BB348_545 Depth=1
	s_or_b32 exec_lo, exec_lo, s13
	v_cmp_ne_u16_sdwa s0, v10, v11 src0_sel:BYTE_1 src1_sel:DWORD
	s_and_saveexec_b32 s13, s0
	s_cbranch_execz .LBB348_651
; %bb.644:                              ;   in Loop: Header=BB348_545 Depth=1
	v_cmp_ne_u16_sdwa s0, v10, v34 src0_sel:BYTE_1 src1_sel:DWORD
	v_bfrev_b32_e32 v20, 1
	s_and_saveexec_b32 s14, s0
	s_cbranch_execz .LBB348_650
; %bb.645:                              ;   in Loop: Header=BB348_545 Depth=1
	v_and_b32_sdwa v21, v35, v10 dst_sel:DWORD dst_unused:UNUSED_PAD src0_sel:DWORD src1_sel:BYTE_1
	v_mov_b32_e32 v20, 0x7f800001
	s_mov_b32 s15, exec_lo
	v_and_b32_e32 v52, 0x7f, v21
	v_cmpx_ne_u32_e32 0x7f, v52
	s_cbranch_execz .LBB348_649
; %bb.646:                              ;   in Loop: Header=BB348_545 Depth=1
	v_and_b32_e32 v20, 7, v21
	v_mov_b32_e32 v21, v11
	v_lshrrev_b32_e32 v51, 3, v52
	s_mov_b32 s16, exec_lo
	v_cmpx_gt_u32_e32 8, v52
; %bb.647:                              ;   in Loop: Header=BB348_545 Depth=1
	v_ffbh_u32_e32 v51, v20
	v_min_u32_e32 v51, 32, v51
	v_subrev_nc_u32_e32 v52, 28, v51
	v_sub_nc_u32_e32 v51, 29, v51
	v_lshlrev_b64 v[20:21], v52, v[20:21]
	v_and_b32_e32 v20, 7, v20
; %bb.648:                              ;   in Loop: Header=BB348_545 Depth=1
	s_or_b32 exec_lo, exec_lo, s16
	v_lshlrev_b32_e32 v10, 16, v10
	v_lshlrev_b32_e32 v20, 20, v20
	v_lshl_add_u32 v21, v51, 23, 0x3c000000
	v_and_b32_e32 v10, 0x80000000, v10
	v_or3_b32 v20, v20, v10, v21
.LBB348_649:                            ;   in Loop: Header=BB348_545 Depth=1
	s_or_b32 exec_lo, exec_lo, s15
.LBB348_650:                            ;   in Loop: Header=BB348_545 Depth=1
	s_or_b32 exec_lo, exec_lo, s14
.LBB348_651:                            ;   in Loop: Header=BB348_545 Depth=1
	s_or_b32 exec_lo, exec_lo, s13
	v_and_b32_sdwa v10, v19, v36 dst_sel:DWORD dst_unused:UNUSED_PAD src0_sel:WORD_1 src1_sel:DWORD
	v_mov_b32_e32 v21, 0
	v_mov_b32_e32 v52, 0
	s_mov_b32 s13, exec_lo
	v_cmpx_ne_u16_e32 0, v10
	s_cbranch_execz .LBB348_659
; %bb.652:                              ;   in Loop: Header=BB348_545 Depth=1
	v_bfrev_b32_e32 v52, 1
	s_mov_b32 s14, exec_lo
	v_cmpx_ne_u16_e32 0x80, v10
	s_cbranch_execz .LBB348_658
; %bb.653:                              ;   in Loop: Header=BB348_545 Depth=1
	v_bfe_u32 v59, v19, 16, 7
	v_mov_b32_e32 v52, 0x7f800001
	s_mov_b32 s15, exec_lo
	v_cmpx_ne_u32_e32 0x7f, v59
	s_cbranch_execz .LBB348_657
; %bb.654:                              ;   in Loop: Header=BB348_545 Depth=1
	v_and_b32_sdwa v10, v19, v37 dst_sel:DWORD dst_unused:UNUSED_PAD src0_sel:WORD_1 src1_sel:DWORD
	v_lshrrev_b32_e32 v51, 3, v59
	s_mov_b32 s16, exec_lo
	v_cmpx_gt_u32_e32 8, v59
; %bb.655:                              ;   in Loop: Header=BB348_545 Depth=1
	v_ffbh_u32_e32 v51, v10
	v_min_u32_e32 v51, 32, v51
	v_subrev_nc_u32_e32 v52, 28, v51
	v_sub_nc_u32_e32 v51, 29, v51
	v_lshlrev_b64 v[59:60], v52, v[10:11]
	v_and_b32_e32 v10, 7, v59
; %bb.656:                              ;   in Loop: Header=BB348_545 Depth=1
	s_or_b32 exec_lo, exec_lo, s16
	v_lshlrev_b32_sdwa v52, v38, v19 dst_sel:DWORD dst_unused:UNUSED_PAD src0_sel:DWORD src1_sel:WORD_1
	v_lshlrev_b32_e32 v10, 20, v10
	v_lshl_add_u32 v51, v51, 23, 0x3c000000
	v_and_b32_e32 v52, 0x80000000, v52
	v_or3_b32 v52, v10, v52, v51
.LBB348_657:                            ;   in Loop: Header=BB348_545 Depth=1
	s_or_b32 exec_lo, exec_lo, s15
.LBB348_658:                            ;   in Loop: Header=BB348_545 Depth=1
	s_or_b32 exec_lo, exec_lo, s14
.LBB348_659:                            ;   in Loop: Header=BB348_545 Depth=1
	s_or_b32 exec_lo, exec_lo, s13
	s_mov_b32 s13, exec_lo
	v_cmpx_lt_u64_e64 s[4:5], v[18:19]
	s_cbranch_execz .LBB348_667
; %bb.660:                              ;   in Loop: Header=BB348_545 Depth=1
	v_cmp_ne_u32_sdwa s0, v19, v34 src0_sel:BYTE_3 src1_sel:DWORD
	v_bfrev_b32_e32 v21, 1
	s_and_saveexec_b32 s14, s0
	s_cbranch_execz .LBB348_666
; %bb.661:                              ;   in Loop: Header=BB348_545 Depth=1
	v_bfe_u32 v51, v19, 24, 7
	v_mov_b32_e32 v21, 0x7f800001
	s_mov_b32 s15, exec_lo
	v_cmpx_ne_u32_e32 0x7f, v51
	s_cbranch_execz .LBB348_665
; %bb.662:                              ;   in Loop: Header=BB348_545 Depth=1
	v_and_b32_sdwa v10, v19, v37 dst_sel:DWORD dst_unused:UNUSED_PAD src0_sel:BYTE_3 src1_sel:DWORD
	v_lshrrev_b32_e32 v18, 3, v51
	s_mov_b32 s16, exec_lo
	v_cmpx_gt_u32_e32 8, v51
; %bb.663:                              ;   in Loop: Header=BB348_545 Depth=1
	v_ffbh_u32_e32 v18, v10
	v_min_u32_e32 v18, 32, v18
	v_subrev_nc_u32_e32 v21, 28, v18
	v_sub_nc_u32_e32 v18, 29, v18
	v_lshlrev_b64 v[59:60], v21, v[10:11]
	v_and_b32_e32 v10, 7, v59
; %bb.664:                              ;   in Loop: Header=BB348_545 Depth=1
	s_or_b32 exec_lo, exec_lo, s16
	v_lshlrev_b32_sdwa v19, v38, v19 dst_sel:DWORD dst_unused:UNUSED_PAD src0_sel:DWORD src1_sel:BYTE_3
	v_lshlrev_b32_e32 v10, 20, v10
	v_lshl_add_u32 v18, v18, 23, 0x3c000000
	v_and_b32_e32 v19, 0x80000000, v19
	v_or3_b32 v21, v10, v19, v18
.LBB348_665:                            ;   in Loop: Header=BB348_545 Depth=1
	s_or_b32 exec_lo, exec_lo, s15
.LBB348_666:                            ;   in Loop: Header=BB348_545 Depth=1
	s_or_b32 exec_lo, exec_lo, s14
.LBB348_667:                            ;   in Loop: Header=BB348_545 Depth=1
	s_or_b32 exec_lo, exec_lo, s13
	v_mul_f32_e32 v10, s6, v20
	v_mul_f32_e32 v18, s6, v50
	;; [unrolled: 1-line block ×5, first 2 shown]
	v_bfe_u32 v48, v10, 16, 1
	v_or_b32_e32 v49, 0x400000, v10
	v_bfe_u32 v50, v18, 16, 1
	v_cmp_u_f32_e64 s0, v10, v10
	v_or_b32_e32 v51, 0x400000, v18
	v_add3_u32 v48, v48, v10, 0x7fff
	v_bfe_u32 v59, v19, 16, 1
	v_add3_u32 v50, v50, v18, 0x7fff
	v_or_b32_e32 v60, 0x400000, v19
	v_bfe_u32 v61, v20, 16, 1
	v_cndmask_b32_e64 v10, v48, v49, s0
	v_cmp_u_f32_e64 s0, v18, v18
	v_add3_u32 v59, v59, v19, 0x7fff
	v_mul_f32_e32 v21, s6, v21
	v_lshrrev_b32_e32 v48, 16, v10
	v_cndmask_b32_e64 v18, v50, v51, s0
	v_cmp_u_f32_e64 s0, v19, v19
	v_mul_f32_e32 v10, s6, v22
	v_add3_u32 v22, v61, v20, 0x7fff
	v_or_b32_e32 v50, 0x400000, v20
	v_lshrrev_b32_e32 v49, 16, v18
	v_cndmask_b32_e64 v19, v59, v60, s0
	v_bfe_u32 v18, v10, 16, 1
	v_cmp_u_f32_e64 s0, v20, v20
	v_mul_f32_e32 v20, s6, v52
	v_or_b32_e32 v60, 0x400000, v21
	v_lshrrev_b32_e32 v51, 16, v19
	v_add3_u32 v18, v18, v10, 0x7fff
	v_cndmask_b32_e64 v19, v22, v50, s0
	v_or_b32_e32 v22, 0x400000, v10
	v_bfe_u32 v50, v0, 16, 1
	v_cmp_u_f32_e64 s0, v10, v10
	v_bfe_u32 v52, v20, 16, 1
	v_or_b32_e32 v59, 0x400000, v20
	v_cndmask_b32_e64 v10, v18, v22, s0
	v_add3_u32 v22, v50, v0, 0x7fff
	v_or_b32_e32 v50, 0x400000, v0
	v_cmp_u_f32_e64 s0, v0, v0
	v_bfe_u32 v18, v21, 16, 1
	v_add3_u32 v52, v52, v20, 0x7fff
	v_lshrrev_b32_e32 v61, 16, v10
	v_cndmask_b32_e64 v0, v22, v50, s0
	v_cmp_u_f32_e64 s0, v20, v20
	v_add3_u32 v18, v18, v21, 0x7fff
	v_cndmask_b32_e64 v20, v52, v59, s0
	v_cmp_u_f32_e64 s0, v21, v21
	v_lshrrev_b32_e32 v59, 16, v19
	v_lshrrev_b32_e32 v50, 16, v20
	v_cndmask_b32_e64 v18, v18, v60, s0
	v_lshrrev_b32_e32 v60, 16, v0
	v_lshrrev_b32_e32 v52, 16, v18
	s_and_saveexec_b32 s13, vcc_lo
	s_cbranch_execz .LBB348_669
; %bb.668:                              ;   in Loop: Header=BB348_545 Depth=1
	v_cmp_gt_i32_e64 s0, s27, v47
	v_cndmask_b32_e64 v60, 0, v60, s0
	v_cmp_gt_i32_e64 s0, s27, v58
	v_cndmask_b32_e64 v61, 0, v61, s0
	;; [unrolled: 2-line block ×8, first 2 shown]
.LBB348_669:                            ;   in Loop: Header=BB348_545 Depth=1
	s_or_b32 exec_lo, exec_lo, s13
	global_load_dwordx2 v[18:19], v[16:17], off offset:512
	v_mov_b32_e32 v22, 0
	v_mov_b32_e32 v0, 0
	s_waitcnt vmcnt(0)
	v_cmp_ne_u16_sdwa s0, v18, v11 src0_sel:BYTE_0 src1_sel:DWORD
	s_and_saveexec_b32 s13, s0
	s_cbranch_execz .LBB348_675
; %bb.670:                              ;   in Loop: Header=BB348_545 Depth=1
	v_cmp_ne_u16_sdwa s0, v18, v34 src0_sel:BYTE_0 src1_sel:DWORD
	v_bfrev_b32_e32 v0, 1
	s_and_saveexec_b32 s14, s0
	s_cbranch_execz .LBB348_674
; %bb.671:                              ;   in Loop: Header=BB348_545 Depth=1
	v_and_b32_e32 v10, 0x7f, v18
	v_mov_b32_e32 v0, 0x7f800001
	s_mov_b32 s15, exec_lo
	v_cmpx_ne_u32_e32 0x7f, v10
	s_cbranch_execz .LBB348_673
; %bb.672:                              ;   in Loop: Header=BB348_545 Depth=1
	v_and_b32_e32 v0, 7, v18
	v_cmp_gt_u32_e64 s0, 8, v10
	v_lshrrev_b32_e32 v20, 3, v10
	v_ffbh_u32_e32 v0, v0
	v_min_u32_e32 v0, 32, v0
	v_subrev_nc_u32_e32 v21, 28, v0
	v_sub_nc_u32_e32 v0, 29, v0
	v_cndmask_b32_e64 v10, 0, v21, s0
	v_cndmask_b32_e64 v0, v20, v0, s0
	v_lshlrev_b64 v[20:21], v10, v[18:19]
	v_lshlrev_b32_e32 v10, 24, v18
	v_lshl_add_u32 v0, v0, 23, 0x3c000000
	v_and_b32_e32 v10, 0x80000000, v10
	v_lshlrev_b32_e32 v20, 20, v20
	v_and_b32_e32 v20, 0x700000, v20
	v_or3_b32 v0, v20, v10, v0
.LBB348_673:                            ;   in Loop: Header=BB348_545 Depth=1
	s_or_b32 exec_lo, exec_lo, s15
.LBB348_674:                            ;   in Loop: Header=BB348_545 Depth=1
	s_or_b32 exec_lo, exec_lo, s14
.LBB348_675:                            ;   in Loop: Header=BB348_545 Depth=1
	s_or_b32 exec_lo, exec_lo, s13
	v_cmp_ne_u16_sdwa s0, v18, v11 src0_sel:BYTE_1 src1_sel:DWORD
	s_and_saveexec_b32 s13, s0
	s_cbranch_execz .LBB348_683
; %bb.676:                              ;   in Loop: Header=BB348_545 Depth=1
	v_cmp_ne_u16_sdwa s0, v18, v34 src0_sel:BYTE_1 src1_sel:DWORD
	v_bfrev_b32_e32 v22, 1
	s_and_saveexec_b32 s14, s0
	s_cbranch_execz .LBB348_682
; %bb.677:                              ;   in Loop: Header=BB348_545 Depth=1
	v_and_b32_sdwa v10, v35, v18 dst_sel:DWORD dst_unused:UNUSED_PAD src0_sel:DWORD src1_sel:BYTE_1
	v_mov_b32_e32 v22, 0x7f800001
	s_mov_b32 s15, exec_lo
	v_and_b32_e32 v21, 0x7f, v10
	v_cmpx_ne_u32_e32 0x7f, v21
	s_cbranch_execz .LBB348_681
; %bb.678:                              ;   in Loop: Header=BB348_545 Depth=1
	v_and_b32_e32 v10, 7, v10
	v_lshrrev_b32_e32 v20, 3, v21
	s_mov_b32 s16, exec_lo
	v_cmpx_gt_u32_e32 8, v21
; %bb.679:                              ;   in Loop: Header=BB348_545 Depth=1
	v_ffbh_u32_e32 v20, v10
	v_min_u32_e32 v20, 32, v20
	v_subrev_nc_u32_e32 v21, 28, v20
	v_sub_nc_u32_e32 v20, 29, v20
	v_lshlrev_b64 v[21:22], v21, v[10:11]
	v_and_b32_e32 v10, 7, v21
; %bb.680:                              ;   in Loop: Header=BB348_545 Depth=1
	s_or_b32 exec_lo, exec_lo, s16
	v_lshlrev_b32_e32 v21, 16, v18
	v_lshlrev_b32_e32 v10, 20, v10
	v_lshl_add_u32 v20, v20, 23, 0x3c000000
	v_and_b32_e32 v21, 0x80000000, v21
	v_or3_b32 v22, v10, v21, v20
.LBB348_681:                            ;   in Loop: Header=BB348_545 Depth=1
	s_or_b32 exec_lo, exec_lo, s15
.LBB348_682:                            ;   in Loop: Header=BB348_545 Depth=1
	s_or_b32 exec_lo, exec_lo, s14
.LBB348_683:                            ;   in Loop: Header=BB348_545 Depth=1
	s_or_b32 exec_lo, exec_lo, s13
	v_and_b32_sdwa v10, v18, v36 dst_sel:DWORD dst_unused:UNUSED_PAD src0_sel:WORD_1 src1_sel:DWORD
	v_mov_b32_e32 v63, 0
	v_mov_b32_e32 v62, 0
	s_mov_b32 s13, exec_lo
	v_cmpx_ne_u16_e32 0, v10
	s_cbranch_execz .LBB348_691
; %bb.684:                              ;   in Loop: Header=BB348_545 Depth=1
	v_bfrev_b32_e32 v62, 1
	s_mov_b32 s14, exec_lo
	v_cmpx_ne_u16_e32 0x80, v10
	s_cbranch_execz .LBB348_690
; %bb.685:                              ;   in Loop: Header=BB348_545 Depth=1
	v_bfe_u32 v21, v18, 16, 7
	v_mov_b32_e32 v62, 0x7f800001
	s_mov_b32 s15, exec_lo
	v_cmpx_ne_u32_e32 0x7f, v21
	s_cbranch_execz .LBB348_689
; %bb.686:                              ;   in Loop: Header=BB348_545 Depth=1
	v_and_b32_sdwa v10, v18, v37 dst_sel:DWORD dst_unused:UNUSED_PAD src0_sel:WORD_1 src1_sel:DWORD
	v_lshrrev_b32_e32 v20, 3, v21
	s_mov_b32 s16, exec_lo
	v_cmpx_gt_u32_e32 8, v21
; %bb.687:                              ;   in Loop: Header=BB348_545 Depth=1
	v_ffbh_u32_e32 v20, v10
	v_min_u32_e32 v20, 32, v20
	v_subrev_nc_u32_e32 v21, 28, v20
	v_sub_nc_u32_e32 v20, 29, v20
	v_lshlrev_b64 v[64:65], v21, v[10:11]
	v_and_b32_e32 v10, 7, v64
; %bb.688:                              ;   in Loop: Header=BB348_545 Depth=1
	s_or_b32 exec_lo, exec_lo, s16
	v_lshlrev_b32_sdwa v21, v38, v18 dst_sel:DWORD dst_unused:UNUSED_PAD src0_sel:DWORD src1_sel:WORD_1
	v_lshlrev_b32_e32 v10, 20, v10
	v_lshl_add_u32 v20, v20, 23, 0x3c000000
	v_and_b32_e32 v21, 0x80000000, v21
	v_or3_b32 v62, v10, v21, v20
.LBB348_689:                            ;   in Loop: Header=BB348_545 Depth=1
	s_or_b32 exec_lo, exec_lo, s15
.LBB348_690:                            ;   in Loop: Header=BB348_545 Depth=1
	s_or_b32 exec_lo, exec_lo, s14
.LBB348_691:                            ;   in Loop: Header=BB348_545 Depth=1
	s_or_b32 exec_lo, exec_lo, s13
	s_mov_b32 s13, exec_lo
	v_cmpx_lt_u32_e32 0xffffff, v18
	s_cbranch_execz .LBB348_699
; %bb.692:                              ;   in Loop: Header=BB348_545 Depth=1
	v_cmp_ne_u32_sdwa s0, v18, v34 src0_sel:BYTE_3 src1_sel:DWORD
	v_bfrev_b32_e32 v63, 1
	s_and_saveexec_b32 s14, s0
	s_cbranch_execz .LBB348_698
; %bb.693:                              ;   in Loop: Header=BB348_545 Depth=1
	v_bfe_u32 v21, v18, 24, 7
	v_mov_b32_e32 v63, 0x7f800001
	s_mov_b32 s15, exec_lo
	v_cmpx_ne_u32_e32 0x7f, v21
	s_cbranch_execz .LBB348_697
; %bb.694:                              ;   in Loop: Header=BB348_545 Depth=1
	v_and_b32_sdwa v10, v18, v37 dst_sel:DWORD dst_unused:UNUSED_PAD src0_sel:BYTE_3 src1_sel:DWORD
	v_lshrrev_b32_e32 v20, 3, v21
	s_mov_b32 s16, exec_lo
	v_cmpx_gt_u32_e32 8, v21
; %bb.695:                              ;   in Loop: Header=BB348_545 Depth=1
	v_ffbh_u32_e32 v20, v10
	v_min_u32_e32 v20, 32, v20
	v_subrev_nc_u32_e32 v21, 28, v20
	v_sub_nc_u32_e32 v20, 29, v20
	v_lshlrev_b64 v[63:64], v21, v[10:11]
	v_and_b32_e32 v10, 7, v63
; %bb.696:                              ;   in Loop: Header=BB348_545 Depth=1
	s_or_b32 exec_lo, exec_lo, s16
	v_lshlrev_b32_sdwa v21, v38, v18 dst_sel:DWORD dst_unused:UNUSED_PAD src0_sel:DWORD src1_sel:BYTE_3
	v_lshlrev_b32_e32 v10, 20, v10
	v_lshl_add_u32 v20, v20, 23, 0x3c000000
	v_and_b32_e32 v21, 0x80000000, v21
	v_or3_b32 v63, v10, v21, v20
.LBB348_697:                            ;   in Loop: Header=BB348_545 Depth=1
	s_or_b32 exec_lo, exec_lo, s15
.LBB348_698:                            ;   in Loop: Header=BB348_545 Depth=1
	s_or_b32 exec_lo, exec_lo, s14
.LBB348_699:                            ;   in Loop: Header=BB348_545 Depth=1
	s_or_b32 exec_lo, exec_lo, s13
	v_mov_b32_e32 v10, v19
	v_cmp_ne_u16_sdwa s0, v19, v11 src0_sel:BYTE_0 src1_sel:DWORD
	v_mov_b32_e32 v20, 0
	v_mov_b32_e32 v64, 0
	s_and_saveexec_b32 s13, s0
	s_cbranch_execz .LBB348_705
; %bb.700:                              ;   in Loop: Header=BB348_545 Depth=1
	v_cmp_ne_u16_sdwa s0, v19, v34 src0_sel:BYTE_0 src1_sel:DWORD
	v_bfrev_b32_e32 v64, 1
	s_and_saveexec_b32 s14, s0
	s_cbranch_execz .LBB348_704
; %bb.701:                              ;   in Loop: Header=BB348_545 Depth=1
	v_and_b32_e32 v21, 0x7f, v19
	v_mov_b32_e32 v64, 0x7f800001
	s_mov_b32 s15, exec_lo
	v_cmpx_ne_u32_e32 0x7f, v21
	s_cbranch_execz .LBB348_703
; %bb.702:                              ;   in Loop: Header=BB348_545 Depth=1
	v_and_b32_e32 v64, 7, v19
	v_lshrrev_b32_e32 v65, 3, v21
	v_cmp_gt_u32_e64 s0, 8, v21
	v_ffbh_u32_e32 v64, v64
	v_min_u32_e32 v64, 32, v64
	v_subrev_nc_u32_e32 v66, 28, v64
	v_sub_nc_u32_e32 v64, 29, v64
	v_cndmask_b32_e64 v21, v65, v64, s0
	v_cndmask_b32_e64 v64, 0, v66, s0
	v_lshl_add_u32 v21, v21, 23, 0x3c000000
	v_lshlrev_b64 v[64:65], v64, v[10:11]
	v_lshlrev_b32_e32 v65, 24, v10
	v_lshlrev_b32_e32 v64, 20, v64
	v_and_b32_e32 v65, 0x80000000, v65
	v_and_b32_e32 v64, 0x700000, v64
	v_or3_b32 v64, v64, v65, v21
.LBB348_703:                            ;   in Loop: Header=BB348_545 Depth=1
	s_or_b32 exec_lo, exec_lo, s15
.LBB348_704:                            ;   in Loop: Header=BB348_545 Depth=1
	s_or_b32 exec_lo, exec_lo, s14
.LBB348_705:                            ;   in Loop: Header=BB348_545 Depth=1
	s_or_b32 exec_lo, exec_lo, s13
	v_cmp_ne_u16_sdwa s0, v10, v11 src0_sel:BYTE_1 src1_sel:DWORD
	s_and_saveexec_b32 s13, s0
	s_cbranch_execz .LBB348_713
; %bb.706:                              ;   in Loop: Header=BB348_545 Depth=1
	v_cmp_ne_u16_sdwa s0, v10, v34 src0_sel:BYTE_1 src1_sel:DWORD
	v_bfrev_b32_e32 v20, 1
	s_and_saveexec_b32 s14, s0
	s_cbranch_execz .LBB348_712
; %bb.707:                              ;   in Loop: Header=BB348_545 Depth=1
	v_and_b32_sdwa v21, v35, v10 dst_sel:DWORD dst_unused:UNUSED_PAD src0_sel:DWORD src1_sel:BYTE_1
	v_mov_b32_e32 v20, 0x7f800001
	s_mov_b32 s15, exec_lo
	v_and_b32_e32 v66, 0x7f, v21
	v_cmpx_ne_u32_e32 0x7f, v66
	s_cbranch_execz .LBB348_711
; %bb.708:                              ;   in Loop: Header=BB348_545 Depth=1
	v_and_b32_e32 v20, 7, v21
	v_mov_b32_e32 v21, v11
	v_lshrrev_b32_e32 v65, 3, v66
	s_mov_b32 s16, exec_lo
	v_cmpx_gt_u32_e32 8, v66
; %bb.709:                              ;   in Loop: Header=BB348_545 Depth=1
	v_ffbh_u32_e32 v65, v20
	v_min_u32_e32 v65, 32, v65
	v_subrev_nc_u32_e32 v66, 28, v65
	v_sub_nc_u32_e32 v65, 29, v65
	v_lshlrev_b64 v[20:21], v66, v[20:21]
	v_and_b32_e32 v20, 7, v20
; %bb.710:                              ;   in Loop: Header=BB348_545 Depth=1
	s_or_b32 exec_lo, exec_lo, s16
	v_lshlrev_b32_e32 v10, 16, v10
	v_lshlrev_b32_e32 v20, 20, v20
	v_lshl_add_u32 v21, v65, 23, 0x3c000000
	v_and_b32_e32 v10, 0x80000000, v10
	v_or3_b32 v20, v20, v10, v21
.LBB348_711:                            ;   in Loop: Header=BB348_545 Depth=1
	s_or_b32 exec_lo, exec_lo, s15
.LBB348_712:                            ;   in Loop: Header=BB348_545 Depth=1
	s_or_b32 exec_lo, exec_lo, s14
.LBB348_713:                            ;   in Loop: Header=BB348_545 Depth=1
	s_or_b32 exec_lo, exec_lo, s13
	v_and_b32_sdwa v10, v19, v36 dst_sel:DWORD dst_unused:UNUSED_PAD src0_sel:WORD_1 src1_sel:DWORD
	v_mov_b32_e32 v21, 0
	v_mov_b32_e32 v66, 0
	s_mov_b32 s13, exec_lo
	v_cmpx_ne_u16_e32 0, v10
	s_cbranch_execz .LBB348_721
; %bb.714:                              ;   in Loop: Header=BB348_545 Depth=1
	v_bfrev_b32_e32 v66, 1
	s_mov_b32 s14, exec_lo
	v_cmpx_ne_u16_e32 0x80, v10
	s_cbranch_execz .LBB348_720
; %bb.715:                              ;   in Loop: Header=BB348_545 Depth=1
	v_bfe_u32 v67, v19, 16, 7
	v_mov_b32_e32 v66, 0x7f800001
	s_mov_b32 s15, exec_lo
	v_cmpx_ne_u32_e32 0x7f, v67
	s_cbranch_execz .LBB348_719
; %bb.716:                              ;   in Loop: Header=BB348_545 Depth=1
	v_and_b32_sdwa v10, v19, v37 dst_sel:DWORD dst_unused:UNUSED_PAD src0_sel:WORD_1 src1_sel:DWORD
	v_lshrrev_b32_e32 v65, 3, v67
	s_mov_b32 s16, exec_lo
	v_cmpx_gt_u32_e32 8, v67
; %bb.717:                              ;   in Loop: Header=BB348_545 Depth=1
	v_ffbh_u32_e32 v65, v10
	v_min_u32_e32 v65, 32, v65
	v_subrev_nc_u32_e32 v66, 28, v65
	v_sub_nc_u32_e32 v65, 29, v65
	v_lshlrev_b64 v[66:67], v66, v[10:11]
	v_and_b32_e32 v10, 7, v66
; %bb.718:                              ;   in Loop: Header=BB348_545 Depth=1
	s_or_b32 exec_lo, exec_lo, s16
	v_lshlrev_b32_sdwa v66, v38, v19 dst_sel:DWORD dst_unused:UNUSED_PAD src0_sel:DWORD src1_sel:WORD_1
	v_lshlrev_b32_e32 v10, 20, v10
	v_lshl_add_u32 v65, v65, 23, 0x3c000000
	v_and_b32_e32 v66, 0x80000000, v66
	v_or3_b32 v66, v10, v66, v65
.LBB348_719:                            ;   in Loop: Header=BB348_545 Depth=1
	s_or_b32 exec_lo, exec_lo, s15
.LBB348_720:                            ;   in Loop: Header=BB348_545 Depth=1
	s_or_b32 exec_lo, exec_lo, s14
.LBB348_721:                            ;   in Loop: Header=BB348_545 Depth=1
	s_or_b32 exec_lo, exec_lo, s13
	s_mov_b32 s13, exec_lo
	v_cmpx_lt_u64_e64 s[4:5], v[18:19]
	s_cbranch_execz .LBB348_729
; %bb.722:                              ;   in Loop: Header=BB348_545 Depth=1
	v_cmp_ne_u32_sdwa s0, v19, v34 src0_sel:BYTE_3 src1_sel:DWORD
	v_bfrev_b32_e32 v21, 1
	s_and_saveexec_b32 s14, s0
	s_cbranch_execz .LBB348_728
; %bb.723:                              ;   in Loop: Header=BB348_545 Depth=1
	v_bfe_u32 v65, v19, 24, 7
	v_mov_b32_e32 v21, 0x7f800001
	s_mov_b32 s15, exec_lo
	v_cmpx_ne_u32_e32 0x7f, v65
	s_cbranch_execz .LBB348_727
; %bb.724:                              ;   in Loop: Header=BB348_545 Depth=1
	v_and_b32_sdwa v10, v19, v37 dst_sel:DWORD dst_unused:UNUSED_PAD src0_sel:BYTE_3 src1_sel:DWORD
	v_lshrrev_b32_e32 v18, 3, v65
	s_mov_b32 s16, exec_lo
	v_cmpx_gt_u32_e32 8, v65
; %bb.725:                              ;   in Loop: Header=BB348_545 Depth=1
	v_ffbh_u32_e32 v18, v10
	v_min_u32_e32 v18, 32, v18
	v_subrev_nc_u32_e32 v21, 28, v18
	v_sub_nc_u32_e32 v18, 29, v18
	v_lshlrev_b64 v[67:68], v21, v[10:11]
	v_and_b32_e32 v10, 7, v67
; %bb.726:                              ;   in Loop: Header=BB348_545 Depth=1
	s_or_b32 exec_lo, exec_lo, s16
	v_lshlrev_b32_sdwa v19, v38, v19 dst_sel:DWORD dst_unused:UNUSED_PAD src0_sel:DWORD src1_sel:BYTE_3
	v_lshlrev_b32_e32 v10, 20, v10
	v_lshl_add_u32 v18, v18, 23, 0x3c000000
	v_and_b32_e32 v19, 0x80000000, v19
	v_or3_b32 v21, v10, v19, v18
.LBB348_727:                            ;   in Loop: Header=BB348_545 Depth=1
	s_or_b32 exec_lo, exec_lo, s15
.LBB348_728:                            ;   in Loop: Header=BB348_545 Depth=1
	s_or_b32 exec_lo, exec_lo, s14
.LBB348_729:                            ;   in Loop: Header=BB348_545 Depth=1
	s_or_b32 exec_lo, exec_lo, s13
	v_mul_f32_e32 v10, s6, v20
	v_mul_f32_e32 v18, s6, v64
	;; [unrolled: 1-line block ×5, first 2 shown]
	v_bfe_u32 v62, v10, 16, 1
	v_or_b32_e32 v63, 0x400000, v10
	v_bfe_u32 v64, v18, 16, 1
	v_cmp_u_f32_e64 s0, v10, v10
	v_or_b32_e32 v65, 0x400000, v18
	v_add3_u32 v62, v62, v10, 0x7fff
	v_bfe_u32 v67, v19, 16, 1
	v_add3_u32 v64, v64, v18, 0x7fff
	v_or_b32_e32 v68, 0x400000, v19
	v_bfe_u32 v69, v20, 16, 1
	v_cndmask_b32_e64 v10, v62, v63, s0
	v_cmp_u_f32_e64 s0, v18, v18
	v_add3_u32 v67, v67, v19, 0x7fff
	v_mul_f32_e32 v21, s6, v21
	v_lshrrev_b32_e32 v62, 16, v10
	v_cndmask_b32_e64 v18, v64, v65, s0
	v_cmp_u_f32_e64 s0, v19, v19
	v_mul_f32_e32 v10, s6, v22
	v_add3_u32 v22, v69, v20, 0x7fff
	v_or_b32_e32 v64, 0x400000, v20
	v_lshrrev_b32_e32 v63, 16, v18
	v_cndmask_b32_e64 v19, v67, v68, s0
	v_bfe_u32 v18, v10, 16, 1
	v_cmp_u_f32_e64 s0, v20, v20
	v_mul_f32_e32 v20, s6, v66
	v_or_b32_e32 v68, 0x400000, v21
	v_lshrrev_b32_e32 v65, 16, v19
	v_add3_u32 v18, v18, v10, 0x7fff
	v_cndmask_b32_e64 v19, v22, v64, s0
	v_or_b32_e32 v22, 0x400000, v10
	v_bfe_u32 v64, v0, 16, 1
	v_cmp_u_f32_e64 s0, v10, v10
	v_bfe_u32 v66, v20, 16, 1
	v_or_b32_e32 v67, 0x400000, v20
	v_cndmask_b32_e64 v10, v18, v22, s0
	v_add3_u32 v22, v64, v0, 0x7fff
	v_or_b32_e32 v64, 0x400000, v0
	v_cmp_u_f32_e64 s0, v0, v0
	v_bfe_u32 v18, v21, 16, 1
	v_add3_u32 v66, v66, v20, 0x7fff
	v_lshrrev_b32_e32 v69, 16, v10
	v_cndmask_b32_e64 v0, v22, v64, s0
	v_cmp_u_f32_e64 s0, v20, v20
	v_add3_u32 v18, v18, v21, 0x7fff
	v_cndmask_b32_e64 v20, v66, v67, s0
	v_cmp_u_f32_e64 s0, v21, v21
	v_lshrrev_b32_e32 v67, 16, v19
	v_lshrrev_b32_e32 v64, 16, v20
	v_cndmask_b32_e64 v18, v18, v68, s0
	v_lshrrev_b32_e32 v68, 16, v0
	v_lshrrev_b32_e32 v66, 16, v18
	s_and_saveexec_b32 s13, vcc_lo
	s_cbranch_execz .LBB348_731
; %bb.730:                              ;   in Loop: Header=BB348_545 Depth=1
	v_cmp_gt_i32_e64 s0, s27, v47
	v_cndmask_b32_e64 v68, 0, v68, s0
	v_cmp_gt_i32_e64 s0, s27, v58
	v_cndmask_b32_e64 v69, 0, v69, s0
	;; [unrolled: 2-line block ×8, first 2 shown]
.LBB348_731:                            ;   in Loop: Header=BB348_545 Depth=1
	s_or_b32 exec_lo, exec_lo, s13
	global_load_dwordx2 v[18:19], v[16:17], off offset:768
	v_mov_b32_e32 v22, 0
	v_mov_b32_e32 v0, 0
	s_waitcnt vmcnt(0)
	v_cmp_ne_u16_sdwa s0, v18, v11 src0_sel:BYTE_0 src1_sel:DWORD
	s_and_saveexec_b32 s13, s0
	s_cbranch_execz .LBB348_737
; %bb.732:                              ;   in Loop: Header=BB348_545 Depth=1
	v_cmp_ne_u16_sdwa s0, v18, v34 src0_sel:BYTE_0 src1_sel:DWORD
	v_bfrev_b32_e32 v0, 1
	s_and_saveexec_b32 s14, s0
	s_cbranch_execz .LBB348_736
; %bb.733:                              ;   in Loop: Header=BB348_545 Depth=1
	v_and_b32_e32 v10, 0x7f, v18
	v_mov_b32_e32 v0, 0x7f800001
	s_mov_b32 s15, exec_lo
	v_cmpx_ne_u32_e32 0x7f, v10
	s_cbranch_execz .LBB348_735
; %bb.734:                              ;   in Loop: Header=BB348_545 Depth=1
	v_and_b32_e32 v0, 7, v18
	v_cmp_gt_u32_e64 s0, 8, v10
	v_lshrrev_b32_e32 v20, 3, v10
	v_ffbh_u32_e32 v0, v0
	v_min_u32_e32 v0, 32, v0
	v_subrev_nc_u32_e32 v21, 28, v0
	v_sub_nc_u32_e32 v0, 29, v0
	v_cndmask_b32_e64 v10, 0, v21, s0
	v_cndmask_b32_e64 v0, v20, v0, s0
	v_lshlrev_b64 v[20:21], v10, v[18:19]
	v_lshlrev_b32_e32 v10, 24, v18
	v_lshl_add_u32 v0, v0, 23, 0x3c000000
	v_and_b32_e32 v10, 0x80000000, v10
	v_lshlrev_b32_e32 v20, 20, v20
	v_and_b32_e32 v20, 0x700000, v20
	v_or3_b32 v0, v20, v10, v0
.LBB348_735:                            ;   in Loop: Header=BB348_545 Depth=1
	s_or_b32 exec_lo, exec_lo, s15
.LBB348_736:                            ;   in Loop: Header=BB348_545 Depth=1
	s_or_b32 exec_lo, exec_lo, s14
.LBB348_737:                            ;   in Loop: Header=BB348_545 Depth=1
	s_or_b32 exec_lo, exec_lo, s13
	v_cmp_ne_u16_sdwa s0, v18, v11 src0_sel:BYTE_1 src1_sel:DWORD
	s_and_saveexec_b32 s13, s0
	s_cbranch_execz .LBB348_745
; %bb.738:                              ;   in Loop: Header=BB348_545 Depth=1
	v_cmp_ne_u16_sdwa s0, v18, v34 src0_sel:BYTE_1 src1_sel:DWORD
	v_bfrev_b32_e32 v22, 1
	s_and_saveexec_b32 s14, s0
	s_cbranch_execz .LBB348_744
; %bb.739:                              ;   in Loop: Header=BB348_545 Depth=1
	v_and_b32_sdwa v10, v35, v18 dst_sel:DWORD dst_unused:UNUSED_PAD src0_sel:DWORD src1_sel:BYTE_1
	v_mov_b32_e32 v22, 0x7f800001
	s_mov_b32 s15, exec_lo
	v_and_b32_e32 v21, 0x7f, v10
	v_cmpx_ne_u32_e32 0x7f, v21
	s_cbranch_execz .LBB348_743
; %bb.740:                              ;   in Loop: Header=BB348_545 Depth=1
	v_and_b32_e32 v10, 7, v10
	v_lshrrev_b32_e32 v20, 3, v21
	s_mov_b32 s16, exec_lo
	v_cmpx_gt_u32_e32 8, v21
; %bb.741:                              ;   in Loop: Header=BB348_545 Depth=1
	v_ffbh_u32_e32 v20, v10
	v_min_u32_e32 v20, 32, v20
	v_subrev_nc_u32_e32 v21, 28, v20
	v_sub_nc_u32_e32 v20, 29, v20
	v_lshlrev_b64 v[21:22], v21, v[10:11]
	v_and_b32_e32 v10, 7, v21
; %bb.742:                              ;   in Loop: Header=BB348_545 Depth=1
	s_or_b32 exec_lo, exec_lo, s16
	v_lshlrev_b32_e32 v21, 16, v18
	v_lshlrev_b32_e32 v10, 20, v10
	v_lshl_add_u32 v20, v20, 23, 0x3c000000
	v_and_b32_e32 v21, 0x80000000, v21
	v_or3_b32 v22, v10, v21, v20
.LBB348_743:                            ;   in Loop: Header=BB348_545 Depth=1
	s_or_b32 exec_lo, exec_lo, s15
.LBB348_744:                            ;   in Loop: Header=BB348_545 Depth=1
	s_or_b32 exec_lo, exec_lo, s14
.LBB348_745:                            ;   in Loop: Header=BB348_545 Depth=1
	s_or_b32 exec_lo, exec_lo, s13
	v_and_b32_sdwa v10, v18, v36 dst_sel:DWORD dst_unused:UNUSED_PAD src0_sel:WORD_1 src1_sel:DWORD
	v_mov_b32_e32 v71, 0
	v_mov_b32_e32 v70, 0
	s_mov_b32 s13, exec_lo
	v_cmpx_ne_u16_e32 0, v10
	s_cbranch_execz .LBB348_753
; %bb.746:                              ;   in Loop: Header=BB348_545 Depth=1
	v_bfrev_b32_e32 v70, 1
	s_mov_b32 s14, exec_lo
	v_cmpx_ne_u16_e32 0x80, v10
	s_cbranch_execz .LBB348_752
; %bb.747:                              ;   in Loop: Header=BB348_545 Depth=1
	v_bfe_u32 v21, v18, 16, 7
	v_mov_b32_e32 v70, 0x7f800001
	s_mov_b32 s15, exec_lo
	v_cmpx_ne_u32_e32 0x7f, v21
	s_cbranch_execz .LBB348_751
; %bb.748:                              ;   in Loop: Header=BB348_545 Depth=1
	v_and_b32_sdwa v10, v18, v37 dst_sel:DWORD dst_unused:UNUSED_PAD src0_sel:WORD_1 src1_sel:DWORD
	v_lshrrev_b32_e32 v20, 3, v21
	s_mov_b32 s16, exec_lo
	v_cmpx_gt_u32_e32 8, v21
; %bb.749:                              ;   in Loop: Header=BB348_545 Depth=1
	v_ffbh_u32_e32 v20, v10
	v_min_u32_e32 v20, 32, v20
	v_subrev_nc_u32_e32 v21, 28, v20
	v_sub_nc_u32_e32 v20, 29, v20
	v_lshlrev_b64 v[72:73], v21, v[10:11]
	v_and_b32_e32 v10, 7, v72
; %bb.750:                              ;   in Loop: Header=BB348_545 Depth=1
	s_or_b32 exec_lo, exec_lo, s16
	v_lshlrev_b32_sdwa v21, v38, v18 dst_sel:DWORD dst_unused:UNUSED_PAD src0_sel:DWORD src1_sel:WORD_1
	v_lshlrev_b32_e32 v10, 20, v10
	v_lshl_add_u32 v20, v20, 23, 0x3c000000
	v_and_b32_e32 v21, 0x80000000, v21
	v_or3_b32 v70, v10, v21, v20
.LBB348_751:                            ;   in Loop: Header=BB348_545 Depth=1
	s_or_b32 exec_lo, exec_lo, s15
.LBB348_752:                            ;   in Loop: Header=BB348_545 Depth=1
	s_or_b32 exec_lo, exec_lo, s14
.LBB348_753:                            ;   in Loop: Header=BB348_545 Depth=1
	s_or_b32 exec_lo, exec_lo, s13
	s_mov_b32 s13, exec_lo
	v_cmpx_lt_u32_e32 0xffffff, v18
	s_cbranch_execz .LBB348_761
; %bb.754:                              ;   in Loop: Header=BB348_545 Depth=1
	v_cmp_ne_u32_sdwa s0, v18, v34 src0_sel:BYTE_3 src1_sel:DWORD
	v_bfrev_b32_e32 v71, 1
	s_and_saveexec_b32 s14, s0
	s_cbranch_execz .LBB348_760
; %bb.755:                              ;   in Loop: Header=BB348_545 Depth=1
	v_bfe_u32 v21, v18, 24, 7
	v_mov_b32_e32 v71, 0x7f800001
	s_mov_b32 s15, exec_lo
	v_cmpx_ne_u32_e32 0x7f, v21
	s_cbranch_execz .LBB348_759
; %bb.756:                              ;   in Loop: Header=BB348_545 Depth=1
	v_and_b32_sdwa v10, v18, v37 dst_sel:DWORD dst_unused:UNUSED_PAD src0_sel:BYTE_3 src1_sel:DWORD
	v_lshrrev_b32_e32 v20, 3, v21
	s_mov_b32 s16, exec_lo
	v_cmpx_gt_u32_e32 8, v21
; %bb.757:                              ;   in Loop: Header=BB348_545 Depth=1
	v_ffbh_u32_e32 v20, v10
	v_min_u32_e32 v20, 32, v20
	v_subrev_nc_u32_e32 v21, 28, v20
	v_sub_nc_u32_e32 v20, 29, v20
	v_lshlrev_b64 v[71:72], v21, v[10:11]
	v_and_b32_e32 v10, 7, v71
; %bb.758:                              ;   in Loop: Header=BB348_545 Depth=1
	s_or_b32 exec_lo, exec_lo, s16
	v_lshlrev_b32_sdwa v21, v38, v18 dst_sel:DWORD dst_unused:UNUSED_PAD src0_sel:DWORD src1_sel:BYTE_3
	v_lshlrev_b32_e32 v10, 20, v10
	v_lshl_add_u32 v20, v20, 23, 0x3c000000
	v_and_b32_e32 v21, 0x80000000, v21
	v_or3_b32 v71, v10, v21, v20
.LBB348_759:                            ;   in Loop: Header=BB348_545 Depth=1
	s_or_b32 exec_lo, exec_lo, s15
.LBB348_760:                            ;   in Loop: Header=BB348_545 Depth=1
	s_or_b32 exec_lo, exec_lo, s14
.LBB348_761:                            ;   in Loop: Header=BB348_545 Depth=1
	s_or_b32 exec_lo, exec_lo, s13
	v_mov_b32_e32 v10, v19
	v_cmp_ne_u16_sdwa s0, v19, v11 src0_sel:BYTE_0 src1_sel:DWORD
	v_mov_b32_e32 v20, 0
	v_mov_b32_e32 v72, 0
	s_and_saveexec_b32 s13, s0
	s_cbranch_execz .LBB348_767
; %bb.762:                              ;   in Loop: Header=BB348_545 Depth=1
	v_cmp_ne_u16_sdwa s0, v19, v34 src0_sel:BYTE_0 src1_sel:DWORD
	v_bfrev_b32_e32 v72, 1
	s_and_saveexec_b32 s14, s0
	s_cbranch_execz .LBB348_766
; %bb.763:                              ;   in Loop: Header=BB348_545 Depth=1
	v_and_b32_e32 v21, 0x7f, v19
	v_mov_b32_e32 v72, 0x7f800001
	s_mov_b32 s15, exec_lo
	v_cmpx_ne_u32_e32 0x7f, v21
	s_cbranch_execz .LBB348_765
; %bb.764:                              ;   in Loop: Header=BB348_545 Depth=1
	v_and_b32_e32 v72, 7, v19
	v_lshrrev_b32_e32 v73, 3, v21
	v_cmp_gt_u32_e64 s0, 8, v21
	v_ffbh_u32_e32 v72, v72
	v_min_u32_e32 v72, 32, v72
	v_subrev_nc_u32_e32 v74, 28, v72
	v_sub_nc_u32_e32 v72, 29, v72
	v_cndmask_b32_e64 v21, v73, v72, s0
	v_cndmask_b32_e64 v72, 0, v74, s0
	v_lshl_add_u32 v21, v21, 23, 0x3c000000
	v_lshlrev_b64 v[72:73], v72, v[10:11]
	v_lshlrev_b32_e32 v73, 24, v10
	v_lshlrev_b32_e32 v72, 20, v72
	v_and_b32_e32 v73, 0x80000000, v73
	v_and_b32_e32 v72, 0x700000, v72
	v_or3_b32 v72, v72, v73, v21
.LBB348_765:                            ;   in Loop: Header=BB348_545 Depth=1
	s_or_b32 exec_lo, exec_lo, s15
.LBB348_766:                            ;   in Loop: Header=BB348_545 Depth=1
	s_or_b32 exec_lo, exec_lo, s14
.LBB348_767:                            ;   in Loop: Header=BB348_545 Depth=1
	s_or_b32 exec_lo, exec_lo, s13
	v_cmp_ne_u16_sdwa s0, v10, v11 src0_sel:BYTE_1 src1_sel:DWORD
	s_and_saveexec_b32 s13, s0
	s_cbranch_execz .LBB348_775
; %bb.768:                              ;   in Loop: Header=BB348_545 Depth=1
	v_cmp_ne_u16_sdwa s0, v10, v34 src0_sel:BYTE_1 src1_sel:DWORD
	v_bfrev_b32_e32 v20, 1
	s_and_saveexec_b32 s14, s0
	s_cbranch_execz .LBB348_774
; %bb.769:                              ;   in Loop: Header=BB348_545 Depth=1
	v_and_b32_sdwa v21, v35, v10 dst_sel:DWORD dst_unused:UNUSED_PAD src0_sel:DWORD src1_sel:BYTE_1
	v_mov_b32_e32 v20, 0x7f800001
	s_mov_b32 s15, exec_lo
	v_and_b32_e32 v74, 0x7f, v21
	v_cmpx_ne_u32_e32 0x7f, v74
	s_cbranch_execz .LBB348_773
; %bb.770:                              ;   in Loop: Header=BB348_545 Depth=1
	v_and_b32_e32 v20, 7, v21
	v_mov_b32_e32 v21, v11
	v_lshrrev_b32_e32 v73, 3, v74
	s_mov_b32 s16, exec_lo
	v_cmpx_gt_u32_e32 8, v74
; %bb.771:                              ;   in Loop: Header=BB348_545 Depth=1
	v_ffbh_u32_e32 v73, v20
	v_min_u32_e32 v73, 32, v73
	v_subrev_nc_u32_e32 v74, 28, v73
	v_sub_nc_u32_e32 v73, 29, v73
	v_lshlrev_b64 v[20:21], v74, v[20:21]
	v_and_b32_e32 v20, 7, v20
; %bb.772:                              ;   in Loop: Header=BB348_545 Depth=1
	s_or_b32 exec_lo, exec_lo, s16
	v_lshlrev_b32_e32 v10, 16, v10
	v_lshlrev_b32_e32 v20, 20, v20
	v_lshl_add_u32 v21, v73, 23, 0x3c000000
	v_and_b32_e32 v10, 0x80000000, v10
	v_or3_b32 v20, v20, v10, v21
.LBB348_773:                            ;   in Loop: Header=BB348_545 Depth=1
	s_or_b32 exec_lo, exec_lo, s15
.LBB348_774:                            ;   in Loop: Header=BB348_545 Depth=1
	s_or_b32 exec_lo, exec_lo, s14
.LBB348_775:                            ;   in Loop: Header=BB348_545 Depth=1
	s_or_b32 exec_lo, exec_lo, s13
	v_and_b32_sdwa v10, v19, v36 dst_sel:DWORD dst_unused:UNUSED_PAD src0_sel:WORD_1 src1_sel:DWORD
	v_mov_b32_e32 v21, 0
	v_mov_b32_e32 v74, 0
	s_mov_b32 s13, exec_lo
	v_cmpx_ne_u16_e32 0, v10
	s_cbranch_execz .LBB348_783
; %bb.776:                              ;   in Loop: Header=BB348_545 Depth=1
	v_bfrev_b32_e32 v74, 1
	s_mov_b32 s14, exec_lo
	v_cmpx_ne_u16_e32 0x80, v10
	s_cbranch_execz .LBB348_782
; %bb.777:                              ;   in Loop: Header=BB348_545 Depth=1
	v_bfe_u32 v75, v19, 16, 7
	v_mov_b32_e32 v74, 0x7f800001
	s_mov_b32 s15, exec_lo
	v_cmpx_ne_u32_e32 0x7f, v75
	s_cbranch_execz .LBB348_781
; %bb.778:                              ;   in Loop: Header=BB348_545 Depth=1
	v_and_b32_sdwa v10, v19, v37 dst_sel:DWORD dst_unused:UNUSED_PAD src0_sel:WORD_1 src1_sel:DWORD
	v_lshrrev_b32_e32 v73, 3, v75
	s_mov_b32 s16, exec_lo
	v_cmpx_gt_u32_e32 8, v75
; %bb.779:                              ;   in Loop: Header=BB348_545 Depth=1
	v_ffbh_u32_e32 v73, v10
	v_min_u32_e32 v73, 32, v73
	v_subrev_nc_u32_e32 v74, 28, v73
	v_sub_nc_u32_e32 v73, 29, v73
	v_lshlrev_b64 v[74:75], v74, v[10:11]
	v_and_b32_e32 v10, 7, v74
; %bb.780:                              ;   in Loop: Header=BB348_545 Depth=1
	s_or_b32 exec_lo, exec_lo, s16
	v_lshlrev_b32_sdwa v74, v38, v19 dst_sel:DWORD dst_unused:UNUSED_PAD src0_sel:DWORD src1_sel:WORD_1
	v_lshlrev_b32_e32 v10, 20, v10
	v_lshl_add_u32 v73, v73, 23, 0x3c000000
	v_and_b32_e32 v74, 0x80000000, v74
	v_or3_b32 v74, v10, v74, v73
.LBB348_781:                            ;   in Loop: Header=BB348_545 Depth=1
	s_or_b32 exec_lo, exec_lo, s15
.LBB348_782:                            ;   in Loop: Header=BB348_545 Depth=1
	s_or_b32 exec_lo, exec_lo, s14
.LBB348_783:                            ;   in Loop: Header=BB348_545 Depth=1
	s_or_b32 exec_lo, exec_lo, s13
	s_mov_b32 s13, exec_lo
	v_cmpx_lt_u64_e64 s[4:5], v[18:19]
	s_cbranch_execz .LBB348_791
; %bb.784:                              ;   in Loop: Header=BB348_545 Depth=1
	v_cmp_ne_u32_sdwa s0, v19, v34 src0_sel:BYTE_3 src1_sel:DWORD
	v_bfrev_b32_e32 v21, 1
	s_and_saveexec_b32 s14, s0
	s_cbranch_execz .LBB348_790
; %bb.785:                              ;   in Loop: Header=BB348_545 Depth=1
	v_bfe_u32 v73, v19, 24, 7
	v_mov_b32_e32 v21, 0x7f800001
	s_mov_b32 s15, exec_lo
	v_cmpx_ne_u32_e32 0x7f, v73
	s_cbranch_execz .LBB348_789
; %bb.786:                              ;   in Loop: Header=BB348_545 Depth=1
	v_and_b32_sdwa v10, v19, v37 dst_sel:DWORD dst_unused:UNUSED_PAD src0_sel:BYTE_3 src1_sel:DWORD
	v_lshrrev_b32_e32 v18, 3, v73
	s_mov_b32 s16, exec_lo
	v_cmpx_gt_u32_e32 8, v73
; %bb.787:                              ;   in Loop: Header=BB348_545 Depth=1
	v_ffbh_u32_e32 v18, v10
	v_min_u32_e32 v18, 32, v18
	v_subrev_nc_u32_e32 v21, 28, v18
	v_sub_nc_u32_e32 v18, 29, v18
	v_lshlrev_b64 v[75:76], v21, v[10:11]
	v_and_b32_e32 v10, 7, v75
; %bb.788:                              ;   in Loop: Header=BB348_545 Depth=1
	s_or_b32 exec_lo, exec_lo, s16
	v_lshlrev_b32_sdwa v19, v38, v19 dst_sel:DWORD dst_unused:UNUSED_PAD src0_sel:DWORD src1_sel:BYTE_3
	v_lshlrev_b32_e32 v10, 20, v10
	v_lshl_add_u32 v18, v18, 23, 0x3c000000
	v_and_b32_e32 v19, 0x80000000, v19
	v_or3_b32 v21, v10, v19, v18
.LBB348_789:                            ;   in Loop: Header=BB348_545 Depth=1
	s_or_b32 exec_lo, exec_lo, s15
.LBB348_790:                            ;   in Loop: Header=BB348_545 Depth=1
	s_or_b32 exec_lo, exec_lo, s14
.LBB348_791:                            ;   in Loop: Header=BB348_545 Depth=1
	s_or_b32 exec_lo, exec_lo, s13
	v_mul_f32_e32 v10, s6, v20
	v_mul_f32_e32 v18, s6, v72
	v_mul_f32_e32 v20, s6, v70
	v_mul_f32_e32 v19, s6, v71
	v_mul_f32_e32 v0, s6, v0
	v_bfe_u32 v70, v10, 16, 1
	v_or_b32_e32 v71, 0x400000, v10
	v_bfe_u32 v72, v18, 16, 1
	v_cmp_u_f32_e64 s0, v10, v10
	v_or_b32_e32 v73, 0x400000, v18
	v_add3_u32 v70, v70, v10, 0x7fff
	v_bfe_u32 v75, v19, 16, 1
	v_add3_u32 v72, v72, v18, 0x7fff
	v_or_b32_e32 v76, 0x400000, v19
	v_bfe_u32 v77, v20, 16, 1
	v_cndmask_b32_e64 v10, v70, v71, s0
	v_cmp_u_f32_e64 s0, v18, v18
	v_add3_u32 v75, v75, v19, 0x7fff
	v_mul_f32_e32 v21, s6, v21
	v_lshrrev_b32_e32 v70, 16, v10
	v_cndmask_b32_e64 v18, v72, v73, s0
	v_cmp_u_f32_e64 s0, v19, v19
	v_mul_f32_e32 v10, s6, v22
	v_add3_u32 v22, v77, v20, 0x7fff
	v_or_b32_e32 v72, 0x400000, v20
	v_lshrrev_b32_e32 v71, 16, v18
	v_cndmask_b32_e64 v19, v75, v76, s0
	v_bfe_u32 v18, v10, 16, 1
	v_cmp_u_f32_e64 s0, v20, v20
	v_mul_f32_e32 v20, s6, v74
	v_or_b32_e32 v76, 0x400000, v21
	v_lshrrev_b32_e32 v73, 16, v19
	v_add3_u32 v18, v18, v10, 0x7fff
	v_cndmask_b32_e64 v19, v22, v72, s0
	v_or_b32_e32 v22, 0x400000, v10
	v_bfe_u32 v72, v0, 16, 1
	v_cmp_u_f32_e64 s0, v10, v10
	v_bfe_u32 v74, v20, 16, 1
	v_or_b32_e32 v75, 0x400000, v20
	v_cndmask_b32_e64 v10, v18, v22, s0
	v_add3_u32 v22, v72, v0, 0x7fff
	v_or_b32_e32 v72, 0x400000, v0
	v_cmp_u_f32_e64 s0, v0, v0
	v_bfe_u32 v18, v21, 16, 1
	v_add3_u32 v74, v74, v20, 0x7fff
	v_lshrrev_b32_e32 v77, 16, v10
	v_cndmask_b32_e64 v0, v22, v72, s0
	v_cmp_u_f32_e64 s0, v20, v20
	v_add3_u32 v18, v18, v21, 0x7fff
	v_cndmask_b32_e64 v20, v74, v75, s0
	v_cmp_u_f32_e64 s0, v21, v21
	v_lshrrev_b32_e32 v75, 16, v19
	v_lshrrev_b32_e32 v72, 16, v20
	v_cndmask_b32_e64 v18, v18, v76, s0
	v_lshrrev_b32_e32 v76, 16, v0
	v_lshrrev_b32_e32 v74, 16, v18
	s_and_saveexec_b32 s13, vcc_lo
	s_cbranch_execz .LBB348_793
; %bb.792:                              ;   in Loop: Header=BB348_545 Depth=1
	v_cmp_gt_i32_e64 s0, s27, v47
	v_cndmask_b32_e64 v76, 0, v76, s0
	v_cmp_gt_i32_e64 s0, s27, v58
	v_cndmask_b32_e64 v77, 0, v77, s0
	;; [unrolled: 2-line block ×8, first 2 shown]
.LBB348_793:                            ;   in Loop: Header=BB348_545 Depth=1
	s_or_b32 exec_lo, exec_lo, s13
	global_load_dwordx2 v[18:19], v[16:17], off offset:1024
	v_mov_b32_e32 v22, 0
	v_mov_b32_e32 v0, 0
	s_waitcnt vmcnt(0)
	v_cmp_ne_u16_sdwa s0, v18, v11 src0_sel:BYTE_0 src1_sel:DWORD
	s_and_saveexec_b32 s13, s0
	s_cbranch_execz .LBB348_799
; %bb.794:                              ;   in Loop: Header=BB348_545 Depth=1
	v_cmp_ne_u16_sdwa s0, v18, v34 src0_sel:BYTE_0 src1_sel:DWORD
	v_bfrev_b32_e32 v0, 1
	s_and_saveexec_b32 s14, s0
	s_cbranch_execz .LBB348_798
; %bb.795:                              ;   in Loop: Header=BB348_545 Depth=1
	v_and_b32_e32 v10, 0x7f, v18
	v_mov_b32_e32 v0, 0x7f800001
	s_mov_b32 s15, exec_lo
	v_cmpx_ne_u32_e32 0x7f, v10
	s_cbranch_execz .LBB348_797
; %bb.796:                              ;   in Loop: Header=BB348_545 Depth=1
	v_and_b32_e32 v0, 7, v18
	v_cmp_gt_u32_e64 s0, 8, v10
	v_lshrrev_b32_e32 v20, 3, v10
	v_ffbh_u32_e32 v0, v0
	v_min_u32_e32 v0, 32, v0
	v_subrev_nc_u32_e32 v21, 28, v0
	v_sub_nc_u32_e32 v0, 29, v0
	v_cndmask_b32_e64 v10, 0, v21, s0
	v_cndmask_b32_e64 v0, v20, v0, s0
	v_lshlrev_b64 v[20:21], v10, v[18:19]
	v_lshlrev_b32_e32 v10, 24, v18
	v_lshl_add_u32 v0, v0, 23, 0x3c000000
	v_and_b32_e32 v10, 0x80000000, v10
	v_lshlrev_b32_e32 v20, 20, v20
	v_and_b32_e32 v20, 0x700000, v20
	v_or3_b32 v0, v20, v10, v0
.LBB348_797:                            ;   in Loop: Header=BB348_545 Depth=1
	s_or_b32 exec_lo, exec_lo, s15
.LBB348_798:                            ;   in Loop: Header=BB348_545 Depth=1
	s_or_b32 exec_lo, exec_lo, s14
.LBB348_799:                            ;   in Loop: Header=BB348_545 Depth=1
	s_or_b32 exec_lo, exec_lo, s13
	v_cmp_ne_u16_sdwa s0, v18, v11 src0_sel:BYTE_1 src1_sel:DWORD
	s_and_saveexec_b32 s13, s0
	s_cbranch_execz .LBB348_807
; %bb.800:                              ;   in Loop: Header=BB348_545 Depth=1
	v_cmp_ne_u16_sdwa s0, v18, v34 src0_sel:BYTE_1 src1_sel:DWORD
	v_bfrev_b32_e32 v22, 1
	s_and_saveexec_b32 s14, s0
	s_cbranch_execz .LBB348_806
; %bb.801:                              ;   in Loop: Header=BB348_545 Depth=1
	v_and_b32_sdwa v10, v35, v18 dst_sel:DWORD dst_unused:UNUSED_PAD src0_sel:DWORD src1_sel:BYTE_1
	v_mov_b32_e32 v22, 0x7f800001
	s_mov_b32 s15, exec_lo
	v_and_b32_e32 v21, 0x7f, v10
	v_cmpx_ne_u32_e32 0x7f, v21
	s_cbranch_execz .LBB348_805
; %bb.802:                              ;   in Loop: Header=BB348_545 Depth=1
	v_and_b32_e32 v10, 7, v10
	v_lshrrev_b32_e32 v20, 3, v21
	s_mov_b32 s16, exec_lo
	v_cmpx_gt_u32_e32 8, v21
; %bb.803:                              ;   in Loop: Header=BB348_545 Depth=1
	v_ffbh_u32_e32 v20, v10
	v_min_u32_e32 v20, 32, v20
	v_subrev_nc_u32_e32 v21, 28, v20
	v_sub_nc_u32_e32 v20, 29, v20
	v_lshlrev_b64 v[21:22], v21, v[10:11]
	v_and_b32_e32 v10, 7, v21
; %bb.804:                              ;   in Loop: Header=BB348_545 Depth=1
	s_or_b32 exec_lo, exec_lo, s16
	v_lshlrev_b32_e32 v21, 16, v18
	v_lshlrev_b32_e32 v10, 20, v10
	v_lshl_add_u32 v20, v20, 23, 0x3c000000
	v_and_b32_e32 v21, 0x80000000, v21
	v_or3_b32 v22, v10, v21, v20
.LBB348_805:                            ;   in Loop: Header=BB348_545 Depth=1
	s_or_b32 exec_lo, exec_lo, s15
.LBB348_806:                            ;   in Loop: Header=BB348_545 Depth=1
	s_or_b32 exec_lo, exec_lo, s14
.LBB348_807:                            ;   in Loop: Header=BB348_545 Depth=1
	s_or_b32 exec_lo, exec_lo, s13
	v_and_b32_sdwa v10, v18, v36 dst_sel:DWORD dst_unused:UNUSED_PAD src0_sel:WORD_1 src1_sel:DWORD
	v_mov_b32_e32 v79, 0
	v_mov_b32_e32 v78, 0
	s_mov_b32 s13, exec_lo
	v_cmpx_ne_u16_e32 0, v10
	s_cbranch_execz .LBB348_815
; %bb.808:                              ;   in Loop: Header=BB348_545 Depth=1
	v_bfrev_b32_e32 v78, 1
	s_mov_b32 s14, exec_lo
	v_cmpx_ne_u16_e32 0x80, v10
	s_cbranch_execz .LBB348_814
; %bb.809:                              ;   in Loop: Header=BB348_545 Depth=1
	v_bfe_u32 v21, v18, 16, 7
	v_mov_b32_e32 v78, 0x7f800001
	s_mov_b32 s15, exec_lo
	v_cmpx_ne_u32_e32 0x7f, v21
	s_cbranch_execz .LBB348_813
; %bb.810:                              ;   in Loop: Header=BB348_545 Depth=1
	v_and_b32_sdwa v10, v18, v37 dst_sel:DWORD dst_unused:UNUSED_PAD src0_sel:WORD_1 src1_sel:DWORD
	v_lshrrev_b32_e32 v20, 3, v21
	s_mov_b32 s16, exec_lo
	v_cmpx_gt_u32_e32 8, v21
; %bb.811:                              ;   in Loop: Header=BB348_545 Depth=1
	v_ffbh_u32_e32 v20, v10
	v_min_u32_e32 v20, 32, v20
	v_subrev_nc_u32_e32 v21, 28, v20
	v_sub_nc_u32_e32 v20, 29, v20
	v_lshlrev_b64 v[80:81], v21, v[10:11]
	v_and_b32_e32 v10, 7, v80
; %bb.812:                              ;   in Loop: Header=BB348_545 Depth=1
	s_or_b32 exec_lo, exec_lo, s16
	v_lshlrev_b32_sdwa v21, v38, v18 dst_sel:DWORD dst_unused:UNUSED_PAD src0_sel:DWORD src1_sel:WORD_1
	v_lshlrev_b32_e32 v10, 20, v10
	v_lshl_add_u32 v20, v20, 23, 0x3c000000
	v_and_b32_e32 v21, 0x80000000, v21
	v_or3_b32 v78, v10, v21, v20
.LBB348_813:                            ;   in Loop: Header=BB348_545 Depth=1
	s_or_b32 exec_lo, exec_lo, s15
.LBB348_814:                            ;   in Loop: Header=BB348_545 Depth=1
	s_or_b32 exec_lo, exec_lo, s14
.LBB348_815:                            ;   in Loop: Header=BB348_545 Depth=1
	s_or_b32 exec_lo, exec_lo, s13
	s_mov_b32 s13, exec_lo
	v_cmpx_lt_u32_e32 0xffffff, v18
	s_cbranch_execz .LBB348_823
; %bb.816:                              ;   in Loop: Header=BB348_545 Depth=1
	v_cmp_ne_u32_sdwa s0, v18, v34 src0_sel:BYTE_3 src1_sel:DWORD
	v_bfrev_b32_e32 v79, 1
	s_and_saveexec_b32 s14, s0
	s_cbranch_execz .LBB348_822
; %bb.817:                              ;   in Loop: Header=BB348_545 Depth=1
	v_bfe_u32 v21, v18, 24, 7
	v_mov_b32_e32 v79, 0x7f800001
	s_mov_b32 s15, exec_lo
	v_cmpx_ne_u32_e32 0x7f, v21
	s_cbranch_execz .LBB348_821
; %bb.818:                              ;   in Loop: Header=BB348_545 Depth=1
	v_and_b32_sdwa v10, v18, v37 dst_sel:DWORD dst_unused:UNUSED_PAD src0_sel:BYTE_3 src1_sel:DWORD
	v_lshrrev_b32_e32 v20, 3, v21
	s_mov_b32 s16, exec_lo
	v_cmpx_gt_u32_e32 8, v21
; %bb.819:                              ;   in Loop: Header=BB348_545 Depth=1
	v_ffbh_u32_e32 v20, v10
	v_min_u32_e32 v20, 32, v20
	v_subrev_nc_u32_e32 v21, 28, v20
	v_sub_nc_u32_e32 v20, 29, v20
	v_lshlrev_b64 v[79:80], v21, v[10:11]
	v_and_b32_e32 v10, 7, v79
; %bb.820:                              ;   in Loop: Header=BB348_545 Depth=1
	s_or_b32 exec_lo, exec_lo, s16
	v_lshlrev_b32_sdwa v21, v38, v18 dst_sel:DWORD dst_unused:UNUSED_PAD src0_sel:DWORD src1_sel:BYTE_3
	v_lshlrev_b32_e32 v10, 20, v10
	v_lshl_add_u32 v20, v20, 23, 0x3c000000
	v_and_b32_e32 v21, 0x80000000, v21
	v_or3_b32 v79, v10, v21, v20
.LBB348_821:                            ;   in Loop: Header=BB348_545 Depth=1
	s_or_b32 exec_lo, exec_lo, s15
.LBB348_822:                            ;   in Loop: Header=BB348_545 Depth=1
	s_or_b32 exec_lo, exec_lo, s14
.LBB348_823:                            ;   in Loop: Header=BB348_545 Depth=1
	s_or_b32 exec_lo, exec_lo, s13
	v_mov_b32_e32 v10, v19
	v_cmp_ne_u16_sdwa s0, v19, v11 src0_sel:BYTE_0 src1_sel:DWORD
	v_mov_b32_e32 v20, 0
	v_mov_b32_e32 v80, 0
	s_and_saveexec_b32 s13, s0
	s_cbranch_execz .LBB348_829
; %bb.824:                              ;   in Loop: Header=BB348_545 Depth=1
	v_cmp_ne_u16_sdwa s0, v19, v34 src0_sel:BYTE_0 src1_sel:DWORD
	v_bfrev_b32_e32 v80, 1
	s_and_saveexec_b32 s14, s0
	s_cbranch_execz .LBB348_828
; %bb.825:                              ;   in Loop: Header=BB348_545 Depth=1
	v_and_b32_e32 v21, 0x7f, v19
	v_mov_b32_e32 v80, 0x7f800001
	s_mov_b32 s15, exec_lo
	v_cmpx_ne_u32_e32 0x7f, v21
	s_cbranch_execz .LBB348_827
; %bb.826:                              ;   in Loop: Header=BB348_545 Depth=1
	v_and_b32_e32 v80, 7, v19
	v_lshrrev_b32_e32 v81, 3, v21
	v_cmp_gt_u32_e64 s0, 8, v21
	v_ffbh_u32_e32 v80, v80
	v_min_u32_e32 v80, 32, v80
	v_subrev_nc_u32_e32 v82, 28, v80
	v_sub_nc_u32_e32 v80, 29, v80
	v_cndmask_b32_e64 v21, v81, v80, s0
	v_cndmask_b32_e64 v80, 0, v82, s0
	v_lshl_add_u32 v21, v21, 23, 0x3c000000
	v_lshlrev_b64 v[80:81], v80, v[10:11]
	v_lshlrev_b32_e32 v81, 24, v10
	v_lshlrev_b32_e32 v80, 20, v80
	v_and_b32_e32 v81, 0x80000000, v81
	v_and_b32_e32 v80, 0x700000, v80
	v_or3_b32 v80, v80, v81, v21
.LBB348_827:                            ;   in Loop: Header=BB348_545 Depth=1
	s_or_b32 exec_lo, exec_lo, s15
.LBB348_828:                            ;   in Loop: Header=BB348_545 Depth=1
	s_or_b32 exec_lo, exec_lo, s14
.LBB348_829:                            ;   in Loop: Header=BB348_545 Depth=1
	s_or_b32 exec_lo, exec_lo, s13
	v_cmp_ne_u16_sdwa s0, v10, v11 src0_sel:BYTE_1 src1_sel:DWORD
	s_and_saveexec_b32 s13, s0
	s_cbranch_execz .LBB348_837
; %bb.830:                              ;   in Loop: Header=BB348_545 Depth=1
	v_cmp_ne_u16_sdwa s0, v10, v34 src0_sel:BYTE_1 src1_sel:DWORD
	v_bfrev_b32_e32 v20, 1
	s_and_saveexec_b32 s14, s0
	s_cbranch_execz .LBB348_836
; %bb.831:                              ;   in Loop: Header=BB348_545 Depth=1
	v_and_b32_sdwa v21, v35, v10 dst_sel:DWORD dst_unused:UNUSED_PAD src0_sel:DWORD src1_sel:BYTE_1
	v_mov_b32_e32 v20, 0x7f800001
	s_mov_b32 s15, exec_lo
	v_and_b32_e32 v82, 0x7f, v21
	v_cmpx_ne_u32_e32 0x7f, v82
	s_cbranch_execz .LBB348_835
; %bb.832:                              ;   in Loop: Header=BB348_545 Depth=1
	v_and_b32_e32 v20, 7, v21
	v_mov_b32_e32 v21, v11
	v_lshrrev_b32_e32 v81, 3, v82
	s_mov_b32 s16, exec_lo
	v_cmpx_gt_u32_e32 8, v82
; %bb.833:                              ;   in Loop: Header=BB348_545 Depth=1
	v_ffbh_u32_e32 v81, v20
	v_min_u32_e32 v81, 32, v81
	v_subrev_nc_u32_e32 v82, 28, v81
	v_sub_nc_u32_e32 v81, 29, v81
	v_lshlrev_b64 v[20:21], v82, v[20:21]
	v_and_b32_e32 v20, 7, v20
; %bb.834:                              ;   in Loop: Header=BB348_545 Depth=1
	s_or_b32 exec_lo, exec_lo, s16
	v_lshlrev_b32_e32 v10, 16, v10
	v_lshlrev_b32_e32 v20, 20, v20
	v_lshl_add_u32 v21, v81, 23, 0x3c000000
	v_and_b32_e32 v10, 0x80000000, v10
	v_or3_b32 v20, v20, v10, v21
.LBB348_835:                            ;   in Loop: Header=BB348_545 Depth=1
	s_or_b32 exec_lo, exec_lo, s15
.LBB348_836:                            ;   in Loop: Header=BB348_545 Depth=1
	s_or_b32 exec_lo, exec_lo, s14
.LBB348_837:                            ;   in Loop: Header=BB348_545 Depth=1
	s_or_b32 exec_lo, exec_lo, s13
	v_and_b32_sdwa v10, v19, v36 dst_sel:DWORD dst_unused:UNUSED_PAD src0_sel:WORD_1 src1_sel:DWORD
	v_mov_b32_e32 v21, 0
	v_mov_b32_e32 v82, 0
	s_mov_b32 s13, exec_lo
	v_cmpx_ne_u16_e32 0, v10
	s_cbranch_execz .LBB348_845
; %bb.838:                              ;   in Loop: Header=BB348_545 Depth=1
	v_bfrev_b32_e32 v82, 1
	s_mov_b32 s14, exec_lo
	v_cmpx_ne_u16_e32 0x80, v10
	s_cbranch_execz .LBB348_844
; %bb.839:                              ;   in Loop: Header=BB348_545 Depth=1
	v_bfe_u32 v83, v19, 16, 7
	v_mov_b32_e32 v82, 0x7f800001
	s_mov_b32 s15, exec_lo
	v_cmpx_ne_u32_e32 0x7f, v83
	s_cbranch_execz .LBB348_843
; %bb.840:                              ;   in Loop: Header=BB348_545 Depth=1
	v_and_b32_sdwa v10, v19, v37 dst_sel:DWORD dst_unused:UNUSED_PAD src0_sel:WORD_1 src1_sel:DWORD
	v_lshrrev_b32_e32 v81, 3, v83
	s_mov_b32 s16, exec_lo
	v_cmpx_gt_u32_e32 8, v83
; %bb.841:                              ;   in Loop: Header=BB348_545 Depth=1
	v_ffbh_u32_e32 v81, v10
	v_min_u32_e32 v81, 32, v81
	v_subrev_nc_u32_e32 v82, 28, v81
	v_sub_nc_u32_e32 v81, 29, v81
	v_lshlrev_b64 v[82:83], v82, v[10:11]
	v_and_b32_e32 v10, 7, v82
; %bb.842:                              ;   in Loop: Header=BB348_545 Depth=1
	s_or_b32 exec_lo, exec_lo, s16
	v_lshlrev_b32_sdwa v82, v38, v19 dst_sel:DWORD dst_unused:UNUSED_PAD src0_sel:DWORD src1_sel:WORD_1
	v_lshlrev_b32_e32 v10, 20, v10
	v_lshl_add_u32 v81, v81, 23, 0x3c000000
	v_and_b32_e32 v82, 0x80000000, v82
	v_or3_b32 v82, v10, v82, v81
.LBB348_843:                            ;   in Loop: Header=BB348_545 Depth=1
	s_or_b32 exec_lo, exec_lo, s15
.LBB348_844:                            ;   in Loop: Header=BB348_545 Depth=1
	s_or_b32 exec_lo, exec_lo, s14
.LBB348_845:                            ;   in Loop: Header=BB348_545 Depth=1
	s_or_b32 exec_lo, exec_lo, s13
	s_mov_b32 s13, exec_lo
	v_cmpx_lt_u64_e64 s[4:5], v[18:19]
	s_cbranch_execz .LBB348_853
; %bb.846:                              ;   in Loop: Header=BB348_545 Depth=1
	v_cmp_ne_u32_sdwa s0, v19, v34 src0_sel:BYTE_3 src1_sel:DWORD
	v_bfrev_b32_e32 v21, 1
	s_and_saveexec_b32 s14, s0
	s_cbranch_execz .LBB348_852
; %bb.847:                              ;   in Loop: Header=BB348_545 Depth=1
	v_bfe_u32 v81, v19, 24, 7
	v_mov_b32_e32 v21, 0x7f800001
	s_mov_b32 s15, exec_lo
	v_cmpx_ne_u32_e32 0x7f, v81
	s_cbranch_execz .LBB348_851
; %bb.848:                              ;   in Loop: Header=BB348_545 Depth=1
	v_and_b32_sdwa v10, v19, v37 dst_sel:DWORD dst_unused:UNUSED_PAD src0_sel:BYTE_3 src1_sel:DWORD
	v_lshrrev_b32_e32 v18, 3, v81
	s_mov_b32 s16, exec_lo
	v_cmpx_gt_u32_e32 8, v81
; %bb.849:                              ;   in Loop: Header=BB348_545 Depth=1
	v_ffbh_u32_e32 v18, v10
	v_min_u32_e32 v18, 32, v18
	v_subrev_nc_u32_e32 v21, 28, v18
	v_sub_nc_u32_e32 v18, 29, v18
	v_lshlrev_b64 v[83:84], v21, v[10:11]
	v_and_b32_e32 v10, 7, v83
; %bb.850:                              ;   in Loop: Header=BB348_545 Depth=1
	s_or_b32 exec_lo, exec_lo, s16
	v_lshlrev_b32_sdwa v19, v38, v19 dst_sel:DWORD dst_unused:UNUSED_PAD src0_sel:DWORD src1_sel:BYTE_3
	v_lshlrev_b32_e32 v10, 20, v10
	v_lshl_add_u32 v18, v18, 23, 0x3c000000
	v_and_b32_e32 v19, 0x80000000, v19
	v_or3_b32 v21, v10, v19, v18
.LBB348_851:                            ;   in Loop: Header=BB348_545 Depth=1
	s_or_b32 exec_lo, exec_lo, s15
.LBB348_852:                            ;   in Loop: Header=BB348_545 Depth=1
	s_or_b32 exec_lo, exec_lo, s14
.LBB348_853:                            ;   in Loop: Header=BB348_545 Depth=1
	s_or_b32 exec_lo, exec_lo, s13
	v_mul_f32_e32 v10, s6, v20
	v_mul_f32_e32 v18, s6, v80
	;; [unrolled: 1-line block ×5, first 2 shown]
	v_bfe_u32 v78, v10, 16, 1
	v_or_b32_e32 v79, 0x400000, v10
	v_bfe_u32 v80, v18, 16, 1
	v_cmp_u_f32_e64 s0, v10, v10
	v_or_b32_e32 v81, 0x400000, v18
	v_add3_u32 v78, v78, v10, 0x7fff
	v_bfe_u32 v83, v19, 16, 1
	v_add3_u32 v80, v80, v18, 0x7fff
	v_or_b32_e32 v84, 0x400000, v19
	v_bfe_u32 v85, v20, 16, 1
	v_cndmask_b32_e64 v10, v78, v79, s0
	v_cmp_u_f32_e64 s0, v18, v18
	v_add3_u32 v83, v83, v19, 0x7fff
	v_mul_f32_e32 v21, s6, v21
	v_lshrrev_b32_e32 v78, 16, v10
	v_cndmask_b32_e64 v18, v80, v81, s0
	v_cmp_u_f32_e64 s0, v19, v19
	v_mul_f32_e32 v10, s6, v22
	v_add3_u32 v22, v85, v20, 0x7fff
	v_or_b32_e32 v80, 0x400000, v20
	v_lshrrev_b32_e32 v79, 16, v18
	v_cndmask_b32_e64 v19, v83, v84, s0
	v_bfe_u32 v18, v10, 16, 1
	v_cmp_u_f32_e64 s0, v20, v20
	v_mul_f32_e32 v20, s6, v82
	v_or_b32_e32 v84, 0x400000, v21
	v_lshrrev_b32_e32 v81, 16, v19
	v_add3_u32 v18, v18, v10, 0x7fff
	v_cndmask_b32_e64 v19, v22, v80, s0
	v_or_b32_e32 v22, 0x400000, v10
	v_bfe_u32 v80, v0, 16, 1
	v_cmp_u_f32_e64 s0, v10, v10
	v_bfe_u32 v82, v20, 16, 1
	v_or_b32_e32 v83, 0x400000, v20
	v_cndmask_b32_e64 v10, v18, v22, s0
	v_add3_u32 v22, v80, v0, 0x7fff
	v_or_b32_e32 v80, 0x400000, v0
	v_cmp_u_f32_e64 s0, v0, v0
	v_bfe_u32 v18, v21, 16, 1
	v_add3_u32 v82, v82, v20, 0x7fff
	v_lshrrev_b32_e32 v85, 16, v10
	v_cndmask_b32_e64 v0, v22, v80, s0
	v_cmp_u_f32_e64 s0, v20, v20
	v_add3_u32 v18, v18, v21, 0x7fff
	v_cndmask_b32_e64 v20, v82, v83, s0
	v_cmp_u_f32_e64 s0, v21, v21
	v_lshrrev_b32_e32 v83, 16, v19
	v_lshrrev_b32_e32 v80, 16, v20
	v_cndmask_b32_e64 v18, v18, v84, s0
	v_lshrrev_b32_e32 v84, 16, v0
	v_lshrrev_b32_e32 v82, 16, v18
	s_and_saveexec_b32 s13, vcc_lo
	s_cbranch_execz .LBB348_855
; %bb.854:                              ;   in Loop: Header=BB348_545 Depth=1
	v_cmp_gt_i32_e64 s0, s27, v47
	v_cndmask_b32_e64 v84, 0, v84, s0
	v_cmp_gt_i32_e64 s0, s27, v58
	v_cndmask_b32_e64 v85, 0, v85, s0
	;; [unrolled: 2-line block ×8, first 2 shown]
.LBB348_855:                            ;   in Loop: Header=BB348_545 Depth=1
	s_or_b32 exec_lo, exec_lo, s13
	global_load_dwordx2 v[18:19], v[16:17], off offset:1280
	v_mov_b32_e32 v0, 0
	v_mov_b32_e32 v86, 0
	s_waitcnt vmcnt(0)
	v_cmp_ne_u16_sdwa s0, v18, v11 src0_sel:BYTE_0 src1_sel:DWORD
	s_and_saveexec_b32 s13, s0
	s_cbranch_execz .LBB348_861
; %bb.856:                              ;   in Loop: Header=BB348_545 Depth=1
	v_cmp_ne_u16_sdwa s0, v18, v34 src0_sel:BYTE_0 src1_sel:DWORD
	v_bfrev_b32_e32 v86, 1
	s_and_saveexec_b32 s14, s0
	s_cbranch_execz .LBB348_860
; %bb.857:                              ;   in Loop: Header=BB348_545 Depth=1
	v_and_b32_e32 v10, 0x7f, v18
	v_mov_b32_e32 v86, 0x7f800001
	s_mov_b32 s15, exec_lo
	v_cmpx_ne_u32_e32 0x7f, v10
	s_cbranch_execz .LBB348_859
; %bb.858:                              ;   in Loop: Header=BB348_545 Depth=1
	v_and_b32_e32 v20, 7, v18
	v_lshrrev_b32_e32 v21, 3, v10
	v_cmp_gt_u32_e64 s0, 8, v10
	v_ffbh_u32_e32 v20, v20
	v_min_u32_e32 v20, 32, v20
	v_subrev_nc_u32_e32 v22, 28, v20
	v_sub_nc_u32_e32 v20, 29, v20
	v_cndmask_b32_e64 v10, v21, v20, s0
	v_cndmask_b32_e64 v20, 0, v22, s0
	v_lshl_add_u32 v10, v10, 23, 0x3c000000
	v_lshlrev_b64 v[20:21], v20, v[18:19]
	v_lshlrev_b32_e32 v21, 24, v18
	v_lshlrev_b32_e32 v20, 20, v20
	v_and_b32_e32 v21, 0x80000000, v21
	v_and_b32_e32 v20, 0x700000, v20
	v_or3_b32 v86, v20, v21, v10
.LBB348_859:                            ;   in Loop: Header=BB348_545 Depth=1
	s_or_b32 exec_lo, exec_lo, s15
.LBB348_860:                            ;   in Loop: Header=BB348_545 Depth=1
	s_or_b32 exec_lo, exec_lo, s14
.LBB348_861:                            ;   in Loop: Header=BB348_545 Depth=1
	s_or_b32 exec_lo, exec_lo, s13
	v_cmp_ne_u16_sdwa s0, v18, v11 src0_sel:BYTE_1 src1_sel:DWORD
	s_and_saveexec_b32 s13, s0
	s_cbranch_execz .LBB348_869
; %bb.862:                              ;   in Loop: Header=BB348_545 Depth=1
	v_cmp_ne_u16_sdwa s0, v18, v34 src0_sel:BYTE_1 src1_sel:DWORD
	v_bfrev_b32_e32 v0, 1
	s_and_saveexec_b32 s14, s0
	s_cbranch_execz .LBB348_868
; %bb.863:                              ;   in Loop: Header=BB348_545 Depth=1
	v_and_b32_sdwa v10, v35, v18 dst_sel:DWORD dst_unused:UNUSED_PAD src0_sel:DWORD src1_sel:BYTE_1
	v_mov_b32_e32 v0, 0x7f800001
	s_mov_b32 s15, exec_lo
	v_and_b32_e32 v20, 0x7f, v10
	v_cmpx_ne_u32_e32 0x7f, v20
	s_cbranch_execz .LBB348_867
; %bb.864:                              ;   in Loop: Header=BB348_545 Depth=1
	v_and_b32_e32 v10, 7, v10
	v_lshrrev_b32_e32 v0, 3, v20
	s_mov_b32 s16, exec_lo
	v_cmpx_gt_u32_e32 8, v20
; %bb.865:                              ;   in Loop: Header=BB348_545 Depth=1
	v_ffbh_u32_e32 v0, v10
	v_min_u32_e32 v0, 32, v0
	v_subrev_nc_u32_e32 v20, 28, v0
	v_sub_nc_u32_e32 v0, 29, v0
	v_lshlrev_b64 v[20:21], v20, v[10:11]
	v_and_b32_e32 v10, 7, v20
; %bb.866:                              ;   in Loop: Header=BB348_545 Depth=1
	s_or_b32 exec_lo, exec_lo, s16
	v_lshlrev_b32_e32 v20, 16, v18
	v_lshlrev_b32_e32 v10, 20, v10
	v_lshl_add_u32 v0, v0, 23, 0x3c000000
	v_and_b32_e32 v20, 0x80000000, v20
	v_or3_b32 v0, v10, v20, v0
.LBB348_867:                            ;   in Loop: Header=BB348_545 Depth=1
	s_or_b32 exec_lo, exec_lo, s15
.LBB348_868:                            ;   in Loop: Header=BB348_545 Depth=1
	s_or_b32 exec_lo, exec_lo, s14
.LBB348_869:                            ;   in Loop: Header=BB348_545 Depth=1
	s_or_b32 exec_lo, exec_lo, s13
	v_and_b32_sdwa v10, v18, v36 dst_sel:DWORD dst_unused:UNUSED_PAD src0_sel:WORD_1 src1_sel:DWORD
	v_mov_b32_e32 v87, 0
	v_mov_b32_e32 v22, 0
	s_mov_b32 s13, exec_lo
	v_cmpx_ne_u16_e32 0, v10
	s_cbranch_execz .LBB348_877
; %bb.870:                              ;   in Loop: Header=BB348_545 Depth=1
	v_bfrev_b32_e32 v22, 1
	s_mov_b32 s14, exec_lo
	v_cmpx_ne_u16_e32 0x80, v10
	s_cbranch_execz .LBB348_876
; %bb.871:                              ;   in Loop: Header=BB348_545 Depth=1
	v_bfe_u32 v21, v18, 16, 7
	v_mov_b32_e32 v22, 0x7f800001
	s_mov_b32 s15, exec_lo
	v_cmpx_ne_u32_e32 0x7f, v21
	s_cbranch_execz .LBB348_875
; %bb.872:                              ;   in Loop: Header=BB348_545 Depth=1
	v_and_b32_sdwa v10, v18, v37 dst_sel:DWORD dst_unused:UNUSED_PAD src0_sel:WORD_1 src1_sel:DWORD
	v_lshrrev_b32_e32 v20, 3, v21
	s_mov_b32 s16, exec_lo
	v_cmpx_gt_u32_e32 8, v21
; %bb.873:                              ;   in Loop: Header=BB348_545 Depth=1
	v_ffbh_u32_e32 v20, v10
	v_min_u32_e32 v20, 32, v20
	v_subrev_nc_u32_e32 v21, 28, v20
	v_sub_nc_u32_e32 v20, 29, v20
	v_lshlrev_b64 v[21:22], v21, v[10:11]
	v_and_b32_e32 v10, 7, v21
; %bb.874:                              ;   in Loop: Header=BB348_545 Depth=1
	s_or_b32 exec_lo, exec_lo, s16
	v_lshlrev_b32_sdwa v21, v38, v18 dst_sel:DWORD dst_unused:UNUSED_PAD src0_sel:DWORD src1_sel:WORD_1
	v_lshlrev_b32_e32 v10, 20, v10
	v_lshl_add_u32 v20, v20, 23, 0x3c000000
	v_and_b32_e32 v21, 0x80000000, v21
	v_or3_b32 v22, v10, v21, v20
.LBB348_875:                            ;   in Loop: Header=BB348_545 Depth=1
	s_or_b32 exec_lo, exec_lo, s15
.LBB348_876:                            ;   in Loop: Header=BB348_545 Depth=1
	s_or_b32 exec_lo, exec_lo, s14
.LBB348_877:                            ;   in Loop: Header=BB348_545 Depth=1
	s_or_b32 exec_lo, exec_lo, s13
	s_mov_b32 s13, exec_lo
	v_cmpx_lt_u32_e32 0xffffff, v18
	s_cbranch_execz .LBB348_885
; %bb.878:                              ;   in Loop: Header=BB348_545 Depth=1
	v_cmp_ne_u32_sdwa s0, v18, v34 src0_sel:BYTE_3 src1_sel:DWORD
	v_bfrev_b32_e32 v87, 1
	s_and_saveexec_b32 s14, s0
	s_cbranch_execz .LBB348_884
; %bb.879:                              ;   in Loop: Header=BB348_545 Depth=1
	v_bfe_u32 v21, v18, 24, 7
	v_mov_b32_e32 v87, 0x7f800001
	s_mov_b32 s15, exec_lo
	v_cmpx_ne_u32_e32 0x7f, v21
	s_cbranch_execz .LBB348_883
; %bb.880:                              ;   in Loop: Header=BB348_545 Depth=1
	v_and_b32_sdwa v10, v18, v37 dst_sel:DWORD dst_unused:UNUSED_PAD src0_sel:BYTE_3 src1_sel:DWORD
	v_lshrrev_b32_e32 v20, 3, v21
	s_mov_b32 s16, exec_lo
	v_cmpx_gt_u32_e32 8, v21
; %bb.881:                              ;   in Loop: Header=BB348_545 Depth=1
	v_ffbh_u32_e32 v20, v10
	v_min_u32_e32 v20, 32, v20
	v_subrev_nc_u32_e32 v21, 28, v20
	v_sub_nc_u32_e32 v20, 29, v20
	v_lshlrev_b64 v[87:88], v21, v[10:11]
	v_and_b32_e32 v10, 7, v87
; %bb.882:                              ;   in Loop: Header=BB348_545 Depth=1
	s_or_b32 exec_lo, exec_lo, s16
	v_lshlrev_b32_sdwa v21, v38, v18 dst_sel:DWORD dst_unused:UNUSED_PAD src0_sel:DWORD src1_sel:BYTE_3
	v_lshlrev_b32_e32 v10, 20, v10
	v_lshl_add_u32 v20, v20, 23, 0x3c000000
	v_and_b32_e32 v21, 0x80000000, v21
	v_or3_b32 v87, v10, v21, v20
.LBB348_883:                            ;   in Loop: Header=BB348_545 Depth=1
	s_or_b32 exec_lo, exec_lo, s15
.LBB348_884:                            ;   in Loop: Header=BB348_545 Depth=1
	s_or_b32 exec_lo, exec_lo, s14
.LBB348_885:                            ;   in Loop: Header=BB348_545 Depth=1
	s_or_b32 exec_lo, exec_lo, s13
	v_mov_b32_e32 v10, v19
	v_cmp_ne_u16_sdwa s0, v19, v11 src0_sel:BYTE_0 src1_sel:DWORD
	v_mov_b32_e32 v20, 0
	v_mov_b32_e32 v88, 0
	s_and_saveexec_b32 s13, s0
	s_cbranch_execz .LBB348_891
; %bb.886:                              ;   in Loop: Header=BB348_545 Depth=1
	v_cmp_ne_u16_sdwa s0, v19, v34 src0_sel:BYTE_0 src1_sel:DWORD
	v_bfrev_b32_e32 v88, 1
	s_and_saveexec_b32 s14, s0
	s_cbranch_execz .LBB348_890
; %bb.887:                              ;   in Loop: Header=BB348_545 Depth=1
	v_and_b32_e32 v21, 0x7f, v19
	v_mov_b32_e32 v88, 0x7f800001
	s_mov_b32 s15, exec_lo
	v_cmpx_ne_u32_e32 0x7f, v21
	s_cbranch_execz .LBB348_889
; %bb.888:                              ;   in Loop: Header=BB348_545 Depth=1
	v_and_b32_e32 v88, 7, v19
	v_lshrrev_b32_e32 v89, 3, v21
	v_cmp_gt_u32_e64 s0, 8, v21
	v_ffbh_u32_e32 v88, v88
	v_min_u32_e32 v88, 32, v88
	v_subrev_nc_u32_e32 v90, 28, v88
	v_sub_nc_u32_e32 v88, 29, v88
	v_cndmask_b32_e64 v21, v89, v88, s0
	v_cndmask_b32_e64 v88, 0, v90, s0
	v_lshl_add_u32 v21, v21, 23, 0x3c000000
	v_lshlrev_b64 v[88:89], v88, v[10:11]
	v_lshlrev_b32_e32 v89, 24, v10
	v_lshlrev_b32_e32 v88, 20, v88
	v_and_b32_e32 v89, 0x80000000, v89
	v_and_b32_e32 v88, 0x700000, v88
	v_or3_b32 v88, v88, v89, v21
.LBB348_889:                            ;   in Loop: Header=BB348_545 Depth=1
	s_or_b32 exec_lo, exec_lo, s15
.LBB348_890:                            ;   in Loop: Header=BB348_545 Depth=1
	s_or_b32 exec_lo, exec_lo, s14
.LBB348_891:                            ;   in Loop: Header=BB348_545 Depth=1
	s_or_b32 exec_lo, exec_lo, s13
	v_cmp_ne_u16_sdwa s0, v10, v11 src0_sel:BYTE_1 src1_sel:DWORD
	s_and_saveexec_b32 s13, s0
	s_cbranch_execz .LBB348_899
; %bb.892:                              ;   in Loop: Header=BB348_545 Depth=1
	v_cmp_ne_u16_sdwa s0, v10, v34 src0_sel:BYTE_1 src1_sel:DWORD
	v_bfrev_b32_e32 v20, 1
	s_and_saveexec_b32 s14, s0
	s_cbranch_execz .LBB348_898
; %bb.893:                              ;   in Loop: Header=BB348_545 Depth=1
	v_and_b32_sdwa v21, v35, v10 dst_sel:DWORD dst_unused:UNUSED_PAD src0_sel:DWORD src1_sel:BYTE_1
	v_mov_b32_e32 v20, 0x7f800001
	s_mov_b32 s15, exec_lo
	v_and_b32_e32 v90, 0x7f, v21
	v_cmpx_ne_u32_e32 0x7f, v90
	s_cbranch_execz .LBB348_897
; %bb.894:                              ;   in Loop: Header=BB348_545 Depth=1
	v_and_b32_e32 v20, 7, v21
	v_mov_b32_e32 v21, v11
	v_lshrrev_b32_e32 v89, 3, v90
	s_mov_b32 s16, exec_lo
	v_cmpx_gt_u32_e32 8, v90
; %bb.895:                              ;   in Loop: Header=BB348_545 Depth=1
	v_ffbh_u32_e32 v89, v20
	v_min_u32_e32 v89, 32, v89
	v_subrev_nc_u32_e32 v90, 28, v89
	v_sub_nc_u32_e32 v89, 29, v89
	v_lshlrev_b64 v[20:21], v90, v[20:21]
	v_and_b32_e32 v20, 7, v20
; %bb.896:                              ;   in Loop: Header=BB348_545 Depth=1
	s_or_b32 exec_lo, exec_lo, s16
	v_lshlrev_b32_e32 v10, 16, v10
	v_lshlrev_b32_e32 v20, 20, v20
	v_lshl_add_u32 v21, v89, 23, 0x3c000000
	v_and_b32_e32 v10, 0x80000000, v10
	v_or3_b32 v20, v20, v10, v21
.LBB348_897:                            ;   in Loop: Header=BB348_545 Depth=1
	s_or_b32 exec_lo, exec_lo, s15
.LBB348_898:                            ;   in Loop: Header=BB348_545 Depth=1
	s_or_b32 exec_lo, exec_lo, s14
.LBB348_899:                            ;   in Loop: Header=BB348_545 Depth=1
	s_or_b32 exec_lo, exec_lo, s13
	v_and_b32_sdwa v10, v19, v36 dst_sel:DWORD dst_unused:UNUSED_PAD src0_sel:WORD_1 src1_sel:DWORD
	v_mov_b32_e32 v21, 0
	v_mov_b32_e32 v89, 0
	s_mov_b32 s13, exec_lo
	v_cmpx_ne_u16_e32 0, v10
	s_cbranch_execz .LBB348_907
; %bb.900:                              ;   in Loop: Header=BB348_545 Depth=1
	v_bfrev_b32_e32 v89, 1
	s_mov_b32 s14, exec_lo
	v_cmpx_ne_u16_e32 0x80, v10
	s_cbranch_execz .LBB348_906
; %bb.901:                              ;   in Loop: Header=BB348_545 Depth=1
	v_bfe_u32 v90, v19, 16, 7
	v_mov_b32_e32 v89, 0x7f800001
	s_mov_b32 s15, exec_lo
	v_cmpx_ne_u32_e32 0x7f, v90
	s_cbranch_execz .LBB348_905
; %bb.902:                              ;   in Loop: Header=BB348_545 Depth=1
	v_and_b32_sdwa v10, v19, v37 dst_sel:DWORD dst_unused:UNUSED_PAD src0_sel:WORD_1 src1_sel:DWORD
	v_lshrrev_b32_e32 v89, 3, v90
	s_mov_b32 s16, exec_lo
	v_cmpx_gt_u32_e32 8, v90
; %bb.903:                              ;   in Loop: Header=BB348_545 Depth=1
	v_ffbh_u32_e32 v89, v10
	v_min_u32_e32 v89, 32, v89
	v_subrev_nc_u32_e32 v90, 28, v89
	v_sub_nc_u32_e32 v89, 29, v89
	v_lshlrev_b64 v[90:91], v90, v[10:11]
	v_and_b32_e32 v10, 7, v90
; %bb.904:                              ;   in Loop: Header=BB348_545 Depth=1
	s_or_b32 exec_lo, exec_lo, s16
	v_lshlrev_b32_sdwa v90, v38, v19 dst_sel:DWORD dst_unused:UNUSED_PAD src0_sel:DWORD src1_sel:WORD_1
	v_lshlrev_b32_e32 v10, 20, v10
	v_lshl_add_u32 v89, v89, 23, 0x3c000000
	v_and_b32_e32 v90, 0x80000000, v90
	v_or3_b32 v89, v10, v90, v89
.LBB348_905:                            ;   in Loop: Header=BB348_545 Depth=1
	s_or_b32 exec_lo, exec_lo, s15
.LBB348_906:                            ;   in Loop: Header=BB348_545 Depth=1
	s_or_b32 exec_lo, exec_lo, s14
.LBB348_907:                            ;   in Loop: Header=BB348_545 Depth=1
	s_or_b32 exec_lo, exec_lo, s13
	s_mov_b32 s13, exec_lo
	v_cmpx_lt_u64_e64 s[4:5], v[18:19]
	s_cbranch_execz .LBB348_915
; %bb.908:                              ;   in Loop: Header=BB348_545 Depth=1
	v_cmp_ne_u32_sdwa s0, v19, v34 src0_sel:BYTE_3 src1_sel:DWORD
	v_bfrev_b32_e32 v21, 1
	s_and_saveexec_b32 s14, s0
	s_cbranch_execz .LBB348_914
; %bb.909:                              ;   in Loop: Header=BB348_545 Depth=1
	v_bfe_u32 v90, v19, 24, 7
	v_mov_b32_e32 v21, 0x7f800001
	s_mov_b32 s15, exec_lo
	v_cmpx_ne_u32_e32 0x7f, v90
	s_cbranch_execz .LBB348_913
; %bb.910:                              ;   in Loop: Header=BB348_545 Depth=1
	v_and_b32_sdwa v10, v19, v37 dst_sel:DWORD dst_unused:UNUSED_PAD src0_sel:BYTE_3 src1_sel:DWORD
	v_lshrrev_b32_e32 v18, 3, v90
	s_mov_b32 s16, exec_lo
	v_cmpx_gt_u32_e32 8, v90
; %bb.911:                              ;   in Loop: Header=BB348_545 Depth=1
	v_ffbh_u32_e32 v18, v10
	v_min_u32_e32 v18, 32, v18
	v_subrev_nc_u32_e32 v21, 28, v18
	v_sub_nc_u32_e32 v18, 29, v18
	v_lshlrev_b64 v[90:91], v21, v[10:11]
	v_and_b32_e32 v10, 7, v90
; %bb.912:                              ;   in Loop: Header=BB348_545 Depth=1
	s_or_b32 exec_lo, exec_lo, s16
	v_lshlrev_b32_sdwa v19, v38, v19 dst_sel:DWORD dst_unused:UNUSED_PAD src0_sel:DWORD src1_sel:BYTE_3
	v_lshlrev_b32_e32 v10, 20, v10
	v_lshl_add_u32 v18, v18, 23, 0x3c000000
	v_and_b32_e32 v19, 0x80000000, v19
	v_or3_b32 v21, v10, v19, v18
.LBB348_913:                            ;   in Loop: Header=BB348_545 Depth=1
	s_or_b32 exec_lo, exec_lo, s15
.LBB348_914:                            ;   in Loop: Header=BB348_545 Depth=1
	s_or_b32 exec_lo, exec_lo, s14
.LBB348_915:                            ;   in Loop: Header=BB348_545 Depth=1
	s_or_b32 exec_lo, exec_lo, s13
	v_mul_f32_e32 v10, s6, v20
	v_mul_f32_e32 v18, s6, v88
	;; [unrolled: 1-line block ×5, first 2 shown]
	v_bfe_u32 v22, v10, 16, 1
	v_or_b32_e32 v87, 0x400000, v10
	v_bfe_u32 v88, v18, 16, 1
	v_cmp_u_f32_e64 s0, v10, v10
	v_or_b32_e32 v90, 0x400000, v18
	v_add3_u32 v22, v22, v10, 0x7fff
	v_bfe_u32 v91, v19, 16, 1
	v_add3_u32 v88, v88, v18, 0x7fff
	v_or_b32_e32 v92, 0x400000, v19
	v_bfe_u32 v93, v20, 16, 1
	v_cndmask_b32_e64 v10, v22, v87, s0
	v_cmp_u_f32_e64 s0, v18, v18
	v_add3_u32 v91, v91, v19, 0x7fff
	v_lshrrev_b32_e32 v22, 16, v10
	v_cndmask_b32_e64 v18, v88, v90, s0
	v_cmp_u_f32_e64 s0, v19, v19
	v_mul_f32_e32 v10, s6, v0
	v_add3_u32 v88, v93, v20, 0x7fff
	v_or_b32_e32 v90, 0x400000, v20
	v_lshrrev_b32_e32 v0, 16, v18
	v_cndmask_b32_e64 v19, v91, v92, s0
	v_bfe_u32 v18, v10, 16, 1
	v_cmp_u_f32_e64 s0, v20, v20
	v_mul_f32_e32 v20, s6, v86
	v_mul_f32_e32 v86, s6, v89
	v_lshrrev_b32_e32 v87, 16, v19
	v_add3_u32 v18, v18, v10, 0x7fff
	v_cndmask_b32_e64 v19, v88, v90, s0
	v_or_b32_e32 v88, 0x400000, v10
	v_bfe_u32 v89, v20, 16, 1
	v_cmp_u_f32_e64 s0, v10, v10
	v_bfe_u32 v90, v86, 16, 1
	v_or_b32_e32 v91, 0x400000, v86
	v_or_b32_e32 v92, 0x400000, v21
	v_cndmask_b32_e64 v10, v18, v88, s0
	v_add3_u32 v88, v89, v20, 0x7fff
	v_or_b32_e32 v89, 0x400000, v20
	v_cmp_u_f32_e64 s0, v20, v20
	v_bfe_u32 v18, v21, 16, 1
	v_add3_u32 v90, v90, v86, 0x7fff
	v_cndmask_b32_e64 v20, v88, v89, s0
	v_cmp_u_f32_e64 s0, v86, v86
	v_add3_u32 v18, v18, v21, 0x7fff
	v_lshrrev_b32_e32 v89, 16, v19
	v_cndmask_b32_e64 v86, v90, v91, s0
	v_cmp_u_f32_e64 s0, v21, v21
	v_lshrrev_b32_e32 v91, 16, v10
	v_lshrrev_b32_e32 v90, 16, v20
	;; [unrolled: 1-line block ×3, first 2 shown]
	v_cndmask_b32_e64 v18, v18, v92, s0
	v_lshrrev_b32_e32 v88, 16, v18
	s_and_saveexec_b32 s13, vcc_lo
	s_cbranch_execz .LBB348_917
; %bb.916:                              ;   in Loop: Header=BB348_545 Depth=1
	v_cmp_gt_i32_e64 s0, s27, v47
	v_cndmask_b32_e64 v90, 0, v90, s0
	v_cmp_gt_i32_e64 s0, s27, v58
	v_cndmask_b32_e64 v91, 0, v91, s0
	;; [unrolled: 2-line block ×8, first 2 shown]
.LBB348_917:                            ;   in Loop: Header=BB348_545 Depth=1
	s_or_b32 exec_lo, exec_lo, s13
	global_load_dwordx2 v[18:19], v[16:17], off offset:1536
	v_mov_b32_e32 v94, 0
	v_mov_b32_e32 v92, 0
	s_waitcnt vmcnt(0)
	v_cmp_ne_u16_sdwa s0, v18, v11 src0_sel:BYTE_0 src1_sel:DWORD
	s_and_saveexec_b32 s13, s0
	s_cbranch_execz .LBB348_923
; %bb.918:                              ;   in Loop: Header=BB348_545 Depth=1
	v_cmp_ne_u16_sdwa s0, v18, v34 src0_sel:BYTE_0 src1_sel:DWORD
	v_bfrev_b32_e32 v92, 1
	s_and_saveexec_b32 s14, s0
	s_cbranch_execz .LBB348_922
; %bb.919:                              ;   in Loop: Header=BB348_545 Depth=1
	v_and_b32_e32 v10, 0x7f, v18
	v_mov_b32_e32 v92, 0x7f800001
	s_mov_b32 s15, exec_lo
	v_cmpx_ne_u32_e32 0x7f, v10
	s_cbranch_execz .LBB348_921
; %bb.920:                              ;   in Loop: Header=BB348_545 Depth=1
	v_and_b32_e32 v20, 7, v18
	v_lshrrev_b32_e32 v21, 3, v10
	v_cmp_gt_u32_e64 s0, 8, v10
	v_ffbh_u32_e32 v20, v20
	v_min_u32_e32 v20, 32, v20
	v_subrev_nc_u32_e32 v92, 28, v20
	v_sub_nc_u32_e32 v20, 29, v20
	v_cndmask_b32_e64 v10, v21, v20, s0
	v_cndmask_b32_e64 v20, 0, v92, s0
	v_lshl_add_u32 v10, v10, 23, 0x3c000000
	v_lshlrev_b64 v[20:21], v20, v[18:19]
	v_lshlrev_b32_e32 v21, 24, v18
	v_lshlrev_b32_e32 v20, 20, v20
	v_and_b32_e32 v21, 0x80000000, v21
	v_and_b32_e32 v20, 0x700000, v20
	v_or3_b32 v92, v20, v21, v10
.LBB348_921:                            ;   in Loop: Header=BB348_545 Depth=1
	s_or_b32 exec_lo, exec_lo, s15
.LBB348_922:                            ;   in Loop: Header=BB348_545 Depth=1
	s_or_b32 exec_lo, exec_lo, s14
.LBB348_923:                            ;   in Loop: Header=BB348_545 Depth=1
	s_or_b32 exec_lo, exec_lo, s13
	v_cmp_ne_u16_sdwa s0, v18, v11 src0_sel:BYTE_1 src1_sel:DWORD
	s_and_saveexec_b32 s13, s0
	s_cbranch_execz .LBB348_931
; %bb.924:                              ;   in Loop: Header=BB348_545 Depth=1
	v_cmp_ne_u16_sdwa s0, v18, v34 src0_sel:BYTE_1 src1_sel:DWORD
	v_bfrev_b32_e32 v94, 1
	s_and_saveexec_b32 s14, s0
	s_cbranch_execz .LBB348_930
; %bb.925:                              ;   in Loop: Header=BB348_545 Depth=1
	v_and_b32_sdwa v10, v35, v18 dst_sel:DWORD dst_unused:UNUSED_PAD src0_sel:DWORD src1_sel:BYTE_1
	v_mov_b32_e32 v94, 0x7f800001
	s_mov_b32 s15, exec_lo
	v_and_b32_e32 v21, 0x7f, v10
	v_cmpx_ne_u32_e32 0x7f, v21
	s_cbranch_execz .LBB348_929
; %bb.926:                              ;   in Loop: Header=BB348_545 Depth=1
	v_and_b32_e32 v10, 7, v10
	v_lshrrev_b32_e32 v20, 3, v21
	s_mov_b32 s16, exec_lo
	v_cmpx_gt_u32_e32 8, v21
; %bb.927:                              ;   in Loop: Header=BB348_545 Depth=1
	v_ffbh_u32_e32 v20, v10
	v_min_u32_e32 v20, 32, v20
	v_subrev_nc_u32_e32 v21, 28, v20
	v_sub_nc_u32_e32 v20, 29, v20
	v_lshlrev_b64 v[93:94], v21, v[10:11]
	v_and_b32_e32 v10, 7, v93
; %bb.928:                              ;   in Loop: Header=BB348_545 Depth=1
	s_or_b32 exec_lo, exec_lo, s16
	v_lshlrev_b32_e32 v21, 16, v18
	v_lshlrev_b32_e32 v10, 20, v10
	v_lshl_add_u32 v20, v20, 23, 0x3c000000
	v_and_b32_e32 v21, 0x80000000, v21
	v_or3_b32 v94, v10, v21, v20
.LBB348_929:                            ;   in Loop: Header=BB348_545 Depth=1
	s_or_b32 exec_lo, exec_lo, s15
.LBB348_930:                            ;   in Loop: Header=BB348_545 Depth=1
	s_or_b32 exec_lo, exec_lo, s14
.LBB348_931:                            ;   in Loop: Header=BB348_545 Depth=1
	s_or_b32 exec_lo, exec_lo, s13
	v_and_b32_sdwa v10, v18, v36 dst_sel:DWORD dst_unused:UNUSED_PAD src0_sel:WORD_1 src1_sel:DWORD
	v_mov_b32_e32 v95, 0
	v_mov_b32_e32 v93, 0
	s_mov_b32 s13, exec_lo
	v_cmpx_ne_u16_e32 0, v10
	s_cbranch_execz .LBB348_939
; %bb.932:                              ;   in Loop: Header=BB348_545 Depth=1
	v_bfrev_b32_e32 v93, 1
	s_mov_b32 s14, exec_lo
	v_cmpx_ne_u16_e32 0x80, v10
	s_cbranch_execz .LBB348_938
; %bb.933:                              ;   in Loop: Header=BB348_545 Depth=1
	v_bfe_u32 v21, v18, 16, 7
	v_mov_b32_e32 v93, 0x7f800001
	s_mov_b32 s15, exec_lo
	v_cmpx_ne_u32_e32 0x7f, v21
	s_cbranch_execz .LBB348_937
; %bb.934:                              ;   in Loop: Header=BB348_545 Depth=1
	v_and_b32_sdwa v10, v18, v37 dst_sel:DWORD dst_unused:UNUSED_PAD src0_sel:WORD_1 src1_sel:DWORD
	v_lshrrev_b32_e32 v20, 3, v21
	s_mov_b32 s16, exec_lo
	v_cmpx_gt_u32_e32 8, v21
; %bb.935:                              ;   in Loop: Header=BB348_545 Depth=1
	v_ffbh_u32_e32 v20, v10
	v_min_u32_e32 v20, 32, v20
	v_subrev_nc_u32_e32 v21, 28, v20
	v_sub_nc_u32_e32 v20, 29, v20
	v_lshlrev_b64 v[96:97], v21, v[10:11]
	v_and_b32_e32 v10, 7, v96
; %bb.936:                              ;   in Loop: Header=BB348_545 Depth=1
	s_or_b32 exec_lo, exec_lo, s16
	v_lshlrev_b32_sdwa v21, v38, v18 dst_sel:DWORD dst_unused:UNUSED_PAD src0_sel:DWORD src1_sel:WORD_1
	v_lshlrev_b32_e32 v10, 20, v10
	v_lshl_add_u32 v20, v20, 23, 0x3c000000
	v_and_b32_e32 v21, 0x80000000, v21
	v_or3_b32 v93, v10, v21, v20
.LBB348_937:                            ;   in Loop: Header=BB348_545 Depth=1
	s_or_b32 exec_lo, exec_lo, s15
.LBB348_938:                            ;   in Loop: Header=BB348_545 Depth=1
	s_or_b32 exec_lo, exec_lo, s14
.LBB348_939:                            ;   in Loop: Header=BB348_545 Depth=1
	s_or_b32 exec_lo, exec_lo, s13
	s_mov_b32 s13, exec_lo
	v_cmpx_lt_u32_e32 0xffffff, v18
	s_cbranch_execz .LBB348_947
; %bb.940:                              ;   in Loop: Header=BB348_545 Depth=1
	v_cmp_ne_u32_sdwa s0, v18, v34 src0_sel:BYTE_3 src1_sel:DWORD
	v_bfrev_b32_e32 v95, 1
	s_and_saveexec_b32 s14, s0
	s_cbranch_execz .LBB348_946
; %bb.941:                              ;   in Loop: Header=BB348_545 Depth=1
	v_bfe_u32 v21, v18, 24, 7
	v_mov_b32_e32 v95, 0x7f800001
	s_mov_b32 s15, exec_lo
	v_cmpx_ne_u32_e32 0x7f, v21
	s_cbranch_execz .LBB348_945
; %bb.942:                              ;   in Loop: Header=BB348_545 Depth=1
	v_and_b32_sdwa v10, v18, v37 dst_sel:DWORD dst_unused:UNUSED_PAD src0_sel:BYTE_3 src1_sel:DWORD
	v_lshrrev_b32_e32 v20, 3, v21
	s_mov_b32 s16, exec_lo
	v_cmpx_gt_u32_e32 8, v21
; %bb.943:                              ;   in Loop: Header=BB348_545 Depth=1
	v_ffbh_u32_e32 v20, v10
	v_min_u32_e32 v20, 32, v20
	v_subrev_nc_u32_e32 v21, 28, v20
	v_sub_nc_u32_e32 v20, 29, v20
	v_lshlrev_b64 v[95:96], v21, v[10:11]
	v_and_b32_e32 v10, 7, v95
; %bb.944:                              ;   in Loop: Header=BB348_545 Depth=1
	s_or_b32 exec_lo, exec_lo, s16
	v_lshlrev_b32_sdwa v21, v38, v18 dst_sel:DWORD dst_unused:UNUSED_PAD src0_sel:DWORD src1_sel:BYTE_3
	v_lshlrev_b32_e32 v10, 20, v10
	v_lshl_add_u32 v20, v20, 23, 0x3c000000
	v_and_b32_e32 v21, 0x80000000, v21
	v_or3_b32 v95, v10, v21, v20
.LBB348_945:                            ;   in Loop: Header=BB348_545 Depth=1
	s_or_b32 exec_lo, exec_lo, s15
.LBB348_946:                            ;   in Loop: Header=BB348_545 Depth=1
	s_or_b32 exec_lo, exec_lo, s14
.LBB348_947:                            ;   in Loop: Header=BB348_545 Depth=1
	s_or_b32 exec_lo, exec_lo, s13
	v_mov_b32_e32 v10, v19
	v_cmp_ne_u16_sdwa s0, v19, v11 src0_sel:BYTE_0 src1_sel:DWORD
	v_mov_b32_e32 v20, 0
	v_mov_b32_e32 v96, 0
	s_and_saveexec_b32 s13, s0
	s_cbranch_execz .LBB348_953
; %bb.948:                              ;   in Loop: Header=BB348_545 Depth=1
	v_cmp_ne_u16_sdwa s0, v19, v34 src0_sel:BYTE_0 src1_sel:DWORD
	v_bfrev_b32_e32 v96, 1
	s_and_saveexec_b32 s14, s0
	s_cbranch_execz .LBB348_952
; %bb.949:                              ;   in Loop: Header=BB348_545 Depth=1
	v_and_b32_e32 v21, 0x7f, v19
	v_mov_b32_e32 v96, 0x7f800001
	s_mov_b32 s15, exec_lo
	v_cmpx_ne_u32_e32 0x7f, v21
	s_cbranch_execz .LBB348_951
; %bb.950:                              ;   in Loop: Header=BB348_545 Depth=1
	v_and_b32_e32 v96, 7, v19
	v_lshrrev_b32_e32 v97, 3, v21
	v_cmp_gt_u32_e64 s0, 8, v21
	v_ffbh_u32_e32 v96, v96
	v_min_u32_e32 v96, 32, v96
	v_subrev_nc_u32_e32 v98, 28, v96
	v_sub_nc_u32_e32 v96, 29, v96
	v_cndmask_b32_e64 v21, v97, v96, s0
	v_cndmask_b32_e64 v96, 0, v98, s0
	v_lshl_add_u32 v21, v21, 23, 0x3c000000
	v_lshlrev_b64 v[96:97], v96, v[10:11]
	v_lshlrev_b32_e32 v97, 24, v10
	v_lshlrev_b32_e32 v96, 20, v96
	v_and_b32_e32 v97, 0x80000000, v97
	v_and_b32_e32 v96, 0x700000, v96
	v_or3_b32 v96, v96, v97, v21
.LBB348_951:                            ;   in Loop: Header=BB348_545 Depth=1
	s_or_b32 exec_lo, exec_lo, s15
.LBB348_952:                            ;   in Loop: Header=BB348_545 Depth=1
	s_or_b32 exec_lo, exec_lo, s14
.LBB348_953:                            ;   in Loop: Header=BB348_545 Depth=1
	s_or_b32 exec_lo, exec_lo, s13
	v_cmp_ne_u16_sdwa s0, v10, v11 src0_sel:BYTE_1 src1_sel:DWORD
	s_and_saveexec_b32 s13, s0
	s_cbranch_execz .LBB348_961
; %bb.954:                              ;   in Loop: Header=BB348_545 Depth=1
	v_cmp_ne_u16_sdwa s0, v10, v34 src0_sel:BYTE_1 src1_sel:DWORD
	v_bfrev_b32_e32 v20, 1
	s_and_saveexec_b32 s14, s0
	s_cbranch_execz .LBB348_960
; %bb.955:                              ;   in Loop: Header=BB348_545 Depth=1
	v_and_b32_sdwa v21, v35, v10 dst_sel:DWORD dst_unused:UNUSED_PAD src0_sel:DWORD src1_sel:BYTE_1
	v_mov_b32_e32 v20, 0x7f800001
	s_mov_b32 s15, exec_lo
	v_and_b32_e32 v98, 0x7f, v21
	v_cmpx_ne_u32_e32 0x7f, v98
	s_cbranch_execz .LBB348_959
; %bb.956:                              ;   in Loop: Header=BB348_545 Depth=1
	v_and_b32_e32 v20, 7, v21
	v_mov_b32_e32 v21, v11
	v_lshrrev_b32_e32 v97, 3, v98
	s_mov_b32 s16, exec_lo
	v_cmpx_gt_u32_e32 8, v98
; %bb.957:                              ;   in Loop: Header=BB348_545 Depth=1
	v_ffbh_u32_e32 v97, v20
	v_min_u32_e32 v97, 32, v97
	v_subrev_nc_u32_e32 v98, 28, v97
	v_sub_nc_u32_e32 v97, 29, v97
	v_lshlrev_b64 v[20:21], v98, v[20:21]
	v_and_b32_e32 v20, 7, v20
; %bb.958:                              ;   in Loop: Header=BB348_545 Depth=1
	s_or_b32 exec_lo, exec_lo, s16
	v_lshlrev_b32_e32 v10, 16, v10
	v_lshlrev_b32_e32 v20, 20, v20
	v_lshl_add_u32 v21, v97, 23, 0x3c000000
	v_and_b32_e32 v10, 0x80000000, v10
	v_or3_b32 v20, v20, v10, v21
.LBB348_959:                            ;   in Loop: Header=BB348_545 Depth=1
	s_or_b32 exec_lo, exec_lo, s15
.LBB348_960:                            ;   in Loop: Header=BB348_545 Depth=1
	s_or_b32 exec_lo, exec_lo, s14
.LBB348_961:                            ;   in Loop: Header=BB348_545 Depth=1
	s_or_b32 exec_lo, exec_lo, s13
	v_and_b32_sdwa v10, v19, v36 dst_sel:DWORD dst_unused:UNUSED_PAD src0_sel:WORD_1 src1_sel:DWORD
	v_mov_b32_e32 v98, 0
	v_mov_b32_e32 v99, 0
	s_mov_b32 s13, exec_lo
	v_cmpx_ne_u16_e32 0, v10
	s_cbranch_execz .LBB348_969
; %bb.962:                              ;   in Loop: Header=BB348_545 Depth=1
	v_bfrev_b32_e32 v99, 1
	s_mov_b32 s14, exec_lo
	v_cmpx_ne_u16_e32 0x80, v10
	s_cbranch_execz .LBB348_968
; %bb.963:                              ;   in Loop: Header=BB348_545 Depth=1
	v_bfe_u32 v97, v19, 16, 7
	v_mov_b32_e32 v99, 0x7f800001
	s_mov_b32 s15, exec_lo
	v_cmpx_ne_u32_e32 0x7f, v97
	s_cbranch_execz .LBB348_967
; %bb.964:                              ;   in Loop: Header=BB348_545 Depth=1
	v_and_b32_sdwa v10, v19, v37 dst_sel:DWORD dst_unused:UNUSED_PAD src0_sel:WORD_1 src1_sel:DWORD
	v_lshrrev_b32_e32 v21, 3, v97
	s_mov_b32 s16, exec_lo
	v_cmpx_gt_u32_e32 8, v97
; %bb.965:                              ;   in Loop: Header=BB348_545 Depth=1
	v_ffbh_u32_e32 v21, v10
	v_min_u32_e32 v21, 32, v21
	v_subrev_nc_u32_e32 v97, 28, v21
	v_sub_nc_u32_e32 v21, 29, v21
	v_lshlrev_b64 v[99:100], v97, v[10:11]
	v_and_b32_e32 v10, 7, v99
; %bb.966:                              ;   in Loop: Header=BB348_545 Depth=1
	s_or_b32 exec_lo, exec_lo, s16
	v_lshlrev_b32_sdwa v97, v38, v19 dst_sel:DWORD dst_unused:UNUSED_PAD src0_sel:DWORD src1_sel:WORD_1
	v_lshlrev_b32_e32 v10, 20, v10
	v_lshl_add_u32 v21, v21, 23, 0x3c000000
	v_and_b32_e32 v97, 0x80000000, v97
	v_or3_b32 v99, v10, v97, v21
.LBB348_967:                            ;   in Loop: Header=BB348_545 Depth=1
	s_or_b32 exec_lo, exec_lo, s15
.LBB348_968:                            ;   in Loop: Header=BB348_545 Depth=1
	s_or_b32 exec_lo, exec_lo, s14
.LBB348_969:                            ;   in Loop: Header=BB348_545 Depth=1
	s_or_b32 exec_lo, exec_lo, s13
	s_mov_b32 s13, exec_lo
	v_cmpx_lt_u64_e64 s[4:5], v[18:19]
	s_cbranch_execz .LBB348_977
; %bb.970:                              ;   in Loop: Header=BB348_545 Depth=1
	v_cmp_ne_u32_sdwa s0, v19, v34 src0_sel:BYTE_3 src1_sel:DWORD
	v_bfrev_b32_e32 v98, 1
	s_and_saveexec_b32 s14, s0
	s_cbranch_execz .LBB348_976
; %bb.971:                              ;   in Loop: Header=BB348_545 Depth=1
	v_bfe_u32 v21, v19, 24, 7
	v_mov_b32_e32 v98, 0x7f800001
	s_mov_b32 s15, exec_lo
	v_cmpx_ne_u32_e32 0x7f, v21
	s_cbranch_execz .LBB348_975
; %bb.972:                              ;   in Loop: Header=BB348_545 Depth=1
	v_and_b32_sdwa v10, v19, v37 dst_sel:DWORD dst_unused:UNUSED_PAD src0_sel:BYTE_3 src1_sel:DWORD
	v_lshrrev_b32_e32 v18, 3, v21
	s_mov_b32 s16, exec_lo
	v_cmpx_gt_u32_e32 8, v21
; %bb.973:                              ;   in Loop: Header=BB348_545 Depth=1
	v_ffbh_u32_e32 v18, v10
	v_min_u32_e32 v18, 32, v18
	v_subrev_nc_u32_e32 v21, 28, v18
	v_sub_nc_u32_e32 v18, 29, v18
	v_lshlrev_b64 v[97:98], v21, v[10:11]
	v_and_b32_e32 v10, 7, v97
; %bb.974:                              ;   in Loop: Header=BB348_545 Depth=1
	s_or_b32 exec_lo, exec_lo, s16
	v_lshlrev_b32_sdwa v19, v38, v19 dst_sel:DWORD dst_unused:UNUSED_PAD src0_sel:DWORD src1_sel:BYTE_3
	v_lshlrev_b32_e32 v10, 20, v10
	v_lshl_add_u32 v18, v18, 23, 0x3c000000
	v_and_b32_e32 v19, 0x80000000, v19
	v_or3_b32 v98, v10, v19, v18
.LBB348_975:                            ;   in Loop: Header=BB348_545 Depth=1
	s_or_b32 exec_lo, exec_lo, s15
.LBB348_976:                            ;   in Loop: Header=BB348_545 Depth=1
	s_or_b32 exec_lo, exec_lo, s14
.LBB348_977:                            ;   in Loop: Header=BB348_545 Depth=1
	s_or_b32 exec_lo, exec_lo, s13
	v_mul_f32_e32 v10, s6, v20
	v_mul_f32_e32 v18, s6, v96
	;; [unrolled: 1-line block ×4, first 2 shown]
	v_bfe_u32 v21, v10, 16, 1
	v_or_b32_e32 v93, 0x400000, v10
	v_bfe_u32 v95, v18, 16, 1
	v_cmp_u_f32_e64 s0, v10, v10
	v_or_b32_e32 v96, 0x400000, v18
	v_add3_u32 v21, v21, v10, 0x7fff
	v_bfe_u32 v97, v19, 16, 1
	v_add3_u32 v95, v95, v18, 0x7fff
	v_or_b32_e32 v100, 0x400000, v19
	v_bfe_u32 v101, v20, 16, 1
	v_cndmask_b32_e64 v10, v21, v93, s0
	v_cmp_u_f32_e64 s0, v18, v18
	v_add3_u32 v97, v97, v19, 0x7fff
	v_lshrrev_b32_e32 v93, 16, v10
	v_cndmask_b32_e64 v18, v95, v96, s0
	v_cmp_u_f32_e64 s0, v19, v19
	v_mul_f32_e32 v10, s6, v94
	v_add3_u32 v94, v101, v20, 0x7fff
	v_or_b32_e32 v95, 0x400000, v20
	v_lshrrev_b32_e32 v21, 16, v18
	v_cndmask_b32_e64 v19, v97, v100, s0
	v_bfe_u32 v18, v10, 16, 1
	v_cmp_u_f32_e64 s0, v20, v20
	v_mul_f32_e32 v20, s6, v92
	v_mul_f32_e32 v92, s6, v99
	v_lshrrev_b32_e32 v97, 16, v19
	v_add3_u32 v18, v18, v10, 0x7fff
	v_cndmask_b32_e64 v19, v94, v95, s0
	v_or_b32_e32 v94, 0x400000, v10
	v_bfe_u32 v96, v20, 16, 1
	v_cmp_u_f32_e64 s0, v10, v10
	v_mul_f32_e32 v95, s6, v98
	v_bfe_u32 v98, v92, 16, 1
	v_or_b32_e32 v99, 0x400000, v92
	v_cndmask_b32_e64 v10, v18, v94, s0
	v_add3_u32 v94, v96, v20, 0x7fff
	v_or_b32_e32 v96, 0x400000, v20
	v_cmp_u_f32_e64 s0, v20, v20
	v_bfe_u32 v18, v95, 16, 1
	v_add3_u32 v98, v98, v92, 0x7fff
	v_or_b32_e32 v100, 0x400000, v95
	v_cndmask_b32_e64 v20, v94, v96, s0
	v_cmp_u_f32_e64 s0, v92, v92
	v_add3_u32 v18, v18, v95, 0x7fff
	v_cndmask_b32_e64 v92, v98, v99, s0
	v_cmp_u_f32_e64 s0, v95, v95
	v_lshrrev_b32_e32 v98, 16, v19
	v_lshrrev_b32_e32 v99, 16, v20
	;; [unrolled: 1-line block ×3, first 2 shown]
	v_cndmask_b32_e64 v18, v18, v100, s0
	v_lshrrev_b32_e32 v100, 16, v10
	v_lshrrev_b32_e32 v96, 16, v18
	s_and_saveexec_b32 s13, vcc_lo
	s_cbranch_execz .LBB348_979
; %bb.978:                              ;   in Loop: Header=BB348_545 Depth=1
	v_cmp_gt_i32_e64 s0, s27, v47
	v_cndmask_b32_e64 v99, 0, v99, s0
	v_cmp_gt_i32_e64 s0, s27, v58
	v_cndmask_b32_e64 v100, 0, v100, s0
	;; [unrolled: 2-line block ×8, first 2 shown]
.LBB348_979:                            ;   in Loop: Header=BB348_545 Depth=1
	s_or_b32 exec_lo, exec_lo, s13
	global_load_dwordx2 v[16:17], v[16:17], off offset:1792
	v_mov_b32_e32 v92, 0
	v_mov_b32_e32 v20, 0
	s_waitcnt vmcnt(0)
	v_cmp_ne_u16_sdwa s0, v16, v11 src0_sel:BYTE_0 src1_sel:DWORD
	s_and_saveexec_b32 s13, s0
	s_cbranch_execz .LBB348_985
; %bb.980:                              ;   in Loop: Header=BB348_545 Depth=1
	v_cmp_ne_u16_sdwa s0, v16, v34 src0_sel:BYTE_0 src1_sel:DWORD
	v_bfrev_b32_e32 v20, 1
	s_and_saveexec_b32 s14, s0
	s_cbranch_execz .LBB348_984
; %bb.981:                              ;   in Loop: Header=BB348_545 Depth=1
	v_and_b32_e32 v10, 0x7f, v16
	v_mov_b32_e32 v20, 0x7f800001
	s_mov_b32 s15, exec_lo
	v_cmpx_ne_u32_e32 0x7f, v10
	s_cbranch_execz .LBB348_983
; %bb.982:                              ;   in Loop: Header=BB348_545 Depth=1
	v_and_b32_e32 v18, 7, v16
	v_lshrrev_b32_e32 v19, 3, v10
	v_cmp_gt_u32_e64 s0, 8, v10
	v_ffbh_u32_e32 v18, v18
	v_min_u32_e32 v18, 32, v18
	v_subrev_nc_u32_e32 v20, 28, v18
	v_sub_nc_u32_e32 v18, 29, v18
	v_cndmask_b32_e64 v10, v19, v18, s0
	v_cndmask_b32_e64 v18, 0, v20, s0
	v_lshl_add_u32 v10, v10, 23, 0x3c000000
	v_lshlrev_b64 v[18:19], v18, v[16:17]
	v_lshlrev_b32_e32 v19, 24, v16
	v_lshlrev_b32_e32 v18, 20, v18
	v_and_b32_e32 v19, 0x80000000, v19
	v_and_b32_e32 v18, 0x700000, v18
	v_or3_b32 v20, v18, v19, v10
.LBB348_983:                            ;   in Loop: Header=BB348_545 Depth=1
	s_or_b32 exec_lo, exec_lo, s15
.LBB348_984:                            ;   in Loop: Header=BB348_545 Depth=1
	s_or_b32 exec_lo, exec_lo, s14
.LBB348_985:                            ;   in Loop: Header=BB348_545 Depth=1
	s_or_b32 exec_lo, exec_lo, s13
	v_cmp_ne_u16_sdwa s0, v16, v11 src0_sel:BYTE_1 src1_sel:DWORD
	s_and_saveexec_b32 s13, s0
	s_cbranch_execz .LBB348_993
; %bb.986:                              ;   in Loop: Header=BB348_545 Depth=1
	v_cmp_ne_u16_sdwa s0, v16, v34 src0_sel:BYTE_1 src1_sel:DWORD
	v_bfrev_b32_e32 v92, 1
	s_and_saveexec_b32 s14, s0
	s_cbranch_execz .LBB348_992
; %bb.987:                              ;   in Loop: Header=BB348_545 Depth=1
	v_and_b32_sdwa v10, v35, v16 dst_sel:DWORD dst_unused:UNUSED_PAD src0_sel:DWORD src1_sel:BYTE_1
	v_mov_b32_e32 v92, 0x7f800001
	s_mov_b32 s15, exec_lo
	v_and_b32_e32 v19, 0x7f, v10
	v_cmpx_ne_u32_e32 0x7f, v19
	s_cbranch_execz .LBB348_991
; %bb.988:                              ;   in Loop: Header=BB348_545 Depth=1
	v_and_b32_e32 v10, 7, v10
	v_lshrrev_b32_e32 v18, 3, v19
	s_mov_b32 s16, exec_lo
	v_cmpx_gt_u32_e32 8, v19
; %bb.989:                              ;   in Loop: Header=BB348_545 Depth=1
	v_ffbh_u32_e32 v18, v10
	v_min_u32_e32 v18, 32, v18
	v_subrev_nc_u32_e32 v19, 28, v18
	v_sub_nc_u32_e32 v18, 29, v18
	v_lshlrev_b64 v[101:102], v19, v[10:11]
	v_and_b32_e32 v10, 7, v101
; %bb.990:                              ;   in Loop: Header=BB348_545 Depth=1
	s_or_b32 exec_lo, exec_lo, s16
	v_lshlrev_b32_e32 v19, 16, v16
	v_lshlrev_b32_e32 v10, 20, v10
	v_lshl_add_u32 v18, v18, 23, 0x3c000000
	v_and_b32_e32 v19, 0x80000000, v19
	v_or3_b32 v92, v10, v19, v18
.LBB348_991:                            ;   in Loop: Header=BB348_545 Depth=1
	s_or_b32 exec_lo, exec_lo, s15
.LBB348_992:                            ;   in Loop: Header=BB348_545 Depth=1
	s_or_b32 exec_lo, exec_lo, s14
.LBB348_993:                            ;   in Loop: Header=BB348_545 Depth=1
	s_or_b32 exec_lo, exec_lo, s13
	v_and_b32_sdwa v10, v16, v36 dst_sel:DWORD dst_unused:UNUSED_PAD src0_sel:WORD_1 src1_sel:DWORD
	v_mov_b32_e32 v101, 0
	v_mov_b32_e32 v94, 0
	s_mov_b32 s13, exec_lo
	v_cmpx_ne_u16_e32 0, v10
	s_cbranch_execz .LBB348_1001
; %bb.994:                              ;   in Loop: Header=BB348_545 Depth=1
	v_bfrev_b32_e32 v94, 1
	s_mov_b32 s14, exec_lo
	v_cmpx_ne_u16_e32 0x80, v10
	s_cbranch_execz .LBB348_1000
; %bb.995:                              ;   in Loop: Header=BB348_545 Depth=1
	v_bfe_u32 v19, v16, 16, 7
	v_mov_b32_e32 v94, 0x7f800001
	s_mov_b32 s15, exec_lo
	v_cmpx_ne_u32_e32 0x7f, v19
	s_cbranch_execz .LBB348_999
; %bb.996:                              ;   in Loop: Header=BB348_545 Depth=1
	v_and_b32_sdwa v10, v16, v37 dst_sel:DWORD dst_unused:UNUSED_PAD src0_sel:WORD_1 src1_sel:DWORD
	v_lshrrev_b32_e32 v18, 3, v19
	s_mov_b32 s16, exec_lo
	v_cmpx_gt_u32_e32 8, v19
; %bb.997:                              ;   in Loop: Header=BB348_545 Depth=1
	v_ffbh_u32_e32 v18, v10
	v_min_u32_e32 v18, 32, v18
	v_subrev_nc_u32_e32 v19, 28, v18
	v_sub_nc_u32_e32 v18, 29, v18
	v_lshlrev_b64 v[102:103], v19, v[10:11]
	v_and_b32_e32 v10, 7, v102
; %bb.998:                              ;   in Loop: Header=BB348_545 Depth=1
	s_or_b32 exec_lo, exec_lo, s16
	v_lshlrev_b32_sdwa v19, v38, v16 dst_sel:DWORD dst_unused:UNUSED_PAD src0_sel:DWORD src1_sel:WORD_1
	v_lshlrev_b32_e32 v10, 20, v10
	v_lshl_add_u32 v18, v18, 23, 0x3c000000
	v_and_b32_e32 v19, 0x80000000, v19
	v_or3_b32 v94, v10, v19, v18
.LBB348_999:                            ;   in Loop: Header=BB348_545 Depth=1
	s_or_b32 exec_lo, exec_lo, s15
.LBB348_1000:                           ;   in Loop: Header=BB348_545 Depth=1
	s_or_b32 exec_lo, exec_lo, s14
.LBB348_1001:                           ;   in Loop: Header=BB348_545 Depth=1
	s_or_b32 exec_lo, exec_lo, s13
	s_mov_b32 s13, exec_lo
	v_cmpx_lt_u32_e32 0xffffff, v16
	s_cbranch_execz .LBB348_1009
; %bb.1002:                             ;   in Loop: Header=BB348_545 Depth=1
	v_cmp_ne_u32_sdwa s0, v16, v34 src0_sel:BYTE_3 src1_sel:DWORD
	v_bfrev_b32_e32 v101, 1
	s_and_saveexec_b32 s14, s0
	s_cbranch_execz .LBB348_1008
; %bb.1003:                             ;   in Loop: Header=BB348_545 Depth=1
	v_bfe_u32 v19, v16, 24, 7
	v_mov_b32_e32 v101, 0x7f800001
	s_mov_b32 s15, exec_lo
	v_cmpx_ne_u32_e32 0x7f, v19
	s_cbranch_execz .LBB348_1007
; %bb.1004:                             ;   in Loop: Header=BB348_545 Depth=1
	v_and_b32_sdwa v10, v16, v37 dst_sel:DWORD dst_unused:UNUSED_PAD src0_sel:BYTE_3 src1_sel:DWORD
	v_lshrrev_b32_e32 v18, 3, v19
	s_mov_b32 s16, exec_lo
	v_cmpx_gt_u32_e32 8, v19
; %bb.1005:                             ;   in Loop: Header=BB348_545 Depth=1
	v_ffbh_u32_e32 v18, v10
	v_min_u32_e32 v18, 32, v18
	v_subrev_nc_u32_e32 v19, 28, v18
	v_sub_nc_u32_e32 v18, 29, v18
	v_lshlrev_b64 v[101:102], v19, v[10:11]
	v_and_b32_e32 v10, 7, v101
; %bb.1006:                             ;   in Loop: Header=BB348_545 Depth=1
	s_or_b32 exec_lo, exec_lo, s16
	v_lshlrev_b32_sdwa v19, v38, v16 dst_sel:DWORD dst_unused:UNUSED_PAD src0_sel:DWORD src1_sel:BYTE_3
	v_lshlrev_b32_e32 v10, 20, v10
	v_lshl_add_u32 v18, v18, 23, 0x3c000000
	v_and_b32_e32 v19, 0x80000000, v19
	v_or3_b32 v101, v10, v19, v18
.LBB348_1007:                           ;   in Loop: Header=BB348_545 Depth=1
	s_or_b32 exec_lo, exec_lo, s15
.LBB348_1008:                           ;   in Loop: Header=BB348_545 Depth=1
	s_or_b32 exec_lo, exec_lo, s14
.LBB348_1009:                           ;   in Loop: Header=BB348_545 Depth=1
	s_or_b32 exec_lo, exec_lo, s13
	v_mov_b32_e32 v10, v17
	v_cmp_ne_u16_sdwa s0, v17, v11 src0_sel:BYTE_0 src1_sel:DWORD
	v_mov_b32_e32 v18, 0
	v_mov_b32_e32 v102, 0
	s_and_saveexec_b32 s13, s0
	s_cbranch_execz .LBB348_1015
; %bb.1010:                             ;   in Loop: Header=BB348_545 Depth=1
	v_cmp_ne_u16_sdwa s0, v17, v34 src0_sel:BYTE_0 src1_sel:DWORD
	v_bfrev_b32_e32 v102, 1
	s_and_saveexec_b32 s14, s0
	s_cbranch_execz .LBB348_1014
; %bb.1011:                             ;   in Loop: Header=BB348_545 Depth=1
	v_and_b32_e32 v19, 0x7f, v17
	v_mov_b32_e32 v102, 0x7f800001
	s_mov_b32 s15, exec_lo
	v_cmpx_ne_u32_e32 0x7f, v19
	s_cbranch_execz .LBB348_1013
; %bb.1012:                             ;   in Loop: Header=BB348_545 Depth=1
	v_and_b32_e32 v102, 7, v17
	v_lshrrev_b32_e32 v103, 3, v19
	v_cmp_gt_u32_e64 s0, 8, v19
	v_ffbh_u32_e32 v102, v102
	v_min_u32_e32 v102, 32, v102
	v_subrev_nc_u32_e32 v104, 28, v102
	v_sub_nc_u32_e32 v102, 29, v102
	v_cndmask_b32_e64 v19, v103, v102, s0
	v_cndmask_b32_e64 v102, 0, v104, s0
	v_lshl_add_u32 v19, v19, 23, 0x3c000000
	v_lshlrev_b64 v[102:103], v102, v[10:11]
	v_lshlrev_b32_e32 v103, 24, v10
	v_lshlrev_b32_e32 v102, 20, v102
	v_and_b32_e32 v103, 0x80000000, v103
	v_and_b32_e32 v102, 0x700000, v102
	v_or3_b32 v102, v102, v103, v19
.LBB348_1013:                           ;   in Loop: Header=BB348_545 Depth=1
	s_or_b32 exec_lo, exec_lo, s15
.LBB348_1014:                           ;   in Loop: Header=BB348_545 Depth=1
	s_or_b32 exec_lo, exec_lo, s14
.LBB348_1015:                           ;   in Loop: Header=BB348_545 Depth=1
	s_or_b32 exec_lo, exec_lo, s13
	v_cmp_ne_u16_sdwa s0, v10, v11 src0_sel:BYTE_1 src1_sel:DWORD
	s_and_saveexec_b32 s13, s0
	s_cbranch_execz .LBB348_1023
; %bb.1016:                             ;   in Loop: Header=BB348_545 Depth=1
	v_cmp_ne_u16_sdwa s0, v10, v34 src0_sel:BYTE_1 src1_sel:DWORD
	v_bfrev_b32_e32 v18, 1
	s_and_saveexec_b32 s14, s0
	s_cbranch_execz .LBB348_1022
; %bb.1017:                             ;   in Loop: Header=BB348_545 Depth=1
	v_and_b32_sdwa v19, v35, v10 dst_sel:DWORD dst_unused:UNUSED_PAD src0_sel:DWORD src1_sel:BYTE_1
	v_mov_b32_e32 v18, 0x7f800001
	s_mov_b32 s15, exec_lo
	v_and_b32_e32 v104, 0x7f, v19
	v_cmpx_ne_u32_e32 0x7f, v104
	s_cbranch_execz .LBB348_1021
; %bb.1018:                             ;   in Loop: Header=BB348_545 Depth=1
	v_and_b32_e32 v18, 7, v19
	v_mov_b32_e32 v19, v11
	v_lshrrev_b32_e32 v103, 3, v104
	s_mov_b32 s16, exec_lo
	v_cmpx_gt_u32_e32 8, v104
; %bb.1019:                             ;   in Loop: Header=BB348_545 Depth=1
	v_ffbh_u32_e32 v103, v18
	v_min_u32_e32 v103, 32, v103
	v_subrev_nc_u32_e32 v104, 28, v103
	v_sub_nc_u32_e32 v103, 29, v103
	v_lshlrev_b64 v[18:19], v104, v[18:19]
	v_and_b32_e32 v18, 7, v18
; %bb.1020:                             ;   in Loop: Header=BB348_545 Depth=1
	s_or_b32 exec_lo, exec_lo, s16
	v_lshlrev_b32_e32 v10, 16, v10
	v_lshlrev_b32_e32 v18, 20, v18
	v_lshl_add_u32 v19, v103, 23, 0x3c000000
	v_and_b32_e32 v10, 0x80000000, v10
	v_or3_b32 v18, v18, v10, v19
.LBB348_1021:                           ;   in Loop: Header=BB348_545 Depth=1
	s_or_b32 exec_lo, exec_lo, s15
.LBB348_1022:                           ;   in Loop: Header=BB348_545 Depth=1
	s_or_b32 exec_lo, exec_lo, s14
.LBB348_1023:                           ;   in Loop: Header=BB348_545 Depth=1
	s_or_b32 exec_lo, exec_lo, s13
	v_and_b32_sdwa v10, v17, v36 dst_sel:DWORD dst_unused:UNUSED_PAD src0_sel:WORD_1 src1_sel:DWORD
	v_mov_b32_e32 v19, 0
	v_mov_b32_e32 v103, 0
	s_mov_b32 s13, exec_lo
	v_cmpx_ne_u16_e32 0, v10
	s_cbranch_execz .LBB348_1031
; %bb.1024:                             ;   in Loop: Header=BB348_545 Depth=1
	v_bfrev_b32_e32 v103, 1
	s_mov_b32 s14, exec_lo
	v_cmpx_ne_u16_e32 0x80, v10
	s_cbranch_execz .LBB348_1030
; %bb.1025:                             ;   in Loop: Header=BB348_545 Depth=1
	v_bfe_u32 v104, v17, 16, 7
	v_mov_b32_e32 v103, 0x7f800001
	s_mov_b32 s15, exec_lo
	v_cmpx_ne_u32_e32 0x7f, v104
	s_cbranch_execz .LBB348_1029
; %bb.1026:                             ;   in Loop: Header=BB348_545 Depth=1
	v_and_b32_sdwa v10, v17, v37 dst_sel:DWORD dst_unused:UNUSED_PAD src0_sel:WORD_1 src1_sel:DWORD
	v_lshrrev_b32_e32 v103, 3, v104
	s_mov_b32 s16, exec_lo
	v_cmpx_gt_u32_e32 8, v104
; %bb.1027:                             ;   in Loop: Header=BB348_545 Depth=1
	v_ffbh_u32_e32 v103, v10
	v_min_u32_e32 v103, 32, v103
	v_subrev_nc_u32_e32 v104, 28, v103
	v_sub_nc_u32_e32 v103, 29, v103
	v_lshlrev_b64 v[104:105], v104, v[10:11]
	v_and_b32_e32 v10, 7, v104
; %bb.1028:                             ;   in Loop: Header=BB348_545 Depth=1
	s_or_b32 exec_lo, exec_lo, s16
	v_lshlrev_b32_sdwa v104, v38, v17 dst_sel:DWORD dst_unused:UNUSED_PAD src0_sel:DWORD src1_sel:WORD_1
	v_lshlrev_b32_e32 v10, 20, v10
	v_lshl_add_u32 v103, v103, 23, 0x3c000000
	v_and_b32_e32 v104, 0x80000000, v104
	v_or3_b32 v103, v10, v104, v103
.LBB348_1029:                           ;   in Loop: Header=BB348_545 Depth=1
	s_or_b32 exec_lo, exec_lo, s15
.LBB348_1030:                           ;   in Loop: Header=BB348_545 Depth=1
	s_or_b32 exec_lo, exec_lo, s14
.LBB348_1031:                           ;   in Loop: Header=BB348_545 Depth=1
	s_or_b32 exec_lo, exec_lo, s13
	s_mov_b32 s13, exec_lo
	v_cmpx_lt_u64_e64 s[4:5], v[16:17]
	s_cbranch_execz .LBB348_1039
; %bb.1032:                             ;   in Loop: Header=BB348_545 Depth=1
	v_cmp_ne_u32_sdwa s0, v17, v34 src0_sel:BYTE_3 src1_sel:DWORD
	v_bfrev_b32_e32 v19, 1
	s_and_saveexec_b32 s14, s0
	s_cbranch_execz .LBB348_1038
; %bb.1033:                             ;   in Loop: Header=BB348_545 Depth=1
	v_bfe_u32 v104, v17, 24, 7
	v_mov_b32_e32 v19, 0x7f800001
	s_mov_b32 s15, exec_lo
	v_cmpx_ne_u32_e32 0x7f, v104
	s_cbranch_execz .LBB348_1037
; %bb.1034:                             ;   in Loop: Header=BB348_545 Depth=1
	v_and_b32_sdwa v10, v17, v37 dst_sel:DWORD dst_unused:UNUSED_PAD src0_sel:BYTE_3 src1_sel:DWORD
	v_lshrrev_b32_e32 v16, 3, v104
	s_mov_b32 s16, exec_lo
	v_cmpx_gt_u32_e32 8, v104
; %bb.1035:                             ;   in Loop: Header=BB348_545 Depth=1
	v_ffbh_u32_e32 v16, v10
	v_min_u32_e32 v16, 32, v16
	v_subrev_nc_u32_e32 v19, 28, v16
	v_sub_nc_u32_e32 v16, 29, v16
	v_lshlrev_b64 v[104:105], v19, v[10:11]
	v_and_b32_e32 v10, 7, v104
; %bb.1036:                             ;   in Loop: Header=BB348_545 Depth=1
	s_or_b32 exec_lo, exec_lo, s16
	v_lshlrev_b32_sdwa v17, v38, v17 dst_sel:DWORD dst_unused:UNUSED_PAD src0_sel:DWORD src1_sel:BYTE_3
	v_lshlrev_b32_e32 v10, 20, v10
	v_lshl_add_u32 v16, v16, 23, 0x3c000000
	v_and_b32_e32 v17, 0x80000000, v17
	v_or3_b32 v19, v10, v17, v16
.LBB348_1037:                           ;   in Loop: Header=BB348_545 Depth=1
	s_or_b32 exec_lo, exec_lo, s15
.LBB348_1038:                           ;   in Loop: Header=BB348_545 Depth=1
	s_or_b32 exec_lo, exec_lo, s14
.LBB348_1039:                           ;   in Loop: Header=BB348_545 Depth=1
	s_or_b32 exec_lo, exec_lo, s13
	v_mul_f32_e32 v10, s6, v18
	v_mul_f32_e32 v16, s6, v102
	;; [unrolled: 1-line block ×5, first 2 shown]
	v_bfe_u32 v94, v10, 16, 1
	v_or_b32_e32 v101, 0x400000, v10
	v_bfe_u32 v102, v16, 16, 1
	v_cmp_u_f32_e64 s0, v10, v10
	v_or_b32_e32 v104, 0x400000, v16
	v_add3_u32 v94, v94, v10, 0x7fff
	v_bfe_u32 v105, v17, 16, 1
	v_add3_u32 v102, v102, v16, 0x7fff
	v_or_b32_e32 v106, 0x400000, v17
	v_bfe_u32 v107, v18, 16, 1
	v_cndmask_b32_e64 v10, v94, v101, s0
	v_cmp_u_f32_e64 s0, v16, v16
	v_add3_u32 v105, v105, v17, 0x7fff
	v_or_b32_e32 v101, 0x400000, v18
	v_add3_u32 v94, v107, v18, 0x7fff
	v_mul_f32_e32 v20, s6, v20
	v_cndmask_b32_e64 v16, v102, v104, s0
	v_cmp_u_f32_e64 s0, v17, v17
	v_bfe_u32 v102, v92, 16, 1
	v_mul_f32_e32 v19, s6, v19
	v_lshrrev_b32_e32 v10, 16, v10
	v_lshrrev_b32_e32 v16, 16, v16
	v_cndmask_b32_e64 v17, v105, v106, s0
	v_cmp_u_f32_e64 s0, v18, v18
	v_or_b32_e32 v106, 0x400000, v19
	v_lshrrev_b32_e32 v17, 16, v17
	v_cndmask_b32_e64 v18, v94, v101, s0
	v_mul_f32_e32 v94, s6, v103
	v_add3_u32 v101, v102, v92, 0x7fff
	v_or_b32_e32 v102, 0x400000, v92
	v_bfe_u32 v103, v20, 16, 1
	v_cmp_u_f32_e64 s0, v92, v92
	v_bfe_u32 v104, v94, 16, 1
	v_or_b32_e32 v105, 0x400000, v94
	v_cndmask_b32_e64 v92, v101, v102, s0
	v_add3_u32 v102, v103, v20, 0x7fff
	v_or_b32_e32 v103, 0x400000, v20
	v_cmp_u_f32_e64 s0, v20, v20
	v_bfe_u32 v101, v19, 16, 1
	v_add3_u32 v104, v104, v94, 0x7fff
	v_lshrrev_b32_e32 v20, 16, v18
	v_lshrrev_b32_e32 v92, 16, v92
	v_cndmask_b32_e64 v102, v102, v103, s0
	v_cmp_u_f32_e64 s0, v94, v94
	v_add3_u32 v101, v101, v19, 0x7fff
	v_lshrrev_b32_e32 v94, 16, v102
	v_cndmask_b32_e64 v103, v104, v105, s0
	v_cmp_u_f32_e64 s0, v19, v19
	v_lshrrev_b32_e32 v19, 16, v103
	v_cndmask_b32_e64 v101, v101, v106, s0
	v_lshrrev_b32_e32 v18, 16, v101
	s_and_saveexec_b32 s0, vcc_lo
	s_cbranch_execz .LBB348_544
; %bb.1040:                             ;   in Loop: Header=BB348_545 Depth=1
	v_cmp_gt_i32_e32 vcc_lo, s27, v47
	v_cndmask_b32_e32 v94, 0, v94, vcc_lo
	v_cmp_gt_i32_e32 vcc_lo, s27, v58
	v_cndmask_b32_e32 v92, 0, v92, vcc_lo
	;; [unrolled: 2-line block ×8, first 2 shown]
	s_branch .LBB348_544
.LBB348_1041:
	s_or_b32 exec_lo, exec_lo, s12
	v_mov_b32_e32 v32, v108
	v_mov_b32_e32 v33, v109
.LBB348_1042:
	s_or_b32 exec_lo, exec_lo, s1
	v_lshl_add_u32 v1, v23, 2, 0x220
	v_and_b32_e32 v2, 0x3c0, v32
	s_mov_b32 s0, exec_lo
	s_waitcnt_vscnt null, 0x0
	s_barrier
	v_lshl_add_u32 v0, v33, 10, v1
	buffer_gl0_inv
	v_cmpx_eq_u32_e32 64, v2
	s_cbranch_execz .LBB348_1044
; %bb.1043:
	v_add_nc_u32_e32 v2, 0xfffff800, v0
	v_add_nc_u32_e32 v3, 0xfffff880, v0
	;; [unrolled: 1-line block ×5, first 2 shown]
	ds_write_b32 v2, v31
	ds_write_b32 v3, v30
	;; [unrolled: 1-line block ×3, first 2 shown]
	v_add_nc_u32_e32 v2, 0xfffff980, v0
	v_add_nc_u32_e32 v3, 0xfffffa00, v0
	;; [unrolled: 1-line block ×3, first 2 shown]
	ds_write_b32 v2, v28
	ds_write_b32 v3, v27
	;; [unrolled: 1-line block ×5, first 2 shown]
.LBB348_1044:
	s_or_b32 exec_lo, exec_lo, s0
	s_mov_b32 s0, exec_lo
	s_waitcnt lgkmcnt(0)
	s_barrier
	buffer_gl0_inv
	v_cmpx_gt_u32_e32 64, v32
	s_cbranch_execz .LBB348_1046
; %bb.1045:
	ds_read2_b32 v[2:3], v0 offset1:32
	ds_read2_b32 v[4:5], v0 offset0:64 offset1:96
	ds_read2_b32 v[6:7], v0 offset0:128 offset1:160
	;; [unrolled: 1-line block ×3, first 2 shown]
	s_waitcnt lgkmcnt(3)
	v_add_f32_e32 v31, v31, v2
	v_add_f32_e32 v30, v30, v3
	s_waitcnt lgkmcnt(2)
	v_add_f32_e32 v29, v29, v4
	v_add_f32_e32 v28, v28, v5
	s_waitcnt lgkmcnt(1)
	v_add_f32_e32 v27, v27, v6
	v_add_f32_e32 v26, v26, v7
	s_waitcnt lgkmcnt(0)
	v_add_f32_e32 v25, v25, v8
	v_add_f32_e32 v24, v24, v9
.LBB348_1046:
	s_or_b32 exec_lo, exec_lo, s0
	v_and_b32_e32 v2, 0x3e0, v32
	s_mov_b32 s0, exec_lo
	s_barrier
	buffer_gl0_inv
	v_cmpx_eq_u32_e32 32, v2
	s_cbranch_execz .LBB348_1048
; %bb.1047:
	ds_write2_b32 v1, v31, v30 offset1:32
	ds_write2_b32 v1, v29, v28 offset0:64 offset1:96
	ds_write2_b32 v1, v27, v26 offset0:128 offset1:160
	;; [unrolled: 1-line block ×3, first 2 shown]
.LBB348_1048:
	s_or_b32 exec_lo, exec_lo, s0
	v_cmp_gt_u32_e32 vcc_lo, 32, v32
	s_waitcnt lgkmcnt(0)
	s_barrier
	buffer_gl0_inv
	s_and_saveexec_b32 s0, vcc_lo
	s_cbranch_execz .LBB348_1050
; %bb.1049:
	ds_read2_b32 v[1:2], v0 offset1:32
	ds_read2_b32 v[3:4], v0 offset0:64 offset1:96
	ds_read2_b32 v[5:6], v0 offset0:128 offset1:160
	;; [unrolled: 1-line block ×3, first 2 shown]
	s_waitcnt lgkmcnt(3)
	v_add_f32_e32 v31, v31, v1
	v_add_f32_e32 v30, v30, v2
	s_waitcnt lgkmcnt(2)
	v_add_f32_e32 v29, v29, v3
	v_add_f32_e32 v28, v28, v4
	;; [unrolled: 3-line block ×4, first 2 shown]
.LBB348_1050:
	s_or_b32 exec_lo, exec_lo, s0
	s_barrier
	buffer_gl0_inv
	s_and_saveexec_b32 s0, vcc_lo
	s_cbranch_execz .LBB348_1052
; %bb.1051:
	s_lshl_b32 s0, s2, 8
	s_mul_i32 s2, s7, s10
	s_ashr_i32 s1, s0, 31
	v_bfe_u32 v1, v31, 16, 1
	s_lshl_b64 s[0:1], s[0:1], 1
	v_or_b32_e32 v2, 0x400000, v31
	s_add_u32 s4, s24, s0
	s_addc_u32 s5, s25, s1
	s_ashr_i32 s3, s2, 31
	v_add3_u32 v1, v1, v31, 0x7fff
	s_lshl_b64 s[0:1], s[2:3], 1
	v_bfe_u32 v3, v30, 16, 1
	s_add_u32 s2, s4, s0
	v_cmp_u_f32_e32 vcc_lo, v31, v31
	s_addc_u32 s3, s5, s1
	s_lshl_b32 s0, s8, 8
	v_lshlrev_b32_e32 v0, 1, v32
	s_ashr_i32 s1, s0, 31
	v_cndmask_b32_e32 v1, v1, v2, vcc_lo
	s_lshl_b64 s[0:1], s[0:1], 1
	v_bfe_u32 v2, v29, 16, 1
	v_add3_u32 v3, v3, v30, 0x7fff
	v_or_b32_e32 v4, 0x400000, v30
	v_cmp_u_f32_e32 vcc_lo, v30, v30
	s_add_u32 s0, s2, s0
	s_addc_u32 s1, s3, s1
	v_bfe_u32 v5, v25, 16, 1
	global_store_short_d16_hi v0, v1, s[0:1]
	v_add3_u32 v1, v2, v29, 0x7fff
	v_or_b32_e32 v2, 0x400000, v29
	v_cndmask_b32_e32 v3, v3, v4, vcc_lo
	v_bfe_u32 v4, v28, 16, 1
	v_cmp_u_f32_e32 vcc_lo, v29, v29
	v_or_b32_e32 v6, 0x400000, v26
	v_add3_u32 v5, v5, v25, 0x7fff
	global_store_short_d16_hi v0, v3, s[0:1] offset:64
	v_add3_u32 v3, v4, v28, 0x7fff
	v_cndmask_b32_e32 v1, v1, v2, vcc_lo
	v_bfe_u32 v2, v27, 16, 1
	v_or_b32_e32 v4, 0x400000, v28
	v_cmp_u_f32_e32 vcc_lo, v28, v28
	v_or_b32_e32 v7, 0x400000, v25
	global_store_short_d16_hi v0, v1, s[0:1] offset:128
	v_add3_u32 v1, v2, v27, 0x7fff
	v_or_b32_e32 v2, 0x400000, v27
	v_cndmask_b32_e32 v3, v3, v4, vcc_lo
	v_bfe_u32 v4, v26, 16, 1
	v_cmp_u_f32_e32 vcc_lo, v27, v27
	v_or_b32_e32 v8, 0x400000, v24
	v_add3_u32 v4, v4, v26, 0x7fff
	v_cndmask_b32_e32 v1, v1, v2, vcc_lo
	v_cmp_u_f32_e32 vcc_lo, v26, v26
	v_bfe_u32 v2, v24, 16, 1
	v_cndmask_b32_e32 v4, v4, v6, vcc_lo
	v_cmp_u_f32_e32 vcc_lo, v25, v25
	v_add3_u32 v2, v2, v24, 0x7fff
	v_cndmask_b32_e32 v5, v5, v7, vcc_lo
	v_cmp_u_f32_e32 vcc_lo, v24, v24
	v_cndmask_b32_e32 v2, v2, v8, vcc_lo
	global_store_short_d16_hi v0, v3, s[0:1] offset:192
	global_store_short_d16_hi v0, v1, s[0:1] offset:256
	global_store_short_d16_hi v0, v4, s[0:1] offset:320
	global_store_short_d16_hi v0, v5, s[0:1] offset:384
	global_store_short_d16_hi v0, v2, s[0:1] offset:448
.LBB348_1052:
	s_endpgm
	.section	.rodata,"a",@progbits
	.p2align	6, 0x0
	.amdhsa_kernel _ZN4vllm25paged_attention_v2_kernelI14__hip_bfloat16hLi256ELi8ELi128ELNS_18Fp8KVCacheDataTypeE1ELb0ELi512EEEvPfS3_PT_PKS4_PKT0_SA_ifPKiSC_iPKfiiiSE_SE_iiiii
		.amdhsa_group_segment_fixed_size 544
		.amdhsa_private_segment_fixed_size 96
		.amdhsa_kernarg_size 400
		.amdhsa_user_sgpr_count 6
		.amdhsa_user_sgpr_private_segment_buffer 1
		.amdhsa_user_sgpr_dispatch_ptr 0
		.amdhsa_user_sgpr_queue_ptr 0
		.amdhsa_user_sgpr_kernarg_segment_ptr 1
		.amdhsa_user_sgpr_dispatch_id 0
		.amdhsa_user_sgpr_flat_scratch_init 0
		.amdhsa_user_sgpr_private_segment_size 0
		.amdhsa_wavefront_size32 1
		.amdhsa_uses_dynamic_stack 0
		.amdhsa_system_sgpr_private_segment_wavefront_offset 1
		.amdhsa_system_sgpr_workgroup_id_x 1
		.amdhsa_system_sgpr_workgroup_id_y 1
		.amdhsa_system_sgpr_workgroup_id_z 1
		.amdhsa_system_sgpr_workgroup_info 0
		.amdhsa_system_vgpr_workitem_id 0
		.amdhsa_next_free_vgpr 128
		.amdhsa_next_free_sgpr 48
		.amdhsa_reserve_vcc 1
		.amdhsa_reserve_flat_scratch 0
		.amdhsa_float_round_mode_32 0
		.amdhsa_float_round_mode_16_64 0
		.amdhsa_float_denorm_mode_32 3
		.amdhsa_float_denorm_mode_16_64 3
		.amdhsa_dx10_clamp 1
		.amdhsa_ieee_mode 1
		.amdhsa_fp16_overflow 0
		.amdhsa_workgroup_processor_mode 1
		.amdhsa_memory_ordered 1
		.amdhsa_forward_progress 1
		.amdhsa_shared_vgpr_count 0
		.amdhsa_exception_fp_ieee_invalid_op 0
		.amdhsa_exception_fp_denorm_src 0
		.amdhsa_exception_fp_ieee_div_zero 0
		.amdhsa_exception_fp_ieee_overflow 0
		.amdhsa_exception_fp_ieee_underflow 0
		.amdhsa_exception_fp_ieee_inexact 0
		.amdhsa_exception_int_div_zero 0
	.end_amdhsa_kernel
	.section	.text._ZN4vllm25paged_attention_v2_kernelI14__hip_bfloat16hLi256ELi8ELi128ELNS_18Fp8KVCacheDataTypeE1ELb0ELi512EEEvPfS3_PT_PKS4_PKT0_SA_ifPKiSC_iPKfiiiSE_SE_iiiii,"axG",@progbits,_ZN4vllm25paged_attention_v2_kernelI14__hip_bfloat16hLi256ELi8ELi128ELNS_18Fp8KVCacheDataTypeE1ELb0ELi512EEEvPfS3_PT_PKS4_PKT0_SA_ifPKiSC_iPKfiiiSE_SE_iiiii,comdat
.Lfunc_end348:
	.size	_ZN4vllm25paged_attention_v2_kernelI14__hip_bfloat16hLi256ELi8ELi128ELNS_18Fp8KVCacheDataTypeE1ELb0ELi512EEEvPfS3_PT_PKS4_PKT0_SA_ifPKiSC_iPKfiiiSE_SE_iiiii, .Lfunc_end348-_ZN4vllm25paged_attention_v2_kernelI14__hip_bfloat16hLi256ELi8ELi128ELNS_18Fp8KVCacheDataTypeE1ELb0ELi512EEEvPfS3_PT_PKS4_PKT0_SA_ifPKiSC_iPKfiiiSE_SE_iiiii
                                        ; -- End function
	.set _ZN4vllm25paged_attention_v2_kernelI14__hip_bfloat16hLi256ELi8ELi128ELNS_18Fp8KVCacheDataTypeE1ELb0ELi512EEEvPfS3_PT_PKS4_PKT0_SA_ifPKiSC_iPKfiiiSE_SE_iiiii.num_vgpr, 128
	.set _ZN4vllm25paged_attention_v2_kernelI14__hip_bfloat16hLi256ELi8ELi128ELNS_18Fp8KVCacheDataTypeE1ELb0ELi512EEEvPfS3_PT_PKS4_PKT0_SA_ifPKiSC_iPKfiiiSE_SE_iiiii.num_agpr, 0
	.set _ZN4vllm25paged_attention_v2_kernelI14__hip_bfloat16hLi256ELi8ELi128ELNS_18Fp8KVCacheDataTypeE1ELb0ELi512EEEvPfS3_PT_PKS4_PKT0_SA_ifPKiSC_iPKfiiiSE_SE_iiiii.numbered_sgpr, 48
	.set _ZN4vllm25paged_attention_v2_kernelI14__hip_bfloat16hLi256ELi8ELi128ELNS_18Fp8KVCacheDataTypeE1ELb0ELi512EEEvPfS3_PT_PKS4_PKT0_SA_ifPKiSC_iPKfiiiSE_SE_iiiii.num_named_barrier, 0
	.set _ZN4vllm25paged_attention_v2_kernelI14__hip_bfloat16hLi256ELi8ELi128ELNS_18Fp8KVCacheDataTypeE1ELb0ELi512EEEvPfS3_PT_PKS4_PKT0_SA_ifPKiSC_iPKfiiiSE_SE_iiiii.private_seg_size, 96
	.set _ZN4vllm25paged_attention_v2_kernelI14__hip_bfloat16hLi256ELi8ELi128ELNS_18Fp8KVCacheDataTypeE1ELb0ELi512EEEvPfS3_PT_PKS4_PKT0_SA_ifPKiSC_iPKfiiiSE_SE_iiiii.uses_vcc, 1
	.set _ZN4vllm25paged_attention_v2_kernelI14__hip_bfloat16hLi256ELi8ELi128ELNS_18Fp8KVCacheDataTypeE1ELb0ELi512EEEvPfS3_PT_PKS4_PKT0_SA_ifPKiSC_iPKfiiiSE_SE_iiiii.uses_flat_scratch, 0
	.set _ZN4vllm25paged_attention_v2_kernelI14__hip_bfloat16hLi256ELi8ELi128ELNS_18Fp8KVCacheDataTypeE1ELb0ELi512EEEvPfS3_PT_PKS4_PKT0_SA_ifPKiSC_iPKfiiiSE_SE_iiiii.has_dyn_sized_stack, 0
	.set _ZN4vllm25paged_attention_v2_kernelI14__hip_bfloat16hLi256ELi8ELi128ELNS_18Fp8KVCacheDataTypeE1ELb0ELi512EEEvPfS3_PT_PKS4_PKT0_SA_ifPKiSC_iPKfiiiSE_SE_iiiii.has_recursion, 0
	.set _ZN4vllm25paged_attention_v2_kernelI14__hip_bfloat16hLi256ELi8ELi128ELNS_18Fp8KVCacheDataTypeE1ELb0ELi512EEEvPfS3_PT_PKS4_PKT0_SA_ifPKiSC_iPKfiiiSE_SE_iiiii.has_indirect_call, 0
	.section	.AMDGPU.csdata,"",@progbits
; Kernel info:
; codeLenInByte = 39824
; TotalNumSgprs: 50
; NumVgprs: 128
; ScratchSize: 96
; MemoryBound: 0
; FloatMode: 240
; IeeeMode: 1
; LDSByteSize: 544 bytes/workgroup (compile time only)
; SGPRBlocks: 0
; VGPRBlocks: 15
; NumSGPRsForWavesPerEU: 50
; NumVGPRsForWavesPerEU: 128
; Occupancy: 8
; WaveLimiterHint : 1
; COMPUTE_PGM_RSRC2:SCRATCH_EN: 1
; COMPUTE_PGM_RSRC2:USER_SGPR: 6
; COMPUTE_PGM_RSRC2:TRAP_HANDLER: 0
; COMPUTE_PGM_RSRC2:TGID_X_EN: 1
; COMPUTE_PGM_RSRC2:TGID_Y_EN: 1
; COMPUTE_PGM_RSRC2:TGID_Z_EN: 1
; COMPUTE_PGM_RSRC2:TIDIG_COMP_CNT: 0
	.section	.text._ZN4vllm25paged_attention_v2_kernelI14__hip_bfloat16hLi32ELi16ELi128ELNS_18Fp8KVCacheDataTypeE1ELb1ELi512EEEvPfS3_PT_PKS4_PKT0_SA_ifPKiSC_iPKfiiiSE_SE_iiiii,"axG",@progbits,_ZN4vllm25paged_attention_v2_kernelI14__hip_bfloat16hLi32ELi16ELi128ELNS_18Fp8KVCacheDataTypeE1ELb1ELi512EEEvPfS3_PT_PKS4_PKT0_SA_ifPKiSC_iPKfiiiSE_SE_iiiii,comdat
	.protected	_ZN4vllm25paged_attention_v2_kernelI14__hip_bfloat16hLi32ELi16ELi128ELNS_18Fp8KVCacheDataTypeE1ELb1ELi512EEEvPfS3_PT_PKS4_PKT0_SA_ifPKiSC_iPKfiiiSE_SE_iiiii ; -- Begin function _ZN4vllm25paged_attention_v2_kernelI14__hip_bfloat16hLi32ELi16ELi128ELNS_18Fp8KVCacheDataTypeE1ELb1ELi512EEEvPfS3_PT_PKS4_PKT0_SA_ifPKiSC_iPKfiiiSE_SE_iiiii
	.globl	_ZN4vllm25paged_attention_v2_kernelI14__hip_bfloat16hLi32ELi16ELi128ELNS_18Fp8KVCacheDataTypeE1ELb1ELi512EEEvPfS3_PT_PKS4_PKT0_SA_ifPKiSC_iPKfiiiSE_SE_iiiii
	.p2align	8
	.type	_ZN4vllm25paged_attention_v2_kernelI14__hip_bfloat16hLi32ELi16ELi128ELNS_18Fp8KVCacheDataTypeE1ELb1ELi512EEEvPfS3_PT_PKS4_PKT0_SA_ifPKiSC_iPKfiiiSE_SE_iiiii,@function
_ZN4vllm25paged_attention_v2_kernelI14__hip_bfloat16hLi32ELi16ELi128ELNS_18Fp8KVCacheDataTypeE1ELb1ELi512EEEvPfS3_PT_PKS4_PKT0_SA_ifPKiSC_iPKfiiiSE_SE_iiiii: ; @_ZN4vllm25paged_attention_v2_kernelI14__hip_bfloat16hLi32ELi16ELi128ELNS_18Fp8KVCacheDataTypeE1ELb1ELi512EEEvPfS3_PT_PKS4_PKT0_SA_ifPKiSC_iPKfiiiSE_SE_iiiii
; %bb.0:
	s_load_dwordx2 s[0:1], s[4:5], 0x40
	s_mov_b32 s30, s7
	s_ashr_i32 s31, s7, 31
	s_lshl_b64 s[2:3], s[30:31], 2
	s_waitcnt lgkmcnt(0)
	s_add_u32 s0, s0, s2
	s_addc_u32 s1, s1, s3
	s_lshl_b32 s42, s8, 9
	s_load_dword s31, s[0:1], 0x0
	s_waitcnt lgkmcnt(0)
	s_cmp_ge_i32 s42, s31
	s_cbranch_scc1 .LBB349_314
; %bb.1:
	s_clause 0x1
	s_load_dword s9, s[4:5], 0x90
	s_load_dwordx2 s[40:41], s[4:5], 0x30
	s_mov_b32 s44, 0
	s_waitcnt lgkmcnt(0)
	s_abs_i32 s3, s9
	s_abs_i32 s0, s40
	v_cvt_f32_u32_e32 v1, s0
	s_sub_i32 s2, 0, s0
	v_rcp_iflag_f32_e32 v1, v1
	v_mul_f32_e32 v1, 0x4f7ffffe, v1
	v_cvt_u32_f32_e32 v1, v1
	v_readfirstlane_b32 s1, v1
	s_mul_i32 s2, s2, s1
	s_mul_hi_u32 s2, s1, s2
	s_add_i32 s1, s1, s2
	s_xor_b32 s2, s9, s40
	s_mul_hi_u32 s1, s3, s1
	s_ashr_i32 s2, s2, 31
	s_mul_i32 s7, s1, s0
	s_sub_i32 s3, s3, s7
	s_add_i32 s7, s1, 1
	s_sub_i32 s10, s3, s0
	s_cmp_ge_u32 s3, s0
	s_cselect_b32 s1, s7, s1
	s_cselect_b32 s3, s10, s3
	s_add_i32 s7, s1, 1
	s_cmp_ge_u32 s3, s0
	s_cselect_b32 s0, s7, s1
	s_xor_b32 s0, s0, s2
	s_sub_i32 s10, s0, s2
	s_load_dwordx2 s[0:1], s[4:5], 0x50
	s_abs_i32 s2, s10
	v_cvt_f32_u32_e32 v1, s2
	s_sub_i32 s3, 0, s2
	v_rcp_iflag_f32_e32 v1, v1
	v_mul_f32_e32 v1, 0x4f7ffffe, v1
	v_cvt_u32_f32_e32 v1, v1
	v_readfirstlane_b32 s7, v1
	s_mul_i32 s3, s3, s7
	s_mul_hi_u32 s11, s7, s3
	s_abs_i32 s3, s6
	s_add_i32 s7, s7, s11
	s_waitcnt lgkmcnt(0)
	s_cmp_eq_u64 s[0:1], 0
	s_mul_hi_u32 s12, s3, s7
	s_cbranch_scc1 .LBB349_3
; %bb.2:
	s_ashr_i32 s7, s6, 31
	s_lshl_b64 s[14:15], s[6:7], 2
	s_add_u32 s0, s0, s14
	s_addc_u32 s1, s1, s15
	s_load_dword s44, s[0:1], 0x0
.LBB349_3:
	s_load_dwordx4 s[16:19], s[4:5], 0x58
	v_lshrrev_b32_e32 v22, 1, v0
	v_and_b32_e32 v23, 1, v0
	v_lshlrev_b32_e32 v19, 3, v0
	s_ashr_i32 s0, s6, 31
	s_ashr_i32 s1, s10, 31
	s_lshl_b32 s10, s6, 5
	s_mov_b32 s7, exec_lo
	v_cmpx_gt_u32_e32 8, v0
	s_cbranch_execz .LBB349_5
; %bb.4:
	s_load_dwordx2 s[14:15], s[4:5], 0x18
	s_waitcnt lgkmcnt(0)
	s_mul_i32 s20, s16, s30
	v_lshlrev_b32_e32 v3, 3, v22
	s_ashr_i32 s21, s20, 31
	s_lshl_b64 s[20:21], s[20:21], 1
	v_lshl_add_u32 v3, v23, 5, v3
	s_add_u32 s13, s14, s20
	s_addc_u32 s16, s15, s21
	s_ashr_i32 s11, s10, 31
	s_lshl_b64 s[14:15], s[10:11], 1
	s_add_u32 s14, s13, s14
	s_addc_u32 s15, s16, s15
	global_load_dwordx2 v[1:2], v19, s[14:15]
	s_waitcnt vmcnt(0)
	ds_write_b64 v3, v[1:2]
.LBB349_5:
	s_or_b32 exec_lo, exec_lo, s7
	s_load_dwordx4 s[20:23], s[4:5], 0x78
	s_mul_i32 s7, s12, s2
	s_xor_b32 s0, s0, s1
	s_sub_i32 s1, s3, s7
	s_add_i32 s3, s12, 1
	s_sub_i32 s7, s1, s2
	s_cmp_ge_u32 s1, s2
                                        ; implicit-def: $sgpr33
	s_cselect_b32 s3, s3, s12
	s_cselect_b32 s1, s7, s1
	s_add_i32 s7, s3, 1
	s_cmp_ge_u32 s1, s2
	s_mov_b32 s12, -1
	s_cselect_b32 s1, s7, s3
	s_load_dword s3, s[4:5], 0x88
	s_xor_b32 s1, s1, s0
	s_add_i32 s7, s31, -1
	s_sub_i32 s1, s1, s0
	s_abs_i32 s2, s7
	s_waitcnt lgkmcnt(0)
	s_abs_i32 s11, s23
	s_barrier
	v_cvt_f32_u32_e32 v1, s11
	s_sub_i32 s0, 0, s11
	buffer_gl0_inv
	v_rcp_iflag_f32_e32 v1, v1
	v_mul_f32_e32 v1, 0x4f7ffffe, v1
	v_cvt_u32_f32_e32 v1, v1
	v_readfirstlane_b32 s19, v1
	s_mul_i32 s0, s0, s19
	s_mul_hi_u32 s0, s19, s0
	s_add_i32 s19, s19, s0
	s_cmp_lt_i32 s3, 0
	s_mul_hi_u32 s0, s2, s19
	s_cbranch_scc0 .LBB349_7
; %bb.6:
	s_mul_i32 s12, s20, s40
	s_add_i32 s12, s1, s12
	s_mul_i32 s12, s12, s3
	s_sub_i32 s33, 1, s12
	s_mov_b32 s12, 0
.LBB349_7:
	s_load_dwordx2 s[34:35], s[4:5], 0x38
	s_ashr_i32 s16, s7, 31
	s_andn2_b32 vcc_lo, exec_lo, s12
	s_ashr_i32 s23, s23, 31
	s_cbranch_vccnz .LBB349_9
; %bb.8:
	s_mul_i32 s7, s9, s20
	s_add_i32 s7, s7, s6
	s_mul_i32 s3, s7, s3
	s_add_i32 s33, s3, 1
.LBB349_9:
	s_clause 0x5
	s_load_dword s3, s[4:5], 0x48
	s_load_dwordx2 s[38:39], s[4:5], 0x28
	s_load_dwordx4 s[24:27], s[4:5], 0x0
	s_load_dwordx2 s[28:29], s[4:5], 0x10
	s_load_dword s7, s[4:5], 0x98
	s_load_dwordx4 s[12:15], s[4:5], 0x68
	s_xor_b32 s43, s16, s23
	s_mul_i32 s16, s0, s11
	s_add_i32 s20, s0, 1
	s_sub_i32 s2, s2, s16
	v_lshrrev_b32_e32 v24, 5, v0
	v_mov_b32_e32 v26, 0xff7fffff
	v_mbcnt_lo_u32_b32 v20, -1, 0
	s_mul_i32 s18, s1, s18
	v_lshl_add_u32 v25, v24, 4, s42
	s_waitcnt lgkmcnt(0)
	s_mul_i32 s36, s3, s30
	s_sub_i32 s3, s2, s11
	s_ashr_i32 s37, s36, 31
	s_cmp_ge_u32 s2, s11
	s_cselect_b32 s0, s20, s0
	s_cselect_b32 s2, s3, s2
	s_add_i32 s3, s0, 1
	s_cmp_ge_u32 s2, s11
	s_cselect_b32 s0, s3, s0
	s_add_i32 s2, s31, 15
	s_lshl_b32 s16, s8, 5
	s_ashr_i32 s3, s2, 31
	v_or_b32_e32 v9, s16, v24
	s_lshr_b32 s3, s3, 28
	s_add_i32 s2, s2, s3
	s_add_i32 s3, s16, 32
	s_ashr_i32 s40, s2, 4
	s_xor_b32 s2, s0, s43
	s_min_i32 s20, s3, s40
	v_ashrrev_i32_e32 v10, 31, v9
	v_cmp_gt_i32_e64 s0, s20, v9
	s_sub_i32 s43, s2, s43
	s_and_saveexec_b32 s45, s0
	s_cbranch_execz .LBB349_149
; %bb.10:
	s_load_dwordx2 s[2:3], s[4:5], 0x20
	s_sub_i32 s4, s43, s21
	s_ashr_i32 s1, s18, 31
	v_bfe_u32 v21, v0, 1, 4
	v_lshlrev_b32_e32 v3, 2, v23
	v_mov_b32_e32 v12, 0
	v_lshlrev_b32_e32 v27, 5, v23
	v_lshl_add_u32 v28, v24, 4, s42
	v_lshlrev_b32_e32 v5, 2, v21
	v_subrev_nc_u32_e32 v6, s31, v21
	v_lshlrev_b32_e32 v7, 4, v21
	v_mov_b32_e32 v29, 0x80
	v_mov_b32_e32 v30, 0xffff
	v_lshl_or_b32 v5, v24, 6, v5
	v_add_nc_u32_e32 v34, 1, v6
	v_mov_b32_e32 v31, 0xff
	v_mov_b32_e32 v32, 7
	;; [unrolled: 1-line block ×3, first 2 shown]
	v_add_nc_u32_e32 v35, 0x60, v5
	v_mov_b32_e32 v26, 0xff7fffff
	s_waitcnt lgkmcnt(0)
	s_add_u32 s46, s2, s18
	s_addc_u32 s47, s3, s1
	s_abs_i32 s5, s22
	v_add_co_u32 v6, s46, s46, v7
	v_cvt_f32_u32_e32 v1, s5
	s_sub_i32 s2, 0, s5
	v_add_co_ci_u32_e64 v7, null, s47, 0, s46
	v_cmp_neq_f32_e64 s1, s44, 0
	v_rcp_iflag_f32_e32 v4, v1
	v_lshlrev_b64 v[1:2], 2, v[9:10]
	v_mov_b32_e32 v37, v9
	s_mov_b32 s46, 0
	s_mov_b32 s47, s17
	v_cmp_eq_u32_e32 vcc_lo, 0, v23
	v_mul_f32_e32 v4, 0x4f7ffffe, v4
	v_cvt_u32_f32_e32 v4, v4
	v_mul_lo_u32 v5, s2, v4
	s_lshl_b64 s[2:3], s[36:37], 2
	s_add_u32 s2, s34, s2
	s_addc_u32 s3, s35, s3
	v_add_co_u32 v13, s2, s2, v1
	v_add_co_ci_u32_e64 v14, null, s3, v2, s2
	v_mul_hi_u32 v5, v4, v5
	v_add_co_u32 v15, s2, v6, v3
	v_add_co_ci_u32_e64 v16, null, 0, v7, s2
	v_add_nc_u32_e32 v36, v4, v5
	s_branch .LBB349_13
.LBB349_11:                             ;   in Loop: Header=BB349_13 Depth=1
	s_or_b32 exec_lo, exec_lo, s48
.LBB349_12:                             ;   in Loop: Header=BB349_13 Depth=1
	s_or_b32 exec_lo, exec_lo, s3
	v_add_nc_u32_e32 v37, 4, v37
	v_add_co_u32 v13, s3, v13, 16
	v_add_co_ci_u32_e64 v14, null, 0, v14, s3
	v_cmp_le_i32_e64 s2, s20, v37
	v_add_nc_u32_e32 v28, 64, v28
	v_add_nc_u32_e32 v35, 0x100, v35
	s_or_b32 s46, s2, s46
	s_andn2_b32 exec_lo, exec_lo, s46
	s_cbranch_execz .LBB349_148
.LBB349_13:                             ; =>This Inner Loop Header: Depth=1
	v_sub_nc_u32_e32 v1, 0, v28
	v_max_i32_e32 v1, v28, v1
	s_waitcnt lgkmcnt(0)
	v_mul_hi_u32 v2, v1, s19
	v_mul_lo_u32 v3, v2, s11
	v_sub_nc_u32_e32 v1, v1, v3
	v_add_nc_u32_e32 v3, 1, v2
	v_subrev_nc_u32_e32 v4, s11, v1
	v_cmp_le_u32_e64 s2, s11, v1
	v_cndmask_b32_e64 v2, v2, v3, s2
	v_cndmask_b32_e64 v1, v1, v4, s2
	v_ashrrev_i32_e32 v3, 31, v28
	v_add_nc_u32_e32 v4, 1, v2
	v_cmp_le_u32_e64 s2, s11, v1
	v_xor_b32_e32 v3, s23, v3
	v_cndmask_b32_e64 v1, v2, v4, s2
	v_xor_b32_e32 v1, v1, v3
	v_sub_nc_u32_e32 v1, v1, v3
	v_add_nc_u32_e32 v2, s33, v1
	v_cmp_ge_i32_e64 s3, s4, v1
	v_sub_nc_u32_e32 v3, 0, v2
	v_max_i32_e32 v3, v2, v3
	v_ashrrev_i32_e32 v2, 31, v2
	v_mul_hi_u32 v4, v3, v36
	v_mul_lo_u32 v4, v4, s5
	v_sub_nc_u32_e32 v3, v3, v4
	v_subrev_nc_u32_e32 v4, s5, v3
	v_cmp_le_u32_e64 s2, s5, v3
	v_cndmask_b32_e64 v3, v3, v4, s2
	v_subrev_nc_u32_e32 v4, s5, v3
	v_cmp_le_u32_e64 s2, s5, v3
	v_cndmask_b32_e64 v3, v3, v4, s2
	v_xor_b32_e32 v3, v3, v2
	v_sub_nc_u32_e32 v2, v3, v2
	v_cmp_ne_u32_e64 s2, 0, v2
	s_and_b32 s2, s2, s3
	s_and_saveexec_b32 s3, s2
	s_xor_b32 s2, exec_lo, s3
	s_cbranch_execz .LBB349_17
; %bb.14:                               ;   in Loop: Header=BB349_13 Depth=1
	s_and_saveexec_b32 s3, vcc_lo
; %bb.15:                               ;   in Loop: Header=BB349_13 Depth=1
	v_mov_b32_e32 v1, 0xff7fffff
	ds_write_b32 v35, v1
; %bb.16:                               ;   in Loop: Header=BB349_13 Depth=1
	s_or_b32 exec_lo, exec_lo, s3
.LBB349_17:                             ;   in Loop: Header=BB349_13 Depth=1
	s_andn2_saveexec_b32 s3, s2
	s_cbranch_execz .LBB349_12
; %bb.18:                               ;   in Loop: Header=BB349_13 Depth=1
	global_load_dword v1, v[13:14], off
	v_mov_b32_e32 v39, 0
	v_mov_b32_e32 v38, 0
	s_waitcnt vmcnt(0)
	v_mad_i64_i32 v[17:18], null, v1, s47, v[15:16]
	global_load_dword v42, v[17:18], off
	ds_read_b128 v[5:8], v27
	ds_read_b128 v[1:4], v27 offset:16
	s_load_dword s48, s[12:13], 0x0
	s_waitcnt vmcnt(0)
	v_cmp_ne_u16_sdwa s2, v42, v12 src0_sel:BYTE_0 src1_sel:DWORD
	s_and_saveexec_b32 s49, s2
	s_cbranch_execz .LBB349_26
; %bb.19:                               ;   in Loop: Header=BB349_13 Depth=1
	v_cmp_ne_u16_sdwa s2, v42, v29 src0_sel:BYTE_0 src1_sel:DWORD
	v_bfrev_b32_e32 v38, 1
	s_and_saveexec_b32 s50, s2
	s_cbranch_execz .LBB349_25
; %bb.20:                               ;   in Loop: Header=BB349_13 Depth=1
	v_and_b32_e32 v40, 0x7f, v42
	v_mov_b32_e32 v38, 0x7f800001
	s_mov_b32 s51, exec_lo
	v_cmpx_ne_u32_e32 0x7f, v40
	s_cbranch_execz .LBB349_24
; %bb.21:                               ;   in Loop: Header=BB349_13 Depth=1
	v_and_b32_e32 v11, 7, v42
	v_lshrrev_b32_e32 v38, 3, v40
	s_mov_b32 s52, exec_lo
	v_cmpx_gt_u32_e32 8, v40
; %bb.22:                               ;   in Loop: Header=BB349_13 Depth=1
	v_ffbh_u32_e32 v38, v11
	v_min_u32_e32 v38, 32, v38
	v_subrev_nc_u32_e32 v40, 28, v38
	v_sub_nc_u32_e32 v38, 29, v38
	v_lshlrev_b64 v[40:41], v40, v[11:12]
	v_and_b32_e32 v11, 7, v40
; %bb.23:                               ;   in Loop: Header=BB349_13 Depth=1
	s_or_b32 exec_lo, exec_lo, s52
	v_lshlrev_b32_e32 v40, 24, v42
	v_lshlrev_b32_e32 v11, 20, v11
	v_lshl_add_u32 v38, v38, 23, 0x3c000000
	v_and_b32_e32 v40, 0x80000000, v40
	v_or3_b32 v38, v11, v40, v38
.LBB349_24:                             ;   in Loop: Header=BB349_13 Depth=1
	s_or_b32 exec_lo, exec_lo, s51
.LBB349_25:                             ;   in Loop: Header=BB349_13 Depth=1
	s_or_b32 exec_lo, exec_lo, s50
.LBB349_26:                             ;   in Loop: Header=BB349_13 Depth=1
	s_or_b32 exec_lo, exec_lo, s49
	v_cmp_ne_u16_sdwa s2, v42, v12 src0_sel:BYTE_1 src1_sel:DWORD
	s_and_saveexec_b32 s49, s2
	s_cbranch_execz .LBB349_34
; %bb.27:                               ;   in Loop: Header=BB349_13 Depth=1
	v_cmp_ne_u16_sdwa s2, v42, v29 src0_sel:BYTE_1 src1_sel:DWORD
	v_bfrev_b32_e32 v39, 1
	s_and_saveexec_b32 s50, s2
	s_cbranch_execz .LBB349_33
; %bb.28:                               ;   in Loop: Header=BB349_13 Depth=1
	v_and_b32_sdwa v11, v30, v42 dst_sel:DWORD dst_unused:UNUSED_PAD src0_sel:DWORD src1_sel:BYTE_1
	v_mov_b32_e32 v39, 0x7f800001
	s_mov_b32 s51, exec_lo
	v_and_b32_e32 v40, 0x7f, v11
	v_cmpx_ne_u32_e32 0x7f, v40
	s_cbranch_execz .LBB349_32
; %bb.29:                               ;   in Loop: Header=BB349_13 Depth=1
	v_and_b32_e32 v11, 7, v11
	v_lshrrev_b32_e32 v39, 3, v40
	s_mov_b32 s52, exec_lo
	v_cmpx_gt_u32_e32 8, v40
; %bb.30:                               ;   in Loop: Header=BB349_13 Depth=1
	v_ffbh_u32_e32 v39, v11
	v_min_u32_e32 v39, 32, v39
	v_subrev_nc_u32_e32 v40, 28, v39
	v_sub_nc_u32_e32 v39, 29, v39
	v_lshlrev_b64 v[40:41], v40, v[11:12]
	v_and_b32_e32 v11, 7, v40
; %bb.31:                               ;   in Loop: Header=BB349_13 Depth=1
	s_or_b32 exec_lo, exec_lo, s52
	v_lshlrev_b32_e32 v40, 16, v42
	v_lshlrev_b32_e32 v11, 20, v11
	v_lshl_add_u32 v39, v39, 23, 0x3c000000
	v_and_b32_e32 v40, 0x80000000, v40
	v_or3_b32 v39, v11, v40, v39
.LBB349_32:                             ;   in Loop: Header=BB349_13 Depth=1
	s_or_b32 exec_lo, exec_lo, s51
.LBB349_33:                             ;   in Loop: Header=BB349_13 Depth=1
	s_or_b32 exec_lo, exec_lo, s50
.LBB349_34:                             ;   in Loop: Header=BB349_13 Depth=1
	s_or_b32 exec_lo, exec_lo, s49
	v_and_b32_sdwa v11, v42, v31 dst_sel:DWORD dst_unused:UNUSED_PAD src0_sel:WORD_1 src1_sel:DWORD
	v_mov_b32_e32 v40, 0
	v_mov_b32_e32 v41, 0
	s_mov_b32 s49, exec_lo
	v_cmpx_ne_u16_e32 0, v11
	s_cbranch_execz .LBB349_42
; %bb.35:                               ;   in Loop: Header=BB349_13 Depth=1
	v_bfrev_b32_e32 v41, 1
	s_mov_b32 s50, exec_lo
	v_cmpx_ne_u16_e32 0x80, v11
	s_cbranch_execz .LBB349_41
; %bb.36:                               ;   in Loop: Header=BB349_13 Depth=1
	v_bfe_u32 v43, v42, 16, 7
	v_mov_b32_e32 v41, 0x7f800001
	s_mov_b32 s51, exec_lo
	v_cmpx_ne_u32_e32 0x7f, v43
	s_cbranch_execz .LBB349_40
; %bb.37:                               ;   in Loop: Header=BB349_13 Depth=1
	v_and_b32_sdwa v11, v42, v32 dst_sel:DWORD dst_unused:UNUSED_PAD src0_sel:WORD_1 src1_sel:DWORD
	v_lshrrev_b32_e32 v41, 3, v43
	s_mov_b32 s52, exec_lo
	v_cmpx_gt_u32_e32 8, v43
; %bb.38:                               ;   in Loop: Header=BB349_13 Depth=1
	v_ffbh_u32_e32 v41, v11
	v_min_u32_e32 v41, 32, v41
	v_subrev_nc_u32_e32 v43, 28, v41
	v_sub_nc_u32_e32 v41, 29, v41
	v_lshlrev_b64 v[43:44], v43, v[11:12]
	v_and_b32_e32 v11, 7, v43
; %bb.39:                               ;   in Loop: Header=BB349_13 Depth=1
	s_or_b32 exec_lo, exec_lo, s52
	v_lshlrev_b32_sdwa v43, v33, v42 dst_sel:DWORD dst_unused:UNUSED_PAD src0_sel:DWORD src1_sel:WORD_1
	v_lshlrev_b32_e32 v11, 20, v11
	v_lshl_add_u32 v41, v41, 23, 0x3c000000
	v_and_b32_e32 v43, 0x80000000, v43
	v_or3_b32 v41, v11, v43, v41
.LBB349_40:                             ;   in Loop: Header=BB349_13 Depth=1
	s_or_b32 exec_lo, exec_lo, s51
.LBB349_41:                             ;   in Loop: Header=BB349_13 Depth=1
	s_or_b32 exec_lo, exec_lo, s50
.LBB349_42:                             ;   in Loop: Header=BB349_13 Depth=1
	s_or_b32 exec_lo, exec_lo, s49
	s_mov_b32 s49, exec_lo
	v_cmpx_lt_u32_e32 0xffffff, v42
	s_cbranch_execz .LBB349_50
; %bb.43:                               ;   in Loop: Header=BB349_13 Depth=1
	v_cmp_ne_u32_sdwa s2, v42, v29 src0_sel:BYTE_3 src1_sel:DWORD
	v_bfrev_b32_e32 v40, 1
	s_and_saveexec_b32 s50, s2
	s_cbranch_execz .LBB349_49
; %bb.44:                               ;   in Loop: Header=BB349_13 Depth=1
	v_bfe_u32 v43, v42, 24, 7
	v_mov_b32_e32 v40, 0x7f800001
	s_mov_b32 s51, exec_lo
	v_cmpx_ne_u32_e32 0x7f, v43
	s_cbranch_execz .LBB349_48
; %bb.45:                               ;   in Loop: Header=BB349_13 Depth=1
	v_and_b32_sdwa v11, v42, v32 dst_sel:DWORD dst_unused:UNUSED_PAD src0_sel:BYTE_3 src1_sel:DWORD
	v_lshrrev_b32_e32 v40, 3, v43
	s_mov_b32 s52, exec_lo
	v_cmpx_gt_u32_e32 8, v43
; %bb.46:                               ;   in Loop: Header=BB349_13 Depth=1
	v_ffbh_u32_e32 v40, v11
	v_min_u32_e32 v40, 32, v40
	v_subrev_nc_u32_e32 v43, 28, v40
	v_sub_nc_u32_e32 v40, 29, v40
	v_lshlrev_b64 v[43:44], v43, v[11:12]
	v_and_b32_e32 v11, 7, v43
; %bb.47:                               ;   in Loop: Header=BB349_13 Depth=1
	s_or_b32 exec_lo, exec_lo, s52
	v_lshlrev_b32_sdwa v42, v33, v42 dst_sel:DWORD dst_unused:UNUSED_PAD src0_sel:DWORD src1_sel:BYTE_3
	v_lshlrev_b32_e32 v11, 20, v11
	v_lshl_add_u32 v40, v40, 23, 0x3c000000
	v_and_b32_e32 v42, 0x80000000, v42
	v_or3_b32 v40, v11, v42, v40
.LBB349_48:                             ;   in Loop: Header=BB349_13 Depth=1
	s_or_b32 exec_lo, exec_lo, s51
.LBB349_49:                             ;   in Loop: Header=BB349_13 Depth=1
	s_or_b32 exec_lo, exec_lo, s50
.LBB349_50:                             ;   in Loop: Header=BB349_13 Depth=1
	s_or_b32 exec_lo, exec_lo, s49
	global_load_dword v46, v[17:18], off offset:8
	v_mov_b32_e32 v43, 0
	v_mov_b32_e32 v42, 0
	s_waitcnt vmcnt(0)
	v_cmp_ne_u16_sdwa s2, v46, v12 src0_sel:BYTE_0 src1_sel:DWORD
	s_and_saveexec_b32 s49, s2
	s_cbranch_execz .LBB349_58
; %bb.51:                               ;   in Loop: Header=BB349_13 Depth=1
	v_cmp_ne_u16_sdwa s2, v46, v29 src0_sel:BYTE_0 src1_sel:DWORD
	v_bfrev_b32_e32 v42, 1
	s_and_saveexec_b32 s50, s2
	s_cbranch_execz .LBB349_57
; %bb.52:                               ;   in Loop: Header=BB349_13 Depth=1
	v_and_b32_e32 v44, 0x7f, v46
	v_mov_b32_e32 v42, 0x7f800001
	s_mov_b32 s51, exec_lo
	v_cmpx_ne_u32_e32 0x7f, v44
	s_cbranch_execz .LBB349_56
; %bb.53:                               ;   in Loop: Header=BB349_13 Depth=1
	v_and_b32_e32 v11, 7, v46
	v_lshrrev_b32_e32 v42, 3, v44
	s_mov_b32 s52, exec_lo
	v_cmpx_gt_u32_e32 8, v44
; %bb.54:                               ;   in Loop: Header=BB349_13 Depth=1
	v_ffbh_u32_e32 v42, v11
	v_min_u32_e32 v42, 32, v42
	v_subrev_nc_u32_e32 v44, 28, v42
	v_sub_nc_u32_e32 v42, 29, v42
	v_lshlrev_b64 v[44:45], v44, v[11:12]
	v_and_b32_e32 v11, 7, v44
; %bb.55:                               ;   in Loop: Header=BB349_13 Depth=1
	s_or_b32 exec_lo, exec_lo, s52
	v_lshlrev_b32_e32 v44, 24, v46
	v_lshlrev_b32_e32 v11, 20, v11
	v_lshl_add_u32 v42, v42, 23, 0x3c000000
	v_and_b32_e32 v44, 0x80000000, v44
	v_or3_b32 v42, v11, v44, v42
.LBB349_56:                             ;   in Loop: Header=BB349_13 Depth=1
	s_or_b32 exec_lo, exec_lo, s51
.LBB349_57:                             ;   in Loop: Header=BB349_13 Depth=1
	s_or_b32 exec_lo, exec_lo, s50
.LBB349_58:                             ;   in Loop: Header=BB349_13 Depth=1
	s_or_b32 exec_lo, exec_lo, s49
	v_cmp_ne_u16_sdwa s2, v46, v12 src0_sel:BYTE_1 src1_sel:DWORD
	s_and_saveexec_b32 s49, s2
	s_cbranch_execz .LBB349_66
; %bb.59:                               ;   in Loop: Header=BB349_13 Depth=1
	v_cmp_ne_u16_sdwa s2, v46, v29 src0_sel:BYTE_1 src1_sel:DWORD
	v_bfrev_b32_e32 v43, 1
	s_and_saveexec_b32 s50, s2
	s_cbranch_execz .LBB349_65
; %bb.60:                               ;   in Loop: Header=BB349_13 Depth=1
	v_and_b32_sdwa v11, v30, v46 dst_sel:DWORD dst_unused:UNUSED_PAD src0_sel:DWORD src1_sel:BYTE_1
	v_mov_b32_e32 v43, 0x7f800001
	s_mov_b32 s51, exec_lo
	v_and_b32_e32 v44, 0x7f, v11
	v_cmpx_ne_u32_e32 0x7f, v44
	s_cbranch_execz .LBB349_64
; %bb.61:                               ;   in Loop: Header=BB349_13 Depth=1
	v_and_b32_e32 v11, 7, v11
	v_lshrrev_b32_e32 v43, 3, v44
	s_mov_b32 s52, exec_lo
	v_cmpx_gt_u32_e32 8, v44
; %bb.62:                               ;   in Loop: Header=BB349_13 Depth=1
	v_ffbh_u32_e32 v43, v11
	v_min_u32_e32 v43, 32, v43
	v_subrev_nc_u32_e32 v44, 28, v43
	v_sub_nc_u32_e32 v43, 29, v43
	v_lshlrev_b64 v[44:45], v44, v[11:12]
	v_and_b32_e32 v11, 7, v44
; %bb.63:                               ;   in Loop: Header=BB349_13 Depth=1
	s_or_b32 exec_lo, exec_lo, s52
	v_lshlrev_b32_e32 v44, 16, v46
	v_lshlrev_b32_e32 v11, 20, v11
	v_lshl_add_u32 v43, v43, 23, 0x3c000000
	v_and_b32_e32 v44, 0x80000000, v44
	v_or3_b32 v43, v11, v44, v43
.LBB349_64:                             ;   in Loop: Header=BB349_13 Depth=1
	s_or_b32 exec_lo, exec_lo, s51
.LBB349_65:                             ;   in Loop: Header=BB349_13 Depth=1
	s_or_b32 exec_lo, exec_lo, s50
.LBB349_66:                             ;   in Loop: Header=BB349_13 Depth=1
	s_or_b32 exec_lo, exec_lo, s49
	v_and_b32_sdwa v11, v46, v31 dst_sel:DWORD dst_unused:UNUSED_PAD src0_sel:WORD_1 src1_sel:DWORD
	v_mov_b32_e32 v44, 0
	v_mov_b32_e32 v45, 0
	s_mov_b32 s49, exec_lo
	v_cmpx_ne_u16_e32 0, v11
	s_cbranch_execz .LBB349_74
; %bb.67:                               ;   in Loop: Header=BB349_13 Depth=1
	v_bfrev_b32_e32 v45, 1
	s_mov_b32 s50, exec_lo
	v_cmpx_ne_u16_e32 0x80, v11
	s_cbranch_execz .LBB349_73
; %bb.68:                               ;   in Loop: Header=BB349_13 Depth=1
	v_bfe_u32 v47, v46, 16, 7
	v_mov_b32_e32 v45, 0x7f800001
	s_mov_b32 s51, exec_lo
	v_cmpx_ne_u32_e32 0x7f, v47
	s_cbranch_execz .LBB349_72
; %bb.69:                               ;   in Loop: Header=BB349_13 Depth=1
	v_and_b32_sdwa v11, v46, v32 dst_sel:DWORD dst_unused:UNUSED_PAD src0_sel:WORD_1 src1_sel:DWORD
	v_lshrrev_b32_e32 v45, 3, v47
	s_mov_b32 s52, exec_lo
	v_cmpx_gt_u32_e32 8, v47
; %bb.70:                               ;   in Loop: Header=BB349_13 Depth=1
	v_ffbh_u32_e32 v45, v11
	v_min_u32_e32 v45, 32, v45
	v_subrev_nc_u32_e32 v47, 28, v45
	v_sub_nc_u32_e32 v45, 29, v45
	v_lshlrev_b64 v[47:48], v47, v[11:12]
	v_and_b32_e32 v11, 7, v47
; %bb.71:                               ;   in Loop: Header=BB349_13 Depth=1
	s_or_b32 exec_lo, exec_lo, s52
	v_lshlrev_b32_sdwa v47, v33, v46 dst_sel:DWORD dst_unused:UNUSED_PAD src0_sel:DWORD src1_sel:WORD_1
	v_lshlrev_b32_e32 v11, 20, v11
	v_lshl_add_u32 v45, v45, 23, 0x3c000000
	v_and_b32_e32 v47, 0x80000000, v47
	v_or3_b32 v45, v11, v47, v45
.LBB349_72:                             ;   in Loop: Header=BB349_13 Depth=1
	s_or_b32 exec_lo, exec_lo, s51
.LBB349_73:                             ;   in Loop: Header=BB349_13 Depth=1
	s_or_b32 exec_lo, exec_lo, s50
.LBB349_74:                             ;   in Loop: Header=BB349_13 Depth=1
	s_or_b32 exec_lo, exec_lo, s49
	s_mov_b32 s49, exec_lo
	v_cmpx_lt_u32_e32 0xffffff, v46
	s_cbranch_execz .LBB349_82
; %bb.75:                               ;   in Loop: Header=BB349_13 Depth=1
	v_cmp_ne_u32_sdwa s2, v46, v29 src0_sel:BYTE_3 src1_sel:DWORD
	v_bfrev_b32_e32 v44, 1
	s_and_saveexec_b32 s50, s2
	s_cbranch_execz .LBB349_81
; %bb.76:                               ;   in Loop: Header=BB349_13 Depth=1
	v_bfe_u32 v47, v46, 24, 7
	v_mov_b32_e32 v44, 0x7f800001
	s_mov_b32 s51, exec_lo
	v_cmpx_ne_u32_e32 0x7f, v47
	s_cbranch_execz .LBB349_80
; %bb.77:                               ;   in Loop: Header=BB349_13 Depth=1
	v_and_b32_sdwa v11, v46, v32 dst_sel:DWORD dst_unused:UNUSED_PAD src0_sel:BYTE_3 src1_sel:DWORD
	v_lshrrev_b32_e32 v44, 3, v47
	s_mov_b32 s52, exec_lo
	v_cmpx_gt_u32_e32 8, v47
; %bb.78:                               ;   in Loop: Header=BB349_13 Depth=1
	v_ffbh_u32_e32 v44, v11
	v_min_u32_e32 v44, 32, v44
	v_subrev_nc_u32_e32 v47, 28, v44
	v_sub_nc_u32_e32 v44, 29, v44
	v_lshlrev_b64 v[47:48], v47, v[11:12]
	v_and_b32_e32 v11, 7, v47
; %bb.79:                               ;   in Loop: Header=BB349_13 Depth=1
	s_or_b32 exec_lo, exec_lo, s52
	v_lshlrev_b32_sdwa v46, v33, v46 dst_sel:DWORD dst_unused:UNUSED_PAD src0_sel:DWORD src1_sel:BYTE_3
	v_lshlrev_b32_e32 v11, 20, v11
	v_lshl_add_u32 v44, v44, 23, 0x3c000000
	v_and_b32_e32 v46, 0x80000000, v46
	v_or3_b32 v44, v11, v46, v44
.LBB349_80:                             ;   in Loop: Header=BB349_13 Depth=1
	s_or_b32 exec_lo, exec_lo, s51
.LBB349_81:                             ;   in Loop: Header=BB349_13 Depth=1
	s_or_b32 exec_lo, exec_lo, s50
.LBB349_82:                             ;   in Loop: Header=BB349_13 Depth=1
	s_or_b32 exec_lo, exec_lo, s49
	global_load_dword v50, v[17:18], off offset:256
	v_mov_b32_e32 v47, 0
	v_mov_b32_e32 v46, 0
	s_waitcnt vmcnt(0)
	v_cmp_ne_u16_sdwa s2, v50, v12 src0_sel:BYTE_0 src1_sel:DWORD
	s_and_saveexec_b32 s49, s2
	s_cbranch_execz .LBB349_90
; %bb.83:                               ;   in Loop: Header=BB349_13 Depth=1
	v_cmp_ne_u16_sdwa s2, v50, v29 src0_sel:BYTE_0 src1_sel:DWORD
	v_bfrev_b32_e32 v46, 1
	s_and_saveexec_b32 s50, s2
	s_cbranch_execz .LBB349_89
; %bb.84:                               ;   in Loop: Header=BB349_13 Depth=1
	v_and_b32_e32 v48, 0x7f, v50
	v_mov_b32_e32 v46, 0x7f800001
	s_mov_b32 s51, exec_lo
	v_cmpx_ne_u32_e32 0x7f, v48
	s_cbranch_execz .LBB349_88
; %bb.85:                               ;   in Loop: Header=BB349_13 Depth=1
	v_and_b32_e32 v11, 7, v50
	v_lshrrev_b32_e32 v46, 3, v48
	s_mov_b32 s52, exec_lo
	v_cmpx_gt_u32_e32 8, v48
; %bb.86:                               ;   in Loop: Header=BB349_13 Depth=1
	v_ffbh_u32_e32 v46, v11
	v_min_u32_e32 v46, 32, v46
	v_subrev_nc_u32_e32 v48, 28, v46
	v_sub_nc_u32_e32 v46, 29, v46
	v_lshlrev_b64 v[48:49], v48, v[11:12]
	v_and_b32_e32 v11, 7, v48
; %bb.87:                               ;   in Loop: Header=BB349_13 Depth=1
	s_or_b32 exec_lo, exec_lo, s52
	v_lshlrev_b32_e32 v48, 24, v50
	v_lshlrev_b32_e32 v11, 20, v11
	v_lshl_add_u32 v46, v46, 23, 0x3c000000
	v_and_b32_e32 v48, 0x80000000, v48
	v_or3_b32 v46, v11, v48, v46
.LBB349_88:                             ;   in Loop: Header=BB349_13 Depth=1
	s_or_b32 exec_lo, exec_lo, s51
.LBB349_89:                             ;   in Loop: Header=BB349_13 Depth=1
	s_or_b32 exec_lo, exec_lo, s50
.LBB349_90:                             ;   in Loop: Header=BB349_13 Depth=1
	s_or_b32 exec_lo, exec_lo, s49
	v_cmp_ne_u16_sdwa s2, v50, v12 src0_sel:BYTE_1 src1_sel:DWORD
	s_and_saveexec_b32 s49, s2
	s_cbranch_execz .LBB349_98
; %bb.91:                               ;   in Loop: Header=BB349_13 Depth=1
	v_cmp_ne_u16_sdwa s2, v50, v29 src0_sel:BYTE_1 src1_sel:DWORD
	v_bfrev_b32_e32 v47, 1
	s_and_saveexec_b32 s50, s2
	s_cbranch_execz .LBB349_97
; %bb.92:                               ;   in Loop: Header=BB349_13 Depth=1
	v_and_b32_sdwa v11, v30, v50 dst_sel:DWORD dst_unused:UNUSED_PAD src0_sel:DWORD src1_sel:BYTE_1
	v_mov_b32_e32 v47, 0x7f800001
	s_mov_b32 s51, exec_lo
	v_and_b32_e32 v48, 0x7f, v11
	v_cmpx_ne_u32_e32 0x7f, v48
	s_cbranch_execz .LBB349_96
; %bb.93:                               ;   in Loop: Header=BB349_13 Depth=1
	v_and_b32_e32 v11, 7, v11
	v_lshrrev_b32_e32 v47, 3, v48
	s_mov_b32 s52, exec_lo
	v_cmpx_gt_u32_e32 8, v48
; %bb.94:                               ;   in Loop: Header=BB349_13 Depth=1
	v_ffbh_u32_e32 v47, v11
	v_min_u32_e32 v47, 32, v47
	v_subrev_nc_u32_e32 v48, 28, v47
	v_sub_nc_u32_e32 v47, 29, v47
	v_lshlrev_b64 v[48:49], v48, v[11:12]
	v_and_b32_e32 v11, 7, v48
; %bb.95:                               ;   in Loop: Header=BB349_13 Depth=1
	s_or_b32 exec_lo, exec_lo, s52
	v_lshlrev_b32_e32 v48, 16, v50
	v_lshlrev_b32_e32 v11, 20, v11
	v_lshl_add_u32 v47, v47, 23, 0x3c000000
	v_and_b32_e32 v48, 0x80000000, v48
	v_or3_b32 v47, v11, v48, v47
.LBB349_96:                             ;   in Loop: Header=BB349_13 Depth=1
	s_or_b32 exec_lo, exec_lo, s51
.LBB349_97:                             ;   in Loop: Header=BB349_13 Depth=1
	s_or_b32 exec_lo, exec_lo, s50
.LBB349_98:                             ;   in Loop: Header=BB349_13 Depth=1
	s_or_b32 exec_lo, exec_lo, s49
	v_and_b32_sdwa v11, v50, v31 dst_sel:DWORD dst_unused:UNUSED_PAD src0_sel:WORD_1 src1_sel:DWORD
	v_mov_b32_e32 v48, 0
	v_mov_b32_e32 v49, 0
	s_mov_b32 s49, exec_lo
	v_cmpx_ne_u16_e32 0, v11
	s_cbranch_execz .LBB349_106
; %bb.99:                               ;   in Loop: Header=BB349_13 Depth=1
	v_bfrev_b32_e32 v49, 1
	s_mov_b32 s50, exec_lo
	v_cmpx_ne_u16_e32 0x80, v11
	s_cbranch_execz .LBB349_105
; %bb.100:                              ;   in Loop: Header=BB349_13 Depth=1
	v_bfe_u32 v51, v50, 16, 7
	v_mov_b32_e32 v49, 0x7f800001
	s_mov_b32 s51, exec_lo
	v_cmpx_ne_u32_e32 0x7f, v51
	s_cbranch_execz .LBB349_104
; %bb.101:                              ;   in Loop: Header=BB349_13 Depth=1
	v_and_b32_sdwa v11, v50, v32 dst_sel:DWORD dst_unused:UNUSED_PAD src0_sel:WORD_1 src1_sel:DWORD
	v_lshrrev_b32_e32 v49, 3, v51
	s_mov_b32 s52, exec_lo
	v_cmpx_gt_u32_e32 8, v51
; %bb.102:                              ;   in Loop: Header=BB349_13 Depth=1
	v_ffbh_u32_e32 v49, v11
	v_min_u32_e32 v49, 32, v49
	v_subrev_nc_u32_e32 v51, 28, v49
	v_sub_nc_u32_e32 v49, 29, v49
	v_lshlrev_b64 v[51:52], v51, v[11:12]
	v_and_b32_e32 v11, 7, v51
; %bb.103:                              ;   in Loop: Header=BB349_13 Depth=1
	s_or_b32 exec_lo, exec_lo, s52
	v_lshlrev_b32_sdwa v51, v33, v50 dst_sel:DWORD dst_unused:UNUSED_PAD src0_sel:DWORD src1_sel:WORD_1
	v_lshlrev_b32_e32 v11, 20, v11
	v_lshl_add_u32 v49, v49, 23, 0x3c000000
	v_and_b32_e32 v51, 0x80000000, v51
	v_or3_b32 v49, v11, v51, v49
.LBB349_104:                            ;   in Loop: Header=BB349_13 Depth=1
	s_or_b32 exec_lo, exec_lo, s51
.LBB349_105:                            ;   in Loop: Header=BB349_13 Depth=1
	s_or_b32 exec_lo, exec_lo, s50
.LBB349_106:                            ;   in Loop: Header=BB349_13 Depth=1
	s_or_b32 exec_lo, exec_lo, s49
	s_mov_b32 s49, exec_lo
	v_cmpx_lt_u32_e32 0xffffff, v50
	s_cbranch_execz .LBB349_114
; %bb.107:                              ;   in Loop: Header=BB349_13 Depth=1
	v_cmp_ne_u32_sdwa s2, v50, v29 src0_sel:BYTE_3 src1_sel:DWORD
	v_bfrev_b32_e32 v48, 1
	s_and_saveexec_b32 s50, s2
	s_cbranch_execz .LBB349_113
; %bb.108:                              ;   in Loop: Header=BB349_13 Depth=1
	v_bfe_u32 v51, v50, 24, 7
	v_mov_b32_e32 v48, 0x7f800001
	s_mov_b32 s51, exec_lo
	v_cmpx_ne_u32_e32 0x7f, v51
	s_cbranch_execz .LBB349_112
; %bb.109:                              ;   in Loop: Header=BB349_13 Depth=1
	v_and_b32_sdwa v11, v50, v32 dst_sel:DWORD dst_unused:UNUSED_PAD src0_sel:BYTE_3 src1_sel:DWORD
	v_lshrrev_b32_e32 v48, 3, v51
	s_mov_b32 s52, exec_lo
	v_cmpx_gt_u32_e32 8, v51
; %bb.110:                              ;   in Loop: Header=BB349_13 Depth=1
	v_ffbh_u32_e32 v48, v11
	v_min_u32_e32 v48, 32, v48
	v_subrev_nc_u32_e32 v51, 28, v48
	v_sub_nc_u32_e32 v48, 29, v48
	v_lshlrev_b64 v[51:52], v51, v[11:12]
	v_and_b32_e32 v11, 7, v51
; %bb.111:                              ;   in Loop: Header=BB349_13 Depth=1
	s_or_b32 exec_lo, exec_lo, s52
	v_lshlrev_b32_sdwa v50, v33, v50 dst_sel:DWORD dst_unused:UNUSED_PAD src0_sel:DWORD src1_sel:BYTE_3
	v_lshlrev_b32_e32 v11, 20, v11
	v_lshl_add_u32 v48, v48, 23, 0x3c000000
	v_and_b32_e32 v50, 0x80000000, v50
	v_or3_b32 v48, v11, v50, v48
.LBB349_112:                            ;   in Loop: Header=BB349_13 Depth=1
	s_or_b32 exec_lo, exec_lo, s51
.LBB349_113:                            ;   in Loop: Header=BB349_13 Depth=1
	s_or_b32 exec_lo, exec_lo, s50
.LBB349_114:                            ;   in Loop: Header=BB349_13 Depth=1
	s_or_b32 exec_lo, exec_lo, s49
	global_load_dword v17, v[17:18], off offset:264
	v_mov_b32_e32 v51, 0
	v_mov_b32_e32 v50, 0
	s_waitcnt vmcnt(0)
	v_cmp_ne_u16_sdwa s2, v17, v12 src0_sel:BYTE_0 src1_sel:DWORD
	s_and_saveexec_b32 s49, s2
	s_cbranch_execz .LBB349_122
; %bb.115:                              ;   in Loop: Header=BB349_13 Depth=1
	v_cmp_ne_u16_sdwa s2, v17, v29 src0_sel:BYTE_0 src1_sel:DWORD
	v_bfrev_b32_e32 v50, 1
	s_and_saveexec_b32 s50, s2
	s_cbranch_execz .LBB349_121
; %bb.116:                              ;   in Loop: Header=BB349_13 Depth=1
	v_and_b32_e32 v52, 0x7f, v17
	v_mov_b32_e32 v50, 0x7f800001
	s_mov_b32 s51, exec_lo
	v_cmpx_ne_u32_e32 0x7f, v52
	s_cbranch_execz .LBB349_120
; %bb.117:                              ;   in Loop: Header=BB349_13 Depth=1
	v_and_b32_e32 v11, 7, v17
	v_lshrrev_b32_e32 v18, 3, v52
	s_mov_b32 s52, exec_lo
	v_cmpx_gt_u32_e32 8, v52
; %bb.118:                              ;   in Loop: Header=BB349_13 Depth=1
	v_ffbh_u32_e32 v18, v11
	v_min_u32_e32 v18, 32, v18
	v_subrev_nc_u32_e32 v50, 28, v18
	v_sub_nc_u32_e32 v18, 29, v18
	v_lshlrev_b64 v[52:53], v50, v[11:12]
	v_and_b32_e32 v11, 7, v52
; %bb.119:                              ;   in Loop: Header=BB349_13 Depth=1
	s_or_b32 exec_lo, exec_lo, s52
	v_lshlrev_b32_e32 v50, 24, v17
	v_lshlrev_b32_e32 v11, 20, v11
	v_lshl_add_u32 v18, v18, 23, 0x3c000000
	v_and_b32_e32 v50, 0x80000000, v50
	v_or3_b32 v50, v11, v50, v18
.LBB349_120:                            ;   in Loop: Header=BB349_13 Depth=1
	s_or_b32 exec_lo, exec_lo, s51
.LBB349_121:                            ;   in Loop: Header=BB349_13 Depth=1
	s_or_b32 exec_lo, exec_lo, s50
.LBB349_122:                            ;   in Loop: Header=BB349_13 Depth=1
	s_or_b32 exec_lo, exec_lo, s49
	v_cmp_ne_u16_sdwa s2, v17, v12 src0_sel:BYTE_1 src1_sel:DWORD
	s_and_saveexec_b32 s49, s2
	s_cbranch_execz .LBB349_130
; %bb.123:                              ;   in Loop: Header=BB349_13 Depth=1
	v_cmp_ne_u16_sdwa s2, v17, v29 src0_sel:BYTE_1 src1_sel:DWORD
	v_bfrev_b32_e32 v51, 1
	s_and_saveexec_b32 s50, s2
	s_cbranch_execz .LBB349_129
; %bb.124:                              ;   in Loop: Header=BB349_13 Depth=1
	v_and_b32_sdwa v11, v30, v17 dst_sel:DWORD dst_unused:UNUSED_PAD src0_sel:DWORD src1_sel:BYTE_1
	v_mov_b32_e32 v51, 0x7f800001
	s_mov_b32 s51, exec_lo
	v_and_b32_e32 v52, 0x7f, v11
	v_cmpx_ne_u32_e32 0x7f, v52
	s_cbranch_execz .LBB349_128
; %bb.125:                              ;   in Loop: Header=BB349_13 Depth=1
	v_and_b32_e32 v11, 7, v11
	v_lshrrev_b32_e32 v18, 3, v52
	s_mov_b32 s52, exec_lo
	v_cmpx_gt_u32_e32 8, v52
; %bb.126:                              ;   in Loop: Header=BB349_13 Depth=1
	v_ffbh_u32_e32 v18, v11
	v_min_u32_e32 v18, 32, v18
	v_subrev_nc_u32_e32 v51, 28, v18
	v_sub_nc_u32_e32 v18, 29, v18
	v_lshlrev_b64 v[51:52], v51, v[11:12]
	v_and_b32_e32 v11, 7, v51
; %bb.127:                              ;   in Loop: Header=BB349_13 Depth=1
	s_or_b32 exec_lo, exec_lo, s52
	v_lshlrev_b32_e32 v51, 16, v17
	v_lshlrev_b32_e32 v11, 20, v11
	v_lshl_add_u32 v18, v18, 23, 0x3c000000
	v_and_b32_e32 v51, 0x80000000, v51
	v_or3_b32 v51, v11, v51, v18
.LBB349_128:                            ;   in Loop: Header=BB349_13 Depth=1
	s_or_b32 exec_lo, exec_lo, s51
.LBB349_129:                            ;   in Loop: Header=BB349_13 Depth=1
	s_or_b32 exec_lo, exec_lo, s50
.LBB349_130:                            ;   in Loop: Header=BB349_13 Depth=1
	s_or_b32 exec_lo, exec_lo, s49
	v_and_b32_sdwa v11, v17, v31 dst_sel:DWORD dst_unused:UNUSED_PAD src0_sel:WORD_1 src1_sel:DWORD
	v_mov_b32_e32 v18, 0
	v_mov_b32_e32 v52, 0
	s_mov_b32 s49, exec_lo
	v_cmpx_ne_u16_e32 0, v11
	s_cbranch_execz .LBB349_138
; %bb.131:                              ;   in Loop: Header=BB349_13 Depth=1
	v_bfrev_b32_e32 v52, 1
	s_mov_b32 s50, exec_lo
	v_cmpx_ne_u16_e32 0x80, v11
	s_cbranch_execz .LBB349_137
; %bb.132:                              ;   in Loop: Header=BB349_13 Depth=1
	v_bfe_u32 v53, v17, 16, 7
	v_mov_b32_e32 v52, 0x7f800001
	s_mov_b32 s51, exec_lo
	v_cmpx_ne_u32_e32 0x7f, v53
	s_cbranch_execz .LBB349_136
; %bb.133:                              ;   in Loop: Header=BB349_13 Depth=1
	v_and_b32_sdwa v11, v17, v32 dst_sel:DWORD dst_unused:UNUSED_PAD src0_sel:WORD_1 src1_sel:DWORD
	v_lshrrev_b32_e32 v52, 3, v53
	s_mov_b32 s52, exec_lo
	v_cmpx_gt_u32_e32 8, v53
; %bb.134:                              ;   in Loop: Header=BB349_13 Depth=1
	v_ffbh_u32_e32 v52, v11
	v_min_u32_e32 v52, 32, v52
	v_subrev_nc_u32_e32 v53, 28, v52
	v_sub_nc_u32_e32 v52, 29, v52
	v_lshlrev_b64 v[53:54], v53, v[11:12]
	v_and_b32_e32 v11, 7, v53
; %bb.135:                              ;   in Loop: Header=BB349_13 Depth=1
	s_or_b32 exec_lo, exec_lo, s52
	v_lshlrev_b32_sdwa v53, v33, v17 dst_sel:DWORD dst_unused:UNUSED_PAD src0_sel:DWORD src1_sel:WORD_1
	v_lshlrev_b32_e32 v11, 20, v11
	v_lshl_add_u32 v52, v52, 23, 0x3c000000
	v_and_b32_e32 v53, 0x80000000, v53
	v_or3_b32 v52, v11, v53, v52
.LBB349_136:                            ;   in Loop: Header=BB349_13 Depth=1
	s_or_b32 exec_lo, exec_lo, s51
.LBB349_137:                            ;   in Loop: Header=BB349_13 Depth=1
	s_or_b32 exec_lo, exec_lo, s50
.LBB349_138:                            ;   in Loop: Header=BB349_13 Depth=1
	s_or_b32 exec_lo, exec_lo, s49
	s_mov_b32 s49, exec_lo
	v_cmpx_lt_u32_e32 0xffffff, v17
	s_cbranch_execz .LBB349_146
; %bb.139:                              ;   in Loop: Header=BB349_13 Depth=1
	v_cmp_ne_u32_sdwa s2, v17, v29 src0_sel:BYTE_3 src1_sel:DWORD
	v_bfrev_b32_e32 v18, 1
	s_and_saveexec_b32 s50, s2
	s_cbranch_execz .LBB349_145
; %bb.140:                              ;   in Loop: Header=BB349_13 Depth=1
	v_bfe_u32 v53, v17, 24, 7
	v_mov_b32_e32 v18, 0x7f800001
	s_mov_b32 s51, exec_lo
	v_cmpx_ne_u32_e32 0x7f, v53
	s_cbranch_execz .LBB349_144
; %bb.141:                              ;   in Loop: Header=BB349_13 Depth=1
	v_and_b32_sdwa v11, v17, v32 dst_sel:DWORD dst_unused:UNUSED_PAD src0_sel:BYTE_3 src1_sel:DWORD
	v_lshrrev_b32_e32 v18, 3, v53
	s_mov_b32 s52, exec_lo
	v_cmpx_gt_u32_e32 8, v53
; %bb.142:                              ;   in Loop: Header=BB349_13 Depth=1
	v_ffbh_u32_e32 v18, v11
	v_min_u32_e32 v18, 32, v18
	v_subrev_nc_u32_e32 v53, 28, v18
	v_sub_nc_u32_e32 v18, 29, v18
	v_lshlrev_b64 v[53:54], v53, v[11:12]
	v_and_b32_e32 v11, 7, v53
; %bb.143:                              ;   in Loop: Header=BB349_13 Depth=1
	s_or_b32 exec_lo, exec_lo, s52
	v_lshlrev_b32_sdwa v17, v33, v17 dst_sel:DWORD dst_unused:UNUSED_PAD src0_sel:DWORD src1_sel:BYTE_3
	v_lshlrev_b32_e32 v11, 20, v11
	v_lshl_add_u32 v18, v18, 23, 0x3c000000
	v_and_b32_e32 v17, 0x80000000, v17
	v_or3_b32 v18, v11, v17, v18
.LBB349_144:                            ;   in Loop: Header=BB349_13 Depth=1
	s_or_b32 exec_lo, exec_lo, s51
.LBB349_145:                            ;   in Loop: Header=BB349_13 Depth=1
	s_or_b32 exec_lo, exec_lo, s50
.LBB349_146:                            ;   in Loop: Header=BB349_13 Depth=1
	s_or_b32 exec_lo, exec_lo, s49
	s_waitcnt lgkmcnt(0)
	v_mul_f32_e32 v11, s48, v51
	v_mul_f32_e32 v17, s48, v50
	;; [unrolled: 1-line block ×5, first 2 shown]
	v_bfe_u32 v50, v11, 16, 1
	v_bfe_u32 v51, v17, 16, 1
	v_or_b32_e32 v53, 0x400000, v11
	v_cmp_u_f32_e64 s2, v11, v11
	v_or_b32_e32 v54, 0x400000, v17
	v_add3_u32 v50, v50, v11, 0x7fff
	v_bfe_u32 v55, v49, 16, 1
	v_add3_u32 v51, v51, v17, 0x7fff
	v_bfe_u32 v56, v48, 16, 1
	v_mul_f32_e32 v46, s48, v46
	v_cndmask_b32_e64 v11, v50, v53, s2
	v_cmp_u_f32_e64 s2, v17, v17
	v_add3_u32 v50, v55, v49, 0x7fff
	v_add3_u32 v53, v56, v48, 0x7fff
	v_bfe_u32 v55, v47, 16, 1
	v_mul_f32_e32 v45, s48, v45
	v_cndmask_b32_e64 v17, v51, v54, s2
	v_or_b32_e32 v51, 0x400000, v49
	v_cmp_u_f32_e64 s2, v49, v49
	v_or_b32_e32 v54, 0x400000, v48
	v_mul_f32_e32 v44, s48, v44
	v_mul_f32_e32 v43, s48, v43
	;; [unrolled: 1-line block ×3, first 2 shown]
	v_cndmask_b32_e64 v49, v50, v51, s2
	v_cmp_u_f32_e64 s2, v48, v48
	v_bfe_u32 v50, v46, 16, 1
	v_add3_u32 v51, v55, v47, 0x7fff
	v_bfe_u32 v55, v45, 16, 1
	v_mul_f32_e32 v41, s48, v41
	v_cndmask_b32_e64 v48, v53, v54, s2
	v_or_b32_e32 v53, 0x400000, v47
	v_cmp_u_f32_e64 s2, v47, v47
	v_add3_u32 v50, v50, v46, 0x7fff
	v_or_b32_e32 v54, 0x400000, v46
	v_mul_f32_e32 v40, s48, v40
	v_mul_f32_e32 v39, s48, v39
	v_cndmask_b32_e64 v47, v51, v53, s2
	v_cmp_u_f32_e64 s2, v46, v46
	v_bfe_u32 v51, v44, 16, 1
	v_or_b32_e32 v53, 0x400000, v45
	v_mul_f32_e32 v38, s48, v38
	v_mul_f32_e32 v52, s48, v52
	v_cndmask_b32_e64 v46, v50, v54, s2
	v_add3_u32 v50, v55, v45, 0x7fff
	v_cmp_u_f32_e64 s2, v45, v45
	v_add3_u32 v51, v51, v44, 0x7fff
	v_or_b32_e32 v54, 0x400000, v44
	v_bfe_u32 v55, v43, 16, 1
	v_or_b32_e32 v56, 0x400000, v38
	v_cndmask_b32_e64 v45, v50, v53, s2
	v_cmp_u_f32_e64 s2, v44, v44
	v_bfe_u32 v50, v42, 16, 1
	v_or_b32_e32 v53, 0x400000, v43
	v_mul_f32_e32 v18, s48, v18
	v_and_b32_e32 v45, 0xffff0000, v45
	v_cndmask_b32_e64 v44, v51, v54, s2
	v_add3_u32 v51, v55, v43, 0x7fff
	v_cmp_u_f32_e64 s2, v43, v43
	v_add3_u32 v50, v50, v42, 0x7fff
	v_or_b32_e32 v54, 0x400000, v42
	v_or_b32_e32 v55, 0x400000, v39
	v_and_b32_e32 v44, 0xffff0000, v44
	v_cndmask_b32_e64 v43, v51, v53, s2
	v_bfe_u32 v51, v41, 16, 1
	v_cmp_u_f32_e64 s2, v42, v42
	v_bfe_u32 v53, v40, 16, 1
	v_bfe_u32 v58, v18, 16, 1
	v_and_b32_e32 v43, 0xffff0000, v43
	v_or_b32_e32 v61, 0x400000, v52
	v_cndmask_b32_e64 v42, v50, v54, s2
	v_add3_u32 v50, v51, v41, 0x7fff
	v_or_b32_e32 v51, 0x400000, v41
	v_cmp_u_f32_e64 s2, v41, v41
	v_bfe_u32 v54, v39, 16, 1
	v_and_b32_e32 v42, 0xffff0000, v42
	v_lshlrev_b32_e32 v57, 16, v2
	v_lshlrev_b32_e32 v59, 16, v3
	v_cndmask_b32_e64 v41, v50, v51, s2
	v_add3_u32 v51, v53, v40, 0x7fff
	v_or_b32_e32 v53, 0x400000, v40
	v_cmp_u_f32_e64 s2, v40, v40
	v_bfe_u32 v50, v38, 16, 1
	v_add3_u32 v54, v54, v39, 0x7fff
	v_and_b32_e32 v41, 0xffff0000, v41
	v_add3_u32 v58, v58, v18, 0x7fff
	v_cndmask_b32_e64 v40, v51, v53, s2
	v_cmp_u_f32_e64 s2, v39, v39
	v_add3_u32 v50, v50, v38, 0x7fff
	v_lshlrev_b32_e32 v53, 16, v7
	v_and_b32_e32 v7, 0xffff0000, v7
	v_lshlrev_b32_e32 v51, 16, v6
	v_cndmask_b32_e64 v39, v54, v55, s2
	v_cmp_u_f32_e64 s2, v38, v38
	v_lshlrev_b32_e32 v54, 16, v8
	v_and_b32_e32 v8, 0xffff0000, v8
	v_mul_f32_e32 v42, v53, v42
	v_and_b32_e32 v39, 0xffff0000, v39
	v_cndmask_b32_e64 v38, v50, v56, s2
	v_lshlrev_b32_e32 v50, 16, v5
	v_bfe_u32 v56, v52, 16, 1
	v_and_b32_e32 v5, 0xffff0000, v5
	v_mul_f32_e32 v7, v7, v43
	v_and_b32_e32 v38, 0xffff0000, v38
	v_lshlrev_b32_e32 v55, 16, v1
	v_add3_u32 v56, v56, v52, 0x7fff
	v_cmp_u_f32_e64 s2, v52, v52
	v_and_b32_e32 v6, 0xffff0000, v6
	v_and_b32_e32 v1, 0xffff0000, v1
	;; [unrolled: 1-line block ×3, first 2 shown]
	v_mul_f32_e32 v43, v54, v45
	v_fmac_f32_e32 v42, v50, v38
	v_mul_f32_e32 v8, v8, v44
	v_and_b32_e32 v38, 0xffff0000, v46
	v_fmac_f32_e32 v7, v5, v39
	v_and_b32_e32 v5, 0xffff0000, v47
	v_or_b32_e32 v62, 0x400000, v18
	v_cndmask_b32_e64 v52, v56, v61, s2
	v_cmp_u_f32_e64 s2, v18, v18
	v_and_b32_e32 v3, 0xffff0000, v3
	v_fmac_f32_e32 v43, v51, v41
	v_fmac_f32_e32 v8, v6, v40
	;; [unrolled: 1-line block ×3, first 2 shown]
	v_and_b32_e32 v6, 0xffff0000, v49
	v_and_b32_e32 v17, 0xffff0000, v17
	v_fmac_f32_e32 v7, v1, v5
	v_and_b32_e32 v1, 0xffff0000, v11
	v_lshlrev_b32_e32 v60, 16, v4
	v_xor_b32_e32 v63, 1, v20
	v_cndmask_b32_e64 v18, v58, v62, s2
	v_and_b32_e32 v2, 0xffff0000, v2
	v_and_b32_e32 v5, 0xffff0000, v48
	v_fmac_f32_e32 v43, v57, v6
	v_fmac_f32_e32 v42, v59, v17
	v_and_b32_e32 v6, 0xffff0000, v52
	v_fmac_f32_e32 v7, v3, v1
	v_and_b32_e32 v1, 0xffff0000, v4
	;; [unrolled: 2-line block ×3, first 2 shown]
	v_fmac_f32_e32 v43, v60, v6
	v_add_f32_e32 v3, v42, v7
	v_cmp_gt_i32_e64 s2, 32, v63
	v_fmac_f32_e32 v8, v1, v2
	v_add_f32_e32 v1, v3, v43
	v_cndmask_b32_e64 v4, v20, v63, s2
	v_add_f32_e32 v1, v1, v8
	v_lshlrev_b32_e32 v2, 2, v4
	ds_bpermute_b32 v2, v2, v1
	s_and_saveexec_b32 s48, vcc_lo
	s_cbranch_execz .LBB349_11
; %bb.147:                              ;   in Loop: Header=BB349_13 Depth=1
	v_add_nc_u32_e32 v3, v34, v28
	s_waitcnt lgkmcnt(0)
	v_add_f32_e32 v1, v1, v2
	v_cvt_f32_i32_e32 v3, v3
	v_mul_f32_e32 v3, s44, v3
	v_cndmask_b32_e64 v2, 0, v3, s1
	v_max_f32_e32 v3, v26, v26
	v_fmac_f32_e32 v2, s41, v1
	v_add_nc_u32_e32 v1, v21, v28
	v_max_f32_e32 v3, v3, v2
	v_cmp_gt_i32_e64 s2, s31, v1
	v_cndmask_b32_e64 v1, 0, v2, s2
	v_cndmask_b32_e64 v26, v26, v3, s2
	ds_write_b32 v35, v1
	s_branch .LBB349_11
.LBB349_148:
	s_or_b32 exec_lo, exec_lo, s46
.LBB349_149:
	s_or_b32 exec_lo, exec_lo, s45
	v_xor_b32_e32 v1, 16, v20
	s_waitcnt lgkmcnt(0)
	v_xor_b32_e32 v2, 8, v20
	v_max_f32_e32 v4, v26, v26
	v_lshlrev_b32_e32 v7, 2, v24
	v_cmp_gt_i32_e32 vcc_lo, 32, v1
	v_cndmask_b32_e32 v1, v20, v1, vcc_lo
	v_cmp_gt_i32_e32 vcc_lo, 32, v2
	v_lshlrev_b32_e32 v3, 2, v1
	v_cndmask_b32_e32 v2, v20, v2, vcc_lo
	ds_bpermute_b32 v1, v3, v26
	v_lshlrev_b32_e32 v5, 2, v2
	v_and_b32_e32 v26, 31, v0
	s_waitcnt lgkmcnt(0)
	v_max_f32_e32 v1, v1, v1
	v_max_f32_e32 v1, v4, v1
	v_xor_b32_e32 v4, 4, v20
	ds_bpermute_b32 v2, v5, v1
	v_cmp_gt_i32_e32 vcc_lo, 32, v4
	v_cndmask_b32_e32 v4, v20, v4, vcc_lo
	v_lshlrev_b32_e32 v6, 2, v4
	v_xor_b32_e32 v4, 2, v20
	v_cmp_gt_i32_e32 vcc_lo, 32, v4
	s_waitcnt lgkmcnt(0)
	v_max_f32_e32 v2, v2, v2
	v_cndmask_b32_e32 v4, v20, v4, vcc_lo
	v_cmp_eq_u32_e32 vcc_lo, 0, v26
	v_max_f32_e32 v1, v1, v2
	ds_bpermute_b32 v2, v6, v1
	s_waitcnt lgkmcnt(0)
	v_max_f32_e32 v2, v2, v2
	v_max_f32_e32 v1, v1, v2
	v_lshlrev_b32_e32 v2, 2, v4
	ds_bpermute_b32 v4, v2, v1
	s_and_saveexec_b32 s1, vcc_lo
	s_cbranch_execz .LBB349_151
; %bb.150:
	s_waitcnt lgkmcnt(0)
	v_max_f32_e32 v4, v4, v4
	v_max_f32_e32 v1, v1, v1
	;; [unrolled: 1-line block ×3, first 2 shown]
	ds_write_b32 v7, v1 offset:64
.LBB349_151:
	s_or_b32 exec_lo, exec_lo, s1
	v_cmp_gt_u32_e64 s1, 4, v26
	v_mov_b32_e32 v1, 0xff7fffff
	v_lshlrev_b32_e32 v8, 2, v26
	s_waitcnt lgkmcnt(0)
	s_barrier
	buffer_gl0_inv
	s_and_saveexec_b32 s2, s1
; %bb.152:
	ds_read_b32 v1, v8 offset:64
; %bb.153:
	s_or_b32 exec_lo, exec_lo, s2
	s_waitcnt lgkmcnt(0)
	ds_bpermute_b32 v4, v2, v1
	v_xor_b32_e32 v11, 1, v20
	v_max_f32_e32 v1, v1, v1
	v_cmp_gt_i32_e64 s2, 32, v11
	v_cndmask_b32_e64 v11, v20, v11, s2
	s_sub_i32 s2, s20, s16
	s_lshl_b32 s2, s2, 4
	v_lshlrev_b32_e32 v27, 2, v11
	v_mov_b32_e32 v11, 0
	s_add_i32 s2, s2, s42
	s_min_i32 s2, s2, s31
	s_waitcnt lgkmcnt(0)
	v_max_f32_e32 v4, v4, v4
	s_sub_i32 s4, s2, s42
	v_cmp_gt_i32_e64 s2, s4, v0
	v_max_f32_e32 v1, v1, v4
	ds_bpermute_b32 v4, v27, v1
	s_waitcnt lgkmcnt(0)
	v_max_f32_e32 v4, v4, v4
	v_max_f32_e32 v1, v1, v4
	v_lshl_add_u32 v4, v0, 2, 0x60
	ds_bpermute_b32 v1, v11, v1
	s_and_saveexec_b32 s5, s2
	s_cbranch_execz .LBB349_157
; %bb.154:
	v_lshl_add_u32 v12, v0, 2, 0x60
	v_mov_b32_e32 v11, 0
	v_mov_b32_e32 v13, v0
	s_mov_b32 s12, 0
	.p2align	6
.LBB349_155:                            ; =>This Inner Loop Header: Depth=1
	ds_read_b32 v14, v12
	v_add_nc_u32_e32 v13, 0x80, v13
	v_cmp_le_i32_e64 s3, s4, v13
	s_or_b32 s12, s3, s12
	s_waitcnt lgkmcnt(0)
	v_sub_f32_e32 v14, v14, v1
	v_mul_f32_e32 v14, 0x3fb8aa3b, v14
	v_exp_f32_e32 v14, v14
	ds_write_b32 v12, v14
	v_add_f32_e32 v11, v11, v14
	v_add_nc_u32_e32 v12, 0x200, v12
	s_andn2_b32 exec_lo, exec_lo, s12
	s_cbranch_execnz .LBB349_155
; %bb.156:
	s_or_b32 exec_lo, exec_lo, s12
.LBB349_157:
	s_or_b32 exec_lo, exec_lo, s5
	ds_bpermute_b32 v3, v3, v11
	s_waitcnt lgkmcnt(0)
	v_add_f32_e32 v3, v11, v3
	ds_bpermute_b32 v5, v5, v3
	s_waitcnt lgkmcnt(0)
	v_add_f32_e32 v3, v3, v5
	;; [unrolled: 3-line block ×5, first 2 shown]
	s_and_saveexec_b32 s3, vcc_lo
; %bb.158:
	ds_write_b32 v7, v3 offset:80
; %bb.159:
	s_or_b32 exec_lo, exec_lo, s3
	s_waitcnt lgkmcnt(0)
	s_barrier
	buffer_gl0_inv
	s_and_saveexec_b32 s3, s1
; %bb.160:
	ds_read_b32 v3, v8 offset:80
; %bb.161:
	s_or_b32 exec_lo, exec_lo, s3
	s_waitcnt lgkmcnt(0)
	ds_bpermute_b32 v2, v2, v3
	s_waitcnt lgkmcnt(0)
	v_add_f32_e32 v2, v3, v2
	ds_bpermute_b32 v3, v27, v2
	s_waitcnt lgkmcnt(0)
	v_add_f32_e32 v2, v2, v3
	v_mov_b32_e32 v3, 0
	ds_bpermute_b32 v2, v3, v2
	s_and_saveexec_b32 s1, s2
	s_cbranch_execz .LBB349_164
; %bb.162:
	s_waitcnt lgkmcnt(0)
	v_add_f32_e32 v3, 0x358637bd, v2
	s_mov_b32 s2, 0
	v_div_scale_f32 v5, null, v3, v3, 1.0
	v_div_scale_f32 v8, vcc_lo, 1.0, v3, 1.0
	v_rcp_f32_e32 v6, v5
	v_fma_f32 v7, -v5, v6, 1.0
	v_fmac_f32_e32 v6, v7, v6
	v_mul_f32_e32 v7, v8, v6
	v_fma_f32 v11, -v5, v7, v8
	v_fmac_f32_e32 v7, v11, v6
	v_fma_f32 v5, -v5, v7, v8
	v_div_fmas_f32 v5, v5, v6, v7
	v_div_fixup_f32 v3, v5, v3, 1.0
	v_mov_b32_e32 v5, v0
.LBB349_163:                            ; =>This Inner Loop Header: Depth=1
	ds_read_b32 v6, v4
	v_add_nc_u32_e32 v5, 0x80, v5
	v_cmp_le_i32_e32 vcc_lo, s4, v5
	s_or_b32 s2, vcc_lo, s2
	s_waitcnt lgkmcnt(0)
	v_mul_f32_e32 v6, v3, v6
	ds_write_b32 v4, v6
	v_add_nc_u32_e32 v4, 0x200, v4
	s_andn2_b32 exec_lo, exec_lo, s2
	s_cbranch_execnz .LBB349_163
.LBB349_164:
	s_or_b32 exec_lo, exec_lo, s1
	s_mul_i32 s1, s7, s30
	s_waitcnt lgkmcnt(0)
	s_mul_i32 s2, s1, s9
	s_mov_b32 s1, exec_lo
	s_barrier
	buffer_gl0_inv
	v_cmpx_eq_u32_e32 0, v0
	s_cbranch_execz .LBB349_166
; %bb.165:
	s_ashr_i32 s3, s2, 31
	s_mul_i32 s12, s7, s6
	s_lshl_b64 s[4:5], s[2:3], 2
	v_mov_b32_e32 v3, 0
	s_add_u32 s3, s26, s4
	s_addc_u32 s6, s27, s5
	s_ashr_i32 s13, s12, 31
	s_lshl_b64 s[12:13], s[12:13], 2
	s_add_u32 s3, s3, s12
	s_addc_u32 s6, s6, s13
	s_ashr_i32 s9, s8, 31
	s_lshl_b64 s[8:9], s[8:9], 2
	s_add_u32 s26, s3, s8
	s_addc_u32 s27, s6, s9
	s_add_u32 s3, s24, s4
	s_addc_u32 s4, s25, s5
	;; [unrolled: 2-line block ×4, first 2 shown]
	global_store_dword v3, v1, s[26:27]
	global_store_dword v3, v2, s[4:5]
.LBB349_166:
	s_or_b32 exec_lo, exec_lo, s1
	v_mov_b32_e32 v30, 0
	v_mov_b32_e32 v29, 0
	s_and_saveexec_b32 s1, s0
	s_cbranch_execz .LBB349_296
; %bb.167:
	s_sub_i32 s3, s43, s21
	s_ashr_i32 s0, s18, 31
	s_add_u32 s9, s38, s18
	s_addc_u32 s0, s39, s0
	s_abs_i32 s6, s22
	v_and_b32_e32 v4, 0xf8, v19
	v_cvt_f32_u32_e32 v1, s6
	s_sub_i32 s4, 0, s6
	v_lshlrev_b32_e32 v5, 5, v23
	s_add_i32 s40, s40, -1
	v_add_co_u32 v12, s9, s9, v4
	v_rcp_iflag_f32_e32 v3, v1
	v_lshlrev_b64 v[1:2], 2, v[9:10]
	v_lshl_or_b32 v5, v24, 6, v5
	v_add_co_ci_u32_e64 v13, null, s0, 0, s9
	v_and_b32_e32 v28, 8, v19
	v_mov_b32_e32 v11, 0
	v_mov_b32_e32 v31, 0x80
	;; [unrolled: 1-line block ×4, first 2 shown]
	v_mul_f32_e32 v3, 0x4f7ffffe, v3
	v_mov_b32_e32 v34, 7
	v_mov_b32_e32 v35, 24
	;; [unrolled: 1-line block ×3, first 2 shown]
	v_add_nc_u32_e32 v36, 0x60, v5
	v_cvt_u32_f32_e32 v3, v3
	v_mov_b32_e32 v30, 0
	s_mov_b32 s8, s17
	s_mov_b32 s9, 0
	v_mul_lo_u32 v6, s4, v3
	s_lshl_b64 s[4:5], s[36:37], 2
	s_add_u32 s0, s34, s4
	s_addc_u32 s4, s35, s5
	v_add_co_u32 v14, vcc_lo, s0, v1
	v_add_co_ci_u32_e64 v15, null, s4, v2, vcc_lo
	v_mul_hi_u32 v4, v3, v6
	s_mov_b32 s4, -1
	s_mov_b32 s5, 0xffffff
	v_add_nc_u32_e32 v37, v3, v4
	s_branch .LBB349_170
.LBB349_168:                            ;   in Loop: Header=BB349_170 Depth=1
	s_or_b32 exec_lo, exec_lo, s0
	v_bfe_u32 v43, v5, 16, 1
	v_or_b32_e32 v45, 0x400000, v5
	v_bfe_u32 v46, v6, 16, 1
	v_cmp_u_f32_e32 vcc_lo, v5, v5
	v_bfe_u32 v47, v7, 16, 1
	v_add3_u32 v43, v43, v5, 0x7fff
	v_or_b32_e32 v48, 0x400000, v6
	v_add3_u32 v46, v46, v6, 0x7fff
	v_or_b32_e32 v49, 0x400000, v7
	v_add3_u32 v47, v47, v7, 0x7fff
	v_cndmask_b32_e32 v5, v43, v45, vcc_lo
	v_cmp_u_f32_e32 vcc_lo, v6, v6
	v_bfe_u32 v43, v8, 16, 1
	v_bfe_u32 v45, v1, 16, 1
	v_lshlrev_b32_e32 v44, 16, v44
	v_and_b32_e32 v5, 0xffff0000, v5
	v_cndmask_b32_e32 v6, v46, v48, vcc_lo
	v_cmp_u_f32_e32 vcc_lo, v7, v7
	v_add3_u32 v43, v43, v8, 0x7fff
	v_or_b32_e32 v46, 0x400000, v8
	v_add3_u32 v45, v45, v1, 0x7fff
	v_bfe_u32 v48, v2, 16, 1
	v_cndmask_b32_e32 v7, v47, v49, vcc_lo
	v_cmp_u_f32_e32 vcc_lo, v8, v8
	v_or_b32_e32 v47, 0x400000, v1
	v_mul_f32_e32 v44, v5, v44
	v_and_b32_e32 v6, 0xffff0000, v6
	v_lshlrev_b32_e32 v42, 16, v42
	v_cndmask_b32_e32 v8, v43, v46, vcc_lo
	v_cmp_u_f32_e32 vcc_lo, v1, v1
	v_add3_u32 v43, v48, v2, 0x7fff
	v_bfe_u32 v46, v3, 16, 1
	v_mul_f32_e32 v42, v6, v42
	v_and_b32_e32 v7, 0xffff0000, v7
	v_cndmask_b32_e32 v1, v45, v47, vcc_lo
	v_or_b32_e32 v45, 0x400000, v2
	v_cmp_u_f32_e32 vcc_lo, v2, v2
	v_lshlrev_b32_e32 v41, 16, v41
	v_and_b32_e32 v8, 0xffff0000, v8
	v_lshlrev_b32_e32 v39, 16, v39
	v_and_b32_e32 v1, 0xffff0000, v1
	v_cndmask_b32_e32 v2, v43, v45, vcc_lo
	v_add3_u32 v43, v46, v3, 0x7fff
	v_or_b32_e32 v45, 0x400000, v3
	v_bfe_u32 v46, v4, 16, 1
	v_cmp_u_f32_e32 vcc_lo, v3, v3
	v_mul_f32_e32 v41, v7, v41
	v_mul_f32_e32 v39, v8, v39
	v_lshlrev_b32_e32 v21, 16, v21
	v_and_b32_e32 v2, 0xffff0000, v2
	v_cndmask_b32_e32 v3, v43, v45, vcc_lo
	v_add3_u32 v43, v46, v4, 0x7fff
	v_or_b32_e32 v45, 0x400000, v4
	v_bfe_u32 v46, v44, 16, 1
	v_cmp_u_f32_e32 vcc_lo, v4, v4
	v_or_b32_e32 v47, 0x400000, v41
	v_bfe_u32 v48, v39, 16, 1
	v_mul_f32_e32 v21, v1, v21
	v_lshlrev_b32_e32 v20, 16, v20
	v_cndmask_b32_e32 v4, v43, v45, vcc_lo
	v_add3_u32 v43, v46, v44, 0x7fff
	v_or_b32_e32 v45, 0x400000, v44
	v_bfe_u32 v46, v42, 16, 1
	v_cmp_u_f32_e32 vcc_lo, v44, v44
	v_mul_f32_e32 v20, v2, v20
	v_and_b32_e32 v3, 0xffff0000, v3
	v_lshlrev_b32_e32 v40, 16, v40
	v_add3_u32 v44, v46, v42, 0x7fff
	v_cndmask_b32_e32 v43, v43, v45, vcc_lo
	v_bfe_u32 v45, v41, 16, 1
	v_or_b32_e32 v46, 0x400000, v42
	v_cmp_u_f32_e32 vcc_lo, v42, v42
	v_mul_f32_e32 v40, v3, v40
	v_and_b32_e32 v4, 0xffff0000, v4
	v_add3_u32 v45, v45, v41, 0x7fff
	v_lshlrev_b32_e32 v38, 16, v38
	v_cndmask_b32_e32 v42, v44, v46, vcc_lo
	v_cmp_u_f32_e32 vcc_lo, v41, v41
	v_add3_u32 v44, v48, v39, 0x7fff
	v_or_b32_e32 v46, 0x400000, v39
	v_mul_f32_e32 v38, v4, v38
	v_and_b32_e32 v42, 0xffff0000, v42
	v_cndmask_b32_e32 v41, v45, v47, vcc_lo
	v_bfe_u32 v45, v21, 16, 1
	v_cmp_u_f32_e32 vcc_lo, v39, v39
	v_or_b32_e32 v47, 0x400000, v21
	v_and_b32_e32 v43, 0xffff0000, v43
	v_and_b32_e32 v41, 0xffff0000, v41
	v_add3_u32 v45, v45, v21, 0x7fff
	v_cndmask_b32_e32 v39, v44, v46, vcc_lo
	v_bfe_u32 v44, v20, 16, 1
	v_cmp_u_f32_e32 vcc_lo, v21, v21
	v_or_b32_e32 v46, 0x400000, v20
	v_add_f32_e32 v42, v43, v42
	v_and_b32_e32 v39, 0xffff0000, v39
	v_add3_u32 v44, v44, v20, 0x7fff
	v_cndmask_b32_e32 v21, v45, v47, vcc_lo
	v_cmp_u_f32_e32 vcc_lo, v20, v20
	v_bfe_u32 v45, v40, 16, 1
	v_or_b32_e32 v47, 0x400000, v40
	v_add_f32_e32 v39, v41, v39
	v_and_b32_e32 v21, 0xffff0000, v21
	v_cndmask_b32_e32 v20, v44, v46, vcc_lo
	v_lshlrev_b32_e32 v46, 16, v54
	v_add3_u32 v45, v45, v40, 0x7fff
	v_cmp_u_f32_e32 vcc_lo, v40, v40
	v_bfe_u32 v44, v38, 16, 1
	v_and_b32_e32 v20, 0xffff0000, v20
	v_mul_f32_e32 v5, v5, v46
	v_lshlrev_b32_e32 v41, 16, v53
	v_cndmask_b32_e32 v40, v45, v47, vcc_lo
	v_add3_u32 v44, v44, v38, 0x7fff
	v_or_b32_e32 v45, 0x400000, v38
	v_cmp_u_f32_e32 vcc_lo, v38, v38
	v_add_f32_e32 v39, v39, v42
	v_bfe_u32 v42, v5, 16, 1
	v_add_f32_e32 v20, v21, v20
	v_mul_f32_e32 v6, v6, v41
	v_lshlrev_b32_e32 v21, 16, v52
	v_cndmask_b32_e32 v38, v44, v45, vcc_lo
	v_add3_u32 v41, v42, v5, 0x7fff
	v_or_b32_e32 v42, 0x400000, v5
	v_bfe_u32 v43, v6, 16, 1
	v_mul_f32_e32 v7, v7, v21
	v_lshlrev_b32_e32 v17, 16, v17
	v_cmp_u_f32_e32 vcc_lo, v5, v5
	v_lshlrev_b32_e32 v16, 16, v16
	v_add3_u32 v21, v43, v6, 0x7fff
	v_lshlrev_b32_e32 v10, 16, v10
	v_mul_f32_e32 v8, v8, v17
	v_cndmask_b32_e32 v5, v41, v42, vcc_lo
	v_or_b32_e32 v41, 0x400000, v6
	v_bfe_u32 v42, v7, 16, 1
	v_cmp_u_f32_e32 vcc_lo, v6, v6
	v_mul_f32_e32 v1, v1, v16
	v_mul_f32_e32 v2, v2, v10
	v_lshlrev_b32_e32 v10, 16, v19
	v_add3_u32 v17, v42, v7, 0x7fff
	v_cndmask_b32_e32 v6, v21, v41, vcc_lo
	v_or_b32_e32 v21, 0x400000, v7
	v_bfe_u32 v41, v8, 16, 1
	v_cmp_u_f32_e32 vcc_lo, v7, v7
	v_lshlrev_b32_e32 v18, 16, v18
	v_mul_f32_e32 v3, v3, v10
	v_or_b32_e32 v10, 0x400000, v1
	v_add3_u32 v16, v41, v8, 0x7fff
	v_cndmask_b32_e32 v7, v17, v21, vcc_lo
	v_or_b32_e32 v17, 0x400000, v8
	v_bfe_u32 v21, v1, 16, 1
	v_cmp_u_f32_e32 vcc_lo, v8, v8
	v_mul_f32_e32 v4, v4, v18
	v_or_b32_e32 v18, 0x400000, v2
	v_bfe_u32 v19, v3, 16, 1
	v_and_b32_e32 v6, 0xffff0000, v6
	v_cndmask_b32_e32 v8, v16, v17, vcc_lo
	v_bfe_u32 v16, v2, 16, 1
	v_add3_u32 v17, v21, v1, 0x7fff
	v_cmp_u_f32_e32 vcc_lo, v1, v1
	v_bfe_u32 v21, v4, 16, 1
	v_and_b32_e32 v5, 0xffff0000, v5
	v_add3_u32 v16, v16, v2, 0x7fff
	v_and_b32_e32 v8, 0xffff0000, v8
	v_cndmask_b32_e32 v1, v17, v10, vcc_lo
	v_cmp_u_f32_e32 vcc_lo, v2, v2
	v_or_b32_e32 v17, 0x400000, v4
	v_add3_u32 v10, v19, v3, 0x7fff
	v_and_b32_e32 v7, 0xffff0000, v7
	v_add_f32_e32 v5, v5, v6
	v_cndmask_b32_e32 v2, v16, v18, vcc_lo
	v_add3_u32 v16, v21, v4, 0x7fff
	v_cmp_u_f32_e32 vcc_lo, v4, v4
	v_or_b32_e32 v18, 0x400000, v3
	v_add_f32_e32 v6, v7, v8
	v_and_b32_e32 v2, 0xffff0000, v2
	v_and_b32_e32 v1, 0xffff0000, v1
	v_cndmask_b32_e32 v4, v16, v17, vcc_lo
	v_cmp_u_f32_e32 vcc_lo, v3, v3
	v_and_b32_e32 v38, 0xffff0000, v38
	v_and_b32_e32 v7, 0xffff0000, v40
	v_add_f32_e32 v5, v6, v5
	v_add_f32_e32 v1, v1, v2
	v_cndmask_b32_e32 v3, v10, v18, vcc_lo
	v_and_b32_e32 v2, 0xffff0000, v4
	v_add_f32_e32 v4, v20, v39
	v_add_f32_e32 v6, v7, v38
	;; [unrolled: 1-line block ×3, first 2 shown]
	v_and_b32_e32 v3, 0xffff0000, v3
	v_add_f32_e32 v2, v3, v2
	v_add_f32_e32 v3, v6, v4
	;; [unrolled: 1-line block ×5, first 2 shown]
.LBB349_169:                            ;   in Loop: Header=BB349_170 Depth=1
	s_or_b32 exec_lo, exec_lo, s12
	v_add_nc_u32_e32 v9, 4, v9
	v_add_co_u32 v14, s0, v14, 16
	v_add_co_ci_u32_e64 v15, null, 0, v15, s0
	v_cmp_le_i32_e32 vcc_lo, s20, v9
	v_add_nc_u32_e32 v25, 64, v25
	v_add_nc_u32_e32 v36, 0x100, v36
	s_or_b32 s9, vcc_lo, s9
	s_andn2_b32 exec_lo, exec_lo, s9
	s_cbranch_execz .LBB349_295
.LBB349_170:                            ; =>This Inner Loop Header: Depth=1
	v_sub_nc_u32_e32 v1, 0, v25
	v_max_i32_e32 v1, v25, v1
	v_mul_hi_u32 v2, v1, s19
	v_mul_lo_u32 v3, v2, s11
	v_sub_nc_u32_e32 v1, v1, v3
	v_add_nc_u32_e32 v3, 1, v2
	v_subrev_nc_u32_e32 v4, s11, v1
	v_cmp_le_u32_e32 vcc_lo, s11, v1
	v_cndmask_b32_e32 v2, v2, v3, vcc_lo
	v_cndmask_b32_e32 v1, v1, v4, vcc_lo
	v_ashrrev_i32_e32 v3, 31, v25
	v_add_nc_u32_e32 v4, 1, v2
	v_cmp_le_u32_e32 vcc_lo, s11, v1
	v_xor_b32_e32 v3, s23, v3
	v_cndmask_b32_e32 v1, v2, v4, vcc_lo
	v_xor_b32_e32 v1, v1, v3
	v_sub_nc_u32_e32 v1, v1, v3
	v_add_nc_u32_e32 v2, s33, v1
	v_cmp_lt_i32_e64 s0, s3, v1
	v_sub_nc_u32_e32 v3, 0, v2
	v_max_i32_e32 v3, v2, v3
	v_ashrrev_i32_e32 v2, 31, v2
	v_mul_hi_u32 v4, v3, v37
	v_mul_lo_u32 v4, v4, s6
	v_sub_nc_u32_e32 v3, v3, v4
	v_subrev_nc_u32_e32 v4, s6, v3
	v_cmp_le_u32_e32 vcc_lo, s6, v3
	v_cndmask_b32_e32 v3, v3, v4, vcc_lo
	v_subrev_nc_u32_e32 v4, s6, v3
	v_cmp_le_u32_e32 vcc_lo, s6, v3
	v_cndmask_b32_e32 v3, v3, v4, vcc_lo
	v_xor_b32_e32 v3, v3, v2
	v_sub_nc_u32_e32 v2, v3, v2
	v_cmp_eq_u32_e32 vcc_lo, 0, v2
	s_or_b32 s0, vcc_lo, s0
	s_and_saveexec_b32 s12, s0
	s_cbranch_execz .LBB349_169
; %bb.171:                              ;   in Loop: Header=BB349_170 Depth=1
	global_load_dword v1, v[14:15], off
	v_mov_b32_e32 v39, 0
	v_mov_b32_e32 v38, 0
	s_waitcnt vmcnt(0)
	v_mad_i64_i32 v[16:17], null, v1, s8, v[12:13]
	global_load_dwordx2 v[18:19], v[16:17], off
	ds_read2_b64 v[5:8], v36 offset1:1
	ds_read2_b64 v[1:4], v36 offset0:2 offset1:3
	s_load_dword s13, s[14:15], 0x0
	s_waitcnt vmcnt(0)
	v_cmp_ne_u16_sdwa s17, v18, v11 src0_sel:BYTE_0 src1_sel:DWORD
	s_and_saveexec_b32 s0, s17
	s_cbranch_execz .LBB349_177
; %bb.172:                              ;   in Loop: Header=BB349_170 Depth=1
	v_cmp_ne_u16_sdwa s18, v18, v31 src0_sel:BYTE_0 src1_sel:DWORD
	v_bfrev_b32_e32 v38, 1
	s_and_saveexec_b32 s17, s18
	s_cbranch_execz .LBB349_176
; %bb.173:                              ;   in Loop: Header=BB349_170 Depth=1
	v_and_b32_e32 v10, 0x7f, v18
	v_mov_b32_e32 v38, 0x7f800001
	s_mov_b32 s18, exec_lo
	v_cmpx_ne_u32_e32 0x7f, v10
	s_cbranch_execz .LBB349_175
; %bb.174:                              ;   in Loop: Header=BB349_170 Depth=1
	v_and_b32_e32 v20, 7, v18
	v_lshrrev_b32_e32 v21, 3, v10
	v_cmp_gt_u32_e32 vcc_lo, 8, v10
	v_ffbh_u32_e32 v20, v20
	v_min_u32_e32 v20, 32, v20
	v_subrev_nc_u32_e32 v38, 28, v20
	v_sub_nc_u32_e32 v20, 29, v20
	v_cndmask_b32_e32 v10, v21, v20, vcc_lo
	v_cndmask_b32_e32 v20, 0, v38, vcc_lo
	v_lshl_add_u32 v10, v10, 23, 0x3c000000
	v_lshlrev_b64 v[20:21], v20, v[18:19]
	v_lshlrev_b32_e32 v21, 24, v18
	v_lshlrev_b32_e32 v20, 20, v20
	v_and_b32_e32 v21, 0x80000000, v21
	v_and_b32_e32 v20, 0x700000, v20
	v_or3_b32 v38, v20, v21, v10
.LBB349_175:                            ;   in Loop: Header=BB349_170 Depth=1
	s_or_b32 exec_lo, exec_lo, s18
.LBB349_176:                            ;   in Loop: Header=BB349_170 Depth=1
	s_or_b32 exec_lo, exec_lo, s17
.LBB349_177:                            ;   in Loop: Header=BB349_170 Depth=1
	s_or_b32 exec_lo, exec_lo, s0
	v_cmp_ne_u16_sdwa s17, v18, v11 src0_sel:BYTE_1 src1_sel:DWORD
	s_and_saveexec_b32 s0, s17
	s_cbranch_execz .LBB349_185
; %bb.178:                              ;   in Loop: Header=BB349_170 Depth=1
	v_cmp_ne_u16_sdwa s18, v18, v31 src0_sel:BYTE_1 src1_sel:DWORD
	v_bfrev_b32_e32 v39, 1
	s_and_saveexec_b32 s17, s18
	s_cbranch_execz .LBB349_184
; %bb.179:                              ;   in Loop: Header=BB349_170 Depth=1
	v_and_b32_sdwa v10, v32, v18 dst_sel:DWORD dst_unused:UNUSED_PAD src0_sel:DWORD src1_sel:BYTE_1
	v_mov_b32_e32 v39, 0x7f800001
	s_mov_b32 s18, exec_lo
	v_and_b32_e32 v21, 0x7f, v10
	v_cmpx_ne_u32_e32 0x7f, v21
	s_cbranch_execz .LBB349_183
; %bb.180:                              ;   in Loop: Header=BB349_170 Depth=1
	v_and_b32_e32 v10, 7, v10
	v_lshrrev_b32_e32 v20, 3, v21
	s_mov_b32 s21, exec_lo
	v_cmpx_gt_u32_e32 8, v21
; %bb.181:                              ;   in Loop: Header=BB349_170 Depth=1
	v_ffbh_u32_e32 v20, v10
	v_min_u32_e32 v20, 32, v20
	v_subrev_nc_u32_e32 v21, 28, v20
	v_sub_nc_u32_e32 v20, 29, v20
	v_lshlrev_b64 v[39:40], v21, v[10:11]
	v_and_b32_e32 v10, 7, v39
; %bb.182:                              ;   in Loop: Header=BB349_170 Depth=1
	s_or_b32 exec_lo, exec_lo, s21
	v_lshlrev_b32_e32 v21, 16, v18
	v_lshlrev_b32_e32 v10, 20, v10
	v_lshl_add_u32 v20, v20, 23, 0x3c000000
	v_and_b32_e32 v21, 0x80000000, v21
	v_or3_b32 v39, v10, v21, v20
.LBB349_183:                            ;   in Loop: Header=BB349_170 Depth=1
	s_or_b32 exec_lo, exec_lo, s18
.LBB349_184:                            ;   in Loop: Header=BB349_170 Depth=1
	s_or_b32 exec_lo, exec_lo, s17
.LBB349_185:                            ;   in Loop: Header=BB349_170 Depth=1
	s_or_b32 exec_lo, exec_lo, s0
	v_and_b32_sdwa v10, v18, v33 dst_sel:DWORD dst_unused:UNUSED_PAD src0_sel:WORD_1 src1_sel:DWORD
	v_mov_b32_e32 v41, 0
	v_mov_b32_e32 v40, 0
	s_mov_b32 s0, exec_lo
	v_cmpx_ne_u16_e32 0, v10
	s_cbranch_execz .LBB349_193
; %bb.186:                              ;   in Loop: Header=BB349_170 Depth=1
	v_bfrev_b32_e32 v40, 1
	s_mov_b32 s17, exec_lo
	v_cmpx_ne_u16_e32 0x80, v10
	s_cbranch_execz .LBB349_192
; %bb.187:                              ;   in Loop: Header=BB349_170 Depth=1
	v_bfe_u32 v21, v18, 16, 7
	v_mov_b32_e32 v40, 0x7f800001
	s_mov_b32 s18, exec_lo
	v_cmpx_ne_u32_e32 0x7f, v21
	s_cbranch_execz .LBB349_191
; %bb.188:                              ;   in Loop: Header=BB349_170 Depth=1
	v_and_b32_sdwa v10, v18, v34 dst_sel:DWORD dst_unused:UNUSED_PAD src0_sel:WORD_1 src1_sel:DWORD
	v_lshrrev_b32_e32 v20, 3, v21
	s_mov_b32 s21, exec_lo
	v_cmpx_gt_u32_e32 8, v21
; %bb.189:                              ;   in Loop: Header=BB349_170 Depth=1
	v_ffbh_u32_e32 v20, v10
	v_min_u32_e32 v20, 32, v20
	v_subrev_nc_u32_e32 v21, 28, v20
	v_sub_nc_u32_e32 v20, 29, v20
	v_lshlrev_b64 v[42:43], v21, v[10:11]
	v_and_b32_e32 v10, 7, v42
; %bb.190:                              ;   in Loop: Header=BB349_170 Depth=1
	s_or_b32 exec_lo, exec_lo, s21
	v_lshlrev_b32_sdwa v21, v35, v18 dst_sel:DWORD dst_unused:UNUSED_PAD src0_sel:DWORD src1_sel:WORD_1
	v_lshlrev_b32_e32 v10, 20, v10
	v_lshl_add_u32 v20, v20, 23, 0x3c000000
	v_and_b32_e32 v21, 0x80000000, v21
	v_or3_b32 v40, v10, v21, v20
.LBB349_191:                            ;   in Loop: Header=BB349_170 Depth=1
	s_or_b32 exec_lo, exec_lo, s18
.LBB349_192:                            ;   in Loop: Header=BB349_170 Depth=1
	s_or_b32 exec_lo, exec_lo, s17
.LBB349_193:                            ;   in Loop: Header=BB349_170 Depth=1
	s_or_b32 exec_lo, exec_lo, s0
	s_mov_b32 s0, exec_lo
	v_cmpx_lt_u32_e32 0xffffff, v18
	s_cbranch_execz .LBB349_201
; %bb.194:                              ;   in Loop: Header=BB349_170 Depth=1
	v_cmp_ne_u32_sdwa s18, v18, v31 src0_sel:BYTE_3 src1_sel:DWORD
	v_bfrev_b32_e32 v41, 1
	s_and_saveexec_b32 s17, s18
	s_cbranch_execz .LBB349_200
; %bb.195:                              ;   in Loop: Header=BB349_170 Depth=1
	v_bfe_u32 v21, v18, 24, 7
	v_mov_b32_e32 v41, 0x7f800001
	s_mov_b32 s18, exec_lo
	v_cmpx_ne_u32_e32 0x7f, v21
	s_cbranch_execz .LBB349_199
; %bb.196:                              ;   in Loop: Header=BB349_170 Depth=1
	v_and_b32_sdwa v10, v18, v34 dst_sel:DWORD dst_unused:UNUSED_PAD src0_sel:BYTE_3 src1_sel:DWORD
	v_lshrrev_b32_e32 v20, 3, v21
	s_mov_b32 s21, exec_lo
	v_cmpx_gt_u32_e32 8, v21
; %bb.197:                              ;   in Loop: Header=BB349_170 Depth=1
	v_ffbh_u32_e32 v20, v10
	v_min_u32_e32 v20, 32, v20
	v_subrev_nc_u32_e32 v21, 28, v20
	v_sub_nc_u32_e32 v20, 29, v20
	v_lshlrev_b64 v[41:42], v21, v[10:11]
	v_and_b32_e32 v10, 7, v41
; %bb.198:                              ;   in Loop: Header=BB349_170 Depth=1
	s_or_b32 exec_lo, exec_lo, s21
	v_lshlrev_b32_sdwa v21, v35, v18 dst_sel:DWORD dst_unused:UNUSED_PAD src0_sel:DWORD src1_sel:BYTE_3
	v_lshlrev_b32_e32 v10, 20, v10
	v_lshl_add_u32 v20, v20, 23, 0x3c000000
	v_and_b32_e32 v21, 0x80000000, v21
	v_or3_b32 v41, v10, v21, v20
.LBB349_199:                            ;   in Loop: Header=BB349_170 Depth=1
	s_or_b32 exec_lo, exec_lo, s18
.LBB349_200:                            ;   in Loop: Header=BB349_170 Depth=1
	s_or_b32 exec_lo, exec_lo, s17
.LBB349_201:                            ;   in Loop: Header=BB349_170 Depth=1
	s_or_b32 exec_lo, exec_lo, s0
	v_mov_b32_e32 v10, v19
	v_cmp_ne_u16_sdwa s17, v19, v11 src0_sel:BYTE_0 src1_sel:DWORD
	v_mov_b32_e32 v20, 0
	v_mov_b32_e32 v42, 0
	s_and_saveexec_b32 s0, s17
	s_cbranch_execz .LBB349_207
; %bb.202:                              ;   in Loop: Header=BB349_170 Depth=1
	v_cmp_ne_u16_sdwa s18, v19, v31 src0_sel:BYTE_0 src1_sel:DWORD
	v_bfrev_b32_e32 v42, 1
	s_and_saveexec_b32 s17, s18
	s_cbranch_execz .LBB349_206
; %bb.203:                              ;   in Loop: Header=BB349_170 Depth=1
	v_and_b32_e32 v21, 0x7f, v19
	v_mov_b32_e32 v42, 0x7f800001
	s_mov_b32 s18, exec_lo
	v_cmpx_ne_u32_e32 0x7f, v21
	s_cbranch_execz .LBB349_205
; %bb.204:                              ;   in Loop: Header=BB349_170 Depth=1
	v_and_b32_e32 v42, 7, v19
	v_lshrrev_b32_e32 v43, 3, v21
	v_cmp_gt_u32_e32 vcc_lo, 8, v21
	v_ffbh_u32_e32 v42, v42
	v_min_u32_e32 v42, 32, v42
	v_subrev_nc_u32_e32 v44, 28, v42
	v_sub_nc_u32_e32 v42, 29, v42
	v_cndmask_b32_e32 v21, v43, v42, vcc_lo
	v_cndmask_b32_e32 v42, 0, v44, vcc_lo
	v_lshl_add_u32 v21, v21, 23, 0x3c000000
	v_lshlrev_b64 v[42:43], v42, v[10:11]
	v_lshlrev_b32_e32 v43, 24, v10
	v_lshlrev_b32_e32 v42, 20, v42
	v_and_b32_e32 v43, 0x80000000, v43
	v_and_b32_e32 v42, 0x700000, v42
	v_or3_b32 v42, v42, v43, v21
.LBB349_205:                            ;   in Loop: Header=BB349_170 Depth=1
	s_or_b32 exec_lo, exec_lo, s18
.LBB349_206:                            ;   in Loop: Header=BB349_170 Depth=1
	s_or_b32 exec_lo, exec_lo, s17
.LBB349_207:                            ;   in Loop: Header=BB349_170 Depth=1
	s_or_b32 exec_lo, exec_lo, s0
	v_cmp_ne_u16_sdwa s17, v10, v11 src0_sel:BYTE_1 src1_sel:DWORD
	s_and_saveexec_b32 s0, s17
	s_cbranch_execz .LBB349_215
; %bb.208:                              ;   in Loop: Header=BB349_170 Depth=1
	v_cmp_ne_u16_sdwa s18, v10, v31 src0_sel:BYTE_1 src1_sel:DWORD
	v_bfrev_b32_e32 v20, 1
	s_and_saveexec_b32 s17, s18
	s_cbranch_execz .LBB349_214
; %bb.209:                              ;   in Loop: Header=BB349_170 Depth=1
	v_and_b32_sdwa v21, v32, v10 dst_sel:DWORD dst_unused:UNUSED_PAD src0_sel:DWORD src1_sel:BYTE_1
	v_mov_b32_e32 v20, 0x7f800001
	s_mov_b32 s18, exec_lo
	v_and_b32_e32 v44, 0x7f, v21
	v_cmpx_ne_u32_e32 0x7f, v44
	s_cbranch_execz .LBB349_213
; %bb.210:                              ;   in Loop: Header=BB349_170 Depth=1
	v_and_b32_e32 v20, 7, v21
	v_mov_b32_e32 v21, v11
	v_lshrrev_b32_e32 v43, 3, v44
	s_mov_b32 s21, exec_lo
	v_cmpx_gt_u32_e32 8, v44
; %bb.211:                              ;   in Loop: Header=BB349_170 Depth=1
	v_ffbh_u32_e32 v43, v20
	v_min_u32_e32 v43, 32, v43
	v_subrev_nc_u32_e32 v44, 28, v43
	v_sub_nc_u32_e32 v43, 29, v43
	v_lshlrev_b64 v[20:21], v44, v[20:21]
	v_and_b32_e32 v20, 7, v20
; %bb.212:                              ;   in Loop: Header=BB349_170 Depth=1
	s_or_b32 exec_lo, exec_lo, s21
	v_lshlrev_b32_e32 v10, 16, v10
	v_lshlrev_b32_e32 v20, 20, v20
	v_lshl_add_u32 v21, v43, 23, 0x3c000000
	v_and_b32_e32 v10, 0x80000000, v10
	v_or3_b32 v20, v20, v10, v21
.LBB349_213:                            ;   in Loop: Header=BB349_170 Depth=1
	s_or_b32 exec_lo, exec_lo, s18
.LBB349_214:                            ;   in Loop: Header=BB349_170 Depth=1
	s_or_b32 exec_lo, exec_lo, s17
.LBB349_215:                            ;   in Loop: Header=BB349_170 Depth=1
	s_or_b32 exec_lo, exec_lo, s0
	v_and_b32_sdwa v10, v19, v33 dst_sel:DWORD dst_unused:UNUSED_PAD src0_sel:WORD_1 src1_sel:DWORD
	v_mov_b32_e32 v44, 0
	v_mov_b32_e32 v45, 0
	s_mov_b32 s0, exec_lo
	v_cmpx_ne_u16_e32 0, v10
	s_cbranch_execz .LBB349_223
; %bb.216:                              ;   in Loop: Header=BB349_170 Depth=1
	v_bfrev_b32_e32 v45, 1
	s_mov_b32 s17, exec_lo
	v_cmpx_ne_u16_e32 0x80, v10
	s_cbranch_execz .LBB349_222
; %bb.217:                              ;   in Loop: Header=BB349_170 Depth=1
	v_bfe_u32 v43, v19, 16, 7
	v_mov_b32_e32 v45, 0x7f800001
	s_mov_b32 s18, exec_lo
	v_cmpx_ne_u32_e32 0x7f, v43
	s_cbranch_execz .LBB349_221
; %bb.218:                              ;   in Loop: Header=BB349_170 Depth=1
	v_and_b32_sdwa v10, v19, v34 dst_sel:DWORD dst_unused:UNUSED_PAD src0_sel:WORD_1 src1_sel:DWORD
	v_lshrrev_b32_e32 v21, 3, v43
	s_mov_b32 s21, exec_lo
	v_cmpx_gt_u32_e32 8, v43
; %bb.219:                              ;   in Loop: Header=BB349_170 Depth=1
	v_ffbh_u32_e32 v21, v10
	v_min_u32_e32 v21, 32, v21
	v_subrev_nc_u32_e32 v43, 28, v21
	v_sub_nc_u32_e32 v21, 29, v21
	v_lshlrev_b64 v[45:46], v43, v[10:11]
	v_and_b32_e32 v10, 7, v45
; %bb.220:                              ;   in Loop: Header=BB349_170 Depth=1
	s_or_b32 exec_lo, exec_lo, s21
	v_lshlrev_b32_sdwa v43, v35, v19 dst_sel:DWORD dst_unused:UNUSED_PAD src0_sel:DWORD src1_sel:WORD_1
	v_lshlrev_b32_e32 v10, 20, v10
	v_lshl_add_u32 v21, v21, 23, 0x3c000000
	v_and_b32_e32 v43, 0x80000000, v43
	v_or3_b32 v45, v10, v43, v21
.LBB349_221:                            ;   in Loop: Header=BB349_170 Depth=1
	s_or_b32 exec_lo, exec_lo, s18
.LBB349_222:                            ;   in Loop: Header=BB349_170 Depth=1
	s_or_b32 exec_lo, exec_lo, s17
.LBB349_223:                            ;   in Loop: Header=BB349_170 Depth=1
	s_or_b32 exec_lo, exec_lo, s0
	s_mov_b32 s0, exec_lo
	v_cmpx_lt_u64_e64 s[4:5], v[18:19]
	s_cbranch_execz .LBB349_231
; %bb.224:                              ;   in Loop: Header=BB349_170 Depth=1
	v_cmp_ne_u32_sdwa s18, v19, v31 src0_sel:BYTE_3 src1_sel:DWORD
	v_bfrev_b32_e32 v44, 1
	s_and_saveexec_b32 s17, s18
	s_cbranch_execz .LBB349_230
; %bb.225:                              ;   in Loop: Header=BB349_170 Depth=1
	v_bfe_u32 v21, v19, 24, 7
	v_mov_b32_e32 v44, 0x7f800001
	s_mov_b32 s18, exec_lo
	v_cmpx_ne_u32_e32 0x7f, v21
	s_cbranch_execz .LBB349_229
; %bb.226:                              ;   in Loop: Header=BB349_170 Depth=1
	v_and_b32_sdwa v10, v19, v34 dst_sel:DWORD dst_unused:UNUSED_PAD src0_sel:BYTE_3 src1_sel:DWORD
	v_lshrrev_b32_e32 v18, 3, v21
	s_mov_b32 s21, exec_lo
	v_cmpx_gt_u32_e32 8, v21
; %bb.227:                              ;   in Loop: Header=BB349_170 Depth=1
	v_ffbh_u32_e32 v18, v10
	v_min_u32_e32 v18, 32, v18
	v_subrev_nc_u32_e32 v21, 28, v18
	v_sub_nc_u32_e32 v18, 29, v18
	v_lshlrev_b64 v[43:44], v21, v[10:11]
	v_and_b32_e32 v10, 7, v43
; %bb.228:                              ;   in Loop: Header=BB349_170 Depth=1
	s_or_b32 exec_lo, exec_lo, s21
	v_lshlrev_b32_sdwa v19, v35, v19 dst_sel:DWORD dst_unused:UNUSED_PAD src0_sel:DWORD src1_sel:BYTE_3
	v_lshlrev_b32_e32 v10, 20, v10
	v_lshl_add_u32 v18, v18, 23, 0x3c000000
	v_and_b32_e32 v19, 0x80000000, v19
	v_or3_b32 v44, v10, v19, v18
.LBB349_229:                            ;   in Loop: Header=BB349_170 Depth=1
	s_or_b32 exec_lo, exec_lo, s18
.LBB349_230:                            ;   in Loop: Header=BB349_170 Depth=1
	s_or_b32 exec_lo, exec_lo, s17
.LBB349_231:                            ;   in Loop: Header=BB349_170 Depth=1
	s_or_b32 exec_lo, exec_lo, s0
	s_waitcnt lgkmcnt(0)
	v_mul_f32_e32 v10, s13, v20
	v_mul_f32_e32 v18, s13, v42
	;; [unrolled: 1-line block ×5, first 2 shown]
	v_bfe_u32 v20, v10, 16, 1
	v_or_b32_e32 v21, 0x400000, v10
	v_bfe_u32 v41, v18, 16, 1
	v_cmp_u_f32_e64 s0, v10, v10
	v_or_b32_e32 v42, 0x400000, v18
	v_add3_u32 v20, v20, v10, 0x7fff
	v_bfe_u32 v46, v19, 16, 1
	v_add3_u32 v41, v41, v18, 0x7fff
	v_or_b32_e32 v47, 0x400000, v19
	v_add_nc_u32_e32 v43, v28, v25
	v_cndmask_b32_e64 v10, v20, v21, s0
	v_cmp_u_f32_e64 s0, v18, v18
	v_add3_u32 v46, v46, v19, 0x7fff
	v_bfe_u32 v21, v40, 16, 1
	v_cmp_eq_u32_e32 vcc_lo, s40, v9
	v_lshrrev_b32_e32 v20, 16, v10
	v_cndmask_b32_e64 v18, v41, v42, s0
	v_cmp_u_f32_e64 s0, v19, v19
	v_mul_f32_e32 v19, s13, v39
	v_add3_u32 v41, v21, v40, 0x7fff
	v_or_b32_e32 v42, 0x400000, v40
	v_lshrrev_b32_e32 v21, 16, v18
	v_cndmask_b32_e64 v10, v46, v47, s0
	v_cmp_u_f32_e64 s0, v40, v40
	v_mul_f32_e32 v40, s13, v45
	v_add_nc_u32_e32 v51, 1, v43
	v_add_nc_u32_e32 v50, 2, v43
	v_lshrrev_b32_e32 v39, 16, v10
	v_bfe_u32 v10, v19, 16, 1
	v_cndmask_b32_e64 v18, v41, v42, s0
	v_or_b32_e32 v41, 0x400000, v19
	v_mul_f32_e32 v42, s13, v44
	v_bfe_u32 v44, v38, 16, 1
	v_add3_u32 v10, v10, v19, 0x7fff
	v_cmp_u_f32_e64 s0, v19, v19
	v_bfe_u32 v45, v40, 16, 1
	v_bfe_u32 v19, v42, 16, 1
	v_or_b32_e32 v46, 0x400000, v40
	v_or_b32_e32 v47, 0x400000, v42
	v_cndmask_b32_e64 v10, v10, v41, s0
	v_add3_u32 v41, v44, v38, 0x7fff
	v_or_b32_e32 v44, 0x400000, v38
	v_cmp_u_f32_e64 s0, v38, v38
	v_add3_u32 v45, v45, v40, 0x7fff
	v_add3_u32 v19, v19, v42, 0x7fff
	v_add_nc_u32_e32 v49, 3, v43
	v_add_nc_u32_e32 v48, 4, v43
	v_cndmask_b32_e64 v38, v41, v44, s0
	v_cmp_u_f32_e64 s0, v40, v40
	v_lshrrev_b32_e32 v41, 16, v18
	v_lshrrev_b32_e32 v44, 16, v38
	v_cndmask_b32_e64 v40, v45, v46, s0
	v_cmp_u_f32_e64 s0, v42, v42
	v_lshrrev_b32_e32 v42, 16, v10
	v_add_nc_u32_e32 v46, 6, v43
	v_add_nc_u32_e32 v45, 7, v43
	v_lshrrev_b32_e32 v40, 16, v40
	v_cndmask_b32_e64 v19, v19, v47, s0
	v_add_nc_u32_e32 v47, 5, v43
	v_lshrrev_b32_e32 v38, 16, v19
	s_and_saveexec_b32 s17, vcc_lo
	s_cbranch_execz .LBB349_233
; %bb.232:                              ;   in Loop: Header=BB349_170 Depth=1
	v_cmp_gt_i32_e64 s0, s31, v43
	v_cndmask_b32_e64 v44, 0, v44, s0
	v_cmp_gt_i32_e64 s0, s31, v51
	v_cndmask_b32_e64 v42, 0, v42, s0
	;; [unrolled: 2-line block ×8, first 2 shown]
.LBB349_233:                            ;   in Loop: Header=BB349_170 Depth=1
	s_or_b32 exec_lo, exec_lo, s17
	global_load_dwordx2 v[16:17], v[16:17], off offset:256
	v_mov_b32_e32 v53, 0
	v_mov_b32_e32 v52, 0
	s_waitcnt vmcnt(0)
	v_cmp_ne_u16_sdwa s0, v16, v11 src0_sel:BYTE_0 src1_sel:DWORD
	s_and_saveexec_b32 s17, s0
	s_cbranch_execz .LBB349_239
; %bb.234:                              ;   in Loop: Header=BB349_170 Depth=1
	v_cmp_ne_u16_sdwa s0, v16, v31 src0_sel:BYTE_0 src1_sel:DWORD
	v_bfrev_b32_e32 v52, 1
	s_and_saveexec_b32 s18, s0
	s_cbranch_execz .LBB349_238
; %bb.235:                              ;   in Loop: Header=BB349_170 Depth=1
	v_and_b32_e32 v10, 0x7f, v16
	v_mov_b32_e32 v52, 0x7f800001
	s_mov_b32 s21, exec_lo
	v_cmpx_ne_u32_e32 0x7f, v10
	s_cbranch_execz .LBB349_237
; %bb.236:                              ;   in Loop: Header=BB349_170 Depth=1
	v_and_b32_e32 v18, 7, v16
	v_lshrrev_b32_e32 v19, 3, v10
	v_cmp_gt_u32_e64 s0, 8, v10
	v_ffbh_u32_e32 v18, v18
	v_min_u32_e32 v18, 32, v18
	v_subrev_nc_u32_e32 v52, 28, v18
	v_sub_nc_u32_e32 v18, 29, v18
	v_cndmask_b32_e64 v10, v19, v18, s0
	v_cndmask_b32_e64 v18, 0, v52, s0
	v_lshl_add_u32 v10, v10, 23, 0x3c000000
	v_lshlrev_b64 v[18:19], v18, v[16:17]
	v_lshlrev_b32_e32 v19, 24, v16
	v_lshlrev_b32_e32 v18, 20, v18
	v_and_b32_e32 v19, 0x80000000, v19
	v_and_b32_e32 v18, 0x700000, v18
	v_or3_b32 v52, v18, v19, v10
.LBB349_237:                            ;   in Loop: Header=BB349_170 Depth=1
	s_or_b32 exec_lo, exec_lo, s21
.LBB349_238:                            ;   in Loop: Header=BB349_170 Depth=1
	s_or_b32 exec_lo, exec_lo, s18
.LBB349_239:                            ;   in Loop: Header=BB349_170 Depth=1
	s_or_b32 exec_lo, exec_lo, s17
	v_cmp_ne_u16_sdwa s0, v16, v11 src0_sel:BYTE_1 src1_sel:DWORD
	s_and_saveexec_b32 s17, s0
	s_cbranch_execz .LBB349_247
; %bb.240:                              ;   in Loop: Header=BB349_170 Depth=1
	v_cmp_ne_u16_sdwa s0, v16, v31 src0_sel:BYTE_1 src1_sel:DWORD
	v_bfrev_b32_e32 v53, 1
	s_and_saveexec_b32 s18, s0
	s_cbranch_execz .LBB349_246
; %bb.241:                              ;   in Loop: Header=BB349_170 Depth=1
	v_and_b32_sdwa v10, v32, v16 dst_sel:DWORD dst_unused:UNUSED_PAD src0_sel:DWORD src1_sel:BYTE_1
	v_mov_b32_e32 v53, 0x7f800001
	s_mov_b32 s21, exec_lo
	v_and_b32_e32 v19, 0x7f, v10
	v_cmpx_ne_u32_e32 0x7f, v19
	s_cbranch_execz .LBB349_245
; %bb.242:                              ;   in Loop: Header=BB349_170 Depth=1
	v_and_b32_e32 v10, 7, v10
	v_lshrrev_b32_e32 v18, 3, v19
	s_mov_b32 s22, exec_lo
	v_cmpx_gt_u32_e32 8, v19
; %bb.243:                              ;   in Loop: Header=BB349_170 Depth=1
	v_ffbh_u32_e32 v18, v10
	v_min_u32_e32 v18, 32, v18
	v_subrev_nc_u32_e32 v19, 28, v18
	v_sub_nc_u32_e32 v18, 29, v18
	v_lshlrev_b64 v[53:54], v19, v[10:11]
	v_and_b32_e32 v10, 7, v53
; %bb.244:                              ;   in Loop: Header=BB349_170 Depth=1
	s_or_b32 exec_lo, exec_lo, s22
	v_lshlrev_b32_e32 v19, 16, v16
	v_lshlrev_b32_e32 v10, 20, v10
	v_lshl_add_u32 v18, v18, 23, 0x3c000000
	v_and_b32_e32 v19, 0x80000000, v19
	v_or3_b32 v53, v10, v19, v18
.LBB349_245:                            ;   in Loop: Header=BB349_170 Depth=1
	s_or_b32 exec_lo, exec_lo, s21
.LBB349_246:                            ;   in Loop: Header=BB349_170 Depth=1
	s_or_b32 exec_lo, exec_lo, s18
.LBB349_247:                            ;   in Loop: Header=BB349_170 Depth=1
	s_or_b32 exec_lo, exec_lo, s17
	v_and_b32_sdwa v10, v16, v33 dst_sel:DWORD dst_unused:UNUSED_PAD src0_sel:WORD_1 src1_sel:DWORD
	v_mov_b32_e32 v55, 0
	v_mov_b32_e32 v54, 0
	s_mov_b32 s17, exec_lo
	v_cmpx_ne_u16_e32 0, v10
	s_cbranch_execz .LBB349_255
; %bb.248:                              ;   in Loop: Header=BB349_170 Depth=1
	v_bfrev_b32_e32 v54, 1
	s_mov_b32 s18, exec_lo
	v_cmpx_ne_u16_e32 0x80, v10
	s_cbranch_execz .LBB349_254
; %bb.249:                              ;   in Loop: Header=BB349_170 Depth=1
	v_bfe_u32 v19, v16, 16, 7
	v_mov_b32_e32 v54, 0x7f800001
	s_mov_b32 s21, exec_lo
	v_cmpx_ne_u32_e32 0x7f, v19
	s_cbranch_execz .LBB349_253
; %bb.250:                              ;   in Loop: Header=BB349_170 Depth=1
	v_and_b32_sdwa v10, v16, v34 dst_sel:DWORD dst_unused:UNUSED_PAD src0_sel:WORD_1 src1_sel:DWORD
	v_lshrrev_b32_e32 v18, 3, v19
	s_mov_b32 s22, exec_lo
	v_cmpx_gt_u32_e32 8, v19
; %bb.251:                              ;   in Loop: Header=BB349_170 Depth=1
	v_ffbh_u32_e32 v18, v10
	v_min_u32_e32 v18, 32, v18
	v_subrev_nc_u32_e32 v19, 28, v18
	v_sub_nc_u32_e32 v18, 29, v18
	v_lshlrev_b64 v[56:57], v19, v[10:11]
	v_and_b32_e32 v10, 7, v56
; %bb.252:                              ;   in Loop: Header=BB349_170 Depth=1
	s_or_b32 exec_lo, exec_lo, s22
	v_lshlrev_b32_sdwa v19, v35, v16 dst_sel:DWORD dst_unused:UNUSED_PAD src0_sel:DWORD src1_sel:WORD_1
	v_lshlrev_b32_e32 v10, 20, v10
	v_lshl_add_u32 v18, v18, 23, 0x3c000000
	v_and_b32_e32 v19, 0x80000000, v19
	v_or3_b32 v54, v10, v19, v18
.LBB349_253:                            ;   in Loop: Header=BB349_170 Depth=1
	s_or_b32 exec_lo, exec_lo, s21
.LBB349_254:                            ;   in Loop: Header=BB349_170 Depth=1
	s_or_b32 exec_lo, exec_lo, s18
.LBB349_255:                            ;   in Loop: Header=BB349_170 Depth=1
	s_or_b32 exec_lo, exec_lo, s17
	s_mov_b32 s17, exec_lo
	v_cmpx_lt_u32_e32 0xffffff, v16
	s_cbranch_execz .LBB349_263
; %bb.256:                              ;   in Loop: Header=BB349_170 Depth=1
	v_cmp_ne_u32_sdwa s0, v16, v31 src0_sel:BYTE_3 src1_sel:DWORD
	v_bfrev_b32_e32 v55, 1
	s_and_saveexec_b32 s18, s0
	s_cbranch_execz .LBB349_262
; %bb.257:                              ;   in Loop: Header=BB349_170 Depth=1
	v_bfe_u32 v19, v16, 24, 7
	v_mov_b32_e32 v55, 0x7f800001
	s_mov_b32 s21, exec_lo
	v_cmpx_ne_u32_e32 0x7f, v19
	s_cbranch_execz .LBB349_261
; %bb.258:                              ;   in Loop: Header=BB349_170 Depth=1
	v_and_b32_sdwa v10, v16, v34 dst_sel:DWORD dst_unused:UNUSED_PAD src0_sel:BYTE_3 src1_sel:DWORD
	v_lshrrev_b32_e32 v18, 3, v19
	s_mov_b32 s22, exec_lo
	v_cmpx_gt_u32_e32 8, v19
; %bb.259:                              ;   in Loop: Header=BB349_170 Depth=1
	v_ffbh_u32_e32 v18, v10
	v_min_u32_e32 v18, 32, v18
	v_subrev_nc_u32_e32 v19, 28, v18
	v_sub_nc_u32_e32 v18, 29, v18
	v_lshlrev_b64 v[55:56], v19, v[10:11]
	v_and_b32_e32 v10, 7, v55
; %bb.260:                              ;   in Loop: Header=BB349_170 Depth=1
	s_or_b32 exec_lo, exec_lo, s22
	v_lshlrev_b32_sdwa v19, v35, v16 dst_sel:DWORD dst_unused:UNUSED_PAD src0_sel:DWORD src1_sel:BYTE_3
	v_lshlrev_b32_e32 v10, 20, v10
	v_lshl_add_u32 v18, v18, 23, 0x3c000000
	v_and_b32_e32 v19, 0x80000000, v19
	v_or3_b32 v55, v10, v19, v18
.LBB349_261:                            ;   in Loop: Header=BB349_170 Depth=1
	s_or_b32 exec_lo, exec_lo, s21
.LBB349_262:                            ;   in Loop: Header=BB349_170 Depth=1
	s_or_b32 exec_lo, exec_lo, s18
.LBB349_263:                            ;   in Loop: Header=BB349_170 Depth=1
	s_or_b32 exec_lo, exec_lo, s17
	v_mov_b32_e32 v10, v17
	v_cmp_ne_u16_sdwa s0, v17, v11 src0_sel:BYTE_0 src1_sel:DWORD
	v_mov_b32_e32 v18, 0
	v_mov_b32_e32 v56, 0
	s_and_saveexec_b32 s17, s0
	s_cbranch_execz .LBB349_269
; %bb.264:                              ;   in Loop: Header=BB349_170 Depth=1
	v_cmp_ne_u16_sdwa s0, v17, v31 src0_sel:BYTE_0 src1_sel:DWORD
	v_bfrev_b32_e32 v56, 1
	s_and_saveexec_b32 s18, s0
	s_cbranch_execz .LBB349_268
; %bb.265:                              ;   in Loop: Header=BB349_170 Depth=1
	v_and_b32_e32 v19, 0x7f, v17
	v_mov_b32_e32 v56, 0x7f800001
	s_mov_b32 s21, exec_lo
	v_cmpx_ne_u32_e32 0x7f, v19
	s_cbranch_execz .LBB349_267
; %bb.266:                              ;   in Loop: Header=BB349_170 Depth=1
	v_and_b32_e32 v56, 7, v17
	v_lshrrev_b32_e32 v57, 3, v19
	v_cmp_gt_u32_e64 s0, 8, v19
	v_ffbh_u32_e32 v56, v56
	v_min_u32_e32 v56, 32, v56
	v_subrev_nc_u32_e32 v58, 28, v56
	v_sub_nc_u32_e32 v56, 29, v56
	v_cndmask_b32_e64 v19, v57, v56, s0
	v_cndmask_b32_e64 v56, 0, v58, s0
	v_lshl_add_u32 v19, v19, 23, 0x3c000000
	v_lshlrev_b64 v[56:57], v56, v[10:11]
	v_lshlrev_b32_e32 v57, 24, v10
	v_lshlrev_b32_e32 v56, 20, v56
	v_and_b32_e32 v57, 0x80000000, v57
	v_and_b32_e32 v56, 0x700000, v56
	v_or3_b32 v56, v56, v57, v19
.LBB349_267:                            ;   in Loop: Header=BB349_170 Depth=1
	s_or_b32 exec_lo, exec_lo, s21
.LBB349_268:                            ;   in Loop: Header=BB349_170 Depth=1
	s_or_b32 exec_lo, exec_lo, s18
.LBB349_269:                            ;   in Loop: Header=BB349_170 Depth=1
	s_or_b32 exec_lo, exec_lo, s17
	v_cmp_ne_u16_sdwa s0, v10, v11 src0_sel:BYTE_1 src1_sel:DWORD
	s_and_saveexec_b32 s17, s0
	s_cbranch_execz .LBB349_277
; %bb.270:                              ;   in Loop: Header=BB349_170 Depth=1
	v_cmp_ne_u16_sdwa s0, v10, v31 src0_sel:BYTE_1 src1_sel:DWORD
	v_bfrev_b32_e32 v18, 1
	s_and_saveexec_b32 s18, s0
	s_cbranch_execz .LBB349_276
; %bb.271:                              ;   in Loop: Header=BB349_170 Depth=1
	v_and_b32_sdwa v19, v32, v10 dst_sel:DWORD dst_unused:UNUSED_PAD src0_sel:DWORD src1_sel:BYTE_1
	v_mov_b32_e32 v18, 0x7f800001
	s_mov_b32 s21, exec_lo
	v_and_b32_e32 v58, 0x7f, v19
	v_cmpx_ne_u32_e32 0x7f, v58
	s_cbranch_execz .LBB349_275
; %bb.272:                              ;   in Loop: Header=BB349_170 Depth=1
	v_and_b32_e32 v18, 7, v19
	v_mov_b32_e32 v19, v11
	v_lshrrev_b32_e32 v57, 3, v58
	s_mov_b32 s22, exec_lo
	v_cmpx_gt_u32_e32 8, v58
; %bb.273:                              ;   in Loop: Header=BB349_170 Depth=1
	v_ffbh_u32_e32 v57, v18
	v_min_u32_e32 v57, 32, v57
	v_subrev_nc_u32_e32 v58, 28, v57
	v_sub_nc_u32_e32 v57, 29, v57
	v_lshlrev_b64 v[18:19], v58, v[18:19]
	v_and_b32_e32 v18, 7, v18
; %bb.274:                              ;   in Loop: Header=BB349_170 Depth=1
	s_or_b32 exec_lo, exec_lo, s22
	v_lshlrev_b32_e32 v10, 16, v10
	v_lshlrev_b32_e32 v18, 20, v18
	v_lshl_add_u32 v19, v57, 23, 0x3c000000
	v_and_b32_e32 v10, 0x80000000, v10
	v_or3_b32 v18, v18, v10, v19
.LBB349_275:                            ;   in Loop: Header=BB349_170 Depth=1
	s_or_b32 exec_lo, exec_lo, s21
.LBB349_276:                            ;   in Loop: Header=BB349_170 Depth=1
	s_or_b32 exec_lo, exec_lo, s18
.LBB349_277:                            ;   in Loop: Header=BB349_170 Depth=1
	s_or_b32 exec_lo, exec_lo, s17
	v_and_b32_sdwa v10, v17, v33 dst_sel:DWORD dst_unused:UNUSED_PAD src0_sel:WORD_1 src1_sel:DWORD
	v_mov_b32_e32 v19, 0
	v_mov_b32_e32 v57, 0
	s_mov_b32 s17, exec_lo
	v_cmpx_ne_u16_e32 0, v10
	s_cbranch_execz .LBB349_285
; %bb.278:                              ;   in Loop: Header=BB349_170 Depth=1
	v_bfrev_b32_e32 v57, 1
	s_mov_b32 s18, exec_lo
	v_cmpx_ne_u16_e32 0x80, v10
	s_cbranch_execz .LBB349_284
; %bb.279:                              ;   in Loop: Header=BB349_170 Depth=1
	v_bfe_u32 v58, v17, 16, 7
	v_mov_b32_e32 v57, 0x7f800001
	s_mov_b32 s21, exec_lo
	v_cmpx_ne_u32_e32 0x7f, v58
	s_cbranch_execz .LBB349_283
; %bb.280:                              ;   in Loop: Header=BB349_170 Depth=1
	v_and_b32_sdwa v10, v17, v34 dst_sel:DWORD dst_unused:UNUSED_PAD src0_sel:WORD_1 src1_sel:DWORD
	v_lshrrev_b32_e32 v57, 3, v58
	s_mov_b32 s22, exec_lo
	v_cmpx_gt_u32_e32 8, v58
; %bb.281:                              ;   in Loop: Header=BB349_170 Depth=1
	v_ffbh_u32_e32 v57, v10
	v_min_u32_e32 v57, 32, v57
	v_subrev_nc_u32_e32 v58, 28, v57
	v_sub_nc_u32_e32 v57, 29, v57
	v_lshlrev_b64 v[58:59], v58, v[10:11]
	v_and_b32_e32 v10, 7, v58
; %bb.282:                              ;   in Loop: Header=BB349_170 Depth=1
	s_or_b32 exec_lo, exec_lo, s22
	v_lshlrev_b32_sdwa v58, v35, v17 dst_sel:DWORD dst_unused:UNUSED_PAD src0_sel:DWORD src1_sel:WORD_1
	v_lshlrev_b32_e32 v10, 20, v10
	v_lshl_add_u32 v57, v57, 23, 0x3c000000
	v_and_b32_e32 v58, 0x80000000, v58
	v_or3_b32 v57, v10, v58, v57
.LBB349_283:                            ;   in Loop: Header=BB349_170 Depth=1
	s_or_b32 exec_lo, exec_lo, s21
.LBB349_284:                            ;   in Loop: Header=BB349_170 Depth=1
	s_or_b32 exec_lo, exec_lo, s18
.LBB349_285:                            ;   in Loop: Header=BB349_170 Depth=1
	s_or_b32 exec_lo, exec_lo, s17
	s_mov_b32 s17, exec_lo
	v_cmpx_lt_u64_e64 s[4:5], v[16:17]
	s_cbranch_execz .LBB349_293
; %bb.286:                              ;   in Loop: Header=BB349_170 Depth=1
	v_cmp_ne_u32_sdwa s0, v17, v31 src0_sel:BYTE_3 src1_sel:DWORD
	v_bfrev_b32_e32 v19, 1
	s_and_saveexec_b32 s18, s0
	s_cbranch_execz .LBB349_292
; %bb.287:                              ;   in Loop: Header=BB349_170 Depth=1
	v_bfe_u32 v58, v17, 24, 7
	v_mov_b32_e32 v19, 0x7f800001
	s_mov_b32 s21, exec_lo
	v_cmpx_ne_u32_e32 0x7f, v58
	s_cbranch_execz .LBB349_291
; %bb.288:                              ;   in Loop: Header=BB349_170 Depth=1
	v_and_b32_sdwa v10, v17, v34 dst_sel:DWORD dst_unused:UNUSED_PAD src0_sel:BYTE_3 src1_sel:DWORD
	v_lshrrev_b32_e32 v16, 3, v58
	s_mov_b32 s22, exec_lo
	v_cmpx_gt_u32_e32 8, v58
; %bb.289:                              ;   in Loop: Header=BB349_170 Depth=1
	v_ffbh_u32_e32 v16, v10
	v_min_u32_e32 v16, 32, v16
	v_subrev_nc_u32_e32 v19, 28, v16
	v_sub_nc_u32_e32 v16, 29, v16
	v_lshlrev_b64 v[58:59], v19, v[10:11]
	v_and_b32_e32 v10, 7, v58
; %bb.290:                              ;   in Loop: Header=BB349_170 Depth=1
	s_or_b32 exec_lo, exec_lo, s22
	v_lshlrev_b32_sdwa v17, v35, v17 dst_sel:DWORD dst_unused:UNUSED_PAD src0_sel:DWORD src1_sel:BYTE_3
	v_lshlrev_b32_e32 v10, 20, v10
	v_lshl_add_u32 v16, v16, 23, 0x3c000000
	v_and_b32_e32 v17, 0x80000000, v17
	v_or3_b32 v19, v10, v17, v16
.LBB349_291:                            ;   in Loop: Header=BB349_170 Depth=1
	s_or_b32 exec_lo, exec_lo, s21
.LBB349_292:                            ;   in Loop: Header=BB349_170 Depth=1
	s_or_b32 exec_lo, exec_lo, s18
.LBB349_293:                            ;   in Loop: Header=BB349_170 Depth=1
	s_or_b32 exec_lo, exec_lo, s17
	v_mul_f32_e32 v10, s13, v18
	v_mul_f32_e32 v16, s13, v56
	;; [unrolled: 1-line block ×5, first 2 shown]
	v_bfe_u32 v54, v10, 16, 1
	v_or_b32_e32 v55, 0x400000, v10
	v_bfe_u32 v56, v16, 16, 1
	v_cmp_u_f32_e64 s0, v10, v10
	v_or_b32_e32 v58, 0x400000, v16
	v_add3_u32 v54, v54, v10, 0x7fff
	v_bfe_u32 v59, v17, 16, 1
	v_add3_u32 v56, v56, v16, 0x7fff
	v_or_b32_e32 v60, 0x400000, v17
	v_bfe_u32 v61, v18, 16, 1
	v_cndmask_b32_e64 v10, v54, v55, s0
	v_cmp_u_f32_e64 s0, v16, v16
	v_add3_u32 v59, v59, v17, 0x7fff
	v_or_b32_e32 v55, 0x400000, v18
	v_add3_u32 v54, v61, v18, 0x7fff
	v_mul_f32_e32 v52, s13, v52
	v_cndmask_b32_e64 v16, v56, v58, s0
	v_cmp_u_f32_e64 s0, v17, v17
	v_bfe_u32 v56, v53, 16, 1
	v_mul_f32_e32 v19, s13, v19
	v_lshrrev_b32_e32 v10, 16, v10
	v_lshrrev_b32_e32 v16, 16, v16
	v_cndmask_b32_e64 v17, v59, v60, s0
	v_cmp_u_f32_e64 s0, v18, v18
	v_or_b32_e32 v60, 0x400000, v19
	v_lshrrev_b32_e32 v17, 16, v17
	v_cndmask_b32_e64 v18, v54, v55, s0
	v_mul_f32_e32 v54, s13, v57
	v_add3_u32 v55, v56, v53, 0x7fff
	v_or_b32_e32 v56, 0x400000, v53
	v_bfe_u32 v57, v52, 16, 1
	v_cmp_u_f32_e64 s0, v53, v53
	v_bfe_u32 v58, v54, 16, 1
	v_or_b32_e32 v59, 0x400000, v54
	v_cndmask_b32_e64 v53, v55, v56, s0
	v_add3_u32 v56, v57, v52, 0x7fff
	v_or_b32_e32 v57, 0x400000, v52
	v_cmp_u_f32_e64 s0, v52, v52
	v_bfe_u32 v55, v19, 16, 1
	v_add3_u32 v58, v58, v54, 0x7fff
	v_lshrrev_b32_e32 v52, 16, v18
	v_lshrrev_b32_e32 v53, 16, v53
	v_cndmask_b32_e64 v56, v56, v57, s0
	v_cmp_u_f32_e64 s0, v54, v54
	v_add3_u32 v55, v55, v19, 0x7fff
	v_lshrrev_b32_e32 v54, 16, v56
	v_cndmask_b32_e64 v57, v58, v59, s0
	v_cmp_u_f32_e64 s0, v19, v19
	v_lshrrev_b32_e32 v19, 16, v57
	v_cndmask_b32_e64 v55, v55, v60, s0
	v_lshrrev_b32_e32 v18, 16, v55
	s_and_saveexec_b32 s0, vcc_lo
	s_cbranch_execz .LBB349_168
; %bb.294:                              ;   in Loop: Header=BB349_170 Depth=1
	v_cmp_gt_i32_e32 vcc_lo, s31, v43
	v_cndmask_b32_e32 v54, 0, v54, vcc_lo
	v_cmp_gt_i32_e32 vcc_lo, s31, v51
	v_cndmask_b32_e32 v53, 0, v53, vcc_lo
	;; [unrolled: 2-line block ×8, first 2 shown]
	s_branch .LBB349_168
.LBB349_295:
	s_or_b32 exec_lo, exec_lo, s9
.LBB349_296:
	s_or_b32 exec_lo, exec_lo, s1
	ds_bpermute_b32 v1, v27, v29
	ds_bpermute_b32 v5, v27, v30
	v_lshrrev_b32_e32 v3, 1, v26
	v_and_b32_e32 v6, 0x3c1, v0
	s_mov_b32 s0, exec_lo
	s_waitcnt lgkmcnt(0)
	s_waitcnt_vscnt null, 0x0
	s_barrier
	v_lshl_add_u32 v4, v3, 2, 0x60
	buffer_gl0_inv
	v_add_f32_e32 v2, v29, v1
	v_add_f32_e32 v1, v30, v5
	v_cmpx_eq_u32_e32 64, v6
	s_cbranch_execz .LBB349_298
; %bb.297:
	v_lshl_add_u32 v5, v24, 7, v4
	v_add_nc_u32_e32 v6, 0xffffff00, v5
	v_add_nc_u32_e32 v5, 0xffffff40, v5
	ds_write_b32 v6, v2
	ds_write_b32 v5, v1
.LBB349_298:
	s_or_b32 exec_lo, exec_lo, s0
	v_and_b32_e32 v5, 0x3e0, v0
	v_lshlrev_b32_e32 v3, 2, v3
	s_mov_b32 s1, exec_lo
	v_cmp_eq_u32_e32 vcc_lo, 0, v23
	s_waitcnt lgkmcnt(0)
	v_lshlrev_b32_e32 v5, 2, v5
	s_barrier
	buffer_gl0_inv
	v_add3_u32 v3, 0x60, v5, v3
	v_cmpx_gt_u32_e32 64, v0
	s_cbranch_execz .LBB349_304
; %bb.299:
	s_and_saveexec_b32 s0, vcc_lo
	s_cbranch_execz .LBB349_301
; %bb.300:
	ds_read_b32 v5, v3
	s_waitcnt lgkmcnt(0)
	v_add_f32_e32 v2, v2, v5
.LBB349_301:
	s_or_b32 exec_lo, exec_lo, s0
	s_and_saveexec_b32 s0, vcc_lo
	s_cbranch_execz .LBB349_303
; %bb.302:
	ds_read_b32 v5, v3 offset:64
	s_waitcnt lgkmcnt(0)
	v_add_f32_e32 v1, v1, v5
.LBB349_303:
	s_or_b32 exec_lo, exec_lo, s0
.LBB349_304:
	s_or_b32 exec_lo, exec_lo, s1
	v_and_b32_e32 v5, 0x3e1, v0
	s_mov_b32 s1, exec_lo
	s_barrier
	buffer_gl0_inv
	v_cmpx_eq_u32_e32 32, v5
; %bb.305:
	ds_write2_b32 v4, v2, v1 offset1:16
; %bb.306:
	s_or_b32 exec_lo, exec_lo, s1
	s_mov_b32 s1, exec_lo
	s_waitcnt lgkmcnt(0)
	s_barrier
	buffer_gl0_inv
	v_cmpx_gt_u32_e32 32, v0
	s_cbranch_execz .LBB349_312
; %bb.307:
	s_and_saveexec_b32 s0, vcc_lo
	s_cbranch_execz .LBB349_309
; %bb.308:
	ds_read_b32 v0, v3
	s_waitcnt lgkmcnt(0)
	v_add_f32_e32 v2, v2, v0
.LBB349_309:
	s_or_b32 exec_lo, exec_lo, s0
	s_and_saveexec_b32 s0, vcc_lo
	s_cbranch_execz .LBB349_311
; %bb.310:
	ds_read_b32 v0, v3 offset:64
	s_waitcnt lgkmcnt(0)
	v_add_f32_e32 v1, v1, v0
.LBB349_311:
	s_or_b32 exec_lo, exec_lo, s0
.LBB349_312:
	s_or_b32 exec_lo, exec_lo, s1
	s_barrier
	buffer_gl0_inv
	s_mov_b32 s0, exec_lo
	v_cmpx_eq_u32_e32 0, v5
	s_cbranch_execz .LBB349_314
; %bb.313:
	s_lshl_b32 s0, s2, 5
	v_bfe_u32 v0, v2, 16, 1
	s_ashr_i32 s1, s0, 31
	s_mul_i32 s2, s7, s10
	s_lshl_b64 s[0:1], s[0:1], 1
	v_bfe_u32 v3, v1, 16, 1
	v_add3_u32 v0, v0, v2, 0x7fff
	v_or_b32_e32 v4, 0x400000, v2
	v_cmp_u_f32_e32 vcc_lo, v2, v2
	s_add_u32 s4, s28, s0
	s_addc_u32 s5, s29, s1
	s_ashr_i32 s3, s2, 31
	v_add3_u32 v3, v3, v1, 0x7fff
	s_lshl_b64 s[0:1], s[2:3], 1
	v_or_b32_e32 v5, 0x400000, v1
	v_cndmask_b32_e32 v0, v0, v4, vcc_lo
	v_cmp_u_f32_e32 vcc_lo, v1, v1
	s_add_u32 s2, s4, s0
	s_addc_u32 s3, s5, s1
	s_ashr_i32 s17, s16, 31
	v_lshlrev_b32_e32 v2, 1, v22
	s_lshl_b64 s[0:1], s[16:17], 1
	v_cndmask_b32_e32 v1, v3, v5, vcc_lo
	s_add_u32 s0, s2, s0
	s_addc_u32 s1, s3, s1
	global_store_short_d16_hi v2, v0, s[0:1]
	global_store_short_d16_hi v2, v1, s[0:1] offset:32
.LBB349_314:
	s_endpgm
	.section	.rodata,"a",@progbits
	.p2align	6, 0x0
	.amdhsa_kernel _ZN4vllm25paged_attention_v2_kernelI14__hip_bfloat16hLi32ELi16ELi128ELNS_18Fp8KVCacheDataTypeE1ELb1ELi512EEEvPfS3_PT_PKS4_PKT0_SA_ifPKiSC_iPKfiiiSE_SE_iiiii
		.amdhsa_group_segment_fixed_size 96
		.amdhsa_private_segment_fixed_size 0
		.amdhsa_kernarg_size 400
		.amdhsa_user_sgpr_count 6
		.amdhsa_user_sgpr_private_segment_buffer 1
		.amdhsa_user_sgpr_dispatch_ptr 0
		.amdhsa_user_sgpr_queue_ptr 0
		.amdhsa_user_sgpr_kernarg_segment_ptr 1
		.amdhsa_user_sgpr_dispatch_id 0
		.amdhsa_user_sgpr_flat_scratch_init 0
		.amdhsa_user_sgpr_private_segment_size 0
		.amdhsa_wavefront_size32 1
		.amdhsa_uses_dynamic_stack 0
		.amdhsa_system_sgpr_private_segment_wavefront_offset 0
		.amdhsa_system_sgpr_workgroup_id_x 1
		.amdhsa_system_sgpr_workgroup_id_y 1
		.amdhsa_system_sgpr_workgroup_id_z 1
		.amdhsa_system_sgpr_workgroup_info 0
		.amdhsa_system_vgpr_workitem_id 0
		.amdhsa_next_free_vgpr 64
		.amdhsa_next_free_sgpr 53
		.amdhsa_reserve_vcc 1
		.amdhsa_reserve_flat_scratch 0
		.amdhsa_float_round_mode_32 0
		.amdhsa_float_round_mode_16_64 0
		.amdhsa_float_denorm_mode_32 3
		.amdhsa_float_denorm_mode_16_64 3
		.amdhsa_dx10_clamp 1
		.amdhsa_ieee_mode 1
		.amdhsa_fp16_overflow 0
		.amdhsa_workgroup_processor_mode 1
		.amdhsa_memory_ordered 1
		.amdhsa_forward_progress 1
		.amdhsa_shared_vgpr_count 0
		.amdhsa_exception_fp_ieee_invalid_op 0
		.amdhsa_exception_fp_denorm_src 0
		.amdhsa_exception_fp_ieee_div_zero 0
		.amdhsa_exception_fp_ieee_overflow 0
		.amdhsa_exception_fp_ieee_underflow 0
		.amdhsa_exception_fp_ieee_inexact 0
		.amdhsa_exception_int_div_zero 0
	.end_amdhsa_kernel
	.section	.text._ZN4vllm25paged_attention_v2_kernelI14__hip_bfloat16hLi32ELi16ELi128ELNS_18Fp8KVCacheDataTypeE1ELb1ELi512EEEvPfS3_PT_PKS4_PKT0_SA_ifPKiSC_iPKfiiiSE_SE_iiiii,"axG",@progbits,_ZN4vllm25paged_attention_v2_kernelI14__hip_bfloat16hLi32ELi16ELi128ELNS_18Fp8KVCacheDataTypeE1ELb1ELi512EEEvPfS3_PT_PKS4_PKT0_SA_ifPKiSC_iPKfiiiSE_SE_iiiii,comdat
.Lfunc_end349:
	.size	_ZN4vllm25paged_attention_v2_kernelI14__hip_bfloat16hLi32ELi16ELi128ELNS_18Fp8KVCacheDataTypeE1ELb1ELi512EEEvPfS3_PT_PKS4_PKT0_SA_ifPKiSC_iPKfiiiSE_SE_iiiii, .Lfunc_end349-_ZN4vllm25paged_attention_v2_kernelI14__hip_bfloat16hLi32ELi16ELi128ELNS_18Fp8KVCacheDataTypeE1ELb1ELi512EEEvPfS3_PT_PKS4_PKT0_SA_ifPKiSC_iPKfiiiSE_SE_iiiii
                                        ; -- End function
	.set _ZN4vllm25paged_attention_v2_kernelI14__hip_bfloat16hLi32ELi16ELi128ELNS_18Fp8KVCacheDataTypeE1ELb1ELi512EEEvPfS3_PT_PKS4_PKT0_SA_ifPKiSC_iPKfiiiSE_SE_iiiii.num_vgpr, 64
	.set _ZN4vllm25paged_attention_v2_kernelI14__hip_bfloat16hLi32ELi16ELi128ELNS_18Fp8KVCacheDataTypeE1ELb1ELi512EEEvPfS3_PT_PKS4_PKT0_SA_ifPKiSC_iPKfiiiSE_SE_iiiii.num_agpr, 0
	.set _ZN4vllm25paged_attention_v2_kernelI14__hip_bfloat16hLi32ELi16ELi128ELNS_18Fp8KVCacheDataTypeE1ELb1ELi512EEEvPfS3_PT_PKS4_PKT0_SA_ifPKiSC_iPKfiiiSE_SE_iiiii.numbered_sgpr, 53
	.set _ZN4vllm25paged_attention_v2_kernelI14__hip_bfloat16hLi32ELi16ELi128ELNS_18Fp8KVCacheDataTypeE1ELb1ELi512EEEvPfS3_PT_PKS4_PKT0_SA_ifPKiSC_iPKfiiiSE_SE_iiiii.num_named_barrier, 0
	.set _ZN4vllm25paged_attention_v2_kernelI14__hip_bfloat16hLi32ELi16ELi128ELNS_18Fp8KVCacheDataTypeE1ELb1ELi512EEEvPfS3_PT_PKS4_PKT0_SA_ifPKiSC_iPKfiiiSE_SE_iiiii.private_seg_size, 0
	.set _ZN4vllm25paged_attention_v2_kernelI14__hip_bfloat16hLi32ELi16ELi128ELNS_18Fp8KVCacheDataTypeE1ELb1ELi512EEEvPfS3_PT_PKS4_PKT0_SA_ifPKiSC_iPKfiiiSE_SE_iiiii.uses_vcc, 1
	.set _ZN4vllm25paged_attention_v2_kernelI14__hip_bfloat16hLi32ELi16ELi128ELNS_18Fp8KVCacheDataTypeE1ELb1ELi512EEEvPfS3_PT_PKS4_PKT0_SA_ifPKiSC_iPKfiiiSE_SE_iiiii.uses_flat_scratch, 0
	.set _ZN4vllm25paged_attention_v2_kernelI14__hip_bfloat16hLi32ELi16ELi128ELNS_18Fp8KVCacheDataTypeE1ELb1ELi512EEEvPfS3_PT_PKS4_PKT0_SA_ifPKiSC_iPKfiiiSE_SE_iiiii.has_dyn_sized_stack, 0
	.set _ZN4vllm25paged_attention_v2_kernelI14__hip_bfloat16hLi32ELi16ELi128ELNS_18Fp8KVCacheDataTypeE1ELb1ELi512EEEvPfS3_PT_PKS4_PKT0_SA_ifPKiSC_iPKfiiiSE_SE_iiiii.has_recursion, 0
	.set _ZN4vllm25paged_attention_v2_kernelI14__hip_bfloat16hLi32ELi16ELi128ELNS_18Fp8KVCacheDataTypeE1ELb1ELi512EEEvPfS3_PT_PKS4_PKT0_SA_ifPKiSC_iPKfiiiSE_SE_iiiii.has_indirect_call, 0
	.section	.AMDGPU.csdata,"",@progbits
; Kernel info:
; codeLenInByte = 12784
; TotalNumSgprs: 55
; NumVgprs: 64
; ScratchSize: 0
; MemoryBound: 0
; FloatMode: 240
; IeeeMode: 1
; LDSByteSize: 96 bytes/workgroup (compile time only)
; SGPRBlocks: 0
; VGPRBlocks: 7
; NumSGPRsForWavesPerEU: 55
; NumVGPRsForWavesPerEU: 64
; Occupancy: 16
; WaveLimiterHint : 1
; COMPUTE_PGM_RSRC2:SCRATCH_EN: 0
; COMPUTE_PGM_RSRC2:USER_SGPR: 6
; COMPUTE_PGM_RSRC2:TRAP_HANDLER: 0
; COMPUTE_PGM_RSRC2:TGID_X_EN: 1
; COMPUTE_PGM_RSRC2:TGID_Y_EN: 1
; COMPUTE_PGM_RSRC2:TGID_Z_EN: 1
; COMPUTE_PGM_RSRC2:TIDIG_COMP_CNT: 0
	.section	.text._ZN4vllm25paged_attention_v2_kernelI14__hip_bfloat16hLi64ELi16ELi128ELNS_18Fp8KVCacheDataTypeE1ELb1ELi512EEEvPfS3_PT_PKS4_PKT0_SA_ifPKiSC_iPKfiiiSE_SE_iiiii,"axG",@progbits,_ZN4vllm25paged_attention_v2_kernelI14__hip_bfloat16hLi64ELi16ELi128ELNS_18Fp8KVCacheDataTypeE1ELb1ELi512EEEvPfS3_PT_PKS4_PKT0_SA_ifPKiSC_iPKfiiiSE_SE_iiiii,comdat
	.protected	_ZN4vllm25paged_attention_v2_kernelI14__hip_bfloat16hLi64ELi16ELi128ELNS_18Fp8KVCacheDataTypeE1ELb1ELi512EEEvPfS3_PT_PKS4_PKT0_SA_ifPKiSC_iPKfiiiSE_SE_iiiii ; -- Begin function _ZN4vllm25paged_attention_v2_kernelI14__hip_bfloat16hLi64ELi16ELi128ELNS_18Fp8KVCacheDataTypeE1ELb1ELi512EEEvPfS3_PT_PKS4_PKT0_SA_ifPKiSC_iPKfiiiSE_SE_iiiii
	.globl	_ZN4vllm25paged_attention_v2_kernelI14__hip_bfloat16hLi64ELi16ELi128ELNS_18Fp8KVCacheDataTypeE1ELb1ELi512EEEvPfS3_PT_PKS4_PKT0_SA_ifPKiSC_iPKfiiiSE_SE_iiiii
	.p2align	8
	.type	_ZN4vllm25paged_attention_v2_kernelI14__hip_bfloat16hLi64ELi16ELi128ELNS_18Fp8KVCacheDataTypeE1ELb1ELi512EEEvPfS3_PT_PKS4_PKT0_SA_ifPKiSC_iPKfiiiSE_SE_iiiii,@function
_ZN4vllm25paged_attention_v2_kernelI14__hip_bfloat16hLi64ELi16ELi128ELNS_18Fp8KVCacheDataTypeE1ELb1ELi512EEEvPfS3_PT_PKS4_PKT0_SA_ifPKiSC_iPKfiiiSE_SE_iiiii: ; @_ZN4vllm25paged_attention_v2_kernelI14__hip_bfloat16hLi64ELi16ELi128ELNS_18Fp8KVCacheDataTypeE1ELb1ELi512EEEvPfS3_PT_PKS4_PKT0_SA_ifPKiSC_iPKfiiiSE_SE_iiiii
; %bb.0:
	s_load_dwordx2 s[0:1], s[4:5], 0x40
	s_mov_b32 s30, s7
	s_ashr_i32 s31, s7, 31
	s_lshl_b64 s[2:3], s[30:31], 2
	s_waitcnt lgkmcnt(0)
	s_add_u32 s0, s0, s2
	s_addc_u32 s1, s1, s3
	s_lshl_b32 s42, s8, 9
	s_load_dword s31, s[0:1], 0x0
	s_waitcnt lgkmcnt(0)
	s_cmp_ge_i32 s42, s31
	s_cbranch_scc1 .LBB350_568
; %bb.1:
	s_clause 0x1
	s_load_dword s9, s[4:5], 0x90
	s_load_dwordx2 s[40:41], s[4:5], 0x30
	s_mov_b32 s43, 0
	s_waitcnt lgkmcnt(0)
	s_abs_i32 s3, s9
	s_abs_i32 s0, s40
	v_cvt_f32_u32_e32 v1, s0
	s_sub_i32 s2, 0, s0
	v_rcp_iflag_f32_e32 v1, v1
	v_mul_f32_e32 v1, 0x4f7ffffe, v1
	v_cvt_u32_f32_e32 v1, v1
	v_readfirstlane_b32 s1, v1
	s_mul_i32 s2, s2, s1
	s_mul_hi_u32 s2, s1, s2
	s_add_i32 s1, s1, s2
	s_xor_b32 s2, s9, s40
	s_mul_hi_u32 s1, s3, s1
	s_ashr_i32 s2, s2, 31
	s_mul_i32 s7, s1, s0
	s_sub_i32 s3, s3, s7
	s_add_i32 s7, s1, 1
	s_sub_i32 s10, s3, s0
	s_cmp_ge_u32 s3, s0
	s_cselect_b32 s1, s7, s1
	s_cselect_b32 s3, s10, s3
	s_add_i32 s7, s1, 1
	s_cmp_ge_u32 s3, s0
	s_cselect_b32 s0, s7, s1
	s_xor_b32 s0, s0, s2
	s_sub_i32 s10, s0, s2
	s_load_dwordx2 s[0:1], s[4:5], 0x50
	s_abs_i32 s2, s10
	v_cvt_f32_u32_e32 v1, s2
	s_sub_i32 s3, 0, s2
	v_rcp_iflag_f32_e32 v1, v1
	v_mul_f32_e32 v1, 0x4f7ffffe, v1
	v_cvt_u32_f32_e32 v1, v1
	v_readfirstlane_b32 s7, v1
	s_mul_i32 s3, s3, s7
	s_mul_hi_u32 s11, s7, s3
	s_abs_i32 s3, s6
	s_add_i32 s7, s7, s11
	s_waitcnt lgkmcnt(0)
	s_cmp_eq_u64 s[0:1], 0
	s_mul_hi_u32 s12, s3, s7
	s_cbranch_scc1 .LBB350_3
; %bb.2:
	s_ashr_i32 s7, s6, 31
	s_lshl_b64 s[14:15], s[6:7], 2
	s_add_u32 s0, s0, s14
	s_addc_u32 s1, s1, s15
	s_load_dword s43, s[0:1], 0x0
.LBB350_3:
	s_load_dwordx4 s[16:19], s[4:5], 0x58
	v_lshrrev_b32_e32 v27, 1, v0
	v_and_b32_e32 v28, 1, v0
	v_lshlrev_b32_e32 v31, 3, v0
	s_ashr_i32 s0, s6, 31
	s_ashr_i32 s1, s10, 31
	s_lshl_b32 s10, s6, 6
	s_mov_b32 s7, exec_lo
	v_cmpx_gt_u32_e32 16, v0
	s_cbranch_execz .LBB350_5
; %bb.4:
	s_load_dwordx2 s[14:15], s[4:5], 0x18
	s_waitcnt lgkmcnt(0)
	s_mul_i32 s20, s16, s30
	v_lshlrev_b32_e32 v3, 3, v27
	s_ashr_i32 s21, s20, 31
	s_lshl_b64 s[20:21], s[20:21], 1
	v_lshl_add_u32 v3, v28, 6, v3
	s_add_u32 s13, s14, s20
	s_addc_u32 s16, s15, s21
	s_ashr_i32 s11, s10, 31
	s_lshl_b64 s[14:15], s[10:11], 1
	s_add_u32 s14, s13, s14
	s_addc_u32 s15, s16, s15
	global_load_dwordx2 v[1:2], v31, s[14:15]
	s_waitcnt vmcnt(0)
	ds_write_b64 v3, v[1:2]
.LBB350_5:
	s_or_b32 exec_lo, exec_lo, s7
	s_load_dwordx4 s[20:23], s[4:5], 0x78
	s_mul_i32 s7, s12, s2
	s_xor_b32 s0, s0, s1
	s_sub_i32 s1, s3, s7
	s_add_i32 s3, s12, 1
	s_sub_i32 s7, s1, s2
	s_cmp_ge_u32 s1, s2
                                        ; implicit-def: $sgpr19
	s_cselect_b32 s3, s3, s12
	s_cselect_b32 s1, s7, s1
	s_add_i32 s7, s3, 1
	s_cmp_ge_u32 s1, s2
	s_mov_b32 s12, -1
	s_cselect_b32 s1, s7, s3
	s_load_dword s3, s[4:5], 0x88
	s_xor_b32 s1, s1, s0
	s_add_i32 s7, s31, -1
	s_sub_i32 s1, s1, s0
	s_abs_i32 s2, s7
	s_waitcnt lgkmcnt(0)
	s_abs_i32 s11, s23
	s_barrier
	v_cvt_f32_u32_e32 v1, s11
	s_sub_i32 s0, 0, s11
	buffer_gl0_inv
	v_rcp_iflag_f32_e32 v1, v1
	v_mul_f32_e32 v1, 0x4f7ffffe, v1
	v_cvt_u32_f32_e32 v1, v1
	v_readfirstlane_b32 s16, v1
	s_mul_i32 s0, s0, s16
	s_mul_hi_u32 s0, s16, s0
	s_add_i32 s16, s16, s0
	s_cmp_lt_i32 s3, 0
	s_mul_hi_u32 s0, s2, s16
	s_cbranch_scc0 .LBB350_7
; %bb.6:
	s_mul_i32 s12, s20, s40
	s_add_i32 s12, s1, s12
	s_mul_i32 s12, s12, s3
	s_sub_i32 s19, 1, s12
	s_mov_b32 s12, 0
.LBB350_7:
	s_load_dwordx2 s[34:35], s[4:5], 0x38
	s_ashr_i32 s33, s7, 31
	s_andn2_b32 vcc_lo, exec_lo, s12
	s_ashr_i32 s23, s23, 31
	s_cbranch_vccnz .LBB350_9
; %bb.8:
	s_mul_i32 s7, s9, s20
	s_add_i32 s7, s7, s6
	s_mul_i32 s3, s7, s3
	s_add_i32 s19, s3, 1
.LBB350_9:
	s_clause 0x5
	s_load_dword s3, s[4:5], 0x48
	s_load_dwordx2 s[38:39], s[4:5], 0x28
	s_load_dwordx4 s[24:27], s[4:5], 0x0
	s_load_dwordx2 s[28:29], s[4:5], 0x10
	s_load_dword s7, s[4:5], 0x98
	s_load_dwordx4 s[12:15], s[4:5], 0x68
	s_mul_i32 s20, s0, s11
	s_xor_b32 s40, s33, s23
	s_sub_i32 s2, s2, s20
	s_add_i32 s33, s0, 1
	v_lshrrev_b32_e32 v29, 5, v0
	v_mov_b32_e32 v34, 0xff7fffff
	v_mbcnt_lo_u32_b32 v32, -1, 0
	s_mul_i32 s18, s1, s18
	v_lshl_add_u32 v30, v29, 4, s42
	s_waitcnt lgkmcnt(0)
	s_mul_i32 s36, s3, s30
	s_sub_i32 s3, s2, s11
	s_ashr_i32 s37, s36, 31
	s_cmp_ge_u32 s2, s11
	s_cselect_b32 s0, s33, s0
	s_cselect_b32 s2, s3, s2
	s_add_i32 s3, s0, 1
	s_cmp_ge_u32 s2, s11
	s_cselect_b32 s0, s3, s0
	s_add_i32 s2, s31, 15
	s_lshl_b32 s44, s8, 5
	s_ashr_i32 s3, s2, 31
	v_or_b32_e32 v17, s44, v29
	s_lshr_b32 s3, s3, 28
	s_add_i32 s2, s2, s3
	s_add_i32 s3, s44, 32
	s_ashr_i32 s33, s2, 4
	s_xor_b32 s2, s0, s40
	s_min_i32 s20, s3, s33
	v_ashrrev_i32_e32 v18, 31, v17
	v_cmp_gt_i32_e64 s0, s20, v17
	s_sub_i32 s40, s2, s40
	s_and_saveexec_b32 s45, s0
	s_cbranch_execz .LBB350_277
; %bb.10:
	s_load_dwordx2 s[2:3], s[4:5], 0x20
	s_sub_i32 s4, s40, s21
	s_ashr_i32 s1, s18, 31
	v_bfe_u32 v33, v0, 1, 4
	v_lshlrev_b32_e32 v3, 2, v28
	v_mov_b32_e32 v20, 0
	v_lshlrev_b32_e32 v35, 6, v28
	v_lshl_add_u32 v36, v29, 4, s42
	v_lshlrev_b32_e32 v5, 2, v33
	v_subrev_nc_u32_e32 v6, s31, v33
	v_lshlrev_b32_e32 v7, 4, v33
	v_mov_b32_e32 v37, 0x80
	v_mov_b32_e32 v38, 0xffff
	v_lshl_or_b32 v5, v29, 6, v5
	v_add_nc_u32_e32 v42, 1, v6
	v_mov_b32_e32 v39, 0xff
	v_mov_b32_e32 v40, 7
	;; [unrolled: 1-line block ×3, first 2 shown]
	v_add_nc_u32_e32 v43, 0xa0, v5
	v_mov_b32_e32 v34, 0xff7fffff
	s_waitcnt lgkmcnt(0)
	s_add_u32 s46, s2, s18
	s_addc_u32 s47, s3, s1
	s_abs_i32 s5, s22
	v_add_co_u32 v6, s46, s46, v7
	v_cvt_f32_u32_e32 v1, s5
	s_sub_i32 s2, 0, s5
	v_add_co_ci_u32_e64 v7, null, s47, 0, s46
	v_cmp_neq_f32_e64 s1, s43, 0
	v_rcp_iflag_f32_e32 v4, v1
	v_lshlrev_b64 v[1:2], 2, v[17:18]
	v_mov_b32_e32 v45, v17
	s_mov_b32 s46, 0
	s_mov_b32 s47, s17
	v_cmp_eq_u32_e32 vcc_lo, 0, v28
	v_mul_f32_e32 v4, 0x4f7ffffe, v4
	v_cvt_u32_f32_e32 v4, v4
	v_mul_lo_u32 v5, s2, v4
	s_lshl_b64 s[2:3], s[36:37], 2
	s_add_u32 s2, s34, s2
	s_addc_u32 s3, s35, s3
	v_add_co_u32 v21, s2, s2, v1
	v_add_co_ci_u32_e64 v22, null, s3, v2, s2
	v_mul_hi_u32 v5, v4, v5
	v_add_co_u32 v23, s2, v6, v3
	v_add_co_ci_u32_e64 v24, null, 0, v7, s2
	v_add_nc_u32_e32 v44, v4, v5
	s_branch .LBB350_13
.LBB350_11:                             ;   in Loop: Header=BB350_13 Depth=1
	s_or_b32 exec_lo, exec_lo, s48
.LBB350_12:                             ;   in Loop: Header=BB350_13 Depth=1
	s_or_b32 exec_lo, exec_lo, s3
	v_add_nc_u32_e32 v45, 4, v45
	v_add_co_u32 v21, s3, v21, 16
	v_add_co_ci_u32_e64 v22, null, 0, v22, s3
	v_cmp_le_i32_e64 s2, s20, v45
	v_add_nc_u32_e32 v36, 64, v36
	v_add_nc_u32_e32 v43, 0x100, v43
	s_or_b32 s46, s2, s46
	s_andn2_b32 exec_lo, exec_lo, s46
	s_cbranch_execz .LBB350_276
.LBB350_13:                             ; =>This Inner Loop Header: Depth=1
	v_sub_nc_u32_e32 v1, 0, v36
	v_max_i32_e32 v1, v36, v1
	s_waitcnt lgkmcnt(0)
	v_mul_hi_u32 v2, v1, s16
	v_mul_lo_u32 v3, v2, s11
	v_sub_nc_u32_e32 v1, v1, v3
	v_add_nc_u32_e32 v3, 1, v2
	v_subrev_nc_u32_e32 v4, s11, v1
	v_cmp_le_u32_e64 s2, s11, v1
	v_cndmask_b32_e64 v2, v2, v3, s2
	v_cndmask_b32_e64 v1, v1, v4, s2
	v_ashrrev_i32_e32 v3, 31, v36
	v_add_nc_u32_e32 v4, 1, v2
	v_cmp_le_u32_e64 s2, s11, v1
	v_xor_b32_e32 v3, s23, v3
	v_cndmask_b32_e64 v1, v2, v4, s2
	v_xor_b32_e32 v1, v1, v3
	v_sub_nc_u32_e32 v1, v1, v3
	v_add_nc_u32_e32 v2, s19, v1
	v_cmp_ge_i32_e64 s3, s4, v1
	v_sub_nc_u32_e32 v3, 0, v2
	v_max_i32_e32 v3, v2, v3
	v_ashrrev_i32_e32 v2, 31, v2
	v_mul_hi_u32 v4, v3, v44
	v_mul_lo_u32 v4, v4, s5
	v_sub_nc_u32_e32 v3, v3, v4
	v_subrev_nc_u32_e32 v4, s5, v3
	v_cmp_le_u32_e64 s2, s5, v3
	v_cndmask_b32_e64 v3, v3, v4, s2
	v_subrev_nc_u32_e32 v4, s5, v3
	v_cmp_le_u32_e64 s2, s5, v3
	v_cndmask_b32_e64 v3, v3, v4, s2
	v_xor_b32_e32 v3, v3, v2
	v_sub_nc_u32_e32 v2, v3, v2
	v_cmp_ne_u32_e64 s2, 0, v2
	s_and_b32 s2, s2, s3
	s_and_saveexec_b32 s3, s2
	s_xor_b32 s2, exec_lo, s3
	s_cbranch_execz .LBB350_17
; %bb.14:                               ;   in Loop: Header=BB350_13 Depth=1
	s_and_saveexec_b32 s3, vcc_lo
; %bb.15:                               ;   in Loop: Header=BB350_13 Depth=1
	v_mov_b32_e32 v1, 0xff7fffff
	ds_write_b32 v43, v1
; %bb.16:                               ;   in Loop: Header=BB350_13 Depth=1
	s_or_b32 exec_lo, exec_lo, s3
.LBB350_17:                             ;   in Loop: Header=BB350_13 Depth=1
	s_andn2_saveexec_b32 s3, s2
	s_cbranch_execz .LBB350_12
; %bb.18:                               ;   in Loop: Header=BB350_13 Depth=1
	global_load_dword v1, v[21:22], off
	v_mov_b32_e32 v47, 0
	v_mov_b32_e32 v46, 0
	s_waitcnt vmcnt(0)
	v_mad_i64_i32 v[25:26], null, v1, s47, v[23:24]
	global_load_dword v50, v[25:26], off
	ds_read_b128 v[13:16], v35
	ds_read_b128 v[9:12], v35 offset:16
	ds_read_b128 v[5:8], v35 offset:32
	;; [unrolled: 1-line block ×3, first 2 shown]
	s_load_dword s48, s[12:13], 0x0
	s_waitcnt vmcnt(0)
	v_cmp_ne_u16_sdwa s2, v50, v20 src0_sel:BYTE_0 src1_sel:DWORD
	s_and_saveexec_b32 s49, s2
	s_cbranch_execz .LBB350_26
; %bb.19:                               ;   in Loop: Header=BB350_13 Depth=1
	v_cmp_ne_u16_sdwa s2, v50, v37 src0_sel:BYTE_0 src1_sel:DWORD
	v_bfrev_b32_e32 v46, 1
	s_and_saveexec_b32 s50, s2
	s_cbranch_execz .LBB350_25
; %bb.20:                               ;   in Loop: Header=BB350_13 Depth=1
	v_and_b32_e32 v48, 0x7f, v50
	v_mov_b32_e32 v46, 0x7f800001
	s_mov_b32 s51, exec_lo
	v_cmpx_ne_u32_e32 0x7f, v48
	s_cbranch_execz .LBB350_24
; %bb.21:                               ;   in Loop: Header=BB350_13 Depth=1
	v_and_b32_e32 v19, 7, v50
	v_lshrrev_b32_e32 v46, 3, v48
	s_mov_b32 s52, exec_lo
	v_cmpx_gt_u32_e32 8, v48
; %bb.22:                               ;   in Loop: Header=BB350_13 Depth=1
	v_ffbh_u32_e32 v46, v19
	v_min_u32_e32 v46, 32, v46
	v_subrev_nc_u32_e32 v48, 28, v46
	v_sub_nc_u32_e32 v46, 29, v46
	v_lshlrev_b64 v[48:49], v48, v[19:20]
	v_and_b32_e32 v19, 7, v48
; %bb.23:                               ;   in Loop: Header=BB350_13 Depth=1
	s_or_b32 exec_lo, exec_lo, s52
	v_lshlrev_b32_e32 v48, 24, v50
	v_lshlrev_b32_e32 v19, 20, v19
	v_lshl_add_u32 v46, v46, 23, 0x3c000000
	v_and_b32_e32 v48, 0x80000000, v48
	v_or3_b32 v46, v19, v48, v46
.LBB350_24:                             ;   in Loop: Header=BB350_13 Depth=1
	s_or_b32 exec_lo, exec_lo, s51
.LBB350_25:                             ;   in Loop: Header=BB350_13 Depth=1
	s_or_b32 exec_lo, exec_lo, s50
.LBB350_26:                             ;   in Loop: Header=BB350_13 Depth=1
	s_or_b32 exec_lo, exec_lo, s49
	v_cmp_ne_u16_sdwa s2, v50, v20 src0_sel:BYTE_1 src1_sel:DWORD
	s_and_saveexec_b32 s49, s2
	s_cbranch_execz .LBB350_34
; %bb.27:                               ;   in Loop: Header=BB350_13 Depth=1
	v_cmp_ne_u16_sdwa s2, v50, v37 src0_sel:BYTE_1 src1_sel:DWORD
	v_bfrev_b32_e32 v47, 1
	s_and_saveexec_b32 s50, s2
	s_cbranch_execz .LBB350_33
; %bb.28:                               ;   in Loop: Header=BB350_13 Depth=1
	v_and_b32_sdwa v19, v38, v50 dst_sel:DWORD dst_unused:UNUSED_PAD src0_sel:DWORD src1_sel:BYTE_1
	v_mov_b32_e32 v47, 0x7f800001
	s_mov_b32 s51, exec_lo
	v_and_b32_e32 v48, 0x7f, v19
	v_cmpx_ne_u32_e32 0x7f, v48
	s_cbranch_execz .LBB350_32
; %bb.29:                               ;   in Loop: Header=BB350_13 Depth=1
	v_and_b32_e32 v19, 7, v19
	v_lshrrev_b32_e32 v47, 3, v48
	s_mov_b32 s52, exec_lo
	v_cmpx_gt_u32_e32 8, v48
; %bb.30:                               ;   in Loop: Header=BB350_13 Depth=1
	v_ffbh_u32_e32 v47, v19
	v_min_u32_e32 v47, 32, v47
	v_subrev_nc_u32_e32 v48, 28, v47
	v_sub_nc_u32_e32 v47, 29, v47
	v_lshlrev_b64 v[48:49], v48, v[19:20]
	v_and_b32_e32 v19, 7, v48
; %bb.31:                               ;   in Loop: Header=BB350_13 Depth=1
	s_or_b32 exec_lo, exec_lo, s52
	v_lshlrev_b32_e32 v48, 16, v50
	v_lshlrev_b32_e32 v19, 20, v19
	v_lshl_add_u32 v47, v47, 23, 0x3c000000
	v_and_b32_e32 v48, 0x80000000, v48
	v_or3_b32 v47, v19, v48, v47
.LBB350_32:                             ;   in Loop: Header=BB350_13 Depth=1
	s_or_b32 exec_lo, exec_lo, s51
.LBB350_33:                             ;   in Loop: Header=BB350_13 Depth=1
	s_or_b32 exec_lo, exec_lo, s50
.LBB350_34:                             ;   in Loop: Header=BB350_13 Depth=1
	s_or_b32 exec_lo, exec_lo, s49
	v_and_b32_sdwa v19, v50, v39 dst_sel:DWORD dst_unused:UNUSED_PAD src0_sel:WORD_1 src1_sel:DWORD
	v_mov_b32_e32 v48, 0
	v_mov_b32_e32 v49, 0
	s_mov_b32 s49, exec_lo
	v_cmpx_ne_u16_e32 0, v19
	s_cbranch_execz .LBB350_42
; %bb.35:                               ;   in Loop: Header=BB350_13 Depth=1
	v_bfrev_b32_e32 v49, 1
	s_mov_b32 s50, exec_lo
	v_cmpx_ne_u16_e32 0x80, v19
	s_cbranch_execz .LBB350_41
; %bb.36:                               ;   in Loop: Header=BB350_13 Depth=1
	v_bfe_u32 v51, v50, 16, 7
	v_mov_b32_e32 v49, 0x7f800001
	s_mov_b32 s51, exec_lo
	v_cmpx_ne_u32_e32 0x7f, v51
	s_cbranch_execz .LBB350_40
; %bb.37:                               ;   in Loop: Header=BB350_13 Depth=1
	v_and_b32_sdwa v19, v50, v40 dst_sel:DWORD dst_unused:UNUSED_PAD src0_sel:WORD_1 src1_sel:DWORD
	v_lshrrev_b32_e32 v49, 3, v51
	s_mov_b32 s52, exec_lo
	v_cmpx_gt_u32_e32 8, v51
; %bb.38:                               ;   in Loop: Header=BB350_13 Depth=1
	v_ffbh_u32_e32 v49, v19
	v_min_u32_e32 v49, 32, v49
	v_subrev_nc_u32_e32 v51, 28, v49
	v_sub_nc_u32_e32 v49, 29, v49
	v_lshlrev_b64 v[51:52], v51, v[19:20]
	v_and_b32_e32 v19, 7, v51
; %bb.39:                               ;   in Loop: Header=BB350_13 Depth=1
	s_or_b32 exec_lo, exec_lo, s52
	v_lshlrev_b32_sdwa v51, v41, v50 dst_sel:DWORD dst_unused:UNUSED_PAD src0_sel:DWORD src1_sel:WORD_1
	v_lshlrev_b32_e32 v19, 20, v19
	v_lshl_add_u32 v49, v49, 23, 0x3c000000
	v_and_b32_e32 v51, 0x80000000, v51
	v_or3_b32 v49, v19, v51, v49
.LBB350_40:                             ;   in Loop: Header=BB350_13 Depth=1
	s_or_b32 exec_lo, exec_lo, s51
.LBB350_41:                             ;   in Loop: Header=BB350_13 Depth=1
	s_or_b32 exec_lo, exec_lo, s50
.LBB350_42:                             ;   in Loop: Header=BB350_13 Depth=1
	s_or_b32 exec_lo, exec_lo, s49
	s_mov_b32 s49, exec_lo
	v_cmpx_lt_u32_e32 0xffffff, v50
	s_cbranch_execz .LBB350_50
; %bb.43:                               ;   in Loop: Header=BB350_13 Depth=1
	v_cmp_ne_u32_sdwa s2, v50, v37 src0_sel:BYTE_3 src1_sel:DWORD
	v_bfrev_b32_e32 v48, 1
	s_and_saveexec_b32 s50, s2
	s_cbranch_execz .LBB350_49
; %bb.44:                               ;   in Loop: Header=BB350_13 Depth=1
	v_bfe_u32 v51, v50, 24, 7
	v_mov_b32_e32 v48, 0x7f800001
	s_mov_b32 s51, exec_lo
	v_cmpx_ne_u32_e32 0x7f, v51
	s_cbranch_execz .LBB350_48
; %bb.45:                               ;   in Loop: Header=BB350_13 Depth=1
	v_and_b32_sdwa v19, v50, v40 dst_sel:DWORD dst_unused:UNUSED_PAD src0_sel:BYTE_3 src1_sel:DWORD
	v_lshrrev_b32_e32 v48, 3, v51
	s_mov_b32 s52, exec_lo
	v_cmpx_gt_u32_e32 8, v51
; %bb.46:                               ;   in Loop: Header=BB350_13 Depth=1
	v_ffbh_u32_e32 v48, v19
	v_min_u32_e32 v48, 32, v48
	v_subrev_nc_u32_e32 v51, 28, v48
	v_sub_nc_u32_e32 v48, 29, v48
	v_lshlrev_b64 v[51:52], v51, v[19:20]
	v_and_b32_e32 v19, 7, v51
; %bb.47:                               ;   in Loop: Header=BB350_13 Depth=1
	s_or_b32 exec_lo, exec_lo, s52
	v_lshlrev_b32_sdwa v50, v41, v50 dst_sel:DWORD dst_unused:UNUSED_PAD src0_sel:DWORD src1_sel:BYTE_3
	v_lshlrev_b32_e32 v19, 20, v19
	v_lshl_add_u32 v48, v48, 23, 0x3c000000
	v_and_b32_e32 v50, 0x80000000, v50
	v_or3_b32 v48, v19, v50, v48
.LBB350_48:                             ;   in Loop: Header=BB350_13 Depth=1
	s_or_b32 exec_lo, exec_lo, s51
.LBB350_49:                             ;   in Loop: Header=BB350_13 Depth=1
	s_or_b32 exec_lo, exec_lo, s50
.LBB350_50:                             ;   in Loop: Header=BB350_13 Depth=1
	s_or_b32 exec_lo, exec_lo, s49
	global_load_dword v54, v[25:26], off offset:8
	v_mov_b32_e32 v51, 0
	v_mov_b32_e32 v50, 0
	s_waitcnt vmcnt(0)
	v_cmp_ne_u16_sdwa s2, v54, v20 src0_sel:BYTE_0 src1_sel:DWORD
	s_and_saveexec_b32 s49, s2
	s_cbranch_execz .LBB350_58
; %bb.51:                               ;   in Loop: Header=BB350_13 Depth=1
	v_cmp_ne_u16_sdwa s2, v54, v37 src0_sel:BYTE_0 src1_sel:DWORD
	v_bfrev_b32_e32 v50, 1
	s_and_saveexec_b32 s50, s2
	s_cbranch_execz .LBB350_57
; %bb.52:                               ;   in Loop: Header=BB350_13 Depth=1
	v_and_b32_e32 v52, 0x7f, v54
	v_mov_b32_e32 v50, 0x7f800001
	s_mov_b32 s51, exec_lo
	v_cmpx_ne_u32_e32 0x7f, v52
	s_cbranch_execz .LBB350_56
; %bb.53:                               ;   in Loop: Header=BB350_13 Depth=1
	v_and_b32_e32 v19, 7, v54
	v_lshrrev_b32_e32 v50, 3, v52
	s_mov_b32 s52, exec_lo
	v_cmpx_gt_u32_e32 8, v52
; %bb.54:                               ;   in Loop: Header=BB350_13 Depth=1
	v_ffbh_u32_e32 v50, v19
	v_min_u32_e32 v50, 32, v50
	v_subrev_nc_u32_e32 v52, 28, v50
	v_sub_nc_u32_e32 v50, 29, v50
	v_lshlrev_b64 v[52:53], v52, v[19:20]
	v_and_b32_e32 v19, 7, v52
; %bb.55:                               ;   in Loop: Header=BB350_13 Depth=1
	s_or_b32 exec_lo, exec_lo, s52
	v_lshlrev_b32_e32 v52, 24, v54
	v_lshlrev_b32_e32 v19, 20, v19
	v_lshl_add_u32 v50, v50, 23, 0x3c000000
	v_and_b32_e32 v52, 0x80000000, v52
	v_or3_b32 v50, v19, v52, v50
.LBB350_56:                             ;   in Loop: Header=BB350_13 Depth=1
	s_or_b32 exec_lo, exec_lo, s51
.LBB350_57:                             ;   in Loop: Header=BB350_13 Depth=1
	s_or_b32 exec_lo, exec_lo, s50
.LBB350_58:                             ;   in Loop: Header=BB350_13 Depth=1
	s_or_b32 exec_lo, exec_lo, s49
	v_cmp_ne_u16_sdwa s2, v54, v20 src0_sel:BYTE_1 src1_sel:DWORD
	s_and_saveexec_b32 s49, s2
	s_cbranch_execz .LBB350_66
; %bb.59:                               ;   in Loop: Header=BB350_13 Depth=1
	v_cmp_ne_u16_sdwa s2, v54, v37 src0_sel:BYTE_1 src1_sel:DWORD
	v_bfrev_b32_e32 v51, 1
	s_and_saveexec_b32 s50, s2
	s_cbranch_execz .LBB350_65
; %bb.60:                               ;   in Loop: Header=BB350_13 Depth=1
	v_and_b32_sdwa v19, v38, v54 dst_sel:DWORD dst_unused:UNUSED_PAD src0_sel:DWORD src1_sel:BYTE_1
	v_mov_b32_e32 v51, 0x7f800001
	s_mov_b32 s51, exec_lo
	v_and_b32_e32 v52, 0x7f, v19
	v_cmpx_ne_u32_e32 0x7f, v52
	s_cbranch_execz .LBB350_64
; %bb.61:                               ;   in Loop: Header=BB350_13 Depth=1
	v_and_b32_e32 v19, 7, v19
	v_lshrrev_b32_e32 v51, 3, v52
	s_mov_b32 s52, exec_lo
	v_cmpx_gt_u32_e32 8, v52
; %bb.62:                               ;   in Loop: Header=BB350_13 Depth=1
	v_ffbh_u32_e32 v51, v19
	v_min_u32_e32 v51, 32, v51
	v_subrev_nc_u32_e32 v52, 28, v51
	v_sub_nc_u32_e32 v51, 29, v51
	v_lshlrev_b64 v[52:53], v52, v[19:20]
	v_and_b32_e32 v19, 7, v52
; %bb.63:                               ;   in Loop: Header=BB350_13 Depth=1
	s_or_b32 exec_lo, exec_lo, s52
	v_lshlrev_b32_e32 v52, 16, v54
	v_lshlrev_b32_e32 v19, 20, v19
	v_lshl_add_u32 v51, v51, 23, 0x3c000000
	v_and_b32_e32 v52, 0x80000000, v52
	v_or3_b32 v51, v19, v52, v51
.LBB350_64:                             ;   in Loop: Header=BB350_13 Depth=1
	s_or_b32 exec_lo, exec_lo, s51
.LBB350_65:                             ;   in Loop: Header=BB350_13 Depth=1
	s_or_b32 exec_lo, exec_lo, s50
.LBB350_66:                             ;   in Loop: Header=BB350_13 Depth=1
	s_or_b32 exec_lo, exec_lo, s49
	v_and_b32_sdwa v19, v54, v39 dst_sel:DWORD dst_unused:UNUSED_PAD src0_sel:WORD_1 src1_sel:DWORD
	v_mov_b32_e32 v52, 0
	v_mov_b32_e32 v53, 0
	s_mov_b32 s49, exec_lo
	v_cmpx_ne_u16_e32 0, v19
	s_cbranch_execz .LBB350_74
; %bb.67:                               ;   in Loop: Header=BB350_13 Depth=1
	v_bfrev_b32_e32 v53, 1
	s_mov_b32 s50, exec_lo
	v_cmpx_ne_u16_e32 0x80, v19
	s_cbranch_execz .LBB350_73
; %bb.68:                               ;   in Loop: Header=BB350_13 Depth=1
	v_bfe_u32 v55, v54, 16, 7
	v_mov_b32_e32 v53, 0x7f800001
	s_mov_b32 s51, exec_lo
	v_cmpx_ne_u32_e32 0x7f, v55
	s_cbranch_execz .LBB350_72
; %bb.69:                               ;   in Loop: Header=BB350_13 Depth=1
	v_and_b32_sdwa v19, v54, v40 dst_sel:DWORD dst_unused:UNUSED_PAD src0_sel:WORD_1 src1_sel:DWORD
	v_lshrrev_b32_e32 v53, 3, v55
	s_mov_b32 s52, exec_lo
	v_cmpx_gt_u32_e32 8, v55
; %bb.70:                               ;   in Loop: Header=BB350_13 Depth=1
	v_ffbh_u32_e32 v53, v19
	v_min_u32_e32 v53, 32, v53
	v_subrev_nc_u32_e32 v55, 28, v53
	v_sub_nc_u32_e32 v53, 29, v53
	v_lshlrev_b64 v[55:56], v55, v[19:20]
	v_and_b32_e32 v19, 7, v55
; %bb.71:                               ;   in Loop: Header=BB350_13 Depth=1
	s_or_b32 exec_lo, exec_lo, s52
	v_lshlrev_b32_sdwa v55, v41, v54 dst_sel:DWORD dst_unused:UNUSED_PAD src0_sel:DWORD src1_sel:WORD_1
	v_lshlrev_b32_e32 v19, 20, v19
	v_lshl_add_u32 v53, v53, 23, 0x3c000000
	v_and_b32_e32 v55, 0x80000000, v55
	v_or3_b32 v53, v19, v55, v53
.LBB350_72:                             ;   in Loop: Header=BB350_13 Depth=1
	s_or_b32 exec_lo, exec_lo, s51
.LBB350_73:                             ;   in Loop: Header=BB350_13 Depth=1
	s_or_b32 exec_lo, exec_lo, s50
.LBB350_74:                             ;   in Loop: Header=BB350_13 Depth=1
	s_or_b32 exec_lo, exec_lo, s49
	s_mov_b32 s49, exec_lo
	v_cmpx_lt_u32_e32 0xffffff, v54
	s_cbranch_execz .LBB350_82
; %bb.75:                               ;   in Loop: Header=BB350_13 Depth=1
	v_cmp_ne_u32_sdwa s2, v54, v37 src0_sel:BYTE_3 src1_sel:DWORD
	v_bfrev_b32_e32 v52, 1
	s_and_saveexec_b32 s50, s2
	s_cbranch_execz .LBB350_81
; %bb.76:                               ;   in Loop: Header=BB350_13 Depth=1
	v_bfe_u32 v55, v54, 24, 7
	v_mov_b32_e32 v52, 0x7f800001
	s_mov_b32 s51, exec_lo
	v_cmpx_ne_u32_e32 0x7f, v55
	s_cbranch_execz .LBB350_80
; %bb.77:                               ;   in Loop: Header=BB350_13 Depth=1
	v_and_b32_sdwa v19, v54, v40 dst_sel:DWORD dst_unused:UNUSED_PAD src0_sel:BYTE_3 src1_sel:DWORD
	v_lshrrev_b32_e32 v52, 3, v55
	s_mov_b32 s52, exec_lo
	v_cmpx_gt_u32_e32 8, v55
; %bb.78:                               ;   in Loop: Header=BB350_13 Depth=1
	v_ffbh_u32_e32 v52, v19
	v_min_u32_e32 v52, 32, v52
	v_subrev_nc_u32_e32 v55, 28, v52
	v_sub_nc_u32_e32 v52, 29, v52
	v_lshlrev_b64 v[55:56], v55, v[19:20]
	v_and_b32_e32 v19, 7, v55
; %bb.79:                               ;   in Loop: Header=BB350_13 Depth=1
	s_or_b32 exec_lo, exec_lo, s52
	v_lshlrev_b32_sdwa v54, v41, v54 dst_sel:DWORD dst_unused:UNUSED_PAD src0_sel:DWORD src1_sel:BYTE_3
	v_lshlrev_b32_e32 v19, 20, v19
	v_lshl_add_u32 v52, v52, 23, 0x3c000000
	v_and_b32_e32 v54, 0x80000000, v54
	v_or3_b32 v52, v19, v54, v52
.LBB350_80:                             ;   in Loop: Header=BB350_13 Depth=1
	s_or_b32 exec_lo, exec_lo, s51
.LBB350_81:                             ;   in Loop: Header=BB350_13 Depth=1
	s_or_b32 exec_lo, exec_lo, s50
.LBB350_82:                             ;   in Loop: Header=BB350_13 Depth=1
	s_or_b32 exec_lo, exec_lo, s49
	global_load_dword v58, v[25:26], off offset:256
	v_mov_b32_e32 v55, 0
	v_mov_b32_e32 v54, 0
	s_waitcnt vmcnt(0)
	v_cmp_ne_u16_sdwa s2, v58, v20 src0_sel:BYTE_0 src1_sel:DWORD
	s_and_saveexec_b32 s49, s2
	s_cbranch_execz .LBB350_90
; %bb.83:                               ;   in Loop: Header=BB350_13 Depth=1
	v_cmp_ne_u16_sdwa s2, v58, v37 src0_sel:BYTE_0 src1_sel:DWORD
	v_bfrev_b32_e32 v54, 1
	s_and_saveexec_b32 s50, s2
	s_cbranch_execz .LBB350_89
; %bb.84:                               ;   in Loop: Header=BB350_13 Depth=1
	v_and_b32_e32 v56, 0x7f, v58
	v_mov_b32_e32 v54, 0x7f800001
	s_mov_b32 s51, exec_lo
	v_cmpx_ne_u32_e32 0x7f, v56
	s_cbranch_execz .LBB350_88
; %bb.85:                               ;   in Loop: Header=BB350_13 Depth=1
	v_and_b32_e32 v19, 7, v58
	v_lshrrev_b32_e32 v54, 3, v56
	s_mov_b32 s52, exec_lo
	v_cmpx_gt_u32_e32 8, v56
; %bb.86:                               ;   in Loop: Header=BB350_13 Depth=1
	v_ffbh_u32_e32 v54, v19
	v_min_u32_e32 v54, 32, v54
	v_subrev_nc_u32_e32 v56, 28, v54
	v_sub_nc_u32_e32 v54, 29, v54
	v_lshlrev_b64 v[56:57], v56, v[19:20]
	v_and_b32_e32 v19, 7, v56
; %bb.87:                               ;   in Loop: Header=BB350_13 Depth=1
	s_or_b32 exec_lo, exec_lo, s52
	v_lshlrev_b32_e32 v56, 24, v58
	v_lshlrev_b32_e32 v19, 20, v19
	v_lshl_add_u32 v54, v54, 23, 0x3c000000
	v_and_b32_e32 v56, 0x80000000, v56
	v_or3_b32 v54, v19, v56, v54
.LBB350_88:                             ;   in Loop: Header=BB350_13 Depth=1
	s_or_b32 exec_lo, exec_lo, s51
.LBB350_89:                             ;   in Loop: Header=BB350_13 Depth=1
	s_or_b32 exec_lo, exec_lo, s50
.LBB350_90:                             ;   in Loop: Header=BB350_13 Depth=1
	s_or_b32 exec_lo, exec_lo, s49
	v_cmp_ne_u16_sdwa s2, v58, v20 src0_sel:BYTE_1 src1_sel:DWORD
	s_and_saveexec_b32 s49, s2
	s_cbranch_execz .LBB350_98
; %bb.91:                               ;   in Loop: Header=BB350_13 Depth=1
	v_cmp_ne_u16_sdwa s2, v58, v37 src0_sel:BYTE_1 src1_sel:DWORD
	v_bfrev_b32_e32 v55, 1
	s_and_saveexec_b32 s50, s2
	s_cbranch_execz .LBB350_97
; %bb.92:                               ;   in Loop: Header=BB350_13 Depth=1
	v_and_b32_sdwa v19, v38, v58 dst_sel:DWORD dst_unused:UNUSED_PAD src0_sel:DWORD src1_sel:BYTE_1
	v_mov_b32_e32 v55, 0x7f800001
	s_mov_b32 s51, exec_lo
	v_and_b32_e32 v56, 0x7f, v19
	v_cmpx_ne_u32_e32 0x7f, v56
	s_cbranch_execz .LBB350_96
; %bb.93:                               ;   in Loop: Header=BB350_13 Depth=1
	v_and_b32_e32 v19, 7, v19
	v_lshrrev_b32_e32 v55, 3, v56
	s_mov_b32 s52, exec_lo
	v_cmpx_gt_u32_e32 8, v56
; %bb.94:                               ;   in Loop: Header=BB350_13 Depth=1
	v_ffbh_u32_e32 v55, v19
	v_min_u32_e32 v55, 32, v55
	v_subrev_nc_u32_e32 v56, 28, v55
	v_sub_nc_u32_e32 v55, 29, v55
	v_lshlrev_b64 v[56:57], v56, v[19:20]
	v_and_b32_e32 v19, 7, v56
; %bb.95:                               ;   in Loop: Header=BB350_13 Depth=1
	s_or_b32 exec_lo, exec_lo, s52
	v_lshlrev_b32_e32 v56, 16, v58
	v_lshlrev_b32_e32 v19, 20, v19
	v_lshl_add_u32 v55, v55, 23, 0x3c000000
	v_and_b32_e32 v56, 0x80000000, v56
	v_or3_b32 v55, v19, v56, v55
.LBB350_96:                             ;   in Loop: Header=BB350_13 Depth=1
	s_or_b32 exec_lo, exec_lo, s51
.LBB350_97:                             ;   in Loop: Header=BB350_13 Depth=1
	s_or_b32 exec_lo, exec_lo, s50
.LBB350_98:                             ;   in Loop: Header=BB350_13 Depth=1
	s_or_b32 exec_lo, exec_lo, s49
	v_and_b32_sdwa v19, v58, v39 dst_sel:DWORD dst_unused:UNUSED_PAD src0_sel:WORD_1 src1_sel:DWORD
	v_mov_b32_e32 v56, 0
	v_mov_b32_e32 v57, 0
	s_mov_b32 s49, exec_lo
	v_cmpx_ne_u16_e32 0, v19
	s_cbranch_execz .LBB350_106
; %bb.99:                               ;   in Loop: Header=BB350_13 Depth=1
	v_bfrev_b32_e32 v57, 1
	s_mov_b32 s50, exec_lo
	v_cmpx_ne_u16_e32 0x80, v19
	s_cbranch_execz .LBB350_105
; %bb.100:                              ;   in Loop: Header=BB350_13 Depth=1
	v_bfe_u32 v59, v58, 16, 7
	v_mov_b32_e32 v57, 0x7f800001
	s_mov_b32 s51, exec_lo
	v_cmpx_ne_u32_e32 0x7f, v59
	s_cbranch_execz .LBB350_104
; %bb.101:                              ;   in Loop: Header=BB350_13 Depth=1
	v_and_b32_sdwa v19, v58, v40 dst_sel:DWORD dst_unused:UNUSED_PAD src0_sel:WORD_1 src1_sel:DWORD
	v_lshrrev_b32_e32 v57, 3, v59
	s_mov_b32 s52, exec_lo
	v_cmpx_gt_u32_e32 8, v59
; %bb.102:                              ;   in Loop: Header=BB350_13 Depth=1
	v_ffbh_u32_e32 v57, v19
	v_min_u32_e32 v57, 32, v57
	v_subrev_nc_u32_e32 v59, 28, v57
	v_sub_nc_u32_e32 v57, 29, v57
	v_lshlrev_b64 v[59:60], v59, v[19:20]
	v_and_b32_e32 v19, 7, v59
; %bb.103:                              ;   in Loop: Header=BB350_13 Depth=1
	s_or_b32 exec_lo, exec_lo, s52
	v_lshlrev_b32_sdwa v59, v41, v58 dst_sel:DWORD dst_unused:UNUSED_PAD src0_sel:DWORD src1_sel:WORD_1
	v_lshlrev_b32_e32 v19, 20, v19
	v_lshl_add_u32 v57, v57, 23, 0x3c000000
	v_and_b32_e32 v59, 0x80000000, v59
	v_or3_b32 v57, v19, v59, v57
.LBB350_104:                            ;   in Loop: Header=BB350_13 Depth=1
	s_or_b32 exec_lo, exec_lo, s51
.LBB350_105:                            ;   in Loop: Header=BB350_13 Depth=1
	s_or_b32 exec_lo, exec_lo, s50
.LBB350_106:                            ;   in Loop: Header=BB350_13 Depth=1
	s_or_b32 exec_lo, exec_lo, s49
	s_mov_b32 s49, exec_lo
	v_cmpx_lt_u32_e32 0xffffff, v58
	s_cbranch_execz .LBB350_114
; %bb.107:                              ;   in Loop: Header=BB350_13 Depth=1
	v_cmp_ne_u32_sdwa s2, v58, v37 src0_sel:BYTE_3 src1_sel:DWORD
	v_bfrev_b32_e32 v56, 1
	s_and_saveexec_b32 s50, s2
	s_cbranch_execz .LBB350_113
; %bb.108:                              ;   in Loop: Header=BB350_13 Depth=1
	v_bfe_u32 v59, v58, 24, 7
	v_mov_b32_e32 v56, 0x7f800001
	s_mov_b32 s51, exec_lo
	v_cmpx_ne_u32_e32 0x7f, v59
	s_cbranch_execz .LBB350_112
; %bb.109:                              ;   in Loop: Header=BB350_13 Depth=1
	v_and_b32_sdwa v19, v58, v40 dst_sel:DWORD dst_unused:UNUSED_PAD src0_sel:BYTE_3 src1_sel:DWORD
	v_lshrrev_b32_e32 v56, 3, v59
	s_mov_b32 s52, exec_lo
	v_cmpx_gt_u32_e32 8, v59
; %bb.110:                              ;   in Loop: Header=BB350_13 Depth=1
	v_ffbh_u32_e32 v56, v19
	v_min_u32_e32 v56, 32, v56
	v_subrev_nc_u32_e32 v59, 28, v56
	v_sub_nc_u32_e32 v56, 29, v56
	v_lshlrev_b64 v[59:60], v59, v[19:20]
	v_and_b32_e32 v19, 7, v59
; %bb.111:                              ;   in Loop: Header=BB350_13 Depth=1
	s_or_b32 exec_lo, exec_lo, s52
	v_lshlrev_b32_sdwa v58, v41, v58 dst_sel:DWORD dst_unused:UNUSED_PAD src0_sel:DWORD src1_sel:BYTE_3
	v_lshlrev_b32_e32 v19, 20, v19
	v_lshl_add_u32 v56, v56, 23, 0x3c000000
	v_and_b32_e32 v58, 0x80000000, v58
	v_or3_b32 v56, v19, v58, v56
.LBB350_112:                            ;   in Loop: Header=BB350_13 Depth=1
	s_or_b32 exec_lo, exec_lo, s51
.LBB350_113:                            ;   in Loop: Header=BB350_13 Depth=1
	s_or_b32 exec_lo, exec_lo, s50
.LBB350_114:                            ;   in Loop: Header=BB350_13 Depth=1
	s_or_b32 exec_lo, exec_lo, s49
	global_load_dword v62, v[25:26], off offset:264
	v_mov_b32_e32 v59, 0
	v_mov_b32_e32 v58, 0
	s_waitcnt vmcnt(0)
	v_cmp_ne_u16_sdwa s2, v62, v20 src0_sel:BYTE_0 src1_sel:DWORD
	s_and_saveexec_b32 s49, s2
	s_cbranch_execz .LBB350_122
; %bb.115:                              ;   in Loop: Header=BB350_13 Depth=1
	v_cmp_ne_u16_sdwa s2, v62, v37 src0_sel:BYTE_0 src1_sel:DWORD
	v_bfrev_b32_e32 v58, 1
	s_and_saveexec_b32 s50, s2
	s_cbranch_execz .LBB350_121
; %bb.116:                              ;   in Loop: Header=BB350_13 Depth=1
	v_and_b32_e32 v60, 0x7f, v62
	v_mov_b32_e32 v58, 0x7f800001
	s_mov_b32 s51, exec_lo
	v_cmpx_ne_u32_e32 0x7f, v60
	s_cbranch_execz .LBB350_120
; %bb.117:                              ;   in Loop: Header=BB350_13 Depth=1
	v_and_b32_e32 v19, 7, v62
	v_lshrrev_b32_e32 v58, 3, v60
	s_mov_b32 s52, exec_lo
	v_cmpx_gt_u32_e32 8, v60
; %bb.118:                              ;   in Loop: Header=BB350_13 Depth=1
	v_ffbh_u32_e32 v58, v19
	v_min_u32_e32 v58, 32, v58
	v_subrev_nc_u32_e32 v60, 28, v58
	v_sub_nc_u32_e32 v58, 29, v58
	v_lshlrev_b64 v[60:61], v60, v[19:20]
	v_and_b32_e32 v19, 7, v60
; %bb.119:                              ;   in Loop: Header=BB350_13 Depth=1
	s_or_b32 exec_lo, exec_lo, s52
	v_lshlrev_b32_e32 v60, 24, v62
	v_lshlrev_b32_e32 v19, 20, v19
	v_lshl_add_u32 v58, v58, 23, 0x3c000000
	v_and_b32_e32 v60, 0x80000000, v60
	v_or3_b32 v58, v19, v60, v58
.LBB350_120:                            ;   in Loop: Header=BB350_13 Depth=1
	s_or_b32 exec_lo, exec_lo, s51
.LBB350_121:                            ;   in Loop: Header=BB350_13 Depth=1
	s_or_b32 exec_lo, exec_lo, s50
.LBB350_122:                            ;   in Loop: Header=BB350_13 Depth=1
	s_or_b32 exec_lo, exec_lo, s49
	v_cmp_ne_u16_sdwa s2, v62, v20 src0_sel:BYTE_1 src1_sel:DWORD
	s_and_saveexec_b32 s49, s2
	s_cbranch_execz .LBB350_130
; %bb.123:                              ;   in Loop: Header=BB350_13 Depth=1
	v_cmp_ne_u16_sdwa s2, v62, v37 src0_sel:BYTE_1 src1_sel:DWORD
	v_bfrev_b32_e32 v59, 1
	s_and_saveexec_b32 s50, s2
	s_cbranch_execz .LBB350_129
; %bb.124:                              ;   in Loop: Header=BB350_13 Depth=1
	v_and_b32_sdwa v19, v38, v62 dst_sel:DWORD dst_unused:UNUSED_PAD src0_sel:DWORD src1_sel:BYTE_1
	v_mov_b32_e32 v59, 0x7f800001
	s_mov_b32 s51, exec_lo
	v_and_b32_e32 v60, 0x7f, v19
	v_cmpx_ne_u32_e32 0x7f, v60
	s_cbranch_execz .LBB350_128
; %bb.125:                              ;   in Loop: Header=BB350_13 Depth=1
	v_and_b32_e32 v19, 7, v19
	v_lshrrev_b32_e32 v59, 3, v60
	s_mov_b32 s52, exec_lo
	v_cmpx_gt_u32_e32 8, v60
; %bb.126:                              ;   in Loop: Header=BB350_13 Depth=1
	v_ffbh_u32_e32 v59, v19
	v_min_u32_e32 v59, 32, v59
	v_subrev_nc_u32_e32 v60, 28, v59
	v_sub_nc_u32_e32 v59, 29, v59
	v_lshlrev_b64 v[60:61], v60, v[19:20]
	v_and_b32_e32 v19, 7, v60
; %bb.127:                              ;   in Loop: Header=BB350_13 Depth=1
	s_or_b32 exec_lo, exec_lo, s52
	v_lshlrev_b32_e32 v60, 16, v62
	v_lshlrev_b32_e32 v19, 20, v19
	v_lshl_add_u32 v59, v59, 23, 0x3c000000
	v_and_b32_e32 v60, 0x80000000, v60
	v_or3_b32 v59, v19, v60, v59
.LBB350_128:                            ;   in Loop: Header=BB350_13 Depth=1
	s_or_b32 exec_lo, exec_lo, s51
.LBB350_129:                            ;   in Loop: Header=BB350_13 Depth=1
	s_or_b32 exec_lo, exec_lo, s50
.LBB350_130:                            ;   in Loop: Header=BB350_13 Depth=1
	s_or_b32 exec_lo, exec_lo, s49
	v_and_b32_sdwa v19, v62, v39 dst_sel:DWORD dst_unused:UNUSED_PAD src0_sel:WORD_1 src1_sel:DWORD
	v_mov_b32_e32 v60, 0
	v_mov_b32_e32 v61, 0
	s_mov_b32 s49, exec_lo
	v_cmpx_ne_u16_e32 0, v19
	s_cbranch_execz .LBB350_138
; %bb.131:                              ;   in Loop: Header=BB350_13 Depth=1
	v_bfrev_b32_e32 v61, 1
	s_mov_b32 s50, exec_lo
	v_cmpx_ne_u16_e32 0x80, v19
	s_cbranch_execz .LBB350_137
; %bb.132:                              ;   in Loop: Header=BB350_13 Depth=1
	v_bfe_u32 v63, v62, 16, 7
	v_mov_b32_e32 v61, 0x7f800001
	s_mov_b32 s51, exec_lo
	v_cmpx_ne_u32_e32 0x7f, v63
	s_cbranch_execz .LBB350_136
; %bb.133:                              ;   in Loop: Header=BB350_13 Depth=1
	v_and_b32_sdwa v19, v62, v40 dst_sel:DWORD dst_unused:UNUSED_PAD src0_sel:WORD_1 src1_sel:DWORD
	v_lshrrev_b32_e32 v61, 3, v63
	s_mov_b32 s52, exec_lo
	v_cmpx_gt_u32_e32 8, v63
; %bb.134:                              ;   in Loop: Header=BB350_13 Depth=1
	v_ffbh_u32_e32 v61, v19
	v_min_u32_e32 v61, 32, v61
	v_subrev_nc_u32_e32 v63, 28, v61
	v_sub_nc_u32_e32 v61, 29, v61
	v_lshlrev_b64 v[63:64], v63, v[19:20]
	v_and_b32_e32 v19, 7, v63
; %bb.135:                              ;   in Loop: Header=BB350_13 Depth=1
	s_or_b32 exec_lo, exec_lo, s52
	v_lshlrev_b32_sdwa v63, v41, v62 dst_sel:DWORD dst_unused:UNUSED_PAD src0_sel:DWORD src1_sel:WORD_1
	v_lshlrev_b32_e32 v19, 20, v19
	v_lshl_add_u32 v61, v61, 23, 0x3c000000
	v_and_b32_e32 v63, 0x80000000, v63
	v_or3_b32 v61, v19, v63, v61
.LBB350_136:                            ;   in Loop: Header=BB350_13 Depth=1
	s_or_b32 exec_lo, exec_lo, s51
.LBB350_137:                            ;   in Loop: Header=BB350_13 Depth=1
	s_or_b32 exec_lo, exec_lo, s50
.LBB350_138:                            ;   in Loop: Header=BB350_13 Depth=1
	s_or_b32 exec_lo, exec_lo, s49
	s_mov_b32 s49, exec_lo
	v_cmpx_lt_u32_e32 0xffffff, v62
	s_cbranch_execz .LBB350_146
; %bb.139:                              ;   in Loop: Header=BB350_13 Depth=1
	v_cmp_ne_u32_sdwa s2, v62, v37 src0_sel:BYTE_3 src1_sel:DWORD
	v_bfrev_b32_e32 v60, 1
	s_and_saveexec_b32 s50, s2
	s_cbranch_execz .LBB350_145
; %bb.140:                              ;   in Loop: Header=BB350_13 Depth=1
	v_bfe_u32 v63, v62, 24, 7
	v_mov_b32_e32 v60, 0x7f800001
	s_mov_b32 s51, exec_lo
	v_cmpx_ne_u32_e32 0x7f, v63
	s_cbranch_execz .LBB350_144
; %bb.141:                              ;   in Loop: Header=BB350_13 Depth=1
	v_and_b32_sdwa v19, v62, v40 dst_sel:DWORD dst_unused:UNUSED_PAD src0_sel:BYTE_3 src1_sel:DWORD
	v_lshrrev_b32_e32 v60, 3, v63
	s_mov_b32 s52, exec_lo
	v_cmpx_gt_u32_e32 8, v63
; %bb.142:                              ;   in Loop: Header=BB350_13 Depth=1
	v_ffbh_u32_e32 v60, v19
	v_min_u32_e32 v60, 32, v60
	v_subrev_nc_u32_e32 v63, 28, v60
	v_sub_nc_u32_e32 v60, 29, v60
	v_lshlrev_b64 v[63:64], v63, v[19:20]
	v_and_b32_e32 v19, 7, v63
; %bb.143:                              ;   in Loop: Header=BB350_13 Depth=1
	s_or_b32 exec_lo, exec_lo, s52
	v_lshlrev_b32_sdwa v62, v41, v62 dst_sel:DWORD dst_unused:UNUSED_PAD src0_sel:DWORD src1_sel:BYTE_3
	v_lshlrev_b32_e32 v19, 20, v19
	v_lshl_add_u32 v60, v60, 23, 0x3c000000
	v_and_b32_e32 v62, 0x80000000, v62
	v_or3_b32 v60, v19, v62, v60
.LBB350_144:                            ;   in Loop: Header=BB350_13 Depth=1
	s_or_b32 exec_lo, exec_lo, s51
.LBB350_145:                            ;   in Loop: Header=BB350_13 Depth=1
	s_or_b32 exec_lo, exec_lo, s50
.LBB350_146:                            ;   in Loop: Header=BB350_13 Depth=1
	s_or_b32 exec_lo, exec_lo, s49
	global_load_dword v66, v[25:26], off offset:512
	v_mov_b32_e32 v63, 0
	v_mov_b32_e32 v62, 0
	s_waitcnt vmcnt(0)
	v_cmp_ne_u16_sdwa s2, v66, v20 src0_sel:BYTE_0 src1_sel:DWORD
	s_and_saveexec_b32 s49, s2
	s_cbranch_execz .LBB350_154
; %bb.147:                              ;   in Loop: Header=BB350_13 Depth=1
	v_cmp_ne_u16_sdwa s2, v66, v37 src0_sel:BYTE_0 src1_sel:DWORD
	v_bfrev_b32_e32 v62, 1
	s_and_saveexec_b32 s50, s2
	s_cbranch_execz .LBB350_153
; %bb.148:                              ;   in Loop: Header=BB350_13 Depth=1
	v_and_b32_e32 v64, 0x7f, v66
	v_mov_b32_e32 v62, 0x7f800001
	s_mov_b32 s51, exec_lo
	v_cmpx_ne_u32_e32 0x7f, v64
	s_cbranch_execz .LBB350_152
; %bb.149:                              ;   in Loop: Header=BB350_13 Depth=1
	v_and_b32_e32 v19, 7, v66
	v_lshrrev_b32_e32 v62, 3, v64
	s_mov_b32 s52, exec_lo
	v_cmpx_gt_u32_e32 8, v64
; %bb.150:                              ;   in Loop: Header=BB350_13 Depth=1
	v_ffbh_u32_e32 v62, v19
	v_min_u32_e32 v62, 32, v62
	v_subrev_nc_u32_e32 v64, 28, v62
	v_sub_nc_u32_e32 v62, 29, v62
	v_lshlrev_b64 v[64:65], v64, v[19:20]
	v_and_b32_e32 v19, 7, v64
; %bb.151:                              ;   in Loop: Header=BB350_13 Depth=1
	s_or_b32 exec_lo, exec_lo, s52
	v_lshlrev_b32_e32 v64, 24, v66
	v_lshlrev_b32_e32 v19, 20, v19
	v_lshl_add_u32 v62, v62, 23, 0x3c000000
	v_and_b32_e32 v64, 0x80000000, v64
	v_or3_b32 v62, v19, v64, v62
.LBB350_152:                            ;   in Loop: Header=BB350_13 Depth=1
	s_or_b32 exec_lo, exec_lo, s51
.LBB350_153:                            ;   in Loop: Header=BB350_13 Depth=1
	s_or_b32 exec_lo, exec_lo, s50
.LBB350_154:                            ;   in Loop: Header=BB350_13 Depth=1
	s_or_b32 exec_lo, exec_lo, s49
	v_cmp_ne_u16_sdwa s2, v66, v20 src0_sel:BYTE_1 src1_sel:DWORD
	s_and_saveexec_b32 s49, s2
	s_cbranch_execz .LBB350_162
; %bb.155:                              ;   in Loop: Header=BB350_13 Depth=1
	v_cmp_ne_u16_sdwa s2, v66, v37 src0_sel:BYTE_1 src1_sel:DWORD
	v_bfrev_b32_e32 v63, 1
	s_and_saveexec_b32 s50, s2
	s_cbranch_execz .LBB350_161
; %bb.156:                              ;   in Loop: Header=BB350_13 Depth=1
	v_and_b32_sdwa v19, v38, v66 dst_sel:DWORD dst_unused:UNUSED_PAD src0_sel:DWORD src1_sel:BYTE_1
	v_mov_b32_e32 v63, 0x7f800001
	s_mov_b32 s51, exec_lo
	v_and_b32_e32 v64, 0x7f, v19
	v_cmpx_ne_u32_e32 0x7f, v64
	s_cbranch_execz .LBB350_160
; %bb.157:                              ;   in Loop: Header=BB350_13 Depth=1
	v_and_b32_e32 v19, 7, v19
	v_lshrrev_b32_e32 v63, 3, v64
	s_mov_b32 s52, exec_lo
	v_cmpx_gt_u32_e32 8, v64
; %bb.158:                              ;   in Loop: Header=BB350_13 Depth=1
	v_ffbh_u32_e32 v63, v19
	v_min_u32_e32 v63, 32, v63
	v_subrev_nc_u32_e32 v64, 28, v63
	v_sub_nc_u32_e32 v63, 29, v63
	v_lshlrev_b64 v[64:65], v64, v[19:20]
	v_and_b32_e32 v19, 7, v64
; %bb.159:                              ;   in Loop: Header=BB350_13 Depth=1
	s_or_b32 exec_lo, exec_lo, s52
	v_lshlrev_b32_e32 v64, 16, v66
	v_lshlrev_b32_e32 v19, 20, v19
	v_lshl_add_u32 v63, v63, 23, 0x3c000000
	v_and_b32_e32 v64, 0x80000000, v64
	v_or3_b32 v63, v19, v64, v63
.LBB350_160:                            ;   in Loop: Header=BB350_13 Depth=1
	s_or_b32 exec_lo, exec_lo, s51
.LBB350_161:                            ;   in Loop: Header=BB350_13 Depth=1
	s_or_b32 exec_lo, exec_lo, s50
.LBB350_162:                            ;   in Loop: Header=BB350_13 Depth=1
	s_or_b32 exec_lo, exec_lo, s49
	v_and_b32_sdwa v19, v66, v39 dst_sel:DWORD dst_unused:UNUSED_PAD src0_sel:WORD_1 src1_sel:DWORD
	v_mov_b32_e32 v64, 0
	v_mov_b32_e32 v65, 0
	s_mov_b32 s49, exec_lo
	v_cmpx_ne_u16_e32 0, v19
	s_cbranch_execz .LBB350_170
; %bb.163:                              ;   in Loop: Header=BB350_13 Depth=1
	v_bfrev_b32_e32 v65, 1
	s_mov_b32 s50, exec_lo
	v_cmpx_ne_u16_e32 0x80, v19
	s_cbranch_execz .LBB350_169
; %bb.164:                              ;   in Loop: Header=BB350_13 Depth=1
	v_bfe_u32 v67, v66, 16, 7
	v_mov_b32_e32 v65, 0x7f800001
	s_mov_b32 s51, exec_lo
	v_cmpx_ne_u32_e32 0x7f, v67
	s_cbranch_execz .LBB350_168
; %bb.165:                              ;   in Loop: Header=BB350_13 Depth=1
	v_and_b32_sdwa v19, v66, v40 dst_sel:DWORD dst_unused:UNUSED_PAD src0_sel:WORD_1 src1_sel:DWORD
	v_lshrrev_b32_e32 v65, 3, v67
	s_mov_b32 s52, exec_lo
	v_cmpx_gt_u32_e32 8, v67
; %bb.166:                              ;   in Loop: Header=BB350_13 Depth=1
	v_ffbh_u32_e32 v65, v19
	v_min_u32_e32 v65, 32, v65
	v_subrev_nc_u32_e32 v67, 28, v65
	v_sub_nc_u32_e32 v65, 29, v65
	v_lshlrev_b64 v[67:68], v67, v[19:20]
	v_and_b32_e32 v19, 7, v67
; %bb.167:                              ;   in Loop: Header=BB350_13 Depth=1
	s_or_b32 exec_lo, exec_lo, s52
	v_lshlrev_b32_sdwa v67, v41, v66 dst_sel:DWORD dst_unused:UNUSED_PAD src0_sel:DWORD src1_sel:WORD_1
	v_lshlrev_b32_e32 v19, 20, v19
	v_lshl_add_u32 v65, v65, 23, 0x3c000000
	v_and_b32_e32 v67, 0x80000000, v67
	v_or3_b32 v65, v19, v67, v65
.LBB350_168:                            ;   in Loop: Header=BB350_13 Depth=1
	s_or_b32 exec_lo, exec_lo, s51
.LBB350_169:                            ;   in Loop: Header=BB350_13 Depth=1
	s_or_b32 exec_lo, exec_lo, s50
.LBB350_170:                            ;   in Loop: Header=BB350_13 Depth=1
	s_or_b32 exec_lo, exec_lo, s49
	s_mov_b32 s49, exec_lo
	v_cmpx_lt_u32_e32 0xffffff, v66
	s_cbranch_execz .LBB350_178
; %bb.171:                              ;   in Loop: Header=BB350_13 Depth=1
	v_cmp_ne_u32_sdwa s2, v66, v37 src0_sel:BYTE_3 src1_sel:DWORD
	v_bfrev_b32_e32 v64, 1
	s_and_saveexec_b32 s50, s2
	s_cbranch_execz .LBB350_177
; %bb.172:                              ;   in Loop: Header=BB350_13 Depth=1
	v_bfe_u32 v67, v66, 24, 7
	v_mov_b32_e32 v64, 0x7f800001
	s_mov_b32 s51, exec_lo
	v_cmpx_ne_u32_e32 0x7f, v67
	s_cbranch_execz .LBB350_176
; %bb.173:                              ;   in Loop: Header=BB350_13 Depth=1
	v_and_b32_sdwa v19, v66, v40 dst_sel:DWORD dst_unused:UNUSED_PAD src0_sel:BYTE_3 src1_sel:DWORD
	v_lshrrev_b32_e32 v64, 3, v67
	s_mov_b32 s52, exec_lo
	v_cmpx_gt_u32_e32 8, v67
; %bb.174:                              ;   in Loop: Header=BB350_13 Depth=1
	v_ffbh_u32_e32 v64, v19
	v_min_u32_e32 v64, 32, v64
	v_subrev_nc_u32_e32 v67, 28, v64
	v_sub_nc_u32_e32 v64, 29, v64
	v_lshlrev_b64 v[67:68], v67, v[19:20]
	v_and_b32_e32 v19, 7, v67
; %bb.175:                              ;   in Loop: Header=BB350_13 Depth=1
	s_or_b32 exec_lo, exec_lo, s52
	v_lshlrev_b32_sdwa v66, v41, v66 dst_sel:DWORD dst_unused:UNUSED_PAD src0_sel:DWORD src1_sel:BYTE_3
	v_lshlrev_b32_e32 v19, 20, v19
	v_lshl_add_u32 v64, v64, 23, 0x3c000000
	v_and_b32_e32 v66, 0x80000000, v66
	v_or3_b32 v64, v19, v66, v64
.LBB350_176:                            ;   in Loop: Header=BB350_13 Depth=1
	s_or_b32 exec_lo, exec_lo, s51
.LBB350_177:                            ;   in Loop: Header=BB350_13 Depth=1
	s_or_b32 exec_lo, exec_lo, s50
.LBB350_178:                            ;   in Loop: Header=BB350_13 Depth=1
	s_or_b32 exec_lo, exec_lo, s49
	global_load_dword v70, v[25:26], off offset:520
	v_mov_b32_e32 v67, 0
	v_mov_b32_e32 v66, 0
	s_waitcnt vmcnt(0)
	v_cmp_ne_u16_sdwa s2, v70, v20 src0_sel:BYTE_0 src1_sel:DWORD
	s_and_saveexec_b32 s49, s2
	s_cbranch_execz .LBB350_186
; %bb.179:                              ;   in Loop: Header=BB350_13 Depth=1
	v_cmp_ne_u16_sdwa s2, v70, v37 src0_sel:BYTE_0 src1_sel:DWORD
	v_bfrev_b32_e32 v66, 1
	s_and_saveexec_b32 s50, s2
	s_cbranch_execz .LBB350_185
; %bb.180:                              ;   in Loop: Header=BB350_13 Depth=1
	v_and_b32_e32 v68, 0x7f, v70
	v_mov_b32_e32 v66, 0x7f800001
	s_mov_b32 s51, exec_lo
	v_cmpx_ne_u32_e32 0x7f, v68
	s_cbranch_execz .LBB350_184
; %bb.181:                              ;   in Loop: Header=BB350_13 Depth=1
	v_and_b32_e32 v19, 7, v70
	v_lshrrev_b32_e32 v66, 3, v68
	s_mov_b32 s52, exec_lo
	v_cmpx_gt_u32_e32 8, v68
; %bb.182:                              ;   in Loop: Header=BB350_13 Depth=1
	v_ffbh_u32_e32 v66, v19
	v_min_u32_e32 v66, 32, v66
	v_subrev_nc_u32_e32 v68, 28, v66
	v_sub_nc_u32_e32 v66, 29, v66
	v_lshlrev_b64 v[68:69], v68, v[19:20]
	v_and_b32_e32 v19, 7, v68
; %bb.183:                              ;   in Loop: Header=BB350_13 Depth=1
	s_or_b32 exec_lo, exec_lo, s52
	v_lshlrev_b32_e32 v68, 24, v70
	v_lshlrev_b32_e32 v19, 20, v19
	v_lshl_add_u32 v66, v66, 23, 0x3c000000
	v_and_b32_e32 v68, 0x80000000, v68
	v_or3_b32 v66, v19, v68, v66
.LBB350_184:                            ;   in Loop: Header=BB350_13 Depth=1
	s_or_b32 exec_lo, exec_lo, s51
.LBB350_185:                            ;   in Loop: Header=BB350_13 Depth=1
	s_or_b32 exec_lo, exec_lo, s50
.LBB350_186:                            ;   in Loop: Header=BB350_13 Depth=1
	s_or_b32 exec_lo, exec_lo, s49
	v_cmp_ne_u16_sdwa s2, v70, v20 src0_sel:BYTE_1 src1_sel:DWORD
	s_and_saveexec_b32 s49, s2
	s_cbranch_execz .LBB350_194
; %bb.187:                              ;   in Loop: Header=BB350_13 Depth=1
	v_cmp_ne_u16_sdwa s2, v70, v37 src0_sel:BYTE_1 src1_sel:DWORD
	v_bfrev_b32_e32 v67, 1
	s_and_saveexec_b32 s50, s2
	s_cbranch_execz .LBB350_193
; %bb.188:                              ;   in Loop: Header=BB350_13 Depth=1
	v_and_b32_sdwa v19, v38, v70 dst_sel:DWORD dst_unused:UNUSED_PAD src0_sel:DWORD src1_sel:BYTE_1
	v_mov_b32_e32 v67, 0x7f800001
	s_mov_b32 s51, exec_lo
	v_and_b32_e32 v68, 0x7f, v19
	v_cmpx_ne_u32_e32 0x7f, v68
	s_cbranch_execz .LBB350_192
; %bb.189:                              ;   in Loop: Header=BB350_13 Depth=1
	v_and_b32_e32 v19, 7, v19
	v_lshrrev_b32_e32 v67, 3, v68
	s_mov_b32 s52, exec_lo
	v_cmpx_gt_u32_e32 8, v68
; %bb.190:                              ;   in Loop: Header=BB350_13 Depth=1
	v_ffbh_u32_e32 v67, v19
	v_min_u32_e32 v67, 32, v67
	v_subrev_nc_u32_e32 v68, 28, v67
	v_sub_nc_u32_e32 v67, 29, v67
	v_lshlrev_b64 v[68:69], v68, v[19:20]
	v_and_b32_e32 v19, 7, v68
; %bb.191:                              ;   in Loop: Header=BB350_13 Depth=1
	s_or_b32 exec_lo, exec_lo, s52
	v_lshlrev_b32_e32 v68, 16, v70
	v_lshlrev_b32_e32 v19, 20, v19
	v_lshl_add_u32 v67, v67, 23, 0x3c000000
	v_and_b32_e32 v68, 0x80000000, v68
	v_or3_b32 v67, v19, v68, v67
.LBB350_192:                            ;   in Loop: Header=BB350_13 Depth=1
	s_or_b32 exec_lo, exec_lo, s51
.LBB350_193:                            ;   in Loop: Header=BB350_13 Depth=1
	s_or_b32 exec_lo, exec_lo, s50
.LBB350_194:                            ;   in Loop: Header=BB350_13 Depth=1
	s_or_b32 exec_lo, exec_lo, s49
	v_and_b32_sdwa v19, v70, v39 dst_sel:DWORD dst_unused:UNUSED_PAD src0_sel:WORD_1 src1_sel:DWORD
	v_mov_b32_e32 v68, 0
	v_mov_b32_e32 v69, 0
	s_mov_b32 s49, exec_lo
	v_cmpx_ne_u16_e32 0, v19
	s_cbranch_execz .LBB350_202
; %bb.195:                              ;   in Loop: Header=BB350_13 Depth=1
	v_bfrev_b32_e32 v69, 1
	s_mov_b32 s50, exec_lo
	v_cmpx_ne_u16_e32 0x80, v19
	s_cbranch_execz .LBB350_201
; %bb.196:                              ;   in Loop: Header=BB350_13 Depth=1
	v_bfe_u32 v71, v70, 16, 7
	v_mov_b32_e32 v69, 0x7f800001
	s_mov_b32 s51, exec_lo
	v_cmpx_ne_u32_e32 0x7f, v71
	s_cbranch_execz .LBB350_200
; %bb.197:                              ;   in Loop: Header=BB350_13 Depth=1
	v_and_b32_sdwa v19, v70, v40 dst_sel:DWORD dst_unused:UNUSED_PAD src0_sel:WORD_1 src1_sel:DWORD
	v_lshrrev_b32_e32 v69, 3, v71
	s_mov_b32 s52, exec_lo
	v_cmpx_gt_u32_e32 8, v71
; %bb.198:                              ;   in Loop: Header=BB350_13 Depth=1
	v_ffbh_u32_e32 v69, v19
	v_min_u32_e32 v69, 32, v69
	v_subrev_nc_u32_e32 v71, 28, v69
	v_sub_nc_u32_e32 v69, 29, v69
	v_lshlrev_b64 v[71:72], v71, v[19:20]
	v_and_b32_e32 v19, 7, v71
; %bb.199:                              ;   in Loop: Header=BB350_13 Depth=1
	s_or_b32 exec_lo, exec_lo, s52
	v_lshlrev_b32_sdwa v71, v41, v70 dst_sel:DWORD dst_unused:UNUSED_PAD src0_sel:DWORD src1_sel:WORD_1
	v_lshlrev_b32_e32 v19, 20, v19
	v_lshl_add_u32 v69, v69, 23, 0x3c000000
	v_and_b32_e32 v71, 0x80000000, v71
	v_or3_b32 v69, v19, v71, v69
.LBB350_200:                            ;   in Loop: Header=BB350_13 Depth=1
	s_or_b32 exec_lo, exec_lo, s51
.LBB350_201:                            ;   in Loop: Header=BB350_13 Depth=1
	s_or_b32 exec_lo, exec_lo, s50
.LBB350_202:                            ;   in Loop: Header=BB350_13 Depth=1
	s_or_b32 exec_lo, exec_lo, s49
	s_mov_b32 s49, exec_lo
	v_cmpx_lt_u32_e32 0xffffff, v70
	s_cbranch_execz .LBB350_210
; %bb.203:                              ;   in Loop: Header=BB350_13 Depth=1
	v_cmp_ne_u32_sdwa s2, v70, v37 src0_sel:BYTE_3 src1_sel:DWORD
	v_bfrev_b32_e32 v68, 1
	s_and_saveexec_b32 s50, s2
	s_cbranch_execz .LBB350_209
; %bb.204:                              ;   in Loop: Header=BB350_13 Depth=1
	v_bfe_u32 v71, v70, 24, 7
	v_mov_b32_e32 v68, 0x7f800001
	s_mov_b32 s51, exec_lo
	v_cmpx_ne_u32_e32 0x7f, v71
	s_cbranch_execz .LBB350_208
; %bb.205:                              ;   in Loop: Header=BB350_13 Depth=1
	v_and_b32_sdwa v19, v70, v40 dst_sel:DWORD dst_unused:UNUSED_PAD src0_sel:BYTE_3 src1_sel:DWORD
	v_lshrrev_b32_e32 v68, 3, v71
	s_mov_b32 s52, exec_lo
	v_cmpx_gt_u32_e32 8, v71
; %bb.206:                              ;   in Loop: Header=BB350_13 Depth=1
	v_ffbh_u32_e32 v68, v19
	v_min_u32_e32 v68, 32, v68
	v_subrev_nc_u32_e32 v71, 28, v68
	v_sub_nc_u32_e32 v68, 29, v68
	v_lshlrev_b64 v[71:72], v71, v[19:20]
	v_and_b32_e32 v19, 7, v71
; %bb.207:                              ;   in Loop: Header=BB350_13 Depth=1
	s_or_b32 exec_lo, exec_lo, s52
	v_lshlrev_b32_sdwa v70, v41, v70 dst_sel:DWORD dst_unused:UNUSED_PAD src0_sel:DWORD src1_sel:BYTE_3
	v_lshlrev_b32_e32 v19, 20, v19
	v_lshl_add_u32 v68, v68, 23, 0x3c000000
	v_and_b32_e32 v70, 0x80000000, v70
	v_or3_b32 v68, v19, v70, v68
.LBB350_208:                            ;   in Loop: Header=BB350_13 Depth=1
	s_or_b32 exec_lo, exec_lo, s51
.LBB350_209:                            ;   in Loop: Header=BB350_13 Depth=1
	s_or_b32 exec_lo, exec_lo, s50
.LBB350_210:                            ;   in Loop: Header=BB350_13 Depth=1
	s_or_b32 exec_lo, exec_lo, s49
	global_load_dword v73, v[25:26], off offset:768
	v_mov_b32_e32 v71, 0
	v_mov_b32_e32 v70, 0
	s_waitcnt vmcnt(0)
	v_cmp_ne_u16_sdwa s2, v73, v20 src0_sel:BYTE_0 src1_sel:DWORD
	s_and_saveexec_b32 s49, s2
	s_cbranch_execz .LBB350_218
; %bb.211:                              ;   in Loop: Header=BB350_13 Depth=1
	v_cmp_ne_u16_sdwa s2, v73, v37 src0_sel:BYTE_0 src1_sel:DWORD
	v_bfrev_b32_e32 v70, 1
	s_and_saveexec_b32 s50, s2
	s_cbranch_execz .LBB350_217
; %bb.212:                              ;   in Loop: Header=BB350_13 Depth=1
	v_and_b32_e32 v72, 0x7f, v73
	v_mov_b32_e32 v70, 0x7f800001
	s_mov_b32 s51, exec_lo
	v_cmpx_ne_u32_e32 0x7f, v72
	s_cbranch_execz .LBB350_216
; %bb.213:                              ;   in Loop: Header=BB350_13 Depth=1
	v_and_b32_e32 v19, 7, v73
	v_lshrrev_b32_e32 v70, 3, v72
	s_mov_b32 s52, exec_lo
	v_cmpx_gt_u32_e32 8, v72
; %bb.214:                              ;   in Loop: Header=BB350_13 Depth=1
	v_ffbh_u32_e32 v70, v19
	v_min_u32_e32 v70, 32, v70
	v_subrev_nc_u32_e32 v72, 28, v70
	v_sub_nc_u32_e32 v70, 29, v70
	v_lshlrev_b64 v[74:75], v72, v[19:20]
	v_and_b32_e32 v19, 7, v74
; %bb.215:                              ;   in Loop: Header=BB350_13 Depth=1
	s_or_b32 exec_lo, exec_lo, s52
	v_lshlrev_b32_e32 v72, 24, v73
	v_lshlrev_b32_e32 v19, 20, v19
	v_lshl_add_u32 v70, v70, 23, 0x3c000000
	v_and_b32_e32 v72, 0x80000000, v72
	v_or3_b32 v70, v19, v72, v70
.LBB350_216:                            ;   in Loop: Header=BB350_13 Depth=1
	s_or_b32 exec_lo, exec_lo, s51
.LBB350_217:                            ;   in Loop: Header=BB350_13 Depth=1
	s_or_b32 exec_lo, exec_lo, s50
.LBB350_218:                            ;   in Loop: Header=BB350_13 Depth=1
	s_or_b32 exec_lo, exec_lo, s49
	v_cmp_ne_u16_sdwa s2, v73, v20 src0_sel:BYTE_1 src1_sel:DWORD
	s_and_saveexec_b32 s49, s2
	s_cbranch_execz .LBB350_226
; %bb.219:                              ;   in Loop: Header=BB350_13 Depth=1
	v_cmp_ne_u16_sdwa s2, v73, v37 src0_sel:BYTE_1 src1_sel:DWORD
	v_bfrev_b32_e32 v71, 1
	s_and_saveexec_b32 s50, s2
	s_cbranch_execz .LBB350_225
; %bb.220:                              ;   in Loop: Header=BB350_13 Depth=1
	v_and_b32_sdwa v19, v38, v73 dst_sel:DWORD dst_unused:UNUSED_PAD src0_sel:DWORD src1_sel:BYTE_1
	v_mov_b32_e32 v71, 0x7f800001
	s_mov_b32 s51, exec_lo
	v_and_b32_e32 v72, 0x7f, v19
	v_cmpx_ne_u32_e32 0x7f, v72
	s_cbranch_execz .LBB350_224
; %bb.221:                              ;   in Loop: Header=BB350_13 Depth=1
	v_and_b32_e32 v19, 7, v19
	v_lshrrev_b32_e32 v71, 3, v72
	s_mov_b32 s52, exec_lo
	v_cmpx_gt_u32_e32 8, v72
; %bb.222:                              ;   in Loop: Header=BB350_13 Depth=1
	v_ffbh_u32_e32 v71, v19
	v_min_u32_e32 v71, 32, v71
	v_subrev_nc_u32_e32 v72, 28, v71
	v_sub_nc_u32_e32 v71, 29, v71
	v_lshlrev_b64 v[74:75], v72, v[19:20]
	v_and_b32_e32 v19, 7, v74
; %bb.223:                              ;   in Loop: Header=BB350_13 Depth=1
	s_or_b32 exec_lo, exec_lo, s52
	v_lshlrev_b32_e32 v72, 16, v73
	v_lshlrev_b32_e32 v19, 20, v19
	v_lshl_add_u32 v71, v71, 23, 0x3c000000
	v_and_b32_e32 v72, 0x80000000, v72
	v_or3_b32 v71, v19, v72, v71
.LBB350_224:                            ;   in Loop: Header=BB350_13 Depth=1
	s_or_b32 exec_lo, exec_lo, s51
.LBB350_225:                            ;   in Loop: Header=BB350_13 Depth=1
	s_or_b32 exec_lo, exec_lo, s50
.LBB350_226:                            ;   in Loop: Header=BB350_13 Depth=1
	s_or_b32 exec_lo, exec_lo, s49
	v_and_b32_sdwa v19, v73, v39 dst_sel:DWORD dst_unused:UNUSED_PAD src0_sel:WORD_1 src1_sel:DWORD
	v_mov_b32_e32 v72, 0
	v_mov_b32_e32 v74, 0
	s_mov_b32 s49, exec_lo
	v_cmpx_ne_u16_e32 0, v19
	s_cbranch_execz .LBB350_234
; %bb.227:                              ;   in Loop: Header=BB350_13 Depth=1
	v_bfrev_b32_e32 v74, 1
	s_mov_b32 s50, exec_lo
	v_cmpx_ne_u16_e32 0x80, v19
	s_cbranch_execz .LBB350_233
; %bb.228:                              ;   in Loop: Header=BB350_13 Depth=1
	v_bfe_u32 v75, v73, 16, 7
	v_mov_b32_e32 v74, 0x7f800001
	s_mov_b32 s51, exec_lo
	v_cmpx_ne_u32_e32 0x7f, v75
	s_cbranch_execz .LBB350_232
; %bb.229:                              ;   in Loop: Header=BB350_13 Depth=1
	v_and_b32_sdwa v19, v73, v40 dst_sel:DWORD dst_unused:UNUSED_PAD src0_sel:WORD_1 src1_sel:DWORD
	v_lshrrev_b32_e32 v74, 3, v75
	s_mov_b32 s52, exec_lo
	v_cmpx_gt_u32_e32 8, v75
; %bb.230:                              ;   in Loop: Header=BB350_13 Depth=1
	v_ffbh_u32_e32 v74, v19
	v_min_u32_e32 v74, 32, v74
	v_subrev_nc_u32_e32 v75, 28, v74
	v_sub_nc_u32_e32 v74, 29, v74
	v_lshlrev_b64 v[75:76], v75, v[19:20]
	v_and_b32_e32 v19, 7, v75
; %bb.231:                              ;   in Loop: Header=BB350_13 Depth=1
	s_or_b32 exec_lo, exec_lo, s52
	v_lshlrev_b32_sdwa v75, v41, v73 dst_sel:DWORD dst_unused:UNUSED_PAD src0_sel:DWORD src1_sel:WORD_1
	v_lshlrev_b32_e32 v19, 20, v19
	v_lshl_add_u32 v74, v74, 23, 0x3c000000
	v_and_b32_e32 v75, 0x80000000, v75
	v_or3_b32 v74, v19, v75, v74
.LBB350_232:                            ;   in Loop: Header=BB350_13 Depth=1
	s_or_b32 exec_lo, exec_lo, s51
.LBB350_233:                            ;   in Loop: Header=BB350_13 Depth=1
	s_or_b32 exec_lo, exec_lo, s50
.LBB350_234:                            ;   in Loop: Header=BB350_13 Depth=1
	s_or_b32 exec_lo, exec_lo, s49
	s_mov_b32 s49, exec_lo
	v_cmpx_lt_u32_e32 0xffffff, v73
	s_cbranch_execz .LBB350_242
; %bb.235:                              ;   in Loop: Header=BB350_13 Depth=1
	v_cmp_ne_u32_sdwa s2, v73, v37 src0_sel:BYTE_3 src1_sel:DWORD
	v_bfrev_b32_e32 v72, 1
	s_and_saveexec_b32 s50, s2
	s_cbranch_execz .LBB350_241
; %bb.236:                              ;   in Loop: Header=BB350_13 Depth=1
	v_bfe_u32 v75, v73, 24, 7
	v_mov_b32_e32 v72, 0x7f800001
	s_mov_b32 s51, exec_lo
	v_cmpx_ne_u32_e32 0x7f, v75
	s_cbranch_execz .LBB350_240
; %bb.237:                              ;   in Loop: Header=BB350_13 Depth=1
	v_and_b32_sdwa v19, v73, v40 dst_sel:DWORD dst_unused:UNUSED_PAD src0_sel:BYTE_3 src1_sel:DWORD
	v_lshrrev_b32_e32 v72, 3, v75
	s_mov_b32 s52, exec_lo
	v_cmpx_gt_u32_e32 8, v75
; %bb.238:                              ;   in Loop: Header=BB350_13 Depth=1
	v_ffbh_u32_e32 v72, v19
	v_min_u32_e32 v72, 32, v72
	v_subrev_nc_u32_e32 v75, 28, v72
	v_sub_nc_u32_e32 v72, 29, v72
	v_lshlrev_b64 v[75:76], v75, v[19:20]
	v_and_b32_e32 v19, 7, v75
; %bb.239:                              ;   in Loop: Header=BB350_13 Depth=1
	s_or_b32 exec_lo, exec_lo, s52
	v_lshlrev_b32_sdwa v73, v41, v73 dst_sel:DWORD dst_unused:UNUSED_PAD src0_sel:DWORD src1_sel:BYTE_3
	v_lshlrev_b32_e32 v19, 20, v19
	v_lshl_add_u32 v72, v72, 23, 0x3c000000
	v_and_b32_e32 v73, 0x80000000, v73
	v_or3_b32 v72, v19, v73, v72
.LBB350_240:                            ;   in Loop: Header=BB350_13 Depth=1
	s_or_b32 exec_lo, exec_lo, s51
.LBB350_241:                            ;   in Loop: Header=BB350_13 Depth=1
	s_or_b32 exec_lo, exec_lo, s50
.LBB350_242:                            ;   in Loop: Header=BB350_13 Depth=1
	s_or_b32 exec_lo, exec_lo, s49
	global_load_dword v26, v[25:26], off offset:776
	v_mov_b32_e32 v76, 0
	v_mov_b32_e32 v75, 0
	s_waitcnt vmcnt(0)
	v_cmp_ne_u16_sdwa s2, v26, v20 src0_sel:BYTE_0 src1_sel:DWORD
	s_and_saveexec_b32 s49, s2
	s_cbranch_execz .LBB350_250
; %bb.243:                              ;   in Loop: Header=BB350_13 Depth=1
	v_cmp_ne_u16_sdwa s2, v26, v37 src0_sel:BYTE_0 src1_sel:DWORD
	v_bfrev_b32_e32 v75, 1
	s_and_saveexec_b32 s50, s2
	s_cbranch_execz .LBB350_249
; %bb.244:                              ;   in Loop: Header=BB350_13 Depth=1
	v_and_b32_e32 v73, 0x7f, v26
	v_mov_b32_e32 v75, 0x7f800001
	s_mov_b32 s51, exec_lo
	v_cmpx_ne_u32_e32 0x7f, v73
	s_cbranch_execz .LBB350_248
; %bb.245:                              ;   in Loop: Header=BB350_13 Depth=1
	v_and_b32_e32 v19, 7, v26
	v_lshrrev_b32_e32 v25, 3, v73
	s_mov_b32 s52, exec_lo
	v_cmpx_gt_u32_e32 8, v73
; %bb.246:                              ;   in Loop: Header=BB350_13 Depth=1
	v_ffbh_u32_e32 v25, v19
	v_min_u32_e32 v25, 32, v25
	v_subrev_nc_u32_e32 v73, 28, v25
	v_sub_nc_u32_e32 v25, 29, v25
	v_lshlrev_b64 v[77:78], v73, v[19:20]
	v_and_b32_e32 v19, 7, v77
; %bb.247:                              ;   in Loop: Header=BB350_13 Depth=1
	s_or_b32 exec_lo, exec_lo, s52
	v_lshlrev_b32_e32 v73, 24, v26
	v_lshlrev_b32_e32 v19, 20, v19
	v_lshl_add_u32 v25, v25, 23, 0x3c000000
	v_and_b32_e32 v73, 0x80000000, v73
	v_or3_b32 v75, v19, v73, v25
.LBB350_248:                            ;   in Loop: Header=BB350_13 Depth=1
	s_or_b32 exec_lo, exec_lo, s51
.LBB350_249:                            ;   in Loop: Header=BB350_13 Depth=1
	s_or_b32 exec_lo, exec_lo, s50
.LBB350_250:                            ;   in Loop: Header=BB350_13 Depth=1
	s_or_b32 exec_lo, exec_lo, s49
	v_cmp_ne_u16_sdwa s2, v26, v20 src0_sel:BYTE_1 src1_sel:DWORD
	s_and_saveexec_b32 s49, s2
	s_cbranch_execz .LBB350_258
; %bb.251:                              ;   in Loop: Header=BB350_13 Depth=1
	v_cmp_ne_u16_sdwa s2, v26, v37 src0_sel:BYTE_1 src1_sel:DWORD
	v_bfrev_b32_e32 v76, 1
	s_and_saveexec_b32 s50, s2
	s_cbranch_execz .LBB350_257
; %bb.252:                              ;   in Loop: Header=BB350_13 Depth=1
	v_and_b32_sdwa v19, v38, v26 dst_sel:DWORD dst_unused:UNUSED_PAD src0_sel:DWORD src1_sel:BYTE_1
	v_mov_b32_e32 v76, 0x7f800001
	s_mov_b32 s51, exec_lo
	v_and_b32_e32 v73, 0x7f, v19
	v_cmpx_ne_u32_e32 0x7f, v73
	s_cbranch_execz .LBB350_256
; %bb.253:                              ;   in Loop: Header=BB350_13 Depth=1
	v_and_b32_e32 v19, 7, v19
	v_lshrrev_b32_e32 v25, 3, v73
	s_mov_b32 s52, exec_lo
	v_cmpx_gt_u32_e32 8, v73
; %bb.254:                              ;   in Loop: Header=BB350_13 Depth=1
	v_ffbh_u32_e32 v25, v19
	v_min_u32_e32 v25, 32, v25
	v_subrev_nc_u32_e32 v73, 28, v25
	v_sub_nc_u32_e32 v25, 29, v25
	v_lshlrev_b64 v[76:77], v73, v[19:20]
	v_and_b32_e32 v19, 7, v76
; %bb.255:                              ;   in Loop: Header=BB350_13 Depth=1
	s_or_b32 exec_lo, exec_lo, s52
	v_lshlrev_b32_e32 v73, 16, v26
	v_lshlrev_b32_e32 v19, 20, v19
	v_lshl_add_u32 v25, v25, 23, 0x3c000000
	v_and_b32_e32 v73, 0x80000000, v73
	v_or3_b32 v76, v19, v73, v25
.LBB350_256:                            ;   in Loop: Header=BB350_13 Depth=1
	s_or_b32 exec_lo, exec_lo, s51
.LBB350_257:                            ;   in Loop: Header=BB350_13 Depth=1
	s_or_b32 exec_lo, exec_lo, s50
.LBB350_258:                            ;   in Loop: Header=BB350_13 Depth=1
	s_or_b32 exec_lo, exec_lo, s49
	v_and_b32_sdwa v19, v26, v39 dst_sel:DWORD dst_unused:UNUSED_PAD src0_sel:WORD_1 src1_sel:DWORD
	v_mov_b32_e32 v25, 0
	v_mov_b32_e32 v73, 0
	s_mov_b32 s49, exec_lo
	v_cmpx_ne_u16_e32 0, v19
	s_cbranch_execz .LBB350_266
; %bb.259:                              ;   in Loop: Header=BB350_13 Depth=1
	v_bfrev_b32_e32 v73, 1
	s_mov_b32 s50, exec_lo
	v_cmpx_ne_u16_e32 0x80, v19
	s_cbranch_execz .LBB350_265
; %bb.260:                              ;   in Loop: Header=BB350_13 Depth=1
	v_bfe_u32 v77, v26, 16, 7
	v_mov_b32_e32 v73, 0x7f800001
	s_mov_b32 s51, exec_lo
	v_cmpx_ne_u32_e32 0x7f, v77
	s_cbranch_execz .LBB350_264
; %bb.261:                              ;   in Loop: Header=BB350_13 Depth=1
	v_and_b32_sdwa v19, v26, v40 dst_sel:DWORD dst_unused:UNUSED_PAD src0_sel:WORD_1 src1_sel:DWORD
	v_lshrrev_b32_e32 v73, 3, v77
	s_mov_b32 s52, exec_lo
	v_cmpx_gt_u32_e32 8, v77
; %bb.262:                              ;   in Loop: Header=BB350_13 Depth=1
	v_ffbh_u32_e32 v73, v19
	v_min_u32_e32 v73, 32, v73
	v_subrev_nc_u32_e32 v77, 28, v73
	v_sub_nc_u32_e32 v73, 29, v73
	v_lshlrev_b64 v[77:78], v77, v[19:20]
	v_and_b32_e32 v19, 7, v77
; %bb.263:                              ;   in Loop: Header=BB350_13 Depth=1
	s_or_b32 exec_lo, exec_lo, s52
	v_lshlrev_b32_sdwa v77, v41, v26 dst_sel:DWORD dst_unused:UNUSED_PAD src0_sel:DWORD src1_sel:WORD_1
	v_lshlrev_b32_e32 v19, 20, v19
	v_lshl_add_u32 v73, v73, 23, 0x3c000000
	v_and_b32_e32 v77, 0x80000000, v77
	v_or3_b32 v73, v19, v77, v73
.LBB350_264:                            ;   in Loop: Header=BB350_13 Depth=1
	s_or_b32 exec_lo, exec_lo, s51
.LBB350_265:                            ;   in Loop: Header=BB350_13 Depth=1
	s_or_b32 exec_lo, exec_lo, s50
.LBB350_266:                            ;   in Loop: Header=BB350_13 Depth=1
	s_or_b32 exec_lo, exec_lo, s49
	s_mov_b32 s49, exec_lo
	v_cmpx_lt_u32_e32 0xffffff, v26
	s_cbranch_execz .LBB350_274
; %bb.267:                              ;   in Loop: Header=BB350_13 Depth=1
	v_cmp_ne_u32_sdwa s2, v26, v37 src0_sel:BYTE_3 src1_sel:DWORD
	v_bfrev_b32_e32 v25, 1
	s_and_saveexec_b32 s50, s2
	s_cbranch_execz .LBB350_273
; %bb.268:                              ;   in Loop: Header=BB350_13 Depth=1
	v_bfe_u32 v77, v26, 24, 7
	v_mov_b32_e32 v25, 0x7f800001
	s_mov_b32 s51, exec_lo
	v_cmpx_ne_u32_e32 0x7f, v77
	s_cbranch_execz .LBB350_272
; %bb.269:                              ;   in Loop: Header=BB350_13 Depth=1
	v_and_b32_sdwa v19, v26, v40 dst_sel:DWORD dst_unused:UNUSED_PAD src0_sel:BYTE_3 src1_sel:DWORD
	v_lshrrev_b32_e32 v25, 3, v77
	s_mov_b32 s52, exec_lo
	v_cmpx_gt_u32_e32 8, v77
; %bb.270:                              ;   in Loop: Header=BB350_13 Depth=1
	v_ffbh_u32_e32 v25, v19
	v_min_u32_e32 v25, 32, v25
	v_subrev_nc_u32_e32 v77, 28, v25
	v_sub_nc_u32_e32 v25, 29, v25
	v_lshlrev_b64 v[77:78], v77, v[19:20]
	v_and_b32_e32 v19, 7, v77
; %bb.271:                              ;   in Loop: Header=BB350_13 Depth=1
	s_or_b32 exec_lo, exec_lo, s52
	v_lshlrev_b32_sdwa v26, v41, v26 dst_sel:DWORD dst_unused:UNUSED_PAD src0_sel:DWORD src1_sel:BYTE_3
	v_lshlrev_b32_e32 v19, 20, v19
	v_lshl_add_u32 v25, v25, 23, 0x3c000000
	v_and_b32_e32 v26, 0x80000000, v26
	v_or3_b32 v25, v19, v26, v25
.LBB350_272:                            ;   in Loop: Header=BB350_13 Depth=1
	s_or_b32 exec_lo, exec_lo, s51
.LBB350_273:                            ;   in Loop: Header=BB350_13 Depth=1
	s_or_b32 exec_lo, exec_lo, s50
.LBB350_274:                            ;   in Loop: Header=BB350_13 Depth=1
	s_or_b32 exec_lo, exec_lo, s49
	s_waitcnt lgkmcnt(0)
	v_mul_f32_e32 v19, s48, v76
	v_mul_f32_e32 v26, s48, v75
	;; [unrolled: 1-line block ×5, first 2 shown]
	v_bfe_u32 v75, v19, 16, 1
	v_bfe_u32 v76, v26, 16, 1
	v_or_b32_e32 v77, 0x400000, v19
	v_cmp_u_f32_e64 s2, v19, v19
	v_or_b32_e32 v78, 0x400000, v26
	v_add3_u32 v75, v75, v19, 0x7fff
	v_bfe_u32 v79, v74, 16, 1
	v_add3_u32 v76, v76, v26, 0x7fff
	v_bfe_u32 v80, v72, 16, 1
	v_mul_f32_e32 v58, s48, v58
	v_cndmask_b32_e64 v19, v75, v77, s2
	v_cmp_u_f32_e64 s2, v26, v26
	v_add3_u32 v75, v79, v74, 0x7fff
	v_add3_u32 v77, v80, v72, 0x7fff
	v_mul_f32_e32 v57, s48, v57
	v_mul_f32_e32 v56, s48, v56
	v_cndmask_b32_e64 v26, v76, v78, s2
	v_mul_f32_e32 v76, s48, v71
	v_or_b32_e32 v71, 0x400000, v74
	v_cmp_u_f32_e64 s2, v74, v74
	v_mul_f32_e32 v78, s48, v70
	v_or_b32_e32 v70, 0x400000, v72
	v_bfe_u32 v79, v76, 16, 1
	v_mul_f32_e32 v55, s48, v55
	v_cndmask_b32_e64 v71, v75, v71, s2
	v_cmp_u_f32_e64 s2, v72, v72
	v_bfe_u32 v74, v78, 16, 1
	v_add3_u32 v72, v79, v76, 0x7fff
	v_mul_f32_e32 v75, s48, v69
	v_or_b32_e32 v69, 0x400000, v76
	v_cndmask_b32_e64 v70, v77, v70, s2
	v_cmp_u_f32_e64 s2, v76, v76
	v_add3_u32 v74, v74, v78, 0x7fff
	v_mul_f32_e32 v77, s48, v68
	v_or_b32_e32 v79, 0x400000, v78
	v_bfe_u32 v80, v75, 16, 1
	v_cndmask_b32_e64 v68, v72, v69, s2
	v_cmp_u_f32_e64 s2, v78, v78
	v_bfe_u32 v72, v77, 16, 1
	v_mul_f32_e32 v76, s48, v67
	v_or_b32_e32 v67, 0x400000, v75
	v_mul_f32_e32 v78, s48, v66
	v_cndmask_b32_e64 v69, v74, v79, s2
	v_add3_u32 v74, v80, v75, 0x7fff
	v_cmp_u_f32_e64 s2, v75, v75
	v_add3_u32 v72, v72, v77, 0x7fff
	v_or_b32_e32 v79, 0x400000, v77
	v_bfe_u32 v80, v76, 16, 1
	v_mul_f32_e32 v75, s48, v65
	v_cndmask_b32_e64 v66, v74, v67, s2
	v_cmp_u_f32_e64 s2, v77, v77
	v_bfe_u32 v74, v78, 16, 1
	v_or_b32_e32 v65, 0x400000, v76
	v_mul_f32_e32 v77, s48, v64
	v_mul_f32_e32 v54, s48, v54
	v_cndmask_b32_e64 v67, v72, v79, s2
	v_add3_u32 v72, v80, v76, 0x7fff
	v_cmp_u_f32_e64 s2, v76, v76
	v_add3_u32 v74, v74, v78, 0x7fff
	v_or_b32_e32 v79, 0x400000, v78
	v_bfe_u32 v80, v75, 16, 1
	v_mul_f32_e32 v76, s48, v63
	v_cndmask_b32_e64 v64, v72, v65, s2
	v_cmp_u_f32_e64 s2, v78, v78
	v_bfe_u32 v72, v77, 16, 1
	v_or_b32_e32 v63, 0x400000, v75
	v_mul_f32_e32 v78, s48, v62
	;; [unrolled: 13-line block ×3, first 2 shown]
	v_mul_f32_e32 v52, s48, v52
	v_cndmask_b32_e64 v63, v72, v79, s2
	v_add3_u32 v72, v80, v76, 0x7fff
	v_cmp_u_f32_e64 s2, v76, v76
	v_add3_u32 v74, v74, v78, 0x7fff
	v_or_b32_e32 v79, 0x400000, v78
	v_bfe_u32 v80, v75, 16, 1
	v_or_b32_e32 v76, 0x400000, v75
	v_cndmask_b32_e64 v60, v72, v61, s2
	v_cmp_u_f32_e64 s2, v78, v78
	v_bfe_u32 v72, v77, 16, 1
	v_or_b32_e32 v78, 0x400000, v77
	v_mul_f32_e32 v51, s48, v51
	v_mul_f32_e32 v50, s48, v50
	v_cndmask_b32_e64 v61, v74, v79, s2
	v_add3_u32 v74, v80, v75, 0x7fff
	v_cmp_u_f32_e64 s2, v75, v75
	v_add3_u32 v72, v72, v77, 0x7fff
	v_bfe_u32 v79, v59, 16, 1
	v_bfe_u32 v75, v58, 16, 1
	v_mul_f32_e32 v49, s48, v49
	v_cndmask_b32_e64 v74, v74, v76, s2
	v_cmp_u_f32_e64 s2, v77, v77
	v_add3_u32 v76, v79, v59, 0x7fff
	v_or_b32_e32 v77, 0x400000, v59
	v_add3_u32 v75, v75, v58, 0x7fff
	v_bfe_u32 v79, v57, 16, 1
	v_cndmask_b32_e64 v72, v72, v78, s2
	v_cmp_u_f32_e64 s2, v59, v59
	v_or_b32_e32 v78, 0x400000, v58
	v_mul_f32_e32 v48, s48, v48
	v_mul_f32_e32 v47, s48, v47
	;; [unrolled: 1-line block ×3, first 2 shown]
	v_cndmask_b32_e64 v59, v76, v77, s2
	v_cmp_u_f32_e64 s2, v58, v58
	v_bfe_u32 v76, v56, 16, 1
	v_or_b32_e32 v77, 0x400000, v57
	v_or_b32_e32 v80, 0x400000, v46
	v_lshlrev_b32_e32 v81, 16, v11
	v_cndmask_b32_e64 v58, v75, v78, s2
	v_add3_u32 v75, v79, v57, 0x7fff
	v_cmp_u_f32_e64 s2, v57, v57
	v_add3_u32 v76, v76, v56, 0x7fff
	v_or_b32_e32 v78, 0x400000, v56
	v_bfe_u32 v79, v55, 16, 1
	v_lshlrev_b32_e32 v82, 16, v12
	v_cndmask_b32_e64 v57, v75, v77, s2
	v_cmp_u_f32_e64 s2, v56, v56
	v_bfe_u32 v75, v54, 16, 1
	v_or_b32_e32 v77, 0x400000, v55
	v_and_b32_e32 v11, 0xffff0000, v11
	v_and_b32_e32 v12, 0xffff0000, v12
	v_cndmask_b32_e64 v56, v76, v78, s2
	v_add3_u32 v76, v79, v55, 0x7fff
	v_cmp_u_f32_e64 s2, v55, v55
	v_add3_u32 v75, v75, v54, 0x7fff
	v_or_b32_e32 v78, 0x400000, v54
	v_bfe_u32 v79, v53, 16, 1
	v_lshlrev_b32_e32 v83, 16, v5
	v_cndmask_b32_e64 v55, v76, v77, s2
	v_cmp_u_f32_e64 s2, v54, v54
	v_bfe_u32 v76, v52, 16, 1
	v_or_b32_e32 v77, 0x400000, v53
	v_lshlrev_b32_e32 v84, 16, v6
	v_mul_f32_e32 v73, s48, v73
	v_cndmask_b32_e64 v54, v75, v78, s2
	v_add3_u32 v75, v79, v53, 0x7fff
	v_cmp_u_f32_e64 s2, v53, v53
	v_add3_u32 v76, v76, v52, 0x7fff
	v_or_b32_e32 v78, 0x400000, v52
	v_bfe_u32 v79, v51, 16, 1
	v_and_b32_e32 v5, 0xffff0000, v5
	v_cndmask_b32_e64 v53, v75, v77, s2
	v_cmp_u_f32_e64 s2, v52, v52
	v_bfe_u32 v75, v50, 16, 1
	v_or_b32_e32 v77, 0x400000, v51
	v_and_b32_e32 v6, 0xffff0000, v6
	v_and_b32_e32 v53, 0xffff0000, v53
	v_cndmask_b32_e64 v52, v76, v78, s2
	v_add3_u32 v76, v79, v51, 0x7fff
	v_cmp_u_f32_e64 s2, v51, v51
	v_add3_u32 v75, v75, v50, 0x7fff
	v_or_b32_e32 v78, 0x400000, v50
	v_or_b32_e32 v79, 0x400000, v47
	v_and_b32_e32 v52, 0xffff0000, v52
	v_cndmask_b32_e64 v51, v76, v77, s2
	v_bfe_u32 v76, v49, 16, 1
	v_cmp_u_f32_e64 s2, v50, v50
	v_bfe_u32 v77, v48, 16, 1
	v_lshlrev_b32_e32 v85, 16, v7
	v_and_b32_e32 v51, 0xffff0000, v51
	v_mul_f32_e32 v25, s48, v25
	v_cndmask_b32_e64 v50, v75, v78, s2
	v_add3_u32 v75, v76, v49, 0x7fff
	v_or_b32_e32 v76, 0x400000, v49
	v_cmp_u_f32_e64 s2, v49, v49
	v_bfe_u32 v78, v47, 16, 1
	v_and_b32_e32 v50, 0xffff0000, v50
	v_bfe_u32 v88, v73, 16, 1
	v_and_b32_e32 v7, 0xffff0000, v7
	v_cndmask_b32_e64 v49, v75, v76, s2
	v_add3_u32 v76, v77, v48, 0x7fff
	v_or_b32_e32 v77, 0x400000, v48
	v_cmp_u_f32_e64 s2, v48, v48
	v_bfe_u32 v75, v46, 16, 1
	v_add3_u32 v78, v78, v47, 0x7fff
	v_and_b32_e32 v49, 0xffff0000, v49
	v_lshlrev_b32_e32 v86, 16, v8
	v_cndmask_b32_e64 v48, v76, v77, s2
	v_cmp_u_f32_e64 s2, v47, v47
	v_add3_u32 v75, v75, v46, 0x7fff
	v_lshlrev_b32_e32 v77, 16, v15
	v_and_b32_e32 v15, 0xffff0000, v15
	v_lshlrev_b32_e32 v76, 16, v14
	v_cndmask_b32_e64 v47, v78, v79, s2
	v_cmp_u_f32_e64 s2, v46, v46
	v_lshlrev_b32_e32 v78, 16, v16
	v_and_b32_e32 v16, 0xffff0000, v16
	v_mul_f32_e32 v50, v77, v50
	v_and_b32_e32 v47, 0xffff0000, v47
	v_cndmask_b32_e64 v46, v75, v80, s2
	v_lshlrev_b32_e32 v75, 16, v13
	v_and_b32_e32 v13, 0xffff0000, v13
	v_mul_f32_e32 v15, v15, v51
	v_lshlrev_b32_e32 v79, 16, v9
	v_and_b32_e32 v46, 0xffff0000, v46
	v_and_b32_e32 v14, 0xffff0000, v14
	;; [unrolled: 1-line block ×4, first 2 shown]
	v_mul_f32_e32 v16, v16, v52
	v_fmac_f32_e32 v50, v75, v46
	v_mul_f32_e32 v46, v78, v53
	v_fmac_f32_e32 v15, v13, v47
	v_and_b32_e32 v47, 0xffff0000, v55
	v_lshlrev_b32_e32 v80, 16, v10
	v_and_b32_e32 v10, 0xffff0000, v10
	v_and_b32_e32 v13, 0xffff0000, v54
	v_fmac_f32_e32 v46, v76, v49
	v_fmac_f32_e32 v16, v14, v48
	v_and_b32_e32 v14, 0xffff0000, v57
	v_fmac_f32_e32 v15, v9, v47
	v_and_b32_e32 v9, 0xffff0000, v56
	;; [unrolled: 2-line block ×5, first 2 shown]
	v_and_b32_e32 v47, 0xffff0000, v74
	v_fmac_f32_e32 v50, v81, v13
	v_fmac_f32_e32 v15, v11, v14
	v_and_b32_e32 v10, 0xffff0000, v61
	v_and_b32_e32 v11, 0xffff0000, v60
	v_fmac_f32_e32 v16, v12, v9
	v_and_b32_e32 v12, 0xffff0000, v63
	v_fmac_f32_e32 v46, v82, v47
	;; [unrolled: 2-line block ×3, first 2 shown]
	v_fmac_f32_e32 v15, v5, v11
	v_and_b32_e32 v5, 0xffff0000, v65
	v_fmac_f32_e32 v16, v6, v12
	v_and_b32_e32 v6, 0xffff0000, v64
	v_lshlrev_b32_e32 v87, 16, v1
	v_bfe_u32 v90, v25, 16, 1
	v_add3_u32 v88, v88, v73, 0x7fff
	v_or_b32_e32 v93, 0x400000, v73
	v_cmp_u_f32_e64 s2, v73, v73
	v_and_b32_e32 v8, 0xffff0000, v8
	v_and_b32_e32 v1, 0xffff0000, v1
	v_fmac_f32_e32 v46, v84, v9
	v_and_b32_e32 v9, 0xffff0000, v66
	v_fmac_f32_e32 v50, v85, v5
	v_and_b32_e32 v5, 0xffff0000, v67
	v_and_b32_e32 v10, 0xffff0000, v69
	v_fmac_f32_e32 v15, v7, v6
	v_and_b32_e32 v6, 0xffff0000, v68
	v_lshlrev_b32_e32 v89, 16, v2
	v_lshlrev_b32_e32 v91, 16, v3
	v_add3_u32 v90, v90, v25, 0x7fff
	v_or_b32_e32 v94, 0x400000, v25
	v_cndmask_b32_e64 v73, v88, v93, s2
	v_cmp_u_f32_e64 s2, v25, v25
	v_and_b32_e32 v3, 0xffff0000, v3
	v_fmac_f32_e32 v46, v86, v9
	v_fmac_f32_e32 v16, v8, v5
	;; [unrolled: 1-line block ×3, first 2 shown]
	v_and_b32_e32 v5, 0xffff0000, v71
	v_and_b32_e32 v7, 0xffff0000, v26
	v_fmac_f32_e32 v15, v1, v6
	v_and_b32_e32 v1, 0xffff0000, v19
	v_lshlrev_b32_e32 v92, 16, v4
	v_xor_b32_e32 v95, 1, v32
	v_cndmask_b32_e64 v25, v90, v94, s2
	v_and_b32_e32 v2, 0xffff0000, v2
	v_and_b32_e32 v6, 0xffff0000, v70
	v_fmac_f32_e32 v46, v89, v5
	v_fmac_f32_e32 v50, v91, v7
	v_and_b32_e32 v5, 0xffff0000, v73
	v_fmac_f32_e32 v15, v3, v1
	v_and_b32_e32 v1, 0xffff0000, v4
	;; [unrolled: 2-line block ×3, first 2 shown]
	v_fmac_f32_e32 v46, v92, v5
	v_add_f32_e32 v3, v50, v15
	v_cmp_gt_i32_e64 s2, 32, v95
	v_fmac_f32_e32 v16, v1, v2
	v_add_f32_e32 v1, v3, v46
	v_cndmask_b32_e64 v4, v32, v95, s2
	v_add_f32_e32 v1, v1, v16
	v_lshlrev_b32_e32 v2, 2, v4
	ds_bpermute_b32 v2, v2, v1
	s_and_saveexec_b32 s48, vcc_lo
	s_cbranch_execz .LBB350_11
; %bb.275:                              ;   in Loop: Header=BB350_13 Depth=1
	v_add_nc_u32_e32 v3, v42, v36
	s_waitcnt lgkmcnt(0)
	v_add_f32_e32 v1, v1, v2
	v_cvt_f32_i32_e32 v3, v3
	v_mul_f32_e32 v3, s43, v3
	v_cndmask_b32_e64 v2, 0, v3, s1
	v_max_f32_e32 v3, v34, v34
	v_fmac_f32_e32 v2, s41, v1
	v_add_nc_u32_e32 v1, v33, v36
	v_max_f32_e32 v3, v3, v2
	v_cmp_gt_i32_e64 s2, s31, v1
	v_cndmask_b32_e64 v1, 0, v2, s2
	v_cndmask_b32_e64 v34, v34, v3, s2
	ds_write_b32 v43, v1
	s_branch .LBB350_11
.LBB350_276:
	s_or_b32 exec_lo, exec_lo, s46
.LBB350_277:
	s_or_b32 exec_lo, exec_lo, s45
	v_xor_b32_e32 v1, 16, v32
	s_waitcnt lgkmcnt(0)
	v_xor_b32_e32 v2, 8, v32
	v_max_f32_e32 v4, v34, v34
	v_and_b32_e32 v22, 31, v0
	v_lshlrev_b32_e32 v7, 2, v29
	v_cmp_gt_i32_e32 vcc_lo, 32, v1
	v_cndmask_b32_e32 v1, v32, v1, vcc_lo
	v_cmp_gt_i32_e32 vcc_lo, 32, v2
	v_lshlrev_b32_e32 v3, 2, v1
	v_cndmask_b32_e32 v2, v32, v2, vcc_lo
	ds_bpermute_b32 v1, v3, v34
	v_lshlrev_b32_e32 v5, 2, v2
	s_waitcnt lgkmcnt(0)
	v_max_f32_e32 v1, v1, v1
	v_max_f32_e32 v1, v4, v1
	v_xor_b32_e32 v4, 4, v32
	ds_bpermute_b32 v2, v5, v1
	v_cmp_gt_i32_e32 vcc_lo, 32, v4
	v_cndmask_b32_e32 v4, v32, v4, vcc_lo
	v_lshlrev_b32_e32 v6, 2, v4
	v_xor_b32_e32 v4, 2, v32
	v_cmp_gt_i32_e32 vcc_lo, 32, v4
	s_waitcnt lgkmcnt(0)
	v_max_f32_e32 v2, v2, v2
	v_cndmask_b32_e32 v4, v32, v4, vcc_lo
	v_cmp_eq_u32_e32 vcc_lo, 0, v22
	v_max_f32_e32 v1, v1, v2
	ds_bpermute_b32 v2, v6, v1
	s_waitcnt lgkmcnt(0)
	v_max_f32_e32 v2, v2, v2
	v_max_f32_e32 v1, v1, v2
	v_lshlrev_b32_e32 v2, 2, v4
	ds_bpermute_b32 v4, v2, v1
	s_and_saveexec_b32 s1, vcc_lo
	s_cbranch_execz .LBB350_279
; %bb.278:
	s_waitcnt lgkmcnt(0)
	v_max_f32_e32 v4, v4, v4
	v_max_f32_e32 v1, v1, v1
	;; [unrolled: 1-line block ×3, first 2 shown]
	ds_write_b32 v7, v1 offset:128
.LBB350_279:
	s_or_b32 exec_lo, exec_lo, s1
	v_cmp_gt_u32_e64 s1, 4, v22
	v_mov_b32_e32 v1, 0xff7fffff
	v_lshlrev_b32_e32 v8, 2, v22
	s_waitcnt lgkmcnt(0)
	s_barrier
	buffer_gl0_inv
	s_and_saveexec_b32 s2, s1
; %bb.280:
	ds_read_b32 v1, v8 offset:128
; %bb.281:
	s_or_b32 exec_lo, exec_lo, s2
	s_waitcnt lgkmcnt(0)
	ds_bpermute_b32 v4, v2, v1
	v_xor_b32_e32 v9, 1, v32
	v_max_f32_e32 v1, v1, v1
	v_cmp_gt_i32_e64 s2, 32, v9
	v_cndmask_b32_e64 v9, v32, v9, s2
	s_sub_i32 s2, s20, s44
	s_lshl_b32 s2, s2, 4
	v_lshlrev_b32_e32 v23, 2, v9
	v_mov_b32_e32 v9, 0
	s_add_i32 s2, s2, s42
	s_min_i32 s2, s2, s31
	s_waitcnt lgkmcnt(0)
	v_max_f32_e32 v4, v4, v4
	s_sub_i32 s4, s2, s42
	v_cmp_gt_i32_e64 s2, s4, v0
	v_max_f32_e32 v1, v1, v4
	ds_bpermute_b32 v4, v23, v1
	s_waitcnt lgkmcnt(0)
	v_max_f32_e32 v4, v4, v4
	v_max_f32_e32 v1, v1, v4
	v_lshl_add_u32 v4, v0, 2, 0xa0
	ds_bpermute_b32 v1, v9, v1
	s_and_saveexec_b32 s5, s2
	s_cbranch_execz .LBB350_285
; %bb.282:
	v_lshl_add_u32 v10, v0, 2, 0xa0
	v_mov_b32_e32 v9, 0
	v_mov_b32_e32 v11, v0
	s_mov_b32 s12, 0
	.p2align	6
.LBB350_283:                            ; =>This Inner Loop Header: Depth=1
	ds_read_b32 v12, v10
	v_add_nc_u32_e32 v11, 0x80, v11
	v_cmp_le_i32_e64 s3, s4, v11
	s_or_b32 s12, s3, s12
	s_waitcnt lgkmcnt(0)
	v_sub_f32_e32 v12, v12, v1
	v_mul_f32_e32 v12, 0x3fb8aa3b, v12
	v_exp_f32_e32 v12, v12
	ds_write_b32 v10, v12
	v_add_f32_e32 v9, v9, v12
	v_add_nc_u32_e32 v10, 0x200, v10
	s_andn2_b32 exec_lo, exec_lo, s12
	s_cbranch_execnz .LBB350_283
; %bb.284:
	s_or_b32 exec_lo, exec_lo, s12
.LBB350_285:
	s_or_b32 exec_lo, exec_lo, s5
	ds_bpermute_b32 v3, v3, v9
	s_waitcnt lgkmcnt(0)
	v_add_f32_e32 v3, v9, v3
	ds_bpermute_b32 v5, v5, v3
	s_waitcnt lgkmcnt(0)
	v_add_f32_e32 v3, v3, v5
	;; [unrolled: 3-line block ×5, first 2 shown]
	s_and_saveexec_b32 s3, vcc_lo
; %bb.286:
	ds_write_b32 v7, v3 offset:144
; %bb.287:
	s_or_b32 exec_lo, exec_lo, s3
	s_waitcnt lgkmcnt(0)
	s_barrier
	buffer_gl0_inv
	s_and_saveexec_b32 s3, s1
; %bb.288:
	ds_read_b32 v3, v8 offset:144
; %bb.289:
	s_or_b32 exec_lo, exec_lo, s3
	s_waitcnt lgkmcnt(0)
	ds_bpermute_b32 v2, v2, v3
	s_waitcnt lgkmcnt(0)
	v_add_f32_e32 v2, v3, v2
	ds_bpermute_b32 v3, v23, v2
	s_waitcnt lgkmcnt(0)
	v_add_f32_e32 v2, v2, v3
	v_mov_b32_e32 v3, 0
	ds_bpermute_b32 v2, v3, v2
	s_and_saveexec_b32 s1, s2
	s_cbranch_execz .LBB350_292
; %bb.290:
	s_waitcnt lgkmcnt(0)
	v_add_f32_e32 v3, 0x358637bd, v2
	s_mov_b32 s2, 0
	v_div_scale_f32 v5, null, v3, v3, 1.0
	v_div_scale_f32 v8, vcc_lo, 1.0, v3, 1.0
	v_rcp_f32_e32 v6, v5
	v_fma_f32 v7, -v5, v6, 1.0
	v_fmac_f32_e32 v6, v7, v6
	v_mul_f32_e32 v7, v8, v6
	v_fma_f32 v9, -v5, v7, v8
	v_fmac_f32_e32 v7, v9, v6
	v_fma_f32 v5, -v5, v7, v8
	v_div_fmas_f32 v5, v5, v6, v7
	v_div_fixup_f32 v3, v5, v3, 1.0
	v_mov_b32_e32 v5, v0
.LBB350_291:                            ; =>This Inner Loop Header: Depth=1
	ds_read_b32 v6, v4
	v_add_nc_u32_e32 v5, 0x80, v5
	v_cmp_le_i32_e32 vcc_lo, s4, v5
	s_or_b32 s2, vcc_lo, s2
	s_waitcnt lgkmcnt(0)
	v_mul_f32_e32 v6, v3, v6
	ds_write_b32 v4, v6
	v_add_nc_u32_e32 v4, 0x200, v4
	s_andn2_b32 exec_lo, exec_lo, s2
	s_cbranch_execnz .LBB350_291
.LBB350_292:
	s_or_b32 exec_lo, exec_lo, s1
	s_mul_i32 s1, s7, s30
	s_waitcnt lgkmcnt(0)
	s_mul_i32 s2, s1, s9
	s_mov_b32 s1, exec_lo
	s_barrier
	buffer_gl0_inv
	v_cmpx_eq_u32_e32 0, v0
	s_cbranch_execz .LBB350_294
; %bb.293:
	s_ashr_i32 s3, s2, 31
	s_mul_i32 s12, s7, s6
	s_lshl_b64 s[4:5], s[2:3], 2
	v_mov_b32_e32 v3, 0
	s_add_u32 s3, s26, s4
	s_addc_u32 s6, s27, s5
	s_ashr_i32 s13, s12, 31
	s_lshl_b64 s[12:13], s[12:13], 2
	s_add_u32 s3, s3, s12
	s_addc_u32 s6, s6, s13
	s_ashr_i32 s9, s8, 31
	s_lshl_b64 s[26:27], s[8:9], 2
	s_add_u32 s42, s3, s26
	s_addc_u32 s43, s6, s27
	s_add_u32 s3, s24, s4
	s_addc_u32 s4, s25, s5
	;; [unrolled: 2-line block ×4, first 2 shown]
	global_store_dword v3, v1, s[42:43]
	global_store_dword v3, v2, s[4:5]
.LBB350_294:
	s_or_b32 exec_lo, exec_lo, s1
	v_mov_b32_e32 v33, 0
	v_mov_b32_e32 v26, 0
	;; [unrolled: 1-line block ×4, first 2 shown]
	s_and_saveexec_b32 s1, s0
	s_cbranch_execz .LBB350_548
; %bb.295:
	s_sub_i32 s3, s40, s21
	s_ashr_i32 s0, s18, 31
	s_add_u32 s13, s38, s18
	s_addc_u32 s0, s39, s0
	s_abs_i32 s6, s22
	v_and_b32_e32 v4, 0xf8, v31
	v_cvt_f32_u32_e32 v1, s6
	s_sub_i32 s4, 0, s6
	v_lshlrev_b32_e32 v5, 5, v28
	s_add_i32 s12, s33, -1
	v_add_co_u32 v11, s13, s13, v4
	v_rcp_iflag_f32_e32 v3, v1
	v_lshlrev_b64 v[1:2], 2, v[17:18]
	v_lshl_or_b32 v5, v29, 6, v5
	v_add_co_ci_u32_e64 v12, null, s0, 0, s13
	v_and_b32_e32 v32, 8, v31
	v_mov_b32_e32 v10, 0
	v_mov_b32_e32 v31, 0x80
	;; [unrolled: 1-line block ×4, first 2 shown]
	v_mul_f32_e32 v3, 0x4f7ffffe, v3
	v_mov_b32_e32 v36, 7
	v_mov_b32_e32 v37, 24
	;; [unrolled: 1-line block ×4, first 2 shown]
	v_cvt_u32_f32_e32 v3, v3
	v_mov_b32_e32 v26, 0
	v_add_nc_u32_e32 v38, 0xa0, v5
	v_mov_b32_e32 v33, 0
	s_mov_b32 s9, s17
	v_mul_lo_u32 v6, s4, v3
	s_lshl_b64 s[4:5], s[36:37], 2
	s_mov_b32 s13, 0
	s_add_u32 s0, s34, s4
	s_addc_u32 s4, s35, s5
	v_add_co_u32 v13, vcc_lo, s0, v1
	v_add_co_ci_u32_e64 v14, null, s4, v2, vcc_lo
	v_mul_hi_u32 v4, v3, v6
	s_mov_b32 s4, -1
	s_mov_b32 s5, 0xffffff
	v_add_nc_u32_e32 v39, v3, v4
	s_branch .LBB350_298
.LBB350_296:                            ;   in Loop: Header=BB350_298 Depth=1
	s_or_b32 exec_lo, exec_lo, s0
	v_bfe_u32 v48, v5, 16, 1
	v_bfe_u32 v49, v6, 16, 1
	v_or_b32_e32 v50, 0x400000, v5
	v_cmp_u_f32_e32 vcc_lo, v5, v5
	v_or_b32_e32 v51, 0x400000, v6
	v_add3_u32 v48, v48, v5, 0x7fff
	v_bfe_u32 v52, v7, 16, 1
	v_add3_u32 v49, v49, v6, 0x7fff
	v_bfe_u32 v53, v8, 16, 1
	v_lshlrev_b32_e32 v20, 16, v20
	v_cndmask_b32_e32 v5, v48, v50, vcc_lo
	v_cmp_u_f32_e32 vcc_lo, v6, v6
	v_add3_u32 v48, v52, v7, 0x7fff
	v_add3_u32 v50, v53, v8, 0x7fff
	v_bfe_u32 v52, v1, 16, 1
	v_and_b32_e32 v5, 0xffff0000, v5
	v_cndmask_b32_e32 v6, v49, v51, vcc_lo
	v_or_b32_e32 v49, 0x400000, v7
	v_cmp_u_f32_e32 vcc_lo, v7, v7
	v_or_b32_e32 v51, 0x400000, v8
	v_or_b32_e32 v53, 0x400000, v4
	v_lshlrev_b32_e32 v21, 16, v21
	v_lshlrev_b32_e32 v65, 16, v65
	v_cndmask_b32_e32 v7, v48, v49, vcc_lo
	v_cmp_u_f32_e32 vcc_lo, v8, v8
	v_bfe_u32 v48, v2, 16, 1
	v_add3_u32 v49, v52, v1, 0x7fff
	v_bfe_u32 v52, v3, 16, 1
	v_lshlrev_b32_e32 v47, 16, v47
	v_cndmask_b32_e32 v8, v50, v51, vcc_lo
	v_or_b32_e32 v50, 0x400000, v1
	v_cmp_u_f32_e32 vcc_lo, v1, v1
	v_add3_u32 v48, v48, v2, 0x7fff
	v_or_b32_e32 v51, 0x400000, v2
	v_and_b32_e32 v1, 0xffff0000, v6
	v_lshlrev_b32_e32 v6, 16, v69
	v_cndmask_b32_e32 v49, v49, v50, vcc_lo
	v_cmp_u_f32_e32 vcc_lo, v2, v2
	v_add3_u32 v2, v52, v3, 0x7fff
	v_bfe_u32 v50, v4, 16, 1
	v_or_b32_e32 v52, 0x400000, v3
	v_mul_f32_e32 v6, v1, v6
	v_cndmask_b32_e32 v48, v48, v51, vcc_lo
	v_lshlrev_b32_e32 v51, 16, v68
	v_cmp_u_f32_e32 vcc_lo, v3, v3
	v_add3_u32 v50, v50, v4, 0x7fff
	v_bfe_u32 v3, v6, 16, 1
	v_mul_f32_e32 v47, v1, v47
	v_mul_f32_e32 v51, v5, v51
	v_cndmask_b32_e32 v52, v2, v52, vcc_lo
	v_cmp_u_f32_e32 vcc_lo, v4, v4
	v_and_b32_e32 v2, 0xffff0000, v8
	v_lshlrev_b32_e32 v8, 16, v66
	v_add3_u32 v3, v3, v6, 0x7fff
	v_or_b32_e32 v54, 0x400000, v51
	v_cndmask_b32_e32 v4, v50, v53, vcc_lo
	v_bfe_u32 v50, v51, 16, 1
	v_or_b32_e32 v53, 0x400000, v6
	v_mul_f32_e32 v55, v2, v8
	v_and_b32_e32 v8, 0xffff0000, v7
	v_lshlrev_b32_e32 v7, 16, v67
	v_cmp_u_f32_e32 vcc_lo, v6, v6
	v_add3_u32 v50, v50, v51, 0x7fff
	v_and_b32_e32 v6, 0xffff0000, v49
	v_or_b32_e32 v49, 0x400000, v55
	v_mul_f32_e32 v7, v8, v7
	v_cndmask_b32_e32 v53, v3, v53, vcc_lo
	v_cmp_u_f32_e32 vcc_lo, v51, v51
	v_bfe_u32 v51, v55, 16, 1
	v_and_b32_e32 v3, 0xffff0000, v48
	v_mul_f32_e32 v21, v6, v21
	v_and_b32_e32 v4, 0xffff0000, v4
	v_cndmask_b32_e32 v50, v50, v54, vcc_lo
	v_add3_u32 v48, v51, v55, 0x7fff
	v_bfe_u32 v51, v7, 16, 1
	v_mul_f32_e32 v20, v3, v20
	v_cmp_u_f32_e32 vcc_lo, v55, v55
	v_bfe_u32 v55, v21, 16, 1
	v_mul_f32_e32 v65, v4, v65
	v_and_b32_e32 v50, 0xffff0000, v50
	v_bfe_u32 v54, v20, 16, 1
	v_cndmask_b32_e32 v48, v48, v49, vcc_lo
	v_add3_u32 v49, v51, v7, 0x7fff
	v_or_b32_e32 v51, 0x400000, v7
	v_cmp_u_f32_e32 vcc_lo, v7, v7
	v_and_b32_e32 v7, 0xffff0000, v52
	v_lshlrev_b32_e32 v52, 16, v64
	v_add3_u32 v55, v55, v21, 0x7fff
	v_or_b32_e32 v64, 0x400000, v21
	v_cndmask_b32_e32 v49, v49, v51, vcc_lo
	v_add3_u32 v51, v54, v20, 0x7fff
	v_or_b32_e32 v54, 0x400000, v20
	v_cmp_u_f32_e32 vcc_lo, v20, v20
	v_bfe_u32 v66, v65, 16, 1
	v_and_b32_e32 v49, 0xffff0000, v49
	v_and_b32_e32 v48, 0xffff0000, v48
	;; [unrolled: 1-line block ×3, first 2 shown]
	v_cndmask_b32_e32 v20, v51, v54, vcc_lo
	v_mul_f32_e32 v51, v7, v52
	v_cmp_u_f32_e32 vcc_lo, v21, v21
	v_add3_u32 v52, v66, v65, 0x7fff
	v_or_b32_e32 v54, 0x400000, v65
	v_add_f32_e32 v48, v49, v48
	v_lshlrev_b32_e32 v49, 16, v63
	v_cndmask_b32_e32 v21, v55, v64, vcc_lo
	v_bfe_u32 v55, v51, 16, 1
	v_cmp_u_f32_e32 vcc_lo, v65, v65
	v_add_f32_e32 v50, v50, v53
	v_and_b32_e32 v20, 0xffff0000, v20
	v_and_b32_e32 v21, 0xffff0000, v21
	v_lshlrev_b32_e32 v53, 16, v62
	v_cndmask_b32_e32 v52, v52, v54, vcc_lo
	v_add3_u32 v54, v55, v51, 0x7fff
	v_or_b32_e32 v55, 0x400000, v51
	v_cmp_u_f32_e32 vcc_lo, v51, v51
	v_mul_f32_e32 v49, v1, v49
	v_add_f32_e32 v48, v48, v50
	v_add_f32_e32 v20, v21, v20
	v_mul_f32_e32 v50, v5, v53
	v_cndmask_b32_e32 v51, v54, v55, vcc_lo
	v_bfe_u32 v53, v49, 16, 1
	v_cmp_u_f32_e32 vcc_lo, v49, v49
	v_add_f32_e32 v20, v20, v48
	v_bfe_u32 v48, v50, 16, 1
	v_and_b32_e32 v21, 0xffff0000, v51
	v_and_b32_e32 v51, 0xffff0000, v52
	v_lshlrev_b32_e32 v52, 16, v59
	v_or_b32_e32 v54, 0x400000, v50
	v_add3_u32 v48, v48, v50, 0x7fff
	v_lshlrev_b32_e32 v59, 16, v61
	v_add_f32_e32 v21, v21, v51
	v_mul_f32_e32 v51, v2, v52
	v_add3_u32 v52, v53, v49, 0x7fff
	v_or_b32_e32 v53, 0x400000, v49
	v_lshlrev_b32_e32 v46, 16, v46
	v_lshlrev_b32_e32 v43, 16, v43
	v_bfe_u32 v55, v51, 16, 1
	v_lshlrev_b32_e32 v45, 16, v45
	v_cndmask_b32_e32 v49, v52, v53, vcc_lo
	v_cmp_u_f32_e32 vcc_lo, v50, v50
	v_mul_f32_e32 v50, v8, v59
	v_add3_u32 v52, v55, v51, 0x7fff
	v_or_b32_e32 v53, 0x400000, v51
	v_lshlrev_b32_e32 v55, 16, v57
	v_cndmask_b32_e32 v48, v48, v54, vcc_lo
	v_lshlrev_b32_e32 v54, 16, v56
	v_cmp_u_f32_e32 vcc_lo, v51, v51
	v_bfe_u32 v56, v50, 16, 1
	v_and_b32_e32 v49, 0xffff0000, v49
	v_and_b32_e32 v48, 0xffff0000, v48
	v_mul_f32_e32 v46, v5, v46
	v_cndmask_b32_e32 v51, v52, v53, vcc_lo
	v_mul_f32_e32 v52, v3, v54
	v_mul_f32_e32 v53, v6, v55
	v_add3_u32 v54, v56, v50, 0x7fff
	v_or_b32_e32 v55, 0x400000, v50
	v_lshlrev_b32_e32 v56, 16, v60
	v_bfe_u32 v57, v52, 16, 1
	v_cmp_u_f32_e32 vcc_lo, v50, v50
	v_bfe_u32 v59, v53, 16, 1
	v_and_b32_e32 v51, 0xffff0000, v51
	v_add_f32_e32 v48, v48, v49
	v_mul_f32_e32 v43, v2, v43
	v_cndmask_b32_e32 v50, v54, v55, vcc_lo
	v_mul_f32_e32 v54, v4, v56
	v_add3_u32 v55, v57, v52, 0x7fff
	v_or_b32_e32 v56, 0x400000, v52
	v_cmp_u_f32_e32 vcc_lo, v52, v52
	v_add3_u32 v57, v59, v53, 0x7fff
	v_or_b32_e32 v59, 0x400000, v53
	v_bfe_u32 v60, v54, 16, 1
	v_and_b32_e32 v50, 0xffff0000, v50
	v_cndmask_b32_e32 v52, v55, v56, vcc_lo
	v_lshlrev_b32_e32 v55, 16, v58
	v_cmp_u_f32_e32 vcc_lo, v53, v53
	v_add3_u32 v56, v60, v54, 0x7fff
	v_add_f32_e32 v49, v50, v51
	v_and_b32_e32 v51, 0xffff0000, v52
	v_mul_f32_e32 v55, v7, v55
	v_cndmask_b32_e32 v53, v57, v59, vcc_lo
	v_or_b32_e32 v57, 0x400000, v54
	v_cmp_u_f32_e32 vcc_lo, v54, v54
	v_add_f32_e32 v48, v49, v48
	v_lshlrev_b32_e32 v41, 16, v41
	v_and_b32_e32 v50, 0xffff0000, v53
	v_or_b32_e32 v53, 0x400000, v55
	v_cndmask_b32_e32 v54, v56, v57, vcc_lo
	v_bfe_u32 v56, v55, 16, 1
	v_cmp_u_f32_e32 vcc_lo, v55, v55
	v_add_f32_e32 v49, v50, v51
	v_bfe_u32 v51, v47, 16, 1
	v_mul_f32_e32 v45, v8, v45
	v_add3_u32 v52, v56, v55, 0x7fff
	v_mul_f32_e32 v41, v3, v41
	v_add_f32_e32 v48, v49, v48
	v_lshlrev_b32_e32 v40, 16, v40
	v_lshlrev_b32_e32 v44, 16, v44
	v_cndmask_b32_e32 v50, v52, v53, vcc_lo
	v_bfe_u32 v53, v46, 16, 1
	v_cmp_u_f32_e32 vcc_lo, v47, v47
	v_and_b32_e32 v52, 0xffff0000, v54
	v_or_b32_e32 v54, 0x400000, v43
	v_and_b32_e32 v49, 0xffff0000, v50
	v_add3_u32 v50, v51, v47, 0x7fff
	v_or_b32_e32 v51, 0x400000, v47
	v_mul_f32_e32 v40, v6, v40
	v_mul_f32_e32 v44, v4, v44
	v_lshlrev_b32_e32 v42, 16, v42
	v_lshlrev_b32_e32 v16, 16, v16
	v_cndmask_b32_e32 v47, v50, v51, vcc_lo
	v_bfe_u32 v50, v43, 16, 1
	v_add3_u32 v51, v53, v46, 0x7fff
	v_or_b32_e32 v53, 0x400000, v46
	v_cmp_u_f32_e32 vcc_lo, v46, v46
	v_mul_f32_e32 v42, v7, v42
	v_add3_u32 v50, v50, v43, 0x7fff
	v_and_b32_e32 v47, 0xffff0000, v47
	v_mul_f32_e32 v2, v2, v16
	v_cndmask_b32_e32 v46, v51, v53, vcc_lo
	v_bfe_u32 v51, v45, 16, 1
	v_cmp_u_f32_e32 vcc_lo, v43, v43
	v_or_b32_e32 v53, 0x400000, v45
	v_lshlrev_b32_e32 v15, 16, v15
	v_and_b32_e32 v46, 0xffff0000, v46
	v_add3_u32 v51, v51, v45, 0x7fff
	v_cndmask_b32_e32 v43, v50, v54, vcc_lo
	v_bfe_u32 v50, v41, 16, 1
	v_cmp_u_f32_e32 vcc_lo, v45, v45
	v_or_b32_e32 v54, 0x400000, v41
	v_add_f32_e32 v46, v46, v47
	v_and_b32_e32 v43, 0xffff0000, v43
	v_add3_u32 v50, v50, v41, 0x7fff
	v_cndmask_b32_e32 v45, v51, v53, vcc_lo
	v_bfe_u32 v51, v40, 16, 1
	v_cmp_u_f32_e32 vcc_lo, v41, v41
	v_bfe_u32 v53, v44, 16, 1
	v_mul_f32_e32 v6, v6, v15
	v_and_b32_e32 v45, 0xffff0000, v45
	v_lshlrev_b32_e32 v9, 16, v9
	v_cndmask_b32_e32 v41, v50, v54, vcc_lo
	v_add3_u32 v50, v51, v40, 0x7fff
	v_or_b32_e32 v51, 0x400000, v40
	v_cmp_u_f32_e32 vcc_lo, v40, v40
	v_add3_u32 v53, v53, v44, 0x7fff
	v_or_b32_e32 v54, 0x400000, v44
	v_add_f32_e32 v43, v45, v43
	v_and_b32_e32 v41, 0xffff0000, v41
	v_cndmask_b32_e32 v40, v50, v51, vcc_lo
	v_cmp_u_f32_e32 vcc_lo, v44, v44
	v_bfe_u32 v50, v42, 16, 1
	v_lshlrev_b32_e32 v45, 16, v71
	v_or_b32_e32 v51, 0x400000, v42
	v_and_b32_e32 v40, 0xffff0000, v40
	v_cndmask_b32_e32 v44, v53, v54, vcc_lo
	v_lshlrev_b32_e32 v53, 16, v72
	v_add3_u32 v50, v50, v42, 0x7fff
	v_cmp_u_f32_e32 vcc_lo, v42, v42
	v_add_f32_e32 v43, v43, v46
	v_add_f32_e32 v40, v40, v41
	v_mul_f32_e32 v5, v5, v53
	v_mul_f32_e32 v1, v1, v45
	v_lshlrev_b32_e32 v41, 16, v70
	v_cndmask_b32_e32 v42, v50, v51, vcc_lo
	v_mul_f32_e32 v3, v3, v9
	v_bfe_u32 v46, v5, 16, 1
	v_bfe_u32 v47, v1, 16, 1
	v_mul_f32_e32 v8, v8, v41
	v_cmp_u_f32_e32 vcc_lo, v5, v5
	v_lshlrev_b32_e32 v9, 16, v19
	v_add3_u32 v45, v46, v5, 0x7fff
	v_or_b32_e32 v46, 0x400000, v5
	v_add3_u32 v41, v47, v1, 0x7fff
	v_lshlrev_b32_e32 v18, 16, v18
	v_mul_f32_e32 v7, v7, v9
	v_or_b32_e32 v9, 0x400000, v6
	v_cndmask_b32_e32 v5, v45, v46, vcc_lo
	v_or_b32_e32 v45, 0x400000, v1
	v_bfe_u32 v46, v8, 16, 1
	v_cmp_u_f32_e32 vcc_lo, v1, v1
	v_mul_f32_e32 v4, v4, v18
	v_or_b32_e32 v18, 0x400000, v3
	v_bfe_u32 v19, v7, 16, 1
	v_add3_u32 v16, v46, v8, 0x7fff
	v_cndmask_b32_e32 v1, v41, v45, vcc_lo
	v_or_b32_e32 v41, 0x400000, v8
	v_bfe_u32 v45, v2, 16, 1
	v_cmp_u_f32_e32 vcc_lo, v8, v8
	v_and_b32_e32 v5, 0xffff0000, v5
	v_and_b32_e32 v1, 0xffff0000, v1
	;; [unrolled: 1-line block ×3, first 2 shown]
	v_add3_u32 v15, v45, v2, 0x7fff
	v_cndmask_b32_e32 v8, v16, v41, vcc_lo
	v_or_b32_e32 v16, 0x400000, v2
	v_bfe_u32 v41, v6, 16, 1
	v_cmp_u_f32_e32 vcc_lo, v2, v2
	v_add_f32_e32 v1, v5, v1
	v_and_b32_e32 v8, 0xffff0000, v8
	v_cndmask_b32_e32 v2, v15, v16, vcc_lo
	v_bfe_u32 v15, v3, 16, 1
	v_add3_u32 v16, v41, v6, 0x7fff
	v_cmp_u_f32_e32 vcc_lo, v6, v6
	v_bfe_u32 v41, v4, 16, 1
	v_and_b32_e32 v2, 0xffff0000, v2
	v_add3_u32 v15, v15, v3, 0x7fff
	v_cndmask_b32_e32 v6, v16, v9, vcc_lo
	v_cmp_u_f32_e32 vcc_lo, v3, v3
	v_or_b32_e32 v16, 0x400000, v4
	v_add3_u32 v9, v19, v7, 0x7fff
	v_add_f32_e32 v2, v8, v2
	v_and_b32_e32 v5, 0xffff0000, v6
	v_cndmask_b32_e32 v3, v15, v18, vcc_lo
	v_add3_u32 v15, v41, v4, 0x7fff
	v_cmp_u_f32_e32 vcc_lo, v4, v4
	v_or_b32_e32 v18, 0x400000, v7
	v_add_f32_e32 v1, v2, v1
	v_and_b32_e32 v3, 0xffff0000, v3
	v_cndmask_b32_e32 v4, v15, v16, vcc_lo
	v_cmp_u_f32_e32 vcc_lo, v7, v7
	v_and_b32_e32 v7, 0xffff0000, v44
	v_add_f32_e32 v2, v5, v3
	v_add_f32_e32 v5, v49, v52
	v_and_b32_e32 v3, 0xffff0000, v4
	v_cndmask_b32_e32 v6, v9, v18, vcc_lo
	v_add_f32_e32 v7, v42, v7
	v_add_f32_e32 v1, v2, v1
	v_and_b32_e32 v4, 0xffff0000, v6
	v_add_f32_e32 v6, v40, v43
	v_add_f32_e32 v2, v4, v3
	;; [unrolled: 1-line block ×10, first 2 shown]
.LBB350_297:                            ;   in Loop: Header=BB350_298 Depth=1
	s_or_b32 exec_lo, exec_lo, s17
	v_add_nc_u32_e32 v17, 4, v17
	v_add_co_u32 v13, s0, v13, 16
	v_add_co_ci_u32_e64 v14, null, 0, v14, s0
	v_cmp_le_i32_e32 vcc_lo, s20, v17
	v_add_nc_u32_e32 v30, 64, v30
	v_add_nc_u32_e32 v38, 0x100, v38
	s_or_b32 s13, vcc_lo, s13
	s_andn2_b32 exec_lo, exec_lo, s13
	s_cbranch_execz .LBB350_547
.LBB350_298:                            ; =>This Inner Loop Header: Depth=1
	v_sub_nc_u32_e32 v1, 0, v30
	v_max_i32_e32 v1, v30, v1
	v_mul_hi_u32 v2, v1, s16
	v_mul_lo_u32 v3, v2, s11
	v_sub_nc_u32_e32 v1, v1, v3
	v_add_nc_u32_e32 v3, 1, v2
	v_subrev_nc_u32_e32 v4, s11, v1
	v_cmp_le_u32_e32 vcc_lo, s11, v1
	v_cndmask_b32_e32 v2, v2, v3, vcc_lo
	v_cndmask_b32_e32 v1, v1, v4, vcc_lo
	v_ashrrev_i32_e32 v3, 31, v30
	v_add_nc_u32_e32 v4, 1, v2
	v_cmp_le_u32_e32 vcc_lo, s11, v1
	v_xor_b32_e32 v3, s23, v3
	v_cndmask_b32_e32 v1, v2, v4, vcc_lo
	v_xor_b32_e32 v1, v1, v3
	v_sub_nc_u32_e32 v1, v1, v3
	v_add_nc_u32_e32 v2, s19, v1
	v_cmp_lt_i32_e64 s0, s3, v1
	v_sub_nc_u32_e32 v3, 0, v2
	v_max_i32_e32 v3, v2, v3
	v_ashrrev_i32_e32 v2, 31, v2
	v_mul_hi_u32 v4, v3, v39
	v_mul_lo_u32 v4, v4, s6
	v_sub_nc_u32_e32 v3, v3, v4
	v_subrev_nc_u32_e32 v4, s6, v3
	v_cmp_le_u32_e32 vcc_lo, s6, v3
	v_cndmask_b32_e32 v3, v3, v4, vcc_lo
	v_subrev_nc_u32_e32 v4, s6, v3
	v_cmp_le_u32_e32 vcc_lo, s6, v3
	v_cndmask_b32_e32 v3, v3, v4, vcc_lo
	v_xor_b32_e32 v3, v3, v2
	v_sub_nc_u32_e32 v2, v3, v2
	v_cmp_eq_u32_e32 vcc_lo, 0, v2
	s_or_b32 s0, vcc_lo, s0
	s_and_saveexec_b32 s17, s0
	s_cbranch_execz .LBB350_297
; %bb.299:                              ;   in Loop: Header=BB350_298 Depth=1
	global_load_dword v1, v[13:14], off
	v_mov_b32_e32 v40, 0
	v_mov_b32_e32 v42, 0
	s_waitcnt vmcnt(0)
	v_mad_i64_i32 v[15:16], null, v1, s9, v[11:12]
	global_load_dwordx2 v[18:19], v[15:16], off
	ds_read2_b64 v[5:8], v38 offset1:1
	ds_read2_b64 v[1:4], v38 offset0:2 offset1:3
	s_load_dword s18, s[14:15], 0x0
	s_waitcnt vmcnt(0)
	v_cmp_ne_u16_sdwa s21, v18, v10 src0_sel:BYTE_0 src1_sel:DWORD
	s_and_saveexec_b32 s0, s21
	s_cbranch_execz .LBB350_305
; %bb.300:                              ;   in Loop: Header=BB350_298 Depth=1
	v_cmp_ne_u16_sdwa s22, v18, v31 src0_sel:BYTE_0 src1_sel:DWORD
	v_bfrev_b32_e32 v42, 1
	s_and_saveexec_b32 s21, s22
	s_cbranch_execz .LBB350_304
; %bb.301:                              ;   in Loop: Header=BB350_298 Depth=1
	v_and_b32_e32 v9, 0x7f, v18
	v_mov_b32_e32 v42, 0x7f800001
	s_mov_b32 s22, exec_lo
	v_cmpx_ne_u32_e32 0x7f, v9
	s_cbranch_execz .LBB350_303
; %bb.302:                              ;   in Loop: Header=BB350_298 Depth=1
	v_and_b32_e32 v20, 7, v18
	v_lshrrev_b32_e32 v21, 3, v9
	v_cmp_gt_u32_e32 vcc_lo, 8, v9
	v_ffbh_u32_e32 v20, v20
	v_min_u32_e32 v20, 32, v20
	v_subrev_nc_u32_e32 v41, 28, v20
	v_sub_nc_u32_e32 v20, 29, v20
	v_cndmask_b32_e32 v9, v21, v20, vcc_lo
	v_cndmask_b32_e32 v20, 0, v41, vcc_lo
	v_lshl_add_u32 v9, v9, 23, 0x3c000000
	v_lshlrev_b64 v[20:21], v20, v[18:19]
	v_lshlrev_b32_e32 v21, 24, v18
	v_lshlrev_b32_e32 v20, 20, v20
	v_and_b32_e32 v21, 0x80000000, v21
	v_and_b32_e32 v20, 0x700000, v20
	v_or3_b32 v42, v20, v21, v9
.LBB350_303:                            ;   in Loop: Header=BB350_298 Depth=1
	s_or_b32 exec_lo, exec_lo, s22
.LBB350_304:                            ;   in Loop: Header=BB350_298 Depth=1
	s_or_b32 exec_lo, exec_lo, s21
.LBB350_305:                            ;   in Loop: Header=BB350_298 Depth=1
	s_or_b32 exec_lo, exec_lo, s0
	v_cmp_ne_u16_sdwa s21, v18, v10 src0_sel:BYTE_1 src1_sel:DWORD
	s_and_saveexec_b32 s0, s21
	s_cbranch_execz .LBB350_313
; %bb.306:                              ;   in Loop: Header=BB350_298 Depth=1
	v_cmp_ne_u16_sdwa s22, v18, v31 src0_sel:BYTE_1 src1_sel:DWORD
	v_bfrev_b32_e32 v40, 1
	s_and_saveexec_b32 s21, s22
	s_cbranch_execz .LBB350_312
; %bb.307:                              ;   in Loop: Header=BB350_298 Depth=1
	v_and_b32_sdwa v9, v34, v18 dst_sel:DWORD dst_unused:UNUSED_PAD src0_sel:DWORD src1_sel:BYTE_1
	v_mov_b32_e32 v40, 0x7f800001
	s_mov_b32 s22, exec_lo
	v_and_b32_e32 v21, 0x7f, v9
	v_cmpx_ne_u32_e32 0x7f, v21
	s_cbranch_execz .LBB350_311
; %bb.308:                              ;   in Loop: Header=BB350_298 Depth=1
	v_and_b32_e32 v9, 7, v9
	v_lshrrev_b32_e32 v20, 3, v21
	s_mov_b32 s24, exec_lo
	v_cmpx_gt_u32_e32 8, v21
; %bb.309:                              ;   in Loop: Header=BB350_298 Depth=1
	v_ffbh_u32_e32 v20, v9
	v_min_u32_e32 v20, 32, v20
	v_subrev_nc_u32_e32 v21, 28, v20
	v_sub_nc_u32_e32 v20, 29, v20
	v_lshlrev_b64 v[40:41], v21, v[9:10]
	v_and_b32_e32 v9, 7, v40
; %bb.310:                              ;   in Loop: Header=BB350_298 Depth=1
	s_or_b32 exec_lo, exec_lo, s24
	v_lshlrev_b32_e32 v21, 16, v18
	v_lshlrev_b32_e32 v9, 20, v9
	v_lshl_add_u32 v20, v20, 23, 0x3c000000
	v_and_b32_e32 v21, 0x80000000, v21
	v_or3_b32 v40, v9, v21, v20
.LBB350_311:                            ;   in Loop: Header=BB350_298 Depth=1
	s_or_b32 exec_lo, exec_lo, s22
.LBB350_312:                            ;   in Loop: Header=BB350_298 Depth=1
	s_or_b32 exec_lo, exec_lo, s21
.LBB350_313:                            ;   in Loop: Header=BB350_298 Depth=1
	s_or_b32 exec_lo, exec_lo, s0
	v_and_b32_sdwa v9, v18, v35 dst_sel:DWORD dst_unused:UNUSED_PAD src0_sel:WORD_1 src1_sel:DWORD
	v_mov_b32_e32 v43, 0
	v_mov_b32_e32 v41, 0
	s_mov_b32 s0, exec_lo
	v_cmpx_ne_u16_e32 0, v9
	s_cbranch_execz .LBB350_321
; %bb.314:                              ;   in Loop: Header=BB350_298 Depth=1
	v_bfrev_b32_e32 v41, 1
	s_mov_b32 s21, exec_lo
	v_cmpx_ne_u16_e32 0x80, v9
	s_cbranch_execz .LBB350_320
; %bb.315:                              ;   in Loop: Header=BB350_298 Depth=1
	v_bfe_u32 v21, v18, 16, 7
	v_mov_b32_e32 v41, 0x7f800001
	s_mov_b32 s22, exec_lo
	v_cmpx_ne_u32_e32 0x7f, v21
	s_cbranch_execz .LBB350_319
; %bb.316:                              ;   in Loop: Header=BB350_298 Depth=1
	v_and_b32_sdwa v9, v18, v36 dst_sel:DWORD dst_unused:UNUSED_PAD src0_sel:WORD_1 src1_sel:DWORD
	v_lshrrev_b32_e32 v20, 3, v21
	s_mov_b32 s24, exec_lo
	v_cmpx_gt_u32_e32 8, v21
; %bb.317:                              ;   in Loop: Header=BB350_298 Depth=1
	v_ffbh_u32_e32 v20, v9
	v_min_u32_e32 v20, 32, v20
	v_subrev_nc_u32_e32 v21, 28, v20
	v_sub_nc_u32_e32 v20, 29, v20
	v_lshlrev_b64 v[44:45], v21, v[9:10]
	v_and_b32_e32 v9, 7, v44
; %bb.318:                              ;   in Loop: Header=BB350_298 Depth=1
	s_or_b32 exec_lo, exec_lo, s24
	v_lshlrev_b32_sdwa v21, v37, v18 dst_sel:DWORD dst_unused:UNUSED_PAD src0_sel:DWORD src1_sel:WORD_1
	v_lshlrev_b32_e32 v9, 20, v9
	v_lshl_add_u32 v20, v20, 23, 0x3c000000
	v_and_b32_e32 v21, 0x80000000, v21
	v_or3_b32 v41, v9, v21, v20
.LBB350_319:                            ;   in Loop: Header=BB350_298 Depth=1
	s_or_b32 exec_lo, exec_lo, s22
.LBB350_320:                            ;   in Loop: Header=BB350_298 Depth=1
	s_or_b32 exec_lo, exec_lo, s21
.LBB350_321:                            ;   in Loop: Header=BB350_298 Depth=1
	s_or_b32 exec_lo, exec_lo, s0
	s_mov_b32 s0, exec_lo
	v_cmpx_lt_u32_e32 0xffffff, v18
	s_cbranch_execz .LBB350_329
; %bb.322:                              ;   in Loop: Header=BB350_298 Depth=1
	v_cmp_ne_u32_sdwa s22, v18, v31 src0_sel:BYTE_3 src1_sel:DWORD
	v_bfrev_b32_e32 v43, 1
	s_and_saveexec_b32 s21, s22
	s_cbranch_execz .LBB350_328
; %bb.323:                              ;   in Loop: Header=BB350_298 Depth=1
	v_bfe_u32 v21, v18, 24, 7
	v_mov_b32_e32 v43, 0x7f800001
	s_mov_b32 s22, exec_lo
	v_cmpx_ne_u32_e32 0x7f, v21
	s_cbranch_execz .LBB350_327
; %bb.324:                              ;   in Loop: Header=BB350_298 Depth=1
	v_and_b32_sdwa v9, v18, v36 dst_sel:DWORD dst_unused:UNUSED_PAD src0_sel:BYTE_3 src1_sel:DWORD
	v_lshrrev_b32_e32 v20, 3, v21
	s_mov_b32 s24, exec_lo
	v_cmpx_gt_u32_e32 8, v21
; %bb.325:                              ;   in Loop: Header=BB350_298 Depth=1
	v_ffbh_u32_e32 v20, v9
	v_min_u32_e32 v20, 32, v20
	v_subrev_nc_u32_e32 v21, 28, v20
	v_sub_nc_u32_e32 v20, 29, v20
	v_lshlrev_b64 v[43:44], v21, v[9:10]
	v_and_b32_e32 v9, 7, v43
; %bb.326:                              ;   in Loop: Header=BB350_298 Depth=1
	s_or_b32 exec_lo, exec_lo, s24
	v_lshlrev_b32_sdwa v21, v37, v18 dst_sel:DWORD dst_unused:UNUSED_PAD src0_sel:DWORD src1_sel:BYTE_3
	v_lshlrev_b32_e32 v9, 20, v9
	v_lshl_add_u32 v20, v20, 23, 0x3c000000
	v_and_b32_e32 v21, 0x80000000, v21
	v_or3_b32 v43, v9, v21, v20
.LBB350_327:                            ;   in Loop: Header=BB350_298 Depth=1
	s_or_b32 exec_lo, exec_lo, s22
.LBB350_328:                            ;   in Loop: Header=BB350_298 Depth=1
	s_or_b32 exec_lo, exec_lo, s21
.LBB350_329:                            ;   in Loop: Header=BB350_298 Depth=1
	s_or_b32 exec_lo, exec_lo, s0
	v_mov_b32_e32 v9, v19
	v_cmp_ne_u16_sdwa s21, v19, v10 src0_sel:BYTE_0 src1_sel:DWORD
	v_mov_b32_e32 v20, 0
	v_mov_b32_e32 v44, 0
	s_and_saveexec_b32 s0, s21
	s_cbranch_execz .LBB350_335
; %bb.330:                              ;   in Loop: Header=BB350_298 Depth=1
	v_cmp_ne_u16_sdwa s22, v19, v31 src0_sel:BYTE_0 src1_sel:DWORD
	v_bfrev_b32_e32 v44, 1
	s_and_saveexec_b32 s21, s22
	s_cbranch_execz .LBB350_334
; %bb.331:                              ;   in Loop: Header=BB350_298 Depth=1
	v_and_b32_e32 v21, 0x7f, v19
	v_mov_b32_e32 v44, 0x7f800001
	s_mov_b32 s22, exec_lo
	v_cmpx_ne_u32_e32 0x7f, v21
	s_cbranch_execz .LBB350_333
; %bb.332:                              ;   in Loop: Header=BB350_298 Depth=1
	v_and_b32_e32 v44, 7, v19
	v_lshrrev_b32_e32 v45, 3, v21
	v_cmp_gt_u32_e32 vcc_lo, 8, v21
	v_ffbh_u32_e32 v44, v44
	v_min_u32_e32 v44, 32, v44
	v_subrev_nc_u32_e32 v46, 28, v44
	v_sub_nc_u32_e32 v44, 29, v44
	v_cndmask_b32_e32 v21, v45, v44, vcc_lo
	v_cndmask_b32_e32 v44, 0, v46, vcc_lo
	v_lshl_add_u32 v21, v21, 23, 0x3c000000
	v_lshlrev_b64 v[44:45], v44, v[9:10]
	v_lshlrev_b32_e32 v45, 24, v9
	v_lshlrev_b32_e32 v44, 20, v44
	v_and_b32_e32 v45, 0x80000000, v45
	v_and_b32_e32 v44, 0x700000, v44
	v_or3_b32 v44, v44, v45, v21
.LBB350_333:                            ;   in Loop: Header=BB350_298 Depth=1
	s_or_b32 exec_lo, exec_lo, s22
.LBB350_334:                            ;   in Loop: Header=BB350_298 Depth=1
	s_or_b32 exec_lo, exec_lo, s21
.LBB350_335:                            ;   in Loop: Header=BB350_298 Depth=1
	s_or_b32 exec_lo, exec_lo, s0
	v_cmp_ne_u16_sdwa s21, v9, v10 src0_sel:BYTE_1 src1_sel:DWORD
	s_and_saveexec_b32 s0, s21
	s_cbranch_execz .LBB350_343
; %bb.336:                              ;   in Loop: Header=BB350_298 Depth=1
	v_cmp_ne_u16_sdwa s22, v9, v31 src0_sel:BYTE_1 src1_sel:DWORD
	v_bfrev_b32_e32 v20, 1
	s_and_saveexec_b32 s21, s22
	s_cbranch_execz .LBB350_342
; %bb.337:                              ;   in Loop: Header=BB350_298 Depth=1
	v_and_b32_sdwa v21, v34, v9 dst_sel:DWORD dst_unused:UNUSED_PAD src0_sel:DWORD src1_sel:BYTE_1
	v_mov_b32_e32 v20, 0x7f800001
	s_mov_b32 s22, exec_lo
	v_and_b32_e32 v46, 0x7f, v21
	v_cmpx_ne_u32_e32 0x7f, v46
	s_cbranch_execz .LBB350_341
; %bb.338:                              ;   in Loop: Header=BB350_298 Depth=1
	v_and_b32_e32 v20, 7, v21
	v_mov_b32_e32 v21, v10
	v_lshrrev_b32_e32 v45, 3, v46
	s_mov_b32 s24, exec_lo
	v_cmpx_gt_u32_e32 8, v46
; %bb.339:                              ;   in Loop: Header=BB350_298 Depth=1
	v_ffbh_u32_e32 v45, v20
	v_min_u32_e32 v45, 32, v45
	v_subrev_nc_u32_e32 v46, 28, v45
	v_sub_nc_u32_e32 v45, 29, v45
	v_lshlrev_b64 v[20:21], v46, v[20:21]
	v_and_b32_e32 v20, 7, v20
; %bb.340:                              ;   in Loop: Header=BB350_298 Depth=1
	s_or_b32 exec_lo, exec_lo, s24
	v_lshlrev_b32_e32 v9, 16, v9
	v_lshlrev_b32_e32 v20, 20, v20
	v_lshl_add_u32 v21, v45, 23, 0x3c000000
	v_and_b32_e32 v9, 0x80000000, v9
	v_or3_b32 v20, v20, v9, v21
.LBB350_341:                            ;   in Loop: Header=BB350_298 Depth=1
	s_or_b32 exec_lo, exec_lo, s22
.LBB350_342:                            ;   in Loop: Header=BB350_298 Depth=1
	s_or_b32 exec_lo, exec_lo, s21
.LBB350_343:                            ;   in Loop: Header=BB350_298 Depth=1
	s_or_b32 exec_lo, exec_lo, s0
	v_and_b32_sdwa v9, v19, v35 dst_sel:DWORD dst_unused:UNUSED_PAD src0_sel:WORD_1 src1_sel:DWORD
	v_mov_b32_e32 v21, 0
	v_mov_b32_e32 v45, 0
	s_mov_b32 s0, exec_lo
	v_cmpx_ne_u16_e32 0, v9
	s_cbranch_execz .LBB350_351
; %bb.344:                              ;   in Loop: Header=BB350_298 Depth=1
	v_bfrev_b32_e32 v45, 1
	s_mov_b32 s21, exec_lo
	v_cmpx_ne_u16_e32 0x80, v9
	s_cbranch_execz .LBB350_350
; %bb.345:                              ;   in Loop: Header=BB350_298 Depth=1
	v_bfe_u32 v46, v19, 16, 7
	v_mov_b32_e32 v45, 0x7f800001
	s_mov_b32 s22, exec_lo
	v_cmpx_ne_u32_e32 0x7f, v46
	s_cbranch_execz .LBB350_349
; %bb.346:                              ;   in Loop: Header=BB350_298 Depth=1
	v_and_b32_sdwa v9, v19, v36 dst_sel:DWORD dst_unused:UNUSED_PAD src0_sel:WORD_1 src1_sel:DWORD
	v_lshrrev_b32_e32 v45, 3, v46
	s_mov_b32 s24, exec_lo
	v_cmpx_gt_u32_e32 8, v46
; %bb.347:                              ;   in Loop: Header=BB350_298 Depth=1
	v_ffbh_u32_e32 v45, v9
	v_min_u32_e32 v45, 32, v45
	v_subrev_nc_u32_e32 v46, 28, v45
	v_sub_nc_u32_e32 v45, 29, v45
	v_lshlrev_b64 v[46:47], v46, v[9:10]
	v_and_b32_e32 v9, 7, v46
; %bb.348:                              ;   in Loop: Header=BB350_298 Depth=1
	s_or_b32 exec_lo, exec_lo, s24
	v_lshlrev_b32_sdwa v46, v37, v19 dst_sel:DWORD dst_unused:UNUSED_PAD src0_sel:DWORD src1_sel:WORD_1
	v_lshlrev_b32_e32 v9, 20, v9
	v_lshl_add_u32 v45, v45, 23, 0x3c000000
	v_and_b32_e32 v46, 0x80000000, v46
	v_or3_b32 v45, v9, v46, v45
.LBB350_349:                            ;   in Loop: Header=BB350_298 Depth=1
	s_or_b32 exec_lo, exec_lo, s22
.LBB350_350:                            ;   in Loop: Header=BB350_298 Depth=1
	s_or_b32 exec_lo, exec_lo, s21
.LBB350_351:                            ;   in Loop: Header=BB350_298 Depth=1
	s_or_b32 exec_lo, exec_lo, s0
	s_mov_b32 s0, exec_lo
	v_cmpx_lt_u64_e64 s[4:5], v[18:19]
	s_cbranch_execz .LBB350_359
; %bb.352:                              ;   in Loop: Header=BB350_298 Depth=1
	v_cmp_ne_u32_sdwa s22, v19, v31 src0_sel:BYTE_3 src1_sel:DWORD
	v_bfrev_b32_e32 v21, 1
	s_and_saveexec_b32 s21, s22
	s_cbranch_execz .LBB350_358
; %bb.353:                              ;   in Loop: Header=BB350_298 Depth=1
	v_bfe_u32 v46, v19, 24, 7
	v_mov_b32_e32 v21, 0x7f800001
	s_mov_b32 s22, exec_lo
	v_cmpx_ne_u32_e32 0x7f, v46
	s_cbranch_execz .LBB350_357
; %bb.354:                              ;   in Loop: Header=BB350_298 Depth=1
	v_and_b32_sdwa v9, v19, v36 dst_sel:DWORD dst_unused:UNUSED_PAD src0_sel:BYTE_3 src1_sel:DWORD
	v_lshrrev_b32_e32 v18, 3, v46
	s_mov_b32 s24, exec_lo
	v_cmpx_gt_u32_e32 8, v46
; %bb.355:                              ;   in Loop: Header=BB350_298 Depth=1
	v_ffbh_u32_e32 v18, v9
	v_min_u32_e32 v18, 32, v18
	v_subrev_nc_u32_e32 v21, 28, v18
	v_sub_nc_u32_e32 v18, 29, v18
	v_lshlrev_b64 v[46:47], v21, v[9:10]
	v_and_b32_e32 v9, 7, v46
; %bb.356:                              ;   in Loop: Header=BB350_298 Depth=1
	s_or_b32 exec_lo, exec_lo, s24
	v_lshlrev_b32_sdwa v19, v37, v19 dst_sel:DWORD dst_unused:UNUSED_PAD src0_sel:DWORD src1_sel:BYTE_3
	v_lshlrev_b32_e32 v9, 20, v9
	v_lshl_add_u32 v18, v18, 23, 0x3c000000
	v_and_b32_e32 v19, 0x80000000, v19
	v_or3_b32 v21, v9, v19, v18
.LBB350_357:                            ;   in Loop: Header=BB350_298 Depth=1
	s_or_b32 exec_lo, exec_lo, s22
.LBB350_358:                            ;   in Loop: Header=BB350_298 Depth=1
	s_or_b32 exec_lo, exec_lo, s21
.LBB350_359:                            ;   in Loop: Header=BB350_298 Depth=1
	s_or_b32 exec_lo, exec_lo, s0
	s_waitcnt lgkmcnt(0)
	v_mul_f32_e32 v9, s18, v20
	v_mul_f32_e32 v18, s18, v44
	;; [unrolled: 1-line block ×5, first 2 shown]
	v_bfe_u32 v20, v9, 16, 1
	v_or_b32_e32 v41, 0x400000, v9
	v_bfe_u32 v43, v18, 16, 1
	v_cmp_u_f32_e64 s0, v9, v9
	v_or_b32_e32 v46, 0x400000, v18
	v_add3_u32 v20, v20, v9, 0x7fff
	v_bfe_u32 v47, v19, 16, 1
	v_add3_u32 v43, v43, v18, 0x7fff
	v_or_b32_e32 v49, 0x400000, v19
	v_add_nc_u32_e32 v48, v32, v30
	v_cndmask_b32_e64 v9, v20, v41, s0
	v_cmp_u_f32_e64 s0, v18, v18
	v_bfe_u32 v20, v44, 16, 1
	v_add3_u32 v47, v47, v19, 0x7fff
	v_cmp_eq_u32_e32 vcc_lo, s12, v17
	v_lshrrev_b32_e32 v41, 16, v9
	v_cndmask_b32_e64 v18, v43, v46, s0
	v_cmp_u_f32_e64 s0, v19, v19
	v_mul_f32_e32 v19, s18, v40
	v_add3_u32 v20, v20, v44, 0x7fff
	v_or_b32_e32 v46, 0x400000, v44
	v_lshrrev_b32_e32 v40, 16, v18
	v_cndmask_b32_e64 v9, v47, v49, s0
	v_cmp_u_f32_e64 s0, v44, v44
	v_or_b32_e32 v44, 0x400000, v19
	v_or_b32_e32 v49, 0x400000, v21
	v_add_nc_u32_e32 v55, 1, v48
	v_lshrrev_b32_e32 v43, 16, v9
	v_bfe_u32 v9, v19, 16, 1
	v_cndmask_b32_e64 v18, v20, v46, s0
	v_mul_f32_e32 v20, s18, v42
	v_mul_f32_e32 v42, s18, v45
	v_cmp_u_f32_e64 s0, v19, v19
	v_add3_u32 v9, v9, v19, 0x7fff
	v_bfe_u32 v19, v21, 16, 1
	v_bfe_u32 v45, v20, 16, 1
	;; [unrolled: 1-line block ×3, first 2 shown]
	v_or_b32_e32 v47, 0x400000, v42
	v_cndmask_b32_e64 v9, v9, v44, s0
	v_cmp_u_f32_e64 s0, v20, v20
	v_add3_u32 v44, v45, v20, 0x7fff
	v_or_b32_e32 v45, 0x400000, v20
	v_add3_u32 v46, v46, v42, 0x7fff
	v_add3_u32 v19, v19, v21, 0x7fff
	v_add_nc_u32_e32 v54, 2, v48
	v_add_nc_u32_e32 v53, 3, v48
	v_cndmask_b32_e64 v20, v44, v45, s0
	v_cmp_u_f32_e64 s0, v42, v42
	v_lshrrev_b32_e32 v45, 16, v18
	v_add_nc_u32_e32 v52, 4, v48
	v_add_nc_u32_e32 v51, 5, v48
	v_add_nc_u32_e32 v50, 6, v48
	v_cndmask_b32_e64 v42, v46, v47, s0
	v_cmp_u_f32_e64 s0, v21, v21
	v_lshrrev_b32_e32 v47, 16, v9
	v_lshrrev_b32_e32 v46, 16, v20
	v_lshrrev_b32_e32 v42, 16, v42
	v_cndmask_b32_e64 v19, v19, v49, s0
	v_add_nc_u32_e32 v49, 7, v48
	v_lshrrev_b32_e32 v44, 16, v19
	s_and_saveexec_b32 s21, vcc_lo
	s_cbranch_execz .LBB350_361
; %bb.360:                              ;   in Loop: Header=BB350_298 Depth=1
	v_cmp_gt_i32_e64 s0, s31, v48
	v_cndmask_b32_e64 v46, 0, v46, s0
	v_cmp_gt_i32_e64 s0, s31, v55
	v_cndmask_b32_e64 v47, 0, v47, s0
	;; [unrolled: 2-line block ×8, first 2 shown]
.LBB350_361:                            ;   in Loop: Header=BB350_298 Depth=1
	s_or_b32 exec_lo, exec_lo, s21
	global_load_dwordx2 v[18:19], v[15:16], off offset:256
	v_mov_b32_e32 v57, 0
	v_mov_b32_e32 v58, 0
	s_waitcnt vmcnt(0)
	v_cmp_ne_u16_sdwa s0, v18, v10 src0_sel:BYTE_0 src1_sel:DWORD
	s_and_saveexec_b32 s21, s0
	s_cbranch_execz .LBB350_367
; %bb.362:                              ;   in Loop: Header=BB350_298 Depth=1
	v_cmp_ne_u16_sdwa s0, v18, v31 src0_sel:BYTE_0 src1_sel:DWORD
	v_bfrev_b32_e32 v58, 1
	s_and_saveexec_b32 s22, s0
	s_cbranch_execz .LBB350_366
; %bb.363:                              ;   in Loop: Header=BB350_298 Depth=1
	v_and_b32_e32 v9, 0x7f, v18
	v_mov_b32_e32 v58, 0x7f800001
	s_mov_b32 s24, exec_lo
	v_cmpx_ne_u32_e32 0x7f, v9
	s_cbranch_execz .LBB350_365
; %bb.364:                              ;   in Loop: Header=BB350_298 Depth=1
	v_and_b32_e32 v20, 7, v18
	v_lshrrev_b32_e32 v21, 3, v9
	v_cmp_gt_u32_e64 s0, 8, v9
	v_ffbh_u32_e32 v20, v20
	v_min_u32_e32 v20, 32, v20
	v_subrev_nc_u32_e32 v56, 28, v20
	v_sub_nc_u32_e32 v20, 29, v20
	v_cndmask_b32_e64 v9, v21, v20, s0
	v_cndmask_b32_e64 v20, 0, v56, s0
	v_lshl_add_u32 v9, v9, 23, 0x3c000000
	v_lshlrev_b64 v[20:21], v20, v[18:19]
	v_lshlrev_b32_e32 v21, 24, v18
	v_lshlrev_b32_e32 v20, 20, v20
	v_and_b32_e32 v21, 0x80000000, v21
	v_and_b32_e32 v20, 0x700000, v20
	v_or3_b32 v58, v20, v21, v9
.LBB350_365:                            ;   in Loop: Header=BB350_298 Depth=1
	s_or_b32 exec_lo, exec_lo, s24
.LBB350_366:                            ;   in Loop: Header=BB350_298 Depth=1
	s_or_b32 exec_lo, exec_lo, s22
.LBB350_367:                            ;   in Loop: Header=BB350_298 Depth=1
	s_or_b32 exec_lo, exec_lo, s21
	v_cmp_ne_u16_sdwa s0, v18, v10 src0_sel:BYTE_1 src1_sel:DWORD
	s_and_saveexec_b32 s21, s0
	s_cbranch_execz .LBB350_375
; %bb.368:                              ;   in Loop: Header=BB350_298 Depth=1
	v_cmp_ne_u16_sdwa s0, v18, v31 src0_sel:BYTE_1 src1_sel:DWORD
	v_bfrev_b32_e32 v57, 1
	s_and_saveexec_b32 s22, s0
	s_cbranch_execz .LBB350_374
; %bb.369:                              ;   in Loop: Header=BB350_298 Depth=1
	v_and_b32_sdwa v9, v34, v18 dst_sel:DWORD dst_unused:UNUSED_PAD src0_sel:DWORD src1_sel:BYTE_1
	v_mov_b32_e32 v57, 0x7f800001
	s_mov_b32 s24, exec_lo
	v_and_b32_e32 v21, 0x7f, v9
	v_cmpx_ne_u32_e32 0x7f, v21
	s_cbranch_execz .LBB350_373
; %bb.370:                              ;   in Loop: Header=BB350_298 Depth=1
	v_and_b32_e32 v9, 7, v9
	v_lshrrev_b32_e32 v20, 3, v21
	s_mov_b32 s25, exec_lo
	v_cmpx_gt_u32_e32 8, v21
; %bb.371:                              ;   in Loop: Header=BB350_298 Depth=1
	v_ffbh_u32_e32 v20, v9
	v_min_u32_e32 v20, 32, v20
	v_subrev_nc_u32_e32 v21, 28, v20
	v_sub_nc_u32_e32 v20, 29, v20
	v_lshlrev_b64 v[56:57], v21, v[9:10]
	v_and_b32_e32 v9, 7, v56
; %bb.372:                              ;   in Loop: Header=BB350_298 Depth=1
	s_or_b32 exec_lo, exec_lo, s25
	v_lshlrev_b32_e32 v21, 16, v18
	v_lshlrev_b32_e32 v9, 20, v9
	v_lshl_add_u32 v20, v20, 23, 0x3c000000
	v_and_b32_e32 v21, 0x80000000, v21
	v_or3_b32 v57, v9, v21, v20
.LBB350_373:                            ;   in Loop: Header=BB350_298 Depth=1
	s_or_b32 exec_lo, exec_lo, s24
.LBB350_374:                            ;   in Loop: Header=BB350_298 Depth=1
	s_or_b32 exec_lo, exec_lo, s22
.LBB350_375:                            ;   in Loop: Header=BB350_298 Depth=1
	s_or_b32 exec_lo, exec_lo, s21
	v_and_b32_sdwa v9, v18, v35 dst_sel:DWORD dst_unused:UNUSED_PAD src0_sel:WORD_1 src1_sel:DWORD
	v_mov_b32_e32 v59, 0
	v_mov_b32_e32 v56, 0
	s_mov_b32 s21, exec_lo
	v_cmpx_ne_u16_e32 0, v9
	s_cbranch_execz .LBB350_383
; %bb.376:                              ;   in Loop: Header=BB350_298 Depth=1
	v_bfrev_b32_e32 v56, 1
	s_mov_b32 s22, exec_lo
	v_cmpx_ne_u16_e32 0x80, v9
	s_cbranch_execz .LBB350_382
; %bb.377:                              ;   in Loop: Header=BB350_298 Depth=1
	v_bfe_u32 v21, v18, 16, 7
	v_mov_b32_e32 v56, 0x7f800001
	s_mov_b32 s24, exec_lo
	v_cmpx_ne_u32_e32 0x7f, v21
	s_cbranch_execz .LBB350_381
; %bb.378:                              ;   in Loop: Header=BB350_298 Depth=1
	v_and_b32_sdwa v9, v18, v36 dst_sel:DWORD dst_unused:UNUSED_PAD src0_sel:WORD_1 src1_sel:DWORD
	v_lshrrev_b32_e32 v20, 3, v21
	s_mov_b32 s25, exec_lo
	v_cmpx_gt_u32_e32 8, v21
; %bb.379:                              ;   in Loop: Header=BB350_298 Depth=1
	v_ffbh_u32_e32 v20, v9
	v_min_u32_e32 v20, 32, v20
	v_subrev_nc_u32_e32 v21, 28, v20
	v_sub_nc_u32_e32 v20, 29, v20
	v_lshlrev_b64 v[60:61], v21, v[9:10]
	v_and_b32_e32 v9, 7, v60
; %bb.380:                              ;   in Loop: Header=BB350_298 Depth=1
	s_or_b32 exec_lo, exec_lo, s25
	v_lshlrev_b32_sdwa v21, v37, v18 dst_sel:DWORD dst_unused:UNUSED_PAD src0_sel:DWORD src1_sel:WORD_1
	v_lshlrev_b32_e32 v9, 20, v9
	v_lshl_add_u32 v20, v20, 23, 0x3c000000
	v_and_b32_e32 v21, 0x80000000, v21
	v_or3_b32 v56, v9, v21, v20
.LBB350_381:                            ;   in Loop: Header=BB350_298 Depth=1
	s_or_b32 exec_lo, exec_lo, s24
.LBB350_382:                            ;   in Loop: Header=BB350_298 Depth=1
	s_or_b32 exec_lo, exec_lo, s22
.LBB350_383:                            ;   in Loop: Header=BB350_298 Depth=1
	s_or_b32 exec_lo, exec_lo, s21
	s_mov_b32 s21, exec_lo
	v_cmpx_lt_u32_e32 0xffffff, v18
	s_cbranch_execz .LBB350_391
; %bb.384:                              ;   in Loop: Header=BB350_298 Depth=1
	v_cmp_ne_u32_sdwa s0, v18, v31 src0_sel:BYTE_3 src1_sel:DWORD
	v_bfrev_b32_e32 v59, 1
	s_and_saveexec_b32 s22, s0
	s_cbranch_execz .LBB350_390
; %bb.385:                              ;   in Loop: Header=BB350_298 Depth=1
	v_bfe_u32 v21, v18, 24, 7
	v_mov_b32_e32 v59, 0x7f800001
	s_mov_b32 s24, exec_lo
	v_cmpx_ne_u32_e32 0x7f, v21
	s_cbranch_execz .LBB350_389
; %bb.386:                              ;   in Loop: Header=BB350_298 Depth=1
	v_and_b32_sdwa v9, v18, v36 dst_sel:DWORD dst_unused:UNUSED_PAD src0_sel:BYTE_3 src1_sel:DWORD
	v_lshrrev_b32_e32 v20, 3, v21
	s_mov_b32 s25, exec_lo
	v_cmpx_gt_u32_e32 8, v21
; %bb.387:                              ;   in Loop: Header=BB350_298 Depth=1
	v_ffbh_u32_e32 v20, v9
	v_min_u32_e32 v20, 32, v20
	v_subrev_nc_u32_e32 v21, 28, v20
	v_sub_nc_u32_e32 v20, 29, v20
	v_lshlrev_b64 v[59:60], v21, v[9:10]
	v_and_b32_e32 v9, 7, v59
; %bb.388:                              ;   in Loop: Header=BB350_298 Depth=1
	s_or_b32 exec_lo, exec_lo, s25
	v_lshlrev_b32_sdwa v21, v37, v18 dst_sel:DWORD dst_unused:UNUSED_PAD src0_sel:DWORD src1_sel:BYTE_3
	v_lshlrev_b32_e32 v9, 20, v9
	v_lshl_add_u32 v20, v20, 23, 0x3c000000
	v_and_b32_e32 v21, 0x80000000, v21
	v_or3_b32 v59, v9, v21, v20
.LBB350_389:                            ;   in Loop: Header=BB350_298 Depth=1
	s_or_b32 exec_lo, exec_lo, s24
.LBB350_390:                            ;   in Loop: Header=BB350_298 Depth=1
	s_or_b32 exec_lo, exec_lo, s22
.LBB350_391:                            ;   in Loop: Header=BB350_298 Depth=1
	s_or_b32 exec_lo, exec_lo, s21
	v_mov_b32_e32 v9, v19
	v_cmp_ne_u16_sdwa s0, v19, v10 src0_sel:BYTE_0 src1_sel:DWORD
	v_mov_b32_e32 v20, 0
	v_mov_b32_e32 v60, 0
	s_and_saveexec_b32 s21, s0
	s_cbranch_execz .LBB350_397
; %bb.392:                              ;   in Loop: Header=BB350_298 Depth=1
	v_cmp_ne_u16_sdwa s0, v19, v31 src0_sel:BYTE_0 src1_sel:DWORD
	v_bfrev_b32_e32 v60, 1
	s_and_saveexec_b32 s22, s0
	s_cbranch_execz .LBB350_396
; %bb.393:                              ;   in Loop: Header=BB350_298 Depth=1
	v_and_b32_e32 v21, 0x7f, v19
	v_mov_b32_e32 v60, 0x7f800001
	s_mov_b32 s24, exec_lo
	v_cmpx_ne_u32_e32 0x7f, v21
	s_cbranch_execz .LBB350_395
; %bb.394:                              ;   in Loop: Header=BB350_298 Depth=1
	v_and_b32_e32 v60, 7, v19
	v_lshrrev_b32_e32 v61, 3, v21
	v_cmp_gt_u32_e64 s0, 8, v21
	v_ffbh_u32_e32 v60, v60
	v_min_u32_e32 v60, 32, v60
	v_subrev_nc_u32_e32 v62, 28, v60
	v_sub_nc_u32_e32 v60, 29, v60
	v_cndmask_b32_e64 v21, v61, v60, s0
	v_cndmask_b32_e64 v60, 0, v62, s0
	v_lshl_add_u32 v21, v21, 23, 0x3c000000
	v_lshlrev_b64 v[60:61], v60, v[9:10]
	v_lshlrev_b32_e32 v61, 24, v9
	v_lshlrev_b32_e32 v60, 20, v60
	v_and_b32_e32 v61, 0x80000000, v61
	v_and_b32_e32 v60, 0x700000, v60
	v_or3_b32 v60, v60, v61, v21
.LBB350_395:                            ;   in Loop: Header=BB350_298 Depth=1
	s_or_b32 exec_lo, exec_lo, s24
.LBB350_396:                            ;   in Loop: Header=BB350_298 Depth=1
	s_or_b32 exec_lo, exec_lo, s22
.LBB350_397:                            ;   in Loop: Header=BB350_298 Depth=1
	s_or_b32 exec_lo, exec_lo, s21
	v_cmp_ne_u16_sdwa s0, v9, v10 src0_sel:BYTE_1 src1_sel:DWORD
	s_and_saveexec_b32 s21, s0
	s_cbranch_execz .LBB350_405
; %bb.398:                              ;   in Loop: Header=BB350_298 Depth=1
	v_cmp_ne_u16_sdwa s0, v9, v31 src0_sel:BYTE_1 src1_sel:DWORD
	v_bfrev_b32_e32 v20, 1
	s_and_saveexec_b32 s22, s0
	s_cbranch_execz .LBB350_404
; %bb.399:                              ;   in Loop: Header=BB350_298 Depth=1
	v_and_b32_sdwa v21, v34, v9 dst_sel:DWORD dst_unused:UNUSED_PAD src0_sel:DWORD src1_sel:BYTE_1
	v_mov_b32_e32 v20, 0x7f800001
	s_mov_b32 s24, exec_lo
	v_and_b32_e32 v62, 0x7f, v21
	v_cmpx_ne_u32_e32 0x7f, v62
	s_cbranch_execz .LBB350_403
; %bb.400:                              ;   in Loop: Header=BB350_298 Depth=1
	v_and_b32_e32 v20, 7, v21
	v_mov_b32_e32 v21, v10
	v_lshrrev_b32_e32 v61, 3, v62
	s_mov_b32 s25, exec_lo
	v_cmpx_gt_u32_e32 8, v62
; %bb.401:                              ;   in Loop: Header=BB350_298 Depth=1
	v_ffbh_u32_e32 v61, v20
	v_min_u32_e32 v61, 32, v61
	v_subrev_nc_u32_e32 v62, 28, v61
	v_sub_nc_u32_e32 v61, 29, v61
	v_lshlrev_b64 v[20:21], v62, v[20:21]
	v_and_b32_e32 v20, 7, v20
; %bb.402:                              ;   in Loop: Header=BB350_298 Depth=1
	s_or_b32 exec_lo, exec_lo, s25
	v_lshlrev_b32_e32 v9, 16, v9
	v_lshlrev_b32_e32 v20, 20, v20
	v_lshl_add_u32 v21, v61, 23, 0x3c000000
	v_and_b32_e32 v9, 0x80000000, v9
	v_or3_b32 v20, v20, v9, v21
.LBB350_403:                            ;   in Loop: Header=BB350_298 Depth=1
	s_or_b32 exec_lo, exec_lo, s24
.LBB350_404:                            ;   in Loop: Header=BB350_298 Depth=1
	s_or_b32 exec_lo, exec_lo, s22
.LBB350_405:                            ;   in Loop: Header=BB350_298 Depth=1
	s_or_b32 exec_lo, exec_lo, s21
	v_and_b32_sdwa v9, v19, v35 dst_sel:DWORD dst_unused:UNUSED_PAD src0_sel:WORD_1 src1_sel:DWORD
	v_mov_b32_e32 v21, 0
	v_mov_b32_e32 v61, 0
	s_mov_b32 s21, exec_lo
	v_cmpx_ne_u16_e32 0, v9
	s_cbranch_execz .LBB350_413
; %bb.406:                              ;   in Loop: Header=BB350_298 Depth=1
	v_bfrev_b32_e32 v61, 1
	s_mov_b32 s22, exec_lo
	v_cmpx_ne_u16_e32 0x80, v9
	s_cbranch_execz .LBB350_412
; %bb.407:                              ;   in Loop: Header=BB350_298 Depth=1
	v_bfe_u32 v62, v19, 16, 7
	v_mov_b32_e32 v61, 0x7f800001
	s_mov_b32 s24, exec_lo
	v_cmpx_ne_u32_e32 0x7f, v62
	s_cbranch_execz .LBB350_411
; %bb.408:                              ;   in Loop: Header=BB350_298 Depth=1
	v_and_b32_sdwa v9, v19, v36 dst_sel:DWORD dst_unused:UNUSED_PAD src0_sel:WORD_1 src1_sel:DWORD
	v_lshrrev_b32_e32 v61, 3, v62
	s_mov_b32 s25, exec_lo
	v_cmpx_gt_u32_e32 8, v62
; %bb.409:                              ;   in Loop: Header=BB350_298 Depth=1
	v_ffbh_u32_e32 v61, v9
	v_min_u32_e32 v61, 32, v61
	v_subrev_nc_u32_e32 v62, 28, v61
	v_sub_nc_u32_e32 v61, 29, v61
	v_lshlrev_b64 v[62:63], v62, v[9:10]
	v_and_b32_e32 v9, 7, v62
; %bb.410:                              ;   in Loop: Header=BB350_298 Depth=1
	s_or_b32 exec_lo, exec_lo, s25
	v_lshlrev_b32_sdwa v62, v37, v19 dst_sel:DWORD dst_unused:UNUSED_PAD src0_sel:DWORD src1_sel:WORD_1
	v_lshlrev_b32_e32 v9, 20, v9
	v_lshl_add_u32 v61, v61, 23, 0x3c000000
	v_and_b32_e32 v62, 0x80000000, v62
	v_or3_b32 v61, v9, v62, v61
.LBB350_411:                            ;   in Loop: Header=BB350_298 Depth=1
	s_or_b32 exec_lo, exec_lo, s24
.LBB350_412:                            ;   in Loop: Header=BB350_298 Depth=1
	s_or_b32 exec_lo, exec_lo, s22
.LBB350_413:                            ;   in Loop: Header=BB350_298 Depth=1
	s_or_b32 exec_lo, exec_lo, s21
	s_mov_b32 s21, exec_lo
	v_cmpx_lt_u64_e64 s[4:5], v[18:19]
	s_cbranch_execz .LBB350_421
; %bb.414:                              ;   in Loop: Header=BB350_298 Depth=1
	v_cmp_ne_u32_sdwa s0, v19, v31 src0_sel:BYTE_3 src1_sel:DWORD
	v_bfrev_b32_e32 v21, 1
	s_and_saveexec_b32 s22, s0
	s_cbranch_execz .LBB350_420
; %bb.415:                              ;   in Loop: Header=BB350_298 Depth=1
	v_bfe_u32 v62, v19, 24, 7
	v_mov_b32_e32 v21, 0x7f800001
	s_mov_b32 s24, exec_lo
	v_cmpx_ne_u32_e32 0x7f, v62
	s_cbranch_execz .LBB350_419
; %bb.416:                              ;   in Loop: Header=BB350_298 Depth=1
	v_and_b32_sdwa v9, v19, v36 dst_sel:DWORD dst_unused:UNUSED_PAD src0_sel:BYTE_3 src1_sel:DWORD
	v_lshrrev_b32_e32 v18, 3, v62
	s_mov_b32 s25, exec_lo
	v_cmpx_gt_u32_e32 8, v62
; %bb.417:                              ;   in Loop: Header=BB350_298 Depth=1
	v_ffbh_u32_e32 v18, v9
	v_min_u32_e32 v18, 32, v18
	v_subrev_nc_u32_e32 v21, 28, v18
	v_sub_nc_u32_e32 v18, 29, v18
	v_lshlrev_b64 v[62:63], v21, v[9:10]
	v_and_b32_e32 v9, 7, v62
; %bb.418:                              ;   in Loop: Header=BB350_298 Depth=1
	s_or_b32 exec_lo, exec_lo, s25
	v_lshlrev_b32_sdwa v19, v37, v19 dst_sel:DWORD dst_unused:UNUSED_PAD src0_sel:DWORD src1_sel:BYTE_3
	v_lshlrev_b32_e32 v9, 20, v9
	v_lshl_add_u32 v18, v18, 23, 0x3c000000
	v_and_b32_e32 v19, 0x80000000, v19
	v_or3_b32 v21, v9, v19, v18
.LBB350_419:                            ;   in Loop: Header=BB350_298 Depth=1
	s_or_b32 exec_lo, exec_lo, s24
.LBB350_420:                            ;   in Loop: Header=BB350_298 Depth=1
	s_or_b32 exec_lo, exec_lo, s22
.LBB350_421:                            ;   in Loop: Header=BB350_298 Depth=1
	s_or_b32 exec_lo, exec_lo, s21
	v_mul_f32_e32 v9, s18, v20
	v_mul_f32_e32 v18, s18, v60
	;; [unrolled: 1-line block ×5, first 2 shown]
	v_bfe_u32 v56, v9, 16, 1
	v_or_b32_e32 v59, 0x400000, v9
	v_bfe_u32 v60, v18, 16, 1
	v_cmp_u_f32_e64 s0, v9, v9
	v_or_b32_e32 v62, 0x400000, v18
	v_add3_u32 v56, v56, v9, 0x7fff
	v_bfe_u32 v63, v19, 16, 1
	v_add3_u32 v60, v60, v18, 0x7fff
	v_or_b32_e32 v64, 0x400000, v19
	v_bfe_u32 v65, v20, 16, 1
	v_cndmask_b32_e64 v9, v56, v59, s0
	v_cmp_u_f32_e64 s0, v18, v18
	v_add3_u32 v63, v63, v19, 0x7fff
	v_lshrrev_b32_e32 v56, 16, v9
	v_cndmask_b32_e64 v18, v60, v62, s0
	v_cmp_u_f32_e64 s0, v19, v19
	v_mul_f32_e32 v9, s18, v57
	v_add3_u32 v60, v65, v20, 0x7fff
	v_or_b32_e32 v62, 0x400000, v20
	v_lshrrev_b32_e32 v57, 16, v18
	v_cndmask_b32_e64 v19, v63, v64, s0
	v_bfe_u32 v18, v9, 16, 1
	v_cmp_u_f32_e64 s0, v20, v20
	v_mul_f32_e32 v20, s18, v58
	v_mul_f32_e32 v58, s18, v61
	v_lshrrev_b32_e32 v59, 16, v19
	v_add3_u32 v18, v18, v9, 0x7fff
	v_cndmask_b32_e64 v19, v60, v62, s0
	v_or_b32_e32 v60, 0x400000, v9
	v_bfe_u32 v61, v20, 16, 1
	v_cmp_u_f32_e64 s0, v9, v9
	v_bfe_u32 v62, v58, 16, 1
	v_or_b32_e32 v63, 0x400000, v58
	v_or_b32_e32 v64, 0x400000, v21
	v_cndmask_b32_e64 v9, v18, v60, s0
	v_add3_u32 v60, v61, v20, 0x7fff
	v_or_b32_e32 v61, 0x400000, v20
	v_cmp_u_f32_e64 s0, v20, v20
	v_bfe_u32 v18, v21, 16, 1
	v_add3_u32 v62, v62, v58, 0x7fff
	v_cndmask_b32_e64 v20, v60, v61, s0
	v_cmp_u_f32_e64 s0, v58, v58
	v_add3_u32 v18, v18, v21, 0x7fff
	v_lshrrev_b32_e32 v61, 16, v19
	v_cndmask_b32_e64 v58, v62, v63, s0
	v_cmp_u_f32_e64 s0, v21, v21
	v_lshrrev_b32_e32 v63, 16, v9
	v_lshrrev_b32_e32 v62, 16, v20
	;; [unrolled: 1-line block ×3, first 2 shown]
	v_cndmask_b32_e64 v18, v18, v64, s0
	v_lshrrev_b32_e32 v60, 16, v18
	s_and_saveexec_b32 s21, vcc_lo
	s_cbranch_execz .LBB350_423
; %bb.422:                              ;   in Loop: Header=BB350_298 Depth=1
	v_cmp_gt_i32_e64 s0, s31, v48
	v_cndmask_b32_e64 v62, 0, v62, s0
	v_cmp_gt_i32_e64 s0, s31, v55
	v_cndmask_b32_e64 v63, 0, v63, s0
	;; [unrolled: 2-line block ×8, first 2 shown]
.LBB350_423:                            ;   in Loop: Header=BB350_298 Depth=1
	s_or_b32 exec_lo, exec_lo, s21
	global_load_dwordx2 v[18:19], v[15:16], off offset:512
	v_mov_b32_e32 v65, 0
	v_mov_b32_e32 v64, 0
	s_waitcnt vmcnt(0)
	v_cmp_ne_u16_sdwa s0, v18, v10 src0_sel:BYTE_0 src1_sel:DWORD
	s_and_saveexec_b32 s21, s0
	s_cbranch_execz .LBB350_429
; %bb.424:                              ;   in Loop: Header=BB350_298 Depth=1
	v_cmp_ne_u16_sdwa s0, v18, v31 src0_sel:BYTE_0 src1_sel:DWORD
	v_bfrev_b32_e32 v64, 1
	s_and_saveexec_b32 s22, s0
	s_cbranch_execz .LBB350_428
; %bb.425:                              ;   in Loop: Header=BB350_298 Depth=1
	v_and_b32_e32 v9, 0x7f, v18
	v_mov_b32_e32 v64, 0x7f800001
	s_mov_b32 s24, exec_lo
	v_cmpx_ne_u32_e32 0x7f, v9
	s_cbranch_execz .LBB350_427
; %bb.426:                              ;   in Loop: Header=BB350_298 Depth=1
	v_and_b32_e32 v20, 7, v18
	v_lshrrev_b32_e32 v21, 3, v9
	v_cmp_gt_u32_e64 s0, 8, v9
	v_ffbh_u32_e32 v20, v20
	v_min_u32_e32 v20, 32, v20
	v_subrev_nc_u32_e32 v64, 28, v20
	v_sub_nc_u32_e32 v20, 29, v20
	v_cndmask_b32_e64 v9, v21, v20, s0
	v_cndmask_b32_e64 v20, 0, v64, s0
	v_lshl_add_u32 v9, v9, 23, 0x3c000000
	v_lshlrev_b64 v[20:21], v20, v[18:19]
	v_lshlrev_b32_e32 v21, 24, v18
	v_lshlrev_b32_e32 v20, 20, v20
	v_and_b32_e32 v21, 0x80000000, v21
	v_and_b32_e32 v20, 0x700000, v20
	v_or3_b32 v64, v20, v21, v9
.LBB350_427:                            ;   in Loop: Header=BB350_298 Depth=1
	s_or_b32 exec_lo, exec_lo, s24
.LBB350_428:                            ;   in Loop: Header=BB350_298 Depth=1
	s_or_b32 exec_lo, exec_lo, s22
.LBB350_429:                            ;   in Loop: Header=BB350_298 Depth=1
	s_or_b32 exec_lo, exec_lo, s21
	v_cmp_ne_u16_sdwa s0, v18, v10 src0_sel:BYTE_1 src1_sel:DWORD
	s_and_saveexec_b32 s21, s0
	s_cbranch_execz .LBB350_437
; %bb.430:                              ;   in Loop: Header=BB350_298 Depth=1
	v_cmp_ne_u16_sdwa s0, v18, v31 src0_sel:BYTE_1 src1_sel:DWORD
	v_bfrev_b32_e32 v65, 1
	s_and_saveexec_b32 s22, s0
	s_cbranch_execz .LBB350_436
; %bb.431:                              ;   in Loop: Header=BB350_298 Depth=1
	v_and_b32_sdwa v9, v34, v18 dst_sel:DWORD dst_unused:UNUSED_PAD src0_sel:DWORD src1_sel:BYTE_1
	v_mov_b32_e32 v65, 0x7f800001
	s_mov_b32 s24, exec_lo
	v_and_b32_e32 v21, 0x7f, v9
	v_cmpx_ne_u32_e32 0x7f, v21
	s_cbranch_execz .LBB350_435
; %bb.432:                              ;   in Loop: Header=BB350_298 Depth=1
	v_and_b32_e32 v9, 7, v9
	v_lshrrev_b32_e32 v20, 3, v21
	s_mov_b32 s25, exec_lo
	v_cmpx_gt_u32_e32 8, v21
; %bb.433:                              ;   in Loop: Header=BB350_298 Depth=1
	v_ffbh_u32_e32 v20, v9
	v_min_u32_e32 v20, 32, v20
	v_subrev_nc_u32_e32 v21, 28, v20
	v_sub_nc_u32_e32 v20, 29, v20
	v_lshlrev_b64 v[65:66], v21, v[9:10]
	v_and_b32_e32 v9, 7, v65
; %bb.434:                              ;   in Loop: Header=BB350_298 Depth=1
	s_or_b32 exec_lo, exec_lo, s25
	v_lshlrev_b32_e32 v21, 16, v18
	v_lshlrev_b32_e32 v9, 20, v9
	v_lshl_add_u32 v20, v20, 23, 0x3c000000
	v_and_b32_e32 v21, 0x80000000, v21
	v_or3_b32 v65, v9, v21, v20
.LBB350_435:                            ;   in Loop: Header=BB350_298 Depth=1
	s_or_b32 exec_lo, exec_lo, s24
.LBB350_436:                            ;   in Loop: Header=BB350_298 Depth=1
	s_or_b32 exec_lo, exec_lo, s22
.LBB350_437:                            ;   in Loop: Header=BB350_298 Depth=1
	s_or_b32 exec_lo, exec_lo, s21
	v_and_b32_sdwa v9, v18, v35 dst_sel:DWORD dst_unused:UNUSED_PAD src0_sel:WORD_1 src1_sel:DWORD
	v_mov_b32_e32 v67, 0
	v_mov_b32_e32 v66, 0
	s_mov_b32 s21, exec_lo
	v_cmpx_ne_u16_e32 0, v9
	s_cbranch_execz .LBB350_445
; %bb.438:                              ;   in Loop: Header=BB350_298 Depth=1
	v_bfrev_b32_e32 v66, 1
	s_mov_b32 s22, exec_lo
	v_cmpx_ne_u16_e32 0x80, v9
	s_cbranch_execz .LBB350_444
; %bb.439:                              ;   in Loop: Header=BB350_298 Depth=1
	v_bfe_u32 v21, v18, 16, 7
	v_mov_b32_e32 v66, 0x7f800001
	s_mov_b32 s24, exec_lo
	v_cmpx_ne_u32_e32 0x7f, v21
	s_cbranch_execz .LBB350_443
; %bb.440:                              ;   in Loop: Header=BB350_298 Depth=1
	v_and_b32_sdwa v9, v18, v36 dst_sel:DWORD dst_unused:UNUSED_PAD src0_sel:WORD_1 src1_sel:DWORD
	v_lshrrev_b32_e32 v20, 3, v21
	s_mov_b32 s25, exec_lo
	v_cmpx_gt_u32_e32 8, v21
; %bb.441:                              ;   in Loop: Header=BB350_298 Depth=1
	v_ffbh_u32_e32 v20, v9
	v_min_u32_e32 v20, 32, v20
	v_subrev_nc_u32_e32 v21, 28, v20
	v_sub_nc_u32_e32 v20, 29, v20
	v_lshlrev_b64 v[68:69], v21, v[9:10]
	v_and_b32_e32 v9, 7, v68
; %bb.442:                              ;   in Loop: Header=BB350_298 Depth=1
	s_or_b32 exec_lo, exec_lo, s25
	v_lshlrev_b32_sdwa v21, v37, v18 dst_sel:DWORD dst_unused:UNUSED_PAD src0_sel:DWORD src1_sel:WORD_1
	v_lshlrev_b32_e32 v9, 20, v9
	v_lshl_add_u32 v20, v20, 23, 0x3c000000
	v_and_b32_e32 v21, 0x80000000, v21
	v_or3_b32 v66, v9, v21, v20
.LBB350_443:                            ;   in Loop: Header=BB350_298 Depth=1
	s_or_b32 exec_lo, exec_lo, s24
.LBB350_444:                            ;   in Loop: Header=BB350_298 Depth=1
	s_or_b32 exec_lo, exec_lo, s22
.LBB350_445:                            ;   in Loop: Header=BB350_298 Depth=1
	s_or_b32 exec_lo, exec_lo, s21
	s_mov_b32 s21, exec_lo
	v_cmpx_lt_u32_e32 0xffffff, v18
	s_cbranch_execz .LBB350_453
; %bb.446:                              ;   in Loop: Header=BB350_298 Depth=1
	v_cmp_ne_u32_sdwa s0, v18, v31 src0_sel:BYTE_3 src1_sel:DWORD
	v_bfrev_b32_e32 v67, 1
	s_and_saveexec_b32 s22, s0
	s_cbranch_execz .LBB350_452
; %bb.447:                              ;   in Loop: Header=BB350_298 Depth=1
	v_bfe_u32 v21, v18, 24, 7
	v_mov_b32_e32 v67, 0x7f800001
	s_mov_b32 s24, exec_lo
	v_cmpx_ne_u32_e32 0x7f, v21
	s_cbranch_execz .LBB350_451
; %bb.448:                              ;   in Loop: Header=BB350_298 Depth=1
	v_and_b32_sdwa v9, v18, v36 dst_sel:DWORD dst_unused:UNUSED_PAD src0_sel:BYTE_3 src1_sel:DWORD
	v_lshrrev_b32_e32 v20, 3, v21
	s_mov_b32 s25, exec_lo
	v_cmpx_gt_u32_e32 8, v21
; %bb.449:                              ;   in Loop: Header=BB350_298 Depth=1
	v_ffbh_u32_e32 v20, v9
	v_min_u32_e32 v20, 32, v20
	v_subrev_nc_u32_e32 v21, 28, v20
	v_sub_nc_u32_e32 v20, 29, v20
	v_lshlrev_b64 v[67:68], v21, v[9:10]
	v_and_b32_e32 v9, 7, v67
; %bb.450:                              ;   in Loop: Header=BB350_298 Depth=1
	s_or_b32 exec_lo, exec_lo, s25
	v_lshlrev_b32_sdwa v21, v37, v18 dst_sel:DWORD dst_unused:UNUSED_PAD src0_sel:DWORD src1_sel:BYTE_3
	v_lshlrev_b32_e32 v9, 20, v9
	v_lshl_add_u32 v20, v20, 23, 0x3c000000
	v_and_b32_e32 v21, 0x80000000, v21
	v_or3_b32 v67, v9, v21, v20
.LBB350_451:                            ;   in Loop: Header=BB350_298 Depth=1
	s_or_b32 exec_lo, exec_lo, s24
.LBB350_452:                            ;   in Loop: Header=BB350_298 Depth=1
	s_or_b32 exec_lo, exec_lo, s22
.LBB350_453:                            ;   in Loop: Header=BB350_298 Depth=1
	s_or_b32 exec_lo, exec_lo, s21
	v_mov_b32_e32 v9, v19
	v_cmp_ne_u16_sdwa s0, v19, v10 src0_sel:BYTE_0 src1_sel:DWORD
	v_mov_b32_e32 v20, 0
	v_mov_b32_e32 v68, 0
	s_and_saveexec_b32 s21, s0
	s_cbranch_execz .LBB350_459
; %bb.454:                              ;   in Loop: Header=BB350_298 Depth=1
	v_cmp_ne_u16_sdwa s0, v19, v31 src0_sel:BYTE_0 src1_sel:DWORD
	v_bfrev_b32_e32 v68, 1
	s_and_saveexec_b32 s22, s0
	s_cbranch_execz .LBB350_458
; %bb.455:                              ;   in Loop: Header=BB350_298 Depth=1
	v_and_b32_e32 v21, 0x7f, v19
	v_mov_b32_e32 v68, 0x7f800001
	s_mov_b32 s24, exec_lo
	v_cmpx_ne_u32_e32 0x7f, v21
	s_cbranch_execz .LBB350_457
; %bb.456:                              ;   in Loop: Header=BB350_298 Depth=1
	v_and_b32_e32 v68, 7, v19
	v_lshrrev_b32_e32 v69, 3, v21
	v_cmp_gt_u32_e64 s0, 8, v21
	v_ffbh_u32_e32 v68, v68
	v_min_u32_e32 v68, 32, v68
	v_subrev_nc_u32_e32 v70, 28, v68
	v_sub_nc_u32_e32 v68, 29, v68
	v_cndmask_b32_e64 v21, v69, v68, s0
	v_cndmask_b32_e64 v68, 0, v70, s0
	v_lshl_add_u32 v21, v21, 23, 0x3c000000
	v_lshlrev_b64 v[68:69], v68, v[9:10]
	v_lshlrev_b32_e32 v69, 24, v9
	v_lshlrev_b32_e32 v68, 20, v68
	v_and_b32_e32 v69, 0x80000000, v69
	v_and_b32_e32 v68, 0x700000, v68
	v_or3_b32 v68, v68, v69, v21
.LBB350_457:                            ;   in Loop: Header=BB350_298 Depth=1
	s_or_b32 exec_lo, exec_lo, s24
.LBB350_458:                            ;   in Loop: Header=BB350_298 Depth=1
	s_or_b32 exec_lo, exec_lo, s22
.LBB350_459:                            ;   in Loop: Header=BB350_298 Depth=1
	s_or_b32 exec_lo, exec_lo, s21
	v_cmp_ne_u16_sdwa s0, v9, v10 src0_sel:BYTE_1 src1_sel:DWORD
	s_and_saveexec_b32 s21, s0
	s_cbranch_execz .LBB350_467
; %bb.460:                              ;   in Loop: Header=BB350_298 Depth=1
	v_cmp_ne_u16_sdwa s0, v9, v31 src0_sel:BYTE_1 src1_sel:DWORD
	v_bfrev_b32_e32 v20, 1
	s_and_saveexec_b32 s22, s0
	s_cbranch_execz .LBB350_466
; %bb.461:                              ;   in Loop: Header=BB350_298 Depth=1
	v_and_b32_sdwa v21, v34, v9 dst_sel:DWORD dst_unused:UNUSED_PAD src0_sel:DWORD src1_sel:BYTE_1
	v_mov_b32_e32 v20, 0x7f800001
	s_mov_b32 s24, exec_lo
	v_and_b32_e32 v70, 0x7f, v21
	v_cmpx_ne_u32_e32 0x7f, v70
	s_cbranch_execz .LBB350_465
; %bb.462:                              ;   in Loop: Header=BB350_298 Depth=1
	v_and_b32_e32 v20, 7, v21
	v_mov_b32_e32 v21, v10
	v_lshrrev_b32_e32 v69, 3, v70
	s_mov_b32 s25, exec_lo
	v_cmpx_gt_u32_e32 8, v70
; %bb.463:                              ;   in Loop: Header=BB350_298 Depth=1
	v_ffbh_u32_e32 v69, v20
	v_min_u32_e32 v69, 32, v69
	v_subrev_nc_u32_e32 v70, 28, v69
	v_sub_nc_u32_e32 v69, 29, v69
	v_lshlrev_b64 v[20:21], v70, v[20:21]
	v_and_b32_e32 v20, 7, v20
; %bb.464:                              ;   in Loop: Header=BB350_298 Depth=1
	s_or_b32 exec_lo, exec_lo, s25
	v_lshlrev_b32_e32 v9, 16, v9
	v_lshlrev_b32_e32 v20, 20, v20
	v_lshl_add_u32 v21, v69, 23, 0x3c000000
	v_and_b32_e32 v9, 0x80000000, v9
	v_or3_b32 v20, v20, v9, v21
.LBB350_465:                            ;   in Loop: Header=BB350_298 Depth=1
	s_or_b32 exec_lo, exec_lo, s24
.LBB350_466:                            ;   in Loop: Header=BB350_298 Depth=1
	s_or_b32 exec_lo, exec_lo, s22
.LBB350_467:                            ;   in Loop: Header=BB350_298 Depth=1
	s_or_b32 exec_lo, exec_lo, s21
	v_and_b32_sdwa v9, v19, v35 dst_sel:DWORD dst_unused:UNUSED_PAD src0_sel:WORD_1 src1_sel:DWORD
	v_mov_b32_e32 v69, 0
	v_mov_b32_e32 v70, 0
	s_mov_b32 s21, exec_lo
	v_cmpx_ne_u16_e32 0, v9
	s_cbranch_execz .LBB350_475
; %bb.468:                              ;   in Loop: Header=BB350_298 Depth=1
	v_bfrev_b32_e32 v70, 1
	s_mov_b32 s22, exec_lo
	v_cmpx_ne_u16_e32 0x80, v9
	s_cbranch_execz .LBB350_474
; %bb.469:                              ;   in Loop: Header=BB350_298 Depth=1
	v_bfe_u32 v71, v19, 16, 7
	v_mov_b32_e32 v70, 0x7f800001
	s_mov_b32 s24, exec_lo
	v_cmpx_ne_u32_e32 0x7f, v71
	s_cbranch_execz .LBB350_473
; %bb.470:                              ;   in Loop: Header=BB350_298 Depth=1
	v_and_b32_sdwa v9, v19, v36 dst_sel:DWORD dst_unused:UNUSED_PAD src0_sel:WORD_1 src1_sel:DWORD
	v_lshrrev_b32_e32 v21, 3, v71
	s_mov_b32 s25, exec_lo
	v_cmpx_gt_u32_e32 8, v71
; %bb.471:                              ;   in Loop: Header=BB350_298 Depth=1
	v_ffbh_u32_e32 v21, v9
	v_min_u32_e32 v21, 32, v21
	v_subrev_nc_u32_e32 v70, 28, v21
	v_sub_nc_u32_e32 v21, 29, v21
	v_lshlrev_b64 v[70:71], v70, v[9:10]
	v_and_b32_e32 v9, 7, v70
; %bb.472:                              ;   in Loop: Header=BB350_298 Depth=1
	s_or_b32 exec_lo, exec_lo, s25
	v_lshlrev_b32_sdwa v70, v37, v19 dst_sel:DWORD dst_unused:UNUSED_PAD src0_sel:DWORD src1_sel:WORD_1
	v_lshlrev_b32_e32 v9, 20, v9
	v_lshl_add_u32 v21, v21, 23, 0x3c000000
	v_and_b32_e32 v70, 0x80000000, v70
	v_or3_b32 v70, v9, v70, v21
.LBB350_473:                            ;   in Loop: Header=BB350_298 Depth=1
	s_or_b32 exec_lo, exec_lo, s24
.LBB350_474:                            ;   in Loop: Header=BB350_298 Depth=1
	s_or_b32 exec_lo, exec_lo, s22
.LBB350_475:                            ;   in Loop: Header=BB350_298 Depth=1
	s_or_b32 exec_lo, exec_lo, s21
	s_mov_b32 s21, exec_lo
	v_cmpx_lt_u64_e64 s[4:5], v[18:19]
	s_cbranch_execz .LBB350_483
; %bb.476:                              ;   in Loop: Header=BB350_298 Depth=1
	v_cmp_ne_u32_sdwa s0, v19, v31 src0_sel:BYTE_3 src1_sel:DWORD
	v_bfrev_b32_e32 v69, 1
	s_and_saveexec_b32 s22, s0
	s_cbranch_execz .LBB350_482
; %bb.477:                              ;   in Loop: Header=BB350_298 Depth=1
	v_bfe_u32 v21, v19, 24, 7
	v_mov_b32_e32 v69, 0x7f800001
	s_mov_b32 s24, exec_lo
	v_cmpx_ne_u32_e32 0x7f, v21
	s_cbranch_execz .LBB350_481
; %bb.478:                              ;   in Loop: Header=BB350_298 Depth=1
	v_and_b32_sdwa v9, v19, v36 dst_sel:DWORD dst_unused:UNUSED_PAD src0_sel:BYTE_3 src1_sel:DWORD
	v_lshrrev_b32_e32 v18, 3, v21
	s_mov_b32 s25, exec_lo
	v_cmpx_gt_u32_e32 8, v21
; %bb.479:                              ;   in Loop: Header=BB350_298 Depth=1
	v_ffbh_u32_e32 v18, v9
	v_min_u32_e32 v18, 32, v18
	v_subrev_nc_u32_e32 v21, 28, v18
	v_sub_nc_u32_e32 v18, 29, v18
	v_lshlrev_b64 v[71:72], v21, v[9:10]
	v_and_b32_e32 v9, 7, v71
; %bb.480:                              ;   in Loop: Header=BB350_298 Depth=1
	s_or_b32 exec_lo, exec_lo, s25
	v_lshlrev_b32_sdwa v19, v37, v19 dst_sel:DWORD dst_unused:UNUSED_PAD src0_sel:DWORD src1_sel:BYTE_3
	v_lshlrev_b32_e32 v9, 20, v9
	v_lshl_add_u32 v18, v18, 23, 0x3c000000
	v_and_b32_e32 v19, 0x80000000, v19
	v_or3_b32 v69, v9, v19, v18
.LBB350_481:                            ;   in Loop: Header=BB350_298 Depth=1
	s_or_b32 exec_lo, exec_lo, s24
.LBB350_482:                            ;   in Loop: Header=BB350_298 Depth=1
	s_or_b32 exec_lo, exec_lo, s22
.LBB350_483:                            ;   in Loop: Header=BB350_298 Depth=1
	s_or_b32 exec_lo, exec_lo, s21
	v_mul_f32_e32 v9, s18, v20
	v_mul_f32_e32 v18, s18, v68
	;; [unrolled: 1-line block ×5, first 2 shown]
	v_bfe_u32 v20, v9, 16, 1
	v_or_b32_e32 v21, 0x400000, v9
	v_bfe_u32 v66, v18, 16, 1
	v_cmp_u_f32_e64 s0, v9, v9
	v_or_b32_e32 v68, 0x400000, v18
	v_add3_u32 v20, v20, v9, 0x7fff
	v_bfe_u32 v71, v19, 16, 1
	v_add3_u32 v66, v66, v18, 0x7fff
	v_or_b32_e32 v72, 0x400000, v19
	v_bfe_u32 v73, v67, 16, 1
	v_cndmask_b32_e64 v9, v20, v21, s0
	v_cmp_u_f32_e64 s0, v18, v18
	v_add3_u32 v71, v71, v19, 0x7fff
	v_lshrrev_b32_e32 v20, 16, v9
	v_cndmask_b32_e64 v18, v66, v68, s0
	v_cmp_u_f32_e64 s0, v19, v19
	v_mul_f32_e32 v9, s18, v65
	v_add3_u32 v65, v73, v67, 0x7fff
	v_or_b32_e32 v68, 0x400000, v67
	v_lshrrev_b32_e32 v21, 16, v18
	v_cndmask_b32_e64 v19, v71, v72, s0
	v_bfe_u32 v18, v9, 16, 1
	v_cmp_u_f32_e64 s0, v67, v67
	v_or_b32_e32 v67, 0x400000, v9
	v_lshrrev_b32_e32 v66, 16, v19
	v_add3_u32 v18, v18, v9, 0x7fff
	v_cndmask_b32_e64 v19, v65, v68, s0
	v_mul_f32_e32 v65, s18, v70
	v_mul_f32_e32 v68, s18, v69
	v_bfe_u32 v69, v64, 16, 1
	v_cmp_u_f32_e64 s0, v9, v9
	v_bfe_u32 v70, v65, 16, 1
	v_or_b32_e32 v71, 0x400000, v65
	v_or_b32_e32 v72, 0x400000, v68
	v_cndmask_b32_e64 v9, v18, v67, s0
	v_add3_u32 v67, v69, v64, 0x7fff
	v_or_b32_e32 v69, 0x400000, v64
	v_cmp_u_f32_e64 s0, v64, v64
	v_bfe_u32 v18, v68, 16, 1
	v_add3_u32 v70, v70, v65, 0x7fff
	v_cndmask_b32_e64 v64, v67, v69, s0
	v_cmp_u_f32_e64 s0, v65, v65
	v_add3_u32 v18, v18, v68, 0x7fff
	v_lshrrev_b32_e32 v67, 16, v19
	v_lshrrev_b32_e32 v69, 16, v9
	v_cndmask_b32_e64 v65, v70, v71, s0
	v_cmp_u_f32_e64 s0, v68, v68
	v_lshrrev_b32_e32 v68, 16, v64
	v_lshrrev_b32_e32 v64, 16, v65
	v_cndmask_b32_e64 v18, v18, v72, s0
	v_lshrrev_b32_e32 v65, 16, v18
	s_and_saveexec_b32 s21, vcc_lo
	s_cbranch_execz .LBB350_485
; %bb.484:                              ;   in Loop: Header=BB350_298 Depth=1
	v_cmp_gt_i32_e64 s0, s31, v48
	v_cndmask_b32_e64 v68, 0, v68, s0
	v_cmp_gt_i32_e64 s0, s31, v55
	v_cndmask_b32_e64 v69, 0, v69, s0
	;; [unrolled: 2-line block ×8, first 2 shown]
.LBB350_485:                            ;   in Loop: Header=BB350_298 Depth=1
	s_or_b32 exec_lo, exec_lo, s21
	global_load_dwordx2 v[15:16], v[15:16], off offset:768
	v_mov_b32_e32 v71, 0
	v_mov_b32_e32 v70, 0
	s_waitcnt vmcnt(0)
	v_cmp_ne_u16_sdwa s0, v15, v10 src0_sel:BYTE_0 src1_sel:DWORD
	s_and_saveexec_b32 s21, s0
	s_cbranch_execz .LBB350_491
; %bb.486:                              ;   in Loop: Header=BB350_298 Depth=1
	v_cmp_ne_u16_sdwa s0, v15, v31 src0_sel:BYTE_0 src1_sel:DWORD
	v_bfrev_b32_e32 v70, 1
	s_and_saveexec_b32 s22, s0
	s_cbranch_execz .LBB350_490
; %bb.487:                              ;   in Loop: Header=BB350_298 Depth=1
	v_and_b32_e32 v9, 0x7f, v15
	v_mov_b32_e32 v70, 0x7f800001
	s_mov_b32 s24, exec_lo
	v_cmpx_ne_u32_e32 0x7f, v9
	s_cbranch_execz .LBB350_489
; %bb.488:                              ;   in Loop: Header=BB350_298 Depth=1
	v_and_b32_e32 v18, 7, v15
	v_lshrrev_b32_e32 v19, 3, v9
	v_cmp_gt_u32_e64 s0, 8, v9
	v_ffbh_u32_e32 v18, v18
	v_min_u32_e32 v18, 32, v18
	v_subrev_nc_u32_e32 v70, 28, v18
	v_sub_nc_u32_e32 v18, 29, v18
	v_cndmask_b32_e64 v9, v19, v18, s0
	v_cndmask_b32_e64 v18, 0, v70, s0
	v_lshl_add_u32 v9, v9, 23, 0x3c000000
	v_lshlrev_b64 v[18:19], v18, v[15:16]
	v_lshlrev_b32_e32 v19, 24, v15
	v_lshlrev_b32_e32 v18, 20, v18
	v_and_b32_e32 v19, 0x80000000, v19
	v_and_b32_e32 v18, 0x700000, v18
	v_or3_b32 v70, v18, v19, v9
.LBB350_489:                            ;   in Loop: Header=BB350_298 Depth=1
	s_or_b32 exec_lo, exec_lo, s24
.LBB350_490:                            ;   in Loop: Header=BB350_298 Depth=1
	s_or_b32 exec_lo, exec_lo, s22
.LBB350_491:                            ;   in Loop: Header=BB350_298 Depth=1
	s_or_b32 exec_lo, exec_lo, s21
	v_cmp_ne_u16_sdwa s0, v15, v10 src0_sel:BYTE_1 src1_sel:DWORD
	s_and_saveexec_b32 s21, s0
	s_cbranch_execz .LBB350_499
; %bb.492:                              ;   in Loop: Header=BB350_298 Depth=1
	v_cmp_ne_u16_sdwa s0, v15, v31 src0_sel:BYTE_1 src1_sel:DWORD
	v_bfrev_b32_e32 v71, 1
	s_and_saveexec_b32 s22, s0
	s_cbranch_execz .LBB350_498
; %bb.493:                              ;   in Loop: Header=BB350_298 Depth=1
	v_and_b32_sdwa v9, v34, v15 dst_sel:DWORD dst_unused:UNUSED_PAD src0_sel:DWORD src1_sel:BYTE_1
	v_mov_b32_e32 v71, 0x7f800001
	s_mov_b32 s24, exec_lo
	v_and_b32_e32 v19, 0x7f, v9
	v_cmpx_ne_u32_e32 0x7f, v19
	s_cbranch_execz .LBB350_497
; %bb.494:                              ;   in Loop: Header=BB350_298 Depth=1
	v_and_b32_e32 v9, 7, v9
	v_lshrrev_b32_e32 v18, 3, v19
	s_mov_b32 s25, exec_lo
	v_cmpx_gt_u32_e32 8, v19
; %bb.495:                              ;   in Loop: Header=BB350_298 Depth=1
	v_ffbh_u32_e32 v18, v9
	v_min_u32_e32 v18, 32, v18
	v_subrev_nc_u32_e32 v19, 28, v18
	v_sub_nc_u32_e32 v18, 29, v18
	v_lshlrev_b64 v[71:72], v19, v[9:10]
	v_and_b32_e32 v9, 7, v71
; %bb.496:                              ;   in Loop: Header=BB350_298 Depth=1
	s_or_b32 exec_lo, exec_lo, s25
	v_lshlrev_b32_e32 v19, 16, v15
	v_lshlrev_b32_e32 v9, 20, v9
	v_lshl_add_u32 v18, v18, 23, 0x3c000000
	v_and_b32_e32 v19, 0x80000000, v19
	v_or3_b32 v71, v9, v19, v18
.LBB350_497:                            ;   in Loop: Header=BB350_298 Depth=1
	s_or_b32 exec_lo, exec_lo, s24
.LBB350_498:                            ;   in Loop: Header=BB350_298 Depth=1
	s_or_b32 exec_lo, exec_lo, s22
.LBB350_499:                            ;   in Loop: Header=BB350_298 Depth=1
	s_or_b32 exec_lo, exec_lo, s21
	v_and_b32_sdwa v9, v15, v35 dst_sel:DWORD dst_unused:UNUSED_PAD src0_sel:WORD_1 src1_sel:DWORD
	v_mov_b32_e32 v73, 0
	v_mov_b32_e32 v72, 0
	s_mov_b32 s21, exec_lo
	v_cmpx_ne_u16_e32 0, v9
	s_cbranch_execz .LBB350_507
; %bb.500:                              ;   in Loop: Header=BB350_298 Depth=1
	v_bfrev_b32_e32 v72, 1
	s_mov_b32 s22, exec_lo
	v_cmpx_ne_u16_e32 0x80, v9
	s_cbranch_execz .LBB350_506
; %bb.501:                              ;   in Loop: Header=BB350_298 Depth=1
	v_bfe_u32 v19, v15, 16, 7
	v_mov_b32_e32 v72, 0x7f800001
	s_mov_b32 s24, exec_lo
	v_cmpx_ne_u32_e32 0x7f, v19
	s_cbranch_execz .LBB350_505
; %bb.502:                              ;   in Loop: Header=BB350_298 Depth=1
	v_and_b32_sdwa v9, v15, v36 dst_sel:DWORD dst_unused:UNUSED_PAD src0_sel:WORD_1 src1_sel:DWORD
	v_lshrrev_b32_e32 v18, 3, v19
	s_mov_b32 s25, exec_lo
	v_cmpx_gt_u32_e32 8, v19
; %bb.503:                              ;   in Loop: Header=BB350_298 Depth=1
	v_ffbh_u32_e32 v18, v9
	v_min_u32_e32 v18, 32, v18
	v_subrev_nc_u32_e32 v19, 28, v18
	v_sub_nc_u32_e32 v18, 29, v18
	v_lshlrev_b64 v[74:75], v19, v[9:10]
	v_and_b32_e32 v9, 7, v74
; %bb.504:                              ;   in Loop: Header=BB350_298 Depth=1
	s_or_b32 exec_lo, exec_lo, s25
	v_lshlrev_b32_sdwa v19, v37, v15 dst_sel:DWORD dst_unused:UNUSED_PAD src0_sel:DWORD src1_sel:WORD_1
	v_lshlrev_b32_e32 v9, 20, v9
	v_lshl_add_u32 v18, v18, 23, 0x3c000000
	v_and_b32_e32 v19, 0x80000000, v19
	v_or3_b32 v72, v9, v19, v18
.LBB350_505:                            ;   in Loop: Header=BB350_298 Depth=1
	s_or_b32 exec_lo, exec_lo, s24
.LBB350_506:                            ;   in Loop: Header=BB350_298 Depth=1
	s_or_b32 exec_lo, exec_lo, s22
.LBB350_507:                            ;   in Loop: Header=BB350_298 Depth=1
	s_or_b32 exec_lo, exec_lo, s21
	s_mov_b32 s21, exec_lo
	v_cmpx_lt_u32_e32 0xffffff, v15
	s_cbranch_execz .LBB350_515
; %bb.508:                              ;   in Loop: Header=BB350_298 Depth=1
	v_cmp_ne_u32_sdwa s0, v15, v31 src0_sel:BYTE_3 src1_sel:DWORD
	v_bfrev_b32_e32 v73, 1
	s_and_saveexec_b32 s22, s0
	s_cbranch_execz .LBB350_514
; %bb.509:                              ;   in Loop: Header=BB350_298 Depth=1
	v_bfe_u32 v19, v15, 24, 7
	v_mov_b32_e32 v73, 0x7f800001
	s_mov_b32 s24, exec_lo
	v_cmpx_ne_u32_e32 0x7f, v19
	s_cbranch_execz .LBB350_513
; %bb.510:                              ;   in Loop: Header=BB350_298 Depth=1
	v_and_b32_sdwa v9, v15, v36 dst_sel:DWORD dst_unused:UNUSED_PAD src0_sel:BYTE_3 src1_sel:DWORD
	v_lshrrev_b32_e32 v18, 3, v19
	s_mov_b32 s25, exec_lo
	v_cmpx_gt_u32_e32 8, v19
; %bb.511:                              ;   in Loop: Header=BB350_298 Depth=1
	v_ffbh_u32_e32 v18, v9
	v_min_u32_e32 v18, 32, v18
	v_subrev_nc_u32_e32 v19, 28, v18
	v_sub_nc_u32_e32 v18, 29, v18
	v_lshlrev_b64 v[73:74], v19, v[9:10]
	v_and_b32_e32 v9, 7, v73
; %bb.512:                              ;   in Loop: Header=BB350_298 Depth=1
	s_or_b32 exec_lo, exec_lo, s25
	v_lshlrev_b32_sdwa v19, v37, v15 dst_sel:DWORD dst_unused:UNUSED_PAD src0_sel:DWORD src1_sel:BYTE_3
	v_lshlrev_b32_e32 v9, 20, v9
	v_lshl_add_u32 v18, v18, 23, 0x3c000000
	v_and_b32_e32 v19, 0x80000000, v19
	v_or3_b32 v73, v9, v19, v18
.LBB350_513:                            ;   in Loop: Header=BB350_298 Depth=1
	s_or_b32 exec_lo, exec_lo, s24
.LBB350_514:                            ;   in Loop: Header=BB350_298 Depth=1
	s_or_b32 exec_lo, exec_lo, s22
.LBB350_515:                            ;   in Loop: Header=BB350_298 Depth=1
	s_or_b32 exec_lo, exec_lo, s21
	v_mov_b32_e32 v9, v16
	v_cmp_ne_u16_sdwa s0, v16, v10 src0_sel:BYTE_0 src1_sel:DWORD
	v_mov_b32_e32 v18, 0
	v_mov_b32_e32 v74, 0
	s_and_saveexec_b32 s21, s0
	s_cbranch_execz .LBB350_521
; %bb.516:                              ;   in Loop: Header=BB350_298 Depth=1
	v_cmp_ne_u16_sdwa s0, v16, v31 src0_sel:BYTE_0 src1_sel:DWORD
	v_bfrev_b32_e32 v74, 1
	s_and_saveexec_b32 s22, s0
	s_cbranch_execz .LBB350_520
; %bb.517:                              ;   in Loop: Header=BB350_298 Depth=1
	v_and_b32_e32 v19, 0x7f, v16
	v_mov_b32_e32 v74, 0x7f800001
	s_mov_b32 s24, exec_lo
	v_cmpx_ne_u32_e32 0x7f, v19
	s_cbranch_execz .LBB350_519
; %bb.518:                              ;   in Loop: Header=BB350_298 Depth=1
	v_and_b32_e32 v74, 7, v16
	v_lshrrev_b32_e32 v75, 3, v19
	v_cmp_gt_u32_e64 s0, 8, v19
	v_ffbh_u32_e32 v74, v74
	v_min_u32_e32 v74, 32, v74
	v_subrev_nc_u32_e32 v76, 28, v74
	v_sub_nc_u32_e32 v74, 29, v74
	v_cndmask_b32_e64 v19, v75, v74, s0
	v_cndmask_b32_e64 v74, 0, v76, s0
	v_lshl_add_u32 v19, v19, 23, 0x3c000000
	v_lshlrev_b64 v[74:75], v74, v[9:10]
	v_lshlrev_b32_e32 v75, 24, v9
	v_lshlrev_b32_e32 v74, 20, v74
	v_and_b32_e32 v75, 0x80000000, v75
	v_and_b32_e32 v74, 0x700000, v74
	v_or3_b32 v74, v74, v75, v19
.LBB350_519:                            ;   in Loop: Header=BB350_298 Depth=1
	s_or_b32 exec_lo, exec_lo, s24
.LBB350_520:                            ;   in Loop: Header=BB350_298 Depth=1
	s_or_b32 exec_lo, exec_lo, s22
.LBB350_521:                            ;   in Loop: Header=BB350_298 Depth=1
	s_or_b32 exec_lo, exec_lo, s21
	v_cmp_ne_u16_sdwa s0, v9, v10 src0_sel:BYTE_1 src1_sel:DWORD
	s_and_saveexec_b32 s21, s0
	s_cbranch_execz .LBB350_529
; %bb.522:                              ;   in Loop: Header=BB350_298 Depth=1
	v_cmp_ne_u16_sdwa s0, v9, v31 src0_sel:BYTE_1 src1_sel:DWORD
	v_bfrev_b32_e32 v18, 1
	s_and_saveexec_b32 s22, s0
	s_cbranch_execz .LBB350_528
; %bb.523:                              ;   in Loop: Header=BB350_298 Depth=1
	v_and_b32_sdwa v19, v34, v9 dst_sel:DWORD dst_unused:UNUSED_PAD src0_sel:DWORD src1_sel:BYTE_1
	v_mov_b32_e32 v18, 0x7f800001
	s_mov_b32 s24, exec_lo
	v_and_b32_e32 v76, 0x7f, v19
	v_cmpx_ne_u32_e32 0x7f, v76
	s_cbranch_execz .LBB350_527
; %bb.524:                              ;   in Loop: Header=BB350_298 Depth=1
	v_and_b32_e32 v18, 7, v19
	v_mov_b32_e32 v19, v10
	v_lshrrev_b32_e32 v75, 3, v76
	s_mov_b32 s25, exec_lo
	v_cmpx_gt_u32_e32 8, v76
; %bb.525:                              ;   in Loop: Header=BB350_298 Depth=1
	v_ffbh_u32_e32 v75, v18
	v_min_u32_e32 v75, 32, v75
	v_subrev_nc_u32_e32 v76, 28, v75
	v_sub_nc_u32_e32 v75, 29, v75
	v_lshlrev_b64 v[18:19], v76, v[18:19]
	v_and_b32_e32 v18, 7, v18
; %bb.526:                              ;   in Loop: Header=BB350_298 Depth=1
	s_or_b32 exec_lo, exec_lo, s25
	v_lshlrev_b32_e32 v9, 16, v9
	v_lshlrev_b32_e32 v18, 20, v18
	v_lshl_add_u32 v19, v75, 23, 0x3c000000
	v_and_b32_e32 v9, 0x80000000, v9
	v_or3_b32 v18, v18, v9, v19
.LBB350_527:                            ;   in Loop: Header=BB350_298 Depth=1
	s_or_b32 exec_lo, exec_lo, s24
.LBB350_528:                            ;   in Loop: Header=BB350_298 Depth=1
	s_or_b32 exec_lo, exec_lo, s22
.LBB350_529:                            ;   in Loop: Header=BB350_298 Depth=1
	s_or_b32 exec_lo, exec_lo, s21
	v_and_b32_sdwa v9, v16, v35 dst_sel:DWORD dst_unused:UNUSED_PAD src0_sel:WORD_1 src1_sel:DWORD
	v_mov_b32_e32 v19, 0
	v_mov_b32_e32 v75, 0
	s_mov_b32 s21, exec_lo
	v_cmpx_ne_u16_e32 0, v9
	s_cbranch_execz .LBB350_537
; %bb.530:                              ;   in Loop: Header=BB350_298 Depth=1
	v_bfrev_b32_e32 v75, 1
	s_mov_b32 s22, exec_lo
	v_cmpx_ne_u16_e32 0x80, v9
	s_cbranch_execz .LBB350_536
; %bb.531:                              ;   in Loop: Header=BB350_298 Depth=1
	v_bfe_u32 v76, v16, 16, 7
	v_mov_b32_e32 v75, 0x7f800001
	s_mov_b32 s24, exec_lo
	v_cmpx_ne_u32_e32 0x7f, v76
	s_cbranch_execz .LBB350_535
; %bb.532:                              ;   in Loop: Header=BB350_298 Depth=1
	v_and_b32_sdwa v9, v16, v36 dst_sel:DWORD dst_unused:UNUSED_PAD src0_sel:WORD_1 src1_sel:DWORD
	v_lshrrev_b32_e32 v75, 3, v76
	s_mov_b32 s25, exec_lo
	v_cmpx_gt_u32_e32 8, v76
; %bb.533:                              ;   in Loop: Header=BB350_298 Depth=1
	v_ffbh_u32_e32 v75, v9
	v_min_u32_e32 v75, 32, v75
	v_subrev_nc_u32_e32 v76, 28, v75
	v_sub_nc_u32_e32 v75, 29, v75
	v_lshlrev_b64 v[76:77], v76, v[9:10]
	v_and_b32_e32 v9, 7, v76
; %bb.534:                              ;   in Loop: Header=BB350_298 Depth=1
	s_or_b32 exec_lo, exec_lo, s25
	v_lshlrev_b32_sdwa v76, v37, v16 dst_sel:DWORD dst_unused:UNUSED_PAD src0_sel:DWORD src1_sel:WORD_1
	v_lshlrev_b32_e32 v9, 20, v9
	v_lshl_add_u32 v75, v75, 23, 0x3c000000
	v_and_b32_e32 v76, 0x80000000, v76
	v_or3_b32 v75, v9, v76, v75
.LBB350_535:                            ;   in Loop: Header=BB350_298 Depth=1
	s_or_b32 exec_lo, exec_lo, s24
.LBB350_536:                            ;   in Loop: Header=BB350_298 Depth=1
	s_or_b32 exec_lo, exec_lo, s22
.LBB350_537:                            ;   in Loop: Header=BB350_298 Depth=1
	s_or_b32 exec_lo, exec_lo, s21
	s_mov_b32 s21, exec_lo
	v_cmpx_lt_u64_e64 s[4:5], v[15:16]
	s_cbranch_execz .LBB350_545
; %bb.538:                              ;   in Loop: Header=BB350_298 Depth=1
	v_cmp_ne_u32_sdwa s0, v16, v31 src0_sel:BYTE_3 src1_sel:DWORD
	v_bfrev_b32_e32 v19, 1
	s_and_saveexec_b32 s22, s0
	s_cbranch_execz .LBB350_544
; %bb.539:                              ;   in Loop: Header=BB350_298 Depth=1
	v_bfe_u32 v76, v16, 24, 7
	v_mov_b32_e32 v19, 0x7f800001
	s_mov_b32 s24, exec_lo
	v_cmpx_ne_u32_e32 0x7f, v76
	s_cbranch_execz .LBB350_543
; %bb.540:                              ;   in Loop: Header=BB350_298 Depth=1
	v_and_b32_sdwa v9, v16, v36 dst_sel:DWORD dst_unused:UNUSED_PAD src0_sel:BYTE_3 src1_sel:DWORD
	v_lshrrev_b32_e32 v15, 3, v76
	s_mov_b32 s25, exec_lo
	v_cmpx_gt_u32_e32 8, v76
; %bb.541:                              ;   in Loop: Header=BB350_298 Depth=1
	v_ffbh_u32_e32 v15, v9
	v_min_u32_e32 v15, 32, v15
	v_subrev_nc_u32_e32 v19, 28, v15
	v_sub_nc_u32_e32 v15, 29, v15
	v_lshlrev_b64 v[76:77], v19, v[9:10]
	v_and_b32_e32 v9, 7, v76
; %bb.542:                              ;   in Loop: Header=BB350_298 Depth=1
	s_or_b32 exec_lo, exec_lo, s25
	v_lshlrev_b32_sdwa v16, v37, v16 dst_sel:DWORD dst_unused:UNUSED_PAD src0_sel:DWORD src1_sel:BYTE_3
	v_lshlrev_b32_e32 v9, 20, v9
	v_lshl_add_u32 v15, v15, 23, 0x3c000000
	v_and_b32_e32 v16, 0x80000000, v16
	v_or3_b32 v19, v9, v16, v15
.LBB350_543:                            ;   in Loop: Header=BB350_298 Depth=1
	s_or_b32 exec_lo, exec_lo, s24
.LBB350_544:                            ;   in Loop: Header=BB350_298 Depth=1
	s_or_b32 exec_lo, exec_lo, s22
.LBB350_545:                            ;   in Loop: Header=BB350_298 Depth=1
	s_or_b32 exec_lo, exec_lo, s21
	v_mul_f32_e32 v9, s18, v18
	v_mul_f32_e32 v15, s18, v74
	;; [unrolled: 1-line block ×5, first 2 shown]
	v_bfe_u32 v72, v9, 16, 1
	v_or_b32_e32 v73, 0x400000, v9
	v_bfe_u32 v74, v15, 16, 1
	v_cmp_u_f32_e64 s0, v9, v9
	v_or_b32_e32 v76, 0x400000, v15
	v_add3_u32 v72, v72, v9, 0x7fff
	v_bfe_u32 v77, v16, 16, 1
	v_add3_u32 v74, v74, v15, 0x7fff
	v_or_b32_e32 v78, 0x400000, v16
	v_bfe_u32 v79, v18, 16, 1
	v_cndmask_b32_e64 v9, v72, v73, s0
	v_cmp_u_f32_e64 s0, v15, v15
	v_add3_u32 v77, v77, v16, 0x7fff
	v_or_b32_e32 v73, 0x400000, v18
	v_add3_u32 v72, v79, v18, 0x7fff
	v_mul_f32_e32 v70, s18, v70
	v_cndmask_b32_e64 v15, v74, v76, s0
	v_cmp_u_f32_e64 s0, v16, v16
	v_bfe_u32 v74, v71, 16, 1
	v_mul_f32_e32 v19, s18, v19
	v_lshrrev_b32_e32 v9, 16, v9
	v_lshrrev_b32_e32 v15, 16, v15
	v_cndmask_b32_e64 v16, v77, v78, s0
	v_cmp_u_f32_e64 s0, v18, v18
	v_or_b32_e32 v78, 0x400000, v19
	v_lshrrev_b32_e32 v16, 16, v16
	v_cndmask_b32_e64 v18, v72, v73, s0
	v_mul_f32_e32 v72, s18, v75
	v_add3_u32 v73, v74, v71, 0x7fff
	v_or_b32_e32 v74, 0x400000, v71
	v_bfe_u32 v75, v70, 16, 1
	v_cmp_u_f32_e64 s0, v71, v71
	v_bfe_u32 v76, v72, 16, 1
	v_or_b32_e32 v77, 0x400000, v72
	v_cndmask_b32_e64 v71, v73, v74, s0
	v_add3_u32 v74, v75, v70, 0x7fff
	v_or_b32_e32 v75, 0x400000, v70
	v_cmp_u_f32_e64 s0, v70, v70
	v_bfe_u32 v73, v19, 16, 1
	v_add3_u32 v76, v76, v72, 0x7fff
	v_lshrrev_b32_e32 v70, 16, v18
	v_lshrrev_b32_e32 v71, 16, v71
	v_cndmask_b32_e64 v74, v74, v75, s0
	v_cmp_u_f32_e64 s0, v72, v72
	v_add3_u32 v73, v73, v19, 0x7fff
	v_lshrrev_b32_e32 v72, 16, v74
	v_cndmask_b32_e64 v75, v76, v77, s0
	v_cmp_u_f32_e64 s0, v19, v19
	v_lshrrev_b32_e32 v19, 16, v75
	v_cndmask_b32_e64 v73, v73, v78, s0
	v_lshrrev_b32_e32 v18, 16, v73
	s_and_saveexec_b32 s0, vcc_lo
	s_cbranch_execz .LBB350_296
; %bb.546:                              ;   in Loop: Header=BB350_298 Depth=1
	v_cmp_gt_i32_e32 vcc_lo, s31, v48
	v_cndmask_b32_e32 v72, 0, v72, vcc_lo
	v_cmp_gt_i32_e32 vcc_lo, s31, v55
	v_cndmask_b32_e32 v71, 0, v71, vcc_lo
	;; [unrolled: 2-line block ×8, first 2 shown]
	s_branch .LBB350_296
.LBB350_547:
	s_or_b32 exec_lo, exec_lo, s13
.LBB350_548:
	s_or_b32 exec_lo, exec_lo, s1
	ds_bpermute_b32 v1, v23, v33
	ds_bpermute_b32 v2, v23, v26
	;; [unrolled: 1-line block ×4, first 2 shown]
	v_lshrrev_b32_e32 v5, 1, v22
	v_lshlrev_b32_e32 v7, 8, v29
	v_and_b32_e32 v10, 0x3c1, v0
	s_mov_b32 s0, exec_lo
	s_waitcnt lgkmcnt(0)
	s_waitcnt_vscnt null, 0x0
	v_lshl_add_u32 v6, v5, 2, 0xa0
	s_barrier
	buffer_gl0_inv
	v_add_f32_e32 v4, v33, v1
	v_add_f32_e32 v3, v26, v2
	;; [unrolled: 1-line block ×4, first 2 shown]
	v_cmpx_eq_u32_e32 64, v10
	s_cbranch_execz .LBB350_550
; %bb.549:
	v_add_nc_u32_e32 v8, v6, v7
	v_add_nc_u32_e32 v9, 0xfffffe00, v8
	;; [unrolled: 1-line block ×5, first 2 shown]
	ds_write_b32 v9, v4
	ds_write_b32 v10, v3
	;; [unrolled: 1-line block ×4, first 2 shown]
.LBB350_550:
	s_or_b32 exec_lo, exec_lo, s0
	v_lshlrev_b32_e32 v5, 2, v5
	s_mov_b32 s1, exec_lo
	v_cmp_eq_u32_e32 vcc_lo, 0, v28
	s_waitcnt lgkmcnt(0)
	s_barrier
	v_add3_u32 v5, 0xa0, v7, v5
	buffer_gl0_inv
	v_cmpx_gt_u32_e32 64, v0
	s_cbranch_execz .LBB350_557
; %bb.551:
	s_and_saveexec_b32 s0, vcc_lo
	s_cbranch_execnz .LBB350_569
; %bb.552:
	s_or_b32 exec_lo, exec_lo, s0
	s_and_saveexec_b32 s0, vcc_lo
	s_cbranch_execnz .LBB350_570
.LBB350_553:
	s_or_b32 exec_lo, exec_lo, s0
	s_and_saveexec_b32 s0, vcc_lo
	s_cbranch_execnz .LBB350_571
.LBB350_554:
	s_or_b32 exec_lo, exec_lo, s0
	s_and_saveexec_b32 s0, vcc_lo
	s_cbranch_execz .LBB350_556
.LBB350_555:
	ds_read_b32 v7, v5 offset:192
	s_waitcnt lgkmcnt(0)
	v_add_f32_e32 v1, v1, v7
.LBB350_556:
	s_or_b32 exec_lo, exec_lo, s0
.LBB350_557:
	s_or_b32 exec_lo, exec_lo, s1
	v_and_b32_e32 v7, 0x3e1, v0
	s_mov_b32 s1, exec_lo
	s_barrier
	buffer_gl0_inv
	v_cmpx_eq_u32_e32 32, v7
	s_cbranch_execz .LBB350_559
; %bb.558:
	ds_write2_b32 v6, v4, v3 offset1:16
	ds_write2_b32 v6, v2, v1 offset0:32 offset1:48
.LBB350_559:
	s_or_b32 exec_lo, exec_lo, s1
	s_mov_b32 s1, exec_lo
	s_waitcnt lgkmcnt(0)
	s_barrier
	buffer_gl0_inv
	v_cmpx_gt_u32_e32 32, v0
	s_cbranch_execz .LBB350_566
; %bb.560:
	s_and_saveexec_b32 s0, vcc_lo
	s_cbranch_execnz .LBB350_572
; %bb.561:
	s_or_b32 exec_lo, exec_lo, s0
	s_and_saveexec_b32 s0, vcc_lo
	s_cbranch_execnz .LBB350_573
.LBB350_562:
	s_or_b32 exec_lo, exec_lo, s0
	s_and_saveexec_b32 s0, vcc_lo
	s_cbranch_execnz .LBB350_574
.LBB350_563:
	s_or_b32 exec_lo, exec_lo, s0
	s_and_saveexec_b32 s0, vcc_lo
	s_cbranch_execz .LBB350_565
.LBB350_564:
	ds_read_b32 v0, v5 offset:192
	s_waitcnt lgkmcnt(0)
	v_add_f32_e32 v1, v1, v0
.LBB350_565:
	s_or_b32 exec_lo, exec_lo, s0
.LBB350_566:
	s_or_b32 exec_lo, exec_lo, s1
	s_barrier
	buffer_gl0_inv
	s_mov_b32 s0, exec_lo
	v_cmpx_eq_u32_e32 0, v7
	s_cbranch_execz .LBB350_568
; %bb.567:
	v_bfe_u32 v5, v4, 16, 1
	v_or_b32_e32 v6, 0x400000, v4
	v_bfe_u32 v7, v3, 16, 1
	v_cmp_u_f32_e32 vcc_lo, v4, v4
	s_lshl_b32 s0, s2, 6
	v_add3_u32 v5, v5, v4, 0x7fff
	s_ashr_i32 s1, s0, 31
	v_bfe_u32 v8, v2, 16, 1
	s_lshl_b64 s[0:1], s[0:1], 1
	s_mul_i32 s2, s7, s10
	v_cndmask_b32_e32 v4, v5, v6, vcc_lo
	v_add3_u32 v6, v7, v3, 0x7fff
	v_or_b32_e32 v7, 0x400000, v3
	v_cmp_u_f32_e32 vcc_lo, v3, v3
	s_add_u32 s4, s28, s0
	s_addc_u32 s5, s29, s1
	s_ashr_i32 s3, s2, 31
	v_bfe_u32 v5, v1, 16, 1
	s_lshl_b64 s[0:1], s[2:3], 1
	v_add3_u32 v8, v8, v2, 0x7fff
	v_or_b32_e32 v9, 0x400000, v2
	v_cndmask_b32_e32 v3, v6, v7, vcc_lo
	v_cmp_u_f32_e32 vcc_lo, v2, v2
	s_add_u32 s2, s4, s0
	s_addc_u32 s3, s5, s1
	s_lshl_b32 s0, s8, 6
	v_add3_u32 v5, v5, v1, 0x7fff
	s_ashr_i32 s1, s0, 31
	v_or_b32_e32 v10, 0x400000, v1
	v_cndmask_b32_e32 v2, v8, v9, vcc_lo
	v_cmp_u_f32_e32 vcc_lo, v1, v1
	v_lshlrev_b32_e32 v0, 1, v27
	s_lshl_b64 s[0:1], s[0:1], 1
	s_add_u32 s0, s2, s0
	s_addc_u32 s1, s3, s1
	v_cndmask_b32_e32 v1, v5, v10, vcc_lo
	global_store_short_d16_hi v0, v4, s[0:1]
	global_store_short_d16_hi v0, v3, s[0:1] offset:32
	global_store_short_d16_hi v0, v2, s[0:1] offset:64
	;; [unrolled: 1-line block ×3, first 2 shown]
.LBB350_568:
	s_endpgm
.LBB350_569:
	ds_read_b32 v7, v5
	s_waitcnt lgkmcnt(0)
	v_add_f32_e32 v4, v4, v7
	s_or_b32 exec_lo, exec_lo, s0
	s_and_saveexec_b32 s0, vcc_lo
	s_cbranch_execz .LBB350_553
.LBB350_570:
	ds_read_b32 v7, v5 offset:64
	s_waitcnt lgkmcnt(0)
	v_add_f32_e32 v3, v3, v7
	s_or_b32 exec_lo, exec_lo, s0
	s_and_saveexec_b32 s0, vcc_lo
	s_cbranch_execz .LBB350_554
.LBB350_571:
	ds_read_b32 v7, v5 offset:128
	s_waitcnt lgkmcnt(0)
	v_add_f32_e32 v2, v2, v7
	s_or_b32 exec_lo, exec_lo, s0
	s_and_saveexec_b32 s0, vcc_lo
	s_cbranch_execnz .LBB350_555
	s_branch .LBB350_556
.LBB350_572:
	ds_read_b32 v0, v5
	s_waitcnt lgkmcnt(0)
	v_add_f32_e32 v4, v4, v0
	s_or_b32 exec_lo, exec_lo, s0
	s_and_saveexec_b32 s0, vcc_lo
	s_cbranch_execz .LBB350_562
.LBB350_573:
	ds_read_b32 v0, v5 offset:64
	s_waitcnt lgkmcnt(0)
	v_add_f32_e32 v3, v3, v0
	s_or_b32 exec_lo, exec_lo, s0
	s_and_saveexec_b32 s0, vcc_lo
	s_cbranch_execz .LBB350_563
.LBB350_574:
	ds_read_b32 v0, v5 offset:128
	s_waitcnt lgkmcnt(0)
	v_add_f32_e32 v2, v2, v0
	s_or_b32 exec_lo, exec_lo, s0
	s_and_saveexec_b32 s0, vcc_lo
	s_cbranch_execnz .LBB350_564
	s_branch .LBB350_565
	.section	.rodata,"a",@progbits
	.p2align	6, 0x0
	.amdhsa_kernel _ZN4vllm25paged_attention_v2_kernelI14__hip_bfloat16hLi64ELi16ELi128ELNS_18Fp8KVCacheDataTypeE1ELb1ELi512EEEvPfS3_PT_PKS4_PKT0_SA_ifPKiSC_iPKfiiiSE_SE_iiiii
		.amdhsa_group_segment_fixed_size 160
		.amdhsa_private_segment_fixed_size 0
		.amdhsa_kernarg_size 400
		.amdhsa_user_sgpr_count 6
		.amdhsa_user_sgpr_private_segment_buffer 1
		.amdhsa_user_sgpr_dispatch_ptr 0
		.amdhsa_user_sgpr_queue_ptr 0
		.amdhsa_user_sgpr_kernarg_segment_ptr 1
		.amdhsa_user_sgpr_dispatch_id 0
		.amdhsa_user_sgpr_flat_scratch_init 0
		.amdhsa_user_sgpr_private_segment_size 0
		.amdhsa_wavefront_size32 1
		.amdhsa_uses_dynamic_stack 0
		.amdhsa_system_sgpr_private_segment_wavefront_offset 0
		.amdhsa_system_sgpr_workgroup_id_x 1
		.amdhsa_system_sgpr_workgroup_id_y 1
		.amdhsa_system_sgpr_workgroup_id_z 1
		.amdhsa_system_sgpr_workgroup_info 0
		.amdhsa_system_vgpr_workitem_id 0
		.amdhsa_next_free_vgpr 96
		.amdhsa_next_free_sgpr 53
		.amdhsa_reserve_vcc 1
		.amdhsa_reserve_flat_scratch 0
		.amdhsa_float_round_mode_32 0
		.amdhsa_float_round_mode_16_64 0
		.amdhsa_float_denorm_mode_32 3
		.amdhsa_float_denorm_mode_16_64 3
		.amdhsa_dx10_clamp 1
		.amdhsa_ieee_mode 1
		.amdhsa_fp16_overflow 0
		.amdhsa_workgroup_processor_mode 1
		.amdhsa_memory_ordered 1
		.amdhsa_forward_progress 1
		.amdhsa_shared_vgpr_count 0
		.amdhsa_exception_fp_ieee_invalid_op 0
		.amdhsa_exception_fp_denorm_src 0
		.amdhsa_exception_fp_ieee_div_zero 0
		.amdhsa_exception_fp_ieee_overflow 0
		.amdhsa_exception_fp_ieee_underflow 0
		.amdhsa_exception_fp_ieee_inexact 0
		.amdhsa_exception_int_div_zero 0
	.end_amdhsa_kernel
	.section	.text._ZN4vllm25paged_attention_v2_kernelI14__hip_bfloat16hLi64ELi16ELi128ELNS_18Fp8KVCacheDataTypeE1ELb1ELi512EEEvPfS3_PT_PKS4_PKT0_SA_ifPKiSC_iPKfiiiSE_SE_iiiii,"axG",@progbits,_ZN4vllm25paged_attention_v2_kernelI14__hip_bfloat16hLi64ELi16ELi128ELNS_18Fp8KVCacheDataTypeE1ELb1ELi512EEEvPfS3_PT_PKS4_PKT0_SA_ifPKiSC_iPKfiiiSE_SE_iiiii,comdat
.Lfunc_end350:
	.size	_ZN4vllm25paged_attention_v2_kernelI14__hip_bfloat16hLi64ELi16ELi128ELNS_18Fp8KVCacheDataTypeE1ELb1ELi512EEEvPfS3_PT_PKS4_PKT0_SA_ifPKiSC_iPKfiiiSE_SE_iiiii, .Lfunc_end350-_ZN4vllm25paged_attention_v2_kernelI14__hip_bfloat16hLi64ELi16ELi128ELNS_18Fp8KVCacheDataTypeE1ELb1ELi512EEEvPfS3_PT_PKS4_PKT0_SA_ifPKiSC_iPKfiiiSE_SE_iiiii
                                        ; -- End function
	.set _ZN4vllm25paged_attention_v2_kernelI14__hip_bfloat16hLi64ELi16ELi128ELNS_18Fp8KVCacheDataTypeE1ELb1ELi512EEEvPfS3_PT_PKS4_PKT0_SA_ifPKiSC_iPKfiiiSE_SE_iiiii.num_vgpr, 96
	.set _ZN4vllm25paged_attention_v2_kernelI14__hip_bfloat16hLi64ELi16ELi128ELNS_18Fp8KVCacheDataTypeE1ELb1ELi512EEEvPfS3_PT_PKS4_PKT0_SA_ifPKiSC_iPKfiiiSE_SE_iiiii.num_agpr, 0
	.set _ZN4vllm25paged_attention_v2_kernelI14__hip_bfloat16hLi64ELi16ELi128ELNS_18Fp8KVCacheDataTypeE1ELb1ELi512EEEvPfS3_PT_PKS4_PKT0_SA_ifPKiSC_iPKfiiiSE_SE_iiiii.numbered_sgpr, 53
	.set _ZN4vllm25paged_attention_v2_kernelI14__hip_bfloat16hLi64ELi16ELi128ELNS_18Fp8KVCacheDataTypeE1ELb1ELi512EEEvPfS3_PT_PKS4_PKT0_SA_ifPKiSC_iPKfiiiSE_SE_iiiii.num_named_barrier, 0
	.set _ZN4vllm25paged_attention_v2_kernelI14__hip_bfloat16hLi64ELi16ELi128ELNS_18Fp8KVCacheDataTypeE1ELb1ELi512EEEvPfS3_PT_PKS4_PKT0_SA_ifPKiSC_iPKfiiiSE_SE_iiiii.private_seg_size, 0
	.set _ZN4vllm25paged_attention_v2_kernelI14__hip_bfloat16hLi64ELi16ELi128ELNS_18Fp8KVCacheDataTypeE1ELb1ELi512EEEvPfS3_PT_PKS4_PKT0_SA_ifPKiSC_iPKfiiiSE_SE_iiiii.uses_vcc, 1
	.set _ZN4vllm25paged_attention_v2_kernelI14__hip_bfloat16hLi64ELi16ELi128ELNS_18Fp8KVCacheDataTypeE1ELb1ELi512EEEvPfS3_PT_PKS4_PKT0_SA_ifPKiSC_iPKfiiiSE_SE_iiiii.uses_flat_scratch, 0
	.set _ZN4vllm25paged_attention_v2_kernelI14__hip_bfloat16hLi64ELi16ELi128ELNS_18Fp8KVCacheDataTypeE1ELb1ELi512EEEvPfS3_PT_PKS4_PKT0_SA_ifPKiSC_iPKfiiiSE_SE_iiiii.has_dyn_sized_stack, 0
	.set _ZN4vllm25paged_attention_v2_kernelI14__hip_bfloat16hLi64ELi16ELi128ELNS_18Fp8KVCacheDataTypeE1ELb1ELi512EEEvPfS3_PT_PKS4_PKT0_SA_ifPKiSC_iPKfiiiSE_SE_iiiii.has_recursion, 0
	.set _ZN4vllm25paged_attention_v2_kernelI14__hip_bfloat16hLi64ELi16ELi128ELNS_18Fp8KVCacheDataTypeE1ELb1ELi512EEEvPfS3_PT_PKS4_PKT0_SA_ifPKiSC_iPKfiiiSE_SE_iiiii.has_indirect_call, 0
	.section	.AMDGPU.csdata,"",@progbits
; Kernel info:
; codeLenInByte = 21956
; TotalNumSgprs: 55
; NumVgprs: 96
; ScratchSize: 0
; MemoryBound: 0
; FloatMode: 240
; IeeeMode: 1
; LDSByteSize: 160 bytes/workgroup (compile time only)
; SGPRBlocks: 0
; VGPRBlocks: 11
; NumSGPRsForWavesPerEU: 55
; NumVGPRsForWavesPerEU: 96
; Occupancy: 10
; WaveLimiterHint : 1
; COMPUTE_PGM_RSRC2:SCRATCH_EN: 0
; COMPUTE_PGM_RSRC2:USER_SGPR: 6
; COMPUTE_PGM_RSRC2:TRAP_HANDLER: 0
; COMPUTE_PGM_RSRC2:TGID_X_EN: 1
; COMPUTE_PGM_RSRC2:TGID_Y_EN: 1
; COMPUTE_PGM_RSRC2:TGID_Z_EN: 1
; COMPUTE_PGM_RSRC2:TIDIG_COMP_CNT: 0
	.section	.text._ZN4vllm25paged_attention_v2_kernelI14__hip_bfloat16hLi80ELi16ELi128ELNS_18Fp8KVCacheDataTypeE1ELb1ELi512EEEvPfS3_PT_PKS4_PKT0_SA_ifPKiSC_iPKfiiiSE_SE_iiiii,"axG",@progbits,_ZN4vllm25paged_attention_v2_kernelI14__hip_bfloat16hLi80ELi16ELi128ELNS_18Fp8KVCacheDataTypeE1ELb1ELi512EEEvPfS3_PT_PKS4_PKT0_SA_ifPKiSC_iPKfiiiSE_SE_iiiii,comdat
	.protected	_ZN4vllm25paged_attention_v2_kernelI14__hip_bfloat16hLi80ELi16ELi128ELNS_18Fp8KVCacheDataTypeE1ELb1ELi512EEEvPfS3_PT_PKS4_PKT0_SA_ifPKiSC_iPKfiiiSE_SE_iiiii ; -- Begin function _ZN4vllm25paged_attention_v2_kernelI14__hip_bfloat16hLi80ELi16ELi128ELNS_18Fp8KVCacheDataTypeE1ELb1ELi512EEEvPfS3_PT_PKS4_PKT0_SA_ifPKiSC_iPKfiiiSE_SE_iiiii
	.globl	_ZN4vllm25paged_attention_v2_kernelI14__hip_bfloat16hLi80ELi16ELi128ELNS_18Fp8KVCacheDataTypeE1ELb1ELi512EEEvPfS3_PT_PKS4_PKT0_SA_ifPKiSC_iPKfiiiSE_SE_iiiii
	.p2align	8
	.type	_ZN4vllm25paged_attention_v2_kernelI14__hip_bfloat16hLi80ELi16ELi128ELNS_18Fp8KVCacheDataTypeE1ELb1ELi512EEEvPfS3_PT_PKS4_PKT0_SA_ifPKiSC_iPKfiiiSE_SE_iiiii,@function
_ZN4vllm25paged_attention_v2_kernelI14__hip_bfloat16hLi80ELi16ELi128ELNS_18Fp8KVCacheDataTypeE1ELb1ELi512EEEvPfS3_PT_PKS4_PKT0_SA_ifPKiSC_iPKfiiiSE_SE_iiiii: ; @_ZN4vllm25paged_attention_v2_kernelI14__hip_bfloat16hLi80ELi16ELi128ELNS_18Fp8KVCacheDataTypeE1ELb1ELi512EEEvPfS3_PT_PKS4_PKT0_SA_ifPKiSC_iPKfiiiSE_SE_iiiii
; %bb.0:
	s_load_dwordx2 s[0:1], s[4:5], 0x40
	s_mov_b32 s30, s7
	s_ashr_i32 s31, s7, 31
	s_lshl_b64 s[2:3], s[30:31], 2
	s_waitcnt lgkmcnt(0)
	s_add_u32 s0, s0, s2
	s_addc_u32 s1, s1, s3
	s_lshl_b32 s42, s8, 9
	s_load_dword s31, s[0:1], 0x0
	s_waitcnt lgkmcnt(0)
	s_cmp_ge_i32 s42, s31
	s_cbranch_scc1 .LBB351_696
; %bb.1:
	s_clause 0x1
	s_load_dword s9, s[4:5], 0x90
	s_load_dwordx2 s[40:41], s[4:5], 0x30
	s_mov_b32 s43, 0
	s_waitcnt lgkmcnt(0)
	s_abs_i32 s3, s9
	s_abs_i32 s0, s40
	v_cvt_f32_u32_e32 v1, s0
	s_sub_i32 s2, 0, s0
	v_rcp_iflag_f32_e32 v1, v1
	v_mul_f32_e32 v1, 0x4f7ffffe, v1
	v_cvt_u32_f32_e32 v1, v1
	v_readfirstlane_b32 s1, v1
	s_mul_i32 s2, s2, s1
	s_mul_hi_u32 s2, s1, s2
	s_add_i32 s1, s1, s2
	s_xor_b32 s2, s9, s40
	s_mul_hi_u32 s1, s3, s1
	s_ashr_i32 s2, s2, 31
	s_mul_i32 s7, s1, s0
	s_sub_i32 s3, s3, s7
	s_add_i32 s7, s1, 1
	s_sub_i32 s10, s3, s0
	s_cmp_ge_u32 s3, s0
	s_cselect_b32 s1, s7, s1
	s_cselect_b32 s3, s10, s3
	s_add_i32 s7, s1, 1
	s_cmp_ge_u32 s3, s0
	s_cselect_b32 s0, s7, s1
	s_xor_b32 s0, s0, s2
	s_sub_i32 s10, s0, s2
	s_load_dwordx2 s[0:1], s[4:5], 0x50
	s_abs_i32 s2, s10
	v_cvt_f32_u32_e32 v1, s2
	s_sub_i32 s3, 0, s2
	v_rcp_iflag_f32_e32 v1, v1
	v_mul_f32_e32 v1, 0x4f7ffffe, v1
	v_cvt_u32_f32_e32 v1, v1
	v_readfirstlane_b32 s7, v1
	s_mul_i32 s3, s3, s7
	s_mul_hi_u32 s11, s7, s3
	s_abs_i32 s3, s6
	s_add_i32 s7, s7, s11
	s_waitcnt lgkmcnt(0)
	s_cmp_eq_u64 s[0:1], 0
	s_mul_hi_u32 s12, s3, s7
	s_cbranch_scc1 .LBB351_3
; %bb.2:
	s_ashr_i32 s7, s6, 31
	s_lshl_b64 s[14:15], s[6:7], 2
	s_add_u32 s0, s0, s14
	s_addc_u32 s1, s1, s15
	s_load_dword s43, s[0:1], 0x0
.LBB351_3:
	s_load_dwordx4 s[16:19], s[4:5], 0x58
	v_lshrrev_b32_e32 v31, 1, v0
	v_and_b32_e32 v32, 1, v0
	v_lshlrev_b32_e32 v35, 3, v0
	s_ashr_i32 s0, s6, 31
	s_ashr_i32 s1, s10, 31
	s_mul_i32 s10, s6, 0x50
	s_mov_b32 s7, exec_lo
	v_cmpx_gt_u32_e32 20, v0
	s_cbranch_execz .LBB351_5
; %bb.4:
	s_load_dwordx2 s[14:15], s[4:5], 0x18
	s_waitcnt lgkmcnt(0)
	s_mul_i32 s20, s16, s30
	v_lshlrev_b32_e32 v3, 3, v31
	s_ashr_i32 s21, s20, 31
	s_lshl_b64 s[20:21], s[20:21], 1
	v_mad_u32_u24 v3, 0x50, v32, v3
	s_add_u32 s13, s14, s20
	s_addc_u32 s16, s15, s21
	s_ashr_i32 s11, s10, 31
	s_lshl_b64 s[14:15], s[10:11], 1
	s_add_u32 s14, s13, s14
	s_addc_u32 s15, s16, s15
	global_load_dwordx2 v[1:2], v35, s[14:15]
	s_waitcnt vmcnt(0)
	ds_write_b64 v3, v[1:2]
.LBB351_5:
	s_or_b32 exec_lo, exec_lo, s7
	s_load_dwordx4 s[20:23], s[4:5], 0x78
	s_mul_i32 s7, s12, s2
	s_xor_b32 s0, s0, s1
	s_sub_i32 s1, s3, s7
	s_add_i32 s3, s12, 1
	s_sub_i32 s7, s1, s2
	s_cmp_ge_u32 s1, s2
                                        ; implicit-def: $sgpr19
	s_cselect_b32 s3, s3, s12
	s_cselect_b32 s1, s7, s1
	s_add_i32 s7, s3, 1
	s_cmp_ge_u32 s1, s2
	s_mov_b32 s12, -1
	s_cselect_b32 s1, s7, s3
	s_load_dword s3, s[4:5], 0x88
	s_xor_b32 s1, s1, s0
	s_add_i32 s7, s31, -1
	s_sub_i32 s1, s1, s0
	s_abs_i32 s2, s7
	s_waitcnt lgkmcnt(0)
	s_abs_i32 s11, s23
	s_barrier
	v_cvt_f32_u32_e32 v1, s11
	s_sub_i32 s0, 0, s11
	buffer_gl0_inv
	v_rcp_iflag_f32_e32 v1, v1
	v_mul_f32_e32 v1, 0x4f7ffffe, v1
	v_cvt_u32_f32_e32 v1, v1
	v_readfirstlane_b32 s16, v1
	s_mul_i32 s0, s0, s16
	s_mul_hi_u32 s0, s16, s0
	s_add_i32 s16, s16, s0
	s_cmp_lt_i32 s3, 0
	s_mul_hi_u32 s0, s2, s16
	s_cbranch_scc0 .LBB351_7
; %bb.6:
	s_mul_i32 s12, s20, s40
	s_add_i32 s12, s1, s12
	s_mul_i32 s12, s12, s3
	s_sub_i32 s19, 1, s12
	s_mov_b32 s12, 0
.LBB351_7:
	s_load_dwordx2 s[34:35], s[4:5], 0x38
	s_ashr_i32 s33, s7, 31
	s_andn2_b32 vcc_lo, exec_lo, s12
	s_ashr_i32 s23, s23, 31
	s_cbranch_vccnz .LBB351_9
; %bb.8:
	s_mul_i32 s7, s9, s20
	s_add_i32 s7, s7, s6
	s_mul_i32 s3, s7, s3
	s_add_i32 s19, s3, 1
.LBB351_9:
	s_clause 0x5
	s_load_dword s3, s[4:5], 0x48
	s_load_dwordx2 s[38:39], s[4:5], 0x28
	s_load_dwordx4 s[24:27], s[4:5], 0x0
	s_load_dwordx2 s[28:29], s[4:5], 0x10
	s_load_dword s7, s[4:5], 0x98
	s_load_dwordx4 s[12:15], s[4:5], 0x68
	s_mul_i32 s20, s0, s11
	s_xor_b32 s40, s33, s23
	s_sub_i32 s2, s2, s20
	s_add_i32 s33, s0, 1
	v_lshrrev_b32_e32 v33, 5, v0
	v_mov_b32_e32 v38, 0xff7fffff
	v_mbcnt_lo_u32_b32 v36, -1, 0
	s_mul_i32 s18, s1, s18
	v_lshl_add_u32 v34, v33, 4, s42
	s_waitcnt lgkmcnt(0)
	s_mul_i32 s36, s3, s30
	s_sub_i32 s3, s2, s11
	s_ashr_i32 s37, s36, 31
	s_cmp_ge_u32 s2, s11
	s_cselect_b32 s0, s33, s0
	s_cselect_b32 s2, s3, s2
	s_add_i32 s3, s0, 1
	s_cmp_ge_u32 s2, s11
	s_cselect_b32 s0, s3, s0
	s_add_i32 s2, s31, 15
	s_lshl_b32 s44, s8, 5
	s_ashr_i32 s3, s2, 31
	v_or_b32_e32 v21, s44, v33
	s_lshr_b32 s3, s3, 28
	s_add_i32 s2, s2, s3
	s_add_i32 s3, s44, 32
	s_ashr_i32 s33, s2, 4
	s_xor_b32 s2, s0, s40
	s_min_i32 s20, s3, s33
	v_ashrrev_i32_e32 v22, 31, v21
	v_cmp_gt_i32_e64 s0, s20, v21
	s_sub_i32 s40, s2, s40
	s_and_saveexec_b32 s45, s0
	s_cbranch_execz .LBB351_341
; %bb.10:
	s_load_dwordx2 s[2:3], s[4:5], 0x20
	s_sub_i32 s4, s40, s21
	s_ashr_i32 s1, s18, 31
	v_bfe_u32 v37, v0, 1, 4
	v_lshlrev_b32_e32 v3, 2, v32
	v_mov_b32_e32 v24, 0
	v_mul_u32_u24_e32 v39, 0x50, v32
	v_lshl_add_u32 v40, v33, 4, s42
	v_lshlrev_b32_e32 v5, 2, v37
	v_subrev_nc_u32_e32 v6, s31, v37
	v_lshlrev_b32_e32 v7, 4, v37
	v_mov_b32_e32 v41, 0x80
	v_mov_b32_e32 v42, 0xffff
	v_lshl_or_b32 v5, v33, 6, v5
	v_add_nc_u32_e32 v46, 1, v6
	v_mov_b32_e32 v43, 0xff
	v_mov_b32_e32 v44, 7
	;; [unrolled: 1-line block ×3, first 2 shown]
	v_add_nc_u32_e32 v47, 0xc0, v5
	v_mov_b32_e32 v38, 0xff7fffff
	s_waitcnt lgkmcnt(0)
	s_add_u32 s46, s2, s18
	s_addc_u32 s47, s3, s1
	s_abs_i32 s5, s22
	v_add_co_u32 v6, s46, s46, v7
	v_cvt_f32_u32_e32 v1, s5
	s_sub_i32 s2, 0, s5
	v_add_co_ci_u32_e64 v7, null, s47, 0, s46
	v_cmp_neq_f32_e64 s1, s43, 0
	v_rcp_iflag_f32_e32 v4, v1
	v_lshlrev_b64 v[1:2], 2, v[21:22]
	v_mov_b32_e32 v49, v21
	s_mov_b32 s46, 0
	s_mov_b32 s47, s17
	v_cmp_eq_u32_e32 vcc_lo, 0, v32
	v_mul_f32_e32 v4, 0x4f7ffffe, v4
	v_cvt_u32_f32_e32 v4, v4
	v_mul_lo_u32 v5, s2, v4
	s_lshl_b64 s[2:3], s[36:37], 2
	s_add_u32 s2, s34, s2
	s_addc_u32 s3, s35, s3
	v_add_co_u32 v25, s2, s2, v1
	v_add_co_ci_u32_e64 v26, null, s3, v2, s2
	v_mul_hi_u32 v5, v4, v5
	v_add_co_u32 v27, s2, v6, v3
	v_add_co_ci_u32_e64 v28, null, 0, v7, s2
	v_add_nc_u32_e32 v48, v4, v5
	s_branch .LBB351_13
.LBB351_11:                             ;   in Loop: Header=BB351_13 Depth=1
	s_or_b32 exec_lo, exec_lo, s48
.LBB351_12:                             ;   in Loop: Header=BB351_13 Depth=1
	s_or_b32 exec_lo, exec_lo, s3
	v_add_nc_u32_e32 v49, 4, v49
	v_add_co_u32 v25, s3, v25, 16
	v_add_co_ci_u32_e64 v26, null, 0, v26, s3
	v_cmp_le_i32_e64 s2, s20, v49
	v_add_nc_u32_e32 v40, 64, v40
	v_add_nc_u32_e32 v47, 0x100, v47
	s_or_b32 s46, s2, s46
	s_andn2_b32 exec_lo, exec_lo, s46
	s_cbranch_execz .LBB351_340
.LBB351_13:                             ; =>This Inner Loop Header: Depth=1
	v_sub_nc_u32_e32 v1, 0, v40
	v_max_i32_e32 v1, v40, v1
	s_waitcnt lgkmcnt(0)
	v_mul_hi_u32 v2, v1, s16
	v_mul_lo_u32 v3, v2, s11
	v_sub_nc_u32_e32 v1, v1, v3
	v_add_nc_u32_e32 v3, 1, v2
	v_subrev_nc_u32_e32 v4, s11, v1
	v_cmp_le_u32_e64 s2, s11, v1
	v_cndmask_b32_e64 v2, v2, v3, s2
	v_cndmask_b32_e64 v1, v1, v4, s2
	v_ashrrev_i32_e32 v3, 31, v40
	v_add_nc_u32_e32 v4, 1, v2
	v_cmp_le_u32_e64 s2, s11, v1
	v_xor_b32_e32 v3, s23, v3
	v_cndmask_b32_e64 v1, v2, v4, s2
	v_xor_b32_e32 v1, v1, v3
	v_sub_nc_u32_e32 v1, v1, v3
	v_add_nc_u32_e32 v2, s19, v1
	v_cmp_ge_i32_e64 s3, s4, v1
	v_sub_nc_u32_e32 v3, 0, v2
	v_max_i32_e32 v3, v2, v3
	v_ashrrev_i32_e32 v2, 31, v2
	v_mul_hi_u32 v4, v3, v48
	v_mul_lo_u32 v4, v4, s5
	v_sub_nc_u32_e32 v3, v3, v4
	v_subrev_nc_u32_e32 v4, s5, v3
	v_cmp_le_u32_e64 s2, s5, v3
	v_cndmask_b32_e64 v3, v3, v4, s2
	v_subrev_nc_u32_e32 v4, s5, v3
	v_cmp_le_u32_e64 s2, s5, v3
	v_cndmask_b32_e64 v3, v3, v4, s2
	v_xor_b32_e32 v3, v3, v2
	v_sub_nc_u32_e32 v2, v3, v2
	v_cmp_ne_u32_e64 s2, 0, v2
	s_and_b32 s2, s2, s3
	s_and_saveexec_b32 s3, s2
	s_xor_b32 s2, exec_lo, s3
	s_cbranch_execz .LBB351_17
; %bb.14:                               ;   in Loop: Header=BB351_13 Depth=1
	s_and_saveexec_b32 s3, vcc_lo
; %bb.15:                               ;   in Loop: Header=BB351_13 Depth=1
	v_mov_b32_e32 v1, 0xff7fffff
	ds_write_b32 v47, v1
; %bb.16:                               ;   in Loop: Header=BB351_13 Depth=1
	s_or_b32 exec_lo, exec_lo, s3
.LBB351_17:                             ;   in Loop: Header=BB351_13 Depth=1
	s_andn2_saveexec_b32 s3, s2
	s_cbranch_execz .LBB351_12
; %bb.18:                               ;   in Loop: Header=BB351_13 Depth=1
	global_load_dword v1, v[25:26], off
	v_mov_b32_e32 v51, 0
	v_mov_b32_e32 v50, 0
	s_waitcnt vmcnt(0)
	v_mad_i64_i32 v[29:30], null, v1, s47, v[27:28]
	global_load_dword v54, v[29:30], off
	ds_read_b128 v[17:20], v39
	ds_read_b128 v[13:16], v39 offset:16
	ds_read_b128 v[9:12], v39 offset:32
	ds_read_b128 v[5:8], v39 offset:48
	ds_read_b128 v[1:4], v39 offset:64
	s_load_dword s48, s[12:13], 0x0
	s_waitcnt vmcnt(0)
	v_cmp_ne_u16_sdwa s2, v54, v24 src0_sel:BYTE_0 src1_sel:DWORD
	s_and_saveexec_b32 s49, s2
	s_cbranch_execz .LBB351_26
; %bb.19:                               ;   in Loop: Header=BB351_13 Depth=1
	v_cmp_ne_u16_sdwa s2, v54, v41 src0_sel:BYTE_0 src1_sel:DWORD
	v_bfrev_b32_e32 v50, 1
	s_and_saveexec_b32 s50, s2
	s_cbranch_execz .LBB351_25
; %bb.20:                               ;   in Loop: Header=BB351_13 Depth=1
	v_and_b32_e32 v52, 0x7f, v54
	v_mov_b32_e32 v50, 0x7f800001
	s_mov_b32 s51, exec_lo
	v_cmpx_ne_u32_e32 0x7f, v52
	s_cbranch_execz .LBB351_24
; %bb.21:                               ;   in Loop: Header=BB351_13 Depth=1
	v_and_b32_e32 v23, 7, v54
	v_lshrrev_b32_e32 v50, 3, v52
	s_mov_b32 s52, exec_lo
	v_cmpx_gt_u32_e32 8, v52
; %bb.22:                               ;   in Loop: Header=BB351_13 Depth=1
	v_ffbh_u32_e32 v50, v23
	v_min_u32_e32 v50, 32, v50
	v_subrev_nc_u32_e32 v52, 28, v50
	v_sub_nc_u32_e32 v50, 29, v50
	v_lshlrev_b64 v[52:53], v52, v[23:24]
	v_and_b32_e32 v23, 7, v52
; %bb.23:                               ;   in Loop: Header=BB351_13 Depth=1
	s_or_b32 exec_lo, exec_lo, s52
	v_lshlrev_b32_e32 v52, 24, v54
	v_lshlrev_b32_e32 v23, 20, v23
	v_lshl_add_u32 v50, v50, 23, 0x3c000000
	v_and_b32_e32 v52, 0x80000000, v52
	v_or3_b32 v50, v23, v52, v50
.LBB351_24:                             ;   in Loop: Header=BB351_13 Depth=1
	s_or_b32 exec_lo, exec_lo, s51
.LBB351_25:                             ;   in Loop: Header=BB351_13 Depth=1
	s_or_b32 exec_lo, exec_lo, s50
.LBB351_26:                             ;   in Loop: Header=BB351_13 Depth=1
	s_or_b32 exec_lo, exec_lo, s49
	v_cmp_ne_u16_sdwa s2, v54, v24 src0_sel:BYTE_1 src1_sel:DWORD
	s_and_saveexec_b32 s49, s2
	s_cbranch_execz .LBB351_34
; %bb.27:                               ;   in Loop: Header=BB351_13 Depth=1
	v_cmp_ne_u16_sdwa s2, v54, v41 src0_sel:BYTE_1 src1_sel:DWORD
	v_bfrev_b32_e32 v51, 1
	s_and_saveexec_b32 s50, s2
	s_cbranch_execz .LBB351_33
; %bb.28:                               ;   in Loop: Header=BB351_13 Depth=1
	v_and_b32_sdwa v23, v42, v54 dst_sel:DWORD dst_unused:UNUSED_PAD src0_sel:DWORD src1_sel:BYTE_1
	v_mov_b32_e32 v51, 0x7f800001
	s_mov_b32 s51, exec_lo
	v_and_b32_e32 v52, 0x7f, v23
	v_cmpx_ne_u32_e32 0x7f, v52
	s_cbranch_execz .LBB351_32
; %bb.29:                               ;   in Loop: Header=BB351_13 Depth=1
	v_and_b32_e32 v23, 7, v23
	v_lshrrev_b32_e32 v51, 3, v52
	s_mov_b32 s52, exec_lo
	v_cmpx_gt_u32_e32 8, v52
; %bb.30:                               ;   in Loop: Header=BB351_13 Depth=1
	v_ffbh_u32_e32 v51, v23
	v_min_u32_e32 v51, 32, v51
	v_subrev_nc_u32_e32 v52, 28, v51
	v_sub_nc_u32_e32 v51, 29, v51
	v_lshlrev_b64 v[52:53], v52, v[23:24]
	v_and_b32_e32 v23, 7, v52
; %bb.31:                               ;   in Loop: Header=BB351_13 Depth=1
	s_or_b32 exec_lo, exec_lo, s52
	v_lshlrev_b32_e32 v52, 16, v54
	v_lshlrev_b32_e32 v23, 20, v23
	v_lshl_add_u32 v51, v51, 23, 0x3c000000
	v_and_b32_e32 v52, 0x80000000, v52
	v_or3_b32 v51, v23, v52, v51
.LBB351_32:                             ;   in Loop: Header=BB351_13 Depth=1
	s_or_b32 exec_lo, exec_lo, s51
.LBB351_33:                             ;   in Loop: Header=BB351_13 Depth=1
	s_or_b32 exec_lo, exec_lo, s50
.LBB351_34:                             ;   in Loop: Header=BB351_13 Depth=1
	s_or_b32 exec_lo, exec_lo, s49
	v_and_b32_sdwa v23, v54, v43 dst_sel:DWORD dst_unused:UNUSED_PAD src0_sel:WORD_1 src1_sel:DWORD
	v_mov_b32_e32 v52, 0
	v_mov_b32_e32 v53, 0
	s_mov_b32 s49, exec_lo
	v_cmpx_ne_u16_e32 0, v23
	s_cbranch_execz .LBB351_42
; %bb.35:                               ;   in Loop: Header=BB351_13 Depth=1
	v_bfrev_b32_e32 v53, 1
	s_mov_b32 s50, exec_lo
	v_cmpx_ne_u16_e32 0x80, v23
	s_cbranch_execz .LBB351_41
; %bb.36:                               ;   in Loop: Header=BB351_13 Depth=1
	v_bfe_u32 v55, v54, 16, 7
	v_mov_b32_e32 v53, 0x7f800001
	s_mov_b32 s51, exec_lo
	v_cmpx_ne_u32_e32 0x7f, v55
	s_cbranch_execz .LBB351_40
; %bb.37:                               ;   in Loop: Header=BB351_13 Depth=1
	v_and_b32_sdwa v23, v54, v44 dst_sel:DWORD dst_unused:UNUSED_PAD src0_sel:WORD_1 src1_sel:DWORD
	v_lshrrev_b32_e32 v53, 3, v55
	s_mov_b32 s52, exec_lo
	v_cmpx_gt_u32_e32 8, v55
; %bb.38:                               ;   in Loop: Header=BB351_13 Depth=1
	v_ffbh_u32_e32 v53, v23
	v_min_u32_e32 v53, 32, v53
	v_subrev_nc_u32_e32 v55, 28, v53
	v_sub_nc_u32_e32 v53, 29, v53
	v_lshlrev_b64 v[55:56], v55, v[23:24]
	v_and_b32_e32 v23, 7, v55
; %bb.39:                               ;   in Loop: Header=BB351_13 Depth=1
	s_or_b32 exec_lo, exec_lo, s52
	v_lshlrev_b32_sdwa v55, v45, v54 dst_sel:DWORD dst_unused:UNUSED_PAD src0_sel:DWORD src1_sel:WORD_1
	v_lshlrev_b32_e32 v23, 20, v23
	v_lshl_add_u32 v53, v53, 23, 0x3c000000
	v_and_b32_e32 v55, 0x80000000, v55
	v_or3_b32 v53, v23, v55, v53
.LBB351_40:                             ;   in Loop: Header=BB351_13 Depth=1
	s_or_b32 exec_lo, exec_lo, s51
.LBB351_41:                             ;   in Loop: Header=BB351_13 Depth=1
	s_or_b32 exec_lo, exec_lo, s50
.LBB351_42:                             ;   in Loop: Header=BB351_13 Depth=1
	s_or_b32 exec_lo, exec_lo, s49
	s_mov_b32 s49, exec_lo
	v_cmpx_lt_u32_e32 0xffffff, v54
	s_cbranch_execz .LBB351_50
; %bb.43:                               ;   in Loop: Header=BB351_13 Depth=1
	v_cmp_ne_u32_sdwa s2, v54, v41 src0_sel:BYTE_3 src1_sel:DWORD
	v_bfrev_b32_e32 v52, 1
	s_and_saveexec_b32 s50, s2
	s_cbranch_execz .LBB351_49
; %bb.44:                               ;   in Loop: Header=BB351_13 Depth=1
	v_bfe_u32 v55, v54, 24, 7
	v_mov_b32_e32 v52, 0x7f800001
	s_mov_b32 s51, exec_lo
	v_cmpx_ne_u32_e32 0x7f, v55
	s_cbranch_execz .LBB351_48
; %bb.45:                               ;   in Loop: Header=BB351_13 Depth=1
	v_and_b32_sdwa v23, v54, v44 dst_sel:DWORD dst_unused:UNUSED_PAD src0_sel:BYTE_3 src1_sel:DWORD
	v_lshrrev_b32_e32 v52, 3, v55
	s_mov_b32 s52, exec_lo
	v_cmpx_gt_u32_e32 8, v55
; %bb.46:                               ;   in Loop: Header=BB351_13 Depth=1
	v_ffbh_u32_e32 v52, v23
	v_min_u32_e32 v52, 32, v52
	v_subrev_nc_u32_e32 v55, 28, v52
	v_sub_nc_u32_e32 v52, 29, v52
	v_lshlrev_b64 v[55:56], v55, v[23:24]
	v_and_b32_e32 v23, 7, v55
; %bb.47:                               ;   in Loop: Header=BB351_13 Depth=1
	s_or_b32 exec_lo, exec_lo, s52
	v_lshlrev_b32_sdwa v54, v45, v54 dst_sel:DWORD dst_unused:UNUSED_PAD src0_sel:DWORD src1_sel:BYTE_3
	v_lshlrev_b32_e32 v23, 20, v23
	v_lshl_add_u32 v52, v52, 23, 0x3c000000
	v_and_b32_e32 v54, 0x80000000, v54
	v_or3_b32 v52, v23, v54, v52
.LBB351_48:                             ;   in Loop: Header=BB351_13 Depth=1
	s_or_b32 exec_lo, exec_lo, s51
.LBB351_49:                             ;   in Loop: Header=BB351_13 Depth=1
	s_or_b32 exec_lo, exec_lo, s50
.LBB351_50:                             ;   in Loop: Header=BB351_13 Depth=1
	s_or_b32 exec_lo, exec_lo, s49
	global_load_dword v58, v[29:30], off offset:8
	v_mov_b32_e32 v55, 0
	v_mov_b32_e32 v54, 0
	s_waitcnt vmcnt(0)
	v_cmp_ne_u16_sdwa s2, v58, v24 src0_sel:BYTE_0 src1_sel:DWORD
	s_and_saveexec_b32 s49, s2
	s_cbranch_execz .LBB351_58
; %bb.51:                               ;   in Loop: Header=BB351_13 Depth=1
	v_cmp_ne_u16_sdwa s2, v58, v41 src0_sel:BYTE_0 src1_sel:DWORD
	v_bfrev_b32_e32 v54, 1
	s_and_saveexec_b32 s50, s2
	s_cbranch_execz .LBB351_57
; %bb.52:                               ;   in Loop: Header=BB351_13 Depth=1
	v_and_b32_e32 v56, 0x7f, v58
	v_mov_b32_e32 v54, 0x7f800001
	s_mov_b32 s51, exec_lo
	v_cmpx_ne_u32_e32 0x7f, v56
	s_cbranch_execz .LBB351_56
; %bb.53:                               ;   in Loop: Header=BB351_13 Depth=1
	v_and_b32_e32 v23, 7, v58
	v_lshrrev_b32_e32 v54, 3, v56
	s_mov_b32 s52, exec_lo
	v_cmpx_gt_u32_e32 8, v56
; %bb.54:                               ;   in Loop: Header=BB351_13 Depth=1
	v_ffbh_u32_e32 v54, v23
	v_min_u32_e32 v54, 32, v54
	v_subrev_nc_u32_e32 v56, 28, v54
	v_sub_nc_u32_e32 v54, 29, v54
	v_lshlrev_b64 v[56:57], v56, v[23:24]
	v_and_b32_e32 v23, 7, v56
; %bb.55:                               ;   in Loop: Header=BB351_13 Depth=1
	s_or_b32 exec_lo, exec_lo, s52
	v_lshlrev_b32_e32 v56, 24, v58
	v_lshlrev_b32_e32 v23, 20, v23
	v_lshl_add_u32 v54, v54, 23, 0x3c000000
	v_and_b32_e32 v56, 0x80000000, v56
	v_or3_b32 v54, v23, v56, v54
.LBB351_56:                             ;   in Loop: Header=BB351_13 Depth=1
	s_or_b32 exec_lo, exec_lo, s51
.LBB351_57:                             ;   in Loop: Header=BB351_13 Depth=1
	s_or_b32 exec_lo, exec_lo, s50
.LBB351_58:                             ;   in Loop: Header=BB351_13 Depth=1
	s_or_b32 exec_lo, exec_lo, s49
	v_cmp_ne_u16_sdwa s2, v58, v24 src0_sel:BYTE_1 src1_sel:DWORD
	s_and_saveexec_b32 s49, s2
	s_cbranch_execz .LBB351_66
; %bb.59:                               ;   in Loop: Header=BB351_13 Depth=1
	v_cmp_ne_u16_sdwa s2, v58, v41 src0_sel:BYTE_1 src1_sel:DWORD
	v_bfrev_b32_e32 v55, 1
	s_and_saveexec_b32 s50, s2
	s_cbranch_execz .LBB351_65
; %bb.60:                               ;   in Loop: Header=BB351_13 Depth=1
	v_and_b32_sdwa v23, v42, v58 dst_sel:DWORD dst_unused:UNUSED_PAD src0_sel:DWORD src1_sel:BYTE_1
	v_mov_b32_e32 v55, 0x7f800001
	s_mov_b32 s51, exec_lo
	v_and_b32_e32 v56, 0x7f, v23
	v_cmpx_ne_u32_e32 0x7f, v56
	s_cbranch_execz .LBB351_64
; %bb.61:                               ;   in Loop: Header=BB351_13 Depth=1
	v_and_b32_e32 v23, 7, v23
	v_lshrrev_b32_e32 v55, 3, v56
	s_mov_b32 s52, exec_lo
	v_cmpx_gt_u32_e32 8, v56
; %bb.62:                               ;   in Loop: Header=BB351_13 Depth=1
	v_ffbh_u32_e32 v55, v23
	v_min_u32_e32 v55, 32, v55
	v_subrev_nc_u32_e32 v56, 28, v55
	v_sub_nc_u32_e32 v55, 29, v55
	v_lshlrev_b64 v[56:57], v56, v[23:24]
	v_and_b32_e32 v23, 7, v56
; %bb.63:                               ;   in Loop: Header=BB351_13 Depth=1
	s_or_b32 exec_lo, exec_lo, s52
	v_lshlrev_b32_e32 v56, 16, v58
	v_lshlrev_b32_e32 v23, 20, v23
	v_lshl_add_u32 v55, v55, 23, 0x3c000000
	v_and_b32_e32 v56, 0x80000000, v56
	v_or3_b32 v55, v23, v56, v55
.LBB351_64:                             ;   in Loop: Header=BB351_13 Depth=1
	s_or_b32 exec_lo, exec_lo, s51
.LBB351_65:                             ;   in Loop: Header=BB351_13 Depth=1
	s_or_b32 exec_lo, exec_lo, s50
.LBB351_66:                             ;   in Loop: Header=BB351_13 Depth=1
	s_or_b32 exec_lo, exec_lo, s49
	v_and_b32_sdwa v23, v58, v43 dst_sel:DWORD dst_unused:UNUSED_PAD src0_sel:WORD_1 src1_sel:DWORD
	v_mov_b32_e32 v56, 0
	v_mov_b32_e32 v57, 0
	s_mov_b32 s49, exec_lo
	v_cmpx_ne_u16_e32 0, v23
	s_cbranch_execz .LBB351_74
; %bb.67:                               ;   in Loop: Header=BB351_13 Depth=1
	v_bfrev_b32_e32 v57, 1
	s_mov_b32 s50, exec_lo
	v_cmpx_ne_u16_e32 0x80, v23
	s_cbranch_execz .LBB351_73
; %bb.68:                               ;   in Loop: Header=BB351_13 Depth=1
	v_bfe_u32 v59, v58, 16, 7
	v_mov_b32_e32 v57, 0x7f800001
	s_mov_b32 s51, exec_lo
	v_cmpx_ne_u32_e32 0x7f, v59
	s_cbranch_execz .LBB351_72
; %bb.69:                               ;   in Loop: Header=BB351_13 Depth=1
	v_and_b32_sdwa v23, v58, v44 dst_sel:DWORD dst_unused:UNUSED_PAD src0_sel:WORD_1 src1_sel:DWORD
	v_lshrrev_b32_e32 v57, 3, v59
	s_mov_b32 s52, exec_lo
	v_cmpx_gt_u32_e32 8, v59
; %bb.70:                               ;   in Loop: Header=BB351_13 Depth=1
	v_ffbh_u32_e32 v57, v23
	v_min_u32_e32 v57, 32, v57
	v_subrev_nc_u32_e32 v59, 28, v57
	v_sub_nc_u32_e32 v57, 29, v57
	v_lshlrev_b64 v[59:60], v59, v[23:24]
	v_and_b32_e32 v23, 7, v59
; %bb.71:                               ;   in Loop: Header=BB351_13 Depth=1
	s_or_b32 exec_lo, exec_lo, s52
	v_lshlrev_b32_sdwa v59, v45, v58 dst_sel:DWORD dst_unused:UNUSED_PAD src0_sel:DWORD src1_sel:WORD_1
	v_lshlrev_b32_e32 v23, 20, v23
	v_lshl_add_u32 v57, v57, 23, 0x3c000000
	v_and_b32_e32 v59, 0x80000000, v59
	v_or3_b32 v57, v23, v59, v57
.LBB351_72:                             ;   in Loop: Header=BB351_13 Depth=1
	s_or_b32 exec_lo, exec_lo, s51
.LBB351_73:                             ;   in Loop: Header=BB351_13 Depth=1
	s_or_b32 exec_lo, exec_lo, s50
.LBB351_74:                             ;   in Loop: Header=BB351_13 Depth=1
	s_or_b32 exec_lo, exec_lo, s49
	s_mov_b32 s49, exec_lo
	v_cmpx_lt_u32_e32 0xffffff, v58
	s_cbranch_execz .LBB351_82
; %bb.75:                               ;   in Loop: Header=BB351_13 Depth=1
	v_cmp_ne_u32_sdwa s2, v58, v41 src0_sel:BYTE_3 src1_sel:DWORD
	v_bfrev_b32_e32 v56, 1
	s_and_saveexec_b32 s50, s2
	s_cbranch_execz .LBB351_81
; %bb.76:                               ;   in Loop: Header=BB351_13 Depth=1
	v_bfe_u32 v59, v58, 24, 7
	v_mov_b32_e32 v56, 0x7f800001
	s_mov_b32 s51, exec_lo
	v_cmpx_ne_u32_e32 0x7f, v59
	s_cbranch_execz .LBB351_80
; %bb.77:                               ;   in Loop: Header=BB351_13 Depth=1
	v_and_b32_sdwa v23, v58, v44 dst_sel:DWORD dst_unused:UNUSED_PAD src0_sel:BYTE_3 src1_sel:DWORD
	v_lshrrev_b32_e32 v56, 3, v59
	s_mov_b32 s52, exec_lo
	v_cmpx_gt_u32_e32 8, v59
; %bb.78:                               ;   in Loop: Header=BB351_13 Depth=1
	v_ffbh_u32_e32 v56, v23
	v_min_u32_e32 v56, 32, v56
	v_subrev_nc_u32_e32 v59, 28, v56
	v_sub_nc_u32_e32 v56, 29, v56
	v_lshlrev_b64 v[59:60], v59, v[23:24]
	v_and_b32_e32 v23, 7, v59
; %bb.79:                               ;   in Loop: Header=BB351_13 Depth=1
	s_or_b32 exec_lo, exec_lo, s52
	v_lshlrev_b32_sdwa v58, v45, v58 dst_sel:DWORD dst_unused:UNUSED_PAD src0_sel:DWORD src1_sel:BYTE_3
	v_lshlrev_b32_e32 v23, 20, v23
	v_lshl_add_u32 v56, v56, 23, 0x3c000000
	v_and_b32_e32 v58, 0x80000000, v58
	v_or3_b32 v56, v23, v58, v56
.LBB351_80:                             ;   in Loop: Header=BB351_13 Depth=1
	s_or_b32 exec_lo, exec_lo, s51
.LBB351_81:                             ;   in Loop: Header=BB351_13 Depth=1
	s_or_b32 exec_lo, exec_lo, s50
.LBB351_82:                             ;   in Loop: Header=BB351_13 Depth=1
	s_or_b32 exec_lo, exec_lo, s49
	global_load_dword v62, v[29:30], off offset:256
	v_mov_b32_e32 v59, 0
	v_mov_b32_e32 v58, 0
	s_waitcnt vmcnt(0)
	v_cmp_ne_u16_sdwa s2, v62, v24 src0_sel:BYTE_0 src1_sel:DWORD
	s_and_saveexec_b32 s49, s2
	s_cbranch_execz .LBB351_90
; %bb.83:                               ;   in Loop: Header=BB351_13 Depth=1
	v_cmp_ne_u16_sdwa s2, v62, v41 src0_sel:BYTE_0 src1_sel:DWORD
	v_bfrev_b32_e32 v58, 1
	s_and_saveexec_b32 s50, s2
	s_cbranch_execz .LBB351_89
; %bb.84:                               ;   in Loop: Header=BB351_13 Depth=1
	v_and_b32_e32 v60, 0x7f, v62
	v_mov_b32_e32 v58, 0x7f800001
	s_mov_b32 s51, exec_lo
	v_cmpx_ne_u32_e32 0x7f, v60
	s_cbranch_execz .LBB351_88
; %bb.85:                               ;   in Loop: Header=BB351_13 Depth=1
	v_and_b32_e32 v23, 7, v62
	v_lshrrev_b32_e32 v58, 3, v60
	s_mov_b32 s52, exec_lo
	v_cmpx_gt_u32_e32 8, v60
; %bb.86:                               ;   in Loop: Header=BB351_13 Depth=1
	v_ffbh_u32_e32 v58, v23
	v_min_u32_e32 v58, 32, v58
	v_subrev_nc_u32_e32 v60, 28, v58
	v_sub_nc_u32_e32 v58, 29, v58
	v_lshlrev_b64 v[60:61], v60, v[23:24]
	v_and_b32_e32 v23, 7, v60
; %bb.87:                               ;   in Loop: Header=BB351_13 Depth=1
	s_or_b32 exec_lo, exec_lo, s52
	v_lshlrev_b32_e32 v60, 24, v62
	v_lshlrev_b32_e32 v23, 20, v23
	v_lshl_add_u32 v58, v58, 23, 0x3c000000
	v_and_b32_e32 v60, 0x80000000, v60
	v_or3_b32 v58, v23, v60, v58
.LBB351_88:                             ;   in Loop: Header=BB351_13 Depth=1
	s_or_b32 exec_lo, exec_lo, s51
.LBB351_89:                             ;   in Loop: Header=BB351_13 Depth=1
	s_or_b32 exec_lo, exec_lo, s50
.LBB351_90:                             ;   in Loop: Header=BB351_13 Depth=1
	s_or_b32 exec_lo, exec_lo, s49
	v_cmp_ne_u16_sdwa s2, v62, v24 src0_sel:BYTE_1 src1_sel:DWORD
	s_and_saveexec_b32 s49, s2
	s_cbranch_execz .LBB351_98
; %bb.91:                               ;   in Loop: Header=BB351_13 Depth=1
	v_cmp_ne_u16_sdwa s2, v62, v41 src0_sel:BYTE_1 src1_sel:DWORD
	v_bfrev_b32_e32 v59, 1
	s_and_saveexec_b32 s50, s2
	s_cbranch_execz .LBB351_97
; %bb.92:                               ;   in Loop: Header=BB351_13 Depth=1
	v_and_b32_sdwa v23, v42, v62 dst_sel:DWORD dst_unused:UNUSED_PAD src0_sel:DWORD src1_sel:BYTE_1
	v_mov_b32_e32 v59, 0x7f800001
	s_mov_b32 s51, exec_lo
	v_and_b32_e32 v60, 0x7f, v23
	v_cmpx_ne_u32_e32 0x7f, v60
	s_cbranch_execz .LBB351_96
; %bb.93:                               ;   in Loop: Header=BB351_13 Depth=1
	v_and_b32_e32 v23, 7, v23
	v_lshrrev_b32_e32 v59, 3, v60
	s_mov_b32 s52, exec_lo
	v_cmpx_gt_u32_e32 8, v60
; %bb.94:                               ;   in Loop: Header=BB351_13 Depth=1
	v_ffbh_u32_e32 v59, v23
	v_min_u32_e32 v59, 32, v59
	v_subrev_nc_u32_e32 v60, 28, v59
	v_sub_nc_u32_e32 v59, 29, v59
	v_lshlrev_b64 v[60:61], v60, v[23:24]
	v_and_b32_e32 v23, 7, v60
; %bb.95:                               ;   in Loop: Header=BB351_13 Depth=1
	s_or_b32 exec_lo, exec_lo, s52
	v_lshlrev_b32_e32 v60, 16, v62
	v_lshlrev_b32_e32 v23, 20, v23
	v_lshl_add_u32 v59, v59, 23, 0x3c000000
	v_and_b32_e32 v60, 0x80000000, v60
	v_or3_b32 v59, v23, v60, v59
.LBB351_96:                             ;   in Loop: Header=BB351_13 Depth=1
	s_or_b32 exec_lo, exec_lo, s51
.LBB351_97:                             ;   in Loop: Header=BB351_13 Depth=1
	s_or_b32 exec_lo, exec_lo, s50
.LBB351_98:                             ;   in Loop: Header=BB351_13 Depth=1
	s_or_b32 exec_lo, exec_lo, s49
	v_and_b32_sdwa v23, v62, v43 dst_sel:DWORD dst_unused:UNUSED_PAD src0_sel:WORD_1 src1_sel:DWORD
	v_mov_b32_e32 v60, 0
	v_mov_b32_e32 v61, 0
	s_mov_b32 s49, exec_lo
	v_cmpx_ne_u16_e32 0, v23
	s_cbranch_execz .LBB351_106
; %bb.99:                               ;   in Loop: Header=BB351_13 Depth=1
	v_bfrev_b32_e32 v61, 1
	s_mov_b32 s50, exec_lo
	v_cmpx_ne_u16_e32 0x80, v23
	s_cbranch_execz .LBB351_105
; %bb.100:                              ;   in Loop: Header=BB351_13 Depth=1
	v_bfe_u32 v63, v62, 16, 7
	v_mov_b32_e32 v61, 0x7f800001
	s_mov_b32 s51, exec_lo
	v_cmpx_ne_u32_e32 0x7f, v63
	s_cbranch_execz .LBB351_104
; %bb.101:                              ;   in Loop: Header=BB351_13 Depth=1
	v_and_b32_sdwa v23, v62, v44 dst_sel:DWORD dst_unused:UNUSED_PAD src0_sel:WORD_1 src1_sel:DWORD
	v_lshrrev_b32_e32 v61, 3, v63
	s_mov_b32 s52, exec_lo
	v_cmpx_gt_u32_e32 8, v63
; %bb.102:                              ;   in Loop: Header=BB351_13 Depth=1
	v_ffbh_u32_e32 v61, v23
	v_min_u32_e32 v61, 32, v61
	v_subrev_nc_u32_e32 v63, 28, v61
	v_sub_nc_u32_e32 v61, 29, v61
	v_lshlrev_b64 v[63:64], v63, v[23:24]
	v_and_b32_e32 v23, 7, v63
; %bb.103:                              ;   in Loop: Header=BB351_13 Depth=1
	s_or_b32 exec_lo, exec_lo, s52
	v_lshlrev_b32_sdwa v63, v45, v62 dst_sel:DWORD dst_unused:UNUSED_PAD src0_sel:DWORD src1_sel:WORD_1
	v_lshlrev_b32_e32 v23, 20, v23
	v_lshl_add_u32 v61, v61, 23, 0x3c000000
	v_and_b32_e32 v63, 0x80000000, v63
	v_or3_b32 v61, v23, v63, v61
.LBB351_104:                            ;   in Loop: Header=BB351_13 Depth=1
	s_or_b32 exec_lo, exec_lo, s51
.LBB351_105:                            ;   in Loop: Header=BB351_13 Depth=1
	s_or_b32 exec_lo, exec_lo, s50
.LBB351_106:                            ;   in Loop: Header=BB351_13 Depth=1
	s_or_b32 exec_lo, exec_lo, s49
	s_mov_b32 s49, exec_lo
	v_cmpx_lt_u32_e32 0xffffff, v62
	s_cbranch_execz .LBB351_114
; %bb.107:                              ;   in Loop: Header=BB351_13 Depth=1
	v_cmp_ne_u32_sdwa s2, v62, v41 src0_sel:BYTE_3 src1_sel:DWORD
	v_bfrev_b32_e32 v60, 1
	s_and_saveexec_b32 s50, s2
	s_cbranch_execz .LBB351_113
; %bb.108:                              ;   in Loop: Header=BB351_13 Depth=1
	v_bfe_u32 v63, v62, 24, 7
	v_mov_b32_e32 v60, 0x7f800001
	s_mov_b32 s51, exec_lo
	v_cmpx_ne_u32_e32 0x7f, v63
	s_cbranch_execz .LBB351_112
; %bb.109:                              ;   in Loop: Header=BB351_13 Depth=1
	v_and_b32_sdwa v23, v62, v44 dst_sel:DWORD dst_unused:UNUSED_PAD src0_sel:BYTE_3 src1_sel:DWORD
	v_lshrrev_b32_e32 v60, 3, v63
	s_mov_b32 s52, exec_lo
	v_cmpx_gt_u32_e32 8, v63
; %bb.110:                              ;   in Loop: Header=BB351_13 Depth=1
	v_ffbh_u32_e32 v60, v23
	v_min_u32_e32 v60, 32, v60
	v_subrev_nc_u32_e32 v63, 28, v60
	v_sub_nc_u32_e32 v60, 29, v60
	v_lshlrev_b64 v[63:64], v63, v[23:24]
	v_and_b32_e32 v23, 7, v63
; %bb.111:                              ;   in Loop: Header=BB351_13 Depth=1
	s_or_b32 exec_lo, exec_lo, s52
	v_lshlrev_b32_sdwa v62, v45, v62 dst_sel:DWORD dst_unused:UNUSED_PAD src0_sel:DWORD src1_sel:BYTE_3
	v_lshlrev_b32_e32 v23, 20, v23
	v_lshl_add_u32 v60, v60, 23, 0x3c000000
	v_and_b32_e32 v62, 0x80000000, v62
	v_or3_b32 v60, v23, v62, v60
.LBB351_112:                            ;   in Loop: Header=BB351_13 Depth=1
	s_or_b32 exec_lo, exec_lo, s51
.LBB351_113:                            ;   in Loop: Header=BB351_13 Depth=1
	s_or_b32 exec_lo, exec_lo, s50
.LBB351_114:                            ;   in Loop: Header=BB351_13 Depth=1
	s_or_b32 exec_lo, exec_lo, s49
	global_load_dword v66, v[29:30], off offset:264
	v_mov_b32_e32 v63, 0
	v_mov_b32_e32 v62, 0
	s_waitcnt vmcnt(0)
	v_cmp_ne_u16_sdwa s2, v66, v24 src0_sel:BYTE_0 src1_sel:DWORD
	s_and_saveexec_b32 s49, s2
	s_cbranch_execz .LBB351_122
; %bb.115:                              ;   in Loop: Header=BB351_13 Depth=1
	v_cmp_ne_u16_sdwa s2, v66, v41 src0_sel:BYTE_0 src1_sel:DWORD
	v_bfrev_b32_e32 v62, 1
	s_and_saveexec_b32 s50, s2
	s_cbranch_execz .LBB351_121
; %bb.116:                              ;   in Loop: Header=BB351_13 Depth=1
	v_and_b32_e32 v64, 0x7f, v66
	v_mov_b32_e32 v62, 0x7f800001
	s_mov_b32 s51, exec_lo
	v_cmpx_ne_u32_e32 0x7f, v64
	s_cbranch_execz .LBB351_120
; %bb.117:                              ;   in Loop: Header=BB351_13 Depth=1
	v_and_b32_e32 v23, 7, v66
	v_lshrrev_b32_e32 v62, 3, v64
	s_mov_b32 s52, exec_lo
	v_cmpx_gt_u32_e32 8, v64
; %bb.118:                              ;   in Loop: Header=BB351_13 Depth=1
	v_ffbh_u32_e32 v62, v23
	v_min_u32_e32 v62, 32, v62
	v_subrev_nc_u32_e32 v64, 28, v62
	v_sub_nc_u32_e32 v62, 29, v62
	v_lshlrev_b64 v[64:65], v64, v[23:24]
	v_and_b32_e32 v23, 7, v64
; %bb.119:                              ;   in Loop: Header=BB351_13 Depth=1
	s_or_b32 exec_lo, exec_lo, s52
	v_lshlrev_b32_e32 v64, 24, v66
	v_lshlrev_b32_e32 v23, 20, v23
	v_lshl_add_u32 v62, v62, 23, 0x3c000000
	v_and_b32_e32 v64, 0x80000000, v64
	v_or3_b32 v62, v23, v64, v62
.LBB351_120:                            ;   in Loop: Header=BB351_13 Depth=1
	s_or_b32 exec_lo, exec_lo, s51
.LBB351_121:                            ;   in Loop: Header=BB351_13 Depth=1
	s_or_b32 exec_lo, exec_lo, s50
.LBB351_122:                            ;   in Loop: Header=BB351_13 Depth=1
	s_or_b32 exec_lo, exec_lo, s49
	v_cmp_ne_u16_sdwa s2, v66, v24 src0_sel:BYTE_1 src1_sel:DWORD
	s_and_saveexec_b32 s49, s2
	s_cbranch_execz .LBB351_130
; %bb.123:                              ;   in Loop: Header=BB351_13 Depth=1
	v_cmp_ne_u16_sdwa s2, v66, v41 src0_sel:BYTE_1 src1_sel:DWORD
	v_bfrev_b32_e32 v63, 1
	s_and_saveexec_b32 s50, s2
	s_cbranch_execz .LBB351_129
; %bb.124:                              ;   in Loop: Header=BB351_13 Depth=1
	v_and_b32_sdwa v23, v42, v66 dst_sel:DWORD dst_unused:UNUSED_PAD src0_sel:DWORD src1_sel:BYTE_1
	v_mov_b32_e32 v63, 0x7f800001
	s_mov_b32 s51, exec_lo
	v_and_b32_e32 v64, 0x7f, v23
	v_cmpx_ne_u32_e32 0x7f, v64
	s_cbranch_execz .LBB351_128
; %bb.125:                              ;   in Loop: Header=BB351_13 Depth=1
	v_and_b32_e32 v23, 7, v23
	v_lshrrev_b32_e32 v63, 3, v64
	s_mov_b32 s52, exec_lo
	v_cmpx_gt_u32_e32 8, v64
; %bb.126:                              ;   in Loop: Header=BB351_13 Depth=1
	v_ffbh_u32_e32 v63, v23
	v_min_u32_e32 v63, 32, v63
	v_subrev_nc_u32_e32 v64, 28, v63
	v_sub_nc_u32_e32 v63, 29, v63
	v_lshlrev_b64 v[64:65], v64, v[23:24]
	v_and_b32_e32 v23, 7, v64
; %bb.127:                              ;   in Loop: Header=BB351_13 Depth=1
	s_or_b32 exec_lo, exec_lo, s52
	v_lshlrev_b32_e32 v64, 16, v66
	v_lshlrev_b32_e32 v23, 20, v23
	v_lshl_add_u32 v63, v63, 23, 0x3c000000
	v_and_b32_e32 v64, 0x80000000, v64
	v_or3_b32 v63, v23, v64, v63
.LBB351_128:                            ;   in Loop: Header=BB351_13 Depth=1
	s_or_b32 exec_lo, exec_lo, s51
.LBB351_129:                            ;   in Loop: Header=BB351_13 Depth=1
	s_or_b32 exec_lo, exec_lo, s50
.LBB351_130:                            ;   in Loop: Header=BB351_13 Depth=1
	s_or_b32 exec_lo, exec_lo, s49
	v_and_b32_sdwa v23, v66, v43 dst_sel:DWORD dst_unused:UNUSED_PAD src0_sel:WORD_1 src1_sel:DWORD
	v_mov_b32_e32 v64, 0
	v_mov_b32_e32 v65, 0
	s_mov_b32 s49, exec_lo
	v_cmpx_ne_u16_e32 0, v23
	s_cbranch_execz .LBB351_138
; %bb.131:                              ;   in Loop: Header=BB351_13 Depth=1
	v_bfrev_b32_e32 v65, 1
	s_mov_b32 s50, exec_lo
	v_cmpx_ne_u16_e32 0x80, v23
	s_cbranch_execz .LBB351_137
; %bb.132:                              ;   in Loop: Header=BB351_13 Depth=1
	v_bfe_u32 v67, v66, 16, 7
	v_mov_b32_e32 v65, 0x7f800001
	s_mov_b32 s51, exec_lo
	v_cmpx_ne_u32_e32 0x7f, v67
	s_cbranch_execz .LBB351_136
; %bb.133:                              ;   in Loop: Header=BB351_13 Depth=1
	v_and_b32_sdwa v23, v66, v44 dst_sel:DWORD dst_unused:UNUSED_PAD src0_sel:WORD_1 src1_sel:DWORD
	v_lshrrev_b32_e32 v65, 3, v67
	s_mov_b32 s52, exec_lo
	v_cmpx_gt_u32_e32 8, v67
; %bb.134:                              ;   in Loop: Header=BB351_13 Depth=1
	v_ffbh_u32_e32 v65, v23
	v_min_u32_e32 v65, 32, v65
	v_subrev_nc_u32_e32 v67, 28, v65
	v_sub_nc_u32_e32 v65, 29, v65
	v_lshlrev_b64 v[67:68], v67, v[23:24]
	v_and_b32_e32 v23, 7, v67
; %bb.135:                              ;   in Loop: Header=BB351_13 Depth=1
	s_or_b32 exec_lo, exec_lo, s52
	v_lshlrev_b32_sdwa v67, v45, v66 dst_sel:DWORD dst_unused:UNUSED_PAD src0_sel:DWORD src1_sel:WORD_1
	v_lshlrev_b32_e32 v23, 20, v23
	v_lshl_add_u32 v65, v65, 23, 0x3c000000
	v_and_b32_e32 v67, 0x80000000, v67
	v_or3_b32 v65, v23, v67, v65
.LBB351_136:                            ;   in Loop: Header=BB351_13 Depth=1
	s_or_b32 exec_lo, exec_lo, s51
.LBB351_137:                            ;   in Loop: Header=BB351_13 Depth=1
	s_or_b32 exec_lo, exec_lo, s50
.LBB351_138:                            ;   in Loop: Header=BB351_13 Depth=1
	s_or_b32 exec_lo, exec_lo, s49
	s_mov_b32 s49, exec_lo
	v_cmpx_lt_u32_e32 0xffffff, v66
	s_cbranch_execz .LBB351_146
; %bb.139:                              ;   in Loop: Header=BB351_13 Depth=1
	v_cmp_ne_u32_sdwa s2, v66, v41 src0_sel:BYTE_3 src1_sel:DWORD
	v_bfrev_b32_e32 v64, 1
	s_and_saveexec_b32 s50, s2
	s_cbranch_execz .LBB351_145
; %bb.140:                              ;   in Loop: Header=BB351_13 Depth=1
	v_bfe_u32 v67, v66, 24, 7
	v_mov_b32_e32 v64, 0x7f800001
	s_mov_b32 s51, exec_lo
	v_cmpx_ne_u32_e32 0x7f, v67
	s_cbranch_execz .LBB351_144
; %bb.141:                              ;   in Loop: Header=BB351_13 Depth=1
	v_and_b32_sdwa v23, v66, v44 dst_sel:DWORD dst_unused:UNUSED_PAD src0_sel:BYTE_3 src1_sel:DWORD
	v_lshrrev_b32_e32 v64, 3, v67
	s_mov_b32 s52, exec_lo
	v_cmpx_gt_u32_e32 8, v67
; %bb.142:                              ;   in Loop: Header=BB351_13 Depth=1
	v_ffbh_u32_e32 v64, v23
	v_min_u32_e32 v64, 32, v64
	v_subrev_nc_u32_e32 v67, 28, v64
	v_sub_nc_u32_e32 v64, 29, v64
	v_lshlrev_b64 v[67:68], v67, v[23:24]
	v_and_b32_e32 v23, 7, v67
; %bb.143:                              ;   in Loop: Header=BB351_13 Depth=1
	s_or_b32 exec_lo, exec_lo, s52
	v_lshlrev_b32_sdwa v66, v45, v66 dst_sel:DWORD dst_unused:UNUSED_PAD src0_sel:DWORD src1_sel:BYTE_3
	v_lshlrev_b32_e32 v23, 20, v23
	v_lshl_add_u32 v64, v64, 23, 0x3c000000
	v_and_b32_e32 v66, 0x80000000, v66
	v_or3_b32 v64, v23, v66, v64
.LBB351_144:                            ;   in Loop: Header=BB351_13 Depth=1
	s_or_b32 exec_lo, exec_lo, s51
.LBB351_145:                            ;   in Loop: Header=BB351_13 Depth=1
	s_or_b32 exec_lo, exec_lo, s50
.LBB351_146:                            ;   in Loop: Header=BB351_13 Depth=1
	s_or_b32 exec_lo, exec_lo, s49
	global_load_dword v70, v[29:30], off offset:512
	v_mov_b32_e32 v67, 0
	v_mov_b32_e32 v66, 0
	s_waitcnt vmcnt(0)
	v_cmp_ne_u16_sdwa s2, v70, v24 src0_sel:BYTE_0 src1_sel:DWORD
	s_and_saveexec_b32 s49, s2
	s_cbranch_execz .LBB351_154
; %bb.147:                              ;   in Loop: Header=BB351_13 Depth=1
	v_cmp_ne_u16_sdwa s2, v70, v41 src0_sel:BYTE_0 src1_sel:DWORD
	v_bfrev_b32_e32 v66, 1
	s_and_saveexec_b32 s50, s2
	s_cbranch_execz .LBB351_153
; %bb.148:                              ;   in Loop: Header=BB351_13 Depth=1
	v_and_b32_e32 v68, 0x7f, v70
	v_mov_b32_e32 v66, 0x7f800001
	s_mov_b32 s51, exec_lo
	v_cmpx_ne_u32_e32 0x7f, v68
	s_cbranch_execz .LBB351_152
; %bb.149:                              ;   in Loop: Header=BB351_13 Depth=1
	v_and_b32_e32 v23, 7, v70
	v_lshrrev_b32_e32 v66, 3, v68
	s_mov_b32 s52, exec_lo
	v_cmpx_gt_u32_e32 8, v68
; %bb.150:                              ;   in Loop: Header=BB351_13 Depth=1
	v_ffbh_u32_e32 v66, v23
	v_min_u32_e32 v66, 32, v66
	v_subrev_nc_u32_e32 v68, 28, v66
	v_sub_nc_u32_e32 v66, 29, v66
	v_lshlrev_b64 v[68:69], v68, v[23:24]
	v_and_b32_e32 v23, 7, v68
; %bb.151:                              ;   in Loop: Header=BB351_13 Depth=1
	s_or_b32 exec_lo, exec_lo, s52
	v_lshlrev_b32_e32 v68, 24, v70
	v_lshlrev_b32_e32 v23, 20, v23
	v_lshl_add_u32 v66, v66, 23, 0x3c000000
	v_and_b32_e32 v68, 0x80000000, v68
	v_or3_b32 v66, v23, v68, v66
.LBB351_152:                            ;   in Loop: Header=BB351_13 Depth=1
	s_or_b32 exec_lo, exec_lo, s51
.LBB351_153:                            ;   in Loop: Header=BB351_13 Depth=1
	s_or_b32 exec_lo, exec_lo, s50
.LBB351_154:                            ;   in Loop: Header=BB351_13 Depth=1
	s_or_b32 exec_lo, exec_lo, s49
	v_cmp_ne_u16_sdwa s2, v70, v24 src0_sel:BYTE_1 src1_sel:DWORD
	s_and_saveexec_b32 s49, s2
	s_cbranch_execz .LBB351_162
; %bb.155:                              ;   in Loop: Header=BB351_13 Depth=1
	v_cmp_ne_u16_sdwa s2, v70, v41 src0_sel:BYTE_1 src1_sel:DWORD
	v_bfrev_b32_e32 v67, 1
	s_and_saveexec_b32 s50, s2
	s_cbranch_execz .LBB351_161
; %bb.156:                              ;   in Loop: Header=BB351_13 Depth=1
	v_and_b32_sdwa v23, v42, v70 dst_sel:DWORD dst_unused:UNUSED_PAD src0_sel:DWORD src1_sel:BYTE_1
	v_mov_b32_e32 v67, 0x7f800001
	s_mov_b32 s51, exec_lo
	v_and_b32_e32 v68, 0x7f, v23
	v_cmpx_ne_u32_e32 0x7f, v68
	s_cbranch_execz .LBB351_160
; %bb.157:                              ;   in Loop: Header=BB351_13 Depth=1
	v_and_b32_e32 v23, 7, v23
	v_lshrrev_b32_e32 v67, 3, v68
	s_mov_b32 s52, exec_lo
	v_cmpx_gt_u32_e32 8, v68
; %bb.158:                              ;   in Loop: Header=BB351_13 Depth=1
	v_ffbh_u32_e32 v67, v23
	v_min_u32_e32 v67, 32, v67
	v_subrev_nc_u32_e32 v68, 28, v67
	v_sub_nc_u32_e32 v67, 29, v67
	v_lshlrev_b64 v[68:69], v68, v[23:24]
	v_and_b32_e32 v23, 7, v68
; %bb.159:                              ;   in Loop: Header=BB351_13 Depth=1
	s_or_b32 exec_lo, exec_lo, s52
	v_lshlrev_b32_e32 v68, 16, v70
	v_lshlrev_b32_e32 v23, 20, v23
	v_lshl_add_u32 v67, v67, 23, 0x3c000000
	v_and_b32_e32 v68, 0x80000000, v68
	v_or3_b32 v67, v23, v68, v67
.LBB351_160:                            ;   in Loop: Header=BB351_13 Depth=1
	s_or_b32 exec_lo, exec_lo, s51
.LBB351_161:                            ;   in Loop: Header=BB351_13 Depth=1
	s_or_b32 exec_lo, exec_lo, s50
.LBB351_162:                            ;   in Loop: Header=BB351_13 Depth=1
	s_or_b32 exec_lo, exec_lo, s49
	v_and_b32_sdwa v23, v70, v43 dst_sel:DWORD dst_unused:UNUSED_PAD src0_sel:WORD_1 src1_sel:DWORD
	v_mov_b32_e32 v68, 0
	v_mov_b32_e32 v69, 0
	s_mov_b32 s49, exec_lo
	v_cmpx_ne_u16_e32 0, v23
	s_cbranch_execz .LBB351_170
; %bb.163:                              ;   in Loop: Header=BB351_13 Depth=1
	v_bfrev_b32_e32 v69, 1
	s_mov_b32 s50, exec_lo
	v_cmpx_ne_u16_e32 0x80, v23
	s_cbranch_execz .LBB351_169
; %bb.164:                              ;   in Loop: Header=BB351_13 Depth=1
	v_bfe_u32 v71, v70, 16, 7
	v_mov_b32_e32 v69, 0x7f800001
	s_mov_b32 s51, exec_lo
	v_cmpx_ne_u32_e32 0x7f, v71
	s_cbranch_execz .LBB351_168
; %bb.165:                              ;   in Loop: Header=BB351_13 Depth=1
	v_and_b32_sdwa v23, v70, v44 dst_sel:DWORD dst_unused:UNUSED_PAD src0_sel:WORD_1 src1_sel:DWORD
	v_lshrrev_b32_e32 v69, 3, v71
	s_mov_b32 s52, exec_lo
	v_cmpx_gt_u32_e32 8, v71
; %bb.166:                              ;   in Loop: Header=BB351_13 Depth=1
	v_ffbh_u32_e32 v69, v23
	v_min_u32_e32 v69, 32, v69
	v_subrev_nc_u32_e32 v71, 28, v69
	v_sub_nc_u32_e32 v69, 29, v69
	v_lshlrev_b64 v[71:72], v71, v[23:24]
	v_and_b32_e32 v23, 7, v71
; %bb.167:                              ;   in Loop: Header=BB351_13 Depth=1
	s_or_b32 exec_lo, exec_lo, s52
	v_lshlrev_b32_sdwa v71, v45, v70 dst_sel:DWORD dst_unused:UNUSED_PAD src0_sel:DWORD src1_sel:WORD_1
	v_lshlrev_b32_e32 v23, 20, v23
	v_lshl_add_u32 v69, v69, 23, 0x3c000000
	v_and_b32_e32 v71, 0x80000000, v71
	v_or3_b32 v69, v23, v71, v69
.LBB351_168:                            ;   in Loop: Header=BB351_13 Depth=1
	s_or_b32 exec_lo, exec_lo, s51
.LBB351_169:                            ;   in Loop: Header=BB351_13 Depth=1
	s_or_b32 exec_lo, exec_lo, s50
.LBB351_170:                            ;   in Loop: Header=BB351_13 Depth=1
	s_or_b32 exec_lo, exec_lo, s49
	s_mov_b32 s49, exec_lo
	v_cmpx_lt_u32_e32 0xffffff, v70
	s_cbranch_execz .LBB351_178
; %bb.171:                              ;   in Loop: Header=BB351_13 Depth=1
	v_cmp_ne_u32_sdwa s2, v70, v41 src0_sel:BYTE_3 src1_sel:DWORD
	v_bfrev_b32_e32 v68, 1
	s_and_saveexec_b32 s50, s2
	s_cbranch_execz .LBB351_177
; %bb.172:                              ;   in Loop: Header=BB351_13 Depth=1
	v_bfe_u32 v71, v70, 24, 7
	v_mov_b32_e32 v68, 0x7f800001
	s_mov_b32 s51, exec_lo
	v_cmpx_ne_u32_e32 0x7f, v71
	s_cbranch_execz .LBB351_176
; %bb.173:                              ;   in Loop: Header=BB351_13 Depth=1
	v_and_b32_sdwa v23, v70, v44 dst_sel:DWORD dst_unused:UNUSED_PAD src0_sel:BYTE_3 src1_sel:DWORD
	v_lshrrev_b32_e32 v68, 3, v71
	s_mov_b32 s52, exec_lo
	v_cmpx_gt_u32_e32 8, v71
; %bb.174:                              ;   in Loop: Header=BB351_13 Depth=1
	v_ffbh_u32_e32 v68, v23
	v_min_u32_e32 v68, 32, v68
	v_subrev_nc_u32_e32 v71, 28, v68
	v_sub_nc_u32_e32 v68, 29, v68
	v_lshlrev_b64 v[71:72], v71, v[23:24]
	v_and_b32_e32 v23, 7, v71
; %bb.175:                              ;   in Loop: Header=BB351_13 Depth=1
	s_or_b32 exec_lo, exec_lo, s52
	v_lshlrev_b32_sdwa v70, v45, v70 dst_sel:DWORD dst_unused:UNUSED_PAD src0_sel:DWORD src1_sel:BYTE_3
	v_lshlrev_b32_e32 v23, 20, v23
	v_lshl_add_u32 v68, v68, 23, 0x3c000000
	v_and_b32_e32 v70, 0x80000000, v70
	v_or3_b32 v68, v23, v70, v68
.LBB351_176:                            ;   in Loop: Header=BB351_13 Depth=1
	s_or_b32 exec_lo, exec_lo, s51
.LBB351_177:                            ;   in Loop: Header=BB351_13 Depth=1
	s_or_b32 exec_lo, exec_lo, s50
.LBB351_178:                            ;   in Loop: Header=BB351_13 Depth=1
	s_or_b32 exec_lo, exec_lo, s49
	global_load_dword v74, v[29:30], off offset:520
	v_mov_b32_e32 v71, 0
	v_mov_b32_e32 v70, 0
	s_waitcnt vmcnt(0)
	v_cmp_ne_u16_sdwa s2, v74, v24 src0_sel:BYTE_0 src1_sel:DWORD
	s_and_saveexec_b32 s49, s2
	s_cbranch_execz .LBB351_186
; %bb.179:                              ;   in Loop: Header=BB351_13 Depth=1
	v_cmp_ne_u16_sdwa s2, v74, v41 src0_sel:BYTE_0 src1_sel:DWORD
	v_bfrev_b32_e32 v70, 1
	s_and_saveexec_b32 s50, s2
	s_cbranch_execz .LBB351_185
; %bb.180:                              ;   in Loop: Header=BB351_13 Depth=1
	v_and_b32_e32 v72, 0x7f, v74
	v_mov_b32_e32 v70, 0x7f800001
	s_mov_b32 s51, exec_lo
	v_cmpx_ne_u32_e32 0x7f, v72
	s_cbranch_execz .LBB351_184
; %bb.181:                              ;   in Loop: Header=BB351_13 Depth=1
	v_and_b32_e32 v23, 7, v74
	v_lshrrev_b32_e32 v70, 3, v72
	s_mov_b32 s52, exec_lo
	v_cmpx_gt_u32_e32 8, v72
; %bb.182:                              ;   in Loop: Header=BB351_13 Depth=1
	v_ffbh_u32_e32 v70, v23
	v_min_u32_e32 v70, 32, v70
	v_subrev_nc_u32_e32 v72, 28, v70
	v_sub_nc_u32_e32 v70, 29, v70
	v_lshlrev_b64 v[72:73], v72, v[23:24]
	v_and_b32_e32 v23, 7, v72
; %bb.183:                              ;   in Loop: Header=BB351_13 Depth=1
	s_or_b32 exec_lo, exec_lo, s52
	v_lshlrev_b32_e32 v72, 24, v74
	v_lshlrev_b32_e32 v23, 20, v23
	v_lshl_add_u32 v70, v70, 23, 0x3c000000
	v_and_b32_e32 v72, 0x80000000, v72
	v_or3_b32 v70, v23, v72, v70
.LBB351_184:                            ;   in Loop: Header=BB351_13 Depth=1
	s_or_b32 exec_lo, exec_lo, s51
.LBB351_185:                            ;   in Loop: Header=BB351_13 Depth=1
	s_or_b32 exec_lo, exec_lo, s50
.LBB351_186:                            ;   in Loop: Header=BB351_13 Depth=1
	s_or_b32 exec_lo, exec_lo, s49
	v_cmp_ne_u16_sdwa s2, v74, v24 src0_sel:BYTE_1 src1_sel:DWORD
	s_and_saveexec_b32 s49, s2
	s_cbranch_execz .LBB351_194
; %bb.187:                              ;   in Loop: Header=BB351_13 Depth=1
	v_cmp_ne_u16_sdwa s2, v74, v41 src0_sel:BYTE_1 src1_sel:DWORD
	v_bfrev_b32_e32 v71, 1
	s_and_saveexec_b32 s50, s2
	s_cbranch_execz .LBB351_193
; %bb.188:                              ;   in Loop: Header=BB351_13 Depth=1
	v_and_b32_sdwa v23, v42, v74 dst_sel:DWORD dst_unused:UNUSED_PAD src0_sel:DWORD src1_sel:BYTE_1
	v_mov_b32_e32 v71, 0x7f800001
	s_mov_b32 s51, exec_lo
	v_and_b32_e32 v72, 0x7f, v23
	v_cmpx_ne_u32_e32 0x7f, v72
	s_cbranch_execz .LBB351_192
; %bb.189:                              ;   in Loop: Header=BB351_13 Depth=1
	v_and_b32_e32 v23, 7, v23
	v_lshrrev_b32_e32 v71, 3, v72
	s_mov_b32 s52, exec_lo
	v_cmpx_gt_u32_e32 8, v72
; %bb.190:                              ;   in Loop: Header=BB351_13 Depth=1
	v_ffbh_u32_e32 v71, v23
	v_min_u32_e32 v71, 32, v71
	v_subrev_nc_u32_e32 v72, 28, v71
	v_sub_nc_u32_e32 v71, 29, v71
	v_lshlrev_b64 v[72:73], v72, v[23:24]
	v_and_b32_e32 v23, 7, v72
; %bb.191:                              ;   in Loop: Header=BB351_13 Depth=1
	s_or_b32 exec_lo, exec_lo, s52
	v_lshlrev_b32_e32 v72, 16, v74
	v_lshlrev_b32_e32 v23, 20, v23
	v_lshl_add_u32 v71, v71, 23, 0x3c000000
	v_and_b32_e32 v72, 0x80000000, v72
	v_or3_b32 v71, v23, v72, v71
.LBB351_192:                            ;   in Loop: Header=BB351_13 Depth=1
	s_or_b32 exec_lo, exec_lo, s51
.LBB351_193:                            ;   in Loop: Header=BB351_13 Depth=1
	s_or_b32 exec_lo, exec_lo, s50
.LBB351_194:                            ;   in Loop: Header=BB351_13 Depth=1
	s_or_b32 exec_lo, exec_lo, s49
	v_and_b32_sdwa v23, v74, v43 dst_sel:DWORD dst_unused:UNUSED_PAD src0_sel:WORD_1 src1_sel:DWORD
	v_mov_b32_e32 v72, 0
	v_mov_b32_e32 v73, 0
	s_mov_b32 s49, exec_lo
	v_cmpx_ne_u16_e32 0, v23
	s_cbranch_execz .LBB351_202
; %bb.195:                              ;   in Loop: Header=BB351_13 Depth=1
	v_bfrev_b32_e32 v73, 1
	s_mov_b32 s50, exec_lo
	v_cmpx_ne_u16_e32 0x80, v23
	s_cbranch_execz .LBB351_201
; %bb.196:                              ;   in Loop: Header=BB351_13 Depth=1
	v_bfe_u32 v75, v74, 16, 7
	v_mov_b32_e32 v73, 0x7f800001
	s_mov_b32 s51, exec_lo
	v_cmpx_ne_u32_e32 0x7f, v75
	s_cbranch_execz .LBB351_200
; %bb.197:                              ;   in Loop: Header=BB351_13 Depth=1
	v_and_b32_sdwa v23, v74, v44 dst_sel:DWORD dst_unused:UNUSED_PAD src0_sel:WORD_1 src1_sel:DWORD
	v_lshrrev_b32_e32 v73, 3, v75
	s_mov_b32 s52, exec_lo
	v_cmpx_gt_u32_e32 8, v75
; %bb.198:                              ;   in Loop: Header=BB351_13 Depth=1
	v_ffbh_u32_e32 v73, v23
	v_min_u32_e32 v73, 32, v73
	v_subrev_nc_u32_e32 v75, 28, v73
	v_sub_nc_u32_e32 v73, 29, v73
	v_lshlrev_b64 v[75:76], v75, v[23:24]
	v_and_b32_e32 v23, 7, v75
; %bb.199:                              ;   in Loop: Header=BB351_13 Depth=1
	s_or_b32 exec_lo, exec_lo, s52
	v_lshlrev_b32_sdwa v75, v45, v74 dst_sel:DWORD dst_unused:UNUSED_PAD src0_sel:DWORD src1_sel:WORD_1
	v_lshlrev_b32_e32 v23, 20, v23
	v_lshl_add_u32 v73, v73, 23, 0x3c000000
	v_and_b32_e32 v75, 0x80000000, v75
	v_or3_b32 v73, v23, v75, v73
.LBB351_200:                            ;   in Loop: Header=BB351_13 Depth=1
	s_or_b32 exec_lo, exec_lo, s51
.LBB351_201:                            ;   in Loop: Header=BB351_13 Depth=1
	s_or_b32 exec_lo, exec_lo, s50
.LBB351_202:                            ;   in Loop: Header=BB351_13 Depth=1
	s_or_b32 exec_lo, exec_lo, s49
	s_mov_b32 s49, exec_lo
	v_cmpx_lt_u32_e32 0xffffff, v74
	s_cbranch_execz .LBB351_210
; %bb.203:                              ;   in Loop: Header=BB351_13 Depth=1
	v_cmp_ne_u32_sdwa s2, v74, v41 src0_sel:BYTE_3 src1_sel:DWORD
	v_bfrev_b32_e32 v72, 1
	s_and_saveexec_b32 s50, s2
	s_cbranch_execz .LBB351_209
; %bb.204:                              ;   in Loop: Header=BB351_13 Depth=1
	v_bfe_u32 v75, v74, 24, 7
	v_mov_b32_e32 v72, 0x7f800001
	s_mov_b32 s51, exec_lo
	v_cmpx_ne_u32_e32 0x7f, v75
	s_cbranch_execz .LBB351_208
; %bb.205:                              ;   in Loop: Header=BB351_13 Depth=1
	v_and_b32_sdwa v23, v74, v44 dst_sel:DWORD dst_unused:UNUSED_PAD src0_sel:BYTE_3 src1_sel:DWORD
	v_lshrrev_b32_e32 v72, 3, v75
	s_mov_b32 s52, exec_lo
	v_cmpx_gt_u32_e32 8, v75
; %bb.206:                              ;   in Loop: Header=BB351_13 Depth=1
	v_ffbh_u32_e32 v72, v23
	v_min_u32_e32 v72, 32, v72
	v_subrev_nc_u32_e32 v75, 28, v72
	v_sub_nc_u32_e32 v72, 29, v72
	v_lshlrev_b64 v[75:76], v75, v[23:24]
	v_and_b32_e32 v23, 7, v75
; %bb.207:                              ;   in Loop: Header=BB351_13 Depth=1
	s_or_b32 exec_lo, exec_lo, s52
	v_lshlrev_b32_sdwa v74, v45, v74 dst_sel:DWORD dst_unused:UNUSED_PAD src0_sel:DWORD src1_sel:BYTE_3
	v_lshlrev_b32_e32 v23, 20, v23
	v_lshl_add_u32 v72, v72, 23, 0x3c000000
	v_and_b32_e32 v74, 0x80000000, v74
	v_or3_b32 v72, v23, v74, v72
.LBB351_208:                            ;   in Loop: Header=BB351_13 Depth=1
	s_or_b32 exec_lo, exec_lo, s51
.LBB351_209:                            ;   in Loop: Header=BB351_13 Depth=1
	s_or_b32 exec_lo, exec_lo, s50
.LBB351_210:                            ;   in Loop: Header=BB351_13 Depth=1
	s_or_b32 exec_lo, exec_lo, s49
	global_load_dword v78, v[29:30], off offset:768
	v_mov_b32_e32 v75, 0
	v_mov_b32_e32 v74, 0
	s_waitcnt vmcnt(0)
	v_cmp_ne_u16_sdwa s2, v78, v24 src0_sel:BYTE_0 src1_sel:DWORD
	s_and_saveexec_b32 s49, s2
	s_cbranch_execz .LBB351_218
; %bb.211:                              ;   in Loop: Header=BB351_13 Depth=1
	v_cmp_ne_u16_sdwa s2, v78, v41 src0_sel:BYTE_0 src1_sel:DWORD
	v_bfrev_b32_e32 v74, 1
	s_and_saveexec_b32 s50, s2
	s_cbranch_execz .LBB351_217
; %bb.212:                              ;   in Loop: Header=BB351_13 Depth=1
	v_and_b32_e32 v76, 0x7f, v78
	v_mov_b32_e32 v74, 0x7f800001
	s_mov_b32 s51, exec_lo
	v_cmpx_ne_u32_e32 0x7f, v76
	s_cbranch_execz .LBB351_216
; %bb.213:                              ;   in Loop: Header=BB351_13 Depth=1
	v_and_b32_e32 v23, 7, v78
	v_lshrrev_b32_e32 v74, 3, v76
	s_mov_b32 s52, exec_lo
	v_cmpx_gt_u32_e32 8, v76
; %bb.214:                              ;   in Loop: Header=BB351_13 Depth=1
	v_ffbh_u32_e32 v74, v23
	v_min_u32_e32 v74, 32, v74
	v_subrev_nc_u32_e32 v76, 28, v74
	v_sub_nc_u32_e32 v74, 29, v74
	v_lshlrev_b64 v[76:77], v76, v[23:24]
	v_and_b32_e32 v23, 7, v76
; %bb.215:                              ;   in Loop: Header=BB351_13 Depth=1
	s_or_b32 exec_lo, exec_lo, s52
	v_lshlrev_b32_e32 v76, 24, v78
	v_lshlrev_b32_e32 v23, 20, v23
	v_lshl_add_u32 v74, v74, 23, 0x3c000000
	v_and_b32_e32 v76, 0x80000000, v76
	v_or3_b32 v74, v23, v76, v74
.LBB351_216:                            ;   in Loop: Header=BB351_13 Depth=1
	s_or_b32 exec_lo, exec_lo, s51
.LBB351_217:                            ;   in Loop: Header=BB351_13 Depth=1
	s_or_b32 exec_lo, exec_lo, s50
.LBB351_218:                            ;   in Loop: Header=BB351_13 Depth=1
	s_or_b32 exec_lo, exec_lo, s49
	v_cmp_ne_u16_sdwa s2, v78, v24 src0_sel:BYTE_1 src1_sel:DWORD
	s_and_saveexec_b32 s49, s2
	s_cbranch_execz .LBB351_226
; %bb.219:                              ;   in Loop: Header=BB351_13 Depth=1
	v_cmp_ne_u16_sdwa s2, v78, v41 src0_sel:BYTE_1 src1_sel:DWORD
	v_bfrev_b32_e32 v75, 1
	s_and_saveexec_b32 s50, s2
	s_cbranch_execz .LBB351_225
; %bb.220:                              ;   in Loop: Header=BB351_13 Depth=1
	v_and_b32_sdwa v23, v42, v78 dst_sel:DWORD dst_unused:UNUSED_PAD src0_sel:DWORD src1_sel:BYTE_1
	v_mov_b32_e32 v75, 0x7f800001
	s_mov_b32 s51, exec_lo
	v_and_b32_e32 v76, 0x7f, v23
	v_cmpx_ne_u32_e32 0x7f, v76
	s_cbranch_execz .LBB351_224
; %bb.221:                              ;   in Loop: Header=BB351_13 Depth=1
	v_and_b32_e32 v23, 7, v23
	v_lshrrev_b32_e32 v75, 3, v76
	s_mov_b32 s52, exec_lo
	v_cmpx_gt_u32_e32 8, v76
; %bb.222:                              ;   in Loop: Header=BB351_13 Depth=1
	v_ffbh_u32_e32 v75, v23
	v_min_u32_e32 v75, 32, v75
	v_subrev_nc_u32_e32 v76, 28, v75
	v_sub_nc_u32_e32 v75, 29, v75
	v_lshlrev_b64 v[76:77], v76, v[23:24]
	v_and_b32_e32 v23, 7, v76
; %bb.223:                              ;   in Loop: Header=BB351_13 Depth=1
	s_or_b32 exec_lo, exec_lo, s52
	v_lshlrev_b32_e32 v76, 16, v78
	v_lshlrev_b32_e32 v23, 20, v23
	v_lshl_add_u32 v75, v75, 23, 0x3c000000
	v_and_b32_e32 v76, 0x80000000, v76
	v_or3_b32 v75, v23, v76, v75
.LBB351_224:                            ;   in Loop: Header=BB351_13 Depth=1
	s_or_b32 exec_lo, exec_lo, s51
.LBB351_225:                            ;   in Loop: Header=BB351_13 Depth=1
	s_or_b32 exec_lo, exec_lo, s50
.LBB351_226:                            ;   in Loop: Header=BB351_13 Depth=1
	s_or_b32 exec_lo, exec_lo, s49
	v_and_b32_sdwa v23, v78, v43 dst_sel:DWORD dst_unused:UNUSED_PAD src0_sel:WORD_1 src1_sel:DWORD
	v_mov_b32_e32 v76, 0
	v_mov_b32_e32 v77, 0
	s_mov_b32 s49, exec_lo
	v_cmpx_ne_u16_e32 0, v23
	s_cbranch_execz .LBB351_234
; %bb.227:                              ;   in Loop: Header=BB351_13 Depth=1
	v_bfrev_b32_e32 v77, 1
	s_mov_b32 s50, exec_lo
	v_cmpx_ne_u16_e32 0x80, v23
	s_cbranch_execz .LBB351_233
; %bb.228:                              ;   in Loop: Header=BB351_13 Depth=1
	v_bfe_u32 v79, v78, 16, 7
	v_mov_b32_e32 v77, 0x7f800001
	s_mov_b32 s51, exec_lo
	v_cmpx_ne_u32_e32 0x7f, v79
	s_cbranch_execz .LBB351_232
; %bb.229:                              ;   in Loop: Header=BB351_13 Depth=1
	v_and_b32_sdwa v23, v78, v44 dst_sel:DWORD dst_unused:UNUSED_PAD src0_sel:WORD_1 src1_sel:DWORD
	v_lshrrev_b32_e32 v77, 3, v79
	s_mov_b32 s52, exec_lo
	v_cmpx_gt_u32_e32 8, v79
; %bb.230:                              ;   in Loop: Header=BB351_13 Depth=1
	v_ffbh_u32_e32 v77, v23
	v_min_u32_e32 v77, 32, v77
	v_subrev_nc_u32_e32 v79, 28, v77
	v_sub_nc_u32_e32 v77, 29, v77
	v_lshlrev_b64 v[79:80], v79, v[23:24]
	v_and_b32_e32 v23, 7, v79
; %bb.231:                              ;   in Loop: Header=BB351_13 Depth=1
	s_or_b32 exec_lo, exec_lo, s52
	v_lshlrev_b32_sdwa v79, v45, v78 dst_sel:DWORD dst_unused:UNUSED_PAD src0_sel:DWORD src1_sel:WORD_1
	v_lshlrev_b32_e32 v23, 20, v23
	v_lshl_add_u32 v77, v77, 23, 0x3c000000
	v_and_b32_e32 v79, 0x80000000, v79
	v_or3_b32 v77, v23, v79, v77
.LBB351_232:                            ;   in Loop: Header=BB351_13 Depth=1
	s_or_b32 exec_lo, exec_lo, s51
.LBB351_233:                            ;   in Loop: Header=BB351_13 Depth=1
	s_or_b32 exec_lo, exec_lo, s50
.LBB351_234:                            ;   in Loop: Header=BB351_13 Depth=1
	s_or_b32 exec_lo, exec_lo, s49
	s_mov_b32 s49, exec_lo
	v_cmpx_lt_u32_e32 0xffffff, v78
	s_cbranch_execz .LBB351_242
; %bb.235:                              ;   in Loop: Header=BB351_13 Depth=1
	v_cmp_ne_u32_sdwa s2, v78, v41 src0_sel:BYTE_3 src1_sel:DWORD
	v_bfrev_b32_e32 v76, 1
	s_and_saveexec_b32 s50, s2
	s_cbranch_execz .LBB351_241
; %bb.236:                              ;   in Loop: Header=BB351_13 Depth=1
	v_bfe_u32 v79, v78, 24, 7
	v_mov_b32_e32 v76, 0x7f800001
	s_mov_b32 s51, exec_lo
	v_cmpx_ne_u32_e32 0x7f, v79
	s_cbranch_execz .LBB351_240
; %bb.237:                              ;   in Loop: Header=BB351_13 Depth=1
	v_and_b32_sdwa v23, v78, v44 dst_sel:DWORD dst_unused:UNUSED_PAD src0_sel:BYTE_3 src1_sel:DWORD
	v_lshrrev_b32_e32 v76, 3, v79
	s_mov_b32 s52, exec_lo
	v_cmpx_gt_u32_e32 8, v79
; %bb.238:                              ;   in Loop: Header=BB351_13 Depth=1
	v_ffbh_u32_e32 v76, v23
	v_min_u32_e32 v76, 32, v76
	v_subrev_nc_u32_e32 v79, 28, v76
	v_sub_nc_u32_e32 v76, 29, v76
	v_lshlrev_b64 v[79:80], v79, v[23:24]
	v_and_b32_e32 v23, 7, v79
; %bb.239:                              ;   in Loop: Header=BB351_13 Depth=1
	s_or_b32 exec_lo, exec_lo, s52
	v_lshlrev_b32_sdwa v78, v45, v78 dst_sel:DWORD dst_unused:UNUSED_PAD src0_sel:DWORD src1_sel:BYTE_3
	v_lshlrev_b32_e32 v23, 20, v23
	v_lshl_add_u32 v76, v76, 23, 0x3c000000
	v_and_b32_e32 v78, 0x80000000, v78
	v_or3_b32 v76, v23, v78, v76
.LBB351_240:                            ;   in Loop: Header=BB351_13 Depth=1
	s_or_b32 exec_lo, exec_lo, s51
.LBB351_241:                            ;   in Loop: Header=BB351_13 Depth=1
	s_or_b32 exec_lo, exec_lo, s50
.LBB351_242:                            ;   in Loop: Header=BB351_13 Depth=1
	s_or_b32 exec_lo, exec_lo, s49
	global_load_dword v82, v[29:30], off offset:776
	v_mov_b32_e32 v79, 0
	v_mov_b32_e32 v78, 0
	s_waitcnt vmcnt(0)
	v_cmp_ne_u16_sdwa s2, v82, v24 src0_sel:BYTE_0 src1_sel:DWORD
	s_and_saveexec_b32 s49, s2
	s_cbranch_execz .LBB351_250
; %bb.243:                              ;   in Loop: Header=BB351_13 Depth=1
	v_cmp_ne_u16_sdwa s2, v82, v41 src0_sel:BYTE_0 src1_sel:DWORD
	v_bfrev_b32_e32 v78, 1
	s_and_saveexec_b32 s50, s2
	s_cbranch_execz .LBB351_249
; %bb.244:                              ;   in Loop: Header=BB351_13 Depth=1
	v_and_b32_e32 v80, 0x7f, v82
	v_mov_b32_e32 v78, 0x7f800001
	s_mov_b32 s51, exec_lo
	v_cmpx_ne_u32_e32 0x7f, v80
	s_cbranch_execz .LBB351_248
; %bb.245:                              ;   in Loop: Header=BB351_13 Depth=1
	v_and_b32_e32 v23, 7, v82
	v_lshrrev_b32_e32 v78, 3, v80
	s_mov_b32 s52, exec_lo
	v_cmpx_gt_u32_e32 8, v80
; %bb.246:                              ;   in Loop: Header=BB351_13 Depth=1
	v_ffbh_u32_e32 v78, v23
	v_min_u32_e32 v78, 32, v78
	v_subrev_nc_u32_e32 v80, 28, v78
	v_sub_nc_u32_e32 v78, 29, v78
	v_lshlrev_b64 v[80:81], v80, v[23:24]
	v_and_b32_e32 v23, 7, v80
; %bb.247:                              ;   in Loop: Header=BB351_13 Depth=1
	s_or_b32 exec_lo, exec_lo, s52
	v_lshlrev_b32_e32 v80, 24, v82
	v_lshlrev_b32_e32 v23, 20, v23
	v_lshl_add_u32 v78, v78, 23, 0x3c000000
	v_and_b32_e32 v80, 0x80000000, v80
	v_or3_b32 v78, v23, v80, v78
.LBB351_248:                            ;   in Loop: Header=BB351_13 Depth=1
	s_or_b32 exec_lo, exec_lo, s51
.LBB351_249:                            ;   in Loop: Header=BB351_13 Depth=1
	s_or_b32 exec_lo, exec_lo, s50
.LBB351_250:                            ;   in Loop: Header=BB351_13 Depth=1
	s_or_b32 exec_lo, exec_lo, s49
	v_cmp_ne_u16_sdwa s2, v82, v24 src0_sel:BYTE_1 src1_sel:DWORD
	s_and_saveexec_b32 s49, s2
	s_cbranch_execz .LBB351_258
; %bb.251:                              ;   in Loop: Header=BB351_13 Depth=1
	v_cmp_ne_u16_sdwa s2, v82, v41 src0_sel:BYTE_1 src1_sel:DWORD
	v_bfrev_b32_e32 v79, 1
	s_and_saveexec_b32 s50, s2
	s_cbranch_execz .LBB351_257
; %bb.252:                              ;   in Loop: Header=BB351_13 Depth=1
	v_and_b32_sdwa v23, v42, v82 dst_sel:DWORD dst_unused:UNUSED_PAD src0_sel:DWORD src1_sel:BYTE_1
	v_mov_b32_e32 v79, 0x7f800001
	s_mov_b32 s51, exec_lo
	v_and_b32_e32 v80, 0x7f, v23
	v_cmpx_ne_u32_e32 0x7f, v80
	s_cbranch_execz .LBB351_256
; %bb.253:                              ;   in Loop: Header=BB351_13 Depth=1
	v_and_b32_e32 v23, 7, v23
	v_lshrrev_b32_e32 v79, 3, v80
	s_mov_b32 s52, exec_lo
	v_cmpx_gt_u32_e32 8, v80
; %bb.254:                              ;   in Loop: Header=BB351_13 Depth=1
	v_ffbh_u32_e32 v79, v23
	v_min_u32_e32 v79, 32, v79
	v_subrev_nc_u32_e32 v80, 28, v79
	v_sub_nc_u32_e32 v79, 29, v79
	v_lshlrev_b64 v[80:81], v80, v[23:24]
	v_and_b32_e32 v23, 7, v80
; %bb.255:                              ;   in Loop: Header=BB351_13 Depth=1
	s_or_b32 exec_lo, exec_lo, s52
	v_lshlrev_b32_e32 v80, 16, v82
	v_lshlrev_b32_e32 v23, 20, v23
	v_lshl_add_u32 v79, v79, 23, 0x3c000000
	v_and_b32_e32 v80, 0x80000000, v80
	v_or3_b32 v79, v23, v80, v79
.LBB351_256:                            ;   in Loop: Header=BB351_13 Depth=1
	s_or_b32 exec_lo, exec_lo, s51
.LBB351_257:                            ;   in Loop: Header=BB351_13 Depth=1
	s_or_b32 exec_lo, exec_lo, s50
.LBB351_258:                            ;   in Loop: Header=BB351_13 Depth=1
	s_or_b32 exec_lo, exec_lo, s49
	v_and_b32_sdwa v23, v82, v43 dst_sel:DWORD dst_unused:UNUSED_PAD src0_sel:WORD_1 src1_sel:DWORD
	v_mov_b32_e32 v80, 0
	v_mov_b32_e32 v81, 0
	s_mov_b32 s49, exec_lo
	v_cmpx_ne_u16_e32 0, v23
	s_cbranch_execz .LBB351_266
; %bb.259:                              ;   in Loop: Header=BB351_13 Depth=1
	v_bfrev_b32_e32 v81, 1
	s_mov_b32 s50, exec_lo
	v_cmpx_ne_u16_e32 0x80, v23
	s_cbranch_execz .LBB351_265
; %bb.260:                              ;   in Loop: Header=BB351_13 Depth=1
	v_bfe_u32 v83, v82, 16, 7
	v_mov_b32_e32 v81, 0x7f800001
	s_mov_b32 s51, exec_lo
	v_cmpx_ne_u32_e32 0x7f, v83
	s_cbranch_execz .LBB351_264
; %bb.261:                              ;   in Loop: Header=BB351_13 Depth=1
	v_and_b32_sdwa v23, v82, v44 dst_sel:DWORD dst_unused:UNUSED_PAD src0_sel:WORD_1 src1_sel:DWORD
	v_lshrrev_b32_e32 v81, 3, v83
	s_mov_b32 s52, exec_lo
	v_cmpx_gt_u32_e32 8, v83
; %bb.262:                              ;   in Loop: Header=BB351_13 Depth=1
	v_ffbh_u32_e32 v81, v23
	v_min_u32_e32 v81, 32, v81
	v_subrev_nc_u32_e32 v83, 28, v81
	v_sub_nc_u32_e32 v81, 29, v81
	v_lshlrev_b64 v[83:84], v83, v[23:24]
	v_and_b32_e32 v23, 7, v83
; %bb.263:                              ;   in Loop: Header=BB351_13 Depth=1
	s_or_b32 exec_lo, exec_lo, s52
	v_lshlrev_b32_sdwa v83, v45, v82 dst_sel:DWORD dst_unused:UNUSED_PAD src0_sel:DWORD src1_sel:WORD_1
	v_lshlrev_b32_e32 v23, 20, v23
	v_lshl_add_u32 v81, v81, 23, 0x3c000000
	v_and_b32_e32 v83, 0x80000000, v83
	v_or3_b32 v81, v23, v83, v81
.LBB351_264:                            ;   in Loop: Header=BB351_13 Depth=1
	s_or_b32 exec_lo, exec_lo, s51
.LBB351_265:                            ;   in Loop: Header=BB351_13 Depth=1
	s_or_b32 exec_lo, exec_lo, s50
.LBB351_266:                            ;   in Loop: Header=BB351_13 Depth=1
	s_or_b32 exec_lo, exec_lo, s49
	s_mov_b32 s49, exec_lo
	v_cmpx_lt_u32_e32 0xffffff, v82
	s_cbranch_execz .LBB351_274
; %bb.267:                              ;   in Loop: Header=BB351_13 Depth=1
	v_cmp_ne_u32_sdwa s2, v82, v41 src0_sel:BYTE_3 src1_sel:DWORD
	v_bfrev_b32_e32 v80, 1
	s_and_saveexec_b32 s50, s2
	s_cbranch_execz .LBB351_273
; %bb.268:                              ;   in Loop: Header=BB351_13 Depth=1
	v_bfe_u32 v83, v82, 24, 7
	v_mov_b32_e32 v80, 0x7f800001
	s_mov_b32 s51, exec_lo
	v_cmpx_ne_u32_e32 0x7f, v83
	s_cbranch_execz .LBB351_272
; %bb.269:                              ;   in Loop: Header=BB351_13 Depth=1
	v_and_b32_sdwa v23, v82, v44 dst_sel:DWORD dst_unused:UNUSED_PAD src0_sel:BYTE_3 src1_sel:DWORD
	v_lshrrev_b32_e32 v80, 3, v83
	s_mov_b32 s52, exec_lo
	v_cmpx_gt_u32_e32 8, v83
; %bb.270:                              ;   in Loop: Header=BB351_13 Depth=1
	v_ffbh_u32_e32 v80, v23
	v_min_u32_e32 v80, 32, v80
	v_subrev_nc_u32_e32 v83, 28, v80
	v_sub_nc_u32_e32 v80, 29, v80
	v_lshlrev_b64 v[83:84], v83, v[23:24]
	v_and_b32_e32 v23, 7, v83
; %bb.271:                              ;   in Loop: Header=BB351_13 Depth=1
	s_or_b32 exec_lo, exec_lo, s52
	v_lshlrev_b32_sdwa v82, v45, v82 dst_sel:DWORD dst_unused:UNUSED_PAD src0_sel:DWORD src1_sel:BYTE_3
	v_lshlrev_b32_e32 v23, 20, v23
	v_lshl_add_u32 v80, v80, 23, 0x3c000000
	v_and_b32_e32 v82, 0x80000000, v82
	v_or3_b32 v80, v23, v82, v80
.LBB351_272:                            ;   in Loop: Header=BB351_13 Depth=1
	s_or_b32 exec_lo, exec_lo, s51
.LBB351_273:                            ;   in Loop: Header=BB351_13 Depth=1
	s_or_b32 exec_lo, exec_lo, s50
.LBB351_274:                            ;   in Loop: Header=BB351_13 Depth=1
	s_or_b32 exec_lo, exec_lo, s49
	global_load_dword v84, v[29:30], off offset:1024
	v_mov_b32_e32 v83, 0
	v_mov_b32_e32 v82, 0
	s_waitcnt vmcnt(0)
	v_cmp_ne_u16_sdwa s2, v84, v24 src0_sel:BYTE_0 src1_sel:DWORD
	s_and_saveexec_b32 s49, s2
	s_cbranch_execz .LBB351_282
; %bb.275:                              ;   in Loop: Header=BB351_13 Depth=1
	v_cmp_ne_u16_sdwa s2, v84, v41 src0_sel:BYTE_0 src1_sel:DWORD
	v_bfrev_b32_e32 v82, 1
	s_and_saveexec_b32 s50, s2
	s_cbranch_execz .LBB351_281
; %bb.276:                              ;   in Loop: Header=BB351_13 Depth=1
	v_and_b32_e32 v85, 0x7f, v84
	v_mov_b32_e32 v82, 0x7f800001
	s_mov_b32 s51, exec_lo
	v_cmpx_ne_u32_e32 0x7f, v85
	s_cbranch_execz .LBB351_280
; %bb.277:                              ;   in Loop: Header=BB351_13 Depth=1
	v_and_b32_e32 v23, 7, v84
	v_lshrrev_b32_e32 v82, 3, v85
	s_mov_b32 s52, exec_lo
	v_cmpx_gt_u32_e32 8, v85
; %bb.278:                              ;   in Loop: Header=BB351_13 Depth=1
	v_ffbh_u32_e32 v82, v23
	v_min_u32_e32 v82, 32, v82
	v_subrev_nc_u32_e32 v85, 28, v82
	v_sub_nc_u32_e32 v82, 29, v82
	v_lshlrev_b64 v[85:86], v85, v[23:24]
	v_and_b32_e32 v23, 7, v85
; %bb.279:                              ;   in Loop: Header=BB351_13 Depth=1
	s_or_b32 exec_lo, exec_lo, s52
	v_lshlrev_b32_e32 v85, 24, v84
	v_lshlrev_b32_e32 v23, 20, v23
	v_lshl_add_u32 v82, v82, 23, 0x3c000000
	v_and_b32_e32 v85, 0x80000000, v85
	v_or3_b32 v82, v23, v85, v82
.LBB351_280:                            ;   in Loop: Header=BB351_13 Depth=1
	s_or_b32 exec_lo, exec_lo, s51
.LBB351_281:                            ;   in Loop: Header=BB351_13 Depth=1
	s_or_b32 exec_lo, exec_lo, s50
.LBB351_282:                            ;   in Loop: Header=BB351_13 Depth=1
	s_or_b32 exec_lo, exec_lo, s49
	v_cmp_ne_u16_sdwa s2, v84, v24 src0_sel:BYTE_1 src1_sel:DWORD
	s_and_saveexec_b32 s49, s2
	s_cbranch_execz .LBB351_290
; %bb.283:                              ;   in Loop: Header=BB351_13 Depth=1
	v_cmp_ne_u16_sdwa s2, v84, v41 src0_sel:BYTE_1 src1_sel:DWORD
	v_bfrev_b32_e32 v83, 1
	s_and_saveexec_b32 s50, s2
	s_cbranch_execz .LBB351_289
; %bb.284:                              ;   in Loop: Header=BB351_13 Depth=1
	v_and_b32_sdwa v23, v42, v84 dst_sel:DWORD dst_unused:UNUSED_PAD src0_sel:DWORD src1_sel:BYTE_1
	v_mov_b32_e32 v83, 0x7f800001
	s_mov_b32 s51, exec_lo
	v_and_b32_e32 v85, 0x7f, v23
	v_cmpx_ne_u32_e32 0x7f, v85
	s_cbranch_execz .LBB351_288
; %bb.285:                              ;   in Loop: Header=BB351_13 Depth=1
	v_and_b32_e32 v23, 7, v23
	v_lshrrev_b32_e32 v83, 3, v85
	s_mov_b32 s52, exec_lo
	v_cmpx_gt_u32_e32 8, v85
; %bb.286:                              ;   in Loop: Header=BB351_13 Depth=1
	v_ffbh_u32_e32 v83, v23
	v_min_u32_e32 v83, 32, v83
	v_subrev_nc_u32_e32 v85, 28, v83
	v_sub_nc_u32_e32 v83, 29, v83
	v_lshlrev_b64 v[85:86], v85, v[23:24]
	v_and_b32_e32 v23, 7, v85
; %bb.287:                              ;   in Loop: Header=BB351_13 Depth=1
	s_or_b32 exec_lo, exec_lo, s52
	v_lshlrev_b32_e32 v85, 16, v84
	v_lshlrev_b32_e32 v23, 20, v23
	v_lshl_add_u32 v83, v83, 23, 0x3c000000
	v_and_b32_e32 v85, 0x80000000, v85
	v_or3_b32 v83, v23, v85, v83
.LBB351_288:                            ;   in Loop: Header=BB351_13 Depth=1
	s_or_b32 exec_lo, exec_lo, s51
.LBB351_289:                            ;   in Loop: Header=BB351_13 Depth=1
	s_or_b32 exec_lo, exec_lo, s50
.LBB351_290:                            ;   in Loop: Header=BB351_13 Depth=1
	s_or_b32 exec_lo, exec_lo, s49
	v_and_b32_sdwa v23, v84, v43 dst_sel:DWORD dst_unused:UNUSED_PAD src0_sel:WORD_1 src1_sel:DWORD
	v_mov_b32_e32 v86, 0
	v_mov_b32_e32 v87, 0
	s_mov_b32 s49, exec_lo
	v_cmpx_ne_u16_e32 0, v23
	s_cbranch_execz .LBB351_298
; %bb.291:                              ;   in Loop: Header=BB351_13 Depth=1
	v_bfrev_b32_e32 v87, 1
	s_mov_b32 s50, exec_lo
	v_cmpx_ne_u16_e32 0x80, v23
	s_cbranch_execz .LBB351_297
; %bb.292:                              ;   in Loop: Header=BB351_13 Depth=1
	v_bfe_u32 v88, v84, 16, 7
	v_mov_b32_e32 v87, 0x7f800001
	s_mov_b32 s51, exec_lo
	v_cmpx_ne_u32_e32 0x7f, v88
	s_cbranch_execz .LBB351_296
; %bb.293:                              ;   in Loop: Header=BB351_13 Depth=1
	v_and_b32_sdwa v23, v84, v44 dst_sel:DWORD dst_unused:UNUSED_PAD src0_sel:WORD_1 src1_sel:DWORD
	v_lshrrev_b32_e32 v85, 3, v88
	s_mov_b32 s52, exec_lo
	v_cmpx_gt_u32_e32 8, v88
; %bb.294:                              ;   in Loop: Header=BB351_13 Depth=1
	v_ffbh_u32_e32 v85, v23
	v_min_u32_e32 v85, 32, v85
	v_subrev_nc_u32_e32 v87, 28, v85
	v_sub_nc_u32_e32 v85, 29, v85
	v_lshlrev_b64 v[87:88], v87, v[23:24]
	v_and_b32_e32 v23, 7, v87
; %bb.295:                              ;   in Loop: Header=BB351_13 Depth=1
	s_or_b32 exec_lo, exec_lo, s52
	v_lshlrev_b32_sdwa v87, v45, v84 dst_sel:DWORD dst_unused:UNUSED_PAD src0_sel:DWORD src1_sel:WORD_1
	v_lshlrev_b32_e32 v23, 20, v23
	v_lshl_add_u32 v85, v85, 23, 0x3c000000
	v_and_b32_e32 v87, 0x80000000, v87
	v_or3_b32 v87, v23, v87, v85
.LBB351_296:                            ;   in Loop: Header=BB351_13 Depth=1
	s_or_b32 exec_lo, exec_lo, s51
.LBB351_297:                            ;   in Loop: Header=BB351_13 Depth=1
	s_or_b32 exec_lo, exec_lo, s50
.LBB351_298:                            ;   in Loop: Header=BB351_13 Depth=1
	s_or_b32 exec_lo, exec_lo, s49
	s_mov_b32 s49, exec_lo
	v_cmpx_lt_u32_e32 0xffffff, v84
	s_cbranch_execz .LBB351_306
; %bb.299:                              ;   in Loop: Header=BB351_13 Depth=1
	v_cmp_ne_u32_sdwa s2, v84, v41 src0_sel:BYTE_3 src1_sel:DWORD
	v_bfrev_b32_e32 v86, 1
	s_and_saveexec_b32 s50, s2
	s_cbranch_execz .LBB351_305
; %bb.300:                              ;   in Loop: Header=BB351_13 Depth=1
	v_bfe_u32 v88, v84, 24, 7
	v_mov_b32_e32 v86, 0x7f800001
	s_mov_b32 s51, exec_lo
	v_cmpx_ne_u32_e32 0x7f, v88
	s_cbranch_execz .LBB351_304
; %bb.301:                              ;   in Loop: Header=BB351_13 Depth=1
	v_and_b32_sdwa v23, v84, v44 dst_sel:DWORD dst_unused:UNUSED_PAD src0_sel:BYTE_3 src1_sel:DWORD
	v_lshrrev_b32_e32 v85, 3, v88
	s_mov_b32 s52, exec_lo
	v_cmpx_gt_u32_e32 8, v88
; %bb.302:                              ;   in Loop: Header=BB351_13 Depth=1
	v_ffbh_u32_e32 v85, v23
	v_min_u32_e32 v85, 32, v85
	v_subrev_nc_u32_e32 v86, 28, v85
	v_sub_nc_u32_e32 v85, 29, v85
	v_lshlrev_b64 v[88:89], v86, v[23:24]
	v_and_b32_e32 v23, 7, v88
; %bb.303:                              ;   in Loop: Header=BB351_13 Depth=1
	s_or_b32 exec_lo, exec_lo, s52
	v_lshlrev_b32_sdwa v84, v45, v84 dst_sel:DWORD dst_unused:UNUSED_PAD src0_sel:DWORD src1_sel:BYTE_3
	v_lshlrev_b32_e32 v23, 20, v23
	v_lshl_add_u32 v85, v85, 23, 0x3c000000
	v_and_b32_e32 v84, 0x80000000, v84
	v_or3_b32 v86, v23, v84, v85
.LBB351_304:                            ;   in Loop: Header=BB351_13 Depth=1
	s_or_b32 exec_lo, exec_lo, s51
.LBB351_305:                            ;   in Loop: Header=BB351_13 Depth=1
	s_or_b32 exec_lo, exec_lo, s50
.LBB351_306:                            ;   in Loop: Header=BB351_13 Depth=1
	s_or_b32 exec_lo, exec_lo, s49
	global_load_dword v29, v[29:30], off offset:1032
	v_mov_b32_e32 v88, 0
	v_mov_b32_e32 v30, 0
	s_waitcnt vmcnt(0)
	v_cmp_ne_u16_sdwa s2, v29, v24 src0_sel:BYTE_0 src1_sel:DWORD
	s_and_saveexec_b32 s49, s2
	s_cbranch_execz .LBB351_314
; %bb.307:                              ;   in Loop: Header=BB351_13 Depth=1
	v_cmp_ne_u16_sdwa s2, v29, v41 src0_sel:BYTE_0 src1_sel:DWORD
	v_bfrev_b32_e32 v30, 1
	s_and_saveexec_b32 s50, s2
	s_cbranch_execz .LBB351_313
; %bb.308:                              ;   in Loop: Header=BB351_13 Depth=1
	v_and_b32_e32 v84, 0x7f, v29
	v_mov_b32_e32 v30, 0x7f800001
	s_mov_b32 s51, exec_lo
	v_cmpx_ne_u32_e32 0x7f, v84
	s_cbranch_execz .LBB351_312
; %bb.309:                              ;   in Loop: Header=BB351_13 Depth=1
	v_and_b32_e32 v23, 7, v29
	v_lshrrev_b32_e32 v30, 3, v84
	s_mov_b32 s52, exec_lo
	v_cmpx_gt_u32_e32 8, v84
; %bb.310:                              ;   in Loop: Header=BB351_13 Depth=1
	v_ffbh_u32_e32 v30, v23
	v_min_u32_e32 v30, 32, v30
	v_subrev_nc_u32_e32 v84, 28, v30
	v_sub_nc_u32_e32 v30, 29, v30
	v_lshlrev_b64 v[84:85], v84, v[23:24]
	v_and_b32_e32 v23, 7, v84
; %bb.311:                              ;   in Loop: Header=BB351_13 Depth=1
	s_or_b32 exec_lo, exec_lo, s52
	v_lshlrev_b32_e32 v84, 24, v29
	v_lshlrev_b32_e32 v23, 20, v23
	v_lshl_add_u32 v30, v30, 23, 0x3c000000
	v_and_b32_e32 v84, 0x80000000, v84
	v_or3_b32 v30, v23, v84, v30
.LBB351_312:                            ;   in Loop: Header=BB351_13 Depth=1
	s_or_b32 exec_lo, exec_lo, s51
.LBB351_313:                            ;   in Loop: Header=BB351_13 Depth=1
	s_or_b32 exec_lo, exec_lo, s50
.LBB351_314:                            ;   in Loop: Header=BB351_13 Depth=1
	s_or_b32 exec_lo, exec_lo, s49
	v_cmp_ne_u16_sdwa s2, v29, v24 src0_sel:BYTE_1 src1_sel:DWORD
	s_and_saveexec_b32 s49, s2
	s_cbranch_execz .LBB351_322
; %bb.315:                              ;   in Loop: Header=BB351_13 Depth=1
	v_cmp_ne_u16_sdwa s2, v29, v41 src0_sel:BYTE_1 src1_sel:DWORD
	v_bfrev_b32_e32 v88, 1
	s_and_saveexec_b32 s50, s2
	s_cbranch_execz .LBB351_321
; %bb.316:                              ;   in Loop: Header=BB351_13 Depth=1
	v_and_b32_sdwa v23, v42, v29 dst_sel:DWORD dst_unused:UNUSED_PAD src0_sel:DWORD src1_sel:BYTE_1
	v_mov_b32_e32 v88, 0x7f800001
	s_mov_b32 s51, exec_lo
	v_and_b32_e32 v85, 0x7f, v23
	v_cmpx_ne_u32_e32 0x7f, v85
	s_cbranch_execz .LBB351_320
; %bb.317:                              ;   in Loop: Header=BB351_13 Depth=1
	v_and_b32_e32 v23, 7, v23
	v_lshrrev_b32_e32 v84, 3, v85
	s_mov_b32 s52, exec_lo
	v_cmpx_gt_u32_e32 8, v85
; %bb.318:                              ;   in Loop: Header=BB351_13 Depth=1
	v_ffbh_u32_e32 v84, v23
	v_min_u32_e32 v84, 32, v84
	v_subrev_nc_u32_e32 v85, 28, v84
	v_sub_nc_u32_e32 v84, 29, v84
	v_lshlrev_b64 v[88:89], v85, v[23:24]
	v_and_b32_e32 v23, 7, v88
; %bb.319:                              ;   in Loop: Header=BB351_13 Depth=1
	s_or_b32 exec_lo, exec_lo, s52
	v_lshlrev_b32_e32 v85, 16, v29
	v_lshlrev_b32_e32 v23, 20, v23
	v_lshl_add_u32 v84, v84, 23, 0x3c000000
	v_and_b32_e32 v85, 0x80000000, v85
	v_or3_b32 v88, v23, v85, v84
.LBB351_320:                            ;   in Loop: Header=BB351_13 Depth=1
	s_or_b32 exec_lo, exec_lo, s51
.LBB351_321:                            ;   in Loop: Header=BB351_13 Depth=1
	s_or_b32 exec_lo, exec_lo, s50
.LBB351_322:                            ;   in Loop: Header=BB351_13 Depth=1
	s_or_b32 exec_lo, exec_lo, s49
	v_and_b32_sdwa v23, v29, v43 dst_sel:DWORD dst_unused:UNUSED_PAD src0_sel:WORD_1 src1_sel:DWORD
	v_mov_b32_e32 v84, 0
	v_mov_b32_e32 v85, 0
	s_mov_b32 s49, exec_lo
	v_cmpx_ne_u16_e32 0, v23
	s_cbranch_execz .LBB351_330
; %bb.323:                              ;   in Loop: Header=BB351_13 Depth=1
	v_bfrev_b32_e32 v85, 1
	s_mov_b32 s50, exec_lo
	v_cmpx_ne_u16_e32 0x80, v23
	s_cbranch_execz .LBB351_329
; %bb.324:                              ;   in Loop: Header=BB351_13 Depth=1
	v_bfe_u32 v89, v29, 16, 7
	v_mov_b32_e32 v85, 0x7f800001
	s_mov_b32 s51, exec_lo
	v_cmpx_ne_u32_e32 0x7f, v89
	s_cbranch_execz .LBB351_328
; %bb.325:                              ;   in Loop: Header=BB351_13 Depth=1
	v_and_b32_sdwa v23, v29, v44 dst_sel:DWORD dst_unused:UNUSED_PAD src0_sel:WORD_1 src1_sel:DWORD
	v_lshrrev_b32_e32 v85, 3, v89
	s_mov_b32 s52, exec_lo
	v_cmpx_gt_u32_e32 8, v89
; %bb.326:                              ;   in Loop: Header=BB351_13 Depth=1
	v_ffbh_u32_e32 v85, v23
	v_min_u32_e32 v85, 32, v85
	v_subrev_nc_u32_e32 v89, 28, v85
	v_sub_nc_u32_e32 v85, 29, v85
	v_lshlrev_b64 v[89:90], v89, v[23:24]
	v_and_b32_e32 v23, 7, v89
; %bb.327:                              ;   in Loop: Header=BB351_13 Depth=1
	s_or_b32 exec_lo, exec_lo, s52
	v_lshlrev_b32_sdwa v89, v45, v29 dst_sel:DWORD dst_unused:UNUSED_PAD src0_sel:DWORD src1_sel:WORD_1
	v_lshlrev_b32_e32 v23, 20, v23
	v_lshl_add_u32 v85, v85, 23, 0x3c000000
	v_and_b32_e32 v89, 0x80000000, v89
	v_or3_b32 v85, v23, v89, v85
.LBB351_328:                            ;   in Loop: Header=BB351_13 Depth=1
	s_or_b32 exec_lo, exec_lo, s51
.LBB351_329:                            ;   in Loop: Header=BB351_13 Depth=1
	s_or_b32 exec_lo, exec_lo, s50
.LBB351_330:                            ;   in Loop: Header=BB351_13 Depth=1
	s_or_b32 exec_lo, exec_lo, s49
	s_mov_b32 s49, exec_lo
	v_cmpx_lt_u32_e32 0xffffff, v29
	s_cbranch_execz .LBB351_338
; %bb.331:                              ;   in Loop: Header=BB351_13 Depth=1
	v_cmp_ne_u32_sdwa s2, v29, v41 src0_sel:BYTE_3 src1_sel:DWORD
	v_bfrev_b32_e32 v84, 1
	s_and_saveexec_b32 s50, s2
	s_cbranch_execz .LBB351_337
; %bb.332:                              ;   in Loop: Header=BB351_13 Depth=1
	v_bfe_u32 v89, v29, 24, 7
	v_mov_b32_e32 v84, 0x7f800001
	s_mov_b32 s51, exec_lo
	v_cmpx_ne_u32_e32 0x7f, v89
	s_cbranch_execz .LBB351_336
; %bb.333:                              ;   in Loop: Header=BB351_13 Depth=1
	v_and_b32_sdwa v23, v29, v44 dst_sel:DWORD dst_unused:UNUSED_PAD src0_sel:BYTE_3 src1_sel:DWORD
	v_lshrrev_b32_e32 v84, 3, v89
	s_mov_b32 s52, exec_lo
	v_cmpx_gt_u32_e32 8, v89
; %bb.334:                              ;   in Loop: Header=BB351_13 Depth=1
	v_ffbh_u32_e32 v84, v23
	v_min_u32_e32 v84, 32, v84
	v_subrev_nc_u32_e32 v89, 28, v84
	v_sub_nc_u32_e32 v84, 29, v84
	v_lshlrev_b64 v[89:90], v89, v[23:24]
	v_and_b32_e32 v23, 7, v89
; %bb.335:                              ;   in Loop: Header=BB351_13 Depth=1
	s_or_b32 exec_lo, exec_lo, s52
	v_lshlrev_b32_sdwa v29, v45, v29 dst_sel:DWORD dst_unused:UNUSED_PAD src0_sel:DWORD src1_sel:BYTE_3
	v_lshlrev_b32_e32 v23, 20, v23
	v_lshl_add_u32 v84, v84, 23, 0x3c000000
	v_and_b32_e32 v29, 0x80000000, v29
	v_or3_b32 v84, v23, v29, v84
.LBB351_336:                            ;   in Loop: Header=BB351_13 Depth=1
	s_or_b32 exec_lo, exec_lo, s51
.LBB351_337:                            ;   in Loop: Header=BB351_13 Depth=1
	s_or_b32 exec_lo, exec_lo, s50
.LBB351_338:                            ;   in Loop: Header=BB351_13 Depth=1
	s_or_b32 exec_lo, exec_lo, s49
	s_waitcnt lgkmcnt(0)
	v_mul_f32_e32 v23, s48, v88
	v_mul_f32_e32 v29, s48, v30
	;; [unrolled: 1-line block ×5, first 2 shown]
	v_bfe_u32 v87, v23, 16, 1
	v_bfe_u32 v88, v29, 16, 1
	v_or_b32_e32 v89, 0x400000, v23
	v_cmp_u_f32_e64 s2, v23, v23
	v_or_b32_e32 v90, 0x400000, v29
	v_add3_u32 v87, v87, v23, 0x7fff
	v_bfe_u32 v91, v30, 16, 1
	v_add3_u32 v88, v88, v29, 0x7fff
	v_bfe_u32 v92, v86, 16, 1
	v_mul_f32_e32 v63, s48, v63
	v_cndmask_b32_e64 v23, v87, v89, s2
	v_cmp_u_f32_e64 s2, v29, v29
	v_add3_u32 v87, v91, v30, 0x7fff
	v_add3_u32 v89, v92, v86, 0x7fff
	v_or_b32_e32 v91, 0x400000, v86
	v_bfe_u32 v92, v83, 16, 1
	v_cndmask_b32_e64 v29, v88, v90, s2
	v_or_b32_e32 v88, 0x400000, v30
	v_cmp_u_f32_e64 s2, v30, v30
	v_mul_f32_e32 v90, s48, v82
	v_mul_f32_e32 v62, s48, v62
	v_mul_f32_e32 v61, s48, v61
	v_mul_f32_e32 v60, s48, v60
	v_cndmask_b32_e64 v82, v87, v88, s2
	v_cmp_u_f32_e64 s2, v86, v86
	v_bfe_u32 v87, v90, 16, 1
	v_add3_u32 v86, v92, v83, 0x7fff
	v_mul_f32_e32 v88, s48, v81
	v_or_b32_e32 v81, 0x400000, v83
	v_cndmask_b32_e64 v30, v89, v91, s2
	v_cmp_u_f32_e64 s2, v83, v83
	v_add3_u32 v87, v87, v90, 0x7fff
	v_mul_f32_e32 v89, s48, v80
	v_or_b32_e32 v91, 0x400000, v90
	v_bfe_u32 v92, v88, 16, 1
	v_cndmask_b32_e64 v80, v86, v81, s2
	v_cmp_u_f32_e64 s2, v90, v90
	v_bfe_u32 v83, v89, 16, 1
	v_mul_f32_e32 v90, s48, v78
	v_add3_u32 v86, v92, v88, 0x7fff
	v_mul_f32_e32 v59, s48, v59
	v_cndmask_b32_e64 v81, v87, v91, s2
	v_mul_f32_e32 v87, s48, v79
	v_or_b32_e32 v79, 0x400000, v88
	v_cmp_u_f32_e64 s2, v88, v88
	v_add3_u32 v83, v83, v89, 0x7fff
	v_or_b32_e32 v91, 0x400000, v89
	v_bfe_u32 v92, v87, 16, 1
	v_mul_f32_e32 v88, s48, v77
	v_cndmask_b32_e64 v78, v86, v79, s2
	v_cmp_u_f32_e64 s2, v89, v89
	v_bfe_u32 v86, v90, 16, 1
	v_or_b32_e32 v77, 0x400000, v87
	v_mul_f32_e32 v89, s48, v76
	v_mul_f32_e32 v58, s48, v58
	v_cndmask_b32_e64 v79, v83, v91, s2
	v_add3_u32 v83, v92, v87, 0x7fff
	v_cmp_u_f32_e64 s2, v87, v87
	v_add3_u32 v86, v86, v90, 0x7fff
	v_or_b32_e32 v91, 0x400000, v90
	v_bfe_u32 v92, v88, 16, 1
	v_mul_f32_e32 v87, s48, v75
	v_cndmask_b32_e64 v76, v83, v77, s2
	v_cmp_u_f32_e64 s2, v90, v90
	v_bfe_u32 v83, v89, 16, 1
	v_or_b32_e32 v75, 0x400000, v88
	v_mul_f32_e32 v90, s48, v74
	v_mul_f32_e32 v57, s48, v57
	v_cndmask_b32_e64 v77, v86, v91, s2
	v_add3_u32 v86, v92, v88, 0x7fff
	;; [unrolled: 13-line block ×7, first 2 shown]
	v_cmp_u_f32_e64 s2, v87, v87
	v_add3_u32 v86, v86, v90, 0x7fff
	v_or_b32_e32 v91, 0x400000, v90
	v_bfe_u32 v92, v88, 16, 1
	v_or_b32_e32 v87, 0x400000, v88
	v_cndmask_b32_e64 v64, v83, v65, s2
	v_cmp_u_f32_e64 s2, v90, v90
	v_bfe_u32 v83, v89, 16, 1
	v_or_b32_e32 v90, 0x400000, v89
	v_mul_f32_e32 v51, s48, v51
	v_mul_f32_e32 v50, s48, v50
	v_cndmask_b32_e64 v65, v86, v91, s2
	v_add3_u32 v86, v92, v88, 0x7fff
	v_cmp_u_f32_e64 s2, v88, v88
	v_add3_u32 v83, v83, v89, 0x7fff
	v_bfe_u32 v91, v63, 16, 1
	v_or_b32_e32 v92, 0x400000, v50
	v_lshlrev_b32_e32 v93, 16, v15
	v_cndmask_b32_e64 v86, v86, v87, s2
	v_cmp_u_f32_e64 s2, v89, v89
	v_bfe_u32 v87, v62, 16, 1
	v_add3_u32 v88, v91, v63, 0x7fff
	v_or_b32_e32 v89, 0x400000, v63
	v_bfe_u32 v91, v61, 16, 1
	v_cndmask_b32_e64 v83, v83, v90, s2
	v_cmp_u_f32_e64 s2, v63, v63
	v_add3_u32 v87, v87, v62, 0x7fff
	v_or_b32_e32 v90, 0x400000, v62
	v_and_b32_e32 v15, 0xffff0000, v15
	v_lshlrev_b32_e32 v94, 16, v16
	v_cndmask_b32_e64 v63, v88, v89, s2
	v_cmp_u_f32_e64 s2, v62, v62
	v_bfe_u32 v88, v60, 16, 1
	v_or_b32_e32 v89, 0x400000, v61
	v_lshlrev_b32_e32 v95, 16, v9
	v_and_b32_e32 v16, 0xffff0000, v16
	v_cndmask_b32_e64 v62, v87, v90, s2
	v_add3_u32 v87, v91, v61, 0x7fff
	v_cmp_u_f32_e64 s2, v61, v61
	v_add3_u32 v88, v88, v60, 0x7fff
	v_or_b32_e32 v90, 0x400000, v60
	v_bfe_u32 v91, v59, 16, 1
	v_and_b32_e32 v9, 0xffff0000, v9
	v_cndmask_b32_e64 v61, v87, v89, s2
	v_cmp_u_f32_e64 s2, v60, v60
	v_bfe_u32 v87, v58, 16, 1
	v_or_b32_e32 v89, 0x400000, v59
	v_lshlrev_b32_e32 v96, 16, v10
	v_and_b32_e32 v10, 0xffff0000, v10
	v_cndmask_b32_e64 v60, v88, v90, s2
	v_add3_u32 v88, v91, v59, 0x7fff
	v_cmp_u_f32_e64 s2, v59, v59
	v_add3_u32 v87, v87, v58, 0x7fff
	v_or_b32_e32 v90, 0x400000, v58
	v_bfe_u32 v91, v57, 16, 1
	v_lshlrev_b32_e32 v97, 16, v11
	v_cndmask_b32_e64 v59, v88, v89, s2
	v_cmp_u_f32_e64 s2, v58, v58
	v_bfe_u32 v88, v56, 16, 1
	v_or_b32_e32 v89, 0x400000, v57
	v_lshlrev_b32_e32 v98, 16, v12
	v_and_b32_e32 v11, 0xffff0000, v11
	v_cndmask_b32_e64 v58, v87, v90, s2
	v_add3_u32 v87, v91, v57, 0x7fff
	v_cmp_u_f32_e64 s2, v57, v57
	v_add3_u32 v88, v88, v56, 0x7fff
	v_or_b32_e32 v90, 0x400000, v56
	v_bfe_u32 v91, v55, 16, 1
	v_and_b32_e32 v12, 0xffff0000, v12
	v_cndmask_b32_e64 v57, v87, v89, s2
	v_cmp_u_f32_e64 s2, v56, v56
	v_bfe_u32 v87, v54, 16, 1
	v_or_b32_e32 v89, 0x400000, v55
	v_lshlrev_b32_e32 v99, 16, v5
	v_and_b32_e32 v57, 0xffff0000, v57
	v_cndmask_b32_e64 v56, v88, v90, s2
	v_add3_u32 v88, v91, v55, 0x7fff
	v_cmp_u_f32_e64 s2, v55, v55
	v_add3_u32 v87, v87, v54, 0x7fff
	v_or_b32_e32 v90, 0x400000, v54
	v_or_b32_e32 v91, 0x400000, v51
	v_and_b32_e32 v56, 0xffff0000, v56
	v_cndmask_b32_e64 v55, v88, v89, s2
	v_bfe_u32 v88, v53, 16, 1
	v_cmp_u_f32_e64 s2, v54, v54
	v_bfe_u32 v89, v52, 16, 1
	v_lshlrev_b32_e32 v100, 16, v6
	v_and_b32_e32 v55, 0xffff0000, v55
	v_mul_f32_e32 v85, s48, v85
	v_cndmask_b32_e64 v54, v87, v90, s2
	v_add3_u32 v87, v88, v53, 0x7fff
	v_or_b32_e32 v88, 0x400000, v53
	v_cmp_u_f32_e64 s2, v53, v53
	v_bfe_u32 v90, v51, 16, 1
	v_and_b32_e32 v54, 0xffff0000, v54
	v_and_b32_e32 v5, 0xffff0000, v5
	;; [unrolled: 1-line block ×3, first 2 shown]
	v_cndmask_b32_e64 v53, v87, v88, s2
	v_add3_u32 v88, v89, v52, 0x7fff
	v_or_b32_e32 v89, 0x400000, v52
	v_cmp_u_f32_e64 s2, v52, v52
	v_bfe_u32 v87, v50, 16, 1
	v_add3_u32 v90, v90, v51, 0x7fff
	v_and_b32_e32 v53, 0xffff0000, v53
	v_lshlrev_b32_e32 v101, 16, v7
	v_cndmask_b32_e64 v52, v88, v89, s2
	v_cmp_u_f32_e64 s2, v51, v51
	v_add3_u32 v87, v87, v50, 0x7fff
	v_lshlrev_b32_e32 v89, 16, v19
	v_and_b32_e32 v19, 0xffff0000, v19
	v_lshlrev_b32_e32 v88, 16, v18
	v_cndmask_b32_e64 v51, v90, v91, s2
	v_cmp_u_f32_e64 s2, v50, v50
	v_lshlrev_b32_e32 v90, 16, v20
	v_and_b32_e32 v20, 0xffff0000, v20
	v_and_b32_e32 v18, 0xffff0000, v18
	;; [unrolled: 1-line block ×3, first 2 shown]
	v_cndmask_b32_e64 v50, v87, v92, s2
	v_lshlrev_b32_e32 v87, 16, v17
	v_and_b32_e32 v17, 0xffff0000, v17
	v_mul_f32_e32 v54, v89, v54
	v_mul_f32_e32 v19, v19, v55
	v_and_b32_e32 v50, 0xffff0000, v50
	v_and_b32_e32 v52, 0xffff0000, v52
	v_mul_f32_e32 v20, v20, v56
	v_lshlrev_b32_e32 v91, 16, v13
	v_and_b32_e32 v13, 0xffff0000, v13
	v_mul_f32_e32 v55, v90, v57
	v_fmac_f32_e32 v54, v87, v50
	v_fmac_f32_e32 v19, v17, v51
	v_and_b32_e32 v17, 0xffff0000, v58
	v_fmac_f32_e32 v20, v18, v52
	v_and_b32_e32 v18, 0xffff0000, v59
	v_lshlrev_b32_e32 v92, 16, v14
	v_and_b32_e32 v14, 0xffff0000, v14
	v_fmac_f32_e32 v55, v88, v53
	v_and_b32_e32 v50, 0xffff0000, v61
	v_fmac_f32_e32 v54, v91, v17
	;; [unrolled: 2-line block ×3, first 2 shown]
	v_and_b32_e32 v13, 0xffff0000, v63
	v_and_b32_e32 v51, 0xffff0000, v62
	v_fmac_f32_e32 v55, v92, v50
	v_fmac_f32_e32 v20, v14, v17
	v_and_b32_e32 v14, 0xffff0000, v86
	v_and_b32_e32 v17, 0xffff0000, v83
	v_fmac_f32_e32 v19, v15, v13
	v_and_b32_e32 v15, 0xffff0000, v64
	v_fmac_f32_e32 v54, v93, v51
	v_and_b32_e32 v13, 0xffff0000, v65
	v_fmac_f32_e32 v55, v94, v14
	v_fmac_f32_e32 v20, v16, v17
	v_and_b32_e32 v14, 0xffff0000, v66
	v_fmac_f32_e32 v19, v9, v15
	v_and_b32_e32 v9, 0xffff0000, v67
	;; [unrolled: 2-line block ×5, first 2 shown]
	v_and_b32_e32 v15, 0xffff0000, v70
	v_fmac_f32_e32 v54, v97, v13
	v_fmac_f32_e32 v19, v11, v14
	v_and_b32_e32 v10, 0xffff0000, v73
	v_and_b32_e32 v11, 0xffff0000, v72
	v_fmac_f32_e32 v20, v12, v9
	v_and_b32_e32 v12, 0xffff0000, v75
	v_mul_f32_e32 v84, s48, v84
	v_bfe_u32 v104, v85, 16, 1
	v_and_b32_e32 v7, 0xffff0000, v7
	v_fmac_f32_e32 v55, v98, v15
	v_and_b32_e32 v9, 0xffff0000, v74
	v_fmac_f32_e32 v54, v99, v10
	v_fmac_f32_e32 v19, v5, v11
	v_and_b32_e32 v5, 0xffff0000, v77
	v_fmac_f32_e32 v20, v6, v12
	v_and_b32_e32 v6, 0xffff0000, v76
	v_lshlrev_b32_e32 v102, 16, v8
	v_lshlrev_b32_e32 v103, 16, v1
	v_bfe_u32 v106, v84, 16, 1
	v_add3_u32 v104, v104, v85, 0x7fff
	v_or_b32_e32 v109, 0x400000, v85
	v_cmp_u_f32_e64 s2, v85, v85
	v_and_b32_e32 v8, 0xffff0000, v8
	v_and_b32_e32 v1, 0xffff0000, v1
	v_fmac_f32_e32 v55, v100, v9
	v_and_b32_e32 v9, 0xffff0000, v78
	v_fmac_f32_e32 v54, v101, v5
	v_and_b32_e32 v5, 0xffff0000, v79
	v_and_b32_e32 v10, 0xffff0000, v81
	v_fmac_f32_e32 v19, v7, v6
	v_and_b32_e32 v6, 0xffff0000, v80
	v_lshlrev_b32_e32 v105, 16, v2
	v_lshlrev_b32_e32 v107, 16, v3
	v_add3_u32 v106, v106, v84, 0x7fff
	v_or_b32_e32 v110, 0x400000, v84
	v_cndmask_b32_e64 v85, v104, v109, s2
	v_cmp_u_f32_e64 s2, v84, v84
	v_and_b32_e32 v3, 0xffff0000, v3
	v_fmac_f32_e32 v55, v102, v9
	v_fmac_f32_e32 v20, v8, v5
	;; [unrolled: 1-line block ×3, first 2 shown]
	v_and_b32_e32 v5, 0xffff0000, v82
	v_and_b32_e32 v7, 0xffff0000, v29
	v_fmac_f32_e32 v19, v1, v6
	v_and_b32_e32 v1, 0xffff0000, v23
	v_lshlrev_b32_e32 v108, 16, v4
	v_xor_b32_e32 v111, 1, v36
	v_cndmask_b32_e64 v84, v106, v110, s2
	v_and_b32_e32 v2, 0xffff0000, v2
	v_and_b32_e32 v6, 0xffff0000, v30
	v_fmac_f32_e32 v55, v105, v5
	v_fmac_f32_e32 v54, v107, v7
	v_and_b32_e32 v5, 0xffff0000, v85
	v_fmac_f32_e32 v19, v3, v1
	v_and_b32_e32 v1, 0xffff0000, v4
	;; [unrolled: 2-line block ×3, first 2 shown]
	v_fmac_f32_e32 v55, v108, v5
	v_add_f32_e32 v3, v54, v19
	v_cmp_gt_i32_e64 s2, 32, v111
	v_fmac_f32_e32 v20, v1, v2
	v_add_f32_e32 v1, v3, v55
	v_cndmask_b32_e64 v4, v36, v111, s2
	v_add_f32_e32 v1, v1, v20
	v_lshlrev_b32_e32 v2, 2, v4
	ds_bpermute_b32 v2, v2, v1
	s_and_saveexec_b32 s48, vcc_lo
	s_cbranch_execz .LBB351_11
; %bb.339:                              ;   in Loop: Header=BB351_13 Depth=1
	v_add_nc_u32_e32 v3, v46, v40
	s_waitcnt lgkmcnt(0)
	v_add_f32_e32 v1, v1, v2
	v_cvt_f32_i32_e32 v3, v3
	v_mul_f32_e32 v3, s43, v3
	v_cndmask_b32_e64 v2, 0, v3, s1
	v_max_f32_e32 v3, v38, v38
	v_fmac_f32_e32 v2, s41, v1
	v_add_nc_u32_e32 v1, v37, v40
	v_max_f32_e32 v3, v3, v2
	v_cmp_gt_i32_e64 s2, s31, v1
	v_cndmask_b32_e64 v1, 0, v2, s2
	v_cndmask_b32_e64 v38, v38, v3, s2
	ds_write_b32 v47, v1
	s_branch .LBB351_11
.LBB351_340:
	s_or_b32 exec_lo, exec_lo, s46
.LBB351_341:
	s_or_b32 exec_lo, exec_lo, s45
	v_xor_b32_e32 v1, 16, v36
	s_waitcnt lgkmcnt(0)
	v_xor_b32_e32 v2, 8, v36
	v_max_f32_e32 v4, v38, v38
	v_and_b32_e32 v23, 31, v0
	v_lshlrev_b32_e32 v7, 2, v33
	v_cmp_gt_i32_e32 vcc_lo, 32, v1
	v_cndmask_b32_e32 v1, v36, v1, vcc_lo
	v_cmp_gt_i32_e32 vcc_lo, 32, v2
	v_lshlrev_b32_e32 v3, 2, v1
	v_cndmask_b32_e32 v2, v36, v2, vcc_lo
	ds_bpermute_b32 v1, v3, v38
	v_lshlrev_b32_e32 v5, 2, v2
	s_waitcnt lgkmcnt(0)
	v_max_f32_e32 v1, v1, v1
	v_max_f32_e32 v1, v4, v1
	v_xor_b32_e32 v4, 4, v36
	ds_bpermute_b32 v2, v5, v1
	v_cmp_gt_i32_e32 vcc_lo, 32, v4
	v_cndmask_b32_e32 v4, v36, v4, vcc_lo
	v_lshlrev_b32_e32 v6, 2, v4
	v_xor_b32_e32 v4, 2, v36
	v_cmp_gt_i32_e32 vcc_lo, 32, v4
	s_waitcnt lgkmcnt(0)
	v_max_f32_e32 v2, v2, v2
	v_cndmask_b32_e32 v4, v36, v4, vcc_lo
	v_cmp_eq_u32_e32 vcc_lo, 0, v23
	v_max_f32_e32 v1, v1, v2
	ds_bpermute_b32 v2, v6, v1
	s_waitcnt lgkmcnt(0)
	v_max_f32_e32 v2, v2, v2
	v_max_f32_e32 v1, v1, v2
	v_lshlrev_b32_e32 v2, 2, v4
	ds_bpermute_b32 v4, v2, v1
	s_and_saveexec_b32 s1, vcc_lo
	s_cbranch_execz .LBB351_343
; %bb.342:
	s_waitcnt lgkmcnt(0)
	v_max_f32_e32 v4, v4, v4
	v_max_f32_e32 v1, v1, v1
	;; [unrolled: 1-line block ×3, first 2 shown]
	ds_write_b32 v7, v1 offset:160
.LBB351_343:
	s_or_b32 exec_lo, exec_lo, s1
	v_cmp_gt_u32_e64 s1, 4, v23
	v_mov_b32_e32 v1, 0xff7fffff
	v_lshlrev_b32_e32 v8, 2, v23
	s_waitcnt lgkmcnt(0)
	s_barrier
	buffer_gl0_inv
	s_and_saveexec_b32 s2, s1
; %bb.344:
	ds_read_b32 v1, v8 offset:160
; %bb.345:
	s_or_b32 exec_lo, exec_lo, s2
	s_waitcnt lgkmcnt(0)
	ds_bpermute_b32 v4, v2, v1
	v_xor_b32_e32 v9, 1, v36
	v_max_f32_e32 v1, v1, v1
	v_cmp_gt_i32_e64 s2, 32, v9
	v_cndmask_b32_e64 v9, v36, v9, s2
	s_sub_i32 s2, s20, s44
	s_lshl_b32 s2, s2, 4
	v_lshlrev_b32_e32 v24, 2, v9
	v_mov_b32_e32 v9, 0
	s_add_i32 s2, s2, s42
	s_min_i32 s2, s2, s31
	s_waitcnt lgkmcnt(0)
	v_max_f32_e32 v4, v4, v4
	s_sub_i32 s4, s2, s42
	v_cmp_gt_i32_e64 s2, s4, v0
	v_max_f32_e32 v1, v1, v4
	ds_bpermute_b32 v4, v24, v1
	s_waitcnt lgkmcnt(0)
	v_max_f32_e32 v4, v4, v4
	v_max_f32_e32 v1, v1, v4
	v_lshl_add_u32 v4, v0, 2, 0xc0
	ds_bpermute_b32 v1, v9, v1
	s_and_saveexec_b32 s5, s2
	s_cbranch_execz .LBB351_349
; %bb.346:
	v_lshl_add_u32 v10, v0, 2, 0xc0
	v_mov_b32_e32 v9, 0
	v_mov_b32_e32 v11, v0
	s_mov_b32 s12, 0
	.p2align	6
.LBB351_347:                            ; =>This Inner Loop Header: Depth=1
	ds_read_b32 v12, v10
	v_add_nc_u32_e32 v11, 0x80, v11
	v_cmp_le_i32_e64 s3, s4, v11
	s_or_b32 s12, s3, s12
	s_waitcnt lgkmcnt(0)
	v_sub_f32_e32 v12, v12, v1
	v_mul_f32_e32 v12, 0x3fb8aa3b, v12
	v_exp_f32_e32 v12, v12
	ds_write_b32 v10, v12
	v_add_f32_e32 v9, v9, v12
	v_add_nc_u32_e32 v10, 0x200, v10
	s_andn2_b32 exec_lo, exec_lo, s12
	s_cbranch_execnz .LBB351_347
; %bb.348:
	s_or_b32 exec_lo, exec_lo, s12
.LBB351_349:
	s_or_b32 exec_lo, exec_lo, s5
	ds_bpermute_b32 v3, v3, v9
	s_waitcnt lgkmcnt(0)
	v_add_f32_e32 v3, v9, v3
	ds_bpermute_b32 v5, v5, v3
	s_waitcnt lgkmcnt(0)
	v_add_f32_e32 v3, v3, v5
	;; [unrolled: 3-line block ×5, first 2 shown]
	s_and_saveexec_b32 s3, vcc_lo
; %bb.350:
	ds_write_b32 v7, v3 offset:176
; %bb.351:
	s_or_b32 exec_lo, exec_lo, s3
	s_waitcnt lgkmcnt(0)
	s_barrier
	buffer_gl0_inv
	s_and_saveexec_b32 s3, s1
; %bb.352:
	ds_read_b32 v3, v8 offset:176
; %bb.353:
	s_or_b32 exec_lo, exec_lo, s3
	s_waitcnt lgkmcnt(0)
	ds_bpermute_b32 v2, v2, v3
	s_waitcnt lgkmcnt(0)
	v_add_f32_e32 v2, v3, v2
	ds_bpermute_b32 v3, v24, v2
	s_waitcnt lgkmcnt(0)
	v_add_f32_e32 v2, v2, v3
	v_mov_b32_e32 v3, 0
	ds_bpermute_b32 v2, v3, v2
	s_and_saveexec_b32 s1, s2
	s_cbranch_execz .LBB351_356
; %bb.354:
	s_waitcnt lgkmcnt(0)
	v_add_f32_e32 v3, 0x358637bd, v2
	s_mov_b32 s2, 0
	v_div_scale_f32 v5, null, v3, v3, 1.0
	v_div_scale_f32 v8, vcc_lo, 1.0, v3, 1.0
	v_rcp_f32_e32 v6, v5
	v_fma_f32 v7, -v5, v6, 1.0
	v_fmac_f32_e32 v6, v7, v6
	v_mul_f32_e32 v7, v8, v6
	v_fma_f32 v9, -v5, v7, v8
	v_fmac_f32_e32 v7, v9, v6
	v_fma_f32 v5, -v5, v7, v8
	v_div_fmas_f32 v5, v5, v6, v7
	v_div_fixup_f32 v3, v5, v3, 1.0
	v_mov_b32_e32 v5, v0
.LBB351_355:                            ; =>This Inner Loop Header: Depth=1
	ds_read_b32 v6, v4
	v_add_nc_u32_e32 v5, 0x80, v5
	v_cmp_le_i32_e32 vcc_lo, s4, v5
	s_or_b32 s2, vcc_lo, s2
	s_waitcnt lgkmcnt(0)
	v_mul_f32_e32 v6, v3, v6
	ds_write_b32 v4, v6
	v_add_nc_u32_e32 v4, 0x200, v4
	s_andn2_b32 exec_lo, exec_lo, s2
	s_cbranch_execnz .LBB351_355
.LBB351_356:
	s_or_b32 exec_lo, exec_lo, s1
	s_mul_i32 s1, s7, s30
	s_waitcnt lgkmcnt(0)
	s_mul_i32 s2, s1, s9
	s_mov_b32 s1, exec_lo
	s_barrier
	buffer_gl0_inv
	v_cmpx_eq_u32_e32 0, v0
	s_cbranch_execz .LBB351_358
; %bb.357:
	s_ashr_i32 s3, s2, 31
	s_mul_i32 s12, s7, s6
	s_lshl_b64 s[4:5], s[2:3], 2
	v_mov_b32_e32 v3, 0
	s_add_u32 s3, s26, s4
	s_addc_u32 s6, s27, s5
	s_ashr_i32 s13, s12, 31
	s_lshl_b64 s[12:13], s[12:13], 2
	s_add_u32 s3, s3, s12
	s_addc_u32 s6, s6, s13
	s_ashr_i32 s9, s8, 31
	s_lshl_b64 s[26:27], s[8:9], 2
	s_add_u32 s42, s3, s26
	s_addc_u32 s43, s6, s27
	s_add_u32 s3, s24, s4
	s_addc_u32 s4, s25, s5
	;; [unrolled: 2-line block ×4, first 2 shown]
	global_store_dword v3, v1, s[42:43]
	global_store_dword v3, v2, s[4:5]
.LBB351_358:
	s_or_b32 exec_lo, exec_lo, s1
	v_mov_b32_e32 v30, 0
	v_mov_b32_e32 v28, 0
	;; [unrolled: 1-line block ×5, first 2 shown]
	s_and_saveexec_b32 s1, s0
	s_cbranch_execz .LBB351_674
; %bb.359:
	s_sub_i32 s3, s40, s21
	s_ashr_i32 s0, s18, 31
	s_add_u32 s13, s38, s18
	s_addc_u32 s0, s39, s0
	s_abs_i32 s6, s22
	v_and_b32_e32 v4, 0xf8, v35
	v_cvt_f32_u32_e32 v1, s6
	s_sub_i32 s4, 0, s6
	v_lshlrev_b32_e32 v5, 5, v32
	s_add_i32 s12, s33, -1
	v_add_co_u32 v11, s13, s13, v4
	v_rcp_iflag_f32_e32 v3, v1
	v_lshlrev_b64 v[1:2], 2, v[21:22]
	v_lshl_or_b32 v5, v33, 6, v5
	v_add_co_ci_u32_e64 v12, null, s0, 0, s13
	v_and_b32_e32 v29, 8, v35
	v_mov_b32_e32 v10, 0
	v_mov_b32_e32 v22, 0x80
	;; [unrolled: 1-line block ×4, first 2 shown]
	v_mul_f32_e32 v3, 0x4f7ffffe, v3
	v_mov_b32_e32 v37, 7
	v_mov_b32_e32 v38, 24
	;; [unrolled: 1-line block ×4, first 2 shown]
	v_cvt_u32_f32_e32 v3, v3
	v_mov_b32_e32 v27, 0
	v_mov_b32_e32 v28, 0
	v_add_nc_u32_e32 v39, 0xc0, v5
	v_mov_b32_e32 v30, 0
	v_mul_lo_u32 v6, s4, v3
	s_lshl_b64 s[4:5], s[36:37], 2
	s_mov_b32 s9, s17
	s_add_u32 s0, s34, s4
	s_addc_u32 s4, s35, s5
	v_add_co_u32 v13, vcc_lo, s0, v1
	v_add_co_ci_u32_e64 v14, null, s4, v2, vcc_lo
	v_mul_hi_u32 v4, v3, v6
	s_mov_b32 s4, -1
	s_mov_b32 s5, 0xffffff
	s_mov_b32 s13, 0
	v_add_nc_u32_e32 v40, v3, v4
	s_branch .LBB351_362
.LBB351_360:                            ;   in Loop: Header=BB351_362 Depth=1
	s_or_b32 exec_lo, exec_lo, s0
	v_bfe_u32 v49, v5, 16, 1
	v_bfe_u32 v50, v6, 16, 1
	v_or_b32_e32 v51, 0x400000, v5
	v_cmp_u_f32_e32 vcc_lo, v5, v5
	v_or_b32_e32 v52, 0x400000, v6
	v_add3_u32 v49, v49, v5, 0x7fff
	v_bfe_u32 v53, v7, 16, 1
	v_add3_u32 v50, v50, v6, 0x7fff
	v_bfe_u32 v54, v8, 16, 1
	v_lshlrev_b32_e32 v19, 16, v19
	v_cndmask_b32_e32 v5, v49, v51, vcc_lo
	v_cmp_u_f32_e32 vcc_lo, v6, v6
	v_add3_u32 v49, v53, v7, 0x7fff
	v_add3_u32 v51, v54, v8, 0x7fff
	v_bfe_u32 v53, v1, 16, 1
	v_and_b32_e32 v5, 0xffff0000, v5
	v_cndmask_b32_e32 v6, v50, v52, vcc_lo
	v_or_b32_e32 v50, 0x400000, v7
	v_cmp_u_f32_e32 vcc_lo, v7, v7
	v_or_b32_e32 v52, 0x400000, v8
	v_or_b32_e32 v54, 0x400000, v4
	v_lshlrev_b32_e32 v20, 16, v20
	v_lshlrev_b32_e32 v74, 16, v74
	v_cndmask_b32_e32 v7, v49, v50, vcc_lo
	v_cmp_u_f32_e32 vcc_lo, v8, v8
	v_bfe_u32 v49, v2, 16, 1
	v_add3_u32 v50, v53, v1, 0x7fff
	v_bfe_u32 v53, v3, 16, 1
	v_lshlrev_b32_e32 v67, 16, v67
	v_cndmask_b32_e32 v8, v51, v52, vcc_lo
	v_or_b32_e32 v51, 0x400000, v1
	v_cmp_u_f32_e32 vcc_lo, v1, v1
	v_add3_u32 v49, v49, v2, 0x7fff
	v_or_b32_e32 v52, 0x400000, v2
	v_and_b32_e32 v1, 0xffff0000, v6
	v_lshlrev_b32_e32 v6, 16, v78
	v_cndmask_b32_e32 v50, v50, v51, vcc_lo
	v_cmp_u_f32_e32 vcc_lo, v2, v2
	v_add3_u32 v2, v53, v3, 0x7fff
	v_bfe_u32 v51, v4, 16, 1
	v_or_b32_e32 v53, 0x400000, v3
	v_mul_f32_e32 v6, v1, v6
	v_cndmask_b32_e32 v49, v49, v52, vcc_lo
	v_lshlrev_b32_e32 v52, 16, v77
	v_cmp_u_f32_e32 vcc_lo, v3, v3
	v_add3_u32 v51, v51, v4, 0x7fff
	v_bfe_u32 v3, v6, 16, 1
	v_lshlrev_b32_e32 v62, 16, v62
	v_mul_f32_e32 v52, v5, v52
	v_cndmask_b32_e32 v53, v2, v53, vcc_lo
	v_cmp_u_f32_e32 vcc_lo, v4, v4
	v_and_b32_e32 v2, 0xffff0000, v8
	v_lshlrev_b32_e32 v8, 16, v75
	v_add3_u32 v3, v3, v6, 0x7fff
	v_or_b32_e32 v55, 0x400000, v52
	v_cndmask_b32_e32 v4, v51, v54, vcc_lo
	v_bfe_u32 v51, v52, 16, 1
	v_or_b32_e32 v54, 0x400000, v6
	v_mul_f32_e32 v56, v2, v8
	v_and_b32_e32 v8, 0xffff0000, v7
	v_lshlrev_b32_e32 v7, 16, v76
	v_cmp_u_f32_e32 vcc_lo, v6, v6
	v_add3_u32 v51, v51, v52, 0x7fff
	v_and_b32_e32 v6, 0xffff0000, v50
	v_or_b32_e32 v50, 0x400000, v56
	v_mul_f32_e32 v7, v8, v7
	v_cndmask_b32_e32 v54, v3, v54, vcc_lo
	v_cmp_u_f32_e32 vcc_lo, v52, v52
	v_bfe_u32 v52, v56, 16, 1
	v_and_b32_e32 v3, 0xffff0000, v49
	v_mul_f32_e32 v20, v6, v20
	v_and_b32_e32 v4, 0xffff0000, v4
	v_cndmask_b32_e32 v51, v51, v55, vcc_lo
	v_add3_u32 v49, v52, v56, 0x7fff
	v_bfe_u32 v52, v7, 16, 1
	v_mul_f32_e32 v19, v3, v19
	v_cmp_u_f32_e32 vcc_lo, v56, v56
	v_bfe_u32 v56, v20, 16, 1
	v_mul_f32_e32 v74, v4, v74
	v_and_b32_e32 v51, 0xffff0000, v51
	v_bfe_u32 v55, v19, 16, 1
	v_cndmask_b32_e32 v49, v49, v50, vcc_lo
	v_add3_u32 v50, v52, v7, 0x7fff
	v_or_b32_e32 v52, 0x400000, v7
	v_cmp_u_f32_e32 vcc_lo, v7, v7
	v_and_b32_e32 v7, 0xffff0000, v53
	v_lshlrev_b32_e32 v53, 16, v73
	v_add3_u32 v56, v56, v20, 0x7fff
	v_or_b32_e32 v73, 0x400000, v20
	v_cndmask_b32_e32 v50, v50, v52, vcc_lo
	v_add3_u32 v52, v55, v19, 0x7fff
	v_or_b32_e32 v55, 0x400000, v19
	v_cmp_u_f32_e32 vcc_lo, v19, v19
	v_bfe_u32 v75, v74, 16, 1
	v_and_b32_e32 v50, 0xffff0000, v50
	v_and_b32_e32 v49, 0xffff0000, v49
	;; [unrolled: 1-line block ×3, first 2 shown]
	v_cndmask_b32_e32 v19, v52, v55, vcc_lo
	v_mul_f32_e32 v52, v7, v53
	v_cmp_u_f32_e32 vcc_lo, v20, v20
	v_add3_u32 v53, v75, v74, 0x7fff
	v_or_b32_e32 v55, 0x400000, v74
	v_add_f32_e32 v49, v50, v49
	v_lshlrev_b32_e32 v50, 16, v72
	v_cndmask_b32_e32 v20, v56, v73, vcc_lo
	v_bfe_u32 v56, v52, 16, 1
	v_cmp_u_f32_e32 vcc_lo, v74, v74
	v_add_f32_e32 v51, v51, v54
	v_and_b32_e32 v19, 0xffff0000, v19
	v_and_b32_e32 v20, 0xffff0000, v20
	v_lshlrev_b32_e32 v54, 16, v71
	v_cndmask_b32_e32 v53, v53, v55, vcc_lo
	v_add3_u32 v55, v56, v52, 0x7fff
	v_or_b32_e32 v56, 0x400000, v52
	v_cmp_u_f32_e32 vcc_lo, v52, v52
	v_mul_f32_e32 v50, v1, v50
	v_add_f32_e32 v49, v49, v51
	v_add_f32_e32 v19, v20, v19
	v_mul_f32_e32 v51, v5, v54
	v_cndmask_b32_e32 v52, v55, v56, vcc_lo
	v_lshlrev_b32_e32 v54, 16, v68
	v_lshlrev_b32_e32 v56, 16, v70
	v_add_f32_e32 v19, v19, v49
	v_bfe_u32 v49, v51, 16, 1
	v_and_b32_e32 v20, 0xffff0000, v52
	v_and_b32_e32 v52, 0xffff0000, v53
	v_bfe_u32 v53, v50, 16, 1
	v_mul_f32_e32 v54, v2, v54
	v_cmp_u_f32_e32 vcc_lo, v50, v50
	v_add3_u32 v49, v49, v51, 0x7fff
	v_add_f32_e32 v20, v20, v52
	v_add3_u32 v52, v53, v50, 0x7fff
	v_or_b32_e32 v53, 0x400000, v50
	v_or_b32_e32 v55, 0x400000, v51
	v_lshlrev_b32_e32 v57, 16, v57
	v_lshlrev_b32_e32 v58, 16, v58
	;; [unrolled: 1-line block ×3, first 2 shown]
	v_cndmask_b32_e32 v50, v52, v53, vcc_lo
	v_bfe_u32 v52, v54, 16, 1
	v_cmp_u_f32_e32 vcc_lo, v51, v51
	v_mul_f32_e32 v51, v8, v56
	v_lshlrev_b32_e32 v53, 16, v65
	v_lshlrev_b32_e32 v56, 16, v66
	v_add3_u32 v52, v52, v54, 0x7fff
	v_cndmask_b32_e32 v49, v49, v55, vcc_lo
	v_or_b32_e32 v55, 0x400000, v54
	v_bfe_u32 v65, v51, 16, 1
	v_mul_f32_e32 v53, v3, v53
	v_cmp_u_f32_e32 vcc_lo, v54, v54
	v_mul_f32_e32 v54, v6, v56
	v_or_b32_e32 v56, 0x400000, v51
	v_lshlrev_b32_e32 v66, 16, v69
	v_and_b32_e32 v49, 0xffff0000, v49
	v_cndmask_b32_e32 v52, v52, v55, vcc_lo
	v_add3_u32 v55, v65, v51, 0x7fff
	v_bfe_u32 v65, v53, 16, 1
	v_cmp_u_f32_e32 vcc_lo, v51, v51
	v_bfe_u32 v68, v54, 16, 1
	v_and_b32_e32 v50, 0xffff0000, v50
	v_and_b32_e32 v52, 0xffff0000, v52
	v_mul_f32_e32 v48, v1, v48
	v_cndmask_b32_e32 v51, v55, v56, vcc_lo
	v_add3_u32 v55, v65, v53, 0x7fff
	v_mul_f32_e32 v56, v4, v66
	v_or_b32_e32 v65, 0x400000, v53
	v_cmp_u_f32_e32 vcc_lo, v53, v53
	v_add3_u32 v66, v68, v54, 0x7fff
	v_or_b32_e32 v68, 0x400000, v54
	v_bfe_u32 v69, v56, 16, 1
	v_and_b32_e32 v51, 0xffff0000, v51
	v_cndmask_b32_e32 v53, v55, v65, vcc_lo
	v_mul_f32_e32 v55, v7, v67
	v_cmp_u_f32_e32 vcc_lo, v54, v54
	v_add3_u32 v65, v69, v56, 0x7fff
	v_add_f32_e32 v49, v49, v50
	v_add_f32_e32 v50, v51, v52
	v_bfe_u32 v67, v55, 16, 1
	v_cndmask_b32_e32 v54, v66, v68, vcc_lo
	v_or_b32_e32 v66, 0x400000, v56
	v_cmp_u_f32_e32 vcc_lo, v56, v56
	v_and_b32_e32 v52, 0xffff0000, v53
	v_lshlrev_b32_e32 v53, 16, v64
	v_and_b32_e32 v51, 0xffff0000, v54
	v_add_f32_e32 v49, v50, v49
	v_cndmask_b32_e32 v56, v65, v66, vcc_lo
	v_add3_u32 v65, v67, v55, 0x7fff
	v_or_b32_e32 v66, 0x400000, v55
	v_cmp_u_f32_e32 vcc_lo, v55, v55
	v_lshlrev_b32_e32 v55, 16, v63
	v_add_f32_e32 v50, v51, v52
	v_mul_f32_e32 v51, v1, v53
	v_lshlrev_b32_e32 v47, 16, v47
	v_cndmask_b32_e32 v54, v65, v66, vcc_lo
	v_mul_f32_e32 v53, v5, v55
	v_lshlrev_b32_e32 v55, 16, v60
	v_add_f32_e32 v49, v50, v49
	v_cmp_u_f32_e32 vcc_lo, v51, v51
	v_and_b32_e32 v52, 0xffff0000, v54
	v_and_b32_e32 v54, 0xffff0000, v56
	v_bfe_u32 v56, v51, 16, 1
	v_bfe_u32 v60, v53, 16, 1
	v_lshlrev_b32_e32 v44, 16, v44
	v_mul_f32_e32 v47, v5, v47
	v_add_f32_e32 v50, v52, v54
	v_mul_f32_e32 v52, v2, v55
	v_add3_u32 v54, v56, v51, 0x7fff
	v_or_b32_e32 v55, 0x400000, v51
	v_add3_u32 v56, v60, v53, 0x7fff
	v_or_b32_e32 v60, 0x400000, v53
	v_bfe_u32 v63, v52, 16, 1
	v_mul_f32_e32 v44, v2, v44
	v_cndmask_b32_e32 v51, v54, v55, vcc_lo
	v_cmp_u_f32_e32 vcc_lo, v53, v53
	v_mul_f32_e32 v54, v8, v62
	v_add3_u32 v55, v63, v52, 0x7fff
	v_lshlrev_b32_e32 v46, 16, v46
	v_and_b32_e32 v51, 0xffff0000, v51
	v_cndmask_b32_e32 v53, v56, v60, vcc_lo
	v_or_b32_e32 v56, 0x400000, v52
	v_cmp_u_f32_e32 vcc_lo, v52, v52
	v_bfe_u32 v60, v54, 16, 1
	v_lshlrev_b32_e32 v42, 16, v42
	v_and_b32_e32 v53, 0xffff0000, v53
	v_mul_f32_e32 v46, v8, v46
	v_cndmask_b32_e32 v52, v55, v56, vcc_lo
	v_mul_f32_e32 v55, v3, v57
	v_mul_f32_e32 v56, v6, v58
	v_add3_u32 v57, v60, v54, 0x7fff
	v_or_b32_e32 v58, 0x400000, v54
	v_lshlrev_b32_e32 v60, 16, v61
	v_bfe_u32 v61, v55, 16, 1
	v_cmp_u_f32_e32 vcc_lo, v54, v54
	v_bfe_u32 v62, v56, 16, 1
	v_and_b32_e32 v52, 0xffff0000, v52
	v_add_f32_e32 v51, v53, v51
	v_mul_f32_e32 v42, v3, v42
	v_cndmask_b32_e32 v54, v57, v58, vcc_lo
	v_mul_f32_e32 v57, v4, v60
	v_add3_u32 v58, v61, v55, 0x7fff
	v_or_b32_e32 v60, 0x400000, v55
	v_cmp_u_f32_e32 vcc_lo, v55, v55
	v_add3_u32 v61, v62, v56, 0x7fff
	v_or_b32_e32 v62, 0x400000, v56
	v_bfe_u32 v63, v57, 16, 1
	v_and_b32_e32 v54, 0xffff0000, v54
	v_cndmask_b32_e32 v55, v58, v60, vcc_lo
	v_lshlrev_b32_e32 v58, 16, v59
	v_cmp_u_f32_e32 vcc_lo, v56, v56
	v_add3_u32 v59, v63, v57, 0x7fff
	v_or_b32_e32 v60, 0x400000, v57
	v_add_f32_e32 v52, v54, v52
	v_mul_f32_e32 v58, v7, v58
	v_cndmask_b32_e32 v56, v61, v62, vcc_lo
	v_cmp_u_f32_e32 vcc_lo, v57, v57
	v_and_b32_e32 v54, 0xffff0000, v55
	v_add_f32_e32 v51, v52, v51
	v_lshlrev_b32_e32 v41, 16, v41
	v_and_b32_e32 v53, 0xffff0000, v56
	v_cndmask_b32_e32 v57, v59, v60, vcc_lo
	v_bfe_u32 v59, v58, 16, 1
	v_or_b32_e32 v56, 0x400000, v58
	v_cmp_u_f32_e32 vcc_lo, v58, v58
	v_add_f32_e32 v52, v53, v54
	v_bfe_u32 v54, v48, 16, 1
	v_add3_u32 v55, v59, v58, 0x7fff
	v_lshlrev_b32_e32 v45, 16, v45
	v_mul_f32_e32 v41, v6, v41
	v_add_f32_e32 v51, v52, v51
	v_lshlrev_b32_e32 v43, 16, v43
	v_cndmask_b32_e32 v53, v55, v56, vcc_lo
	v_bfe_u32 v56, v47, 16, 1
	v_cmp_u_f32_e32 vcc_lo, v48, v48
	v_and_b32_e32 v55, 0xffff0000, v57
	v_or_b32_e32 v57, 0x400000, v44
	v_and_b32_e32 v52, 0xffff0000, v53
	v_add3_u32 v53, v54, v48, 0x7fff
	v_or_b32_e32 v54, 0x400000, v48
	v_mul_f32_e32 v45, v4, v45
	v_mul_f32_e32 v43, v7, v43
	v_lshlrev_b32_e32 v16, 16, v16
	v_lshlrev_b32_e32 v15, 16, v15
	v_cndmask_b32_e32 v48, v53, v54, vcc_lo
	v_bfe_u32 v53, v44, 16, 1
	v_add3_u32 v54, v56, v47, 0x7fff
	v_or_b32_e32 v56, 0x400000, v47
	v_cmp_u_f32_e32 vcc_lo, v47, v47
	v_and_b32_e32 v48, 0xffff0000, v48
	v_add3_u32 v53, v53, v44, 0x7fff
	v_mul_f32_e32 v2, v2, v16
	v_mul_f32_e32 v6, v6, v15
	v_cndmask_b32_e32 v47, v54, v56, vcc_lo
	v_bfe_u32 v54, v46, 16, 1
	v_cmp_u_f32_e32 vcc_lo, v44, v44
	v_or_b32_e32 v56, 0x400000, v46
	v_lshlrev_b32_e32 v9, 16, v9
	v_and_b32_e32 v47, 0xffff0000, v47
	v_add3_u32 v54, v54, v46, 0x7fff
	v_cndmask_b32_e32 v44, v53, v57, vcc_lo
	v_bfe_u32 v53, v42, 16, 1
	v_cmp_u_f32_e32 vcc_lo, v46, v46
	v_or_b32_e32 v57, 0x400000, v42
	v_add_f32_e32 v47, v47, v48
	v_and_b32_e32 v44, 0xffff0000, v44
	v_add3_u32 v53, v53, v42, 0x7fff
	v_cndmask_b32_e32 v46, v54, v56, vcc_lo
	v_bfe_u32 v54, v41, 16, 1
	v_cmp_u_f32_e32 vcc_lo, v42, v42
	v_bfe_u32 v56, v45, 16, 1
	v_mul_f32_e32 v3, v3, v9
	v_and_b32_e32 v46, 0xffff0000, v46
	v_lshlrev_b32_e32 v9, 16, v18
	v_cndmask_b32_e32 v42, v53, v57, vcc_lo
	v_add3_u32 v53, v54, v41, 0x7fff
	v_or_b32_e32 v54, 0x400000, v41
	v_cmp_u_f32_e32 vcc_lo, v41, v41
	v_add3_u32 v56, v56, v45, 0x7fff
	v_or_b32_e32 v57, 0x400000, v45
	v_add_f32_e32 v44, v46, v44
	v_and_b32_e32 v42, 0xffff0000, v42
	v_cndmask_b32_e32 v41, v53, v54, vcc_lo
	v_cmp_u_f32_e32 vcc_lo, v45, v45
	v_bfe_u32 v53, v43, 16, 1
	v_lshlrev_b32_e32 v46, 16, v80
	v_or_b32_e32 v54, 0x400000, v43
	v_and_b32_e32 v41, 0xffff0000, v41
	v_cndmask_b32_e32 v45, v56, v57, vcc_lo
	v_lshlrev_b32_e32 v56, 16, v81
	v_add3_u32 v53, v53, v43, 0x7fff
	v_cmp_u_f32_e32 vcc_lo, v43, v43
	v_add_f32_e32 v44, v44, v47
	v_add_f32_e32 v41, v41, v42
	v_mul_f32_e32 v5, v5, v56
	v_mul_f32_e32 v1, v1, v46
	v_lshlrev_b32_e32 v42, 16, v79
	v_cndmask_b32_e32 v43, v53, v54, vcc_lo
	v_lshlrev_b32_e32 v17, 16, v17
	v_bfe_u32 v47, v5, 16, 1
	v_bfe_u32 v48, v1, 16, 1
	v_mul_f32_e32 v8, v8, v42
	v_cmp_u_f32_e32 vcc_lo, v5, v5
	v_mul_f32_e32 v7, v7, v9
	v_add3_u32 v46, v47, v5, 0x7fff
	v_or_b32_e32 v47, 0x400000, v5
	v_add3_u32 v42, v48, v1, 0x7fff
	v_mul_f32_e32 v4, v4, v17
	v_or_b32_e32 v9, 0x400000, v6
	v_or_b32_e32 v17, 0x400000, v3
	v_cndmask_b32_e32 v5, v46, v47, vcc_lo
	v_or_b32_e32 v46, 0x400000, v1
	v_bfe_u32 v47, v8, 16, 1
	v_cmp_u_f32_e32 vcc_lo, v1, v1
	v_bfe_u32 v18, v7, 16, 1
	v_and_b32_e32 v5, 0xffff0000, v5
	v_and_b32_e32 v43, 0xffff0000, v43
	v_add3_u32 v16, v47, v8, 0x7fff
	v_cndmask_b32_e32 v1, v42, v46, vcc_lo
	v_or_b32_e32 v42, 0x400000, v8
	v_bfe_u32 v46, v2, 16, 1
	v_cmp_u_f32_e32 vcc_lo, v8, v8
	v_and_b32_e32 v1, 0xffff0000, v1
	v_add3_u32 v15, v46, v2, 0x7fff
	v_cndmask_b32_e32 v8, v16, v42, vcc_lo
	v_or_b32_e32 v16, 0x400000, v2
	v_bfe_u32 v42, v6, 16, 1
	v_cmp_u_f32_e32 vcc_lo, v2, v2
	v_add_f32_e32 v1, v5, v1
	v_and_b32_e32 v8, 0xffff0000, v8
	v_cndmask_b32_e32 v2, v15, v16, vcc_lo
	v_bfe_u32 v15, v3, 16, 1
	v_add3_u32 v16, v42, v6, 0x7fff
	v_cmp_u_f32_e32 vcc_lo, v6, v6
	v_bfe_u32 v42, v4, 16, 1
	v_and_b32_e32 v2, 0xffff0000, v2
	v_add3_u32 v15, v15, v3, 0x7fff
	v_cndmask_b32_e32 v6, v16, v9, vcc_lo
	v_cmp_u_f32_e32 vcc_lo, v3, v3
	v_or_b32_e32 v16, 0x400000, v4
	v_add3_u32 v9, v18, v7, 0x7fff
	v_add_f32_e32 v2, v8, v2
	v_and_b32_e32 v5, 0xffff0000, v6
	v_cndmask_b32_e32 v3, v15, v17, vcc_lo
	v_add3_u32 v15, v42, v4, 0x7fff
	v_cmp_u_f32_e32 vcc_lo, v4, v4
	v_or_b32_e32 v17, 0x400000, v7
	v_add_f32_e32 v1, v2, v1
	v_and_b32_e32 v3, 0xffff0000, v3
	v_cndmask_b32_e32 v4, v15, v16, vcc_lo
	v_cmp_u_f32_e32 vcc_lo, v7, v7
	v_and_b32_e32 v7, 0xffff0000, v45
	v_add_f32_e32 v2, v5, v3
	v_add_f32_e32 v5, v52, v55
	v_and_b32_e32 v3, 0xffff0000, v4
	v_cndmask_b32_e32 v6, v9, v17, vcc_lo
	v_add_f32_e32 v7, v43, v7
	v_add_f32_e32 v1, v2, v1
	;; [unrolled: 1-line block ×3, first 2 shown]
	v_and_b32_e32 v4, 0xffff0000, v6
	v_add_f32_e32 v6, v41, v44
	v_add_f32_e32 v28, v28, v5
	;; [unrolled: 1-line block ×11, first 2 shown]
.LBB351_361:                            ;   in Loop: Header=BB351_362 Depth=1
	s_or_b32 exec_lo, exec_lo, s17
	v_add_nc_u32_e32 v21, 4, v21
	v_add_co_u32 v13, s0, v13, 16
	v_add_co_ci_u32_e64 v14, null, 0, v14, s0
	v_cmp_le_i32_e32 vcc_lo, s20, v21
	v_add_nc_u32_e32 v34, 64, v34
	v_add_nc_u32_e32 v39, 0x100, v39
	s_or_b32 s13, vcc_lo, s13
	s_andn2_b32 exec_lo, exec_lo, s13
	s_cbranch_execz .LBB351_673
.LBB351_362:                            ; =>This Inner Loop Header: Depth=1
	v_sub_nc_u32_e32 v1, 0, v34
	v_max_i32_e32 v1, v34, v1
	v_mul_hi_u32 v2, v1, s16
	v_mul_lo_u32 v3, v2, s11
	v_sub_nc_u32_e32 v1, v1, v3
	v_add_nc_u32_e32 v3, 1, v2
	v_subrev_nc_u32_e32 v4, s11, v1
	v_cmp_le_u32_e32 vcc_lo, s11, v1
	v_cndmask_b32_e32 v2, v2, v3, vcc_lo
	v_cndmask_b32_e32 v1, v1, v4, vcc_lo
	v_ashrrev_i32_e32 v3, 31, v34
	v_add_nc_u32_e32 v4, 1, v2
	v_cmp_le_u32_e32 vcc_lo, s11, v1
	v_xor_b32_e32 v3, s23, v3
	v_cndmask_b32_e32 v1, v2, v4, vcc_lo
	v_xor_b32_e32 v1, v1, v3
	v_sub_nc_u32_e32 v1, v1, v3
	v_add_nc_u32_e32 v2, s19, v1
	v_cmp_lt_i32_e64 s0, s3, v1
	v_sub_nc_u32_e32 v3, 0, v2
	v_max_i32_e32 v3, v2, v3
	v_ashrrev_i32_e32 v2, 31, v2
	v_mul_hi_u32 v4, v3, v40
	v_mul_lo_u32 v4, v4, s6
	v_sub_nc_u32_e32 v3, v3, v4
	v_subrev_nc_u32_e32 v4, s6, v3
	v_cmp_le_u32_e32 vcc_lo, s6, v3
	v_cndmask_b32_e32 v3, v3, v4, vcc_lo
	v_subrev_nc_u32_e32 v4, s6, v3
	v_cmp_le_u32_e32 vcc_lo, s6, v3
	v_cndmask_b32_e32 v3, v3, v4, vcc_lo
	v_xor_b32_e32 v3, v3, v2
	v_sub_nc_u32_e32 v2, v3, v2
	v_cmp_eq_u32_e32 vcc_lo, 0, v2
	s_or_b32 s0, vcc_lo, s0
	s_and_saveexec_b32 s17, s0
	s_cbranch_execz .LBB351_361
; %bb.363:                              ;   in Loop: Header=BB351_362 Depth=1
	global_load_dword v1, v[13:14], off
	v_mov_b32_e32 v41, 0
	v_mov_b32_e32 v43, 0
	s_waitcnt vmcnt(0)
	v_mad_i64_i32 v[15:16], null, v1, s9, v[11:12]
	global_load_dwordx2 v[17:18], v[15:16], off
	ds_read2_b64 v[5:8], v39 offset1:1
	ds_read2_b64 v[1:4], v39 offset0:2 offset1:3
	s_load_dword s18, s[14:15], 0x0
	s_waitcnt vmcnt(0)
	v_cmp_ne_u16_sdwa s21, v17, v10 src0_sel:BYTE_0 src1_sel:DWORD
	s_and_saveexec_b32 s0, s21
	s_cbranch_execz .LBB351_369
; %bb.364:                              ;   in Loop: Header=BB351_362 Depth=1
	v_cmp_ne_u16_sdwa s22, v17, v22 src0_sel:BYTE_0 src1_sel:DWORD
	v_bfrev_b32_e32 v43, 1
	s_and_saveexec_b32 s21, s22
	s_cbranch_execz .LBB351_368
; %bb.365:                              ;   in Loop: Header=BB351_362 Depth=1
	v_and_b32_e32 v9, 0x7f, v17
	v_mov_b32_e32 v43, 0x7f800001
	s_mov_b32 s22, exec_lo
	v_cmpx_ne_u32_e32 0x7f, v9
	s_cbranch_execz .LBB351_367
; %bb.366:                              ;   in Loop: Header=BB351_362 Depth=1
	v_and_b32_e32 v19, 7, v17
	v_lshrrev_b32_e32 v20, 3, v9
	v_cmp_gt_u32_e32 vcc_lo, 8, v9
	v_ffbh_u32_e32 v19, v19
	v_min_u32_e32 v19, 32, v19
	v_subrev_nc_u32_e32 v42, 28, v19
	v_sub_nc_u32_e32 v19, 29, v19
	v_cndmask_b32_e32 v9, v20, v19, vcc_lo
	v_cndmask_b32_e32 v19, 0, v42, vcc_lo
	v_lshl_add_u32 v9, v9, 23, 0x3c000000
	v_lshlrev_b64 v[19:20], v19, v[17:18]
	v_lshlrev_b32_e32 v20, 24, v17
	v_lshlrev_b32_e32 v19, 20, v19
	v_and_b32_e32 v20, 0x80000000, v20
	v_and_b32_e32 v19, 0x700000, v19
	v_or3_b32 v43, v19, v20, v9
.LBB351_367:                            ;   in Loop: Header=BB351_362 Depth=1
	s_or_b32 exec_lo, exec_lo, s22
.LBB351_368:                            ;   in Loop: Header=BB351_362 Depth=1
	s_or_b32 exec_lo, exec_lo, s21
.LBB351_369:                            ;   in Loop: Header=BB351_362 Depth=1
	s_or_b32 exec_lo, exec_lo, s0
	v_cmp_ne_u16_sdwa s21, v17, v10 src0_sel:BYTE_1 src1_sel:DWORD
	s_and_saveexec_b32 s0, s21
	s_cbranch_execz .LBB351_377
; %bb.370:                              ;   in Loop: Header=BB351_362 Depth=1
	v_cmp_ne_u16_sdwa s22, v17, v22 src0_sel:BYTE_1 src1_sel:DWORD
	v_bfrev_b32_e32 v41, 1
	s_and_saveexec_b32 s21, s22
	s_cbranch_execz .LBB351_376
; %bb.371:                              ;   in Loop: Header=BB351_362 Depth=1
	v_and_b32_sdwa v9, v35, v17 dst_sel:DWORD dst_unused:UNUSED_PAD src0_sel:DWORD src1_sel:BYTE_1
	v_mov_b32_e32 v41, 0x7f800001
	s_mov_b32 s22, exec_lo
	v_and_b32_e32 v20, 0x7f, v9
	v_cmpx_ne_u32_e32 0x7f, v20
	s_cbranch_execz .LBB351_375
; %bb.372:                              ;   in Loop: Header=BB351_362 Depth=1
	v_and_b32_e32 v9, 7, v9
	v_lshrrev_b32_e32 v19, 3, v20
	s_mov_b32 s24, exec_lo
	v_cmpx_gt_u32_e32 8, v20
; %bb.373:                              ;   in Loop: Header=BB351_362 Depth=1
	v_ffbh_u32_e32 v19, v9
	v_min_u32_e32 v19, 32, v19
	v_subrev_nc_u32_e32 v20, 28, v19
	v_sub_nc_u32_e32 v19, 29, v19
	v_lshlrev_b64 v[41:42], v20, v[9:10]
	v_and_b32_e32 v9, 7, v41
; %bb.374:                              ;   in Loop: Header=BB351_362 Depth=1
	s_or_b32 exec_lo, exec_lo, s24
	v_lshlrev_b32_e32 v20, 16, v17
	v_lshlrev_b32_e32 v9, 20, v9
	v_lshl_add_u32 v19, v19, 23, 0x3c000000
	v_and_b32_e32 v20, 0x80000000, v20
	v_or3_b32 v41, v9, v20, v19
.LBB351_375:                            ;   in Loop: Header=BB351_362 Depth=1
	s_or_b32 exec_lo, exec_lo, s22
.LBB351_376:                            ;   in Loop: Header=BB351_362 Depth=1
	s_or_b32 exec_lo, exec_lo, s21
.LBB351_377:                            ;   in Loop: Header=BB351_362 Depth=1
	s_or_b32 exec_lo, exec_lo, s0
	v_and_b32_sdwa v9, v17, v36 dst_sel:DWORD dst_unused:UNUSED_PAD src0_sel:WORD_1 src1_sel:DWORD
	v_mov_b32_e32 v44, 0
	v_mov_b32_e32 v42, 0
	s_mov_b32 s0, exec_lo
	v_cmpx_ne_u16_e32 0, v9
	s_cbranch_execz .LBB351_385
; %bb.378:                              ;   in Loop: Header=BB351_362 Depth=1
	v_bfrev_b32_e32 v42, 1
	s_mov_b32 s21, exec_lo
	v_cmpx_ne_u16_e32 0x80, v9
	s_cbranch_execz .LBB351_384
; %bb.379:                              ;   in Loop: Header=BB351_362 Depth=1
	v_bfe_u32 v20, v17, 16, 7
	v_mov_b32_e32 v42, 0x7f800001
	s_mov_b32 s22, exec_lo
	v_cmpx_ne_u32_e32 0x7f, v20
	s_cbranch_execz .LBB351_383
; %bb.380:                              ;   in Loop: Header=BB351_362 Depth=1
	v_and_b32_sdwa v9, v17, v37 dst_sel:DWORD dst_unused:UNUSED_PAD src0_sel:WORD_1 src1_sel:DWORD
	v_lshrrev_b32_e32 v19, 3, v20
	s_mov_b32 s24, exec_lo
	v_cmpx_gt_u32_e32 8, v20
; %bb.381:                              ;   in Loop: Header=BB351_362 Depth=1
	v_ffbh_u32_e32 v19, v9
	v_min_u32_e32 v19, 32, v19
	v_subrev_nc_u32_e32 v20, 28, v19
	v_sub_nc_u32_e32 v19, 29, v19
	v_lshlrev_b64 v[45:46], v20, v[9:10]
	v_and_b32_e32 v9, 7, v45
; %bb.382:                              ;   in Loop: Header=BB351_362 Depth=1
	s_or_b32 exec_lo, exec_lo, s24
	v_lshlrev_b32_sdwa v20, v38, v17 dst_sel:DWORD dst_unused:UNUSED_PAD src0_sel:DWORD src1_sel:WORD_1
	v_lshlrev_b32_e32 v9, 20, v9
	v_lshl_add_u32 v19, v19, 23, 0x3c000000
	v_and_b32_e32 v20, 0x80000000, v20
	v_or3_b32 v42, v9, v20, v19
.LBB351_383:                            ;   in Loop: Header=BB351_362 Depth=1
	s_or_b32 exec_lo, exec_lo, s22
.LBB351_384:                            ;   in Loop: Header=BB351_362 Depth=1
	s_or_b32 exec_lo, exec_lo, s21
.LBB351_385:                            ;   in Loop: Header=BB351_362 Depth=1
	s_or_b32 exec_lo, exec_lo, s0
	s_mov_b32 s0, exec_lo
	v_cmpx_lt_u32_e32 0xffffff, v17
	s_cbranch_execz .LBB351_393
; %bb.386:                              ;   in Loop: Header=BB351_362 Depth=1
	v_cmp_ne_u32_sdwa s22, v17, v22 src0_sel:BYTE_3 src1_sel:DWORD
	v_bfrev_b32_e32 v44, 1
	s_and_saveexec_b32 s21, s22
	s_cbranch_execz .LBB351_392
; %bb.387:                              ;   in Loop: Header=BB351_362 Depth=1
	v_bfe_u32 v20, v17, 24, 7
	v_mov_b32_e32 v44, 0x7f800001
	s_mov_b32 s22, exec_lo
	v_cmpx_ne_u32_e32 0x7f, v20
	s_cbranch_execz .LBB351_391
; %bb.388:                              ;   in Loop: Header=BB351_362 Depth=1
	v_and_b32_sdwa v9, v17, v37 dst_sel:DWORD dst_unused:UNUSED_PAD src0_sel:BYTE_3 src1_sel:DWORD
	v_lshrrev_b32_e32 v19, 3, v20
	s_mov_b32 s24, exec_lo
	v_cmpx_gt_u32_e32 8, v20
; %bb.389:                              ;   in Loop: Header=BB351_362 Depth=1
	v_ffbh_u32_e32 v19, v9
	v_min_u32_e32 v19, 32, v19
	v_subrev_nc_u32_e32 v20, 28, v19
	v_sub_nc_u32_e32 v19, 29, v19
	v_lshlrev_b64 v[44:45], v20, v[9:10]
	v_and_b32_e32 v9, 7, v44
; %bb.390:                              ;   in Loop: Header=BB351_362 Depth=1
	s_or_b32 exec_lo, exec_lo, s24
	v_lshlrev_b32_sdwa v20, v38, v17 dst_sel:DWORD dst_unused:UNUSED_PAD src0_sel:DWORD src1_sel:BYTE_3
	v_lshlrev_b32_e32 v9, 20, v9
	v_lshl_add_u32 v19, v19, 23, 0x3c000000
	v_and_b32_e32 v20, 0x80000000, v20
	v_or3_b32 v44, v9, v20, v19
.LBB351_391:                            ;   in Loop: Header=BB351_362 Depth=1
	s_or_b32 exec_lo, exec_lo, s22
.LBB351_392:                            ;   in Loop: Header=BB351_362 Depth=1
	s_or_b32 exec_lo, exec_lo, s21
.LBB351_393:                            ;   in Loop: Header=BB351_362 Depth=1
	s_or_b32 exec_lo, exec_lo, s0
	v_mov_b32_e32 v9, v18
	v_cmp_ne_u16_sdwa s21, v18, v10 src0_sel:BYTE_0 src1_sel:DWORD
	v_mov_b32_e32 v19, 0
	v_mov_b32_e32 v45, 0
	s_and_saveexec_b32 s0, s21
	s_cbranch_execz .LBB351_399
; %bb.394:                              ;   in Loop: Header=BB351_362 Depth=1
	v_cmp_ne_u16_sdwa s22, v18, v22 src0_sel:BYTE_0 src1_sel:DWORD
	v_bfrev_b32_e32 v45, 1
	s_and_saveexec_b32 s21, s22
	s_cbranch_execz .LBB351_398
; %bb.395:                              ;   in Loop: Header=BB351_362 Depth=1
	v_and_b32_e32 v20, 0x7f, v18
	v_mov_b32_e32 v45, 0x7f800001
	s_mov_b32 s22, exec_lo
	v_cmpx_ne_u32_e32 0x7f, v20
	s_cbranch_execz .LBB351_397
; %bb.396:                              ;   in Loop: Header=BB351_362 Depth=1
	v_and_b32_e32 v45, 7, v18
	v_lshrrev_b32_e32 v46, 3, v20
	v_cmp_gt_u32_e32 vcc_lo, 8, v20
	v_ffbh_u32_e32 v45, v45
	v_min_u32_e32 v45, 32, v45
	v_subrev_nc_u32_e32 v47, 28, v45
	v_sub_nc_u32_e32 v45, 29, v45
	v_cndmask_b32_e32 v20, v46, v45, vcc_lo
	v_cndmask_b32_e32 v45, 0, v47, vcc_lo
	v_lshl_add_u32 v20, v20, 23, 0x3c000000
	v_lshlrev_b64 v[45:46], v45, v[9:10]
	v_lshlrev_b32_e32 v46, 24, v9
	v_lshlrev_b32_e32 v45, 20, v45
	v_and_b32_e32 v46, 0x80000000, v46
	v_and_b32_e32 v45, 0x700000, v45
	v_or3_b32 v45, v45, v46, v20
.LBB351_397:                            ;   in Loop: Header=BB351_362 Depth=1
	s_or_b32 exec_lo, exec_lo, s22
.LBB351_398:                            ;   in Loop: Header=BB351_362 Depth=1
	s_or_b32 exec_lo, exec_lo, s21
.LBB351_399:                            ;   in Loop: Header=BB351_362 Depth=1
	s_or_b32 exec_lo, exec_lo, s0
	v_cmp_ne_u16_sdwa s21, v9, v10 src0_sel:BYTE_1 src1_sel:DWORD
	s_and_saveexec_b32 s0, s21
	s_cbranch_execz .LBB351_407
; %bb.400:                              ;   in Loop: Header=BB351_362 Depth=1
	v_cmp_ne_u16_sdwa s22, v9, v22 src0_sel:BYTE_1 src1_sel:DWORD
	v_bfrev_b32_e32 v19, 1
	s_and_saveexec_b32 s21, s22
	s_cbranch_execz .LBB351_406
; %bb.401:                              ;   in Loop: Header=BB351_362 Depth=1
	v_and_b32_sdwa v20, v35, v9 dst_sel:DWORD dst_unused:UNUSED_PAD src0_sel:DWORD src1_sel:BYTE_1
	v_mov_b32_e32 v19, 0x7f800001
	s_mov_b32 s22, exec_lo
	v_and_b32_e32 v47, 0x7f, v20
	v_cmpx_ne_u32_e32 0x7f, v47
	s_cbranch_execz .LBB351_405
; %bb.402:                              ;   in Loop: Header=BB351_362 Depth=1
	v_and_b32_e32 v19, 7, v20
	v_mov_b32_e32 v20, v10
	v_lshrrev_b32_e32 v46, 3, v47
	s_mov_b32 s24, exec_lo
	v_cmpx_gt_u32_e32 8, v47
; %bb.403:                              ;   in Loop: Header=BB351_362 Depth=1
	v_ffbh_u32_e32 v46, v19
	v_min_u32_e32 v46, 32, v46
	v_subrev_nc_u32_e32 v47, 28, v46
	v_sub_nc_u32_e32 v46, 29, v46
	v_lshlrev_b64 v[19:20], v47, v[19:20]
	v_and_b32_e32 v19, 7, v19
; %bb.404:                              ;   in Loop: Header=BB351_362 Depth=1
	s_or_b32 exec_lo, exec_lo, s24
	v_lshlrev_b32_e32 v9, 16, v9
	v_lshlrev_b32_e32 v19, 20, v19
	v_lshl_add_u32 v20, v46, 23, 0x3c000000
	v_and_b32_e32 v9, 0x80000000, v9
	v_or3_b32 v19, v19, v9, v20
.LBB351_405:                            ;   in Loop: Header=BB351_362 Depth=1
	s_or_b32 exec_lo, exec_lo, s22
.LBB351_406:                            ;   in Loop: Header=BB351_362 Depth=1
	s_or_b32 exec_lo, exec_lo, s21
.LBB351_407:                            ;   in Loop: Header=BB351_362 Depth=1
	s_or_b32 exec_lo, exec_lo, s0
	v_and_b32_sdwa v9, v18, v36 dst_sel:DWORD dst_unused:UNUSED_PAD src0_sel:WORD_1 src1_sel:DWORD
	v_mov_b32_e32 v20, 0
	v_mov_b32_e32 v46, 0
	s_mov_b32 s0, exec_lo
	v_cmpx_ne_u16_e32 0, v9
	s_cbranch_execz .LBB351_415
; %bb.408:                              ;   in Loop: Header=BB351_362 Depth=1
	v_bfrev_b32_e32 v46, 1
	s_mov_b32 s21, exec_lo
	v_cmpx_ne_u16_e32 0x80, v9
	s_cbranch_execz .LBB351_414
; %bb.409:                              ;   in Loop: Header=BB351_362 Depth=1
	v_bfe_u32 v47, v18, 16, 7
	v_mov_b32_e32 v46, 0x7f800001
	s_mov_b32 s22, exec_lo
	v_cmpx_ne_u32_e32 0x7f, v47
	s_cbranch_execz .LBB351_413
; %bb.410:                              ;   in Loop: Header=BB351_362 Depth=1
	v_and_b32_sdwa v9, v18, v37 dst_sel:DWORD dst_unused:UNUSED_PAD src0_sel:WORD_1 src1_sel:DWORD
	v_lshrrev_b32_e32 v46, 3, v47
	s_mov_b32 s24, exec_lo
	v_cmpx_gt_u32_e32 8, v47
; %bb.411:                              ;   in Loop: Header=BB351_362 Depth=1
	v_ffbh_u32_e32 v46, v9
	v_min_u32_e32 v46, 32, v46
	v_subrev_nc_u32_e32 v47, 28, v46
	v_sub_nc_u32_e32 v46, 29, v46
	v_lshlrev_b64 v[47:48], v47, v[9:10]
	v_and_b32_e32 v9, 7, v47
; %bb.412:                              ;   in Loop: Header=BB351_362 Depth=1
	s_or_b32 exec_lo, exec_lo, s24
	v_lshlrev_b32_sdwa v47, v38, v18 dst_sel:DWORD dst_unused:UNUSED_PAD src0_sel:DWORD src1_sel:WORD_1
	v_lshlrev_b32_e32 v9, 20, v9
	v_lshl_add_u32 v46, v46, 23, 0x3c000000
	v_and_b32_e32 v47, 0x80000000, v47
	v_or3_b32 v46, v9, v47, v46
.LBB351_413:                            ;   in Loop: Header=BB351_362 Depth=1
	s_or_b32 exec_lo, exec_lo, s22
.LBB351_414:                            ;   in Loop: Header=BB351_362 Depth=1
	s_or_b32 exec_lo, exec_lo, s21
.LBB351_415:                            ;   in Loop: Header=BB351_362 Depth=1
	s_or_b32 exec_lo, exec_lo, s0
	s_mov_b32 s0, exec_lo
	v_cmpx_lt_u64_e64 s[4:5], v[17:18]
	s_cbranch_execz .LBB351_423
; %bb.416:                              ;   in Loop: Header=BB351_362 Depth=1
	v_cmp_ne_u32_sdwa s22, v18, v22 src0_sel:BYTE_3 src1_sel:DWORD
	v_bfrev_b32_e32 v20, 1
	s_and_saveexec_b32 s21, s22
	s_cbranch_execz .LBB351_422
; %bb.417:                              ;   in Loop: Header=BB351_362 Depth=1
	v_bfe_u32 v47, v18, 24, 7
	v_mov_b32_e32 v20, 0x7f800001
	s_mov_b32 s22, exec_lo
	v_cmpx_ne_u32_e32 0x7f, v47
	s_cbranch_execz .LBB351_421
; %bb.418:                              ;   in Loop: Header=BB351_362 Depth=1
	v_and_b32_sdwa v9, v18, v37 dst_sel:DWORD dst_unused:UNUSED_PAD src0_sel:BYTE_3 src1_sel:DWORD
	v_lshrrev_b32_e32 v17, 3, v47
	s_mov_b32 s24, exec_lo
	v_cmpx_gt_u32_e32 8, v47
; %bb.419:                              ;   in Loop: Header=BB351_362 Depth=1
	v_ffbh_u32_e32 v17, v9
	v_min_u32_e32 v17, 32, v17
	v_subrev_nc_u32_e32 v20, 28, v17
	v_sub_nc_u32_e32 v17, 29, v17
	v_lshlrev_b64 v[47:48], v20, v[9:10]
	v_and_b32_e32 v9, 7, v47
; %bb.420:                              ;   in Loop: Header=BB351_362 Depth=1
	s_or_b32 exec_lo, exec_lo, s24
	v_lshlrev_b32_sdwa v18, v38, v18 dst_sel:DWORD dst_unused:UNUSED_PAD src0_sel:DWORD src1_sel:BYTE_3
	v_lshlrev_b32_e32 v9, 20, v9
	v_lshl_add_u32 v17, v17, 23, 0x3c000000
	v_and_b32_e32 v18, 0x80000000, v18
	v_or3_b32 v20, v9, v18, v17
.LBB351_421:                            ;   in Loop: Header=BB351_362 Depth=1
	s_or_b32 exec_lo, exec_lo, s22
.LBB351_422:                            ;   in Loop: Header=BB351_362 Depth=1
	s_or_b32 exec_lo, exec_lo, s21
.LBB351_423:                            ;   in Loop: Header=BB351_362 Depth=1
	s_or_b32 exec_lo, exec_lo, s0
	s_waitcnt lgkmcnt(0)
	v_mul_f32_e32 v9, s18, v19
	v_mul_f32_e32 v17, s18, v45
	;; [unrolled: 1-line block ×5, first 2 shown]
	v_bfe_u32 v19, v9, 16, 1
	v_or_b32_e32 v42, 0x400000, v9
	v_bfe_u32 v44, v17, 16, 1
	v_cmp_u_f32_e64 s0, v9, v9
	v_or_b32_e32 v47, 0x400000, v17
	v_add3_u32 v19, v19, v9, 0x7fff
	v_bfe_u32 v48, v18, 16, 1
	v_add3_u32 v44, v44, v17, 0x7fff
	v_or_b32_e32 v50, 0x400000, v18
	v_add_nc_u32_e32 v49, v29, v34
	v_cndmask_b32_e64 v9, v19, v42, s0
	v_cmp_u_f32_e64 s0, v17, v17
	v_bfe_u32 v19, v45, 16, 1
	v_add3_u32 v48, v48, v18, 0x7fff
	v_cmp_eq_u32_e32 vcc_lo, s12, v21
	v_lshrrev_b32_e32 v42, 16, v9
	v_cndmask_b32_e64 v17, v44, v47, s0
	v_cmp_u_f32_e64 s0, v18, v18
	v_mul_f32_e32 v18, s18, v41
	v_add3_u32 v19, v19, v45, 0x7fff
	v_or_b32_e32 v47, 0x400000, v45
	v_lshrrev_b32_e32 v41, 16, v17
	v_cndmask_b32_e64 v9, v48, v50, s0
	v_cmp_u_f32_e64 s0, v45, v45
	v_or_b32_e32 v45, 0x400000, v18
	v_or_b32_e32 v50, 0x400000, v20
	v_add_nc_u32_e32 v56, 1, v49
	v_lshrrev_b32_e32 v44, 16, v9
	v_bfe_u32 v9, v18, 16, 1
	v_cndmask_b32_e64 v17, v19, v47, s0
	v_mul_f32_e32 v19, s18, v43
	v_mul_f32_e32 v43, s18, v46
	v_cmp_u_f32_e64 s0, v18, v18
	v_add3_u32 v9, v9, v18, 0x7fff
	v_bfe_u32 v18, v20, 16, 1
	v_bfe_u32 v46, v19, 16, 1
	;; [unrolled: 1-line block ×3, first 2 shown]
	v_or_b32_e32 v48, 0x400000, v43
	v_cndmask_b32_e64 v9, v9, v45, s0
	v_cmp_u_f32_e64 s0, v19, v19
	v_add3_u32 v45, v46, v19, 0x7fff
	v_or_b32_e32 v46, 0x400000, v19
	v_add3_u32 v47, v47, v43, 0x7fff
	v_add3_u32 v18, v18, v20, 0x7fff
	v_add_nc_u32_e32 v55, 2, v49
	v_add_nc_u32_e32 v54, 3, v49
	v_cndmask_b32_e64 v19, v45, v46, s0
	v_cmp_u_f32_e64 s0, v43, v43
	v_lshrrev_b32_e32 v46, 16, v17
	v_add_nc_u32_e32 v53, 4, v49
	v_add_nc_u32_e32 v52, 5, v49
	;; [unrolled: 1-line block ×3, first 2 shown]
	v_cndmask_b32_e64 v43, v47, v48, s0
	v_cmp_u_f32_e64 s0, v20, v20
	v_lshrrev_b32_e32 v48, 16, v9
	v_lshrrev_b32_e32 v47, 16, v19
	;; [unrolled: 1-line block ×3, first 2 shown]
	v_cndmask_b32_e64 v18, v18, v50, s0
	v_add_nc_u32_e32 v50, 7, v49
	v_lshrrev_b32_e32 v45, 16, v18
	s_and_saveexec_b32 s21, vcc_lo
	s_cbranch_execz .LBB351_425
; %bb.424:                              ;   in Loop: Header=BB351_362 Depth=1
	v_cmp_gt_i32_e64 s0, s31, v49
	v_cndmask_b32_e64 v47, 0, v47, s0
	v_cmp_gt_i32_e64 s0, s31, v56
	v_cndmask_b32_e64 v48, 0, v48, s0
	;; [unrolled: 2-line block ×8, first 2 shown]
.LBB351_425:                            ;   in Loop: Header=BB351_362 Depth=1
	s_or_b32 exec_lo, exec_lo, s21
	global_load_dwordx2 v[17:18], v[15:16], off offset:256
	v_mov_b32_e32 v58, 0
	v_mov_b32_e32 v59, 0
	s_waitcnt vmcnt(0)
	v_cmp_ne_u16_sdwa s0, v17, v10 src0_sel:BYTE_0 src1_sel:DWORD
	s_and_saveexec_b32 s21, s0
	s_cbranch_execz .LBB351_431
; %bb.426:                              ;   in Loop: Header=BB351_362 Depth=1
	v_cmp_ne_u16_sdwa s0, v17, v22 src0_sel:BYTE_0 src1_sel:DWORD
	v_bfrev_b32_e32 v59, 1
	s_and_saveexec_b32 s22, s0
	s_cbranch_execz .LBB351_430
; %bb.427:                              ;   in Loop: Header=BB351_362 Depth=1
	v_and_b32_e32 v9, 0x7f, v17
	v_mov_b32_e32 v59, 0x7f800001
	s_mov_b32 s24, exec_lo
	v_cmpx_ne_u32_e32 0x7f, v9
	s_cbranch_execz .LBB351_429
; %bb.428:                              ;   in Loop: Header=BB351_362 Depth=1
	v_and_b32_e32 v19, 7, v17
	v_lshrrev_b32_e32 v20, 3, v9
	v_cmp_gt_u32_e64 s0, 8, v9
	v_ffbh_u32_e32 v19, v19
	v_min_u32_e32 v19, 32, v19
	v_subrev_nc_u32_e32 v57, 28, v19
	v_sub_nc_u32_e32 v19, 29, v19
	v_cndmask_b32_e64 v9, v20, v19, s0
	v_cndmask_b32_e64 v19, 0, v57, s0
	v_lshl_add_u32 v9, v9, 23, 0x3c000000
	v_lshlrev_b64 v[19:20], v19, v[17:18]
	v_lshlrev_b32_e32 v20, 24, v17
	v_lshlrev_b32_e32 v19, 20, v19
	v_and_b32_e32 v20, 0x80000000, v20
	v_and_b32_e32 v19, 0x700000, v19
	v_or3_b32 v59, v19, v20, v9
.LBB351_429:                            ;   in Loop: Header=BB351_362 Depth=1
	s_or_b32 exec_lo, exec_lo, s24
.LBB351_430:                            ;   in Loop: Header=BB351_362 Depth=1
	s_or_b32 exec_lo, exec_lo, s22
.LBB351_431:                            ;   in Loop: Header=BB351_362 Depth=1
	s_or_b32 exec_lo, exec_lo, s21
	v_cmp_ne_u16_sdwa s0, v17, v10 src0_sel:BYTE_1 src1_sel:DWORD
	s_and_saveexec_b32 s21, s0
	s_cbranch_execz .LBB351_439
; %bb.432:                              ;   in Loop: Header=BB351_362 Depth=1
	v_cmp_ne_u16_sdwa s0, v17, v22 src0_sel:BYTE_1 src1_sel:DWORD
	v_bfrev_b32_e32 v58, 1
	s_and_saveexec_b32 s22, s0
	s_cbranch_execz .LBB351_438
; %bb.433:                              ;   in Loop: Header=BB351_362 Depth=1
	v_and_b32_sdwa v9, v35, v17 dst_sel:DWORD dst_unused:UNUSED_PAD src0_sel:DWORD src1_sel:BYTE_1
	v_mov_b32_e32 v58, 0x7f800001
	s_mov_b32 s24, exec_lo
	v_and_b32_e32 v20, 0x7f, v9
	v_cmpx_ne_u32_e32 0x7f, v20
	s_cbranch_execz .LBB351_437
; %bb.434:                              ;   in Loop: Header=BB351_362 Depth=1
	v_and_b32_e32 v9, 7, v9
	v_lshrrev_b32_e32 v19, 3, v20
	s_mov_b32 s25, exec_lo
	v_cmpx_gt_u32_e32 8, v20
; %bb.435:                              ;   in Loop: Header=BB351_362 Depth=1
	v_ffbh_u32_e32 v19, v9
	v_min_u32_e32 v19, 32, v19
	v_subrev_nc_u32_e32 v20, 28, v19
	v_sub_nc_u32_e32 v19, 29, v19
	v_lshlrev_b64 v[57:58], v20, v[9:10]
	v_and_b32_e32 v9, 7, v57
; %bb.436:                              ;   in Loop: Header=BB351_362 Depth=1
	s_or_b32 exec_lo, exec_lo, s25
	v_lshlrev_b32_e32 v20, 16, v17
	v_lshlrev_b32_e32 v9, 20, v9
	v_lshl_add_u32 v19, v19, 23, 0x3c000000
	v_and_b32_e32 v20, 0x80000000, v20
	v_or3_b32 v58, v9, v20, v19
.LBB351_437:                            ;   in Loop: Header=BB351_362 Depth=1
	s_or_b32 exec_lo, exec_lo, s24
.LBB351_438:                            ;   in Loop: Header=BB351_362 Depth=1
	s_or_b32 exec_lo, exec_lo, s22
.LBB351_439:                            ;   in Loop: Header=BB351_362 Depth=1
	s_or_b32 exec_lo, exec_lo, s21
	v_and_b32_sdwa v9, v17, v36 dst_sel:DWORD dst_unused:UNUSED_PAD src0_sel:WORD_1 src1_sel:DWORD
	v_mov_b32_e32 v60, 0
	v_mov_b32_e32 v57, 0
	s_mov_b32 s21, exec_lo
	v_cmpx_ne_u16_e32 0, v9
	s_cbranch_execz .LBB351_447
; %bb.440:                              ;   in Loop: Header=BB351_362 Depth=1
	v_bfrev_b32_e32 v57, 1
	s_mov_b32 s22, exec_lo
	v_cmpx_ne_u16_e32 0x80, v9
	s_cbranch_execz .LBB351_446
; %bb.441:                              ;   in Loop: Header=BB351_362 Depth=1
	v_bfe_u32 v20, v17, 16, 7
	v_mov_b32_e32 v57, 0x7f800001
	s_mov_b32 s24, exec_lo
	v_cmpx_ne_u32_e32 0x7f, v20
	s_cbranch_execz .LBB351_445
; %bb.442:                              ;   in Loop: Header=BB351_362 Depth=1
	v_and_b32_sdwa v9, v17, v37 dst_sel:DWORD dst_unused:UNUSED_PAD src0_sel:WORD_1 src1_sel:DWORD
	v_lshrrev_b32_e32 v19, 3, v20
	s_mov_b32 s25, exec_lo
	v_cmpx_gt_u32_e32 8, v20
; %bb.443:                              ;   in Loop: Header=BB351_362 Depth=1
	v_ffbh_u32_e32 v19, v9
	v_min_u32_e32 v19, 32, v19
	v_subrev_nc_u32_e32 v20, 28, v19
	v_sub_nc_u32_e32 v19, 29, v19
	v_lshlrev_b64 v[61:62], v20, v[9:10]
	v_and_b32_e32 v9, 7, v61
; %bb.444:                              ;   in Loop: Header=BB351_362 Depth=1
	s_or_b32 exec_lo, exec_lo, s25
	v_lshlrev_b32_sdwa v20, v38, v17 dst_sel:DWORD dst_unused:UNUSED_PAD src0_sel:DWORD src1_sel:WORD_1
	v_lshlrev_b32_e32 v9, 20, v9
	v_lshl_add_u32 v19, v19, 23, 0x3c000000
	v_and_b32_e32 v20, 0x80000000, v20
	v_or3_b32 v57, v9, v20, v19
.LBB351_445:                            ;   in Loop: Header=BB351_362 Depth=1
	s_or_b32 exec_lo, exec_lo, s24
.LBB351_446:                            ;   in Loop: Header=BB351_362 Depth=1
	s_or_b32 exec_lo, exec_lo, s22
.LBB351_447:                            ;   in Loop: Header=BB351_362 Depth=1
	s_or_b32 exec_lo, exec_lo, s21
	s_mov_b32 s21, exec_lo
	v_cmpx_lt_u32_e32 0xffffff, v17
	s_cbranch_execz .LBB351_455
; %bb.448:                              ;   in Loop: Header=BB351_362 Depth=1
	v_cmp_ne_u32_sdwa s0, v17, v22 src0_sel:BYTE_3 src1_sel:DWORD
	v_bfrev_b32_e32 v60, 1
	s_and_saveexec_b32 s22, s0
	s_cbranch_execz .LBB351_454
; %bb.449:                              ;   in Loop: Header=BB351_362 Depth=1
	v_bfe_u32 v20, v17, 24, 7
	v_mov_b32_e32 v60, 0x7f800001
	s_mov_b32 s24, exec_lo
	v_cmpx_ne_u32_e32 0x7f, v20
	s_cbranch_execz .LBB351_453
; %bb.450:                              ;   in Loop: Header=BB351_362 Depth=1
	v_and_b32_sdwa v9, v17, v37 dst_sel:DWORD dst_unused:UNUSED_PAD src0_sel:BYTE_3 src1_sel:DWORD
	v_lshrrev_b32_e32 v19, 3, v20
	s_mov_b32 s25, exec_lo
	v_cmpx_gt_u32_e32 8, v20
; %bb.451:                              ;   in Loop: Header=BB351_362 Depth=1
	v_ffbh_u32_e32 v19, v9
	v_min_u32_e32 v19, 32, v19
	v_subrev_nc_u32_e32 v20, 28, v19
	v_sub_nc_u32_e32 v19, 29, v19
	v_lshlrev_b64 v[60:61], v20, v[9:10]
	v_and_b32_e32 v9, 7, v60
; %bb.452:                              ;   in Loop: Header=BB351_362 Depth=1
	s_or_b32 exec_lo, exec_lo, s25
	v_lshlrev_b32_sdwa v20, v38, v17 dst_sel:DWORD dst_unused:UNUSED_PAD src0_sel:DWORD src1_sel:BYTE_3
	v_lshlrev_b32_e32 v9, 20, v9
	v_lshl_add_u32 v19, v19, 23, 0x3c000000
	v_and_b32_e32 v20, 0x80000000, v20
	v_or3_b32 v60, v9, v20, v19
.LBB351_453:                            ;   in Loop: Header=BB351_362 Depth=1
	s_or_b32 exec_lo, exec_lo, s24
.LBB351_454:                            ;   in Loop: Header=BB351_362 Depth=1
	s_or_b32 exec_lo, exec_lo, s22
.LBB351_455:                            ;   in Loop: Header=BB351_362 Depth=1
	s_or_b32 exec_lo, exec_lo, s21
	v_mov_b32_e32 v9, v18
	v_cmp_ne_u16_sdwa s0, v18, v10 src0_sel:BYTE_0 src1_sel:DWORD
	v_mov_b32_e32 v19, 0
	v_mov_b32_e32 v61, 0
	s_and_saveexec_b32 s21, s0
	s_cbranch_execz .LBB351_461
; %bb.456:                              ;   in Loop: Header=BB351_362 Depth=1
	v_cmp_ne_u16_sdwa s0, v18, v22 src0_sel:BYTE_0 src1_sel:DWORD
	v_bfrev_b32_e32 v61, 1
	s_and_saveexec_b32 s22, s0
	s_cbranch_execz .LBB351_460
; %bb.457:                              ;   in Loop: Header=BB351_362 Depth=1
	v_and_b32_e32 v20, 0x7f, v18
	v_mov_b32_e32 v61, 0x7f800001
	s_mov_b32 s24, exec_lo
	v_cmpx_ne_u32_e32 0x7f, v20
	s_cbranch_execz .LBB351_459
; %bb.458:                              ;   in Loop: Header=BB351_362 Depth=1
	v_and_b32_e32 v61, 7, v18
	v_lshrrev_b32_e32 v62, 3, v20
	v_cmp_gt_u32_e64 s0, 8, v20
	v_ffbh_u32_e32 v61, v61
	v_min_u32_e32 v61, 32, v61
	v_subrev_nc_u32_e32 v63, 28, v61
	v_sub_nc_u32_e32 v61, 29, v61
	v_cndmask_b32_e64 v20, v62, v61, s0
	v_cndmask_b32_e64 v61, 0, v63, s0
	v_lshl_add_u32 v20, v20, 23, 0x3c000000
	v_lshlrev_b64 v[61:62], v61, v[9:10]
	v_lshlrev_b32_e32 v62, 24, v9
	v_lshlrev_b32_e32 v61, 20, v61
	v_and_b32_e32 v62, 0x80000000, v62
	v_and_b32_e32 v61, 0x700000, v61
	v_or3_b32 v61, v61, v62, v20
.LBB351_459:                            ;   in Loop: Header=BB351_362 Depth=1
	s_or_b32 exec_lo, exec_lo, s24
.LBB351_460:                            ;   in Loop: Header=BB351_362 Depth=1
	s_or_b32 exec_lo, exec_lo, s22
.LBB351_461:                            ;   in Loop: Header=BB351_362 Depth=1
	s_or_b32 exec_lo, exec_lo, s21
	v_cmp_ne_u16_sdwa s0, v9, v10 src0_sel:BYTE_1 src1_sel:DWORD
	s_and_saveexec_b32 s21, s0
	s_cbranch_execz .LBB351_469
; %bb.462:                              ;   in Loop: Header=BB351_362 Depth=1
	v_cmp_ne_u16_sdwa s0, v9, v22 src0_sel:BYTE_1 src1_sel:DWORD
	v_bfrev_b32_e32 v19, 1
	s_and_saveexec_b32 s22, s0
	s_cbranch_execz .LBB351_468
; %bb.463:                              ;   in Loop: Header=BB351_362 Depth=1
	v_and_b32_sdwa v20, v35, v9 dst_sel:DWORD dst_unused:UNUSED_PAD src0_sel:DWORD src1_sel:BYTE_1
	v_mov_b32_e32 v19, 0x7f800001
	s_mov_b32 s24, exec_lo
	v_and_b32_e32 v63, 0x7f, v20
	v_cmpx_ne_u32_e32 0x7f, v63
	s_cbranch_execz .LBB351_467
; %bb.464:                              ;   in Loop: Header=BB351_362 Depth=1
	v_and_b32_e32 v19, 7, v20
	v_mov_b32_e32 v20, v10
	v_lshrrev_b32_e32 v62, 3, v63
	s_mov_b32 s25, exec_lo
	v_cmpx_gt_u32_e32 8, v63
; %bb.465:                              ;   in Loop: Header=BB351_362 Depth=1
	v_ffbh_u32_e32 v62, v19
	v_min_u32_e32 v62, 32, v62
	v_subrev_nc_u32_e32 v63, 28, v62
	v_sub_nc_u32_e32 v62, 29, v62
	v_lshlrev_b64 v[19:20], v63, v[19:20]
	v_and_b32_e32 v19, 7, v19
; %bb.466:                              ;   in Loop: Header=BB351_362 Depth=1
	s_or_b32 exec_lo, exec_lo, s25
	v_lshlrev_b32_e32 v9, 16, v9
	v_lshlrev_b32_e32 v19, 20, v19
	v_lshl_add_u32 v20, v62, 23, 0x3c000000
	v_and_b32_e32 v9, 0x80000000, v9
	v_or3_b32 v19, v19, v9, v20
.LBB351_467:                            ;   in Loop: Header=BB351_362 Depth=1
	s_or_b32 exec_lo, exec_lo, s24
.LBB351_468:                            ;   in Loop: Header=BB351_362 Depth=1
	s_or_b32 exec_lo, exec_lo, s22
.LBB351_469:                            ;   in Loop: Header=BB351_362 Depth=1
	s_or_b32 exec_lo, exec_lo, s21
	v_and_b32_sdwa v9, v18, v36 dst_sel:DWORD dst_unused:UNUSED_PAD src0_sel:WORD_1 src1_sel:DWORD
	v_mov_b32_e32 v20, 0
	v_mov_b32_e32 v62, 0
	s_mov_b32 s21, exec_lo
	v_cmpx_ne_u16_e32 0, v9
	s_cbranch_execz .LBB351_477
; %bb.470:                              ;   in Loop: Header=BB351_362 Depth=1
	v_bfrev_b32_e32 v62, 1
	s_mov_b32 s22, exec_lo
	v_cmpx_ne_u16_e32 0x80, v9
	s_cbranch_execz .LBB351_476
; %bb.471:                              ;   in Loop: Header=BB351_362 Depth=1
	v_bfe_u32 v63, v18, 16, 7
	v_mov_b32_e32 v62, 0x7f800001
	s_mov_b32 s24, exec_lo
	v_cmpx_ne_u32_e32 0x7f, v63
	s_cbranch_execz .LBB351_475
; %bb.472:                              ;   in Loop: Header=BB351_362 Depth=1
	v_and_b32_sdwa v9, v18, v37 dst_sel:DWORD dst_unused:UNUSED_PAD src0_sel:WORD_1 src1_sel:DWORD
	v_lshrrev_b32_e32 v62, 3, v63
	s_mov_b32 s25, exec_lo
	v_cmpx_gt_u32_e32 8, v63
; %bb.473:                              ;   in Loop: Header=BB351_362 Depth=1
	v_ffbh_u32_e32 v62, v9
	v_min_u32_e32 v62, 32, v62
	v_subrev_nc_u32_e32 v63, 28, v62
	v_sub_nc_u32_e32 v62, 29, v62
	v_lshlrev_b64 v[63:64], v63, v[9:10]
	v_and_b32_e32 v9, 7, v63
; %bb.474:                              ;   in Loop: Header=BB351_362 Depth=1
	s_or_b32 exec_lo, exec_lo, s25
	v_lshlrev_b32_sdwa v63, v38, v18 dst_sel:DWORD dst_unused:UNUSED_PAD src0_sel:DWORD src1_sel:WORD_1
	v_lshlrev_b32_e32 v9, 20, v9
	v_lshl_add_u32 v62, v62, 23, 0x3c000000
	v_and_b32_e32 v63, 0x80000000, v63
	v_or3_b32 v62, v9, v63, v62
.LBB351_475:                            ;   in Loop: Header=BB351_362 Depth=1
	s_or_b32 exec_lo, exec_lo, s24
.LBB351_476:                            ;   in Loop: Header=BB351_362 Depth=1
	s_or_b32 exec_lo, exec_lo, s22
.LBB351_477:                            ;   in Loop: Header=BB351_362 Depth=1
	s_or_b32 exec_lo, exec_lo, s21
	s_mov_b32 s21, exec_lo
	v_cmpx_lt_u64_e64 s[4:5], v[17:18]
	s_cbranch_execz .LBB351_485
; %bb.478:                              ;   in Loop: Header=BB351_362 Depth=1
	v_cmp_ne_u32_sdwa s0, v18, v22 src0_sel:BYTE_3 src1_sel:DWORD
	v_bfrev_b32_e32 v20, 1
	s_and_saveexec_b32 s22, s0
	s_cbranch_execz .LBB351_484
; %bb.479:                              ;   in Loop: Header=BB351_362 Depth=1
	v_bfe_u32 v63, v18, 24, 7
	v_mov_b32_e32 v20, 0x7f800001
	s_mov_b32 s24, exec_lo
	v_cmpx_ne_u32_e32 0x7f, v63
	s_cbranch_execz .LBB351_483
; %bb.480:                              ;   in Loop: Header=BB351_362 Depth=1
	v_and_b32_sdwa v9, v18, v37 dst_sel:DWORD dst_unused:UNUSED_PAD src0_sel:BYTE_3 src1_sel:DWORD
	v_lshrrev_b32_e32 v17, 3, v63
	s_mov_b32 s25, exec_lo
	v_cmpx_gt_u32_e32 8, v63
; %bb.481:                              ;   in Loop: Header=BB351_362 Depth=1
	v_ffbh_u32_e32 v17, v9
	v_min_u32_e32 v17, 32, v17
	v_subrev_nc_u32_e32 v20, 28, v17
	v_sub_nc_u32_e32 v17, 29, v17
	v_lshlrev_b64 v[63:64], v20, v[9:10]
	v_and_b32_e32 v9, 7, v63
; %bb.482:                              ;   in Loop: Header=BB351_362 Depth=1
	s_or_b32 exec_lo, exec_lo, s25
	v_lshlrev_b32_sdwa v18, v38, v18 dst_sel:DWORD dst_unused:UNUSED_PAD src0_sel:DWORD src1_sel:BYTE_3
	v_lshlrev_b32_e32 v9, 20, v9
	v_lshl_add_u32 v17, v17, 23, 0x3c000000
	v_and_b32_e32 v18, 0x80000000, v18
	v_or3_b32 v20, v9, v18, v17
.LBB351_483:                            ;   in Loop: Header=BB351_362 Depth=1
	s_or_b32 exec_lo, exec_lo, s24
.LBB351_484:                            ;   in Loop: Header=BB351_362 Depth=1
	s_or_b32 exec_lo, exec_lo, s22
.LBB351_485:                            ;   in Loop: Header=BB351_362 Depth=1
	s_or_b32 exec_lo, exec_lo, s21
	v_mul_f32_e32 v9, s18, v19
	v_mul_f32_e32 v17, s18, v61
	;; [unrolled: 1-line block ×5, first 2 shown]
	v_bfe_u32 v57, v9, 16, 1
	v_or_b32_e32 v60, 0x400000, v9
	v_bfe_u32 v61, v17, 16, 1
	v_cmp_u_f32_e64 s0, v9, v9
	v_or_b32_e32 v63, 0x400000, v17
	v_add3_u32 v57, v57, v9, 0x7fff
	v_bfe_u32 v64, v18, 16, 1
	v_add3_u32 v61, v61, v17, 0x7fff
	v_or_b32_e32 v65, 0x400000, v18
	v_bfe_u32 v66, v19, 16, 1
	v_cndmask_b32_e64 v9, v57, v60, s0
	v_cmp_u_f32_e64 s0, v17, v17
	v_add3_u32 v64, v64, v18, 0x7fff
	v_lshrrev_b32_e32 v57, 16, v9
	v_cndmask_b32_e64 v17, v61, v63, s0
	v_cmp_u_f32_e64 s0, v18, v18
	v_mul_f32_e32 v9, s18, v58
	v_add3_u32 v61, v66, v19, 0x7fff
	v_or_b32_e32 v63, 0x400000, v19
	v_lshrrev_b32_e32 v58, 16, v17
	v_cndmask_b32_e64 v18, v64, v65, s0
	v_bfe_u32 v17, v9, 16, 1
	v_cmp_u_f32_e64 s0, v19, v19
	v_mul_f32_e32 v19, s18, v59
	v_mul_f32_e32 v59, s18, v62
	v_lshrrev_b32_e32 v60, 16, v18
	v_add3_u32 v17, v17, v9, 0x7fff
	v_cndmask_b32_e64 v18, v61, v63, s0
	v_or_b32_e32 v61, 0x400000, v9
	v_bfe_u32 v62, v19, 16, 1
	v_cmp_u_f32_e64 s0, v9, v9
	v_bfe_u32 v63, v59, 16, 1
	v_or_b32_e32 v64, 0x400000, v59
	v_or_b32_e32 v65, 0x400000, v20
	v_cndmask_b32_e64 v9, v17, v61, s0
	v_add3_u32 v61, v62, v19, 0x7fff
	v_or_b32_e32 v62, 0x400000, v19
	v_cmp_u_f32_e64 s0, v19, v19
	v_bfe_u32 v17, v20, 16, 1
	v_add3_u32 v63, v63, v59, 0x7fff
	v_cndmask_b32_e64 v19, v61, v62, s0
	v_cmp_u_f32_e64 s0, v59, v59
	v_add3_u32 v17, v17, v20, 0x7fff
	v_lshrrev_b32_e32 v62, 16, v18
	v_cndmask_b32_e64 v59, v63, v64, s0
	v_cmp_u_f32_e64 s0, v20, v20
	v_lshrrev_b32_e32 v64, 16, v9
	v_lshrrev_b32_e32 v63, 16, v19
	;; [unrolled: 1-line block ×3, first 2 shown]
	v_cndmask_b32_e64 v17, v17, v65, s0
	v_lshrrev_b32_e32 v61, 16, v17
	s_and_saveexec_b32 s21, vcc_lo
	s_cbranch_execz .LBB351_487
; %bb.486:                              ;   in Loop: Header=BB351_362 Depth=1
	v_cmp_gt_i32_e64 s0, s31, v49
	v_cndmask_b32_e64 v63, 0, v63, s0
	v_cmp_gt_i32_e64 s0, s31, v56
	v_cndmask_b32_e64 v64, 0, v64, s0
	;; [unrolled: 2-line block ×8, first 2 shown]
.LBB351_487:                            ;   in Loop: Header=BB351_362 Depth=1
	s_or_b32 exec_lo, exec_lo, s21
	global_load_dwordx2 v[17:18], v[15:16], off offset:512
	v_mov_b32_e32 v66, 0
	v_mov_b32_e32 v67, 0
	s_waitcnt vmcnt(0)
	v_cmp_ne_u16_sdwa s0, v17, v10 src0_sel:BYTE_0 src1_sel:DWORD
	s_and_saveexec_b32 s21, s0
	s_cbranch_execz .LBB351_493
; %bb.488:                              ;   in Loop: Header=BB351_362 Depth=1
	v_cmp_ne_u16_sdwa s0, v17, v22 src0_sel:BYTE_0 src1_sel:DWORD
	v_bfrev_b32_e32 v67, 1
	s_and_saveexec_b32 s22, s0
	s_cbranch_execz .LBB351_492
; %bb.489:                              ;   in Loop: Header=BB351_362 Depth=1
	v_and_b32_e32 v9, 0x7f, v17
	v_mov_b32_e32 v67, 0x7f800001
	s_mov_b32 s24, exec_lo
	v_cmpx_ne_u32_e32 0x7f, v9
	s_cbranch_execz .LBB351_491
; %bb.490:                              ;   in Loop: Header=BB351_362 Depth=1
	v_and_b32_e32 v19, 7, v17
	v_lshrrev_b32_e32 v20, 3, v9
	v_cmp_gt_u32_e64 s0, 8, v9
	v_ffbh_u32_e32 v19, v19
	v_min_u32_e32 v19, 32, v19
	v_subrev_nc_u32_e32 v65, 28, v19
	v_sub_nc_u32_e32 v19, 29, v19
	v_cndmask_b32_e64 v9, v20, v19, s0
	v_cndmask_b32_e64 v19, 0, v65, s0
	v_lshl_add_u32 v9, v9, 23, 0x3c000000
	v_lshlrev_b64 v[19:20], v19, v[17:18]
	v_lshlrev_b32_e32 v20, 24, v17
	v_lshlrev_b32_e32 v19, 20, v19
	v_and_b32_e32 v20, 0x80000000, v20
	v_and_b32_e32 v19, 0x700000, v19
	v_or3_b32 v67, v19, v20, v9
.LBB351_491:                            ;   in Loop: Header=BB351_362 Depth=1
	s_or_b32 exec_lo, exec_lo, s24
.LBB351_492:                            ;   in Loop: Header=BB351_362 Depth=1
	s_or_b32 exec_lo, exec_lo, s22
.LBB351_493:                            ;   in Loop: Header=BB351_362 Depth=1
	s_or_b32 exec_lo, exec_lo, s21
	v_cmp_ne_u16_sdwa s0, v17, v10 src0_sel:BYTE_1 src1_sel:DWORD
	s_and_saveexec_b32 s21, s0
	s_cbranch_execz .LBB351_501
; %bb.494:                              ;   in Loop: Header=BB351_362 Depth=1
	v_cmp_ne_u16_sdwa s0, v17, v22 src0_sel:BYTE_1 src1_sel:DWORD
	v_bfrev_b32_e32 v66, 1
	s_and_saveexec_b32 s22, s0
	s_cbranch_execz .LBB351_500
; %bb.495:                              ;   in Loop: Header=BB351_362 Depth=1
	v_and_b32_sdwa v9, v35, v17 dst_sel:DWORD dst_unused:UNUSED_PAD src0_sel:DWORD src1_sel:BYTE_1
	v_mov_b32_e32 v66, 0x7f800001
	s_mov_b32 s24, exec_lo
	v_and_b32_e32 v20, 0x7f, v9
	v_cmpx_ne_u32_e32 0x7f, v20
	s_cbranch_execz .LBB351_499
; %bb.496:                              ;   in Loop: Header=BB351_362 Depth=1
	v_and_b32_e32 v9, 7, v9
	v_lshrrev_b32_e32 v19, 3, v20
	s_mov_b32 s25, exec_lo
	v_cmpx_gt_u32_e32 8, v20
; %bb.497:                              ;   in Loop: Header=BB351_362 Depth=1
	v_ffbh_u32_e32 v19, v9
	v_min_u32_e32 v19, 32, v19
	v_subrev_nc_u32_e32 v20, 28, v19
	v_sub_nc_u32_e32 v19, 29, v19
	v_lshlrev_b64 v[65:66], v20, v[9:10]
	v_and_b32_e32 v9, 7, v65
; %bb.498:                              ;   in Loop: Header=BB351_362 Depth=1
	s_or_b32 exec_lo, exec_lo, s25
	v_lshlrev_b32_e32 v20, 16, v17
	v_lshlrev_b32_e32 v9, 20, v9
	v_lshl_add_u32 v19, v19, 23, 0x3c000000
	v_and_b32_e32 v20, 0x80000000, v20
	v_or3_b32 v66, v9, v20, v19
.LBB351_499:                            ;   in Loop: Header=BB351_362 Depth=1
	s_or_b32 exec_lo, exec_lo, s24
.LBB351_500:                            ;   in Loop: Header=BB351_362 Depth=1
	s_or_b32 exec_lo, exec_lo, s22
.LBB351_501:                            ;   in Loop: Header=BB351_362 Depth=1
	s_or_b32 exec_lo, exec_lo, s21
	v_and_b32_sdwa v9, v17, v36 dst_sel:DWORD dst_unused:UNUSED_PAD src0_sel:WORD_1 src1_sel:DWORD
	v_mov_b32_e32 v68, 0
	v_mov_b32_e32 v65, 0
	s_mov_b32 s21, exec_lo
	v_cmpx_ne_u16_e32 0, v9
	s_cbranch_execz .LBB351_509
; %bb.502:                              ;   in Loop: Header=BB351_362 Depth=1
	v_bfrev_b32_e32 v65, 1
	s_mov_b32 s22, exec_lo
	v_cmpx_ne_u16_e32 0x80, v9
	s_cbranch_execz .LBB351_508
; %bb.503:                              ;   in Loop: Header=BB351_362 Depth=1
	v_bfe_u32 v20, v17, 16, 7
	v_mov_b32_e32 v65, 0x7f800001
	s_mov_b32 s24, exec_lo
	v_cmpx_ne_u32_e32 0x7f, v20
	s_cbranch_execz .LBB351_507
; %bb.504:                              ;   in Loop: Header=BB351_362 Depth=1
	v_and_b32_sdwa v9, v17, v37 dst_sel:DWORD dst_unused:UNUSED_PAD src0_sel:WORD_1 src1_sel:DWORD
	v_lshrrev_b32_e32 v19, 3, v20
	s_mov_b32 s25, exec_lo
	v_cmpx_gt_u32_e32 8, v20
; %bb.505:                              ;   in Loop: Header=BB351_362 Depth=1
	v_ffbh_u32_e32 v19, v9
	v_min_u32_e32 v19, 32, v19
	v_subrev_nc_u32_e32 v20, 28, v19
	v_sub_nc_u32_e32 v19, 29, v19
	v_lshlrev_b64 v[69:70], v20, v[9:10]
	v_and_b32_e32 v9, 7, v69
; %bb.506:                              ;   in Loop: Header=BB351_362 Depth=1
	s_or_b32 exec_lo, exec_lo, s25
	v_lshlrev_b32_sdwa v20, v38, v17 dst_sel:DWORD dst_unused:UNUSED_PAD src0_sel:DWORD src1_sel:WORD_1
	v_lshlrev_b32_e32 v9, 20, v9
	v_lshl_add_u32 v19, v19, 23, 0x3c000000
	v_and_b32_e32 v20, 0x80000000, v20
	v_or3_b32 v65, v9, v20, v19
.LBB351_507:                            ;   in Loop: Header=BB351_362 Depth=1
	s_or_b32 exec_lo, exec_lo, s24
.LBB351_508:                            ;   in Loop: Header=BB351_362 Depth=1
	s_or_b32 exec_lo, exec_lo, s22
.LBB351_509:                            ;   in Loop: Header=BB351_362 Depth=1
	s_or_b32 exec_lo, exec_lo, s21
	s_mov_b32 s21, exec_lo
	v_cmpx_lt_u32_e32 0xffffff, v17
	s_cbranch_execz .LBB351_517
; %bb.510:                              ;   in Loop: Header=BB351_362 Depth=1
	v_cmp_ne_u32_sdwa s0, v17, v22 src0_sel:BYTE_3 src1_sel:DWORD
	v_bfrev_b32_e32 v68, 1
	s_and_saveexec_b32 s22, s0
	s_cbranch_execz .LBB351_516
; %bb.511:                              ;   in Loop: Header=BB351_362 Depth=1
	v_bfe_u32 v20, v17, 24, 7
	v_mov_b32_e32 v68, 0x7f800001
	s_mov_b32 s24, exec_lo
	v_cmpx_ne_u32_e32 0x7f, v20
	s_cbranch_execz .LBB351_515
; %bb.512:                              ;   in Loop: Header=BB351_362 Depth=1
	v_and_b32_sdwa v9, v17, v37 dst_sel:DWORD dst_unused:UNUSED_PAD src0_sel:BYTE_3 src1_sel:DWORD
	v_lshrrev_b32_e32 v19, 3, v20
	s_mov_b32 s25, exec_lo
	v_cmpx_gt_u32_e32 8, v20
; %bb.513:                              ;   in Loop: Header=BB351_362 Depth=1
	v_ffbh_u32_e32 v19, v9
	v_min_u32_e32 v19, 32, v19
	v_subrev_nc_u32_e32 v20, 28, v19
	v_sub_nc_u32_e32 v19, 29, v19
	v_lshlrev_b64 v[68:69], v20, v[9:10]
	v_and_b32_e32 v9, 7, v68
; %bb.514:                              ;   in Loop: Header=BB351_362 Depth=1
	s_or_b32 exec_lo, exec_lo, s25
	v_lshlrev_b32_sdwa v20, v38, v17 dst_sel:DWORD dst_unused:UNUSED_PAD src0_sel:DWORD src1_sel:BYTE_3
	v_lshlrev_b32_e32 v9, 20, v9
	v_lshl_add_u32 v19, v19, 23, 0x3c000000
	v_and_b32_e32 v20, 0x80000000, v20
	v_or3_b32 v68, v9, v20, v19
.LBB351_515:                            ;   in Loop: Header=BB351_362 Depth=1
	s_or_b32 exec_lo, exec_lo, s24
.LBB351_516:                            ;   in Loop: Header=BB351_362 Depth=1
	s_or_b32 exec_lo, exec_lo, s22
.LBB351_517:                            ;   in Loop: Header=BB351_362 Depth=1
	s_or_b32 exec_lo, exec_lo, s21
	v_mov_b32_e32 v9, v18
	v_cmp_ne_u16_sdwa s0, v18, v10 src0_sel:BYTE_0 src1_sel:DWORD
	v_mov_b32_e32 v19, 0
	v_mov_b32_e32 v69, 0
	s_and_saveexec_b32 s21, s0
	s_cbranch_execz .LBB351_523
; %bb.518:                              ;   in Loop: Header=BB351_362 Depth=1
	v_cmp_ne_u16_sdwa s0, v18, v22 src0_sel:BYTE_0 src1_sel:DWORD
	v_bfrev_b32_e32 v69, 1
	s_and_saveexec_b32 s22, s0
	s_cbranch_execz .LBB351_522
; %bb.519:                              ;   in Loop: Header=BB351_362 Depth=1
	v_and_b32_e32 v20, 0x7f, v18
	v_mov_b32_e32 v69, 0x7f800001
	s_mov_b32 s24, exec_lo
	v_cmpx_ne_u32_e32 0x7f, v20
	s_cbranch_execz .LBB351_521
; %bb.520:                              ;   in Loop: Header=BB351_362 Depth=1
	v_and_b32_e32 v69, 7, v18
	v_lshrrev_b32_e32 v70, 3, v20
	v_cmp_gt_u32_e64 s0, 8, v20
	v_ffbh_u32_e32 v69, v69
	v_min_u32_e32 v69, 32, v69
	v_subrev_nc_u32_e32 v71, 28, v69
	v_sub_nc_u32_e32 v69, 29, v69
	v_cndmask_b32_e64 v20, v70, v69, s0
	v_cndmask_b32_e64 v69, 0, v71, s0
	v_lshl_add_u32 v20, v20, 23, 0x3c000000
	v_lshlrev_b64 v[69:70], v69, v[9:10]
	v_lshlrev_b32_e32 v70, 24, v9
	v_lshlrev_b32_e32 v69, 20, v69
	v_and_b32_e32 v70, 0x80000000, v70
	v_and_b32_e32 v69, 0x700000, v69
	v_or3_b32 v69, v69, v70, v20
.LBB351_521:                            ;   in Loop: Header=BB351_362 Depth=1
	s_or_b32 exec_lo, exec_lo, s24
.LBB351_522:                            ;   in Loop: Header=BB351_362 Depth=1
	s_or_b32 exec_lo, exec_lo, s22
.LBB351_523:                            ;   in Loop: Header=BB351_362 Depth=1
	s_or_b32 exec_lo, exec_lo, s21
	v_cmp_ne_u16_sdwa s0, v9, v10 src0_sel:BYTE_1 src1_sel:DWORD
	s_and_saveexec_b32 s21, s0
	s_cbranch_execz .LBB351_531
; %bb.524:                              ;   in Loop: Header=BB351_362 Depth=1
	v_cmp_ne_u16_sdwa s0, v9, v22 src0_sel:BYTE_1 src1_sel:DWORD
	v_bfrev_b32_e32 v19, 1
	s_and_saveexec_b32 s22, s0
	s_cbranch_execz .LBB351_530
; %bb.525:                              ;   in Loop: Header=BB351_362 Depth=1
	v_and_b32_sdwa v20, v35, v9 dst_sel:DWORD dst_unused:UNUSED_PAD src0_sel:DWORD src1_sel:BYTE_1
	v_mov_b32_e32 v19, 0x7f800001
	s_mov_b32 s24, exec_lo
	v_and_b32_e32 v71, 0x7f, v20
	v_cmpx_ne_u32_e32 0x7f, v71
	s_cbranch_execz .LBB351_529
; %bb.526:                              ;   in Loop: Header=BB351_362 Depth=1
	v_and_b32_e32 v19, 7, v20
	v_mov_b32_e32 v20, v10
	v_lshrrev_b32_e32 v70, 3, v71
	s_mov_b32 s25, exec_lo
	v_cmpx_gt_u32_e32 8, v71
; %bb.527:                              ;   in Loop: Header=BB351_362 Depth=1
	v_ffbh_u32_e32 v70, v19
	v_min_u32_e32 v70, 32, v70
	v_subrev_nc_u32_e32 v71, 28, v70
	v_sub_nc_u32_e32 v70, 29, v70
	v_lshlrev_b64 v[19:20], v71, v[19:20]
	v_and_b32_e32 v19, 7, v19
; %bb.528:                              ;   in Loop: Header=BB351_362 Depth=1
	s_or_b32 exec_lo, exec_lo, s25
	v_lshlrev_b32_e32 v9, 16, v9
	v_lshlrev_b32_e32 v19, 20, v19
	v_lshl_add_u32 v20, v70, 23, 0x3c000000
	v_and_b32_e32 v9, 0x80000000, v9
	v_or3_b32 v19, v19, v9, v20
.LBB351_529:                            ;   in Loop: Header=BB351_362 Depth=1
	s_or_b32 exec_lo, exec_lo, s24
.LBB351_530:                            ;   in Loop: Header=BB351_362 Depth=1
	s_or_b32 exec_lo, exec_lo, s22
.LBB351_531:                            ;   in Loop: Header=BB351_362 Depth=1
	s_or_b32 exec_lo, exec_lo, s21
	v_and_b32_sdwa v9, v18, v36 dst_sel:DWORD dst_unused:UNUSED_PAD src0_sel:WORD_1 src1_sel:DWORD
	v_mov_b32_e32 v20, 0
	v_mov_b32_e32 v70, 0
	s_mov_b32 s21, exec_lo
	v_cmpx_ne_u16_e32 0, v9
	s_cbranch_execz .LBB351_539
; %bb.532:                              ;   in Loop: Header=BB351_362 Depth=1
	v_bfrev_b32_e32 v70, 1
	s_mov_b32 s22, exec_lo
	v_cmpx_ne_u16_e32 0x80, v9
	s_cbranch_execz .LBB351_538
; %bb.533:                              ;   in Loop: Header=BB351_362 Depth=1
	v_bfe_u32 v71, v18, 16, 7
	v_mov_b32_e32 v70, 0x7f800001
	s_mov_b32 s24, exec_lo
	v_cmpx_ne_u32_e32 0x7f, v71
	s_cbranch_execz .LBB351_537
; %bb.534:                              ;   in Loop: Header=BB351_362 Depth=1
	v_and_b32_sdwa v9, v18, v37 dst_sel:DWORD dst_unused:UNUSED_PAD src0_sel:WORD_1 src1_sel:DWORD
	v_lshrrev_b32_e32 v70, 3, v71
	s_mov_b32 s25, exec_lo
	v_cmpx_gt_u32_e32 8, v71
; %bb.535:                              ;   in Loop: Header=BB351_362 Depth=1
	v_ffbh_u32_e32 v70, v9
	v_min_u32_e32 v70, 32, v70
	v_subrev_nc_u32_e32 v71, 28, v70
	v_sub_nc_u32_e32 v70, 29, v70
	v_lshlrev_b64 v[71:72], v71, v[9:10]
	v_and_b32_e32 v9, 7, v71
; %bb.536:                              ;   in Loop: Header=BB351_362 Depth=1
	s_or_b32 exec_lo, exec_lo, s25
	v_lshlrev_b32_sdwa v71, v38, v18 dst_sel:DWORD dst_unused:UNUSED_PAD src0_sel:DWORD src1_sel:WORD_1
	v_lshlrev_b32_e32 v9, 20, v9
	v_lshl_add_u32 v70, v70, 23, 0x3c000000
	v_and_b32_e32 v71, 0x80000000, v71
	v_or3_b32 v70, v9, v71, v70
.LBB351_537:                            ;   in Loop: Header=BB351_362 Depth=1
	s_or_b32 exec_lo, exec_lo, s24
.LBB351_538:                            ;   in Loop: Header=BB351_362 Depth=1
	s_or_b32 exec_lo, exec_lo, s22
.LBB351_539:                            ;   in Loop: Header=BB351_362 Depth=1
	s_or_b32 exec_lo, exec_lo, s21
	s_mov_b32 s21, exec_lo
	v_cmpx_lt_u64_e64 s[4:5], v[17:18]
	s_cbranch_execz .LBB351_547
; %bb.540:                              ;   in Loop: Header=BB351_362 Depth=1
	v_cmp_ne_u32_sdwa s0, v18, v22 src0_sel:BYTE_3 src1_sel:DWORD
	v_bfrev_b32_e32 v20, 1
	s_and_saveexec_b32 s22, s0
	s_cbranch_execz .LBB351_546
; %bb.541:                              ;   in Loop: Header=BB351_362 Depth=1
	v_bfe_u32 v71, v18, 24, 7
	v_mov_b32_e32 v20, 0x7f800001
	s_mov_b32 s24, exec_lo
	v_cmpx_ne_u32_e32 0x7f, v71
	s_cbranch_execz .LBB351_545
; %bb.542:                              ;   in Loop: Header=BB351_362 Depth=1
	v_and_b32_sdwa v9, v18, v37 dst_sel:DWORD dst_unused:UNUSED_PAD src0_sel:BYTE_3 src1_sel:DWORD
	v_lshrrev_b32_e32 v17, 3, v71
	s_mov_b32 s25, exec_lo
	v_cmpx_gt_u32_e32 8, v71
; %bb.543:                              ;   in Loop: Header=BB351_362 Depth=1
	v_ffbh_u32_e32 v17, v9
	v_min_u32_e32 v17, 32, v17
	v_subrev_nc_u32_e32 v20, 28, v17
	v_sub_nc_u32_e32 v17, 29, v17
	v_lshlrev_b64 v[71:72], v20, v[9:10]
	v_and_b32_e32 v9, 7, v71
; %bb.544:                              ;   in Loop: Header=BB351_362 Depth=1
	s_or_b32 exec_lo, exec_lo, s25
	v_lshlrev_b32_sdwa v18, v38, v18 dst_sel:DWORD dst_unused:UNUSED_PAD src0_sel:DWORD src1_sel:BYTE_3
	v_lshlrev_b32_e32 v9, 20, v9
	v_lshl_add_u32 v17, v17, 23, 0x3c000000
	v_and_b32_e32 v18, 0x80000000, v18
	v_or3_b32 v20, v9, v18, v17
.LBB351_545:                            ;   in Loop: Header=BB351_362 Depth=1
	s_or_b32 exec_lo, exec_lo, s24
.LBB351_546:                            ;   in Loop: Header=BB351_362 Depth=1
	s_or_b32 exec_lo, exec_lo, s22
.LBB351_547:                            ;   in Loop: Header=BB351_362 Depth=1
	s_or_b32 exec_lo, exec_lo, s21
	v_mul_f32_e32 v9, s18, v19
	v_mul_f32_e32 v17, s18, v69
	;; [unrolled: 1-line block ×5, first 2 shown]
	v_bfe_u32 v65, v9, 16, 1
	v_or_b32_e32 v68, 0x400000, v9
	v_bfe_u32 v69, v17, 16, 1
	v_cmp_u_f32_e64 s0, v9, v9
	v_or_b32_e32 v71, 0x400000, v17
	v_add3_u32 v65, v65, v9, 0x7fff
	v_bfe_u32 v72, v18, 16, 1
	v_add3_u32 v69, v69, v17, 0x7fff
	v_or_b32_e32 v73, 0x400000, v18
	v_bfe_u32 v74, v19, 16, 1
	v_cndmask_b32_e64 v9, v65, v68, s0
	v_cmp_u_f32_e64 s0, v17, v17
	v_add3_u32 v72, v72, v18, 0x7fff
	v_lshrrev_b32_e32 v65, 16, v9
	v_cndmask_b32_e64 v17, v69, v71, s0
	v_cmp_u_f32_e64 s0, v18, v18
	v_mul_f32_e32 v9, s18, v66
	v_add3_u32 v69, v74, v19, 0x7fff
	v_or_b32_e32 v71, 0x400000, v19
	v_lshrrev_b32_e32 v66, 16, v17
	v_cndmask_b32_e64 v18, v72, v73, s0
	v_bfe_u32 v17, v9, 16, 1
	v_cmp_u_f32_e64 s0, v19, v19
	v_mul_f32_e32 v19, s18, v67
	v_mul_f32_e32 v67, s18, v70
	v_lshrrev_b32_e32 v68, 16, v18
	v_add3_u32 v17, v17, v9, 0x7fff
	v_cndmask_b32_e64 v18, v69, v71, s0
	v_or_b32_e32 v69, 0x400000, v9
	v_bfe_u32 v70, v19, 16, 1
	v_cmp_u_f32_e64 s0, v9, v9
	v_bfe_u32 v71, v67, 16, 1
	v_or_b32_e32 v72, 0x400000, v67
	v_or_b32_e32 v73, 0x400000, v20
	v_cndmask_b32_e64 v9, v17, v69, s0
	v_add3_u32 v69, v70, v19, 0x7fff
	v_or_b32_e32 v70, 0x400000, v19
	v_cmp_u_f32_e64 s0, v19, v19
	v_bfe_u32 v17, v20, 16, 1
	v_add3_u32 v71, v71, v67, 0x7fff
	v_cndmask_b32_e64 v19, v69, v70, s0
	v_cmp_u_f32_e64 s0, v67, v67
	v_add3_u32 v17, v17, v20, 0x7fff
	v_lshrrev_b32_e32 v70, 16, v18
	v_cndmask_b32_e64 v67, v71, v72, s0
	v_cmp_u_f32_e64 s0, v20, v20
	v_lshrrev_b32_e32 v72, 16, v9
	v_lshrrev_b32_e32 v71, 16, v19
	v_lshrrev_b32_e32 v67, 16, v67
	v_cndmask_b32_e64 v17, v17, v73, s0
	v_lshrrev_b32_e32 v69, 16, v17
	s_and_saveexec_b32 s21, vcc_lo
	s_cbranch_execz .LBB351_549
; %bb.548:                              ;   in Loop: Header=BB351_362 Depth=1
	v_cmp_gt_i32_e64 s0, s31, v49
	v_cndmask_b32_e64 v71, 0, v71, s0
	v_cmp_gt_i32_e64 s0, s31, v56
	v_cndmask_b32_e64 v72, 0, v72, s0
	v_cmp_gt_i32_e64 s0, s31, v55
	v_cndmask_b32_e64 v70, 0, v70, s0
	v_cmp_gt_i32_e64 s0, s31, v54
	v_cndmask_b32_e64 v68, 0, v68, s0
	v_cmp_gt_i32_e64 s0, s31, v53
	v_cndmask_b32_e64 v66, 0, v66, s0
	v_cmp_gt_i32_e64 s0, s31, v52
	v_cndmask_b32_e64 v65, 0, v65, s0
	v_cmp_gt_i32_e64 s0, s31, v51
	v_cndmask_b32_e64 v67, 0, v67, s0
	v_cmp_gt_i32_e64 s0, s31, v50
	v_cndmask_b32_e64 v69, 0, v69, s0
.LBB351_549:                            ;   in Loop: Header=BB351_362 Depth=1
	s_or_b32 exec_lo, exec_lo, s21
	global_load_dwordx2 v[17:18], v[15:16], off offset:768
	v_mov_b32_e32 v74, 0
	v_mov_b32_e32 v73, 0
	s_waitcnt vmcnt(0)
	v_cmp_ne_u16_sdwa s0, v17, v10 src0_sel:BYTE_0 src1_sel:DWORD
	s_and_saveexec_b32 s21, s0
	s_cbranch_execz .LBB351_555
; %bb.550:                              ;   in Loop: Header=BB351_362 Depth=1
	v_cmp_ne_u16_sdwa s0, v17, v22 src0_sel:BYTE_0 src1_sel:DWORD
	v_bfrev_b32_e32 v73, 1
	s_and_saveexec_b32 s22, s0
	s_cbranch_execz .LBB351_554
; %bb.551:                              ;   in Loop: Header=BB351_362 Depth=1
	v_and_b32_e32 v9, 0x7f, v17
	v_mov_b32_e32 v73, 0x7f800001
	s_mov_b32 s24, exec_lo
	v_cmpx_ne_u32_e32 0x7f, v9
	s_cbranch_execz .LBB351_553
; %bb.552:                              ;   in Loop: Header=BB351_362 Depth=1
	v_and_b32_e32 v19, 7, v17
	v_lshrrev_b32_e32 v20, 3, v9
	v_cmp_gt_u32_e64 s0, 8, v9
	v_ffbh_u32_e32 v19, v19
	v_min_u32_e32 v19, 32, v19
	v_subrev_nc_u32_e32 v73, 28, v19
	v_sub_nc_u32_e32 v19, 29, v19
	v_cndmask_b32_e64 v9, v20, v19, s0
	v_cndmask_b32_e64 v19, 0, v73, s0
	v_lshl_add_u32 v9, v9, 23, 0x3c000000
	v_lshlrev_b64 v[19:20], v19, v[17:18]
	v_lshlrev_b32_e32 v20, 24, v17
	v_lshlrev_b32_e32 v19, 20, v19
	v_and_b32_e32 v20, 0x80000000, v20
	v_and_b32_e32 v19, 0x700000, v19
	v_or3_b32 v73, v19, v20, v9
.LBB351_553:                            ;   in Loop: Header=BB351_362 Depth=1
	s_or_b32 exec_lo, exec_lo, s24
.LBB351_554:                            ;   in Loop: Header=BB351_362 Depth=1
	s_or_b32 exec_lo, exec_lo, s22
.LBB351_555:                            ;   in Loop: Header=BB351_362 Depth=1
	s_or_b32 exec_lo, exec_lo, s21
	v_cmp_ne_u16_sdwa s0, v17, v10 src0_sel:BYTE_1 src1_sel:DWORD
	s_and_saveexec_b32 s21, s0
	s_cbranch_execz .LBB351_563
; %bb.556:                              ;   in Loop: Header=BB351_362 Depth=1
	v_cmp_ne_u16_sdwa s0, v17, v22 src0_sel:BYTE_1 src1_sel:DWORD
	v_bfrev_b32_e32 v74, 1
	s_and_saveexec_b32 s22, s0
	s_cbranch_execz .LBB351_562
; %bb.557:                              ;   in Loop: Header=BB351_362 Depth=1
	v_and_b32_sdwa v9, v35, v17 dst_sel:DWORD dst_unused:UNUSED_PAD src0_sel:DWORD src1_sel:BYTE_1
	v_mov_b32_e32 v74, 0x7f800001
	s_mov_b32 s24, exec_lo
	v_and_b32_e32 v20, 0x7f, v9
	v_cmpx_ne_u32_e32 0x7f, v20
	s_cbranch_execz .LBB351_561
; %bb.558:                              ;   in Loop: Header=BB351_362 Depth=1
	v_and_b32_e32 v9, 7, v9
	v_lshrrev_b32_e32 v19, 3, v20
	s_mov_b32 s25, exec_lo
	v_cmpx_gt_u32_e32 8, v20
; %bb.559:                              ;   in Loop: Header=BB351_362 Depth=1
	v_ffbh_u32_e32 v19, v9
	v_min_u32_e32 v19, 32, v19
	v_subrev_nc_u32_e32 v20, 28, v19
	v_sub_nc_u32_e32 v19, 29, v19
	v_lshlrev_b64 v[74:75], v20, v[9:10]
	v_and_b32_e32 v9, 7, v74
; %bb.560:                              ;   in Loop: Header=BB351_362 Depth=1
	s_or_b32 exec_lo, exec_lo, s25
	v_lshlrev_b32_e32 v20, 16, v17
	v_lshlrev_b32_e32 v9, 20, v9
	v_lshl_add_u32 v19, v19, 23, 0x3c000000
	v_and_b32_e32 v20, 0x80000000, v20
	v_or3_b32 v74, v9, v20, v19
.LBB351_561:                            ;   in Loop: Header=BB351_362 Depth=1
	s_or_b32 exec_lo, exec_lo, s24
.LBB351_562:                            ;   in Loop: Header=BB351_362 Depth=1
	s_or_b32 exec_lo, exec_lo, s22
.LBB351_563:                            ;   in Loop: Header=BB351_362 Depth=1
	s_or_b32 exec_lo, exec_lo, s21
	v_and_b32_sdwa v9, v17, v36 dst_sel:DWORD dst_unused:UNUSED_PAD src0_sel:WORD_1 src1_sel:DWORD
	v_mov_b32_e32 v76, 0
	v_mov_b32_e32 v75, 0
	s_mov_b32 s21, exec_lo
	v_cmpx_ne_u16_e32 0, v9
	s_cbranch_execz .LBB351_571
; %bb.564:                              ;   in Loop: Header=BB351_362 Depth=1
	v_bfrev_b32_e32 v75, 1
	s_mov_b32 s22, exec_lo
	v_cmpx_ne_u16_e32 0x80, v9
	s_cbranch_execz .LBB351_570
; %bb.565:                              ;   in Loop: Header=BB351_362 Depth=1
	v_bfe_u32 v20, v17, 16, 7
	v_mov_b32_e32 v75, 0x7f800001
	s_mov_b32 s24, exec_lo
	v_cmpx_ne_u32_e32 0x7f, v20
	s_cbranch_execz .LBB351_569
; %bb.566:                              ;   in Loop: Header=BB351_362 Depth=1
	v_and_b32_sdwa v9, v17, v37 dst_sel:DWORD dst_unused:UNUSED_PAD src0_sel:WORD_1 src1_sel:DWORD
	v_lshrrev_b32_e32 v19, 3, v20
	s_mov_b32 s25, exec_lo
	v_cmpx_gt_u32_e32 8, v20
; %bb.567:                              ;   in Loop: Header=BB351_362 Depth=1
	v_ffbh_u32_e32 v19, v9
	v_min_u32_e32 v19, 32, v19
	v_subrev_nc_u32_e32 v20, 28, v19
	v_sub_nc_u32_e32 v19, 29, v19
	v_lshlrev_b64 v[77:78], v20, v[9:10]
	v_and_b32_e32 v9, 7, v77
; %bb.568:                              ;   in Loop: Header=BB351_362 Depth=1
	s_or_b32 exec_lo, exec_lo, s25
	v_lshlrev_b32_sdwa v20, v38, v17 dst_sel:DWORD dst_unused:UNUSED_PAD src0_sel:DWORD src1_sel:WORD_1
	v_lshlrev_b32_e32 v9, 20, v9
	v_lshl_add_u32 v19, v19, 23, 0x3c000000
	v_and_b32_e32 v20, 0x80000000, v20
	v_or3_b32 v75, v9, v20, v19
.LBB351_569:                            ;   in Loop: Header=BB351_362 Depth=1
	s_or_b32 exec_lo, exec_lo, s24
.LBB351_570:                            ;   in Loop: Header=BB351_362 Depth=1
	s_or_b32 exec_lo, exec_lo, s22
.LBB351_571:                            ;   in Loop: Header=BB351_362 Depth=1
	s_or_b32 exec_lo, exec_lo, s21
	s_mov_b32 s21, exec_lo
	v_cmpx_lt_u32_e32 0xffffff, v17
	s_cbranch_execz .LBB351_579
; %bb.572:                              ;   in Loop: Header=BB351_362 Depth=1
	v_cmp_ne_u32_sdwa s0, v17, v22 src0_sel:BYTE_3 src1_sel:DWORD
	v_bfrev_b32_e32 v76, 1
	s_and_saveexec_b32 s22, s0
	s_cbranch_execz .LBB351_578
; %bb.573:                              ;   in Loop: Header=BB351_362 Depth=1
	v_bfe_u32 v20, v17, 24, 7
	v_mov_b32_e32 v76, 0x7f800001
	s_mov_b32 s24, exec_lo
	v_cmpx_ne_u32_e32 0x7f, v20
	s_cbranch_execz .LBB351_577
; %bb.574:                              ;   in Loop: Header=BB351_362 Depth=1
	v_and_b32_sdwa v9, v17, v37 dst_sel:DWORD dst_unused:UNUSED_PAD src0_sel:BYTE_3 src1_sel:DWORD
	v_lshrrev_b32_e32 v19, 3, v20
	s_mov_b32 s25, exec_lo
	v_cmpx_gt_u32_e32 8, v20
; %bb.575:                              ;   in Loop: Header=BB351_362 Depth=1
	v_ffbh_u32_e32 v19, v9
	v_min_u32_e32 v19, 32, v19
	v_subrev_nc_u32_e32 v20, 28, v19
	v_sub_nc_u32_e32 v19, 29, v19
	v_lshlrev_b64 v[76:77], v20, v[9:10]
	v_and_b32_e32 v9, 7, v76
; %bb.576:                              ;   in Loop: Header=BB351_362 Depth=1
	s_or_b32 exec_lo, exec_lo, s25
	v_lshlrev_b32_sdwa v20, v38, v17 dst_sel:DWORD dst_unused:UNUSED_PAD src0_sel:DWORD src1_sel:BYTE_3
	v_lshlrev_b32_e32 v9, 20, v9
	v_lshl_add_u32 v19, v19, 23, 0x3c000000
	v_and_b32_e32 v20, 0x80000000, v20
	v_or3_b32 v76, v9, v20, v19
.LBB351_577:                            ;   in Loop: Header=BB351_362 Depth=1
	s_or_b32 exec_lo, exec_lo, s24
.LBB351_578:                            ;   in Loop: Header=BB351_362 Depth=1
	s_or_b32 exec_lo, exec_lo, s22
.LBB351_579:                            ;   in Loop: Header=BB351_362 Depth=1
	s_or_b32 exec_lo, exec_lo, s21
	v_mov_b32_e32 v9, v18
	v_cmp_ne_u16_sdwa s0, v18, v10 src0_sel:BYTE_0 src1_sel:DWORD
	v_mov_b32_e32 v19, 0
	v_mov_b32_e32 v77, 0
	s_and_saveexec_b32 s21, s0
	s_cbranch_execz .LBB351_585
; %bb.580:                              ;   in Loop: Header=BB351_362 Depth=1
	v_cmp_ne_u16_sdwa s0, v18, v22 src0_sel:BYTE_0 src1_sel:DWORD
	v_bfrev_b32_e32 v77, 1
	s_and_saveexec_b32 s22, s0
	s_cbranch_execz .LBB351_584
; %bb.581:                              ;   in Loop: Header=BB351_362 Depth=1
	v_and_b32_e32 v20, 0x7f, v18
	v_mov_b32_e32 v77, 0x7f800001
	s_mov_b32 s24, exec_lo
	v_cmpx_ne_u32_e32 0x7f, v20
	s_cbranch_execz .LBB351_583
; %bb.582:                              ;   in Loop: Header=BB351_362 Depth=1
	v_and_b32_e32 v77, 7, v18
	v_lshrrev_b32_e32 v78, 3, v20
	v_cmp_gt_u32_e64 s0, 8, v20
	v_ffbh_u32_e32 v77, v77
	v_min_u32_e32 v77, 32, v77
	v_subrev_nc_u32_e32 v79, 28, v77
	v_sub_nc_u32_e32 v77, 29, v77
	v_cndmask_b32_e64 v20, v78, v77, s0
	v_cndmask_b32_e64 v77, 0, v79, s0
	v_lshl_add_u32 v20, v20, 23, 0x3c000000
	v_lshlrev_b64 v[77:78], v77, v[9:10]
	v_lshlrev_b32_e32 v78, 24, v9
	v_lshlrev_b32_e32 v77, 20, v77
	v_and_b32_e32 v78, 0x80000000, v78
	v_and_b32_e32 v77, 0x700000, v77
	v_or3_b32 v77, v77, v78, v20
.LBB351_583:                            ;   in Loop: Header=BB351_362 Depth=1
	s_or_b32 exec_lo, exec_lo, s24
.LBB351_584:                            ;   in Loop: Header=BB351_362 Depth=1
	s_or_b32 exec_lo, exec_lo, s22
.LBB351_585:                            ;   in Loop: Header=BB351_362 Depth=1
	s_or_b32 exec_lo, exec_lo, s21
	v_cmp_ne_u16_sdwa s0, v9, v10 src0_sel:BYTE_1 src1_sel:DWORD
	s_and_saveexec_b32 s21, s0
	s_cbranch_execz .LBB351_593
; %bb.586:                              ;   in Loop: Header=BB351_362 Depth=1
	v_cmp_ne_u16_sdwa s0, v9, v22 src0_sel:BYTE_1 src1_sel:DWORD
	v_bfrev_b32_e32 v19, 1
	s_and_saveexec_b32 s22, s0
	s_cbranch_execz .LBB351_592
; %bb.587:                              ;   in Loop: Header=BB351_362 Depth=1
	v_and_b32_sdwa v20, v35, v9 dst_sel:DWORD dst_unused:UNUSED_PAD src0_sel:DWORD src1_sel:BYTE_1
	v_mov_b32_e32 v19, 0x7f800001
	s_mov_b32 s24, exec_lo
	v_and_b32_e32 v79, 0x7f, v20
	v_cmpx_ne_u32_e32 0x7f, v79
	s_cbranch_execz .LBB351_591
; %bb.588:                              ;   in Loop: Header=BB351_362 Depth=1
	v_and_b32_e32 v19, 7, v20
	v_mov_b32_e32 v20, v10
	v_lshrrev_b32_e32 v78, 3, v79
	s_mov_b32 s25, exec_lo
	v_cmpx_gt_u32_e32 8, v79
; %bb.589:                              ;   in Loop: Header=BB351_362 Depth=1
	v_ffbh_u32_e32 v78, v19
	v_min_u32_e32 v78, 32, v78
	v_subrev_nc_u32_e32 v79, 28, v78
	v_sub_nc_u32_e32 v78, 29, v78
	v_lshlrev_b64 v[19:20], v79, v[19:20]
	v_and_b32_e32 v19, 7, v19
; %bb.590:                              ;   in Loop: Header=BB351_362 Depth=1
	s_or_b32 exec_lo, exec_lo, s25
	v_lshlrev_b32_e32 v9, 16, v9
	v_lshlrev_b32_e32 v19, 20, v19
	v_lshl_add_u32 v20, v78, 23, 0x3c000000
	v_and_b32_e32 v9, 0x80000000, v9
	v_or3_b32 v19, v19, v9, v20
.LBB351_591:                            ;   in Loop: Header=BB351_362 Depth=1
	s_or_b32 exec_lo, exec_lo, s24
.LBB351_592:                            ;   in Loop: Header=BB351_362 Depth=1
	s_or_b32 exec_lo, exec_lo, s22
.LBB351_593:                            ;   in Loop: Header=BB351_362 Depth=1
	s_or_b32 exec_lo, exec_lo, s21
	v_and_b32_sdwa v9, v18, v36 dst_sel:DWORD dst_unused:UNUSED_PAD src0_sel:WORD_1 src1_sel:DWORD
	v_mov_b32_e32 v78, 0
	v_mov_b32_e32 v79, 0
	s_mov_b32 s21, exec_lo
	v_cmpx_ne_u16_e32 0, v9
	s_cbranch_execz .LBB351_601
; %bb.594:                              ;   in Loop: Header=BB351_362 Depth=1
	v_bfrev_b32_e32 v79, 1
	s_mov_b32 s22, exec_lo
	v_cmpx_ne_u16_e32 0x80, v9
	s_cbranch_execz .LBB351_600
; %bb.595:                              ;   in Loop: Header=BB351_362 Depth=1
	v_bfe_u32 v80, v18, 16, 7
	v_mov_b32_e32 v79, 0x7f800001
	s_mov_b32 s24, exec_lo
	v_cmpx_ne_u32_e32 0x7f, v80
	s_cbranch_execz .LBB351_599
; %bb.596:                              ;   in Loop: Header=BB351_362 Depth=1
	v_and_b32_sdwa v9, v18, v37 dst_sel:DWORD dst_unused:UNUSED_PAD src0_sel:WORD_1 src1_sel:DWORD
	v_lshrrev_b32_e32 v20, 3, v80
	s_mov_b32 s25, exec_lo
	v_cmpx_gt_u32_e32 8, v80
; %bb.597:                              ;   in Loop: Header=BB351_362 Depth=1
	v_ffbh_u32_e32 v20, v9
	v_min_u32_e32 v20, 32, v20
	v_subrev_nc_u32_e32 v79, 28, v20
	v_sub_nc_u32_e32 v20, 29, v20
	v_lshlrev_b64 v[79:80], v79, v[9:10]
	v_and_b32_e32 v9, 7, v79
; %bb.598:                              ;   in Loop: Header=BB351_362 Depth=1
	s_or_b32 exec_lo, exec_lo, s25
	v_lshlrev_b32_sdwa v79, v38, v18 dst_sel:DWORD dst_unused:UNUSED_PAD src0_sel:DWORD src1_sel:WORD_1
	v_lshlrev_b32_e32 v9, 20, v9
	v_lshl_add_u32 v20, v20, 23, 0x3c000000
	v_and_b32_e32 v79, 0x80000000, v79
	v_or3_b32 v79, v9, v79, v20
.LBB351_599:                            ;   in Loop: Header=BB351_362 Depth=1
	s_or_b32 exec_lo, exec_lo, s24
.LBB351_600:                            ;   in Loop: Header=BB351_362 Depth=1
	s_or_b32 exec_lo, exec_lo, s22
.LBB351_601:                            ;   in Loop: Header=BB351_362 Depth=1
	s_or_b32 exec_lo, exec_lo, s21
	s_mov_b32 s21, exec_lo
	v_cmpx_lt_u64_e64 s[4:5], v[17:18]
	s_cbranch_execz .LBB351_609
; %bb.602:                              ;   in Loop: Header=BB351_362 Depth=1
	v_cmp_ne_u32_sdwa s0, v18, v22 src0_sel:BYTE_3 src1_sel:DWORD
	v_bfrev_b32_e32 v78, 1
	s_and_saveexec_b32 s22, s0
	s_cbranch_execz .LBB351_608
; %bb.603:                              ;   in Loop: Header=BB351_362 Depth=1
	v_bfe_u32 v20, v18, 24, 7
	v_mov_b32_e32 v78, 0x7f800001
	s_mov_b32 s24, exec_lo
	v_cmpx_ne_u32_e32 0x7f, v20
	s_cbranch_execz .LBB351_607
; %bb.604:                              ;   in Loop: Header=BB351_362 Depth=1
	v_and_b32_sdwa v9, v18, v37 dst_sel:DWORD dst_unused:UNUSED_PAD src0_sel:BYTE_3 src1_sel:DWORD
	v_lshrrev_b32_e32 v17, 3, v20
	s_mov_b32 s25, exec_lo
	v_cmpx_gt_u32_e32 8, v20
; %bb.605:                              ;   in Loop: Header=BB351_362 Depth=1
	v_ffbh_u32_e32 v17, v9
	v_min_u32_e32 v17, 32, v17
	v_subrev_nc_u32_e32 v20, 28, v17
	v_sub_nc_u32_e32 v17, 29, v17
	v_lshlrev_b64 v[80:81], v20, v[9:10]
	v_and_b32_e32 v9, 7, v80
; %bb.606:                              ;   in Loop: Header=BB351_362 Depth=1
	s_or_b32 exec_lo, exec_lo, s25
	v_lshlrev_b32_sdwa v18, v38, v18 dst_sel:DWORD dst_unused:UNUSED_PAD src0_sel:DWORD src1_sel:BYTE_3
	v_lshlrev_b32_e32 v9, 20, v9
	v_lshl_add_u32 v17, v17, 23, 0x3c000000
	v_and_b32_e32 v18, 0x80000000, v18
	v_or3_b32 v78, v9, v18, v17
.LBB351_607:                            ;   in Loop: Header=BB351_362 Depth=1
	s_or_b32 exec_lo, exec_lo, s24
.LBB351_608:                            ;   in Loop: Header=BB351_362 Depth=1
	s_or_b32 exec_lo, exec_lo, s22
.LBB351_609:                            ;   in Loop: Header=BB351_362 Depth=1
	s_or_b32 exec_lo, exec_lo, s21
	v_mul_f32_e32 v9, s18, v19
	v_mul_f32_e32 v17, s18, v77
	v_mul_f32_e32 v18, s18, v76
	v_mul_f32_e32 v76, s18, v75
	v_mul_f32_e32 v73, s18, v73
	v_bfe_u32 v19, v9, 16, 1
	v_or_b32_e32 v20, 0x400000, v9
	v_bfe_u32 v75, v17, 16, 1
	v_cmp_u_f32_e64 s0, v9, v9
	v_or_b32_e32 v77, 0x400000, v17
	v_add3_u32 v19, v19, v9, 0x7fff
	v_bfe_u32 v80, v18, 16, 1
	v_add3_u32 v75, v75, v17, 0x7fff
	v_or_b32_e32 v81, 0x400000, v18
	v_bfe_u32 v82, v76, 16, 1
	v_cndmask_b32_e64 v9, v19, v20, s0
	v_cmp_u_f32_e64 s0, v17, v17
	v_add3_u32 v80, v80, v18, 0x7fff
	v_lshrrev_b32_e32 v19, 16, v9
	v_cndmask_b32_e64 v17, v75, v77, s0
	v_cmp_u_f32_e64 s0, v18, v18
	v_mul_f32_e32 v9, s18, v74
	v_add3_u32 v74, v82, v76, 0x7fff
	v_or_b32_e32 v77, 0x400000, v76
	v_lshrrev_b32_e32 v20, 16, v17
	v_cndmask_b32_e64 v18, v80, v81, s0
	v_bfe_u32 v17, v9, 16, 1
	v_cmp_u_f32_e64 s0, v76, v76
	v_or_b32_e32 v76, 0x400000, v9
	v_lshrrev_b32_e32 v75, 16, v18
	v_add3_u32 v17, v17, v9, 0x7fff
	v_cndmask_b32_e64 v18, v74, v77, s0
	v_mul_f32_e32 v74, s18, v79
	v_mul_f32_e32 v77, s18, v78
	v_bfe_u32 v78, v73, 16, 1
	v_cmp_u_f32_e64 s0, v9, v9
	v_bfe_u32 v79, v74, 16, 1
	v_or_b32_e32 v80, 0x400000, v74
	v_or_b32_e32 v81, 0x400000, v77
	v_cndmask_b32_e64 v9, v17, v76, s0
	v_add3_u32 v76, v78, v73, 0x7fff
	v_or_b32_e32 v78, 0x400000, v73
	v_cmp_u_f32_e64 s0, v73, v73
	v_bfe_u32 v17, v77, 16, 1
	v_add3_u32 v79, v79, v74, 0x7fff
	v_cndmask_b32_e64 v73, v76, v78, s0
	v_cmp_u_f32_e64 s0, v74, v74
	v_add3_u32 v17, v17, v77, 0x7fff
	v_lshrrev_b32_e32 v76, 16, v18
	v_lshrrev_b32_e32 v78, 16, v9
	v_cndmask_b32_e64 v74, v79, v80, s0
	v_cmp_u_f32_e64 s0, v77, v77
	v_lshrrev_b32_e32 v77, 16, v73
	v_lshrrev_b32_e32 v73, 16, v74
	v_cndmask_b32_e64 v17, v17, v81, s0
	v_lshrrev_b32_e32 v74, 16, v17
	s_and_saveexec_b32 s21, vcc_lo
	s_cbranch_execz .LBB351_611
; %bb.610:                              ;   in Loop: Header=BB351_362 Depth=1
	v_cmp_gt_i32_e64 s0, s31, v49
	v_cndmask_b32_e64 v77, 0, v77, s0
	v_cmp_gt_i32_e64 s0, s31, v56
	v_cndmask_b32_e64 v78, 0, v78, s0
	;; [unrolled: 2-line block ×8, first 2 shown]
.LBB351_611:                            ;   in Loop: Header=BB351_362 Depth=1
	s_or_b32 exec_lo, exec_lo, s21
	global_load_dwordx2 v[15:16], v[15:16], off offset:1024
	v_mov_b32_e32 v80, 0
	v_mov_b32_e32 v79, 0
	s_waitcnt vmcnt(0)
	v_cmp_ne_u16_sdwa s0, v15, v10 src0_sel:BYTE_0 src1_sel:DWORD
	s_and_saveexec_b32 s21, s0
	s_cbranch_execz .LBB351_617
; %bb.612:                              ;   in Loop: Header=BB351_362 Depth=1
	v_cmp_ne_u16_sdwa s0, v15, v22 src0_sel:BYTE_0 src1_sel:DWORD
	v_bfrev_b32_e32 v79, 1
	s_and_saveexec_b32 s22, s0
	s_cbranch_execz .LBB351_616
; %bb.613:                              ;   in Loop: Header=BB351_362 Depth=1
	v_and_b32_e32 v9, 0x7f, v15
	v_mov_b32_e32 v79, 0x7f800001
	s_mov_b32 s24, exec_lo
	v_cmpx_ne_u32_e32 0x7f, v9
	s_cbranch_execz .LBB351_615
; %bb.614:                              ;   in Loop: Header=BB351_362 Depth=1
	v_and_b32_e32 v17, 7, v15
	v_lshrrev_b32_e32 v18, 3, v9
	v_cmp_gt_u32_e64 s0, 8, v9
	v_ffbh_u32_e32 v17, v17
	v_min_u32_e32 v17, 32, v17
	v_subrev_nc_u32_e32 v79, 28, v17
	v_sub_nc_u32_e32 v17, 29, v17
	v_cndmask_b32_e64 v9, v18, v17, s0
	v_cndmask_b32_e64 v17, 0, v79, s0
	v_lshl_add_u32 v9, v9, 23, 0x3c000000
	v_lshlrev_b64 v[17:18], v17, v[15:16]
	v_lshlrev_b32_e32 v18, 24, v15
	v_lshlrev_b32_e32 v17, 20, v17
	v_and_b32_e32 v18, 0x80000000, v18
	v_and_b32_e32 v17, 0x700000, v17
	v_or3_b32 v79, v17, v18, v9
.LBB351_615:                            ;   in Loop: Header=BB351_362 Depth=1
	s_or_b32 exec_lo, exec_lo, s24
.LBB351_616:                            ;   in Loop: Header=BB351_362 Depth=1
	s_or_b32 exec_lo, exec_lo, s22
.LBB351_617:                            ;   in Loop: Header=BB351_362 Depth=1
	s_or_b32 exec_lo, exec_lo, s21
	v_cmp_ne_u16_sdwa s0, v15, v10 src0_sel:BYTE_1 src1_sel:DWORD
	s_and_saveexec_b32 s21, s0
	s_cbranch_execz .LBB351_625
; %bb.618:                              ;   in Loop: Header=BB351_362 Depth=1
	v_cmp_ne_u16_sdwa s0, v15, v22 src0_sel:BYTE_1 src1_sel:DWORD
	v_bfrev_b32_e32 v80, 1
	s_and_saveexec_b32 s22, s0
	s_cbranch_execz .LBB351_624
; %bb.619:                              ;   in Loop: Header=BB351_362 Depth=1
	v_and_b32_sdwa v9, v35, v15 dst_sel:DWORD dst_unused:UNUSED_PAD src0_sel:DWORD src1_sel:BYTE_1
	v_mov_b32_e32 v80, 0x7f800001
	s_mov_b32 s24, exec_lo
	v_and_b32_e32 v18, 0x7f, v9
	v_cmpx_ne_u32_e32 0x7f, v18
	s_cbranch_execz .LBB351_623
; %bb.620:                              ;   in Loop: Header=BB351_362 Depth=1
	v_and_b32_e32 v9, 7, v9
	v_lshrrev_b32_e32 v17, 3, v18
	s_mov_b32 s25, exec_lo
	v_cmpx_gt_u32_e32 8, v18
; %bb.621:                              ;   in Loop: Header=BB351_362 Depth=1
	v_ffbh_u32_e32 v17, v9
	v_min_u32_e32 v17, 32, v17
	v_subrev_nc_u32_e32 v18, 28, v17
	v_sub_nc_u32_e32 v17, 29, v17
	v_lshlrev_b64 v[80:81], v18, v[9:10]
	v_and_b32_e32 v9, 7, v80
; %bb.622:                              ;   in Loop: Header=BB351_362 Depth=1
	s_or_b32 exec_lo, exec_lo, s25
	v_lshlrev_b32_e32 v18, 16, v15
	v_lshlrev_b32_e32 v9, 20, v9
	v_lshl_add_u32 v17, v17, 23, 0x3c000000
	v_and_b32_e32 v18, 0x80000000, v18
	v_or3_b32 v80, v9, v18, v17
.LBB351_623:                            ;   in Loop: Header=BB351_362 Depth=1
	s_or_b32 exec_lo, exec_lo, s24
.LBB351_624:                            ;   in Loop: Header=BB351_362 Depth=1
	s_or_b32 exec_lo, exec_lo, s22
.LBB351_625:                            ;   in Loop: Header=BB351_362 Depth=1
	s_or_b32 exec_lo, exec_lo, s21
	v_and_b32_sdwa v9, v15, v36 dst_sel:DWORD dst_unused:UNUSED_PAD src0_sel:WORD_1 src1_sel:DWORD
	v_mov_b32_e32 v82, 0
	v_mov_b32_e32 v81, 0
	s_mov_b32 s21, exec_lo
	v_cmpx_ne_u16_e32 0, v9
	s_cbranch_execz .LBB351_633
; %bb.626:                              ;   in Loop: Header=BB351_362 Depth=1
	v_bfrev_b32_e32 v81, 1
	s_mov_b32 s22, exec_lo
	v_cmpx_ne_u16_e32 0x80, v9
	s_cbranch_execz .LBB351_632
; %bb.627:                              ;   in Loop: Header=BB351_362 Depth=1
	v_bfe_u32 v18, v15, 16, 7
	v_mov_b32_e32 v81, 0x7f800001
	s_mov_b32 s24, exec_lo
	v_cmpx_ne_u32_e32 0x7f, v18
	s_cbranch_execz .LBB351_631
; %bb.628:                              ;   in Loop: Header=BB351_362 Depth=1
	v_and_b32_sdwa v9, v15, v37 dst_sel:DWORD dst_unused:UNUSED_PAD src0_sel:WORD_1 src1_sel:DWORD
	v_lshrrev_b32_e32 v17, 3, v18
	s_mov_b32 s25, exec_lo
	v_cmpx_gt_u32_e32 8, v18
; %bb.629:                              ;   in Loop: Header=BB351_362 Depth=1
	v_ffbh_u32_e32 v17, v9
	v_min_u32_e32 v17, 32, v17
	v_subrev_nc_u32_e32 v18, 28, v17
	v_sub_nc_u32_e32 v17, 29, v17
	v_lshlrev_b64 v[83:84], v18, v[9:10]
	v_and_b32_e32 v9, 7, v83
; %bb.630:                              ;   in Loop: Header=BB351_362 Depth=1
	s_or_b32 exec_lo, exec_lo, s25
	v_lshlrev_b32_sdwa v18, v38, v15 dst_sel:DWORD dst_unused:UNUSED_PAD src0_sel:DWORD src1_sel:WORD_1
	v_lshlrev_b32_e32 v9, 20, v9
	v_lshl_add_u32 v17, v17, 23, 0x3c000000
	v_and_b32_e32 v18, 0x80000000, v18
	v_or3_b32 v81, v9, v18, v17
.LBB351_631:                            ;   in Loop: Header=BB351_362 Depth=1
	s_or_b32 exec_lo, exec_lo, s24
.LBB351_632:                            ;   in Loop: Header=BB351_362 Depth=1
	s_or_b32 exec_lo, exec_lo, s22
.LBB351_633:                            ;   in Loop: Header=BB351_362 Depth=1
	s_or_b32 exec_lo, exec_lo, s21
	s_mov_b32 s21, exec_lo
	v_cmpx_lt_u32_e32 0xffffff, v15
	s_cbranch_execz .LBB351_641
; %bb.634:                              ;   in Loop: Header=BB351_362 Depth=1
	v_cmp_ne_u32_sdwa s0, v15, v22 src0_sel:BYTE_3 src1_sel:DWORD
	v_bfrev_b32_e32 v82, 1
	s_and_saveexec_b32 s22, s0
	s_cbranch_execz .LBB351_640
; %bb.635:                              ;   in Loop: Header=BB351_362 Depth=1
	v_bfe_u32 v18, v15, 24, 7
	v_mov_b32_e32 v82, 0x7f800001
	s_mov_b32 s24, exec_lo
	v_cmpx_ne_u32_e32 0x7f, v18
	s_cbranch_execz .LBB351_639
; %bb.636:                              ;   in Loop: Header=BB351_362 Depth=1
	v_and_b32_sdwa v9, v15, v37 dst_sel:DWORD dst_unused:UNUSED_PAD src0_sel:BYTE_3 src1_sel:DWORD
	v_lshrrev_b32_e32 v17, 3, v18
	s_mov_b32 s25, exec_lo
	v_cmpx_gt_u32_e32 8, v18
; %bb.637:                              ;   in Loop: Header=BB351_362 Depth=1
	v_ffbh_u32_e32 v17, v9
	v_min_u32_e32 v17, 32, v17
	v_subrev_nc_u32_e32 v18, 28, v17
	v_sub_nc_u32_e32 v17, 29, v17
	v_lshlrev_b64 v[82:83], v18, v[9:10]
	v_and_b32_e32 v9, 7, v82
; %bb.638:                              ;   in Loop: Header=BB351_362 Depth=1
	s_or_b32 exec_lo, exec_lo, s25
	v_lshlrev_b32_sdwa v18, v38, v15 dst_sel:DWORD dst_unused:UNUSED_PAD src0_sel:DWORD src1_sel:BYTE_3
	v_lshlrev_b32_e32 v9, 20, v9
	v_lshl_add_u32 v17, v17, 23, 0x3c000000
	v_and_b32_e32 v18, 0x80000000, v18
	v_or3_b32 v82, v9, v18, v17
.LBB351_639:                            ;   in Loop: Header=BB351_362 Depth=1
	s_or_b32 exec_lo, exec_lo, s24
.LBB351_640:                            ;   in Loop: Header=BB351_362 Depth=1
	s_or_b32 exec_lo, exec_lo, s22
.LBB351_641:                            ;   in Loop: Header=BB351_362 Depth=1
	s_or_b32 exec_lo, exec_lo, s21
	v_mov_b32_e32 v9, v16
	v_cmp_ne_u16_sdwa s0, v16, v10 src0_sel:BYTE_0 src1_sel:DWORD
	v_mov_b32_e32 v17, 0
	v_mov_b32_e32 v83, 0
	s_and_saveexec_b32 s21, s0
	s_cbranch_execz .LBB351_647
; %bb.642:                              ;   in Loop: Header=BB351_362 Depth=1
	v_cmp_ne_u16_sdwa s0, v16, v22 src0_sel:BYTE_0 src1_sel:DWORD
	v_bfrev_b32_e32 v83, 1
	s_and_saveexec_b32 s22, s0
	s_cbranch_execz .LBB351_646
; %bb.643:                              ;   in Loop: Header=BB351_362 Depth=1
	v_and_b32_e32 v18, 0x7f, v16
	v_mov_b32_e32 v83, 0x7f800001
	s_mov_b32 s24, exec_lo
	v_cmpx_ne_u32_e32 0x7f, v18
	s_cbranch_execz .LBB351_645
; %bb.644:                              ;   in Loop: Header=BB351_362 Depth=1
	v_and_b32_e32 v83, 7, v16
	v_lshrrev_b32_e32 v84, 3, v18
	v_cmp_gt_u32_e64 s0, 8, v18
	v_ffbh_u32_e32 v83, v83
	v_min_u32_e32 v83, 32, v83
	v_subrev_nc_u32_e32 v85, 28, v83
	v_sub_nc_u32_e32 v83, 29, v83
	v_cndmask_b32_e64 v18, v84, v83, s0
	v_cndmask_b32_e64 v83, 0, v85, s0
	v_lshl_add_u32 v18, v18, 23, 0x3c000000
	v_lshlrev_b64 v[83:84], v83, v[9:10]
	v_lshlrev_b32_e32 v84, 24, v9
	v_lshlrev_b32_e32 v83, 20, v83
	v_and_b32_e32 v84, 0x80000000, v84
	v_and_b32_e32 v83, 0x700000, v83
	v_or3_b32 v83, v83, v84, v18
.LBB351_645:                            ;   in Loop: Header=BB351_362 Depth=1
	s_or_b32 exec_lo, exec_lo, s24
.LBB351_646:                            ;   in Loop: Header=BB351_362 Depth=1
	s_or_b32 exec_lo, exec_lo, s22
.LBB351_647:                            ;   in Loop: Header=BB351_362 Depth=1
	s_or_b32 exec_lo, exec_lo, s21
	v_cmp_ne_u16_sdwa s0, v9, v10 src0_sel:BYTE_1 src1_sel:DWORD
	s_and_saveexec_b32 s21, s0
	s_cbranch_execz .LBB351_655
; %bb.648:                              ;   in Loop: Header=BB351_362 Depth=1
	v_cmp_ne_u16_sdwa s0, v9, v22 src0_sel:BYTE_1 src1_sel:DWORD
	v_bfrev_b32_e32 v17, 1
	s_and_saveexec_b32 s22, s0
	s_cbranch_execz .LBB351_654
; %bb.649:                              ;   in Loop: Header=BB351_362 Depth=1
	v_and_b32_sdwa v18, v35, v9 dst_sel:DWORD dst_unused:UNUSED_PAD src0_sel:DWORD src1_sel:BYTE_1
	v_mov_b32_e32 v17, 0x7f800001
	s_mov_b32 s24, exec_lo
	v_and_b32_e32 v85, 0x7f, v18
	v_cmpx_ne_u32_e32 0x7f, v85
	s_cbranch_execz .LBB351_653
; %bb.650:                              ;   in Loop: Header=BB351_362 Depth=1
	v_and_b32_e32 v17, 7, v18
	v_mov_b32_e32 v18, v10
	v_lshrrev_b32_e32 v84, 3, v85
	s_mov_b32 s25, exec_lo
	v_cmpx_gt_u32_e32 8, v85
; %bb.651:                              ;   in Loop: Header=BB351_362 Depth=1
	v_ffbh_u32_e32 v84, v17
	v_min_u32_e32 v84, 32, v84
	v_subrev_nc_u32_e32 v85, 28, v84
	v_sub_nc_u32_e32 v84, 29, v84
	v_lshlrev_b64 v[17:18], v85, v[17:18]
	v_and_b32_e32 v17, 7, v17
; %bb.652:                              ;   in Loop: Header=BB351_362 Depth=1
	s_or_b32 exec_lo, exec_lo, s25
	v_lshlrev_b32_e32 v9, 16, v9
	v_lshlrev_b32_e32 v17, 20, v17
	v_lshl_add_u32 v18, v84, 23, 0x3c000000
	v_and_b32_e32 v9, 0x80000000, v9
	v_or3_b32 v17, v17, v9, v18
.LBB351_653:                            ;   in Loop: Header=BB351_362 Depth=1
	s_or_b32 exec_lo, exec_lo, s24
.LBB351_654:                            ;   in Loop: Header=BB351_362 Depth=1
	s_or_b32 exec_lo, exec_lo, s22
.LBB351_655:                            ;   in Loop: Header=BB351_362 Depth=1
	s_or_b32 exec_lo, exec_lo, s21
	v_and_b32_sdwa v9, v16, v36 dst_sel:DWORD dst_unused:UNUSED_PAD src0_sel:WORD_1 src1_sel:DWORD
	v_mov_b32_e32 v18, 0
	v_mov_b32_e32 v84, 0
	s_mov_b32 s21, exec_lo
	v_cmpx_ne_u16_e32 0, v9
	s_cbranch_execz .LBB351_663
; %bb.656:                              ;   in Loop: Header=BB351_362 Depth=1
	v_bfrev_b32_e32 v84, 1
	s_mov_b32 s22, exec_lo
	v_cmpx_ne_u16_e32 0x80, v9
	s_cbranch_execz .LBB351_662
; %bb.657:                              ;   in Loop: Header=BB351_362 Depth=1
	v_bfe_u32 v85, v16, 16, 7
	v_mov_b32_e32 v84, 0x7f800001
	s_mov_b32 s24, exec_lo
	v_cmpx_ne_u32_e32 0x7f, v85
	s_cbranch_execz .LBB351_661
; %bb.658:                              ;   in Loop: Header=BB351_362 Depth=1
	v_and_b32_sdwa v9, v16, v37 dst_sel:DWORD dst_unused:UNUSED_PAD src0_sel:WORD_1 src1_sel:DWORD
	v_lshrrev_b32_e32 v84, 3, v85
	s_mov_b32 s25, exec_lo
	v_cmpx_gt_u32_e32 8, v85
; %bb.659:                              ;   in Loop: Header=BB351_362 Depth=1
	v_ffbh_u32_e32 v84, v9
	v_min_u32_e32 v84, 32, v84
	v_subrev_nc_u32_e32 v85, 28, v84
	v_sub_nc_u32_e32 v84, 29, v84
	v_lshlrev_b64 v[85:86], v85, v[9:10]
	v_and_b32_e32 v9, 7, v85
; %bb.660:                              ;   in Loop: Header=BB351_362 Depth=1
	s_or_b32 exec_lo, exec_lo, s25
	v_lshlrev_b32_sdwa v85, v38, v16 dst_sel:DWORD dst_unused:UNUSED_PAD src0_sel:DWORD src1_sel:WORD_1
	v_lshlrev_b32_e32 v9, 20, v9
	v_lshl_add_u32 v84, v84, 23, 0x3c000000
	v_and_b32_e32 v85, 0x80000000, v85
	v_or3_b32 v84, v9, v85, v84
.LBB351_661:                            ;   in Loop: Header=BB351_362 Depth=1
	s_or_b32 exec_lo, exec_lo, s24
.LBB351_662:                            ;   in Loop: Header=BB351_362 Depth=1
	s_or_b32 exec_lo, exec_lo, s22
.LBB351_663:                            ;   in Loop: Header=BB351_362 Depth=1
	s_or_b32 exec_lo, exec_lo, s21
	s_mov_b32 s21, exec_lo
	v_cmpx_lt_u64_e64 s[4:5], v[15:16]
	s_cbranch_execz .LBB351_671
; %bb.664:                              ;   in Loop: Header=BB351_362 Depth=1
	v_cmp_ne_u32_sdwa s0, v16, v22 src0_sel:BYTE_3 src1_sel:DWORD
	v_bfrev_b32_e32 v18, 1
	s_and_saveexec_b32 s22, s0
	s_cbranch_execz .LBB351_670
; %bb.665:                              ;   in Loop: Header=BB351_362 Depth=1
	v_bfe_u32 v85, v16, 24, 7
	v_mov_b32_e32 v18, 0x7f800001
	s_mov_b32 s24, exec_lo
	v_cmpx_ne_u32_e32 0x7f, v85
	s_cbranch_execz .LBB351_669
; %bb.666:                              ;   in Loop: Header=BB351_362 Depth=1
	v_and_b32_sdwa v9, v16, v37 dst_sel:DWORD dst_unused:UNUSED_PAD src0_sel:BYTE_3 src1_sel:DWORD
	v_lshrrev_b32_e32 v15, 3, v85
	s_mov_b32 s25, exec_lo
	v_cmpx_gt_u32_e32 8, v85
; %bb.667:                              ;   in Loop: Header=BB351_362 Depth=1
	v_ffbh_u32_e32 v15, v9
	v_min_u32_e32 v15, 32, v15
	v_subrev_nc_u32_e32 v18, 28, v15
	v_sub_nc_u32_e32 v15, 29, v15
	v_lshlrev_b64 v[85:86], v18, v[9:10]
	v_and_b32_e32 v9, 7, v85
; %bb.668:                              ;   in Loop: Header=BB351_362 Depth=1
	s_or_b32 exec_lo, exec_lo, s25
	v_lshlrev_b32_sdwa v16, v38, v16 dst_sel:DWORD dst_unused:UNUSED_PAD src0_sel:DWORD src1_sel:BYTE_3
	v_lshlrev_b32_e32 v9, 20, v9
	v_lshl_add_u32 v15, v15, 23, 0x3c000000
	v_and_b32_e32 v16, 0x80000000, v16
	v_or3_b32 v18, v9, v16, v15
.LBB351_669:                            ;   in Loop: Header=BB351_362 Depth=1
	s_or_b32 exec_lo, exec_lo, s24
.LBB351_670:                            ;   in Loop: Header=BB351_362 Depth=1
	s_or_b32 exec_lo, exec_lo, s22
.LBB351_671:                            ;   in Loop: Header=BB351_362 Depth=1
	s_or_b32 exec_lo, exec_lo, s21
	v_mul_f32_e32 v9, s18, v17
	v_mul_f32_e32 v15, s18, v83
	;; [unrolled: 1-line block ×5, first 2 shown]
	v_bfe_u32 v81, v9, 16, 1
	v_or_b32_e32 v82, 0x400000, v9
	v_bfe_u32 v83, v15, 16, 1
	v_cmp_u_f32_e64 s0, v9, v9
	v_or_b32_e32 v85, 0x400000, v15
	v_add3_u32 v81, v81, v9, 0x7fff
	v_bfe_u32 v86, v16, 16, 1
	v_add3_u32 v83, v83, v15, 0x7fff
	v_or_b32_e32 v87, 0x400000, v16
	v_bfe_u32 v88, v17, 16, 1
	v_cndmask_b32_e64 v9, v81, v82, s0
	v_cmp_u_f32_e64 s0, v15, v15
	v_add3_u32 v86, v86, v16, 0x7fff
	v_or_b32_e32 v82, 0x400000, v17
	v_add3_u32 v81, v88, v17, 0x7fff
	v_mul_f32_e32 v79, s18, v79
	v_cndmask_b32_e64 v15, v83, v85, s0
	v_cmp_u_f32_e64 s0, v16, v16
	v_bfe_u32 v83, v80, 16, 1
	v_mul_f32_e32 v18, s18, v18
	v_lshrrev_b32_e32 v9, 16, v9
	v_lshrrev_b32_e32 v15, 16, v15
	v_cndmask_b32_e64 v16, v86, v87, s0
	v_cmp_u_f32_e64 s0, v17, v17
	v_or_b32_e32 v87, 0x400000, v18
	v_lshrrev_b32_e32 v16, 16, v16
	v_cndmask_b32_e64 v17, v81, v82, s0
	v_mul_f32_e32 v81, s18, v84
	v_add3_u32 v82, v83, v80, 0x7fff
	v_or_b32_e32 v83, 0x400000, v80
	v_bfe_u32 v84, v79, 16, 1
	v_cmp_u_f32_e64 s0, v80, v80
	v_bfe_u32 v85, v81, 16, 1
	v_or_b32_e32 v86, 0x400000, v81
	v_cndmask_b32_e64 v80, v82, v83, s0
	v_add3_u32 v83, v84, v79, 0x7fff
	v_or_b32_e32 v84, 0x400000, v79
	v_cmp_u_f32_e64 s0, v79, v79
	v_bfe_u32 v82, v18, 16, 1
	v_add3_u32 v85, v85, v81, 0x7fff
	v_lshrrev_b32_e32 v79, 16, v17
	v_lshrrev_b32_e32 v80, 16, v80
	v_cndmask_b32_e64 v83, v83, v84, s0
	v_cmp_u_f32_e64 s0, v81, v81
	v_add3_u32 v82, v82, v18, 0x7fff
	v_lshrrev_b32_e32 v81, 16, v83
	v_cndmask_b32_e64 v84, v85, v86, s0
	v_cmp_u_f32_e64 s0, v18, v18
	v_lshrrev_b32_e32 v18, 16, v84
	v_cndmask_b32_e64 v82, v82, v87, s0
	v_lshrrev_b32_e32 v17, 16, v82
	s_and_saveexec_b32 s0, vcc_lo
	s_cbranch_execz .LBB351_360
; %bb.672:                              ;   in Loop: Header=BB351_362 Depth=1
	v_cmp_gt_i32_e32 vcc_lo, s31, v49
	v_cndmask_b32_e32 v81, 0, v81, vcc_lo
	v_cmp_gt_i32_e32 vcc_lo, s31, v56
	v_cndmask_b32_e32 v80, 0, v80, vcc_lo
	;; [unrolled: 2-line block ×8, first 2 shown]
	s_branch .LBB351_360
.LBB351_673:
	s_or_b32 exec_lo, exec_lo, s13
.LBB351_674:
	s_or_b32 exec_lo, exec_lo, s1
	ds_bpermute_b32 v1, v24, v30
	ds_bpermute_b32 v2, v24, v28
	;; [unrolled: 1-line block ×5, first 2 shown]
	v_lshrrev_b32_e32 v6, 1, v23
	v_mul_u32_u24_e32 v8, 0x140, v33
	v_and_b32_e32 v11, 0x3c1, v0
	s_mov_b32 s0, exec_lo
	s_waitcnt lgkmcnt(0)
	s_waitcnt_vscnt null, 0x0
	v_lshl_add_u32 v7, v6, 2, 0xc0
	s_barrier
	buffer_gl0_inv
	v_add_f32_e32 v5, v30, v1
	v_add_f32_e32 v4, v28, v2
	;; [unrolled: 1-line block ×5, first 2 shown]
	v_cmpx_eq_u32_e32 64, v11
	s_cbranch_execz .LBB351_676
; %bb.675:
	v_add_nc_u32_e32 v9, v7, v8
	v_add_nc_u32_e32 v10, 0xfffffd80, v9
	v_add_nc_u32_e32 v11, 0xfffffdc0, v9
	v_add_nc_u32_e32 v12, 0xfffffe00, v9
	v_add_nc_u32_e32 v13, 0xfffffe40, v9
	v_add_nc_u32_e32 v9, 0xfffffe80, v9
	ds_write_b32 v10, v5
	ds_write_b32 v11, v4
	;; [unrolled: 1-line block ×5, first 2 shown]
.LBB351_676:
	s_or_b32 exec_lo, exec_lo, s0
	v_lshlrev_b32_e32 v6, 2, v6
	s_mov_b32 s1, exec_lo
	v_cmp_eq_u32_e32 vcc_lo, 0, v32
	s_waitcnt lgkmcnt(0)
	s_barrier
	v_add3_u32 v6, 0xc0, v8, v6
	buffer_gl0_inv
	v_cmpx_gt_u32_e32 64, v0
	s_cbranch_execz .LBB351_684
; %bb.677:
	s_and_saveexec_b32 s0, vcc_lo
	s_cbranch_execnz .LBB351_697
; %bb.678:
	s_or_b32 exec_lo, exec_lo, s0
	s_and_saveexec_b32 s0, vcc_lo
	s_cbranch_execnz .LBB351_698
.LBB351_679:
	s_or_b32 exec_lo, exec_lo, s0
	s_and_saveexec_b32 s0, vcc_lo
	s_cbranch_execnz .LBB351_699
.LBB351_680:
	s_or_b32 exec_lo, exec_lo, s0
	s_and_saveexec_b32 s0, vcc_lo
	s_cbranch_execnz .LBB351_700
.LBB351_681:
	s_or_b32 exec_lo, exec_lo, s0
	s_and_saveexec_b32 s0, vcc_lo
	s_cbranch_execz .LBB351_683
.LBB351_682:
	ds_read_b32 v8, v6 offset:256
	s_waitcnt lgkmcnt(0)
	v_add_f32_e32 v1, v1, v8
.LBB351_683:
	s_or_b32 exec_lo, exec_lo, s0
.LBB351_684:
	s_or_b32 exec_lo, exec_lo, s1
	v_and_b32_e32 v8, 0x3e1, v0
	s_mov_b32 s1, exec_lo
	s_barrier
	buffer_gl0_inv
	v_cmpx_eq_u32_e32 32, v8
	s_cbranch_execz .LBB351_686
; %bb.685:
	ds_write2_b32 v7, v5, v4 offset1:16
	ds_write2_b32 v7, v3, v2 offset0:32 offset1:48
	ds_write_b32 v7, v1 offset:256
.LBB351_686:
	s_or_b32 exec_lo, exec_lo, s1
	s_mov_b32 s1, exec_lo
	s_waitcnt lgkmcnt(0)
	s_barrier
	buffer_gl0_inv
	v_cmpx_gt_u32_e32 32, v0
	s_cbranch_execz .LBB351_694
; %bb.687:
	s_and_saveexec_b32 s0, vcc_lo
	s_cbranch_execnz .LBB351_701
; %bb.688:
	s_or_b32 exec_lo, exec_lo, s0
	s_and_saveexec_b32 s0, vcc_lo
	s_cbranch_execnz .LBB351_702
.LBB351_689:
	s_or_b32 exec_lo, exec_lo, s0
	s_and_saveexec_b32 s0, vcc_lo
	s_cbranch_execnz .LBB351_703
.LBB351_690:
	s_or_b32 exec_lo, exec_lo, s0
	s_and_saveexec_b32 s0, vcc_lo
	s_cbranch_execnz .LBB351_704
.LBB351_691:
	s_or_b32 exec_lo, exec_lo, s0
	s_and_saveexec_b32 s0, vcc_lo
	s_cbranch_execz .LBB351_693
.LBB351_692:
	ds_read_b32 v0, v6 offset:256
	s_waitcnt lgkmcnt(0)
	v_add_f32_e32 v1, v1, v0
.LBB351_693:
	s_or_b32 exec_lo, exec_lo, s0
.LBB351_694:
	s_or_b32 exec_lo, exec_lo, s1
	s_barrier
	buffer_gl0_inv
	s_mov_b32 s0, exec_lo
	v_cmpx_eq_u32_e32 0, v8
	s_cbranch_execz .LBB351_696
; %bb.695:
	v_bfe_u32 v0, v5, 16, 1
	v_bfe_u32 v6, v4, 16, 1
	v_or_b32_e32 v7, 0x400000, v5
	v_cmp_u_f32_e32 vcc_lo, v5, v5
	v_or_b32_e32 v9, 0x400000, v4
	v_add3_u32 v0, v0, v5, 0x7fff
	v_add3_u32 v6, v6, v4, 0x7fff
	v_bfe_u32 v5, v3, 16, 1
	s_mul_i32 s0, s2, 0x50
	s_mul_i32 s2, s7, s10
	v_cndmask_b32_e32 v0, v0, v7, vcc_lo
	v_cmp_u_f32_e32 vcc_lo, v4, v4
	s_ashr_i32 s1, s0, 31
	v_bfe_u32 v7, v2, 16, 1
	v_add3_u32 v5, v5, v3, 0x7fff
	s_lshl_b64 s[0:1], s[0:1], 1
	v_cndmask_b32_e32 v4, v6, v9, vcc_lo
	v_or_b32_e32 v9, 0x400000, v3
	v_cmp_u_f32_e32 vcc_lo, v3, v3
	s_add_u32 s4, s28, s0
	s_addc_u32 s1, s29, s1
	s_ashr_i32 s3, s2, 31
	v_bfe_u32 v6, v1, 16, 1
	v_add3_u32 v7, v7, v2, 0x7fff
	v_or_b32_e32 v10, 0x400000, v2
	v_cndmask_b32_e32 v3, v5, v9, vcc_lo
	v_cmp_u_f32_e32 vcc_lo, v2, v2
	s_lshl_b64 s[2:3], s[2:3], 1
	s_mul_i32 s0, s8, 0x50
	s_add_u32 s2, s4, s2
	s_addc_u32 s3, s1, s3
	s_ashr_i32 s1, s0, 31
	v_add3_u32 v6, v6, v1, 0x7fff
	v_or_b32_e32 v11, 0x400000, v1
	v_cndmask_b32_e32 v2, v7, v10, vcc_lo
	v_cmp_u_f32_e32 vcc_lo, v1, v1
	s_lshl_b64 s[0:1], s[0:1], 1
	v_lshlrev_b32_e32 v8, 1, v31
	s_add_u32 s0, s2, s0
	s_addc_u32 s1, s3, s1
	v_cndmask_b32_e32 v1, v6, v11, vcc_lo
	global_store_short_d16_hi v8, v0, s[0:1]
	global_store_short_d16_hi v8, v4, s[0:1] offset:32
	global_store_short_d16_hi v8, v3, s[0:1] offset:64
	;; [unrolled: 1-line block ×4, first 2 shown]
.LBB351_696:
	s_endpgm
.LBB351_697:
	ds_read_b32 v8, v6
	s_waitcnt lgkmcnt(0)
	v_add_f32_e32 v5, v5, v8
	s_or_b32 exec_lo, exec_lo, s0
	s_and_saveexec_b32 s0, vcc_lo
	s_cbranch_execz .LBB351_679
.LBB351_698:
	ds_read_b32 v8, v6 offset:64
	s_waitcnt lgkmcnt(0)
	v_add_f32_e32 v4, v4, v8
	s_or_b32 exec_lo, exec_lo, s0
	s_and_saveexec_b32 s0, vcc_lo
	s_cbranch_execz .LBB351_680
.LBB351_699:
	ds_read_b32 v8, v6 offset:128
	s_waitcnt lgkmcnt(0)
	v_add_f32_e32 v3, v3, v8
	s_or_b32 exec_lo, exec_lo, s0
	s_and_saveexec_b32 s0, vcc_lo
	s_cbranch_execz .LBB351_681
.LBB351_700:
	ds_read_b32 v8, v6 offset:192
	s_waitcnt lgkmcnt(0)
	v_add_f32_e32 v2, v2, v8
	s_or_b32 exec_lo, exec_lo, s0
	s_and_saveexec_b32 s0, vcc_lo
	s_cbranch_execnz .LBB351_682
	s_branch .LBB351_683
.LBB351_701:
	ds_read_b32 v0, v6
	s_waitcnt lgkmcnt(0)
	v_add_f32_e32 v5, v5, v0
	s_or_b32 exec_lo, exec_lo, s0
	s_and_saveexec_b32 s0, vcc_lo
	s_cbranch_execz .LBB351_689
.LBB351_702:
	ds_read_b32 v0, v6 offset:64
	s_waitcnt lgkmcnt(0)
	v_add_f32_e32 v4, v4, v0
	s_or_b32 exec_lo, exec_lo, s0
	s_and_saveexec_b32 s0, vcc_lo
	s_cbranch_execz .LBB351_690
.LBB351_703:
	ds_read_b32 v0, v6 offset:128
	s_waitcnt lgkmcnt(0)
	v_add_f32_e32 v3, v3, v0
	s_or_b32 exec_lo, exec_lo, s0
	s_and_saveexec_b32 s0, vcc_lo
	s_cbranch_execz .LBB351_691
.LBB351_704:
	ds_read_b32 v0, v6 offset:192
	s_waitcnt lgkmcnt(0)
	v_add_f32_e32 v2, v2, v0
	s_or_b32 exec_lo, exec_lo, s0
	s_and_saveexec_b32 s0, vcc_lo
	s_cbranch_execnz .LBB351_692
	s_branch .LBB351_693
	.section	.rodata,"a",@progbits
	.p2align	6, 0x0
	.amdhsa_kernel _ZN4vllm25paged_attention_v2_kernelI14__hip_bfloat16hLi80ELi16ELi128ELNS_18Fp8KVCacheDataTypeE1ELb1ELi512EEEvPfS3_PT_PKS4_PKT0_SA_ifPKiSC_iPKfiiiSE_SE_iiiii
		.amdhsa_group_segment_fixed_size 192
		.amdhsa_private_segment_fixed_size 0
		.amdhsa_kernarg_size 400
		.amdhsa_user_sgpr_count 6
		.amdhsa_user_sgpr_private_segment_buffer 1
		.amdhsa_user_sgpr_dispatch_ptr 0
		.amdhsa_user_sgpr_queue_ptr 0
		.amdhsa_user_sgpr_kernarg_segment_ptr 1
		.amdhsa_user_sgpr_dispatch_id 0
		.amdhsa_user_sgpr_flat_scratch_init 0
		.amdhsa_user_sgpr_private_segment_size 0
		.amdhsa_wavefront_size32 1
		.amdhsa_uses_dynamic_stack 0
		.amdhsa_system_sgpr_private_segment_wavefront_offset 0
		.amdhsa_system_sgpr_workgroup_id_x 1
		.amdhsa_system_sgpr_workgroup_id_y 1
		.amdhsa_system_sgpr_workgroup_id_z 1
		.amdhsa_system_sgpr_workgroup_info 0
		.amdhsa_system_vgpr_workitem_id 0
		.amdhsa_next_free_vgpr 112
		.amdhsa_next_free_sgpr 53
		.amdhsa_reserve_vcc 1
		.amdhsa_reserve_flat_scratch 0
		.amdhsa_float_round_mode_32 0
		.amdhsa_float_round_mode_16_64 0
		.amdhsa_float_denorm_mode_32 3
		.amdhsa_float_denorm_mode_16_64 3
		.amdhsa_dx10_clamp 1
		.amdhsa_ieee_mode 1
		.amdhsa_fp16_overflow 0
		.amdhsa_workgroup_processor_mode 1
		.amdhsa_memory_ordered 1
		.amdhsa_forward_progress 1
		.amdhsa_shared_vgpr_count 0
		.amdhsa_exception_fp_ieee_invalid_op 0
		.amdhsa_exception_fp_denorm_src 0
		.amdhsa_exception_fp_ieee_div_zero 0
		.amdhsa_exception_fp_ieee_overflow 0
		.amdhsa_exception_fp_ieee_underflow 0
		.amdhsa_exception_fp_ieee_inexact 0
		.amdhsa_exception_int_div_zero 0
	.end_amdhsa_kernel
	.section	.text._ZN4vllm25paged_attention_v2_kernelI14__hip_bfloat16hLi80ELi16ELi128ELNS_18Fp8KVCacheDataTypeE1ELb1ELi512EEEvPfS3_PT_PKS4_PKT0_SA_ifPKiSC_iPKfiiiSE_SE_iiiii,"axG",@progbits,_ZN4vllm25paged_attention_v2_kernelI14__hip_bfloat16hLi80ELi16ELi128ELNS_18Fp8KVCacheDataTypeE1ELb1ELi512EEEvPfS3_PT_PKS4_PKT0_SA_ifPKiSC_iPKfiiiSE_SE_iiiii,comdat
.Lfunc_end351:
	.size	_ZN4vllm25paged_attention_v2_kernelI14__hip_bfloat16hLi80ELi16ELi128ELNS_18Fp8KVCacheDataTypeE1ELb1ELi512EEEvPfS3_PT_PKS4_PKT0_SA_ifPKiSC_iPKfiiiSE_SE_iiiii, .Lfunc_end351-_ZN4vllm25paged_attention_v2_kernelI14__hip_bfloat16hLi80ELi16ELi128ELNS_18Fp8KVCacheDataTypeE1ELb1ELi512EEEvPfS3_PT_PKS4_PKT0_SA_ifPKiSC_iPKfiiiSE_SE_iiiii
                                        ; -- End function
	.set _ZN4vllm25paged_attention_v2_kernelI14__hip_bfloat16hLi80ELi16ELi128ELNS_18Fp8KVCacheDataTypeE1ELb1ELi512EEEvPfS3_PT_PKS4_PKT0_SA_ifPKiSC_iPKfiiiSE_SE_iiiii.num_vgpr, 112
	.set _ZN4vllm25paged_attention_v2_kernelI14__hip_bfloat16hLi80ELi16ELi128ELNS_18Fp8KVCacheDataTypeE1ELb1ELi512EEEvPfS3_PT_PKS4_PKT0_SA_ifPKiSC_iPKfiiiSE_SE_iiiii.num_agpr, 0
	.set _ZN4vllm25paged_attention_v2_kernelI14__hip_bfloat16hLi80ELi16ELi128ELNS_18Fp8KVCacheDataTypeE1ELb1ELi512EEEvPfS3_PT_PKS4_PKT0_SA_ifPKiSC_iPKfiiiSE_SE_iiiii.numbered_sgpr, 53
	.set _ZN4vllm25paged_attention_v2_kernelI14__hip_bfloat16hLi80ELi16ELi128ELNS_18Fp8KVCacheDataTypeE1ELb1ELi512EEEvPfS3_PT_PKS4_PKT0_SA_ifPKiSC_iPKfiiiSE_SE_iiiii.num_named_barrier, 0
	.set _ZN4vllm25paged_attention_v2_kernelI14__hip_bfloat16hLi80ELi16ELi128ELNS_18Fp8KVCacheDataTypeE1ELb1ELi512EEEvPfS3_PT_PKS4_PKT0_SA_ifPKiSC_iPKfiiiSE_SE_iiiii.private_seg_size, 0
	.set _ZN4vllm25paged_attention_v2_kernelI14__hip_bfloat16hLi80ELi16ELi128ELNS_18Fp8KVCacheDataTypeE1ELb1ELi512EEEvPfS3_PT_PKS4_PKT0_SA_ifPKiSC_iPKfiiiSE_SE_iiiii.uses_vcc, 1
	.set _ZN4vllm25paged_attention_v2_kernelI14__hip_bfloat16hLi80ELi16ELi128ELNS_18Fp8KVCacheDataTypeE1ELb1ELi512EEEvPfS3_PT_PKS4_PKT0_SA_ifPKiSC_iPKfiiiSE_SE_iiiii.uses_flat_scratch, 0
	.set _ZN4vllm25paged_attention_v2_kernelI14__hip_bfloat16hLi80ELi16ELi128ELNS_18Fp8KVCacheDataTypeE1ELb1ELi512EEEvPfS3_PT_PKS4_PKT0_SA_ifPKiSC_iPKfiiiSE_SE_iiiii.has_dyn_sized_stack, 0
	.set _ZN4vllm25paged_attention_v2_kernelI14__hip_bfloat16hLi80ELi16ELi128ELNS_18Fp8KVCacheDataTypeE1ELb1ELi512EEEvPfS3_PT_PKS4_PKT0_SA_ifPKiSC_iPKfiiiSE_SE_iiiii.has_recursion, 0
	.set _ZN4vllm25paged_attention_v2_kernelI14__hip_bfloat16hLi80ELi16ELi128ELNS_18Fp8KVCacheDataTypeE1ELb1ELi512EEEvPfS3_PT_PKS4_PKT0_SA_ifPKiSC_iPKfiiiSE_SE_iiiii.has_indirect_call, 0
	.section	.AMDGPU.csdata,"",@progbits
; Kernel info:
; codeLenInByte = 26576
; TotalNumSgprs: 55
; NumVgprs: 112
; ScratchSize: 0
; MemoryBound: 0
; FloatMode: 240
; IeeeMode: 1
; LDSByteSize: 192 bytes/workgroup (compile time only)
; SGPRBlocks: 0
; VGPRBlocks: 13
; NumSGPRsForWavesPerEU: 55
; NumVGPRsForWavesPerEU: 112
; Occupancy: 9
; WaveLimiterHint : 1
; COMPUTE_PGM_RSRC2:SCRATCH_EN: 0
; COMPUTE_PGM_RSRC2:USER_SGPR: 6
; COMPUTE_PGM_RSRC2:TRAP_HANDLER: 0
; COMPUTE_PGM_RSRC2:TGID_X_EN: 1
; COMPUTE_PGM_RSRC2:TGID_Y_EN: 1
; COMPUTE_PGM_RSRC2:TGID_Z_EN: 1
; COMPUTE_PGM_RSRC2:TIDIG_COMP_CNT: 0
	.section	.text._ZN4vllm25paged_attention_v2_kernelI14__hip_bfloat16hLi96ELi16ELi128ELNS_18Fp8KVCacheDataTypeE1ELb1ELi512EEEvPfS3_PT_PKS4_PKT0_SA_ifPKiSC_iPKfiiiSE_SE_iiiii,"axG",@progbits,_ZN4vllm25paged_attention_v2_kernelI14__hip_bfloat16hLi96ELi16ELi128ELNS_18Fp8KVCacheDataTypeE1ELb1ELi512EEEvPfS3_PT_PKS4_PKT0_SA_ifPKiSC_iPKfiiiSE_SE_iiiii,comdat
	.protected	_ZN4vllm25paged_attention_v2_kernelI14__hip_bfloat16hLi96ELi16ELi128ELNS_18Fp8KVCacheDataTypeE1ELb1ELi512EEEvPfS3_PT_PKS4_PKT0_SA_ifPKiSC_iPKfiiiSE_SE_iiiii ; -- Begin function _ZN4vllm25paged_attention_v2_kernelI14__hip_bfloat16hLi96ELi16ELi128ELNS_18Fp8KVCacheDataTypeE1ELb1ELi512EEEvPfS3_PT_PKS4_PKT0_SA_ifPKiSC_iPKfiiiSE_SE_iiiii
	.globl	_ZN4vllm25paged_attention_v2_kernelI14__hip_bfloat16hLi96ELi16ELi128ELNS_18Fp8KVCacheDataTypeE1ELb1ELi512EEEvPfS3_PT_PKS4_PKT0_SA_ifPKiSC_iPKfiiiSE_SE_iiiii
	.p2align	8
	.type	_ZN4vllm25paged_attention_v2_kernelI14__hip_bfloat16hLi96ELi16ELi128ELNS_18Fp8KVCacheDataTypeE1ELb1ELi512EEEvPfS3_PT_PKS4_PKT0_SA_ifPKiSC_iPKfiiiSE_SE_iiiii,@function
_ZN4vllm25paged_attention_v2_kernelI14__hip_bfloat16hLi96ELi16ELi128ELNS_18Fp8KVCacheDataTypeE1ELb1ELi512EEEvPfS3_PT_PKS4_PKT0_SA_ifPKiSC_iPKfiiiSE_SE_iiiii: ; @_ZN4vllm25paged_attention_v2_kernelI14__hip_bfloat16hLi96ELi16ELi128ELNS_18Fp8KVCacheDataTypeE1ELb1ELi512EEEvPfS3_PT_PKS4_PKT0_SA_ifPKiSC_iPKfiiiSE_SE_iiiii
; %bb.0:
	s_load_dwordx2 s[0:1], s[4:5], 0x40
	s_mov_b32 s30, s7
	s_ashr_i32 s31, s7, 31
	s_lshl_b64 s[2:3], s[30:31], 2
	s_waitcnt lgkmcnt(0)
	s_add_u32 s0, s0, s2
	s_addc_u32 s1, s1, s3
	s_lshl_b32 s42, s8, 9
	s_load_dword s31, s[0:1], 0x0
	s_waitcnt lgkmcnt(0)
	s_cmp_ge_i32 s42, s31
	s_cbranch_scc1 .LBB352_824
; %bb.1:
	s_clause 0x1
	s_load_dword s9, s[4:5], 0x90
	s_load_dwordx2 s[40:41], s[4:5], 0x30
	s_mov_b32 s43, 0
	s_waitcnt lgkmcnt(0)
	s_abs_i32 s3, s9
	s_abs_i32 s0, s40
	v_cvt_f32_u32_e32 v1, s0
	s_sub_i32 s2, 0, s0
	v_rcp_iflag_f32_e32 v1, v1
	v_mul_f32_e32 v1, 0x4f7ffffe, v1
	v_cvt_u32_f32_e32 v1, v1
	v_readfirstlane_b32 s1, v1
	s_mul_i32 s2, s2, s1
	s_mul_hi_u32 s2, s1, s2
	s_add_i32 s1, s1, s2
	s_xor_b32 s2, s9, s40
	s_mul_hi_u32 s1, s3, s1
	s_ashr_i32 s2, s2, 31
	s_mul_i32 s7, s1, s0
	s_sub_i32 s3, s3, s7
	s_add_i32 s7, s1, 1
	s_sub_i32 s10, s3, s0
	s_cmp_ge_u32 s3, s0
	s_cselect_b32 s1, s7, s1
	s_cselect_b32 s3, s10, s3
	s_add_i32 s7, s1, 1
	s_cmp_ge_u32 s3, s0
	s_cselect_b32 s0, s7, s1
	s_xor_b32 s0, s0, s2
	s_sub_i32 s10, s0, s2
	s_load_dwordx2 s[0:1], s[4:5], 0x50
	s_abs_i32 s2, s10
	v_cvt_f32_u32_e32 v1, s2
	s_sub_i32 s3, 0, s2
	v_rcp_iflag_f32_e32 v1, v1
	v_mul_f32_e32 v1, 0x4f7ffffe, v1
	v_cvt_u32_f32_e32 v1, v1
	v_readfirstlane_b32 s7, v1
	s_mul_i32 s3, s3, s7
	s_mul_hi_u32 s11, s7, s3
	s_abs_i32 s3, s6
	s_add_i32 s7, s7, s11
	s_waitcnt lgkmcnt(0)
	s_cmp_eq_u64 s[0:1], 0
	s_mul_hi_u32 s12, s3, s7
	s_cbranch_scc1 .LBB352_3
; %bb.2:
	s_ashr_i32 s7, s6, 31
	s_lshl_b64 s[14:15], s[6:7], 2
	s_add_u32 s0, s0, s14
	s_addc_u32 s1, s1, s15
	s_load_dword s43, s[0:1], 0x0
.LBB352_3:
	s_load_dwordx4 s[16:19], s[4:5], 0x58
	v_lshrrev_b32_e32 v35, 1, v0
	v_and_b32_e32 v36, 1, v0
	v_lshlrev_b32_e32 v39, 3, v0
	s_ashr_i32 s0, s6, 31
	s_ashr_i32 s1, s10, 31
	s_mul_i32 s10, s6, 0x60
	s_mov_b32 s7, exec_lo
	v_cmpx_gt_u32_e32 24, v0
	s_cbranch_execz .LBB352_5
; %bb.4:
	s_load_dwordx2 s[14:15], s[4:5], 0x18
	s_waitcnt lgkmcnt(0)
	s_mul_i32 s20, s16, s30
	v_lshlrev_b32_e32 v3, 3, v35
	s_ashr_i32 s21, s20, 31
	s_lshl_b64 s[20:21], s[20:21], 1
	v_mad_u32_u24 v3, 0x60, v36, v3
	s_add_u32 s13, s14, s20
	s_addc_u32 s16, s15, s21
	s_ashr_i32 s11, s10, 31
	s_lshl_b64 s[14:15], s[10:11], 1
	s_add_u32 s14, s13, s14
	s_addc_u32 s15, s16, s15
	global_load_dwordx2 v[1:2], v39, s[14:15]
	s_waitcnt vmcnt(0)
	ds_write_b64 v3, v[1:2]
.LBB352_5:
	s_or_b32 exec_lo, exec_lo, s7
	s_load_dwordx4 s[20:23], s[4:5], 0x78
	s_mul_i32 s7, s12, s2
	s_xor_b32 s0, s0, s1
	s_sub_i32 s1, s3, s7
	s_add_i32 s3, s12, 1
	s_sub_i32 s7, s1, s2
	s_cmp_ge_u32 s1, s2
                                        ; implicit-def: $sgpr19
	s_cselect_b32 s3, s3, s12
	s_cselect_b32 s1, s7, s1
	s_add_i32 s7, s3, 1
	s_cmp_ge_u32 s1, s2
	s_mov_b32 s12, -1
	s_cselect_b32 s1, s7, s3
	s_load_dword s3, s[4:5], 0x88
	s_xor_b32 s1, s1, s0
	s_add_i32 s7, s31, -1
	s_sub_i32 s1, s1, s0
	s_abs_i32 s2, s7
	s_waitcnt lgkmcnt(0)
	s_abs_i32 s11, s23
	s_barrier
	v_cvt_f32_u32_e32 v1, s11
	s_sub_i32 s0, 0, s11
	buffer_gl0_inv
	v_rcp_iflag_f32_e32 v1, v1
	v_mul_f32_e32 v1, 0x4f7ffffe, v1
	v_cvt_u32_f32_e32 v1, v1
	v_readfirstlane_b32 s16, v1
	s_mul_i32 s0, s0, s16
	s_mul_hi_u32 s0, s16, s0
	s_add_i32 s16, s16, s0
	s_cmp_lt_i32 s3, 0
	s_mul_hi_u32 s0, s2, s16
	s_cbranch_scc0 .LBB352_7
; %bb.6:
	s_mul_i32 s12, s20, s40
	s_add_i32 s12, s1, s12
	s_mul_i32 s12, s12, s3
	s_sub_i32 s19, 1, s12
	s_mov_b32 s12, 0
.LBB352_7:
	s_load_dwordx2 s[34:35], s[4:5], 0x38
	s_ashr_i32 s33, s7, 31
	s_andn2_b32 vcc_lo, exec_lo, s12
	s_ashr_i32 s23, s23, 31
	s_cbranch_vccnz .LBB352_9
; %bb.8:
	s_mul_i32 s7, s9, s20
	s_add_i32 s7, s7, s6
	s_mul_i32 s3, s7, s3
	s_add_i32 s19, s3, 1
.LBB352_9:
	s_clause 0x5
	s_load_dword s3, s[4:5], 0x48
	s_load_dwordx2 s[38:39], s[4:5], 0x28
	s_load_dwordx4 s[24:27], s[4:5], 0x0
	s_load_dwordx2 s[28:29], s[4:5], 0x10
	s_load_dword s7, s[4:5], 0x98
	s_load_dwordx4 s[12:15], s[4:5], 0x68
	s_mul_i32 s20, s0, s11
	s_xor_b32 s40, s33, s23
	s_sub_i32 s2, s2, s20
	s_add_i32 s33, s0, 1
	v_lshrrev_b32_e32 v37, 5, v0
	v_mov_b32_e32 v41, 0xff7fffff
	v_mbcnt_lo_u32_b32 v40, -1, 0
	s_mul_i32 s18, s1, s18
	v_lshl_add_u32 v38, v37, 4, s42
	s_waitcnt lgkmcnt(0)
	s_mul_i32 s36, s3, s30
	s_sub_i32 s3, s2, s11
	s_ashr_i32 s37, s36, 31
	s_cmp_ge_u32 s2, s11
	s_cselect_b32 s0, s33, s0
	s_cselect_b32 s2, s3, s2
	s_add_i32 s3, s0, 1
	s_cmp_ge_u32 s2, s11
	s_cselect_b32 s0, s3, s0
	s_add_i32 s2, s31, 15
	s_lshl_b32 s44, s8, 5
	s_ashr_i32 s3, s2, 31
	v_or_b32_e32 v25, s44, v37
	s_lshr_b32 s3, s3, 28
	s_add_i32 s2, s2, s3
	s_add_i32 s3, s44, 32
	s_ashr_i32 s33, s2, 4
	s_xor_b32 s2, s0, s40
	s_min_i32 s20, s3, s33
	v_ashrrev_i32_e32 v26, 31, v25
	v_cmp_gt_i32_e64 s0, s20, v25
	s_sub_i32 s40, s2, s40
	s_and_saveexec_b32 s45, s0
	s_cbranch_execz .LBB352_405
; %bb.10:
	s_load_dwordx2 s[2:3], s[4:5], 0x20
	s_sub_i32 s4, s40, s21
	s_ashr_i32 s1, s18, 31
	v_bfe_u32 v42, v0, 1, 4
	v_lshlrev_b32_e32 v3, 2, v36
	v_mov_b32_e32 v28, 0
	v_mul_u32_u24_e32 v43, 0x60, v36
	v_lshl_add_u32 v44, v37, 4, s42
	v_lshlrev_b32_e32 v5, 2, v42
	v_subrev_nc_u32_e32 v6, s31, v42
	v_lshlrev_b32_e32 v7, 4, v42
	v_mov_b32_e32 v45, 0xff7fffff
	v_mov_b32_e32 v46, 0x80
	v_lshl_or_b32 v5, v37, 6, v5
	v_add_nc_u32_e32 v51, 1, v6
	v_mov_b32_e32 v47, 0xffff
	v_mov_b32_e32 v48, 0xff
	;; [unrolled: 1-line block ×3, first 2 shown]
	v_add_nc_u32_e32 v52, 0xe0, v5
	v_mov_b32_e32 v50, 24
	s_waitcnt lgkmcnt(0)
	s_add_u32 s46, s2, s18
	s_addc_u32 s47, s3, s1
	s_abs_i32 s5, s22
	v_add_co_u32 v6, s46, s46, v7
	v_cvt_f32_u32_e32 v1, s5
	s_sub_i32 s2, 0, s5
	v_add_co_ci_u32_e64 v7, null, s47, 0, s46
	v_cmp_neq_f32_e64 s1, s43, 0
	v_rcp_iflag_f32_e32 v4, v1
	v_lshlrev_b64 v[1:2], 2, v[25:26]
	v_mov_b32_e32 v41, 0xff7fffff
	v_mov_b32_e32 v54, v25
	s_mov_b32 s46, 0
	s_mov_b32 s47, s17
	v_cmp_eq_u32_e32 vcc_lo, 0, v36
	v_mul_f32_e32 v4, 0x4f7ffffe, v4
	v_cvt_u32_f32_e32 v4, v4
	v_mul_lo_u32 v5, s2, v4
	s_lshl_b64 s[2:3], s[36:37], 2
	s_add_u32 s2, s34, s2
	s_addc_u32 s3, s35, s3
	v_add_co_u32 v29, s2, s2, v1
	v_add_co_ci_u32_e64 v30, null, s3, v2, s2
	v_mul_hi_u32 v5, v4, v5
	v_add_co_u32 v31, s2, v6, v3
	v_add_co_ci_u32_e64 v32, null, 0, v7, s2
	v_add_nc_u32_e32 v53, v4, v5
	s_branch .LBB352_13
.LBB352_11:                             ;   in Loop: Header=BB352_13 Depth=1
	s_or_b32 exec_lo, exec_lo, s3
.LBB352_12:                             ;   in Loop: Header=BB352_13 Depth=1
	s_or_b32 exec_lo, exec_lo, s48
	v_add_nc_u32_e32 v54, 4, v54
	v_add_co_u32 v29, s3, v29, 16
	v_add_co_ci_u32_e64 v30, null, 0, v30, s3
	v_cmp_le_i32_e64 s2, s20, v54
	v_add_nc_u32_e32 v44, 64, v44
	v_add_nc_u32_e32 v52, 0x100, v52
	s_or_b32 s46, s2, s46
	s_andn2_b32 exec_lo, exec_lo, s46
	s_cbranch_execz .LBB352_404
.LBB352_13:                             ; =>This Inner Loop Header: Depth=1
	v_sub_nc_u32_e32 v1, 0, v44
	v_max_i32_e32 v1, v44, v1
	s_waitcnt lgkmcnt(0)
	v_mul_hi_u32 v2, v1, s16
	v_mul_lo_u32 v3, v2, s11
	v_sub_nc_u32_e32 v1, v1, v3
	v_add_nc_u32_e32 v3, 1, v2
	v_subrev_nc_u32_e32 v4, s11, v1
	v_cmp_le_u32_e64 s2, s11, v1
	v_cndmask_b32_e64 v2, v2, v3, s2
	v_cndmask_b32_e64 v1, v1, v4, s2
	v_ashrrev_i32_e32 v3, 31, v44
	v_add_nc_u32_e32 v4, 1, v2
	v_cmp_le_u32_e64 s2, s11, v1
	v_xor_b32_e32 v3, s23, v3
	v_cndmask_b32_e64 v1, v2, v4, s2
	v_xor_b32_e32 v1, v1, v3
	v_sub_nc_u32_e32 v1, v1, v3
	v_add_nc_u32_e32 v2, s19, v1
	v_cmp_ge_i32_e64 s3, s4, v1
	v_sub_nc_u32_e32 v3, 0, v2
	v_max_i32_e32 v3, v2, v3
	v_ashrrev_i32_e32 v2, 31, v2
	v_mul_hi_u32 v4, v3, v53
	v_mul_lo_u32 v4, v4, s5
	v_sub_nc_u32_e32 v3, v3, v4
	v_subrev_nc_u32_e32 v4, s5, v3
	v_cmp_le_u32_e64 s2, s5, v3
	v_cndmask_b32_e64 v3, v3, v4, s2
	v_subrev_nc_u32_e32 v4, s5, v3
	v_cmp_le_u32_e64 s2, s5, v3
	v_cndmask_b32_e64 v3, v3, v4, s2
	v_xor_b32_e32 v3, v3, v2
	v_sub_nc_u32_e32 v2, v3, v2
	v_cmp_ne_u32_e64 s2, 0, v2
	s_and_b32 s2, s2, s3
	s_and_saveexec_b32 s3, s2
	s_xor_b32 s2, exec_lo, s3
	s_cbranch_execz .LBB352_17
; %bb.14:                               ;   in Loop: Header=BB352_13 Depth=1
	s_and_saveexec_b32 s3, vcc_lo
; %bb.15:                               ;   in Loop: Header=BB352_13 Depth=1
	ds_write_b32 v52, v45
; %bb.16:                               ;   in Loop: Header=BB352_13 Depth=1
	s_or_b32 exec_lo, exec_lo, s3
.LBB352_17:                             ;   in Loop: Header=BB352_13 Depth=1
	s_andn2_saveexec_b32 s48, s2
	s_cbranch_execz .LBB352_12
; %bb.18:                               ;   in Loop: Header=BB352_13 Depth=1
	global_load_dword v1, v[29:30], off
	v_mov_b32_e32 v55, 0
	v_mov_b32_e32 v56, 0
	s_waitcnt vmcnt(0)
	v_mad_i64_i32 v[33:34], null, v1, s47, v[31:32]
	global_load_dword v59, v[33:34], off
	ds_read_b128 v[21:24], v43
	ds_read_b128 v[17:20], v43 offset:16
	ds_read_b128 v[13:16], v43 offset:32
	;; [unrolled: 1-line block ×5, first 2 shown]
	s_load_dword s49, s[12:13], 0x0
	s_waitcnt vmcnt(0)
	v_cmp_ne_u16_sdwa s2, v59, v28 src0_sel:BYTE_0 src1_sel:DWORD
	s_and_saveexec_b32 s3, s2
	s_cbranch_execz .LBB352_26
; %bb.19:                               ;   in Loop: Header=BB352_13 Depth=1
	v_cmp_ne_u16_sdwa s2, v59, v46 src0_sel:BYTE_0 src1_sel:DWORD
	v_bfrev_b32_e32 v56, 1
	s_and_saveexec_b32 s50, s2
	s_cbranch_execz .LBB352_25
; %bb.20:                               ;   in Loop: Header=BB352_13 Depth=1
	v_and_b32_e32 v57, 0x7f, v59
	v_mov_b32_e32 v56, 0x7f800001
	s_mov_b32 s51, exec_lo
	v_cmpx_ne_u32_e32 0x7f, v57
	s_cbranch_execz .LBB352_24
; %bb.21:                               ;   in Loop: Header=BB352_13 Depth=1
	v_and_b32_e32 v27, 7, v59
	v_lshrrev_b32_e32 v56, 3, v57
	s_mov_b32 s52, exec_lo
	v_cmpx_gt_u32_e32 8, v57
; %bb.22:                               ;   in Loop: Header=BB352_13 Depth=1
	v_ffbh_u32_e32 v56, v27
	v_min_u32_e32 v56, 32, v56
	v_subrev_nc_u32_e32 v57, 28, v56
	v_sub_nc_u32_e32 v56, 29, v56
	v_lshlrev_b64 v[57:58], v57, v[27:28]
	v_and_b32_e32 v27, 7, v57
; %bb.23:                               ;   in Loop: Header=BB352_13 Depth=1
	s_or_b32 exec_lo, exec_lo, s52
	v_lshlrev_b32_e32 v57, 24, v59
	v_lshlrev_b32_e32 v27, 20, v27
	v_lshl_add_u32 v56, v56, 23, 0x3c000000
	v_and_b32_e32 v57, 0x80000000, v57
	v_or3_b32 v56, v27, v57, v56
.LBB352_24:                             ;   in Loop: Header=BB352_13 Depth=1
	s_or_b32 exec_lo, exec_lo, s51
.LBB352_25:                             ;   in Loop: Header=BB352_13 Depth=1
	s_or_b32 exec_lo, exec_lo, s50
.LBB352_26:                             ;   in Loop: Header=BB352_13 Depth=1
	s_or_b32 exec_lo, exec_lo, s3
	v_cmp_ne_u16_sdwa s2, v59, v28 src0_sel:BYTE_1 src1_sel:DWORD
	s_and_saveexec_b32 s3, s2
	s_cbranch_execz .LBB352_34
; %bb.27:                               ;   in Loop: Header=BB352_13 Depth=1
	v_cmp_ne_u16_sdwa s2, v59, v46 src0_sel:BYTE_1 src1_sel:DWORD
	v_bfrev_b32_e32 v55, 1
	s_and_saveexec_b32 s50, s2
	s_cbranch_execz .LBB352_33
; %bb.28:                               ;   in Loop: Header=BB352_13 Depth=1
	v_and_b32_sdwa v27, v47, v59 dst_sel:DWORD dst_unused:UNUSED_PAD src0_sel:DWORD src1_sel:BYTE_1
	v_mov_b32_e32 v55, 0x7f800001
	s_mov_b32 s51, exec_lo
	v_and_b32_e32 v57, 0x7f, v27
	v_cmpx_ne_u32_e32 0x7f, v57
	s_cbranch_execz .LBB352_32
; %bb.29:                               ;   in Loop: Header=BB352_13 Depth=1
	v_and_b32_e32 v27, 7, v27
	v_lshrrev_b32_e32 v55, 3, v57
	s_mov_b32 s52, exec_lo
	v_cmpx_gt_u32_e32 8, v57
; %bb.30:                               ;   in Loop: Header=BB352_13 Depth=1
	v_ffbh_u32_e32 v55, v27
	v_min_u32_e32 v55, 32, v55
	v_subrev_nc_u32_e32 v57, 28, v55
	v_sub_nc_u32_e32 v55, 29, v55
	v_lshlrev_b64 v[57:58], v57, v[27:28]
	v_and_b32_e32 v27, 7, v57
; %bb.31:                               ;   in Loop: Header=BB352_13 Depth=1
	s_or_b32 exec_lo, exec_lo, s52
	v_lshlrev_b32_e32 v57, 16, v59
	v_lshlrev_b32_e32 v27, 20, v27
	v_lshl_add_u32 v55, v55, 23, 0x3c000000
	v_and_b32_e32 v57, 0x80000000, v57
	v_or3_b32 v55, v27, v57, v55
.LBB352_32:                             ;   in Loop: Header=BB352_13 Depth=1
	s_or_b32 exec_lo, exec_lo, s51
.LBB352_33:                             ;   in Loop: Header=BB352_13 Depth=1
	s_or_b32 exec_lo, exec_lo, s50
.LBB352_34:                             ;   in Loop: Header=BB352_13 Depth=1
	s_or_b32 exec_lo, exec_lo, s3
	v_and_b32_sdwa v27, v59, v48 dst_sel:DWORD dst_unused:UNUSED_PAD src0_sel:WORD_1 src1_sel:DWORD
	v_mov_b32_e32 v57, 0
	v_mov_b32_e32 v58, 0
	s_mov_b32 s3, exec_lo
	v_cmpx_ne_u16_e32 0, v27
	s_cbranch_execz .LBB352_42
; %bb.35:                               ;   in Loop: Header=BB352_13 Depth=1
	v_bfrev_b32_e32 v58, 1
	s_mov_b32 s50, exec_lo
	v_cmpx_ne_u16_e32 0x80, v27
	s_cbranch_execz .LBB352_41
; %bb.36:                               ;   in Loop: Header=BB352_13 Depth=1
	v_bfe_u32 v60, v59, 16, 7
	v_mov_b32_e32 v58, 0x7f800001
	s_mov_b32 s51, exec_lo
	v_cmpx_ne_u32_e32 0x7f, v60
	s_cbranch_execz .LBB352_40
; %bb.37:                               ;   in Loop: Header=BB352_13 Depth=1
	v_and_b32_sdwa v27, v59, v49 dst_sel:DWORD dst_unused:UNUSED_PAD src0_sel:WORD_1 src1_sel:DWORD
	v_lshrrev_b32_e32 v58, 3, v60
	s_mov_b32 s52, exec_lo
	v_cmpx_gt_u32_e32 8, v60
; %bb.38:                               ;   in Loop: Header=BB352_13 Depth=1
	v_ffbh_u32_e32 v58, v27
	v_min_u32_e32 v58, 32, v58
	v_subrev_nc_u32_e32 v60, 28, v58
	v_sub_nc_u32_e32 v58, 29, v58
	v_lshlrev_b64 v[60:61], v60, v[27:28]
	v_and_b32_e32 v27, 7, v60
; %bb.39:                               ;   in Loop: Header=BB352_13 Depth=1
	s_or_b32 exec_lo, exec_lo, s52
	v_lshlrev_b32_sdwa v60, v50, v59 dst_sel:DWORD dst_unused:UNUSED_PAD src0_sel:DWORD src1_sel:WORD_1
	v_lshlrev_b32_e32 v27, 20, v27
	v_lshl_add_u32 v58, v58, 23, 0x3c000000
	v_and_b32_e32 v60, 0x80000000, v60
	v_or3_b32 v58, v27, v60, v58
.LBB352_40:                             ;   in Loop: Header=BB352_13 Depth=1
	s_or_b32 exec_lo, exec_lo, s51
.LBB352_41:                             ;   in Loop: Header=BB352_13 Depth=1
	s_or_b32 exec_lo, exec_lo, s50
.LBB352_42:                             ;   in Loop: Header=BB352_13 Depth=1
	s_or_b32 exec_lo, exec_lo, s3
	s_mov_b32 s3, exec_lo
	v_cmpx_lt_u32_e32 0xffffff, v59
	s_cbranch_execz .LBB352_50
; %bb.43:                               ;   in Loop: Header=BB352_13 Depth=1
	v_cmp_ne_u32_sdwa s2, v59, v46 src0_sel:BYTE_3 src1_sel:DWORD
	v_bfrev_b32_e32 v57, 1
	s_and_saveexec_b32 s50, s2
	s_cbranch_execz .LBB352_49
; %bb.44:                               ;   in Loop: Header=BB352_13 Depth=1
	v_bfe_u32 v60, v59, 24, 7
	v_mov_b32_e32 v57, 0x7f800001
	s_mov_b32 s51, exec_lo
	v_cmpx_ne_u32_e32 0x7f, v60
	s_cbranch_execz .LBB352_48
; %bb.45:                               ;   in Loop: Header=BB352_13 Depth=1
	v_and_b32_sdwa v27, v59, v49 dst_sel:DWORD dst_unused:UNUSED_PAD src0_sel:BYTE_3 src1_sel:DWORD
	v_lshrrev_b32_e32 v57, 3, v60
	s_mov_b32 s52, exec_lo
	v_cmpx_gt_u32_e32 8, v60
; %bb.46:                               ;   in Loop: Header=BB352_13 Depth=1
	v_ffbh_u32_e32 v57, v27
	v_min_u32_e32 v57, 32, v57
	v_subrev_nc_u32_e32 v60, 28, v57
	v_sub_nc_u32_e32 v57, 29, v57
	v_lshlrev_b64 v[60:61], v60, v[27:28]
	v_and_b32_e32 v27, 7, v60
; %bb.47:                               ;   in Loop: Header=BB352_13 Depth=1
	s_or_b32 exec_lo, exec_lo, s52
	v_lshlrev_b32_sdwa v59, v50, v59 dst_sel:DWORD dst_unused:UNUSED_PAD src0_sel:DWORD src1_sel:BYTE_3
	v_lshlrev_b32_e32 v27, 20, v27
	v_lshl_add_u32 v57, v57, 23, 0x3c000000
	v_and_b32_e32 v59, 0x80000000, v59
	v_or3_b32 v57, v27, v59, v57
.LBB352_48:                             ;   in Loop: Header=BB352_13 Depth=1
	s_or_b32 exec_lo, exec_lo, s51
.LBB352_49:                             ;   in Loop: Header=BB352_13 Depth=1
	s_or_b32 exec_lo, exec_lo, s50
.LBB352_50:                             ;   in Loop: Header=BB352_13 Depth=1
	s_or_b32 exec_lo, exec_lo, s3
	global_load_dword v63, v[33:34], off offset:8
	v_mov_b32_e32 v59, 0
	v_mov_b32_e32 v60, 0
	s_waitcnt vmcnt(0)
	v_cmp_ne_u16_sdwa s2, v63, v28 src0_sel:BYTE_0 src1_sel:DWORD
	s_and_saveexec_b32 s3, s2
	s_cbranch_execz .LBB352_58
; %bb.51:                               ;   in Loop: Header=BB352_13 Depth=1
	v_cmp_ne_u16_sdwa s2, v63, v46 src0_sel:BYTE_0 src1_sel:DWORD
	v_bfrev_b32_e32 v60, 1
	s_and_saveexec_b32 s50, s2
	s_cbranch_execz .LBB352_57
; %bb.52:                               ;   in Loop: Header=BB352_13 Depth=1
	v_and_b32_e32 v61, 0x7f, v63
	v_mov_b32_e32 v60, 0x7f800001
	s_mov_b32 s51, exec_lo
	v_cmpx_ne_u32_e32 0x7f, v61
	s_cbranch_execz .LBB352_56
; %bb.53:                               ;   in Loop: Header=BB352_13 Depth=1
	v_and_b32_e32 v27, 7, v63
	v_lshrrev_b32_e32 v60, 3, v61
	s_mov_b32 s52, exec_lo
	v_cmpx_gt_u32_e32 8, v61
; %bb.54:                               ;   in Loop: Header=BB352_13 Depth=1
	v_ffbh_u32_e32 v60, v27
	v_min_u32_e32 v60, 32, v60
	v_subrev_nc_u32_e32 v61, 28, v60
	v_sub_nc_u32_e32 v60, 29, v60
	v_lshlrev_b64 v[61:62], v61, v[27:28]
	v_and_b32_e32 v27, 7, v61
; %bb.55:                               ;   in Loop: Header=BB352_13 Depth=1
	s_or_b32 exec_lo, exec_lo, s52
	v_lshlrev_b32_e32 v61, 24, v63
	v_lshlrev_b32_e32 v27, 20, v27
	v_lshl_add_u32 v60, v60, 23, 0x3c000000
	v_and_b32_e32 v61, 0x80000000, v61
	v_or3_b32 v60, v27, v61, v60
.LBB352_56:                             ;   in Loop: Header=BB352_13 Depth=1
	s_or_b32 exec_lo, exec_lo, s51
.LBB352_57:                             ;   in Loop: Header=BB352_13 Depth=1
	s_or_b32 exec_lo, exec_lo, s50
.LBB352_58:                             ;   in Loop: Header=BB352_13 Depth=1
	s_or_b32 exec_lo, exec_lo, s3
	v_cmp_ne_u16_sdwa s2, v63, v28 src0_sel:BYTE_1 src1_sel:DWORD
	s_and_saveexec_b32 s3, s2
	s_cbranch_execz .LBB352_66
; %bb.59:                               ;   in Loop: Header=BB352_13 Depth=1
	v_cmp_ne_u16_sdwa s2, v63, v46 src0_sel:BYTE_1 src1_sel:DWORD
	v_bfrev_b32_e32 v59, 1
	s_and_saveexec_b32 s50, s2
	s_cbranch_execz .LBB352_65
; %bb.60:                               ;   in Loop: Header=BB352_13 Depth=1
	v_and_b32_sdwa v27, v47, v63 dst_sel:DWORD dst_unused:UNUSED_PAD src0_sel:DWORD src1_sel:BYTE_1
	v_mov_b32_e32 v59, 0x7f800001
	s_mov_b32 s51, exec_lo
	v_and_b32_e32 v61, 0x7f, v27
	v_cmpx_ne_u32_e32 0x7f, v61
	s_cbranch_execz .LBB352_64
; %bb.61:                               ;   in Loop: Header=BB352_13 Depth=1
	v_and_b32_e32 v27, 7, v27
	v_lshrrev_b32_e32 v59, 3, v61
	s_mov_b32 s52, exec_lo
	v_cmpx_gt_u32_e32 8, v61
; %bb.62:                               ;   in Loop: Header=BB352_13 Depth=1
	v_ffbh_u32_e32 v59, v27
	v_min_u32_e32 v59, 32, v59
	v_subrev_nc_u32_e32 v61, 28, v59
	v_sub_nc_u32_e32 v59, 29, v59
	v_lshlrev_b64 v[61:62], v61, v[27:28]
	v_and_b32_e32 v27, 7, v61
; %bb.63:                               ;   in Loop: Header=BB352_13 Depth=1
	s_or_b32 exec_lo, exec_lo, s52
	v_lshlrev_b32_e32 v61, 16, v63
	v_lshlrev_b32_e32 v27, 20, v27
	v_lshl_add_u32 v59, v59, 23, 0x3c000000
	v_and_b32_e32 v61, 0x80000000, v61
	v_or3_b32 v59, v27, v61, v59
.LBB352_64:                             ;   in Loop: Header=BB352_13 Depth=1
	s_or_b32 exec_lo, exec_lo, s51
.LBB352_65:                             ;   in Loop: Header=BB352_13 Depth=1
	s_or_b32 exec_lo, exec_lo, s50
.LBB352_66:                             ;   in Loop: Header=BB352_13 Depth=1
	s_or_b32 exec_lo, exec_lo, s3
	v_and_b32_sdwa v27, v63, v48 dst_sel:DWORD dst_unused:UNUSED_PAD src0_sel:WORD_1 src1_sel:DWORD
	v_mov_b32_e32 v61, 0
	v_mov_b32_e32 v62, 0
	s_mov_b32 s3, exec_lo
	v_cmpx_ne_u16_e32 0, v27
	s_cbranch_execz .LBB352_74
; %bb.67:                               ;   in Loop: Header=BB352_13 Depth=1
	v_bfrev_b32_e32 v62, 1
	s_mov_b32 s50, exec_lo
	v_cmpx_ne_u16_e32 0x80, v27
	s_cbranch_execz .LBB352_73
; %bb.68:                               ;   in Loop: Header=BB352_13 Depth=1
	v_bfe_u32 v64, v63, 16, 7
	v_mov_b32_e32 v62, 0x7f800001
	s_mov_b32 s51, exec_lo
	v_cmpx_ne_u32_e32 0x7f, v64
	s_cbranch_execz .LBB352_72
; %bb.69:                               ;   in Loop: Header=BB352_13 Depth=1
	v_and_b32_sdwa v27, v63, v49 dst_sel:DWORD dst_unused:UNUSED_PAD src0_sel:WORD_1 src1_sel:DWORD
	v_lshrrev_b32_e32 v62, 3, v64
	s_mov_b32 s52, exec_lo
	v_cmpx_gt_u32_e32 8, v64
; %bb.70:                               ;   in Loop: Header=BB352_13 Depth=1
	v_ffbh_u32_e32 v62, v27
	v_min_u32_e32 v62, 32, v62
	v_subrev_nc_u32_e32 v64, 28, v62
	v_sub_nc_u32_e32 v62, 29, v62
	v_lshlrev_b64 v[64:65], v64, v[27:28]
	v_and_b32_e32 v27, 7, v64
; %bb.71:                               ;   in Loop: Header=BB352_13 Depth=1
	s_or_b32 exec_lo, exec_lo, s52
	v_lshlrev_b32_sdwa v64, v50, v63 dst_sel:DWORD dst_unused:UNUSED_PAD src0_sel:DWORD src1_sel:WORD_1
	v_lshlrev_b32_e32 v27, 20, v27
	v_lshl_add_u32 v62, v62, 23, 0x3c000000
	v_and_b32_e32 v64, 0x80000000, v64
	v_or3_b32 v62, v27, v64, v62
.LBB352_72:                             ;   in Loop: Header=BB352_13 Depth=1
	s_or_b32 exec_lo, exec_lo, s51
.LBB352_73:                             ;   in Loop: Header=BB352_13 Depth=1
	s_or_b32 exec_lo, exec_lo, s50
.LBB352_74:                             ;   in Loop: Header=BB352_13 Depth=1
	s_or_b32 exec_lo, exec_lo, s3
	s_mov_b32 s3, exec_lo
	v_cmpx_lt_u32_e32 0xffffff, v63
	s_cbranch_execz .LBB352_82
; %bb.75:                               ;   in Loop: Header=BB352_13 Depth=1
	v_cmp_ne_u32_sdwa s2, v63, v46 src0_sel:BYTE_3 src1_sel:DWORD
	v_bfrev_b32_e32 v61, 1
	s_and_saveexec_b32 s50, s2
	s_cbranch_execz .LBB352_81
; %bb.76:                               ;   in Loop: Header=BB352_13 Depth=1
	v_bfe_u32 v64, v63, 24, 7
	v_mov_b32_e32 v61, 0x7f800001
	s_mov_b32 s51, exec_lo
	v_cmpx_ne_u32_e32 0x7f, v64
	s_cbranch_execz .LBB352_80
; %bb.77:                               ;   in Loop: Header=BB352_13 Depth=1
	v_and_b32_sdwa v27, v63, v49 dst_sel:DWORD dst_unused:UNUSED_PAD src0_sel:BYTE_3 src1_sel:DWORD
	v_lshrrev_b32_e32 v61, 3, v64
	s_mov_b32 s52, exec_lo
	v_cmpx_gt_u32_e32 8, v64
; %bb.78:                               ;   in Loop: Header=BB352_13 Depth=1
	v_ffbh_u32_e32 v61, v27
	v_min_u32_e32 v61, 32, v61
	v_subrev_nc_u32_e32 v64, 28, v61
	v_sub_nc_u32_e32 v61, 29, v61
	v_lshlrev_b64 v[64:65], v64, v[27:28]
	v_and_b32_e32 v27, 7, v64
; %bb.79:                               ;   in Loop: Header=BB352_13 Depth=1
	s_or_b32 exec_lo, exec_lo, s52
	v_lshlrev_b32_sdwa v63, v50, v63 dst_sel:DWORD dst_unused:UNUSED_PAD src0_sel:DWORD src1_sel:BYTE_3
	v_lshlrev_b32_e32 v27, 20, v27
	v_lshl_add_u32 v61, v61, 23, 0x3c000000
	v_and_b32_e32 v63, 0x80000000, v63
	v_or3_b32 v61, v27, v63, v61
.LBB352_80:                             ;   in Loop: Header=BB352_13 Depth=1
	s_or_b32 exec_lo, exec_lo, s51
.LBB352_81:                             ;   in Loop: Header=BB352_13 Depth=1
	s_or_b32 exec_lo, exec_lo, s50
.LBB352_82:                             ;   in Loop: Header=BB352_13 Depth=1
	s_or_b32 exec_lo, exec_lo, s3
	global_load_dword v67, v[33:34], off offset:256
	v_mov_b32_e32 v63, 0
	v_mov_b32_e32 v64, 0
	s_waitcnt vmcnt(0)
	v_cmp_ne_u16_sdwa s2, v67, v28 src0_sel:BYTE_0 src1_sel:DWORD
	s_and_saveexec_b32 s3, s2
	s_cbranch_execz .LBB352_90
; %bb.83:                               ;   in Loop: Header=BB352_13 Depth=1
	v_cmp_ne_u16_sdwa s2, v67, v46 src0_sel:BYTE_0 src1_sel:DWORD
	v_bfrev_b32_e32 v64, 1
	s_and_saveexec_b32 s50, s2
	s_cbranch_execz .LBB352_89
; %bb.84:                               ;   in Loop: Header=BB352_13 Depth=1
	v_and_b32_e32 v65, 0x7f, v67
	v_mov_b32_e32 v64, 0x7f800001
	s_mov_b32 s51, exec_lo
	v_cmpx_ne_u32_e32 0x7f, v65
	s_cbranch_execz .LBB352_88
; %bb.85:                               ;   in Loop: Header=BB352_13 Depth=1
	v_and_b32_e32 v27, 7, v67
	v_lshrrev_b32_e32 v64, 3, v65
	s_mov_b32 s52, exec_lo
	v_cmpx_gt_u32_e32 8, v65
; %bb.86:                               ;   in Loop: Header=BB352_13 Depth=1
	v_ffbh_u32_e32 v64, v27
	v_min_u32_e32 v64, 32, v64
	v_subrev_nc_u32_e32 v65, 28, v64
	v_sub_nc_u32_e32 v64, 29, v64
	v_lshlrev_b64 v[65:66], v65, v[27:28]
	v_and_b32_e32 v27, 7, v65
; %bb.87:                               ;   in Loop: Header=BB352_13 Depth=1
	s_or_b32 exec_lo, exec_lo, s52
	v_lshlrev_b32_e32 v65, 24, v67
	v_lshlrev_b32_e32 v27, 20, v27
	v_lshl_add_u32 v64, v64, 23, 0x3c000000
	v_and_b32_e32 v65, 0x80000000, v65
	v_or3_b32 v64, v27, v65, v64
.LBB352_88:                             ;   in Loop: Header=BB352_13 Depth=1
	s_or_b32 exec_lo, exec_lo, s51
.LBB352_89:                             ;   in Loop: Header=BB352_13 Depth=1
	s_or_b32 exec_lo, exec_lo, s50
.LBB352_90:                             ;   in Loop: Header=BB352_13 Depth=1
	s_or_b32 exec_lo, exec_lo, s3
	v_cmp_ne_u16_sdwa s2, v67, v28 src0_sel:BYTE_1 src1_sel:DWORD
	s_and_saveexec_b32 s3, s2
	s_cbranch_execz .LBB352_98
; %bb.91:                               ;   in Loop: Header=BB352_13 Depth=1
	v_cmp_ne_u16_sdwa s2, v67, v46 src0_sel:BYTE_1 src1_sel:DWORD
	v_bfrev_b32_e32 v63, 1
	s_and_saveexec_b32 s50, s2
	s_cbranch_execz .LBB352_97
; %bb.92:                               ;   in Loop: Header=BB352_13 Depth=1
	v_and_b32_sdwa v27, v47, v67 dst_sel:DWORD dst_unused:UNUSED_PAD src0_sel:DWORD src1_sel:BYTE_1
	v_mov_b32_e32 v63, 0x7f800001
	s_mov_b32 s51, exec_lo
	v_and_b32_e32 v65, 0x7f, v27
	v_cmpx_ne_u32_e32 0x7f, v65
	s_cbranch_execz .LBB352_96
; %bb.93:                               ;   in Loop: Header=BB352_13 Depth=1
	v_and_b32_e32 v27, 7, v27
	v_lshrrev_b32_e32 v63, 3, v65
	s_mov_b32 s52, exec_lo
	v_cmpx_gt_u32_e32 8, v65
; %bb.94:                               ;   in Loop: Header=BB352_13 Depth=1
	v_ffbh_u32_e32 v63, v27
	v_min_u32_e32 v63, 32, v63
	v_subrev_nc_u32_e32 v65, 28, v63
	v_sub_nc_u32_e32 v63, 29, v63
	v_lshlrev_b64 v[65:66], v65, v[27:28]
	v_and_b32_e32 v27, 7, v65
; %bb.95:                               ;   in Loop: Header=BB352_13 Depth=1
	s_or_b32 exec_lo, exec_lo, s52
	v_lshlrev_b32_e32 v65, 16, v67
	v_lshlrev_b32_e32 v27, 20, v27
	v_lshl_add_u32 v63, v63, 23, 0x3c000000
	v_and_b32_e32 v65, 0x80000000, v65
	v_or3_b32 v63, v27, v65, v63
.LBB352_96:                             ;   in Loop: Header=BB352_13 Depth=1
	s_or_b32 exec_lo, exec_lo, s51
.LBB352_97:                             ;   in Loop: Header=BB352_13 Depth=1
	s_or_b32 exec_lo, exec_lo, s50
.LBB352_98:                             ;   in Loop: Header=BB352_13 Depth=1
	s_or_b32 exec_lo, exec_lo, s3
	v_and_b32_sdwa v27, v67, v48 dst_sel:DWORD dst_unused:UNUSED_PAD src0_sel:WORD_1 src1_sel:DWORD
	v_mov_b32_e32 v65, 0
	v_mov_b32_e32 v66, 0
	s_mov_b32 s3, exec_lo
	v_cmpx_ne_u16_e32 0, v27
	s_cbranch_execz .LBB352_106
; %bb.99:                               ;   in Loop: Header=BB352_13 Depth=1
	v_bfrev_b32_e32 v66, 1
	s_mov_b32 s50, exec_lo
	v_cmpx_ne_u16_e32 0x80, v27
	s_cbranch_execz .LBB352_105
; %bb.100:                              ;   in Loop: Header=BB352_13 Depth=1
	v_bfe_u32 v68, v67, 16, 7
	v_mov_b32_e32 v66, 0x7f800001
	s_mov_b32 s51, exec_lo
	v_cmpx_ne_u32_e32 0x7f, v68
	s_cbranch_execz .LBB352_104
; %bb.101:                              ;   in Loop: Header=BB352_13 Depth=1
	v_and_b32_sdwa v27, v67, v49 dst_sel:DWORD dst_unused:UNUSED_PAD src0_sel:WORD_1 src1_sel:DWORD
	v_lshrrev_b32_e32 v66, 3, v68
	s_mov_b32 s52, exec_lo
	v_cmpx_gt_u32_e32 8, v68
; %bb.102:                              ;   in Loop: Header=BB352_13 Depth=1
	v_ffbh_u32_e32 v66, v27
	v_min_u32_e32 v66, 32, v66
	v_subrev_nc_u32_e32 v68, 28, v66
	v_sub_nc_u32_e32 v66, 29, v66
	v_lshlrev_b64 v[68:69], v68, v[27:28]
	v_and_b32_e32 v27, 7, v68
; %bb.103:                              ;   in Loop: Header=BB352_13 Depth=1
	s_or_b32 exec_lo, exec_lo, s52
	v_lshlrev_b32_sdwa v68, v50, v67 dst_sel:DWORD dst_unused:UNUSED_PAD src0_sel:DWORD src1_sel:WORD_1
	v_lshlrev_b32_e32 v27, 20, v27
	v_lshl_add_u32 v66, v66, 23, 0x3c000000
	v_and_b32_e32 v68, 0x80000000, v68
	v_or3_b32 v66, v27, v68, v66
.LBB352_104:                            ;   in Loop: Header=BB352_13 Depth=1
	s_or_b32 exec_lo, exec_lo, s51
.LBB352_105:                            ;   in Loop: Header=BB352_13 Depth=1
	s_or_b32 exec_lo, exec_lo, s50
.LBB352_106:                            ;   in Loop: Header=BB352_13 Depth=1
	s_or_b32 exec_lo, exec_lo, s3
	s_mov_b32 s3, exec_lo
	v_cmpx_lt_u32_e32 0xffffff, v67
	s_cbranch_execz .LBB352_114
; %bb.107:                              ;   in Loop: Header=BB352_13 Depth=1
	v_cmp_ne_u32_sdwa s2, v67, v46 src0_sel:BYTE_3 src1_sel:DWORD
	v_bfrev_b32_e32 v65, 1
	s_and_saveexec_b32 s50, s2
	s_cbranch_execz .LBB352_113
; %bb.108:                              ;   in Loop: Header=BB352_13 Depth=1
	v_bfe_u32 v68, v67, 24, 7
	v_mov_b32_e32 v65, 0x7f800001
	s_mov_b32 s51, exec_lo
	v_cmpx_ne_u32_e32 0x7f, v68
	s_cbranch_execz .LBB352_112
; %bb.109:                              ;   in Loop: Header=BB352_13 Depth=1
	v_and_b32_sdwa v27, v67, v49 dst_sel:DWORD dst_unused:UNUSED_PAD src0_sel:BYTE_3 src1_sel:DWORD
	v_lshrrev_b32_e32 v65, 3, v68
	s_mov_b32 s52, exec_lo
	v_cmpx_gt_u32_e32 8, v68
; %bb.110:                              ;   in Loop: Header=BB352_13 Depth=1
	v_ffbh_u32_e32 v65, v27
	v_min_u32_e32 v65, 32, v65
	v_subrev_nc_u32_e32 v68, 28, v65
	v_sub_nc_u32_e32 v65, 29, v65
	v_lshlrev_b64 v[68:69], v68, v[27:28]
	v_and_b32_e32 v27, 7, v68
; %bb.111:                              ;   in Loop: Header=BB352_13 Depth=1
	s_or_b32 exec_lo, exec_lo, s52
	v_lshlrev_b32_sdwa v67, v50, v67 dst_sel:DWORD dst_unused:UNUSED_PAD src0_sel:DWORD src1_sel:BYTE_3
	v_lshlrev_b32_e32 v27, 20, v27
	v_lshl_add_u32 v65, v65, 23, 0x3c000000
	v_and_b32_e32 v67, 0x80000000, v67
	v_or3_b32 v65, v27, v67, v65
.LBB352_112:                            ;   in Loop: Header=BB352_13 Depth=1
	s_or_b32 exec_lo, exec_lo, s51
.LBB352_113:                            ;   in Loop: Header=BB352_13 Depth=1
	s_or_b32 exec_lo, exec_lo, s50
.LBB352_114:                            ;   in Loop: Header=BB352_13 Depth=1
	s_or_b32 exec_lo, exec_lo, s3
	global_load_dword v71, v[33:34], off offset:264
	v_mov_b32_e32 v67, 0
	v_mov_b32_e32 v68, 0
	s_waitcnt vmcnt(0)
	v_cmp_ne_u16_sdwa s2, v71, v28 src0_sel:BYTE_0 src1_sel:DWORD
	s_and_saveexec_b32 s3, s2
	s_cbranch_execz .LBB352_122
; %bb.115:                              ;   in Loop: Header=BB352_13 Depth=1
	v_cmp_ne_u16_sdwa s2, v71, v46 src0_sel:BYTE_0 src1_sel:DWORD
	v_bfrev_b32_e32 v68, 1
	s_and_saveexec_b32 s50, s2
	s_cbranch_execz .LBB352_121
; %bb.116:                              ;   in Loop: Header=BB352_13 Depth=1
	v_and_b32_e32 v69, 0x7f, v71
	v_mov_b32_e32 v68, 0x7f800001
	s_mov_b32 s51, exec_lo
	v_cmpx_ne_u32_e32 0x7f, v69
	s_cbranch_execz .LBB352_120
; %bb.117:                              ;   in Loop: Header=BB352_13 Depth=1
	v_and_b32_e32 v27, 7, v71
	v_lshrrev_b32_e32 v68, 3, v69
	s_mov_b32 s52, exec_lo
	v_cmpx_gt_u32_e32 8, v69
; %bb.118:                              ;   in Loop: Header=BB352_13 Depth=1
	v_ffbh_u32_e32 v68, v27
	v_min_u32_e32 v68, 32, v68
	v_subrev_nc_u32_e32 v69, 28, v68
	v_sub_nc_u32_e32 v68, 29, v68
	v_lshlrev_b64 v[69:70], v69, v[27:28]
	v_and_b32_e32 v27, 7, v69
; %bb.119:                              ;   in Loop: Header=BB352_13 Depth=1
	s_or_b32 exec_lo, exec_lo, s52
	v_lshlrev_b32_e32 v69, 24, v71
	v_lshlrev_b32_e32 v27, 20, v27
	v_lshl_add_u32 v68, v68, 23, 0x3c000000
	v_and_b32_e32 v69, 0x80000000, v69
	v_or3_b32 v68, v27, v69, v68
.LBB352_120:                            ;   in Loop: Header=BB352_13 Depth=1
	s_or_b32 exec_lo, exec_lo, s51
.LBB352_121:                            ;   in Loop: Header=BB352_13 Depth=1
	s_or_b32 exec_lo, exec_lo, s50
.LBB352_122:                            ;   in Loop: Header=BB352_13 Depth=1
	s_or_b32 exec_lo, exec_lo, s3
	v_cmp_ne_u16_sdwa s2, v71, v28 src0_sel:BYTE_1 src1_sel:DWORD
	s_and_saveexec_b32 s3, s2
	s_cbranch_execz .LBB352_130
; %bb.123:                              ;   in Loop: Header=BB352_13 Depth=1
	v_cmp_ne_u16_sdwa s2, v71, v46 src0_sel:BYTE_1 src1_sel:DWORD
	v_bfrev_b32_e32 v67, 1
	s_and_saveexec_b32 s50, s2
	s_cbranch_execz .LBB352_129
; %bb.124:                              ;   in Loop: Header=BB352_13 Depth=1
	v_and_b32_sdwa v27, v47, v71 dst_sel:DWORD dst_unused:UNUSED_PAD src0_sel:DWORD src1_sel:BYTE_1
	v_mov_b32_e32 v67, 0x7f800001
	s_mov_b32 s51, exec_lo
	v_and_b32_e32 v69, 0x7f, v27
	v_cmpx_ne_u32_e32 0x7f, v69
	s_cbranch_execz .LBB352_128
; %bb.125:                              ;   in Loop: Header=BB352_13 Depth=1
	v_and_b32_e32 v27, 7, v27
	v_lshrrev_b32_e32 v67, 3, v69
	s_mov_b32 s52, exec_lo
	v_cmpx_gt_u32_e32 8, v69
; %bb.126:                              ;   in Loop: Header=BB352_13 Depth=1
	v_ffbh_u32_e32 v67, v27
	v_min_u32_e32 v67, 32, v67
	v_subrev_nc_u32_e32 v69, 28, v67
	v_sub_nc_u32_e32 v67, 29, v67
	v_lshlrev_b64 v[69:70], v69, v[27:28]
	v_and_b32_e32 v27, 7, v69
; %bb.127:                              ;   in Loop: Header=BB352_13 Depth=1
	s_or_b32 exec_lo, exec_lo, s52
	v_lshlrev_b32_e32 v69, 16, v71
	v_lshlrev_b32_e32 v27, 20, v27
	v_lshl_add_u32 v67, v67, 23, 0x3c000000
	v_and_b32_e32 v69, 0x80000000, v69
	v_or3_b32 v67, v27, v69, v67
.LBB352_128:                            ;   in Loop: Header=BB352_13 Depth=1
	s_or_b32 exec_lo, exec_lo, s51
.LBB352_129:                            ;   in Loop: Header=BB352_13 Depth=1
	s_or_b32 exec_lo, exec_lo, s50
.LBB352_130:                            ;   in Loop: Header=BB352_13 Depth=1
	s_or_b32 exec_lo, exec_lo, s3
	v_and_b32_sdwa v27, v71, v48 dst_sel:DWORD dst_unused:UNUSED_PAD src0_sel:WORD_1 src1_sel:DWORD
	v_mov_b32_e32 v69, 0
	v_mov_b32_e32 v70, 0
	s_mov_b32 s3, exec_lo
	v_cmpx_ne_u16_e32 0, v27
	s_cbranch_execz .LBB352_138
; %bb.131:                              ;   in Loop: Header=BB352_13 Depth=1
	v_bfrev_b32_e32 v70, 1
	s_mov_b32 s50, exec_lo
	v_cmpx_ne_u16_e32 0x80, v27
	s_cbranch_execz .LBB352_137
; %bb.132:                              ;   in Loop: Header=BB352_13 Depth=1
	v_bfe_u32 v72, v71, 16, 7
	v_mov_b32_e32 v70, 0x7f800001
	s_mov_b32 s51, exec_lo
	v_cmpx_ne_u32_e32 0x7f, v72
	s_cbranch_execz .LBB352_136
; %bb.133:                              ;   in Loop: Header=BB352_13 Depth=1
	v_and_b32_sdwa v27, v71, v49 dst_sel:DWORD dst_unused:UNUSED_PAD src0_sel:WORD_1 src1_sel:DWORD
	v_lshrrev_b32_e32 v70, 3, v72
	s_mov_b32 s52, exec_lo
	v_cmpx_gt_u32_e32 8, v72
; %bb.134:                              ;   in Loop: Header=BB352_13 Depth=1
	v_ffbh_u32_e32 v70, v27
	v_min_u32_e32 v70, 32, v70
	v_subrev_nc_u32_e32 v72, 28, v70
	v_sub_nc_u32_e32 v70, 29, v70
	v_lshlrev_b64 v[72:73], v72, v[27:28]
	v_and_b32_e32 v27, 7, v72
; %bb.135:                              ;   in Loop: Header=BB352_13 Depth=1
	s_or_b32 exec_lo, exec_lo, s52
	v_lshlrev_b32_sdwa v72, v50, v71 dst_sel:DWORD dst_unused:UNUSED_PAD src0_sel:DWORD src1_sel:WORD_1
	v_lshlrev_b32_e32 v27, 20, v27
	v_lshl_add_u32 v70, v70, 23, 0x3c000000
	v_and_b32_e32 v72, 0x80000000, v72
	v_or3_b32 v70, v27, v72, v70
.LBB352_136:                            ;   in Loop: Header=BB352_13 Depth=1
	s_or_b32 exec_lo, exec_lo, s51
.LBB352_137:                            ;   in Loop: Header=BB352_13 Depth=1
	s_or_b32 exec_lo, exec_lo, s50
.LBB352_138:                            ;   in Loop: Header=BB352_13 Depth=1
	s_or_b32 exec_lo, exec_lo, s3
	s_mov_b32 s3, exec_lo
	v_cmpx_lt_u32_e32 0xffffff, v71
	s_cbranch_execz .LBB352_146
; %bb.139:                              ;   in Loop: Header=BB352_13 Depth=1
	v_cmp_ne_u32_sdwa s2, v71, v46 src0_sel:BYTE_3 src1_sel:DWORD
	v_bfrev_b32_e32 v69, 1
	s_and_saveexec_b32 s50, s2
	s_cbranch_execz .LBB352_145
; %bb.140:                              ;   in Loop: Header=BB352_13 Depth=1
	v_bfe_u32 v72, v71, 24, 7
	v_mov_b32_e32 v69, 0x7f800001
	s_mov_b32 s51, exec_lo
	v_cmpx_ne_u32_e32 0x7f, v72
	s_cbranch_execz .LBB352_144
; %bb.141:                              ;   in Loop: Header=BB352_13 Depth=1
	v_and_b32_sdwa v27, v71, v49 dst_sel:DWORD dst_unused:UNUSED_PAD src0_sel:BYTE_3 src1_sel:DWORD
	v_lshrrev_b32_e32 v69, 3, v72
	s_mov_b32 s52, exec_lo
	v_cmpx_gt_u32_e32 8, v72
; %bb.142:                              ;   in Loop: Header=BB352_13 Depth=1
	v_ffbh_u32_e32 v69, v27
	v_min_u32_e32 v69, 32, v69
	v_subrev_nc_u32_e32 v72, 28, v69
	v_sub_nc_u32_e32 v69, 29, v69
	v_lshlrev_b64 v[72:73], v72, v[27:28]
	v_and_b32_e32 v27, 7, v72
; %bb.143:                              ;   in Loop: Header=BB352_13 Depth=1
	s_or_b32 exec_lo, exec_lo, s52
	v_lshlrev_b32_sdwa v71, v50, v71 dst_sel:DWORD dst_unused:UNUSED_PAD src0_sel:DWORD src1_sel:BYTE_3
	v_lshlrev_b32_e32 v27, 20, v27
	v_lshl_add_u32 v69, v69, 23, 0x3c000000
	v_and_b32_e32 v71, 0x80000000, v71
	v_or3_b32 v69, v27, v71, v69
.LBB352_144:                            ;   in Loop: Header=BB352_13 Depth=1
	s_or_b32 exec_lo, exec_lo, s51
.LBB352_145:                            ;   in Loop: Header=BB352_13 Depth=1
	s_or_b32 exec_lo, exec_lo, s50
.LBB352_146:                            ;   in Loop: Header=BB352_13 Depth=1
	s_or_b32 exec_lo, exec_lo, s3
	global_load_dword v75, v[33:34], off offset:512
	v_mov_b32_e32 v71, 0
	v_mov_b32_e32 v72, 0
	s_waitcnt vmcnt(0)
	v_cmp_ne_u16_sdwa s2, v75, v28 src0_sel:BYTE_0 src1_sel:DWORD
	s_and_saveexec_b32 s3, s2
	s_cbranch_execz .LBB352_154
; %bb.147:                              ;   in Loop: Header=BB352_13 Depth=1
	v_cmp_ne_u16_sdwa s2, v75, v46 src0_sel:BYTE_0 src1_sel:DWORD
	v_bfrev_b32_e32 v72, 1
	s_and_saveexec_b32 s50, s2
	s_cbranch_execz .LBB352_153
; %bb.148:                              ;   in Loop: Header=BB352_13 Depth=1
	v_and_b32_e32 v73, 0x7f, v75
	v_mov_b32_e32 v72, 0x7f800001
	s_mov_b32 s51, exec_lo
	v_cmpx_ne_u32_e32 0x7f, v73
	s_cbranch_execz .LBB352_152
; %bb.149:                              ;   in Loop: Header=BB352_13 Depth=1
	v_and_b32_e32 v27, 7, v75
	v_lshrrev_b32_e32 v72, 3, v73
	s_mov_b32 s52, exec_lo
	v_cmpx_gt_u32_e32 8, v73
; %bb.150:                              ;   in Loop: Header=BB352_13 Depth=1
	v_ffbh_u32_e32 v72, v27
	v_min_u32_e32 v72, 32, v72
	v_subrev_nc_u32_e32 v73, 28, v72
	v_sub_nc_u32_e32 v72, 29, v72
	v_lshlrev_b64 v[73:74], v73, v[27:28]
	v_and_b32_e32 v27, 7, v73
; %bb.151:                              ;   in Loop: Header=BB352_13 Depth=1
	s_or_b32 exec_lo, exec_lo, s52
	v_lshlrev_b32_e32 v73, 24, v75
	v_lshlrev_b32_e32 v27, 20, v27
	v_lshl_add_u32 v72, v72, 23, 0x3c000000
	v_and_b32_e32 v73, 0x80000000, v73
	v_or3_b32 v72, v27, v73, v72
.LBB352_152:                            ;   in Loop: Header=BB352_13 Depth=1
	s_or_b32 exec_lo, exec_lo, s51
.LBB352_153:                            ;   in Loop: Header=BB352_13 Depth=1
	s_or_b32 exec_lo, exec_lo, s50
.LBB352_154:                            ;   in Loop: Header=BB352_13 Depth=1
	s_or_b32 exec_lo, exec_lo, s3
	v_cmp_ne_u16_sdwa s2, v75, v28 src0_sel:BYTE_1 src1_sel:DWORD
	s_and_saveexec_b32 s3, s2
	s_cbranch_execz .LBB352_162
; %bb.155:                              ;   in Loop: Header=BB352_13 Depth=1
	v_cmp_ne_u16_sdwa s2, v75, v46 src0_sel:BYTE_1 src1_sel:DWORD
	v_bfrev_b32_e32 v71, 1
	s_and_saveexec_b32 s50, s2
	s_cbranch_execz .LBB352_161
; %bb.156:                              ;   in Loop: Header=BB352_13 Depth=1
	v_and_b32_sdwa v27, v47, v75 dst_sel:DWORD dst_unused:UNUSED_PAD src0_sel:DWORD src1_sel:BYTE_1
	v_mov_b32_e32 v71, 0x7f800001
	s_mov_b32 s51, exec_lo
	v_and_b32_e32 v73, 0x7f, v27
	v_cmpx_ne_u32_e32 0x7f, v73
	s_cbranch_execz .LBB352_160
; %bb.157:                              ;   in Loop: Header=BB352_13 Depth=1
	v_and_b32_e32 v27, 7, v27
	v_lshrrev_b32_e32 v71, 3, v73
	s_mov_b32 s52, exec_lo
	v_cmpx_gt_u32_e32 8, v73
; %bb.158:                              ;   in Loop: Header=BB352_13 Depth=1
	v_ffbh_u32_e32 v71, v27
	v_min_u32_e32 v71, 32, v71
	v_subrev_nc_u32_e32 v73, 28, v71
	v_sub_nc_u32_e32 v71, 29, v71
	v_lshlrev_b64 v[73:74], v73, v[27:28]
	v_and_b32_e32 v27, 7, v73
; %bb.159:                              ;   in Loop: Header=BB352_13 Depth=1
	s_or_b32 exec_lo, exec_lo, s52
	v_lshlrev_b32_e32 v73, 16, v75
	v_lshlrev_b32_e32 v27, 20, v27
	v_lshl_add_u32 v71, v71, 23, 0x3c000000
	v_and_b32_e32 v73, 0x80000000, v73
	v_or3_b32 v71, v27, v73, v71
.LBB352_160:                            ;   in Loop: Header=BB352_13 Depth=1
	s_or_b32 exec_lo, exec_lo, s51
.LBB352_161:                            ;   in Loop: Header=BB352_13 Depth=1
	s_or_b32 exec_lo, exec_lo, s50
.LBB352_162:                            ;   in Loop: Header=BB352_13 Depth=1
	s_or_b32 exec_lo, exec_lo, s3
	v_and_b32_sdwa v27, v75, v48 dst_sel:DWORD dst_unused:UNUSED_PAD src0_sel:WORD_1 src1_sel:DWORD
	v_mov_b32_e32 v73, 0
	v_mov_b32_e32 v74, 0
	s_mov_b32 s3, exec_lo
	v_cmpx_ne_u16_e32 0, v27
	s_cbranch_execz .LBB352_170
; %bb.163:                              ;   in Loop: Header=BB352_13 Depth=1
	v_bfrev_b32_e32 v74, 1
	s_mov_b32 s50, exec_lo
	v_cmpx_ne_u16_e32 0x80, v27
	s_cbranch_execz .LBB352_169
; %bb.164:                              ;   in Loop: Header=BB352_13 Depth=1
	v_bfe_u32 v76, v75, 16, 7
	v_mov_b32_e32 v74, 0x7f800001
	s_mov_b32 s51, exec_lo
	v_cmpx_ne_u32_e32 0x7f, v76
	s_cbranch_execz .LBB352_168
; %bb.165:                              ;   in Loop: Header=BB352_13 Depth=1
	v_and_b32_sdwa v27, v75, v49 dst_sel:DWORD dst_unused:UNUSED_PAD src0_sel:WORD_1 src1_sel:DWORD
	v_lshrrev_b32_e32 v74, 3, v76
	s_mov_b32 s52, exec_lo
	v_cmpx_gt_u32_e32 8, v76
; %bb.166:                              ;   in Loop: Header=BB352_13 Depth=1
	v_ffbh_u32_e32 v74, v27
	v_min_u32_e32 v74, 32, v74
	v_subrev_nc_u32_e32 v76, 28, v74
	v_sub_nc_u32_e32 v74, 29, v74
	v_lshlrev_b64 v[76:77], v76, v[27:28]
	v_and_b32_e32 v27, 7, v76
; %bb.167:                              ;   in Loop: Header=BB352_13 Depth=1
	s_or_b32 exec_lo, exec_lo, s52
	v_lshlrev_b32_sdwa v76, v50, v75 dst_sel:DWORD dst_unused:UNUSED_PAD src0_sel:DWORD src1_sel:WORD_1
	v_lshlrev_b32_e32 v27, 20, v27
	v_lshl_add_u32 v74, v74, 23, 0x3c000000
	v_and_b32_e32 v76, 0x80000000, v76
	v_or3_b32 v74, v27, v76, v74
.LBB352_168:                            ;   in Loop: Header=BB352_13 Depth=1
	s_or_b32 exec_lo, exec_lo, s51
.LBB352_169:                            ;   in Loop: Header=BB352_13 Depth=1
	s_or_b32 exec_lo, exec_lo, s50
.LBB352_170:                            ;   in Loop: Header=BB352_13 Depth=1
	s_or_b32 exec_lo, exec_lo, s3
	s_mov_b32 s3, exec_lo
	v_cmpx_lt_u32_e32 0xffffff, v75
	s_cbranch_execz .LBB352_178
; %bb.171:                              ;   in Loop: Header=BB352_13 Depth=1
	v_cmp_ne_u32_sdwa s2, v75, v46 src0_sel:BYTE_3 src1_sel:DWORD
	v_bfrev_b32_e32 v73, 1
	s_and_saveexec_b32 s50, s2
	s_cbranch_execz .LBB352_177
; %bb.172:                              ;   in Loop: Header=BB352_13 Depth=1
	v_bfe_u32 v76, v75, 24, 7
	v_mov_b32_e32 v73, 0x7f800001
	s_mov_b32 s51, exec_lo
	v_cmpx_ne_u32_e32 0x7f, v76
	s_cbranch_execz .LBB352_176
; %bb.173:                              ;   in Loop: Header=BB352_13 Depth=1
	v_and_b32_sdwa v27, v75, v49 dst_sel:DWORD dst_unused:UNUSED_PAD src0_sel:BYTE_3 src1_sel:DWORD
	v_lshrrev_b32_e32 v73, 3, v76
	s_mov_b32 s52, exec_lo
	v_cmpx_gt_u32_e32 8, v76
; %bb.174:                              ;   in Loop: Header=BB352_13 Depth=1
	v_ffbh_u32_e32 v73, v27
	v_min_u32_e32 v73, 32, v73
	v_subrev_nc_u32_e32 v76, 28, v73
	v_sub_nc_u32_e32 v73, 29, v73
	v_lshlrev_b64 v[76:77], v76, v[27:28]
	v_and_b32_e32 v27, 7, v76
; %bb.175:                              ;   in Loop: Header=BB352_13 Depth=1
	s_or_b32 exec_lo, exec_lo, s52
	v_lshlrev_b32_sdwa v75, v50, v75 dst_sel:DWORD dst_unused:UNUSED_PAD src0_sel:DWORD src1_sel:BYTE_3
	v_lshlrev_b32_e32 v27, 20, v27
	v_lshl_add_u32 v73, v73, 23, 0x3c000000
	v_and_b32_e32 v75, 0x80000000, v75
	v_or3_b32 v73, v27, v75, v73
.LBB352_176:                            ;   in Loop: Header=BB352_13 Depth=1
	s_or_b32 exec_lo, exec_lo, s51
.LBB352_177:                            ;   in Loop: Header=BB352_13 Depth=1
	s_or_b32 exec_lo, exec_lo, s50
.LBB352_178:                            ;   in Loop: Header=BB352_13 Depth=1
	s_or_b32 exec_lo, exec_lo, s3
	global_load_dword v79, v[33:34], off offset:520
	v_mov_b32_e32 v75, 0
	v_mov_b32_e32 v76, 0
	s_waitcnt vmcnt(0)
	v_cmp_ne_u16_sdwa s2, v79, v28 src0_sel:BYTE_0 src1_sel:DWORD
	s_and_saveexec_b32 s3, s2
	s_cbranch_execz .LBB352_186
; %bb.179:                              ;   in Loop: Header=BB352_13 Depth=1
	v_cmp_ne_u16_sdwa s2, v79, v46 src0_sel:BYTE_0 src1_sel:DWORD
	v_bfrev_b32_e32 v76, 1
	s_and_saveexec_b32 s50, s2
	s_cbranch_execz .LBB352_185
; %bb.180:                              ;   in Loop: Header=BB352_13 Depth=1
	v_and_b32_e32 v77, 0x7f, v79
	v_mov_b32_e32 v76, 0x7f800001
	s_mov_b32 s51, exec_lo
	v_cmpx_ne_u32_e32 0x7f, v77
	s_cbranch_execz .LBB352_184
; %bb.181:                              ;   in Loop: Header=BB352_13 Depth=1
	v_and_b32_e32 v27, 7, v79
	v_lshrrev_b32_e32 v76, 3, v77
	s_mov_b32 s52, exec_lo
	v_cmpx_gt_u32_e32 8, v77
; %bb.182:                              ;   in Loop: Header=BB352_13 Depth=1
	v_ffbh_u32_e32 v76, v27
	v_min_u32_e32 v76, 32, v76
	v_subrev_nc_u32_e32 v77, 28, v76
	v_sub_nc_u32_e32 v76, 29, v76
	v_lshlrev_b64 v[77:78], v77, v[27:28]
	v_and_b32_e32 v27, 7, v77
; %bb.183:                              ;   in Loop: Header=BB352_13 Depth=1
	s_or_b32 exec_lo, exec_lo, s52
	v_lshlrev_b32_e32 v77, 24, v79
	v_lshlrev_b32_e32 v27, 20, v27
	v_lshl_add_u32 v76, v76, 23, 0x3c000000
	v_and_b32_e32 v77, 0x80000000, v77
	v_or3_b32 v76, v27, v77, v76
.LBB352_184:                            ;   in Loop: Header=BB352_13 Depth=1
	s_or_b32 exec_lo, exec_lo, s51
.LBB352_185:                            ;   in Loop: Header=BB352_13 Depth=1
	s_or_b32 exec_lo, exec_lo, s50
.LBB352_186:                            ;   in Loop: Header=BB352_13 Depth=1
	s_or_b32 exec_lo, exec_lo, s3
	v_cmp_ne_u16_sdwa s2, v79, v28 src0_sel:BYTE_1 src1_sel:DWORD
	s_and_saveexec_b32 s3, s2
	s_cbranch_execz .LBB352_194
; %bb.187:                              ;   in Loop: Header=BB352_13 Depth=1
	v_cmp_ne_u16_sdwa s2, v79, v46 src0_sel:BYTE_1 src1_sel:DWORD
	v_bfrev_b32_e32 v75, 1
	s_and_saveexec_b32 s50, s2
	s_cbranch_execz .LBB352_193
; %bb.188:                              ;   in Loop: Header=BB352_13 Depth=1
	v_and_b32_sdwa v27, v47, v79 dst_sel:DWORD dst_unused:UNUSED_PAD src0_sel:DWORD src1_sel:BYTE_1
	v_mov_b32_e32 v75, 0x7f800001
	s_mov_b32 s51, exec_lo
	v_and_b32_e32 v77, 0x7f, v27
	v_cmpx_ne_u32_e32 0x7f, v77
	s_cbranch_execz .LBB352_192
; %bb.189:                              ;   in Loop: Header=BB352_13 Depth=1
	v_and_b32_e32 v27, 7, v27
	v_lshrrev_b32_e32 v75, 3, v77
	s_mov_b32 s52, exec_lo
	v_cmpx_gt_u32_e32 8, v77
; %bb.190:                              ;   in Loop: Header=BB352_13 Depth=1
	v_ffbh_u32_e32 v75, v27
	v_min_u32_e32 v75, 32, v75
	v_subrev_nc_u32_e32 v77, 28, v75
	v_sub_nc_u32_e32 v75, 29, v75
	v_lshlrev_b64 v[77:78], v77, v[27:28]
	v_and_b32_e32 v27, 7, v77
; %bb.191:                              ;   in Loop: Header=BB352_13 Depth=1
	s_or_b32 exec_lo, exec_lo, s52
	v_lshlrev_b32_e32 v77, 16, v79
	v_lshlrev_b32_e32 v27, 20, v27
	v_lshl_add_u32 v75, v75, 23, 0x3c000000
	v_and_b32_e32 v77, 0x80000000, v77
	v_or3_b32 v75, v27, v77, v75
.LBB352_192:                            ;   in Loop: Header=BB352_13 Depth=1
	s_or_b32 exec_lo, exec_lo, s51
.LBB352_193:                            ;   in Loop: Header=BB352_13 Depth=1
	s_or_b32 exec_lo, exec_lo, s50
.LBB352_194:                            ;   in Loop: Header=BB352_13 Depth=1
	s_or_b32 exec_lo, exec_lo, s3
	v_and_b32_sdwa v27, v79, v48 dst_sel:DWORD dst_unused:UNUSED_PAD src0_sel:WORD_1 src1_sel:DWORD
	v_mov_b32_e32 v77, 0
	v_mov_b32_e32 v78, 0
	s_mov_b32 s3, exec_lo
	v_cmpx_ne_u16_e32 0, v27
	s_cbranch_execz .LBB352_202
; %bb.195:                              ;   in Loop: Header=BB352_13 Depth=1
	v_bfrev_b32_e32 v78, 1
	s_mov_b32 s50, exec_lo
	v_cmpx_ne_u16_e32 0x80, v27
	s_cbranch_execz .LBB352_201
; %bb.196:                              ;   in Loop: Header=BB352_13 Depth=1
	v_bfe_u32 v80, v79, 16, 7
	v_mov_b32_e32 v78, 0x7f800001
	s_mov_b32 s51, exec_lo
	v_cmpx_ne_u32_e32 0x7f, v80
	s_cbranch_execz .LBB352_200
; %bb.197:                              ;   in Loop: Header=BB352_13 Depth=1
	v_and_b32_sdwa v27, v79, v49 dst_sel:DWORD dst_unused:UNUSED_PAD src0_sel:WORD_1 src1_sel:DWORD
	v_lshrrev_b32_e32 v78, 3, v80
	s_mov_b32 s52, exec_lo
	v_cmpx_gt_u32_e32 8, v80
; %bb.198:                              ;   in Loop: Header=BB352_13 Depth=1
	v_ffbh_u32_e32 v78, v27
	v_min_u32_e32 v78, 32, v78
	v_subrev_nc_u32_e32 v80, 28, v78
	v_sub_nc_u32_e32 v78, 29, v78
	v_lshlrev_b64 v[80:81], v80, v[27:28]
	v_and_b32_e32 v27, 7, v80
; %bb.199:                              ;   in Loop: Header=BB352_13 Depth=1
	s_or_b32 exec_lo, exec_lo, s52
	v_lshlrev_b32_sdwa v80, v50, v79 dst_sel:DWORD dst_unused:UNUSED_PAD src0_sel:DWORD src1_sel:WORD_1
	v_lshlrev_b32_e32 v27, 20, v27
	v_lshl_add_u32 v78, v78, 23, 0x3c000000
	v_and_b32_e32 v80, 0x80000000, v80
	v_or3_b32 v78, v27, v80, v78
.LBB352_200:                            ;   in Loop: Header=BB352_13 Depth=1
	s_or_b32 exec_lo, exec_lo, s51
.LBB352_201:                            ;   in Loop: Header=BB352_13 Depth=1
	s_or_b32 exec_lo, exec_lo, s50
.LBB352_202:                            ;   in Loop: Header=BB352_13 Depth=1
	s_or_b32 exec_lo, exec_lo, s3
	s_mov_b32 s3, exec_lo
	v_cmpx_lt_u32_e32 0xffffff, v79
	s_cbranch_execz .LBB352_210
; %bb.203:                              ;   in Loop: Header=BB352_13 Depth=1
	v_cmp_ne_u32_sdwa s2, v79, v46 src0_sel:BYTE_3 src1_sel:DWORD
	v_bfrev_b32_e32 v77, 1
	s_and_saveexec_b32 s50, s2
	s_cbranch_execz .LBB352_209
; %bb.204:                              ;   in Loop: Header=BB352_13 Depth=1
	v_bfe_u32 v80, v79, 24, 7
	v_mov_b32_e32 v77, 0x7f800001
	s_mov_b32 s51, exec_lo
	v_cmpx_ne_u32_e32 0x7f, v80
	s_cbranch_execz .LBB352_208
; %bb.205:                              ;   in Loop: Header=BB352_13 Depth=1
	v_and_b32_sdwa v27, v79, v49 dst_sel:DWORD dst_unused:UNUSED_PAD src0_sel:BYTE_3 src1_sel:DWORD
	v_lshrrev_b32_e32 v77, 3, v80
	s_mov_b32 s52, exec_lo
	v_cmpx_gt_u32_e32 8, v80
; %bb.206:                              ;   in Loop: Header=BB352_13 Depth=1
	v_ffbh_u32_e32 v77, v27
	v_min_u32_e32 v77, 32, v77
	v_subrev_nc_u32_e32 v80, 28, v77
	v_sub_nc_u32_e32 v77, 29, v77
	v_lshlrev_b64 v[80:81], v80, v[27:28]
	v_and_b32_e32 v27, 7, v80
; %bb.207:                              ;   in Loop: Header=BB352_13 Depth=1
	s_or_b32 exec_lo, exec_lo, s52
	v_lshlrev_b32_sdwa v79, v50, v79 dst_sel:DWORD dst_unused:UNUSED_PAD src0_sel:DWORD src1_sel:BYTE_3
	v_lshlrev_b32_e32 v27, 20, v27
	v_lshl_add_u32 v77, v77, 23, 0x3c000000
	v_and_b32_e32 v79, 0x80000000, v79
	v_or3_b32 v77, v27, v79, v77
.LBB352_208:                            ;   in Loop: Header=BB352_13 Depth=1
	s_or_b32 exec_lo, exec_lo, s51
.LBB352_209:                            ;   in Loop: Header=BB352_13 Depth=1
	s_or_b32 exec_lo, exec_lo, s50
.LBB352_210:                            ;   in Loop: Header=BB352_13 Depth=1
	s_or_b32 exec_lo, exec_lo, s3
	global_load_dword v83, v[33:34], off offset:768
	v_mov_b32_e32 v79, 0
	v_mov_b32_e32 v80, 0
	s_waitcnt vmcnt(0)
	v_cmp_ne_u16_sdwa s2, v83, v28 src0_sel:BYTE_0 src1_sel:DWORD
	s_and_saveexec_b32 s3, s2
	s_cbranch_execz .LBB352_218
; %bb.211:                              ;   in Loop: Header=BB352_13 Depth=1
	v_cmp_ne_u16_sdwa s2, v83, v46 src0_sel:BYTE_0 src1_sel:DWORD
	v_bfrev_b32_e32 v80, 1
	s_and_saveexec_b32 s50, s2
	s_cbranch_execz .LBB352_217
; %bb.212:                              ;   in Loop: Header=BB352_13 Depth=1
	v_and_b32_e32 v81, 0x7f, v83
	v_mov_b32_e32 v80, 0x7f800001
	s_mov_b32 s51, exec_lo
	v_cmpx_ne_u32_e32 0x7f, v81
	s_cbranch_execz .LBB352_216
; %bb.213:                              ;   in Loop: Header=BB352_13 Depth=1
	v_and_b32_e32 v27, 7, v83
	v_lshrrev_b32_e32 v80, 3, v81
	s_mov_b32 s52, exec_lo
	v_cmpx_gt_u32_e32 8, v81
; %bb.214:                              ;   in Loop: Header=BB352_13 Depth=1
	v_ffbh_u32_e32 v80, v27
	v_min_u32_e32 v80, 32, v80
	v_subrev_nc_u32_e32 v81, 28, v80
	v_sub_nc_u32_e32 v80, 29, v80
	v_lshlrev_b64 v[81:82], v81, v[27:28]
	v_and_b32_e32 v27, 7, v81
; %bb.215:                              ;   in Loop: Header=BB352_13 Depth=1
	s_or_b32 exec_lo, exec_lo, s52
	v_lshlrev_b32_e32 v81, 24, v83
	v_lshlrev_b32_e32 v27, 20, v27
	v_lshl_add_u32 v80, v80, 23, 0x3c000000
	v_and_b32_e32 v81, 0x80000000, v81
	v_or3_b32 v80, v27, v81, v80
.LBB352_216:                            ;   in Loop: Header=BB352_13 Depth=1
	s_or_b32 exec_lo, exec_lo, s51
.LBB352_217:                            ;   in Loop: Header=BB352_13 Depth=1
	s_or_b32 exec_lo, exec_lo, s50
.LBB352_218:                            ;   in Loop: Header=BB352_13 Depth=1
	s_or_b32 exec_lo, exec_lo, s3
	v_cmp_ne_u16_sdwa s2, v83, v28 src0_sel:BYTE_1 src1_sel:DWORD
	s_and_saveexec_b32 s3, s2
	s_cbranch_execz .LBB352_226
; %bb.219:                              ;   in Loop: Header=BB352_13 Depth=1
	v_cmp_ne_u16_sdwa s2, v83, v46 src0_sel:BYTE_1 src1_sel:DWORD
	v_bfrev_b32_e32 v79, 1
	s_and_saveexec_b32 s50, s2
	s_cbranch_execz .LBB352_225
; %bb.220:                              ;   in Loop: Header=BB352_13 Depth=1
	v_and_b32_sdwa v27, v47, v83 dst_sel:DWORD dst_unused:UNUSED_PAD src0_sel:DWORD src1_sel:BYTE_1
	v_mov_b32_e32 v79, 0x7f800001
	s_mov_b32 s51, exec_lo
	v_and_b32_e32 v81, 0x7f, v27
	v_cmpx_ne_u32_e32 0x7f, v81
	s_cbranch_execz .LBB352_224
; %bb.221:                              ;   in Loop: Header=BB352_13 Depth=1
	v_and_b32_e32 v27, 7, v27
	v_lshrrev_b32_e32 v79, 3, v81
	s_mov_b32 s52, exec_lo
	v_cmpx_gt_u32_e32 8, v81
; %bb.222:                              ;   in Loop: Header=BB352_13 Depth=1
	v_ffbh_u32_e32 v79, v27
	v_min_u32_e32 v79, 32, v79
	v_subrev_nc_u32_e32 v81, 28, v79
	v_sub_nc_u32_e32 v79, 29, v79
	v_lshlrev_b64 v[81:82], v81, v[27:28]
	v_and_b32_e32 v27, 7, v81
; %bb.223:                              ;   in Loop: Header=BB352_13 Depth=1
	s_or_b32 exec_lo, exec_lo, s52
	v_lshlrev_b32_e32 v81, 16, v83
	v_lshlrev_b32_e32 v27, 20, v27
	v_lshl_add_u32 v79, v79, 23, 0x3c000000
	v_and_b32_e32 v81, 0x80000000, v81
	v_or3_b32 v79, v27, v81, v79
.LBB352_224:                            ;   in Loop: Header=BB352_13 Depth=1
	s_or_b32 exec_lo, exec_lo, s51
.LBB352_225:                            ;   in Loop: Header=BB352_13 Depth=1
	s_or_b32 exec_lo, exec_lo, s50
.LBB352_226:                            ;   in Loop: Header=BB352_13 Depth=1
	s_or_b32 exec_lo, exec_lo, s3
	v_and_b32_sdwa v27, v83, v48 dst_sel:DWORD dst_unused:UNUSED_PAD src0_sel:WORD_1 src1_sel:DWORD
	v_mov_b32_e32 v81, 0
	v_mov_b32_e32 v82, 0
	s_mov_b32 s3, exec_lo
	v_cmpx_ne_u16_e32 0, v27
	s_cbranch_execz .LBB352_234
; %bb.227:                              ;   in Loop: Header=BB352_13 Depth=1
	v_bfrev_b32_e32 v82, 1
	s_mov_b32 s50, exec_lo
	v_cmpx_ne_u16_e32 0x80, v27
	s_cbranch_execz .LBB352_233
; %bb.228:                              ;   in Loop: Header=BB352_13 Depth=1
	v_bfe_u32 v84, v83, 16, 7
	v_mov_b32_e32 v82, 0x7f800001
	s_mov_b32 s51, exec_lo
	v_cmpx_ne_u32_e32 0x7f, v84
	s_cbranch_execz .LBB352_232
; %bb.229:                              ;   in Loop: Header=BB352_13 Depth=1
	v_and_b32_sdwa v27, v83, v49 dst_sel:DWORD dst_unused:UNUSED_PAD src0_sel:WORD_1 src1_sel:DWORD
	v_lshrrev_b32_e32 v82, 3, v84
	s_mov_b32 s52, exec_lo
	v_cmpx_gt_u32_e32 8, v84
; %bb.230:                              ;   in Loop: Header=BB352_13 Depth=1
	v_ffbh_u32_e32 v82, v27
	v_min_u32_e32 v82, 32, v82
	v_subrev_nc_u32_e32 v84, 28, v82
	v_sub_nc_u32_e32 v82, 29, v82
	v_lshlrev_b64 v[84:85], v84, v[27:28]
	v_and_b32_e32 v27, 7, v84
; %bb.231:                              ;   in Loop: Header=BB352_13 Depth=1
	s_or_b32 exec_lo, exec_lo, s52
	v_lshlrev_b32_sdwa v84, v50, v83 dst_sel:DWORD dst_unused:UNUSED_PAD src0_sel:DWORD src1_sel:WORD_1
	v_lshlrev_b32_e32 v27, 20, v27
	v_lshl_add_u32 v82, v82, 23, 0x3c000000
	v_and_b32_e32 v84, 0x80000000, v84
	v_or3_b32 v82, v27, v84, v82
.LBB352_232:                            ;   in Loop: Header=BB352_13 Depth=1
	s_or_b32 exec_lo, exec_lo, s51
.LBB352_233:                            ;   in Loop: Header=BB352_13 Depth=1
	s_or_b32 exec_lo, exec_lo, s50
.LBB352_234:                            ;   in Loop: Header=BB352_13 Depth=1
	s_or_b32 exec_lo, exec_lo, s3
	s_mov_b32 s3, exec_lo
	v_cmpx_lt_u32_e32 0xffffff, v83
	s_cbranch_execz .LBB352_242
; %bb.235:                              ;   in Loop: Header=BB352_13 Depth=1
	v_cmp_ne_u32_sdwa s2, v83, v46 src0_sel:BYTE_3 src1_sel:DWORD
	v_bfrev_b32_e32 v81, 1
	s_and_saveexec_b32 s50, s2
	s_cbranch_execz .LBB352_241
; %bb.236:                              ;   in Loop: Header=BB352_13 Depth=1
	v_bfe_u32 v84, v83, 24, 7
	v_mov_b32_e32 v81, 0x7f800001
	s_mov_b32 s51, exec_lo
	v_cmpx_ne_u32_e32 0x7f, v84
	s_cbranch_execz .LBB352_240
; %bb.237:                              ;   in Loop: Header=BB352_13 Depth=1
	v_and_b32_sdwa v27, v83, v49 dst_sel:DWORD dst_unused:UNUSED_PAD src0_sel:BYTE_3 src1_sel:DWORD
	v_lshrrev_b32_e32 v81, 3, v84
	s_mov_b32 s52, exec_lo
	v_cmpx_gt_u32_e32 8, v84
; %bb.238:                              ;   in Loop: Header=BB352_13 Depth=1
	v_ffbh_u32_e32 v81, v27
	v_min_u32_e32 v81, 32, v81
	v_subrev_nc_u32_e32 v84, 28, v81
	v_sub_nc_u32_e32 v81, 29, v81
	v_lshlrev_b64 v[84:85], v84, v[27:28]
	v_and_b32_e32 v27, 7, v84
; %bb.239:                              ;   in Loop: Header=BB352_13 Depth=1
	s_or_b32 exec_lo, exec_lo, s52
	v_lshlrev_b32_sdwa v83, v50, v83 dst_sel:DWORD dst_unused:UNUSED_PAD src0_sel:DWORD src1_sel:BYTE_3
	v_lshlrev_b32_e32 v27, 20, v27
	v_lshl_add_u32 v81, v81, 23, 0x3c000000
	v_and_b32_e32 v83, 0x80000000, v83
	v_or3_b32 v81, v27, v83, v81
.LBB352_240:                            ;   in Loop: Header=BB352_13 Depth=1
	s_or_b32 exec_lo, exec_lo, s51
.LBB352_241:                            ;   in Loop: Header=BB352_13 Depth=1
	s_or_b32 exec_lo, exec_lo, s50
.LBB352_242:                            ;   in Loop: Header=BB352_13 Depth=1
	s_or_b32 exec_lo, exec_lo, s3
	global_load_dword v87, v[33:34], off offset:776
	v_mov_b32_e32 v83, 0
	v_mov_b32_e32 v84, 0
	s_waitcnt vmcnt(0)
	v_cmp_ne_u16_sdwa s2, v87, v28 src0_sel:BYTE_0 src1_sel:DWORD
	s_and_saveexec_b32 s3, s2
	s_cbranch_execz .LBB352_250
; %bb.243:                              ;   in Loop: Header=BB352_13 Depth=1
	v_cmp_ne_u16_sdwa s2, v87, v46 src0_sel:BYTE_0 src1_sel:DWORD
	v_bfrev_b32_e32 v84, 1
	s_and_saveexec_b32 s50, s2
	s_cbranch_execz .LBB352_249
; %bb.244:                              ;   in Loop: Header=BB352_13 Depth=1
	v_and_b32_e32 v85, 0x7f, v87
	v_mov_b32_e32 v84, 0x7f800001
	s_mov_b32 s51, exec_lo
	v_cmpx_ne_u32_e32 0x7f, v85
	s_cbranch_execz .LBB352_248
; %bb.245:                              ;   in Loop: Header=BB352_13 Depth=1
	v_and_b32_e32 v27, 7, v87
	v_lshrrev_b32_e32 v84, 3, v85
	s_mov_b32 s52, exec_lo
	v_cmpx_gt_u32_e32 8, v85
; %bb.246:                              ;   in Loop: Header=BB352_13 Depth=1
	v_ffbh_u32_e32 v84, v27
	v_min_u32_e32 v84, 32, v84
	v_subrev_nc_u32_e32 v85, 28, v84
	v_sub_nc_u32_e32 v84, 29, v84
	v_lshlrev_b64 v[85:86], v85, v[27:28]
	v_and_b32_e32 v27, 7, v85
; %bb.247:                              ;   in Loop: Header=BB352_13 Depth=1
	s_or_b32 exec_lo, exec_lo, s52
	v_lshlrev_b32_e32 v85, 24, v87
	v_lshlrev_b32_e32 v27, 20, v27
	v_lshl_add_u32 v84, v84, 23, 0x3c000000
	v_and_b32_e32 v85, 0x80000000, v85
	v_or3_b32 v84, v27, v85, v84
.LBB352_248:                            ;   in Loop: Header=BB352_13 Depth=1
	s_or_b32 exec_lo, exec_lo, s51
.LBB352_249:                            ;   in Loop: Header=BB352_13 Depth=1
	s_or_b32 exec_lo, exec_lo, s50
.LBB352_250:                            ;   in Loop: Header=BB352_13 Depth=1
	s_or_b32 exec_lo, exec_lo, s3
	v_cmp_ne_u16_sdwa s2, v87, v28 src0_sel:BYTE_1 src1_sel:DWORD
	s_and_saveexec_b32 s3, s2
	s_cbranch_execz .LBB352_258
; %bb.251:                              ;   in Loop: Header=BB352_13 Depth=1
	v_cmp_ne_u16_sdwa s2, v87, v46 src0_sel:BYTE_1 src1_sel:DWORD
	v_bfrev_b32_e32 v83, 1
	s_and_saveexec_b32 s50, s2
	s_cbranch_execz .LBB352_257
; %bb.252:                              ;   in Loop: Header=BB352_13 Depth=1
	v_and_b32_sdwa v27, v47, v87 dst_sel:DWORD dst_unused:UNUSED_PAD src0_sel:DWORD src1_sel:BYTE_1
	v_mov_b32_e32 v83, 0x7f800001
	s_mov_b32 s51, exec_lo
	v_and_b32_e32 v85, 0x7f, v27
	v_cmpx_ne_u32_e32 0x7f, v85
	s_cbranch_execz .LBB352_256
; %bb.253:                              ;   in Loop: Header=BB352_13 Depth=1
	v_and_b32_e32 v27, 7, v27
	v_lshrrev_b32_e32 v83, 3, v85
	s_mov_b32 s52, exec_lo
	v_cmpx_gt_u32_e32 8, v85
; %bb.254:                              ;   in Loop: Header=BB352_13 Depth=1
	v_ffbh_u32_e32 v83, v27
	v_min_u32_e32 v83, 32, v83
	v_subrev_nc_u32_e32 v85, 28, v83
	v_sub_nc_u32_e32 v83, 29, v83
	v_lshlrev_b64 v[85:86], v85, v[27:28]
	v_and_b32_e32 v27, 7, v85
; %bb.255:                              ;   in Loop: Header=BB352_13 Depth=1
	s_or_b32 exec_lo, exec_lo, s52
	v_lshlrev_b32_e32 v85, 16, v87
	v_lshlrev_b32_e32 v27, 20, v27
	v_lshl_add_u32 v83, v83, 23, 0x3c000000
	v_and_b32_e32 v85, 0x80000000, v85
	v_or3_b32 v83, v27, v85, v83
.LBB352_256:                            ;   in Loop: Header=BB352_13 Depth=1
	s_or_b32 exec_lo, exec_lo, s51
.LBB352_257:                            ;   in Loop: Header=BB352_13 Depth=1
	s_or_b32 exec_lo, exec_lo, s50
.LBB352_258:                            ;   in Loop: Header=BB352_13 Depth=1
	s_or_b32 exec_lo, exec_lo, s3
	v_and_b32_sdwa v27, v87, v48 dst_sel:DWORD dst_unused:UNUSED_PAD src0_sel:WORD_1 src1_sel:DWORD
	v_mov_b32_e32 v85, 0
	v_mov_b32_e32 v86, 0
	s_mov_b32 s3, exec_lo
	v_cmpx_ne_u16_e32 0, v27
	s_cbranch_execz .LBB352_266
; %bb.259:                              ;   in Loop: Header=BB352_13 Depth=1
	v_bfrev_b32_e32 v86, 1
	s_mov_b32 s50, exec_lo
	v_cmpx_ne_u16_e32 0x80, v27
	s_cbranch_execz .LBB352_265
; %bb.260:                              ;   in Loop: Header=BB352_13 Depth=1
	v_bfe_u32 v88, v87, 16, 7
	v_mov_b32_e32 v86, 0x7f800001
	s_mov_b32 s51, exec_lo
	v_cmpx_ne_u32_e32 0x7f, v88
	s_cbranch_execz .LBB352_264
; %bb.261:                              ;   in Loop: Header=BB352_13 Depth=1
	v_and_b32_sdwa v27, v87, v49 dst_sel:DWORD dst_unused:UNUSED_PAD src0_sel:WORD_1 src1_sel:DWORD
	v_lshrrev_b32_e32 v86, 3, v88
	s_mov_b32 s52, exec_lo
	v_cmpx_gt_u32_e32 8, v88
; %bb.262:                              ;   in Loop: Header=BB352_13 Depth=1
	v_ffbh_u32_e32 v86, v27
	v_min_u32_e32 v86, 32, v86
	v_subrev_nc_u32_e32 v88, 28, v86
	v_sub_nc_u32_e32 v86, 29, v86
	v_lshlrev_b64 v[88:89], v88, v[27:28]
	v_and_b32_e32 v27, 7, v88
; %bb.263:                              ;   in Loop: Header=BB352_13 Depth=1
	s_or_b32 exec_lo, exec_lo, s52
	v_lshlrev_b32_sdwa v88, v50, v87 dst_sel:DWORD dst_unused:UNUSED_PAD src0_sel:DWORD src1_sel:WORD_1
	v_lshlrev_b32_e32 v27, 20, v27
	v_lshl_add_u32 v86, v86, 23, 0x3c000000
	v_and_b32_e32 v88, 0x80000000, v88
	v_or3_b32 v86, v27, v88, v86
.LBB352_264:                            ;   in Loop: Header=BB352_13 Depth=1
	s_or_b32 exec_lo, exec_lo, s51
.LBB352_265:                            ;   in Loop: Header=BB352_13 Depth=1
	s_or_b32 exec_lo, exec_lo, s50
.LBB352_266:                            ;   in Loop: Header=BB352_13 Depth=1
	s_or_b32 exec_lo, exec_lo, s3
	s_mov_b32 s3, exec_lo
	v_cmpx_lt_u32_e32 0xffffff, v87
	s_cbranch_execz .LBB352_274
; %bb.267:                              ;   in Loop: Header=BB352_13 Depth=1
	v_cmp_ne_u32_sdwa s2, v87, v46 src0_sel:BYTE_3 src1_sel:DWORD
	v_bfrev_b32_e32 v85, 1
	s_and_saveexec_b32 s50, s2
	s_cbranch_execz .LBB352_273
; %bb.268:                              ;   in Loop: Header=BB352_13 Depth=1
	v_bfe_u32 v88, v87, 24, 7
	v_mov_b32_e32 v85, 0x7f800001
	s_mov_b32 s51, exec_lo
	v_cmpx_ne_u32_e32 0x7f, v88
	s_cbranch_execz .LBB352_272
; %bb.269:                              ;   in Loop: Header=BB352_13 Depth=1
	v_and_b32_sdwa v27, v87, v49 dst_sel:DWORD dst_unused:UNUSED_PAD src0_sel:BYTE_3 src1_sel:DWORD
	v_lshrrev_b32_e32 v85, 3, v88
	s_mov_b32 s52, exec_lo
	v_cmpx_gt_u32_e32 8, v88
; %bb.270:                              ;   in Loop: Header=BB352_13 Depth=1
	v_ffbh_u32_e32 v85, v27
	v_min_u32_e32 v85, 32, v85
	v_subrev_nc_u32_e32 v88, 28, v85
	v_sub_nc_u32_e32 v85, 29, v85
	v_lshlrev_b64 v[88:89], v88, v[27:28]
	v_and_b32_e32 v27, 7, v88
; %bb.271:                              ;   in Loop: Header=BB352_13 Depth=1
	s_or_b32 exec_lo, exec_lo, s52
	v_lshlrev_b32_sdwa v87, v50, v87 dst_sel:DWORD dst_unused:UNUSED_PAD src0_sel:DWORD src1_sel:BYTE_3
	v_lshlrev_b32_e32 v27, 20, v27
	v_lshl_add_u32 v85, v85, 23, 0x3c000000
	v_and_b32_e32 v87, 0x80000000, v87
	v_or3_b32 v85, v27, v87, v85
.LBB352_272:                            ;   in Loop: Header=BB352_13 Depth=1
	s_or_b32 exec_lo, exec_lo, s51
.LBB352_273:                            ;   in Loop: Header=BB352_13 Depth=1
	s_or_b32 exec_lo, exec_lo, s50
.LBB352_274:                            ;   in Loop: Header=BB352_13 Depth=1
	s_or_b32 exec_lo, exec_lo, s3
	global_load_dword v91, v[33:34], off offset:1024
	v_mov_b32_e32 v87, 0
	v_mov_b32_e32 v88, 0
	s_waitcnt vmcnt(0)
	v_cmp_ne_u16_sdwa s2, v91, v28 src0_sel:BYTE_0 src1_sel:DWORD
	s_and_saveexec_b32 s3, s2
	s_cbranch_execz .LBB352_282
; %bb.275:                              ;   in Loop: Header=BB352_13 Depth=1
	v_cmp_ne_u16_sdwa s2, v91, v46 src0_sel:BYTE_0 src1_sel:DWORD
	v_bfrev_b32_e32 v88, 1
	s_and_saveexec_b32 s50, s2
	s_cbranch_execz .LBB352_281
; %bb.276:                              ;   in Loop: Header=BB352_13 Depth=1
	v_and_b32_e32 v89, 0x7f, v91
	v_mov_b32_e32 v88, 0x7f800001
	s_mov_b32 s51, exec_lo
	v_cmpx_ne_u32_e32 0x7f, v89
	s_cbranch_execz .LBB352_280
; %bb.277:                              ;   in Loop: Header=BB352_13 Depth=1
	v_and_b32_e32 v27, 7, v91
	v_lshrrev_b32_e32 v88, 3, v89
	s_mov_b32 s52, exec_lo
	v_cmpx_gt_u32_e32 8, v89
; %bb.278:                              ;   in Loop: Header=BB352_13 Depth=1
	v_ffbh_u32_e32 v88, v27
	v_min_u32_e32 v88, 32, v88
	v_subrev_nc_u32_e32 v89, 28, v88
	v_sub_nc_u32_e32 v88, 29, v88
	v_lshlrev_b64 v[89:90], v89, v[27:28]
	v_and_b32_e32 v27, 7, v89
; %bb.279:                              ;   in Loop: Header=BB352_13 Depth=1
	s_or_b32 exec_lo, exec_lo, s52
	v_lshlrev_b32_e32 v89, 24, v91
	v_lshlrev_b32_e32 v27, 20, v27
	v_lshl_add_u32 v88, v88, 23, 0x3c000000
	v_and_b32_e32 v89, 0x80000000, v89
	v_or3_b32 v88, v27, v89, v88
.LBB352_280:                            ;   in Loop: Header=BB352_13 Depth=1
	s_or_b32 exec_lo, exec_lo, s51
.LBB352_281:                            ;   in Loop: Header=BB352_13 Depth=1
	s_or_b32 exec_lo, exec_lo, s50
.LBB352_282:                            ;   in Loop: Header=BB352_13 Depth=1
	s_or_b32 exec_lo, exec_lo, s3
	v_cmp_ne_u16_sdwa s2, v91, v28 src0_sel:BYTE_1 src1_sel:DWORD
	s_and_saveexec_b32 s3, s2
	s_cbranch_execz .LBB352_290
; %bb.283:                              ;   in Loop: Header=BB352_13 Depth=1
	v_cmp_ne_u16_sdwa s2, v91, v46 src0_sel:BYTE_1 src1_sel:DWORD
	v_bfrev_b32_e32 v87, 1
	s_and_saveexec_b32 s50, s2
	s_cbranch_execz .LBB352_289
; %bb.284:                              ;   in Loop: Header=BB352_13 Depth=1
	v_and_b32_sdwa v27, v47, v91 dst_sel:DWORD dst_unused:UNUSED_PAD src0_sel:DWORD src1_sel:BYTE_1
	v_mov_b32_e32 v87, 0x7f800001
	s_mov_b32 s51, exec_lo
	v_and_b32_e32 v89, 0x7f, v27
	v_cmpx_ne_u32_e32 0x7f, v89
	s_cbranch_execz .LBB352_288
; %bb.285:                              ;   in Loop: Header=BB352_13 Depth=1
	v_and_b32_e32 v27, 7, v27
	v_lshrrev_b32_e32 v87, 3, v89
	s_mov_b32 s52, exec_lo
	v_cmpx_gt_u32_e32 8, v89
; %bb.286:                              ;   in Loop: Header=BB352_13 Depth=1
	v_ffbh_u32_e32 v87, v27
	v_min_u32_e32 v87, 32, v87
	v_subrev_nc_u32_e32 v89, 28, v87
	v_sub_nc_u32_e32 v87, 29, v87
	v_lshlrev_b64 v[89:90], v89, v[27:28]
	v_and_b32_e32 v27, 7, v89
; %bb.287:                              ;   in Loop: Header=BB352_13 Depth=1
	s_or_b32 exec_lo, exec_lo, s52
	v_lshlrev_b32_e32 v89, 16, v91
	v_lshlrev_b32_e32 v27, 20, v27
	v_lshl_add_u32 v87, v87, 23, 0x3c000000
	v_and_b32_e32 v89, 0x80000000, v89
	v_or3_b32 v87, v27, v89, v87
.LBB352_288:                            ;   in Loop: Header=BB352_13 Depth=1
	s_or_b32 exec_lo, exec_lo, s51
.LBB352_289:                            ;   in Loop: Header=BB352_13 Depth=1
	s_or_b32 exec_lo, exec_lo, s50
.LBB352_290:                            ;   in Loop: Header=BB352_13 Depth=1
	s_or_b32 exec_lo, exec_lo, s3
	v_and_b32_sdwa v27, v91, v48 dst_sel:DWORD dst_unused:UNUSED_PAD src0_sel:WORD_1 src1_sel:DWORD
	v_mov_b32_e32 v89, 0
	v_mov_b32_e32 v90, 0
	s_mov_b32 s3, exec_lo
	v_cmpx_ne_u16_e32 0, v27
	s_cbranch_execz .LBB352_298
; %bb.291:                              ;   in Loop: Header=BB352_13 Depth=1
	v_bfrev_b32_e32 v90, 1
	s_mov_b32 s50, exec_lo
	v_cmpx_ne_u16_e32 0x80, v27
	s_cbranch_execz .LBB352_297
; %bb.292:                              ;   in Loop: Header=BB352_13 Depth=1
	v_bfe_u32 v92, v91, 16, 7
	v_mov_b32_e32 v90, 0x7f800001
	s_mov_b32 s51, exec_lo
	v_cmpx_ne_u32_e32 0x7f, v92
	s_cbranch_execz .LBB352_296
; %bb.293:                              ;   in Loop: Header=BB352_13 Depth=1
	v_and_b32_sdwa v27, v91, v49 dst_sel:DWORD dst_unused:UNUSED_PAD src0_sel:WORD_1 src1_sel:DWORD
	v_lshrrev_b32_e32 v90, 3, v92
	s_mov_b32 s52, exec_lo
	v_cmpx_gt_u32_e32 8, v92
; %bb.294:                              ;   in Loop: Header=BB352_13 Depth=1
	v_ffbh_u32_e32 v90, v27
	v_min_u32_e32 v90, 32, v90
	v_subrev_nc_u32_e32 v92, 28, v90
	v_sub_nc_u32_e32 v90, 29, v90
	v_lshlrev_b64 v[92:93], v92, v[27:28]
	v_and_b32_e32 v27, 7, v92
; %bb.295:                              ;   in Loop: Header=BB352_13 Depth=1
	s_or_b32 exec_lo, exec_lo, s52
	v_lshlrev_b32_sdwa v92, v50, v91 dst_sel:DWORD dst_unused:UNUSED_PAD src0_sel:DWORD src1_sel:WORD_1
	v_lshlrev_b32_e32 v27, 20, v27
	v_lshl_add_u32 v90, v90, 23, 0x3c000000
	v_and_b32_e32 v92, 0x80000000, v92
	v_or3_b32 v90, v27, v92, v90
.LBB352_296:                            ;   in Loop: Header=BB352_13 Depth=1
	s_or_b32 exec_lo, exec_lo, s51
.LBB352_297:                            ;   in Loop: Header=BB352_13 Depth=1
	s_or_b32 exec_lo, exec_lo, s50
.LBB352_298:                            ;   in Loop: Header=BB352_13 Depth=1
	s_or_b32 exec_lo, exec_lo, s3
	s_mov_b32 s3, exec_lo
	v_cmpx_lt_u32_e32 0xffffff, v91
	s_cbranch_execz .LBB352_306
; %bb.299:                              ;   in Loop: Header=BB352_13 Depth=1
	v_cmp_ne_u32_sdwa s2, v91, v46 src0_sel:BYTE_3 src1_sel:DWORD
	v_bfrev_b32_e32 v89, 1
	s_and_saveexec_b32 s50, s2
	s_cbranch_execz .LBB352_305
; %bb.300:                              ;   in Loop: Header=BB352_13 Depth=1
	v_bfe_u32 v92, v91, 24, 7
	v_mov_b32_e32 v89, 0x7f800001
	s_mov_b32 s51, exec_lo
	v_cmpx_ne_u32_e32 0x7f, v92
	s_cbranch_execz .LBB352_304
; %bb.301:                              ;   in Loop: Header=BB352_13 Depth=1
	v_and_b32_sdwa v27, v91, v49 dst_sel:DWORD dst_unused:UNUSED_PAD src0_sel:BYTE_3 src1_sel:DWORD
	v_lshrrev_b32_e32 v89, 3, v92
	s_mov_b32 s52, exec_lo
	v_cmpx_gt_u32_e32 8, v92
; %bb.302:                              ;   in Loop: Header=BB352_13 Depth=1
	v_ffbh_u32_e32 v89, v27
	v_min_u32_e32 v89, 32, v89
	v_subrev_nc_u32_e32 v92, 28, v89
	v_sub_nc_u32_e32 v89, 29, v89
	v_lshlrev_b64 v[92:93], v92, v[27:28]
	v_and_b32_e32 v27, 7, v92
; %bb.303:                              ;   in Loop: Header=BB352_13 Depth=1
	s_or_b32 exec_lo, exec_lo, s52
	v_lshlrev_b32_sdwa v91, v50, v91 dst_sel:DWORD dst_unused:UNUSED_PAD src0_sel:DWORD src1_sel:BYTE_3
	v_lshlrev_b32_e32 v27, 20, v27
	v_lshl_add_u32 v89, v89, 23, 0x3c000000
	v_and_b32_e32 v91, 0x80000000, v91
	v_or3_b32 v89, v27, v91, v89
.LBB352_304:                            ;   in Loop: Header=BB352_13 Depth=1
	s_or_b32 exec_lo, exec_lo, s51
.LBB352_305:                            ;   in Loop: Header=BB352_13 Depth=1
	s_or_b32 exec_lo, exec_lo, s50
.LBB352_306:                            ;   in Loop: Header=BB352_13 Depth=1
	s_or_b32 exec_lo, exec_lo, s3
	global_load_dword v95, v[33:34], off offset:1032
	v_mov_b32_e32 v91, 0
	v_mov_b32_e32 v92, 0
	s_waitcnt vmcnt(0)
	v_cmp_ne_u16_sdwa s2, v95, v28 src0_sel:BYTE_0 src1_sel:DWORD
	s_and_saveexec_b32 s3, s2
	s_cbranch_execz .LBB352_314
; %bb.307:                              ;   in Loop: Header=BB352_13 Depth=1
	v_cmp_ne_u16_sdwa s2, v95, v46 src0_sel:BYTE_0 src1_sel:DWORD
	v_bfrev_b32_e32 v92, 1
	s_and_saveexec_b32 s50, s2
	s_cbranch_execz .LBB352_313
; %bb.308:                              ;   in Loop: Header=BB352_13 Depth=1
	v_and_b32_e32 v93, 0x7f, v95
	v_mov_b32_e32 v92, 0x7f800001
	s_mov_b32 s51, exec_lo
	v_cmpx_ne_u32_e32 0x7f, v93
	s_cbranch_execz .LBB352_312
; %bb.309:                              ;   in Loop: Header=BB352_13 Depth=1
	v_and_b32_e32 v27, 7, v95
	v_lshrrev_b32_e32 v92, 3, v93
	s_mov_b32 s52, exec_lo
	v_cmpx_gt_u32_e32 8, v93
; %bb.310:                              ;   in Loop: Header=BB352_13 Depth=1
	v_ffbh_u32_e32 v92, v27
	v_min_u32_e32 v92, 32, v92
	v_subrev_nc_u32_e32 v93, 28, v92
	v_sub_nc_u32_e32 v92, 29, v92
	v_lshlrev_b64 v[93:94], v93, v[27:28]
	v_and_b32_e32 v27, 7, v93
; %bb.311:                              ;   in Loop: Header=BB352_13 Depth=1
	s_or_b32 exec_lo, exec_lo, s52
	v_lshlrev_b32_e32 v93, 24, v95
	v_lshlrev_b32_e32 v27, 20, v27
	v_lshl_add_u32 v92, v92, 23, 0x3c000000
	v_and_b32_e32 v93, 0x80000000, v93
	v_or3_b32 v92, v27, v93, v92
.LBB352_312:                            ;   in Loop: Header=BB352_13 Depth=1
	s_or_b32 exec_lo, exec_lo, s51
.LBB352_313:                            ;   in Loop: Header=BB352_13 Depth=1
	s_or_b32 exec_lo, exec_lo, s50
.LBB352_314:                            ;   in Loop: Header=BB352_13 Depth=1
	s_or_b32 exec_lo, exec_lo, s3
	v_cmp_ne_u16_sdwa s2, v95, v28 src0_sel:BYTE_1 src1_sel:DWORD
	s_and_saveexec_b32 s3, s2
	s_cbranch_execz .LBB352_322
; %bb.315:                              ;   in Loop: Header=BB352_13 Depth=1
	v_cmp_ne_u16_sdwa s2, v95, v46 src0_sel:BYTE_1 src1_sel:DWORD
	v_bfrev_b32_e32 v91, 1
	s_and_saveexec_b32 s50, s2
	s_cbranch_execz .LBB352_321
; %bb.316:                              ;   in Loop: Header=BB352_13 Depth=1
	v_and_b32_sdwa v27, v47, v95 dst_sel:DWORD dst_unused:UNUSED_PAD src0_sel:DWORD src1_sel:BYTE_1
	v_mov_b32_e32 v91, 0x7f800001
	s_mov_b32 s51, exec_lo
	v_and_b32_e32 v93, 0x7f, v27
	v_cmpx_ne_u32_e32 0x7f, v93
	s_cbranch_execz .LBB352_320
; %bb.317:                              ;   in Loop: Header=BB352_13 Depth=1
	v_and_b32_e32 v27, 7, v27
	v_lshrrev_b32_e32 v91, 3, v93
	s_mov_b32 s52, exec_lo
	v_cmpx_gt_u32_e32 8, v93
; %bb.318:                              ;   in Loop: Header=BB352_13 Depth=1
	v_ffbh_u32_e32 v91, v27
	v_min_u32_e32 v91, 32, v91
	v_subrev_nc_u32_e32 v93, 28, v91
	v_sub_nc_u32_e32 v91, 29, v91
	v_lshlrev_b64 v[93:94], v93, v[27:28]
	v_and_b32_e32 v27, 7, v93
; %bb.319:                              ;   in Loop: Header=BB352_13 Depth=1
	s_or_b32 exec_lo, exec_lo, s52
	v_lshlrev_b32_e32 v93, 16, v95
	v_lshlrev_b32_e32 v27, 20, v27
	v_lshl_add_u32 v91, v91, 23, 0x3c000000
	v_and_b32_e32 v93, 0x80000000, v93
	v_or3_b32 v91, v27, v93, v91
.LBB352_320:                            ;   in Loop: Header=BB352_13 Depth=1
	s_or_b32 exec_lo, exec_lo, s51
.LBB352_321:                            ;   in Loop: Header=BB352_13 Depth=1
	s_or_b32 exec_lo, exec_lo, s50
.LBB352_322:                            ;   in Loop: Header=BB352_13 Depth=1
	s_or_b32 exec_lo, exec_lo, s3
	v_and_b32_sdwa v27, v95, v48 dst_sel:DWORD dst_unused:UNUSED_PAD src0_sel:WORD_1 src1_sel:DWORD
	v_mov_b32_e32 v93, 0
	v_mov_b32_e32 v94, 0
	s_mov_b32 s3, exec_lo
	v_cmpx_ne_u16_e32 0, v27
	s_cbranch_execz .LBB352_330
; %bb.323:                              ;   in Loop: Header=BB352_13 Depth=1
	v_bfrev_b32_e32 v94, 1
	s_mov_b32 s50, exec_lo
	v_cmpx_ne_u16_e32 0x80, v27
	s_cbranch_execz .LBB352_329
; %bb.324:                              ;   in Loop: Header=BB352_13 Depth=1
	v_bfe_u32 v96, v95, 16, 7
	v_mov_b32_e32 v94, 0x7f800001
	s_mov_b32 s51, exec_lo
	v_cmpx_ne_u32_e32 0x7f, v96
	s_cbranch_execz .LBB352_328
; %bb.325:                              ;   in Loop: Header=BB352_13 Depth=1
	v_and_b32_sdwa v27, v95, v49 dst_sel:DWORD dst_unused:UNUSED_PAD src0_sel:WORD_1 src1_sel:DWORD
	v_lshrrev_b32_e32 v94, 3, v96
	s_mov_b32 s52, exec_lo
	v_cmpx_gt_u32_e32 8, v96
; %bb.326:                              ;   in Loop: Header=BB352_13 Depth=1
	v_ffbh_u32_e32 v94, v27
	v_min_u32_e32 v94, 32, v94
	v_subrev_nc_u32_e32 v96, 28, v94
	v_sub_nc_u32_e32 v94, 29, v94
	v_lshlrev_b64 v[96:97], v96, v[27:28]
	v_and_b32_e32 v27, 7, v96
; %bb.327:                              ;   in Loop: Header=BB352_13 Depth=1
	s_or_b32 exec_lo, exec_lo, s52
	v_lshlrev_b32_sdwa v96, v50, v95 dst_sel:DWORD dst_unused:UNUSED_PAD src0_sel:DWORD src1_sel:WORD_1
	v_lshlrev_b32_e32 v27, 20, v27
	v_lshl_add_u32 v94, v94, 23, 0x3c000000
	v_and_b32_e32 v96, 0x80000000, v96
	v_or3_b32 v94, v27, v96, v94
.LBB352_328:                            ;   in Loop: Header=BB352_13 Depth=1
	s_or_b32 exec_lo, exec_lo, s51
.LBB352_329:                            ;   in Loop: Header=BB352_13 Depth=1
	s_or_b32 exec_lo, exec_lo, s50
.LBB352_330:                            ;   in Loop: Header=BB352_13 Depth=1
	s_or_b32 exec_lo, exec_lo, s3
	s_mov_b32 s3, exec_lo
	v_cmpx_lt_u32_e32 0xffffff, v95
	s_cbranch_execz .LBB352_338
; %bb.331:                              ;   in Loop: Header=BB352_13 Depth=1
	v_cmp_ne_u32_sdwa s2, v95, v46 src0_sel:BYTE_3 src1_sel:DWORD
	v_bfrev_b32_e32 v93, 1
	s_and_saveexec_b32 s50, s2
	s_cbranch_execz .LBB352_337
; %bb.332:                              ;   in Loop: Header=BB352_13 Depth=1
	v_bfe_u32 v96, v95, 24, 7
	v_mov_b32_e32 v93, 0x7f800001
	s_mov_b32 s51, exec_lo
	v_cmpx_ne_u32_e32 0x7f, v96
	s_cbranch_execz .LBB352_336
; %bb.333:                              ;   in Loop: Header=BB352_13 Depth=1
	v_and_b32_sdwa v27, v95, v49 dst_sel:DWORD dst_unused:UNUSED_PAD src0_sel:BYTE_3 src1_sel:DWORD
	v_lshrrev_b32_e32 v93, 3, v96
	s_mov_b32 s52, exec_lo
	v_cmpx_gt_u32_e32 8, v96
; %bb.334:                              ;   in Loop: Header=BB352_13 Depth=1
	v_ffbh_u32_e32 v93, v27
	v_min_u32_e32 v93, 32, v93
	v_subrev_nc_u32_e32 v96, 28, v93
	v_sub_nc_u32_e32 v93, 29, v93
	v_lshlrev_b64 v[96:97], v96, v[27:28]
	v_and_b32_e32 v27, 7, v96
; %bb.335:                              ;   in Loop: Header=BB352_13 Depth=1
	s_or_b32 exec_lo, exec_lo, s52
	v_lshlrev_b32_sdwa v95, v50, v95 dst_sel:DWORD dst_unused:UNUSED_PAD src0_sel:DWORD src1_sel:BYTE_3
	v_lshlrev_b32_e32 v27, 20, v27
	v_lshl_add_u32 v93, v93, 23, 0x3c000000
	v_and_b32_e32 v95, 0x80000000, v95
	v_or3_b32 v93, v27, v95, v93
.LBB352_336:                            ;   in Loop: Header=BB352_13 Depth=1
	s_or_b32 exec_lo, exec_lo, s51
.LBB352_337:                            ;   in Loop: Header=BB352_13 Depth=1
	s_or_b32 exec_lo, exec_lo, s50
.LBB352_338:                            ;   in Loop: Header=BB352_13 Depth=1
	s_or_b32 exec_lo, exec_lo, s3
	global_load_dword v99, v[33:34], off offset:1280
	v_mov_b32_e32 v96, 0
	v_mov_b32_e32 v95, 0
	s_waitcnt vmcnt(0)
	v_cmp_ne_u16_sdwa s2, v99, v28 src0_sel:BYTE_0 src1_sel:DWORD
	s_and_saveexec_b32 s3, s2
	s_cbranch_execz .LBB352_346
; %bb.339:                              ;   in Loop: Header=BB352_13 Depth=1
	v_cmp_ne_u16_sdwa s2, v99, v46 src0_sel:BYTE_0 src1_sel:DWORD
	v_bfrev_b32_e32 v95, 1
	s_and_saveexec_b32 s50, s2
	s_cbranch_execz .LBB352_345
; %bb.340:                              ;   in Loop: Header=BB352_13 Depth=1
	v_and_b32_e32 v97, 0x7f, v99
	v_mov_b32_e32 v95, 0x7f800001
	s_mov_b32 s51, exec_lo
	v_cmpx_ne_u32_e32 0x7f, v97
	s_cbranch_execz .LBB352_344
; %bb.341:                              ;   in Loop: Header=BB352_13 Depth=1
	v_and_b32_e32 v27, 7, v99
	v_lshrrev_b32_e32 v95, 3, v97
	s_mov_b32 s52, exec_lo
	v_cmpx_gt_u32_e32 8, v97
; %bb.342:                              ;   in Loop: Header=BB352_13 Depth=1
	v_ffbh_u32_e32 v95, v27
	v_min_u32_e32 v95, 32, v95
	v_subrev_nc_u32_e32 v97, 28, v95
	v_sub_nc_u32_e32 v95, 29, v95
	v_lshlrev_b64 v[97:98], v97, v[27:28]
	v_and_b32_e32 v27, 7, v97
; %bb.343:                              ;   in Loop: Header=BB352_13 Depth=1
	s_or_b32 exec_lo, exec_lo, s52
	v_lshlrev_b32_e32 v97, 24, v99
	v_lshlrev_b32_e32 v27, 20, v27
	v_lshl_add_u32 v95, v95, 23, 0x3c000000
	v_and_b32_e32 v97, 0x80000000, v97
	v_or3_b32 v95, v27, v97, v95
.LBB352_344:                            ;   in Loop: Header=BB352_13 Depth=1
	s_or_b32 exec_lo, exec_lo, s51
.LBB352_345:                            ;   in Loop: Header=BB352_13 Depth=1
	s_or_b32 exec_lo, exec_lo, s50
.LBB352_346:                            ;   in Loop: Header=BB352_13 Depth=1
	s_or_b32 exec_lo, exec_lo, s3
	v_cmp_ne_u16_sdwa s2, v99, v28 src0_sel:BYTE_1 src1_sel:DWORD
	s_and_saveexec_b32 s3, s2
	s_cbranch_execz .LBB352_354
; %bb.347:                              ;   in Loop: Header=BB352_13 Depth=1
	v_cmp_ne_u16_sdwa s2, v99, v46 src0_sel:BYTE_1 src1_sel:DWORD
	v_bfrev_b32_e32 v96, 1
	s_and_saveexec_b32 s50, s2
	s_cbranch_execz .LBB352_353
; %bb.348:                              ;   in Loop: Header=BB352_13 Depth=1
	v_and_b32_sdwa v27, v47, v99 dst_sel:DWORD dst_unused:UNUSED_PAD src0_sel:DWORD src1_sel:BYTE_1
	v_mov_b32_e32 v96, 0x7f800001
	s_mov_b32 s51, exec_lo
	v_and_b32_e32 v97, 0x7f, v27
	v_cmpx_ne_u32_e32 0x7f, v97
	s_cbranch_execz .LBB352_352
; %bb.349:                              ;   in Loop: Header=BB352_13 Depth=1
	v_and_b32_e32 v27, 7, v27
	v_lshrrev_b32_e32 v96, 3, v97
	s_mov_b32 s52, exec_lo
	v_cmpx_gt_u32_e32 8, v97
; %bb.350:                              ;   in Loop: Header=BB352_13 Depth=1
	v_ffbh_u32_e32 v96, v27
	v_min_u32_e32 v96, 32, v96
	v_subrev_nc_u32_e32 v97, 28, v96
	v_sub_nc_u32_e32 v96, 29, v96
	v_lshlrev_b64 v[97:98], v97, v[27:28]
	v_and_b32_e32 v27, 7, v97
; %bb.351:                              ;   in Loop: Header=BB352_13 Depth=1
	s_or_b32 exec_lo, exec_lo, s52
	v_lshlrev_b32_e32 v97, 16, v99
	v_lshlrev_b32_e32 v27, 20, v27
	v_lshl_add_u32 v96, v96, 23, 0x3c000000
	v_and_b32_e32 v97, 0x80000000, v97
	v_or3_b32 v96, v27, v97, v96
.LBB352_352:                            ;   in Loop: Header=BB352_13 Depth=1
	s_or_b32 exec_lo, exec_lo, s51
.LBB352_353:                            ;   in Loop: Header=BB352_13 Depth=1
	s_or_b32 exec_lo, exec_lo, s50
.LBB352_354:                            ;   in Loop: Header=BB352_13 Depth=1
	s_or_b32 exec_lo, exec_lo, s3
	v_and_b32_sdwa v27, v99, v48 dst_sel:DWORD dst_unused:UNUSED_PAD src0_sel:WORD_1 src1_sel:DWORD
	v_mov_b32_e32 v97, 0
	v_mov_b32_e32 v98, 0
	s_mov_b32 s3, exec_lo
	v_cmpx_ne_u16_e32 0, v27
	s_cbranch_execz .LBB352_362
; %bb.355:                              ;   in Loop: Header=BB352_13 Depth=1
	v_bfrev_b32_e32 v98, 1
	s_mov_b32 s50, exec_lo
	v_cmpx_ne_u16_e32 0x80, v27
	s_cbranch_execz .LBB352_361
; %bb.356:                              ;   in Loop: Header=BB352_13 Depth=1
	v_bfe_u32 v100, v99, 16, 7
	v_mov_b32_e32 v98, 0x7f800001
	s_mov_b32 s51, exec_lo
	v_cmpx_ne_u32_e32 0x7f, v100
	s_cbranch_execz .LBB352_360
; %bb.357:                              ;   in Loop: Header=BB352_13 Depth=1
	v_and_b32_sdwa v27, v99, v49 dst_sel:DWORD dst_unused:UNUSED_PAD src0_sel:WORD_1 src1_sel:DWORD
	v_lshrrev_b32_e32 v98, 3, v100
	s_mov_b32 s52, exec_lo
	v_cmpx_gt_u32_e32 8, v100
; %bb.358:                              ;   in Loop: Header=BB352_13 Depth=1
	v_ffbh_u32_e32 v98, v27
	v_min_u32_e32 v98, 32, v98
	v_subrev_nc_u32_e32 v100, 28, v98
	v_sub_nc_u32_e32 v98, 29, v98
	v_lshlrev_b64 v[100:101], v100, v[27:28]
	v_and_b32_e32 v27, 7, v100
; %bb.359:                              ;   in Loop: Header=BB352_13 Depth=1
	s_or_b32 exec_lo, exec_lo, s52
	v_lshlrev_b32_sdwa v100, v50, v99 dst_sel:DWORD dst_unused:UNUSED_PAD src0_sel:DWORD src1_sel:WORD_1
	v_lshlrev_b32_e32 v27, 20, v27
	v_lshl_add_u32 v98, v98, 23, 0x3c000000
	v_and_b32_e32 v100, 0x80000000, v100
	v_or3_b32 v98, v27, v100, v98
.LBB352_360:                            ;   in Loop: Header=BB352_13 Depth=1
	s_or_b32 exec_lo, exec_lo, s51
.LBB352_361:                            ;   in Loop: Header=BB352_13 Depth=1
	s_or_b32 exec_lo, exec_lo, s50
.LBB352_362:                            ;   in Loop: Header=BB352_13 Depth=1
	s_or_b32 exec_lo, exec_lo, s3
	s_mov_b32 s3, exec_lo
	v_cmpx_lt_u32_e32 0xffffff, v99
	s_cbranch_execz .LBB352_370
; %bb.363:                              ;   in Loop: Header=BB352_13 Depth=1
	v_cmp_ne_u32_sdwa s2, v99, v46 src0_sel:BYTE_3 src1_sel:DWORD
	v_bfrev_b32_e32 v97, 1
	s_and_saveexec_b32 s50, s2
	s_cbranch_execz .LBB352_369
; %bb.364:                              ;   in Loop: Header=BB352_13 Depth=1
	v_bfe_u32 v100, v99, 24, 7
	v_mov_b32_e32 v97, 0x7f800001
	s_mov_b32 s51, exec_lo
	v_cmpx_ne_u32_e32 0x7f, v100
	s_cbranch_execz .LBB352_368
; %bb.365:                              ;   in Loop: Header=BB352_13 Depth=1
	v_and_b32_sdwa v27, v99, v49 dst_sel:DWORD dst_unused:UNUSED_PAD src0_sel:BYTE_3 src1_sel:DWORD
	v_lshrrev_b32_e32 v97, 3, v100
	s_mov_b32 s52, exec_lo
	v_cmpx_gt_u32_e32 8, v100
; %bb.366:                              ;   in Loop: Header=BB352_13 Depth=1
	v_ffbh_u32_e32 v97, v27
	v_min_u32_e32 v97, 32, v97
	v_subrev_nc_u32_e32 v100, 28, v97
	v_sub_nc_u32_e32 v97, 29, v97
	v_lshlrev_b64 v[100:101], v100, v[27:28]
	v_and_b32_e32 v27, 7, v100
; %bb.367:                              ;   in Loop: Header=BB352_13 Depth=1
	s_or_b32 exec_lo, exec_lo, s52
	v_lshlrev_b32_sdwa v99, v50, v99 dst_sel:DWORD dst_unused:UNUSED_PAD src0_sel:DWORD src1_sel:BYTE_3
	v_lshlrev_b32_e32 v27, 20, v27
	v_lshl_add_u32 v97, v97, 23, 0x3c000000
	v_and_b32_e32 v99, 0x80000000, v99
	v_or3_b32 v97, v27, v99, v97
.LBB352_368:                            ;   in Loop: Header=BB352_13 Depth=1
	s_or_b32 exec_lo, exec_lo, s51
.LBB352_369:                            ;   in Loop: Header=BB352_13 Depth=1
	s_or_b32 exec_lo, exec_lo, s50
.LBB352_370:                            ;   in Loop: Header=BB352_13 Depth=1
	s_or_b32 exec_lo, exec_lo, s3
	global_load_dword v101, v[33:34], off offset:1288
	v_mov_b32_e32 v34, 0
	v_mov_b32_e32 v33, 0
	s_waitcnt vmcnt(0)
	v_cmp_ne_u16_sdwa s2, v101, v28 src0_sel:BYTE_0 src1_sel:DWORD
	s_and_saveexec_b32 s3, s2
	s_cbranch_execz .LBB352_378
; %bb.371:                              ;   in Loop: Header=BB352_13 Depth=1
	v_cmp_ne_u16_sdwa s2, v101, v46 src0_sel:BYTE_0 src1_sel:DWORD
	v_bfrev_b32_e32 v33, 1
	s_and_saveexec_b32 s50, s2
	s_cbranch_execz .LBB352_377
; %bb.372:                              ;   in Loop: Header=BB352_13 Depth=1
	v_and_b32_e32 v99, 0x7f, v101
	v_mov_b32_e32 v33, 0x7f800001
	s_mov_b32 s51, exec_lo
	v_cmpx_ne_u32_e32 0x7f, v99
	s_cbranch_execz .LBB352_376
; %bb.373:                              ;   in Loop: Header=BB352_13 Depth=1
	v_and_b32_e32 v27, 7, v101
	v_lshrrev_b32_e32 v33, 3, v99
	s_mov_b32 s52, exec_lo
	v_cmpx_gt_u32_e32 8, v99
; %bb.374:                              ;   in Loop: Header=BB352_13 Depth=1
	v_ffbh_u32_e32 v33, v27
	v_min_u32_e32 v33, 32, v33
	v_subrev_nc_u32_e32 v99, 28, v33
	v_sub_nc_u32_e32 v33, 29, v33
	v_lshlrev_b64 v[99:100], v99, v[27:28]
	v_and_b32_e32 v27, 7, v99
; %bb.375:                              ;   in Loop: Header=BB352_13 Depth=1
	s_or_b32 exec_lo, exec_lo, s52
	v_lshlrev_b32_e32 v99, 24, v101
	v_lshlrev_b32_e32 v27, 20, v27
	v_lshl_add_u32 v33, v33, 23, 0x3c000000
	v_and_b32_e32 v99, 0x80000000, v99
	v_or3_b32 v33, v27, v99, v33
.LBB352_376:                            ;   in Loop: Header=BB352_13 Depth=1
	s_or_b32 exec_lo, exec_lo, s51
.LBB352_377:                            ;   in Loop: Header=BB352_13 Depth=1
	s_or_b32 exec_lo, exec_lo, s50
.LBB352_378:                            ;   in Loop: Header=BB352_13 Depth=1
	s_or_b32 exec_lo, exec_lo, s3
	v_cmp_ne_u16_sdwa s2, v101, v28 src0_sel:BYTE_1 src1_sel:DWORD
	s_and_saveexec_b32 s3, s2
	s_cbranch_execz .LBB352_386
; %bb.379:                              ;   in Loop: Header=BB352_13 Depth=1
	v_cmp_ne_u16_sdwa s2, v101, v46 src0_sel:BYTE_1 src1_sel:DWORD
	v_bfrev_b32_e32 v34, 1
	s_and_saveexec_b32 s50, s2
	s_cbranch_execz .LBB352_385
; %bb.380:                              ;   in Loop: Header=BB352_13 Depth=1
	v_and_b32_sdwa v27, v47, v101 dst_sel:DWORD dst_unused:UNUSED_PAD src0_sel:DWORD src1_sel:BYTE_1
	v_mov_b32_e32 v34, 0x7f800001
	s_mov_b32 s51, exec_lo
	v_and_b32_e32 v99, 0x7f, v27
	v_cmpx_ne_u32_e32 0x7f, v99
	s_cbranch_execz .LBB352_384
; %bb.381:                              ;   in Loop: Header=BB352_13 Depth=1
	v_and_b32_e32 v27, 7, v27
	v_lshrrev_b32_e32 v34, 3, v99
	s_mov_b32 s52, exec_lo
	v_cmpx_gt_u32_e32 8, v99
; %bb.382:                              ;   in Loop: Header=BB352_13 Depth=1
	v_ffbh_u32_e32 v34, v27
	v_min_u32_e32 v34, 32, v34
	v_subrev_nc_u32_e32 v99, 28, v34
	v_sub_nc_u32_e32 v34, 29, v34
	v_lshlrev_b64 v[99:100], v99, v[27:28]
	v_and_b32_e32 v27, 7, v99
; %bb.383:                              ;   in Loop: Header=BB352_13 Depth=1
	s_or_b32 exec_lo, exec_lo, s52
	v_lshlrev_b32_e32 v99, 16, v101
	v_lshlrev_b32_e32 v27, 20, v27
	v_lshl_add_u32 v34, v34, 23, 0x3c000000
	v_and_b32_e32 v99, 0x80000000, v99
	v_or3_b32 v34, v27, v99, v34
.LBB352_384:                            ;   in Loop: Header=BB352_13 Depth=1
	s_or_b32 exec_lo, exec_lo, s51
.LBB352_385:                            ;   in Loop: Header=BB352_13 Depth=1
	s_or_b32 exec_lo, exec_lo, s50
.LBB352_386:                            ;   in Loop: Header=BB352_13 Depth=1
	s_or_b32 exec_lo, exec_lo, s3
	v_and_b32_sdwa v27, v101, v48 dst_sel:DWORD dst_unused:UNUSED_PAD src0_sel:WORD_1 src1_sel:DWORD
	v_mov_b32_e32 v99, 0
	v_mov_b32_e32 v100, 0
	s_mov_b32 s3, exec_lo
	v_cmpx_ne_u16_e32 0, v27
	s_cbranch_execz .LBB352_394
; %bb.387:                              ;   in Loop: Header=BB352_13 Depth=1
	v_bfrev_b32_e32 v100, 1
	s_mov_b32 s50, exec_lo
	v_cmpx_ne_u16_e32 0x80, v27
	s_cbranch_execz .LBB352_393
; %bb.388:                              ;   in Loop: Header=BB352_13 Depth=1
	v_bfe_u32 v102, v101, 16, 7
	v_mov_b32_e32 v100, 0x7f800001
	s_mov_b32 s51, exec_lo
	v_cmpx_ne_u32_e32 0x7f, v102
	s_cbranch_execz .LBB352_392
; %bb.389:                              ;   in Loop: Header=BB352_13 Depth=1
	v_and_b32_sdwa v27, v101, v49 dst_sel:DWORD dst_unused:UNUSED_PAD src0_sel:WORD_1 src1_sel:DWORD
	v_lshrrev_b32_e32 v100, 3, v102
	s_mov_b32 s52, exec_lo
	v_cmpx_gt_u32_e32 8, v102
; %bb.390:                              ;   in Loop: Header=BB352_13 Depth=1
	v_ffbh_u32_e32 v100, v27
	v_min_u32_e32 v100, 32, v100
	v_subrev_nc_u32_e32 v102, 28, v100
	v_sub_nc_u32_e32 v100, 29, v100
	v_lshlrev_b64 v[102:103], v102, v[27:28]
	v_and_b32_e32 v27, 7, v102
; %bb.391:                              ;   in Loop: Header=BB352_13 Depth=1
	s_or_b32 exec_lo, exec_lo, s52
	v_lshlrev_b32_sdwa v102, v50, v101 dst_sel:DWORD dst_unused:UNUSED_PAD src0_sel:DWORD src1_sel:WORD_1
	v_lshlrev_b32_e32 v27, 20, v27
	v_lshl_add_u32 v100, v100, 23, 0x3c000000
	v_and_b32_e32 v102, 0x80000000, v102
	v_or3_b32 v100, v27, v102, v100
.LBB352_392:                            ;   in Loop: Header=BB352_13 Depth=1
	s_or_b32 exec_lo, exec_lo, s51
.LBB352_393:                            ;   in Loop: Header=BB352_13 Depth=1
	s_or_b32 exec_lo, exec_lo, s50
.LBB352_394:                            ;   in Loop: Header=BB352_13 Depth=1
	s_or_b32 exec_lo, exec_lo, s3
	s_mov_b32 s3, exec_lo
	v_cmpx_lt_u32_e32 0xffffff, v101
	s_cbranch_execz .LBB352_402
; %bb.395:                              ;   in Loop: Header=BB352_13 Depth=1
	v_cmp_ne_u32_sdwa s2, v101, v46 src0_sel:BYTE_3 src1_sel:DWORD
	v_bfrev_b32_e32 v99, 1
	s_and_saveexec_b32 s50, s2
	s_cbranch_execz .LBB352_401
; %bb.396:                              ;   in Loop: Header=BB352_13 Depth=1
	v_bfe_u32 v102, v101, 24, 7
	v_mov_b32_e32 v99, 0x7f800001
	s_mov_b32 s51, exec_lo
	v_cmpx_ne_u32_e32 0x7f, v102
	s_cbranch_execz .LBB352_400
; %bb.397:                              ;   in Loop: Header=BB352_13 Depth=1
	v_and_b32_sdwa v27, v101, v49 dst_sel:DWORD dst_unused:UNUSED_PAD src0_sel:BYTE_3 src1_sel:DWORD
	v_lshrrev_b32_e32 v99, 3, v102
	s_mov_b32 s52, exec_lo
	v_cmpx_gt_u32_e32 8, v102
; %bb.398:                              ;   in Loop: Header=BB352_13 Depth=1
	v_ffbh_u32_e32 v99, v27
	v_min_u32_e32 v99, 32, v99
	v_subrev_nc_u32_e32 v102, 28, v99
	v_sub_nc_u32_e32 v99, 29, v99
	v_lshlrev_b64 v[102:103], v102, v[27:28]
	v_and_b32_e32 v27, 7, v102
; %bb.399:                              ;   in Loop: Header=BB352_13 Depth=1
	s_or_b32 exec_lo, exec_lo, s52
	v_lshlrev_b32_sdwa v101, v50, v101 dst_sel:DWORD dst_unused:UNUSED_PAD src0_sel:DWORD src1_sel:BYTE_3
	v_lshlrev_b32_e32 v27, 20, v27
	v_lshl_add_u32 v99, v99, 23, 0x3c000000
	v_and_b32_e32 v101, 0x80000000, v101
	v_or3_b32 v99, v27, v101, v99
.LBB352_400:                            ;   in Loop: Header=BB352_13 Depth=1
	s_or_b32 exec_lo, exec_lo, s51
.LBB352_401:                            ;   in Loop: Header=BB352_13 Depth=1
	s_or_b32 exec_lo, exec_lo, s50
.LBB352_402:                            ;   in Loop: Header=BB352_13 Depth=1
	s_or_b32 exec_lo, exec_lo, s3
	s_waitcnt lgkmcnt(0)
	v_lshlrev_b32_e32 v103, 16, v15
	v_lshlrev_b32_e32 v101, 16, v16
	v_and_b32_e32 v102, 0xffff0000, v15
	v_and_b32_e32 v27, 0xffff0000, v16
	v_lshlrev_b32_e32 v16, 16, v5
	v_and_b32_e32 v15, 0xffff0000, v5
	v_mul_f32_e32 v5, s49, v60
	v_lshlrev_b32_e32 v123, 16, v13
	v_lshlrev_b32_e32 v105, 16, v14
	v_and_b32_e32 v106, 0xffff0000, v13
	v_and_b32_e32 v104, 0xffff0000, v14
	v_lshlrev_b32_e32 v14, 16, v6
	v_and_b32_e32 v13, 0xffff0000, v6
	v_bfe_u32 v6, v5, 16, 1
	v_cmp_u_f32_e64 s2, v5, v5
	v_lshlrev_b32_e32 v107, 16, v21
	v_lshlrev_b32_e32 v108, 16, v22
	v_and_b32_e32 v111, 0xffff0000, v21
	v_add3_u32 v6, v6, v5, 0x7fff
	v_or_b32_e32 v5, 0x400000, v5
	v_and_b32_e32 v112, 0xffff0000, v22
	v_lshlrev_b32_e32 v115, 16, v17
	v_lshlrev_b32_e32 v116, 16, v18
	;; [unrolled: 1-line block ×3, first 2 shown]
	v_cndmask_b32_e64 v5, v6, v5, s2
	v_mul_f32_e32 v6, s49, v56
	v_lshlrev_b32_e32 v118, 16, v20
	v_and_b32_e32 v119, 0xffff0000, v17
	v_and_b32_e32 v120, 0xffff0000, v18
	;; [unrolled: 1-line block ×4, first 2 shown]
	v_lshlrev_b32_e32 v22, 16, v10
	v_lshlrev_b32_e32 v20, 16, v11
	;; [unrolled: 1-line block ×3, first 2 shown]
	v_and_b32_e32 v21, 0xffff0000, v10
	v_and_b32_e32 v19, 0xffff0000, v11
	;; [unrolled: 1-line block ×3, first 2 shown]
	v_lshlrev_b32_e32 v12, 16, v7
	v_lshlrev_b32_e32 v10, 16, v8
	v_and_b32_e32 v11, 0xffff0000, v7
	v_and_b32_e32 v7, 0xffff0000, v8
	v_bfe_u32 v8, v6, 16, 1
	v_cmp_u_f32_e64 s2, v6, v6
	v_lshlrev_b32_e32 v109, 16, v23
	v_and_b32_e32 v5, 0xffff0000, v5
	v_lshlrev_b32_e32 v110, 16, v24
	v_add3_u32 v8, v8, v6, 0x7fff
	v_or_b32_e32 v6, 0x400000, v6
	v_and_b32_e32 v113, 0xffff0000, v23
	v_mul_f32_e32 v5, v109, v5
	v_and_b32_e32 v114, 0xffff0000, v24
	v_lshlrev_b32_e32 v24, 16, v9
	v_cndmask_b32_e64 v6, v8, v6, s2
	v_and_b32_e32 v23, 0xffff0000, v9
	v_and_b32_e32 v6, 0xffff0000, v6
	v_fmac_f32_e32 v5, v107, v6
	v_mul_f32_e32 v6, s49, v59
	v_bfe_u32 v8, v6, 16, 1
	v_cmp_u_f32_e64 s2, v6, v6
	v_add3_u32 v8, v8, v6, 0x7fff
	v_or_b32_e32 v6, 0x400000, v6
	v_cndmask_b32_e64 v6, v8, v6, s2
	v_mul_f32_e32 v8, s49, v55
	v_and_b32_e32 v6, 0xffff0000, v6
	v_bfe_u32 v9, v8, 16, 1
	v_cmp_u_f32_e64 s2, v8, v8
	v_mul_f32_e32 v6, v113, v6
	v_add3_u32 v9, v9, v8, 0x7fff
	v_or_b32_e32 v8, 0x400000, v8
	v_cndmask_b32_e64 v8, v9, v8, s2
	v_and_b32_e32 v8, 0xffff0000, v8
	v_fmac_f32_e32 v6, v111, v8
	v_mul_f32_e32 v8, s49, v62
	v_bfe_u32 v9, v8, 16, 1
	v_cmp_u_f32_e64 s2, v8, v8
	v_add3_u32 v9, v9, v8, 0x7fff
	v_or_b32_e32 v8, 0x400000, v8
	v_cndmask_b32_e64 v8, v9, v8, s2
	v_mul_f32_e32 v9, s49, v58
	v_and_b32_e32 v8, 0xffff0000, v8
	v_bfe_u32 v55, v9, 16, 1
	v_cmp_u_f32_e64 s2, v9, v9
	v_mul_f32_e32 v8, v110, v8
	v_add3_u32 v55, v55, v9, 0x7fff
	v_or_b32_e32 v9, 0x400000, v9
	v_cndmask_b32_e64 v9, v55, v9, s2
	;; [unrolled: 16-line block ×3, first 2 shown]
	v_and_b32_e32 v55, 0xffff0000, v55
	v_fmac_f32_e32 v9, v112, v55
	v_mul_f32_e32 v55, s49, v64
	v_bfe_u32 v56, v55, 16, 1
	v_cmp_u_f32_e64 s2, v55, v55
	v_add3_u32 v56, v56, v55, 0x7fff
	v_or_b32_e32 v55, 0x400000, v55
	v_cndmask_b32_e64 v55, v56, v55, s2
	v_and_b32_e32 v55, 0xffff0000, v55
	v_fmac_f32_e32 v5, v115, v55
	v_mul_f32_e32 v55, s49, v63
	v_bfe_u32 v56, v55, 16, 1
	v_cmp_u_f32_e64 s2, v55, v55
	v_add3_u32 v56, v56, v55, 0x7fff
	v_or_b32_e32 v55, 0x400000, v55
	v_cndmask_b32_e64 v55, v56, v55, s2
	;; [unrolled: 8-line block ×24, first 2 shown]
	v_mul_f32_e32 v19, s49, v100
	v_and_b32_e32 v18, 0xffff0000, v18
	v_or_b32_e32 v20, 0x400000, v19
	v_fmac_f32_e32 v9, v17, v18
	v_mul_f32_e32 v17, s49, v88
	v_bfe_u32 v18, v17, 16, 1
	v_cmp_u_f32_e64 s2, v17, v17
	v_add3_u32 v18, v18, v17, 0x7fff
	v_or_b32_e32 v17, 0x400000, v17
	v_cndmask_b32_e64 v17, v18, v17, s2
	v_and_b32_e32 v17, 0xffff0000, v17
	v_fmac_f32_e32 v5, v16, v17
	v_mul_f32_e32 v16, s49, v87
	v_bfe_u32 v17, v16, 16, 1
	v_cmp_u_f32_e64 s2, v16, v16
	v_add3_u32 v17, v17, v16, 0x7fff
	v_or_b32_e32 v16, 0x400000, v16
	v_cndmask_b32_e64 v16, v17, v16, s2
	v_and_b32_e32 v16, 0xffff0000, v16
	v_fmac_f32_e32 v6, v15, v16
	v_mul_f32_e32 v15, s49, v90
	v_bfe_u32 v16, v15, 16, 1
	v_cmp_u_f32_e64 s2, v15, v15
	v_add3_u32 v16, v16, v15, 0x7fff
	v_or_b32_e32 v15, 0x400000, v15
	v_cndmask_b32_e64 v15, v16, v15, s2
	v_mul_f32_e32 v16, s49, v96
	v_and_b32_e32 v15, 0xffff0000, v15
	v_or_b32_e32 v17, 0x400000, v16
	v_fmac_f32_e32 v8, v14, v15
	v_mul_f32_e32 v14, s49, v89
	v_bfe_u32 v15, v14, 16, 1
	v_cmp_u_f32_e64 s2, v14, v14
	v_add3_u32 v15, v15, v14, 0x7fff
	v_or_b32_e32 v14, 0x400000, v14
	v_cndmask_b32_e64 v14, v15, v14, s2
	v_and_b32_e32 v14, 0xffff0000, v14
	v_fmac_f32_e32 v9, v13, v14
	v_mul_f32_e32 v13, s49, v92
	v_bfe_u32 v14, v13, 16, 1
	v_cmp_u_f32_e64 s2, v13, v13
	v_add3_u32 v14, v14, v13, 0x7fff
	v_or_b32_e32 v13, 0x400000, v13
	v_cndmask_b32_e64 v13, v14, v13, s2
	v_and_b32_e32 v13, 0xffff0000, v13
	v_fmac_f32_e32 v5, v12, v13
	v_mul_f32_e32 v12, s49, v91
	v_bfe_u32 v13, v12, 16, 1
	v_cmp_u_f32_e64 s2, v12, v12
	v_add3_u32 v13, v13, v12, 0x7fff
	v_or_b32_e32 v12, 0x400000, v12
	v_cndmask_b32_e64 v12, v13, v12, s2
	v_and_b32_e32 v12, 0xffff0000, v12
	v_fmac_f32_e32 v6, v11, v12
	v_mul_f32_e32 v11, s49, v94
	v_bfe_u32 v12, v11, 16, 1
	v_cmp_u_f32_e64 s2, v11, v11
	v_add3_u32 v12, v12, v11, 0x7fff
	v_or_b32_e32 v11, 0x400000, v11
	v_cndmask_b32_e64 v11, v12, v11, s2
	v_mul_f32_e32 v12, s49, v34
	v_and_b32_e32 v11, 0xffff0000, v11
	v_or_b32_e32 v13, 0x400000, v12
	v_cmp_u_f32_e64 s2, v12, v12
	v_fmac_f32_e32 v8, v10, v11
	v_bfe_u32 v10, v12, 16, 1
	v_mul_f32_e32 v11, s49, v33
	v_add3_u32 v10, v10, v12, 0x7fff
	v_bfe_u32 v12, v11, 16, 1
	v_or_b32_e32 v14, 0x400000, v11
	v_cndmask_b32_e64 v10, v10, v13, s2
	v_mul_f32_e32 v13, s49, v98
	v_add3_u32 v12, v12, v11, 0x7fff
	v_cmp_u_f32_e64 s2, v11, v11
	v_mul_f32_e32 v11, s49, v97
	v_and_b32_e32 v10, 0xffff0000, v10
	v_bfe_u32 v15, v13, 16, 1
	v_cndmask_b32_e64 v12, v12, v14, s2
	v_bfe_u32 v14, v11, 16, 1
	v_cmp_u_f32_e64 s2, v13, v13
	v_add3_u32 v15, v15, v13, 0x7fff
	v_or_b32_e32 v13, 0x400000, v13
	v_cmp_u_f32_e64 s3, v11, v11
	v_add3_u32 v14, v14, v11, 0x7fff
	v_or_b32_e32 v11, 0x400000, v11
	v_and_b32_e32 v12, 0xffff0000, v12
	v_cndmask_b32_e64 v13, v15, v13, s2
	v_bfe_u32 v15, v16, 16, 1
	v_cmp_u_f32_e64 s2, v16, v16
	v_cndmask_b32_e64 v11, v14, v11, s3
	v_mul_f32_e32 v14, s49, v93
	v_add3_u32 v15, v15, v16, 0x7fff
	v_mul_f32_e32 v16, s49, v95
	v_and_b32_e32 v11, 0xffff0000, v11
	v_bfe_u32 v18, v14, 16, 1
	v_cndmask_b32_e64 v15, v15, v17, s2
	v_bfe_u32 v17, v16, 16, 1
	v_cmp_u_f32_e64 s2, v14, v14
	v_add3_u32 v18, v18, v14, 0x7fff
	v_or_b32_e32 v14, 0x400000, v14
	v_cmp_u_f32_e64 s3, v16, v16
	v_add3_u32 v17, v17, v16, 0x7fff
	v_or_b32_e32 v16, 0x400000, v16
	v_and_b32_e32 v15, 0xffff0000, v15
	v_cndmask_b32_e64 v14, v18, v14, s2
	v_bfe_u32 v18, v19, 16, 1
	v_cmp_u_f32_e64 s2, v19, v19
	v_cndmask_b32_e64 v16, v17, v16, s3
	v_and_b32_e32 v14, 0xffff0000, v14
	v_add3_u32 v17, v18, v19, 0x7fff
	v_mul_f32_e32 v18, s49, v99
	v_lshlrev_b32_e32 v19, 16, v1
	v_and_b32_e32 v16, 0xffff0000, v16
	v_fmac_f32_e32 v9, v7, v14
	v_and_b32_e32 v1, 0xffff0000, v1
	v_bfe_u32 v7, v18, 16, 1
	v_lshlrev_b32_e32 v14, 16, v2
	v_cndmask_b32_e64 v17, v17, v20, s2
	v_cmp_u_f32_e64 s2, v18, v18
	v_fmac_f32_e32 v5, v19, v16
	v_add3_u32 v7, v7, v18, 0x7fff
	v_or_b32_e32 v18, 0x400000, v18
	v_lshlrev_b32_e32 v16, 16, v3
	v_fmac_f32_e32 v6, v1, v15
	v_and_b32_e32 v1, 0xffff0000, v2
	v_and_b32_e32 v2, 0xffff0000, v13
	;; [unrolled: 1-line block ×3, first 2 shown]
	v_xor_b32_e32 v20, 1, v40
	v_cndmask_b32_e64 v7, v7, v18, s2
	v_lshlrev_b32_e32 v18, 16, v4
	v_fmac_f32_e32 v8, v14, v2
	v_fmac_f32_e32 v5, v16, v12
	v_and_b32_e32 v2, 0xffff0000, v17
	v_fmac_f32_e32 v6, v3, v10
	v_cmp_gt_i32_e64 s2, 32, v20
	v_and_b32_e32 v3, 0xffff0000, v4
	v_fmac_f32_e32 v9, v1, v11
	v_and_b32_e32 v1, 0xffff0000, v7
	v_fmac_f32_e32 v8, v18, v2
	v_add_f32_e32 v2, v5, v6
	v_cndmask_b32_e64 v4, v40, v20, s2
	v_fmac_f32_e32 v9, v3, v1
	v_add_f32_e32 v1, v2, v8
	v_lshlrev_b32_e32 v2, 2, v4
	v_add_f32_e32 v1, v1, v9
	ds_bpermute_b32 v2, v2, v1
	s_and_saveexec_b32 s3, vcc_lo
	s_cbranch_execz .LBB352_11
; %bb.403:                              ;   in Loop: Header=BB352_13 Depth=1
	v_add_nc_u32_e32 v3, v51, v44
	s_waitcnt lgkmcnt(0)
	v_add_f32_e32 v1, v1, v2
	v_cvt_f32_i32_e32 v3, v3
	v_mul_f32_e32 v3, s43, v3
	v_cndmask_b32_e64 v2, 0, v3, s1
	v_max_f32_e32 v3, v41, v41
	v_fmac_f32_e32 v2, s41, v1
	v_add_nc_u32_e32 v1, v42, v44
	v_max_f32_e32 v3, v3, v2
	v_cmp_gt_i32_e64 s2, s31, v1
	v_cndmask_b32_e64 v1, 0, v2, s2
	v_cndmask_b32_e64 v41, v41, v3, s2
	ds_write_b32 v52, v1
	s_branch .LBB352_11
.LBB352_404:
	s_or_b32 exec_lo, exec_lo, s46
.LBB352_405:
	s_or_b32 exec_lo, exec_lo, s45
	v_xor_b32_e32 v1, 16, v40
	s_waitcnt lgkmcnt(0)
	v_xor_b32_e32 v2, 8, v40
	v_max_f32_e32 v4, v41, v41
	v_and_b32_e32 v21, 31, v0
	v_lshlrev_b32_e32 v7, 2, v37
	v_cmp_gt_i32_e32 vcc_lo, 32, v1
	v_cndmask_b32_e32 v1, v40, v1, vcc_lo
	v_cmp_gt_i32_e32 vcc_lo, 32, v2
	v_lshlrev_b32_e32 v3, 2, v1
	v_cndmask_b32_e32 v2, v40, v2, vcc_lo
	ds_bpermute_b32 v1, v3, v41
	v_lshlrev_b32_e32 v5, 2, v2
	s_waitcnt lgkmcnt(0)
	v_max_f32_e32 v1, v1, v1
	v_max_f32_e32 v1, v4, v1
	v_xor_b32_e32 v4, 4, v40
	ds_bpermute_b32 v2, v5, v1
	v_cmp_gt_i32_e32 vcc_lo, 32, v4
	v_cndmask_b32_e32 v4, v40, v4, vcc_lo
	v_lshlrev_b32_e32 v6, 2, v4
	v_xor_b32_e32 v4, 2, v40
	v_cmp_gt_i32_e32 vcc_lo, 32, v4
	s_waitcnt lgkmcnt(0)
	v_max_f32_e32 v2, v2, v2
	v_cndmask_b32_e32 v4, v40, v4, vcc_lo
	v_cmp_eq_u32_e32 vcc_lo, 0, v21
	v_max_f32_e32 v1, v1, v2
	ds_bpermute_b32 v2, v6, v1
	s_waitcnt lgkmcnt(0)
	v_max_f32_e32 v2, v2, v2
	v_max_f32_e32 v1, v1, v2
	v_lshlrev_b32_e32 v2, 2, v4
	ds_bpermute_b32 v4, v2, v1
	s_and_saveexec_b32 s1, vcc_lo
	s_cbranch_execz .LBB352_407
; %bb.406:
	s_waitcnt lgkmcnt(0)
	v_max_f32_e32 v4, v4, v4
	v_max_f32_e32 v1, v1, v1
	;; [unrolled: 1-line block ×3, first 2 shown]
	ds_write_b32 v7, v1 offset:192
.LBB352_407:
	s_or_b32 exec_lo, exec_lo, s1
	v_cmp_gt_u32_e64 s1, 4, v21
	v_mov_b32_e32 v1, 0xff7fffff
	v_lshlrev_b32_e32 v8, 2, v21
	s_waitcnt lgkmcnt(0)
	s_barrier
	buffer_gl0_inv
	s_and_saveexec_b32 s2, s1
; %bb.408:
	ds_read_b32 v1, v8 offset:192
; %bb.409:
	s_or_b32 exec_lo, exec_lo, s2
	s_waitcnt lgkmcnt(0)
	ds_bpermute_b32 v4, v2, v1
	v_xor_b32_e32 v9, 1, v40
	v_max_f32_e32 v1, v1, v1
	v_cmp_gt_i32_e64 s2, 32, v9
	v_cndmask_b32_e64 v9, v40, v9, s2
	s_sub_i32 s2, s20, s44
	s_lshl_b32 s2, s2, 4
	v_lshlrev_b32_e32 v22, 2, v9
	v_mov_b32_e32 v9, 0
	s_add_i32 s2, s2, s42
	s_min_i32 s2, s2, s31
	s_waitcnt lgkmcnt(0)
	v_max_f32_e32 v4, v4, v4
	s_sub_i32 s4, s2, s42
	v_cmp_gt_i32_e64 s2, s4, v0
	v_max_f32_e32 v1, v1, v4
	ds_bpermute_b32 v4, v22, v1
	s_waitcnt lgkmcnt(0)
	v_max_f32_e32 v4, v4, v4
	v_max_f32_e32 v1, v1, v4
	v_lshl_add_u32 v4, v0, 2, 0xe0
	ds_bpermute_b32 v1, v9, v1
	s_and_saveexec_b32 s5, s2
	s_cbranch_execz .LBB352_413
; %bb.410:
	v_lshl_add_u32 v10, v0, 2, 0xe0
	v_mov_b32_e32 v9, 0
	v_mov_b32_e32 v11, v0
	s_mov_b32 s12, 0
	.p2align	6
.LBB352_411:                            ; =>This Inner Loop Header: Depth=1
	ds_read_b32 v12, v10
	v_add_nc_u32_e32 v11, 0x80, v11
	v_cmp_le_i32_e64 s3, s4, v11
	s_or_b32 s12, s3, s12
	s_waitcnt lgkmcnt(0)
	v_sub_f32_e32 v12, v12, v1
	v_mul_f32_e32 v12, 0x3fb8aa3b, v12
	v_exp_f32_e32 v12, v12
	ds_write_b32 v10, v12
	v_add_f32_e32 v9, v9, v12
	v_add_nc_u32_e32 v10, 0x200, v10
	s_andn2_b32 exec_lo, exec_lo, s12
	s_cbranch_execnz .LBB352_411
; %bb.412:
	s_or_b32 exec_lo, exec_lo, s12
.LBB352_413:
	s_or_b32 exec_lo, exec_lo, s5
	ds_bpermute_b32 v3, v3, v9
	s_waitcnt lgkmcnt(0)
	v_add_f32_e32 v3, v9, v3
	ds_bpermute_b32 v5, v5, v3
	s_waitcnt lgkmcnt(0)
	v_add_f32_e32 v3, v3, v5
	;; [unrolled: 3-line block ×5, first 2 shown]
	s_and_saveexec_b32 s3, vcc_lo
; %bb.414:
	ds_write_b32 v7, v3 offset:208
; %bb.415:
	s_or_b32 exec_lo, exec_lo, s3
	s_waitcnt lgkmcnt(0)
	s_barrier
	buffer_gl0_inv
	s_and_saveexec_b32 s3, s1
; %bb.416:
	ds_read_b32 v3, v8 offset:208
; %bb.417:
	s_or_b32 exec_lo, exec_lo, s3
	s_waitcnt lgkmcnt(0)
	ds_bpermute_b32 v2, v2, v3
	s_waitcnt lgkmcnt(0)
	v_add_f32_e32 v2, v3, v2
	ds_bpermute_b32 v3, v22, v2
	s_waitcnt lgkmcnt(0)
	v_add_f32_e32 v2, v2, v3
	v_mov_b32_e32 v3, 0
	ds_bpermute_b32 v2, v3, v2
	s_and_saveexec_b32 s1, s2
	s_cbranch_execz .LBB352_420
; %bb.418:
	s_waitcnt lgkmcnt(0)
	v_add_f32_e32 v3, 0x358637bd, v2
	s_mov_b32 s2, 0
	v_div_scale_f32 v5, null, v3, v3, 1.0
	v_div_scale_f32 v8, vcc_lo, 1.0, v3, 1.0
	v_rcp_f32_e32 v6, v5
	v_fma_f32 v7, -v5, v6, 1.0
	v_fmac_f32_e32 v6, v7, v6
	v_mul_f32_e32 v7, v8, v6
	v_fma_f32 v9, -v5, v7, v8
	v_fmac_f32_e32 v7, v9, v6
	v_fma_f32 v5, -v5, v7, v8
	v_div_fmas_f32 v5, v5, v6, v7
	v_div_fixup_f32 v3, v5, v3, 1.0
	v_mov_b32_e32 v5, v0
.LBB352_419:                            ; =>This Inner Loop Header: Depth=1
	ds_read_b32 v6, v4
	v_add_nc_u32_e32 v5, 0x80, v5
	v_cmp_le_i32_e32 vcc_lo, s4, v5
	s_or_b32 s2, vcc_lo, s2
	s_waitcnt lgkmcnt(0)
	v_mul_f32_e32 v6, v3, v6
	ds_write_b32 v4, v6
	v_add_nc_u32_e32 v4, 0x200, v4
	s_andn2_b32 exec_lo, exec_lo, s2
	s_cbranch_execnz .LBB352_419
.LBB352_420:
	s_or_b32 exec_lo, exec_lo, s1
	s_mul_i32 s1, s7, s30
	s_waitcnt lgkmcnt(0)
	s_mul_i32 s2, s1, s9
	s_mov_b32 s1, exec_lo
	s_barrier
	buffer_gl0_inv
	v_cmpx_eq_u32_e32 0, v0
	s_cbranch_execz .LBB352_422
; %bb.421:
	s_ashr_i32 s3, s2, 31
	s_mul_i32 s12, s7, s6
	s_lshl_b64 s[4:5], s[2:3], 2
	v_mov_b32_e32 v3, 0
	s_add_u32 s3, s26, s4
	s_addc_u32 s6, s27, s5
	s_ashr_i32 s13, s12, 31
	s_lshl_b64 s[12:13], s[12:13], 2
	s_add_u32 s3, s3, s12
	s_addc_u32 s6, s6, s13
	s_ashr_i32 s9, s8, 31
	s_lshl_b64 s[26:27], s[8:9], 2
	s_add_u32 s42, s3, s26
	s_addc_u32 s43, s6, s27
	s_add_u32 s3, s24, s4
	s_addc_u32 s4, s25, s5
	;; [unrolled: 2-line block ×4, first 2 shown]
	global_store_dword v3, v1, s[42:43]
	global_store_dword v3, v2, s[4:5]
.LBB352_422:
	s_or_b32 exec_lo, exec_lo, s1
	v_mov_b32_e32 v31, 0
	v_mov_b32_e32 v29, 0
	;; [unrolled: 1-line block ×6, first 2 shown]
	s_and_saveexec_b32 s1, s0
	s_cbranch_execz .LBB352_800
; %bb.423:
	s_sub_i32 s3, s40, s21
	s_ashr_i32 s0, s18, 31
	s_add_u32 s12, s38, s18
	s_addc_u32 s0, s39, s0
	s_abs_i32 s6, s22
	v_and_b32_e32 v4, 0xf8, v39
	v_cvt_f32_u32_e32 v1, s6
	s_sub_i32 s4, 0, s6
	v_lshlrev_b32_e32 v5, 5, v36
	s_add_i32 s33, s33, -1
	v_add_co_u32 v11, s12, s12, v4
	v_rcp_iflag_f32_e32 v3, v1
	v_lshlrev_b64 v[1:2], 2, v[25:26]
	v_lshl_or_b32 v5, v37, 6, v5
	v_add_co_ci_u32_e64 v12, null, s0, 0, s12
	v_and_b32_e32 v30, 8, v39
	v_mov_b32_e32 v10, 0
	v_mov_b32_e32 v26, 0x80
	;; [unrolled: 1-line block ×4, first 2 shown]
	v_mul_f32_e32 v3, 0x4f7ffffe, v3
	v_mov_b32_e32 v34, 7
	v_mov_b32_e32 v39, 24
	;; [unrolled: 1-line block ×4, first 2 shown]
	v_cvt_u32_f32_e32 v3, v3
	v_mov_b32_e32 v27, 0
	v_mov_b32_e32 v28, 0
	v_mov_b32_e32 v29, 0
	v_add_nc_u32_e32 v40, 0xe0, v5
	v_mul_lo_u32 v6, s4, v3
	s_lshl_b64 s[4:5], s[36:37], 2
	v_mov_b32_e32 v31, 0
	s_add_u32 s0, s34, s4
	s_addc_u32 s4, s35, s5
	v_add_co_u32 v13, vcc_lo, s0, v1
	v_add_co_ci_u32_e64 v14, null, s4, v2, vcc_lo
	v_mul_hi_u32 v4, v3, v6
	s_mov_b32 s4, -1
	s_mov_b32 s9, s17
	s_mov_b32 s5, 0xffffff
	;; [unrolled: 1-line block ×3, first 2 shown]
	v_add_nc_u32_e32 v41, v3, v4
	s_branch .LBB352_426
.LBB352_424:                            ;   in Loop: Header=BB352_426 Depth=1
	s_or_b32 exec_lo, exec_lo, s0
	v_bfe_u32 v50, v5, 16, 1
	v_or_b32_e32 v51, 0x400000, v5
	v_bfe_u32 v52, v6, 16, 1
	v_cmp_u_f32_e32 vcc_lo, v5, v5
	v_bfe_u32 v53, v7, 16, 1
	v_add3_u32 v50, v50, v5, 0x7fff
	v_or_b32_e32 v54, 0x400000, v6
	v_add3_u32 v52, v52, v6, 0x7fff
	v_or_b32_e32 v55, 0x400000, v7
	v_add3_u32 v53, v53, v7, 0x7fff
	v_cndmask_b32_e32 v5, v50, v51, vcc_lo
	v_cmp_u_f32_e32 vcc_lo, v6, v6
	v_bfe_u32 v50, v8, 16, 1
	v_bfe_u32 v51, v1, 16, 1
	v_lshlrev_b32_e32 v19, 16, v19
	v_lshlrev_b32_e32 v68, 16, v68
	v_cndmask_b32_e32 v6, v52, v54, vcc_lo
	v_cmp_u_f32_e32 vcc_lo, v7, v7
	v_add3_u32 v50, v50, v8, 0x7fff
	v_or_b32_e32 v52, 0x400000, v8
	v_add3_u32 v51, v51, v1, 0x7fff
	v_bfe_u32 v54, v2, 16, 1
	v_cndmask_b32_e32 v7, v53, v55, vcc_lo
	v_cmp_u_f32_e32 vcc_lo, v8, v8
	v_or_b32_e32 v53, 0x400000, v1
	v_lshlrev_b32_e32 v63, 16, v63
	v_lshlrev_b32_e32 v58, 16, v58
	v_and_b32_e32 v7, 0xffff0000, v7
	v_cndmask_b32_e32 v8, v50, v52, vcc_lo
	v_cmp_u_f32_e32 vcc_lo, v1, v1
	v_or_b32_e32 v52, 0x400000, v2
	v_and_b32_e32 v1, 0xffff0000, v6
	v_lshlrev_b32_e32 v6, 16, v87
	v_lshlrev_b32_e32 v59, 16, v59
	v_cndmask_b32_e32 v50, v51, v53, vcc_lo
	v_add3_u32 v51, v54, v2, 0x7fff
	v_bfe_u32 v53, v3, 16, 1
	v_cmp_u_f32_e32 vcc_lo, v2, v2
	v_mul_f32_e32 v54, v1, v6
	v_and_b32_e32 v6, 0xffff0000, v5
	v_lshlrev_b32_e32 v5, 16, v86
	v_add3_u32 v2, v53, v3, 0x7fff
	v_cndmask_b32_e32 v51, v51, v52, vcc_lo
	v_or_b32_e32 v52, 0x400000, v3
	v_bfe_u32 v53, v4, 16, 1
	v_cmp_u_f32_e32 vcc_lo, v3, v3
	v_bfe_u32 v55, v54, 16, 1
	v_mul_f32_e32 v5, v6, v5
	v_lshlrev_b32_e32 v49, 16, v49
	v_add3_u32 v3, v53, v4, 0x7fff
	v_cndmask_b32_e32 v52, v2, v52, vcc_lo
	v_or_b32_e32 v53, 0x400000, v4
	v_and_b32_e32 v2, 0xffff0000, v8
	v_lshlrev_b32_e32 v8, 16, v84
	v_cmp_u_f32_e32 vcc_lo, v4, v4
	v_mul_f32_e32 v49, v1, v49
	v_lshlrev_b32_e32 v48, 16, v48
	v_lshlrev_b32_e32 v45, 16, v45
	v_mul_f32_e32 v56, v2, v8
	v_cndmask_b32_e32 v4, v3, v53, vcc_lo
	v_add3_u32 v3, v55, v54, 0x7fff
	v_or_b32_e32 v53, 0x400000, v54
	v_bfe_u32 v55, v5, 16, 1
	v_lshlrev_b32_e32 v8, 16, v85
	v_cmp_u_f32_e32 vcc_lo, v54, v54
	v_bfe_u32 v57, v56, 16, 1
	v_and_b32_e32 v4, 0xffff0000, v4
	v_add3_u32 v54, v55, v5, 0x7fff
	v_or_b32_e32 v55, 0x400000, v5
	v_cndmask_b32_e32 v53, v3, v53, vcc_lo
	v_mul_f32_e32 v84, v7, v8
	v_and_b32_e32 v3, 0xffff0000, v51
	v_lshlrev_b32_e32 v8, 16, v20
	v_cmp_u_f32_e32 vcc_lo, v5, v5
	v_add3_u32 v5, v57, v56, 0x7fff
	v_or_b32_e32 v51, 0x400000, v56
	v_lshlrev_b32_e32 v57, 16, v83
	v_and_b32_e32 v53, 0xffff0000, v53
	v_cndmask_b32_e32 v20, v54, v55, vcc_lo
	v_bfe_u32 v54, v84, 16, 1
	v_mul_f32_e32 v55, v3, v8
	v_and_b32_e32 v8, 0xffff0000, v50
	v_cmp_u_f32_e32 vcc_lo, v56, v56
	v_mul_f32_e32 v57, v4, v57
	v_and_b32_e32 v20, 0xffff0000, v20
	v_bfe_u32 v56, v55, 16, 1
	v_mul_f32_e32 v19, v8, v19
	v_cndmask_b32_e32 v50, v5, v51, vcc_lo
	v_add3_u32 v51, v54, v84, 0x7fff
	v_or_b32_e32 v54, 0x400000, v84
	v_and_b32_e32 v5, 0xffff0000, v52
	v_lshlrev_b32_e32 v52, 16, v82
	v_cmp_u_f32_e32 vcc_lo, v84, v84
	v_add3_u32 v56, v56, v55, 0x7fff
	v_or_b32_e32 v82, 0x400000, v55
	v_or_b32_e32 v83, 0x400000, v19
	v_mul_f32_e32 v52, v5, v52
	v_cndmask_b32_e32 v51, v51, v54, vcc_lo
	v_bfe_u32 v54, v19, 16, 1
	v_cmp_u_f32_e32 vcc_lo, v55, v55
	v_bfe_u32 v84, v57, 16, 1
	v_bfe_u32 v85, v52, 16, 1
	v_and_b32_e32 v51, 0xffff0000, v51
	v_add3_u32 v54, v54, v19, 0x7fff
	v_cndmask_b32_e32 v55, v56, v82, vcc_lo
	v_cmp_u_f32_e32 vcc_lo, v19, v19
	v_add3_u32 v56, v85, v52, 0x7fff
	v_or_b32_e32 v82, 0x400000, v52
	v_and_b32_e32 v50, 0xffff0000, v50
	v_add_f32_e32 v20, v20, v53
	v_cndmask_b32_e32 v19, v54, v83, vcc_lo
	v_cmp_u_f32_e32 vcc_lo, v52, v52
	v_add3_u32 v54, v84, v57, 0x7fff
	v_or_b32_e32 v83, 0x400000, v57
	v_add_f32_e32 v50, v51, v50
	v_and_b32_e32 v19, 0xffff0000, v19
	v_cndmask_b32_e32 v52, v56, v82, vcc_lo
	v_cmp_u_f32_e32 vcc_lo, v57, v57
	v_and_b32_e32 v51, 0xffff0000, v55
	v_add_f32_e32 v20, v50, v20
	v_lshlrev_b32_e32 v55, 16, v79
	v_and_b32_e32 v50, 0xffff0000, v52
	v_cndmask_b32_e32 v53, v54, v83, vcc_lo
	v_add_f32_e32 v19, v19, v51
	v_lshlrev_b32_e32 v52, 16, v81
	v_lshlrev_b32_e32 v57, 16, v78
	v_mul_f32_e32 v48, v6, v48
	v_and_b32_e32 v51, 0xffff0000, v53
	v_lshlrev_b32_e32 v53, 16, v80
	v_add_f32_e32 v19, v19, v20
	v_mul_f32_e32 v45, v2, v45
	v_lshlrev_b32_e32 v47, 16, v47
	v_add_f32_e32 v20, v50, v51
	v_mul_f32_e32 v50, v1, v52
	v_mul_f32_e32 v51, v6, v53
	v_lshlrev_b32_e32 v53, 16, v77
	v_lshlrev_b32_e32 v43, 16, v43
	v_add_f32_e32 v19, v20, v19
	v_bfe_u32 v20, v50, 16, 1
	v_bfe_u32 v52, v51, 16, 1
	v_cmp_u_f32_e32 vcc_lo, v50, v50
	v_mul_f32_e32 v53, v2, v53
	v_add_f32_e32 v24, v24, v19
	v_add3_u32 v19, v20, v50, 0x7fff
	v_or_b32_e32 v20, 0x400000, v50
	v_add3_u32 v52, v52, v51, 0x7fff
	v_or_b32_e32 v54, 0x400000, v51
	v_mul_f32_e32 v47, v7, v47
	v_mul_f32_e32 v43, v3, v43
	v_cndmask_b32_e32 v19, v19, v20, vcc_lo
	v_cmp_u_f32_e32 vcc_lo, v51, v51
	v_bfe_u32 v20, v53, 16, 1
	v_mul_f32_e32 v51, v7, v55
	v_lshlrev_b32_e32 v55, 16, v75
	v_and_b32_e32 v19, 0xffff0000, v19
	v_cndmask_b32_e32 v50, v52, v54, vcc_lo
	v_lshlrev_b32_e32 v52, 16, v74
	v_add3_u32 v20, v20, v53, 0x7fff
	v_or_b32_e32 v54, 0x400000, v53
	v_bfe_u32 v56, v51, 16, 1
	v_cmp_u_f32_e32 vcc_lo, v53, v53
	v_mul_f32_e32 v52, v3, v52
	v_mul_f32_e32 v53, v8, v55
	v_or_b32_e32 v55, 0x400000, v51
	v_and_b32_e32 v50, 0xffff0000, v50
	v_cndmask_b32_e32 v20, v20, v54, vcc_lo
	v_add3_u32 v54, v56, v51, 0x7fff
	v_bfe_u32 v56, v52, 16, 1
	v_bfe_u32 v74, v53, 16, 1
	v_cmp_u_f32_e32 vcc_lo, v51, v51
	v_or_b32_e32 v75, 0x400000, v53
	v_and_b32_e32 v20, 0xffff0000, v20
	v_add_f32_e32 v19, v50, v19
	v_lshlrev_b32_e32 v42, 16, v42
	v_cndmask_b32_e32 v51, v54, v55, vcc_lo
	v_add3_u32 v54, v56, v52, 0x7fff
	v_mul_f32_e32 v55, v4, v57
	v_or_b32_e32 v56, 0x400000, v52
	v_add3_u32 v57, v74, v53, 0x7fff
	v_lshlrev_b32_e32 v74, 16, v76
	v_cmp_u_f32_e32 vcc_lo, v52, v52
	v_bfe_u32 v76, v55, 16, 1
	v_and_b32_e32 v51, 0xffff0000, v51
	v_lshlrev_b32_e32 v46, 16, v46
	v_mul_f32_e32 v42, v8, v42
	v_cndmask_b32_e32 v52, v54, v56, vcc_lo
	v_mul_f32_e32 v54, v5, v74
	v_cmp_u_f32_e32 vcc_lo, v53, v53
	v_add3_u32 v56, v76, v55, 0x7fff
	v_add_f32_e32 v20, v51, v20
	v_and_b32_e32 v51, 0xffff0000, v52
	v_bfe_u32 v74, v54, 16, 1
	v_cndmask_b32_e32 v53, v57, v75, vcc_lo
	v_or_b32_e32 v57, 0x400000, v55
	v_cmp_u_f32_e32 vcc_lo, v55, v55
	v_lshlrev_b32_e32 v52, 16, v73
	v_add_f32_e32 v19, v20, v19
	v_and_b32_e32 v50, 0xffff0000, v53
	v_lshlrev_b32_e32 v53, 16, v72
	v_cndmask_b32_e32 v55, v56, v57, vcc_lo
	v_add3_u32 v56, v74, v54, 0x7fff
	v_or_b32_e32 v57, 0x400000, v54
	v_cmp_u_f32_e32 vcc_lo, v54, v54
	v_mul_f32_e32 v52, v1, v52
	v_add_f32_e32 v20, v50, v51
	v_mul_f32_e32 v50, v6, v53
	v_and_b32_e32 v53, 0xffff0000, v55
	v_cndmask_b32_e32 v54, v56, v57, vcc_lo
	v_lshlrev_b32_e32 v56, 16, v69
	v_add_f32_e32 v19, v20, v19
	v_bfe_u32 v55, v50, 16, 1
	v_cmp_u_f32_e32 vcc_lo, v52, v52
	v_and_b32_e32 v51, 0xffff0000, v54
	v_bfe_u32 v54, v52, 16, 1
	v_lshlrev_b32_e32 v57, 16, v71
	v_mul_f32_e32 v46, v4, v46
	v_lshlrev_b32_e32 v44, 16, v44
	v_add_f32_e32 v20, v51, v53
	v_add3_u32 v51, v54, v52, 0x7fff
	v_or_b32_e32 v53, 0x400000, v52
	v_add3_u32 v54, v55, v50, 0x7fff
	v_mul_f32_e32 v55, v2, v56
	v_or_b32_e32 v56, 0x400000, v50
	v_mul_f32_e32 v44, v5, v44
	v_cndmask_b32_e32 v51, v51, v53, vcc_lo
	v_cmp_u_f32_e32 vcc_lo, v50, v50
	v_bfe_u32 v52, v55, 16, 1
	v_mul_f32_e32 v53, v7, v57
	v_lshlrev_b32_e32 v57, 16, v67
	v_lshlrev_b32_e32 v67, 16, v70
	v_cndmask_b32_e32 v50, v54, v56, vcc_lo
	v_lshlrev_b32_e32 v54, 16, v66
	v_add3_u32 v52, v52, v55, 0x7fff
	v_or_b32_e32 v56, 0x400000, v55
	v_bfe_u32 v66, v53, 16, 1
	v_cmp_u_f32_e32 vcc_lo, v55, v55
	v_mul_f32_e32 v54, v3, v54
	v_mul_f32_e32 v55, v8, v57
	v_or_b32_e32 v57, 0x400000, v53
	v_and_b32_e32 v50, 0xffff0000, v50
	v_cndmask_b32_e32 v52, v52, v56, vcc_lo
	v_add3_u32 v56, v66, v53, 0x7fff
	v_bfe_u32 v66, v54, 16, 1
	v_cmp_u_f32_e32 vcc_lo, v53, v53
	v_bfe_u32 v69, v55, 16, 1
	v_and_b32_e32 v51, 0xffff0000, v51
	v_and_b32_e32 v52, 0xffff0000, v52
	v_lshlrev_b32_e32 v16, 16, v16
	v_cndmask_b32_e32 v53, v56, v57, vcc_lo
	v_add3_u32 v56, v66, v54, 0x7fff
	v_mul_f32_e32 v57, v4, v67
	v_or_b32_e32 v66, 0x400000, v54
	v_cmp_u_f32_e32 vcc_lo, v54, v54
	v_add3_u32 v67, v69, v55, 0x7fff
	v_or_b32_e32 v69, 0x400000, v55
	v_bfe_u32 v70, v57, 16, 1
	v_and_b32_e32 v53, 0xffff0000, v53
	v_cndmask_b32_e32 v54, v56, v66, vcc_lo
	v_mul_f32_e32 v56, v5, v68
	v_cmp_u_f32_e32 vcc_lo, v55, v55
	v_add3_u32 v66, v70, v57, 0x7fff
	v_add_f32_e32 v50, v50, v51
	v_add_f32_e32 v51, v53, v52
	v_bfe_u32 v68, v56, 16, 1
	v_cndmask_b32_e32 v55, v67, v69, vcc_lo
	v_or_b32_e32 v67, 0x400000, v57
	v_cmp_u_f32_e32 vcc_lo, v57, v57
	v_and_b32_e32 v53, 0xffff0000, v54
	v_lshlrev_b32_e32 v54, 16, v65
	v_and_b32_e32 v52, 0xffff0000, v55
	v_add_f32_e32 v50, v51, v50
	v_cndmask_b32_e32 v57, v66, v67, vcc_lo
	v_add3_u32 v66, v68, v56, 0x7fff
	v_or_b32_e32 v67, 0x400000, v56
	v_cmp_u_f32_e32 vcc_lo, v56, v56
	v_lshlrev_b32_e32 v56, 16, v64
	v_add_f32_e32 v51, v52, v53
	v_mul_f32_e32 v52, v1, v54
	v_lshlrev_b32_e32 v15, 16, v15
	v_cndmask_b32_e32 v55, v66, v67, vcc_lo
	v_mul_f32_e32 v54, v6, v56
	v_lshlrev_b32_e32 v56, 16, v61
	v_add_f32_e32 v50, v51, v50
	v_cmp_u_f32_e32 vcc_lo, v52, v52
	v_and_b32_e32 v53, 0xffff0000, v55
	v_and_b32_e32 v55, 0xffff0000, v57
	v_bfe_u32 v57, v52, 16, 1
	v_bfe_u32 v61, v54, 16, 1
	v_lshlrev_b32_e32 v9, 16, v9
	v_lshlrev_b32_e32 v17, 16, v17
	v_add_f32_e32 v51, v53, v55
	v_mul_f32_e32 v53, v2, v56
	v_add3_u32 v55, v57, v52, 0x7fff
	v_or_b32_e32 v56, 0x400000, v52
	v_add3_u32 v57, v61, v54, 0x7fff
	v_or_b32_e32 v61, 0x400000, v54
	v_bfe_u32 v64, v53, 16, 1
	v_mul_f32_e32 v2, v2, v16
	v_cndmask_b32_e32 v52, v55, v56, vcc_lo
	v_cmp_u_f32_e32 vcc_lo, v54, v54
	v_mul_f32_e32 v55, v7, v63
	v_add3_u32 v56, v64, v53, 0x7fff
	v_and_b32_e32 v52, 0xffff0000, v52
	v_cndmask_b32_e32 v54, v57, v61, vcc_lo
	v_or_b32_e32 v57, 0x400000, v53
	v_cmp_u_f32_e32 vcc_lo, v53, v53
	v_bfe_u32 v61, v55, 16, 1
	v_and_b32_e32 v54, 0xffff0000, v54
	v_cndmask_b32_e32 v53, v56, v57, vcc_lo
	v_mul_f32_e32 v56, v3, v58
	v_mul_f32_e32 v57, v8, v59
	v_add3_u32 v58, v61, v55, 0x7fff
	v_or_b32_e32 v59, 0x400000, v55
	v_lshlrev_b32_e32 v61, 16, v62
	v_bfe_u32 v62, v56, 16, 1
	v_cmp_u_f32_e32 vcc_lo, v55, v55
	v_bfe_u32 v63, v57, 16, 1
	v_and_b32_e32 v53, 0xffff0000, v53
	v_add_f32_e32 v52, v54, v52
	v_mul_f32_e32 v8, v8, v15
	v_cndmask_b32_e32 v55, v58, v59, vcc_lo
	v_mul_f32_e32 v58, v4, v61
	v_add3_u32 v59, v62, v56, 0x7fff
	v_or_b32_e32 v61, 0x400000, v56
	v_cmp_u_f32_e32 vcc_lo, v56, v56
	v_add3_u32 v62, v63, v57, 0x7fff
	v_or_b32_e32 v63, 0x400000, v57
	v_bfe_u32 v64, v58, 16, 1
	v_and_b32_e32 v55, 0xffff0000, v55
	v_cndmask_b32_e32 v56, v59, v61, vcc_lo
	v_lshlrev_b32_e32 v59, 16, v60
	v_cmp_u_f32_e32 vcc_lo, v57, v57
	v_add3_u32 v60, v64, v58, 0x7fff
	v_or_b32_e32 v61, 0x400000, v58
	v_add_f32_e32 v53, v55, v53
	v_mul_f32_e32 v59, v5, v59
	v_cndmask_b32_e32 v57, v62, v63, vcc_lo
	v_cmp_u_f32_e32 vcc_lo, v58, v58
	v_and_b32_e32 v55, 0xffff0000, v56
	v_add_f32_e32 v52, v53, v52
	v_mul_f32_e32 v3, v3, v9
	v_and_b32_e32 v54, 0xffff0000, v57
	v_cndmask_b32_e32 v58, v60, v61, vcc_lo
	v_bfe_u32 v60, v59, 16, 1
	v_or_b32_e32 v57, 0x400000, v59
	v_cmp_u_f32_e32 vcc_lo, v59, v59
	v_add_f32_e32 v53, v54, v55
	v_bfe_u32 v55, v49, 16, 1
	v_add3_u32 v56, v60, v59, 0x7fff
	v_lshlrev_b32_e32 v9, 16, v18
	v_mul_f32_e32 v4, v4, v17
	v_add_f32_e32 v52, v53, v52
	v_or_b32_e32 v17, 0x400000, v3
	v_cndmask_b32_e32 v54, v56, v57, vcc_lo
	v_bfe_u32 v57, v48, 16, 1
	v_cmp_u_f32_e32 vcc_lo, v49, v49
	v_and_b32_e32 v56, 0xffff0000, v58
	v_or_b32_e32 v58, 0x400000, v45
	v_and_b32_e32 v53, 0xffff0000, v54
	v_add3_u32 v54, v55, v49, 0x7fff
	v_or_b32_e32 v55, 0x400000, v49
	v_mul_f32_e32 v5, v5, v9
	v_or_b32_e32 v9, 0x400000, v8
	v_cndmask_b32_e32 v49, v54, v55, vcc_lo
	v_bfe_u32 v54, v45, 16, 1
	v_add3_u32 v55, v57, v48, 0x7fff
	v_or_b32_e32 v57, 0x400000, v48
	v_cmp_u_f32_e32 vcc_lo, v48, v48
	v_and_b32_e32 v49, 0xffff0000, v49
	v_add3_u32 v54, v54, v45, 0x7fff
	v_bfe_u32 v18, v5, 16, 1
	v_cndmask_b32_e32 v48, v55, v57, vcc_lo
	v_bfe_u32 v55, v47, 16, 1
	v_cmp_u_f32_e32 vcc_lo, v45, v45
	v_or_b32_e32 v57, 0x400000, v47
	v_and_b32_e32 v48, 0xffff0000, v48
	v_add3_u32 v55, v55, v47, 0x7fff
	v_cndmask_b32_e32 v45, v54, v58, vcc_lo
	v_bfe_u32 v54, v43, 16, 1
	v_cmp_u_f32_e32 vcc_lo, v47, v47
	v_or_b32_e32 v58, 0x400000, v43
	v_add_f32_e32 v48, v48, v49
	v_and_b32_e32 v45, 0xffff0000, v45
	v_add3_u32 v54, v54, v43, 0x7fff
	v_cndmask_b32_e32 v47, v55, v57, vcc_lo
	v_bfe_u32 v55, v42, 16, 1
	v_cmp_u_f32_e32 vcc_lo, v43, v43
	v_bfe_u32 v57, v46, 16, 1
	v_and_b32_e32 v47, 0xffff0000, v47
	v_cndmask_b32_e32 v43, v54, v58, vcc_lo
	v_add3_u32 v54, v55, v42, 0x7fff
	v_or_b32_e32 v55, 0x400000, v42
	v_cmp_u_f32_e32 vcc_lo, v42, v42
	v_add3_u32 v57, v57, v46, 0x7fff
	v_or_b32_e32 v58, 0x400000, v46
	v_add_f32_e32 v45, v47, v45
	v_and_b32_e32 v43, 0xffff0000, v43
	v_cndmask_b32_e32 v42, v54, v55, vcc_lo
	v_cmp_u_f32_e32 vcc_lo, v46, v46
	v_bfe_u32 v54, v44, 16, 1
	v_lshlrev_b32_e32 v47, 16, v89
	v_or_b32_e32 v55, 0x400000, v44
	v_and_b32_e32 v42, 0xffff0000, v42
	v_cndmask_b32_e32 v46, v57, v58, vcc_lo
	v_lshlrev_b32_e32 v57, 16, v90
	v_add3_u32 v54, v54, v44, 0x7fff
	v_cmp_u_f32_e32 vcc_lo, v44, v44
	v_add_f32_e32 v45, v45, v48
	v_add_f32_e32 v42, v42, v43
	v_mul_f32_e32 v6, v6, v57
	v_mul_f32_e32 v1, v1, v47
	v_lshlrev_b32_e32 v43, 16, v88
	v_cndmask_b32_e32 v44, v54, v55, vcc_lo
	v_bfe_u32 v48, v6, 16, 1
	v_bfe_u32 v49, v1, 16, 1
	v_mul_f32_e32 v7, v7, v43
	v_cmp_u_f32_e32 vcc_lo, v6, v6
	v_and_b32_e32 v44, 0xffff0000, v44
	v_add3_u32 v47, v48, v6, 0x7fff
	v_or_b32_e32 v48, 0x400000, v6
	v_add3_u32 v43, v49, v1, 0x7fff
	v_cndmask_b32_e32 v6, v47, v48, vcc_lo
	v_or_b32_e32 v47, 0x400000, v1
	v_bfe_u32 v48, v7, 16, 1
	v_cmp_u_f32_e32 vcc_lo, v1, v1
	v_and_b32_e32 v6, 0xffff0000, v6
	v_add3_u32 v16, v48, v7, 0x7fff
	v_cndmask_b32_e32 v1, v43, v47, vcc_lo
	v_or_b32_e32 v43, 0x400000, v7
	v_bfe_u32 v47, v2, 16, 1
	v_cmp_u_f32_e32 vcc_lo, v7, v7
	v_and_b32_e32 v1, 0xffff0000, v1
	v_add3_u32 v15, v47, v2, 0x7fff
	v_cndmask_b32_e32 v7, v16, v43, vcc_lo
	v_or_b32_e32 v16, 0x400000, v2
	v_bfe_u32 v43, v8, 16, 1
	v_cmp_u_f32_e32 vcc_lo, v2, v2
	v_add_f32_e32 v1, v6, v1
	v_and_b32_e32 v7, 0xffff0000, v7
	v_cndmask_b32_e32 v2, v15, v16, vcc_lo
	v_bfe_u32 v15, v3, 16, 1
	v_add3_u32 v16, v43, v8, 0x7fff
	v_cmp_u_f32_e32 vcc_lo, v8, v8
	v_bfe_u32 v43, v4, 16, 1
	v_and_b32_e32 v2, 0xffff0000, v2
	v_add3_u32 v15, v15, v3, 0x7fff
	v_cndmask_b32_e32 v8, v16, v9, vcc_lo
	v_cmp_u_f32_e32 vcc_lo, v3, v3
	v_or_b32_e32 v16, 0x400000, v4
	v_add3_u32 v9, v18, v5, 0x7fff
	v_add_f32_e32 v2, v7, v2
	v_and_b32_e32 v6, 0xffff0000, v8
	v_cndmask_b32_e32 v3, v15, v17, vcc_lo
	v_add3_u32 v15, v43, v4, 0x7fff
	v_cmp_u_f32_e32 vcc_lo, v4, v4
	v_or_b32_e32 v17, 0x400000, v5
	v_and_b32_e32 v7, 0xffff0000, v46
	v_and_b32_e32 v3, 0xffff0000, v3
	v_add_f32_e32 v1, v2, v1
	v_cndmask_b32_e32 v4, v15, v16, vcc_lo
	v_cmp_u_f32_e32 vcc_lo, v5, v5
	v_add_f32_e32 v7, v44, v7
	v_add_f32_e32 v2, v6, v3
	v_add_f32_e32 v6, v42, v45
	v_and_b32_e32 v3, 0xffff0000, v4
	v_cndmask_b32_e32 v5, v9, v17, vcc_lo
	v_add_f32_e32 v1, v2, v1
	v_add_f32_e32 v6, v7, v6
	v_and_b32_e32 v4, 0xffff0000, v5
	v_add_f32_e32 v5, v53, v56
	v_add_f32_e32 v31, v31, v6
	;; [unrolled: 1-line block ×11, first 2 shown]
.LBB352_425:                            ;   in Loop: Header=BB352_426 Depth=1
	s_or_b32 exec_lo, exec_lo, s13
	v_add_nc_u32_e32 v25, 4, v25
	v_add_co_u32 v13, s0, v13, 16
	v_add_co_ci_u32_e64 v14, null, 0, v14, s0
	v_cmp_le_i32_e32 vcc_lo, s20, v25
	v_add_nc_u32_e32 v38, 64, v38
	v_add_nc_u32_e32 v40, 0x100, v40
	s_or_b32 s12, vcc_lo, s12
	s_andn2_b32 exec_lo, exec_lo, s12
	s_cbranch_execz .LBB352_799
.LBB352_426:                            ; =>This Inner Loop Header: Depth=1
	v_sub_nc_u32_e32 v1, 0, v38
	v_max_i32_e32 v1, v38, v1
	v_mul_hi_u32 v2, v1, s16
	v_mul_lo_u32 v3, v2, s11
	v_sub_nc_u32_e32 v1, v1, v3
	v_add_nc_u32_e32 v3, 1, v2
	v_subrev_nc_u32_e32 v4, s11, v1
	v_cmp_le_u32_e32 vcc_lo, s11, v1
	v_cndmask_b32_e32 v2, v2, v3, vcc_lo
	v_cndmask_b32_e32 v1, v1, v4, vcc_lo
	v_ashrrev_i32_e32 v3, 31, v38
	v_add_nc_u32_e32 v4, 1, v2
	v_cmp_le_u32_e32 vcc_lo, s11, v1
	v_xor_b32_e32 v3, s23, v3
	v_cndmask_b32_e32 v1, v2, v4, vcc_lo
	v_xor_b32_e32 v1, v1, v3
	v_sub_nc_u32_e32 v1, v1, v3
	v_add_nc_u32_e32 v2, s19, v1
	v_cmp_lt_i32_e64 s0, s3, v1
	v_sub_nc_u32_e32 v3, 0, v2
	v_max_i32_e32 v3, v2, v3
	v_ashrrev_i32_e32 v2, 31, v2
	v_mul_hi_u32 v4, v3, v41
	v_mul_lo_u32 v4, v4, s6
	v_sub_nc_u32_e32 v3, v3, v4
	v_subrev_nc_u32_e32 v4, s6, v3
	v_cmp_le_u32_e32 vcc_lo, s6, v3
	v_cndmask_b32_e32 v3, v3, v4, vcc_lo
	v_subrev_nc_u32_e32 v4, s6, v3
	v_cmp_le_u32_e32 vcc_lo, s6, v3
	v_cndmask_b32_e32 v3, v3, v4, vcc_lo
	v_xor_b32_e32 v3, v3, v2
	v_sub_nc_u32_e32 v2, v3, v2
	v_cmp_eq_u32_e32 vcc_lo, 0, v2
	s_or_b32 s0, vcc_lo, s0
	s_and_saveexec_b32 s13, s0
	s_cbranch_execz .LBB352_425
; %bb.427:                              ;   in Loop: Header=BB352_426 Depth=1
	global_load_dword v1, v[13:14], off
	v_mov_b32_e32 v42, 0
	v_mov_b32_e32 v44, 0
	s_waitcnt vmcnt(0)
	v_mad_i64_i32 v[15:16], null, v1, s9, v[11:12]
	global_load_dwordx2 v[17:18], v[15:16], off
	ds_read2_b64 v[5:8], v40 offset1:1
	ds_read2_b64 v[1:4], v40 offset0:2 offset1:3
	s_load_dword s17, s[14:15], 0x0
	s_waitcnt vmcnt(0)
	v_cmp_ne_u16_sdwa s18, v17, v10 src0_sel:BYTE_0 src1_sel:DWORD
	s_and_saveexec_b32 s0, s18
	s_cbranch_execz .LBB352_433
; %bb.428:                              ;   in Loop: Header=BB352_426 Depth=1
	v_cmp_ne_u16_sdwa s21, v17, v26 src0_sel:BYTE_0 src1_sel:DWORD
	v_bfrev_b32_e32 v44, 1
	s_and_saveexec_b32 s18, s21
	s_cbranch_execz .LBB352_432
; %bb.429:                              ;   in Loop: Header=BB352_426 Depth=1
	v_and_b32_e32 v9, 0x7f, v17
	v_mov_b32_e32 v44, 0x7f800001
	s_mov_b32 s21, exec_lo
	v_cmpx_ne_u32_e32 0x7f, v9
	s_cbranch_execz .LBB352_431
; %bb.430:                              ;   in Loop: Header=BB352_426 Depth=1
	v_and_b32_e32 v19, 7, v17
	v_lshrrev_b32_e32 v20, 3, v9
	v_cmp_gt_u32_e32 vcc_lo, 8, v9
	v_ffbh_u32_e32 v19, v19
	v_min_u32_e32 v19, 32, v19
	v_subrev_nc_u32_e32 v43, 28, v19
	v_sub_nc_u32_e32 v19, 29, v19
	v_cndmask_b32_e32 v9, v20, v19, vcc_lo
	v_cndmask_b32_e32 v19, 0, v43, vcc_lo
	v_lshl_add_u32 v9, v9, 23, 0x3c000000
	v_lshlrev_b64 v[19:20], v19, v[17:18]
	v_lshlrev_b32_e32 v20, 24, v17
	v_lshlrev_b32_e32 v19, 20, v19
	v_and_b32_e32 v20, 0x80000000, v20
	v_and_b32_e32 v19, 0x700000, v19
	v_or3_b32 v44, v19, v20, v9
.LBB352_431:                            ;   in Loop: Header=BB352_426 Depth=1
	s_or_b32 exec_lo, exec_lo, s21
.LBB352_432:                            ;   in Loop: Header=BB352_426 Depth=1
	s_or_b32 exec_lo, exec_lo, s18
.LBB352_433:                            ;   in Loop: Header=BB352_426 Depth=1
	s_or_b32 exec_lo, exec_lo, s0
	v_cmp_ne_u16_sdwa s18, v17, v10 src0_sel:BYTE_1 src1_sel:DWORD
	s_and_saveexec_b32 s0, s18
	s_cbranch_execz .LBB352_441
; %bb.434:                              ;   in Loop: Header=BB352_426 Depth=1
	v_cmp_ne_u16_sdwa s21, v17, v26 src0_sel:BYTE_1 src1_sel:DWORD
	v_bfrev_b32_e32 v42, 1
	s_and_saveexec_b32 s18, s21
	s_cbranch_execz .LBB352_440
; %bb.435:                              ;   in Loop: Header=BB352_426 Depth=1
	v_and_b32_sdwa v9, v32, v17 dst_sel:DWORD dst_unused:UNUSED_PAD src0_sel:DWORD src1_sel:BYTE_1
	v_mov_b32_e32 v42, 0x7f800001
	s_mov_b32 s21, exec_lo
	v_and_b32_e32 v20, 0x7f, v9
	v_cmpx_ne_u32_e32 0x7f, v20
	s_cbranch_execz .LBB352_439
; %bb.436:                              ;   in Loop: Header=BB352_426 Depth=1
	v_and_b32_e32 v9, 7, v9
	v_lshrrev_b32_e32 v19, 3, v20
	s_mov_b32 s22, exec_lo
	v_cmpx_gt_u32_e32 8, v20
; %bb.437:                              ;   in Loop: Header=BB352_426 Depth=1
	v_ffbh_u32_e32 v19, v9
	v_min_u32_e32 v19, 32, v19
	v_subrev_nc_u32_e32 v20, 28, v19
	v_sub_nc_u32_e32 v19, 29, v19
	v_lshlrev_b64 v[42:43], v20, v[9:10]
	v_and_b32_e32 v9, 7, v42
; %bb.438:                              ;   in Loop: Header=BB352_426 Depth=1
	s_or_b32 exec_lo, exec_lo, s22
	v_lshlrev_b32_e32 v20, 16, v17
	v_lshlrev_b32_e32 v9, 20, v9
	v_lshl_add_u32 v19, v19, 23, 0x3c000000
	v_and_b32_e32 v20, 0x80000000, v20
	v_or3_b32 v42, v9, v20, v19
.LBB352_439:                            ;   in Loop: Header=BB352_426 Depth=1
	s_or_b32 exec_lo, exec_lo, s21
.LBB352_440:                            ;   in Loop: Header=BB352_426 Depth=1
	s_or_b32 exec_lo, exec_lo, s18
.LBB352_441:                            ;   in Loop: Header=BB352_426 Depth=1
	s_or_b32 exec_lo, exec_lo, s0
	v_and_b32_sdwa v9, v17, v33 dst_sel:DWORD dst_unused:UNUSED_PAD src0_sel:WORD_1 src1_sel:DWORD
	v_mov_b32_e32 v45, 0
	v_mov_b32_e32 v43, 0
	s_mov_b32 s0, exec_lo
	v_cmpx_ne_u16_e32 0, v9
	s_cbranch_execz .LBB352_449
; %bb.442:                              ;   in Loop: Header=BB352_426 Depth=1
	v_bfrev_b32_e32 v43, 1
	s_mov_b32 s18, exec_lo
	v_cmpx_ne_u16_e32 0x80, v9
	s_cbranch_execz .LBB352_448
; %bb.443:                              ;   in Loop: Header=BB352_426 Depth=1
	v_bfe_u32 v20, v17, 16, 7
	v_mov_b32_e32 v43, 0x7f800001
	s_mov_b32 s21, exec_lo
	v_cmpx_ne_u32_e32 0x7f, v20
	s_cbranch_execz .LBB352_447
; %bb.444:                              ;   in Loop: Header=BB352_426 Depth=1
	v_and_b32_sdwa v9, v17, v34 dst_sel:DWORD dst_unused:UNUSED_PAD src0_sel:WORD_1 src1_sel:DWORD
	v_lshrrev_b32_e32 v19, 3, v20
	s_mov_b32 s22, exec_lo
	v_cmpx_gt_u32_e32 8, v20
; %bb.445:                              ;   in Loop: Header=BB352_426 Depth=1
	v_ffbh_u32_e32 v19, v9
	v_min_u32_e32 v19, 32, v19
	v_subrev_nc_u32_e32 v20, 28, v19
	v_sub_nc_u32_e32 v19, 29, v19
	v_lshlrev_b64 v[46:47], v20, v[9:10]
	v_and_b32_e32 v9, 7, v46
; %bb.446:                              ;   in Loop: Header=BB352_426 Depth=1
	s_or_b32 exec_lo, exec_lo, s22
	v_lshlrev_b32_sdwa v20, v39, v17 dst_sel:DWORD dst_unused:UNUSED_PAD src0_sel:DWORD src1_sel:WORD_1
	v_lshlrev_b32_e32 v9, 20, v9
	v_lshl_add_u32 v19, v19, 23, 0x3c000000
	v_and_b32_e32 v20, 0x80000000, v20
	v_or3_b32 v43, v9, v20, v19
.LBB352_447:                            ;   in Loop: Header=BB352_426 Depth=1
	s_or_b32 exec_lo, exec_lo, s21
.LBB352_448:                            ;   in Loop: Header=BB352_426 Depth=1
	s_or_b32 exec_lo, exec_lo, s18
.LBB352_449:                            ;   in Loop: Header=BB352_426 Depth=1
	s_or_b32 exec_lo, exec_lo, s0
	s_mov_b32 s0, exec_lo
	v_cmpx_lt_u32_e32 0xffffff, v17
	s_cbranch_execz .LBB352_457
; %bb.450:                              ;   in Loop: Header=BB352_426 Depth=1
	v_cmp_ne_u32_sdwa s21, v17, v26 src0_sel:BYTE_3 src1_sel:DWORD
	v_bfrev_b32_e32 v45, 1
	s_and_saveexec_b32 s18, s21
	s_cbranch_execz .LBB352_456
; %bb.451:                              ;   in Loop: Header=BB352_426 Depth=1
	v_bfe_u32 v20, v17, 24, 7
	v_mov_b32_e32 v45, 0x7f800001
	s_mov_b32 s21, exec_lo
	v_cmpx_ne_u32_e32 0x7f, v20
	s_cbranch_execz .LBB352_455
; %bb.452:                              ;   in Loop: Header=BB352_426 Depth=1
	v_and_b32_sdwa v9, v17, v34 dst_sel:DWORD dst_unused:UNUSED_PAD src0_sel:BYTE_3 src1_sel:DWORD
	v_lshrrev_b32_e32 v19, 3, v20
	s_mov_b32 s22, exec_lo
	v_cmpx_gt_u32_e32 8, v20
; %bb.453:                              ;   in Loop: Header=BB352_426 Depth=1
	v_ffbh_u32_e32 v19, v9
	v_min_u32_e32 v19, 32, v19
	v_subrev_nc_u32_e32 v20, 28, v19
	v_sub_nc_u32_e32 v19, 29, v19
	v_lshlrev_b64 v[45:46], v20, v[9:10]
	v_and_b32_e32 v9, 7, v45
; %bb.454:                              ;   in Loop: Header=BB352_426 Depth=1
	s_or_b32 exec_lo, exec_lo, s22
	v_lshlrev_b32_sdwa v20, v39, v17 dst_sel:DWORD dst_unused:UNUSED_PAD src0_sel:DWORD src1_sel:BYTE_3
	v_lshlrev_b32_e32 v9, 20, v9
	v_lshl_add_u32 v19, v19, 23, 0x3c000000
	v_and_b32_e32 v20, 0x80000000, v20
	v_or3_b32 v45, v9, v20, v19
.LBB352_455:                            ;   in Loop: Header=BB352_426 Depth=1
	s_or_b32 exec_lo, exec_lo, s21
.LBB352_456:                            ;   in Loop: Header=BB352_426 Depth=1
	s_or_b32 exec_lo, exec_lo, s18
.LBB352_457:                            ;   in Loop: Header=BB352_426 Depth=1
	s_or_b32 exec_lo, exec_lo, s0
	v_mov_b32_e32 v9, v18
	v_cmp_ne_u16_sdwa s18, v18, v10 src0_sel:BYTE_0 src1_sel:DWORD
	v_mov_b32_e32 v19, 0
	v_mov_b32_e32 v46, 0
	s_and_saveexec_b32 s0, s18
	s_cbranch_execz .LBB352_463
; %bb.458:                              ;   in Loop: Header=BB352_426 Depth=1
	v_cmp_ne_u16_sdwa s21, v18, v26 src0_sel:BYTE_0 src1_sel:DWORD
	v_bfrev_b32_e32 v46, 1
	s_and_saveexec_b32 s18, s21
	s_cbranch_execz .LBB352_462
; %bb.459:                              ;   in Loop: Header=BB352_426 Depth=1
	v_and_b32_e32 v20, 0x7f, v18
	v_mov_b32_e32 v46, 0x7f800001
	s_mov_b32 s21, exec_lo
	v_cmpx_ne_u32_e32 0x7f, v20
	s_cbranch_execz .LBB352_461
; %bb.460:                              ;   in Loop: Header=BB352_426 Depth=1
	v_and_b32_e32 v46, 7, v18
	v_lshrrev_b32_e32 v47, 3, v20
	v_cmp_gt_u32_e32 vcc_lo, 8, v20
	v_ffbh_u32_e32 v46, v46
	v_min_u32_e32 v46, 32, v46
	v_subrev_nc_u32_e32 v48, 28, v46
	v_sub_nc_u32_e32 v46, 29, v46
	v_cndmask_b32_e32 v20, v47, v46, vcc_lo
	v_cndmask_b32_e32 v46, 0, v48, vcc_lo
	v_lshl_add_u32 v20, v20, 23, 0x3c000000
	v_lshlrev_b64 v[46:47], v46, v[9:10]
	v_lshlrev_b32_e32 v47, 24, v9
	v_lshlrev_b32_e32 v46, 20, v46
	v_and_b32_e32 v47, 0x80000000, v47
	v_and_b32_e32 v46, 0x700000, v46
	v_or3_b32 v46, v46, v47, v20
.LBB352_461:                            ;   in Loop: Header=BB352_426 Depth=1
	s_or_b32 exec_lo, exec_lo, s21
.LBB352_462:                            ;   in Loop: Header=BB352_426 Depth=1
	s_or_b32 exec_lo, exec_lo, s18
.LBB352_463:                            ;   in Loop: Header=BB352_426 Depth=1
	s_or_b32 exec_lo, exec_lo, s0
	v_cmp_ne_u16_sdwa s18, v9, v10 src0_sel:BYTE_1 src1_sel:DWORD
	s_and_saveexec_b32 s0, s18
	s_cbranch_execz .LBB352_471
; %bb.464:                              ;   in Loop: Header=BB352_426 Depth=1
	v_cmp_ne_u16_sdwa s21, v9, v26 src0_sel:BYTE_1 src1_sel:DWORD
	v_bfrev_b32_e32 v19, 1
	s_and_saveexec_b32 s18, s21
	s_cbranch_execz .LBB352_470
; %bb.465:                              ;   in Loop: Header=BB352_426 Depth=1
	v_and_b32_sdwa v20, v32, v9 dst_sel:DWORD dst_unused:UNUSED_PAD src0_sel:DWORD src1_sel:BYTE_1
	v_mov_b32_e32 v19, 0x7f800001
	s_mov_b32 s21, exec_lo
	v_and_b32_e32 v48, 0x7f, v20
	v_cmpx_ne_u32_e32 0x7f, v48
	s_cbranch_execz .LBB352_469
; %bb.466:                              ;   in Loop: Header=BB352_426 Depth=1
	v_and_b32_e32 v19, 7, v20
	v_mov_b32_e32 v20, v10
	v_lshrrev_b32_e32 v47, 3, v48
	s_mov_b32 s22, exec_lo
	v_cmpx_gt_u32_e32 8, v48
; %bb.467:                              ;   in Loop: Header=BB352_426 Depth=1
	v_ffbh_u32_e32 v47, v19
	v_min_u32_e32 v47, 32, v47
	v_subrev_nc_u32_e32 v48, 28, v47
	v_sub_nc_u32_e32 v47, 29, v47
	v_lshlrev_b64 v[19:20], v48, v[19:20]
	v_and_b32_e32 v19, 7, v19
; %bb.468:                              ;   in Loop: Header=BB352_426 Depth=1
	s_or_b32 exec_lo, exec_lo, s22
	v_lshlrev_b32_e32 v9, 16, v9
	v_lshlrev_b32_e32 v19, 20, v19
	v_lshl_add_u32 v20, v47, 23, 0x3c000000
	v_and_b32_e32 v9, 0x80000000, v9
	v_or3_b32 v19, v19, v9, v20
.LBB352_469:                            ;   in Loop: Header=BB352_426 Depth=1
	s_or_b32 exec_lo, exec_lo, s21
.LBB352_470:                            ;   in Loop: Header=BB352_426 Depth=1
	s_or_b32 exec_lo, exec_lo, s18
.LBB352_471:                            ;   in Loop: Header=BB352_426 Depth=1
	s_or_b32 exec_lo, exec_lo, s0
	v_and_b32_sdwa v9, v18, v33 dst_sel:DWORD dst_unused:UNUSED_PAD src0_sel:WORD_1 src1_sel:DWORD
	v_mov_b32_e32 v20, 0
	v_mov_b32_e32 v47, 0
	s_mov_b32 s0, exec_lo
	v_cmpx_ne_u16_e32 0, v9
	s_cbranch_execz .LBB352_479
; %bb.472:                              ;   in Loop: Header=BB352_426 Depth=1
	v_bfrev_b32_e32 v47, 1
	s_mov_b32 s18, exec_lo
	v_cmpx_ne_u16_e32 0x80, v9
	s_cbranch_execz .LBB352_478
; %bb.473:                              ;   in Loop: Header=BB352_426 Depth=1
	v_bfe_u32 v48, v18, 16, 7
	v_mov_b32_e32 v47, 0x7f800001
	s_mov_b32 s21, exec_lo
	v_cmpx_ne_u32_e32 0x7f, v48
	s_cbranch_execz .LBB352_477
; %bb.474:                              ;   in Loop: Header=BB352_426 Depth=1
	v_and_b32_sdwa v9, v18, v34 dst_sel:DWORD dst_unused:UNUSED_PAD src0_sel:WORD_1 src1_sel:DWORD
	v_lshrrev_b32_e32 v47, 3, v48
	s_mov_b32 s22, exec_lo
	v_cmpx_gt_u32_e32 8, v48
; %bb.475:                              ;   in Loop: Header=BB352_426 Depth=1
	v_ffbh_u32_e32 v47, v9
	v_min_u32_e32 v47, 32, v47
	v_subrev_nc_u32_e32 v48, 28, v47
	v_sub_nc_u32_e32 v47, 29, v47
	v_lshlrev_b64 v[48:49], v48, v[9:10]
	v_and_b32_e32 v9, 7, v48
; %bb.476:                              ;   in Loop: Header=BB352_426 Depth=1
	s_or_b32 exec_lo, exec_lo, s22
	v_lshlrev_b32_sdwa v48, v39, v18 dst_sel:DWORD dst_unused:UNUSED_PAD src0_sel:DWORD src1_sel:WORD_1
	v_lshlrev_b32_e32 v9, 20, v9
	v_lshl_add_u32 v47, v47, 23, 0x3c000000
	v_and_b32_e32 v48, 0x80000000, v48
	v_or3_b32 v47, v9, v48, v47
.LBB352_477:                            ;   in Loop: Header=BB352_426 Depth=1
	s_or_b32 exec_lo, exec_lo, s21
.LBB352_478:                            ;   in Loop: Header=BB352_426 Depth=1
	s_or_b32 exec_lo, exec_lo, s18
.LBB352_479:                            ;   in Loop: Header=BB352_426 Depth=1
	s_or_b32 exec_lo, exec_lo, s0
	s_mov_b32 s0, exec_lo
	v_cmpx_lt_u64_e64 s[4:5], v[17:18]
	s_cbranch_execz .LBB352_487
; %bb.480:                              ;   in Loop: Header=BB352_426 Depth=1
	v_cmp_ne_u32_sdwa s21, v18, v26 src0_sel:BYTE_3 src1_sel:DWORD
	v_bfrev_b32_e32 v20, 1
	s_and_saveexec_b32 s18, s21
	s_cbranch_execz .LBB352_486
; %bb.481:                              ;   in Loop: Header=BB352_426 Depth=1
	v_bfe_u32 v48, v18, 24, 7
	v_mov_b32_e32 v20, 0x7f800001
	s_mov_b32 s21, exec_lo
	v_cmpx_ne_u32_e32 0x7f, v48
	s_cbranch_execz .LBB352_485
; %bb.482:                              ;   in Loop: Header=BB352_426 Depth=1
	v_and_b32_sdwa v9, v18, v34 dst_sel:DWORD dst_unused:UNUSED_PAD src0_sel:BYTE_3 src1_sel:DWORD
	v_lshrrev_b32_e32 v17, 3, v48
	s_mov_b32 s22, exec_lo
	v_cmpx_gt_u32_e32 8, v48
; %bb.483:                              ;   in Loop: Header=BB352_426 Depth=1
	v_ffbh_u32_e32 v17, v9
	v_min_u32_e32 v17, 32, v17
	v_subrev_nc_u32_e32 v20, 28, v17
	v_sub_nc_u32_e32 v17, 29, v17
	v_lshlrev_b64 v[48:49], v20, v[9:10]
	v_and_b32_e32 v9, 7, v48
; %bb.484:                              ;   in Loop: Header=BB352_426 Depth=1
	s_or_b32 exec_lo, exec_lo, s22
	v_lshlrev_b32_sdwa v18, v39, v18 dst_sel:DWORD dst_unused:UNUSED_PAD src0_sel:DWORD src1_sel:BYTE_3
	v_lshlrev_b32_e32 v9, 20, v9
	v_lshl_add_u32 v17, v17, 23, 0x3c000000
	v_and_b32_e32 v18, 0x80000000, v18
	v_or3_b32 v20, v9, v18, v17
.LBB352_485:                            ;   in Loop: Header=BB352_426 Depth=1
	s_or_b32 exec_lo, exec_lo, s21
.LBB352_486:                            ;   in Loop: Header=BB352_426 Depth=1
	s_or_b32 exec_lo, exec_lo, s18
.LBB352_487:                            ;   in Loop: Header=BB352_426 Depth=1
	s_or_b32 exec_lo, exec_lo, s0
	s_waitcnt lgkmcnt(0)
	v_mul_f32_e32 v9, s17, v19
	v_mul_f32_e32 v17, s17, v46
	;; [unrolled: 1-line block ×5, first 2 shown]
	v_bfe_u32 v19, v9, 16, 1
	v_or_b32_e32 v43, 0x400000, v9
	v_bfe_u32 v45, v17, 16, 1
	v_cmp_u_f32_e64 s0, v9, v9
	v_or_b32_e32 v48, 0x400000, v17
	v_add3_u32 v19, v19, v9, 0x7fff
	v_bfe_u32 v49, v18, 16, 1
	v_add3_u32 v45, v45, v17, 0x7fff
	v_or_b32_e32 v51, 0x400000, v18
	v_add_nc_u32_e32 v50, v30, v38
	v_cndmask_b32_e64 v9, v19, v43, s0
	v_cmp_u_f32_e64 s0, v17, v17
	v_bfe_u32 v19, v46, 16, 1
	v_add3_u32 v49, v49, v18, 0x7fff
	v_cmp_eq_u32_e32 vcc_lo, s33, v25
	v_lshrrev_b32_e32 v43, 16, v9
	v_cndmask_b32_e64 v17, v45, v48, s0
	v_cmp_u_f32_e64 s0, v18, v18
	v_mul_f32_e32 v18, s17, v42
	v_add3_u32 v19, v19, v46, 0x7fff
	v_or_b32_e32 v48, 0x400000, v46
	v_lshrrev_b32_e32 v42, 16, v17
	v_cndmask_b32_e64 v9, v49, v51, s0
	v_cmp_u_f32_e64 s0, v46, v46
	v_or_b32_e32 v46, 0x400000, v18
	v_or_b32_e32 v51, 0x400000, v20
	v_add_nc_u32_e32 v57, 1, v50
	v_lshrrev_b32_e32 v45, 16, v9
	v_bfe_u32 v9, v18, 16, 1
	v_cndmask_b32_e64 v17, v19, v48, s0
	v_mul_f32_e32 v19, s17, v44
	v_mul_f32_e32 v44, s17, v47
	v_cmp_u_f32_e64 s0, v18, v18
	v_add3_u32 v9, v9, v18, 0x7fff
	v_bfe_u32 v18, v20, 16, 1
	v_bfe_u32 v47, v19, 16, 1
	;; [unrolled: 1-line block ×3, first 2 shown]
	v_or_b32_e32 v49, 0x400000, v44
	v_cndmask_b32_e64 v9, v9, v46, s0
	v_cmp_u_f32_e64 s0, v19, v19
	v_add3_u32 v46, v47, v19, 0x7fff
	v_or_b32_e32 v47, 0x400000, v19
	v_add3_u32 v48, v48, v44, 0x7fff
	v_add3_u32 v18, v18, v20, 0x7fff
	v_add_nc_u32_e32 v56, 2, v50
	v_add_nc_u32_e32 v55, 3, v50
	v_cndmask_b32_e64 v19, v46, v47, s0
	v_cmp_u_f32_e64 s0, v44, v44
	v_lshrrev_b32_e32 v47, 16, v17
	v_add_nc_u32_e32 v54, 4, v50
	v_add_nc_u32_e32 v53, 5, v50
	;; [unrolled: 1-line block ×3, first 2 shown]
	v_cndmask_b32_e64 v44, v48, v49, s0
	v_cmp_u_f32_e64 s0, v20, v20
	v_lshrrev_b32_e32 v49, 16, v9
	v_lshrrev_b32_e32 v48, 16, v19
	;; [unrolled: 1-line block ×3, first 2 shown]
	v_cndmask_b32_e64 v18, v18, v51, s0
	v_add_nc_u32_e32 v51, 7, v50
	v_lshrrev_b32_e32 v46, 16, v18
	s_and_saveexec_b32 s18, vcc_lo
	s_cbranch_execz .LBB352_489
; %bb.488:                              ;   in Loop: Header=BB352_426 Depth=1
	v_cmp_gt_i32_e64 s0, s31, v50
	v_cndmask_b32_e64 v48, 0, v48, s0
	v_cmp_gt_i32_e64 s0, s31, v57
	v_cndmask_b32_e64 v49, 0, v49, s0
	;; [unrolled: 2-line block ×8, first 2 shown]
.LBB352_489:                            ;   in Loop: Header=BB352_426 Depth=1
	s_or_b32 exec_lo, exec_lo, s18
	global_load_dwordx2 v[17:18], v[15:16], off offset:256
	v_mov_b32_e32 v59, 0
	v_mov_b32_e32 v60, 0
	s_waitcnt vmcnt(0)
	v_cmp_ne_u16_sdwa s0, v17, v10 src0_sel:BYTE_0 src1_sel:DWORD
	s_and_saveexec_b32 s18, s0
	s_cbranch_execz .LBB352_495
; %bb.490:                              ;   in Loop: Header=BB352_426 Depth=1
	v_cmp_ne_u16_sdwa s0, v17, v26 src0_sel:BYTE_0 src1_sel:DWORD
	v_bfrev_b32_e32 v60, 1
	s_and_saveexec_b32 s21, s0
	s_cbranch_execz .LBB352_494
; %bb.491:                              ;   in Loop: Header=BB352_426 Depth=1
	v_and_b32_e32 v9, 0x7f, v17
	v_mov_b32_e32 v60, 0x7f800001
	s_mov_b32 s22, exec_lo
	v_cmpx_ne_u32_e32 0x7f, v9
	s_cbranch_execz .LBB352_493
; %bb.492:                              ;   in Loop: Header=BB352_426 Depth=1
	v_and_b32_e32 v19, 7, v17
	v_lshrrev_b32_e32 v20, 3, v9
	v_cmp_gt_u32_e64 s0, 8, v9
	v_ffbh_u32_e32 v19, v19
	v_min_u32_e32 v19, 32, v19
	v_subrev_nc_u32_e32 v58, 28, v19
	v_sub_nc_u32_e32 v19, 29, v19
	v_cndmask_b32_e64 v9, v20, v19, s0
	v_cndmask_b32_e64 v19, 0, v58, s0
	v_lshl_add_u32 v9, v9, 23, 0x3c000000
	v_lshlrev_b64 v[19:20], v19, v[17:18]
	v_lshlrev_b32_e32 v20, 24, v17
	v_lshlrev_b32_e32 v19, 20, v19
	v_and_b32_e32 v20, 0x80000000, v20
	v_and_b32_e32 v19, 0x700000, v19
	v_or3_b32 v60, v19, v20, v9
.LBB352_493:                            ;   in Loop: Header=BB352_426 Depth=1
	s_or_b32 exec_lo, exec_lo, s22
.LBB352_494:                            ;   in Loop: Header=BB352_426 Depth=1
	s_or_b32 exec_lo, exec_lo, s21
.LBB352_495:                            ;   in Loop: Header=BB352_426 Depth=1
	s_or_b32 exec_lo, exec_lo, s18
	v_cmp_ne_u16_sdwa s0, v17, v10 src0_sel:BYTE_1 src1_sel:DWORD
	s_and_saveexec_b32 s18, s0
	s_cbranch_execz .LBB352_503
; %bb.496:                              ;   in Loop: Header=BB352_426 Depth=1
	v_cmp_ne_u16_sdwa s0, v17, v26 src0_sel:BYTE_1 src1_sel:DWORD
	v_bfrev_b32_e32 v59, 1
	s_and_saveexec_b32 s21, s0
	s_cbranch_execz .LBB352_502
; %bb.497:                              ;   in Loop: Header=BB352_426 Depth=1
	v_and_b32_sdwa v9, v32, v17 dst_sel:DWORD dst_unused:UNUSED_PAD src0_sel:DWORD src1_sel:BYTE_1
	v_mov_b32_e32 v59, 0x7f800001
	s_mov_b32 s22, exec_lo
	v_and_b32_e32 v20, 0x7f, v9
	v_cmpx_ne_u32_e32 0x7f, v20
	s_cbranch_execz .LBB352_501
; %bb.498:                              ;   in Loop: Header=BB352_426 Depth=1
	v_and_b32_e32 v9, 7, v9
	v_lshrrev_b32_e32 v19, 3, v20
	s_mov_b32 s24, exec_lo
	v_cmpx_gt_u32_e32 8, v20
; %bb.499:                              ;   in Loop: Header=BB352_426 Depth=1
	v_ffbh_u32_e32 v19, v9
	v_min_u32_e32 v19, 32, v19
	v_subrev_nc_u32_e32 v20, 28, v19
	v_sub_nc_u32_e32 v19, 29, v19
	v_lshlrev_b64 v[58:59], v20, v[9:10]
	v_and_b32_e32 v9, 7, v58
; %bb.500:                              ;   in Loop: Header=BB352_426 Depth=1
	s_or_b32 exec_lo, exec_lo, s24
	v_lshlrev_b32_e32 v20, 16, v17
	v_lshlrev_b32_e32 v9, 20, v9
	v_lshl_add_u32 v19, v19, 23, 0x3c000000
	v_and_b32_e32 v20, 0x80000000, v20
	v_or3_b32 v59, v9, v20, v19
.LBB352_501:                            ;   in Loop: Header=BB352_426 Depth=1
	s_or_b32 exec_lo, exec_lo, s22
.LBB352_502:                            ;   in Loop: Header=BB352_426 Depth=1
	s_or_b32 exec_lo, exec_lo, s21
.LBB352_503:                            ;   in Loop: Header=BB352_426 Depth=1
	s_or_b32 exec_lo, exec_lo, s18
	v_and_b32_sdwa v9, v17, v33 dst_sel:DWORD dst_unused:UNUSED_PAD src0_sel:WORD_1 src1_sel:DWORD
	v_mov_b32_e32 v61, 0
	v_mov_b32_e32 v58, 0
	s_mov_b32 s18, exec_lo
	v_cmpx_ne_u16_e32 0, v9
	s_cbranch_execz .LBB352_511
; %bb.504:                              ;   in Loop: Header=BB352_426 Depth=1
	v_bfrev_b32_e32 v58, 1
	s_mov_b32 s21, exec_lo
	v_cmpx_ne_u16_e32 0x80, v9
	s_cbranch_execz .LBB352_510
; %bb.505:                              ;   in Loop: Header=BB352_426 Depth=1
	v_bfe_u32 v20, v17, 16, 7
	v_mov_b32_e32 v58, 0x7f800001
	s_mov_b32 s22, exec_lo
	v_cmpx_ne_u32_e32 0x7f, v20
	s_cbranch_execz .LBB352_509
; %bb.506:                              ;   in Loop: Header=BB352_426 Depth=1
	v_and_b32_sdwa v9, v17, v34 dst_sel:DWORD dst_unused:UNUSED_PAD src0_sel:WORD_1 src1_sel:DWORD
	v_lshrrev_b32_e32 v19, 3, v20
	s_mov_b32 s24, exec_lo
	v_cmpx_gt_u32_e32 8, v20
; %bb.507:                              ;   in Loop: Header=BB352_426 Depth=1
	v_ffbh_u32_e32 v19, v9
	v_min_u32_e32 v19, 32, v19
	v_subrev_nc_u32_e32 v20, 28, v19
	v_sub_nc_u32_e32 v19, 29, v19
	v_lshlrev_b64 v[62:63], v20, v[9:10]
	v_and_b32_e32 v9, 7, v62
; %bb.508:                              ;   in Loop: Header=BB352_426 Depth=1
	s_or_b32 exec_lo, exec_lo, s24
	v_lshlrev_b32_sdwa v20, v39, v17 dst_sel:DWORD dst_unused:UNUSED_PAD src0_sel:DWORD src1_sel:WORD_1
	v_lshlrev_b32_e32 v9, 20, v9
	v_lshl_add_u32 v19, v19, 23, 0x3c000000
	v_and_b32_e32 v20, 0x80000000, v20
	v_or3_b32 v58, v9, v20, v19
.LBB352_509:                            ;   in Loop: Header=BB352_426 Depth=1
	s_or_b32 exec_lo, exec_lo, s22
.LBB352_510:                            ;   in Loop: Header=BB352_426 Depth=1
	s_or_b32 exec_lo, exec_lo, s21
.LBB352_511:                            ;   in Loop: Header=BB352_426 Depth=1
	s_or_b32 exec_lo, exec_lo, s18
	s_mov_b32 s18, exec_lo
	v_cmpx_lt_u32_e32 0xffffff, v17
	s_cbranch_execz .LBB352_519
; %bb.512:                              ;   in Loop: Header=BB352_426 Depth=1
	v_cmp_ne_u32_sdwa s0, v17, v26 src0_sel:BYTE_3 src1_sel:DWORD
	v_bfrev_b32_e32 v61, 1
	s_and_saveexec_b32 s21, s0
	s_cbranch_execz .LBB352_518
; %bb.513:                              ;   in Loop: Header=BB352_426 Depth=1
	v_bfe_u32 v20, v17, 24, 7
	v_mov_b32_e32 v61, 0x7f800001
	s_mov_b32 s22, exec_lo
	v_cmpx_ne_u32_e32 0x7f, v20
	s_cbranch_execz .LBB352_517
; %bb.514:                              ;   in Loop: Header=BB352_426 Depth=1
	v_and_b32_sdwa v9, v17, v34 dst_sel:DWORD dst_unused:UNUSED_PAD src0_sel:BYTE_3 src1_sel:DWORD
	v_lshrrev_b32_e32 v19, 3, v20
	s_mov_b32 s24, exec_lo
	v_cmpx_gt_u32_e32 8, v20
; %bb.515:                              ;   in Loop: Header=BB352_426 Depth=1
	v_ffbh_u32_e32 v19, v9
	v_min_u32_e32 v19, 32, v19
	v_subrev_nc_u32_e32 v20, 28, v19
	v_sub_nc_u32_e32 v19, 29, v19
	v_lshlrev_b64 v[61:62], v20, v[9:10]
	v_and_b32_e32 v9, 7, v61
; %bb.516:                              ;   in Loop: Header=BB352_426 Depth=1
	s_or_b32 exec_lo, exec_lo, s24
	v_lshlrev_b32_sdwa v20, v39, v17 dst_sel:DWORD dst_unused:UNUSED_PAD src0_sel:DWORD src1_sel:BYTE_3
	v_lshlrev_b32_e32 v9, 20, v9
	v_lshl_add_u32 v19, v19, 23, 0x3c000000
	v_and_b32_e32 v20, 0x80000000, v20
	v_or3_b32 v61, v9, v20, v19
.LBB352_517:                            ;   in Loop: Header=BB352_426 Depth=1
	s_or_b32 exec_lo, exec_lo, s22
.LBB352_518:                            ;   in Loop: Header=BB352_426 Depth=1
	s_or_b32 exec_lo, exec_lo, s21
.LBB352_519:                            ;   in Loop: Header=BB352_426 Depth=1
	s_or_b32 exec_lo, exec_lo, s18
	v_mov_b32_e32 v9, v18
	v_cmp_ne_u16_sdwa s0, v18, v10 src0_sel:BYTE_0 src1_sel:DWORD
	v_mov_b32_e32 v19, 0
	v_mov_b32_e32 v62, 0
	s_and_saveexec_b32 s18, s0
	s_cbranch_execz .LBB352_525
; %bb.520:                              ;   in Loop: Header=BB352_426 Depth=1
	v_cmp_ne_u16_sdwa s0, v18, v26 src0_sel:BYTE_0 src1_sel:DWORD
	v_bfrev_b32_e32 v62, 1
	s_and_saveexec_b32 s21, s0
	s_cbranch_execz .LBB352_524
; %bb.521:                              ;   in Loop: Header=BB352_426 Depth=1
	v_and_b32_e32 v20, 0x7f, v18
	v_mov_b32_e32 v62, 0x7f800001
	s_mov_b32 s22, exec_lo
	v_cmpx_ne_u32_e32 0x7f, v20
	s_cbranch_execz .LBB352_523
; %bb.522:                              ;   in Loop: Header=BB352_426 Depth=1
	v_and_b32_e32 v62, 7, v18
	v_lshrrev_b32_e32 v63, 3, v20
	v_cmp_gt_u32_e64 s0, 8, v20
	v_ffbh_u32_e32 v62, v62
	v_min_u32_e32 v62, 32, v62
	v_subrev_nc_u32_e32 v64, 28, v62
	v_sub_nc_u32_e32 v62, 29, v62
	v_cndmask_b32_e64 v20, v63, v62, s0
	v_cndmask_b32_e64 v62, 0, v64, s0
	v_lshl_add_u32 v20, v20, 23, 0x3c000000
	v_lshlrev_b64 v[62:63], v62, v[9:10]
	v_lshlrev_b32_e32 v63, 24, v9
	v_lshlrev_b32_e32 v62, 20, v62
	v_and_b32_e32 v63, 0x80000000, v63
	v_and_b32_e32 v62, 0x700000, v62
	v_or3_b32 v62, v62, v63, v20
.LBB352_523:                            ;   in Loop: Header=BB352_426 Depth=1
	s_or_b32 exec_lo, exec_lo, s22
.LBB352_524:                            ;   in Loop: Header=BB352_426 Depth=1
	s_or_b32 exec_lo, exec_lo, s21
.LBB352_525:                            ;   in Loop: Header=BB352_426 Depth=1
	s_or_b32 exec_lo, exec_lo, s18
	v_cmp_ne_u16_sdwa s0, v9, v10 src0_sel:BYTE_1 src1_sel:DWORD
	s_and_saveexec_b32 s18, s0
	s_cbranch_execz .LBB352_533
; %bb.526:                              ;   in Loop: Header=BB352_426 Depth=1
	v_cmp_ne_u16_sdwa s0, v9, v26 src0_sel:BYTE_1 src1_sel:DWORD
	v_bfrev_b32_e32 v19, 1
	s_and_saveexec_b32 s21, s0
	s_cbranch_execz .LBB352_532
; %bb.527:                              ;   in Loop: Header=BB352_426 Depth=1
	v_and_b32_sdwa v20, v32, v9 dst_sel:DWORD dst_unused:UNUSED_PAD src0_sel:DWORD src1_sel:BYTE_1
	v_mov_b32_e32 v19, 0x7f800001
	s_mov_b32 s22, exec_lo
	v_and_b32_e32 v64, 0x7f, v20
	v_cmpx_ne_u32_e32 0x7f, v64
	s_cbranch_execz .LBB352_531
; %bb.528:                              ;   in Loop: Header=BB352_426 Depth=1
	v_and_b32_e32 v19, 7, v20
	v_mov_b32_e32 v20, v10
	v_lshrrev_b32_e32 v63, 3, v64
	s_mov_b32 s24, exec_lo
	v_cmpx_gt_u32_e32 8, v64
; %bb.529:                              ;   in Loop: Header=BB352_426 Depth=1
	v_ffbh_u32_e32 v63, v19
	v_min_u32_e32 v63, 32, v63
	v_subrev_nc_u32_e32 v64, 28, v63
	v_sub_nc_u32_e32 v63, 29, v63
	v_lshlrev_b64 v[19:20], v64, v[19:20]
	v_and_b32_e32 v19, 7, v19
; %bb.530:                              ;   in Loop: Header=BB352_426 Depth=1
	s_or_b32 exec_lo, exec_lo, s24
	v_lshlrev_b32_e32 v9, 16, v9
	v_lshlrev_b32_e32 v19, 20, v19
	v_lshl_add_u32 v20, v63, 23, 0x3c000000
	v_and_b32_e32 v9, 0x80000000, v9
	v_or3_b32 v19, v19, v9, v20
.LBB352_531:                            ;   in Loop: Header=BB352_426 Depth=1
	s_or_b32 exec_lo, exec_lo, s22
.LBB352_532:                            ;   in Loop: Header=BB352_426 Depth=1
	s_or_b32 exec_lo, exec_lo, s21
.LBB352_533:                            ;   in Loop: Header=BB352_426 Depth=1
	s_or_b32 exec_lo, exec_lo, s18
	v_and_b32_sdwa v9, v18, v33 dst_sel:DWORD dst_unused:UNUSED_PAD src0_sel:WORD_1 src1_sel:DWORD
	v_mov_b32_e32 v20, 0
	v_mov_b32_e32 v63, 0
	s_mov_b32 s18, exec_lo
	v_cmpx_ne_u16_e32 0, v9
	s_cbranch_execz .LBB352_541
; %bb.534:                              ;   in Loop: Header=BB352_426 Depth=1
	v_bfrev_b32_e32 v63, 1
	s_mov_b32 s21, exec_lo
	v_cmpx_ne_u16_e32 0x80, v9
	s_cbranch_execz .LBB352_540
; %bb.535:                              ;   in Loop: Header=BB352_426 Depth=1
	v_bfe_u32 v64, v18, 16, 7
	v_mov_b32_e32 v63, 0x7f800001
	s_mov_b32 s22, exec_lo
	v_cmpx_ne_u32_e32 0x7f, v64
	s_cbranch_execz .LBB352_539
; %bb.536:                              ;   in Loop: Header=BB352_426 Depth=1
	v_and_b32_sdwa v9, v18, v34 dst_sel:DWORD dst_unused:UNUSED_PAD src0_sel:WORD_1 src1_sel:DWORD
	v_lshrrev_b32_e32 v63, 3, v64
	s_mov_b32 s24, exec_lo
	v_cmpx_gt_u32_e32 8, v64
; %bb.537:                              ;   in Loop: Header=BB352_426 Depth=1
	v_ffbh_u32_e32 v63, v9
	v_min_u32_e32 v63, 32, v63
	v_subrev_nc_u32_e32 v64, 28, v63
	v_sub_nc_u32_e32 v63, 29, v63
	v_lshlrev_b64 v[64:65], v64, v[9:10]
	v_and_b32_e32 v9, 7, v64
; %bb.538:                              ;   in Loop: Header=BB352_426 Depth=1
	s_or_b32 exec_lo, exec_lo, s24
	v_lshlrev_b32_sdwa v64, v39, v18 dst_sel:DWORD dst_unused:UNUSED_PAD src0_sel:DWORD src1_sel:WORD_1
	v_lshlrev_b32_e32 v9, 20, v9
	v_lshl_add_u32 v63, v63, 23, 0x3c000000
	v_and_b32_e32 v64, 0x80000000, v64
	v_or3_b32 v63, v9, v64, v63
.LBB352_539:                            ;   in Loop: Header=BB352_426 Depth=1
	s_or_b32 exec_lo, exec_lo, s22
.LBB352_540:                            ;   in Loop: Header=BB352_426 Depth=1
	s_or_b32 exec_lo, exec_lo, s21
.LBB352_541:                            ;   in Loop: Header=BB352_426 Depth=1
	s_or_b32 exec_lo, exec_lo, s18
	s_mov_b32 s18, exec_lo
	v_cmpx_lt_u64_e64 s[4:5], v[17:18]
	s_cbranch_execz .LBB352_549
; %bb.542:                              ;   in Loop: Header=BB352_426 Depth=1
	v_cmp_ne_u32_sdwa s0, v18, v26 src0_sel:BYTE_3 src1_sel:DWORD
	v_bfrev_b32_e32 v20, 1
	s_and_saveexec_b32 s21, s0
	s_cbranch_execz .LBB352_548
; %bb.543:                              ;   in Loop: Header=BB352_426 Depth=1
	v_bfe_u32 v64, v18, 24, 7
	v_mov_b32_e32 v20, 0x7f800001
	s_mov_b32 s22, exec_lo
	v_cmpx_ne_u32_e32 0x7f, v64
	s_cbranch_execz .LBB352_547
; %bb.544:                              ;   in Loop: Header=BB352_426 Depth=1
	v_and_b32_sdwa v9, v18, v34 dst_sel:DWORD dst_unused:UNUSED_PAD src0_sel:BYTE_3 src1_sel:DWORD
	v_lshrrev_b32_e32 v17, 3, v64
	s_mov_b32 s24, exec_lo
	v_cmpx_gt_u32_e32 8, v64
; %bb.545:                              ;   in Loop: Header=BB352_426 Depth=1
	v_ffbh_u32_e32 v17, v9
	v_min_u32_e32 v17, 32, v17
	v_subrev_nc_u32_e32 v20, 28, v17
	v_sub_nc_u32_e32 v17, 29, v17
	v_lshlrev_b64 v[64:65], v20, v[9:10]
	v_and_b32_e32 v9, 7, v64
; %bb.546:                              ;   in Loop: Header=BB352_426 Depth=1
	s_or_b32 exec_lo, exec_lo, s24
	v_lshlrev_b32_sdwa v18, v39, v18 dst_sel:DWORD dst_unused:UNUSED_PAD src0_sel:DWORD src1_sel:BYTE_3
	v_lshlrev_b32_e32 v9, 20, v9
	v_lshl_add_u32 v17, v17, 23, 0x3c000000
	v_and_b32_e32 v18, 0x80000000, v18
	v_or3_b32 v20, v9, v18, v17
.LBB352_547:                            ;   in Loop: Header=BB352_426 Depth=1
	s_or_b32 exec_lo, exec_lo, s22
.LBB352_548:                            ;   in Loop: Header=BB352_426 Depth=1
	s_or_b32 exec_lo, exec_lo, s21
.LBB352_549:                            ;   in Loop: Header=BB352_426 Depth=1
	s_or_b32 exec_lo, exec_lo, s18
	v_mul_f32_e32 v9, s17, v19
	v_mul_f32_e32 v17, s17, v62
	;; [unrolled: 1-line block ×5, first 2 shown]
	v_bfe_u32 v58, v9, 16, 1
	v_or_b32_e32 v61, 0x400000, v9
	v_bfe_u32 v62, v17, 16, 1
	v_cmp_u_f32_e64 s0, v9, v9
	v_or_b32_e32 v64, 0x400000, v17
	v_add3_u32 v58, v58, v9, 0x7fff
	v_bfe_u32 v65, v18, 16, 1
	v_add3_u32 v62, v62, v17, 0x7fff
	v_or_b32_e32 v66, 0x400000, v18
	v_bfe_u32 v67, v19, 16, 1
	v_cndmask_b32_e64 v9, v58, v61, s0
	v_cmp_u_f32_e64 s0, v17, v17
	v_add3_u32 v65, v65, v18, 0x7fff
	v_lshrrev_b32_e32 v58, 16, v9
	v_cndmask_b32_e64 v17, v62, v64, s0
	v_cmp_u_f32_e64 s0, v18, v18
	v_mul_f32_e32 v9, s17, v59
	v_add3_u32 v62, v67, v19, 0x7fff
	v_or_b32_e32 v64, 0x400000, v19
	v_lshrrev_b32_e32 v59, 16, v17
	v_cndmask_b32_e64 v18, v65, v66, s0
	v_bfe_u32 v17, v9, 16, 1
	v_cmp_u_f32_e64 s0, v19, v19
	v_mul_f32_e32 v19, s17, v60
	v_mul_f32_e32 v60, s17, v63
	v_lshrrev_b32_e32 v61, 16, v18
	v_add3_u32 v17, v17, v9, 0x7fff
	v_cndmask_b32_e64 v18, v62, v64, s0
	v_or_b32_e32 v62, 0x400000, v9
	v_bfe_u32 v63, v19, 16, 1
	v_cmp_u_f32_e64 s0, v9, v9
	v_bfe_u32 v64, v60, 16, 1
	v_or_b32_e32 v65, 0x400000, v60
	v_or_b32_e32 v66, 0x400000, v20
	v_cndmask_b32_e64 v9, v17, v62, s0
	v_add3_u32 v62, v63, v19, 0x7fff
	v_or_b32_e32 v63, 0x400000, v19
	v_cmp_u_f32_e64 s0, v19, v19
	v_bfe_u32 v17, v20, 16, 1
	v_add3_u32 v64, v64, v60, 0x7fff
	v_cndmask_b32_e64 v19, v62, v63, s0
	v_cmp_u_f32_e64 s0, v60, v60
	v_add3_u32 v17, v17, v20, 0x7fff
	v_lshrrev_b32_e32 v63, 16, v18
	v_cndmask_b32_e64 v60, v64, v65, s0
	v_cmp_u_f32_e64 s0, v20, v20
	v_lshrrev_b32_e32 v65, 16, v9
	v_lshrrev_b32_e32 v64, 16, v19
	;; [unrolled: 1-line block ×3, first 2 shown]
	v_cndmask_b32_e64 v17, v17, v66, s0
	v_lshrrev_b32_e32 v62, 16, v17
	s_and_saveexec_b32 s18, vcc_lo
	s_cbranch_execz .LBB352_551
; %bb.550:                              ;   in Loop: Header=BB352_426 Depth=1
	v_cmp_gt_i32_e64 s0, s31, v50
	v_cndmask_b32_e64 v64, 0, v64, s0
	v_cmp_gt_i32_e64 s0, s31, v57
	v_cndmask_b32_e64 v65, 0, v65, s0
	;; [unrolled: 2-line block ×8, first 2 shown]
.LBB352_551:                            ;   in Loop: Header=BB352_426 Depth=1
	s_or_b32 exec_lo, exec_lo, s18
	global_load_dwordx2 v[17:18], v[15:16], off offset:512
	v_mov_b32_e32 v67, 0
	v_mov_b32_e32 v68, 0
	s_waitcnt vmcnt(0)
	v_cmp_ne_u16_sdwa s0, v17, v10 src0_sel:BYTE_0 src1_sel:DWORD
	s_and_saveexec_b32 s18, s0
	s_cbranch_execz .LBB352_557
; %bb.552:                              ;   in Loop: Header=BB352_426 Depth=1
	v_cmp_ne_u16_sdwa s0, v17, v26 src0_sel:BYTE_0 src1_sel:DWORD
	v_bfrev_b32_e32 v68, 1
	s_and_saveexec_b32 s21, s0
	s_cbranch_execz .LBB352_556
; %bb.553:                              ;   in Loop: Header=BB352_426 Depth=1
	v_and_b32_e32 v9, 0x7f, v17
	v_mov_b32_e32 v68, 0x7f800001
	s_mov_b32 s22, exec_lo
	v_cmpx_ne_u32_e32 0x7f, v9
	s_cbranch_execz .LBB352_555
; %bb.554:                              ;   in Loop: Header=BB352_426 Depth=1
	v_and_b32_e32 v19, 7, v17
	v_lshrrev_b32_e32 v20, 3, v9
	v_cmp_gt_u32_e64 s0, 8, v9
	v_ffbh_u32_e32 v19, v19
	v_min_u32_e32 v19, 32, v19
	v_subrev_nc_u32_e32 v66, 28, v19
	v_sub_nc_u32_e32 v19, 29, v19
	v_cndmask_b32_e64 v9, v20, v19, s0
	v_cndmask_b32_e64 v19, 0, v66, s0
	v_lshl_add_u32 v9, v9, 23, 0x3c000000
	v_lshlrev_b64 v[19:20], v19, v[17:18]
	v_lshlrev_b32_e32 v20, 24, v17
	v_lshlrev_b32_e32 v19, 20, v19
	v_and_b32_e32 v20, 0x80000000, v20
	v_and_b32_e32 v19, 0x700000, v19
	v_or3_b32 v68, v19, v20, v9
.LBB352_555:                            ;   in Loop: Header=BB352_426 Depth=1
	s_or_b32 exec_lo, exec_lo, s22
.LBB352_556:                            ;   in Loop: Header=BB352_426 Depth=1
	s_or_b32 exec_lo, exec_lo, s21
.LBB352_557:                            ;   in Loop: Header=BB352_426 Depth=1
	s_or_b32 exec_lo, exec_lo, s18
	v_cmp_ne_u16_sdwa s0, v17, v10 src0_sel:BYTE_1 src1_sel:DWORD
	s_and_saveexec_b32 s18, s0
	s_cbranch_execz .LBB352_565
; %bb.558:                              ;   in Loop: Header=BB352_426 Depth=1
	v_cmp_ne_u16_sdwa s0, v17, v26 src0_sel:BYTE_1 src1_sel:DWORD
	v_bfrev_b32_e32 v67, 1
	s_and_saveexec_b32 s21, s0
	s_cbranch_execz .LBB352_564
; %bb.559:                              ;   in Loop: Header=BB352_426 Depth=1
	v_and_b32_sdwa v9, v32, v17 dst_sel:DWORD dst_unused:UNUSED_PAD src0_sel:DWORD src1_sel:BYTE_1
	v_mov_b32_e32 v67, 0x7f800001
	s_mov_b32 s22, exec_lo
	v_and_b32_e32 v20, 0x7f, v9
	v_cmpx_ne_u32_e32 0x7f, v20
	s_cbranch_execz .LBB352_563
; %bb.560:                              ;   in Loop: Header=BB352_426 Depth=1
	v_and_b32_e32 v9, 7, v9
	v_lshrrev_b32_e32 v19, 3, v20
	s_mov_b32 s24, exec_lo
	v_cmpx_gt_u32_e32 8, v20
; %bb.561:                              ;   in Loop: Header=BB352_426 Depth=1
	v_ffbh_u32_e32 v19, v9
	v_min_u32_e32 v19, 32, v19
	v_subrev_nc_u32_e32 v20, 28, v19
	v_sub_nc_u32_e32 v19, 29, v19
	v_lshlrev_b64 v[66:67], v20, v[9:10]
	v_and_b32_e32 v9, 7, v66
; %bb.562:                              ;   in Loop: Header=BB352_426 Depth=1
	s_or_b32 exec_lo, exec_lo, s24
	v_lshlrev_b32_e32 v20, 16, v17
	v_lshlrev_b32_e32 v9, 20, v9
	v_lshl_add_u32 v19, v19, 23, 0x3c000000
	v_and_b32_e32 v20, 0x80000000, v20
	v_or3_b32 v67, v9, v20, v19
.LBB352_563:                            ;   in Loop: Header=BB352_426 Depth=1
	s_or_b32 exec_lo, exec_lo, s22
.LBB352_564:                            ;   in Loop: Header=BB352_426 Depth=1
	s_or_b32 exec_lo, exec_lo, s21
.LBB352_565:                            ;   in Loop: Header=BB352_426 Depth=1
	s_or_b32 exec_lo, exec_lo, s18
	v_and_b32_sdwa v9, v17, v33 dst_sel:DWORD dst_unused:UNUSED_PAD src0_sel:WORD_1 src1_sel:DWORD
	v_mov_b32_e32 v69, 0
	v_mov_b32_e32 v66, 0
	s_mov_b32 s18, exec_lo
	v_cmpx_ne_u16_e32 0, v9
	s_cbranch_execz .LBB352_573
; %bb.566:                              ;   in Loop: Header=BB352_426 Depth=1
	v_bfrev_b32_e32 v66, 1
	s_mov_b32 s21, exec_lo
	v_cmpx_ne_u16_e32 0x80, v9
	s_cbranch_execz .LBB352_572
; %bb.567:                              ;   in Loop: Header=BB352_426 Depth=1
	v_bfe_u32 v20, v17, 16, 7
	v_mov_b32_e32 v66, 0x7f800001
	s_mov_b32 s22, exec_lo
	v_cmpx_ne_u32_e32 0x7f, v20
	s_cbranch_execz .LBB352_571
; %bb.568:                              ;   in Loop: Header=BB352_426 Depth=1
	v_and_b32_sdwa v9, v17, v34 dst_sel:DWORD dst_unused:UNUSED_PAD src0_sel:WORD_1 src1_sel:DWORD
	v_lshrrev_b32_e32 v19, 3, v20
	s_mov_b32 s24, exec_lo
	v_cmpx_gt_u32_e32 8, v20
; %bb.569:                              ;   in Loop: Header=BB352_426 Depth=1
	v_ffbh_u32_e32 v19, v9
	v_min_u32_e32 v19, 32, v19
	v_subrev_nc_u32_e32 v20, 28, v19
	v_sub_nc_u32_e32 v19, 29, v19
	v_lshlrev_b64 v[70:71], v20, v[9:10]
	v_and_b32_e32 v9, 7, v70
; %bb.570:                              ;   in Loop: Header=BB352_426 Depth=1
	s_or_b32 exec_lo, exec_lo, s24
	v_lshlrev_b32_sdwa v20, v39, v17 dst_sel:DWORD dst_unused:UNUSED_PAD src0_sel:DWORD src1_sel:WORD_1
	v_lshlrev_b32_e32 v9, 20, v9
	v_lshl_add_u32 v19, v19, 23, 0x3c000000
	v_and_b32_e32 v20, 0x80000000, v20
	v_or3_b32 v66, v9, v20, v19
.LBB352_571:                            ;   in Loop: Header=BB352_426 Depth=1
	s_or_b32 exec_lo, exec_lo, s22
.LBB352_572:                            ;   in Loop: Header=BB352_426 Depth=1
	s_or_b32 exec_lo, exec_lo, s21
.LBB352_573:                            ;   in Loop: Header=BB352_426 Depth=1
	s_or_b32 exec_lo, exec_lo, s18
	s_mov_b32 s18, exec_lo
	v_cmpx_lt_u32_e32 0xffffff, v17
	s_cbranch_execz .LBB352_581
; %bb.574:                              ;   in Loop: Header=BB352_426 Depth=1
	v_cmp_ne_u32_sdwa s0, v17, v26 src0_sel:BYTE_3 src1_sel:DWORD
	v_bfrev_b32_e32 v69, 1
	s_and_saveexec_b32 s21, s0
	s_cbranch_execz .LBB352_580
; %bb.575:                              ;   in Loop: Header=BB352_426 Depth=1
	v_bfe_u32 v20, v17, 24, 7
	v_mov_b32_e32 v69, 0x7f800001
	s_mov_b32 s22, exec_lo
	v_cmpx_ne_u32_e32 0x7f, v20
	s_cbranch_execz .LBB352_579
; %bb.576:                              ;   in Loop: Header=BB352_426 Depth=1
	v_and_b32_sdwa v9, v17, v34 dst_sel:DWORD dst_unused:UNUSED_PAD src0_sel:BYTE_3 src1_sel:DWORD
	v_lshrrev_b32_e32 v19, 3, v20
	s_mov_b32 s24, exec_lo
	v_cmpx_gt_u32_e32 8, v20
; %bb.577:                              ;   in Loop: Header=BB352_426 Depth=1
	v_ffbh_u32_e32 v19, v9
	v_min_u32_e32 v19, 32, v19
	v_subrev_nc_u32_e32 v20, 28, v19
	v_sub_nc_u32_e32 v19, 29, v19
	v_lshlrev_b64 v[69:70], v20, v[9:10]
	v_and_b32_e32 v9, 7, v69
; %bb.578:                              ;   in Loop: Header=BB352_426 Depth=1
	s_or_b32 exec_lo, exec_lo, s24
	v_lshlrev_b32_sdwa v20, v39, v17 dst_sel:DWORD dst_unused:UNUSED_PAD src0_sel:DWORD src1_sel:BYTE_3
	v_lshlrev_b32_e32 v9, 20, v9
	v_lshl_add_u32 v19, v19, 23, 0x3c000000
	v_and_b32_e32 v20, 0x80000000, v20
	v_or3_b32 v69, v9, v20, v19
.LBB352_579:                            ;   in Loop: Header=BB352_426 Depth=1
	s_or_b32 exec_lo, exec_lo, s22
.LBB352_580:                            ;   in Loop: Header=BB352_426 Depth=1
	s_or_b32 exec_lo, exec_lo, s21
.LBB352_581:                            ;   in Loop: Header=BB352_426 Depth=1
	s_or_b32 exec_lo, exec_lo, s18
	v_mov_b32_e32 v9, v18
	v_cmp_ne_u16_sdwa s0, v18, v10 src0_sel:BYTE_0 src1_sel:DWORD
	v_mov_b32_e32 v19, 0
	v_mov_b32_e32 v70, 0
	s_and_saveexec_b32 s18, s0
	s_cbranch_execz .LBB352_587
; %bb.582:                              ;   in Loop: Header=BB352_426 Depth=1
	v_cmp_ne_u16_sdwa s0, v18, v26 src0_sel:BYTE_0 src1_sel:DWORD
	v_bfrev_b32_e32 v70, 1
	s_and_saveexec_b32 s21, s0
	s_cbranch_execz .LBB352_586
; %bb.583:                              ;   in Loop: Header=BB352_426 Depth=1
	v_and_b32_e32 v20, 0x7f, v18
	v_mov_b32_e32 v70, 0x7f800001
	s_mov_b32 s22, exec_lo
	v_cmpx_ne_u32_e32 0x7f, v20
	s_cbranch_execz .LBB352_585
; %bb.584:                              ;   in Loop: Header=BB352_426 Depth=1
	v_and_b32_e32 v70, 7, v18
	v_lshrrev_b32_e32 v71, 3, v20
	v_cmp_gt_u32_e64 s0, 8, v20
	v_ffbh_u32_e32 v70, v70
	v_min_u32_e32 v70, 32, v70
	v_subrev_nc_u32_e32 v72, 28, v70
	v_sub_nc_u32_e32 v70, 29, v70
	v_cndmask_b32_e64 v20, v71, v70, s0
	v_cndmask_b32_e64 v70, 0, v72, s0
	v_lshl_add_u32 v20, v20, 23, 0x3c000000
	v_lshlrev_b64 v[70:71], v70, v[9:10]
	v_lshlrev_b32_e32 v71, 24, v9
	v_lshlrev_b32_e32 v70, 20, v70
	v_and_b32_e32 v71, 0x80000000, v71
	v_and_b32_e32 v70, 0x700000, v70
	v_or3_b32 v70, v70, v71, v20
.LBB352_585:                            ;   in Loop: Header=BB352_426 Depth=1
	s_or_b32 exec_lo, exec_lo, s22
.LBB352_586:                            ;   in Loop: Header=BB352_426 Depth=1
	s_or_b32 exec_lo, exec_lo, s21
.LBB352_587:                            ;   in Loop: Header=BB352_426 Depth=1
	s_or_b32 exec_lo, exec_lo, s18
	v_cmp_ne_u16_sdwa s0, v9, v10 src0_sel:BYTE_1 src1_sel:DWORD
	s_and_saveexec_b32 s18, s0
	s_cbranch_execz .LBB352_595
; %bb.588:                              ;   in Loop: Header=BB352_426 Depth=1
	v_cmp_ne_u16_sdwa s0, v9, v26 src0_sel:BYTE_1 src1_sel:DWORD
	v_bfrev_b32_e32 v19, 1
	s_and_saveexec_b32 s21, s0
	s_cbranch_execz .LBB352_594
; %bb.589:                              ;   in Loop: Header=BB352_426 Depth=1
	v_and_b32_sdwa v20, v32, v9 dst_sel:DWORD dst_unused:UNUSED_PAD src0_sel:DWORD src1_sel:BYTE_1
	v_mov_b32_e32 v19, 0x7f800001
	s_mov_b32 s22, exec_lo
	v_and_b32_e32 v72, 0x7f, v20
	v_cmpx_ne_u32_e32 0x7f, v72
	s_cbranch_execz .LBB352_593
; %bb.590:                              ;   in Loop: Header=BB352_426 Depth=1
	v_and_b32_e32 v19, 7, v20
	v_mov_b32_e32 v20, v10
	v_lshrrev_b32_e32 v71, 3, v72
	s_mov_b32 s24, exec_lo
	v_cmpx_gt_u32_e32 8, v72
; %bb.591:                              ;   in Loop: Header=BB352_426 Depth=1
	v_ffbh_u32_e32 v71, v19
	v_min_u32_e32 v71, 32, v71
	v_subrev_nc_u32_e32 v72, 28, v71
	v_sub_nc_u32_e32 v71, 29, v71
	v_lshlrev_b64 v[19:20], v72, v[19:20]
	v_and_b32_e32 v19, 7, v19
; %bb.592:                              ;   in Loop: Header=BB352_426 Depth=1
	s_or_b32 exec_lo, exec_lo, s24
	v_lshlrev_b32_e32 v9, 16, v9
	v_lshlrev_b32_e32 v19, 20, v19
	v_lshl_add_u32 v20, v71, 23, 0x3c000000
	v_and_b32_e32 v9, 0x80000000, v9
	v_or3_b32 v19, v19, v9, v20
.LBB352_593:                            ;   in Loop: Header=BB352_426 Depth=1
	s_or_b32 exec_lo, exec_lo, s22
.LBB352_594:                            ;   in Loop: Header=BB352_426 Depth=1
	s_or_b32 exec_lo, exec_lo, s21
.LBB352_595:                            ;   in Loop: Header=BB352_426 Depth=1
	s_or_b32 exec_lo, exec_lo, s18
	v_and_b32_sdwa v9, v18, v33 dst_sel:DWORD dst_unused:UNUSED_PAD src0_sel:WORD_1 src1_sel:DWORD
	v_mov_b32_e32 v20, 0
	v_mov_b32_e32 v71, 0
	s_mov_b32 s18, exec_lo
	v_cmpx_ne_u16_e32 0, v9
	s_cbranch_execz .LBB352_603
; %bb.596:                              ;   in Loop: Header=BB352_426 Depth=1
	v_bfrev_b32_e32 v71, 1
	s_mov_b32 s21, exec_lo
	v_cmpx_ne_u16_e32 0x80, v9
	s_cbranch_execz .LBB352_602
; %bb.597:                              ;   in Loop: Header=BB352_426 Depth=1
	v_bfe_u32 v72, v18, 16, 7
	v_mov_b32_e32 v71, 0x7f800001
	s_mov_b32 s22, exec_lo
	v_cmpx_ne_u32_e32 0x7f, v72
	s_cbranch_execz .LBB352_601
; %bb.598:                              ;   in Loop: Header=BB352_426 Depth=1
	v_and_b32_sdwa v9, v18, v34 dst_sel:DWORD dst_unused:UNUSED_PAD src0_sel:WORD_1 src1_sel:DWORD
	v_lshrrev_b32_e32 v71, 3, v72
	s_mov_b32 s24, exec_lo
	v_cmpx_gt_u32_e32 8, v72
; %bb.599:                              ;   in Loop: Header=BB352_426 Depth=1
	v_ffbh_u32_e32 v71, v9
	v_min_u32_e32 v71, 32, v71
	v_subrev_nc_u32_e32 v72, 28, v71
	v_sub_nc_u32_e32 v71, 29, v71
	v_lshlrev_b64 v[72:73], v72, v[9:10]
	v_and_b32_e32 v9, 7, v72
; %bb.600:                              ;   in Loop: Header=BB352_426 Depth=1
	s_or_b32 exec_lo, exec_lo, s24
	v_lshlrev_b32_sdwa v72, v39, v18 dst_sel:DWORD dst_unused:UNUSED_PAD src0_sel:DWORD src1_sel:WORD_1
	v_lshlrev_b32_e32 v9, 20, v9
	v_lshl_add_u32 v71, v71, 23, 0x3c000000
	v_and_b32_e32 v72, 0x80000000, v72
	v_or3_b32 v71, v9, v72, v71
.LBB352_601:                            ;   in Loop: Header=BB352_426 Depth=1
	s_or_b32 exec_lo, exec_lo, s22
.LBB352_602:                            ;   in Loop: Header=BB352_426 Depth=1
	s_or_b32 exec_lo, exec_lo, s21
.LBB352_603:                            ;   in Loop: Header=BB352_426 Depth=1
	s_or_b32 exec_lo, exec_lo, s18
	s_mov_b32 s18, exec_lo
	v_cmpx_lt_u64_e64 s[4:5], v[17:18]
	s_cbranch_execz .LBB352_611
; %bb.604:                              ;   in Loop: Header=BB352_426 Depth=1
	v_cmp_ne_u32_sdwa s0, v18, v26 src0_sel:BYTE_3 src1_sel:DWORD
	v_bfrev_b32_e32 v20, 1
	s_and_saveexec_b32 s21, s0
	s_cbranch_execz .LBB352_610
; %bb.605:                              ;   in Loop: Header=BB352_426 Depth=1
	v_bfe_u32 v72, v18, 24, 7
	v_mov_b32_e32 v20, 0x7f800001
	s_mov_b32 s22, exec_lo
	v_cmpx_ne_u32_e32 0x7f, v72
	s_cbranch_execz .LBB352_609
; %bb.606:                              ;   in Loop: Header=BB352_426 Depth=1
	v_and_b32_sdwa v9, v18, v34 dst_sel:DWORD dst_unused:UNUSED_PAD src0_sel:BYTE_3 src1_sel:DWORD
	v_lshrrev_b32_e32 v17, 3, v72
	s_mov_b32 s24, exec_lo
	v_cmpx_gt_u32_e32 8, v72
; %bb.607:                              ;   in Loop: Header=BB352_426 Depth=1
	v_ffbh_u32_e32 v17, v9
	v_min_u32_e32 v17, 32, v17
	v_subrev_nc_u32_e32 v20, 28, v17
	v_sub_nc_u32_e32 v17, 29, v17
	v_lshlrev_b64 v[72:73], v20, v[9:10]
	v_and_b32_e32 v9, 7, v72
; %bb.608:                              ;   in Loop: Header=BB352_426 Depth=1
	s_or_b32 exec_lo, exec_lo, s24
	v_lshlrev_b32_sdwa v18, v39, v18 dst_sel:DWORD dst_unused:UNUSED_PAD src0_sel:DWORD src1_sel:BYTE_3
	v_lshlrev_b32_e32 v9, 20, v9
	v_lshl_add_u32 v17, v17, 23, 0x3c000000
	v_and_b32_e32 v18, 0x80000000, v18
	v_or3_b32 v20, v9, v18, v17
.LBB352_609:                            ;   in Loop: Header=BB352_426 Depth=1
	s_or_b32 exec_lo, exec_lo, s22
.LBB352_610:                            ;   in Loop: Header=BB352_426 Depth=1
	s_or_b32 exec_lo, exec_lo, s21
.LBB352_611:                            ;   in Loop: Header=BB352_426 Depth=1
	s_or_b32 exec_lo, exec_lo, s18
	v_mul_f32_e32 v9, s17, v19
	v_mul_f32_e32 v17, s17, v70
	;; [unrolled: 1-line block ×5, first 2 shown]
	v_bfe_u32 v66, v9, 16, 1
	v_or_b32_e32 v69, 0x400000, v9
	v_bfe_u32 v70, v17, 16, 1
	v_cmp_u_f32_e64 s0, v9, v9
	v_or_b32_e32 v72, 0x400000, v17
	v_add3_u32 v66, v66, v9, 0x7fff
	v_bfe_u32 v73, v18, 16, 1
	v_add3_u32 v70, v70, v17, 0x7fff
	v_or_b32_e32 v74, 0x400000, v18
	v_bfe_u32 v75, v19, 16, 1
	v_cndmask_b32_e64 v9, v66, v69, s0
	v_cmp_u_f32_e64 s0, v17, v17
	v_add3_u32 v73, v73, v18, 0x7fff
	v_lshrrev_b32_e32 v66, 16, v9
	v_cndmask_b32_e64 v17, v70, v72, s0
	v_cmp_u_f32_e64 s0, v18, v18
	v_mul_f32_e32 v9, s17, v67
	v_add3_u32 v70, v75, v19, 0x7fff
	v_or_b32_e32 v72, 0x400000, v19
	v_lshrrev_b32_e32 v67, 16, v17
	v_cndmask_b32_e64 v18, v73, v74, s0
	v_bfe_u32 v17, v9, 16, 1
	v_cmp_u_f32_e64 s0, v19, v19
	v_mul_f32_e32 v19, s17, v68
	v_mul_f32_e32 v68, s17, v71
	v_lshrrev_b32_e32 v69, 16, v18
	v_add3_u32 v17, v17, v9, 0x7fff
	v_cndmask_b32_e64 v18, v70, v72, s0
	v_or_b32_e32 v70, 0x400000, v9
	v_bfe_u32 v71, v19, 16, 1
	v_cmp_u_f32_e64 s0, v9, v9
	v_bfe_u32 v72, v68, 16, 1
	v_or_b32_e32 v73, 0x400000, v68
	v_or_b32_e32 v74, 0x400000, v20
	v_cndmask_b32_e64 v9, v17, v70, s0
	v_add3_u32 v70, v71, v19, 0x7fff
	v_or_b32_e32 v71, 0x400000, v19
	v_cmp_u_f32_e64 s0, v19, v19
	v_bfe_u32 v17, v20, 16, 1
	v_add3_u32 v72, v72, v68, 0x7fff
	v_cndmask_b32_e64 v19, v70, v71, s0
	v_cmp_u_f32_e64 s0, v68, v68
	v_add3_u32 v17, v17, v20, 0x7fff
	v_lshrrev_b32_e32 v71, 16, v18
	v_cndmask_b32_e64 v68, v72, v73, s0
	v_cmp_u_f32_e64 s0, v20, v20
	v_lshrrev_b32_e32 v73, 16, v9
	v_lshrrev_b32_e32 v72, 16, v19
	;; [unrolled: 1-line block ×3, first 2 shown]
	v_cndmask_b32_e64 v17, v17, v74, s0
	v_lshrrev_b32_e32 v70, 16, v17
	s_and_saveexec_b32 s18, vcc_lo
	s_cbranch_execz .LBB352_613
; %bb.612:                              ;   in Loop: Header=BB352_426 Depth=1
	v_cmp_gt_i32_e64 s0, s31, v50
	v_cndmask_b32_e64 v72, 0, v72, s0
	v_cmp_gt_i32_e64 s0, s31, v57
	v_cndmask_b32_e64 v73, 0, v73, s0
	;; [unrolled: 2-line block ×8, first 2 shown]
.LBB352_613:                            ;   in Loop: Header=BB352_426 Depth=1
	s_or_b32 exec_lo, exec_lo, s18
	global_load_dwordx2 v[17:18], v[15:16], off offset:768
	v_mov_b32_e32 v75, 0
	v_mov_b32_e32 v76, 0
	s_waitcnt vmcnt(0)
	v_cmp_ne_u16_sdwa s0, v17, v10 src0_sel:BYTE_0 src1_sel:DWORD
	s_and_saveexec_b32 s18, s0
	s_cbranch_execz .LBB352_619
; %bb.614:                              ;   in Loop: Header=BB352_426 Depth=1
	v_cmp_ne_u16_sdwa s0, v17, v26 src0_sel:BYTE_0 src1_sel:DWORD
	v_bfrev_b32_e32 v76, 1
	s_and_saveexec_b32 s21, s0
	s_cbranch_execz .LBB352_618
; %bb.615:                              ;   in Loop: Header=BB352_426 Depth=1
	v_and_b32_e32 v9, 0x7f, v17
	v_mov_b32_e32 v76, 0x7f800001
	s_mov_b32 s22, exec_lo
	v_cmpx_ne_u32_e32 0x7f, v9
	s_cbranch_execz .LBB352_617
; %bb.616:                              ;   in Loop: Header=BB352_426 Depth=1
	v_and_b32_e32 v19, 7, v17
	v_lshrrev_b32_e32 v20, 3, v9
	v_cmp_gt_u32_e64 s0, 8, v9
	v_ffbh_u32_e32 v19, v19
	v_min_u32_e32 v19, 32, v19
	v_subrev_nc_u32_e32 v74, 28, v19
	v_sub_nc_u32_e32 v19, 29, v19
	v_cndmask_b32_e64 v9, v20, v19, s0
	v_cndmask_b32_e64 v19, 0, v74, s0
	v_lshl_add_u32 v9, v9, 23, 0x3c000000
	v_lshlrev_b64 v[19:20], v19, v[17:18]
	v_lshlrev_b32_e32 v20, 24, v17
	v_lshlrev_b32_e32 v19, 20, v19
	v_and_b32_e32 v20, 0x80000000, v20
	v_and_b32_e32 v19, 0x700000, v19
	v_or3_b32 v76, v19, v20, v9
.LBB352_617:                            ;   in Loop: Header=BB352_426 Depth=1
	s_or_b32 exec_lo, exec_lo, s22
.LBB352_618:                            ;   in Loop: Header=BB352_426 Depth=1
	s_or_b32 exec_lo, exec_lo, s21
.LBB352_619:                            ;   in Loop: Header=BB352_426 Depth=1
	s_or_b32 exec_lo, exec_lo, s18
	v_cmp_ne_u16_sdwa s0, v17, v10 src0_sel:BYTE_1 src1_sel:DWORD
	s_and_saveexec_b32 s18, s0
	s_cbranch_execz .LBB352_627
; %bb.620:                              ;   in Loop: Header=BB352_426 Depth=1
	v_cmp_ne_u16_sdwa s0, v17, v26 src0_sel:BYTE_1 src1_sel:DWORD
	v_bfrev_b32_e32 v75, 1
	s_and_saveexec_b32 s21, s0
	s_cbranch_execz .LBB352_626
; %bb.621:                              ;   in Loop: Header=BB352_426 Depth=1
	v_and_b32_sdwa v9, v32, v17 dst_sel:DWORD dst_unused:UNUSED_PAD src0_sel:DWORD src1_sel:BYTE_1
	v_mov_b32_e32 v75, 0x7f800001
	s_mov_b32 s22, exec_lo
	v_and_b32_e32 v20, 0x7f, v9
	v_cmpx_ne_u32_e32 0x7f, v20
	s_cbranch_execz .LBB352_625
; %bb.622:                              ;   in Loop: Header=BB352_426 Depth=1
	v_and_b32_e32 v9, 7, v9
	v_lshrrev_b32_e32 v19, 3, v20
	s_mov_b32 s24, exec_lo
	v_cmpx_gt_u32_e32 8, v20
; %bb.623:                              ;   in Loop: Header=BB352_426 Depth=1
	v_ffbh_u32_e32 v19, v9
	v_min_u32_e32 v19, 32, v19
	v_subrev_nc_u32_e32 v20, 28, v19
	v_sub_nc_u32_e32 v19, 29, v19
	v_lshlrev_b64 v[74:75], v20, v[9:10]
	v_and_b32_e32 v9, 7, v74
; %bb.624:                              ;   in Loop: Header=BB352_426 Depth=1
	s_or_b32 exec_lo, exec_lo, s24
	v_lshlrev_b32_e32 v20, 16, v17
	v_lshlrev_b32_e32 v9, 20, v9
	v_lshl_add_u32 v19, v19, 23, 0x3c000000
	v_and_b32_e32 v20, 0x80000000, v20
	v_or3_b32 v75, v9, v20, v19
.LBB352_625:                            ;   in Loop: Header=BB352_426 Depth=1
	s_or_b32 exec_lo, exec_lo, s22
.LBB352_626:                            ;   in Loop: Header=BB352_426 Depth=1
	s_or_b32 exec_lo, exec_lo, s21
.LBB352_627:                            ;   in Loop: Header=BB352_426 Depth=1
	s_or_b32 exec_lo, exec_lo, s18
	v_and_b32_sdwa v9, v17, v33 dst_sel:DWORD dst_unused:UNUSED_PAD src0_sel:WORD_1 src1_sel:DWORD
	v_mov_b32_e32 v77, 0
	v_mov_b32_e32 v74, 0
	s_mov_b32 s18, exec_lo
	v_cmpx_ne_u16_e32 0, v9
	s_cbranch_execz .LBB352_635
; %bb.628:                              ;   in Loop: Header=BB352_426 Depth=1
	v_bfrev_b32_e32 v74, 1
	s_mov_b32 s21, exec_lo
	v_cmpx_ne_u16_e32 0x80, v9
	s_cbranch_execz .LBB352_634
; %bb.629:                              ;   in Loop: Header=BB352_426 Depth=1
	v_bfe_u32 v20, v17, 16, 7
	v_mov_b32_e32 v74, 0x7f800001
	s_mov_b32 s22, exec_lo
	v_cmpx_ne_u32_e32 0x7f, v20
	s_cbranch_execz .LBB352_633
; %bb.630:                              ;   in Loop: Header=BB352_426 Depth=1
	v_and_b32_sdwa v9, v17, v34 dst_sel:DWORD dst_unused:UNUSED_PAD src0_sel:WORD_1 src1_sel:DWORD
	v_lshrrev_b32_e32 v19, 3, v20
	s_mov_b32 s24, exec_lo
	v_cmpx_gt_u32_e32 8, v20
; %bb.631:                              ;   in Loop: Header=BB352_426 Depth=1
	v_ffbh_u32_e32 v19, v9
	v_min_u32_e32 v19, 32, v19
	v_subrev_nc_u32_e32 v20, 28, v19
	v_sub_nc_u32_e32 v19, 29, v19
	v_lshlrev_b64 v[78:79], v20, v[9:10]
	v_and_b32_e32 v9, 7, v78
; %bb.632:                              ;   in Loop: Header=BB352_426 Depth=1
	s_or_b32 exec_lo, exec_lo, s24
	v_lshlrev_b32_sdwa v20, v39, v17 dst_sel:DWORD dst_unused:UNUSED_PAD src0_sel:DWORD src1_sel:WORD_1
	v_lshlrev_b32_e32 v9, 20, v9
	v_lshl_add_u32 v19, v19, 23, 0x3c000000
	v_and_b32_e32 v20, 0x80000000, v20
	v_or3_b32 v74, v9, v20, v19
.LBB352_633:                            ;   in Loop: Header=BB352_426 Depth=1
	s_or_b32 exec_lo, exec_lo, s22
.LBB352_634:                            ;   in Loop: Header=BB352_426 Depth=1
	s_or_b32 exec_lo, exec_lo, s21
.LBB352_635:                            ;   in Loop: Header=BB352_426 Depth=1
	s_or_b32 exec_lo, exec_lo, s18
	s_mov_b32 s18, exec_lo
	v_cmpx_lt_u32_e32 0xffffff, v17
	s_cbranch_execz .LBB352_643
; %bb.636:                              ;   in Loop: Header=BB352_426 Depth=1
	v_cmp_ne_u32_sdwa s0, v17, v26 src0_sel:BYTE_3 src1_sel:DWORD
	v_bfrev_b32_e32 v77, 1
	s_and_saveexec_b32 s21, s0
	s_cbranch_execz .LBB352_642
; %bb.637:                              ;   in Loop: Header=BB352_426 Depth=1
	v_bfe_u32 v20, v17, 24, 7
	v_mov_b32_e32 v77, 0x7f800001
	s_mov_b32 s22, exec_lo
	v_cmpx_ne_u32_e32 0x7f, v20
	s_cbranch_execz .LBB352_641
; %bb.638:                              ;   in Loop: Header=BB352_426 Depth=1
	v_and_b32_sdwa v9, v17, v34 dst_sel:DWORD dst_unused:UNUSED_PAD src0_sel:BYTE_3 src1_sel:DWORD
	v_lshrrev_b32_e32 v19, 3, v20
	s_mov_b32 s24, exec_lo
	v_cmpx_gt_u32_e32 8, v20
; %bb.639:                              ;   in Loop: Header=BB352_426 Depth=1
	v_ffbh_u32_e32 v19, v9
	v_min_u32_e32 v19, 32, v19
	v_subrev_nc_u32_e32 v20, 28, v19
	v_sub_nc_u32_e32 v19, 29, v19
	v_lshlrev_b64 v[77:78], v20, v[9:10]
	v_and_b32_e32 v9, 7, v77
; %bb.640:                              ;   in Loop: Header=BB352_426 Depth=1
	s_or_b32 exec_lo, exec_lo, s24
	v_lshlrev_b32_sdwa v20, v39, v17 dst_sel:DWORD dst_unused:UNUSED_PAD src0_sel:DWORD src1_sel:BYTE_3
	v_lshlrev_b32_e32 v9, 20, v9
	v_lshl_add_u32 v19, v19, 23, 0x3c000000
	v_and_b32_e32 v20, 0x80000000, v20
	v_or3_b32 v77, v9, v20, v19
.LBB352_641:                            ;   in Loop: Header=BB352_426 Depth=1
	s_or_b32 exec_lo, exec_lo, s22
.LBB352_642:                            ;   in Loop: Header=BB352_426 Depth=1
	s_or_b32 exec_lo, exec_lo, s21
.LBB352_643:                            ;   in Loop: Header=BB352_426 Depth=1
	s_or_b32 exec_lo, exec_lo, s18
	v_mov_b32_e32 v9, v18
	v_cmp_ne_u16_sdwa s0, v18, v10 src0_sel:BYTE_0 src1_sel:DWORD
	v_mov_b32_e32 v19, 0
	v_mov_b32_e32 v78, 0
	s_and_saveexec_b32 s18, s0
	s_cbranch_execz .LBB352_649
; %bb.644:                              ;   in Loop: Header=BB352_426 Depth=1
	v_cmp_ne_u16_sdwa s0, v18, v26 src0_sel:BYTE_0 src1_sel:DWORD
	v_bfrev_b32_e32 v78, 1
	s_and_saveexec_b32 s21, s0
	s_cbranch_execz .LBB352_648
; %bb.645:                              ;   in Loop: Header=BB352_426 Depth=1
	v_and_b32_e32 v20, 0x7f, v18
	v_mov_b32_e32 v78, 0x7f800001
	s_mov_b32 s22, exec_lo
	v_cmpx_ne_u32_e32 0x7f, v20
	s_cbranch_execz .LBB352_647
; %bb.646:                              ;   in Loop: Header=BB352_426 Depth=1
	v_and_b32_e32 v78, 7, v18
	v_lshrrev_b32_e32 v79, 3, v20
	v_cmp_gt_u32_e64 s0, 8, v20
	v_ffbh_u32_e32 v78, v78
	v_min_u32_e32 v78, 32, v78
	v_subrev_nc_u32_e32 v80, 28, v78
	v_sub_nc_u32_e32 v78, 29, v78
	v_cndmask_b32_e64 v20, v79, v78, s0
	v_cndmask_b32_e64 v78, 0, v80, s0
	v_lshl_add_u32 v20, v20, 23, 0x3c000000
	v_lshlrev_b64 v[78:79], v78, v[9:10]
	v_lshlrev_b32_e32 v79, 24, v9
	v_lshlrev_b32_e32 v78, 20, v78
	v_and_b32_e32 v79, 0x80000000, v79
	v_and_b32_e32 v78, 0x700000, v78
	v_or3_b32 v78, v78, v79, v20
.LBB352_647:                            ;   in Loop: Header=BB352_426 Depth=1
	s_or_b32 exec_lo, exec_lo, s22
.LBB352_648:                            ;   in Loop: Header=BB352_426 Depth=1
	s_or_b32 exec_lo, exec_lo, s21
.LBB352_649:                            ;   in Loop: Header=BB352_426 Depth=1
	s_or_b32 exec_lo, exec_lo, s18
	v_cmp_ne_u16_sdwa s0, v9, v10 src0_sel:BYTE_1 src1_sel:DWORD
	s_and_saveexec_b32 s18, s0
	s_cbranch_execz .LBB352_657
; %bb.650:                              ;   in Loop: Header=BB352_426 Depth=1
	v_cmp_ne_u16_sdwa s0, v9, v26 src0_sel:BYTE_1 src1_sel:DWORD
	v_bfrev_b32_e32 v19, 1
	s_and_saveexec_b32 s21, s0
	s_cbranch_execz .LBB352_656
; %bb.651:                              ;   in Loop: Header=BB352_426 Depth=1
	v_and_b32_sdwa v20, v32, v9 dst_sel:DWORD dst_unused:UNUSED_PAD src0_sel:DWORD src1_sel:BYTE_1
	v_mov_b32_e32 v19, 0x7f800001
	s_mov_b32 s22, exec_lo
	v_and_b32_e32 v80, 0x7f, v20
	v_cmpx_ne_u32_e32 0x7f, v80
	s_cbranch_execz .LBB352_655
; %bb.652:                              ;   in Loop: Header=BB352_426 Depth=1
	v_and_b32_e32 v19, 7, v20
	v_mov_b32_e32 v20, v10
	v_lshrrev_b32_e32 v79, 3, v80
	s_mov_b32 s24, exec_lo
	v_cmpx_gt_u32_e32 8, v80
; %bb.653:                              ;   in Loop: Header=BB352_426 Depth=1
	v_ffbh_u32_e32 v79, v19
	v_min_u32_e32 v79, 32, v79
	v_subrev_nc_u32_e32 v80, 28, v79
	v_sub_nc_u32_e32 v79, 29, v79
	v_lshlrev_b64 v[19:20], v80, v[19:20]
	v_and_b32_e32 v19, 7, v19
; %bb.654:                              ;   in Loop: Header=BB352_426 Depth=1
	s_or_b32 exec_lo, exec_lo, s24
	v_lshlrev_b32_e32 v9, 16, v9
	v_lshlrev_b32_e32 v19, 20, v19
	v_lshl_add_u32 v20, v79, 23, 0x3c000000
	v_and_b32_e32 v9, 0x80000000, v9
	v_or3_b32 v19, v19, v9, v20
.LBB352_655:                            ;   in Loop: Header=BB352_426 Depth=1
	s_or_b32 exec_lo, exec_lo, s22
.LBB352_656:                            ;   in Loop: Header=BB352_426 Depth=1
	s_or_b32 exec_lo, exec_lo, s21
.LBB352_657:                            ;   in Loop: Header=BB352_426 Depth=1
	s_or_b32 exec_lo, exec_lo, s18
	v_and_b32_sdwa v9, v18, v33 dst_sel:DWORD dst_unused:UNUSED_PAD src0_sel:WORD_1 src1_sel:DWORD
	v_mov_b32_e32 v20, 0
	v_mov_b32_e32 v79, 0
	s_mov_b32 s18, exec_lo
	v_cmpx_ne_u16_e32 0, v9
	s_cbranch_execz .LBB352_665
; %bb.658:                              ;   in Loop: Header=BB352_426 Depth=1
	v_bfrev_b32_e32 v79, 1
	s_mov_b32 s21, exec_lo
	v_cmpx_ne_u16_e32 0x80, v9
	s_cbranch_execz .LBB352_664
; %bb.659:                              ;   in Loop: Header=BB352_426 Depth=1
	v_bfe_u32 v80, v18, 16, 7
	v_mov_b32_e32 v79, 0x7f800001
	s_mov_b32 s22, exec_lo
	v_cmpx_ne_u32_e32 0x7f, v80
	s_cbranch_execz .LBB352_663
; %bb.660:                              ;   in Loop: Header=BB352_426 Depth=1
	v_and_b32_sdwa v9, v18, v34 dst_sel:DWORD dst_unused:UNUSED_PAD src0_sel:WORD_1 src1_sel:DWORD
	v_lshrrev_b32_e32 v79, 3, v80
	s_mov_b32 s24, exec_lo
	v_cmpx_gt_u32_e32 8, v80
; %bb.661:                              ;   in Loop: Header=BB352_426 Depth=1
	v_ffbh_u32_e32 v79, v9
	v_min_u32_e32 v79, 32, v79
	v_subrev_nc_u32_e32 v80, 28, v79
	v_sub_nc_u32_e32 v79, 29, v79
	v_lshlrev_b64 v[80:81], v80, v[9:10]
	v_and_b32_e32 v9, 7, v80
; %bb.662:                              ;   in Loop: Header=BB352_426 Depth=1
	s_or_b32 exec_lo, exec_lo, s24
	v_lshlrev_b32_sdwa v80, v39, v18 dst_sel:DWORD dst_unused:UNUSED_PAD src0_sel:DWORD src1_sel:WORD_1
	v_lshlrev_b32_e32 v9, 20, v9
	v_lshl_add_u32 v79, v79, 23, 0x3c000000
	v_and_b32_e32 v80, 0x80000000, v80
	v_or3_b32 v79, v9, v80, v79
.LBB352_663:                            ;   in Loop: Header=BB352_426 Depth=1
	s_or_b32 exec_lo, exec_lo, s22
.LBB352_664:                            ;   in Loop: Header=BB352_426 Depth=1
	s_or_b32 exec_lo, exec_lo, s21
.LBB352_665:                            ;   in Loop: Header=BB352_426 Depth=1
	s_or_b32 exec_lo, exec_lo, s18
	s_mov_b32 s18, exec_lo
	v_cmpx_lt_u64_e64 s[4:5], v[17:18]
	s_cbranch_execz .LBB352_673
; %bb.666:                              ;   in Loop: Header=BB352_426 Depth=1
	v_cmp_ne_u32_sdwa s0, v18, v26 src0_sel:BYTE_3 src1_sel:DWORD
	v_bfrev_b32_e32 v20, 1
	s_and_saveexec_b32 s21, s0
	s_cbranch_execz .LBB352_672
; %bb.667:                              ;   in Loop: Header=BB352_426 Depth=1
	v_bfe_u32 v80, v18, 24, 7
	v_mov_b32_e32 v20, 0x7f800001
	s_mov_b32 s22, exec_lo
	v_cmpx_ne_u32_e32 0x7f, v80
	s_cbranch_execz .LBB352_671
; %bb.668:                              ;   in Loop: Header=BB352_426 Depth=1
	v_and_b32_sdwa v9, v18, v34 dst_sel:DWORD dst_unused:UNUSED_PAD src0_sel:BYTE_3 src1_sel:DWORD
	v_lshrrev_b32_e32 v17, 3, v80
	s_mov_b32 s24, exec_lo
	v_cmpx_gt_u32_e32 8, v80
; %bb.669:                              ;   in Loop: Header=BB352_426 Depth=1
	v_ffbh_u32_e32 v17, v9
	v_min_u32_e32 v17, 32, v17
	v_subrev_nc_u32_e32 v20, 28, v17
	v_sub_nc_u32_e32 v17, 29, v17
	v_lshlrev_b64 v[80:81], v20, v[9:10]
	v_and_b32_e32 v9, 7, v80
; %bb.670:                              ;   in Loop: Header=BB352_426 Depth=1
	s_or_b32 exec_lo, exec_lo, s24
	v_lshlrev_b32_sdwa v18, v39, v18 dst_sel:DWORD dst_unused:UNUSED_PAD src0_sel:DWORD src1_sel:BYTE_3
	v_lshlrev_b32_e32 v9, 20, v9
	v_lshl_add_u32 v17, v17, 23, 0x3c000000
	v_and_b32_e32 v18, 0x80000000, v18
	v_or3_b32 v20, v9, v18, v17
.LBB352_671:                            ;   in Loop: Header=BB352_426 Depth=1
	s_or_b32 exec_lo, exec_lo, s22
.LBB352_672:                            ;   in Loop: Header=BB352_426 Depth=1
	s_or_b32 exec_lo, exec_lo, s21
.LBB352_673:                            ;   in Loop: Header=BB352_426 Depth=1
	s_or_b32 exec_lo, exec_lo, s18
	v_mul_f32_e32 v9, s17, v19
	v_mul_f32_e32 v17, s17, v78
	v_mul_f32_e32 v19, s17, v74
	v_mul_f32_e32 v18, s17, v77
	v_mul_f32_e32 v20, s17, v20
	v_bfe_u32 v74, v9, 16, 1
	v_or_b32_e32 v77, 0x400000, v9
	v_bfe_u32 v78, v17, 16, 1
	v_cmp_u_f32_e64 s0, v9, v9
	v_or_b32_e32 v80, 0x400000, v17
	v_add3_u32 v74, v74, v9, 0x7fff
	v_bfe_u32 v81, v18, 16, 1
	v_add3_u32 v78, v78, v17, 0x7fff
	v_or_b32_e32 v82, 0x400000, v18
	v_bfe_u32 v83, v19, 16, 1
	v_cndmask_b32_e64 v9, v74, v77, s0
	v_cmp_u_f32_e64 s0, v17, v17
	v_add3_u32 v81, v81, v18, 0x7fff
	v_lshrrev_b32_e32 v74, 16, v9
	v_cndmask_b32_e64 v17, v78, v80, s0
	v_cmp_u_f32_e64 s0, v18, v18
	v_mul_f32_e32 v9, s17, v75
	v_add3_u32 v78, v83, v19, 0x7fff
	v_or_b32_e32 v80, 0x400000, v19
	v_lshrrev_b32_e32 v75, 16, v17
	v_cndmask_b32_e64 v18, v81, v82, s0
	v_bfe_u32 v17, v9, 16, 1
	v_cmp_u_f32_e64 s0, v19, v19
	v_mul_f32_e32 v19, s17, v76
	v_mul_f32_e32 v76, s17, v79
	v_lshrrev_b32_e32 v77, 16, v18
	v_add3_u32 v17, v17, v9, 0x7fff
	v_cndmask_b32_e64 v18, v78, v80, s0
	v_or_b32_e32 v78, 0x400000, v9
	v_bfe_u32 v79, v19, 16, 1
	v_cmp_u_f32_e64 s0, v9, v9
	v_bfe_u32 v80, v76, 16, 1
	v_or_b32_e32 v81, 0x400000, v76
	v_or_b32_e32 v82, 0x400000, v20
	v_cndmask_b32_e64 v9, v17, v78, s0
	v_add3_u32 v78, v79, v19, 0x7fff
	v_or_b32_e32 v79, 0x400000, v19
	v_cmp_u_f32_e64 s0, v19, v19
	v_bfe_u32 v17, v20, 16, 1
	v_add3_u32 v80, v80, v76, 0x7fff
	v_cndmask_b32_e64 v19, v78, v79, s0
	v_cmp_u_f32_e64 s0, v76, v76
	v_add3_u32 v17, v17, v20, 0x7fff
	v_lshrrev_b32_e32 v79, 16, v18
	v_cndmask_b32_e64 v76, v80, v81, s0
	v_cmp_u_f32_e64 s0, v20, v20
	v_lshrrev_b32_e32 v81, 16, v9
	v_lshrrev_b32_e32 v80, 16, v19
	;; [unrolled: 1-line block ×3, first 2 shown]
	v_cndmask_b32_e64 v17, v17, v82, s0
	v_lshrrev_b32_e32 v78, 16, v17
	s_and_saveexec_b32 s18, vcc_lo
	s_cbranch_execz .LBB352_675
; %bb.674:                              ;   in Loop: Header=BB352_426 Depth=1
	v_cmp_gt_i32_e64 s0, s31, v50
	v_cndmask_b32_e64 v80, 0, v80, s0
	v_cmp_gt_i32_e64 s0, s31, v57
	v_cndmask_b32_e64 v81, 0, v81, s0
	;; [unrolled: 2-line block ×8, first 2 shown]
.LBB352_675:                            ;   in Loop: Header=BB352_426 Depth=1
	s_or_b32 exec_lo, exec_lo, s18
	global_load_dwordx2 v[17:18], v[15:16], off offset:1024
	v_mov_b32_e32 v83, 0
	v_mov_b32_e32 v82, 0
	s_waitcnt vmcnt(0)
	v_cmp_ne_u16_sdwa s0, v17, v10 src0_sel:BYTE_0 src1_sel:DWORD
	s_and_saveexec_b32 s18, s0
	s_cbranch_execz .LBB352_681
; %bb.676:                              ;   in Loop: Header=BB352_426 Depth=1
	v_cmp_ne_u16_sdwa s0, v17, v26 src0_sel:BYTE_0 src1_sel:DWORD
	v_bfrev_b32_e32 v82, 1
	s_and_saveexec_b32 s21, s0
	s_cbranch_execz .LBB352_680
; %bb.677:                              ;   in Loop: Header=BB352_426 Depth=1
	v_and_b32_e32 v9, 0x7f, v17
	v_mov_b32_e32 v82, 0x7f800001
	s_mov_b32 s22, exec_lo
	v_cmpx_ne_u32_e32 0x7f, v9
	s_cbranch_execz .LBB352_679
; %bb.678:                              ;   in Loop: Header=BB352_426 Depth=1
	v_and_b32_e32 v19, 7, v17
	v_lshrrev_b32_e32 v20, 3, v9
	v_cmp_gt_u32_e64 s0, 8, v9
	v_ffbh_u32_e32 v19, v19
	v_min_u32_e32 v19, 32, v19
	v_subrev_nc_u32_e32 v82, 28, v19
	v_sub_nc_u32_e32 v19, 29, v19
	v_cndmask_b32_e64 v9, v20, v19, s0
	v_cndmask_b32_e64 v19, 0, v82, s0
	v_lshl_add_u32 v9, v9, 23, 0x3c000000
	v_lshlrev_b64 v[19:20], v19, v[17:18]
	v_lshlrev_b32_e32 v20, 24, v17
	v_lshlrev_b32_e32 v19, 20, v19
	v_and_b32_e32 v20, 0x80000000, v20
	v_and_b32_e32 v19, 0x700000, v19
	v_or3_b32 v82, v19, v20, v9
.LBB352_679:                            ;   in Loop: Header=BB352_426 Depth=1
	s_or_b32 exec_lo, exec_lo, s22
.LBB352_680:                            ;   in Loop: Header=BB352_426 Depth=1
	s_or_b32 exec_lo, exec_lo, s21
.LBB352_681:                            ;   in Loop: Header=BB352_426 Depth=1
	s_or_b32 exec_lo, exec_lo, s18
	v_cmp_ne_u16_sdwa s0, v17, v10 src0_sel:BYTE_1 src1_sel:DWORD
	s_and_saveexec_b32 s18, s0
	s_cbranch_execz .LBB352_689
; %bb.682:                              ;   in Loop: Header=BB352_426 Depth=1
	v_cmp_ne_u16_sdwa s0, v17, v26 src0_sel:BYTE_1 src1_sel:DWORD
	v_bfrev_b32_e32 v83, 1
	s_and_saveexec_b32 s21, s0
	s_cbranch_execz .LBB352_688
; %bb.683:                              ;   in Loop: Header=BB352_426 Depth=1
	v_and_b32_sdwa v9, v32, v17 dst_sel:DWORD dst_unused:UNUSED_PAD src0_sel:DWORD src1_sel:BYTE_1
	v_mov_b32_e32 v83, 0x7f800001
	s_mov_b32 s22, exec_lo
	v_and_b32_e32 v20, 0x7f, v9
	v_cmpx_ne_u32_e32 0x7f, v20
	s_cbranch_execz .LBB352_687
; %bb.684:                              ;   in Loop: Header=BB352_426 Depth=1
	v_and_b32_e32 v9, 7, v9
	v_lshrrev_b32_e32 v19, 3, v20
	s_mov_b32 s24, exec_lo
	v_cmpx_gt_u32_e32 8, v20
; %bb.685:                              ;   in Loop: Header=BB352_426 Depth=1
	v_ffbh_u32_e32 v19, v9
	v_min_u32_e32 v19, 32, v19
	v_subrev_nc_u32_e32 v20, 28, v19
	v_sub_nc_u32_e32 v19, 29, v19
	v_lshlrev_b64 v[83:84], v20, v[9:10]
	v_and_b32_e32 v9, 7, v83
; %bb.686:                              ;   in Loop: Header=BB352_426 Depth=1
	s_or_b32 exec_lo, exec_lo, s24
	v_lshlrev_b32_e32 v20, 16, v17
	v_lshlrev_b32_e32 v9, 20, v9
	v_lshl_add_u32 v19, v19, 23, 0x3c000000
	v_and_b32_e32 v20, 0x80000000, v20
	v_or3_b32 v83, v9, v20, v19
.LBB352_687:                            ;   in Loop: Header=BB352_426 Depth=1
	s_or_b32 exec_lo, exec_lo, s22
.LBB352_688:                            ;   in Loop: Header=BB352_426 Depth=1
	s_or_b32 exec_lo, exec_lo, s21
.LBB352_689:                            ;   in Loop: Header=BB352_426 Depth=1
	s_or_b32 exec_lo, exec_lo, s18
	v_and_b32_sdwa v9, v17, v33 dst_sel:DWORD dst_unused:UNUSED_PAD src0_sel:WORD_1 src1_sel:DWORD
	v_mov_b32_e32 v85, 0
	v_mov_b32_e32 v84, 0
	s_mov_b32 s18, exec_lo
	v_cmpx_ne_u16_e32 0, v9
	s_cbranch_execz .LBB352_697
; %bb.690:                              ;   in Loop: Header=BB352_426 Depth=1
	v_bfrev_b32_e32 v84, 1
	s_mov_b32 s21, exec_lo
	v_cmpx_ne_u16_e32 0x80, v9
	s_cbranch_execz .LBB352_696
; %bb.691:                              ;   in Loop: Header=BB352_426 Depth=1
	v_bfe_u32 v20, v17, 16, 7
	v_mov_b32_e32 v84, 0x7f800001
	s_mov_b32 s22, exec_lo
	v_cmpx_ne_u32_e32 0x7f, v20
	s_cbranch_execz .LBB352_695
; %bb.692:                              ;   in Loop: Header=BB352_426 Depth=1
	v_and_b32_sdwa v9, v17, v34 dst_sel:DWORD dst_unused:UNUSED_PAD src0_sel:WORD_1 src1_sel:DWORD
	v_lshrrev_b32_e32 v19, 3, v20
	s_mov_b32 s24, exec_lo
	v_cmpx_gt_u32_e32 8, v20
; %bb.693:                              ;   in Loop: Header=BB352_426 Depth=1
	v_ffbh_u32_e32 v19, v9
	v_min_u32_e32 v19, 32, v19
	v_subrev_nc_u32_e32 v20, 28, v19
	v_sub_nc_u32_e32 v19, 29, v19
	v_lshlrev_b64 v[86:87], v20, v[9:10]
	v_and_b32_e32 v9, 7, v86
; %bb.694:                              ;   in Loop: Header=BB352_426 Depth=1
	s_or_b32 exec_lo, exec_lo, s24
	v_lshlrev_b32_sdwa v20, v39, v17 dst_sel:DWORD dst_unused:UNUSED_PAD src0_sel:DWORD src1_sel:WORD_1
	v_lshlrev_b32_e32 v9, 20, v9
	v_lshl_add_u32 v19, v19, 23, 0x3c000000
	v_and_b32_e32 v20, 0x80000000, v20
	v_or3_b32 v84, v9, v20, v19
.LBB352_695:                            ;   in Loop: Header=BB352_426 Depth=1
	s_or_b32 exec_lo, exec_lo, s22
.LBB352_696:                            ;   in Loop: Header=BB352_426 Depth=1
	s_or_b32 exec_lo, exec_lo, s21
.LBB352_697:                            ;   in Loop: Header=BB352_426 Depth=1
	s_or_b32 exec_lo, exec_lo, s18
	s_mov_b32 s18, exec_lo
	v_cmpx_lt_u32_e32 0xffffff, v17
	s_cbranch_execz .LBB352_705
; %bb.698:                              ;   in Loop: Header=BB352_426 Depth=1
	v_cmp_ne_u32_sdwa s0, v17, v26 src0_sel:BYTE_3 src1_sel:DWORD
	v_bfrev_b32_e32 v85, 1
	s_and_saveexec_b32 s21, s0
	s_cbranch_execz .LBB352_704
; %bb.699:                              ;   in Loop: Header=BB352_426 Depth=1
	v_bfe_u32 v20, v17, 24, 7
	v_mov_b32_e32 v85, 0x7f800001
	s_mov_b32 s22, exec_lo
	v_cmpx_ne_u32_e32 0x7f, v20
	s_cbranch_execz .LBB352_703
; %bb.700:                              ;   in Loop: Header=BB352_426 Depth=1
	v_and_b32_sdwa v9, v17, v34 dst_sel:DWORD dst_unused:UNUSED_PAD src0_sel:BYTE_3 src1_sel:DWORD
	v_lshrrev_b32_e32 v19, 3, v20
	s_mov_b32 s24, exec_lo
	v_cmpx_gt_u32_e32 8, v20
; %bb.701:                              ;   in Loop: Header=BB352_426 Depth=1
	v_ffbh_u32_e32 v19, v9
	v_min_u32_e32 v19, 32, v19
	v_subrev_nc_u32_e32 v20, 28, v19
	v_sub_nc_u32_e32 v19, 29, v19
	v_lshlrev_b64 v[85:86], v20, v[9:10]
	v_and_b32_e32 v9, 7, v85
; %bb.702:                              ;   in Loop: Header=BB352_426 Depth=1
	s_or_b32 exec_lo, exec_lo, s24
	v_lshlrev_b32_sdwa v20, v39, v17 dst_sel:DWORD dst_unused:UNUSED_PAD src0_sel:DWORD src1_sel:BYTE_3
	v_lshlrev_b32_e32 v9, 20, v9
	v_lshl_add_u32 v19, v19, 23, 0x3c000000
	v_and_b32_e32 v20, 0x80000000, v20
	v_or3_b32 v85, v9, v20, v19
.LBB352_703:                            ;   in Loop: Header=BB352_426 Depth=1
	s_or_b32 exec_lo, exec_lo, s22
.LBB352_704:                            ;   in Loop: Header=BB352_426 Depth=1
	s_or_b32 exec_lo, exec_lo, s21
.LBB352_705:                            ;   in Loop: Header=BB352_426 Depth=1
	s_or_b32 exec_lo, exec_lo, s18
	v_mov_b32_e32 v9, v18
	v_cmp_ne_u16_sdwa s0, v18, v10 src0_sel:BYTE_0 src1_sel:DWORD
	v_mov_b32_e32 v19, 0
	v_mov_b32_e32 v86, 0
	s_and_saveexec_b32 s18, s0
	s_cbranch_execz .LBB352_711
; %bb.706:                              ;   in Loop: Header=BB352_426 Depth=1
	v_cmp_ne_u16_sdwa s0, v18, v26 src0_sel:BYTE_0 src1_sel:DWORD
	v_bfrev_b32_e32 v86, 1
	s_and_saveexec_b32 s21, s0
	s_cbranch_execz .LBB352_710
; %bb.707:                              ;   in Loop: Header=BB352_426 Depth=1
	v_and_b32_e32 v20, 0x7f, v18
	v_mov_b32_e32 v86, 0x7f800001
	s_mov_b32 s22, exec_lo
	v_cmpx_ne_u32_e32 0x7f, v20
	s_cbranch_execz .LBB352_709
; %bb.708:                              ;   in Loop: Header=BB352_426 Depth=1
	v_and_b32_e32 v86, 7, v18
	v_lshrrev_b32_e32 v87, 3, v20
	v_cmp_gt_u32_e64 s0, 8, v20
	v_ffbh_u32_e32 v86, v86
	v_min_u32_e32 v86, 32, v86
	v_subrev_nc_u32_e32 v88, 28, v86
	v_sub_nc_u32_e32 v86, 29, v86
	v_cndmask_b32_e64 v20, v87, v86, s0
	v_cndmask_b32_e64 v86, 0, v88, s0
	v_lshl_add_u32 v20, v20, 23, 0x3c000000
	v_lshlrev_b64 v[86:87], v86, v[9:10]
	v_lshlrev_b32_e32 v87, 24, v9
	v_lshlrev_b32_e32 v86, 20, v86
	v_and_b32_e32 v87, 0x80000000, v87
	v_and_b32_e32 v86, 0x700000, v86
	v_or3_b32 v86, v86, v87, v20
.LBB352_709:                            ;   in Loop: Header=BB352_426 Depth=1
	s_or_b32 exec_lo, exec_lo, s22
.LBB352_710:                            ;   in Loop: Header=BB352_426 Depth=1
	s_or_b32 exec_lo, exec_lo, s21
.LBB352_711:                            ;   in Loop: Header=BB352_426 Depth=1
	s_or_b32 exec_lo, exec_lo, s18
	v_cmp_ne_u16_sdwa s0, v9, v10 src0_sel:BYTE_1 src1_sel:DWORD
	s_and_saveexec_b32 s18, s0
	s_cbranch_execz .LBB352_719
; %bb.712:                              ;   in Loop: Header=BB352_426 Depth=1
	v_cmp_ne_u16_sdwa s0, v9, v26 src0_sel:BYTE_1 src1_sel:DWORD
	v_bfrev_b32_e32 v19, 1
	s_and_saveexec_b32 s21, s0
	s_cbranch_execz .LBB352_718
; %bb.713:                              ;   in Loop: Header=BB352_426 Depth=1
	v_and_b32_sdwa v20, v32, v9 dst_sel:DWORD dst_unused:UNUSED_PAD src0_sel:DWORD src1_sel:BYTE_1
	v_mov_b32_e32 v19, 0x7f800001
	s_mov_b32 s22, exec_lo
	v_and_b32_e32 v88, 0x7f, v20
	v_cmpx_ne_u32_e32 0x7f, v88
	s_cbranch_execz .LBB352_717
; %bb.714:                              ;   in Loop: Header=BB352_426 Depth=1
	v_and_b32_e32 v19, 7, v20
	v_mov_b32_e32 v20, v10
	v_lshrrev_b32_e32 v87, 3, v88
	s_mov_b32 s24, exec_lo
	v_cmpx_gt_u32_e32 8, v88
; %bb.715:                              ;   in Loop: Header=BB352_426 Depth=1
	v_ffbh_u32_e32 v87, v19
	v_min_u32_e32 v87, 32, v87
	v_subrev_nc_u32_e32 v88, 28, v87
	v_sub_nc_u32_e32 v87, 29, v87
	v_lshlrev_b64 v[19:20], v88, v[19:20]
	v_and_b32_e32 v19, 7, v19
; %bb.716:                              ;   in Loop: Header=BB352_426 Depth=1
	s_or_b32 exec_lo, exec_lo, s24
	v_lshlrev_b32_e32 v9, 16, v9
	v_lshlrev_b32_e32 v19, 20, v19
	v_lshl_add_u32 v20, v87, 23, 0x3c000000
	v_and_b32_e32 v9, 0x80000000, v9
	v_or3_b32 v19, v19, v9, v20
.LBB352_717:                            ;   in Loop: Header=BB352_426 Depth=1
	s_or_b32 exec_lo, exec_lo, s22
.LBB352_718:                            ;   in Loop: Header=BB352_426 Depth=1
	s_or_b32 exec_lo, exec_lo, s21
.LBB352_719:                            ;   in Loop: Header=BB352_426 Depth=1
	s_or_b32 exec_lo, exec_lo, s18
	v_and_b32_sdwa v9, v18, v33 dst_sel:DWORD dst_unused:UNUSED_PAD src0_sel:WORD_1 src1_sel:DWORD
	v_mov_b32_e32 v87, 0
	v_mov_b32_e32 v88, 0
	s_mov_b32 s18, exec_lo
	v_cmpx_ne_u16_e32 0, v9
	s_cbranch_execz .LBB352_727
; %bb.720:                              ;   in Loop: Header=BB352_426 Depth=1
	v_bfrev_b32_e32 v88, 1
	s_mov_b32 s21, exec_lo
	v_cmpx_ne_u16_e32 0x80, v9
	s_cbranch_execz .LBB352_726
; %bb.721:                              ;   in Loop: Header=BB352_426 Depth=1
	v_bfe_u32 v89, v18, 16, 7
	v_mov_b32_e32 v88, 0x7f800001
	s_mov_b32 s22, exec_lo
	v_cmpx_ne_u32_e32 0x7f, v89
	s_cbranch_execz .LBB352_725
; %bb.722:                              ;   in Loop: Header=BB352_426 Depth=1
	v_and_b32_sdwa v9, v18, v34 dst_sel:DWORD dst_unused:UNUSED_PAD src0_sel:WORD_1 src1_sel:DWORD
	v_lshrrev_b32_e32 v20, 3, v89
	s_mov_b32 s24, exec_lo
	v_cmpx_gt_u32_e32 8, v89
; %bb.723:                              ;   in Loop: Header=BB352_426 Depth=1
	v_ffbh_u32_e32 v20, v9
	v_min_u32_e32 v20, 32, v20
	v_subrev_nc_u32_e32 v88, 28, v20
	v_sub_nc_u32_e32 v20, 29, v20
	v_lshlrev_b64 v[88:89], v88, v[9:10]
	v_and_b32_e32 v9, 7, v88
; %bb.724:                              ;   in Loop: Header=BB352_426 Depth=1
	s_or_b32 exec_lo, exec_lo, s24
	v_lshlrev_b32_sdwa v88, v39, v18 dst_sel:DWORD dst_unused:UNUSED_PAD src0_sel:DWORD src1_sel:WORD_1
	v_lshlrev_b32_e32 v9, 20, v9
	v_lshl_add_u32 v20, v20, 23, 0x3c000000
	v_and_b32_e32 v88, 0x80000000, v88
	v_or3_b32 v88, v9, v88, v20
.LBB352_725:                            ;   in Loop: Header=BB352_426 Depth=1
	s_or_b32 exec_lo, exec_lo, s22
.LBB352_726:                            ;   in Loop: Header=BB352_426 Depth=1
	s_or_b32 exec_lo, exec_lo, s21
.LBB352_727:                            ;   in Loop: Header=BB352_426 Depth=1
	s_or_b32 exec_lo, exec_lo, s18
	s_mov_b32 s18, exec_lo
	v_cmpx_lt_u64_e64 s[4:5], v[17:18]
	s_cbranch_execz .LBB352_735
; %bb.728:                              ;   in Loop: Header=BB352_426 Depth=1
	v_cmp_ne_u32_sdwa s0, v18, v26 src0_sel:BYTE_3 src1_sel:DWORD
	v_bfrev_b32_e32 v87, 1
	s_and_saveexec_b32 s21, s0
	s_cbranch_execz .LBB352_734
; %bb.729:                              ;   in Loop: Header=BB352_426 Depth=1
	v_bfe_u32 v20, v18, 24, 7
	v_mov_b32_e32 v87, 0x7f800001
	s_mov_b32 s22, exec_lo
	v_cmpx_ne_u32_e32 0x7f, v20
	s_cbranch_execz .LBB352_733
; %bb.730:                              ;   in Loop: Header=BB352_426 Depth=1
	v_and_b32_sdwa v9, v18, v34 dst_sel:DWORD dst_unused:UNUSED_PAD src0_sel:BYTE_3 src1_sel:DWORD
	v_lshrrev_b32_e32 v17, 3, v20
	s_mov_b32 s24, exec_lo
	v_cmpx_gt_u32_e32 8, v20
; %bb.731:                              ;   in Loop: Header=BB352_426 Depth=1
	v_ffbh_u32_e32 v17, v9
	v_min_u32_e32 v17, 32, v17
	v_subrev_nc_u32_e32 v20, 28, v17
	v_sub_nc_u32_e32 v17, 29, v17
	v_lshlrev_b64 v[89:90], v20, v[9:10]
	v_and_b32_e32 v9, 7, v89
; %bb.732:                              ;   in Loop: Header=BB352_426 Depth=1
	s_or_b32 exec_lo, exec_lo, s24
	v_lshlrev_b32_sdwa v18, v39, v18 dst_sel:DWORD dst_unused:UNUSED_PAD src0_sel:DWORD src1_sel:BYTE_3
	v_lshlrev_b32_e32 v9, 20, v9
	v_lshl_add_u32 v17, v17, 23, 0x3c000000
	v_and_b32_e32 v18, 0x80000000, v18
	v_or3_b32 v87, v9, v18, v17
.LBB352_733:                            ;   in Loop: Header=BB352_426 Depth=1
	s_or_b32 exec_lo, exec_lo, s22
.LBB352_734:                            ;   in Loop: Header=BB352_426 Depth=1
	s_or_b32 exec_lo, exec_lo, s21
.LBB352_735:                            ;   in Loop: Header=BB352_426 Depth=1
	s_or_b32 exec_lo, exec_lo, s18
	v_mul_f32_e32 v9, s17, v19
	v_mul_f32_e32 v17, s17, v86
	;; [unrolled: 1-line block ×5, first 2 shown]
	v_bfe_u32 v19, v9, 16, 1
	v_or_b32_e32 v20, 0x400000, v9
	v_bfe_u32 v84, v17, 16, 1
	v_cmp_u_f32_e64 s0, v9, v9
	v_or_b32_e32 v86, 0x400000, v17
	v_add3_u32 v19, v19, v9, 0x7fff
	v_bfe_u32 v89, v18, 16, 1
	v_add3_u32 v84, v84, v17, 0x7fff
	v_or_b32_e32 v90, 0x400000, v18
	v_bfe_u32 v91, v85, 16, 1
	v_cndmask_b32_e64 v9, v19, v20, s0
	v_cmp_u_f32_e64 s0, v17, v17
	v_add3_u32 v89, v89, v18, 0x7fff
	v_lshrrev_b32_e32 v20, 16, v9
	v_cndmask_b32_e64 v17, v84, v86, s0
	v_cmp_u_f32_e64 s0, v18, v18
	v_mul_f32_e32 v9, s17, v83
	v_add3_u32 v83, v91, v85, 0x7fff
	v_or_b32_e32 v86, 0x400000, v85
	v_lshrrev_b32_e32 v19, 16, v17
	v_cndmask_b32_e64 v18, v89, v90, s0
	v_bfe_u32 v17, v9, 16, 1
	v_cmp_u_f32_e64 s0, v85, v85
	v_or_b32_e32 v85, 0x400000, v9
	v_lshrrev_b32_e32 v84, 16, v18
	v_add3_u32 v17, v17, v9, 0x7fff
	v_cndmask_b32_e64 v18, v83, v86, s0
	v_mul_f32_e32 v83, s17, v88
	v_mul_f32_e32 v86, s17, v87
	v_bfe_u32 v87, v82, 16, 1
	v_cmp_u_f32_e64 s0, v9, v9
	v_bfe_u32 v88, v83, 16, 1
	v_or_b32_e32 v89, 0x400000, v83
	v_or_b32_e32 v90, 0x400000, v86
	v_cndmask_b32_e64 v9, v17, v85, s0
	v_add3_u32 v85, v87, v82, 0x7fff
	v_or_b32_e32 v87, 0x400000, v82
	v_cmp_u_f32_e64 s0, v82, v82
	v_bfe_u32 v17, v86, 16, 1
	v_add3_u32 v88, v88, v83, 0x7fff
	v_cndmask_b32_e64 v82, v85, v87, s0
	v_cmp_u_f32_e64 s0, v83, v83
	v_add3_u32 v17, v17, v86, 0x7fff
	v_lshrrev_b32_e32 v85, 16, v18
	v_lshrrev_b32_e32 v87, 16, v9
	v_cndmask_b32_e64 v83, v88, v89, s0
	v_cmp_u_f32_e64 s0, v86, v86
	v_lshrrev_b32_e32 v86, 16, v82
	v_lshrrev_b32_e32 v82, 16, v83
	v_cndmask_b32_e64 v17, v17, v90, s0
	v_lshrrev_b32_e32 v83, 16, v17
	s_and_saveexec_b32 s18, vcc_lo
	s_cbranch_execz .LBB352_737
; %bb.736:                              ;   in Loop: Header=BB352_426 Depth=1
	v_cmp_gt_i32_e64 s0, s31, v50
	v_cndmask_b32_e64 v86, 0, v86, s0
	v_cmp_gt_i32_e64 s0, s31, v57
	v_cndmask_b32_e64 v87, 0, v87, s0
	;; [unrolled: 2-line block ×8, first 2 shown]
.LBB352_737:                            ;   in Loop: Header=BB352_426 Depth=1
	s_or_b32 exec_lo, exec_lo, s18
	global_load_dwordx2 v[15:16], v[15:16], off offset:1280
	v_mov_b32_e32 v89, 0
	v_mov_b32_e32 v88, 0
	s_waitcnt vmcnt(0)
	v_cmp_ne_u16_sdwa s0, v15, v10 src0_sel:BYTE_0 src1_sel:DWORD
	s_and_saveexec_b32 s18, s0
	s_cbranch_execz .LBB352_743
; %bb.738:                              ;   in Loop: Header=BB352_426 Depth=1
	v_cmp_ne_u16_sdwa s0, v15, v26 src0_sel:BYTE_0 src1_sel:DWORD
	v_bfrev_b32_e32 v88, 1
	s_and_saveexec_b32 s21, s0
	s_cbranch_execz .LBB352_742
; %bb.739:                              ;   in Loop: Header=BB352_426 Depth=1
	v_and_b32_e32 v9, 0x7f, v15
	v_mov_b32_e32 v88, 0x7f800001
	s_mov_b32 s22, exec_lo
	v_cmpx_ne_u32_e32 0x7f, v9
	s_cbranch_execz .LBB352_741
; %bb.740:                              ;   in Loop: Header=BB352_426 Depth=1
	v_and_b32_e32 v17, 7, v15
	v_lshrrev_b32_e32 v18, 3, v9
	v_cmp_gt_u32_e64 s0, 8, v9
	v_ffbh_u32_e32 v17, v17
	v_min_u32_e32 v17, 32, v17
	v_subrev_nc_u32_e32 v88, 28, v17
	v_sub_nc_u32_e32 v17, 29, v17
	v_cndmask_b32_e64 v9, v18, v17, s0
	v_cndmask_b32_e64 v17, 0, v88, s0
	v_lshl_add_u32 v9, v9, 23, 0x3c000000
	v_lshlrev_b64 v[17:18], v17, v[15:16]
	v_lshlrev_b32_e32 v18, 24, v15
	v_lshlrev_b32_e32 v17, 20, v17
	v_and_b32_e32 v18, 0x80000000, v18
	v_and_b32_e32 v17, 0x700000, v17
	v_or3_b32 v88, v17, v18, v9
.LBB352_741:                            ;   in Loop: Header=BB352_426 Depth=1
	s_or_b32 exec_lo, exec_lo, s22
.LBB352_742:                            ;   in Loop: Header=BB352_426 Depth=1
	s_or_b32 exec_lo, exec_lo, s21
.LBB352_743:                            ;   in Loop: Header=BB352_426 Depth=1
	s_or_b32 exec_lo, exec_lo, s18
	v_cmp_ne_u16_sdwa s0, v15, v10 src0_sel:BYTE_1 src1_sel:DWORD
	s_and_saveexec_b32 s18, s0
	s_cbranch_execz .LBB352_751
; %bb.744:                              ;   in Loop: Header=BB352_426 Depth=1
	v_cmp_ne_u16_sdwa s0, v15, v26 src0_sel:BYTE_1 src1_sel:DWORD
	v_bfrev_b32_e32 v89, 1
	s_and_saveexec_b32 s21, s0
	s_cbranch_execz .LBB352_750
; %bb.745:                              ;   in Loop: Header=BB352_426 Depth=1
	v_and_b32_sdwa v9, v32, v15 dst_sel:DWORD dst_unused:UNUSED_PAD src0_sel:DWORD src1_sel:BYTE_1
	v_mov_b32_e32 v89, 0x7f800001
	s_mov_b32 s22, exec_lo
	v_and_b32_e32 v18, 0x7f, v9
	v_cmpx_ne_u32_e32 0x7f, v18
	s_cbranch_execz .LBB352_749
; %bb.746:                              ;   in Loop: Header=BB352_426 Depth=1
	v_and_b32_e32 v9, 7, v9
	v_lshrrev_b32_e32 v17, 3, v18
	s_mov_b32 s24, exec_lo
	v_cmpx_gt_u32_e32 8, v18
; %bb.747:                              ;   in Loop: Header=BB352_426 Depth=1
	v_ffbh_u32_e32 v17, v9
	v_min_u32_e32 v17, 32, v17
	v_subrev_nc_u32_e32 v18, 28, v17
	v_sub_nc_u32_e32 v17, 29, v17
	v_lshlrev_b64 v[89:90], v18, v[9:10]
	v_and_b32_e32 v9, 7, v89
; %bb.748:                              ;   in Loop: Header=BB352_426 Depth=1
	s_or_b32 exec_lo, exec_lo, s24
	v_lshlrev_b32_e32 v18, 16, v15
	v_lshlrev_b32_e32 v9, 20, v9
	v_lshl_add_u32 v17, v17, 23, 0x3c000000
	v_and_b32_e32 v18, 0x80000000, v18
	v_or3_b32 v89, v9, v18, v17
.LBB352_749:                            ;   in Loop: Header=BB352_426 Depth=1
	s_or_b32 exec_lo, exec_lo, s22
.LBB352_750:                            ;   in Loop: Header=BB352_426 Depth=1
	s_or_b32 exec_lo, exec_lo, s21
.LBB352_751:                            ;   in Loop: Header=BB352_426 Depth=1
	s_or_b32 exec_lo, exec_lo, s18
	v_and_b32_sdwa v9, v15, v33 dst_sel:DWORD dst_unused:UNUSED_PAD src0_sel:WORD_1 src1_sel:DWORD
	v_mov_b32_e32 v91, 0
	v_mov_b32_e32 v90, 0
	s_mov_b32 s18, exec_lo
	v_cmpx_ne_u16_e32 0, v9
	s_cbranch_execz .LBB352_759
; %bb.752:                              ;   in Loop: Header=BB352_426 Depth=1
	v_bfrev_b32_e32 v90, 1
	s_mov_b32 s21, exec_lo
	v_cmpx_ne_u16_e32 0x80, v9
	s_cbranch_execz .LBB352_758
; %bb.753:                              ;   in Loop: Header=BB352_426 Depth=1
	v_bfe_u32 v18, v15, 16, 7
	v_mov_b32_e32 v90, 0x7f800001
	s_mov_b32 s22, exec_lo
	v_cmpx_ne_u32_e32 0x7f, v18
	s_cbranch_execz .LBB352_757
; %bb.754:                              ;   in Loop: Header=BB352_426 Depth=1
	v_and_b32_sdwa v9, v15, v34 dst_sel:DWORD dst_unused:UNUSED_PAD src0_sel:WORD_1 src1_sel:DWORD
	v_lshrrev_b32_e32 v17, 3, v18
	s_mov_b32 s24, exec_lo
	v_cmpx_gt_u32_e32 8, v18
; %bb.755:                              ;   in Loop: Header=BB352_426 Depth=1
	v_ffbh_u32_e32 v17, v9
	v_min_u32_e32 v17, 32, v17
	v_subrev_nc_u32_e32 v18, 28, v17
	v_sub_nc_u32_e32 v17, 29, v17
	v_lshlrev_b64 v[92:93], v18, v[9:10]
	v_and_b32_e32 v9, 7, v92
; %bb.756:                              ;   in Loop: Header=BB352_426 Depth=1
	s_or_b32 exec_lo, exec_lo, s24
	v_lshlrev_b32_sdwa v18, v39, v15 dst_sel:DWORD dst_unused:UNUSED_PAD src0_sel:DWORD src1_sel:WORD_1
	v_lshlrev_b32_e32 v9, 20, v9
	v_lshl_add_u32 v17, v17, 23, 0x3c000000
	v_and_b32_e32 v18, 0x80000000, v18
	v_or3_b32 v90, v9, v18, v17
.LBB352_757:                            ;   in Loop: Header=BB352_426 Depth=1
	s_or_b32 exec_lo, exec_lo, s22
.LBB352_758:                            ;   in Loop: Header=BB352_426 Depth=1
	s_or_b32 exec_lo, exec_lo, s21
.LBB352_759:                            ;   in Loop: Header=BB352_426 Depth=1
	s_or_b32 exec_lo, exec_lo, s18
	s_mov_b32 s18, exec_lo
	v_cmpx_lt_u32_e32 0xffffff, v15
	s_cbranch_execz .LBB352_767
; %bb.760:                              ;   in Loop: Header=BB352_426 Depth=1
	v_cmp_ne_u32_sdwa s0, v15, v26 src0_sel:BYTE_3 src1_sel:DWORD
	v_bfrev_b32_e32 v91, 1
	s_and_saveexec_b32 s21, s0
	s_cbranch_execz .LBB352_766
; %bb.761:                              ;   in Loop: Header=BB352_426 Depth=1
	v_bfe_u32 v18, v15, 24, 7
	v_mov_b32_e32 v91, 0x7f800001
	s_mov_b32 s22, exec_lo
	v_cmpx_ne_u32_e32 0x7f, v18
	s_cbranch_execz .LBB352_765
; %bb.762:                              ;   in Loop: Header=BB352_426 Depth=1
	v_and_b32_sdwa v9, v15, v34 dst_sel:DWORD dst_unused:UNUSED_PAD src0_sel:BYTE_3 src1_sel:DWORD
	v_lshrrev_b32_e32 v17, 3, v18
	s_mov_b32 s24, exec_lo
	v_cmpx_gt_u32_e32 8, v18
; %bb.763:                              ;   in Loop: Header=BB352_426 Depth=1
	v_ffbh_u32_e32 v17, v9
	v_min_u32_e32 v17, 32, v17
	v_subrev_nc_u32_e32 v18, 28, v17
	v_sub_nc_u32_e32 v17, 29, v17
	v_lshlrev_b64 v[91:92], v18, v[9:10]
	v_and_b32_e32 v9, 7, v91
; %bb.764:                              ;   in Loop: Header=BB352_426 Depth=1
	s_or_b32 exec_lo, exec_lo, s24
	v_lshlrev_b32_sdwa v18, v39, v15 dst_sel:DWORD dst_unused:UNUSED_PAD src0_sel:DWORD src1_sel:BYTE_3
	v_lshlrev_b32_e32 v9, 20, v9
	v_lshl_add_u32 v17, v17, 23, 0x3c000000
	v_and_b32_e32 v18, 0x80000000, v18
	v_or3_b32 v91, v9, v18, v17
.LBB352_765:                            ;   in Loop: Header=BB352_426 Depth=1
	s_or_b32 exec_lo, exec_lo, s22
.LBB352_766:                            ;   in Loop: Header=BB352_426 Depth=1
	s_or_b32 exec_lo, exec_lo, s21
.LBB352_767:                            ;   in Loop: Header=BB352_426 Depth=1
	s_or_b32 exec_lo, exec_lo, s18
	v_mov_b32_e32 v9, v16
	v_cmp_ne_u16_sdwa s0, v16, v10 src0_sel:BYTE_0 src1_sel:DWORD
	v_mov_b32_e32 v17, 0
	v_mov_b32_e32 v92, 0
	s_and_saveexec_b32 s18, s0
	s_cbranch_execz .LBB352_773
; %bb.768:                              ;   in Loop: Header=BB352_426 Depth=1
	v_cmp_ne_u16_sdwa s0, v16, v26 src0_sel:BYTE_0 src1_sel:DWORD
	v_bfrev_b32_e32 v92, 1
	s_and_saveexec_b32 s21, s0
	s_cbranch_execz .LBB352_772
; %bb.769:                              ;   in Loop: Header=BB352_426 Depth=1
	v_and_b32_e32 v18, 0x7f, v16
	v_mov_b32_e32 v92, 0x7f800001
	s_mov_b32 s22, exec_lo
	v_cmpx_ne_u32_e32 0x7f, v18
	s_cbranch_execz .LBB352_771
; %bb.770:                              ;   in Loop: Header=BB352_426 Depth=1
	v_and_b32_e32 v92, 7, v16
	v_lshrrev_b32_e32 v93, 3, v18
	v_cmp_gt_u32_e64 s0, 8, v18
	v_ffbh_u32_e32 v92, v92
	v_min_u32_e32 v92, 32, v92
	v_subrev_nc_u32_e32 v94, 28, v92
	v_sub_nc_u32_e32 v92, 29, v92
	v_cndmask_b32_e64 v18, v93, v92, s0
	v_cndmask_b32_e64 v92, 0, v94, s0
	v_lshl_add_u32 v18, v18, 23, 0x3c000000
	v_lshlrev_b64 v[92:93], v92, v[9:10]
	v_lshlrev_b32_e32 v93, 24, v9
	v_lshlrev_b32_e32 v92, 20, v92
	v_and_b32_e32 v93, 0x80000000, v93
	v_and_b32_e32 v92, 0x700000, v92
	v_or3_b32 v92, v92, v93, v18
.LBB352_771:                            ;   in Loop: Header=BB352_426 Depth=1
	s_or_b32 exec_lo, exec_lo, s22
.LBB352_772:                            ;   in Loop: Header=BB352_426 Depth=1
	s_or_b32 exec_lo, exec_lo, s21
.LBB352_773:                            ;   in Loop: Header=BB352_426 Depth=1
	s_or_b32 exec_lo, exec_lo, s18
	v_cmp_ne_u16_sdwa s0, v9, v10 src0_sel:BYTE_1 src1_sel:DWORD
	s_and_saveexec_b32 s18, s0
	s_cbranch_execz .LBB352_781
; %bb.774:                              ;   in Loop: Header=BB352_426 Depth=1
	v_cmp_ne_u16_sdwa s0, v9, v26 src0_sel:BYTE_1 src1_sel:DWORD
	v_bfrev_b32_e32 v17, 1
	s_and_saveexec_b32 s21, s0
	s_cbranch_execz .LBB352_780
; %bb.775:                              ;   in Loop: Header=BB352_426 Depth=1
	v_and_b32_sdwa v18, v32, v9 dst_sel:DWORD dst_unused:UNUSED_PAD src0_sel:DWORD src1_sel:BYTE_1
	v_mov_b32_e32 v17, 0x7f800001
	s_mov_b32 s22, exec_lo
	v_and_b32_e32 v94, 0x7f, v18
	v_cmpx_ne_u32_e32 0x7f, v94
	s_cbranch_execz .LBB352_779
; %bb.776:                              ;   in Loop: Header=BB352_426 Depth=1
	v_and_b32_e32 v17, 7, v18
	v_mov_b32_e32 v18, v10
	v_lshrrev_b32_e32 v93, 3, v94
	s_mov_b32 s24, exec_lo
	v_cmpx_gt_u32_e32 8, v94
; %bb.777:                              ;   in Loop: Header=BB352_426 Depth=1
	v_ffbh_u32_e32 v93, v17
	v_min_u32_e32 v93, 32, v93
	v_subrev_nc_u32_e32 v94, 28, v93
	v_sub_nc_u32_e32 v93, 29, v93
	v_lshlrev_b64 v[17:18], v94, v[17:18]
	v_and_b32_e32 v17, 7, v17
; %bb.778:                              ;   in Loop: Header=BB352_426 Depth=1
	s_or_b32 exec_lo, exec_lo, s24
	v_lshlrev_b32_e32 v9, 16, v9
	v_lshlrev_b32_e32 v17, 20, v17
	v_lshl_add_u32 v18, v93, 23, 0x3c000000
	v_and_b32_e32 v9, 0x80000000, v9
	v_or3_b32 v17, v17, v9, v18
.LBB352_779:                            ;   in Loop: Header=BB352_426 Depth=1
	s_or_b32 exec_lo, exec_lo, s22
.LBB352_780:                            ;   in Loop: Header=BB352_426 Depth=1
	s_or_b32 exec_lo, exec_lo, s21
.LBB352_781:                            ;   in Loop: Header=BB352_426 Depth=1
	s_or_b32 exec_lo, exec_lo, s18
	v_and_b32_sdwa v9, v16, v33 dst_sel:DWORD dst_unused:UNUSED_PAD src0_sel:WORD_1 src1_sel:DWORD
	v_mov_b32_e32 v18, 0
	v_mov_b32_e32 v93, 0
	s_mov_b32 s18, exec_lo
	v_cmpx_ne_u16_e32 0, v9
	s_cbranch_execz .LBB352_789
; %bb.782:                              ;   in Loop: Header=BB352_426 Depth=1
	v_bfrev_b32_e32 v93, 1
	s_mov_b32 s21, exec_lo
	v_cmpx_ne_u16_e32 0x80, v9
	s_cbranch_execz .LBB352_788
; %bb.783:                              ;   in Loop: Header=BB352_426 Depth=1
	v_bfe_u32 v94, v16, 16, 7
	v_mov_b32_e32 v93, 0x7f800001
	s_mov_b32 s22, exec_lo
	v_cmpx_ne_u32_e32 0x7f, v94
	s_cbranch_execz .LBB352_787
; %bb.784:                              ;   in Loop: Header=BB352_426 Depth=1
	v_and_b32_sdwa v9, v16, v34 dst_sel:DWORD dst_unused:UNUSED_PAD src0_sel:WORD_1 src1_sel:DWORD
	v_lshrrev_b32_e32 v93, 3, v94
	s_mov_b32 s24, exec_lo
	v_cmpx_gt_u32_e32 8, v94
; %bb.785:                              ;   in Loop: Header=BB352_426 Depth=1
	v_ffbh_u32_e32 v93, v9
	v_min_u32_e32 v93, 32, v93
	v_subrev_nc_u32_e32 v94, 28, v93
	v_sub_nc_u32_e32 v93, 29, v93
	v_lshlrev_b64 v[94:95], v94, v[9:10]
	v_and_b32_e32 v9, 7, v94
; %bb.786:                              ;   in Loop: Header=BB352_426 Depth=1
	s_or_b32 exec_lo, exec_lo, s24
	v_lshlrev_b32_sdwa v94, v39, v16 dst_sel:DWORD dst_unused:UNUSED_PAD src0_sel:DWORD src1_sel:WORD_1
	v_lshlrev_b32_e32 v9, 20, v9
	v_lshl_add_u32 v93, v93, 23, 0x3c000000
	v_and_b32_e32 v94, 0x80000000, v94
	v_or3_b32 v93, v9, v94, v93
.LBB352_787:                            ;   in Loop: Header=BB352_426 Depth=1
	s_or_b32 exec_lo, exec_lo, s22
.LBB352_788:                            ;   in Loop: Header=BB352_426 Depth=1
	s_or_b32 exec_lo, exec_lo, s21
.LBB352_789:                            ;   in Loop: Header=BB352_426 Depth=1
	s_or_b32 exec_lo, exec_lo, s18
	s_mov_b32 s18, exec_lo
	v_cmpx_lt_u64_e64 s[4:5], v[15:16]
	s_cbranch_execz .LBB352_797
; %bb.790:                              ;   in Loop: Header=BB352_426 Depth=1
	v_cmp_ne_u32_sdwa s0, v16, v26 src0_sel:BYTE_3 src1_sel:DWORD
	v_bfrev_b32_e32 v18, 1
	s_and_saveexec_b32 s21, s0
	s_cbranch_execz .LBB352_796
; %bb.791:                              ;   in Loop: Header=BB352_426 Depth=1
	v_bfe_u32 v94, v16, 24, 7
	v_mov_b32_e32 v18, 0x7f800001
	s_mov_b32 s22, exec_lo
	v_cmpx_ne_u32_e32 0x7f, v94
	s_cbranch_execz .LBB352_795
; %bb.792:                              ;   in Loop: Header=BB352_426 Depth=1
	v_and_b32_sdwa v9, v16, v34 dst_sel:DWORD dst_unused:UNUSED_PAD src0_sel:BYTE_3 src1_sel:DWORD
	v_lshrrev_b32_e32 v15, 3, v94
	s_mov_b32 s24, exec_lo
	v_cmpx_gt_u32_e32 8, v94
; %bb.793:                              ;   in Loop: Header=BB352_426 Depth=1
	v_ffbh_u32_e32 v15, v9
	v_min_u32_e32 v15, 32, v15
	v_subrev_nc_u32_e32 v18, 28, v15
	v_sub_nc_u32_e32 v15, 29, v15
	v_lshlrev_b64 v[94:95], v18, v[9:10]
	v_and_b32_e32 v9, 7, v94
; %bb.794:                              ;   in Loop: Header=BB352_426 Depth=1
	s_or_b32 exec_lo, exec_lo, s24
	v_lshlrev_b32_sdwa v16, v39, v16 dst_sel:DWORD dst_unused:UNUSED_PAD src0_sel:DWORD src1_sel:BYTE_3
	v_lshlrev_b32_e32 v9, 20, v9
	v_lshl_add_u32 v15, v15, 23, 0x3c000000
	v_and_b32_e32 v16, 0x80000000, v16
	v_or3_b32 v18, v9, v16, v15
.LBB352_795:                            ;   in Loop: Header=BB352_426 Depth=1
	s_or_b32 exec_lo, exec_lo, s22
.LBB352_796:                            ;   in Loop: Header=BB352_426 Depth=1
	s_or_b32 exec_lo, exec_lo, s21
.LBB352_797:                            ;   in Loop: Header=BB352_426 Depth=1
	s_or_b32 exec_lo, exec_lo, s18
	v_mul_f32_e32 v9, s17, v17
	v_mul_f32_e32 v15, s17, v92
	;; [unrolled: 1-line block ×5, first 2 shown]
	v_bfe_u32 v90, v9, 16, 1
	v_or_b32_e32 v91, 0x400000, v9
	v_bfe_u32 v92, v15, 16, 1
	v_cmp_u_f32_e64 s0, v9, v9
	v_or_b32_e32 v94, 0x400000, v15
	v_add3_u32 v90, v90, v9, 0x7fff
	v_bfe_u32 v95, v16, 16, 1
	v_add3_u32 v92, v92, v15, 0x7fff
	v_or_b32_e32 v96, 0x400000, v16
	v_bfe_u32 v97, v17, 16, 1
	v_cndmask_b32_e64 v9, v90, v91, s0
	v_cmp_u_f32_e64 s0, v15, v15
	v_add3_u32 v95, v95, v16, 0x7fff
	v_or_b32_e32 v91, 0x400000, v17
	v_add3_u32 v90, v97, v17, 0x7fff
	v_mul_f32_e32 v88, s17, v88
	v_cndmask_b32_e64 v15, v92, v94, s0
	v_cmp_u_f32_e64 s0, v16, v16
	v_bfe_u32 v92, v89, 16, 1
	v_mul_f32_e32 v18, s17, v18
	v_lshrrev_b32_e32 v9, 16, v9
	v_lshrrev_b32_e32 v15, 16, v15
	v_cndmask_b32_e64 v16, v95, v96, s0
	v_cmp_u_f32_e64 s0, v17, v17
	v_or_b32_e32 v96, 0x400000, v18
	v_lshrrev_b32_e32 v16, 16, v16
	v_cndmask_b32_e64 v17, v90, v91, s0
	v_mul_f32_e32 v90, s17, v93
	v_add3_u32 v91, v92, v89, 0x7fff
	v_or_b32_e32 v92, 0x400000, v89
	v_bfe_u32 v93, v88, 16, 1
	v_cmp_u_f32_e64 s0, v89, v89
	v_bfe_u32 v94, v90, 16, 1
	v_or_b32_e32 v95, 0x400000, v90
	v_cndmask_b32_e64 v89, v91, v92, s0
	v_add3_u32 v92, v93, v88, 0x7fff
	v_or_b32_e32 v93, 0x400000, v88
	v_cmp_u_f32_e64 s0, v88, v88
	v_bfe_u32 v91, v18, 16, 1
	v_add3_u32 v94, v94, v90, 0x7fff
	v_lshrrev_b32_e32 v88, 16, v17
	v_lshrrev_b32_e32 v89, 16, v89
	v_cndmask_b32_e64 v92, v92, v93, s0
	v_cmp_u_f32_e64 s0, v90, v90
	v_add3_u32 v91, v91, v18, 0x7fff
	v_lshrrev_b32_e32 v90, 16, v92
	v_cndmask_b32_e64 v93, v94, v95, s0
	v_cmp_u_f32_e64 s0, v18, v18
	v_lshrrev_b32_e32 v18, 16, v93
	v_cndmask_b32_e64 v91, v91, v96, s0
	v_lshrrev_b32_e32 v17, 16, v91
	s_and_saveexec_b32 s0, vcc_lo
	s_cbranch_execz .LBB352_424
; %bb.798:                              ;   in Loop: Header=BB352_426 Depth=1
	v_cmp_gt_i32_e32 vcc_lo, s31, v50
	v_cndmask_b32_e32 v90, 0, v90, vcc_lo
	v_cmp_gt_i32_e32 vcc_lo, s31, v57
	v_cndmask_b32_e32 v89, 0, v89, vcc_lo
	;; [unrolled: 2-line block ×8, first 2 shown]
	s_branch .LBB352_424
.LBB352_799:
	s_or_b32 exec_lo, exec_lo, s12
.LBB352_800:
	s_or_b32 exec_lo, exec_lo, s1
	ds_bpermute_b32 v1, v22, v31
	ds_bpermute_b32 v2, v22, v29
	;; [unrolled: 1-line block ×6, first 2 shown]
	v_lshrrev_b32_e32 v7, 1, v21
	v_mul_u32_u24_e32 v9, 0x180, v37
	v_and_b32_e32 v13, 0x3c1, v0
	s_mov_b32 s0, exec_lo
	s_waitcnt lgkmcnt(0)
	s_waitcnt_vscnt null, 0x0
	v_lshl_add_u32 v8, v7, 2, 0xe0
	s_barrier
	buffer_gl0_inv
	v_add_f32_e32 v6, v31, v1
	v_add_f32_e32 v5, v29, v2
	v_add_f32_e32 v4, v28, v3
	v_add_f32_e32 v3, v27, v10
	v_add_f32_e32 v2, v24, v11
	v_add_f32_e32 v1, v23, v12
	v_cmpx_eq_u32_e32 64, v13
	s_cbranch_execz .LBB352_802
; %bb.801:
	v_add_nc_u32_e32 v10, v8, v9
	v_add_nc_u32_e32 v11, 0xfffffd00, v10
	;; [unrolled: 1-line block ×7, first 2 shown]
	ds_write_b32 v11, v6
	ds_write_b32 v12, v5
	;; [unrolled: 1-line block ×6, first 2 shown]
.LBB352_802:
	s_or_b32 exec_lo, exec_lo, s0
	v_lshlrev_b32_e32 v7, 2, v7
	s_mov_b32 s1, exec_lo
	v_cmp_eq_u32_e32 vcc_lo, 0, v36
	s_waitcnt lgkmcnt(0)
	s_barrier
	v_add3_u32 v7, 0xe0, v9, v7
	buffer_gl0_inv
	v_cmpx_gt_u32_e32 64, v0
	s_cbranch_execz .LBB352_811
; %bb.803:
	s_and_saveexec_b32 s0, vcc_lo
	s_cbranch_execnz .LBB352_825
; %bb.804:
	s_or_b32 exec_lo, exec_lo, s0
	s_and_saveexec_b32 s0, vcc_lo
	s_cbranch_execnz .LBB352_826
.LBB352_805:
	s_or_b32 exec_lo, exec_lo, s0
	s_and_saveexec_b32 s0, vcc_lo
	s_cbranch_execnz .LBB352_827
.LBB352_806:
	s_or_b32 exec_lo, exec_lo, s0
	s_and_saveexec_b32 s0, vcc_lo
	s_cbranch_execnz .LBB352_828
.LBB352_807:
	s_or_b32 exec_lo, exec_lo, s0
	s_and_saveexec_b32 s0, vcc_lo
	s_cbranch_execnz .LBB352_829
.LBB352_808:
	s_or_b32 exec_lo, exec_lo, s0
	s_and_saveexec_b32 s0, vcc_lo
	s_cbranch_execz .LBB352_810
.LBB352_809:
	ds_read_b32 v9, v7 offset:320
	s_waitcnt lgkmcnt(0)
	v_add_f32_e32 v1, v1, v9
.LBB352_810:
	s_or_b32 exec_lo, exec_lo, s0
.LBB352_811:
	s_or_b32 exec_lo, exec_lo, s1
	v_and_b32_e32 v9, 0x3e1, v0
	s_mov_b32 s1, exec_lo
	s_barrier
	buffer_gl0_inv
	v_cmpx_eq_u32_e32 32, v9
	s_cbranch_execz .LBB352_813
; %bb.812:
	ds_write2_b32 v8, v6, v5 offset1:16
	ds_write2_b32 v8, v4, v3 offset0:32 offset1:48
	ds_write2_b32 v8, v2, v1 offset0:64 offset1:80
.LBB352_813:
	s_or_b32 exec_lo, exec_lo, s1
	s_mov_b32 s1, exec_lo
	s_waitcnt lgkmcnt(0)
	s_barrier
	buffer_gl0_inv
	v_cmpx_gt_u32_e32 32, v0
	s_cbranch_execz .LBB352_822
; %bb.814:
	s_and_saveexec_b32 s0, vcc_lo
	s_cbranch_execnz .LBB352_830
; %bb.815:
	s_or_b32 exec_lo, exec_lo, s0
	s_and_saveexec_b32 s0, vcc_lo
	s_cbranch_execnz .LBB352_831
.LBB352_816:
	s_or_b32 exec_lo, exec_lo, s0
	s_and_saveexec_b32 s0, vcc_lo
	s_cbranch_execnz .LBB352_832
.LBB352_817:
	s_or_b32 exec_lo, exec_lo, s0
	s_and_saveexec_b32 s0, vcc_lo
	s_cbranch_execnz .LBB352_833
.LBB352_818:
	s_or_b32 exec_lo, exec_lo, s0
	s_and_saveexec_b32 s0, vcc_lo
	s_cbranch_execnz .LBB352_834
.LBB352_819:
	s_or_b32 exec_lo, exec_lo, s0
	s_and_saveexec_b32 s0, vcc_lo
	s_cbranch_execz .LBB352_821
.LBB352_820:
	ds_read_b32 v0, v7 offset:320
	s_waitcnt lgkmcnt(0)
	v_add_f32_e32 v1, v1, v0
.LBB352_821:
	s_or_b32 exec_lo, exec_lo, s0
.LBB352_822:
	s_or_b32 exec_lo, exec_lo, s1
	s_barrier
	buffer_gl0_inv
	s_mov_b32 s0, exec_lo
	v_cmpx_eq_u32_e32 0, v9
	s_cbranch_execz .LBB352_824
; %bb.823:
	s_mul_i32 s0, s2, 0x60
	v_bfe_u32 v0, v6, 16, 1
	s_ashr_i32 s1, s0, 31
	s_mul_i32 s2, s7, s10
	s_lshl_b64 s[0:1], s[0:1], 1
	v_or_b32_e32 v7, 0x400000, v6
	s_add_u32 s4, s28, s0
	s_addc_u32 s1, s29, s1
	s_ashr_i32 s3, s2, 31
	v_add3_u32 v0, v0, v6, 0x7fff
	s_lshl_b64 s[2:3], s[2:3], 1
	v_bfe_u32 v9, v5, 16, 1
	v_cmp_u_f32_e32 vcc_lo, v6, v6
	s_mul_i32 s0, s8, 0x60
	s_add_u32 s2, s4, s2
	s_addc_u32 s3, s1, s3
	s_ashr_i32 s1, s0, 31
	v_lshlrev_b32_e32 v8, 1, v35
	s_lshl_b64 s[0:1], s[0:1], 1
	v_cndmask_b32_e32 v0, v0, v7, vcc_lo
	v_bfe_u32 v6, v4, 16, 1
	v_add3_u32 v7, v9, v5, 0x7fff
	v_or_b32_e32 v9, 0x400000, v5
	v_cmp_u_f32_e32 vcc_lo, v5, v5
	s_add_u32 s0, s2, s0
	s_addc_u32 s1, s3, s1
	v_or_b32_e32 v10, 0x400000, v2
	global_store_short_d16_hi v8, v0, s[0:1]
	v_add3_u32 v0, v6, v4, 0x7fff
	v_or_b32_e32 v6, 0x400000, v4
	v_cndmask_b32_e32 v5, v7, v9, vcc_lo
	v_bfe_u32 v7, v3, 16, 1
	v_cmp_u_f32_e32 vcc_lo, v4, v4
	v_bfe_u32 v9, v2, 16, 1
	v_bfe_u32 v4, v1, 16, 1
	v_or_b32_e32 v11, 0x400000, v1
	v_cndmask_b32_e32 v0, v0, v6, vcc_lo
	v_add3_u32 v6, v7, v3, 0x7fff
	v_or_b32_e32 v7, 0x400000, v3
	v_cmp_u_f32_e32 vcc_lo, v3, v3
	v_add3_u32 v9, v9, v2, 0x7fff
	v_add3_u32 v4, v4, v1, 0x7fff
	v_cndmask_b32_e32 v3, v6, v7, vcc_lo
	v_cmp_u_f32_e32 vcc_lo, v2, v2
	v_cndmask_b32_e32 v2, v9, v10, vcc_lo
	v_cmp_u_f32_e32 vcc_lo, v1, v1
	v_cndmask_b32_e32 v1, v4, v11, vcc_lo
	global_store_short_d16_hi v8, v5, s[0:1] offset:32
	global_store_short_d16_hi v8, v0, s[0:1] offset:64
	global_store_short_d16_hi v8, v3, s[0:1] offset:96
	global_store_short_d16_hi v8, v2, s[0:1] offset:128
	global_store_short_d16_hi v8, v1, s[0:1] offset:160
.LBB352_824:
	s_endpgm
.LBB352_825:
	ds_read_b32 v9, v7
	s_waitcnt lgkmcnt(0)
	v_add_f32_e32 v6, v6, v9
	s_or_b32 exec_lo, exec_lo, s0
	s_and_saveexec_b32 s0, vcc_lo
	s_cbranch_execz .LBB352_805
.LBB352_826:
	ds_read_b32 v9, v7 offset:64
	s_waitcnt lgkmcnt(0)
	v_add_f32_e32 v5, v5, v9
	s_or_b32 exec_lo, exec_lo, s0
	s_and_saveexec_b32 s0, vcc_lo
	s_cbranch_execz .LBB352_806
.LBB352_827:
	ds_read_b32 v9, v7 offset:128
	s_waitcnt lgkmcnt(0)
	v_add_f32_e32 v4, v4, v9
	s_or_b32 exec_lo, exec_lo, s0
	s_and_saveexec_b32 s0, vcc_lo
	s_cbranch_execz .LBB352_807
.LBB352_828:
	ds_read_b32 v9, v7 offset:192
	s_waitcnt lgkmcnt(0)
	v_add_f32_e32 v3, v3, v9
	s_or_b32 exec_lo, exec_lo, s0
	s_and_saveexec_b32 s0, vcc_lo
	s_cbranch_execz .LBB352_808
.LBB352_829:
	ds_read_b32 v9, v7 offset:256
	s_waitcnt lgkmcnt(0)
	v_add_f32_e32 v2, v2, v9
	s_or_b32 exec_lo, exec_lo, s0
	s_and_saveexec_b32 s0, vcc_lo
	s_cbranch_execnz .LBB352_809
	s_branch .LBB352_810
.LBB352_830:
	ds_read_b32 v0, v7
	s_waitcnt lgkmcnt(0)
	v_add_f32_e32 v6, v6, v0
	s_or_b32 exec_lo, exec_lo, s0
	s_and_saveexec_b32 s0, vcc_lo
	s_cbranch_execz .LBB352_816
.LBB352_831:
	ds_read_b32 v0, v7 offset:64
	s_waitcnt lgkmcnt(0)
	v_add_f32_e32 v5, v5, v0
	s_or_b32 exec_lo, exec_lo, s0
	s_and_saveexec_b32 s0, vcc_lo
	s_cbranch_execz .LBB352_817
.LBB352_832:
	ds_read_b32 v0, v7 offset:128
	s_waitcnt lgkmcnt(0)
	v_add_f32_e32 v4, v4, v0
	s_or_b32 exec_lo, exec_lo, s0
	s_and_saveexec_b32 s0, vcc_lo
	s_cbranch_execz .LBB352_818
.LBB352_833:
	ds_read_b32 v0, v7 offset:192
	s_waitcnt lgkmcnt(0)
	v_add_f32_e32 v3, v3, v0
	s_or_b32 exec_lo, exec_lo, s0
	s_and_saveexec_b32 s0, vcc_lo
	s_cbranch_execz .LBB352_819
.LBB352_834:
	ds_read_b32 v0, v7 offset:256
	s_waitcnt lgkmcnt(0)
	v_add_f32_e32 v2, v2, v0
	s_or_b32 exec_lo, exec_lo, s0
	s_and_saveexec_b32 s0, vcc_lo
	s_cbranch_execnz .LBB352_820
	s_branch .LBB352_821
	.section	.rodata,"a",@progbits
	.p2align	6, 0x0
	.amdhsa_kernel _ZN4vllm25paged_attention_v2_kernelI14__hip_bfloat16hLi96ELi16ELi128ELNS_18Fp8KVCacheDataTypeE1ELb1ELi512EEEvPfS3_PT_PKS4_PKT0_SA_ifPKiSC_iPKfiiiSE_SE_iiiii
		.amdhsa_group_segment_fixed_size 224
		.amdhsa_private_segment_fixed_size 0
		.amdhsa_kernarg_size 400
		.amdhsa_user_sgpr_count 6
		.amdhsa_user_sgpr_private_segment_buffer 1
		.amdhsa_user_sgpr_dispatch_ptr 0
		.amdhsa_user_sgpr_queue_ptr 0
		.amdhsa_user_sgpr_kernarg_segment_ptr 1
		.amdhsa_user_sgpr_dispatch_id 0
		.amdhsa_user_sgpr_flat_scratch_init 0
		.amdhsa_user_sgpr_private_segment_size 0
		.amdhsa_wavefront_size32 1
		.amdhsa_uses_dynamic_stack 0
		.amdhsa_system_sgpr_private_segment_wavefront_offset 0
		.amdhsa_system_sgpr_workgroup_id_x 1
		.amdhsa_system_sgpr_workgroup_id_y 1
		.amdhsa_system_sgpr_workgroup_id_z 1
		.amdhsa_system_sgpr_workgroup_info 0
		.amdhsa_system_vgpr_workitem_id 0
		.amdhsa_next_free_vgpr 124
		.amdhsa_next_free_sgpr 53
		.amdhsa_reserve_vcc 1
		.amdhsa_reserve_flat_scratch 0
		.amdhsa_float_round_mode_32 0
		.amdhsa_float_round_mode_16_64 0
		.amdhsa_float_denorm_mode_32 3
		.amdhsa_float_denorm_mode_16_64 3
		.amdhsa_dx10_clamp 1
		.amdhsa_ieee_mode 1
		.amdhsa_fp16_overflow 0
		.amdhsa_workgroup_processor_mode 1
		.amdhsa_memory_ordered 1
		.amdhsa_forward_progress 1
		.amdhsa_shared_vgpr_count 0
		.amdhsa_exception_fp_ieee_invalid_op 0
		.amdhsa_exception_fp_denorm_src 0
		.amdhsa_exception_fp_ieee_div_zero 0
		.amdhsa_exception_fp_ieee_overflow 0
		.amdhsa_exception_fp_ieee_underflow 0
		.amdhsa_exception_fp_ieee_inexact 0
		.amdhsa_exception_int_div_zero 0
	.end_amdhsa_kernel
	.section	.text._ZN4vllm25paged_attention_v2_kernelI14__hip_bfloat16hLi96ELi16ELi128ELNS_18Fp8KVCacheDataTypeE1ELb1ELi512EEEvPfS3_PT_PKS4_PKT0_SA_ifPKiSC_iPKfiiiSE_SE_iiiii,"axG",@progbits,_ZN4vllm25paged_attention_v2_kernelI14__hip_bfloat16hLi96ELi16ELi128ELNS_18Fp8KVCacheDataTypeE1ELb1ELi512EEEvPfS3_PT_PKS4_PKT0_SA_ifPKiSC_iPKfiiiSE_SE_iiiii,comdat
.Lfunc_end352:
	.size	_ZN4vllm25paged_attention_v2_kernelI14__hip_bfloat16hLi96ELi16ELi128ELNS_18Fp8KVCacheDataTypeE1ELb1ELi512EEEvPfS3_PT_PKS4_PKT0_SA_ifPKiSC_iPKfiiiSE_SE_iiiii, .Lfunc_end352-_ZN4vllm25paged_attention_v2_kernelI14__hip_bfloat16hLi96ELi16ELi128ELNS_18Fp8KVCacheDataTypeE1ELb1ELi512EEEvPfS3_PT_PKS4_PKT0_SA_ifPKiSC_iPKfiiiSE_SE_iiiii
                                        ; -- End function
	.set _ZN4vllm25paged_attention_v2_kernelI14__hip_bfloat16hLi96ELi16ELi128ELNS_18Fp8KVCacheDataTypeE1ELb1ELi512EEEvPfS3_PT_PKS4_PKT0_SA_ifPKiSC_iPKfiiiSE_SE_iiiii.num_vgpr, 124
	.set _ZN4vllm25paged_attention_v2_kernelI14__hip_bfloat16hLi96ELi16ELi128ELNS_18Fp8KVCacheDataTypeE1ELb1ELi512EEEvPfS3_PT_PKS4_PKT0_SA_ifPKiSC_iPKfiiiSE_SE_iiiii.num_agpr, 0
	.set _ZN4vllm25paged_attention_v2_kernelI14__hip_bfloat16hLi96ELi16ELi128ELNS_18Fp8KVCacheDataTypeE1ELb1ELi512EEEvPfS3_PT_PKS4_PKT0_SA_ifPKiSC_iPKfiiiSE_SE_iiiii.numbered_sgpr, 53
	.set _ZN4vllm25paged_attention_v2_kernelI14__hip_bfloat16hLi96ELi16ELi128ELNS_18Fp8KVCacheDataTypeE1ELb1ELi512EEEvPfS3_PT_PKS4_PKT0_SA_ifPKiSC_iPKfiiiSE_SE_iiiii.num_named_barrier, 0
	.set _ZN4vllm25paged_attention_v2_kernelI14__hip_bfloat16hLi96ELi16ELi128ELNS_18Fp8KVCacheDataTypeE1ELb1ELi512EEEvPfS3_PT_PKS4_PKT0_SA_ifPKiSC_iPKfiiiSE_SE_iiiii.private_seg_size, 0
	.set _ZN4vllm25paged_attention_v2_kernelI14__hip_bfloat16hLi96ELi16ELi128ELNS_18Fp8KVCacheDataTypeE1ELb1ELi512EEEvPfS3_PT_PKS4_PKT0_SA_ifPKiSC_iPKfiiiSE_SE_iiiii.uses_vcc, 1
	.set _ZN4vllm25paged_attention_v2_kernelI14__hip_bfloat16hLi96ELi16ELi128ELNS_18Fp8KVCacheDataTypeE1ELb1ELi512EEEvPfS3_PT_PKS4_PKT0_SA_ifPKiSC_iPKfiiiSE_SE_iiiii.uses_flat_scratch, 0
	.set _ZN4vllm25paged_attention_v2_kernelI14__hip_bfloat16hLi96ELi16ELi128ELNS_18Fp8KVCacheDataTypeE1ELb1ELi512EEEvPfS3_PT_PKS4_PKT0_SA_ifPKiSC_iPKfiiiSE_SE_iiiii.has_dyn_sized_stack, 0
	.set _ZN4vllm25paged_attention_v2_kernelI14__hip_bfloat16hLi96ELi16ELi128ELNS_18Fp8KVCacheDataTypeE1ELb1ELi512EEEvPfS3_PT_PKS4_PKT0_SA_ifPKiSC_iPKfiiiSE_SE_iiiii.has_recursion, 0
	.set _ZN4vllm25paged_attention_v2_kernelI14__hip_bfloat16hLi96ELi16ELi128ELNS_18Fp8KVCacheDataTypeE1ELb1ELi512EEEvPfS3_PT_PKS4_PKT0_SA_ifPKiSC_iPKfiiiSE_SE_iiiii.has_indirect_call, 0
	.section	.AMDGPU.csdata,"",@progbits
; Kernel info:
; codeLenInByte = 31112
; TotalNumSgprs: 55
; NumVgprs: 124
; ScratchSize: 0
; MemoryBound: 0
; FloatMode: 240
; IeeeMode: 1
; LDSByteSize: 224 bytes/workgroup (compile time only)
; SGPRBlocks: 0
; VGPRBlocks: 15
; NumSGPRsForWavesPerEU: 55
; NumVGPRsForWavesPerEU: 124
; Occupancy: 8
; WaveLimiterHint : 1
; COMPUTE_PGM_RSRC2:SCRATCH_EN: 0
; COMPUTE_PGM_RSRC2:USER_SGPR: 6
; COMPUTE_PGM_RSRC2:TRAP_HANDLER: 0
; COMPUTE_PGM_RSRC2:TGID_X_EN: 1
; COMPUTE_PGM_RSRC2:TGID_Y_EN: 1
; COMPUTE_PGM_RSRC2:TGID_Z_EN: 1
; COMPUTE_PGM_RSRC2:TIDIG_COMP_CNT: 0
	.section	.text._ZN4vllm25paged_attention_v2_kernelI14__hip_bfloat16hLi112ELi16ELi128ELNS_18Fp8KVCacheDataTypeE1ELb1ELi512EEEvPfS3_PT_PKS4_PKT0_SA_ifPKiSC_iPKfiiiSE_SE_iiiii,"axG",@progbits,_ZN4vllm25paged_attention_v2_kernelI14__hip_bfloat16hLi112ELi16ELi128ELNS_18Fp8KVCacheDataTypeE1ELb1ELi512EEEvPfS3_PT_PKS4_PKT0_SA_ifPKiSC_iPKfiiiSE_SE_iiiii,comdat
	.protected	_ZN4vllm25paged_attention_v2_kernelI14__hip_bfloat16hLi112ELi16ELi128ELNS_18Fp8KVCacheDataTypeE1ELb1ELi512EEEvPfS3_PT_PKS4_PKT0_SA_ifPKiSC_iPKfiiiSE_SE_iiiii ; -- Begin function _ZN4vllm25paged_attention_v2_kernelI14__hip_bfloat16hLi112ELi16ELi128ELNS_18Fp8KVCacheDataTypeE1ELb1ELi512EEEvPfS3_PT_PKS4_PKT0_SA_ifPKiSC_iPKfiiiSE_SE_iiiii
	.globl	_ZN4vllm25paged_attention_v2_kernelI14__hip_bfloat16hLi112ELi16ELi128ELNS_18Fp8KVCacheDataTypeE1ELb1ELi512EEEvPfS3_PT_PKS4_PKT0_SA_ifPKiSC_iPKfiiiSE_SE_iiiii
	.p2align	8
	.type	_ZN4vllm25paged_attention_v2_kernelI14__hip_bfloat16hLi112ELi16ELi128ELNS_18Fp8KVCacheDataTypeE1ELb1ELi512EEEvPfS3_PT_PKS4_PKT0_SA_ifPKiSC_iPKfiiiSE_SE_iiiii,@function
_ZN4vllm25paged_attention_v2_kernelI14__hip_bfloat16hLi112ELi16ELi128ELNS_18Fp8KVCacheDataTypeE1ELb1ELi512EEEvPfS3_PT_PKS4_PKT0_SA_ifPKiSC_iPKfiiiSE_SE_iiiii: ; @_ZN4vllm25paged_attention_v2_kernelI14__hip_bfloat16hLi112ELi16ELi128ELNS_18Fp8KVCacheDataTypeE1ELb1ELi512EEEvPfS3_PT_PKS4_PKT0_SA_ifPKiSC_iPKfiiiSE_SE_iiiii
; %bb.0:
	s_mov_b64 s[58:59], s[2:3]
	s_mov_b64 s[56:57], s[0:1]
	s_load_dwordx2 s[0:1], s[4:5], 0x40
	s_add_u32 s56, s56, s9
	s_addc_u32 s57, s57, 0
	s_mov_b32 s30, s7
	s_ashr_i32 s31, s7, 31
	s_lshl_b64 s[2:3], s[30:31], 2
	s_waitcnt lgkmcnt(0)
	s_add_u32 s0, s0, s2
	s_addc_u32 s1, s1, s3
	s_lshl_b32 s42, s8, 9
	s_load_dword s31, s[0:1], 0x0
	s_waitcnt lgkmcnt(0)
	s_cmp_ge_i32 s42, s31
	s_cbranch_scc1 .LBB353_952
; %bb.1:
	s_clause 0x1
	s_load_dword s9, s[4:5], 0x90
	s_load_dwordx2 s[40:41], s[4:5], 0x30
	s_mov_b32 s43, 0
	s_waitcnt lgkmcnt(0)
	s_abs_i32 s3, s9
	s_abs_i32 s0, s40
	v_cvt_f32_u32_e32 v1, s0
	s_sub_i32 s2, 0, s0
	v_rcp_iflag_f32_e32 v1, v1
	v_mul_f32_e32 v1, 0x4f7ffffe, v1
	v_cvt_u32_f32_e32 v1, v1
	v_readfirstlane_b32 s1, v1
	s_mul_i32 s2, s2, s1
	s_mul_hi_u32 s2, s1, s2
	s_add_i32 s1, s1, s2
	s_xor_b32 s2, s9, s40
	s_mul_hi_u32 s1, s3, s1
	s_ashr_i32 s2, s2, 31
	s_mul_i32 s7, s1, s0
	s_sub_i32 s3, s3, s7
	s_add_i32 s7, s1, 1
	s_sub_i32 s10, s3, s0
	s_cmp_ge_u32 s3, s0
	s_cselect_b32 s1, s7, s1
	s_cselect_b32 s3, s10, s3
	s_add_i32 s7, s1, 1
	s_cmp_ge_u32 s3, s0
	s_cselect_b32 s0, s7, s1
	s_xor_b32 s0, s0, s2
	s_sub_i32 s10, s0, s2
	s_load_dwordx2 s[0:1], s[4:5], 0x50
	s_abs_i32 s2, s10
	v_cvt_f32_u32_e32 v1, s2
	s_sub_i32 s3, 0, s2
	v_rcp_iflag_f32_e32 v1, v1
	v_mul_f32_e32 v1, 0x4f7ffffe, v1
	v_cvt_u32_f32_e32 v1, v1
	v_readfirstlane_b32 s7, v1
	s_mul_i32 s3, s3, s7
	s_mul_hi_u32 s11, s7, s3
	s_abs_i32 s3, s6
	s_add_i32 s7, s7, s11
	s_waitcnt lgkmcnt(0)
	s_cmp_eq_u64 s[0:1], 0
	s_mul_hi_u32 s12, s3, s7
	s_cbranch_scc1 .LBB353_3
; %bb.2:
	s_ashr_i32 s7, s6, 31
	s_lshl_b64 s[14:15], s[6:7], 2
	s_add_u32 s0, s0, s14
	s_addc_u32 s1, s1, s15
	s_load_dword s43, s[0:1], 0x0
.LBB353_3:
	s_load_dwordx4 s[16:19], s[4:5], 0x58
	v_lshrrev_b32_e32 v4, 1, v0
	v_and_b32_e32 v1, 1, v0
	v_lshlrev_b32_e32 v12, 3, v0
	s_ashr_i32 s0, s6, 31
	s_ashr_i32 s1, s10, 31
	s_mul_i32 s10, s6, 0x70
	s_mov_b32 s7, exec_lo
	buffer_store_dword v1, off, s[56:59], 0 offset:24 ; 4-byte Folded Spill
	v_cmpx_gt_u32_e32 28, v0
	s_cbranch_execz .LBB353_5
; %bb.4:
	s_load_dwordx2 s[14:15], s[4:5], 0x18
	s_waitcnt lgkmcnt(0)
	s_mul_i32 s20, s16, s30
	v_lshlrev_b32_e32 v3, 3, v4
	s_ashr_i32 s21, s20, 31
	v_and_b32_e32 v5, 1, v0
	s_lshl_b64 s[20:21], s[20:21], 1
	v_mad_u32_u24 v3, 0x70, v5, v3
	s_add_u32 s13, s14, s20
	s_addc_u32 s16, s15, s21
	s_ashr_i32 s11, s10, 31
	s_lshl_b64 s[14:15], s[10:11], 1
	s_add_u32 s14, s13, s14
	s_addc_u32 s15, s16, s15
	global_load_dwordx2 v[1:2], v12, s[14:15]
	s_waitcnt vmcnt(0)
	ds_write_b64 v3, v[1:2]
.LBB353_5:
	s_or_b32 exec_lo, exec_lo, s7
	s_load_dwordx4 s[20:23], s[4:5], 0x78
	s_mul_i32 s7, s12, s2
	s_xor_b32 s0, s0, s1
	s_sub_i32 s1, s3, s7
	s_add_i32 s3, s12, 1
	s_sub_i32 s7, s1, s2
	s_cmp_ge_u32 s1, s2
                                        ; implicit-def: $sgpr19
	s_cselect_b32 s3, s3, s12
	s_cselect_b32 s1, s7, s1
	s_add_i32 s7, s3, 1
	s_cmp_ge_u32 s1, s2
	s_mov_b32 s12, -1
	s_cselect_b32 s1, s7, s3
	s_load_dword s3, s[4:5], 0x88
	s_xor_b32 s1, s1, s0
	s_add_i32 s7, s31, -1
	s_sub_i32 s1, s1, s0
	s_abs_i32 s2, s7
	s_waitcnt lgkmcnt(0)
	s_waitcnt_vscnt null, 0x0
	s_abs_i32 s11, s23
	s_barrier
	v_cvt_f32_u32_e32 v1, s11
	s_sub_i32 s0, 0, s11
	buffer_gl0_inv
	v_rcp_iflag_f32_e32 v1, v1
	v_mul_f32_e32 v1, 0x4f7ffffe, v1
	v_cvt_u32_f32_e32 v1, v1
	v_readfirstlane_b32 s16, v1
	s_mul_i32 s0, s0, s16
	s_mul_hi_u32 s0, s16, s0
	s_add_i32 s16, s16, s0
	s_cmp_lt_i32 s3, 0
	s_mul_hi_u32 s0, s2, s16
	s_cbranch_scc0 .LBB353_7
; %bb.6:
	s_mul_i32 s12, s20, s40
	s_add_i32 s12, s1, s12
	s_mul_i32 s12, s12, s3
	s_sub_i32 s19, 1, s12
	s_mov_b32 s12, 0
.LBB353_7:
	s_load_dwordx2 s[34:35], s[4:5], 0x38
	s_ashr_i32 s33, s7, 31
	s_andn2_b32 vcc_lo, exec_lo, s12
	s_ashr_i32 s23, s23, 31
	buffer_store_dword v4, off, s[56:59], 0 offset:28 ; 4-byte Folded Spill
	s_cbranch_vccnz .LBB353_9
; %bb.8:
	s_mul_i32 s7, s9, s20
	s_add_i32 s7, s7, s6
	s_mul_i32 s3, s7, s3
	s_add_i32 s19, s3, 1
.LBB353_9:
	s_clause 0x5
	s_load_dword s3, s[4:5], 0x48
	s_load_dwordx2 s[38:39], s[4:5], 0x28
	s_load_dwordx4 s[24:27], s[4:5], 0x0
	s_load_dwordx2 s[28:29], s[4:5], 0x10
	s_load_dword s7, s[4:5], 0x98
	s_load_dwordx4 s[12:15], s[4:5], 0x68
	s_mul_i32 s20, s0, s11
	s_xor_b32 s40, s33, s23
	s_sub_i32 s2, s2, s20
	s_add_i32 s33, s0, 1
	buffer_store_dword v0, off, s[56:59], 0 offset:20 ; 4-byte Folded Spill
	v_lshrrev_b32_e32 v0, 5, v0
	v_mov_b32_e32 v42, 0xff7fffff
	s_mul_i32 s18, s1, s18
	v_lshl_add_u32 v38, v0, 4, s42
	buffer_store_dword v0, off, s[56:59], 0 offset:16 ; 4-byte Folded Spill
	s_waitcnt lgkmcnt(0)
	s_mul_i32 s36, s3, s30
	s_sub_i32 s3, s2, s11
	s_ashr_i32 s37, s36, 31
	s_cmp_ge_u32 s2, s11
	s_cselect_b32 s0, s33, s0
	s_cselect_b32 s2, s3, s2
	s_add_i32 s3, s0, 1
	s_cmp_ge_u32 s2, s11
	s_cselect_b32 s0, s3, s0
	s_add_i32 s2, s31, 15
	s_lshl_b32 s44, s8, 5
	s_ashr_i32 s3, s2, 31
	v_or_b32_e32 v25, s44, v0
	s_lshr_b32 s3, s3, 28
	v_mbcnt_lo_u32_b32 v0, -1, 0
	s_add_i32 s2, s2, s3
	s_add_i32 s3, s44, 32
	s_ashr_i32 s33, s2, 4
	s_xor_b32 s2, s0, s40
	s_min_i32 s20, s3, s33
	v_ashrrev_i32_e32 v26, 31, v25
	v_cmp_gt_i32_e64 s0, s20, v25
	s_sub_i32 s40, s2, s40
	s_and_saveexec_b32 s45, s0
	s_cbranch_execz .LBB353_469
; %bb.10:
	s_clause 0x2
	buffer_load_dword v5, off, s[56:59], 0 offset:24
	buffer_load_dword v2, off, s[56:59], 0 offset:20
	buffer_load_dword v7, off, s[56:59], 0 offset:16
	s_load_dwordx2 s[2:3], s[4:5], 0x20
	s_sub_i32 s5, s40, s21
	s_ashr_i32 s1, s18, 31
	v_mov_b32_e32 v28, 0
	v_mov_b32_e32 v45, 0x80
	;; [unrolled: 1-line block ×8, first 2 shown]
	s_mov_b32 s48, s17
	buffer_store_dword v12, off, s[56:59], 0 offset:32 ; 4-byte Folded Spill
	s_waitcnt lgkmcnt(0)
	s_add_u32 s4, s2, s18
	s_addc_u32 s47, s3, s1
	s_abs_i32 s46, s22
	v_cmp_neq_f32_e64 s1, s43, 0
	v_cvt_f32_u32_e32 v1, s46
	s_sub_i32 s2, 0, s46
	v_rcp_iflag_f32_e32 v4, v1
	v_mul_f32_e32 v4, 0x4f7ffffe, v4
	v_cvt_u32_f32_e32 v4, v4
	s_waitcnt vmcnt(2)
	v_cmp_eq_u32_e32 vcc_lo, 0, v5
	s_waitcnt vmcnt(1)
	v_bfe_u32 v8, v2, 1, 4
	v_lshlrev_b32_e32 v3, 2, v5
	v_mul_u32_u24_e32 v43, 0x70, v5
	s_waitcnt vmcnt(0)
	v_lshl_add_u32 v44, v7, 4, s42
	v_lshlrev_b64 v[1:2], 2, v[25:26]
	v_lshlrev_b32_e32 v5, 2, v8
	v_subrev_nc_u32_e32 v6, s31, v8
	buffer_store_dword v8, off, s[56:59], 0 offset:8 ; 4-byte Folded Spill
	v_lshl_or_b32 v5, v7, 6, v5
	v_lshlrev_b32_e32 v7, 4, v8
	v_add_nc_u32_e32 v6, 1, v6
	v_add_nc_u32_e32 v51, 0x100, v5
	v_mul_lo_u32 v5, s2, v4
	s_lshl_b64 s[2:3], s[36:37], 2
	buffer_store_dword v6, off, s[56:59], 0 offset:12 ; 4-byte Folded Spill
	v_add_co_u32 v6, s4, s4, v7
	s_add_u32 s2, s34, s2
	v_add_co_ci_u32_e64 v7, null, s47, 0, s4
	v_mul_hi_u32 v5, v4, v5
	s_addc_u32 s3, s35, s3
	v_add_co_u32 v29, s2, s2, v1
	v_add_co_ci_u32_e64 v30, null, s3, v2, s2
	v_add_co_u32 v1, s2, v6, v3
	v_add_co_ci_u32_e64 v2, null, 0, v7, s2
	v_add_nc_u32_e32 v52, v4, v5
	s_mov_b32 s47, 0
	buffer_store_dword v1, off, s[56:59], 0 ; 4-byte Folded Spill
	buffer_store_dword v2, off, s[56:59], 0 offset:4 ; 4-byte Folded Spill
	s_branch .LBB353_13
.LBB353_11:                             ;   in Loop: Header=BB353_13 Depth=1
	s_or_b32 exec_lo, exec_lo, s3
.LBB353_12:                             ;   in Loop: Header=BB353_13 Depth=1
	s_or_b32 exec_lo, exec_lo, s49
	v_add_nc_u32_e32 v53, 4, v53
	v_add_co_u32 v29, s3, v29, 16
	v_add_co_ci_u32_e64 v30, null, 0, v30, s3
	v_cmp_le_i32_e64 s2, s20, v53
	v_add_nc_u32_e32 v44, 64, v44
	v_add_nc_u32_e32 v51, 0x100, v51
	s_or_b32 s47, s2, s47
	s_andn2_b32 exec_lo, exec_lo, s47
	s_cbranch_execz .LBB353_468
.LBB353_13:                             ; =>This Inner Loop Header: Depth=1
	v_sub_nc_u32_e32 v1, 0, v44
	v_max_i32_e32 v1, v44, v1
	s_waitcnt lgkmcnt(0)
	v_mul_hi_u32 v2, v1, s16
	v_mul_lo_u32 v3, v2, s11
	v_sub_nc_u32_e32 v1, v1, v3
	v_add_nc_u32_e32 v3, 1, v2
	v_subrev_nc_u32_e32 v4, s11, v1
	v_cmp_le_u32_e64 s2, s11, v1
	v_cndmask_b32_e64 v2, v2, v3, s2
	v_cndmask_b32_e64 v1, v1, v4, s2
	v_ashrrev_i32_e32 v3, 31, v44
	v_add_nc_u32_e32 v4, 1, v2
	v_cmp_le_u32_e64 s2, s11, v1
	v_xor_b32_e32 v3, s23, v3
	v_cndmask_b32_e64 v1, v2, v4, s2
	v_xor_b32_e32 v1, v1, v3
	v_sub_nc_u32_e32 v1, v1, v3
	v_add_nc_u32_e32 v2, s19, v1
	v_cmp_ge_i32_e64 s3, s5, v1
	v_sub_nc_u32_e32 v3, 0, v2
	v_max_i32_e32 v3, v2, v3
	v_ashrrev_i32_e32 v2, 31, v2
	v_mul_hi_u32 v4, v3, v52
	v_mul_lo_u32 v4, v4, s46
	v_sub_nc_u32_e32 v3, v3, v4
	v_subrev_nc_u32_e32 v4, s46, v3
	v_cmp_le_u32_e64 s2, s46, v3
	v_cndmask_b32_e64 v3, v3, v4, s2
	v_subrev_nc_u32_e32 v4, s46, v3
	v_cmp_le_u32_e64 s2, s46, v3
	v_cndmask_b32_e64 v3, v3, v4, s2
	v_xor_b32_e32 v3, v3, v2
	v_sub_nc_u32_e32 v2, v3, v2
	v_cmp_ne_u32_e64 s2, 0, v2
	s_and_b32 s2, s2, s3
	s_and_saveexec_b32 s3, s2
	s_xor_b32 s2, exec_lo, s3
	s_cbranch_execz .LBB353_17
; %bb.14:                               ;   in Loop: Header=BB353_13 Depth=1
	s_and_saveexec_b32 s3, vcc_lo
; %bb.15:                               ;   in Loop: Header=BB353_13 Depth=1
	v_mov_b32_e32 v1, 0xff7fffff
	ds_write_b32 v51, v1
; %bb.16:                               ;   in Loop: Header=BB353_13 Depth=1
	s_or_b32 exec_lo, exec_lo, s3
.LBB353_17:                             ;   in Loop: Header=BB353_13 Depth=1
	s_andn2_saveexec_b32 s49, s2
	s_cbranch_execz .LBB353_12
; %bb.18:                               ;   in Loop: Header=BB353_13 Depth=1
	global_load_dword v1, v[29:30], off
	s_clause 0x1
	buffer_load_dword v2, off, s[56:59], 0
	buffer_load_dword v3, off, s[56:59], 0 offset:4
	v_mov_b32_e32 v56, 0
	v_mov_b32_e32 v57, 0
	s_waitcnt vmcnt(0)
	v_mad_i64_i32 v[33:34], null, v1, s48, v[2:3]
	global_load_dword v60, v[33:34], off
	ds_read_b128 v[21:24], v43
	ds_read_b128 v[17:20], v43 offset:16
	ds_read_b128 v[13:16], v43 offset:32
	;; [unrolled: 1-line block ×5, first 2 shown]
	ds_read_b32 v55, v43 offset:96
	ds_read_u16 v54, v43 offset:100
	s_load_dword s3, s[12:13], 0x0
	s_waitcnt vmcnt(0)
	v_cmp_ne_u16_sdwa s2, v60, v28 src0_sel:BYTE_0 src1_sel:DWORD
	s_and_saveexec_b32 s4, s2
	s_cbranch_execz .LBB353_26
; %bb.19:                               ;   in Loop: Header=BB353_13 Depth=1
	v_cmp_ne_u16_sdwa s2, v60, v45 src0_sel:BYTE_0 src1_sel:DWORD
	v_bfrev_b32_e32 v57, 1
	s_and_saveexec_b32 s50, s2
	s_cbranch_execz .LBB353_25
; %bb.20:                               ;   in Loop: Header=BB353_13 Depth=1
	v_and_b32_e32 v58, 0x7f, v60
	v_mov_b32_e32 v57, 0x7f800001
	s_mov_b32 s51, exec_lo
	v_cmpx_ne_u32_e32 0x7f, v58
	s_cbranch_execz .LBB353_24
; %bb.21:                               ;   in Loop: Header=BB353_13 Depth=1
	v_and_b32_e32 v27, 7, v60
	v_lshrrev_b32_e32 v57, 3, v58
	s_mov_b32 s52, exec_lo
	v_cmpx_gt_u32_e32 8, v58
; %bb.22:                               ;   in Loop: Header=BB353_13 Depth=1
	v_ffbh_u32_e32 v57, v27
	v_min_u32_e32 v57, 32, v57
	v_subrev_nc_u32_e32 v58, 28, v57
	v_sub_nc_u32_e32 v57, 29, v57
	v_lshlrev_b64 v[58:59], v58, v[27:28]
	v_and_b32_e32 v27, 7, v58
; %bb.23:                               ;   in Loop: Header=BB353_13 Depth=1
	s_or_b32 exec_lo, exec_lo, s52
	v_lshlrev_b32_e32 v58, 24, v60
	v_lshlrev_b32_e32 v27, 20, v27
	v_lshl_add_u32 v57, v57, 23, 0x3c000000
	v_and_b32_e32 v58, 0x80000000, v58
	v_or3_b32 v57, v27, v58, v57
.LBB353_24:                             ;   in Loop: Header=BB353_13 Depth=1
	s_or_b32 exec_lo, exec_lo, s51
.LBB353_25:                             ;   in Loop: Header=BB353_13 Depth=1
	s_or_b32 exec_lo, exec_lo, s50
.LBB353_26:                             ;   in Loop: Header=BB353_13 Depth=1
	s_or_b32 exec_lo, exec_lo, s4
	v_cmp_ne_u16_sdwa s2, v60, v28 src0_sel:BYTE_1 src1_sel:DWORD
	s_and_saveexec_b32 s4, s2
	s_cbranch_execz .LBB353_34
; %bb.27:                               ;   in Loop: Header=BB353_13 Depth=1
	v_cmp_ne_u16_sdwa s2, v60, v45 src0_sel:BYTE_1 src1_sel:DWORD
	v_bfrev_b32_e32 v56, 1
	s_and_saveexec_b32 s50, s2
	s_cbranch_execz .LBB353_33
; %bb.28:                               ;   in Loop: Header=BB353_13 Depth=1
	v_and_b32_sdwa v27, v46, v60 dst_sel:DWORD dst_unused:UNUSED_PAD src0_sel:DWORD src1_sel:BYTE_1
	v_mov_b32_e32 v56, 0x7f800001
	s_mov_b32 s51, exec_lo
	v_and_b32_e32 v58, 0x7f, v27
	v_cmpx_ne_u32_e32 0x7f, v58
	s_cbranch_execz .LBB353_32
; %bb.29:                               ;   in Loop: Header=BB353_13 Depth=1
	v_and_b32_e32 v27, 7, v27
	v_lshrrev_b32_e32 v56, 3, v58
	s_mov_b32 s52, exec_lo
	v_cmpx_gt_u32_e32 8, v58
; %bb.30:                               ;   in Loop: Header=BB353_13 Depth=1
	v_ffbh_u32_e32 v56, v27
	v_min_u32_e32 v56, 32, v56
	v_subrev_nc_u32_e32 v58, 28, v56
	v_sub_nc_u32_e32 v56, 29, v56
	v_lshlrev_b64 v[58:59], v58, v[27:28]
	v_and_b32_e32 v27, 7, v58
; %bb.31:                               ;   in Loop: Header=BB353_13 Depth=1
	s_or_b32 exec_lo, exec_lo, s52
	v_lshlrev_b32_e32 v58, 16, v60
	v_lshlrev_b32_e32 v27, 20, v27
	v_lshl_add_u32 v56, v56, 23, 0x3c000000
	v_and_b32_e32 v58, 0x80000000, v58
	v_or3_b32 v56, v27, v58, v56
.LBB353_32:                             ;   in Loop: Header=BB353_13 Depth=1
	s_or_b32 exec_lo, exec_lo, s51
.LBB353_33:                             ;   in Loop: Header=BB353_13 Depth=1
	s_or_b32 exec_lo, exec_lo, s50
.LBB353_34:                             ;   in Loop: Header=BB353_13 Depth=1
	s_or_b32 exec_lo, exec_lo, s4
	v_and_b32_sdwa v27, v60, v47 dst_sel:DWORD dst_unused:UNUSED_PAD src0_sel:WORD_1 src1_sel:DWORD
	v_mov_b32_e32 v58, 0
	v_mov_b32_e32 v59, 0
	s_mov_b32 s4, exec_lo
	v_cmpx_ne_u16_e32 0, v27
	s_cbranch_execz .LBB353_42
; %bb.35:                               ;   in Loop: Header=BB353_13 Depth=1
	v_bfrev_b32_e32 v59, 1
	s_mov_b32 s50, exec_lo
	v_cmpx_ne_u16_e32 0x80, v27
	s_cbranch_execz .LBB353_41
; %bb.36:                               ;   in Loop: Header=BB353_13 Depth=1
	v_bfe_u32 v61, v60, 16, 7
	v_mov_b32_e32 v59, 0x7f800001
	s_mov_b32 s51, exec_lo
	v_cmpx_ne_u32_e32 0x7f, v61
	s_cbranch_execz .LBB353_40
; %bb.37:                               ;   in Loop: Header=BB353_13 Depth=1
	v_and_b32_sdwa v27, v60, v48 dst_sel:DWORD dst_unused:UNUSED_PAD src0_sel:WORD_1 src1_sel:DWORD
	v_lshrrev_b32_e32 v59, 3, v61
	s_mov_b32 s52, exec_lo
	v_cmpx_gt_u32_e32 8, v61
; %bb.38:                               ;   in Loop: Header=BB353_13 Depth=1
	v_ffbh_u32_e32 v59, v27
	v_min_u32_e32 v59, 32, v59
	v_subrev_nc_u32_e32 v61, 28, v59
	v_sub_nc_u32_e32 v59, 29, v59
	v_lshlrev_b64 v[61:62], v61, v[27:28]
	v_and_b32_e32 v27, 7, v61
; %bb.39:                               ;   in Loop: Header=BB353_13 Depth=1
	s_or_b32 exec_lo, exec_lo, s52
	v_lshlrev_b32_sdwa v61, v49, v60 dst_sel:DWORD dst_unused:UNUSED_PAD src0_sel:DWORD src1_sel:WORD_1
	v_lshlrev_b32_e32 v27, 20, v27
	v_lshl_add_u32 v59, v59, 23, 0x3c000000
	v_and_b32_e32 v61, 0x80000000, v61
	v_or3_b32 v59, v27, v61, v59
.LBB353_40:                             ;   in Loop: Header=BB353_13 Depth=1
	s_or_b32 exec_lo, exec_lo, s51
.LBB353_41:                             ;   in Loop: Header=BB353_13 Depth=1
	s_or_b32 exec_lo, exec_lo, s50
.LBB353_42:                             ;   in Loop: Header=BB353_13 Depth=1
	s_or_b32 exec_lo, exec_lo, s4
	s_mov_b32 s4, exec_lo
	v_cmpx_lt_u32_e32 0xffffff, v60
	s_cbranch_execz .LBB353_50
; %bb.43:                               ;   in Loop: Header=BB353_13 Depth=1
	v_cmp_ne_u32_sdwa s2, v60, v45 src0_sel:BYTE_3 src1_sel:DWORD
	v_bfrev_b32_e32 v58, 1
	s_and_saveexec_b32 s50, s2
	s_cbranch_execz .LBB353_49
; %bb.44:                               ;   in Loop: Header=BB353_13 Depth=1
	v_bfe_u32 v61, v60, 24, 7
	v_mov_b32_e32 v58, 0x7f800001
	s_mov_b32 s51, exec_lo
	v_cmpx_ne_u32_e32 0x7f, v61
	s_cbranch_execz .LBB353_48
; %bb.45:                               ;   in Loop: Header=BB353_13 Depth=1
	v_and_b32_sdwa v27, v60, v48 dst_sel:DWORD dst_unused:UNUSED_PAD src0_sel:BYTE_3 src1_sel:DWORD
	v_lshrrev_b32_e32 v58, 3, v61
	s_mov_b32 s52, exec_lo
	v_cmpx_gt_u32_e32 8, v61
; %bb.46:                               ;   in Loop: Header=BB353_13 Depth=1
	v_ffbh_u32_e32 v58, v27
	v_min_u32_e32 v58, 32, v58
	v_subrev_nc_u32_e32 v61, 28, v58
	v_sub_nc_u32_e32 v58, 29, v58
	v_lshlrev_b64 v[61:62], v61, v[27:28]
	v_and_b32_e32 v27, 7, v61
; %bb.47:                               ;   in Loop: Header=BB353_13 Depth=1
	s_or_b32 exec_lo, exec_lo, s52
	v_lshlrev_b32_sdwa v60, v49, v60 dst_sel:DWORD dst_unused:UNUSED_PAD src0_sel:DWORD src1_sel:BYTE_3
	v_lshlrev_b32_e32 v27, 20, v27
	v_lshl_add_u32 v58, v58, 23, 0x3c000000
	v_and_b32_e32 v60, 0x80000000, v60
	v_or3_b32 v58, v27, v60, v58
.LBB353_48:                             ;   in Loop: Header=BB353_13 Depth=1
	s_or_b32 exec_lo, exec_lo, s51
.LBB353_49:                             ;   in Loop: Header=BB353_13 Depth=1
	s_or_b32 exec_lo, exec_lo, s50
.LBB353_50:                             ;   in Loop: Header=BB353_13 Depth=1
	s_or_b32 exec_lo, exec_lo, s4
	global_load_dword v64, v[33:34], off offset:8
	v_mov_b32_e32 v60, 0
	v_mov_b32_e32 v61, 0
	s_waitcnt vmcnt(0)
	v_cmp_ne_u16_sdwa s2, v64, v28 src0_sel:BYTE_0 src1_sel:DWORD
	s_and_saveexec_b32 s4, s2
	s_cbranch_execz .LBB353_58
; %bb.51:                               ;   in Loop: Header=BB353_13 Depth=1
	v_cmp_ne_u16_sdwa s2, v64, v45 src0_sel:BYTE_0 src1_sel:DWORD
	v_bfrev_b32_e32 v61, 1
	s_and_saveexec_b32 s50, s2
	s_cbranch_execz .LBB353_57
; %bb.52:                               ;   in Loop: Header=BB353_13 Depth=1
	v_and_b32_e32 v62, 0x7f, v64
	v_mov_b32_e32 v61, 0x7f800001
	s_mov_b32 s51, exec_lo
	v_cmpx_ne_u32_e32 0x7f, v62
	s_cbranch_execz .LBB353_56
; %bb.53:                               ;   in Loop: Header=BB353_13 Depth=1
	v_and_b32_e32 v27, 7, v64
	v_lshrrev_b32_e32 v61, 3, v62
	s_mov_b32 s52, exec_lo
	v_cmpx_gt_u32_e32 8, v62
; %bb.54:                               ;   in Loop: Header=BB353_13 Depth=1
	v_ffbh_u32_e32 v61, v27
	v_min_u32_e32 v61, 32, v61
	v_subrev_nc_u32_e32 v62, 28, v61
	v_sub_nc_u32_e32 v61, 29, v61
	v_lshlrev_b64 v[62:63], v62, v[27:28]
	v_and_b32_e32 v27, 7, v62
; %bb.55:                               ;   in Loop: Header=BB353_13 Depth=1
	s_or_b32 exec_lo, exec_lo, s52
	v_lshlrev_b32_e32 v62, 24, v64
	v_lshlrev_b32_e32 v27, 20, v27
	v_lshl_add_u32 v61, v61, 23, 0x3c000000
	v_and_b32_e32 v62, 0x80000000, v62
	v_or3_b32 v61, v27, v62, v61
.LBB353_56:                             ;   in Loop: Header=BB353_13 Depth=1
	s_or_b32 exec_lo, exec_lo, s51
.LBB353_57:                             ;   in Loop: Header=BB353_13 Depth=1
	s_or_b32 exec_lo, exec_lo, s50
.LBB353_58:                             ;   in Loop: Header=BB353_13 Depth=1
	s_or_b32 exec_lo, exec_lo, s4
	v_cmp_ne_u16_sdwa s2, v64, v28 src0_sel:BYTE_1 src1_sel:DWORD
	s_and_saveexec_b32 s4, s2
	s_cbranch_execz .LBB353_66
; %bb.59:                               ;   in Loop: Header=BB353_13 Depth=1
	v_cmp_ne_u16_sdwa s2, v64, v45 src0_sel:BYTE_1 src1_sel:DWORD
	v_bfrev_b32_e32 v60, 1
	s_and_saveexec_b32 s50, s2
	s_cbranch_execz .LBB353_65
; %bb.60:                               ;   in Loop: Header=BB353_13 Depth=1
	v_and_b32_sdwa v27, v46, v64 dst_sel:DWORD dst_unused:UNUSED_PAD src0_sel:DWORD src1_sel:BYTE_1
	v_mov_b32_e32 v60, 0x7f800001
	s_mov_b32 s51, exec_lo
	v_and_b32_e32 v62, 0x7f, v27
	v_cmpx_ne_u32_e32 0x7f, v62
	s_cbranch_execz .LBB353_64
; %bb.61:                               ;   in Loop: Header=BB353_13 Depth=1
	v_and_b32_e32 v27, 7, v27
	v_lshrrev_b32_e32 v60, 3, v62
	s_mov_b32 s52, exec_lo
	v_cmpx_gt_u32_e32 8, v62
; %bb.62:                               ;   in Loop: Header=BB353_13 Depth=1
	v_ffbh_u32_e32 v60, v27
	v_min_u32_e32 v60, 32, v60
	v_subrev_nc_u32_e32 v62, 28, v60
	v_sub_nc_u32_e32 v60, 29, v60
	v_lshlrev_b64 v[62:63], v62, v[27:28]
	v_and_b32_e32 v27, 7, v62
; %bb.63:                               ;   in Loop: Header=BB353_13 Depth=1
	s_or_b32 exec_lo, exec_lo, s52
	v_lshlrev_b32_e32 v62, 16, v64
	v_lshlrev_b32_e32 v27, 20, v27
	v_lshl_add_u32 v60, v60, 23, 0x3c000000
	v_and_b32_e32 v62, 0x80000000, v62
	v_or3_b32 v60, v27, v62, v60
.LBB353_64:                             ;   in Loop: Header=BB353_13 Depth=1
	s_or_b32 exec_lo, exec_lo, s51
.LBB353_65:                             ;   in Loop: Header=BB353_13 Depth=1
	s_or_b32 exec_lo, exec_lo, s50
.LBB353_66:                             ;   in Loop: Header=BB353_13 Depth=1
	s_or_b32 exec_lo, exec_lo, s4
	v_and_b32_sdwa v27, v64, v47 dst_sel:DWORD dst_unused:UNUSED_PAD src0_sel:WORD_1 src1_sel:DWORD
	v_mov_b32_e32 v62, 0
	v_mov_b32_e32 v63, 0
	s_mov_b32 s4, exec_lo
	v_cmpx_ne_u16_e32 0, v27
	s_cbranch_execz .LBB353_74
; %bb.67:                               ;   in Loop: Header=BB353_13 Depth=1
	v_bfrev_b32_e32 v63, 1
	s_mov_b32 s50, exec_lo
	v_cmpx_ne_u16_e32 0x80, v27
	s_cbranch_execz .LBB353_73
; %bb.68:                               ;   in Loop: Header=BB353_13 Depth=1
	v_bfe_u32 v65, v64, 16, 7
	v_mov_b32_e32 v63, 0x7f800001
	s_mov_b32 s51, exec_lo
	v_cmpx_ne_u32_e32 0x7f, v65
	s_cbranch_execz .LBB353_72
; %bb.69:                               ;   in Loop: Header=BB353_13 Depth=1
	v_and_b32_sdwa v27, v64, v48 dst_sel:DWORD dst_unused:UNUSED_PAD src0_sel:WORD_1 src1_sel:DWORD
	v_lshrrev_b32_e32 v63, 3, v65
	s_mov_b32 s52, exec_lo
	v_cmpx_gt_u32_e32 8, v65
; %bb.70:                               ;   in Loop: Header=BB353_13 Depth=1
	v_ffbh_u32_e32 v63, v27
	v_min_u32_e32 v63, 32, v63
	v_subrev_nc_u32_e32 v65, 28, v63
	v_sub_nc_u32_e32 v63, 29, v63
	v_lshlrev_b64 v[65:66], v65, v[27:28]
	v_and_b32_e32 v27, 7, v65
; %bb.71:                               ;   in Loop: Header=BB353_13 Depth=1
	s_or_b32 exec_lo, exec_lo, s52
	v_lshlrev_b32_sdwa v65, v49, v64 dst_sel:DWORD dst_unused:UNUSED_PAD src0_sel:DWORD src1_sel:WORD_1
	v_lshlrev_b32_e32 v27, 20, v27
	v_lshl_add_u32 v63, v63, 23, 0x3c000000
	v_and_b32_e32 v65, 0x80000000, v65
	v_or3_b32 v63, v27, v65, v63
.LBB353_72:                             ;   in Loop: Header=BB353_13 Depth=1
	s_or_b32 exec_lo, exec_lo, s51
.LBB353_73:                             ;   in Loop: Header=BB353_13 Depth=1
	s_or_b32 exec_lo, exec_lo, s50
.LBB353_74:                             ;   in Loop: Header=BB353_13 Depth=1
	s_or_b32 exec_lo, exec_lo, s4
	s_mov_b32 s4, exec_lo
	v_cmpx_lt_u32_e32 0xffffff, v64
	s_cbranch_execz .LBB353_82
; %bb.75:                               ;   in Loop: Header=BB353_13 Depth=1
	v_cmp_ne_u32_sdwa s2, v64, v45 src0_sel:BYTE_3 src1_sel:DWORD
	v_bfrev_b32_e32 v62, 1
	s_and_saveexec_b32 s50, s2
	s_cbranch_execz .LBB353_81
; %bb.76:                               ;   in Loop: Header=BB353_13 Depth=1
	v_bfe_u32 v65, v64, 24, 7
	v_mov_b32_e32 v62, 0x7f800001
	s_mov_b32 s51, exec_lo
	v_cmpx_ne_u32_e32 0x7f, v65
	s_cbranch_execz .LBB353_80
; %bb.77:                               ;   in Loop: Header=BB353_13 Depth=1
	v_and_b32_sdwa v27, v64, v48 dst_sel:DWORD dst_unused:UNUSED_PAD src0_sel:BYTE_3 src1_sel:DWORD
	v_lshrrev_b32_e32 v62, 3, v65
	s_mov_b32 s52, exec_lo
	v_cmpx_gt_u32_e32 8, v65
; %bb.78:                               ;   in Loop: Header=BB353_13 Depth=1
	v_ffbh_u32_e32 v62, v27
	v_min_u32_e32 v62, 32, v62
	v_subrev_nc_u32_e32 v65, 28, v62
	v_sub_nc_u32_e32 v62, 29, v62
	v_lshlrev_b64 v[65:66], v65, v[27:28]
	v_and_b32_e32 v27, 7, v65
; %bb.79:                               ;   in Loop: Header=BB353_13 Depth=1
	s_or_b32 exec_lo, exec_lo, s52
	v_lshlrev_b32_sdwa v64, v49, v64 dst_sel:DWORD dst_unused:UNUSED_PAD src0_sel:DWORD src1_sel:BYTE_3
	v_lshlrev_b32_e32 v27, 20, v27
	v_lshl_add_u32 v62, v62, 23, 0x3c000000
	v_and_b32_e32 v64, 0x80000000, v64
	v_or3_b32 v62, v27, v64, v62
.LBB353_80:                             ;   in Loop: Header=BB353_13 Depth=1
	s_or_b32 exec_lo, exec_lo, s51
.LBB353_81:                             ;   in Loop: Header=BB353_13 Depth=1
	s_or_b32 exec_lo, exec_lo, s50
.LBB353_82:                             ;   in Loop: Header=BB353_13 Depth=1
	s_or_b32 exec_lo, exec_lo, s4
	global_load_dword v68, v[33:34], off offset:256
	v_mov_b32_e32 v64, 0
	v_mov_b32_e32 v65, 0
	s_waitcnt vmcnt(0)
	v_cmp_ne_u16_sdwa s2, v68, v28 src0_sel:BYTE_0 src1_sel:DWORD
	s_and_saveexec_b32 s4, s2
	s_cbranch_execz .LBB353_90
; %bb.83:                               ;   in Loop: Header=BB353_13 Depth=1
	v_cmp_ne_u16_sdwa s2, v68, v45 src0_sel:BYTE_0 src1_sel:DWORD
	v_bfrev_b32_e32 v65, 1
	s_and_saveexec_b32 s50, s2
	s_cbranch_execz .LBB353_89
; %bb.84:                               ;   in Loop: Header=BB353_13 Depth=1
	v_and_b32_e32 v66, 0x7f, v68
	v_mov_b32_e32 v65, 0x7f800001
	s_mov_b32 s51, exec_lo
	v_cmpx_ne_u32_e32 0x7f, v66
	s_cbranch_execz .LBB353_88
; %bb.85:                               ;   in Loop: Header=BB353_13 Depth=1
	v_and_b32_e32 v27, 7, v68
	v_lshrrev_b32_e32 v65, 3, v66
	s_mov_b32 s52, exec_lo
	v_cmpx_gt_u32_e32 8, v66
; %bb.86:                               ;   in Loop: Header=BB353_13 Depth=1
	v_ffbh_u32_e32 v65, v27
	v_min_u32_e32 v65, 32, v65
	v_subrev_nc_u32_e32 v66, 28, v65
	v_sub_nc_u32_e32 v65, 29, v65
	v_lshlrev_b64 v[66:67], v66, v[27:28]
	v_and_b32_e32 v27, 7, v66
; %bb.87:                               ;   in Loop: Header=BB353_13 Depth=1
	s_or_b32 exec_lo, exec_lo, s52
	v_lshlrev_b32_e32 v66, 24, v68
	v_lshlrev_b32_e32 v27, 20, v27
	v_lshl_add_u32 v65, v65, 23, 0x3c000000
	v_and_b32_e32 v66, 0x80000000, v66
	v_or3_b32 v65, v27, v66, v65
.LBB353_88:                             ;   in Loop: Header=BB353_13 Depth=1
	s_or_b32 exec_lo, exec_lo, s51
.LBB353_89:                             ;   in Loop: Header=BB353_13 Depth=1
	s_or_b32 exec_lo, exec_lo, s50
.LBB353_90:                             ;   in Loop: Header=BB353_13 Depth=1
	s_or_b32 exec_lo, exec_lo, s4
	v_cmp_ne_u16_sdwa s2, v68, v28 src0_sel:BYTE_1 src1_sel:DWORD
	s_and_saveexec_b32 s4, s2
	s_cbranch_execz .LBB353_98
; %bb.91:                               ;   in Loop: Header=BB353_13 Depth=1
	v_cmp_ne_u16_sdwa s2, v68, v45 src0_sel:BYTE_1 src1_sel:DWORD
	v_bfrev_b32_e32 v64, 1
	s_and_saveexec_b32 s50, s2
	s_cbranch_execz .LBB353_97
; %bb.92:                               ;   in Loop: Header=BB353_13 Depth=1
	v_and_b32_sdwa v27, v46, v68 dst_sel:DWORD dst_unused:UNUSED_PAD src0_sel:DWORD src1_sel:BYTE_1
	v_mov_b32_e32 v64, 0x7f800001
	s_mov_b32 s51, exec_lo
	v_and_b32_e32 v66, 0x7f, v27
	v_cmpx_ne_u32_e32 0x7f, v66
	s_cbranch_execz .LBB353_96
; %bb.93:                               ;   in Loop: Header=BB353_13 Depth=1
	v_and_b32_e32 v27, 7, v27
	v_lshrrev_b32_e32 v64, 3, v66
	s_mov_b32 s52, exec_lo
	v_cmpx_gt_u32_e32 8, v66
; %bb.94:                               ;   in Loop: Header=BB353_13 Depth=1
	v_ffbh_u32_e32 v64, v27
	v_min_u32_e32 v64, 32, v64
	v_subrev_nc_u32_e32 v66, 28, v64
	v_sub_nc_u32_e32 v64, 29, v64
	v_lshlrev_b64 v[66:67], v66, v[27:28]
	v_and_b32_e32 v27, 7, v66
; %bb.95:                               ;   in Loop: Header=BB353_13 Depth=1
	s_or_b32 exec_lo, exec_lo, s52
	v_lshlrev_b32_e32 v66, 16, v68
	v_lshlrev_b32_e32 v27, 20, v27
	v_lshl_add_u32 v64, v64, 23, 0x3c000000
	v_and_b32_e32 v66, 0x80000000, v66
	v_or3_b32 v64, v27, v66, v64
.LBB353_96:                             ;   in Loop: Header=BB353_13 Depth=1
	s_or_b32 exec_lo, exec_lo, s51
.LBB353_97:                             ;   in Loop: Header=BB353_13 Depth=1
	s_or_b32 exec_lo, exec_lo, s50
.LBB353_98:                             ;   in Loop: Header=BB353_13 Depth=1
	s_or_b32 exec_lo, exec_lo, s4
	v_and_b32_sdwa v27, v68, v47 dst_sel:DWORD dst_unused:UNUSED_PAD src0_sel:WORD_1 src1_sel:DWORD
	v_mov_b32_e32 v66, 0
	v_mov_b32_e32 v67, 0
	s_mov_b32 s4, exec_lo
	v_cmpx_ne_u16_e32 0, v27
	s_cbranch_execz .LBB353_106
; %bb.99:                               ;   in Loop: Header=BB353_13 Depth=1
	v_bfrev_b32_e32 v67, 1
	s_mov_b32 s50, exec_lo
	v_cmpx_ne_u16_e32 0x80, v27
	s_cbranch_execz .LBB353_105
; %bb.100:                              ;   in Loop: Header=BB353_13 Depth=1
	v_bfe_u32 v69, v68, 16, 7
	v_mov_b32_e32 v67, 0x7f800001
	s_mov_b32 s51, exec_lo
	v_cmpx_ne_u32_e32 0x7f, v69
	s_cbranch_execz .LBB353_104
; %bb.101:                              ;   in Loop: Header=BB353_13 Depth=1
	v_and_b32_sdwa v27, v68, v48 dst_sel:DWORD dst_unused:UNUSED_PAD src0_sel:WORD_1 src1_sel:DWORD
	v_lshrrev_b32_e32 v67, 3, v69
	s_mov_b32 s52, exec_lo
	v_cmpx_gt_u32_e32 8, v69
; %bb.102:                              ;   in Loop: Header=BB353_13 Depth=1
	v_ffbh_u32_e32 v67, v27
	v_min_u32_e32 v67, 32, v67
	v_subrev_nc_u32_e32 v69, 28, v67
	v_sub_nc_u32_e32 v67, 29, v67
	v_lshlrev_b64 v[69:70], v69, v[27:28]
	v_and_b32_e32 v27, 7, v69
; %bb.103:                              ;   in Loop: Header=BB353_13 Depth=1
	s_or_b32 exec_lo, exec_lo, s52
	v_lshlrev_b32_sdwa v69, v49, v68 dst_sel:DWORD dst_unused:UNUSED_PAD src0_sel:DWORD src1_sel:WORD_1
	v_lshlrev_b32_e32 v27, 20, v27
	v_lshl_add_u32 v67, v67, 23, 0x3c000000
	v_and_b32_e32 v69, 0x80000000, v69
	v_or3_b32 v67, v27, v69, v67
.LBB353_104:                            ;   in Loop: Header=BB353_13 Depth=1
	s_or_b32 exec_lo, exec_lo, s51
.LBB353_105:                            ;   in Loop: Header=BB353_13 Depth=1
	s_or_b32 exec_lo, exec_lo, s50
.LBB353_106:                            ;   in Loop: Header=BB353_13 Depth=1
	s_or_b32 exec_lo, exec_lo, s4
	s_mov_b32 s4, exec_lo
	v_cmpx_lt_u32_e32 0xffffff, v68
	s_cbranch_execz .LBB353_114
; %bb.107:                              ;   in Loop: Header=BB353_13 Depth=1
	v_cmp_ne_u32_sdwa s2, v68, v45 src0_sel:BYTE_3 src1_sel:DWORD
	v_bfrev_b32_e32 v66, 1
	s_and_saveexec_b32 s50, s2
	s_cbranch_execz .LBB353_113
; %bb.108:                              ;   in Loop: Header=BB353_13 Depth=1
	v_bfe_u32 v69, v68, 24, 7
	v_mov_b32_e32 v66, 0x7f800001
	s_mov_b32 s51, exec_lo
	v_cmpx_ne_u32_e32 0x7f, v69
	s_cbranch_execz .LBB353_112
; %bb.109:                              ;   in Loop: Header=BB353_13 Depth=1
	v_and_b32_sdwa v27, v68, v48 dst_sel:DWORD dst_unused:UNUSED_PAD src0_sel:BYTE_3 src1_sel:DWORD
	v_lshrrev_b32_e32 v66, 3, v69
	s_mov_b32 s52, exec_lo
	v_cmpx_gt_u32_e32 8, v69
; %bb.110:                              ;   in Loop: Header=BB353_13 Depth=1
	v_ffbh_u32_e32 v66, v27
	v_min_u32_e32 v66, 32, v66
	v_subrev_nc_u32_e32 v69, 28, v66
	v_sub_nc_u32_e32 v66, 29, v66
	v_lshlrev_b64 v[69:70], v69, v[27:28]
	v_and_b32_e32 v27, 7, v69
; %bb.111:                              ;   in Loop: Header=BB353_13 Depth=1
	s_or_b32 exec_lo, exec_lo, s52
	v_lshlrev_b32_sdwa v68, v49, v68 dst_sel:DWORD dst_unused:UNUSED_PAD src0_sel:DWORD src1_sel:BYTE_3
	v_lshlrev_b32_e32 v27, 20, v27
	v_lshl_add_u32 v66, v66, 23, 0x3c000000
	v_and_b32_e32 v68, 0x80000000, v68
	v_or3_b32 v66, v27, v68, v66
.LBB353_112:                            ;   in Loop: Header=BB353_13 Depth=1
	s_or_b32 exec_lo, exec_lo, s51
.LBB353_113:                            ;   in Loop: Header=BB353_13 Depth=1
	s_or_b32 exec_lo, exec_lo, s50
.LBB353_114:                            ;   in Loop: Header=BB353_13 Depth=1
	s_or_b32 exec_lo, exec_lo, s4
	global_load_dword v72, v[33:34], off offset:264
	v_mov_b32_e32 v68, 0
	v_mov_b32_e32 v69, 0
	s_waitcnt vmcnt(0)
	v_cmp_ne_u16_sdwa s2, v72, v28 src0_sel:BYTE_0 src1_sel:DWORD
	s_and_saveexec_b32 s4, s2
	s_cbranch_execz .LBB353_122
; %bb.115:                              ;   in Loop: Header=BB353_13 Depth=1
	v_cmp_ne_u16_sdwa s2, v72, v45 src0_sel:BYTE_0 src1_sel:DWORD
	v_bfrev_b32_e32 v69, 1
	s_and_saveexec_b32 s50, s2
	s_cbranch_execz .LBB353_121
; %bb.116:                              ;   in Loop: Header=BB353_13 Depth=1
	v_and_b32_e32 v70, 0x7f, v72
	v_mov_b32_e32 v69, 0x7f800001
	s_mov_b32 s51, exec_lo
	v_cmpx_ne_u32_e32 0x7f, v70
	s_cbranch_execz .LBB353_120
; %bb.117:                              ;   in Loop: Header=BB353_13 Depth=1
	v_and_b32_e32 v27, 7, v72
	v_lshrrev_b32_e32 v69, 3, v70
	s_mov_b32 s52, exec_lo
	v_cmpx_gt_u32_e32 8, v70
; %bb.118:                              ;   in Loop: Header=BB353_13 Depth=1
	v_ffbh_u32_e32 v69, v27
	v_min_u32_e32 v69, 32, v69
	v_subrev_nc_u32_e32 v70, 28, v69
	v_sub_nc_u32_e32 v69, 29, v69
	v_lshlrev_b64 v[70:71], v70, v[27:28]
	v_and_b32_e32 v27, 7, v70
; %bb.119:                              ;   in Loop: Header=BB353_13 Depth=1
	s_or_b32 exec_lo, exec_lo, s52
	v_lshlrev_b32_e32 v70, 24, v72
	v_lshlrev_b32_e32 v27, 20, v27
	v_lshl_add_u32 v69, v69, 23, 0x3c000000
	v_and_b32_e32 v70, 0x80000000, v70
	v_or3_b32 v69, v27, v70, v69
.LBB353_120:                            ;   in Loop: Header=BB353_13 Depth=1
	s_or_b32 exec_lo, exec_lo, s51
.LBB353_121:                            ;   in Loop: Header=BB353_13 Depth=1
	s_or_b32 exec_lo, exec_lo, s50
.LBB353_122:                            ;   in Loop: Header=BB353_13 Depth=1
	s_or_b32 exec_lo, exec_lo, s4
	v_cmp_ne_u16_sdwa s2, v72, v28 src0_sel:BYTE_1 src1_sel:DWORD
	s_and_saveexec_b32 s4, s2
	s_cbranch_execz .LBB353_130
; %bb.123:                              ;   in Loop: Header=BB353_13 Depth=1
	v_cmp_ne_u16_sdwa s2, v72, v45 src0_sel:BYTE_1 src1_sel:DWORD
	v_bfrev_b32_e32 v68, 1
	s_and_saveexec_b32 s50, s2
	s_cbranch_execz .LBB353_129
; %bb.124:                              ;   in Loop: Header=BB353_13 Depth=1
	v_and_b32_sdwa v27, v46, v72 dst_sel:DWORD dst_unused:UNUSED_PAD src0_sel:DWORD src1_sel:BYTE_1
	v_mov_b32_e32 v68, 0x7f800001
	s_mov_b32 s51, exec_lo
	v_and_b32_e32 v70, 0x7f, v27
	v_cmpx_ne_u32_e32 0x7f, v70
	s_cbranch_execz .LBB353_128
; %bb.125:                              ;   in Loop: Header=BB353_13 Depth=1
	v_and_b32_e32 v27, 7, v27
	v_lshrrev_b32_e32 v68, 3, v70
	s_mov_b32 s52, exec_lo
	v_cmpx_gt_u32_e32 8, v70
; %bb.126:                              ;   in Loop: Header=BB353_13 Depth=1
	v_ffbh_u32_e32 v68, v27
	v_min_u32_e32 v68, 32, v68
	v_subrev_nc_u32_e32 v70, 28, v68
	v_sub_nc_u32_e32 v68, 29, v68
	v_lshlrev_b64 v[70:71], v70, v[27:28]
	v_and_b32_e32 v27, 7, v70
; %bb.127:                              ;   in Loop: Header=BB353_13 Depth=1
	s_or_b32 exec_lo, exec_lo, s52
	v_lshlrev_b32_e32 v70, 16, v72
	v_lshlrev_b32_e32 v27, 20, v27
	v_lshl_add_u32 v68, v68, 23, 0x3c000000
	v_and_b32_e32 v70, 0x80000000, v70
	v_or3_b32 v68, v27, v70, v68
.LBB353_128:                            ;   in Loop: Header=BB353_13 Depth=1
	s_or_b32 exec_lo, exec_lo, s51
.LBB353_129:                            ;   in Loop: Header=BB353_13 Depth=1
	s_or_b32 exec_lo, exec_lo, s50
.LBB353_130:                            ;   in Loop: Header=BB353_13 Depth=1
	s_or_b32 exec_lo, exec_lo, s4
	v_and_b32_sdwa v27, v72, v47 dst_sel:DWORD dst_unused:UNUSED_PAD src0_sel:WORD_1 src1_sel:DWORD
	v_mov_b32_e32 v70, 0
	v_mov_b32_e32 v71, 0
	s_mov_b32 s4, exec_lo
	v_cmpx_ne_u16_e32 0, v27
	s_cbranch_execz .LBB353_138
; %bb.131:                              ;   in Loop: Header=BB353_13 Depth=1
	v_bfrev_b32_e32 v71, 1
	s_mov_b32 s50, exec_lo
	v_cmpx_ne_u16_e32 0x80, v27
	s_cbranch_execz .LBB353_137
; %bb.132:                              ;   in Loop: Header=BB353_13 Depth=1
	v_bfe_u32 v73, v72, 16, 7
	v_mov_b32_e32 v71, 0x7f800001
	s_mov_b32 s51, exec_lo
	v_cmpx_ne_u32_e32 0x7f, v73
	s_cbranch_execz .LBB353_136
; %bb.133:                              ;   in Loop: Header=BB353_13 Depth=1
	v_and_b32_sdwa v27, v72, v48 dst_sel:DWORD dst_unused:UNUSED_PAD src0_sel:WORD_1 src1_sel:DWORD
	v_lshrrev_b32_e32 v71, 3, v73
	s_mov_b32 s52, exec_lo
	v_cmpx_gt_u32_e32 8, v73
; %bb.134:                              ;   in Loop: Header=BB353_13 Depth=1
	v_ffbh_u32_e32 v71, v27
	v_min_u32_e32 v71, 32, v71
	v_subrev_nc_u32_e32 v73, 28, v71
	v_sub_nc_u32_e32 v71, 29, v71
	v_lshlrev_b64 v[73:74], v73, v[27:28]
	v_and_b32_e32 v27, 7, v73
; %bb.135:                              ;   in Loop: Header=BB353_13 Depth=1
	s_or_b32 exec_lo, exec_lo, s52
	v_lshlrev_b32_sdwa v73, v49, v72 dst_sel:DWORD dst_unused:UNUSED_PAD src0_sel:DWORD src1_sel:WORD_1
	v_lshlrev_b32_e32 v27, 20, v27
	v_lshl_add_u32 v71, v71, 23, 0x3c000000
	v_and_b32_e32 v73, 0x80000000, v73
	v_or3_b32 v71, v27, v73, v71
.LBB353_136:                            ;   in Loop: Header=BB353_13 Depth=1
	s_or_b32 exec_lo, exec_lo, s51
.LBB353_137:                            ;   in Loop: Header=BB353_13 Depth=1
	s_or_b32 exec_lo, exec_lo, s50
.LBB353_138:                            ;   in Loop: Header=BB353_13 Depth=1
	s_or_b32 exec_lo, exec_lo, s4
	s_mov_b32 s4, exec_lo
	v_cmpx_lt_u32_e32 0xffffff, v72
	s_cbranch_execz .LBB353_146
; %bb.139:                              ;   in Loop: Header=BB353_13 Depth=1
	v_cmp_ne_u32_sdwa s2, v72, v45 src0_sel:BYTE_3 src1_sel:DWORD
	v_bfrev_b32_e32 v70, 1
	s_and_saveexec_b32 s50, s2
	s_cbranch_execz .LBB353_145
; %bb.140:                              ;   in Loop: Header=BB353_13 Depth=1
	v_bfe_u32 v73, v72, 24, 7
	v_mov_b32_e32 v70, 0x7f800001
	s_mov_b32 s51, exec_lo
	v_cmpx_ne_u32_e32 0x7f, v73
	s_cbranch_execz .LBB353_144
; %bb.141:                              ;   in Loop: Header=BB353_13 Depth=1
	v_and_b32_sdwa v27, v72, v48 dst_sel:DWORD dst_unused:UNUSED_PAD src0_sel:BYTE_3 src1_sel:DWORD
	v_lshrrev_b32_e32 v70, 3, v73
	s_mov_b32 s52, exec_lo
	v_cmpx_gt_u32_e32 8, v73
; %bb.142:                              ;   in Loop: Header=BB353_13 Depth=1
	v_ffbh_u32_e32 v70, v27
	v_min_u32_e32 v70, 32, v70
	v_subrev_nc_u32_e32 v73, 28, v70
	v_sub_nc_u32_e32 v70, 29, v70
	v_lshlrev_b64 v[73:74], v73, v[27:28]
	v_and_b32_e32 v27, 7, v73
; %bb.143:                              ;   in Loop: Header=BB353_13 Depth=1
	s_or_b32 exec_lo, exec_lo, s52
	v_lshlrev_b32_sdwa v72, v49, v72 dst_sel:DWORD dst_unused:UNUSED_PAD src0_sel:DWORD src1_sel:BYTE_3
	v_lshlrev_b32_e32 v27, 20, v27
	v_lshl_add_u32 v70, v70, 23, 0x3c000000
	v_and_b32_e32 v72, 0x80000000, v72
	v_or3_b32 v70, v27, v72, v70
.LBB353_144:                            ;   in Loop: Header=BB353_13 Depth=1
	s_or_b32 exec_lo, exec_lo, s51
.LBB353_145:                            ;   in Loop: Header=BB353_13 Depth=1
	s_or_b32 exec_lo, exec_lo, s50
.LBB353_146:                            ;   in Loop: Header=BB353_13 Depth=1
	s_or_b32 exec_lo, exec_lo, s4
	global_load_dword v76, v[33:34], off offset:512
	v_mov_b32_e32 v72, 0
	v_mov_b32_e32 v73, 0
	s_waitcnt vmcnt(0)
	v_cmp_ne_u16_sdwa s2, v76, v28 src0_sel:BYTE_0 src1_sel:DWORD
	s_and_saveexec_b32 s4, s2
	s_cbranch_execz .LBB353_154
; %bb.147:                              ;   in Loop: Header=BB353_13 Depth=1
	v_cmp_ne_u16_sdwa s2, v76, v45 src0_sel:BYTE_0 src1_sel:DWORD
	v_bfrev_b32_e32 v73, 1
	s_and_saveexec_b32 s50, s2
	s_cbranch_execz .LBB353_153
; %bb.148:                              ;   in Loop: Header=BB353_13 Depth=1
	v_and_b32_e32 v74, 0x7f, v76
	v_mov_b32_e32 v73, 0x7f800001
	s_mov_b32 s51, exec_lo
	v_cmpx_ne_u32_e32 0x7f, v74
	s_cbranch_execz .LBB353_152
; %bb.149:                              ;   in Loop: Header=BB353_13 Depth=1
	v_and_b32_e32 v27, 7, v76
	v_lshrrev_b32_e32 v73, 3, v74
	s_mov_b32 s52, exec_lo
	v_cmpx_gt_u32_e32 8, v74
; %bb.150:                              ;   in Loop: Header=BB353_13 Depth=1
	v_ffbh_u32_e32 v73, v27
	v_min_u32_e32 v73, 32, v73
	v_subrev_nc_u32_e32 v74, 28, v73
	v_sub_nc_u32_e32 v73, 29, v73
	v_lshlrev_b64 v[74:75], v74, v[27:28]
	v_and_b32_e32 v27, 7, v74
; %bb.151:                              ;   in Loop: Header=BB353_13 Depth=1
	s_or_b32 exec_lo, exec_lo, s52
	v_lshlrev_b32_e32 v74, 24, v76
	v_lshlrev_b32_e32 v27, 20, v27
	v_lshl_add_u32 v73, v73, 23, 0x3c000000
	v_and_b32_e32 v74, 0x80000000, v74
	v_or3_b32 v73, v27, v74, v73
.LBB353_152:                            ;   in Loop: Header=BB353_13 Depth=1
	s_or_b32 exec_lo, exec_lo, s51
.LBB353_153:                            ;   in Loop: Header=BB353_13 Depth=1
	s_or_b32 exec_lo, exec_lo, s50
.LBB353_154:                            ;   in Loop: Header=BB353_13 Depth=1
	s_or_b32 exec_lo, exec_lo, s4
	v_cmp_ne_u16_sdwa s2, v76, v28 src0_sel:BYTE_1 src1_sel:DWORD
	s_and_saveexec_b32 s4, s2
	s_cbranch_execz .LBB353_162
; %bb.155:                              ;   in Loop: Header=BB353_13 Depth=1
	v_cmp_ne_u16_sdwa s2, v76, v45 src0_sel:BYTE_1 src1_sel:DWORD
	v_bfrev_b32_e32 v72, 1
	s_and_saveexec_b32 s50, s2
	s_cbranch_execz .LBB353_161
; %bb.156:                              ;   in Loop: Header=BB353_13 Depth=1
	v_and_b32_sdwa v27, v46, v76 dst_sel:DWORD dst_unused:UNUSED_PAD src0_sel:DWORD src1_sel:BYTE_1
	v_mov_b32_e32 v72, 0x7f800001
	s_mov_b32 s51, exec_lo
	v_and_b32_e32 v74, 0x7f, v27
	v_cmpx_ne_u32_e32 0x7f, v74
	s_cbranch_execz .LBB353_160
; %bb.157:                              ;   in Loop: Header=BB353_13 Depth=1
	v_and_b32_e32 v27, 7, v27
	v_lshrrev_b32_e32 v72, 3, v74
	s_mov_b32 s52, exec_lo
	v_cmpx_gt_u32_e32 8, v74
; %bb.158:                              ;   in Loop: Header=BB353_13 Depth=1
	v_ffbh_u32_e32 v72, v27
	v_min_u32_e32 v72, 32, v72
	v_subrev_nc_u32_e32 v74, 28, v72
	v_sub_nc_u32_e32 v72, 29, v72
	v_lshlrev_b64 v[74:75], v74, v[27:28]
	v_and_b32_e32 v27, 7, v74
; %bb.159:                              ;   in Loop: Header=BB353_13 Depth=1
	s_or_b32 exec_lo, exec_lo, s52
	v_lshlrev_b32_e32 v74, 16, v76
	v_lshlrev_b32_e32 v27, 20, v27
	v_lshl_add_u32 v72, v72, 23, 0x3c000000
	v_and_b32_e32 v74, 0x80000000, v74
	v_or3_b32 v72, v27, v74, v72
.LBB353_160:                            ;   in Loop: Header=BB353_13 Depth=1
	s_or_b32 exec_lo, exec_lo, s51
.LBB353_161:                            ;   in Loop: Header=BB353_13 Depth=1
	s_or_b32 exec_lo, exec_lo, s50
.LBB353_162:                            ;   in Loop: Header=BB353_13 Depth=1
	s_or_b32 exec_lo, exec_lo, s4
	v_and_b32_sdwa v27, v76, v47 dst_sel:DWORD dst_unused:UNUSED_PAD src0_sel:WORD_1 src1_sel:DWORD
	v_mov_b32_e32 v74, 0
	v_mov_b32_e32 v75, 0
	s_mov_b32 s4, exec_lo
	v_cmpx_ne_u16_e32 0, v27
	s_cbranch_execz .LBB353_170
; %bb.163:                              ;   in Loop: Header=BB353_13 Depth=1
	v_bfrev_b32_e32 v75, 1
	s_mov_b32 s50, exec_lo
	v_cmpx_ne_u16_e32 0x80, v27
	s_cbranch_execz .LBB353_169
; %bb.164:                              ;   in Loop: Header=BB353_13 Depth=1
	v_bfe_u32 v77, v76, 16, 7
	v_mov_b32_e32 v75, 0x7f800001
	s_mov_b32 s51, exec_lo
	v_cmpx_ne_u32_e32 0x7f, v77
	s_cbranch_execz .LBB353_168
; %bb.165:                              ;   in Loop: Header=BB353_13 Depth=1
	v_and_b32_sdwa v27, v76, v48 dst_sel:DWORD dst_unused:UNUSED_PAD src0_sel:WORD_1 src1_sel:DWORD
	v_lshrrev_b32_e32 v75, 3, v77
	s_mov_b32 s52, exec_lo
	v_cmpx_gt_u32_e32 8, v77
; %bb.166:                              ;   in Loop: Header=BB353_13 Depth=1
	v_ffbh_u32_e32 v75, v27
	v_min_u32_e32 v75, 32, v75
	v_subrev_nc_u32_e32 v77, 28, v75
	v_sub_nc_u32_e32 v75, 29, v75
	v_lshlrev_b64 v[77:78], v77, v[27:28]
	v_and_b32_e32 v27, 7, v77
; %bb.167:                              ;   in Loop: Header=BB353_13 Depth=1
	s_or_b32 exec_lo, exec_lo, s52
	v_lshlrev_b32_sdwa v77, v49, v76 dst_sel:DWORD dst_unused:UNUSED_PAD src0_sel:DWORD src1_sel:WORD_1
	v_lshlrev_b32_e32 v27, 20, v27
	v_lshl_add_u32 v75, v75, 23, 0x3c000000
	v_and_b32_e32 v77, 0x80000000, v77
	v_or3_b32 v75, v27, v77, v75
.LBB353_168:                            ;   in Loop: Header=BB353_13 Depth=1
	s_or_b32 exec_lo, exec_lo, s51
.LBB353_169:                            ;   in Loop: Header=BB353_13 Depth=1
	s_or_b32 exec_lo, exec_lo, s50
.LBB353_170:                            ;   in Loop: Header=BB353_13 Depth=1
	s_or_b32 exec_lo, exec_lo, s4
	s_mov_b32 s4, exec_lo
	v_cmpx_lt_u32_e32 0xffffff, v76
	s_cbranch_execz .LBB353_178
; %bb.171:                              ;   in Loop: Header=BB353_13 Depth=1
	v_cmp_ne_u32_sdwa s2, v76, v45 src0_sel:BYTE_3 src1_sel:DWORD
	v_bfrev_b32_e32 v74, 1
	s_and_saveexec_b32 s50, s2
	s_cbranch_execz .LBB353_177
; %bb.172:                              ;   in Loop: Header=BB353_13 Depth=1
	v_bfe_u32 v77, v76, 24, 7
	v_mov_b32_e32 v74, 0x7f800001
	s_mov_b32 s51, exec_lo
	v_cmpx_ne_u32_e32 0x7f, v77
	s_cbranch_execz .LBB353_176
; %bb.173:                              ;   in Loop: Header=BB353_13 Depth=1
	v_and_b32_sdwa v27, v76, v48 dst_sel:DWORD dst_unused:UNUSED_PAD src0_sel:BYTE_3 src1_sel:DWORD
	v_lshrrev_b32_e32 v74, 3, v77
	s_mov_b32 s52, exec_lo
	v_cmpx_gt_u32_e32 8, v77
; %bb.174:                              ;   in Loop: Header=BB353_13 Depth=1
	v_ffbh_u32_e32 v74, v27
	v_min_u32_e32 v74, 32, v74
	v_subrev_nc_u32_e32 v77, 28, v74
	v_sub_nc_u32_e32 v74, 29, v74
	v_lshlrev_b64 v[77:78], v77, v[27:28]
	v_and_b32_e32 v27, 7, v77
; %bb.175:                              ;   in Loop: Header=BB353_13 Depth=1
	s_or_b32 exec_lo, exec_lo, s52
	v_lshlrev_b32_sdwa v76, v49, v76 dst_sel:DWORD dst_unused:UNUSED_PAD src0_sel:DWORD src1_sel:BYTE_3
	v_lshlrev_b32_e32 v27, 20, v27
	v_lshl_add_u32 v74, v74, 23, 0x3c000000
	v_and_b32_e32 v76, 0x80000000, v76
	v_or3_b32 v74, v27, v76, v74
.LBB353_176:                            ;   in Loop: Header=BB353_13 Depth=1
	s_or_b32 exec_lo, exec_lo, s51
.LBB353_177:                            ;   in Loop: Header=BB353_13 Depth=1
	s_or_b32 exec_lo, exec_lo, s50
.LBB353_178:                            ;   in Loop: Header=BB353_13 Depth=1
	s_or_b32 exec_lo, exec_lo, s4
	global_load_dword v80, v[33:34], off offset:520
	v_mov_b32_e32 v76, 0
	v_mov_b32_e32 v77, 0
	s_waitcnt vmcnt(0)
	v_cmp_ne_u16_sdwa s2, v80, v28 src0_sel:BYTE_0 src1_sel:DWORD
	s_and_saveexec_b32 s4, s2
	s_cbranch_execz .LBB353_186
; %bb.179:                              ;   in Loop: Header=BB353_13 Depth=1
	v_cmp_ne_u16_sdwa s2, v80, v45 src0_sel:BYTE_0 src1_sel:DWORD
	v_bfrev_b32_e32 v77, 1
	s_and_saveexec_b32 s50, s2
	s_cbranch_execz .LBB353_185
; %bb.180:                              ;   in Loop: Header=BB353_13 Depth=1
	v_and_b32_e32 v78, 0x7f, v80
	v_mov_b32_e32 v77, 0x7f800001
	s_mov_b32 s51, exec_lo
	v_cmpx_ne_u32_e32 0x7f, v78
	s_cbranch_execz .LBB353_184
; %bb.181:                              ;   in Loop: Header=BB353_13 Depth=1
	v_and_b32_e32 v27, 7, v80
	v_lshrrev_b32_e32 v77, 3, v78
	s_mov_b32 s52, exec_lo
	v_cmpx_gt_u32_e32 8, v78
; %bb.182:                              ;   in Loop: Header=BB353_13 Depth=1
	v_ffbh_u32_e32 v77, v27
	v_min_u32_e32 v77, 32, v77
	v_subrev_nc_u32_e32 v78, 28, v77
	v_sub_nc_u32_e32 v77, 29, v77
	v_lshlrev_b64 v[78:79], v78, v[27:28]
	v_and_b32_e32 v27, 7, v78
; %bb.183:                              ;   in Loop: Header=BB353_13 Depth=1
	s_or_b32 exec_lo, exec_lo, s52
	v_lshlrev_b32_e32 v78, 24, v80
	v_lshlrev_b32_e32 v27, 20, v27
	v_lshl_add_u32 v77, v77, 23, 0x3c000000
	v_and_b32_e32 v78, 0x80000000, v78
	v_or3_b32 v77, v27, v78, v77
.LBB353_184:                            ;   in Loop: Header=BB353_13 Depth=1
	s_or_b32 exec_lo, exec_lo, s51
.LBB353_185:                            ;   in Loop: Header=BB353_13 Depth=1
	s_or_b32 exec_lo, exec_lo, s50
.LBB353_186:                            ;   in Loop: Header=BB353_13 Depth=1
	s_or_b32 exec_lo, exec_lo, s4
	v_cmp_ne_u16_sdwa s2, v80, v28 src0_sel:BYTE_1 src1_sel:DWORD
	s_and_saveexec_b32 s4, s2
	s_cbranch_execz .LBB353_194
; %bb.187:                              ;   in Loop: Header=BB353_13 Depth=1
	v_cmp_ne_u16_sdwa s2, v80, v45 src0_sel:BYTE_1 src1_sel:DWORD
	v_bfrev_b32_e32 v76, 1
	s_and_saveexec_b32 s50, s2
	s_cbranch_execz .LBB353_193
; %bb.188:                              ;   in Loop: Header=BB353_13 Depth=1
	v_and_b32_sdwa v27, v46, v80 dst_sel:DWORD dst_unused:UNUSED_PAD src0_sel:DWORD src1_sel:BYTE_1
	v_mov_b32_e32 v76, 0x7f800001
	s_mov_b32 s51, exec_lo
	v_and_b32_e32 v78, 0x7f, v27
	v_cmpx_ne_u32_e32 0x7f, v78
	s_cbranch_execz .LBB353_192
; %bb.189:                              ;   in Loop: Header=BB353_13 Depth=1
	v_and_b32_e32 v27, 7, v27
	v_lshrrev_b32_e32 v76, 3, v78
	s_mov_b32 s52, exec_lo
	v_cmpx_gt_u32_e32 8, v78
; %bb.190:                              ;   in Loop: Header=BB353_13 Depth=1
	v_ffbh_u32_e32 v76, v27
	v_min_u32_e32 v76, 32, v76
	v_subrev_nc_u32_e32 v78, 28, v76
	v_sub_nc_u32_e32 v76, 29, v76
	v_lshlrev_b64 v[78:79], v78, v[27:28]
	v_and_b32_e32 v27, 7, v78
; %bb.191:                              ;   in Loop: Header=BB353_13 Depth=1
	s_or_b32 exec_lo, exec_lo, s52
	v_lshlrev_b32_e32 v78, 16, v80
	v_lshlrev_b32_e32 v27, 20, v27
	v_lshl_add_u32 v76, v76, 23, 0x3c000000
	v_and_b32_e32 v78, 0x80000000, v78
	v_or3_b32 v76, v27, v78, v76
.LBB353_192:                            ;   in Loop: Header=BB353_13 Depth=1
	s_or_b32 exec_lo, exec_lo, s51
.LBB353_193:                            ;   in Loop: Header=BB353_13 Depth=1
	s_or_b32 exec_lo, exec_lo, s50
.LBB353_194:                            ;   in Loop: Header=BB353_13 Depth=1
	s_or_b32 exec_lo, exec_lo, s4
	v_and_b32_sdwa v27, v80, v47 dst_sel:DWORD dst_unused:UNUSED_PAD src0_sel:WORD_1 src1_sel:DWORD
	v_mov_b32_e32 v78, 0
	v_mov_b32_e32 v79, 0
	s_mov_b32 s4, exec_lo
	v_cmpx_ne_u16_e32 0, v27
	s_cbranch_execz .LBB353_202
; %bb.195:                              ;   in Loop: Header=BB353_13 Depth=1
	v_bfrev_b32_e32 v79, 1
	s_mov_b32 s50, exec_lo
	v_cmpx_ne_u16_e32 0x80, v27
	s_cbranch_execz .LBB353_201
; %bb.196:                              ;   in Loop: Header=BB353_13 Depth=1
	v_bfe_u32 v81, v80, 16, 7
	v_mov_b32_e32 v79, 0x7f800001
	s_mov_b32 s51, exec_lo
	v_cmpx_ne_u32_e32 0x7f, v81
	s_cbranch_execz .LBB353_200
; %bb.197:                              ;   in Loop: Header=BB353_13 Depth=1
	v_and_b32_sdwa v27, v80, v48 dst_sel:DWORD dst_unused:UNUSED_PAD src0_sel:WORD_1 src1_sel:DWORD
	v_lshrrev_b32_e32 v79, 3, v81
	s_mov_b32 s52, exec_lo
	v_cmpx_gt_u32_e32 8, v81
; %bb.198:                              ;   in Loop: Header=BB353_13 Depth=1
	v_ffbh_u32_e32 v79, v27
	v_min_u32_e32 v79, 32, v79
	v_subrev_nc_u32_e32 v81, 28, v79
	v_sub_nc_u32_e32 v79, 29, v79
	v_lshlrev_b64 v[81:82], v81, v[27:28]
	v_and_b32_e32 v27, 7, v81
; %bb.199:                              ;   in Loop: Header=BB353_13 Depth=1
	s_or_b32 exec_lo, exec_lo, s52
	v_lshlrev_b32_sdwa v81, v49, v80 dst_sel:DWORD dst_unused:UNUSED_PAD src0_sel:DWORD src1_sel:WORD_1
	v_lshlrev_b32_e32 v27, 20, v27
	v_lshl_add_u32 v79, v79, 23, 0x3c000000
	v_and_b32_e32 v81, 0x80000000, v81
	v_or3_b32 v79, v27, v81, v79
.LBB353_200:                            ;   in Loop: Header=BB353_13 Depth=1
	s_or_b32 exec_lo, exec_lo, s51
.LBB353_201:                            ;   in Loop: Header=BB353_13 Depth=1
	s_or_b32 exec_lo, exec_lo, s50
.LBB353_202:                            ;   in Loop: Header=BB353_13 Depth=1
	s_or_b32 exec_lo, exec_lo, s4
	s_mov_b32 s4, exec_lo
	v_cmpx_lt_u32_e32 0xffffff, v80
	s_cbranch_execz .LBB353_210
; %bb.203:                              ;   in Loop: Header=BB353_13 Depth=1
	v_cmp_ne_u32_sdwa s2, v80, v45 src0_sel:BYTE_3 src1_sel:DWORD
	v_bfrev_b32_e32 v78, 1
	s_and_saveexec_b32 s50, s2
	s_cbranch_execz .LBB353_209
; %bb.204:                              ;   in Loop: Header=BB353_13 Depth=1
	v_bfe_u32 v81, v80, 24, 7
	v_mov_b32_e32 v78, 0x7f800001
	s_mov_b32 s51, exec_lo
	v_cmpx_ne_u32_e32 0x7f, v81
	s_cbranch_execz .LBB353_208
; %bb.205:                              ;   in Loop: Header=BB353_13 Depth=1
	v_and_b32_sdwa v27, v80, v48 dst_sel:DWORD dst_unused:UNUSED_PAD src0_sel:BYTE_3 src1_sel:DWORD
	v_lshrrev_b32_e32 v78, 3, v81
	s_mov_b32 s52, exec_lo
	v_cmpx_gt_u32_e32 8, v81
; %bb.206:                              ;   in Loop: Header=BB353_13 Depth=1
	v_ffbh_u32_e32 v78, v27
	v_min_u32_e32 v78, 32, v78
	v_subrev_nc_u32_e32 v81, 28, v78
	v_sub_nc_u32_e32 v78, 29, v78
	v_lshlrev_b64 v[81:82], v81, v[27:28]
	v_and_b32_e32 v27, 7, v81
; %bb.207:                              ;   in Loop: Header=BB353_13 Depth=1
	s_or_b32 exec_lo, exec_lo, s52
	v_lshlrev_b32_sdwa v80, v49, v80 dst_sel:DWORD dst_unused:UNUSED_PAD src0_sel:DWORD src1_sel:BYTE_3
	v_lshlrev_b32_e32 v27, 20, v27
	v_lshl_add_u32 v78, v78, 23, 0x3c000000
	v_and_b32_e32 v80, 0x80000000, v80
	v_or3_b32 v78, v27, v80, v78
.LBB353_208:                            ;   in Loop: Header=BB353_13 Depth=1
	s_or_b32 exec_lo, exec_lo, s51
.LBB353_209:                            ;   in Loop: Header=BB353_13 Depth=1
	s_or_b32 exec_lo, exec_lo, s50
.LBB353_210:                            ;   in Loop: Header=BB353_13 Depth=1
	s_or_b32 exec_lo, exec_lo, s4
	global_load_dword v84, v[33:34], off offset:768
	v_mov_b32_e32 v80, 0
	v_mov_b32_e32 v81, 0
	s_waitcnt vmcnt(0)
	v_cmp_ne_u16_sdwa s2, v84, v28 src0_sel:BYTE_0 src1_sel:DWORD
	s_and_saveexec_b32 s4, s2
	s_cbranch_execz .LBB353_218
; %bb.211:                              ;   in Loop: Header=BB353_13 Depth=1
	v_cmp_ne_u16_sdwa s2, v84, v45 src0_sel:BYTE_0 src1_sel:DWORD
	v_bfrev_b32_e32 v81, 1
	s_and_saveexec_b32 s50, s2
	s_cbranch_execz .LBB353_217
; %bb.212:                              ;   in Loop: Header=BB353_13 Depth=1
	v_and_b32_e32 v82, 0x7f, v84
	v_mov_b32_e32 v81, 0x7f800001
	s_mov_b32 s51, exec_lo
	v_cmpx_ne_u32_e32 0x7f, v82
	s_cbranch_execz .LBB353_216
; %bb.213:                              ;   in Loop: Header=BB353_13 Depth=1
	v_and_b32_e32 v27, 7, v84
	v_lshrrev_b32_e32 v81, 3, v82
	s_mov_b32 s52, exec_lo
	v_cmpx_gt_u32_e32 8, v82
; %bb.214:                              ;   in Loop: Header=BB353_13 Depth=1
	v_ffbh_u32_e32 v81, v27
	v_min_u32_e32 v81, 32, v81
	v_subrev_nc_u32_e32 v82, 28, v81
	v_sub_nc_u32_e32 v81, 29, v81
	v_lshlrev_b64 v[82:83], v82, v[27:28]
	v_and_b32_e32 v27, 7, v82
; %bb.215:                              ;   in Loop: Header=BB353_13 Depth=1
	s_or_b32 exec_lo, exec_lo, s52
	v_lshlrev_b32_e32 v82, 24, v84
	v_lshlrev_b32_e32 v27, 20, v27
	v_lshl_add_u32 v81, v81, 23, 0x3c000000
	v_and_b32_e32 v82, 0x80000000, v82
	v_or3_b32 v81, v27, v82, v81
.LBB353_216:                            ;   in Loop: Header=BB353_13 Depth=1
	s_or_b32 exec_lo, exec_lo, s51
.LBB353_217:                            ;   in Loop: Header=BB353_13 Depth=1
	s_or_b32 exec_lo, exec_lo, s50
.LBB353_218:                            ;   in Loop: Header=BB353_13 Depth=1
	s_or_b32 exec_lo, exec_lo, s4
	v_cmp_ne_u16_sdwa s2, v84, v28 src0_sel:BYTE_1 src1_sel:DWORD
	s_and_saveexec_b32 s4, s2
	s_cbranch_execz .LBB353_226
; %bb.219:                              ;   in Loop: Header=BB353_13 Depth=1
	v_cmp_ne_u16_sdwa s2, v84, v45 src0_sel:BYTE_1 src1_sel:DWORD
	v_bfrev_b32_e32 v80, 1
	s_and_saveexec_b32 s50, s2
	s_cbranch_execz .LBB353_225
; %bb.220:                              ;   in Loop: Header=BB353_13 Depth=1
	v_and_b32_sdwa v27, v46, v84 dst_sel:DWORD dst_unused:UNUSED_PAD src0_sel:DWORD src1_sel:BYTE_1
	v_mov_b32_e32 v80, 0x7f800001
	s_mov_b32 s51, exec_lo
	v_and_b32_e32 v82, 0x7f, v27
	v_cmpx_ne_u32_e32 0x7f, v82
	s_cbranch_execz .LBB353_224
; %bb.221:                              ;   in Loop: Header=BB353_13 Depth=1
	v_and_b32_e32 v27, 7, v27
	v_lshrrev_b32_e32 v80, 3, v82
	s_mov_b32 s52, exec_lo
	v_cmpx_gt_u32_e32 8, v82
; %bb.222:                              ;   in Loop: Header=BB353_13 Depth=1
	v_ffbh_u32_e32 v80, v27
	v_min_u32_e32 v80, 32, v80
	v_subrev_nc_u32_e32 v82, 28, v80
	v_sub_nc_u32_e32 v80, 29, v80
	v_lshlrev_b64 v[82:83], v82, v[27:28]
	v_and_b32_e32 v27, 7, v82
; %bb.223:                              ;   in Loop: Header=BB353_13 Depth=1
	s_or_b32 exec_lo, exec_lo, s52
	v_lshlrev_b32_e32 v82, 16, v84
	v_lshlrev_b32_e32 v27, 20, v27
	v_lshl_add_u32 v80, v80, 23, 0x3c000000
	v_and_b32_e32 v82, 0x80000000, v82
	v_or3_b32 v80, v27, v82, v80
.LBB353_224:                            ;   in Loop: Header=BB353_13 Depth=1
	s_or_b32 exec_lo, exec_lo, s51
.LBB353_225:                            ;   in Loop: Header=BB353_13 Depth=1
	s_or_b32 exec_lo, exec_lo, s50
.LBB353_226:                            ;   in Loop: Header=BB353_13 Depth=1
	s_or_b32 exec_lo, exec_lo, s4
	v_and_b32_sdwa v27, v84, v47 dst_sel:DWORD dst_unused:UNUSED_PAD src0_sel:WORD_1 src1_sel:DWORD
	v_mov_b32_e32 v82, 0
	v_mov_b32_e32 v83, 0
	s_mov_b32 s4, exec_lo
	v_cmpx_ne_u16_e32 0, v27
	s_cbranch_execz .LBB353_234
; %bb.227:                              ;   in Loop: Header=BB353_13 Depth=1
	v_bfrev_b32_e32 v83, 1
	s_mov_b32 s50, exec_lo
	v_cmpx_ne_u16_e32 0x80, v27
	s_cbranch_execz .LBB353_233
; %bb.228:                              ;   in Loop: Header=BB353_13 Depth=1
	v_bfe_u32 v85, v84, 16, 7
	v_mov_b32_e32 v83, 0x7f800001
	s_mov_b32 s51, exec_lo
	v_cmpx_ne_u32_e32 0x7f, v85
	s_cbranch_execz .LBB353_232
; %bb.229:                              ;   in Loop: Header=BB353_13 Depth=1
	v_and_b32_sdwa v27, v84, v48 dst_sel:DWORD dst_unused:UNUSED_PAD src0_sel:WORD_1 src1_sel:DWORD
	v_lshrrev_b32_e32 v83, 3, v85
	s_mov_b32 s52, exec_lo
	v_cmpx_gt_u32_e32 8, v85
; %bb.230:                              ;   in Loop: Header=BB353_13 Depth=1
	v_ffbh_u32_e32 v83, v27
	v_min_u32_e32 v83, 32, v83
	v_subrev_nc_u32_e32 v85, 28, v83
	v_sub_nc_u32_e32 v83, 29, v83
	v_lshlrev_b64 v[85:86], v85, v[27:28]
	v_and_b32_e32 v27, 7, v85
; %bb.231:                              ;   in Loop: Header=BB353_13 Depth=1
	s_or_b32 exec_lo, exec_lo, s52
	v_lshlrev_b32_sdwa v85, v49, v84 dst_sel:DWORD dst_unused:UNUSED_PAD src0_sel:DWORD src1_sel:WORD_1
	v_lshlrev_b32_e32 v27, 20, v27
	v_lshl_add_u32 v83, v83, 23, 0x3c000000
	v_and_b32_e32 v85, 0x80000000, v85
	v_or3_b32 v83, v27, v85, v83
.LBB353_232:                            ;   in Loop: Header=BB353_13 Depth=1
	s_or_b32 exec_lo, exec_lo, s51
.LBB353_233:                            ;   in Loop: Header=BB353_13 Depth=1
	s_or_b32 exec_lo, exec_lo, s50
.LBB353_234:                            ;   in Loop: Header=BB353_13 Depth=1
	s_or_b32 exec_lo, exec_lo, s4
	s_mov_b32 s4, exec_lo
	v_cmpx_lt_u32_e32 0xffffff, v84
	s_cbranch_execz .LBB353_242
; %bb.235:                              ;   in Loop: Header=BB353_13 Depth=1
	v_cmp_ne_u32_sdwa s2, v84, v45 src0_sel:BYTE_3 src1_sel:DWORD
	v_bfrev_b32_e32 v82, 1
	s_and_saveexec_b32 s50, s2
	s_cbranch_execz .LBB353_241
; %bb.236:                              ;   in Loop: Header=BB353_13 Depth=1
	v_bfe_u32 v85, v84, 24, 7
	v_mov_b32_e32 v82, 0x7f800001
	s_mov_b32 s51, exec_lo
	v_cmpx_ne_u32_e32 0x7f, v85
	s_cbranch_execz .LBB353_240
; %bb.237:                              ;   in Loop: Header=BB353_13 Depth=1
	v_and_b32_sdwa v27, v84, v48 dst_sel:DWORD dst_unused:UNUSED_PAD src0_sel:BYTE_3 src1_sel:DWORD
	v_lshrrev_b32_e32 v82, 3, v85
	s_mov_b32 s52, exec_lo
	v_cmpx_gt_u32_e32 8, v85
; %bb.238:                              ;   in Loop: Header=BB353_13 Depth=1
	v_ffbh_u32_e32 v82, v27
	v_min_u32_e32 v82, 32, v82
	v_subrev_nc_u32_e32 v85, 28, v82
	v_sub_nc_u32_e32 v82, 29, v82
	v_lshlrev_b64 v[85:86], v85, v[27:28]
	v_and_b32_e32 v27, 7, v85
; %bb.239:                              ;   in Loop: Header=BB353_13 Depth=1
	s_or_b32 exec_lo, exec_lo, s52
	v_lshlrev_b32_sdwa v84, v49, v84 dst_sel:DWORD dst_unused:UNUSED_PAD src0_sel:DWORD src1_sel:BYTE_3
	v_lshlrev_b32_e32 v27, 20, v27
	v_lshl_add_u32 v82, v82, 23, 0x3c000000
	v_and_b32_e32 v84, 0x80000000, v84
	v_or3_b32 v82, v27, v84, v82
.LBB353_240:                            ;   in Loop: Header=BB353_13 Depth=1
	s_or_b32 exec_lo, exec_lo, s51
.LBB353_241:                            ;   in Loop: Header=BB353_13 Depth=1
	s_or_b32 exec_lo, exec_lo, s50
.LBB353_242:                            ;   in Loop: Header=BB353_13 Depth=1
	s_or_b32 exec_lo, exec_lo, s4
	global_load_dword v88, v[33:34], off offset:776
	v_mov_b32_e32 v84, 0
	v_mov_b32_e32 v85, 0
	s_waitcnt vmcnt(0)
	v_cmp_ne_u16_sdwa s2, v88, v28 src0_sel:BYTE_0 src1_sel:DWORD
	s_and_saveexec_b32 s4, s2
	s_cbranch_execz .LBB353_250
; %bb.243:                              ;   in Loop: Header=BB353_13 Depth=1
	v_cmp_ne_u16_sdwa s2, v88, v45 src0_sel:BYTE_0 src1_sel:DWORD
	v_bfrev_b32_e32 v85, 1
	s_and_saveexec_b32 s50, s2
	s_cbranch_execz .LBB353_249
; %bb.244:                              ;   in Loop: Header=BB353_13 Depth=1
	v_and_b32_e32 v86, 0x7f, v88
	v_mov_b32_e32 v85, 0x7f800001
	s_mov_b32 s51, exec_lo
	v_cmpx_ne_u32_e32 0x7f, v86
	s_cbranch_execz .LBB353_248
; %bb.245:                              ;   in Loop: Header=BB353_13 Depth=1
	v_and_b32_e32 v27, 7, v88
	v_lshrrev_b32_e32 v85, 3, v86
	s_mov_b32 s52, exec_lo
	v_cmpx_gt_u32_e32 8, v86
; %bb.246:                              ;   in Loop: Header=BB353_13 Depth=1
	v_ffbh_u32_e32 v85, v27
	v_min_u32_e32 v85, 32, v85
	v_subrev_nc_u32_e32 v86, 28, v85
	v_sub_nc_u32_e32 v85, 29, v85
	v_lshlrev_b64 v[86:87], v86, v[27:28]
	v_and_b32_e32 v27, 7, v86
; %bb.247:                              ;   in Loop: Header=BB353_13 Depth=1
	s_or_b32 exec_lo, exec_lo, s52
	v_lshlrev_b32_e32 v86, 24, v88
	v_lshlrev_b32_e32 v27, 20, v27
	v_lshl_add_u32 v85, v85, 23, 0x3c000000
	v_and_b32_e32 v86, 0x80000000, v86
	v_or3_b32 v85, v27, v86, v85
.LBB353_248:                            ;   in Loop: Header=BB353_13 Depth=1
	s_or_b32 exec_lo, exec_lo, s51
.LBB353_249:                            ;   in Loop: Header=BB353_13 Depth=1
	s_or_b32 exec_lo, exec_lo, s50
.LBB353_250:                            ;   in Loop: Header=BB353_13 Depth=1
	s_or_b32 exec_lo, exec_lo, s4
	v_cmp_ne_u16_sdwa s2, v88, v28 src0_sel:BYTE_1 src1_sel:DWORD
	s_and_saveexec_b32 s4, s2
	s_cbranch_execz .LBB353_258
; %bb.251:                              ;   in Loop: Header=BB353_13 Depth=1
	v_cmp_ne_u16_sdwa s2, v88, v45 src0_sel:BYTE_1 src1_sel:DWORD
	v_bfrev_b32_e32 v84, 1
	s_and_saveexec_b32 s50, s2
	s_cbranch_execz .LBB353_257
; %bb.252:                              ;   in Loop: Header=BB353_13 Depth=1
	v_and_b32_sdwa v27, v46, v88 dst_sel:DWORD dst_unused:UNUSED_PAD src0_sel:DWORD src1_sel:BYTE_1
	v_mov_b32_e32 v84, 0x7f800001
	s_mov_b32 s51, exec_lo
	v_and_b32_e32 v86, 0x7f, v27
	v_cmpx_ne_u32_e32 0x7f, v86
	s_cbranch_execz .LBB353_256
; %bb.253:                              ;   in Loop: Header=BB353_13 Depth=1
	v_and_b32_e32 v27, 7, v27
	v_lshrrev_b32_e32 v84, 3, v86
	s_mov_b32 s52, exec_lo
	v_cmpx_gt_u32_e32 8, v86
; %bb.254:                              ;   in Loop: Header=BB353_13 Depth=1
	v_ffbh_u32_e32 v84, v27
	v_min_u32_e32 v84, 32, v84
	v_subrev_nc_u32_e32 v86, 28, v84
	v_sub_nc_u32_e32 v84, 29, v84
	v_lshlrev_b64 v[86:87], v86, v[27:28]
	v_and_b32_e32 v27, 7, v86
; %bb.255:                              ;   in Loop: Header=BB353_13 Depth=1
	s_or_b32 exec_lo, exec_lo, s52
	v_lshlrev_b32_e32 v86, 16, v88
	v_lshlrev_b32_e32 v27, 20, v27
	v_lshl_add_u32 v84, v84, 23, 0x3c000000
	v_and_b32_e32 v86, 0x80000000, v86
	v_or3_b32 v84, v27, v86, v84
.LBB353_256:                            ;   in Loop: Header=BB353_13 Depth=1
	s_or_b32 exec_lo, exec_lo, s51
.LBB353_257:                            ;   in Loop: Header=BB353_13 Depth=1
	s_or_b32 exec_lo, exec_lo, s50
.LBB353_258:                            ;   in Loop: Header=BB353_13 Depth=1
	s_or_b32 exec_lo, exec_lo, s4
	v_and_b32_sdwa v27, v88, v47 dst_sel:DWORD dst_unused:UNUSED_PAD src0_sel:WORD_1 src1_sel:DWORD
	v_mov_b32_e32 v86, 0
	v_mov_b32_e32 v87, 0
	s_mov_b32 s4, exec_lo
	v_cmpx_ne_u16_e32 0, v27
	s_cbranch_execz .LBB353_266
; %bb.259:                              ;   in Loop: Header=BB353_13 Depth=1
	v_bfrev_b32_e32 v87, 1
	s_mov_b32 s50, exec_lo
	v_cmpx_ne_u16_e32 0x80, v27
	s_cbranch_execz .LBB353_265
; %bb.260:                              ;   in Loop: Header=BB353_13 Depth=1
	v_bfe_u32 v89, v88, 16, 7
	v_mov_b32_e32 v87, 0x7f800001
	s_mov_b32 s51, exec_lo
	v_cmpx_ne_u32_e32 0x7f, v89
	s_cbranch_execz .LBB353_264
; %bb.261:                              ;   in Loop: Header=BB353_13 Depth=1
	v_and_b32_sdwa v27, v88, v48 dst_sel:DWORD dst_unused:UNUSED_PAD src0_sel:WORD_1 src1_sel:DWORD
	v_lshrrev_b32_e32 v87, 3, v89
	s_mov_b32 s52, exec_lo
	v_cmpx_gt_u32_e32 8, v89
; %bb.262:                              ;   in Loop: Header=BB353_13 Depth=1
	v_ffbh_u32_e32 v87, v27
	v_min_u32_e32 v87, 32, v87
	v_subrev_nc_u32_e32 v89, 28, v87
	v_sub_nc_u32_e32 v87, 29, v87
	v_lshlrev_b64 v[89:90], v89, v[27:28]
	v_and_b32_e32 v27, 7, v89
; %bb.263:                              ;   in Loop: Header=BB353_13 Depth=1
	s_or_b32 exec_lo, exec_lo, s52
	v_lshlrev_b32_sdwa v89, v49, v88 dst_sel:DWORD dst_unused:UNUSED_PAD src0_sel:DWORD src1_sel:WORD_1
	v_lshlrev_b32_e32 v27, 20, v27
	v_lshl_add_u32 v87, v87, 23, 0x3c000000
	v_and_b32_e32 v89, 0x80000000, v89
	v_or3_b32 v87, v27, v89, v87
.LBB353_264:                            ;   in Loop: Header=BB353_13 Depth=1
	s_or_b32 exec_lo, exec_lo, s51
.LBB353_265:                            ;   in Loop: Header=BB353_13 Depth=1
	s_or_b32 exec_lo, exec_lo, s50
.LBB353_266:                            ;   in Loop: Header=BB353_13 Depth=1
	s_or_b32 exec_lo, exec_lo, s4
	s_mov_b32 s4, exec_lo
	v_cmpx_lt_u32_e32 0xffffff, v88
	s_cbranch_execz .LBB353_274
; %bb.267:                              ;   in Loop: Header=BB353_13 Depth=1
	v_cmp_ne_u32_sdwa s2, v88, v45 src0_sel:BYTE_3 src1_sel:DWORD
	v_bfrev_b32_e32 v86, 1
	s_and_saveexec_b32 s50, s2
	s_cbranch_execz .LBB353_273
; %bb.268:                              ;   in Loop: Header=BB353_13 Depth=1
	v_bfe_u32 v89, v88, 24, 7
	v_mov_b32_e32 v86, 0x7f800001
	s_mov_b32 s51, exec_lo
	v_cmpx_ne_u32_e32 0x7f, v89
	s_cbranch_execz .LBB353_272
; %bb.269:                              ;   in Loop: Header=BB353_13 Depth=1
	v_and_b32_sdwa v27, v88, v48 dst_sel:DWORD dst_unused:UNUSED_PAD src0_sel:BYTE_3 src1_sel:DWORD
	v_lshrrev_b32_e32 v86, 3, v89
	s_mov_b32 s52, exec_lo
	v_cmpx_gt_u32_e32 8, v89
; %bb.270:                              ;   in Loop: Header=BB353_13 Depth=1
	v_ffbh_u32_e32 v86, v27
	v_min_u32_e32 v86, 32, v86
	v_subrev_nc_u32_e32 v89, 28, v86
	v_sub_nc_u32_e32 v86, 29, v86
	v_lshlrev_b64 v[89:90], v89, v[27:28]
	v_and_b32_e32 v27, 7, v89
; %bb.271:                              ;   in Loop: Header=BB353_13 Depth=1
	s_or_b32 exec_lo, exec_lo, s52
	v_lshlrev_b32_sdwa v88, v49, v88 dst_sel:DWORD dst_unused:UNUSED_PAD src0_sel:DWORD src1_sel:BYTE_3
	v_lshlrev_b32_e32 v27, 20, v27
	v_lshl_add_u32 v86, v86, 23, 0x3c000000
	v_and_b32_e32 v88, 0x80000000, v88
	v_or3_b32 v86, v27, v88, v86
.LBB353_272:                            ;   in Loop: Header=BB353_13 Depth=1
	s_or_b32 exec_lo, exec_lo, s51
.LBB353_273:                            ;   in Loop: Header=BB353_13 Depth=1
	s_or_b32 exec_lo, exec_lo, s50
.LBB353_274:                            ;   in Loop: Header=BB353_13 Depth=1
	s_or_b32 exec_lo, exec_lo, s4
	global_load_dword v92, v[33:34], off offset:1024
	v_mov_b32_e32 v88, 0
	v_mov_b32_e32 v89, 0
	s_waitcnt vmcnt(0)
	v_cmp_ne_u16_sdwa s2, v92, v28 src0_sel:BYTE_0 src1_sel:DWORD
	s_and_saveexec_b32 s4, s2
	s_cbranch_execz .LBB353_282
; %bb.275:                              ;   in Loop: Header=BB353_13 Depth=1
	v_cmp_ne_u16_sdwa s2, v92, v45 src0_sel:BYTE_0 src1_sel:DWORD
	v_bfrev_b32_e32 v89, 1
	s_and_saveexec_b32 s50, s2
	s_cbranch_execz .LBB353_281
; %bb.276:                              ;   in Loop: Header=BB353_13 Depth=1
	v_and_b32_e32 v90, 0x7f, v92
	v_mov_b32_e32 v89, 0x7f800001
	s_mov_b32 s51, exec_lo
	v_cmpx_ne_u32_e32 0x7f, v90
	s_cbranch_execz .LBB353_280
; %bb.277:                              ;   in Loop: Header=BB353_13 Depth=1
	v_and_b32_e32 v27, 7, v92
	v_lshrrev_b32_e32 v89, 3, v90
	s_mov_b32 s52, exec_lo
	v_cmpx_gt_u32_e32 8, v90
; %bb.278:                              ;   in Loop: Header=BB353_13 Depth=1
	v_ffbh_u32_e32 v89, v27
	v_min_u32_e32 v89, 32, v89
	v_subrev_nc_u32_e32 v90, 28, v89
	v_sub_nc_u32_e32 v89, 29, v89
	v_lshlrev_b64 v[90:91], v90, v[27:28]
	v_and_b32_e32 v27, 7, v90
; %bb.279:                              ;   in Loop: Header=BB353_13 Depth=1
	s_or_b32 exec_lo, exec_lo, s52
	v_lshlrev_b32_e32 v90, 24, v92
	v_lshlrev_b32_e32 v27, 20, v27
	v_lshl_add_u32 v89, v89, 23, 0x3c000000
	v_and_b32_e32 v90, 0x80000000, v90
	v_or3_b32 v89, v27, v90, v89
.LBB353_280:                            ;   in Loop: Header=BB353_13 Depth=1
	s_or_b32 exec_lo, exec_lo, s51
.LBB353_281:                            ;   in Loop: Header=BB353_13 Depth=1
	s_or_b32 exec_lo, exec_lo, s50
.LBB353_282:                            ;   in Loop: Header=BB353_13 Depth=1
	s_or_b32 exec_lo, exec_lo, s4
	v_cmp_ne_u16_sdwa s2, v92, v28 src0_sel:BYTE_1 src1_sel:DWORD
	s_and_saveexec_b32 s4, s2
	s_cbranch_execz .LBB353_290
; %bb.283:                              ;   in Loop: Header=BB353_13 Depth=1
	v_cmp_ne_u16_sdwa s2, v92, v45 src0_sel:BYTE_1 src1_sel:DWORD
	v_bfrev_b32_e32 v88, 1
	s_and_saveexec_b32 s50, s2
	s_cbranch_execz .LBB353_289
; %bb.284:                              ;   in Loop: Header=BB353_13 Depth=1
	v_and_b32_sdwa v27, v46, v92 dst_sel:DWORD dst_unused:UNUSED_PAD src0_sel:DWORD src1_sel:BYTE_1
	v_mov_b32_e32 v88, 0x7f800001
	s_mov_b32 s51, exec_lo
	v_and_b32_e32 v90, 0x7f, v27
	v_cmpx_ne_u32_e32 0x7f, v90
	s_cbranch_execz .LBB353_288
; %bb.285:                              ;   in Loop: Header=BB353_13 Depth=1
	v_and_b32_e32 v27, 7, v27
	v_lshrrev_b32_e32 v88, 3, v90
	s_mov_b32 s52, exec_lo
	v_cmpx_gt_u32_e32 8, v90
; %bb.286:                              ;   in Loop: Header=BB353_13 Depth=1
	v_ffbh_u32_e32 v88, v27
	v_min_u32_e32 v88, 32, v88
	v_subrev_nc_u32_e32 v90, 28, v88
	v_sub_nc_u32_e32 v88, 29, v88
	v_lshlrev_b64 v[90:91], v90, v[27:28]
	v_and_b32_e32 v27, 7, v90
; %bb.287:                              ;   in Loop: Header=BB353_13 Depth=1
	s_or_b32 exec_lo, exec_lo, s52
	v_lshlrev_b32_e32 v90, 16, v92
	v_lshlrev_b32_e32 v27, 20, v27
	v_lshl_add_u32 v88, v88, 23, 0x3c000000
	v_and_b32_e32 v90, 0x80000000, v90
	v_or3_b32 v88, v27, v90, v88
.LBB353_288:                            ;   in Loop: Header=BB353_13 Depth=1
	s_or_b32 exec_lo, exec_lo, s51
.LBB353_289:                            ;   in Loop: Header=BB353_13 Depth=1
	s_or_b32 exec_lo, exec_lo, s50
.LBB353_290:                            ;   in Loop: Header=BB353_13 Depth=1
	s_or_b32 exec_lo, exec_lo, s4
	v_and_b32_sdwa v27, v92, v47 dst_sel:DWORD dst_unused:UNUSED_PAD src0_sel:WORD_1 src1_sel:DWORD
	v_mov_b32_e32 v90, 0
	v_mov_b32_e32 v91, 0
	s_mov_b32 s4, exec_lo
	v_cmpx_ne_u16_e32 0, v27
	s_cbranch_execz .LBB353_298
; %bb.291:                              ;   in Loop: Header=BB353_13 Depth=1
	v_bfrev_b32_e32 v91, 1
	s_mov_b32 s50, exec_lo
	v_cmpx_ne_u16_e32 0x80, v27
	s_cbranch_execz .LBB353_297
; %bb.292:                              ;   in Loop: Header=BB353_13 Depth=1
	v_bfe_u32 v93, v92, 16, 7
	v_mov_b32_e32 v91, 0x7f800001
	s_mov_b32 s51, exec_lo
	v_cmpx_ne_u32_e32 0x7f, v93
	s_cbranch_execz .LBB353_296
; %bb.293:                              ;   in Loop: Header=BB353_13 Depth=1
	v_and_b32_sdwa v27, v92, v48 dst_sel:DWORD dst_unused:UNUSED_PAD src0_sel:WORD_1 src1_sel:DWORD
	v_lshrrev_b32_e32 v91, 3, v93
	s_mov_b32 s52, exec_lo
	v_cmpx_gt_u32_e32 8, v93
; %bb.294:                              ;   in Loop: Header=BB353_13 Depth=1
	v_ffbh_u32_e32 v91, v27
	v_min_u32_e32 v91, 32, v91
	v_subrev_nc_u32_e32 v93, 28, v91
	v_sub_nc_u32_e32 v91, 29, v91
	v_lshlrev_b64 v[93:94], v93, v[27:28]
	v_and_b32_e32 v27, 7, v93
; %bb.295:                              ;   in Loop: Header=BB353_13 Depth=1
	s_or_b32 exec_lo, exec_lo, s52
	v_lshlrev_b32_sdwa v93, v49, v92 dst_sel:DWORD dst_unused:UNUSED_PAD src0_sel:DWORD src1_sel:WORD_1
	v_lshlrev_b32_e32 v27, 20, v27
	v_lshl_add_u32 v91, v91, 23, 0x3c000000
	v_and_b32_e32 v93, 0x80000000, v93
	v_or3_b32 v91, v27, v93, v91
.LBB353_296:                            ;   in Loop: Header=BB353_13 Depth=1
	s_or_b32 exec_lo, exec_lo, s51
.LBB353_297:                            ;   in Loop: Header=BB353_13 Depth=1
	s_or_b32 exec_lo, exec_lo, s50
.LBB353_298:                            ;   in Loop: Header=BB353_13 Depth=1
	s_or_b32 exec_lo, exec_lo, s4
	s_mov_b32 s4, exec_lo
	v_cmpx_lt_u32_e32 0xffffff, v92
	s_cbranch_execz .LBB353_306
; %bb.299:                              ;   in Loop: Header=BB353_13 Depth=1
	v_cmp_ne_u32_sdwa s2, v92, v45 src0_sel:BYTE_3 src1_sel:DWORD
	v_bfrev_b32_e32 v90, 1
	s_and_saveexec_b32 s50, s2
	s_cbranch_execz .LBB353_305
; %bb.300:                              ;   in Loop: Header=BB353_13 Depth=1
	v_bfe_u32 v93, v92, 24, 7
	v_mov_b32_e32 v90, 0x7f800001
	s_mov_b32 s51, exec_lo
	v_cmpx_ne_u32_e32 0x7f, v93
	s_cbranch_execz .LBB353_304
; %bb.301:                              ;   in Loop: Header=BB353_13 Depth=1
	v_and_b32_sdwa v27, v92, v48 dst_sel:DWORD dst_unused:UNUSED_PAD src0_sel:BYTE_3 src1_sel:DWORD
	v_lshrrev_b32_e32 v90, 3, v93
	s_mov_b32 s52, exec_lo
	v_cmpx_gt_u32_e32 8, v93
; %bb.302:                              ;   in Loop: Header=BB353_13 Depth=1
	v_ffbh_u32_e32 v90, v27
	v_min_u32_e32 v90, 32, v90
	v_subrev_nc_u32_e32 v93, 28, v90
	v_sub_nc_u32_e32 v90, 29, v90
	v_lshlrev_b64 v[93:94], v93, v[27:28]
	v_and_b32_e32 v27, 7, v93
; %bb.303:                              ;   in Loop: Header=BB353_13 Depth=1
	s_or_b32 exec_lo, exec_lo, s52
	v_lshlrev_b32_sdwa v92, v49, v92 dst_sel:DWORD dst_unused:UNUSED_PAD src0_sel:DWORD src1_sel:BYTE_3
	v_lshlrev_b32_e32 v27, 20, v27
	v_lshl_add_u32 v90, v90, 23, 0x3c000000
	v_and_b32_e32 v92, 0x80000000, v92
	v_or3_b32 v90, v27, v92, v90
.LBB353_304:                            ;   in Loop: Header=BB353_13 Depth=1
	s_or_b32 exec_lo, exec_lo, s51
.LBB353_305:                            ;   in Loop: Header=BB353_13 Depth=1
	s_or_b32 exec_lo, exec_lo, s50
.LBB353_306:                            ;   in Loop: Header=BB353_13 Depth=1
	s_or_b32 exec_lo, exec_lo, s4
	global_load_dword v96, v[33:34], off offset:1032
	v_mov_b32_e32 v92, 0
	v_mov_b32_e32 v93, 0
	s_waitcnt vmcnt(0)
	v_cmp_ne_u16_sdwa s2, v96, v28 src0_sel:BYTE_0 src1_sel:DWORD
	s_and_saveexec_b32 s4, s2
	s_cbranch_execz .LBB353_314
; %bb.307:                              ;   in Loop: Header=BB353_13 Depth=1
	v_cmp_ne_u16_sdwa s2, v96, v45 src0_sel:BYTE_0 src1_sel:DWORD
	v_bfrev_b32_e32 v93, 1
	s_and_saveexec_b32 s50, s2
	s_cbranch_execz .LBB353_313
; %bb.308:                              ;   in Loop: Header=BB353_13 Depth=1
	v_and_b32_e32 v94, 0x7f, v96
	v_mov_b32_e32 v93, 0x7f800001
	s_mov_b32 s51, exec_lo
	v_cmpx_ne_u32_e32 0x7f, v94
	s_cbranch_execz .LBB353_312
; %bb.309:                              ;   in Loop: Header=BB353_13 Depth=1
	v_and_b32_e32 v27, 7, v96
	v_lshrrev_b32_e32 v93, 3, v94
	s_mov_b32 s52, exec_lo
	v_cmpx_gt_u32_e32 8, v94
; %bb.310:                              ;   in Loop: Header=BB353_13 Depth=1
	v_ffbh_u32_e32 v93, v27
	v_min_u32_e32 v93, 32, v93
	v_subrev_nc_u32_e32 v94, 28, v93
	v_sub_nc_u32_e32 v93, 29, v93
	v_lshlrev_b64 v[94:95], v94, v[27:28]
	v_and_b32_e32 v27, 7, v94
; %bb.311:                              ;   in Loop: Header=BB353_13 Depth=1
	s_or_b32 exec_lo, exec_lo, s52
	v_lshlrev_b32_e32 v94, 24, v96
	v_lshlrev_b32_e32 v27, 20, v27
	v_lshl_add_u32 v93, v93, 23, 0x3c000000
	v_and_b32_e32 v94, 0x80000000, v94
	v_or3_b32 v93, v27, v94, v93
.LBB353_312:                            ;   in Loop: Header=BB353_13 Depth=1
	s_or_b32 exec_lo, exec_lo, s51
.LBB353_313:                            ;   in Loop: Header=BB353_13 Depth=1
	s_or_b32 exec_lo, exec_lo, s50
.LBB353_314:                            ;   in Loop: Header=BB353_13 Depth=1
	s_or_b32 exec_lo, exec_lo, s4
	v_cmp_ne_u16_sdwa s2, v96, v28 src0_sel:BYTE_1 src1_sel:DWORD
	s_and_saveexec_b32 s4, s2
	s_cbranch_execz .LBB353_322
; %bb.315:                              ;   in Loop: Header=BB353_13 Depth=1
	v_cmp_ne_u16_sdwa s2, v96, v45 src0_sel:BYTE_1 src1_sel:DWORD
	v_bfrev_b32_e32 v92, 1
	s_and_saveexec_b32 s50, s2
	s_cbranch_execz .LBB353_321
; %bb.316:                              ;   in Loop: Header=BB353_13 Depth=1
	v_and_b32_sdwa v27, v46, v96 dst_sel:DWORD dst_unused:UNUSED_PAD src0_sel:DWORD src1_sel:BYTE_1
	v_mov_b32_e32 v92, 0x7f800001
	s_mov_b32 s51, exec_lo
	v_and_b32_e32 v94, 0x7f, v27
	v_cmpx_ne_u32_e32 0x7f, v94
	s_cbranch_execz .LBB353_320
; %bb.317:                              ;   in Loop: Header=BB353_13 Depth=1
	v_and_b32_e32 v27, 7, v27
	v_lshrrev_b32_e32 v92, 3, v94
	s_mov_b32 s52, exec_lo
	v_cmpx_gt_u32_e32 8, v94
; %bb.318:                              ;   in Loop: Header=BB353_13 Depth=1
	v_ffbh_u32_e32 v92, v27
	v_min_u32_e32 v92, 32, v92
	v_subrev_nc_u32_e32 v94, 28, v92
	v_sub_nc_u32_e32 v92, 29, v92
	v_lshlrev_b64 v[94:95], v94, v[27:28]
	v_and_b32_e32 v27, 7, v94
; %bb.319:                              ;   in Loop: Header=BB353_13 Depth=1
	s_or_b32 exec_lo, exec_lo, s52
	v_lshlrev_b32_e32 v94, 16, v96
	v_lshlrev_b32_e32 v27, 20, v27
	v_lshl_add_u32 v92, v92, 23, 0x3c000000
	v_and_b32_e32 v94, 0x80000000, v94
	v_or3_b32 v92, v27, v94, v92
.LBB353_320:                            ;   in Loop: Header=BB353_13 Depth=1
	s_or_b32 exec_lo, exec_lo, s51
.LBB353_321:                            ;   in Loop: Header=BB353_13 Depth=1
	s_or_b32 exec_lo, exec_lo, s50
.LBB353_322:                            ;   in Loop: Header=BB353_13 Depth=1
	s_or_b32 exec_lo, exec_lo, s4
	v_and_b32_sdwa v27, v96, v47 dst_sel:DWORD dst_unused:UNUSED_PAD src0_sel:WORD_1 src1_sel:DWORD
	v_mov_b32_e32 v94, 0
	v_mov_b32_e32 v95, 0
	s_mov_b32 s4, exec_lo
	v_cmpx_ne_u16_e32 0, v27
	s_cbranch_execz .LBB353_330
; %bb.323:                              ;   in Loop: Header=BB353_13 Depth=1
	v_bfrev_b32_e32 v95, 1
	s_mov_b32 s50, exec_lo
	v_cmpx_ne_u16_e32 0x80, v27
	s_cbranch_execz .LBB353_329
; %bb.324:                              ;   in Loop: Header=BB353_13 Depth=1
	v_bfe_u32 v97, v96, 16, 7
	v_mov_b32_e32 v95, 0x7f800001
	s_mov_b32 s51, exec_lo
	v_cmpx_ne_u32_e32 0x7f, v97
	s_cbranch_execz .LBB353_328
; %bb.325:                              ;   in Loop: Header=BB353_13 Depth=1
	v_and_b32_sdwa v27, v96, v48 dst_sel:DWORD dst_unused:UNUSED_PAD src0_sel:WORD_1 src1_sel:DWORD
	v_lshrrev_b32_e32 v95, 3, v97
	s_mov_b32 s52, exec_lo
	v_cmpx_gt_u32_e32 8, v97
; %bb.326:                              ;   in Loop: Header=BB353_13 Depth=1
	v_ffbh_u32_e32 v95, v27
	v_min_u32_e32 v95, 32, v95
	v_subrev_nc_u32_e32 v97, 28, v95
	v_sub_nc_u32_e32 v95, 29, v95
	v_lshlrev_b64 v[97:98], v97, v[27:28]
	v_and_b32_e32 v27, 7, v97
; %bb.327:                              ;   in Loop: Header=BB353_13 Depth=1
	s_or_b32 exec_lo, exec_lo, s52
	v_lshlrev_b32_sdwa v97, v49, v96 dst_sel:DWORD dst_unused:UNUSED_PAD src0_sel:DWORD src1_sel:WORD_1
	v_lshlrev_b32_e32 v27, 20, v27
	v_lshl_add_u32 v95, v95, 23, 0x3c000000
	v_and_b32_e32 v97, 0x80000000, v97
	v_or3_b32 v95, v27, v97, v95
.LBB353_328:                            ;   in Loop: Header=BB353_13 Depth=1
	s_or_b32 exec_lo, exec_lo, s51
.LBB353_329:                            ;   in Loop: Header=BB353_13 Depth=1
	s_or_b32 exec_lo, exec_lo, s50
.LBB353_330:                            ;   in Loop: Header=BB353_13 Depth=1
	s_or_b32 exec_lo, exec_lo, s4
	s_mov_b32 s4, exec_lo
	v_cmpx_lt_u32_e32 0xffffff, v96
	s_cbranch_execz .LBB353_338
; %bb.331:                              ;   in Loop: Header=BB353_13 Depth=1
	v_cmp_ne_u32_sdwa s2, v96, v45 src0_sel:BYTE_3 src1_sel:DWORD
	v_bfrev_b32_e32 v94, 1
	s_and_saveexec_b32 s50, s2
	s_cbranch_execz .LBB353_337
; %bb.332:                              ;   in Loop: Header=BB353_13 Depth=1
	v_bfe_u32 v97, v96, 24, 7
	v_mov_b32_e32 v94, 0x7f800001
	s_mov_b32 s51, exec_lo
	v_cmpx_ne_u32_e32 0x7f, v97
	s_cbranch_execz .LBB353_336
; %bb.333:                              ;   in Loop: Header=BB353_13 Depth=1
	v_and_b32_sdwa v27, v96, v48 dst_sel:DWORD dst_unused:UNUSED_PAD src0_sel:BYTE_3 src1_sel:DWORD
	v_lshrrev_b32_e32 v94, 3, v97
	s_mov_b32 s52, exec_lo
	v_cmpx_gt_u32_e32 8, v97
; %bb.334:                              ;   in Loop: Header=BB353_13 Depth=1
	v_ffbh_u32_e32 v94, v27
	v_min_u32_e32 v94, 32, v94
	v_subrev_nc_u32_e32 v97, 28, v94
	v_sub_nc_u32_e32 v94, 29, v94
	v_lshlrev_b64 v[97:98], v97, v[27:28]
	v_and_b32_e32 v27, 7, v97
; %bb.335:                              ;   in Loop: Header=BB353_13 Depth=1
	s_or_b32 exec_lo, exec_lo, s52
	v_lshlrev_b32_sdwa v96, v49, v96 dst_sel:DWORD dst_unused:UNUSED_PAD src0_sel:DWORD src1_sel:BYTE_3
	v_lshlrev_b32_e32 v27, 20, v27
	v_lshl_add_u32 v94, v94, 23, 0x3c000000
	v_and_b32_e32 v96, 0x80000000, v96
	v_or3_b32 v94, v27, v96, v94
.LBB353_336:                            ;   in Loop: Header=BB353_13 Depth=1
	s_or_b32 exec_lo, exec_lo, s51
.LBB353_337:                            ;   in Loop: Header=BB353_13 Depth=1
	s_or_b32 exec_lo, exec_lo, s50
.LBB353_338:                            ;   in Loop: Header=BB353_13 Depth=1
	s_or_b32 exec_lo, exec_lo, s4
	global_load_dword v100, v[33:34], off offset:1280
	v_mov_b32_e32 v96, 0
	v_mov_b32_e32 v97, 0
	s_waitcnt vmcnt(0)
	v_cmp_ne_u16_sdwa s2, v100, v28 src0_sel:BYTE_0 src1_sel:DWORD
	s_and_saveexec_b32 s4, s2
	s_cbranch_execz .LBB353_346
; %bb.339:                              ;   in Loop: Header=BB353_13 Depth=1
	v_cmp_ne_u16_sdwa s2, v100, v45 src0_sel:BYTE_0 src1_sel:DWORD
	v_bfrev_b32_e32 v97, 1
	s_and_saveexec_b32 s50, s2
	s_cbranch_execz .LBB353_345
; %bb.340:                              ;   in Loop: Header=BB353_13 Depth=1
	v_and_b32_e32 v98, 0x7f, v100
	v_mov_b32_e32 v97, 0x7f800001
	s_mov_b32 s51, exec_lo
	v_cmpx_ne_u32_e32 0x7f, v98
	s_cbranch_execz .LBB353_344
; %bb.341:                              ;   in Loop: Header=BB353_13 Depth=1
	v_and_b32_e32 v27, 7, v100
	v_lshrrev_b32_e32 v97, 3, v98
	s_mov_b32 s52, exec_lo
	v_cmpx_gt_u32_e32 8, v98
; %bb.342:                              ;   in Loop: Header=BB353_13 Depth=1
	v_ffbh_u32_e32 v97, v27
	v_min_u32_e32 v97, 32, v97
	v_subrev_nc_u32_e32 v98, 28, v97
	v_sub_nc_u32_e32 v97, 29, v97
	v_lshlrev_b64 v[98:99], v98, v[27:28]
	v_and_b32_e32 v27, 7, v98
; %bb.343:                              ;   in Loop: Header=BB353_13 Depth=1
	s_or_b32 exec_lo, exec_lo, s52
	v_lshlrev_b32_e32 v98, 24, v100
	v_lshlrev_b32_e32 v27, 20, v27
	v_lshl_add_u32 v97, v97, 23, 0x3c000000
	v_and_b32_e32 v98, 0x80000000, v98
	v_or3_b32 v97, v27, v98, v97
.LBB353_344:                            ;   in Loop: Header=BB353_13 Depth=1
	s_or_b32 exec_lo, exec_lo, s51
.LBB353_345:                            ;   in Loop: Header=BB353_13 Depth=1
	s_or_b32 exec_lo, exec_lo, s50
.LBB353_346:                            ;   in Loop: Header=BB353_13 Depth=1
	s_or_b32 exec_lo, exec_lo, s4
	v_cmp_ne_u16_sdwa s2, v100, v28 src0_sel:BYTE_1 src1_sel:DWORD
	s_and_saveexec_b32 s4, s2
	s_cbranch_execz .LBB353_354
; %bb.347:                              ;   in Loop: Header=BB353_13 Depth=1
	v_cmp_ne_u16_sdwa s2, v100, v45 src0_sel:BYTE_1 src1_sel:DWORD
	v_bfrev_b32_e32 v96, 1
	s_and_saveexec_b32 s50, s2
	s_cbranch_execz .LBB353_353
; %bb.348:                              ;   in Loop: Header=BB353_13 Depth=1
	v_and_b32_sdwa v27, v46, v100 dst_sel:DWORD dst_unused:UNUSED_PAD src0_sel:DWORD src1_sel:BYTE_1
	v_mov_b32_e32 v96, 0x7f800001
	s_mov_b32 s51, exec_lo
	v_and_b32_e32 v98, 0x7f, v27
	v_cmpx_ne_u32_e32 0x7f, v98
	s_cbranch_execz .LBB353_352
; %bb.349:                              ;   in Loop: Header=BB353_13 Depth=1
	v_and_b32_e32 v27, 7, v27
	v_lshrrev_b32_e32 v96, 3, v98
	s_mov_b32 s52, exec_lo
	v_cmpx_gt_u32_e32 8, v98
; %bb.350:                              ;   in Loop: Header=BB353_13 Depth=1
	v_ffbh_u32_e32 v96, v27
	v_min_u32_e32 v96, 32, v96
	v_subrev_nc_u32_e32 v98, 28, v96
	v_sub_nc_u32_e32 v96, 29, v96
	v_lshlrev_b64 v[98:99], v98, v[27:28]
	v_and_b32_e32 v27, 7, v98
; %bb.351:                              ;   in Loop: Header=BB353_13 Depth=1
	s_or_b32 exec_lo, exec_lo, s52
	v_lshlrev_b32_e32 v98, 16, v100
	v_lshlrev_b32_e32 v27, 20, v27
	v_lshl_add_u32 v96, v96, 23, 0x3c000000
	v_and_b32_e32 v98, 0x80000000, v98
	v_or3_b32 v96, v27, v98, v96
.LBB353_352:                            ;   in Loop: Header=BB353_13 Depth=1
	s_or_b32 exec_lo, exec_lo, s51
.LBB353_353:                            ;   in Loop: Header=BB353_13 Depth=1
	s_or_b32 exec_lo, exec_lo, s50
.LBB353_354:                            ;   in Loop: Header=BB353_13 Depth=1
	s_or_b32 exec_lo, exec_lo, s4
	v_and_b32_sdwa v27, v100, v47 dst_sel:DWORD dst_unused:UNUSED_PAD src0_sel:WORD_1 src1_sel:DWORD
	v_mov_b32_e32 v98, 0
	v_mov_b32_e32 v99, 0
	s_mov_b32 s4, exec_lo
	v_cmpx_ne_u16_e32 0, v27
	s_cbranch_execz .LBB353_362
; %bb.355:                              ;   in Loop: Header=BB353_13 Depth=1
	v_bfrev_b32_e32 v99, 1
	s_mov_b32 s50, exec_lo
	v_cmpx_ne_u16_e32 0x80, v27
	s_cbranch_execz .LBB353_361
; %bb.356:                              ;   in Loop: Header=BB353_13 Depth=1
	v_bfe_u32 v101, v100, 16, 7
	v_mov_b32_e32 v99, 0x7f800001
	s_mov_b32 s51, exec_lo
	v_cmpx_ne_u32_e32 0x7f, v101
	s_cbranch_execz .LBB353_360
; %bb.357:                              ;   in Loop: Header=BB353_13 Depth=1
	v_and_b32_sdwa v27, v100, v48 dst_sel:DWORD dst_unused:UNUSED_PAD src0_sel:WORD_1 src1_sel:DWORD
	v_lshrrev_b32_e32 v99, 3, v101
	s_mov_b32 s52, exec_lo
	v_cmpx_gt_u32_e32 8, v101
; %bb.358:                              ;   in Loop: Header=BB353_13 Depth=1
	v_ffbh_u32_e32 v99, v27
	v_min_u32_e32 v99, 32, v99
	v_subrev_nc_u32_e32 v101, 28, v99
	v_sub_nc_u32_e32 v99, 29, v99
	v_lshlrev_b64 v[101:102], v101, v[27:28]
	v_and_b32_e32 v27, 7, v101
; %bb.359:                              ;   in Loop: Header=BB353_13 Depth=1
	s_or_b32 exec_lo, exec_lo, s52
	v_lshlrev_b32_sdwa v101, v49, v100 dst_sel:DWORD dst_unused:UNUSED_PAD src0_sel:DWORD src1_sel:WORD_1
	v_lshlrev_b32_e32 v27, 20, v27
	v_lshl_add_u32 v99, v99, 23, 0x3c000000
	v_and_b32_e32 v101, 0x80000000, v101
	v_or3_b32 v99, v27, v101, v99
.LBB353_360:                            ;   in Loop: Header=BB353_13 Depth=1
	s_or_b32 exec_lo, exec_lo, s51
.LBB353_361:                            ;   in Loop: Header=BB353_13 Depth=1
	s_or_b32 exec_lo, exec_lo, s50
.LBB353_362:                            ;   in Loop: Header=BB353_13 Depth=1
	s_or_b32 exec_lo, exec_lo, s4
	s_mov_b32 s4, exec_lo
	v_cmpx_lt_u32_e32 0xffffff, v100
	s_cbranch_execz .LBB353_370
; %bb.363:                              ;   in Loop: Header=BB353_13 Depth=1
	v_cmp_ne_u32_sdwa s2, v100, v45 src0_sel:BYTE_3 src1_sel:DWORD
	v_bfrev_b32_e32 v98, 1
	s_and_saveexec_b32 s50, s2
	s_cbranch_execz .LBB353_369
; %bb.364:                              ;   in Loop: Header=BB353_13 Depth=1
	v_bfe_u32 v101, v100, 24, 7
	v_mov_b32_e32 v98, 0x7f800001
	s_mov_b32 s51, exec_lo
	v_cmpx_ne_u32_e32 0x7f, v101
	s_cbranch_execz .LBB353_368
; %bb.365:                              ;   in Loop: Header=BB353_13 Depth=1
	v_and_b32_sdwa v27, v100, v48 dst_sel:DWORD dst_unused:UNUSED_PAD src0_sel:BYTE_3 src1_sel:DWORD
	v_lshrrev_b32_e32 v98, 3, v101
	s_mov_b32 s52, exec_lo
	v_cmpx_gt_u32_e32 8, v101
; %bb.366:                              ;   in Loop: Header=BB353_13 Depth=1
	v_ffbh_u32_e32 v98, v27
	v_min_u32_e32 v98, 32, v98
	v_subrev_nc_u32_e32 v101, 28, v98
	v_sub_nc_u32_e32 v98, 29, v98
	v_lshlrev_b64 v[101:102], v101, v[27:28]
	v_and_b32_e32 v27, 7, v101
; %bb.367:                              ;   in Loop: Header=BB353_13 Depth=1
	s_or_b32 exec_lo, exec_lo, s52
	v_lshlrev_b32_sdwa v100, v49, v100 dst_sel:DWORD dst_unused:UNUSED_PAD src0_sel:DWORD src1_sel:BYTE_3
	v_lshlrev_b32_e32 v27, 20, v27
	v_lshl_add_u32 v98, v98, 23, 0x3c000000
	v_and_b32_e32 v100, 0x80000000, v100
	v_or3_b32 v98, v27, v100, v98
.LBB353_368:                            ;   in Loop: Header=BB353_13 Depth=1
	s_or_b32 exec_lo, exec_lo, s51
.LBB353_369:                            ;   in Loop: Header=BB353_13 Depth=1
	s_or_b32 exec_lo, exec_lo, s50
.LBB353_370:                            ;   in Loop: Header=BB353_13 Depth=1
	s_or_b32 exec_lo, exec_lo, s4
	global_load_dword v104, v[33:34], off offset:1288
	v_mov_b32_e32 v101, 0
	v_mov_b32_e32 v103, 0
	s_waitcnt vmcnt(0)
	v_cmp_ne_u16_sdwa s2, v104, v28 src0_sel:BYTE_0 src1_sel:DWORD
	s_and_saveexec_b32 s4, s2
	s_cbranch_execz .LBB353_378
; %bb.371:                              ;   in Loop: Header=BB353_13 Depth=1
	v_cmp_ne_u16_sdwa s2, v104, v45 src0_sel:BYTE_0 src1_sel:DWORD
	v_bfrev_b32_e32 v103, 1
	s_and_saveexec_b32 s50, s2
	s_cbranch_execz .LBB353_377
; %bb.372:                              ;   in Loop: Header=BB353_13 Depth=1
	v_and_b32_e32 v102, 0x7f, v104
	v_mov_b32_e32 v103, 0x7f800001
	s_mov_b32 s51, exec_lo
	v_cmpx_ne_u32_e32 0x7f, v102
	s_cbranch_execz .LBB353_376
; %bb.373:                              ;   in Loop: Header=BB353_13 Depth=1
	v_and_b32_e32 v27, 7, v104
	v_lshrrev_b32_e32 v100, 3, v102
	s_mov_b32 s52, exec_lo
	v_cmpx_gt_u32_e32 8, v102
; %bb.374:                              ;   in Loop: Header=BB353_13 Depth=1
	v_ffbh_u32_e32 v100, v27
	v_min_u32_e32 v100, 32, v100
	v_subrev_nc_u32_e32 v102, 28, v100
	v_sub_nc_u32_e32 v100, 29, v100
	v_lshlrev_b64 v[102:103], v102, v[27:28]
	v_and_b32_e32 v27, 7, v102
; %bb.375:                              ;   in Loop: Header=BB353_13 Depth=1
	s_or_b32 exec_lo, exec_lo, s52
	v_lshlrev_b32_e32 v102, 24, v104
	v_lshlrev_b32_e32 v27, 20, v27
	v_lshl_add_u32 v100, v100, 23, 0x3c000000
	v_and_b32_e32 v102, 0x80000000, v102
	v_or3_b32 v103, v27, v102, v100
.LBB353_376:                            ;   in Loop: Header=BB353_13 Depth=1
	s_or_b32 exec_lo, exec_lo, s51
.LBB353_377:                            ;   in Loop: Header=BB353_13 Depth=1
	s_or_b32 exec_lo, exec_lo, s50
.LBB353_378:                            ;   in Loop: Header=BB353_13 Depth=1
	s_or_b32 exec_lo, exec_lo, s4
	v_cmp_ne_u16_sdwa s2, v104, v28 src0_sel:BYTE_1 src1_sel:DWORD
	s_and_saveexec_b32 s4, s2
	s_cbranch_execz .LBB353_386
; %bb.379:                              ;   in Loop: Header=BB353_13 Depth=1
	v_cmp_ne_u16_sdwa s2, v104, v45 src0_sel:BYTE_1 src1_sel:DWORD
	v_bfrev_b32_e32 v101, 1
	s_and_saveexec_b32 s50, s2
	s_cbranch_execz .LBB353_385
; %bb.380:                              ;   in Loop: Header=BB353_13 Depth=1
	v_and_b32_sdwa v27, v46, v104 dst_sel:DWORD dst_unused:UNUSED_PAD src0_sel:DWORD src1_sel:BYTE_1
	v_mov_b32_e32 v101, 0x7f800001
	s_mov_b32 s51, exec_lo
	v_and_b32_e32 v102, 0x7f, v27
	v_cmpx_ne_u32_e32 0x7f, v102
	s_cbranch_execz .LBB353_384
; %bb.381:                              ;   in Loop: Header=BB353_13 Depth=1
	v_and_b32_e32 v27, 7, v27
	v_lshrrev_b32_e32 v100, 3, v102
	s_mov_b32 s52, exec_lo
	v_cmpx_gt_u32_e32 8, v102
; %bb.382:                              ;   in Loop: Header=BB353_13 Depth=1
	v_ffbh_u32_e32 v100, v27
	v_min_u32_e32 v100, 32, v100
	v_subrev_nc_u32_e32 v101, 28, v100
	v_sub_nc_u32_e32 v100, 29, v100
	v_lshlrev_b64 v[101:102], v101, v[27:28]
	v_and_b32_e32 v27, 7, v101
; %bb.383:                              ;   in Loop: Header=BB353_13 Depth=1
	s_or_b32 exec_lo, exec_lo, s52
	v_lshlrev_b32_e32 v101, 16, v104
	v_lshlrev_b32_e32 v27, 20, v27
	v_lshl_add_u32 v100, v100, 23, 0x3c000000
	v_and_b32_e32 v101, 0x80000000, v101
	v_or3_b32 v101, v27, v101, v100
.LBB353_384:                            ;   in Loop: Header=BB353_13 Depth=1
	s_or_b32 exec_lo, exec_lo, s51
.LBB353_385:                            ;   in Loop: Header=BB353_13 Depth=1
	s_or_b32 exec_lo, exec_lo, s50
.LBB353_386:                            ;   in Loop: Header=BB353_13 Depth=1
	s_or_b32 exec_lo, exec_lo, s4
	v_and_b32_sdwa v27, v104, v47 dst_sel:DWORD dst_unused:UNUSED_PAD src0_sel:WORD_1 src1_sel:DWORD
	v_mov_b32_e32 v100, 0
	v_mov_b32_e32 v102, 0
	s_mov_b32 s4, exec_lo
	v_cmpx_ne_u16_e32 0, v27
	s_cbranch_execz .LBB353_394
; %bb.387:                              ;   in Loop: Header=BB353_13 Depth=1
	v_bfrev_b32_e32 v102, 1
	s_mov_b32 s50, exec_lo
	v_cmpx_ne_u16_e32 0x80, v27
	s_cbranch_execz .LBB353_393
; %bb.388:                              ;   in Loop: Header=BB353_13 Depth=1
	v_bfe_u32 v105, v104, 16, 7
	v_mov_b32_e32 v102, 0x7f800001
	s_mov_b32 s51, exec_lo
	v_cmpx_ne_u32_e32 0x7f, v105
	s_cbranch_execz .LBB353_392
; %bb.389:                              ;   in Loop: Header=BB353_13 Depth=1
	v_and_b32_sdwa v27, v104, v48 dst_sel:DWORD dst_unused:UNUSED_PAD src0_sel:WORD_1 src1_sel:DWORD
	v_lshrrev_b32_e32 v102, 3, v105
	s_mov_b32 s52, exec_lo
	v_cmpx_gt_u32_e32 8, v105
; %bb.390:                              ;   in Loop: Header=BB353_13 Depth=1
	v_ffbh_u32_e32 v102, v27
	v_min_u32_e32 v102, 32, v102
	v_subrev_nc_u32_e32 v105, 28, v102
	v_sub_nc_u32_e32 v102, 29, v102
	v_lshlrev_b64 v[105:106], v105, v[27:28]
	v_and_b32_e32 v27, 7, v105
; %bb.391:                              ;   in Loop: Header=BB353_13 Depth=1
	s_or_b32 exec_lo, exec_lo, s52
	v_lshlrev_b32_sdwa v105, v49, v104 dst_sel:DWORD dst_unused:UNUSED_PAD src0_sel:DWORD src1_sel:WORD_1
	v_lshlrev_b32_e32 v27, 20, v27
	v_lshl_add_u32 v102, v102, 23, 0x3c000000
	v_and_b32_e32 v105, 0x80000000, v105
	v_or3_b32 v102, v27, v105, v102
.LBB353_392:                            ;   in Loop: Header=BB353_13 Depth=1
	s_or_b32 exec_lo, exec_lo, s51
.LBB353_393:                            ;   in Loop: Header=BB353_13 Depth=1
	s_or_b32 exec_lo, exec_lo, s50
.LBB353_394:                            ;   in Loop: Header=BB353_13 Depth=1
	s_or_b32 exec_lo, exec_lo, s4
	s_mov_b32 s4, exec_lo
	v_cmpx_lt_u32_e32 0xffffff, v104
	s_cbranch_execz .LBB353_402
; %bb.395:                              ;   in Loop: Header=BB353_13 Depth=1
	v_cmp_ne_u32_sdwa s2, v104, v45 src0_sel:BYTE_3 src1_sel:DWORD
	v_bfrev_b32_e32 v100, 1
	s_and_saveexec_b32 s50, s2
	s_cbranch_execz .LBB353_401
; %bb.396:                              ;   in Loop: Header=BB353_13 Depth=1
	v_bfe_u32 v105, v104, 24, 7
	v_mov_b32_e32 v100, 0x7f800001
	s_mov_b32 s51, exec_lo
	v_cmpx_ne_u32_e32 0x7f, v105
	s_cbranch_execz .LBB353_400
; %bb.397:                              ;   in Loop: Header=BB353_13 Depth=1
	v_and_b32_sdwa v27, v104, v48 dst_sel:DWORD dst_unused:UNUSED_PAD src0_sel:BYTE_3 src1_sel:DWORD
	v_lshrrev_b32_e32 v100, 3, v105
	s_mov_b32 s52, exec_lo
	v_cmpx_gt_u32_e32 8, v105
; %bb.398:                              ;   in Loop: Header=BB353_13 Depth=1
	v_ffbh_u32_e32 v100, v27
	v_min_u32_e32 v100, 32, v100
	v_subrev_nc_u32_e32 v105, 28, v100
	v_sub_nc_u32_e32 v100, 29, v100
	v_lshlrev_b64 v[105:106], v105, v[27:28]
	v_and_b32_e32 v27, 7, v105
; %bb.399:                              ;   in Loop: Header=BB353_13 Depth=1
	s_or_b32 exec_lo, exec_lo, s52
	v_lshlrev_b32_sdwa v104, v49, v104 dst_sel:DWORD dst_unused:UNUSED_PAD src0_sel:DWORD src1_sel:BYTE_3
	v_lshlrev_b32_e32 v27, 20, v27
	v_lshl_add_u32 v100, v100, 23, 0x3c000000
	v_and_b32_e32 v104, 0x80000000, v104
	v_or3_b32 v100, v27, v104, v100
.LBB353_400:                            ;   in Loop: Header=BB353_13 Depth=1
	s_or_b32 exec_lo, exec_lo, s51
.LBB353_401:                            ;   in Loop: Header=BB353_13 Depth=1
	s_or_b32 exec_lo, exec_lo, s50
.LBB353_402:                            ;   in Loop: Header=BB353_13 Depth=1
	s_or_b32 exec_lo, exec_lo, s4
	global_load_dword v108, v[33:34], off offset:1536
	v_mov_b32_e32 v105, 0
	v_mov_b32_e32 v104, 0
	s_waitcnt vmcnt(0)
	v_cmp_ne_u16_sdwa s2, v108, v28 src0_sel:BYTE_0 src1_sel:DWORD
	s_and_saveexec_b32 s4, s2
	s_cbranch_execz .LBB353_410
; %bb.403:                              ;   in Loop: Header=BB353_13 Depth=1
	v_cmp_ne_u16_sdwa s2, v108, v45 src0_sel:BYTE_0 src1_sel:DWORD
	v_bfrev_b32_e32 v104, 1
	s_and_saveexec_b32 s50, s2
	s_cbranch_execz .LBB353_409
; %bb.404:                              ;   in Loop: Header=BB353_13 Depth=1
	v_and_b32_e32 v106, 0x7f, v108
	v_mov_b32_e32 v104, 0x7f800001
	s_mov_b32 s51, exec_lo
	v_cmpx_ne_u32_e32 0x7f, v106
	s_cbranch_execz .LBB353_408
; %bb.405:                              ;   in Loop: Header=BB353_13 Depth=1
	v_and_b32_e32 v27, 7, v108
	v_lshrrev_b32_e32 v104, 3, v106
	s_mov_b32 s52, exec_lo
	v_cmpx_gt_u32_e32 8, v106
; %bb.406:                              ;   in Loop: Header=BB353_13 Depth=1
	v_ffbh_u32_e32 v104, v27
	v_min_u32_e32 v104, 32, v104
	v_subrev_nc_u32_e32 v106, 28, v104
	v_sub_nc_u32_e32 v104, 29, v104
	v_lshlrev_b64 v[106:107], v106, v[27:28]
	v_and_b32_e32 v27, 7, v106
; %bb.407:                              ;   in Loop: Header=BB353_13 Depth=1
	s_or_b32 exec_lo, exec_lo, s52
	v_lshlrev_b32_e32 v106, 24, v108
	v_lshlrev_b32_e32 v27, 20, v27
	v_lshl_add_u32 v104, v104, 23, 0x3c000000
	v_and_b32_e32 v106, 0x80000000, v106
	v_or3_b32 v104, v27, v106, v104
.LBB353_408:                            ;   in Loop: Header=BB353_13 Depth=1
	s_or_b32 exec_lo, exec_lo, s51
.LBB353_409:                            ;   in Loop: Header=BB353_13 Depth=1
	s_or_b32 exec_lo, exec_lo, s50
.LBB353_410:                            ;   in Loop: Header=BB353_13 Depth=1
	s_or_b32 exec_lo, exec_lo, s4
	v_cmp_ne_u16_sdwa s2, v108, v28 src0_sel:BYTE_1 src1_sel:DWORD
	s_and_saveexec_b32 s4, s2
	s_cbranch_execz .LBB353_418
; %bb.411:                              ;   in Loop: Header=BB353_13 Depth=1
	v_cmp_ne_u16_sdwa s2, v108, v45 src0_sel:BYTE_1 src1_sel:DWORD
	v_bfrev_b32_e32 v105, 1
	s_and_saveexec_b32 s50, s2
	s_cbranch_execz .LBB353_417
; %bb.412:                              ;   in Loop: Header=BB353_13 Depth=1
	v_and_b32_sdwa v27, v46, v108 dst_sel:DWORD dst_unused:UNUSED_PAD src0_sel:DWORD src1_sel:BYTE_1
	v_mov_b32_e32 v105, 0x7f800001
	s_mov_b32 s51, exec_lo
	v_and_b32_e32 v106, 0x7f, v27
	v_cmpx_ne_u32_e32 0x7f, v106
	s_cbranch_execz .LBB353_416
; %bb.413:                              ;   in Loop: Header=BB353_13 Depth=1
	v_and_b32_e32 v27, 7, v27
	v_lshrrev_b32_e32 v105, 3, v106
	s_mov_b32 s52, exec_lo
	v_cmpx_gt_u32_e32 8, v106
; %bb.414:                              ;   in Loop: Header=BB353_13 Depth=1
	v_ffbh_u32_e32 v105, v27
	v_min_u32_e32 v105, 32, v105
	v_subrev_nc_u32_e32 v106, 28, v105
	v_sub_nc_u32_e32 v105, 29, v105
	v_lshlrev_b64 v[106:107], v106, v[27:28]
	v_and_b32_e32 v27, 7, v106
; %bb.415:                              ;   in Loop: Header=BB353_13 Depth=1
	s_or_b32 exec_lo, exec_lo, s52
	v_lshlrev_b32_e32 v106, 16, v108
	v_lshlrev_b32_e32 v27, 20, v27
	v_lshl_add_u32 v105, v105, 23, 0x3c000000
	v_and_b32_e32 v106, 0x80000000, v106
	v_or3_b32 v105, v27, v106, v105
.LBB353_416:                            ;   in Loop: Header=BB353_13 Depth=1
	s_or_b32 exec_lo, exec_lo, s51
.LBB353_417:                            ;   in Loop: Header=BB353_13 Depth=1
	s_or_b32 exec_lo, exec_lo, s50
.LBB353_418:                            ;   in Loop: Header=BB353_13 Depth=1
	s_or_b32 exec_lo, exec_lo, s4
	v_and_b32_sdwa v27, v108, v47 dst_sel:DWORD dst_unused:UNUSED_PAD src0_sel:WORD_1 src1_sel:DWORD
	v_mov_b32_e32 v106, 0
	v_mov_b32_e32 v107, 0
	s_mov_b32 s4, exec_lo
	v_cmpx_ne_u16_e32 0, v27
	s_cbranch_execz .LBB353_426
; %bb.419:                              ;   in Loop: Header=BB353_13 Depth=1
	v_bfrev_b32_e32 v107, 1
	s_mov_b32 s50, exec_lo
	v_cmpx_ne_u16_e32 0x80, v27
	s_cbranch_execz .LBB353_425
; %bb.420:                              ;   in Loop: Header=BB353_13 Depth=1
	v_bfe_u32 v109, v108, 16, 7
	v_mov_b32_e32 v107, 0x7f800001
	s_mov_b32 s51, exec_lo
	v_cmpx_ne_u32_e32 0x7f, v109
	s_cbranch_execz .LBB353_424
; %bb.421:                              ;   in Loop: Header=BB353_13 Depth=1
	v_and_b32_sdwa v27, v108, v48 dst_sel:DWORD dst_unused:UNUSED_PAD src0_sel:WORD_1 src1_sel:DWORD
	v_lshrrev_b32_e32 v107, 3, v109
	s_mov_b32 s52, exec_lo
	v_cmpx_gt_u32_e32 8, v109
; %bb.422:                              ;   in Loop: Header=BB353_13 Depth=1
	v_ffbh_u32_e32 v107, v27
	v_min_u32_e32 v107, 32, v107
	v_subrev_nc_u32_e32 v109, 28, v107
	v_sub_nc_u32_e32 v107, 29, v107
	v_lshlrev_b64 v[109:110], v109, v[27:28]
	v_and_b32_e32 v27, 7, v109
; %bb.423:                              ;   in Loop: Header=BB353_13 Depth=1
	s_or_b32 exec_lo, exec_lo, s52
	v_lshlrev_b32_sdwa v109, v49, v108 dst_sel:DWORD dst_unused:UNUSED_PAD src0_sel:DWORD src1_sel:WORD_1
	v_lshlrev_b32_e32 v27, 20, v27
	v_lshl_add_u32 v107, v107, 23, 0x3c000000
	v_and_b32_e32 v109, 0x80000000, v109
	v_or3_b32 v107, v27, v109, v107
.LBB353_424:                            ;   in Loop: Header=BB353_13 Depth=1
	s_or_b32 exec_lo, exec_lo, s51
.LBB353_425:                            ;   in Loop: Header=BB353_13 Depth=1
	s_or_b32 exec_lo, exec_lo, s50
.LBB353_426:                            ;   in Loop: Header=BB353_13 Depth=1
	s_or_b32 exec_lo, exec_lo, s4
	s_mov_b32 s4, exec_lo
	v_cmpx_lt_u32_e32 0xffffff, v108
	s_cbranch_execz .LBB353_434
; %bb.427:                              ;   in Loop: Header=BB353_13 Depth=1
	v_cmp_ne_u32_sdwa s2, v108, v45 src0_sel:BYTE_3 src1_sel:DWORD
	v_bfrev_b32_e32 v106, 1
	s_and_saveexec_b32 s50, s2
	s_cbranch_execz .LBB353_433
; %bb.428:                              ;   in Loop: Header=BB353_13 Depth=1
	v_bfe_u32 v109, v108, 24, 7
	v_mov_b32_e32 v106, 0x7f800001
	s_mov_b32 s51, exec_lo
	v_cmpx_ne_u32_e32 0x7f, v109
	s_cbranch_execz .LBB353_432
; %bb.429:                              ;   in Loop: Header=BB353_13 Depth=1
	v_and_b32_sdwa v27, v108, v48 dst_sel:DWORD dst_unused:UNUSED_PAD src0_sel:BYTE_3 src1_sel:DWORD
	v_lshrrev_b32_e32 v106, 3, v109
	s_mov_b32 s52, exec_lo
	v_cmpx_gt_u32_e32 8, v109
; %bb.430:                              ;   in Loop: Header=BB353_13 Depth=1
	v_ffbh_u32_e32 v106, v27
	v_min_u32_e32 v106, 32, v106
	v_subrev_nc_u32_e32 v109, 28, v106
	v_sub_nc_u32_e32 v106, 29, v106
	v_lshlrev_b64 v[109:110], v109, v[27:28]
	v_and_b32_e32 v27, 7, v109
; %bb.431:                              ;   in Loop: Header=BB353_13 Depth=1
	s_or_b32 exec_lo, exec_lo, s52
	v_lshlrev_b32_sdwa v108, v49, v108 dst_sel:DWORD dst_unused:UNUSED_PAD src0_sel:DWORD src1_sel:BYTE_3
	v_lshlrev_b32_e32 v27, 20, v27
	v_lshl_add_u32 v106, v106, 23, 0x3c000000
	v_and_b32_e32 v108, 0x80000000, v108
	v_or3_b32 v106, v27, v108, v106
.LBB353_432:                            ;   in Loop: Header=BB353_13 Depth=1
	s_or_b32 exec_lo, exec_lo, s51
.LBB353_433:                            ;   in Loop: Header=BB353_13 Depth=1
	s_or_b32 exec_lo, exec_lo, s50
.LBB353_434:                            ;   in Loop: Header=BB353_13 Depth=1
	s_or_b32 exec_lo, exec_lo, s4
	global_load_dword v110, v[33:34], off offset:1544
	v_mov_b32_e32 v109, 0
	v_mov_b32_e32 v108, 0
	s_waitcnt vmcnt(0)
	v_cmp_ne_u16_sdwa s2, v110, v28 src0_sel:BYTE_0 src1_sel:DWORD
	s_and_saveexec_b32 s4, s2
	s_cbranch_execz .LBB353_442
; %bb.435:                              ;   in Loop: Header=BB353_13 Depth=1
	v_cmp_ne_u16_sdwa s2, v110, v45 src0_sel:BYTE_0 src1_sel:DWORD
	v_bfrev_b32_e32 v108, 1
	s_and_saveexec_b32 s50, s2
	s_cbranch_execz .LBB353_441
; %bb.436:                              ;   in Loop: Header=BB353_13 Depth=1
	v_and_b32_e32 v34, 0x7f, v110
	v_mov_b32_e32 v108, 0x7f800001
	s_mov_b32 s51, exec_lo
	v_cmpx_ne_u32_e32 0x7f, v34
	s_cbranch_execz .LBB353_440
; %bb.437:                              ;   in Loop: Header=BB353_13 Depth=1
	v_and_b32_e32 v27, 7, v110
	v_lshrrev_b32_e32 v33, 3, v34
	s_mov_b32 s52, exec_lo
	v_cmpx_gt_u32_e32 8, v34
; %bb.438:                              ;   in Loop: Header=BB353_13 Depth=1
	v_ffbh_u32_e32 v33, v27
	v_min_u32_e32 v33, 32, v33
	v_subrev_nc_u32_e32 v34, 28, v33
	v_sub_nc_u32_e32 v33, 29, v33
	v_lshlrev_b64 v[111:112], v34, v[27:28]
	v_and_b32_e32 v27, 7, v111
; %bb.439:                              ;   in Loop: Header=BB353_13 Depth=1
	s_or_b32 exec_lo, exec_lo, s52
	v_lshlrev_b32_e32 v34, 24, v110
	v_lshlrev_b32_e32 v27, 20, v27
	v_lshl_add_u32 v33, v33, 23, 0x3c000000
	v_and_b32_e32 v34, 0x80000000, v34
	v_or3_b32 v108, v27, v34, v33
.LBB353_440:                            ;   in Loop: Header=BB353_13 Depth=1
	s_or_b32 exec_lo, exec_lo, s51
.LBB353_441:                            ;   in Loop: Header=BB353_13 Depth=1
	s_or_b32 exec_lo, exec_lo, s50
.LBB353_442:                            ;   in Loop: Header=BB353_13 Depth=1
	s_or_b32 exec_lo, exec_lo, s4
	v_cmp_ne_u16_sdwa s2, v110, v28 src0_sel:BYTE_1 src1_sel:DWORD
	s_and_saveexec_b32 s4, s2
	s_cbranch_execz .LBB353_450
; %bb.443:                              ;   in Loop: Header=BB353_13 Depth=1
	v_cmp_ne_u16_sdwa s2, v110, v45 src0_sel:BYTE_1 src1_sel:DWORD
	v_bfrev_b32_e32 v109, 1
	s_and_saveexec_b32 s50, s2
	s_cbranch_execz .LBB353_449
; %bb.444:                              ;   in Loop: Header=BB353_13 Depth=1
	v_and_b32_sdwa v27, v46, v110 dst_sel:DWORD dst_unused:UNUSED_PAD src0_sel:DWORD src1_sel:BYTE_1
	v_mov_b32_e32 v109, 0x7f800001
	s_mov_b32 s51, exec_lo
	v_and_b32_e32 v34, 0x7f, v27
	v_cmpx_ne_u32_e32 0x7f, v34
	s_cbranch_execz .LBB353_448
; %bb.445:                              ;   in Loop: Header=BB353_13 Depth=1
	v_and_b32_e32 v27, 7, v27
	v_lshrrev_b32_e32 v33, 3, v34
	s_mov_b32 s52, exec_lo
	v_cmpx_gt_u32_e32 8, v34
; %bb.446:                              ;   in Loop: Header=BB353_13 Depth=1
	v_ffbh_u32_e32 v33, v27
	v_min_u32_e32 v33, 32, v33
	v_subrev_nc_u32_e32 v34, 28, v33
	v_sub_nc_u32_e32 v33, 29, v33
	v_lshlrev_b64 v[111:112], v34, v[27:28]
	v_and_b32_e32 v27, 7, v111
; %bb.447:                              ;   in Loop: Header=BB353_13 Depth=1
	s_or_b32 exec_lo, exec_lo, s52
	v_lshlrev_b32_e32 v34, 16, v110
	v_lshlrev_b32_e32 v27, 20, v27
	v_lshl_add_u32 v33, v33, 23, 0x3c000000
	v_and_b32_e32 v34, 0x80000000, v34
	v_or3_b32 v109, v27, v34, v33
.LBB353_448:                            ;   in Loop: Header=BB353_13 Depth=1
	s_or_b32 exec_lo, exec_lo, s51
.LBB353_449:                            ;   in Loop: Header=BB353_13 Depth=1
	s_or_b32 exec_lo, exec_lo, s50
.LBB353_450:                            ;   in Loop: Header=BB353_13 Depth=1
	s_or_b32 exec_lo, exec_lo, s4
	v_and_b32_sdwa v27, v110, v47 dst_sel:DWORD dst_unused:UNUSED_PAD src0_sel:WORD_1 src1_sel:DWORD
	v_mov_b32_e32 v33, 0
	v_mov_b32_e32 v34, 0
	s_mov_b32 s4, exec_lo
	v_cmpx_ne_u16_e32 0, v27
	s_cbranch_execz .LBB353_458
; %bb.451:                              ;   in Loop: Header=BB353_13 Depth=1
	v_bfrev_b32_e32 v34, 1
	s_mov_b32 s50, exec_lo
	v_cmpx_ne_u16_e32 0x80, v27
	s_cbranch_execz .LBB353_457
; %bb.452:                              ;   in Loop: Header=BB353_13 Depth=1
	v_bfe_u32 v111, v110, 16, 7
	v_mov_b32_e32 v34, 0x7f800001
	s_mov_b32 s51, exec_lo
	v_cmpx_ne_u32_e32 0x7f, v111
	s_cbranch_execz .LBB353_456
; %bb.453:                              ;   in Loop: Header=BB353_13 Depth=1
	v_and_b32_sdwa v27, v110, v48 dst_sel:DWORD dst_unused:UNUSED_PAD src0_sel:WORD_1 src1_sel:DWORD
	v_lshrrev_b32_e32 v34, 3, v111
	s_mov_b32 s52, exec_lo
	v_cmpx_gt_u32_e32 8, v111
; %bb.454:                              ;   in Loop: Header=BB353_13 Depth=1
	v_ffbh_u32_e32 v34, v27
	v_min_u32_e32 v34, 32, v34
	v_subrev_nc_u32_e32 v111, 28, v34
	v_sub_nc_u32_e32 v34, 29, v34
	v_lshlrev_b64 v[111:112], v111, v[27:28]
	v_and_b32_e32 v27, 7, v111
; %bb.455:                              ;   in Loop: Header=BB353_13 Depth=1
	s_or_b32 exec_lo, exec_lo, s52
	v_lshlrev_b32_sdwa v111, v49, v110 dst_sel:DWORD dst_unused:UNUSED_PAD src0_sel:DWORD src1_sel:WORD_1
	v_lshlrev_b32_e32 v27, 20, v27
	v_lshl_add_u32 v34, v34, 23, 0x3c000000
	v_and_b32_e32 v111, 0x80000000, v111
	v_or3_b32 v34, v27, v111, v34
.LBB353_456:                            ;   in Loop: Header=BB353_13 Depth=1
	s_or_b32 exec_lo, exec_lo, s51
.LBB353_457:                            ;   in Loop: Header=BB353_13 Depth=1
	s_or_b32 exec_lo, exec_lo, s50
.LBB353_458:                            ;   in Loop: Header=BB353_13 Depth=1
	s_or_b32 exec_lo, exec_lo, s4
	s_mov_b32 s4, exec_lo
	v_cmpx_lt_u32_e32 0xffffff, v110
	s_cbranch_execz .LBB353_466
; %bb.459:                              ;   in Loop: Header=BB353_13 Depth=1
	v_cmp_ne_u32_sdwa s2, v110, v45 src0_sel:BYTE_3 src1_sel:DWORD
	v_bfrev_b32_e32 v33, 1
	s_and_saveexec_b32 s50, s2
	s_cbranch_execz .LBB353_465
; %bb.460:                              ;   in Loop: Header=BB353_13 Depth=1
	v_bfe_u32 v111, v110, 24, 7
	v_mov_b32_e32 v33, 0x7f800001
	s_mov_b32 s51, exec_lo
	v_cmpx_ne_u32_e32 0x7f, v111
	s_cbranch_execz .LBB353_464
; %bb.461:                              ;   in Loop: Header=BB353_13 Depth=1
	v_and_b32_sdwa v27, v110, v48 dst_sel:DWORD dst_unused:UNUSED_PAD src0_sel:BYTE_3 src1_sel:DWORD
	v_lshrrev_b32_e32 v33, 3, v111
	s_mov_b32 s52, exec_lo
	v_cmpx_gt_u32_e32 8, v111
; %bb.462:                              ;   in Loop: Header=BB353_13 Depth=1
	v_ffbh_u32_e32 v33, v27
	v_min_u32_e32 v33, 32, v33
	v_subrev_nc_u32_e32 v111, 28, v33
	v_sub_nc_u32_e32 v33, 29, v33
	v_lshlrev_b64 v[111:112], v111, v[27:28]
	v_and_b32_e32 v27, 7, v111
; %bb.463:                              ;   in Loop: Header=BB353_13 Depth=1
	s_or_b32 exec_lo, exec_lo, s52
	v_lshlrev_b32_sdwa v110, v49, v110 dst_sel:DWORD dst_unused:UNUSED_PAD src0_sel:DWORD src1_sel:BYTE_3
	v_lshlrev_b32_e32 v27, 20, v27
	v_lshl_add_u32 v33, v33, 23, 0x3c000000
	v_and_b32_e32 v110, 0x80000000, v110
	v_or3_b32 v33, v27, v110, v33
.LBB353_464:                            ;   in Loop: Header=BB353_13 Depth=1
	s_or_b32 exec_lo, exec_lo, s51
.LBB353_465:                            ;   in Loop: Header=BB353_13 Depth=1
	s_or_b32 exec_lo, exec_lo, s50
.LBB353_466:                            ;   in Loop: Header=BB353_13 Depth=1
	s_or_b32 exec_lo, exec_lo, s4
	s_waitcnt lgkmcnt(0)
	v_lshlrev_b32_e32 v124, 16, v21
	v_lshlrev_b32_e32 v125, 16, v22
	;; [unrolled: 1-line block ×4, first 2 shown]
	v_and_b32_e32 v35, 0xffff0000, v21
	v_and_b32_e32 v36, 0xffff0000, v22
	;; [unrolled: 1-line block ×4, first 2 shown]
	v_lshlrev_b32_e32 v24, 16, v11
	v_lshlrev_b32_e32 v22, 16, v12
	v_and_b32_e32 v23, 0xffff0000, v11
	v_and_b32_e32 v21, 0xffff0000, v12
	v_lshlrev_b32_e32 v12, 16, v1
	v_and_b32_e32 v11, 0xffff0000, v1
	v_mul_f32_e32 v1, s3, v61
	v_lshlrev_b32_e32 v112, 16, v9
	v_lshlrev_b32_e32 v110, 16, v10
	v_and_b32_e32 v111, 0xffff0000, v9
	v_and_b32_e32 v27, 0xffff0000, v10
	v_lshlrev_b32_e32 v10, 16, v2
	v_and_b32_e32 v9, 0xffff0000, v2
	v_bfe_u32 v2, v1, 16, 1
	v_cmp_u_f32_e64 s2, v1, v1
	v_lshlrev_b32_e32 v120, 16, v13
	v_lshlrev_b32_e32 v118, 16, v14
	;; [unrolled: 1-line block ×3, first 2 shown]
	v_add3_u32 v2, v2, v1, 0x7fff
	v_or_b32_e32 v1, 0x400000, v1
	v_lshlrev_b32_e32 v114, 16, v16
	v_and_b32_e32 v119, 0xffff0000, v13
	v_and_b32_e32 v117, 0xffff0000, v14
	;; [unrolled: 1-line block ×3, first 2 shown]
	v_cndmask_b32_e64 v1, v2, v1, s2
	v_mul_f32_e32 v2, s3, v57
	v_and_b32_e32 v113, 0xffff0000, v16
	v_lshlrev_b32_e32 v16, 16, v7
	v_lshlrev_b32_e32 v14, 16, v8
	v_and_b32_e32 v15, 0xffff0000, v7
	v_and_b32_e32 v13, 0xffff0000, v8
	v_lshlrev_b32_e32 v8, 16, v3
	v_and_b32_e32 v7, 0xffff0000, v3
	v_bfe_u32 v3, v2, 16, 1
	v_cmp_u_f32_e64 s2, v2, v2
	v_and_b32_e32 v1, 0xffff0000, v1
	v_lshlrev_b32_e32 v31, 16, v19
	v_lshlrev_b32_e32 v122, 16, v20
	v_add3_u32 v3, v3, v2, 0x7fff
	v_or_b32_e32 v2, 0x400000, v2
	v_mul_f32_e32 v1, v126, v1
	v_and_b32_e32 v123, 0xffff0000, v19
	v_and_b32_e32 v121, 0xffff0000, v20
	v_lshlrev_b32_e32 v20, 16, v5
	v_cndmask_b32_e64 v2, v3, v2, s2
	v_and_b32_e32 v19, 0xffff0000, v5
	v_lshlrev_b32_e32 v41, 16, v17
	v_and_b32_e32 v32, 0xffff0000, v17
	v_lshlrev_b32_e32 v50, 16, v18
	v_and_b32_e32 v2, 0xffff0000, v2
	v_and_b32_e32 v40, 0xffff0000, v18
	v_lshlrev_b32_e32 v18, 16, v6
	v_and_b32_e32 v17, 0xffff0000, v6
	v_lshlrev_b32_e32 v6, 16, v4
	v_fmac_f32_e32 v1, v124, v2
	v_mul_f32_e32 v2, s3, v60
	v_and_b32_e32 v4, 0xffff0000, v4
	v_bfe_u32 v3, v2, 16, 1
	v_cmp_u_f32_e64 s2, v2, v2
	v_add3_u32 v3, v3, v2, 0x7fff
	v_or_b32_e32 v2, 0x400000, v2
	v_cndmask_b32_e64 v2, v3, v2, s2
	v_mul_f32_e32 v3, s3, v56
	v_and_b32_e32 v2, 0xffff0000, v2
	v_bfe_u32 v5, v3, 16, 1
	v_cmp_u_f32_e64 s2, v3, v3
	v_mul_f32_e32 v2, v39, v2
	v_add3_u32 v5, v5, v3, 0x7fff
	v_or_b32_e32 v3, 0x400000, v3
	v_cndmask_b32_e64 v3, v5, v3, s2
	v_and_b32_e32 v3, 0xffff0000, v3
	v_fmac_f32_e32 v2, v35, v3
	v_mul_f32_e32 v3, s3, v63
	v_bfe_u32 v5, v3, 16, 1
	v_cmp_u_f32_e64 s2, v3, v3
	v_add3_u32 v5, v5, v3, 0x7fff
	v_or_b32_e32 v3, 0x400000, v3
	v_cndmask_b32_e64 v3, v5, v3, s2
	v_mul_f32_e32 v5, s3, v59
	v_and_b32_e32 v3, 0xffff0000, v3
	v_bfe_u32 v35, v5, 16, 1
	v_cmp_u_f32_e64 s2, v5, v5
	v_mul_f32_e32 v3, v127, v3
	v_add3_u32 v35, v35, v5, 0x7fff
	v_or_b32_e32 v5, 0x400000, v5
	v_cndmask_b32_e64 v5, v35, v5, s2
	v_and_b32_e32 v5, 0xffff0000, v5
	v_fmac_f32_e32 v3, v125, v5
	v_mul_f32_e32 v5, s3, v62
	;; [unrolled: 16-line block ×3, first 2 shown]
	v_bfe_u32 v36, v35, 16, 1
	v_cmp_u_f32_e64 s2, v35, v35
	v_add3_u32 v36, v36, v35, 0x7fff
	v_or_b32_e32 v35, 0x400000, v35
	v_cndmask_b32_e64 v35, v36, v35, s2
	v_and_b32_e32 v35, 0xffff0000, v35
	v_fmac_f32_e32 v1, v41, v35
	v_mul_f32_e32 v35, s3, v64
	v_bfe_u32 v36, v35, 16, 1
	v_cmp_u_f32_e64 s2, v35, v35
	v_add3_u32 v36, v36, v35, 0x7fff
	v_or_b32_e32 v35, 0x400000, v35
	v_cndmask_b32_e64 v35, v36, v35, s2
	v_and_b32_e32 v35, 0xffff0000, v35
	v_fmac_f32_e32 v2, v32, v35
	v_mul_f32_e32 v32, s3, v67
	;; [unrolled: 8-line block ×27, first 2 shown]
	v_bfe_u32 v19, v18, 16, 1
	v_cmp_u_f32_e64 s2, v18, v18
	v_add3_u32 v19, v19, v18, 0x7fff
	v_or_b32_e32 v18, 0x400000, v18
	v_cndmask_b32_e64 v18, v19, v18, s2
	v_lshlrev_b32_e32 v19, 16, v54
	v_and_b32_e32 v18, 0xffff0000, v18
	v_fmac_f32_e32 v5, v17, v18
	v_mul_f32_e32 v17, s3, v93
	v_bfe_u32 v18, v17, 16, 1
	v_cmp_u_f32_e64 s2, v17, v17
	v_add3_u32 v18, v18, v17, 0x7fff
	v_or_b32_e32 v17, 0x400000, v17
	v_cndmask_b32_e64 v17, v18, v17, s2
	v_and_b32_e32 v17, 0xffff0000, v17
	v_fmac_f32_e32 v1, v16, v17
	v_mul_f32_e32 v16, s3, v92
	v_bfe_u32 v17, v16, 16, 1
	v_cmp_u_f32_e64 s2, v16, v16
	v_add3_u32 v17, v17, v16, 0x7fff
	v_or_b32_e32 v16, 0x400000, v16
	v_cndmask_b32_e64 v16, v17, v16, s2
	v_mul_f32_e32 v17, s3, v33
	v_and_b32_e32 v16, 0xffff0000, v16
	v_cmp_u_f32_e64 s4, v17, v17
	v_fmac_f32_e32 v2, v15, v16
	v_mul_f32_e32 v15, s3, v95
	v_bfe_u32 v16, v15, 16, 1
	v_cmp_u_f32_e64 s2, v15, v15
	v_add3_u32 v16, v16, v15, 0x7fff
	v_or_b32_e32 v15, 0x400000, v15
	v_cndmask_b32_e64 v15, v16, v15, s2
	v_mul_f32_e32 v16, s3, v34
	v_and_b32_e32 v15, 0xffff0000, v15
	v_fmac_f32_e32 v3, v14, v15
	v_mul_f32_e32 v14, s3, v94
	v_bfe_u32 v15, v14, 16, 1
	v_cmp_u_f32_e64 s2, v14, v14
	v_add3_u32 v15, v15, v14, 0x7fff
	v_or_b32_e32 v14, 0x400000, v14
	v_cndmask_b32_e64 v14, v15, v14, s2
	v_mul_f32_e32 v15, s3, v104
	v_and_b32_e32 v14, 0xffff0000, v14
	v_or_b32_e32 v18, 0x400000, v15
	v_fmac_f32_e32 v5, v13, v14
	v_mul_f32_e32 v13, s3, v97
	v_bfe_u32 v14, v13, 16, 1
	v_cmp_u_f32_e64 s2, v13, v13
	v_add3_u32 v14, v14, v13, 0x7fff
	v_or_b32_e32 v13, 0x400000, v13
	v_cndmask_b32_e64 v13, v14, v13, s2
	v_and_b32_e32 v13, 0xffff0000, v13
	v_fmac_f32_e32 v1, v12, v13
	v_mul_f32_e32 v12, s3, v96
	v_bfe_u32 v13, v12, 16, 1
	v_cmp_u_f32_e64 s2, v12, v12
	v_add3_u32 v13, v13, v12, 0x7fff
	v_or_b32_e32 v12, 0x400000, v12
	v_cndmask_b32_e64 v12, v13, v12, s2
	v_and_b32_e32 v12, 0xffff0000, v12
	;; [unrolled: 8-line block ×4, first 2 shown]
	v_fmac_f32_e32 v5, v9, v10
	v_mul_f32_e32 v9, s3, v103
	v_bfe_u32 v10, v9, 16, 1
	v_cmp_u_f32_e64 s2, v9, v9
	v_add3_u32 v10, v10, v9, 0x7fff
	v_or_b32_e32 v9, 0x400000, v9
	v_cndmask_b32_e64 v9, v10, v9, s2
	v_mul_f32_e32 v10, s3, v107
	v_and_b32_e32 v9, 0xffff0000, v9
	v_fmac_f32_e32 v1, v8, v9
	v_mul_f32_e32 v8, s3, v101
	v_bfe_u32 v9, v8, 16, 1
	v_cmp_u_f32_e64 s2, v8, v8
	v_add3_u32 v9, v9, v8, 0x7fff
	v_or_b32_e32 v8, 0x400000, v8
	v_cndmask_b32_e64 v8, v9, v8, s2
	v_mul_f32_e32 v9, s3, v108
	v_and_b32_e32 v8, 0xffff0000, v8
	v_fmac_f32_e32 v2, v7, v8
	v_mul_f32_e32 v7, s3, v109
	v_bfe_u32 v8, v7, 16, 1
	v_cmp_u_f32_e64 s2, v7, v7
	v_add3_u32 v8, v8, v7, 0x7fff
	v_or_b32_e32 v7, 0x400000, v7
	v_cndmask_b32_e64 v7, v8, v7, s2
	v_bfe_u32 v8, v9, 16, 1
	v_cmp_u_f32_e64 s2, v9, v9
	v_and_b32_e32 v7, 0xffff0000, v7
	v_add3_u32 v8, v8, v9, 0x7fff
	v_or_b32_e32 v9, 0x400000, v9
	v_cndmask_b32_e64 v11, v8, v9, s2
	v_bfe_u32 v8, v10, 16, 1
	v_cmp_u_f32_e64 s2, v10, v10
	v_or_b32_e32 v9, 0x400000, v10
	v_and_b32_e32 v11, 0xffff0000, v11
	v_add3_u32 v8, v8, v10, 0x7fff
	v_mul_f32_e32 v10, s3, v106
	v_cndmask_b32_e64 v12, v8, v9, s2
	v_bfe_u32 v8, v10, 16, 1
	v_cmp_u_f32_e64 s2, v10, v10
	v_or_b32_e32 v9, 0x400000, v10
	v_and_b32_e32 v12, 0xffff0000, v12
	v_add3_u32 v8, v8, v10, 0x7fff
	v_mul_f32_e32 v10, s3, v105
	;; [unrolled: 7-line block ×4, first 2 shown]
	v_cmp_u_f32_e64 s3, v16, v16
	v_cndmask_b32_e64 v8, v8, v9, s2
	v_bfe_u32 v9, v10, 16, 1
	v_cmp_u_f32_e64 s2, v10, v10
	v_and_b32_e32 v8, 0xffff0000, v8
	v_add3_u32 v9, v9, v10, 0x7fff
	v_or_b32_e32 v10, 0x400000, v10
	v_fmac_f32_e32 v3, v6, v8
	v_bfe_u32 v6, v16, 16, 1
	v_cndmask_b32_e64 v9, v9, v10, s2
	v_bfe_u32 v10, v15, 16, 1
	v_cmp_u_f32_e64 s2, v15, v15
	v_fmac_f32_e32 v3, v19, v12
	v_add3_u32 v6, v6, v16, 0x7fff
	v_and_b32_e32 v8, 0xffff0000, v9
	v_add3_u32 v10, v10, v15, 0x7fff
	v_bfe_u32 v15, v17, 16, 1
	v_fmac_f32_e32 v5, v4, v8
	ds_read_b64 v[8:9], v43 offset:102
	v_or_b32_e32 v4, 0x400000, v16
	v_add3_u32 v15, v15, v17, 0x7fff
	v_or_b32_e32 v16, 0x400000, v17
	v_cndmask_b32_e64 v10, v10, v18, s2
	ds_read_u16 v18, v43 offset:110
	v_and_b32_e32 v17, 0xffff0000, v55
	v_cndmask_b32_e64 v4, v6, v4, s3
	v_cndmask_b32_e64 v15, v15, v16, s4
	v_lshlrev_b32_e32 v16, 16, v55
	v_and_b32_e32 v10, 0xffff0000, v10
	v_fmac_f32_e32 v2, v17, v14
	v_xor_b32_e32 v6, 1, v0
	v_and_b32_e32 v4, 0xffff0000, v4
	v_fmac_f32_e32 v1, v16, v10
	v_cmp_gt_i32_e64 s2, 32, v6
	s_waitcnt lgkmcnt(1)
	v_lshlrev_b32_e32 v10, 16, v8
	v_and_b32_e32 v8, 0xffff0000, v8
	v_lshlrev_b32_e32 v14, 16, v9
	v_fmac_f32_e32 v5, v13, v10
	v_fmac_f32_e32 v1, v11, v8
	v_and_b32_e32 v8, 0xffff0000, v9
	v_fmac_f32_e32 v2, v7, v14
	s_waitcnt lgkmcnt(0)
	v_lshlrev_b32_e32 v7, 16, v18
	v_and_b32_e32 v9, 0xffff0000, v15
	v_fmac_f32_e32 v3, v4, v8
	v_add_f32_e32 v1, v1, v2
	v_cndmask_b32_e64 v2, v0, v6, s2
	v_fmac_f32_e32 v5, v9, v7
	v_add_f32_e32 v1, v1, v3
	v_lshlrev_b32_e32 v2, 2, v2
	v_add_f32_e32 v1, v5, v1
	ds_bpermute_b32 v2, v2, v1
	s_and_saveexec_b32 s3, vcc_lo
	s_cbranch_execz .LBB353_11
; %bb.467:                              ;   in Loop: Header=BB353_13 Depth=1
	buffer_load_dword v3, off, s[56:59], 0 offset:12 ; 4-byte Folded Reload
	s_waitcnt lgkmcnt(0)
	v_add_f32_e32 v1, v1, v2
	s_waitcnt vmcnt(0)
	v_add_nc_u32_e32 v3, v3, v44
	v_cvt_f32_i32_e32 v3, v3
	v_mul_f32_e32 v3, s43, v3
	v_cndmask_b32_e64 v2, 0, v3, s1
	v_max_f32_e32 v3, v42, v42
	v_fmac_f32_e32 v2, s41, v1
	buffer_load_dword v1, off, s[56:59], 0 offset:8 ; 4-byte Folded Reload
	v_max_f32_e32 v3, v3, v2
	s_waitcnt vmcnt(0)
	v_add_nc_u32_e32 v1, v1, v44
	v_cmp_gt_i32_e64 s2, s31, v1
	v_cndmask_b32_e64 v1, 0, v2, s2
	v_cndmask_b32_e64 v42, v42, v3, s2
	ds_write_b32 v51, v1
	s_branch .LBB353_11
.LBB353_468:
	s_or_b32 exec_lo, exec_lo, s47
	buffer_load_dword v12, off, s[56:59], 0 offset:32 ; 4-byte Folded Reload
.LBB353_469:
	s_or_b32 exec_lo, exec_lo, s45
	s_clause 0x1
	buffer_load_dword v17, off, s[56:59], 0 offset:20
	buffer_load_dword v7, off, s[56:59], 0 offset:16
	v_xor_b32_e32 v1, 16, v0
	s_waitcnt lgkmcnt(0)
	v_xor_b32_e32 v2, 8, v0
	v_max_f32_e32 v4, v42, v42
	v_cmp_gt_i32_e32 vcc_lo, 32, v1
	v_cndmask_b32_e32 v1, v0, v1, vcc_lo
	v_cmp_gt_i32_e32 vcc_lo, 32, v2
	v_lshlrev_b32_e32 v3, 2, v1
	v_cndmask_b32_e32 v2, v0, v2, vcc_lo
	ds_bpermute_b32 v1, v3, v42
	v_lshlrev_b32_e32 v5, 2, v2
	s_waitcnt lgkmcnt(0)
	v_max_f32_e32 v1, v1, v1
	v_max_f32_e32 v1, v4, v1
	v_xor_b32_e32 v4, 4, v0
	ds_bpermute_b32 v2, v5, v1
	v_cmp_gt_i32_e32 vcc_lo, 32, v4
	v_cndmask_b32_e32 v4, v0, v4, vcc_lo
	v_lshlrev_b32_e32 v6, 2, v4
	v_xor_b32_e32 v4, 2, v0
	v_cmp_gt_i32_e32 vcc_lo, 32, v4
	s_waitcnt lgkmcnt(0)
	v_max_f32_e32 v2, v2, v2
	v_cndmask_b32_e32 v4, v0, v4, vcc_lo
	v_max_f32_e32 v1, v1, v2
	ds_bpermute_b32 v2, v6, v1
	s_waitcnt lgkmcnt(0)
	v_max_f32_e32 v2, v2, v2
	v_max_f32_e32 v1, v1, v2
	v_lshlrev_b32_e32 v2, 2, v4
	ds_bpermute_b32 v4, v2, v1
	s_waitcnt vmcnt(1)
	v_and_b32_e32 v21, 31, v17
	s_waitcnt vmcnt(0)
	v_lshlrev_b32_e32 v7, 2, v7
	v_cmp_eq_u32_e32 vcc_lo, 0, v21
	s_and_saveexec_b32 s1, vcc_lo
	s_cbranch_execz .LBB353_471
; %bb.470:
	s_waitcnt lgkmcnt(0)
	v_max_f32_e32 v4, v4, v4
	v_max_f32_e32 v1, v1, v1
	;; [unrolled: 1-line block ×3, first 2 shown]
	ds_write_b32 v7, v1 offset:224
.LBB353_471:
	s_or_b32 exec_lo, exec_lo, s1
	v_cmp_gt_u32_e64 s1, 4, v21
	v_mov_b32_e32 v1, 0xff7fffff
	v_lshlrev_b32_e32 v8, 2, v21
	s_waitcnt lgkmcnt(0)
	s_waitcnt_vscnt null, 0x0
	s_barrier
	buffer_gl0_inv
	s_and_saveexec_b32 s2, s1
; %bb.472:
	ds_read_b32 v1, v8 offset:224
; %bb.473:
	s_or_b32 exec_lo, exec_lo, s2
	s_waitcnt lgkmcnt(0)
	ds_bpermute_b32 v4, v2, v1
	v_xor_b32_e32 v9, 1, v0
	v_max_f32_e32 v1, v1, v1
	v_cmp_gt_i32_e64 s2, 32, v9
	v_cndmask_b32_e64 v0, v0, v9, s2
	v_mov_b32_e32 v9, 0
	s_sub_i32 s2, s20, s44
	s_lshl_b32 s2, s2, 4
	v_lshlrev_b32_e32 v22, 2, v0
	s_add_i32 s2, s2, s42
	s_min_i32 s2, s2, s31
	s_waitcnt lgkmcnt(0)
	v_max_f32_e32 v4, v4, v4
	s_sub_i32 s4, s2, s42
	v_cmp_gt_i32_e64 s2, s4, v17
	v_max_f32_e32 v0, v1, v4
	v_lshl_add_u32 v4, v17, 2, 0x100
	ds_bpermute_b32 v1, v22, v0
	s_waitcnt lgkmcnt(0)
	v_max_f32_e32 v1, v1, v1
	v_max_f32_e32 v0, v0, v1
	ds_bpermute_b32 v1, v9, v0
	s_and_saveexec_b32 s5, s2
	s_cbranch_execz .LBB353_477
; %bb.474:
	v_lshl_add_u32 v10, v17, 2, 0x100
	v_mov_b32_e32 v9, 0
	v_mov_b32_e32 v11, v17
	s_mov_b32 s12, 0
	.p2align	6
.LBB353_475:                            ; =>This Inner Loop Header: Depth=1
	ds_read_b32 v0, v10
	v_add_nc_u32_e32 v11, 0x80, v11
	v_cmp_le_i32_e64 s3, s4, v11
	s_or_b32 s12, s3, s12
	s_waitcnt lgkmcnt(0)
	v_sub_f32_e32 v0, v0, v1
	v_mul_f32_e32 v0, 0x3fb8aa3b, v0
	v_exp_f32_e32 v0, v0
	ds_write_b32 v10, v0
	v_add_f32_e32 v9, v9, v0
	v_add_nc_u32_e32 v10, 0x200, v10
	s_andn2_b32 exec_lo, exec_lo, s12
	s_cbranch_execnz .LBB353_475
; %bb.476:
	s_or_b32 exec_lo, exec_lo, s12
.LBB353_477:
	s_or_b32 exec_lo, exec_lo, s5
	ds_bpermute_b32 v0, v3, v9
	s_waitcnt lgkmcnt(0)
	v_add_f32_e32 v0, v9, v0
	ds_bpermute_b32 v3, v5, v0
	s_waitcnt lgkmcnt(0)
	v_add_f32_e32 v0, v0, v3
	;; [unrolled: 3-line block ×5, first 2 shown]
	s_and_saveexec_b32 s3, vcc_lo
; %bb.478:
	ds_write_b32 v7, v3 offset:240
; %bb.479:
	s_or_b32 exec_lo, exec_lo, s3
	s_waitcnt lgkmcnt(0)
	s_barrier
	buffer_gl0_inv
	s_and_saveexec_b32 s3, s1
; %bb.480:
	ds_read_b32 v3, v8 offset:240
; %bb.481:
	s_or_b32 exec_lo, exec_lo, s3
	s_waitcnt lgkmcnt(0)
	ds_bpermute_b32 v0, v2, v3
	s_waitcnt lgkmcnt(0)
	v_add_f32_e32 v0, v3, v0
	ds_bpermute_b32 v2, v22, v0
	s_waitcnt lgkmcnt(0)
	v_add_f32_e32 v0, v0, v2
	v_mov_b32_e32 v2, 0
	ds_bpermute_b32 v2, v2, v0
	s_and_saveexec_b32 s1, s2
	s_cbranch_execz .LBB353_484
; %bb.482:
	s_waitcnt lgkmcnt(0)
	v_add_f32_e32 v0, 0x358637bd, v2
	s_mov_b32 s2, 0
	v_div_scale_f32 v3, null, v0, v0, 1.0
	v_div_scale_f32 v7, vcc_lo, 1.0, v0, 1.0
	v_rcp_f32_e32 v5, v3
	v_fma_f32 v6, -v3, v5, 1.0
	v_fmac_f32_e32 v5, v6, v5
	v_mul_f32_e32 v6, v7, v5
	v_fma_f32 v8, -v3, v6, v7
	v_fmac_f32_e32 v6, v8, v5
	v_fma_f32 v3, -v3, v6, v7
	v_div_fmas_f32 v3, v3, v5, v6
	v_mov_b32_e32 v5, v17
	v_div_fixup_f32 v3, v3, v0, 1.0
.LBB353_483:                            ; =>This Inner Loop Header: Depth=1
	ds_read_b32 v0, v4
	v_add_nc_u32_e32 v5, 0x80, v5
	v_cmp_le_i32_e32 vcc_lo, s4, v5
	s_or_b32 s2, vcc_lo, s2
	s_waitcnt lgkmcnt(0)
	v_mul_f32_e32 v0, v3, v0
	ds_write_b32 v4, v0
	v_add_nc_u32_e32 v4, 0x200, v4
	s_andn2_b32 exec_lo, exec_lo, s2
	s_cbranch_execnz .LBB353_483
.LBB353_484:
	s_or_b32 exec_lo, exec_lo, s1
	s_mul_i32 s1, s7, s30
	s_waitcnt lgkmcnt(0)
	s_mul_i32 s2, s1, s9
	s_mov_b32 s1, exec_lo
	s_barrier
	buffer_gl0_inv
	v_cmpx_eq_u32_e32 0, v17
	s_cbranch_execz .LBB353_486
; %bb.485:
	s_ashr_i32 s3, s2, 31
	s_mul_i32 s12, s7, s6
	s_lshl_b64 s[4:5], s[2:3], 2
	v_mov_b32_e32 v0, 0
	s_add_u32 s3, s26, s4
	s_addc_u32 s6, s27, s5
	s_ashr_i32 s13, s12, 31
	s_lshl_b64 s[12:13], s[12:13], 2
	s_add_u32 s3, s3, s12
	s_addc_u32 s6, s6, s13
	s_ashr_i32 s9, s8, 31
	s_lshl_b64 s[26:27], s[8:9], 2
	s_add_u32 s42, s3, s26
	s_addc_u32 s43, s6, s27
	s_add_u32 s3, s24, s4
	s_addc_u32 s4, s25, s5
	;; [unrolled: 2-line block ×4, first 2 shown]
	global_store_dword v0, v1, s[42:43]
	global_store_dword v0, v2, s[4:5]
.LBB353_486:
	s_or_b32 exec_lo, exec_lo, s1
	v_mov_b32_e32 v32, 0
	v_mov_b32_e32 v30, 0
	;; [unrolled: 1-line block ×7, first 2 shown]
	s_and_saveexec_b32 s1, s0
	s_cbranch_execz .LBB353_926
; %bb.487:
	s_sub_i32 s3, s40, s21
	s_ashr_i32 s0, s18, 31
	s_add_u32 s12, s38, s18
	s_addc_u32 s0, s39, s0
	s_abs_i32 s6, s22
	v_and_b32_e32 v3, 0xf8, v12
	v_cvt_f32_u32_e32 v0, s6
	s_sub_i32 s4, 0, s6
	buffer_load_dword v4, off, s[56:59], 0 offset:24 ; 4-byte Folded Reload
	v_lshlrev_b64 v[1:2], 2, v[25:26]
	v_add_co_u32 v11, s12, s12, v3
	v_rcp_iflag_f32_e32 v0, v0
	s_add_i32 s33, s33, -1
	v_and_b32_e32 v31, 8, v12
	v_add_co_ci_u32_e64 v12, null, s0, 0, s12
	v_mov_b32_e32 v10, 0
	v_mov_b32_e32 v26, 0x80
	v_mov_b32_e32 v33, 0xffff
	v_mov_b32_e32 v34, 0xff
	v_mov_b32_e32 v39, 7
	v_mul_f32_e32 v0, 0x4f7ffffe, v0
	v_mov_b32_e32 v40, 24
	v_mov_b32_e32 v23, 0
	v_mov_b32_e32 v24, 0
	v_mov_b32_e32 v27, 0
	v_cvt_u32_f32_e32 v0, v0
	v_mov_b32_e32 v28, 0
	v_mov_b32_e32 v29, 0
	;; [unrolled: 1-line block ×4, first 2 shown]
	v_mul_lo_u32 v5, s4, v0
	s_lshl_b64 s[4:5], s[36:37], 2
	s_mov_b32 s9, s17
	s_add_u32 s0, s34, s4
	s_addc_u32 s4, s35, s5
	v_add_co_u32 v13, vcc_lo, s0, v1
	v_add_co_ci_u32_e64 v14, null, s4, v2, vcc_lo
	v_mul_hi_u32 v3, v0, v5
	buffer_load_dword v5, off, s[56:59], 0 offset:16 ; 4-byte Folded Reload
	s_mov_b32 s4, -1
	s_mov_b32 s5, 0xffffff
	s_mov_b32 s12, 0
	v_add_nc_u32_e32 v42, v0, v3
	s_waitcnt vmcnt(1)
	v_lshlrev_b32_e32 v4, 5, v4
	s_waitcnt vmcnt(0)
	v_lshl_or_b32 v4, v5, 6, v4
	v_add_nc_u32_e32 v41, 0x100, v4
	s_branch .LBB353_490
.LBB353_488:                            ;   in Loop: Header=BB353_490 Depth=1
	s_or_b32 exec_lo, exec_lo, s0
	v_bfe_u32 v0, v5, 16, 1
	v_bfe_u32 v35, v6, 16, 1
	v_or_b32_e32 v36, 0x400000, v5
	v_cmp_u_f32_e32 vcc_lo, v5, v5
	v_or_b32_e32 v37, 0x400000, v6
	v_add3_u32 v0, v0, v5, 0x7fff
	v_bfe_u32 v51, v7, 16, 1
	v_add3_u32 v35, v35, v6, 0x7fff
	v_bfe_u32 v52, v8, 16, 1
	v_lshlrev_b32_e32 v20, 16, v20
	v_cndmask_b32_e32 v0, v0, v36, vcc_lo
	v_cmp_u_f32_e32 vcc_lo, v6, v6
	v_add3_u32 v6, v51, v7, 0x7fff
	v_bfe_u32 v36, v1, 16, 1
	v_or_b32_e32 v51, 0x400000, v8
	v_lshlrev_b32_e32 v57, 16, v87
	v_cndmask_b32_e32 v5, v35, v37, vcc_lo
	v_or_b32_e32 v35, 0x400000, v7
	v_cmp_u_f32_e32 vcc_lo, v7, v7
	v_add3_u32 v37, v52, v8, 0x7fff
	v_add3_u32 v7, v36, v1, 0x7fff
	v_bfe_u32 v36, v2, 16, 1
	v_lshlrev_b32_e32 v58, 16, v85
	v_cndmask_b32_e32 v6, v6, v35, vcc_lo
	v_cmp_u_f32_e32 vcc_lo, v8, v8
	v_or_b32_e32 v35, 0x400000, v1
	v_add3_u32 v36, v36, v2, 0x7fff
	v_lshlrev_b32_e32 v49, 16, v49
	v_and_b32_e32 v6, 0xffff0000, v6
	v_cndmask_b32_e32 v8, v37, v51, vcc_lo
	v_cmp_u_f32_e32 vcc_lo, v1, v1
	v_and_b32_e32 v1, 0xffff0000, v5
	v_lshlrev_b32_e32 v5, 16, v97
	v_or_b32_e32 v37, 0x400000, v2
	v_or_b32_e32 v51, 0x400000, v3
	v_cndmask_b32_e32 v7, v7, v35, vcc_lo
	v_bfe_u32 v35, v3, 16, 1
	v_cmp_u_f32_e32 vcc_lo, v2, v2
	v_mul_f32_e32 v52, v1, v5
	v_and_b32_e32 v5, 0xffff0000, v0
	v_lshlrev_b32_e32 v0, 16, v95
	v_add3_u32 v35, v35, v3, 0x7fff
	v_cndmask_b32_e32 v2, v36, v37, vcc_lo
	v_bfe_u32 v36, v4, 16, 1
	v_cmp_u_f32_e32 vcc_lo, v3, v3
	v_bfe_u32 v3, v52, 16, 1
	v_or_b32_e32 v37, 0x400000, v4
	v_or_b32_e32 v53, 0x400000, v52
	v_add3_u32 v36, v36, v4, 0x7fff
	v_cndmask_b32_e32 v35, v35, v51, vcc_lo
	v_cmp_u_f32_e32 vcc_lo, v4, v4
	v_add3_u32 v51, v3, v52, 0x7fff
	v_mul_f32_e32 v0, v5, v0
	v_and_b32_e32 v3, 0xffff0000, v8
	v_lshlrev_b32_e32 v8, 16, v93
	v_cndmask_b32_e32 v4, v36, v37, vcc_lo
	v_cmp_u_f32_e32 vcc_lo, v52, v52
	v_bfe_u32 v37, v0, 16, 1
	v_and_b32_e32 v2, 0xffff0000, v2
	v_or_b32_e32 v52, 0x400000, v0
	v_and_b32_e32 v4, 0xffff0000, v4
	v_cndmask_b32_e32 v36, v51, v53, vcc_lo
	v_mul_f32_e32 v51, v3, v8
	v_lshlrev_b32_e32 v8, 16, v94
	v_add3_u32 v37, v37, v0, 0x7fff
	v_cmp_u_f32_e32 vcc_lo, v0, v0
	v_mul_f32_e32 v20, v2, v20
	v_bfe_u32 v53, v51, 16, 1
	v_mul_f32_e32 v54, v6, v8
	v_and_b32_e32 v8, 0xffff0000, v7
	v_cndmask_b32_e32 v0, v37, v52, vcc_lo
	v_or_b32_e32 v52, 0x400000, v51
	v_add3_u32 v37, v53, v51, 0x7fff
	v_bfe_u32 v53, v54, 16, 1
	v_lshlrev_b32_e32 v7, 16, v19
	v_cmp_u_f32_e32 vcc_lo, v51, v51
	v_bfe_u32 v55, v20, 16, 1
	v_or_b32_e32 v51, 0x400000, v54
	v_and_b32_e32 v0, 0xffff0000, v0
	v_and_b32_e32 v36, 0xffff0000, v36
	v_cndmask_b32_e32 v19, v37, v52, vcc_lo
	v_add3_u32 v37, v53, v54, 0x7fff
	v_mul_f32_e32 v52, v8, v7
	v_cmp_u_f32_e32 vcc_lo, v54, v54
	v_add3_u32 v7, v55, v20, 0x7fff
	v_lshlrev_b32_e32 v53, 16, v92
	v_or_b32_e32 v55, 0x400000, v20
	v_bfe_u32 v56, v52, 16, 1
	v_cndmask_b32_e32 v37, v37, v51, vcc_lo
	v_cmp_u_f32_e32 vcc_lo, v20, v20
	v_mul_f32_e32 v51, v4, v53
	v_or_b32_e32 v54, 0x400000, v52
	v_add3_u32 v53, v56, v52, 0x7fff
	v_and_b32_e32 v37, 0xffff0000, v37
	v_cndmask_b32_e32 v20, v7, v55, vcc_lo
	v_cmp_u_f32_e32 vcc_lo, v52, v52
	v_bfe_u32 v55, v51, 16, 1
	v_and_b32_e32 v7, 0xffff0000, v35
	v_lshlrev_b32_e32 v35, 16, v91
	v_and_b32_e32 v19, 0xffff0000, v19
	v_cndmask_b32_e32 v52, v53, v54, vcc_lo
	v_add3_u32 v53, v55, v51, 0x7fff
	v_or_b32_e32 v54, 0x400000, v51
	v_mul_f32_e32 v35, v7, v35
	v_cmp_u_f32_e32 vcc_lo, v51, v51
	v_add_f32_e32 v0, v0, v36
	v_add_f32_e32 v19, v37, v19
	v_and_b32_e32 v36, 0xffff0000, v52
	v_lshlrev_b32_e32 v37, 16, v90
	v_and_b32_e32 v20, 0xffff0000, v20
	v_cndmask_b32_e32 v51, v53, v54, vcc_lo
	v_bfe_u32 v53, v35, 16, 1
	v_add_f32_e32 v0, v19, v0
	v_mul_f32_e32 v19, v1, v37
	v_add_f32_e32 v20, v36, v20
	v_lshlrev_b32_e32 v36, 16, v89
	v_add3_u32 v52, v53, v35, 0x7fff
	v_or_b32_e32 v53, 0x400000, v35
	v_cmp_u_f32_e32 vcc_lo, v35, v35
	v_bfe_u32 v37, v19, 16, 1
	v_add_f32_e32 v0, v20, v0
	v_mul_f32_e32 v20, v5, v36
	v_lshlrev_b32_e32 v36, 16, v86
	v_cndmask_b32_e32 v35, v52, v53, vcc_lo
	v_add3_u32 v37, v37, v19, 0x7fff
	v_or_b32_e32 v52, 0x400000, v19
	v_bfe_u32 v53, v20, 16, 1
	v_mul_f32_e32 v36, v3, v36
	v_lshlrev_b32_e32 v54, 16, v88
	v_cmp_u_f32_e32 vcc_lo, v19, v19
	v_lshlrev_b32_e32 v55, 16, v84
	v_lshlrev_b32_e32 v56, 16, v83
	v_and_b32_e32 v35, 0xffff0000, v35
	v_mul_f32_e32 v54, v6, v54
	v_cndmask_b32_e32 v19, v37, v52, vcc_lo
	v_add3_u32 v37, v53, v20, 0x7fff
	v_or_b32_e32 v52, 0x400000, v20
	v_bfe_u32 v53, v36, 16, 1
	v_cmp_u_f32_e32 vcc_lo, v20, v20
	v_mul_f32_e32 v55, v2, v55
	v_mul_f32_e32 v56, v8, v56
	v_and_b32_e32 v19, 0xffff0000, v19
	v_and_b32_e32 v51, 0xffff0000, v51
	v_cndmask_b32_e32 v20, v37, v52, vcc_lo
	v_add3_u32 v37, v53, v36, 0x7fff
	v_or_b32_e32 v52, 0x400000, v36
	v_bfe_u32 v53, v54, 16, 1
	v_cmp_u_f32_e32 vcc_lo, v36, v36
	v_or_b32_e32 v83, 0x400000, v56
	v_and_b32_e32 v20, 0xffff0000, v20
	v_add_f32_e32 v35, v35, v51
	v_lshlrev_b32_e32 v51, 16, v81
	v_cndmask_b32_e32 v36, v37, v52, vcc_lo
	v_add3_u32 v37, v53, v54, 0x7fff
	v_or_b32_e32 v52, 0x400000, v54
	v_bfe_u32 v53, v55, 16, 1
	v_cmp_u_f32_e32 vcc_lo, v54, v54
	v_mul_f32_e32 v54, v4, v57
	v_mul_f32_e32 v57, v7, v58
	v_or_b32_e32 v58, 0x400000, v55
	v_add3_u32 v53, v53, v55, 0x7fff
	v_cndmask_b32_e32 v37, v37, v52, vcc_lo
	v_bfe_u32 v52, v56, 16, 1
	v_cmp_u_f32_e32 vcc_lo, v55, v55
	v_bfe_u32 v85, v57, 16, 1
	v_bfe_u32 v84, v54, 16, 1
	v_and_b32_e32 v37, 0xffff0000, v37
	v_add3_u32 v52, v52, v56, 0x7fff
	v_cndmask_b32_e32 v53, v53, v58, vcc_lo
	v_cmp_u_f32_e32 vcc_lo, v56, v56
	v_add3_u32 v56, v85, v57, 0x7fff
	v_or_b32_e32 v58, 0x400000, v57
	v_add3_u32 v55, v84, v54, 0x7fff
	v_and_b32_e32 v36, 0xffff0000, v36
	v_cndmask_b32_e32 v52, v52, v83, vcc_lo
	v_cmp_u_f32_e32 vcc_lo, v57, v57
	v_or_b32_e32 v83, 0x400000, v54
	v_add_f32_e32 v19, v20, v19
	v_add_f32_e32 v20, v37, v36
	v_and_b32_e32 v36, 0xffff0000, v52
	v_cndmask_b32_e32 v56, v56, v58, vcc_lo
	v_cmp_u_f32_e32 vcc_lo, v54, v54
	v_and_b32_e32 v37, 0xffff0000, v53
	v_add_f32_e32 v19, v20, v19
	v_add_f32_e32 v0, v35, v0
	v_mul_f32_e32 v35, v5, v51
	v_cndmask_b32_e32 v52, v55, v83, vcc_lo
	v_add_f32_e32 v20, v36, v37
	v_and_b32_e32 v36, 0xffff0000, v56
	v_add_f32_e32 v24, v24, v0
	v_bfe_u32 v0, v35, 16, 1
	v_and_b32_e32 v37, 0xffff0000, v52
	v_lshlrev_b32_e32 v52, 16, v82
	v_add_f32_e32 v19, v20, v19
	v_or_b32_e32 v51, 0x400000, v35
	v_add3_u32 v0, v0, v35, 0x7fff
	v_add_f32_e32 v20, v36, v37
	v_mul_f32_e32 v36, v1, v52
	v_lshlrev_b32_e32 v37, 16, v78
	v_lshlrev_b32_e32 v52, 16, v80
	;; [unrolled: 1-line block ×3, first 2 shown]
	v_add_f32_e32 v19, v20, v19
	v_bfe_u32 v20, v36, 16, 1
	v_mul_f32_e32 v37, v3, v37
	v_cmp_u_f32_e32 vcc_lo, v36, v36
	v_lshlrev_b32_e32 v48, 16, v48
	v_add_f32_e32 v27, v27, v19
	v_add3_u32 v19, v20, v36, 0x7fff
	v_or_b32_e32 v20, 0x400000, v36
	v_lshlrev_b32_e32 v36, 16, v75
	v_lshlrev_b32_e32 v44, 16, v44
	v_mul_f32_e32 v48, v6, v48
	v_lshlrev_b32_e32 v43, 16, v43
	v_cndmask_b32_e32 v19, v19, v20, vcc_lo
	v_bfe_u32 v20, v37, 16, 1
	v_cmp_u_f32_e32 vcc_lo, v35, v35
	v_mul_f32_e32 v35, v6, v52
	v_lshlrev_b32_e32 v52, 16, v76
	v_mul_f32_e32 v36, v2, v36
	v_add3_u32 v20, v20, v37, 0x7fff
	v_cndmask_b32_e32 v0, v0, v51, vcc_lo
	v_or_b32_e32 v51, 0x400000, v37
	v_bfe_u32 v53, v35, 16, 1
	v_cmp_u_f32_e32 vcc_lo, v37, v37
	v_mul_f32_e32 v37, v8, v52
	v_or_b32_e32 v52, 0x400000, v35
	v_and_b32_e32 v0, 0xffff0000, v0
	v_and_b32_e32 v19, 0xffff0000, v19
	v_cndmask_b32_e32 v20, v20, v51, vcc_lo
	v_add3_u32 v51, v53, v35, 0x7fff
	v_bfe_u32 v53, v36, 16, 1
	v_bfe_u32 v55, v37, 16, 1
	v_cmp_u_f32_e32 vcc_lo, v35, v35
	v_or_b32_e32 v56, 0x400000, v37
	v_and_b32_e32 v20, 0xffff0000, v20
	v_add_f32_e32 v0, v0, v19
	v_mul_f32_e32 v44, v2, v44
	v_cndmask_b32_e32 v35, v51, v52, vcc_lo
	v_add3_u32 v51, v53, v36, 0x7fff
	v_mul_f32_e32 v52, v4, v54
	v_or_b32_e32 v53, 0x400000, v36
	v_add3_u32 v54, v55, v37, 0x7fff
	v_lshlrev_b32_e32 v55, 16, v77
	v_cmp_u_f32_e32 vcc_lo, v36, v36
	v_bfe_u32 v57, v52, 16, 1
	v_and_b32_e32 v35, 0xffff0000, v35
	v_lshlrev_b32_e32 v47, 16, v47
	v_mul_f32_e32 v43, v8, v43
	v_cndmask_b32_e32 v36, v51, v53, vcc_lo
	v_mul_f32_e32 v51, v7, v55
	v_cmp_u_f32_e32 vcc_lo, v37, v37
	v_add3_u32 v53, v57, v52, 0x7fff
	v_add_f32_e32 v19, v35, v20
	v_and_b32_e32 v35, 0xffff0000, v36
	v_bfe_u32 v55, v51, 16, 1
	v_cndmask_b32_e32 v37, v54, v56, vcc_lo
	v_or_b32_e32 v54, 0x400000, v52
	v_cmp_u_f32_e32 vcc_lo, v52, v52
	v_lshlrev_b32_e32 v36, 16, v74
	v_add_f32_e32 v0, v19, v0
	v_and_b32_e32 v20, 0xffff0000, v37
	v_lshlrev_b32_e32 v37, 16, v73
	v_cndmask_b32_e32 v52, v53, v54, vcc_lo
	v_add3_u32 v53, v55, v51, 0x7fff
	v_or_b32_e32 v54, 0x400000, v51
	v_cmp_u_f32_e32 vcc_lo, v51, v51
	v_mul_f32_e32 v36, v1, v36
	v_add_f32_e32 v19, v20, v35
	v_mul_f32_e32 v35, v5, v37
	v_and_b32_e32 v37, 0xffff0000, v52
	v_cndmask_b32_e32 v51, v53, v54, vcc_lo
	v_lshlrev_b32_e32 v52, 16, v70
	v_add_f32_e32 v19, v19, v0
	v_bfe_u32 v0, v35, 16, 1
	v_lshlrev_b32_e32 v54, 16, v72
	v_and_b32_e32 v20, 0xffff0000, v51
	v_bfe_u32 v51, v36, 16, 1
	v_mul_f32_e32 v52, v3, v52
	v_cmp_u_f32_e32 vcc_lo, v36, v36
	v_add3_u32 v0, v0, v35, 0x7fff
	v_add_f32_e32 v20, v20, v37
	v_add3_u32 v37, v51, v36, 0x7fff
	v_or_b32_e32 v51, 0x400000, v36
	v_or_b32_e32 v53, 0x400000, v35
	v_lshlrev_b32_e32 v56, 16, v71
	v_mul_f32_e32 v47, v4, v47
	v_lshlrev_b32_e32 v45, 16, v45
	v_cndmask_b32_e32 v36, v37, v51, vcc_lo
	v_bfe_u32 v37, v52, 16, 1
	v_cmp_u_f32_e32 vcc_lo, v35, v35
	v_mul_f32_e32 v35, v6, v54
	v_lshlrev_b32_e32 v51, 16, v67
	v_lshlrev_b32_e32 v54, 16, v68
	v_add3_u32 v37, v37, v52, 0x7fff
	v_cndmask_b32_e32 v0, v0, v53, vcc_lo
	v_or_b32_e32 v53, 0x400000, v52
	v_bfe_u32 v55, v35, 16, 1
	v_mul_f32_e32 v51, v2, v51
	v_cmp_u_f32_e32 vcc_lo, v52, v52
	v_mul_f32_e32 v52, v8, v54
	v_or_b32_e32 v54, 0x400000, v35
	v_and_b32_e32 v0, 0xffff0000, v0
	v_and_b32_e32 v36, 0xffff0000, v36
	v_cndmask_b32_e32 v37, v37, v53, vcc_lo
	v_add3_u32 v53, v55, v35, 0x7fff
	v_bfe_u32 v55, v51, 16, 1
	v_bfe_u32 v57, v52, 16, 1
	v_cmp_u_f32_e32 vcc_lo, v35, v35
	v_or_b32_e32 v58, 0x400000, v52
	v_and_b32_e32 v37, 0xffff0000, v37
	v_add_f32_e32 v0, v0, v36
	v_mul_f32_e32 v45, v7, v45
	v_cndmask_b32_e32 v35, v53, v54, vcc_lo
	v_add3_u32 v53, v55, v51, 0x7fff
	v_mul_f32_e32 v54, v4, v56
	v_or_b32_e32 v55, 0x400000, v51
	v_add3_u32 v56, v57, v52, 0x7fff
	v_lshlrev_b32_e32 v57, 16, v69
	v_cmp_u_f32_e32 vcc_lo, v51, v51
	v_bfe_u32 v67, v54, 16, 1
	v_and_b32_e32 v35, 0xffff0000, v35
	v_lshlrev_b32_e32 v16, 16, v16
	v_lshlrev_b32_e32 v15, 16, v15
	v_cndmask_b32_e32 v51, v53, v55, vcc_lo
	v_mul_f32_e32 v53, v7, v57
	v_cmp_u_f32_e32 vcc_lo, v52, v52
	v_add3_u32 v55, v67, v54, 0x7fff
	v_add_f32_e32 v35, v35, v37
	v_and_b32_e32 v37, 0xffff0000, v51
	v_bfe_u32 v57, v53, 16, 1
	v_cndmask_b32_e32 v52, v56, v58, vcc_lo
	v_or_b32_e32 v56, 0x400000, v54
	v_cmp_u_f32_e32 vcc_lo, v54, v54
	v_lshlrev_b32_e32 v51, 16, v66
	v_add_f32_e32 v0, v35, v0
	v_and_b32_e32 v36, 0xffff0000, v52
	v_lshlrev_b32_e32 v9, 16, v9
	v_cndmask_b32_e32 v54, v55, v56, vcc_lo
	v_add3_u32 v55, v57, v53, 0x7fff
	v_or_b32_e32 v56, 0x400000, v53
	v_cmp_u_f32_e32 vcc_lo, v53, v53
	v_lshlrev_b32_e32 v53, 16, v65
	v_add_f32_e32 v35, v36, v37
	v_mul_f32_e32 v36, v1, v51
	v_lshlrev_b32_e32 v57, 16, v64
	v_cndmask_b32_e32 v52, v55, v56, vcc_lo
	v_mul_f32_e32 v53, v5, v53
	v_add_f32_e32 v51, v35, v0
	v_bfe_u32 v55, v36, 16, 1
	v_cmp_u_f32_e32 vcc_lo, v36, v36
	v_and_b32_e32 v37, 0xffff0000, v52
	v_and_b32_e32 v52, 0xffff0000, v54
	v_lshlrev_b32_e32 v54, 16, v62
	v_bfe_u32 v0, v53, 16, 1
	v_lshlrev_b32_e32 v17, 16, v17
	v_add_f32_e32 v52, v37, v52
	v_mul_f32_e32 v35, v3, v54
	v_add3_u32 v37, v55, v36, 0x7fff
	v_or_b32_e32 v54, 0x400000, v36
	v_add3_u32 v0, v0, v53, 0x7fff
	v_or_b32_e32 v55, 0x400000, v53
	v_bfe_u32 v56, v35, 16, 1
	v_cndmask_b32_e32 v36, v37, v54, vcc_lo
	v_cmp_u_f32_e32 vcc_lo, v53, v53
	v_mul_f32_e32 v37, v6, v57
	v_add3_u32 v53, v56, v35, 0x7fff
	v_or_b32_e32 v54, 0x400000, v35
	v_lshlrev_b32_e32 v56, 16, v60
	v_cndmask_b32_e32 v0, v0, v55, vcc_lo
	v_lshlrev_b32_e32 v55, 16, v59
	v_cmp_u_f32_e32 vcc_lo, v35, v35
	v_bfe_u32 v57, v37, 16, 1
	v_and_b32_e32 v36, 0xffff0000, v36
	v_and_b32_e32 v0, 0xffff0000, v0
	v_cndmask_b32_e32 v35, v53, v54, vcc_lo
	v_mul_f32_e32 v53, v2, v55
	v_mul_f32_e32 v54, v8, v56
	v_add3_u32 v55, v57, v37, 0x7fff
	v_or_b32_e32 v56, 0x400000, v37
	v_lshlrev_b32_e32 v57, 16, v63
	v_bfe_u32 v58, v53, 16, 1
	v_cmp_u_f32_e32 vcc_lo, v37, v37
	v_bfe_u32 v59, v54, 16, 1
	v_and_b32_e32 v35, 0xffff0000, v35
	v_add_f32_e32 v0, v0, v36
	v_mul_f32_e32 v8, v8, v15
	v_cndmask_b32_e32 v37, v55, v56, vcc_lo
	v_mul_f32_e32 v55, v4, v57
	v_add3_u32 v56, v58, v53, 0x7fff
	v_or_b32_e32 v57, 0x400000, v53
	v_cmp_u_f32_e32 vcc_lo, v53, v53
	v_add3_u32 v58, v59, v54, 0x7fff
	v_or_b32_e32 v59, 0x400000, v54
	v_bfe_u32 v60, v55, 16, 1
	v_and_b32_e32 v37, 0xffff0000, v37
	v_cndmask_b32_e32 v53, v56, v57, vcc_lo
	v_cmp_u_f32_e32 vcc_lo, v54, v54
	v_lshlrev_b32_e32 v56, 16, v61
	v_add3_u32 v57, v60, v55, 0x7fff
	v_add_f32_e32 v35, v37, v35
	v_lshlrev_b32_e32 v37, 16, v50
	v_cndmask_b32_e32 v54, v58, v59, vcc_lo
	v_or_b32_e32 v58, 0x400000, v55
	v_mul_f32_e32 v56, v7, v56
	v_cmp_u_f32_e32 vcc_lo, v55, v55
	v_and_b32_e32 v50, 0xffff0000, v53
	v_and_b32_e32 v36, 0xffff0000, v54
	v_add_f32_e32 v0, v35, v0
	v_mul_f32_e32 v35, v1, v37
	v_cndmask_b32_e32 v55, v57, v58, vcc_lo
	v_bfe_u32 v57, v56, 16, 1
	v_add_f32_e32 v36, v36, v50
	v_or_b32_e32 v54, 0x400000, v56
	v_cmp_u_f32_e32 vcc_lo, v56, v56
	v_bfe_u32 v50, v35, 16, 1
	v_add3_u32 v53, v57, v56, 0x7fff
	v_add_f32_e32 v0, v36, v0
	v_lshlrev_b32_e32 v36, 16, v46
	v_mul_f32_e32 v46, v5, v49
	v_add3_u32 v49, v50, v35, 0x7fff
	v_cndmask_b32_e32 v37, v53, v54, vcc_lo
	v_or_b32_e32 v50, 0x400000, v35
	v_mul_f32_e32 v36, v3, v36
	v_bfe_u32 v54, v46, 16, 1
	v_cmp_u_f32_e32 vcc_lo, v35, v35
	v_and_b32_e32 v53, 0xffff0000, v55
	v_mul_f32_e32 v3, v3, v16
	v_or_b32_e32 v55, 0x400000, v36
	v_mul_f32_e32 v2, v2, v9
	v_cndmask_b32_e32 v35, v49, v50, vcc_lo
	v_bfe_u32 v49, v36, 16, 1
	v_add3_u32 v50, v54, v46, 0x7fff
	v_or_b32_e32 v54, 0x400000, v46
	v_cmp_u_f32_e32 vcc_lo, v46, v46
	v_and_b32_e32 v35, 0xffff0000, v35
	v_add3_u32 v49, v49, v36, 0x7fff
	v_lshlrev_b32_e32 v9, 16, v18
	v_mul_f32_e32 v4, v4, v17
	v_cndmask_b32_e32 v46, v50, v54, vcc_lo
	v_bfe_u32 v50, v48, 16, 1
	v_cmp_u_f32_e32 vcc_lo, v36, v36
	v_or_b32_e32 v54, 0x400000, v48
	v_mul_f32_e32 v7, v7, v9
	v_and_b32_e32 v46, 0xffff0000, v46
	v_add3_u32 v50, v50, v48, 0x7fff
	v_cndmask_b32_e32 v36, v49, v55, vcc_lo
	v_bfe_u32 v49, v44, 16, 1
	v_cmp_u_f32_e32 vcc_lo, v48, v48
	v_or_b32_e32 v55, 0x400000, v44
	v_add_f32_e32 v35, v46, v35
	v_and_b32_e32 v36, 0xffff0000, v36
	v_add3_u32 v49, v49, v44, 0x7fff
	v_cndmask_b32_e32 v48, v50, v54, vcc_lo
	v_bfe_u32 v50, v43, 16, 1
	v_cmp_u_f32_e32 vcc_lo, v44, v44
	v_bfe_u32 v54, v47, 16, 1
	v_lshlrev_b32_e32 v46, 16, v98
	v_and_b32_e32 v48, 0xffff0000, v48
	v_or_b32_e32 v9, 0x400000, v8
	v_cndmask_b32_e32 v44, v49, v55, vcc_lo
	v_add3_u32 v49, v50, v43, 0x7fff
	v_or_b32_e32 v50, 0x400000, v43
	v_cmp_u_f32_e32 vcc_lo, v43, v43
	v_add3_u32 v54, v54, v47, 0x7fff
	v_or_b32_e32 v55, 0x400000, v47
	v_add_f32_e32 v36, v48, v36
	v_and_b32_e32 v44, 0xffff0000, v44
	v_cndmask_b32_e32 v43, v49, v50, vcc_lo
	v_cmp_u_f32_e32 vcc_lo, v47, v47
	v_bfe_u32 v49, v45, 16, 1
	v_or_b32_e32 v50, 0x400000, v45
	v_add_f32_e32 v35, v36, v35
	v_and_b32_e32 v43, 0xffff0000, v43
	v_cndmask_b32_e32 v47, v54, v55, vcc_lo
	v_lshlrev_b32_e32 v54, 16, v99
	v_add3_u32 v49, v49, v45, 0x7fff
	v_cmp_u_f32_e32 vcc_lo, v45, v45
	v_add_f32_e32 v43, v43, v44
	v_mul_f32_e32 v1, v1, v46
	v_mul_f32_e32 v5, v5, v54
	v_lshlrev_b32_e32 v44, 16, v96
	v_cndmask_b32_e32 v45, v49, v50, vcc_lo
	v_or_b32_e32 v17, 0x400000, v2
	v_bfe_u32 v48, v1, 16, 1
	v_bfe_u32 v36, v5, 16, 1
	v_or_b32_e32 v46, 0x400000, v5
	v_mul_f32_e32 v6, v6, v44
	v_cmp_u_f32_e32 vcc_lo, v5, v5
	v_or_b32_e32 v44, 0x400000, v1
	v_add3_u32 v36, v36, v5, 0x7fff
	v_bfe_u32 v18, v7, 16, 1
	v_and_b32_e32 v37, 0xffff0000, v37
	v_and_b32_e32 v45, 0xffff0000, v45
	v_cndmask_b32_e32 v5, v36, v46, vcc_lo
	v_add3_u32 v36, v48, v1, 0x7fff
	v_bfe_u32 v46, v6, 16, 1
	v_cmp_u_f32_e32 vcc_lo, v1, v1
	v_and_b32_e32 v5, 0xffff0000, v5
	v_add3_u32 v16, v46, v6, 0x7fff
	v_cndmask_b32_e32 v1, v36, v44, vcc_lo
	v_or_b32_e32 v36, 0x400000, v6
	v_bfe_u32 v44, v3, 16, 1
	v_cmp_u_f32_e32 vcc_lo, v6, v6
	v_and_b32_e32 v1, 0xffff0000, v1
	v_add3_u32 v15, v44, v3, 0x7fff
	v_cndmask_b32_e32 v6, v16, v36, vcc_lo
	v_or_b32_e32 v16, 0x400000, v3
	v_bfe_u32 v36, v8, 16, 1
	v_cmp_u_f32_e32 vcc_lo, v3, v3
	v_add_f32_e32 v1, v5, v1
	v_and_b32_e32 v6, 0xffff0000, v6
	v_cndmask_b32_e32 v3, v15, v16, vcc_lo
	v_bfe_u32 v15, v2, 16, 1
	v_add3_u32 v16, v36, v8, 0x7fff
	v_cmp_u_f32_e32 vcc_lo, v8, v8
	v_bfe_u32 v36, v4, 16, 1
	v_and_b32_e32 v3, 0xffff0000, v3
	v_add3_u32 v15, v15, v2, 0x7fff
	v_cndmask_b32_e32 v8, v16, v9, vcc_lo
	v_cmp_u_f32_e32 vcc_lo, v2, v2
	v_or_b32_e32 v16, 0x400000, v4
	v_add3_u32 v9, v18, v7, 0x7fff
	v_add_f32_e32 v3, v6, v3
	v_and_b32_e32 v5, 0xffff0000, v8
	v_cndmask_b32_e32 v2, v15, v17, vcc_lo
	v_add3_u32 v15, v36, v4, 0x7fff
	v_cmp_u_f32_e32 vcc_lo, v4, v4
	v_or_b32_e32 v17, 0x400000, v7
	v_add_f32_e32 v1, v3, v1
	v_and_b32_e32 v2, 0xffff0000, v2
	v_cndmask_b32_e32 v4, v15, v16, vcc_lo
	v_cmp_u_f32_e32 vcc_lo, v7, v7
	v_and_b32_e32 v7, 0xffff0000, v47
	v_add_f32_e32 v2, v5, v2
	v_add_f32_e32 v5, v37, v53
	v_and_b32_e32 v3, 0xffff0000, v4
	v_cndmask_b32_e32 v6, v9, v17, vcc_lo
	v_add_f32_e32 v7, v45, v7
	v_add_f32_e32 v1, v2, v1
	;; [unrolled: 1-line block ×3, first 2 shown]
	v_and_b32_e32 v4, 0xffff0000, v6
	v_add_f32_e32 v6, v43, v35
	v_add_f32_e32 v30, v30, v0
	;; [unrolled: 1-line block ×11, first 2 shown]
.LBB353_489:                            ;   in Loop: Header=BB353_490 Depth=1
	s_or_b32 exec_lo, exec_lo, s13
	v_add_nc_u32_e32 v25, 4, v25
	v_add_co_u32 v13, s0, v13, 16
	v_add_co_ci_u32_e64 v14, null, 0, v14, s0
	v_cmp_le_i32_e32 vcc_lo, s20, v25
	v_add_nc_u32_e32 v38, 64, v38
	v_add_nc_u32_e32 v41, 0x100, v41
	s_or_b32 s12, vcc_lo, s12
	s_andn2_b32 exec_lo, exec_lo, s12
	s_cbranch_execz .LBB353_925
.LBB353_490:                            ; =>This Inner Loop Header: Depth=1
	v_sub_nc_u32_e32 v0, 0, v38
	v_max_i32_e32 v0, v38, v0
	v_mul_hi_u32 v1, v0, s16
	v_mul_lo_u32 v2, v1, s11
	v_sub_nc_u32_e32 v0, v0, v2
	v_add_nc_u32_e32 v2, 1, v1
	v_subrev_nc_u32_e32 v3, s11, v0
	v_cmp_le_u32_e32 vcc_lo, s11, v0
	v_cndmask_b32_e32 v1, v1, v2, vcc_lo
	v_cndmask_b32_e32 v0, v0, v3, vcc_lo
	v_ashrrev_i32_e32 v2, 31, v38
	v_add_nc_u32_e32 v3, 1, v1
	v_cmp_le_u32_e32 vcc_lo, s11, v0
	v_xor_b32_e32 v2, s23, v2
	v_cndmask_b32_e32 v0, v1, v3, vcc_lo
	v_xor_b32_e32 v0, v0, v2
	v_sub_nc_u32_e32 v0, v0, v2
	v_add_nc_u32_e32 v1, s19, v0
	v_cmp_lt_i32_e64 s0, s3, v0
	v_sub_nc_u32_e32 v2, 0, v1
	v_max_i32_e32 v2, v1, v2
	v_ashrrev_i32_e32 v1, 31, v1
	v_mul_hi_u32 v3, v2, v42
	v_mul_lo_u32 v3, v3, s6
	v_sub_nc_u32_e32 v2, v2, v3
	v_subrev_nc_u32_e32 v3, s6, v2
	v_cmp_le_u32_e32 vcc_lo, s6, v2
	v_cndmask_b32_e32 v2, v2, v3, vcc_lo
	v_subrev_nc_u32_e32 v3, s6, v2
	v_cmp_le_u32_e32 vcc_lo, s6, v2
	v_cndmask_b32_e32 v2, v2, v3, vcc_lo
	v_xor_b32_e32 v2, v2, v1
	v_sub_nc_u32_e32 v1, v2, v1
	v_cmp_eq_u32_e32 vcc_lo, 0, v1
	s_or_b32 s0, vcc_lo, s0
	s_and_saveexec_b32 s13, s0
	s_cbranch_execz .LBB353_489
; %bb.491:                              ;   in Loop: Header=BB353_490 Depth=1
	global_load_dword v0, v[13:14], off
	v_mov_b32_e32 v43, 0
	v_mov_b32_e32 v45, 0
	s_waitcnt vmcnt(0)
	v_mad_i64_i32 v[15:16], null, v0, s9, v[11:12]
	global_load_dwordx2 v[17:18], v[15:16], off
	ds_read2_b64 v[5:8], v41 offset1:1
	ds_read2_b64 v[1:4], v41 offset0:2 offset1:3
	s_load_dword s17, s[14:15], 0x0
	s_waitcnt vmcnt(0)
	v_cmp_ne_u16_sdwa s18, v17, v10 src0_sel:BYTE_0 src1_sel:DWORD
	s_and_saveexec_b32 s0, s18
	s_cbranch_execz .LBB353_497
; %bb.492:                              ;   in Loop: Header=BB353_490 Depth=1
	v_cmp_ne_u16_sdwa s21, v17, v26 src0_sel:BYTE_0 src1_sel:DWORD
	v_bfrev_b32_e32 v45, 1
	s_and_saveexec_b32 s18, s21
	s_cbranch_execz .LBB353_496
; %bb.493:                              ;   in Loop: Header=BB353_490 Depth=1
	v_and_b32_e32 v9, 0x7f, v17
	v_mov_b32_e32 v45, 0x7f800001
	s_mov_b32 s21, exec_lo
	v_cmpx_ne_u32_e32 0x7f, v9
	s_cbranch_execz .LBB353_495
; %bb.494:                              ;   in Loop: Header=BB353_490 Depth=1
	v_and_b32_e32 v0, 7, v17
	v_cmp_gt_u32_e32 vcc_lo, 8, v9
	v_lshrrev_b32_e32 v19, 3, v9
	v_ffbh_u32_e32 v0, v0
	v_min_u32_e32 v0, 32, v0
	v_subrev_nc_u32_e32 v20, 28, v0
	v_sub_nc_u32_e32 v0, 29, v0
	v_cndmask_b32_e32 v9, 0, v20, vcc_lo
	v_cndmask_b32_e32 v0, v19, v0, vcc_lo
	v_lshlrev_b64 v[19:20], v9, v[17:18]
	v_lshlrev_b32_e32 v9, 24, v17
	v_lshl_add_u32 v0, v0, 23, 0x3c000000
	v_and_b32_e32 v9, 0x80000000, v9
	v_lshlrev_b32_e32 v19, 20, v19
	v_and_b32_e32 v19, 0x700000, v19
	v_or3_b32 v45, v19, v9, v0
.LBB353_495:                            ;   in Loop: Header=BB353_490 Depth=1
	s_or_b32 exec_lo, exec_lo, s21
.LBB353_496:                            ;   in Loop: Header=BB353_490 Depth=1
	s_or_b32 exec_lo, exec_lo, s18
.LBB353_497:                            ;   in Loop: Header=BB353_490 Depth=1
	s_or_b32 exec_lo, exec_lo, s0
	v_cmp_ne_u16_sdwa s18, v17, v10 src0_sel:BYTE_1 src1_sel:DWORD
	s_and_saveexec_b32 s0, s18
	s_cbranch_execz .LBB353_505
; %bb.498:                              ;   in Loop: Header=BB353_490 Depth=1
	v_cmp_ne_u16_sdwa s21, v17, v26 src0_sel:BYTE_1 src1_sel:DWORD
	v_bfrev_b32_e32 v43, 1
	s_and_saveexec_b32 s18, s21
	s_cbranch_execz .LBB353_504
; %bb.499:                              ;   in Loop: Header=BB353_490 Depth=1
	v_and_b32_sdwa v9, v33, v17 dst_sel:DWORD dst_unused:UNUSED_PAD src0_sel:DWORD src1_sel:BYTE_1
	v_mov_b32_e32 v43, 0x7f800001
	s_mov_b32 s21, exec_lo
	v_and_b32_e32 v20, 0x7f, v9
	v_cmpx_ne_u32_e32 0x7f, v20
	s_cbranch_execz .LBB353_503
; %bb.500:                              ;   in Loop: Header=BB353_490 Depth=1
	v_and_b32_e32 v9, 7, v9
	v_lshrrev_b32_e32 v19, 3, v20
	s_mov_b32 s22, exec_lo
	v_cmpx_gt_u32_e32 8, v20
; %bb.501:                              ;   in Loop: Header=BB353_490 Depth=1
	v_ffbh_u32_e32 v0, v9
	v_min_u32_e32 v0, 32, v0
	v_subrev_nc_u32_e32 v19, 28, v0
	v_lshlrev_b64 v[43:44], v19, v[9:10]
	v_sub_nc_u32_e32 v19, 29, v0
	v_and_b32_e32 v9, 7, v43
; %bb.502:                              ;   in Loop: Header=BB353_490 Depth=1
	s_or_b32 exec_lo, exec_lo, s22
	v_lshlrev_b32_e32 v0, 16, v17
	v_lshlrev_b32_e32 v9, 20, v9
	v_lshl_add_u32 v19, v19, 23, 0x3c000000
	v_and_b32_e32 v0, 0x80000000, v0
	v_or3_b32 v43, v9, v0, v19
.LBB353_503:                            ;   in Loop: Header=BB353_490 Depth=1
	s_or_b32 exec_lo, exec_lo, s21
.LBB353_504:                            ;   in Loop: Header=BB353_490 Depth=1
	s_or_b32 exec_lo, exec_lo, s18
.LBB353_505:                            ;   in Loop: Header=BB353_490 Depth=1
	s_or_b32 exec_lo, exec_lo, s0
	v_and_b32_sdwa v9, v17, v34 dst_sel:DWORD dst_unused:UNUSED_PAD src0_sel:WORD_1 src1_sel:DWORD
	v_mov_b32_e32 v46, 0
	v_mov_b32_e32 v44, 0
	s_mov_b32 s0, exec_lo
	v_cmpx_ne_u16_e32 0, v9
	s_cbranch_execz .LBB353_513
; %bb.506:                              ;   in Loop: Header=BB353_490 Depth=1
	v_bfrev_b32_e32 v44, 1
	s_mov_b32 s18, exec_lo
	v_cmpx_ne_u16_e32 0x80, v9
	s_cbranch_execz .LBB353_512
; %bb.507:                              ;   in Loop: Header=BB353_490 Depth=1
	v_bfe_u32 v20, v17, 16, 7
	v_mov_b32_e32 v44, 0x7f800001
	s_mov_b32 s21, exec_lo
	v_cmpx_ne_u32_e32 0x7f, v20
	s_cbranch_execz .LBB353_511
; %bb.508:                              ;   in Loop: Header=BB353_490 Depth=1
	v_and_b32_sdwa v9, v17, v39 dst_sel:DWORD dst_unused:UNUSED_PAD src0_sel:WORD_1 src1_sel:DWORD
	v_lshrrev_b32_e32 v19, 3, v20
	s_mov_b32 s22, exec_lo
	v_cmpx_gt_u32_e32 8, v20
; %bb.509:                              ;   in Loop: Header=BB353_490 Depth=1
	v_ffbh_u32_e32 v0, v9
	v_min_u32_e32 v0, 32, v0
	v_subrev_nc_u32_e32 v19, 28, v0
	v_lshlrev_b64 v[47:48], v19, v[9:10]
	v_sub_nc_u32_e32 v19, 29, v0
	v_and_b32_e32 v9, 7, v47
; %bb.510:                              ;   in Loop: Header=BB353_490 Depth=1
	s_or_b32 exec_lo, exec_lo, s22
	v_lshlrev_b32_sdwa v0, v40, v17 dst_sel:DWORD dst_unused:UNUSED_PAD src0_sel:DWORD src1_sel:WORD_1
	v_lshlrev_b32_e32 v9, 20, v9
	v_lshl_add_u32 v19, v19, 23, 0x3c000000
	v_and_b32_e32 v0, 0x80000000, v0
	v_or3_b32 v44, v9, v0, v19
.LBB353_511:                            ;   in Loop: Header=BB353_490 Depth=1
	s_or_b32 exec_lo, exec_lo, s21
.LBB353_512:                            ;   in Loop: Header=BB353_490 Depth=1
	s_or_b32 exec_lo, exec_lo, s18
.LBB353_513:                            ;   in Loop: Header=BB353_490 Depth=1
	s_or_b32 exec_lo, exec_lo, s0
	s_mov_b32 s0, exec_lo
	v_cmpx_lt_u32_e32 0xffffff, v17
	s_cbranch_execz .LBB353_521
; %bb.514:                              ;   in Loop: Header=BB353_490 Depth=1
	v_cmp_ne_u32_sdwa s21, v17, v26 src0_sel:BYTE_3 src1_sel:DWORD
	v_bfrev_b32_e32 v46, 1
	s_and_saveexec_b32 s18, s21
	s_cbranch_execz .LBB353_520
; %bb.515:                              ;   in Loop: Header=BB353_490 Depth=1
	v_bfe_u32 v20, v17, 24, 7
	v_mov_b32_e32 v46, 0x7f800001
	s_mov_b32 s21, exec_lo
	v_cmpx_ne_u32_e32 0x7f, v20
	s_cbranch_execz .LBB353_519
; %bb.516:                              ;   in Loop: Header=BB353_490 Depth=1
	v_and_b32_sdwa v9, v17, v39 dst_sel:DWORD dst_unused:UNUSED_PAD src0_sel:BYTE_3 src1_sel:DWORD
	v_lshrrev_b32_e32 v19, 3, v20
	s_mov_b32 s22, exec_lo
	v_cmpx_gt_u32_e32 8, v20
; %bb.517:                              ;   in Loop: Header=BB353_490 Depth=1
	v_ffbh_u32_e32 v0, v9
	v_min_u32_e32 v0, 32, v0
	v_subrev_nc_u32_e32 v19, 28, v0
	v_lshlrev_b64 v[46:47], v19, v[9:10]
	v_sub_nc_u32_e32 v19, 29, v0
	v_and_b32_e32 v9, 7, v46
; %bb.518:                              ;   in Loop: Header=BB353_490 Depth=1
	s_or_b32 exec_lo, exec_lo, s22
	v_lshlrev_b32_sdwa v0, v40, v17 dst_sel:DWORD dst_unused:UNUSED_PAD src0_sel:DWORD src1_sel:BYTE_3
	v_lshlrev_b32_e32 v9, 20, v9
	v_lshl_add_u32 v19, v19, 23, 0x3c000000
	v_and_b32_e32 v0, 0x80000000, v0
	v_or3_b32 v46, v9, v0, v19
.LBB353_519:                            ;   in Loop: Header=BB353_490 Depth=1
	s_or_b32 exec_lo, exec_lo, s21
.LBB353_520:                            ;   in Loop: Header=BB353_490 Depth=1
	s_or_b32 exec_lo, exec_lo, s18
.LBB353_521:                            ;   in Loop: Header=BB353_490 Depth=1
	s_or_b32 exec_lo, exec_lo, s0
	v_mov_b32_e32 v9, v18
	v_cmp_ne_u16_sdwa s18, v18, v10 src0_sel:BYTE_0 src1_sel:DWORD
	v_mov_b32_e32 v19, 0
	v_mov_b32_e32 v47, 0
	s_and_saveexec_b32 s0, s18
	s_cbranch_execz .LBB353_527
; %bb.522:                              ;   in Loop: Header=BB353_490 Depth=1
	v_cmp_ne_u16_sdwa s21, v18, v26 src0_sel:BYTE_0 src1_sel:DWORD
	v_bfrev_b32_e32 v47, 1
	s_and_saveexec_b32 s18, s21
	s_cbranch_execz .LBB353_526
; %bb.523:                              ;   in Loop: Header=BB353_490 Depth=1
	v_and_b32_e32 v20, 0x7f, v18
	v_mov_b32_e32 v47, 0x7f800001
	s_mov_b32 s21, exec_lo
	v_cmpx_ne_u32_e32 0x7f, v20
	s_cbranch_execz .LBB353_525
; %bb.524:                              ;   in Loop: Header=BB353_490 Depth=1
	v_and_b32_e32 v0, 7, v18
	v_cmp_gt_u32_e32 vcc_lo, 8, v20
	v_lshrrev_b32_e32 v35, 3, v20
	v_ffbh_u32_e32 v0, v0
	v_min_u32_e32 v0, 32, v0
	v_subrev_nc_u32_e32 v36, 28, v0
	v_sub_nc_u32_e32 v0, 29, v0
	v_cndmask_b32_e32 v20, 0, v36, vcc_lo
	v_cndmask_b32_e32 v0, v35, v0, vcc_lo
	v_lshlrev_b64 v[47:48], v20, v[9:10]
	v_lshlrev_b32_e32 v20, 24, v9
	v_lshl_add_u32 v0, v0, 23, 0x3c000000
	v_and_b32_e32 v20, 0x80000000, v20
	v_lshlrev_b32_e32 v35, 20, v47
	v_and_b32_e32 v35, 0x700000, v35
	v_or3_b32 v47, v35, v20, v0
.LBB353_525:                            ;   in Loop: Header=BB353_490 Depth=1
	s_or_b32 exec_lo, exec_lo, s21
.LBB353_526:                            ;   in Loop: Header=BB353_490 Depth=1
	s_or_b32 exec_lo, exec_lo, s18
.LBB353_527:                            ;   in Loop: Header=BB353_490 Depth=1
	s_or_b32 exec_lo, exec_lo, s0
	v_cmp_ne_u16_sdwa s18, v9, v10 src0_sel:BYTE_1 src1_sel:DWORD
	s_and_saveexec_b32 s0, s18
	s_cbranch_execz .LBB353_535
; %bb.528:                              ;   in Loop: Header=BB353_490 Depth=1
	v_cmp_ne_u16_sdwa s21, v9, v26 src0_sel:BYTE_1 src1_sel:DWORD
	v_bfrev_b32_e32 v19, 1
	s_and_saveexec_b32 s18, s21
	s_cbranch_execz .LBB353_534
; %bb.529:                              ;   in Loop: Header=BB353_490 Depth=1
	v_and_b32_sdwa v20, v33, v9 dst_sel:DWORD dst_unused:UNUSED_PAD src0_sel:DWORD src1_sel:BYTE_1
	v_mov_b32_e32 v19, 0x7f800001
	s_mov_b32 s21, exec_lo
	v_and_b32_e32 v49, 0x7f, v20
	v_cmpx_ne_u32_e32 0x7f, v49
	s_cbranch_execz .LBB353_533
; %bb.530:                              ;   in Loop: Header=BB353_490 Depth=1
	v_and_b32_e32 v19, 7, v20
	v_mov_b32_e32 v20, v10
	v_lshrrev_b32_e32 v48, 3, v49
	s_mov_b32 s22, exec_lo
	v_cmpx_gt_u32_e32 8, v49
; %bb.531:                              ;   in Loop: Header=BB353_490 Depth=1
	v_ffbh_u32_e32 v0, v19
	v_min_u32_e32 v0, 32, v0
	v_subrev_nc_u32_e32 v35, 28, v0
	v_sub_nc_u32_e32 v48, 29, v0
	v_lshlrev_b64 v[19:20], v35, v[19:20]
	v_and_b32_e32 v19, 7, v19
; %bb.532:                              ;   in Loop: Header=BB353_490 Depth=1
	s_or_b32 exec_lo, exec_lo, s22
	v_lshlrev_b32_e32 v0, 16, v9
	v_lshlrev_b32_e32 v9, 20, v19
	v_lshl_add_u32 v19, v48, 23, 0x3c000000
	v_and_b32_e32 v0, 0x80000000, v0
	v_or3_b32 v19, v9, v0, v19
.LBB353_533:                            ;   in Loop: Header=BB353_490 Depth=1
	s_or_b32 exec_lo, exec_lo, s21
.LBB353_534:                            ;   in Loop: Header=BB353_490 Depth=1
	s_or_b32 exec_lo, exec_lo, s18
.LBB353_535:                            ;   in Loop: Header=BB353_490 Depth=1
	s_or_b32 exec_lo, exec_lo, s0
	v_and_b32_sdwa v9, v18, v34 dst_sel:DWORD dst_unused:UNUSED_PAD src0_sel:WORD_1 src1_sel:DWORD
	v_mov_b32_e32 v20, 0
	v_mov_b32_e32 v48, 0
	s_mov_b32 s0, exec_lo
	v_cmpx_ne_u16_e32 0, v9
	s_cbranch_execz .LBB353_543
; %bb.536:                              ;   in Loop: Header=BB353_490 Depth=1
	v_bfrev_b32_e32 v48, 1
	s_mov_b32 s18, exec_lo
	v_cmpx_ne_u16_e32 0x80, v9
	s_cbranch_execz .LBB353_542
; %bb.537:                              ;   in Loop: Header=BB353_490 Depth=1
	v_bfe_u32 v49, v18, 16, 7
	v_mov_b32_e32 v48, 0x7f800001
	s_mov_b32 s21, exec_lo
	v_cmpx_ne_u32_e32 0x7f, v49
	s_cbranch_execz .LBB353_541
; %bb.538:                              ;   in Loop: Header=BB353_490 Depth=1
	v_and_b32_sdwa v9, v18, v39 dst_sel:DWORD dst_unused:UNUSED_PAD src0_sel:WORD_1 src1_sel:DWORD
	v_lshrrev_b32_e32 v48, 3, v49
	s_mov_b32 s22, exec_lo
	v_cmpx_gt_u32_e32 8, v49
; %bb.539:                              ;   in Loop: Header=BB353_490 Depth=1
	v_ffbh_u32_e32 v0, v9
	v_min_u32_e32 v0, 32, v0
	v_subrev_nc_u32_e32 v35, 28, v0
	v_sub_nc_u32_e32 v48, 29, v0
	v_lshlrev_b64 v[49:50], v35, v[9:10]
	v_and_b32_e32 v9, 7, v49
; %bb.540:                              ;   in Loop: Header=BB353_490 Depth=1
	s_or_b32 exec_lo, exec_lo, s22
	v_lshlrev_b32_sdwa v0, v40, v18 dst_sel:DWORD dst_unused:UNUSED_PAD src0_sel:DWORD src1_sel:WORD_1
	v_lshlrev_b32_e32 v9, 20, v9
	v_lshl_add_u32 v35, v48, 23, 0x3c000000
	v_and_b32_e32 v0, 0x80000000, v0
	v_or3_b32 v48, v9, v0, v35
.LBB353_541:                            ;   in Loop: Header=BB353_490 Depth=1
	s_or_b32 exec_lo, exec_lo, s21
.LBB353_542:                            ;   in Loop: Header=BB353_490 Depth=1
	s_or_b32 exec_lo, exec_lo, s18
.LBB353_543:                            ;   in Loop: Header=BB353_490 Depth=1
	s_or_b32 exec_lo, exec_lo, s0
	s_mov_b32 s0, exec_lo
	v_cmpx_lt_u64_e64 s[4:5], v[17:18]
	s_cbranch_execz .LBB353_551
; %bb.544:                              ;   in Loop: Header=BB353_490 Depth=1
	v_cmp_ne_u32_sdwa s21, v18, v26 src0_sel:BYTE_3 src1_sel:DWORD
	v_bfrev_b32_e32 v20, 1
	s_and_saveexec_b32 s18, s21
	s_cbranch_execz .LBB353_550
; %bb.545:                              ;   in Loop: Header=BB353_490 Depth=1
	v_bfe_u32 v49, v18, 24, 7
	v_mov_b32_e32 v20, 0x7f800001
	s_mov_b32 s21, exec_lo
	v_cmpx_ne_u32_e32 0x7f, v49
	s_cbranch_execz .LBB353_549
; %bb.546:                              ;   in Loop: Header=BB353_490 Depth=1
	v_and_b32_sdwa v9, v18, v39 dst_sel:DWORD dst_unused:UNUSED_PAD src0_sel:BYTE_3 src1_sel:DWORD
	v_lshrrev_b32_e32 v17, 3, v49
	s_mov_b32 s22, exec_lo
	v_cmpx_gt_u32_e32 8, v49
; %bb.547:                              ;   in Loop: Header=BB353_490 Depth=1
	v_ffbh_u32_e32 v0, v9
	v_min_u32_e32 v0, 32, v0
	v_subrev_nc_u32_e32 v17, 28, v0
	v_lshlrev_b64 v[49:50], v17, v[9:10]
	v_sub_nc_u32_e32 v17, 29, v0
	v_and_b32_e32 v9, 7, v49
; %bb.548:                              ;   in Loop: Header=BB353_490 Depth=1
	s_or_b32 exec_lo, exec_lo, s22
	v_lshlrev_b32_sdwa v0, v40, v18 dst_sel:DWORD dst_unused:UNUSED_PAD src0_sel:DWORD src1_sel:BYTE_3
	v_lshlrev_b32_e32 v9, 20, v9
	v_lshl_add_u32 v17, v17, 23, 0x3c000000
	v_and_b32_e32 v0, 0x80000000, v0
	v_or3_b32 v20, v9, v0, v17
.LBB353_549:                            ;   in Loop: Header=BB353_490 Depth=1
	s_or_b32 exec_lo, exec_lo, s21
.LBB353_550:                            ;   in Loop: Header=BB353_490 Depth=1
	s_or_b32 exec_lo, exec_lo, s18
.LBB353_551:                            ;   in Loop: Header=BB353_490 Depth=1
	s_or_b32 exec_lo, exec_lo, s0
	s_waitcnt lgkmcnt(0)
	v_mul_f32_e32 v0, s17, v19
	v_mul_f32_e32 v9, s17, v47
	;; [unrolled: 1-line block ×5, first 2 shown]
	v_bfe_u32 v18, v0, 16, 1
	v_or_b32_e32 v35, 0x400000, v0
	v_bfe_u32 v36, v9, 16, 1
	v_cmp_u_f32_e64 s0, v0, v0
	v_or_b32_e32 v37, 0x400000, v9
	v_add3_u32 v18, v18, v0, 0x7fff
	v_bfe_u32 v44, v17, 16, 1
	v_add3_u32 v36, v36, v9, 0x7fff
	v_or_b32_e32 v46, 0x400000, v17
	v_or_b32_e32 v47, 0x400000, v20
	v_cndmask_b32_e64 v0, v18, v35, s0
	v_cmp_u_f32_e64 s0, v9, v9
	v_bfe_u32 v18, v19, 16, 1
	v_add3_u32 v35, v44, v17, 0x7fff
	v_add_nc_u32_e32 v51, v31, v38
	v_lshrrev_b32_e32 v44, 16, v0
	v_cndmask_b32_e64 v9, v36, v37, s0
	v_cmp_u_f32_e64 s0, v17, v17
	v_mul_f32_e32 v17, s17, v43
	v_add3_u32 v18, v18, v19, 0x7fff
	v_cmp_eq_u32_e32 vcc_lo, s33, v25
	v_lshrrev_b32_e32 v43, 16, v9
	v_cndmask_b32_e64 v0, v35, v46, s0
	v_or_b32_e32 v35, 0x400000, v19
	v_cmp_u_f32_e64 s0, v19, v19
	v_mul_f32_e32 v19, s17, v48
	v_add_nc_u32_e32 v58, 1, v51
	v_lshrrev_b32_e32 v46, 16, v0
	v_bfe_u32 v0, v17, 16, 1
	v_cndmask_b32_e64 v9, v18, v35, s0
	v_mul_f32_e32 v18, s17, v45
	v_or_b32_e32 v35, 0x400000, v17
	v_cmp_u_f32_e64 s0, v17, v17
	v_add3_u32 v0, v0, v17, 0x7fff
	v_bfe_u32 v37, v19, 16, 1
	v_bfe_u32 v36, v18, 16, 1
	;; [unrolled: 1-line block ×3, first 2 shown]
	v_or_b32_e32 v45, 0x400000, v19
	v_cndmask_b32_e64 v0, v0, v35, s0
	v_cmp_u_f32_e64 s0, v18, v18
	v_add3_u32 v35, v36, v18, 0x7fff
	v_or_b32_e32 v36, 0x400000, v18
	v_add3_u32 v37, v37, v19, 0x7fff
	v_add3_u32 v17, v17, v20, 0x7fff
	v_lshrrev_b32_e32 v48, 16, v9
	v_lshrrev_b32_e32 v50, 16, v0
	v_cndmask_b32_e64 v18, v35, v36, s0
	v_cmp_u_f32_e64 s0, v19, v19
	v_add_nc_u32_e32 v57, 2, v51
	v_add_nc_u32_e32 v56, 3, v51
	v_add_nc_u32_e32 v55, 4, v51
	v_lshrrev_b32_e32 v49, 16, v18
	v_cndmask_b32_e64 v19, v37, v45, s0
	v_cmp_u_f32_e64 s0, v20, v20
	v_add_nc_u32_e32 v54, 5, v51
	v_add_nc_u32_e32 v53, 6, v51
	v_add_nc_u32_e32 v52, 7, v51
	v_lshrrev_b32_e32 v45, 16, v19
	v_cndmask_b32_e64 v17, v17, v47, s0
	v_lshrrev_b32_e32 v47, 16, v17
	s_and_saveexec_b32 s18, vcc_lo
	s_cbranch_execz .LBB353_553
; %bb.552:                              ;   in Loop: Header=BB353_490 Depth=1
	v_cmp_gt_i32_e64 s0, s31, v51
	v_cndmask_b32_e64 v49, 0, v49, s0
	v_cmp_gt_i32_e64 s0, s31, v58
	v_cndmask_b32_e64 v50, 0, v50, s0
	;; [unrolled: 2-line block ×8, first 2 shown]
.LBB353_553:                            ;   in Loop: Header=BB353_490 Depth=1
	s_or_b32 exec_lo, exec_lo, s18
	global_load_dwordx2 v[17:18], v[15:16], off offset:256
	v_mov_b32_e32 v60, 0
	v_mov_b32_e32 v61, 0
	s_waitcnt vmcnt(0)
	v_cmp_ne_u16_sdwa s0, v17, v10 src0_sel:BYTE_0 src1_sel:DWORD
	s_and_saveexec_b32 s18, s0
	s_cbranch_execz .LBB353_559
; %bb.554:                              ;   in Loop: Header=BB353_490 Depth=1
	v_cmp_ne_u16_sdwa s0, v17, v26 src0_sel:BYTE_0 src1_sel:DWORD
	v_bfrev_b32_e32 v61, 1
	s_and_saveexec_b32 s21, s0
	s_cbranch_execz .LBB353_558
; %bb.555:                              ;   in Loop: Header=BB353_490 Depth=1
	v_and_b32_e32 v9, 0x7f, v17
	v_mov_b32_e32 v61, 0x7f800001
	s_mov_b32 s22, exec_lo
	v_cmpx_ne_u32_e32 0x7f, v9
	s_cbranch_execz .LBB353_557
; %bb.556:                              ;   in Loop: Header=BB353_490 Depth=1
	v_and_b32_e32 v0, 7, v17
	v_cmp_gt_u32_e64 s0, 8, v9
	v_lshrrev_b32_e32 v19, 3, v9
	v_ffbh_u32_e32 v0, v0
	v_min_u32_e32 v0, 32, v0
	v_subrev_nc_u32_e32 v20, 28, v0
	v_sub_nc_u32_e32 v0, 29, v0
	v_cndmask_b32_e64 v9, 0, v20, s0
	v_cndmask_b32_e64 v0, v19, v0, s0
	v_lshlrev_b64 v[19:20], v9, v[17:18]
	v_lshlrev_b32_e32 v9, 24, v17
	v_lshl_add_u32 v0, v0, 23, 0x3c000000
	v_and_b32_e32 v9, 0x80000000, v9
	v_lshlrev_b32_e32 v19, 20, v19
	v_and_b32_e32 v19, 0x700000, v19
	v_or3_b32 v61, v19, v9, v0
.LBB353_557:                            ;   in Loop: Header=BB353_490 Depth=1
	s_or_b32 exec_lo, exec_lo, s22
.LBB353_558:                            ;   in Loop: Header=BB353_490 Depth=1
	s_or_b32 exec_lo, exec_lo, s21
.LBB353_559:                            ;   in Loop: Header=BB353_490 Depth=1
	s_or_b32 exec_lo, exec_lo, s18
	v_cmp_ne_u16_sdwa s0, v17, v10 src0_sel:BYTE_1 src1_sel:DWORD
	s_and_saveexec_b32 s18, s0
	s_cbranch_execz .LBB353_567
; %bb.560:                              ;   in Loop: Header=BB353_490 Depth=1
	v_cmp_ne_u16_sdwa s0, v17, v26 src0_sel:BYTE_1 src1_sel:DWORD
	v_bfrev_b32_e32 v60, 1
	s_and_saveexec_b32 s21, s0
	s_cbranch_execz .LBB353_566
; %bb.561:                              ;   in Loop: Header=BB353_490 Depth=1
	v_and_b32_sdwa v9, v33, v17 dst_sel:DWORD dst_unused:UNUSED_PAD src0_sel:DWORD src1_sel:BYTE_1
	v_mov_b32_e32 v60, 0x7f800001
	s_mov_b32 s22, exec_lo
	v_and_b32_e32 v20, 0x7f, v9
	v_cmpx_ne_u32_e32 0x7f, v20
	s_cbranch_execz .LBB353_565
; %bb.562:                              ;   in Loop: Header=BB353_490 Depth=1
	v_and_b32_e32 v9, 7, v9
	v_lshrrev_b32_e32 v19, 3, v20
	s_mov_b32 s24, exec_lo
	v_cmpx_gt_u32_e32 8, v20
; %bb.563:                              ;   in Loop: Header=BB353_490 Depth=1
	v_ffbh_u32_e32 v0, v9
	v_min_u32_e32 v0, 32, v0
	v_subrev_nc_u32_e32 v19, 28, v0
	v_lshlrev_b64 v[59:60], v19, v[9:10]
	v_sub_nc_u32_e32 v19, 29, v0
	v_and_b32_e32 v9, 7, v59
; %bb.564:                              ;   in Loop: Header=BB353_490 Depth=1
	s_or_b32 exec_lo, exec_lo, s24
	v_lshlrev_b32_e32 v0, 16, v17
	v_lshlrev_b32_e32 v9, 20, v9
	v_lshl_add_u32 v19, v19, 23, 0x3c000000
	v_and_b32_e32 v0, 0x80000000, v0
	v_or3_b32 v60, v9, v0, v19
.LBB353_565:                            ;   in Loop: Header=BB353_490 Depth=1
	s_or_b32 exec_lo, exec_lo, s22
.LBB353_566:                            ;   in Loop: Header=BB353_490 Depth=1
	s_or_b32 exec_lo, exec_lo, s21
.LBB353_567:                            ;   in Loop: Header=BB353_490 Depth=1
	s_or_b32 exec_lo, exec_lo, s18
	v_and_b32_sdwa v9, v17, v34 dst_sel:DWORD dst_unused:UNUSED_PAD src0_sel:WORD_1 src1_sel:DWORD
	v_mov_b32_e32 v62, 0
	v_mov_b32_e32 v59, 0
	s_mov_b32 s18, exec_lo
	v_cmpx_ne_u16_e32 0, v9
	s_cbranch_execz .LBB353_575
; %bb.568:                              ;   in Loop: Header=BB353_490 Depth=1
	v_bfrev_b32_e32 v59, 1
	s_mov_b32 s21, exec_lo
	v_cmpx_ne_u16_e32 0x80, v9
	s_cbranch_execz .LBB353_574
; %bb.569:                              ;   in Loop: Header=BB353_490 Depth=1
	v_bfe_u32 v20, v17, 16, 7
	v_mov_b32_e32 v59, 0x7f800001
	s_mov_b32 s22, exec_lo
	v_cmpx_ne_u32_e32 0x7f, v20
	s_cbranch_execz .LBB353_573
; %bb.570:                              ;   in Loop: Header=BB353_490 Depth=1
	v_and_b32_sdwa v9, v17, v39 dst_sel:DWORD dst_unused:UNUSED_PAD src0_sel:WORD_1 src1_sel:DWORD
	v_lshrrev_b32_e32 v19, 3, v20
	s_mov_b32 s24, exec_lo
	v_cmpx_gt_u32_e32 8, v20
; %bb.571:                              ;   in Loop: Header=BB353_490 Depth=1
	v_ffbh_u32_e32 v0, v9
	v_min_u32_e32 v0, 32, v0
	v_subrev_nc_u32_e32 v19, 28, v0
	v_lshlrev_b64 v[63:64], v19, v[9:10]
	v_sub_nc_u32_e32 v19, 29, v0
	v_and_b32_e32 v9, 7, v63
; %bb.572:                              ;   in Loop: Header=BB353_490 Depth=1
	s_or_b32 exec_lo, exec_lo, s24
	v_lshlrev_b32_sdwa v0, v40, v17 dst_sel:DWORD dst_unused:UNUSED_PAD src0_sel:DWORD src1_sel:WORD_1
	v_lshlrev_b32_e32 v9, 20, v9
	v_lshl_add_u32 v19, v19, 23, 0x3c000000
	v_and_b32_e32 v0, 0x80000000, v0
	v_or3_b32 v59, v9, v0, v19
.LBB353_573:                            ;   in Loop: Header=BB353_490 Depth=1
	s_or_b32 exec_lo, exec_lo, s22
.LBB353_574:                            ;   in Loop: Header=BB353_490 Depth=1
	s_or_b32 exec_lo, exec_lo, s21
.LBB353_575:                            ;   in Loop: Header=BB353_490 Depth=1
	s_or_b32 exec_lo, exec_lo, s18
	s_mov_b32 s18, exec_lo
	v_cmpx_lt_u32_e32 0xffffff, v17
	s_cbranch_execz .LBB353_583
; %bb.576:                              ;   in Loop: Header=BB353_490 Depth=1
	v_cmp_ne_u32_sdwa s0, v17, v26 src0_sel:BYTE_3 src1_sel:DWORD
	v_bfrev_b32_e32 v62, 1
	s_and_saveexec_b32 s21, s0
	s_cbranch_execz .LBB353_582
; %bb.577:                              ;   in Loop: Header=BB353_490 Depth=1
	v_bfe_u32 v20, v17, 24, 7
	v_mov_b32_e32 v62, 0x7f800001
	s_mov_b32 s22, exec_lo
	v_cmpx_ne_u32_e32 0x7f, v20
	s_cbranch_execz .LBB353_581
; %bb.578:                              ;   in Loop: Header=BB353_490 Depth=1
	v_and_b32_sdwa v9, v17, v39 dst_sel:DWORD dst_unused:UNUSED_PAD src0_sel:BYTE_3 src1_sel:DWORD
	v_lshrrev_b32_e32 v19, 3, v20
	s_mov_b32 s24, exec_lo
	v_cmpx_gt_u32_e32 8, v20
; %bb.579:                              ;   in Loop: Header=BB353_490 Depth=1
	v_ffbh_u32_e32 v0, v9
	v_min_u32_e32 v0, 32, v0
	v_subrev_nc_u32_e32 v19, 28, v0
	v_lshlrev_b64 v[62:63], v19, v[9:10]
	v_sub_nc_u32_e32 v19, 29, v0
	v_and_b32_e32 v9, 7, v62
; %bb.580:                              ;   in Loop: Header=BB353_490 Depth=1
	s_or_b32 exec_lo, exec_lo, s24
	v_lshlrev_b32_sdwa v0, v40, v17 dst_sel:DWORD dst_unused:UNUSED_PAD src0_sel:DWORD src1_sel:BYTE_3
	v_lshlrev_b32_e32 v9, 20, v9
	v_lshl_add_u32 v19, v19, 23, 0x3c000000
	v_and_b32_e32 v0, 0x80000000, v0
	v_or3_b32 v62, v9, v0, v19
.LBB353_581:                            ;   in Loop: Header=BB353_490 Depth=1
	s_or_b32 exec_lo, exec_lo, s22
.LBB353_582:                            ;   in Loop: Header=BB353_490 Depth=1
	s_or_b32 exec_lo, exec_lo, s21
.LBB353_583:                            ;   in Loop: Header=BB353_490 Depth=1
	s_or_b32 exec_lo, exec_lo, s18
	v_mov_b32_e32 v9, v18
	v_cmp_ne_u16_sdwa s0, v18, v10 src0_sel:BYTE_0 src1_sel:DWORD
	v_mov_b32_e32 v19, 0
	v_mov_b32_e32 v63, 0
	s_and_saveexec_b32 s18, s0
	s_cbranch_execz .LBB353_589
; %bb.584:                              ;   in Loop: Header=BB353_490 Depth=1
	v_cmp_ne_u16_sdwa s0, v18, v26 src0_sel:BYTE_0 src1_sel:DWORD
	v_bfrev_b32_e32 v63, 1
	s_and_saveexec_b32 s21, s0
	s_cbranch_execz .LBB353_588
; %bb.585:                              ;   in Loop: Header=BB353_490 Depth=1
	v_and_b32_e32 v20, 0x7f, v18
	v_mov_b32_e32 v63, 0x7f800001
	s_mov_b32 s22, exec_lo
	v_cmpx_ne_u32_e32 0x7f, v20
	s_cbranch_execz .LBB353_587
; %bb.586:                              ;   in Loop: Header=BB353_490 Depth=1
	v_and_b32_e32 v0, 7, v18
	v_cmp_gt_u32_e64 s0, 8, v20
	v_lshrrev_b32_e32 v35, 3, v20
	v_ffbh_u32_e32 v0, v0
	v_min_u32_e32 v0, 32, v0
	v_subrev_nc_u32_e32 v36, 28, v0
	v_sub_nc_u32_e32 v0, 29, v0
	v_cndmask_b32_e64 v20, 0, v36, s0
	v_cndmask_b32_e64 v0, v35, v0, s0
	v_lshlrev_b64 v[63:64], v20, v[9:10]
	v_lshlrev_b32_e32 v20, 24, v9
	v_lshl_add_u32 v0, v0, 23, 0x3c000000
	v_and_b32_e32 v20, 0x80000000, v20
	v_lshlrev_b32_e32 v35, 20, v63
	v_and_b32_e32 v35, 0x700000, v35
	v_or3_b32 v63, v35, v20, v0
.LBB353_587:                            ;   in Loop: Header=BB353_490 Depth=1
	s_or_b32 exec_lo, exec_lo, s22
.LBB353_588:                            ;   in Loop: Header=BB353_490 Depth=1
	s_or_b32 exec_lo, exec_lo, s21
.LBB353_589:                            ;   in Loop: Header=BB353_490 Depth=1
	s_or_b32 exec_lo, exec_lo, s18
	v_cmp_ne_u16_sdwa s0, v9, v10 src0_sel:BYTE_1 src1_sel:DWORD
	s_and_saveexec_b32 s18, s0
	s_cbranch_execz .LBB353_597
; %bb.590:                              ;   in Loop: Header=BB353_490 Depth=1
	v_cmp_ne_u16_sdwa s0, v9, v26 src0_sel:BYTE_1 src1_sel:DWORD
	v_bfrev_b32_e32 v19, 1
	s_and_saveexec_b32 s21, s0
	s_cbranch_execz .LBB353_596
; %bb.591:                              ;   in Loop: Header=BB353_490 Depth=1
	v_and_b32_sdwa v20, v33, v9 dst_sel:DWORD dst_unused:UNUSED_PAD src0_sel:DWORD src1_sel:BYTE_1
	v_mov_b32_e32 v19, 0x7f800001
	s_mov_b32 s22, exec_lo
	v_and_b32_e32 v65, 0x7f, v20
	v_cmpx_ne_u32_e32 0x7f, v65
	s_cbranch_execz .LBB353_595
; %bb.592:                              ;   in Loop: Header=BB353_490 Depth=1
	v_and_b32_e32 v19, 7, v20
	v_mov_b32_e32 v20, v10
	v_lshrrev_b32_e32 v64, 3, v65
	s_mov_b32 s24, exec_lo
	v_cmpx_gt_u32_e32 8, v65
; %bb.593:                              ;   in Loop: Header=BB353_490 Depth=1
	v_ffbh_u32_e32 v0, v19
	v_min_u32_e32 v0, 32, v0
	v_subrev_nc_u32_e32 v35, 28, v0
	v_sub_nc_u32_e32 v64, 29, v0
	v_lshlrev_b64 v[19:20], v35, v[19:20]
	v_and_b32_e32 v19, 7, v19
; %bb.594:                              ;   in Loop: Header=BB353_490 Depth=1
	s_or_b32 exec_lo, exec_lo, s24
	v_lshlrev_b32_e32 v0, 16, v9
	v_lshlrev_b32_e32 v9, 20, v19
	v_lshl_add_u32 v19, v64, 23, 0x3c000000
	v_and_b32_e32 v0, 0x80000000, v0
	v_or3_b32 v19, v9, v0, v19
.LBB353_595:                            ;   in Loop: Header=BB353_490 Depth=1
	s_or_b32 exec_lo, exec_lo, s22
.LBB353_596:                            ;   in Loop: Header=BB353_490 Depth=1
	s_or_b32 exec_lo, exec_lo, s21
.LBB353_597:                            ;   in Loop: Header=BB353_490 Depth=1
	s_or_b32 exec_lo, exec_lo, s18
	v_and_b32_sdwa v9, v18, v34 dst_sel:DWORD dst_unused:UNUSED_PAD src0_sel:WORD_1 src1_sel:DWORD
	v_mov_b32_e32 v20, 0
	v_mov_b32_e32 v64, 0
	s_mov_b32 s18, exec_lo
	v_cmpx_ne_u16_e32 0, v9
	s_cbranch_execz .LBB353_605
; %bb.598:                              ;   in Loop: Header=BB353_490 Depth=1
	v_bfrev_b32_e32 v64, 1
	s_mov_b32 s21, exec_lo
	v_cmpx_ne_u16_e32 0x80, v9
	s_cbranch_execz .LBB353_604
; %bb.599:                              ;   in Loop: Header=BB353_490 Depth=1
	v_bfe_u32 v65, v18, 16, 7
	v_mov_b32_e32 v64, 0x7f800001
	s_mov_b32 s22, exec_lo
	v_cmpx_ne_u32_e32 0x7f, v65
	s_cbranch_execz .LBB353_603
; %bb.600:                              ;   in Loop: Header=BB353_490 Depth=1
	v_and_b32_sdwa v9, v18, v39 dst_sel:DWORD dst_unused:UNUSED_PAD src0_sel:WORD_1 src1_sel:DWORD
	v_lshrrev_b32_e32 v64, 3, v65
	s_mov_b32 s24, exec_lo
	v_cmpx_gt_u32_e32 8, v65
; %bb.601:                              ;   in Loop: Header=BB353_490 Depth=1
	v_ffbh_u32_e32 v0, v9
	v_min_u32_e32 v0, 32, v0
	v_subrev_nc_u32_e32 v35, 28, v0
	v_sub_nc_u32_e32 v64, 29, v0
	v_lshlrev_b64 v[65:66], v35, v[9:10]
	v_and_b32_e32 v9, 7, v65
; %bb.602:                              ;   in Loop: Header=BB353_490 Depth=1
	s_or_b32 exec_lo, exec_lo, s24
	v_lshlrev_b32_sdwa v0, v40, v18 dst_sel:DWORD dst_unused:UNUSED_PAD src0_sel:DWORD src1_sel:WORD_1
	v_lshlrev_b32_e32 v9, 20, v9
	v_lshl_add_u32 v35, v64, 23, 0x3c000000
	v_and_b32_e32 v0, 0x80000000, v0
	v_or3_b32 v64, v9, v0, v35
.LBB353_603:                            ;   in Loop: Header=BB353_490 Depth=1
	s_or_b32 exec_lo, exec_lo, s22
.LBB353_604:                            ;   in Loop: Header=BB353_490 Depth=1
	s_or_b32 exec_lo, exec_lo, s21
.LBB353_605:                            ;   in Loop: Header=BB353_490 Depth=1
	s_or_b32 exec_lo, exec_lo, s18
	s_mov_b32 s18, exec_lo
	v_cmpx_lt_u64_e64 s[4:5], v[17:18]
	s_cbranch_execz .LBB353_613
; %bb.606:                              ;   in Loop: Header=BB353_490 Depth=1
	v_cmp_ne_u32_sdwa s0, v18, v26 src0_sel:BYTE_3 src1_sel:DWORD
	v_bfrev_b32_e32 v20, 1
	s_and_saveexec_b32 s21, s0
	s_cbranch_execz .LBB353_612
; %bb.607:                              ;   in Loop: Header=BB353_490 Depth=1
	v_bfe_u32 v65, v18, 24, 7
	v_mov_b32_e32 v20, 0x7f800001
	s_mov_b32 s22, exec_lo
	v_cmpx_ne_u32_e32 0x7f, v65
	s_cbranch_execz .LBB353_611
; %bb.608:                              ;   in Loop: Header=BB353_490 Depth=1
	v_and_b32_sdwa v9, v18, v39 dst_sel:DWORD dst_unused:UNUSED_PAD src0_sel:BYTE_3 src1_sel:DWORD
	v_lshrrev_b32_e32 v17, 3, v65
	s_mov_b32 s24, exec_lo
	v_cmpx_gt_u32_e32 8, v65
; %bb.609:                              ;   in Loop: Header=BB353_490 Depth=1
	v_ffbh_u32_e32 v0, v9
	v_min_u32_e32 v0, 32, v0
	v_subrev_nc_u32_e32 v17, 28, v0
	v_lshlrev_b64 v[65:66], v17, v[9:10]
	v_sub_nc_u32_e32 v17, 29, v0
	v_and_b32_e32 v9, 7, v65
; %bb.610:                              ;   in Loop: Header=BB353_490 Depth=1
	s_or_b32 exec_lo, exec_lo, s24
	v_lshlrev_b32_sdwa v0, v40, v18 dst_sel:DWORD dst_unused:UNUSED_PAD src0_sel:DWORD src1_sel:BYTE_3
	v_lshlrev_b32_e32 v9, 20, v9
	v_lshl_add_u32 v17, v17, 23, 0x3c000000
	v_and_b32_e32 v0, 0x80000000, v0
	v_or3_b32 v20, v9, v0, v17
.LBB353_611:                            ;   in Loop: Header=BB353_490 Depth=1
	s_or_b32 exec_lo, exec_lo, s22
.LBB353_612:                            ;   in Loop: Header=BB353_490 Depth=1
	s_or_b32 exec_lo, exec_lo, s21
.LBB353_613:                            ;   in Loop: Header=BB353_490 Depth=1
	s_or_b32 exec_lo, exec_lo, s18
	v_mul_f32_e32 v0, s17, v19
	v_mul_f32_e32 v9, s17, v63
	v_mul_f32_e32 v17, s17, v62
	v_mul_f32_e32 v18, s17, v59
	v_mul_f32_e32 v20, s17, v20
	v_bfe_u32 v19, v0, 16, 1
	v_or_b32_e32 v35, 0x400000, v0
	v_bfe_u32 v36, v9, 16, 1
	v_cmp_u_f32_e64 s0, v0, v0
	v_or_b32_e32 v37, 0x400000, v9
	v_add3_u32 v19, v19, v0, 0x7fff
	v_bfe_u32 v59, v17, 16, 1
	v_add3_u32 v36, v36, v9, 0x7fff
	v_or_b32_e32 v62, 0x400000, v17
	v_bfe_u32 v63, v18, 16, 1
	v_cndmask_b32_e64 v0, v19, v35, s0
	v_cmp_u_f32_e64 s0, v9, v9
	v_add3_u32 v59, v59, v17, 0x7fff
	v_or_b32_e32 v35, 0x400000, v18
	v_add3_u32 v19, v63, v18, 0x7fff
	v_or_b32_e32 v63, 0x400000, v20
	v_cndmask_b32_e64 v9, v36, v37, s0
	v_cmp_u_f32_e64 s0, v17, v17
	v_cndmask_b32_e64 v17, v59, v62, s0
	v_lshrrev_b32_e32 v59, 16, v0
	v_mul_f32_e32 v0, s17, v60
	v_lshrrev_b32_e32 v60, 16, v9
	v_cmp_u_f32_e64 s0, v18, v18
	v_mul_f32_e32 v18, s17, v61
	v_lshrrev_b32_e32 v62, 16, v17
	v_bfe_u32 v9, v0, 16, 1
	v_cndmask_b32_e64 v17, v19, v35, s0
	v_mul_f32_e32 v19, s17, v64
	v_or_b32_e32 v35, 0x400000, v0
	v_add3_u32 v9, v9, v0, 0x7fff
	v_bfe_u32 v36, v18, 16, 1
	v_cmp_u_f32_e64 s0, v0, v0
	v_bfe_u32 v37, v19, 16, 1
	v_or_b32_e32 v61, 0x400000, v19
	v_lshrrev_b32_e32 v64, 16, v17
	v_cndmask_b32_e64 v0, v9, v35, s0
	v_add3_u32 v35, v36, v18, 0x7fff
	v_or_b32_e32 v36, 0x400000, v18
	v_cmp_u_f32_e64 s0, v18, v18
	v_bfe_u32 v9, v20, 16, 1
	v_add3_u32 v37, v37, v19, 0x7fff
	v_lshrrev_b32_e32 v66, 16, v0
	v_cndmask_b32_e64 v18, v35, v36, s0
	v_cmp_u_f32_e64 s0, v19, v19
	v_add3_u32 v9, v9, v20, 0x7fff
	v_lshrrev_b32_e32 v65, 16, v18
	v_cndmask_b32_e64 v19, v37, v61, s0
	v_cmp_u_f32_e64 s0, v20, v20
	v_lshrrev_b32_e32 v61, 16, v19
	v_cndmask_b32_e64 v9, v9, v63, s0
	v_lshrrev_b32_e32 v63, 16, v9
	s_and_saveexec_b32 s18, vcc_lo
	s_cbranch_execz .LBB353_615
; %bb.614:                              ;   in Loop: Header=BB353_490 Depth=1
	v_cmp_gt_i32_e64 s0, s31, v51
	v_cndmask_b32_e64 v65, 0, v65, s0
	v_cmp_gt_i32_e64 s0, s31, v58
	v_cndmask_b32_e64 v66, 0, v66, s0
	;; [unrolled: 2-line block ×8, first 2 shown]
.LBB353_615:                            ;   in Loop: Header=BB353_490 Depth=1
	s_or_b32 exec_lo, exec_lo, s18
	global_load_dwordx2 v[17:18], v[15:16], off offset:512
	v_mov_b32_e32 v68, 0
	v_mov_b32_e32 v69, 0
	s_waitcnt vmcnt(0)
	v_cmp_ne_u16_sdwa s0, v17, v10 src0_sel:BYTE_0 src1_sel:DWORD
	s_and_saveexec_b32 s18, s0
	s_cbranch_execz .LBB353_621
; %bb.616:                              ;   in Loop: Header=BB353_490 Depth=1
	v_cmp_ne_u16_sdwa s0, v17, v26 src0_sel:BYTE_0 src1_sel:DWORD
	v_bfrev_b32_e32 v69, 1
	s_and_saveexec_b32 s21, s0
	s_cbranch_execz .LBB353_620
; %bb.617:                              ;   in Loop: Header=BB353_490 Depth=1
	v_and_b32_e32 v9, 0x7f, v17
	v_mov_b32_e32 v69, 0x7f800001
	s_mov_b32 s22, exec_lo
	v_cmpx_ne_u32_e32 0x7f, v9
	s_cbranch_execz .LBB353_619
; %bb.618:                              ;   in Loop: Header=BB353_490 Depth=1
	v_and_b32_e32 v0, 7, v17
	v_cmp_gt_u32_e64 s0, 8, v9
	v_lshrrev_b32_e32 v19, 3, v9
	v_ffbh_u32_e32 v0, v0
	v_min_u32_e32 v0, 32, v0
	v_subrev_nc_u32_e32 v20, 28, v0
	v_sub_nc_u32_e32 v0, 29, v0
	v_cndmask_b32_e64 v9, 0, v20, s0
	v_cndmask_b32_e64 v0, v19, v0, s0
	v_lshlrev_b64 v[19:20], v9, v[17:18]
	v_lshlrev_b32_e32 v9, 24, v17
	v_lshl_add_u32 v0, v0, 23, 0x3c000000
	v_and_b32_e32 v9, 0x80000000, v9
	v_lshlrev_b32_e32 v19, 20, v19
	v_and_b32_e32 v19, 0x700000, v19
	v_or3_b32 v69, v19, v9, v0
.LBB353_619:                            ;   in Loop: Header=BB353_490 Depth=1
	s_or_b32 exec_lo, exec_lo, s22
.LBB353_620:                            ;   in Loop: Header=BB353_490 Depth=1
	s_or_b32 exec_lo, exec_lo, s21
.LBB353_621:                            ;   in Loop: Header=BB353_490 Depth=1
	s_or_b32 exec_lo, exec_lo, s18
	v_cmp_ne_u16_sdwa s0, v17, v10 src0_sel:BYTE_1 src1_sel:DWORD
	s_and_saveexec_b32 s18, s0
	s_cbranch_execz .LBB353_629
; %bb.622:                              ;   in Loop: Header=BB353_490 Depth=1
	v_cmp_ne_u16_sdwa s0, v17, v26 src0_sel:BYTE_1 src1_sel:DWORD
	v_bfrev_b32_e32 v68, 1
	s_and_saveexec_b32 s21, s0
	s_cbranch_execz .LBB353_628
; %bb.623:                              ;   in Loop: Header=BB353_490 Depth=1
	v_and_b32_sdwa v9, v33, v17 dst_sel:DWORD dst_unused:UNUSED_PAD src0_sel:DWORD src1_sel:BYTE_1
	v_mov_b32_e32 v68, 0x7f800001
	s_mov_b32 s22, exec_lo
	v_and_b32_e32 v20, 0x7f, v9
	v_cmpx_ne_u32_e32 0x7f, v20
	s_cbranch_execz .LBB353_627
; %bb.624:                              ;   in Loop: Header=BB353_490 Depth=1
	v_and_b32_e32 v9, 7, v9
	v_lshrrev_b32_e32 v19, 3, v20
	s_mov_b32 s24, exec_lo
	v_cmpx_gt_u32_e32 8, v20
; %bb.625:                              ;   in Loop: Header=BB353_490 Depth=1
	v_ffbh_u32_e32 v0, v9
	v_min_u32_e32 v0, 32, v0
	v_subrev_nc_u32_e32 v19, 28, v0
	v_lshlrev_b64 v[67:68], v19, v[9:10]
	v_sub_nc_u32_e32 v19, 29, v0
	v_and_b32_e32 v9, 7, v67
; %bb.626:                              ;   in Loop: Header=BB353_490 Depth=1
	s_or_b32 exec_lo, exec_lo, s24
	v_lshlrev_b32_e32 v0, 16, v17
	v_lshlrev_b32_e32 v9, 20, v9
	v_lshl_add_u32 v19, v19, 23, 0x3c000000
	v_and_b32_e32 v0, 0x80000000, v0
	v_or3_b32 v68, v9, v0, v19
.LBB353_627:                            ;   in Loop: Header=BB353_490 Depth=1
	s_or_b32 exec_lo, exec_lo, s22
.LBB353_628:                            ;   in Loop: Header=BB353_490 Depth=1
	s_or_b32 exec_lo, exec_lo, s21
.LBB353_629:                            ;   in Loop: Header=BB353_490 Depth=1
	s_or_b32 exec_lo, exec_lo, s18
	v_and_b32_sdwa v9, v17, v34 dst_sel:DWORD dst_unused:UNUSED_PAD src0_sel:WORD_1 src1_sel:DWORD
	v_mov_b32_e32 v70, 0
	v_mov_b32_e32 v67, 0
	s_mov_b32 s18, exec_lo
	v_cmpx_ne_u16_e32 0, v9
	s_cbranch_execz .LBB353_637
; %bb.630:                              ;   in Loop: Header=BB353_490 Depth=1
	v_bfrev_b32_e32 v67, 1
	s_mov_b32 s21, exec_lo
	v_cmpx_ne_u16_e32 0x80, v9
	s_cbranch_execz .LBB353_636
; %bb.631:                              ;   in Loop: Header=BB353_490 Depth=1
	v_bfe_u32 v20, v17, 16, 7
	v_mov_b32_e32 v67, 0x7f800001
	s_mov_b32 s22, exec_lo
	v_cmpx_ne_u32_e32 0x7f, v20
	s_cbranch_execz .LBB353_635
; %bb.632:                              ;   in Loop: Header=BB353_490 Depth=1
	v_and_b32_sdwa v9, v17, v39 dst_sel:DWORD dst_unused:UNUSED_PAD src0_sel:WORD_1 src1_sel:DWORD
	v_lshrrev_b32_e32 v19, 3, v20
	s_mov_b32 s24, exec_lo
	v_cmpx_gt_u32_e32 8, v20
; %bb.633:                              ;   in Loop: Header=BB353_490 Depth=1
	v_ffbh_u32_e32 v0, v9
	v_min_u32_e32 v0, 32, v0
	v_subrev_nc_u32_e32 v19, 28, v0
	v_lshlrev_b64 v[71:72], v19, v[9:10]
	v_sub_nc_u32_e32 v19, 29, v0
	v_and_b32_e32 v9, 7, v71
; %bb.634:                              ;   in Loop: Header=BB353_490 Depth=1
	s_or_b32 exec_lo, exec_lo, s24
	v_lshlrev_b32_sdwa v0, v40, v17 dst_sel:DWORD dst_unused:UNUSED_PAD src0_sel:DWORD src1_sel:WORD_1
	v_lshlrev_b32_e32 v9, 20, v9
	v_lshl_add_u32 v19, v19, 23, 0x3c000000
	v_and_b32_e32 v0, 0x80000000, v0
	v_or3_b32 v67, v9, v0, v19
.LBB353_635:                            ;   in Loop: Header=BB353_490 Depth=1
	s_or_b32 exec_lo, exec_lo, s22
.LBB353_636:                            ;   in Loop: Header=BB353_490 Depth=1
	s_or_b32 exec_lo, exec_lo, s21
.LBB353_637:                            ;   in Loop: Header=BB353_490 Depth=1
	s_or_b32 exec_lo, exec_lo, s18
	s_mov_b32 s18, exec_lo
	v_cmpx_lt_u32_e32 0xffffff, v17
	s_cbranch_execz .LBB353_645
; %bb.638:                              ;   in Loop: Header=BB353_490 Depth=1
	v_cmp_ne_u32_sdwa s0, v17, v26 src0_sel:BYTE_3 src1_sel:DWORD
	v_bfrev_b32_e32 v70, 1
	s_and_saveexec_b32 s21, s0
	s_cbranch_execz .LBB353_644
; %bb.639:                              ;   in Loop: Header=BB353_490 Depth=1
	v_bfe_u32 v20, v17, 24, 7
	v_mov_b32_e32 v70, 0x7f800001
	s_mov_b32 s22, exec_lo
	v_cmpx_ne_u32_e32 0x7f, v20
	s_cbranch_execz .LBB353_643
; %bb.640:                              ;   in Loop: Header=BB353_490 Depth=1
	v_and_b32_sdwa v9, v17, v39 dst_sel:DWORD dst_unused:UNUSED_PAD src0_sel:BYTE_3 src1_sel:DWORD
	v_lshrrev_b32_e32 v19, 3, v20
	s_mov_b32 s24, exec_lo
	v_cmpx_gt_u32_e32 8, v20
; %bb.641:                              ;   in Loop: Header=BB353_490 Depth=1
	v_ffbh_u32_e32 v0, v9
	v_min_u32_e32 v0, 32, v0
	v_subrev_nc_u32_e32 v19, 28, v0
	v_lshlrev_b64 v[70:71], v19, v[9:10]
	v_sub_nc_u32_e32 v19, 29, v0
	v_and_b32_e32 v9, 7, v70
; %bb.642:                              ;   in Loop: Header=BB353_490 Depth=1
	s_or_b32 exec_lo, exec_lo, s24
	v_lshlrev_b32_sdwa v0, v40, v17 dst_sel:DWORD dst_unused:UNUSED_PAD src0_sel:DWORD src1_sel:BYTE_3
	v_lshlrev_b32_e32 v9, 20, v9
	v_lshl_add_u32 v19, v19, 23, 0x3c000000
	v_and_b32_e32 v0, 0x80000000, v0
	v_or3_b32 v70, v9, v0, v19
.LBB353_643:                            ;   in Loop: Header=BB353_490 Depth=1
	s_or_b32 exec_lo, exec_lo, s22
.LBB353_644:                            ;   in Loop: Header=BB353_490 Depth=1
	s_or_b32 exec_lo, exec_lo, s21
.LBB353_645:                            ;   in Loop: Header=BB353_490 Depth=1
	s_or_b32 exec_lo, exec_lo, s18
	v_mov_b32_e32 v9, v18
	v_cmp_ne_u16_sdwa s0, v18, v10 src0_sel:BYTE_0 src1_sel:DWORD
	v_mov_b32_e32 v19, 0
	v_mov_b32_e32 v71, 0
	s_and_saveexec_b32 s18, s0
	s_cbranch_execz .LBB353_651
; %bb.646:                              ;   in Loop: Header=BB353_490 Depth=1
	v_cmp_ne_u16_sdwa s0, v18, v26 src0_sel:BYTE_0 src1_sel:DWORD
	v_bfrev_b32_e32 v71, 1
	s_and_saveexec_b32 s21, s0
	s_cbranch_execz .LBB353_650
; %bb.647:                              ;   in Loop: Header=BB353_490 Depth=1
	v_and_b32_e32 v20, 0x7f, v18
	v_mov_b32_e32 v71, 0x7f800001
	s_mov_b32 s22, exec_lo
	v_cmpx_ne_u32_e32 0x7f, v20
	s_cbranch_execz .LBB353_649
; %bb.648:                              ;   in Loop: Header=BB353_490 Depth=1
	v_and_b32_e32 v0, 7, v18
	v_cmp_gt_u32_e64 s0, 8, v20
	v_lshrrev_b32_e32 v35, 3, v20
	v_ffbh_u32_e32 v0, v0
	v_min_u32_e32 v0, 32, v0
	v_subrev_nc_u32_e32 v36, 28, v0
	v_sub_nc_u32_e32 v0, 29, v0
	v_cndmask_b32_e64 v20, 0, v36, s0
	v_cndmask_b32_e64 v0, v35, v0, s0
	v_lshlrev_b64 v[71:72], v20, v[9:10]
	v_lshlrev_b32_e32 v20, 24, v9
	v_lshl_add_u32 v0, v0, 23, 0x3c000000
	v_and_b32_e32 v20, 0x80000000, v20
	v_lshlrev_b32_e32 v35, 20, v71
	v_and_b32_e32 v35, 0x700000, v35
	v_or3_b32 v71, v35, v20, v0
.LBB353_649:                            ;   in Loop: Header=BB353_490 Depth=1
	s_or_b32 exec_lo, exec_lo, s22
.LBB353_650:                            ;   in Loop: Header=BB353_490 Depth=1
	s_or_b32 exec_lo, exec_lo, s21
.LBB353_651:                            ;   in Loop: Header=BB353_490 Depth=1
	s_or_b32 exec_lo, exec_lo, s18
	v_cmp_ne_u16_sdwa s0, v9, v10 src0_sel:BYTE_1 src1_sel:DWORD
	s_and_saveexec_b32 s18, s0
	s_cbranch_execz .LBB353_659
; %bb.652:                              ;   in Loop: Header=BB353_490 Depth=1
	v_cmp_ne_u16_sdwa s0, v9, v26 src0_sel:BYTE_1 src1_sel:DWORD
	v_bfrev_b32_e32 v19, 1
	s_and_saveexec_b32 s21, s0
	s_cbranch_execz .LBB353_658
; %bb.653:                              ;   in Loop: Header=BB353_490 Depth=1
	v_and_b32_sdwa v20, v33, v9 dst_sel:DWORD dst_unused:UNUSED_PAD src0_sel:DWORD src1_sel:BYTE_1
	v_mov_b32_e32 v19, 0x7f800001
	s_mov_b32 s22, exec_lo
	v_and_b32_e32 v73, 0x7f, v20
	v_cmpx_ne_u32_e32 0x7f, v73
	s_cbranch_execz .LBB353_657
; %bb.654:                              ;   in Loop: Header=BB353_490 Depth=1
	v_and_b32_e32 v19, 7, v20
	v_mov_b32_e32 v20, v10
	v_lshrrev_b32_e32 v72, 3, v73
	s_mov_b32 s24, exec_lo
	v_cmpx_gt_u32_e32 8, v73
; %bb.655:                              ;   in Loop: Header=BB353_490 Depth=1
	v_ffbh_u32_e32 v0, v19
	v_min_u32_e32 v0, 32, v0
	v_subrev_nc_u32_e32 v35, 28, v0
	v_sub_nc_u32_e32 v72, 29, v0
	v_lshlrev_b64 v[19:20], v35, v[19:20]
	v_and_b32_e32 v19, 7, v19
; %bb.656:                              ;   in Loop: Header=BB353_490 Depth=1
	s_or_b32 exec_lo, exec_lo, s24
	v_lshlrev_b32_e32 v0, 16, v9
	v_lshlrev_b32_e32 v9, 20, v19
	v_lshl_add_u32 v19, v72, 23, 0x3c000000
	v_and_b32_e32 v0, 0x80000000, v0
	v_or3_b32 v19, v9, v0, v19
.LBB353_657:                            ;   in Loop: Header=BB353_490 Depth=1
	s_or_b32 exec_lo, exec_lo, s22
.LBB353_658:                            ;   in Loop: Header=BB353_490 Depth=1
	s_or_b32 exec_lo, exec_lo, s21
.LBB353_659:                            ;   in Loop: Header=BB353_490 Depth=1
	s_or_b32 exec_lo, exec_lo, s18
	v_and_b32_sdwa v9, v18, v34 dst_sel:DWORD dst_unused:UNUSED_PAD src0_sel:WORD_1 src1_sel:DWORD
	v_mov_b32_e32 v20, 0
	v_mov_b32_e32 v72, 0
	s_mov_b32 s18, exec_lo
	v_cmpx_ne_u16_e32 0, v9
	s_cbranch_execz .LBB353_667
; %bb.660:                              ;   in Loop: Header=BB353_490 Depth=1
	v_bfrev_b32_e32 v72, 1
	s_mov_b32 s21, exec_lo
	v_cmpx_ne_u16_e32 0x80, v9
	s_cbranch_execz .LBB353_666
; %bb.661:                              ;   in Loop: Header=BB353_490 Depth=1
	v_bfe_u32 v73, v18, 16, 7
	v_mov_b32_e32 v72, 0x7f800001
	s_mov_b32 s22, exec_lo
	v_cmpx_ne_u32_e32 0x7f, v73
	s_cbranch_execz .LBB353_665
; %bb.662:                              ;   in Loop: Header=BB353_490 Depth=1
	v_and_b32_sdwa v9, v18, v39 dst_sel:DWORD dst_unused:UNUSED_PAD src0_sel:WORD_1 src1_sel:DWORD
	v_lshrrev_b32_e32 v72, 3, v73
	s_mov_b32 s24, exec_lo
	v_cmpx_gt_u32_e32 8, v73
; %bb.663:                              ;   in Loop: Header=BB353_490 Depth=1
	v_ffbh_u32_e32 v0, v9
	v_min_u32_e32 v0, 32, v0
	v_subrev_nc_u32_e32 v35, 28, v0
	v_sub_nc_u32_e32 v72, 29, v0
	v_lshlrev_b64 v[73:74], v35, v[9:10]
	v_and_b32_e32 v9, 7, v73
; %bb.664:                              ;   in Loop: Header=BB353_490 Depth=1
	s_or_b32 exec_lo, exec_lo, s24
	v_lshlrev_b32_sdwa v0, v40, v18 dst_sel:DWORD dst_unused:UNUSED_PAD src0_sel:DWORD src1_sel:WORD_1
	v_lshlrev_b32_e32 v9, 20, v9
	v_lshl_add_u32 v35, v72, 23, 0x3c000000
	v_and_b32_e32 v0, 0x80000000, v0
	v_or3_b32 v72, v9, v0, v35
.LBB353_665:                            ;   in Loop: Header=BB353_490 Depth=1
	s_or_b32 exec_lo, exec_lo, s22
.LBB353_666:                            ;   in Loop: Header=BB353_490 Depth=1
	s_or_b32 exec_lo, exec_lo, s21
.LBB353_667:                            ;   in Loop: Header=BB353_490 Depth=1
	s_or_b32 exec_lo, exec_lo, s18
	s_mov_b32 s18, exec_lo
	v_cmpx_lt_u64_e64 s[4:5], v[17:18]
	s_cbranch_execz .LBB353_675
; %bb.668:                              ;   in Loop: Header=BB353_490 Depth=1
	v_cmp_ne_u32_sdwa s0, v18, v26 src0_sel:BYTE_3 src1_sel:DWORD
	v_bfrev_b32_e32 v20, 1
	s_and_saveexec_b32 s21, s0
	s_cbranch_execz .LBB353_674
; %bb.669:                              ;   in Loop: Header=BB353_490 Depth=1
	v_bfe_u32 v73, v18, 24, 7
	v_mov_b32_e32 v20, 0x7f800001
	s_mov_b32 s22, exec_lo
	v_cmpx_ne_u32_e32 0x7f, v73
	s_cbranch_execz .LBB353_673
; %bb.670:                              ;   in Loop: Header=BB353_490 Depth=1
	v_and_b32_sdwa v9, v18, v39 dst_sel:DWORD dst_unused:UNUSED_PAD src0_sel:BYTE_3 src1_sel:DWORD
	v_lshrrev_b32_e32 v17, 3, v73
	s_mov_b32 s24, exec_lo
	v_cmpx_gt_u32_e32 8, v73
; %bb.671:                              ;   in Loop: Header=BB353_490 Depth=1
	v_ffbh_u32_e32 v0, v9
	v_min_u32_e32 v0, 32, v0
	v_subrev_nc_u32_e32 v17, 28, v0
	v_lshlrev_b64 v[73:74], v17, v[9:10]
	v_sub_nc_u32_e32 v17, 29, v0
	v_and_b32_e32 v9, 7, v73
; %bb.672:                              ;   in Loop: Header=BB353_490 Depth=1
	s_or_b32 exec_lo, exec_lo, s24
	v_lshlrev_b32_sdwa v0, v40, v18 dst_sel:DWORD dst_unused:UNUSED_PAD src0_sel:DWORD src1_sel:BYTE_3
	v_lshlrev_b32_e32 v9, 20, v9
	v_lshl_add_u32 v17, v17, 23, 0x3c000000
	v_and_b32_e32 v0, 0x80000000, v0
	v_or3_b32 v20, v9, v0, v17
.LBB353_673:                            ;   in Loop: Header=BB353_490 Depth=1
	s_or_b32 exec_lo, exec_lo, s22
.LBB353_674:                            ;   in Loop: Header=BB353_490 Depth=1
	s_or_b32 exec_lo, exec_lo, s21
.LBB353_675:                            ;   in Loop: Header=BB353_490 Depth=1
	s_or_b32 exec_lo, exec_lo, s18
	v_mul_f32_e32 v0, s17, v19
	v_mul_f32_e32 v9, s17, v71
	;; [unrolled: 1-line block ×5, first 2 shown]
	v_bfe_u32 v19, v0, 16, 1
	v_or_b32_e32 v35, 0x400000, v0
	v_bfe_u32 v36, v9, 16, 1
	v_cmp_u_f32_e64 s0, v0, v0
	v_or_b32_e32 v37, 0x400000, v9
	v_add3_u32 v19, v19, v0, 0x7fff
	v_bfe_u32 v67, v17, 16, 1
	v_add3_u32 v36, v36, v9, 0x7fff
	v_or_b32_e32 v70, 0x400000, v17
	v_bfe_u32 v71, v18, 16, 1
	v_cndmask_b32_e64 v0, v19, v35, s0
	v_cmp_u_f32_e64 s0, v9, v9
	v_add3_u32 v67, v67, v17, 0x7fff
	v_or_b32_e32 v35, 0x400000, v18
	v_add3_u32 v19, v71, v18, 0x7fff
	v_or_b32_e32 v71, 0x400000, v20
	v_cndmask_b32_e64 v9, v36, v37, s0
	v_cmp_u_f32_e64 s0, v17, v17
	v_cndmask_b32_e64 v17, v67, v70, s0
	v_lshrrev_b32_e32 v67, 16, v0
	v_mul_f32_e32 v0, s17, v68
	v_lshrrev_b32_e32 v68, 16, v9
	v_cmp_u_f32_e64 s0, v18, v18
	v_mul_f32_e32 v18, s17, v69
	v_lshrrev_b32_e32 v70, 16, v17
	v_bfe_u32 v9, v0, 16, 1
	v_cndmask_b32_e64 v17, v19, v35, s0
	v_mul_f32_e32 v19, s17, v72
	v_or_b32_e32 v35, 0x400000, v0
	v_add3_u32 v9, v9, v0, 0x7fff
	v_bfe_u32 v36, v18, 16, 1
	v_cmp_u_f32_e64 s0, v0, v0
	v_bfe_u32 v37, v19, 16, 1
	v_or_b32_e32 v69, 0x400000, v19
	v_lshrrev_b32_e32 v72, 16, v17
	v_cndmask_b32_e64 v0, v9, v35, s0
	v_add3_u32 v35, v36, v18, 0x7fff
	v_or_b32_e32 v36, 0x400000, v18
	v_cmp_u_f32_e64 s0, v18, v18
	v_bfe_u32 v9, v20, 16, 1
	v_add3_u32 v37, v37, v19, 0x7fff
	v_lshrrev_b32_e32 v74, 16, v0
	v_cndmask_b32_e64 v18, v35, v36, s0
	v_cmp_u_f32_e64 s0, v19, v19
	v_add3_u32 v9, v9, v20, 0x7fff
	v_lshrrev_b32_e32 v73, 16, v18
	v_cndmask_b32_e64 v19, v37, v69, s0
	v_cmp_u_f32_e64 s0, v20, v20
	v_lshrrev_b32_e32 v69, 16, v19
	v_cndmask_b32_e64 v9, v9, v71, s0
	v_lshrrev_b32_e32 v71, 16, v9
	s_and_saveexec_b32 s18, vcc_lo
	s_cbranch_execz .LBB353_677
; %bb.676:                              ;   in Loop: Header=BB353_490 Depth=1
	v_cmp_gt_i32_e64 s0, s31, v51
	v_cndmask_b32_e64 v73, 0, v73, s0
	v_cmp_gt_i32_e64 s0, s31, v58
	v_cndmask_b32_e64 v74, 0, v74, s0
	;; [unrolled: 2-line block ×8, first 2 shown]
.LBB353_677:                            ;   in Loop: Header=BB353_490 Depth=1
	s_or_b32 exec_lo, exec_lo, s18
	global_load_dwordx2 v[17:18], v[15:16], off offset:768
	v_mov_b32_e32 v76, 0
	v_mov_b32_e32 v77, 0
	s_waitcnt vmcnt(0)
	v_cmp_ne_u16_sdwa s0, v17, v10 src0_sel:BYTE_0 src1_sel:DWORD
	s_and_saveexec_b32 s18, s0
	s_cbranch_execz .LBB353_683
; %bb.678:                              ;   in Loop: Header=BB353_490 Depth=1
	v_cmp_ne_u16_sdwa s0, v17, v26 src0_sel:BYTE_0 src1_sel:DWORD
	v_bfrev_b32_e32 v77, 1
	s_and_saveexec_b32 s21, s0
	s_cbranch_execz .LBB353_682
; %bb.679:                              ;   in Loop: Header=BB353_490 Depth=1
	v_and_b32_e32 v9, 0x7f, v17
	v_mov_b32_e32 v77, 0x7f800001
	s_mov_b32 s22, exec_lo
	v_cmpx_ne_u32_e32 0x7f, v9
	s_cbranch_execz .LBB353_681
; %bb.680:                              ;   in Loop: Header=BB353_490 Depth=1
	v_and_b32_e32 v0, 7, v17
	v_cmp_gt_u32_e64 s0, 8, v9
	v_lshrrev_b32_e32 v19, 3, v9
	v_ffbh_u32_e32 v0, v0
	v_min_u32_e32 v0, 32, v0
	v_subrev_nc_u32_e32 v20, 28, v0
	v_sub_nc_u32_e32 v0, 29, v0
	v_cndmask_b32_e64 v9, 0, v20, s0
	v_cndmask_b32_e64 v0, v19, v0, s0
	v_lshlrev_b64 v[19:20], v9, v[17:18]
	v_lshlrev_b32_e32 v9, 24, v17
	v_lshl_add_u32 v0, v0, 23, 0x3c000000
	v_and_b32_e32 v9, 0x80000000, v9
	v_lshlrev_b32_e32 v19, 20, v19
	v_and_b32_e32 v19, 0x700000, v19
	v_or3_b32 v77, v19, v9, v0
.LBB353_681:                            ;   in Loop: Header=BB353_490 Depth=1
	s_or_b32 exec_lo, exec_lo, s22
.LBB353_682:                            ;   in Loop: Header=BB353_490 Depth=1
	s_or_b32 exec_lo, exec_lo, s21
.LBB353_683:                            ;   in Loop: Header=BB353_490 Depth=1
	s_or_b32 exec_lo, exec_lo, s18
	v_cmp_ne_u16_sdwa s0, v17, v10 src0_sel:BYTE_1 src1_sel:DWORD
	s_and_saveexec_b32 s18, s0
	s_cbranch_execz .LBB353_691
; %bb.684:                              ;   in Loop: Header=BB353_490 Depth=1
	v_cmp_ne_u16_sdwa s0, v17, v26 src0_sel:BYTE_1 src1_sel:DWORD
	v_bfrev_b32_e32 v76, 1
	s_and_saveexec_b32 s21, s0
	s_cbranch_execz .LBB353_690
; %bb.685:                              ;   in Loop: Header=BB353_490 Depth=1
	v_and_b32_sdwa v9, v33, v17 dst_sel:DWORD dst_unused:UNUSED_PAD src0_sel:DWORD src1_sel:BYTE_1
	v_mov_b32_e32 v76, 0x7f800001
	s_mov_b32 s22, exec_lo
	v_and_b32_e32 v20, 0x7f, v9
	v_cmpx_ne_u32_e32 0x7f, v20
	s_cbranch_execz .LBB353_689
; %bb.686:                              ;   in Loop: Header=BB353_490 Depth=1
	v_and_b32_e32 v9, 7, v9
	v_lshrrev_b32_e32 v19, 3, v20
	s_mov_b32 s24, exec_lo
	v_cmpx_gt_u32_e32 8, v20
; %bb.687:                              ;   in Loop: Header=BB353_490 Depth=1
	v_ffbh_u32_e32 v0, v9
	v_min_u32_e32 v0, 32, v0
	v_subrev_nc_u32_e32 v19, 28, v0
	v_lshlrev_b64 v[75:76], v19, v[9:10]
	v_sub_nc_u32_e32 v19, 29, v0
	v_and_b32_e32 v9, 7, v75
; %bb.688:                              ;   in Loop: Header=BB353_490 Depth=1
	s_or_b32 exec_lo, exec_lo, s24
	v_lshlrev_b32_e32 v0, 16, v17
	v_lshlrev_b32_e32 v9, 20, v9
	v_lshl_add_u32 v19, v19, 23, 0x3c000000
	v_and_b32_e32 v0, 0x80000000, v0
	v_or3_b32 v76, v9, v0, v19
.LBB353_689:                            ;   in Loop: Header=BB353_490 Depth=1
	s_or_b32 exec_lo, exec_lo, s22
.LBB353_690:                            ;   in Loop: Header=BB353_490 Depth=1
	s_or_b32 exec_lo, exec_lo, s21
.LBB353_691:                            ;   in Loop: Header=BB353_490 Depth=1
	s_or_b32 exec_lo, exec_lo, s18
	v_and_b32_sdwa v9, v17, v34 dst_sel:DWORD dst_unused:UNUSED_PAD src0_sel:WORD_1 src1_sel:DWORD
	v_mov_b32_e32 v78, 0
	v_mov_b32_e32 v75, 0
	s_mov_b32 s18, exec_lo
	v_cmpx_ne_u16_e32 0, v9
	s_cbranch_execz .LBB353_699
; %bb.692:                              ;   in Loop: Header=BB353_490 Depth=1
	v_bfrev_b32_e32 v75, 1
	s_mov_b32 s21, exec_lo
	v_cmpx_ne_u16_e32 0x80, v9
	s_cbranch_execz .LBB353_698
; %bb.693:                              ;   in Loop: Header=BB353_490 Depth=1
	v_bfe_u32 v20, v17, 16, 7
	v_mov_b32_e32 v75, 0x7f800001
	s_mov_b32 s22, exec_lo
	v_cmpx_ne_u32_e32 0x7f, v20
	s_cbranch_execz .LBB353_697
; %bb.694:                              ;   in Loop: Header=BB353_490 Depth=1
	v_and_b32_sdwa v9, v17, v39 dst_sel:DWORD dst_unused:UNUSED_PAD src0_sel:WORD_1 src1_sel:DWORD
	v_lshrrev_b32_e32 v19, 3, v20
	s_mov_b32 s24, exec_lo
	v_cmpx_gt_u32_e32 8, v20
; %bb.695:                              ;   in Loop: Header=BB353_490 Depth=1
	v_ffbh_u32_e32 v0, v9
	v_min_u32_e32 v0, 32, v0
	v_subrev_nc_u32_e32 v19, 28, v0
	v_lshlrev_b64 v[79:80], v19, v[9:10]
	v_sub_nc_u32_e32 v19, 29, v0
	v_and_b32_e32 v9, 7, v79
; %bb.696:                              ;   in Loop: Header=BB353_490 Depth=1
	s_or_b32 exec_lo, exec_lo, s24
	v_lshlrev_b32_sdwa v0, v40, v17 dst_sel:DWORD dst_unused:UNUSED_PAD src0_sel:DWORD src1_sel:WORD_1
	v_lshlrev_b32_e32 v9, 20, v9
	v_lshl_add_u32 v19, v19, 23, 0x3c000000
	v_and_b32_e32 v0, 0x80000000, v0
	v_or3_b32 v75, v9, v0, v19
.LBB353_697:                            ;   in Loop: Header=BB353_490 Depth=1
	s_or_b32 exec_lo, exec_lo, s22
.LBB353_698:                            ;   in Loop: Header=BB353_490 Depth=1
	s_or_b32 exec_lo, exec_lo, s21
.LBB353_699:                            ;   in Loop: Header=BB353_490 Depth=1
	s_or_b32 exec_lo, exec_lo, s18
	s_mov_b32 s18, exec_lo
	v_cmpx_lt_u32_e32 0xffffff, v17
	s_cbranch_execz .LBB353_707
; %bb.700:                              ;   in Loop: Header=BB353_490 Depth=1
	v_cmp_ne_u32_sdwa s0, v17, v26 src0_sel:BYTE_3 src1_sel:DWORD
	v_bfrev_b32_e32 v78, 1
	s_and_saveexec_b32 s21, s0
	s_cbranch_execz .LBB353_706
; %bb.701:                              ;   in Loop: Header=BB353_490 Depth=1
	v_bfe_u32 v20, v17, 24, 7
	v_mov_b32_e32 v78, 0x7f800001
	s_mov_b32 s22, exec_lo
	v_cmpx_ne_u32_e32 0x7f, v20
	s_cbranch_execz .LBB353_705
; %bb.702:                              ;   in Loop: Header=BB353_490 Depth=1
	v_and_b32_sdwa v9, v17, v39 dst_sel:DWORD dst_unused:UNUSED_PAD src0_sel:BYTE_3 src1_sel:DWORD
	v_lshrrev_b32_e32 v19, 3, v20
	s_mov_b32 s24, exec_lo
	v_cmpx_gt_u32_e32 8, v20
; %bb.703:                              ;   in Loop: Header=BB353_490 Depth=1
	v_ffbh_u32_e32 v0, v9
	v_min_u32_e32 v0, 32, v0
	v_subrev_nc_u32_e32 v19, 28, v0
	v_lshlrev_b64 v[78:79], v19, v[9:10]
	v_sub_nc_u32_e32 v19, 29, v0
	v_and_b32_e32 v9, 7, v78
; %bb.704:                              ;   in Loop: Header=BB353_490 Depth=1
	s_or_b32 exec_lo, exec_lo, s24
	v_lshlrev_b32_sdwa v0, v40, v17 dst_sel:DWORD dst_unused:UNUSED_PAD src0_sel:DWORD src1_sel:BYTE_3
	v_lshlrev_b32_e32 v9, 20, v9
	v_lshl_add_u32 v19, v19, 23, 0x3c000000
	v_and_b32_e32 v0, 0x80000000, v0
	v_or3_b32 v78, v9, v0, v19
.LBB353_705:                            ;   in Loop: Header=BB353_490 Depth=1
	s_or_b32 exec_lo, exec_lo, s22
.LBB353_706:                            ;   in Loop: Header=BB353_490 Depth=1
	s_or_b32 exec_lo, exec_lo, s21
.LBB353_707:                            ;   in Loop: Header=BB353_490 Depth=1
	s_or_b32 exec_lo, exec_lo, s18
	v_mov_b32_e32 v9, v18
	v_cmp_ne_u16_sdwa s0, v18, v10 src0_sel:BYTE_0 src1_sel:DWORD
	v_mov_b32_e32 v19, 0
	v_mov_b32_e32 v79, 0
	s_and_saveexec_b32 s18, s0
	s_cbranch_execz .LBB353_713
; %bb.708:                              ;   in Loop: Header=BB353_490 Depth=1
	v_cmp_ne_u16_sdwa s0, v18, v26 src0_sel:BYTE_0 src1_sel:DWORD
	v_bfrev_b32_e32 v79, 1
	s_and_saveexec_b32 s21, s0
	s_cbranch_execz .LBB353_712
; %bb.709:                              ;   in Loop: Header=BB353_490 Depth=1
	v_and_b32_e32 v20, 0x7f, v18
	v_mov_b32_e32 v79, 0x7f800001
	s_mov_b32 s22, exec_lo
	v_cmpx_ne_u32_e32 0x7f, v20
	s_cbranch_execz .LBB353_711
; %bb.710:                              ;   in Loop: Header=BB353_490 Depth=1
	v_and_b32_e32 v0, 7, v18
	v_cmp_gt_u32_e64 s0, 8, v20
	v_lshrrev_b32_e32 v35, 3, v20
	v_ffbh_u32_e32 v0, v0
	v_min_u32_e32 v0, 32, v0
	v_subrev_nc_u32_e32 v36, 28, v0
	v_sub_nc_u32_e32 v0, 29, v0
	v_cndmask_b32_e64 v20, 0, v36, s0
	v_cndmask_b32_e64 v0, v35, v0, s0
	v_lshlrev_b64 v[79:80], v20, v[9:10]
	v_lshlrev_b32_e32 v20, 24, v9
	v_lshl_add_u32 v0, v0, 23, 0x3c000000
	v_and_b32_e32 v20, 0x80000000, v20
	v_lshlrev_b32_e32 v35, 20, v79
	v_and_b32_e32 v35, 0x700000, v35
	v_or3_b32 v79, v35, v20, v0
.LBB353_711:                            ;   in Loop: Header=BB353_490 Depth=1
	s_or_b32 exec_lo, exec_lo, s22
.LBB353_712:                            ;   in Loop: Header=BB353_490 Depth=1
	s_or_b32 exec_lo, exec_lo, s21
.LBB353_713:                            ;   in Loop: Header=BB353_490 Depth=1
	s_or_b32 exec_lo, exec_lo, s18
	v_cmp_ne_u16_sdwa s0, v9, v10 src0_sel:BYTE_1 src1_sel:DWORD
	s_and_saveexec_b32 s18, s0
	s_cbranch_execz .LBB353_721
; %bb.714:                              ;   in Loop: Header=BB353_490 Depth=1
	v_cmp_ne_u16_sdwa s0, v9, v26 src0_sel:BYTE_1 src1_sel:DWORD
	v_bfrev_b32_e32 v19, 1
	s_and_saveexec_b32 s21, s0
	s_cbranch_execz .LBB353_720
; %bb.715:                              ;   in Loop: Header=BB353_490 Depth=1
	v_and_b32_sdwa v20, v33, v9 dst_sel:DWORD dst_unused:UNUSED_PAD src0_sel:DWORD src1_sel:BYTE_1
	v_mov_b32_e32 v19, 0x7f800001
	s_mov_b32 s22, exec_lo
	v_and_b32_e32 v81, 0x7f, v20
	v_cmpx_ne_u32_e32 0x7f, v81
	s_cbranch_execz .LBB353_719
; %bb.716:                              ;   in Loop: Header=BB353_490 Depth=1
	v_and_b32_e32 v19, 7, v20
	v_mov_b32_e32 v20, v10
	v_lshrrev_b32_e32 v80, 3, v81
	s_mov_b32 s24, exec_lo
	v_cmpx_gt_u32_e32 8, v81
; %bb.717:                              ;   in Loop: Header=BB353_490 Depth=1
	v_ffbh_u32_e32 v0, v19
	v_min_u32_e32 v0, 32, v0
	v_subrev_nc_u32_e32 v35, 28, v0
	v_sub_nc_u32_e32 v80, 29, v0
	v_lshlrev_b64 v[19:20], v35, v[19:20]
	v_and_b32_e32 v19, 7, v19
; %bb.718:                              ;   in Loop: Header=BB353_490 Depth=1
	s_or_b32 exec_lo, exec_lo, s24
	v_lshlrev_b32_e32 v0, 16, v9
	v_lshlrev_b32_e32 v9, 20, v19
	v_lshl_add_u32 v19, v80, 23, 0x3c000000
	v_and_b32_e32 v0, 0x80000000, v0
	v_or3_b32 v19, v9, v0, v19
.LBB353_719:                            ;   in Loop: Header=BB353_490 Depth=1
	s_or_b32 exec_lo, exec_lo, s22
.LBB353_720:                            ;   in Loop: Header=BB353_490 Depth=1
	s_or_b32 exec_lo, exec_lo, s21
.LBB353_721:                            ;   in Loop: Header=BB353_490 Depth=1
	s_or_b32 exec_lo, exec_lo, s18
	v_and_b32_sdwa v9, v18, v34 dst_sel:DWORD dst_unused:UNUSED_PAD src0_sel:WORD_1 src1_sel:DWORD
	v_mov_b32_e32 v20, 0
	v_mov_b32_e32 v80, 0
	s_mov_b32 s18, exec_lo
	v_cmpx_ne_u16_e32 0, v9
	s_cbranch_execz .LBB353_729
; %bb.722:                              ;   in Loop: Header=BB353_490 Depth=1
	v_bfrev_b32_e32 v80, 1
	s_mov_b32 s21, exec_lo
	v_cmpx_ne_u16_e32 0x80, v9
	s_cbranch_execz .LBB353_728
; %bb.723:                              ;   in Loop: Header=BB353_490 Depth=1
	v_bfe_u32 v81, v18, 16, 7
	v_mov_b32_e32 v80, 0x7f800001
	s_mov_b32 s22, exec_lo
	v_cmpx_ne_u32_e32 0x7f, v81
	s_cbranch_execz .LBB353_727
; %bb.724:                              ;   in Loop: Header=BB353_490 Depth=1
	v_and_b32_sdwa v9, v18, v39 dst_sel:DWORD dst_unused:UNUSED_PAD src0_sel:WORD_1 src1_sel:DWORD
	v_lshrrev_b32_e32 v80, 3, v81
	s_mov_b32 s24, exec_lo
	v_cmpx_gt_u32_e32 8, v81
; %bb.725:                              ;   in Loop: Header=BB353_490 Depth=1
	v_ffbh_u32_e32 v0, v9
	v_min_u32_e32 v0, 32, v0
	v_subrev_nc_u32_e32 v35, 28, v0
	v_sub_nc_u32_e32 v80, 29, v0
	v_lshlrev_b64 v[81:82], v35, v[9:10]
	v_and_b32_e32 v9, 7, v81
; %bb.726:                              ;   in Loop: Header=BB353_490 Depth=1
	s_or_b32 exec_lo, exec_lo, s24
	v_lshlrev_b32_sdwa v0, v40, v18 dst_sel:DWORD dst_unused:UNUSED_PAD src0_sel:DWORD src1_sel:WORD_1
	v_lshlrev_b32_e32 v9, 20, v9
	v_lshl_add_u32 v35, v80, 23, 0x3c000000
	v_and_b32_e32 v0, 0x80000000, v0
	v_or3_b32 v80, v9, v0, v35
.LBB353_727:                            ;   in Loop: Header=BB353_490 Depth=1
	s_or_b32 exec_lo, exec_lo, s22
.LBB353_728:                            ;   in Loop: Header=BB353_490 Depth=1
	s_or_b32 exec_lo, exec_lo, s21
.LBB353_729:                            ;   in Loop: Header=BB353_490 Depth=1
	s_or_b32 exec_lo, exec_lo, s18
	s_mov_b32 s18, exec_lo
	v_cmpx_lt_u64_e64 s[4:5], v[17:18]
	s_cbranch_execz .LBB353_737
; %bb.730:                              ;   in Loop: Header=BB353_490 Depth=1
	v_cmp_ne_u32_sdwa s0, v18, v26 src0_sel:BYTE_3 src1_sel:DWORD
	v_bfrev_b32_e32 v20, 1
	s_and_saveexec_b32 s21, s0
	s_cbranch_execz .LBB353_736
; %bb.731:                              ;   in Loop: Header=BB353_490 Depth=1
	v_bfe_u32 v81, v18, 24, 7
	v_mov_b32_e32 v20, 0x7f800001
	s_mov_b32 s22, exec_lo
	v_cmpx_ne_u32_e32 0x7f, v81
	s_cbranch_execz .LBB353_735
; %bb.732:                              ;   in Loop: Header=BB353_490 Depth=1
	v_and_b32_sdwa v9, v18, v39 dst_sel:DWORD dst_unused:UNUSED_PAD src0_sel:BYTE_3 src1_sel:DWORD
	v_lshrrev_b32_e32 v17, 3, v81
	s_mov_b32 s24, exec_lo
	v_cmpx_gt_u32_e32 8, v81
; %bb.733:                              ;   in Loop: Header=BB353_490 Depth=1
	v_ffbh_u32_e32 v0, v9
	v_min_u32_e32 v0, 32, v0
	v_subrev_nc_u32_e32 v17, 28, v0
	v_lshlrev_b64 v[81:82], v17, v[9:10]
	v_sub_nc_u32_e32 v17, 29, v0
	v_and_b32_e32 v9, 7, v81
; %bb.734:                              ;   in Loop: Header=BB353_490 Depth=1
	s_or_b32 exec_lo, exec_lo, s24
	v_lshlrev_b32_sdwa v0, v40, v18 dst_sel:DWORD dst_unused:UNUSED_PAD src0_sel:DWORD src1_sel:BYTE_3
	v_lshlrev_b32_e32 v9, 20, v9
	v_lshl_add_u32 v17, v17, 23, 0x3c000000
	v_and_b32_e32 v0, 0x80000000, v0
	v_or3_b32 v20, v9, v0, v17
.LBB353_735:                            ;   in Loop: Header=BB353_490 Depth=1
	s_or_b32 exec_lo, exec_lo, s22
.LBB353_736:                            ;   in Loop: Header=BB353_490 Depth=1
	s_or_b32 exec_lo, exec_lo, s21
.LBB353_737:                            ;   in Loop: Header=BB353_490 Depth=1
	s_or_b32 exec_lo, exec_lo, s18
	v_mul_f32_e32 v0, s17, v19
	v_mul_f32_e32 v9, s17, v79
	;; [unrolled: 1-line block ×5, first 2 shown]
	v_bfe_u32 v19, v0, 16, 1
	v_or_b32_e32 v35, 0x400000, v0
	v_bfe_u32 v36, v9, 16, 1
	v_cmp_u_f32_e64 s0, v0, v0
	v_or_b32_e32 v37, 0x400000, v9
	v_add3_u32 v19, v19, v0, 0x7fff
	v_bfe_u32 v75, v17, 16, 1
	v_add3_u32 v36, v36, v9, 0x7fff
	v_or_b32_e32 v78, 0x400000, v17
	v_bfe_u32 v79, v18, 16, 1
	v_cndmask_b32_e64 v0, v19, v35, s0
	v_cmp_u_f32_e64 s0, v9, v9
	v_add3_u32 v75, v75, v17, 0x7fff
	v_or_b32_e32 v35, 0x400000, v18
	v_add3_u32 v19, v79, v18, 0x7fff
	v_or_b32_e32 v79, 0x400000, v20
	v_cndmask_b32_e64 v9, v36, v37, s0
	v_cmp_u_f32_e64 s0, v17, v17
	v_cndmask_b32_e64 v17, v75, v78, s0
	v_lshrrev_b32_e32 v75, 16, v0
	v_mul_f32_e32 v0, s17, v76
	v_lshrrev_b32_e32 v76, 16, v9
	v_cmp_u_f32_e64 s0, v18, v18
	v_mul_f32_e32 v18, s17, v77
	v_lshrrev_b32_e32 v78, 16, v17
	v_bfe_u32 v9, v0, 16, 1
	v_cndmask_b32_e64 v17, v19, v35, s0
	v_mul_f32_e32 v19, s17, v80
	v_or_b32_e32 v35, 0x400000, v0
	v_add3_u32 v9, v9, v0, 0x7fff
	v_bfe_u32 v36, v18, 16, 1
	v_cmp_u_f32_e64 s0, v0, v0
	v_bfe_u32 v37, v19, 16, 1
	v_or_b32_e32 v77, 0x400000, v19
	v_lshrrev_b32_e32 v80, 16, v17
	v_cndmask_b32_e64 v0, v9, v35, s0
	v_add3_u32 v35, v36, v18, 0x7fff
	v_or_b32_e32 v36, 0x400000, v18
	v_cmp_u_f32_e64 s0, v18, v18
	v_bfe_u32 v9, v20, 16, 1
	v_add3_u32 v37, v37, v19, 0x7fff
	v_lshrrev_b32_e32 v82, 16, v0
	v_cndmask_b32_e64 v18, v35, v36, s0
	v_cmp_u_f32_e64 s0, v19, v19
	v_add3_u32 v9, v9, v20, 0x7fff
	v_lshrrev_b32_e32 v81, 16, v18
	v_cndmask_b32_e64 v19, v37, v77, s0
	v_cmp_u_f32_e64 s0, v20, v20
	v_lshrrev_b32_e32 v77, 16, v19
	v_cndmask_b32_e64 v9, v9, v79, s0
	v_lshrrev_b32_e32 v79, 16, v9
	s_and_saveexec_b32 s18, vcc_lo
	s_cbranch_execz .LBB353_739
; %bb.738:                              ;   in Loop: Header=BB353_490 Depth=1
	v_cmp_gt_i32_e64 s0, s31, v51
	v_cndmask_b32_e64 v81, 0, v81, s0
	v_cmp_gt_i32_e64 s0, s31, v58
	v_cndmask_b32_e64 v82, 0, v82, s0
	;; [unrolled: 2-line block ×8, first 2 shown]
.LBB353_739:                            ;   in Loop: Header=BB353_490 Depth=1
	s_or_b32 exec_lo, exec_lo, s18
	global_load_dwordx2 v[17:18], v[15:16], off offset:1024
	v_mov_b32_e32 v83, 0
	v_mov_b32_e32 v85, 0
	s_waitcnt vmcnt(0)
	v_cmp_ne_u16_sdwa s0, v17, v10 src0_sel:BYTE_0 src1_sel:DWORD
	s_and_saveexec_b32 s18, s0
	s_cbranch_execz .LBB353_745
; %bb.740:                              ;   in Loop: Header=BB353_490 Depth=1
	v_cmp_ne_u16_sdwa s0, v17, v26 src0_sel:BYTE_0 src1_sel:DWORD
	v_bfrev_b32_e32 v85, 1
	s_and_saveexec_b32 s21, s0
	s_cbranch_execz .LBB353_744
; %bb.741:                              ;   in Loop: Header=BB353_490 Depth=1
	v_and_b32_e32 v9, 0x7f, v17
	v_mov_b32_e32 v85, 0x7f800001
	s_mov_b32 s22, exec_lo
	v_cmpx_ne_u32_e32 0x7f, v9
	s_cbranch_execz .LBB353_743
; %bb.742:                              ;   in Loop: Header=BB353_490 Depth=1
	v_and_b32_e32 v0, 7, v17
	v_cmp_gt_u32_e64 s0, 8, v9
	v_lshrrev_b32_e32 v19, 3, v9
	v_ffbh_u32_e32 v0, v0
	v_min_u32_e32 v0, 32, v0
	v_subrev_nc_u32_e32 v20, 28, v0
	v_sub_nc_u32_e32 v0, 29, v0
	v_cndmask_b32_e64 v9, 0, v20, s0
	v_cndmask_b32_e64 v0, v19, v0, s0
	v_lshlrev_b64 v[19:20], v9, v[17:18]
	v_lshlrev_b32_e32 v9, 24, v17
	v_lshl_add_u32 v0, v0, 23, 0x3c000000
	v_and_b32_e32 v9, 0x80000000, v9
	v_lshlrev_b32_e32 v19, 20, v19
	v_and_b32_e32 v19, 0x700000, v19
	v_or3_b32 v85, v19, v9, v0
.LBB353_743:                            ;   in Loop: Header=BB353_490 Depth=1
	s_or_b32 exec_lo, exec_lo, s22
.LBB353_744:                            ;   in Loop: Header=BB353_490 Depth=1
	s_or_b32 exec_lo, exec_lo, s21
.LBB353_745:                            ;   in Loop: Header=BB353_490 Depth=1
	s_or_b32 exec_lo, exec_lo, s18
	v_cmp_ne_u16_sdwa s0, v17, v10 src0_sel:BYTE_1 src1_sel:DWORD
	s_and_saveexec_b32 s18, s0
	s_cbranch_execz .LBB353_753
; %bb.746:                              ;   in Loop: Header=BB353_490 Depth=1
	v_cmp_ne_u16_sdwa s0, v17, v26 src0_sel:BYTE_1 src1_sel:DWORD
	v_bfrev_b32_e32 v83, 1
	s_and_saveexec_b32 s21, s0
	s_cbranch_execz .LBB353_752
; %bb.747:                              ;   in Loop: Header=BB353_490 Depth=1
	v_and_b32_sdwa v9, v33, v17 dst_sel:DWORD dst_unused:UNUSED_PAD src0_sel:DWORD src1_sel:BYTE_1
	v_mov_b32_e32 v83, 0x7f800001
	s_mov_b32 s22, exec_lo
	v_and_b32_e32 v20, 0x7f, v9
	v_cmpx_ne_u32_e32 0x7f, v20
	s_cbranch_execz .LBB353_751
; %bb.748:                              ;   in Loop: Header=BB353_490 Depth=1
	v_and_b32_e32 v9, 7, v9
	v_lshrrev_b32_e32 v19, 3, v20
	s_mov_b32 s24, exec_lo
	v_cmpx_gt_u32_e32 8, v20
; %bb.749:                              ;   in Loop: Header=BB353_490 Depth=1
	v_ffbh_u32_e32 v0, v9
	v_min_u32_e32 v0, 32, v0
	v_subrev_nc_u32_e32 v19, 28, v0
	v_lshlrev_b64 v[83:84], v19, v[9:10]
	v_sub_nc_u32_e32 v19, 29, v0
	v_and_b32_e32 v9, 7, v83
; %bb.750:                              ;   in Loop: Header=BB353_490 Depth=1
	s_or_b32 exec_lo, exec_lo, s24
	v_lshlrev_b32_e32 v0, 16, v17
	v_lshlrev_b32_e32 v9, 20, v9
	v_lshl_add_u32 v19, v19, 23, 0x3c000000
	v_and_b32_e32 v0, 0x80000000, v0
	v_or3_b32 v83, v9, v0, v19
.LBB353_751:                            ;   in Loop: Header=BB353_490 Depth=1
	s_or_b32 exec_lo, exec_lo, s22
.LBB353_752:                            ;   in Loop: Header=BB353_490 Depth=1
	s_or_b32 exec_lo, exec_lo, s21
.LBB353_753:                            ;   in Loop: Header=BB353_490 Depth=1
	s_or_b32 exec_lo, exec_lo, s18
	v_and_b32_sdwa v9, v17, v34 dst_sel:DWORD dst_unused:UNUSED_PAD src0_sel:WORD_1 src1_sel:DWORD
	v_mov_b32_e32 v86, 0
	v_mov_b32_e32 v84, 0
	s_mov_b32 s18, exec_lo
	v_cmpx_ne_u16_e32 0, v9
	s_cbranch_execz .LBB353_761
; %bb.754:                              ;   in Loop: Header=BB353_490 Depth=1
	v_bfrev_b32_e32 v84, 1
	s_mov_b32 s21, exec_lo
	v_cmpx_ne_u16_e32 0x80, v9
	s_cbranch_execz .LBB353_760
; %bb.755:                              ;   in Loop: Header=BB353_490 Depth=1
	v_bfe_u32 v20, v17, 16, 7
	v_mov_b32_e32 v84, 0x7f800001
	s_mov_b32 s22, exec_lo
	v_cmpx_ne_u32_e32 0x7f, v20
	s_cbranch_execz .LBB353_759
; %bb.756:                              ;   in Loop: Header=BB353_490 Depth=1
	v_and_b32_sdwa v9, v17, v39 dst_sel:DWORD dst_unused:UNUSED_PAD src0_sel:WORD_1 src1_sel:DWORD
	v_lshrrev_b32_e32 v19, 3, v20
	s_mov_b32 s24, exec_lo
	v_cmpx_gt_u32_e32 8, v20
; %bb.757:                              ;   in Loop: Header=BB353_490 Depth=1
	v_ffbh_u32_e32 v0, v9
	v_min_u32_e32 v0, 32, v0
	v_subrev_nc_u32_e32 v19, 28, v0
	v_lshlrev_b64 v[87:88], v19, v[9:10]
	v_sub_nc_u32_e32 v19, 29, v0
	v_and_b32_e32 v9, 7, v87
; %bb.758:                              ;   in Loop: Header=BB353_490 Depth=1
	s_or_b32 exec_lo, exec_lo, s24
	v_lshlrev_b32_sdwa v0, v40, v17 dst_sel:DWORD dst_unused:UNUSED_PAD src0_sel:DWORD src1_sel:WORD_1
	v_lshlrev_b32_e32 v9, 20, v9
	v_lshl_add_u32 v19, v19, 23, 0x3c000000
	v_and_b32_e32 v0, 0x80000000, v0
	v_or3_b32 v84, v9, v0, v19
.LBB353_759:                            ;   in Loop: Header=BB353_490 Depth=1
	s_or_b32 exec_lo, exec_lo, s22
.LBB353_760:                            ;   in Loop: Header=BB353_490 Depth=1
	s_or_b32 exec_lo, exec_lo, s21
.LBB353_761:                            ;   in Loop: Header=BB353_490 Depth=1
	s_or_b32 exec_lo, exec_lo, s18
	s_mov_b32 s18, exec_lo
	v_cmpx_lt_u32_e32 0xffffff, v17
	s_cbranch_execz .LBB353_769
; %bb.762:                              ;   in Loop: Header=BB353_490 Depth=1
	v_cmp_ne_u32_sdwa s0, v17, v26 src0_sel:BYTE_3 src1_sel:DWORD
	v_bfrev_b32_e32 v86, 1
	s_and_saveexec_b32 s21, s0
	s_cbranch_execz .LBB353_768
; %bb.763:                              ;   in Loop: Header=BB353_490 Depth=1
	v_bfe_u32 v20, v17, 24, 7
	v_mov_b32_e32 v86, 0x7f800001
	s_mov_b32 s22, exec_lo
	v_cmpx_ne_u32_e32 0x7f, v20
	s_cbranch_execz .LBB353_767
; %bb.764:                              ;   in Loop: Header=BB353_490 Depth=1
	v_and_b32_sdwa v9, v17, v39 dst_sel:DWORD dst_unused:UNUSED_PAD src0_sel:BYTE_3 src1_sel:DWORD
	v_lshrrev_b32_e32 v19, 3, v20
	s_mov_b32 s24, exec_lo
	v_cmpx_gt_u32_e32 8, v20
; %bb.765:                              ;   in Loop: Header=BB353_490 Depth=1
	v_ffbh_u32_e32 v0, v9
	v_min_u32_e32 v0, 32, v0
	v_subrev_nc_u32_e32 v19, 28, v0
	v_lshlrev_b64 v[86:87], v19, v[9:10]
	v_sub_nc_u32_e32 v19, 29, v0
	v_and_b32_e32 v9, 7, v86
; %bb.766:                              ;   in Loop: Header=BB353_490 Depth=1
	s_or_b32 exec_lo, exec_lo, s24
	v_lshlrev_b32_sdwa v0, v40, v17 dst_sel:DWORD dst_unused:UNUSED_PAD src0_sel:DWORD src1_sel:BYTE_3
	v_lshlrev_b32_e32 v9, 20, v9
	v_lshl_add_u32 v19, v19, 23, 0x3c000000
	v_and_b32_e32 v0, 0x80000000, v0
	v_or3_b32 v86, v9, v0, v19
.LBB353_767:                            ;   in Loop: Header=BB353_490 Depth=1
	s_or_b32 exec_lo, exec_lo, s22
.LBB353_768:                            ;   in Loop: Header=BB353_490 Depth=1
	s_or_b32 exec_lo, exec_lo, s21
.LBB353_769:                            ;   in Loop: Header=BB353_490 Depth=1
	s_or_b32 exec_lo, exec_lo, s18
	v_mov_b32_e32 v9, v18
	v_cmp_ne_u16_sdwa s0, v18, v10 src0_sel:BYTE_0 src1_sel:DWORD
	v_mov_b32_e32 v19, 0
	v_mov_b32_e32 v87, 0
	s_and_saveexec_b32 s18, s0
	s_cbranch_execz .LBB353_775
; %bb.770:                              ;   in Loop: Header=BB353_490 Depth=1
	v_cmp_ne_u16_sdwa s0, v18, v26 src0_sel:BYTE_0 src1_sel:DWORD
	v_bfrev_b32_e32 v87, 1
	s_and_saveexec_b32 s21, s0
	s_cbranch_execz .LBB353_774
; %bb.771:                              ;   in Loop: Header=BB353_490 Depth=1
	v_and_b32_e32 v20, 0x7f, v18
	v_mov_b32_e32 v87, 0x7f800001
	s_mov_b32 s22, exec_lo
	v_cmpx_ne_u32_e32 0x7f, v20
	s_cbranch_execz .LBB353_773
; %bb.772:                              ;   in Loop: Header=BB353_490 Depth=1
	v_and_b32_e32 v0, 7, v18
	v_cmp_gt_u32_e64 s0, 8, v20
	v_lshrrev_b32_e32 v35, 3, v20
	v_ffbh_u32_e32 v0, v0
	v_min_u32_e32 v0, 32, v0
	v_subrev_nc_u32_e32 v36, 28, v0
	v_sub_nc_u32_e32 v0, 29, v0
	v_cndmask_b32_e64 v20, 0, v36, s0
	v_cndmask_b32_e64 v0, v35, v0, s0
	v_lshlrev_b64 v[87:88], v20, v[9:10]
	v_lshlrev_b32_e32 v20, 24, v9
	v_lshl_add_u32 v0, v0, 23, 0x3c000000
	v_and_b32_e32 v20, 0x80000000, v20
	v_lshlrev_b32_e32 v35, 20, v87
	v_and_b32_e32 v35, 0x700000, v35
	v_or3_b32 v87, v35, v20, v0
.LBB353_773:                            ;   in Loop: Header=BB353_490 Depth=1
	s_or_b32 exec_lo, exec_lo, s22
.LBB353_774:                            ;   in Loop: Header=BB353_490 Depth=1
	s_or_b32 exec_lo, exec_lo, s21
.LBB353_775:                            ;   in Loop: Header=BB353_490 Depth=1
	s_or_b32 exec_lo, exec_lo, s18
	v_cmp_ne_u16_sdwa s0, v9, v10 src0_sel:BYTE_1 src1_sel:DWORD
	s_and_saveexec_b32 s18, s0
	s_cbranch_execz .LBB353_783
; %bb.776:                              ;   in Loop: Header=BB353_490 Depth=1
	v_cmp_ne_u16_sdwa s0, v9, v26 src0_sel:BYTE_1 src1_sel:DWORD
	v_bfrev_b32_e32 v19, 1
	s_and_saveexec_b32 s21, s0
	s_cbranch_execz .LBB353_782
; %bb.777:                              ;   in Loop: Header=BB353_490 Depth=1
	v_and_b32_sdwa v20, v33, v9 dst_sel:DWORD dst_unused:UNUSED_PAD src0_sel:DWORD src1_sel:BYTE_1
	v_mov_b32_e32 v19, 0x7f800001
	s_mov_b32 s22, exec_lo
	v_and_b32_e32 v89, 0x7f, v20
	v_cmpx_ne_u32_e32 0x7f, v89
	s_cbranch_execz .LBB353_781
; %bb.778:                              ;   in Loop: Header=BB353_490 Depth=1
	v_and_b32_e32 v19, 7, v20
	v_mov_b32_e32 v20, v10
	v_lshrrev_b32_e32 v88, 3, v89
	s_mov_b32 s24, exec_lo
	v_cmpx_gt_u32_e32 8, v89
; %bb.779:                              ;   in Loop: Header=BB353_490 Depth=1
	v_ffbh_u32_e32 v0, v19
	v_min_u32_e32 v0, 32, v0
	v_subrev_nc_u32_e32 v35, 28, v0
	v_sub_nc_u32_e32 v88, 29, v0
	v_lshlrev_b64 v[19:20], v35, v[19:20]
	v_and_b32_e32 v19, 7, v19
; %bb.780:                              ;   in Loop: Header=BB353_490 Depth=1
	s_or_b32 exec_lo, exec_lo, s24
	v_lshlrev_b32_e32 v0, 16, v9
	v_lshlrev_b32_e32 v9, 20, v19
	v_lshl_add_u32 v19, v88, 23, 0x3c000000
	v_and_b32_e32 v0, 0x80000000, v0
	v_or3_b32 v19, v9, v0, v19
.LBB353_781:                            ;   in Loop: Header=BB353_490 Depth=1
	s_or_b32 exec_lo, exec_lo, s22
.LBB353_782:                            ;   in Loop: Header=BB353_490 Depth=1
	s_or_b32 exec_lo, exec_lo, s21
.LBB353_783:                            ;   in Loop: Header=BB353_490 Depth=1
	s_or_b32 exec_lo, exec_lo, s18
	v_and_b32_sdwa v9, v18, v34 dst_sel:DWORD dst_unused:UNUSED_PAD src0_sel:WORD_1 src1_sel:DWORD
	v_mov_b32_e32 v20, 0
	v_mov_b32_e32 v88, 0
	s_mov_b32 s18, exec_lo
	v_cmpx_ne_u16_e32 0, v9
	s_cbranch_execz .LBB353_791
; %bb.784:                              ;   in Loop: Header=BB353_490 Depth=1
	v_bfrev_b32_e32 v88, 1
	s_mov_b32 s21, exec_lo
	v_cmpx_ne_u16_e32 0x80, v9
	s_cbranch_execz .LBB353_790
; %bb.785:                              ;   in Loop: Header=BB353_490 Depth=1
	v_bfe_u32 v89, v18, 16, 7
	v_mov_b32_e32 v88, 0x7f800001
	s_mov_b32 s22, exec_lo
	v_cmpx_ne_u32_e32 0x7f, v89
	s_cbranch_execz .LBB353_789
; %bb.786:                              ;   in Loop: Header=BB353_490 Depth=1
	v_and_b32_sdwa v9, v18, v39 dst_sel:DWORD dst_unused:UNUSED_PAD src0_sel:WORD_1 src1_sel:DWORD
	v_lshrrev_b32_e32 v88, 3, v89
	s_mov_b32 s24, exec_lo
	v_cmpx_gt_u32_e32 8, v89
; %bb.787:                              ;   in Loop: Header=BB353_490 Depth=1
	v_ffbh_u32_e32 v0, v9
	v_min_u32_e32 v0, 32, v0
	v_subrev_nc_u32_e32 v35, 28, v0
	v_sub_nc_u32_e32 v88, 29, v0
	v_lshlrev_b64 v[89:90], v35, v[9:10]
	v_and_b32_e32 v9, 7, v89
; %bb.788:                              ;   in Loop: Header=BB353_490 Depth=1
	s_or_b32 exec_lo, exec_lo, s24
	v_lshlrev_b32_sdwa v0, v40, v18 dst_sel:DWORD dst_unused:UNUSED_PAD src0_sel:DWORD src1_sel:WORD_1
	v_lshlrev_b32_e32 v9, 20, v9
	v_lshl_add_u32 v35, v88, 23, 0x3c000000
	v_and_b32_e32 v0, 0x80000000, v0
	v_or3_b32 v88, v9, v0, v35
.LBB353_789:                            ;   in Loop: Header=BB353_490 Depth=1
	s_or_b32 exec_lo, exec_lo, s22
.LBB353_790:                            ;   in Loop: Header=BB353_490 Depth=1
	s_or_b32 exec_lo, exec_lo, s21
.LBB353_791:                            ;   in Loop: Header=BB353_490 Depth=1
	s_or_b32 exec_lo, exec_lo, s18
	s_mov_b32 s18, exec_lo
	v_cmpx_lt_u64_e64 s[4:5], v[17:18]
	s_cbranch_execz .LBB353_799
; %bb.792:                              ;   in Loop: Header=BB353_490 Depth=1
	v_cmp_ne_u32_sdwa s0, v18, v26 src0_sel:BYTE_3 src1_sel:DWORD
	v_bfrev_b32_e32 v20, 1
	s_and_saveexec_b32 s21, s0
	s_cbranch_execz .LBB353_798
; %bb.793:                              ;   in Loop: Header=BB353_490 Depth=1
	v_bfe_u32 v89, v18, 24, 7
	v_mov_b32_e32 v20, 0x7f800001
	s_mov_b32 s22, exec_lo
	v_cmpx_ne_u32_e32 0x7f, v89
	s_cbranch_execz .LBB353_797
; %bb.794:                              ;   in Loop: Header=BB353_490 Depth=1
	v_and_b32_sdwa v9, v18, v39 dst_sel:DWORD dst_unused:UNUSED_PAD src0_sel:BYTE_3 src1_sel:DWORD
	v_lshrrev_b32_e32 v17, 3, v89
	s_mov_b32 s24, exec_lo
	v_cmpx_gt_u32_e32 8, v89
; %bb.795:                              ;   in Loop: Header=BB353_490 Depth=1
	v_ffbh_u32_e32 v0, v9
	v_min_u32_e32 v0, 32, v0
	v_subrev_nc_u32_e32 v17, 28, v0
	v_lshlrev_b64 v[89:90], v17, v[9:10]
	v_sub_nc_u32_e32 v17, 29, v0
	v_and_b32_e32 v9, 7, v89
; %bb.796:                              ;   in Loop: Header=BB353_490 Depth=1
	s_or_b32 exec_lo, exec_lo, s24
	v_lshlrev_b32_sdwa v0, v40, v18 dst_sel:DWORD dst_unused:UNUSED_PAD src0_sel:DWORD src1_sel:BYTE_3
	v_lshlrev_b32_e32 v9, 20, v9
	v_lshl_add_u32 v17, v17, 23, 0x3c000000
	v_and_b32_e32 v0, 0x80000000, v0
	v_or3_b32 v20, v9, v0, v17
.LBB353_797:                            ;   in Loop: Header=BB353_490 Depth=1
	s_or_b32 exec_lo, exec_lo, s22
.LBB353_798:                            ;   in Loop: Header=BB353_490 Depth=1
	s_or_b32 exec_lo, exec_lo, s21
.LBB353_799:                            ;   in Loop: Header=BB353_490 Depth=1
	s_or_b32 exec_lo, exec_lo, s18
	v_mul_f32_e32 v0, s17, v19
	v_mul_f32_e32 v9, s17, v87
	;; [unrolled: 1-line block ×5, first 2 shown]
	v_bfe_u32 v19, v0, 16, 1
	v_or_b32_e32 v35, 0x400000, v0
	v_bfe_u32 v36, v9, 16, 1
	v_cmp_u_f32_e64 s0, v0, v0
	v_or_b32_e32 v37, 0x400000, v9
	v_add3_u32 v19, v19, v0, 0x7fff
	v_bfe_u32 v84, v17, 16, 1
	v_add3_u32 v36, v36, v9, 0x7fff
	v_or_b32_e32 v86, 0x400000, v17
	v_bfe_u32 v87, v18, 16, 1
	v_cndmask_b32_e64 v0, v19, v35, s0
	v_cmp_u_f32_e64 s0, v9, v9
	v_add3_u32 v84, v84, v17, 0x7fff
	v_or_b32_e32 v35, 0x400000, v18
	v_add3_u32 v19, v87, v18, 0x7fff
	v_or_b32_e32 v87, 0x400000, v20
	v_cndmask_b32_e64 v9, v36, v37, s0
	v_cmp_u_f32_e64 s0, v17, v17
	v_cndmask_b32_e64 v17, v84, v86, s0
	v_lshrrev_b32_e32 v84, 16, v0
	v_mul_f32_e32 v0, s17, v83
	v_lshrrev_b32_e32 v83, 16, v9
	v_cmp_u_f32_e64 s0, v18, v18
	v_mul_f32_e32 v18, s17, v85
	v_lshrrev_b32_e32 v86, 16, v17
	v_bfe_u32 v9, v0, 16, 1
	v_cndmask_b32_e64 v17, v19, v35, s0
	v_mul_f32_e32 v19, s17, v88
	v_or_b32_e32 v35, 0x400000, v0
	v_add3_u32 v9, v9, v0, 0x7fff
	v_bfe_u32 v36, v18, 16, 1
	v_cmp_u_f32_e64 s0, v0, v0
	v_bfe_u32 v37, v19, 16, 1
	v_or_b32_e32 v85, 0x400000, v19
	v_lshrrev_b32_e32 v88, 16, v17
	v_cndmask_b32_e64 v0, v9, v35, s0
	v_add3_u32 v35, v36, v18, 0x7fff
	v_or_b32_e32 v36, 0x400000, v18
	v_cmp_u_f32_e64 s0, v18, v18
	v_bfe_u32 v9, v20, 16, 1
	v_add3_u32 v37, v37, v19, 0x7fff
	v_lshrrev_b32_e32 v90, 16, v0
	v_cndmask_b32_e64 v18, v35, v36, s0
	v_cmp_u_f32_e64 s0, v19, v19
	v_add3_u32 v9, v9, v20, 0x7fff
	v_lshrrev_b32_e32 v89, 16, v18
	v_cndmask_b32_e64 v19, v37, v85, s0
	v_cmp_u_f32_e64 s0, v20, v20
	v_lshrrev_b32_e32 v85, 16, v19
	v_cndmask_b32_e64 v9, v9, v87, s0
	v_lshrrev_b32_e32 v87, 16, v9
	s_and_saveexec_b32 s18, vcc_lo
	s_cbranch_execz .LBB353_801
; %bb.800:                              ;   in Loop: Header=BB353_490 Depth=1
	v_cmp_gt_i32_e64 s0, s31, v51
	v_cndmask_b32_e64 v89, 0, v89, s0
	v_cmp_gt_i32_e64 s0, s31, v58
	v_cndmask_b32_e64 v90, 0, v90, s0
	;; [unrolled: 2-line block ×8, first 2 shown]
.LBB353_801:                            ;   in Loop: Header=BB353_490 Depth=1
	s_or_b32 exec_lo, exec_lo, s18
	global_load_dwordx2 v[17:18], v[15:16], off offset:1280
	v_mov_b32_e32 v92, 0
	v_mov_b32_e32 v91, 0
	s_waitcnt vmcnt(0)
	v_cmp_ne_u16_sdwa s0, v17, v10 src0_sel:BYTE_0 src1_sel:DWORD
	s_and_saveexec_b32 s18, s0
	s_cbranch_execz .LBB353_807
; %bb.802:                              ;   in Loop: Header=BB353_490 Depth=1
	v_cmp_ne_u16_sdwa s0, v17, v26 src0_sel:BYTE_0 src1_sel:DWORD
	v_bfrev_b32_e32 v91, 1
	s_and_saveexec_b32 s21, s0
	s_cbranch_execz .LBB353_806
; %bb.803:                              ;   in Loop: Header=BB353_490 Depth=1
	v_and_b32_e32 v9, 0x7f, v17
	v_mov_b32_e32 v91, 0x7f800001
	s_mov_b32 s22, exec_lo
	v_cmpx_ne_u32_e32 0x7f, v9
	s_cbranch_execz .LBB353_805
; %bb.804:                              ;   in Loop: Header=BB353_490 Depth=1
	v_and_b32_e32 v0, 7, v17
	v_cmp_gt_u32_e64 s0, 8, v9
	v_lshrrev_b32_e32 v19, 3, v9
	v_ffbh_u32_e32 v0, v0
	v_min_u32_e32 v0, 32, v0
	v_subrev_nc_u32_e32 v20, 28, v0
	v_sub_nc_u32_e32 v0, 29, v0
	v_cndmask_b32_e64 v9, 0, v20, s0
	v_cndmask_b32_e64 v0, v19, v0, s0
	v_lshlrev_b64 v[19:20], v9, v[17:18]
	v_lshlrev_b32_e32 v9, 24, v17
	v_lshl_add_u32 v0, v0, 23, 0x3c000000
	v_and_b32_e32 v9, 0x80000000, v9
	v_lshlrev_b32_e32 v19, 20, v19
	v_and_b32_e32 v19, 0x700000, v19
	v_or3_b32 v91, v19, v9, v0
.LBB353_805:                            ;   in Loop: Header=BB353_490 Depth=1
	s_or_b32 exec_lo, exec_lo, s22
.LBB353_806:                            ;   in Loop: Header=BB353_490 Depth=1
	s_or_b32 exec_lo, exec_lo, s21
.LBB353_807:                            ;   in Loop: Header=BB353_490 Depth=1
	s_or_b32 exec_lo, exec_lo, s18
	v_cmp_ne_u16_sdwa s0, v17, v10 src0_sel:BYTE_1 src1_sel:DWORD
	s_and_saveexec_b32 s18, s0
	s_cbranch_execz .LBB353_815
; %bb.808:                              ;   in Loop: Header=BB353_490 Depth=1
	v_cmp_ne_u16_sdwa s0, v17, v26 src0_sel:BYTE_1 src1_sel:DWORD
	v_bfrev_b32_e32 v92, 1
	s_and_saveexec_b32 s21, s0
	s_cbranch_execz .LBB353_814
; %bb.809:                              ;   in Loop: Header=BB353_490 Depth=1
	v_and_b32_sdwa v9, v33, v17 dst_sel:DWORD dst_unused:UNUSED_PAD src0_sel:DWORD src1_sel:BYTE_1
	v_mov_b32_e32 v92, 0x7f800001
	s_mov_b32 s22, exec_lo
	v_and_b32_e32 v20, 0x7f, v9
	v_cmpx_ne_u32_e32 0x7f, v20
	s_cbranch_execz .LBB353_813
; %bb.810:                              ;   in Loop: Header=BB353_490 Depth=1
	v_and_b32_e32 v9, 7, v9
	v_lshrrev_b32_e32 v19, 3, v20
	s_mov_b32 s24, exec_lo
	v_cmpx_gt_u32_e32 8, v20
; %bb.811:                              ;   in Loop: Header=BB353_490 Depth=1
	v_ffbh_u32_e32 v0, v9
	v_min_u32_e32 v0, 32, v0
	v_subrev_nc_u32_e32 v19, 28, v0
	v_lshlrev_b64 v[92:93], v19, v[9:10]
	v_sub_nc_u32_e32 v19, 29, v0
	v_and_b32_e32 v9, 7, v92
; %bb.812:                              ;   in Loop: Header=BB353_490 Depth=1
	s_or_b32 exec_lo, exec_lo, s24
	v_lshlrev_b32_e32 v0, 16, v17
	v_lshlrev_b32_e32 v9, 20, v9
	v_lshl_add_u32 v19, v19, 23, 0x3c000000
	v_and_b32_e32 v0, 0x80000000, v0
	v_or3_b32 v92, v9, v0, v19
.LBB353_813:                            ;   in Loop: Header=BB353_490 Depth=1
	s_or_b32 exec_lo, exec_lo, s22
.LBB353_814:                            ;   in Loop: Header=BB353_490 Depth=1
	s_or_b32 exec_lo, exec_lo, s21
.LBB353_815:                            ;   in Loop: Header=BB353_490 Depth=1
	s_or_b32 exec_lo, exec_lo, s18
	v_and_b32_sdwa v9, v17, v34 dst_sel:DWORD dst_unused:UNUSED_PAD src0_sel:WORD_1 src1_sel:DWORD
	v_mov_b32_e32 v94, 0
	v_mov_b32_e32 v93, 0
	s_mov_b32 s18, exec_lo
	v_cmpx_ne_u16_e32 0, v9
	s_cbranch_execz .LBB353_823
; %bb.816:                              ;   in Loop: Header=BB353_490 Depth=1
	v_bfrev_b32_e32 v93, 1
	s_mov_b32 s21, exec_lo
	v_cmpx_ne_u16_e32 0x80, v9
	s_cbranch_execz .LBB353_822
; %bb.817:                              ;   in Loop: Header=BB353_490 Depth=1
	v_bfe_u32 v20, v17, 16, 7
	v_mov_b32_e32 v93, 0x7f800001
	s_mov_b32 s22, exec_lo
	v_cmpx_ne_u32_e32 0x7f, v20
	s_cbranch_execz .LBB353_821
; %bb.818:                              ;   in Loop: Header=BB353_490 Depth=1
	v_and_b32_sdwa v9, v17, v39 dst_sel:DWORD dst_unused:UNUSED_PAD src0_sel:WORD_1 src1_sel:DWORD
	v_lshrrev_b32_e32 v19, 3, v20
	s_mov_b32 s24, exec_lo
	v_cmpx_gt_u32_e32 8, v20
; %bb.819:                              ;   in Loop: Header=BB353_490 Depth=1
	v_ffbh_u32_e32 v0, v9
	v_min_u32_e32 v0, 32, v0
	v_subrev_nc_u32_e32 v19, 28, v0
	v_lshlrev_b64 v[95:96], v19, v[9:10]
	v_sub_nc_u32_e32 v19, 29, v0
	v_and_b32_e32 v9, 7, v95
; %bb.820:                              ;   in Loop: Header=BB353_490 Depth=1
	s_or_b32 exec_lo, exec_lo, s24
	v_lshlrev_b32_sdwa v0, v40, v17 dst_sel:DWORD dst_unused:UNUSED_PAD src0_sel:DWORD src1_sel:WORD_1
	v_lshlrev_b32_e32 v9, 20, v9
	v_lshl_add_u32 v19, v19, 23, 0x3c000000
	v_and_b32_e32 v0, 0x80000000, v0
	v_or3_b32 v93, v9, v0, v19
.LBB353_821:                            ;   in Loop: Header=BB353_490 Depth=1
	s_or_b32 exec_lo, exec_lo, s22
.LBB353_822:                            ;   in Loop: Header=BB353_490 Depth=1
	s_or_b32 exec_lo, exec_lo, s21
.LBB353_823:                            ;   in Loop: Header=BB353_490 Depth=1
	s_or_b32 exec_lo, exec_lo, s18
	s_mov_b32 s18, exec_lo
	v_cmpx_lt_u32_e32 0xffffff, v17
	s_cbranch_execz .LBB353_831
; %bb.824:                              ;   in Loop: Header=BB353_490 Depth=1
	v_cmp_ne_u32_sdwa s0, v17, v26 src0_sel:BYTE_3 src1_sel:DWORD
	v_bfrev_b32_e32 v94, 1
	s_and_saveexec_b32 s21, s0
	s_cbranch_execz .LBB353_830
; %bb.825:                              ;   in Loop: Header=BB353_490 Depth=1
	v_bfe_u32 v20, v17, 24, 7
	v_mov_b32_e32 v94, 0x7f800001
	s_mov_b32 s22, exec_lo
	v_cmpx_ne_u32_e32 0x7f, v20
	s_cbranch_execz .LBB353_829
; %bb.826:                              ;   in Loop: Header=BB353_490 Depth=1
	v_and_b32_sdwa v9, v17, v39 dst_sel:DWORD dst_unused:UNUSED_PAD src0_sel:BYTE_3 src1_sel:DWORD
	v_lshrrev_b32_e32 v19, 3, v20
	s_mov_b32 s24, exec_lo
	v_cmpx_gt_u32_e32 8, v20
; %bb.827:                              ;   in Loop: Header=BB353_490 Depth=1
	v_ffbh_u32_e32 v0, v9
	v_min_u32_e32 v0, 32, v0
	v_subrev_nc_u32_e32 v19, 28, v0
	v_lshlrev_b64 v[94:95], v19, v[9:10]
	v_sub_nc_u32_e32 v19, 29, v0
	v_and_b32_e32 v9, 7, v94
; %bb.828:                              ;   in Loop: Header=BB353_490 Depth=1
	s_or_b32 exec_lo, exec_lo, s24
	v_lshlrev_b32_sdwa v0, v40, v17 dst_sel:DWORD dst_unused:UNUSED_PAD src0_sel:DWORD src1_sel:BYTE_3
	v_lshlrev_b32_e32 v9, 20, v9
	v_lshl_add_u32 v19, v19, 23, 0x3c000000
	v_and_b32_e32 v0, 0x80000000, v0
	v_or3_b32 v94, v9, v0, v19
.LBB353_829:                            ;   in Loop: Header=BB353_490 Depth=1
	s_or_b32 exec_lo, exec_lo, s22
.LBB353_830:                            ;   in Loop: Header=BB353_490 Depth=1
	s_or_b32 exec_lo, exec_lo, s21
.LBB353_831:                            ;   in Loop: Header=BB353_490 Depth=1
	s_or_b32 exec_lo, exec_lo, s18
	v_mov_b32_e32 v9, v18
	v_cmp_ne_u16_sdwa s0, v18, v10 src0_sel:BYTE_0 src1_sel:DWORD
	v_mov_b32_e32 v19, 0
	v_mov_b32_e32 v95, 0
	s_and_saveexec_b32 s18, s0
	s_cbranch_execz .LBB353_837
; %bb.832:                              ;   in Loop: Header=BB353_490 Depth=1
	v_cmp_ne_u16_sdwa s0, v18, v26 src0_sel:BYTE_0 src1_sel:DWORD
	v_bfrev_b32_e32 v95, 1
	s_and_saveexec_b32 s21, s0
	s_cbranch_execz .LBB353_836
; %bb.833:                              ;   in Loop: Header=BB353_490 Depth=1
	v_and_b32_e32 v20, 0x7f, v18
	v_mov_b32_e32 v95, 0x7f800001
	s_mov_b32 s22, exec_lo
	v_cmpx_ne_u32_e32 0x7f, v20
	s_cbranch_execz .LBB353_835
; %bb.834:                              ;   in Loop: Header=BB353_490 Depth=1
	v_and_b32_e32 v0, 7, v18
	v_cmp_gt_u32_e64 s0, 8, v20
	v_lshrrev_b32_e32 v35, 3, v20
	v_ffbh_u32_e32 v0, v0
	v_min_u32_e32 v0, 32, v0
	v_subrev_nc_u32_e32 v36, 28, v0
	v_sub_nc_u32_e32 v0, 29, v0
	v_cndmask_b32_e64 v20, 0, v36, s0
	v_cndmask_b32_e64 v0, v35, v0, s0
	v_lshlrev_b64 v[95:96], v20, v[9:10]
	v_lshlrev_b32_e32 v20, 24, v9
	v_lshl_add_u32 v0, v0, 23, 0x3c000000
	v_and_b32_e32 v20, 0x80000000, v20
	v_lshlrev_b32_e32 v35, 20, v95
	v_and_b32_e32 v35, 0x700000, v35
	v_or3_b32 v95, v35, v20, v0
.LBB353_835:                            ;   in Loop: Header=BB353_490 Depth=1
	s_or_b32 exec_lo, exec_lo, s22
.LBB353_836:                            ;   in Loop: Header=BB353_490 Depth=1
	s_or_b32 exec_lo, exec_lo, s21
.LBB353_837:                            ;   in Loop: Header=BB353_490 Depth=1
	s_or_b32 exec_lo, exec_lo, s18
	v_cmp_ne_u16_sdwa s0, v9, v10 src0_sel:BYTE_1 src1_sel:DWORD
	s_and_saveexec_b32 s18, s0
	s_cbranch_execz .LBB353_845
; %bb.838:                              ;   in Loop: Header=BB353_490 Depth=1
	v_cmp_ne_u16_sdwa s0, v9, v26 src0_sel:BYTE_1 src1_sel:DWORD
	v_bfrev_b32_e32 v19, 1
	s_and_saveexec_b32 s21, s0
	s_cbranch_execz .LBB353_844
; %bb.839:                              ;   in Loop: Header=BB353_490 Depth=1
	v_and_b32_sdwa v20, v33, v9 dst_sel:DWORD dst_unused:UNUSED_PAD src0_sel:DWORD src1_sel:BYTE_1
	v_mov_b32_e32 v19, 0x7f800001
	s_mov_b32 s22, exec_lo
	v_and_b32_e32 v97, 0x7f, v20
	v_cmpx_ne_u32_e32 0x7f, v97
	s_cbranch_execz .LBB353_843
; %bb.840:                              ;   in Loop: Header=BB353_490 Depth=1
	v_and_b32_e32 v19, 7, v20
	v_mov_b32_e32 v20, v10
	v_lshrrev_b32_e32 v96, 3, v97
	s_mov_b32 s24, exec_lo
	v_cmpx_gt_u32_e32 8, v97
; %bb.841:                              ;   in Loop: Header=BB353_490 Depth=1
	v_ffbh_u32_e32 v0, v19
	v_min_u32_e32 v0, 32, v0
	v_subrev_nc_u32_e32 v35, 28, v0
	v_sub_nc_u32_e32 v96, 29, v0
	v_lshlrev_b64 v[19:20], v35, v[19:20]
	v_and_b32_e32 v19, 7, v19
; %bb.842:                              ;   in Loop: Header=BB353_490 Depth=1
	s_or_b32 exec_lo, exec_lo, s24
	v_lshlrev_b32_e32 v0, 16, v9
	v_lshlrev_b32_e32 v9, 20, v19
	v_lshl_add_u32 v19, v96, 23, 0x3c000000
	v_and_b32_e32 v0, 0x80000000, v0
	v_or3_b32 v19, v9, v0, v19
.LBB353_843:                            ;   in Loop: Header=BB353_490 Depth=1
	s_or_b32 exec_lo, exec_lo, s22
.LBB353_844:                            ;   in Loop: Header=BB353_490 Depth=1
	s_or_b32 exec_lo, exec_lo, s21
.LBB353_845:                            ;   in Loop: Header=BB353_490 Depth=1
	s_or_b32 exec_lo, exec_lo, s18
	v_and_b32_sdwa v9, v18, v34 dst_sel:DWORD dst_unused:UNUSED_PAD src0_sel:WORD_1 src1_sel:DWORD
	v_mov_b32_e32 v96, 0
	v_mov_b32_e32 v97, 0
	s_mov_b32 s18, exec_lo
	v_cmpx_ne_u16_e32 0, v9
	s_cbranch_execz .LBB353_853
; %bb.846:                              ;   in Loop: Header=BB353_490 Depth=1
	v_bfrev_b32_e32 v97, 1
	s_mov_b32 s21, exec_lo
	v_cmpx_ne_u16_e32 0x80, v9
	s_cbranch_execz .LBB353_852
; %bb.847:                              ;   in Loop: Header=BB353_490 Depth=1
	v_bfe_u32 v98, v18, 16, 7
	v_mov_b32_e32 v97, 0x7f800001
	s_mov_b32 s22, exec_lo
	v_cmpx_ne_u32_e32 0x7f, v98
	s_cbranch_execz .LBB353_851
; %bb.848:                              ;   in Loop: Header=BB353_490 Depth=1
	v_and_b32_sdwa v9, v18, v39 dst_sel:DWORD dst_unused:UNUSED_PAD src0_sel:WORD_1 src1_sel:DWORD
	v_lshrrev_b32_e32 v20, 3, v98
	s_mov_b32 s24, exec_lo
	v_cmpx_gt_u32_e32 8, v98
; %bb.849:                              ;   in Loop: Header=BB353_490 Depth=1
	v_ffbh_u32_e32 v0, v9
	v_min_u32_e32 v0, 32, v0
	v_subrev_nc_u32_e32 v20, 28, v0
	v_lshlrev_b64 v[97:98], v20, v[9:10]
	v_sub_nc_u32_e32 v20, 29, v0
	v_and_b32_e32 v9, 7, v97
; %bb.850:                              ;   in Loop: Header=BB353_490 Depth=1
	s_or_b32 exec_lo, exec_lo, s24
	v_lshlrev_b32_sdwa v0, v40, v18 dst_sel:DWORD dst_unused:UNUSED_PAD src0_sel:DWORD src1_sel:WORD_1
	v_lshlrev_b32_e32 v9, 20, v9
	v_lshl_add_u32 v20, v20, 23, 0x3c000000
	v_and_b32_e32 v0, 0x80000000, v0
	v_or3_b32 v97, v9, v0, v20
.LBB353_851:                            ;   in Loop: Header=BB353_490 Depth=1
	s_or_b32 exec_lo, exec_lo, s22
.LBB353_852:                            ;   in Loop: Header=BB353_490 Depth=1
	s_or_b32 exec_lo, exec_lo, s21
.LBB353_853:                            ;   in Loop: Header=BB353_490 Depth=1
	s_or_b32 exec_lo, exec_lo, s18
	s_mov_b32 s18, exec_lo
	v_cmpx_lt_u64_e64 s[4:5], v[17:18]
	s_cbranch_execz .LBB353_861
; %bb.854:                              ;   in Loop: Header=BB353_490 Depth=1
	v_cmp_ne_u32_sdwa s0, v18, v26 src0_sel:BYTE_3 src1_sel:DWORD
	v_bfrev_b32_e32 v96, 1
	s_and_saveexec_b32 s21, s0
	s_cbranch_execz .LBB353_860
; %bb.855:                              ;   in Loop: Header=BB353_490 Depth=1
	v_bfe_u32 v20, v18, 24, 7
	v_mov_b32_e32 v96, 0x7f800001
	s_mov_b32 s22, exec_lo
	v_cmpx_ne_u32_e32 0x7f, v20
	s_cbranch_execz .LBB353_859
; %bb.856:                              ;   in Loop: Header=BB353_490 Depth=1
	v_and_b32_sdwa v9, v18, v39 dst_sel:DWORD dst_unused:UNUSED_PAD src0_sel:BYTE_3 src1_sel:DWORD
	v_lshrrev_b32_e32 v17, 3, v20
	s_mov_b32 s24, exec_lo
	v_cmpx_gt_u32_e32 8, v20
; %bb.857:                              ;   in Loop: Header=BB353_490 Depth=1
	v_ffbh_u32_e32 v0, v9
	v_min_u32_e32 v0, 32, v0
	v_subrev_nc_u32_e32 v17, 28, v0
	v_lshlrev_b64 v[98:99], v17, v[9:10]
	v_sub_nc_u32_e32 v17, 29, v0
	v_and_b32_e32 v9, 7, v98
; %bb.858:                              ;   in Loop: Header=BB353_490 Depth=1
	s_or_b32 exec_lo, exec_lo, s24
	v_lshlrev_b32_sdwa v0, v40, v18 dst_sel:DWORD dst_unused:UNUSED_PAD src0_sel:DWORD src1_sel:BYTE_3
	v_lshlrev_b32_e32 v9, 20, v9
	v_lshl_add_u32 v17, v17, 23, 0x3c000000
	v_and_b32_e32 v0, 0x80000000, v0
	v_or3_b32 v96, v9, v0, v17
.LBB353_859:                            ;   in Loop: Header=BB353_490 Depth=1
	s_or_b32 exec_lo, exec_lo, s22
.LBB353_860:                            ;   in Loop: Header=BB353_490 Depth=1
	s_or_b32 exec_lo, exec_lo, s21
.LBB353_861:                            ;   in Loop: Header=BB353_490 Depth=1
	s_or_b32 exec_lo, exec_lo, s18
	v_mul_f32_e32 v0, s17, v19
	v_mul_f32_e32 v9, s17, v95
	;; [unrolled: 1-line block ×4, first 2 shown]
	v_bfe_u32 v19, v0, 16, 1
	v_or_b32_e32 v20, 0x400000, v0
	v_bfe_u32 v35, v9, 16, 1
	v_cmp_u_f32_e64 s0, v0, v0
	v_or_b32_e32 v36, 0x400000, v9
	v_add3_u32 v19, v19, v0, 0x7fff
	v_bfe_u32 v37, v17, 16, 1
	v_add3_u32 v35, v35, v9, 0x7fff
	v_or_b32_e32 v93, 0x400000, v17
	v_bfe_u32 v94, v18, 16, 1
	v_cndmask_b32_e64 v0, v19, v20, s0
	v_cmp_u_f32_e64 s0, v9, v9
	v_add3_u32 v37, v37, v17, 0x7fff
	v_lshrrev_b32_e32 v20, 16, v0
	v_cndmask_b32_e64 v9, v35, v36, s0
	v_cmp_u_f32_e64 s0, v17, v17
	v_mul_f32_e32 v0, s17, v92
	v_add3_u32 v35, v94, v18, 0x7fff
	v_or_b32_e32 v36, 0x400000, v18
	v_lshrrev_b32_e32 v19, 16, v9
	v_cndmask_b32_e64 v17, v37, v93, s0
	v_bfe_u32 v9, v0, 16, 1
	v_cmp_u_f32_e64 s0, v18, v18
	v_mul_f32_e32 v18, s17, v91
	v_mul_f32_e32 v37, s17, v96
	v_lshrrev_b32_e32 v93, 16, v17
	v_add3_u32 v9, v9, v0, 0x7fff
	v_cndmask_b32_e64 v17, v35, v36, s0
	v_mul_f32_e32 v35, s17, v97
	v_or_b32_e32 v36, 0x400000, v0
	v_bfe_u32 v91, v18, 16, 1
	v_cmp_u_f32_e64 s0, v0, v0
	v_or_b32_e32 v95, 0x400000, v37
	v_bfe_u32 v92, v35, 16, 1
	v_or_b32_e32 v94, 0x400000, v35
	v_cndmask_b32_e64 v0, v9, v36, s0
	v_add3_u32 v36, v91, v18, 0x7fff
	v_or_b32_e32 v91, 0x400000, v18
	v_cmp_u_f32_e64 s0, v18, v18
	v_bfe_u32 v9, v37, 16, 1
	v_add3_u32 v92, v92, v35, 0x7fff
	v_lshrrev_b32_e32 v97, 16, v0
	v_cndmask_b32_e64 v18, v36, v91, s0
	v_cmp_u_f32_e64 s0, v35, v35
	v_add3_u32 v9, v9, v37, 0x7fff
	v_cndmask_b32_e64 v35, v92, v94, s0
	v_cmp_u_f32_e64 s0, v37, v37
	v_lshrrev_b32_e32 v94, 16, v17
	v_lshrrev_b32_e32 v91, 16, v35
	v_cndmask_b32_e64 v9, v9, v95, s0
	v_lshrrev_b32_e32 v95, 16, v18
	v_lshrrev_b32_e32 v92, 16, v9
	s_and_saveexec_b32 s18, vcc_lo
	s_cbranch_execz .LBB353_863
; %bb.862:                              ;   in Loop: Header=BB353_490 Depth=1
	v_cmp_gt_i32_e64 s0, s31, v51
	v_cndmask_b32_e64 v95, 0, v95, s0
	v_cmp_gt_i32_e64 s0, s31, v58
	v_cndmask_b32_e64 v97, 0, v97, s0
	;; [unrolled: 2-line block ×8, first 2 shown]
.LBB353_863:                            ;   in Loop: Header=BB353_490 Depth=1
	s_or_b32 exec_lo, exec_lo, s18
	global_load_dwordx2 v[15:16], v[15:16], off offset:1536
	v_mov_b32_e32 v98, 0
	v_mov_b32_e32 v96, 0
	s_waitcnt vmcnt(0)
	v_cmp_ne_u16_sdwa s0, v15, v10 src0_sel:BYTE_0 src1_sel:DWORD
	s_and_saveexec_b32 s18, s0
	s_cbranch_execz .LBB353_869
; %bb.864:                              ;   in Loop: Header=BB353_490 Depth=1
	v_cmp_ne_u16_sdwa s0, v15, v26 src0_sel:BYTE_0 src1_sel:DWORD
	v_bfrev_b32_e32 v96, 1
	s_and_saveexec_b32 s21, s0
	s_cbranch_execz .LBB353_868
; %bb.865:                              ;   in Loop: Header=BB353_490 Depth=1
	v_and_b32_e32 v9, 0x7f, v15
	v_mov_b32_e32 v96, 0x7f800001
	s_mov_b32 s22, exec_lo
	v_cmpx_ne_u32_e32 0x7f, v9
	s_cbranch_execz .LBB353_867
; %bb.866:                              ;   in Loop: Header=BB353_490 Depth=1
	v_and_b32_e32 v0, 7, v15
	v_cmp_gt_u32_e64 s0, 8, v9
	v_lshrrev_b32_e32 v17, 3, v9
	v_ffbh_u32_e32 v0, v0
	v_min_u32_e32 v0, 32, v0
	v_subrev_nc_u32_e32 v18, 28, v0
	v_sub_nc_u32_e32 v0, 29, v0
	v_cndmask_b32_e64 v9, 0, v18, s0
	v_cndmask_b32_e64 v0, v17, v0, s0
	v_lshlrev_b64 v[17:18], v9, v[15:16]
	v_lshlrev_b32_e32 v9, 24, v15
	v_lshl_add_u32 v0, v0, 23, 0x3c000000
	v_and_b32_e32 v9, 0x80000000, v9
	v_lshlrev_b32_e32 v17, 20, v17
	v_and_b32_e32 v17, 0x700000, v17
	v_or3_b32 v96, v17, v9, v0
.LBB353_867:                            ;   in Loop: Header=BB353_490 Depth=1
	s_or_b32 exec_lo, exec_lo, s22
.LBB353_868:                            ;   in Loop: Header=BB353_490 Depth=1
	s_or_b32 exec_lo, exec_lo, s21
.LBB353_869:                            ;   in Loop: Header=BB353_490 Depth=1
	s_or_b32 exec_lo, exec_lo, s18
	v_cmp_ne_u16_sdwa s0, v15, v10 src0_sel:BYTE_1 src1_sel:DWORD
	s_and_saveexec_b32 s18, s0
	s_cbranch_execz .LBB353_877
; %bb.870:                              ;   in Loop: Header=BB353_490 Depth=1
	v_cmp_ne_u16_sdwa s0, v15, v26 src0_sel:BYTE_1 src1_sel:DWORD
	v_bfrev_b32_e32 v98, 1
	s_and_saveexec_b32 s21, s0
	s_cbranch_execz .LBB353_876
; %bb.871:                              ;   in Loop: Header=BB353_490 Depth=1
	v_and_b32_sdwa v9, v33, v15 dst_sel:DWORD dst_unused:UNUSED_PAD src0_sel:DWORD src1_sel:BYTE_1
	v_mov_b32_e32 v98, 0x7f800001
	s_mov_b32 s22, exec_lo
	v_and_b32_e32 v18, 0x7f, v9
	v_cmpx_ne_u32_e32 0x7f, v18
	s_cbranch_execz .LBB353_875
; %bb.872:                              ;   in Loop: Header=BB353_490 Depth=1
	v_and_b32_e32 v9, 7, v9
	v_lshrrev_b32_e32 v17, 3, v18
	s_mov_b32 s24, exec_lo
	v_cmpx_gt_u32_e32 8, v18
; %bb.873:                              ;   in Loop: Header=BB353_490 Depth=1
	v_ffbh_u32_e32 v0, v9
	v_min_u32_e32 v0, 32, v0
	v_subrev_nc_u32_e32 v17, 28, v0
	v_lshlrev_b64 v[98:99], v17, v[9:10]
	v_sub_nc_u32_e32 v17, 29, v0
	v_and_b32_e32 v9, 7, v98
; %bb.874:                              ;   in Loop: Header=BB353_490 Depth=1
	s_or_b32 exec_lo, exec_lo, s24
	v_lshlrev_b32_e32 v0, 16, v15
	v_lshlrev_b32_e32 v9, 20, v9
	v_lshl_add_u32 v17, v17, 23, 0x3c000000
	v_and_b32_e32 v0, 0x80000000, v0
	v_or3_b32 v98, v9, v0, v17
.LBB353_875:                            ;   in Loop: Header=BB353_490 Depth=1
	s_or_b32 exec_lo, exec_lo, s22
.LBB353_876:                            ;   in Loop: Header=BB353_490 Depth=1
	s_or_b32 exec_lo, exec_lo, s21
.LBB353_877:                            ;   in Loop: Header=BB353_490 Depth=1
	s_or_b32 exec_lo, exec_lo, s18
	v_and_b32_sdwa v9, v15, v34 dst_sel:DWORD dst_unused:UNUSED_PAD src0_sel:WORD_1 src1_sel:DWORD
	v_mov_b32_e32 v100, 0
	v_mov_b32_e32 v99, 0
	s_mov_b32 s18, exec_lo
	v_cmpx_ne_u16_e32 0, v9
	s_cbranch_execz .LBB353_885
; %bb.878:                              ;   in Loop: Header=BB353_490 Depth=1
	v_bfrev_b32_e32 v99, 1
	s_mov_b32 s21, exec_lo
	v_cmpx_ne_u16_e32 0x80, v9
	s_cbranch_execz .LBB353_884
; %bb.879:                              ;   in Loop: Header=BB353_490 Depth=1
	v_bfe_u32 v18, v15, 16, 7
	v_mov_b32_e32 v99, 0x7f800001
	s_mov_b32 s22, exec_lo
	v_cmpx_ne_u32_e32 0x7f, v18
	s_cbranch_execz .LBB353_883
; %bb.880:                              ;   in Loop: Header=BB353_490 Depth=1
	v_and_b32_sdwa v9, v15, v39 dst_sel:DWORD dst_unused:UNUSED_PAD src0_sel:WORD_1 src1_sel:DWORD
	v_lshrrev_b32_e32 v17, 3, v18
	s_mov_b32 s24, exec_lo
	v_cmpx_gt_u32_e32 8, v18
; %bb.881:                              ;   in Loop: Header=BB353_490 Depth=1
	v_ffbh_u32_e32 v0, v9
	v_min_u32_e32 v0, 32, v0
	v_subrev_nc_u32_e32 v17, 28, v0
	v_lshlrev_b64 v[101:102], v17, v[9:10]
	v_sub_nc_u32_e32 v17, 29, v0
	v_and_b32_e32 v9, 7, v101
; %bb.882:                              ;   in Loop: Header=BB353_490 Depth=1
	s_or_b32 exec_lo, exec_lo, s24
	v_lshlrev_b32_sdwa v0, v40, v15 dst_sel:DWORD dst_unused:UNUSED_PAD src0_sel:DWORD src1_sel:WORD_1
	v_lshlrev_b32_e32 v9, 20, v9
	v_lshl_add_u32 v17, v17, 23, 0x3c000000
	v_and_b32_e32 v0, 0x80000000, v0
	v_or3_b32 v99, v9, v0, v17
.LBB353_883:                            ;   in Loop: Header=BB353_490 Depth=1
	s_or_b32 exec_lo, exec_lo, s22
.LBB353_884:                            ;   in Loop: Header=BB353_490 Depth=1
	s_or_b32 exec_lo, exec_lo, s21
.LBB353_885:                            ;   in Loop: Header=BB353_490 Depth=1
	s_or_b32 exec_lo, exec_lo, s18
	s_mov_b32 s18, exec_lo
	v_cmpx_lt_u32_e32 0xffffff, v15
	s_cbranch_execz .LBB353_893
; %bb.886:                              ;   in Loop: Header=BB353_490 Depth=1
	v_cmp_ne_u32_sdwa s0, v15, v26 src0_sel:BYTE_3 src1_sel:DWORD
	v_bfrev_b32_e32 v100, 1
	s_and_saveexec_b32 s21, s0
	s_cbranch_execz .LBB353_892
; %bb.887:                              ;   in Loop: Header=BB353_490 Depth=1
	v_bfe_u32 v18, v15, 24, 7
	v_mov_b32_e32 v100, 0x7f800001
	s_mov_b32 s22, exec_lo
	v_cmpx_ne_u32_e32 0x7f, v18
	s_cbranch_execz .LBB353_891
; %bb.888:                              ;   in Loop: Header=BB353_490 Depth=1
	v_and_b32_sdwa v9, v15, v39 dst_sel:DWORD dst_unused:UNUSED_PAD src0_sel:BYTE_3 src1_sel:DWORD
	v_lshrrev_b32_e32 v17, 3, v18
	s_mov_b32 s24, exec_lo
	v_cmpx_gt_u32_e32 8, v18
; %bb.889:                              ;   in Loop: Header=BB353_490 Depth=1
	v_ffbh_u32_e32 v0, v9
	v_min_u32_e32 v0, 32, v0
	v_subrev_nc_u32_e32 v17, 28, v0
	v_lshlrev_b64 v[100:101], v17, v[9:10]
	v_sub_nc_u32_e32 v17, 29, v0
	v_and_b32_e32 v9, 7, v100
; %bb.890:                              ;   in Loop: Header=BB353_490 Depth=1
	s_or_b32 exec_lo, exec_lo, s24
	v_lshlrev_b32_sdwa v0, v40, v15 dst_sel:DWORD dst_unused:UNUSED_PAD src0_sel:DWORD src1_sel:BYTE_3
	v_lshlrev_b32_e32 v9, 20, v9
	v_lshl_add_u32 v17, v17, 23, 0x3c000000
	v_and_b32_e32 v0, 0x80000000, v0
	v_or3_b32 v100, v9, v0, v17
.LBB353_891:                            ;   in Loop: Header=BB353_490 Depth=1
	s_or_b32 exec_lo, exec_lo, s22
.LBB353_892:                            ;   in Loop: Header=BB353_490 Depth=1
	s_or_b32 exec_lo, exec_lo, s21
.LBB353_893:                            ;   in Loop: Header=BB353_490 Depth=1
	s_or_b32 exec_lo, exec_lo, s18
	v_mov_b32_e32 v9, v16
	v_cmp_ne_u16_sdwa s0, v16, v10 src0_sel:BYTE_0 src1_sel:DWORD
	v_mov_b32_e32 v17, 0
	v_mov_b32_e32 v101, 0
	s_and_saveexec_b32 s18, s0
	s_cbranch_execz .LBB353_899
; %bb.894:                              ;   in Loop: Header=BB353_490 Depth=1
	v_cmp_ne_u16_sdwa s0, v16, v26 src0_sel:BYTE_0 src1_sel:DWORD
	v_bfrev_b32_e32 v101, 1
	s_and_saveexec_b32 s21, s0
	s_cbranch_execz .LBB353_898
; %bb.895:                              ;   in Loop: Header=BB353_490 Depth=1
	v_and_b32_e32 v18, 0x7f, v16
	v_mov_b32_e32 v101, 0x7f800001
	s_mov_b32 s22, exec_lo
	v_cmpx_ne_u32_e32 0x7f, v18
	s_cbranch_execz .LBB353_897
; %bb.896:                              ;   in Loop: Header=BB353_490 Depth=1
	v_and_b32_e32 v0, 7, v16
	v_cmp_gt_u32_e64 s0, 8, v18
	v_lshrrev_b32_e32 v35, 3, v18
	v_ffbh_u32_e32 v0, v0
	v_min_u32_e32 v0, 32, v0
	v_subrev_nc_u32_e32 v36, 28, v0
	v_sub_nc_u32_e32 v0, 29, v0
	v_cndmask_b32_e64 v18, 0, v36, s0
	v_cndmask_b32_e64 v0, v35, v0, s0
	v_lshlrev_b64 v[101:102], v18, v[9:10]
	v_lshlrev_b32_e32 v18, 24, v9
	v_lshl_add_u32 v0, v0, 23, 0x3c000000
	v_and_b32_e32 v18, 0x80000000, v18
	v_lshlrev_b32_e32 v35, 20, v101
	v_and_b32_e32 v35, 0x700000, v35
	v_or3_b32 v101, v35, v18, v0
.LBB353_897:                            ;   in Loop: Header=BB353_490 Depth=1
	s_or_b32 exec_lo, exec_lo, s22
.LBB353_898:                            ;   in Loop: Header=BB353_490 Depth=1
	s_or_b32 exec_lo, exec_lo, s21
.LBB353_899:                            ;   in Loop: Header=BB353_490 Depth=1
	s_or_b32 exec_lo, exec_lo, s18
	v_cmp_ne_u16_sdwa s0, v9, v10 src0_sel:BYTE_1 src1_sel:DWORD
	s_and_saveexec_b32 s18, s0
	s_cbranch_execz .LBB353_907
; %bb.900:                              ;   in Loop: Header=BB353_490 Depth=1
	v_cmp_ne_u16_sdwa s0, v9, v26 src0_sel:BYTE_1 src1_sel:DWORD
	v_bfrev_b32_e32 v17, 1
	s_and_saveexec_b32 s21, s0
	s_cbranch_execz .LBB353_906
; %bb.901:                              ;   in Loop: Header=BB353_490 Depth=1
	v_and_b32_sdwa v18, v33, v9 dst_sel:DWORD dst_unused:UNUSED_PAD src0_sel:DWORD src1_sel:BYTE_1
	v_mov_b32_e32 v17, 0x7f800001
	s_mov_b32 s22, exec_lo
	v_and_b32_e32 v103, 0x7f, v18
	v_cmpx_ne_u32_e32 0x7f, v103
	s_cbranch_execz .LBB353_905
; %bb.902:                              ;   in Loop: Header=BB353_490 Depth=1
	v_and_b32_e32 v17, 7, v18
	v_mov_b32_e32 v18, v10
	v_lshrrev_b32_e32 v102, 3, v103
	s_mov_b32 s24, exec_lo
	v_cmpx_gt_u32_e32 8, v103
; %bb.903:                              ;   in Loop: Header=BB353_490 Depth=1
	v_ffbh_u32_e32 v0, v17
	v_min_u32_e32 v0, 32, v0
	v_subrev_nc_u32_e32 v35, 28, v0
	v_sub_nc_u32_e32 v102, 29, v0
	v_lshlrev_b64 v[17:18], v35, v[17:18]
	v_and_b32_e32 v17, 7, v17
; %bb.904:                              ;   in Loop: Header=BB353_490 Depth=1
	s_or_b32 exec_lo, exec_lo, s24
	v_lshlrev_b32_e32 v0, 16, v9
	v_lshlrev_b32_e32 v9, 20, v17
	v_lshl_add_u32 v17, v102, 23, 0x3c000000
	v_and_b32_e32 v0, 0x80000000, v0
	v_or3_b32 v17, v9, v0, v17
.LBB353_905:                            ;   in Loop: Header=BB353_490 Depth=1
	s_or_b32 exec_lo, exec_lo, s22
.LBB353_906:                            ;   in Loop: Header=BB353_490 Depth=1
	s_or_b32 exec_lo, exec_lo, s21
.LBB353_907:                            ;   in Loop: Header=BB353_490 Depth=1
	s_or_b32 exec_lo, exec_lo, s18
	v_and_b32_sdwa v9, v16, v34 dst_sel:DWORD dst_unused:UNUSED_PAD src0_sel:WORD_1 src1_sel:DWORD
	v_mov_b32_e32 v18, 0
	v_mov_b32_e32 v102, 0
	s_mov_b32 s18, exec_lo
	v_cmpx_ne_u16_e32 0, v9
	s_cbranch_execz .LBB353_915
; %bb.908:                              ;   in Loop: Header=BB353_490 Depth=1
	v_bfrev_b32_e32 v102, 1
	s_mov_b32 s21, exec_lo
	v_cmpx_ne_u16_e32 0x80, v9
	s_cbranch_execz .LBB353_914
; %bb.909:                              ;   in Loop: Header=BB353_490 Depth=1
	v_bfe_u32 v103, v16, 16, 7
	v_mov_b32_e32 v102, 0x7f800001
	s_mov_b32 s22, exec_lo
	v_cmpx_ne_u32_e32 0x7f, v103
	s_cbranch_execz .LBB353_913
; %bb.910:                              ;   in Loop: Header=BB353_490 Depth=1
	v_and_b32_sdwa v9, v16, v39 dst_sel:DWORD dst_unused:UNUSED_PAD src0_sel:WORD_1 src1_sel:DWORD
	v_lshrrev_b32_e32 v102, 3, v103
	s_mov_b32 s24, exec_lo
	v_cmpx_gt_u32_e32 8, v103
; %bb.911:                              ;   in Loop: Header=BB353_490 Depth=1
	v_ffbh_u32_e32 v0, v9
	v_min_u32_e32 v0, 32, v0
	v_subrev_nc_u32_e32 v35, 28, v0
	v_sub_nc_u32_e32 v102, 29, v0
	v_lshlrev_b64 v[103:104], v35, v[9:10]
	v_and_b32_e32 v9, 7, v103
; %bb.912:                              ;   in Loop: Header=BB353_490 Depth=1
	s_or_b32 exec_lo, exec_lo, s24
	v_lshlrev_b32_sdwa v0, v40, v16 dst_sel:DWORD dst_unused:UNUSED_PAD src0_sel:DWORD src1_sel:WORD_1
	v_lshlrev_b32_e32 v9, 20, v9
	v_lshl_add_u32 v35, v102, 23, 0x3c000000
	v_and_b32_e32 v0, 0x80000000, v0
	v_or3_b32 v102, v9, v0, v35
.LBB353_913:                            ;   in Loop: Header=BB353_490 Depth=1
	s_or_b32 exec_lo, exec_lo, s22
.LBB353_914:                            ;   in Loop: Header=BB353_490 Depth=1
	s_or_b32 exec_lo, exec_lo, s21
.LBB353_915:                            ;   in Loop: Header=BB353_490 Depth=1
	s_or_b32 exec_lo, exec_lo, s18
	s_mov_b32 s18, exec_lo
	v_cmpx_lt_u64_e64 s[4:5], v[15:16]
	s_cbranch_execz .LBB353_923
; %bb.916:                              ;   in Loop: Header=BB353_490 Depth=1
	v_cmp_ne_u32_sdwa s0, v16, v26 src0_sel:BYTE_3 src1_sel:DWORD
	v_bfrev_b32_e32 v18, 1
	s_and_saveexec_b32 s21, s0
	s_cbranch_execz .LBB353_922
; %bb.917:                              ;   in Loop: Header=BB353_490 Depth=1
	v_bfe_u32 v103, v16, 24, 7
	v_mov_b32_e32 v18, 0x7f800001
	s_mov_b32 s22, exec_lo
	v_cmpx_ne_u32_e32 0x7f, v103
	s_cbranch_execz .LBB353_921
; %bb.918:                              ;   in Loop: Header=BB353_490 Depth=1
	v_and_b32_sdwa v9, v16, v39 dst_sel:DWORD dst_unused:UNUSED_PAD src0_sel:BYTE_3 src1_sel:DWORD
	v_lshrrev_b32_e32 v15, 3, v103
	s_mov_b32 s24, exec_lo
	v_cmpx_gt_u32_e32 8, v103
; %bb.919:                              ;   in Loop: Header=BB353_490 Depth=1
	v_ffbh_u32_e32 v0, v9
	v_min_u32_e32 v0, 32, v0
	v_subrev_nc_u32_e32 v15, 28, v0
	v_lshlrev_b64 v[103:104], v15, v[9:10]
	v_sub_nc_u32_e32 v15, 29, v0
	v_and_b32_e32 v9, 7, v103
; %bb.920:                              ;   in Loop: Header=BB353_490 Depth=1
	s_or_b32 exec_lo, exec_lo, s24
	v_lshlrev_b32_sdwa v0, v40, v16 dst_sel:DWORD dst_unused:UNUSED_PAD src0_sel:DWORD src1_sel:BYTE_3
	v_lshlrev_b32_e32 v9, 20, v9
	v_lshl_add_u32 v15, v15, 23, 0x3c000000
	v_and_b32_e32 v0, 0x80000000, v0
	v_or3_b32 v18, v9, v0, v15
.LBB353_921:                            ;   in Loop: Header=BB353_490 Depth=1
	s_or_b32 exec_lo, exec_lo, s22
.LBB353_922:                            ;   in Loop: Header=BB353_490 Depth=1
	s_or_b32 exec_lo, exec_lo, s21
.LBB353_923:                            ;   in Loop: Header=BB353_490 Depth=1
	s_or_b32 exec_lo, exec_lo, s18
	v_mul_f32_e32 v0, s17, v17
	v_mul_f32_e32 v9, s17, v101
	;; [unrolled: 1-line block ×5, first 2 shown]
	v_bfe_u32 v16, v0, 16, 1
	v_or_b32_e32 v35, 0x400000, v0
	v_bfe_u32 v36, v9, 16, 1
	v_cmp_u_f32_e64 s0, v0, v0
	v_or_b32_e32 v37, 0x400000, v9
	v_add3_u32 v16, v16, v0, 0x7fff
	v_bfe_u32 v99, v15, 16, 1
	v_add3_u32 v36, v36, v9, 0x7fff
	v_or_b32_e32 v100, 0x400000, v15
	v_bfe_u32 v101, v17, 16, 1
	v_cndmask_b32_e64 v0, v16, v35, s0
	v_cmp_u_f32_e64 s0, v9, v9
	v_add3_u32 v99, v99, v15, 0x7fff
	v_lshrrev_b32_e32 v9, 16, v0
	v_cndmask_b32_e64 v16, v36, v37, s0
	v_cmp_u_f32_e64 s0, v15, v15
	v_mul_f32_e32 v0, s17, v98
	v_add3_u32 v36, v101, v17, 0x7fff
	v_or_b32_e32 v37, 0x400000, v17
	v_lshrrev_b32_e32 v15, 16, v16
	v_cndmask_b32_e64 v35, v99, v100, s0
	v_cmp_u_f32_e64 s0, v17, v17
	v_or_b32_e32 v101, 0x400000, v18
	v_lshrrev_b32_e32 v16, 16, v35
	v_bfe_u32 v35, v0, 16, 1
	v_cndmask_b32_e64 v17, v36, v37, s0
	v_mul_f32_e32 v36, s17, v96
	v_mul_f32_e32 v37, s17, v102
	v_or_b32_e32 v96, 0x400000, v0
	v_add3_u32 v35, v35, v0, 0x7fff
	v_cmp_u_f32_e64 s0, v0, v0
	v_bfe_u32 v98, v36, 16, 1
	v_bfe_u32 v99, v37, 16, 1
	v_or_b32_e32 v100, 0x400000, v37
	v_cndmask_b32_e64 v0, v35, v96, s0
	v_add3_u32 v96, v98, v36, 0x7fff
	v_or_b32_e32 v98, 0x400000, v36
	v_cmp_u_f32_e64 s0, v36, v36
	v_bfe_u32 v35, v18, 16, 1
	v_add3_u32 v99, v99, v37, 0x7fff
	v_cndmask_b32_e64 v36, v96, v98, s0
	v_cmp_u_f32_e64 s0, v37, v37
	v_add3_u32 v35, v35, v18, 0x7fff
	v_lshrrev_b32_e32 v96, 16, v17
	v_lshrrev_b32_e32 v98, 16, v0
	v_cndmask_b32_e64 v37, v99, v100, s0
	v_cmp_u_f32_e64 s0, v18, v18
	v_lshrrev_b32_e32 v99, 16, v36
	v_lshrrev_b32_e32 v18, 16, v37
	v_cndmask_b32_e64 v35, v35, v101, s0
	v_lshrrev_b32_e32 v17, 16, v35
	s_and_saveexec_b32 s0, vcc_lo
	s_cbranch_execz .LBB353_488
; %bb.924:                              ;   in Loop: Header=BB353_490 Depth=1
	v_cmp_gt_i32_e32 vcc_lo, s31, v51
	v_cndmask_b32_e32 v99, 0, v99, vcc_lo
	v_cmp_gt_i32_e32 vcc_lo, s31, v58
	v_cndmask_b32_e32 v98, 0, v98, vcc_lo
	;; [unrolled: 2-line block ×8, first 2 shown]
	s_branch .LBB353_488
.LBB353_925:
	s_or_b32 exec_lo, exec_lo, s12
	buffer_load_dword v17, off, s[56:59], 0 offset:20 ; 4-byte Folded Reload
.LBB353_926:
	s_or_b32 exec_lo, exec_lo, s1
	buffer_load_dword v4, off, s[56:59], 0 offset:16 ; 4-byte Folded Reload
	ds_bpermute_b32 v0, v22, v32
	ds_bpermute_b32 v1, v22, v30
	;; [unrolled: 1-line block ×7, first 2 shown]
	v_lshrrev_b32_e32 v8, 1, v21
	s_waitcnt vmcnt(1)
	v_and_b32_e32 v14, 0x3c1, v17
	s_mov_b32 s0, exec_lo
	s_waitcnt vmcnt(0) lgkmcnt(0)
	s_waitcnt_vscnt null, 0x0
	s_barrier
	v_lshl_add_u32 v9, v8, 2, 0x100
	buffer_gl0_inv
	v_add_f32_e32 v7, v32, v0
	v_add_f32_e32 v6, v30, v1
	;; [unrolled: 1-line block ×5, first 2 shown]
	v_mul_u32_u24_e32 v10, 0x1c0, v4
	v_add_f32_e32 v4, v28, v3
	v_add_f32_e32 v3, v27, v11
	v_cmpx_eq_u32_e32 64, v14
	s_cbranch_execz .LBB353_928
; %bb.927:
	v_add_nc_u32_e32 v0, v9, v10
	v_add_nc_u32_e32 v11, 0xfffffc80, v0
	;; [unrolled: 1-line block ×8, first 2 shown]
	ds_write_b32 v11, v7
	ds_write_b32 v12, v6
	;; [unrolled: 1-line block ×7, first 2 shown]
.LBB353_928:
	s_or_b32 exec_lo, exec_lo, s0
	v_lshlrev_b32_e32 v0, 2, v8
	buffer_load_dword v8, off, s[56:59], 0 offset:24 ; 4-byte Folded Reload
	s_mov_b32 s1, exec_lo
	s_waitcnt vmcnt(0) lgkmcnt(0)
	s_barrier
	buffer_gl0_inv
	v_cmp_eq_u32_e32 vcc_lo, 0, v8
	v_add3_u32 v8, 0x100, v10, v0
	v_cmpx_gt_u32_e32 64, v17
	s_cbranch_execz .LBB353_938
; %bb.929:
	s_and_saveexec_b32 s0, vcc_lo
	s_cbranch_execnz .LBB353_953
; %bb.930:
	s_or_b32 exec_lo, exec_lo, s0
	s_and_saveexec_b32 s0, vcc_lo
	s_cbranch_execnz .LBB353_954
.LBB353_931:
	s_or_b32 exec_lo, exec_lo, s0
	s_and_saveexec_b32 s0, vcc_lo
	s_cbranch_execnz .LBB353_955
.LBB353_932:
	s_or_b32 exec_lo, exec_lo, s0
	s_and_saveexec_b32 s0, vcc_lo
	s_cbranch_execnz .LBB353_956
.LBB353_933:
	s_or_b32 exec_lo, exec_lo, s0
	s_and_saveexec_b32 s0, vcc_lo
	s_cbranch_execnz .LBB353_957
.LBB353_934:
	s_or_b32 exec_lo, exec_lo, s0
	s_and_saveexec_b32 s0, vcc_lo
	s_cbranch_execnz .LBB353_958
.LBB353_935:
	s_or_b32 exec_lo, exec_lo, s0
	s_and_saveexec_b32 s0, vcc_lo
	s_cbranch_execz .LBB353_937
.LBB353_936:
	ds_read_b32 v0, v8 offset:384
	s_waitcnt lgkmcnt(0)
	v_add_f32_e32 v1, v1, v0
.LBB353_937:
	s_or_b32 exec_lo, exec_lo, s0
.LBB353_938:
	s_or_b32 exec_lo, exec_lo, s1
	v_and_b32_e32 v10, 0x3e1, v17
	s_mov_b32 s1, exec_lo
	s_barrier
	buffer_gl0_inv
	v_cmpx_eq_u32_e32 32, v10
	s_cbranch_execz .LBB353_940
; %bb.939:
	ds_write2_b32 v9, v7, v6 offset1:16
	ds_write2_b32 v9, v5, v4 offset0:32 offset1:48
	ds_write2_b32 v9, v3, v2 offset0:64 offset1:80
	ds_write_b32 v9, v1 offset:384
.LBB353_940:
	s_or_b32 exec_lo, exec_lo, s1
	s_mov_b32 s1, exec_lo
	s_waitcnt lgkmcnt(0)
	s_barrier
	buffer_gl0_inv
	v_cmpx_gt_u32_e32 32, v17
	s_cbranch_execz .LBB353_950
; %bb.941:
	s_and_saveexec_b32 s0, vcc_lo
	s_cbranch_execnz .LBB353_959
; %bb.942:
	s_or_b32 exec_lo, exec_lo, s0
	s_and_saveexec_b32 s0, vcc_lo
	s_cbranch_execnz .LBB353_960
.LBB353_943:
	s_or_b32 exec_lo, exec_lo, s0
	s_and_saveexec_b32 s0, vcc_lo
	s_cbranch_execnz .LBB353_961
.LBB353_944:
	s_or_b32 exec_lo, exec_lo, s0
	s_and_saveexec_b32 s0, vcc_lo
	s_cbranch_execnz .LBB353_962
.LBB353_945:
	s_or_b32 exec_lo, exec_lo, s0
	s_and_saveexec_b32 s0, vcc_lo
	s_cbranch_execnz .LBB353_963
.LBB353_946:
	s_or_b32 exec_lo, exec_lo, s0
	s_and_saveexec_b32 s0, vcc_lo
	s_cbranch_execnz .LBB353_964
.LBB353_947:
	s_or_b32 exec_lo, exec_lo, s0
	s_and_saveexec_b32 s0, vcc_lo
	s_cbranch_execz .LBB353_949
.LBB353_948:
	ds_read_b32 v0, v8 offset:384
	s_waitcnt lgkmcnt(0)
	v_add_f32_e32 v1, v1, v0
.LBB353_949:
	s_or_b32 exec_lo, exec_lo, s0
.LBB353_950:
	s_or_b32 exec_lo, exec_lo, s1
	s_barrier
	buffer_gl0_inv
	s_mov_b32 s0, exec_lo
	v_cmpx_eq_u32_e32 0, v10
	s_cbranch_execz .LBB353_952
; %bb.951:
	buffer_load_dword v10, off, s[56:59], 0 offset:28 ; 4-byte Folded Reload
	s_mul_i32 s0, s2, 0x70
	v_bfe_u32 v0, v7, 16, 1
	s_ashr_i32 s1, s0, 31
	s_mul_i32 s2, s7, s10
	s_lshl_b64 s[0:1], s[0:1], 1
	v_bfe_u32 v8, v6, 16, 1
	s_add_u32 s4, s28, s0
	s_addc_u32 s1, s29, s1
	s_ashr_i32 s3, s2, 31
	v_add3_u32 v0, v0, v7, 0x7fff
	s_lshl_b64 s[2:3], s[2:3], 1
	v_or_b32_e32 v9, 0x400000, v7
	v_cmp_u_f32_e32 vcc_lo, v7, v7
	s_mul_i32 s0, s8, 0x70
	s_add_u32 s2, s4, s2
	s_addc_u32 s3, s1, s3
	s_ashr_i32 s1, s0, 31
	v_add3_u32 v8, v8, v6, 0x7fff
	s_lshl_b64 s[0:1], s[0:1], 1
	v_or_b32_e32 v11, 0x400000, v6
	v_cndmask_b32_e32 v0, v0, v9, vcc_lo
	v_bfe_u32 v7, v5, 16, 1
	v_cmp_u_f32_e32 vcc_lo, v6, v6
	s_add_u32 s0, s2, s0
	s_addc_u32 s1, s3, s1
	v_or_b32_e32 v9, 0x400000, v2
	v_cndmask_b32_e32 v6, v8, v11, vcc_lo
	v_bfe_u32 v8, v4, 16, 1
	v_cmp_u_f32_e32 vcc_lo, v5, v5
	v_or_b32_e32 v11, 0x400000, v1
	s_waitcnt vmcnt(0)
	v_lshlrev_b32_e32 v10, 1, v10
	global_store_short_d16_hi v10, v0, s[0:1]
	v_add3_u32 v0, v7, v5, 0x7fff
	v_or_b32_e32 v7, 0x400000, v5
	global_store_short_d16_hi v10, v6, s[0:1] offset:32
	v_add3_u32 v6, v8, v4, 0x7fff
	v_or_b32_e32 v8, 0x400000, v4
	v_bfe_u32 v5, v3, 16, 1
	v_cndmask_b32_e32 v0, v0, v7, vcc_lo
	v_cmp_u_f32_e32 vcc_lo, v4, v4
	v_bfe_u32 v7, v2, 16, 1
	v_add3_u32 v5, v5, v3, 0x7fff
	v_cndmask_b32_e32 v4, v6, v8, vcc_lo
	v_or_b32_e32 v8, 0x400000, v3
	v_cmp_u_f32_e32 vcc_lo, v3, v3
	v_bfe_u32 v6, v1, 16, 1
	v_add3_u32 v7, v7, v2, 0x7fff
	v_cndmask_b32_e32 v3, v5, v8, vcc_lo
	v_cmp_u_f32_e32 vcc_lo, v2, v2
	v_add3_u32 v6, v6, v1, 0x7fff
	v_cndmask_b32_e32 v2, v7, v9, vcc_lo
	v_cmp_u_f32_e32 vcc_lo, v1, v1
	v_cndmask_b32_e32 v1, v6, v11, vcc_lo
	global_store_short_d16_hi v10, v0, s[0:1] offset:64
	global_store_short_d16_hi v10, v4, s[0:1] offset:96
	global_store_short_d16_hi v10, v3, s[0:1] offset:128
	global_store_short_d16_hi v10, v2, s[0:1] offset:160
	global_store_short_d16_hi v10, v1, s[0:1] offset:192
.LBB353_952:
	s_endpgm
.LBB353_953:
	ds_read_b32 v0, v8
	s_waitcnt lgkmcnt(0)
	v_add_f32_e32 v7, v7, v0
	s_or_b32 exec_lo, exec_lo, s0
	s_and_saveexec_b32 s0, vcc_lo
	s_cbranch_execz .LBB353_931
.LBB353_954:
	ds_read_b32 v0, v8 offset:64
	s_waitcnt lgkmcnt(0)
	v_add_f32_e32 v6, v6, v0
	s_or_b32 exec_lo, exec_lo, s0
	s_and_saveexec_b32 s0, vcc_lo
	s_cbranch_execz .LBB353_932
.LBB353_955:
	ds_read_b32 v0, v8 offset:128
	s_waitcnt lgkmcnt(0)
	v_add_f32_e32 v5, v5, v0
	s_or_b32 exec_lo, exec_lo, s0
	s_and_saveexec_b32 s0, vcc_lo
	s_cbranch_execz .LBB353_933
.LBB353_956:
	ds_read_b32 v0, v8 offset:192
	s_waitcnt lgkmcnt(0)
	v_add_f32_e32 v4, v4, v0
	s_or_b32 exec_lo, exec_lo, s0
	s_and_saveexec_b32 s0, vcc_lo
	s_cbranch_execz .LBB353_934
.LBB353_957:
	ds_read_b32 v0, v8 offset:256
	s_waitcnt lgkmcnt(0)
	v_add_f32_e32 v3, v3, v0
	s_or_b32 exec_lo, exec_lo, s0
	s_and_saveexec_b32 s0, vcc_lo
	s_cbranch_execz .LBB353_935
.LBB353_958:
	ds_read_b32 v0, v8 offset:320
	s_waitcnt lgkmcnt(0)
	v_add_f32_e32 v2, v2, v0
	s_or_b32 exec_lo, exec_lo, s0
	s_and_saveexec_b32 s0, vcc_lo
	s_cbranch_execnz .LBB353_936
	s_branch .LBB353_937
.LBB353_959:
	ds_read_b32 v0, v8
	s_waitcnt lgkmcnt(0)
	v_add_f32_e32 v7, v7, v0
	s_or_b32 exec_lo, exec_lo, s0
	s_and_saveexec_b32 s0, vcc_lo
	s_cbranch_execz .LBB353_943
.LBB353_960:
	ds_read_b32 v0, v8 offset:64
	s_waitcnt lgkmcnt(0)
	v_add_f32_e32 v6, v6, v0
	s_or_b32 exec_lo, exec_lo, s0
	s_and_saveexec_b32 s0, vcc_lo
	s_cbranch_execz .LBB353_944
.LBB353_961:
	ds_read_b32 v0, v8 offset:128
	s_waitcnt lgkmcnt(0)
	v_add_f32_e32 v5, v5, v0
	s_or_b32 exec_lo, exec_lo, s0
	s_and_saveexec_b32 s0, vcc_lo
	s_cbranch_execz .LBB353_945
.LBB353_962:
	ds_read_b32 v0, v8 offset:192
	s_waitcnt lgkmcnt(0)
	v_add_f32_e32 v4, v4, v0
	s_or_b32 exec_lo, exec_lo, s0
	s_and_saveexec_b32 s0, vcc_lo
	s_cbranch_execz .LBB353_946
.LBB353_963:
	ds_read_b32 v0, v8 offset:256
	s_waitcnt lgkmcnt(0)
	v_add_f32_e32 v3, v3, v0
	s_or_b32 exec_lo, exec_lo, s0
	s_and_saveexec_b32 s0, vcc_lo
	s_cbranch_execz .LBB353_947
.LBB353_964:
	ds_read_b32 v0, v8 offset:320
	s_waitcnt lgkmcnt(0)
	v_add_f32_e32 v2, v2, v0
	s_or_b32 exec_lo, exec_lo, s0
	s_and_saveexec_b32 s0, vcc_lo
	s_cbranch_execnz .LBB353_948
	s_branch .LBB353_949
	.section	.rodata,"a",@progbits
	.p2align	6, 0x0
	.amdhsa_kernel _ZN4vllm25paged_attention_v2_kernelI14__hip_bfloat16hLi112ELi16ELi128ELNS_18Fp8KVCacheDataTypeE1ELb1ELi512EEEvPfS3_PT_PKS4_PKT0_SA_ifPKiSC_iPKfiiiSE_SE_iiiii
		.amdhsa_group_segment_fixed_size 256
		.amdhsa_private_segment_fixed_size 40
		.amdhsa_kernarg_size 400
		.amdhsa_user_sgpr_count 6
		.amdhsa_user_sgpr_private_segment_buffer 1
		.amdhsa_user_sgpr_dispatch_ptr 0
		.amdhsa_user_sgpr_queue_ptr 0
		.amdhsa_user_sgpr_kernarg_segment_ptr 1
		.amdhsa_user_sgpr_dispatch_id 0
		.amdhsa_user_sgpr_flat_scratch_init 0
		.amdhsa_user_sgpr_private_segment_size 0
		.amdhsa_wavefront_size32 1
		.amdhsa_uses_dynamic_stack 0
		.amdhsa_system_sgpr_private_segment_wavefront_offset 1
		.amdhsa_system_sgpr_workgroup_id_x 1
		.amdhsa_system_sgpr_workgroup_id_y 1
		.amdhsa_system_sgpr_workgroup_id_z 1
		.amdhsa_system_sgpr_workgroup_info 0
		.amdhsa_system_vgpr_workitem_id 0
		.amdhsa_next_free_vgpr 128
		.amdhsa_next_free_sgpr 60
		.amdhsa_reserve_vcc 1
		.amdhsa_reserve_flat_scratch 0
		.amdhsa_float_round_mode_32 0
		.amdhsa_float_round_mode_16_64 0
		.amdhsa_float_denorm_mode_32 3
		.amdhsa_float_denorm_mode_16_64 3
		.amdhsa_dx10_clamp 1
		.amdhsa_ieee_mode 1
		.amdhsa_fp16_overflow 0
		.amdhsa_workgroup_processor_mode 1
		.amdhsa_memory_ordered 1
		.amdhsa_forward_progress 1
		.amdhsa_shared_vgpr_count 0
		.amdhsa_exception_fp_ieee_invalid_op 0
		.amdhsa_exception_fp_denorm_src 0
		.amdhsa_exception_fp_ieee_div_zero 0
		.amdhsa_exception_fp_ieee_overflow 0
		.amdhsa_exception_fp_ieee_underflow 0
		.amdhsa_exception_fp_ieee_inexact 0
		.amdhsa_exception_int_div_zero 0
	.end_amdhsa_kernel
	.section	.text._ZN4vllm25paged_attention_v2_kernelI14__hip_bfloat16hLi112ELi16ELi128ELNS_18Fp8KVCacheDataTypeE1ELb1ELi512EEEvPfS3_PT_PKS4_PKT0_SA_ifPKiSC_iPKfiiiSE_SE_iiiii,"axG",@progbits,_ZN4vllm25paged_attention_v2_kernelI14__hip_bfloat16hLi112ELi16ELi128ELNS_18Fp8KVCacheDataTypeE1ELb1ELi512EEEvPfS3_PT_PKS4_PKT0_SA_ifPKiSC_iPKfiiiSE_SE_iiiii,comdat
.Lfunc_end353:
	.size	_ZN4vllm25paged_attention_v2_kernelI14__hip_bfloat16hLi112ELi16ELi128ELNS_18Fp8KVCacheDataTypeE1ELb1ELi512EEEvPfS3_PT_PKS4_PKT0_SA_ifPKiSC_iPKfiiiSE_SE_iiiii, .Lfunc_end353-_ZN4vllm25paged_attention_v2_kernelI14__hip_bfloat16hLi112ELi16ELi128ELNS_18Fp8KVCacheDataTypeE1ELb1ELi512EEEvPfS3_PT_PKS4_PKT0_SA_ifPKiSC_iPKfiiiSE_SE_iiiii
                                        ; -- End function
	.set _ZN4vllm25paged_attention_v2_kernelI14__hip_bfloat16hLi112ELi16ELi128ELNS_18Fp8KVCacheDataTypeE1ELb1ELi512EEEvPfS3_PT_PKS4_PKT0_SA_ifPKiSC_iPKfiiiSE_SE_iiiii.num_vgpr, 128
	.set _ZN4vllm25paged_attention_v2_kernelI14__hip_bfloat16hLi112ELi16ELi128ELNS_18Fp8KVCacheDataTypeE1ELb1ELi512EEEvPfS3_PT_PKS4_PKT0_SA_ifPKiSC_iPKfiiiSE_SE_iiiii.num_agpr, 0
	.set _ZN4vllm25paged_attention_v2_kernelI14__hip_bfloat16hLi112ELi16ELi128ELNS_18Fp8KVCacheDataTypeE1ELb1ELi512EEEvPfS3_PT_PKS4_PKT0_SA_ifPKiSC_iPKfiiiSE_SE_iiiii.numbered_sgpr, 60
	.set _ZN4vllm25paged_attention_v2_kernelI14__hip_bfloat16hLi112ELi16ELi128ELNS_18Fp8KVCacheDataTypeE1ELb1ELi512EEEvPfS3_PT_PKS4_PKT0_SA_ifPKiSC_iPKfiiiSE_SE_iiiii.num_named_barrier, 0
	.set _ZN4vllm25paged_attention_v2_kernelI14__hip_bfloat16hLi112ELi16ELi128ELNS_18Fp8KVCacheDataTypeE1ELb1ELi512EEEvPfS3_PT_PKS4_PKT0_SA_ifPKiSC_iPKfiiiSE_SE_iiiii.private_seg_size, 40
	.set _ZN4vllm25paged_attention_v2_kernelI14__hip_bfloat16hLi112ELi16ELi128ELNS_18Fp8KVCacheDataTypeE1ELb1ELi512EEEvPfS3_PT_PKS4_PKT0_SA_ifPKiSC_iPKfiiiSE_SE_iiiii.uses_vcc, 1
	.set _ZN4vllm25paged_attention_v2_kernelI14__hip_bfloat16hLi112ELi16ELi128ELNS_18Fp8KVCacheDataTypeE1ELb1ELi512EEEvPfS3_PT_PKS4_PKT0_SA_ifPKiSC_iPKfiiiSE_SE_iiiii.uses_flat_scratch, 0
	.set _ZN4vllm25paged_attention_v2_kernelI14__hip_bfloat16hLi112ELi16ELi128ELNS_18Fp8KVCacheDataTypeE1ELb1ELi512EEEvPfS3_PT_PKS4_PKT0_SA_ifPKiSC_iPKfiiiSE_SE_iiiii.has_dyn_sized_stack, 0
	.set _ZN4vllm25paged_attention_v2_kernelI14__hip_bfloat16hLi112ELi16ELi128ELNS_18Fp8KVCacheDataTypeE1ELb1ELi512EEEvPfS3_PT_PKS4_PKT0_SA_ifPKiSC_iPKfiiiSE_SE_iiiii.has_recursion, 0
	.set _ZN4vllm25paged_attention_v2_kernelI14__hip_bfloat16hLi112ELi16ELi128ELNS_18Fp8KVCacheDataTypeE1ELb1ELi512EEEvPfS3_PT_PKS4_PKT0_SA_ifPKiSC_iPKfiiiSE_SE_iiiii.has_indirect_call, 0
	.section	.AMDGPU.csdata,"",@progbits
; Kernel info:
; codeLenInByte = 36040
; TotalNumSgprs: 62
; NumVgprs: 128
; ScratchSize: 40
; MemoryBound: 0
; FloatMode: 240
; IeeeMode: 1
; LDSByteSize: 256 bytes/workgroup (compile time only)
; SGPRBlocks: 0
; VGPRBlocks: 15
; NumSGPRsForWavesPerEU: 62
; NumVGPRsForWavesPerEU: 128
; Occupancy: 8
; WaveLimiterHint : 1
; COMPUTE_PGM_RSRC2:SCRATCH_EN: 1
; COMPUTE_PGM_RSRC2:USER_SGPR: 6
; COMPUTE_PGM_RSRC2:TRAP_HANDLER: 0
; COMPUTE_PGM_RSRC2:TGID_X_EN: 1
; COMPUTE_PGM_RSRC2:TGID_Y_EN: 1
; COMPUTE_PGM_RSRC2:TGID_Z_EN: 1
; COMPUTE_PGM_RSRC2:TIDIG_COMP_CNT: 0
	.section	.text._ZN4vllm25paged_attention_v2_kernelI14__hip_bfloat16hLi120ELi16ELi128ELNS_18Fp8KVCacheDataTypeE1ELb1ELi512EEEvPfS3_PT_PKS4_PKT0_SA_ifPKiSC_iPKfiiiSE_SE_iiiii,"axG",@progbits,_ZN4vllm25paged_attention_v2_kernelI14__hip_bfloat16hLi120ELi16ELi128ELNS_18Fp8KVCacheDataTypeE1ELb1ELi512EEEvPfS3_PT_PKS4_PKT0_SA_ifPKiSC_iPKfiiiSE_SE_iiiii,comdat
	.protected	_ZN4vllm25paged_attention_v2_kernelI14__hip_bfloat16hLi120ELi16ELi128ELNS_18Fp8KVCacheDataTypeE1ELb1ELi512EEEvPfS3_PT_PKS4_PKT0_SA_ifPKiSC_iPKfiiiSE_SE_iiiii ; -- Begin function _ZN4vllm25paged_attention_v2_kernelI14__hip_bfloat16hLi120ELi16ELi128ELNS_18Fp8KVCacheDataTypeE1ELb1ELi512EEEvPfS3_PT_PKS4_PKT0_SA_ifPKiSC_iPKfiiiSE_SE_iiiii
	.globl	_ZN4vllm25paged_attention_v2_kernelI14__hip_bfloat16hLi120ELi16ELi128ELNS_18Fp8KVCacheDataTypeE1ELb1ELi512EEEvPfS3_PT_PKS4_PKT0_SA_ifPKiSC_iPKfiiiSE_SE_iiiii
	.p2align	8
	.type	_ZN4vllm25paged_attention_v2_kernelI14__hip_bfloat16hLi120ELi16ELi128ELNS_18Fp8KVCacheDataTypeE1ELb1ELi512EEEvPfS3_PT_PKS4_PKT0_SA_ifPKiSC_iPKfiiiSE_SE_iiiii,@function
_ZN4vllm25paged_attention_v2_kernelI14__hip_bfloat16hLi120ELi16ELi128ELNS_18Fp8KVCacheDataTypeE1ELb1ELi512EEEvPfS3_PT_PKS4_PKT0_SA_ifPKiSC_iPKfiiiSE_SE_iiiii: ; @_ZN4vllm25paged_attention_v2_kernelI14__hip_bfloat16hLi120ELi16ELi128ELNS_18Fp8KVCacheDataTypeE1ELb1ELi512EEEvPfS3_PT_PKS4_PKT0_SA_ifPKiSC_iPKfiiiSE_SE_iiiii
; %bb.0:
	s_mov_b64 s[58:59], s[2:3]
	s_mov_b64 s[56:57], s[0:1]
	s_load_dwordx2 s[0:1], s[4:5], 0x40
	s_add_u32 s56, s56, s9
	s_addc_u32 s57, s57, 0
	s_mov_b32 s30, s7
	s_ashr_i32 s31, s7, 31
	s_lshl_b64 s[2:3], s[30:31], 2
	s_waitcnt lgkmcnt(0)
	s_add_u32 s0, s0, s2
	s_addc_u32 s1, s1, s3
	s_lshl_b32 s42, s8, 9
	s_load_dword s31, s[0:1], 0x0
	s_waitcnt lgkmcnt(0)
	s_cmp_ge_i32 s42, s31
	s_cbranch_scc1 .LBB354_1075
; %bb.1:
	s_clause 0x1
	s_load_dword s9, s[4:5], 0x90
	s_load_dwordx2 s[40:41], s[4:5], 0x30
	v_mov_b32_e32 v14, v0
	s_mov_b32 s43, 0
	s_waitcnt lgkmcnt(0)
	s_abs_i32 s3, s9
	s_abs_i32 s0, s40
	v_cvt_f32_u32_e32 v1, s0
	s_sub_i32 s2, 0, s0
	v_rcp_iflag_f32_e32 v1, v1
	v_mul_f32_e32 v1, 0x4f7ffffe, v1
	v_cvt_u32_f32_e32 v1, v1
	v_readfirstlane_b32 s1, v1
	s_mul_i32 s2, s2, s1
	s_mul_hi_u32 s2, s1, s2
	s_add_i32 s1, s1, s2
	s_xor_b32 s2, s9, s40
	s_mul_hi_u32 s1, s3, s1
	s_ashr_i32 s2, s2, 31
	s_mul_i32 s7, s1, s0
	s_sub_i32 s3, s3, s7
	s_add_i32 s7, s1, 1
	s_sub_i32 s10, s3, s0
	s_cmp_ge_u32 s3, s0
	s_cselect_b32 s1, s7, s1
	s_cselect_b32 s3, s10, s3
	s_add_i32 s7, s1, 1
	s_cmp_ge_u32 s3, s0
	s_cselect_b32 s0, s7, s1
	s_xor_b32 s0, s0, s2
	s_sub_i32 s10, s0, s2
	s_load_dwordx2 s[0:1], s[4:5], 0x50
	s_abs_i32 s2, s10
	v_cvt_f32_u32_e32 v1, s2
	s_sub_i32 s3, 0, s2
	v_rcp_iflag_f32_e32 v1, v1
	v_mul_f32_e32 v1, 0x4f7ffffe, v1
	v_cvt_u32_f32_e32 v1, v1
	v_readfirstlane_b32 s7, v1
	s_mul_i32 s3, s3, s7
	s_mul_hi_u32 s11, s7, s3
	s_abs_i32 s3, s6
	s_add_i32 s7, s7, s11
	s_waitcnt lgkmcnt(0)
	s_cmp_eq_u64 s[0:1], 0
	s_mul_hi_u32 s12, s3, s7
	s_cbranch_scc1 .LBB354_3
; %bb.2:
	s_ashr_i32 s7, s6, 31
	s_lshl_b64 s[14:15], s[6:7], 2
	s_add_u32 s0, s0, s14
	s_addc_u32 s1, s1, s15
	s_load_dword s43, s[0:1], 0x0
.LBB354_3:
	s_load_dwordx4 s[16:19], s[4:5], 0x58
	v_lshrrev_b32_e32 v103, 1, v14
	v_and_b32_e32 v13, 1, v14
	v_lshlrev_b32_e32 v0, 3, v14
	s_ashr_i32 s0, s6, 31
	s_ashr_i32 s1, s10, 31
	s_mul_i32 s10, s6, 0x78
	s_mov_b32 s7, exec_lo
	v_cmpx_gt_u32_e32 30, v14
	s_cbranch_execz .LBB354_5
; %bb.4:
	s_load_dwordx2 s[14:15], s[4:5], 0x18
	s_waitcnt lgkmcnt(0)
	s_mul_i32 s20, s16, s30
	v_lshlrev_b32_e32 v3, 3, v103
	s_ashr_i32 s21, s20, 31
	s_lshl_b64 s[20:21], s[20:21], 1
	v_mad_u32_u24 v3, 0x78, v13, v3
	s_add_u32 s13, s14, s20
	s_addc_u32 s16, s15, s21
	s_ashr_i32 s11, s10, 31
	s_lshl_b64 s[14:15], s[10:11], 1
	s_add_u32 s14, s13, s14
	s_addc_u32 s15, s16, s15
	global_load_dwordx2 v[1:2], v0, s[14:15]
	s_waitcnt vmcnt(0)
	ds_write_b64 v3, v[1:2]
.LBB354_5:
	s_or_b32 exec_lo, exec_lo, s7
	s_load_dwordx4 s[20:23], s[4:5], 0x78
	s_mul_i32 s7, s12, s2
	s_xor_b32 s0, s0, s1
	s_sub_i32 s1, s3, s7
	s_add_i32 s3, s12, 1
	s_sub_i32 s7, s1, s2
	s_cmp_ge_u32 s1, s2
	s_mov_b32 s11, -1
	s_cselect_b32 s3, s3, s12
	s_cselect_b32 s1, s7, s1
	s_add_i32 s7, s3, 1
	s_cmp_ge_u32 s1, s2
                                        ; implicit-def: $sgpr33
	s_cselect_b32 s1, s7, s3
	s_load_dword s3, s[4:5], 0x88
	s_xor_b32 s1, s1, s0
	s_add_i32 s7, s31, -1
	s_sub_i32 s1, s1, s0
	s_abs_i32 s2, s7
	s_waitcnt lgkmcnt(0)
	s_abs_i32 s16, s23
	s_barrier
	v_cvt_f32_u32_e32 v1, s16
	s_sub_i32 s0, 0, s16
	buffer_gl0_inv
	v_rcp_iflag_f32_e32 v1, v1
	v_mul_f32_e32 v1, 0x4f7ffffe, v1
	v_cvt_u32_f32_e32 v1, v1
	v_readfirstlane_b32 s19, v1
	s_mul_i32 s0, s0, s19
	s_mul_hi_u32 s0, s19, s0
	s_add_i32 s19, s19, s0
	s_cmp_lt_i32 s3, 0
	s_mul_hi_u32 s0, s2, s19
	s_cbranch_scc0 .LBB354_7
; %bb.6:
	s_mul_i32 s11, s20, s40
	s_add_i32 s11, s1, s11
	s_mul_i32 s11, s11, s3
	s_sub_i32 s33, 1, s11
	s_mov_b32 s11, 0
.LBB354_7:
	s_load_dwordx2 s[34:35], s[4:5], 0x38
	s_ashr_i32 s7, s7, 31
	s_andn2_b32 vcc_lo, exec_lo, s11
	s_ashr_i32 s23, s23, 31
	buffer_store_dword v0, off, s[56:59], 0 offset:16 ; 4-byte Folded Spill
	s_cbranch_vccnz .LBB354_9
; %bb.8:
	s_mul_i32 s11, s9, s20
	s_add_i32 s11, s11, s6
	s_mul_i32 s3, s11, s3
	s_add_i32 s33, s3, 1
.LBB354_9:
	s_clause 0x5
	s_load_dword s3, s[4:5], 0x48
	s_load_dwordx2 s[38:39], s[4:5], 0x28
	s_load_dwordx4 s[24:27], s[4:5], 0x0
	s_load_dwordx2 s[28:29], s[4:5], 0x10
	s_load_dword s11, s[4:5], 0x98
	s_load_dwordx4 s[12:15], s[4:5], 0x68
	s_xor_b32 s40, s7, s23
	s_mul_i32 s7, s0, s16
	s_add_i32 s20, s0, 1
	s_sub_i32 s2, s2, s7
	v_lshrrev_b32_e32 v15, 5, v14
	v_mov_b32_e32 v41, 0xff7fffff
	s_mul_i32 s18, s1, s18
	s_mov_b32 s45, exec_lo
	v_lshl_add_u32 v38, v15, 4, s42
	s_waitcnt lgkmcnt(0)
	s_mul_i32 s36, s3, s30
	s_sub_i32 s3, s2, s16
	s_ashr_i32 s37, s36, 31
	s_cmp_ge_u32 s2, s16
	s_cselect_b32 s0, s20, s0
	s_cselect_b32 s2, s3, s2
	s_add_i32 s3, s0, 1
	s_cmp_ge_u32 s2, s16
	s_cselect_b32 s0, s3, s0
	s_add_i32 s2, s31, 15
	s_lshl_b32 s44, s8, 5
	s_ashr_i32 s3, s2, 31
	v_or_b32_e32 v25, s44, v15
	s_lshr_b32 s3, s3, 28
	s_add_i32 s2, s2, s3
	s_add_i32 s3, s44, 32
	s_ashr_i32 s7, s2, 4
	s_xor_b32 s2, s0, s40
	s_min_i32 s20, s3, s7
	v_ashrrev_i32_e32 v26, 31, v25
	v_cmp_le_i32_e64 s0, s20, v25
	s_sub_i32 s40, s2, s40
	v_cmpx_gt_i32_e64 s20, v25
	s_cbranch_execz .LBB354_501
; %bb.10:
	s_load_dwordx2 s[2:3], s[4:5], 0x20
	s_sub_i32 s4, s40, s21
	s_ashr_i32 s1, s18, 31
	v_bfe_u32 v0, v14, 1, 4
	v_lshlrev_b32_e32 v3, 2, v13
	v_mov_b32_e32 v28, 0
	v_mul_u32_u24_e32 v43, 0x78, v13
	v_lshl_add_u32 v44, v15, 4, s42
	v_lshlrev_b32_e32 v5, 2, v0
	v_subrev_nc_u32_e32 v6, s31, v0
	v_lshlrev_b32_e32 v7, 4, v0
	buffer_store_dword v0, off, s[56:59], 0 offset:8 ; 4-byte Folded Spill
	v_mov_b32_e32 v45, 0x80
	v_lshl_or_b32 v5, v15, 6, v5
	v_add_nc_u32_e32 v0, 1, v6
	v_mov_b32_e32 v47, 0xff
	v_mov_b32_e32 v41, 0xff7fffff
	;; [unrolled: 1-line block ×3, first 2 shown]
	v_add_nc_u32_e32 v51, 0x110, v5
	buffer_store_dword v0, off, s[56:59], 0 offset:12 ; 4-byte Folded Spill
	s_waitcnt lgkmcnt(0)
	s_add_u32 s46, s2, s18
	s_addc_u32 s47, s3, s1
	s_abs_i32 s5, s22
	v_add_co_u32 v6, s46, s46, v7
	v_cvt_f32_u32_e32 v1, s5
	s_sub_i32 s2, 0, s5
	v_add_co_ci_u32_e64 v7, null, s47, 0, s46
	v_cmp_neq_f32_e64 s1, s43, 0
	v_rcp_iflag_f32_e32 v4, v1
	v_lshlrev_b64 v[1:2], 2, v[25:26]
	s_mov_b32 s46, 0
	s_mov_b32 s47, s17
	v_cmp_eq_u32_e32 vcc_lo, 0, v13
	buffer_store_dword v14, off, s[56:59], 0 offset:20 ; 4-byte Folded Spill
	buffer_store_dword v13, off, s[56:59], 0 offset:24 ; 4-byte Folded Spill
	;; [unrolled: 1-line block ×3, first 2 shown]
	v_mul_f32_e32 v4, 0x4f7ffffe, v4
	v_cvt_u32_f32_e32 v4, v4
	v_mul_lo_u32 v5, s2, v4
	s_lshl_b64 s[2:3], s[36:37], 2
	s_add_u32 s2, s34, s2
	s_addc_u32 s3, s35, s3
	v_add_co_u32 v29, s2, s2, v1
	v_add_co_ci_u32_e64 v30, null, s3, v2, s2
	v_mul_hi_u32 v5, v4, v5
	v_add_co_u32 v0, s2, v6, v3
	v_add_co_ci_u32_e64 v1, null, 0, v7, s2
	buffer_store_dword v0, off, s[56:59], 0 ; 4-byte Folded Spill
	buffer_store_dword v1, off, s[56:59], 0 offset:4 ; 4-byte Folded Spill
	v_add_nc_u32_e32 v52, v4, v5
	s_branch .LBB354_13
.LBB354_11:                             ;   in Loop: Header=BB354_13 Depth=1
	s_or_b32 exec_lo, exec_lo, s3
.LBB354_12:                             ;   in Loop: Header=BB354_13 Depth=1
	s_or_b32 exec_lo, exec_lo, s48
	v_add_nc_u32_e32 v53, 4, v53
	v_add_co_u32 v29, s3, v29, 16
	v_add_co_ci_u32_e64 v30, null, 0, v30, s3
	v_cmp_le_i32_e64 s2, s20, v53
	v_add_nc_u32_e32 v44, 64, v44
	v_add_nc_u32_e32 v51, 0x100, v51
	s_or_b32 s46, s2, s46
	s_andn2_b32 exec_lo, exec_lo, s46
	s_cbranch_execz .LBB354_500
.LBB354_13:                             ; =>This Inner Loop Header: Depth=1
	v_sub_nc_u32_e32 v1, 0, v44
	v_max_i32_e32 v1, v44, v1
	s_waitcnt lgkmcnt(0)
	v_mul_hi_u32 v2, v1, s19
	v_mul_lo_u32 v3, v2, s16
	v_sub_nc_u32_e32 v1, v1, v3
	v_add_nc_u32_e32 v3, 1, v2
	v_subrev_nc_u32_e32 v4, s16, v1
	v_cmp_le_u32_e64 s2, s16, v1
	v_cndmask_b32_e64 v2, v2, v3, s2
	v_cndmask_b32_e64 v1, v1, v4, s2
	v_ashrrev_i32_e32 v3, 31, v44
	v_add_nc_u32_e32 v4, 1, v2
	v_cmp_le_u32_e64 s2, s16, v1
	v_xor_b32_e32 v3, s23, v3
	v_cndmask_b32_e64 v1, v2, v4, s2
	v_xor_b32_e32 v1, v1, v3
	v_sub_nc_u32_e32 v1, v1, v3
	v_add_nc_u32_e32 v2, s33, v1
	v_cmp_ge_i32_e64 s3, s4, v1
	v_sub_nc_u32_e32 v3, 0, v2
	v_max_i32_e32 v3, v2, v3
	v_ashrrev_i32_e32 v2, 31, v2
	v_mul_hi_u32 v4, v3, v52
	v_mul_lo_u32 v4, v4, s5
	v_sub_nc_u32_e32 v3, v3, v4
	v_subrev_nc_u32_e32 v4, s5, v3
	v_cmp_le_u32_e64 s2, s5, v3
	v_cndmask_b32_e64 v3, v3, v4, s2
	v_subrev_nc_u32_e32 v4, s5, v3
	v_cmp_le_u32_e64 s2, s5, v3
	v_cndmask_b32_e64 v3, v3, v4, s2
	v_xor_b32_e32 v3, v3, v2
	v_sub_nc_u32_e32 v2, v3, v2
	v_cmp_ne_u32_e64 s2, 0, v2
	s_and_b32 s2, s2, s3
	s_and_saveexec_b32 s3, s2
	s_xor_b32 s2, exec_lo, s3
	s_cbranch_execz .LBB354_17
; %bb.14:                               ;   in Loop: Header=BB354_13 Depth=1
	s_and_saveexec_b32 s3, vcc_lo
; %bb.15:                               ;   in Loop: Header=BB354_13 Depth=1
	v_mov_b32_e32 v1, 0xff7fffff
	ds_write_b32 v51, v1
; %bb.16:                               ;   in Loop: Header=BB354_13 Depth=1
	s_or_b32 exec_lo, exec_lo, s3
.LBB354_17:                             ;   in Loop: Header=BB354_13 Depth=1
	s_andn2_saveexec_b32 s48, s2
	s_cbranch_execz .LBB354_12
; %bb.18:                               ;   in Loop: Header=BB354_13 Depth=1
	global_load_dword v1, v[29:30], off
	s_clause 0x1
	buffer_load_dword v2, off, s[56:59], 0
	buffer_load_dword v3, off, s[56:59], 0 offset:4
	v_mov_b32_e32 v56, 0
	v_mov_b32_e32 v57, 0
	s_waitcnt vmcnt(0)
	v_mad_i64_i32 v[33:34], null, v1, s47, v[2:3]
	global_load_dword v60, v[33:34], off
	ds_read2_b64 v[21:24], v43 offset1:1
	ds_read2_b64 v[17:20], v43 offset0:2 offset1:3
	ds_read2_b64 v[13:16], v43 offset0:4 offset1:5
	;; [unrolled: 1-line block ×5, first 2 shown]
	ds_read_b32 v54, v43 offset:96
	ds_read_u16 v55, v43 offset:100
	s_load_dword s49, s[12:13], 0x0
	s_waitcnt vmcnt(0)
	v_cmp_ne_u16_sdwa s2, v60, v28 src0_sel:BYTE_0 src1_sel:DWORD
	s_and_saveexec_b32 s3, s2
	s_cbranch_execz .LBB354_26
; %bb.19:                               ;   in Loop: Header=BB354_13 Depth=1
	v_cmp_ne_u16_sdwa s2, v60, v45 src0_sel:BYTE_0 src1_sel:DWORD
	v_bfrev_b32_e32 v57, 1
	s_and_saveexec_b32 s50, s2
	s_cbranch_execz .LBB354_25
; %bb.20:                               ;   in Loop: Header=BB354_13 Depth=1
	v_and_b32_e32 v58, 0x7f, v60
	v_mov_b32_e32 v57, 0x7f800001
	s_mov_b32 s51, exec_lo
	v_cmpx_ne_u32_e32 0x7f, v58
	s_cbranch_execz .LBB354_24
; %bb.21:                               ;   in Loop: Header=BB354_13 Depth=1
	v_and_b32_e32 v27, 7, v60
	v_lshrrev_b32_e32 v57, 3, v58
	s_mov_b32 s52, exec_lo
	v_cmpx_gt_u32_e32 8, v58
; %bb.22:                               ;   in Loop: Header=BB354_13 Depth=1
	v_ffbh_u32_e32 v57, v27
	v_min_u32_e32 v57, 32, v57
	v_subrev_nc_u32_e32 v58, 28, v57
	v_sub_nc_u32_e32 v57, 29, v57
	v_lshlrev_b64 v[58:59], v58, v[27:28]
	v_and_b32_e32 v27, 7, v58
; %bb.23:                               ;   in Loop: Header=BB354_13 Depth=1
	s_or_b32 exec_lo, exec_lo, s52
	v_lshlrev_b32_e32 v58, 24, v60
	v_lshlrev_b32_e32 v27, 20, v27
	v_lshl_add_u32 v57, v57, 23, 0x3c000000
	v_and_b32_e32 v58, 0x80000000, v58
	v_or3_b32 v57, v27, v58, v57
.LBB354_24:                             ;   in Loop: Header=BB354_13 Depth=1
	s_or_b32 exec_lo, exec_lo, s51
.LBB354_25:                             ;   in Loop: Header=BB354_13 Depth=1
	s_or_b32 exec_lo, exec_lo, s50
.LBB354_26:                             ;   in Loop: Header=BB354_13 Depth=1
	s_or_b32 exec_lo, exec_lo, s3
	v_cmp_ne_u16_sdwa s2, v60, v28 src0_sel:BYTE_1 src1_sel:DWORD
	s_and_saveexec_b32 s3, s2
	s_cbranch_execz .LBB354_34
; %bb.27:                               ;   in Loop: Header=BB354_13 Depth=1
	v_cmp_ne_u16_sdwa s2, v60, v45 src0_sel:BYTE_1 src1_sel:DWORD
	v_bfrev_b32_e32 v56, 1
	s_and_saveexec_b32 s50, s2
	s_cbranch_execz .LBB354_33
; %bb.28:                               ;   in Loop: Header=BB354_13 Depth=1
	v_mov_b32_e32 v0, 0xffff
	v_mov_b32_e32 v56, 0x7f800001
	s_mov_b32 s51, exec_lo
	v_and_b32_sdwa v27, v0, v60 dst_sel:DWORD dst_unused:UNUSED_PAD src0_sel:DWORD src1_sel:BYTE_1
	v_and_b32_e32 v58, 0x7f, v27
	v_cmpx_ne_u32_e32 0x7f, v58
	s_cbranch_execz .LBB354_32
; %bb.29:                               ;   in Loop: Header=BB354_13 Depth=1
	v_and_b32_e32 v27, 7, v27
	v_lshrrev_b32_e32 v56, 3, v58
	s_mov_b32 s52, exec_lo
	v_cmpx_gt_u32_e32 8, v58
; %bb.30:                               ;   in Loop: Header=BB354_13 Depth=1
	v_ffbh_u32_e32 v56, v27
	v_min_u32_e32 v56, 32, v56
	v_subrev_nc_u32_e32 v58, 28, v56
	v_sub_nc_u32_e32 v56, 29, v56
	v_lshlrev_b64 v[58:59], v58, v[27:28]
	v_and_b32_e32 v27, 7, v58
; %bb.31:                               ;   in Loop: Header=BB354_13 Depth=1
	s_or_b32 exec_lo, exec_lo, s52
	v_lshlrev_b32_e32 v58, 16, v60
	v_lshlrev_b32_e32 v27, 20, v27
	v_lshl_add_u32 v56, v56, 23, 0x3c000000
	v_and_b32_e32 v58, 0x80000000, v58
	v_or3_b32 v56, v27, v58, v56
.LBB354_32:                             ;   in Loop: Header=BB354_13 Depth=1
	s_or_b32 exec_lo, exec_lo, s51
.LBB354_33:                             ;   in Loop: Header=BB354_13 Depth=1
	s_or_b32 exec_lo, exec_lo, s50
.LBB354_34:                             ;   in Loop: Header=BB354_13 Depth=1
	s_or_b32 exec_lo, exec_lo, s3
	v_and_b32_sdwa v27, v60, v47 dst_sel:DWORD dst_unused:UNUSED_PAD src0_sel:WORD_1 src1_sel:DWORD
	v_mov_b32_e32 v58, 0
	v_mov_b32_e32 v59, 0
	s_mov_b32 s3, exec_lo
	v_cmpx_ne_u16_e32 0, v27
	s_cbranch_execz .LBB354_42
; %bb.35:                               ;   in Loop: Header=BB354_13 Depth=1
	v_bfrev_b32_e32 v59, 1
	s_mov_b32 s50, exec_lo
	v_cmpx_ne_u16_e32 0x80, v27
	s_cbranch_execz .LBB354_41
; %bb.36:                               ;   in Loop: Header=BB354_13 Depth=1
	v_bfe_u32 v61, v60, 16, 7
	v_mov_b32_e32 v59, 0x7f800001
	s_mov_b32 s51, exec_lo
	v_cmpx_ne_u32_e32 0x7f, v61
	s_cbranch_execz .LBB354_40
; %bb.37:                               ;   in Loop: Header=BB354_13 Depth=1
	v_mov_b32_e32 v0, 7
	v_lshrrev_b32_e32 v59, 3, v61
	s_mov_b32 s52, exec_lo
	v_and_b32_sdwa v27, v60, v0 dst_sel:DWORD dst_unused:UNUSED_PAD src0_sel:WORD_1 src1_sel:DWORD
	v_cmpx_gt_u32_e32 8, v61
; %bb.38:                               ;   in Loop: Header=BB354_13 Depth=1
	v_ffbh_u32_e32 v59, v27
	v_min_u32_e32 v59, 32, v59
	v_subrev_nc_u32_e32 v61, 28, v59
	v_sub_nc_u32_e32 v59, 29, v59
	v_lshlrev_b64 v[61:62], v61, v[27:28]
	v_and_b32_e32 v27, 7, v61
; %bb.39:                               ;   in Loop: Header=BB354_13 Depth=1
	s_or_b32 exec_lo, exec_lo, s52
	v_mov_b32_e32 v0, 24
	v_lshlrev_b32_e32 v27, 20, v27
	v_lshl_add_u32 v59, v59, 23, 0x3c000000
	v_lshlrev_b32_sdwa v61, v0, v60 dst_sel:DWORD dst_unused:UNUSED_PAD src0_sel:DWORD src1_sel:WORD_1
	v_and_b32_e32 v61, 0x80000000, v61
	v_or3_b32 v59, v27, v61, v59
.LBB354_40:                             ;   in Loop: Header=BB354_13 Depth=1
	s_or_b32 exec_lo, exec_lo, s51
.LBB354_41:                             ;   in Loop: Header=BB354_13 Depth=1
	s_or_b32 exec_lo, exec_lo, s50
.LBB354_42:                             ;   in Loop: Header=BB354_13 Depth=1
	s_or_b32 exec_lo, exec_lo, s3
	s_mov_b32 s3, exec_lo
	v_cmpx_lt_u32_e32 0xffffff, v60
	s_cbranch_execz .LBB354_50
; %bb.43:                               ;   in Loop: Header=BB354_13 Depth=1
	v_cmp_ne_u32_sdwa s2, v60, v45 src0_sel:BYTE_3 src1_sel:DWORD
	v_bfrev_b32_e32 v58, 1
	s_and_saveexec_b32 s50, s2
	s_cbranch_execz .LBB354_49
; %bb.44:                               ;   in Loop: Header=BB354_13 Depth=1
	v_bfe_u32 v61, v60, 24, 7
	v_mov_b32_e32 v58, 0x7f800001
	s_mov_b32 s51, exec_lo
	v_cmpx_ne_u32_e32 0x7f, v61
	s_cbranch_execz .LBB354_48
; %bb.45:                               ;   in Loop: Header=BB354_13 Depth=1
	v_mov_b32_e32 v0, 7
	v_lshrrev_b32_e32 v58, 3, v61
	s_mov_b32 s52, exec_lo
	v_and_b32_sdwa v27, v60, v0 dst_sel:DWORD dst_unused:UNUSED_PAD src0_sel:BYTE_3 src1_sel:DWORD
	v_cmpx_gt_u32_e32 8, v61
; %bb.46:                               ;   in Loop: Header=BB354_13 Depth=1
	v_ffbh_u32_e32 v58, v27
	v_min_u32_e32 v58, 32, v58
	v_subrev_nc_u32_e32 v61, 28, v58
	v_sub_nc_u32_e32 v58, 29, v58
	v_lshlrev_b64 v[61:62], v61, v[27:28]
	v_and_b32_e32 v27, 7, v61
; %bb.47:                               ;   in Loop: Header=BB354_13 Depth=1
	s_or_b32 exec_lo, exec_lo, s52
	v_mov_b32_e32 v0, 24
	v_lshlrev_b32_e32 v27, 20, v27
	v_lshl_add_u32 v58, v58, 23, 0x3c000000
	v_lshlrev_b32_sdwa v60, v0, v60 dst_sel:DWORD dst_unused:UNUSED_PAD src0_sel:DWORD src1_sel:BYTE_3
	v_and_b32_e32 v60, 0x80000000, v60
	v_or3_b32 v58, v27, v60, v58
.LBB354_48:                             ;   in Loop: Header=BB354_13 Depth=1
	s_or_b32 exec_lo, exec_lo, s51
.LBB354_49:                             ;   in Loop: Header=BB354_13 Depth=1
	s_or_b32 exec_lo, exec_lo, s50
.LBB354_50:                             ;   in Loop: Header=BB354_13 Depth=1
	s_or_b32 exec_lo, exec_lo, s3
	global_load_dword v64, v[33:34], off offset:8
	v_mov_b32_e32 v60, 0
	v_mov_b32_e32 v61, 0
	s_waitcnt vmcnt(0)
	v_cmp_ne_u16_sdwa s2, v64, v28 src0_sel:BYTE_0 src1_sel:DWORD
	s_and_saveexec_b32 s3, s2
	s_cbranch_execz .LBB354_58
; %bb.51:                               ;   in Loop: Header=BB354_13 Depth=1
	v_cmp_ne_u16_sdwa s2, v64, v45 src0_sel:BYTE_0 src1_sel:DWORD
	v_bfrev_b32_e32 v61, 1
	s_and_saveexec_b32 s50, s2
	s_cbranch_execz .LBB354_57
; %bb.52:                               ;   in Loop: Header=BB354_13 Depth=1
	v_and_b32_e32 v62, 0x7f, v64
	v_mov_b32_e32 v61, 0x7f800001
	s_mov_b32 s51, exec_lo
	v_cmpx_ne_u32_e32 0x7f, v62
	s_cbranch_execz .LBB354_56
; %bb.53:                               ;   in Loop: Header=BB354_13 Depth=1
	v_and_b32_e32 v27, 7, v64
	v_lshrrev_b32_e32 v61, 3, v62
	s_mov_b32 s52, exec_lo
	v_cmpx_gt_u32_e32 8, v62
; %bb.54:                               ;   in Loop: Header=BB354_13 Depth=1
	v_ffbh_u32_e32 v61, v27
	v_min_u32_e32 v61, 32, v61
	v_subrev_nc_u32_e32 v62, 28, v61
	v_sub_nc_u32_e32 v61, 29, v61
	v_lshlrev_b64 v[62:63], v62, v[27:28]
	v_and_b32_e32 v27, 7, v62
; %bb.55:                               ;   in Loop: Header=BB354_13 Depth=1
	s_or_b32 exec_lo, exec_lo, s52
	v_lshlrev_b32_e32 v62, 24, v64
	v_lshlrev_b32_e32 v27, 20, v27
	v_lshl_add_u32 v61, v61, 23, 0x3c000000
	v_and_b32_e32 v62, 0x80000000, v62
	v_or3_b32 v61, v27, v62, v61
.LBB354_56:                             ;   in Loop: Header=BB354_13 Depth=1
	s_or_b32 exec_lo, exec_lo, s51
.LBB354_57:                             ;   in Loop: Header=BB354_13 Depth=1
	s_or_b32 exec_lo, exec_lo, s50
.LBB354_58:                             ;   in Loop: Header=BB354_13 Depth=1
	s_or_b32 exec_lo, exec_lo, s3
	v_cmp_ne_u16_sdwa s2, v64, v28 src0_sel:BYTE_1 src1_sel:DWORD
	s_and_saveexec_b32 s3, s2
	s_cbranch_execz .LBB354_66
; %bb.59:                               ;   in Loop: Header=BB354_13 Depth=1
	v_cmp_ne_u16_sdwa s2, v64, v45 src0_sel:BYTE_1 src1_sel:DWORD
	v_bfrev_b32_e32 v60, 1
	s_and_saveexec_b32 s50, s2
	s_cbranch_execz .LBB354_65
; %bb.60:                               ;   in Loop: Header=BB354_13 Depth=1
	v_mov_b32_e32 v0, 0xffff
	v_mov_b32_e32 v60, 0x7f800001
	s_mov_b32 s51, exec_lo
	v_and_b32_sdwa v27, v0, v64 dst_sel:DWORD dst_unused:UNUSED_PAD src0_sel:DWORD src1_sel:BYTE_1
	v_and_b32_e32 v62, 0x7f, v27
	v_cmpx_ne_u32_e32 0x7f, v62
	s_cbranch_execz .LBB354_64
; %bb.61:                               ;   in Loop: Header=BB354_13 Depth=1
	v_and_b32_e32 v27, 7, v27
	v_lshrrev_b32_e32 v60, 3, v62
	s_mov_b32 s52, exec_lo
	v_cmpx_gt_u32_e32 8, v62
; %bb.62:                               ;   in Loop: Header=BB354_13 Depth=1
	v_ffbh_u32_e32 v60, v27
	v_min_u32_e32 v60, 32, v60
	v_subrev_nc_u32_e32 v62, 28, v60
	v_sub_nc_u32_e32 v60, 29, v60
	v_lshlrev_b64 v[62:63], v62, v[27:28]
	v_and_b32_e32 v27, 7, v62
; %bb.63:                               ;   in Loop: Header=BB354_13 Depth=1
	s_or_b32 exec_lo, exec_lo, s52
	v_lshlrev_b32_e32 v62, 16, v64
	v_lshlrev_b32_e32 v27, 20, v27
	v_lshl_add_u32 v60, v60, 23, 0x3c000000
	v_and_b32_e32 v62, 0x80000000, v62
	v_or3_b32 v60, v27, v62, v60
.LBB354_64:                             ;   in Loop: Header=BB354_13 Depth=1
	s_or_b32 exec_lo, exec_lo, s51
.LBB354_65:                             ;   in Loop: Header=BB354_13 Depth=1
	s_or_b32 exec_lo, exec_lo, s50
.LBB354_66:                             ;   in Loop: Header=BB354_13 Depth=1
	s_or_b32 exec_lo, exec_lo, s3
	v_and_b32_sdwa v27, v64, v47 dst_sel:DWORD dst_unused:UNUSED_PAD src0_sel:WORD_1 src1_sel:DWORD
	v_mov_b32_e32 v62, 0
	v_mov_b32_e32 v63, 0
	s_mov_b32 s3, exec_lo
	v_cmpx_ne_u16_e32 0, v27
	s_cbranch_execz .LBB354_74
; %bb.67:                               ;   in Loop: Header=BB354_13 Depth=1
	v_bfrev_b32_e32 v63, 1
	s_mov_b32 s50, exec_lo
	v_cmpx_ne_u16_e32 0x80, v27
	s_cbranch_execz .LBB354_73
; %bb.68:                               ;   in Loop: Header=BB354_13 Depth=1
	v_bfe_u32 v65, v64, 16, 7
	v_mov_b32_e32 v63, 0x7f800001
	s_mov_b32 s51, exec_lo
	v_cmpx_ne_u32_e32 0x7f, v65
	s_cbranch_execz .LBB354_72
; %bb.69:                               ;   in Loop: Header=BB354_13 Depth=1
	v_mov_b32_e32 v0, 7
	v_lshrrev_b32_e32 v63, 3, v65
	s_mov_b32 s52, exec_lo
	v_and_b32_sdwa v27, v64, v0 dst_sel:DWORD dst_unused:UNUSED_PAD src0_sel:WORD_1 src1_sel:DWORD
	v_cmpx_gt_u32_e32 8, v65
; %bb.70:                               ;   in Loop: Header=BB354_13 Depth=1
	v_ffbh_u32_e32 v63, v27
	v_min_u32_e32 v63, 32, v63
	v_subrev_nc_u32_e32 v65, 28, v63
	v_sub_nc_u32_e32 v63, 29, v63
	v_lshlrev_b64 v[65:66], v65, v[27:28]
	v_and_b32_e32 v27, 7, v65
; %bb.71:                               ;   in Loop: Header=BB354_13 Depth=1
	s_or_b32 exec_lo, exec_lo, s52
	v_mov_b32_e32 v0, 24
	v_lshlrev_b32_e32 v27, 20, v27
	v_lshl_add_u32 v63, v63, 23, 0x3c000000
	v_lshlrev_b32_sdwa v65, v0, v64 dst_sel:DWORD dst_unused:UNUSED_PAD src0_sel:DWORD src1_sel:WORD_1
	v_and_b32_e32 v65, 0x80000000, v65
	v_or3_b32 v63, v27, v65, v63
.LBB354_72:                             ;   in Loop: Header=BB354_13 Depth=1
	s_or_b32 exec_lo, exec_lo, s51
.LBB354_73:                             ;   in Loop: Header=BB354_13 Depth=1
	s_or_b32 exec_lo, exec_lo, s50
.LBB354_74:                             ;   in Loop: Header=BB354_13 Depth=1
	s_or_b32 exec_lo, exec_lo, s3
	s_mov_b32 s3, exec_lo
	v_cmpx_lt_u32_e32 0xffffff, v64
	s_cbranch_execz .LBB354_82
; %bb.75:                               ;   in Loop: Header=BB354_13 Depth=1
	v_cmp_ne_u32_sdwa s2, v64, v45 src0_sel:BYTE_3 src1_sel:DWORD
	v_bfrev_b32_e32 v62, 1
	s_and_saveexec_b32 s50, s2
	s_cbranch_execz .LBB354_81
; %bb.76:                               ;   in Loop: Header=BB354_13 Depth=1
	v_bfe_u32 v65, v64, 24, 7
	v_mov_b32_e32 v62, 0x7f800001
	s_mov_b32 s51, exec_lo
	v_cmpx_ne_u32_e32 0x7f, v65
	s_cbranch_execz .LBB354_80
; %bb.77:                               ;   in Loop: Header=BB354_13 Depth=1
	v_mov_b32_e32 v0, 7
	v_lshrrev_b32_e32 v62, 3, v65
	s_mov_b32 s52, exec_lo
	v_and_b32_sdwa v27, v64, v0 dst_sel:DWORD dst_unused:UNUSED_PAD src0_sel:BYTE_3 src1_sel:DWORD
	v_cmpx_gt_u32_e32 8, v65
; %bb.78:                               ;   in Loop: Header=BB354_13 Depth=1
	v_ffbh_u32_e32 v62, v27
	v_min_u32_e32 v62, 32, v62
	v_subrev_nc_u32_e32 v65, 28, v62
	v_sub_nc_u32_e32 v62, 29, v62
	v_lshlrev_b64 v[65:66], v65, v[27:28]
	v_and_b32_e32 v27, 7, v65
; %bb.79:                               ;   in Loop: Header=BB354_13 Depth=1
	s_or_b32 exec_lo, exec_lo, s52
	v_mov_b32_e32 v0, 24
	v_lshlrev_b32_e32 v27, 20, v27
	v_lshl_add_u32 v62, v62, 23, 0x3c000000
	v_lshlrev_b32_sdwa v64, v0, v64 dst_sel:DWORD dst_unused:UNUSED_PAD src0_sel:DWORD src1_sel:BYTE_3
	v_and_b32_e32 v64, 0x80000000, v64
	v_or3_b32 v62, v27, v64, v62
.LBB354_80:                             ;   in Loop: Header=BB354_13 Depth=1
	s_or_b32 exec_lo, exec_lo, s51
.LBB354_81:                             ;   in Loop: Header=BB354_13 Depth=1
	s_or_b32 exec_lo, exec_lo, s50
.LBB354_82:                             ;   in Loop: Header=BB354_13 Depth=1
	s_or_b32 exec_lo, exec_lo, s3
	global_load_dword v68, v[33:34], off offset:256
	v_mov_b32_e32 v64, 0
	v_mov_b32_e32 v65, 0
	s_waitcnt vmcnt(0)
	v_cmp_ne_u16_sdwa s2, v68, v28 src0_sel:BYTE_0 src1_sel:DWORD
	s_and_saveexec_b32 s3, s2
	s_cbranch_execz .LBB354_90
; %bb.83:                               ;   in Loop: Header=BB354_13 Depth=1
	v_cmp_ne_u16_sdwa s2, v68, v45 src0_sel:BYTE_0 src1_sel:DWORD
	v_bfrev_b32_e32 v65, 1
	s_and_saveexec_b32 s50, s2
	s_cbranch_execz .LBB354_89
; %bb.84:                               ;   in Loop: Header=BB354_13 Depth=1
	v_and_b32_e32 v66, 0x7f, v68
	v_mov_b32_e32 v65, 0x7f800001
	s_mov_b32 s51, exec_lo
	v_cmpx_ne_u32_e32 0x7f, v66
	s_cbranch_execz .LBB354_88
; %bb.85:                               ;   in Loop: Header=BB354_13 Depth=1
	v_and_b32_e32 v27, 7, v68
	v_lshrrev_b32_e32 v65, 3, v66
	s_mov_b32 s52, exec_lo
	v_cmpx_gt_u32_e32 8, v66
; %bb.86:                               ;   in Loop: Header=BB354_13 Depth=1
	v_ffbh_u32_e32 v65, v27
	v_min_u32_e32 v65, 32, v65
	v_subrev_nc_u32_e32 v66, 28, v65
	v_sub_nc_u32_e32 v65, 29, v65
	v_lshlrev_b64 v[66:67], v66, v[27:28]
	v_and_b32_e32 v27, 7, v66
; %bb.87:                               ;   in Loop: Header=BB354_13 Depth=1
	s_or_b32 exec_lo, exec_lo, s52
	v_lshlrev_b32_e32 v66, 24, v68
	v_lshlrev_b32_e32 v27, 20, v27
	v_lshl_add_u32 v65, v65, 23, 0x3c000000
	v_and_b32_e32 v66, 0x80000000, v66
	v_or3_b32 v65, v27, v66, v65
.LBB354_88:                             ;   in Loop: Header=BB354_13 Depth=1
	s_or_b32 exec_lo, exec_lo, s51
.LBB354_89:                             ;   in Loop: Header=BB354_13 Depth=1
	s_or_b32 exec_lo, exec_lo, s50
.LBB354_90:                             ;   in Loop: Header=BB354_13 Depth=1
	s_or_b32 exec_lo, exec_lo, s3
	v_cmp_ne_u16_sdwa s2, v68, v28 src0_sel:BYTE_1 src1_sel:DWORD
	s_and_saveexec_b32 s3, s2
	s_cbranch_execz .LBB354_98
; %bb.91:                               ;   in Loop: Header=BB354_13 Depth=1
	v_cmp_ne_u16_sdwa s2, v68, v45 src0_sel:BYTE_1 src1_sel:DWORD
	v_bfrev_b32_e32 v64, 1
	s_and_saveexec_b32 s50, s2
	s_cbranch_execz .LBB354_97
; %bb.92:                               ;   in Loop: Header=BB354_13 Depth=1
	v_mov_b32_e32 v0, 0xffff
	v_mov_b32_e32 v64, 0x7f800001
	s_mov_b32 s51, exec_lo
	v_and_b32_sdwa v27, v0, v68 dst_sel:DWORD dst_unused:UNUSED_PAD src0_sel:DWORD src1_sel:BYTE_1
	v_and_b32_e32 v66, 0x7f, v27
	v_cmpx_ne_u32_e32 0x7f, v66
	s_cbranch_execz .LBB354_96
; %bb.93:                               ;   in Loop: Header=BB354_13 Depth=1
	v_and_b32_e32 v27, 7, v27
	v_lshrrev_b32_e32 v64, 3, v66
	s_mov_b32 s52, exec_lo
	v_cmpx_gt_u32_e32 8, v66
; %bb.94:                               ;   in Loop: Header=BB354_13 Depth=1
	v_ffbh_u32_e32 v64, v27
	v_min_u32_e32 v64, 32, v64
	v_subrev_nc_u32_e32 v66, 28, v64
	v_sub_nc_u32_e32 v64, 29, v64
	v_lshlrev_b64 v[66:67], v66, v[27:28]
	v_and_b32_e32 v27, 7, v66
; %bb.95:                               ;   in Loop: Header=BB354_13 Depth=1
	s_or_b32 exec_lo, exec_lo, s52
	v_lshlrev_b32_e32 v66, 16, v68
	v_lshlrev_b32_e32 v27, 20, v27
	v_lshl_add_u32 v64, v64, 23, 0x3c000000
	v_and_b32_e32 v66, 0x80000000, v66
	v_or3_b32 v64, v27, v66, v64
.LBB354_96:                             ;   in Loop: Header=BB354_13 Depth=1
	s_or_b32 exec_lo, exec_lo, s51
.LBB354_97:                             ;   in Loop: Header=BB354_13 Depth=1
	s_or_b32 exec_lo, exec_lo, s50
.LBB354_98:                             ;   in Loop: Header=BB354_13 Depth=1
	s_or_b32 exec_lo, exec_lo, s3
	v_and_b32_sdwa v27, v68, v47 dst_sel:DWORD dst_unused:UNUSED_PAD src0_sel:WORD_1 src1_sel:DWORD
	v_mov_b32_e32 v66, 0
	v_mov_b32_e32 v67, 0
	s_mov_b32 s3, exec_lo
	v_cmpx_ne_u16_e32 0, v27
	s_cbranch_execz .LBB354_106
; %bb.99:                               ;   in Loop: Header=BB354_13 Depth=1
	v_bfrev_b32_e32 v67, 1
	s_mov_b32 s50, exec_lo
	v_cmpx_ne_u16_e32 0x80, v27
	s_cbranch_execz .LBB354_105
; %bb.100:                              ;   in Loop: Header=BB354_13 Depth=1
	v_bfe_u32 v69, v68, 16, 7
	v_mov_b32_e32 v67, 0x7f800001
	s_mov_b32 s51, exec_lo
	v_cmpx_ne_u32_e32 0x7f, v69
	s_cbranch_execz .LBB354_104
; %bb.101:                              ;   in Loop: Header=BB354_13 Depth=1
	v_mov_b32_e32 v0, 7
	v_lshrrev_b32_e32 v67, 3, v69
	s_mov_b32 s52, exec_lo
	v_and_b32_sdwa v27, v68, v0 dst_sel:DWORD dst_unused:UNUSED_PAD src0_sel:WORD_1 src1_sel:DWORD
	v_cmpx_gt_u32_e32 8, v69
; %bb.102:                              ;   in Loop: Header=BB354_13 Depth=1
	v_ffbh_u32_e32 v67, v27
	v_min_u32_e32 v67, 32, v67
	v_subrev_nc_u32_e32 v69, 28, v67
	v_sub_nc_u32_e32 v67, 29, v67
	v_lshlrev_b64 v[69:70], v69, v[27:28]
	v_and_b32_e32 v27, 7, v69
; %bb.103:                              ;   in Loop: Header=BB354_13 Depth=1
	s_or_b32 exec_lo, exec_lo, s52
	v_mov_b32_e32 v0, 24
	v_lshlrev_b32_e32 v27, 20, v27
	v_lshl_add_u32 v67, v67, 23, 0x3c000000
	v_lshlrev_b32_sdwa v69, v0, v68 dst_sel:DWORD dst_unused:UNUSED_PAD src0_sel:DWORD src1_sel:WORD_1
	v_and_b32_e32 v69, 0x80000000, v69
	v_or3_b32 v67, v27, v69, v67
.LBB354_104:                            ;   in Loop: Header=BB354_13 Depth=1
	s_or_b32 exec_lo, exec_lo, s51
.LBB354_105:                            ;   in Loop: Header=BB354_13 Depth=1
	s_or_b32 exec_lo, exec_lo, s50
.LBB354_106:                            ;   in Loop: Header=BB354_13 Depth=1
	s_or_b32 exec_lo, exec_lo, s3
	s_mov_b32 s3, exec_lo
	v_cmpx_lt_u32_e32 0xffffff, v68
	s_cbranch_execz .LBB354_114
; %bb.107:                              ;   in Loop: Header=BB354_13 Depth=1
	v_cmp_ne_u32_sdwa s2, v68, v45 src0_sel:BYTE_3 src1_sel:DWORD
	v_bfrev_b32_e32 v66, 1
	s_and_saveexec_b32 s50, s2
	s_cbranch_execz .LBB354_113
; %bb.108:                              ;   in Loop: Header=BB354_13 Depth=1
	v_bfe_u32 v69, v68, 24, 7
	v_mov_b32_e32 v66, 0x7f800001
	s_mov_b32 s51, exec_lo
	v_cmpx_ne_u32_e32 0x7f, v69
	s_cbranch_execz .LBB354_112
; %bb.109:                              ;   in Loop: Header=BB354_13 Depth=1
	v_mov_b32_e32 v0, 7
	v_lshrrev_b32_e32 v66, 3, v69
	s_mov_b32 s52, exec_lo
	v_and_b32_sdwa v27, v68, v0 dst_sel:DWORD dst_unused:UNUSED_PAD src0_sel:BYTE_3 src1_sel:DWORD
	v_cmpx_gt_u32_e32 8, v69
; %bb.110:                              ;   in Loop: Header=BB354_13 Depth=1
	v_ffbh_u32_e32 v66, v27
	v_min_u32_e32 v66, 32, v66
	v_subrev_nc_u32_e32 v69, 28, v66
	v_sub_nc_u32_e32 v66, 29, v66
	v_lshlrev_b64 v[69:70], v69, v[27:28]
	v_and_b32_e32 v27, 7, v69
; %bb.111:                              ;   in Loop: Header=BB354_13 Depth=1
	s_or_b32 exec_lo, exec_lo, s52
	v_mov_b32_e32 v0, 24
	v_lshlrev_b32_e32 v27, 20, v27
	v_lshl_add_u32 v66, v66, 23, 0x3c000000
	v_lshlrev_b32_sdwa v68, v0, v68 dst_sel:DWORD dst_unused:UNUSED_PAD src0_sel:DWORD src1_sel:BYTE_3
	v_and_b32_e32 v68, 0x80000000, v68
	v_or3_b32 v66, v27, v68, v66
.LBB354_112:                            ;   in Loop: Header=BB354_13 Depth=1
	s_or_b32 exec_lo, exec_lo, s51
.LBB354_113:                            ;   in Loop: Header=BB354_13 Depth=1
	s_or_b32 exec_lo, exec_lo, s50
.LBB354_114:                            ;   in Loop: Header=BB354_13 Depth=1
	s_or_b32 exec_lo, exec_lo, s3
	global_load_dword v72, v[33:34], off offset:264
	v_mov_b32_e32 v68, 0
	v_mov_b32_e32 v69, 0
	s_waitcnt vmcnt(0)
	v_cmp_ne_u16_sdwa s2, v72, v28 src0_sel:BYTE_0 src1_sel:DWORD
	s_and_saveexec_b32 s3, s2
	s_cbranch_execz .LBB354_122
; %bb.115:                              ;   in Loop: Header=BB354_13 Depth=1
	v_cmp_ne_u16_sdwa s2, v72, v45 src0_sel:BYTE_0 src1_sel:DWORD
	v_bfrev_b32_e32 v69, 1
	s_and_saveexec_b32 s50, s2
	s_cbranch_execz .LBB354_121
; %bb.116:                              ;   in Loop: Header=BB354_13 Depth=1
	v_and_b32_e32 v70, 0x7f, v72
	v_mov_b32_e32 v69, 0x7f800001
	s_mov_b32 s51, exec_lo
	v_cmpx_ne_u32_e32 0x7f, v70
	s_cbranch_execz .LBB354_120
; %bb.117:                              ;   in Loop: Header=BB354_13 Depth=1
	v_and_b32_e32 v27, 7, v72
	v_lshrrev_b32_e32 v69, 3, v70
	s_mov_b32 s52, exec_lo
	v_cmpx_gt_u32_e32 8, v70
; %bb.118:                              ;   in Loop: Header=BB354_13 Depth=1
	v_ffbh_u32_e32 v69, v27
	v_min_u32_e32 v69, 32, v69
	v_subrev_nc_u32_e32 v70, 28, v69
	v_sub_nc_u32_e32 v69, 29, v69
	v_lshlrev_b64 v[70:71], v70, v[27:28]
	v_and_b32_e32 v27, 7, v70
; %bb.119:                              ;   in Loop: Header=BB354_13 Depth=1
	s_or_b32 exec_lo, exec_lo, s52
	v_lshlrev_b32_e32 v70, 24, v72
	v_lshlrev_b32_e32 v27, 20, v27
	v_lshl_add_u32 v69, v69, 23, 0x3c000000
	v_and_b32_e32 v70, 0x80000000, v70
	v_or3_b32 v69, v27, v70, v69
.LBB354_120:                            ;   in Loop: Header=BB354_13 Depth=1
	s_or_b32 exec_lo, exec_lo, s51
.LBB354_121:                            ;   in Loop: Header=BB354_13 Depth=1
	s_or_b32 exec_lo, exec_lo, s50
.LBB354_122:                            ;   in Loop: Header=BB354_13 Depth=1
	s_or_b32 exec_lo, exec_lo, s3
	v_cmp_ne_u16_sdwa s2, v72, v28 src0_sel:BYTE_1 src1_sel:DWORD
	s_and_saveexec_b32 s3, s2
	s_cbranch_execz .LBB354_130
; %bb.123:                              ;   in Loop: Header=BB354_13 Depth=1
	v_cmp_ne_u16_sdwa s2, v72, v45 src0_sel:BYTE_1 src1_sel:DWORD
	v_bfrev_b32_e32 v68, 1
	s_and_saveexec_b32 s50, s2
	s_cbranch_execz .LBB354_129
; %bb.124:                              ;   in Loop: Header=BB354_13 Depth=1
	v_mov_b32_e32 v0, 0xffff
	v_mov_b32_e32 v68, 0x7f800001
	s_mov_b32 s51, exec_lo
	v_and_b32_sdwa v27, v0, v72 dst_sel:DWORD dst_unused:UNUSED_PAD src0_sel:DWORD src1_sel:BYTE_1
	v_and_b32_e32 v70, 0x7f, v27
	v_cmpx_ne_u32_e32 0x7f, v70
	s_cbranch_execz .LBB354_128
; %bb.125:                              ;   in Loop: Header=BB354_13 Depth=1
	v_and_b32_e32 v27, 7, v27
	v_lshrrev_b32_e32 v68, 3, v70
	s_mov_b32 s52, exec_lo
	v_cmpx_gt_u32_e32 8, v70
; %bb.126:                              ;   in Loop: Header=BB354_13 Depth=1
	v_ffbh_u32_e32 v68, v27
	v_min_u32_e32 v68, 32, v68
	v_subrev_nc_u32_e32 v70, 28, v68
	v_sub_nc_u32_e32 v68, 29, v68
	v_lshlrev_b64 v[70:71], v70, v[27:28]
	v_and_b32_e32 v27, 7, v70
; %bb.127:                              ;   in Loop: Header=BB354_13 Depth=1
	s_or_b32 exec_lo, exec_lo, s52
	v_lshlrev_b32_e32 v70, 16, v72
	v_lshlrev_b32_e32 v27, 20, v27
	v_lshl_add_u32 v68, v68, 23, 0x3c000000
	v_and_b32_e32 v70, 0x80000000, v70
	v_or3_b32 v68, v27, v70, v68
.LBB354_128:                            ;   in Loop: Header=BB354_13 Depth=1
	s_or_b32 exec_lo, exec_lo, s51
.LBB354_129:                            ;   in Loop: Header=BB354_13 Depth=1
	s_or_b32 exec_lo, exec_lo, s50
.LBB354_130:                            ;   in Loop: Header=BB354_13 Depth=1
	s_or_b32 exec_lo, exec_lo, s3
	v_and_b32_sdwa v27, v72, v47 dst_sel:DWORD dst_unused:UNUSED_PAD src0_sel:WORD_1 src1_sel:DWORD
	v_mov_b32_e32 v70, 0
	v_mov_b32_e32 v71, 0
	s_mov_b32 s3, exec_lo
	v_cmpx_ne_u16_e32 0, v27
	s_cbranch_execz .LBB354_138
; %bb.131:                              ;   in Loop: Header=BB354_13 Depth=1
	v_bfrev_b32_e32 v71, 1
	s_mov_b32 s50, exec_lo
	v_cmpx_ne_u16_e32 0x80, v27
	s_cbranch_execz .LBB354_137
; %bb.132:                              ;   in Loop: Header=BB354_13 Depth=1
	v_bfe_u32 v73, v72, 16, 7
	v_mov_b32_e32 v71, 0x7f800001
	s_mov_b32 s51, exec_lo
	v_cmpx_ne_u32_e32 0x7f, v73
	s_cbranch_execz .LBB354_136
; %bb.133:                              ;   in Loop: Header=BB354_13 Depth=1
	v_mov_b32_e32 v0, 7
	v_lshrrev_b32_e32 v71, 3, v73
	s_mov_b32 s52, exec_lo
	v_and_b32_sdwa v27, v72, v0 dst_sel:DWORD dst_unused:UNUSED_PAD src0_sel:WORD_1 src1_sel:DWORD
	v_cmpx_gt_u32_e32 8, v73
; %bb.134:                              ;   in Loop: Header=BB354_13 Depth=1
	v_ffbh_u32_e32 v71, v27
	v_min_u32_e32 v71, 32, v71
	v_subrev_nc_u32_e32 v73, 28, v71
	v_sub_nc_u32_e32 v71, 29, v71
	v_lshlrev_b64 v[73:74], v73, v[27:28]
	v_and_b32_e32 v27, 7, v73
; %bb.135:                              ;   in Loop: Header=BB354_13 Depth=1
	s_or_b32 exec_lo, exec_lo, s52
	v_mov_b32_e32 v0, 24
	v_lshlrev_b32_e32 v27, 20, v27
	v_lshl_add_u32 v71, v71, 23, 0x3c000000
	v_lshlrev_b32_sdwa v73, v0, v72 dst_sel:DWORD dst_unused:UNUSED_PAD src0_sel:DWORD src1_sel:WORD_1
	v_and_b32_e32 v73, 0x80000000, v73
	v_or3_b32 v71, v27, v73, v71
.LBB354_136:                            ;   in Loop: Header=BB354_13 Depth=1
	s_or_b32 exec_lo, exec_lo, s51
.LBB354_137:                            ;   in Loop: Header=BB354_13 Depth=1
	s_or_b32 exec_lo, exec_lo, s50
.LBB354_138:                            ;   in Loop: Header=BB354_13 Depth=1
	s_or_b32 exec_lo, exec_lo, s3
	s_mov_b32 s3, exec_lo
	v_cmpx_lt_u32_e32 0xffffff, v72
	s_cbranch_execz .LBB354_146
; %bb.139:                              ;   in Loop: Header=BB354_13 Depth=1
	v_cmp_ne_u32_sdwa s2, v72, v45 src0_sel:BYTE_3 src1_sel:DWORD
	v_bfrev_b32_e32 v70, 1
	s_and_saveexec_b32 s50, s2
	s_cbranch_execz .LBB354_145
; %bb.140:                              ;   in Loop: Header=BB354_13 Depth=1
	v_bfe_u32 v73, v72, 24, 7
	v_mov_b32_e32 v70, 0x7f800001
	s_mov_b32 s51, exec_lo
	v_cmpx_ne_u32_e32 0x7f, v73
	s_cbranch_execz .LBB354_144
; %bb.141:                              ;   in Loop: Header=BB354_13 Depth=1
	v_mov_b32_e32 v0, 7
	v_lshrrev_b32_e32 v70, 3, v73
	s_mov_b32 s52, exec_lo
	v_and_b32_sdwa v27, v72, v0 dst_sel:DWORD dst_unused:UNUSED_PAD src0_sel:BYTE_3 src1_sel:DWORD
	v_cmpx_gt_u32_e32 8, v73
; %bb.142:                              ;   in Loop: Header=BB354_13 Depth=1
	v_ffbh_u32_e32 v70, v27
	v_min_u32_e32 v70, 32, v70
	v_subrev_nc_u32_e32 v73, 28, v70
	v_sub_nc_u32_e32 v70, 29, v70
	v_lshlrev_b64 v[73:74], v73, v[27:28]
	v_and_b32_e32 v27, 7, v73
; %bb.143:                              ;   in Loop: Header=BB354_13 Depth=1
	s_or_b32 exec_lo, exec_lo, s52
	v_mov_b32_e32 v0, 24
	v_lshlrev_b32_e32 v27, 20, v27
	v_lshl_add_u32 v70, v70, 23, 0x3c000000
	v_lshlrev_b32_sdwa v72, v0, v72 dst_sel:DWORD dst_unused:UNUSED_PAD src0_sel:DWORD src1_sel:BYTE_3
	v_and_b32_e32 v72, 0x80000000, v72
	v_or3_b32 v70, v27, v72, v70
.LBB354_144:                            ;   in Loop: Header=BB354_13 Depth=1
	s_or_b32 exec_lo, exec_lo, s51
.LBB354_145:                            ;   in Loop: Header=BB354_13 Depth=1
	s_or_b32 exec_lo, exec_lo, s50
.LBB354_146:                            ;   in Loop: Header=BB354_13 Depth=1
	s_or_b32 exec_lo, exec_lo, s3
	global_load_dword v76, v[33:34], off offset:512
	v_mov_b32_e32 v72, 0
	v_mov_b32_e32 v73, 0
	s_waitcnt vmcnt(0)
	v_cmp_ne_u16_sdwa s2, v76, v28 src0_sel:BYTE_0 src1_sel:DWORD
	s_and_saveexec_b32 s3, s2
	s_cbranch_execz .LBB354_154
; %bb.147:                              ;   in Loop: Header=BB354_13 Depth=1
	v_cmp_ne_u16_sdwa s2, v76, v45 src0_sel:BYTE_0 src1_sel:DWORD
	v_bfrev_b32_e32 v73, 1
	s_and_saveexec_b32 s50, s2
	s_cbranch_execz .LBB354_153
; %bb.148:                              ;   in Loop: Header=BB354_13 Depth=1
	v_and_b32_e32 v74, 0x7f, v76
	v_mov_b32_e32 v73, 0x7f800001
	s_mov_b32 s51, exec_lo
	v_cmpx_ne_u32_e32 0x7f, v74
	s_cbranch_execz .LBB354_152
; %bb.149:                              ;   in Loop: Header=BB354_13 Depth=1
	v_and_b32_e32 v27, 7, v76
	v_lshrrev_b32_e32 v73, 3, v74
	s_mov_b32 s52, exec_lo
	v_cmpx_gt_u32_e32 8, v74
; %bb.150:                              ;   in Loop: Header=BB354_13 Depth=1
	v_ffbh_u32_e32 v73, v27
	v_min_u32_e32 v73, 32, v73
	v_subrev_nc_u32_e32 v74, 28, v73
	v_sub_nc_u32_e32 v73, 29, v73
	v_lshlrev_b64 v[74:75], v74, v[27:28]
	v_and_b32_e32 v27, 7, v74
; %bb.151:                              ;   in Loop: Header=BB354_13 Depth=1
	s_or_b32 exec_lo, exec_lo, s52
	v_lshlrev_b32_e32 v74, 24, v76
	v_lshlrev_b32_e32 v27, 20, v27
	v_lshl_add_u32 v73, v73, 23, 0x3c000000
	v_and_b32_e32 v74, 0x80000000, v74
	v_or3_b32 v73, v27, v74, v73
.LBB354_152:                            ;   in Loop: Header=BB354_13 Depth=1
	s_or_b32 exec_lo, exec_lo, s51
.LBB354_153:                            ;   in Loop: Header=BB354_13 Depth=1
	s_or_b32 exec_lo, exec_lo, s50
.LBB354_154:                            ;   in Loop: Header=BB354_13 Depth=1
	s_or_b32 exec_lo, exec_lo, s3
	v_cmp_ne_u16_sdwa s2, v76, v28 src0_sel:BYTE_1 src1_sel:DWORD
	s_and_saveexec_b32 s3, s2
	s_cbranch_execz .LBB354_162
; %bb.155:                              ;   in Loop: Header=BB354_13 Depth=1
	v_cmp_ne_u16_sdwa s2, v76, v45 src0_sel:BYTE_1 src1_sel:DWORD
	v_bfrev_b32_e32 v72, 1
	s_and_saveexec_b32 s50, s2
	s_cbranch_execz .LBB354_161
; %bb.156:                              ;   in Loop: Header=BB354_13 Depth=1
	v_mov_b32_e32 v0, 0xffff
	v_mov_b32_e32 v72, 0x7f800001
	s_mov_b32 s51, exec_lo
	v_and_b32_sdwa v27, v0, v76 dst_sel:DWORD dst_unused:UNUSED_PAD src0_sel:DWORD src1_sel:BYTE_1
	v_and_b32_e32 v74, 0x7f, v27
	v_cmpx_ne_u32_e32 0x7f, v74
	s_cbranch_execz .LBB354_160
; %bb.157:                              ;   in Loop: Header=BB354_13 Depth=1
	v_and_b32_e32 v27, 7, v27
	v_lshrrev_b32_e32 v72, 3, v74
	s_mov_b32 s52, exec_lo
	v_cmpx_gt_u32_e32 8, v74
; %bb.158:                              ;   in Loop: Header=BB354_13 Depth=1
	v_ffbh_u32_e32 v72, v27
	v_min_u32_e32 v72, 32, v72
	v_subrev_nc_u32_e32 v74, 28, v72
	v_sub_nc_u32_e32 v72, 29, v72
	v_lshlrev_b64 v[74:75], v74, v[27:28]
	v_and_b32_e32 v27, 7, v74
; %bb.159:                              ;   in Loop: Header=BB354_13 Depth=1
	s_or_b32 exec_lo, exec_lo, s52
	v_lshlrev_b32_e32 v74, 16, v76
	v_lshlrev_b32_e32 v27, 20, v27
	v_lshl_add_u32 v72, v72, 23, 0x3c000000
	v_and_b32_e32 v74, 0x80000000, v74
	v_or3_b32 v72, v27, v74, v72
.LBB354_160:                            ;   in Loop: Header=BB354_13 Depth=1
	s_or_b32 exec_lo, exec_lo, s51
.LBB354_161:                            ;   in Loop: Header=BB354_13 Depth=1
	s_or_b32 exec_lo, exec_lo, s50
.LBB354_162:                            ;   in Loop: Header=BB354_13 Depth=1
	s_or_b32 exec_lo, exec_lo, s3
	v_and_b32_sdwa v27, v76, v47 dst_sel:DWORD dst_unused:UNUSED_PAD src0_sel:WORD_1 src1_sel:DWORD
	v_mov_b32_e32 v74, 0
	v_mov_b32_e32 v75, 0
	s_mov_b32 s3, exec_lo
	v_cmpx_ne_u16_e32 0, v27
	s_cbranch_execz .LBB354_170
; %bb.163:                              ;   in Loop: Header=BB354_13 Depth=1
	v_bfrev_b32_e32 v75, 1
	s_mov_b32 s50, exec_lo
	v_cmpx_ne_u16_e32 0x80, v27
	s_cbranch_execz .LBB354_169
; %bb.164:                              ;   in Loop: Header=BB354_13 Depth=1
	v_bfe_u32 v77, v76, 16, 7
	v_mov_b32_e32 v75, 0x7f800001
	s_mov_b32 s51, exec_lo
	v_cmpx_ne_u32_e32 0x7f, v77
	s_cbranch_execz .LBB354_168
; %bb.165:                              ;   in Loop: Header=BB354_13 Depth=1
	v_mov_b32_e32 v0, 7
	v_lshrrev_b32_e32 v75, 3, v77
	s_mov_b32 s52, exec_lo
	v_and_b32_sdwa v27, v76, v0 dst_sel:DWORD dst_unused:UNUSED_PAD src0_sel:WORD_1 src1_sel:DWORD
	v_cmpx_gt_u32_e32 8, v77
; %bb.166:                              ;   in Loop: Header=BB354_13 Depth=1
	v_ffbh_u32_e32 v75, v27
	v_min_u32_e32 v75, 32, v75
	v_subrev_nc_u32_e32 v77, 28, v75
	v_sub_nc_u32_e32 v75, 29, v75
	v_lshlrev_b64 v[77:78], v77, v[27:28]
	v_and_b32_e32 v27, 7, v77
; %bb.167:                              ;   in Loop: Header=BB354_13 Depth=1
	s_or_b32 exec_lo, exec_lo, s52
	v_mov_b32_e32 v0, 24
	v_lshlrev_b32_e32 v27, 20, v27
	v_lshl_add_u32 v75, v75, 23, 0x3c000000
	v_lshlrev_b32_sdwa v77, v0, v76 dst_sel:DWORD dst_unused:UNUSED_PAD src0_sel:DWORD src1_sel:WORD_1
	v_and_b32_e32 v77, 0x80000000, v77
	v_or3_b32 v75, v27, v77, v75
.LBB354_168:                            ;   in Loop: Header=BB354_13 Depth=1
	s_or_b32 exec_lo, exec_lo, s51
.LBB354_169:                            ;   in Loop: Header=BB354_13 Depth=1
	s_or_b32 exec_lo, exec_lo, s50
.LBB354_170:                            ;   in Loop: Header=BB354_13 Depth=1
	s_or_b32 exec_lo, exec_lo, s3
	s_mov_b32 s3, exec_lo
	v_cmpx_lt_u32_e32 0xffffff, v76
	s_cbranch_execz .LBB354_178
; %bb.171:                              ;   in Loop: Header=BB354_13 Depth=1
	v_cmp_ne_u32_sdwa s2, v76, v45 src0_sel:BYTE_3 src1_sel:DWORD
	v_bfrev_b32_e32 v74, 1
	s_and_saveexec_b32 s50, s2
	s_cbranch_execz .LBB354_177
; %bb.172:                              ;   in Loop: Header=BB354_13 Depth=1
	v_bfe_u32 v77, v76, 24, 7
	v_mov_b32_e32 v74, 0x7f800001
	s_mov_b32 s51, exec_lo
	v_cmpx_ne_u32_e32 0x7f, v77
	s_cbranch_execz .LBB354_176
; %bb.173:                              ;   in Loop: Header=BB354_13 Depth=1
	v_mov_b32_e32 v0, 7
	v_lshrrev_b32_e32 v74, 3, v77
	s_mov_b32 s52, exec_lo
	v_and_b32_sdwa v27, v76, v0 dst_sel:DWORD dst_unused:UNUSED_PAD src0_sel:BYTE_3 src1_sel:DWORD
	v_cmpx_gt_u32_e32 8, v77
; %bb.174:                              ;   in Loop: Header=BB354_13 Depth=1
	v_ffbh_u32_e32 v74, v27
	v_min_u32_e32 v74, 32, v74
	v_subrev_nc_u32_e32 v77, 28, v74
	v_sub_nc_u32_e32 v74, 29, v74
	v_lshlrev_b64 v[77:78], v77, v[27:28]
	v_and_b32_e32 v27, 7, v77
; %bb.175:                              ;   in Loop: Header=BB354_13 Depth=1
	s_or_b32 exec_lo, exec_lo, s52
	v_mov_b32_e32 v0, 24
	v_lshlrev_b32_e32 v27, 20, v27
	v_lshl_add_u32 v74, v74, 23, 0x3c000000
	v_lshlrev_b32_sdwa v76, v0, v76 dst_sel:DWORD dst_unused:UNUSED_PAD src0_sel:DWORD src1_sel:BYTE_3
	v_and_b32_e32 v76, 0x80000000, v76
	v_or3_b32 v74, v27, v76, v74
.LBB354_176:                            ;   in Loop: Header=BB354_13 Depth=1
	s_or_b32 exec_lo, exec_lo, s51
.LBB354_177:                            ;   in Loop: Header=BB354_13 Depth=1
	s_or_b32 exec_lo, exec_lo, s50
.LBB354_178:                            ;   in Loop: Header=BB354_13 Depth=1
	s_or_b32 exec_lo, exec_lo, s3
	global_load_dword v80, v[33:34], off offset:520
	v_mov_b32_e32 v76, 0
	v_mov_b32_e32 v77, 0
	s_waitcnt vmcnt(0)
	v_cmp_ne_u16_sdwa s2, v80, v28 src0_sel:BYTE_0 src1_sel:DWORD
	s_and_saveexec_b32 s3, s2
	s_cbranch_execz .LBB354_186
; %bb.179:                              ;   in Loop: Header=BB354_13 Depth=1
	v_cmp_ne_u16_sdwa s2, v80, v45 src0_sel:BYTE_0 src1_sel:DWORD
	v_bfrev_b32_e32 v77, 1
	s_and_saveexec_b32 s50, s2
	s_cbranch_execz .LBB354_185
; %bb.180:                              ;   in Loop: Header=BB354_13 Depth=1
	v_and_b32_e32 v78, 0x7f, v80
	v_mov_b32_e32 v77, 0x7f800001
	s_mov_b32 s51, exec_lo
	v_cmpx_ne_u32_e32 0x7f, v78
	s_cbranch_execz .LBB354_184
; %bb.181:                              ;   in Loop: Header=BB354_13 Depth=1
	v_and_b32_e32 v27, 7, v80
	v_lshrrev_b32_e32 v77, 3, v78
	s_mov_b32 s52, exec_lo
	v_cmpx_gt_u32_e32 8, v78
; %bb.182:                              ;   in Loop: Header=BB354_13 Depth=1
	v_ffbh_u32_e32 v77, v27
	v_min_u32_e32 v77, 32, v77
	v_subrev_nc_u32_e32 v78, 28, v77
	v_sub_nc_u32_e32 v77, 29, v77
	v_lshlrev_b64 v[78:79], v78, v[27:28]
	v_and_b32_e32 v27, 7, v78
; %bb.183:                              ;   in Loop: Header=BB354_13 Depth=1
	s_or_b32 exec_lo, exec_lo, s52
	v_lshlrev_b32_e32 v78, 24, v80
	v_lshlrev_b32_e32 v27, 20, v27
	v_lshl_add_u32 v77, v77, 23, 0x3c000000
	v_and_b32_e32 v78, 0x80000000, v78
	v_or3_b32 v77, v27, v78, v77
.LBB354_184:                            ;   in Loop: Header=BB354_13 Depth=1
	s_or_b32 exec_lo, exec_lo, s51
.LBB354_185:                            ;   in Loop: Header=BB354_13 Depth=1
	s_or_b32 exec_lo, exec_lo, s50
.LBB354_186:                            ;   in Loop: Header=BB354_13 Depth=1
	s_or_b32 exec_lo, exec_lo, s3
	v_cmp_ne_u16_sdwa s2, v80, v28 src0_sel:BYTE_1 src1_sel:DWORD
	s_and_saveexec_b32 s3, s2
	s_cbranch_execz .LBB354_194
; %bb.187:                              ;   in Loop: Header=BB354_13 Depth=1
	v_cmp_ne_u16_sdwa s2, v80, v45 src0_sel:BYTE_1 src1_sel:DWORD
	v_bfrev_b32_e32 v76, 1
	s_and_saveexec_b32 s50, s2
	s_cbranch_execz .LBB354_193
; %bb.188:                              ;   in Loop: Header=BB354_13 Depth=1
	v_mov_b32_e32 v0, 0xffff
	v_mov_b32_e32 v76, 0x7f800001
	s_mov_b32 s51, exec_lo
	v_and_b32_sdwa v27, v0, v80 dst_sel:DWORD dst_unused:UNUSED_PAD src0_sel:DWORD src1_sel:BYTE_1
	v_and_b32_e32 v78, 0x7f, v27
	v_cmpx_ne_u32_e32 0x7f, v78
	s_cbranch_execz .LBB354_192
; %bb.189:                              ;   in Loop: Header=BB354_13 Depth=1
	v_and_b32_e32 v27, 7, v27
	v_lshrrev_b32_e32 v76, 3, v78
	s_mov_b32 s52, exec_lo
	v_cmpx_gt_u32_e32 8, v78
; %bb.190:                              ;   in Loop: Header=BB354_13 Depth=1
	v_ffbh_u32_e32 v76, v27
	v_min_u32_e32 v76, 32, v76
	v_subrev_nc_u32_e32 v78, 28, v76
	v_sub_nc_u32_e32 v76, 29, v76
	v_lshlrev_b64 v[78:79], v78, v[27:28]
	v_and_b32_e32 v27, 7, v78
; %bb.191:                              ;   in Loop: Header=BB354_13 Depth=1
	s_or_b32 exec_lo, exec_lo, s52
	v_lshlrev_b32_e32 v78, 16, v80
	v_lshlrev_b32_e32 v27, 20, v27
	v_lshl_add_u32 v76, v76, 23, 0x3c000000
	v_and_b32_e32 v78, 0x80000000, v78
	v_or3_b32 v76, v27, v78, v76
.LBB354_192:                            ;   in Loop: Header=BB354_13 Depth=1
	s_or_b32 exec_lo, exec_lo, s51
.LBB354_193:                            ;   in Loop: Header=BB354_13 Depth=1
	s_or_b32 exec_lo, exec_lo, s50
.LBB354_194:                            ;   in Loop: Header=BB354_13 Depth=1
	s_or_b32 exec_lo, exec_lo, s3
	v_and_b32_sdwa v27, v80, v47 dst_sel:DWORD dst_unused:UNUSED_PAD src0_sel:WORD_1 src1_sel:DWORD
	v_mov_b32_e32 v78, 0
	v_mov_b32_e32 v79, 0
	s_mov_b32 s3, exec_lo
	v_cmpx_ne_u16_e32 0, v27
	s_cbranch_execz .LBB354_202
; %bb.195:                              ;   in Loop: Header=BB354_13 Depth=1
	v_bfrev_b32_e32 v79, 1
	s_mov_b32 s50, exec_lo
	v_cmpx_ne_u16_e32 0x80, v27
	s_cbranch_execz .LBB354_201
; %bb.196:                              ;   in Loop: Header=BB354_13 Depth=1
	v_bfe_u32 v81, v80, 16, 7
	v_mov_b32_e32 v79, 0x7f800001
	s_mov_b32 s51, exec_lo
	v_cmpx_ne_u32_e32 0x7f, v81
	s_cbranch_execz .LBB354_200
; %bb.197:                              ;   in Loop: Header=BB354_13 Depth=1
	v_mov_b32_e32 v0, 7
	v_lshrrev_b32_e32 v79, 3, v81
	s_mov_b32 s52, exec_lo
	v_and_b32_sdwa v27, v80, v0 dst_sel:DWORD dst_unused:UNUSED_PAD src0_sel:WORD_1 src1_sel:DWORD
	v_cmpx_gt_u32_e32 8, v81
; %bb.198:                              ;   in Loop: Header=BB354_13 Depth=1
	v_ffbh_u32_e32 v79, v27
	v_min_u32_e32 v79, 32, v79
	v_subrev_nc_u32_e32 v81, 28, v79
	v_sub_nc_u32_e32 v79, 29, v79
	v_lshlrev_b64 v[81:82], v81, v[27:28]
	v_and_b32_e32 v27, 7, v81
; %bb.199:                              ;   in Loop: Header=BB354_13 Depth=1
	s_or_b32 exec_lo, exec_lo, s52
	v_mov_b32_e32 v0, 24
	v_lshlrev_b32_e32 v27, 20, v27
	v_lshl_add_u32 v79, v79, 23, 0x3c000000
	v_lshlrev_b32_sdwa v81, v0, v80 dst_sel:DWORD dst_unused:UNUSED_PAD src0_sel:DWORD src1_sel:WORD_1
	v_and_b32_e32 v81, 0x80000000, v81
	v_or3_b32 v79, v27, v81, v79
.LBB354_200:                            ;   in Loop: Header=BB354_13 Depth=1
	s_or_b32 exec_lo, exec_lo, s51
.LBB354_201:                            ;   in Loop: Header=BB354_13 Depth=1
	s_or_b32 exec_lo, exec_lo, s50
.LBB354_202:                            ;   in Loop: Header=BB354_13 Depth=1
	s_or_b32 exec_lo, exec_lo, s3
	s_mov_b32 s3, exec_lo
	v_cmpx_lt_u32_e32 0xffffff, v80
	s_cbranch_execz .LBB354_210
; %bb.203:                              ;   in Loop: Header=BB354_13 Depth=1
	v_cmp_ne_u32_sdwa s2, v80, v45 src0_sel:BYTE_3 src1_sel:DWORD
	v_bfrev_b32_e32 v78, 1
	s_and_saveexec_b32 s50, s2
	s_cbranch_execz .LBB354_209
; %bb.204:                              ;   in Loop: Header=BB354_13 Depth=1
	v_bfe_u32 v81, v80, 24, 7
	v_mov_b32_e32 v78, 0x7f800001
	s_mov_b32 s51, exec_lo
	v_cmpx_ne_u32_e32 0x7f, v81
	s_cbranch_execz .LBB354_208
; %bb.205:                              ;   in Loop: Header=BB354_13 Depth=1
	v_mov_b32_e32 v0, 7
	v_lshrrev_b32_e32 v78, 3, v81
	s_mov_b32 s52, exec_lo
	v_and_b32_sdwa v27, v80, v0 dst_sel:DWORD dst_unused:UNUSED_PAD src0_sel:BYTE_3 src1_sel:DWORD
	v_cmpx_gt_u32_e32 8, v81
; %bb.206:                              ;   in Loop: Header=BB354_13 Depth=1
	v_ffbh_u32_e32 v78, v27
	v_min_u32_e32 v78, 32, v78
	v_subrev_nc_u32_e32 v81, 28, v78
	v_sub_nc_u32_e32 v78, 29, v78
	v_lshlrev_b64 v[81:82], v81, v[27:28]
	v_and_b32_e32 v27, 7, v81
; %bb.207:                              ;   in Loop: Header=BB354_13 Depth=1
	s_or_b32 exec_lo, exec_lo, s52
	v_mov_b32_e32 v0, 24
	v_lshlrev_b32_e32 v27, 20, v27
	v_lshl_add_u32 v78, v78, 23, 0x3c000000
	v_lshlrev_b32_sdwa v80, v0, v80 dst_sel:DWORD dst_unused:UNUSED_PAD src0_sel:DWORD src1_sel:BYTE_3
	v_and_b32_e32 v80, 0x80000000, v80
	v_or3_b32 v78, v27, v80, v78
.LBB354_208:                            ;   in Loop: Header=BB354_13 Depth=1
	s_or_b32 exec_lo, exec_lo, s51
.LBB354_209:                            ;   in Loop: Header=BB354_13 Depth=1
	s_or_b32 exec_lo, exec_lo, s50
.LBB354_210:                            ;   in Loop: Header=BB354_13 Depth=1
	s_or_b32 exec_lo, exec_lo, s3
	global_load_dword v84, v[33:34], off offset:768
	v_mov_b32_e32 v80, 0
	v_mov_b32_e32 v81, 0
	s_waitcnt vmcnt(0)
	v_cmp_ne_u16_sdwa s2, v84, v28 src0_sel:BYTE_0 src1_sel:DWORD
	s_and_saveexec_b32 s3, s2
	s_cbranch_execz .LBB354_218
; %bb.211:                              ;   in Loop: Header=BB354_13 Depth=1
	v_cmp_ne_u16_sdwa s2, v84, v45 src0_sel:BYTE_0 src1_sel:DWORD
	v_bfrev_b32_e32 v81, 1
	s_and_saveexec_b32 s50, s2
	s_cbranch_execz .LBB354_217
; %bb.212:                              ;   in Loop: Header=BB354_13 Depth=1
	v_and_b32_e32 v82, 0x7f, v84
	v_mov_b32_e32 v81, 0x7f800001
	s_mov_b32 s51, exec_lo
	v_cmpx_ne_u32_e32 0x7f, v82
	s_cbranch_execz .LBB354_216
; %bb.213:                              ;   in Loop: Header=BB354_13 Depth=1
	v_and_b32_e32 v27, 7, v84
	v_lshrrev_b32_e32 v81, 3, v82
	s_mov_b32 s52, exec_lo
	v_cmpx_gt_u32_e32 8, v82
; %bb.214:                              ;   in Loop: Header=BB354_13 Depth=1
	v_ffbh_u32_e32 v81, v27
	v_min_u32_e32 v81, 32, v81
	v_subrev_nc_u32_e32 v82, 28, v81
	v_sub_nc_u32_e32 v81, 29, v81
	v_lshlrev_b64 v[82:83], v82, v[27:28]
	v_and_b32_e32 v27, 7, v82
; %bb.215:                              ;   in Loop: Header=BB354_13 Depth=1
	s_or_b32 exec_lo, exec_lo, s52
	v_lshlrev_b32_e32 v82, 24, v84
	v_lshlrev_b32_e32 v27, 20, v27
	v_lshl_add_u32 v81, v81, 23, 0x3c000000
	v_and_b32_e32 v82, 0x80000000, v82
	v_or3_b32 v81, v27, v82, v81
.LBB354_216:                            ;   in Loop: Header=BB354_13 Depth=1
	s_or_b32 exec_lo, exec_lo, s51
.LBB354_217:                            ;   in Loop: Header=BB354_13 Depth=1
	s_or_b32 exec_lo, exec_lo, s50
.LBB354_218:                            ;   in Loop: Header=BB354_13 Depth=1
	s_or_b32 exec_lo, exec_lo, s3
	v_cmp_ne_u16_sdwa s2, v84, v28 src0_sel:BYTE_1 src1_sel:DWORD
	s_and_saveexec_b32 s3, s2
	s_cbranch_execz .LBB354_226
; %bb.219:                              ;   in Loop: Header=BB354_13 Depth=1
	v_cmp_ne_u16_sdwa s2, v84, v45 src0_sel:BYTE_1 src1_sel:DWORD
	v_bfrev_b32_e32 v80, 1
	s_and_saveexec_b32 s50, s2
	s_cbranch_execz .LBB354_225
; %bb.220:                              ;   in Loop: Header=BB354_13 Depth=1
	v_mov_b32_e32 v0, 0xffff
	v_mov_b32_e32 v80, 0x7f800001
	s_mov_b32 s51, exec_lo
	v_and_b32_sdwa v27, v0, v84 dst_sel:DWORD dst_unused:UNUSED_PAD src0_sel:DWORD src1_sel:BYTE_1
	v_and_b32_e32 v82, 0x7f, v27
	v_cmpx_ne_u32_e32 0x7f, v82
	s_cbranch_execz .LBB354_224
; %bb.221:                              ;   in Loop: Header=BB354_13 Depth=1
	v_and_b32_e32 v27, 7, v27
	v_lshrrev_b32_e32 v80, 3, v82
	s_mov_b32 s52, exec_lo
	v_cmpx_gt_u32_e32 8, v82
; %bb.222:                              ;   in Loop: Header=BB354_13 Depth=1
	v_ffbh_u32_e32 v80, v27
	v_min_u32_e32 v80, 32, v80
	v_subrev_nc_u32_e32 v82, 28, v80
	v_sub_nc_u32_e32 v80, 29, v80
	v_lshlrev_b64 v[82:83], v82, v[27:28]
	v_and_b32_e32 v27, 7, v82
; %bb.223:                              ;   in Loop: Header=BB354_13 Depth=1
	s_or_b32 exec_lo, exec_lo, s52
	v_lshlrev_b32_e32 v82, 16, v84
	v_lshlrev_b32_e32 v27, 20, v27
	v_lshl_add_u32 v80, v80, 23, 0x3c000000
	v_and_b32_e32 v82, 0x80000000, v82
	v_or3_b32 v80, v27, v82, v80
.LBB354_224:                            ;   in Loop: Header=BB354_13 Depth=1
	s_or_b32 exec_lo, exec_lo, s51
.LBB354_225:                            ;   in Loop: Header=BB354_13 Depth=1
	s_or_b32 exec_lo, exec_lo, s50
.LBB354_226:                            ;   in Loop: Header=BB354_13 Depth=1
	s_or_b32 exec_lo, exec_lo, s3
	v_and_b32_sdwa v27, v84, v47 dst_sel:DWORD dst_unused:UNUSED_PAD src0_sel:WORD_1 src1_sel:DWORD
	v_mov_b32_e32 v82, 0
	v_mov_b32_e32 v83, 0
	s_mov_b32 s3, exec_lo
	v_cmpx_ne_u16_e32 0, v27
	s_cbranch_execz .LBB354_234
; %bb.227:                              ;   in Loop: Header=BB354_13 Depth=1
	v_bfrev_b32_e32 v83, 1
	s_mov_b32 s50, exec_lo
	v_cmpx_ne_u16_e32 0x80, v27
	s_cbranch_execz .LBB354_233
; %bb.228:                              ;   in Loop: Header=BB354_13 Depth=1
	v_bfe_u32 v85, v84, 16, 7
	v_mov_b32_e32 v83, 0x7f800001
	s_mov_b32 s51, exec_lo
	v_cmpx_ne_u32_e32 0x7f, v85
	s_cbranch_execz .LBB354_232
; %bb.229:                              ;   in Loop: Header=BB354_13 Depth=1
	v_mov_b32_e32 v0, 7
	v_lshrrev_b32_e32 v83, 3, v85
	s_mov_b32 s52, exec_lo
	v_and_b32_sdwa v27, v84, v0 dst_sel:DWORD dst_unused:UNUSED_PAD src0_sel:WORD_1 src1_sel:DWORD
	v_cmpx_gt_u32_e32 8, v85
; %bb.230:                              ;   in Loop: Header=BB354_13 Depth=1
	v_ffbh_u32_e32 v83, v27
	v_min_u32_e32 v83, 32, v83
	v_subrev_nc_u32_e32 v85, 28, v83
	v_sub_nc_u32_e32 v83, 29, v83
	v_lshlrev_b64 v[85:86], v85, v[27:28]
	v_and_b32_e32 v27, 7, v85
; %bb.231:                              ;   in Loop: Header=BB354_13 Depth=1
	s_or_b32 exec_lo, exec_lo, s52
	v_mov_b32_e32 v0, 24
	v_lshlrev_b32_e32 v27, 20, v27
	v_lshl_add_u32 v83, v83, 23, 0x3c000000
	v_lshlrev_b32_sdwa v85, v0, v84 dst_sel:DWORD dst_unused:UNUSED_PAD src0_sel:DWORD src1_sel:WORD_1
	v_and_b32_e32 v85, 0x80000000, v85
	v_or3_b32 v83, v27, v85, v83
.LBB354_232:                            ;   in Loop: Header=BB354_13 Depth=1
	s_or_b32 exec_lo, exec_lo, s51
.LBB354_233:                            ;   in Loop: Header=BB354_13 Depth=1
	s_or_b32 exec_lo, exec_lo, s50
.LBB354_234:                            ;   in Loop: Header=BB354_13 Depth=1
	s_or_b32 exec_lo, exec_lo, s3
	s_mov_b32 s3, exec_lo
	v_cmpx_lt_u32_e32 0xffffff, v84
	s_cbranch_execz .LBB354_242
; %bb.235:                              ;   in Loop: Header=BB354_13 Depth=1
	v_cmp_ne_u32_sdwa s2, v84, v45 src0_sel:BYTE_3 src1_sel:DWORD
	v_bfrev_b32_e32 v82, 1
	s_and_saveexec_b32 s50, s2
	s_cbranch_execz .LBB354_241
; %bb.236:                              ;   in Loop: Header=BB354_13 Depth=1
	v_bfe_u32 v85, v84, 24, 7
	v_mov_b32_e32 v82, 0x7f800001
	s_mov_b32 s51, exec_lo
	v_cmpx_ne_u32_e32 0x7f, v85
	s_cbranch_execz .LBB354_240
; %bb.237:                              ;   in Loop: Header=BB354_13 Depth=1
	v_mov_b32_e32 v0, 7
	v_lshrrev_b32_e32 v82, 3, v85
	s_mov_b32 s52, exec_lo
	v_and_b32_sdwa v27, v84, v0 dst_sel:DWORD dst_unused:UNUSED_PAD src0_sel:BYTE_3 src1_sel:DWORD
	v_cmpx_gt_u32_e32 8, v85
; %bb.238:                              ;   in Loop: Header=BB354_13 Depth=1
	v_ffbh_u32_e32 v82, v27
	v_min_u32_e32 v82, 32, v82
	v_subrev_nc_u32_e32 v85, 28, v82
	v_sub_nc_u32_e32 v82, 29, v82
	v_lshlrev_b64 v[85:86], v85, v[27:28]
	v_and_b32_e32 v27, 7, v85
; %bb.239:                              ;   in Loop: Header=BB354_13 Depth=1
	s_or_b32 exec_lo, exec_lo, s52
	v_mov_b32_e32 v0, 24
	v_lshlrev_b32_e32 v27, 20, v27
	v_lshl_add_u32 v82, v82, 23, 0x3c000000
	v_lshlrev_b32_sdwa v84, v0, v84 dst_sel:DWORD dst_unused:UNUSED_PAD src0_sel:DWORD src1_sel:BYTE_3
	v_and_b32_e32 v84, 0x80000000, v84
	v_or3_b32 v82, v27, v84, v82
.LBB354_240:                            ;   in Loop: Header=BB354_13 Depth=1
	s_or_b32 exec_lo, exec_lo, s51
.LBB354_241:                            ;   in Loop: Header=BB354_13 Depth=1
	s_or_b32 exec_lo, exec_lo, s50
.LBB354_242:                            ;   in Loop: Header=BB354_13 Depth=1
	s_or_b32 exec_lo, exec_lo, s3
	global_load_dword v88, v[33:34], off offset:776
	v_mov_b32_e32 v84, 0
	v_mov_b32_e32 v85, 0
	s_waitcnt vmcnt(0)
	v_cmp_ne_u16_sdwa s2, v88, v28 src0_sel:BYTE_0 src1_sel:DWORD
	s_and_saveexec_b32 s3, s2
	s_cbranch_execz .LBB354_250
; %bb.243:                              ;   in Loop: Header=BB354_13 Depth=1
	v_cmp_ne_u16_sdwa s2, v88, v45 src0_sel:BYTE_0 src1_sel:DWORD
	v_bfrev_b32_e32 v85, 1
	s_and_saveexec_b32 s50, s2
	s_cbranch_execz .LBB354_249
; %bb.244:                              ;   in Loop: Header=BB354_13 Depth=1
	v_and_b32_e32 v86, 0x7f, v88
	v_mov_b32_e32 v85, 0x7f800001
	s_mov_b32 s51, exec_lo
	v_cmpx_ne_u32_e32 0x7f, v86
	s_cbranch_execz .LBB354_248
; %bb.245:                              ;   in Loop: Header=BB354_13 Depth=1
	v_and_b32_e32 v27, 7, v88
	v_lshrrev_b32_e32 v85, 3, v86
	s_mov_b32 s52, exec_lo
	v_cmpx_gt_u32_e32 8, v86
; %bb.246:                              ;   in Loop: Header=BB354_13 Depth=1
	v_ffbh_u32_e32 v85, v27
	v_min_u32_e32 v85, 32, v85
	v_subrev_nc_u32_e32 v86, 28, v85
	v_sub_nc_u32_e32 v85, 29, v85
	v_lshlrev_b64 v[86:87], v86, v[27:28]
	v_and_b32_e32 v27, 7, v86
; %bb.247:                              ;   in Loop: Header=BB354_13 Depth=1
	s_or_b32 exec_lo, exec_lo, s52
	v_lshlrev_b32_e32 v86, 24, v88
	v_lshlrev_b32_e32 v27, 20, v27
	v_lshl_add_u32 v85, v85, 23, 0x3c000000
	v_and_b32_e32 v86, 0x80000000, v86
	v_or3_b32 v85, v27, v86, v85
.LBB354_248:                            ;   in Loop: Header=BB354_13 Depth=1
	s_or_b32 exec_lo, exec_lo, s51
.LBB354_249:                            ;   in Loop: Header=BB354_13 Depth=1
	s_or_b32 exec_lo, exec_lo, s50
.LBB354_250:                            ;   in Loop: Header=BB354_13 Depth=1
	s_or_b32 exec_lo, exec_lo, s3
	v_cmp_ne_u16_sdwa s2, v88, v28 src0_sel:BYTE_1 src1_sel:DWORD
	s_and_saveexec_b32 s3, s2
	s_cbranch_execz .LBB354_258
; %bb.251:                              ;   in Loop: Header=BB354_13 Depth=1
	v_cmp_ne_u16_sdwa s2, v88, v45 src0_sel:BYTE_1 src1_sel:DWORD
	v_bfrev_b32_e32 v84, 1
	s_and_saveexec_b32 s50, s2
	s_cbranch_execz .LBB354_257
; %bb.252:                              ;   in Loop: Header=BB354_13 Depth=1
	v_mov_b32_e32 v0, 0xffff
	v_mov_b32_e32 v84, 0x7f800001
	s_mov_b32 s51, exec_lo
	v_and_b32_sdwa v27, v0, v88 dst_sel:DWORD dst_unused:UNUSED_PAD src0_sel:DWORD src1_sel:BYTE_1
	v_and_b32_e32 v86, 0x7f, v27
	v_cmpx_ne_u32_e32 0x7f, v86
	s_cbranch_execz .LBB354_256
; %bb.253:                              ;   in Loop: Header=BB354_13 Depth=1
	v_and_b32_e32 v27, 7, v27
	v_lshrrev_b32_e32 v84, 3, v86
	s_mov_b32 s52, exec_lo
	v_cmpx_gt_u32_e32 8, v86
; %bb.254:                              ;   in Loop: Header=BB354_13 Depth=1
	v_ffbh_u32_e32 v84, v27
	v_min_u32_e32 v84, 32, v84
	v_subrev_nc_u32_e32 v86, 28, v84
	v_sub_nc_u32_e32 v84, 29, v84
	v_lshlrev_b64 v[86:87], v86, v[27:28]
	v_and_b32_e32 v27, 7, v86
; %bb.255:                              ;   in Loop: Header=BB354_13 Depth=1
	s_or_b32 exec_lo, exec_lo, s52
	v_lshlrev_b32_e32 v86, 16, v88
	v_lshlrev_b32_e32 v27, 20, v27
	v_lshl_add_u32 v84, v84, 23, 0x3c000000
	v_and_b32_e32 v86, 0x80000000, v86
	v_or3_b32 v84, v27, v86, v84
.LBB354_256:                            ;   in Loop: Header=BB354_13 Depth=1
	s_or_b32 exec_lo, exec_lo, s51
.LBB354_257:                            ;   in Loop: Header=BB354_13 Depth=1
	s_or_b32 exec_lo, exec_lo, s50
.LBB354_258:                            ;   in Loop: Header=BB354_13 Depth=1
	s_or_b32 exec_lo, exec_lo, s3
	v_and_b32_sdwa v27, v88, v47 dst_sel:DWORD dst_unused:UNUSED_PAD src0_sel:WORD_1 src1_sel:DWORD
	v_mov_b32_e32 v86, 0
	v_mov_b32_e32 v87, 0
	s_mov_b32 s3, exec_lo
	v_cmpx_ne_u16_e32 0, v27
	s_cbranch_execz .LBB354_266
; %bb.259:                              ;   in Loop: Header=BB354_13 Depth=1
	v_bfrev_b32_e32 v87, 1
	s_mov_b32 s50, exec_lo
	v_cmpx_ne_u16_e32 0x80, v27
	s_cbranch_execz .LBB354_265
; %bb.260:                              ;   in Loop: Header=BB354_13 Depth=1
	v_bfe_u32 v89, v88, 16, 7
	v_mov_b32_e32 v87, 0x7f800001
	s_mov_b32 s51, exec_lo
	v_cmpx_ne_u32_e32 0x7f, v89
	s_cbranch_execz .LBB354_264
; %bb.261:                              ;   in Loop: Header=BB354_13 Depth=1
	v_mov_b32_e32 v0, 7
	v_lshrrev_b32_e32 v87, 3, v89
	s_mov_b32 s52, exec_lo
	v_and_b32_sdwa v27, v88, v0 dst_sel:DWORD dst_unused:UNUSED_PAD src0_sel:WORD_1 src1_sel:DWORD
	v_cmpx_gt_u32_e32 8, v89
; %bb.262:                              ;   in Loop: Header=BB354_13 Depth=1
	v_ffbh_u32_e32 v87, v27
	v_min_u32_e32 v87, 32, v87
	v_subrev_nc_u32_e32 v89, 28, v87
	v_sub_nc_u32_e32 v87, 29, v87
	v_lshlrev_b64 v[89:90], v89, v[27:28]
	v_and_b32_e32 v27, 7, v89
; %bb.263:                              ;   in Loop: Header=BB354_13 Depth=1
	s_or_b32 exec_lo, exec_lo, s52
	v_mov_b32_e32 v0, 24
	v_lshlrev_b32_e32 v27, 20, v27
	v_lshl_add_u32 v87, v87, 23, 0x3c000000
	v_lshlrev_b32_sdwa v89, v0, v88 dst_sel:DWORD dst_unused:UNUSED_PAD src0_sel:DWORD src1_sel:WORD_1
	v_and_b32_e32 v89, 0x80000000, v89
	v_or3_b32 v87, v27, v89, v87
.LBB354_264:                            ;   in Loop: Header=BB354_13 Depth=1
	s_or_b32 exec_lo, exec_lo, s51
.LBB354_265:                            ;   in Loop: Header=BB354_13 Depth=1
	s_or_b32 exec_lo, exec_lo, s50
.LBB354_266:                            ;   in Loop: Header=BB354_13 Depth=1
	s_or_b32 exec_lo, exec_lo, s3
	s_mov_b32 s3, exec_lo
	v_cmpx_lt_u32_e32 0xffffff, v88
	s_cbranch_execz .LBB354_274
; %bb.267:                              ;   in Loop: Header=BB354_13 Depth=1
	v_cmp_ne_u32_sdwa s2, v88, v45 src0_sel:BYTE_3 src1_sel:DWORD
	v_bfrev_b32_e32 v86, 1
	s_and_saveexec_b32 s50, s2
	s_cbranch_execz .LBB354_273
; %bb.268:                              ;   in Loop: Header=BB354_13 Depth=1
	v_bfe_u32 v89, v88, 24, 7
	v_mov_b32_e32 v86, 0x7f800001
	s_mov_b32 s51, exec_lo
	v_cmpx_ne_u32_e32 0x7f, v89
	s_cbranch_execz .LBB354_272
; %bb.269:                              ;   in Loop: Header=BB354_13 Depth=1
	v_mov_b32_e32 v0, 7
	v_lshrrev_b32_e32 v86, 3, v89
	s_mov_b32 s52, exec_lo
	v_and_b32_sdwa v27, v88, v0 dst_sel:DWORD dst_unused:UNUSED_PAD src0_sel:BYTE_3 src1_sel:DWORD
	v_cmpx_gt_u32_e32 8, v89
; %bb.270:                              ;   in Loop: Header=BB354_13 Depth=1
	v_ffbh_u32_e32 v86, v27
	v_min_u32_e32 v86, 32, v86
	v_subrev_nc_u32_e32 v89, 28, v86
	v_sub_nc_u32_e32 v86, 29, v86
	v_lshlrev_b64 v[89:90], v89, v[27:28]
	v_and_b32_e32 v27, 7, v89
; %bb.271:                              ;   in Loop: Header=BB354_13 Depth=1
	s_or_b32 exec_lo, exec_lo, s52
	v_mov_b32_e32 v0, 24
	v_lshlrev_b32_e32 v27, 20, v27
	v_lshl_add_u32 v86, v86, 23, 0x3c000000
	v_lshlrev_b32_sdwa v88, v0, v88 dst_sel:DWORD dst_unused:UNUSED_PAD src0_sel:DWORD src1_sel:BYTE_3
	v_and_b32_e32 v88, 0x80000000, v88
	v_or3_b32 v86, v27, v88, v86
.LBB354_272:                            ;   in Loop: Header=BB354_13 Depth=1
	s_or_b32 exec_lo, exec_lo, s51
.LBB354_273:                            ;   in Loop: Header=BB354_13 Depth=1
	s_or_b32 exec_lo, exec_lo, s50
.LBB354_274:                            ;   in Loop: Header=BB354_13 Depth=1
	s_or_b32 exec_lo, exec_lo, s3
	global_load_dword v92, v[33:34], off offset:1024
	v_mov_b32_e32 v88, 0
	v_mov_b32_e32 v89, 0
	s_waitcnt vmcnt(0)
	v_cmp_ne_u16_sdwa s2, v92, v28 src0_sel:BYTE_0 src1_sel:DWORD
	s_and_saveexec_b32 s3, s2
	s_cbranch_execz .LBB354_282
; %bb.275:                              ;   in Loop: Header=BB354_13 Depth=1
	v_cmp_ne_u16_sdwa s2, v92, v45 src0_sel:BYTE_0 src1_sel:DWORD
	v_bfrev_b32_e32 v89, 1
	s_and_saveexec_b32 s50, s2
	s_cbranch_execz .LBB354_281
; %bb.276:                              ;   in Loop: Header=BB354_13 Depth=1
	v_and_b32_e32 v90, 0x7f, v92
	v_mov_b32_e32 v89, 0x7f800001
	s_mov_b32 s51, exec_lo
	v_cmpx_ne_u32_e32 0x7f, v90
	s_cbranch_execz .LBB354_280
; %bb.277:                              ;   in Loop: Header=BB354_13 Depth=1
	v_and_b32_e32 v27, 7, v92
	v_lshrrev_b32_e32 v89, 3, v90
	s_mov_b32 s52, exec_lo
	v_cmpx_gt_u32_e32 8, v90
; %bb.278:                              ;   in Loop: Header=BB354_13 Depth=1
	v_ffbh_u32_e32 v89, v27
	v_min_u32_e32 v89, 32, v89
	v_subrev_nc_u32_e32 v90, 28, v89
	v_sub_nc_u32_e32 v89, 29, v89
	v_lshlrev_b64 v[90:91], v90, v[27:28]
	v_and_b32_e32 v27, 7, v90
; %bb.279:                              ;   in Loop: Header=BB354_13 Depth=1
	s_or_b32 exec_lo, exec_lo, s52
	v_lshlrev_b32_e32 v90, 24, v92
	v_lshlrev_b32_e32 v27, 20, v27
	v_lshl_add_u32 v89, v89, 23, 0x3c000000
	v_and_b32_e32 v90, 0x80000000, v90
	v_or3_b32 v89, v27, v90, v89
.LBB354_280:                            ;   in Loop: Header=BB354_13 Depth=1
	s_or_b32 exec_lo, exec_lo, s51
.LBB354_281:                            ;   in Loop: Header=BB354_13 Depth=1
	s_or_b32 exec_lo, exec_lo, s50
.LBB354_282:                            ;   in Loop: Header=BB354_13 Depth=1
	s_or_b32 exec_lo, exec_lo, s3
	v_cmp_ne_u16_sdwa s2, v92, v28 src0_sel:BYTE_1 src1_sel:DWORD
	s_and_saveexec_b32 s3, s2
	s_cbranch_execz .LBB354_290
; %bb.283:                              ;   in Loop: Header=BB354_13 Depth=1
	v_cmp_ne_u16_sdwa s2, v92, v45 src0_sel:BYTE_1 src1_sel:DWORD
	v_bfrev_b32_e32 v88, 1
	s_and_saveexec_b32 s50, s2
	s_cbranch_execz .LBB354_289
; %bb.284:                              ;   in Loop: Header=BB354_13 Depth=1
	v_mov_b32_e32 v0, 0xffff
	v_mov_b32_e32 v88, 0x7f800001
	s_mov_b32 s51, exec_lo
	v_and_b32_sdwa v27, v0, v92 dst_sel:DWORD dst_unused:UNUSED_PAD src0_sel:DWORD src1_sel:BYTE_1
	v_and_b32_e32 v90, 0x7f, v27
	v_cmpx_ne_u32_e32 0x7f, v90
	s_cbranch_execz .LBB354_288
; %bb.285:                              ;   in Loop: Header=BB354_13 Depth=1
	v_and_b32_e32 v27, 7, v27
	v_lshrrev_b32_e32 v88, 3, v90
	s_mov_b32 s52, exec_lo
	v_cmpx_gt_u32_e32 8, v90
; %bb.286:                              ;   in Loop: Header=BB354_13 Depth=1
	v_ffbh_u32_e32 v88, v27
	v_min_u32_e32 v88, 32, v88
	v_subrev_nc_u32_e32 v90, 28, v88
	v_sub_nc_u32_e32 v88, 29, v88
	v_lshlrev_b64 v[90:91], v90, v[27:28]
	v_and_b32_e32 v27, 7, v90
; %bb.287:                              ;   in Loop: Header=BB354_13 Depth=1
	s_or_b32 exec_lo, exec_lo, s52
	v_lshlrev_b32_e32 v90, 16, v92
	v_lshlrev_b32_e32 v27, 20, v27
	v_lshl_add_u32 v88, v88, 23, 0x3c000000
	v_and_b32_e32 v90, 0x80000000, v90
	v_or3_b32 v88, v27, v90, v88
.LBB354_288:                            ;   in Loop: Header=BB354_13 Depth=1
	s_or_b32 exec_lo, exec_lo, s51
.LBB354_289:                            ;   in Loop: Header=BB354_13 Depth=1
	s_or_b32 exec_lo, exec_lo, s50
.LBB354_290:                            ;   in Loop: Header=BB354_13 Depth=1
	s_or_b32 exec_lo, exec_lo, s3
	v_and_b32_sdwa v27, v92, v47 dst_sel:DWORD dst_unused:UNUSED_PAD src0_sel:WORD_1 src1_sel:DWORD
	v_mov_b32_e32 v90, 0
	v_mov_b32_e32 v91, 0
	s_mov_b32 s3, exec_lo
	v_cmpx_ne_u16_e32 0, v27
	s_cbranch_execz .LBB354_298
; %bb.291:                              ;   in Loop: Header=BB354_13 Depth=1
	v_bfrev_b32_e32 v91, 1
	s_mov_b32 s50, exec_lo
	v_cmpx_ne_u16_e32 0x80, v27
	s_cbranch_execz .LBB354_297
; %bb.292:                              ;   in Loop: Header=BB354_13 Depth=1
	v_bfe_u32 v93, v92, 16, 7
	v_mov_b32_e32 v91, 0x7f800001
	s_mov_b32 s51, exec_lo
	v_cmpx_ne_u32_e32 0x7f, v93
	s_cbranch_execz .LBB354_296
; %bb.293:                              ;   in Loop: Header=BB354_13 Depth=1
	v_mov_b32_e32 v0, 7
	v_lshrrev_b32_e32 v91, 3, v93
	s_mov_b32 s52, exec_lo
	v_and_b32_sdwa v27, v92, v0 dst_sel:DWORD dst_unused:UNUSED_PAD src0_sel:WORD_1 src1_sel:DWORD
	v_cmpx_gt_u32_e32 8, v93
; %bb.294:                              ;   in Loop: Header=BB354_13 Depth=1
	v_ffbh_u32_e32 v91, v27
	v_min_u32_e32 v91, 32, v91
	v_subrev_nc_u32_e32 v93, 28, v91
	v_sub_nc_u32_e32 v91, 29, v91
	v_lshlrev_b64 v[93:94], v93, v[27:28]
	v_and_b32_e32 v27, 7, v93
; %bb.295:                              ;   in Loop: Header=BB354_13 Depth=1
	s_or_b32 exec_lo, exec_lo, s52
	v_mov_b32_e32 v0, 24
	v_lshlrev_b32_e32 v27, 20, v27
	v_lshl_add_u32 v91, v91, 23, 0x3c000000
	v_lshlrev_b32_sdwa v93, v0, v92 dst_sel:DWORD dst_unused:UNUSED_PAD src0_sel:DWORD src1_sel:WORD_1
	v_and_b32_e32 v93, 0x80000000, v93
	v_or3_b32 v91, v27, v93, v91
.LBB354_296:                            ;   in Loop: Header=BB354_13 Depth=1
	s_or_b32 exec_lo, exec_lo, s51
.LBB354_297:                            ;   in Loop: Header=BB354_13 Depth=1
	s_or_b32 exec_lo, exec_lo, s50
.LBB354_298:                            ;   in Loop: Header=BB354_13 Depth=1
	s_or_b32 exec_lo, exec_lo, s3
	s_mov_b32 s3, exec_lo
	v_cmpx_lt_u32_e32 0xffffff, v92
	s_cbranch_execz .LBB354_306
; %bb.299:                              ;   in Loop: Header=BB354_13 Depth=1
	v_cmp_ne_u32_sdwa s2, v92, v45 src0_sel:BYTE_3 src1_sel:DWORD
	v_bfrev_b32_e32 v90, 1
	s_and_saveexec_b32 s50, s2
	s_cbranch_execz .LBB354_305
; %bb.300:                              ;   in Loop: Header=BB354_13 Depth=1
	v_bfe_u32 v93, v92, 24, 7
	v_mov_b32_e32 v90, 0x7f800001
	s_mov_b32 s51, exec_lo
	v_cmpx_ne_u32_e32 0x7f, v93
	s_cbranch_execz .LBB354_304
; %bb.301:                              ;   in Loop: Header=BB354_13 Depth=1
	v_mov_b32_e32 v0, 7
	v_lshrrev_b32_e32 v90, 3, v93
	s_mov_b32 s52, exec_lo
	v_and_b32_sdwa v27, v92, v0 dst_sel:DWORD dst_unused:UNUSED_PAD src0_sel:BYTE_3 src1_sel:DWORD
	v_cmpx_gt_u32_e32 8, v93
; %bb.302:                              ;   in Loop: Header=BB354_13 Depth=1
	v_ffbh_u32_e32 v90, v27
	v_min_u32_e32 v90, 32, v90
	v_subrev_nc_u32_e32 v93, 28, v90
	v_sub_nc_u32_e32 v90, 29, v90
	v_lshlrev_b64 v[93:94], v93, v[27:28]
	v_and_b32_e32 v27, 7, v93
; %bb.303:                              ;   in Loop: Header=BB354_13 Depth=1
	s_or_b32 exec_lo, exec_lo, s52
	v_mov_b32_e32 v0, 24
	v_lshlrev_b32_e32 v27, 20, v27
	v_lshl_add_u32 v90, v90, 23, 0x3c000000
	v_lshlrev_b32_sdwa v92, v0, v92 dst_sel:DWORD dst_unused:UNUSED_PAD src0_sel:DWORD src1_sel:BYTE_3
	v_and_b32_e32 v92, 0x80000000, v92
	v_or3_b32 v90, v27, v92, v90
.LBB354_304:                            ;   in Loop: Header=BB354_13 Depth=1
	s_or_b32 exec_lo, exec_lo, s51
.LBB354_305:                            ;   in Loop: Header=BB354_13 Depth=1
	s_or_b32 exec_lo, exec_lo, s50
.LBB354_306:                            ;   in Loop: Header=BB354_13 Depth=1
	s_or_b32 exec_lo, exec_lo, s3
	global_load_dword v96, v[33:34], off offset:1032
	v_mov_b32_e32 v92, 0
	v_mov_b32_e32 v93, 0
	s_waitcnt vmcnt(0)
	v_cmp_ne_u16_sdwa s2, v96, v28 src0_sel:BYTE_0 src1_sel:DWORD
	s_and_saveexec_b32 s3, s2
	s_cbranch_execz .LBB354_314
; %bb.307:                              ;   in Loop: Header=BB354_13 Depth=1
	v_cmp_ne_u16_sdwa s2, v96, v45 src0_sel:BYTE_0 src1_sel:DWORD
	v_bfrev_b32_e32 v93, 1
	s_and_saveexec_b32 s50, s2
	s_cbranch_execz .LBB354_313
; %bb.308:                              ;   in Loop: Header=BB354_13 Depth=1
	v_and_b32_e32 v94, 0x7f, v96
	v_mov_b32_e32 v93, 0x7f800001
	s_mov_b32 s51, exec_lo
	v_cmpx_ne_u32_e32 0x7f, v94
	s_cbranch_execz .LBB354_312
; %bb.309:                              ;   in Loop: Header=BB354_13 Depth=1
	v_and_b32_e32 v27, 7, v96
	v_lshrrev_b32_e32 v93, 3, v94
	s_mov_b32 s52, exec_lo
	v_cmpx_gt_u32_e32 8, v94
; %bb.310:                              ;   in Loop: Header=BB354_13 Depth=1
	v_ffbh_u32_e32 v93, v27
	v_min_u32_e32 v93, 32, v93
	v_subrev_nc_u32_e32 v94, 28, v93
	v_sub_nc_u32_e32 v93, 29, v93
	v_lshlrev_b64 v[94:95], v94, v[27:28]
	v_and_b32_e32 v27, 7, v94
; %bb.311:                              ;   in Loop: Header=BB354_13 Depth=1
	s_or_b32 exec_lo, exec_lo, s52
	v_lshlrev_b32_e32 v94, 24, v96
	v_lshlrev_b32_e32 v27, 20, v27
	v_lshl_add_u32 v93, v93, 23, 0x3c000000
	v_and_b32_e32 v94, 0x80000000, v94
	v_or3_b32 v93, v27, v94, v93
.LBB354_312:                            ;   in Loop: Header=BB354_13 Depth=1
	s_or_b32 exec_lo, exec_lo, s51
.LBB354_313:                            ;   in Loop: Header=BB354_13 Depth=1
	s_or_b32 exec_lo, exec_lo, s50
.LBB354_314:                            ;   in Loop: Header=BB354_13 Depth=1
	s_or_b32 exec_lo, exec_lo, s3
	v_cmp_ne_u16_sdwa s2, v96, v28 src0_sel:BYTE_1 src1_sel:DWORD
	s_and_saveexec_b32 s3, s2
	s_cbranch_execz .LBB354_322
; %bb.315:                              ;   in Loop: Header=BB354_13 Depth=1
	v_cmp_ne_u16_sdwa s2, v96, v45 src0_sel:BYTE_1 src1_sel:DWORD
	v_bfrev_b32_e32 v92, 1
	s_and_saveexec_b32 s50, s2
	s_cbranch_execz .LBB354_321
; %bb.316:                              ;   in Loop: Header=BB354_13 Depth=1
	v_mov_b32_e32 v0, 0xffff
	v_mov_b32_e32 v92, 0x7f800001
	s_mov_b32 s51, exec_lo
	v_and_b32_sdwa v27, v0, v96 dst_sel:DWORD dst_unused:UNUSED_PAD src0_sel:DWORD src1_sel:BYTE_1
	v_and_b32_e32 v94, 0x7f, v27
	v_cmpx_ne_u32_e32 0x7f, v94
	s_cbranch_execz .LBB354_320
; %bb.317:                              ;   in Loop: Header=BB354_13 Depth=1
	v_and_b32_e32 v27, 7, v27
	v_lshrrev_b32_e32 v92, 3, v94
	s_mov_b32 s52, exec_lo
	v_cmpx_gt_u32_e32 8, v94
; %bb.318:                              ;   in Loop: Header=BB354_13 Depth=1
	v_ffbh_u32_e32 v92, v27
	v_min_u32_e32 v92, 32, v92
	v_subrev_nc_u32_e32 v94, 28, v92
	v_sub_nc_u32_e32 v92, 29, v92
	v_lshlrev_b64 v[94:95], v94, v[27:28]
	v_and_b32_e32 v27, 7, v94
; %bb.319:                              ;   in Loop: Header=BB354_13 Depth=1
	s_or_b32 exec_lo, exec_lo, s52
	v_lshlrev_b32_e32 v94, 16, v96
	v_lshlrev_b32_e32 v27, 20, v27
	v_lshl_add_u32 v92, v92, 23, 0x3c000000
	v_and_b32_e32 v94, 0x80000000, v94
	v_or3_b32 v92, v27, v94, v92
.LBB354_320:                            ;   in Loop: Header=BB354_13 Depth=1
	s_or_b32 exec_lo, exec_lo, s51
.LBB354_321:                            ;   in Loop: Header=BB354_13 Depth=1
	s_or_b32 exec_lo, exec_lo, s50
.LBB354_322:                            ;   in Loop: Header=BB354_13 Depth=1
	s_or_b32 exec_lo, exec_lo, s3
	v_and_b32_sdwa v27, v96, v47 dst_sel:DWORD dst_unused:UNUSED_PAD src0_sel:WORD_1 src1_sel:DWORD
	v_mov_b32_e32 v94, 0
	v_mov_b32_e32 v95, 0
	s_mov_b32 s3, exec_lo
	v_cmpx_ne_u16_e32 0, v27
	s_cbranch_execz .LBB354_330
; %bb.323:                              ;   in Loop: Header=BB354_13 Depth=1
	v_bfrev_b32_e32 v95, 1
	s_mov_b32 s50, exec_lo
	v_cmpx_ne_u16_e32 0x80, v27
	s_cbranch_execz .LBB354_329
; %bb.324:                              ;   in Loop: Header=BB354_13 Depth=1
	v_bfe_u32 v97, v96, 16, 7
	v_mov_b32_e32 v95, 0x7f800001
	s_mov_b32 s51, exec_lo
	v_cmpx_ne_u32_e32 0x7f, v97
	s_cbranch_execz .LBB354_328
; %bb.325:                              ;   in Loop: Header=BB354_13 Depth=1
	v_mov_b32_e32 v0, 7
	v_lshrrev_b32_e32 v95, 3, v97
	s_mov_b32 s52, exec_lo
	v_and_b32_sdwa v27, v96, v0 dst_sel:DWORD dst_unused:UNUSED_PAD src0_sel:WORD_1 src1_sel:DWORD
	v_cmpx_gt_u32_e32 8, v97
; %bb.326:                              ;   in Loop: Header=BB354_13 Depth=1
	v_ffbh_u32_e32 v95, v27
	v_min_u32_e32 v95, 32, v95
	v_subrev_nc_u32_e32 v97, 28, v95
	v_sub_nc_u32_e32 v95, 29, v95
	v_lshlrev_b64 v[97:98], v97, v[27:28]
	v_and_b32_e32 v27, 7, v97
; %bb.327:                              ;   in Loop: Header=BB354_13 Depth=1
	s_or_b32 exec_lo, exec_lo, s52
	v_mov_b32_e32 v0, 24
	v_lshlrev_b32_e32 v27, 20, v27
	v_lshl_add_u32 v95, v95, 23, 0x3c000000
	v_lshlrev_b32_sdwa v97, v0, v96 dst_sel:DWORD dst_unused:UNUSED_PAD src0_sel:DWORD src1_sel:WORD_1
	v_and_b32_e32 v97, 0x80000000, v97
	v_or3_b32 v95, v27, v97, v95
.LBB354_328:                            ;   in Loop: Header=BB354_13 Depth=1
	s_or_b32 exec_lo, exec_lo, s51
.LBB354_329:                            ;   in Loop: Header=BB354_13 Depth=1
	s_or_b32 exec_lo, exec_lo, s50
.LBB354_330:                            ;   in Loop: Header=BB354_13 Depth=1
	s_or_b32 exec_lo, exec_lo, s3
	s_mov_b32 s3, exec_lo
	v_cmpx_lt_u32_e32 0xffffff, v96
	s_cbranch_execz .LBB354_338
; %bb.331:                              ;   in Loop: Header=BB354_13 Depth=1
	v_cmp_ne_u32_sdwa s2, v96, v45 src0_sel:BYTE_3 src1_sel:DWORD
	v_bfrev_b32_e32 v94, 1
	s_and_saveexec_b32 s50, s2
	s_cbranch_execz .LBB354_337
; %bb.332:                              ;   in Loop: Header=BB354_13 Depth=1
	v_bfe_u32 v97, v96, 24, 7
	v_mov_b32_e32 v94, 0x7f800001
	s_mov_b32 s51, exec_lo
	v_cmpx_ne_u32_e32 0x7f, v97
	s_cbranch_execz .LBB354_336
; %bb.333:                              ;   in Loop: Header=BB354_13 Depth=1
	v_mov_b32_e32 v0, 7
	v_lshrrev_b32_e32 v94, 3, v97
	s_mov_b32 s52, exec_lo
	v_and_b32_sdwa v27, v96, v0 dst_sel:DWORD dst_unused:UNUSED_PAD src0_sel:BYTE_3 src1_sel:DWORD
	v_cmpx_gt_u32_e32 8, v97
; %bb.334:                              ;   in Loop: Header=BB354_13 Depth=1
	v_ffbh_u32_e32 v94, v27
	v_min_u32_e32 v94, 32, v94
	v_subrev_nc_u32_e32 v97, 28, v94
	v_sub_nc_u32_e32 v94, 29, v94
	v_lshlrev_b64 v[97:98], v97, v[27:28]
	v_and_b32_e32 v27, 7, v97
; %bb.335:                              ;   in Loop: Header=BB354_13 Depth=1
	s_or_b32 exec_lo, exec_lo, s52
	v_mov_b32_e32 v0, 24
	v_lshlrev_b32_e32 v27, 20, v27
	v_lshl_add_u32 v94, v94, 23, 0x3c000000
	v_lshlrev_b32_sdwa v96, v0, v96 dst_sel:DWORD dst_unused:UNUSED_PAD src0_sel:DWORD src1_sel:BYTE_3
	v_and_b32_e32 v96, 0x80000000, v96
	v_or3_b32 v94, v27, v96, v94
.LBB354_336:                            ;   in Loop: Header=BB354_13 Depth=1
	s_or_b32 exec_lo, exec_lo, s51
.LBB354_337:                            ;   in Loop: Header=BB354_13 Depth=1
	s_or_b32 exec_lo, exec_lo, s50
.LBB354_338:                            ;   in Loop: Header=BB354_13 Depth=1
	s_or_b32 exec_lo, exec_lo, s3
	global_load_dword v100, v[33:34], off offset:1280
	v_mov_b32_e32 v96, 0
	v_mov_b32_e32 v97, 0
	s_waitcnt vmcnt(0)
	v_cmp_ne_u16_sdwa s2, v100, v28 src0_sel:BYTE_0 src1_sel:DWORD
	s_and_saveexec_b32 s3, s2
	s_cbranch_execz .LBB354_346
; %bb.339:                              ;   in Loop: Header=BB354_13 Depth=1
	v_cmp_ne_u16_sdwa s2, v100, v45 src0_sel:BYTE_0 src1_sel:DWORD
	v_bfrev_b32_e32 v97, 1
	s_and_saveexec_b32 s50, s2
	s_cbranch_execz .LBB354_345
; %bb.340:                              ;   in Loop: Header=BB354_13 Depth=1
	v_and_b32_e32 v98, 0x7f, v100
	v_mov_b32_e32 v97, 0x7f800001
	s_mov_b32 s51, exec_lo
	v_cmpx_ne_u32_e32 0x7f, v98
	s_cbranch_execz .LBB354_344
; %bb.341:                              ;   in Loop: Header=BB354_13 Depth=1
	v_and_b32_e32 v27, 7, v100
	v_lshrrev_b32_e32 v97, 3, v98
	s_mov_b32 s52, exec_lo
	v_cmpx_gt_u32_e32 8, v98
; %bb.342:                              ;   in Loop: Header=BB354_13 Depth=1
	v_ffbh_u32_e32 v97, v27
	v_min_u32_e32 v97, 32, v97
	v_subrev_nc_u32_e32 v98, 28, v97
	v_sub_nc_u32_e32 v97, 29, v97
	v_lshlrev_b64 v[98:99], v98, v[27:28]
	v_and_b32_e32 v27, 7, v98
; %bb.343:                              ;   in Loop: Header=BB354_13 Depth=1
	s_or_b32 exec_lo, exec_lo, s52
	v_lshlrev_b32_e32 v98, 24, v100
	v_lshlrev_b32_e32 v27, 20, v27
	v_lshl_add_u32 v97, v97, 23, 0x3c000000
	v_and_b32_e32 v98, 0x80000000, v98
	v_or3_b32 v97, v27, v98, v97
.LBB354_344:                            ;   in Loop: Header=BB354_13 Depth=1
	s_or_b32 exec_lo, exec_lo, s51
.LBB354_345:                            ;   in Loop: Header=BB354_13 Depth=1
	s_or_b32 exec_lo, exec_lo, s50
.LBB354_346:                            ;   in Loop: Header=BB354_13 Depth=1
	s_or_b32 exec_lo, exec_lo, s3
	v_cmp_ne_u16_sdwa s2, v100, v28 src0_sel:BYTE_1 src1_sel:DWORD
	s_and_saveexec_b32 s3, s2
	s_cbranch_execz .LBB354_354
; %bb.347:                              ;   in Loop: Header=BB354_13 Depth=1
	v_cmp_ne_u16_sdwa s2, v100, v45 src0_sel:BYTE_1 src1_sel:DWORD
	v_bfrev_b32_e32 v96, 1
	s_and_saveexec_b32 s50, s2
	s_cbranch_execz .LBB354_353
; %bb.348:                              ;   in Loop: Header=BB354_13 Depth=1
	v_mov_b32_e32 v0, 0xffff
	v_mov_b32_e32 v96, 0x7f800001
	s_mov_b32 s51, exec_lo
	v_and_b32_sdwa v27, v0, v100 dst_sel:DWORD dst_unused:UNUSED_PAD src0_sel:DWORD src1_sel:BYTE_1
	v_and_b32_e32 v98, 0x7f, v27
	v_cmpx_ne_u32_e32 0x7f, v98
	s_cbranch_execz .LBB354_352
; %bb.349:                              ;   in Loop: Header=BB354_13 Depth=1
	v_and_b32_e32 v27, 7, v27
	v_lshrrev_b32_e32 v96, 3, v98
	s_mov_b32 s52, exec_lo
	v_cmpx_gt_u32_e32 8, v98
; %bb.350:                              ;   in Loop: Header=BB354_13 Depth=1
	v_ffbh_u32_e32 v96, v27
	v_min_u32_e32 v96, 32, v96
	v_subrev_nc_u32_e32 v98, 28, v96
	v_sub_nc_u32_e32 v96, 29, v96
	v_lshlrev_b64 v[98:99], v98, v[27:28]
	v_and_b32_e32 v27, 7, v98
; %bb.351:                              ;   in Loop: Header=BB354_13 Depth=1
	s_or_b32 exec_lo, exec_lo, s52
	v_lshlrev_b32_e32 v98, 16, v100
	v_lshlrev_b32_e32 v27, 20, v27
	v_lshl_add_u32 v96, v96, 23, 0x3c000000
	v_and_b32_e32 v98, 0x80000000, v98
	v_or3_b32 v96, v27, v98, v96
.LBB354_352:                            ;   in Loop: Header=BB354_13 Depth=1
	s_or_b32 exec_lo, exec_lo, s51
.LBB354_353:                            ;   in Loop: Header=BB354_13 Depth=1
	s_or_b32 exec_lo, exec_lo, s50
.LBB354_354:                            ;   in Loop: Header=BB354_13 Depth=1
	s_or_b32 exec_lo, exec_lo, s3
	v_and_b32_sdwa v27, v100, v47 dst_sel:DWORD dst_unused:UNUSED_PAD src0_sel:WORD_1 src1_sel:DWORD
	v_mov_b32_e32 v98, 0
	v_mov_b32_e32 v99, 0
	s_mov_b32 s3, exec_lo
	v_cmpx_ne_u16_e32 0, v27
	s_cbranch_execz .LBB354_362
; %bb.355:                              ;   in Loop: Header=BB354_13 Depth=1
	v_bfrev_b32_e32 v99, 1
	s_mov_b32 s50, exec_lo
	v_cmpx_ne_u16_e32 0x80, v27
	s_cbranch_execz .LBB354_361
; %bb.356:                              ;   in Loop: Header=BB354_13 Depth=1
	v_bfe_u32 v101, v100, 16, 7
	v_mov_b32_e32 v99, 0x7f800001
	s_mov_b32 s51, exec_lo
	v_cmpx_ne_u32_e32 0x7f, v101
	s_cbranch_execz .LBB354_360
; %bb.357:                              ;   in Loop: Header=BB354_13 Depth=1
	v_mov_b32_e32 v0, 7
	v_lshrrev_b32_e32 v99, 3, v101
	s_mov_b32 s52, exec_lo
	v_and_b32_sdwa v27, v100, v0 dst_sel:DWORD dst_unused:UNUSED_PAD src0_sel:WORD_1 src1_sel:DWORD
	v_cmpx_gt_u32_e32 8, v101
; %bb.358:                              ;   in Loop: Header=BB354_13 Depth=1
	v_ffbh_u32_e32 v99, v27
	v_min_u32_e32 v99, 32, v99
	v_subrev_nc_u32_e32 v101, 28, v99
	v_sub_nc_u32_e32 v99, 29, v99
	v_lshlrev_b64 v[101:102], v101, v[27:28]
	v_and_b32_e32 v27, 7, v101
; %bb.359:                              ;   in Loop: Header=BB354_13 Depth=1
	s_or_b32 exec_lo, exec_lo, s52
	v_mov_b32_e32 v0, 24
	v_lshlrev_b32_e32 v27, 20, v27
	v_lshl_add_u32 v99, v99, 23, 0x3c000000
	v_lshlrev_b32_sdwa v101, v0, v100 dst_sel:DWORD dst_unused:UNUSED_PAD src0_sel:DWORD src1_sel:WORD_1
	v_and_b32_e32 v101, 0x80000000, v101
	v_or3_b32 v99, v27, v101, v99
.LBB354_360:                            ;   in Loop: Header=BB354_13 Depth=1
	s_or_b32 exec_lo, exec_lo, s51
.LBB354_361:                            ;   in Loop: Header=BB354_13 Depth=1
	s_or_b32 exec_lo, exec_lo, s50
.LBB354_362:                            ;   in Loop: Header=BB354_13 Depth=1
	s_or_b32 exec_lo, exec_lo, s3
	s_mov_b32 s3, exec_lo
	v_cmpx_lt_u32_e32 0xffffff, v100
	s_cbranch_execz .LBB354_370
; %bb.363:                              ;   in Loop: Header=BB354_13 Depth=1
	v_cmp_ne_u32_sdwa s2, v100, v45 src0_sel:BYTE_3 src1_sel:DWORD
	v_bfrev_b32_e32 v98, 1
	s_and_saveexec_b32 s50, s2
	s_cbranch_execz .LBB354_369
; %bb.364:                              ;   in Loop: Header=BB354_13 Depth=1
	v_bfe_u32 v101, v100, 24, 7
	v_mov_b32_e32 v98, 0x7f800001
	s_mov_b32 s51, exec_lo
	v_cmpx_ne_u32_e32 0x7f, v101
	s_cbranch_execz .LBB354_368
; %bb.365:                              ;   in Loop: Header=BB354_13 Depth=1
	v_mov_b32_e32 v0, 7
	v_lshrrev_b32_e32 v98, 3, v101
	s_mov_b32 s52, exec_lo
	v_and_b32_sdwa v27, v100, v0 dst_sel:DWORD dst_unused:UNUSED_PAD src0_sel:BYTE_3 src1_sel:DWORD
	v_cmpx_gt_u32_e32 8, v101
; %bb.366:                              ;   in Loop: Header=BB354_13 Depth=1
	v_ffbh_u32_e32 v98, v27
	v_min_u32_e32 v98, 32, v98
	v_subrev_nc_u32_e32 v101, 28, v98
	v_sub_nc_u32_e32 v98, 29, v98
	v_lshlrev_b64 v[101:102], v101, v[27:28]
	v_and_b32_e32 v27, 7, v101
; %bb.367:                              ;   in Loop: Header=BB354_13 Depth=1
	s_or_b32 exec_lo, exec_lo, s52
	v_mov_b32_e32 v0, 24
	v_lshlrev_b32_e32 v27, 20, v27
	v_lshl_add_u32 v98, v98, 23, 0x3c000000
	v_lshlrev_b32_sdwa v100, v0, v100 dst_sel:DWORD dst_unused:UNUSED_PAD src0_sel:DWORD src1_sel:BYTE_3
	v_and_b32_e32 v100, 0x80000000, v100
	v_or3_b32 v98, v27, v100, v98
.LBB354_368:                            ;   in Loop: Header=BB354_13 Depth=1
	s_or_b32 exec_lo, exec_lo, s51
.LBB354_369:                            ;   in Loop: Header=BB354_13 Depth=1
	s_or_b32 exec_lo, exec_lo, s50
.LBB354_370:                            ;   in Loop: Header=BB354_13 Depth=1
	s_or_b32 exec_lo, exec_lo, s3
	global_load_dword v102, v[33:34], off offset:1288
	v_mov_b32_e32 v100, 0
	v_mov_b32_e32 v101, 0
	s_waitcnt vmcnt(0)
	v_cmp_ne_u16_sdwa s2, v102, v28 src0_sel:BYTE_0 src1_sel:DWORD
	s_and_saveexec_b32 s3, s2
	s_cbranch_execz .LBB354_378
; %bb.371:                              ;   in Loop: Header=BB354_13 Depth=1
	v_cmp_ne_u16_sdwa s2, v102, v45 src0_sel:BYTE_0 src1_sel:DWORD
	v_bfrev_b32_e32 v101, 1
	s_and_saveexec_b32 s50, s2
	s_cbranch_execz .LBB354_377
; %bb.372:                              ;   in Loop: Header=BB354_13 Depth=1
	v_and_b32_e32 v103, 0x7f, v102
	v_mov_b32_e32 v101, 0x7f800001
	s_mov_b32 s51, exec_lo
	v_cmpx_ne_u32_e32 0x7f, v103
	s_cbranch_execz .LBB354_376
; %bb.373:                              ;   in Loop: Header=BB354_13 Depth=1
	v_and_b32_e32 v27, 7, v102
	v_lshrrev_b32_e32 v101, 3, v103
	s_mov_b32 s52, exec_lo
	v_cmpx_gt_u32_e32 8, v103
; %bb.374:                              ;   in Loop: Header=BB354_13 Depth=1
	v_ffbh_u32_e32 v101, v27
	v_min_u32_e32 v101, 32, v101
	v_subrev_nc_u32_e32 v103, 28, v101
	v_sub_nc_u32_e32 v101, 29, v101
	v_lshlrev_b64 v[103:104], v103, v[27:28]
	v_and_b32_e32 v27, 7, v103
; %bb.375:                              ;   in Loop: Header=BB354_13 Depth=1
	s_or_b32 exec_lo, exec_lo, s52
	v_lshlrev_b32_e32 v103, 24, v102
	v_lshlrev_b32_e32 v27, 20, v27
	v_lshl_add_u32 v101, v101, 23, 0x3c000000
	v_and_b32_e32 v103, 0x80000000, v103
	v_or3_b32 v101, v27, v103, v101
.LBB354_376:                            ;   in Loop: Header=BB354_13 Depth=1
	s_or_b32 exec_lo, exec_lo, s51
.LBB354_377:                            ;   in Loop: Header=BB354_13 Depth=1
	s_or_b32 exec_lo, exec_lo, s50
.LBB354_378:                            ;   in Loop: Header=BB354_13 Depth=1
	s_or_b32 exec_lo, exec_lo, s3
	v_cmp_ne_u16_sdwa s2, v102, v28 src0_sel:BYTE_1 src1_sel:DWORD
	s_and_saveexec_b32 s3, s2
	s_cbranch_execz .LBB354_386
; %bb.379:                              ;   in Loop: Header=BB354_13 Depth=1
	v_cmp_ne_u16_sdwa s2, v102, v45 src0_sel:BYTE_1 src1_sel:DWORD
	v_bfrev_b32_e32 v100, 1
	s_and_saveexec_b32 s50, s2
	s_cbranch_execz .LBB354_385
; %bb.380:                              ;   in Loop: Header=BB354_13 Depth=1
	v_mov_b32_e32 v0, 0xffff
	v_mov_b32_e32 v100, 0x7f800001
	s_mov_b32 s51, exec_lo
	v_and_b32_sdwa v27, v0, v102 dst_sel:DWORD dst_unused:UNUSED_PAD src0_sel:DWORD src1_sel:BYTE_1
	v_and_b32_e32 v103, 0x7f, v27
	v_cmpx_ne_u32_e32 0x7f, v103
	s_cbranch_execz .LBB354_384
; %bb.381:                              ;   in Loop: Header=BB354_13 Depth=1
	v_and_b32_e32 v27, 7, v27
	v_lshrrev_b32_e32 v100, 3, v103
	s_mov_b32 s52, exec_lo
	v_cmpx_gt_u32_e32 8, v103
; %bb.382:                              ;   in Loop: Header=BB354_13 Depth=1
	v_ffbh_u32_e32 v100, v27
	v_min_u32_e32 v100, 32, v100
	v_subrev_nc_u32_e32 v103, 28, v100
	v_sub_nc_u32_e32 v100, 29, v100
	v_lshlrev_b64 v[103:104], v103, v[27:28]
	v_and_b32_e32 v27, 7, v103
; %bb.383:                              ;   in Loop: Header=BB354_13 Depth=1
	s_or_b32 exec_lo, exec_lo, s52
	v_lshlrev_b32_e32 v103, 16, v102
	v_lshlrev_b32_e32 v27, 20, v27
	v_lshl_add_u32 v100, v100, 23, 0x3c000000
	v_and_b32_e32 v103, 0x80000000, v103
	v_or3_b32 v100, v27, v103, v100
.LBB354_384:                            ;   in Loop: Header=BB354_13 Depth=1
	s_or_b32 exec_lo, exec_lo, s51
.LBB354_385:                            ;   in Loop: Header=BB354_13 Depth=1
	s_or_b32 exec_lo, exec_lo, s50
.LBB354_386:                            ;   in Loop: Header=BB354_13 Depth=1
	s_or_b32 exec_lo, exec_lo, s3
	v_and_b32_sdwa v27, v102, v47 dst_sel:DWORD dst_unused:UNUSED_PAD src0_sel:WORD_1 src1_sel:DWORD
	v_mov_b32_e32 v103, 0
	v_mov_b32_e32 v104, 0
	s_mov_b32 s3, exec_lo
	v_cmpx_ne_u16_e32 0, v27
	s_cbranch_execz .LBB354_394
; %bb.387:                              ;   in Loop: Header=BB354_13 Depth=1
	v_bfrev_b32_e32 v104, 1
	s_mov_b32 s50, exec_lo
	v_cmpx_ne_u16_e32 0x80, v27
	s_cbranch_execz .LBB354_393
; %bb.388:                              ;   in Loop: Header=BB354_13 Depth=1
	v_bfe_u32 v105, v102, 16, 7
	v_mov_b32_e32 v104, 0x7f800001
	s_mov_b32 s51, exec_lo
	v_cmpx_ne_u32_e32 0x7f, v105
	s_cbranch_execz .LBB354_392
; %bb.389:                              ;   in Loop: Header=BB354_13 Depth=1
	v_mov_b32_e32 v0, 7
	v_lshrrev_b32_e32 v104, 3, v105
	s_mov_b32 s52, exec_lo
	v_and_b32_sdwa v27, v102, v0 dst_sel:DWORD dst_unused:UNUSED_PAD src0_sel:WORD_1 src1_sel:DWORD
	v_cmpx_gt_u32_e32 8, v105
; %bb.390:                              ;   in Loop: Header=BB354_13 Depth=1
	v_ffbh_u32_e32 v104, v27
	v_min_u32_e32 v104, 32, v104
	v_subrev_nc_u32_e32 v105, 28, v104
	v_sub_nc_u32_e32 v104, 29, v104
	v_lshlrev_b64 v[105:106], v105, v[27:28]
	v_and_b32_e32 v27, 7, v105
; %bb.391:                              ;   in Loop: Header=BB354_13 Depth=1
	s_or_b32 exec_lo, exec_lo, s52
	v_mov_b32_e32 v0, 24
	v_lshlrev_b32_e32 v27, 20, v27
	v_lshl_add_u32 v104, v104, 23, 0x3c000000
	v_lshlrev_b32_sdwa v105, v0, v102 dst_sel:DWORD dst_unused:UNUSED_PAD src0_sel:DWORD src1_sel:WORD_1
	v_and_b32_e32 v105, 0x80000000, v105
	v_or3_b32 v104, v27, v105, v104
.LBB354_392:                            ;   in Loop: Header=BB354_13 Depth=1
	s_or_b32 exec_lo, exec_lo, s51
.LBB354_393:                            ;   in Loop: Header=BB354_13 Depth=1
	s_or_b32 exec_lo, exec_lo, s50
.LBB354_394:                            ;   in Loop: Header=BB354_13 Depth=1
	s_or_b32 exec_lo, exec_lo, s3
	s_mov_b32 s3, exec_lo
	v_cmpx_lt_u32_e32 0xffffff, v102
	s_cbranch_execz .LBB354_402
; %bb.395:                              ;   in Loop: Header=BB354_13 Depth=1
	v_cmp_ne_u32_sdwa s2, v102, v45 src0_sel:BYTE_3 src1_sel:DWORD
	v_bfrev_b32_e32 v103, 1
	s_and_saveexec_b32 s50, s2
	s_cbranch_execz .LBB354_401
; %bb.396:                              ;   in Loop: Header=BB354_13 Depth=1
	v_bfe_u32 v105, v102, 24, 7
	v_mov_b32_e32 v103, 0x7f800001
	s_mov_b32 s51, exec_lo
	v_cmpx_ne_u32_e32 0x7f, v105
	s_cbranch_execz .LBB354_400
; %bb.397:                              ;   in Loop: Header=BB354_13 Depth=1
	v_mov_b32_e32 v0, 7
	v_lshrrev_b32_e32 v103, 3, v105
	s_mov_b32 s52, exec_lo
	v_and_b32_sdwa v27, v102, v0 dst_sel:DWORD dst_unused:UNUSED_PAD src0_sel:BYTE_3 src1_sel:DWORD
	v_cmpx_gt_u32_e32 8, v105
; %bb.398:                              ;   in Loop: Header=BB354_13 Depth=1
	v_ffbh_u32_e32 v103, v27
	v_min_u32_e32 v103, 32, v103
	v_subrev_nc_u32_e32 v105, 28, v103
	v_sub_nc_u32_e32 v103, 29, v103
	v_lshlrev_b64 v[105:106], v105, v[27:28]
	v_and_b32_e32 v27, 7, v105
; %bb.399:                              ;   in Loop: Header=BB354_13 Depth=1
	s_or_b32 exec_lo, exec_lo, s52
	v_mov_b32_e32 v0, 24
	v_lshlrev_b32_e32 v27, 20, v27
	v_lshl_add_u32 v103, v103, 23, 0x3c000000
	v_lshlrev_b32_sdwa v102, v0, v102 dst_sel:DWORD dst_unused:UNUSED_PAD src0_sel:DWORD src1_sel:BYTE_3
	v_and_b32_e32 v102, 0x80000000, v102
	v_or3_b32 v103, v27, v102, v103
.LBB354_400:                            ;   in Loop: Header=BB354_13 Depth=1
	s_or_b32 exec_lo, exec_lo, s51
.LBB354_401:                            ;   in Loop: Header=BB354_13 Depth=1
	s_or_b32 exec_lo, exec_lo, s50
.LBB354_402:                            ;   in Loop: Header=BB354_13 Depth=1
	s_or_b32 exec_lo, exec_lo, s3
	global_load_dword v108, v[33:34], off offset:1536
	v_mov_b32_e32 v102, 0
	v_mov_b32_e32 v107, 0
	s_waitcnt vmcnt(0)
	v_cmp_ne_u16_sdwa s2, v108, v28 src0_sel:BYTE_0 src1_sel:DWORD
	s_and_saveexec_b32 s3, s2
	s_cbranch_execz .LBB354_410
; %bb.403:                              ;   in Loop: Header=BB354_13 Depth=1
	v_cmp_ne_u16_sdwa s2, v108, v45 src0_sel:BYTE_0 src1_sel:DWORD
	v_bfrev_b32_e32 v107, 1
	s_and_saveexec_b32 s50, s2
	s_cbranch_execz .LBB354_409
; %bb.404:                              ;   in Loop: Header=BB354_13 Depth=1
	v_and_b32_e32 v106, 0x7f, v108
	v_mov_b32_e32 v107, 0x7f800001
	s_mov_b32 s51, exec_lo
	v_cmpx_ne_u32_e32 0x7f, v106
	s_cbranch_execz .LBB354_408
; %bb.405:                              ;   in Loop: Header=BB354_13 Depth=1
	v_and_b32_e32 v27, 7, v108
	v_lshrrev_b32_e32 v105, 3, v106
	s_mov_b32 s52, exec_lo
	v_cmpx_gt_u32_e32 8, v106
; %bb.406:                              ;   in Loop: Header=BB354_13 Depth=1
	v_ffbh_u32_e32 v105, v27
	v_min_u32_e32 v105, 32, v105
	v_subrev_nc_u32_e32 v106, 28, v105
	v_sub_nc_u32_e32 v105, 29, v105
	v_lshlrev_b64 v[106:107], v106, v[27:28]
	v_and_b32_e32 v27, 7, v106
; %bb.407:                              ;   in Loop: Header=BB354_13 Depth=1
	s_or_b32 exec_lo, exec_lo, s52
	v_lshlrev_b32_e32 v106, 24, v108
	v_lshlrev_b32_e32 v27, 20, v27
	v_lshl_add_u32 v105, v105, 23, 0x3c000000
	v_and_b32_e32 v106, 0x80000000, v106
	v_or3_b32 v107, v27, v106, v105
.LBB354_408:                            ;   in Loop: Header=BB354_13 Depth=1
	s_or_b32 exec_lo, exec_lo, s51
.LBB354_409:                            ;   in Loop: Header=BB354_13 Depth=1
	s_or_b32 exec_lo, exec_lo, s50
.LBB354_410:                            ;   in Loop: Header=BB354_13 Depth=1
	s_or_b32 exec_lo, exec_lo, s3
	v_cmp_ne_u16_sdwa s2, v108, v28 src0_sel:BYTE_1 src1_sel:DWORD
	s_and_saveexec_b32 s3, s2
	s_cbranch_execz .LBB354_418
; %bb.411:                              ;   in Loop: Header=BB354_13 Depth=1
	v_cmp_ne_u16_sdwa s2, v108, v45 src0_sel:BYTE_1 src1_sel:DWORD
	v_bfrev_b32_e32 v102, 1
	s_and_saveexec_b32 s50, s2
	s_cbranch_execz .LBB354_417
; %bb.412:                              ;   in Loop: Header=BB354_13 Depth=1
	v_mov_b32_e32 v0, 0xffff
	v_mov_b32_e32 v102, 0x7f800001
	s_mov_b32 s51, exec_lo
	v_and_b32_sdwa v27, v0, v108 dst_sel:DWORD dst_unused:UNUSED_PAD src0_sel:DWORD src1_sel:BYTE_1
	v_and_b32_e32 v105, 0x7f, v27
	v_cmpx_ne_u32_e32 0x7f, v105
	s_cbranch_execz .LBB354_416
; %bb.413:                              ;   in Loop: Header=BB354_13 Depth=1
	v_and_b32_e32 v27, 7, v27
	v_lshrrev_b32_e32 v102, 3, v105
	s_mov_b32 s52, exec_lo
	v_cmpx_gt_u32_e32 8, v105
; %bb.414:                              ;   in Loop: Header=BB354_13 Depth=1
	v_ffbh_u32_e32 v102, v27
	v_min_u32_e32 v102, 32, v102
	v_subrev_nc_u32_e32 v105, 28, v102
	v_sub_nc_u32_e32 v102, 29, v102
	v_lshlrev_b64 v[105:106], v105, v[27:28]
	v_and_b32_e32 v27, 7, v105
; %bb.415:                              ;   in Loop: Header=BB354_13 Depth=1
	s_or_b32 exec_lo, exec_lo, s52
	v_lshlrev_b32_e32 v105, 16, v108
	v_lshlrev_b32_e32 v27, 20, v27
	v_lshl_add_u32 v102, v102, 23, 0x3c000000
	v_and_b32_e32 v105, 0x80000000, v105
	v_or3_b32 v102, v27, v105, v102
.LBB354_416:                            ;   in Loop: Header=BB354_13 Depth=1
	s_or_b32 exec_lo, exec_lo, s51
.LBB354_417:                            ;   in Loop: Header=BB354_13 Depth=1
	s_or_b32 exec_lo, exec_lo, s50
.LBB354_418:                            ;   in Loop: Header=BB354_13 Depth=1
	s_or_b32 exec_lo, exec_lo, s3
	v_and_b32_sdwa v27, v108, v47 dst_sel:DWORD dst_unused:UNUSED_PAD src0_sel:WORD_1 src1_sel:DWORD
	v_mov_b32_e32 v105, 0
	v_mov_b32_e32 v106, 0
	s_mov_b32 s3, exec_lo
	v_cmpx_ne_u16_e32 0, v27
	s_cbranch_execz .LBB354_426
; %bb.419:                              ;   in Loop: Header=BB354_13 Depth=1
	v_bfrev_b32_e32 v106, 1
	s_mov_b32 s50, exec_lo
	v_cmpx_ne_u16_e32 0x80, v27
	s_cbranch_execz .LBB354_425
; %bb.420:                              ;   in Loop: Header=BB354_13 Depth=1
	v_bfe_u32 v109, v108, 16, 7
	v_mov_b32_e32 v106, 0x7f800001
	s_mov_b32 s51, exec_lo
	v_cmpx_ne_u32_e32 0x7f, v109
	s_cbranch_execz .LBB354_424
; %bb.421:                              ;   in Loop: Header=BB354_13 Depth=1
	v_mov_b32_e32 v0, 7
	v_lshrrev_b32_e32 v106, 3, v109
	s_mov_b32 s52, exec_lo
	v_and_b32_sdwa v27, v108, v0 dst_sel:DWORD dst_unused:UNUSED_PAD src0_sel:WORD_1 src1_sel:DWORD
	v_cmpx_gt_u32_e32 8, v109
; %bb.422:                              ;   in Loop: Header=BB354_13 Depth=1
	v_ffbh_u32_e32 v106, v27
	v_min_u32_e32 v106, 32, v106
	v_subrev_nc_u32_e32 v109, 28, v106
	v_sub_nc_u32_e32 v106, 29, v106
	v_lshlrev_b64 v[109:110], v109, v[27:28]
	v_and_b32_e32 v27, 7, v109
; %bb.423:                              ;   in Loop: Header=BB354_13 Depth=1
	s_or_b32 exec_lo, exec_lo, s52
	v_mov_b32_e32 v0, 24
	v_lshlrev_b32_e32 v27, 20, v27
	v_lshl_add_u32 v106, v106, 23, 0x3c000000
	v_lshlrev_b32_sdwa v109, v0, v108 dst_sel:DWORD dst_unused:UNUSED_PAD src0_sel:DWORD src1_sel:WORD_1
	v_and_b32_e32 v109, 0x80000000, v109
	v_or3_b32 v106, v27, v109, v106
.LBB354_424:                            ;   in Loop: Header=BB354_13 Depth=1
	s_or_b32 exec_lo, exec_lo, s51
.LBB354_425:                            ;   in Loop: Header=BB354_13 Depth=1
	s_or_b32 exec_lo, exec_lo, s50
.LBB354_426:                            ;   in Loop: Header=BB354_13 Depth=1
	s_or_b32 exec_lo, exec_lo, s3
	s_mov_b32 s3, exec_lo
	v_cmpx_lt_u32_e32 0xffffff, v108
	s_cbranch_execz .LBB354_434
; %bb.427:                              ;   in Loop: Header=BB354_13 Depth=1
	v_cmp_ne_u32_sdwa s2, v108, v45 src0_sel:BYTE_3 src1_sel:DWORD
	v_bfrev_b32_e32 v105, 1
	s_and_saveexec_b32 s50, s2
	s_cbranch_execz .LBB354_433
; %bb.428:                              ;   in Loop: Header=BB354_13 Depth=1
	v_bfe_u32 v109, v108, 24, 7
	v_mov_b32_e32 v105, 0x7f800001
	s_mov_b32 s51, exec_lo
	v_cmpx_ne_u32_e32 0x7f, v109
	s_cbranch_execz .LBB354_432
; %bb.429:                              ;   in Loop: Header=BB354_13 Depth=1
	v_mov_b32_e32 v0, 7
	v_lshrrev_b32_e32 v105, 3, v109
	s_mov_b32 s52, exec_lo
	v_and_b32_sdwa v27, v108, v0 dst_sel:DWORD dst_unused:UNUSED_PAD src0_sel:BYTE_3 src1_sel:DWORD
	v_cmpx_gt_u32_e32 8, v109
; %bb.430:                              ;   in Loop: Header=BB354_13 Depth=1
	v_ffbh_u32_e32 v105, v27
	v_min_u32_e32 v105, 32, v105
	v_subrev_nc_u32_e32 v109, 28, v105
	v_sub_nc_u32_e32 v105, 29, v105
	v_lshlrev_b64 v[109:110], v109, v[27:28]
	v_and_b32_e32 v27, 7, v109
; %bb.431:                              ;   in Loop: Header=BB354_13 Depth=1
	s_or_b32 exec_lo, exec_lo, s52
	v_mov_b32_e32 v0, 24
	v_lshlrev_b32_e32 v27, 20, v27
	v_lshl_add_u32 v105, v105, 23, 0x3c000000
	v_lshlrev_b32_sdwa v108, v0, v108 dst_sel:DWORD dst_unused:UNUSED_PAD src0_sel:DWORD src1_sel:BYTE_3
	v_and_b32_e32 v108, 0x80000000, v108
	v_or3_b32 v105, v27, v108, v105
.LBB354_432:                            ;   in Loop: Header=BB354_13 Depth=1
	s_or_b32 exec_lo, exec_lo, s51
.LBB354_433:                            ;   in Loop: Header=BB354_13 Depth=1
	s_or_b32 exec_lo, exec_lo, s50
.LBB354_434:                            ;   in Loop: Header=BB354_13 Depth=1
	s_or_b32 exec_lo, exec_lo, s3
	global_load_dword v112, v[33:34], off offset:1544
	v_mov_b32_e32 v109, 0
	v_mov_b32_e32 v108, 0
	s_waitcnt vmcnt(0)
	v_cmp_ne_u16_sdwa s2, v112, v28 src0_sel:BYTE_0 src1_sel:DWORD
	s_and_saveexec_b32 s3, s2
	s_cbranch_execz .LBB354_442
; %bb.435:                              ;   in Loop: Header=BB354_13 Depth=1
	v_cmp_ne_u16_sdwa s2, v112, v45 src0_sel:BYTE_0 src1_sel:DWORD
	v_bfrev_b32_e32 v108, 1
	s_and_saveexec_b32 s50, s2
	s_cbranch_execz .LBB354_441
; %bb.436:                              ;   in Loop: Header=BB354_13 Depth=1
	v_and_b32_e32 v110, 0x7f, v112
	v_mov_b32_e32 v108, 0x7f800001
	s_mov_b32 s51, exec_lo
	v_cmpx_ne_u32_e32 0x7f, v110
	s_cbranch_execz .LBB354_440
; %bb.437:                              ;   in Loop: Header=BB354_13 Depth=1
	v_and_b32_e32 v27, 7, v112
	v_lshrrev_b32_e32 v108, 3, v110
	s_mov_b32 s52, exec_lo
	v_cmpx_gt_u32_e32 8, v110
; %bb.438:                              ;   in Loop: Header=BB354_13 Depth=1
	v_ffbh_u32_e32 v108, v27
	v_min_u32_e32 v108, 32, v108
	v_subrev_nc_u32_e32 v110, 28, v108
	v_sub_nc_u32_e32 v108, 29, v108
	v_lshlrev_b64 v[110:111], v110, v[27:28]
	v_and_b32_e32 v27, 7, v110
; %bb.439:                              ;   in Loop: Header=BB354_13 Depth=1
	s_or_b32 exec_lo, exec_lo, s52
	v_lshlrev_b32_e32 v110, 24, v112
	v_lshlrev_b32_e32 v27, 20, v27
	v_lshl_add_u32 v108, v108, 23, 0x3c000000
	v_and_b32_e32 v110, 0x80000000, v110
	v_or3_b32 v108, v27, v110, v108
.LBB354_440:                            ;   in Loop: Header=BB354_13 Depth=1
	s_or_b32 exec_lo, exec_lo, s51
.LBB354_441:                            ;   in Loop: Header=BB354_13 Depth=1
	s_or_b32 exec_lo, exec_lo, s50
.LBB354_442:                            ;   in Loop: Header=BB354_13 Depth=1
	s_or_b32 exec_lo, exec_lo, s3
	v_cmp_ne_u16_sdwa s2, v112, v28 src0_sel:BYTE_1 src1_sel:DWORD
	s_and_saveexec_b32 s3, s2
	s_cbranch_execz .LBB354_450
; %bb.443:                              ;   in Loop: Header=BB354_13 Depth=1
	v_cmp_ne_u16_sdwa s2, v112, v45 src0_sel:BYTE_1 src1_sel:DWORD
	v_bfrev_b32_e32 v109, 1
	s_and_saveexec_b32 s50, s2
	s_cbranch_execz .LBB354_449
; %bb.444:                              ;   in Loop: Header=BB354_13 Depth=1
	v_mov_b32_e32 v0, 0xffff
	v_mov_b32_e32 v109, 0x7f800001
	s_mov_b32 s51, exec_lo
	v_and_b32_sdwa v27, v0, v112 dst_sel:DWORD dst_unused:UNUSED_PAD src0_sel:DWORD src1_sel:BYTE_1
	v_and_b32_e32 v110, 0x7f, v27
	v_cmpx_ne_u32_e32 0x7f, v110
	s_cbranch_execz .LBB354_448
; %bb.445:                              ;   in Loop: Header=BB354_13 Depth=1
	v_and_b32_e32 v27, 7, v27
	v_lshrrev_b32_e32 v109, 3, v110
	s_mov_b32 s52, exec_lo
	v_cmpx_gt_u32_e32 8, v110
; %bb.446:                              ;   in Loop: Header=BB354_13 Depth=1
	v_ffbh_u32_e32 v109, v27
	v_min_u32_e32 v109, 32, v109
	v_subrev_nc_u32_e32 v110, 28, v109
	v_sub_nc_u32_e32 v109, 29, v109
	v_lshlrev_b64 v[110:111], v110, v[27:28]
	v_and_b32_e32 v27, 7, v110
; %bb.447:                              ;   in Loop: Header=BB354_13 Depth=1
	s_or_b32 exec_lo, exec_lo, s52
	v_lshlrev_b32_e32 v110, 16, v112
	v_lshlrev_b32_e32 v27, 20, v27
	v_lshl_add_u32 v109, v109, 23, 0x3c000000
	v_and_b32_e32 v110, 0x80000000, v110
	v_or3_b32 v109, v27, v110, v109
.LBB354_448:                            ;   in Loop: Header=BB354_13 Depth=1
	s_or_b32 exec_lo, exec_lo, s51
.LBB354_449:                            ;   in Loop: Header=BB354_13 Depth=1
	s_or_b32 exec_lo, exec_lo, s50
.LBB354_450:                            ;   in Loop: Header=BB354_13 Depth=1
	s_or_b32 exec_lo, exec_lo, s3
	v_and_b32_sdwa v27, v112, v47 dst_sel:DWORD dst_unused:UNUSED_PAD src0_sel:WORD_1 src1_sel:DWORD
	v_mov_b32_e32 v110, 0
	v_mov_b32_e32 v111, 0
	s_mov_b32 s3, exec_lo
	v_cmpx_ne_u16_e32 0, v27
	s_cbranch_execz .LBB354_458
; %bb.451:                              ;   in Loop: Header=BB354_13 Depth=1
	v_bfrev_b32_e32 v111, 1
	s_mov_b32 s50, exec_lo
	v_cmpx_ne_u16_e32 0x80, v27
	s_cbranch_execz .LBB354_457
; %bb.452:                              ;   in Loop: Header=BB354_13 Depth=1
	v_bfe_u32 v113, v112, 16, 7
	v_mov_b32_e32 v111, 0x7f800001
	s_mov_b32 s51, exec_lo
	v_cmpx_ne_u32_e32 0x7f, v113
	s_cbranch_execz .LBB354_456
; %bb.453:                              ;   in Loop: Header=BB354_13 Depth=1
	v_mov_b32_e32 v0, 7
	v_lshrrev_b32_e32 v111, 3, v113
	s_mov_b32 s52, exec_lo
	v_and_b32_sdwa v27, v112, v0 dst_sel:DWORD dst_unused:UNUSED_PAD src0_sel:WORD_1 src1_sel:DWORD
	v_cmpx_gt_u32_e32 8, v113
; %bb.454:                              ;   in Loop: Header=BB354_13 Depth=1
	v_ffbh_u32_e32 v111, v27
	v_min_u32_e32 v111, 32, v111
	v_subrev_nc_u32_e32 v113, 28, v111
	v_sub_nc_u32_e32 v111, 29, v111
	v_lshlrev_b64 v[113:114], v113, v[27:28]
	v_and_b32_e32 v27, 7, v113
; %bb.455:                              ;   in Loop: Header=BB354_13 Depth=1
	s_or_b32 exec_lo, exec_lo, s52
	v_mov_b32_e32 v0, 24
	v_lshlrev_b32_e32 v27, 20, v27
	v_lshl_add_u32 v111, v111, 23, 0x3c000000
	v_lshlrev_b32_sdwa v113, v0, v112 dst_sel:DWORD dst_unused:UNUSED_PAD src0_sel:DWORD src1_sel:WORD_1
	v_and_b32_e32 v113, 0x80000000, v113
	v_or3_b32 v111, v27, v113, v111
.LBB354_456:                            ;   in Loop: Header=BB354_13 Depth=1
	s_or_b32 exec_lo, exec_lo, s51
.LBB354_457:                            ;   in Loop: Header=BB354_13 Depth=1
	s_or_b32 exec_lo, exec_lo, s50
.LBB354_458:                            ;   in Loop: Header=BB354_13 Depth=1
	s_or_b32 exec_lo, exec_lo, s3
	s_mov_b32 s3, exec_lo
	v_cmpx_lt_u32_e32 0xffffff, v112
	s_cbranch_execz .LBB354_466
; %bb.459:                              ;   in Loop: Header=BB354_13 Depth=1
	v_cmp_ne_u32_sdwa s2, v112, v45 src0_sel:BYTE_3 src1_sel:DWORD
	v_bfrev_b32_e32 v110, 1
	s_and_saveexec_b32 s50, s2
	s_cbranch_execz .LBB354_465
; %bb.460:                              ;   in Loop: Header=BB354_13 Depth=1
	v_bfe_u32 v113, v112, 24, 7
	v_mov_b32_e32 v110, 0x7f800001
	s_mov_b32 s51, exec_lo
	v_cmpx_ne_u32_e32 0x7f, v113
	s_cbranch_execz .LBB354_464
; %bb.461:                              ;   in Loop: Header=BB354_13 Depth=1
	v_mov_b32_e32 v0, 7
	v_lshrrev_b32_e32 v110, 3, v113
	s_mov_b32 s52, exec_lo
	v_and_b32_sdwa v27, v112, v0 dst_sel:DWORD dst_unused:UNUSED_PAD src0_sel:BYTE_3 src1_sel:DWORD
	v_cmpx_gt_u32_e32 8, v113
; %bb.462:                              ;   in Loop: Header=BB354_13 Depth=1
	v_ffbh_u32_e32 v110, v27
	v_min_u32_e32 v110, 32, v110
	v_subrev_nc_u32_e32 v113, 28, v110
	v_sub_nc_u32_e32 v110, 29, v110
	v_lshlrev_b64 v[113:114], v113, v[27:28]
	v_and_b32_e32 v27, 7, v113
; %bb.463:                              ;   in Loop: Header=BB354_13 Depth=1
	s_or_b32 exec_lo, exec_lo, s52
	v_mov_b32_e32 v0, 24
	v_lshlrev_b32_e32 v27, 20, v27
	v_lshl_add_u32 v110, v110, 23, 0x3c000000
	v_lshlrev_b32_sdwa v112, v0, v112 dst_sel:DWORD dst_unused:UNUSED_PAD src0_sel:DWORD src1_sel:BYTE_3
	v_and_b32_e32 v112, 0x80000000, v112
	v_or3_b32 v110, v27, v112, v110
.LBB354_464:                            ;   in Loop: Header=BB354_13 Depth=1
	s_or_b32 exec_lo, exec_lo, s51
.LBB354_465:                            ;   in Loop: Header=BB354_13 Depth=1
	s_or_b32 exec_lo, exec_lo, s50
.LBB354_466:                            ;   in Loop: Header=BB354_13 Depth=1
	s_or_b32 exec_lo, exec_lo, s3
	global_load_dword v114, v[33:34], off offset:1792
	v_mov_b32_e32 v113, 0
	v_mov_b32_e32 v34, 0
	s_waitcnt vmcnt(0)
	v_cmp_ne_u16_sdwa s2, v114, v28 src0_sel:BYTE_0 src1_sel:DWORD
	s_and_saveexec_b32 s3, s2
	s_cbranch_execz .LBB354_474
; %bb.467:                              ;   in Loop: Header=BB354_13 Depth=1
	v_cmp_ne_u16_sdwa s2, v114, v45 src0_sel:BYTE_0 src1_sel:DWORD
	v_bfrev_b32_e32 v34, 1
	s_and_saveexec_b32 s50, s2
	s_cbranch_execz .LBB354_473
; %bb.468:                              ;   in Loop: Header=BB354_13 Depth=1
	v_and_b32_e32 v112, 0x7f, v114
	v_mov_b32_e32 v34, 0x7f800001
	s_mov_b32 s51, exec_lo
	v_cmpx_ne_u32_e32 0x7f, v112
	s_cbranch_execz .LBB354_472
; %bb.469:                              ;   in Loop: Header=BB354_13 Depth=1
	v_and_b32_e32 v27, 7, v114
	v_lshrrev_b32_e32 v33, 3, v112
	s_mov_b32 s52, exec_lo
	v_cmpx_gt_u32_e32 8, v112
; %bb.470:                              ;   in Loop: Header=BB354_13 Depth=1
	v_ffbh_u32_e32 v33, v27
	v_min_u32_e32 v33, 32, v33
	v_subrev_nc_u32_e32 v34, 28, v33
	v_sub_nc_u32_e32 v33, 29, v33
	v_lshlrev_b64 v[115:116], v34, v[27:28]
	v_and_b32_e32 v27, 7, v115
; %bb.471:                              ;   in Loop: Header=BB354_13 Depth=1
	s_or_b32 exec_lo, exec_lo, s52
	v_lshlrev_b32_e32 v34, 24, v114
	v_lshlrev_b32_e32 v27, 20, v27
	v_lshl_add_u32 v33, v33, 23, 0x3c000000
	v_and_b32_e32 v34, 0x80000000, v34
	v_or3_b32 v34, v27, v34, v33
.LBB354_472:                            ;   in Loop: Header=BB354_13 Depth=1
	s_or_b32 exec_lo, exec_lo, s51
.LBB354_473:                            ;   in Loop: Header=BB354_13 Depth=1
	s_or_b32 exec_lo, exec_lo, s50
.LBB354_474:                            ;   in Loop: Header=BB354_13 Depth=1
	s_or_b32 exec_lo, exec_lo, s3
	v_cmp_ne_u16_sdwa s2, v114, v28 src0_sel:BYTE_1 src1_sel:DWORD
	s_and_saveexec_b32 s3, s2
	s_cbranch_execz .LBB354_482
; %bb.475:                              ;   in Loop: Header=BB354_13 Depth=1
	v_cmp_ne_u16_sdwa s2, v114, v45 src0_sel:BYTE_1 src1_sel:DWORD
	v_bfrev_b32_e32 v113, 1
	s_and_saveexec_b32 s50, s2
	s_cbranch_execz .LBB354_481
; %bb.476:                              ;   in Loop: Header=BB354_13 Depth=1
	v_mov_b32_e32 v0, 0xffff
	v_mov_b32_e32 v113, 0x7f800001
	s_mov_b32 s51, exec_lo
	v_and_b32_sdwa v27, v0, v114 dst_sel:DWORD dst_unused:UNUSED_PAD src0_sel:DWORD src1_sel:BYTE_1
	v_and_b32_e32 v112, 0x7f, v27
	v_cmpx_ne_u32_e32 0x7f, v112
	s_cbranch_execz .LBB354_480
; %bb.477:                              ;   in Loop: Header=BB354_13 Depth=1
	v_and_b32_e32 v27, 7, v27
	v_lshrrev_b32_e32 v33, 3, v112
	s_mov_b32 s52, exec_lo
	v_cmpx_gt_u32_e32 8, v112
; %bb.478:                              ;   in Loop: Header=BB354_13 Depth=1
	v_ffbh_u32_e32 v33, v27
	v_min_u32_e32 v33, 32, v33
	v_subrev_nc_u32_e32 v112, 28, v33
	v_sub_nc_u32_e32 v33, 29, v33
	v_lshlrev_b64 v[112:113], v112, v[27:28]
	v_and_b32_e32 v27, 7, v112
; %bb.479:                              ;   in Loop: Header=BB354_13 Depth=1
	s_or_b32 exec_lo, exec_lo, s52
	v_lshlrev_b32_e32 v112, 16, v114
	v_lshlrev_b32_e32 v27, 20, v27
	v_lshl_add_u32 v33, v33, 23, 0x3c000000
	v_and_b32_e32 v112, 0x80000000, v112
	v_or3_b32 v113, v27, v112, v33
.LBB354_480:                            ;   in Loop: Header=BB354_13 Depth=1
	s_or_b32 exec_lo, exec_lo, s51
.LBB354_481:                            ;   in Loop: Header=BB354_13 Depth=1
	s_or_b32 exec_lo, exec_lo, s50
.LBB354_482:                            ;   in Loop: Header=BB354_13 Depth=1
	s_or_b32 exec_lo, exec_lo, s3
	v_and_b32_sdwa v27, v114, v47 dst_sel:DWORD dst_unused:UNUSED_PAD src0_sel:WORD_1 src1_sel:DWORD
	v_mov_b32_e32 v33, 0
	v_mov_b32_e32 v112, 0
	s_mov_b32 s3, exec_lo
	v_cmpx_ne_u16_e32 0, v27
	s_cbranch_execz .LBB354_490
; %bb.483:                              ;   in Loop: Header=BB354_13 Depth=1
	v_bfrev_b32_e32 v112, 1
	s_mov_b32 s50, exec_lo
	v_cmpx_ne_u16_e32 0x80, v27
	s_cbranch_execz .LBB354_489
; %bb.484:                              ;   in Loop: Header=BB354_13 Depth=1
	v_bfe_u32 v115, v114, 16, 7
	v_mov_b32_e32 v112, 0x7f800001
	s_mov_b32 s51, exec_lo
	v_cmpx_ne_u32_e32 0x7f, v115
	s_cbranch_execz .LBB354_488
; %bb.485:                              ;   in Loop: Header=BB354_13 Depth=1
	v_mov_b32_e32 v0, 7
	v_lshrrev_b32_e32 v112, 3, v115
	s_mov_b32 s52, exec_lo
	v_and_b32_sdwa v27, v114, v0 dst_sel:DWORD dst_unused:UNUSED_PAD src0_sel:WORD_1 src1_sel:DWORD
	v_cmpx_gt_u32_e32 8, v115
; %bb.486:                              ;   in Loop: Header=BB354_13 Depth=1
	v_ffbh_u32_e32 v112, v27
	v_min_u32_e32 v112, 32, v112
	v_subrev_nc_u32_e32 v115, 28, v112
	v_sub_nc_u32_e32 v112, 29, v112
	v_lshlrev_b64 v[115:116], v115, v[27:28]
	v_and_b32_e32 v27, 7, v115
; %bb.487:                              ;   in Loop: Header=BB354_13 Depth=1
	s_or_b32 exec_lo, exec_lo, s52
	v_mov_b32_e32 v0, 24
	v_lshlrev_b32_e32 v27, 20, v27
	v_lshl_add_u32 v112, v112, 23, 0x3c000000
	v_lshlrev_b32_sdwa v115, v0, v114 dst_sel:DWORD dst_unused:UNUSED_PAD src0_sel:DWORD src1_sel:WORD_1
	v_and_b32_e32 v115, 0x80000000, v115
	v_or3_b32 v112, v27, v115, v112
.LBB354_488:                            ;   in Loop: Header=BB354_13 Depth=1
	s_or_b32 exec_lo, exec_lo, s51
.LBB354_489:                            ;   in Loop: Header=BB354_13 Depth=1
	s_or_b32 exec_lo, exec_lo, s50
.LBB354_490:                            ;   in Loop: Header=BB354_13 Depth=1
	s_or_b32 exec_lo, exec_lo, s3
	s_mov_b32 s3, exec_lo
	v_cmpx_lt_u32_e32 0xffffff, v114
	s_cbranch_execz .LBB354_498
; %bb.491:                              ;   in Loop: Header=BB354_13 Depth=1
	v_cmp_ne_u32_sdwa s2, v114, v45 src0_sel:BYTE_3 src1_sel:DWORD
	v_bfrev_b32_e32 v33, 1
	s_and_saveexec_b32 s50, s2
	s_cbranch_execz .LBB354_497
; %bb.492:                              ;   in Loop: Header=BB354_13 Depth=1
	v_bfe_u32 v115, v114, 24, 7
	v_mov_b32_e32 v33, 0x7f800001
	s_mov_b32 s51, exec_lo
	v_cmpx_ne_u32_e32 0x7f, v115
	s_cbranch_execz .LBB354_496
; %bb.493:                              ;   in Loop: Header=BB354_13 Depth=1
	v_mov_b32_e32 v0, 7
	v_lshrrev_b32_e32 v33, 3, v115
	s_mov_b32 s52, exec_lo
	v_and_b32_sdwa v27, v114, v0 dst_sel:DWORD dst_unused:UNUSED_PAD src0_sel:BYTE_3 src1_sel:DWORD
	v_cmpx_gt_u32_e32 8, v115
; %bb.494:                              ;   in Loop: Header=BB354_13 Depth=1
	v_ffbh_u32_e32 v33, v27
	v_min_u32_e32 v33, 32, v33
	v_subrev_nc_u32_e32 v115, 28, v33
	v_sub_nc_u32_e32 v33, 29, v33
	v_lshlrev_b64 v[115:116], v115, v[27:28]
	v_and_b32_e32 v27, 7, v115
; %bb.495:                              ;   in Loop: Header=BB354_13 Depth=1
	s_or_b32 exec_lo, exec_lo, s52
	v_mov_b32_e32 v0, 24
	v_lshlrev_b32_e32 v27, 20, v27
	v_lshl_add_u32 v33, v33, 23, 0x3c000000
	v_lshlrev_b32_sdwa v114, v0, v114 dst_sel:DWORD dst_unused:UNUSED_PAD src0_sel:DWORD src1_sel:BYTE_3
	v_and_b32_e32 v114, 0x80000000, v114
	v_or3_b32 v33, v27, v114, v33
.LBB354_496:                            ;   in Loop: Header=BB354_13 Depth=1
	s_or_b32 exec_lo, exec_lo, s51
.LBB354_497:                            ;   in Loop: Header=BB354_13 Depth=1
	s_or_b32 exec_lo, exec_lo, s50
.LBB354_498:                            ;   in Loop: Header=BB354_13 Depth=1
	s_or_b32 exec_lo, exec_lo, s3
	s_waitcnt lgkmcnt(0)
	v_lshlrev_b32_e32 v127, 16, v21
	v_lshlrev_b32_e32 v36, 16, v22
	;; [unrolled: 1-line block ×4, first 2 shown]
	v_and_b32_e32 v35, 0xffff0000, v21
	v_and_b32_e32 v42, 0xffff0000, v22
	;; [unrolled: 1-line block ×4, first 2 shown]
	v_lshlrev_b32_e32 v24, 16, v11
	v_lshlrev_b32_e32 v22, 16, v12
	v_and_b32_e32 v23, 0xffff0000, v11
	v_and_b32_e32 v21, 0xffff0000, v12
	v_lshlrev_b32_e32 v12, 16, v1
	v_and_b32_e32 v11, 0xffff0000, v1
	v_mul_f32_e32 v1, s49, v61
	v_lshlrev_b32_e32 v116, 16, v9
	v_lshlrev_b32_e32 v114, 16, v10
	v_and_b32_e32 v115, 0xffff0000, v9
	v_and_b32_e32 v27, 0xffff0000, v10
	v_lshlrev_b32_e32 v10, 16, v2
	v_and_b32_e32 v9, 0xffff0000, v2
	v_bfe_u32 v2, v1, 16, 1
	v_cmp_u_f32_e64 s2, v1, v1
	v_lshlrev_b32_e32 v124, 16, v13
	v_lshlrev_b32_e32 v122, 16, v14
	;; [unrolled: 1-line block ×3, first 2 shown]
	v_add3_u32 v2, v2, v1, 0x7fff
	v_or_b32_e32 v1, 0x400000, v1
	v_lshlrev_b32_e32 v118, 16, v16
	v_and_b32_e32 v123, 0xffff0000, v13
	v_and_b32_e32 v121, 0xffff0000, v14
	;; [unrolled: 1-line block ×3, first 2 shown]
	v_cndmask_b32_e64 v1, v2, v1, s2
	v_mul_f32_e32 v2, s49, v57
	v_and_b32_e32 v117, 0xffff0000, v16
	v_lshlrev_b32_e32 v16, 16, v7
	v_lshlrev_b32_e32 v14, 16, v8
	v_and_b32_e32 v15, 0xffff0000, v7
	v_and_b32_e32 v13, 0xffff0000, v8
	v_lshlrev_b32_e32 v8, 16, v3
	v_and_b32_e32 v7, 0xffff0000, v3
	v_bfe_u32 v3, v2, 16, 1
	v_cmp_u_f32_e64 s2, v2, v2
	v_and_b32_e32 v1, 0xffff0000, v1
	v_lshlrev_b32_e32 v32, 16, v17
	v_lshlrev_b32_e32 v40, 16, v18
	v_add3_u32 v3, v3, v2, 0x7fff
	v_or_b32_e32 v2, 0x400000, v2
	v_mul_f32_e32 v1, v37, v1
	v_lshlrev_b32_e32 v0, 16, v19
	v_lshlrev_b32_e32 v126, 16, v20
	v_and_b32_e32 v46, 0xffff0000, v17
	v_cndmask_b32_e64 v2, v3, v2, s2
	v_and_b32_e32 v48, 0xffff0000, v18
	v_and_b32_e32 v49, 0xffff0000, v19
	;; [unrolled: 1-line block ×3, first 2 shown]
	v_lshlrev_b32_e32 v20, 16, v5
	v_and_b32_e32 v2, 0xffff0000, v2
	v_lshlrev_b32_e32 v18, 16, v6
	v_and_b32_e32 v19, 0xffff0000, v5
	v_and_b32_e32 v17, 0xffff0000, v6
	v_lshlrev_b32_e32 v6, 16, v4
	v_fmac_f32_e32 v1, v127, v2
	v_mul_f32_e32 v2, s49, v60
	v_and_b32_e32 v5, 0xffff0000, v4
	v_bfe_u32 v3, v2, 16, 1
	v_cmp_u_f32_e64 s2, v2, v2
	v_add3_u32 v3, v3, v2, 0x7fff
	v_or_b32_e32 v2, 0x400000, v2
	v_cndmask_b32_e64 v2, v3, v2, s2
	v_mul_f32_e32 v3, s49, v56
	v_and_b32_e32 v2, 0xffff0000, v2
	v_bfe_u32 v4, v3, 16, 1
	v_cmp_u_f32_e64 s2, v3, v3
	v_mul_f32_e32 v2, v50, v2
	v_add3_u32 v4, v4, v3, 0x7fff
	v_or_b32_e32 v3, 0x400000, v3
	v_cndmask_b32_e64 v3, v4, v3, s2
	v_and_b32_e32 v3, 0xffff0000, v3
	v_fmac_f32_e32 v2, v35, v3
	v_mul_f32_e32 v3, s49, v63
	v_bfe_u32 v4, v3, 16, 1
	v_cmp_u_f32_e64 s2, v3, v3
	v_add3_u32 v4, v4, v3, 0x7fff
	v_or_b32_e32 v3, 0x400000, v3
	v_cndmask_b32_e64 v3, v4, v3, s2
	v_mul_f32_e32 v4, s49, v59
	v_and_b32_e32 v3, 0xffff0000, v3
	v_bfe_u32 v35, v4, 16, 1
	v_cmp_u_f32_e64 s2, v4, v4
	v_mul_f32_e32 v3, v39, v3
	v_add3_u32 v35, v35, v4, 0x7fff
	v_or_b32_e32 v4, 0x400000, v4
	v_cndmask_b32_e64 v4, v35, v4, s2
	v_and_b32_e32 v4, 0xffff0000, v4
	v_fmac_f32_e32 v3, v36, v4
	v_mul_f32_e32 v4, s49, v62
	;; [unrolled: 16-line block ×3, first 2 shown]
	v_bfe_u32 v35, v31, 16, 1
	v_cmp_u_f32_e64 s2, v31, v31
	v_add3_u32 v35, v35, v31, 0x7fff
	v_or_b32_e32 v31, 0x400000, v31
	v_cndmask_b32_e64 v31, v35, v31, s2
	v_and_b32_e32 v31, 0xffff0000, v31
	v_fmac_f32_e32 v1, v32, v31
	v_mul_f32_e32 v31, s49, v64
	v_bfe_u32 v32, v31, 16, 1
	v_cmp_u_f32_e64 s2, v31, v31
	v_add3_u32 v32, v32, v31, 0x7fff
	v_or_b32_e32 v31, 0x400000, v31
	v_cndmask_b32_e64 v31, v32, v31, s2
	v_and_b32_e32 v31, 0xffff0000, v31
	v_fmac_f32_e32 v2, v46, v31
	v_mul_f32_e32 v31, s49, v67
	;; [unrolled: 8-line block ×28, first 2 shown]
	v_bfe_u32 v17, v0, 16, 1
	v_cmp_u_f32_e64 s2, v0, v0
	v_add3_u32 v17, v17, v0, 0x7fff
	v_or_b32_e32 v0, 0x400000, v0
	v_cndmask_b32_e64 v0, v17, v0, s2
	v_mul_f32_e32 v17, s49, v105
	v_and_b32_e32 v0, 0xffff0000, v0
	v_fmac_f32_e32 v1, v16, v0
	v_mul_f32_e32 v0, s49, v92
	v_bfe_u32 v16, v0, 16, 1
	v_cmp_u_f32_e64 s2, v0, v0
	v_add3_u32 v16, v16, v0, 0x7fff
	v_or_b32_e32 v0, 0x400000, v0
	v_cndmask_b32_e64 v0, v16, v0, s2
	v_and_b32_e32 v0, 0xffff0000, v0
	v_fmac_f32_e32 v2, v15, v0
	v_mul_f32_e32 v0, s49, v95
	v_bfe_u32 v15, v0, 16, 1
	v_cmp_u_f32_e64 s2, v0, v0
	v_add3_u32 v15, v15, v0, 0x7fff
	v_or_b32_e32 v0, 0x400000, v0
	v_cndmask_b32_e64 v0, v15, v0, s2
	v_lshlrev_b32_e32 v15, 16, v55
	v_and_b32_e32 v0, 0xffff0000, v0
	v_fmac_f32_e32 v3, v14, v0
	v_mul_f32_e32 v0, s49, v94
	v_bfe_u32 v14, v0, 16, 1
	v_cmp_u_f32_e64 s2, v0, v0
	v_add3_u32 v14, v14, v0, 0x7fff
	v_or_b32_e32 v0, 0x400000, v0
	v_cndmask_b32_e64 v0, v14, v0, s2
	v_and_b32_e32 v14, 0xffff0000, v54
	v_and_b32_e32 v0, 0xffff0000, v0
	v_fmac_f32_e32 v4, v13, v0
	v_mul_f32_e32 v0, s49, v97
	v_bfe_u32 v13, v0, 16, 1
	v_cmp_u_f32_e64 s2, v0, v0
	v_add3_u32 v13, v13, v0, 0x7fff
	v_or_b32_e32 v0, 0x400000, v0
	v_cndmask_b32_e64 v0, v13, v0, s2
	v_mul_f32_e32 v13, s49, v108
	v_and_b32_e32 v0, 0xffff0000, v0
	v_fmac_f32_e32 v1, v12, v0
	v_mul_f32_e32 v0, s49, v96
	v_bfe_u32 v12, v0, 16, 1
	v_cmp_u_f32_e64 s2, v0, v0
	v_add3_u32 v12, v12, v0, 0x7fff
	v_or_b32_e32 v0, 0x400000, v0
	v_cndmask_b32_e64 v0, v12, v0, s2
	v_and_b32_e32 v0, 0xffff0000, v0
	v_fmac_f32_e32 v2, v11, v0
	v_mul_f32_e32 v0, s49, v99
	v_bfe_u32 v11, v0, 16, 1
	v_cmp_u_f32_e64 s2, v0, v0
	v_add3_u32 v11, v11, v0, 0x7fff
	v_or_b32_e32 v0, 0x400000, v0
	v_cndmask_b32_e64 v0, v11, v0, s2
	v_and_b32_e32 v0, 0xffff0000, v0
	v_fmac_f32_e32 v3, v10, v0
	v_mul_f32_e32 v0, s49, v98
	v_bfe_u32 v10, v0, 16, 1
	v_cmp_u_f32_e64 s2, v0, v0
	v_add3_u32 v10, v10, v0, 0x7fff
	v_or_b32_e32 v0, 0x400000, v0
	v_cndmask_b32_e64 v0, v10, v0, s2
	v_and_b32_e32 v0, 0xffff0000, v0
	v_fmac_f32_e32 v4, v9, v0
	v_mul_f32_e32 v0, s49, v101
	v_bfe_u32 v9, v0, 16, 1
	v_cmp_u_f32_e64 s2, v0, v0
	v_add3_u32 v9, v9, v0, 0x7fff
	v_or_b32_e32 v0, 0x400000, v0
	v_cndmask_b32_e64 v0, v9, v0, s2
	v_and_b32_e32 v0, 0xffff0000, v0
	v_fmac_f32_e32 v1, v8, v0
	v_mul_f32_e32 v0, s49, v100
	v_bfe_u32 v8, v0, 16, 1
	v_cmp_u_f32_e64 s2, v0, v0
	v_add3_u32 v8, v8, v0, 0x7fff
	v_or_b32_e32 v0, 0x400000, v0
	v_cndmask_b32_e64 v0, v8, v0, s2
	v_and_b32_e32 v0, 0xffff0000, v0
	v_fmac_f32_e32 v2, v7, v0
	v_mul_f32_e32 v0, s49, v104
	v_bfe_u32 v7, v0, 16, 1
	v_cmp_u_f32_e64 s2, v0, v0
	v_add3_u32 v7, v7, v0, 0x7fff
	v_or_b32_e32 v0, 0x400000, v0
	v_cndmask_b32_e64 v0, v7, v0, s2
	v_mul_f32_e32 v7, s49, v34
	v_and_b32_e32 v0, 0xffff0000, v0
	v_or_b32_e32 v8, 0x400000, v7
	v_fmac_f32_e32 v3, v6, v0
	v_mul_f32_e32 v0, s49, v103
	v_bfe_u32 v6, v0, 16, 1
	v_cmp_u_f32_e64 s2, v0, v0
	v_add3_u32 v6, v6, v0, 0x7fff
	v_or_b32_e32 v0, 0x400000, v0
	v_cndmask_b32_e64 v0, v6, v0, s2
	v_mul_f32_e32 v6, s49, v113
	v_and_b32_e32 v0, 0xffff0000, v0
	v_fmac_f32_e32 v4, v5, v0
	v_mul_f32_e32 v0, s49, v107
	v_bfe_u32 v5, v0, 16, 1
	v_cmp_u_f32_e64 s2, v0, v0
	v_add3_u32 v5, v5, v0, 0x7fff
	v_or_b32_e32 v0, 0x400000, v0
	v_cndmask_b32_e64 v0, v5, v0, s2
	v_lshlrev_b32_e32 v5, 16, v54
	v_cmp_u_f32_e64 s2, v6, v6
	v_and_b32_e32 v0, 0xffff0000, v0
	v_fmac_f32_e32 v1, v5, v0
	v_bfe_u32 v0, v6, 16, 1
	v_or_b32_e32 v5, 0x400000, v6
	v_add3_u32 v0, v0, v6, 0x7fff
	v_bfe_u32 v6, v7, 16, 1
	v_cndmask_b32_e64 v5, v0, v5, s2
	v_mul_f32_e32 v0, s49, v111
	v_add3_u32 v6, v6, v7, 0x7fff
	v_cmp_u_f32_e64 s2, v7, v7
	v_mul_f32_e32 v7, s49, v110
	v_and_b32_e32 v5, 0xffff0000, v5
	v_bfe_u32 v9, v0, 16, 1
	v_cndmask_b32_e64 v10, v6, v8, s2
	v_bfe_u32 v6, v7, 16, 1
	v_cmp_u_f32_e64 s2, v0, v0
	v_add3_u32 v8, v9, v0, 0x7fff
	v_or_b32_e32 v0, 0x400000, v0
	v_mul_f32_e32 v9, s49, v102
	v_add3_u32 v6, v6, v7, 0x7fff
	v_cmp_u_f32_e64 s3, v7, v7
	v_or_b32_e32 v7, 0x400000, v7
	v_cndmask_b32_e64 v0, v8, v0, s2
	v_bfe_u32 v8, v9, 16, 1
	v_cmp_u_f32_e64 s2, v9, v9
	v_and_b32_e32 v10, 0xffff0000, v10
	v_cndmask_b32_e64 v11, v6, v7, s3
	v_mul_f32_e32 v6, s49, v106
	v_add3_u32 v7, v8, v9, 0x7fff
	v_or_b32_e32 v8, 0x400000, v9
	v_mul_f32_e32 v9, s49, v109
	v_and_b32_e32 v0, 0xffff0000, v0
	v_bfe_u32 v12, v6, 16, 1
	v_cndmask_b32_e64 v7, v7, v8, s2
	v_cmp_u_f32_e64 s2, v6, v6
	v_bfe_u32 v8, v9, 16, 1
	v_add3_u32 v12, v12, v6, 0x7fff
	v_or_b32_e32 v6, 0x400000, v6
	v_cmp_u_f32_e64 s3, v9, v9
	v_and_b32_e32 v7, 0xffff0000, v7
	v_add3_u32 v8, v8, v9, 0x7fff
	v_or_b32_e32 v9, 0x400000, v9
	v_cndmask_b32_e64 v6, v12, v6, s2
	v_bfe_u32 v12, v13, 16, 1
	v_fmac_f32_e32 v2, v14, v7
	v_or_b32_e32 v14, 0x400000, v13
	v_cndmask_b32_e64 v16, v8, v9, s3
	v_and_b32_e32 v6, 0xffff0000, v6
	v_add3_u32 v12, v12, v13, 0x7fff
	v_cmp_u_f32_e64 s2, v13, v13
	v_bfe_u32 v13, v17, 16, 1
	v_and_b32_e32 v16, 0xffff0000, v16
	v_fmac_f32_e32 v3, v15, v6
	ds_read_b128 v[6:9], v43 offset:102
	v_mul_f32_e32 v15, s49, v112
	v_cndmask_b32_e64 v12, v12, v14, s2
	v_add3_u32 v13, v13, v17, 0x7fff
	v_or_b32_e32 v14, 0x400000, v17
	v_cmp_u_f32_e64 s2, v17, v17
	v_bfe_u32 v17, v15, 16, 1
	v_and_b32_e32 v12, 0xffff0000, v12
	v_cndmask_b32_e64 v13, v13, v14, s2
	v_add3_u32 v14, v17, v15, 0x7fff
	v_or_b32_e32 v17, 0x400000, v15
	v_cmp_u_f32_e64 s2, v15, v15
	v_mul_f32_e32 v15, s49, v33
	v_and_b32_e32 v13, 0xffff0000, v13
	v_cndmask_b32_e64 v14, v14, v17, s2
	v_bfe_u32 v17, v15, 16, 1
	s_waitcnt lgkmcnt(0)
	v_lshlrev_b32_e32 v18, 16, v6
	v_and_b32_e32 v6, 0xffff0000, v6
	v_cmp_u_f32_e64 s2, v15, v15
	v_add3_u32 v17, v17, v15, 0x7fff
	v_fmac_f32_e32 v4, v13, v18
	v_fmac_f32_e32 v1, v12, v6
	ds_read_u16 v6, v43 offset:118
	v_lshlrev_b32_e32 v12, 16, v7
	v_and_b32_e32 v7, 0xffff0000, v7
	v_mbcnt_lo_u32_b32 v18, -1, 0
	v_or_b32_e32 v15, 0x400000, v15
	v_fmac_f32_e32 v2, v16, v12
	v_lshlrev_b32_e32 v12, 16, v8
	v_and_b32_e32 v8, 0xffff0000, v8
	v_fmac_f32_e32 v3, v0, v7
	v_lshlrev_b32_e32 v0, 16, v9
	v_xor_b32_e32 v13, 1, v18
	v_cndmask_b32_e64 v15, v17, v15, s2
	v_and_b32_e32 v7, 0xffff0000, v11
	v_fmac_f32_e32 v1, v10, v8
	v_and_b32_e32 v8, 0xffff0000, v9
	v_and_b32_e32 v9, 0xffff0000, v14
	v_fmac_f32_e32 v2, v5, v0
	v_cmp_gt_i32_e64 s3, 32, v13
	v_fmac_f32_e32 v4, v7, v12
	s_waitcnt lgkmcnt(0)
	v_lshlrev_b32_e32 v0, 16, v6
	v_and_b32_e32 v5, 0xffff0000, v15
	v_fmac_f32_e32 v3, v9, v8
	v_add_f32_e32 v1, v1, v2
	v_cndmask_b32_e64 v2, v18, v13, s3
	v_fmac_f32_e32 v4, v5, v0
	v_add_f32_e32 v0, v1, v3
	v_lshlrev_b32_e32 v2, 2, v2
	v_add_f32_e32 v1, v4, v0
	ds_bpermute_b32 v2, v2, v1
	s_and_saveexec_b32 s3, vcc_lo
	s_cbranch_execz .LBB354_11
; %bb.499:                              ;   in Loop: Header=BB354_13 Depth=1
	buffer_load_dword v0, off, s[56:59], 0 offset:12 ; 4-byte Folded Reload
	s_waitcnt lgkmcnt(0)
	v_add_f32_e32 v1, v1, v2
	v_max_f32_e32 v2, v41, v41
	s_waitcnt vmcnt(0)
	v_add_nc_u32_e32 v0, v0, v44
	v_cvt_f32_i32_e32 v0, v0
	v_mul_f32_e32 v0, s43, v0
	v_cndmask_b32_e64 v0, 0, v0, s1
	v_fmac_f32_e32 v0, s41, v1
	buffer_load_dword v1, off, s[56:59], 0 offset:8 ; 4-byte Folded Reload
	v_max_f32_e32 v2, v2, v0
	s_waitcnt vmcnt(0)
	v_add_nc_u32_e32 v1, v1, v44
	v_cmp_gt_i32_e64 s2, s31, v1
	v_cndmask_b32_e64 v0, 0, v0, s2
	v_cndmask_b32_e64 v41, v41, v2, s2
	ds_write_b32 v51, v0
	s_branch .LBB354_11
.LBB354_500:
	s_or_b32 exec_lo, exec_lo, s46
	s_clause 0x2
	buffer_load_dword v14, off, s[56:59], 0 offset:20
	buffer_load_dword v13, off, s[56:59], 0 offset:24
	;; [unrolled: 1-line block ×3, first 2 shown]
	s_waitcnt vmcnt(2)
	v_lshrrev_b32_e32 v103, 1, v14
.LBB354_501:
	s_or_b32 exec_lo, exec_lo, s45
	v_mbcnt_lo_u32_b32 v0, -1, 0
	v_max_f32_e32 v3, v41, v41
	s_waitcnt vmcnt(0)
	v_lshlrev_b32_e32 v8, 2, v15
	v_xor_b32_e32 v1, 16, v0
	s_waitcnt lgkmcnt(0)
	v_xor_b32_e32 v2, 8, v0
	v_cmp_gt_i32_e32 vcc_lo, 32, v1
	v_cndmask_b32_e32 v1, v0, v1, vcc_lo
	v_cmp_gt_i32_e32 vcc_lo, 32, v2
	v_lshlrev_b32_e32 v4, 2, v1
	v_cndmask_b32_e32 v2, v0, v2, vcc_lo
	ds_bpermute_b32 v1, v4, v41
	v_lshlrev_b32_e32 v6, 2, v2
	s_waitcnt lgkmcnt(0)
	v_max_f32_e32 v1, v1, v1
	v_max_f32_e32 v1, v3, v1
	v_xor_b32_e32 v3, 4, v0
	ds_bpermute_b32 v2, v6, v1
	v_cmp_gt_i32_e32 vcc_lo, 32, v3
	v_cndmask_b32_e32 v3, v0, v3, vcc_lo
	v_lshlrev_b32_e32 v7, 2, v3
	v_xor_b32_e32 v3, 2, v0
	v_cmp_gt_i32_e32 vcc_lo, 32, v3
	s_waitcnt lgkmcnt(0)
	v_max_f32_e32 v2, v2, v2
	v_cndmask_b32_e32 v3, v0, v3, vcc_lo
	v_max_f32_e32 v1, v1, v2
	v_lshlrev_b32_e32 v3, 2, v3
	ds_bpermute_b32 v2, v7, v1
	s_waitcnt lgkmcnt(0)
	v_max_f32_e32 v2, v2, v2
	v_max_f32_e32 v2, v1, v2
	v_and_b32_e32 v1, 31, v14
	ds_bpermute_b32 v5, v3, v2
	v_cmp_eq_u32_e32 vcc_lo, 0, v1
	s_and_saveexec_b32 s1, vcc_lo
	s_cbranch_execz .LBB354_503
; %bb.502:
	s_waitcnt lgkmcnt(0)
	v_max_f32_e32 v0, v5, v5
	v_max_f32_e32 v2, v2, v2
	;; [unrolled: 1-line block ×3, first 2 shown]
	ds_write_b32 v8, v0 offset:240
.LBB354_503:
	s_or_b32 exec_lo, exec_lo, s1
	v_cmp_gt_u32_e64 s1, 4, v1
	v_mov_b32_e32 v2, 0xff7fffff
	v_lshlrev_b32_e32 v9, 2, v1
	s_waitcnt lgkmcnt(0)
	s_waitcnt_vscnt null, 0x0
	s_barrier
	buffer_gl0_inv
	s_and_saveexec_b32 s2, s1
; %bb.504:
	ds_read_b32 v2, v9 offset:240
; %bb.505:
	s_or_b32 exec_lo, exec_lo, s2
	s_waitcnt lgkmcnt(0)
	ds_bpermute_b32 v0, v3, v2
	v_mbcnt_lo_u32_b32 v10, -1, 0
	v_max_f32_e32 v2, v2, v2
	v_xor_b32_e32 v5, 1, v10
	v_cmp_gt_i32_e64 s2, 32, v5
	v_cndmask_b32_e64 v5, v10, v5, s2
	v_mov_b32_e32 v10, 0
	s_sub_i32 s2, s20, s44
	s_lshl_b32 s2, s2, 4
	s_waitcnt lgkmcnt(0)
	v_max_f32_e32 v0, v0, v0
	v_lshlrev_b32_e32 v22, 2, v5
	s_add_i32 s2, s2, s42
	v_lshl_add_u32 v5, v14, 2, 0x110
	s_min_i32 s2, s2, s31
	v_max_f32_e32 v0, v2, v0
	s_sub_i32 s4, s2, s42
	v_cmp_gt_i32_e64 s2, s4, v14
	ds_bpermute_b32 v2, v22, v0
	s_waitcnt lgkmcnt(0)
	v_max_f32_e32 v2, v2, v2
	v_max_f32_e32 v0, v0, v2
	ds_bpermute_b32 v2, v10, v0
	s_and_saveexec_b32 s5, s2
	s_cbranch_execz .LBB354_509
; %bb.506:
	v_lshl_add_u32 v11, v14, 2, 0x110
	v_mov_b32_e32 v10, 0
	v_mov_b32_e32 v12, v14
	s_mov_b32 s12, 0
	.p2align	6
.LBB354_507:                            ; =>This Inner Loop Header: Depth=1
	ds_read_b32 v0, v11
	v_add_nc_u32_e32 v12, 0x80, v12
	v_cmp_le_i32_e64 s3, s4, v12
	s_or_b32 s12, s3, s12
	s_waitcnt lgkmcnt(0)
	v_sub_f32_e32 v0, v0, v2
	v_mul_f32_e32 v0, 0x3fb8aa3b, v0
	v_exp_f32_e32 v0, v0
	ds_write_b32 v11, v0
	v_add_f32_e32 v10, v10, v0
	v_add_nc_u32_e32 v11, 0x200, v11
	s_andn2_b32 exec_lo, exec_lo, s12
	s_cbranch_execnz .LBB354_507
; %bb.508:
	s_or_b32 exec_lo, exec_lo, s12
.LBB354_509:
	s_or_b32 exec_lo, exec_lo, s5
	ds_bpermute_b32 v0, v4, v10
	s_waitcnt lgkmcnt(0)
	v_add_f32_e32 v0, v10, v0
	ds_bpermute_b32 v4, v6, v0
	s_waitcnt lgkmcnt(0)
	v_add_f32_e32 v0, v0, v4
	;; [unrolled: 3-line block ×5, first 2 shown]
	s_and_saveexec_b32 s3, vcc_lo
; %bb.510:
	ds_write_b32 v8, v4 offset:256
; %bb.511:
	s_or_b32 exec_lo, exec_lo, s3
	s_waitcnt lgkmcnt(0)
	s_barrier
	buffer_gl0_inv
	s_and_saveexec_b32 s3, s1
; %bb.512:
	ds_read_b32 v4, v9 offset:256
; %bb.513:
	s_or_b32 exec_lo, exec_lo, s3
	s_waitcnt lgkmcnt(0)
	ds_bpermute_b32 v0, v3, v4
	s_waitcnt lgkmcnt(0)
	v_add_f32_e32 v0, v4, v0
	ds_bpermute_b32 v3, v22, v0
	s_waitcnt lgkmcnt(0)
	v_add_f32_e32 v0, v0, v3
	v_mov_b32_e32 v3, 0
	ds_bpermute_b32 v3, v3, v0
	s_and_saveexec_b32 s1, s2
	s_cbranch_execz .LBB354_516
; %bb.514:
	s_waitcnt lgkmcnt(0)
	v_add_f32_e32 v0, 0x358637bd, v3
	s_mov_b32 s2, 0
	v_div_scale_f32 v4, null, v0, v0, 1.0
	v_div_scale_f32 v8, vcc_lo, 1.0, v0, 1.0
	v_rcp_f32_e32 v6, v4
	v_fma_f32 v7, -v4, v6, 1.0
	v_fmac_f32_e32 v6, v7, v6
	v_mul_f32_e32 v7, v8, v6
	v_fma_f32 v9, -v4, v7, v8
	v_fmac_f32_e32 v7, v9, v6
	v_fma_f32 v4, -v4, v7, v8
	v_div_fmas_f32 v4, v4, v6, v7
	v_mov_b32_e32 v6, v14
	v_div_fixup_f32 v4, v4, v0, 1.0
.LBB354_515:                            ; =>This Inner Loop Header: Depth=1
	ds_read_b32 v0, v5
	v_add_nc_u32_e32 v6, 0x80, v6
	v_cmp_le_i32_e32 vcc_lo, s4, v6
	s_or_b32 s2, vcc_lo, s2
	s_waitcnt lgkmcnt(0)
	v_mul_f32_e32 v0, v4, v0
	ds_write_b32 v5, v0
	v_add_nc_u32_e32 v5, 0x200, v5
	s_andn2_b32 exec_lo, exec_lo, s2
	s_cbranch_execnz .LBB354_515
.LBB354_516:
	s_or_b32 exec_lo, exec_lo, s1
	s_mul_i32 s1, s11, s30
	s_waitcnt lgkmcnt(0)
	s_mul_i32 s2, s1, s9
	s_mov_b32 s1, exec_lo
	s_barrier
	buffer_gl0_inv
	v_cmpx_eq_u32_e32 0, v14
	s_cbranch_execz .LBB354_518
; %bb.517:
	s_ashr_i32 s3, s2, 31
	s_mul_i32 s12, s11, s6
	s_lshl_b64 s[4:5], s[2:3], 2
	v_mov_b32_e32 v0, 0
	s_add_u32 s3, s26, s4
	s_addc_u32 s6, s27, s5
	s_ashr_i32 s13, s12, 31
	s_lshl_b64 s[12:13], s[12:13], 2
	s_add_u32 s3, s3, s12
	s_addc_u32 s6, s6, s13
	s_ashr_i32 s9, s8, 31
	s_lshl_b64 s[26:27], s[8:9], 2
	s_add_u32 s42, s3, s26
	s_addc_u32 s43, s6, s27
	s_add_u32 s3, s24, s4
	s_addc_u32 s4, s25, s5
	;; [unrolled: 2-line block ×4, first 2 shown]
	global_store_dword v0, v2, s[42:43]
	global_store_dword v0, v3, s[4:5]
.LBB354_518:
	s_or_b32 exec_lo, exec_lo, s1
	v_lshrrev_b32_e32 v21, 1, v1
	s_and_saveexec_b32 s1, s0
	s_xor_b32 s0, exec_lo, s1
; %bb.519:
	v_lshrrev_b32_e32 v21, 1, v1
                                        ; implicit-def: $vgpr38
                                        ; implicit-def: $vgpr25
                                        ; implicit-def: $vgpr0
                                        ; kill: killed $vgpr0
; %bb.520:
	s_or_saveexec_b32 s3, s0
	v_mov_b32_e32 v32, 0
	v_mov_b32_e32 v31, 0
	;; [unrolled: 1-line block ×8, first 2 shown]
	s_xor_b32 exec_lo, exec_lo, s3
	s_cbranch_execz .LBB354_1024
; %bb.521:
	buffer_load_dword v1, off, s[56:59], 0 offset:16 ; 4-byte Folded Reload
	s_sub_i32 s9, s40, s21
	s_ashr_i32 s0, s18, 31
	s_add_u32 s4, s38, s18
	s_addc_u32 s5, s39, s0
	s_abs_i32 s12, s22
	v_or_b32_e32 v3, 0x70, v21
	v_cvt_f32_u32_e32 v0, s12
	s_sub_i32 s0, 0, s12
	v_lshlrev_b32_e32 v4, 5, v13
	s_mov_b32 s13, s17
	v_cmp_gt_u32_e32 vcc_lo, 0x78, v3
	v_rcp_iflag_f32_e32 v0, v0
	s_add_i32 s17, s7, -1
	v_lshl_or_b32 v4, v15, 6, v4
	v_mov_b32_e32 v104, v14
	v_mov_b32_e32 v10, 0
	;; [unrolled: 1-line block ×7, first 2 shown]
	v_mul_f32_e32 v0, 0x4f7ffffe, v0
	v_mov_b32_e32 v23, 0
	v_mov_b32_e32 v24, 0
	;; [unrolled: 1-line block ×4, first 2 shown]
	v_cvt_u32_f32_e32 v0, v0
	v_mov_b32_e32 v29, 0
	v_mov_b32_e32 v30, 0
	;; [unrolled: 1-line block ×4, first 2 shown]
	v_mul_lo_u32 v5, s0, v0
	s_lshl_b64 s[0:1], s[36:37], 2
	v_add_nc_u32_e32 v44, 0x110, v4
	s_add_u32 s0, s34, s0
	s_addc_u32 s1, s35, s1
	v_mov_b32_e32 v32, 0
	s_mov_b32 s6, -1
	s_mov_b32 s7, 0xffffff
	s_mov_b32 s18, 0
	s_waitcnt vmcnt(0)
	v_and_b32_e32 v33, 8, v1
	v_lshlrev_b64 v[1:2], 2, v[25:26]
	v_mov_b32_e32 v26, 0x80
	v_lshl_or_b32 v43, v3, 4, v33
	v_mul_hi_u32 v3, v0, v5
	v_add_co_u32 v11, s0, s0, v1
	v_lshl_or_b32 v42, v21, 4, v33
	v_add_co_ci_u32_e64 v12, null, s1, v2, s0
	v_add_nc_u32_e32 v45, v0, v3
	s_branch .LBB354_525
.LBB354_522:                            ;   in Loop: Header=BB354_525 Depth=1
	s_or_b32 exec_lo, exec_lo, s1
	v_lshlrev_b32_e32 v0, 16, v8
	v_lshlrev_b32_e32 v35, 16, v97
	v_and_b32_e32 v36, 0xffff0000, v8
	v_lshlrev_b32_e32 v14, 16, v14
	v_lshlrev_b32_e32 v37, 16, v7
	;; [unrolled: 1-line block ×3, first 2 shown]
	v_mul_f32_e32 v0, v0, v35
	v_and_b32_e32 v35, 0xffff0000, v7
	v_lshlrev_b32_e32 v9, 16, v9
	v_mul_f32_e32 v14, v36, v14
	v_mul_f32_e32 v13, v37, v13
	v_bfe_u32 v36, v0, 16, 1
	v_or_b32_e32 v37, 0x400000, v0
	v_mul_f32_e32 v9, v35, v9
	v_bfe_u32 v35, v14, 16, 1
	v_cmp_u_f32_e64 s0, v0, v0
	v_add3_u32 v36, v36, v0, 0x7fff
	v_or_b32_e32 v54, 0x400000, v14
	v_bfe_u32 v97, v13, 16, 1
	v_add3_u32 v35, v35, v14, 0x7fff
	v_lshlrev_b32_e32 v2, 16, v2
	v_cndmask_b32_e64 v0, v36, v37, s0
	v_lshlrev_b32_e32 v36, 16, v6
	v_cmp_u_f32_e64 s0, v14, v14
	v_or_b32_e32 v37, 0x400000, v13
	v_lshlrev_b32_e32 v1, 16, v1
	v_lshlrev_b32_e32 v4, 16, v4
	v_mul_f32_e32 v2, v36, v2
	v_cndmask_b32_e64 v14, v35, v54, s0
	v_add3_u32 v35, v97, v13, 0x7fff
	v_bfe_u32 v54, v9, 16, 1
	v_and_b32_e32 v36, 0xffff0000, v6
	v_cmp_u_f32_e64 s0, v13, v13
	v_and_b32_e32 v97, 0xffff0000, v5
	v_lshlrev_b32_e32 v3, 16, v3
	v_and_b32_e32 v14, 0xffff0000, v14
	v_mul_f32_e32 v1, v36, v1
	v_cndmask_b32_e64 v13, v35, v37, s0
	v_add3_u32 v35, v54, v9, 0x7fff
	v_or_b32_e32 v37, 0x400000, v9
	v_bfe_u32 v54, v2, 16, 1
	v_lshlrev_b32_e32 v36, 16, v5
	v_cmp_u_f32_e64 s0, v9, v9
	v_mul_f32_e32 v3, v97, v3
	v_and_b32_e32 v0, 0xffff0000, v0
	v_and_b32_e32 v13, 0xffff0000, v13
	v_mul_f32_e32 v4, v36, v4
	v_cndmask_b32_e64 v9, v35, v37, s0
	v_bfe_u32 v35, v1, 16, 1
	v_add3_u32 v37, v54, v2, 0x7fff
	v_or_b32_e32 v36, 0x400000, v2
	v_cmp_u_f32_e64 s0, v2, v2
	v_or_b32_e32 v54, 0x400000, v1
	v_add3_u32 v35, v35, v1, 0x7fff
	v_bfe_u32 v98, v3, 16, 1
	v_bfe_u32 v97, v4, 16, 1
	v_cndmask_b32_e64 v2, v37, v36, s0
	v_cmp_u_f32_e64 s0, v1, v1
	v_or_b32_e32 v37, 0x400000, v3
	v_add3_u32 v36, v98, v3, 0x7fff
	v_and_b32_e32 v9, 0xffff0000, v9
	v_add_f32_e32 v0, v0, v14
	v_cndmask_b32_e64 v1, v35, v54, s0
	v_cmp_u_f32_e64 s0, v3, v3
	v_add3_u32 v35, v97, v4, 0x7fff
	v_or_b32_e32 v54, 0x400000, v4
	v_add_f32_e32 v9, v13, v9
	v_and_b32_e32 v1, 0xffff0000, v1
	v_cndmask_b32_e64 v3, v36, v37, s0
	v_cmp_u_f32_e64 s0, v4, v4
	v_and_b32_e32 v2, 0xffff0000, v2
	v_add_f32_e32 v0, v9, v0
	v_cndmask_b32_e64 v4, v35, v54, s0
	v_add_f32_e32 v1, v2, v1
	v_and_b32_e32 v2, 0xffff0000, v3
	v_and_b32_e32 v3, 0xffff0000, v4
	v_add_f32_e32 v0, v1, v0
	v_add_f32_e32 v1, v3, v2
	;; [unrolled: 1-line block ×4, first 2 shown]
.LBB354_523:                            ;   in Loop: Header=BB354_525 Depth=1
	s_or_b32 exec_lo, exec_lo, s24
	v_and_b32_e32 v9, 0xffff0000, v8
	v_lshlrev_b32_e32 v0, 16, v96
	v_lshlrev_b32_e32 v8, 16, v8
	;; [unrolled: 1-line block ×3, first 2 shown]
	v_and_b32_e32 v3, 0xffff0000, v7
	v_lshlrev_b32_e32 v4, 16, v93
	v_mul_f32_e32 v0, v9, v0
	v_lshlrev_b32_e32 v2, 16, v7
	v_mul_f32_e32 v7, v8, v1
	;; [unrolled: 2-line block ×3, first 2 shown]
	v_bfe_u32 v14, v0, 16, 1
	v_or_b32_e32 v36, 0x400000, v0
	v_bfe_u32 v35, v7, 16, 1
	v_cmp_u_f32_e64 s0, v0, v0
	v_and_b32_e32 v1, 0xffff0000, v6
	v_add3_u32 v14, v14, v0, 0x7fff
	v_lshlrev_b32_e32 v16, 16, v16
	v_or_b32_e32 v37, 0x400000, v7
	v_add3_u32 v35, v35, v7, 0x7fff
	v_mul_f32_e32 v13, v2, v13
	v_cndmask_b32_e64 v0, v14, v36, s0
	v_bfe_u32 v14, v4, 16, 1
	v_cmp_u_f32_e64 s0, v7, v7
	v_mul_f32_e32 v16, v1, v16
	v_bfe_u32 v36, v13, 16, 1
	v_lshlrev_b32_e32 v6, 16, v6
	v_add3_u32 v14, v14, v4, 0x7fff
	v_cndmask_b32_e64 v7, v35, v37, s0
	v_or_b32_e32 v35, 0x400000, v4
	v_lshlrev_b32_e32 v15, 16, v15
	v_cmp_u_f32_e64 s0, v4, v4
	v_bfe_u32 v37, v16, 16, 1
	v_and_b32_e32 v4, 0xffff0000, v5
	v_lshlrev_b32_e32 v18, 16, v18
	v_mul_f32_e32 v15, v6, v15
	v_cndmask_b32_e64 v14, v14, v35, s0
	v_add3_u32 v35, v36, v13, 0x7fff
	v_or_b32_e32 v36, 0x400000, v13
	v_cmp_u_f32_e64 s0, v13, v13
	v_add3_u32 v37, v37, v16, 0x7fff
	v_or_b32_e32 v54, 0x400000, v16
	v_bfe_u32 v93, v15, 16, 1
	v_mul_f32_e32 v18, v4, v18
	v_cndmask_b32_e64 v13, v35, v36, s0
	v_cmp_u_f32_e64 s0, v16, v16
	v_or_b32_e32 v36, 0x400000, v15
	v_add3_u32 v35, v93, v15, 0x7fff
	v_lshlrev_b32_e32 v5, 16, v5
	v_lshlrev_b32_e32 v17, 16, v17
	v_cndmask_b32_e64 v16, v37, v54, s0
	v_bfe_u32 v37, v18, 16, 1
	v_cmp_u_f32_e64 s0, v15, v15
	v_and_b32_e32 v7, 0xffff0000, v7
	v_mul_f32_e32 v17, v5, v17
	v_and_b32_e32 v0, 0xffff0000, v0
	v_and_b32_e32 v13, 0xffff0000, v13
	v_cndmask_b32_e64 v15, v35, v36, s0
	v_add3_u32 v35, v37, v18, 0x7fff
	v_or_b32_e32 v36, 0x400000, v18
	v_and_b32_e32 v14, 0xffff0000, v14
	v_cmp_u_f32_e64 s0, v18, v18
	v_add_f32_e32 v0, v7, v0
	v_lshlrev_b32_e32 v20, 16, v20
	v_lshlrev_b32_e32 v19, 16, v19
	v_add_f32_e32 v7, v13, v14
	v_cndmask_b32_e64 v18, v35, v36, s0
	v_bfe_u32 v35, v17, 16, 1
	v_and_b32_e32 v13, 0xffff0000, v15
	v_lshlrev_b32_e32 v14, 16, v92
	v_and_b32_e32 v15, 0xffff0000, v16
	v_add_f32_e32 v0, v7, v0
	v_add3_u32 v16, v35, v17, 0x7fff
	v_or_b32_e32 v35, 0x400000, v17
	v_mul_f32_e32 v7, v9, v14
	v_add_f32_e32 v13, v13, v15
	v_lshlrev_b32_e32 v14, 16, v91
	v_cmp_u_f32_e64 s0, v17, v17
	v_lshlrev_b32_e32 v36, 16, v90
	v_or_b32_e32 v17, 0x400000, v7
	v_add_f32_e32 v0, v13, v0
	v_mul_f32_e32 v13, v8, v14
	v_cndmask_b32_e64 v15, v16, v35, s0
	v_bfe_u32 v16, v7, 16, 1
	v_lshlrev_b32_e32 v14, 16, v88
	v_cmp_u_f32_e64 s0, v7, v7
	v_bfe_u32 v35, v13, 16, 1
	v_mul_f32_e32 v36, v2, v36
	v_add3_u32 v16, v16, v7, 0x7fff
	v_mul_f32_e32 v14, v3, v14
	v_mul_f32_e32 v20, v1, v20
	;; [unrolled: 1-line block ×3, first 2 shown]
	v_lshlrev_b32_e32 v37, 16, v89
	v_cndmask_b32_e64 v7, v16, v17, s0
	v_add3_u32 v16, v35, v13, 0x7fff
	v_or_b32_e32 v17, 0x400000, v13
	v_bfe_u32 v35, v14, 16, 1
	v_cmp_u_f32_e64 s0, v13, v13
	v_lshlrev_b32_e32 v54, 16, v87
	v_or_b32_e32 v87, 0x400000, v19
	v_and_b32_e32 v7, 0xffff0000, v7
	v_and_b32_e32 v15, 0xffff0000, v15
	v_cndmask_b32_e64 v13, v16, v17, s0
	v_add3_u32 v16, v35, v14, 0x7fff
	v_or_b32_e32 v17, 0x400000, v14
	v_bfe_u32 v35, v36, 16, 1
	v_cmp_u_f32_e64 s0, v14, v14
	v_and_b32_e32 v13, 0xffff0000, v13
	v_and_b32_e32 v18, 0xffff0000, v18
	v_lshlrev_b32_e32 v55, 16, v55
	v_lshlrev_b32_e32 v53, 16, v53
	v_cndmask_b32_e64 v14, v16, v17, s0
	v_add3_u32 v16, v35, v36, 0x7fff
	v_or_b32_e32 v17, 0x400000, v36
	v_bfe_u32 v35, v20, 16, 1
	v_cmp_u_f32_e64 s0, v36, v36
	v_mul_f32_e32 v36, v4, v37
	v_mul_f32_e32 v37, v5, v54
	v_or_b32_e32 v54, 0x400000, v20
	v_add3_u32 v35, v35, v20, 0x7fff
	v_cndmask_b32_e64 v16, v16, v17, s0
	v_bfe_u32 v17, v19, 16, 1
	v_cmp_u_f32_e64 s0, v20, v20
	v_bfe_u32 v89, v37, 16, 1
	v_bfe_u32 v88, v36, 16, 1
	v_and_b32_e32 v16, 0xffff0000, v16
	v_add3_u32 v17, v17, v19, 0x7fff
	v_cndmask_b32_e64 v20, v35, v54, s0
	v_cmp_u_f32_e64 s0, v19, v19
	v_add3_u32 v35, v89, v37, 0x7fff
	v_or_b32_e32 v54, 0x400000, v37
	v_add3_u32 v19, v88, v36, 0x7fff
	v_and_b32_e32 v14, 0xffff0000, v14
	v_cndmask_b32_e64 v17, v17, v87, s0
	v_cmp_u_f32_e64 s0, v37, v37
	v_or_b32_e32 v87, 0x400000, v36
	v_add_f32_e32 v7, v13, v7
	v_add_f32_e32 v13, v16, v14
	v_and_b32_e32 v14, 0xffff0000, v17
	v_cndmask_b32_e64 v35, v35, v54, s0
	v_cmp_u_f32_e64 s0, v36, v36
	v_and_b32_e32 v16, 0xffff0000, v20
	v_add_f32_e32 v7, v13, v7
	v_add_f32_e32 v15, v15, v18
	v_lshlrev_b32_e32 v18, 16, v85
	v_cndmask_b32_e64 v17, v19, v87, s0
	v_add_f32_e32 v13, v14, v16
	v_and_b32_e32 v14, 0xffff0000, v35
	v_add_f32_e32 v0, v15, v0
	v_mul_f32_e32 v15, v8, v18
	v_and_b32_e32 v16, 0xffff0000, v17
	v_lshlrev_b32_e32 v17, 16, v86
	v_add_f32_e32 v7, v13, v7
	v_add_f32_e32 v24, v24, v0
	v_bfe_u32 v0, v15, 16, 1
	v_add_f32_e32 v13, v14, v16
	v_mul_f32_e32 v14, v9, v17
	v_lshlrev_b32_e32 v16, 16, v82
	v_lshlrev_b32_e32 v18, 16, v84
	v_add3_u32 v0, v0, v15, 0x7fff
	v_add_f32_e32 v7, v13, v7
	v_bfe_u32 v13, v14, 16, 1
	v_mul_f32_e32 v16, v3, v16
	v_cmp_u_f32_e64 s0, v14, v14
	v_or_b32_e32 v17, 0x400000, v15
	v_add_f32_e32 v27, v27, v7
	v_add3_u32 v7, v13, v14, 0x7fff
	v_or_b32_e32 v13, 0x400000, v14
	v_mul_f32_e32 v14, v2, v18
	v_lshlrev_b32_e32 v18, 16, v80
	v_lshlrev_b32_e32 v20, 16, v83
	v_mul_f32_e32 v55, v6, v55
	v_cndmask_b32_e64 v7, v7, v13, s0
	v_bfe_u32 v13, v16, 16, 1
	v_cmp_u_f32_e64 s0, v15, v15
	v_lshlrev_b32_e32 v15, 16, v79
	v_bfe_u32 v19, v14, 16, 1
	v_and_b32_e32 v7, 0xffff0000, v7
	v_add3_u32 v13, v13, v16, 0x7fff
	v_cndmask_b32_e64 v0, v0, v17, s0
	v_or_b32_e32 v17, 0x400000, v16
	v_mul_f32_e32 v15, v1, v15
	v_cmp_u_f32_e64 s0, v16, v16
	v_mul_f32_e32 v16, v6, v18
	v_or_b32_e32 v18, 0x400000, v14
	v_and_b32_e32 v0, 0xffff0000, v0
	v_cndmask_b32_e64 v13, v13, v17, s0
	v_add3_u32 v17, v19, v14, 0x7fff
	v_bfe_u32 v19, v15, 16, 1
	v_bfe_u32 v35, v16, 16, 1
	v_cmp_u_f32_e64 s0, v14, v14
	v_or_b32_e32 v36, 0x400000, v16
	v_and_b32_e32 v13, 0xffff0000, v13
	v_add_f32_e32 v0, v0, v7
	v_cndmask_b32_e64 v14, v17, v18, s0
	v_add3_u32 v17, v19, v15, 0x7fff
	v_mul_f32_e32 v18, v4, v20
	v_or_b32_e32 v19, 0x400000, v15
	v_add3_u32 v20, v35, v16, 0x7fff
	v_lshlrev_b32_e32 v35, 16, v81
	v_cmp_u_f32_e64 s0, v15, v15
	v_bfe_u32 v37, v18, 16, 1
	v_and_b32_e32 v14, 0xffff0000, v14
	v_cndmask_b32_e64 v15, v17, v19, s0
	v_mul_f32_e32 v17, v5, v35
	v_cmp_u_f32_e64 s0, v16, v16
	v_add3_u32 v19, v37, v18, 0x7fff
	v_add_f32_e32 v7, v14, v13
	v_and_b32_e32 v14, 0xffff0000, v15
	v_bfe_u32 v35, v17, 16, 1
	v_cndmask_b32_e64 v16, v20, v36, s0
	v_or_b32_e32 v20, 0x400000, v18
	v_cmp_u_f32_e64 s0, v18, v18
	v_lshlrev_b32_e32 v15, 16, v78
	v_add_f32_e32 v0, v7, v0
	v_and_b32_e32 v13, 0xffff0000, v16
	v_lshlrev_b32_e32 v16, 16, v77
	v_cndmask_b32_e64 v18, v19, v20, s0
	v_add3_u32 v19, v35, v17, 0x7fff
	v_or_b32_e32 v20, 0x400000, v17
	v_cmp_u_f32_e64 s0, v17, v17
	v_mul_f32_e32 v15, v9, v15
	v_add_f32_e32 v7, v13, v14
	v_mul_f32_e32 v14, v8, v16
	v_and_b32_e32 v16, 0xffff0000, v18
	v_cndmask_b32_e64 v17, v19, v20, s0
	v_lshlrev_b32_e32 v18, 16, v74
	v_add_f32_e32 v7, v7, v0
	v_bfe_u32 v0, v14, 16, 1
	v_lshlrev_b32_e32 v20, 16, v76
	v_and_b32_e32 v13, 0xffff0000, v17
	v_bfe_u32 v17, v15, 16, 1
	v_mul_f32_e32 v18, v3, v18
	v_cmp_u_f32_e64 s0, v15, v15
	v_add3_u32 v0, v0, v14, 0x7fff
	v_add_f32_e32 v13, v13, v16
	v_add3_u32 v16, v17, v15, 0x7fff
	v_or_b32_e32 v17, 0x400000, v15
	v_or_b32_e32 v19, 0x400000, v14
	v_lshlrev_b32_e32 v36, 16, v75
	v_cndmask_b32_e64 v15, v16, v17, s0
	v_bfe_u32 v16, v18, 16, 1
	v_cmp_u_f32_e64 s0, v14, v14
	v_mul_f32_e32 v14, v2, v20
	v_lshlrev_b32_e32 v17, 16, v71
	v_lshlrev_b32_e32 v20, 16, v72
	v_add3_u32 v16, v16, v18, 0x7fff
	v_cndmask_b32_e64 v0, v0, v19, s0
	v_or_b32_e32 v19, 0x400000, v18
	v_bfe_u32 v35, v14, 16, 1
	v_mul_f32_e32 v17, v1, v17
	v_cmp_u_f32_e64 s0, v18, v18
	v_mul_f32_e32 v18, v6, v20
	v_or_b32_e32 v20, 0x400000, v14
	v_and_b32_e32 v0, 0xffff0000, v0
	v_and_b32_e32 v15, 0xffff0000, v15
	v_cndmask_b32_e64 v16, v16, v19, s0
	v_add3_u32 v19, v35, v14, 0x7fff
	v_bfe_u32 v35, v17, 16, 1
	v_bfe_u32 v37, v18, 16, 1
	v_cmp_u_f32_e64 s0, v14, v14
	v_or_b32_e32 v54, 0x400000, v18
	v_and_b32_e32 v16, 0xffff0000, v16
	v_add_f32_e32 v0, v0, v15
	v_cndmask_b32_e64 v14, v19, v20, s0
	v_add3_u32 v19, v35, v17, 0x7fff
	v_mul_f32_e32 v20, v4, v36
	v_or_b32_e32 v35, 0x400000, v17
	v_add3_u32 v36, v37, v18, 0x7fff
	v_lshlrev_b32_e32 v37, 16, v73
	v_cmp_u_f32_e64 s0, v17, v17
	v_bfe_u32 v71, v20, 16, 1
	v_and_b32_e32 v14, 0xffff0000, v14
	v_cndmask_b32_e64 v17, v19, v35, s0
	v_mul_f32_e32 v19, v5, v37
	v_cmp_u_f32_e64 s0, v18, v18
	v_add3_u32 v35, v71, v20, 0x7fff
	v_add_f32_e32 v14, v14, v16
	v_and_b32_e32 v16, 0xffff0000, v17
	v_bfe_u32 v37, v19, 16, 1
	v_cndmask_b32_e64 v18, v36, v54, s0
	v_or_b32_e32 v36, 0x400000, v20
	v_cmp_u_f32_e64 s0, v20, v20
	v_lshlrev_b32_e32 v17, 16, v70
	v_add_f32_e32 v0, v14, v0
	v_and_b32_e32 v15, 0xffff0000, v18
	v_cndmask_b32_e64 v20, v35, v36, s0
	v_add3_u32 v35, v37, v19, 0x7fff
	v_or_b32_e32 v36, 0x400000, v19
	v_cmp_u_f32_e64 s0, v19, v19
	v_lshlrev_b32_e32 v19, 16, v69
	v_add_f32_e32 v14, v15, v16
	v_mul_f32_e32 v16, v9, v17
	v_lshlrev_b32_e32 v37, 16, v68
	v_cndmask_b32_e64 v18, v35, v36, s0
	v_mul_f32_e32 v17, v8, v19
	v_lshlrev_b32_e32 v19, 16, v66
	v_add_f32_e32 v14, v14, v0
	v_cmp_u_f32_e64 s0, v16, v16
	v_and_b32_e32 v15, 0xffff0000, v18
	v_and_b32_e32 v18, 0xffff0000, v20
	v_bfe_u32 v20, v16, 16, 1
	v_bfe_u32 v0, v17, 16, 1
	v_or_b32_e32 v35, 0x400000, v17
	v_add_f32_e32 v15, v15, v18
	v_mul_f32_e32 v18, v3, v19
	v_add3_u32 v19, v20, v16, 0x7fff
	v_or_b32_e32 v20, 0x400000, v16
	v_add3_u32 v0, v0, v17, 0x7fff
	v_bfe_u32 v36, v18, 16, 1
	v_cndmask_b32_e64 v16, v19, v20, s0
	v_cmp_u_f32_e64 s0, v17, v17
	v_mul_f32_e32 v17, v2, v37
	v_add3_u32 v19, v36, v18, 0x7fff
	v_or_b32_e32 v20, 0x400000, v18
	v_lshlrev_b32_e32 v36, 16, v64
	v_cndmask_b32_e64 v0, v0, v35, s0
	v_lshlrev_b32_e32 v35, 16, v63
	v_cmp_u_f32_e64 s0, v18, v18
	v_bfe_u32 v37, v17, 16, 1
	v_and_b32_e32 v16, 0xffff0000, v16
	v_and_b32_e32 v0, 0xffff0000, v0
	v_cndmask_b32_e64 v18, v19, v20, s0
	v_mul_f32_e32 v19, v1, v35
	v_mul_f32_e32 v20, v6, v36
	v_add3_u32 v35, v37, v17, 0x7fff
	v_or_b32_e32 v36, 0x400000, v17
	v_lshlrev_b32_e32 v37, 16, v67
	v_bfe_u32 v54, v19, 16, 1
	v_cmp_u_f32_e64 s0, v17, v17
	v_bfe_u32 v63, v20, 16, 1
	v_and_b32_e32 v18, 0xffff0000, v18
	v_add_f32_e32 v0, v0, v16
	v_cndmask_b32_e64 v17, v35, v36, s0
	v_mul_f32_e32 v35, v4, v37
	v_add3_u32 v36, v54, v19, 0x7fff
	v_or_b32_e32 v37, 0x400000, v19
	v_cmp_u_f32_e64 s0, v19, v19
	v_add3_u32 v54, v63, v20, 0x7fff
	v_or_b32_e32 v63, 0x400000, v20
	v_bfe_u32 v64, v35, 16, 1
	v_and_b32_e32 v17, 0xffff0000, v17
	v_cndmask_b32_e64 v19, v36, v37, s0
	v_lshlrev_b32_e32 v36, 16, v65
	v_cmp_u_f32_e64 s0, v20, v20
	v_add3_u32 v37, v64, v35, 0x7fff
	v_add_f32_e32 v16, v17, v18
	v_lshlrev_b32_e32 v18, 16, v62
	v_mul_f32_e32 v36, v5, v36
	v_cndmask_b32_e64 v20, v54, v63, s0
	v_or_b32_e32 v54, 0x400000, v35
	v_cmp_u_f32_e64 s0, v35, v35
	v_and_b32_e32 v19, 0xffff0000, v19
	v_add_f32_e32 v0, v16, v0
	v_and_b32_e32 v17, 0xffff0000, v20
	v_mul_f32_e32 v16, v9, v18
	v_cndmask_b32_e64 v35, v37, v54, s0
	v_bfe_u32 v37, v36, 16, 1
	v_cmp_u_f32_e64 s0, v36, v36
	v_add_f32_e32 v17, v17, v19
	v_lshlrev_b32_e32 v19, 16, v61
	v_lshlrev_b32_e32 v54, 16, v56
	v_add3_u32 v20, v37, v36, 0x7fff
	v_or_b32_e32 v37, 0x400000, v36
	v_add_f32_e32 v0, v17, v0
	v_lshlrev_b32_e32 v17, 16, v58
	v_mul_f32_e32 v19, v8, v19
	v_or_b32_e32 v36, 0x400000, v16
	v_cndmask_b32_e64 v18, v20, v37, s0
	v_bfe_u32 v20, v16, 16, 1
	v_cmp_u_f32_e64 s0, v16, v16
	v_mul_f32_e32 v17, v3, v17
	v_bfe_u32 v37, v19, 16, 1
	v_or_b32_e32 v56, 0x400000, v19
	v_add3_u32 v20, v20, v16, 0x7fff
	v_mul_f32_e32 v54, v1, v54
	v_or_b32_e32 v58, 0x400000, v17
	v_add3_u32 v37, v37, v19, 0x7fff
	v_mul_f32_e32 v9, v9, v53
	v_cndmask_b32_e64 v16, v20, v36, s0
	v_lshlrev_b32_e32 v36, 16, v60
	v_bfe_u32 v20, v17, 16, 1
	v_cmp_u_f32_e64 s0, v19, v19
	v_and_b32_e32 v18, 0xffff0000, v18
	v_and_b32_e32 v16, 0xffff0000, v16
	v_mul_f32_e32 v36, v2, v36
	v_add3_u32 v20, v20, v17, 0x7fff
	v_cndmask_b32_e64 v19, v37, v56, s0
	v_cmp_u_f32_e64 s0, v17, v17
	v_lshlrev_b32_e32 v56, 16, v59
	v_bfe_u32 v37, v36, 16, 1
	v_or_b32_e32 v59, 0x400000, v54
	v_and_b32_e32 v19, 0xffff0000, v19
	v_cndmask_b32_e64 v17, v20, v58, s0
	v_bfe_u32 v20, v54, 16, 1
	v_add3_u32 v37, v37, v36, 0x7fff
	v_or_b32_e32 v58, 0x400000, v36
	v_cmp_u_f32_e64 s0, v36, v36
	v_mul_f32_e32 v56, v4, v56
	v_add3_u32 v20, v20, v54, 0x7fff
	v_and_b32_e32 v17, 0xffff0000, v17
	v_add_f32_e32 v16, v19, v16
	v_cndmask_b32_e64 v36, v37, v58, s0
	v_bfe_u32 v37, v55, 16, 1
	v_cmp_u_f32_e64 s0, v54, v54
	v_lshlrev_b32_e32 v54, 16, v57
	v_bfe_u32 v58, v56, 16, 1
	v_or_b32_e32 v57, 0x400000, v55
	v_add3_u32 v37, v37, v55, 0x7fff
	v_cndmask_b32_e64 v20, v20, v59, s0
	v_mul_f32_e32 v54, v5, v54
	v_cmp_u_f32_e64 s0, v55, v55
	v_add3_u32 v58, v58, v56, 0x7fff
	v_or_b32_e32 v59, 0x400000, v56
	v_and_b32_e32 v36, 0xffff0000, v36
	v_and_b32_e32 v20, 0xffff0000, v20
	v_cndmask_b32_e64 v37, v37, v57, s0
	v_cmp_u_f32_e64 s0, v56, v56
	v_bfe_u32 v56, v54, 16, 1
	v_or_b32_e32 v57, 0x400000, v54
	v_add_f32_e32 v17, v36, v17
	v_and_b32_e32 v19, 0xffff0000, v37
	v_cndmask_b32_e64 v55, v58, v59, s0
	v_add3_u32 v56, v56, v54, 0x7fff
	v_lshlrev_b32_e32 v36, 16, v52
	v_cmp_u_f32_e64 s0, v54, v54
	v_add_f32_e32 v16, v17, v16
	v_bfe_u32 v17, v9, 16, 1
	v_add_f32_e32 v19, v19, v20
	v_mul_f32_e32 v8, v8, v36
	v_cndmask_b32_e64 v37, v56, v57, s0
	v_lshlrev_b32_e32 v20, 16, v49
	v_add3_u32 v17, v17, v9, 0x7fff
	v_cmp_u_f32_e64 s0, v9, v9
	v_bfe_u32 v49, v8, 16, 1
	v_and_b32_e32 v36, 0xffff0000, v37
	v_or_b32_e32 v37, 0x400000, v9
	v_mul_f32_e32 v3, v3, v20
	v_lshlrev_b32_e32 v20, 16, v51
	v_and_b32_e32 v35, 0xffff0000, v35
	v_cndmask_b32_e64 v9, v17, v37, s0
	v_add3_u32 v17, v49, v8, 0x7fff
	v_or_b32_e32 v37, 0x400000, v8
	v_bfe_u32 v49, v3, 16, 1
	v_mul_f32_e32 v2, v2, v20
	v_lshlrev_b32_e32 v20, 16, v46
	v_cmp_u_f32_e64 s0, v8, v8
	v_and_b32_e32 v9, 0xffff0000, v9
	v_bfe_u32 v46, v2, 16, 1
	v_mul_f32_e32 v1, v1, v20
	v_cndmask_b32_e64 v8, v17, v37, s0
	v_add3_u32 v17, v49, v3, 0x7fff
	v_or_b32_e32 v37, 0x400000, v3
	v_lshlrev_b32_e32 v20, 16, v47
	v_cmp_u_f32_e64 s0, v3, v3
	v_lshlrev_b32_e32 v47, 16, v48
	v_and_b32_e32 v8, 0xffff0000, v8
	v_mul_f32_e32 v6, v6, v20
	v_cndmask_b32_e64 v3, v17, v37, s0
	v_add3_u32 v17, v46, v2, 0x7fff
	v_or_b32_e32 v37, 0x400000, v2
	v_bfe_u32 v46, v1, 16, 1
	v_lshlrev_b32_e32 v20, 16, v50
	v_cmp_u_f32_e64 s0, v2, v2
	v_mul_f32_e32 v5, v5, v47
	v_and_b32_e32 v3, 0xffff0000, v3
	v_add_f32_e32 v8, v8, v9
	v_mul_f32_e32 v4, v4, v20
	v_cndmask_b32_e64 v2, v17, v37, s0
	v_bfe_u32 v17, v6, 16, 1
	v_add3_u32 v37, v46, v1, 0x7fff
	v_or_b32_e32 v20, 0x400000, v1
	v_cmp_u_f32_e64 s0, v1, v1
	v_or_b32_e32 v46, 0x400000, v6
	v_add3_u32 v17, v17, v6, 0x7fff
	v_bfe_u32 v48, v5, 16, 1
	v_bfe_u32 v47, v4, 16, 1
	v_cndmask_b32_e64 v1, v37, v20, s0
	v_cmp_u_f32_e64 s0, v6, v6
	v_or_b32_e32 v37, 0x400000, v5
	v_add3_u32 v20, v48, v5, 0x7fff
	v_and_b32_e32 v2, 0xffff0000, v2
	v_and_b32_e32 v1, 0xffff0000, v1
	v_cndmask_b32_e64 v6, v17, v46, s0
	v_cmp_u_f32_e64 s0, v5, v5
	v_add3_u32 v17, v47, v4, 0x7fff
	v_or_b32_e32 v46, 0x400000, v4
	v_add_f32_e32 v2, v2, v3
	v_and_b32_e32 v3, 0xffff0000, v6
	v_cndmask_b32_e64 v5, v20, v37, s0
	v_cmp_u_f32_e64 s0, v4, v4
	v_and_b32_e32 v6, 0xffff0000, v55
	v_add_f32_e32 v2, v2, v8
	v_add_f32_e32 v1, v3, v1
	v_and_b32_e32 v3, 0xffff0000, v5
	v_cndmask_b32_e64 v4, v17, v46, s0
	v_add_f32_e32 v5, v18, v35
	v_add_f32_e32 v8, v19, v16
	;; [unrolled: 1-line block ×4, first 2 shown]
	v_and_b32_e32 v4, 0xffff0000, v4
	v_add_f32_e32 v0, v5, v0
	v_add_f32_e32 v5, v6, v8
	;; [unrolled: 1-line block ×11, first 2 shown]
.LBB354_524:                            ;   in Loop: Header=BB354_525 Depth=1
	s_or_b32 exec_lo, exec_lo, s21
	v_add_nc_u32_e32 v25, 4, v25
	v_add_co_u32 v11, s1, v11, 16
	v_add_co_ci_u32_e64 v12, null, 0, v12, s1
	v_cmp_le_i32_e64 s0, s20, v25
	v_add_nc_u32_e32 v38, 64, v38
	v_add_nc_u32_e32 v44, 0x100, v44
	s_or_b32 s18, s0, s18
	s_andn2_b32 exec_lo, exec_lo, s18
	s_cbranch_execz .LBB354_1023
.LBB354_525:                            ; =>This Inner Loop Header: Depth=1
	v_sub_nc_u32_e32 v0, 0, v38
	v_max_i32_e32 v0, v38, v0
	v_mul_hi_u32 v1, v0, s19
	v_mul_lo_u32 v2, v1, s16
	v_sub_nc_u32_e32 v0, v0, v2
	v_add_nc_u32_e32 v2, 1, v1
	v_subrev_nc_u32_e32 v3, s16, v0
	v_cmp_le_u32_e64 s0, s16, v0
	v_cndmask_b32_e64 v1, v1, v2, s0
	v_cndmask_b32_e64 v0, v0, v3, s0
	v_ashrrev_i32_e32 v2, 31, v38
	v_add_nc_u32_e32 v3, 1, v1
	v_cmp_le_u32_e64 s0, s16, v0
	v_xor_b32_e32 v2, s23, v2
	v_cndmask_b32_e64 v0, v1, v3, s0
	v_xor_b32_e32 v0, v0, v2
	v_sub_nc_u32_e32 v0, v0, v2
	v_add_nc_u32_e32 v1, s33, v0
	v_cmp_lt_i32_e64 s1, s9, v0
	v_sub_nc_u32_e32 v2, 0, v1
	v_max_i32_e32 v2, v1, v2
	v_ashrrev_i32_e32 v1, 31, v1
	v_mul_hi_u32 v3, v2, v45
	v_mul_lo_u32 v3, v3, s12
	v_sub_nc_u32_e32 v2, v2, v3
	v_subrev_nc_u32_e32 v3, s12, v2
	v_cmp_le_u32_e64 s0, s12, v2
	v_cndmask_b32_e64 v2, v2, v3, s0
	v_subrev_nc_u32_e32 v3, s12, v2
	v_cmp_le_u32_e64 s0, s12, v2
	v_cndmask_b32_e64 v2, v2, v3, s0
	v_xor_b32_e32 v2, v2, v1
	v_sub_nc_u32_e32 v1, v2, v1
	v_cmp_eq_u32_e64 s0, 0, v1
	s_or_b32 s0, s0, s1
	s_and_saveexec_b32 s21, s0
	s_cbranch_execz .LBB354_524
; %bb.526:                              ;   in Loop: Header=BB354_525 Depth=1
	global_load_dword v0, v[11:12], off
	v_mov_b32_e32 v47, 0
	v_mov_b32_e32 v48, 0
	s_waitcnt vmcnt(0)
	v_mad_i64_i32 v[13:14], null, v0, s13, s[4:5]
	v_add_co_u32 v15, s0, v13, v42
	v_add_co_ci_u32_e64 v16, null, 0, v14, s0
	global_load_dwordx2 v[17:18], v[15:16], off
	ds_read2_b64 v[5:8], v44 offset1:1
	ds_read2_b64 v[1:4], v44 offset0:2 offset1:3
	s_load_dword s22, s[14:15], 0x0
	s_waitcnt vmcnt(0)
	v_cmp_ne_u16_sdwa s0, v17, v10 src0_sel:BYTE_0 src1_sel:DWORD
	s_and_saveexec_b32 s1, s0
	s_cbranch_execz .LBB354_532
; %bb.527:                              ;   in Loop: Header=BB354_525 Depth=1
	v_cmp_ne_u16_sdwa s0, v17, v26 src0_sel:BYTE_0 src1_sel:DWORD
	v_bfrev_b32_e32 v48, 1
	s_and_saveexec_b32 s24, s0
	s_cbranch_execz .LBB354_531
; %bb.528:                              ;   in Loop: Header=BB354_525 Depth=1
	v_and_b32_e32 v9, 0x7f, v17
	v_mov_b32_e32 v48, 0x7f800001
	s_mov_b32 s25, exec_lo
	v_cmpx_ne_u32_e32 0x7f, v9
	s_cbranch_execz .LBB354_530
; %bb.529:                              ;   in Loop: Header=BB354_525 Depth=1
	v_and_b32_e32 v0, 7, v17
	v_cmp_gt_u32_e64 s0, 8, v9
	v_lshrrev_b32_e32 v19, 3, v9
	v_ffbh_u32_e32 v0, v0
	v_min_u32_e32 v0, 32, v0
	v_subrev_nc_u32_e32 v20, 28, v0
	v_sub_nc_u32_e32 v0, 29, v0
	v_cndmask_b32_e64 v9, 0, v20, s0
	v_cndmask_b32_e64 v0, v19, v0, s0
	v_lshlrev_b64 v[19:20], v9, v[17:18]
	v_lshlrev_b32_e32 v9, 24, v17
	v_lshl_add_u32 v0, v0, 23, 0x3c000000
	v_and_b32_e32 v9, 0x80000000, v9
	v_lshlrev_b32_e32 v19, 20, v19
	v_and_b32_e32 v19, 0x700000, v19
	v_or3_b32 v48, v19, v9, v0
.LBB354_530:                            ;   in Loop: Header=BB354_525 Depth=1
	s_or_b32 exec_lo, exec_lo, s25
.LBB354_531:                            ;   in Loop: Header=BB354_525 Depth=1
	s_or_b32 exec_lo, exec_lo, s24
.LBB354_532:                            ;   in Loop: Header=BB354_525 Depth=1
	s_or_b32 exec_lo, exec_lo, s1
	v_cmp_ne_u16_sdwa s0, v17, v10 src0_sel:BYTE_1 src1_sel:DWORD
	s_and_saveexec_b32 s1, s0
	s_cbranch_execz .LBB354_540
; %bb.533:                              ;   in Loop: Header=BB354_525 Depth=1
	v_cmp_ne_u16_sdwa s0, v17, v26 src0_sel:BYTE_1 src1_sel:DWORD
	v_bfrev_b32_e32 v47, 1
	s_and_saveexec_b32 s24, s0
	s_cbranch_execz .LBB354_539
; %bb.534:                              ;   in Loop: Header=BB354_525 Depth=1
	v_and_b32_sdwa v9, v34, v17 dst_sel:DWORD dst_unused:UNUSED_PAD src0_sel:DWORD src1_sel:BYTE_1
	v_mov_b32_e32 v47, 0x7f800001
	s_mov_b32 s25, exec_lo
	v_and_b32_e32 v20, 0x7f, v9
	v_cmpx_ne_u32_e32 0x7f, v20
	s_cbranch_execz .LBB354_538
; %bb.535:                              ;   in Loop: Header=BB354_525 Depth=1
	v_and_b32_e32 v9, 7, v9
	v_lshrrev_b32_e32 v19, 3, v20
	s_mov_b32 s26, exec_lo
	v_cmpx_gt_u32_e32 8, v20
; %bb.536:                              ;   in Loop: Header=BB354_525 Depth=1
	v_ffbh_u32_e32 v0, v9
	v_min_u32_e32 v0, 32, v0
	v_subrev_nc_u32_e32 v19, 28, v0
	v_lshlrev_b64 v[46:47], v19, v[9:10]
	v_sub_nc_u32_e32 v19, 29, v0
	v_and_b32_e32 v9, 7, v46
; %bb.537:                              ;   in Loop: Header=BB354_525 Depth=1
	s_or_b32 exec_lo, exec_lo, s26
	v_lshlrev_b32_e32 v0, 16, v17
	v_lshlrev_b32_e32 v9, 20, v9
	v_lshl_add_u32 v19, v19, 23, 0x3c000000
	v_and_b32_e32 v0, 0x80000000, v0
	v_or3_b32 v47, v9, v0, v19
.LBB354_538:                            ;   in Loop: Header=BB354_525 Depth=1
	s_or_b32 exec_lo, exec_lo, s25
.LBB354_539:                            ;   in Loop: Header=BB354_525 Depth=1
	s_or_b32 exec_lo, exec_lo, s24
.LBB354_540:                            ;   in Loop: Header=BB354_525 Depth=1
	s_or_b32 exec_lo, exec_lo, s1
	v_and_b32_sdwa v9, v17, v39 dst_sel:DWORD dst_unused:UNUSED_PAD src0_sel:WORD_1 src1_sel:DWORD
	v_mov_b32_e32 v49, 0
	v_mov_b32_e32 v46, 0
	s_mov_b32 s1, exec_lo
	v_cmpx_ne_u16_e32 0, v9
	s_cbranch_execz .LBB354_548
; %bb.541:                              ;   in Loop: Header=BB354_525 Depth=1
	v_bfrev_b32_e32 v46, 1
	s_mov_b32 s24, exec_lo
	v_cmpx_ne_u16_e32 0x80, v9
	s_cbranch_execz .LBB354_547
; %bb.542:                              ;   in Loop: Header=BB354_525 Depth=1
	v_bfe_u32 v20, v17, 16, 7
	v_mov_b32_e32 v46, 0x7f800001
	s_mov_b32 s25, exec_lo
	v_cmpx_ne_u32_e32 0x7f, v20
	s_cbranch_execz .LBB354_546
; %bb.543:                              ;   in Loop: Header=BB354_525 Depth=1
	v_and_b32_sdwa v9, v17, v40 dst_sel:DWORD dst_unused:UNUSED_PAD src0_sel:WORD_1 src1_sel:DWORD
	v_lshrrev_b32_e32 v19, 3, v20
	s_mov_b32 s26, exec_lo
	v_cmpx_gt_u32_e32 8, v20
; %bb.544:                              ;   in Loop: Header=BB354_525 Depth=1
	v_ffbh_u32_e32 v0, v9
	v_min_u32_e32 v0, 32, v0
	v_subrev_nc_u32_e32 v19, 28, v0
	v_lshlrev_b64 v[50:51], v19, v[9:10]
	v_sub_nc_u32_e32 v19, 29, v0
	v_and_b32_e32 v9, 7, v50
; %bb.545:                              ;   in Loop: Header=BB354_525 Depth=1
	s_or_b32 exec_lo, exec_lo, s26
	v_lshlrev_b32_sdwa v0, v41, v17 dst_sel:DWORD dst_unused:UNUSED_PAD src0_sel:DWORD src1_sel:WORD_1
	v_lshlrev_b32_e32 v9, 20, v9
	v_lshl_add_u32 v19, v19, 23, 0x3c000000
	v_and_b32_e32 v0, 0x80000000, v0
	v_or3_b32 v46, v9, v0, v19
.LBB354_546:                            ;   in Loop: Header=BB354_525 Depth=1
	s_or_b32 exec_lo, exec_lo, s25
.LBB354_547:                            ;   in Loop: Header=BB354_525 Depth=1
	s_or_b32 exec_lo, exec_lo, s24
.LBB354_548:                            ;   in Loop: Header=BB354_525 Depth=1
	s_or_b32 exec_lo, exec_lo, s1
	s_mov_b32 s1, exec_lo
	v_cmpx_lt_u32_e32 0xffffff, v17
	s_cbranch_execz .LBB354_556
; %bb.549:                              ;   in Loop: Header=BB354_525 Depth=1
	v_cmp_ne_u32_sdwa s0, v17, v26 src0_sel:BYTE_3 src1_sel:DWORD
	v_bfrev_b32_e32 v49, 1
	s_and_saveexec_b32 s24, s0
	s_cbranch_execz .LBB354_555
; %bb.550:                              ;   in Loop: Header=BB354_525 Depth=1
	v_bfe_u32 v20, v17, 24, 7
	v_mov_b32_e32 v49, 0x7f800001
	s_mov_b32 s25, exec_lo
	v_cmpx_ne_u32_e32 0x7f, v20
	s_cbranch_execz .LBB354_554
; %bb.551:                              ;   in Loop: Header=BB354_525 Depth=1
	v_and_b32_sdwa v9, v17, v40 dst_sel:DWORD dst_unused:UNUSED_PAD src0_sel:BYTE_3 src1_sel:DWORD
	v_lshrrev_b32_e32 v19, 3, v20
	s_mov_b32 s26, exec_lo
	v_cmpx_gt_u32_e32 8, v20
; %bb.552:                              ;   in Loop: Header=BB354_525 Depth=1
	v_ffbh_u32_e32 v0, v9
	v_min_u32_e32 v0, 32, v0
	v_subrev_nc_u32_e32 v19, 28, v0
	v_lshlrev_b64 v[49:50], v19, v[9:10]
	v_sub_nc_u32_e32 v19, 29, v0
	v_and_b32_e32 v9, 7, v49
; %bb.553:                              ;   in Loop: Header=BB354_525 Depth=1
	s_or_b32 exec_lo, exec_lo, s26
	v_lshlrev_b32_sdwa v0, v41, v17 dst_sel:DWORD dst_unused:UNUSED_PAD src0_sel:DWORD src1_sel:BYTE_3
	v_lshlrev_b32_e32 v9, 20, v9
	v_lshl_add_u32 v19, v19, 23, 0x3c000000
	v_and_b32_e32 v0, 0x80000000, v0
	v_or3_b32 v49, v9, v0, v19
.LBB354_554:                            ;   in Loop: Header=BB354_525 Depth=1
	s_or_b32 exec_lo, exec_lo, s25
.LBB354_555:                            ;   in Loop: Header=BB354_525 Depth=1
	s_or_b32 exec_lo, exec_lo, s24
.LBB354_556:                            ;   in Loop: Header=BB354_525 Depth=1
	s_or_b32 exec_lo, exec_lo, s1
	v_mov_b32_e32 v9, v18
	v_cmp_ne_u16_sdwa s0, v18, v10 src0_sel:BYTE_0 src1_sel:DWORD
	v_mov_b32_e32 v19, 0
	v_mov_b32_e32 v50, 0
	s_and_saveexec_b32 s1, s0
	s_cbranch_execz .LBB354_562
; %bb.557:                              ;   in Loop: Header=BB354_525 Depth=1
	v_cmp_ne_u16_sdwa s0, v18, v26 src0_sel:BYTE_0 src1_sel:DWORD
	v_bfrev_b32_e32 v50, 1
	s_and_saveexec_b32 s24, s0
	s_cbranch_execz .LBB354_561
; %bb.558:                              ;   in Loop: Header=BB354_525 Depth=1
	v_and_b32_e32 v20, 0x7f, v18
	v_mov_b32_e32 v50, 0x7f800001
	s_mov_b32 s25, exec_lo
	v_cmpx_ne_u32_e32 0x7f, v20
	s_cbranch_execz .LBB354_560
; %bb.559:                              ;   in Loop: Header=BB354_525 Depth=1
	v_and_b32_e32 v0, 7, v18
	v_cmp_gt_u32_e64 s0, 8, v20
	v_lshrrev_b32_e32 v35, 3, v20
	v_ffbh_u32_e32 v0, v0
	v_min_u32_e32 v0, 32, v0
	v_subrev_nc_u32_e32 v36, 28, v0
	v_sub_nc_u32_e32 v0, 29, v0
	v_cndmask_b32_e64 v20, 0, v36, s0
	v_cndmask_b32_e64 v0, v35, v0, s0
	v_lshlrev_b64 v[50:51], v20, v[9:10]
	v_lshlrev_b32_e32 v20, 24, v9
	v_lshl_add_u32 v0, v0, 23, 0x3c000000
	v_and_b32_e32 v20, 0x80000000, v20
	v_lshlrev_b32_e32 v35, 20, v50
	v_and_b32_e32 v35, 0x700000, v35
	v_or3_b32 v50, v35, v20, v0
.LBB354_560:                            ;   in Loop: Header=BB354_525 Depth=1
	s_or_b32 exec_lo, exec_lo, s25
.LBB354_561:                            ;   in Loop: Header=BB354_525 Depth=1
	s_or_b32 exec_lo, exec_lo, s24
.LBB354_562:                            ;   in Loop: Header=BB354_525 Depth=1
	s_or_b32 exec_lo, exec_lo, s1
	v_cmp_ne_u16_sdwa s0, v9, v10 src0_sel:BYTE_1 src1_sel:DWORD
	s_and_saveexec_b32 s1, s0
	s_cbranch_execz .LBB354_570
; %bb.563:                              ;   in Loop: Header=BB354_525 Depth=1
	v_cmp_ne_u16_sdwa s0, v9, v26 src0_sel:BYTE_1 src1_sel:DWORD
	v_bfrev_b32_e32 v19, 1
	s_and_saveexec_b32 s24, s0
	s_cbranch_execz .LBB354_569
; %bb.564:                              ;   in Loop: Header=BB354_525 Depth=1
	v_and_b32_sdwa v20, v34, v9 dst_sel:DWORD dst_unused:UNUSED_PAD src0_sel:DWORD src1_sel:BYTE_1
	v_mov_b32_e32 v19, 0x7f800001
	s_mov_b32 s25, exec_lo
	v_and_b32_e32 v52, 0x7f, v20
	v_cmpx_ne_u32_e32 0x7f, v52
	s_cbranch_execz .LBB354_568
; %bb.565:                              ;   in Loop: Header=BB354_525 Depth=1
	v_and_b32_e32 v19, 7, v20
	v_mov_b32_e32 v20, v10
	v_lshrrev_b32_e32 v51, 3, v52
	s_mov_b32 s26, exec_lo
	v_cmpx_gt_u32_e32 8, v52
; %bb.566:                              ;   in Loop: Header=BB354_525 Depth=1
	v_ffbh_u32_e32 v0, v19
	v_min_u32_e32 v0, 32, v0
	v_subrev_nc_u32_e32 v35, 28, v0
	v_sub_nc_u32_e32 v51, 29, v0
	v_lshlrev_b64 v[19:20], v35, v[19:20]
	v_and_b32_e32 v19, 7, v19
; %bb.567:                              ;   in Loop: Header=BB354_525 Depth=1
	s_or_b32 exec_lo, exec_lo, s26
	v_lshlrev_b32_e32 v0, 16, v9
	v_lshlrev_b32_e32 v9, 20, v19
	v_lshl_add_u32 v19, v51, 23, 0x3c000000
	v_and_b32_e32 v0, 0x80000000, v0
	v_or3_b32 v19, v9, v0, v19
.LBB354_568:                            ;   in Loop: Header=BB354_525 Depth=1
	s_or_b32 exec_lo, exec_lo, s25
.LBB354_569:                            ;   in Loop: Header=BB354_525 Depth=1
	s_or_b32 exec_lo, exec_lo, s24
.LBB354_570:                            ;   in Loop: Header=BB354_525 Depth=1
	s_or_b32 exec_lo, exec_lo, s1
	v_and_b32_sdwa v9, v18, v39 dst_sel:DWORD dst_unused:UNUSED_PAD src0_sel:WORD_1 src1_sel:DWORD
	v_mov_b32_e32 v20, 0
	v_mov_b32_e32 v51, 0
	s_mov_b32 s1, exec_lo
	v_cmpx_ne_u16_e32 0, v9
	s_cbranch_execz .LBB354_578
; %bb.571:                              ;   in Loop: Header=BB354_525 Depth=1
	v_bfrev_b32_e32 v51, 1
	s_mov_b32 s24, exec_lo
	v_cmpx_ne_u16_e32 0x80, v9
	s_cbranch_execz .LBB354_577
; %bb.572:                              ;   in Loop: Header=BB354_525 Depth=1
	v_bfe_u32 v52, v18, 16, 7
	v_mov_b32_e32 v51, 0x7f800001
	s_mov_b32 s25, exec_lo
	v_cmpx_ne_u32_e32 0x7f, v52
	s_cbranch_execz .LBB354_576
; %bb.573:                              ;   in Loop: Header=BB354_525 Depth=1
	v_and_b32_sdwa v9, v18, v40 dst_sel:DWORD dst_unused:UNUSED_PAD src0_sel:WORD_1 src1_sel:DWORD
	v_lshrrev_b32_e32 v51, 3, v52
	s_mov_b32 s26, exec_lo
	v_cmpx_gt_u32_e32 8, v52
; %bb.574:                              ;   in Loop: Header=BB354_525 Depth=1
	v_ffbh_u32_e32 v0, v9
	v_min_u32_e32 v0, 32, v0
	v_subrev_nc_u32_e32 v35, 28, v0
	v_sub_nc_u32_e32 v51, 29, v0
	v_lshlrev_b64 v[52:53], v35, v[9:10]
	v_and_b32_e32 v9, 7, v52
; %bb.575:                              ;   in Loop: Header=BB354_525 Depth=1
	s_or_b32 exec_lo, exec_lo, s26
	v_lshlrev_b32_sdwa v0, v41, v18 dst_sel:DWORD dst_unused:UNUSED_PAD src0_sel:DWORD src1_sel:WORD_1
	v_lshlrev_b32_e32 v9, 20, v9
	v_lshl_add_u32 v35, v51, 23, 0x3c000000
	v_and_b32_e32 v0, 0x80000000, v0
	v_or3_b32 v51, v9, v0, v35
.LBB354_576:                            ;   in Loop: Header=BB354_525 Depth=1
	s_or_b32 exec_lo, exec_lo, s25
.LBB354_577:                            ;   in Loop: Header=BB354_525 Depth=1
	s_or_b32 exec_lo, exec_lo, s24
.LBB354_578:                            ;   in Loop: Header=BB354_525 Depth=1
	s_or_b32 exec_lo, exec_lo, s1
	s_mov_b32 s1, exec_lo
	v_cmpx_lt_u64_e64 s[6:7], v[17:18]
	s_cbranch_execz .LBB354_586
; %bb.579:                              ;   in Loop: Header=BB354_525 Depth=1
	v_cmp_ne_u32_sdwa s0, v18, v26 src0_sel:BYTE_3 src1_sel:DWORD
	v_bfrev_b32_e32 v20, 1
	s_and_saveexec_b32 s24, s0
	s_cbranch_execz .LBB354_585
; %bb.580:                              ;   in Loop: Header=BB354_525 Depth=1
	v_bfe_u32 v52, v18, 24, 7
	v_mov_b32_e32 v20, 0x7f800001
	s_mov_b32 s25, exec_lo
	v_cmpx_ne_u32_e32 0x7f, v52
	s_cbranch_execz .LBB354_584
; %bb.581:                              ;   in Loop: Header=BB354_525 Depth=1
	v_and_b32_sdwa v9, v18, v40 dst_sel:DWORD dst_unused:UNUSED_PAD src0_sel:BYTE_3 src1_sel:DWORD
	v_lshrrev_b32_e32 v17, 3, v52
	s_mov_b32 s26, exec_lo
	v_cmpx_gt_u32_e32 8, v52
; %bb.582:                              ;   in Loop: Header=BB354_525 Depth=1
	v_ffbh_u32_e32 v0, v9
	v_min_u32_e32 v0, 32, v0
	v_subrev_nc_u32_e32 v17, 28, v0
	v_lshlrev_b64 v[52:53], v17, v[9:10]
	v_sub_nc_u32_e32 v17, 29, v0
	v_and_b32_e32 v9, 7, v52
; %bb.583:                              ;   in Loop: Header=BB354_525 Depth=1
	s_or_b32 exec_lo, exec_lo, s26
	v_lshlrev_b32_sdwa v0, v41, v18 dst_sel:DWORD dst_unused:UNUSED_PAD src0_sel:DWORD src1_sel:BYTE_3
	v_lshlrev_b32_e32 v9, 20, v9
	v_lshl_add_u32 v17, v17, 23, 0x3c000000
	v_and_b32_e32 v0, 0x80000000, v0
	v_or3_b32 v20, v9, v0, v17
.LBB354_584:                            ;   in Loop: Header=BB354_525 Depth=1
	s_or_b32 exec_lo, exec_lo, s25
.LBB354_585:                            ;   in Loop: Header=BB354_525 Depth=1
	s_or_b32 exec_lo, exec_lo, s24
.LBB354_586:                            ;   in Loop: Header=BB354_525 Depth=1
	s_or_b32 exec_lo, exec_lo, s1
	s_waitcnt lgkmcnt(0)
	v_mul_f32_e32 v0, s22, v19
	v_mul_f32_e32 v9, s22, v50
	v_mul_f32_e32 v17, s22, v49
	v_mul_f32_e32 v19, s22, v46
	v_mul_f32_e32 v20, s22, v20
	v_bfe_u32 v18, v0, 16, 1
	v_or_b32_e32 v35, 0x400000, v0
	v_bfe_u32 v36, v9, 16, 1
	v_cmp_u_f32_e64 s1, v0, v0
	v_or_b32_e32 v37, 0x400000, v9
	v_add3_u32 v18, v18, v0, 0x7fff
	v_bfe_u32 v46, v17, 16, 1
	v_add3_u32 v36, v36, v9, 0x7fff
	v_or_b32_e32 v49, 0x400000, v17
	v_or_b32_e32 v50, 0x400000, v20
	v_cndmask_b32_e64 v0, v18, v35, s1
	v_cmp_u_f32_e64 s1, v9, v9
	v_bfe_u32 v18, v19, 16, 1
	v_add3_u32 v35, v46, v17, 0x7fff
	v_add_nc_u32_e32 v54, v33, v38
	v_lshrrev_b32_e32 v46, 16, v0
	v_cndmask_b32_e64 v9, v36, v37, s1
	v_cmp_u_f32_e64 s1, v17, v17
	v_mul_f32_e32 v17, s22, v47
	v_add3_u32 v18, v18, v19, 0x7fff
	v_cmp_eq_u32_e64 s0, s17, v25
	v_lshrrev_b32_e32 v47, 16, v9
	v_cndmask_b32_e64 v0, v35, v49, s1
	v_or_b32_e32 v35, 0x400000, v19
	v_cmp_u_f32_e64 s1, v19, v19
	v_mul_f32_e32 v19, s22, v51
	v_lshrrev_b32_e32 v49, 16, v0
	v_bfe_u32 v0, v17, 16, 1
	v_cndmask_b32_e64 v9, v18, v35, s1
	v_mul_f32_e32 v18, s22, v48
	v_or_b32_e32 v35, 0x400000, v17
	v_cmp_u_f32_e64 s1, v17, v17
	v_add3_u32 v0, v0, v17, 0x7fff
	v_bfe_u32 v37, v19, 16, 1
	v_bfe_u32 v36, v18, 16, 1
	;; [unrolled: 1-line block ×3, first 2 shown]
	v_or_b32_e32 v48, 0x400000, v19
	v_cndmask_b32_e64 v0, v0, v35, s1
	v_cmp_u_f32_e64 s1, v18, v18
	v_add3_u32 v35, v36, v18, 0x7fff
	v_or_b32_e32 v36, 0x400000, v18
	v_add3_u32 v37, v37, v19, 0x7fff
	v_add3_u32 v17, v17, v20, 0x7fff
	v_lshrrev_b32_e32 v51, 16, v9
	v_lshrrev_b32_e32 v53, 16, v0
	v_cndmask_b32_e64 v18, v35, v36, s1
	v_cmp_u_f32_e64 s1, v19, v19
	v_lshrrev_b32_e32 v52, 16, v18
	v_cndmask_b32_e64 v19, v37, v48, s1
	v_cmp_u_f32_e64 s1, v20, v20
	v_lshrrev_b32_e32 v48, 16, v19
	v_cndmask_b32_e64 v17, v17, v50, s1
	v_lshrrev_b32_e32 v50, 16, v17
	s_and_saveexec_b32 s24, s0
	s_cbranch_execz .LBB354_588
; %bb.587:                              ;   in Loop: Header=BB354_525 Depth=1
	v_add_nc_u32_e32 v0, 1, v54
	v_cmp_gt_i32_e64 s1, s31, v54
	v_add_nc_u32_e32 v9, 2, v54
	v_add_nc_u32_e32 v17, 3, v54
	v_cndmask_b32_e64 v52, 0, v52, s1
	v_cmp_gt_i32_e64 s1, s31, v0
	v_add_nc_u32_e32 v0, 4, v54
	v_cndmask_b32_e64 v53, 0, v53, s1
	v_cmp_gt_i32_e64 s1, s31, v9
	;; [unrolled: 3-line block ×5, first 2 shown]
	v_cndmask_b32_e64 v46, 0, v46, s1
	v_cmp_gt_i32_e64 s1, s31, v17
	v_cndmask_b32_e64 v48, 0, v48, s1
	v_cmp_gt_i32_e64 s1, s31, v0
	v_cndmask_b32_e64 v50, 0, v50, s1
.LBB354_588:                            ;   in Loop: Header=BB354_525 Depth=1
	s_or_b32 exec_lo, exec_lo, s24
	global_load_dwordx2 v[17:18], v[15:16], off offset:256
	v_mov_b32_e32 v55, 0
	v_mov_b32_e32 v57, 0
	s_waitcnt vmcnt(0)
	v_cmp_ne_u16_sdwa s1, v17, v10 src0_sel:BYTE_0 src1_sel:DWORD
	s_and_saveexec_b32 s24, s1
	s_cbranch_execz .LBB354_594
; %bb.589:                              ;   in Loop: Header=BB354_525 Depth=1
	v_cmp_ne_u16_sdwa s1, v17, v26 src0_sel:BYTE_0 src1_sel:DWORD
	v_bfrev_b32_e32 v57, 1
	s_and_saveexec_b32 s25, s1
	s_cbranch_execz .LBB354_593
; %bb.590:                              ;   in Loop: Header=BB354_525 Depth=1
	v_and_b32_e32 v9, 0x7f, v17
	v_mov_b32_e32 v57, 0x7f800001
	s_mov_b32 s26, exec_lo
	v_cmpx_ne_u32_e32 0x7f, v9
	s_cbranch_execz .LBB354_592
; %bb.591:                              ;   in Loop: Header=BB354_525 Depth=1
	v_and_b32_e32 v0, 7, v17
	v_cmp_gt_u32_e64 s1, 8, v9
	v_lshrrev_b32_e32 v19, 3, v9
	v_ffbh_u32_e32 v0, v0
	v_min_u32_e32 v0, 32, v0
	v_subrev_nc_u32_e32 v20, 28, v0
	v_sub_nc_u32_e32 v0, 29, v0
	v_cndmask_b32_e64 v9, 0, v20, s1
	v_cndmask_b32_e64 v0, v19, v0, s1
	v_lshlrev_b64 v[19:20], v9, v[17:18]
	v_lshlrev_b32_e32 v9, 24, v17
	v_lshl_add_u32 v0, v0, 23, 0x3c000000
	v_and_b32_e32 v9, 0x80000000, v9
	v_lshlrev_b32_e32 v19, 20, v19
	v_and_b32_e32 v19, 0x700000, v19
	v_or3_b32 v57, v19, v9, v0
.LBB354_592:                            ;   in Loop: Header=BB354_525 Depth=1
	s_or_b32 exec_lo, exec_lo, s26
.LBB354_593:                            ;   in Loop: Header=BB354_525 Depth=1
	s_or_b32 exec_lo, exec_lo, s25
.LBB354_594:                            ;   in Loop: Header=BB354_525 Depth=1
	s_or_b32 exec_lo, exec_lo, s24
	v_cmp_ne_u16_sdwa s1, v17, v10 src0_sel:BYTE_1 src1_sel:DWORD
	s_and_saveexec_b32 s24, s1
	s_cbranch_execz .LBB354_602
; %bb.595:                              ;   in Loop: Header=BB354_525 Depth=1
	v_cmp_ne_u16_sdwa s1, v17, v26 src0_sel:BYTE_1 src1_sel:DWORD
	v_bfrev_b32_e32 v55, 1
	s_and_saveexec_b32 s25, s1
	s_cbranch_execz .LBB354_601
; %bb.596:                              ;   in Loop: Header=BB354_525 Depth=1
	v_and_b32_sdwa v9, v34, v17 dst_sel:DWORD dst_unused:UNUSED_PAD src0_sel:DWORD src1_sel:BYTE_1
	v_mov_b32_e32 v55, 0x7f800001
	s_mov_b32 s26, exec_lo
	v_and_b32_e32 v20, 0x7f, v9
	v_cmpx_ne_u32_e32 0x7f, v20
	s_cbranch_execz .LBB354_600
; %bb.597:                              ;   in Loop: Header=BB354_525 Depth=1
	v_and_b32_e32 v9, 7, v9
	v_lshrrev_b32_e32 v19, 3, v20
	s_mov_b32 s27, exec_lo
	v_cmpx_gt_u32_e32 8, v20
; %bb.598:                              ;   in Loop: Header=BB354_525 Depth=1
	v_ffbh_u32_e32 v0, v9
	v_min_u32_e32 v0, 32, v0
	v_subrev_nc_u32_e32 v19, 28, v0
	v_lshlrev_b64 v[55:56], v19, v[9:10]
	v_sub_nc_u32_e32 v19, 29, v0
	v_and_b32_e32 v9, 7, v55
; %bb.599:                              ;   in Loop: Header=BB354_525 Depth=1
	s_or_b32 exec_lo, exec_lo, s27
	v_lshlrev_b32_e32 v0, 16, v17
	v_lshlrev_b32_e32 v9, 20, v9
	v_lshl_add_u32 v19, v19, 23, 0x3c000000
	v_and_b32_e32 v0, 0x80000000, v0
	v_or3_b32 v55, v9, v0, v19
.LBB354_600:                            ;   in Loop: Header=BB354_525 Depth=1
	s_or_b32 exec_lo, exec_lo, s26
.LBB354_601:                            ;   in Loop: Header=BB354_525 Depth=1
	s_or_b32 exec_lo, exec_lo, s25
.LBB354_602:                            ;   in Loop: Header=BB354_525 Depth=1
	s_or_b32 exec_lo, exec_lo, s24
	v_and_b32_sdwa v9, v17, v39 dst_sel:DWORD dst_unused:UNUSED_PAD src0_sel:WORD_1 src1_sel:DWORD
	v_mov_b32_e32 v58, 0
	v_mov_b32_e32 v56, 0
	s_mov_b32 s24, exec_lo
	v_cmpx_ne_u16_e32 0, v9
	s_cbranch_execz .LBB354_610
; %bb.603:                              ;   in Loop: Header=BB354_525 Depth=1
	v_bfrev_b32_e32 v56, 1
	s_mov_b32 s25, exec_lo
	v_cmpx_ne_u16_e32 0x80, v9
	s_cbranch_execz .LBB354_609
; %bb.604:                              ;   in Loop: Header=BB354_525 Depth=1
	v_bfe_u32 v20, v17, 16, 7
	v_mov_b32_e32 v56, 0x7f800001
	s_mov_b32 s26, exec_lo
	v_cmpx_ne_u32_e32 0x7f, v20
	s_cbranch_execz .LBB354_608
; %bb.605:                              ;   in Loop: Header=BB354_525 Depth=1
	v_and_b32_sdwa v9, v17, v40 dst_sel:DWORD dst_unused:UNUSED_PAD src0_sel:WORD_1 src1_sel:DWORD
	v_lshrrev_b32_e32 v19, 3, v20
	s_mov_b32 s27, exec_lo
	v_cmpx_gt_u32_e32 8, v20
; %bb.606:                              ;   in Loop: Header=BB354_525 Depth=1
	v_ffbh_u32_e32 v0, v9
	v_min_u32_e32 v0, 32, v0
	v_subrev_nc_u32_e32 v19, 28, v0
	v_lshlrev_b64 v[59:60], v19, v[9:10]
	v_sub_nc_u32_e32 v19, 29, v0
	v_and_b32_e32 v9, 7, v59
; %bb.607:                              ;   in Loop: Header=BB354_525 Depth=1
	s_or_b32 exec_lo, exec_lo, s27
	v_lshlrev_b32_sdwa v0, v41, v17 dst_sel:DWORD dst_unused:UNUSED_PAD src0_sel:DWORD src1_sel:WORD_1
	v_lshlrev_b32_e32 v9, 20, v9
	v_lshl_add_u32 v19, v19, 23, 0x3c000000
	v_and_b32_e32 v0, 0x80000000, v0
	v_or3_b32 v56, v9, v0, v19
.LBB354_608:                            ;   in Loop: Header=BB354_525 Depth=1
	s_or_b32 exec_lo, exec_lo, s26
.LBB354_609:                            ;   in Loop: Header=BB354_525 Depth=1
	s_or_b32 exec_lo, exec_lo, s25
.LBB354_610:                            ;   in Loop: Header=BB354_525 Depth=1
	s_or_b32 exec_lo, exec_lo, s24
	s_mov_b32 s24, exec_lo
	v_cmpx_lt_u32_e32 0xffffff, v17
	s_cbranch_execz .LBB354_618
; %bb.611:                              ;   in Loop: Header=BB354_525 Depth=1
	v_cmp_ne_u32_sdwa s1, v17, v26 src0_sel:BYTE_3 src1_sel:DWORD
	v_bfrev_b32_e32 v58, 1
	s_and_saveexec_b32 s25, s1
	s_cbranch_execz .LBB354_617
; %bb.612:                              ;   in Loop: Header=BB354_525 Depth=1
	v_bfe_u32 v20, v17, 24, 7
	v_mov_b32_e32 v58, 0x7f800001
	s_mov_b32 s26, exec_lo
	v_cmpx_ne_u32_e32 0x7f, v20
	s_cbranch_execz .LBB354_616
; %bb.613:                              ;   in Loop: Header=BB354_525 Depth=1
	v_and_b32_sdwa v9, v17, v40 dst_sel:DWORD dst_unused:UNUSED_PAD src0_sel:BYTE_3 src1_sel:DWORD
	v_lshrrev_b32_e32 v19, 3, v20
	s_mov_b32 s27, exec_lo
	v_cmpx_gt_u32_e32 8, v20
; %bb.614:                              ;   in Loop: Header=BB354_525 Depth=1
	v_ffbh_u32_e32 v0, v9
	v_min_u32_e32 v0, 32, v0
	v_subrev_nc_u32_e32 v19, 28, v0
	v_lshlrev_b64 v[58:59], v19, v[9:10]
	v_sub_nc_u32_e32 v19, 29, v0
	v_and_b32_e32 v9, 7, v58
; %bb.615:                              ;   in Loop: Header=BB354_525 Depth=1
	s_or_b32 exec_lo, exec_lo, s27
	v_lshlrev_b32_sdwa v0, v41, v17 dst_sel:DWORD dst_unused:UNUSED_PAD src0_sel:DWORD src1_sel:BYTE_3
	v_lshlrev_b32_e32 v9, 20, v9
	v_lshl_add_u32 v19, v19, 23, 0x3c000000
	v_and_b32_e32 v0, 0x80000000, v0
	v_or3_b32 v58, v9, v0, v19
.LBB354_616:                            ;   in Loop: Header=BB354_525 Depth=1
	s_or_b32 exec_lo, exec_lo, s26
.LBB354_617:                            ;   in Loop: Header=BB354_525 Depth=1
	s_or_b32 exec_lo, exec_lo, s25
.LBB354_618:                            ;   in Loop: Header=BB354_525 Depth=1
	s_or_b32 exec_lo, exec_lo, s24
	v_mov_b32_e32 v9, v18
	v_cmp_ne_u16_sdwa s1, v18, v10 src0_sel:BYTE_0 src1_sel:DWORD
	v_mov_b32_e32 v19, 0
	v_mov_b32_e32 v59, 0
	s_and_saveexec_b32 s24, s1
	s_cbranch_execz .LBB354_624
; %bb.619:                              ;   in Loop: Header=BB354_525 Depth=1
	v_cmp_ne_u16_sdwa s1, v18, v26 src0_sel:BYTE_0 src1_sel:DWORD
	v_bfrev_b32_e32 v59, 1
	s_and_saveexec_b32 s25, s1
	s_cbranch_execz .LBB354_623
; %bb.620:                              ;   in Loop: Header=BB354_525 Depth=1
	v_and_b32_e32 v20, 0x7f, v18
	v_mov_b32_e32 v59, 0x7f800001
	s_mov_b32 s26, exec_lo
	v_cmpx_ne_u32_e32 0x7f, v20
	s_cbranch_execz .LBB354_622
; %bb.621:                              ;   in Loop: Header=BB354_525 Depth=1
	v_and_b32_e32 v0, 7, v18
	v_cmp_gt_u32_e64 s1, 8, v20
	v_lshrrev_b32_e32 v35, 3, v20
	v_ffbh_u32_e32 v0, v0
	v_min_u32_e32 v0, 32, v0
	v_subrev_nc_u32_e32 v36, 28, v0
	v_sub_nc_u32_e32 v0, 29, v0
	v_cndmask_b32_e64 v20, 0, v36, s1
	v_cndmask_b32_e64 v0, v35, v0, s1
	v_lshlrev_b64 v[59:60], v20, v[9:10]
	v_lshlrev_b32_e32 v20, 24, v9
	v_lshl_add_u32 v0, v0, 23, 0x3c000000
	v_and_b32_e32 v20, 0x80000000, v20
	v_lshlrev_b32_e32 v35, 20, v59
	v_and_b32_e32 v35, 0x700000, v35
	v_or3_b32 v59, v35, v20, v0
.LBB354_622:                            ;   in Loop: Header=BB354_525 Depth=1
	s_or_b32 exec_lo, exec_lo, s26
.LBB354_623:                            ;   in Loop: Header=BB354_525 Depth=1
	s_or_b32 exec_lo, exec_lo, s25
.LBB354_624:                            ;   in Loop: Header=BB354_525 Depth=1
	s_or_b32 exec_lo, exec_lo, s24
	v_cmp_ne_u16_sdwa s1, v9, v10 src0_sel:BYTE_1 src1_sel:DWORD
	s_and_saveexec_b32 s24, s1
	s_cbranch_execz .LBB354_632
; %bb.625:                              ;   in Loop: Header=BB354_525 Depth=1
	v_cmp_ne_u16_sdwa s1, v9, v26 src0_sel:BYTE_1 src1_sel:DWORD
	v_bfrev_b32_e32 v19, 1
	s_and_saveexec_b32 s25, s1
	s_cbranch_execz .LBB354_631
; %bb.626:                              ;   in Loop: Header=BB354_525 Depth=1
	v_and_b32_sdwa v20, v34, v9 dst_sel:DWORD dst_unused:UNUSED_PAD src0_sel:DWORD src1_sel:BYTE_1
	v_mov_b32_e32 v19, 0x7f800001
	s_mov_b32 s26, exec_lo
	v_and_b32_e32 v61, 0x7f, v20
	v_cmpx_ne_u32_e32 0x7f, v61
	s_cbranch_execz .LBB354_630
; %bb.627:                              ;   in Loop: Header=BB354_525 Depth=1
	v_and_b32_e32 v19, 7, v20
	v_mov_b32_e32 v20, v10
	v_lshrrev_b32_e32 v60, 3, v61
	s_mov_b32 s27, exec_lo
	v_cmpx_gt_u32_e32 8, v61
; %bb.628:                              ;   in Loop: Header=BB354_525 Depth=1
	v_ffbh_u32_e32 v0, v19
	v_min_u32_e32 v0, 32, v0
	v_subrev_nc_u32_e32 v35, 28, v0
	v_sub_nc_u32_e32 v60, 29, v0
	v_lshlrev_b64 v[19:20], v35, v[19:20]
	v_and_b32_e32 v19, 7, v19
; %bb.629:                              ;   in Loop: Header=BB354_525 Depth=1
	s_or_b32 exec_lo, exec_lo, s27
	v_lshlrev_b32_e32 v0, 16, v9
	v_lshlrev_b32_e32 v9, 20, v19
	v_lshl_add_u32 v19, v60, 23, 0x3c000000
	v_and_b32_e32 v0, 0x80000000, v0
	v_or3_b32 v19, v9, v0, v19
.LBB354_630:                            ;   in Loop: Header=BB354_525 Depth=1
	s_or_b32 exec_lo, exec_lo, s26
.LBB354_631:                            ;   in Loop: Header=BB354_525 Depth=1
	s_or_b32 exec_lo, exec_lo, s25
.LBB354_632:                            ;   in Loop: Header=BB354_525 Depth=1
	s_or_b32 exec_lo, exec_lo, s24
	v_and_b32_sdwa v9, v18, v39 dst_sel:DWORD dst_unused:UNUSED_PAD src0_sel:WORD_1 src1_sel:DWORD
	v_mov_b32_e32 v20, 0
	v_mov_b32_e32 v60, 0
	s_mov_b32 s24, exec_lo
	v_cmpx_ne_u16_e32 0, v9
	s_cbranch_execz .LBB354_640
; %bb.633:                              ;   in Loop: Header=BB354_525 Depth=1
	v_bfrev_b32_e32 v60, 1
	s_mov_b32 s25, exec_lo
	v_cmpx_ne_u16_e32 0x80, v9
	s_cbranch_execz .LBB354_639
; %bb.634:                              ;   in Loop: Header=BB354_525 Depth=1
	v_bfe_u32 v61, v18, 16, 7
	v_mov_b32_e32 v60, 0x7f800001
	s_mov_b32 s26, exec_lo
	v_cmpx_ne_u32_e32 0x7f, v61
	s_cbranch_execz .LBB354_638
; %bb.635:                              ;   in Loop: Header=BB354_525 Depth=1
	v_and_b32_sdwa v9, v18, v40 dst_sel:DWORD dst_unused:UNUSED_PAD src0_sel:WORD_1 src1_sel:DWORD
	v_lshrrev_b32_e32 v60, 3, v61
	s_mov_b32 s27, exec_lo
	v_cmpx_gt_u32_e32 8, v61
; %bb.636:                              ;   in Loop: Header=BB354_525 Depth=1
	v_ffbh_u32_e32 v0, v9
	v_min_u32_e32 v0, 32, v0
	v_subrev_nc_u32_e32 v35, 28, v0
	v_sub_nc_u32_e32 v60, 29, v0
	v_lshlrev_b64 v[61:62], v35, v[9:10]
	v_and_b32_e32 v9, 7, v61
; %bb.637:                              ;   in Loop: Header=BB354_525 Depth=1
	s_or_b32 exec_lo, exec_lo, s27
	v_lshlrev_b32_sdwa v0, v41, v18 dst_sel:DWORD dst_unused:UNUSED_PAD src0_sel:DWORD src1_sel:WORD_1
	v_lshlrev_b32_e32 v9, 20, v9
	v_lshl_add_u32 v35, v60, 23, 0x3c000000
	v_and_b32_e32 v0, 0x80000000, v0
	v_or3_b32 v60, v9, v0, v35
.LBB354_638:                            ;   in Loop: Header=BB354_525 Depth=1
	s_or_b32 exec_lo, exec_lo, s26
.LBB354_639:                            ;   in Loop: Header=BB354_525 Depth=1
	s_or_b32 exec_lo, exec_lo, s25
.LBB354_640:                            ;   in Loop: Header=BB354_525 Depth=1
	s_or_b32 exec_lo, exec_lo, s24
	s_mov_b32 s24, exec_lo
	v_cmpx_lt_u64_e64 s[6:7], v[17:18]
	s_cbranch_execz .LBB354_648
; %bb.641:                              ;   in Loop: Header=BB354_525 Depth=1
	v_cmp_ne_u32_sdwa s1, v18, v26 src0_sel:BYTE_3 src1_sel:DWORD
	v_bfrev_b32_e32 v20, 1
	s_and_saveexec_b32 s25, s1
	s_cbranch_execz .LBB354_647
; %bb.642:                              ;   in Loop: Header=BB354_525 Depth=1
	v_bfe_u32 v61, v18, 24, 7
	v_mov_b32_e32 v20, 0x7f800001
	s_mov_b32 s26, exec_lo
	v_cmpx_ne_u32_e32 0x7f, v61
	s_cbranch_execz .LBB354_646
; %bb.643:                              ;   in Loop: Header=BB354_525 Depth=1
	v_and_b32_sdwa v9, v18, v40 dst_sel:DWORD dst_unused:UNUSED_PAD src0_sel:BYTE_3 src1_sel:DWORD
	v_lshrrev_b32_e32 v17, 3, v61
	s_mov_b32 s27, exec_lo
	v_cmpx_gt_u32_e32 8, v61
; %bb.644:                              ;   in Loop: Header=BB354_525 Depth=1
	v_ffbh_u32_e32 v0, v9
	v_min_u32_e32 v0, 32, v0
	v_subrev_nc_u32_e32 v17, 28, v0
	v_lshlrev_b64 v[61:62], v17, v[9:10]
	v_sub_nc_u32_e32 v17, 29, v0
	v_and_b32_e32 v9, 7, v61
; %bb.645:                              ;   in Loop: Header=BB354_525 Depth=1
	s_or_b32 exec_lo, exec_lo, s27
	v_lshlrev_b32_sdwa v0, v41, v18 dst_sel:DWORD dst_unused:UNUSED_PAD src0_sel:DWORD src1_sel:BYTE_3
	v_lshlrev_b32_e32 v9, 20, v9
	v_lshl_add_u32 v17, v17, 23, 0x3c000000
	v_and_b32_e32 v0, 0x80000000, v0
	v_or3_b32 v20, v9, v0, v17
.LBB354_646:                            ;   in Loop: Header=BB354_525 Depth=1
	s_or_b32 exec_lo, exec_lo, s26
.LBB354_647:                            ;   in Loop: Header=BB354_525 Depth=1
	s_or_b32 exec_lo, exec_lo, s25
.LBB354_648:                            ;   in Loop: Header=BB354_525 Depth=1
	s_or_b32 exec_lo, exec_lo, s24
	v_mul_f32_e32 v0, s22, v19
	v_mul_f32_e32 v9, s22, v59
	;; [unrolled: 1-line block ×5, first 2 shown]
	v_bfe_u32 v19, v0, 16, 1
	v_or_b32_e32 v35, 0x400000, v0
	v_bfe_u32 v36, v9, 16, 1
	v_cmp_u_f32_e64 s1, v0, v0
	v_or_b32_e32 v37, 0x400000, v9
	v_add3_u32 v19, v19, v0, 0x7fff
	v_bfe_u32 v56, v17, 16, 1
	v_add3_u32 v36, v36, v9, 0x7fff
	v_or_b32_e32 v58, 0x400000, v17
	v_bfe_u32 v59, v18, 16, 1
	v_cndmask_b32_e64 v0, v19, v35, s1
	v_cmp_u_f32_e64 s1, v9, v9
	v_add3_u32 v56, v56, v17, 0x7fff
	v_or_b32_e32 v35, 0x400000, v18
	v_add3_u32 v19, v59, v18, 0x7fff
	v_or_b32_e32 v59, 0x400000, v20
	v_cndmask_b32_e64 v9, v36, v37, s1
	v_cmp_u_f32_e64 s1, v17, v17
	v_cndmask_b32_e64 v17, v56, v58, s1
	v_lshrrev_b32_e32 v56, 16, v0
	v_mul_f32_e32 v0, s22, v55
	v_lshrrev_b32_e32 v55, 16, v9
	v_cmp_u_f32_e64 s1, v18, v18
	v_mul_f32_e32 v18, s22, v57
	v_lshrrev_b32_e32 v58, 16, v17
	v_bfe_u32 v9, v0, 16, 1
	v_cndmask_b32_e64 v17, v19, v35, s1
	v_mul_f32_e32 v19, s22, v60
	v_or_b32_e32 v35, 0x400000, v0
	v_add3_u32 v9, v9, v0, 0x7fff
	v_bfe_u32 v36, v18, 16, 1
	v_cmp_u_f32_e64 s1, v0, v0
	v_bfe_u32 v37, v19, 16, 1
	v_or_b32_e32 v57, 0x400000, v19
	v_lshrrev_b32_e32 v60, 16, v17
	v_cndmask_b32_e64 v0, v9, v35, s1
	v_add3_u32 v35, v36, v18, 0x7fff
	v_or_b32_e32 v36, 0x400000, v18
	v_cmp_u_f32_e64 s1, v18, v18
	v_bfe_u32 v9, v20, 16, 1
	v_add3_u32 v37, v37, v19, 0x7fff
	v_lshrrev_b32_e32 v62, 16, v0
	v_cndmask_b32_e64 v18, v35, v36, s1
	v_cmp_u_f32_e64 s1, v19, v19
	v_add3_u32 v9, v9, v20, 0x7fff
	v_lshrrev_b32_e32 v61, 16, v18
	v_cndmask_b32_e64 v19, v37, v57, s1
	v_cmp_u_f32_e64 s1, v20, v20
	v_lshrrev_b32_e32 v57, 16, v19
	v_cndmask_b32_e64 v9, v9, v59, s1
	v_lshrrev_b32_e32 v59, 16, v9
	s_and_saveexec_b32 s24, s0
	s_cbranch_execz .LBB354_650
; %bb.649:                              ;   in Loop: Header=BB354_525 Depth=1
	v_add_nc_u32_e32 v0, 1, v54
	v_cmp_gt_i32_e64 s1, s31, v54
	v_add_nc_u32_e32 v9, 2, v54
	v_add_nc_u32_e32 v17, 3, v54
	v_cndmask_b32_e64 v61, 0, v61, s1
	v_cmp_gt_i32_e64 s1, s31, v0
	v_add_nc_u32_e32 v0, 4, v54
	v_cndmask_b32_e64 v62, 0, v62, s1
	v_cmp_gt_i32_e64 s1, s31, v9
	;; [unrolled: 3-line block ×5, first 2 shown]
	v_cndmask_b32_e64 v56, 0, v56, s1
	v_cmp_gt_i32_e64 s1, s31, v17
	v_cndmask_b32_e64 v57, 0, v57, s1
	v_cmp_gt_i32_e64 s1, s31, v0
	v_cndmask_b32_e64 v59, 0, v59, s1
.LBB354_650:                            ;   in Loop: Header=BB354_525 Depth=1
	s_or_b32 exec_lo, exec_lo, s24
	global_load_dwordx2 v[17:18], v[15:16], off offset:512
	v_mov_b32_e32 v64, 0
	v_mov_b32_e32 v65, 0
	s_waitcnt vmcnt(0)
	v_cmp_ne_u16_sdwa s1, v17, v10 src0_sel:BYTE_0 src1_sel:DWORD
	s_and_saveexec_b32 s24, s1
	s_cbranch_execz .LBB354_656
; %bb.651:                              ;   in Loop: Header=BB354_525 Depth=1
	v_cmp_ne_u16_sdwa s1, v17, v26 src0_sel:BYTE_0 src1_sel:DWORD
	v_bfrev_b32_e32 v65, 1
	s_and_saveexec_b32 s25, s1
	s_cbranch_execz .LBB354_655
; %bb.652:                              ;   in Loop: Header=BB354_525 Depth=1
	v_and_b32_e32 v9, 0x7f, v17
	v_mov_b32_e32 v65, 0x7f800001
	s_mov_b32 s26, exec_lo
	v_cmpx_ne_u32_e32 0x7f, v9
	s_cbranch_execz .LBB354_654
; %bb.653:                              ;   in Loop: Header=BB354_525 Depth=1
	v_and_b32_e32 v0, 7, v17
	v_cmp_gt_u32_e64 s1, 8, v9
	v_lshrrev_b32_e32 v19, 3, v9
	v_ffbh_u32_e32 v0, v0
	v_min_u32_e32 v0, 32, v0
	v_subrev_nc_u32_e32 v20, 28, v0
	v_sub_nc_u32_e32 v0, 29, v0
	v_cndmask_b32_e64 v9, 0, v20, s1
	v_cndmask_b32_e64 v0, v19, v0, s1
	v_lshlrev_b64 v[19:20], v9, v[17:18]
	v_lshlrev_b32_e32 v9, 24, v17
	v_lshl_add_u32 v0, v0, 23, 0x3c000000
	v_and_b32_e32 v9, 0x80000000, v9
	v_lshlrev_b32_e32 v19, 20, v19
	v_and_b32_e32 v19, 0x700000, v19
	v_or3_b32 v65, v19, v9, v0
.LBB354_654:                            ;   in Loop: Header=BB354_525 Depth=1
	s_or_b32 exec_lo, exec_lo, s26
.LBB354_655:                            ;   in Loop: Header=BB354_525 Depth=1
	s_or_b32 exec_lo, exec_lo, s25
.LBB354_656:                            ;   in Loop: Header=BB354_525 Depth=1
	s_or_b32 exec_lo, exec_lo, s24
	v_cmp_ne_u16_sdwa s1, v17, v10 src0_sel:BYTE_1 src1_sel:DWORD
	s_and_saveexec_b32 s24, s1
	s_cbranch_execz .LBB354_664
; %bb.657:                              ;   in Loop: Header=BB354_525 Depth=1
	v_cmp_ne_u16_sdwa s1, v17, v26 src0_sel:BYTE_1 src1_sel:DWORD
	v_bfrev_b32_e32 v64, 1
	s_and_saveexec_b32 s25, s1
	s_cbranch_execz .LBB354_663
; %bb.658:                              ;   in Loop: Header=BB354_525 Depth=1
	v_and_b32_sdwa v9, v34, v17 dst_sel:DWORD dst_unused:UNUSED_PAD src0_sel:DWORD src1_sel:BYTE_1
	v_mov_b32_e32 v64, 0x7f800001
	s_mov_b32 s26, exec_lo
	v_and_b32_e32 v20, 0x7f, v9
	v_cmpx_ne_u32_e32 0x7f, v20
	s_cbranch_execz .LBB354_662
; %bb.659:                              ;   in Loop: Header=BB354_525 Depth=1
	v_and_b32_e32 v9, 7, v9
	v_lshrrev_b32_e32 v19, 3, v20
	s_mov_b32 s27, exec_lo
	v_cmpx_gt_u32_e32 8, v20
; %bb.660:                              ;   in Loop: Header=BB354_525 Depth=1
	v_ffbh_u32_e32 v0, v9
	v_min_u32_e32 v0, 32, v0
	v_subrev_nc_u32_e32 v19, 28, v0
	v_lshlrev_b64 v[63:64], v19, v[9:10]
	v_sub_nc_u32_e32 v19, 29, v0
	v_and_b32_e32 v9, 7, v63
; %bb.661:                              ;   in Loop: Header=BB354_525 Depth=1
	s_or_b32 exec_lo, exec_lo, s27
	v_lshlrev_b32_e32 v0, 16, v17
	v_lshlrev_b32_e32 v9, 20, v9
	v_lshl_add_u32 v19, v19, 23, 0x3c000000
	v_and_b32_e32 v0, 0x80000000, v0
	v_or3_b32 v64, v9, v0, v19
.LBB354_662:                            ;   in Loop: Header=BB354_525 Depth=1
	s_or_b32 exec_lo, exec_lo, s26
.LBB354_663:                            ;   in Loop: Header=BB354_525 Depth=1
	s_or_b32 exec_lo, exec_lo, s25
.LBB354_664:                            ;   in Loop: Header=BB354_525 Depth=1
	s_or_b32 exec_lo, exec_lo, s24
	v_and_b32_sdwa v9, v17, v39 dst_sel:DWORD dst_unused:UNUSED_PAD src0_sel:WORD_1 src1_sel:DWORD
	v_mov_b32_e32 v66, 0
	v_mov_b32_e32 v63, 0
	s_mov_b32 s24, exec_lo
	v_cmpx_ne_u16_e32 0, v9
	s_cbranch_execz .LBB354_672
; %bb.665:                              ;   in Loop: Header=BB354_525 Depth=1
	v_bfrev_b32_e32 v63, 1
	s_mov_b32 s25, exec_lo
	v_cmpx_ne_u16_e32 0x80, v9
	s_cbranch_execz .LBB354_671
; %bb.666:                              ;   in Loop: Header=BB354_525 Depth=1
	v_bfe_u32 v20, v17, 16, 7
	v_mov_b32_e32 v63, 0x7f800001
	s_mov_b32 s26, exec_lo
	v_cmpx_ne_u32_e32 0x7f, v20
	s_cbranch_execz .LBB354_670
; %bb.667:                              ;   in Loop: Header=BB354_525 Depth=1
	v_and_b32_sdwa v9, v17, v40 dst_sel:DWORD dst_unused:UNUSED_PAD src0_sel:WORD_1 src1_sel:DWORD
	v_lshrrev_b32_e32 v19, 3, v20
	s_mov_b32 s27, exec_lo
	v_cmpx_gt_u32_e32 8, v20
; %bb.668:                              ;   in Loop: Header=BB354_525 Depth=1
	v_ffbh_u32_e32 v0, v9
	v_min_u32_e32 v0, 32, v0
	v_subrev_nc_u32_e32 v19, 28, v0
	v_lshlrev_b64 v[67:68], v19, v[9:10]
	v_sub_nc_u32_e32 v19, 29, v0
	v_and_b32_e32 v9, 7, v67
; %bb.669:                              ;   in Loop: Header=BB354_525 Depth=1
	s_or_b32 exec_lo, exec_lo, s27
	v_lshlrev_b32_sdwa v0, v41, v17 dst_sel:DWORD dst_unused:UNUSED_PAD src0_sel:DWORD src1_sel:WORD_1
	v_lshlrev_b32_e32 v9, 20, v9
	v_lshl_add_u32 v19, v19, 23, 0x3c000000
	v_and_b32_e32 v0, 0x80000000, v0
	v_or3_b32 v63, v9, v0, v19
.LBB354_670:                            ;   in Loop: Header=BB354_525 Depth=1
	s_or_b32 exec_lo, exec_lo, s26
.LBB354_671:                            ;   in Loop: Header=BB354_525 Depth=1
	s_or_b32 exec_lo, exec_lo, s25
.LBB354_672:                            ;   in Loop: Header=BB354_525 Depth=1
	s_or_b32 exec_lo, exec_lo, s24
	s_mov_b32 s24, exec_lo
	v_cmpx_lt_u32_e32 0xffffff, v17
	s_cbranch_execz .LBB354_680
; %bb.673:                              ;   in Loop: Header=BB354_525 Depth=1
	v_cmp_ne_u32_sdwa s1, v17, v26 src0_sel:BYTE_3 src1_sel:DWORD
	v_bfrev_b32_e32 v66, 1
	s_and_saveexec_b32 s25, s1
	s_cbranch_execz .LBB354_679
; %bb.674:                              ;   in Loop: Header=BB354_525 Depth=1
	v_bfe_u32 v20, v17, 24, 7
	v_mov_b32_e32 v66, 0x7f800001
	s_mov_b32 s26, exec_lo
	v_cmpx_ne_u32_e32 0x7f, v20
	s_cbranch_execz .LBB354_678
; %bb.675:                              ;   in Loop: Header=BB354_525 Depth=1
	v_and_b32_sdwa v9, v17, v40 dst_sel:DWORD dst_unused:UNUSED_PAD src0_sel:BYTE_3 src1_sel:DWORD
	v_lshrrev_b32_e32 v19, 3, v20
	s_mov_b32 s27, exec_lo
	v_cmpx_gt_u32_e32 8, v20
; %bb.676:                              ;   in Loop: Header=BB354_525 Depth=1
	v_ffbh_u32_e32 v0, v9
	v_min_u32_e32 v0, 32, v0
	v_subrev_nc_u32_e32 v19, 28, v0
	v_lshlrev_b64 v[66:67], v19, v[9:10]
	v_sub_nc_u32_e32 v19, 29, v0
	v_and_b32_e32 v9, 7, v66
; %bb.677:                              ;   in Loop: Header=BB354_525 Depth=1
	s_or_b32 exec_lo, exec_lo, s27
	v_lshlrev_b32_sdwa v0, v41, v17 dst_sel:DWORD dst_unused:UNUSED_PAD src0_sel:DWORD src1_sel:BYTE_3
	v_lshlrev_b32_e32 v9, 20, v9
	v_lshl_add_u32 v19, v19, 23, 0x3c000000
	v_and_b32_e32 v0, 0x80000000, v0
	v_or3_b32 v66, v9, v0, v19
.LBB354_678:                            ;   in Loop: Header=BB354_525 Depth=1
	s_or_b32 exec_lo, exec_lo, s26
.LBB354_679:                            ;   in Loop: Header=BB354_525 Depth=1
	s_or_b32 exec_lo, exec_lo, s25
.LBB354_680:                            ;   in Loop: Header=BB354_525 Depth=1
	s_or_b32 exec_lo, exec_lo, s24
	v_mov_b32_e32 v9, v18
	v_cmp_ne_u16_sdwa s1, v18, v10 src0_sel:BYTE_0 src1_sel:DWORD
	v_mov_b32_e32 v19, 0
	v_mov_b32_e32 v67, 0
	s_and_saveexec_b32 s24, s1
	s_cbranch_execz .LBB354_686
; %bb.681:                              ;   in Loop: Header=BB354_525 Depth=1
	v_cmp_ne_u16_sdwa s1, v18, v26 src0_sel:BYTE_0 src1_sel:DWORD
	v_bfrev_b32_e32 v67, 1
	s_and_saveexec_b32 s25, s1
	s_cbranch_execz .LBB354_685
; %bb.682:                              ;   in Loop: Header=BB354_525 Depth=1
	v_and_b32_e32 v20, 0x7f, v18
	v_mov_b32_e32 v67, 0x7f800001
	s_mov_b32 s26, exec_lo
	v_cmpx_ne_u32_e32 0x7f, v20
	s_cbranch_execz .LBB354_684
; %bb.683:                              ;   in Loop: Header=BB354_525 Depth=1
	v_and_b32_e32 v0, 7, v18
	v_cmp_gt_u32_e64 s1, 8, v20
	v_lshrrev_b32_e32 v35, 3, v20
	v_ffbh_u32_e32 v0, v0
	v_min_u32_e32 v0, 32, v0
	v_subrev_nc_u32_e32 v36, 28, v0
	v_sub_nc_u32_e32 v0, 29, v0
	v_cndmask_b32_e64 v20, 0, v36, s1
	v_cndmask_b32_e64 v0, v35, v0, s1
	v_lshlrev_b64 v[67:68], v20, v[9:10]
	v_lshlrev_b32_e32 v20, 24, v9
	v_lshl_add_u32 v0, v0, 23, 0x3c000000
	v_and_b32_e32 v20, 0x80000000, v20
	v_lshlrev_b32_e32 v35, 20, v67
	v_and_b32_e32 v35, 0x700000, v35
	v_or3_b32 v67, v35, v20, v0
.LBB354_684:                            ;   in Loop: Header=BB354_525 Depth=1
	s_or_b32 exec_lo, exec_lo, s26
.LBB354_685:                            ;   in Loop: Header=BB354_525 Depth=1
	s_or_b32 exec_lo, exec_lo, s25
.LBB354_686:                            ;   in Loop: Header=BB354_525 Depth=1
	s_or_b32 exec_lo, exec_lo, s24
	v_cmp_ne_u16_sdwa s1, v9, v10 src0_sel:BYTE_1 src1_sel:DWORD
	s_and_saveexec_b32 s24, s1
	s_cbranch_execz .LBB354_694
; %bb.687:                              ;   in Loop: Header=BB354_525 Depth=1
	v_cmp_ne_u16_sdwa s1, v9, v26 src0_sel:BYTE_1 src1_sel:DWORD
	v_bfrev_b32_e32 v19, 1
	s_and_saveexec_b32 s25, s1
	s_cbranch_execz .LBB354_693
; %bb.688:                              ;   in Loop: Header=BB354_525 Depth=1
	v_and_b32_sdwa v20, v34, v9 dst_sel:DWORD dst_unused:UNUSED_PAD src0_sel:DWORD src1_sel:BYTE_1
	v_mov_b32_e32 v19, 0x7f800001
	s_mov_b32 s26, exec_lo
	v_and_b32_e32 v69, 0x7f, v20
	v_cmpx_ne_u32_e32 0x7f, v69
	s_cbranch_execz .LBB354_692
; %bb.689:                              ;   in Loop: Header=BB354_525 Depth=1
	v_and_b32_e32 v19, 7, v20
	v_mov_b32_e32 v20, v10
	v_lshrrev_b32_e32 v68, 3, v69
	s_mov_b32 s27, exec_lo
	v_cmpx_gt_u32_e32 8, v69
; %bb.690:                              ;   in Loop: Header=BB354_525 Depth=1
	v_ffbh_u32_e32 v0, v19
	v_min_u32_e32 v0, 32, v0
	v_subrev_nc_u32_e32 v35, 28, v0
	v_sub_nc_u32_e32 v68, 29, v0
	v_lshlrev_b64 v[19:20], v35, v[19:20]
	v_and_b32_e32 v19, 7, v19
; %bb.691:                              ;   in Loop: Header=BB354_525 Depth=1
	s_or_b32 exec_lo, exec_lo, s27
	v_lshlrev_b32_e32 v0, 16, v9
	v_lshlrev_b32_e32 v9, 20, v19
	v_lshl_add_u32 v19, v68, 23, 0x3c000000
	v_and_b32_e32 v0, 0x80000000, v0
	v_or3_b32 v19, v9, v0, v19
.LBB354_692:                            ;   in Loop: Header=BB354_525 Depth=1
	s_or_b32 exec_lo, exec_lo, s26
.LBB354_693:                            ;   in Loop: Header=BB354_525 Depth=1
	s_or_b32 exec_lo, exec_lo, s25
.LBB354_694:                            ;   in Loop: Header=BB354_525 Depth=1
	s_or_b32 exec_lo, exec_lo, s24
	v_and_b32_sdwa v9, v18, v39 dst_sel:DWORD dst_unused:UNUSED_PAD src0_sel:WORD_1 src1_sel:DWORD
	v_mov_b32_e32 v20, 0
	v_mov_b32_e32 v68, 0
	s_mov_b32 s24, exec_lo
	v_cmpx_ne_u16_e32 0, v9
	s_cbranch_execz .LBB354_702
; %bb.695:                              ;   in Loop: Header=BB354_525 Depth=1
	v_bfrev_b32_e32 v68, 1
	s_mov_b32 s25, exec_lo
	v_cmpx_ne_u16_e32 0x80, v9
	s_cbranch_execz .LBB354_701
; %bb.696:                              ;   in Loop: Header=BB354_525 Depth=1
	v_bfe_u32 v69, v18, 16, 7
	v_mov_b32_e32 v68, 0x7f800001
	s_mov_b32 s26, exec_lo
	v_cmpx_ne_u32_e32 0x7f, v69
	s_cbranch_execz .LBB354_700
; %bb.697:                              ;   in Loop: Header=BB354_525 Depth=1
	v_and_b32_sdwa v9, v18, v40 dst_sel:DWORD dst_unused:UNUSED_PAD src0_sel:WORD_1 src1_sel:DWORD
	v_lshrrev_b32_e32 v68, 3, v69
	s_mov_b32 s27, exec_lo
	v_cmpx_gt_u32_e32 8, v69
; %bb.698:                              ;   in Loop: Header=BB354_525 Depth=1
	v_ffbh_u32_e32 v0, v9
	v_min_u32_e32 v0, 32, v0
	v_subrev_nc_u32_e32 v35, 28, v0
	v_sub_nc_u32_e32 v68, 29, v0
	v_lshlrev_b64 v[69:70], v35, v[9:10]
	v_and_b32_e32 v9, 7, v69
; %bb.699:                              ;   in Loop: Header=BB354_525 Depth=1
	s_or_b32 exec_lo, exec_lo, s27
	v_lshlrev_b32_sdwa v0, v41, v18 dst_sel:DWORD dst_unused:UNUSED_PAD src0_sel:DWORD src1_sel:WORD_1
	v_lshlrev_b32_e32 v9, 20, v9
	v_lshl_add_u32 v35, v68, 23, 0x3c000000
	v_and_b32_e32 v0, 0x80000000, v0
	v_or3_b32 v68, v9, v0, v35
.LBB354_700:                            ;   in Loop: Header=BB354_525 Depth=1
	s_or_b32 exec_lo, exec_lo, s26
.LBB354_701:                            ;   in Loop: Header=BB354_525 Depth=1
	s_or_b32 exec_lo, exec_lo, s25
.LBB354_702:                            ;   in Loop: Header=BB354_525 Depth=1
	s_or_b32 exec_lo, exec_lo, s24
	s_mov_b32 s24, exec_lo
	v_cmpx_lt_u64_e64 s[6:7], v[17:18]
	s_cbranch_execz .LBB354_710
; %bb.703:                              ;   in Loop: Header=BB354_525 Depth=1
	v_cmp_ne_u32_sdwa s1, v18, v26 src0_sel:BYTE_3 src1_sel:DWORD
	v_bfrev_b32_e32 v20, 1
	s_and_saveexec_b32 s25, s1
	s_cbranch_execz .LBB354_709
; %bb.704:                              ;   in Loop: Header=BB354_525 Depth=1
	v_bfe_u32 v69, v18, 24, 7
	v_mov_b32_e32 v20, 0x7f800001
	s_mov_b32 s26, exec_lo
	v_cmpx_ne_u32_e32 0x7f, v69
	s_cbranch_execz .LBB354_708
; %bb.705:                              ;   in Loop: Header=BB354_525 Depth=1
	v_and_b32_sdwa v9, v18, v40 dst_sel:DWORD dst_unused:UNUSED_PAD src0_sel:BYTE_3 src1_sel:DWORD
	v_lshrrev_b32_e32 v17, 3, v69
	s_mov_b32 s27, exec_lo
	v_cmpx_gt_u32_e32 8, v69
; %bb.706:                              ;   in Loop: Header=BB354_525 Depth=1
	v_ffbh_u32_e32 v0, v9
	v_min_u32_e32 v0, 32, v0
	v_subrev_nc_u32_e32 v17, 28, v0
	v_lshlrev_b64 v[69:70], v17, v[9:10]
	v_sub_nc_u32_e32 v17, 29, v0
	v_and_b32_e32 v9, 7, v69
; %bb.707:                              ;   in Loop: Header=BB354_525 Depth=1
	s_or_b32 exec_lo, exec_lo, s27
	v_lshlrev_b32_sdwa v0, v41, v18 dst_sel:DWORD dst_unused:UNUSED_PAD src0_sel:DWORD src1_sel:BYTE_3
	v_lshlrev_b32_e32 v9, 20, v9
	v_lshl_add_u32 v17, v17, 23, 0x3c000000
	v_and_b32_e32 v0, 0x80000000, v0
	v_or3_b32 v20, v9, v0, v17
.LBB354_708:                            ;   in Loop: Header=BB354_525 Depth=1
	s_or_b32 exec_lo, exec_lo, s26
.LBB354_709:                            ;   in Loop: Header=BB354_525 Depth=1
	s_or_b32 exec_lo, exec_lo, s25
.LBB354_710:                            ;   in Loop: Header=BB354_525 Depth=1
	s_or_b32 exec_lo, exec_lo, s24
	v_mul_f32_e32 v0, s22, v19
	v_mul_f32_e32 v9, s22, v67
	;; [unrolled: 1-line block ×5, first 2 shown]
	v_bfe_u32 v19, v0, 16, 1
	v_or_b32_e32 v35, 0x400000, v0
	v_bfe_u32 v36, v9, 16, 1
	v_cmp_u_f32_e64 s1, v0, v0
	v_or_b32_e32 v37, 0x400000, v9
	v_add3_u32 v19, v19, v0, 0x7fff
	v_bfe_u32 v63, v17, 16, 1
	v_add3_u32 v36, v36, v9, 0x7fff
	v_or_b32_e32 v66, 0x400000, v17
	v_bfe_u32 v67, v18, 16, 1
	v_cndmask_b32_e64 v0, v19, v35, s1
	v_cmp_u_f32_e64 s1, v9, v9
	v_add3_u32 v63, v63, v17, 0x7fff
	v_or_b32_e32 v35, 0x400000, v18
	v_add3_u32 v19, v67, v18, 0x7fff
	v_or_b32_e32 v67, 0x400000, v20
	v_cndmask_b32_e64 v9, v36, v37, s1
	v_cmp_u_f32_e64 s1, v17, v17
	v_cndmask_b32_e64 v17, v63, v66, s1
	v_lshrrev_b32_e32 v63, 16, v0
	v_mul_f32_e32 v0, s22, v64
	v_lshrrev_b32_e32 v64, 16, v9
	v_cmp_u_f32_e64 s1, v18, v18
	v_mul_f32_e32 v18, s22, v65
	v_lshrrev_b32_e32 v66, 16, v17
	v_bfe_u32 v9, v0, 16, 1
	v_cndmask_b32_e64 v17, v19, v35, s1
	v_mul_f32_e32 v19, s22, v68
	v_or_b32_e32 v35, 0x400000, v0
	v_add3_u32 v9, v9, v0, 0x7fff
	v_bfe_u32 v36, v18, 16, 1
	v_cmp_u_f32_e64 s1, v0, v0
	v_bfe_u32 v37, v19, 16, 1
	v_or_b32_e32 v65, 0x400000, v19
	v_lshrrev_b32_e32 v68, 16, v17
	v_cndmask_b32_e64 v0, v9, v35, s1
	v_add3_u32 v35, v36, v18, 0x7fff
	v_or_b32_e32 v36, 0x400000, v18
	v_cmp_u_f32_e64 s1, v18, v18
	v_bfe_u32 v9, v20, 16, 1
	v_add3_u32 v37, v37, v19, 0x7fff
	v_lshrrev_b32_e32 v70, 16, v0
	v_cndmask_b32_e64 v18, v35, v36, s1
	v_cmp_u_f32_e64 s1, v19, v19
	v_add3_u32 v9, v9, v20, 0x7fff
	v_lshrrev_b32_e32 v69, 16, v18
	v_cndmask_b32_e64 v19, v37, v65, s1
	v_cmp_u_f32_e64 s1, v20, v20
	v_lshrrev_b32_e32 v65, 16, v19
	v_cndmask_b32_e64 v9, v9, v67, s1
	v_lshrrev_b32_e32 v67, 16, v9
	s_and_saveexec_b32 s24, s0
	s_cbranch_execz .LBB354_712
; %bb.711:                              ;   in Loop: Header=BB354_525 Depth=1
	v_add_nc_u32_e32 v0, 1, v54
	v_cmp_gt_i32_e64 s1, s31, v54
	v_add_nc_u32_e32 v9, 2, v54
	v_add_nc_u32_e32 v17, 3, v54
	v_cndmask_b32_e64 v69, 0, v69, s1
	v_cmp_gt_i32_e64 s1, s31, v0
	v_add_nc_u32_e32 v0, 4, v54
	v_cndmask_b32_e64 v70, 0, v70, s1
	v_cmp_gt_i32_e64 s1, s31, v9
	v_add_nc_u32_e32 v9, 5, v54
	v_cndmask_b32_e64 v68, 0, v68, s1
	v_cmp_gt_i32_e64 s1, s31, v17
	v_add_nc_u32_e32 v17, 6, v54
	v_cndmask_b32_e64 v66, 0, v66, s1
	v_cmp_gt_i32_e64 s1, s31, v0
	v_add_nc_u32_e32 v0, 7, v54
	v_cndmask_b32_e64 v64, 0, v64, s1
	v_cmp_gt_i32_e64 s1, s31, v9
	v_cndmask_b32_e64 v63, 0, v63, s1
	v_cmp_gt_i32_e64 s1, s31, v17
	v_cndmask_b32_e64 v65, 0, v65, s1
	v_cmp_gt_i32_e64 s1, s31, v0
	v_cndmask_b32_e64 v67, 0, v67, s1
.LBB354_712:                            ;   in Loop: Header=BB354_525 Depth=1
	s_or_b32 exec_lo, exec_lo, s24
	global_load_dwordx2 v[17:18], v[15:16], off offset:768
	v_mov_b32_e32 v72, 0
	v_mov_b32_e32 v73, 0
	s_waitcnt vmcnt(0)
	v_cmp_ne_u16_sdwa s1, v17, v10 src0_sel:BYTE_0 src1_sel:DWORD
	s_and_saveexec_b32 s24, s1
	s_cbranch_execz .LBB354_718
; %bb.713:                              ;   in Loop: Header=BB354_525 Depth=1
	v_cmp_ne_u16_sdwa s1, v17, v26 src0_sel:BYTE_0 src1_sel:DWORD
	v_bfrev_b32_e32 v73, 1
	s_and_saveexec_b32 s25, s1
	s_cbranch_execz .LBB354_717
; %bb.714:                              ;   in Loop: Header=BB354_525 Depth=1
	v_and_b32_e32 v9, 0x7f, v17
	v_mov_b32_e32 v73, 0x7f800001
	s_mov_b32 s26, exec_lo
	v_cmpx_ne_u32_e32 0x7f, v9
	s_cbranch_execz .LBB354_716
; %bb.715:                              ;   in Loop: Header=BB354_525 Depth=1
	v_and_b32_e32 v0, 7, v17
	v_cmp_gt_u32_e64 s1, 8, v9
	v_lshrrev_b32_e32 v19, 3, v9
	v_ffbh_u32_e32 v0, v0
	v_min_u32_e32 v0, 32, v0
	v_subrev_nc_u32_e32 v20, 28, v0
	v_sub_nc_u32_e32 v0, 29, v0
	v_cndmask_b32_e64 v9, 0, v20, s1
	v_cndmask_b32_e64 v0, v19, v0, s1
	v_lshlrev_b64 v[19:20], v9, v[17:18]
	v_lshlrev_b32_e32 v9, 24, v17
	v_lshl_add_u32 v0, v0, 23, 0x3c000000
	v_and_b32_e32 v9, 0x80000000, v9
	v_lshlrev_b32_e32 v19, 20, v19
	v_and_b32_e32 v19, 0x700000, v19
	v_or3_b32 v73, v19, v9, v0
.LBB354_716:                            ;   in Loop: Header=BB354_525 Depth=1
	s_or_b32 exec_lo, exec_lo, s26
.LBB354_717:                            ;   in Loop: Header=BB354_525 Depth=1
	s_or_b32 exec_lo, exec_lo, s25
.LBB354_718:                            ;   in Loop: Header=BB354_525 Depth=1
	s_or_b32 exec_lo, exec_lo, s24
	v_cmp_ne_u16_sdwa s1, v17, v10 src0_sel:BYTE_1 src1_sel:DWORD
	s_and_saveexec_b32 s24, s1
	s_cbranch_execz .LBB354_726
; %bb.719:                              ;   in Loop: Header=BB354_525 Depth=1
	v_cmp_ne_u16_sdwa s1, v17, v26 src0_sel:BYTE_1 src1_sel:DWORD
	v_bfrev_b32_e32 v72, 1
	s_and_saveexec_b32 s25, s1
	s_cbranch_execz .LBB354_725
; %bb.720:                              ;   in Loop: Header=BB354_525 Depth=1
	v_and_b32_sdwa v9, v34, v17 dst_sel:DWORD dst_unused:UNUSED_PAD src0_sel:DWORD src1_sel:BYTE_1
	v_mov_b32_e32 v72, 0x7f800001
	s_mov_b32 s26, exec_lo
	v_and_b32_e32 v20, 0x7f, v9
	v_cmpx_ne_u32_e32 0x7f, v20
	s_cbranch_execz .LBB354_724
; %bb.721:                              ;   in Loop: Header=BB354_525 Depth=1
	v_and_b32_e32 v9, 7, v9
	v_lshrrev_b32_e32 v19, 3, v20
	s_mov_b32 s27, exec_lo
	v_cmpx_gt_u32_e32 8, v20
; %bb.722:                              ;   in Loop: Header=BB354_525 Depth=1
	v_ffbh_u32_e32 v0, v9
	v_min_u32_e32 v0, 32, v0
	v_subrev_nc_u32_e32 v19, 28, v0
	v_lshlrev_b64 v[71:72], v19, v[9:10]
	v_sub_nc_u32_e32 v19, 29, v0
	v_and_b32_e32 v9, 7, v71
; %bb.723:                              ;   in Loop: Header=BB354_525 Depth=1
	s_or_b32 exec_lo, exec_lo, s27
	v_lshlrev_b32_e32 v0, 16, v17
	v_lshlrev_b32_e32 v9, 20, v9
	v_lshl_add_u32 v19, v19, 23, 0x3c000000
	v_and_b32_e32 v0, 0x80000000, v0
	v_or3_b32 v72, v9, v0, v19
.LBB354_724:                            ;   in Loop: Header=BB354_525 Depth=1
	s_or_b32 exec_lo, exec_lo, s26
.LBB354_725:                            ;   in Loop: Header=BB354_525 Depth=1
	s_or_b32 exec_lo, exec_lo, s25
.LBB354_726:                            ;   in Loop: Header=BB354_525 Depth=1
	s_or_b32 exec_lo, exec_lo, s24
	v_and_b32_sdwa v9, v17, v39 dst_sel:DWORD dst_unused:UNUSED_PAD src0_sel:WORD_1 src1_sel:DWORD
	v_mov_b32_e32 v74, 0
	v_mov_b32_e32 v71, 0
	s_mov_b32 s24, exec_lo
	v_cmpx_ne_u16_e32 0, v9
	s_cbranch_execz .LBB354_734
; %bb.727:                              ;   in Loop: Header=BB354_525 Depth=1
	v_bfrev_b32_e32 v71, 1
	s_mov_b32 s25, exec_lo
	v_cmpx_ne_u16_e32 0x80, v9
	s_cbranch_execz .LBB354_733
; %bb.728:                              ;   in Loop: Header=BB354_525 Depth=1
	v_bfe_u32 v20, v17, 16, 7
	v_mov_b32_e32 v71, 0x7f800001
	s_mov_b32 s26, exec_lo
	v_cmpx_ne_u32_e32 0x7f, v20
	s_cbranch_execz .LBB354_732
; %bb.729:                              ;   in Loop: Header=BB354_525 Depth=1
	v_and_b32_sdwa v9, v17, v40 dst_sel:DWORD dst_unused:UNUSED_PAD src0_sel:WORD_1 src1_sel:DWORD
	v_lshrrev_b32_e32 v19, 3, v20
	s_mov_b32 s27, exec_lo
	v_cmpx_gt_u32_e32 8, v20
; %bb.730:                              ;   in Loop: Header=BB354_525 Depth=1
	v_ffbh_u32_e32 v0, v9
	v_min_u32_e32 v0, 32, v0
	v_subrev_nc_u32_e32 v19, 28, v0
	v_lshlrev_b64 v[75:76], v19, v[9:10]
	v_sub_nc_u32_e32 v19, 29, v0
	v_and_b32_e32 v9, 7, v75
; %bb.731:                              ;   in Loop: Header=BB354_525 Depth=1
	s_or_b32 exec_lo, exec_lo, s27
	v_lshlrev_b32_sdwa v0, v41, v17 dst_sel:DWORD dst_unused:UNUSED_PAD src0_sel:DWORD src1_sel:WORD_1
	v_lshlrev_b32_e32 v9, 20, v9
	v_lshl_add_u32 v19, v19, 23, 0x3c000000
	v_and_b32_e32 v0, 0x80000000, v0
	v_or3_b32 v71, v9, v0, v19
.LBB354_732:                            ;   in Loop: Header=BB354_525 Depth=1
	s_or_b32 exec_lo, exec_lo, s26
.LBB354_733:                            ;   in Loop: Header=BB354_525 Depth=1
	s_or_b32 exec_lo, exec_lo, s25
.LBB354_734:                            ;   in Loop: Header=BB354_525 Depth=1
	s_or_b32 exec_lo, exec_lo, s24
	s_mov_b32 s24, exec_lo
	v_cmpx_lt_u32_e32 0xffffff, v17
	s_cbranch_execz .LBB354_742
; %bb.735:                              ;   in Loop: Header=BB354_525 Depth=1
	v_cmp_ne_u32_sdwa s1, v17, v26 src0_sel:BYTE_3 src1_sel:DWORD
	v_bfrev_b32_e32 v74, 1
	s_and_saveexec_b32 s25, s1
	s_cbranch_execz .LBB354_741
; %bb.736:                              ;   in Loop: Header=BB354_525 Depth=1
	v_bfe_u32 v20, v17, 24, 7
	v_mov_b32_e32 v74, 0x7f800001
	s_mov_b32 s26, exec_lo
	v_cmpx_ne_u32_e32 0x7f, v20
	s_cbranch_execz .LBB354_740
; %bb.737:                              ;   in Loop: Header=BB354_525 Depth=1
	v_and_b32_sdwa v9, v17, v40 dst_sel:DWORD dst_unused:UNUSED_PAD src0_sel:BYTE_3 src1_sel:DWORD
	v_lshrrev_b32_e32 v19, 3, v20
	s_mov_b32 s27, exec_lo
	v_cmpx_gt_u32_e32 8, v20
; %bb.738:                              ;   in Loop: Header=BB354_525 Depth=1
	v_ffbh_u32_e32 v0, v9
	v_min_u32_e32 v0, 32, v0
	v_subrev_nc_u32_e32 v19, 28, v0
	v_lshlrev_b64 v[74:75], v19, v[9:10]
	v_sub_nc_u32_e32 v19, 29, v0
	v_and_b32_e32 v9, 7, v74
; %bb.739:                              ;   in Loop: Header=BB354_525 Depth=1
	s_or_b32 exec_lo, exec_lo, s27
	v_lshlrev_b32_sdwa v0, v41, v17 dst_sel:DWORD dst_unused:UNUSED_PAD src0_sel:DWORD src1_sel:BYTE_3
	v_lshlrev_b32_e32 v9, 20, v9
	v_lshl_add_u32 v19, v19, 23, 0x3c000000
	v_and_b32_e32 v0, 0x80000000, v0
	v_or3_b32 v74, v9, v0, v19
.LBB354_740:                            ;   in Loop: Header=BB354_525 Depth=1
	s_or_b32 exec_lo, exec_lo, s26
.LBB354_741:                            ;   in Loop: Header=BB354_525 Depth=1
	s_or_b32 exec_lo, exec_lo, s25
.LBB354_742:                            ;   in Loop: Header=BB354_525 Depth=1
	s_or_b32 exec_lo, exec_lo, s24
	v_mov_b32_e32 v9, v18
	v_cmp_ne_u16_sdwa s1, v18, v10 src0_sel:BYTE_0 src1_sel:DWORD
	v_mov_b32_e32 v19, 0
	v_mov_b32_e32 v75, 0
	s_and_saveexec_b32 s24, s1
	s_cbranch_execz .LBB354_748
; %bb.743:                              ;   in Loop: Header=BB354_525 Depth=1
	v_cmp_ne_u16_sdwa s1, v18, v26 src0_sel:BYTE_0 src1_sel:DWORD
	v_bfrev_b32_e32 v75, 1
	s_and_saveexec_b32 s25, s1
	s_cbranch_execz .LBB354_747
; %bb.744:                              ;   in Loop: Header=BB354_525 Depth=1
	v_and_b32_e32 v20, 0x7f, v18
	v_mov_b32_e32 v75, 0x7f800001
	s_mov_b32 s26, exec_lo
	v_cmpx_ne_u32_e32 0x7f, v20
	s_cbranch_execz .LBB354_746
; %bb.745:                              ;   in Loop: Header=BB354_525 Depth=1
	v_and_b32_e32 v0, 7, v18
	v_cmp_gt_u32_e64 s1, 8, v20
	v_lshrrev_b32_e32 v35, 3, v20
	v_ffbh_u32_e32 v0, v0
	v_min_u32_e32 v0, 32, v0
	v_subrev_nc_u32_e32 v36, 28, v0
	v_sub_nc_u32_e32 v0, 29, v0
	v_cndmask_b32_e64 v20, 0, v36, s1
	v_cndmask_b32_e64 v0, v35, v0, s1
	v_lshlrev_b64 v[75:76], v20, v[9:10]
	v_lshlrev_b32_e32 v20, 24, v9
	v_lshl_add_u32 v0, v0, 23, 0x3c000000
	v_and_b32_e32 v20, 0x80000000, v20
	v_lshlrev_b32_e32 v35, 20, v75
	v_and_b32_e32 v35, 0x700000, v35
	v_or3_b32 v75, v35, v20, v0
.LBB354_746:                            ;   in Loop: Header=BB354_525 Depth=1
	s_or_b32 exec_lo, exec_lo, s26
.LBB354_747:                            ;   in Loop: Header=BB354_525 Depth=1
	s_or_b32 exec_lo, exec_lo, s25
.LBB354_748:                            ;   in Loop: Header=BB354_525 Depth=1
	s_or_b32 exec_lo, exec_lo, s24
	v_cmp_ne_u16_sdwa s1, v9, v10 src0_sel:BYTE_1 src1_sel:DWORD
	s_and_saveexec_b32 s24, s1
	s_cbranch_execz .LBB354_756
; %bb.749:                              ;   in Loop: Header=BB354_525 Depth=1
	v_cmp_ne_u16_sdwa s1, v9, v26 src0_sel:BYTE_1 src1_sel:DWORD
	v_bfrev_b32_e32 v19, 1
	s_and_saveexec_b32 s25, s1
	s_cbranch_execz .LBB354_755
; %bb.750:                              ;   in Loop: Header=BB354_525 Depth=1
	v_and_b32_sdwa v20, v34, v9 dst_sel:DWORD dst_unused:UNUSED_PAD src0_sel:DWORD src1_sel:BYTE_1
	v_mov_b32_e32 v19, 0x7f800001
	s_mov_b32 s26, exec_lo
	v_and_b32_e32 v77, 0x7f, v20
	v_cmpx_ne_u32_e32 0x7f, v77
	s_cbranch_execz .LBB354_754
; %bb.751:                              ;   in Loop: Header=BB354_525 Depth=1
	v_and_b32_e32 v19, 7, v20
	v_mov_b32_e32 v20, v10
	v_lshrrev_b32_e32 v76, 3, v77
	s_mov_b32 s27, exec_lo
	v_cmpx_gt_u32_e32 8, v77
; %bb.752:                              ;   in Loop: Header=BB354_525 Depth=1
	v_ffbh_u32_e32 v0, v19
	v_min_u32_e32 v0, 32, v0
	v_subrev_nc_u32_e32 v35, 28, v0
	v_sub_nc_u32_e32 v76, 29, v0
	v_lshlrev_b64 v[19:20], v35, v[19:20]
	v_and_b32_e32 v19, 7, v19
; %bb.753:                              ;   in Loop: Header=BB354_525 Depth=1
	s_or_b32 exec_lo, exec_lo, s27
	v_lshlrev_b32_e32 v0, 16, v9
	v_lshlrev_b32_e32 v9, 20, v19
	v_lshl_add_u32 v19, v76, 23, 0x3c000000
	v_and_b32_e32 v0, 0x80000000, v0
	v_or3_b32 v19, v9, v0, v19
.LBB354_754:                            ;   in Loop: Header=BB354_525 Depth=1
	s_or_b32 exec_lo, exec_lo, s26
.LBB354_755:                            ;   in Loop: Header=BB354_525 Depth=1
	s_or_b32 exec_lo, exec_lo, s25
.LBB354_756:                            ;   in Loop: Header=BB354_525 Depth=1
	s_or_b32 exec_lo, exec_lo, s24
	v_and_b32_sdwa v9, v18, v39 dst_sel:DWORD dst_unused:UNUSED_PAD src0_sel:WORD_1 src1_sel:DWORD
	v_mov_b32_e32 v20, 0
	v_mov_b32_e32 v76, 0
	s_mov_b32 s24, exec_lo
	v_cmpx_ne_u16_e32 0, v9
	s_cbranch_execz .LBB354_764
; %bb.757:                              ;   in Loop: Header=BB354_525 Depth=1
	v_bfrev_b32_e32 v76, 1
	s_mov_b32 s25, exec_lo
	v_cmpx_ne_u16_e32 0x80, v9
	s_cbranch_execz .LBB354_763
; %bb.758:                              ;   in Loop: Header=BB354_525 Depth=1
	v_bfe_u32 v77, v18, 16, 7
	v_mov_b32_e32 v76, 0x7f800001
	s_mov_b32 s26, exec_lo
	v_cmpx_ne_u32_e32 0x7f, v77
	s_cbranch_execz .LBB354_762
; %bb.759:                              ;   in Loop: Header=BB354_525 Depth=1
	v_and_b32_sdwa v9, v18, v40 dst_sel:DWORD dst_unused:UNUSED_PAD src0_sel:WORD_1 src1_sel:DWORD
	v_lshrrev_b32_e32 v76, 3, v77
	s_mov_b32 s27, exec_lo
	v_cmpx_gt_u32_e32 8, v77
; %bb.760:                              ;   in Loop: Header=BB354_525 Depth=1
	v_ffbh_u32_e32 v0, v9
	v_min_u32_e32 v0, 32, v0
	v_subrev_nc_u32_e32 v35, 28, v0
	v_sub_nc_u32_e32 v76, 29, v0
	v_lshlrev_b64 v[77:78], v35, v[9:10]
	v_and_b32_e32 v9, 7, v77
; %bb.761:                              ;   in Loop: Header=BB354_525 Depth=1
	s_or_b32 exec_lo, exec_lo, s27
	v_lshlrev_b32_sdwa v0, v41, v18 dst_sel:DWORD dst_unused:UNUSED_PAD src0_sel:DWORD src1_sel:WORD_1
	v_lshlrev_b32_e32 v9, 20, v9
	v_lshl_add_u32 v35, v76, 23, 0x3c000000
	v_and_b32_e32 v0, 0x80000000, v0
	v_or3_b32 v76, v9, v0, v35
.LBB354_762:                            ;   in Loop: Header=BB354_525 Depth=1
	s_or_b32 exec_lo, exec_lo, s26
.LBB354_763:                            ;   in Loop: Header=BB354_525 Depth=1
	s_or_b32 exec_lo, exec_lo, s25
.LBB354_764:                            ;   in Loop: Header=BB354_525 Depth=1
	s_or_b32 exec_lo, exec_lo, s24
	s_mov_b32 s24, exec_lo
	v_cmpx_lt_u64_e64 s[6:7], v[17:18]
	s_cbranch_execz .LBB354_772
; %bb.765:                              ;   in Loop: Header=BB354_525 Depth=1
	v_cmp_ne_u32_sdwa s1, v18, v26 src0_sel:BYTE_3 src1_sel:DWORD
	v_bfrev_b32_e32 v20, 1
	s_and_saveexec_b32 s25, s1
	s_cbranch_execz .LBB354_771
; %bb.766:                              ;   in Loop: Header=BB354_525 Depth=1
	v_bfe_u32 v77, v18, 24, 7
	v_mov_b32_e32 v20, 0x7f800001
	s_mov_b32 s26, exec_lo
	v_cmpx_ne_u32_e32 0x7f, v77
	s_cbranch_execz .LBB354_770
; %bb.767:                              ;   in Loop: Header=BB354_525 Depth=1
	v_and_b32_sdwa v9, v18, v40 dst_sel:DWORD dst_unused:UNUSED_PAD src0_sel:BYTE_3 src1_sel:DWORD
	v_lshrrev_b32_e32 v17, 3, v77
	s_mov_b32 s27, exec_lo
	v_cmpx_gt_u32_e32 8, v77
; %bb.768:                              ;   in Loop: Header=BB354_525 Depth=1
	v_ffbh_u32_e32 v0, v9
	v_min_u32_e32 v0, 32, v0
	v_subrev_nc_u32_e32 v17, 28, v0
	v_lshlrev_b64 v[77:78], v17, v[9:10]
	v_sub_nc_u32_e32 v17, 29, v0
	v_and_b32_e32 v9, 7, v77
; %bb.769:                              ;   in Loop: Header=BB354_525 Depth=1
	s_or_b32 exec_lo, exec_lo, s27
	v_lshlrev_b32_sdwa v0, v41, v18 dst_sel:DWORD dst_unused:UNUSED_PAD src0_sel:DWORD src1_sel:BYTE_3
	v_lshlrev_b32_e32 v9, 20, v9
	v_lshl_add_u32 v17, v17, 23, 0x3c000000
	v_and_b32_e32 v0, 0x80000000, v0
	v_or3_b32 v20, v9, v0, v17
.LBB354_770:                            ;   in Loop: Header=BB354_525 Depth=1
	s_or_b32 exec_lo, exec_lo, s26
.LBB354_771:                            ;   in Loop: Header=BB354_525 Depth=1
	s_or_b32 exec_lo, exec_lo, s25
.LBB354_772:                            ;   in Loop: Header=BB354_525 Depth=1
	s_or_b32 exec_lo, exec_lo, s24
	v_mul_f32_e32 v0, s22, v19
	v_mul_f32_e32 v9, s22, v75
	;; [unrolled: 1-line block ×5, first 2 shown]
	v_bfe_u32 v19, v0, 16, 1
	v_or_b32_e32 v35, 0x400000, v0
	v_bfe_u32 v36, v9, 16, 1
	v_cmp_u_f32_e64 s1, v0, v0
	v_or_b32_e32 v37, 0x400000, v9
	v_add3_u32 v19, v19, v0, 0x7fff
	v_bfe_u32 v71, v17, 16, 1
	v_add3_u32 v36, v36, v9, 0x7fff
	v_or_b32_e32 v74, 0x400000, v17
	v_bfe_u32 v75, v18, 16, 1
	v_cndmask_b32_e64 v0, v19, v35, s1
	v_cmp_u_f32_e64 s1, v9, v9
	v_add3_u32 v71, v71, v17, 0x7fff
	v_or_b32_e32 v35, 0x400000, v18
	v_add3_u32 v19, v75, v18, 0x7fff
	v_or_b32_e32 v75, 0x400000, v20
	v_cndmask_b32_e64 v9, v36, v37, s1
	v_cmp_u_f32_e64 s1, v17, v17
	v_cndmask_b32_e64 v17, v71, v74, s1
	v_lshrrev_b32_e32 v71, 16, v0
	v_mul_f32_e32 v0, s22, v72
	v_lshrrev_b32_e32 v72, 16, v9
	v_cmp_u_f32_e64 s1, v18, v18
	v_mul_f32_e32 v18, s22, v73
	v_lshrrev_b32_e32 v74, 16, v17
	v_bfe_u32 v9, v0, 16, 1
	v_cndmask_b32_e64 v17, v19, v35, s1
	v_mul_f32_e32 v19, s22, v76
	v_or_b32_e32 v35, 0x400000, v0
	v_add3_u32 v9, v9, v0, 0x7fff
	v_bfe_u32 v36, v18, 16, 1
	v_cmp_u_f32_e64 s1, v0, v0
	v_bfe_u32 v37, v19, 16, 1
	v_or_b32_e32 v73, 0x400000, v19
	v_lshrrev_b32_e32 v76, 16, v17
	v_cndmask_b32_e64 v0, v9, v35, s1
	v_add3_u32 v35, v36, v18, 0x7fff
	v_or_b32_e32 v36, 0x400000, v18
	v_cmp_u_f32_e64 s1, v18, v18
	v_bfe_u32 v9, v20, 16, 1
	v_add3_u32 v37, v37, v19, 0x7fff
	v_lshrrev_b32_e32 v78, 16, v0
	v_cndmask_b32_e64 v18, v35, v36, s1
	v_cmp_u_f32_e64 s1, v19, v19
	v_add3_u32 v9, v9, v20, 0x7fff
	v_lshrrev_b32_e32 v77, 16, v18
	v_cndmask_b32_e64 v19, v37, v73, s1
	v_cmp_u_f32_e64 s1, v20, v20
	v_lshrrev_b32_e32 v73, 16, v19
	v_cndmask_b32_e64 v9, v9, v75, s1
	v_lshrrev_b32_e32 v75, 16, v9
	s_and_saveexec_b32 s24, s0
	s_cbranch_execz .LBB354_774
; %bb.773:                              ;   in Loop: Header=BB354_525 Depth=1
	v_add_nc_u32_e32 v0, 1, v54
	v_cmp_gt_i32_e64 s1, s31, v54
	v_add_nc_u32_e32 v9, 2, v54
	v_add_nc_u32_e32 v17, 3, v54
	v_cndmask_b32_e64 v77, 0, v77, s1
	v_cmp_gt_i32_e64 s1, s31, v0
	v_add_nc_u32_e32 v0, 4, v54
	v_cndmask_b32_e64 v78, 0, v78, s1
	v_cmp_gt_i32_e64 s1, s31, v9
	;; [unrolled: 3-line block ×5, first 2 shown]
	v_cndmask_b32_e64 v71, 0, v71, s1
	v_cmp_gt_i32_e64 s1, s31, v17
	v_cndmask_b32_e64 v73, 0, v73, s1
	v_cmp_gt_i32_e64 s1, s31, v0
	v_cndmask_b32_e64 v75, 0, v75, s1
.LBB354_774:                            ;   in Loop: Header=BB354_525 Depth=1
	s_or_b32 exec_lo, exec_lo, s24
	global_load_dwordx2 v[17:18], v[15:16], off offset:1024
	v_mov_b32_e32 v80, 0
	v_mov_b32_e32 v81, 0
	s_waitcnt vmcnt(0)
	v_cmp_ne_u16_sdwa s1, v17, v10 src0_sel:BYTE_0 src1_sel:DWORD
	s_and_saveexec_b32 s24, s1
	s_cbranch_execz .LBB354_780
; %bb.775:                              ;   in Loop: Header=BB354_525 Depth=1
	v_cmp_ne_u16_sdwa s1, v17, v26 src0_sel:BYTE_0 src1_sel:DWORD
	v_bfrev_b32_e32 v81, 1
	s_and_saveexec_b32 s25, s1
	s_cbranch_execz .LBB354_779
; %bb.776:                              ;   in Loop: Header=BB354_525 Depth=1
	v_and_b32_e32 v9, 0x7f, v17
	v_mov_b32_e32 v81, 0x7f800001
	s_mov_b32 s26, exec_lo
	v_cmpx_ne_u32_e32 0x7f, v9
	s_cbranch_execz .LBB354_778
; %bb.777:                              ;   in Loop: Header=BB354_525 Depth=1
	v_and_b32_e32 v0, 7, v17
	v_cmp_gt_u32_e64 s1, 8, v9
	v_lshrrev_b32_e32 v19, 3, v9
	v_ffbh_u32_e32 v0, v0
	v_min_u32_e32 v0, 32, v0
	v_subrev_nc_u32_e32 v20, 28, v0
	v_sub_nc_u32_e32 v0, 29, v0
	v_cndmask_b32_e64 v9, 0, v20, s1
	v_cndmask_b32_e64 v0, v19, v0, s1
	v_lshlrev_b64 v[19:20], v9, v[17:18]
	v_lshlrev_b32_e32 v9, 24, v17
	v_lshl_add_u32 v0, v0, 23, 0x3c000000
	v_and_b32_e32 v9, 0x80000000, v9
	v_lshlrev_b32_e32 v19, 20, v19
	v_and_b32_e32 v19, 0x700000, v19
	v_or3_b32 v81, v19, v9, v0
.LBB354_778:                            ;   in Loop: Header=BB354_525 Depth=1
	s_or_b32 exec_lo, exec_lo, s26
.LBB354_779:                            ;   in Loop: Header=BB354_525 Depth=1
	s_or_b32 exec_lo, exec_lo, s25
.LBB354_780:                            ;   in Loop: Header=BB354_525 Depth=1
	s_or_b32 exec_lo, exec_lo, s24
	v_cmp_ne_u16_sdwa s1, v17, v10 src0_sel:BYTE_1 src1_sel:DWORD
	s_and_saveexec_b32 s24, s1
	s_cbranch_execz .LBB354_788
; %bb.781:                              ;   in Loop: Header=BB354_525 Depth=1
	v_cmp_ne_u16_sdwa s1, v17, v26 src0_sel:BYTE_1 src1_sel:DWORD
	v_bfrev_b32_e32 v80, 1
	s_and_saveexec_b32 s25, s1
	s_cbranch_execz .LBB354_787
; %bb.782:                              ;   in Loop: Header=BB354_525 Depth=1
	v_and_b32_sdwa v9, v34, v17 dst_sel:DWORD dst_unused:UNUSED_PAD src0_sel:DWORD src1_sel:BYTE_1
	v_mov_b32_e32 v80, 0x7f800001
	s_mov_b32 s26, exec_lo
	v_and_b32_e32 v20, 0x7f, v9
	v_cmpx_ne_u32_e32 0x7f, v20
	s_cbranch_execz .LBB354_786
; %bb.783:                              ;   in Loop: Header=BB354_525 Depth=1
	v_and_b32_e32 v9, 7, v9
	v_lshrrev_b32_e32 v19, 3, v20
	s_mov_b32 s27, exec_lo
	v_cmpx_gt_u32_e32 8, v20
; %bb.784:                              ;   in Loop: Header=BB354_525 Depth=1
	v_ffbh_u32_e32 v0, v9
	v_min_u32_e32 v0, 32, v0
	v_subrev_nc_u32_e32 v19, 28, v0
	v_lshlrev_b64 v[79:80], v19, v[9:10]
	v_sub_nc_u32_e32 v19, 29, v0
	v_and_b32_e32 v9, 7, v79
; %bb.785:                              ;   in Loop: Header=BB354_525 Depth=1
	s_or_b32 exec_lo, exec_lo, s27
	v_lshlrev_b32_e32 v0, 16, v17
	v_lshlrev_b32_e32 v9, 20, v9
	v_lshl_add_u32 v19, v19, 23, 0x3c000000
	v_and_b32_e32 v0, 0x80000000, v0
	v_or3_b32 v80, v9, v0, v19
.LBB354_786:                            ;   in Loop: Header=BB354_525 Depth=1
	s_or_b32 exec_lo, exec_lo, s26
.LBB354_787:                            ;   in Loop: Header=BB354_525 Depth=1
	s_or_b32 exec_lo, exec_lo, s25
.LBB354_788:                            ;   in Loop: Header=BB354_525 Depth=1
	s_or_b32 exec_lo, exec_lo, s24
	v_and_b32_sdwa v9, v17, v39 dst_sel:DWORD dst_unused:UNUSED_PAD src0_sel:WORD_1 src1_sel:DWORD
	v_mov_b32_e32 v82, 0
	v_mov_b32_e32 v79, 0
	s_mov_b32 s24, exec_lo
	v_cmpx_ne_u16_e32 0, v9
	s_cbranch_execz .LBB354_796
; %bb.789:                              ;   in Loop: Header=BB354_525 Depth=1
	v_bfrev_b32_e32 v79, 1
	s_mov_b32 s25, exec_lo
	v_cmpx_ne_u16_e32 0x80, v9
	s_cbranch_execz .LBB354_795
; %bb.790:                              ;   in Loop: Header=BB354_525 Depth=1
	v_bfe_u32 v20, v17, 16, 7
	v_mov_b32_e32 v79, 0x7f800001
	s_mov_b32 s26, exec_lo
	v_cmpx_ne_u32_e32 0x7f, v20
	s_cbranch_execz .LBB354_794
; %bb.791:                              ;   in Loop: Header=BB354_525 Depth=1
	v_and_b32_sdwa v9, v17, v40 dst_sel:DWORD dst_unused:UNUSED_PAD src0_sel:WORD_1 src1_sel:DWORD
	v_lshrrev_b32_e32 v19, 3, v20
	s_mov_b32 s27, exec_lo
	v_cmpx_gt_u32_e32 8, v20
; %bb.792:                              ;   in Loop: Header=BB354_525 Depth=1
	v_ffbh_u32_e32 v0, v9
	v_min_u32_e32 v0, 32, v0
	v_subrev_nc_u32_e32 v19, 28, v0
	v_lshlrev_b64 v[83:84], v19, v[9:10]
	v_sub_nc_u32_e32 v19, 29, v0
	v_and_b32_e32 v9, 7, v83
; %bb.793:                              ;   in Loop: Header=BB354_525 Depth=1
	s_or_b32 exec_lo, exec_lo, s27
	v_lshlrev_b32_sdwa v0, v41, v17 dst_sel:DWORD dst_unused:UNUSED_PAD src0_sel:DWORD src1_sel:WORD_1
	v_lshlrev_b32_e32 v9, 20, v9
	v_lshl_add_u32 v19, v19, 23, 0x3c000000
	v_and_b32_e32 v0, 0x80000000, v0
	v_or3_b32 v79, v9, v0, v19
.LBB354_794:                            ;   in Loop: Header=BB354_525 Depth=1
	s_or_b32 exec_lo, exec_lo, s26
.LBB354_795:                            ;   in Loop: Header=BB354_525 Depth=1
	s_or_b32 exec_lo, exec_lo, s25
.LBB354_796:                            ;   in Loop: Header=BB354_525 Depth=1
	s_or_b32 exec_lo, exec_lo, s24
	s_mov_b32 s24, exec_lo
	v_cmpx_lt_u32_e32 0xffffff, v17
	s_cbranch_execz .LBB354_804
; %bb.797:                              ;   in Loop: Header=BB354_525 Depth=1
	v_cmp_ne_u32_sdwa s1, v17, v26 src0_sel:BYTE_3 src1_sel:DWORD
	v_bfrev_b32_e32 v82, 1
	s_and_saveexec_b32 s25, s1
	s_cbranch_execz .LBB354_803
; %bb.798:                              ;   in Loop: Header=BB354_525 Depth=1
	v_bfe_u32 v20, v17, 24, 7
	v_mov_b32_e32 v82, 0x7f800001
	s_mov_b32 s26, exec_lo
	v_cmpx_ne_u32_e32 0x7f, v20
	s_cbranch_execz .LBB354_802
; %bb.799:                              ;   in Loop: Header=BB354_525 Depth=1
	v_and_b32_sdwa v9, v17, v40 dst_sel:DWORD dst_unused:UNUSED_PAD src0_sel:BYTE_3 src1_sel:DWORD
	v_lshrrev_b32_e32 v19, 3, v20
	s_mov_b32 s27, exec_lo
	v_cmpx_gt_u32_e32 8, v20
; %bb.800:                              ;   in Loop: Header=BB354_525 Depth=1
	v_ffbh_u32_e32 v0, v9
	v_min_u32_e32 v0, 32, v0
	v_subrev_nc_u32_e32 v19, 28, v0
	v_lshlrev_b64 v[82:83], v19, v[9:10]
	v_sub_nc_u32_e32 v19, 29, v0
	v_and_b32_e32 v9, 7, v82
; %bb.801:                              ;   in Loop: Header=BB354_525 Depth=1
	s_or_b32 exec_lo, exec_lo, s27
	v_lshlrev_b32_sdwa v0, v41, v17 dst_sel:DWORD dst_unused:UNUSED_PAD src0_sel:DWORD src1_sel:BYTE_3
	v_lshlrev_b32_e32 v9, 20, v9
	v_lshl_add_u32 v19, v19, 23, 0x3c000000
	v_and_b32_e32 v0, 0x80000000, v0
	v_or3_b32 v82, v9, v0, v19
.LBB354_802:                            ;   in Loop: Header=BB354_525 Depth=1
	s_or_b32 exec_lo, exec_lo, s26
.LBB354_803:                            ;   in Loop: Header=BB354_525 Depth=1
	s_or_b32 exec_lo, exec_lo, s25
.LBB354_804:                            ;   in Loop: Header=BB354_525 Depth=1
	s_or_b32 exec_lo, exec_lo, s24
	v_mov_b32_e32 v9, v18
	v_cmp_ne_u16_sdwa s1, v18, v10 src0_sel:BYTE_0 src1_sel:DWORD
	v_mov_b32_e32 v19, 0
	v_mov_b32_e32 v83, 0
	s_and_saveexec_b32 s24, s1
	s_cbranch_execz .LBB354_810
; %bb.805:                              ;   in Loop: Header=BB354_525 Depth=1
	v_cmp_ne_u16_sdwa s1, v18, v26 src0_sel:BYTE_0 src1_sel:DWORD
	v_bfrev_b32_e32 v83, 1
	s_and_saveexec_b32 s25, s1
	s_cbranch_execz .LBB354_809
; %bb.806:                              ;   in Loop: Header=BB354_525 Depth=1
	v_and_b32_e32 v20, 0x7f, v18
	v_mov_b32_e32 v83, 0x7f800001
	s_mov_b32 s26, exec_lo
	v_cmpx_ne_u32_e32 0x7f, v20
	s_cbranch_execz .LBB354_808
; %bb.807:                              ;   in Loop: Header=BB354_525 Depth=1
	v_and_b32_e32 v0, 7, v18
	v_cmp_gt_u32_e64 s1, 8, v20
	v_lshrrev_b32_e32 v35, 3, v20
	v_ffbh_u32_e32 v0, v0
	v_min_u32_e32 v0, 32, v0
	v_subrev_nc_u32_e32 v36, 28, v0
	v_sub_nc_u32_e32 v0, 29, v0
	v_cndmask_b32_e64 v20, 0, v36, s1
	v_cndmask_b32_e64 v0, v35, v0, s1
	v_lshlrev_b64 v[83:84], v20, v[9:10]
	v_lshlrev_b32_e32 v20, 24, v9
	v_lshl_add_u32 v0, v0, 23, 0x3c000000
	v_and_b32_e32 v20, 0x80000000, v20
	v_lshlrev_b32_e32 v35, 20, v83
	v_and_b32_e32 v35, 0x700000, v35
	v_or3_b32 v83, v35, v20, v0
.LBB354_808:                            ;   in Loop: Header=BB354_525 Depth=1
	s_or_b32 exec_lo, exec_lo, s26
.LBB354_809:                            ;   in Loop: Header=BB354_525 Depth=1
	s_or_b32 exec_lo, exec_lo, s25
.LBB354_810:                            ;   in Loop: Header=BB354_525 Depth=1
	s_or_b32 exec_lo, exec_lo, s24
	v_cmp_ne_u16_sdwa s1, v9, v10 src0_sel:BYTE_1 src1_sel:DWORD
	s_and_saveexec_b32 s24, s1
	s_cbranch_execz .LBB354_818
; %bb.811:                              ;   in Loop: Header=BB354_525 Depth=1
	v_cmp_ne_u16_sdwa s1, v9, v26 src0_sel:BYTE_1 src1_sel:DWORD
	v_bfrev_b32_e32 v19, 1
	s_and_saveexec_b32 s25, s1
	s_cbranch_execz .LBB354_817
; %bb.812:                              ;   in Loop: Header=BB354_525 Depth=1
	v_and_b32_sdwa v20, v34, v9 dst_sel:DWORD dst_unused:UNUSED_PAD src0_sel:DWORD src1_sel:BYTE_1
	v_mov_b32_e32 v19, 0x7f800001
	s_mov_b32 s26, exec_lo
	v_and_b32_e32 v85, 0x7f, v20
	v_cmpx_ne_u32_e32 0x7f, v85
	s_cbranch_execz .LBB354_816
; %bb.813:                              ;   in Loop: Header=BB354_525 Depth=1
	v_and_b32_e32 v19, 7, v20
	v_mov_b32_e32 v20, v10
	v_lshrrev_b32_e32 v84, 3, v85
	s_mov_b32 s27, exec_lo
	v_cmpx_gt_u32_e32 8, v85
; %bb.814:                              ;   in Loop: Header=BB354_525 Depth=1
	v_ffbh_u32_e32 v0, v19
	v_min_u32_e32 v0, 32, v0
	v_subrev_nc_u32_e32 v35, 28, v0
	v_sub_nc_u32_e32 v84, 29, v0
	v_lshlrev_b64 v[19:20], v35, v[19:20]
	v_and_b32_e32 v19, 7, v19
; %bb.815:                              ;   in Loop: Header=BB354_525 Depth=1
	s_or_b32 exec_lo, exec_lo, s27
	v_lshlrev_b32_e32 v0, 16, v9
	v_lshlrev_b32_e32 v9, 20, v19
	v_lshl_add_u32 v19, v84, 23, 0x3c000000
	v_and_b32_e32 v0, 0x80000000, v0
	v_or3_b32 v19, v9, v0, v19
.LBB354_816:                            ;   in Loop: Header=BB354_525 Depth=1
	s_or_b32 exec_lo, exec_lo, s26
.LBB354_817:                            ;   in Loop: Header=BB354_525 Depth=1
	s_or_b32 exec_lo, exec_lo, s25
.LBB354_818:                            ;   in Loop: Header=BB354_525 Depth=1
	s_or_b32 exec_lo, exec_lo, s24
	v_and_b32_sdwa v9, v18, v39 dst_sel:DWORD dst_unused:UNUSED_PAD src0_sel:WORD_1 src1_sel:DWORD
	v_mov_b32_e32 v20, 0
	v_mov_b32_e32 v84, 0
	s_mov_b32 s24, exec_lo
	v_cmpx_ne_u16_e32 0, v9
	s_cbranch_execz .LBB354_826
; %bb.819:                              ;   in Loop: Header=BB354_525 Depth=1
	v_bfrev_b32_e32 v84, 1
	s_mov_b32 s25, exec_lo
	v_cmpx_ne_u16_e32 0x80, v9
	s_cbranch_execz .LBB354_825
; %bb.820:                              ;   in Loop: Header=BB354_525 Depth=1
	v_bfe_u32 v85, v18, 16, 7
	v_mov_b32_e32 v84, 0x7f800001
	s_mov_b32 s26, exec_lo
	v_cmpx_ne_u32_e32 0x7f, v85
	s_cbranch_execz .LBB354_824
; %bb.821:                              ;   in Loop: Header=BB354_525 Depth=1
	v_and_b32_sdwa v9, v18, v40 dst_sel:DWORD dst_unused:UNUSED_PAD src0_sel:WORD_1 src1_sel:DWORD
	v_lshrrev_b32_e32 v84, 3, v85
	s_mov_b32 s27, exec_lo
	v_cmpx_gt_u32_e32 8, v85
; %bb.822:                              ;   in Loop: Header=BB354_525 Depth=1
	v_ffbh_u32_e32 v0, v9
	v_min_u32_e32 v0, 32, v0
	v_subrev_nc_u32_e32 v35, 28, v0
	v_sub_nc_u32_e32 v84, 29, v0
	v_lshlrev_b64 v[85:86], v35, v[9:10]
	v_and_b32_e32 v9, 7, v85
; %bb.823:                              ;   in Loop: Header=BB354_525 Depth=1
	s_or_b32 exec_lo, exec_lo, s27
	v_lshlrev_b32_sdwa v0, v41, v18 dst_sel:DWORD dst_unused:UNUSED_PAD src0_sel:DWORD src1_sel:WORD_1
	v_lshlrev_b32_e32 v9, 20, v9
	v_lshl_add_u32 v35, v84, 23, 0x3c000000
	v_and_b32_e32 v0, 0x80000000, v0
	v_or3_b32 v84, v9, v0, v35
.LBB354_824:                            ;   in Loop: Header=BB354_525 Depth=1
	s_or_b32 exec_lo, exec_lo, s26
.LBB354_825:                            ;   in Loop: Header=BB354_525 Depth=1
	s_or_b32 exec_lo, exec_lo, s25
.LBB354_826:                            ;   in Loop: Header=BB354_525 Depth=1
	s_or_b32 exec_lo, exec_lo, s24
	s_mov_b32 s24, exec_lo
	v_cmpx_lt_u64_e64 s[6:7], v[17:18]
	s_cbranch_execz .LBB354_834
; %bb.827:                              ;   in Loop: Header=BB354_525 Depth=1
	v_cmp_ne_u32_sdwa s1, v18, v26 src0_sel:BYTE_3 src1_sel:DWORD
	v_bfrev_b32_e32 v20, 1
	s_and_saveexec_b32 s25, s1
	s_cbranch_execz .LBB354_833
; %bb.828:                              ;   in Loop: Header=BB354_525 Depth=1
	v_bfe_u32 v85, v18, 24, 7
	v_mov_b32_e32 v20, 0x7f800001
	s_mov_b32 s26, exec_lo
	v_cmpx_ne_u32_e32 0x7f, v85
	s_cbranch_execz .LBB354_832
; %bb.829:                              ;   in Loop: Header=BB354_525 Depth=1
	v_and_b32_sdwa v9, v18, v40 dst_sel:DWORD dst_unused:UNUSED_PAD src0_sel:BYTE_3 src1_sel:DWORD
	v_lshrrev_b32_e32 v17, 3, v85
	s_mov_b32 s27, exec_lo
	v_cmpx_gt_u32_e32 8, v85
; %bb.830:                              ;   in Loop: Header=BB354_525 Depth=1
	v_ffbh_u32_e32 v0, v9
	v_min_u32_e32 v0, 32, v0
	v_subrev_nc_u32_e32 v17, 28, v0
	v_lshlrev_b64 v[85:86], v17, v[9:10]
	v_sub_nc_u32_e32 v17, 29, v0
	v_and_b32_e32 v9, 7, v85
; %bb.831:                              ;   in Loop: Header=BB354_525 Depth=1
	s_or_b32 exec_lo, exec_lo, s27
	v_lshlrev_b32_sdwa v0, v41, v18 dst_sel:DWORD dst_unused:UNUSED_PAD src0_sel:DWORD src1_sel:BYTE_3
	v_lshlrev_b32_e32 v9, 20, v9
	v_lshl_add_u32 v17, v17, 23, 0x3c000000
	v_and_b32_e32 v0, 0x80000000, v0
	v_or3_b32 v20, v9, v0, v17
.LBB354_832:                            ;   in Loop: Header=BB354_525 Depth=1
	s_or_b32 exec_lo, exec_lo, s26
.LBB354_833:                            ;   in Loop: Header=BB354_525 Depth=1
	s_or_b32 exec_lo, exec_lo, s25
.LBB354_834:                            ;   in Loop: Header=BB354_525 Depth=1
	s_or_b32 exec_lo, exec_lo, s24
	v_mul_f32_e32 v0, s22, v19
	v_mul_f32_e32 v9, s22, v83
	;; [unrolled: 1-line block ×5, first 2 shown]
	v_bfe_u32 v19, v0, 16, 1
	v_or_b32_e32 v35, 0x400000, v0
	v_bfe_u32 v36, v9, 16, 1
	v_cmp_u_f32_e64 s1, v0, v0
	v_or_b32_e32 v37, 0x400000, v9
	v_add3_u32 v19, v19, v0, 0x7fff
	v_bfe_u32 v79, v17, 16, 1
	v_add3_u32 v36, v36, v9, 0x7fff
	v_or_b32_e32 v82, 0x400000, v17
	v_bfe_u32 v83, v18, 16, 1
	v_cndmask_b32_e64 v0, v19, v35, s1
	v_cmp_u_f32_e64 s1, v9, v9
	v_add3_u32 v79, v79, v17, 0x7fff
	v_or_b32_e32 v35, 0x400000, v18
	v_add3_u32 v19, v83, v18, 0x7fff
	v_or_b32_e32 v83, 0x400000, v20
	v_cndmask_b32_e64 v9, v36, v37, s1
	v_cmp_u_f32_e64 s1, v17, v17
	v_cndmask_b32_e64 v17, v79, v82, s1
	v_lshrrev_b32_e32 v79, 16, v0
	v_mul_f32_e32 v0, s22, v80
	v_lshrrev_b32_e32 v80, 16, v9
	v_cmp_u_f32_e64 s1, v18, v18
	v_mul_f32_e32 v18, s22, v81
	v_lshrrev_b32_e32 v82, 16, v17
	v_bfe_u32 v9, v0, 16, 1
	v_cndmask_b32_e64 v17, v19, v35, s1
	v_mul_f32_e32 v19, s22, v84
	v_or_b32_e32 v35, 0x400000, v0
	v_add3_u32 v9, v9, v0, 0x7fff
	v_bfe_u32 v36, v18, 16, 1
	v_cmp_u_f32_e64 s1, v0, v0
	v_bfe_u32 v37, v19, 16, 1
	v_or_b32_e32 v81, 0x400000, v19
	v_lshrrev_b32_e32 v84, 16, v17
	v_cndmask_b32_e64 v0, v9, v35, s1
	v_add3_u32 v35, v36, v18, 0x7fff
	v_or_b32_e32 v36, 0x400000, v18
	v_cmp_u_f32_e64 s1, v18, v18
	v_bfe_u32 v9, v20, 16, 1
	v_add3_u32 v37, v37, v19, 0x7fff
	v_lshrrev_b32_e32 v86, 16, v0
	v_cndmask_b32_e64 v18, v35, v36, s1
	v_cmp_u_f32_e64 s1, v19, v19
	v_add3_u32 v9, v9, v20, 0x7fff
	v_lshrrev_b32_e32 v85, 16, v18
	v_cndmask_b32_e64 v19, v37, v81, s1
	v_cmp_u_f32_e64 s1, v20, v20
	v_lshrrev_b32_e32 v81, 16, v19
	v_cndmask_b32_e64 v9, v9, v83, s1
	v_lshrrev_b32_e32 v83, 16, v9
	s_and_saveexec_b32 s24, s0
	s_cbranch_execz .LBB354_836
; %bb.835:                              ;   in Loop: Header=BB354_525 Depth=1
	v_add_nc_u32_e32 v0, 1, v54
	v_cmp_gt_i32_e64 s1, s31, v54
	v_add_nc_u32_e32 v9, 2, v54
	v_add_nc_u32_e32 v17, 3, v54
	v_cndmask_b32_e64 v85, 0, v85, s1
	v_cmp_gt_i32_e64 s1, s31, v0
	v_add_nc_u32_e32 v0, 4, v54
	v_cndmask_b32_e64 v86, 0, v86, s1
	v_cmp_gt_i32_e64 s1, s31, v9
	;; [unrolled: 3-line block ×5, first 2 shown]
	v_cndmask_b32_e64 v79, 0, v79, s1
	v_cmp_gt_i32_e64 s1, s31, v17
	v_cndmask_b32_e64 v81, 0, v81, s1
	v_cmp_gt_i32_e64 s1, s31, v0
	v_cndmask_b32_e64 v83, 0, v83, s1
.LBB354_836:                            ;   in Loop: Header=BB354_525 Depth=1
	s_or_b32 exec_lo, exec_lo, s24
	global_load_dwordx2 v[17:18], v[15:16], off offset:1280
	v_mov_b32_e32 v88, 0
	v_mov_b32_e32 v87, 0
	s_waitcnt vmcnt(0)
	v_cmp_ne_u16_sdwa s1, v17, v10 src0_sel:BYTE_0 src1_sel:DWORD
	s_and_saveexec_b32 s24, s1
	s_cbranch_execz .LBB354_842
; %bb.837:                              ;   in Loop: Header=BB354_525 Depth=1
	v_cmp_ne_u16_sdwa s1, v17, v26 src0_sel:BYTE_0 src1_sel:DWORD
	v_bfrev_b32_e32 v87, 1
	s_and_saveexec_b32 s25, s1
	s_cbranch_execz .LBB354_841
; %bb.838:                              ;   in Loop: Header=BB354_525 Depth=1
	v_and_b32_e32 v9, 0x7f, v17
	v_mov_b32_e32 v87, 0x7f800001
	s_mov_b32 s26, exec_lo
	v_cmpx_ne_u32_e32 0x7f, v9
	s_cbranch_execz .LBB354_840
; %bb.839:                              ;   in Loop: Header=BB354_525 Depth=1
	v_and_b32_e32 v0, 7, v17
	v_cmp_gt_u32_e64 s1, 8, v9
	v_lshrrev_b32_e32 v19, 3, v9
	v_ffbh_u32_e32 v0, v0
	v_min_u32_e32 v0, 32, v0
	v_subrev_nc_u32_e32 v20, 28, v0
	v_sub_nc_u32_e32 v0, 29, v0
	v_cndmask_b32_e64 v9, 0, v20, s1
	v_cndmask_b32_e64 v0, v19, v0, s1
	v_lshlrev_b64 v[19:20], v9, v[17:18]
	v_lshlrev_b32_e32 v9, 24, v17
	v_lshl_add_u32 v0, v0, 23, 0x3c000000
	v_and_b32_e32 v9, 0x80000000, v9
	v_lshlrev_b32_e32 v19, 20, v19
	v_and_b32_e32 v19, 0x700000, v19
	v_or3_b32 v87, v19, v9, v0
.LBB354_840:                            ;   in Loop: Header=BB354_525 Depth=1
	s_or_b32 exec_lo, exec_lo, s26
.LBB354_841:                            ;   in Loop: Header=BB354_525 Depth=1
	s_or_b32 exec_lo, exec_lo, s25
.LBB354_842:                            ;   in Loop: Header=BB354_525 Depth=1
	s_or_b32 exec_lo, exec_lo, s24
	v_cmp_ne_u16_sdwa s1, v17, v10 src0_sel:BYTE_1 src1_sel:DWORD
	s_and_saveexec_b32 s24, s1
	s_cbranch_execz .LBB354_850
; %bb.843:                              ;   in Loop: Header=BB354_525 Depth=1
	v_cmp_ne_u16_sdwa s1, v17, v26 src0_sel:BYTE_1 src1_sel:DWORD
	v_bfrev_b32_e32 v88, 1
	s_and_saveexec_b32 s25, s1
	s_cbranch_execz .LBB354_849
; %bb.844:                              ;   in Loop: Header=BB354_525 Depth=1
	v_and_b32_sdwa v9, v34, v17 dst_sel:DWORD dst_unused:UNUSED_PAD src0_sel:DWORD src1_sel:BYTE_1
	v_mov_b32_e32 v88, 0x7f800001
	s_mov_b32 s26, exec_lo
	v_and_b32_e32 v20, 0x7f, v9
	v_cmpx_ne_u32_e32 0x7f, v20
	s_cbranch_execz .LBB354_848
; %bb.845:                              ;   in Loop: Header=BB354_525 Depth=1
	v_and_b32_e32 v9, 7, v9
	v_lshrrev_b32_e32 v19, 3, v20
	s_mov_b32 s27, exec_lo
	v_cmpx_gt_u32_e32 8, v20
; %bb.846:                              ;   in Loop: Header=BB354_525 Depth=1
	v_ffbh_u32_e32 v0, v9
	v_min_u32_e32 v0, 32, v0
	v_subrev_nc_u32_e32 v19, 28, v0
	v_lshlrev_b64 v[88:89], v19, v[9:10]
	v_sub_nc_u32_e32 v19, 29, v0
	v_and_b32_e32 v9, 7, v88
; %bb.847:                              ;   in Loop: Header=BB354_525 Depth=1
	s_or_b32 exec_lo, exec_lo, s27
	v_lshlrev_b32_e32 v0, 16, v17
	v_lshlrev_b32_e32 v9, 20, v9
	v_lshl_add_u32 v19, v19, 23, 0x3c000000
	v_and_b32_e32 v0, 0x80000000, v0
	v_or3_b32 v88, v9, v0, v19
.LBB354_848:                            ;   in Loop: Header=BB354_525 Depth=1
	s_or_b32 exec_lo, exec_lo, s26
.LBB354_849:                            ;   in Loop: Header=BB354_525 Depth=1
	s_or_b32 exec_lo, exec_lo, s25
.LBB354_850:                            ;   in Loop: Header=BB354_525 Depth=1
	s_or_b32 exec_lo, exec_lo, s24
	v_and_b32_sdwa v9, v17, v39 dst_sel:DWORD dst_unused:UNUSED_PAD src0_sel:WORD_1 src1_sel:DWORD
	v_mov_b32_e32 v90, 0
	v_mov_b32_e32 v89, 0
	s_mov_b32 s24, exec_lo
	v_cmpx_ne_u16_e32 0, v9
	s_cbranch_execz .LBB354_858
; %bb.851:                              ;   in Loop: Header=BB354_525 Depth=1
	v_bfrev_b32_e32 v89, 1
	s_mov_b32 s25, exec_lo
	v_cmpx_ne_u16_e32 0x80, v9
	s_cbranch_execz .LBB354_857
; %bb.852:                              ;   in Loop: Header=BB354_525 Depth=1
	v_bfe_u32 v20, v17, 16, 7
	v_mov_b32_e32 v89, 0x7f800001
	s_mov_b32 s26, exec_lo
	v_cmpx_ne_u32_e32 0x7f, v20
	s_cbranch_execz .LBB354_856
; %bb.853:                              ;   in Loop: Header=BB354_525 Depth=1
	v_and_b32_sdwa v9, v17, v40 dst_sel:DWORD dst_unused:UNUSED_PAD src0_sel:WORD_1 src1_sel:DWORD
	v_lshrrev_b32_e32 v19, 3, v20
	s_mov_b32 s27, exec_lo
	v_cmpx_gt_u32_e32 8, v20
; %bb.854:                              ;   in Loop: Header=BB354_525 Depth=1
	v_ffbh_u32_e32 v0, v9
	v_min_u32_e32 v0, 32, v0
	v_subrev_nc_u32_e32 v19, 28, v0
	v_lshlrev_b64 v[91:92], v19, v[9:10]
	v_sub_nc_u32_e32 v19, 29, v0
	v_and_b32_e32 v9, 7, v91
; %bb.855:                              ;   in Loop: Header=BB354_525 Depth=1
	s_or_b32 exec_lo, exec_lo, s27
	v_lshlrev_b32_sdwa v0, v41, v17 dst_sel:DWORD dst_unused:UNUSED_PAD src0_sel:DWORD src1_sel:WORD_1
	v_lshlrev_b32_e32 v9, 20, v9
	v_lshl_add_u32 v19, v19, 23, 0x3c000000
	v_and_b32_e32 v0, 0x80000000, v0
	v_or3_b32 v89, v9, v0, v19
.LBB354_856:                            ;   in Loop: Header=BB354_525 Depth=1
	s_or_b32 exec_lo, exec_lo, s26
.LBB354_857:                            ;   in Loop: Header=BB354_525 Depth=1
	s_or_b32 exec_lo, exec_lo, s25
.LBB354_858:                            ;   in Loop: Header=BB354_525 Depth=1
	s_or_b32 exec_lo, exec_lo, s24
	s_mov_b32 s24, exec_lo
	v_cmpx_lt_u32_e32 0xffffff, v17
	s_cbranch_execz .LBB354_866
; %bb.859:                              ;   in Loop: Header=BB354_525 Depth=1
	v_cmp_ne_u32_sdwa s1, v17, v26 src0_sel:BYTE_3 src1_sel:DWORD
	v_bfrev_b32_e32 v90, 1
	s_and_saveexec_b32 s25, s1
	s_cbranch_execz .LBB354_865
; %bb.860:                              ;   in Loop: Header=BB354_525 Depth=1
	v_bfe_u32 v20, v17, 24, 7
	v_mov_b32_e32 v90, 0x7f800001
	s_mov_b32 s26, exec_lo
	v_cmpx_ne_u32_e32 0x7f, v20
	s_cbranch_execz .LBB354_864
; %bb.861:                              ;   in Loop: Header=BB354_525 Depth=1
	v_and_b32_sdwa v9, v17, v40 dst_sel:DWORD dst_unused:UNUSED_PAD src0_sel:BYTE_3 src1_sel:DWORD
	v_lshrrev_b32_e32 v19, 3, v20
	s_mov_b32 s27, exec_lo
	v_cmpx_gt_u32_e32 8, v20
; %bb.862:                              ;   in Loop: Header=BB354_525 Depth=1
	v_ffbh_u32_e32 v0, v9
	v_min_u32_e32 v0, 32, v0
	v_subrev_nc_u32_e32 v19, 28, v0
	v_lshlrev_b64 v[90:91], v19, v[9:10]
	v_sub_nc_u32_e32 v19, 29, v0
	v_and_b32_e32 v9, 7, v90
; %bb.863:                              ;   in Loop: Header=BB354_525 Depth=1
	s_or_b32 exec_lo, exec_lo, s27
	v_lshlrev_b32_sdwa v0, v41, v17 dst_sel:DWORD dst_unused:UNUSED_PAD src0_sel:DWORD src1_sel:BYTE_3
	v_lshlrev_b32_e32 v9, 20, v9
	v_lshl_add_u32 v19, v19, 23, 0x3c000000
	v_and_b32_e32 v0, 0x80000000, v0
	v_or3_b32 v90, v9, v0, v19
.LBB354_864:                            ;   in Loop: Header=BB354_525 Depth=1
	s_or_b32 exec_lo, exec_lo, s26
.LBB354_865:                            ;   in Loop: Header=BB354_525 Depth=1
	s_or_b32 exec_lo, exec_lo, s25
.LBB354_866:                            ;   in Loop: Header=BB354_525 Depth=1
	s_or_b32 exec_lo, exec_lo, s24
	v_mov_b32_e32 v9, v18
	v_cmp_ne_u16_sdwa s1, v18, v10 src0_sel:BYTE_0 src1_sel:DWORD
	v_mov_b32_e32 v19, 0
	v_mov_b32_e32 v91, 0
	s_and_saveexec_b32 s24, s1
	s_cbranch_execz .LBB354_872
; %bb.867:                              ;   in Loop: Header=BB354_525 Depth=1
	v_cmp_ne_u16_sdwa s1, v18, v26 src0_sel:BYTE_0 src1_sel:DWORD
	v_bfrev_b32_e32 v91, 1
	s_and_saveexec_b32 s25, s1
	s_cbranch_execz .LBB354_871
; %bb.868:                              ;   in Loop: Header=BB354_525 Depth=1
	v_and_b32_e32 v20, 0x7f, v18
	v_mov_b32_e32 v91, 0x7f800001
	s_mov_b32 s26, exec_lo
	v_cmpx_ne_u32_e32 0x7f, v20
	s_cbranch_execz .LBB354_870
; %bb.869:                              ;   in Loop: Header=BB354_525 Depth=1
	v_and_b32_e32 v0, 7, v18
	v_cmp_gt_u32_e64 s1, 8, v20
	v_lshrrev_b32_e32 v35, 3, v20
	v_ffbh_u32_e32 v0, v0
	v_min_u32_e32 v0, 32, v0
	v_subrev_nc_u32_e32 v36, 28, v0
	v_sub_nc_u32_e32 v0, 29, v0
	v_cndmask_b32_e64 v20, 0, v36, s1
	v_cndmask_b32_e64 v0, v35, v0, s1
	v_lshlrev_b64 v[91:92], v20, v[9:10]
	v_lshlrev_b32_e32 v20, 24, v9
	v_lshl_add_u32 v0, v0, 23, 0x3c000000
	v_and_b32_e32 v20, 0x80000000, v20
	v_lshlrev_b32_e32 v35, 20, v91
	v_and_b32_e32 v35, 0x700000, v35
	v_or3_b32 v91, v35, v20, v0
.LBB354_870:                            ;   in Loop: Header=BB354_525 Depth=1
	s_or_b32 exec_lo, exec_lo, s26
.LBB354_871:                            ;   in Loop: Header=BB354_525 Depth=1
	s_or_b32 exec_lo, exec_lo, s25
.LBB354_872:                            ;   in Loop: Header=BB354_525 Depth=1
	s_or_b32 exec_lo, exec_lo, s24
	v_cmp_ne_u16_sdwa s1, v9, v10 src0_sel:BYTE_1 src1_sel:DWORD
	s_and_saveexec_b32 s24, s1
	s_cbranch_execz .LBB354_880
; %bb.873:                              ;   in Loop: Header=BB354_525 Depth=1
	v_cmp_ne_u16_sdwa s1, v9, v26 src0_sel:BYTE_1 src1_sel:DWORD
	v_bfrev_b32_e32 v19, 1
	s_and_saveexec_b32 s25, s1
	s_cbranch_execz .LBB354_879
; %bb.874:                              ;   in Loop: Header=BB354_525 Depth=1
	v_and_b32_sdwa v20, v34, v9 dst_sel:DWORD dst_unused:UNUSED_PAD src0_sel:DWORD src1_sel:BYTE_1
	v_mov_b32_e32 v19, 0x7f800001
	s_mov_b32 s26, exec_lo
	v_and_b32_e32 v93, 0x7f, v20
	v_cmpx_ne_u32_e32 0x7f, v93
	s_cbranch_execz .LBB354_878
; %bb.875:                              ;   in Loop: Header=BB354_525 Depth=1
	v_and_b32_e32 v19, 7, v20
	v_mov_b32_e32 v20, v10
	v_lshrrev_b32_e32 v92, 3, v93
	s_mov_b32 s27, exec_lo
	v_cmpx_gt_u32_e32 8, v93
; %bb.876:                              ;   in Loop: Header=BB354_525 Depth=1
	v_ffbh_u32_e32 v0, v19
	v_min_u32_e32 v0, 32, v0
	v_subrev_nc_u32_e32 v35, 28, v0
	v_sub_nc_u32_e32 v92, 29, v0
	v_lshlrev_b64 v[19:20], v35, v[19:20]
	v_and_b32_e32 v19, 7, v19
; %bb.877:                              ;   in Loop: Header=BB354_525 Depth=1
	s_or_b32 exec_lo, exec_lo, s27
	v_lshlrev_b32_e32 v0, 16, v9
	v_lshlrev_b32_e32 v9, 20, v19
	v_lshl_add_u32 v19, v92, 23, 0x3c000000
	v_and_b32_e32 v0, 0x80000000, v0
	v_or3_b32 v19, v9, v0, v19
.LBB354_878:                            ;   in Loop: Header=BB354_525 Depth=1
	s_or_b32 exec_lo, exec_lo, s26
.LBB354_879:                            ;   in Loop: Header=BB354_525 Depth=1
	s_or_b32 exec_lo, exec_lo, s25
.LBB354_880:                            ;   in Loop: Header=BB354_525 Depth=1
	s_or_b32 exec_lo, exec_lo, s24
	v_and_b32_sdwa v9, v18, v39 dst_sel:DWORD dst_unused:UNUSED_PAD src0_sel:WORD_1 src1_sel:DWORD
	v_mov_b32_e32 v92, 0
	v_mov_b32_e32 v93, 0
	s_mov_b32 s24, exec_lo
	v_cmpx_ne_u16_e32 0, v9
	s_cbranch_execz .LBB354_888
; %bb.881:                              ;   in Loop: Header=BB354_525 Depth=1
	v_bfrev_b32_e32 v93, 1
	s_mov_b32 s25, exec_lo
	v_cmpx_ne_u16_e32 0x80, v9
	s_cbranch_execz .LBB354_887
; %bb.882:                              ;   in Loop: Header=BB354_525 Depth=1
	v_bfe_u32 v94, v18, 16, 7
	v_mov_b32_e32 v93, 0x7f800001
	s_mov_b32 s26, exec_lo
	v_cmpx_ne_u32_e32 0x7f, v94
	s_cbranch_execz .LBB354_886
; %bb.883:                              ;   in Loop: Header=BB354_525 Depth=1
	v_and_b32_sdwa v9, v18, v40 dst_sel:DWORD dst_unused:UNUSED_PAD src0_sel:WORD_1 src1_sel:DWORD
	v_lshrrev_b32_e32 v20, 3, v94
	s_mov_b32 s27, exec_lo
	v_cmpx_gt_u32_e32 8, v94
; %bb.884:                              ;   in Loop: Header=BB354_525 Depth=1
	v_ffbh_u32_e32 v0, v9
	v_min_u32_e32 v0, 32, v0
	v_subrev_nc_u32_e32 v20, 28, v0
	v_lshlrev_b64 v[93:94], v20, v[9:10]
	v_sub_nc_u32_e32 v20, 29, v0
	v_and_b32_e32 v9, 7, v93
; %bb.885:                              ;   in Loop: Header=BB354_525 Depth=1
	s_or_b32 exec_lo, exec_lo, s27
	v_lshlrev_b32_sdwa v0, v41, v18 dst_sel:DWORD dst_unused:UNUSED_PAD src0_sel:DWORD src1_sel:WORD_1
	v_lshlrev_b32_e32 v9, 20, v9
	v_lshl_add_u32 v20, v20, 23, 0x3c000000
	v_and_b32_e32 v0, 0x80000000, v0
	v_or3_b32 v93, v9, v0, v20
.LBB354_886:                            ;   in Loop: Header=BB354_525 Depth=1
	s_or_b32 exec_lo, exec_lo, s26
.LBB354_887:                            ;   in Loop: Header=BB354_525 Depth=1
	s_or_b32 exec_lo, exec_lo, s25
.LBB354_888:                            ;   in Loop: Header=BB354_525 Depth=1
	s_or_b32 exec_lo, exec_lo, s24
	s_mov_b32 s24, exec_lo
	v_cmpx_lt_u64_e64 s[6:7], v[17:18]
	s_cbranch_execz .LBB354_896
; %bb.889:                              ;   in Loop: Header=BB354_525 Depth=1
	v_cmp_ne_u32_sdwa s1, v18, v26 src0_sel:BYTE_3 src1_sel:DWORD
	v_bfrev_b32_e32 v92, 1
	s_and_saveexec_b32 s25, s1
	s_cbranch_execz .LBB354_895
; %bb.890:                              ;   in Loop: Header=BB354_525 Depth=1
	v_bfe_u32 v20, v18, 24, 7
	v_mov_b32_e32 v92, 0x7f800001
	s_mov_b32 s26, exec_lo
	v_cmpx_ne_u32_e32 0x7f, v20
	s_cbranch_execz .LBB354_894
; %bb.891:                              ;   in Loop: Header=BB354_525 Depth=1
	v_and_b32_sdwa v9, v18, v40 dst_sel:DWORD dst_unused:UNUSED_PAD src0_sel:BYTE_3 src1_sel:DWORD
	v_lshrrev_b32_e32 v17, 3, v20
	s_mov_b32 s27, exec_lo
	v_cmpx_gt_u32_e32 8, v20
; %bb.892:                              ;   in Loop: Header=BB354_525 Depth=1
	v_ffbh_u32_e32 v0, v9
	v_min_u32_e32 v0, 32, v0
	v_subrev_nc_u32_e32 v17, 28, v0
	v_lshlrev_b64 v[94:95], v17, v[9:10]
	v_sub_nc_u32_e32 v17, 29, v0
	v_and_b32_e32 v9, 7, v94
; %bb.893:                              ;   in Loop: Header=BB354_525 Depth=1
	s_or_b32 exec_lo, exec_lo, s27
	v_lshlrev_b32_sdwa v0, v41, v18 dst_sel:DWORD dst_unused:UNUSED_PAD src0_sel:DWORD src1_sel:BYTE_3
	v_lshlrev_b32_e32 v9, 20, v9
	v_lshl_add_u32 v17, v17, 23, 0x3c000000
	v_and_b32_e32 v0, 0x80000000, v0
	v_or3_b32 v92, v9, v0, v17
.LBB354_894:                            ;   in Loop: Header=BB354_525 Depth=1
	s_or_b32 exec_lo, exec_lo, s26
.LBB354_895:                            ;   in Loop: Header=BB354_525 Depth=1
	s_or_b32 exec_lo, exec_lo, s25
.LBB354_896:                            ;   in Loop: Header=BB354_525 Depth=1
	s_or_b32 exec_lo, exec_lo, s24
	v_mul_f32_e32 v0, s22, v19
	v_mul_f32_e32 v9, s22, v91
	;; [unrolled: 1-line block ×4, first 2 shown]
	v_bfe_u32 v19, v0, 16, 1
	v_or_b32_e32 v20, 0x400000, v0
	v_bfe_u32 v35, v9, 16, 1
	v_cmp_u_f32_e64 s1, v0, v0
	v_or_b32_e32 v36, 0x400000, v9
	v_add3_u32 v19, v19, v0, 0x7fff
	v_bfe_u32 v37, v17, 16, 1
	v_add3_u32 v35, v35, v9, 0x7fff
	v_or_b32_e32 v89, 0x400000, v17
	v_bfe_u32 v90, v18, 16, 1
	v_cndmask_b32_e64 v0, v19, v20, s1
	v_cmp_u_f32_e64 s1, v9, v9
	v_add3_u32 v37, v37, v17, 0x7fff
	v_lshrrev_b32_e32 v20, 16, v0
	v_cndmask_b32_e64 v9, v35, v36, s1
	v_cmp_u_f32_e64 s1, v17, v17
	v_mul_f32_e32 v0, s22, v88
	v_add3_u32 v35, v90, v18, 0x7fff
	v_or_b32_e32 v36, 0x400000, v18
	v_lshrrev_b32_e32 v19, 16, v9
	v_cndmask_b32_e64 v17, v37, v89, s1
	v_bfe_u32 v9, v0, 16, 1
	v_cmp_u_f32_e64 s1, v18, v18
	v_mul_f32_e32 v18, s22, v87
	v_mul_f32_e32 v37, s22, v92
	v_lshrrev_b32_e32 v88, 16, v17
	v_add3_u32 v9, v9, v0, 0x7fff
	v_cndmask_b32_e64 v17, v35, v36, s1
	v_mul_f32_e32 v35, s22, v93
	v_or_b32_e32 v36, 0x400000, v0
	v_bfe_u32 v87, v18, 16, 1
	v_cmp_u_f32_e64 s1, v0, v0
	v_or_b32_e32 v91, 0x400000, v37
	v_bfe_u32 v89, v35, 16, 1
	v_or_b32_e32 v90, 0x400000, v35
	v_cndmask_b32_e64 v0, v9, v36, s1
	v_add3_u32 v36, v87, v18, 0x7fff
	v_or_b32_e32 v87, 0x400000, v18
	v_cmp_u_f32_e64 s1, v18, v18
	v_bfe_u32 v9, v37, 16, 1
	v_add3_u32 v89, v89, v35, 0x7fff
	v_lshrrev_b32_e32 v92, 16, v0
	v_cndmask_b32_e64 v18, v36, v87, s1
	v_cmp_u_f32_e64 s1, v35, v35
	v_add3_u32 v9, v9, v37, 0x7fff
	v_cndmask_b32_e64 v35, v89, v90, s1
	v_cmp_u_f32_e64 s1, v37, v37
	v_lshrrev_b32_e32 v90, 16, v17
	v_lshrrev_b32_e32 v87, 16, v35
	v_cndmask_b32_e64 v9, v9, v91, s1
	v_lshrrev_b32_e32 v91, 16, v18
	v_lshrrev_b32_e32 v89, 16, v9
	s_and_saveexec_b32 s24, s0
	s_cbranch_execz .LBB354_898
; %bb.897:                              ;   in Loop: Header=BB354_525 Depth=1
	v_add_nc_u32_e32 v0, 1, v54
	v_cmp_gt_i32_e64 s1, s31, v54
	v_add_nc_u32_e32 v9, 2, v54
	v_add_nc_u32_e32 v17, 3, v54
	v_cndmask_b32_e64 v91, 0, v91, s1
	v_cmp_gt_i32_e64 s1, s31, v0
	v_add_nc_u32_e32 v0, 4, v54
	v_cndmask_b32_e64 v92, 0, v92, s1
	v_cmp_gt_i32_e64 s1, s31, v9
	;; [unrolled: 3-line block ×5, first 2 shown]
	v_cndmask_b32_e64 v20, 0, v20, s1
	v_cmp_gt_i32_e64 s1, s31, v17
	v_cndmask_b32_e64 v87, 0, v87, s1
	v_cmp_gt_i32_e64 s1, s31, v0
	v_cndmask_b32_e64 v89, 0, v89, s1
.LBB354_898:                            ;   in Loop: Header=BB354_525 Depth=1
	s_or_b32 exec_lo, exec_lo, s24
	global_load_dwordx2 v[15:16], v[15:16], off offset:1536
	v_mov_b32_e32 v93, 0
	v_mov_b32_e32 v94, 0
	s_waitcnt vmcnt(0)
	v_cmp_ne_u16_sdwa s1, v15, v10 src0_sel:BYTE_0 src1_sel:DWORD
	s_and_saveexec_b32 s24, s1
	s_cbranch_execz .LBB354_904
; %bb.899:                              ;   in Loop: Header=BB354_525 Depth=1
	v_cmp_ne_u16_sdwa s1, v15, v26 src0_sel:BYTE_0 src1_sel:DWORD
	v_bfrev_b32_e32 v94, 1
	s_and_saveexec_b32 s25, s1
	s_cbranch_execz .LBB354_903
; %bb.900:                              ;   in Loop: Header=BB354_525 Depth=1
	v_and_b32_e32 v9, 0x7f, v15
	v_mov_b32_e32 v94, 0x7f800001
	s_mov_b32 s26, exec_lo
	v_cmpx_ne_u32_e32 0x7f, v9
	s_cbranch_execz .LBB354_902
; %bb.901:                              ;   in Loop: Header=BB354_525 Depth=1
	v_and_b32_e32 v0, 7, v15
	v_cmp_gt_u32_e64 s1, 8, v9
	v_lshrrev_b32_e32 v17, 3, v9
	v_ffbh_u32_e32 v0, v0
	v_min_u32_e32 v0, 32, v0
	v_subrev_nc_u32_e32 v18, 28, v0
	v_sub_nc_u32_e32 v0, 29, v0
	v_cndmask_b32_e64 v9, 0, v18, s1
	v_cndmask_b32_e64 v0, v17, v0, s1
	v_lshlrev_b64 v[17:18], v9, v[15:16]
	v_lshlrev_b32_e32 v9, 24, v15
	v_lshl_add_u32 v0, v0, 23, 0x3c000000
	v_and_b32_e32 v9, 0x80000000, v9
	v_lshlrev_b32_e32 v17, 20, v17
	v_and_b32_e32 v17, 0x700000, v17
	v_or3_b32 v94, v17, v9, v0
.LBB354_902:                            ;   in Loop: Header=BB354_525 Depth=1
	s_or_b32 exec_lo, exec_lo, s26
.LBB354_903:                            ;   in Loop: Header=BB354_525 Depth=1
	s_or_b32 exec_lo, exec_lo, s25
.LBB354_904:                            ;   in Loop: Header=BB354_525 Depth=1
	s_or_b32 exec_lo, exec_lo, s24
	v_cmp_ne_u16_sdwa s1, v15, v10 src0_sel:BYTE_1 src1_sel:DWORD
	s_and_saveexec_b32 s24, s1
	s_cbranch_execz .LBB354_912
; %bb.905:                              ;   in Loop: Header=BB354_525 Depth=1
	v_cmp_ne_u16_sdwa s1, v15, v26 src0_sel:BYTE_1 src1_sel:DWORD
	v_bfrev_b32_e32 v93, 1
	s_and_saveexec_b32 s25, s1
	s_cbranch_execz .LBB354_911
; %bb.906:                              ;   in Loop: Header=BB354_525 Depth=1
	v_and_b32_sdwa v9, v34, v15 dst_sel:DWORD dst_unused:UNUSED_PAD src0_sel:DWORD src1_sel:BYTE_1
	v_mov_b32_e32 v93, 0x7f800001
	s_mov_b32 s26, exec_lo
	v_and_b32_e32 v18, 0x7f, v9
	v_cmpx_ne_u32_e32 0x7f, v18
	s_cbranch_execz .LBB354_910
; %bb.907:                              ;   in Loop: Header=BB354_525 Depth=1
	v_and_b32_e32 v9, 7, v9
	v_lshrrev_b32_e32 v17, 3, v18
	s_mov_b32 s27, exec_lo
	v_cmpx_gt_u32_e32 8, v18
; %bb.908:                              ;   in Loop: Header=BB354_525 Depth=1
	v_ffbh_u32_e32 v0, v9
	v_min_u32_e32 v0, 32, v0
	v_subrev_nc_u32_e32 v17, 28, v0
	v_lshlrev_b64 v[95:96], v17, v[9:10]
	v_sub_nc_u32_e32 v17, 29, v0
	v_and_b32_e32 v9, 7, v95
; %bb.909:                              ;   in Loop: Header=BB354_525 Depth=1
	s_or_b32 exec_lo, exec_lo, s27
	v_lshlrev_b32_e32 v0, 16, v15
	v_lshlrev_b32_e32 v9, 20, v9
	v_lshl_add_u32 v17, v17, 23, 0x3c000000
	v_and_b32_e32 v0, 0x80000000, v0
	v_or3_b32 v93, v9, v0, v17
.LBB354_910:                            ;   in Loop: Header=BB354_525 Depth=1
	s_or_b32 exec_lo, exec_lo, s26
.LBB354_911:                            ;   in Loop: Header=BB354_525 Depth=1
	s_or_b32 exec_lo, exec_lo, s25
.LBB354_912:                            ;   in Loop: Header=BB354_525 Depth=1
	s_or_b32 exec_lo, exec_lo, s24
	v_and_b32_sdwa v9, v15, v39 dst_sel:DWORD dst_unused:UNUSED_PAD src0_sel:WORD_1 src1_sel:DWORD
	v_mov_b32_e32 v96, 0
	v_mov_b32_e32 v95, 0
	s_mov_b32 s24, exec_lo
	v_cmpx_ne_u16_e32 0, v9
	s_cbranch_execz .LBB354_920
; %bb.913:                              ;   in Loop: Header=BB354_525 Depth=1
	v_bfrev_b32_e32 v95, 1
	s_mov_b32 s25, exec_lo
	v_cmpx_ne_u16_e32 0x80, v9
	s_cbranch_execz .LBB354_919
; %bb.914:                              ;   in Loop: Header=BB354_525 Depth=1
	v_bfe_u32 v18, v15, 16, 7
	v_mov_b32_e32 v95, 0x7f800001
	s_mov_b32 s26, exec_lo
	v_cmpx_ne_u32_e32 0x7f, v18
	s_cbranch_execz .LBB354_918
; %bb.915:                              ;   in Loop: Header=BB354_525 Depth=1
	v_and_b32_sdwa v9, v15, v40 dst_sel:DWORD dst_unused:UNUSED_PAD src0_sel:WORD_1 src1_sel:DWORD
	v_lshrrev_b32_e32 v17, 3, v18
	s_mov_b32 s27, exec_lo
	v_cmpx_gt_u32_e32 8, v18
; %bb.916:                              ;   in Loop: Header=BB354_525 Depth=1
	v_ffbh_u32_e32 v0, v9
	v_min_u32_e32 v0, 32, v0
	v_subrev_nc_u32_e32 v17, 28, v0
	v_lshlrev_b64 v[97:98], v17, v[9:10]
	v_sub_nc_u32_e32 v17, 29, v0
	v_and_b32_e32 v9, 7, v97
; %bb.917:                              ;   in Loop: Header=BB354_525 Depth=1
	s_or_b32 exec_lo, exec_lo, s27
	v_lshlrev_b32_sdwa v0, v41, v15 dst_sel:DWORD dst_unused:UNUSED_PAD src0_sel:DWORD src1_sel:WORD_1
	v_lshlrev_b32_e32 v9, 20, v9
	v_lshl_add_u32 v17, v17, 23, 0x3c000000
	v_and_b32_e32 v0, 0x80000000, v0
	v_or3_b32 v95, v9, v0, v17
.LBB354_918:                            ;   in Loop: Header=BB354_525 Depth=1
	s_or_b32 exec_lo, exec_lo, s26
.LBB354_919:                            ;   in Loop: Header=BB354_525 Depth=1
	s_or_b32 exec_lo, exec_lo, s25
.LBB354_920:                            ;   in Loop: Header=BB354_525 Depth=1
	s_or_b32 exec_lo, exec_lo, s24
	s_mov_b32 s24, exec_lo
	v_cmpx_lt_u32_e32 0xffffff, v15
	s_cbranch_execz .LBB354_928
; %bb.921:                              ;   in Loop: Header=BB354_525 Depth=1
	v_cmp_ne_u32_sdwa s1, v15, v26 src0_sel:BYTE_3 src1_sel:DWORD
	v_bfrev_b32_e32 v96, 1
	s_and_saveexec_b32 s25, s1
	s_cbranch_execz .LBB354_927
; %bb.922:                              ;   in Loop: Header=BB354_525 Depth=1
	v_bfe_u32 v18, v15, 24, 7
	v_mov_b32_e32 v96, 0x7f800001
	s_mov_b32 s26, exec_lo
	v_cmpx_ne_u32_e32 0x7f, v18
	s_cbranch_execz .LBB354_926
; %bb.923:                              ;   in Loop: Header=BB354_525 Depth=1
	v_and_b32_sdwa v9, v15, v40 dst_sel:DWORD dst_unused:UNUSED_PAD src0_sel:BYTE_3 src1_sel:DWORD
	v_lshrrev_b32_e32 v17, 3, v18
	s_mov_b32 s27, exec_lo
	v_cmpx_gt_u32_e32 8, v18
; %bb.924:                              ;   in Loop: Header=BB354_525 Depth=1
	v_ffbh_u32_e32 v0, v9
	v_min_u32_e32 v0, 32, v0
	v_subrev_nc_u32_e32 v17, 28, v0
	v_lshlrev_b64 v[96:97], v17, v[9:10]
	v_sub_nc_u32_e32 v17, 29, v0
	v_and_b32_e32 v9, 7, v96
; %bb.925:                              ;   in Loop: Header=BB354_525 Depth=1
	s_or_b32 exec_lo, exec_lo, s27
	v_lshlrev_b32_sdwa v0, v41, v15 dst_sel:DWORD dst_unused:UNUSED_PAD src0_sel:DWORD src1_sel:BYTE_3
	v_lshlrev_b32_e32 v9, 20, v9
	v_lshl_add_u32 v17, v17, 23, 0x3c000000
	v_and_b32_e32 v0, 0x80000000, v0
	v_or3_b32 v96, v9, v0, v17
.LBB354_926:                            ;   in Loop: Header=BB354_525 Depth=1
	s_or_b32 exec_lo, exec_lo, s26
.LBB354_927:                            ;   in Loop: Header=BB354_525 Depth=1
	s_or_b32 exec_lo, exec_lo, s25
.LBB354_928:                            ;   in Loop: Header=BB354_525 Depth=1
	s_or_b32 exec_lo, exec_lo, s24
	v_mov_b32_e32 v9, v16
	v_cmp_ne_u16_sdwa s1, v16, v10 src0_sel:BYTE_0 src1_sel:DWORD
	v_mov_b32_e32 v17, 0
	v_mov_b32_e32 v97, 0
	s_and_saveexec_b32 s24, s1
	s_cbranch_execz .LBB354_934
; %bb.929:                              ;   in Loop: Header=BB354_525 Depth=1
	v_cmp_ne_u16_sdwa s1, v16, v26 src0_sel:BYTE_0 src1_sel:DWORD
	v_bfrev_b32_e32 v97, 1
	s_and_saveexec_b32 s25, s1
	s_cbranch_execz .LBB354_933
; %bb.930:                              ;   in Loop: Header=BB354_525 Depth=1
	v_and_b32_e32 v18, 0x7f, v16
	v_mov_b32_e32 v97, 0x7f800001
	s_mov_b32 s26, exec_lo
	v_cmpx_ne_u32_e32 0x7f, v18
	s_cbranch_execz .LBB354_932
; %bb.931:                              ;   in Loop: Header=BB354_525 Depth=1
	v_and_b32_e32 v0, 7, v16
	v_cmp_gt_u32_e64 s1, 8, v18
	v_lshrrev_b32_e32 v35, 3, v18
	v_ffbh_u32_e32 v0, v0
	v_min_u32_e32 v0, 32, v0
	v_subrev_nc_u32_e32 v36, 28, v0
	v_sub_nc_u32_e32 v0, 29, v0
	v_cndmask_b32_e64 v18, 0, v36, s1
	v_cndmask_b32_e64 v0, v35, v0, s1
	v_lshlrev_b64 v[97:98], v18, v[9:10]
	v_lshlrev_b32_e32 v18, 24, v9
	v_lshl_add_u32 v0, v0, 23, 0x3c000000
	v_and_b32_e32 v18, 0x80000000, v18
	v_lshlrev_b32_e32 v35, 20, v97
	v_and_b32_e32 v35, 0x700000, v35
	v_or3_b32 v97, v35, v18, v0
.LBB354_932:                            ;   in Loop: Header=BB354_525 Depth=1
	s_or_b32 exec_lo, exec_lo, s26
.LBB354_933:                            ;   in Loop: Header=BB354_525 Depth=1
	s_or_b32 exec_lo, exec_lo, s25
.LBB354_934:                            ;   in Loop: Header=BB354_525 Depth=1
	s_or_b32 exec_lo, exec_lo, s24
	v_cmp_ne_u16_sdwa s1, v9, v10 src0_sel:BYTE_1 src1_sel:DWORD
	s_and_saveexec_b32 s24, s1
	s_cbranch_execz .LBB354_942
; %bb.935:                              ;   in Loop: Header=BB354_525 Depth=1
	v_cmp_ne_u16_sdwa s1, v9, v26 src0_sel:BYTE_1 src1_sel:DWORD
	v_bfrev_b32_e32 v17, 1
	s_and_saveexec_b32 s25, s1
	s_cbranch_execz .LBB354_941
; %bb.936:                              ;   in Loop: Header=BB354_525 Depth=1
	v_and_b32_sdwa v18, v34, v9 dst_sel:DWORD dst_unused:UNUSED_PAD src0_sel:DWORD src1_sel:BYTE_1
	v_mov_b32_e32 v17, 0x7f800001
	s_mov_b32 s26, exec_lo
	v_and_b32_e32 v99, 0x7f, v18
	v_cmpx_ne_u32_e32 0x7f, v99
	s_cbranch_execz .LBB354_940
; %bb.937:                              ;   in Loop: Header=BB354_525 Depth=1
	v_and_b32_e32 v17, 7, v18
	v_mov_b32_e32 v18, v10
	v_lshrrev_b32_e32 v98, 3, v99
	s_mov_b32 s27, exec_lo
	v_cmpx_gt_u32_e32 8, v99
; %bb.938:                              ;   in Loop: Header=BB354_525 Depth=1
	v_ffbh_u32_e32 v0, v17
	v_min_u32_e32 v0, 32, v0
	v_subrev_nc_u32_e32 v35, 28, v0
	v_sub_nc_u32_e32 v98, 29, v0
	v_lshlrev_b64 v[17:18], v35, v[17:18]
	v_and_b32_e32 v17, 7, v17
; %bb.939:                              ;   in Loop: Header=BB354_525 Depth=1
	s_or_b32 exec_lo, exec_lo, s27
	v_lshlrev_b32_e32 v0, 16, v9
	v_lshlrev_b32_e32 v9, 20, v17
	v_lshl_add_u32 v17, v98, 23, 0x3c000000
	v_and_b32_e32 v0, 0x80000000, v0
	v_or3_b32 v17, v9, v0, v17
.LBB354_940:                            ;   in Loop: Header=BB354_525 Depth=1
	s_or_b32 exec_lo, exec_lo, s26
.LBB354_941:                            ;   in Loop: Header=BB354_525 Depth=1
	s_or_b32 exec_lo, exec_lo, s25
.LBB354_942:                            ;   in Loop: Header=BB354_525 Depth=1
	s_or_b32 exec_lo, exec_lo, s24
	v_and_b32_sdwa v9, v16, v39 dst_sel:DWORD dst_unused:UNUSED_PAD src0_sel:WORD_1 src1_sel:DWORD
	v_mov_b32_e32 v18, 0
	v_mov_b32_e32 v98, 0
	s_mov_b32 s24, exec_lo
	v_cmpx_ne_u16_e32 0, v9
	s_cbranch_execz .LBB354_950
; %bb.943:                              ;   in Loop: Header=BB354_525 Depth=1
	v_bfrev_b32_e32 v98, 1
	s_mov_b32 s25, exec_lo
	v_cmpx_ne_u16_e32 0x80, v9
	s_cbranch_execz .LBB354_949
; %bb.944:                              ;   in Loop: Header=BB354_525 Depth=1
	v_bfe_u32 v99, v16, 16, 7
	v_mov_b32_e32 v98, 0x7f800001
	s_mov_b32 s26, exec_lo
	v_cmpx_ne_u32_e32 0x7f, v99
	s_cbranch_execz .LBB354_948
; %bb.945:                              ;   in Loop: Header=BB354_525 Depth=1
	v_and_b32_sdwa v9, v16, v40 dst_sel:DWORD dst_unused:UNUSED_PAD src0_sel:WORD_1 src1_sel:DWORD
	v_lshrrev_b32_e32 v98, 3, v99
	s_mov_b32 s27, exec_lo
	v_cmpx_gt_u32_e32 8, v99
; %bb.946:                              ;   in Loop: Header=BB354_525 Depth=1
	v_ffbh_u32_e32 v0, v9
	v_min_u32_e32 v0, 32, v0
	v_subrev_nc_u32_e32 v35, 28, v0
	v_sub_nc_u32_e32 v98, 29, v0
	v_lshlrev_b64 v[99:100], v35, v[9:10]
	v_and_b32_e32 v9, 7, v99
; %bb.947:                              ;   in Loop: Header=BB354_525 Depth=1
	s_or_b32 exec_lo, exec_lo, s27
	v_lshlrev_b32_sdwa v0, v41, v16 dst_sel:DWORD dst_unused:UNUSED_PAD src0_sel:DWORD src1_sel:WORD_1
	v_lshlrev_b32_e32 v9, 20, v9
	v_lshl_add_u32 v35, v98, 23, 0x3c000000
	v_and_b32_e32 v0, 0x80000000, v0
	v_or3_b32 v98, v9, v0, v35
.LBB354_948:                            ;   in Loop: Header=BB354_525 Depth=1
	s_or_b32 exec_lo, exec_lo, s26
.LBB354_949:                            ;   in Loop: Header=BB354_525 Depth=1
	s_or_b32 exec_lo, exec_lo, s25
.LBB354_950:                            ;   in Loop: Header=BB354_525 Depth=1
	s_or_b32 exec_lo, exec_lo, s24
	s_mov_b32 s24, exec_lo
	v_cmpx_lt_u64_e64 s[6:7], v[15:16]
	s_cbranch_execz .LBB354_958
; %bb.951:                              ;   in Loop: Header=BB354_525 Depth=1
	v_cmp_ne_u32_sdwa s1, v16, v26 src0_sel:BYTE_3 src1_sel:DWORD
	v_bfrev_b32_e32 v18, 1
	s_and_saveexec_b32 s25, s1
	s_cbranch_execz .LBB354_957
; %bb.952:                              ;   in Loop: Header=BB354_525 Depth=1
	v_bfe_u32 v99, v16, 24, 7
	v_mov_b32_e32 v18, 0x7f800001
	s_mov_b32 s26, exec_lo
	v_cmpx_ne_u32_e32 0x7f, v99
	s_cbranch_execz .LBB354_956
; %bb.953:                              ;   in Loop: Header=BB354_525 Depth=1
	v_and_b32_sdwa v9, v16, v40 dst_sel:DWORD dst_unused:UNUSED_PAD src0_sel:BYTE_3 src1_sel:DWORD
	v_lshrrev_b32_e32 v15, 3, v99
	s_mov_b32 s27, exec_lo
	v_cmpx_gt_u32_e32 8, v99
; %bb.954:                              ;   in Loop: Header=BB354_525 Depth=1
	v_ffbh_u32_e32 v0, v9
	v_min_u32_e32 v0, 32, v0
	v_subrev_nc_u32_e32 v15, 28, v0
	v_lshlrev_b64 v[99:100], v15, v[9:10]
	v_sub_nc_u32_e32 v15, 29, v0
	v_and_b32_e32 v9, 7, v99
; %bb.955:                              ;   in Loop: Header=BB354_525 Depth=1
	s_or_b32 exec_lo, exec_lo, s27
	v_lshlrev_b32_sdwa v0, v41, v16 dst_sel:DWORD dst_unused:UNUSED_PAD src0_sel:DWORD src1_sel:BYTE_3
	v_lshlrev_b32_e32 v9, 20, v9
	v_lshl_add_u32 v15, v15, 23, 0x3c000000
	v_and_b32_e32 v0, 0x80000000, v0
	v_or3_b32 v18, v9, v0, v15
.LBB354_956:                            ;   in Loop: Header=BB354_525 Depth=1
	s_or_b32 exec_lo, exec_lo, s26
.LBB354_957:                            ;   in Loop: Header=BB354_525 Depth=1
	s_or_b32 exec_lo, exec_lo, s25
.LBB354_958:                            ;   in Loop: Header=BB354_525 Depth=1
	s_or_b32 exec_lo, exec_lo, s24
	v_mul_f32_e32 v0, s22, v17
	v_mul_f32_e32 v9, s22, v97
	;; [unrolled: 1-line block ×5, first 2 shown]
	v_bfe_u32 v16, v0, 16, 1
	v_or_b32_e32 v35, 0x400000, v0
	v_bfe_u32 v36, v9, 16, 1
	v_cmp_u_f32_e64 s1, v0, v0
	v_or_b32_e32 v37, 0x400000, v9
	v_add3_u32 v16, v16, v0, 0x7fff
	v_bfe_u32 v95, v15, 16, 1
	v_add3_u32 v36, v36, v9, 0x7fff
	v_or_b32_e32 v96, 0x400000, v15
	v_bfe_u32 v97, v17, 16, 1
	v_cndmask_b32_e64 v0, v16, v35, s1
	v_cmp_u_f32_e64 s1, v9, v9
	v_add3_u32 v95, v95, v15, 0x7fff
	v_lshrrev_b32_e32 v16, 16, v0
	v_cndmask_b32_e64 v9, v36, v37, s1
	v_cmp_u_f32_e64 s1, v15, v15
	v_mul_f32_e32 v0, s22, v93
	v_add3_u32 v36, v97, v17, 0x7fff
	v_or_b32_e32 v37, 0x400000, v17
	v_lshrrev_b32_e32 v15, 16, v9
	v_cndmask_b32_e64 v35, v95, v96, s1
	v_bfe_u32 v9, v0, 16, 1
	v_cmp_u_f32_e64 s1, v17, v17
	v_or_b32_e32 v97, 0x400000, v18
	v_lshrrev_b32_e32 v93, 16, v35
	v_mul_f32_e32 v35, s22, v94
	v_cndmask_b32_e64 v17, v36, v37, s1
	v_mul_f32_e32 v36, s22, v98
	v_add3_u32 v9, v9, v0, 0x7fff
	v_or_b32_e32 v37, 0x400000, v0
	v_bfe_u32 v94, v35, 16, 1
	v_cmp_u_f32_e64 s1, v0, v0
	v_bfe_u32 v95, v36, 16, 1
	v_or_b32_e32 v96, 0x400000, v36
	v_cndmask_b32_e64 v0, v9, v37, s1
	v_add3_u32 v37, v94, v35, 0x7fff
	v_or_b32_e32 v94, 0x400000, v35
	v_cmp_u_f32_e64 s1, v35, v35
	v_bfe_u32 v9, v18, 16, 1
	v_add3_u32 v95, v95, v36, 0x7fff
	v_cndmask_b32_e64 v35, v37, v94, s1
	v_cmp_u_f32_e64 s1, v36, v36
	v_add3_u32 v9, v9, v18, 0x7fff
	v_lshrrev_b32_e32 v94, 16, v17
	v_cndmask_b32_e64 v36, v95, v96, s1
	v_cmp_u_f32_e64 s1, v18, v18
	v_lshrrev_b32_e32 v96, 16, v0
	v_lshrrev_b32_e32 v95, 16, v35
	;; [unrolled: 1-line block ×3, first 2 shown]
	v_cndmask_b32_e64 v9, v9, v97, s1
	v_lshrrev_b32_e32 v18, 16, v9
	s_and_saveexec_b32 s24, s0
	s_cbranch_execz .LBB354_960
; %bb.959:                              ;   in Loop: Header=BB354_525 Depth=1
	v_add_nc_u32_e32 v0, 1, v54
	v_cmp_gt_i32_e64 s1, s31, v54
	v_add_nc_u32_e32 v9, 2, v54
	v_add_nc_u32_e32 v35, 3, v54
	v_cndmask_b32_e64 v95, 0, v95, s1
	v_cmp_gt_i32_e64 s1, s31, v0
	v_add_nc_u32_e32 v0, 4, v54
	v_cndmask_b32_e64 v96, 0, v96, s1
	v_cmp_gt_i32_e64 s1, s31, v9
	;; [unrolled: 3-line block ×5, first 2 shown]
	v_cndmask_b32_e64 v16, 0, v16, s1
	v_cmp_gt_i32_e64 s1, s31, v35
	v_cndmask_b32_e64 v17, 0, v17, s1
	v_cmp_gt_i32_e64 s1, s31, v0
	v_cndmask_b32_e64 v18, 0, v18, s1
.LBB354_960:                            ;   in Loop: Header=BB354_525 Depth=1
	s_or_b32 exec_lo, exec_lo, s24
	v_bfe_u32 v0, v5, 16, 1
	v_bfe_u32 v9, v6, 16, 1
	v_or_b32_e32 v35, 0x400000, v5
	v_cmp_u_f32_e64 s1, v5, v5
	v_or_b32_e32 v36, 0x400000, v6
	v_add3_u32 v0, v0, v5, 0x7fff
	v_bfe_u32 v37, v7, 16, 1
	v_add3_u32 v9, v9, v6, 0x7fff
	v_bfe_u32 v97, v8, 16, 1
	v_cndmask_b32_e64 v0, v0, v35, s1
	v_cmp_u_f32_e64 s1, v6, v6
	v_add3_u32 v6, v37, v7, 0x7fff
	v_bfe_u32 v35, v1, 16, 1
	v_or_b32_e32 v37, 0x400000, v8
	v_cndmask_b32_e64 v5, v9, v36, s1
	v_or_b32_e32 v9, 0x400000, v7
	v_cmp_u_f32_e64 s1, v7, v7
	v_add3_u32 v36, v97, v8, 0x7fff
	v_add3_u32 v7, v35, v1, 0x7fff
	v_or_b32_e32 v97, 0x400000, v4
	v_cndmask_b32_e64 v6, v6, v9, s1
	v_cmp_u_f32_e64 s1, v8, v8
	v_or_b32_e32 v9, 0x400000, v1
	v_bfe_u32 v8, v2, 16, 1
	v_cndmask_b32_e64 v35, v36, v37, s1
	v_cmp_u_f32_e64 s1, v1, v1
	v_bfe_u32 v36, v3, 16, 1
	v_add3_u32 v8, v8, v2, 0x7fff
	v_or_b32_e32 v37, 0x400000, v3
	v_cndmask_b32_e64 v1, v7, v9, s1
	v_or_b32_e32 v9, 0x400000, v2
	v_cmp_u_f32_e64 s1, v2, v2
	v_bfe_u32 v7, v4, 16, 1
	v_add3_u32 v36, v36, v3, 0x7fff
	v_cndmask_b32_e64 v2, v8, v9, s1
	v_cmp_u_f32_e64 s1, v3, v3
	v_add3_u32 v7, v7, v4, 0x7fff
	v_perm_b32 v8, v5, v0, 0x7060302
	v_cndmask_b32_e64 v3, v36, v37, s1
	v_cmp_u_f32_e64 s1, v4, v4
	v_cndmask_b32_e64 v4, v7, v97, s1
	v_perm_b32 v7, v35, v6, 0x7060302
	v_perm_b32 v6, v2, v1, 0x7060302
	;; [unrolled: 1-line block ×3, first 2 shown]
	s_and_saveexec_b32 s24, vcc_lo
	s_cbranch_execz .LBB354_523
; %bb.961:                              ;   in Loop: Header=BB354_525 Depth=1
	v_add_co_u32 v1, s1, v13, v43
	v_add_co_ci_u32_e64 v2, null, 0, v14, s1
	v_mov_b32_e32 v14, 0
	v_mov_b32_e32 v13, 0
	global_load_dwordx2 v[1:2], v[1:2], off
	s_waitcnt vmcnt(0)
	v_cmp_ne_u16_sdwa s1, v1, v10 src0_sel:BYTE_0 src1_sel:DWORD
	s_and_saveexec_b32 s25, s1
	s_cbranch_execz .LBB354_967
; %bb.962:                              ;   in Loop: Header=BB354_525 Depth=1
	v_cmp_ne_u16_sdwa s1, v1, v26 src0_sel:BYTE_0 src1_sel:DWORD
	v_bfrev_b32_e32 v13, 1
	s_and_saveexec_b32 s26, s1
	s_cbranch_execz .LBB354_966
; %bb.963:                              ;   in Loop: Header=BB354_525 Depth=1
	v_and_b32_e32 v3, 0x7f, v1
	v_mov_b32_e32 v13, 0x7f800001
	s_mov_b32 s27, exec_lo
	v_cmpx_ne_u32_e32 0x7f, v3
	s_cbranch_execz .LBB354_965
; %bb.964:                              ;   in Loop: Header=BB354_525 Depth=1
	v_and_b32_e32 v0, 7, v1
	v_cmp_gt_u32_e64 s1, 8, v3
	v_lshrrev_b32_e32 v4, 3, v3
	v_ffbh_u32_e32 v0, v0
	v_min_u32_e32 v0, 32, v0
	v_subrev_nc_u32_e32 v9, 28, v0
	v_sub_nc_u32_e32 v0, 29, v0
	v_cndmask_b32_e64 v3, 0, v9, s1
	v_cndmask_b32_e64 v0, v4, v0, s1
	v_lshlrev_b64 v[3:4], v3, v[1:2]
	v_lshlrev_b32_e32 v4, 24, v1
	v_lshl_add_u32 v0, v0, 23, 0x3c000000
	v_lshlrev_b32_e32 v3, 20, v3
	v_and_b32_e32 v4, 0x80000000, v4
	v_and_b32_e32 v3, 0x700000, v3
	v_or3_b32 v13, v3, v4, v0
.LBB354_965:                            ;   in Loop: Header=BB354_525 Depth=1
	s_or_b32 exec_lo, exec_lo, s27
.LBB354_966:                            ;   in Loop: Header=BB354_525 Depth=1
	s_or_b32 exec_lo, exec_lo, s26
.LBB354_967:                            ;   in Loop: Header=BB354_525 Depth=1
	s_or_b32 exec_lo, exec_lo, s25
	v_cmp_ne_u16_sdwa s1, v1, v10 src0_sel:BYTE_1 src1_sel:DWORD
	s_and_saveexec_b32 s25, s1
	s_cbranch_execz .LBB354_975
; %bb.968:                              ;   in Loop: Header=BB354_525 Depth=1
	v_cmp_ne_u16_sdwa s1, v1, v26 src0_sel:BYTE_1 src1_sel:DWORD
	v_bfrev_b32_e32 v14, 1
	s_and_saveexec_b32 s26, s1
	s_cbranch_execz .LBB354_974
; %bb.969:                              ;   in Loop: Header=BB354_525 Depth=1
	v_and_b32_sdwa v3, v34, v1 dst_sel:DWORD dst_unused:UNUSED_PAD src0_sel:DWORD src1_sel:BYTE_1
	v_mov_b32_e32 v14, 0x7f800001
	s_mov_b32 s27, exec_lo
	v_and_b32_e32 v4, 0x7f, v3
	v_cmpx_ne_u32_e32 0x7f, v4
	s_cbranch_execz .LBB354_973
; %bb.970:                              ;   in Loop: Header=BB354_525 Depth=1
	v_and_b32_e32 v9, 7, v3
	v_lshrrev_b32_e32 v3, 3, v4
	s_mov_b32 s30, exec_lo
	v_cmpx_gt_u32_e32 8, v4
; %bb.971:                              ;   in Loop: Header=BB354_525 Depth=1
	v_ffbh_u32_e32 v0, v9
	v_min_u32_e32 v0, 32, v0
	v_subrev_nc_u32_e32 v3, 28, v0
	v_lshlrev_b64 v[97:98], v3, v[9:10]
	v_sub_nc_u32_e32 v3, 29, v0
	v_and_b32_e32 v9, 7, v97
; %bb.972:                              ;   in Loop: Header=BB354_525 Depth=1
	s_or_b32 exec_lo, exec_lo, s30
	v_lshlrev_b32_e32 v0, 16, v1
	v_lshlrev_b32_e32 v4, 20, v9
	v_lshl_add_u32 v3, v3, 23, 0x3c000000
	v_and_b32_e32 v0, 0x80000000, v0
	v_or3_b32 v14, v4, v0, v3
.LBB354_973:                            ;   in Loop: Header=BB354_525 Depth=1
	s_or_b32 exec_lo, exec_lo, s27
.LBB354_974:                            ;   in Loop: Header=BB354_525 Depth=1
	s_or_b32 exec_lo, exec_lo, s26
.LBB354_975:                            ;   in Loop: Header=BB354_525 Depth=1
	s_or_b32 exec_lo, exec_lo, s25
	v_and_b32_sdwa v3, v1, v39 dst_sel:DWORD dst_unused:UNUSED_PAD src0_sel:WORD_1 src1_sel:DWORD
	v_mov_b32_e32 v98, 0
	v_mov_b32_e32 v97, 0
	s_mov_b32 s25, exec_lo
	v_cmpx_ne_u16_e32 0, v3
	s_cbranch_execz .LBB354_983
; %bb.976:                              ;   in Loop: Header=BB354_525 Depth=1
	v_bfrev_b32_e32 v97, 1
	s_mov_b32 s26, exec_lo
	v_cmpx_ne_u16_e32 0x80, v3
	s_cbranch_execz .LBB354_982
; %bb.977:                              ;   in Loop: Header=BB354_525 Depth=1
	v_bfe_u32 v4, v1, 16, 7
	v_mov_b32_e32 v97, 0x7f800001
	s_mov_b32 s27, exec_lo
	v_cmpx_ne_u32_e32 0x7f, v4
	s_cbranch_execz .LBB354_981
; %bb.978:                              ;   in Loop: Header=BB354_525 Depth=1
	v_and_b32_sdwa v9, v1, v40 dst_sel:DWORD dst_unused:UNUSED_PAD src0_sel:WORD_1 src1_sel:DWORD
	v_lshrrev_b32_e32 v3, 3, v4
	s_mov_b32 s30, exec_lo
	v_cmpx_gt_u32_e32 8, v4
; %bb.979:                              ;   in Loop: Header=BB354_525 Depth=1
	v_ffbh_u32_e32 v0, v9
	v_min_u32_e32 v0, 32, v0
	v_subrev_nc_u32_e32 v3, 28, v0
	v_lshlrev_b64 v[99:100], v3, v[9:10]
	v_sub_nc_u32_e32 v3, 29, v0
	v_and_b32_e32 v9, 7, v99
; %bb.980:                              ;   in Loop: Header=BB354_525 Depth=1
	s_or_b32 exec_lo, exec_lo, s30
	v_lshlrev_b32_sdwa v0, v41, v1 dst_sel:DWORD dst_unused:UNUSED_PAD src0_sel:DWORD src1_sel:WORD_1
	v_lshlrev_b32_e32 v4, 20, v9
	v_lshl_add_u32 v3, v3, 23, 0x3c000000
	v_and_b32_e32 v0, 0x80000000, v0
	v_or3_b32 v97, v4, v0, v3
.LBB354_981:                            ;   in Loop: Header=BB354_525 Depth=1
	s_or_b32 exec_lo, exec_lo, s27
.LBB354_982:                            ;   in Loop: Header=BB354_525 Depth=1
	s_or_b32 exec_lo, exec_lo, s26
.LBB354_983:                            ;   in Loop: Header=BB354_525 Depth=1
	s_or_b32 exec_lo, exec_lo, s25
	s_mov_b32 s25, exec_lo
	v_cmpx_lt_u32_e32 0xffffff, v1
	s_cbranch_execz .LBB354_991
; %bb.984:                              ;   in Loop: Header=BB354_525 Depth=1
	v_cmp_ne_u32_sdwa s1, v1, v26 src0_sel:BYTE_3 src1_sel:DWORD
	v_bfrev_b32_e32 v98, 1
	s_and_saveexec_b32 s26, s1
	s_cbranch_execz .LBB354_990
; %bb.985:                              ;   in Loop: Header=BB354_525 Depth=1
	v_bfe_u32 v4, v1, 24, 7
	v_mov_b32_e32 v98, 0x7f800001
	s_mov_b32 s27, exec_lo
	v_cmpx_ne_u32_e32 0x7f, v4
	s_cbranch_execz .LBB354_989
; %bb.986:                              ;   in Loop: Header=BB354_525 Depth=1
	v_and_b32_sdwa v9, v1, v40 dst_sel:DWORD dst_unused:UNUSED_PAD src0_sel:BYTE_3 src1_sel:DWORD
	v_lshrrev_b32_e32 v3, 3, v4
	s_mov_b32 s30, exec_lo
	v_cmpx_gt_u32_e32 8, v4
; %bb.987:                              ;   in Loop: Header=BB354_525 Depth=1
	v_ffbh_u32_e32 v0, v9
	v_min_u32_e32 v0, 32, v0
	v_subrev_nc_u32_e32 v3, 28, v0
	v_lshlrev_b64 v[98:99], v3, v[9:10]
	v_sub_nc_u32_e32 v3, 29, v0
	v_and_b32_e32 v9, 7, v98
; %bb.988:                              ;   in Loop: Header=BB354_525 Depth=1
	s_or_b32 exec_lo, exec_lo, s30
	v_lshlrev_b32_sdwa v0, v41, v1 dst_sel:DWORD dst_unused:UNUSED_PAD src0_sel:DWORD src1_sel:BYTE_3
	v_lshlrev_b32_e32 v4, 20, v9
	v_lshl_add_u32 v3, v3, 23, 0x3c000000
	v_and_b32_e32 v0, 0x80000000, v0
	v_or3_b32 v98, v4, v0, v3
.LBB354_989:                            ;   in Loop: Header=BB354_525 Depth=1
	s_or_b32 exec_lo, exec_lo, s27
.LBB354_990:                            ;   in Loop: Header=BB354_525 Depth=1
	s_or_b32 exec_lo, exec_lo, s26
.LBB354_991:                            ;   in Loop: Header=BB354_525 Depth=1
	s_or_b32 exec_lo, exec_lo, s25
	v_mov_b32_e32 v9, v2
	v_cmp_ne_u16_sdwa s1, v2, v10 src0_sel:BYTE_0 src1_sel:DWORD
	v_mov_b32_e32 v3, 0
	v_mov_b32_e32 v99, 0
	s_and_saveexec_b32 s25, s1
	s_cbranch_execz .LBB354_997
; %bb.992:                              ;   in Loop: Header=BB354_525 Depth=1
	v_cmp_ne_u16_sdwa s1, v2, v26 src0_sel:BYTE_0 src1_sel:DWORD
	v_bfrev_b32_e32 v99, 1
	s_and_saveexec_b32 s26, s1
	s_cbranch_execz .LBB354_996
; %bb.993:                              ;   in Loop: Header=BB354_525 Depth=1
	v_and_b32_e32 v4, 0x7f, v2
	v_mov_b32_e32 v99, 0x7f800001
	s_mov_b32 s27, exec_lo
	v_cmpx_ne_u32_e32 0x7f, v4
	s_cbranch_execz .LBB354_995
; %bb.994:                              ;   in Loop: Header=BB354_525 Depth=1
	v_and_b32_e32 v0, 7, v2
	v_cmp_gt_u32_e64 s1, 8, v4
	v_lshrrev_b32_e32 v35, 3, v4
	v_ffbh_u32_e32 v0, v0
	v_min_u32_e32 v0, 32, v0
	v_subrev_nc_u32_e32 v36, 28, v0
	v_sub_nc_u32_e32 v0, 29, v0
	v_cndmask_b32_e64 v4, 0, v36, s1
	v_cndmask_b32_e64 v0, v35, v0, s1
	v_lshlrev_b64 v[99:100], v4, v[9:10]
	v_lshlrev_b32_e32 v4, 24, v9
	v_lshl_add_u32 v0, v0, 23, 0x3c000000
	v_and_b32_e32 v4, 0x80000000, v4
	v_lshlrev_b32_e32 v35, 20, v99
	v_and_b32_e32 v35, 0x700000, v35
	v_or3_b32 v99, v35, v4, v0
.LBB354_995:                            ;   in Loop: Header=BB354_525 Depth=1
	s_or_b32 exec_lo, exec_lo, s27
.LBB354_996:                            ;   in Loop: Header=BB354_525 Depth=1
	s_or_b32 exec_lo, exec_lo, s26
.LBB354_997:                            ;   in Loop: Header=BB354_525 Depth=1
	s_or_b32 exec_lo, exec_lo, s25
	v_cmp_ne_u16_sdwa s1, v9, v10 src0_sel:BYTE_1 src1_sel:DWORD
	s_and_saveexec_b32 s25, s1
	s_cbranch_execz .LBB354_1005
; %bb.998:                              ;   in Loop: Header=BB354_525 Depth=1
	v_cmp_ne_u16_sdwa s1, v9, v26 src0_sel:BYTE_1 src1_sel:DWORD
	v_bfrev_b32_e32 v3, 1
	s_and_saveexec_b32 s26, s1
	s_cbranch_execz .LBB354_1004
; %bb.999:                              ;   in Loop: Header=BB354_525 Depth=1
	v_and_b32_sdwa v4, v34, v9 dst_sel:DWORD dst_unused:UNUSED_PAD src0_sel:DWORD src1_sel:BYTE_1
	v_mov_b32_e32 v3, 0x7f800001
	s_mov_b32 s27, exec_lo
	v_and_b32_e32 v101, 0x7f, v4
	v_cmpx_ne_u32_e32 0x7f, v101
	s_cbranch_execz .LBB354_1003
; %bb.1000:                             ;   in Loop: Header=BB354_525 Depth=1
	v_and_b32_e32 v3, 7, v4
	v_mov_b32_e32 v4, v10
	v_lshrrev_b32_e32 v100, 3, v101
	s_mov_b32 s30, exec_lo
	v_cmpx_gt_u32_e32 8, v101
; %bb.1001:                             ;   in Loop: Header=BB354_525 Depth=1
	v_ffbh_u32_e32 v0, v3
	v_min_u32_e32 v0, 32, v0
	v_subrev_nc_u32_e32 v35, 28, v0
	v_sub_nc_u32_e32 v100, 29, v0
	v_lshlrev_b64 v[3:4], v35, v[3:4]
	v_and_b32_e32 v3, 7, v3
; %bb.1002:                             ;   in Loop: Header=BB354_525 Depth=1
	s_or_b32 exec_lo, exec_lo, s30
	v_lshlrev_b32_e32 v0, 16, v9
	v_lshlrev_b32_e32 v3, 20, v3
	v_lshl_add_u32 v4, v100, 23, 0x3c000000
	v_and_b32_e32 v0, 0x80000000, v0
	v_or3_b32 v3, v3, v0, v4
.LBB354_1003:                           ;   in Loop: Header=BB354_525 Depth=1
	s_or_b32 exec_lo, exec_lo, s27
.LBB354_1004:                           ;   in Loop: Header=BB354_525 Depth=1
	s_or_b32 exec_lo, exec_lo, s26
.LBB354_1005:                           ;   in Loop: Header=BB354_525 Depth=1
	s_or_b32 exec_lo, exec_lo, s25
	v_and_b32_sdwa v9, v2, v39 dst_sel:DWORD dst_unused:UNUSED_PAD src0_sel:WORD_1 src1_sel:DWORD
	v_mov_b32_e32 v4, 0
	v_mov_b32_e32 v100, 0
	s_mov_b32 s25, exec_lo
	v_cmpx_ne_u16_e32 0, v9
	s_cbranch_execz .LBB354_1013
; %bb.1006:                             ;   in Loop: Header=BB354_525 Depth=1
	v_bfrev_b32_e32 v100, 1
	s_mov_b32 s26, exec_lo
	v_cmpx_ne_u16_e32 0x80, v9
	s_cbranch_execz .LBB354_1012
; %bb.1007:                             ;   in Loop: Header=BB354_525 Depth=1
	v_bfe_u32 v101, v2, 16, 7
	v_mov_b32_e32 v100, 0x7f800001
	s_mov_b32 s27, exec_lo
	v_cmpx_ne_u32_e32 0x7f, v101
	s_cbranch_execz .LBB354_1011
; %bb.1008:                             ;   in Loop: Header=BB354_525 Depth=1
	v_and_b32_sdwa v9, v2, v40 dst_sel:DWORD dst_unused:UNUSED_PAD src0_sel:WORD_1 src1_sel:DWORD
	v_lshrrev_b32_e32 v100, 3, v101
	s_mov_b32 s30, exec_lo
	v_cmpx_gt_u32_e32 8, v101
; %bb.1009:                             ;   in Loop: Header=BB354_525 Depth=1
	v_ffbh_u32_e32 v0, v9
	v_min_u32_e32 v0, 32, v0
	v_subrev_nc_u32_e32 v35, 28, v0
	v_sub_nc_u32_e32 v100, 29, v0
	v_lshlrev_b64 v[101:102], v35, v[9:10]
	v_and_b32_e32 v9, 7, v101
; %bb.1010:                             ;   in Loop: Header=BB354_525 Depth=1
	s_or_b32 exec_lo, exec_lo, s30
	v_lshlrev_b32_sdwa v0, v41, v2 dst_sel:DWORD dst_unused:UNUSED_PAD src0_sel:DWORD src1_sel:WORD_1
	v_lshlrev_b32_e32 v9, 20, v9
	v_lshl_add_u32 v35, v100, 23, 0x3c000000
	v_and_b32_e32 v0, 0x80000000, v0
	v_or3_b32 v100, v9, v0, v35
.LBB354_1011:                           ;   in Loop: Header=BB354_525 Depth=1
	s_or_b32 exec_lo, exec_lo, s27
.LBB354_1012:                           ;   in Loop: Header=BB354_525 Depth=1
	s_or_b32 exec_lo, exec_lo, s26
.LBB354_1013:                           ;   in Loop: Header=BB354_525 Depth=1
	s_or_b32 exec_lo, exec_lo, s25
	s_mov_b32 s25, exec_lo
	v_cmpx_lt_u64_e64 s[6:7], v[1:2]
	s_cbranch_execz .LBB354_1021
; %bb.1014:                             ;   in Loop: Header=BB354_525 Depth=1
	v_cmp_ne_u32_sdwa s1, v2, v26 src0_sel:BYTE_3 src1_sel:DWORD
	v_bfrev_b32_e32 v4, 1
	s_and_saveexec_b32 s26, s1
	s_cbranch_execz .LBB354_1020
; %bb.1015:                             ;   in Loop: Header=BB354_525 Depth=1
	v_bfe_u32 v101, v2, 24, 7
	v_mov_b32_e32 v4, 0x7f800001
	s_mov_b32 s27, exec_lo
	v_cmpx_ne_u32_e32 0x7f, v101
	s_cbranch_execz .LBB354_1019
; %bb.1016:                             ;   in Loop: Header=BB354_525 Depth=1
	v_and_b32_sdwa v9, v2, v40 dst_sel:DWORD dst_unused:UNUSED_PAD src0_sel:BYTE_3 src1_sel:DWORD
	v_lshrrev_b32_e32 v1, 3, v101
	s_mov_b32 s30, exec_lo
	v_cmpx_gt_u32_e32 8, v101
; %bb.1017:                             ;   in Loop: Header=BB354_525 Depth=1
	v_ffbh_u32_e32 v0, v9
	v_min_u32_e32 v0, 32, v0
	v_subrev_nc_u32_e32 v1, 28, v0
	v_lshlrev_b64 v[101:102], v1, v[9:10]
	v_sub_nc_u32_e32 v1, 29, v0
	v_and_b32_e32 v9, 7, v101
; %bb.1018:                             ;   in Loop: Header=BB354_525 Depth=1
	s_or_b32 exec_lo, exec_lo, s30
	v_lshlrev_b32_sdwa v0, v41, v2 dst_sel:DWORD dst_unused:UNUSED_PAD src0_sel:DWORD src1_sel:BYTE_3
	v_lshlrev_b32_e32 v2, 20, v9
	v_lshl_add_u32 v1, v1, 23, 0x3c000000
	v_and_b32_e32 v0, 0x80000000, v0
	v_or3_b32 v4, v2, v0, v1
.LBB354_1019:                           ;   in Loop: Header=BB354_525 Depth=1
	s_or_b32 exec_lo, exec_lo, s27
.LBB354_1020:                           ;   in Loop: Header=BB354_525 Depth=1
	s_or_b32 exec_lo, exec_lo, s26
.LBB354_1021:                           ;   in Loop: Header=BB354_525 Depth=1
	s_or_b32 exec_lo, exec_lo, s25
	v_mul_f32_e32 v0, s22, v3
	v_mul_f32_e32 v1, s22, v99
	;; [unrolled: 1-line block ×5, first 2 shown]
	v_bfe_u32 v9, v0, 16, 1
	v_or_b32_e32 v35, 0x400000, v0
	v_bfe_u32 v36, v1, 16, 1
	v_cmp_u_f32_e64 s1, v0, v0
	v_or_b32_e32 v37, 0x400000, v1
	v_add3_u32 v9, v9, v0, 0x7fff
	v_bfe_u32 v97, v2, 16, 1
	v_add3_u32 v36, v36, v1, 0x7fff
	v_or_b32_e32 v98, 0x400000, v2
	v_bfe_u32 v99, v3, 16, 1
	v_cndmask_b32_e64 v0, v9, v35, s1
	v_cmp_u_f32_e64 s1, v1, v1
	v_add3_u32 v97, v97, v2, 0x7fff
	v_mul_f32_e32 v4, s22, v4
	v_lshrrev_b32_e32 v1, 16, v0
	v_cndmask_b32_e64 v9, v36, v37, s1
	v_cmp_u_f32_e64 s1, v2, v2
	v_mul_f32_e32 v0, s22, v14
	v_add3_u32 v14, v99, v3, 0x7fff
	v_or_b32_e32 v36, 0x400000, v3
	v_lshrrev_b32_e32 v2, 16, v9
	v_cndmask_b32_e64 v35, v97, v98, s1
	v_cmp_u_f32_e64 s1, v3, v3
	v_bfe_u32 v37, v13, 16, 1
	v_or_b32_e32 v99, 0x400000, v4
	v_lshrrev_b32_e32 v9, 16, v35
	v_bfe_u32 v35, v0, 16, 1
	v_cndmask_b32_e64 v3, v14, v36, s1
	v_mul_f32_e32 v14, s22, v100
	v_or_b32_e32 v36, 0x400000, v0
	v_cmp_u_f32_e64 s1, v0, v0
	v_add3_u32 v35, v35, v0, 0x7fff
	v_bfe_u32 v97, v14, 16, 1
	v_or_b32_e32 v98, 0x400000, v14
	v_cndmask_b32_e64 v0, v35, v36, s1
	v_add3_u32 v36, v37, v13, 0x7fff
	v_or_b32_e32 v37, 0x400000, v13
	v_cmp_u_f32_e64 s1, v13, v13
	v_bfe_u32 v35, v4, 16, 1
	v_add3_u32 v97, v97, v14, 0x7fff
	v_lshrrev_b32_e32 v13, 16, v3
	v_cndmask_b32_e64 v36, v36, v37, s1
	v_cmp_u_f32_e64 s1, v14, v14
	v_add3_u32 v35, v35, v4, 0x7fff
	v_lshrrev_b32_e32 v14, 16, v0
	v_cndmask_b32_e64 v37, v97, v98, s1
	v_cmp_u_f32_e64 s1, v4, v4
	v_lshrrev_b32_e32 v97, 16, v36
	v_lshrrev_b32_e32 v4, 16, v37
	v_cndmask_b32_e64 v35, v35, v99, s1
	v_lshrrev_b32_e32 v3, 16, v35
	s_and_saveexec_b32 s1, s0
	s_cbranch_execz .LBB354_522
; %bb.1022:                             ;   in Loop: Header=BB354_525 Depth=1
	v_add_nc_u32_e32 v0, 1, v54
	v_cmp_gt_i32_e64 s0, s31, v54
	v_add_nc_u32_e32 v35, 2, v54
	v_add_nc_u32_e32 v36, 3, v54
	v_cndmask_b32_e64 v97, 0, v97, s0
	v_cmp_gt_i32_e64 s0, s31, v0
	v_add_nc_u32_e32 v0, 4, v54
	v_cndmask_b32_e64 v14, 0, v14, s0
	v_cmp_gt_i32_e64 s0, s31, v35
	;; [unrolled: 3-line block ×5, first 2 shown]
	v_cndmask_b32_e64 v1, 0, v1, s0
	v_cmp_gt_i32_e64 s0, s31, v36
	v_cndmask_b32_e64 v4, 0, v4, s0
	v_cmp_gt_i32_e64 s0, s31, v0
	v_cndmask_b32_e64 v3, 0, v3, s0
	s_branch .LBB354_522
.LBB354_1023:
	s_or_b32 exec_lo, exec_lo, s18
	v_mov_b32_e32 v14, v104
	v_mov_b32_e32 v13, v105
	;; [unrolled: 1-line block ×3, first 2 shown]
.LBB354_1024:
	s_or_b32 exec_lo, exec_lo, s3
	ds_bpermute_b32 v0, v22, v32
	ds_bpermute_b32 v1, v22, v31
	;; [unrolled: 1-line block ×8, first 2 shown]
	s_movk_i32 s0, 0x1e0
	v_cmp_eq_u32_e32 vcc_lo, 0, v13
	v_and_b32_e32 v13, 0x3c0, v14
	v_mad_u32_u24 v9, v15, s0, 0x110
	s_mov_b32 s1, exec_lo
	s_waitcnt lgkmcnt(0)
	s_waitcnt_vscnt null, 0x0
	s_barrier
	buffer_gl0_inv
	v_add_f32_e32 v8, v32, v0
	v_add_f32_e32 v7, v31, v1
	v_add_f32_e32 v6, v30, v2
	v_add_f32_e32 v5, v29, v3
	v_add_f32_e32 v4, v28, v4
	v_add_f32_e32 v3, v27, v10
	v_add_f32_e32 v2, v24, v11
	v_add_f32_e32 v1, v23, v12
	v_cmpx_eq_u32_e32 64, v13
	s_cbranch_execz .LBB354_1029
; %bb.1025:
	v_add_nc_u32_e32 v10, 0xfffffc40, v9
	s_and_saveexec_b32 s0, vcc_lo
	s_cbranch_execz .LBB354_1027
; %bb.1026:
	v_lshl_add_u32 v0, v21, 2, v10
	ds_write2_b32 v0, v8, v7 offset1:16
	ds_write2_b32 v0, v6, v5 offset0:32 offset1:48
	ds_write2_b32 v0, v4, v3 offset0:64 offset1:80
	ds_write_b32 v0, v2 offset:384
.LBB354_1027:
	s_or_b32 exec_lo, exec_lo, s0
	v_or_b32_e32 v11, 0x70, v21
	v_cmp_gt_u32_e64 s0, 0x78, v11
	s_and_b32 s0, vcc_lo, s0
	s_and_b32 exec_lo, exec_lo, s0
; %bb.1028:
	v_lshl_add_u32 v0, v11, 2, v10
	ds_write_b32 v0, v1
.LBB354_1029:
	s_or_b32 exec_lo, exec_lo, s1
	s_mov_b32 s1, exec_lo
	s_waitcnt lgkmcnt(0)
	s_barrier
	buffer_gl0_inv
	v_cmpx_gt_u32_e32 64, v14
	s_cbranch_execz .LBB354_1041
; %bb.1030:
	s_and_saveexec_b32 s0, vcc_lo
	s_cbranch_execnz .LBB354_1076
; %bb.1031:
	s_or_b32 exec_lo, exec_lo, s0
	s_and_saveexec_b32 s0, vcc_lo
	s_cbranch_execnz .LBB354_1077
.LBB354_1032:
	s_or_b32 exec_lo, exec_lo, s0
	s_and_saveexec_b32 s0, vcc_lo
	s_cbranch_execnz .LBB354_1078
.LBB354_1033:
	s_or_b32 exec_lo, exec_lo, s0
	s_and_saveexec_b32 s0, vcc_lo
	s_cbranch_execnz .LBB354_1079
.LBB354_1034:
	s_or_b32 exec_lo, exec_lo, s0
	s_and_saveexec_b32 s0, vcc_lo
	s_cbranch_execnz .LBB354_1080
.LBB354_1035:
	s_or_b32 exec_lo, exec_lo, s0
	s_and_saveexec_b32 s0, vcc_lo
	s_cbranch_execnz .LBB354_1081
.LBB354_1036:
	s_or_b32 exec_lo, exec_lo, s0
	s_and_saveexec_b32 s0, vcc_lo
	s_cbranch_execz .LBB354_1038
.LBB354_1037:
	v_lshl_add_u32 v0, v21, 2, v9
	ds_read_b32 v0, v0 offset:384
	s_waitcnt lgkmcnt(0)
	v_add_f32_e32 v2, v2, v0
.LBB354_1038:
	s_or_b32 exec_lo, exec_lo, s0
	v_or_b32_e32 v0, 0x70, v21
	v_cmp_gt_u32_e64 s0, 0x78, v0
	s_and_b32 s3, vcc_lo, s0
	s_and_saveexec_b32 s0, s3
	s_cbranch_execz .LBB354_1040
; %bb.1039:
	v_lshl_add_u32 v0, v21, 2, v9
	ds_read_b32 v0, v0 offset:448
	s_waitcnt lgkmcnt(0)
	v_add_f32_e32 v1, v1, v0
.LBB354_1040:
	s_or_b32 exec_lo, exec_lo, s0
.LBB354_1041:
	s_or_b32 exec_lo, exec_lo, s1
	v_and_b32_e32 v0, 0x3e0, v14
	s_mov_b32 s1, exec_lo
	s_barrier
	buffer_gl0_inv
	v_cmpx_eq_u32_e32 32, v0
	s_cbranch_execz .LBB354_1046
; %bb.1042:
	v_lshl_add_u32 v10, v21, 2, 0x110
	s_and_saveexec_b32 s0, vcc_lo
	s_cbranch_execz .LBB354_1044
; %bb.1043:
	ds_write2_b32 v10, v8, v7 offset1:16
	ds_write2_b32 v10, v6, v5 offset0:32 offset1:48
	ds_write2_b32 v10, v4, v3 offset0:64 offset1:80
	ds_write_b32 v10, v2 offset:384
.LBB354_1044:
	s_or_b32 exec_lo, exec_lo, s0
	v_or_b32_e32 v0, 0x70, v21
	v_cmp_gt_u32_e64 s0, 0x78, v0
	s_and_b32 s0, vcc_lo, s0
	s_and_b32 exec_lo, exec_lo, s0
; %bb.1045:
	ds_write_b32 v10, v1 offset:448
.LBB354_1046:
	s_or_b32 exec_lo, exec_lo, s1
	v_cmp_gt_u32_e64 s0, 32, v14
	s_waitcnt lgkmcnt(0)
	s_barrier
	buffer_gl0_inv
	s_and_saveexec_b32 s3, s0
	s_cbranch_execz .LBB354_1058
; %bb.1047:
	v_lshl_add_u32 v0, v21, 2, v9
	s_and_saveexec_b32 s1, vcc_lo
	s_cbranch_execnz .LBB354_1082
; %bb.1048:
	s_or_b32 exec_lo, exec_lo, s1
	s_and_saveexec_b32 s1, vcc_lo
	s_cbranch_execnz .LBB354_1083
.LBB354_1049:
	s_or_b32 exec_lo, exec_lo, s1
	s_and_saveexec_b32 s1, vcc_lo
	s_cbranch_execnz .LBB354_1084
.LBB354_1050:
	s_or_b32 exec_lo, exec_lo, s1
	s_and_saveexec_b32 s1, vcc_lo
	s_cbranch_execnz .LBB354_1085
.LBB354_1051:
	s_or_b32 exec_lo, exec_lo, s1
	s_and_saveexec_b32 s1, vcc_lo
	s_cbranch_execnz .LBB354_1086
.LBB354_1052:
	s_or_b32 exec_lo, exec_lo, s1
	s_and_saveexec_b32 s1, vcc_lo
	s_cbranch_execnz .LBB354_1087
.LBB354_1053:
	s_or_b32 exec_lo, exec_lo, s1
	s_and_saveexec_b32 s1, vcc_lo
	s_cbranch_execz .LBB354_1055
.LBB354_1054:
	ds_read_b32 v9, v0 offset:384
	s_waitcnt lgkmcnt(0)
	v_add_f32_e32 v2, v2, v9
.LBB354_1055:
	s_or_b32 exec_lo, exec_lo, s1
	v_or_b32_e32 v9, 0x70, v21
	v_cmp_gt_u32_e64 s1, 0x78, v9
	s_and_b32 s4, vcc_lo, s1
	s_and_saveexec_b32 s1, s4
	s_cbranch_execz .LBB354_1057
; %bb.1056:
	ds_read_b32 v0, v0 offset:448
	s_waitcnt lgkmcnt(0)
	v_add_f32_e32 v1, v1, v0
.LBB354_1057:
	s_or_b32 exec_lo, exec_lo, s1
.LBB354_1058:
	s_or_b32 exec_lo, exec_lo, s3
	s_barrier
	buffer_gl0_inv
	s_and_saveexec_b32 s1, s0
	s_cbranch_execz .LBB354_1075
; %bb.1059:
	s_mul_i32 s0, s2, 0x78
	s_mul_i32 s2, s11, s10
	s_ashr_i32 s1, s0, 31
	v_lshlrev_b32_e32 v0, 1, v103
	s_lshl_b64 s[0:1], s[0:1], 1
	s_add_u32 s4, s28, s0
	s_addc_u32 s5, s29, s1
	s_ashr_i32 s3, s2, 31
	s_lshl_b64 s[0:1], s[2:3], 1
	s_mul_i32 s2, s8, 0x78
	s_add_u32 s4, s4, s0
	s_addc_u32 s5, s5, s1
	s_ashr_i32 s3, s2, 31
	s_lshl_b64 s[0:1], s[2:3], 1
	s_add_u32 s2, s4, s0
	s_addc_u32 s3, s5, s1
	s_and_saveexec_b32 s1, vcc_lo
	s_cbranch_execz .LBB354_1061
; %bb.1060:
	v_bfe_u32 v9, v8, 16, 1
	v_or_b32_e32 v10, 0x400000, v8
	v_cmp_u_f32_e64 s0, v8, v8
	v_add3_u32 v9, v9, v8, 0x7fff
	v_cndmask_b32_e64 v8, v9, v10, s0
	global_store_short_d16_hi v0, v8, s[2:3]
.LBB354_1061:
	s_or_b32 exec_lo, exec_lo, s1
	v_or_b32_e32 v8, 16, v103
	v_cmp_gt_u32_e64 s0, 0x78, v8
	s_and_b32 s0, vcc_lo, s0
	s_and_saveexec_b32 s1, s0
	s_cbranch_execz .LBB354_1063
; %bb.1062:
	v_bfe_u32 v8, v7, 16, 1
	v_or_b32_e32 v9, 0x400000, v7
	v_cmp_u_f32_e64 s0, v7, v7
	v_add3_u32 v8, v8, v7, 0x7fff
	v_cndmask_b32_e64 v7, v8, v9, s0
	global_store_short_d16_hi v0, v7, s[2:3] offset:32
.LBB354_1063:
	s_or_b32 exec_lo, exec_lo, s1
	v_or_b32_e32 v7, 32, v103
	v_cmp_gt_u32_e64 s0, 0x78, v7
	s_and_b32 s0, vcc_lo, s0
	s_and_saveexec_b32 s1, s0
	s_cbranch_execz .LBB354_1065
; %bb.1064:
	v_bfe_u32 v7, v6, 16, 1
	v_or_b32_e32 v8, 0x400000, v6
	v_cmp_u_f32_e64 s0, v6, v6
	v_add3_u32 v7, v7, v6, 0x7fff
	v_cndmask_b32_e64 v6, v7, v8, s0
	global_store_short_d16_hi v0, v6, s[2:3] offset:64
.LBB354_1065:
	;; [unrolled: 14-line block ×6, first 2 shown]
	s_or_b32 exec_lo, exec_lo, s1
	v_or_b32_e32 v2, 0x70, v103
	v_cmp_gt_u32_e64 s0, 0x78, v2
	s_and_b32 s0, vcc_lo, s0
	s_and_b32 exec_lo, exec_lo, s0
	s_cbranch_execz .LBB354_1075
; %bb.1074:
	v_bfe_u32 v2, v1, 16, 1
	v_or_b32_e32 v3, 0x400000, v1
	v_cmp_u_f32_e32 vcc_lo, v1, v1
	v_add3_u32 v2, v2, v1, 0x7fff
	v_cndmask_b32_e32 v1, v2, v3, vcc_lo
	global_store_short_d16_hi v0, v1, s[2:3] offset:224
.LBB354_1075:
	s_endpgm
.LBB354_1076:
	v_lshl_add_u32 v0, v21, 2, v9
	ds_read_b32 v0, v0
	s_waitcnt lgkmcnt(0)
	v_add_f32_e32 v8, v8, v0
	s_or_b32 exec_lo, exec_lo, s0
	s_and_saveexec_b32 s0, vcc_lo
	s_cbranch_execz .LBB354_1032
.LBB354_1077:
	v_lshl_add_u32 v0, v21, 2, v9
	ds_read_b32 v0, v0 offset:64
	s_waitcnt lgkmcnt(0)
	v_add_f32_e32 v7, v7, v0
	s_or_b32 exec_lo, exec_lo, s0
	s_and_saveexec_b32 s0, vcc_lo
	s_cbranch_execz .LBB354_1033
.LBB354_1078:
	v_lshl_add_u32 v0, v21, 2, v9
	ds_read_b32 v0, v0 offset:128
	s_waitcnt lgkmcnt(0)
	v_add_f32_e32 v6, v6, v0
	s_or_b32 exec_lo, exec_lo, s0
	s_and_saveexec_b32 s0, vcc_lo
	s_cbranch_execz .LBB354_1034
.LBB354_1079:
	v_lshl_add_u32 v0, v21, 2, v9
	ds_read_b32 v0, v0 offset:192
	s_waitcnt lgkmcnt(0)
	v_add_f32_e32 v5, v5, v0
	s_or_b32 exec_lo, exec_lo, s0
	s_and_saveexec_b32 s0, vcc_lo
	s_cbranch_execz .LBB354_1035
.LBB354_1080:
	v_lshl_add_u32 v0, v21, 2, v9
	ds_read_b32 v0, v0 offset:256
	s_waitcnt lgkmcnt(0)
	v_add_f32_e32 v4, v4, v0
	s_or_b32 exec_lo, exec_lo, s0
	s_and_saveexec_b32 s0, vcc_lo
	s_cbranch_execz .LBB354_1036
.LBB354_1081:
	v_lshl_add_u32 v0, v21, 2, v9
	ds_read_b32 v0, v0 offset:320
	s_waitcnt lgkmcnt(0)
	v_add_f32_e32 v3, v3, v0
	s_or_b32 exec_lo, exec_lo, s0
	s_and_saveexec_b32 s0, vcc_lo
	s_cbranch_execnz .LBB354_1037
	s_branch .LBB354_1038
.LBB354_1082:
	ds_read_b32 v9, v0
	s_waitcnt lgkmcnt(0)
	v_add_f32_e32 v8, v8, v9
	s_or_b32 exec_lo, exec_lo, s1
	s_and_saveexec_b32 s1, vcc_lo
	s_cbranch_execz .LBB354_1049
.LBB354_1083:
	ds_read_b32 v9, v0 offset:64
	s_waitcnt lgkmcnt(0)
	v_add_f32_e32 v7, v7, v9
	s_or_b32 exec_lo, exec_lo, s1
	s_and_saveexec_b32 s1, vcc_lo
	s_cbranch_execz .LBB354_1050
.LBB354_1084:
	ds_read_b32 v9, v0 offset:128
	s_waitcnt lgkmcnt(0)
	v_add_f32_e32 v6, v6, v9
	s_or_b32 exec_lo, exec_lo, s1
	s_and_saveexec_b32 s1, vcc_lo
	s_cbranch_execz .LBB354_1051
.LBB354_1085:
	ds_read_b32 v9, v0 offset:192
	s_waitcnt lgkmcnt(0)
	v_add_f32_e32 v5, v5, v9
	s_or_b32 exec_lo, exec_lo, s1
	s_and_saveexec_b32 s1, vcc_lo
	s_cbranch_execz .LBB354_1052
.LBB354_1086:
	ds_read_b32 v9, v0 offset:256
	s_waitcnt lgkmcnt(0)
	v_add_f32_e32 v4, v4, v9
	s_or_b32 exec_lo, exec_lo, s1
	s_and_saveexec_b32 s1, vcc_lo
	s_cbranch_execz .LBB354_1053
.LBB354_1087:
	ds_read_b32 v9, v0 offset:320
	s_waitcnt lgkmcnt(0)
	v_add_f32_e32 v3, v3, v9
	s_or_b32 exec_lo, exec_lo, s1
	s_and_saveexec_b32 s1, vcc_lo
	s_cbranch_execnz .LBB354_1054
	s_branch .LBB354_1055
	.section	.rodata,"a",@progbits
	.p2align	6, 0x0
	.amdhsa_kernel _ZN4vllm25paged_attention_v2_kernelI14__hip_bfloat16hLi120ELi16ELi128ELNS_18Fp8KVCacheDataTypeE1ELb1ELi512EEEvPfS3_PT_PKS4_PKT0_SA_ifPKiSC_iPKfiiiSE_SE_iiiii
		.amdhsa_group_segment_fixed_size 272
		.amdhsa_private_segment_fixed_size 36
		.amdhsa_kernarg_size 400
		.amdhsa_user_sgpr_count 6
		.amdhsa_user_sgpr_private_segment_buffer 1
		.amdhsa_user_sgpr_dispatch_ptr 0
		.amdhsa_user_sgpr_queue_ptr 0
		.amdhsa_user_sgpr_kernarg_segment_ptr 1
		.amdhsa_user_sgpr_dispatch_id 0
		.amdhsa_user_sgpr_flat_scratch_init 0
		.amdhsa_user_sgpr_private_segment_size 0
		.amdhsa_wavefront_size32 1
		.amdhsa_uses_dynamic_stack 0
		.amdhsa_system_sgpr_private_segment_wavefront_offset 1
		.amdhsa_system_sgpr_workgroup_id_x 1
		.amdhsa_system_sgpr_workgroup_id_y 1
		.amdhsa_system_sgpr_workgroup_id_z 1
		.amdhsa_system_sgpr_workgroup_info 0
		.amdhsa_system_vgpr_workitem_id 0
		.amdhsa_next_free_vgpr 128
		.amdhsa_next_free_sgpr 60
		.amdhsa_reserve_vcc 1
		.amdhsa_reserve_flat_scratch 0
		.amdhsa_float_round_mode_32 0
		.amdhsa_float_round_mode_16_64 0
		.amdhsa_float_denorm_mode_32 3
		.amdhsa_float_denorm_mode_16_64 3
		.amdhsa_dx10_clamp 1
		.amdhsa_ieee_mode 1
		.amdhsa_fp16_overflow 0
		.amdhsa_workgroup_processor_mode 1
		.amdhsa_memory_ordered 1
		.amdhsa_forward_progress 1
		.amdhsa_shared_vgpr_count 0
		.amdhsa_exception_fp_ieee_invalid_op 0
		.amdhsa_exception_fp_denorm_src 0
		.amdhsa_exception_fp_ieee_div_zero 0
		.amdhsa_exception_fp_ieee_overflow 0
		.amdhsa_exception_fp_ieee_underflow 0
		.amdhsa_exception_fp_ieee_inexact 0
		.amdhsa_exception_int_div_zero 0
	.end_amdhsa_kernel
	.section	.text._ZN4vllm25paged_attention_v2_kernelI14__hip_bfloat16hLi120ELi16ELi128ELNS_18Fp8KVCacheDataTypeE1ELb1ELi512EEEvPfS3_PT_PKS4_PKT0_SA_ifPKiSC_iPKfiiiSE_SE_iiiii,"axG",@progbits,_ZN4vllm25paged_attention_v2_kernelI14__hip_bfloat16hLi120ELi16ELi128ELNS_18Fp8KVCacheDataTypeE1ELb1ELi512EEEvPfS3_PT_PKS4_PKT0_SA_ifPKiSC_iPKfiiiSE_SE_iiiii,comdat
.Lfunc_end354:
	.size	_ZN4vllm25paged_attention_v2_kernelI14__hip_bfloat16hLi120ELi16ELi128ELNS_18Fp8KVCacheDataTypeE1ELb1ELi512EEEvPfS3_PT_PKS4_PKT0_SA_ifPKiSC_iPKfiiiSE_SE_iiiii, .Lfunc_end354-_ZN4vllm25paged_attention_v2_kernelI14__hip_bfloat16hLi120ELi16ELi128ELNS_18Fp8KVCacheDataTypeE1ELb1ELi512EEEvPfS3_PT_PKS4_PKT0_SA_ifPKiSC_iPKfiiiSE_SE_iiiii
                                        ; -- End function
	.set _ZN4vllm25paged_attention_v2_kernelI14__hip_bfloat16hLi120ELi16ELi128ELNS_18Fp8KVCacheDataTypeE1ELb1ELi512EEEvPfS3_PT_PKS4_PKT0_SA_ifPKiSC_iPKfiiiSE_SE_iiiii.num_vgpr, 128
	.set _ZN4vllm25paged_attention_v2_kernelI14__hip_bfloat16hLi120ELi16ELi128ELNS_18Fp8KVCacheDataTypeE1ELb1ELi512EEEvPfS3_PT_PKS4_PKT0_SA_ifPKiSC_iPKfiiiSE_SE_iiiii.num_agpr, 0
	.set _ZN4vllm25paged_attention_v2_kernelI14__hip_bfloat16hLi120ELi16ELi128ELNS_18Fp8KVCacheDataTypeE1ELb1ELi512EEEvPfS3_PT_PKS4_PKT0_SA_ifPKiSC_iPKfiiiSE_SE_iiiii.numbered_sgpr, 60
	.set _ZN4vllm25paged_attention_v2_kernelI14__hip_bfloat16hLi120ELi16ELi128ELNS_18Fp8KVCacheDataTypeE1ELb1ELi512EEEvPfS3_PT_PKS4_PKT0_SA_ifPKiSC_iPKfiiiSE_SE_iiiii.num_named_barrier, 0
	.set _ZN4vllm25paged_attention_v2_kernelI14__hip_bfloat16hLi120ELi16ELi128ELNS_18Fp8KVCacheDataTypeE1ELb1ELi512EEEvPfS3_PT_PKS4_PKT0_SA_ifPKiSC_iPKfiiiSE_SE_iiiii.private_seg_size, 36
	.set _ZN4vllm25paged_attention_v2_kernelI14__hip_bfloat16hLi120ELi16ELi128ELNS_18Fp8KVCacheDataTypeE1ELb1ELi512EEEvPfS3_PT_PKS4_PKT0_SA_ifPKiSC_iPKfiiiSE_SE_iiiii.uses_vcc, 1
	.set _ZN4vllm25paged_attention_v2_kernelI14__hip_bfloat16hLi120ELi16ELi128ELNS_18Fp8KVCacheDataTypeE1ELb1ELi512EEEvPfS3_PT_PKS4_PKT0_SA_ifPKiSC_iPKfiiiSE_SE_iiiii.uses_flat_scratch, 0
	.set _ZN4vllm25paged_attention_v2_kernelI14__hip_bfloat16hLi120ELi16ELi128ELNS_18Fp8KVCacheDataTypeE1ELb1ELi512EEEvPfS3_PT_PKS4_PKT0_SA_ifPKiSC_iPKfiiiSE_SE_iiiii.has_dyn_sized_stack, 0
	.set _ZN4vllm25paged_attention_v2_kernelI14__hip_bfloat16hLi120ELi16ELi128ELNS_18Fp8KVCacheDataTypeE1ELb1ELi512EEEvPfS3_PT_PKS4_PKT0_SA_ifPKiSC_iPKfiiiSE_SE_iiiii.has_recursion, 0
	.set _ZN4vllm25paged_attention_v2_kernelI14__hip_bfloat16hLi120ELi16ELi128ELNS_18Fp8KVCacheDataTypeE1ELb1ELi512EEEvPfS3_PT_PKS4_PKT0_SA_ifPKiSC_iPKfiiiSE_SE_iiiii.has_indirect_call, 0
	.section	.AMDGPU.csdata,"",@progbits
; Kernel info:
; codeLenInByte = 41372
; TotalNumSgprs: 62
; NumVgprs: 128
; ScratchSize: 36
; MemoryBound: 0
; FloatMode: 240
; IeeeMode: 1
; LDSByteSize: 272 bytes/workgroup (compile time only)
; SGPRBlocks: 0
; VGPRBlocks: 15
; NumSGPRsForWavesPerEU: 62
; NumVGPRsForWavesPerEU: 128
; Occupancy: 8
; WaveLimiterHint : 1
; COMPUTE_PGM_RSRC2:SCRATCH_EN: 1
; COMPUTE_PGM_RSRC2:USER_SGPR: 6
; COMPUTE_PGM_RSRC2:TRAP_HANDLER: 0
; COMPUTE_PGM_RSRC2:TGID_X_EN: 1
; COMPUTE_PGM_RSRC2:TGID_Y_EN: 1
; COMPUTE_PGM_RSRC2:TGID_Z_EN: 1
; COMPUTE_PGM_RSRC2:TIDIG_COMP_CNT: 0
	.section	.text._ZN4vllm25paged_attention_v2_kernelI14__hip_bfloat16hLi128ELi16ELi128ELNS_18Fp8KVCacheDataTypeE1ELb1ELi512EEEvPfS3_PT_PKS4_PKT0_SA_ifPKiSC_iPKfiiiSE_SE_iiiii,"axG",@progbits,_ZN4vllm25paged_attention_v2_kernelI14__hip_bfloat16hLi128ELi16ELi128ELNS_18Fp8KVCacheDataTypeE1ELb1ELi512EEEvPfS3_PT_PKS4_PKT0_SA_ifPKiSC_iPKfiiiSE_SE_iiiii,comdat
	.protected	_ZN4vllm25paged_attention_v2_kernelI14__hip_bfloat16hLi128ELi16ELi128ELNS_18Fp8KVCacheDataTypeE1ELb1ELi512EEEvPfS3_PT_PKS4_PKT0_SA_ifPKiSC_iPKfiiiSE_SE_iiiii ; -- Begin function _ZN4vllm25paged_attention_v2_kernelI14__hip_bfloat16hLi128ELi16ELi128ELNS_18Fp8KVCacheDataTypeE1ELb1ELi512EEEvPfS3_PT_PKS4_PKT0_SA_ifPKiSC_iPKfiiiSE_SE_iiiii
	.globl	_ZN4vllm25paged_attention_v2_kernelI14__hip_bfloat16hLi128ELi16ELi128ELNS_18Fp8KVCacheDataTypeE1ELb1ELi512EEEvPfS3_PT_PKS4_PKT0_SA_ifPKiSC_iPKfiiiSE_SE_iiiii
	.p2align	8
	.type	_ZN4vllm25paged_attention_v2_kernelI14__hip_bfloat16hLi128ELi16ELi128ELNS_18Fp8KVCacheDataTypeE1ELb1ELi512EEEvPfS3_PT_PKS4_PKT0_SA_ifPKiSC_iPKfiiiSE_SE_iiiii,@function
_ZN4vllm25paged_attention_v2_kernelI14__hip_bfloat16hLi128ELi16ELi128ELNS_18Fp8KVCacheDataTypeE1ELb1ELi512EEEvPfS3_PT_PKS4_PKT0_SA_ifPKiSC_iPKfiiiSE_SE_iiiii: ; @_ZN4vllm25paged_attention_v2_kernelI14__hip_bfloat16hLi128ELi16ELi128ELNS_18Fp8KVCacheDataTypeE1ELb1ELi512EEEvPfS3_PT_PKS4_PKT0_SA_ifPKiSC_iPKfiiiSE_SE_iiiii
; %bb.0:
	s_mov_b64 s[58:59], s[2:3]
	s_mov_b64 s[56:57], s[0:1]
	s_load_dwordx2 s[0:1], s[4:5], 0x40
	s_add_u32 s56, s56, s9
	s_addc_u32 s57, s57, 0
	s_mov_b32 s30, s7
	s_ashr_i32 s31, s7, 31
	s_lshl_b64 s[2:3], s[30:31], 2
	s_waitcnt lgkmcnt(0)
	s_add_u32 s0, s0, s2
	s_addc_u32 s1, s1, s3
	s_lshl_b32 s42, s8, 9
	s_load_dword s31, s[0:1], 0x0
	s_waitcnt lgkmcnt(0)
	s_cmp_ge_i32 s42, s31
	s_cbranch_scc1 .LBB355_1080
; %bb.1:
	s_clause 0x1
	s_load_dword s9, s[4:5], 0x90
	s_load_dwordx2 s[40:41], s[4:5], 0x30
	v_mov_b32_e32 v19, v0
	s_mov_b32 s43, 0
	s_waitcnt lgkmcnt(0)
	s_abs_i32 s3, s9
	s_abs_i32 s0, s40
	v_cvt_f32_u32_e32 v1, s0
	s_sub_i32 s2, 0, s0
	v_rcp_iflag_f32_e32 v1, v1
	v_mul_f32_e32 v1, 0x4f7ffffe, v1
	v_cvt_u32_f32_e32 v1, v1
	v_readfirstlane_b32 s1, v1
	s_mul_i32 s2, s2, s1
	s_mul_hi_u32 s2, s1, s2
	s_add_i32 s1, s1, s2
	s_xor_b32 s2, s9, s40
	s_mul_hi_u32 s1, s3, s1
	s_ashr_i32 s2, s2, 31
	s_mul_i32 s7, s1, s0
	s_sub_i32 s3, s3, s7
	s_add_i32 s7, s1, 1
	s_sub_i32 s10, s3, s0
	s_cmp_ge_u32 s3, s0
	s_cselect_b32 s1, s7, s1
	s_cselect_b32 s3, s10, s3
	s_add_i32 s7, s1, 1
	s_cmp_ge_u32 s3, s0
	s_cselect_b32 s0, s7, s1
	s_xor_b32 s0, s0, s2
	s_sub_i32 s10, s0, s2
	s_load_dwordx2 s[0:1], s[4:5], 0x50
	s_abs_i32 s2, s10
	v_cvt_f32_u32_e32 v1, s2
	s_sub_i32 s3, 0, s2
	v_rcp_iflag_f32_e32 v1, v1
	v_mul_f32_e32 v1, 0x4f7ffffe, v1
	v_cvt_u32_f32_e32 v1, v1
	v_readfirstlane_b32 s7, v1
	s_mul_i32 s3, s3, s7
	s_mul_hi_u32 s11, s7, s3
	s_abs_i32 s3, s6
	s_add_i32 s7, s7, s11
	s_waitcnt lgkmcnt(0)
	s_cmp_eq_u64 s[0:1], 0
	s_mul_hi_u32 s12, s3, s7
	s_cbranch_scc1 .LBB355_3
; %bb.2:
	s_ashr_i32 s7, s6, 31
	s_lshl_b64 s[14:15], s[6:7], 2
	s_add_u32 s0, s0, s14
	s_addc_u32 s1, s1, s15
	s_load_dword s43, s[0:1], 0x0
.LBB355_3:
	s_load_dwordx4 s[16:19], s[4:5], 0x58
	v_lshrrev_b32_e32 v0, 1, v19
	v_and_b32_e32 v20, 1, v19
	v_cmp_gt_u32_e64 s0, 32, v19
	v_lshlrev_b32_e32 v12, 3, v19
	s_ashr_i32 s1, s6, 31
	s_ashr_i32 s7, s10, 31
	s_lshl_b32 s10, s6, 7
	buffer_store_dword v0, off, s[56:59], 0 offset:40 ; 4-byte Folded Spill
	s_and_saveexec_b32 s13, s0
	s_cbranch_execz .LBB355_5
; %bb.4:
	s_load_dwordx2 s[14:15], s[4:5], 0x18
	s_waitcnt lgkmcnt(0)
	s_mul_i32 s20, s16, s30
	v_lshrrev_b32_e32 v0, 1, v19
	s_ashr_i32 s21, s20, 31
	s_lshl_b64 s[20:21], s[20:21], 1
	v_lshlrev_b32_e32 v3, 3, v0
	v_lshl_add_u32 v3, v20, 7, v3
	s_add_u32 s16, s14, s20
	s_addc_u32 s19, s15, s21
	s_ashr_i32 s11, s10, 31
	s_lshl_b64 s[14:15], s[10:11], 1
	s_add_u32 s14, s16, s14
	s_addc_u32 s15, s19, s15
	global_load_dwordx2 v[1:2], v12, s[14:15]
	s_waitcnt vmcnt(0)
	ds_write_b64 v3, v[1:2]
.LBB355_5:
	s_or_b32 exec_lo, exec_lo, s13
	s_load_dwordx4 s[20:23], s[4:5], 0x78
	s_mul_i32 s11, s12, s2
	s_xor_b32 s1, s1, s7
	s_sub_i32 s3, s3, s11
	s_add_i32 s7, s12, 1
	s_sub_i32 s11, s3, s2
	s_cmp_ge_u32 s3, s2
	s_mov_b32 s13, -1
	s_cselect_b32 s7, s7, s12
	s_cselect_b32 s3, s11, s3
	s_add_i32 s11, s7, 1
	s_cmp_ge_u32 s3, s2
                                        ; implicit-def: $sgpr19
	s_cselect_b32 s2, s11, s7
	s_load_dword s7, s[4:5], 0x88
	s_xor_b32 s2, s2, s1
	s_add_i32 s12, s31, -1
	s_sub_i32 s2, s2, s1
	s_abs_i32 s3, s12
	s_waitcnt lgkmcnt(0)
	s_waitcnt_vscnt null, 0x0
	s_abs_i32 s11, s23
	s_barrier
	v_cvt_f32_u32_e32 v1, s11
	s_sub_i32 s1, 0, s11
	buffer_gl0_inv
	v_rcp_iflag_f32_e32 v1, v1
	v_mul_f32_e32 v1, 0x4f7ffffe, v1
	v_cvt_u32_f32_e32 v1, v1
	v_readfirstlane_b32 s16, v1
	s_mul_i32 s1, s1, s16
	s_mul_hi_u32 s1, s16, s1
	s_add_i32 s16, s16, s1
	s_cmp_lt_i32 s7, 0
	s_mul_hi_u32 s1, s3, s16
	s_cbranch_scc0 .LBB355_7
; %bb.6:
	s_mul_i32 s13, s20, s40
	s_add_i32 s13, s2, s13
	s_mul_i32 s13, s13, s7
	s_sub_i32 s19, 1, s13
	s_mov_b32 s13, 0
.LBB355_7:
	s_load_dwordx2 s[34:35], s[4:5], 0x38
	s_ashr_i32 s33, s12, 31
	s_andn2_b32 vcc_lo, exec_lo, s13
	s_ashr_i32 s23, s23, 31
	s_cbranch_vccnz .LBB355_9
; %bb.8:
	s_mul_i32 s12, s9, s20
	s_add_i32 s12, s12, s6
	s_mul_i32 s7, s12, s7
	s_add_i32 s19, s7, 1
.LBB355_9:
	s_clause 0x5
	s_load_dword s20, s[4:5], 0x48
	s_load_dwordx2 s[38:39], s[4:5], 0x28
	s_load_dwordx4 s[24:27], s[4:5], 0x0
	s_load_dwordx2 s[28:29], s[4:5], 0x10
	s_load_dword s7, s[4:5], 0x98
	s_load_dwordx4 s[12:15], s[4:5], 0x68
	s_xor_b32 s40, s33, s23
	s_mul_i32 s33, s1, s11
	s_add_i32 s44, s1, 1
	s_sub_i32 s3, s3, s33
	v_lshrrev_b32_e32 v15, 5, v19
	v_mov_b32_e32 v4, 0xff7fffff
	s_mul_i32 s18, s2, s18
	v_lshl_add_u32 v38, v15, 4, s42
	s_waitcnt lgkmcnt(0)
	s_mul_i32 s36, s20, s30
	s_sub_i32 s20, s3, s11
	s_ashr_i32 s37, s36, 31
	s_cmp_ge_u32 s3, s11
	s_cselect_b32 s1, s44, s1
	s_cselect_b32 s3, s20, s3
	s_add_i32 s20, s1, 1
	s_cmp_ge_u32 s3, s11
	s_cselect_b32 s1, s20, s1
	s_add_i32 s3, s31, 15
	s_lshl_b32 s44, s8, 5
	s_ashr_i32 s20, s3, 31
	v_or_b32_e32 v25, s44, v15
	s_lshr_b32 s20, s20, 28
	s_add_i32 s3, s3, s20
	s_add_i32 s20, s44, 32
	s_ashr_i32 s33, s3, 4
	s_xor_b32 s3, s1, s40
	s_min_i32 s20, s20, s33
	v_ashrrev_i32_e32 v26, 31, v25
	v_cmp_gt_i32_e64 s1, s20, v25
	s_sub_i32 s40, s3, s40
	s_and_saveexec_b32 s45, s1
	s_cbranch_execz .LBB355_533
; %bb.10:
	s_load_dwordx2 s[2:3], s[4:5], 0x20
	s_sub_i32 s5, s40, s21
	s_ashr_i32 s4, s18, 31
	v_bfe_u32 v0, v19, 1, 4
	v_mov_b32_e32 v7, 0xff7fffff
	buffer_store_dword v12, off, s[56:59], 0 offset:56 ; 4-byte Folded Spill
	buffer_store_dword v19, off, s[56:59], 0 offset:44 ; 4-byte Folded Spill
	;; [unrolled: 1-line block ×3, first 2 shown]
	v_lshlrev_b32_e32 v5, 2, v0
	v_subrev_nc_u32_e32 v6, s31, v0
	buffer_store_dword v7, off, s[56:59], 0 offset:16 ; 4-byte Folded Spill
	buffer_store_dword v15, off, s[56:59], 0 offset:52 ; 4-byte Folded Spill
	v_lshlrev_b32_e32 v7, 4, v0
	buffer_store_dword v0, off, s[56:59], 0 offset:32 ; 4-byte Folded Spill
	v_lshl_or_b32 v5, v15, 6, v5
	v_add_nc_u32_e32 v0, 1, v6
	v_lshlrev_b32_e32 v3, 2, v20
	v_mov_b32_e32 v28, 0
	v_lshlrev_b32_e32 v27, 7, v20
	v_add_nc_u32_e32 v51, 0x120, v5
	buffer_store_dword v0, off, s[56:59], 0 offset:36 ; 4-byte Folded Spill
	s_waitcnt lgkmcnt(0)
	s_add_u32 s47, s2, s18
	s_addc_u32 s3, s3, s4
	s_abs_i32 s46, s22
	s_lshl_b64 s[48:49], s[36:37], 2
	v_cvt_f32_u32_e32 v1, s46
	s_sub_i32 s4, 0, s46
	v_cmp_neq_f32_e64 s2, s43, 0
	v_lshl_add_u32 v44, v15, 4, s42
	v_mov_b32_e32 v45, 0x80
	v_rcp_iflag_f32_e32 v4, v1
	v_lshlrev_b64 v[1:2], 2, v[25:26]
	v_mov_b32_e32 v47, 0xff
	v_mov_b32_e32 v53, v25
	v_cmp_eq_u32_e32 vcc_lo, 0, v20
	v_mul_f32_e32 v4, 0x4f7ffffe, v4
	v_cvt_u32_f32_e32 v4, v4
	v_mul_lo_u32 v5, s4, v4
	v_add_co_u32 v6, s4, s47, v7
	v_add_co_ci_u32_e64 v7, null, s3, 0, s4
	s_add_u32 s3, s34, s48
	s_addc_u32 s4, s35, s49
	v_add_co_u32 v29, s3, s3, v1
	v_mul_hi_u32 v5, v4, v5
	v_add_co_ci_u32_e64 v30, null, s4, v2, s3
	v_add_co_u32 v0, s3, v6, v3
	v_add_co_ci_u32_e64 v1, null, 0, v7, s3
	buffer_store_dword v0, off, s[56:59], 0 offset:20 ; 4-byte Folded Spill
	buffer_store_dword v1, off, s[56:59], 0 offset:24 ; 4-byte Folded Spill
	v_add_nc_u32_e32 v0, v4, v5
	s_mov_b32 s47, 0
	s_mov_b32 s48, s17
	buffer_store_dword v27, off, s[56:59], 0 offset:28 ; 4-byte Folded Spill
	buffer_store_dword v0, off, s[56:59], 0 ; 4-byte Folded Spill
	s_branch .LBB355_13
.LBB355_11:                             ;   in Loop: Header=BB355_13 Depth=1
	s_or_b32 exec_lo, exec_lo, s4
.LBB355_12:                             ;   in Loop: Header=BB355_13 Depth=1
	s_or_b32 exec_lo, exec_lo, s49
	v_add_nc_u32_e32 v53, 4, v53
	v_add_co_u32 v29, s4, v29, 16
	v_add_co_ci_u32_e64 v30, null, 0, v30, s4
	v_cmp_le_i32_e64 s3, s20, v53
	v_add_nc_u32_e32 v44, 64, v44
	v_add_nc_u32_e32 v51, 0x100, v51
	s_or_b32 s47, s3, s47
	s_andn2_b32 exec_lo, exec_lo, s47
	s_cbranch_execz .LBB355_532
.LBB355_13:                             ; =>This Inner Loop Header: Depth=1
	buffer_load_dword v0, off, s[56:59], 0  ; 4-byte Folded Reload
	v_sub_nc_u32_e32 v1, 0, v44
	v_max_i32_e32 v1, v44, v1
	s_waitcnt lgkmcnt(0)
	v_mul_hi_u32 v2, v1, s16
	v_mul_lo_u32 v3, v2, s11
	v_sub_nc_u32_e32 v1, v1, v3
	v_add_nc_u32_e32 v3, 1, v2
	v_subrev_nc_u32_e32 v4, s11, v1
	v_cmp_le_u32_e64 s3, s11, v1
	v_cndmask_b32_e64 v2, v2, v3, s3
	v_cndmask_b32_e64 v1, v1, v4, s3
	v_ashrrev_i32_e32 v3, 31, v44
	v_add_nc_u32_e32 v4, 1, v2
	v_cmp_le_u32_e64 s3, s11, v1
	v_xor_b32_e32 v3, s23, v3
	v_cndmask_b32_e64 v1, v2, v4, s3
	v_xor_b32_e32 v1, v1, v3
	v_sub_nc_u32_e32 v1, v1, v3
	v_add_nc_u32_e32 v2, s19, v1
	v_cmp_ge_i32_e64 s4, s5, v1
	v_sub_nc_u32_e32 v3, 0, v2
	v_max_i32_e32 v3, v2, v3
	v_ashrrev_i32_e32 v2, 31, v2
	s_waitcnt vmcnt(0)
	v_mul_hi_u32 v4, v3, v0
	v_mul_lo_u32 v4, v4, s46
	v_sub_nc_u32_e32 v3, v3, v4
	v_subrev_nc_u32_e32 v4, s46, v3
	v_cmp_le_u32_e64 s3, s46, v3
	v_cndmask_b32_e64 v3, v3, v4, s3
	v_subrev_nc_u32_e32 v4, s46, v3
	v_cmp_le_u32_e64 s3, s46, v3
	v_cndmask_b32_e64 v3, v3, v4, s3
	v_xor_b32_e32 v3, v3, v2
	v_sub_nc_u32_e32 v2, v3, v2
	v_cmp_ne_u32_e64 s3, 0, v2
	s_and_b32 s3, s3, s4
	s_and_saveexec_b32 s4, s3
	s_xor_b32 s3, exec_lo, s4
	s_cbranch_execz .LBB355_17
; %bb.14:                               ;   in Loop: Header=BB355_13 Depth=1
	s_and_saveexec_b32 s4, vcc_lo
; %bb.15:                               ;   in Loop: Header=BB355_13 Depth=1
	v_mov_b32_e32 v1, 0xff7fffff
	ds_write_b32 v51, v1
; %bb.16:                               ;   in Loop: Header=BB355_13 Depth=1
	s_or_b32 exec_lo, exec_lo, s4
.LBB355_17:                             ;   in Loop: Header=BB355_13 Depth=1
	s_andn2_saveexec_b32 s49, s3
	s_cbranch_execz .LBB355_12
; %bb.18:                               ;   in Loop: Header=BB355_13 Depth=1
	global_load_dword v1, v[29:30], off
	s_clause 0x1
	buffer_load_dword v2, off, s[56:59], 0 offset:20
	buffer_load_dword v3, off, s[56:59], 0 offset:24
	v_mov_b32_e32 v31, 0
	v_mov_b32_e32 v32, 0
	s_waitcnt vmcnt(0)
	v_mad_i64_i32 v[33:34], null, v1, s48, v[2:3]
	global_load_dword v35, v[33:34], off
	ds_read_b128 v[21:24], v27
	ds_read_b128 v[17:20], v27 offset:16
	ds_read_b128 v[13:16], v27 offset:32
	;; [unrolled: 1-line block ×5, first 2 shown]
	ds_read_b32 v0, v27 offset:96
	s_load_dword s50, s[12:13], 0x0
	s_waitcnt lgkmcnt(0)
	buffer_store_dword v0, off, s[56:59], 0 offset:8 ; 4-byte Folded Spill
	ds_read_u16 v0, v27 offset:100
	s_waitcnt lgkmcnt(0)
	buffer_store_dword v0, off, s[56:59], 0 offset:4 ; 4-byte Folded Spill
	s_waitcnt vmcnt(0)
	v_cmp_ne_u16_sdwa s3, v35, v28 src0_sel:BYTE_0 src1_sel:DWORD
	s_and_saveexec_b32 s4, s3
	s_cbranch_execz .LBB355_26
; %bb.19:                               ;   in Loop: Header=BB355_13 Depth=1
	v_cmp_ne_u16_sdwa s3, v35, v45 src0_sel:BYTE_0 src1_sel:DWORD
	v_bfrev_b32_e32 v32, 1
	s_and_saveexec_b32 s51, s3
	s_cbranch_execz .LBB355_25
; %bb.20:                               ;   in Loop: Header=BB355_13 Depth=1
	v_and_b32_e32 v37, 0x7f, v35
	v_mov_b32_e32 v32, 0x7f800001
	s_mov_b32 s52, exec_lo
	v_cmpx_ne_u32_e32 0x7f, v37
	s_cbranch_execz .LBB355_24
; %bb.21:                               ;   in Loop: Header=BB355_13 Depth=1
	v_and_b32_e32 v27, 7, v35
	v_lshrrev_b32_e32 v36, 3, v37
	s_mov_b32 s53, exec_lo
	v_cmpx_gt_u32_e32 8, v37
; %bb.22:                               ;   in Loop: Header=BB355_13 Depth=1
	v_ffbh_u32_e32 v36, v27
	v_min_u32_e32 v36, 32, v36
	v_subrev_nc_u32_e32 v37, 28, v36
	v_sub_nc_u32_e32 v36, 29, v36
	v_lshlrev_b64 v[57:58], v37, v[27:28]
	v_and_b32_e32 v27, 7, v57
; %bb.23:                               ;   in Loop: Header=BB355_13 Depth=1
	s_or_b32 exec_lo, exec_lo, s53
	v_lshlrev_b32_e32 v37, 24, v35
	v_lshlrev_b32_e32 v27, 20, v27
	v_lshl_add_u32 v36, v36, 23, 0x3c000000
	v_and_b32_e32 v37, 0x80000000, v37
	v_or3_b32 v32, v27, v37, v36
.LBB355_24:                             ;   in Loop: Header=BB355_13 Depth=1
	s_or_b32 exec_lo, exec_lo, s52
.LBB355_25:                             ;   in Loop: Header=BB355_13 Depth=1
	s_or_b32 exec_lo, exec_lo, s51
.LBB355_26:                             ;   in Loop: Header=BB355_13 Depth=1
	s_or_b32 exec_lo, exec_lo, s4
	v_cmp_ne_u16_sdwa s3, v35, v28 src0_sel:BYTE_1 src1_sel:DWORD
	s_and_saveexec_b32 s4, s3
	s_cbranch_execz .LBB355_34
; %bb.27:                               ;   in Loop: Header=BB355_13 Depth=1
	v_cmp_ne_u16_sdwa s3, v35, v45 src0_sel:BYTE_1 src1_sel:DWORD
	v_bfrev_b32_e32 v31, 1
	s_and_saveexec_b32 s51, s3
	s_cbranch_execz .LBB355_33
; %bb.28:                               ;   in Loop: Header=BB355_13 Depth=1
	v_mov_b32_e32 v0, 0xffff
	v_mov_b32_e32 v31, 0x7f800001
	s_mov_b32 s52, exec_lo
	v_and_b32_sdwa v27, v0, v35 dst_sel:DWORD dst_unused:UNUSED_PAD src0_sel:DWORD src1_sel:BYTE_1
	v_and_b32_e32 v37, 0x7f, v27
	v_cmpx_ne_u32_e32 0x7f, v37
	s_cbranch_execz .LBB355_32
; %bb.29:                               ;   in Loop: Header=BB355_13 Depth=1
	v_and_b32_e32 v27, 7, v27
	v_lshrrev_b32_e32 v36, 3, v37
	s_mov_b32 s53, exec_lo
	v_cmpx_gt_u32_e32 8, v37
; %bb.30:                               ;   in Loop: Header=BB355_13 Depth=1
	v_ffbh_u32_e32 v36, v27
	v_min_u32_e32 v36, 32, v36
	v_subrev_nc_u32_e32 v37, 28, v36
	v_sub_nc_u32_e32 v36, 29, v36
	v_lshlrev_b64 v[58:59], v37, v[27:28]
	v_and_b32_e32 v27, 7, v58
; %bb.31:                               ;   in Loop: Header=BB355_13 Depth=1
	s_or_b32 exec_lo, exec_lo, s53
	v_lshlrev_b32_e32 v37, 16, v35
	v_lshlrev_b32_e32 v27, 20, v27
	v_lshl_add_u32 v36, v36, 23, 0x3c000000
	v_and_b32_e32 v37, 0x80000000, v37
	v_or3_b32 v31, v27, v37, v36
.LBB355_32:                             ;   in Loop: Header=BB355_13 Depth=1
	s_or_b32 exec_lo, exec_lo, s52
.LBB355_33:                             ;   in Loop: Header=BB355_13 Depth=1
	s_or_b32 exec_lo, exec_lo, s51
.LBB355_34:                             ;   in Loop: Header=BB355_13 Depth=1
	s_or_b32 exec_lo, exec_lo, s4
	v_and_b32_sdwa v27, v35, v47 dst_sel:DWORD dst_unused:UNUSED_PAD src0_sel:WORD_1 src1_sel:DWORD
	v_mov_b32_e32 v39, 0
	v_mov_b32_e32 v40, 0
	s_mov_b32 s4, exec_lo
	v_cmpx_ne_u16_e32 0, v27
	s_cbranch_execz .LBB355_42
; %bb.35:                               ;   in Loop: Header=BB355_13 Depth=1
	v_bfrev_b32_e32 v40, 1
	s_mov_b32 s51, exec_lo
	v_cmpx_ne_u16_e32 0x80, v27
	s_cbranch_execz .LBB355_41
; %bb.36:                               ;   in Loop: Header=BB355_13 Depth=1
	v_bfe_u32 v37, v35, 16, 7
	v_mov_b32_e32 v40, 0x7f800001
	s_mov_b32 s52, exec_lo
	v_cmpx_ne_u32_e32 0x7f, v37
	s_cbranch_execz .LBB355_40
; %bb.37:                               ;   in Loop: Header=BB355_13 Depth=1
	v_mov_b32_e32 v0, 7
	v_lshrrev_b32_e32 v36, 3, v37
	s_mov_b32 s53, exec_lo
	v_and_b32_sdwa v27, v35, v0 dst_sel:DWORD dst_unused:UNUSED_PAD src0_sel:WORD_1 src1_sel:DWORD
	v_cmpx_gt_u32_e32 8, v37
; %bb.38:                               ;   in Loop: Header=BB355_13 Depth=1
	v_ffbh_u32_e32 v36, v27
	v_min_u32_e32 v36, 32, v36
	v_subrev_nc_u32_e32 v37, 28, v36
	v_sub_nc_u32_e32 v36, 29, v36
	v_lshlrev_b64 v[59:60], v37, v[27:28]
	v_and_b32_e32 v27, 7, v59
; %bb.39:                               ;   in Loop: Header=BB355_13 Depth=1
	s_or_b32 exec_lo, exec_lo, s53
	v_mov_b32_e32 v0, 24
	v_lshlrev_b32_e32 v27, 20, v27
	v_lshl_add_u32 v36, v36, 23, 0x3c000000
	v_lshlrev_b32_sdwa v37, v0, v35 dst_sel:DWORD dst_unused:UNUSED_PAD src0_sel:DWORD src1_sel:WORD_1
	v_and_b32_e32 v37, 0x80000000, v37
	v_or3_b32 v40, v27, v37, v36
.LBB355_40:                             ;   in Loop: Header=BB355_13 Depth=1
	s_or_b32 exec_lo, exec_lo, s52
.LBB355_41:                             ;   in Loop: Header=BB355_13 Depth=1
	s_or_b32 exec_lo, exec_lo, s51
.LBB355_42:                             ;   in Loop: Header=BB355_13 Depth=1
	s_or_b32 exec_lo, exec_lo, s4
	s_mov_b32 s4, exec_lo
	v_cmpx_lt_u32_e32 0xffffff, v35
	s_cbranch_execz .LBB355_50
; %bb.43:                               ;   in Loop: Header=BB355_13 Depth=1
	v_cmp_ne_u32_sdwa s3, v35, v45 src0_sel:BYTE_3 src1_sel:DWORD
	v_bfrev_b32_e32 v39, 1
	s_and_saveexec_b32 s51, s3
	s_cbranch_execz .LBB355_49
; %bb.44:                               ;   in Loop: Header=BB355_13 Depth=1
	v_bfe_u32 v37, v35, 24, 7
	v_mov_b32_e32 v39, 0x7f800001
	s_mov_b32 s52, exec_lo
	v_cmpx_ne_u32_e32 0x7f, v37
	s_cbranch_execz .LBB355_48
; %bb.45:                               ;   in Loop: Header=BB355_13 Depth=1
	v_mov_b32_e32 v0, 7
	v_lshrrev_b32_e32 v36, 3, v37
	s_mov_b32 s53, exec_lo
	v_and_b32_sdwa v27, v35, v0 dst_sel:DWORD dst_unused:UNUSED_PAD src0_sel:BYTE_3 src1_sel:DWORD
	v_cmpx_gt_u32_e32 8, v37
; %bb.46:                               ;   in Loop: Header=BB355_13 Depth=1
	v_ffbh_u32_e32 v36, v27
	v_min_u32_e32 v36, 32, v36
	v_subrev_nc_u32_e32 v37, 28, v36
	v_sub_nc_u32_e32 v36, 29, v36
	v_lshlrev_b64 v[60:61], v37, v[27:28]
	v_and_b32_e32 v27, 7, v60
; %bb.47:                               ;   in Loop: Header=BB355_13 Depth=1
	s_or_b32 exec_lo, exec_lo, s53
	v_mov_b32_e32 v0, 24
	v_lshlrev_b32_e32 v27, 20, v27
	v_lshl_add_u32 v36, v36, 23, 0x3c000000
	v_lshlrev_b32_sdwa v35, v0, v35 dst_sel:DWORD dst_unused:UNUSED_PAD src0_sel:DWORD src1_sel:BYTE_3
	v_and_b32_e32 v35, 0x80000000, v35
	v_or3_b32 v39, v27, v35, v36
.LBB355_48:                             ;   in Loop: Header=BB355_13 Depth=1
	s_or_b32 exec_lo, exec_lo, s52
.LBB355_49:                             ;   in Loop: Header=BB355_13 Depth=1
	s_or_b32 exec_lo, exec_lo, s51
.LBB355_50:                             ;   in Loop: Header=BB355_13 Depth=1
	s_or_b32 exec_lo, exec_lo, s4
	global_load_dword v35, v[33:34], off offset:8
	v_mov_b32_e32 v41, 0
	v_mov_b32_e32 v42, 0
	s_waitcnt vmcnt(0)
	v_cmp_ne_u16_sdwa s3, v35, v28 src0_sel:BYTE_0 src1_sel:DWORD
	s_and_saveexec_b32 s4, s3
	s_cbranch_execz .LBB355_58
; %bb.51:                               ;   in Loop: Header=BB355_13 Depth=1
	v_cmp_ne_u16_sdwa s3, v35, v45 src0_sel:BYTE_0 src1_sel:DWORD
	v_bfrev_b32_e32 v42, 1
	s_and_saveexec_b32 s51, s3
	s_cbranch_execz .LBB355_57
; %bb.52:                               ;   in Loop: Header=BB355_13 Depth=1
	v_and_b32_e32 v37, 0x7f, v35
	v_mov_b32_e32 v42, 0x7f800001
	s_mov_b32 s52, exec_lo
	v_cmpx_ne_u32_e32 0x7f, v37
	s_cbranch_execz .LBB355_56
; %bb.53:                               ;   in Loop: Header=BB355_13 Depth=1
	v_and_b32_e32 v27, 7, v35
	v_lshrrev_b32_e32 v36, 3, v37
	s_mov_b32 s53, exec_lo
	v_cmpx_gt_u32_e32 8, v37
; %bb.54:                               ;   in Loop: Header=BB355_13 Depth=1
	v_ffbh_u32_e32 v36, v27
	v_min_u32_e32 v36, 32, v36
	v_subrev_nc_u32_e32 v37, 28, v36
	v_sub_nc_u32_e32 v36, 29, v36
	v_lshlrev_b64 v[61:62], v37, v[27:28]
	v_and_b32_e32 v27, 7, v61
; %bb.55:                               ;   in Loop: Header=BB355_13 Depth=1
	s_or_b32 exec_lo, exec_lo, s53
	v_lshlrev_b32_e32 v37, 24, v35
	v_lshlrev_b32_e32 v27, 20, v27
	v_lshl_add_u32 v36, v36, 23, 0x3c000000
	v_and_b32_e32 v37, 0x80000000, v37
	v_or3_b32 v42, v27, v37, v36
.LBB355_56:                             ;   in Loop: Header=BB355_13 Depth=1
	s_or_b32 exec_lo, exec_lo, s52
.LBB355_57:                             ;   in Loop: Header=BB355_13 Depth=1
	s_or_b32 exec_lo, exec_lo, s51
.LBB355_58:                             ;   in Loop: Header=BB355_13 Depth=1
	s_or_b32 exec_lo, exec_lo, s4
	v_cmp_ne_u16_sdwa s3, v35, v28 src0_sel:BYTE_1 src1_sel:DWORD
	s_and_saveexec_b32 s4, s3
	s_cbranch_execz .LBB355_66
; %bb.59:                               ;   in Loop: Header=BB355_13 Depth=1
	v_cmp_ne_u16_sdwa s3, v35, v45 src0_sel:BYTE_1 src1_sel:DWORD
	v_bfrev_b32_e32 v41, 1
	s_and_saveexec_b32 s51, s3
	s_cbranch_execz .LBB355_65
; %bb.60:                               ;   in Loop: Header=BB355_13 Depth=1
	v_mov_b32_e32 v0, 0xffff
	v_mov_b32_e32 v41, 0x7f800001
	s_mov_b32 s52, exec_lo
	v_and_b32_sdwa v27, v0, v35 dst_sel:DWORD dst_unused:UNUSED_PAD src0_sel:DWORD src1_sel:BYTE_1
	v_and_b32_e32 v37, 0x7f, v27
	v_cmpx_ne_u32_e32 0x7f, v37
	s_cbranch_execz .LBB355_64
; %bb.61:                               ;   in Loop: Header=BB355_13 Depth=1
	v_and_b32_e32 v27, 7, v27
	v_lshrrev_b32_e32 v36, 3, v37
	s_mov_b32 s53, exec_lo
	v_cmpx_gt_u32_e32 8, v37
; %bb.62:                               ;   in Loop: Header=BB355_13 Depth=1
	v_ffbh_u32_e32 v36, v27
	v_min_u32_e32 v36, 32, v36
	v_subrev_nc_u32_e32 v37, 28, v36
	v_sub_nc_u32_e32 v36, 29, v36
	v_lshlrev_b64 v[62:63], v37, v[27:28]
	v_and_b32_e32 v27, 7, v62
; %bb.63:                               ;   in Loop: Header=BB355_13 Depth=1
	s_or_b32 exec_lo, exec_lo, s53
	v_lshlrev_b32_e32 v37, 16, v35
	v_lshlrev_b32_e32 v27, 20, v27
	v_lshl_add_u32 v36, v36, 23, 0x3c000000
	v_and_b32_e32 v37, 0x80000000, v37
	v_or3_b32 v41, v27, v37, v36
.LBB355_64:                             ;   in Loop: Header=BB355_13 Depth=1
	s_or_b32 exec_lo, exec_lo, s52
.LBB355_65:                             ;   in Loop: Header=BB355_13 Depth=1
	s_or_b32 exec_lo, exec_lo, s51
.LBB355_66:                             ;   in Loop: Header=BB355_13 Depth=1
	s_or_b32 exec_lo, exec_lo, s4
	v_and_b32_sdwa v27, v35, v47 dst_sel:DWORD dst_unused:UNUSED_PAD src0_sel:WORD_1 src1_sel:DWORD
	v_mov_b32_e32 v46, 0
	v_mov_b32_e32 v48, 0
	s_mov_b32 s4, exec_lo
	v_cmpx_ne_u16_e32 0, v27
	s_cbranch_execz .LBB355_74
; %bb.67:                               ;   in Loop: Header=BB355_13 Depth=1
	v_bfrev_b32_e32 v48, 1
	s_mov_b32 s51, exec_lo
	v_cmpx_ne_u16_e32 0x80, v27
	s_cbranch_execz .LBB355_73
; %bb.68:                               ;   in Loop: Header=BB355_13 Depth=1
	v_bfe_u32 v37, v35, 16, 7
	v_mov_b32_e32 v48, 0x7f800001
	s_mov_b32 s52, exec_lo
	v_cmpx_ne_u32_e32 0x7f, v37
	s_cbranch_execz .LBB355_72
; %bb.69:                               ;   in Loop: Header=BB355_13 Depth=1
	v_mov_b32_e32 v0, 7
	v_lshrrev_b32_e32 v36, 3, v37
	s_mov_b32 s53, exec_lo
	v_and_b32_sdwa v27, v35, v0 dst_sel:DWORD dst_unused:UNUSED_PAD src0_sel:WORD_1 src1_sel:DWORD
	v_cmpx_gt_u32_e32 8, v37
; %bb.70:                               ;   in Loop: Header=BB355_13 Depth=1
	v_ffbh_u32_e32 v36, v27
	v_min_u32_e32 v36, 32, v36
	v_subrev_nc_u32_e32 v37, 28, v36
	v_sub_nc_u32_e32 v36, 29, v36
	v_lshlrev_b64 v[63:64], v37, v[27:28]
	v_and_b32_e32 v27, 7, v63
; %bb.71:                               ;   in Loop: Header=BB355_13 Depth=1
	s_or_b32 exec_lo, exec_lo, s53
	v_mov_b32_e32 v0, 24
	v_lshlrev_b32_e32 v27, 20, v27
	v_lshl_add_u32 v36, v36, 23, 0x3c000000
	v_lshlrev_b32_sdwa v37, v0, v35 dst_sel:DWORD dst_unused:UNUSED_PAD src0_sel:DWORD src1_sel:WORD_1
	v_and_b32_e32 v37, 0x80000000, v37
	v_or3_b32 v48, v27, v37, v36
.LBB355_72:                             ;   in Loop: Header=BB355_13 Depth=1
	s_or_b32 exec_lo, exec_lo, s52
.LBB355_73:                             ;   in Loop: Header=BB355_13 Depth=1
	s_or_b32 exec_lo, exec_lo, s51
.LBB355_74:                             ;   in Loop: Header=BB355_13 Depth=1
	s_or_b32 exec_lo, exec_lo, s4
	s_mov_b32 s4, exec_lo
	v_cmpx_lt_u32_e32 0xffffff, v35
	s_cbranch_execz .LBB355_82
; %bb.75:                               ;   in Loop: Header=BB355_13 Depth=1
	v_cmp_ne_u32_sdwa s3, v35, v45 src0_sel:BYTE_3 src1_sel:DWORD
	v_bfrev_b32_e32 v46, 1
	s_and_saveexec_b32 s51, s3
	s_cbranch_execz .LBB355_81
; %bb.76:                               ;   in Loop: Header=BB355_13 Depth=1
	v_bfe_u32 v37, v35, 24, 7
	v_mov_b32_e32 v46, 0x7f800001
	s_mov_b32 s52, exec_lo
	v_cmpx_ne_u32_e32 0x7f, v37
	s_cbranch_execz .LBB355_80
; %bb.77:                               ;   in Loop: Header=BB355_13 Depth=1
	v_mov_b32_e32 v0, 7
	v_lshrrev_b32_e32 v36, 3, v37
	s_mov_b32 s53, exec_lo
	v_and_b32_sdwa v27, v35, v0 dst_sel:DWORD dst_unused:UNUSED_PAD src0_sel:BYTE_3 src1_sel:DWORD
	v_cmpx_gt_u32_e32 8, v37
; %bb.78:                               ;   in Loop: Header=BB355_13 Depth=1
	v_ffbh_u32_e32 v36, v27
	v_min_u32_e32 v36, 32, v36
	v_subrev_nc_u32_e32 v37, 28, v36
	v_sub_nc_u32_e32 v36, 29, v36
	v_lshlrev_b64 v[64:65], v37, v[27:28]
	v_and_b32_e32 v27, 7, v64
; %bb.79:                               ;   in Loop: Header=BB355_13 Depth=1
	s_or_b32 exec_lo, exec_lo, s53
	v_mov_b32_e32 v0, 24
	v_lshlrev_b32_e32 v27, 20, v27
	v_lshl_add_u32 v36, v36, 23, 0x3c000000
	v_lshlrev_b32_sdwa v35, v0, v35 dst_sel:DWORD dst_unused:UNUSED_PAD src0_sel:DWORD src1_sel:BYTE_3
	v_and_b32_e32 v35, 0x80000000, v35
	v_or3_b32 v46, v27, v35, v36
.LBB355_80:                             ;   in Loop: Header=BB355_13 Depth=1
	s_or_b32 exec_lo, exec_lo, s52
.LBB355_81:                             ;   in Loop: Header=BB355_13 Depth=1
	s_or_b32 exec_lo, exec_lo, s51
.LBB355_82:                             ;   in Loop: Header=BB355_13 Depth=1
	s_or_b32 exec_lo, exec_lo, s4
	global_load_dword v35, v[33:34], off offset:256
	v_mov_b32_e32 v49, 0
	v_mov_b32_e32 v50, 0
	s_waitcnt vmcnt(0)
	v_cmp_ne_u16_sdwa s3, v35, v28 src0_sel:BYTE_0 src1_sel:DWORD
	s_and_saveexec_b32 s4, s3
	s_cbranch_execz .LBB355_90
; %bb.83:                               ;   in Loop: Header=BB355_13 Depth=1
	v_cmp_ne_u16_sdwa s3, v35, v45 src0_sel:BYTE_0 src1_sel:DWORD
	v_bfrev_b32_e32 v50, 1
	s_and_saveexec_b32 s51, s3
	s_cbranch_execz .LBB355_89
; %bb.84:                               ;   in Loop: Header=BB355_13 Depth=1
	v_and_b32_e32 v37, 0x7f, v35
	v_mov_b32_e32 v50, 0x7f800001
	s_mov_b32 s52, exec_lo
	v_cmpx_ne_u32_e32 0x7f, v37
	s_cbranch_execz .LBB355_88
; %bb.85:                               ;   in Loop: Header=BB355_13 Depth=1
	v_and_b32_e32 v27, 7, v35
	v_lshrrev_b32_e32 v36, 3, v37
	s_mov_b32 s53, exec_lo
	v_cmpx_gt_u32_e32 8, v37
; %bb.86:                               ;   in Loop: Header=BB355_13 Depth=1
	v_ffbh_u32_e32 v36, v27
	v_min_u32_e32 v36, 32, v36
	v_subrev_nc_u32_e32 v37, 28, v36
	v_sub_nc_u32_e32 v36, 29, v36
	v_lshlrev_b64 v[65:66], v37, v[27:28]
	v_and_b32_e32 v27, 7, v65
; %bb.87:                               ;   in Loop: Header=BB355_13 Depth=1
	s_or_b32 exec_lo, exec_lo, s53
	v_lshlrev_b32_e32 v37, 24, v35
	v_lshlrev_b32_e32 v27, 20, v27
	v_lshl_add_u32 v36, v36, 23, 0x3c000000
	v_and_b32_e32 v37, 0x80000000, v37
	v_or3_b32 v50, v27, v37, v36
.LBB355_88:                             ;   in Loop: Header=BB355_13 Depth=1
	s_or_b32 exec_lo, exec_lo, s52
.LBB355_89:                             ;   in Loop: Header=BB355_13 Depth=1
	s_or_b32 exec_lo, exec_lo, s51
.LBB355_90:                             ;   in Loop: Header=BB355_13 Depth=1
	s_or_b32 exec_lo, exec_lo, s4
	v_cmp_ne_u16_sdwa s3, v35, v28 src0_sel:BYTE_1 src1_sel:DWORD
	s_and_saveexec_b32 s4, s3
	s_cbranch_execz .LBB355_98
; %bb.91:                               ;   in Loop: Header=BB355_13 Depth=1
	v_cmp_ne_u16_sdwa s3, v35, v45 src0_sel:BYTE_1 src1_sel:DWORD
	v_bfrev_b32_e32 v49, 1
	s_and_saveexec_b32 s51, s3
	s_cbranch_execz .LBB355_97
; %bb.92:                               ;   in Loop: Header=BB355_13 Depth=1
	v_mov_b32_e32 v0, 0xffff
	v_mov_b32_e32 v49, 0x7f800001
	s_mov_b32 s52, exec_lo
	v_and_b32_sdwa v27, v0, v35 dst_sel:DWORD dst_unused:UNUSED_PAD src0_sel:DWORD src1_sel:BYTE_1
	v_and_b32_e32 v37, 0x7f, v27
	v_cmpx_ne_u32_e32 0x7f, v37
	s_cbranch_execz .LBB355_96
; %bb.93:                               ;   in Loop: Header=BB355_13 Depth=1
	v_and_b32_e32 v27, 7, v27
	v_lshrrev_b32_e32 v36, 3, v37
	s_mov_b32 s53, exec_lo
	v_cmpx_gt_u32_e32 8, v37
; %bb.94:                               ;   in Loop: Header=BB355_13 Depth=1
	v_ffbh_u32_e32 v36, v27
	v_min_u32_e32 v36, 32, v36
	v_subrev_nc_u32_e32 v37, 28, v36
	v_sub_nc_u32_e32 v36, 29, v36
	v_lshlrev_b64 v[66:67], v37, v[27:28]
	v_and_b32_e32 v27, 7, v66
; %bb.95:                               ;   in Loop: Header=BB355_13 Depth=1
	s_or_b32 exec_lo, exec_lo, s53
	v_lshlrev_b32_e32 v37, 16, v35
	v_lshlrev_b32_e32 v27, 20, v27
	v_lshl_add_u32 v36, v36, 23, 0x3c000000
	v_and_b32_e32 v37, 0x80000000, v37
	v_or3_b32 v49, v27, v37, v36
.LBB355_96:                             ;   in Loop: Header=BB355_13 Depth=1
	s_or_b32 exec_lo, exec_lo, s52
.LBB355_97:                             ;   in Loop: Header=BB355_13 Depth=1
	s_or_b32 exec_lo, exec_lo, s51
.LBB355_98:                             ;   in Loop: Header=BB355_13 Depth=1
	s_or_b32 exec_lo, exec_lo, s4
	v_and_b32_sdwa v27, v35, v47 dst_sel:DWORD dst_unused:UNUSED_PAD src0_sel:WORD_1 src1_sel:DWORD
	v_mov_b32_e32 v52, 0
	v_mov_b32_e32 v54, 0
	s_mov_b32 s4, exec_lo
	v_cmpx_ne_u16_e32 0, v27
	s_cbranch_execz .LBB355_106
; %bb.99:                               ;   in Loop: Header=BB355_13 Depth=1
	v_bfrev_b32_e32 v54, 1
	s_mov_b32 s51, exec_lo
	v_cmpx_ne_u16_e32 0x80, v27
	s_cbranch_execz .LBB355_105
; %bb.100:                              ;   in Loop: Header=BB355_13 Depth=1
	v_bfe_u32 v37, v35, 16, 7
	v_mov_b32_e32 v54, 0x7f800001
	s_mov_b32 s52, exec_lo
	v_cmpx_ne_u32_e32 0x7f, v37
	s_cbranch_execz .LBB355_104
; %bb.101:                              ;   in Loop: Header=BB355_13 Depth=1
	v_mov_b32_e32 v0, 7
	v_lshrrev_b32_e32 v36, 3, v37
	s_mov_b32 s53, exec_lo
	v_and_b32_sdwa v27, v35, v0 dst_sel:DWORD dst_unused:UNUSED_PAD src0_sel:WORD_1 src1_sel:DWORD
	v_cmpx_gt_u32_e32 8, v37
; %bb.102:                              ;   in Loop: Header=BB355_13 Depth=1
	v_ffbh_u32_e32 v36, v27
	v_min_u32_e32 v36, 32, v36
	v_subrev_nc_u32_e32 v37, 28, v36
	v_sub_nc_u32_e32 v36, 29, v36
	v_lshlrev_b64 v[67:68], v37, v[27:28]
	v_and_b32_e32 v27, 7, v67
; %bb.103:                              ;   in Loop: Header=BB355_13 Depth=1
	s_or_b32 exec_lo, exec_lo, s53
	v_mov_b32_e32 v0, 24
	v_lshlrev_b32_e32 v27, 20, v27
	v_lshl_add_u32 v36, v36, 23, 0x3c000000
	v_lshlrev_b32_sdwa v37, v0, v35 dst_sel:DWORD dst_unused:UNUSED_PAD src0_sel:DWORD src1_sel:WORD_1
	v_and_b32_e32 v37, 0x80000000, v37
	v_or3_b32 v54, v27, v37, v36
.LBB355_104:                            ;   in Loop: Header=BB355_13 Depth=1
	s_or_b32 exec_lo, exec_lo, s52
.LBB355_105:                            ;   in Loop: Header=BB355_13 Depth=1
	s_or_b32 exec_lo, exec_lo, s51
.LBB355_106:                            ;   in Loop: Header=BB355_13 Depth=1
	s_or_b32 exec_lo, exec_lo, s4
	s_mov_b32 s4, exec_lo
	v_cmpx_lt_u32_e32 0xffffff, v35
	s_cbranch_execz .LBB355_114
; %bb.107:                              ;   in Loop: Header=BB355_13 Depth=1
	v_cmp_ne_u32_sdwa s3, v35, v45 src0_sel:BYTE_3 src1_sel:DWORD
	v_bfrev_b32_e32 v52, 1
	s_and_saveexec_b32 s51, s3
	s_cbranch_execz .LBB355_113
; %bb.108:                              ;   in Loop: Header=BB355_13 Depth=1
	v_bfe_u32 v37, v35, 24, 7
	v_mov_b32_e32 v52, 0x7f800001
	s_mov_b32 s52, exec_lo
	v_cmpx_ne_u32_e32 0x7f, v37
	s_cbranch_execz .LBB355_112
; %bb.109:                              ;   in Loop: Header=BB355_13 Depth=1
	v_mov_b32_e32 v0, 7
	v_lshrrev_b32_e32 v36, 3, v37
	s_mov_b32 s53, exec_lo
	v_and_b32_sdwa v27, v35, v0 dst_sel:DWORD dst_unused:UNUSED_PAD src0_sel:BYTE_3 src1_sel:DWORD
	v_cmpx_gt_u32_e32 8, v37
; %bb.110:                              ;   in Loop: Header=BB355_13 Depth=1
	v_ffbh_u32_e32 v36, v27
	v_min_u32_e32 v36, 32, v36
	v_subrev_nc_u32_e32 v37, 28, v36
	v_sub_nc_u32_e32 v36, 29, v36
	v_lshlrev_b64 v[68:69], v37, v[27:28]
	v_and_b32_e32 v27, 7, v68
; %bb.111:                              ;   in Loop: Header=BB355_13 Depth=1
	s_or_b32 exec_lo, exec_lo, s53
	v_mov_b32_e32 v0, 24
	v_lshlrev_b32_e32 v27, 20, v27
	v_lshl_add_u32 v36, v36, 23, 0x3c000000
	v_lshlrev_b32_sdwa v35, v0, v35 dst_sel:DWORD dst_unused:UNUSED_PAD src0_sel:DWORD src1_sel:BYTE_3
	v_and_b32_e32 v35, 0x80000000, v35
	v_or3_b32 v52, v27, v35, v36
.LBB355_112:                            ;   in Loop: Header=BB355_13 Depth=1
	s_or_b32 exec_lo, exec_lo, s52
.LBB355_113:                            ;   in Loop: Header=BB355_13 Depth=1
	s_or_b32 exec_lo, exec_lo, s51
.LBB355_114:                            ;   in Loop: Header=BB355_13 Depth=1
	s_or_b32 exec_lo, exec_lo, s4
	global_load_dword v35, v[33:34], off offset:264
	v_mov_b32_e32 v55, 0
	v_mov_b32_e32 v56, 0
	s_waitcnt vmcnt(0)
	v_cmp_ne_u16_sdwa s3, v35, v28 src0_sel:BYTE_0 src1_sel:DWORD
	s_and_saveexec_b32 s4, s3
	s_cbranch_execz .LBB355_122
; %bb.115:                              ;   in Loop: Header=BB355_13 Depth=1
	v_cmp_ne_u16_sdwa s3, v35, v45 src0_sel:BYTE_0 src1_sel:DWORD
	v_bfrev_b32_e32 v56, 1
	s_and_saveexec_b32 s51, s3
	s_cbranch_execz .LBB355_121
; %bb.116:                              ;   in Loop: Header=BB355_13 Depth=1
	v_and_b32_e32 v37, 0x7f, v35
	v_mov_b32_e32 v56, 0x7f800001
	s_mov_b32 s52, exec_lo
	v_cmpx_ne_u32_e32 0x7f, v37
	s_cbranch_execz .LBB355_120
; %bb.117:                              ;   in Loop: Header=BB355_13 Depth=1
	v_and_b32_e32 v27, 7, v35
	v_lshrrev_b32_e32 v36, 3, v37
	s_mov_b32 s53, exec_lo
	v_cmpx_gt_u32_e32 8, v37
; %bb.118:                              ;   in Loop: Header=BB355_13 Depth=1
	v_ffbh_u32_e32 v36, v27
	v_min_u32_e32 v36, 32, v36
	v_subrev_nc_u32_e32 v37, 28, v36
	v_sub_nc_u32_e32 v36, 29, v36
	v_lshlrev_b64 v[69:70], v37, v[27:28]
	v_and_b32_e32 v27, 7, v69
; %bb.119:                              ;   in Loop: Header=BB355_13 Depth=1
	s_or_b32 exec_lo, exec_lo, s53
	v_lshlrev_b32_e32 v37, 24, v35
	v_lshlrev_b32_e32 v27, 20, v27
	v_lshl_add_u32 v36, v36, 23, 0x3c000000
	v_and_b32_e32 v37, 0x80000000, v37
	v_or3_b32 v56, v27, v37, v36
.LBB355_120:                            ;   in Loop: Header=BB355_13 Depth=1
	s_or_b32 exec_lo, exec_lo, s52
.LBB355_121:                            ;   in Loop: Header=BB355_13 Depth=1
	s_or_b32 exec_lo, exec_lo, s51
.LBB355_122:                            ;   in Loop: Header=BB355_13 Depth=1
	s_or_b32 exec_lo, exec_lo, s4
	v_cmp_ne_u16_sdwa s3, v35, v28 src0_sel:BYTE_1 src1_sel:DWORD
	s_and_saveexec_b32 s4, s3
	s_cbranch_execz .LBB355_130
; %bb.123:                              ;   in Loop: Header=BB355_13 Depth=1
	v_cmp_ne_u16_sdwa s3, v35, v45 src0_sel:BYTE_1 src1_sel:DWORD
	v_bfrev_b32_e32 v55, 1
	s_and_saveexec_b32 s51, s3
	s_cbranch_execz .LBB355_129
; %bb.124:                              ;   in Loop: Header=BB355_13 Depth=1
	v_mov_b32_e32 v0, 0xffff
	v_mov_b32_e32 v55, 0x7f800001
	s_mov_b32 s52, exec_lo
	v_and_b32_sdwa v27, v0, v35 dst_sel:DWORD dst_unused:UNUSED_PAD src0_sel:DWORD src1_sel:BYTE_1
	v_and_b32_e32 v37, 0x7f, v27
	v_cmpx_ne_u32_e32 0x7f, v37
	s_cbranch_execz .LBB355_128
; %bb.125:                              ;   in Loop: Header=BB355_13 Depth=1
	v_and_b32_e32 v27, 7, v27
	v_lshrrev_b32_e32 v36, 3, v37
	s_mov_b32 s53, exec_lo
	v_cmpx_gt_u32_e32 8, v37
; %bb.126:                              ;   in Loop: Header=BB355_13 Depth=1
	v_ffbh_u32_e32 v36, v27
	v_min_u32_e32 v36, 32, v36
	v_subrev_nc_u32_e32 v37, 28, v36
	v_sub_nc_u32_e32 v36, 29, v36
	v_lshlrev_b64 v[70:71], v37, v[27:28]
	v_and_b32_e32 v27, 7, v70
; %bb.127:                              ;   in Loop: Header=BB355_13 Depth=1
	s_or_b32 exec_lo, exec_lo, s53
	v_lshlrev_b32_e32 v37, 16, v35
	v_lshlrev_b32_e32 v27, 20, v27
	v_lshl_add_u32 v36, v36, 23, 0x3c000000
	v_and_b32_e32 v37, 0x80000000, v37
	v_or3_b32 v55, v27, v37, v36
.LBB355_128:                            ;   in Loop: Header=BB355_13 Depth=1
	s_or_b32 exec_lo, exec_lo, s52
.LBB355_129:                            ;   in Loop: Header=BB355_13 Depth=1
	s_or_b32 exec_lo, exec_lo, s51
.LBB355_130:                            ;   in Loop: Header=BB355_13 Depth=1
	s_or_b32 exec_lo, exec_lo, s4
	v_and_b32_sdwa v27, v35, v47 dst_sel:DWORD dst_unused:UNUSED_PAD src0_sel:WORD_1 src1_sel:DWORD
	v_mov_b32_e32 v57, 0
	v_mov_b32_e32 v58, 0
	s_mov_b32 s4, exec_lo
	v_cmpx_ne_u16_e32 0, v27
	s_cbranch_execz .LBB355_138
; %bb.131:                              ;   in Loop: Header=BB355_13 Depth=1
	v_bfrev_b32_e32 v58, 1
	s_mov_b32 s51, exec_lo
	v_cmpx_ne_u16_e32 0x80, v27
	s_cbranch_execz .LBB355_137
; %bb.132:                              ;   in Loop: Header=BB355_13 Depth=1
	v_bfe_u32 v37, v35, 16, 7
	v_mov_b32_e32 v58, 0x7f800001
	s_mov_b32 s52, exec_lo
	v_cmpx_ne_u32_e32 0x7f, v37
	s_cbranch_execz .LBB355_136
; %bb.133:                              ;   in Loop: Header=BB355_13 Depth=1
	v_mov_b32_e32 v0, 7
	v_lshrrev_b32_e32 v36, 3, v37
	s_mov_b32 s53, exec_lo
	v_and_b32_sdwa v27, v35, v0 dst_sel:DWORD dst_unused:UNUSED_PAD src0_sel:WORD_1 src1_sel:DWORD
	v_cmpx_gt_u32_e32 8, v37
; %bb.134:                              ;   in Loop: Header=BB355_13 Depth=1
	v_ffbh_u32_e32 v36, v27
	v_min_u32_e32 v36, 32, v36
	v_subrev_nc_u32_e32 v37, 28, v36
	v_sub_nc_u32_e32 v36, 29, v36
	v_lshlrev_b64 v[71:72], v37, v[27:28]
	v_and_b32_e32 v27, 7, v71
; %bb.135:                              ;   in Loop: Header=BB355_13 Depth=1
	s_or_b32 exec_lo, exec_lo, s53
	v_mov_b32_e32 v0, 24
	v_lshlrev_b32_e32 v27, 20, v27
	v_lshl_add_u32 v36, v36, 23, 0x3c000000
	v_lshlrev_b32_sdwa v37, v0, v35 dst_sel:DWORD dst_unused:UNUSED_PAD src0_sel:DWORD src1_sel:WORD_1
	v_and_b32_e32 v37, 0x80000000, v37
	v_or3_b32 v58, v27, v37, v36
.LBB355_136:                            ;   in Loop: Header=BB355_13 Depth=1
	s_or_b32 exec_lo, exec_lo, s52
.LBB355_137:                            ;   in Loop: Header=BB355_13 Depth=1
	s_or_b32 exec_lo, exec_lo, s51
.LBB355_138:                            ;   in Loop: Header=BB355_13 Depth=1
	s_or_b32 exec_lo, exec_lo, s4
	s_mov_b32 s4, exec_lo
	v_cmpx_lt_u32_e32 0xffffff, v35
	s_cbranch_execz .LBB355_146
; %bb.139:                              ;   in Loop: Header=BB355_13 Depth=1
	v_cmp_ne_u32_sdwa s3, v35, v45 src0_sel:BYTE_3 src1_sel:DWORD
	v_bfrev_b32_e32 v57, 1
	s_and_saveexec_b32 s51, s3
	s_cbranch_execz .LBB355_145
; %bb.140:                              ;   in Loop: Header=BB355_13 Depth=1
	v_bfe_u32 v37, v35, 24, 7
	v_mov_b32_e32 v57, 0x7f800001
	s_mov_b32 s52, exec_lo
	v_cmpx_ne_u32_e32 0x7f, v37
	s_cbranch_execz .LBB355_144
; %bb.141:                              ;   in Loop: Header=BB355_13 Depth=1
	v_mov_b32_e32 v0, 7
	v_lshrrev_b32_e32 v36, 3, v37
	s_mov_b32 s53, exec_lo
	v_and_b32_sdwa v27, v35, v0 dst_sel:DWORD dst_unused:UNUSED_PAD src0_sel:BYTE_3 src1_sel:DWORD
	v_cmpx_gt_u32_e32 8, v37
; %bb.142:                              ;   in Loop: Header=BB355_13 Depth=1
	v_ffbh_u32_e32 v36, v27
	v_min_u32_e32 v36, 32, v36
	v_subrev_nc_u32_e32 v37, 28, v36
	v_sub_nc_u32_e32 v36, 29, v36
	v_lshlrev_b64 v[72:73], v37, v[27:28]
	v_and_b32_e32 v27, 7, v72
; %bb.143:                              ;   in Loop: Header=BB355_13 Depth=1
	s_or_b32 exec_lo, exec_lo, s53
	v_mov_b32_e32 v0, 24
	v_lshlrev_b32_e32 v27, 20, v27
	v_lshl_add_u32 v36, v36, 23, 0x3c000000
	v_lshlrev_b32_sdwa v35, v0, v35 dst_sel:DWORD dst_unused:UNUSED_PAD src0_sel:DWORD src1_sel:BYTE_3
	v_and_b32_e32 v35, 0x80000000, v35
	v_or3_b32 v57, v27, v35, v36
.LBB355_144:                            ;   in Loop: Header=BB355_13 Depth=1
	s_or_b32 exec_lo, exec_lo, s52
.LBB355_145:                            ;   in Loop: Header=BB355_13 Depth=1
	s_or_b32 exec_lo, exec_lo, s51
.LBB355_146:                            ;   in Loop: Header=BB355_13 Depth=1
	s_or_b32 exec_lo, exec_lo, s4
	global_load_dword v35, v[33:34], off offset:512
	v_mov_b32_e32 v59, 0
	v_mov_b32_e32 v60, 0
	s_waitcnt vmcnt(0)
	v_cmp_ne_u16_sdwa s3, v35, v28 src0_sel:BYTE_0 src1_sel:DWORD
	s_and_saveexec_b32 s4, s3
	s_cbranch_execz .LBB355_154
; %bb.147:                              ;   in Loop: Header=BB355_13 Depth=1
	v_cmp_ne_u16_sdwa s3, v35, v45 src0_sel:BYTE_0 src1_sel:DWORD
	v_bfrev_b32_e32 v60, 1
	s_and_saveexec_b32 s51, s3
	s_cbranch_execz .LBB355_153
; %bb.148:                              ;   in Loop: Header=BB355_13 Depth=1
	v_and_b32_e32 v37, 0x7f, v35
	v_mov_b32_e32 v60, 0x7f800001
	s_mov_b32 s52, exec_lo
	v_cmpx_ne_u32_e32 0x7f, v37
	s_cbranch_execz .LBB355_152
; %bb.149:                              ;   in Loop: Header=BB355_13 Depth=1
	v_and_b32_e32 v27, 7, v35
	v_lshrrev_b32_e32 v36, 3, v37
	s_mov_b32 s53, exec_lo
	v_cmpx_gt_u32_e32 8, v37
; %bb.150:                              ;   in Loop: Header=BB355_13 Depth=1
	v_ffbh_u32_e32 v36, v27
	v_min_u32_e32 v36, 32, v36
	v_subrev_nc_u32_e32 v37, 28, v36
	v_sub_nc_u32_e32 v36, 29, v36
	v_lshlrev_b64 v[73:74], v37, v[27:28]
	v_and_b32_e32 v27, 7, v73
; %bb.151:                              ;   in Loop: Header=BB355_13 Depth=1
	s_or_b32 exec_lo, exec_lo, s53
	v_lshlrev_b32_e32 v37, 24, v35
	v_lshlrev_b32_e32 v27, 20, v27
	v_lshl_add_u32 v36, v36, 23, 0x3c000000
	v_and_b32_e32 v37, 0x80000000, v37
	v_or3_b32 v60, v27, v37, v36
.LBB355_152:                            ;   in Loop: Header=BB355_13 Depth=1
	s_or_b32 exec_lo, exec_lo, s52
.LBB355_153:                            ;   in Loop: Header=BB355_13 Depth=1
	s_or_b32 exec_lo, exec_lo, s51
.LBB355_154:                            ;   in Loop: Header=BB355_13 Depth=1
	s_or_b32 exec_lo, exec_lo, s4
	v_cmp_ne_u16_sdwa s3, v35, v28 src0_sel:BYTE_1 src1_sel:DWORD
	s_and_saveexec_b32 s4, s3
	s_cbranch_execz .LBB355_162
; %bb.155:                              ;   in Loop: Header=BB355_13 Depth=1
	v_cmp_ne_u16_sdwa s3, v35, v45 src0_sel:BYTE_1 src1_sel:DWORD
	v_bfrev_b32_e32 v59, 1
	s_and_saveexec_b32 s51, s3
	s_cbranch_execz .LBB355_161
; %bb.156:                              ;   in Loop: Header=BB355_13 Depth=1
	v_mov_b32_e32 v0, 0xffff
	v_mov_b32_e32 v59, 0x7f800001
	s_mov_b32 s52, exec_lo
	v_and_b32_sdwa v27, v0, v35 dst_sel:DWORD dst_unused:UNUSED_PAD src0_sel:DWORD src1_sel:BYTE_1
	v_and_b32_e32 v37, 0x7f, v27
	v_cmpx_ne_u32_e32 0x7f, v37
	s_cbranch_execz .LBB355_160
; %bb.157:                              ;   in Loop: Header=BB355_13 Depth=1
	v_and_b32_e32 v27, 7, v27
	v_lshrrev_b32_e32 v36, 3, v37
	s_mov_b32 s53, exec_lo
	v_cmpx_gt_u32_e32 8, v37
; %bb.158:                              ;   in Loop: Header=BB355_13 Depth=1
	v_ffbh_u32_e32 v36, v27
	v_min_u32_e32 v36, 32, v36
	v_subrev_nc_u32_e32 v37, 28, v36
	v_sub_nc_u32_e32 v36, 29, v36
	v_lshlrev_b64 v[74:75], v37, v[27:28]
	v_and_b32_e32 v27, 7, v74
; %bb.159:                              ;   in Loop: Header=BB355_13 Depth=1
	s_or_b32 exec_lo, exec_lo, s53
	v_lshlrev_b32_e32 v37, 16, v35
	v_lshlrev_b32_e32 v27, 20, v27
	v_lshl_add_u32 v36, v36, 23, 0x3c000000
	v_and_b32_e32 v37, 0x80000000, v37
	v_or3_b32 v59, v27, v37, v36
.LBB355_160:                            ;   in Loop: Header=BB355_13 Depth=1
	s_or_b32 exec_lo, exec_lo, s52
.LBB355_161:                            ;   in Loop: Header=BB355_13 Depth=1
	s_or_b32 exec_lo, exec_lo, s51
.LBB355_162:                            ;   in Loop: Header=BB355_13 Depth=1
	s_or_b32 exec_lo, exec_lo, s4
	v_and_b32_sdwa v27, v35, v47 dst_sel:DWORD dst_unused:UNUSED_PAD src0_sel:WORD_1 src1_sel:DWORD
	v_mov_b32_e32 v61, 0
	v_mov_b32_e32 v62, 0
	s_mov_b32 s4, exec_lo
	v_cmpx_ne_u16_e32 0, v27
	s_cbranch_execz .LBB355_170
; %bb.163:                              ;   in Loop: Header=BB355_13 Depth=1
	v_bfrev_b32_e32 v62, 1
	s_mov_b32 s51, exec_lo
	v_cmpx_ne_u16_e32 0x80, v27
	s_cbranch_execz .LBB355_169
; %bb.164:                              ;   in Loop: Header=BB355_13 Depth=1
	v_bfe_u32 v37, v35, 16, 7
	v_mov_b32_e32 v62, 0x7f800001
	s_mov_b32 s52, exec_lo
	v_cmpx_ne_u32_e32 0x7f, v37
	s_cbranch_execz .LBB355_168
; %bb.165:                              ;   in Loop: Header=BB355_13 Depth=1
	v_mov_b32_e32 v0, 7
	v_lshrrev_b32_e32 v36, 3, v37
	s_mov_b32 s53, exec_lo
	v_and_b32_sdwa v27, v35, v0 dst_sel:DWORD dst_unused:UNUSED_PAD src0_sel:WORD_1 src1_sel:DWORD
	v_cmpx_gt_u32_e32 8, v37
; %bb.166:                              ;   in Loop: Header=BB355_13 Depth=1
	v_ffbh_u32_e32 v36, v27
	v_min_u32_e32 v36, 32, v36
	v_subrev_nc_u32_e32 v37, 28, v36
	v_sub_nc_u32_e32 v36, 29, v36
	v_lshlrev_b64 v[75:76], v37, v[27:28]
	v_and_b32_e32 v27, 7, v75
; %bb.167:                              ;   in Loop: Header=BB355_13 Depth=1
	s_or_b32 exec_lo, exec_lo, s53
	v_mov_b32_e32 v0, 24
	v_lshlrev_b32_e32 v27, 20, v27
	v_lshl_add_u32 v36, v36, 23, 0x3c000000
	v_lshlrev_b32_sdwa v37, v0, v35 dst_sel:DWORD dst_unused:UNUSED_PAD src0_sel:DWORD src1_sel:WORD_1
	v_and_b32_e32 v37, 0x80000000, v37
	v_or3_b32 v62, v27, v37, v36
.LBB355_168:                            ;   in Loop: Header=BB355_13 Depth=1
	s_or_b32 exec_lo, exec_lo, s52
.LBB355_169:                            ;   in Loop: Header=BB355_13 Depth=1
	s_or_b32 exec_lo, exec_lo, s51
.LBB355_170:                            ;   in Loop: Header=BB355_13 Depth=1
	s_or_b32 exec_lo, exec_lo, s4
	s_mov_b32 s4, exec_lo
	v_cmpx_lt_u32_e32 0xffffff, v35
	s_cbranch_execz .LBB355_178
; %bb.171:                              ;   in Loop: Header=BB355_13 Depth=1
	v_cmp_ne_u32_sdwa s3, v35, v45 src0_sel:BYTE_3 src1_sel:DWORD
	v_bfrev_b32_e32 v61, 1
	s_and_saveexec_b32 s51, s3
	s_cbranch_execz .LBB355_177
; %bb.172:                              ;   in Loop: Header=BB355_13 Depth=1
	v_bfe_u32 v37, v35, 24, 7
	v_mov_b32_e32 v61, 0x7f800001
	s_mov_b32 s52, exec_lo
	v_cmpx_ne_u32_e32 0x7f, v37
	s_cbranch_execz .LBB355_176
; %bb.173:                              ;   in Loop: Header=BB355_13 Depth=1
	v_mov_b32_e32 v0, 7
	v_lshrrev_b32_e32 v36, 3, v37
	s_mov_b32 s53, exec_lo
	v_and_b32_sdwa v27, v35, v0 dst_sel:DWORD dst_unused:UNUSED_PAD src0_sel:BYTE_3 src1_sel:DWORD
	v_cmpx_gt_u32_e32 8, v37
; %bb.174:                              ;   in Loop: Header=BB355_13 Depth=1
	v_ffbh_u32_e32 v36, v27
	v_min_u32_e32 v36, 32, v36
	v_subrev_nc_u32_e32 v37, 28, v36
	v_sub_nc_u32_e32 v36, 29, v36
	v_lshlrev_b64 v[76:77], v37, v[27:28]
	v_and_b32_e32 v27, 7, v76
; %bb.175:                              ;   in Loop: Header=BB355_13 Depth=1
	s_or_b32 exec_lo, exec_lo, s53
	v_mov_b32_e32 v0, 24
	v_lshlrev_b32_e32 v27, 20, v27
	v_lshl_add_u32 v36, v36, 23, 0x3c000000
	v_lshlrev_b32_sdwa v35, v0, v35 dst_sel:DWORD dst_unused:UNUSED_PAD src0_sel:DWORD src1_sel:BYTE_3
	v_and_b32_e32 v35, 0x80000000, v35
	v_or3_b32 v61, v27, v35, v36
.LBB355_176:                            ;   in Loop: Header=BB355_13 Depth=1
	s_or_b32 exec_lo, exec_lo, s52
.LBB355_177:                            ;   in Loop: Header=BB355_13 Depth=1
	s_or_b32 exec_lo, exec_lo, s51
.LBB355_178:                            ;   in Loop: Header=BB355_13 Depth=1
	s_or_b32 exec_lo, exec_lo, s4
	global_load_dword v35, v[33:34], off offset:520
	v_mov_b32_e32 v63, 0
	v_mov_b32_e32 v64, 0
	s_waitcnt vmcnt(0)
	v_cmp_ne_u16_sdwa s3, v35, v28 src0_sel:BYTE_0 src1_sel:DWORD
	s_and_saveexec_b32 s4, s3
	s_cbranch_execz .LBB355_186
; %bb.179:                              ;   in Loop: Header=BB355_13 Depth=1
	v_cmp_ne_u16_sdwa s3, v35, v45 src0_sel:BYTE_0 src1_sel:DWORD
	v_bfrev_b32_e32 v64, 1
	s_and_saveexec_b32 s51, s3
	s_cbranch_execz .LBB355_185
; %bb.180:                              ;   in Loop: Header=BB355_13 Depth=1
	v_and_b32_e32 v37, 0x7f, v35
	v_mov_b32_e32 v64, 0x7f800001
	s_mov_b32 s52, exec_lo
	v_cmpx_ne_u32_e32 0x7f, v37
	s_cbranch_execz .LBB355_184
; %bb.181:                              ;   in Loop: Header=BB355_13 Depth=1
	v_and_b32_e32 v27, 7, v35
	v_lshrrev_b32_e32 v36, 3, v37
	s_mov_b32 s53, exec_lo
	v_cmpx_gt_u32_e32 8, v37
; %bb.182:                              ;   in Loop: Header=BB355_13 Depth=1
	v_ffbh_u32_e32 v36, v27
	v_min_u32_e32 v36, 32, v36
	v_subrev_nc_u32_e32 v37, 28, v36
	v_sub_nc_u32_e32 v36, 29, v36
	v_lshlrev_b64 v[77:78], v37, v[27:28]
	v_and_b32_e32 v27, 7, v77
; %bb.183:                              ;   in Loop: Header=BB355_13 Depth=1
	s_or_b32 exec_lo, exec_lo, s53
	v_lshlrev_b32_e32 v37, 24, v35
	v_lshlrev_b32_e32 v27, 20, v27
	v_lshl_add_u32 v36, v36, 23, 0x3c000000
	v_and_b32_e32 v37, 0x80000000, v37
	v_or3_b32 v64, v27, v37, v36
.LBB355_184:                            ;   in Loop: Header=BB355_13 Depth=1
	s_or_b32 exec_lo, exec_lo, s52
.LBB355_185:                            ;   in Loop: Header=BB355_13 Depth=1
	s_or_b32 exec_lo, exec_lo, s51
.LBB355_186:                            ;   in Loop: Header=BB355_13 Depth=1
	s_or_b32 exec_lo, exec_lo, s4
	v_cmp_ne_u16_sdwa s3, v35, v28 src0_sel:BYTE_1 src1_sel:DWORD
	s_and_saveexec_b32 s4, s3
	s_cbranch_execz .LBB355_194
; %bb.187:                              ;   in Loop: Header=BB355_13 Depth=1
	v_cmp_ne_u16_sdwa s3, v35, v45 src0_sel:BYTE_1 src1_sel:DWORD
	v_bfrev_b32_e32 v63, 1
	s_and_saveexec_b32 s51, s3
	s_cbranch_execz .LBB355_193
; %bb.188:                              ;   in Loop: Header=BB355_13 Depth=1
	v_mov_b32_e32 v0, 0xffff
	v_mov_b32_e32 v63, 0x7f800001
	s_mov_b32 s52, exec_lo
	v_and_b32_sdwa v27, v0, v35 dst_sel:DWORD dst_unused:UNUSED_PAD src0_sel:DWORD src1_sel:BYTE_1
	v_and_b32_e32 v37, 0x7f, v27
	v_cmpx_ne_u32_e32 0x7f, v37
	s_cbranch_execz .LBB355_192
; %bb.189:                              ;   in Loop: Header=BB355_13 Depth=1
	v_and_b32_e32 v27, 7, v27
	v_lshrrev_b32_e32 v36, 3, v37
	s_mov_b32 s53, exec_lo
	v_cmpx_gt_u32_e32 8, v37
; %bb.190:                              ;   in Loop: Header=BB355_13 Depth=1
	v_ffbh_u32_e32 v36, v27
	v_min_u32_e32 v36, 32, v36
	v_subrev_nc_u32_e32 v37, 28, v36
	v_sub_nc_u32_e32 v36, 29, v36
	v_lshlrev_b64 v[78:79], v37, v[27:28]
	v_and_b32_e32 v27, 7, v78
; %bb.191:                              ;   in Loop: Header=BB355_13 Depth=1
	s_or_b32 exec_lo, exec_lo, s53
	v_lshlrev_b32_e32 v37, 16, v35
	v_lshlrev_b32_e32 v27, 20, v27
	v_lshl_add_u32 v36, v36, 23, 0x3c000000
	v_and_b32_e32 v37, 0x80000000, v37
	v_or3_b32 v63, v27, v37, v36
.LBB355_192:                            ;   in Loop: Header=BB355_13 Depth=1
	s_or_b32 exec_lo, exec_lo, s52
.LBB355_193:                            ;   in Loop: Header=BB355_13 Depth=1
	s_or_b32 exec_lo, exec_lo, s51
.LBB355_194:                            ;   in Loop: Header=BB355_13 Depth=1
	s_or_b32 exec_lo, exec_lo, s4
	v_and_b32_sdwa v27, v35, v47 dst_sel:DWORD dst_unused:UNUSED_PAD src0_sel:WORD_1 src1_sel:DWORD
	v_mov_b32_e32 v65, 0
	v_mov_b32_e32 v66, 0
	s_mov_b32 s4, exec_lo
	v_cmpx_ne_u16_e32 0, v27
	s_cbranch_execz .LBB355_202
; %bb.195:                              ;   in Loop: Header=BB355_13 Depth=1
	v_bfrev_b32_e32 v66, 1
	s_mov_b32 s51, exec_lo
	v_cmpx_ne_u16_e32 0x80, v27
	s_cbranch_execz .LBB355_201
; %bb.196:                              ;   in Loop: Header=BB355_13 Depth=1
	v_bfe_u32 v37, v35, 16, 7
	v_mov_b32_e32 v66, 0x7f800001
	s_mov_b32 s52, exec_lo
	v_cmpx_ne_u32_e32 0x7f, v37
	s_cbranch_execz .LBB355_200
; %bb.197:                              ;   in Loop: Header=BB355_13 Depth=1
	v_mov_b32_e32 v0, 7
	v_lshrrev_b32_e32 v36, 3, v37
	s_mov_b32 s53, exec_lo
	v_and_b32_sdwa v27, v35, v0 dst_sel:DWORD dst_unused:UNUSED_PAD src0_sel:WORD_1 src1_sel:DWORD
	v_cmpx_gt_u32_e32 8, v37
; %bb.198:                              ;   in Loop: Header=BB355_13 Depth=1
	v_ffbh_u32_e32 v36, v27
	v_min_u32_e32 v36, 32, v36
	v_subrev_nc_u32_e32 v37, 28, v36
	v_sub_nc_u32_e32 v36, 29, v36
	v_lshlrev_b64 v[79:80], v37, v[27:28]
	v_and_b32_e32 v27, 7, v79
; %bb.199:                              ;   in Loop: Header=BB355_13 Depth=1
	s_or_b32 exec_lo, exec_lo, s53
	v_mov_b32_e32 v0, 24
	v_lshlrev_b32_e32 v27, 20, v27
	v_lshl_add_u32 v36, v36, 23, 0x3c000000
	v_lshlrev_b32_sdwa v37, v0, v35 dst_sel:DWORD dst_unused:UNUSED_PAD src0_sel:DWORD src1_sel:WORD_1
	v_and_b32_e32 v37, 0x80000000, v37
	v_or3_b32 v66, v27, v37, v36
.LBB355_200:                            ;   in Loop: Header=BB355_13 Depth=1
	s_or_b32 exec_lo, exec_lo, s52
.LBB355_201:                            ;   in Loop: Header=BB355_13 Depth=1
	s_or_b32 exec_lo, exec_lo, s51
.LBB355_202:                            ;   in Loop: Header=BB355_13 Depth=1
	s_or_b32 exec_lo, exec_lo, s4
	s_mov_b32 s4, exec_lo
	v_cmpx_lt_u32_e32 0xffffff, v35
	s_cbranch_execz .LBB355_210
; %bb.203:                              ;   in Loop: Header=BB355_13 Depth=1
	v_cmp_ne_u32_sdwa s3, v35, v45 src0_sel:BYTE_3 src1_sel:DWORD
	v_bfrev_b32_e32 v65, 1
	s_and_saveexec_b32 s51, s3
	s_cbranch_execz .LBB355_209
; %bb.204:                              ;   in Loop: Header=BB355_13 Depth=1
	v_bfe_u32 v37, v35, 24, 7
	v_mov_b32_e32 v65, 0x7f800001
	s_mov_b32 s52, exec_lo
	v_cmpx_ne_u32_e32 0x7f, v37
	s_cbranch_execz .LBB355_208
; %bb.205:                              ;   in Loop: Header=BB355_13 Depth=1
	v_mov_b32_e32 v0, 7
	v_lshrrev_b32_e32 v36, 3, v37
	s_mov_b32 s53, exec_lo
	v_and_b32_sdwa v27, v35, v0 dst_sel:DWORD dst_unused:UNUSED_PAD src0_sel:BYTE_3 src1_sel:DWORD
	v_cmpx_gt_u32_e32 8, v37
; %bb.206:                              ;   in Loop: Header=BB355_13 Depth=1
	v_ffbh_u32_e32 v36, v27
	v_min_u32_e32 v36, 32, v36
	v_subrev_nc_u32_e32 v37, 28, v36
	v_sub_nc_u32_e32 v36, 29, v36
	v_lshlrev_b64 v[80:81], v37, v[27:28]
	v_and_b32_e32 v27, 7, v80
; %bb.207:                              ;   in Loop: Header=BB355_13 Depth=1
	s_or_b32 exec_lo, exec_lo, s53
	v_mov_b32_e32 v0, 24
	v_lshlrev_b32_e32 v27, 20, v27
	v_lshl_add_u32 v36, v36, 23, 0x3c000000
	v_lshlrev_b32_sdwa v35, v0, v35 dst_sel:DWORD dst_unused:UNUSED_PAD src0_sel:DWORD src1_sel:BYTE_3
	v_and_b32_e32 v35, 0x80000000, v35
	v_or3_b32 v65, v27, v35, v36
.LBB355_208:                            ;   in Loop: Header=BB355_13 Depth=1
	s_or_b32 exec_lo, exec_lo, s52
.LBB355_209:                            ;   in Loop: Header=BB355_13 Depth=1
	s_or_b32 exec_lo, exec_lo, s51
.LBB355_210:                            ;   in Loop: Header=BB355_13 Depth=1
	s_or_b32 exec_lo, exec_lo, s4
	global_load_dword v35, v[33:34], off offset:768
	v_mov_b32_e32 v67, 0
	v_mov_b32_e32 v68, 0
	s_waitcnt vmcnt(0)
	v_cmp_ne_u16_sdwa s3, v35, v28 src0_sel:BYTE_0 src1_sel:DWORD
	s_and_saveexec_b32 s4, s3
	s_cbranch_execz .LBB355_218
; %bb.211:                              ;   in Loop: Header=BB355_13 Depth=1
	v_cmp_ne_u16_sdwa s3, v35, v45 src0_sel:BYTE_0 src1_sel:DWORD
	v_bfrev_b32_e32 v68, 1
	s_and_saveexec_b32 s51, s3
	s_cbranch_execz .LBB355_217
; %bb.212:                              ;   in Loop: Header=BB355_13 Depth=1
	v_and_b32_e32 v37, 0x7f, v35
	v_mov_b32_e32 v68, 0x7f800001
	s_mov_b32 s52, exec_lo
	v_cmpx_ne_u32_e32 0x7f, v37
	s_cbranch_execz .LBB355_216
; %bb.213:                              ;   in Loop: Header=BB355_13 Depth=1
	v_and_b32_e32 v27, 7, v35
	v_lshrrev_b32_e32 v36, 3, v37
	s_mov_b32 s53, exec_lo
	v_cmpx_gt_u32_e32 8, v37
; %bb.214:                              ;   in Loop: Header=BB355_13 Depth=1
	v_ffbh_u32_e32 v36, v27
	v_min_u32_e32 v36, 32, v36
	v_subrev_nc_u32_e32 v37, 28, v36
	v_sub_nc_u32_e32 v36, 29, v36
	v_lshlrev_b64 v[81:82], v37, v[27:28]
	v_and_b32_e32 v27, 7, v81
; %bb.215:                              ;   in Loop: Header=BB355_13 Depth=1
	s_or_b32 exec_lo, exec_lo, s53
	v_lshlrev_b32_e32 v37, 24, v35
	v_lshlrev_b32_e32 v27, 20, v27
	v_lshl_add_u32 v36, v36, 23, 0x3c000000
	v_and_b32_e32 v37, 0x80000000, v37
	v_or3_b32 v68, v27, v37, v36
.LBB355_216:                            ;   in Loop: Header=BB355_13 Depth=1
	s_or_b32 exec_lo, exec_lo, s52
.LBB355_217:                            ;   in Loop: Header=BB355_13 Depth=1
	s_or_b32 exec_lo, exec_lo, s51
.LBB355_218:                            ;   in Loop: Header=BB355_13 Depth=1
	s_or_b32 exec_lo, exec_lo, s4
	v_cmp_ne_u16_sdwa s3, v35, v28 src0_sel:BYTE_1 src1_sel:DWORD
	s_and_saveexec_b32 s4, s3
	s_cbranch_execz .LBB355_226
; %bb.219:                              ;   in Loop: Header=BB355_13 Depth=1
	v_cmp_ne_u16_sdwa s3, v35, v45 src0_sel:BYTE_1 src1_sel:DWORD
	v_bfrev_b32_e32 v67, 1
	s_and_saveexec_b32 s51, s3
	s_cbranch_execz .LBB355_225
; %bb.220:                              ;   in Loop: Header=BB355_13 Depth=1
	v_mov_b32_e32 v0, 0xffff
	v_mov_b32_e32 v67, 0x7f800001
	s_mov_b32 s52, exec_lo
	v_and_b32_sdwa v27, v0, v35 dst_sel:DWORD dst_unused:UNUSED_PAD src0_sel:DWORD src1_sel:BYTE_1
	v_and_b32_e32 v37, 0x7f, v27
	v_cmpx_ne_u32_e32 0x7f, v37
	s_cbranch_execz .LBB355_224
; %bb.221:                              ;   in Loop: Header=BB355_13 Depth=1
	v_and_b32_e32 v27, 7, v27
	v_lshrrev_b32_e32 v36, 3, v37
	s_mov_b32 s53, exec_lo
	v_cmpx_gt_u32_e32 8, v37
; %bb.222:                              ;   in Loop: Header=BB355_13 Depth=1
	v_ffbh_u32_e32 v36, v27
	v_min_u32_e32 v36, 32, v36
	v_subrev_nc_u32_e32 v37, 28, v36
	v_sub_nc_u32_e32 v36, 29, v36
	v_lshlrev_b64 v[82:83], v37, v[27:28]
	v_and_b32_e32 v27, 7, v82
; %bb.223:                              ;   in Loop: Header=BB355_13 Depth=1
	s_or_b32 exec_lo, exec_lo, s53
	v_lshlrev_b32_e32 v37, 16, v35
	v_lshlrev_b32_e32 v27, 20, v27
	v_lshl_add_u32 v36, v36, 23, 0x3c000000
	v_and_b32_e32 v37, 0x80000000, v37
	v_or3_b32 v67, v27, v37, v36
.LBB355_224:                            ;   in Loop: Header=BB355_13 Depth=1
	s_or_b32 exec_lo, exec_lo, s52
.LBB355_225:                            ;   in Loop: Header=BB355_13 Depth=1
	s_or_b32 exec_lo, exec_lo, s51
.LBB355_226:                            ;   in Loop: Header=BB355_13 Depth=1
	s_or_b32 exec_lo, exec_lo, s4
	v_and_b32_sdwa v27, v35, v47 dst_sel:DWORD dst_unused:UNUSED_PAD src0_sel:WORD_1 src1_sel:DWORD
	v_mov_b32_e32 v69, 0
	v_mov_b32_e32 v70, 0
	s_mov_b32 s4, exec_lo
	v_cmpx_ne_u16_e32 0, v27
	s_cbranch_execz .LBB355_234
; %bb.227:                              ;   in Loop: Header=BB355_13 Depth=1
	v_bfrev_b32_e32 v70, 1
	s_mov_b32 s51, exec_lo
	v_cmpx_ne_u16_e32 0x80, v27
	s_cbranch_execz .LBB355_233
; %bb.228:                              ;   in Loop: Header=BB355_13 Depth=1
	v_bfe_u32 v37, v35, 16, 7
	v_mov_b32_e32 v70, 0x7f800001
	s_mov_b32 s52, exec_lo
	v_cmpx_ne_u32_e32 0x7f, v37
	s_cbranch_execz .LBB355_232
; %bb.229:                              ;   in Loop: Header=BB355_13 Depth=1
	v_mov_b32_e32 v0, 7
	v_lshrrev_b32_e32 v36, 3, v37
	s_mov_b32 s53, exec_lo
	v_and_b32_sdwa v27, v35, v0 dst_sel:DWORD dst_unused:UNUSED_PAD src0_sel:WORD_1 src1_sel:DWORD
	v_cmpx_gt_u32_e32 8, v37
; %bb.230:                              ;   in Loop: Header=BB355_13 Depth=1
	v_ffbh_u32_e32 v36, v27
	v_min_u32_e32 v36, 32, v36
	v_subrev_nc_u32_e32 v37, 28, v36
	v_sub_nc_u32_e32 v36, 29, v36
	v_lshlrev_b64 v[83:84], v37, v[27:28]
	v_and_b32_e32 v27, 7, v83
; %bb.231:                              ;   in Loop: Header=BB355_13 Depth=1
	s_or_b32 exec_lo, exec_lo, s53
	v_mov_b32_e32 v0, 24
	v_lshlrev_b32_e32 v27, 20, v27
	v_lshl_add_u32 v36, v36, 23, 0x3c000000
	v_lshlrev_b32_sdwa v37, v0, v35 dst_sel:DWORD dst_unused:UNUSED_PAD src0_sel:DWORD src1_sel:WORD_1
	v_and_b32_e32 v37, 0x80000000, v37
	v_or3_b32 v70, v27, v37, v36
.LBB355_232:                            ;   in Loop: Header=BB355_13 Depth=1
	s_or_b32 exec_lo, exec_lo, s52
.LBB355_233:                            ;   in Loop: Header=BB355_13 Depth=1
	s_or_b32 exec_lo, exec_lo, s51
.LBB355_234:                            ;   in Loop: Header=BB355_13 Depth=1
	s_or_b32 exec_lo, exec_lo, s4
	s_mov_b32 s4, exec_lo
	v_cmpx_lt_u32_e32 0xffffff, v35
	s_cbranch_execz .LBB355_242
; %bb.235:                              ;   in Loop: Header=BB355_13 Depth=1
	v_cmp_ne_u32_sdwa s3, v35, v45 src0_sel:BYTE_3 src1_sel:DWORD
	v_bfrev_b32_e32 v69, 1
	s_and_saveexec_b32 s51, s3
	s_cbranch_execz .LBB355_241
; %bb.236:                              ;   in Loop: Header=BB355_13 Depth=1
	v_bfe_u32 v37, v35, 24, 7
	v_mov_b32_e32 v69, 0x7f800001
	s_mov_b32 s52, exec_lo
	v_cmpx_ne_u32_e32 0x7f, v37
	s_cbranch_execz .LBB355_240
; %bb.237:                              ;   in Loop: Header=BB355_13 Depth=1
	v_mov_b32_e32 v0, 7
	v_lshrrev_b32_e32 v36, 3, v37
	s_mov_b32 s53, exec_lo
	v_and_b32_sdwa v27, v35, v0 dst_sel:DWORD dst_unused:UNUSED_PAD src0_sel:BYTE_3 src1_sel:DWORD
	v_cmpx_gt_u32_e32 8, v37
; %bb.238:                              ;   in Loop: Header=BB355_13 Depth=1
	v_ffbh_u32_e32 v36, v27
	v_min_u32_e32 v36, 32, v36
	v_subrev_nc_u32_e32 v37, 28, v36
	v_sub_nc_u32_e32 v36, 29, v36
	v_lshlrev_b64 v[84:85], v37, v[27:28]
	v_and_b32_e32 v27, 7, v84
; %bb.239:                              ;   in Loop: Header=BB355_13 Depth=1
	s_or_b32 exec_lo, exec_lo, s53
	v_mov_b32_e32 v0, 24
	v_lshlrev_b32_e32 v27, 20, v27
	v_lshl_add_u32 v36, v36, 23, 0x3c000000
	v_lshlrev_b32_sdwa v35, v0, v35 dst_sel:DWORD dst_unused:UNUSED_PAD src0_sel:DWORD src1_sel:BYTE_3
	v_and_b32_e32 v35, 0x80000000, v35
	v_or3_b32 v69, v27, v35, v36
.LBB355_240:                            ;   in Loop: Header=BB355_13 Depth=1
	s_or_b32 exec_lo, exec_lo, s52
.LBB355_241:                            ;   in Loop: Header=BB355_13 Depth=1
	s_or_b32 exec_lo, exec_lo, s51
.LBB355_242:                            ;   in Loop: Header=BB355_13 Depth=1
	s_or_b32 exec_lo, exec_lo, s4
	global_load_dword v35, v[33:34], off offset:776
	v_mov_b32_e32 v71, 0
	v_mov_b32_e32 v72, 0
	s_waitcnt vmcnt(0)
	v_cmp_ne_u16_sdwa s3, v35, v28 src0_sel:BYTE_0 src1_sel:DWORD
	s_and_saveexec_b32 s4, s3
	s_cbranch_execz .LBB355_250
; %bb.243:                              ;   in Loop: Header=BB355_13 Depth=1
	v_cmp_ne_u16_sdwa s3, v35, v45 src0_sel:BYTE_0 src1_sel:DWORD
	v_bfrev_b32_e32 v72, 1
	s_and_saveexec_b32 s51, s3
	s_cbranch_execz .LBB355_249
; %bb.244:                              ;   in Loop: Header=BB355_13 Depth=1
	v_and_b32_e32 v37, 0x7f, v35
	v_mov_b32_e32 v72, 0x7f800001
	s_mov_b32 s52, exec_lo
	v_cmpx_ne_u32_e32 0x7f, v37
	s_cbranch_execz .LBB355_248
; %bb.245:                              ;   in Loop: Header=BB355_13 Depth=1
	v_and_b32_e32 v27, 7, v35
	v_lshrrev_b32_e32 v36, 3, v37
	s_mov_b32 s53, exec_lo
	v_cmpx_gt_u32_e32 8, v37
; %bb.246:                              ;   in Loop: Header=BB355_13 Depth=1
	v_ffbh_u32_e32 v36, v27
	v_min_u32_e32 v36, 32, v36
	v_subrev_nc_u32_e32 v37, 28, v36
	v_sub_nc_u32_e32 v36, 29, v36
	v_lshlrev_b64 v[85:86], v37, v[27:28]
	v_and_b32_e32 v27, 7, v85
; %bb.247:                              ;   in Loop: Header=BB355_13 Depth=1
	s_or_b32 exec_lo, exec_lo, s53
	v_lshlrev_b32_e32 v37, 24, v35
	v_lshlrev_b32_e32 v27, 20, v27
	v_lshl_add_u32 v36, v36, 23, 0x3c000000
	v_and_b32_e32 v37, 0x80000000, v37
	v_or3_b32 v72, v27, v37, v36
.LBB355_248:                            ;   in Loop: Header=BB355_13 Depth=1
	s_or_b32 exec_lo, exec_lo, s52
.LBB355_249:                            ;   in Loop: Header=BB355_13 Depth=1
	s_or_b32 exec_lo, exec_lo, s51
.LBB355_250:                            ;   in Loop: Header=BB355_13 Depth=1
	s_or_b32 exec_lo, exec_lo, s4
	v_cmp_ne_u16_sdwa s3, v35, v28 src0_sel:BYTE_1 src1_sel:DWORD
	s_and_saveexec_b32 s4, s3
	s_cbranch_execz .LBB355_258
; %bb.251:                              ;   in Loop: Header=BB355_13 Depth=1
	v_cmp_ne_u16_sdwa s3, v35, v45 src0_sel:BYTE_1 src1_sel:DWORD
	v_bfrev_b32_e32 v71, 1
	s_and_saveexec_b32 s51, s3
	s_cbranch_execz .LBB355_257
; %bb.252:                              ;   in Loop: Header=BB355_13 Depth=1
	v_mov_b32_e32 v0, 0xffff
	v_mov_b32_e32 v71, 0x7f800001
	s_mov_b32 s52, exec_lo
	v_and_b32_sdwa v27, v0, v35 dst_sel:DWORD dst_unused:UNUSED_PAD src0_sel:DWORD src1_sel:BYTE_1
	v_and_b32_e32 v37, 0x7f, v27
	v_cmpx_ne_u32_e32 0x7f, v37
	s_cbranch_execz .LBB355_256
; %bb.253:                              ;   in Loop: Header=BB355_13 Depth=1
	v_and_b32_e32 v27, 7, v27
	v_lshrrev_b32_e32 v36, 3, v37
	s_mov_b32 s53, exec_lo
	v_cmpx_gt_u32_e32 8, v37
; %bb.254:                              ;   in Loop: Header=BB355_13 Depth=1
	v_ffbh_u32_e32 v36, v27
	v_min_u32_e32 v36, 32, v36
	v_subrev_nc_u32_e32 v37, 28, v36
	v_sub_nc_u32_e32 v36, 29, v36
	v_lshlrev_b64 v[86:87], v37, v[27:28]
	v_and_b32_e32 v27, 7, v86
; %bb.255:                              ;   in Loop: Header=BB355_13 Depth=1
	s_or_b32 exec_lo, exec_lo, s53
	v_lshlrev_b32_e32 v37, 16, v35
	v_lshlrev_b32_e32 v27, 20, v27
	v_lshl_add_u32 v36, v36, 23, 0x3c000000
	v_and_b32_e32 v37, 0x80000000, v37
	v_or3_b32 v71, v27, v37, v36
.LBB355_256:                            ;   in Loop: Header=BB355_13 Depth=1
	s_or_b32 exec_lo, exec_lo, s52
.LBB355_257:                            ;   in Loop: Header=BB355_13 Depth=1
	s_or_b32 exec_lo, exec_lo, s51
.LBB355_258:                            ;   in Loop: Header=BB355_13 Depth=1
	s_or_b32 exec_lo, exec_lo, s4
	v_and_b32_sdwa v27, v35, v47 dst_sel:DWORD dst_unused:UNUSED_PAD src0_sel:WORD_1 src1_sel:DWORD
	v_mov_b32_e32 v73, 0
	v_mov_b32_e32 v74, 0
	s_mov_b32 s4, exec_lo
	v_cmpx_ne_u16_e32 0, v27
	s_cbranch_execz .LBB355_266
; %bb.259:                              ;   in Loop: Header=BB355_13 Depth=1
	v_bfrev_b32_e32 v74, 1
	s_mov_b32 s51, exec_lo
	v_cmpx_ne_u16_e32 0x80, v27
	s_cbranch_execz .LBB355_265
; %bb.260:                              ;   in Loop: Header=BB355_13 Depth=1
	v_bfe_u32 v37, v35, 16, 7
	v_mov_b32_e32 v74, 0x7f800001
	s_mov_b32 s52, exec_lo
	v_cmpx_ne_u32_e32 0x7f, v37
	s_cbranch_execz .LBB355_264
; %bb.261:                              ;   in Loop: Header=BB355_13 Depth=1
	v_mov_b32_e32 v0, 7
	v_lshrrev_b32_e32 v36, 3, v37
	s_mov_b32 s53, exec_lo
	v_and_b32_sdwa v27, v35, v0 dst_sel:DWORD dst_unused:UNUSED_PAD src0_sel:WORD_1 src1_sel:DWORD
	v_cmpx_gt_u32_e32 8, v37
; %bb.262:                              ;   in Loop: Header=BB355_13 Depth=1
	v_ffbh_u32_e32 v36, v27
	v_min_u32_e32 v36, 32, v36
	v_subrev_nc_u32_e32 v37, 28, v36
	v_sub_nc_u32_e32 v36, 29, v36
	v_lshlrev_b64 v[87:88], v37, v[27:28]
	v_and_b32_e32 v27, 7, v87
; %bb.263:                              ;   in Loop: Header=BB355_13 Depth=1
	s_or_b32 exec_lo, exec_lo, s53
	v_mov_b32_e32 v0, 24
	v_lshlrev_b32_e32 v27, 20, v27
	v_lshl_add_u32 v36, v36, 23, 0x3c000000
	v_lshlrev_b32_sdwa v37, v0, v35 dst_sel:DWORD dst_unused:UNUSED_PAD src0_sel:DWORD src1_sel:WORD_1
	v_and_b32_e32 v37, 0x80000000, v37
	v_or3_b32 v74, v27, v37, v36
.LBB355_264:                            ;   in Loop: Header=BB355_13 Depth=1
	s_or_b32 exec_lo, exec_lo, s52
.LBB355_265:                            ;   in Loop: Header=BB355_13 Depth=1
	s_or_b32 exec_lo, exec_lo, s51
.LBB355_266:                            ;   in Loop: Header=BB355_13 Depth=1
	s_or_b32 exec_lo, exec_lo, s4
	s_mov_b32 s4, exec_lo
	v_cmpx_lt_u32_e32 0xffffff, v35
	s_cbranch_execz .LBB355_274
; %bb.267:                              ;   in Loop: Header=BB355_13 Depth=1
	v_cmp_ne_u32_sdwa s3, v35, v45 src0_sel:BYTE_3 src1_sel:DWORD
	v_bfrev_b32_e32 v73, 1
	s_and_saveexec_b32 s51, s3
	s_cbranch_execz .LBB355_273
; %bb.268:                              ;   in Loop: Header=BB355_13 Depth=1
	v_bfe_u32 v37, v35, 24, 7
	v_mov_b32_e32 v73, 0x7f800001
	s_mov_b32 s52, exec_lo
	v_cmpx_ne_u32_e32 0x7f, v37
	s_cbranch_execz .LBB355_272
; %bb.269:                              ;   in Loop: Header=BB355_13 Depth=1
	v_mov_b32_e32 v0, 7
	v_lshrrev_b32_e32 v36, 3, v37
	s_mov_b32 s53, exec_lo
	v_and_b32_sdwa v27, v35, v0 dst_sel:DWORD dst_unused:UNUSED_PAD src0_sel:BYTE_3 src1_sel:DWORD
	v_cmpx_gt_u32_e32 8, v37
; %bb.270:                              ;   in Loop: Header=BB355_13 Depth=1
	v_ffbh_u32_e32 v36, v27
	v_min_u32_e32 v36, 32, v36
	v_subrev_nc_u32_e32 v37, 28, v36
	v_sub_nc_u32_e32 v36, 29, v36
	v_lshlrev_b64 v[88:89], v37, v[27:28]
	v_and_b32_e32 v27, 7, v88
; %bb.271:                              ;   in Loop: Header=BB355_13 Depth=1
	s_or_b32 exec_lo, exec_lo, s53
	v_mov_b32_e32 v0, 24
	v_lshlrev_b32_e32 v27, 20, v27
	v_lshl_add_u32 v36, v36, 23, 0x3c000000
	v_lshlrev_b32_sdwa v35, v0, v35 dst_sel:DWORD dst_unused:UNUSED_PAD src0_sel:DWORD src1_sel:BYTE_3
	v_and_b32_e32 v35, 0x80000000, v35
	v_or3_b32 v73, v27, v35, v36
.LBB355_272:                            ;   in Loop: Header=BB355_13 Depth=1
	s_or_b32 exec_lo, exec_lo, s52
.LBB355_273:                            ;   in Loop: Header=BB355_13 Depth=1
	s_or_b32 exec_lo, exec_lo, s51
.LBB355_274:                            ;   in Loop: Header=BB355_13 Depth=1
	s_or_b32 exec_lo, exec_lo, s4
	global_load_dword v35, v[33:34], off offset:1024
	v_mov_b32_e32 v43, 0
	v_mov_b32_e32 v75, 0
	s_waitcnt vmcnt(0)
	v_cmp_ne_u16_sdwa s3, v35, v28 src0_sel:BYTE_0 src1_sel:DWORD
	s_and_saveexec_b32 s4, s3
	s_cbranch_execz .LBB355_282
; %bb.275:                              ;   in Loop: Header=BB355_13 Depth=1
	v_cmp_ne_u16_sdwa s3, v35, v45 src0_sel:BYTE_0 src1_sel:DWORD
	v_bfrev_b32_e32 v75, 1
	s_and_saveexec_b32 s51, s3
	s_cbranch_execz .LBB355_281
; %bb.276:                              ;   in Loop: Header=BB355_13 Depth=1
	v_and_b32_e32 v37, 0x7f, v35
	v_mov_b32_e32 v75, 0x7f800001
	s_mov_b32 s52, exec_lo
	v_cmpx_ne_u32_e32 0x7f, v37
	s_cbranch_execz .LBB355_280
; %bb.277:                              ;   in Loop: Header=BB355_13 Depth=1
	v_and_b32_e32 v27, 7, v35
	v_lshrrev_b32_e32 v36, 3, v37
	s_mov_b32 s53, exec_lo
	v_cmpx_gt_u32_e32 8, v37
; %bb.278:                              ;   in Loop: Header=BB355_13 Depth=1
	v_ffbh_u32_e32 v36, v27
	v_min_u32_e32 v36, 32, v36
	v_subrev_nc_u32_e32 v37, 28, v36
	v_sub_nc_u32_e32 v36, 29, v36
	v_lshlrev_b64 v[89:90], v37, v[27:28]
	v_and_b32_e32 v27, 7, v89
; %bb.279:                              ;   in Loop: Header=BB355_13 Depth=1
	s_or_b32 exec_lo, exec_lo, s53
	v_lshlrev_b32_e32 v37, 24, v35
	v_lshlrev_b32_e32 v27, 20, v27
	v_lshl_add_u32 v36, v36, 23, 0x3c000000
	v_and_b32_e32 v37, 0x80000000, v37
	v_or3_b32 v75, v27, v37, v36
.LBB355_280:                            ;   in Loop: Header=BB355_13 Depth=1
	s_or_b32 exec_lo, exec_lo, s52
.LBB355_281:                            ;   in Loop: Header=BB355_13 Depth=1
	s_or_b32 exec_lo, exec_lo, s51
.LBB355_282:                            ;   in Loop: Header=BB355_13 Depth=1
	s_or_b32 exec_lo, exec_lo, s4
	v_cmp_ne_u16_sdwa s3, v35, v28 src0_sel:BYTE_1 src1_sel:DWORD
	s_and_saveexec_b32 s4, s3
	s_cbranch_execz .LBB355_290
; %bb.283:                              ;   in Loop: Header=BB355_13 Depth=1
	v_cmp_ne_u16_sdwa s3, v35, v45 src0_sel:BYTE_1 src1_sel:DWORD
	v_bfrev_b32_e32 v43, 1
	s_and_saveexec_b32 s51, s3
	s_cbranch_execz .LBB355_289
; %bb.284:                              ;   in Loop: Header=BB355_13 Depth=1
	v_mov_b32_e32 v0, 0xffff
	v_mov_b32_e32 v43, 0x7f800001
	s_mov_b32 s52, exec_lo
	v_and_b32_sdwa v27, v0, v35 dst_sel:DWORD dst_unused:UNUSED_PAD src0_sel:DWORD src1_sel:BYTE_1
	v_and_b32_e32 v37, 0x7f, v27
	v_cmpx_ne_u32_e32 0x7f, v37
	s_cbranch_execz .LBB355_288
; %bb.285:                              ;   in Loop: Header=BB355_13 Depth=1
	v_and_b32_e32 v27, 7, v27
	v_lshrrev_b32_e32 v36, 3, v37
	s_mov_b32 s53, exec_lo
	v_cmpx_gt_u32_e32 8, v37
; %bb.286:                              ;   in Loop: Header=BB355_13 Depth=1
	v_ffbh_u32_e32 v36, v27
	v_min_u32_e32 v36, 32, v36
	v_subrev_nc_u32_e32 v37, 28, v36
	v_sub_nc_u32_e32 v36, 29, v36
	v_lshlrev_b64 v[90:91], v37, v[27:28]
	v_and_b32_e32 v27, 7, v90
; %bb.287:                              ;   in Loop: Header=BB355_13 Depth=1
	s_or_b32 exec_lo, exec_lo, s53
	v_lshlrev_b32_e32 v37, 16, v35
	v_lshlrev_b32_e32 v27, 20, v27
	v_lshl_add_u32 v36, v36, 23, 0x3c000000
	v_and_b32_e32 v37, 0x80000000, v37
	v_or3_b32 v43, v27, v37, v36
.LBB355_288:                            ;   in Loop: Header=BB355_13 Depth=1
	s_or_b32 exec_lo, exec_lo, s52
.LBB355_289:                            ;   in Loop: Header=BB355_13 Depth=1
	s_or_b32 exec_lo, exec_lo, s51
.LBB355_290:                            ;   in Loop: Header=BB355_13 Depth=1
	s_or_b32 exec_lo, exec_lo, s4
	v_and_b32_sdwa v27, v35, v47 dst_sel:DWORD dst_unused:UNUSED_PAD src0_sel:WORD_1 src1_sel:DWORD
	v_mov_b32_e32 v76, 0
	v_mov_b32_e32 v77, 0
	s_mov_b32 s4, exec_lo
	v_cmpx_ne_u16_e32 0, v27
	s_cbranch_execz .LBB355_298
; %bb.291:                              ;   in Loop: Header=BB355_13 Depth=1
	v_bfrev_b32_e32 v77, 1
	s_mov_b32 s51, exec_lo
	v_cmpx_ne_u16_e32 0x80, v27
	s_cbranch_execz .LBB355_297
; %bb.292:                              ;   in Loop: Header=BB355_13 Depth=1
	v_bfe_u32 v37, v35, 16, 7
	v_mov_b32_e32 v77, 0x7f800001
	s_mov_b32 s52, exec_lo
	v_cmpx_ne_u32_e32 0x7f, v37
	s_cbranch_execz .LBB355_296
; %bb.293:                              ;   in Loop: Header=BB355_13 Depth=1
	v_mov_b32_e32 v0, 7
	v_lshrrev_b32_e32 v36, 3, v37
	s_mov_b32 s53, exec_lo
	v_and_b32_sdwa v27, v35, v0 dst_sel:DWORD dst_unused:UNUSED_PAD src0_sel:WORD_1 src1_sel:DWORD
	v_cmpx_gt_u32_e32 8, v37
; %bb.294:                              ;   in Loop: Header=BB355_13 Depth=1
	v_ffbh_u32_e32 v36, v27
	v_min_u32_e32 v36, 32, v36
	v_subrev_nc_u32_e32 v37, 28, v36
	v_sub_nc_u32_e32 v36, 29, v36
	v_lshlrev_b64 v[91:92], v37, v[27:28]
	v_and_b32_e32 v27, 7, v91
; %bb.295:                              ;   in Loop: Header=BB355_13 Depth=1
	s_or_b32 exec_lo, exec_lo, s53
	v_mov_b32_e32 v0, 24
	v_lshlrev_b32_e32 v27, 20, v27
	v_lshl_add_u32 v36, v36, 23, 0x3c000000
	v_lshlrev_b32_sdwa v37, v0, v35 dst_sel:DWORD dst_unused:UNUSED_PAD src0_sel:DWORD src1_sel:WORD_1
	v_and_b32_e32 v37, 0x80000000, v37
	v_or3_b32 v77, v27, v37, v36
.LBB355_296:                            ;   in Loop: Header=BB355_13 Depth=1
	s_or_b32 exec_lo, exec_lo, s52
.LBB355_297:                            ;   in Loop: Header=BB355_13 Depth=1
	s_or_b32 exec_lo, exec_lo, s51
.LBB355_298:                            ;   in Loop: Header=BB355_13 Depth=1
	s_or_b32 exec_lo, exec_lo, s4
	s_mov_b32 s4, exec_lo
	v_cmpx_lt_u32_e32 0xffffff, v35
	s_cbranch_execz .LBB355_306
; %bb.299:                              ;   in Loop: Header=BB355_13 Depth=1
	v_cmp_ne_u32_sdwa s3, v35, v45 src0_sel:BYTE_3 src1_sel:DWORD
	v_bfrev_b32_e32 v76, 1
	s_and_saveexec_b32 s51, s3
	s_cbranch_execz .LBB355_305
; %bb.300:                              ;   in Loop: Header=BB355_13 Depth=1
	v_bfe_u32 v37, v35, 24, 7
	v_mov_b32_e32 v76, 0x7f800001
	s_mov_b32 s52, exec_lo
	v_cmpx_ne_u32_e32 0x7f, v37
	s_cbranch_execz .LBB355_304
; %bb.301:                              ;   in Loop: Header=BB355_13 Depth=1
	v_mov_b32_e32 v0, 7
	v_lshrrev_b32_e32 v36, 3, v37
	s_mov_b32 s53, exec_lo
	v_and_b32_sdwa v27, v35, v0 dst_sel:DWORD dst_unused:UNUSED_PAD src0_sel:BYTE_3 src1_sel:DWORD
	v_cmpx_gt_u32_e32 8, v37
; %bb.302:                              ;   in Loop: Header=BB355_13 Depth=1
	v_ffbh_u32_e32 v36, v27
	v_min_u32_e32 v36, 32, v36
	v_subrev_nc_u32_e32 v37, 28, v36
	v_sub_nc_u32_e32 v36, 29, v36
	v_lshlrev_b64 v[92:93], v37, v[27:28]
	v_and_b32_e32 v27, 7, v92
; %bb.303:                              ;   in Loop: Header=BB355_13 Depth=1
	s_or_b32 exec_lo, exec_lo, s53
	v_mov_b32_e32 v0, 24
	v_lshlrev_b32_e32 v27, 20, v27
	v_lshl_add_u32 v36, v36, 23, 0x3c000000
	v_lshlrev_b32_sdwa v35, v0, v35 dst_sel:DWORD dst_unused:UNUSED_PAD src0_sel:DWORD src1_sel:BYTE_3
	v_and_b32_e32 v35, 0x80000000, v35
	v_or3_b32 v76, v27, v35, v36
.LBB355_304:                            ;   in Loop: Header=BB355_13 Depth=1
	s_or_b32 exec_lo, exec_lo, s52
.LBB355_305:                            ;   in Loop: Header=BB355_13 Depth=1
	s_or_b32 exec_lo, exec_lo, s51
.LBB355_306:                            ;   in Loop: Header=BB355_13 Depth=1
	s_or_b32 exec_lo, exec_lo, s4
	global_load_dword v35, v[33:34], off offset:1032
	v_mov_b32_e32 v78, 0
	v_mov_b32_e32 v79, 0
	s_waitcnt vmcnt(0)
	v_cmp_ne_u16_sdwa s3, v35, v28 src0_sel:BYTE_0 src1_sel:DWORD
	s_and_saveexec_b32 s4, s3
	s_cbranch_execz .LBB355_314
; %bb.307:                              ;   in Loop: Header=BB355_13 Depth=1
	v_cmp_ne_u16_sdwa s3, v35, v45 src0_sel:BYTE_0 src1_sel:DWORD
	v_bfrev_b32_e32 v79, 1
	s_and_saveexec_b32 s51, s3
	s_cbranch_execz .LBB355_313
; %bb.308:                              ;   in Loop: Header=BB355_13 Depth=1
	v_and_b32_e32 v37, 0x7f, v35
	v_mov_b32_e32 v79, 0x7f800001
	s_mov_b32 s52, exec_lo
	v_cmpx_ne_u32_e32 0x7f, v37
	s_cbranch_execz .LBB355_312
; %bb.309:                              ;   in Loop: Header=BB355_13 Depth=1
	v_and_b32_e32 v27, 7, v35
	v_lshrrev_b32_e32 v36, 3, v37
	s_mov_b32 s53, exec_lo
	v_cmpx_gt_u32_e32 8, v37
; %bb.310:                              ;   in Loop: Header=BB355_13 Depth=1
	v_ffbh_u32_e32 v36, v27
	v_min_u32_e32 v36, 32, v36
	v_subrev_nc_u32_e32 v37, 28, v36
	v_sub_nc_u32_e32 v36, 29, v36
	v_lshlrev_b64 v[93:94], v37, v[27:28]
	v_and_b32_e32 v27, 7, v93
; %bb.311:                              ;   in Loop: Header=BB355_13 Depth=1
	s_or_b32 exec_lo, exec_lo, s53
	v_lshlrev_b32_e32 v37, 24, v35
	v_lshlrev_b32_e32 v27, 20, v27
	v_lshl_add_u32 v36, v36, 23, 0x3c000000
	v_and_b32_e32 v37, 0x80000000, v37
	v_or3_b32 v79, v27, v37, v36
.LBB355_312:                            ;   in Loop: Header=BB355_13 Depth=1
	s_or_b32 exec_lo, exec_lo, s52
.LBB355_313:                            ;   in Loop: Header=BB355_13 Depth=1
	s_or_b32 exec_lo, exec_lo, s51
.LBB355_314:                            ;   in Loop: Header=BB355_13 Depth=1
	s_or_b32 exec_lo, exec_lo, s4
	v_cmp_ne_u16_sdwa s3, v35, v28 src0_sel:BYTE_1 src1_sel:DWORD
	s_and_saveexec_b32 s4, s3
	s_cbranch_execz .LBB355_322
; %bb.315:                              ;   in Loop: Header=BB355_13 Depth=1
	v_cmp_ne_u16_sdwa s3, v35, v45 src0_sel:BYTE_1 src1_sel:DWORD
	v_bfrev_b32_e32 v78, 1
	s_and_saveexec_b32 s51, s3
	s_cbranch_execz .LBB355_321
; %bb.316:                              ;   in Loop: Header=BB355_13 Depth=1
	v_mov_b32_e32 v0, 0xffff
	v_mov_b32_e32 v78, 0x7f800001
	s_mov_b32 s52, exec_lo
	v_and_b32_sdwa v27, v0, v35 dst_sel:DWORD dst_unused:UNUSED_PAD src0_sel:DWORD src1_sel:BYTE_1
	v_and_b32_e32 v37, 0x7f, v27
	v_cmpx_ne_u32_e32 0x7f, v37
	s_cbranch_execz .LBB355_320
; %bb.317:                              ;   in Loop: Header=BB355_13 Depth=1
	v_and_b32_e32 v27, 7, v27
	v_lshrrev_b32_e32 v36, 3, v37
	s_mov_b32 s53, exec_lo
	v_cmpx_gt_u32_e32 8, v37
; %bb.318:                              ;   in Loop: Header=BB355_13 Depth=1
	v_ffbh_u32_e32 v36, v27
	v_min_u32_e32 v36, 32, v36
	v_subrev_nc_u32_e32 v37, 28, v36
	v_sub_nc_u32_e32 v36, 29, v36
	v_lshlrev_b64 v[94:95], v37, v[27:28]
	v_and_b32_e32 v27, 7, v94
; %bb.319:                              ;   in Loop: Header=BB355_13 Depth=1
	s_or_b32 exec_lo, exec_lo, s53
	v_lshlrev_b32_e32 v37, 16, v35
	v_lshlrev_b32_e32 v27, 20, v27
	v_lshl_add_u32 v36, v36, 23, 0x3c000000
	v_and_b32_e32 v37, 0x80000000, v37
	v_or3_b32 v78, v27, v37, v36
.LBB355_320:                            ;   in Loop: Header=BB355_13 Depth=1
	s_or_b32 exec_lo, exec_lo, s52
.LBB355_321:                            ;   in Loop: Header=BB355_13 Depth=1
	s_or_b32 exec_lo, exec_lo, s51
.LBB355_322:                            ;   in Loop: Header=BB355_13 Depth=1
	s_or_b32 exec_lo, exec_lo, s4
	v_and_b32_sdwa v27, v35, v47 dst_sel:DWORD dst_unused:UNUSED_PAD src0_sel:WORD_1 src1_sel:DWORD
	v_mov_b32_e32 v80, 0
	v_mov_b32_e32 v81, 0
	s_mov_b32 s4, exec_lo
	v_cmpx_ne_u16_e32 0, v27
	s_cbranch_execz .LBB355_330
; %bb.323:                              ;   in Loop: Header=BB355_13 Depth=1
	v_bfrev_b32_e32 v81, 1
	s_mov_b32 s51, exec_lo
	v_cmpx_ne_u16_e32 0x80, v27
	s_cbranch_execz .LBB355_329
; %bb.324:                              ;   in Loop: Header=BB355_13 Depth=1
	v_bfe_u32 v37, v35, 16, 7
	v_mov_b32_e32 v81, 0x7f800001
	s_mov_b32 s52, exec_lo
	v_cmpx_ne_u32_e32 0x7f, v37
	s_cbranch_execz .LBB355_328
; %bb.325:                              ;   in Loop: Header=BB355_13 Depth=1
	v_mov_b32_e32 v0, 7
	v_lshrrev_b32_e32 v36, 3, v37
	s_mov_b32 s53, exec_lo
	v_and_b32_sdwa v27, v35, v0 dst_sel:DWORD dst_unused:UNUSED_PAD src0_sel:WORD_1 src1_sel:DWORD
	v_cmpx_gt_u32_e32 8, v37
; %bb.326:                              ;   in Loop: Header=BB355_13 Depth=1
	v_ffbh_u32_e32 v36, v27
	v_min_u32_e32 v36, 32, v36
	v_subrev_nc_u32_e32 v37, 28, v36
	v_sub_nc_u32_e32 v36, 29, v36
	v_lshlrev_b64 v[95:96], v37, v[27:28]
	v_and_b32_e32 v27, 7, v95
; %bb.327:                              ;   in Loop: Header=BB355_13 Depth=1
	s_or_b32 exec_lo, exec_lo, s53
	v_mov_b32_e32 v0, 24
	v_lshlrev_b32_e32 v27, 20, v27
	v_lshl_add_u32 v36, v36, 23, 0x3c000000
	v_lshlrev_b32_sdwa v37, v0, v35 dst_sel:DWORD dst_unused:UNUSED_PAD src0_sel:DWORD src1_sel:WORD_1
	v_and_b32_e32 v37, 0x80000000, v37
	v_or3_b32 v81, v27, v37, v36
.LBB355_328:                            ;   in Loop: Header=BB355_13 Depth=1
	s_or_b32 exec_lo, exec_lo, s52
.LBB355_329:                            ;   in Loop: Header=BB355_13 Depth=1
	s_or_b32 exec_lo, exec_lo, s51
.LBB355_330:                            ;   in Loop: Header=BB355_13 Depth=1
	s_or_b32 exec_lo, exec_lo, s4
	s_mov_b32 s4, exec_lo
	v_cmpx_lt_u32_e32 0xffffff, v35
	s_cbranch_execz .LBB355_338
; %bb.331:                              ;   in Loop: Header=BB355_13 Depth=1
	v_cmp_ne_u32_sdwa s3, v35, v45 src0_sel:BYTE_3 src1_sel:DWORD
	v_bfrev_b32_e32 v80, 1
	s_and_saveexec_b32 s51, s3
	s_cbranch_execz .LBB355_337
; %bb.332:                              ;   in Loop: Header=BB355_13 Depth=1
	v_bfe_u32 v37, v35, 24, 7
	v_mov_b32_e32 v80, 0x7f800001
	s_mov_b32 s52, exec_lo
	v_cmpx_ne_u32_e32 0x7f, v37
	s_cbranch_execz .LBB355_336
; %bb.333:                              ;   in Loop: Header=BB355_13 Depth=1
	v_mov_b32_e32 v0, 7
	v_lshrrev_b32_e32 v36, 3, v37
	s_mov_b32 s53, exec_lo
	v_and_b32_sdwa v27, v35, v0 dst_sel:DWORD dst_unused:UNUSED_PAD src0_sel:BYTE_3 src1_sel:DWORD
	v_cmpx_gt_u32_e32 8, v37
; %bb.334:                              ;   in Loop: Header=BB355_13 Depth=1
	v_ffbh_u32_e32 v36, v27
	v_min_u32_e32 v36, 32, v36
	v_subrev_nc_u32_e32 v37, 28, v36
	v_sub_nc_u32_e32 v36, 29, v36
	v_lshlrev_b64 v[96:97], v37, v[27:28]
	v_and_b32_e32 v27, 7, v96
; %bb.335:                              ;   in Loop: Header=BB355_13 Depth=1
	s_or_b32 exec_lo, exec_lo, s53
	v_mov_b32_e32 v0, 24
	v_lshlrev_b32_e32 v27, 20, v27
	v_lshl_add_u32 v36, v36, 23, 0x3c000000
	v_lshlrev_b32_sdwa v35, v0, v35 dst_sel:DWORD dst_unused:UNUSED_PAD src0_sel:DWORD src1_sel:BYTE_3
	v_and_b32_e32 v35, 0x80000000, v35
	v_or3_b32 v80, v27, v35, v36
.LBB355_336:                            ;   in Loop: Header=BB355_13 Depth=1
	s_or_b32 exec_lo, exec_lo, s52
.LBB355_337:                            ;   in Loop: Header=BB355_13 Depth=1
	s_or_b32 exec_lo, exec_lo, s51
.LBB355_338:                            ;   in Loop: Header=BB355_13 Depth=1
	s_or_b32 exec_lo, exec_lo, s4
	global_load_dword v35, v[33:34], off offset:1280
	v_mov_b32_e32 v82, 0
	v_mov_b32_e32 v83, 0
	s_waitcnt vmcnt(0)
	v_cmp_ne_u16_sdwa s3, v35, v28 src0_sel:BYTE_0 src1_sel:DWORD
	s_and_saveexec_b32 s4, s3
	s_cbranch_execz .LBB355_346
; %bb.339:                              ;   in Loop: Header=BB355_13 Depth=1
	v_cmp_ne_u16_sdwa s3, v35, v45 src0_sel:BYTE_0 src1_sel:DWORD
	v_bfrev_b32_e32 v83, 1
	s_and_saveexec_b32 s51, s3
	s_cbranch_execz .LBB355_345
; %bb.340:                              ;   in Loop: Header=BB355_13 Depth=1
	v_and_b32_e32 v37, 0x7f, v35
	v_mov_b32_e32 v83, 0x7f800001
	s_mov_b32 s52, exec_lo
	v_cmpx_ne_u32_e32 0x7f, v37
	s_cbranch_execz .LBB355_344
; %bb.341:                              ;   in Loop: Header=BB355_13 Depth=1
	v_and_b32_e32 v27, 7, v35
	v_lshrrev_b32_e32 v36, 3, v37
	s_mov_b32 s53, exec_lo
	v_cmpx_gt_u32_e32 8, v37
; %bb.342:                              ;   in Loop: Header=BB355_13 Depth=1
	v_ffbh_u32_e32 v36, v27
	v_min_u32_e32 v36, 32, v36
	v_subrev_nc_u32_e32 v37, 28, v36
	v_sub_nc_u32_e32 v36, 29, v36
	v_lshlrev_b64 v[97:98], v37, v[27:28]
	v_and_b32_e32 v27, 7, v97
; %bb.343:                              ;   in Loop: Header=BB355_13 Depth=1
	s_or_b32 exec_lo, exec_lo, s53
	v_lshlrev_b32_e32 v37, 24, v35
	v_lshlrev_b32_e32 v27, 20, v27
	v_lshl_add_u32 v36, v36, 23, 0x3c000000
	v_and_b32_e32 v37, 0x80000000, v37
	v_or3_b32 v83, v27, v37, v36
.LBB355_344:                            ;   in Loop: Header=BB355_13 Depth=1
	s_or_b32 exec_lo, exec_lo, s52
.LBB355_345:                            ;   in Loop: Header=BB355_13 Depth=1
	s_or_b32 exec_lo, exec_lo, s51
.LBB355_346:                            ;   in Loop: Header=BB355_13 Depth=1
	s_or_b32 exec_lo, exec_lo, s4
	v_cmp_ne_u16_sdwa s3, v35, v28 src0_sel:BYTE_1 src1_sel:DWORD
	s_and_saveexec_b32 s4, s3
	s_cbranch_execz .LBB355_354
; %bb.347:                              ;   in Loop: Header=BB355_13 Depth=1
	v_cmp_ne_u16_sdwa s3, v35, v45 src0_sel:BYTE_1 src1_sel:DWORD
	v_bfrev_b32_e32 v82, 1
	s_and_saveexec_b32 s51, s3
	s_cbranch_execz .LBB355_353
; %bb.348:                              ;   in Loop: Header=BB355_13 Depth=1
	v_mov_b32_e32 v0, 0xffff
	v_mov_b32_e32 v82, 0x7f800001
	s_mov_b32 s52, exec_lo
	v_and_b32_sdwa v27, v0, v35 dst_sel:DWORD dst_unused:UNUSED_PAD src0_sel:DWORD src1_sel:BYTE_1
	v_and_b32_e32 v37, 0x7f, v27
	v_cmpx_ne_u32_e32 0x7f, v37
	s_cbranch_execz .LBB355_352
; %bb.349:                              ;   in Loop: Header=BB355_13 Depth=1
	v_and_b32_e32 v27, 7, v27
	v_lshrrev_b32_e32 v36, 3, v37
	s_mov_b32 s53, exec_lo
	v_cmpx_gt_u32_e32 8, v37
; %bb.350:                              ;   in Loop: Header=BB355_13 Depth=1
	v_ffbh_u32_e32 v36, v27
	v_min_u32_e32 v36, 32, v36
	v_subrev_nc_u32_e32 v37, 28, v36
	v_sub_nc_u32_e32 v36, 29, v36
	v_lshlrev_b64 v[98:99], v37, v[27:28]
	v_and_b32_e32 v27, 7, v98
; %bb.351:                              ;   in Loop: Header=BB355_13 Depth=1
	s_or_b32 exec_lo, exec_lo, s53
	v_lshlrev_b32_e32 v37, 16, v35
	v_lshlrev_b32_e32 v27, 20, v27
	v_lshl_add_u32 v36, v36, 23, 0x3c000000
	v_and_b32_e32 v37, 0x80000000, v37
	v_or3_b32 v82, v27, v37, v36
.LBB355_352:                            ;   in Loop: Header=BB355_13 Depth=1
	s_or_b32 exec_lo, exec_lo, s52
.LBB355_353:                            ;   in Loop: Header=BB355_13 Depth=1
	s_or_b32 exec_lo, exec_lo, s51
.LBB355_354:                            ;   in Loop: Header=BB355_13 Depth=1
	s_or_b32 exec_lo, exec_lo, s4
	v_and_b32_sdwa v27, v35, v47 dst_sel:DWORD dst_unused:UNUSED_PAD src0_sel:WORD_1 src1_sel:DWORD
	v_mov_b32_e32 v84, 0
	v_mov_b32_e32 v85, 0
	s_mov_b32 s4, exec_lo
	v_cmpx_ne_u16_e32 0, v27
	s_cbranch_execz .LBB355_362
; %bb.355:                              ;   in Loop: Header=BB355_13 Depth=1
	v_bfrev_b32_e32 v85, 1
	s_mov_b32 s51, exec_lo
	v_cmpx_ne_u16_e32 0x80, v27
	s_cbranch_execz .LBB355_361
; %bb.356:                              ;   in Loop: Header=BB355_13 Depth=1
	v_bfe_u32 v37, v35, 16, 7
	v_mov_b32_e32 v85, 0x7f800001
	s_mov_b32 s52, exec_lo
	v_cmpx_ne_u32_e32 0x7f, v37
	s_cbranch_execz .LBB355_360
; %bb.357:                              ;   in Loop: Header=BB355_13 Depth=1
	v_mov_b32_e32 v0, 7
	v_lshrrev_b32_e32 v36, 3, v37
	s_mov_b32 s53, exec_lo
	v_and_b32_sdwa v27, v35, v0 dst_sel:DWORD dst_unused:UNUSED_PAD src0_sel:WORD_1 src1_sel:DWORD
	v_cmpx_gt_u32_e32 8, v37
; %bb.358:                              ;   in Loop: Header=BB355_13 Depth=1
	v_ffbh_u32_e32 v36, v27
	v_min_u32_e32 v36, 32, v36
	v_subrev_nc_u32_e32 v37, 28, v36
	v_sub_nc_u32_e32 v36, 29, v36
	v_lshlrev_b64 v[99:100], v37, v[27:28]
	v_and_b32_e32 v27, 7, v99
; %bb.359:                              ;   in Loop: Header=BB355_13 Depth=1
	s_or_b32 exec_lo, exec_lo, s53
	v_mov_b32_e32 v0, 24
	v_lshlrev_b32_e32 v27, 20, v27
	v_lshl_add_u32 v36, v36, 23, 0x3c000000
	v_lshlrev_b32_sdwa v37, v0, v35 dst_sel:DWORD dst_unused:UNUSED_PAD src0_sel:DWORD src1_sel:WORD_1
	v_and_b32_e32 v37, 0x80000000, v37
	v_or3_b32 v85, v27, v37, v36
.LBB355_360:                            ;   in Loop: Header=BB355_13 Depth=1
	s_or_b32 exec_lo, exec_lo, s52
.LBB355_361:                            ;   in Loop: Header=BB355_13 Depth=1
	s_or_b32 exec_lo, exec_lo, s51
.LBB355_362:                            ;   in Loop: Header=BB355_13 Depth=1
	s_or_b32 exec_lo, exec_lo, s4
	s_mov_b32 s4, exec_lo
	v_cmpx_lt_u32_e32 0xffffff, v35
	s_cbranch_execz .LBB355_370
; %bb.363:                              ;   in Loop: Header=BB355_13 Depth=1
	v_cmp_ne_u32_sdwa s3, v35, v45 src0_sel:BYTE_3 src1_sel:DWORD
	v_bfrev_b32_e32 v84, 1
	s_and_saveexec_b32 s51, s3
	s_cbranch_execz .LBB355_369
; %bb.364:                              ;   in Loop: Header=BB355_13 Depth=1
	v_bfe_u32 v37, v35, 24, 7
	v_mov_b32_e32 v84, 0x7f800001
	s_mov_b32 s52, exec_lo
	v_cmpx_ne_u32_e32 0x7f, v37
	s_cbranch_execz .LBB355_368
; %bb.365:                              ;   in Loop: Header=BB355_13 Depth=1
	v_mov_b32_e32 v0, 7
	v_lshrrev_b32_e32 v36, 3, v37
	s_mov_b32 s53, exec_lo
	v_and_b32_sdwa v27, v35, v0 dst_sel:DWORD dst_unused:UNUSED_PAD src0_sel:BYTE_3 src1_sel:DWORD
	v_cmpx_gt_u32_e32 8, v37
; %bb.366:                              ;   in Loop: Header=BB355_13 Depth=1
	v_ffbh_u32_e32 v36, v27
	v_min_u32_e32 v36, 32, v36
	v_subrev_nc_u32_e32 v37, 28, v36
	v_sub_nc_u32_e32 v36, 29, v36
	v_lshlrev_b64 v[100:101], v37, v[27:28]
	v_and_b32_e32 v27, 7, v100
; %bb.367:                              ;   in Loop: Header=BB355_13 Depth=1
	s_or_b32 exec_lo, exec_lo, s53
	v_mov_b32_e32 v0, 24
	v_lshlrev_b32_e32 v27, 20, v27
	v_lshl_add_u32 v36, v36, 23, 0x3c000000
	v_lshlrev_b32_sdwa v35, v0, v35 dst_sel:DWORD dst_unused:UNUSED_PAD src0_sel:DWORD src1_sel:BYTE_3
	v_and_b32_e32 v35, 0x80000000, v35
	v_or3_b32 v84, v27, v35, v36
.LBB355_368:                            ;   in Loop: Header=BB355_13 Depth=1
	s_or_b32 exec_lo, exec_lo, s52
.LBB355_369:                            ;   in Loop: Header=BB355_13 Depth=1
	s_or_b32 exec_lo, exec_lo, s51
.LBB355_370:                            ;   in Loop: Header=BB355_13 Depth=1
	s_or_b32 exec_lo, exec_lo, s4
	global_load_dword v35, v[33:34], off offset:1288
	v_mov_b32_e32 v86, 0
	v_mov_b32_e32 v87, 0
	s_waitcnt vmcnt(0)
	v_cmp_ne_u16_sdwa s3, v35, v28 src0_sel:BYTE_0 src1_sel:DWORD
	s_and_saveexec_b32 s4, s3
	s_cbranch_execz .LBB355_378
; %bb.371:                              ;   in Loop: Header=BB355_13 Depth=1
	v_cmp_ne_u16_sdwa s3, v35, v45 src0_sel:BYTE_0 src1_sel:DWORD
	v_bfrev_b32_e32 v87, 1
	s_and_saveexec_b32 s51, s3
	s_cbranch_execz .LBB355_377
; %bb.372:                              ;   in Loop: Header=BB355_13 Depth=1
	v_and_b32_e32 v37, 0x7f, v35
	v_mov_b32_e32 v87, 0x7f800001
	s_mov_b32 s52, exec_lo
	v_cmpx_ne_u32_e32 0x7f, v37
	s_cbranch_execz .LBB355_376
; %bb.373:                              ;   in Loop: Header=BB355_13 Depth=1
	v_and_b32_e32 v27, 7, v35
	v_lshrrev_b32_e32 v36, 3, v37
	s_mov_b32 s53, exec_lo
	v_cmpx_gt_u32_e32 8, v37
; %bb.374:                              ;   in Loop: Header=BB355_13 Depth=1
	v_ffbh_u32_e32 v36, v27
	v_min_u32_e32 v36, 32, v36
	v_subrev_nc_u32_e32 v37, 28, v36
	v_sub_nc_u32_e32 v36, 29, v36
	v_lshlrev_b64 v[101:102], v37, v[27:28]
	v_and_b32_e32 v27, 7, v101
; %bb.375:                              ;   in Loop: Header=BB355_13 Depth=1
	s_or_b32 exec_lo, exec_lo, s53
	v_lshlrev_b32_e32 v37, 24, v35
	v_lshlrev_b32_e32 v27, 20, v27
	v_lshl_add_u32 v36, v36, 23, 0x3c000000
	v_and_b32_e32 v37, 0x80000000, v37
	v_or3_b32 v87, v27, v37, v36
.LBB355_376:                            ;   in Loop: Header=BB355_13 Depth=1
	s_or_b32 exec_lo, exec_lo, s52
.LBB355_377:                            ;   in Loop: Header=BB355_13 Depth=1
	s_or_b32 exec_lo, exec_lo, s51
.LBB355_378:                            ;   in Loop: Header=BB355_13 Depth=1
	s_or_b32 exec_lo, exec_lo, s4
	v_cmp_ne_u16_sdwa s3, v35, v28 src0_sel:BYTE_1 src1_sel:DWORD
	s_and_saveexec_b32 s4, s3
	s_cbranch_execz .LBB355_386
; %bb.379:                              ;   in Loop: Header=BB355_13 Depth=1
	v_cmp_ne_u16_sdwa s3, v35, v45 src0_sel:BYTE_1 src1_sel:DWORD
	v_bfrev_b32_e32 v86, 1
	s_and_saveexec_b32 s51, s3
	s_cbranch_execz .LBB355_385
; %bb.380:                              ;   in Loop: Header=BB355_13 Depth=1
	v_mov_b32_e32 v0, 0xffff
	v_mov_b32_e32 v86, 0x7f800001
	s_mov_b32 s52, exec_lo
	v_and_b32_sdwa v27, v0, v35 dst_sel:DWORD dst_unused:UNUSED_PAD src0_sel:DWORD src1_sel:BYTE_1
	v_and_b32_e32 v37, 0x7f, v27
	v_cmpx_ne_u32_e32 0x7f, v37
	s_cbranch_execz .LBB355_384
; %bb.381:                              ;   in Loop: Header=BB355_13 Depth=1
	v_and_b32_e32 v27, 7, v27
	v_lshrrev_b32_e32 v36, 3, v37
	s_mov_b32 s53, exec_lo
	v_cmpx_gt_u32_e32 8, v37
; %bb.382:                              ;   in Loop: Header=BB355_13 Depth=1
	v_ffbh_u32_e32 v36, v27
	v_min_u32_e32 v36, 32, v36
	v_subrev_nc_u32_e32 v37, 28, v36
	v_sub_nc_u32_e32 v36, 29, v36
	v_lshlrev_b64 v[102:103], v37, v[27:28]
	v_and_b32_e32 v27, 7, v102
; %bb.383:                              ;   in Loop: Header=BB355_13 Depth=1
	s_or_b32 exec_lo, exec_lo, s53
	v_lshlrev_b32_e32 v37, 16, v35
	v_lshlrev_b32_e32 v27, 20, v27
	v_lshl_add_u32 v36, v36, 23, 0x3c000000
	v_and_b32_e32 v37, 0x80000000, v37
	v_or3_b32 v86, v27, v37, v36
.LBB355_384:                            ;   in Loop: Header=BB355_13 Depth=1
	s_or_b32 exec_lo, exec_lo, s52
.LBB355_385:                            ;   in Loop: Header=BB355_13 Depth=1
	s_or_b32 exec_lo, exec_lo, s51
.LBB355_386:                            ;   in Loop: Header=BB355_13 Depth=1
	s_or_b32 exec_lo, exec_lo, s4
	v_and_b32_sdwa v27, v35, v47 dst_sel:DWORD dst_unused:UNUSED_PAD src0_sel:WORD_1 src1_sel:DWORD
	v_mov_b32_e32 v88, 0
	v_mov_b32_e32 v89, 0
	s_mov_b32 s4, exec_lo
	v_cmpx_ne_u16_e32 0, v27
	s_cbranch_execz .LBB355_394
; %bb.387:                              ;   in Loop: Header=BB355_13 Depth=1
	v_bfrev_b32_e32 v89, 1
	s_mov_b32 s51, exec_lo
	v_cmpx_ne_u16_e32 0x80, v27
	s_cbranch_execz .LBB355_393
; %bb.388:                              ;   in Loop: Header=BB355_13 Depth=1
	v_bfe_u32 v37, v35, 16, 7
	v_mov_b32_e32 v89, 0x7f800001
	s_mov_b32 s52, exec_lo
	v_cmpx_ne_u32_e32 0x7f, v37
	s_cbranch_execz .LBB355_392
; %bb.389:                              ;   in Loop: Header=BB355_13 Depth=1
	v_mov_b32_e32 v0, 7
	v_lshrrev_b32_e32 v36, 3, v37
	s_mov_b32 s53, exec_lo
	v_and_b32_sdwa v27, v35, v0 dst_sel:DWORD dst_unused:UNUSED_PAD src0_sel:WORD_1 src1_sel:DWORD
	v_cmpx_gt_u32_e32 8, v37
; %bb.390:                              ;   in Loop: Header=BB355_13 Depth=1
	v_ffbh_u32_e32 v36, v27
	v_min_u32_e32 v36, 32, v36
	v_subrev_nc_u32_e32 v37, 28, v36
	v_sub_nc_u32_e32 v36, 29, v36
	v_lshlrev_b64 v[103:104], v37, v[27:28]
	v_and_b32_e32 v27, 7, v103
; %bb.391:                              ;   in Loop: Header=BB355_13 Depth=1
	s_or_b32 exec_lo, exec_lo, s53
	v_mov_b32_e32 v0, 24
	v_lshlrev_b32_e32 v27, 20, v27
	v_lshl_add_u32 v36, v36, 23, 0x3c000000
	v_lshlrev_b32_sdwa v37, v0, v35 dst_sel:DWORD dst_unused:UNUSED_PAD src0_sel:DWORD src1_sel:WORD_1
	v_and_b32_e32 v37, 0x80000000, v37
	v_or3_b32 v89, v27, v37, v36
.LBB355_392:                            ;   in Loop: Header=BB355_13 Depth=1
	s_or_b32 exec_lo, exec_lo, s52
.LBB355_393:                            ;   in Loop: Header=BB355_13 Depth=1
	s_or_b32 exec_lo, exec_lo, s51
.LBB355_394:                            ;   in Loop: Header=BB355_13 Depth=1
	s_or_b32 exec_lo, exec_lo, s4
	s_mov_b32 s4, exec_lo
	v_cmpx_lt_u32_e32 0xffffff, v35
	s_cbranch_execz .LBB355_402
; %bb.395:                              ;   in Loop: Header=BB355_13 Depth=1
	v_cmp_ne_u32_sdwa s3, v35, v45 src0_sel:BYTE_3 src1_sel:DWORD
	v_bfrev_b32_e32 v88, 1
	s_and_saveexec_b32 s51, s3
	s_cbranch_execz .LBB355_401
; %bb.396:                              ;   in Loop: Header=BB355_13 Depth=1
	v_bfe_u32 v37, v35, 24, 7
	v_mov_b32_e32 v88, 0x7f800001
	s_mov_b32 s52, exec_lo
	v_cmpx_ne_u32_e32 0x7f, v37
	s_cbranch_execz .LBB355_400
; %bb.397:                              ;   in Loop: Header=BB355_13 Depth=1
	v_mov_b32_e32 v0, 7
	v_lshrrev_b32_e32 v36, 3, v37
	s_mov_b32 s53, exec_lo
	v_and_b32_sdwa v27, v35, v0 dst_sel:DWORD dst_unused:UNUSED_PAD src0_sel:BYTE_3 src1_sel:DWORD
	v_cmpx_gt_u32_e32 8, v37
; %bb.398:                              ;   in Loop: Header=BB355_13 Depth=1
	v_ffbh_u32_e32 v36, v27
	v_min_u32_e32 v36, 32, v36
	v_subrev_nc_u32_e32 v37, 28, v36
	v_sub_nc_u32_e32 v36, 29, v36
	v_lshlrev_b64 v[104:105], v37, v[27:28]
	v_and_b32_e32 v27, 7, v104
; %bb.399:                              ;   in Loop: Header=BB355_13 Depth=1
	s_or_b32 exec_lo, exec_lo, s53
	v_mov_b32_e32 v0, 24
	v_lshlrev_b32_e32 v27, 20, v27
	v_lshl_add_u32 v36, v36, 23, 0x3c000000
	v_lshlrev_b32_sdwa v35, v0, v35 dst_sel:DWORD dst_unused:UNUSED_PAD src0_sel:DWORD src1_sel:BYTE_3
	v_and_b32_e32 v35, 0x80000000, v35
	v_or3_b32 v88, v27, v35, v36
.LBB355_400:                            ;   in Loop: Header=BB355_13 Depth=1
	s_or_b32 exec_lo, exec_lo, s52
.LBB355_401:                            ;   in Loop: Header=BB355_13 Depth=1
	s_or_b32 exec_lo, exec_lo, s51
.LBB355_402:                            ;   in Loop: Header=BB355_13 Depth=1
	s_or_b32 exec_lo, exec_lo, s4
	global_load_dword v35, v[33:34], off offset:1536
	v_mov_b32_e32 v90, 0
	v_mov_b32_e32 v91, 0
	s_waitcnt vmcnt(0)
	v_cmp_ne_u16_sdwa s3, v35, v28 src0_sel:BYTE_0 src1_sel:DWORD
	s_and_saveexec_b32 s4, s3
	s_cbranch_execz .LBB355_410
; %bb.403:                              ;   in Loop: Header=BB355_13 Depth=1
	v_cmp_ne_u16_sdwa s3, v35, v45 src0_sel:BYTE_0 src1_sel:DWORD
	v_bfrev_b32_e32 v91, 1
	s_and_saveexec_b32 s51, s3
	s_cbranch_execz .LBB355_409
; %bb.404:                              ;   in Loop: Header=BB355_13 Depth=1
	v_and_b32_e32 v37, 0x7f, v35
	v_mov_b32_e32 v91, 0x7f800001
	s_mov_b32 s52, exec_lo
	v_cmpx_ne_u32_e32 0x7f, v37
	s_cbranch_execz .LBB355_408
; %bb.405:                              ;   in Loop: Header=BB355_13 Depth=1
	v_and_b32_e32 v27, 7, v35
	v_lshrrev_b32_e32 v36, 3, v37
	s_mov_b32 s53, exec_lo
	v_cmpx_gt_u32_e32 8, v37
; %bb.406:                              ;   in Loop: Header=BB355_13 Depth=1
	v_ffbh_u32_e32 v36, v27
	v_min_u32_e32 v36, 32, v36
	v_subrev_nc_u32_e32 v37, 28, v36
	v_sub_nc_u32_e32 v36, 29, v36
	v_lshlrev_b64 v[105:106], v37, v[27:28]
	v_and_b32_e32 v27, 7, v105
; %bb.407:                              ;   in Loop: Header=BB355_13 Depth=1
	s_or_b32 exec_lo, exec_lo, s53
	v_lshlrev_b32_e32 v37, 24, v35
	v_lshlrev_b32_e32 v27, 20, v27
	v_lshl_add_u32 v36, v36, 23, 0x3c000000
	v_and_b32_e32 v37, 0x80000000, v37
	v_or3_b32 v91, v27, v37, v36
.LBB355_408:                            ;   in Loop: Header=BB355_13 Depth=1
	s_or_b32 exec_lo, exec_lo, s52
.LBB355_409:                            ;   in Loop: Header=BB355_13 Depth=1
	s_or_b32 exec_lo, exec_lo, s51
.LBB355_410:                            ;   in Loop: Header=BB355_13 Depth=1
	s_or_b32 exec_lo, exec_lo, s4
	v_cmp_ne_u16_sdwa s3, v35, v28 src0_sel:BYTE_1 src1_sel:DWORD
	s_and_saveexec_b32 s4, s3
	s_cbranch_execz .LBB355_418
; %bb.411:                              ;   in Loop: Header=BB355_13 Depth=1
	v_cmp_ne_u16_sdwa s3, v35, v45 src0_sel:BYTE_1 src1_sel:DWORD
	v_bfrev_b32_e32 v90, 1
	s_and_saveexec_b32 s51, s3
	s_cbranch_execz .LBB355_417
; %bb.412:                              ;   in Loop: Header=BB355_13 Depth=1
	v_mov_b32_e32 v0, 0xffff
	v_mov_b32_e32 v90, 0x7f800001
	s_mov_b32 s52, exec_lo
	v_and_b32_sdwa v27, v0, v35 dst_sel:DWORD dst_unused:UNUSED_PAD src0_sel:DWORD src1_sel:BYTE_1
	v_and_b32_e32 v37, 0x7f, v27
	v_cmpx_ne_u32_e32 0x7f, v37
	s_cbranch_execz .LBB355_416
; %bb.413:                              ;   in Loop: Header=BB355_13 Depth=1
	v_and_b32_e32 v27, 7, v27
	v_lshrrev_b32_e32 v36, 3, v37
	s_mov_b32 s53, exec_lo
	v_cmpx_gt_u32_e32 8, v37
; %bb.414:                              ;   in Loop: Header=BB355_13 Depth=1
	v_ffbh_u32_e32 v36, v27
	v_min_u32_e32 v36, 32, v36
	v_subrev_nc_u32_e32 v37, 28, v36
	v_sub_nc_u32_e32 v36, 29, v36
	v_lshlrev_b64 v[106:107], v37, v[27:28]
	v_and_b32_e32 v27, 7, v106
; %bb.415:                              ;   in Loop: Header=BB355_13 Depth=1
	s_or_b32 exec_lo, exec_lo, s53
	v_lshlrev_b32_e32 v37, 16, v35
	v_lshlrev_b32_e32 v27, 20, v27
	v_lshl_add_u32 v36, v36, 23, 0x3c000000
	v_and_b32_e32 v37, 0x80000000, v37
	v_or3_b32 v90, v27, v37, v36
.LBB355_416:                            ;   in Loop: Header=BB355_13 Depth=1
	s_or_b32 exec_lo, exec_lo, s52
.LBB355_417:                            ;   in Loop: Header=BB355_13 Depth=1
	s_or_b32 exec_lo, exec_lo, s51
.LBB355_418:                            ;   in Loop: Header=BB355_13 Depth=1
	s_or_b32 exec_lo, exec_lo, s4
	v_and_b32_sdwa v27, v35, v47 dst_sel:DWORD dst_unused:UNUSED_PAD src0_sel:WORD_1 src1_sel:DWORD
	v_mov_b32_e32 v92, 0
	v_mov_b32_e32 v93, 0
	s_mov_b32 s4, exec_lo
	v_cmpx_ne_u16_e32 0, v27
	s_cbranch_execz .LBB355_426
; %bb.419:                              ;   in Loop: Header=BB355_13 Depth=1
	v_bfrev_b32_e32 v93, 1
	s_mov_b32 s51, exec_lo
	v_cmpx_ne_u16_e32 0x80, v27
	s_cbranch_execz .LBB355_425
; %bb.420:                              ;   in Loop: Header=BB355_13 Depth=1
	v_bfe_u32 v37, v35, 16, 7
	v_mov_b32_e32 v93, 0x7f800001
	s_mov_b32 s52, exec_lo
	v_cmpx_ne_u32_e32 0x7f, v37
	s_cbranch_execz .LBB355_424
; %bb.421:                              ;   in Loop: Header=BB355_13 Depth=1
	v_mov_b32_e32 v0, 7
	v_lshrrev_b32_e32 v36, 3, v37
	s_mov_b32 s53, exec_lo
	v_and_b32_sdwa v27, v35, v0 dst_sel:DWORD dst_unused:UNUSED_PAD src0_sel:WORD_1 src1_sel:DWORD
	v_cmpx_gt_u32_e32 8, v37
; %bb.422:                              ;   in Loop: Header=BB355_13 Depth=1
	v_ffbh_u32_e32 v36, v27
	v_min_u32_e32 v36, 32, v36
	v_subrev_nc_u32_e32 v37, 28, v36
	v_sub_nc_u32_e32 v36, 29, v36
	v_lshlrev_b64 v[107:108], v37, v[27:28]
	v_and_b32_e32 v27, 7, v107
; %bb.423:                              ;   in Loop: Header=BB355_13 Depth=1
	s_or_b32 exec_lo, exec_lo, s53
	v_mov_b32_e32 v0, 24
	v_lshlrev_b32_e32 v27, 20, v27
	v_lshl_add_u32 v36, v36, 23, 0x3c000000
	v_lshlrev_b32_sdwa v37, v0, v35 dst_sel:DWORD dst_unused:UNUSED_PAD src0_sel:DWORD src1_sel:WORD_1
	v_and_b32_e32 v37, 0x80000000, v37
	v_or3_b32 v93, v27, v37, v36
.LBB355_424:                            ;   in Loop: Header=BB355_13 Depth=1
	s_or_b32 exec_lo, exec_lo, s52
.LBB355_425:                            ;   in Loop: Header=BB355_13 Depth=1
	s_or_b32 exec_lo, exec_lo, s51
.LBB355_426:                            ;   in Loop: Header=BB355_13 Depth=1
	s_or_b32 exec_lo, exec_lo, s4
	s_mov_b32 s4, exec_lo
	v_cmpx_lt_u32_e32 0xffffff, v35
	s_cbranch_execz .LBB355_434
; %bb.427:                              ;   in Loop: Header=BB355_13 Depth=1
	v_cmp_ne_u32_sdwa s3, v35, v45 src0_sel:BYTE_3 src1_sel:DWORD
	v_bfrev_b32_e32 v92, 1
	s_and_saveexec_b32 s51, s3
	s_cbranch_execz .LBB355_433
; %bb.428:                              ;   in Loop: Header=BB355_13 Depth=1
	v_bfe_u32 v37, v35, 24, 7
	v_mov_b32_e32 v92, 0x7f800001
	s_mov_b32 s52, exec_lo
	v_cmpx_ne_u32_e32 0x7f, v37
	s_cbranch_execz .LBB355_432
; %bb.429:                              ;   in Loop: Header=BB355_13 Depth=1
	v_mov_b32_e32 v0, 7
	v_lshrrev_b32_e32 v36, 3, v37
	s_mov_b32 s53, exec_lo
	v_and_b32_sdwa v27, v35, v0 dst_sel:DWORD dst_unused:UNUSED_PAD src0_sel:BYTE_3 src1_sel:DWORD
	v_cmpx_gt_u32_e32 8, v37
; %bb.430:                              ;   in Loop: Header=BB355_13 Depth=1
	v_ffbh_u32_e32 v36, v27
	v_min_u32_e32 v36, 32, v36
	v_subrev_nc_u32_e32 v37, 28, v36
	v_sub_nc_u32_e32 v36, 29, v36
	v_lshlrev_b64 v[108:109], v37, v[27:28]
	v_and_b32_e32 v27, 7, v108
; %bb.431:                              ;   in Loop: Header=BB355_13 Depth=1
	s_or_b32 exec_lo, exec_lo, s53
	v_mov_b32_e32 v0, 24
	v_lshlrev_b32_e32 v27, 20, v27
	v_lshl_add_u32 v36, v36, 23, 0x3c000000
	v_lshlrev_b32_sdwa v35, v0, v35 dst_sel:DWORD dst_unused:UNUSED_PAD src0_sel:DWORD src1_sel:BYTE_3
	v_and_b32_e32 v35, 0x80000000, v35
	v_or3_b32 v92, v27, v35, v36
.LBB355_432:                            ;   in Loop: Header=BB355_13 Depth=1
	s_or_b32 exec_lo, exec_lo, s52
.LBB355_433:                            ;   in Loop: Header=BB355_13 Depth=1
	s_or_b32 exec_lo, exec_lo, s51
.LBB355_434:                            ;   in Loop: Header=BB355_13 Depth=1
	s_or_b32 exec_lo, exec_lo, s4
	global_load_dword v35, v[33:34], off offset:1544
	v_mov_b32_e32 v94, 0
	v_mov_b32_e32 v109, 0
	s_waitcnt vmcnt(0)
	v_cmp_ne_u16_sdwa s3, v35, v28 src0_sel:BYTE_0 src1_sel:DWORD
	s_and_saveexec_b32 s4, s3
	s_cbranch_execz .LBB355_442
; %bb.435:                              ;   in Loop: Header=BB355_13 Depth=1
	v_cmp_ne_u16_sdwa s3, v35, v45 src0_sel:BYTE_0 src1_sel:DWORD
	v_bfrev_b32_e32 v109, 1
	s_and_saveexec_b32 s51, s3
	s_cbranch_execz .LBB355_441
; %bb.436:                              ;   in Loop: Header=BB355_13 Depth=1
	v_and_b32_e32 v37, 0x7f, v35
	v_mov_b32_e32 v109, 0x7f800001
	s_mov_b32 s52, exec_lo
	v_cmpx_ne_u32_e32 0x7f, v37
	s_cbranch_execz .LBB355_440
; %bb.437:                              ;   in Loop: Header=BB355_13 Depth=1
	v_and_b32_e32 v27, 7, v35
	v_lshrrev_b32_e32 v36, 3, v37
	s_mov_b32 s53, exec_lo
	v_cmpx_gt_u32_e32 8, v37
; %bb.438:                              ;   in Loop: Header=BB355_13 Depth=1
	v_ffbh_u32_e32 v36, v27
	v_min_u32_e32 v36, 32, v36
	v_subrev_nc_u32_e32 v37, 28, v36
	v_sub_nc_u32_e32 v36, 29, v36
	v_lshlrev_b64 v[109:110], v37, v[27:28]
	v_and_b32_e32 v27, 7, v109
; %bb.439:                              ;   in Loop: Header=BB355_13 Depth=1
	s_or_b32 exec_lo, exec_lo, s53
	v_lshlrev_b32_e32 v37, 24, v35
	v_lshlrev_b32_e32 v27, 20, v27
	v_lshl_add_u32 v36, v36, 23, 0x3c000000
	v_and_b32_e32 v37, 0x80000000, v37
	v_or3_b32 v109, v27, v37, v36
.LBB355_440:                            ;   in Loop: Header=BB355_13 Depth=1
	s_or_b32 exec_lo, exec_lo, s52
.LBB355_441:                            ;   in Loop: Header=BB355_13 Depth=1
	s_or_b32 exec_lo, exec_lo, s51
.LBB355_442:                            ;   in Loop: Header=BB355_13 Depth=1
	s_or_b32 exec_lo, exec_lo, s4
	v_cmp_ne_u16_sdwa s3, v35, v28 src0_sel:BYTE_1 src1_sel:DWORD
	s_and_saveexec_b32 s4, s3
	s_cbranch_execz .LBB355_450
; %bb.443:                              ;   in Loop: Header=BB355_13 Depth=1
	v_cmp_ne_u16_sdwa s3, v35, v45 src0_sel:BYTE_1 src1_sel:DWORD
	v_bfrev_b32_e32 v94, 1
	s_and_saveexec_b32 s51, s3
	s_cbranch_execz .LBB355_449
; %bb.444:                              ;   in Loop: Header=BB355_13 Depth=1
	v_mov_b32_e32 v0, 0xffff
	v_mov_b32_e32 v94, 0x7f800001
	s_mov_b32 s52, exec_lo
	v_and_b32_sdwa v27, v0, v35 dst_sel:DWORD dst_unused:UNUSED_PAD src0_sel:DWORD src1_sel:BYTE_1
	v_and_b32_e32 v37, 0x7f, v27
	v_cmpx_ne_u32_e32 0x7f, v37
	s_cbranch_execz .LBB355_448
; %bb.445:                              ;   in Loop: Header=BB355_13 Depth=1
	v_and_b32_e32 v27, 7, v27
	v_lshrrev_b32_e32 v36, 3, v37
	s_mov_b32 s53, exec_lo
	v_cmpx_gt_u32_e32 8, v37
; %bb.446:                              ;   in Loop: Header=BB355_13 Depth=1
	v_ffbh_u32_e32 v36, v27
	v_min_u32_e32 v36, 32, v36
	v_subrev_nc_u32_e32 v37, 28, v36
	v_sub_nc_u32_e32 v36, 29, v36
	v_lshlrev_b64 v[110:111], v37, v[27:28]
	v_and_b32_e32 v27, 7, v110
; %bb.447:                              ;   in Loop: Header=BB355_13 Depth=1
	s_or_b32 exec_lo, exec_lo, s53
	v_lshlrev_b32_e32 v37, 16, v35
	v_lshlrev_b32_e32 v27, 20, v27
	v_lshl_add_u32 v36, v36, 23, 0x3c000000
	v_and_b32_e32 v37, 0x80000000, v37
	v_or3_b32 v94, v27, v37, v36
.LBB355_448:                            ;   in Loop: Header=BB355_13 Depth=1
	s_or_b32 exec_lo, exec_lo, s52
.LBB355_449:                            ;   in Loop: Header=BB355_13 Depth=1
	s_or_b32 exec_lo, exec_lo, s51
.LBB355_450:                            ;   in Loop: Header=BB355_13 Depth=1
	s_or_b32 exec_lo, exec_lo, s4
	v_and_b32_sdwa v27, v35, v47 dst_sel:DWORD dst_unused:UNUSED_PAD src0_sel:WORD_1 src1_sel:DWORD
	v_mov_b32_e32 v110, 0
	v_mov_b32_e32 v111, 0
	s_mov_b32 s4, exec_lo
	v_cmpx_ne_u16_e32 0, v27
	s_cbranch_execz .LBB355_458
; %bb.451:                              ;   in Loop: Header=BB355_13 Depth=1
	v_bfrev_b32_e32 v111, 1
	s_mov_b32 s51, exec_lo
	v_cmpx_ne_u16_e32 0x80, v27
	s_cbranch_execz .LBB355_457
; %bb.452:                              ;   in Loop: Header=BB355_13 Depth=1
	v_bfe_u32 v37, v35, 16, 7
	v_mov_b32_e32 v111, 0x7f800001
	s_mov_b32 s52, exec_lo
	v_cmpx_ne_u32_e32 0x7f, v37
	s_cbranch_execz .LBB355_456
; %bb.453:                              ;   in Loop: Header=BB355_13 Depth=1
	v_mov_b32_e32 v0, 7
	v_lshrrev_b32_e32 v36, 3, v37
	s_mov_b32 s53, exec_lo
	v_and_b32_sdwa v27, v35, v0 dst_sel:DWORD dst_unused:UNUSED_PAD src0_sel:WORD_1 src1_sel:DWORD
	v_cmpx_gt_u32_e32 8, v37
; %bb.454:                              ;   in Loop: Header=BB355_13 Depth=1
	v_ffbh_u32_e32 v36, v27
	v_min_u32_e32 v36, 32, v36
	v_subrev_nc_u32_e32 v37, 28, v36
	v_sub_nc_u32_e32 v36, 29, v36
	v_lshlrev_b64 v[111:112], v37, v[27:28]
	v_and_b32_e32 v27, 7, v111
; %bb.455:                              ;   in Loop: Header=BB355_13 Depth=1
	s_or_b32 exec_lo, exec_lo, s53
	v_mov_b32_e32 v0, 24
	v_lshlrev_b32_e32 v27, 20, v27
	v_lshl_add_u32 v36, v36, 23, 0x3c000000
	v_lshlrev_b32_sdwa v37, v0, v35 dst_sel:DWORD dst_unused:UNUSED_PAD src0_sel:DWORD src1_sel:WORD_1
	v_and_b32_e32 v37, 0x80000000, v37
	v_or3_b32 v111, v27, v37, v36
.LBB355_456:                            ;   in Loop: Header=BB355_13 Depth=1
	s_or_b32 exec_lo, exec_lo, s52
.LBB355_457:                            ;   in Loop: Header=BB355_13 Depth=1
	s_or_b32 exec_lo, exec_lo, s51
.LBB355_458:                            ;   in Loop: Header=BB355_13 Depth=1
	s_or_b32 exec_lo, exec_lo, s4
	s_mov_b32 s4, exec_lo
	v_cmpx_lt_u32_e32 0xffffff, v35
	s_cbranch_execz .LBB355_466
; %bb.459:                              ;   in Loop: Header=BB355_13 Depth=1
	v_cmp_ne_u32_sdwa s3, v35, v45 src0_sel:BYTE_3 src1_sel:DWORD
	v_bfrev_b32_e32 v110, 1
	s_and_saveexec_b32 s51, s3
	s_cbranch_execz .LBB355_465
; %bb.460:                              ;   in Loop: Header=BB355_13 Depth=1
	v_bfe_u32 v37, v35, 24, 7
	v_mov_b32_e32 v110, 0x7f800001
	s_mov_b32 s52, exec_lo
	v_cmpx_ne_u32_e32 0x7f, v37
	s_cbranch_execz .LBB355_464
; %bb.461:                              ;   in Loop: Header=BB355_13 Depth=1
	v_mov_b32_e32 v0, 7
	v_lshrrev_b32_e32 v36, 3, v37
	s_mov_b32 s53, exec_lo
	v_and_b32_sdwa v27, v35, v0 dst_sel:DWORD dst_unused:UNUSED_PAD src0_sel:BYTE_3 src1_sel:DWORD
	v_cmpx_gt_u32_e32 8, v37
; %bb.462:                              ;   in Loop: Header=BB355_13 Depth=1
	v_ffbh_u32_e32 v36, v27
	v_min_u32_e32 v36, 32, v36
	v_subrev_nc_u32_e32 v37, 28, v36
	v_sub_nc_u32_e32 v36, 29, v36
	v_lshlrev_b64 v[112:113], v37, v[27:28]
	v_and_b32_e32 v27, 7, v112
; %bb.463:                              ;   in Loop: Header=BB355_13 Depth=1
	s_or_b32 exec_lo, exec_lo, s53
	v_mov_b32_e32 v0, 24
	v_lshlrev_b32_e32 v27, 20, v27
	v_lshl_add_u32 v36, v36, 23, 0x3c000000
	v_lshlrev_b32_sdwa v35, v0, v35 dst_sel:DWORD dst_unused:UNUSED_PAD src0_sel:DWORD src1_sel:BYTE_3
	v_and_b32_e32 v35, 0x80000000, v35
	v_or3_b32 v110, v27, v35, v36
.LBB355_464:                            ;   in Loop: Header=BB355_13 Depth=1
	s_or_b32 exec_lo, exec_lo, s52
.LBB355_465:                            ;   in Loop: Header=BB355_13 Depth=1
	s_or_b32 exec_lo, exec_lo, s51
.LBB355_466:                            ;   in Loop: Header=BB355_13 Depth=1
	s_or_b32 exec_lo, exec_lo, s4
	global_load_dword v35, v[33:34], off offset:1792
	v_mov_b32_e32 v113, 0
	v_mov_b32_e32 v112, 0
	s_waitcnt vmcnt(0)
	v_cmp_ne_u16_sdwa s3, v35, v28 src0_sel:BYTE_0 src1_sel:DWORD
	s_and_saveexec_b32 s4, s3
	s_cbranch_execz .LBB355_474
; %bb.467:                              ;   in Loop: Header=BB355_13 Depth=1
	v_cmp_ne_u16_sdwa s3, v35, v45 src0_sel:BYTE_0 src1_sel:DWORD
	v_bfrev_b32_e32 v112, 1
	s_and_saveexec_b32 s51, s3
	s_cbranch_execz .LBB355_473
; %bb.468:                              ;   in Loop: Header=BB355_13 Depth=1
	v_and_b32_e32 v37, 0x7f, v35
	v_mov_b32_e32 v112, 0x7f800001
	s_mov_b32 s52, exec_lo
	v_cmpx_ne_u32_e32 0x7f, v37
	s_cbranch_execz .LBB355_472
; %bb.469:                              ;   in Loop: Header=BB355_13 Depth=1
	v_and_b32_e32 v27, 7, v35
	v_lshrrev_b32_e32 v36, 3, v37
	s_mov_b32 s53, exec_lo
	v_cmpx_gt_u32_e32 8, v37
; %bb.470:                              ;   in Loop: Header=BB355_13 Depth=1
	v_ffbh_u32_e32 v36, v27
	v_min_u32_e32 v36, 32, v36
	v_subrev_nc_u32_e32 v37, 28, v36
	v_sub_nc_u32_e32 v36, 29, v36
	v_lshlrev_b64 v[114:115], v37, v[27:28]
	v_and_b32_e32 v27, 7, v114
; %bb.471:                              ;   in Loop: Header=BB355_13 Depth=1
	s_or_b32 exec_lo, exec_lo, s53
	v_lshlrev_b32_e32 v37, 24, v35
	v_lshlrev_b32_e32 v27, 20, v27
	v_lshl_add_u32 v36, v36, 23, 0x3c000000
	v_and_b32_e32 v37, 0x80000000, v37
	v_or3_b32 v112, v27, v37, v36
.LBB355_472:                            ;   in Loop: Header=BB355_13 Depth=1
	s_or_b32 exec_lo, exec_lo, s52
.LBB355_473:                            ;   in Loop: Header=BB355_13 Depth=1
	s_or_b32 exec_lo, exec_lo, s51
.LBB355_474:                            ;   in Loop: Header=BB355_13 Depth=1
	s_or_b32 exec_lo, exec_lo, s4
	v_cmp_ne_u16_sdwa s3, v35, v28 src0_sel:BYTE_1 src1_sel:DWORD
	s_and_saveexec_b32 s4, s3
	s_cbranch_execz .LBB355_482
; %bb.475:                              ;   in Loop: Header=BB355_13 Depth=1
	v_cmp_ne_u16_sdwa s3, v35, v45 src0_sel:BYTE_1 src1_sel:DWORD
	v_bfrev_b32_e32 v113, 1
	s_and_saveexec_b32 s51, s3
	s_cbranch_execz .LBB355_481
; %bb.476:                              ;   in Loop: Header=BB355_13 Depth=1
	v_mov_b32_e32 v0, 0xffff
	v_mov_b32_e32 v113, 0x7f800001
	s_mov_b32 s52, exec_lo
	v_and_b32_sdwa v27, v0, v35 dst_sel:DWORD dst_unused:UNUSED_PAD src0_sel:DWORD src1_sel:BYTE_1
	v_and_b32_e32 v37, 0x7f, v27
	v_cmpx_ne_u32_e32 0x7f, v37
	s_cbranch_execz .LBB355_480
; %bb.477:                              ;   in Loop: Header=BB355_13 Depth=1
	v_and_b32_e32 v27, 7, v27
	v_lshrrev_b32_e32 v36, 3, v37
	s_mov_b32 s53, exec_lo
	v_cmpx_gt_u32_e32 8, v37
; %bb.478:                              ;   in Loop: Header=BB355_13 Depth=1
	v_ffbh_u32_e32 v36, v27
	v_min_u32_e32 v36, 32, v36
	v_subrev_nc_u32_e32 v37, 28, v36
	v_sub_nc_u32_e32 v36, 29, v36
	v_lshlrev_b64 v[113:114], v37, v[27:28]
	v_and_b32_e32 v27, 7, v113
; %bb.479:                              ;   in Loop: Header=BB355_13 Depth=1
	s_or_b32 exec_lo, exec_lo, s53
	v_lshlrev_b32_e32 v37, 16, v35
	v_lshlrev_b32_e32 v27, 20, v27
	v_lshl_add_u32 v36, v36, 23, 0x3c000000
	v_and_b32_e32 v37, 0x80000000, v37
	v_or3_b32 v113, v27, v37, v36
.LBB355_480:                            ;   in Loop: Header=BB355_13 Depth=1
	s_or_b32 exec_lo, exec_lo, s52
.LBB355_481:                            ;   in Loop: Header=BB355_13 Depth=1
	s_or_b32 exec_lo, exec_lo, s51
.LBB355_482:                            ;   in Loop: Header=BB355_13 Depth=1
	s_or_b32 exec_lo, exec_lo, s4
	v_and_b32_sdwa v27, v35, v47 dst_sel:DWORD dst_unused:UNUSED_PAD src0_sel:WORD_1 src1_sel:DWORD
	v_mov_b32_e32 v114, 0
	v_mov_b32_e32 v115, 0
	s_mov_b32 s4, exec_lo
	v_cmpx_ne_u16_e32 0, v27
	s_cbranch_execz .LBB355_490
; %bb.483:                              ;   in Loop: Header=BB355_13 Depth=1
	v_bfrev_b32_e32 v115, 1
	s_mov_b32 s51, exec_lo
	v_cmpx_ne_u16_e32 0x80, v27
	s_cbranch_execz .LBB355_489
; %bb.484:                              ;   in Loop: Header=BB355_13 Depth=1
	v_bfe_u32 v37, v35, 16, 7
	v_mov_b32_e32 v115, 0x7f800001
	s_mov_b32 s52, exec_lo
	v_cmpx_ne_u32_e32 0x7f, v37
	s_cbranch_execz .LBB355_488
; %bb.485:                              ;   in Loop: Header=BB355_13 Depth=1
	v_mov_b32_e32 v0, 7
	v_lshrrev_b32_e32 v36, 3, v37
	s_mov_b32 s53, exec_lo
	v_and_b32_sdwa v27, v35, v0 dst_sel:DWORD dst_unused:UNUSED_PAD src0_sel:WORD_1 src1_sel:DWORD
	v_cmpx_gt_u32_e32 8, v37
; %bb.486:                              ;   in Loop: Header=BB355_13 Depth=1
	v_ffbh_u32_e32 v36, v27
	v_min_u32_e32 v36, 32, v36
	v_subrev_nc_u32_e32 v37, 28, v36
	v_sub_nc_u32_e32 v36, 29, v36
	v_lshlrev_b64 v[115:116], v37, v[27:28]
	v_and_b32_e32 v27, 7, v115
; %bb.487:                              ;   in Loop: Header=BB355_13 Depth=1
	s_or_b32 exec_lo, exec_lo, s53
	v_mov_b32_e32 v0, 24
	v_lshlrev_b32_e32 v27, 20, v27
	v_lshl_add_u32 v36, v36, 23, 0x3c000000
	v_lshlrev_b32_sdwa v37, v0, v35 dst_sel:DWORD dst_unused:UNUSED_PAD src0_sel:DWORD src1_sel:WORD_1
	v_and_b32_e32 v37, 0x80000000, v37
	v_or3_b32 v115, v27, v37, v36
.LBB355_488:                            ;   in Loop: Header=BB355_13 Depth=1
	s_or_b32 exec_lo, exec_lo, s52
.LBB355_489:                            ;   in Loop: Header=BB355_13 Depth=1
	s_or_b32 exec_lo, exec_lo, s51
.LBB355_490:                            ;   in Loop: Header=BB355_13 Depth=1
	s_or_b32 exec_lo, exec_lo, s4
	s_mov_b32 s4, exec_lo
	v_cmpx_lt_u32_e32 0xffffff, v35
	s_cbranch_execz .LBB355_498
; %bb.491:                              ;   in Loop: Header=BB355_13 Depth=1
	v_cmp_ne_u32_sdwa s3, v35, v45 src0_sel:BYTE_3 src1_sel:DWORD
	v_bfrev_b32_e32 v114, 1
	s_and_saveexec_b32 s51, s3
	s_cbranch_execz .LBB355_497
; %bb.492:                              ;   in Loop: Header=BB355_13 Depth=1
	v_bfe_u32 v37, v35, 24, 7
	v_mov_b32_e32 v114, 0x7f800001
	s_mov_b32 s52, exec_lo
	v_cmpx_ne_u32_e32 0x7f, v37
	s_cbranch_execz .LBB355_496
; %bb.493:                              ;   in Loop: Header=BB355_13 Depth=1
	v_mov_b32_e32 v0, 7
	v_lshrrev_b32_e32 v36, 3, v37
	s_mov_b32 s53, exec_lo
	v_and_b32_sdwa v27, v35, v0 dst_sel:DWORD dst_unused:UNUSED_PAD src0_sel:BYTE_3 src1_sel:DWORD
	v_cmpx_gt_u32_e32 8, v37
; %bb.494:                              ;   in Loop: Header=BB355_13 Depth=1
	v_ffbh_u32_e32 v36, v27
	v_min_u32_e32 v36, 32, v36
	v_subrev_nc_u32_e32 v37, 28, v36
	v_sub_nc_u32_e32 v36, 29, v36
	v_lshlrev_b64 v[116:117], v37, v[27:28]
	v_and_b32_e32 v27, 7, v116
; %bb.495:                              ;   in Loop: Header=BB355_13 Depth=1
	s_or_b32 exec_lo, exec_lo, s53
	v_mov_b32_e32 v0, 24
	v_lshlrev_b32_e32 v27, 20, v27
	v_lshl_add_u32 v36, v36, 23, 0x3c000000
	v_lshlrev_b32_sdwa v35, v0, v35 dst_sel:DWORD dst_unused:UNUSED_PAD src0_sel:DWORD src1_sel:BYTE_3
	v_and_b32_e32 v35, 0x80000000, v35
	v_or3_b32 v114, v27, v35, v36
.LBB355_496:                            ;   in Loop: Header=BB355_13 Depth=1
	s_or_b32 exec_lo, exec_lo, s52
.LBB355_497:                            ;   in Loop: Header=BB355_13 Depth=1
	s_or_b32 exec_lo, exec_lo, s51
.LBB355_498:                            ;   in Loop: Header=BB355_13 Depth=1
	s_or_b32 exec_lo, exec_lo, s4
	global_load_dword v35, v[33:34], off offset:1800
	v_mov_b32_e32 v34, 0
	v_mov_b32_e32 v33, 0
	s_waitcnt vmcnt(0)
	v_cmp_ne_u16_sdwa s3, v35, v28 src0_sel:BYTE_0 src1_sel:DWORD
	s_and_saveexec_b32 s4, s3
	s_cbranch_execz .LBB355_506
; %bb.499:                              ;   in Loop: Header=BB355_13 Depth=1
	v_cmp_ne_u16_sdwa s3, v35, v45 src0_sel:BYTE_0 src1_sel:DWORD
	v_bfrev_b32_e32 v33, 1
	s_and_saveexec_b32 s51, s3
	s_cbranch_execz .LBB355_505
; %bb.500:                              ;   in Loop: Header=BB355_13 Depth=1
	v_and_b32_e32 v36, 0x7f, v35
	v_mov_b32_e32 v33, 0x7f800001
	s_mov_b32 s52, exec_lo
	v_cmpx_ne_u32_e32 0x7f, v36
	s_cbranch_execz .LBB355_504
; %bb.501:                              ;   in Loop: Header=BB355_13 Depth=1
	v_and_b32_e32 v27, 7, v35
	v_lshrrev_b32_e32 v33, 3, v36
	s_mov_b32 s53, exec_lo
	v_cmpx_gt_u32_e32 8, v36
; %bb.502:                              ;   in Loop: Header=BB355_13 Depth=1
	v_ffbh_u32_e32 v33, v27
	v_min_u32_e32 v33, 32, v33
	v_subrev_nc_u32_e32 v36, 28, v33
	v_sub_nc_u32_e32 v33, 29, v33
	v_lshlrev_b64 v[36:37], v36, v[27:28]
	v_and_b32_e32 v27, 7, v36
; %bb.503:                              ;   in Loop: Header=BB355_13 Depth=1
	s_or_b32 exec_lo, exec_lo, s53
	v_lshlrev_b32_e32 v36, 24, v35
	v_lshlrev_b32_e32 v27, 20, v27
	v_lshl_add_u32 v33, v33, 23, 0x3c000000
	v_and_b32_e32 v36, 0x80000000, v36
	v_or3_b32 v33, v27, v36, v33
.LBB355_504:                            ;   in Loop: Header=BB355_13 Depth=1
	s_or_b32 exec_lo, exec_lo, s52
.LBB355_505:                            ;   in Loop: Header=BB355_13 Depth=1
	s_or_b32 exec_lo, exec_lo, s51
.LBB355_506:                            ;   in Loop: Header=BB355_13 Depth=1
	s_or_b32 exec_lo, exec_lo, s4
	v_cmp_ne_u16_sdwa s3, v35, v28 src0_sel:BYTE_1 src1_sel:DWORD
	s_and_saveexec_b32 s4, s3
	s_cbranch_execz .LBB355_514
; %bb.507:                              ;   in Loop: Header=BB355_13 Depth=1
	v_cmp_ne_u16_sdwa s3, v35, v45 src0_sel:BYTE_1 src1_sel:DWORD
	v_bfrev_b32_e32 v34, 1
	s_and_saveexec_b32 s51, s3
	s_cbranch_execz .LBB355_513
; %bb.508:                              ;   in Loop: Header=BB355_13 Depth=1
	v_mov_b32_e32 v0, 0xffff
	v_mov_b32_e32 v34, 0x7f800001
	s_mov_b32 s52, exec_lo
	v_and_b32_sdwa v27, v0, v35 dst_sel:DWORD dst_unused:UNUSED_PAD src0_sel:DWORD src1_sel:BYTE_1
	v_and_b32_e32 v36, 0x7f, v27
	v_cmpx_ne_u32_e32 0x7f, v36
	s_cbranch_execz .LBB355_512
; %bb.509:                              ;   in Loop: Header=BB355_13 Depth=1
	v_and_b32_e32 v27, 7, v27
	v_lshrrev_b32_e32 v34, 3, v36
	s_mov_b32 s53, exec_lo
	v_cmpx_gt_u32_e32 8, v36
; %bb.510:                              ;   in Loop: Header=BB355_13 Depth=1
	v_ffbh_u32_e32 v34, v27
	v_min_u32_e32 v34, 32, v34
	v_subrev_nc_u32_e32 v36, 28, v34
	v_sub_nc_u32_e32 v34, 29, v34
	v_lshlrev_b64 v[36:37], v36, v[27:28]
	v_and_b32_e32 v27, 7, v36
; %bb.511:                              ;   in Loop: Header=BB355_13 Depth=1
	s_or_b32 exec_lo, exec_lo, s53
	v_lshlrev_b32_e32 v36, 16, v35
	v_lshlrev_b32_e32 v27, 20, v27
	v_lshl_add_u32 v34, v34, 23, 0x3c000000
	v_and_b32_e32 v36, 0x80000000, v36
	v_or3_b32 v34, v27, v36, v34
.LBB355_512:                            ;   in Loop: Header=BB355_13 Depth=1
	s_or_b32 exec_lo, exec_lo, s52
.LBB355_513:                            ;   in Loop: Header=BB355_13 Depth=1
	s_or_b32 exec_lo, exec_lo, s51
.LBB355_514:                            ;   in Loop: Header=BB355_13 Depth=1
	s_or_b32 exec_lo, exec_lo, s4
	v_and_b32_sdwa v27, v35, v47 dst_sel:DWORD dst_unused:UNUSED_PAD src0_sel:WORD_1 src1_sel:DWORD
	v_mov_b32_e32 v116, 0
	v_mov_b32_e32 v117, 0
	s_mov_b32 s4, exec_lo
	v_cmpx_ne_u16_e32 0, v27
	s_cbranch_execz .LBB355_522
; %bb.515:                              ;   in Loop: Header=BB355_13 Depth=1
	v_bfrev_b32_e32 v117, 1
	s_mov_b32 s51, exec_lo
	v_cmpx_ne_u16_e32 0x80, v27
	s_cbranch_execz .LBB355_521
; %bb.516:                              ;   in Loop: Header=BB355_13 Depth=1
	v_bfe_u32 v37, v35, 16, 7
	v_mov_b32_e32 v117, 0x7f800001
	s_mov_b32 s52, exec_lo
	v_cmpx_ne_u32_e32 0x7f, v37
	s_cbranch_execz .LBB355_520
; %bb.517:                              ;   in Loop: Header=BB355_13 Depth=1
	v_mov_b32_e32 v0, 7
	v_lshrrev_b32_e32 v36, 3, v37
	s_mov_b32 s53, exec_lo
	v_and_b32_sdwa v27, v35, v0 dst_sel:DWORD dst_unused:UNUSED_PAD src0_sel:WORD_1 src1_sel:DWORD
	v_cmpx_gt_u32_e32 8, v37
; %bb.518:                              ;   in Loop: Header=BB355_13 Depth=1
	v_ffbh_u32_e32 v36, v27
	v_min_u32_e32 v36, 32, v36
	v_subrev_nc_u32_e32 v37, 28, v36
	v_sub_nc_u32_e32 v36, 29, v36
	v_lshlrev_b64 v[117:118], v37, v[27:28]
	v_and_b32_e32 v27, 7, v117
; %bb.519:                              ;   in Loop: Header=BB355_13 Depth=1
	s_or_b32 exec_lo, exec_lo, s53
	v_mov_b32_e32 v0, 24
	v_lshlrev_b32_e32 v27, 20, v27
	v_lshl_add_u32 v36, v36, 23, 0x3c000000
	v_lshlrev_b32_sdwa v37, v0, v35 dst_sel:DWORD dst_unused:UNUSED_PAD src0_sel:DWORD src1_sel:WORD_1
	v_and_b32_e32 v37, 0x80000000, v37
	v_or3_b32 v117, v27, v37, v36
.LBB355_520:                            ;   in Loop: Header=BB355_13 Depth=1
	s_or_b32 exec_lo, exec_lo, s52
.LBB355_521:                            ;   in Loop: Header=BB355_13 Depth=1
	s_or_b32 exec_lo, exec_lo, s51
.LBB355_522:                            ;   in Loop: Header=BB355_13 Depth=1
	s_or_b32 exec_lo, exec_lo, s4
	buffer_store_dword v94, off, s[56:59], 0 offset:12 ; 4-byte Folded Spill
	v_mov_b32_e32 v108, v93
	v_mov_b32_e32 v107, v92
	;; [unrolled: 1-line block ×52, first 2 shown]
	s_mov_b32 s4, exec_lo
	v_cmpx_lt_u32_e32 0xffffff, v35
	s_cbranch_execz .LBB355_530
; %bb.523:                              ;   in Loop: Header=BB355_13 Depth=1
	v_cmp_ne_u32_sdwa s3, v35, v45 src0_sel:BYTE_3 src1_sel:DWORD
	v_bfrev_b32_e32 v116, 1
	s_and_saveexec_b32 s51, s3
	s_cbranch_execz .LBB355_529
; %bb.524:                              ;   in Loop: Header=BB355_13 Depth=1
	v_bfe_u32 v37, v35, 24, 7
	v_mov_b32_e32 v116, 0x7f800001
	s_mov_b32 s52, exec_lo
	v_cmpx_ne_u32_e32 0x7f, v37
	s_cbranch_execz .LBB355_528
; %bb.525:                              ;   in Loop: Header=BB355_13 Depth=1
	v_mov_b32_e32 v0, 7
	v_lshrrev_b32_e32 v36, 3, v37
	s_mov_b32 s53, exec_lo
	v_and_b32_sdwa v27, v35, v0 dst_sel:DWORD dst_unused:UNUSED_PAD src0_sel:BYTE_3 src1_sel:DWORD
	v_cmpx_gt_u32_e32 8, v37
; %bb.526:                              ;   in Loop: Header=BB355_13 Depth=1
	v_ffbh_u32_e32 v36, v27
	v_min_u32_e32 v36, 32, v36
	v_subrev_nc_u32_e32 v37, 28, v36
	v_sub_nc_u32_e32 v36, 29, v36
	v_lshlrev_b64 v[118:119], v37, v[27:28]
	v_and_b32_e32 v27, 7, v118
; %bb.527:                              ;   in Loop: Header=BB355_13 Depth=1
	s_or_b32 exec_lo, exec_lo, s53
	v_mov_b32_e32 v0, 24
	v_lshlrev_b32_e32 v27, 20, v27
	v_lshl_add_u32 v36, v36, 23, 0x3c000000
	v_lshlrev_b32_sdwa v35, v0, v35 dst_sel:DWORD dst_unused:UNUSED_PAD src0_sel:DWORD src1_sel:BYTE_3
	v_and_b32_e32 v35, 0x80000000, v35
	v_or3_b32 v116, v27, v35, v36
.LBB355_528:                            ;   in Loop: Header=BB355_13 Depth=1
	s_or_b32 exec_lo, exec_lo, s52
.LBB355_529:                            ;   in Loop: Header=BB355_13 Depth=1
	s_or_b32 exec_lo, exec_lo, s51
.LBB355_530:                            ;   in Loop: Header=BB355_13 Depth=1
	s_or_b32 exec_lo, exec_lo, s4
	v_lshlrev_b32_e32 v32, 16, v23
	v_lshlrev_b32_e32 v40, 16, v24
	v_and_b32_e32 v46, 0xffff0000, v23
	v_and_b32_e32 v48, 0xffff0000, v24
	v_lshlrev_b32_e32 v120, 16, v10
	v_lshlrev_b32_e32 v118, 16, v11
	;; [unrolled: 1-line block ×3, first 2 shown]
	v_and_b32_e32 v119, 0xffff0000, v10
	v_and_b32_e32 v27, 0xffff0000, v11
	;; [unrolled: 1-line block ×3, first 2 shown]
	v_lshlrev_b32_e32 v12, 16, v2
	v_lshlrev_b32_e32 v10, 16, v3
	v_and_b32_e32 v11, 0xffff0000, v2
	v_and_b32_e32 v2, 0xffff0000, v3
	v_mul_f32_e32 v3, s50, v63
	v_lshlrev_b32_e32 v39, 16, v13
	v_lshlrev_b32_e32 v35, 16, v14
	v_and_b32_e32 v36, 0xffff0000, v13
	v_and_b32_e32 v127, 0xffff0000, v14
	v_lshlrev_b32_e32 v122, 16, v9
	v_and_b32_e32 v121, 0xffff0000, v9
	v_lshlrev_b32_e32 v14, 16, v1
	v_lshlrev_b32_e32 v9, 16, v4
	v_and_b32_e32 v13, 0xffff0000, v1
	v_and_b32_e32 v1, 0xffff0000, v4
	v_bfe_u32 v4, v3, 16, 1
	v_cmp_u_f32_e64 s3, v3, v3
	v_lshlrev_b32_e32 v50, 16, v21
	v_lshlrev_b32_e32 v31, 16, v22
	v_and_b32_e32 v0, 0xffff0000, v21
	v_add3_u32 v4, v4, v3, 0x7fff
	v_or_b32_e32 v3, 0x400000, v3
	v_and_b32_e32 v42, 0xffff0000, v22
	v_lshlrev_b32_e32 v22, 16, v5
	v_and_b32_e32 v21, 0xffff0000, v5
	v_lshlrev_b32_e32 v54, 16, v19
	v_cndmask_b32_e64 v3, v4, v3, s3
	v_mul_f32_e32 v4, s50, v59
	v_lshlrev_b32_e32 v41, 16, v20
	v_and_b32_e32 v57, 0xffff0000, v19
	v_and_b32_e32 v37, 0xffff0000, v20
	;; [unrolled: 1-line block ×3, first 2 shown]
	v_bfe_u32 v5, v4, 16, 1
	v_cmp_u_f32_e64 s3, v4, v4
	v_lshlrev_b32_e32 v20, 16, v6
	v_and_b32_e32 v19, 0xffff0000, v6
	v_lshlrev_b32_e32 v49, 16, v17
	v_add3_u32 v5, v5, v4, 0x7fff
	v_or_b32_e32 v4, 0x400000, v4
	v_lshlrev_b32_e32 v52, 16, v18
	v_and_b32_e32 v55, 0xffff0000, v17
	v_and_b32_e32 v56, 0xffff0000, v18
	v_lshlrev_b32_e32 v18, 16, v7
	v_cndmask_b32_e64 v4, v5, v4, s3
	v_mul_f32_e32 v5, v32, v3
	v_and_b32_e32 v17, 0xffff0000, v7
	v_lshlrev_b32_e32 v126, 16, v15
	v_lshlrev_b32_e32 v124, 16, v16
	v_and_b32_e32 v3, 0xffff0000, v4
	v_and_b32_e32 v125, 0xffff0000, v15
	;; [unrolled: 1-line block ×3, first 2 shown]
	v_lshlrev_b32_e32 v16, 16, v8
	v_and_b32_e32 v15, 0xffff0000, v8
	v_fmac_f32_e32 v5, v50, v3
	v_mul_f32_e32 v3, s50, v62
	v_bfe_u32 v4, v3, 16, 1
	v_cmp_u_f32_e64 s3, v3, v3
	v_add3_u32 v4, v4, v3, 0x7fff
	v_or_b32_e32 v3, 0x400000, v3
	v_cndmask_b32_e64 v3, v4, v3, s3
	v_mul_f32_e32 v4, s50, v58
	v_and_b32_e32 v3, 0xffff0000, v3
	v_bfe_u32 v6, v4, 16, 1
	v_cmp_u_f32_e64 s3, v4, v4
	v_add3_u32 v6, v6, v4, 0x7fff
	v_or_b32_e32 v4, 0x400000, v4
	v_cndmask_b32_e64 v4, v6, v4, s3
	v_mul_f32_e32 v6, v46, v3
	v_and_b32_e32 v3, 0xffff0000, v4
	v_fmac_f32_e32 v6, v0, v3
	v_mul_f32_e32 v0, s50, v65
	v_bfe_u32 v3, v0, 16, 1
	v_cmp_u_f32_e64 s3, v0, v0
	v_add3_u32 v3, v3, v0, 0x7fff
	v_or_b32_e32 v0, 0x400000, v0
	v_cndmask_b32_e64 v0, v3, v0, s3
	v_mul_f32_e32 v3, s50, v61
	v_and_b32_e32 v0, 0xffff0000, v0
	v_bfe_u32 v4, v3, 16, 1
	v_cmp_u_f32_e64 s3, v3, v3
	v_mul_f32_e32 v7, v40, v0
	v_add3_u32 v4, v4, v3, 0x7fff
	v_or_b32_e32 v3, 0x400000, v3
	v_cndmask_b32_e64 v3, v4, v3, s3
	v_and_b32_e32 v0, 0xffff0000, v3
	v_fmac_f32_e32 v7, v31, v0
	v_mul_f32_e32 v0, s50, v64
	v_bfe_u32 v3, v0, 16, 1
	v_cmp_u_f32_e64 s3, v0, v0
	v_add3_u32 v3, v3, v0, 0x7fff
	v_or_b32_e32 v0, 0x400000, v0
	v_cndmask_b32_e64 v0, v3, v0, s3
	v_mul_f32_e32 v3, s50, v60
	v_and_b32_e32 v0, 0xffff0000, v0
	v_bfe_u32 v4, v3, 16, 1
	v_cmp_u_f32_e64 s3, v3, v3
	v_mul_f32_e32 v8, v48, v0
	v_add3_u32 v4, v4, v3, 0x7fff
	v_or_b32_e32 v3, 0x400000, v3
	v_cndmask_b32_e64 v3, v4, v3, s3
	v_and_b32_e32 v0, 0xffff0000, v3
	v_fmac_f32_e32 v8, v42, v0
	v_mul_f32_e32 v0, s50, v67
	v_bfe_u32 v3, v0, 16, 1
	v_cmp_u_f32_e64 s3, v0, v0
	v_add3_u32 v3, v3, v0, 0x7fff
	v_or_b32_e32 v0, 0x400000, v0
	v_cndmask_b32_e64 v0, v3, v0, s3
	v_and_b32_e32 v0, 0xffff0000, v0
	v_fmac_f32_e32 v5, v49, v0
	v_mul_f32_e32 v0, s50, v66
	v_bfe_u32 v3, v0, 16, 1
	v_cmp_u_f32_e64 s3, v0, v0
	;; [unrolled: 8-line block ×22, first 2 shown]
	v_add3_u32 v3, v3, v0, 0x7fff
	v_or_b32_e32 v0, 0x400000, v0
	v_cndmask_b32_e64 v0, v3, v0, s3
	v_and_b32_e32 v0, 0xffff0000, v0
	v_fmac_f32_e32 v6, v27, v0
	v_mul_f32_e32 v0, s50, v43
	buffer_load_dword v27, off, s[56:59], 0 offset:28 ; 4-byte Folded Reload
	v_bfe_u32 v3, v0, 16, 1
	v_cmp_u_f32_e64 s3, v0, v0
	v_add3_u32 v3, v3, v0, 0x7fff
	v_or_b32_e32 v0, 0x400000, v0
	v_cndmask_b32_e64 v0, v3, v0, s3
	v_and_b32_e32 v0, 0xffff0000, v0
	v_fmac_f32_e32 v7, v24, v0
	v_mul_f32_e32 v0, s50, v88
	v_bfe_u32 v3, v0, 16, 1
	v_cmp_u_f32_e64 s3, v0, v0
	v_add3_u32 v3, v3, v0, 0x7fff
	v_or_b32_e32 v0, 0x400000, v0
	v_cndmask_b32_e64 v0, v3, v0, s3
	v_and_b32_e32 v0, 0xffff0000, v0
	v_fmac_f32_e32 v8, v23, v0
	v_mul_f32_e32 v0, s50, v90
	;; [unrolled: 8-line block ×8, first 2 shown]
	v_mbcnt_lo_u32_b32 v17, -1, 0
	v_bfe_u32 v3, v0, 16, 1
	v_cmp_u_f32_e64 s3, v0, v0
	v_add3_u32 v3, v3, v0, 0x7fff
	v_or_b32_e32 v0, 0x400000, v0
	v_cndmask_b32_e64 v0, v3, v0, s3
	v_and_b32_e32 v0, 0xffff0000, v0
	v_fmac_f32_e32 v7, v16, v0
	v_mul_f32_e32 v0, s50, v95
	v_bfe_u32 v3, v0, 16, 1
	v_cmp_u_f32_e64 s3, v0, v0
	v_add3_u32 v3, v3, v0, 0x7fff
	v_or_b32_e32 v0, 0x400000, v0
	v_cndmask_b32_e64 v0, v3, v0, s3
	v_and_b32_e32 v0, 0xffff0000, v0
	v_fmac_f32_e32 v8, v15, v0
	v_mul_f32_e32 v0, s50, v98
	v_mul_f32_e32 v15, s50, v117
	v_bfe_u32 v3, v0, 16, 1
	v_cmp_u_f32_e64 s3, v0, v0
	v_bfe_u32 v16, v15, 16, 1
	v_add3_u32 v3, v3, v0, 0x7fff
	v_or_b32_e32 v0, 0x400000, v0
	v_cndmask_b32_e64 v0, v3, v0, s3
	v_and_b32_e32 v0, 0xffff0000, v0
	v_fmac_f32_e32 v5, v14, v0
	v_mul_f32_e32 v0, s50, v97
	v_mul_f32_e32 v14, s50, v114
	v_bfe_u32 v3, v0, 16, 1
	v_cmp_u_f32_e64 s3, v0, v0
	v_add3_u32 v3, v3, v0, 0x7fff
	v_or_b32_e32 v0, 0x400000, v0
	v_cndmask_b32_e64 v0, v3, v0, s3
	v_and_b32_e32 v0, 0xffff0000, v0
	v_fmac_f32_e32 v6, v13, v0
	v_mul_f32_e32 v0, s50, v100
	v_bfe_u32 v3, v0, 16, 1
	v_cmp_u_f32_e64 s3, v0, v0
	v_add3_u32 v3, v3, v0, 0x7fff
	v_or_b32_e32 v0, 0x400000, v0
	v_cndmask_b32_e64 v0, v3, v0, s3
	v_and_b32_e32 v0, 0xffff0000, v0
	v_fmac_f32_e32 v7, v12, v0
	;; [unrolled: 8-line block ×3, first 2 shown]
	v_mul_f32_e32 v0, s50, v102
	v_mul_f32_e32 v11, s50, v110
	v_bfe_u32 v3, v0, 16, 1
	v_cmp_u_f32_e64 s3, v0, v0
	v_add3_u32 v3, v3, v0, 0x7fff
	v_or_b32_e32 v0, 0x400000, v0
	v_cndmask_b32_e64 v0, v3, v0, s3
	v_and_b32_e32 v0, 0xffff0000, v0
	v_fmac_f32_e32 v5, v10, v0
	v_mul_f32_e32 v0, s50, v101
	v_bfe_u32 v3, v0, 16, 1
	v_cmp_u_f32_e64 s3, v0, v0
	v_add3_u32 v3, v3, v0, 0x7fff
	v_or_b32_e32 v0, 0x400000, v0
	v_cndmask_b32_e64 v0, v3, v0, s3
	v_and_b32_e32 v0, 0xffff0000, v0
	v_fmac_f32_e32 v6, v2, v0
	;; [unrolled: 8-line block ×3, first 2 shown]
	v_mul_f32_e32 v0, s50, v103
	v_bfe_u32 v2, v0, 16, 1
	v_cmp_u_f32_e64 s3, v0, v0
	v_add3_u32 v2, v2, v0, 0x7fff
	v_or_b32_e32 v0, 0x400000, v0
	v_cndmask_b32_e64 v0, v2, v0, s3
	buffer_load_dword v2, off, s[56:59], 0 offset:8 ; 4-byte Folded Reload
	v_and_b32_e32 v0, 0xffff0000, v0
	v_fmac_f32_e32 v8, v1, v0
	v_mul_f32_e32 v0, s50, v106
	v_bfe_u32 v1, v0, 16, 1
	v_cmp_u_f32_e64 s3, v0, v0
	v_add3_u32 v1, v1, v0, 0x7fff
	v_or_b32_e32 v0, 0x400000, v0
	v_cndmask_b32_e64 v0, v1, v0, s3
	v_and_b32_e32 v0, 0xffff0000, v0
	s_waitcnt vmcnt(0)
	v_lshlrev_b32_e32 v1, 16, v2
	v_fmac_f32_e32 v5, v1, v0
	v_mul_f32_e32 v0, s50, v105
	v_bfe_u32 v1, v0, 16, 1
	v_cmp_u_f32_e64 s3, v0, v0
	v_add3_u32 v1, v1, v0, 0x7fff
	v_or_b32_e32 v0, 0x400000, v0
	v_cndmask_b32_e64 v0, v1, v0, s3
	v_and_b32_e32 v1, 0xffff0000, v2
	v_and_b32_e32 v0, 0xffff0000, v0
	v_fmac_f32_e32 v6, v1, v0
	v_mul_f32_e32 v0, s50, v108
	v_bfe_u32 v1, v0, 16, 1
	v_cmp_u_f32_e64 s3, v0, v0
	v_add3_u32 v1, v1, v0, 0x7fff
	v_or_b32_e32 v0, 0x400000, v0
	v_cndmask_b32_e64 v0, v1, v0, s3
	v_mul_f32_e32 v1, s50, v107
	v_and_b32_e32 v0, 0xffff0000, v0
	v_bfe_u32 v2, v1, 16, 1
	v_cmp_u_f32_e64 s3, v1, v1
	v_add3_u32 v2, v2, v1, 0x7fff
	v_or_b32_e32 v1, 0x400000, v1
	v_cndmask_b32_e64 v1, v2, v1, s3
	buffer_load_dword v2, off, s[56:59], 0 offset:4 ; 4-byte Folded Reload
	v_and_b32_e32 v9, 0xffff0000, v1
	s_waitcnt vmcnt(0)
	v_lshlrev_b32_e32 v2, 16, v2
	v_fmac_f32_e32 v7, v2, v0
	ds_read_b128 v[1:4], v27 offset:102
	s_waitcnt lgkmcnt(0)
	v_lshlrev_b32_e32 v0, 16, v1
	v_and_b32_e32 v1, 0xffff0000, v1
	v_fmac_f32_e32 v8, v9, v0
	v_mul_f32_e32 v0, s50, v109
	v_bfe_u32 v9, v0, 16, 1
	v_cmp_u_f32_e64 s3, v0, v0
	v_add3_u32 v9, v9, v0, 0x7fff
	v_or_b32_e32 v0, 0x400000, v0
	v_cndmask_b32_e64 v0, v9, v0, s3
	v_mul_f32_e32 v9, s50, v33
	v_and_b32_e32 v0, 0xffff0000, v0
	v_bfe_u32 v10, v9, 16, 1
	v_fmac_f32_e32 v5, v0, v1
	buffer_load_dword v0, off, s[56:59], 0 offset:12 ; 4-byte Folded Reload
	v_add3_u32 v10, v10, v9, 0x7fff
	s_waitcnt vmcnt(0)
	v_mul_f32_e32 v0, s50, v0
	v_bfe_u32 v1, v0, 16, 1
	v_cmp_u_f32_e64 s3, v0, v0
	v_add3_u32 v1, v1, v0, 0x7fff
	v_or_b32_e32 v0, 0x400000, v0
	v_cndmask_b32_e64 v0, v1, v0, s3
	v_lshlrev_b32_e32 v1, 16, v2
	v_and_b32_e32 v0, 0xffff0000, v0
	v_fmac_f32_e32 v6, v0, v1
	v_mul_f32_e32 v0, s50, v111
	v_bfe_u32 v1, v0, 16, 1
	v_cmp_u_f32_e64 s3, v0, v0
	v_add3_u32 v1, v1, v0, 0x7fff
	v_or_b32_e32 v0, 0x400000, v0
	v_cndmask_b32_e64 v0, v1, v0, s3
	v_and_b32_e32 v1, 0xffff0000, v2
	v_mul_f32_e32 v2, s50, v34
	v_and_b32_e32 v0, 0xffff0000, v0
	v_cmp_u_f32_e64 s3, v2, v2
	v_fmac_f32_e32 v7, v0, v1
	v_bfe_u32 v0, v2, 16, 1
	v_or_b32_e32 v1, 0x400000, v2
	v_add3_u32 v0, v0, v2, 0x7fff
	v_mul_f32_e32 v2, s50, v115
	v_cndmask_b32_e64 v1, v0, v1, s3
	v_bfe_u32 v0, v2, 16, 1
	v_cmp_u_f32_e64 s3, v9, v9
	v_or_b32_e32 v9, 0x400000, v9
	v_cmp_u_f32_e64 s4, v2, v2
	v_or_b32_e32 v12, 0x400000, v2
	v_add3_u32 v0, v0, v2, 0x7fff
	v_and_b32_e32 v1, 0xffff0000, v1
	v_cndmask_b32_e64 v2, v10, v9, s3
	v_bfe_u32 v10, v11, 16, 1
	v_cmp_u_f32_e64 s3, v11, v11
	v_cndmask_b32_e64 v9, v0, v12, s4
	v_mul_f32_e32 v0, s50, v113
	v_or_b32_e32 v12, 0x400000, v11
	v_add3_u32 v10, v10, v11, 0x7fff
	v_mul_f32_e32 v11, s50, v112
	v_and_b32_e32 v9, 0xffff0000, v9
	v_bfe_u32 v13, v0, 16, 1
	v_and_b32_e32 v2, 0xffff0000, v2
	v_cndmask_b32_e64 v10, v10, v12, s3
	v_bfe_u32 v12, v11, 16, 1
	v_cmp_u_f32_e64 s3, v0, v0
	v_add3_u32 v13, v13, v0, 0x7fff
	v_or_b32_e32 v0, 0x400000, v0
	v_cmp_u_f32_e64 s4, v11, v11
	v_add3_u32 v12, v12, v11, 0x7fff
	v_or_b32_e32 v11, 0x400000, v11
	v_and_b32_e32 v10, 0xffff0000, v10
	v_cndmask_b32_e64 v0, v13, v0, s3
	v_lshlrev_b32_e32 v13, 16, v3
	v_and_b32_e32 v3, 0xffff0000, v3
	v_cndmask_b32_e64 v11, v12, v11, s4
	v_bfe_u32 v12, v14, 16, 1
	v_and_b32_e32 v0, 0xffff0000, v0
	v_fmac_f32_e32 v8, v10, v13
	v_cmp_u_f32_e64 s3, v14, v14
	v_and_b32_e32 v11, 0xffff0000, v11
	v_add3_u32 v10, v12, v14, 0x7fff
	v_lshlrev_b32_e32 v12, 16, v4
	v_cmp_u_f32_e64 s4, v15, v15
	v_and_b32_e32 v4, 0xffff0000, v4
	v_fmac_f32_e32 v5, v11, v3
	v_mul_f32_e32 v3, s50, v116
	v_fmac_f32_e32 v6, v0, v12
	ds_read_b64 v[12:13], v27 offset:118
	v_or_b32_e32 v11, 0x400000, v14
	v_add3_u32 v0, v16, v15, 0x7fff
	v_or_b32_e32 v14, 0x400000, v15
	v_bfe_u32 v15, v3, 16, 1
	v_fmac_f32_e32 v7, v9, v4
	v_cndmask_b32_e64 v10, v10, v11, s3
	v_cmp_u_f32_e64 s3, v3, v3
	v_cndmask_b32_e64 v0, v0, v14, s4
	v_add3_u32 v14, v15, v3, 0x7fff
	v_or_b32_e32 v15, 0x400000, v3
	ds_read_u16 v3, v27 offset:126
	v_xor_b32_e32 v11, 1, v17
	v_and_b32_e32 v10, 0xffff0000, v10
	v_and_b32_e32 v0, 0xffff0000, v0
	v_cndmask_b32_e64 v14, v14, v15, s3
	v_cmp_gt_i32_e64 s4, 32, v11
	s_waitcnt lgkmcnt(1)
	v_lshlrev_b32_e32 v15, 16, v12
	v_and_b32_e32 v12, 0xffff0000, v12
	v_lshlrev_b32_e32 v16, 16, v13
	v_fmac_f32_e32 v8, v10, v15
	v_fmac_f32_e32 v5, v2, v12
	v_and_b32_e32 v2, 0xffff0000, v13
	v_fmac_f32_e32 v6, v1, v16
	s_waitcnt lgkmcnt(0)
	v_lshlrev_b32_e32 v1, 16, v3
	v_and_b32_e32 v3, 0xffff0000, v14
	v_fmac_f32_e32 v7, v0, v2
	v_add_f32_e32 v0, v5, v6
	v_cndmask_b32_e64 v2, v17, v11, s4
	v_fmac_f32_e32 v8, v3, v1
	v_add_f32_e32 v0, v0, v7
	v_lshlrev_b32_e32 v2, 2, v2
	v_add_f32_e32 v1, v8, v0
	ds_bpermute_b32 v2, v2, v1
	s_and_saveexec_b32 s4, vcc_lo
	s_cbranch_execz .LBB355_11
; %bb.531:                              ;   in Loop: Header=BB355_13 Depth=1
	buffer_load_dword v0, off, s[56:59], 0 offset:36 ; 4-byte Folded Reload
	s_waitcnt lgkmcnt(0)
	v_add_f32_e32 v1, v1, v2
	buffer_load_dword v3, off, s[56:59], 0 offset:16 ; 4-byte Folded Reload
	s_waitcnt vmcnt(1)
	v_add_nc_u32_e32 v0, v0, v44
	v_cvt_f32_i32_e32 v0, v0
	v_mul_f32_e32 v0, s43, v0
	v_cndmask_b32_e64 v0, 0, v0, s2
	v_fmac_f32_e32 v0, s41, v1
	buffer_load_dword v1, off, s[56:59], 0 offset:32 ; 4-byte Folded Reload
	s_waitcnt vmcnt(1)
	v_max_f32_e32 v2, v3, v3
	v_max_f32_e32 v2, v2, v0
	s_waitcnt vmcnt(0)
	v_add_nc_u32_e32 v1, v1, v44
	v_cmp_gt_i32_e64 s3, s31, v1
	v_cndmask_b32_e64 v0, 0, v0, s3
	v_cndmask_b32_e64 v3, v3, v2, s3
	ds_write_b32 v51, v0
	buffer_store_dword v3, off, s[56:59], 0 offset:16 ; 4-byte Folded Spill
	s_branch .LBB355_11
.LBB355_532:
	s_or_b32 exec_lo, exec_lo, s47
	s_clause 0x4
	buffer_load_dword v19, off, s[56:59], 0 offset:44
	buffer_load_dword v20, off, s[56:59], 0 offset:48
	;; [unrolled: 1-line block ×5, first 2 shown]
.LBB355_533:
	s_or_b32 exec_lo, exec_lo, s45
	v_mbcnt_lo_u32_b32 v0, -1, 0
	s_waitcnt vmcnt(4)
	v_and_b32_e32 v21, 31, v19
	s_waitcnt vmcnt(2)
	v_lshlrev_b32_e32 v7, 2, v15
	v_xor_b32_e32 v1, 16, v0
	s_waitcnt lgkmcnt(0)
	v_xor_b32_e32 v2, 8, v0
	v_cmp_gt_i32_e32 vcc_lo, 32, v1
	v_cndmask_b32_e32 v1, v0, v1, vcc_lo
	v_cmp_gt_i32_e32 vcc_lo, 32, v2
	v_lshlrev_b32_e32 v3, 2, v1
	v_cndmask_b32_e32 v2, v0, v2, vcc_lo
	s_waitcnt vmcnt(0)
	ds_bpermute_b32 v1, v3, v4
	v_max_f32_e32 v4, v4, v4
	v_lshlrev_b32_e32 v5, 2, v2
	s_waitcnt lgkmcnt(0)
	v_max_f32_e32 v1, v1, v1
	v_max_f32_e32 v1, v4, v1
	v_xor_b32_e32 v4, 4, v0
	ds_bpermute_b32 v2, v5, v1
	v_cmp_gt_i32_e32 vcc_lo, 32, v4
	v_cndmask_b32_e32 v4, v0, v4, vcc_lo
	v_lshlrev_b32_e32 v6, 2, v4
	v_xor_b32_e32 v4, 2, v0
	v_cmp_gt_i32_e32 vcc_lo, 32, v4
	s_waitcnt lgkmcnt(0)
	v_max_f32_e32 v2, v2, v2
	v_cndmask_b32_e32 v4, v0, v4, vcc_lo
	v_cmp_eq_u32_e32 vcc_lo, 0, v21
	v_max_f32_e32 v1, v1, v2
	ds_bpermute_b32 v2, v6, v1
	s_waitcnt lgkmcnt(0)
	v_max_f32_e32 v2, v2, v2
	v_max_f32_e32 v1, v1, v2
	v_lshlrev_b32_e32 v2, 2, v4
	ds_bpermute_b32 v4, v2, v1
	s_and_saveexec_b32 s2, vcc_lo
	s_cbranch_execz .LBB355_535
; %bb.534:
	s_waitcnt lgkmcnt(0)
	v_max_f32_e32 v0, v4, v4
	v_max_f32_e32 v1, v1, v1
	;; [unrolled: 1-line block ×3, first 2 shown]
	ds_write_b32 v7, v0 offset:256
.LBB355_535:
	s_or_b32 exec_lo, exec_lo, s2
	v_cmp_gt_u32_e64 s2, 4, v21
	v_mov_b32_e32 v1, 0xff7fffff
	v_lshlrev_b32_e32 v8, 2, v21
	s_waitcnt lgkmcnt(0)
	s_waitcnt_vscnt null, 0x0
	s_barrier
	buffer_gl0_inv
	s_and_saveexec_b32 s3, s2
; %bb.536:
	ds_read_b32 v1, v8 offset:256
; %bb.537:
	s_or_b32 exec_lo, exec_lo, s3
	s_waitcnt lgkmcnt(0)
	ds_bpermute_b32 v0, v2, v1
	v_mbcnt_lo_u32_b32 v9, -1, 0
	v_max_f32_e32 v1, v1, v1
	v_xor_b32_e32 v4, 1, v9
	v_cmp_gt_i32_e64 s3, 32, v4
	v_cndmask_b32_e64 v4, v9, v4, s3
	v_mov_b32_e32 v9, 0
	s_sub_i32 s3, s20, s44
	s_lshl_b32 s3, s3, 4
	s_waitcnt lgkmcnt(0)
	v_max_f32_e32 v0, v0, v0
	v_lshlrev_b32_e32 v22, 2, v4
	s_add_i32 s3, s3, s42
	v_lshl_add_u32 v4, v19, 2, 0x120
	s_min_i32 s3, s3, s31
	v_max_f32_e32 v0, v1, v0
	s_sub_i32 s5, s3, s42
	v_cmp_gt_i32_e64 s3, s5, v19
	ds_bpermute_b32 v1, v22, v0
	s_waitcnt lgkmcnt(0)
	v_max_f32_e32 v1, v1, v1
	v_max_f32_e32 v0, v0, v1
	ds_bpermute_b32 v1, v9, v0
	s_and_saveexec_b32 s12, s3
	s_cbranch_execz .LBB355_541
; %bb.538:
	v_lshl_add_u32 v10, v19, 2, 0x120
	v_mov_b32_e32 v9, 0
	v_mov_b32_e32 v11, v19
	s_mov_b32 s13, 0
	.p2align	6
.LBB355_539:                            ; =>This Inner Loop Header: Depth=1
	ds_read_b32 v0, v10
	v_add_nc_u32_e32 v11, 0x80, v11
	v_cmp_le_i32_e64 s4, s5, v11
	s_or_b32 s13, s4, s13
	s_waitcnt lgkmcnt(0)
	v_sub_f32_e32 v0, v0, v1
	v_mul_f32_e32 v0, 0x3fb8aa3b, v0
	v_exp_f32_e32 v0, v0
	ds_write_b32 v10, v0
	v_add_f32_e32 v9, v9, v0
	v_add_nc_u32_e32 v10, 0x200, v10
	s_andn2_b32 exec_lo, exec_lo, s13
	s_cbranch_execnz .LBB355_539
; %bb.540:
	s_or_b32 exec_lo, exec_lo, s13
.LBB355_541:
	s_or_b32 exec_lo, exec_lo, s12
	ds_bpermute_b32 v0, v3, v9
	s_waitcnt lgkmcnt(0)
	v_add_f32_e32 v0, v9, v0
	ds_bpermute_b32 v3, v5, v0
	s_waitcnt lgkmcnt(0)
	v_add_f32_e32 v0, v0, v3
	;; [unrolled: 3-line block ×5, first 2 shown]
	s_and_saveexec_b32 s4, vcc_lo
; %bb.542:
	ds_write_b32 v7, v3 offset:272
; %bb.543:
	s_or_b32 exec_lo, exec_lo, s4
	s_waitcnt lgkmcnt(0)
	s_barrier
	buffer_gl0_inv
	s_and_saveexec_b32 s4, s2
; %bb.544:
	ds_read_b32 v3, v8 offset:272
; %bb.545:
	s_or_b32 exec_lo, exec_lo, s4
	s_waitcnt lgkmcnt(0)
	ds_bpermute_b32 v0, v2, v3
	s_waitcnt lgkmcnt(0)
	v_add_f32_e32 v0, v3, v0
	ds_bpermute_b32 v2, v22, v0
	s_waitcnt lgkmcnt(0)
	v_add_f32_e32 v0, v0, v2
	v_mov_b32_e32 v2, 0
	ds_bpermute_b32 v2, v2, v0
	s_and_saveexec_b32 s2, s3
	s_cbranch_execz .LBB355_548
; %bb.546:
	s_waitcnt lgkmcnt(0)
	v_add_f32_e32 v0, 0x358637bd, v2
	s_mov_b32 s3, 0
	v_div_scale_f32 v3, null, v0, v0, 1.0
	v_div_scale_f32 v7, vcc_lo, 1.0, v0, 1.0
	v_rcp_f32_e32 v5, v3
	v_fma_f32 v6, -v3, v5, 1.0
	v_fmac_f32_e32 v5, v6, v5
	v_mul_f32_e32 v6, v7, v5
	v_fma_f32 v8, -v3, v6, v7
	v_fmac_f32_e32 v6, v8, v5
	v_fma_f32 v3, -v3, v6, v7
	v_div_fmas_f32 v3, v3, v5, v6
	v_mov_b32_e32 v5, v19
	v_div_fixup_f32 v3, v3, v0, 1.0
.LBB355_547:                            ; =>This Inner Loop Header: Depth=1
	ds_read_b32 v0, v4
	v_add_nc_u32_e32 v5, 0x80, v5
	v_cmp_le_i32_e32 vcc_lo, s5, v5
	s_or_b32 s3, vcc_lo, s3
	s_waitcnt lgkmcnt(0)
	v_mul_f32_e32 v0, v3, v0
	ds_write_b32 v4, v0
	v_add_nc_u32_e32 v4, 0x200, v4
	s_andn2_b32 exec_lo, exec_lo, s3
	s_cbranch_execnz .LBB355_547
.LBB355_548:
	s_or_b32 exec_lo, exec_lo, s2
	s_mul_i32 s2, s7, s30
	s_mov_b32 s4, exec_lo
	s_mul_i32 s2, s2, s9
	s_waitcnt lgkmcnt(0)
	s_barrier
	buffer_gl0_inv
	v_cmpx_eq_u32_e32 0, v19
	s_cbranch_execz .LBB355_550
; %bb.549:
	s_ashr_i32 s3, s2, 31
	s_mul_i32 s42, s7, s6
	s_lshl_b64 s[12:13], s[2:3], 2
	v_mov_b32_e32 v0, 0
	s_add_u32 s3, s26, s12
	s_addc_u32 s5, s27, s13
	s_ashr_i32 s43, s42, 31
	s_lshl_b64 s[26:27], s[42:43], 2
	s_add_u32 s3, s3, s26
	s_addc_u32 s5, s5, s27
	s_ashr_i32 s9, s8, 31
	s_lshl_b64 s[42:43], s[8:9], 2
	s_add_u32 s44, s3, s42
	s_addc_u32 s45, s5, s43
	s_add_u32 s3, s24, s12
	s_addc_u32 s5, s25, s13
	;; [unrolled: 2-line block ×4, first 2 shown]
	global_store_dword v0, v1, s[44:45]
	global_store_dword v0, v2, s[12:13]
.LBB355_550:
	s_or_b32 exec_lo, exec_lo, s4
	v_mov_b32_e32 v32, 0
	v_mov_b32_e32 v31, 0
	v_mov_b32_e32 v30, 0
	v_mov_b32_e32 v29, 0
	v_mov_b32_e32 v28, 0
	v_mov_b32_e32 v27, 0
	v_mov_b32_e32 v24, 0
	v_mov_b32_e32 v23, 0
	s_and_saveexec_b32 s3, s1
	s_cbranch_execz .LBB355_1052
; %bb.551:
	s_sub_i32 s6, s40, s21
	s_ashr_i32 s1, s18, 31
	s_add_u32 s13, s38, s18
	s_addc_u32 s1, s39, s1
	s_abs_i32 s9, s22
	v_and_b32_e32 v3, 0xf8, v12
	v_cvt_f32_u32_e32 v0, s9
	s_sub_i32 s4, 0, s9
	v_lshlrev_b32_e32 v4, 5, v20
	v_lshlrev_b64 v[1:2], 2, v[25:26]
	v_add_co_u32 v11, s13, s13, v3
	v_rcp_iflag_f32_e32 v0, v0
	s_add_i32 s33, s33, -1
	v_lshl_or_b32 v4, v15, 6, v4
	v_and_b32_e32 v33, 8, v12
	v_add_co_ci_u32_e64 v12, null, s1, 0, s13
	v_mov_b32_e32 v112, v19
	v_mov_b32_e32 v10, 0
	;; [unrolled: 1-line block ×4, first 2 shown]
	v_mul_f32_e32 v0, 0x4f7ffffe, v0
	v_mov_b32_e32 v34, 0xffff
	v_mov_b32_e32 v39, 0xff
	;; [unrolled: 1-line block ×4, first 2 shown]
	v_cvt_u32_f32_e32 v0, v0
	v_mov_b32_e32 v23, 0
	v_mov_b32_e32 v24, 0
	;; [unrolled: 1-line block ×4, first 2 shown]
	v_mul_lo_u32 v5, s4, v0
	s_lshl_b64 s[4:5], s[36:37], 2
	v_mov_b32_e32 v29, 0
	s_add_u32 s1, s34, s4
	s_addc_u32 s4, s35, s5
	v_add_co_u32 v13, vcc_lo, s1, v1
	v_mov_b32_e32 v30, 0
	v_mul_hi_u32 v3, v0, v5
	v_mov_b32_e32 v31, 0
	v_mov_b32_e32 v114, v15
	v_add_co_ci_u32_e64 v14, null, s4, v2, vcc_lo
	v_add_nc_u32_e32 v42, 0x120, v4
	v_mov_b32_e32 v32, 0
	s_mov_b32 s4, -1
	v_add_nc_u32_e32 v43, v0, v3
	s_mov_b32 s12, s17
	s_mov_b32 s5, 0xffffff
	;; [unrolled: 1-line block ×3, first 2 shown]
	s_branch .LBB355_554
.LBB355_552:                            ;   in Loop: Header=BB355_554 Depth=1
	s_or_b32 exec_lo, exec_lo, s1
	v_bfe_u32 v0, v5, 16, 1
	v_or_b32_e32 v35, 0x400000, v5
	v_bfe_u32 v36, v6, 16, 1
	v_cmp_u_f32_e32 vcc_lo, v5, v5
	v_bfe_u32 v37, v7, 16, 1
	v_add3_u32 v0, v0, v5, 0x7fff
	v_or_b32_e32 v52, 0x400000, v6
	v_add3_u32 v36, v36, v6, 0x7fff
	v_or_b32_e32 v58, 0x400000, v7
	v_add3_u32 v37, v37, v7, 0x7fff
	v_cndmask_b32_e32 v0, v0, v35, vcc_lo
	v_cmp_u_f32_e32 vcc_lo, v6, v6
	v_bfe_u32 v5, v8, 16, 1
	v_bfe_u32 v35, v1, 16, 1
	v_lshlrev_b32_e32 v20, 16, v20
	v_lshlrev_b32_e32 v53, 16, v53
	v_cndmask_b32_e32 v6, v36, v52, vcc_lo
	v_cmp_u_f32_e32 vcc_lo, v7, v7
	v_add3_u32 v5, v5, v8, 0x7fff
	v_or_b32_e32 v36, 0x400000, v8
	v_add3_u32 v35, v35, v1, 0x7fff
	v_bfe_u32 v52, v2, 16, 1
	v_cndmask_b32_e32 v7, v37, v58, vcc_lo
	v_cmp_u_f32_e32 vcc_lo, v8, v8
	v_or_b32_e32 v37, 0x400000, v1
	v_lshlrev_b32_e32 v54, 16, v54
	v_lshlrev_b32_e32 v57, 16, v57
	v_and_b32_e32 v7, 0xffff0000, v7
	v_cndmask_b32_e32 v8, v5, v36, vcc_lo
	v_cmp_u_f32_e32 vcc_lo, v1, v1
	v_add3_u32 v5, v52, v2, 0x7fff
	v_or_b32_e32 v36, 0x400000, v2
	v_and_b32_e32 v1, 0xffff0000, v6
	v_lshlrev_b32_e32 v6, 16, v108
	v_cndmask_b32_e32 v35, v35, v37, vcc_lo
	v_bfe_u32 v37, v3, 16, 1
	v_cmp_u_f32_e32 vcc_lo, v2, v2
	v_bfe_u32 v52, v4, 16, 1
	v_mul_f32_e32 v6, v1, v6
	v_lshlrev_b32_e32 v55, 16, v55
	v_add3_u32 v2, v37, v3, 0x7fff
	v_cndmask_b32_e32 v36, v5, v36, vcc_lo
	v_or_b32_e32 v37, 0x400000, v3
	v_and_b32_e32 v5, 0xffff0000, v0
	v_lshlrev_b32_e32 v0, 16, v107
	v_cmp_u_f32_e32 vcc_lo, v3, v3
	v_add3_u32 v3, v52, v4, 0x7fff
	v_or_b32_e32 v52, 0x400000, v4
	v_bfe_u32 v58, v6, 16, 1
	v_mul_f32_e32 v0, v5, v0
	v_cndmask_b32_e32 v37, v2, v37, vcc_lo
	v_and_b32_e32 v2, 0xffff0000, v8
	v_lshlrev_b32_e32 v8, 16, v105
	v_cmp_u_f32_e32 vcc_lo, v4, v4
	v_lshlrev_b32_e32 v50, 16, v50
	v_lshlrev_b32_e32 v49, 16, v49
	;; [unrolled: 1-line block ×3, first 2 shown]
	v_mul_f32_e32 v59, v2, v8
	v_cndmask_b32_e32 v4, v3, v52, vcc_lo
	v_add3_u32 v3, v58, v6, 0x7fff
	v_or_b32_e32 v52, 0x400000, v6
	v_bfe_u32 v58, v0, 16, 1
	v_lshlrev_b32_e32 v8, 16, v106
	v_cmp_u_f32_e32 vcc_lo, v6, v6
	v_bfe_u32 v60, v59, 16, 1
	v_and_b32_e32 v4, 0xffff0000, v4
	v_add3_u32 v6, v58, v0, 0x7fff
	v_or_b32_e32 v58, 0x400000, v0
	v_cndmask_b32_e32 v52, v3, v52, vcc_lo
	v_mul_f32_e32 v61, v7, v8
	v_and_b32_e32 v3, 0xffff0000, v36
	v_lshlrev_b32_e32 v8, 16, v100
	v_cmp_u_f32_e32 vcc_lo, v0, v0
	v_or_b32_e32 v36, 0x400000, v59
	v_and_b32_e32 v52, 0xffff0000, v52
	v_mul_f32_e32 v53, v3, v53
	v_mul_f32_e32 v57, v4, v57
	v_cndmask_b32_e32 v0, v6, v58, vcc_lo
	v_add3_u32 v6, v60, v59, 0x7fff
	v_bfe_u32 v58, v61, 16, 1
	v_mul_f32_e32 v60, v3, v8
	v_and_b32_e32 v8, 0xffff0000, v35
	v_cmp_u_f32_e32 vcc_lo, v59, v59
	v_lshlrev_b32_e32 v59, 16, v104
	v_and_b32_e32 v0, 0xffff0000, v0
	v_or_b32_e32 v62, 0x400000, v60
	v_mul_f32_e32 v20, v8, v20
	v_cndmask_b32_e32 v35, v6, v36, vcc_lo
	v_add3_u32 v6, v58, v61, 0x7fff
	v_or_b32_e32 v36, 0x400000, v61
	v_bfe_u32 v58, v60, 16, 1
	v_cmp_u_f32_e32 vcc_lo, v61, v61
	v_bfe_u32 v61, v20, 16, 1
	v_or_b32_e32 v63, 0x400000, v20
	v_mul_f32_e32 v59, v4, v59
	v_add3_u32 v58, v58, v60, 0x7fff
	v_cndmask_b32_e32 v36, v6, v36, vcc_lo
	v_and_b32_e32 v6, 0xffff0000, v37
	v_lshlrev_b32_e32 v37, 16, v103
	v_cmp_u_f32_e32 vcc_lo, v60, v60
	v_add3_u32 v61, v61, v20, 0x7fff
	v_bfe_u32 v64, v59, 16, 1
	v_and_b32_e32 v36, 0xffff0000, v36
	v_mul_f32_e32 v37, v6, v37
	v_cndmask_b32_e32 v58, v58, v62, vcc_lo
	v_cmp_u_f32_e32 vcc_lo, v20, v20
	v_and_b32_e32 v35, 0xffff0000, v35
	v_add3_u32 v60, v64, v59, 0x7fff
	v_or_b32_e32 v62, 0x400000, v59
	v_add_f32_e32 v0, v0, v52
	v_cndmask_b32_e32 v20, v61, v63, vcc_lo
	v_bfe_u32 v61, v37, 16, 1
	v_or_b32_e32 v63, 0x400000, v37
	v_cmp_u_f32_e32 vcc_lo, v37, v37
	v_add_f32_e32 v35, v36, v35
	v_and_b32_e32 v20, 0xffff0000, v20
	v_add3_u32 v61, v61, v37, 0x7fff
	v_and_b32_e32 v36, 0xffff0000, v58
	v_mul_f32_e32 v54, v8, v54
	v_add_f32_e32 v0, v35, v0
	v_lshlrev_b32_e32 v35, 16, v99
	v_cndmask_b32_e32 v37, v61, v63, vcc_lo
	v_cmp_u_f32_e32 vcc_lo, v59, v59
	v_add_f32_e32 v20, v20, v36
	v_lshlrev_b32_e32 v61, 16, v97
	v_mul_f32_e32 v35, v1, v35
	v_and_b32_e32 v36, 0xffff0000, v37
	v_cndmask_b32_e32 v52, v60, v62, vcc_lo
	v_lshlrev_b32_e32 v37, 16, v98
	v_add_f32_e32 v0, v20, v0
	v_cmp_u_f32_e32 vcc_lo, v35, v35
	v_mul_f32_e32 v55, v6, v55
	v_and_b32_e32 v52, 0xffff0000, v52
	v_mul_f32_e32 v20, v5, v37
	v_lshlrev_b32_e32 v37, 16, v95
	v_mul_f32_e32 v49, v7, v49
	v_mul_f32_e32 v45, v3, v45
	v_add_f32_e32 v36, v36, v52
	v_bfe_u32 v52, v35, 16, 1
	v_bfe_u32 v58, v20, 16, 1
	v_or_b32_e32 v59, 0x400000, v20
	v_lshlrev_b32_e32 v44, 16, v44
	v_add_f32_e32 v0, v36, v0
	v_mul_f32_e32 v36, v2, v37
	v_add3_u32 v37, v52, v35, 0x7fff
	v_or_b32_e32 v52, 0x400000, v35
	v_add3_u32 v58, v58, v20, 0x7fff
	v_add_f32_e32 v24, v24, v0
	v_bfe_u32 v60, v36, 16, 1
	v_lshlrev_b32_e32 v48, 16, v48
	v_cndmask_b32_e32 v35, v37, v52, vcc_lo
	v_cmp_u_f32_e32 vcc_lo, v20, v20
	v_mul_f32_e32 v37, v7, v61
	v_add3_u32 v52, v60, v36, 0x7fff
	v_lshlrev_b32_e32 v60, 16, v93
	v_and_b32_e32 v35, 0xffff0000, v35
	v_cndmask_b32_e32 v20, v58, v59, vcc_lo
	v_or_b32_e32 v58, 0x400000, v36
	v_lshlrev_b32_e32 v59, 16, v92
	v_cmp_u_f32_e32 vcc_lo, v36, v36
	v_bfe_u32 v61, v37, 16, 1
	v_and_b32_e32 v20, 0xffff0000, v20
	v_mul_f32_e32 v44, v8, v44
	v_mul_f32_e32 v48, v4, v48
	v_cndmask_b32_e32 v36, v52, v58, vcc_lo
	v_mul_f32_e32 v52, v3, v59
	v_mul_f32_e32 v58, v8, v60
	v_add3_u32 v59, v61, v37, 0x7fff
	v_or_b32_e32 v60, 0x400000, v37
	v_lshlrev_b32_e32 v61, 16, v96
	v_bfe_u32 v62, v52, 16, 1
	v_cmp_u_f32_e32 vcc_lo, v37, v37
	v_bfe_u32 v63, v58, 16, 1
	v_and_b32_e32 v36, 0xffff0000, v36
	v_add_f32_e32 v20, v20, v35
	v_lshlrev_b32_e32 v46, 16, v46
	v_cndmask_b32_e32 v37, v59, v60, vcc_lo
	v_mul_f32_e32 v59, v4, v61
	v_add3_u32 v60, v62, v52, 0x7fff
	v_or_b32_e32 v61, 0x400000, v52
	v_cmp_u_f32_e32 vcc_lo, v52, v52
	v_add3_u32 v62, v63, v58, 0x7fff
	v_or_b32_e32 v63, 0x400000, v58
	v_bfe_u32 v64, v59, 16, 1
	v_and_b32_e32 v37, 0xffff0000, v37
	v_cndmask_b32_e32 v52, v60, v61, vcc_lo
	v_lshlrev_b32_e32 v60, 16, v94
	v_cmp_u_f32_e32 vcc_lo, v58, v58
	v_add3_u32 v61, v64, v59, 0x7fff
	v_add_f32_e32 v35, v37, v36
	v_lshlrev_b32_e32 v37, 16, v91
	v_mul_f32_e32 v60, v6, v60
	v_cndmask_b32_e32 v58, v62, v63, vcc_lo
	v_or_b32_e32 v62, 0x400000, v59
	v_cmp_u_f32_e32 vcc_lo, v59, v59
	v_and_b32_e32 v52, 0xffff0000, v52
	v_add_f32_e32 v20, v35, v20
	v_and_b32_e32 v36, 0xffff0000, v58
	v_mul_f32_e32 v35, v1, v37
	v_cndmask_b32_e32 v59, v61, v62, vcc_lo
	v_bfe_u32 v61, v60, 16, 1
	v_lshlrev_b32_e32 v37, 16, v90
	v_add_f32_e32 v36, v36, v52
	v_cmp_u_f32_e32 vcc_lo, v60, v60
	v_lshlrev_b32_e32 v62, 16, v89
	v_add3_u32 v58, v61, v60, 0x7fff
	v_or_b32_e32 v61, 0x400000, v60
	v_add_f32_e32 v20, v36, v20
	v_mul_f32_e32 v36, v5, v37
	v_lshlrev_b32_e32 v37, 16, v87
	v_or_b32_e32 v60, 0x400000, v35
	v_cndmask_b32_e32 v52, v58, v61, vcc_lo
	v_bfe_u32 v58, v35, 16, 1
	v_bfe_u32 v61, v36, 16, 1
	v_mul_f32_e32 v37, v2, v37
	v_cmp_u_f32_e32 vcc_lo, v35, v35
	v_mul_f32_e32 v62, v7, v62
	v_add3_u32 v58, v58, v35, 0x7fff
	v_lshlrev_b32_e32 v63, 16, v85
	v_lshlrev_b32_e32 v64, 16, v84
	;; [unrolled: 1-line block ×4, first 2 shown]
	v_cndmask_b32_e32 v35, v58, v60, vcc_lo
	v_add3_u32 v58, v61, v36, 0x7fff
	v_or_b32_e32 v60, 0x400000, v36
	v_bfe_u32 v61, v37, 16, 1
	v_cmp_u_f32_e32 vcc_lo, v36, v36
	v_mul_f32_e32 v63, v3, v63
	v_mul_f32_e32 v64, v8, v64
	v_and_b32_e32 v35, 0xffff0000, v35
	v_and_b32_e32 v52, 0xffff0000, v52
	v_cndmask_b32_e32 v36, v58, v60, vcc_lo
	v_add3_u32 v58, v61, v37, 0x7fff
	v_or_b32_e32 v60, 0x400000, v37
	v_bfe_u32 v61, v62, 16, 1
	v_cmp_u_f32_e32 vcc_lo, v37, v37
	v_or_b32_e32 v86, 0x400000, v64
	v_and_b32_e32 v36, 0xffff0000, v36
	v_and_b32_e32 v59, 0xffff0000, v59
	v_mul_f32_e32 v46, v6, v46
	v_cndmask_b32_e32 v37, v58, v60, vcc_lo
	v_add3_u32 v58, v61, v62, 0x7fff
	v_or_b32_e32 v60, 0x400000, v62
	v_bfe_u32 v61, v63, 16, 1
	v_cmp_u_f32_e32 vcc_lo, v62, v62
	v_mul_f32_e32 v62, v4, v84
	v_mul_f32_e32 v84, v6, v85
	v_or_b32_e32 v85, 0x400000, v63
	v_add3_u32 v61, v61, v63, 0x7fff
	v_cndmask_b32_e32 v58, v58, v60, vcc_lo
	v_bfe_u32 v60, v64, 16, 1
	v_cmp_u_f32_e32 vcc_lo, v63, v63
	v_bfe_u32 v88, v84, 16, 1
	v_bfe_u32 v87, v62, 16, 1
	v_and_b32_e32 v58, 0xffff0000, v58
	v_add3_u32 v60, v60, v64, 0x7fff
	v_cndmask_b32_e32 v61, v61, v85, vcc_lo
	v_cmp_u_f32_e32 vcc_lo, v64, v64
	v_add3_u32 v64, v88, v84, 0x7fff
	v_or_b32_e32 v85, 0x400000, v84
	v_add3_u32 v63, v87, v62, 0x7fff
	v_and_b32_e32 v37, 0xffff0000, v37
	v_cndmask_b32_e32 v60, v60, v86, vcc_lo
	v_cmp_u_f32_e32 vcc_lo, v84, v84
	v_or_b32_e32 v86, 0x400000, v62
	v_add_f32_e32 v35, v36, v35
	v_add_f32_e32 v36, v58, v37
	v_and_b32_e32 v37, 0xffff0000, v60
	v_cndmask_b32_e32 v64, v64, v85, vcc_lo
	v_cmp_u_f32_e32 vcc_lo, v62, v62
	v_and_b32_e32 v58, 0xffff0000, v61
	v_add_f32_e32 v35, v36, v35
	v_add_f32_e32 v52, v52, v59
	v_lshlrev_b32_e32 v59, 16, v82
	v_cndmask_b32_e32 v60, v63, v86, vcc_lo
	v_add_f32_e32 v36, v37, v58
	v_and_b32_e32 v37, 0xffff0000, v64
	v_add_f32_e32 v20, v52, v20
	v_mul_f32_e32 v52, v5, v59
	v_and_b32_e32 v58, 0xffff0000, v60
	v_lshlrev_b32_e32 v60, 16, v83
	v_add_f32_e32 v35, v36, v35
	v_add_f32_e32 v27, v27, v20
	v_bfe_u32 v20, v52, 16, 1
	v_add_f32_e32 v36, v37, v58
	v_mul_f32_e32 v37, v1, v60
	v_lshlrev_b32_e32 v59, 16, v81
	v_or_b32_e32 v58, 0x400000, v52
	v_add3_u32 v20, v20, v52, 0x7fff
	v_add_f32_e32 v0, v36, v35
	v_bfe_u32 v35, v37, 16, 1
	v_lshlrev_b32_e32 v36, 16, v79
	v_cmp_u_f32_e32 vcc_lo, v37, v37
	v_lshlrev_b32_e32 v61, 16, v80
	v_add_f32_e32 v28, v28, v0
	v_add3_u32 v0, v35, v37, 0x7fff
	v_or_b32_e32 v35, 0x400000, v37
	v_mul_f32_e32 v36, v2, v36
	v_mul_f32_e32 v37, v7, v59
	v_lshlrev_b32_e32 v59, 16, v77
	v_lshlrev_b32_e32 v19, 16, v19
	v_cndmask_b32_e32 v0, v0, v35, vcc_lo
	v_bfe_u32 v35, v36, 16, 1
	v_cmp_u_f32_e32 vcc_lo, v52, v52
	v_lshlrev_b32_e32 v52, 16, v76
	v_bfe_u32 v60, v37, 16, 1
	v_and_b32_e32 v0, 0xffff0000, v0
	v_add3_u32 v35, v35, v36, 0x7fff
	v_cndmask_b32_e32 v20, v20, v58, vcc_lo
	v_or_b32_e32 v58, 0x400000, v36
	v_mul_f32_e32 v52, v3, v52
	v_cmp_u_f32_e32 vcc_lo, v36, v36
	v_mul_f32_e32 v36, v8, v59
	v_or_b32_e32 v59, 0x400000, v37
	v_and_b32_e32 v20, 0xffff0000, v20
	v_lshlrev_b32_e32 v16, 16, v16
	v_cndmask_b32_e32 v35, v35, v58, vcc_lo
	v_add3_u32 v58, v60, v37, 0x7fff
	v_bfe_u32 v60, v52, 16, 1
	v_bfe_u32 v62, v36, 16, 1
	v_cmp_u_f32_e32 vcc_lo, v37, v37
	v_or_b32_e32 v63, 0x400000, v36
	v_and_b32_e32 v35, 0xffff0000, v35
	v_add_f32_e32 v0, v20, v0
	v_lshlrev_b32_e32 v15, 16, v15
	v_cndmask_b32_e32 v37, v58, v59, vcc_lo
	v_add3_u32 v58, v60, v52, 0x7fff
	v_mul_f32_e32 v59, v4, v61
	v_or_b32_e32 v60, 0x400000, v52
	v_add3_u32 v61, v62, v36, 0x7fff
	v_lshlrev_b32_e32 v62, 16, v78
	v_cmp_u_f32_e32 vcc_lo, v52, v52
	v_bfe_u32 v64, v59, 16, 1
	v_and_b32_e32 v37, 0xffff0000, v37
	v_lshlrev_b32_e32 v9, 16, v9
	v_lshlrev_b32_e32 v17, 16, v17
	v_cndmask_b32_e32 v52, v58, v60, vcc_lo
	v_mul_f32_e32 v58, v6, v62
	v_cmp_u_f32_e32 vcc_lo, v36, v36
	v_add3_u32 v60, v64, v59, 0x7fff
	v_add_f32_e32 v20, v37, v35
	v_lshlrev_b32_e32 v37, 16, v75
	v_bfe_u32 v62, v58, 16, 1
	v_cndmask_b32_e32 v36, v61, v63, vcc_lo
	v_or_b32_e32 v61, 0x400000, v59
	v_cmp_u_f32_e32 vcc_lo, v59, v59
	v_mul_f32_e32 v37, v1, v37
	v_add_f32_e32 v0, v20, v0
	v_and_b32_e32 v35, 0xffff0000, v36
	v_and_b32_e32 v36, 0xffff0000, v52
	v_cndmask_b32_e32 v59, v60, v61, vcc_lo
	v_add3_u32 v60, v62, v58, 0x7fff
	v_or_b32_e32 v61, 0x400000, v58
	v_cmp_u_f32_e32 vcc_lo, v58, v58
	v_lshlrev_b32_e32 v52, 16, v74
	v_add_f32_e32 v20, v35, v36
	v_lshlrev_b32_e32 v63, 16, v72
	v_cndmask_b32_e32 v58, v60, v61, vcc_lo
	v_mul_f32_e32 v35, v5, v52
	v_and_b32_e32 v52, 0xffff0000, v59
	v_lshlrev_b32_e32 v59, 16, v71
	v_add_f32_e32 v20, v20, v0
	v_and_b32_e32 v36, 0xffff0000, v58
	v_bfe_u32 v58, v37, 16, 1
	v_bfe_u32 v0, v35, 16, 1
	v_mul_f32_e32 v59, v2, v59
	v_lshlrev_b32_e32 v61, 16, v73
	v_add_f32_e32 v52, v36, v52
	v_add3_u32 v36, v58, v37, 0x7fff
	v_or_b32_e32 v58, 0x400000, v37
	v_cmp_u_f32_e32 vcc_lo, v37, v37
	v_add3_u32 v0, v0, v35, 0x7fff
	v_or_b32_e32 v60, 0x400000, v35
	v_bfe_u32 v37, v59, 16, 1
	v_cndmask_b32_e32 v36, v36, v58, vcc_lo
	v_cmp_u_f32_e32 vcc_lo, v35, v35
	v_mul_f32_e32 v35, v7, v61
	v_lshlrev_b32_e32 v58, 16, v68
	v_lshlrev_b32_e32 v61, 16, v69
	v_add3_u32 v37, v37, v59, 0x7fff
	v_cndmask_b32_e32 v0, v0, v60, vcc_lo
	v_or_b32_e32 v60, 0x400000, v59
	v_bfe_u32 v62, v35, 16, 1
	v_mul_f32_e32 v58, v3, v58
	v_cmp_u_f32_e32 vcc_lo, v59, v59
	v_mul_f32_e32 v59, v8, v61
	v_or_b32_e32 v61, 0x400000, v35
	v_and_b32_e32 v0, 0xffff0000, v0
	v_and_b32_e32 v36, 0xffff0000, v36
	v_cndmask_b32_e32 v37, v37, v60, vcc_lo
	v_add3_u32 v60, v62, v35, 0x7fff
	v_bfe_u32 v62, v58, 16, 1
	v_bfe_u32 v64, v59, 16, 1
	v_cmp_u_f32_e32 vcc_lo, v35, v35
	v_or_b32_e32 v68, 0x400000, v59
	v_and_b32_e32 v37, 0xffff0000, v37
	v_add_f32_e32 v0, v0, v36
	v_mul_f32_e32 v8, v8, v15
	v_cndmask_b32_e32 v35, v60, v61, vcc_lo
	v_add3_u32 v60, v62, v58, 0x7fff
	v_mul_f32_e32 v61, v4, v63
	v_or_b32_e32 v62, 0x400000, v58
	v_add3_u32 v63, v64, v59, 0x7fff
	v_lshlrev_b32_e32 v64, 16, v70
	v_cmp_u_f32_e32 vcc_lo, v58, v58
	v_bfe_u32 v69, v61, 16, 1
	v_and_b32_e32 v35, 0xffff0000, v35
	v_mul_f32_e32 v3, v3, v9
	v_lshlrev_b32_e32 v9, 16, v18
	v_cndmask_b32_e32 v58, v60, v62, vcc_lo
	v_mul_f32_e32 v60, v6, v64
	v_cmp_u_f32_e32 vcc_lo, v59, v59
	v_add3_u32 v62, v69, v61, 0x7fff
	v_add_f32_e32 v35, v35, v37
	v_and_b32_e32 v37, 0xffff0000, v58
	v_bfe_u32 v64, v60, 16, 1
	v_cndmask_b32_e32 v59, v63, v68, vcc_lo
	v_or_b32_e32 v63, 0x400000, v61
	v_cmp_u_f32_e32 vcc_lo, v61, v61
	v_lshlrev_b32_e32 v58, 16, v67
	v_add_f32_e32 v0, v35, v0
	v_and_b32_e32 v36, 0xffff0000, v59
	v_mul_f32_e32 v6, v6, v9
	v_cndmask_b32_e32 v61, v62, v63, vcc_lo
	v_add3_u32 v62, v64, v60, 0x7fff
	v_or_b32_e32 v63, 0x400000, v60
	v_cmp_u_f32_e32 vcc_lo, v60, v60
	v_lshlrev_b32_e32 v60, 16, v66
	v_add_f32_e32 v35, v36, v37
	v_mul_f32_e32 v36, v1, v58
	v_and_b32_e32 v58, 0xffff0000, v61
	v_cndmask_b32_e32 v59, v62, v63, vcc_lo
	v_lshlrev_b32_e32 v63, 16, v65
	v_mul_f32_e32 v4, v4, v17
	v_bfe_u32 v61, v36, 16, 1
	v_cmp_u_f32_e32 vcc_lo, v36, v36
	v_and_b32_e32 v37, 0xffff0000, v59
	v_mul_f32_e32 v59, v5, v60
	v_lshlrev_b32_e32 v60, 16, v56
	v_add_f32_e32 v56, v35, v0
	v_or_b32_e32 v9, 0x400000, v8
	v_add_f32_e32 v58, v37, v58
	v_bfe_u32 v0, v59, 16, 1
	v_mul_f32_e32 v35, v2, v60
	v_add3_u32 v37, v61, v36, 0x7fff
	v_or_b32_e32 v60, 0x400000, v36
	v_or_b32_e32 v61, 0x400000, v59
	v_add3_u32 v0, v0, v59, 0x7fff
	v_bfe_u32 v62, v35, 16, 1
	v_or_b32_e32 v17, 0x400000, v3
	v_cndmask_b32_e32 v36, v37, v60, vcc_lo
	v_cmp_u_f32_e32 vcc_lo, v59, v59
	v_mul_f32_e32 v37, v7, v63
	v_add3_u32 v59, v62, v35, 0x7fff
	v_or_b32_e32 v60, 0x400000, v35
	v_bfe_u32 v62, v54, 16, 1
	v_cndmask_b32_e32 v0, v0, v61, vcc_lo
	v_bfe_u32 v61, v37, 16, 1
	v_cmp_u_f32_e32 vcc_lo, v35, v35
	v_bfe_u32 v63, v57, 16, 1
	v_and_b32_e32 v36, 0xffff0000, v36
	v_and_b32_e32 v0, 0xffff0000, v0
	v_mul_f32_e32 v7, v7, v19
	v_cndmask_b32_e32 v35, v59, v60, vcc_lo
	v_add3_u32 v59, v61, v37, 0x7fff
	v_or_b32_e32 v60, 0x400000, v37
	v_bfe_u32 v61, v53, 16, 1
	v_cmp_u_f32_e32 vcc_lo, v37, v37
	v_and_b32_e32 v35, 0xffff0000, v35
	v_add_f32_e32 v0, v0, v36
	v_bfe_u32 v18, v6, 16, 1
	v_cndmask_b32_e32 v37, v59, v60, vcc_lo
	v_add3_u32 v59, v61, v53, 0x7fff
	v_or_b32_e32 v60, 0x400000, v53
	v_cmp_u_f32_e32 vcc_lo, v53, v53
	v_add3_u32 v61, v62, v54, 0x7fff
	v_or_b32_e32 v62, 0x400000, v54
	v_and_b32_e32 v37, 0xffff0000, v37
	v_cndmask_b32_e32 v53, v59, v60, vcc_lo
	v_cmp_u_f32_e32 vcc_lo, v54, v54
	v_add3_u32 v59, v63, v57, 0x7fff
	v_or_b32_e32 v60, 0x400000, v57
	v_add_f32_e32 v35, v37, v35
	v_lshlrev_b32_e32 v37, 16, v51
	v_cndmask_b32_e32 v54, v61, v62, vcc_lo
	v_cmp_u_f32_e32 vcc_lo, v57, v57
	v_and_b32_e32 v51, 0xffff0000, v53
	v_add_f32_e32 v0, v35, v0
	v_mul_f32_e32 v35, v1, v37
	v_and_b32_e32 v36, 0xffff0000, v54
	v_cndmask_b32_e32 v57, v59, v60, vcc_lo
	v_bfe_u32 v59, v55, 16, 1
	v_or_b32_e32 v54, 0x400000, v55
	v_cmp_u_f32_e32 vcc_lo, v55, v55
	v_add_f32_e32 v36, v36, v51
	v_bfe_u32 v51, v35, 16, 1
	v_add3_u32 v53, v59, v55, 0x7fff
	v_add_f32_e32 v0, v36, v0
	v_lshlrev_b32_e32 v36, 16, v47
	v_mul_f32_e32 v47, v5, v50
	v_cndmask_b32_e32 v37, v53, v54, vcc_lo
	v_add3_u32 v50, v51, v35, 0x7fff
	v_or_b32_e32 v51, 0x400000, v35
	v_mul_f32_e32 v36, v2, v36
	v_bfe_u32 v54, v47, 16, 1
	v_cmp_u_f32_e32 vcc_lo, v35, v35
	v_mul_f32_e32 v2, v2, v16
	v_and_b32_e32 v37, 0xffff0000, v37
	v_or_b32_e32 v55, 0x400000, v36
	v_and_b32_e32 v53, 0xffff0000, v57
	v_cndmask_b32_e32 v35, v50, v51, vcc_lo
	v_bfe_u32 v50, v36, 16, 1
	v_add3_u32 v51, v54, v47, 0x7fff
	v_or_b32_e32 v54, 0x400000, v47
	v_cmp_u_f32_e32 vcc_lo, v47, v47
	v_and_b32_e32 v35, 0xffff0000, v35
	v_add3_u32 v50, v50, v36, 0x7fff
	v_cndmask_b32_e32 v47, v51, v54, vcc_lo
	v_bfe_u32 v51, v49, 16, 1
	v_cmp_u_f32_e32 vcc_lo, v36, v36
	v_or_b32_e32 v54, 0x400000, v49
	v_and_b32_e32 v47, 0xffff0000, v47
	v_add3_u32 v51, v51, v49, 0x7fff
	v_cndmask_b32_e32 v36, v50, v55, vcc_lo
	v_bfe_u32 v50, v45, 16, 1
	v_cmp_u_f32_e32 vcc_lo, v49, v49
	v_or_b32_e32 v55, 0x400000, v45
	v_add_f32_e32 v35, v47, v35
	v_and_b32_e32 v36, 0xffff0000, v36
	v_add3_u32 v50, v50, v45, 0x7fff
	v_cndmask_b32_e32 v49, v51, v54, vcc_lo
	v_bfe_u32 v51, v44, 16, 1
	v_cmp_u_f32_e32 vcc_lo, v45, v45
	v_bfe_u32 v54, v48, 16, 1
	v_lshlrev_b32_e32 v47, 16, v101
	v_and_b32_e32 v49, 0xffff0000, v49
	v_cndmask_b32_e32 v45, v50, v55, vcc_lo
	v_add3_u32 v50, v51, v44, 0x7fff
	v_or_b32_e32 v51, 0x400000, v44
	v_cmp_u_f32_e32 vcc_lo, v44, v44
	v_add3_u32 v54, v54, v48, 0x7fff
	v_or_b32_e32 v55, 0x400000, v48
	v_add_f32_e32 v36, v49, v36
	v_and_b32_e32 v45, 0xffff0000, v45
	v_cndmask_b32_e32 v44, v50, v51, vcc_lo
	v_cmp_u_f32_e32 vcc_lo, v48, v48
	v_bfe_u32 v50, v46, 16, 1
	v_or_b32_e32 v51, 0x400000, v46
	v_add_f32_e32 v35, v36, v35
	v_and_b32_e32 v44, 0xffff0000, v44
	v_cndmask_b32_e32 v48, v54, v55, vcc_lo
	v_lshlrev_b32_e32 v54, 16, v102
	v_add3_u32 v50, v50, v46, 0x7fff
	v_cmp_u_f32_e32 vcc_lo, v46, v46
	v_mul_f32_e32 v1, v1, v47
	v_add_f32_e32 v44, v44, v45
	v_mul_f32_e32 v5, v5, v54
	v_cndmask_b32_e32 v46, v50, v51, vcc_lo
	v_bfe_u32 v47, v1, 16, 1
	v_bfe_u32 v36, v5, 16, 1
	v_cmp_u_f32_e32 vcc_lo, v5, v5
	v_and_b32_e32 v45, 0xffff0000, v46
	v_or_b32_e32 v46, 0x400000, v5
	v_add3_u32 v19, v47, v1, 0x7fff
	v_add3_u32 v36, v36, v5, 0x7fff
	v_cndmask_b32_e32 v5, v36, v46, vcc_lo
	v_or_b32_e32 v36, 0x400000, v1
	v_bfe_u32 v46, v7, 16, 1
	v_cmp_u_f32_e32 vcc_lo, v1, v1
	v_and_b32_e32 v5, 0xffff0000, v5
	v_add3_u32 v16, v46, v7, 0x7fff
	v_cndmask_b32_e32 v1, v19, v36, vcc_lo
	v_or_b32_e32 v19, 0x400000, v7
	v_bfe_u32 v36, v2, 16, 1
	v_cmp_u_f32_e32 vcc_lo, v7, v7
	v_and_b32_e32 v1, 0xffff0000, v1
	v_add3_u32 v15, v36, v2, 0x7fff
	v_cndmask_b32_e32 v7, v16, v19, vcc_lo
	v_or_b32_e32 v16, 0x400000, v2
	v_bfe_u32 v19, v8, 16, 1
	v_cmp_u_f32_e32 vcc_lo, v2, v2
	v_add_f32_e32 v1, v5, v1
	v_and_b32_e32 v7, 0xffff0000, v7
	v_cndmask_b32_e32 v2, v15, v16, vcc_lo
	v_bfe_u32 v15, v3, 16, 1
	v_add3_u32 v16, v19, v8, 0x7fff
	v_cmp_u_f32_e32 vcc_lo, v8, v8
	v_bfe_u32 v19, v4, 16, 1
	v_and_b32_e32 v2, 0xffff0000, v2
	v_add3_u32 v15, v15, v3, 0x7fff
	v_cndmask_b32_e32 v8, v16, v9, vcc_lo
	v_cmp_u_f32_e32 vcc_lo, v3, v3
	v_or_b32_e32 v16, 0x400000, v4
	v_add3_u32 v9, v18, v6, 0x7fff
	v_add_f32_e32 v2, v7, v2
	v_and_b32_e32 v5, 0xffff0000, v8
	v_cndmask_b32_e32 v3, v15, v17, vcc_lo
	v_add3_u32 v15, v19, v4, 0x7fff
	v_cmp_u_f32_e32 vcc_lo, v4, v4
	v_or_b32_e32 v17, 0x400000, v6
	v_and_b32_e32 v7, 0xffff0000, v48
	v_and_b32_e32 v3, 0xffff0000, v3
	v_add_f32_e32 v1, v2, v1
	v_cndmask_b32_e32 v4, v15, v16, vcc_lo
	v_cmp_u_f32_e32 vcc_lo, v6, v6
	v_add_f32_e32 v7, v45, v7
	v_add_f32_e32 v2, v5, v3
	;; [unrolled: 1-line block ×3, first 2 shown]
	v_and_b32_e32 v3, 0xffff0000, v4
	v_cndmask_b32_e32 v6, v9, v17, vcc_lo
	v_add_f32_e32 v1, v2, v1
	v_add_f32_e32 v0, v5, v0
	v_and_b32_e32 v4, 0xffff0000, v6
	v_add_f32_e32 v6, v44, v35
	v_add_f32_e32 v31, v31, v0
	;; [unrolled: 1-line block ×11, first 2 shown]
.LBB355_553:                            ;   in Loop: Header=BB355_554 Depth=1
	s_or_b32 exec_lo, exec_lo, s17
	v_add_nc_u32_e32 v25, 4, v25
	v_add_co_u32 v13, s1, v13, 16
	v_add_co_ci_u32_e64 v14, null, 0, v14, s1
	v_cmp_le_i32_e32 vcc_lo, s20, v25
	v_add_nc_u32_e32 v38, 64, v38
	v_add_nc_u32_e32 v42, 0x100, v42
	s_or_b32 s13, vcc_lo, s13
	s_andn2_b32 exec_lo, exec_lo, s13
	s_cbranch_execz .LBB355_1051
.LBB355_554:                            ; =>This Inner Loop Header: Depth=1
	v_sub_nc_u32_e32 v0, 0, v38
	v_max_i32_e32 v0, v38, v0
	v_mul_hi_u32 v1, v0, s16
	v_mul_lo_u32 v2, v1, s11
	v_sub_nc_u32_e32 v0, v0, v2
	v_add_nc_u32_e32 v2, 1, v1
	v_subrev_nc_u32_e32 v3, s11, v0
	v_cmp_le_u32_e32 vcc_lo, s11, v0
	v_cndmask_b32_e32 v1, v1, v2, vcc_lo
	v_cndmask_b32_e32 v0, v0, v3, vcc_lo
	v_ashrrev_i32_e32 v2, 31, v38
	v_add_nc_u32_e32 v3, 1, v1
	v_cmp_le_u32_e32 vcc_lo, s11, v0
	v_xor_b32_e32 v2, s23, v2
	v_cndmask_b32_e32 v0, v1, v3, vcc_lo
	v_xor_b32_e32 v0, v0, v2
	v_sub_nc_u32_e32 v0, v0, v2
	v_add_nc_u32_e32 v1, s19, v0
	v_cmp_lt_i32_e64 s1, s6, v0
	v_sub_nc_u32_e32 v2, 0, v1
	v_max_i32_e32 v2, v1, v2
	v_ashrrev_i32_e32 v1, 31, v1
	v_mul_hi_u32 v3, v2, v43
	v_mul_lo_u32 v3, v3, s9
	v_sub_nc_u32_e32 v2, v2, v3
	v_subrev_nc_u32_e32 v3, s9, v2
	v_cmp_le_u32_e32 vcc_lo, s9, v2
	v_cndmask_b32_e32 v2, v2, v3, vcc_lo
	v_subrev_nc_u32_e32 v3, s9, v2
	v_cmp_le_u32_e32 vcc_lo, s9, v2
	v_cndmask_b32_e32 v2, v2, v3, vcc_lo
	v_xor_b32_e32 v2, v2, v1
	v_sub_nc_u32_e32 v1, v2, v1
	v_cmp_eq_u32_e32 vcc_lo, 0, v1
	s_or_b32 s1, vcc_lo, s1
	s_and_saveexec_b32 s17, s1
	s_cbranch_execz .LBB355_553
; %bb.555:                              ;   in Loop: Header=BB355_554 Depth=1
	global_load_dword v0, v[13:14], off
	v_mov_b32_e32 v44, 0
	v_mov_b32_e32 v46, 0
	s_waitcnt vmcnt(0)
	v_mad_i64_i32 v[15:16], null, v0, s12, v[11:12]
	global_load_dwordx2 v[17:18], v[15:16], off
	ds_read2_b64 v[5:8], v42 offset1:1
	ds_read2_b64 v[1:4], v42 offset0:2 offset1:3
	s_load_dword s18, s[14:15], 0x0
	s_waitcnt vmcnt(0)
	v_cmp_ne_u16_sdwa s21, v17, v10 src0_sel:BYTE_0 src1_sel:DWORD
	s_and_saveexec_b32 s1, s21
	s_cbranch_execz .LBB355_561
; %bb.556:                              ;   in Loop: Header=BB355_554 Depth=1
	v_cmp_ne_u16_sdwa s22, v17, v26 src0_sel:BYTE_0 src1_sel:DWORD
	v_bfrev_b32_e32 v46, 1
	s_and_saveexec_b32 s21, s22
	s_cbranch_execz .LBB355_560
; %bb.557:                              ;   in Loop: Header=BB355_554 Depth=1
	v_and_b32_e32 v9, 0x7f, v17
	v_mov_b32_e32 v46, 0x7f800001
	s_mov_b32 s22, exec_lo
	v_cmpx_ne_u32_e32 0x7f, v9
	s_cbranch_execz .LBB355_559
; %bb.558:                              ;   in Loop: Header=BB355_554 Depth=1
	v_and_b32_e32 v0, 7, v17
	v_cmp_gt_u32_e32 vcc_lo, 8, v9
	v_lshrrev_b32_e32 v19, 3, v9
	v_ffbh_u32_e32 v0, v0
	v_min_u32_e32 v0, 32, v0
	v_subrev_nc_u32_e32 v20, 28, v0
	v_sub_nc_u32_e32 v0, 29, v0
	v_cndmask_b32_e32 v9, 0, v20, vcc_lo
	v_cndmask_b32_e32 v0, v19, v0, vcc_lo
	v_lshlrev_b64 v[19:20], v9, v[17:18]
	v_lshlrev_b32_e32 v9, 24, v17
	v_lshl_add_u32 v0, v0, 23, 0x3c000000
	v_and_b32_e32 v9, 0x80000000, v9
	v_lshlrev_b32_e32 v19, 20, v19
	v_and_b32_e32 v19, 0x700000, v19
	v_or3_b32 v46, v19, v9, v0
.LBB355_559:                            ;   in Loop: Header=BB355_554 Depth=1
	s_or_b32 exec_lo, exec_lo, s22
.LBB355_560:                            ;   in Loop: Header=BB355_554 Depth=1
	s_or_b32 exec_lo, exec_lo, s21
.LBB355_561:                            ;   in Loop: Header=BB355_554 Depth=1
	s_or_b32 exec_lo, exec_lo, s1
	v_cmp_ne_u16_sdwa s21, v17, v10 src0_sel:BYTE_1 src1_sel:DWORD
	s_and_saveexec_b32 s1, s21
	s_cbranch_execz .LBB355_569
; %bb.562:                              ;   in Loop: Header=BB355_554 Depth=1
	v_cmp_ne_u16_sdwa s22, v17, v26 src0_sel:BYTE_1 src1_sel:DWORD
	v_bfrev_b32_e32 v44, 1
	s_and_saveexec_b32 s21, s22
	s_cbranch_execz .LBB355_568
; %bb.563:                              ;   in Loop: Header=BB355_554 Depth=1
	v_and_b32_sdwa v9, v34, v17 dst_sel:DWORD dst_unused:UNUSED_PAD src0_sel:DWORD src1_sel:BYTE_1
	v_mov_b32_e32 v44, 0x7f800001
	s_mov_b32 s22, exec_lo
	v_and_b32_e32 v20, 0x7f, v9
	v_cmpx_ne_u32_e32 0x7f, v20
	s_cbranch_execz .LBB355_567
; %bb.564:                              ;   in Loop: Header=BB355_554 Depth=1
	v_and_b32_e32 v9, 7, v9
	v_lshrrev_b32_e32 v19, 3, v20
	s_mov_b32 s24, exec_lo
	v_cmpx_gt_u32_e32 8, v20
; %bb.565:                              ;   in Loop: Header=BB355_554 Depth=1
	v_ffbh_u32_e32 v0, v9
	v_min_u32_e32 v0, 32, v0
	v_subrev_nc_u32_e32 v19, 28, v0
	v_lshlrev_b64 v[35:36], v19, v[9:10]
	v_sub_nc_u32_e32 v19, 29, v0
	v_and_b32_e32 v9, 7, v35
; %bb.566:                              ;   in Loop: Header=BB355_554 Depth=1
	s_or_b32 exec_lo, exec_lo, s24
	v_lshlrev_b32_e32 v0, 16, v17
	v_lshlrev_b32_e32 v9, 20, v9
	v_lshl_add_u32 v19, v19, 23, 0x3c000000
	v_and_b32_e32 v0, 0x80000000, v0
	v_or3_b32 v44, v9, v0, v19
.LBB355_567:                            ;   in Loop: Header=BB355_554 Depth=1
	s_or_b32 exec_lo, exec_lo, s22
.LBB355_568:                            ;   in Loop: Header=BB355_554 Depth=1
	s_or_b32 exec_lo, exec_lo, s21
.LBB355_569:                            ;   in Loop: Header=BB355_554 Depth=1
	s_or_b32 exec_lo, exec_lo, s1
	v_and_b32_sdwa v9, v17, v39 dst_sel:DWORD dst_unused:UNUSED_PAD src0_sel:WORD_1 src1_sel:DWORD
	v_mov_b32_e32 v47, 0
	v_mov_b32_e32 v45, 0
	s_mov_b32 s1, exec_lo
	v_cmpx_ne_u16_e32 0, v9
	s_cbranch_execz .LBB355_577
; %bb.570:                              ;   in Loop: Header=BB355_554 Depth=1
	v_bfrev_b32_e32 v45, 1
	s_mov_b32 s21, exec_lo
	v_cmpx_ne_u16_e32 0x80, v9
	s_cbranch_execz .LBB355_576
; %bb.571:                              ;   in Loop: Header=BB355_554 Depth=1
	v_bfe_u32 v20, v17, 16, 7
	v_mov_b32_e32 v45, 0x7f800001
	s_mov_b32 s22, exec_lo
	v_cmpx_ne_u32_e32 0x7f, v20
	s_cbranch_execz .LBB355_575
; %bb.572:                              ;   in Loop: Header=BB355_554 Depth=1
	v_and_b32_sdwa v9, v17, v40 dst_sel:DWORD dst_unused:UNUSED_PAD src0_sel:WORD_1 src1_sel:DWORD
	v_lshrrev_b32_e32 v19, 3, v20
	s_mov_b32 s24, exec_lo
	v_cmpx_gt_u32_e32 8, v20
; %bb.573:                              ;   in Loop: Header=BB355_554 Depth=1
	v_ffbh_u32_e32 v0, v9
	v_min_u32_e32 v0, 32, v0
	v_subrev_nc_u32_e32 v19, 28, v0
	v_lshlrev_b64 v[35:36], v19, v[9:10]
	v_sub_nc_u32_e32 v19, 29, v0
	v_and_b32_e32 v9, 7, v35
; %bb.574:                              ;   in Loop: Header=BB355_554 Depth=1
	s_or_b32 exec_lo, exec_lo, s24
	v_lshlrev_b32_sdwa v0, v41, v17 dst_sel:DWORD dst_unused:UNUSED_PAD src0_sel:DWORD src1_sel:WORD_1
	v_lshlrev_b32_e32 v9, 20, v9
	v_lshl_add_u32 v19, v19, 23, 0x3c000000
	v_and_b32_e32 v0, 0x80000000, v0
	v_or3_b32 v45, v9, v0, v19
.LBB355_575:                            ;   in Loop: Header=BB355_554 Depth=1
	s_or_b32 exec_lo, exec_lo, s22
.LBB355_576:                            ;   in Loop: Header=BB355_554 Depth=1
	s_or_b32 exec_lo, exec_lo, s21
.LBB355_577:                            ;   in Loop: Header=BB355_554 Depth=1
	s_or_b32 exec_lo, exec_lo, s1
	s_mov_b32 s1, exec_lo
	v_cmpx_lt_u32_e32 0xffffff, v17
	s_cbranch_execz .LBB355_585
; %bb.578:                              ;   in Loop: Header=BB355_554 Depth=1
	v_cmp_ne_u32_sdwa s22, v17, v26 src0_sel:BYTE_3 src1_sel:DWORD
	v_bfrev_b32_e32 v47, 1
	s_and_saveexec_b32 s21, s22
	s_cbranch_execz .LBB355_584
; %bb.579:                              ;   in Loop: Header=BB355_554 Depth=1
	v_bfe_u32 v20, v17, 24, 7
	v_mov_b32_e32 v47, 0x7f800001
	s_mov_b32 s22, exec_lo
	v_cmpx_ne_u32_e32 0x7f, v20
	s_cbranch_execz .LBB355_583
; %bb.580:                              ;   in Loop: Header=BB355_554 Depth=1
	v_and_b32_sdwa v9, v17, v40 dst_sel:DWORD dst_unused:UNUSED_PAD src0_sel:BYTE_3 src1_sel:DWORD
	v_lshrrev_b32_e32 v19, 3, v20
	s_mov_b32 s24, exec_lo
	v_cmpx_gt_u32_e32 8, v20
; %bb.581:                              ;   in Loop: Header=BB355_554 Depth=1
	v_ffbh_u32_e32 v0, v9
	v_min_u32_e32 v0, 32, v0
	v_subrev_nc_u32_e32 v19, 28, v0
	v_lshlrev_b64 v[35:36], v19, v[9:10]
	v_sub_nc_u32_e32 v19, 29, v0
	v_and_b32_e32 v9, 7, v35
; %bb.582:                              ;   in Loop: Header=BB355_554 Depth=1
	s_or_b32 exec_lo, exec_lo, s24
	v_lshlrev_b32_sdwa v0, v41, v17 dst_sel:DWORD dst_unused:UNUSED_PAD src0_sel:DWORD src1_sel:BYTE_3
	v_lshlrev_b32_e32 v9, 20, v9
	v_lshl_add_u32 v19, v19, 23, 0x3c000000
	v_and_b32_e32 v0, 0x80000000, v0
	v_or3_b32 v47, v9, v0, v19
.LBB355_583:                            ;   in Loop: Header=BB355_554 Depth=1
	s_or_b32 exec_lo, exec_lo, s22
.LBB355_584:                            ;   in Loop: Header=BB355_554 Depth=1
	s_or_b32 exec_lo, exec_lo, s21
.LBB355_585:                            ;   in Loop: Header=BB355_554 Depth=1
	s_or_b32 exec_lo, exec_lo, s1
	v_mov_b32_e32 v9, v18
	v_cmp_ne_u16_sdwa s21, v18, v10 src0_sel:BYTE_0 src1_sel:DWORD
	v_mov_b32_e32 v19, 0
	v_mov_b32_e32 v35, 0
	s_and_saveexec_b32 s1, s21
	s_cbranch_execz .LBB355_591
; %bb.586:                              ;   in Loop: Header=BB355_554 Depth=1
	v_cmp_ne_u16_sdwa s22, v18, v26 src0_sel:BYTE_0 src1_sel:DWORD
	v_bfrev_b32_e32 v35, 1
	s_and_saveexec_b32 s21, s22
	s_cbranch_execz .LBB355_590
; %bb.587:                              ;   in Loop: Header=BB355_554 Depth=1
	v_and_b32_e32 v20, 0x7f, v18
	v_mov_b32_e32 v35, 0x7f800001
	s_mov_b32 s22, exec_lo
	v_cmpx_ne_u32_e32 0x7f, v20
	s_cbranch_execz .LBB355_589
; %bb.588:                              ;   in Loop: Header=BB355_554 Depth=1
	v_and_b32_e32 v0, 7, v18
	v_cmp_gt_u32_e32 vcc_lo, 8, v20
	v_lshrrev_b32_e32 v35, 3, v20
	v_ffbh_u32_e32 v0, v0
	v_min_u32_e32 v0, 32, v0
	v_subrev_nc_u32_e32 v36, 28, v0
	v_sub_nc_u32_e32 v0, 29, v0
	v_cndmask_b32_e32 v20, 0, v36, vcc_lo
	v_cndmask_b32_e32 v0, v35, v0, vcc_lo
	v_lshlrev_b64 v[35:36], v20, v[9:10]
	v_lshlrev_b32_e32 v20, 24, v9
	v_lshl_add_u32 v0, v0, 23, 0x3c000000
	v_and_b32_e32 v20, 0x80000000, v20
	v_lshlrev_b32_e32 v35, 20, v35
	v_and_b32_e32 v35, 0x700000, v35
	v_or3_b32 v35, v35, v20, v0
.LBB355_589:                            ;   in Loop: Header=BB355_554 Depth=1
	s_or_b32 exec_lo, exec_lo, s22
.LBB355_590:                            ;   in Loop: Header=BB355_554 Depth=1
	s_or_b32 exec_lo, exec_lo, s21
.LBB355_591:                            ;   in Loop: Header=BB355_554 Depth=1
	s_or_b32 exec_lo, exec_lo, s1
	v_cmp_ne_u16_sdwa s21, v9, v10 src0_sel:BYTE_1 src1_sel:DWORD
	s_and_saveexec_b32 s1, s21
	s_cbranch_execz .LBB355_599
; %bb.592:                              ;   in Loop: Header=BB355_554 Depth=1
	v_cmp_ne_u16_sdwa s22, v9, v26 src0_sel:BYTE_1 src1_sel:DWORD
	v_bfrev_b32_e32 v19, 1
	s_and_saveexec_b32 s21, s22
	s_cbranch_execz .LBB355_598
; %bb.593:                              ;   in Loop: Header=BB355_554 Depth=1
	v_and_b32_sdwa v20, v34, v9 dst_sel:DWORD dst_unused:UNUSED_PAD src0_sel:DWORD src1_sel:BYTE_1
	v_mov_b32_e32 v19, 0x7f800001
	s_mov_b32 s22, exec_lo
	v_and_b32_e32 v37, 0x7f, v20
	v_cmpx_ne_u32_e32 0x7f, v37
	s_cbranch_execz .LBB355_597
; %bb.594:                              ;   in Loop: Header=BB355_554 Depth=1
	v_and_b32_e32 v19, 7, v20
	v_mov_b32_e32 v20, v10
	v_lshrrev_b32_e32 v36, 3, v37
	s_mov_b32 s24, exec_lo
	v_cmpx_gt_u32_e32 8, v37
; %bb.595:                              ;   in Loop: Header=BB355_554 Depth=1
	v_ffbh_u32_e32 v0, v19
	v_min_u32_e32 v0, 32, v0
	v_subrev_nc_u32_e32 v36, 28, v0
	v_lshlrev_b64 v[19:20], v36, v[19:20]
	v_sub_nc_u32_e32 v36, 29, v0
	v_and_b32_e32 v19, 7, v19
; %bb.596:                              ;   in Loop: Header=BB355_554 Depth=1
	s_or_b32 exec_lo, exec_lo, s24
	v_lshlrev_b32_e32 v0, 16, v9
	v_lshlrev_b32_e32 v9, 20, v19
	v_lshl_add_u32 v19, v36, 23, 0x3c000000
	v_and_b32_e32 v0, 0x80000000, v0
	v_or3_b32 v19, v9, v0, v19
.LBB355_597:                            ;   in Loop: Header=BB355_554 Depth=1
	s_or_b32 exec_lo, exec_lo, s22
.LBB355_598:                            ;   in Loop: Header=BB355_554 Depth=1
	s_or_b32 exec_lo, exec_lo, s21
.LBB355_599:                            ;   in Loop: Header=BB355_554 Depth=1
	s_or_b32 exec_lo, exec_lo, s1
	v_and_b32_sdwa v9, v18, v39 dst_sel:DWORD dst_unused:UNUSED_PAD src0_sel:WORD_1 src1_sel:DWORD
	v_mov_b32_e32 v20, 0
	v_mov_b32_e32 v36, 0
	s_mov_b32 s1, exec_lo
	v_cmpx_ne_u16_e32 0, v9
	s_cbranch_execz .LBB355_607
; %bb.600:                              ;   in Loop: Header=BB355_554 Depth=1
	v_bfrev_b32_e32 v36, 1
	s_mov_b32 s21, exec_lo
	v_cmpx_ne_u16_e32 0x80, v9
	s_cbranch_execz .LBB355_606
; %bb.601:                              ;   in Loop: Header=BB355_554 Depth=1
	v_bfe_u32 v37, v18, 16, 7
	v_mov_b32_e32 v36, 0x7f800001
	s_mov_b32 s22, exec_lo
	v_cmpx_ne_u32_e32 0x7f, v37
	s_cbranch_execz .LBB355_605
; %bb.602:                              ;   in Loop: Header=BB355_554 Depth=1
	v_and_b32_sdwa v9, v18, v40 dst_sel:DWORD dst_unused:UNUSED_PAD src0_sel:WORD_1 src1_sel:DWORD
	v_lshrrev_b32_e32 v36, 3, v37
	s_mov_b32 s24, exec_lo
	v_cmpx_gt_u32_e32 8, v37
; %bb.603:                              ;   in Loop: Header=BB355_554 Depth=1
	v_ffbh_u32_e32 v0, v9
	v_min_u32_e32 v0, 32, v0
	v_subrev_nc_u32_e32 v36, 28, v0
	v_lshlrev_b64 v[48:49], v36, v[9:10]
	v_sub_nc_u32_e32 v36, 29, v0
	v_and_b32_e32 v9, 7, v48
; %bb.604:                              ;   in Loop: Header=BB355_554 Depth=1
	s_or_b32 exec_lo, exec_lo, s24
	v_lshlrev_b32_sdwa v0, v41, v18 dst_sel:DWORD dst_unused:UNUSED_PAD src0_sel:DWORD src1_sel:WORD_1
	v_lshlrev_b32_e32 v9, 20, v9
	v_lshl_add_u32 v36, v36, 23, 0x3c000000
	v_and_b32_e32 v0, 0x80000000, v0
	v_or3_b32 v36, v9, v0, v36
.LBB355_605:                            ;   in Loop: Header=BB355_554 Depth=1
	s_or_b32 exec_lo, exec_lo, s22
.LBB355_606:                            ;   in Loop: Header=BB355_554 Depth=1
	s_or_b32 exec_lo, exec_lo, s21
.LBB355_607:                            ;   in Loop: Header=BB355_554 Depth=1
	s_or_b32 exec_lo, exec_lo, s1
	s_mov_b32 s1, exec_lo
	v_cmpx_lt_u64_e64 s[4:5], v[17:18]
	s_cbranch_execz .LBB355_615
; %bb.608:                              ;   in Loop: Header=BB355_554 Depth=1
	v_cmp_ne_u32_sdwa s22, v18, v26 src0_sel:BYTE_3 src1_sel:DWORD
	v_bfrev_b32_e32 v20, 1
	s_and_saveexec_b32 s21, s22
	s_cbranch_execz .LBB355_614
; %bb.609:                              ;   in Loop: Header=BB355_554 Depth=1
	v_bfe_u32 v37, v18, 24, 7
	v_mov_b32_e32 v20, 0x7f800001
	s_mov_b32 s22, exec_lo
	v_cmpx_ne_u32_e32 0x7f, v37
	s_cbranch_execz .LBB355_613
; %bb.610:                              ;   in Loop: Header=BB355_554 Depth=1
	v_and_b32_sdwa v9, v18, v40 dst_sel:DWORD dst_unused:UNUSED_PAD src0_sel:BYTE_3 src1_sel:DWORD
	v_lshrrev_b32_e32 v17, 3, v37
	s_mov_b32 s24, exec_lo
	v_cmpx_gt_u32_e32 8, v37
; %bb.611:                              ;   in Loop: Header=BB355_554 Depth=1
	v_ffbh_u32_e32 v0, v9
	v_min_u32_e32 v0, 32, v0
	v_subrev_nc_u32_e32 v17, 28, v0
	v_lshlrev_b64 v[48:49], v17, v[9:10]
	v_sub_nc_u32_e32 v17, 29, v0
	v_and_b32_e32 v9, 7, v48
; %bb.612:                              ;   in Loop: Header=BB355_554 Depth=1
	s_or_b32 exec_lo, exec_lo, s24
	v_lshlrev_b32_sdwa v0, v41, v18 dst_sel:DWORD dst_unused:UNUSED_PAD src0_sel:DWORD src1_sel:BYTE_3
	v_lshlrev_b32_e32 v9, 20, v9
	v_lshl_add_u32 v17, v17, 23, 0x3c000000
	v_and_b32_e32 v0, 0x80000000, v0
	v_or3_b32 v20, v9, v0, v17
.LBB355_613:                            ;   in Loop: Header=BB355_554 Depth=1
	s_or_b32 exec_lo, exec_lo, s22
.LBB355_614:                            ;   in Loop: Header=BB355_554 Depth=1
	s_or_b32 exec_lo, exec_lo, s21
.LBB355_615:                            ;   in Loop: Header=BB355_554 Depth=1
	s_or_b32 exec_lo, exec_lo, s1
	s_waitcnt lgkmcnt(0)
	v_mul_f32_e32 v0, s18, v19
	v_mul_f32_e32 v9, s18, v35
	;; [unrolled: 1-line block ×5, first 2 shown]
	v_bfe_u32 v18, v0, 16, 1
	v_or_b32_e32 v35, 0x400000, v0
	v_bfe_u32 v37, v9, 16, 1
	v_cmp_u_f32_e64 s1, v0, v0
	v_or_b32_e32 v45, 0x400000, v9
	v_add3_u32 v18, v18, v0, 0x7fff
	v_bfe_u32 v47, v17, 16, 1
	v_add3_u32 v37, v37, v9, 0x7fff
	v_or_b32_e32 v48, 0x400000, v17
	v_add_nc_u32_e32 v52, v33, v38
	v_cndmask_b32_e64 v0, v18, v35, s1
	v_cmp_u_f32_e64 s1, v9, v9
	v_bfe_u32 v18, v19, 16, 1
	v_add3_u32 v35, v47, v17, 0x7fff
	v_cmp_eq_u32_e32 vcc_lo, s33, v25
	v_add_nc_u32_e32 v64, 1, v52
	v_cndmask_b32_e64 v9, v37, v45, s1
	v_cmp_u_f32_e64 s1, v17, v17
	v_lshrrev_b32_e32 v45, 16, v0
	v_mul_f32_e32 v17, s18, v44
	v_add3_u32 v18, v18, v19, 0x7fff
	v_lshrrev_b32_e32 v44, 16, v9
	v_cndmask_b32_e64 v0, v35, v48, s1
	v_or_b32_e32 v35, 0x400000, v19
	v_cmp_u_f32_e64 s1, v19, v19
	v_mul_f32_e32 v19, s18, v36
	v_or_b32_e32 v48, 0x400000, v20
	v_lshrrev_b32_e32 v47, 16, v0
	v_bfe_u32 v0, v17, 16, 1
	v_cndmask_b32_e64 v9, v18, v35, s1
	v_mul_f32_e32 v18, s18, v46
	v_or_b32_e32 v35, 0x400000, v17
	v_cmp_u_f32_e64 s1, v17, v17
	v_add3_u32 v0, v0, v17, 0x7fff
	v_bfe_u32 v37, v19, 16, 1
	v_bfe_u32 v36, v18, 16, 1
	;; [unrolled: 1-line block ×3, first 2 shown]
	v_or_b32_e32 v46, 0x400000, v19
	v_cndmask_b32_e64 v0, v0, v35, s1
	v_cmp_u_f32_e64 s1, v18, v18
	v_add3_u32 v35, v36, v18, 0x7fff
	v_or_b32_e32 v36, 0x400000, v18
	v_add3_u32 v37, v37, v19, 0x7fff
	v_add3_u32 v17, v17, v20, 0x7fff
	v_lshrrev_b32_e32 v49, 16, v9
	v_lshrrev_b32_e32 v51, 16, v0
	v_cndmask_b32_e64 v18, v35, v36, s1
	v_cmp_u_f32_e64 s1, v19, v19
	v_add_nc_u32_e32 v63, 2, v52
	v_add_nc_u32_e32 v62, 3, v52
	;; [unrolled: 1-line block ×3, first 2 shown]
	v_lshrrev_b32_e32 v50, 16, v18
	v_cndmask_b32_e64 v19, v37, v46, s1
	v_cmp_u_f32_e64 s1, v20, v20
	v_add_nc_u32_e32 v60, 5, v52
	v_add_nc_u32_e32 v59, 6, v52
	;; [unrolled: 1-line block ×3, first 2 shown]
	v_lshrrev_b32_e32 v46, 16, v19
	v_cndmask_b32_e64 v17, v17, v48, s1
	v_lshrrev_b32_e32 v48, 16, v17
	s_and_saveexec_b32 s21, vcc_lo
	s_cbranch_execz .LBB355_617
; %bb.616:                              ;   in Loop: Header=BB355_554 Depth=1
	v_cmp_gt_i32_e64 s1, s31, v52
	v_cndmask_b32_e64 v50, 0, v50, s1
	v_cmp_gt_i32_e64 s1, s31, v64
	v_cndmask_b32_e64 v51, 0, v51, s1
	;; [unrolled: 2-line block ×8, first 2 shown]
.LBB355_617:                            ;   in Loop: Header=BB355_554 Depth=1
	s_or_b32 exec_lo, exec_lo, s21
	global_load_dwordx2 v[17:18], v[15:16], off offset:256
	v_mov_b32_e32 v54, 0
	v_mov_b32_e32 v55, 0
	s_waitcnt vmcnt(0)
	v_cmp_ne_u16_sdwa s1, v17, v10 src0_sel:BYTE_0 src1_sel:DWORD
	s_and_saveexec_b32 s21, s1
	s_cbranch_execz .LBB355_623
; %bb.618:                              ;   in Loop: Header=BB355_554 Depth=1
	v_cmp_ne_u16_sdwa s1, v17, v26 src0_sel:BYTE_0 src1_sel:DWORD
	v_bfrev_b32_e32 v55, 1
	s_and_saveexec_b32 s22, s1
	s_cbranch_execz .LBB355_622
; %bb.619:                              ;   in Loop: Header=BB355_554 Depth=1
	v_and_b32_e32 v9, 0x7f, v17
	v_mov_b32_e32 v55, 0x7f800001
	s_mov_b32 s24, exec_lo
	v_cmpx_ne_u32_e32 0x7f, v9
	s_cbranch_execz .LBB355_621
; %bb.620:                              ;   in Loop: Header=BB355_554 Depth=1
	v_and_b32_e32 v0, 7, v17
	v_cmp_gt_u32_e64 s1, 8, v9
	v_lshrrev_b32_e32 v19, 3, v9
	v_ffbh_u32_e32 v0, v0
	v_min_u32_e32 v0, 32, v0
	v_subrev_nc_u32_e32 v20, 28, v0
	v_sub_nc_u32_e32 v0, 29, v0
	v_cndmask_b32_e64 v9, 0, v20, s1
	v_cndmask_b32_e64 v0, v19, v0, s1
	v_lshlrev_b64 v[19:20], v9, v[17:18]
	v_lshlrev_b32_e32 v9, 24, v17
	v_lshl_add_u32 v0, v0, 23, 0x3c000000
	v_and_b32_e32 v9, 0x80000000, v9
	v_lshlrev_b32_e32 v19, 20, v19
	v_and_b32_e32 v19, 0x700000, v19
	v_or3_b32 v55, v19, v9, v0
.LBB355_621:                            ;   in Loop: Header=BB355_554 Depth=1
	s_or_b32 exec_lo, exec_lo, s24
.LBB355_622:                            ;   in Loop: Header=BB355_554 Depth=1
	s_or_b32 exec_lo, exec_lo, s22
.LBB355_623:                            ;   in Loop: Header=BB355_554 Depth=1
	s_or_b32 exec_lo, exec_lo, s21
	v_cmp_ne_u16_sdwa s1, v17, v10 src0_sel:BYTE_1 src1_sel:DWORD
	s_and_saveexec_b32 s21, s1
	s_cbranch_execz .LBB355_631
; %bb.624:                              ;   in Loop: Header=BB355_554 Depth=1
	v_cmp_ne_u16_sdwa s1, v17, v26 src0_sel:BYTE_1 src1_sel:DWORD
	v_bfrev_b32_e32 v54, 1
	s_and_saveexec_b32 s22, s1
	s_cbranch_execz .LBB355_630
; %bb.625:                              ;   in Loop: Header=BB355_554 Depth=1
	v_and_b32_sdwa v9, v34, v17 dst_sel:DWORD dst_unused:UNUSED_PAD src0_sel:DWORD src1_sel:BYTE_1
	v_mov_b32_e32 v54, 0x7f800001
	s_mov_b32 s24, exec_lo
	v_and_b32_e32 v20, 0x7f, v9
	v_cmpx_ne_u32_e32 0x7f, v20
	s_cbranch_execz .LBB355_629
; %bb.626:                              ;   in Loop: Header=BB355_554 Depth=1
	v_and_b32_e32 v9, 7, v9
	v_lshrrev_b32_e32 v19, 3, v20
	s_mov_b32 s25, exec_lo
	v_cmpx_gt_u32_e32 8, v20
; %bb.627:                              ;   in Loop: Header=BB355_554 Depth=1
	v_ffbh_u32_e32 v0, v9
	v_min_u32_e32 v0, 32, v0
	v_subrev_nc_u32_e32 v19, 28, v0
	v_lshlrev_b64 v[35:36], v19, v[9:10]
	v_sub_nc_u32_e32 v19, 29, v0
	v_and_b32_e32 v9, 7, v35
; %bb.628:                              ;   in Loop: Header=BB355_554 Depth=1
	s_or_b32 exec_lo, exec_lo, s25
	v_lshlrev_b32_e32 v0, 16, v17
	v_lshlrev_b32_e32 v9, 20, v9
	v_lshl_add_u32 v19, v19, 23, 0x3c000000
	v_and_b32_e32 v0, 0x80000000, v0
	v_or3_b32 v54, v9, v0, v19
.LBB355_629:                            ;   in Loop: Header=BB355_554 Depth=1
	s_or_b32 exec_lo, exec_lo, s24
.LBB355_630:                            ;   in Loop: Header=BB355_554 Depth=1
	s_or_b32 exec_lo, exec_lo, s22
.LBB355_631:                            ;   in Loop: Header=BB355_554 Depth=1
	s_or_b32 exec_lo, exec_lo, s21
	v_and_b32_sdwa v9, v17, v39 dst_sel:DWORD dst_unused:UNUSED_PAD src0_sel:WORD_1 src1_sel:DWORD
	v_mov_b32_e32 v56, 0
	v_mov_b32_e32 v53, 0
	s_mov_b32 s21, exec_lo
	v_cmpx_ne_u16_e32 0, v9
	s_cbranch_execz .LBB355_639
; %bb.632:                              ;   in Loop: Header=BB355_554 Depth=1
	v_bfrev_b32_e32 v53, 1
	s_mov_b32 s22, exec_lo
	v_cmpx_ne_u16_e32 0x80, v9
	s_cbranch_execz .LBB355_638
; %bb.633:                              ;   in Loop: Header=BB355_554 Depth=1
	v_bfe_u32 v20, v17, 16, 7
	v_mov_b32_e32 v53, 0x7f800001
	s_mov_b32 s24, exec_lo
	v_cmpx_ne_u32_e32 0x7f, v20
	s_cbranch_execz .LBB355_637
; %bb.634:                              ;   in Loop: Header=BB355_554 Depth=1
	v_and_b32_sdwa v9, v17, v40 dst_sel:DWORD dst_unused:UNUSED_PAD src0_sel:WORD_1 src1_sel:DWORD
	v_lshrrev_b32_e32 v19, 3, v20
	s_mov_b32 s25, exec_lo
	v_cmpx_gt_u32_e32 8, v20
; %bb.635:                              ;   in Loop: Header=BB355_554 Depth=1
	v_ffbh_u32_e32 v0, v9
	v_min_u32_e32 v0, 32, v0
	v_subrev_nc_u32_e32 v19, 28, v0
	v_lshlrev_b64 v[35:36], v19, v[9:10]
	v_sub_nc_u32_e32 v19, 29, v0
	v_and_b32_e32 v9, 7, v35
; %bb.636:                              ;   in Loop: Header=BB355_554 Depth=1
	s_or_b32 exec_lo, exec_lo, s25
	v_lshlrev_b32_sdwa v0, v41, v17 dst_sel:DWORD dst_unused:UNUSED_PAD src0_sel:DWORD src1_sel:WORD_1
	v_lshlrev_b32_e32 v9, 20, v9
	v_lshl_add_u32 v19, v19, 23, 0x3c000000
	v_and_b32_e32 v0, 0x80000000, v0
	v_or3_b32 v53, v9, v0, v19
.LBB355_637:                            ;   in Loop: Header=BB355_554 Depth=1
	s_or_b32 exec_lo, exec_lo, s24
.LBB355_638:                            ;   in Loop: Header=BB355_554 Depth=1
	s_or_b32 exec_lo, exec_lo, s22
.LBB355_639:                            ;   in Loop: Header=BB355_554 Depth=1
	s_or_b32 exec_lo, exec_lo, s21
	s_mov_b32 s21, exec_lo
	v_cmpx_lt_u32_e32 0xffffff, v17
	s_cbranch_execz .LBB355_647
; %bb.640:                              ;   in Loop: Header=BB355_554 Depth=1
	v_cmp_ne_u32_sdwa s1, v17, v26 src0_sel:BYTE_3 src1_sel:DWORD
	v_bfrev_b32_e32 v56, 1
	s_and_saveexec_b32 s22, s1
	s_cbranch_execz .LBB355_646
; %bb.641:                              ;   in Loop: Header=BB355_554 Depth=1
	v_bfe_u32 v20, v17, 24, 7
	v_mov_b32_e32 v56, 0x7f800001
	s_mov_b32 s24, exec_lo
	v_cmpx_ne_u32_e32 0x7f, v20
	s_cbranch_execz .LBB355_645
; %bb.642:                              ;   in Loop: Header=BB355_554 Depth=1
	v_and_b32_sdwa v9, v17, v40 dst_sel:DWORD dst_unused:UNUSED_PAD src0_sel:BYTE_3 src1_sel:DWORD
	v_lshrrev_b32_e32 v19, 3, v20
	s_mov_b32 s25, exec_lo
	v_cmpx_gt_u32_e32 8, v20
; %bb.643:                              ;   in Loop: Header=BB355_554 Depth=1
	v_ffbh_u32_e32 v0, v9
	v_min_u32_e32 v0, 32, v0
	v_subrev_nc_u32_e32 v19, 28, v0
	v_lshlrev_b64 v[35:36], v19, v[9:10]
	v_sub_nc_u32_e32 v19, 29, v0
	v_and_b32_e32 v9, 7, v35
; %bb.644:                              ;   in Loop: Header=BB355_554 Depth=1
	s_or_b32 exec_lo, exec_lo, s25
	v_lshlrev_b32_sdwa v0, v41, v17 dst_sel:DWORD dst_unused:UNUSED_PAD src0_sel:DWORD src1_sel:BYTE_3
	v_lshlrev_b32_e32 v9, 20, v9
	v_lshl_add_u32 v19, v19, 23, 0x3c000000
	v_and_b32_e32 v0, 0x80000000, v0
	v_or3_b32 v56, v9, v0, v19
.LBB355_645:                            ;   in Loop: Header=BB355_554 Depth=1
	s_or_b32 exec_lo, exec_lo, s24
.LBB355_646:                            ;   in Loop: Header=BB355_554 Depth=1
	s_or_b32 exec_lo, exec_lo, s22
.LBB355_647:                            ;   in Loop: Header=BB355_554 Depth=1
	s_or_b32 exec_lo, exec_lo, s21
	v_mov_b32_e32 v9, v18
	v_cmp_ne_u16_sdwa s1, v18, v10 src0_sel:BYTE_0 src1_sel:DWORD
	v_mov_b32_e32 v19, 0
	v_mov_b32_e32 v35, 0
	s_and_saveexec_b32 s21, s1
	s_cbranch_execz .LBB355_653
; %bb.648:                              ;   in Loop: Header=BB355_554 Depth=1
	v_cmp_ne_u16_sdwa s1, v18, v26 src0_sel:BYTE_0 src1_sel:DWORD
	v_bfrev_b32_e32 v35, 1
	s_and_saveexec_b32 s22, s1
	s_cbranch_execz .LBB355_652
; %bb.649:                              ;   in Loop: Header=BB355_554 Depth=1
	v_and_b32_e32 v20, 0x7f, v18
	v_mov_b32_e32 v35, 0x7f800001
	s_mov_b32 s24, exec_lo
	v_cmpx_ne_u32_e32 0x7f, v20
	s_cbranch_execz .LBB355_651
; %bb.650:                              ;   in Loop: Header=BB355_554 Depth=1
	v_and_b32_e32 v0, 7, v18
	v_cmp_gt_u32_e64 s1, 8, v20
	v_lshrrev_b32_e32 v35, 3, v20
	v_ffbh_u32_e32 v0, v0
	v_min_u32_e32 v0, 32, v0
	v_subrev_nc_u32_e32 v36, 28, v0
	v_sub_nc_u32_e32 v0, 29, v0
	v_cndmask_b32_e64 v20, 0, v36, s1
	v_cndmask_b32_e64 v0, v35, v0, s1
	v_lshlrev_b64 v[35:36], v20, v[9:10]
	v_lshlrev_b32_e32 v20, 24, v9
	v_lshl_add_u32 v0, v0, 23, 0x3c000000
	v_and_b32_e32 v20, 0x80000000, v20
	v_lshlrev_b32_e32 v35, 20, v35
	v_and_b32_e32 v35, 0x700000, v35
	v_or3_b32 v35, v35, v20, v0
.LBB355_651:                            ;   in Loop: Header=BB355_554 Depth=1
	s_or_b32 exec_lo, exec_lo, s24
.LBB355_652:                            ;   in Loop: Header=BB355_554 Depth=1
	s_or_b32 exec_lo, exec_lo, s22
.LBB355_653:                            ;   in Loop: Header=BB355_554 Depth=1
	s_or_b32 exec_lo, exec_lo, s21
	v_cmp_ne_u16_sdwa s1, v9, v10 src0_sel:BYTE_1 src1_sel:DWORD
	s_and_saveexec_b32 s21, s1
	s_cbranch_execz .LBB355_661
; %bb.654:                              ;   in Loop: Header=BB355_554 Depth=1
	v_cmp_ne_u16_sdwa s1, v9, v26 src0_sel:BYTE_1 src1_sel:DWORD
	v_bfrev_b32_e32 v19, 1
	s_and_saveexec_b32 s22, s1
	s_cbranch_execz .LBB355_660
; %bb.655:                              ;   in Loop: Header=BB355_554 Depth=1
	v_and_b32_sdwa v20, v34, v9 dst_sel:DWORD dst_unused:UNUSED_PAD src0_sel:DWORD src1_sel:BYTE_1
	v_mov_b32_e32 v19, 0x7f800001
	s_mov_b32 s24, exec_lo
	v_and_b32_e32 v37, 0x7f, v20
	v_cmpx_ne_u32_e32 0x7f, v37
	s_cbranch_execz .LBB355_659
; %bb.656:                              ;   in Loop: Header=BB355_554 Depth=1
	v_and_b32_e32 v19, 7, v20
	v_mov_b32_e32 v20, v10
	v_lshrrev_b32_e32 v36, 3, v37
	s_mov_b32 s25, exec_lo
	v_cmpx_gt_u32_e32 8, v37
; %bb.657:                              ;   in Loop: Header=BB355_554 Depth=1
	v_ffbh_u32_e32 v0, v19
	v_min_u32_e32 v0, 32, v0
	v_subrev_nc_u32_e32 v36, 28, v0
	v_lshlrev_b64 v[19:20], v36, v[19:20]
	v_sub_nc_u32_e32 v36, 29, v0
	v_and_b32_e32 v19, 7, v19
; %bb.658:                              ;   in Loop: Header=BB355_554 Depth=1
	s_or_b32 exec_lo, exec_lo, s25
	v_lshlrev_b32_e32 v0, 16, v9
	v_lshlrev_b32_e32 v9, 20, v19
	v_lshl_add_u32 v19, v36, 23, 0x3c000000
	v_and_b32_e32 v0, 0x80000000, v0
	v_or3_b32 v19, v9, v0, v19
.LBB355_659:                            ;   in Loop: Header=BB355_554 Depth=1
	s_or_b32 exec_lo, exec_lo, s24
.LBB355_660:                            ;   in Loop: Header=BB355_554 Depth=1
	s_or_b32 exec_lo, exec_lo, s22
.LBB355_661:                            ;   in Loop: Header=BB355_554 Depth=1
	s_or_b32 exec_lo, exec_lo, s21
	v_and_b32_sdwa v9, v18, v39 dst_sel:DWORD dst_unused:UNUSED_PAD src0_sel:WORD_1 src1_sel:DWORD
	v_mov_b32_e32 v20, 0
	v_mov_b32_e32 v36, 0
	s_mov_b32 s21, exec_lo
	v_cmpx_ne_u16_e32 0, v9
	s_cbranch_execz .LBB355_669
; %bb.662:                              ;   in Loop: Header=BB355_554 Depth=1
	v_bfrev_b32_e32 v36, 1
	s_mov_b32 s22, exec_lo
	v_cmpx_ne_u16_e32 0x80, v9
	s_cbranch_execz .LBB355_668
; %bb.663:                              ;   in Loop: Header=BB355_554 Depth=1
	v_bfe_u32 v37, v18, 16, 7
	v_mov_b32_e32 v36, 0x7f800001
	s_mov_b32 s24, exec_lo
	v_cmpx_ne_u32_e32 0x7f, v37
	s_cbranch_execz .LBB355_667
; %bb.664:                              ;   in Loop: Header=BB355_554 Depth=1
	v_and_b32_sdwa v9, v18, v40 dst_sel:DWORD dst_unused:UNUSED_PAD src0_sel:WORD_1 src1_sel:DWORD
	v_lshrrev_b32_e32 v36, 3, v37
	s_mov_b32 s25, exec_lo
	v_cmpx_gt_u32_e32 8, v37
; %bb.665:                              ;   in Loop: Header=BB355_554 Depth=1
	v_ffbh_u32_e32 v0, v9
	v_min_u32_e32 v0, 32, v0
	v_subrev_nc_u32_e32 v36, 28, v0
	v_lshlrev_b64 v[65:66], v36, v[9:10]
	v_sub_nc_u32_e32 v36, 29, v0
	v_and_b32_e32 v9, 7, v65
; %bb.666:                              ;   in Loop: Header=BB355_554 Depth=1
	s_or_b32 exec_lo, exec_lo, s25
	v_lshlrev_b32_sdwa v0, v41, v18 dst_sel:DWORD dst_unused:UNUSED_PAD src0_sel:DWORD src1_sel:WORD_1
	v_lshlrev_b32_e32 v9, 20, v9
	v_lshl_add_u32 v36, v36, 23, 0x3c000000
	v_and_b32_e32 v0, 0x80000000, v0
	v_or3_b32 v36, v9, v0, v36
.LBB355_667:                            ;   in Loop: Header=BB355_554 Depth=1
	s_or_b32 exec_lo, exec_lo, s24
.LBB355_668:                            ;   in Loop: Header=BB355_554 Depth=1
	s_or_b32 exec_lo, exec_lo, s22
.LBB355_669:                            ;   in Loop: Header=BB355_554 Depth=1
	s_or_b32 exec_lo, exec_lo, s21
	s_mov_b32 s21, exec_lo
	v_cmpx_lt_u64_e64 s[4:5], v[17:18]
	s_cbranch_execz .LBB355_677
; %bb.670:                              ;   in Loop: Header=BB355_554 Depth=1
	v_cmp_ne_u32_sdwa s1, v18, v26 src0_sel:BYTE_3 src1_sel:DWORD
	v_bfrev_b32_e32 v20, 1
	s_and_saveexec_b32 s22, s1
	s_cbranch_execz .LBB355_676
; %bb.671:                              ;   in Loop: Header=BB355_554 Depth=1
	v_bfe_u32 v37, v18, 24, 7
	v_mov_b32_e32 v20, 0x7f800001
	s_mov_b32 s24, exec_lo
	v_cmpx_ne_u32_e32 0x7f, v37
	s_cbranch_execz .LBB355_675
; %bb.672:                              ;   in Loop: Header=BB355_554 Depth=1
	v_and_b32_sdwa v9, v18, v40 dst_sel:DWORD dst_unused:UNUSED_PAD src0_sel:BYTE_3 src1_sel:DWORD
	v_lshrrev_b32_e32 v17, 3, v37
	s_mov_b32 s25, exec_lo
	v_cmpx_gt_u32_e32 8, v37
; %bb.673:                              ;   in Loop: Header=BB355_554 Depth=1
	v_ffbh_u32_e32 v0, v9
	v_min_u32_e32 v0, 32, v0
	v_subrev_nc_u32_e32 v17, 28, v0
	v_lshlrev_b64 v[65:66], v17, v[9:10]
	v_sub_nc_u32_e32 v17, 29, v0
	v_and_b32_e32 v9, 7, v65
; %bb.674:                              ;   in Loop: Header=BB355_554 Depth=1
	s_or_b32 exec_lo, exec_lo, s25
	v_lshlrev_b32_sdwa v0, v41, v18 dst_sel:DWORD dst_unused:UNUSED_PAD src0_sel:DWORD src1_sel:BYTE_3
	v_lshlrev_b32_e32 v9, 20, v9
	v_lshl_add_u32 v17, v17, 23, 0x3c000000
	v_and_b32_e32 v0, 0x80000000, v0
	v_or3_b32 v20, v9, v0, v17
.LBB355_675:                            ;   in Loop: Header=BB355_554 Depth=1
	s_or_b32 exec_lo, exec_lo, s24
.LBB355_676:                            ;   in Loop: Header=BB355_554 Depth=1
	s_or_b32 exec_lo, exec_lo, s22
.LBB355_677:                            ;   in Loop: Header=BB355_554 Depth=1
	s_or_b32 exec_lo, exec_lo, s21
	v_mul_f32_e32 v0, s18, v19
	v_mul_f32_e32 v9, s18, v35
	;; [unrolled: 1-line block ×5, first 2 shown]
	v_bfe_u32 v19, v0, 16, 1
	v_or_b32_e32 v35, 0x400000, v0
	v_bfe_u32 v37, v9, 16, 1
	v_cmp_u_f32_e64 s1, v0, v0
	v_or_b32_e32 v53, 0x400000, v9
	v_add3_u32 v19, v19, v0, 0x7fff
	v_bfe_u32 v56, v17, 16, 1
	v_add3_u32 v37, v37, v9, 0x7fff
	v_or_b32_e32 v57, 0x400000, v17
	v_bfe_u32 v65, v18, 16, 1
	v_cndmask_b32_e64 v0, v19, v35, s1
	v_cmp_u_f32_e64 s1, v9, v9
	v_add3_u32 v56, v56, v17, 0x7fff
	v_or_b32_e32 v35, 0x400000, v18
	v_add3_u32 v19, v65, v18, 0x7fff
	v_cndmask_b32_e64 v9, v37, v53, s1
	v_cmp_u_f32_e64 s1, v17, v17
	v_lshrrev_b32_e32 v53, 16, v0
	v_mul_f32_e32 v0, s18, v54
	v_lshrrev_b32_e32 v54, 16, v9
	v_cndmask_b32_e64 v17, v56, v57, s1
	v_cmp_u_f32_e64 s1, v18, v18
	v_bfe_u32 v9, v0, 16, 1
	v_mul_f32_e32 v18, s18, v55
	v_or_b32_e32 v57, 0x400000, v20
	v_lshrrev_b32_e32 v56, 16, v17
	v_cndmask_b32_e64 v17, v19, v35, s1
	v_mul_f32_e32 v19, s18, v36
	v_add3_u32 v9, v9, v0, 0x7fff
	v_or_b32_e32 v35, 0x400000, v0
	v_bfe_u32 v36, v18, 16, 1
	v_cmp_u_f32_e64 s1, v0, v0
	v_bfe_u32 v37, v19, 16, 1
	v_or_b32_e32 v55, 0x400000, v19
	v_lshrrev_b32_e32 v65, 16, v17
	v_cndmask_b32_e64 v0, v9, v35, s1
	v_add3_u32 v35, v36, v18, 0x7fff
	v_or_b32_e32 v36, 0x400000, v18
	v_cmp_u_f32_e64 s1, v18, v18
	v_bfe_u32 v9, v20, 16, 1
	v_add3_u32 v37, v37, v19, 0x7fff
	v_lshrrev_b32_e32 v67, 16, v0
	v_cndmask_b32_e64 v18, v35, v36, s1
	v_cmp_u_f32_e64 s1, v19, v19
	v_add3_u32 v9, v9, v20, 0x7fff
	v_lshrrev_b32_e32 v66, 16, v18
	v_cndmask_b32_e64 v19, v37, v55, s1
	v_cmp_u_f32_e64 s1, v20, v20
	v_lshrrev_b32_e32 v55, 16, v19
	v_cndmask_b32_e64 v9, v9, v57, s1
	v_lshrrev_b32_e32 v57, 16, v9
	s_and_saveexec_b32 s21, vcc_lo
	s_cbranch_execz .LBB355_679
; %bb.678:                              ;   in Loop: Header=BB355_554 Depth=1
	v_cmp_gt_i32_e64 s1, s31, v52
	v_cndmask_b32_e64 v66, 0, v66, s1
	v_cmp_gt_i32_e64 s1, s31, v64
	v_cndmask_b32_e64 v67, 0, v67, s1
	;; [unrolled: 2-line block ×8, first 2 shown]
.LBB355_679:                            ;   in Loop: Header=BB355_554 Depth=1
	s_or_b32 exec_lo, exec_lo, s21
	global_load_dwordx2 v[17:18], v[15:16], off offset:512
	v_mov_b32_e32 v69, 0
	v_mov_b32_e32 v70, 0
	s_waitcnt vmcnt(0)
	v_cmp_ne_u16_sdwa s1, v17, v10 src0_sel:BYTE_0 src1_sel:DWORD
	s_and_saveexec_b32 s21, s1
	s_cbranch_execz .LBB355_685
; %bb.680:                              ;   in Loop: Header=BB355_554 Depth=1
	v_cmp_ne_u16_sdwa s1, v17, v26 src0_sel:BYTE_0 src1_sel:DWORD
	v_bfrev_b32_e32 v70, 1
	s_and_saveexec_b32 s22, s1
	s_cbranch_execz .LBB355_684
; %bb.681:                              ;   in Loop: Header=BB355_554 Depth=1
	v_and_b32_e32 v9, 0x7f, v17
	v_mov_b32_e32 v70, 0x7f800001
	s_mov_b32 s24, exec_lo
	v_cmpx_ne_u32_e32 0x7f, v9
	s_cbranch_execz .LBB355_683
; %bb.682:                              ;   in Loop: Header=BB355_554 Depth=1
	v_and_b32_e32 v0, 7, v17
	v_cmp_gt_u32_e64 s1, 8, v9
	v_lshrrev_b32_e32 v19, 3, v9
	v_ffbh_u32_e32 v0, v0
	v_min_u32_e32 v0, 32, v0
	v_subrev_nc_u32_e32 v20, 28, v0
	v_sub_nc_u32_e32 v0, 29, v0
	v_cndmask_b32_e64 v9, 0, v20, s1
	v_cndmask_b32_e64 v0, v19, v0, s1
	v_lshlrev_b64 v[19:20], v9, v[17:18]
	v_lshlrev_b32_e32 v9, 24, v17
	v_lshl_add_u32 v0, v0, 23, 0x3c000000
	v_and_b32_e32 v9, 0x80000000, v9
	v_lshlrev_b32_e32 v19, 20, v19
	v_and_b32_e32 v19, 0x700000, v19
	v_or3_b32 v70, v19, v9, v0
.LBB355_683:                            ;   in Loop: Header=BB355_554 Depth=1
	s_or_b32 exec_lo, exec_lo, s24
.LBB355_684:                            ;   in Loop: Header=BB355_554 Depth=1
	s_or_b32 exec_lo, exec_lo, s22
.LBB355_685:                            ;   in Loop: Header=BB355_554 Depth=1
	s_or_b32 exec_lo, exec_lo, s21
	v_cmp_ne_u16_sdwa s1, v17, v10 src0_sel:BYTE_1 src1_sel:DWORD
	s_and_saveexec_b32 s21, s1
	s_cbranch_execz .LBB355_693
; %bb.686:                              ;   in Loop: Header=BB355_554 Depth=1
	v_cmp_ne_u16_sdwa s1, v17, v26 src0_sel:BYTE_1 src1_sel:DWORD
	v_bfrev_b32_e32 v69, 1
	s_and_saveexec_b32 s22, s1
	s_cbranch_execz .LBB355_692
; %bb.687:                              ;   in Loop: Header=BB355_554 Depth=1
	v_and_b32_sdwa v9, v34, v17 dst_sel:DWORD dst_unused:UNUSED_PAD src0_sel:DWORD src1_sel:BYTE_1
	v_mov_b32_e32 v69, 0x7f800001
	s_mov_b32 s24, exec_lo
	v_and_b32_e32 v20, 0x7f, v9
	v_cmpx_ne_u32_e32 0x7f, v20
	s_cbranch_execz .LBB355_691
; %bb.688:                              ;   in Loop: Header=BB355_554 Depth=1
	v_and_b32_e32 v9, 7, v9
	v_lshrrev_b32_e32 v19, 3, v20
	s_mov_b32 s25, exec_lo
	v_cmpx_gt_u32_e32 8, v20
; %bb.689:                              ;   in Loop: Header=BB355_554 Depth=1
	v_ffbh_u32_e32 v0, v9
	v_min_u32_e32 v0, 32, v0
	v_subrev_nc_u32_e32 v19, 28, v0
	v_lshlrev_b64 v[35:36], v19, v[9:10]
	v_sub_nc_u32_e32 v19, 29, v0
	v_and_b32_e32 v9, 7, v35
; %bb.690:                              ;   in Loop: Header=BB355_554 Depth=1
	s_or_b32 exec_lo, exec_lo, s25
	v_lshlrev_b32_e32 v0, 16, v17
	v_lshlrev_b32_e32 v9, 20, v9
	v_lshl_add_u32 v19, v19, 23, 0x3c000000
	v_and_b32_e32 v0, 0x80000000, v0
	v_or3_b32 v69, v9, v0, v19
.LBB355_691:                            ;   in Loop: Header=BB355_554 Depth=1
	s_or_b32 exec_lo, exec_lo, s24
.LBB355_692:                            ;   in Loop: Header=BB355_554 Depth=1
	s_or_b32 exec_lo, exec_lo, s22
.LBB355_693:                            ;   in Loop: Header=BB355_554 Depth=1
	s_or_b32 exec_lo, exec_lo, s21
	v_and_b32_sdwa v9, v17, v39 dst_sel:DWORD dst_unused:UNUSED_PAD src0_sel:WORD_1 src1_sel:DWORD
	v_mov_b32_e32 v71, 0
	v_mov_b32_e32 v68, 0
	s_mov_b32 s21, exec_lo
	v_cmpx_ne_u16_e32 0, v9
	s_cbranch_execz .LBB355_701
; %bb.694:                              ;   in Loop: Header=BB355_554 Depth=1
	v_bfrev_b32_e32 v68, 1
	s_mov_b32 s22, exec_lo
	v_cmpx_ne_u16_e32 0x80, v9
	s_cbranch_execz .LBB355_700
; %bb.695:                              ;   in Loop: Header=BB355_554 Depth=1
	v_bfe_u32 v20, v17, 16, 7
	v_mov_b32_e32 v68, 0x7f800001
	s_mov_b32 s24, exec_lo
	v_cmpx_ne_u32_e32 0x7f, v20
	s_cbranch_execz .LBB355_699
; %bb.696:                              ;   in Loop: Header=BB355_554 Depth=1
	v_and_b32_sdwa v9, v17, v40 dst_sel:DWORD dst_unused:UNUSED_PAD src0_sel:WORD_1 src1_sel:DWORD
	v_lshrrev_b32_e32 v19, 3, v20
	s_mov_b32 s25, exec_lo
	v_cmpx_gt_u32_e32 8, v20
; %bb.697:                              ;   in Loop: Header=BB355_554 Depth=1
	v_ffbh_u32_e32 v0, v9
	v_min_u32_e32 v0, 32, v0
	v_subrev_nc_u32_e32 v19, 28, v0
	v_lshlrev_b64 v[35:36], v19, v[9:10]
	v_sub_nc_u32_e32 v19, 29, v0
	v_and_b32_e32 v9, 7, v35
; %bb.698:                              ;   in Loop: Header=BB355_554 Depth=1
	s_or_b32 exec_lo, exec_lo, s25
	v_lshlrev_b32_sdwa v0, v41, v17 dst_sel:DWORD dst_unused:UNUSED_PAD src0_sel:DWORD src1_sel:WORD_1
	v_lshlrev_b32_e32 v9, 20, v9
	v_lshl_add_u32 v19, v19, 23, 0x3c000000
	v_and_b32_e32 v0, 0x80000000, v0
	v_or3_b32 v68, v9, v0, v19
.LBB355_699:                            ;   in Loop: Header=BB355_554 Depth=1
	s_or_b32 exec_lo, exec_lo, s24
.LBB355_700:                            ;   in Loop: Header=BB355_554 Depth=1
	s_or_b32 exec_lo, exec_lo, s22
.LBB355_701:                            ;   in Loop: Header=BB355_554 Depth=1
	s_or_b32 exec_lo, exec_lo, s21
	s_mov_b32 s21, exec_lo
	v_cmpx_lt_u32_e32 0xffffff, v17
	s_cbranch_execz .LBB355_709
; %bb.702:                              ;   in Loop: Header=BB355_554 Depth=1
	v_cmp_ne_u32_sdwa s1, v17, v26 src0_sel:BYTE_3 src1_sel:DWORD
	v_bfrev_b32_e32 v71, 1
	s_and_saveexec_b32 s22, s1
	s_cbranch_execz .LBB355_708
; %bb.703:                              ;   in Loop: Header=BB355_554 Depth=1
	v_bfe_u32 v20, v17, 24, 7
	v_mov_b32_e32 v71, 0x7f800001
	s_mov_b32 s24, exec_lo
	v_cmpx_ne_u32_e32 0x7f, v20
	s_cbranch_execz .LBB355_707
; %bb.704:                              ;   in Loop: Header=BB355_554 Depth=1
	v_and_b32_sdwa v9, v17, v40 dst_sel:DWORD dst_unused:UNUSED_PAD src0_sel:BYTE_3 src1_sel:DWORD
	v_lshrrev_b32_e32 v19, 3, v20
	s_mov_b32 s25, exec_lo
	v_cmpx_gt_u32_e32 8, v20
; %bb.705:                              ;   in Loop: Header=BB355_554 Depth=1
	v_ffbh_u32_e32 v0, v9
	v_min_u32_e32 v0, 32, v0
	v_subrev_nc_u32_e32 v19, 28, v0
	v_lshlrev_b64 v[35:36], v19, v[9:10]
	v_sub_nc_u32_e32 v19, 29, v0
	v_and_b32_e32 v9, 7, v35
; %bb.706:                              ;   in Loop: Header=BB355_554 Depth=1
	s_or_b32 exec_lo, exec_lo, s25
	v_lshlrev_b32_sdwa v0, v41, v17 dst_sel:DWORD dst_unused:UNUSED_PAD src0_sel:DWORD src1_sel:BYTE_3
	v_lshlrev_b32_e32 v9, 20, v9
	v_lshl_add_u32 v19, v19, 23, 0x3c000000
	v_and_b32_e32 v0, 0x80000000, v0
	v_or3_b32 v71, v9, v0, v19
.LBB355_707:                            ;   in Loop: Header=BB355_554 Depth=1
	s_or_b32 exec_lo, exec_lo, s24
.LBB355_708:                            ;   in Loop: Header=BB355_554 Depth=1
	s_or_b32 exec_lo, exec_lo, s22
.LBB355_709:                            ;   in Loop: Header=BB355_554 Depth=1
	s_or_b32 exec_lo, exec_lo, s21
	v_mov_b32_e32 v9, v18
	v_cmp_ne_u16_sdwa s1, v18, v10 src0_sel:BYTE_0 src1_sel:DWORD
	v_mov_b32_e32 v19, 0
	v_mov_b32_e32 v35, 0
	s_and_saveexec_b32 s21, s1
	s_cbranch_execz .LBB355_715
; %bb.710:                              ;   in Loop: Header=BB355_554 Depth=1
	v_cmp_ne_u16_sdwa s1, v18, v26 src0_sel:BYTE_0 src1_sel:DWORD
	v_bfrev_b32_e32 v35, 1
	s_and_saveexec_b32 s22, s1
	s_cbranch_execz .LBB355_714
; %bb.711:                              ;   in Loop: Header=BB355_554 Depth=1
	v_and_b32_e32 v20, 0x7f, v18
	v_mov_b32_e32 v35, 0x7f800001
	s_mov_b32 s24, exec_lo
	v_cmpx_ne_u32_e32 0x7f, v20
	s_cbranch_execz .LBB355_713
; %bb.712:                              ;   in Loop: Header=BB355_554 Depth=1
	v_and_b32_e32 v0, 7, v18
	v_cmp_gt_u32_e64 s1, 8, v20
	v_lshrrev_b32_e32 v35, 3, v20
	v_ffbh_u32_e32 v0, v0
	v_min_u32_e32 v0, 32, v0
	v_subrev_nc_u32_e32 v36, 28, v0
	v_sub_nc_u32_e32 v0, 29, v0
	v_cndmask_b32_e64 v20, 0, v36, s1
	v_cndmask_b32_e64 v0, v35, v0, s1
	v_lshlrev_b64 v[35:36], v20, v[9:10]
	v_lshlrev_b32_e32 v20, 24, v9
	v_lshl_add_u32 v0, v0, 23, 0x3c000000
	v_and_b32_e32 v20, 0x80000000, v20
	v_lshlrev_b32_e32 v35, 20, v35
	v_and_b32_e32 v35, 0x700000, v35
	v_or3_b32 v35, v35, v20, v0
.LBB355_713:                            ;   in Loop: Header=BB355_554 Depth=1
	s_or_b32 exec_lo, exec_lo, s24
.LBB355_714:                            ;   in Loop: Header=BB355_554 Depth=1
	s_or_b32 exec_lo, exec_lo, s22
.LBB355_715:                            ;   in Loop: Header=BB355_554 Depth=1
	s_or_b32 exec_lo, exec_lo, s21
	v_cmp_ne_u16_sdwa s1, v9, v10 src0_sel:BYTE_1 src1_sel:DWORD
	s_and_saveexec_b32 s21, s1
	s_cbranch_execz .LBB355_723
; %bb.716:                              ;   in Loop: Header=BB355_554 Depth=1
	v_cmp_ne_u16_sdwa s1, v9, v26 src0_sel:BYTE_1 src1_sel:DWORD
	v_bfrev_b32_e32 v19, 1
	s_and_saveexec_b32 s22, s1
	s_cbranch_execz .LBB355_722
; %bb.717:                              ;   in Loop: Header=BB355_554 Depth=1
	v_and_b32_sdwa v20, v34, v9 dst_sel:DWORD dst_unused:UNUSED_PAD src0_sel:DWORD src1_sel:BYTE_1
	v_mov_b32_e32 v19, 0x7f800001
	s_mov_b32 s24, exec_lo
	v_and_b32_e32 v37, 0x7f, v20
	v_cmpx_ne_u32_e32 0x7f, v37
	s_cbranch_execz .LBB355_721
; %bb.718:                              ;   in Loop: Header=BB355_554 Depth=1
	v_and_b32_e32 v19, 7, v20
	v_mov_b32_e32 v20, v10
	v_lshrrev_b32_e32 v36, 3, v37
	s_mov_b32 s25, exec_lo
	v_cmpx_gt_u32_e32 8, v37
; %bb.719:                              ;   in Loop: Header=BB355_554 Depth=1
	v_ffbh_u32_e32 v0, v19
	v_min_u32_e32 v0, 32, v0
	v_subrev_nc_u32_e32 v36, 28, v0
	v_lshlrev_b64 v[19:20], v36, v[19:20]
	v_sub_nc_u32_e32 v36, 29, v0
	v_and_b32_e32 v19, 7, v19
; %bb.720:                              ;   in Loop: Header=BB355_554 Depth=1
	s_or_b32 exec_lo, exec_lo, s25
	v_lshlrev_b32_e32 v0, 16, v9
	v_lshlrev_b32_e32 v9, 20, v19
	v_lshl_add_u32 v19, v36, 23, 0x3c000000
	v_and_b32_e32 v0, 0x80000000, v0
	v_or3_b32 v19, v9, v0, v19
.LBB355_721:                            ;   in Loop: Header=BB355_554 Depth=1
	s_or_b32 exec_lo, exec_lo, s24
.LBB355_722:                            ;   in Loop: Header=BB355_554 Depth=1
	s_or_b32 exec_lo, exec_lo, s22
.LBB355_723:                            ;   in Loop: Header=BB355_554 Depth=1
	s_or_b32 exec_lo, exec_lo, s21
	v_and_b32_sdwa v9, v18, v39 dst_sel:DWORD dst_unused:UNUSED_PAD src0_sel:WORD_1 src1_sel:DWORD
	v_mov_b32_e32 v20, 0
	v_mov_b32_e32 v36, 0
	s_mov_b32 s21, exec_lo
	v_cmpx_ne_u16_e32 0, v9
	s_cbranch_execz .LBB355_731
; %bb.724:                              ;   in Loop: Header=BB355_554 Depth=1
	v_bfrev_b32_e32 v36, 1
	s_mov_b32 s22, exec_lo
	v_cmpx_ne_u16_e32 0x80, v9
	s_cbranch_execz .LBB355_730
; %bb.725:                              ;   in Loop: Header=BB355_554 Depth=1
	v_bfe_u32 v37, v18, 16, 7
	v_mov_b32_e32 v36, 0x7f800001
	s_mov_b32 s24, exec_lo
	v_cmpx_ne_u32_e32 0x7f, v37
	s_cbranch_execz .LBB355_729
; %bb.726:                              ;   in Loop: Header=BB355_554 Depth=1
	v_and_b32_sdwa v9, v18, v40 dst_sel:DWORD dst_unused:UNUSED_PAD src0_sel:WORD_1 src1_sel:DWORD
	v_lshrrev_b32_e32 v36, 3, v37
	s_mov_b32 s25, exec_lo
	v_cmpx_gt_u32_e32 8, v37
; %bb.727:                              ;   in Loop: Header=BB355_554 Depth=1
	v_ffbh_u32_e32 v0, v9
	v_min_u32_e32 v0, 32, v0
	v_subrev_nc_u32_e32 v36, 28, v0
	v_lshlrev_b64 v[72:73], v36, v[9:10]
	v_sub_nc_u32_e32 v36, 29, v0
	v_and_b32_e32 v9, 7, v72
; %bb.728:                              ;   in Loop: Header=BB355_554 Depth=1
	s_or_b32 exec_lo, exec_lo, s25
	v_lshlrev_b32_sdwa v0, v41, v18 dst_sel:DWORD dst_unused:UNUSED_PAD src0_sel:DWORD src1_sel:WORD_1
	v_lshlrev_b32_e32 v9, 20, v9
	v_lshl_add_u32 v36, v36, 23, 0x3c000000
	v_and_b32_e32 v0, 0x80000000, v0
	v_or3_b32 v36, v9, v0, v36
.LBB355_729:                            ;   in Loop: Header=BB355_554 Depth=1
	s_or_b32 exec_lo, exec_lo, s24
.LBB355_730:                            ;   in Loop: Header=BB355_554 Depth=1
	s_or_b32 exec_lo, exec_lo, s22
.LBB355_731:                            ;   in Loop: Header=BB355_554 Depth=1
	s_or_b32 exec_lo, exec_lo, s21
	s_mov_b32 s21, exec_lo
	v_cmpx_lt_u64_e64 s[4:5], v[17:18]
	s_cbranch_execz .LBB355_739
; %bb.732:                              ;   in Loop: Header=BB355_554 Depth=1
	v_cmp_ne_u32_sdwa s1, v18, v26 src0_sel:BYTE_3 src1_sel:DWORD
	v_bfrev_b32_e32 v20, 1
	s_and_saveexec_b32 s22, s1
	s_cbranch_execz .LBB355_738
; %bb.733:                              ;   in Loop: Header=BB355_554 Depth=1
	v_bfe_u32 v37, v18, 24, 7
	v_mov_b32_e32 v20, 0x7f800001
	s_mov_b32 s24, exec_lo
	v_cmpx_ne_u32_e32 0x7f, v37
	s_cbranch_execz .LBB355_737
; %bb.734:                              ;   in Loop: Header=BB355_554 Depth=1
	v_and_b32_sdwa v9, v18, v40 dst_sel:DWORD dst_unused:UNUSED_PAD src0_sel:BYTE_3 src1_sel:DWORD
	v_lshrrev_b32_e32 v17, 3, v37
	s_mov_b32 s25, exec_lo
	v_cmpx_gt_u32_e32 8, v37
; %bb.735:                              ;   in Loop: Header=BB355_554 Depth=1
	v_ffbh_u32_e32 v0, v9
	v_min_u32_e32 v0, 32, v0
	v_subrev_nc_u32_e32 v17, 28, v0
	v_lshlrev_b64 v[72:73], v17, v[9:10]
	v_sub_nc_u32_e32 v17, 29, v0
	v_and_b32_e32 v9, 7, v72
; %bb.736:                              ;   in Loop: Header=BB355_554 Depth=1
	s_or_b32 exec_lo, exec_lo, s25
	v_lshlrev_b32_sdwa v0, v41, v18 dst_sel:DWORD dst_unused:UNUSED_PAD src0_sel:DWORD src1_sel:BYTE_3
	v_lshlrev_b32_e32 v9, 20, v9
	v_lshl_add_u32 v17, v17, 23, 0x3c000000
	v_and_b32_e32 v0, 0x80000000, v0
	v_or3_b32 v20, v9, v0, v17
.LBB355_737:                            ;   in Loop: Header=BB355_554 Depth=1
	s_or_b32 exec_lo, exec_lo, s24
.LBB355_738:                            ;   in Loop: Header=BB355_554 Depth=1
	s_or_b32 exec_lo, exec_lo, s22
.LBB355_739:                            ;   in Loop: Header=BB355_554 Depth=1
	s_or_b32 exec_lo, exec_lo, s21
	v_mul_f32_e32 v0, s18, v19
	v_mul_f32_e32 v9, s18, v35
	;; [unrolled: 1-line block ×5, first 2 shown]
	v_bfe_u32 v19, v0, 16, 1
	v_or_b32_e32 v35, 0x400000, v0
	v_bfe_u32 v37, v9, 16, 1
	v_cmp_u_f32_e64 s1, v0, v0
	v_or_b32_e32 v68, 0x400000, v9
	v_add3_u32 v19, v19, v0, 0x7fff
	v_bfe_u32 v71, v17, 16, 1
	v_add3_u32 v37, v37, v9, 0x7fff
	v_or_b32_e32 v72, 0x400000, v17
	v_bfe_u32 v73, v18, 16, 1
	v_cndmask_b32_e64 v0, v19, v35, s1
	v_cmp_u_f32_e64 s1, v9, v9
	v_add3_u32 v71, v71, v17, 0x7fff
	v_or_b32_e32 v35, 0x400000, v18
	v_add3_u32 v19, v73, v18, 0x7fff
	v_cndmask_b32_e64 v9, v37, v68, s1
	v_cmp_u_f32_e64 s1, v17, v17
	v_lshrrev_b32_e32 v68, 16, v0
	v_mul_f32_e32 v0, s18, v69
	v_lshrrev_b32_e32 v69, 16, v9
	v_cndmask_b32_e64 v17, v71, v72, s1
	v_cmp_u_f32_e64 s1, v18, v18
	v_bfe_u32 v9, v0, 16, 1
	v_mul_f32_e32 v18, s18, v70
	v_or_b32_e32 v72, 0x400000, v20
	v_lshrrev_b32_e32 v71, 16, v17
	v_cndmask_b32_e64 v17, v19, v35, s1
	v_mul_f32_e32 v19, s18, v36
	v_add3_u32 v9, v9, v0, 0x7fff
	v_or_b32_e32 v35, 0x400000, v0
	v_bfe_u32 v36, v18, 16, 1
	v_cmp_u_f32_e64 s1, v0, v0
	v_bfe_u32 v37, v19, 16, 1
	v_or_b32_e32 v70, 0x400000, v19
	v_lshrrev_b32_e32 v73, 16, v17
	v_cndmask_b32_e64 v0, v9, v35, s1
	v_add3_u32 v35, v36, v18, 0x7fff
	v_or_b32_e32 v36, 0x400000, v18
	v_cmp_u_f32_e64 s1, v18, v18
	v_bfe_u32 v9, v20, 16, 1
	v_add3_u32 v37, v37, v19, 0x7fff
	v_lshrrev_b32_e32 v75, 16, v0
	v_cndmask_b32_e64 v18, v35, v36, s1
	v_cmp_u_f32_e64 s1, v19, v19
	v_add3_u32 v9, v9, v20, 0x7fff
	v_lshrrev_b32_e32 v74, 16, v18
	v_cndmask_b32_e64 v19, v37, v70, s1
	v_cmp_u_f32_e64 s1, v20, v20
	v_lshrrev_b32_e32 v70, 16, v19
	v_cndmask_b32_e64 v9, v9, v72, s1
	v_lshrrev_b32_e32 v72, 16, v9
	s_and_saveexec_b32 s21, vcc_lo
	s_cbranch_execz .LBB355_741
; %bb.740:                              ;   in Loop: Header=BB355_554 Depth=1
	v_cmp_gt_i32_e64 s1, s31, v52
	v_cndmask_b32_e64 v74, 0, v74, s1
	v_cmp_gt_i32_e64 s1, s31, v64
	v_cndmask_b32_e64 v75, 0, v75, s1
	;; [unrolled: 2-line block ×8, first 2 shown]
.LBB355_741:                            ;   in Loop: Header=BB355_554 Depth=1
	s_or_b32 exec_lo, exec_lo, s21
	global_load_dwordx2 v[17:18], v[15:16], off offset:768
	v_mov_b32_e32 v77, 0
	v_mov_b32_e32 v78, 0
	s_waitcnt vmcnt(0)
	v_cmp_ne_u16_sdwa s1, v17, v10 src0_sel:BYTE_0 src1_sel:DWORD
	s_and_saveexec_b32 s21, s1
	s_cbranch_execz .LBB355_747
; %bb.742:                              ;   in Loop: Header=BB355_554 Depth=1
	v_cmp_ne_u16_sdwa s1, v17, v26 src0_sel:BYTE_0 src1_sel:DWORD
	v_bfrev_b32_e32 v78, 1
	s_and_saveexec_b32 s22, s1
	s_cbranch_execz .LBB355_746
; %bb.743:                              ;   in Loop: Header=BB355_554 Depth=1
	v_and_b32_e32 v9, 0x7f, v17
	v_mov_b32_e32 v78, 0x7f800001
	s_mov_b32 s24, exec_lo
	v_cmpx_ne_u32_e32 0x7f, v9
	s_cbranch_execz .LBB355_745
; %bb.744:                              ;   in Loop: Header=BB355_554 Depth=1
	v_and_b32_e32 v0, 7, v17
	v_cmp_gt_u32_e64 s1, 8, v9
	v_lshrrev_b32_e32 v19, 3, v9
	v_ffbh_u32_e32 v0, v0
	v_min_u32_e32 v0, 32, v0
	v_subrev_nc_u32_e32 v20, 28, v0
	v_sub_nc_u32_e32 v0, 29, v0
	v_cndmask_b32_e64 v9, 0, v20, s1
	v_cndmask_b32_e64 v0, v19, v0, s1
	v_lshlrev_b64 v[19:20], v9, v[17:18]
	v_lshlrev_b32_e32 v9, 24, v17
	v_lshl_add_u32 v0, v0, 23, 0x3c000000
	v_and_b32_e32 v9, 0x80000000, v9
	v_lshlrev_b32_e32 v19, 20, v19
	v_and_b32_e32 v19, 0x700000, v19
	v_or3_b32 v78, v19, v9, v0
.LBB355_745:                            ;   in Loop: Header=BB355_554 Depth=1
	s_or_b32 exec_lo, exec_lo, s24
.LBB355_746:                            ;   in Loop: Header=BB355_554 Depth=1
	s_or_b32 exec_lo, exec_lo, s22
.LBB355_747:                            ;   in Loop: Header=BB355_554 Depth=1
	s_or_b32 exec_lo, exec_lo, s21
	v_cmp_ne_u16_sdwa s1, v17, v10 src0_sel:BYTE_1 src1_sel:DWORD
	s_and_saveexec_b32 s21, s1
	s_cbranch_execz .LBB355_755
; %bb.748:                              ;   in Loop: Header=BB355_554 Depth=1
	v_cmp_ne_u16_sdwa s1, v17, v26 src0_sel:BYTE_1 src1_sel:DWORD
	v_bfrev_b32_e32 v77, 1
	s_and_saveexec_b32 s22, s1
	s_cbranch_execz .LBB355_754
; %bb.749:                              ;   in Loop: Header=BB355_554 Depth=1
	v_and_b32_sdwa v9, v34, v17 dst_sel:DWORD dst_unused:UNUSED_PAD src0_sel:DWORD src1_sel:BYTE_1
	v_mov_b32_e32 v77, 0x7f800001
	s_mov_b32 s24, exec_lo
	v_and_b32_e32 v20, 0x7f, v9
	v_cmpx_ne_u32_e32 0x7f, v20
	s_cbranch_execz .LBB355_753
; %bb.750:                              ;   in Loop: Header=BB355_554 Depth=1
	v_and_b32_e32 v9, 7, v9
	v_lshrrev_b32_e32 v19, 3, v20
	s_mov_b32 s25, exec_lo
	v_cmpx_gt_u32_e32 8, v20
; %bb.751:                              ;   in Loop: Header=BB355_554 Depth=1
	v_ffbh_u32_e32 v0, v9
	v_min_u32_e32 v0, 32, v0
	v_subrev_nc_u32_e32 v19, 28, v0
	v_lshlrev_b64 v[35:36], v19, v[9:10]
	v_sub_nc_u32_e32 v19, 29, v0
	v_and_b32_e32 v9, 7, v35
; %bb.752:                              ;   in Loop: Header=BB355_554 Depth=1
	s_or_b32 exec_lo, exec_lo, s25
	v_lshlrev_b32_e32 v0, 16, v17
	v_lshlrev_b32_e32 v9, 20, v9
	v_lshl_add_u32 v19, v19, 23, 0x3c000000
	v_and_b32_e32 v0, 0x80000000, v0
	v_or3_b32 v77, v9, v0, v19
.LBB355_753:                            ;   in Loop: Header=BB355_554 Depth=1
	s_or_b32 exec_lo, exec_lo, s24
.LBB355_754:                            ;   in Loop: Header=BB355_554 Depth=1
	s_or_b32 exec_lo, exec_lo, s22
.LBB355_755:                            ;   in Loop: Header=BB355_554 Depth=1
	s_or_b32 exec_lo, exec_lo, s21
	v_and_b32_sdwa v9, v17, v39 dst_sel:DWORD dst_unused:UNUSED_PAD src0_sel:WORD_1 src1_sel:DWORD
	v_mov_b32_e32 v79, 0
	v_mov_b32_e32 v76, 0
	s_mov_b32 s21, exec_lo
	v_cmpx_ne_u16_e32 0, v9
	s_cbranch_execz .LBB355_763
; %bb.756:                              ;   in Loop: Header=BB355_554 Depth=1
	v_bfrev_b32_e32 v76, 1
	s_mov_b32 s22, exec_lo
	v_cmpx_ne_u16_e32 0x80, v9
	s_cbranch_execz .LBB355_762
; %bb.757:                              ;   in Loop: Header=BB355_554 Depth=1
	v_bfe_u32 v20, v17, 16, 7
	v_mov_b32_e32 v76, 0x7f800001
	s_mov_b32 s24, exec_lo
	v_cmpx_ne_u32_e32 0x7f, v20
	s_cbranch_execz .LBB355_761
; %bb.758:                              ;   in Loop: Header=BB355_554 Depth=1
	v_and_b32_sdwa v9, v17, v40 dst_sel:DWORD dst_unused:UNUSED_PAD src0_sel:WORD_1 src1_sel:DWORD
	v_lshrrev_b32_e32 v19, 3, v20
	s_mov_b32 s25, exec_lo
	v_cmpx_gt_u32_e32 8, v20
; %bb.759:                              ;   in Loop: Header=BB355_554 Depth=1
	v_ffbh_u32_e32 v0, v9
	v_min_u32_e32 v0, 32, v0
	v_subrev_nc_u32_e32 v19, 28, v0
	v_lshlrev_b64 v[35:36], v19, v[9:10]
	v_sub_nc_u32_e32 v19, 29, v0
	v_and_b32_e32 v9, 7, v35
; %bb.760:                              ;   in Loop: Header=BB355_554 Depth=1
	s_or_b32 exec_lo, exec_lo, s25
	v_lshlrev_b32_sdwa v0, v41, v17 dst_sel:DWORD dst_unused:UNUSED_PAD src0_sel:DWORD src1_sel:WORD_1
	v_lshlrev_b32_e32 v9, 20, v9
	v_lshl_add_u32 v19, v19, 23, 0x3c000000
	v_and_b32_e32 v0, 0x80000000, v0
	v_or3_b32 v76, v9, v0, v19
.LBB355_761:                            ;   in Loop: Header=BB355_554 Depth=1
	s_or_b32 exec_lo, exec_lo, s24
.LBB355_762:                            ;   in Loop: Header=BB355_554 Depth=1
	s_or_b32 exec_lo, exec_lo, s22
.LBB355_763:                            ;   in Loop: Header=BB355_554 Depth=1
	s_or_b32 exec_lo, exec_lo, s21
	s_mov_b32 s21, exec_lo
	v_cmpx_lt_u32_e32 0xffffff, v17
	s_cbranch_execz .LBB355_771
; %bb.764:                              ;   in Loop: Header=BB355_554 Depth=1
	v_cmp_ne_u32_sdwa s1, v17, v26 src0_sel:BYTE_3 src1_sel:DWORD
	v_bfrev_b32_e32 v79, 1
	s_and_saveexec_b32 s22, s1
	s_cbranch_execz .LBB355_770
; %bb.765:                              ;   in Loop: Header=BB355_554 Depth=1
	v_bfe_u32 v20, v17, 24, 7
	v_mov_b32_e32 v79, 0x7f800001
	s_mov_b32 s24, exec_lo
	v_cmpx_ne_u32_e32 0x7f, v20
	s_cbranch_execz .LBB355_769
; %bb.766:                              ;   in Loop: Header=BB355_554 Depth=1
	v_and_b32_sdwa v9, v17, v40 dst_sel:DWORD dst_unused:UNUSED_PAD src0_sel:BYTE_3 src1_sel:DWORD
	v_lshrrev_b32_e32 v19, 3, v20
	s_mov_b32 s25, exec_lo
	v_cmpx_gt_u32_e32 8, v20
; %bb.767:                              ;   in Loop: Header=BB355_554 Depth=1
	v_ffbh_u32_e32 v0, v9
	v_min_u32_e32 v0, 32, v0
	v_subrev_nc_u32_e32 v19, 28, v0
	v_lshlrev_b64 v[35:36], v19, v[9:10]
	v_sub_nc_u32_e32 v19, 29, v0
	v_and_b32_e32 v9, 7, v35
; %bb.768:                              ;   in Loop: Header=BB355_554 Depth=1
	s_or_b32 exec_lo, exec_lo, s25
	v_lshlrev_b32_sdwa v0, v41, v17 dst_sel:DWORD dst_unused:UNUSED_PAD src0_sel:DWORD src1_sel:BYTE_3
	v_lshlrev_b32_e32 v9, 20, v9
	v_lshl_add_u32 v19, v19, 23, 0x3c000000
	v_and_b32_e32 v0, 0x80000000, v0
	v_or3_b32 v79, v9, v0, v19
.LBB355_769:                            ;   in Loop: Header=BB355_554 Depth=1
	s_or_b32 exec_lo, exec_lo, s24
.LBB355_770:                            ;   in Loop: Header=BB355_554 Depth=1
	s_or_b32 exec_lo, exec_lo, s22
.LBB355_771:                            ;   in Loop: Header=BB355_554 Depth=1
	s_or_b32 exec_lo, exec_lo, s21
	v_mov_b32_e32 v9, v18
	v_cmp_ne_u16_sdwa s1, v18, v10 src0_sel:BYTE_0 src1_sel:DWORD
	v_mov_b32_e32 v19, 0
	v_mov_b32_e32 v35, 0
	s_and_saveexec_b32 s21, s1
	s_cbranch_execz .LBB355_777
; %bb.772:                              ;   in Loop: Header=BB355_554 Depth=1
	v_cmp_ne_u16_sdwa s1, v18, v26 src0_sel:BYTE_0 src1_sel:DWORD
	v_bfrev_b32_e32 v35, 1
	s_and_saveexec_b32 s22, s1
	s_cbranch_execz .LBB355_776
; %bb.773:                              ;   in Loop: Header=BB355_554 Depth=1
	v_and_b32_e32 v20, 0x7f, v18
	v_mov_b32_e32 v35, 0x7f800001
	s_mov_b32 s24, exec_lo
	v_cmpx_ne_u32_e32 0x7f, v20
	s_cbranch_execz .LBB355_775
; %bb.774:                              ;   in Loop: Header=BB355_554 Depth=1
	v_and_b32_e32 v0, 7, v18
	v_cmp_gt_u32_e64 s1, 8, v20
	v_lshrrev_b32_e32 v35, 3, v20
	v_ffbh_u32_e32 v0, v0
	v_min_u32_e32 v0, 32, v0
	v_subrev_nc_u32_e32 v36, 28, v0
	v_sub_nc_u32_e32 v0, 29, v0
	v_cndmask_b32_e64 v20, 0, v36, s1
	v_cndmask_b32_e64 v0, v35, v0, s1
	v_lshlrev_b64 v[35:36], v20, v[9:10]
	v_lshlrev_b32_e32 v20, 24, v9
	v_lshl_add_u32 v0, v0, 23, 0x3c000000
	v_and_b32_e32 v20, 0x80000000, v20
	v_lshlrev_b32_e32 v35, 20, v35
	v_and_b32_e32 v35, 0x700000, v35
	v_or3_b32 v35, v35, v20, v0
.LBB355_775:                            ;   in Loop: Header=BB355_554 Depth=1
	s_or_b32 exec_lo, exec_lo, s24
.LBB355_776:                            ;   in Loop: Header=BB355_554 Depth=1
	s_or_b32 exec_lo, exec_lo, s22
.LBB355_777:                            ;   in Loop: Header=BB355_554 Depth=1
	s_or_b32 exec_lo, exec_lo, s21
	v_cmp_ne_u16_sdwa s1, v9, v10 src0_sel:BYTE_1 src1_sel:DWORD
	s_and_saveexec_b32 s21, s1
	s_cbranch_execz .LBB355_785
; %bb.778:                              ;   in Loop: Header=BB355_554 Depth=1
	v_cmp_ne_u16_sdwa s1, v9, v26 src0_sel:BYTE_1 src1_sel:DWORD
	v_bfrev_b32_e32 v19, 1
	s_and_saveexec_b32 s22, s1
	s_cbranch_execz .LBB355_784
; %bb.779:                              ;   in Loop: Header=BB355_554 Depth=1
	v_and_b32_sdwa v20, v34, v9 dst_sel:DWORD dst_unused:UNUSED_PAD src0_sel:DWORD src1_sel:BYTE_1
	v_mov_b32_e32 v19, 0x7f800001
	s_mov_b32 s24, exec_lo
	v_and_b32_e32 v37, 0x7f, v20
	v_cmpx_ne_u32_e32 0x7f, v37
	s_cbranch_execz .LBB355_783
; %bb.780:                              ;   in Loop: Header=BB355_554 Depth=1
	v_and_b32_e32 v19, 7, v20
	v_mov_b32_e32 v20, v10
	v_lshrrev_b32_e32 v36, 3, v37
	s_mov_b32 s25, exec_lo
	v_cmpx_gt_u32_e32 8, v37
; %bb.781:                              ;   in Loop: Header=BB355_554 Depth=1
	v_ffbh_u32_e32 v0, v19
	v_min_u32_e32 v0, 32, v0
	v_subrev_nc_u32_e32 v36, 28, v0
	v_lshlrev_b64 v[19:20], v36, v[19:20]
	v_sub_nc_u32_e32 v36, 29, v0
	v_and_b32_e32 v19, 7, v19
; %bb.782:                              ;   in Loop: Header=BB355_554 Depth=1
	s_or_b32 exec_lo, exec_lo, s25
	v_lshlrev_b32_e32 v0, 16, v9
	v_lshlrev_b32_e32 v9, 20, v19
	v_lshl_add_u32 v19, v36, 23, 0x3c000000
	v_and_b32_e32 v0, 0x80000000, v0
	v_or3_b32 v19, v9, v0, v19
.LBB355_783:                            ;   in Loop: Header=BB355_554 Depth=1
	s_or_b32 exec_lo, exec_lo, s24
.LBB355_784:                            ;   in Loop: Header=BB355_554 Depth=1
	s_or_b32 exec_lo, exec_lo, s22
.LBB355_785:                            ;   in Loop: Header=BB355_554 Depth=1
	s_or_b32 exec_lo, exec_lo, s21
	v_and_b32_sdwa v9, v18, v39 dst_sel:DWORD dst_unused:UNUSED_PAD src0_sel:WORD_1 src1_sel:DWORD
	v_mov_b32_e32 v20, 0
	v_mov_b32_e32 v36, 0
	s_mov_b32 s21, exec_lo
	v_cmpx_ne_u16_e32 0, v9
	s_cbranch_execz .LBB355_793
; %bb.786:                              ;   in Loop: Header=BB355_554 Depth=1
	v_bfrev_b32_e32 v36, 1
	s_mov_b32 s22, exec_lo
	v_cmpx_ne_u16_e32 0x80, v9
	s_cbranch_execz .LBB355_792
; %bb.787:                              ;   in Loop: Header=BB355_554 Depth=1
	v_bfe_u32 v37, v18, 16, 7
	v_mov_b32_e32 v36, 0x7f800001
	s_mov_b32 s24, exec_lo
	v_cmpx_ne_u32_e32 0x7f, v37
	s_cbranch_execz .LBB355_791
; %bb.788:                              ;   in Loop: Header=BB355_554 Depth=1
	v_and_b32_sdwa v9, v18, v40 dst_sel:DWORD dst_unused:UNUSED_PAD src0_sel:WORD_1 src1_sel:DWORD
	v_lshrrev_b32_e32 v36, 3, v37
	s_mov_b32 s25, exec_lo
	v_cmpx_gt_u32_e32 8, v37
; %bb.789:                              ;   in Loop: Header=BB355_554 Depth=1
	v_ffbh_u32_e32 v0, v9
	v_min_u32_e32 v0, 32, v0
	v_subrev_nc_u32_e32 v36, 28, v0
	v_lshlrev_b64 v[80:81], v36, v[9:10]
	v_sub_nc_u32_e32 v36, 29, v0
	v_and_b32_e32 v9, 7, v80
; %bb.790:                              ;   in Loop: Header=BB355_554 Depth=1
	s_or_b32 exec_lo, exec_lo, s25
	v_lshlrev_b32_sdwa v0, v41, v18 dst_sel:DWORD dst_unused:UNUSED_PAD src0_sel:DWORD src1_sel:WORD_1
	v_lshlrev_b32_e32 v9, 20, v9
	v_lshl_add_u32 v36, v36, 23, 0x3c000000
	v_and_b32_e32 v0, 0x80000000, v0
	v_or3_b32 v36, v9, v0, v36
.LBB355_791:                            ;   in Loop: Header=BB355_554 Depth=1
	s_or_b32 exec_lo, exec_lo, s24
.LBB355_792:                            ;   in Loop: Header=BB355_554 Depth=1
	s_or_b32 exec_lo, exec_lo, s22
.LBB355_793:                            ;   in Loop: Header=BB355_554 Depth=1
	s_or_b32 exec_lo, exec_lo, s21
	s_mov_b32 s21, exec_lo
	v_cmpx_lt_u64_e64 s[4:5], v[17:18]
	s_cbranch_execz .LBB355_801
; %bb.794:                              ;   in Loop: Header=BB355_554 Depth=1
	v_cmp_ne_u32_sdwa s1, v18, v26 src0_sel:BYTE_3 src1_sel:DWORD
	v_bfrev_b32_e32 v20, 1
	s_and_saveexec_b32 s22, s1
	s_cbranch_execz .LBB355_800
; %bb.795:                              ;   in Loop: Header=BB355_554 Depth=1
	v_bfe_u32 v37, v18, 24, 7
	v_mov_b32_e32 v20, 0x7f800001
	s_mov_b32 s24, exec_lo
	v_cmpx_ne_u32_e32 0x7f, v37
	s_cbranch_execz .LBB355_799
; %bb.796:                              ;   in Loop: Header=BB355_554 Depth=1
	v_and_b32_sdwa v9, v18, v40 dst_sel:DWORD dst_unused:UNUSED_PAD src0_sel:BYTE_3 src1_sel:DWORD
	v_lshrrev_b32_e32 v17, 3, v37
	s_mov_b32 s25, exec_lo
	v_cmpx_gt_u32_e32 8, v37
; %bb.797:                              ;   in Loop: Header=BB355_554 Depth=1
	v_ffbh_u32_e32 v0, v9
	v_min_u32_e32 v0, 32, v0
	v_subrev_nc_u32_e32 v17, 28, v0
	v_lshlrev_b64 v[80:81], v17, v[9:10]
	v_sub_nc_u32_e32 v17, 29, v0
	v_and_b32_e32 v9, 7, v80
; %bb.798:                              ;   in Loop: Header=BB355_554 Depth=1
	s_or_b32 exec_lo, exec_lo, s25
	v_lshlrev_b32_sdwa v0, v41, v18 dst_sel:DWORD dst_unused:UNUSED_PAD src0_sel:DWORD src1_sel:BYTE_3
	v_lshlrev_b32_e32 v9, 20, v9
	v_lshl_add_u32 v17, v17, 23, 0x3c000000
	v_and_b32_e32 v0, 0x80000000, v0
	v_or3_b32 v20, v9, v0, v17
.LBB355_799:                            ;   in Loop: Header=BB355_554 Depth=1
	s_or_b32 exec_lo, exec_lo, s24
.LBB355_800:                            ;   in Loop: Header=BB355_554 Depth=1
	s_or_b32 exec_lo, exec_lo, s22
.LBB355_801:                            ;   in Loop: Header=BB355_554 Depth=1
	s_or_b32 exec_lo, exec_lo, s21
	v_mul_f32_e32 v0, s18, v19
	v_mul_f32_e32 v9, s18, v35
	;; [unrolled: 1-line block ×5, first 2 shown]
	v_bfe_u32 v19, v0, 16, 1
	v_or_b32_e32 v35, 0x400000, v0
	v_bfe_u32 v37, v9, 16, 1
	v_cmp_u_f32_e64 s1, v0, v0
	v_or_b32_e32 v76, 0x400000, v9
	v_add3_u32 v19, v19, v0, 0x7fff
	v_bfe_u32 v79, v17, 16, 1
	v_add3_u32 v37, v37, v9, 0x7fff
	v_or_b32_e32 v80, 0x400000, v17
	v_bfe_u32 v81, v18, 16, 1
	v_cndmask_b32_e64 v0, v19, v35, s1
	v_cmp_u_f32_e64 s1, v9, v9
	v_add3_u32 v79, v79, v17, 0x7fff
	v_or_b32_e32 v35, 0x400000, v18
	v_add3_u32 v19, v81, v18, 0x7fff
	v_cndmask_b32_e64 v9, v37, v76, s1
	v_cmp_u_f32_e64 s1, v17, v17
	v_lshrrev_b32_e32 v76, 16, v0
	v_mul_f32_e32 v0, s18, v77
	v_lshrrev_b32_e32 v77, 16, v9
	v_cndmask_b32_e64 v17, v79, v80, s1
	v_cmp_u_f32_e64 s1, v18, v18
	v_bfe_u32 v9, v0, 16, 1
	v_mul_f32_e32 v18, s18, v78
	v_or_b32_e32 v80, 0x400000, v20
	v_lshrrev_b32_e32 v79, 16, v17
	v_cndmask_b32_e64 v17, v19, v35, s1
	v_mul_f32_e32 v19, s18, v36
	v_add3_u32 v9, v9, v0, 0x7fff
	v_or_b32_e32 v35, 0x400000, v0
	v_bfe_u32 v36, v18, 16, 1
	v_cmp_u_f32_e64 s1, v0, v0
	v_bfe_u32 v37, v19, 16, 1
	v_or_b32_e32 v78, 0x400000, v19
	v_lshrrev_b32_e32 v81, 16, v17
	v_cndmask_b32_e64 v0, v9, v35, s1
	v_add3_u32 v35, v36, v18, 0x7fff
	v_or_b32_e32 v36, 0x400000, v18
	v_cmp_u_f32_e64 s1, v18, v18
	v_bfe_u32 v9, v20, 16, 1
	v_add3_u32 v37, v37, v19, 0x7fff
	v_lshrrev_b32_e32 v83, 16, v0
	v_cndmask_b32_e64 v18, v35, v36, s1
	v_cmp_u_f32_e64 s1, v19, v19
	v_add3_u32 v9, v9, v20, 0x7fff
	v_lshrrev_b32_e32 v82, 16, v18
	v_cndmask_b32_e64 v19, v37, v78, s1
	v_cmp_u_f32_e64 s1, v20, v20
	v_lshrrev_b32_e32 v78, 16, v19
	v_cndmask_b32_e64 v9, v9, v80, s1
	v_lshrrev_b32_e32 v80, 16, v9
	s_and_saveexec_b32 s21, vcc_lo
	s_cbranch_execz .LBB355_803
; %bb.802:                              ;   in Loop: Header=BB355_554 Depth=1
	v_cmp_gt_i32_e64 s1, s31, v52
	v_cndmask_b32_e64 v82, 0, v82, s1
	v_cmp_gt_i32_e64 s1, s31, v64
	v_cndmask_b32_e64 v83, 0, v83, s1
	;; [unrolled: 2-line block ×8, first 2 shown]
.LBB355_803:                            ;   in Loop: Header=BB355_554 Depth=1
	s_or_b32 exec_lo, exec_lo, s21
	global_load_dwordx2 v[17:18], v[15:16], off offset:1024
	v_mov_b32_e32 v84, 0
	v_mov_b32_e32 v86, 0
	s_waitcnt vmcnt(0)
	v_cmp_ne_u16_sdwa s1, v17, v10 src0_sel:BYTE_0 src1_sel:DWORD
	s_and_saveexec_b32 s21, s1
	s_cbranch_execz .LBB355_809
; %bb.804:                              ;   in Loop: Header=BB355_554 Depth=1
	v_cmp_ne_u16_sdwa s1, v17, v26 src0_sel:BYTE_0 src1_sel:DWORD
	v_bfrev_b32_e32 v86, 1
	s_and_saveexec_b32 s22, s1
	s_cbranch_execz .LBB355_808
; %bb.805:                              ;   in Loop: Header=BB355_554 Depth=1
	v_and_b32_e32 v9, 0x7f, v17
	v_mov_b32_e32 v86, 0x7f800001
	s_mov_b32 s24, exec_lo
	v_cmpx_ne_u32_e32 0x7f, v9
	s_cbranch_execz .LBB355_807
; %bb.806:                              ;   in Loop: Header=BB355_554 Depth=1
	v_and_b32_e32 v0, 7, v17
	v_cmp_gt_u32_e64 s1, 8, v9
	v_lshrrev_b32_e32 v19, 3, v9
	v_ffbh_u32_e32 v0, v0
	v_min_u32_e32 v0, 32, v0
	v_subrev_nc_u32_e32 v20, 28, v0
	v_sub_nc_u32_e32 v0, 29, v0
	v_cndmask_b32_e64 v9, 0, v20, s1
	v_cndmask_b32_e64 v0, v19, v0, s1
	v_lshlrev_b64 v[19:20], v9, v[17:18]
	v_lshlrev_b32_e32 v9, 24, v17
	v_lshl_add_u32 v0, v0, 23, 0x3c000000
	v_and_b32_e32 v9, 0x80000000, v9
	v_lshlrev_b32_e32 v19, 20, v19
	v_and_b32_e32 v19, 0x700000, v19
	v_or3_b32 v86, v19, v9, v0
.LBB355_807:                            ;   in Loop: Header=BB355_554 Depth=1
	s_or_b32 exec_lo, exec_lo, s24
.LBB355_808:                            ;   in Loop: Header=BB355_554 Depth=1
	s_or_b32 exec_lo, exec_lo, s22
.LBB355_809:                            ;   in Loop: Header=BB355_554 Depth=1
	s_or_b32 exec_lo, exec_lo, s21
	v_cmp_ne_u16_sdwa s1, v17, v10 src0_sel:BYTE_1 src1_sel:DWORD
	s_and_saveexec_b32 s21, s1
	s_cbranch_execz .LBB355_817
; %bb.810:                              ;   in Loop: Header=BB355_554 Depth=1
	v_cmp_ne_u16_sdwa s1, v17, v26 src0_sel:BYTE_1 src1_sel:DWORD
	v_bfrev_b32_e32 v84, 1
	s_and_saveexec_b32 s22, s1
	s_cbranch_execz .LBB355_816
; %bb.811:                              ;   in Loop: Header=BB355_554 Depth=1
	v_and_b32_sdwa v9, v34, v17 dst_sel:DWORD dst_unused:UNUSED_PAD src0_sel:DWORD src1_sel:BYTE_1
	v_mov_b32_e32 v84, 0x7f800001
	s_mov_b32 s24, exec_lo
	v_and_b32_e32 v20, 0x7f, v9
	v_cmpx_ne_u32_e32 0x7f, v20
	s_cbranch_execz .LBB355_815
; %bb.812:                              ;   in Loop: Header=BB355_554 Depth=1
	v_and_b32_e32 v9, 7, v9
	v_lshrrev_b32_e32 v19, 3, v20
	s_mov_b32 s25, exec_lo
	v_cmpx_gt_u32_e32 8, v20
; %bb.813:                              ;   in Loop: Header=BB355_554 Depth=1
	v_ffbh_u32_e32 v0, v9
	v_min_u32_e32 v0, 32, v0
	v_subrev_nc_u32_e32 v19, 28, v0
	v_lshlrev_b64 v[35:36], v19, v[9:10]
	v_sub_nc_u32_e32 v19, 29, v0
	v_and_b32_e32 v9, 7, v35
; %bb.814:                              ;   in Loop: Header=BB355_554 Depth=1
	s_or_b32 exec_lo, exec_lo, s25
	v_lshlrev_b32_e32 v0, 16, v17
	v_lshlrev_b32_e32 v9, 20, v9
	v_lshl_add_u32 v19, v19, 23, 0x3c000000
	v_and_b32_e32 v0, 0x80000000, v0
	v_or3_b32 v84, v9, v0, v19
.LBB355_815:                            ;   in Loop: Header=BB355_554 Depth=1
	s_or_b32 exec_lo, exec_lo, s24
.LBB355_816:                            ;   in Loop: Header=BB355_554 Depth=1
	s_or_b32 exec_lo, exec_lo, s22
.LBB355_817:                            ;   in Loop: Header=BB355_554 Depth=1
	s_or_b32 exec_lo, exec_lo, s21
	v_and_b32_sdwa v9, v17, v39 dst_sel:DWORD dst_unused:UNUSED_PAD src0_sel:WORD_1 src1_sel:DWORD
	v_mov_b32_e32 v87, 0
	v_mov_b32_e32 v85, 0
	s_mov_b32 s21, exec_lo
	v_cmpx_ne_u16_e32 0, v9
	s_cbranch_execz .LBB355_825
; %bb.818:                              ;   in Loop: Header=BB355_554 Depth=1
	v_bfrev_b32_e32 v85, 1
	s_mov_b32 s22, exec_lo
	v_cmpx_ne_u16_e32 0x80, v9
	s_cbranch_execz .LBB355_824
; %bb.819:                              ;   in Loop: Header=BB355_554 Depth=1
	v_bfe_u32 v20, v17, 16, 7
	v_mov_b32_e32 v85, 0x7f800001
	s_mov_b32 s24, exec_lo
	v_cmpx_ne_u32_e32 0x7f, v20
	s_cbranch_execz .LBB355_823
; %bb.820:                              ;   in Loop: Header=BB355_554 Depth=1
	v_and_b32_sdwa v9, v17, v40 dst_sel:DWORD dst_unused:UNUSED_PAD src0_sel:WORD_1 src1_sel:DWORD
	v_lshrrev_b32_e32 v19, 3, v20
	s_mov_b32 s25, exec_lo
	v_cmpx_gt_u32_e32 8, v20
; %bb.821:                              ;   in Loop: Header=BB355_554 Depth=1
	v_ffbh_u32_e32 v0, v9
	v_min_u32_e32 v0, 32, v0
	v_subrev_nc_u32_e32 v19, 28, v0
	v_lshlrev_b64 v[35:36], v19, v[9:10]
	v_sub_nc_u32_e32 v19, 29, v0
	v_and_b32_e32 v9, 7, v35
; %bb.822:                              ;   in Loop: Header=BB355_554 Depth=1
	s_or_b32 exec_lo, exec_lo, s25
	v_lshlrev_b32_sdwa v0, v41, v17 dst_sel:DWORD dst_unused:UNUSED_PAD src0_sel:DWORD src1_sel:WORD_1
	v_lshlrev_b32_e32 v9, 20, v9
	v_lshl_add_u32 v19, v19, 23, 0x3c000000
	v_and_b32_e32 v0, 0x80000000, v0
	v_or3_b32 v85, v9, v0, v19
.LBB355_823:                            ;   in Loop: Header=BB355_554 Depth=1
	s_or_b32 exec_lo, exec_lo, s24
.LBB355_824:                            ;   in Loop: Header=BB355_554 Depth=1
	s_or_b32 exec_lo, exec_lo, s22
.LBB355_825:                            ;   in Loop: Header=BB355_554 Depth=1
	s_or_b32 exec_lo, exec_lo, s21
	s_mov_b32 s21, exec_lo
	v_cmpx_lt_u32_e32 0xffffff, v17
	s_cbranch_execz .LBB355_833
; %bb.826:                              ;   in Loop: Header=BB355_554 Depth=1
	v_cmp_ne_u32_sdwa s1, v17, v26 src0_sel:BYTE_3 src1_sel:DWORD
	v_bfrev_b32_e32 v87, 1
	s_and_saveexec_b32 s22, s1
	s_cbranch_execz .LBB355_832
; %bb.827:                              ;   in Loop: Header=BB355_554 Depth=1
	v_bfe_u32 v20, v17, 24, 7
	v_mov_b32_e32 v87, 0x7f800001
	s_mov_b32 s24, exec_lo
	v_cmpx_ne_u32_e32 0x7f, v20
	s_cbranch_execz .LBB355_831
; %bb.828:                              ;   in Loop: Header=BB355_554 Depth=1
	v_and_b32_sdwa v9, v17, v40 dst_sel:DWORD dst_unused:UNUSED_PAD src0_sel:BYTE_3 src1_sel:DWORD
	v_lshrrev_b32_e32 v19, 3, v20
	s_mov_b32 s25, exec_lo
	v_cmpx_gt_u32_e32 8, v20
; %bb.829:                              ;   in Loop: Header=BB355_554 Depth=1
	v_ffbh_u32_e32 v0, v9
	v_min_u32_e32 v0, 32, v0
	v_subrev_nc_u32_e32 v19, 28, v0
	v_lshlrev_b64 v[35:36], v19, v[9:10]
	v_sub_nc_u32_e32 v19, 29, v0
	v_and_b32_e32 v9, 7, v35
; %bb.830:                              ;   in Loop: Header=BB355_554 Depth=1
	s_or_b32 exec_lo, exec_lo, s25
	v_lshlrev_b32_sdwa v0, v41, v17 dst_sel:DWORD dst_unused:UNUSED_PAD src0_sel:DWORD src1_sel:BYTE_3
	v_lshlrev_b32_e32 v9, 20, v9
	v_lshl_add_u32 v19, v19, 23, 0x3c000000
	v_and_b32_e32 v0, 0x80000000, v0
	v_or3_b32 v87, v9, v0, v19
.LBB355_831:                            ;   in Loop: Header=BB355_554 Depth=1
	s_or_b32 exec_lo, exec_lo, s24
.LBB355_832:                            ;   in Loop: Header=BB355_554 Depth=1
	s_or_b32 exec_lo, exec_lo, s22
.LBB355_833:                            ;   in Loop: Header=BB355_554 Depth=1
	s_or_b32 exec_lo, exec_lo, s21
	v_mov_b32_e32 v9, v18
	v_cmp_ne_u16_sdwa s1, v18, v10 src0_sel:BYTE_0 src1_sel:DWORD
	v_mov_b32_e32 v19, 0
	v_mov_b32_e32 v35, 0
	s_and_saveexec_b32 s21, s1
	s_cbranch_execz .LBB355_839
; %bb.834:                              ;   in Loop: Header=BB355_554 Depth=1
	v_cmp_ne_u16_sdwa s1, v18, v26 src0_sel:BYTE_0 src1_sel:DWORD
	v_bfrev_b32_e32 v35, 1
	s_and_saveexec_b32 s22, s1
	s_cbranch_execz .LBB355_838
; %bb.835:                              ;   in Loop: Header=BB355_554 Depth=1
	v_and_b32_e32 v20, 0x7f, v18
	v_mov_b32_e32 v35, 0x7f800001
	s_mov_b32 s24, exec_lo
	v_cmpx_ne_u32_e32 0x7f, v20
	s_cbranch_execz .LBB355_837
; %bb.836:                              ;   in Loop: Header=BB355_554 Depth=1
	v_and_b32_e32 v0, 7, v18
	v_cmp_gt_u32_e64 s1, 8, v20
	v_lshrrev_b32_e32 v35, 3, v20
	v_ffbh_u32_e32 v0, v0
	v_min_u32_e32 v0, 32, v0
	v_subrev_nc_u32_e32 v36, 28, v0
	v_sub_nc_u32_e32 v0, 29, v0
	v_cndmask_b32_e64 v20, 0, v36, s1
	v_cndmask_b32_e64 v0, v35, v0, s1
	v_lshlrev_b64 v[35:36], v20, v[9:10]
	v_lshlrev_b32_e32 v20, 24, v9
	v_lshl_add_u32 v0, v0, 23, 0x3c000000
	v_and_b32_e32 v20, 0x80000000, v20
	v_lshlrev_b32_e32 v35, 20, v35
	v_and_b32_e32 v35, 0x700000, v35
	v_or3_b32 v35, v35, v20, v0
.LBB355_837:                            ;   in Loop: Header=BB355_554 Depth=1
	s_or_b32 exec_lo, exec_lo, s24
.LBB355_838:                            ;   in Loop: Header=BB355_554 Depth=1
	s_or_b32 exec_lo, exec_lo, s22
.LBB355_839:                            ;   in Loop: Header=BB355_554 Depth=1
	s_or_b32 exec_lo, exec_lo, s21
	v_cmp_ne_u16_sdwa s1, v9, v10 src0_sel:BYTE_1 src1_sel:DWORD
	s_and_saveexec_b32 s21, s1
	s_cbranch_execz .LBB355_847
; %bb.840:                              ;   in Loop: Header=BB355_554 Depth=1
	v_cmp_ne_u16_sdwa s1, v9, v26 src0_sel:BYTE_1 src1_sel:DWORD
	v_bfrev_b32_e32 v19, 1
	s_and_saveexec_b32 s22, s1
	s_cbranch_execz .LBB355_846
; %bb.841:                              ;   in Loop: Header=BB355_554 Depth=1
	v_and_b32_sdwa v20, v34, v9 dst_sel:DWORD dst_unused:UNUSED_PAD src0_sel:DWORD src1_sel:BYTE_1
	v_mov_b32_e32 v19, 0x7f800001
	s_mov_b32 s24, exec_lo
	v_and_b32_e32 v37, 0x7f, v20
	v_cmpx_ne_u32_e32 0x7f, v37
	s_cbranch_execz .LBB355_845
; %bb.842:                              ;   in Loop: Header=BB355_554 Depth=1
	v_and_b32_e32 v19, 7, v20
	v_mov_b32_e32 v20, v10
	v_lshrrev_b32_e32 v36, 3, v37
	s_mov_b32 s25, exec_lo
	v_cmpx_gt_u32_e32 8, v37
; %bb.843:                              ;   in Loop: Header=BB355_554 Depth=1
	v_ffbh_u32_e32 v0, v19
	v_min_u32_e32 v0, 32, v0
	v_subrev_nc_u32_e32 v36, 28, v0
	v_lshlrev_b64 v[19:20], v36, v[19:20]
	v_sub_nc_u32_e32 v36, 29, v0
	v_and_b32_e32 v19, 7, v19
; %bb.844:                              ;   in Loop: Header=BB355_554 Depth=1
	s_or_b32 exec_lo, exec_lo, s25
	v_lshlrev_b32_e32 v0, 16, v9
	v_lshlrev_b32_e32 v9, 20, v19
	v_lshl_add_u32 v19, v36, 23, 0x3c000000
	v_and_b32_e32 v0, 0x80000000, v0
	v_or3_b32 v19, v9, v0, v19
.LBB355_845:                            ;   in Loop: Header=BB355_554 Depth=1
	s_or_b32 exec_lo, exec_lo, s24
.LBB355_846:                            ;   in Loop: Header=BB355_554 Depth=1
	s_or_b32 exec_lo, exec_lo, s22
.LBB355_847:                            ;   in Loop: Header=BB355_554 Depth=1
	s_or_b32 exec_lo, exec_lo, s21
	v_and_b32_sdwa v9, v18, v39 dst_sel:DWORD dst_unused:UNUSED_PAD src0_sel:WORD_1 src1_sel:DWORD
	v_mov_b32_e32 v20, 0
	v_mov_b32_e32 v36, 0
	s_mov_b32 s21, exec_lo
	v_cmpx_ne_u16_e32 0, v9
	s_cbranch_execz .LBB355_855
; %bb.848:                              ;   in Loop: Header=BB355_554 Depth=1
	v_bfrev_b32_e32 v36, 1
	s_mov_b32 s22, exec_lo
	v_cmpx_ne_u16_e32 0x80, v9
	s_cbranch_execz .LBB355_854
; %bb.849:                              ;   in Loop: Header=BB355_554 Depth=1
	v_bfe_u32 v37, v18, 16, 7
	v_mov_b32_e32 v36, 0x7f800001
	s_mov_b32 s24, exec_lo
	v_cmpx_ne_u32_e32 0x7f, v37
	s_cbranch_execz .LBB355_853
; %bb.850:                              ;   in Loop: Header=BB355_554 Depth=1
	v_and_b32_sdwa v9, v18, v40 dst_sel:DWORD dst_unused:UNUSED_PAD src0_sel:WORD_1 src1_sel:DWORD
	v_lshrrev_b32_e32 v36, 3, v37
	s_mov_b32 s25, exec_lo
	v_cmpx_gt_u32_e32 8, v37
; %bb.851:                              ;   in Loop: Header=BB355_554 Depth=1
	v_ffbh_u32_e32 v0, v9
	v_min_u32_e32 v0, 32, v0
	v_subrev_nc_u32_e32 v36, 28, v0
	v_lshlrev_b64 v[88:89], v36, v[9:10]
	v_sub_nc_u32_e32 v36, 29, v0
	v_and_b32_e32 v9, 7, v88
; %bb.852:                              ;   in Loop: Header=BB355_554 Depth=1
	s_or_b32 exec_lo, exec_lo, s25
	v_lshlrev_b32_sdwa v0, v41, v18 dst_sel:DWORD dst_unused:UNUSED_PAD src0_sel:DWORD src1_sel:WORD_1
	v_lshlrev_b32_e32 v9, 20, v9
	v_lshl_add_u32 v36, v36, 23, 0x3c000000
	v_and_b32_e32 v0, 0x80000000, v0
	v_or3_b32 v36, v9, v0, v36
.LBB355_853:                            ;   in Loop: Header=BB355_554 Depth=1
	s_or_b32 exec_lo, exec_lo, s24
.LBB355_854:                            ;   in Loop: Header=BB355_554 Depth=1
	s_or_b32 exec_lo, exec_lo, s22
.LBB355_855:                            ;   in Loop: Header=BB355_554 Depth=1
	s_or_b32 exec_lo, exec_lo, s21
	s_mov_b32 s21, exec_lo
	v_cmpx_lt_u64_e64 s[4:5], v[17:18]
	s_cbranch_execz .LBB355_863
; %bb.856:                              ;   in Loop: Header=BB355_554 Depth=1
	v_cmp_ne_u32_sdwa s1, v18, v26 src0_sel:BYTE_3 src1_sel:DWORD
	v_bfrev_b32_e32 v20, 1
	s_and_saveexec_b32 s22, s1
	s_cbranch_execz .LBB355_862
; %bb.857:                              ;   in Loop: Header=BB355_554 Depth=1
	v_bfe_u32 v37, v18, 24, 7
	v_mov_b32_e32 v20, 0x7f800001
	s_mov_b32 s24, exec_lo
	v_cmpx_ne_u32_e32 0x7f, v37
	s_cbranch_execz .LBB355_861
; %bb.858:                              ;   in Loop: Header=BB355_554 Depth=1
	v_and_b32_sdwa v9, v18, v40 dst_sel:DWORD dst_unused:UNUSED_PAD src0_sel:BYTE_3 src1_sel:DWORD
	v_lshrrev_b32_e32 v17, 3, v37
	s_mov_b32 s25, exec_lo
	v_cmpx_gt_u32_e32 8, v37
; %bb.859:                              ;   in Loop: Header=BB355_554 Depth=1
	v_ffbh_u32_e32 v0, v9
	v_min_u32_e32 v0, 32, v0
	v_subrev_nc_u32_e32 v17, 28, v0
	v_lshlrev_b64 v[88:89], v17, v[9:10]
	v_sub_nc_u32_e32 v17, 29, v0
	v_and_b32_e32 v9, 7, v88
; %bb.860:                              ;   in Loop: Header=BB355_554 Depth=1
	s_or_b32 exec_lo, exec_lo, s25
	v_lshlrev_b32_sdwa v0, v41, v18 dst_sel:DWORD dst_unused:UNUSED_PAD src0_sel:DWORD src1_sel:BYTE_3
	v_lshlrev_b32_e32 v9, 20, v9
	v_lshl_add_u32 v17, v17, 23, 0x3c000000
	v_and_b32_e32 v0, 0x80000000, v0
	v_or3_b32 v20, v9, v0, v17
.LBB355_861:                            ;   in Loop: Header=BB355_554 Depth=1
	s_or_b32 exec_lo, exec_lo, s24
.LBB355_862:                            ;   in Loop: Header=BB355_554 Depth=1
	s_or_b32 exec_lo, exec_lo, s22
.LBB355_863:                            ;   in Loop: Header=BB355_554 Depth=1
	s_or_b32 exec_lo, exec_lo, s21
	v_mul_f32_e32 v0, s18, v19
	v_mul_f32_e32 v9, s18, v35
	;; [unrolled: 1-line block ×5, first 2 shown]
	v_bfe_u32 v19, v0, 16, 1
	v_or_b32_e32 v35, 0x400000, v0
	v_bfe_u32 v37, v9, 16, 1
	v_cmp_u_f32_e64 s1, v0, v0
	v_or_b32_e32 v85, 0x400000, v9
	v_add3_u32 v19, v19, v0, 0x7fff
	v_bfe_u32 v87, v17, 16, 1
	v_add3_u32 v37, v37, v9, 0x7fff
	v_or_b32_e32 v88, 0x400000, v17
	v_bfe_u32 v89, v18, 16, 1
	v_cndmask_b32_e64 v0, v19, v35, s1
	v_cmp_u_f32_e64 s1, v9, v9
	v_add3_u32 v87, v87, v17, 0x7fff
	v_or_b32_e32 v35, 0x400000, v18
	v_add3_u32 v19, v89, v18, 0x7fff
	v_cndmask_b32_e64 v9, v37, v85, s1
	v_cmp_u_f32_e64 s1, v17, v17
	v_lshrrev_b32_e32 v85, 16, v0
	v_mul_f32_e32 v0, s18, v84
	v_lshrrev_b32_e32 v84, 16, v9
	v_cndmask_b32_e64 v17, v87, v88, s1
	v_cmp_u_f32_e64 s1, v18, v18
	v_bfe_u32 v9, v0, 16, 1
	v_mul_f32_e32 v18, s18, v86
	v_or_b32_e32 v88, 0x400000, v20
	v_lshrrev_b32_e32 v87, 16, v17
	v_cndmask_b32_e64 v17, v19, v35, s1
	v_mul_f32_e32 v19, s18, v36
	v_add3_u32 v9, v9, v0, 0x7fff
	v_or_b32_e32 v35, 0x400000, v0
	v_bfe_u32 v36, v18, 16, 1
	v_cmp_u_f32_e64 s1, v0, v0
	v_bfe_u32 v37, v19, 16, 1
	v_or_b32_e32 v86, 0x400000, v19
	v_lshrrev_b32_e32 v89, 16, v17
	v_cndmask_b32_e64 v0, v9, v35, s1
	v_add3_u32 v35, v36, v18, 0x7fff
	v_or_b32_e32 v36, 0x400000, v18
	v_cmp_u_f32_e64 s1, v18, v18
	v_bfe_u32 v9, v20, 16, 1
	v_add3_u32 v37, v37, v19, 0x7fff
	v_lshrrev_b32_e32 v91, 16, v0
	v_cndmask_b32_e64 v18, v35, v36, s1
	v_cmp_u_f32_e64 s1, v19, v19
	v_add3_u32 v9, v9, v20, 0x7fff
	v_lshrrev_b32_e32 v90, 16, v18
	v_cndmask_b32_e64 v19, v37, v86, s1
	v_cmp_u_f32_e64 s1, v20, v20
	v_lshrrev_b32_e32 v86, 16, v19
	v_cndmask_b32_e64 v9, v9, v88, s1
	v_lshrrev_b32_e32 v88, 16, v9
	s_and_saveexec_b32 s21, vcc_lo
	s_cbranch_execz .LBB355_865
; %bb.864:                              ;   in Loop: Header=BB355_554 Depth=1
	v_cmp_gt_i32_e64 s1, s31, v52
	v_cndmask_b32_e64 v90, 0, v90, s1
	v_cmp_gt_i32_e64 s1, s31, v64
	v_cndmask_b32_e64 v91, 0, v91, s1
	;; [unrolled: 2-line block ×8, first 2 shown]
.LBB355_865:                            ;   in Loop: Header=BB355_554 Depth=1
	s_or_b32 exec_lo, exec_lo, s21
	global_load_dwordx2 v[17:18], v[15:16], off offset:1280
	v_mov_b32_e32 v93, 0
	v_mov_b32_e32 v94, 0
	s_waitcnt vmcnt(0)
	v_cmp_ne_u16_sdwa s1, v17, v10 src0_sel:BYTE_0 src1_sel:DWORD
	s_and_saveexec_b32 s21, s1
	s_cbranch_execz .LBB355_871
; %bb.866:                              ;   in Loop: Header=BB355_554 Depth=1
	v_cmp_ne_u16_sdwa s1, v17, v26 src0_sel:BYTE_0 src1_sel:DWORD
	v_bfrev_b32_e32 v94, 1
	s_and_saveexec_b32 s22, s1
	s_cbranch_execz .LBB355_870
; %bb.867:                              ;   in Loop: Header=BB355_554 Depth=1
	v_and_b32_e32 v9, 0x7f, v17
	v_mov_b32_e32 v94, 0x7f800001
	s_mov_b32 s24, exec_lo
	v_cmpx_ne_u32_e32 0x7f, v9
	s_cbranch_execz .LBB355_869
; %bb.868:                              ;   in Loop: Header=BB355_554 Depth=1
	v_and_b32_e32 v0, 7, v17
	v_cmp_gt_u32_e64 s1, 8, v9
	v_lshrrev_b32_e32 v19, 3, v9
	v_ffbh_u32_e32 v0, v0
	v_min_u32_e32 v0, 32, v0
	v_subrev_nc_u32_e32 v20, 28, v0
	v_sub_nc_u32_e32 v0, 29, v0
	v_cndmask_b32_e64 v9, 0, v20, s1
	v_cndmask_b32_e64 v0, v19, v0, s1
	v_lshlrev_b64 v[19:20], v9, v[17:18]
	v_lshlrev_b32_e32 v9, 24, v17
	v_lshl_add_u32 v0, v0, 23, 0x3c000000
	v_and_b32_e32 v9, 0x80000000, v9
	v_lshlrev_b32_e32 v19, 20, v19
	v_and_b32_e32 v19, 0x700000, v19
	v_or3_b32 v94, v19, v9, v0
.LBB355_869:                            ;   in Loop: Header=BB355_554 Depth=1
	s_or_b32 exec_lo, exec_lo, s24
.LBB355_870:                            ;   in Loop: Header=BB355_554 Depth=1
	s_or_b32 exec_lo, exec_lo, s22
.LBB355_871:                            ;   in Loop: Header=BB355_554 Depth=1
	s_or_b32 exec_lo, exec_lo, s21
	v_cmp_ne_u16_sdwa s1, v17, v10 src0_sel:BYTE_1 src1_sel:DWORD
	s_and_saveexec_b32 s21, s1
	s_cbranch_execz .LBB355_879
; %bb.872:                              ;   in Loop: Header=BB355_554 Depth=1
	v_cmp_ne_u16_sdwa s1, v17, v26 src0_sel:BYTE_1 src1_sel:DWORD
	v_bfrev_b32_e32 v93, 1
	s_and_saveexec_b32 s22, s1
	s_cbranch_execz .LBB355_878
; %bb.873:                              ;   in Loop: Header=BB355_554 Depth=1
	v_and_b32_sdwa v9, v34, v17 dst_sel:DWORD dst_unused:UNUSED_PAD src0_sel:DWORD src1_sel:BYTE_1
	v_mov_b32_e32 v93, 0x7f800001
	s_mov_b32 s24, exec_lo
	v_and_b32_e32 v20, 0x7f, v9
	v_cmpx_ne_u32_e32 0x7f, v20
	s_cbranch_execz .LBB355_877
; %bb.874:                              ;   in Loop: Header=BB355_554 Depth=1
	v_and_b32_e32 v9, 7, v9
	v_lshrrev_b32_e32 v19, 3, v20
	s_mov_b32 s25, exec_lo
	v_cmpx_gt_u32_e32 8, v20
; %bb.875:                              ;   in Loop: Header=BB355_554 Depth=1
	v_ffbh_u32_e32 v0, v9
	v_min_u32_e32 v0, 32, v0
	v_subrev_nc_u32_e32 v19, 28, v0
	v_lshlrev_b64 v[35:36], v19, v[9:10]
	v_sub_nc_u32_e32 v19, 29, v0
	v_and_b32_e32 v9, 7, v35
; %bb.876:                              ;   in Loop: Header=BB355_554 Depth=1
	s_or_b32 exec_lo, exec_lo, s25
	v_lshlrev_b32_e32 v0, 16, v17
	v_lshlrev_b32_e32 v9, 20, v9
	v_lshl_add_u32 v19, v19, 23, 0x3c000000
	v_and_b32_e32 v0, 0x80000000, v0
	v_or3_b32 v93, v9, v0, v19
.LBB355_877:                            ;   in Loop: Header=BB355_554 Depth=1
	s_or_b32 exec_lo, exec_lo, s24
.LBB355_878:                            ;   in Loop: Header=BB355_554 Depth=1
	s_or_b32 exec_lo, exec_lo, s22
.LBB355_879:                            ;   in Loop: Header=BB355_554 Depth=1
	s_or_b32 exec_lo, exec_lo, s21
	v_and_b32_sdwa v9, v17, v39 dst_sel:DWORD dst_unused:UNUSED_PAD src0_sel:WORD_1 src1_sel:DWORD
	v_mov_b32_e32 v95, 0
	v_mov_b32_e32 v92, 0
	s_mov_b32 s21, exec_lo
	v_cmpx_ne_u16_e32 0, v9
	s_cbranch_execz .LBB355_887
; %bb.880:                              ;   in Loop: Header=BB355_554 Depth=1
	v_bfrev_b32_e32 v92, 1
	s_mov_b32 s22, exec_lo
	v_cmpx_ne_u16_e32 0x80, v9
	s_cbranch_execz .LBB355_886
; %bb.881:                              ;   in Loop: Header=BB355_554 Depth=1
	v_bfe_u32 v20, v17, 16, 7
	v_mov_b32_e32 v92, 0x7f800001
	s_mov_b32 s24, exec_lo
	v_cmpx_ne_u32_e32 0x7f, v20
	s_cbranch_execz .LBB355_885
; %bb.882:                              ;   in Loop: Header=BB355_554 Depth=1
	v_and_b32_sdwa v9, v17, v40 dst_sel:DWORD dst_unused:UNUSED_PAD src0_sel:WORD_1 src1_sel:DWORD
	v_lshrrev_b32_e32 v19, 3, v20
	s_mov_b32 s25, exec_lo
	v_cmpx_gt_u32_e32 8, v20
; %bb.883:                              ;   in Loop: Header=BB355_554 Depth=1
	v_ffbh_u32_e32 v0, v9
	v_min_u32_e32 v0, 32, v0
	v_subrev_nc_u32_e32 v19, 28, v0
	v_lshlrev_b64 v[35:36], v19, v[9:10]
	v_sub_nc_u32_e32 v19, 29, v0
	v_and_b32_e32 v9, 7, v35
; %bb.884:                              ;   in Loop: Header=BB355_554 Depth=1
	s_or_b32 exec_lo, exec_lo, s25
	v_lshlrev_b32_sdwa v0, v41, v17 dst_sel:DWORD dst_unused:UNUSED_PAD src0_sel:DWORD src1_sel:WORD_1
	v_lshlrev_b32_e32 v9, 20, v9
	v_lshl_add_u32 v19, v19, 23, 0x3c000000
	v_and_b32_e32 v0, 0x80000000, v0
	v_or3_b32 v92, v9, v0, v19
.LBB355_885:                            ;   in Loop: Header=BB355_554 Depth=1
	s_or_b32 exec_lo, exec_lo, s24
.LBB355_886:                            ;   in Loop: Header=BB355_554 Depth=1
	s_or_b32 exec_lo, exec_lo, s22
.LBB355_887:                            ;   in Loop: Header=BB355_554 Depth=1
	s_or_b32 exec_lo, exec_lo, s21
	s_mov_b32 s21, exec_lo
	v_cmpx_lt_u32_e32 0xffffff, v17
	s_cbranch_execz .LBB355_895
; %bb.888:                              ;   in Loop: Header=BB355_554 Depth=1
	v_cmp_ne_u32_sdwa s1, v17, v26 src0_sel:BYTE_3 src1_sel:DWORD
	v_bfrev_b32_e32 v95, 1
	s_and_saveexec_b32 s22, s1
	s_cbranch_execz .LBB355_894
; %bb.889:                              ;   in Loop: Header=BB355_554 Depth=1
	v_bfe_u32 v20, v17, 24, 7
	v_mov_b32_e32 v95, 0x7f800001
	s_mov_b32 s24, exec_lo
	v_cmpx_ne_u32_e32 0x7f, v20
	s_cbranch_execz .LBB355_893
; %bb.890:                              ;   in Loop: Header=BB355_554 Depth=1
	v_and_b32_sdwa v9, v17, v40 dst_sel:DWORD dst_unused:UNUSED_PAD src0_sel:BYTE_3 src1_sel:DWORD
	v_lshrrev_b32_e32 v19, 3, v20
	s_mov_b32 s25, exec_lo
	v_cmpx_gt_u32_e32 8, v20
; %bb.891:                              ;   in Loop: Header=BB355_554 Depth=1
	v_ffbh_u32_e32 v0, v9
	v_min_u32_e32 v0, 32, v0
	v_subrev_nc_u32_e32 v19, 28, v0
	v_lshlrev_b64 v[35:36], v19, v[9:10]
	v_sub_nc_u32_e32 v19, 29, v0
	v_and_b32_e32 v9, 7, v35
; %bb.892:                              ;   in Loop: Header=BB355_554 Depth=1
	s_or_b32 exec_lo, exec_lo, s25
	v_lshlrev_b32_sdwa v0, v41, v17 dst_sel:DWORD dst_unused:UNUSED_PAD src0_sel:DWORD src1_sel:BYTE_3
	v_lshlrev_b32_e32 v9, 20, v9
	v_lshl_add_u32 v19, v19, 23, 0x3c000000
	v_and_b32_e32 v0, 0x80000000, v0
	v_or3_b32 v95, v9, v0, v19
.LBB355_893:                            ;   in Loop: Header=BB355_554 Depth=1
	s_or_b32 exec_lo, exec_lo, s24
.LBB355_894:                            ;   in Loop: Header=BB355_554 Depth=1
	s_or_b32 exec_lo, exec_lo, s22
.LBB355_895:                            ;   in Loop: Header=BB355_554 Depth=1
	s_or_b32 exec_lo, exec_lo, s21
	v_mov_b32_e32 v9, v18
	v_cmp_ne_u16_sdwa s1, v18, v10 src0_sel:BYTE_0 src1_sel:DWORD
	v_mov_b32_e32 v19, 0
	v_mov_b32_e32 v35, 0
	s_and_saveexec_b32 s21, s1
	s_cbranch_execz .LBB355_901
; %bb.896:                              ;   in Loop: Header=BB355_554 Depth=1
	v_cmp_ne_u16_sdwa s1, v18, v26 src0_sel:BYTE_0 src1_sel:DWORD
	v_bfrev_b32_e32 v35, 1
	s_and_saveexec_b32 s22, s1
	s_cbranch_execz .LBB355_900
; %bb.897:                              ;   in Loop: Header=BB355_554 Depth=1
	v_and_b32_e32 v20, 0x7f, v18
	v_mov_b32_e32 v35, 0x7f800001
	s_mov_b32 s24, exec_lo
	v_cmpx_ne_u32_e32 0x7f, v20
	s_cbranch_execz .LBB355_899
; %bb.898:                              ;   in Loop: Header=BB355_554 Depth=1
	v_and_b32_e32 v0, 7, v18
	v_cmp_gt_u32_e64 s1, 8, v20
	v_lshrrev_b32_e32 v35, 3, v20
	v_ffbh_u32_e32 v0, v0
	v_min_u32_e32 v0, 32, v0
	v_subrev_nc_u32_e32 v36, 28, v0
	v_sub_nc_u32_e32 v0, 29, v0
	v_cndmask_b32_e64 v20, 0, v36, s1
	v_cndmask_b32_e64 v0, v35, v0, s1
	v_lshlrev_b64 v[35:36], v20, v[9:10]
	v_lshlrev_b32_e32 v20, 24, v9
	v_lshl_add_u32 v0, v0, 23, 0x3c000000
	v_and_b32_e32 v20, 0x80000000, v20
	v_lshlrev_b32_e32 v35, 20, v35
	v_and_b32_e32 v35, 0x700000, v35
	v_or3_b32 v35, v35, v20, v0
.LBB355_899:                            ;   in Loop: Header=BB355_554 Depth=1
	s_or_b32 exec_lo, exec_lo, s24
.LBB355_900:                            ;   in Loop: Header=BB355_554 Depth=1
	s_or_b32 exec_lo, exec_lo, s22
.LBB355_901:                            ;   in Loop: Header=BB355_554 Depth=1
	s_or_b32 exec_lo, exec_lo, s21
	v_cmp_ne_u16_sdwa s1, v9, v10 src0_sel:BYTE_1 src1_sel:DWORD
	s_and_saveexec_b32 s21, s1
	s_cbranch_execz .LBB355_909
; %bb.902:                              ;   in Loop: Header=BB355_554 Depth=1
	v_cmp_ne_u16_sdwa s1, v9, v26 src0_sel:BYTE_1 src1_sel:DWORD
	v_bfrev_b32_e32 v19, 1
	s_and_saveexec_b32 s22, s1
	s_cbranch_execz .LBB355_908
; %bb.903:                              ;   in Loop: Header=BB355_554 Depth=1
	v_and_b32_sdwa v20, v34, v9 dst_sel:DWORD dst_unused:UNUSED_PAD src0_sel:DWORD src1_sel:BYTE_1
	v_mov_b32_e32 v19, 0x7f800001
	s_mov_b32 s24, exec_lo
	v_and_b32_e32 v37, 0x7f, v20
	v_cmpx_ne_u32_e32 0x7f, v37
	s_cbranch_execz .LBB355_907
; %bb.904:                              ;   in Loop: Header=BB355_554 Depth=1
	v_and_b32_e32 v19, 7, v20
	v_mov_b32_e32 v20, v10
	v_lshrrev_b32_e32 v36, 3, v37
	s_mov_b32 s25, exec_lo
	v_cmpx_gt_u32_e32 8, v37
; %bb.905:                              ;   in Loop: Header=BB355_554 Depth=1
	v_ffbh_u32_e32 v0, v19
	v_min_u32_e32 v0, 32, v0
	v_subrev_nc_u32_e32 v36, 28, v0
	v_lshlrev_b64 v[19:20], v36, v[19:20]
	v_sub_nc_u32_e32 v36, 29, v0
	v_and_b32_e32 v19, 7, v19
; %bb.906:                              ;   in Loop: Header=BB355_554 Depth=1
	s_or_b32 exec_lo, exec_lo, s25
	v_lshlrev_b32_e32 v0, 16, v9
	v_lshlrev_b32_e32 v9, 20, v19
	v_lshl_add_u32 v19, v36, 23, 0x3c000000
	v_and_b32_e32 v0, 0x80000000, v0
	v_or3_b32 v19, v9, v0, v19
.LBB355_907:                            ;   in Loop: Header=BB355_554 Depth=1
	s_or_b32 exec_lo, exec_lo, s24
.LBB355_908:                            ;   in Loop: Header=BB355_554 Depth=1
	s_or_b32 exec_lo, exec_lo, s22
.LBB355_909:                            ;   in Loop: Header=BB355_554 Depth=1
	s_or_b32 exec_lo, exec_lo, s21
	v_and_b32_sdwa v9, v18, v39 dst_sel:DWORD dst_unused:UNUSED_PAD src0_sel:WORD_1 src1_sel:DWORD
	v_mov_b32_e32 v20, 0
	v_mov_b32_e32 v36, 0
	s_mov_b32 s21, exec_lo
	v_cmpx_ne_u16_e32 0, v9
	s_cbranch_execz .LBB355_917
; %bb.910:                              ;   in Loop: Header=BB355_554 Depth=1
	v_bfrev_b32_e32 v36, 1
	s_mov_b32 s22, exec_lo
	v_cmpx_ne_u16_e32 0x80, v9
	s_cbranch_execz .LBB355_916
; %bb.911:                              ;   in Loop: Header=BB355_554 Depth=1
	v_bfe_u32 v37, v18, 16, 7
	v_mov_b32_e32 v36, 0x7f800001
	s_mov_b32 s24, exec_lo
	v_cmpx_ne_u32_e32 0x7f, v37
	s_cbranch_execz .LBB355_915
; %bb.912:                              ;   in Loop: Header=BB355_554 Depth=1
	v_and_b32_sdwa v9, v18, v40 dst_sel:DWORD dst_unused:UNUSED_PAD src0_sel:WORD_1 src1_sel:DWORD
	v_lshrrev_b32_e32 v36, 3, v37
	s_mov_b32 s25, exec_lo
	v_cmpx_gt_u32_e32 8, v37
; %bb.913:                              ;   in Loop: Header=BB355_554 Depth=1
	v_ffbh_u32_e32 v0, v9
	v_min_u32_e32 v0, 32, v0
	v_subrev_nc_u32_e32 v36, 28, v0
	v_lshlrev_b64 v[96:97], v36, v[9:10]
	v_sub_nc_u32_e32 v36, 29, v0
	v_and_b32_e32 v9, 7, v96
; %bb.914:                              ;   in Loop: Header=BB355_554 Depth=1
	s_or_b32 exec_lo, exec_lo, s25
	v_lshlrev_b32_sdwa v0, v41, v18 dst_sel:DWORD dst_unused:UNUSED_PAD src0_sel:DWORD src1_sel:WORD_1
	v_lshlrev_b32_e32 v9, 20, v9
	v_lshl_add_u32 v36, v36, 23, 0x3c000000
	v_and_b32_e32 v0, 0x80000000, v0
	v_or3_b32 v36, v9, v0, v36
.LBB355_915:                            ;   in Loop: Header=BB355_554 Depth=1
	s_or_b32 exec_lo, exec_lo, s24
.LBB355_916:                            ;   in Loop: Header=BB355_554 Depth=1
	s_or_b32 exec_lo, exec_lo, s22
.LBB355_917:                            ;   in Loop: Header=BB355_554 Depth=1
	s_or_b32 exec_lo, exec_lo, s21
	s_mov_b32 s21, exec_lo
	v_cmpx_lt_u64_e64 s[4:5], v[17:18]
	s_cbranch_execz .LBB355_925
; %bb.918:                              ;   in Loop: Header=BB355_554 Depth=1
	v_cmp_ne_u32_sdwa s1, v18, v26 src0_sel:BYTE_3 src1_sel:DWORD
	v_bfrev_b32_e32 v20, 1
	s_and_saveexec_b32 s22, s1
	s_cbranch_execz .LBB355_924
; %bb.919:                              ;   in Loop: Header=BB355_554 Depth=1
	v_bfe_u32 v37, v18, 24, 7
	v_mov_b32_e32 v20, 0x7f800001
	s_mov_b32 s24, exec_lo
	v_cmpx_ne_u32_e32 0x7f, v37
	s_cbranch_execz .LBB355_923
; %bb.920:                              ;   in Loop: Header=BB355_554 Depth=1
	v_and_b32_sdwa v9, v18, v40 dst_sel:DWORD dst_unused:UNUSED_PAD src0_sel:BYTE_3 src1_sel:DWORD
	v_lshrrev_b32_e32 v17, 3, v37
	s_mov_b32 s25, exec_lo
	v_cmpx_gt_u32_e32 8, v37
; %bb.921:                              ;   in Loop: Header=BB355_554 Depth=1
	v_ffbh_u32_e32 v0, v9
	v_min_u32_e32 v0, 32, v0
	v_subrev_nc_u32_e32 v17, 28, v0
	v_lshlrev_b64 v[96:97], v17, v[9:10]
	v_sub_nc_u32_e32 v17, 29, v0
	v_and_b32_e32 v9, 7, v96
; %bb.922:                              ;   in Loop: Header=BB355_554 Depth=1
	s_or_b32 exec_lo, exec_lo, s25
	v_lshlrev_b32_sdwa v0, v41, v18 dst_sel:DWORD dst_unused:UNUSED_PAD src0_sel:DWORD src1_sel:BYTE_3
	v_lshlrev_b32_e32 v9, 20, v9
	v_lshl_add_u32 v17, v17, 23, 0x3c000000
	v_and_b32_e32 v0, 0x80000000, v0
	v_or3_b32 v20, v9, v0, v17
.LBB355_923:                            ;   in Loop: Header=BB355_554 Depth=1
	s_or_b32 exec_lo, exec_lo, s24
.LBB355_924:                            ;   in Loop: Header=BB355_554 Depth=1
	s_or_b32 exec_lo, exec_lo, s22
.LBB355_925:                            ;   in Loop: Header=BB355_554 Depth=1
	s_or_b32 exec_lo, exec_lo, s21
	v_mul_f32_e32 v0, s18, v19
	v_mul_f32_e32 v9, s18, v35
	;; [unrolled: 1-line block ×5, first 2 shown]
	v_bfe_u32 v19, v0, 16, 1
	v_or_b32_e32 v35, 0x400000, v0
	v_bfe_u32 v37, v9, 16, 1
	v_cmp_u_f32_e64 s1, v0, v0
	v_or_b32_e32 v92, 0x400000, v9
	v_add3_u32 v19, v19, v0, 0x7fff
	v_bfe_u32 v95, v17, 16, 1
	v_add3_u32 v37, v37, v9, 0x7fff
	v_or_b32_e32 v96, 0x400000, v17
	v_bfe_u32 v97, v18, 16, 1
	v_cndmask_b32_e64 v0, v19, v35, s1
	v_cmp_u_f32_e64 s1, v9, v9
	v_add3_u32 v95, v95, v17, 0x7fff
	v_or_b32_e32 v35, 0x400000, v18
	v_add3_u32 v19, v97, v18, 0x7fff
	v_cndmask_b32_e64 v9, v37, v92, s1
	v_cmp_u_f32_e64 s1, v17, v17
	v_lshrrev_b32_e32 v92, 16, v0
	v_mul_f32_e32 v0, s18, v93
	v_lshrrev_b32_e32 v93, 16, v9
	v_cndmask_b32_e64 v17, v95, v96, s1
	v_cmp_u_f32_e64 s1, v18, v18
	v_bfe_u32 v9, v0, 16, 1
	v_mul_f32_e32 v18, s18, v94
	v_or_b32_e32 v96, 0x400000, v20
	v_lshrrev_b32_e32 v95, 16, v17
	v_cndmask_b32_e64 v17, v19, v35, s1
	v_mul_f32_e32 v19, s18, v36
	v_add3_u32 v9, v9, v0, 0x7fff
	v_or_b32_e32 v35, 0x400000, v0
	v_bfe_u32 v36, v18, 16, 1
	v_cmp_u_f32_e64 s1, v0, v0
	v_bfe_u32 v37, v19, 16, 1
	v_or_b32_e32 v94, 0x400000, v19
	v_lshrrev_b32_e32 v97, 16, v17
	v_cndmask_b32_e64 v0, v9, v35, s1
	v_add3_u32 v35, v36, v18, 0x7fff
	v_or_b32_e32 v36, 0x400000, v18
	v_cmp_u_f32_e64 s1, v18, v18
	v_bfe_u32 v9, v20, 16, 1
	v_add3_u32 v37, v37, v19, 0x7fff
	v_lshrrev_b32_e32 v99, 16, v0
	v_cndmask_b32_e64 v18, v35, v36, s1
	v_cmp_u_f32_e64 s1, v19, v19
	v_add3_u32 v9, v9, v20, 0x7fff
	v_lshrrev_b32_e32 v98, 16, v18
	v_cndmask_b32_e64 v19, v37, v94, s1
	v_cmp_u_f32_e64 s1, v20, v20
	v_lshrrev_b32_e32 v94, 16, v19
	v_cndmask_b32_e64 v9, v9, v96, s1
	v_lshrrev_b32_e32 v96, 16, v9
	s_and_saveexec_b32 s21, vcc_lo
	s_cbranch_execz .LBB355_927
; %bb.926:                              ;   in Loop: Header=BB355_554 Depth=1
	v_cmp_gt_i32_e64 s1, s31, v52
	v_cndmask_b32_e64 v98, 0, v98, s1
	v_cmp_gt_i32_e64 s1, s31, v64
	v_cndmask_b32_e64 v99, 0, v99, s1
	;; [unrolled: 2-line block ×8, first 2 shown]
.LBB355_927:                            ;   in Loop: Header=BB355_554 Depth=1
	s_or_b32 exec_lo, exec_lo, s21
	global_load_dwordx2 v[17:18], v[15:16], off offset:1536
	v_mov_b32_e32 v102, 0
	v_mov_b32_e32 v101, 0
	s_waitcnt vmcnt(0)
	v_cmp_ne_u16_sdwa s1, v17, v10 src0_sel:BYTE_0 src1_sel:DWORD
	s_and_saveexec_b32 s21, s1
	s_cbranch_execz .LBB355_933
; %bb.928:                              ;   in Loop: Header=BB355_554 Depth=1
	v_cmp_ne_u16_sdwa s1, v17, v26 src0_sel:BYTE_0 src1_sel:DWORD
	v_bfrev_b32_e32 v101, 1
	s_and_saveexec_b32 s22, s1
	s_cbranch_execz .LBB355_932
; %bb.929:                              ;   in Loop: Header=BB355_554 Depth=1
	v_and_b32_e32 v9, 0x7f, v17
	v_mov_b32_e32 v101, 0x7f800001
	s_mov_b32 s24, exec_lo
	v_cmpx_ne_u32_e32 0x7f, v9
	s_cbranch_execz .LBB355_931
; %bb.930:                              ;   in Loop: Header=BB355_554 Depth=1
	v_and_b32_e32 v0, 7, v17
	v_cmp_gt_u32_e64 s1, 8, v9
	v_lshrrev_b32_e32 v19, 3, v9
	v_ffbh_u32_e32 v0, v0
	v_min_u32_e32 v0, 32, v0
	v_subrev_nc_u32_e32 v20, 28, v0
	v_sub_nc_u32_e32 v0, 29, v0
	v_cndmask_b32_e64 v9, 0, v20, s1
	v_cndmask_b32_e64 v0, v19, v0, s1
	v_lshlrev_b64 v[19:20], v9, v[17:18]
	v_lshlrev_b32_e32 v9, 24, v17
	v_lshl_add_u32 v0, v0, 23, 0x3c000000
	v_and_b32_e32 v9, 0x80000000, v9
	v_lshlrev_b32_e32 v19, 20, v19
	v_and_b32_e32 v19, 0x700000, v19
	v_or3_b32 v101, v19, v9, v0
.LBB355_931:                            ;   in Loop: Header=BB355_554 Depth=1
	s_or_b32 exec_lo, exec_lo, s24
.LBB355_932:                            ;   in Loop: Header=BB355_554 Depth=1
	s_or_b32 exec_lo, exec_lo, s22
.LBB355_933:                            ;   in Loop: Header=BB355_554 Depth=1
	s_or_b32 exec_lo, exec_lo, s21
	v_cmp_ne_u16_sdwa s1, v17, v10 src0_sel:BYTE_1 src1_sel:DWORD
	s_and_saveexec_b32 s21, s1
	s_cbranch_execz .LBB355_941
; %bb.934:                              ;   in Loop: Header=BB355_554 Depth=1
	v_cmp_ne_u16_sdwa s1, v17, v26 src0_sel:BYTE_1 src1_sel:DWORD
	v_bfrev_b32_e32 v102, 1
	s_and_saveexec_b32 s22, s1
	s_cbranch_execz .LBB355_940
; %bb.935:                              ;   in Loop: Header=BB355_554 Depth=1
	v_and_b32_sdwa v9, v34, v17 dst_sel:DWORD dst_unused:UNUSED_PAD src0_sel:DWORD src1_sel:BYTE_1
	v_mov_b32_e32 v102, 0x7f800001
	s_mov_b32 s24, exec_lo
	v_and_b32_e32 v20, 0x7f, v9
	v_cmpx_ne_u32_e32 0x7f, v20
	s_cbranch_execz .LBB355_939
; %bb.936:                              ;   in Loop: Header=BB355_554 Depth=1
	v_and_b32_e32 v9, 7, v9
	v_lshrrev_b32_e32 v19, 3, v20
	s_mov_b32 s25, exec_lo
	v_cmpx_gt_u32_e32 8, v20
; %bb.937:                              ;   in Loop: Header=BB355_554 Depth=1
	v_ffbh_u32_e32 v0, v9
	v_min_u32_e32 v0, 32, v0
	v_subrev_nc_u32_e32 v19, 28, v0
	v_lshlrev_b64 v[35:36], v19, v[9:10]
	v_sub_nc_u32_e32 v19, 29, v0
	v_and_b32_e32 v9, 7, v35
; %bb.938:                              ;   in Loop: Header=BB355_554 Depth=1
	s_or_b32 exec_lo, exec_lo, s25
	v_lshlrev_b32_e32 v0, 16, v17
	v_lshlrev_b32_e32 v9, 20, v9
	v_lshl_add_u32 v19, v19, 23, 0x3c000000
	v_and_b32_e32 v0, 0x80000000, v0
	v_or3_b32 v102, v9, v0, v19
.LBB355_939:                            ;   in Loop: Header=BB355_554 Depth=1
	s_or_b32 exec_lo, exec_lo, s24
.LBB355_940:                            ;   in Loop: Header=BB355_554 Depth=1
	s_or_b32 exec_lo, exec_lo, s22
.LBB355_941:                            ;   in Loop: Header=BB355_554 Depth=1
	s_or_b32 exec_lo, exec_lo, s21
	v_and_b32_sdwa v9, v17, v39 dst_sel:DWORD dst_unused:UNUSED_PAD src0_sel:WORD_1 src1_sel:DWORD
	v_mov_b32_e32 v103, 0
	v_mov_b32_e32 v100, 0
	s_mov_b32 s21, exec_lo
	v_cmpx_ne_u16_e32 0, v9
	s_cbranch_execz .LBB355_949
; %bb.942:                              ;   in Loop: Header=BB355_554 Depth=1
	v_bfrev_b32_e32 v100, 1
	s_mov_b32 s22, exec_lo
	v_cmpx_ne_u16_e32 0x80, v9
	s_cbranch_execz .LBB355_948
; %bb.943:                              ;   in Loop: Header=BB355_554 Depth=1
	v_bfe_u32 v20, v17, 16, 7
	v_mov_b32_e32 v100, 0x7f800001
	s_mov_b32 s24, exec_lo
	v_cmpx_ne_u32_e32 0x7f, v20
	s_cbranch_execz .LBB355_947
; %bb.944:                              ;   in Loop: Header=BB355_554 Depth=1
	v_and_b32_sdwa v9, v17, v40 dst_sel:DWORD dst_unused:UNUSED_PAD src0_sel:WORD_1 src1_sel:DWORD
	v_lshrrev_b32_e32 v19, 3, v20
	s_mov_b32 s25, exec_lo
	v_cmpx_gt_u32_e32 8, v20
; %bb.945:                              ;   in Loop: Header=BB355_554 Depth=1
	v_ffbh_u32_e32 v0, v9
	v_min_u32_e32 v0, 32, v0
	v_subrev_nc_u32_e32 v19, 28, v0
	v_lshlrev_b64 v[35:36], v19, v[9:10]
	v_sub_nc_u32_e32 v19, 29, v0
	v_and_b32_e32 v9, 7, v35
; %bb.946:                              ;   in Loop: Header=BB355_554 Depth=1
	s_or_b32 exec_lo, exec_lo, s25
	v_lshlrev_b32_sdwa v0, v41, v17 dst_sel:DWORD dst_unused:UNUSED_PAD src0_sel:DWORD src1_sel:WORD_1
	v_lshlrev_b32_e32 v9, 20, v9
	v_lshl_add_u32 v19, v19, 23, 0x3c000000
	v_and_b32_e32 v0, 0x80000000, v0
	v_or3_b32 v100, v9, v0, v19
.LBB355_947:                            ;   in Loop: Header=BB355_554 Depth=1
	s_or_b32 exec_lo, exec_lo, s24
.LBB355_948:                            ;   in Loop: Header=BB355_554 Depth=1
	s_or_b32 exec_lo, exec_lo, s22
.LBB355_949:                            ;   in Loop: Header=BB355_554 Depth=1
	s_or_b32 exec_lo, exec_lo, s21
	s_mov_b32 s21, exec_lo
	v_cmpx_lt_u32_e32 0xffffff, v17
	s_cbranch_execz .LBB355_957
; %bb.950:                              ;   in Loop: Header=BB355_554 Depth=1
	v_cmp_ne_u32_sdwa s1, v17, v26 src0_sel:BYTE_3 src1_sel:DWORD
	v_bfrev_b32_e32 v103, 1
	s_and_saveexec_b32 s22, s1
	s_cbranch_execz .LBB355_956
; %bb.951:                              ;   in Loop: Header=BB355_554 Depth=1
	v_bfe_u32 v20, v17, 24, 7
	v_mov_b32_e32 v103, 0x7f800001
	s_mov_b32 s24, exec_lo
	v_cmpx_ne_u32_e32 0x7f, v20
	s_cbranch_execz .LBB355_955
; %bb.952:                              ;   in Loop: Header=BB355_554 Depth=1
	v_and_b32_sdwa v9, v17, v40 dst_sel:DWORD dst_unused:UNUSED_PAD src0_sel:BYTE_3 src1_sel:DWORD
	v_lshrrev_b32_e32 v19, 3, v20
	s_mov_b32 s25, exec_lo
	v_cmpx_gt_u32_e32 8, v20
; %bb.953:                              ;   in Loop: Header=BB355_554 Depth=1
	v_ffbh_u32_e32 v0, v9
	v_min_u32_e32 v0, 32, v0
	v_subrev_nc_u32_e32 v19, 28, v0
	v_lshlrev_b64 v[35:36], v19, v[9:10]
	v_sub_nc_u32_e32 v19, 29, v0
	v_and_b32_e32 v9, 7, v35
; %bb.954:                              ;   in Loop: Header=BB355_554 Depth=1
	s_or_b32 exec_lo, exec_lo, s25
	v_lshlrev_b32_sdwa v0, v41, v17 dst_sel:DWORD dst_unused:UNUSED_PAD src0_sel:DWORD src1_sel:BYTE_3
	v_lshlrev_b32_e32 v9, 20, v9
	v_lshl_add_u32 v19, v19, 23, 0x3c000000
	v_and_b32_e32 v0, 0x80000000, v0
	v_or3_b32 v103, v9, v0, v19
.LBB355_955:                            ;   in Loop: Header=BB355_554 Depth=1
	s_or_b32 exec_lo, exec_lo, s24
.LBB355_956:                            ;   in Loop: Header=BB355_554 Depth=1
	s_or_b32 exec_lo, exec_lo, s22
.LBB355_957:                            ;   in Loop: Header=BB355_554 Depth=1
	s_or_b32 exec_lo, exec_lo, s21
	v_mov_b32_e32 v9, v18
	v_cmp_ne_u16_sdwa s1, v18, v10 src0_sel:BYTE_0 src1_sel:DWORD
	v_mov_b32_e32 v19, 0
	v_mov_b32_e32 v35, 0
	s_and_saveexec_b32 s21, s1
	s_cbranch_execz .LBB355_963
; %bb.958:                              ;   in Loop: Header=BB355_554 Depth=1
	v_cmp_ne_u16_sdwa s1, v18, v26 src0_sel:BYTE_0 src1_sel:DWORD
	v_bfrev_b32_e32 v35, 1
	s_and_saveexec_b32 s22, s1
	s_cbranch_execz .LBB355_962
; %bb.959:                              ;   in Loop: Header=BB355_554 Depth=1
	v_and_b32_e32 v20, 0x7f, v18
	v_mov_b32_e32 v35, 0x7f800001
	s_mov_b32 s24, exec_lo
	v_cmpx_ne_u32_e32 0x7f, v20
	s_cbranch_execz .LBB355_961
; %bb.960:                              ;   in Loop: Header=BB355_554 Depth=1
	v_and_b32_e32 v0, 7, v18
	v_cmp_gt_u32_e64 s1, 8, v20
	v_lshrrev_b32_e32 v35, 3, v20
	v_ffbh_u32_e32 v0, v0
	v_min_u32_e32 v0, 32, v0
	v_subrev_nc_u32_e32 v36, 28, v0
	v_sub_nc_u32_e32 v0, 29, v0
	v_cndmask_b32_e64 v20, 0, v36, s1
	v_cndmask_b32_e64 v0, v35, v0, s1
	v_lshlrev_b64 v[35:36], v20, v[9:10]
	v_lshlrev_b32_e32 v20, 24, v9
	v_lshl_add_u32 v0, v0, 23, 0x3c000000
	v_and_b32_e32 v20, 0x80000000, v20
	v_lshlrev_b32_e32 v35, 20, v35
	v_and_b32_e32 v35, 0x700000, v35
	v_or3_b32 v35, v35, v20, v0
.LBB355_961:                            ;   in Loop: Header=BB355_554 Depth=1
	s_or_b32 exec_lo, exec_lo, s24
.LBB355_962:                            ;   in Loop: Header=BB355_554 Depth=1
	s_or_b32 exec_lo, exec_lo, s22
.LBB355_963:                            ;   in Loop: Header=BB355_554 Depth=1
	s_or_b32 exec_lo, exec_lo, s21
	v_cmp_ne_u16_sdwa s1, v9, v10 src0_sel:BYTE_1 src1_sel:DWORD
	s_and_saveexec_b32 s21, s1
	s_cbranch_execz .LBB355_971
; %bb.964:                              ;   in Loop: Header=BB355_554 Depth=1
	v_cmp_ne_u16_sdwa s1, v9, v26 src0_sel:BYTE_1 src1_sel:DWORD
	v_bfrev_b32_e32 v19, 1
	s_and_saveexec_b32 s22, s1
	s_cbranch_execz .LBB355_970
; %bb.965:                              ;   in Loop: Header=BB355_554 Depth=1
	v_and_b32_sdwa v20, v34, v9 dst_sel:DWORD dst_unused:UNUSED_PAD src0_sel:DWORD src1_sel:BYTE_1
	v_mov_b32_e32 v19, 0x7f800001
	s_mov_b32 s24, exec_lo
	v_and_b32_e32 v37, 0x7f, v20
	v_cmpx_ne_u32_e32 0x7f, v37
	s_cbranch_execz .LBB355_969
; %bb.966:                              ;   in Loop: Header=BB355_554 Depth=1
	v_and_b32_e32 v19, 7, v20
	v_mov_b32_e32 v20, v10
	v_lshrrev_b32_e32 v36, 3, v37
	s_mov_b32 s25, exec_lo
	v_cmpx_gt_u32_e32 8, v37
; %bb.967:                              ;   in Loop: Header=BB355_554 Depth=1
	v_ffbh_u32_e32 v0, v19
	v_min_u32_e32 v0, 32, v0
	v_subrev_nc_u32_e32 v36, 28, v0
	v_lshlrev_b64 v[19:20], v36, v[19:20]
	v_sub_nc_u32_e32 v36, 29, v0
	v_and_b32_e32 v19, 7, v19
; %bb.968:                              ;   in Loop: Header=BB355_554 Depth=1
	s_or_b32 exec_lo, exec_lo, s25
	v_lshlrev_b32_e32 v0, 16, v9
	v_lshlrev_b32_e32 v9, 20, v19
	v_lshl_add_u32 v19, v36, 23, 0x3c000000
	v_and_b32_e32 v0, 0x80000000, v0
	v_or3_b32 v19, v9, v0, v19
.LBB355_969:                            ;   in Loop: Header=BB355_554 Depth=1
	s_or_b32 exec_lo, exec_lo, s24
.LBB355_970:                            ;   in Loop: Header=BB355_554 Depth=1
	s_or_b32 exec_lo, exec_lo, s22
.LBB355_971:                            ;   in Loop: Header=BB355_554 Depth=1
	s_or_b32 exec_lo, exec_lo, s21
	v_and_b32_sdwa v9, v18, v39 dst_sel:DWORD dst_unused:UNUSED_PAD src0_sel:WORD_1 src1_sel:DWORD
	v_mov_b32_e32 v36, 0
	v_mov_b32_e32 v37, 0
	s_mov_b32 s21, exec_lo
	v_cmpx_ne_u16_e32 0, v9
	s_cbranch_execz .LBB355_979
; %bb.972:                              ;   in Loop: Header=BB355_554 Depth=1
	v_bfrev_b32_e32 v37, 1
	s_mov_b32 s22, exec_lo
	v_cmpx_ne_u16_e32 0x80, v9
	s_cbranch_execz .LBB355_978
; %bb.973:                              ;   in Loop: Header=BB355_554 Depth=1
	v_bfe_u32 v104, v18, 16, 7
	v_mov_b32_e32 v37, 0x7f800001
	s_mov_b32 s24, exec_lo
	v_cmpx_ne_u32_e32 0x7f, v104
	s_cbranch_execz .LBB355_977
; %bb.974:                              ;   in Loop: Header=BB355_554 Depth=1
	v_and_b32_sdwa v9, v18, v40 dst_sel:DWORD dst_unused:UNUSED_PAD src0_sel:WORD_1 src1_sel:DWORD
	v_lshrrev_b32_e32 v20, 3, v104
	s_mov_b32 s25, exec_lo
	v_cmpx_gt_u32_e32 8, v104
; %bb.975:                              ;   in Loop: Header=BB355_554 Depth=1
	v_ffbh_u32_e32 v0, v9
	v_min_u32_e32 v0, 32, v0
	v_subrev_nc_u32_e32 v20, 28, v0
	v_lshlrev_b64 v[104:105], v20, v[9:10]
	v_sub_nc_u32_e32 v20, 29, v0
	v_and_b32_e32 v9, 7, v104
; %bb.976:                              ;   in Loop: Header=BB355_554 Depth=1
	s_or_b32 exec_lo, exec_lo, s25
	v_lshlrev_b32_sdwa v0, v41, v18 dst_sel:DWORD dst_unused:UNUSED_PAD src0_sel:DWORD src1_sel:WORD_1
	v_lshlrev_b32_e32 v9, 20, v9
	v_lshl_add_u32 v20, v20, 23, 0x3c000000
	v_and_b32_e32 v0, 0x80000000, v0
	v_or3_b32 v37, v9, v0, v20
.LBB355_977:                            ;   in Loop: Header=BB355_554 Depth=1
	s_or_b32 exec_lo, exec_lo, s24
.LBB355_978:                            ;   in Loop: Header=BB355_554 Depth=1
	s_or_b32 exec_lo, exec_lo, s22
.LBB355_979:                            ;   in Loop: Header=BB355_554 Depth=1
	s_or_b32 exec_lo, exec_lo, s21
	s_mov_b32 s21, exec_lo
	v_cmpx_lt_u64_e64 s[4:5], v[17:18]
	s_cbranch_execz .LBB355_987
; %bb.980:                              ;   in Loop: Header=BB355_554 Depth=1
	v_cmp_ne_u32_sdwa s1, v18, v26 src0_sel:BYTE_3 src1_sel:DWORD
	v_bfrev_b32_e32 v36, 1
	s_and_saveexec_b32 s22, s1
	s_cbranch_execz .LBB355_986
; %bb.981:                              ;   in Loop: Header=BB355_554 Depth=1
	v_bfe_u32 v20, v18, 24, 7
	v_mov_b32_e32 v36, 0x7f800001
	s_mov_b32 s24, exec_lo
	v_cmpx_ne_u32_e32 0x7f, v20
	s_cbranch_execz .LBB355_985
; %bb.982:                              ;   in Loop: Header=BB355_554 Depth=1
	v_and_b32_sdwa v9, v18, v40 dst_sel:DWORD dst_unused:UNUSED_PAD src0_sel:BYTE_3 src1_sel:DWORD
	v_lshrrev_b32_e32 v17, 3, v20
	s_mov_b32 s25, exec_lo
	v_cmpx_gt_u32_e32 8, v20
; %bb.983:                              ;   in Loop: Header=BB355_554 Depth=1
	v_ffbh_u32_e32 v0, v9
	v_min_u32_e32 v0, 32, v0
	v_subrev_nc_u32_e32 v17, 28, v0
	v_lshlrev_b64 v[104:105], v17, v[9:10]
	v_sub_nc_u32_e32 v17, 29, v0
	v_and_b32_e32 v9, 7, v104
; %bb.984:                              ;   in Loop: Header=BB355_554 Depth=1
	s_or_b32 exec_lo, exec_lo, s25
	v_lshlrev_b32_sdwa v0, v41, v18 dst_sel:DWORD dst_unused:UNUSED_PAD src0_sel:DWORD src1_sel:BYTE_3
	v_lshlrev_b32_e32 v9, 20, v9
	v_lshl_add_u32 v17, v17, 23, 0x3c000000
	v_and_b32_e32 v0, 0x80000000, v0
	v_or3_b32 v36, v9, v0, v17
.LBB355_985:                            ;   in Loop: Header=BB355_554 Depth=1
	s_or_b32 exec_lo, exec_lo, s24
.LBB355_986:                            ;   in Loop: Header=BB355_554 Depth=1
	s_or_b32 exec_lo, exec_lo, s22
.LBB355_987:                            ;   in Loop: Header=BB355_554 Depth=1
	s_or_b32 exec_lo, exec_lo, s21
	v_mul_f32_e32 v0, s18, v19
	v_mul_f32_e32 v9, s18, v35
	;; [unrolled: 1-line block ×5, first 2 shown]
	v_bfe_u32 v19, v0, 16, 1
	v_or_b32_e32 v20, 0x400000, v0
	v_bfe_u32 v35, v9, 16, 1
	v_cmp_u_f32_e64 s1, v0, v0
	v_or_b32_e32 v100, 0x400000, v9
	v_add3_u32 v19, v19, v0, 0x7fff
	v_bfe_u32 v103, v17, 16, 1
	v_add3_u32 v35, v35, v9, 0x7fff
	v_or_b32_e32 v104, 0x400000, v17
	v_bfe_u32 v105, v18, 16, 1
	v_cndmask_b32_e64 v0, v19, v20, s1
	v_cmp_u_f32_e64 s1, v9, v9
	v_add3_u32 v103, v103, v17, 0x7fff
	v_add3_u32 v19, v105, v18, 0x7fff
	v_cndmask_b32_e64 v9, v35, v100, s1
	v_cmp_u_f32_e64 s1, v17, v17
	v_lshrrev_b32_e32 v100, 16, v0
	v_mul_f32_e32 v0, s18, v102
	v_or_b32_e32 v35, 0x400000, v18
	v_lshrrev_b32_e32 v20, 16, v9
	v_cndmask_b32_e64 v17, v103, v104, s1
	v_cmp_u_f32_e64 s1, v18, v18
	v_bfe_u32 v9, v0, 16, 1
	v_mul_f32_e32 v18, s18, v101
	v_or_b32_e32 v103, 0x400000, v36
	v_lshrrev_b32_e32 v105, 16, v17
	v_cndmask_b32_e64 v17, v19, v35, s1
	v_mul_f32_e32 v19, s18, v37
	v_add3_u32 v9, v9, v0, 0x7fff
	v_or_b32_e32 v35, 0x400000, v0
	v_bfe_u32 v37, v18, 16, 1
	v_cmp_u_f32_e64 s1, v0, v0
	v_bfe_u32 v101, v19, 16, 1
	v_or_b32_e32 v102, 0x400000, v19
	v_lshrrev_b32_e32 v106, 16, v17
	v_cndmask_b32_e64 v0, v9, v35, s1
	v_add3_u32 v35, v37, v18, 0x7fff
	v_or_b32_e32 v37, 0x400000, v18
	v_cmp_u_f32_e64 s1, v18, v18
	v_bfe_u32 v9, v36, 16, 1
	v_add3_u32 v101, v101, v19, 0x7fff
	v_lshrrev_b32_e32 v108, 16, v0
	v_cndmask_b32_e64 v18, v35, v37, s1
	v_cmp_u_f32_e64 s1, v19, v19
	v_add3_u32 v9, v9, v36, 0x7fff
	v_lshrrev_b32_e32 v107, 16, v18
	v_cndmask_b32_e64 v19, v101, v102, s1
	v_cmp_u_f32_e64 s1, v36, v36
	v_cndmask_b32_e64 v9, v9, v103, s1
	v_lshrrev_b32_e32 v103, 16, v19
	v_lshrrev_b32_e32 v104, 16, v9
	s_and_saveexec_b32 s21, vcc_lo
	s_cbranch_execz .LBB355_989
; %bb.988:                              ;   in Loop: Header=BB355_554 Depth=1
	v_cmp_gt_i32_e64 s1, s31, v52
	v_cndmask_b32_e64 v107, 0, v107, s1
	v_cmp_gt_i32_e64 s1, s31, v64
	v_cndmask_b32_e64 v108, 0, v108, s1
	;; [unrolled: 2-line block ×8, first 2 shown]
.LBB355_989:                            ;   in Loop: Header=BB355_554 Depth=1
	s_or_b32 exec_lo, exec_lo, s21
	global_load_dwordx2 v[15:16], v[15:16], off offset:1792
	v_mov_b32_e32 v101, 0
	v_mov_b32_e32 v19, 0
	s_waitcnt vmcnt(0)
	v_cmp_ne_u16_sdwa s1, v15, v10 src0_sel:BYTE_0 src1_sel:DWORD
	s_and_saveexec_b32 s21, s1
	s_cbranch_execz .LBB355_995
; %bb.990:                              ;   in Loop: Header=BB355_554 Depth=1
	v_cmp_ne_u16_sdwa s1, v15, v26 src0_sel:BYTE_0 src1_sel:DWORD
	v_bfrev_b32_e32 v19, 1
	s_and_saveexec_b32 s22, s1
	s_cbranch_execz .LBB355_994
; %bb.991:                              ;   in Loop: Header=BB355_554 Depth=1
	v_and_b32_e32 v9, 0x7f, v15
	v_mov_b32_e32 v19, 0x7f800001
	s_mov_b32 s24, exec_lo
	v_cmpx_ne_u32_e32 0x7f, v9
	s_cbranch_execz .LBB355_993
; %bb.992:                              ;   in Loop: Header=BB355_554 Depth=1
	v_and_b32_e32 v0, 7, v15
	v_cmp_gt_u32_e64 s1, 8, v9
	v_lshrrev_b32_e32 v17, 3, v9
	v_ffbh_u32_e32 v0, v0
	v_min_u32_e32 v0, 32, v0
	v_subrev_nc_u32_e32 v18, 28, v0
	v_sub_nc_u32_e32 v0, 29, v0
	v_cndmask_b32_e64 v9, 0, v18, s1
	v_cndmask_b32_e64 v0, v17, v0, s1
	v_lshlrev_b64 v[17:18], v9, v[15:16]
	v_lshlrev_b32_e32 v9, 24, v15
	v_lshl_add_u32 v0, v0, 23, 0x3c000000
	v_and_b32_e32 v9, 0x80000000, v9
	v_lshlrev_b32_e32 v17, 20, v17
	v_and_b32_e32 v17, 0x700000, v17
	v_or3_b32 v19, v17, v9, v0
.LBB355_993:                            ;   in Loop: Header=BB355_554 Depth=1
	s_or_b32 exec_lo, exec_lo, s24
.LBB355_994:                            ;   in Loop: Header=BB355_554 Depth=1
	s_or_b32 exec_lo, exec_lo, s22
.LBB355_995:                            ;   in Loop: Header=BB355_554 Depth=1
	s_or_b32 exec_lo, exec_lo, s21
	v_cmp_ne_u16_sdwa s1, v15, v10 src0_sel:BYTE_1 src1_sel:DWORD
	s_and_saveexec_b32 s21, s1
	s_cbranch_execz .LBB355_1003
; %bb.996:                              ;   in Loop: Header=BB355_554 Depth=1
	v_cmp_ne_u16_sdwa s1, v15, v26 src0_sel:BYTE_1 src1_sel:DWORD
	v_bfrev_b32_e32 v101, 1
	s_and_saveexec_b32 s22, s1
	s_cbranch_execz .LBB355_1002
; %bb.997:                              ;   in Loop: Header=BB355_554 Depth=1
	v_and_b32_sdwa v9, v34, v15 dst_sel:DWORD dst_unused:UNUSED_PAD src0_sel:DWORD src1_sel:BYTE_1
	v_mov_b32_e32 v101, 0x7f800001
	s_mov_b32 s24, exec_lo
	v_and_b32_e32 v18, 0x7f, v9
	v_cmpx_ne_u32_e32 0x7f, v18
	s_cbranch_execz .LBB355_1001
; %bb.998:                              ;   in Loop: Header=BB355_554 Depth=1
	v_and_b32_e32 v9, 7, v9
	v_lshrrev_b32_e32 v17, 3, v18
	s_mov_b32 s25, exec_lo
	v_cmpx_gt_u32_e32 8, v18
; %bb.999:                              ;   in Loop: Header=BB355_554 Depth=1
	v_ffbh_u32_e32 v0, v9
	v_min_u32_e32 v0, 32, v0
	v_subrev_nc_u32_e32 v17, 28, v0
	v_lshlrev_b64 v[35:36], v17, v[9:10]
	v_sub_nc_u32_e32 v17, 29, v0
	v_and_b32_e32 v9, 7, v35
; %bb.1000:                             ;   in Loop: Header=BB355_554 Depth=1
	s_or_b32 exec_lo, exec_lo, s25
	v_lshlrev_b32_e32 v0, 16, v15
	v_lshlrev_b32_e32 v9, 20, v9
	v_lshl_add_u32 v17, v17, 23, 0x3c000000
	v_and_b32_e32 v0, 0x80000000, v0
	v_or3_b32 v101, v9, v0, v17
.LBB355_1001:                           ;   in Loop: Header=BB355_554 Depth=1
	s_or_b32 exec_lo, exec_lo, s24
.LBB355_1002:                           ;   in Loop: Header=BB355_554 Depth=1
	s_or_b32 exec_lo, exec_lo, s22
.LBB355_1003:                           ;   in Loop: Header=BB355_554 Depth=1
	s_or_b32 exec_lo, exec_lo, s21
	v_and_b32_sdwa v9, v15, v39 dst_sel:DWORD dst_unused:UNUSED_PAD src0_sel:WORD_1 src1_sel:DWORD
	v_mov_b32_e32 v109, 0
	v_mov_b32_e32 v102, 0
	s_mov_b32 s21, exec_lo
	v_cmpx_ne_u16_e32 0, v9
	s_cbranch_execz .LBB355_1011
; %bb.1004:                             ;   in Loop: Header=BB355_554 Depth=1
	v_bfrev_b32_e32 v102, 1
	s_mov_b32 s22, exec_lo
	v_cmpx_ne_u16_e32 0x80, v9
	s_cbranch_execz .LBB355_1010
; %bb.1005:                             ;   in Loop: Header=BB355_554 Depth=1
	v_bfe_u32 v18, v15, 16, 7
	v_mov_b32_e32 v102, 0x7f800001
	s_mov_b32 s24, exec_lo
	v_cmpx_ne_u32_e32 0x7f, v18
	s_cbranch_execz .LBB355_1009
; %bb.1006:                             ;   in Loop: Header=BB355_554 Depth=1
	v_and_b32_sdwa v9, v15, v40 dst_sel:DWORD dst_unused:UNUSED_PAD src0_sel:WORD_1 src1_sel:DWORD
	v_lshrrev_b32_e32 v17, 3, v18
	s_mov_b32 s25, exec_lo
	v_cmpx_gt_u32_e32 8, v18
; %bb.1007:                             ;   in Loop: Header=BB355_554 Depth=1
	v_ffbh_u32_e32 v0, v9
	v_min_u32_e32 v0, 32, v0
	v_subrev_nc_u32_e32 v17, 28, v0
	v_lshlrev_b64 v[35:36], v17, v[9:10]
	v_sub_nc_u32_e32 v17, 29, v0
	v_and_b32_e32 v9, 7, v35
; %bb.1008:                             ;   in Loop: Header=BB355_554 Depth=1
	s_or_b32 exec_lo, exec_lo, s25
	v_lshlrev_b32_sdwa v0, v41, v15 dst_sel:DWORD dst_unused:UNUSED_PAD src0_sel:DWORD src1_sel:WORD_1
	v_lshlrev_b32_e32 v9, 20, v9
	v_lshl_add_u32 v17, v17, 23, 0x3c000000
	v_and_b32_e32 v0, 0x80000000, v0
	v_or3_b32 v102, v9, v0, v17
.LBB355_1009:                           ;   in Loop: Header=BB355_554 Depth=1
	s_or_b32 exec_lo, exec_lo, s24
.LBB355_1010:                           ;   in Loop: Header=BB355_554 Depth=1
	s_or_b32 exec_lo, exec_lo, s22
.LBB355_1011:                           ;   in Loop: Header=BB355_554 Depth=1
	s_or_b32 exec_lo, exec_lo, s21
	s_mov_b32 s21, exec_lo
	v_cmpx_lt_u32_e32 0xffffff, v15
	s_cbranch_execz .LBB355_1019
; %bb.1012:                             ;   in Loop: Header=BB355_554 Depth=1
	v_cmp_ne_u32_sdwa s1, v15, v26 src0_sel:BYTE_3 src1_sel:DWORD
	v_bfrev_b32_e32 v109, 1
	s_and_saveexec_b32 s22, s1
	s_cbranch_execz .LBB355_1018
; %bb.1013:                             ;   in Loop: Header=BB355_554 Depth=1
	v_bfe_u32 v18, v15, 24, 7
	v_mov_b32_e32 v109, 0x7f800001
	s_mov_b32 s24, exec_lo
	v_cmpx_ne_u32_e32 0x7f, v18
	s_cbranch_execz .LBB355_1017
; %bb.1014:                             ;   in Loop: Header=BB355_554 Depth=1
	v_and_b32_sdwa v9, v15, v40 dst_sel:DWORD dst_unused:UNUSED_PAD src0_sel:BYTE_3 src1_sel:DWORD
	v_lshrrev_b32_e32 v17, 3, v18
	s_mov_b32 s25, exec_lo
	v_cmpx_gt_u32_e32 8, v18
; %bb.1015:                             ;   in Loop: Header=BB355_554 Depth=1
	v_ffbh_u32_e32 v0, v9
	v_min_u32_e32 v0, 32, v0
	v_subrev_nc_u32_e32 v17, 28, v0
	v_lshlrev_b64 v[35:36], v17, v[9:10]
	v_sub_nc_u32_e32 v17, 29, v0
	v_and_b32_e32 v9, 7, v35
; %bb.1016:                             ;   in Loop: Header=BB355_554 Depth=1
	s_or_b32 exec_lo, exec_lo, s25
	v_lshlrev_b32_sdwa v0, v41, v15 dst_sel:DWORD dst_unused:UNUSED_PAD src0_sel:DWORD src1_sel:BYTE_3
	v_lshlrev_b32_e32 v9, 20, v9
	v_lshl_add_u32 v17, v17, 23, 0x3c000000
	v_and_b32_e32 v0, 0x80000000, v0
	v_or3_b32 v109, v9, v0, v17
.LBB355_1017:                           ;   in Loop: Header=BB355_554 Depth=1
	s_or_b32 exec_lo, exec_lo, s24
.LBB355_1018:                           ;   in Loop: Header=BB355_554 Depth=1
	s_or_b32 exec_lo, exec_lo, s22
.LBB355_1019:                           ;   in Loop: Header=BB355_554 Depth=1
	s_or_b32 exec_lo, exec_lo, s21
	v_mov_b32_e32 v9, v16
	v_cmp_ne_u16_sdwa s1, v16, v10 src0_sel:BYTE_0 src1_sel:DWORD
	v_mov_b32_e32 v17, 0
	v_mov_b32_e32 v35, 0
	s_and_saveexec_b32 s21, s1
	s_cbranch_execz .LBB355_1025
; %bb.1020:                             ;   in Loop: Header=BB355_554 Depth=1
	v_cmp_ne_u16_sdwa s1, v16, v26 src0_sel:BYTE_0 src1_sel:DWORD
	v_bfrev_b32_e32 v35, 1
	s_and_saveexec_b32 s22, s1
	s_cbranch_execz .LBB355_1024
; %bb.1021:                             ;   in Loop: Header=BB355_554 Depth=1
	v_and_b32_e32 v18, 0x7f, v16
	v_mov_b32_e32 v35, 0x7f800001
	s_mov_b32 s24, exec_lo
	v_cmpx_ne_u32_e32 0x7f, v18
	s_cbranch_execz .LBB355_1023
; %bb.1022:                             ;   in Loop: Header=BB355_554 Depth=1
	v_and_b32_e32 v0, 7, v16
	v_cmp_gt_u32_e64 s1, 8, v18
	v_lshrrev_b32_e32 v35, 3, v18
	v_ffbh_u32_e32 v0, v0
	v_min_u32_e32 v0, 32, v0
	v_subrev_nc_u32_e32 v36, 28, v0
	v_sub_nc_u32_e32 v0, 29, v0
	v_cndmask_b32_e64 v18, 0, v36, s1
	v_cndmask_b32_e64 v0, v35, v0, s1
	v_lshlrev_b64 v[35:36], v18, v[9:10]
	v_lshlrev_b32_e32 v18, 24, v9
	v_lshl_add_u32 v0, v0, 23, 0x3c000000
	v_and_b32_e32 v18, 0x80000000, v18
	v_lshlrev_b32_e32 v35, 20, v35
	v_and_b32_e32 v35, 0x700000, v35
	v_or3_b32 v35, v35, v18, v0
.LBB355_1023:                           ;   in Loop: Header=BB355_554 Depth=1
	s_or_b32 exec_lo, exec_lo, s24
.LBB355_1024:                           ;   in Loop: Header=BB355_554 Depth=1
	s_or_b32 exec_lo, exec_lo, s22
.LBB355_1025:                           ;   in Loop: Header=BB355_554 Depth=1
	s_or_b32 exec_lo, exec_lo, s21
	v_cmp_ne_u16_sdwa s1, v9, v10 src0_sel:BYTE_1 src1_sel:DWORD
	s_and_saveexec_b32 s21, s1
	s_cbranch_execz .LBB355_1033
; %bb.1026:                             ;   in Loop: Header=BB355_554 Depth=1
	v_cmp_ne_u16_sdwa s1, v9, v26 src0_sel:BYTE_1 src1_sel:DWORD
	v_bfrev_b32_e32 v17, 1
	s_and_saveexec_b32 s22, s1
	s_cbranch_execz .LBB355_1032
; %bb.1027:                             ;   in Loop: Header=BB355_554 Depth=1
	v_and_b32_sdwa v18, v34, v9 dst_sel:DWORD dst_unused:UNUSED_PAD src0_sel:DWORD src1_sel:BYTE_1
	v_mov_b32_e32 v17, 0x7f800001
	s_mov_b32 s24, exec_lo
	v_and_b32_e32 v37, 0x7f, v18
	v_cmpx_ne_u32_e32 0x7f, v37
	s_cbranch_execz .LBB355_1031
; %bb.1028:                             ;   in Loop: Header=BB355_554 Depth=1
	v_and_b32_e32 v17, 7, v18
	v_mov_b32_e32 v18, v10
	v_lshrrev_b32_e32 v36, 3, v37
	s_mov_b32 s25, exec_lo
	v_cmpx_gt_u32_e32 8, v37
; %bb.1029:                             ;   in Loop: Header=BB355_554 Depth=1
	v_ffbh_u32_e32 v0, v17
	v_min_u32_e32 v0, 32, v0
	v_subrev_nc_u32_e32 v36, 28, v0
	v_lshlrev_b64 v[17:18], v36, v[17:18]
	v_sub_nc_u32_e32 v36, 29, v0
	v_and_b32_e32 v17, 7, v17
; %bb.1030:                             ;   in Loop: Header=BB355_554 Depth=1
	s_or_b32 exec_lo, exec_lo, s25
	v_lshlrev_b32_e32 v0, 16, v9
	v_lshlrev_b32_e32 v9, 20, v17
	v_lshl_add_u32 v17, v36, 23, 0x3c000000
	v_and_b32_e32 v0, 0x80000000, v0
	v_or3_b32 v17, v9, v0, v17
.LBB355_1031:                           ;   in Loop: Header=BB355_554 Depth=1
	s_or_b32 exec_lo, exec_lo, s24
.LBB355_1032:                           ;   in Loop: Header=BB355_554 Depth=1
	s_or_b32 exec_lo, exec_lo, s22
.LBB355_1033:                           ;   in Loop: Header=BB355_554 Depth=1
	s_or_b32 exec_lo, exec_lo, s21
	v_and_b32_sdwa v9, v16, v39 dst_sel:DWORD dst_unused:UNUSED_PAD src0_sel:WORD_1 src1_sel:DWORD
	v_mov_b32_e32 v18, 0
	v_mov_b32_e32 v36, 0
	s_mov_b32 s21, exec_lo
	v_cmpx_ne_u16_e32 0, v9
	s_cbranch_execz .LBB355_1041
; %bb.1034:                             ;   in Loop: Header=BB355_554 Depth=1
	v_bfrev_b32_e32 v36, 1
	s_mov_b32 s22, exec_lo
	v_cmpx_ne_u16_e32 0x80, v9
	s_cbranch_execz .LBB355_1040
; %bb.1035:                             ;   in Loop: Header=BB355_554 Depth=1
	v_bfe_u32 v37, v16, 16, 7
	v_mov_b32_e32 v36, 0x7f800001
	s_mov_b32 s24, exec_lo
	v_cmpx_ne_u32_e32 0x7f, v37
	s_cbranch_execz .LBB355_1039
; %bb.1036:                             ;   in Loop: Header=BB355_554 Depth=1
	v_and_b32_sdwa v9, v16, v40 dst_sel:DWORD dst_unused:UNUSED_PAD src0_sel:WORD_1 src1_sel:DWORD
	v_lshrrev_b32_e32 v36, 3, v37
	s_mov_b32 s25, exec_lo
	v_cmpx_gt_u32_e32 8, v37
; %bb.1037:                             ;   in Loop: Header=BB355_554 Depth=1
	v_ffbh_u32_e32 v0, v9
	v_min_u32_e32 v0, 32, v0
	v_subrev_nc_u32_e32 v36, 28, v0
	v_lshlrev_b64 v[110:111], v36, v[9:10]
	v_sub_nc_u32_e32 v36, 29, v0
	v_and_b32_e32 v9, 7, v110
; %bb.1038:                             ;   in Loop: Header=BB355_554 Depth=1
	s_or_b32 exec_lo, exec_lo, s25
	v_lshlrev_b32_sdwa v0, v41, v16 dst_sel:DWORD dst_unused:UNUSED_PAD src0_sel:DWORD src1_sel:WORD_1
	v_lshlrev_b32_e32 v9, 20, v9
	v_lshl_add_u32 v36, v36, 23, 0x3c000000
	v_and_b32_e32 v0, 0x80000000, v0
	v_or3_b32 v36, v9, v0, v36
.LBB355_1039:                           ;   in Loop: Header=BB355_554 Depth=1
	s_or_b32 exec_lo, exec_lo, s24
.LBB355_1040:                           ;   in Loop: Header=BB355_554 Depth=1
	s_or_b32 exec_lo, exec_lo, s22
.LBB355_1041:                           ;   in Loop: Header=BB355_554 Depth=1
	s_or_b32 exec_lo, exec_lo, s21
	s_mov_b32 s21, exec_lo
	v_cmpx_lt_u64_e64 s[4:5], v[15:16]
	s_cbranch_execz .LBB355_1049
; %bb.1042:                             ;   in Loop: Header=BB355_554 Depth=1
	v_cmp_ne_u32_sdwa s1, v16, v26 src0_sel:BYTE_3 src1_sel:DWORD
	v_bfrev_b32_e32 v18, 1
	s_and_saveexec_b32 s22, s1
	s_cbranch_execz .LBB355_1048
; %bb.1043:                             ;   in Loop: Header=BB355_554 Depth=1
	v_bfe_u32 v37, v16, 24, 7
	v_mov_b32_e32 v18, 0x7f800001
	s_mov_b32 s24, exec_lo
	v_cmpx_ne_u32_e32 0x7f, v37
	s_cbranch_execz .LBB355_1047
; %bb.1044:                             ;   in Loop: Header=BB355_554 Depth=1
	v_and_b32_sdwa v9, v16, v40 dst_sel:DWORD dst_unused:UNUSED_PAD src0_sel:BYTE_3 src1_sel:DWORD
	v_lshrrev_b32_e32 v15, 3, v37
	s_mov_b32 s25, exec_lo
	v_cmpx_gt_u32_e32 8, v37
; %bb.1045:                             ;   in Loop: Header=BB355_554 Depth=1
	v_ffbh_u32_e32 v0, v9
	v_min_u32_e32 v0, 32, v0
	v_subrev_nc_u32_e32 v15, 28, v0
	v_lshlrev_b64 v[110:111], v15, v[9:10]
	v_sub_nc_u32_e32 v15, 29, v0
	v_and_b32_e32 v9, 7, v110
; %bb.1046:                             ;   in Loop: Header=BB355_554 Depth=1
	s_or_b32 exec_lo, exec_lo, s25
	v_lshlrev_b32_sdwa v0, v41, v16 dst_sel:DWORD dst_unused:UNUSED_PAD src0_sel:DWORD src1_sel:BYTE_3
	v_lshlrev_b32_e32 v9, 20, v9
	v_lshl_add_u32 v15, v15, 23, 0x3c000000
	v_and_b32_e32 v0, 0x80000000, v0
	v_or3_b32 v18, v9, v0, v15
.LBB355_1047:                           ;   in Loop: Header=BB355_554 Depth=1
	s_or_b32 exec_lo, exec_lo, s24
.LBB355_1048:                           ;   in Loop: Header=BB355_554 Depth=1
	s_or_b32 exec_lo, exec_lo, s22
.LBB355_1049:                           ;   in Loop: Header=BB355_554 Depth=1
	s_or_b32 exec_lo, exec_lo, s21
	v_mul_f32_e32 v0, s18, v17
	v_mul_f32_e32 v9, s18, v35
	;; [unrolled: 1-line block ×5, first 2 shown]
	v_bfe_u32 v16, v0, 16, 1
	v_or_b32_e32 v35, 0x400000, v0
	v_bfe_u32 v37, v9, 16, 1
	v_cmp_u_f32_e64 s1, v0, v0
	v_or_b32_e32 v102, 0x400000, v9
	v_add3_u32 v16, v16, v0, 0x7fff
	v_bfe_u32 v109, v15, 16, 1
	v_add3_u32 v37, v37, v9, 0x7fff
	v_or_b32_e32 v110, 0x400000, v15
	v_bfe_u32 v111, v17, 16, 1
	v_cndmask_b32_e64 v0, v16, v35, s1
	v_cmp_u_f32_e64 s1, v9, v9
	v_add3_u32 v109, v109, v15, 0x7fff
	v_mul_f32_e32 v36, s18, v36
	v_mul_f32_e32 v18, s18, v18
	v_lshrrev_b32_e32 v9, 16, v0
	v_cndmask_b32_e64 v16, v37, v102, s1
	v_cmp_u_f32_e64 s1, v15, v15
	v_mul_f32_e32 v0, s18, v101
	v_add3_u32 v37, v111, v17, 0x7fff
	v_or_b32_e32 v101, 0x400000, v17
	v_lshrrev_b32_e32 v15, 16, v16
	v_cndmask_b32_e64 v35, v109, v110, s1
	v_cmp_u_f32_e64 s1, v17, v17
	v_bfe_u32 v102, v36, 16, 1
	v_or_b32_e32 v109, 0x400000, v36
	v_or_b32_e32 v110, 0x400000, v18
	v_lshrrev_b32_e32 v16, 16, v35
	v_bfe_u32 v35, v0, 16, 1
	v_cndmask_b32_e64 v17, v37, v101, s1
	v_or_b32_e32 v37, 0x400000, v0
	v_bfe_u32 v101, v19, 16, 1
	v_cmp_u_f32_e64 s1, v0, v0
	v_add3_u32 v35, v35, v0, 0x7fff
	v_add3_u32 v102, v102, v36, 0x7fff
	v_cndmask_b32_e64 v0, v35, v37, s1
	v_add3_u32 v37, v101, v19, 0x7fff
	v_or_b32_e32 v101, 0x400000, v19
	v_cmp_u_f32_e64 s1, v19, v19
	v_bfe_u32 v35, v18, 16, 1
	v_lshrrev_b32_e32 v19, 16, v17
	v_cndmask_b32_e64 v37, v37, v101, s1
	v_cmp_u_f32_e64 s1, v36, v36
	v_add3_u32 v35, v35, v18, 0x7fff
	v_lshrrev_b32_e32 v101, 16, v0
	v_cndmask_b32_e64 v36, v102, v109, s1
	v_cmp_u_f32_e64 s1, v18, v18
	v_lshrrev_b32_e32 v102, 16, v37
	v_lshrrev_b32_e32 v18, 16, v36
	v_cndmask_b32_e64 v35, v35, v110, s1
	v_lshrrev_b32_e32 v17, 16, v35
	s_and_saveexec_b32 s1, vcc_lo
	s_cbranch_execz .LBB355_552
; %bb.1050:                             ;   in Loop: Header=BB355_554 Depth=1
	v_cmp_gt_i32_e32 vcc_lo, s31, v52
	v_cndmask_b32_e32 v102, 0, v102, vcc_lo
	v_cmp_gt_i32_e32 vcc_lo, s31, v64
	v_cndmask_b32_e32 v101, 0, v101, vcc_lo
	;; [unrolled: 2-line block ×8, first 2 shown]
	s_branch .LBB355_552
.LBB355_1051:
	s_or_b32 exec_lo, exec_lo, s13
	v_mov_b32_e32 v19, v112
	v_mov_b32_e32 v20, v113
	;; [unrolled: 1-line block ×3, first 2 shown]
.LBB355_1052:
	s_or_b32 exec_lo, exec_lo, s3
	ds_bpermute_b32 v0, v22, v32
	ds_bpermute_b32 v1, v22, v31
	;; [unrolled: 1-line block ×8, first 2 shown]
	v_lshrrev_b32_e32 v9, 1, v21
	v_lshlrev_b32_e32 v11, 9, v15
	v_and_b32_e32 v15, 0x3c1, v19
	s_mov_b32 s1, exec_lo
	s_waitcnt lgkmcnt(0)
	s_waitcnt_vscnt null, 0x0
	v_lshl_add_u32 v10, v9, 2, 0x120
	s_barrier
	buffer_gl0_inv
	v_add_f32_e32 v8, v32, v0
	v_add_f32_e32 v7, v31, v1
	;; [unrolled: 1-line block ×8, first 2 shown]
	v_cmpx_eq_u32_e32 64, v15
	s_cbranch_execz .LBB355_1054
; %bb.1053:
	v_add_nc_u32_e32 v0, v10, v11
	v_add_nc_u32_e32 v12, 0xfffffc00, v0
	;; [unrolled: 1-line block ×9, first 2 shown]
	ds_write_b32 v12, v8
	ds_write_b32 v13, v7
	;; [unrolled: 1-line block ×8, first 2 shown]
.LBB355_1054:
	s_or_b32 exec_lo, exec_lo, s1
	v_lshlrev_b32_e32 v0, 2, v9
	s_mov_b32 s3, exec_lo
	v_cmp_eq_u32_e32 vcc_lo, 0, v20
	s_waitcnt lgkmcnt(0)
	s_barrier
	v_add3_u32 v9, 0x120, v11, v0
	buffer_gl0_inv
	v_cmpx_gt_u32_e32 64, v19
	s_cbranch_execz .LBB355_1065
; %bb.1055:
	s_and_saveexec_b32 s1, vcc_lo
	s_cbranch_execnz .LBB355_1081
; %bb.1056:
	s_or_b32 exec_lo, exec_lo, s1
	s_and_saveexec_b32 s1, vcc_lo
	s_cbranch_execnz .LBB355_1082
.LBB355_1057:
	s_or_b32 exec_lo, exec_lo, s1
	s_and_saveexec_b32 s1, vcc_lo
	s_cbranch_execnz .LBB355_1083
.LBB355_1058:
	s_or_b32 exec_lo, exec_lo, s1
	s_and_saveexec_b32 s1, vcc_lo
	s_cbranch_execnz .LBB355_1084
.LBB355_1059:
	s_or_b32 exec_lo, exec_lo, s1
	s_and_saveexec_b32 s1, vcc_lo
	s_cbranch_execnz .LBB355_1085
.LBB355_1060:
	s_or_b32 exec_lo, exec_lo, s1
	s_and_saveexec_b32 s1, vcc_lo
	s_cbranch_execnz .LBB355_1086
.LBB355_1061:
	s_or_b32 exec_lo, exec_lo, s1
	s_and_saveexec_b32 s1, vcc_lo
	s_cbranch_execnz .LBB355_1087
.LBB355_1062:
	s_or_b32 exec_lo, exec_lo, s1
	s_and_saveexec_b32 s1, vcc_lo
	s_cbranch_execz .LBB355_1064
.LBB355_1063:
	ds_read_b32 v0, v9 offset:448
	s_waitcnt lgkmcnt(0)
	v_add_f32_e32 v1, v1, v0
.LBB355_1064:
	s_or_b32 exec_lo, exec_lo, s1
.LBB355_1065:
	s_or_b32 exec_lo, exec_lo, s3
	v_and_b32_e32 v0, 0x3e1, v19
	s_mov_b32 s3, exec_lo
	s_barrier
	buffer_gl0_inv
	v_cmpx_eq_u32_e32 32, v0
	s_cbranch_execz .LBB355_1067
; %bb.1066:
	ds_write2_b32 v10, v8, v7 offset1:16
	ds_write2_b32 v10, v6, v5 offset0:32 offset1:48
	ds_write2_b32 v10, v4, v3 offset0:64 offset1:80
	ds_write2_b32 v10, v2, v1 offset0:96 offset1:112
.LBB355_1067:
	s_or_b32 exec_lo, exec_lo, s3
	s_waitcnt lgkmcnt(0)
	s_barrier
	buffer_gl0_inv
	s_and_saveexec_b32 s1, s0
	s_cbranch_execz .LBB355_1078
; %bb.1068:
	s_and_saveexec_b32 s0, vcc_lo
	s_cbranch_execnz .LBB355_1088
; %bb.1069:
	s_or_b32 exec_lo, exec_lo, s0
	s_and_saveexec_b32 s0, vcc_lo
	s_cbranch_execnz .LBB355_1089
.LBB355_1070:
	s_or_b32 exec_lo, exec_lo, s0
	s_and_saveexec_b32 s0, vcc_lo
	s_cbranch_execnz .LBB355_1090
.LBB355_1071:
	s_or_b32 exec_lo, exec_lo, s0
	s_and_saveexec_b32 s0, vcc_lo
	s_cbranch_execnz .LBB355_1091
.LBB355_1072:
	s_or_b32 exec_lo, exec_lo, s0
	s_and_saveexec_b32 s0, vcc_lo
	s_cbranch_execnz .LBB355_1092
.LBB355_1073:
	s_or_b32 exec_lo, exec_lo, s0
	s_and_saveexec_b32 s0, vcc_lo
	s_cbranch_execnz .LBB355_1093
.LBB355_1074:
	s_or_b32 exec_lo, exec_lo, s0
	s_and_saveexec_b32 s0, vcc_lo
	s_cbranch_execnz .LBB355_1094
.LBB355_1075:
	s_or_b32 exec_lo, exec_lo, s0
	s_and_saveexec_b32 s0, vcc_lo
	s_cbranch_execz .LBB355_1077
.LBB355_1076:
	ds_read_b32 v9, v9 offset:448
	s_waitcnt lgkmcnt(0)
	v_add_f32_e32 v1, v1, v9
.LBB355_1077:
	s_or_b32 exec_lo, exec_lo, s0
.LBB355_1078:
	s_or_b32 exec_lo, exec_lo, s1
	s_barrier
	buffer_gl0_inv
	s_mov_b32 s0, exec_lo
	v_cmpx_eq_u32_e32 0, v0
	s_cbranch_execz .LBB355_1080
; %bb.1079:
	buffer_load_dword v0, off, s[56:59], 0 offset:40 ; 4-byte Folded Reload
	s_lshl_b32 s0, s2, 7
	s_mul_i32 s2, s7, s10
	s_ashr_i32 s1, s0, 31
	v_bfe_u32 v9, v8, 16, 1
	s_lshl_b64 s[0:1], s[0:1], 1
	v_or_b32_e32 v10, 0x400000, v8
	s_add_u32 s4, s28, s0
	s_addc_u32 s5, s29, s1
	s_ashr_i32 s3, s2, 31
	v_add3_u32 v9, v9, v8, 0x7fff
	s_lshl_b64 s[0:1], s[2:3], 1
	v_bfe_u32 v11, v7, 16, 1
	s_add_u32 s2, s4, s0
	v_cmp_u_f32_e32 vcc_lo, v8, v8
	s_addc_u32 s3, s5, s1
	s_lshl_b32 s0, s8, 7
	s_ashr_i32 s1, s0, 31
	v_cndmask_b32_e32 v8, v9, v10, vcc_lo
	s_lshl_b64 s[0:1], s[0:1], 1
	v_bfe_u32 v9, v6, 16, 1
	v_add3_u32 v10, v11, v7, 0x7fff
	v_or_b32_e32 v11, 0x400000, v7
	v_cmp_u_f32_e32 vcc_lo, v7, v7
	s_add_u32 s0, s2, s0
	s_addc_u32 s1, s3, s1
	v_cndmask_b32_e32 v7, v10, v11, vcc_lo
	v_bfe_u32 v10, v5, 16, 1
	v_cmp_u_f32_e32 vcc_lo, v6, v6
	v_or_b32_e32 v11, 0x400000, v1
	s_waitcnt vmcnt(0)
	v_lshlrev_b32_e32 v0, 1, v0
	global_store_short_d16_hi v0, v8, s[0:1]
	v_add3_u32 v8, v9, v6, 0x7fff
	v_or_b32_e32 v9, 0x400000, v6
	global_store_short_d16_hi v0, v7, s[0:1] offset:32
	v_add3_u32 v7, v10, v5, 0x7fff
	v_or_b32_e32 v10, 0x400000, v2
	v_cndmask_b32_e32 v6, v8, v9, vcc_lo
	v_bfe_u32 v8, v4, 16, 1
	v_or_b32_e32 v9, 0x400000, v5
	v_cmp_u_f32_e32 vcc_lo, v5, v5
	global_store_short_d16_hi v0, v6, s[0:1] offset:64
	v_add3_u32 v6, v8, v4, 0x7fff
	v_or_b32_e32 v8, 0x400000, v4
	v_cndmask_b32_e32 v5, v7, v9, vcc_lo
	v_bfe_u32 v7, v3, 16, 1
	v_cmp_u_f32_e32 vcc_lo, v4, v4
	v_bfe_u32 v9, v2, 16, 1
	v_add3_u32 v7, v7, v3, 0x7fff
	v_cndmask_b32_e32 v4, v6, v8, vcc_lo
	v_or_b32_e32 v8, 0x400000, v3
	v_cmp_u_f32_e32 vcc_lo, v3, v3
	v_bfe_u32 v6, v1, 16, 1
	v_add3_u32 v9, v9, v2, 0x7fff
	v_cndmask_b32_e32 v3, v7, v8, vcc_lo
	v_cmp_u_f32_e32 vcc_lo, v2, v2
	v_add3_u32 v6, v6, v1, 0x7fff
	v_cndmask_b32_e32 v2, v9, v10, vcc_lo
	v_cmp_u_f32_e32 vcc_lo, v1, v1
	v_cndmask_b32_e32 v1, v6, v11, vcc_lo
	global_store_short_d16_hi v0, v5, s[0:1] offset:96
	global_store_short_d16_hi v0, v4, s[0:1] offset:128
	;; [unrolled: 1-line block ×5, first 2 shown]
.LBB355_1080:
	s_endpgm
.LBB355_1081:
	ds_read_b32 v0, v9
	s_waitcnt lgkmcnt(0)
	v_add_f32_e32 v8, v8, v0
	s_or_b32 exec_lo, exec_lo, s1
	s_and_saveexec_b32 s1, vcc_lo
	s_cbranch_execz .LBB355_1057
.LBB355_1082:
	ds_read_b32 v0, v9 offset:64
	s_waitcnt lgkmcnt(0)
	v_add_f32_e32 v7, v7, v0
	s_or_b32 exec_lo, exec_lo, s1
	s_and_saveexec_b32 s1, vcc_lo
	s_cbranch_execz .LBB355_1058
.LBB355_1083:
	ds_read_b32 v0, v9 offset:128
	s_waitcnt lgkmcnt(0)
	v_add_f32_e32 v6, v6, v0
	s_or_b32 exec_lo, exec_lo, s1
	s_and_saveexec_b32 s1, vcc_lo
	s_cbranch_execz .LBB355_1059
.LBB355_1084:
	ds_read_b32 v0, v9 offset:192
	s_waitcnt lgkmcnt(0)
	v_add_f32_e32 v5, v5, v0
	s_or_b32 exec_lo, exec_lo, s1
	s_and_saveexec_b32 s1, vcc_lo
	s_cbranch_execz .LBB355_1060
.LBB355_1085:
	ds_read_b32 v0, v9 offset:256
	s_waitcnt lgkmcnt(0)
	v_add_f32_e32 v4, v4, v0
	s_or_b32 exec_lo, exec_lo, s1
	s_and_saveexec_b32 s1, vcc_lo
	s_cbranch_execz .LBB355_1061
.LBB355_1086:
	ds_read_b32 v0, v9 offset:320
	s_waitcnt lgkmcnt(0)
	v_add_f32_e32 v3, v3, v0
	s_or_b32 exec_lo, exec_lo, s1
	s_and_saveexec_b32 s1, vcc_lo
	s_cbranch_execz .LBB355_1062
.LBB355_1087:
	ds_read_b32 v0, v9 offset:384
	s_waitcnt lgkmcnt(0)
	v_add_f32_e32 v2, v2, v0
	s_or_b32 exec_lo, exec_lo, s1
	s_and_saveexec_b32 s1, vcc_lo
	s_cbranch_execnz .LBB355_1063
	s_branch .LBB355_1064
.LBB355_1088:
	ds_read_b32 v10, v9
	s_waitcnt lgkmcnt(0)
	v_add_f32_e32 v8, v8, v10
	s_or_b32 exec_lo, exec_lo, s0
	s_and_saveexec_b32 s0, vcc_lo
	s_cbranch_execz .LBB355_1070
.LBB355_1089:
	ds_read_b32 v10, v9 offset:64
	s_waitcnt lgkmcnt(0)
	v_add_f32_e32 v7, v7, v10
	s_or_b32 exec_lo, exec_lo, s0
	s_and_saveexec_b32 s0, vcc_lo
	s_cbranch_execz .LBB355_1071
.LBB355_1090:
	ds_read_b32 v10, v9 offset:128
	s_waitcnt lgkmcnt(0)
	v_add_f32_e32 v6, v6, v10
	s_or_b32 exec_lo, exec_lo, s0
	s_and_saveexec_b32 s0, vcc_lo
	s_cbranch_execz .LBB355_1072
.LBB355_1091:
	ds_read_b32 v10, v9 offset:192
	s_waitcnt lgkmcnt(0)
	v_add_f32_e32 v5, v5, v10
	s_or_b32 exec_lo, exec_lo, s0
	s_and_saveexec_b32 s0, vcc_lo
	s_cbranch_execz .LBB355_1073
.LBB355_1092:
	ds_read_b32 v10, v9 offset:256
	s_waitcnt lgkmcnt(0)
	v_add_f32_e32 v4, v4, v10
	s_or_b32 exec_lo, exec_lo, s0
	s_and_saveexec_b32 s0, vcc_lo
	s_cbranch_execz .LBB355_1074
.LBB355_1093:
	ds_read_b32 v10, v9 offset:320
	s_waitcnt lgkmcnt(0)
	v_add_f32_e32 v3, v3, v10
	s_or_b32 exec_lo, exec_lo, s0
	s_and_saveexec_b32 s0, vcc_lo
	s_cbranch_execz .LBB355_1075
.LBB355_1094:
	ds_read_b32 v10, v9 offset:384
	s_waitcnt lgkmcnt(0)
	v_add_f32_e32 v2, v2, v10
	s_or_b32 exec_lo, exec_lo, s0
	s_and_saveexec_b32 s0, vcc_lo
	s_cbranch_execnz .LBB355_1076
	s_branch .LBB355_1077
	.section	.rodata,"a",@progbits
	.p2align	6, 0x0
	.amdhsa_kernel _ZN4vllm25paged_attention_v2_kernelI14__hip_bfloat16hLi128ELi16ELi128ELNS_18Fp8KVCacheDataTypeE1ELb1ELi512EEEvPfS3_PT_PKS4_PKT0_SA_ifPKiSC_iPKfiiiSE_SE_iiiii
		.amdhsa_group_segment_fixed_size 288
		.amdhsa_private_segment_fixed_size 64
		.amdhsa_kernarg_size 400
		.amdhsa_user_sgpr_count 6
		.amdhsa_user_sgpr_private_segment_buffer 1
		.amdhsa_user_sgpr_dispatch_ptr 0
		.amdhsa_user_sgpr_queue_ptr 0
		.amdhsa_user_sgpr_kernarg_segment_ptr 1
		.amdhsa_user_sgpr_dispatch_id 0
		.amdhsa_user_sgpr_flat_scratch_init 0
		.amdhsa_user_sgpr_private_segment_size 0
		.amdhsa_wavefront_size32 1
		.amdhsa_uses_dynamic_stack 0
		.amdhsa_system_sgpr_private_segment_wavefront_offset 1
		.amdhsa_system_sgpr_workgroup_id_x 1
		.amdhsa_system_sgpr_workgroup_id_y 1
		.amdhsa_system_sgpr_workgroup_id_z 1
		.amdhsa_system_sgpr_workgroup_info 0
		.amdhsa_system_vgpr_workitem_id 0
		.amdhsa_next_free_vgpr 128
		.amdhsa_next_free_sgpr 60
		.amdhsa_reserve_vcc 1
		.amdhsa_reserve_flat_scratch 0
		.amdhsa_float_round_mode_32 0
		.amdhsa_float_round_mode_16_64 0
		.amdhsa_float_denorm_mode_32 3
		.amdhsa_float_denorm_mode_16_64 3
		.amdhsa_dx10_clamp 1
		.amdhsa_ieee_mode 1
		.amdhsa_fp16_overflow 0
		.amdhsa_workgroup_processor_mode 1
		.amdhsa_memory_ordered 1
		.amdhsa_forward_progress 1
		.amdhsa_shared_vgpr_count 0
		.amdhsa_exception_fp_ieee_invalid_op 0
		.amdhsa_exception_fp_denorm_src 0
		.amdhsa_exception_fp_ieee_div_zero 0
		.amdhsa_exception_fp_ieee_overflow 0
		.amdhsa_exception_fp_ieee_underflow 0
		.amdhsa_exception_fp_ieee_inexact 0
		.amdhsa_exception_int_div_zero 0
	.end_amdhsa_kernel
	.section	.text._ZN4vllm25paged_attention_v2_kernelI14__hip_bfloat16hLi128ELi16ELi128ELNS_18Fp8KVCacheDataTypeE1ELb1ELi512EEEvPfS3_PT_PKS4_PKT0_SA_ifPKiSC_iPKfiiiSE_SE_iiiii,"axG",@progbits,_ZN4vllm25paged_attention_v2_kernelI14__hip_bfloat16hLi128ELi16ELi128ELNS_18Fp8KVCacheDataTypeE1ELb1ELi512EEEvPfS3_PT_PKS4_PKT0_SA_ifPKiSC_iPKfiiiSE_SE_iiiii,comdat
.Lfunc_end355:
	.size	_ZN4vllm25paged_attention_v2_kernelI14__hip_bfloat16hLi128ELi16ELi128ELNS_18Fp8KVCacheDataTypeE1ELb1ELi512EEEvPfS3_PT_PKS4_PKT0_SA_ifPKiSC_iPKfiiiSE_SE_iiiii, .Lfunc_end355-_ZN4vllm25paged_attention_v2_kernelI14__hip_bfloat16hLi128ELi16ELi128ELNS_18Fp8KVCacheDataTypeE1ELb1ELi512EEEvPfS3_PT_PKS4_PKT0_SA_ifPKiSC_iPKfiiiSE_SE_iiiii
                                        ; -- End function
	.set _ZN4vllm25paged_attention_v2_kernelI14__hip_bfloat16hLi128ELi16ELi128ELNS_18Fp8KVCacheDataTypeE1ELb1ELi512EEEvPfS3_PT_PKS4_PKT0_SA_ifPKiSC_iPKfiiiSE_SE_iiiii.num_vgpr, 128
	.set _ZN4vllm25paged_attention_v2_kernelI14__hip_bfloat16hLi128ELi16ELi128ELNS_18Fp8KVCacheDataTypeE1ELb1ELi512EEEvPfS3_PT_PKS4_PKT0_SA_ifPKiSC_iPKfiiiSE_SE_iiiii.num_agpr, 0
	.set _ZN4vllm25paged_attention_v2_kernelI14__hip_bfloat16hLi128ELi16ELi128ELNS_18Fp8KVCacheDataTypeE1ELb1ELi512EEEvPfS3_PT_PKS4_PKT0_SA_ifPKiSC_iPKfiiiSE_SE_iiiii.numbered_sgpr, 60
	.set _ZN4vllm25paged_attention_v2_kernelI14__hip_bfloat16hLi128ELi16ELi128ELNS_18Fp8KVCacheDataTypeE1ELb1ELi512EEEvPfS3_PT_PKS4_PKT0_SA_ifPKiSC_iPKfiiiSE_SE_iiiii.num_named_barrier, 0
	.set _ZN4vllm25paged_attention_v2_kernelI14__hip_bfloat16hLi128ELi16ELi128ELNS_18Fp8KVCacheDataTypeE1ELb1ELi512EEEvPfS3_PT_PKS4_PKT0_SA_ifPKiSC_iPKfiiiSE_SE_iiiii.private_seg_size, 64
	.set _ZN4vllm25paged_attention_v2_kernelI14__hip_bfloat16hLi128ELi16ELi128ELNS_18Fp8KVCacheDataTypeE1ELb1ELi512EEEvPfS3_PT_PKS4_PKT0_SA_ifPKiSC_iPKfiiiSE_SE_iiiii.uses_vcc, 1
	.set _ZN4vllm25paged_attention_v2_kernelI14__hip_bfloat16hLi128ELi16ELi128ELNS_18Fp8KVCacheDataTypeE1ELb1ELi512EEEvPfS3_PT_PKS4_PKT0_SA_ifPKiSC_iPKfiiiSE_SE_iiiii.uses_flat_scratch, 0
	.set _ZN4vllm25paged_attention_v2_kernelI14__hip_bfloat16hLi128ELi16ELi128ELNS_18Fp8KVCacheDataTypeE1ELb1ELi512EEEvPfS3_PT_PKS4_PKT0_SA_ifPKiSC_iPKfiiiSE_SE_iiiii.has_dyn_sized_stack, 0
	.set _ZN4vllm25paged_attention_v2_kernelI14__hip_bfloat16hLi128ELi16ELi128ELNS_18Fp8KVCacheDataTypeE1ELb1ELi512EEEvPfS3_PT_PKS4_PKT0_SA_ifPKiSC_iPKfiiiSE_SE_iiiii.has_recursion, 0
	.set _ZN4vllm25paged_attention_v2_kernelI14__hip_bfloat16hLi128ELi16ELi128ELNS_18Fp8KVCacheDataTypeE1ELb1ELi512EEEvPfS3_PT_PKS4_PKT0_SA_ifPKiSC_iPKfiiiSE_SE_iiiii.has_indirect_call, 0
	.section	.AMDGPU.csdata,"",@progbits
; Kernel info:
; codeLenInByte = 41236
; TotalNumSgprs: 62
; NumVgprs: 128
; ScratchSize: 64
; MemoryBound: 0
; FloatMode: 240
; IeeeMode: 1
; LDSByteSize: 288 bytes/workgroup (compile time only)
; SGPRBlocks: 0
; VGPRBlocks: 15
; NumSGPRsForWavesPerEU: 62
; NumVGPRsForWavesPerEU: 128
; Occupancy: 8
; WaveLimiterHint : 1
; COMPUTE_PGM_RSRC2:SCRATCH_EN: 1
; COMPUTE_PGM_RSRC2:USER_SGPR: 6
; COMPUTE_PGM_RSRC2:TRAP_HANDLER: 0
; COMPUTE_PGM_RSRC2:TGID_X_EN: 1
; COMPUTE_PGM_RSRC2:TGID_Y_EN: 1
; COMPUTE_PGM_RSRC2:TGID_Z_EN: 1
; COMPUTE_PGM_RSRC2:TIDIG_COMP_CNT: 0
	.text
	.p2align	2                               ; -- Begin function _ZN4vllm22paged_attention_kernelI14__hip_bfloat16hLi192ELi16ELi128ELNS_18Fp8KVCacheDataTypeE1ELb1ELi512EEEvPfS3_PT_PKS4_PKT0_SA_ifPKiSC_iPKfiiiSE_SE_iiiii
	.type	_ZN4vllm22paged_attention_kernelI14__hip_bfloat16hLi192ELi16ELi128ELNS_18Fp8KVCacheDataTypeE1ELb1ELi512EEEvPfS3_PT_PKS4_PKT0_SA_ifPKiSC_iPKfiiiSE_SE_iiiii,@function
_ZN4vllm22paged_attention_kernelI14__hip_bfloat16hLi192ELi16ELi128ELNS_18Fp8KVCacheDataTypeE1ELb1ELi512EEEvPfS3_PT_PKS4_PKT0_SA_ifPKiSC_iPKfiiiSE_SE_iiiii: ; @_ZN4vllm22paged_attention_kernelI14__hip_bfloat16hLi192ELi16ELi128ELNS_18Fp8KVCacheDataTypeE1ELb1ELi512EEEvPfS3_PT_PKS4_PKT0_SA_ifPKiSC_iPKfiiiSE_SE_iiiii
; %bb.0:
	s_waitcnt vmcnt(0) expcnt(0) lgkmcnt(0)
	buffer_store_dword v40, off, s[0:3], s32 offset:196 ; 4-byte Folded Spill
	buffer_store_dword v41, off, s[0:3], s32 offset:192 ; 4-byte Folded Spill
	buffer_store_dword v42, off, s[0:3], s32 offset:188 ; 4-byte Folded Spill
	buffer_store_dword v43, off, s[0:3], s32 offset:184 ; 4-byte Folded Spill
	buffer_store_dword v44, off, s[0:3], s32 offset:180 ; 4-byte Folded Spill
	buffer_store_dword v45, off, s[0:3], s32 offset:176 ; 4-byte Folded Spill
	buffer_store_dword v46, off, s[0:3], s32 offset:172 ; 4-byte Folded Spill
	buffer_store_dword v47, off, s[0:3], s32 offset:168 ; 4-byte Folded Spill
	buffer_store_dword v56, off, s[0:3], s32 offset:164 ; 4-byte Folded Spill
	buffer_store_dword v57, off, s[0:3], s32 offset:160 ; 4-byte Folded Spill
	buffer_store_dword v58, off, s[0:3], s32 offset:156 ; 4-byte Folded Spill
	buffer_store_dword v59, off, s[0:3], s32 offset:152 ; 4-byte Folded Spill
	buffer_store_dword v60, off, s[0:3], s32 offset:148 ; 4-byte Folded Spill
	buffer_store_dword v61, off, s[0:3], s32 offset:144 ; 4-byte Folded Spill
	buffer_store_dword v62, off, s[0:3], s32 offset:140 ; 4-byte Folded Spill
	buffer_store_dword v63, off, s[0:3], s32 offset:136 ; 4-byte Folded Spill
	buffer_store_dword v72, off, s[0:3], s32 offset:132 ; 4-byte Folded Spill
	buffer_store_dword v73, off, s[0:3], s32 offset:128 ; 4-byte Folded Spill
	buffer_store_dword v74, off, s[0:3], s32 offset:124 ; 4-byte Folded Spill
	buffer_store_dword v75, off, s[0:3], s32 offset:120 ; 4-byte Folded Spill
	buffer_store_dword v76, off, s[0:3], s32 offset:116 ; 4-byte Folded Spill
	buffer_store_dword v77, off, s[0:3], s32 offset:112 ; 4-byte Folded Spill
	buffer_store_dword v78, off, s[0:3], s32 offset:108 ; 4-byte Folded Spill
	buffer_store_dword v79, off, s[0:3], s32 offset:104 ; 4-byte Folded Spill
	buffer_store_dword v88, off, s[0:3], s32 offset:100 ; 4-byte Folded Spill
	buffer_store_dword v89, off, s[0:3], s32 offset:96 ; 4-byte Folded Spill
	buffer_store_dword v90, off, s[0:3], s32 offset:92 ; 4-byte Folded Spill
	buffer_store_dword v91, off, s[0:3], s32 offset:88 ; 4-byte Folded Spill
	buffer_store_dword v92, off, s[0:3], s32 offset:84 ; 4-byte Folded Spill
	buffer_store_dword v93, off, s[0:3], s32 offset:80 ; 4-byte Folded Spill
	buffer_store_dword v94, off, s[0:3], s32 offset:76 ; 4-byte Folded Spill
	buffer_store_dword v95, off, s[0:3], s32 offset:72 ; 4-byte Folded Spill
	buffer_store_dword v104, off, s[0:3], s32 offset:68 ; 4-byte Folded Spill
	buffer_store_dword v105, off, s[0:3], s32 offset:64 ; 4-byte Folded Spill
	buffer_store_dword v106, off, s[0:3], s32 offset:60 ; 4-byte Folded Spill
	buffer_store_dword v107, off, s[0:3], s32 offset:56 ; 4-byte Folded Spill
	buffer_store_dword v108, off, s[0:3], s32 offset:52 ; 4-byte Folded Spill
	buffer_store_dword v109, off, s[0:3], s32 offset:48 ; 4-byte Folded Spill
	buffer_store_dword v110, off, s[0:3], s32 offset:44 ; 4-byte Folded Spill
	buffer_store_dword v111, off, s[0:3], s32 offset:40 ; 4-byte Folded Spill
	buffer_store_dword v120, off, s[0:3], s32 offset:36 ; 4-byte Folded Spill
	buffer_store_dword v121, off, s[0:3], s32 offset:32 ; 4-byte Folded Spill
	buffer_store_dword v122, off, s[0:3], s32 offset:28 ; 4-byte Folded Spill
	buffer_store_dword v123, off, s[0:3], s32 offset:24 ; 4-byte Folded Spill
	buffer_store_dword v124, off, s[0:3], s32 offset:20 ; 4-byte Folded Spill
	buffer_store_dword v125, off, s[0:3], s32 offset:16 ; 4-byte Folded Spill
	buffer_store_dword v126, off, s[0:3], s32 offset:12 ; 4-byte Folded Spill
	buffer_store_dword v127, off, s[0:3], s32 offset:8 ; 4-byte Folded Spill
	s_mov_b32 s18, s13
	s_ashr_i32 s19, s13, 31
	buffer_store_dword v26, off, s[0:3], s32 offset:400 ; 4-byte Folded Spill
	buffer_store_dword v27, off, s[0:3], s32 offset:404 ; 4-byte Folded Spill
	;; [unrolled: 1-line block ×6, first 2 shown]
	s_lshl_b64 s[4:5], s[18:19], 2
	v_mov_b32_e32 v24, v0
	v_add_co_u32 v0, vcc_lo, v16, s4
	v_mov_b32_e32 v22, v1
	v_add_co_ci_u32_e64 v1, null, s5, v17, vcc_lo
	buffer_store_dword v5, off, s[0:3], s32 offset:452 ; 4-byte Folded Spill
	buffer_store_dword v4, off, s[0:3], s32 offset:456 ; 4-byte Folded Spill
	v_mov_b32_e32 v27, v10
	v_mov_b32_e32 v25, v3
	flat_load_dword v96, v[0:1]
	s_clause 0x1
	buffer_load_dword v0, off, s[0:3], s32 offset:4
	buffer_load_dword v1, off, s[0:3], s32
	v_mov_b32_e32 v26, v2
	s_lshl_b32 s20, s14, 9
	s_mov_b32 s19, exec_lo
	s_waitcnt vmcnt(2) lgkmcnt(0)
	v_cmpx_lt_i32_e64 s20, v96
	s_cbranch_execz .LBB356_1640
; %bb.1:
	v_sub_nc_u32_e32 v2, 0, v12
	s_clause 0x1
	s_load_dword s4, s[8:9], 0x10
	s_load_dword s5, s[8:9], 0x0
	s_mov_b32 s16, s15
	v_max_i32_e32 v2, v12, v2
	v_cvt_f32_u32_e32 v3, v2
	v_sub_nc_u32_e32 v4, 0, v2
	v_rcp_iflag_f32_e32 v3, v3
	s_waitcnt lgkmcnt(0)
	s_lshr_b32 s4, s4, 16
	s_cmp_lg_u32 s4, 0
	s_cselect_b32 s4, -1, 0
	v_mul_f32_e32 v3, 0x4f7ffffe, v3
	s_cmp_lg_u32 s4, 0
	s_addc_u32 s15, s5, 0
	s_mov_b32 s5, exec_lo
	v_cvt_u32_f32_e32 v3, v3
	s_abs_i32 s4, s15
	v_mul_lo_u32 v4, v4, v3
	v_mul_hi_u32 v4, v3, v4
	v_add_nc_u32_e32 v3, v3, v4
	v_mul_hi_u32 v3, s4, v3
	v_mul_lo_u32 v4, v3, v2
	v_add_nc_u32_e32 v5, 1, v3
	v_sub_nc_u32_e32 v4, s4, v4
	s_abs_i32 s4, s12
	v_sub_nc_u32_e32 v10, v4, v2
	v_cmp_ge_u32_e32 vcc_lo, v4, v2
	v_cndmask_b32_e32 v3, v3, v5, vcc_lo
	v_cndmask_b32_e32 v4, v4, v10, vcc_lo
	v_xor_b32_e32 v5, s15, v12
	v_add_nc_u32_e32 v10, 1, v3
	v_cmp_ge_u32_e32 vcc_lo, v4, v2
	v_ashrrev_i32_e32 v5, 31, v5
	v_cndmask_b32_e32 v2, v3, v10, vcc_lo
	v_xor_b32_e32 v2, v2, v5
	v_sub_nc_u32_e32 v3, v2, v5
	v_sub_nc_u32_e32 v2, 0, v3
	v_max_i32_e32 v2, v3, v2
	v_cvt_f32_u32_e32 v4, v2
	v_sub_nc_u32_e32 v5, 0, v2
	v_rcp_iflag_f32_e32 v4, v4
	v_mul_f32_e32 v4, 0x4f7ffffe, v4
	v_cvt_u32_f32_e32 v4, v4
	v_mul_lo_u32 v5, v5, v4
	v_mul_hi_u32 v5, v4, v5
	v_add_nc_u32_e32 v4, v4, v5
	v_mad_u64_u32 v[16:17], null, s4, v4, 0
	v_mov_b32_e32 v4, 0
	buffer_store_dword v4, off, s[0:3], s32 offset:432 ; 4-byte Folded Spill
	v_cmpx_ne_u64_e32 0, v[19:20]
	s_cbranch_execz .LBB356_3
; %bb.2:
	s_ashr_i32 s13, s12, 31
	s_lshl_b64 s[6:7], s[12:13], 2
	v_add_co_u32 v4, vcc_lo, v19, s6
	v_add_co_ci_u32_e64 v5, null, s7, v20, vcc_lo
	flat_load_dword v4, v[4:5]
	s_waitcnt vmcnt(0) lgkmcnt(0)
	buffer_store_dword v4, off, s[0:3], s32 offset:432 ; 4-byte Folded Spill
.LBB356_3:
	s_or_b32 exec_lo, exec_lo, s5
	v_and_b32_e32 v5, 0x3ff, v31
	v_bfe_u32 v4, v31, 1, 9
	v_ashrrev_i32_e32 v3, 31, v3
	s_ashr_i32 s5, s12, 31
	s_mul_i32 s10, s12, 0xc0
	s_mov_b32 s6, exec_lo
	buffer_store_dword v4, off, s[0:3], s32 offset:460 ; 4-byte Folded Spill
	v_and_b32_e32 v4, 1, v31
	v_lshlrev_b32_e32 v31, 3, v5
	buffer_store_dword v4, off, s[0:3], s32 offset:448 ; 4-byte Folded Spill
	buffer_store_dword v5, off, s[0:3], s32 offset:396 ; 4-byte Folded Spill
	v_cmpx_gt_u32_e32 48, v5
	s_cbranch_execz .LBB356_5
; %bb.4:
	v_mul_lo_u32 v4, v21, s18
	s_ashr_i32 s11, s10, 31
	s_lshl_b64 s[22:23], s[10:11], 1
	v_ashrrev_i32_e32 v5, 31, v4
	v_lshlrev_b64 v[4:5], 1, v[4:5]
	v_add_co_u32 v4, vcc_lo, v6, v4
	v_add_co_ci_u32_e64 v5, null, v7, v5, vcc_lo
	s_clause 0x1
	buffer_load_dword v6, off, s[0:3], s32 offset:460
	buffer_load_dword v7, off, s[0:3], s32 offset:448
	v_add_co_u32 v4, vcc_lo, v4, s22
	v_add_co_ci_u32_e64 v5, null, s23, v5, vcc_lo
	v_add_co_u32 v4, vcc_lo, v4, v31
	v_add_co_ci_u32_e64 v5, null, 0, v5, vcc_lo
	flat_load_dwordx2 v[4:5], v[4:5]
	s_waitcnt vmcnt(2)
	v_lshlrev_b32_e32 v6, 3, v6
	s_waitcnt vmcnt(1)
	v_mad_u32_u24 v6, 0xc0, v7, v6
	s_waitcnt vmcnt(0) lgkmcnt(0)
	ds_write_b64 v6, v[4:5]
.LBB356_5:
	s_or_b32 exec_lo, exec_lo, s6
	s_waitcnt vmcnt(0)
	v_sub_nc_u32_e32 v4, 0, v1
	v_mul_lo_u32 v5, v17, v2
	v_xor_b32_e32 v3, s5, v3
	v_max_i32_e32 v7, v1, v4
	v_sub_nc_u32_e32 v5, s4, v5
	v_cvt_f32_u32_e32 v4, v7
	buffer_store_dword v7, off, s[0:3], s32 offset:228 ; 4-byte Folded Spill
	s_mov_b32 s4, exec_lo
	v_sub_nc_u32_e32 v10, v5, v2
	v_rcp_iflag_f32_e32 v4, v4
	v_cmp_ge_u32_e32 vcc_lo, v5, v2
	v_cndmask_b32_e32 v5, v5, v10, vcc_lo
	v_mul_f32_e32 v4, 0x4f7ffffe, v4
	v_cvt_u32_f32_e32 v6, v4
	v_sub_nc_u32_e32 v4, 0, v7
	v_add_nc_u32_e32 v7, 1, v17
	v_mul_lo_u32 v13, v4, v6
	v_cndmask_b32_e32 v7, v17, v7, vcc_lo
	v_add_nc_u32_e32 v4, -1, v96
	v_cmp_ge_u32_e32 vcc_lo, v5, v2
	v_add_nc_u32_e32 v10, 1, v7
	v_mul_hi_u32 v16, v6, v13
	v_sub_nc_u32_e32 v13, 0, v4
	v_cndmask_b32_e32 v5, v7, v10, vcc_lo
	v_max_i32_e32 v2, v4, v13
	v_add_nc_u32_e32 v6, v6, v16
	v_xor_b32_e32 v5, v5, v3
	buffer_store_dword v6, off, s[0:3], s32 offset:232 ; 4-byte Folded Spill
	v_mad_u64_u32 v[6:7], null, v2, v6, 0
	v_sub_nc_u32_e32 v6, v5, v3
                                        ; implicit-def: $vgpr3
	s_waitcnt lgkmcnt(0)
	s_waitcnt_vscnt null, 0x0
	s_barrier
	buffer_gl0_inv
	buffer_store_dword v3, off, s[0:3], s32 offset:212 ; 4-byte Folded Spill
	buffer_store_dword v4, off, s[0:3], s32 offset:216 ; 4-byte Folded Spill
	v_cmpx_gt_i32_e32 0, v0
	s_xor_b32 s4, exec_lo, s4
	s_cbranch_execz .LBB356_7
; %bb.6:
	v_mad_u64_u32 v[12:13], null, v28, v12, v[6:7]
                                        ; implicit-def: $vgpr28
	v_mul_lo_u32 v0, v12, v0
	v_sub_nc_u32_e32 v0, 1, v0
	buffer_store_dword v0, off, s[0:3], s32 offset:212 ; 4-byte Folded Spill
	buffer_store_dword v1, off, s[0:3], s32 offset:216 ; 4-byte Folded Spill
                                        ; implicit-def: $vgpr0
.LBB356_7:
	s_or_saveexec_b32 s4, s4
	v_ashrrev_i32_e32 v3, 31, v4
	v_ashrrev_i32_e32 v1, 31, v1
	buffer_store_dword v1, off, s[0:3], s32 offset:220 ; 4-byte Folded Spill
	s_xor_b32 exec_lo, exec_lo, s4
	s_cbranch_execz .LBB356_9
; %bb.8:
	v_mad_u64_u32 v[4:5], null, s15, v28, s[12:13]
	v_mad_u64_u32 v[0:1], null, v4, v0, 1
	buffer_store_dword v0, off, s[0:3], s32 offset:212 ; 4-byte Folded Spill
	buffer_store_dword v1, off, s[0:3], s32 offset:216 ; 4-byte Folded Spill
.LBB356_9:
	s_or_b32 exec_lo, exec_lo, s4
	buffer_load_dword v13, off, s[0:3], s32 offset:228 ; 4-byte Folded Reload
	v_add_nc_u32_e32 v4, 1, v7
	s_clause 0x1
	s_load_dword s21, s[8:9], 0x14
	s_load_dword s11, s[8:9], 0x8
	v_add_nc_u32_e32 v1, 15, v96
	s_lshl_b32 s13, s14, 5
	v_mov_b32_e32 v12, 0xff7fffff
	s_add_i32 s4, s13, 32
	v_sub_nc_u32_e32 v32, 0, v30
	v_ashrrev_i32_e32 v5, 31, v1
	v_lshrrev_b32_e32 v5, 28, v5
	v_add_nc_u32_e32 v1, v1, v5
	v_ashrrev_i32_e32 v28, 4, v1
	s_waitcnt vmcnt(0)
	v_mul_lo_u32 v0, v7, v13
	v_sub_nc_u32_e32 v2, v2, v0
	v_mul_lo_u32 v0, v18, s18
	v_sub_nc_u32_e32 v10, v2, v13
	v_cmp_ge_u32_e32 vcc_lo, v2, v13
	v_cndmask_b32_e32 v4, v7, v4, vcc_lo
	buffer_load_dword v7, off, s[0:3], s32 offset:220 ; 4-byte Folded Reload
	v_cndmask_b32_e32 v2, v2, v10, vcc_lo
	buffer_load_dword v10, off, s[0:3], s32 offset:396 ; 4-byte Folded Reload
	v_cmp_ge_u32_e32 vcc_lo, v2, v13
	v_mul_lo_u32 v13, v6, v23
	v_ashrrev_i32_e32 v33, 31, v13
	s_waitcnt vmcnt(1)
	v_xor_b32_e32 v3, v3, v7
	v_add_nc_u32_e32 v7, 1, v4
	s_waitcnt vmcnt(0)
	v_lshrrev_b32_e32 v10, 5, v10
	v_cndmask_b32_e32 v2, v4, v7, vcc_lo
	v_or_b32_e32 v5, s13, v10
	v_lshl_add_u32 v1, v10, 4, s20
	v_min_i32_e32 v4, s4, v28
	buffer_store_dword v10, off, s[0:3], s32 offset:444 ; 4-byte Folded Spill
	v_xor_b32_e32 v2, v2, v3
	v_ashrrev_i32_e32 v6, 31, v5
	buffer_store_dword v1, off, s[0:3], s32 offset:464 ; 4-byte Folded Spill
	buffer_store_dword v4, off, s[0:3], s32 offset:224 ; 4-byte Folded Spill
	buffer_store_dword v5, off, s[0:3], s32 offset:200 ; 4-byte Folded Spill
	buffer_store_dword v6, off, s[0:3], s32 offset:204 ; 4-byte Folded Spill
	v_ashrrev_i32_e32 v1, 31, v0
	v_sub_nc_u32_e32 v2, v2, v3
	v_lshlrev_b64 v[16:17], 2, v[0:1]
	v_sub_nc_u32_e32 v0, v2, v29
	buffer_store_dword v0, off, s[0:3], s32 offset:236 ; 4-byte Folded Spill
	v_cmp_lt_i32_e64 s4, v5, v4
	s_and_saveexec_b32 s22, s4
	s_cbranch_execz .LBB356_789
; %bb.10:
	v_max_i32_e32 v6, v30, v32
	buffer_store_dword v28, off, s[0:3], s32 offset:520 ; 4-byte Folded Spill
	buffer_store_dword v31, off, s[0:3], s32 offset:504 ; 4-byte Folded Spill
	;; [unrolled: 1-line block ×10, first 2 shown]
	s_clause 0x1
	buffer_load_dword v5, off, s[0:3], s32 offset:448
	buffer_load_dword v1, off, s[0:3], s32 offset:396
	buffer_store_dword v13, off, s[0:3], s32 offset:516 ; 4-byte Folded Spill
	v_cvt_f32_u32_e32 v0, v6
	buffer_store_dword v33, off, s[0:3], s32 offset:528 ; 4-byte Folded Spill
	v_add_co_u32 v3, s5, v8, v13
	v_add_co_ci_u32_e64 v4, null, v9, v33, s5
	v_rcp_iflag_f32_e32 v2, v0
	s_clause 0x2
	buffer_load_dword v0, off, s[0:3], s32 offset:432
	buffer_load_dword v11, off, s[0:3], s32 offset:200
	;; [unrolled: 1-line block ×3, first 2 shown]
	s_ashr_i32 s17, s16, 31
	s_getpc_b64 s[6:7]
	s_add_u32 s6, s6, llvm.amdgcn.dynlds.offset.table@rel32@lo+4
	s_addc_u32 s7, s7, llvm.amdgcn.dynlds.offset.table@rel32@hi+12
	s_lshl_b64 s[8:9], s[16:17], 2
	buffer_load_dword v9, off, s[0:3], s32 offset:444 ; 4-byte Folded Reload
	buffer_store_dword v6, off, s[0:3], s32 offset:316 ; 4-byte Folded Spill
	s_add_u32 s8, s6, s8
	s_addc_u32 s9, s7, s9
	v_mul_f32_e32 v2, 0x4f7ffffe, v2
	v_mov_b32_e32 v29, 0
	v_mov_b32_e32 v42, 0x80
	;; [unrolled: 1-line block ×3, first 2 shown]
	s_mov_b32 s23, 0
	v_cvt_u32_f32_e32 v2, v2
	s_waitcnt vmcnt(5)
	v_lshlrev_b32_e32 v7, 2, v5
	s_waitcnt vmcnt(4)
	v_bfe_u32 v10, v1, 1, 4
	v_cmp_eq_u32_e32 vcc_lo, 0, v5
	v_mul_u32_u24_e32 v107, 0xc0, v5
	v_sub_nc_u32_e32 v5, 0, v6
	buffer_store_dword v7, off, s[0:3], s32 offset:208 ; 4-byte Folded Spill
	v_or_b32_e32 v7, 8, v7
	buffer_store_dword v10, off, s[0:3], s32 offset:436 ; 4-byte Folded Spill
	v_lshlrev_b32_e32 v6, 4, v10
	v_mul_lo_u32 v5, v5, v2
	s_waitcnt vmcnt(3)
	v_cmp_neq_f32_e64 s5, 0, v0
	s_waitcnt vmcnt(1)
	v_lshlrev_b64 v[0:1], 2, v[11:12]
	buffer_store_dword v7, off, s[0:3], s32 offset:240 ; 4-byte Folded Spill
	v_sub_nc_u32_e32 v8, v10, v96
	v_lshlrev_b32_e32 v7, 2, v10
	s_waitcnt vmcnt(0)
	v_lshl_add_u32 v40, v9, 4, s20
	v_mov_b32_e32 v59, v11
	v_add_co_u32 v0, s6, v16, v0
	buffer_store_dword v16, off, s[0:3], s32 offset:508 ; 4-byte Folded Spill
	buffer_store_dword v17, off, s[0:3], s32 offset:512 ; 4-byte Folded Spill
	s_load_dword s17, s[8:9], 0x0
	v_mul_hi_u32 v5, v2, v5
	v_lshl_or_b32 v45, v9, 6, v7
	v_add_co_ci_u32_e64 v1, null, v17, v1, s6
	v_add_co_u32 v3, s6, v3, v6
	v_add_co_ci_u32_e64 v4, null, 0, v4, s6
	buffer_store_dword v3, off, s[0:3], s32 offset:420 ; 4-byte Folded Spill
	buffer_store_dword v4, off, s[0:3], s32 offset:424 ; 4-byte Folded Spill
	v_add_nc_u32_e32 v3, 1, v8
	v_add_co_u32 v70, s6, v14, v0
	v_add_nc_u32_e32 v0, v2, v5
	buffer_store_dword v3, off, s[0:3], s32 offset:440 ; 4-byte Folded Spill
	buffer_store_dword v14, off, s[0:3], s32 offset:472 ; 4-byte Folded Spill
	v_add_co_ci_u32_e64 v71, null, v15, v1, s6
	buffer_store_dword v0, off, s[0:3], s32 offset:320 ; 4-byte Folded Spill
	v_mov_b32_e32 v0, 0xff7fffff
	buffer_store_dword v15, off, s[0:3], s32 offset:468 ; 4-byte Folded Spill
	buffer_store_dword v0, off, s[0:3], s32 offset:416 ; 4-byte Folded Spill
	s_branch .LBB356_13
.LBB356_11:                             ;   in Loop: Header=BB356_13 Depth=1
	s_or_b32 exec_lo, exec_lo, s24
.LBB356_12:                             ;   in Loop: Header=BB356_13 Depth=1
	s_or_b32 exec_lo, exec_lo, s7
	buffer_load_dword v0, off, s[0:3], s32 offset:224 ; 4-byte Folded Reload
	v_add_nc_u32_e32 v59, 4, v59
	v_add_co_u32 v70, s7, v70, 16
	v_add_co_ci_u32_e64 v71, null, 0, v71, s7
	v_add_nc_u32_e32 v40, 64, v40
	v_add_nc_u32_e32 v45, 0x100, v45
	s_waitcnt vmcnt(0)
	v_cmp_ge_i32_e64 s6, v59, v0
	s_or_b32 s23, s6, s23
	s_andn2_b32 exec_lo, exec_lo, s23
	s_cbranch_execz .LBB356_788
.LBB356_13:                             ; =>This Inner Loop Header: Depth=1
	s_waitcnt lgkmcnt(0)
	s_clause 0x2
	buffer_load_dword v1, off, s[0:3], s32 offset:232
	buffer_load_dword v5, off, s[0:3], s32 offset:228
	;; [unrolled: 1-line block ×3, first 2 shown]
	v_sub_nc_u32_e32 v0, 0, v40
	v_max_i32_e32 v0, v40, v0
	s_waitcnt vmcnt(2)
	v_mul_hi_u32 v1, v0, v1
	s_waitcnt vmcnt(1)
	v_mul_lo_u32 v2, v1, v5
	v_sub_nc_u32_e32 v0, v0, v2
	v_add_nc_u32_e32 v2, 1, v1
	v_sub_nc_u32_e32 v3, v0, v5
	v_cmp_ge_u32_e64 s6, v0, v5
	v_cndmask_b32_e64 v1, v1, v2, s6
	v_cndmask_b32_e64 v0, v0, v3, s6
	v_ashrrev_i32_e32 v2, 31, v40
	v_add_nc_u32_e32 v3, 1, v1
	v_cmp_ge_u32_e64 s6, v0, v5
	s_waitcnt vmcnt(0)
	v_xor_b32_e32 v2, v2, v4
	v_cndmask_b32_e64 v0, v1, v3, s6
	v_xor_b32_e32 v0, v0, v2
	v_sub_nc_u32_e32 v0, v0, v2
	s_clause 0x3
	buffer_load_dword v1, off, s[0:3], s32 offset:212
	buffer_load_dword v2, off, s[0:3], s32 offset:216
	;; [unrolled: 1-line block ×4, first 2 shown]
	s_waitcnt vmcnt(3)
	v_add_nc_u32_e32 v1, v0, v1
	s_waitcnt vmcnt(2)
	v_sub_nc_u32_e32 v2, 0, v1
	v_max_i32_e32 v2, v1, v2
	v_ashrrev_i32_e32 v1, 31, v1
	s_waitcnt vmcnt(1)
	v_mul_hi_u32 v3, v2, v3
	s_waitcnt vmcnt(0)
	v_mul_lo_u32 v3, v3, v4
	v_sub_nc_u32_e32 v2, v2, v3
	v_sub_nc_u32_e32 v3, v2, v4
	v_cmp_ge_u32_e64 s6, v2, v4
	v_cndmask_b32_e64 v2, v2, v3, s6
	v_sub_nc_u32_e32 v3, v2, v4
	v_cmp_ge_u32_e64 s6, v2, v4
	v_cndmask_b32_e64 v2, v2, v3, s6
	v_xor_b32_e32 v2, v2, v1
	v_sub_nc_u32_e32 v1, v2, v1
	v_cmp_ne_u32_e64 s6, 0, v1
	buffer_load_dword v1, off, s[0:3], s32 offset:236 ; 4-byte Folded Reload
	s_waitcnt vmcnt(0)
	v_cmp_le_i32_e64 s7, v0, v1
	s_and_b32 s6, s6, s7
	s_and_saveexec_b32 s7, s6
	s_xor_b32 s6, exec_lo, s7
	s_cbranch_execz .LBB356_17
; %bb.14:                               ;   in Loop: Header=BB356_13 Depth=1
	s_and_saveexec_b32 s7, vcc_lo
	s_cbranch_execz .LBB356_16
; %bb.15:                               ;   in Loop: Header=BB356_13 Depth=1
	s_waitcnt lgkmcnt(0)
	v_add_nc_u32_e32 v0, s17, v45
	v_mov_b32_e32 v1, 0xff7fffff
	ds_write_b32 v0, v1
.LBB356_16:                             ;   in Loop: Header=BB356_13 Depth=1
	s_or_b32 exec_lo, exec_lo, s7
.LBB356_17:                             ;   in Loop: Header=BB356_13 Depth=1
	s_andn2_saveexec_b32 s7, s6
	s_cbranch_execz .LBB356_12
; %bb.18:                               ;   in Loop: Header=BB356_13 Depth=1
	flat_load_dword v0, v[70:71]
	s_clause 0x2
	buffer_load_dword v1, off, s[0:3], s32 offset:312
	buffer_load_dword v2, off, s[0:3], s32 offset:420
	;; [unrolled: 1-line block ×3, first 2 shown]
	v_mov_b32_e32 v39, 0
	v_mov_b32_e32 v5, 0
	s_waitcnt vmcnt(0) lgkmcnt(0)
	v_mad_i64_i32 v[80:81], null, v0, v1, v[2:3]
	buffer_load_dword v0, off, s[0:3], s32 offset:208 ; 4-byte Folded Reload
	s_waitcnt vmcnt(0)
	v_add_co_u32 v82, s6, v80, v0
	v_add_co_ci_u32_e64 v83, null, 0, v81, s6
	flat_load_dword v0, v[82:83]
	s_clause 0x1
	buffer_load_dword v1, off, s[0:3], s32 offset:408
	buffer_load_dword v2, off, s[0:3], s32 offset:412
	s_waitcnt vmcnt(2) lgkmcnt(0)
	v_cmp_ne_u16_sdwa s6, v0, v29 src0_sel:BYTE_0 src1_sel:DWORD
	s_waitcnt vmcnt(0)
	flat_load_dword v60, v[1:2]
	ds_read_b128 v[52:55], v107
	ds_read_b128 v[48:51], v107 offset:16
	ds_read_b128 v[35:38], v107 offset:32
	;; [unrolled: 1-line block ×5, first 2 shown]
	ds_read_b32 v1, v107 offset:96
	s_waitcnt lgkmcnt(0)
	buffer_store_dword v1, off, s[0:3], s32 offset:324 ; 4-byte Folded Spill
	ds_read_u16 v1, v107 offset:100
	s_waitcnt lgkmcnt(0)
	buffer_store_dword v1, off, s[0:3], s32 offset:328 ; 4-byte Folded Spill
	s_and_saveexec_b32 s24, s6
	s_cbranch_execz .LBB356_26
; %bb.19:                               ;   in Loop: Header=BB356_13 Depth=1
	v_cmp_ne_u16_sdwa s6, v0, v42 src0_sel:BYTE_0 src1_sel:DWORD
	v_bfrev_b32_e32 v5, 1
	s_and_saveexec_b32 s25, s6
	s_cbranch_execz .LBB356_25
; %bb.20:                               ;   in Loop: Header=BB356_13 Depth=1
	v_and_b32_e32 v2, 0x7f, v0
	v_mov_b32_e32 v5, 0x7f800001
	s_mov_b32 s26, exec_lo
	v_cmpx_ne_u32_e32 0x7f, v2
	s_cbranch_execz .LBB356_24
; %bb.21:                               ;   in Loop: Header=BB356_13 Depth=1
	v_and_b32_e32 v28, 7, v0
	v_mov_b32_e32 v85, v29
	v_lshrrev_b32_e32 v1, 3, v2
	s_mov_b32 s27, exec_lo
	v_mov_b32_e32 v84, v28
	v_cmpx_gt_u32_e32 8, v2
; %bb.22:                               ;   in Loop: Header=BB356_13 Depth=1
	v_ffbh_u32_e32 v1, v28
	v_min_u32_e32 v1, 32, v1
	v_subrev_nc_u32_e32 v2, 28, v1
	v_sub_nc_u32_e32 v1, 29, v1
	v_lshlrev_b64 v[2:3], v2, v[28:29]
	v_and_b32_e32 v84, 7, v2
; %bb.23:                               ;   in Loop: Header=BB356_13 Depth=1
	s_or_b32 exec_lo, exec_lo, s27
	v_lshlrev_b32_e32 v2, 24, v0
	v_lshlrev_b32_e32 v3, 20, v84
	v_lshl_add_u32 v1, v1, 23, 0x3c000000
	v_and_b32_e32 v2, 0x80000000, v2
	v_or3_b32 v5, v3, v2, v1
.LBB356_24:                             ;   in Loop: Header=BB356_13 Depth=1
	s_or_b32 exec_lo, exec_lo, s26
.LBB356_25:                             ;   in Loop: Header=BB356_13 Depth=1
	s_or_b32 exec_lo, exec_lo, s25
.LBB356_26:                             ;   in Loop: Header=BB356_13 Depth=1
	s_or_b32 exec_lo, exec_lo, s24
	v_cmp_ne_u16_sdwa s6, v0, v29 src0_sel:BYTE_1 src1_sel:DWORD
	s_and_saveexec_b32 s24, s6
	s_cbranch_execz .LBB356_34
; %bb.27:                               ;   in Loop: Header=BB356_13 Depth=1
	v_cmp_ne_u16_sdwa s6, v0, v42 src0_sel:BYTE_1 src1_sel:DWORD
	v_bfrev_b32_e32 v39, 1
	s_and_saveexec_b32 s25, s6
	s_cbranch_execz .LBB356_33
; %bb.28:                               ;   in Loop: Header=BB356_13 Depth=1
	v_mov_b32_e32 v1, 0xffff
	v_mov_b32_e32 v39, 0x7f800001
	s_mov_b32 s26, exec_lo
	v_and_b32_sdwa v1, v1, v0 dst_sel:DWORD dst_unused:UNUSED_PAD src0_sel:DWORD src1_sel:BYTE_1
	v_and_b32_e32 v2, 0x7f, v1
	v_cmpx_ne_u32_e32 0x7f, v2
	s_cbranch_execz .LBB356_32
; %bb.29:                               ;   in Loop: Header=BB356_13 Depth=1
	v_and_b32_e32 v28, 7, v1
	v_mov_b32_e32 v85, v29
	v_lshrrev_b32_e32 v1, 3, v2
	s_mov_b32 s27, exec_lo
	v_mov_b32_e32 v84, v28
	v_cmpx_gt_u32_e32 8, v2
; %bb.30:                               ;   in Loop: Header=BB356_13 Depth=1
	v_ffbh_u32_e32 v1, v28
	v_min_u32_e32 v1, 32, v1
	v_subrev_nc_u32_e32 v2, 28, v1
	v_sub_nc_u32_e32 v1, 29, v1
	v_lshlrev_b64 v[2:3], v2, v[28:29]
	v_and_b32_e32 v84, 7, v2
; %bb.31:                               ;   in Loop: Header=BB356_13 Depth=1
	s_or_b32 exec_lo, exec_lo, s27
	v_lshlrev_b32_e32 v2, 16, v0
	v_lshlrev_b32_e32 v3, 20, v84
	v_lshl_add_u32 v1, v1, 23, 0x3c000000
	v_and_b32_e32 v2, 0x80000000, v2
	v_or3_b32 v39, v3, v2, v1
.LBB356_32:                             ;   in Loop: Header=BB356_13 Depth=1
	s_or_b32 exec_lo, exec_lo, s26
.LBB356_33:                             ;   in Loop: Header=BB356_13 Depth=1
	s_or_b32 exec_lo, exec_lo, s25
.LBB356_34:                             ;   in Loop: Header=BB356_13 Depth=1
	s_or_b32 exec_lo, exec_lo, s24
	v_and_b32_sdwa v1, v0, v56 dst_sel:DWORD dst_unused:UNUSED_PAD src0_sel:WORD_1 src1_sel:DWORD
	v_mov_b32_e32 v4, 0
	v_mov_b32_e32 v21, 0
	s_mov_b32 s24, exec_lo
	v_cmpx_ne_u16_e32 0, v1
	s_cbranch_execz .LBB356_42
; %bb.35:                               ;   in Loop: Header=BB356_13 Depth=1
	v_bfrev_b32_e32 v21, 1
	s_mov_b32 s25, exec_lo
	v_cmpx_ne_u16_e32 0x80, v1
	s_cbranch_execz .LBB356_41
; %bb.36:                               ;   in Loop: Header=BB356_13 Depth=1
	v_bfe_u32 v2, v0, 16, 7
	v_mov_b32_e32 v21, 0x7f800001
	s_mov_b32 s26, exec_lo
	v_cmpx_ne_u32_e32 0x7f, v2
	s_cbranch_execz .LBB356_40
; %bb.37:                               ;   in Loop: Header=BB356_13 Depth=1
	v_mov_b32_e32 v1, 7
	s_mov_b32 s27, exec_lo
	v_and_b32_sdwa v28, v0, v1 dst_sel:DWORD dst_unused:UNUSED_PAD src0_sel:WORD_1 src1_sel:DWORD
	v_mov_b32_e32 v85, v29
	v_lshrrev_b32_e32 v1, 3, v2
	v_mov_b32_e32 v84, v28
	v_cmpx_gt_u32_e32 8, v2
; %bb.38:                               ;   in Loop: Header=BB356_13 Depth=1
	v_ffbh_u32_e32 v1, v28
	v_min_u32_e32 v1, 32, v1
	v_subrev_nc_u32_e32 v2, 28, v1
	v_sub_nc_u32_e32 v1, 29, v1
	v_lshlrev_b64 v[2:3], v2, v[28:29]
	v_and_b32_e32 v84, 7, v2
; %bb.39:                               ;   in Loop: Header=BB356_13 Depth=1
	s_or_b32 exec_lo, exec_lo, s27
	v_mov_b32_e32 v2, 24
	v_lshlrev_b32_e32 v3, 20, v84
	v_lshl_add_u32 v1, v1, 23, 0x3c000000
	v_lshlrev_b32_sdwa v2, v2, v0 dst_sel:DWORD dst_unused:UNUSED_PAD src0_sel:DWORD src1_sel:WORD_1
	v_and_b32_e32 v2, 0x80000000, v2
	v_or3_b32 v21, v3, v2, v1
.LBB356_40:                             ;   in Loop: Header=BB356_13 Depth=1
	s_or_b32 exec_lo, exec_lo, s26
.LBB356_41:                             ;   in Loop: Header=BB356_13 Depth=1
	s_or_b32 exec_lo, exec_lo, s25
.LBB356_42:                             ;   in Loop: Header=BB356_13 Depth=1
	s_or_b32 exec_lo, exec_lo, s24
	s_mov_b32 s24, exec_lo
	v_cmpx_lt_u32_e32 0xffffff, v0
	s_cbranch_execz .LBB356_50
; %bb.43:                               ;   in Loop: Header=BB356_13 Depth=1
	v_cmp_ne_u32_sdwa s6, v0, v42 src0_sel:BYTE_3 src1_sel:DWORD
	v_bfrev_b32_e32 v4, 1
	s_and_saveexec_b32 s25, s6
	s_cbranch_execz .LBB356_49
; %bb.44:                               ;   in Loop: Header=BB356_13 Depth=1
	v_bfe_u32 v2, v0, 24, 7
	v_mov_b32_e32 v4, 0x7f800001
	s_mov_b32 s26, exec_lo
	v_cmpx_ne_u32_e32 0x7f, v2
	s_cbranch_execz .LBB356_48
; %bb.45:                               ;   in Loop: Header=BB356_13 Depth=1
	v_mov_b32_e32 v1, 7
	s_mov_b32 s27, exec_lo
	v_and_b32_sdwa v28, v0, v1 dst_sel:DWORD dst_unused:UNUSED_PAD src0_sel:BYTE_3 src1_sel:DWORD
	v_mov_b32_e32 v85, v29
	v_lshrrev_b32_e32 v1, 3, v2
	v_mov_b32_e32 v84, v28
	v_cmpx_gt_u32_e32 8, v2
; %bb.46:                               ;   in Loop: Header=BB356_13 Depth=1
	v_ffbh_u32_e32 v1, v28
	v_min_u32_e32 v1, 32, v1
	v_subrev_nc_u32_e32 v2, 28, v1
	v_sub_nc_u32_e32 v1, 29, v1
	v_lshlrev_b64 v[2:3], v2, v[28:29]
	v_and_b32_e32 v84, 7, v2
; %bb.47:                               ;   in Loop: Header=BB356_13 Depth=1
	s_or_b32 exec_lo, exec_lo, s27
	v_mov_b32_e32 v2, 24
	v_lshl_add_u32 v1, v1, 23, 0x3c000000
	v_lshlrev_b32_sdwa v0, v2, v0 dst_sel:DWORD dst_unused:UNUSED_PAD src0_sel:DWORD src1_sel:BYTE_3
	v_lshlrev_b32_e32 v2, 20, v84
	v_and_b32_e32 v0, 0x80000000, v0
	v_or3_b32 v4, v2, v0, v1
.LBB356_48:                             ;   in Loop: Header=BB356_13 Depth=1
	s_or_b32 exec_lo, exec_lo, s26
.LBB356_49:                             ;   in Loop: Header=BB356_13 Depth=1
	s_or_b32 exec_lo, exec_lo, s25
.LBB356_50:                             ;   in Loop: Header=BB356_13 Depth=1
	s_or_b32 exec_lo, exec_lo, s24
	flat_load_dword v0, v[82:83] offset:8
	v_mov_b32_e32 v87, 0
	v_mov_b32_e32 v103, 0
	s_waitcnt vmcnt(0) lgkmcnt(0)
	v_cmp_ne_u16_sdwa s6, v0, v29 src0_sel:BYTE_0 src1_sel:DWORD
	s_and_saveexec_b32 s24, s6
	s_cbranch_execz .LBB356_58
; %bb.51:                               ;   in Loop: Header=BB356_13 Depth=1
	v_cmp_ne_u16_sdwa s6, v0, v42 src0_sel:BYTE_0 src1_sel:DWORD
	v_bfrev_b32_e32 v103, 1
	s_and_saveexec_b32 s25, s6
	s_cbranch_execz .LBB356_57
; %bb.52:                               ;   in Loop: Header=BB356_13 Depth=1
	v_and_b32_e32 v2, 0x7f, v0
	v_mov_b32_e32 v103, 0x7f800001
	s_mov_b32 s26, exec_lo
	v_cmpx_ne_u32_e32 0x7f, v2
	s_cbranch_execz .LBB356_56
; %bb.53:                               ;   in Loop: Header=BB356_13 Depth=1
	v_and_b32_e32 v28, 7, v0
	v_mov_b32_e32 v85, v29
	v_lshrrev_b32_e32 v1, 3, v2
	s_mov_b32 s27, exec_lo
	v_mov_b32_e32 v84, v28
	v_cmpx_gt_u32_e32 8, v2
; %bb.54:                               ;   in Loop: Header=BB356_13 Depth=1
	v_ffbh_u32_e32 v1, v28
	v_min_u32_e32 v1, 32, v1
	v_subrev_nc_u32_e32 v2, 28, v1
	v_sub_nc_u32_e32 v1, 29, v1
	v_lshlrev_b64 v[2:3], v2, v[28:29]
	v_and_b32_e32 v84, 7, v2
; %bb.55:                               ;   in Loop: Header=BB356_13 Depth=1
	s_or_b32 exec_lo, exec_lo, s27
	v_lshlrev_b32_e32 v2, 24, v0
	v_lshlrev_b32_e32 v3, 20, v84
	v_lshl_add_u32 v1, v1, 23, 0x3c000000
	v_and_b32_e32 v2, 0x80000000, v2
	v_or3_b32 v103, v3, v2, v1
.LBB356_56:                             ;   in Loop: Header=BB356_13 Depth=1
	s_or_b32 exec_lo, exec_lo, s26
.LBB356_57:                             ;   in Loop: Header=BB356_13 Depth=1
	s_or_b32 exec_lo, exec_lo, s25
.LBB356_58:                             ;   in Loop: Header=BB356_13 Depth=1
	s_or_b32 exec_lo, exec_lo, s24
	v_cmp_ne_u16_sdwa s6, v0, v29 src0_sel:BYTE_1 src1_sel:DWORD
	s_and_saveexec_b32 s24, s6
	s_cbranch_execz .LBB356_66
; %bb.59:                               ;   in Loop: Header=BB356_13 Depth=1
	v_cmp_ne_u16_sdwa s6, v0, v42 src0_sel:BYTE_1 src1_sel:DWORD
	v_bfrev_b32_e32 v87, 1
	s_and_saveexec_b32 s25, s6
	s_cbranch_execz .LBB356_65
; %bb.60:                               ;   in Loop: Header=BB356_13 Depth=1
	v_mov_b32_e32 v1, 0xffff
	v_mov_b32_e32 v87, 0x7f800001
	s_mov_b32 s26, exec_lo
	v_and_b32_sdwa v1, v1, v0 dst_sel:DWORD dst_unused:UNUSED_PAD src0_sel:DWORD src1_sel:BYTE_1
	v_and_b32_e32 v2, 0x7f, v1
	v_cmpx_ne_u32_e32 0x7f, v2
	s_cbranch_execz .LBB356_64
; %bb.61:                               ;   in Loop: Header=BB356_13 Depth=1
	v_and_b32_e32 v28, 7, v1
	v_mov_b32_e32 v85, v29
	v_lshrrev_b32_e32 v1, 3, v2
	s_mov_b32 s27, exec_lo
	v_mov_b32_e32 v84, v28
	v_cmpx_gt_u32_e32 8, v2
; %bb.62:                               ;   in Loop: Header=BB356_13 Depth=1
	v_ffbh_u32_e32 v1, v28
	v_min_u32_e32 v1, 32, v1
	v_subrev_nc_u32_e32 v2, 28, v1
	v_sub_nc_u32_e32 v1, 29, v1
	v_lshlrev_b64 v[2:3], v2, v[28:29]
	v_and_b32_e32 v84, 7, v2
; %bb.63:                               ;   in Loop: Header=BB356_13 Depth=1
	s_or_b32 exec_lo, exec_lo, s27
	v_lshlrev_b32_e32 v2, 16, v0
	v_lshlrev_b32_e32 v3, 20, v84
	v_lshl_add_u32 v1, v1, 23, 0x3c000000
	v_and_b32_e32 v2, 0x80000000, v2
	v_or3_b32 v87, v3, v2, v1
.LBB356_64:                             ;   in Loop: Header=BB356_13 Depth=1
	s_or_b32 exec_lo, exec_lo, s26
.LBB356_65:                             ;   in Loop: Header=BB356_13 Depth=1
	s_or_b32 exec_lo, exec_lo, s25
.LBB356_66:                             ;   in Loop: Header=BB356_13 Depth=1
	s_or_b32 exec_lo, exec_lo, s24
	v_and_b32_sdwa v1, v0, v56 dst_sel:DWORD dst_unused:UNUSED_PAD src0_sel:WORD_1 src1_sel:DWORD
	v_mov_b32_e32 v23, 0
	v_mov_b32_e32 v112, 0
	s_mov_b32 s24, exec_lo
	v_cmpx_ne_u16_e32 0, v1
	s_cbranch_execz .LBB356_74
; %bb.67:                               ;   in Loop: Header=BB356_13 Depth=1
	v_bfrev_b32_e32 v112, 1
	s_mov_b32 s25, exec_lo
	v_cmpx_ne_u16_e32 0x80, v1
	s_cbranch_execz .LBB356_73
; %bb.68:                               ;   in Loop: Header=BB356_13 Depth=1
	v_bfe_u32 v2, v0, 16, 7
	v_mov_b32_e32 v112, 0x7f800001
	s_mov_b32 s26, exec_lo
	v_cmpx_ne_u32_e32 0x7f, v2
	s_cbranch_execz .LBB356_72
; %bb.69:                               ;   in Loop: Header=BB356_13 Depth=1
	v_mov_b32_e32 v1, 7
	s_mov_b32 s27, exec_lo
	v_and_b32_sdwa v28, v0, v1 dst_sel:DWORD dst_unused:UNUSED_PAD src0_sel:WORD_1 src1_sel:DWORD
	v_mov_b32_e32 v85, v29
	v_lshrrev_b32_e32 v1, 3, v2
	v_mov_b32_e32 v84, v28
	v_cmpx_gt_u32_e32 8, v2
; %bb.70:                               ;   in Loop: Header=BB356_13 Depth=1
	v_ffbh_u32_e32 v1, v28
	v_min_u32_e32 v1, 32, v1
	v_subrev_nc_u32_e32 v2, 28, v1
	v_sub_nc_u32_e32 v1, 29, v1
	v_lshlrev_b64 v[2:3], v2, v[28:29]
	v_and_b32_e32 v84, 7, v2
; %bb.71:                               ;   in Loop: Header=BB356_13 Depth=1
	s_or_b32 exec_lo, exec_lo, s27
	v_mov_b32_e32 v2, 24
	v_lshlrev_b32_e32 v3, 20, v84
	v_lshl_add_u32 v1, v1, 23, 0x3c000000
	v_lshlrev_b32_sdwa v2, v2, v0 dst_sel:DWORD dst_unused:UNUSED_PAD src0_sel:DWORD src1_sel:WORD_1
	v_and_b32_e32 v2, 0x80000000, v2
	v_or3_b32 v112, v3, v2, v1
.LBB356_72:                             ;   in Loop: Header=BB356_13 Depth=1
	s_or_b32 exec_lo, exec_lo, s26
.LBB356_73:                             ;   in Loop: Header=BB356_13 Depth=1
	s_or_b32 exec_lo, exec_lo, s25
.LBB356_74:                             ;   in Loop: Header=BB356_13 Depth=1
	s_or_b32 exec_lo, exec_lo, s24
	s_mov_b32 s24, exec_lo
	v_cmpx_lt_u32_e32 0xffffff, v0
	s_cbranch_execz .LBB356_82
; %bb.75:                               ;   in Loop: Header=BB356_13 Depth=1
	v_cmp_ne_u32_sdwa s6, v0, v42 src0_sel:BYTE_3 src1_sel:DWORD
	v_bfrev_b32_e32 v23, 1
	s_and_saveexec_b32 s25, s6
	s_cbranch_execz .LBB356_81
; %bb.76:                               ;   in Loop: Header=BB356_13 Depth=1
	v_bfe_u32 v2, v0, 24, 7
	v_mov_b32_e32 v23, 0x7f800001
	s_mov_b32 s26, exec_lo
	v_cmpx_ne_u32_e32 0x7f, v2
	s_cbranch_execz .LBB356_80
; %bb.77:                               ;   in Loop: Header=BB356_13 Depth=1
	v_mov_b32_e32 v1, 7
	s_mov_b32 s27, exec_lo
	v_and_b32_sdwa v28, v0, v1 dst_sel:DWORD dst_unused:UNUSED_PAD src0_sel:BYTE_3 src1_sel:DWORD
	v_mov_b32_e32 v85, v29
	v_lshrrev_b32_e32 v1, 3, v2
	v_mov_b32_e32 v84, v28
	v_cmpx_gt_u32_e32 8, v2
; %bb.78:                               ;   in Loop: Header=BB356_13 Depth=1
	v_ffbh_u32_e32 v1, v28
	v_min_u32_e32 v1, 32, v1
	v_subrev_nc_u32_e32 v2, 28, v1
	v_sub_nc_u32_e32 v1, 29, v1
	v_lshlrev_b64 v[2:3], v2, v[28:29]
	v_and_b32_e32 v84, 7, v2
; %bb.79:                               ;   in Loop: Header=BB356_13 Depth=1
	s_or_b32 exec_lo, exec_lo, s27
	v_mov_b32_e32 v2, 24
	v_lshl_add_u32 v1, v1, 23, 0x3c000000
	v_lshlrev_b32_sdwa v0, v2, v0 dst_sel:DWORD dst_unused:UNUSED_PAD src0_sel:DWORD src1_sel:BYTE_3
	v_lshlrev_b32_e32 v2, 20, v84
	v_and_b32_e32 v0, 0x80000000, v0
	v_or3_b32 v23, v2, v0, v1
.LBB356_80:                             ;   in Loop: Header=BB356_13 Depth=1
	s_or_b32 exec_lo, exec_lo, s26
.LBB356_81:                             ;   in Loop: Header=BB356_13 Depth=1
	s_or_b32 exec_lo, exec_lo, s25
.LBB356_82:                             ;   in Loop: Header=BB356_13 Depth=1
	s_or_b32 exec_lo, exec_lo, s24
	flat_load_dword v0, v[82:83] offset:256
	v_mov_b32_e32 v113, 0
	v_mov_b32_e32 v11, 0
	s_waitcnt vmcnt(0) lgkmcnt(0)
	v_cmp_ne_u16_sdwa s6, v0, v29 src0_sel:BYTE_0 src1_sel:DWORD
	s_and_saveexec_b32 s24, s6
	s_cbranch_execz .LBB356_90
; %bb.83:                               ;   in Loop: Header=BB356_13 Depth=1
	v_cmp_ne_u16_sdwa s6, v0, v42 src0_sel:BYTE_0 src1_sel:DWORD
	v_bfrev_b32_e32 v11, 1
	s_and_saveexec_b32 s25, s6
	s_cbranch_execz .LBB356_89
; %bb.84:                               ;   in Loop: Header=BB356_13 Depth=1
	v_and_b32_e32 v2, 0x7f, v0
	v_mov_b32_e32 v11, 0x7f800001
	s_mov_b32 s26, exec_lo
	v_cmpx_ne_u32_e32 0x7f, v2
	s_cbranch_execz .LBB356_88
; %bb.85:                               ;   in Loop: Header=BB356_13 Depth=1
	v_and_b32_e32 v28, 7, v0
	v_mov_b32_e32 v85, v29
	v_lshrrev_b32_e32 v1, 3, v2
	s_mov_b32 s27, exec_lo
	v_mov_b32_e32 v84, v28
	v_cmpx_gt_u32_e32 8, v2
; %bb.86:                               ;   in Loop: Header=BB356_13 Depth=1
	v_ffbh_u32_e32 v1, v28
	v_min_u32_e32 v1, 32, v1
	v_subrev_nc_u32_e32 v2, 28, v1
	v_sub_nc_u32_e32 v1, 29, v1
	v_lshlrev_b64 v[2:3], v2, v[28:29]
	v_and_b32_e32 v84, 7, v2
; %bb.87:                               ;   in Loop: Header=BB356_13 Depth=1
	s_or_b32 exec_lo, exec_lo, s27
	v_lshlrev_b32_e32 v2, 24, v0
	v_lshlrev_b32_e32 v3, 20, v84
	v_lshl_add_u32 v1, v1, 23, 0x3c000000
	v_and_b32_e32 v2, 0x80000000, v2
	v_or3_b32 v11, v3, v2, v1
.LBB356_88:                             ;   in Loop: Header=BB356_13 Depth=1
	s_or_b32 exec_lo, exec_lo, s26
.LBB356_89:                             ;   in Loop: Header=BB356_13 Depth=1
	s_or_b32 exec_lo, exec_lo, s25
.LBB356_90:                             ;   in Loop: Header=BB356_13 Depth=1
	s_or_b32 exec_lo, exec_lo, s24
	v_cmp_ne_u16_sdwa s6, v0, v29 src0_sel:BYTE_1 src1_sel:DWORD
	s_and_saveexec_b32 s24, s6
	s_cbranch_execz .LBB356_98
; %bb.91:                               ;   in Loop: Header=BB356_13 Depth=1
	v_cmp_ne_u16_sdwa s6, v0, v42 src0_sel:BYTE_1 src1_sel:DWORD
	v_bfrev_b32_e32 v113, 1
	s_and_saveexec_b32 s25, s6
	s_cbranch_execz .LBB356_97
; %bb.92:                               ;   in Loop: Header=BB356_13 Depth=1
	v_mov_b32_e32 v1, 0xffff
	v_mov_b32_e32 v113, 0x7f800001
	s_mov_b32 s26, exec_lo
	v_and_b32_sdwa v1, v1, v0 dst_sel:DWORD dst_unused:UNUSED_PAD src0_sel:DWORD src1_sel:BYTE_1
	v_and_b32_e32 v2, 0x7f, v1
	v_cmpx_ne_u32_e32 0x7f, v2
	s_cbranch_execz .LBB356_96
; %bb.93:                               ;   in Loop: Header=BB356_13 Depth=1
	v_and_b32_e32 v28, 7, v1
	v_mov_b32_e32 v85, v29
	v_lshrrev_b32_e32 v1, 3, v2
	s_mov_b32 s27, exec_lo
	v_mov_b32_e32 v84, v28
	v_cmpx_gt_u32_e32 8, v2
; %bb.94:                               ;   in Loop: Header=BB356_13 Depth=1
	v_ffbh_u32_e32 v1, v28
	v_min_u32_e32 v1, 32, v1
	v_subrev_nc_u32_e32 v2, 28, v1
	v_sub_nc_u32_e32 v1, 29, v1
	v_lshlrev_b64 v[2:3], v2, v[28:29]
	v_and_b32_e32 v84, 7, v2
; %bb.95:                               ;   in Loop: Header=BB356_13 Depth=1
	s_or_b32 exec_lo, exec_lo, s27
	v_lshlrev_b32_e32 v2, 16, v0
	v_lshlrev_b32_e32 v3, 20, v84
	v_lshl_add_u32 v1, v1, 23, 0x3c000000
	v_and_b32_e32 v2, 0x80000000, v2
	v_or3_b32 v113, v3, v2, v1
.LBB356_96:                             ;   in Loop: Header=BB356_13 Depth=1
	s_or_b32 exec_lo, exec_lo, s26
.LBB356_97:                             ;   in Loop: Header=BB356_13 Depth=1
	s_or_b32 exec_lo, exec_lo, s25
.LBB356_98:                             ;   in Loop: Header=BB356_13 Depth=1
	s_or_b32 exec_lo, exec_lo, s24
	v_and_b32_sdwa v1, v0, v56 dst_sel:DWORD dst_unused:UNUSED_PAD src0_sel:WORD_1 src1_sel:DWORD
	v_mov_b32_e32 v10, 0
	v_mov_b32_e32 v116, 0
	s_mov_b32 s24, exec_lo
	v_cmpx_ne_u16_e32 0, v1
	s_cbranch_execz .LBB356_106
; %bb.99:                               ;   in Loop: Header=BB356_13 Depth=1
	v_bfrev_b32_e32 v116, 1
	s_mov_b32 s25, exec_lo
	v_cmpx_ne_u16_e32 0x80, v1
	s_cbranch_execz .LBB356_105
; %bb.100:                              ;   in Loop: Header=BB356_13 Depth=1
	v_bfe_u32 v2, v0, 16, 7
	v_mov_b32_e32 v116, 0x7f800001
	s_mov_b32 s26, exec_lo
	v_cmpx_ne_u32_e32 0x7f, v2
	s_cbranch_execz .LBB356_104
; %bb.101:                              ;   in Loop: Header=BB356_13 Depth=1
	v_mov_b32_e32 v1, 7
	s_mov_b32 s27, exec_lo
	v_and_b32_sdwa v28, v0, v1 dst_sel:DWORD dst_unused:UNUSED_PAD src0_sel:WORD_1 src1_sel:DWORD
	v_mov_b32_e32 v85, v29
	v_lshrrev_b32_e32 v1, 3, v2
	v_mov_b32_e32 v84, v28
	v_cmpx_gt_u32_e32 8, v2
; %bb.102:                              ;   in Loop: Header=BB356_13 Depth=1
	v_ffbh_u32_e32 v1, v28
	v_min_u32_e32 v1, 32, v1
	v_subrev_nc_u32_e32 v2, 28, v1
	v_sub_nc_u32_e32 v1, 29, v1
	v_lshlrev_b64 v[2:3], v2, v[28:29]
	v_and_b32_e32 v84, 7, v2
; %bb.103:                              ;   in Loop: Header=BB356_13 Depth=1
	s_or_b32 exec_lo, exec_lo, s27
	v_mov_b32_e32 v2, 24
	v_lshlrev_b32_e32 v3, 20, v84
	v_lshl_add_u32 v1, v1, 23, 0x3c000000
	v_lshlrev_b32_sdwa v2, v2, v0 dst_sel:DWORD dst_unused:UNUSED_PAD src0_sel:DWORD src1_sel:WORD_1
	v_and_b32_e32 v2, 0x80000000, v2
	v_or3_b32 v116, v3, v2, v1
.LBB356_104:                            ;   in Loop: Header=BB356_13 Depth=1
	s_or_b32 exec_lo, exec_lo, s26
.LBB356_105:                            ;   in Loop: Header=BB356_13 Depth=1
	s_or_b32 exec_lo, exec_lo, s25
.LBB356_106:                            ;   in Loop: Header=BB356_13 Depth=1
	s_or_b32 exec_lo, exec_lo, s24
	s_mov_b32 s24, exec_lo
	v_cmpx_lt_u32_e32 0xffffff, v0
	s_cbranch_execz .LBB356_114
; %bb.107:                              ;   in Loop: Header=BB356_13 Depth=1
	v_cmp_ne_u32_sdwa s6, v0, v42 src0_sel:BYTE_3 src1_sel:DWORD
	v_bfrev_b32_e32 v10, 1
	s_and_saveexec_b32 s25, s6
	s_cbranch_execz .LBB356_113
; %bb.108:                              ;   in Loop: Header=BB356_13 Depth=1
	v_bfe_u32 v2, v0, 24, 7
	v_mov_b32_e32 v10, 0x7f800001
	s_mov_b32 s26, exec_lo
	v_cmpx_ne_u32_e32 0x7f, v2
	s_cbranch_execz .LBB356_112
; %bb.109:                              ;   in Loop: Header=BB356_13 Depth=1
	v_mov_b32_e32 v1, 7
	s_mov_b32 s27, exec_lo
	v_and_b32_sdwa v28, v0, v1 dst_sel:DWORD dst_unused:UNUSED_PAD src0_sel:BYTE_3 src1_sel:DWORD
	v_mov_b32_e32 v85, v29
	v_lshrrev_b32_e32 v1, 3, v2
	v_mov_b32_e32 v84, v28
	v_cmpx_gt_u32_e32 8, v2
; %bb.110:                              ;   in Loop: Header=BB356_13 Depth=1
	v_ffbh_u32_e32 v1, v28
	v_min_u32_e32 v1, 32, v1
	v_subrev_nc_u32_e32 v2, 28, v1
	v_sub_nc_u32_e32 v1, 29, v1
	v_lshlrev_b64 v[2:3], v2, v[28:29]
	v_and_b32_e32 v84, 7, v2
; %bb.111:                              ;   in Loop: Header=BB356_13 Depth=1
	s_or_b32 exec_lo, exec_lo, s27
	v_mov_b32_e32 v2, 24
	v_lshl_add_u32 v1, v1, 23, 0x3c000000
	v_lshlrev_b32_sdwa v0, v2, v0 dst_sel:DWORD dst_unused:UNUSED_PAD src0_sel:DWORD src1_sel:BYTE_3
	v_lshlrev_b32_e32 v2, 20, v84
	v_and_b32_e32 v0, 0x80000000, v0
	v_or3_b32 v10, v2, v0, v1
.LBB356_112:                            ;   in Loop: Header=BB356_13 Depth=1
	s_or_b32 exec_lo, exec_lo, s26
.LBB356_113:                            ;   in Loop: Header=BB356_13 Depth=1
	s_or_b32 exec_lo, exec_lo, s25
.LBB356_114:                            ;   in Loop: Header=BB356_13 Depth=1
	s_or_b32 exec_lo, exec_lo, s24
	flat_load_dword v0, v[82:83] offset:264
	v_mov_b32_e32 v92, 0
	v_mov_b32_e32 v93, 0
	s_waitcnt vmcnt(0) lgkmcnt(0)
	v_cmp_ne_u16_sdwa s6, v0, v29 src0_sel:BYTE_0 src1_sel:DWORD
	s_and_saveexec_b32 s24, s6
	s_cbranch_execz .LBB356_122
; %bb.115:                              ;   in Loop: Header=BB356_13 Depth=1
	v_cmp_ne_u16_sdwa s6, v0, v42 src0_sel:BYTE_0 src1_sel:DWORD
	v_bfrev_b32_e32 v93, 1
	s_and_saveexec_b32 s25, s6
	s_cbranch_execz .LBB356_121
; %bb.116:                              ;   in Loop: Header=BB356_13 Depth=1
	v_and_b32_e32 v2, 0x7f, v0
	v_mov_b32_e32 v93, 0x7f800001
	s_mov_b32 s26, exec_lo
	v_cmpx_ne_u32_e32 0x7f, v2
	s_cbranch_execz .LBB356_120
; %bb.117:                              ;   in Loop: Header=BB356_13 Depth=1
	v_and_b32_e32 v28, 7, v0
	v_mov_b32_e32 v85, v29
	v_lshrrev_b32_e32 v1, 3, v2
	s_mov_b32 s27, exec_lo
	v_mov_b32_e32 v84, v28
	v_cmpx_gt_u32_e32 8, v2
; %bb.118:                              ;   in Loop: Header=BB356_13 Depth=1
	v_ffbh_u32_e32 v1, v28
	v_min_u32_e32 v1, 32, v1
	v_subrev_nc_u32_e32 v2, 28, v1
	v_sub_nc_u32_e32 v1, 29, v1
	v_lshlrev_b64 v[2:3], v2, v[28:29]
	v_and_b32_e32 v84, 7, v2
; %bb.119:                              ;   in Loop: Header=BB356_13 Depth=1
	s_or_b32 exec_lo, exec_lo, s27
	v_lshlrev_b32_e32 v2, 24, v0
	v_lshlrev_b32_e32 v3, 20, v84
	v_lshl_add_u32 v1, v1, 23, 0x3c000000
	v_and_b32_e32 v2, 0x80000000, v2
	v_or3_b32 v93, v3, v2, v1
.LBB356_120:                            ;   in Loop: Header=BB356_13 Depth=1
	s_or_b32 exec_lo, exec_lo, s26
.LBB356_121:                            ;   in Loop: Header=BB356_13 Depth=1
	s_or_b32 exec_lo, exec_lo, s25
.LBB356_122:                            ;   in Loop: Header=BB356_13 Depth=1
	s_or_b32 exec_lo, exec_lo, s24
	v_cmp_ne_u16_sdwa s6, v0, v29 src0_sel:BYTE_1 src1_sel:DWORD
	s_and_saveexec_b32 s24, s6
	s_cbranch_execz .LBB356_130
; %bb.123:                              ;   in Loop: Header=BB356_13 Depth=1
	v_cmp_ne_u16_sdwa s6, v0, v42 src0_sel:BYTE_1 src1_sel:DWORD
	v_bfrev_b32_e32 v92, 1
	s_and_saveexec_b32 s25, s6
	s_cbranch_execz .LBB356_129
; %bb.124:                              ;   in Loop: Header=BB356_13 Depth=1
	v_mov_b32_e32 v1, 0xffff
	v_mov_b32_e32 v92, 0x7f800001
	s_mov_b32 s26, exec_lo
	v_and_b32_sdwa v1, v1, v0 dst_sel:DWORD dst_unused:UNUSED_PAD src0_sel:DWORD src1_sel:BYTE_1
	v_and_b32_e32 v2, 0x7f, v1
	v_cmpx_ne_u32_e32 0x7f, v2
	s_cbranch_execz .LBB356_128
; %bb.125:                              ;   in Loop: Header=BB356_13 Depth=1
	v_and_b32_e32 v28, 7, v1
	v_mov_b32_e32 v85, v29
	v_lshrrev_b32_e32 v1, 3, v2
	s_mov_b32 s27, exec_lo
	v_mov_b32_e32 v84, v28
	v_cmpx_gt_u32_e32 8, v2
; %bb.126:                              ;   in Loop: Header=BB356_13 Depth=1
	v_ffbh_u32_e32 v1, v28
	v_min_u32_e32 v1, 32, v1
	v_subrev_nc_u32_e32 v2, 28, v1
	v_sub_nc_u32_e32 v1, 29, v1
	v_lshlrev_b64 v[2:3], v2, v[28:29]
	v_and_b32_e32 v84, 7, v2
; %bb.127:                              ;   in Loop: Header=BB356_13 Depth=1
	s_or_b32 exec_lo, exec_lo, s27
	v_lshlrev_b32_e32 v2, 16, v0
	v_lshlrev_b32_e32 v3, 20, v84
	v_lshl_add_u32 v1, v1, 23, 0x3c000000
	v_and_b32_e32 v2, 0x80000000, v2
	v_or3_b32 v92, v3, v2, v1
.LBB356_128:                            ;   in Loop: Header=BB356_13 Depth=1
	s_or_b32 exec_lo, exec_lo, s26
.LBB356_129:                            ;   in Loop: Header=BB356_13 Depth=1
	s_or_b32 exec_lo, exec_lo, s25
.LBB356_130:                            ;   in Loop: Header=BB356_13 Depth=1
	s_or_b32 exec_lo, exec_lo, s24
	v_and_b32_sdwa v1, v0, v56 dst_sel:DWORD dst_unused:UNUSED_PAD src0_sel:WORD_1 src1_sel:DWORD
	v_mov_b32_e32 v94, 0
	v_mov_b32_e32 v66, 0
	s_mov_b32 s24, exec_lo
	v_cmpx_ne_u16_e32 0, v1
	s_cbranch_execz .LBB356_138
; %bb.131:                              ;   in Loop: Header=BB356_13 Depth=1
	v_bfrev_b32_e32 v66, 1
	s_mov_b32 s25, exec_lo
	v_cmpx_ne_u16_e32 0x80, v1
	s_cbranch_execz .LBB356_137
; %bb.132:                              ;   in Loop: Header=BB356_13 Depth=1
	v_bfe_u32 v2, v0, 16, 7
	v_mov_b32_e32 v66, 0x7f800001
	s_mov_b32 s26, exec_lo
	v_cmpx_ne_u32_e32 0x7f, v2
	s_cbranch_execz .LBB356_136
; %bb.133:                              ;   in Loop: Header=BB356_13 Depth=1
	v_mov_b32_e32 v1, 7
	s_mov_b32 s27, exec_lo
	v_and_b32_sdwa v28, v0, v1 dst_sel:DWORD dst_unused:UNUSED_PAD src0_sel:WORD_1 src1_sel:DWORD
	v_mov_b32_e32 v85, v29
	v_lshrrev_b32_e32 v1, 3, v2
	v_mov_b32_e32 v84, v28
	v_cmpx_gt_u32_e32 8, v2
; %bb.134:                              ;   in Loop: Header=BB356_13 Depth=1
	v_ffbh_u32_e32 v1, v28
	v_min_u32_e32 v1, 32, v1
	v_subrev_nc_u32_e32 v2, 28, v1
	v_sub_nc_u32_e32 v1, 29, v1
	v_lshlrev_b64 v[2:3], v2, v[28:29]
	v_and_b32_e32 v84, 7, v2
; %bb.135:                              ;   in Loop: Header=BB356_13 Depth=1
	s_or_b32 exec_lo, exec_lo, s27
	v_mov_b32_e32 v2, 24
	v_lshlrev_b32_e32 v3, 20, v84
	v_lshl_add_u32 v1, v1, 23, 0x3c000000
	v_lshlrev_b32_sdwa v2, v2, v0 dst_sel:DWORD dst_unused:UNUSED_PAD src0_sel:DWORD src1_sel:WORD_1
	v_and_b32_e32 v2, 0x80000000, v2
	v_or3_b32 v66, v3, v2, v1
.LBB356_136:                            ;   in Loop: Header=BB356_13 Depth=1
	s_or_b32 exec_lo, exec_lo, s26
.LBB356_137:                            ;   in Loop: Header=BB356_13 Depth=1
	s_or_b32 exec_lo, exec_lo, s25
.LBB356_138:                            ;   in Loop: Header=BB356_13 Depth=1
	s_or_b32 exec_lo, exec_lo, s24
	s_mov_b32 s24, exec_lo
	v_cmpx_lt_u32_e32 0xffffff, v0
	s_cbranch_execz .LBB356_146
; %bb.139:                              ;   in Loop: Header=BB356_13 Depth=1
	v_cmp_ne_u32_sdwa s6, v0, v42 src0_sel:BYTE_3 src1_sel:DWORD
	v_bfrev_b32_e32 v94, 1
	s_and_saveexec_b32 s25, s6
	s_cbranch_execz .LBB356_145
; %bb.140:                              ;   in Loop: Header=BB356_13 Depth=1
	v_bfe_u32 v2, v0, 24, 7
	v_mov_b32_e32 v94, 0x7f800001
	s_mov_b32 s26, exec_lo
	v_cmpx_ne_u32_e32 0x7f, v2
	s_cbranch_execz .LBB356_144
; %bb.141:                              ;   in Loop: Header=BB356_13 Depth=1
	v_mov_b32_e32 v1, 7
	s_mov_b32 s27, exec_lo
	v_and_b32_sdwa v28, v0, v1 dst_sel:DWORD dst_unused:UNUSED_PAD src0_sel:BYTE_3 src1_sel:DWORD
	v_mov_b32_e32 v85, v29
	v_lshrrev_b32_e32 v1, 3, v2
	v_mov_b32_e32 v84, v28
	v_cmpx_gt_u32_e32 8, v2
; %bb.142:                              ;   in Loop: Header=BB356_13 Depth=1
	v_ffbh_u32_e32 v1, v28
	v_min_u32_e32 v1, 32, v1
	v_subrev_nc_u32_e32 v2, 28, v1
	v_sub_nc_u32_e32 v1, 29, v1
	v_lshlrev_b64 v[2:3], v2, v[28:29]
	v_and_b32_e32 v84, 7, v2
; %bb.143:                              ;   in Loop: Header=BB356_13 Depth=1
	s_or_b32 exec_lo, exec_lo, s27
	v_mov_b32_e32 v2, 24
	v_lshl_add_u32 v1, v1, 23, 0x3c000000
	v_lshlrev_b32_sdwa v0, v2, v0 dst_sel:DWORD dst_unused:UNUSED_PAD src0_sel:DWORD src1_sel:BYTE_3
	v_lshlrev_b32_e32 v2, 20, v84
	v_and_b32_e32 v0, 0x80000000, v0
	v_or3_b32 v94, v2, v0, v1
.LBB356_144:                            ;   in Loop: Header=BB356_13 Depth=1
	s_or_b32 exec_lo, exec_lo, s26
.LBB356_145:                            ;   in Loop: Header=BB356_13 Depth=1
	s_or_b32 exec_lo, exec_lo, s25
.LBB356_146:                            ;   in Loop: Header=BB356_13 Depth=1
	s_or_b32 exec_lo, exec_lo, s24
	flat_load_dword v0, v[82:83] offset:512
	v_mov_b32_e32 v67, 0
	v_mov_b32_e32 v95, 0
	s_waitcnt vmcnt(0) lgkmcnt(0)
	v_cmp_ne_u16_sdwa s6, v0, v29 src0_sel:BYTE_0 src1_sel:DWORD
	s_and_saveexec_b32 s24, s6
	s_cbranch_execz .LBB356_154
; %bb.147:                              ;   in Loop: Header=BB356_13 Depth=1
	v_cmp_ne_u16_sdwa s6, v0, v42 src0_sel:BYTE_0 src1_sel:DWORD
	v_bfrev_b32_e32 v95, 1
	s_and_saveexec_b32 s25, s6
	s_cbranch_execz .LBB356_153
; %bb.148:                              ;   in Loop: Header=BB356_13 Depth=1
	v_and_b32_e32 v2, 0x7f, v0
	v_mov_b32_e32 v95, 0x7f800001
	s_mov_b32 s26, exec_lo
	v_cmpx_ne_u32_e32 0x7f, v2
	s_cbranch_execz .LBB356_152
; %bb.149:                              ;   in Loop: Header=BB356_13 Depth=1
	v_and_b32_e32 v28, 7, v0
	v_mov_b32_e32 v85, v29
	v_lshrrev_b32_e32 v1, 3, v2
	s_mov_b32 s27, exec_lo
	v_mov_b32_e32 v84, v28
	v_cmpx_gt_u32_e32 8, v2
; %bb.150:                              ;   in Loop: Header=BB356_13 Depth=1
	v_ffbh_u32_e32 v1, v28
	v_min_u32_e32 v1, 32, v1
	v_subrev_nc_u32_e32 v2, 28, v1
	v_sub_nc_u32_e32 v1, 29, v1
	v_lshlrev_b64 v[2:3], v2, v[28:29]
	v_and_b32_e32 v84, 7, v2
; %bb.151:                              ;   in Loop: Header=BB356_13 Depth=1
	s_or_b32 exec_lo, exec_lo, s27
	v_lshlrev_b32_e32 v2, 24, v0
	v_lshlrev_b32_e32 v3, 20, v84
	v_lshl_add_u32 v1, v1, 23, 0x3c000000
	v_and_b32_e32 v2, 0x80000000, v2
	v_or3_b32 v95, v3, v2, v1
.LBB356_152:                            ;   in Loop: Header=BB356_13 Depth=1
	s_or_b32 exec_lo, exec_lo, s26
.LBB356_153:                            ;   in Loop: Header=BB356_13 Depth=1
	s_or_b32 exec_lo, exec_lo, s25
.LBB356_154:                            ;   in Loop: Header=BB356_13 Depth=1
	s_or_b32 exec_lo, exec_lo, s24
	v_cmp_ne_u16_sdwa s6, v0, v29 src0_sel:BYTE_1 src1_sel:DWORD
	s_and_saveexec_b32 s24, s6
	s_cbranch_execz .LBB356_162
; %bb.155:                              ;   in Loop: Header=BB356_13 Depth=1
	v_cmp_ne_u16_sdwa s6, v0, v42 src0_sel:BYTE_1 src1_sel:DWORD
	v_bfrev_b32_e32 v67, 1
	s_and_saveexec_b32 s25, s6
	s_cbranch_execz .LBB356_161
; %bb.156:                              ;   in Loop: Header=BB356_13 Depth=1
	v_mov_b32_e32 v1, 0xffff
	v_mov_b32_e32 v67, 0x7f800001
	s_mov_b32 s26, exec_lo
	v_and_b32_sdwa v1, v1, v0 dst_sel:DWORD dst_unused:UNUSED_PAD src0_sel:DWORD src1_sel:BYTE_1
	v_and_b32_e32 v2, 0x7f, v1
	v_cmpx_ne_u32_e32 0x7f, v2
	s_cbranch_execz .LBB356_160
; %bb.157:                              ;   in Loop: Header=BB356_13 Depth=1
	v_and_b32_e32 v28, 7, v1
	v_mov_b32_e32 v85, v29
	v_lshrrev_b32_e32 v1, 3, v2
	s_mov_b32 s27, exec_lo
	v_mov_b32_e32 v84, v28
	v_cmpx_gt_u32_e32 8, v2
; %bb.158:                              ;   in Loop: Header=BB356_13 Depth=1
	v_ffbh_u32_e32 v1, v28
	v_min_u32_e32 v1, 32, v1
	v_subrev_nc_u32_e32 v2, 28, v1
	v_sub_nc_u32_e32 v1, 29, v1
	v_lshlrev_b64 v[2:3], v2, v[28:29]
	v_and_b32_e32 v84, 7, v2
; %bb.159:                              ;   in Loop: Header=BB356_13 Depth=1
	s_or_b32 exec_lo, exec_lo, s27
	v_lshlrev_b32_e32 v2, 16, v0
	v_lshlrev_b32_e32 v3, 20, v84
	v_lshl_add_u32 v1, v1, 23, 0x3c000000
	v_and_b32_e32 v2, 0x80000000, v2
	v_or3_b32 v67, v3, v2, v1
.LBB356_160:                            ;   in Loop: Header=BB356_13 Depth=1
	s_or_b32 exec_lo, exec_lo, s26
.LBB356_161:                            ;   in Loop: Header=BB356_13 Depth=1
	s_or_b32 exec_lo, exec_lo, s25
.LBB356_162:                            ;   in Loop: Header=BB356_13 Depth=1
	s_or_b32 exec_lo, exec_lo, s24
	v_and_b32_sdwa v1, v0, v56 dst_sel:DWORD dst_unused:UNUSED_PAD src0_sel:WORD_1 src1_sel:DWORD
	v_mov_b32_e32 v104, 0
	v_mov_b32_e32 v105, 0
	s_mov_b32 s24, exec_lo
	v_cmpx_ne_u16_e32 0, v1
	s_cbranch_execz .LBB356_170
; %bb.163:                              ;   in Loop: Header=BB356_13 Depth=1
	v_bfrev_b32_e32 v105, 1
	s_mov_b32 s25, exec_lo
	v_cmpx_ne_u16_e32 0x80, v1
	s_cbranch_execz .LBB356_169
; %bb.164:                              ;   in Loop: Header=BB356_13 Depth=1
	v_bfe_u32 v2, v0, 16, 7
	v_mov_b32_e32 v105, 0x7f800001
	s_mov_b32 s26, exec_lo
	v_cmpx_ne_u32_e32 0x7f, v2
	s_cbranch_execz .LBB356_168
; %bb.165:                              ;   in Loop: Header=BB356_13 Depth=1
	v_mov_b32_e32 v1, 7
	s_mov_b32 s27, exec_lo
	v_and_b32_sdwa v28, v0, v1 dst_sel:DWORD dst_unused:UNUSED_PAD src0_sel:WORD_1 src1_sel:DWORD
	v_mov_b32_e32 v85, v29
	v_lshrrev_b32_e32 v1, 3, v2
	v_mov_b32_e32 v84, v28
	v_cmpx_gt_u32_e32 8, v2
; %bb.166:                              ;   in Loop: Header=BB356_13 Depth=1
	v_ffbh_u32_e32 v1, v28
	v_min_u32_e32 v1, 32, v1
	v_subrev_nc_u32_e32 v2, 28, v1
	v_sub_nc_u32_e32 v1, 29, v1
	v_lshlrev_b64 v[2:3], v2, v[28:29]
	v_and_b32_e32 v84, 7, v2
; %bb.167:                              ;   in Loop: Header=BB356_13 Depth=1
	s_or_b32 exec_lo, exec_lo, s27
	v_mov_b32_e32 v2, 24
	v_lshlrev_b32_e32 v3, 20, v84
	v_lshl_add_u32 v1, v1, 23, 0x3c000000
	v_lshlrev_b32_sdwa v2, v2, v0 dst_sel:DWORD dst_unused:UNUSED_PAD src0_sel:DWORD src1_sel:WORD_1
	v_and_b32_e32 v2, 0x80000000, v2
	v_or3_b32 v105, v3, v2, v1
.LBB356_168:                            ;   in Loop: Header=BB356_13 Depth=1
	s_or_b32 exec_lo, exec_lo, s26
.LBB356_169:                            ;   in Loop: Header=BB356_13 Depth=1
	s_or_b32 exec_lo, exec_lo, s25
.LBB356_170:                            ;   in Loop: Header=BB356_13 Depth=1
	s_or_b32 exec_lo, exec_lo, s24
	s_mov_b32 s24, exec_lo
	v_cmpx_lt_u32_e32 0xffffff, v0
	s_cbranch_execz .LBB356_178
; %bb.171:                              ;   in Loop: Header=BB356_13 Depth=1
	v_cmp_ne_u32_sdwa s6, v0, v42 src0_sel:BYTE_3 src1_sel:DWORD
	v_bfrev_b32_e32 v104, 1
	s_and_saveexec_b32 s25, s6
	s_cbranch_execz .LBB356_177
; %bb.172:                              ;   in Loop: Header=BB356_13 Depth=1
	v_bfe_u32 v2, v0, 24, 7
	v_mov_b32_e32 v104, 0x7f800001
	s_mov_b32 s26, exec_lo
	v_cmpx_ne_u32_e32 0x7f, v2
	s_cbranch_execz .LBB356_176
; %bb.173:                              ;   in Loop: Header=BB356_13 Depth=1
	v_mov_b32_e32 v1, 7
	s_mov_b32 s27, exec_lo
	v_and_b32_sdwa v28, v0, v1 dst_sel:DWORD dst_unused:UNUSED_PAD src0_sel:BYTE_3 src1_sel:DWORD
	v_mov_b32_e32 v85, v29
	v_lshrrev_b32_e32 v1, 3, v2
	v_mov_b32_e32 v84, v28
	v_cmpx_gt_u32_e32 8, v2
; %bb.174:                              ;   in Loop: Header=BB356_13 Depth=1
	v_ffbh_u32_e32 v1, v28
	v_min_u32_e32 v1, 32, v1
	v_subrev_nc_u32_e32 v2, 28, v1
	v_sub_nc_u32_e32 v1, 29, v1
	v_lshlrev_b64 v[2:3], v2, v[28:29]
	v_and_b32_e32 v84, 7, v2
; %bb.175:                              ;   in Loop: Header=BB356_13 Depth=1
	s_or_b32 exec_lo, exec_lo, s27
	v_mov_b32_e32 v2, 24
	v_lshl_add_u32 v1, v1, 23, 0x3c000000
	v_lshlrev_b32_sdwa v0, v2, v0 dst_sel:DWORD dst_unused:UNUSED_PAD src0_sel:DWORD src1_sel:BYTE_3
	v_lshlrev_b32_e32 v2, 20, v84
	v_and_b32_e32 v0, 0x80000000, v0
	v_or3_b32 v104, v2, v0, v1
.LBB356_176:                            ;   in Loop: Header=BB356_13 Depth=1
	s_or_b32 exec_lo, exec_lo, s26
.LBB356_177:                            ;   in Loop: Header=BB356_13 Depth=1
	s_or_b32 exec_lo, exec_lo, s25
.LBB356_178:                            ;   in Loop: Header=BB356_13 Depth=1
	s_or_b32 exec_lo, exec_lo, s24
	flat_load_dword v0, v[82:83] offset:520
	v_mov_b32_e32 v117, 0
	v_mov_b32_e32 v46, 0
	s_waitcnt vmcnt(0) lgkmcnt(0)
	v_cmp_ne_u16_sdwa s6, v0, v29 src0_sel:BYTE_0 src1_sel:DWORD
	s_and_saveexec_b32 s24, s6
	s_cbranch_execz .LBB356_186
; %bb.179:                              ;   in Loop: Header=BB356_13 Depth=1
	v_cmp_ne_u16_sdwa s6, v0, v42 src0_sel:BYTE_0 src1_sel:DWORD
	v_bfrev_b32_e32 v46, 1
	s_and_saveexec_b32 s25, s6
	s_cbranch_execz .LBB356_185
; %bb.180:                              ;   in Loop: Header=BB356_13 Depth=1
	v_and_b32_e32 v2, 0x7f, v0
	v_mov_b32_e32 v46, 0x7f800001
	s_mov_b32 s26, exec_lo
	v_cmpx_ne_u32_e32 0x7f, v2
	s_cbranch_execz .LBB356_184
; %bb.181:                              ;   in Loop: Header=BB356_13 Depth=1
	v_and_b32_e32 v28, 7, v0
	v_mov_b32_e32 v85, v29
	v_lshrrev_b32_e32 v1, 3, v2
	s_mov_b32 s27, exec_lo
	v_mov_b32_e32 v84, v28
	v_cmpx_gt_u32_e32 8, v2
; %bb.182:                              ;   in Loop: Header=BB356_13 Depth=1
	v_ffbh_u32_e32 v1, v28
	v_min_u32_e32 v1, 32, v1
	v_subrev_nc_u32_e32 v2, 28, v1
	v_sub_nc_u32_e32 v1, 29, v1
	v_lshlrev_b64 v[2:3], v2, v[28:29]
	v_and_b32_e32 v84, 7, v2
; %bb.183:                              ;   in Loop: Header=BB356_13 Depth=1
	s_or_b32 exec_lo, exec_lo, s27
	v_lshlrev_b32_e32 v2, 24, v0
	v_lshlrev_b32_e32 v3, 20, v84
	v_lshl_add_u32 v1, v1, 23, 0x3c000000
	v_and_b32_e32 v2, 0x80000000, v2
	v_or3_b32 v46, v3, v2, v1
.LBB356_184:                            ;   in Loop: Header=BB356_13 Depth=1
	s_or_b32 exec_lo, exec_lo, s26
.LBB356_185:                            ;   in Loop: Header=BB356_13 Depth=1
	s_or_b32 exec_lo, exec_lo, s25
.LBB356_186:                            ;   in Loop: Header=BB356_13 Depth=1
	s_or_b32 exec_lo, exec_lo, s24
	v_cmp_ne_u16_sdwa s6, v0, v29 src0_sel:BYTE_1 src1_sel:DWORD
	s_and_saveexec_b32 s24, s6
	s_cbranch_execz .LBB356_194
; %bb.187:                              ;   in Loop: Header=BB356_13 Depth=1
	v_cmp_ne_u16_sdwa s6, v0, v42 src0_sel:BYTE_1 src1_sel:DWORD
	v_bfrev_b32_e32 v117, 1
	s_and_saveexec_b32 s25, s6
	s_cbranch_execz .LBB356_193
; %bb.188:                              ;   in Loop: Header=BB356_13 Depth=1
	v_mov_b32_e32 v1, 0xffff
	v_mov_b32_e32 v117, 0x7f800001
	s_mov_b32 s26, exec_lo
	v_and_b32_sdwa v1, v1, v0 dst_sel:DWORD dst_unused:UNUSED_PAD src0_sel:DWORD src1_sel:BYTE_1
	v_and_b32_e32 v2, 0x7f, v1
	v_cmpx_ne_u32_e32 0x7f, v2
	s_cbranch_execz .LBB356_192
; %bb.189:                              ;   in Loop: Header=BB356_13 Depth=1
	v_and_b32_e32 v28, 7, v1
	v_mov_b32_e32 v85, v29
	v_lshrrev_b32_e32 v1, 3, v2
	s_mov_b32 s27, exec_lo
	v_mov_b32_e32 v84, v28
	v_cmpx_gt_u32_e32 8, v2
; %bb.190:                              ;   in Loop: Header=BB356_13 Depth=1
	v_ffbh_u32_e32 v1, v28
	v_min_u32_e32 v1, 32, v1
	v_subrev_nc_u32_e32 v2, 28, v1
	v_sub_nc_u32_e32 v1, 29, v1
	v_lshlrev_b64 v[2:3], v2, v[28:29]
	v_and_b32_e32 v84, 7, v2
; %bb.191:                              ;   in Loop: Header=BB356_13 Depth=1
	s_or_b32 exec_lo, exec_lo, s27
	v_lshlrev_b32_e32 v2, 16, v0
	v_lshlrev_b32_e32 v3, 20, v84
	v_lshl_add_u32 v1, v1, 23, 0x3c000000
	v_and_b32_e32 v2, 0x80000000, v2
	v_or3_b32 v117, v3, v2, v1
.LBB356_192:                            ;   in Loop: Header=BB356_13 Depth=1
	s_or_b32 exec_lo, exec_lo, s26
.LBB356_193:                            ;   in Loop: Header=BB356_13 Depth=1
	s_or_b32 exec_lo, exec_lo, s25
.LBB356_194:                            ;   in Loop: Header=BB356_13 Depth=1
	s_or_b32 exec_lo, exec_lo, s24
	v_and_b32_sdwa v1, v0, v56 dst_sel:DWORD dst_unused:UNUSED_PAD src0_sel:WORD_1 src1_sel:DWORD
	v_mov_b32_e32 v106, 0
	v_mov_b32_e32 v114, 0
	s_mov_b32 s24, exec_lo
	v_cmpx_ne_u16_e32 0, v1
	s_cbranch_execz .LBB356_202
; %bb.195:                              ;   in Loop: Header=BB356_13 Depth=1
	v_bfrev_b32_e32 v114, 1
	s_mov_b32 s25, exec_lo
	v_cmpx_ne_u16_e32 0x80, v1
	s_cbranch_execz .LBB356_201
; %bb.196:                              ;   in Loop: Header=BB356_13 Depth=1
	v_bfe_u32 v2, v0, 16, 7
	v_mov_b32_e32 v114, 0x7f800001
	s_mov_b32 s26, exec_lo
	v_cmpx_ne_u32_e32 0x7f, v2
	s_cbranch_execz .LBB356_200
; %bb.197:                              ;   in Loop: Header=BB356_13 Depth=1
	v_mov_b32_e32 v1, 7
	s_mov_b32 s27, exec_lo
	v_and_b32_sdwa v28, v0, v1 dst_sel:DWORD dst_unused:UNUSED_PAD src0_sel:WORD_1 src1_sel:DWORD
	v_mov_b32_e32 v85, v29
	v_lshrrev_b32_e32 v1, 3, v2
	v_mov_b32_e32 v84, v28
	v_cmpx_gt_u32_e32 8, v2
; %bb.198:                              ;   in Loop: Header=BB356_13 Depth=1
	v_ffbh_u32_e32 v1, v28
	v_min_u32_e32 v1, 32, v1
	v_subrev_nc_u32_e32 v2, 28, v1
	v_sub_nc_u32_e32 v1, 29, v1
	v_lshlrev_b64 v[2:3], v2, v[28:29]
	v_and_b32_e32 v84, 7, v2
; %bb.199:                              ;   in Loop: Header=BB356_13 Depth=1
	s_or_b32 exec_lo, exec_lo, s27
	v_mov_b32_e32 v2, 24
	v_lshlrev_b32_e32 v3, 20, v84
	v_lshl_add_u32 v1, v1, 23, 0x3c000000
	v_lshlrev_b32_sdwa v2, v2, v0 dst_sel:DWORD dst_unused:UNUSED_PAD src0_sel:DWORD src1_sel:WORD_1
	v_and_b32_e32 v2, 0x80000000, v2
	v_or3_b32 v114, v3, v2, v1
.LBB356_200:                            ;   in Loop: Header=BB356_13 Depth=1
	s_or_b32 exec_lo, exec_lo, s26
.LBB356_201:                            ;   in Loop: Header=BB356_13 Depth=1
	s_or_b32 exec_lo, exec_lo, s25
.LBB356_202:                            ;   in Loop: Header=BB356_13 Depth=1
	s_or_b32 exec_lo, exec_lo, s24
	s_mov_b32 s24, exec_lo
	v_cmpx_lt_u32_e32 0xffffff, v0
	s_cbranch_execz .LBB356_210
; %bb.203:                              ;   in Loop: Header=BB356_13 Depth=1
	v_cmp_ne_u32_sdwa s6, v0, v42 src0_sel:BYTE_3 src1_sel:DWORD
	v_bfrev_b32_e32 v106, 1
	s_and_saveexec_b32 s25, s6
	s_cbranch_execz .LBB356_209
; %bb.204:                              ;   in Loop: Header=BB356_13 Depth=1
	v_bfe_u32 v2, v0, 24, 7
	v_mov_b32_e32 v106, 0x7f800001
	s_mov_b32 s26, exec_lo
	v_cmpx_ne_u32_e32 0x7f, v2
	s_cbranch_execz .LBB356_208
; %bb.205:                              ;   in Loop: Header=BB356_13 Depth=1
	v_mov_b32_e32 v1, 7
	s_mov_b32 s27, exec_lo
	v_and_b32_sdwa v28, v0, v1 dst_sel:DWORD dst_unused:UNUSED_PAD src0_sel:BYTE_3 src1_sel:DWORD
	v_mov_b32_e32 v85, v29
	v_lshrrev_b32_e32 v1, 3, v2
	v_mov_b32_e32 v84, v28
	v_cmpx_gt_u32_e32 8, v2
; %bb.206:                              ;   in Loop: Header=BB356_13 Depth=1
	v_ffbh_u32_e32 v1, v28
	v_min_u32_e32 v1, 32, v1
	v_subrev_nc_u32_e32 v2, 28, v1
	v_sub_nc_u32_e32 v1, 29, v1
	v_lshlrev_b64 v[2:3], v2, v[28:29]
	v_and_b32_e32 v84, 7, v2
; %bb.207:                              ;   in Loop: Header=BB356_13 Depth=1
	s_or_b32 exec_lo, exec_lo, s27
	v_mov_b32_e32 v2, 24
	v_lshl_add_u32 v1, v1, 23, 0x3c000000
	v_lshlrev_b32_sdwa v0, v2, v0 dst_sel:DWORD dst_unused:UNUSED_PAD src0_sel:DWORD src1_sel:BYTE_3
	v_lshlrev_b32_e32 v2, 20, v84
	v_and_b32_e32 v0, 0x80000000, v0
	v_or3_b32 v106, v2, v0, v1
.LBB356_208:                            ;   in Loop: Header=BB356_13 Depth=1
	s_or_b32 exec_lo, exec_lo, s26
.LBB356_209:                            ;   in Loop: Header=BB356_13 Depth=1
	s_or_b32 exec_lo, exec_lo, s25
.LBB356_210:                            ;   in Loop: Header=BB356_13 Depth=1
	s_or_b32 exec_lo, exec_lo, s24
	flat_load_dword v0, v[82:83] offset:768
	v_mov_b32_e32 v86, 0
	v_mov_b32_e32 v65, 0
	s_waitcnt vmcnt(0) lgkmcnt(0)
	v_cmp_ne_u16_sdwa s6, v0, v29 src0_sel:BYTE_0 src1_sel:DWORD
	s_and_saveexec_b32 s24, s6
	s_cbranch_execz .LBB356_218
; %bb.211:                              ;   in Loop: Header=BB356_13 Depth=1
	v_cmp_ne_u16_sdwa s6, v0, v42 src0_sel:BYTE_0 src1_sel:DWORD
	v_bfrev_b32_e32 v65, 1
	s_and_saveexec_b32 s25, s6
	s_cbranch_execz .LBB356_217
; %bb.212:                              ;   in Loop: Header=BB356_13 Depth=1
	v_and_b32_e32 v2, 0x7f, v0
	v_mov_b32_e32 v65, 0x7f800001
	s_mov_b32 s26, exec_lo
	v_cmpx_ne_u32_e32 0x7f, v2
	s_cbranch_execz .LBB356_216
; %bb.213:                              ;   in Loop: Header=BB356_13 Depth=1
	v_and_b32_e32 v28, 7, v0
	v_mov_b32_e32 v85, v29
	v_lshrrev_b32_e32 v1, 3, v2
	s_mov_b32 s27, exec_lo
	v_mov_b32_e32 v84, v28
	v_cmpx_gt_u32_e32 8, v2
; %bb.214:                              ;   in Loop: Header=BB356_13 Depth=1
	v_ffbh_u32_e32 v1, v28
	v_min_u32_e32 v1, 32, v1
	v_subrev_nc_u32_e32 v2, 28, v1
	v_sub_nc_u32_e32 v1, 29, v1
	v_lshlrev_b64 v[2:3], v2, v[28:29]
	v_and_b32_e32 v84, 7, v2
; %bb.215:                              ;   in Loop: Header=BB356_13 Depth=1
	s_or_b32 exec_lo, exec_lo, s27
	v_lshlrev_b32_e32 v2, 24, v0
	v_lshlrev_b32_e32 v3, 20, v84
	v_lshl_add_u32 v1, v1, 23, 0x3c000000
	v_and_b32_e32 v2, 0x80000000, v2
	v_or3_b32 v65, v3, v2, v1
.LBB356_216:                            ;   in Loop: Header=BB356_13 Depth=1
	s_or_b32 exec_lo, exec_lo, s26
.LBB356_217:                            ;   in Loop: Header=BB356_13 Depth=1
	s_or_b32 exec_lo, exec_lo, s25
.LBB356_218:                            ;   in Loop: Header=BB356_13 Depth=1
	s_or_b32 exec_lo, exec_lo, s24
	v_cmp_ne_u16_sdwa s6, v0, v29 src0_sel:BYTE_1 src1_sel:DWORD
	s_and_saveexec_b32 s24, s6
	s_cbranch_execz .LBB356_226
; %bb.219:                              ;   in Loop: Header=BB356_13 Depth=1
	v_cmp_ne_u16_sdwa s6, v0, v42 src0_sel:BYTE_1 src1_sel:DWORD
	v_bfrev_b32_e32 v86, 1
	s_and_saveexec_b32 s25, s6
	s_cbranch_execz .LBB356_225
; %bb.220:                              ;   in Loop: Header=BB356_13 Depth=1
	v_mov_b32_e32 v1, 0xffff
	v_mov_b32_e32 v86, 0x7f800001
	s_mov_b32 s26, exec_lo
	v_and_b32_sdwa v1, v1, v0 dst_sel:DWORD dst_unused:UNUSED_PAD src0_sel:DWORD src1_sel:BYTE_1
	v_and_b32_e32 v2, 0x7f, v1
	v_cmpx_ne_u32_e32 0x7f, v2
	s_cbranch_execz .LBB356_224
; %bb.221:                              ;   in Loop: Header=BB356_13 Depth=1
	v_and_b32_e32 v28, 7, v1
	v_mov_b32_e32 v85, v29
	v_lshrrev_b32_e32 v1, 3, v2
	s_mov_b32 s27, exec_lo
	v_mov_b32_e32 v84, v28
	v_cmpx_gt_u32_e32 8, v2
; %bb.222:                              ;   in Loop: Header=BB356_13 Depth=1
	v_ffbh_u32_e32 v1, v28
	v_min_u32_e32 v1, 32, v1
	v_subrev_nc_u32_e32 v2, 28, v1
	v_sub_nc_u32_e32 v1, 29, v1
	v_lshlrev_b64 v[2:3], v2, v[28:29]
	v_and_b32_e32 v84, 7, v2
; %bb.223:                              ;   in Loop: Header=BB356_13 Depth=1
	s_or_b32 exec_lo, exec_lo, s27
	v_lshlrev_b32_e32 v2, 16, v0
	v_lshlrev_b32_e32 v3, 20, v84
	v_lshl_add_u32 v1, v1, 23, 0x3c000000
	v_and_b32_e32 v2, 0x80000000, v2
	v_or3_b32 v86, v3, v2, v1
.LBB356_224:                            ;   in Loop: Header=BB356_13 Depth=1
	s_or_b32 exec_lo, exec_lo, s26
.LBB356_225:                            ;   in Loop: Header=BB356_13 Depth=1
	s_or_b32 exec_lo, exec_lo, s25
.LBB356_226:                            ;   in Loop: Header=BB356_13 Depth=1
	s_or_b32 exec_lo, exec_lo, s24
	v_and_b32_sdwa v1, v0, v56 dst_sel:DWORD dst_unused:UNUSED_PAD src0_sel:WORD_1 src1_sel:DWORD
	v_mov_b32_e32 v64, 0
	v_mov_b32_e32 v115, 0
	s_mov_b32 s24, exec_lo
	v_cmpx_ne_u16_e32 0, v1
	s_cbranch_execz .LBB356_234
; %bb.227:                              ;   in Loop: Header=BB356_13 Depth=1
	v_bfrev_b32_e32 v115, 1
	s_mov_b32 s25, exec_lo
	v_cmpx_ne_u16_e32 0x80, v1
	s_cbranch_execz .LBB356_233
; %bb.228:                              ;   in Loop: Header=BB356_13 Depth=1
	v_bfe_u32 v2, v0, 16, 7
	v_mov_b32_e32 v115, 0x7f800001
	s_mov_b32 s26, exec_lo
	v_cmpx_ne_u32_e32 0x7f, v2
	s_cbranch_execz .LBB356_232
; %bb.229:                              ;   in Loop: Header=BB356_13 Depth=1
	v_mov_b32_e32 v1, 7
	s_mov_b32 s27, exec_lo
	v_and_b32_sdwa v28, v0, v1 dst_sel:DWORD dst_unused:UNUSED_PAD src0_sel:WORD_1 src1_sel:DWORD
	v_mov_b32_e32 v85, v29
	v_lshrrev_b32_e32 v1, 3, v2
	v_mov_b32_e32 v84, v28
	v_cmpx_gt_u32_e32 8, v2
; %bb.230:                              ;   in Loop: Header=BB356_13 Depth=1
	v_ffbh_u32_e32 v1, v28
	v_min_u32_e32 v1, 32, v1
	v_subrev_nc_u32_e32 v2, 28, v1
	v_sub_nc_u32_e32 v1, 29, v1
	v_lshlrev_b64 v[2:3], v2, v[28:29]
	v_and_b32_e32 v84, 7, v2
; %bb.231:                              ;   in Loop: Header=BB356_13 Depth=1
	s_or_b32 exec_lo, exec_lo, s27
	v_mov_b32_e32 v2, 24
	v_lshlrev_b32_e32 v3, 20, v84
	v_lshl_add_u32 v1, v1, 23, 0x3c000000
	v_lshlrev_b32_sdwa v2, v2, v0 dst_sel:DWORD dst_unused:UNUSED_PAD src0_sel:DWORD src1_sel:WORD_1
	v_and_b32_e32 v2, 0x80000000, v2
	v_or3_b32 v115, v3, v2, v1
.LBB356_232:                            ;   in Loop: Header=BB356_13 Depth=1
	s_or_b32 exec_lo, exec_lo, s26
.LBB356_233:                            ;   in Loop: Header=BB356_13 Depth=1
	s_or_b32 exec_lo, exec_lo, s25
.LBB356_234:                            ;   in Loop: Header=BB356_13 Depth=1
	s_or_b32 exec_lo, exec_lo, s24
	s_mov_b32 s24, exec_lo
	v_cmpx_lt_u32_e32 0xffffff, v0
	s_cbranch_execz .LBB356_242
; %bb.235:                              ;   in Loop: Header=BB356_13 Depth=1
	v_cmp_ne_u32_sdwa s6, v0, v42 src0_sel:BYTE_3 src1_sel:DWORD
	v_bfrev_b32_e32 v64, 1
	s_and_saveexec_b32 s25, s6
	s_cbranch_execz .LBB356_241
; %bb.236:                              ;   in Loop: Header=BB356_13 Depth=1
	v_bfe_u32 v2, v0, 24, 7
	v_mov_b32_e32 v64, 0x7f800001
	s_mov_b32 s26, exec_lo
	v_cmpx_ne_u32_e32 0x7f, v2
	s_cbranch_execz .LBB356_240
; %bb.237:                              ;   in Loop: Header=BB356_13 Depth=1
	v_mov_b32_e32 v1, 7
	s_mov_b32 s27, exec_lo
	v_and_b32_sdwa v28, v0, v1 dst_sel:DWORD dst_unused:UNUSED_PAD src0_sel:BYTE_3 src1_sel:DWORD
	v_mov_b32_e32 v85, v29
	v_lshrrev_b32_e32 v1, 3, v2
	v_mov_b32_e32 v84, v28
	v_cmpx_gt_u32_e32 8, v2
; %bb.238:                              ;   in Loop: Header=BB356_13 Depth=1
	v_ffbh_u32_e32 v1, v28
	v_min_u32_e32 v1, 32, v1
	v_subrev_nc_u32_e32 v2, 28, v1
	v_sub_nc_u32_e32 v1, 29, v1
	v_lshlrev_b64 v[2:3], v2, v[28:29]
	v_and_b32_e32 v84, 7, v2
; %bb.239:                              ;   in Loop: Header=BB356_13 Depth=1
	s_or_b32 exec_lo, exec_lo, s27
	v_mov_b32_e32 v2, 24
	v_lshl_add_u32 v1, v1, 23, 0x3c000000
	v_lshlrev_b32_sdwa v0, v2, v0 dst_sel:DWORD dst_unused:UNUSED_PAD src0_sel:DWORD src1_sel:BYTE_3
	v_lshlrev_b32_e32 v2, 20, v84
	v_and_b32_e32 v0, 0x80000000, v0
	v_or3_b32 v64, v2, v0, v1
.LBB356_240:                            ;   in Loop: Header=BB356_13 Depth=1
	s_or_b32 exec_lo, exec_lo, s26
.LBB356_241:                            ;   in Loop: Header=BB356_13 Depth=1
	s_or_b32 exec_lo, exec_lo, s25
.LBB356_242:                            ;   in Loop: Header=BB356_13 Depth=1
	s_or_b32 exec_lo, exec_lo, s24
	flat_load_dword v0, v[82:83] offset:776
	v_mov_b32_e32 v102, 0
	v_mov_b32_e32 v97, 0
	s_waitcnt vmcnt(0) lgkmcnt(0)
	v_cmp_ne_u16_sdwa s6, v0, v29 src0_sel:BYTE_0 src1_sel:DWORD
	s_and_saveexec_b32 s24, s6
	s_cbranch_execz .LBB356_250
; %bb.243:                              ;   in Loop: Header=BB356_13 Depth=1
	v_cmp_ne_u16_sdwa s6, v0, v42 src0_sel:BYTE_0 src1_sel:DWORD
	v_bfrev_b32_e32 v97, 1
	s_and_saveexec_b32 s25, s6
	s_cbranch_execz .LBB356_249
; %bb.244:                              ;   in Loop: Header=BB356_13 Depth=1
	v_and_b32_e32 v2, 0x7f, v0
	v_mov_b32_e32 v97, 0x7f800001
	s_mov_b32 s26, exec_lo
	v_cmpx_ne_u32_e32 0x7f, v2
	s_cbranch_execz .LBB356_248
; %bb.245:                              ;   in Loop: Header=BB356_13 Depth=1
	v_and_b32_e32 v28, 7, v0
	v_mov_b32_e32 v85, v29
	v_lshrrev_b32_e32 v1, 3, v2
	s_mov_b32 s27, exec_lo
	v_mov_b32_e32 v84, v28
	v_cmpx_gt_u32_e32 8, v2
; %bb.246:                              ;   in Loop: Header=BB356_13 Depth=1
	v_ffbh_u32_e32 v1, v28
	v_min_u32_e32 v1, 32, v1
	v_subrev_nc_u32_e32 v2, 28, v1
	v_sub_nc_u32_e32 v1, 29, v1
	v_lshlrev_b64 v[2:3], v2, v[28:29]
	v_and_b32_e32 v84, 7, v2
; %bb.247:                              ;   in Loop: Header=BB356_13 Depth=1
	s_or_b32 exec_lo, exec_lo, s27
	v_lshlrev_b32_e32 v2, 24, v0
	v_lshlrev_b32_e32 v3, 20, v84
	v_lshl_add_u32 v1, v1, 23, 0x3c000000
	v_and_b32_e32 v2, 0x80000000, v2
	v_or3_b32 v97, v3, v2, v1
.LBB356_248:                            ;   in Loop: Header=BB356_13 Depth=1
	s_or_b32 exec_lo, exec_lo, s26
.LBB356_249:                            ;   in Loop: Header=BB356_13 Depth=1
	s_or_b32 exec_lo, exec_lo, s25
.LBB356_250:                            ;   in Loop: Header=BB356_13 Depth=1
	s_or_b32 exec_lo, exec_lo, s24
	v_cmp_ne_u16_sdwa s6, v0, v29 src0_sel:BYTE_1 src1_sel:DWORD
	s_and_saveexec_b32 s24, s6
	s_cbranch_execz .LBB356_258
; %bb.251:                              ;   in Loop: Header=BB356_13 Depth=1
	v_cmp_ne_u16_sdwa s6, v0, v42 src0_sel:BYTE_1 src1_sel:DWORD
	v_bfrev_b32_e32 v102, 1
	s_and_saveexec_b32 s25, s6
	s_cbranch_execz .LBB356_257
; %bb.252:                              ;   in Loop: Header=BB356_13 Depth=1
	v_mov_b32_e32 v1, 0xffff
	v_mov_b32_e32 v102, 0x7f800001
	s_mov_b32 s26, exec_lo
	v_and_b32_sdwa v1, v1, v0 dst_sel:DWORD dst_unused:UNUSED_PAD src0_sel:DWORD src1_sel:BYTE_1
	v_and_b32_e32 v2, 0x7f, v1
	v_cmpx_ne_u32_e32 0x7f, v2
	s_cbranch_execz .LBB356_256
; %bb.253:                              ;   in Loop: Header=BB356_13 Depth=1
	v_and_b32_e32 v28, 7, v1
	v_mov_b32_e32 v85, v29
	v_lshrrev_b32_e32 v1, 3, v2
	s_mov_b32 s27, exec_lo
	v_mov_b32_e32 v84, v28
	v_cmpx_gt_u32_e32 8, v2
; %bb.254:                              ;   in Loop: Header=BB356_13 Depth=1
	v_ffbh_u32_e32 v1, v28
	v_min_u32_e32 v1, 32, v1
	v_subrev_nc_u32_e32 v2, 28, v1
	v_sub_nc_u32_e32 v1, 29, v1
	v_lshlrev_b64 v[2:3], v2, v[28:29]
	v_and_b32_e32 v84, 7, v2
; %bb.255:                              ;   in Loop: Header=BB356_13 Depth=1
	s_or_b32 exec_lo, exec_lo, s27
	v_lshlrev_b32_e32 v2, 16, v0
	v_lshlrev_b32_e32 v3, 20, v84
	v_lshl_add_u32 v1, v1, 23, 0x3c000000
	v_and_b32_e32 v2, 0x80000000, v2
	v_or3_b32 v102, v3, v2, v1
.LBB356_256:                            ;   in Loop: Header=BB356_13 Depth=1
	s_or_b32 exec_lo, exec_lo, s26
.LBB356_257:                            ;   in Loop: Header=BB356_13 Depth=1
	s_or_b32 exec_lo, exec_lo, s25
.LBB356_258:                            ;   in Loop: Header=BB356_13 Depth=1
	s_or_b32 exec_lo, exec_lo, s24
	v_and_b32_sdwa v1, v0, v56 dst_sel:DWORD dst_unused:UNUSED_PAD src0_sel:WORD_1 src1_sel:DWORD
	v_mov_b32_e32 v119, 0
	v_mov_b32_e32 v41, 0
	s_mov_b32 s24, exec_lo
	v_cmpx_ne_u16_e32 0, v1
	s_cbranch_execz .LBB356_266
; %bb.259:                              ;   in Loop: Header=BB356_13 Depth=1
	v_bfrev_b32_e32 v41, 1
	s_mov_b32 s25, exec_lo
	v_cmpx_ne_u16_e32 0x80, v1
	s_cbranch_execz .LBB356_265
; %bb.260:                              ;   in Loop: Header=BB356_13 Depth=1
	v_bfe_u32 v2, v0, 16, 7
	v_mov_b32_e32 v41, 0x7f800001
	s_mov_b32 s26, exec_lo
	v_cmpx_ne_u32_e32 0x7f, v2
	s_cbranch_execz .LBB356_264
; %bb.261:                              ;   in Loop: Header=BB356_13 Depth=1
	v_mov_b32_e32 v1, 7
	s_mov_b32 s27, exec_lo
	v_and_b32_sdwa v28, v0, v1 dst_sel:DWORD dst_unused:UNUSED_PAD src0_sel:WORD_1 src1_sel:DWORD
	v_mov_b32_e32 v85, v29
	v_lshrrev_b32_e32 v1, 3, v2
	v_mov_b32_e32 v84, v28
	v_cmpx_gt_u32_e32 8, v2
; %bb.262:                              ;   in Loop: Header=BB356_13 Depth=1
	v_ffbh_u32_e32 v1, v28
	v_min_u32_e32 v1, 32, v1
	v_subrev_nc_u32_e32 v2, 28, v1
	v_sub_nc_u32_e32 v1, 29, v1
	v_lshlrev_b64 v[2:3], v2, v[28:29]
	v_and_b32_e32 v84, 7, v2
; %bb.263:                              ;   in Loop: Header=BB356_13 Depth=1
	s_or_b32 exec_lo, exec_lo, s27
	v_mov_b32_e32 v2, 24
	v_lshlrev_b32_e32 v3, 20, v84
	v_lshl_add_u32 v1, v1, 23, 0x3c000000
	v_lshlrev_b32_sdwa v2, v2, v0 dst_sel:DWORD dst_unused:UNUSED_PAD src0_sel:DWORD src1_sel:WORD_1
	v_and_b32_e32 v2, 0x80000000, v2
	v_or3_b32 v41, v3, v2, v1
.LBB356_264:                            ;   in Loop: Header=BB356_13 Depth=1
	s_or_b32 exec_lo, exec_lo, s26
.LBB356_265:                            ;   in Loop: Header=BB356_13 Depth=1
	s_or_b32 exec_lo, exec_lo, s25
.LBB356_266:                            ;   in Loop: Header=BB356_13 Depth=1
	s_or_b32 exec_lo, exec_lo, s24
	s_mov_b32 s24, exec_lo
	v_cmpx_lt_u32_e32 0xffffff, v0
	s_cbranch_execz .LBB356_274
; %bb.267:                              ;   in Loop: Header=BB356_13 Depth=1
	v_cmp_ne_u32_sdwa s6, v0, v42 src0_sel:BYTE_3 src1_sel:DWORD
	v_bfrev_b32_e32 v119, 1
	s_and_saveexec_b32 s25, s6
	s_cbranch_execz .LBB356_273
; %bb.268:                              ;   in Loop: Header=BB356_13 Depth=1
	v_bfe_u32 v2, v0, 24, 7
	v_mov_b32_e32 v119, 0x7f800001
	s_mov_b32 s26, exec_lo
	v_cmpx_ne_u32_e32 0x7f, v2
	s_cbranch_execz .LBB356_272
; %bb.269:                              ;   in Loop: Header=BB356_13 Depth=1
	v_mov_b32_e32 v1, 7
	s_mov_b32 s27, exec_lo
	v_and_b32_sdwa v28, v0, v1 dst_sel:DWORD dst_unused:UNUSED_PAD src0_sel:BYTE_3 src1_sel:DWORD
	v_mov_b32_e32 v85, v29
	v_lshrrev_b32_e32 v1, 3, v2
	v_mov_b32_e32 v84, v28
	v_cmpx_gt_u32_e32 8, v2
; %bb.270:                              ;   in Loop: Header=BB356_13 Depth=1
	v_ffbh_u32_e32 v1, v28
	v_min_u32_e32 v1, 32, v1
	v_subrev_nc_u32_e32 v2, 28, v1
	v_sub_nc_u32_e32 v1, 29, v1
	v_lshlrev_b64 v[2:3], v2, v[28:29]
	v_and_b32_e32 v84, 7, v2
; %bb.271:                              ;   in Loop: Header=BB356_13 Depth=1
	s_or_b32 exec_lo, exec_lo, s27
	v_mov_b32_e32 v2, 24
	v_lshl_add_u32 v1, v1, 23, 0x3c000000
	v_lshlrev_b32_sdwa v0, v2, v0 dst_sel:DWORD dst_unused:UNUSED_PAD src0_sel:DWORD src1_sel:BYTE_3
	v_lshlrev_b32_e32 v2, 20, v84
	v_and_b32_e32 v0, 0x80000000, v0
	v_or3_b32 v119, v2, v0, v1
.LBB356_272:                            ;   in Loop: Header=BB356_13 Depth=1
	s_or_b32 exec_lo, exec_lo, s26
.LBB356_273:                            ;   in Loop: Header=BB356_13 Depth=1
	s_or_b32 exec_lo, exec_lo, s25
.LBB356_274:                            ;   in Loop: Header=BB356_13 Depth=1
	s_or_b32 exec_lo, exec_lo, s24
	flat_load_dword v0, v[82:83] offset:1024
	v_mov_b32_e32 v109, 0
	v_mov_b32_e32 v27, 0
	s_waitcnt vmcnt(0) lgkmcnt(0)
	v_cmp_ne_u16_sdwa s6, v0, v29 src0_sel:BYTE_0 src1_sel:DWORD
	s_and_saveexec_b32 s24, s6
	s_cbranch_execz .LBB356_282
; %bb.275:                              ;   in Loop: Header=BB356_13 Depth=1
	v_cmp_ne_u16_sdwa s6, v0, v42 src0_sel:BYTE_0 src1_sel:DWORD
	v_bfrev_b32_e32 v27, 1
	s_and_saveexec_b32 s25, s6
	s_cbranch_execz .LBB356_281
; %bb.276:                              ;   in Loop: Header=BB356_13 Depth=1
	v_and_b32_e32 v2, 0x7f, v0
	v_mov_b32_e32 v27, 0x7f800001
	s_mov_b32 s26, exec_lo
	v_cmpx_ne_u32_e32 0x7f, v2
	s_cbranch_execz .LBB356_280
; %bb.277:                              ;   in Loop: Header=BB356_13 Depth=1
	v_and_b32_e32 v28, 7, v0
	v_mov_b32_e32 v85, v29
	v_lshrrev_b32_e32 v1, 3, v2
	s_mov_b32 s27, exec_lo
	v_mov_b32_e32 v84, v28
	v_cmpx_gt_u32_e32 8, v2
; %bb.278:                              ;   in Loop: Header=BB356_13 Depth=1
	v_ffbh_u32_e32 v1, v28
	v_min_u32_e32 v1, 32, v1
	v_subrev_nc_u32_e32 v2, 28, v1
	v_sub_nc_u32_e32 v1, 29, v1
	v_lshlrev_b64 v[2:3], v2, v[28:29]
	v_and_b32_e32 v84, 7, v2
; %bb.279:                              ;   in Loop: Header=BB356_13 Depth=1
	s_or_b32 exec_lo, exec_lo, s27
	v_lshlrev_b32_e32 v2, 24, v0
	v_lshlrev_b32_e32 v3, 20, v84
	v_lshl_add_u32 v1, v1, 23, 0x3c000000
	v_and_b32_e32 v2, 0x80000000, v2
	v_or3_b32 v27, v3, v2, v1
.LBB356_280:                            ;   in Loop: Header=BB356_13 Depth=1
	s_or_b32 exec_lo, exec_lo, s26
.LBB356_281:                            ;   in Loop: Header=BB356_13 Depth=1
	s_or_b32 exec_lo, exec_lo, s25
.LBB356_282:                            ;   in Loop: Header=BB356_13 Depth=1
	s_or_b32 exec_lo, exec_lo, s24
	v_cmp_ne_u16_sdwa s6, v0, v29 src0_sel:BYTE_1 src1_sel:DWORD
	s_and_saveexec_b32 s24, s6
	s_cbranch_execz .LBB356_290
; %bb.283:                              ;   in Loop: Header=BB356_13 Depth=1
	v_cmp_ne_u16_sdwa s6, v0, v42 src0_sel:BYTE_1 src1_sel:DWORD
	v_bfrev_b32_e32 v109, 1
	s_and_saveexec_b32 s25, s6
	s_cbranch_execz .LBB356_289
; %bb.284:                              ;   in Loop: Header=BB356_13 Depth=1
	v_mov_b32_e32 v1, 0xffff
	v_mov_b32_e32 v109, 0x7f800001
	s_mov_b32 s26, exec_lo
	v_and_b32_sdwa v1, v1, v0 dst_sel:DWORD dst_unused:UNUSED_PAD src0_sel:DWORD src1_sel:BYTE_1
	v_and_b32_e32 v2, 0x7f, v1
	v_cmpx_ne_u32_e32 0x7f, v2
	s_cbranch_execz .LBB356_288
; %bb.285:                              ;   in Loop: Header=BB356_13 Depth=1
	v_and_b32_e32 v28, 7, v1
	v_mov_b32_e32 v85, v29
	v_lshrrev_b32_e32 v1, 3, v2
	s_mov_b32 s27, exec_lo
	v_mov_b32_e32 v84, v28
	v_cmpx_gt_u32_e32 8, v2
; %bb.286:                              ;   in Loop: Header=BB356_13 Depth=1
	v_ffbh_u32_e32 v1, v28
	v_min_u32_e32 v1, 32, v1
	v_subrev_nc_u32_e32 v2, 28, v1
	v_sub_nc_u32_e32 v1, 29, v1
	v_lshlrev_b64 v[2:3], v2, v[28:29]
	v_and_b32_e32 v84, 7, v2
; %bb.287:                              ;   in Loop: Header=BB356_13 Depth=1
	s_or_b32 exec_lo, exec_lo, s27
	v_lshlrev_b32_e32 v2, 16, v0
	v_lshlrev_b32_e32 v3, 20, v84
	v_lshl_add_u32 v1, v1, 23, 0x3c000000
	v_and_b32_e32 v2, 0x80000000, v2
	v_or3_b32 v109, v3, v2, v1
.LBB356_288:                            ;   in Loop: Header=BB356_13 Depth=1
	s_or_b32 exec_lo, exec_lo, s26
.LBB356_289:                            ;   in Loop: Header=BB356_13 Depth=1
	s_or_b32 exec_lo, exec_lo, s25
.LBB356_290:                            ;   in Loop: Header=BB356_13 Depth=1
	s_or_b32 exec_lo, exec_lo, s24
	v_and_b32_sdwa v1, v0, v56 dst_sel:DWORD dst_unused:UNUSED_PAD src0_sel:WORD_1 src1_sel:DWORD
	v_mov_b32_e32 v110, 0
	v_mov_b32_e32 v22, 0
	s_mov_b32 s24, exec_lo
	v_cmpx_ne_u16_e32 0, v1
	s_cbranch_execz .LBB356_298
; %bb.291:                              ;   in Loop: Header=BB356_13 Depth=1
	v_bfrev_b32_e32 v22, 1
	s_mov_b32 s25, exec_lo
	v_cmpx_ne_u16_e32 0x80, v1
	s_cbranch_execz .LBB356_297
; %bb.292:                              ;   in Loop: Header=BB356_13 Depth=1
	v_bfe_u32 v2, v0, 16, 7
	v_mov_b32_e32 v22, 0x7f800001
	s_mov_b32 s26, exec_lo
	v_cmpx_ne_u32_e32 0x7f, v2
	s_cbranch_execz .LBB356_296
; %bb.293:                              ;   in Loop: Header=BB356_13 Depth=1
	v_mov_b32_e32 v1, 7
	s_mov_b32 s27, exec_lo
	v_and_b32_sdwa v28, v0, v1 dst_sel:DWORD dst_unused:UNUSED_PAD src0_sel:WORD_1 src1_sel:DWORD
	v_mov_b32_e32 v85, v29
	v_lshrrev_b32_e32 v1, 3, v2
	v_mov_b32_e32 v84, v28
	v_cmpx_gt_u32_e32 8, v2
; %bb.294:                              ;   in Loop: Header=BB356_13 Depth=1
	v_ffbh_u32_e32 v1, v28
	v_min_u32_e32 v1, 32, v1
	v_subrev_nc_u32_e32 v2, 28, v1
	v_sub_nc_u32_e32 v1, 29, v1
	v_lshlrev_b64 v[2:3], v2, v[28:29]
	v_and_b32_e32 v84, 7, v2
; %bb.295:                              ;   in Loop: Header=BB356_13 Depth=1
	s_or_b32 exec_lo, exec_lo, s27
	v_mov_b32_e32 v2, 24
	v_lshlrev_b32_e32 v3, 20, v84
	v_lshl_add_u32 v1, v1, 23, 0x3c000000
	v_lshlrev_b32_sdwa v2, v2, v0 dst_sel:DWORD dst_unused:UNUSED_PAD src0_sel:DWORD src1_sel:WORD_1
	v_and_b32_e32 v2, 0x80000000, v2
	v_or3_b32 v22, v3, v2, v1
.LBB356_296:                            ;   in Loop: Header=BB356_13 Depth=1
	s_or_b32 exec_lo, exec_lo, s26
.LBB356_297:                            ;   in Loop: Header=BB356_13 Depth=1
	s_or_b32 exec_lo, exec_lo, s25
.LBB356_298:                            ;   in Loop: Header=BB356_13 Depth=1
	s_or_b32 exec_lo, exec_lo, s24
	s_mov_b32 s24, exec_lo
	v_cmpx_lt_u32_e32 0xffffff, v0
	s_cbranch_execz .LBB356_306
; %bb.299:                              ;   in Loop: Header=BB356_13 Depth=1
	v_cmp_ne_u32_sdwa s6, v0, v42 src0_sel:BYTE_3 src1_sel:DWORD
	v_bfrev_b32_e32 v110, 1
	s_and_saveexec_b32 s25, s6
	s_cbranch_execz .LBB356_305
; %bb.300:                              ;   in Loop: Header=BB356_13 Depth=1
	v_bfe_u32 v2, v0, 24, 7
	v_mov_b32_e32 v110, 0x7f800001
	s_mov_b32 s26, exec_lo
	v_cmpx_ne_u32_e32 0x7f, v2
	s_cbranch_execz .LBB356_304
; %bb.301:                              ;   in Loop: Header=BB356_13 Depth=1
	v_mov_b32_e32 v1, 7
	s_mov_b32 s27, exec_lo
	v_and_b32_sdwa v28, v0, v1 dst_sel:DWORD dst_unused:UNUSED_PAD src0_sel:BYTE_3 src1_sel:DWORD
	v_mov_b32_e32 v85, v29
	v_lshrrev_b32_e32 v1, 3, v2
	v_mov_b32_e32 v84, v28
	v_cmpx_gt_u32_e32 8, v2
; %bb.302:                              ;   in Loop: Header=BB356_13 Depth=1
	v_ffbh_u32_e32 v1, v28
	v_min_u32_e32 v1, 32, v1
	v_subrev_nc_u32_e32 v2, 28, v1
	v_sub_nc_u32_e32 v1, 29, v1
	v_lshlrev_b64 v[2:3], v2, v[28:29]
	v_and_b32_e32 v84, 7, v2
; %bb.303:                              ;   in Loop: Header=BB356_13 Depth=1
	s_or_b32 exec_lo, exec_lo, s27
	v_mov_b32_e32 v2, 24
	v_lshl_add_u32 v1, v1, 23, 0x3c000000
	v_lshlrev_b32_sdwa v0, v2, v0 dst_sel:DWORD dst_unused:UNUSED_PAD src0_sel:DWORD src1_sel:BYTE_3
	v_lshlrev_b32_e32 v2, 20, v84
	v_and_b32_e32 v0, 0x80000000, v0
	v_or3_b32 v110, v2, v0, v1
.LBB356_304:                            ;   in Loop: Header=BB356_13 Depth=1
	s_or_b32 exec_lo, exec_lo, s26
.LBB356_305:                            ;   in Loop: Header=BB356_13 Depth=1
	s_or_b32 exec_lo, exec_lo, s25
.LBB356_306:                            ;   in Loop: Header=BB356_13 Depth=1
	s_or_b32 exec_lo, exec_lo, s24
	flat_load_dword v0, v[82:83] offset:1032
	v_mov_b32_e32 v20, 0
	v_mov_b32_e32 v111, 0
	s_waitcnt vmcnt(0) lgkmcnt(0)
	v_cmp_ne_u16_sdwa s6, v0, v29 src0_sel:BYTE_0 src1_sel:DWORD
	s_and_saveexec_b32 s24, s6
	s_cbranch_execz .LBB356_314
; %bb.307:                              ;   in Loop: Header=BB356_13 Depth=1
	v_cmp_ne_u16_sdwa s6, v0, v42 src0_sel:BYTE_0 src1_sel:DWORD
	v_bfrev_b32_e32 v111, 1
	s_and_saveexec_b32 s25, s6
	s_cbranch_execz .LBB356_313
; %bb.308:                              ;   in Loop: Header=BB356_13 Depth=1
	v_and_b32_e32 v12, 0x7f, v0
	v_mov_b32_e32 v111, 0x7f800001
	s_mov_b32 s26, exec_lo
	v_cmpx_ne_u32_e32 0x7f, v12
	s_cbranch_execz .LBB356_312
; %bb.309:                              ;   in Loop: Header=BB356_13 Depth=1
	v_and_b32_e32 v28, 7, v0
	v_mov_b32_e32 v85, v29
	v_lshrrev_b32_e32 v1, 3, v12
	s_mov_b32 s27, exec_lo
	v_mov_b32_e32 v84, v28
	v_cmpx_gt_u32_e32 8, v12
; %bb.310:                              ;   in Loop: Header=BB356_13 Depth=1
	v_ffbh_u32_e32 v1, v28
	v_min_u32_e32 v1, 32, v1
	v_subrev_nc_u32_e32 v2, 28, v1
	v_sub_nc_u32_e32 v1, 29, v1
	v_lshlrev_b64 v[12:13], v2, v[28:29]
	v_and_b32_e32 v84, 7, v12
; %bb.311:                              ;   in Loop: Header=BB356_13 Depth=1
	s_or_b32 exec_lo, exec_lo, s27
	v_lshlrev_b32_e32 v2, 24, v0
	v_lshlrev_b32_e32 v12, 20, v84
	v_lshl_add_u32 v1, v1, 23, 0x3c000000
	v_and_b32_e32 v2, 0x80000000, v2
	v_or3_b32 v111, v12, v2, v1
.LBB356_312:                            ;   in Loop: Header=BB356_13 Depth=1
	s_or_b32 exec_lo, exec_lo, s26
.LBB356_313:                            ;   in Loop: Header=BB356_13 Depth=1
	s_or_b32 exec_lo, exec_lo, s25
.LBB356_314:                            ;   in Loop: Header=BB356_13 Depth=1
	s_or_b32 exec_lo, exec_lo, s24
	v_cmp_ne_u16_sdwa s6, v0, v29 src0_sel:BYTE_1 src1_sel:DWORD
	s_and_saveexec_b32 s24, s6
	s_cbranch_execz .LBB356_322
; %bb.315:                              ;   in Loop: Header=BB356_13 Depth=1
	v_cmp_ne_u16_sdwa s6, v0, v42 src0_sel:BYTE_1 src1_sel:DWORD
	v_bfrev_b32_e32 v20, 1
	s_and_saveexec_b32 s25, s6
	s_cbranch_execz .LBB356_321
; %bb.316:                              ;   in Loop: Header=BB356_13 Depth=1
	v_mov_b32_e32 v1, 0xffff
	v_mov_b32_e32 v20, 0x7f800001
	s_mov_b32 s26, exec_lo
	v_and_b32_sdwa v1, v1, v0 dst_sel:DWORD dst_unused:UNUSED_PAD src0_sel:DWORD src1_sel:BYTE_1
	v_and_b32_e32 v12, 0x7f, v1
	v_cmpx_ne_u32_e32 0x7f, v12
	s_cbranch_execz .LBB356_320
; %bb.317:                              ;   in Loop: Header=BB356_13 Depth=1
	v_and_b32_e32 v28, 7, v1
	v_mov_b32_e32 v85, v29
	v_lshrrev_b32_e32 v1, 3, v12
	s_mov_b32 s27, exec_lo
	v_mov_b32_e32 v84, v28
	v_cmpx_gt_u32_e32 8, v12
; %bb.318:                              ;   in Loop: Header=BB356_13 Depth=1
	v_ffbh_u32_e32 v1, v28
	v_min_u32_e32 v1, 32, v1
	v_subrev_nc_u32_e32 v3, 28, v1
	v_sub_nc_u32_e32 v1, 29, v1
	v_lshlrev_b64 v[12:13], v3, v[28:29]
	v_and_b32_e32 v84, 7, v12
; %bb.319:                              ;   in Loop: Header=BB356_13 Depth=1
	s_or_b32 exec_lo, exec_lo, s27
	v_lshlrev_b32_e32 v3, 16, v0
	v_lshlrev_b32_e32 v12, 20, v84
	v_lshl_add_u32 v1, v1, 23, 0x3c000000
	v_and_b32_e32 v3, 0x80000000, v3
	v_or3_b32 v20, v12, v3, v1
.LBB356_320:                            ;   in Loop: Header=BB356_13 Depth=1
	s_or_b32 exec_lo, exec_lo, s26
.LBB356_321:                            ;   in Loop: Header=BB356_13 Depth=1
	s_or_b32 exec_lo, exec_lo, s25
.LBB356_322:                            ;   in Loop: Header=BB356_13 Depth=1
	s_or_b32 exec_lo, exec_lo, s24
	v_and_b32_sdwa v1, v0, v56 dst_sel:DWORD dst_unused:UNUSED_PAD src0_sel:WORD_1 src1_sel:DWORD
	v_mov_b32_e32 v120, 0
	v_mov_b32_e32 v121, 0
	s_mov_b32 s24, exec_lo
	v_cmpx_ne_u16_e32 0, v1
	s_cbranch_execz .LBB356_330
; %bb.323:                              ;   in Loop: Header=BB356_13 Depth=1
	v_bfrev_b32_e32 v121, 1
	s_mov_b32 s25, exec_lo
	v_cmpx_ne_u16_e32 0x80, v1
	s_cbranch_execz .LBB356_329
; %bb.324:                              ;   in Loop: Header=BB356_13 Depth=1
	v_bfe_u32 v12, v0, 16, 7
	v_mov_b32_e32 v121, 0x7f800001
	s_mov_b32 s26, exec_lo
	v_cmpx_ne_u32_e32 0x7f, v12
	s_cbranch_execz .LBB356_328
; %bb.325:                              ;   in Loop: Header=BB356_13 Depth=1
	v_mov_b32_e32 v1, 7
	s_mov_b32 s27, exec_lo
	v_and_b32_sdwa v28, v0, v1 dst_sel:DWORD dst_unused:UNUSED_PAD src0_sel:WORD_1 src1_sel:DWORD
	v_mov_b32_e32 v85, v29
	v_lshrrev_b32_e32 v1, 3, v12
	v_mov_b32_e32 v84, v28
	v_cmpx_gt_u32_e32 8, v12
; %bb.326:                              ;   in Loop: Header=BB356_13 Depth=1
	v_ffbh_u32_e32 v1, v28
	v_min_u32_e32 v1, 32, v1
	v_subrev_nc_u32_e32 v12, 28, v1
	v_sub_nc_u32_e32 v1, 29, v1
	v_lshlrev_b64 v[12:13], v12, v[28:29]
	v_and_b32_e32 v84, 7, v12
; %bb.327:                              ;   in Loop: Header=BB356_13 Depth=1
	s_or_b32 exec_lo, exec_lo, s27
	v_mov_b32_e32 v12, 24
	v_lshlrev_b32_e32 v13, 20, v84
	v_lshl_add_u32 v1, v1, 23, 0x3c000000
	v_lshlrev_b32_sdwa v12, v12, v0 dst_sel:DWORD dst_unused:UNUSED_PAD src0_sel:DWORD src1_sel:WORD_1
	v_and_b32_e32 v12, 0x80000000, v12
	v_or3_b32 v121, v13, v12, v1
.LBB356_328:                            ;   in Loop: Header=BB356_13 Depth=1
	s_or_b32 exec_lo, exec_lo, s26
.LBB356_329:                            ;   in Loop: Header=BB356_13 Depth=1
	s_or_b32 exec_lo, exec_lo, s25
.LBB356_330:                            ;   in Loop: Header=BB356_13 Depth=1
	s_or_b32 exec_lo, exec_lo, s24
	s_mov_b32 s24, exec_lo
	v_cmpx_lt_u32_e32 0xffffff, v0
	s_cbranch_execz .LBB356_338
; %bb.331:                              ;   in Loop: Header=BB356_13 Depth=1
	v_cmp_ne_u32_sdwa s6, v0, v42 src0_sel:BYTE_3 src1_sel:DWORD
	v_bfrev_b32_e32 v120, 1
	s_and_saveexec_b32 s25, s6
	s_cbranch_execz .LBB356_337
; %bb.332:                              ;   in Loop: Header=BB356_13 Depth=1
	v_bfe_u32 v12, v0, 24, 7
	v_mov_b32_e32 v120, 0x7f800001
	s_mov_b32 s26, exec_lo
	v_cmpx_ne_u32_e32 0x7f, v12
	s_cbranch_execz .LBB356_336
; %bb.333:                              ;   in Loop: Header=BB356_13 Depth=1
	v_mov_b32_e32 v1, 7
	s_mov_b32 s27, exec_lo
	v_and_b32_sdwa v28, v0, v1 dst_sel:DWORD dst_unused:UNUSED_PAD src0_sel:BYTE_3 src1_sel:DWORD
	v_mov_b32_e32 v85, v29
	v_lshrrev_b32_e32 v1, 3, v12
	v_mov_b32_e32 v84, v28
	v_cmpx_gt_u32_e32 8, v12
; %bb.334:                              ;   in Loop: Header=BB356_13 Depth=1
	v_ffbh_u32_e32 v1, v28
	v_min_u32_e32 v1, 32, v1
	v_subrev_nc_u32_e32 v12, 28, v1
	v_sub_nc_u32_e32 v1, 29, v1
	v_lshlrev_b64 v[12:13], v12, v[28:29]
	v_and_b32_e32 v84, 7, v12
; %bb.335:                              ;   in Loop: Header=BB356_13 Depth=1
	s_or_b32 exec_lo, exec_lo, s27
	v_mov_b32_e32 v12, 24
	v_lshl_add_u32 v1, v1, 23, 0x3c000000
	v_lshlrev_b32_sdwa v0, v12, v0 dst_sel:DWORD dst_unused:UNUSED_PAD src0_sel:DWORD src1_sel:BYTE_3
	v_lshlrev_b32_e32 v12, 20, v84
	v_and_b32_e32 v0, 0x80000000, v0
	v_or3_b32 v120, v12, v0, v1
.LBB356_336:                            ;   in Loop: Header=BB356_13 Depth=1
	s_or_b32 exec_lo, exec_lo, s26
.LBB356_337:                            ;   in Loop: Header=BB356_13 Depth=1
	s_or_b32 exec_lo, exec_lo, s25
.LBB356_338:                            ;   in Loop: Header=BB356_13 Depth=1
	s_or_b32 exec_lo, exec_lo, s24
	flat_load_dword v0, v[82:83] offset:1280
	v_mov_b32_e32 v122, 0
	v_mov_b32_e32 v123, 0
	s_waitcnt vmcnt(0) lgkmcnt(0)
	v_cmp_ne_u16_sdwa s6, v0, v29 src0_sel:BYTE_0 src1_sel:DWORD
	s_and_saveexec_b32 s24, s6
	s_cbranch_execz .LBB356_346
; %bb.339:                              ;   in Loop: Header=BB356_13 Depth=1
	v_cmp_ne_u16_sdwa s6, v0, v42 src0_sel:BYTE_0 src1_sel:DWORD
	v_bfrev_b32_e32 v123, 1
	s_and_saveexec_b32 s25, s6
	s_cbranch_execz .LBB356_345
; %bb.340:                              ;   in Loop: Header=BB356_13 Depth=1
	v_and_b32_e32 v13, 0x7f, v0
	v_mov_b32_e32 v123, 0x7f800001
	s_mov_b32 s26, exec_lo
	v_cmpx_ne_u32_e32 0x7f, v13
	s_cbranch_execz .LBB356_344
; %bb.341:                              ;   in Loop: Header=BB356_13 Depth=1
	v_and_b32_e32 v28, 7, v0
	v_mov_b32_e32 v85, v29
	v_lshrrev_b32_e32 v1, 3, v13
	s_mov_b32 s27, exec_lo
	v_mov_b32_e32 v84, v28
	v_cmpx_gt_u32_e32 8, v13
; %bb.342:                              ;   in Loop: Header=BB356_13 Depth=1
	v_ffbh_u32_e32 v1, v28
	v_min_u32_e32 v1, 32, v1
	v_subrev_nc_u32_e32 v13, 28, v1
	v_sub_nc_u32_e32 v1, 29, v1
	v_lshlrev_b64 v[13:14], v13, v[28:29]
	v_and_b32_e32 v84, 7, v13
; %bb.343:                              ;   in Loop: Header=BB356_13 Depth=1
	s_or_b32 exec_lo, exec_lo, s27
	v_lshlrev_b32_e32 v13, 24, v0
	v_lshlrev_b32_e32 v14, 20, v84
	v_lshl_add_u32 v1, v1, 23, 0x3c000000
	v_and_b32_e32 v13, 0x80000000, v13
	v_or3_b32 v123, v14, v13, v1
.LBB356_344:                            ;   in Loop: Header=BB356_13 Depth=1
	s_or_b32 exec_lo, exec_lo, s26
.LBB356_345:                            ;   in Loop: Header=BB356_13 Depth=1
	s_or_b32 exec_lo, exec_lo, s25
.LBB356_346:                            ;   in Loop: Header=BB356_13 Depth=1
	s_or_b32 exec_lo, exec_lo, s24
	v_cmp_ne_u16_sdwa s6, v0, v29 src0_sel:BYTE_1 src1_sel:DWORD
	s_and_saveexec_b32 s24, s6
	s_cbranch_execz .LBB356_354
; %bb.347:                              ;   in Loop: Header=BB356_13 Depth=1
	v_cmp_ne_u16_sdwa s6, v0, v42 src0_sel:BYTE_1 src1_sel:DWORD
	v_bfrev_b32_e32 v122, 1
	s_and_saveexec_b32 s25, s6
	s_cbranch_execz .LBB356_353
; %bb.348:                              ;   in Loop: Header=BB356_13 Depth=1
	v_mov_b32_e32 v1, 0xffff
	v_mov_b32_e32 v122, 0x7f800001
	s_mov_b32 s26, exec_lo
	v_and_b32_sdwa v1, v1, v0 dst_sel:DWORD dst_unused:UNUSED_PAD src0_sel:DWORD src1_sel:BYTE_1
	v_and_b32_e32 v13, 0x7f, v1
	v_cmpx_ne_u32_e32 0x7f, v13
	s_cbranch_execz .LBB356_352
; %bb.349:                              ;   in Loop: Header=BB356_13 Depth=1
	v_and_b32_e32 v28, 7, v1
	v_mov_b32_e32 v85, v29
	v_lshrrev_b32_e32 v1, 3, v13
	s_mov_b32 s27, exec_lo
	v_mov_b32_e32 v84, v28
	v_cmpx_gt_u32_e32 8, v13
; %bb.350:                              ;   in Loop: Header=BB356_13 Depth=1
	v_ffbh_u32_e32 v1, v28
	v_min_u32_e32 v1, 32, v1
	v_subrev_nc_u32_e32 v12, 28, v1
	v_sub_nc_u32_e32 v1, 29, v1
	v_lshlrev_b64 v[12:13], v12, v[28:29]
	v_and_b32_e32 v84, 7, v12
; %bb.351:                              ;   in Loop: Header=BB356_13 Depth=1
	s_or_b32 exec_lo, exec_lo, s27
	v_lshlrev_b32_e32 v12, 16, v0
	v_lshlrev_b32_e32 v13, 20, v84
	v_lshl_add_u32 v1, v1, 23, 0x3c000000
	v_and_b32_e32 v12, 0x80000000, v12
	v_or3_b32 v122, v13, v12, v1
.LBB356_352:                            ;   in Loop: Header=BB356_13 Depth=1
	s_or_b32 exec_lo, exec_lo, s26
.LBB356_353:                            ;   in Loop: Header=BB356_13 Depth=1
	s_or_b32 exec_lo, exec_lo, s25
.LBB356_354:                            ;   in Loop: Header=BB356_13 Depth=1
	s_or_b32 exec_lo, exec_lo, s24
	v_and_b32_sdwa v1, v0, v56 dst_sel:DWORD dst_unused:UNUSED_PAD src0_sel:WORD_1 src1_sel:DWORD
	v_mov_b32_e32 v124, 0
	v_mov_b32_e32 v125, 0
	s_mov_b32 s24, exec_lo
	v_cmpx_ne_u16_e32 0, v1
	s_cbranch_execz .LBB356_362
; %bb.355:                              ;   in Loop: Header=BB356_13 Depth=1
	v_bfrev_b32_e32 v125, 1
	s_mov_b32 s25, exec_lo
	v_cmpx_ne_u16_e32 0x80, v1
	s_cbranch_execz .LBB356_361
; %bb.356:                              ;   in Loop: Header=BB356_13 Depth=1
	v_bfe_u32 v13, v0, 16, 7
	v_mov_b32_e32 v125, 0x7f800001
	s_mov_b32 s26, exec_lo
	v_cmpx_ne_u32_e32 0x7f, v13
	s_cbranch_execz .LBB356_360
; %bb.357:                              ;   in Loop: Header=BB356_13 Depth=1
	v_mov_b32_e32 v1, 7
	s_mov_b32 s27, exec_lo
	v_and_b32_sdwa v28, v0, v1 dst_sel:DWORD dst_unused:UNUSED_PAD src0_sel:WORD_1 src1_sel:DWORD
	v_mov_b32_e32 v85, v29
	v_lshrrev_b32_e32 v1, 3, v13
	v_mov_b32_e32 v84, v28
	v_cmpx_gt_u32_e32 8, v13
; %bb.358:                              ;   in Loop: Header=BB356_13 Depth=1
	v_ffbh_u32_e32 v1, v28
	v_min_u32_e32 v1, 32, v1
	v_subrev_nc_u32_e32 v13, 28, v1
	v_sub_nc_u32_e32 v1, 29, v1
	v_lshlrev_b64 v[13:14], v13, v[28:29]
	v_and_b32_e32 v84, 7, v13
; %bb.359:                              ;   in Loop: Header=BB356_13 Depth=1
	s_or_b32 exec_lo, exec_lo, s27
	v_mov_b32_e32 v13, 24
	v_lshlrev_b32_e32 v14, 20, v84
	v_lshl_add_u32 v1, v1, 23, 0x3c000000
	v_lshlrev_b32_sdwa v13, v13, v0 dst_sel:DWORD dst_unused:UNUSED_PAD src0_sel:DWORD src1_sel:WORD_1
	v_and_b32_e32 v13, 0x80000000, v13
	v_or3_b32 v125, v14, v13, v1
.LBB356_360:                            ;   in Loop: Header=BB356_13 Depth=1
	s_or_b32 exec_lo, exec_lo, s26
.LBB356_361:                            ;   in Loop: Header=BB356_13 Depth=1
	s_or_b32 exec_lo, exec_lo, s25
.LBB356_362:                            ;   in Loop: Header=BB356_13 Depth=1
	s_or_b32 exec_lo, exec_lo, s24
	s_mov_b32 s24, exec_lo
	v_cmpx_lt_u32_e32 0xffffff, v0
	s_cbranch_execz .LBB356_370
; %bb.363:                              ;   in Loop: Header=BB356_13 Depth=1
	v_cmp_ne_u32_sdwa s6, v0, v42 src0_sel:BYTE_3 src1_sel:DWORD
	v_bfrev_b32_e32 v124, 1
	s_and_saveexec_b32 s25, s6
	s_cbranch_execz .LBB356_369
; %bb.364:                              ;   in Loop: Header=BB356_13 Depth=1
	v_bfe_u32 v13, v0, 24, 7
	v_mov_b32_e32 v124, 0x7f800001
	s_mov_b32 s26, exec_lo
	v_cmpx_ne_u32_e32 0x7f, v13
	s_cbranch_execz .LBB356_368
; %bb.365:                              ;   in Loop: Header=BB356_13 Depth=1
	v_mov_b32_e32 v1, 7
	s_mov_b32 s27, exec_lo
	v_and_b32_sdwa v28, v0, v1 dst_sel:DWORD dst_unused:UNUSED_PAD src0_sel:BYTE_3 src1_sel:DWORD
	v_mov_b32_e32 v85, v29
	v_lshrrev_b32_e32 v1, 3, v13
	v_mov_b32_e32 v84, v28
	v_cmpx_gt_u32_e32 8, v13
; %bb.366:                              ;   in Loop: Header=BB356_13 Depth=1
	v_ffbh_u32_e32 v1, v28
	v_min_u32_e32 v1, 32, v1
	v_subrev_nc_u32_e32 v13, 28, v1
	v_sub_nc_u32_e32 v1, 29, v1
	v_lshlrev_b64 v[13:14], v13, v[28:29]
	v_and_b32_e32 v84, 7, v13
; %bb.367:                              ;   in Loop: Header=BB356_13 Depth=1
	s_or_b32 exec_lo, exec_lo, s27
	v_mov_b32_e32 v13, 24
	v_lshl_add_u32 v1, v1, 23, 0x3c000000
	v_lshlrev_b32_sdwa v0, v13, v0 dst_sel:DWORD dst_unused:UNUSED_PAD src0_sel:DWORD src1_sel:BYTE_3
	v_lshlrev_b32_e32 v13, 20, v84
	v_and_b32_e32 v0, 0x80000000, v0
	v_or3_b32 v124, v13, v0, v1
.LBB356_368:                            ;   in Loop: Header=BB356_13 Depth=1
	s_or_b32 exec_lo, exec_lo, s26
.LBB356_369:                            ;   in Loop: Header=BB356_13 Depth=1
	s_or_b32 exec_lo, exec_lo, s25
.LBB356_370:                            ;   in Loop: Header=BB356_13 Depth=1
	s_or_b32 exec_lo, exec_lo, s24
	flat_load_dword v0, v[82:83] offset:1288
	v_mov_b32_e32 v126, 0
	v_mov_b32_e32 v127, 0
	s_waitcnt vmcnt(0) lgkmcnt(0)
	v_cmp_ne_u16_sdwa s6, v0, v29 src0_sel:BYTE_0 src1_sel:DWORD
	s_and_saveexec_b32 s24, s6
	s_cbranch_execz .LBB356_378
; %bb.371:                              ;   in Loop: Header=BB356_13 Depth=1
	v_cmp_ne_u16_sdwa s6, v0, v42 src0_sel:BYTE_0 src1_sel:DWORD
	v_bfrev_b32_e32 v127, 1
	s_and_saveexec_b32 s25, s6
	s_cbranch_execz .LBB356_377
; %bb.372:                              ;   in Loop: Header=BB356_13 Depth=1
	v_and_b32_e32 v13, 0x7f, v0
	v_mov_b32_e32 v127, 0x7f800001
	s_mov_b32 s26, exec_lo
	v_cmpx_ne_u32_e32 0x7f, v13
	s_cbranch_execz .LBB356_376
; %bb.373:                              ;   in Loop: Header=BB356_13 Depth=1
	v_and_b32_e32 v28, 7, v0
	v_mov_b32_e32 v85, v29
	v_lshrrev_b32_e32 v1, 3, v13
	s_mov_b32 s27, exec_lo
	v_mov_b32_e32 v84, v28
	v_cmpx_gt_u32_e32 8, v13
; %bb.374:                              ;   in Loop: Header=BB356_13 Depth=1
	v_ffbh_u32_e32 v1, v28
	v_min_u32_e32 v1, 32, v1
	v_subrev_nc_u32_e32 v13, 28, v1
	v_sub_nc_u32_e32 v1, 29, v1
	v_lshlrev_b64 v[13:14], v13, v[28:29]
	v_and_b32_e32 v84, 7, v13
; %bb.375:                              ;   in Loop: Header=BB356_13 Depth=1
	s_or_b32 exec_lo, exec_lo, s27
	v_lshlrev_b32_e32 v13, 24, v0
	v_lshlrev_b32_e32 v14, 20, v84
	v_lshl_add_u32 v1, v1, 23, 0x3c000000
	v_and_b32_e32 v13, 0x80000000, v13
	v_or3_b32 v127, v14, v13, v1
.LBB356_376:                            ;   in Loop: Header=BB356_13 Depth=1
	s_or_b32 exec_lo, exec_lo, s26
.LBB356_377:                            ;   in Loop: Header=BB356_13 Depth=1
	s_or_b32 exec_lo, exec_lo, s25
.LBB356_378:                            ;   in Loop: Header=BB356_13 Depth=1
	s_or_b32 exec_lo, exec_lo, s24
	v_cmp_ne_u16_sdwa s6, v0, v29 src0_sel:BYTE_1 src1_sel:DWORD
	s_and_saveexec_b32 s24, s6
	s_cbranch_execz .LBB356_386
; %bb.379:                              ;   in Loop: Header=BB356_13 Depth=1
	v_cmp_ne_u16_sdwa s6, v0, v42 src0_sel:BYTE_1 src1_sel:DWORD
	v_bfrev_b32_e32 v126, 1
	s_and_saveexec_b32 s25, s6
	s_cbranch_execz .LBB356_385
; %bb.380:                              ;   in Loop: Header=BB356_13 Depth=1
	v_mov_b32_e32 v1, 0xffff
	v_mov_b32_e32 v126, 0x7f800001
	s_mov_b32 s26, exec_lo
	v_and_b32_sdwa v1, v1, v0 dst_sel:DWORD dst_unused:UNUSED_PAD src0_sel:DWORD src1_sel:BYTE_1
	v_and_b32_e32 v13, 0x7f, v1
	v_cmpx_ne_u32_e32 0x7f, v13
	s_cbranch_execz .LBB356_384
; %bb.381:                              ;   in Loop: Header=BB356_13 Depth=1
	v_and_b32_e32 v28, 7, v1
	v_mov_b32_e32 v85, v29
	v_lshrrev_b32_e32 v1, 3, v13
	s_mov_b32 s27, exec_lo
	v_mov_b32_e32 v84, v28
	v_cmpx_gt_u32_e32 8, v13
; %bb.382:                              ;   in Loop: Header=BB356_13 Depth=1
	v_ffbh_u32_e32 v1, v28
	v_min_u32_e32 v1, 32, v1
	v_subrev_nc_u32_e32 v13, 28, v1
	v_sub_nc_u32_e32 v1, 29, v1
	v_lshlrev_b64 v[13:14], v13, v[28:29]
	v_and_b32_e32 v84, 7, v13
; %bb.383:                              ;   in Loop: Header=BB356_13 Depth=1
	s_or_b32 exec_lo, exec_lo, s27
	v_lshlrev_b32_e32 v13, 16, v0
	v_lshlrev_b32_e32 v14, 20, v84
	v_lshl_add_u32 v1, v1, 23, 0x3c000000
	v_and_b32_e32 v13, 0x80000000, v13
	v_or3_b32 v126, v14, v13, v1
.LBB356_384:                            ;   in Loop: Header=BB356_13 Depth=1
	s_or_b32 exec_lo, exec_lo, s26
.LBB356_385:                            ;   in Loop: Header=BB356_13 Depth=1
	s_or_b32 exec_lo, exec_lo, s25
.LBB356_386:                            ;   in Loop: Header=BB356_13 Depth=1
	s_or_b32 exec_lo, exec_lo, s24
	v_and_b32_sdwa v1, v0, v56 dst_sel:DWORD dst_unused:UNUSED_PAD src0_sel:WORD_1 src1_sel:DWORD
	v_mov_b32_e32 v91, 0
	v_mov_b32_e32 v2, 0
	s_mov_b32 s24, exec_lo
	buffer_store_dword v2, off, s[0:3], s32 offset:292 ; 4-byte Folded Spill
	v_cmpx_ne_u16_e32 0, v1
	s_cbranch_execz .LBB356_394
; %bb.387:                              ;   in Loop: Header=BB356_13 Depth=1
	v_cmp_ne_u16_e64 s6, 0x80, v1
	v_bfrev_b32_e32 v1, 1
	s_and_saveexec_b32 s25, s6
	s_cbranch_execz .LBB356_393
; %bb.388:                              ;   in Loop: Header=BB356_13 Depth=1
	v_bfe_u32 v13, v0, 16, 7
	v_mov_b32_e32 v1, 0x7f800001
	s_mov_b32 s26, exec_lo
	v_cmpx_ne_u32_e32 0x7f, v13
	s_cbranch_execz .LBB356_392
; %bb.389:                              ;   in Loop: Header=BB356_13 Depth=1
	v_mov_b32_e32 v1, 7
	s_mov_b32 s27, exec_lo
	v_and_b32_sdwa v28, v0, v1 dst_sel:DWORD dst_unused:UNUSED_PAD src0_sel:WORD_1 src1_sel:DWORD
	v_mov_b32_e32 v85, v29
	v_lshrrev_b32_e32 v1, 3, v13
	v_mov_b32_e32 v84, v28
	v_cmpx_gt_u32_e32 8, v13
; %bb.390:                              ;   in Loop: Header=BB356_13 Depth=1
	v_ffbh_u32_e32 v1, v28
	v_min_u32_e32 v1, 32, v1
	v_subrev_nc_u32_e32 v13, 28, v1
	v_sub_nc_u32_e32 v1, 29, v1
	v_lshlrev_b64 v[13:14], v13, v[28:29]
	v_and_b32_e32 v84, 7, v13
; %bb.391:                              ;   in Loop: Header=BB356_13 Depth=1
	s_or_b32 exec_lo, exec_lo, s27
	v_mov_b32_e32 v13, 24
	v_lshlrev_b32_e32 v14, 20, v84
	v_lshl_add_u32 v1, v1, 23, 0x3c000000
	v_lshlrev_b32_sdwa v13, v13, v0 dst_sel:DWORD dst_unused:UNUSED_PAD src0_sel:DWORD src1_sel:WORD_1
	v_and_b32_e32 v13, 0x80000000, v13
	v_or3_b32 v1, v14, v13, v1
.LBB356_392:                            ;   in Loop: Header=BB356_13 Depth=1
	s_or_b32 exec_lo, exec_lo, s26
.LBB356_393:                            ;   in Loop: Header=BB356_13 Depth=1
	s_or_b32 exec_lo, exec_lo, s25
	buffer_store_dword v1, off, s[0:3], s32 offset:292 ; 4-byte Folded Spill
.LBB356_394:                            ;   in Loop: Header=BB356_13 Depth=1
	s_or_b32 exec_lo, exec_lo, s24
	s_mov_b32 s24, exec_lo
	v_cmpx_lt_u32_e32 0xffffff, v0
	s_cbranch_execz .LBB356_402
; %bb.395:                              ;   in Loop: Header=BB356_13 Depth=1
	v_cmp_ne_u32_sdwa s6, v0, v42 src0_sel:BYTE_3 src1_sel:DWORD
	v_bfrev_b32_e32 v91, 1
	s_and_saveexec_b32 s25, s6
	s_cbranch_execz .LBB356_401
; %bb.396:                              ;   in Loop: Header=BB356_13 Depth=1
	v_bfe_u32 v13, v0, 24, 7
	v_mov_b32_e32 v91, 0x7f800001
	s_mov_b32 s26, exec_lo
	v_cmpx_ne_u32_e32 0x7f, v13
	s_cbranch_execz .LBB356_400
; %bb.397:                              ;   in Loop: Header=BB356_13 Depth=1
	v_mov_b32_e32 v1, 7
	s_mov_b32 s27, exec_lo
	v_and_b32_sdwa v28, v0, v1 dst_sel:DWORD dst_unused:UNUSED_PAD src0_sel:BYTE_3 src1_sel:DWORD
	v_mov_b32_e32 v85, v29
	v_lshrrev_b32_e32 v1, 3, v13
	v_mov_b32_e32 v84, v28
	v_cmpx_gt_u32_e32 8, v13
; %bb.398:                              ;   in Loop: Header=BB356_13 Depth=1
	v_ffbh_u32_e32 v1, v28
	v_min_u32_e32 v1, 32, v1
	v_subrev_nc_u32_e32 v13, 28, v1
	v_sub_nc_u32_e32 v1, 29, v1
	v_lshlrev_b64 v[13:14], v13, v[28:29]
	v_and_b32_e32 v84, 7, v13
; %bb.399:                              ;   in Loop: Header=BB356_13 Depth=1
	s_or_b32 exec_lo, exec_lo, s27
	v_mov_b32_e32 v13, 24
	v_lshl_add_u32 v1, v1, 23, 0x3c000000
	v_lshlrev_b32_sdwa v0, v13, v0 dst_sel:DWORD dst_unused:UNUSED_PAD src0_sel:DWORD src1_sel:BYTE_3
	v_lshlrev_b32_e32 v13, 20, v84
	v_and_b32_e32 v0, 0x80000000, v0
	v_or3_b32 v91, v13, v0, v1
.LBB356_400:                            ;   in Loop: Header=BB356_13 Depth=1
	s_or_b32 exec_lo, exec_lo, s26
.LBB356_401:                            ;   in Loop: Header=BB356_13 Depth=1
	s_or_b32 exec_lo, exec_lo, s25
.LBB356_402:                            ;   in Loop: Header=BB356_13 Depth=1
	s_or_b32 exec_lo, exec_lo, s24
	flat_load_dword v0, v[82:83] offset:1536
	v_mov_b32_e32 v1, 0
	buffer_store_dword v1, off, s[0:3], s32 offset:244 ; 4-byte Folded Spill
	v_mov_b32_e32 v1, 0
	buffer_store_dword v1, off, s[0:3], s32 offset:248 ; 4-byte Folded Spill
	s_waitcnt vmcnt(0) lgkmcnt(0)
	v_cmp_ne_u16_sdwa s6, v0, v29 src0_sel:BYTE_0 src1_sel:DWORD
	s_and_saveexec_b32 s24, s6
	s_cbranch_execz .LBB356_410
; %bb.403:                              ;   in Loop: Header=BB356_13 Depth=1
	v_cmp_ne_u16_sdwa s6, v0, v42 src0_sel:BYTE_0 src1_sel:DWORD
	v_bfrev_b32_e32 v1, 1
	buffer_store_dword v1, off, s[0:3], s32 offset:248 ; 4-byte Folded Spill
	s_and_saveexec_b32 s25, s6
	s_cbranch_execz .LBB356_409
; %bb.404:                              ;   in Loop: Header=BB356_13 Depth=1
	v_and_b32_e32 v13, 0x7f, v0
	v_mov_b32_e32 v1, 0x7f800001
	s_mov_b32 s26, exec_lo
	buffer_store_dword v1, off, s[0:3], s32 offset:248 ; 4-byte Folded Spill
	v_cmpx_ne_u32_e32 0x7f, v13
	s_cbranch_execz .LBB356_408
; %bb.405:                              ;   in Loop: Header=BB356_13 Depth=1
	v_and_b32_e32 v28, 7, v0
	v_mov_b32_e32 v85, v29
	v_lshrrev_b32_e32 v1, 3, v13
	s_mov_b32 s27, exec_lo
	v_mov_b32_e32 v84, v28
	v_cmpx_gt_u32_e32 8, v13
; %bb.406:                              ;   in Loop: Header=BB356_13 Depth=1
	v_ffbh_u32_e32 v1, v28
	v_min_u32_e32 v1, 32, v1
	v_subrev_nc_u32_e32 v13, 28, v1
	v_sub_nc_u32_e32 v1, 29, v1
	v_lshlrev_b64 v[13:14], v13, v[28:29]
	v_and_b32_e32 v84, 7, v13
; %bb.407:                              ;   in Loop: Header=BB356_13 Depth=1
	s_or_b32 exec_lo, exec_lo, s27
	v_lshlrev_b32_e32 v13, 24, v0
	v_lshlrev_b32_e32 v14, 20, v84
	v_lshl_add_u32 v1, v1, 23, 0x3c000000
	v_and_b32_e32 v13, 0x80000000, v13
	v_or3_b32 v1, v14, v13, v1
	buffer_store_dword v1, off, s[0:3], s32 offset:248 ; 4-byte Folded Spill
.LBB356_408:                            ;   in Loop: Header=BB356_13 Depth=1
	s_or_b32 exec_lo, exec_lo, s26
.LBB356_409:                            ;   in Loop: Header=BB356_13 Depth=1
	s_or_b32 exec_lo, exec_lo, s25
.LBB356_410:                            ;   in Loop: Header=BB356_13 Depth=1
	s_or_b32 exec_lo, exec_lo, s24
	v_cmp_ne_u16_sdwa s6, v0, v29 src0_sel:BYTE_1 src1_sel:DWORD
	s_and_saveexec_b32 s24, s6
	s_cbranch_execz .LBB356_418
; %bb.411:                              ;   in Loop: Header=BB356_13 Depth=1
	v_cmp_ne_u16_sdwa s6, v0, v42 src0_sel:BYTE_1 src1_sel:DWORD
	v_bfrev_b32_e32 v1, 1
	buffer_store_dword v1, off, s[0:3], s32 offset:244 ; 4-byte Folded Spill
	s_and_saveexec_b32 s25, s6
	s_cbranch_execz .LBB356_417
; %bb.412:                              ;   in Loop: Header=BB356_13 Depth=1
	v_mov_b32_e32 v1, 0xffff
	v_mov_b32_e32 v2, 0x7f800001
	s_mov_b32 s26, exec_lo
	v_and_b32_sdwa v1, v1, v0 dst_sel:DWORD dst_unused:UNUSED_PAD src0_sel:DWORD src1_sel:BYTE_1
	buffer_store_dword v2, off, s[0:3], s32 offset:244 ; 4-byte Folded Spill
	v_and_b32_e32 v13, 0x7f, v1
	v_cmpx_ne_u32_e32 0x7f, v13
	s_cbranch_execz .LBB356_416
; %bb.413:                              ;   in Loop: Header=BB356_13 Depth=1
	v_and_b32_e32 v28, 7, v1
	v_mov_b32_e32 v85, v29
	v_lshrrev_b32_e32 v1, 3, v13
	s_mov_b32 s27, exec_lo
	v_mov_b32_e32 v84, v28
	v_cmpx_gt_u32_e32 8, v13
; %bb.414:                              ;   in Loop: Header=BB356_13 Depth=1
	v_ffbh_u32_e32 v1, v28
	v_min_u32_e32 v1, 32, v1
	v_subrev_nc_u32_e32 v13, 28, v1
	v_sub_nc_u32_e32 v1, 29, v1
	v_lshlrev_b64 v[13:14], v13, v[28:29]
	v_and_b32_e32 v84, 7, v13
; %bb.415:                              ;   in Loop: Header=BB356_13 Depth=1
	s_or_b32 exec_lo, exec_lo, s27
	v_lshlrev_b32_e32 v13, 16, v0
	v_lshlrev_b32_e32 v14, 20, v84
	v_lshl_add_u32 v1, v1, 23, 0x3c000000
	v_and_b32_e32 v13, 0x80000000, v13
	v_or3_b32 v1, v14, v13, v1
	buffer_store_dword v1, off, s[0:3], s32 offset:244 ; 4-byte Folded Spill
.LBB356_416:                            ;   in Loop: Header=BB356_13 Depth=1
	s_or_b32 exec_lo, exec_lo, s26
.LBB356_417:                            ;   in Loop: Header=BB356_13 Depth=1
	s_or_b32 exec_lo, exec_lo, s25
.LBB356_418:                            ;   in Loop: Header=BB356_13 Depth=1
	s_or_b32 exec_lo, exec_lo, s24
	v_mov_b32_e32 v2, 0
	v_and_b32_sdwa v1, v0, v56 dst_sel:DWORD dst_unused:UNUSED_PAD src0_sel:WORD_1 src1_sel:DWORD
	s_mov_b32 s24, exec_lo
	buffer_store_dword v2, off, s[0:3], s32 offset:260 ; 4-byte Folded Spill
	v_mov_b32_e32 v2, 0
	buffer_store_dword v2, off, s[0:3], s32 offset:296 ; 4-byte Folded Spill
	v_cmpx_ne_u16_e32 0, v1
	s_cbranch_execz .LBB356_426
; %bb.419:                              ;   in Loop: Header=BB356_13 Depth=1
	v_cmp_ne_u16_e64 s6, 0x80, v1
	v_bfrev_b32_e32 v1, 1
	s_and_saveexec_b32 s25, s6
	s_cbranch_execz .LBB356_425
; %bb.420:                              ;   in Loop: Header=BB356_13 Depth=1
	v_bfe_u32 v13, v0, 16, 7
	v_mov_b32_e32 v1, 0x7f800001
	s_mov_b32 s26, exec_lo
	v_cmpx_ne_u32_e32 0x7f, v13
	s_cbranch_execz .LBB356_424
; %bb.421:                              ;   in Loop: Header=BB356_13 Depth=1
	v_mov_b32_e32 v1, 7
	s_mov_b32 s27, exec_lo
	v_and_b32_sdwa v28, v0, v1 dst_sel:DWORD dst_unused:UNUSED_PAD src0_sel:WORD_1 src1_sel:DWORD
	v_mov_b32_e32 v85, v29
	v_lshrrev_b32_e32 v1, 3, v13
	v_mov_b32_e32 v84, v28
	v_cmpx_gt_u32_e32 8, v13
; %bb.422:                              ;   in Loop: Header=BB356_13 Depth=1
	v_ffbh_u32_e32 v1, v28
	v_min_u32_e32 v1, 32, v1
	v_subrev_nc_u32_e32 v13, 28, v1
	v_sub_nc_u32_e32 v1, 29, v1
	v_lshlrev_b64 v[13:14], v13, v[28:29]
	v_and_b32_e32 v84, 7, v13
; %bb.423:                              ;   in Loop: Header=BB356_13 Depth=1
	s_or_b32 exec_lo, exec_lo, s27
	v_mov_b32_e32 v13, 24
	v_lshlrev_b32_e32 v14, 20, v84
	v_lshl_add_u32 v1, v1, 23, 0x3c000000
	v_lshlrev_b32_sdwa v13, v13, v0 dst_sel:DWORD dst_unused:UNUSED_PAD src0_sel:DWORD src1_sel:WORD_1
	v_and_b32_e32 v13, 0x80000000, v13
	v_or3_b32 v1, v14, v13, v1
.LBB356_424:                            ;   in Loop: Header=BB356_13 Depth=1
	s_or_b32 exec_lo, exec_lo, s26
.LBB356_425:                            ;   in Loop: Header=BB356_13 Depth=1
	s_or_b32 exec_lo, exec_lo, s25
	buffer_store_dword v1, off, s[0:3], s32 offset:296 ; 4-byte Folded Spill
.LBB356_426:                            ;   in Loop: Header=BB356_13 Depth=1
	s_or_b32 exec_lo, exec_lo, s24
	s_mov_b32 s24, exec_lo
	v_cmpx_lt_u32_e32 0xffffff, v0
	s_cbranch_execz .LBB356_434
; %bb.427:                              ;   in Loop: Header=BB356_13 Depth=1
	v_cmp_ne_u32_sdwa s6, v0, v42 src0_sel:BYTE_3 src1_sel:DWORD
	v_bfrev_b32_e32 v1, 1
	buffer_store_dword v1, off, s[0:3], s32 offset:260 ; 4-byte Folded Spill
	s_and_saveexec_b32 s25, s6
	s_cbranch_execz .LBB356_433
; %bb.428:                              ;   in Loop: Header=BB356_13 Depth=1
	v_bfe_u32 v13, v0, 24, 7
	v_mov_b32_e32 v1, 0x7f800001
	s_mov_b32 s26, exec_lo
	buffer_store_dword v1, off, s[0:3], s32 offset:260 ; 4-byte Folded Spill
	v_cmpx_ne_u32_e32 0x7f, v13
	s_cbranch_execz .LBB356_432
; %bb.429:                              ;   in Loop: Header=BB356_13 Depth=1
	v_mov_b32_e32 v1, 7
	s_mov_b32 s27, exec_lo
	v_and_b32_sdwa v28, v0, v1 dst_sel:DWORD dst_unused:UNUSED_PAD src0_sel:BYTE_3 src1_sel:DWORD
	v_mov_b32_e32 v85, v29
	v_lshrrev_b32_e32 v1, 3, v13
	v_mov_b32_e32 v84, v28
	v_cmpx_gt_u32_e32 8, v13
; %bb.430:                              ;   in Loop: Header=BB356_13 Depth=1
	v_ffbh_u32_e32 v1, v28
	v_min_u32_e32 v1, 32, v1
	v_subrev_nc_u32_e32 v13, 28, v1
	v_sub_nc_u32_e32 v1, 29, v1
	v_lshlrev_b64 v[13:14], v13, v[28:29]
	v_and_b32_e32 v84, 7, v13
; %bb.431:                              ;   in Loop: Header=BB356_13 Depth=1
	s_or_b32 exec_lo, exec_lo, s27
	v_mov_b32_e32 v13, 24
	v_lshl_add_u32 v1, v1, 23, 0x3c000000
	v_lshlrev_b32_sdwa v0, v13, v0 dst_sel:DWORD dst_unused:UNUSED_PAD src0_sel:DWORD src1_sel:BYTE_3
	v_lshlrev_b32_e32 v13, 20, v84
	v_and_b32_e32 v0, 0x80000000, v0
	v_or3_b32 v0, v13, v0, v1
	buffer_store_dword v0, off, s[0:3], s32 offset:260 ; 4-byte Folded Spill
.LBB356_432:                            ;   in Loop: Header=BB356_13 Depth=1
	s_or_b32 exec_lo, exec_lo, s26
.LBB356_433:                            ;   in Loop: Header=BB356_13 Depth=1
	s_or_b32 exec_lo, exec_lo, s25
.LBB356_434:                            ;   in Loop: Header=BB356_13 Depth=1
	s_or_b32 exec_lo, exec_lo, s24
	flat_load_dword v0, v[82:83] offset:1544
	v_mov_b32_e32 v2, 0
	v_mov_b32_e32 v26, 0
	s_waitcnt vmcnt(0) lgkmcnt(0)
	v_cmp_ne_u16_sdwa s6, v0, v29 src0_sel:BYTE_0 src1_sel:DWORD
	s_and_saveexec_b32 s24, s6
	s_cbranch_execz .LBB356_442
; %bb.435:                              ;   in Loop: Header=BB356_13 Depth=1
	v_cmp_ne_u16_sdwa s6, v0, v42 src0_sel:BYTE_0 src1_sel:DWORD
	v_bfrev_b32_e32 v26, 1
	s_and_saveexec_b32 s25, s6
	s_cbranch_execz .LBB356_441
; %bb.436:                              ;   in Loop: Header=BB356_13 Depth=1
	v_and_b32_e32 v13, 0x7f, v0
	v_mov_b32_e32 v26, 0x7f800001
	s_mov_b32 s26, exec_lo
	v_cmpx_ne_u32_e32 0x7f, v13
	s_cbranch_execz .LBB356_440
; %bb.437:                              ;   in Loop: Header=BB356_13 Depth=1
	v_and_b32_e32 v28, 7, v0
	v_mov_b32_e32 v85, v29
	v_lshrrev_b32_e32 v1, 3, v13
	s_mov_b32 s27, exec_lo
	v_mov_b32_e32 v84, v28
	v_cmpx_gt_u32_e32 8, v13
; %bb.438:                              ;   in Loop: Header=BB356_13 Depth=1
	v_ffbh_u32_e32 v1, v28
	v_min_u32_e32 v1, 32, v1
	v_subrev_nc_u32_e32 v13, 28, v1
	v_sub_nc_u32_e32 v1, 29, v1
	v_lshlrev_b64 v[13:14], v13, v[28:29]
	v_and_b32_e32 v84, 7, v13
; %bb.439:                              ;   in Loop: Header=BB356_13 Depth=1
	s_or_b32 exec_lo, exec_lo, s27
	v_lshlrev_b32_e32 v13, 24, v0
	v_lshlrev_b32_e32 v14, 20, v84
	v_lshl_add_u32 v1, v1, 23, 0x3c000000
	v_and_b32_e32 v13, 0x80000000, v13
	v_or3_b32 v26, v14, v13, v1
.LBB356_440:                            ;   in Loop: Header=BB356_13 Depth=1
	s_or_b32 exec_lo, exec_lo, s26
.LBB356_441:                            ;   in Loop: Header=BB356_13 Depth=1
	s_or_b32 exec_lo, exec_lo, s25
.LBB356_442:                            ;   in Loop: Header=BB356_13 Depth=1
	s_or_b32 exec_lo, exec_lo, s24
	v_cmp_ne_u16_sdwa s6, v0, v29 src0_sel:BYTE_1 src1_sel:DWORD
	s_and_saveexec_b32 s24, s6
	s_cbranch_execz .LBB356_450
; %bb.443:                              ;   in Loop: Header=BB356_13 Depth=1
	v_cmp_ne_u16_sdwa s6, v0, v42 src0_sel:BYTE_1 src1_sel:DWORD
	v_bfrev_b32_e32 v2, 1
	s_and_saveexec_b32 s25, s6
	s_cbranch_execz .LBB356_449
; %bb.444:                              ;   in Loop: Header=BB356_13 Depth=1
	v_mov_b32_e32 v1, 0xffff
	v_mov_b32_e32 v2, 0x7f800001
	s_mov_b32 s26, exec_lo
	v_and_b32_sdwa v1, v1, v0 dst_sel:DWORD dst_unused:UNUSED_PAD src0_sel:DWORD src1_sel:BYTE_1
	v_and_b32_e32 v13, 0x7f, v1
	v_cmpx_ne_u32_e32 0x7f, v13
	s_cbranch_execz .LBB356_448
; %bb.445:                              ;   in Loop: Header=BB356_13 Depth=1
	v_and_b32_e32 v28, 7, v1
	v_mov_b32_e32 v85, v29
	v_lshrrev_b32_e32 v1, 3, v13
	s_mov_b32 s27, exec_lo
	v_mov_b32_e32 v84, v28
	v_cmpx_gt_u32_e32 8, v13
; %bb.446:                              ;   in Loop: Header=BB356_13 Depth=1
	v_ffbh_u32_e32 v1, v28
	v_min_u32_e32 v1, 32, v1
	v_subrev_nc_u32_e32 v13, 28, v1
	v_sub_nc_u32_e32 v1, 29, v1
	v_lshlrev_b64 v[13:14], v13, v[28:29]
	v_and_b32_e32 v84, 7, v13
; %bb.447:                              ;   in Loop: Header=BB356_13 Depth=1
	s_or_b32 exec_lo, exec_lo, s27
	v_lshlrev_b32_e32 v13, 16, v0
	v_lshlrev_b32_e32 v14, 20, v84
	v_lshl_add_u32 v1, v1, 23, 0x3c000000
	v_and_b32_e32 v13, 0x80000000, v13
	v_or3_b32 v2, v14, v13, v1
.LBB356_448:                            ;   in Loop: Header=BB356_13 Depth=1
	s_or_b32 exec_lo, exec_lo, s26
.LBB356_449:                            ;   in Loop: Header=BB356_13 Depth=1
	s_or_b32 exec_lo, exec_lo, s25
.LBB356_450:                            ;   in Loop: Header=BB356_13 Depth=1
	s_or_b32 exec_lo, exec_lo, s24
	v_and_b32_sdwa v1, v0, v56 dst_sel:DWORD dst_unused:UNUSED_PAD src0_sel:WORD_1 src1_sel:DWORD
	v_mov_b32_e32 v3, 0
	v_mov_b32_e32 v12, 0
	s_mov_b32 s24, exec_lo
	v_cmpx_ne_u16_e32 0, v1
	s_cbranch_execz .LBB356_458
; %bb.451:                              ;   in Loop: Header=BB356_13 Depth=1
	v_bfrev_b32_e32 v12, 1
	s_mov_b32 s25, exec_lo
	v_cmpx_ne_u16_e32 0x80, v1
	s_cbranch_execz .LBB356_457
; %bb.452:                              ;   in Loop: Header=BB356_13 Depth=1
	v_bfe_u32 v13, v0, 16, 7
	v_mov_b32_e32 v12, 0x7f800001
	s_mov_b32 s26, exec_lo
	v_cmpx_ne_u32_e32 0x7f, v13
	s_cbranch_execz .LBB356_456
; %bb.453:                              ;   in Loop: Header=BB356_13 Depth=1
	v_mov_b32_e32 v1, 7
	s_mov_b32 s27, exec_lo
	v_and_b32_sdwa v28, v0, v1 dst_sel:DWORD dst_unused:UNUSED_PAD src0_sel:WORD_1 src1_sel:DWORD
	v_mov_b32_e32 v85, v29
	v_lshrrev_b32_e32 v1, 3, v13
	v_mov_b32_e32 v84, v28
	v_cmpx_gt_u32_e32 8, v13
; %bb.454:                              ;   in Loop: Header=BB356_13 Depth=1
	v_ffbh_u32_e32 v1, v28
	v_min_u32_e32 v1, 32, v1
	v_subrev_nc_u32_e32 v13, 28, v1
	v_sub_nc_u32_e32 v1, 29, v1
	v_lshlrev_b64 v[13:14], v13, v[28:29]
	v_and_b32_e32 v84, 7, v13
; %bb.455:                              ;   in Loop: Header=BB356_13 Depth=1
	s_or_b32 exec_lo, exec_lo, s27
	v_mov_b32_e32 v13, 24
	v_lshlrev_b32_e32 v14, 20, v84
	v_lshl_add_u32 v1, v1, 23, 0x3c000000
	v_lshlrev_b32_sdwa v13, v13, v0 dst_sel:DWORD dst_unused:UNUSED_PAD src0_sel:DWORD src1_sel:WORD_1
	v_and_b32_e32 v13, 0x80000000, v13
	v_or3_b32 v12, v14, v13, v1
.LBB356_456:                            ;   in Loop: Header=BB356_13 Depth=1
	s_or_b32 exec_lo, exec_lo, s26
.LBB356_457:                            ;   in Loop: Header=BB356_13 Depth=1
	s_or_b32 exec_lo, exec_lo, s25
.LBB356_458:                            ;   in Loop: Header=BB356_13 Depth=1
	s_or_b32 exec_lo, exec_lo, s24
	s_mov_b32 s24, exec_lo
	v_cmpx_lt_u32_e32 0xffffff, v0
	s_cbranch_execz .LBB356_466
; %bb.459:                              ;   in Loop: Header=BB356_13 Depth=1
	v_cmp_ne_u32_sdwa s6, v0, v42 src0_sel:BYTE_3 src1_sel:DWORD
	v_bfrev_b32_e32 v3, 1
	s_and_saveexec_b32 s25, s6
	s_cbranch_execz .LBB356_465
; %bb.460:                              ;   in Loop: Header=BB356_13 Depth=1
	v_bfe_u32 v13, v0, 24, 7
	v_mov_b32_e32 v3, 0x7f800001
	s_mov_b32 s26, exec_lo
	v_cmpx_ne_u32_e32 0x7f, v13
	s_cbranch_execz .LBB356_464
; %bb.461:                              ;   in Loop: Header=BB356_13 Depth=1
	v_mov_b32_e32 v1, 7
	s_mov_b32 s27, exec_lo
	v_and_b32_sdwa v28, v0, v1 dst_sel:DWORD dst_unused:UNUSED_PAD src0_sel:BYTE_3 src1_sel:DWORD
	v_mov_b32_e32 v85, v29
	v_lshrrev_b32_e32 v1, 3, v13
	v_mov_b32_e32 v84, v28
	v_cmpx_gt_u32_e32 8, v13
; %bb.462:                              ;   in Loop: Header=BB356_13 Depth=1
	v_ffbh_u32_e32 v1, v28
	v_min_u32_e32 v1, 32, v1
	v_subrev_nc_u32_e32 v13, 28, v1
	v_sub_nc_u32_e32 v1, 29, v1
	v_lshlrev_b64 v[13:14], v13, v[28:29]
	v_and_b32_e32 v84, 7, v13
; %bb.463:                              ;   in Loop: Header=BB356_13 Depth=1
	s_or_b32 exec_lo, exec_lo, s27
	v_mov_b32_e32 v13, 24
	v_lshl_add_u32 v1, v1, 23, 0x3c000000
	v_lshlrev_b32_sdwa v0, v13, v0 dst_sel:DWORD dst_unused:UNUSED_PAD src0_sel:DWORD src1_sel:BYTE_3
	v_lshlrev_b32_e32 v13, 20, v84
	v_and_b32_e32 v0, 0x80000000, v0
	v_or3_b32 v3, v13, v0, v1
.LBB356_464:                            ;   in Loop: Header=BB356_13 Depth=1
	s_or_b32 exec_lo, exec_lo, s26
.LBB356_465:                            ;   in Loop: Header=BB356_13 Depth=1
	s_or_b32 exec_lo, exec_lo, s25
.LBB356_466:                            ;   in Loop: Header=BB356_13 Depth=1
	s_or_b32 exec_lo, exec_lo, s24
	flat_load_dword v0, v[82:83] offset:1792
	v_mov_b32_e32 v99, 0
	v_mov_b32_e32 v98, 0
	s_waitcnt vmcnt(0) lgkmcnt(0)
	v_cmp_ne_u16_sdwa s6, v0, v29 src0_sel:BYTE_0 src1_sel:DWORD
	s_and_saveexec_b32 s24, s6
	s_cbranch_execz .LBB356_474
; %bb.467:                              ;   in Loop: Header=BB356_13 Depth=1
	v_cmp_ne_u16_sdwa s6, v0, v42 src0_sel:BYTE_0 src1_sel:DWORD
	v_bfrev_b32_e32 v98, 1
	s_and_saveexec_b32 s25, s6
	s_cbranch_execz .LBB356_473
; %bb.468:                              ;   in Loop: Header=BB356_13 Depth=1
	v_and_b32_e32 v13, 0x7f, v0
	v_mov_b32_e32 v98, 0x7f800001
	s_mov_b32 s26, exec_lo
	v_cmpx_ne_u32_e32 0x7f, v13
	s_cbranch_execz .LBB356_472
; %bb.469:                              ;   in Loop: Header=BB356_13 Depth=1
	v_and_b32_e32 v28, 7, v0
	v_mov_b32_e32 v85, v29
	v_lshrrev_b32_e32 v1, 3, v13
	s_mov_b32 s27, exec_lo
	v_mov_b32_e32 v84, v28
	v_cmpx_gt_u32_e32 8, v13
; %bb.470:                              ;   in Loop: Header=BB356_13 Depth=1
	v_ffbh_u32_e32 v1, v28
	v_min_u32_e32 v1, 32, v1
	v_subrev_nc_u32_e32 v13, 28, v1
	v_sub_nc_u32_e32 v1, 29, v1
	v_lshlrev_b64 v[13:14], v13, v[28:29]
	v_and_b32_e32 v84, 7, v13
; %bb.471:                              ;   in Loop: Header=BB356_13 Depth=1
	s_or_b32 exec_lo, exec_lo, s27
	v_lshlrev_b32_e32 v13, 24, v0
	v_lshlrev_b32_e32 v14, 20, v84
	v_lshl_add_u32 v1, v1, 23, 0x3c000000
	v_and_b32_e32 v13, 0x80000000, v13
	v_or3_b32 v98, v14, v13, v1
.LBB356_472:                            ;   in Loop: Header=BB356_13 Depth=1
	s_or_b32 exec_lo, exec_lo, s26
.LBB356_473:                            ;   in Loop: Header=BB356_13 Depth=1
	s_or_b32 exec_lo, exec_lo, s25
.LBB356_474:                            ;   in Loop: Header=BB356_13 Depth=1
	s_or_b32 exec_lo, exec_lo, s24
	v_cmp_ne_u16_sdwa s6, v0, v29 src0_sel:BYTE_1 src1_sel:DWORD
	s_and_saveexec_b32 s24, s6
	s_cbranch_execz .LBB356_482
; %bb.475:                              ;   in Loop: Header=BB356_13 Depth=1
	v_cmp_ne_u16_sdwa s6, v0, v42 src0_sel:BYTE_1 src1_sel:DWORD
	v_bfrev_b32_e32 v99, 1
	s_and_saveexec_b32 s25, s6
	s_cbranch_execz .LBB356_481
; %bb.476:                              ;   in Loop: Header=BB356_13 Depth=1
	v_mov_b32_e32 v1, 0xffff
	v_mov_b32_e32 v99, 0x7f800001
	s_mov_b32 s26, exec_lo
	v_and_b32_sdwa v1, v1, v0 dst_sel:DWORD dst_unused:UNUSED_PAD src0_sel:DWORD src1_sel:BYTE_1
	v_and_b32_e32 v13, 0x7f, v1
	v_cmpx_ne_u32_e32 0x7f, v13
	s_cbranch_execz .LBB356_480
; %bb.477:                              ;   in Loop: Header=BB356_13 Depth=1
	v_and_b32_e32 v28, 7, v1
	v_mov_b32_e32 v85, v29
	v_lshrrev_b32_e32 v1, 3, v13
	s_mov_b32 s27, exec_lo
	v_mov_b32_e32 v84, v28
	v_cmpx_gt_u32_e32 8, v13
; %bb.478:                              ;   in Loop: Header=BB356_13 Depth=1
	v_ffbh_u32_e32 v1, v28
	v_min_u32_e32 v1, 32, v1
	v_subrev_nc_u32_e32 v13, 28, v1
	v_sub_nc_u32_e32 v1, 29, v1
	v_lshlrev_b64 v[13:14], v13, v[28:29]
	v_and_b32_e32 v84, 7, v13
; %bb.479:                              ;   in Loop: Header=BB356_13 Depth=1
	s_or_b32 exec_lo, exec_lo, s27
	v_lshlrev_b32_e32 v13, 16, v0
	v_lshlrev_b32_e32 v14, 20, v84
	v_lshl_add_u32 v1, v1, 23, 0x3c000000
	v_and_b32_e32 v13, 0x80000000, v13
	v_or3_b32 v99, v14, v13, v1
.LBB356_480:                            ;   in Loop: Header=BB356_13 Depth=1
	s_or_b32 exec_lo, exec_lo, s26
.LBB356_481:                            ;   in Loop: Header=BB356_13 Depth=1
	s_or_b32 exec_lo, exec_lo, s25
.LBB356_482:                            ;   in Loop: Header=BB356_13 Depth=1
	s_or_b32 exec_lo, exec_lo, s24
	v_and_b32_sdwa v1, v0, v56 dst_sel:DWORD dst_unused:UNUSED_PAD src0_sel:WORD_1 src1_sel:DWORD
	v_mov_b32_e32 v108, 0
	v_mov_b32_e32 v62, 0
	s_mov_b32 s24, exec_lo
	v_cmpx_ne_u16_e32 0, v1
	s_cbranch_execz .LBB356_490
; %bb.483:                              ;   in Loop: Header=BB356_13 Depth=1
	v_bfrev_b32_e32 v62, 1
	s_mov_b32 s25, exec_lo
	v_cmpx_ne_u16_e32 0x80, v1
	s_cbranch_execz .LBB356_489
; %bb.484:                              ;   in Loop: Header=BB356_13 Depth=1
	v_bfe_u32 v13, v0, 16, 7
	v_mov_b32_e32 v62, 0x7f800001
	s_mov_b32 s26, exec_lo
	v_cmpx_ne_u32_e32 0x7f, v13
	s_cbranch_execz .LBB356_488
; %bb.485:                              ;   in Loop: Header=BB356_13 Depth=1
	v_mov_b32_e32 v1, 7
	s_mov_b32 s27, exec_lo
	v_and_b32_sdwa v28, v0, v1 dst_sel:DWORD dst_unused:UNUSED_PAD src0_sel:WORD_1 src1_sel:DWORD
	v_mov_b32_e32 v85, v29
	v_lshrrev_b32_e32 v1, 3, v13
	v_mov_b32_e32 v84, v28
	v_cmpx_gt_u32_e32 8, v13
; %bb.486:                              ;   in Loop: Header=BB356_13 Depth=1
	v_ffbh_u32_e32 v1, v28
	v_min_u32_e32 v1, 32, v1
	v_subrev_nc_u32_e32 v13, 28, v1
	v_sub_nc_u32_e32 v1, 29, v1
	v_lshlrev_b64 v[13:14], v13, v[28:29]
	v_and_b32_e32 v84, 7, v13
; %bb.487:                              ;   in Loop: Header=BB356_13 Depth=1
	s_or_b32 exec_lo, exec_lo, s27
	v_mov_b32_e32 v13, 24
	v_lshlrev_b32_e32 v14, 20, v84
	v_lshl_add_u32 v1, v1, 23, 0x3c000000
	v_lshlrev_b32_sdwa v13, v13, v0 dst_sel:DWORD dst_unused:UNUSED_PAD src0_sel:DWORD src1_sel:WORD_1
	v_and_b32_e32 v13, 0x80000000, v13
	v_or3_b32 v62, v14, v13, v1
.LBB356_488:                            ;   in Loop: Header=BB356_13 Depth=1
	s_or_b32 exec_lo, exec_lo, s26
.LBB356_489:                            ;   in Loop: Header=BB356_13 Depth=1
	s_or_b32 exec_lo, exec_lo, s25
.LBB356_490:                            ;   in Loop: Header=BB356_13 Depth=1
	s_or_b32 exec_lo, exec_lo, s24
	s_mov_b32 s24, exec_lo
	v_cmpx_lt_u32_e32 0xffffff, v0
	s_cbranch_execz .LBB356_498
; %bb.491:                              ;   in Loop: Header=BB356_13 Depth=1
	v_cmp_ne_u32_sdwa s6, v0, v42 src0_sel:BYTE_3 src1_sel:DWORD
	v_bfrev_b32_e32 v108, 1
	s_and_saveexec_b32 s25, s6
	s_cbranch_execz .LBB356_497
; %bb.492:                              ;   in Loop: Header=BB356_13 Depth=1
	v_bfe_u32 v13, v0, 24, 7
	v_mov_b32_e32 v108, 0x7f800001
	s_mov_b32 s26, exec_lo
	v_cmpx_ne_u32_e32 0x7f, v13
	s_cbranch_execz .LBB356_496
; %bb.493:                              ;   in Loop: Header=BB356_13 Depth=1
	v_mov_b32_e32 v1, 7
	s_mov_b32 s27, exec_lo
	v_and_b32_sdwa v28, v0, v1 dst_sel:DWORD dst_unused:UNUSED_PAD src0_sel:BYTE_3 src1_sel:DWORD
	v_mov_b32_e32 v85, v29
	v_lshrrev_b32_e32 v1, 3, v13
	v_mov_b32_e32 v84, v28
	v_cmpx_gt_u32_e32 8, v13
; %bb.494:                              ;   in Loop: Header=BB356_13 Depth=1
	v_ffbh_u32_e32 v1, v28
	v_min_u32_e32 v1, 32, v1
	v_subrev_nc_u32_e32 v13, 28, v1
	v_sub_nc_u32_e32 v1, 29, v1
	v_lshlrev_b64 v[13:14], v13, v[28:29]
	v_and_b32_e32 v84, 7, v13
; %bb.495:                              ;   in Loop: Header=BB356_13 Depth=1
	s_or_b32 exec_lo, exec_lo, s27
	v_mov_b32_e32 v13, 24
	v_lshl_add_u32 v1, v1, 23, 0x3c000000
	v_lshlrev_b32_sdwa v0, v13, v0 dst_sel:DWORD dst_unused:UNUSED_PAD src0_sel:DWORD src1_sel:BYTE_3
	v_lshlrev_b32_e32 v13, 20, v84
	v_and_b32_e32 v0, 0x80000000, v0
	v_or3_b32 v108, v13, v0, v1
.LBB356_496:                            ;   in Loop: Header=BB356_13 Depth=1
	s_or_b32 exec_lo, exec_lo, s26
.LBB356_497:                            ;   in Loop: Header=BB356_13 Depth=1
	s_or_b32 exec_lo, exec_lo, s25
.LBB356_498:                            ;   in Loop: Header=BB356_13 Depth=1
	s_or_b32 exec_lo, exec_lo, s24
	flat_load_dword v13, v[82:83] offset:1800
	v_mov_b32_e32 v84, 0
	v_mov_b32_e32 v25, 0
	s_waitcnt vmcnt(0) lgkmcnt(0)
	v_cmp_ne_u16_sdwa s6, v13, v29 src0_sel:BYTE_0 src1_sel:DWORD
	s_and_saveexec_b32 s24, s6
	s_cbranch_execz .LBB356_506
; %bb.499:                              ;   in Loop: Header=BB356_13 Depth=1
	v_cmp_ne_u16_sdwa s6, v13, v42 src0_sel:BYTE_0 src1_sel:DWORD
	v_bfrev_b32_e32 v25, 1
	s_and_saveexec_b32 s25, s6
	s_cbranch_execz .LBB356_505
; %bb.500:                              ;   in Loop: Header=BB356_13 Depth=1
	v_and_b32_e32 v1, 0x7f, v13
	v_mov_b32_e32 v25, 0x7f800001
	s_mov_b32 s26, exec_lo
	v_cmpx_ne_u32_e32 0x7f, v1
	s_cbranch_execz .LBB356_504
; %bb.501:                              ;   in Loop: Header=BB356_13 Depth=1
	v_and_b32_e32 v28, 7, v13
	v_mov_b32_e32 v83, v29
	v_lshrrev_b32_e32 v0, 3, v1
	s_mov_b32 s27, exec_lo
	v_mov_b32_e32 v82, v28
	v_cmpx_gt_u32_e32 8, v1
; %bb.502:                              ;   in Loop: Header=BB356_13 Depth=1
	v_ffbh_u32_e32 v0, v28
	v_min_u32_e32 v0, 32, v0
	v_subrev_nc_u32_e32 v1, 28, v0
	v_sub_nc_u32_e32 v0, 29, v0
	v_lshlrev_b64 v[14:15], v1, v[28:29]
	v_and_b32_e32 v82, 7, v14
; %bb.503:                              ;   in Loop: Header=BB356_13 Depth=1
	s_or_b32 exec_lo, exec_lo, s27
	v_lshlrev_b32_e32 v1, 24, v13
	v_lshlrev_b32_e32 v14, 20, v82
	v_lshl_add_u32 v0, v0, 23, 0x3c000000
	v_and_b32_e32 v1, 0x80000000, v1
	v_or3_b32 v25, v14, v1, v0
.LBB356_504:                            ;   in Loop: Header=BB356_13 Depth=1
	s_or_b32 exec_lo, exec_lo, s26
.LBB356_505:                            ;   in Loop: Header=BB356_13 Depth=1
	s_or_b32 exec_lo, exec_lo, s25
.LBB356_506:                            ;   in Loop: Header=BB356_13 Depth=1
	s_or_b32 exec_lo, exec_lo, s24
	v_cmp_ne_u16_sdwa s6, v13, v29 src0_sel:BYTE_1 src1_sel:DWORD
	s_and_saveexec_b32 s24, s6
	s_cbranch_execz .LBB356_514
; %bb.507:                              ;   in Loop: Header=BB356_13 Depth=1
	v_cmp_ne_u16_sdwa s6, v13, v42 src0_sel:BYTE_1 src1_sel:DWORD
	v_bfrev_b32_e32 v84, 1
	s_and_saveexec_b32 s25, s6
	s_cbranch_execz .LBB356_513
; %bb.508:                              ;   in Loop: Header=BB356_13 Depth=1
	v_mov_b32_e32 v0, 0xffff
	v_mov_b32_e32 v84, 0x7f800001
	s_mov_b32 s26, exec_lo
	v_and_b32_sdwa v0, v0, v13 dst_sel:DWORD dst_unused:UNUSED_PAD src0_sel:DWORD src1_sel:BYTE_1
	v_and_b32_e32 v1, 0x7f, v0
	v_cmpx_ne_u32_e32 0x7f, v1
	s_cbranch_execz .LBB356_512
; %bb.509:                              ;   in Loop: Header=BB356_13 Depth=1
	v_and_b32_e32 v28, 7, v0
	v_mov_b32_e32 v83, v29
	v_lshrrev_b32_e32 v0, 3, v1
	s_mov_b32 s27, exec_lo
	v_mov_b32_e32 v82, v28
	v_cmpx_gt_u32_e32 8, v1
; %bb.510:                              ;   in Loop: Header=BB356_13 Depth=1
	v_ffbh_u32_e32 v0, v28
	v_min_u32_e32 v0, 32, v0
	v_subrev_nc_u32_e32 v1, 28, v0
	v_sub_nc_u32_e32 v0, 29, v0
	v_lshlrev_b64 v[14:15], v1, v[28:29]
	v_and_b32_e32 v82, 7, v14
; %bb.511:                              ;   in Loop: Header=BB356_13 Depth=1
	s_or_b32 exec_lo, exec_lo, s27
	v_lshlrev_b32_e32 v1, 16, v13
	v_lshlrev_b32_e32 v14, 20, v82
	v_lshl_add_u32 v0, v0, 23, 0x3c000000
	v_and_b32_e32 v1, 0x80000000, v1
	v_or3_b32 v84, v14, v1, v0
.LBB356_512:                            ;   in Loop: Header=BB356_13 Depth=1
	s_or_b32 exec_lo, exec_lo, s26
.LBB356_513:                            ;   in Loop: Header=BB356_13 Depth=1
	s_or_b32 exec_lo, exec_lo, s25
.LBB356_514:                            ;   in Loop: Header=BB356_13 Depth=1
	s_or_b32 exec_lo, exec_lo, s24
	v_and_b32_sdwa v14, v13, v56 dst_sel:DWORD dst_unused:UNUSED_PAD src0_sel:WORD_1 src1_sel:DWORD
	v_mov_b32_e32 v1, 0
	v_mov_b32_e32 v0, 0
	s_mov_b32 s24, exec_lo
	v_cmpx_ne_u16_e32 0, v14
	s_cbranch_execz .LBB356_522
; %bb.515:                              ;   in Loop: Header=BB356_13 Depth=1
	v_bfrev_b32_e32 v0, 1
	s_mov_b32 s25, exec_lo
	v_cmpx_ne_u16_e32 0x80, v14
	s_cbranch_execz .LBB356_521
; %bb.516:                              ;   in Loop: Header=BB356_13 Depth=1
	v_bfe_u32 v14, v13, 16, 7
	v_mov_b32_e32 v0, 0x7f800001
	s_mov_b32 s26, exec_lo
	v_cmpx_ne_u32_e32 0x7f, v14
	s_cbranch_execz .LBB356_520
; %bb.517:                              ;   in Loop: Header=BB356_13 Depth=1
	v_mov_b32_e32 v0, 7
	s_mov_b32 s27, exec_lo
	v_and_b32_sdwa v28, v13, v0 dst_sel:DWORD dst_unused:UNUSED_PAD src0_sel:WORD_1 src1_sel:DWORD
	v_mov_b32_e32 v83, v29
	v_lshrrev_b32_e32 v0, 3, v14
	v_mov_b32_e32 v82, v28
	v_cmpx_gt_u32_e32 8, v14
; %bb.518:                              ;   in Loop: Header=BB356_13 Depth=1
	v_ffbh_u32_e32 v0, v28
	v_min_u32_e32 v0, 32, v0
	v_subrev_nc_u32_e32 v14, 28, v0
	v_sub_nc_u32_e32 v0, 29, v0
	v_lshlrev_b64 v[14:15], v14, v[28:29]
	v_and_b32_e32 v82, 7, v14
; %bb.519:                              ;   in Loop: Header=BB356_13 Depth=1
	s_or_b32 exec_lo, exec_lo, s27
	v_mov_b32_e32 v14, 24
	v_lshlrev_b32_e32 v15, 20, v82
	v_lshl_add_u32 v0, v0, 23, 0x3c000000
	v_lshlrev_b32_sdwa v14, v14, v13 dst_sel:DWORD dst_unused:UNUSED_PAD src0_sel:DWORD src1_sel:WORD_1
	v_and_b32_e32 v14, 0x80000000, v14
	v_or3_b32 v0, v15, v14, v0
.LBB356_520:                            ;   in Loop: Header=BB356_13 Depth=1
	s_or_b32 exec_lo, exec_lo, s26
.LBB356_521:                            ;   in Loop: Header=BB356_13 Depth=1
	s_or_b32 exec_lo, exec_lo, s25
.LBB356_522:                            ;   in Loop: Header=BB356_13 Depth=1
	s_or_b32 exec_lo, exec_lo, s24
	s_mov_b32 s24, exec_lo
	v_cmpx_lt_u32_e32 0xffffff, v13
	s_cbranch_execz .LBB356_530
; %bb.523:                              ;   in Loop: Header=BB356_13 Depth=1
	v_cmp_ne_u32_sdwa s6, v13, v42 src0_sel:BYTE_3 src1_sel:DWORD
	v_bfrev_b32_e32 v1, 1
	s_and_saveexec_b32 s25, s6
	s_cbranch_execz .LBB356_529
; %bb.524:                              ;   in Loop: Header=BB356_13 Depth=1
	v_bfe_u32 v14, v13, 24, 7
	v_mov_b32_e32 v1, 0x7f800001
	s_mov_b32 s26, exec_lo
	v_cmpx_ne_u32_e32 0x7f, v14
	s_cbranch_execz .LBB356_528
; %bb.525:                              ;   in Loop: Header=BB356_13 Depth=1
	v_mov_b32_e32 v1, 7
	s_mov_b32 s27, exec_lo
	v_and_b32_sdwa v28, v13, v1 dst_sel:DWORD dst_unused:UNUSED_PAD src0_sel:BYTE_3 src1_sel:DWORD
	v_mov_b32_e32 v83, v29
	v_lshrrev_b32_e32 v1, 3, v14
	v_mov_b32_e32 v82, v28
	v_cmpx_gt_u32_e32 8, v14
; %bb.526:                              ;   in Loop: Header=BB356_13 Depth=1
	v_ffbh_u32_e32 v1, v28
	v_min_u32_e32 v1, 32, v1
	v_subrev_nc_u32_e32 v14, 28, v1
	v_sub_nc_u32_e32 v1, 29, v1
	v_lshlrev_b64 v[14:15], v14, v[28:29]
	v_and_b32_e32 v82, 7, v14
; %bb.527:                              ;   in Loop: Header=BB356_13 Depth=1
	s_or_b32 exec_lo, exec_lo, s27
	v_mov_b32_e32 v14, 24
	v_lshl_add_u32 v1, v1, 23, 0x3c000000
	v_lshlrev_b32_sdwa v13, v14, v13 dst_sel:DWORD dst_unused:UNUSED_PAD src0_sel:DWORD src1_sel:BYTE_3
	v_lshlrev_b32_e32 v14, 20, v82
	v_and_b32_e32 v13, 0x80000000, v13
	v_or3_b32 v1, v14, v13, v1
.LBB356_528:                            ;   in Loop: Header=BB356_13 Depth=1
	s_or_b32 exec_lo, exec_lo, s26
.LBB356_529:                            ;   in Loop: Header=BB356_13 Depth=1
	s_or_b32 exec_lo, exec_lo, s25
.LBB356_530:                            ;   in Loop: Header=BB356_13 Depth=1
	s_or_b32 exec_lo, exec_lo, s24
	buffer_load_dword v14, off, s[0:3], s32 offset:208 ; 4-byte Folded Reload
	v_add_co_u32 v13, s6, 0x800, v80
	v_add_co_ci_u32_e64 v24, null, 0, v81, s6
	s_waitcnt vmcnt(0)
	v_add_co_u32 v14, s6, v13, v14
	v_add_co_ci_u32_e64 v15, null, 0, v24, s6
	flat_load_dword v68, v[14:15]
	v_mov_b32_e32 v15, 0
	v_mov_b32_e32 v14, 0
	s_waitcnt vmcnt(0) lgkmcnt(0)
	v_cmp_ne_u16_sdwa s6, v68, v29 src0_sel:BYTE_0 src1_sel:DWORD
	s_and_saveexec_b32 s24, s6
	s_cbranch_execz .LBB356_538
; %bb.531:                              ;   in Loop: Header=BB356_13 Depth=1
	v_cmp_ne_u16_sdwa s6, v68, v42 src0_sel:BYTE_0 src1_sel:DWORD
	v_bfrev_b32_e32 v14, 1
	s_and_saveexec_b32 s25, s6
	s_cbranch_execz .LBB356_537
; %bb.532:                              ;   in Loop: Header=BB356_13 Depth=1
	v_and_b32_e32 v30, 0x7f, v68
	v_mov_b32_e32 v14, 0x7f800001
	s_mov_b32 s26, exec_lo
	v_cmpx_ne_u32_e32 0x7f, v30
	s_cbranch_execz .LBB356_536
; %bb.533:                              ;   in Loop: Header=BB356_13 Depth=1
	v_and_b32_e32 v28, 7, v68
	v_mov_b32_e32 v83, v29
	v_lshrrev_b32_e32 v14, 3, v30
	s_mov_b32 s27, exec_lo
	v_mov_b32_e32 v82, v28
	v_cmpx_gt_u32_e32 8, v30
; %bb.534:                              ;   in Loop: Header=BB356_13 Depth=1
	v_ffbh_u32_e32 v14, v28
	v_min_u32_e32 v14, 32, v14
	v_subrev_nc_u32_e32 v30, 28, v14
	v_sub_nc_u32_e32 v14, 29, v14
	v_lshlrev_b64 v[82:83], v30, v[28:29]
	v_and_b32_e32 v82, 7, v82
; %bb.535:                              ;   in Loop: Header=BB356_13 Depth=1
	s_or_b32 exec_lo, exec_lo, s27
	v_lshlrev_b32_e32 v28, 24, v68
	v_lshlrev_b32_e32 v30, 20, v82
	v_lshl_add_u32 v14, v14, 23, 0x3c000000
	v_and_b32_e32 v28, 0x80000000, v28
	v_or3_b32 v14, v30, v28, v14
.LBB356_536:                            ;   in Loop: Header=BB356_13 Depth=1
	s_or_b32 exec_lo, exec_lo, s26
.LBB356_537:                            ;   in Loop: Header=BB356_13 Depth=1
	s_or_b32 exec_lo, exec_lo, s25
.LBB356_538:                            ;   in Loop: Header=BB356_13 Depth=1
	s_or_b32 exec_lo, exec_lo, s24
	v_cmp_ne_u16_sdwa s6, v68, v29 src0_sel:BYTE_1 src1_sel:DWORD
	s_and_saveexec_b32 s24, s6
	s_cbranch_execz .LBB356_546
; %bb.539:                              ;   in Loop: Header=BB356_13 Depth=1
	v_cmp_ne_u16_sdwa s6, v68, v42 src0_sel:BYTE_1 src1_sel:DWORD
	v_bfrev_b32_e32 v15, 1
	s_and_saveexec_b32 s25, s6
	s_cbranch_execz .LBB356_545
; %bb.540:                              ;   in Loop: Header=BB356_13 Depth=1
	v_mov_b32_e32 v15, 0xffff
	s_mov_b32 s26, exec_lo
	v_and_b32_sdwa v28, v15, v68 dst_sel:DWORD dst_unused:UNUSED_PAD src0_sel:DWORD src1_sel:BYTE_1
	v_mov_b32_e32 v15, 0x7f800001
	v_and_b32_e32 v30, 0x7f, v28
	v_cmpx_ne_u32_e32 0x7f, v30
	s_cbranch_execz .LBB356_544
; %bb.541:                              ;   in Loop: Header=BB356_13 Depth=1
	v_and_b32_e32 v28, 7, v28
	v_mov_b32_e32 v83, v29
	v_lshrrev_b32_e32 v15, 3, v30
	s_mov_b32 s27, exec_lo
	v_mov_b32_e32 v82, v28
	v_cmpx_gt_u32_e32 8, v30
; %bb.542:                              ;   in Loop: Header=BB356_13 Depth=1
	v_ffbh_u32_e32 v15, v28
	v_min_u32_e32 v15, 32, v15
	v_subrev_nc_u32_e32 v30, 28, v15
	v_sub_nc_u32_e32 v15, 29, v15
	v_lshlrev_b64 v[82:83], v30, v[28:29]
	v_and_b32_e32 v82, 7, v82
; %bb.543:                              ;   in Loop: Header=BB356_13 Depth=1
	s_or_b32 exec_lo, exec_lo, s27
	v_lshlrev_b32_e32 v28, 16, v68
	v_lshlrev_b32_e32 v30, 20, v82
	v_lshl_add_u32 v15, v15, 23, 0x3c000000
	v_and_b32_e32 v28, 0x80000000, v28
	v_or3_b32 v15, v30, v28, v15
.LBB356_544:                            ;   in Loop: Header=BB356_13 Depth=1
	s_or_b32 exec_lo, exec_lo, s26
.LBB356_545:                            ;   in Loop: Header=BB356_13 Depth=1
	s_or_b32 exec_lo, exec_lo, s25
.LBB356_546:                            ;   in Loop: Header=BB356_13 Depth=1
	s_or_b32 exec_lo, exec_lo, s24
	v_and_b32_sdwa v28, v68, v56 dst_sel:DWORD dst_unused:UNUSED_PAD src0_sel:WORD_1 src1_sel:DWORD
	v_mov_b32_e32 v85, 0
	v_mov_b32_e32 v30, 0
	s_mov_b32 s24, exec_lo
	v_cmpx_ne_u16_e32 0, v28
	s_cbranch_execz .LBB356_554
; %bb.547:                              ;   in Loop: Header=BB356_13 Depth=1
	v_bfrev_b32_e32 v30, 1
	s_mov_b32 s25, exec_lo
	v_cmpx_ne_u16_e32 0x80, v28
	s_cbranch_execz .LBB356_553
; %bb.548:                              ;   in Loop: Header=BB356_13 Depth=1
	v_bfe_u32 v69, v68, 16, 7
	v_mov_b32_e32 v30, 0x7f800001
	s_mov_b32 s26, exec_lo
	v_cmpx_ne_u32_e32 0x7f, v69
	s_cbranch_execz .LBB356_552
; %bb.549:                              ;   in Loop: Header=BB356_13 Depth=1
	v_mov_b32_e32 v28, 7
	v_lshrrev_b32_e32 v30, 3, v69
	s_mov_b32 s27, exec_lo
	v_and_b32_sdwa v28, v68, v28 dst_sel:DWORD dst_unused:UNUSED_PAD src0_sel:WORD_1 src1_sel:DWORD
	v_mov_b32_e32 v83, v29
	v_mov_b32_e32 v82, v28
	v_cmpx_gt_u32_e32 8, v69
; %bb.550:                              ;   in Loop: Header=BB356_13 Depth=1
	v_ffbh_u32_e32 v30, v28
	v_min_u32_e32 v30, 32, v30
	v_subrev_nc_u32_e32 v69, 28, v30
	v_sub_nc_u32_e32 v30, 29, v30
	v_lshlrev_b64 v[82:83], v69, v[28:29]
	v_and_b32_e32 v82, 7, v82
; %bb.551:                              ;   in Loop: Header=BB356_13 Depth=1
	s_or_b32 exec_lo, exec_lo, s27
	v_mov_b32_e32 v28, 24
	v_lshlrev_b32_e32 v69, 20, v82
	v_lshl_add_u32 v30, v30, 23, 0x3c000000
	v_lshlrev_b32_sdwa v28, v28, v68 dst_sel:DWORD dst_unused:UNUSED_PAD src0_sel:DWORD src1_sel:WORD_1
	v_and_b32_e32 v28, 0x80000000, v28
	v_or3_b32 v30, v69, v28, v30
.LBB356_552:                            ;   in Loop: Header=BB356_13 Depth=1
	s_or_b32 exec_lo, exec_lo, s26
.LBB356_553:                            ;   in Loop: Header=BB356_13 Depth=1
	s_or_b32 exec_lo, exec_lo, s25
.LBB356_554:                            ;   in Loop: Header=BB356_13 Depth=1
	s_or_b32 exec_lo, exec_lo, s24
	s_mov_b32 s24, exec_lo
	v_cmpx_lt_u32_e32 0xffffff, v68
	s_cbranch_execz .LBB356_562
; %bb.555:                              ;   in Loop: Header=BB356_13 Depth=1
	v_cmp_ne_u32_sdwa s6, v68, v42 src0_sel:BYTE_3 src1_sel:DWORD
	v_bfrev_b32_e32 v85, 1
	s_and_saveexec_b32 s25, s6
	s_cbranch_execz .LBB356_561
; %bb.556:                              ;   in Loop: Header=BB356_13 Depth=1
	v_bfe_u32 v82, v68, 24, 7
	v_mov_b32_e32 v85, 0x7f800001
	s_mov_b32 s26, exec_lo
	v_cmpx_ne_u32_e32 0x7f, v82
	s_cbranch_execz .LBB356_560
; %bb.557:                              ;   in Loop: Header=BB356_13 Depth=1
	v_mov_b32_e32 v28, 7
	v_lshrrev_b32_e32 v69, 3, v82
	v_cmp_gt_u32_e64 s6, 8, v82
	v_and_b32_sdwa v28, v68, v28 dst_sel:DWORD dst_unused:UNUSED_PAD src0_sel:BYTE_3 src1_sel:DWORD
	v_mov_b32_e32 v83, v29
	v_mov_b32_e32 v82, v28
	s_and_saveexec_b32 s27, s6
; %bb.558:                              ;   in Loop: Header=BB356_13 Depth=1
	v_ffbh_u32_e32 v69, v28
	v_min_u32_e32 v69, 32, v69
	v_subrev_nc_u32_e32 v82, 28, v69
	v_sub_nc_u32_e32 v69, 29, v69
	v_lshlrev_b64 v[82:83], v82, v[28:29]
	v_and_b32_e32 v82, 7, v82
; %bb.559:                              ;   in Loop: Header=BB356_13 Depth=1
	s_or_b32 exec_lo, exec_lo, s27
	v_mov_b32_e32 v28, 24
	v_lshl_add_u32 v69, v69, 23, 0x3c000000
	v_lshlrev_b32_sdwa v28, v28, v68 dst_sel:DWORD dst_unused:UNUSED_PAD src0_sel:DWORD src1_sel:BYTE_3
	v_lshlrev_b32_e32 v68, 20, v82
	v_and_b32_e32 v28, 0x80000000, v28
	v_or3_b32 v85, v68, v28, v69
.LBB356_560:                            ;   in Loop: Header=BB356_13 Depth=1
	s_or_b32 exec_lo, exec_lo, s26
.LBB356_561:                            ;   in Loop: Header=BB356_13 Depth=1
	s_or_b32 exec_lo, exec_lo, s25
.LBB356_562:                            ;   in Loop: Header=BB356_13 Depth=1
	s_or_b32 exec_lo, exec_lo, s24
	buffer_load_dword v28, off, s[0:3], s32 offset:240 ; 4-byte Folded Reload
	s_waitcnt vmcnt(0)
	v_add_co_u32 v68, s6, v13, v28
	v_add_co_ci_u32_e64 v69, null, 0, v24, s6
	flat_load_dword v24, v[68:69]
	v_mov_b32_e32 v69, 0
	v_mov_b32_e32 v68, 0
	s_waitcnt vmcnt(0) lgkmcnt(0)
	v_cmp_ne_u16_sdwa s6, v24, v29 src0_sel:BYTE_0 src1_sel:DWORD
	s_and_saveexec_b32 s24, s6
	s_cbranch_execz .LBB356_570
; %bb.563:                              ;   in Loop: Header=BB356_13 Depth=1
	v_cmp_ne_u16_sdwa s6, v24, v42 src0_sel:BYTE_0 src1_sel:DWORD
	v_bfrev_b32_e32 v68, 1
	s_and_saveexec_b32 s25, s6
	s_cbranch_execz .LBB356_569
; %bb.564:                              ;   in Loop: Header=BB356_13 Depth=1
	v_and_b32_e32 v82, 0x7f, v24
	v_mov_b32_e32 v68, 0x7f800001
	s_mov_b32 s26, exec_lo
	v_cmpx_ne_u32_e32 0x7f, v82
	s_cbranch_execz .LBB356_568
; %bb.565:                              ;   in Loop: Header=BB356_13 Depth=1
	v_and_b32_e32 v28, 7, v24
	v_lshrrev_b32_e32 v13, 3, v82
	v_cmp_gt_u32_e64 s6, 8, v82
	v_mov_b32_e32 v83, v29
	v_mov_b32_e32 v82, v28
	s_and_saveexec_b32 s27, s6
; %bb.566:                              ;   in Loop: Header=BB356_13 Depth=1
	v_ffbh_u32_e32 v13, v28
	v_min_u32_e32 v13, 32, v13
	v_subrev_nc_u32_e32 v68, 28, v13
	v_sub_nc_u32_e32 v13, 29, v13
	v_lshlrev_b64 v[82:83], v68, v[28:29]
	v_and_b32_e32 v82, 7, v82
; %bb.567:                              ;   in Loop: Header=BB356_13 Depth=1
	s_or_b32 exec_lo, exec_lo, s27
	v_lshlrev_b32_e32 v28, 24, v24
	v_lshlrev_b32_e32 v68, 20, v82
	v_lshl_add_u32 v13, v13, 23, 0x3c000000
	v_and_b32_e32 v28, 0x80000000, v28
	v_or3_b32 v68, v68, v28, v13
.LBB356_568:                            ;   in Loop: Header=BB356_13 Depth=1
	s_or_b32 exec_lo, exec_lo, s26
.LBB356_569:                            ;   in Loop: Header=BB356_13 Depth=1
	s_or_b32 exec_lo, exec_lo, s25
.LBB356_570:                            ;   in Loop: Header=BB356_13 Depth=1
	s_or_b32 exec_lo, exec_lo, s24
	v_cmp_ne_u16_sdwa s6, v24, v29 src0_sel:BYTE_1 src1_sel:DWORD
	s_and_saveexec_b32 s24, s6
	s_cbranch_execz .LBB356_578
; %bb.571:                              ;   in Loop: Header=BB356_13 Depth=1
	v_cmp_ne_u16_sdwa s6, v24, v42 src0_sel:BYTE_1 src1_sel:DWORD
	v_bfrev_b32_e32 v69, 1
	s_and_saveexec_b32 s25, s6
	s_cbranch_execz .LBB356_577
; %bb.572:                              ;   in Loop: Header=BB356_13 Depth=1
	v_mov_b32_e32 v13, 0xffff
	v_mov_b32_e32 v69, 0x7f800001
	s_mov_b32 s26, exec_lo
	v_and_b32_sdwa v13, v13, v24 dst_sel:DWORD dst_unused:UNUSED_PAD src0_sel:DWORD src1_sel:BYTE_1
	v_and_b32_e32 v82, 0x7f, v13
	v_cmpx_ne_u32_e32 0x7f, v82
	s_cbranch_execz .LBB356_576
; %bb.573:                              ;   in Loop: Header=BB356_13 Depth=1
	v_and_b32_e32 v28, 7, v13
	v_lshrrev_b32_e32 v13, 3, v82
	v_cmp_gt_u32_e64 s6, 8, v82
	v_mov_b32_e32 v83, v29
	v_mov_b32_e32 v82, v28
	s_and_saveexec_b32 s27, s6
; %bb.574:                              ;   in Loop: Header=BB356_13 Depth=1
	v_ffbh_u32_e32 v13, v28
	v_min_u32_e32 v13, 32, v13
	v_subrev_nc_u32_e32 v69, 28, v13
	v_sub_nc_u32_e32 v13, 29, v13
	v_lshlrev_b64 v[82:83], v69, v[28:29]
	v_and_b32_e32 v82, 7, v82
; %bb.575:                              ;   in Loop: Header=BB356_13 Depth=1
	s_or_b32 exec_lo, exec_lo, s27
	v_lshlrev_b32_e32 v28, 16, v24
	v_lshlrev_b32_e32 v69, 20, v82
	v_lshl_add_u32 v13, v13, 23, 0x3c000000
	v_and_b32_e32 v28, 0x80000000, v28
	v_or3_b32 v69, v69, v28, v13
.LBB356_576:                            ;   in Loop: Header=BB356_13 Depth=1
	s_or_b32 exec_lo, exec_lo, s26
.LBB356_577:                            ;   in Loop: Header=BB356_13 Depth=1
	s_or_b32 exec_lo, exec_lo, s25
.LBB356_578:                            ;   in Loop: Header=BB356_13 Depth=1
	s_or_b32 exec_lo, exec_lo, s24
	v_and_b32_sdwa v28, v24, v56 dst_sel:DWORD dst_unused:UNUSED_PAD src0_sel:WORD_1 src1_sel:DWORD
	v_mov_b32_e32 v100, 0
	v_mov_b32_e32 v13, 0
	s_mov_b32 s24, exec_lo
	buffer_store_dword v13, off, s[0:3], s32 offset:288 ; 4-byte Folded Spill
	v_cmpx_ne_u16_e32 0, v28
	s_cbranch_execz .LBB356_586
; %bb.579:                              ;   in Loop: Header=BB356_13 Depth=1
	v_bfrev_b32_e32 v13, 1
	s_mov_b32 s25, exec_lo
	v_cmpx_ne_u16_e32 0x80, v28
	s_cbranch_execz .LBB356_585
; %bb.580:                              ;   in Loop: Header=BB356_13 Depth=1
	v_bfe_u32 v82, v24, 16, 7
	v_mov_b32_e32 v13, 0x7f800001
	s_mov_b32 s26, exec_lo
	v_cmpx_ne_u32_e32 0x7f, v82
	s_cbranch_execz .LBB356_584
; %bb.581:                              ;   in Loop: Header=BB356_13 Depth=1
	v_mov_b32_e32 v13, 7
	v_cmp_gt_u32_e64 s6, 8, v82
	v_and_b32_sdwa v28, v24, v13 dst_sel:DWORD dst_unused:UNUSED_PAD src0_sel:WORD_1 src1_sel:DWORD
	v_lshrrev_b32_e32 v13, 3, v82
	v_mov_b32_e32 v83, v29
	v_mov_b32_e32 v82, v28
	s_and_saveexec_b32 s27, s6
; %bb.582:                              ;   in Loop: Header=BB356_13 Depth=1
	v_ffbh_u32_e32 v13, v28
	v_min_u32_e32 v13, 32, v13
	v_subrev_nc_u32_e32 v82, 28, v13
	v_sub_nc_u32_e32 v13, 29, v13
	v_lshlrev_b64 v[82:83], v82, v[28:29]
	v_and_b32_e32 v82, 7, v82
; %bb.583:                              ;   in Loop: Header=BB356_13 Depth=1
	s_or_b32 exec_lo, exec_lo, s27
	v_mov_b32_e32 v28, 24
	v_lshlrev_b32_e32 v82, 20, v82
	v_lshl_add_u32 v13, v13, 23, 0x3c000000
	v_lshlrev_b32_sdwa v28, v28, v24 dst_sel:DWORD dst_unused:UNUSED_PAD src0_sel:DWORD src1_sel:WORD_1
	v_and_b32_e32 v28, 0x80000000, v28
	v_or3_b32 v13, v82, v28, v13
.LBB356_584:                            ;   in Loop: Header=BB356_13 Depth=1
	s_or_b32 exec_lo, exec_lo, s26
.LBB356_585:                            ;   in Loop: Header=BB356_13 Depth=1
	s_or_b32 exec_lo, exec_lo, s25
	buffer_store_dword v13, off, s[0:3], s32 offset:288 ; 4-byte Folded Spill
.LBB356_586:                            ;   in Loop: Header=BB356_13 Depth=1
	s_or_b32 exec_lo, exec_lo, s24
	s_mov_b32 s24, exec_lo
	v_cmpx_lt_u32_e32 0xffffff, v24
	s_cbranch_execz .LBB356_594
; %bb.587:                              ;   in Loop: Header=BB356_13 Depth=1
	v_cmp_ne_u32_sdwa s6, v24, v42 src0_sel:BYTE_3 src1_sel:DWORD
	v_bfrev_b32_e32 v100, 1
	s_and_saveexec_b32 s25, s6
	s_cbranch_execz .LBB356_593
; %bb.588:                              ;   in Loop: Header=BB356_13 Depth=1
	v_bfe_u32 v82, v24, 24, 7
	v_mov_b32_e32 v100, 0x7f800001
	s_mov_b32 s26, exec_lo
	v_cmpx_ne_u32_e32 0x7f, v82
	s_cbranch_execz .LBB356_592
; %bb.589:                              ;   in Loop: Header=BB356_13 Depth=1
	v_mov_b32_e32 v28, 7
	v_lshrrev_b32_e32 v101, 3, v82
	v_cmp_gt_u32_e64 s6, 8, v82
	v_and_b32_sdwa v28, v24, v28 dst_sel:DWORD dst_unused:UNUSED_PAD src0_sel:BYTE_3 src1_sel:DWORD
	v_mov_b32_e32 v83, v29
	v_mov_b32_e32 v82, v28
	s_and_saveexec_b32 s27, s6
; %bb.590:                              ;   in Loop: Header=BB356_13 Depth=1
	v_ffbh_u32_e32 v82, v28
	v_min_u32_e32 v101, 32, v82
	v_subrev_nc_u32_e32 v82, 28, v101
	v_sub_nc_u32_e32 v101, 29, v101
	v_lshlrev_b64 v[82:83], v82, v[28:29]
	v_and_b32_e32 v82, 7, v82
; %bb.591:                              ;   in Loop: Header=BB356_13 Depth=1
	s_or_b32 exec_lo, exec_lo, s27
	v_mov_b32_e32 v28, 24
	v_lshlrev_b32_sdwa v24, v28, v24 dst_sel:DWORD dst_unused:UNUSED_PAD src0_sel:DWORD src1_sel:BYTE_3
	v_lshlrev_b32_e32 v28, 20, v82
	v_lshl_add_u32 v82, v101, 23, 0x3c000000
	v_and_b32_e32 v24, 0x80000000, v24
	v_or3_b32 v100, v28, v24, v82
.LBB356_592:                            ;   in Loop: Header=BB356_13 Depth=1
	s_or_b32 exec_lo, exec_lo, s26
.LBB356_593:                            ;   in Loop: Header=BB356_13 Depth=1
	s_or_b32 exec_lo, exec_lo, s25
.LBB356_594:                            ;   in Loop: Header=BB356_13 Depth=1
	s_or_b32 exec_lo, exec_lo, s24
	buffer_load_dword v24, off, s[0:3], s32 offset:208 ; 4-byte Folded Reload
	v_add_co_u32 v118, s6, 0x900, v80
	v_add_co_ci_u32_e64 v43, null, 0, v81, s6
	v_mov_b32_e32 v13, 0
	buffer_store_dword v13, off, s[0:3], s32 offset:256 ; 4-byte Folded Spill
	v_mov_b32_e32 v13, 0
	buffer_store_dword v13, off, s[0:3], s32 offset:252 ; 4-byte Folded Spill
	s_waitcnt vmcnt(0)
	v_add_co_u32 v82, s6, v118, v24
	v_add_co_ci_u32_e64 v83, null, 0, v43, s6
	flat_load_dword v47, v[82:83]
	s_waitcnt vmcnt(0) lgkmcnt(0)
	v_cmp_ne_u16_sdwa s6, v47, v29 src0_sel:BYTE_0 src1_sel:DWORD
	s_and_saveexec_b32 s24, s6
	s_cbranch_execz .LBB356_602
; %bb.595:                              ;   in Loop: Header=BB356_13 Depth=1
	v_cmp_ne_u16_sdwa s6, v47, v42 src0_sel:BYTE_0 src1_sel:DWORD
	v_bfrev_b32_e32 v13, 1
	buffer_store_dword v13, off, s[0:3], s32 offset:252 ; 4-byte Folded Spill
	s_and_saveexec_b32 s25, s6
	s_cbranch_execz .LBB356_601
; %bb.596:                              ;   in Loop: Header=BB356_13 Depth=1
	v_and_b32_e32 v82, 0x7f, v47
	v_mov_b32_e32 v13, 0x7f800001
	s_mov_b32 s26, exec_lo
	buffer_store_dword v13, off, s[0:3], s32 offset:252 ; 4-byte Folded Spill
	v_cmpx_ne_u32_e32 0x7f, v82
	s_cbranch_execz .LBB356_600
; %bb.597:                              ;   in Loop: Header=BB356_13 Depth=1
	v_and_b32_e32 v28, 7, v47
	v_lshrrev_b32_e32 v24, 3, v82
	v_cmp_gt_u32_e64 s6, 8, v82
	v_mov_b32_e32 v83, v29
	v_mov_b32_e32 v82, v28
	s_and_saveexec_b32 s27, s6
; %bb.598:                              ;   in Loop: Header=BB356_13 Depth=1
	v_ffbh_u32_e32 v24, v28
	v_min_u32_e32 v24, 32, v24
	v_subrev_nc_u32_e32 v82, 28, v24
	v_sub_nc_u32_e32 v24, 29, v24
	v_lshlrev_b64 v[82:83], v82, v[28:29]
	v_and_b32_e32 v82, 7, v82
; %bb.599:                              ;   in Loop: Header=BB356_13 Depth=1
	s_or_b32 exec_lo, exec_lo, s27
	v_lshlrev_b32_e32 v28, 24, v47
	v_lshlrev_b32_e32 v82, 20, v82
	v_lshl_add_u32 v24, v24, 23, 0x3c000000
	v_and_b32_e32 v28, 0x80000000, v28
	v_or3_b32 v13, v82, v28, v24
	buffer_store_dword v13, off, s[0:3], s32 offset:252 ; 4-byte Folded Spill
.LBB356_600:                            ;   in Loop: Header=BB356_13 Depth=1
	s_or_b32 exec_lo, exec_lo, s26
.LBB356_601:                            ;   in Loop: Header=BB356_13 Depth=1
	s_or_b32 exec_lo, exec_lo, s25
.LBB356_602:                            ;   in Loop: Header=BB356_13 Depth=1
	s_or_b32 exec_lo, exec_lo, s24
	v_cmp_ne_u16_sdwa s6, v47, v29 src0_sel:BYTE_1 src1_sel:DWORD
	s_and_saveexec_b32 s24, s6
	s_cbranch_execz .LBB356_610
; %bb.603:                              ;   in Loop: Header=BB356_13 Depth=1
	v_cmp_ne_u16_sdwa s6, v47, v42 src0_sel:BYTE_1 src1_sel:DWORD
	v_bfrev_b32_e32 v13, 1
	buffer_store_dword v13, off, s[0:3], s32 offset:256 ; 4-byte Folded Spill
	s_and_saveexec_b32 s25, s6
	s_cbranch_execz .LBB356_609
; %bb.604:                              ;   in Loop: Header=BB356_13 Depth=1
	v_mov_b32_e32 v28, 0xffff
	v_mov_b32_e32 v13, 0x7f800001
	s_mov_b32 s26, exec_lo
	v_and_b32_sdwa v28, v28, v47 dst_sel:DWORD dst_unused:UNUSED_PAD src0_sel:DWORD src1_sel:BYTE_1
	buffer_store_dword v13, off, s[0:3], s32 offset:256 ; 4-byte Folded Spill
	v_and_b32_e32 v82, 0x7f, v28
	v_cmpx_ne_u32_e32 0x7f, v82
	s_cbranch_execz .LBB356_608
; %bb.605:                              ;   in Loop: Header=BB356_13 Depth=1
	v_and_b32_e32 v28, 7, v28
	v_lshrrev_b32_e32 v101, 3, v82
	v_cmp_gt_u32_e64 s6, 8, v82
	v_mov_b32_e32 v83, v29
	v_mov_b32_e32 v82, v28
	s_and_saveexec_b32 s27, s6
; %bb.606:                              ;   in Loop: Header=BB356_13 Depth=1
	v_ffbh_u32_e32 v82, v28
	v_min_u32_e32 v101, 32, v82
	v_subrev_nc_u32_e32 v82, 28, v101
	v_sub_nc_u32_e32 v101, 29, v101
	v_lshlrev_b64 v[82:83], v82, v[28:29]
	v_and_b32_e32 v82, 7, v82
; %bb.607:                              ;   in Loop: Header=BB356_13 Depth=1
	s_or_b32 exec_lo, exec_lo, s27
	v_lshlrev_b32_e32 v28, 16, v47
	v_lshlrev_b32_e32 v82, 20, v82
	v_lshl_add_u32 v83, v101, 23, 0x3c000000
	v_and_b32_e32 v28, 0x80000000, v28
	v_or3_b32 v13, v82, v28, v83
	buffer_store_dword v13, off, s[0:3], s32 offset:256 ; 4-byte Folded Spill
.LBB356_608:                            ;   in Loop: Header=BB356_13 Depth=1
	s_or_b32 exec_lo, exec_lo, s26
.LBB356_609:                            ;   in Loop: Header=BB356_13 Depth=1
	s_or_b32 exec_lo, exec_lo, s25
.LBB356_610:                            ;   in Loop: Header=BB356_13 Depth=1
	s_or_b32 exec_lo, exec_lo, s24
	v_mov_b32_e32 v13, 0
	v_and_b32_sdwa v28, v47, v56 dst_sel:DWORD dst_unused:UNUSED_PAD src0_sel:WORD_1 src1_sel:DWORD
	s_mov_b32 s24, exec_lo
	buffer_store_dword v13, off, s[0:3], s32 offset:264 ; 4-byte Folded Spill
	v_mov_b32_e32 v13, 0
	buffer_store_dword v13, off, s[0:3], s32 offset:300 ; 4-byte Folded Spill
	v_cmpx_ne_u16_e32 0, v28
	s_cbranch_execz .LBB356_618
; %bb.611:                              ;   in Loop: Header=BB356_13 Depth=1
	v_bfrev_b32_e32 v13, 1
	s_mov_b32 s25, exec_lo
	v_cmpx_ne_u16_e32 0x80, v28
	s_cbranch_execz .LBB356_617
; %bb.612:                              ;   in Loop: Header=BB356_13 Depth=1
	v_bfe_u32 v82, v47, 16, 7
	v_mov_b32_e32 v13, 0x7f800001
	s_mov_b32 s26, exec_lo
	v_cmpx_ne_u32_e32 0x7f, v82
	s_cbranch_execz .LBB356_616
; %bb.613:                              ;   in Loop: Header=BB356_13 Depth=1
	v_mov_b32_e32 v28, 7
	v_lshrrev_b32_e32 v101, 3, v82
	v_cmp_gt_u32_e64 s6, 8, v82
	v_and_b32_sdwa v28, v47, v28 dst_sel:DWORD dst_unused:UNUSED_PAD src0_sel:WORD_1 src1_sel:DWORD
	v_mov_b32_e32 v83, v29
	v_mov_b32_e32 v82, v28
	s_and_saveexec_b32 s27, s6
; %bb.614:                              ;   in Loop: Header=BB356_13 Depth=1
	v_ffbh_u32_e32 v82, v28
	v_min_u32_e32 v101, 32, v82
	v_subrev_nc_u32_e32 v82, 28, v101
	v_sub_nc_u32_e32 v101, 29, v101
	v_lshlrev_b64 v[82:83], v82, v[28:29]
	v_and_b32_e32 v82, 7, v82
; %bb.615:                              ;   in Loop: Header=BB356_13 Depth=1
	s_or_b32 exec_lo, exec_lo, s27
	v_mov_b32_e32 v28, 24
	v_lshlrev_b32_e32 v82, 20, v82
	v_lshl_add_u32 v83, v101, 23, 0x3c000000
	v_lshlrev_b32_sdwa v28, v28, v47 dst_sel:DWORD dst_unused:UNUSED_PAD src0_sel:DWORD src1_sel:WORD_1
	v_and_b32_e32 v28, 0x80000000, v28
	v_or3_b32 v13, v82, v28, v83
.LBB356_616:                            ;   in Loop: Header=BB356_13 Depth=1
	s_or_b32 exec_lo, exec_lo, s26
.LBB356_617:                            ;   in Loop: Header=BB356_13 Depth=1
	s_or_b32 exec_lo, exec_lo, s25
	buffer_store_dword v13, off, s[0:3], s32 offset:300 ; 4-byte Folded Spill
.LBB356_618:                            ;   in Loop: Header=BB356_13 Depth=1
	s_or_b32 exec_lo, exec_lo, s24
	s_mov_b32 s24, exec_lo
	v_cmpx_lt_u32_e32 0xffffff, v47
	s_cbranch_execz .LBB356_626
; %bb.619:                              ;   in Loop: Header=BB356_13 Depth=1
	v_cmp_ne_u32_sdwa s6, v47, v42 src0_sel:BYTE_3 src1_sel:DWORD
	v_bfrev_b32_e32 v13, 1
	buffer_store_dword v13, off, s[0:3], s32 offset:264 ; 4-byte Folded Spill
	s_and_saveexec_b32 s25, s6
	s_cbranch_execz .LBB356_625
; %bb.620:                              ;   in Loop: Header=BB356_13 Depth=1
	v_bfe_u32 v82, v47, 24, 7
	v_mov_b32_e32 v13, 0x7f800001
	s_mov_b32 s26, exec_lo
	buffer_store_dword v13, off, s[0:3], s32 offset:264 ; 4-byte Folded Spill
	v_cmpx_ne_u32_e32 0x7f, v82
	s_cbranch_execz .LBB356_624
; %bb.621:                              ;   in Loop: Header=BB356_13 Depth=1
	v_mov_b32_e32 v28, 7
	v_lshrrev_b32_e32 v44, 3, v82
	v_cmp_gt_u32_e64 s6, 8, v82
	v_and_b32_sdwa v28, v47, v28 dst_sel:DWORD dst_unused:UNUSED_PAD src0_sel:BYTE_3 src1_sel:DWORD
	v_mov_b32_e32 v83, v29
	v_mov_b32_e32 v82, v28
	s_and_saveexec_b32 s27, s6
; %bb.622:                              ;   in Loop: Header=BB356_13 Depth=1
	v_ffbh_u32_e32 v82, v28
	v_min_u32_e32 v44, 32, v82
	v_subrev_nc_u32_e32 v82, 28, v44
	v_sub_nc_u32_e32 v44, 29, v44
	v_lshlrev_b64 v[82:83], v82, v[28:29]
	v_and_b32_e32 v82, 7, v82
; %bb.623:                              ;   in Loop: Header=BB356_13 Depth=1
	s_or_b32 exec_lo, exec_lo, s27
	v_mov_b32_e32 v28, 24
	v_lshlrev_b32_e32 v82, 20, v82
	v_lshl_add_u32 v83, v44, 23, 0x3c000000
	v_lshlrev_b32_sdwa v28, v28, v47 dst_sel:DWORD dst_unused:UNUSED_PAD src0_sel:DWORD src1_sel:BYTE_3
	v_and_b32_e32 v28, 0x80000000, v28
	v_or3_b32 v13, v82, v28, v83
	buffer_store_dword v13, off, s[0:3], s32 offset:264 ; 4-byte Folded Spill
.LBB356_624:                            ;   in Loop: Header=BB356_13 Depth=1
	s_or_b32 exec_lo, exec_lo, s26
.LBB356_625:                            ;   in Loop: Header=BB356_13 Depth=1
	s_or_b32 exec_lo, exec_lo, s25
.LBB356_626:                            ;   in Loop: Header=BB356_13 Depth=1
	s_or_b32 exec_lo, exec_lo, s24
	buffer_load_dword v28, off, s[0:3], s32 offset:240 ; 4-byte Folded Reload
	v_mov_b32_e32 v13, 0
	buffer_store_dword v13, off, s[0:3], s32 offset:272 ; 4-byte Folded Spill
	v_mov_b32_e32 v13, 0
	buffer_store_dword v13, off, s[0:3], s32 offset:268 ; 4-byte Folded Spill
	s_waitcnt vmcnt(0)
	v_add_co_u32 v82, s6, v118, v28
	v_add_co_ci_u32_e64 v83, null, 0, v43, s6
	flat_load_dword v57, v[82:83]
	s_waitcnt vmcnt(0) lgkmcnt(0)
	v_cmp_ne_u16_sdwa s6, v57, v29 src0_sel:BYTE_0 src1_sel:DWORD
	s_and_saveexec_b32 s24, s6
	s_cbranch_execz .LBB356_634
; %bb.627:                              ;   in Loop: Header=BB356_13 Depth=1
	v_cmp_ne_u16_sdwa s6, v57, v42 src0_sel:BYTE_0 src1_sel:DWORD
	v_bfrev_b32_e32 v13, 1
	buffer_store_dword v13, off, s[0:3], s32 offset:268 ; 4-byte Folded Spill
	s_and_saveexec_b32 s25, s6
	s_cbranch_execz .LBB356_633
; %bb.628:                              ;   in Loop: Header=BB356_13 Depth=1
	v_and_b32_e32 v82, 0x7f, v57
	v_mov_b32_e32 v13, 0x7f800001
	s_mov_b32 s26, exec_lo
	buffer_store_dword v13, off, s[0:3], s32 offset:268 ; 4-byte Folded Spill
	v_cmpx_ne_u32_e32 0x7f, v82
	s_cbranch_execz .LBB356_632
; %bb.629:                              ;   in Loop: Header=BB356_13 Depth=1
	v_and_b32_e32 v28, 7, v57
	v_lshrrev_b32_e32 v118, 3, v82
	v_cmp_gt_u32_e64 s6, 8, v82
	v_mov_b32_e32 v83, v29
	v_mov_b32_e32 v82, v28
	s_and_saveexec_b32 s27, s6
; %bb.630:                              ;   in Loop: Header=BB356_13 Depth=1
	v_ffbh_u32_e32 v82, v28
	v_min_u32_e32 v118, 32, v82
	v_subrev_nc_u32_e32 v82, 28, v118
	v_sub_nc_u32_e32 v118, 29, v118
	v_lshlrev_b64 v[82:83], v82, v[28:29]
	v_and_b32_e32 v82, 7, v82
; %bb.631:                              ;   in Loop: Header=BB356_13 Depth=1
	s_or_b32 exec_lo, exec_lo, s27
	v_lshlrev_b32_e32 v28, 24, v57
	v_lshlrev_b32_e32 v82, 20, v82
	v_lshl_add_u32 v83, v118, 23, 0x3c000000
	v_and_b32_e32 v28, 0x80000000, v28
	v_or3_b32 v13, v82, v28, v83
	buffer_store_dword v13, off, s[0:3], s32 offset:268 ; 4-byte Folded Spill
.LBB356_632:                            ;   in Loop: Header=BB356_13 Depth=1
	s_or_b32 exec_lo, exec_lo, s26
.LBB356_633:                            ;   in Loop: Header=BB356_13 Depth=1
	s_or_b32 exec_lo, exec_lo, s25
.LBB356_634:                            ;   in Loop: Header=BB356_13 Depth=1
	s_or_b32 exec_lo, exec_lo, s24
	v_cmp_ne_u16_sdwa s6, v57, v29 src0_sel:BYTE_1 src1_sel:DWORD
	s_and_saveexec_b32 s24, s6
	s_cbranch_execz .LBB356_642
; %bb.635:                              ;   in Loop: Header=BB356_13 Depth=1
	v_cmp_ne_u16_sdwa s6, v57, v42 src0_sel:BYTE_1 src1_sel:DWORD
	v_bfrev_b32_e32 v13, 1
	buffer_store_dword v13, off, s[0:3], s32 offset:272 ; 4-byte Folded Spill
	s_and_saveexec_b32 s25, s6
	s_cbranch_execz .LBB356_641
; %bb.636:                              ;   in Loop: Header=BB356_13 Depth=1
	v_mov_b32_e32 v28, 0xffff
	v_mov_b32_e32 v13, 0x7f800001
	s_mov_b32 s26, exec_lo
	v_and_b32_sdwa v28, v28, v57 dst_sel:DWORD dst_unused:UNUSED_PAD src0_sel:DWORD src1_sel:BYTE_1
	buffer_store_dword v13, off, s[0:3], s32 offset:272 ; 4-byte Folded Spill
	v_and_b32_e32 v82, 0x7f, v28
	v_cmpx_ne_u32_e32 0x7f, v82
	s_cbranch_execz .LBB356_640
; %bb.637:                              ;   in Loop: Header=BB356_13 Depth=1
	v_and_b32_e32 v28, 7, v28
	v_lshrrev_b32_e32 v118, 3, v82
	v_cmp_gt_u32_e64 s6, 8, v82
	v_mov_b32_e32 v83, v29
	v_mov_b32_e32 v82, v28
	s_and_saveexec_b32 s27, s6
; %bb.638:                              ;   in Loop: Header=BB356_13 Depth=1
	v_ffbh_u32_e32 v82, v28
	v_min_u32_e32 v118, 32, v82
	v_subrev_nc_u32_e32 v82, 28, v118
	v_sub_nc_u32_e32 v118, 29, v118
	v_lshlrev_b64 v[82:83], v82, v[28:29]
	v_and_b32_e32 v82, 7, v82
; %bb.639:                              ;   in Loop: Header=BB356_13 Depth=1
	s_or_b32 exec_lo, exec_lo, s27
	v_lshlrev_b32_e32 v28, 16, v57
	v_lshlrev_b32_e32 v82, 20, v82
	v_lshl_add_u32 v83, v118, 23, 0x3c000000
	v_and_b32_e32 v28, 0x80000000, v28
	v_or3_b32 v13, v82, v28, v83
	buffer_store_dword v13, off, s[0:3], s32 offset:272 ; 4-byte Folded Spill
.LBB356_640:                            ;   in Loop: Header=BB356_13 Depth=1
	s_or_b32 exec_lo, exec_lo, s26
.LBB356_641:                            ;   in Loop: Header=BB356_13 Depth=1
	s_or_b32 exec_lo, exec_lo, s25
.LBB356_642:                            ;   in Loop: Header=BB356_13 Depth=1
	s_or_b32 exec_lo, exec_lo, s24
	v_mov_b32_e32 v13, 0
	v_and_b32_sdwa v28, v57, v56 dst_sel:DWORD dst_unused:UNUSED_PAD src0_sel:WORD_1 src1_sel:DWORD
	s_mov_b32 s24, exec_lo
	buffer_store_dword v13, off, s[0:3], s32 offset:276 ; 4-byte Folded Spill
	v_mov_b32_e32 v13, 0
	buffer_store_dword v13, off, s[0:3], s32 offset:308 ; 4-byte Folded Spill
	v_cmpx_ne_u16_e32 0, v28
	s_cbranch_execz .LBB356_650
; %bb.643:                              ;   in Loop: Header=BB356_13 Depth=1
	v_bfrev_b32_e32 v13, 1
	s_mov_b32 s25, exec_lo
	v_cmpx_ne_u16_e32 0x80, v28
	s_cbranch_execz .LBB356_649
; %bb.644:                              ;   in Loop: Header=BB356_13 Depth=1
	v_bfe_u32 v82, v57, 16, 7
	v_mov_b32_e32 v13, 0x7f800001
	s_mov_b32 s26, exec_lo
	v_cmpx_ne_u32_e32 0x7f, v82
	s_cbranch_execz .LBB356_648
; %bb.645:                              ;   in Loop: Header=BB356_13 Depth=1
	v_mov_b32_e32 v28, 7
	v_lshrrev_b32_e32 v43, 3, v82
	v_cmp_gt_u32_e64 s6, 8, v82
	v_and_b32_sdwa v28, v57, v28 dst_sel:DWORD dst_unused:UNUSED_PAD src0_sel:WORD_1 src1_sel:DWORD
	v_mov_b32_e32 v83, v29
	v_mov_b32_e32 v82, v28
	s_and_saveexec_b32 s27, s6
; %bb.646:                              ;   in Loop: Header=BB356_13 Depth=1
	v_ffbh_u32_e32 v82, v28
	v_min_u32_e32 v43, 32, v82
	v_subrev_nc_u32_e32 v82, 28, v43
	v_sub_nc_u32_e32 v43, 29, v43
	v_lshlrev_b64 v[82:83], v82, v[28:29]
	v_and_b32_e32 v82, 7, v82
; %bb.647:                              ;   in Loop: Header=BB356_13 Depth=1
	s_or_b32 exec_lo, exec_lo, s27
	v_mov_b32_e32 v28, 24
	v_lshlrev_b32_e32 v82, 20, v82
	v_lshl_add_u32 v83, v43, 23, 0x3c000000
	v_lshlrev_b32_sdwa v28, v28, v57 dst_sel:DWORD dst_unused:UNUSED_PAD src0_sel:DWORD src1_sel:WORD_1
	v_and_b32_e32 v28, 0x80000000, v28
	v_or3_b32 v13, v82, v28, v83
.LBB356_648:                            ;   in Loop: Header=BB356_13 Depth=1
	s_or_b32 exec_lo, exec_lo, s26
.LBB356_649:                            ;   in Loop: Header=BB356_13 Depth=1
	s_or_b32 exec_lo, exec_lo, s25
	buffer_store_dword v13, off, s[0:3], s32 offset:308 ; 4-byte Folded Spill
.LBB356_650:                            ;   in Loop: Header=BB356_13 Depth=1
	s_or_b32 exec_lo, exec_lo, s24
	s_mov_b32 s24, exec_lo
	v_cmpx_lt_u32_e32 0xffffff, v57
	s_cbranch_execz .LBB356_658
; %bb.651:                              ;   in Loop: Header=BB356_13 Depth=1
	v_cmp_ne_u32_sdwa s6, v57, v42 src0_sel:BYTE_3 src1_sel:DWORD
	v_bfrev_b32_e32 v13, 1
	buffer_store_dword v13, off, s[0:3], s32 offset:276 ; 4-byte Folded Spill
	s_and_saveexec_b32 s25, s6
	s_cbranch_execz .LBB356_657
; %bb.652:                              ;   in Loop: Header=BB356_13 Depth=1
	v_bfe_u32 v82, v57, 24, 7
	v_mov_b32_e32 v13, 0x7f800001
	s_mov_b32 s26, exec_lo
	buffer_store_dword v13, off, s[0:3], s32 offset:276 ; 4-byte Folded Spill
	v_cmpx_ne_u32_e32 0x7f, v82
	s_cbranch_execz .LBB356_656
; %bb.653:                              ;   in Loop: Header=BB356_13 Depth=1
	v_mov_b32_e32 v28, 7
	v_lshrrev_b32_e32 v118, 3, v82
	v_cmp_gt_u32_e64 s6, 8, v82
	v_and_b32_sdwa v28, v57, v28 dst_sel:DWORD dst_unused:UNUSED_PAD src0_sel:BYTE_3 src1_sel:DWORD
	v_mov_b32_e32 v83, v29
	v_mov_b32_e32 v82, v28
	s_and_saveexec_b32 s27, s6
; %bb.654:                              ;   in Loop: Header=BB356_13 Depth=1
	v_ffbh_u32_e32 v82, v28
	v_min_u32_e32 v118, 32, v82
	v_subrev_nc_u32_e32 v82, 28, v118
	v_sub_nc_u32_e32 v118, 29, v118
	v_lshlrev_b64 v[82:83], v82, v[28:29]
	v_and_b32_e32 v82, 7, v82
; %bb.655:                              ;   in Loop: Header=BB356_13 Depth=1
	s_or_b32 exec_lo, exec_lo, s27
	v_mov_b32_e32 v28, 24
	v_lshlrev_b32_e32 v82, 20, v82
	v_lshl_add_u32 v83, v118, 23, 0x3c000000
	v_lshlrev_b32_sdwa v28, v28, v57 dst_sel:DWORD dst_unused:UNUSED_PAD src0_sel:DWORD src1_sel:BYTE_3
	v_and_b32_e32 v28, 0x80000000, v28
	v_or3_b32 v13, v82, v28, v83
	buffer_store_dword v13, off, s[0:3], s32 offset:276 ; 4-byte Folded Spill
.LBB356_656:                            ;   in Loop: Header=BB356_13 Depth=1
	s_or_b32 exec_lo, exec_lo, s26
.LBB356_657:                            ;   in Loop: Header=BB356_13 Depth=1
	s_or_b32 exec_lo, exec_lo, s25
.LBB356_658:                            ;   in Loop: Header=BB356_13 Depth=1
	s_or_b32 exec_lo, exec_lo, s24
	buffer_load_dword v28, off, s[0:3], s32 offset:208 ; 4-byte Folded Reload
	v_add_co_u32 v72, s6, 0xa00, v80
	v_add_co_ci_u32_e64 v73, null, 0, v81, s6
	v_mov_b32_e32 v13, 0
	buffer_store_dword v13, off, s[0:3], s32 offset:284 ; 4-byte Folded Spill
	v_mov_b32_e32 v13, 0
	buffer_store_dword v13, off, s[0:3], s32 offset:280 ; 4-byte Folded Spill
	s_waitcnt vmcnt(0)
	v_add_co_u32 v82, s6, v72, v28
	v_add_co_ci_u32_e64 v83, null, 0, v73, s6
	flat_load_dword v74, v[82:83]
	s_waitcnt vmcnt(0) lgkmcnt(0)
	v_cmp_ne_u16_sdwa s6, v74, v29 src0_sel:BYTE_0 src1_sel:DWORD
	s_and_saveexec_b32 s24, s6
	s_cbranch_execz .LBB356_666
; %bb.659:                              ;   in Loop: Header=BB356_13 Depth=1
	v_cmp_ne_u16_sdwa s6, v74, v42 src0_sel:BYTE_0 src1_sel:DWORD
	v_bfrev_b32_e32 v13, 1
	buffer_store_dword v13, off, s[0:3], s32 offset:280 ; 4-byte Folded Spill
	s_and_saveexec_b32 s25, s6
	s_cbranch_execz .LBB356_665
; %bb.660:                              ;   in Loop: Header=BB356_13 Depth=1
	v_and_b32_e32 v82, 0x7f, v74
	v_mov_b32_e32 v13, 0x7f800001
	s_mov_b32 s26, exec_lo
	buffer_store_dword v13, off, s[0:3], s32 offset:280 ; 4-byte Folded Spill
	v_cmpx_ne_u32_e32 0x7f, v82
	s_cbranch_execz .LBB356_664
; %bb.661:                              ;   in Loop: Header=BB356_13 Depth=1
	v_and_b32_e32 v28, 7, v74
	v_lshrrev_b32_e32 v57, 3, v82
	v_cmp_gt_u32_e64 s6, 8, v82
	v_mov_b32_e32 v83, v29
	v_mov_b32_e32 v82, v28
	s_and_saveexec_b32 s27, s6
; %bb.662:                              ;   in Loop: Header=BB356_13 Depth=1
	v_ffbh_u32_e32 v82, v28
	v_min_u32_e32 v57, 32, v82
	v_subrev_nc_u32_e32 v82, 28, v57
	v_sub_nc_u32_e32 v57, 29, v57
	v_lshlrev_b64 v[82:83], v82, v[28:29]
	v_and_b32_e32 v82, 7, v82
; %bb.663:                              ;   in Loop: Header=BB356_13 Depth=1
	s_or_b32 exec_lo, exec_lo, s27
	v_lshlrev_b32_e32 v28, 24, v74
	v_lshlrev_b32_e32 v82, 20, v82
	v_lshl_add_u32 v83, v57, 23, 0x3c000000
	v_and_b32_e32 v28, 0x80000000, v28
	v_or3_b32 v13, v82, v28, v83
	buffer_store_dword v13, off, s[0:3], s32 offset:280 ; 4-byte Folded Spill
.LBB356_664:                            ;   in Loop: Header=BB356_13 Depth=1
	s_or_b32 exec_lo, exec_lo, s26
.LBB356_665:                            ;   in Loop: Header=BB356_13 Depth=1
	s_or_b32 exec_lo, exec_lo, s25
.LBB356_666:                            ;   in Loop: Header=BB356_13 Depth=1
	s_or_b32 exec_lo, exec_lo, s24
	v_cmp_ne_u16_sdwa s6, v74, v29 src0_sel:BYTE_1 src1_sel:DWORD
	s_and_saveexec_b32 s24, s6
	s_cbranch_execz .LBB356_674
; %bb.667:                              ;   in Loop: Header=BB356_13 Depth=1
	v_cmp_ne_u16_sdwa s6, v74, v42 src0_sel:BYTE_1 src1_sel:DWORD
	v_bfrev_b32_e32 v13, 1
	buffer_store_dword v13, off, s[0:3], s32 offset:284 ; 4-byte Folded Spill
	s_and_saveexec_b32 s25, s6
	s_cbranch_execz .LBB356_673
; %bb.668:                              ;   in Loop: Header=BB356_13 Depth=1
	v_mov_b32_e32 v28, 0xffff
	v_mov_b32_e32 v13, 0x7f800001
	s_mov_b32 s26, exec_lo
	v_and_b32_sdwa v28, v28, v74 dst_sel:DWORD dst_unused:UNUSED_PAD src0_sel:DWORD src1_sel:BYTE_1
	buffer_store_dword v13, off, s[0:3], s32 offset:284 ; 4-byte Folded Spill
	v_and_b32_e32 v82, 0x7f, v28
	v_cmpx_ne_u32_e32 0x7f, v82
	s_cbranch_execz .LBB356_672
; %bb.669:                              ;   in Loop: Header=BB356_13 Depth=1
	v_and_b32_e32 v28, 7, v28
	v_lshrrev_b32_e32 v58, 3, v82
	v_cmp_gt_u32_e64 s6, 8, v82
	v_mov_b32_e32 v83, v29
	v_mov_b32_e32 v82, v28
	s_and_saveexec_b32 s27, s6
; %bb.670:                              ;   in Loop: Header=BB356_13 Depth=1
	v_ffbh_u32_e32 v82, v28
	v_min_u32_e32 v58, 32, v82
	v_subrev_nc_u32_e32 v82, 28, v58
	v_sub_nc_u32_e32 v58, 29, v58
	v_lshlrev_b64 v[82:83], v82, v[28:29]
	v_and_b32_e32 v82, 7, v82
; %bb.671:                              ;   in Loop: Header=BB356_13 Depth=1
	s_or_b32 exec_lo, exec_lo, s27
	v_lshlrev_b32_e32 v28, 16, v74
	v_lshlrev_b32_e32 v82, 20, v82
	v_lshl_add_u32 v83, v58, 23, 0x3c000000
	v_and_b32_e32 v28, 0x80000000, v28
	v_or3_b32 v13, v82, v28, v83
	buffer_store_dword v13, off, s[0:3], s32 offset:284 ; 4-byte Folded Spill
.LBB356_672:                            ;   in Loop: Header=BB356_13 Depth=1
	s_or_b32 exec_lo, exec_lo, s26
.LBB356_673:                            ;   in Loop: Header=BB356_13 Depth=1
	s_or_b32 exec_lo, exec_lo, s25
.LBB356_674:                            ;   in Loop: Header=BB356_13 Depth=1
	s_or_b32 exec_lo, exec_lo, s24
	v_and_b32_sdwa v28, v74, v56 dst_sel:DWORD dst_unused:UNUSED_PAD src0_sel:WORD_1 src1_sel:DWORD
	v_mov_b32_e32 v61, 0
	v_mov_b32_e32 v63, 0
	s_mov_b32 s24, exec_lo
	v_cmpx_ne_u16_e32 0, v28
	s_cbranch_execz .LBB356_682
; %bb.675:                              ;   in Loop: Header=BB356_13 Depth=1
	v_bfrev_b32_e32 v63, 1
	s_mov_b32 s25, exec_lo
	v_cmpx_ne_u16_e32 0x80, v28
	s_cbranch_execz .LBB356_681
; %bb.676:                              ;   in Loop: Header=BB356_13 Depth=1
	v_bfe_u32 v82, v74, 16, 7
	v_mov_b32_e32 v63, 0x7f800001
	s_mov_b32 s26, exec_lo
	v_cmpx_ne_u32_e32 0x7f, v82
	s_cbranch_execz .LBB356_680
; %bb.677:                              ;   in Loop: Header=BB356_13 Depth=1
	v_mov_b32_e32 v28, 7
	v_lshrrev_b32_e32 v63, 3, v82
	v_cmp_gt_u32_e64 s6, 8, v82
	v_and_b32_sdwa v28, v74, v28 dst_sel:DWORD dst_unused:UNUSED_PAD src0_sel:WORD_1 src1_sel:DWORD
	v_mov_b32_e32 v83, v29
	v_mov_b32_e32 v82, v28
	s_and_saveexec_b32 s27, s6
; %bb.678:                              ;   in Loop: Header=BB356_13 Depth=1
	v_ffbh_u32_e32 v82, v28
	v_min_u32_e32 v63, 32, v82
	v_subrev_nc_u32_e32 v82, 28, v63
	v_sub_nc_u32_e32 v63, 29, v63
	v_lshlrev_b64 v[82:83], v82, v[28:29]
	v_and_b32_e32 v82, 7, v82
; %bb.679:                              ;   in Loop: Header=BB356_13 Depth=1
	s_or_b32 exec_lo, exec_lo, s27
	v_mov_b32_e32 v28, 24
	v_lshlrev_b32_e32 v82, 20, v82
	v_lshl_add_u32 v83, v63, 23, 0x3c000000
	v_lshlrev_b32_sdwa v28, v28, v74 dst_sel:DWORD dst_unused:UNUSED_PAD src0_sel:DWORD src1_sel:WORD_1
	v_and_b32_e32 v28, 0x80000000, v28
	v_or3_b32 v63, v82, v28, v83
.LBB356_680:                            ;   in Loop: Header=BB356_13 Depth=1
	s_or_b32 exec_lo, exec_lo, s26
.LBB356_681:                            ;   in Loop: Header=BB356_13 Depth=1
	s_or_b32 exec_lo, exec_lo, s25
.LBB356_682:                            ;   in Loop: Header=BB356_13 Depth=1
	s_or_b32 exec_lo, exec_lo, s24
	s_mov_b32 s24, exec_lo
	v_cmpx_lt_u32_e32 0xffffff, v74
	s_cbranch_execz .LBB356_690
; %bb.683:                              ;   in Loop: Header=BB356_13 Depth=1
	v_cmp_ne_u32_sdwa s6, v74, v42 src0_sel:BYTE_3 src1_sel:DWORD
	v_bfrev_b32_e32 v61, 1
	s_and_saveexec_b32 s25, s6
	s_cbranch_execz .LBB356_689
; %bb.684:                              ;   in Loop: Header=BB356_13 Depth=1
	v_bfe_u32 v82, v74, 24, 7
	v_mov_b32_e32 v61, 0x7f800001
	s_mov_b32 s26, exec_lo
	v_cmpx_ne_u32_e32 0x7f, v82
	s_cbranch_execz .LBB356_688
; %bb.685:                              ;   in Loop: Header=BB356_13 Depth=1
	v_mov_b32_e32 v28, 7
	v_lshrrev_b32_e32 v61, 3, v82
	v_cmp_gt_u32_e64 s6, 8, v82
	v_and_b32_sdwa v28, v74, v28 dst_sel:DWORD dst_unused:UNUSED_PAD src0_sel:BYTE_3 src1_sel:DWORD
	v_mov_b32_e32 v83, v29
	v_mov_b32_e32 v82, v28
	s_and_saveexec_b32 s27, s6
; %bb.686:                              ;   in Loop: Header=BB356_13 Depth=1
	v_ffbh_u32_e32 v82, v28
	v_min_u32_e32 v61, 32, v82
	v_subrev_nc_u32_e32 v82, 28, v61
	v_sub_nc_u32_e32 v61, 29, v61
	v_lshlrev_b64 v[82:83], v82, v[28:29]
	v_and_b32_e32 v82, 7, v82
; %bb.687:                              ;   in Loop: Header=BB356_13 Depth=1
	s_or_b32 exec_lo, exec_lo, s27
	v_mov_b32_e32 v28, 24
	v_lshlrev_b32_e32 v82, 20, v82
	v_lshl_add_u32 v83, v61, 23, 0x3c000000
	v_lshlrev_b32_sdwa v28, v28, v74 dst_sel:DWORD dst_unused:UNUSED_PAD src0_sel:DWORD src1_sel:BYTE_3
	v_and_b32_e32 v28, 0x80000000, v28
	v_or3_b32 v61, v82, v28, v83
.LBB356_688:                            ;   in Loop: Header=BB356_13 Depth=1
	s_or_b32 exec_lo, exec_lo, s26
.LBB356_689:                            ;   in Loop: Header=BB356_13 Depth=1
	s_or_b32 exec_lo, exec_lo, s25
.LBB356_690:                            ;   in Loop: Header=BB356_13 Depth=1
	s_or_b32 exec_lo, exec_lo, s24
	buffer_load_dword v28, off, s[0:3], s32 offset:240 ; 4-byte Folded Reload
	s_waitcnt vmcnt(0)
	v_add_co_u32 v82, s6, v72, v28
	v_add_co_ci_u32_e64 v83, null, 0, v73, s6
	v_mov_b32_e32 v73, 0
	v_mov_b32_e32 v72, 0
	flat_load_dword v76, v[82:83]
	s_waitcnt vmcnt(0) lgkmcnt(0)
	v_cmp_ne_u16_sdwa s6, v76, v29 src0_sel:BYTE_0 src1_sel:DWORD
	s_and_saveexec_b32 s24, s6
	s_cbranch_execz .LBB356_698
; %bb.691:                              ;   in Loop: Header=BB356_13 Depth=1
	v_cmp_ne_u16_sdwa s6, v76, v42 src0_sel:BYTE_0 src1_sel:DWORD
	v_bfrev_b32_e32 v72, 1
	s_and_saveexec_b32 s25, s6
	s_cbranch_execz .LBB356_697
; %bb.692:                              ;   in Loop: Header=BB356_13 Depth=1
	v_and_b32_e32 v82, 0x7f, v76
	v_mov_b32_e32 v72, 0x7f800001
	s_mov_b32 s26, exec_lo
	v_cmpx_ne_u32_e32 0x7f, v82
	s_cbranch_execz .LBB356_696
; %bb.693:                              ;   in Loop: Header=BB356_13 Depth=1
	v_and_b32_e32 v28, 7, v76
	v_lshrrev_b32_e32 v72, 3, v82
	v_cmp_gt_u32_e64 s6, 8, v82
	v_mov_b32_e32 v83, v29
	v_mov_b32_e32 v82, v28
	s_and_saveexec_b32 s27, s6
; %bb.694:                              ;   in Loop: Header=BB356_13 Depth=1
	v_ffbh_u32_e32 v82, v28
	v_min_u32_e32 v72, 32, v82
	v_subrev_nc_u32_e32 v82, 28, v72
	v_sub_nc_u32_e32 v72, 29, v72
	v_lshlrev_b64 v[82:83], v82, v[28:29]
	v_and_b32_e32 v82, 7, v82
; %bb.695:                              ;   in Loop: Header=BB356_13 Depth=1
	s_or_b32 exec_lo, exec_lo, s27
	v_lshlrev_b32_e32 v28, 24, v76
	v_lshlrev_b32_e32 v82, 20, v82
	v_lshl_add_u32 v83, v72, 23, 0x3c000000
	v_and_b32_e32 v28, 0x80000000, v28
	v_or3_b32 v72, v82, v28, v83
.LBB356_696:                            ;   in Loop: Header=BB356_13 Depth=1
	s_or_b32 exec_lo, exec_lo, s26
.LBB356_697:                            ;   in Loop: Header=BB356_13 Depth=1
	s_or_b32 exec_lo, exec_lo, s25
.LBB356_698:                            ;   in Loop: Header=BB356_13 Depth=1
	s_or_b32 exec_lo, exec_lo, s24
	v_cmp_ne_u16_sdwa s6, v76, v29 src0_sel:BYTE_1 src1_sel:DWORD
	s_and_saveexec_b32 s24, s6
	s_cbranch_execz .LBB356_706
; %bb.699:                              ;   in Loop: Header=BB356_13 Depth=1
	v_cmp_ne_u16_sdwa s6, v76, v42 src0_sel:BYTE_1 src1_sel:DWORD
	v_bfrev_b32_e32 v73, 1
	s_and_saveexec_b32 s25, s6
	s_cbranch_execz .LBB356_705
; %bb.700:                              ;   in Loop: Header=BB356_13 Depth=1
	v_mov_b32_e32 v28, 0xffff
	v_mov_b32_e32 v73, 0x7f800001
	s_mov_b32 s26, exec_lo
	v_and_b32_sdwa v28, v28, v76 dst_sel:DWORD dst_unused:UNUSED_PAD src0_sel:DWORD src1_sel:BYTE_1
	v_and_b32_e32 v74, 0x7f, v28
	v_cmpx_ne_u32_e32 0x7f, v74
	s_cbranch_execz .LBB356_704
; %bb.701:                              ;   in Loop: Header=BB356_13 Depth=1
	v_and_b32_e32 v28, 7, v28
	v_mov_b32_e32 v83, v29
	v_lshrrev_b32_e32 v83, 3, v74
	s_mov_b32 s27, exec_lo
	v_mov_b32_e32 v82, v28
	v_cmpx_gt_u32_e32 8, v74
; %bb.702:                              ;   in Loop: Header=BB356_13 Depth=1
	v_ffbh_u32_e32 v82, v28
	v_min_u32_e32 v73, 32, v82
	v_subrev_nc_u32_e32 v82, 28, v73
	v_lshlrev_b64 v[82:83], v82, v[28:29]
	v_sub_nc_u32_e32 v83, 29, v73
	v_and_b32_e32 v82, 7, v82
; %bb.703:                              ;   in Loop: Header=BB356_13 Depth=1
	s_or_b32 exec_lo, exec_lo, s27
	v_lshlrev_b32_e32 v28, 16, v76
	v_lshlrev_b32_e32 v82, 20, v82
	v_lshl_add_u32 v83, v83, 23, 0x3c000000
	v_and_b32_e32 v28, 0x80000000, v28
	v_or3_b32 v73, v82, v28, v83
.LBB356_704:                            ;   in Loop: Header=BB356_13 Depth=1
	s_or_b32 exec_lo, exec_lo, s26
.LBB356_705:                            ;   in Loop: Header=BB356_13 Depth=1
	s_or_b32 exec_lo, exec_lo, s25
.LBB356_706:                            ;   in Loop: Header=BB356_13 Depth=1
	s_or_b32 exec_lo, exec_lo, s24
	v_and_b32_sdwa v28, v76, v56 dst_sel:DWORD dst_unused:UNUSED_PAD src0_sel:WORD_1 src1_sel:DWORD
	v_mov_b32_e32 v74, 0
	v_mov_b32_e32 v75, 0
	s_mov_b32 s24, exec_lo
	v_cmpx_ne_u16_e32 0, v28
	s_cbranch_execz .LBB356_714
; %bb.707:                              ;   in Loop: Header=BB356_13 Depth=1
	v_bfrev_b32_e32 v75, 1
	s_mov_b32 s25, exec_lo
	v_cmpx_ne_u16_e32 0x80, v28
	s_cbranch_execz .LBB356_713
; %bb.708:                              ;   in Loop: Header=BB356_13 Depth=1
	v_bfe_u32 v77, v76, 16, 7
	v_mov_b32_e32 v75, 0x7f800001
	s_mov_b32 s26, exec_lo
	v_cmpx_ne_u32_e32 0x7f, v77
	s_cbranch_execz .LBB356_712
; %bb.709:                              ;   in Loop: Header=BB356_13 Depth=1
	v_mov_b32_e32 v28, 7
	s_mov_b32 s27, exec_lo
	v_and_b32_sdwa v28, v76, v28 dst_sel:DWORD dst_unused:UNUSED_PAD src0_sel:WORD_1 src1_sel:DWORD
	v_mov_b32_e32 v83, v29
	v_lshrrev_b32_e32 v83, 3, v77
	v_mov_b32_e32 v82, v28
	v_cmpx_gt_u32_e32 8, v77
; %bb.710:                              ;   in Loop: Header=BB356_13 Depth=1
	v_ffbh_u32_e32 v82, v28
	v_min_u32_e32 v75, 32, v82
	v_subrev_nc_u32_e32 v82, 28, v75
	v_lshlrev_b64 v[82:83], v82, v[28:29]
	v_sub_nc_u32_e32 v83, 29, v75
	v_and_b32_e32 v82, 7, v82
; %bb.711:                              ;   in Loop: Header=BB356_13 Depth=1
	s_or_b32 exec_lo, exec_lo, s27
	v_mov_b32_e32 v28, 24
	v_lshlrev_b32_e32 v82, 20, v82
	v_lshl_add_u32 v83, v83, 23, 0x3c000000
	v_lshlrev_b32_sdwa v28, v28, v76 dst_sel:DWORD dst_unused:UNUSED_PAD src0_sel:DWORD src1_sel:WORD_1
	v_and_b32_e32 v28, 0x80000000, v28
	v_or3_b32 v75, v82, v28, v83
.LBB356_712:                            ;   in Loop: Header=BB356_13 Depth=1
	s_or_b32 exec_lo, exec_lo, s26
.LBB356_713:                            ;   in Loop: Header=BB356_13 Depth=1
	s_or_b32 exec_lo, exec_lo, s25
.LBB356_714:                            ;   in Loop: Header=BB356_13 Depth=1
	s_or_b32 exec_lo, exec_lo, s24
	s_mov_b32 s24, exec_lo
	v_cmpx_lt_u32_e32 0xffffff, v76
	s_cbranch_execz .LBB356_722
; %bb.715:                              ;   in Loop: Header=BB356_13 Depth=1
	v_cmp_ne_u32_sdwa s6, v76, v42 src0_sel:BYTE_3 src1_sel:DWORD
	v_bfrev_b32_e32 v74, 1
	s_and_saveexec_b32 s25, s6
	s_cbranch_execz .LBB356_721
; %bb.716:                              ;   in Loop: Header=BB356_13 Depth=1
	v_bfe_u32 v77, v76, 24, 7
	v_mov_b32_e32 v74, 0x7f800001
	s_mov_b32 s26, exec_lo
	v_cmpx_ne_u32_e32 0x7f, v77
	s_cbranch_execz .LBB356_720
; %bb.717:                              ;   in Loop: Header=BB356_13 Depth=1
	v_mov_b32_e32 v28, 7
	s_mov_b32 s27, exec_lo
	v_and_b32_sdwa v28, v76, v28 dst_sel:DWORD dst_unused:UNUSED_PAD src0_sel:BYTE_3 src1_sel:DWORD
	v_mov_b32_e32 v83, v29
	v_lshrrev_b32_e32 v83, 3, v77
	v_mov_b32_e32 v82, v28
	v_cmpx_gt_u32_e32 8, v77
; %bb.718:                              ;   in Loop: Header=BB356_13 Depth=1
	v_ffbh_u32_e32 v82, v28
	v_min_u32_e32 v74, 32, v82
	v_subrev_nc_u32_e32 v82, 28, v74
	v_lshlrev_b64 v[82:83], v82, v[28:29]
	v_sub_nc_u32_e32 v83, 29, v74
	v_and_b32_e32 v82, 7, v82
; %bb.719:                              ;   in Loop: Header=BB356_13 Depth=1
	s_or_b32 exec_lo, exec_lo, s27
	v_mov_b32_e32 v28, 24
	v_lshlrev_b32_e32 v82, 20, v82
	v_lshl_add_u32 v83, v83, 23, 0x3c000000
	v_lshlrev_b32_sdwa v28, v28, v76 dst_sel:DWORD dst_unused:UNUSED_PAD src0_sel:DWORD src1_sel:BYTE_3
	v_and_b32_e32 v28, 0x80000000, v28
	v_or3_b32 v74, v82, v28, v83
.LBB356_720:                            ;   in Loop: Header=BB356_13 Depth=1
	s_or_b32 exec_lo, exec_lo, s26
.LBB356_721:                            ;   in Loop: Header=BB356_13 Depth=1
	s_or_b32 exec_lo, exec_lo, s25
.LBB356_722:                            ;   in Loop: Header=BB356_13 Depth=1
	s_or_b32 exec_lo, exec_lo, s24
	buffer_load_dword v28, off, s[0:3], s32 offset:208 ; 4-byte Folded Reload
	v_add_co_u32 v82, s6, 0xb00, v80
	v_add_co_ci_u32_e64 v77, null, 0, v81, s6
	v_mov_b32_e32 v76, 0
	v_mov_b32_e32 v83, 0
	s_waitcnt vmcnt(0)
	v_add_co_u32 v80, s6, v82, v28
	v_add_co_ci_u32_e64 v81, null, 0, v77, s6
	flat_load_dword v88, v[80:81]
	s_waitcnt vmcnt(0) lgkmcnt(0)
	v_cmp_ne_u16_sdwa s6, v88, v29 src0_sel:BYTE_0 src1_sel:DWORD
	s_and_saveexec_b32 s24, s6
	s_cbranch_execz .LBB356_730
; %bb.723:                              ;   in Loop: Header=BB356_13 Depth=1
	v_cmp_ne_u16_sdwa s6, v88, v42 src0_sel:BYTE_0 src1_sel:DWORD
	v_bfrev_b32_e32 v83, 1
	s_and_saveexec_b32 s25, s6
	s_cbranch_execz .LBB356_729
; %bb.724:                              ;   in Loop: Header=BB356_13 Depth=1
	v_and_b32_e32 v78, 0x7f, v88
	v_mov_b32_e32 v83, 0x7f800001
	s_mov_b32 s26, exec_lo
	v_cmpx_ne_u32_e32 0x7f, v78
	s_cbranch_execz .LBB356_728
; %bb.725:                              ;   in Loop: Header=BB356_13 Depth=1
	v_and_b32_e32 v28, 7, v88
	v_mov_b32_e32 v81, v29
	v_lshrrev_b32_e32 v81, 3, v78
	s_mov_b32 s27, exec_lo
	v_mov_b32_e32 v80, v28
	v_cmpx_gt_u32_e32 8, v78
; %bb.726:                              ;   in Loop: Header=BB356_13 Depth=1
	v_ffbh_u32_e32 v80, v28
	v_min_u32_e32 v83, 32, v80
	v_subrev_nc_u32_e32 v80, 28, v83
	v_lshlrev_b64 v[80:81], v80, v[28:29]
	v_sub_nc_u32_e32 v81, 29, v83
	v_and_b32_e32 v80, 7, v80
; %bb.727:                              ;   in Loop: Header=BB356_13 Depth=1
	s_or_b32 exec_lo, exec_lo, s27
	v_lshlrev_b32_e32 v28, 24, v88
	v_lshlrev_b32_e32 v80, 20, v80
	v_lshl_add_u32 v81, v81, 23, 0x3c000000
	v_and_b32_e32 v28, 0x80000000, v28
	v_or3_b32 v83, v80, v28, v81
.LBB356_728:                            ;   in Loop: Header=BB356_13 Depth=1
	s_or_b32 exec_lo, exec_lo, s26
.LBB356_729:                            ;   in Loop: Header=BB356_13 Depth=1
	s_or_b32 exec_lo, exec_lo, s25
.LBB356_730:                            ;   in Loop: Header=BB356_13 Depth=1
	s_or_b32 exec_lo, exec_lo, s24
	v_cmp_ne_u16_sdwa s6, v88, v29 src0_sel:BYTE_1 src1_sel:DWORD
	s_and_saveexec_b32 s24, s6
	s_cbranch_execz .LBB356_738
; %bb.731:                              ;   in Loop: Header=BB356_13 Depth=1
	v_cmp_ne_u16_sdwa s6, v88, v42 src0_sel:BYTE_1 src1_sel:DWORD
	v_bfrev_b32_e32 v76, 1
	s_and_saveexec_b32 s25, s6
	s_cbranch_execz .LBB356_737
; %bb.732:                              ;   in Loop: Header=BB356_13 Depth=1
	v_mov_b32_e32 v28, 0xffff
	v_mov_b32_e32 v76, 0x7f800001
	s_mov_b32 s26, exec_lo
	v_and_b32_sdwa v28, v28, v88 dst_sel:DWORD dst_unused:UNUSED_PAD src0_sel:DWORD src1_sel:BYTE_1
	v_and_b32_e32 v78, 0x7f, v28
	v_cmpx_ne_u32_e32 0x7f, v78
	s_cbranch_execz .LBB356_736
; %bb.733:                              ;   in Loop: Header=BB356_13 Depth=1
	v_and_b32_e32 v28, 7, v28
	v_mov_b32_e32 v81, v29
	v_lshrrev_b32_e32 v81, 3, v78
	s_mov_b32 s27, exec_lo
	v_mov_b32_e32 v80, v28
	v_cmpx_gt_u32_e32 8, v78
; %bb.734:                              ;   in Loop: Header=BB356_13 Depth=1
	v_ffbh_u32_e32 v80, v28
	v_min_u32_e32 v76, 32, v80
	v_subrev_nc_u32_e32 v80, 28, v76
	v_lshlrev_b64 v[80:81], v80, v[28:29]
	v_sub_nc_u32_e32 v81, 29, v76
	v_and_b32_e32 v80, 7, v80
; %bb.735:                              ;   in Loop: Header=BB356_13 Depth=1
	s_or_b32 exec_lo, exec_lo, s27
	v_lshlrev_b32_e32 v28, 16, v88
	v_lshlrev_b32_e32 v80, 20, v80
	v_lshl_add_u32 v81, v81, 23, 0x3c000000
	v_and_b32_e32 v28, 0x80000000, v28
	v_or3_b32 v76, v80, v28, v81
.LBB356_736:                            ;   in Loop: Header=BB356_13 Depth=1
	s_or_b32 exec_lo, exec_lo, s26
.LBB356_737:                            ;   in Loop: Header=BB356_13 Depth=1
	s_or_b32 exec_lo, exec_lo, s25
.LBB356_738:                            ;   in Loop: Header=BB356_13 Depth=1
	s_or_b32 exec_lo, exec_lo, s24
	v_and_b32_sdwa v28, v88, v56 dst_sel:DWORD dst_unused:UNUSED_PAD src0_sel:WORD_1 src1_sel:DWORD
	v_mov_b32_e32 v78, 0
	v_mov_b32_e32 v79, 0
	s_mov_b32 s24, exec_lo
	v_cmpx_ne_u16_e32 0, v28
	s_cbranch_execz .LBB356_746
; %bb.739:                              ;   in Loop: Header=BB356_13 Depth=1
	v_bfrev_b32_e32 v79, 1
	s_mov_b32 s25, exec_lo
	v_cmpx_ne_u16_e32 0x80, v28
	s_cbranch_execz .LBB356_745
; %bb.740:                              ;   in Loop: Header=BB356_13 Depth=1
	v_bfe_u32 v89, v88, 16, 7
	v_mov_b32_e32 v79, 0x7f800001
	s_mov_b32 s26, exec_lo
	v_cmpx_ne_u32_e32 0x7f, v89
	s_cbranch_execz .LBB356_744
; %bb.741:                              ;   in Loop: Header=BB356_13 Depth=1
	v_mov_b32_e32 v28, 7
	s_mov_b32 s27, exec_lo
	v_and_b32_sdwa v28, v88, v28 dst_sel:DWORD dst_unused:UNUSED_PAD src0_sel:WORD_1 src1_sel:DWORD
	v_mov_b32_e32 v81, v29
	v_lshrrev_b32_e32 v81, 3, v89
	v_mov_b32_e32 v80, v28
	v_cmpx_gt_u32_e32 8, v89
; %bb.742:                              ;   in Loop: Header=BB356_13 Depth=1
	v_ffbh_u32_e32 v80, v28
	v_min_u32_e32 v79, 32, v80
	v_subrev_nc_u32_e32 v80, 28, v79
	v_lshlrev_b64 v[80:81], v80, v[28:29]
	v_sub_nc_u32_e32 v81, 29, v79
	v_and_b32_e32 v80, 7, v80
; %bb.743:                              ;   in Loop: Header=BB356_13 Depth=1
	s_or_b32 exec_lo, exec_lo, s27
	v_mov_b32_e32 v28, 24
	v_lshlrev_b32_e32 v80, 20, v80
	v_lshl_add_u32 v81, v81, 23, 0x3c000000
	v_lshlrev_b32_sdwa v28, v28, v88 dst_sel:DWORD dst_unused:UNUSED_PAD src0_sel:DWORD src1_sel:WORD_1
	v_and_b32_e32 v28, 0x80000000, v28
	v_or3_b32 v79, v80, v28, v81
.LBB356_744:                            ;   in Loop: Header=BB356_13 Depth=1
	s_or_b32 exec_lo, exec_lo, s26
.LBB356_745:                            ;   in Loop: Header=BB356_13 Depth=1
	s_or_b32 exec_lo, exec_lo, s25
.LBB356_746:                            ;   in Loop: Header=BB356_13 Depth=1
	s_or_b32 exec_lo, exec_lo, s24
	s_mov_b32 s24, exec_lo
	v_cmpx_lt_u32_e32 0xffffff, v88
	s_cbranch_execz .LBB356_754
; %bb.747:                              ;   in Loop: Header=BB356_13 Depth=1
	v_cmp_ne_u32_sdwa s6, v88, v42 src0_sel:BYTE_3 src1_sel:DWORD
	v_bfrev_b32_e32 v78, 1
	s_and_saveexec_b32 s25, s6
	s_cbranch_execz .LBB356_753
; %bb.748:                              ;   in Loop: Header=BB356_13 Depth=1
	v_bfe_u32 v89, v88, 24, 7
	v_mov_b32_e32 v78, 0x7f800001
	s_mov_b32 s26, exec_lo
	v_cmpx_ne_u32_e32 0x7f, v89
	s_cbranch_execz .LBB356_752
; %bb.749:                              ;   in Loop: Header=BB356_13 Depth=1
	v_mov_b32_e32 v28, 7
	s_mov_b32 s27, exec_lo
	v_and_b32_sdwa v28, v88, v28 dst_sel:DWORD dst_unused:UNUSED_PAD src0_sel:BYTE_3 src1_sel:DWORD
	v_mov_b32_e32 v81, v29
	v_lshrrev_b32_e32 v81, 3, v89
	v_mov_b32_e32 v80, v28
	v_cmpx_gt_u32_e32 8, v89
; %bb.750:                              ;   in Loop: Header=BB356_13 Depth=1
	v_ffbh_u32_e32 v80, v28
	v_min_u32_e32 v78, 32, v80
	v_subrev_nc_u32_e32 v80, 28, v78
	v_lshlrev_b64 v[80:81], v80, v[28:29]
	v_sub_nc_u32_e32 v81, 29, v78
	v_and_b32_e32 v80, 7, v80
; %bb.751:                              ;   in Loop: Header=BB356_13 Depth=1
	s_or_b32 exec_lo, exec_lo, s27
	v_mov_b32_e32 v28, 24
	v_lshlrev_b32_e32 v80, 20, v80
	v_lshl_add_u32 v81, v81, 23, 0x3c000000
	v_lshlrev_b32_sdwa v28, v28, v88 dst_sel:DWORD dst_unused:UNUSED_PAD src0_sel:DWORD src1_sel:BYTE_3
	v_and_b32_e32 v28, 0x80000000, v28
	v_or3_b32 v78, v80, v28, v81
.LBB356_752:                            ;   in Loop: Header=BB356_13 Depth=1
	s_or_b32 exec_lo, exec_lo, s26
.LBB356_753:                            ;   in Loop: Header=BB356_13 Depth=1
	s_or_b32 exec_lo, exec_lo, s25
.LBB356_754:                            ;   in Loop: Header=BB356_13 Depth=1
	s_or_b32 exec_lo, exec_lo, s24
	buffer_load_dword v28, off, s[0:3], s32 offset:240 ; 4-byte Folded Reload
	v_mov_b32_e32 v89, 0
	v_mov_b32_e32 v88, 0
	s_waitcnt vmcnt(0)
	v_add_co_u32 v80, s6, v82, v28
	v_add_co_ci_u32_e64 v81, null, 0, v77, s6
	flat_load_dword v90, v[80:81]
	s_waitcnt vmcnt(0) lgkmcnt(0)
	v_cmp_ne_u16_sdwa s6, v90, v29 src0_sel:BYTE_0 src1_sel:DWORD
	s_and_saveexec_b32 s24, s6
	s_cbranch_execz .LBB356_762
; %bb.755:                              ;   in Loop: Header=BB356_13 Depth=1
	v_cmp_ne_u16_sdwa s6, v90, v42 src0_sel:BYTE_0 src1_sel:DWORD
	v_bfrev_b32_e32 v88, 1
	s_and_saveexec_b32 s25, s6
	s_cbranch_execz .LBB356_761
; %bb.756:                              ;   in Loop: Header=BB356_13 Depth=1
	v_and_b32_e32 v82, 0x7f, v90
	v_mov_b32_e32 v88, 0x7f800001
	s_mov_b32 s26, exec_lo
	v_cmpx_ne_u32_e32 0x7f, v82
	s_cbranch_execz .LBB356_760
; %bb.757:                              ;   in Loop: Header=BB356_13 Depth=1
	v_and_b32_e32 v28, 7, v90
	v_mov_b32_e32 v81, v29
	v_lshrrev_b32_e32 v81, 3, v82
	s_mov_b32 s27, exec_lo
	v_mov_b32_e32 v80, v28
	v_cmpx_gt_u32_e32 8, v82
; %bb.758:                              ;   in Loop: Header=BB356_13 Depth=1
	v_ffbh_u32_e32 v80, v28
	v_min_u32_e32 v82, 32, v80
	v_subrev_nc_u32_e32 v80, 28, v82
	v_lshlrev_b64 v[80:81], v80, v[28:29]
	v_sub_nc_u32_e32 v81, 29, v82
	v_and_b32_e32 v80, 7, v80
; %bb.759:                              ;   in Loop: Header=BB356_13 Depth=1
	s_or_b32 exec_lo, exec_lo, s27
	v_lshlrev_b32_e32 v28, 24, v90
	v_lshlrev_b32_e32 v80, 20, v80
	v_lshl_add_u32 v81, v81, 23, 0x3c000000
	v_and_b32_e32 v28, 0x80000000, v28
	v_or3_b32 v88, v80, v28, v81
.LBB356_760:                            ;   in Loop: Header=BB356_13 Depth=1
	s_or_b32 exec_lo, exec_lo, s26
.LBB356_761:                            ;   in Loop: Header=BB356_13 Depth=1
	s_or_b32 exec_lo, exec_lo, s25
.LBB356_762:                            ;   in Loop: Header=BB356_13 Depth=1
	s_or_b32 exec_lo, exec_lo, s24
	v_cmp_ne_u16_sdwa s6, v90, v29 src0_sel:BYTE_1 src1_sel:DWORD
	s_and_saveexec_b32 s24, s6
	s_cbranch_execz .LBB356_770
; %bb.763:                              ;   in Loop: Header=BB356_13 Depth=1
	v_cmp_ne_u16_sdwa s6, v90, v42 src0_sel:BYTE_1 src1_sel:DWORD
	v_bfrev_b32_e32 v89, 1
	s_and_saveexec_b32 s25, s6
	s_cbranch_execz .LBB356_769
; %bb.764:                              ;   in Loop: Header=BB356_13 Depth=1
	v_mov_b32_e32 v28, 0xffff
	v_mov_b32_e32 v89, 0x7f800001
	s_mov_b32 s26, exec_lo
	v_and_b32_sdwa v28, v28, v90 dst_sel:DWORD dst_unused:UNUSED_PAD src0_sel:DWORD src1_sel:BYTE_1
	v_and_b32_e32 v82, 0x7f, v28
	v_cmpx_ne_u32_e32 0x7f, v82
	s_cbranch_execz .LBB356_768
; %bb.765:                              ;   in Loop: Header=BB356_13 Depth=1
	v_and_b32_e32 v28, 7, v28
	v_mov_b32_e32 v81, v29
	v_lshrrev_b32_e32 v81, 3, v82
	s_mov_b32 s27, exec_lo
	v_mov_b32_e32 v80, v28
	v_cmpx_gt_u32_e32 8, v82
; %bb.766:                              ;   in Loop: Header=BB356_13 Depth=1
	v_ffbh_u32_e32 v80, v28
	v_min_u32_e32 v82, 32, v80
	v_subrev_nc_u32_e32 v80, 28, v82
	v_lshlrev_b64 v[80:81], v80, v[28:29]
	v_sub_nc_u32_e32 v81, 29, v82
	v_and_b32_e32 v80, 7, v80
; %bb.767:                              ;   in Loop: Header=BB356_13 Depth=1
	s_or_b32 exec_lo, exec_lo, s27
	v_lshlrev_b32_e32 v28, 16, v90
	v_lshlrev_b32_e32 v80, 20, v80
	v_lshl_add_u32 v81, v81, 23, 0x3c000000
	v_and_b32_e32 v28, 0x80000000, v28
	v_or3_b32 v89, v80, v28, v81
.LBB356_768:                            ;   in Loop: Header=BB356_13 Depth=1
	s_or_b32 exec_lo, exec_lo, s26
.LBB356_769:                            ;   in Loop: Header=BB356_13 Depth=1
	s_or_b32 exec_lo, exec_lo, s25
.LBB356_770:                            ;   in Loop: Header=BB356_13 Depth=1
	s_or_b32 exec_lo, exec_lo, s24
	v_and_b32_sdwa v28, v90, v56 dst_sel:DWORD dst_unused:UNUSED_PAD src0_sel:WORD_1 src1_sel:DWORD
	v_mov_b32_e32 v82, 0
	v_mov_b32_e32 v77, 0
	s_mov_b32 s24, exec_lo
	v_cmpx_ne_u16_e32 0, v28
	s_cbranch_execz .LBB356_778
; %bb.771:                              ;   in Loop: Header=BB356_13 Depth=1
	v_bfrev_b32_e32 v77, 1
	s_mov_b32 s25, exec_lo
	v_cmpx_ne_u16_e32 0x80, v28
	s_cbranch_execz .LBB356_777
; %bb.772:                              ;   in Loop: Header=BB356_13 Depth=1
	v_mov_b32_e32 v13, v91
	v_bfe_u32 v91, v90, 16, 7
	v_mov_b32_e32 v77, 0x7f800001
	s_mov_b32 s26, exec_lo
	v_cmpx_ne_u32_e32 0x7f, v91
	s_cbranch_execz .LBB356_776
; %bb.773:                              ;   in Loop: Header=BB356_13 Depth=1
	v_mov_b32_e32 v28, 7
	s_mov_b32 s27, exec_lo
	v_and_b32_sdwa v28, v90, v28 dst_sel:DWORD dst_unused:UNUSED_PAD src0_sel:WORD_1 src1_sel:DWORD
	v_mov_b32_e32 v81, v29
	v_lshrrev_b32_e32 v81, 3, v91
	v_mov_b32_e32 v80, v28
	v_cmpx_gt_u32_e32 8, v91
; %bb.774:                              ;   in Loop: Header=BB356_13 Depth=1
	v_ffbh_u32_e32 v80, v28
	v_min_u32_e32 v77, 32, v80
	v_subrev_nc_u32_e32 v80, 28, v77
	v_lshlrev_b64 v[80:81], v80, v[28:29]
	v_sub_nc_u32_e32 v81, 29, v77
	v_and_b32_e32 v80, 7, v80
; %bb.775:                              ;   in Loop: Header=BB356_13 Depth=1
	s_or_b32 exec_lo, exec_lo, s27
	v_mov_b32_e32 v28, 24
	v_lshlrev_b32_e32 v80, 20, v80
	v_lshl_add_u32 v81, v81, 23, 0x3c000000
	v_lshlrev_b32_sdwa v28, v28, v90 dst_sel:DWORD dst_unused:UNUSED_PAD src0_sel:DWORD src1_sel:WORD_1
	v_and_b32_e32 v28, 0x80000000, v28
	v_or3_b32 v77, v80, v28, v81
.LBB356_776:                            ;   in Loop: Header=BB356_13 Depth=1
	s_or_b32 exec_lo, exec_lo, s26
	v_mov_b32_e32 v91, v13
.LBB356_777:                            ;   in Loop: Header=BB356_13 Depth=1
	s_or_b32 exec_lo, exec_lo, s25
.LBB356_778:                            ;   in Loop: Header=BB356_13 Depth=1
	s_or_b32 exec_lo, exec_lo, s24
	v_mov_b32_e32 v13, v91
	buffer_store_dword v100, off, s[0:3], s32 offset:388 ; 4-byte Folded Spill
	v_mov_b32_e32 v100, v127
	v_mov_b32_e32 v58, v126
	buffer_store_dword v69, off, s[0:3], s32 offset:384 ; 4-byte Folded Spill
	buffer_store_dword v68, off, s[0:3], s32 offset:380 ; 4-byte Folded Spill
	v_mov_b32_e32 v57, v125
	v_mov_b32_e32 v43, v124
	buffer_store_dword v30, off, s[0:3], s32 offset:376 ; 4-byte Folded Spill
	;; [unrolled: 4-line block ×3, first 2 shown]
	buffer_store_dword v14, off, s[0:3], s32 offset:364 ; 4-byte Folded Spill
	v_mov_b32_e32 v44, v121
	v_mov_b32_e32 v101, v120
	;; [unrolled: 1-line block ×4, first 2 shown]
	buffer_store_dword v0, off, s[0:3], s32 offset:360 ; 4-byte Folded Spill
	buffer_store_dword v1, off, s[0:3], s32 offset:356 ; 4-byte Folded Spill
	v_mov_b32_e32 v20, v110
	buffer_store_dword v84, off, s[0:3], s32 offset:352 ; 4-byte Folded Spill
	buffer_store_dword v25, off, s[0:3], s32 offset:348 ; 4-byte Folded Spill
	v_mov_b32_e32 v25, v109
	;; [unrolled: 3-line block ×4, first 2 shown]
	buffer_store_dword v2, off, s[0:3], s32 offset:336 ; 4-byte Folded Spill
	v_mov_b32_e32 v68, v86
	v_mov_b32_e32 v86, v106
	;; [unrolled: 1-line block ×18, first 2 shown]
	s_mov_b32 s24, exec_lo
	v_cmpx_lt_u32_e32 0xffffff, v90
	s_cbranch_execz .LBB356_786
; %bb.779:                              ;   in Loop: Header=BB356_13 Depth=1
	v_cmp_ne_u32_sdwa s6, v90, v42 src0_sel:BYTE_3 src1_sel:DWORD
	v_bfrev_b32_e32 v82, 1
	s_and_saveexec_b32 s25, s6
	s_cbranch_execz .LBB356_785
; %bb.780:                              ;   in Loop: Header=BB356_13 Depth=1
	v_bfe_u32 v91, v90, 24, 7
	v_mov_b32_e32 v82, 0x7f800001
	s_mov_b32 s26, exec_lo
	v_cmpx_ne_u32_e32 0x7f, v91
	s_cbranch_execz .LBB356_784
; %bb.781:                              ;   in Loop: Header=BB356_13 Depth=1
	v_mov_b32_e32 v28, 7
	s_mov_b32 s27, exec_lo
	v_and_b32_sdwa v28, v90, v28 dst_sel:DWORD dst_unused:UNUSED_PAD src0_sel:BYTE_3 src1_sel:DWORD
	v_mov_b32_e32 v81, v29
	v_lshrrev_b32_e32 v81, 3, v91
	v_mov_b32_e32 v80, v28
	v_cmpx_gt_u32_e32 8, v91
; %bb.782:                              ;   in Loop: Header=BB356_13 Depth=1
	v_ffbh_u32_e32 v80, v28
	v_min_u32_e32 v82, 32, v80
	v_subrev_nc_u32_e32 v80, 28, v82
	v_lshlrev_b64 v[80:81], v80, v[28:29]
	v_sub_nc_u32_e32 v81, 29, v82
	v_and_b32_e32 v80, 7, v80
; %bb.783:                              ;   in Loop: Header=BB356_13 Depth=1
	s_or_b32 exec_lo, exec_lo, s27
	v_mov_b32_e32 v28, 24
	v_lshlrev_b32_e32 v80, 20, v80
	v_lshl_add_u32 v81, v81, 23, 0x3c000000
	v_lshlrev_b32_sdwa v28, v28, v90 dst_sel:DWORD dst_unused:UNUSED_PAD src0_sel:DWORD src1_sel:BYTE_3
	v_and_b32_e32 v28, 0x80000000, v28
	v_or3_b32 v82, v80, v28, v81
.LBB356_784:                            ;   in Loop: Header=BB356_13 Depth=1
	s_or_b32 exec_lo, exec_lo, s26
.LBB356_785:                            ;   in Loop: Header=BB356_13 Depth=1
	s_or_b32 exec_lo, exec_lo, s25
.LBB356_786:                            ;   in Loop: Header=BB356_13 Depth=1
	s_or_b32 exec_lo, exec_lo, s24
	v_lshlrev_b32_e32 v81, 16, v53
	v_lshlrev_b32_e32 v28, 16, v54
	;; [unrolled: 1-line block ×3, first 2 shown]
	v_and_b32_e32 v92, 0xffff0000, v53
	v_and_b32_e32 v116, 0xffff0000, v54
	;; [unrolled: 1-line block ×3, first 2 shown]
	v_lshlrev_b32_e32 v94, 16, v48
	v_lshlrev_b32_e32 v95, 16, v49
	;; [unrolled: 1-line block ×3, first 2 shown]
	v_and_b32_e32 v106, 0xffff0000, v48
	v_and_b32_e32 v107, 0xffff0000, v49
	;; [unrolled: 1-line block ×3, first 2 shown]
	v_lshlrev_b32_e32 v121, 16, v38
	v_and_b32_e32 v125, 0xffff0000, v38
	v_lshlrev_b32_e32 v39, 16, v33
	v_lshlrev_b32_e32 v54, 16, v34
	v_and_b32_e32 v55, 0xffff0000, v33
	v_and_b32_e32 v53, 0xffff0000, v34
	v_lshlrev_b32_e32 v50, 16, v17
	v_lshlrev_b32_e32 v48, 16, v18
	;; [unrolled: 1-line block ×3, first 2 shown]
	v_and_b32_e32 v49, 0xffff0000, v17
	v_and_b32_e32 v38, 0xffff0000, v18
	;; [unrolled: 1-line block ×3, first 2 shown]
	v_lshlrev_b32_e32 v19, 16, v7
	v_lshlrev_b32_e32 v17, 16, v8
	v_and_b32_e32 v18, 0xffff0000, v7
	v_and_b32_e32 v7, 0xffff0000, v8
	v_mul_f32_e32 v8, v60, v23
	v_lshlrev_b32_e32 v80, 16, v52
	v_and_b32_e32 v91, 0xffff0000, v52
	v_lshlrev_b32_e32 v105, 16, v51
	v_and_b32_e32 v109, 0xffff0000, v51
	v_lshlrev_b32_e32 v126, 16, v31
	v_lshlrev_b32_e32 v127, 16, v32
	v_and_b32_e32 v112, 0xffff0000, v31
	v_and_b32_e32 v103, 0xffff0000, v32
	v_lshlrev_b32_e32 v52, 16, v16
	v_and_b32_e32 v51, 0xffff0000, v16
	v_lshlrev_b32_e32 v32, 16, v6
	v_lshlrev_b32_e32 v16, 16, v9
	v_and_b32_e32 v31, 0xffff0000, v6
	v_and_b32_e32 v6, 0xffff0000, v9
	v_bfe_u32 v9, v8, 16, 1
	v_lshlrev_b32_e32 v110, 16, v35
	v_and_b32_e32 v122, 0xffff0000, v35
	v_or_b32_e32 v35, 0x400000, v8
	v_cmp_u_f32_e64 s6, v8, v8
	v_add3_u32 v9, v9, v8, 0x7fff
	v_lshlrev_b32_e32 v111, 16, v36
	v_and_b32_e32 v123, 0xffff0000, v36
	v_lshlrev_b32_e32 v120, 16, v37
	v_and_b32_e32 v124, 0xffff0000, v37
	v_cndmask_b32_e64 v8, v9, v35, s6
	v_mul_f32_e32 v9, v60, v5
	v_and_b32_e32 v8, 0xffff0000, v8
	v_bfe_u32 v35, v9, 16, 1
	v_or_b32_e32 v36, 0x400000, v9
	v_cmp_u_f32_e64 s6, v9, v9
	v_mul_f32_e32 v28, v28, v8
	v_add3_u32 v35, v35, v9, 0x7fff
	v_cndmask_b32_e64 v9, v35, v36, s6
	v_and_b32_e32 v8, 0xffff0000, v9
	v_fmac_f32_e32 v28, v80, v8
	v_mul_f32_e32 v8, v60, v87
	v_bfe_u32 v9, v8, 16, 1
	v_or_b32_e32 v35, 0x400000, v8
	v_cmp_u_f32_e64 s6, v8, v8
	v_add3_u32 v9, v9, v8, 0x7fff
	v_cndmask_b32_e64 v8, v9, v35, s6
	v_mul_f32_e32 v9, v60, v4
	v_mul_f32_e32 v4, v60, v41
	v_and_b32_e32 v8, 0xffff0000, v8
	v_bfe_u32 v35, v9, 16, 1
	v_or_b32_e32 v36, 0x400000, v9
	v_cmp_u_f32_e64 s6, v9, v9
	v_add3_u32 v35, v35, v9, 0x7fff
	v_cndmask_b32_e64 v9, v35, v36, s6
	v_mul_f32_e32 v35, v116, v8
	v_and_b32_e32 v8, 0xffff0000, v9
	v_fmac_f32_e32 v35, v91, v8
	v_mul_f32_e32 v8, v60, v85
	v_bfe_u32 v9, v8, 16, 1
	v_or_b32_e32 v36, 0x400000, v8
	v_cmp_u_f32_e64 s6, v8, v8
	v_add3_u32 v9, v9, v8, 0x7fff
	v_cndmask_b32_e64 v8, v9, v36, s6
	v_mul_f32_e32 v9, v60, v21
	v_and_b32_e32 v8, 0xffff0000, v8
	v_bfe_u32 v36, v9, 16, 1
	v_or_b32_e32 v37, 0x400000, v9
	v_cmp_u_f32_e64 s6, v9, v9
	v_add3_u32 v36, v36, v9, 0x7fff
	v_cndmask_b32_e64 v9, v36, v37, s6
	v_mul_f32_e32 v36, v90, v8
	v_and_b32_e32 v8, 0xffff0000, v9
	v_fmac_f32_e32 v36, v81, v8
	v_mul_f32_e32 v8, v60, v84
	v_bfe_u32 v9, v8, 16, 1
	v_or_b32_e32 v37, 0x400000, v8
	v_cmp_u_f32_e64 s6, v8, v8
	v_add3_u32 v9, v9, v8, 0x7fff
	v_cndmask_b32_e64 v8, v9, v37, s6
	;; [unrolled: 16-line block ×3, first 2 shown]
	v_and_b32_e32 v8, 0xffff0000, v8
	v_fmac_f32_e32 v28, v94, v8
	v_mul_f32_e32 v8, v60, v10
	v_bfe_u32 v9, v8, 16, 1
	v_or_b32_e32 v80, 0x400000, v8
	v_cmp_u_f32_e64 s6, v8, v8
	v_add3_u32 v9, v9, v8, 0x7fff
	v_cndmask_b32_e64 v8, v9, v80, s6
	v_and_b32_e32 v8, 0xffff0000, v8
	v_fmac_f32_e32 v35, v106, v8
	v_mul_f32_e32 v8, v60, v0
	buffer_load_dword v0, off, s[0:3], s32 offset:292 ; 4-byte Folded Reload
	v_bfe_u32 v9, v8, 16, 1
	v_or_b32_e32 v80, 0x400000, v8
	v_cmp_u_f32_e64 s6, v8, v8
	v_add3_u32 v9, v9, v8, 0x7fff
	v_cndmask_b32_e64 v8, v9, v80, s6
	v_and_b32_e32 v8, 0xffff0000, v8
	v_fmac_f32_e32 v36, v95, v8
	v_mul_f32_e32 v8, v60, v1
	buffer_load_dword v1, off, s[0:3], s32 offset:356 ; 4-byte Folded Reload
	v_bfe_u32 v9, v8, 16, 1
	v_or_b32_e32 v80, 0x400000, v8
	v_cmp_u_f32_e64 s6, v8, v8
	v_add3_u32 v9, v9, v8, 0x7fff
	v_cndmask_b32_e64 v8, v9, v80, s6
	v_and_b32_e32 v8, 0xffff0000, v8
	v_fmac_f32_e32 v37, v107, v8
	v_mul_f32_e32 v8, v60, v2
	v_mul_f32_e32 v2, v60, v47
	v_mov_b32_e32 v107, v26
	v_bfe_u32 v9, v8, 16, 1
	v_or_b32_e32 v80, 0x400000, v8
	v_cmp_u_f32_e64 s6, v8, v8
	v_add3_u32 v9, v9, v8, 0x7fff
	v_cndmask_b32_e64 v8, v9, v80, s6
	v_and_b32_e32 v8, 0xffff0000, v8
	v_fmac_f32_e32 v28, v104, v8
	v_mul_f32_e32 v8, v60, v3
	v_bfe_u32 v9, v8, 16, 1
	v_or_b32_e32 v80, 0x400000, v8
	v_cmp_u_f32_e64 s6, v8, v8
	v_add3_u32 v9, v9, v8, 0x7fff
	v_cndmask_b32_e64 v8, v9, v80, s6
	v_and_b32_e32 v8, 0xffff0000, v8
	v_fmac_f32_e32 v35, v108, v8
	v_mul_f32_e32 v8, v60, v66
	;; [unrolled: 8-line block ×7, first 2 shown]
	v_mul_f32_e32 v12, v60, v75
	v_bfe_u32 v9, v8, 16, 1
	v_or_b32_e32 v80, 0x400000, v8
	v_cmp_u_f32_e64 s6, v8, v8
	v_add3_u32 v9, v9, v8, 0x7fff
	v_cndmask_b32_e64 v8, v9, v80, s6
	v_and_b32_e32 v8, 0xffff0000, v8
	v_fmac_f32_e32 v37, v123, v8
	v_mul_f32_e32 v8, v60, v46
	v_bfe_u32 v9, v8, 16, 1
	v_or_b32_e32 v80, 0x400000, v8
	v_cmp_u_f32_e64 s6, v8, v8
	v_add3_u32 v9, v9, v8, 0x7fff
	v_cndmask_b32_e64 v8, v9, v80, s6
	v_and_b32_e32 v8, 0xffff0000, v8
	v_fmac_f32_e32 v28, v120, v8
	v_mul_f32_e32 v8, v60, v30
	v_bfe_u32 v9, v8, 16, 1
	v_or_b32_e32 v80, 0x400000, v8
	v_cmp_u_f32_e64 s6, v8, v8
	v_add3_u32 v9, v9, v8, 0x7fff
	v_cndmask_b32_e64 v8, v9, v80, s6
	v_and_b32_e32 v8, 0xffff0000, v8
	v_fmac_f32_e32 v35, v124, v8
	v_mul_f32_e32 v8, v60, v114
	v_bfe_u32 v9, v8, 16, 1
	v_or_b32_e32 v80, 0x400000, v8
	v_cmp_u_f32_e64 s6, v8, v8
	v_add3_u32 v9, v9, v8, 0x7fff
	v_cndmask_b32_e64 v8, v9, v80, s6
	v_and_b32_e32 v8, 0xffff0000, v8
	v_fmac_f32_e32 v36, v121, v8
	v_mul_f32_e32 v8, v60, v86
	v_mbcnt_lo_u32_b32 v86, -1, 0
	v_bfe_u32 v9, v8, 16, 1
	v_or_b32_e32 v80, 0x400000, v8
	v_cmp_u_f32_e64 s6, v8, v8
	s_waitcnt vmcnt(0)
	v_mul_f32_e32 v1, v60, v1
	v_add3_u32 v9, v9, v8, 0x7fff
	v_cndmask_b32_e64 v8, v9, v80, s6
	v_and_b32_e32 v8, 0xffff0000, v8
	v_fmac_f32_e32 v37, v125, v8
	v_mul_f32_e32 v8, v60, v65
	v_bfe_u32 v9, v8, 16, 1
	v_or_b32_e32 v80, 0x400000, v8
	v_cmp_u_f32_e64 s6, v8, v8
	v_add3_u32 v9, v9, v8, 0x7fff
	v_cndmask_b32_e64 v8, v9, v80, s6
	v_and_b32_e32 v8, 0xffff0000, v8
	v_fmac_f32_e32 v28, v126, v8
	v_mul_f32_e32 v8, v60, v68
	v_bfe_u32 v9, v8, 16, 1
	v_or_b32_e32 v80, 0x400000, v8
	v_cmp_u_f32_e64 s6, v8, v8
	;; [unrolled: 8-line block ×3, first 2 shown]
	v_add3_u32 v9, v9, v8, 0x7fff
	v_cndmask_b32_e64 v8, v9, v80, s6
	v_and_b32_e32 v8, 0xffff0000, v8
	v_fmac_f32_e32 v36, v127, v8
	v_mul_f32_e32 v8, v60, v64
	buffer_load_dword v64, off, s[0:3], s32 offset:336 ; 4-byte Folded Reload
	v_bfe_u32 v9, v8, 16, 1
	v_or_b32_e32 v80, 0x400000, v8
	v_cmp_u_f32_e64 s6, v8, v8
	v_add3_u32 v9, v9, v8, 0x7fff
	v_cndmask_b32_e64 v8, v9, v80, s6
	v_and_b32_e32 v8, 0xffff0000, v8
	v_fmac_f32_e32 v37, v103, v8
	v_mul_f32_e32 v8, v60, v97
	v_bfe_u32 v9, v8, 16, 1
	v_or_b32_e32 v80, 0x400000, v8
	v_cmp_u_f32_e64 s6, v8, v8
	v_add3_u32 v9, v9, v8, 0x7fff
	v_cndmask_b32_e64 v8, v9, v80, s6
	v_and_b32_e32 v8, 0xffff0000, v8
	v_fmac_f32_e32 v28, v39, v8
	v_mul_f32_e32 v8, v60, v102
	v_bfe_u32 v9, v8, 16, 1
	v_or_b32_e32 v39, 0x400000, v8
	v_cmp_u_f32_e64 s6, v8, v8
	v_add3_u32 v9, v9, v8, 0x7fff
	v_cndmask_b32_e64 v8, v9, v39, s6
	v_or_b32_e32 v9, 0x400000, v4
	v_cmp_u_f32_e64 s6, v4, v4
	v_and_b32_e32 v8, 0xffff0000, v8
	v_fmac_f32_e32 v35, v55, v8
	v_bfe_u32 v8, v4, 16, 1
	v_add3_u32 v8, v8, v4, 0x7fff
	v_cndmask_b32_e64 v4, v8, v9, s6
	v_and_b32_e32 v4, 0xffff0000, v4
	v_fmac_f32_e32 v36, v54, v4
	v_mul_f32_e32 v4, v60, v119
	v_bfe_u32 v5, v4, 16, 1
	v_or_b32_e32 v8, 0x400000, v4
	v_cmp_u_f32_e64 s6, v4, v4
	v_add3_u32 v5, v5, v4, 0x7fff
	v_cndmask_b32_e64 v4, v5, v8, s6
	v_and_b32_e32 v4, 0xffff0000, v4
	v_fmac_f32_e32 v37, v53, v4
	v_mul_f32_e32 v4, v60, v27
	v_bfe_u32 v5, v4, 16, 1
	v_or_b32_e32 v8, 0x400000, v4
	v_cmp_u_f32_e64 s6, v4, v4
	v_add3_u32 v5, v5, v4, 0x7fff
	v_cndmask_b32_e64 v4, v5, v8, s6
	v_and_b32_e32 v4, 0xffff0000, v4
	v_fmac_f32_e32 v28, v52, v4
	v_mul_f32_e32 v4, v60, v25
	v_mul_f32_e32 v25, v60, v63
	v_bfe_u32 v5, v4, 16, 1
	v_or_b32_e32 v8, 0x400000, v4
	v_cmp_u_f32_e64 s6, v4, v4
	v_add3_u32 v5, v5, v4, 0x7fff
	v_cndmask_b32_e64 v4, v5, v8, s6
	v_and_b32_e32 v4, 0xffff0000, v4
	v_fmac_f32_e32 v35, v51, v4
	v_mul_f32_e32 v4, v60, v22
	;; [unrolled: 9-line block ×3, first 2 shown]
	v_bfe_u32 v5, v4, 16, 1
	v_or_b32_e32 v8, 0x400000, v4
	v_cmp_u_f32_e64 s6, v4, v4
	v_add3_u32 v5, v5, v4, 0x7fff
	v_cndmask_b32_e64 v4, v5, v8, s6
	v_or_b32_e32 v5, 0x400000, v2
	v_cmp_u_f32_e64 s6, v2, v2
	v_and_b32_e32 v4, 0xffff0000, v4
	v_fmac_f32_e32 v37, v49, v4
	v_bfe_u32 v4, v2, 16, 1
	v_add3_u32 v4, v4, v2, 0x7fff
	v_cndmask_b32_e64 v2, v4, v5, s6
	v_and_b32_e32 v2, 0xffff0000, v2
	v_fmac_f32_e32 v28, v48, v2
	v_mul_f32_e32 v2, v60, v24
	v_bfe_u32 v3, v2, 16, 1
	v_or_b32_e32 v4, 0x400000, v2
	v_cmp_u_f32_e64 s6, v2, v2
	v_add3_u32 v3, v3, v2, 0x7fff
	v_cndmask_b32_e64 v2, v3, v4, s6
	v_and_b32_e32 v2, 0xffff0000, v2
	v_fmac_f32_e32 v35, v38, v2
	v_mul_f32_e32 v2, v60, v44
	v_bfe_u32 v3, v2, 16, 1
	v_or_b32_e32 v4, 0x400000, v2
	v_cmp_u_f32_e64 s6, v2, v2
	;; [unrolled: 8-line block ×3, first 2 shown]
	v_add3_u32 v3, v3, v2, 0x7fff
	v_cndmask_b32_e64 v2, v3, v4, s6
	s_waitcnt vmcnt(0)
	v_mul_f32_e32 v81, v60, v64
	v_and_b32_e32 v2, 0xffff0000, v2
	buffer_load_dword v64, off, s[0:3], s32 offset:332 ; 4-byte Folded Reload
	v_fmac_f32_e32 v37, v33, v2
	v_mul_f32_e32 v2, v60, v69
	v_bfe_u32 v3, v2, 16, 1
	v_or_b32_e32 v4, 0x400000, v2
	v_cmp_u_f32_e64 s6, v2, v2
	v_add3_u32 v3, v3, v2, 0x7fff
	v_cndmask_b32_e64 v2, v3, v4, s6
	v_and_b32_e32 v2, 0xffff0000, v2
	v_fmac_f32_e32 v28, v32, v2
	v_mul_f32_e32 v2, v60, v118
	v_bfe_u32 v3, v2, 16, 1
	v_or_b32_e32 v4, 0x400000, v2
	v_cmp_u_f32_e64 s6, v2, v2
	v_add3_u32 v3, v3, v2, 0x7fff
	v_cndmask_b32_e64 v2, v3, v4, s6
	v_and_b32_e32 v2, 0xffff0000, v2
	v_fmac_f32_e32 v35, v31, v2
	v_mul_f32_e32 v2, v60, v57
	ds_read_b128 v[31:34], v26 offset:102
	v_bfe_u32 v3, v2, 16, 1
	v_or_b32_e32 v4, 0x400000, v2
	v_cmp_u_f32_e64 s6, v2, v2
	v_add3_u32 v3, v3, v2, 0x7fff
	v_cndmask_b32_e64 v2, v3, v4, s6
	v_and_b32_e32 v2, 0xffff0000, v2
	v_fmac_f32_e32 v36, v19, v2
	v_mul_f32_e32 v2, v60, v43
	v_bfe_u32 v3, v2, 16, 1
	v_or_b32_e32 v4, 0x400000, v2
	v_cmp_u_f32_e64 s6, v2, v2
	v_add3_u32 v3, v3, v2, 0x7fff
	v_cndmask_b32_e64 v2, v3, v4, s6
	v_and_b32_e32 v2, 0xffff0000, v2
	v_fmac_f32_e32 v37, v18, v2
	v_mul_f32_e32 v2, v60, v100
	;; [unrolled: 8-line block ×4, first 2 shown]
	buffer_load_dword v0, off, s[0:3], s32 offset:296 ; 4-byte Folded Reload
	v_bfe_u32 v3, v2, 16, 1
	v_or_b32_e32 v4, 0x400000, v2
	v_cmp_u_f32_e64 s6, v2, v2
	v_add3_u32 v3, v3, v2, 0x7fff
	v_cndmask_b32_e64 v2, v3, v4, s6
	v_and_b32_e32 v2, 0xffff0000, v2
	v_fmac_f32_e32 v36, v16, v2
	ds_read_b128 v[16:19], v26 offset:118
	s_waitcnt vmcnt(0)
	v_mul_f32_e32 v2, v60, v0
	buffer_load_dword v0, off, s[0:3], s32 offset:260 ; 4-byte Folded Reload
	v_bfe_u32 v3, v2, 16, 1
	v_or_b32_e32 v4, 0x400000, v2
	v_cmp_u_f32_e64 s6, v2, v2
	v_add3_u32 v3, v3, v2, 0x7fff
	v_cndmask_b32_e64 v3, v3, v4, s6
	v_and_b32_e32 v3, 0xffff0000, v3
	s_waitcnt vmcnt(0)
	v_mul_f32_e32 v2, v60, v0
	buffer_load_dword v0, off, s[0:3], s32 offset:248 ; 4-byte Folded Reload
	v_bfe_u32 v4, v2, 16, 1
	v_or_b32_e32 v5, 0x400000, v2
	v_cmp_u_f32_e64 s6, v2, v2
	v_add3_u32 v4, v4, v2, 0x7fff
	v_cndmask_b32_e64 v2, v4, v5, s6
	v_and_b32_e32 v2, 0xffff0000, v2
	s_waitcnt vmcnt(0)
	v_mul_f32_e32 v7, v60, v0
	buffer_load_dword v0, off, s[0:3], s32 offset:244 ; 4-byte Folded Reload
	v_bfe_u32 v4, v7, 16, 1
	v_or_b32_e32 v5, 0x400000, v7
	v_cmp_u_f32_e64 s6, v7, v7
	v_add3_u32 v4, v4, v7, 0x7fff
	v_mul_f32_e32 v7, v60, v13
	v_cndmask_b32_e64 v5, v4, v5, s6
	v_bfe_u32 v4, v7, 16, 1
	v_or_b32_e32 v8, 0x400000, v7
	v_cmp_u_f32_e64 s6, v7, v7
	v_and_b32_e32 v5, 0xffff0000, v5
	v_add3_u32 v4, v4, v7, 0x7fff
	v_cndmask_b32_e64 v8, v4, v8, s6
	v_and_b32_e32 v8, 0xffff0000, v8
	v_fmac_f32_e32 v37, v6, v8
	buffer_load_dword v6, off, s[0:3], s32 offset:328 ; 4-byte Folded Reload
	v_mul_f32_e32 v8, v60, v78
	s_waitcnt vmcnt(1)
	v_mul_f32_e32 v7, v60, v0
	buffer_load_dword v0, off, s[0:3], s32 offset:284 ; 4-byte Folded Reload
	v_bfe_u32 v4, v7, 16, 1
	v_or_b32_e32 v9, 0x400000, v7
	v_cmp_u_f32_e64 s6, v7, v7
	v_add3_u32 v4, v4, v7, 0x7fff
	v_cndmask_b32_e64 v4, v4, v9, s6
	buffer_load_dword v9, off, s[0:3], s32 offset:324 ; 4-byte Folded Reload
	v_and_b32_e32 v4, 0xffff0000, v4
	s_waitcnt vmcnt(2)
	v_lshlrev_b32_e32 v6, 16, v6
	v_fmac_f32_e32 v36, v6, v3
	s_waitcnt lgkmcnt(1)
	v_lshlrev_b32_e32 v3, 16, v31
	v_mul_f32_e32 v6, v60, v79
	v_fmac_f32_e32 v37, v3, v2
	v_mul_f32_e32 v2, v60, v98
	v_bfe_u32 v3, v2, 16, 1
	v_cmp_u_f32_e64 s6, v2, v2
	v_add3_u32 v3, v3, v2, 0x7fff
	s_waitcnt vmcnt(1)
	v_mul_f32_e32 v27, v60, v0
	buffer_load_dword v0, off, s[0:3], s32 offset:280 ; 4-byte Folded Reload
	s_waitcnt vmcnt(1)
	v_lshlrev_b32_e32 v7, 16, v9
	v_fmac_f32_e32 v28, v7, v5
	v_and_b32_e32 v5, 0xffff0000, v9
	v_bfe_u32 v7, v6, 16, 1
	v_mul_f32_e32 v9, v60, v83
	v_mul_f32_e32 v83, v60, v64
	v_fmac_f32_e32 v35, v5, v4
	v_or_b32_e32 v4, 0x400000, v2
	v_or_b32_e32 v84, 0x400000, v83
	v_cndmask_b32_e64 v2, v3, v4, s6
	v_and_b32_e32 v3, 0xffff0000, v31
	v_mul_f32_e32 v4, v60, v89
	v_and_b32_e32 v2, 0xffff0000, v2
	v_or_b32_e32 v5, 0x400000, v4
	v_cmp_u_f32_e64 s6, v4, v4
	v_fmac_f32_e32 v28, v3, v2
	v_bfe_u32 v2, v4, 16, 1
	v_mul_f32_e32 v3, v60, v88
	v_add3_u32 v2, v2, v4, 0x7fff
	v_bfe_u32 v4, v3, 16, 1
	v_cndmask_b32_e64 v2, v2, v5, s6
	v_add3_u32 v4, v4, v3, 0x7fff
	v_or_b32_e32 v5, 0x400000, v3
	v_cmp_u_f32_e64 s6, v3, v3
	v_and_b32_e32 v2, 0xffff0000, v2
	v_cndmask_b32_e64 v3, v4, v5, s6
	v_add3_u32 v4, v7, v6, 0x7fff
	v_or_b32_e32 v5, 0x400000, v6
	v_cmp_u_f32_e64 s6, v6, v6
	v_bfe_u32 v6, v8, 16, 1
	v_mul_f32_e32 v7, v60, v76
	v_and_b32_e32 v3, 0xffff0000, v3
	v_cndmask_b32_e64 v4, v4, v5, s6
	v_add3_u32 v5, v6, v8, 0x7fff
	v_or_b32_e32 v6, 0x400000, v8
	v_cmp_u_f32_e64 s6, v8, v8
	v_bfe_u32 v8, v7, 16, 1
	v_and_b32_e32 v4, 0xffff0000, v4
	v_cndmask_b32_e64 v5, v5, v6, s6
	v_add3_u32 v6, v8, v7, 0x7fff
	v_or_b32_e32 v8, 0x400000, v7
	v_cmp_u_f32_e64 s6, v7, v7
	v_bfe_u32 v7, v9, 16, 1
	;; [unrolled: 6-line block ×3, first 2 shown]
	v_mul_f32_e32 v9, v60, v74
	v_and_b32_e32 v10, 0xffff0000, v10
	v_cndmask_b32_e64 v11, v6, v7, s6
	v_add3_u32 v6, v8, v12, 0x7fff
	v_or_b32_e32 v7, 0x400000, v12
	v_cmp_u_f32_e64 s6, v12, v12
	v_bfe_u32 v8, v9, 16, 1
	v_and_b32_e32 v11, 0xffff0000, v11
	v_cndmask_b32_e64 v12, v6, v7, s6
	v_add3_u32 v6, v8, v9, 0x7fff
	v_or_b32_e32 v7, 0x400000, v9
	v_cmp_u_f32_e64 s6, v9, v9
	v_bfe_u32 v8, v22, 16, 1
	v_mul_f32_e32 v9, v60, v72
	v_and_b32_e32 v12, 0xffff0000, v12
	v_cndmask_b32_e64 v20, v6, v7, s6
	v_add3_u32 v6, v8, v22, 0x7fff
	v_or_b32_e32 v7, 0x400000, v22
	v_cmp_u_f32_e64 s6, v22, v22
	v_bfe_u32 v8, v9, 16, 1
	v_cndmask_b32_e64 v22, v6, v7, s6
	v_add3_u32 v6, v8, v9, 0x7fff
	v_or_b32_e32 v7, 0x400000, v9
	v_cmp_u_f32_e64 s6, v9, v9
	v_bfe_u32 v8, v25, 16, 1
	v_mul_f32_e32 v9, v60, v61
	v_and_b32_e32 v22, 0xffff0000, v22
	v_cndmask_b32_e64 v23, v6, v7, s6
	v_add3_u32 v6, v8, v25, 0x7fff
	v_or_b32_e32 v7, 0x400000, v25
	v_cmp_u_f32_e64 s6, v25, v25
	v_bfe_u32 v8, v9, 16, 1
	v_and_b32_e32 v23, 0xffff0000, v23
	v_cndmask_b32_e64 v25, v6, v7, s6
	v_add3_u32 v6, v8, v9, 0x7fff
	v_or_b32_e32 v7, 0x400000, v9
	v_cmp_u_f32_e64 s6, v9, v9
	v_bfe_u32 v8, v27, 16, 1
	v_cndmask_b32_e64 v26, v6, v7, s6
	v_add3_u32 v6, v8, v27, 0x7fff
	v_or_b32_e32 v7, 0x400000, v27
	v_cmp_u_f32_e64 s6, v27, v27
	v_cndmask_b32_e64 v27, v6, v7, s6
	v_and_b32_e32 v27, 0xffff0000, v27
	s_waitcnt vmcnt(0)
	v_mul_f32_e32 v9, v60, v0
	buffer_load_dword v0, off, s[0:3], s32 offset:308 ; 4-byte Folded Reload
	v_bfe_u32 v8, v9, 16, 1
	v_or_b32_e32 v7, 0x400000, v9
	v_cmp_u_f32_e64 s6, v9, v9
	v_add3_u32 v6, v8, v9, 0x7fff
	v_cndmask_b32_e64 v38, v6, v7, s6
	s_waitcnt vmcnt(0)
	v_mul_f32_e32 v31, v60, v0
	buffer_load_dword v0, off, s[0:3], s32 offset:276 ; 4-byte Folded Reload
	v_bfe_u32 v8, v31, 16, 1
	v_or_b32_e32 v7, 0x400000, v31
	v_cmp_u_f32_e64 s6, v31, v31
	v_add3_u32 v6, v8, v31, 0x7fff
	v_cndmask_b32_e64 v39, v6, v7, s6
	;; [unrolled: 8-line block ×8, first 2 shown]
	v_and_b32_e32 v13, 0xffff0000, v13
	s_waitcnt vmcnt(0)
	v_mul_f32_e32 v9, v60, v0
	buffer_load_dword v0, off, s[0:3], s32 offset:288 ; 4-byte Folded Reload
	v_bfe_u32 v8, v9, 16, 1
	v_or_b32_e32 v7, 0x400000, v9
	v_cmp_u_f32_e64 s6, v9, v9
	v_add3_u32 v6, v8, v9, 0x7fff
	v_cndmask_b32_e64 v52, v6, v7, s6
	s_waitcnt vmcnt(0)
	v_mul_f32_e32 v31, v60, v0
	buffer_load_dword v0, off, s[0:3], s32 offset:388 ; 4-byte Folded Reload
	v_bfe_u32 v8, v31, 16, 1
	v_or_b32_e32 v7, 0x400000, v31
	v_cmp_u_f32_e64 s6, v31, v31
	v_add3_u32 v6, v8, v31, 0x7fff
	v_cndmask_b32_e64 v53, v6, v7, s6
	;; [unrolled: 8-line block ×4, first 2 shown]
	v_and_b32_e32 v30, 0xffff0000, v30
	s_waitcnt vmcnt(0)
	v_mul_f32_e32 v9, v60, v0
	buffer_load_dword v0, off, s[0:3], s32 offset:376 ; 4-byte Folded Reload
	v_bfe_u32 v8, v9, 16, 1
	v_or_b32_e32 v7, 0x400000, v9
	v_cmp_u_f32_e64 s6, v9, v9
	v_add3_u32 v6, v8, v9, 0x7fff
	v_cndmask_b32_e64 v55, v6, v7, s6
	s_waitcnt vmcnt(0)
	v_mul_f32_e32 v31, v60, v0
	buffer_load_dword v0, off, s[0:3], s32 offset:372 ; 4-byte Folded Reload
	v_bfe_u32 v8, v31, 16, 1
	v_or_b32_e32 v7, 0x400000, v31
	v_cmp_u_f32_e64 s6, v31, v31
	v_add3_u32 v6, v8, v31, 0x7fff
	v_cndmask_b32_e64 v15, v6, v7, s6
	v_and_b32_e32 v15, 0xffff0000, v15
	s_waitcnt vmcnt(0)
	v_mul_f32_e32 v9, v60, v0
	buffer_load_dword v0, off, s[0:3], s32 offset:368 ; 4-byte Folded Reload
	v_bfe_u32 v8, v9, 16, 1
	v_or_b32_e32 v7, 0x400000, v9
	v_cmp_u_f32_e64 s6, v9, v9
	v_add3_u32 v6, v8, v9, 0x7fff
	v_cndmask_b32_e64 v14, v6, v7, s6
	v_and_b32_e32 v14, 0xffff0000, v14
	s_waitcnt vmcnt(0)
	v_mul_f32_e32 v31, v60, v0
	buffer_load_dword v0, off, s[0:3], s32 offset:364 ; 4-byte Folded Reload
	v_bfe_u32 v8, v31, 16, 1
	v_or_b32_e32 v7, 0x400000, v31
	v_cmp_u_f32_e64 s6, v31, v31
	v_add3_u32 v6, v8, v31, 0x7fff
	v_cndmask_b32_e64 v31, v6, v7, s6
	s_waitcnt vmcnt(0)
	v_mul_f32_e32 v9, v60, v0
	buffer_load_dword v0, off, s[0:3], s32 offset:360 ; 4-byte Folded Reload
	v_bfe_u32 v8, v9, 16, 1
	v_or_b32_e32 v7, 0x400000, v9
	v_cmp_u_f32_e64 s6, v9, v9
	v_add3_u32 v6, v8, v9, 0x7fff
	buffer_load_dword v9, off, s[0:3], s32 offset:344 ; 4-byte Folded Reload
	v_cndmask_b32_e64 v66, v6, v7, s6
	v_and_b32_e32 v66, 0xffff0000, v66
	s_waitcnt vmcnt(1)
	v_mul_f32_e32 v0, v60, v0
	v_bfe_u32 v8, v0, 16, 1
	v_or_b32_e32 v7, 0x400000, v0
	v_cmp_u_f32_e64 s6, v0, v0
	v_add3_u32 v6, v8, v0, 0x7fff
	buffer_load_dword v8, off, s[0:3], s32 offset:352 ; 4-byte Folded Reload
	v_bfe_u32 v0, v1, 16, 1
	s_waitcnt vmcnt(1)
	v_mul_f32_e32 v9, v60, v9
	v_cndmask_b32_e64 v67, v6, v7, s6
	buffer_load_dword v7, off, s[0:3], s32 offset:348 ; 4-byte Folded Reload
	v_add3_u32 v0, v0, v1, 0x7fff
	v_or_b32_e32 v6, 0x400000, v1
	v_cmp_u_f32_e64 s6, v1, v1
	v_cndmask_b32_e64 v68, v0, v6, s6
	s_waitcnt vmcnt(1)
	v_mul_f32_e32 v8, v60, v8
	v_bfe_u32 v1, v8, 16, 1
	s_waitcnt vmcnt(0)
	v_mul_f32_e32 v7, v60, v7
	v_cmp_u_f32_e64 s6, v8, v8
	v_add3_u32 v0, v1, v8, 0x7fff
	v_or_b32_e32 v1, 0x400000, v8
	v_bfe_u32 v6, v7, 16, 1
	v_mul_f32_e32 v8, v60, v62
	v_cndmask_b32_e64 v1, v0, v1, s6
	v_add3_u32 v0, v6, v7, 0x7fff
	v_or_b32_e32 v6, 0x400000, v7
	v_cmp_u_f32_e64 s6, v7, v7
	v_bfe_u32 v7, v8, 16, 1
	v_cndmask_b32_e64 v21, v0, v6, s6
	v_add3_u32 v0, v7, v8, 0x7fff
	v_or_b32_e32 v6, 0x400000, v8
	v_cmp_u_f32_e64 s6, v8, v8
	v_bfe_u32 v7, v9, 16, 1
	v_mul_f32_e32 v8, v60, v99
	v_and_b32_e32 v21, 0xffff0000, v21
	v_cndmask_b32_e64 v69, v0, v6, s6
	v_add3_u32 v0, v7, v9, 0x7fff
	v_or_b32_e32 v6, 0x400000, v9
	v_cmp_u_f32_e64 s6, v9, v9
	v_bfe_u32 v7, v8, 16, 1
	buffer_load_dword v9, off, s[0:3], s32 offset:392 ; 4-byte Folded Reload
	v_and_b32_e32 v69, 0xffff0000, v69
	v_cndmask_b32_e64 v80, v0, v6, s6
	v_add3_u32 v0, v7, v8, 0x7fff
	v_or_b32_e32 v6, 0x400000, v8
	v_cmp_u_f32_e64 s6, v8, v8
	buffer_load_dword v8, off, s[0:3], s32 offset:340 ; 4-byte Folded Reload
	v_and_b32_e32 v80, 0xffff0000, v80
	v_cndmask_b32_e64 v0, v0, v6, s6
	v_and_b32_e32 v85, 0xffff0000, v0
	v_xor_b32_e32 v0, 1, v86
	s_waitcnt vmcnt(1)
	v_mul_f32_e32 v9, v60, v9
	v_bfe_u32 v7, v9, 16, 1
	v_cmp_u_f32_e64 s6, v9, v9
	s_waitcnt vmcnt(0)
	v_mul_f32_e32 v8, v60, v8
	v_add3_u32 v6, v7, v9, 0x7fff
	v_or_b32_e32 v7, 0x400000, v9
	v_bfe_u32 v9, v8, 16, 1
	v_cndmask_b32_e64 v6, v6, v7, s6
	v_add3_u32 v7, v9, v8, 0x7fff
	v_or_b32_e32 v9, 0x400000, v8
	v_cmp_u_f32_e64 s6, v8, v8
	v_bfe_u32 v8, v81, 16, 1
	v_and_b32_e32 v6, 0xffff0000, v6
	v_cndmask_b32_e64 v7, v7, v9, s6
	v_add3_u32 v8, v8, v81, 0x7fff
	v_or_b32_e32 v9, 0x400000, v81
	v_cmp_u_f32_e64 s6, v81, v81
	v_bfe_u32 v81, v83, 16, 1
	v_and_b32_e32 v7, 0xffff0000, v7
	v_cndmask_b32_e64 v8, v8, v9, s6
	v_add3_u32 v9, v81, v83, 0x7fff
	v_cmp_u_f32_e64 s6, v83, v83
	v_lshlrev_b32_e32 v83, 16, v32
	v_mul_f32_e32 v81, v60, v77
	v_and_b32_e32 v8, 0xffff0000, v8
	v_and_b32_e32 v32, 0xffff0000, v32
	v_cndmask_b32_e64 v9, v9, v84, s6
	v_lshlrev_b32_e32 v84, 16, v34
	v_cmp_u_f32_e64 s6, v81, v81
	v_fmac_f32_e32 v35, v83, v8
	v_bfe_u32 v8, v81, 16, 1
	v_lshlrev_b32_e32 v83, 16, v33
	v_and_b32_e32 v9, 0xffff0000, v9
	v_fmac_f32_e32 v36, v32, v7
	v_and_b32_e32 v7, 0xffff0000, v33
	v_add3_u32 v32, v8, v81, 0x7fff
	v_or_b32_e32 v33, 0x400000, v81
	v_fmac_f32_e32 v37, v83, v9
	v_and_b32_e32 v83, 0xffff0000, v34
	v_fmac_f32_e32 v28, v7, v6
	ds_read_b128 v[6:9], v107 offset:134
	s_waitcnt lgkmcnt(1)
	v_lshlrev_b32_e32 v34, 16, v16
	v_fmac_f32_e32 v35, v84, v85
	v_and_b32_e32 v16, 0xffff0000, v16
	v_lshlrev_b32_e32 v84, 16, v17
	v_and_b32_e32 v85, 0xffff0000, v1
	v_cndmask_b32_e64 v1, v32, v33, s6
	v_fmac_f32_e32 v36, v83, v69
	v_fmac_f32_e32 v37, v34, v80
	v_and_b32_e32 v69, 0xffff0000, v31
	ds_read_b128 v[31:34], v107 offset:150
	v_fmac_f32_e32 v28, v16, v21
	v_fmac_f32_e32 v35, v84, v85
	v_and_b32_e32 v16, 0xffff0000, v17
	v_lshlrev_b32_e32 v17, 16, v18
	v_and_b32_e32 v21, 0xffff0000, v67
	v_and_b32_e32 v67, 0xffff0000, v68
	v_and_b32_e32 v18, 0xffff0000, v18
	v_lshlrev_b32_e32 v68, 16, v19
	v_and_b32_e32 v1, 0xffff0000, v1
	v_fmac_f32_e32 v36, v16, v21
	v_fmac_f32_e32 v37, v17, v67
	;; [unrolled: 1-line block ×4, first 2 shown]
	v_and_b32_e32 v17, 0xffff0000, v19
	s_waitcnt lgkmcnt(1)
	v_lshlrev_b32_e32 v16, 16, v6
	v_and_b32_e32 v18, 0xffff0000, v6
	v_lshlrev_b32_e32 v19, 16, v7
	v_and_b32_e32 v21, 0xffff0000, v55
	v_fmac_f32_e32 v36, v17, v15
	v_fmac_f32_e32 v37, v16, v14
	v_and_b32_e32 v7, 0xffff0000, v7
	v_fmac_f32_e32 v35, v19, v30
	v_fmac_f32_e32 v28, v18, v21
	v_lshlrev_b32_e32 v14, 16, v8
	v_and_b32_e32 v15, 0xffff0000, v53
	v_and_b32_e32 v16, 0xffff0000, v54
	;; [unrolled: 1-line block ×3, first 2 shown]
	v_lshlrev_b32_e32 v17, 16, v9
	v_and_b32_e32 v18, 0xffff0000, v52
	v_fmac_f32_e32 v36, v7, v15
	v_fmac_f32_e32 v37, v14, v16
	v_and_b32_e32 v7, 0xffff0000, v9
	v_fmac_f32_e32 v35, v17, v13
	v_fmac_f32_e32 v28, v8, v18
	s_waitcnt lgkmcnt(0)
	v_lshlrev_b32_e32 v8, 16, v31
	v_and_b32_e32 v9, 0xffff0000, v51
	v_and_b32_e32 v17, 0xffff0000, v24
	ds_read_b128 v[13:16], v107 offset:166
	v_and_b32_e32 v18, 0xffff0000, v31
	v_and_b32_e32 v24, 0xffff0000, v50
	v_fmac_f32_e32 v36, v7, v9
	v_fmac_f32_e32 v37, v8, v17
	v_and_b32_e32 v7, 0xffff0000, v32
	v_lshlrev_b32_e32 v8, 16, v33
	v_and_b32_e32 v9, 0xffff0000, v39
	v_and_b32_e32 v17, 0xffff0000, v48
	v_lshlrev_b32_e32 v21, 16, v32
	v_and_b32_e32 v30, 0xffff0000, v49
	v_fmac_f32_e32 v28, v18, v24
	v_and_b32_e32 v18, 0xffff0000, v33
	v_and_b32_e32 v24, 0xffff0000, v38
	v_fmac_f32_e32 v36, v7, v9
	v_fmac_f32_e32 v37, v8, v17
	ds_read_b64 v[7:8], v107 offset:182
	v_fmac_f32_e32 v35, v21, v30
	v_lshlrev_b32_e32 v21, 16, v34
	v_fmac_f32_e32 v28, v18, v24
	v_and_b32_e32 v9, 0xffff0000, v34
	v_and_b32_e32 v18, 0xffff0000, v25
	v_mul_f32_e32 v6, v60, v82
	v_fmac_f32_e32 v35, v21, v27
	s_waitcnt lgkmcnt(1)
	v_lshlrev_b32_e32 v17, 16, v13
	v_and_b32_e32 v21, 0xffff0000, v26
	v_and_b32_e32 v13, 0xffff0000, v13
	v_lshlrev_b32_e32 v24, 16, v14
	v_fmac_f32_e32 v36, v9, v18
	ds_read_u16 v18, v107 offset:190
	v_bfe_u32 v19, v6, 16, 1
	v_fmac_f32_e32 v37, v17, v21
	v_fmac_f32_e32 v28, v13, v23
	;; [unrolled: 1-line block ×3, first 2 shown]
	v_and_b32_e32 v9, 0xffff0000, v14
	v_lshlrev_b32_e32 v13, 16, v15
	v_and_b32_e32 v15, 0xffff0000, v15
	v_lshlrev_b32_e32 v17, 16, v16
	v_add3_u32 v19, v19, v6, 0x7fff
	v_or_b32_e32 v25, 0x400000, v6
	v_and_b32_e32 v14, 0xffff0000, v20
	v_cmp_u_f32_e64 s6, v6, v6
	v_fmac_f32_e32 v36, v9, v12
	v_fmac_f32_e32 v28, v15, v11
	;; [unrolled: 1-line block ×3, first 2 shown]
	v_and_b32_e32 v9, 0xffff0000, v16
	s_waitcnt lgkmcnt(1)
	v_lshlrev_b32_e32 v10, 16, v7
	v_and_b32_e32 v7, 0xffff0000, v7
	v_lshlrev_b32_e32 v11, 16, v8
	v_cndmask_b32_e64 v6, v19, v25, s6
	v_fmac_f32_e32 v37, v13, v14
	v_fmac_f32_e32 v36, v9, v4
	;; [unrolled: 1-line block ×3, first 2 shown]
	v_and_b32_e32 v3, 0xffff0000, v8
	v_fmac_f32_e32 v35, v11, v2
	v_fmac_f32_e32 v37, v10, v5
	s_waitcnt lgkmcnt(0)
	v_lshlrev_b32_e32 v2, 16, v18
	v_and_b32_e32 v4, 0xffff0000, v6
	v_fmac_f32_e32 v36, v3, v1
	v_add_f32_e32 v1, v28, v35
	v_cmp_gt_i32_e64 s6, 32, v0
	v_fmac_f32_e32 v37, v2, v4
	v_add_f32_e32 v1, v1, v36
	v_cndmask_b32_e64 v0, v86, v0, s6
	v_lshlrev_b32_e32 v2, 2, v0
	v_add_f32_e32 v0, v37, v1
	ds_bpermute_b32 v1, v2, v0
	s_and_saveexec_b32 s24, vcc_lo
	s_cbranch_execz .LBB356_11
; %bb.787:                              ;   in Loop: Header=BB356_13 Depth=1
	s_clause 0x1
	buffer_load_dword v2, off, s[0:3], s32 offset:440
	buffer_load_dword v3, off, s[0:3], s32 offset:432
	s_waitcnt lgkmcnt(0)
	v_add_f32_e32 v0, v0, v1
	s_load_dword s25, s[8:9], 0x0
	s_waitcnt vmcnt(1)
	v_add_nc_u32_e32 v2, v2, v40
	v_cvt_f32_i32_e32 v2, v2
	s_waitcnt vmcnt(0)
	v_mul_f32_e32 v2, v3, v2
	buffer_load_dword v3, off, s[0:3], s32 offset:428 ; 4-byte Folded Reload
	v_cndmask_b32_e64 v1, 0, v2, s5
	buffer_load_dword v2, off, s[0:3], s32 offset:436 ; 4-byte Folded Reload
	s_waitcnt vmcnt(1)
	v_fmac_f32_e32 v1, v3, v0
	buffer_load_dword v3, off, s[0:3], s32 offset:416 ; 4-byte Folded Reload
	s_waitcnt vmcnt(1)
	v_add_nc_u32_e32 v2, v2, v40
	v_cmp_lt_i32_e64 s6, v2, v96
	s_waitcnt lgkmcnt(0)
	v_add_nc_u32_e32 v2, s25, v45
	s_waitcnt vmcnt(0)
	v_max_f32_e32 v0, v3, v3
	v_max_f32_e32 v0, v0, v1
	v_cndmask_b32_e64 v1, 0, v1, s6
	v_cndmask_b32_e64 v3, v3, v0, s6
	ds_write_b32 v2, v1
	buffer_store_dword v3, off, s[0:3], s32 offset:416 ; 4-byte Folded Spill
	s_branch .LBB356_11
.LBB356_788:
	s_or_b32 exec_lo, exec_lo, s23
	s_clause 0x10
	buffer_load_dword v15, off, s[0:3], s32 offset:468
	buffer_load_dword v14, off, s[0:3], s32 offset:472
	;; [unrolled: 1-line block ×17, first 2 shown]
.LBB356_789:
	s_or_b32 exec_lo, exec_lo, s22
	v_mbcnt_lo_u32_b32 v6, -1, 0
	s_waitcnt vmcnt(0)
	v_max_f32_e32 v2, v12, v12
	s_waitcnt lgkmcnt(0)
	s_lshr_b32 s8, s21, 16
	v_xor_b32_e32 v0, 16, v6
	v_xor_b32_e32 v1, 8, v6
	v_cmp_gt_i32_e32 vcc_lo, 32, v0
	v_cndmask_b32_e32 v0, v6, v0, vcc_lo
	v_cmp_gt_i32_e32 vcc_lo, 32, v1
	v_lshlrev_b32_e32 v3, 2, v0
	v_cndmask_b32_e32 v1, v6, v1, vcc_lo
	ds_bpermute_b32 v0, v3, v12
	v_lshlrev_b32_e32 v4, 2, v1
	s_waitcnt lgkmcnt(0)
	v_max_f32_e32 v0, v0, v0
	v_max_f32_e32 v0, v2, v0
	v_xor_b32_e32 v2, 4, v6
	ds_bpermute_b32 v1, v4, v0
	v_cmp_gt_i32_e32 vcc_lo, 32, v2
	v_cndmask_b32_e32 v2, v6, v2, vcc_lo
	v_lshlrev_b32_e32 v5, 2, v2
	v_xor_b32_e32 v2, 2, v6
	v_cmp_gt_i32_e32 vcc_lo, 32, v2
	s_waitcnt lgkmcnt(0)
	v_max_f32_e32 v1, v1, v1
	v_cndmask_b32_e32 v2, v6, v2, vcc_lo
	buffer_load_dword v6, off, s[0:3], s32 offset:396 ; 4-byte Folded Reload
	v_max_f32_e32 v0, v0, v1
	v_lshlrev_b32_e32 v2, 2, v2
	ds_bpermute_b32 v1, v5, v0
	s_waitcnt lgkmcnt(0)
	v_max_f32_e32 v1, v1, v1
	v_max_f32_e32 v0, v0, v1
	ds_bpermute_b32 v1, v2, v0
	s_waitcnt vmcnt(0)
	v_and_b32_e32 v19, 31, v6
	buffer_load_dword v6, off, s[0:3], s32 offset:444 ; 4-byte Folded Reload
	v_cmp_eq_u32_e32 vcc_lo, 0, v19
	s_waitcnt vmcnt(0)
	v_lshlrev_b32_e32 v6, 2, v6
	s_and_saveexec_b32 s5, vcc_lo
	s_cbranch_execz .LBB356_791
; %bb.790:
	s_waitcnt lgkmcnt(0)
	v_max_f32_e32 v1, v1, v1
	v_max_f32_e32 v0, v0, v0
	;; [unrolled: 1-line block ×3, first 2 shown]
	ds_write_b32 v6, v0 offset:384
.LBB356_791:
	s_or_b32 exec_lo, exec_lo, s5
	v_cmp_gt_u32_e64 s5, 4, v19
	v_mov_b32_e32 v0, 0xff7fffff
	v_lshlrev_b32_e32 v7, 2, v19
	s_waitcnt lgkmcnt(0)
	s_waitcnt_vscnt null, 0x0
	s_barrier
	buffer_gl0_inv
	s_and_saveexec_b32 s6, s5
; %bb.792:
	ds_read_b32 v0, v7 offset:384
; %bb.793:
	s_or_b32 exec_lo, exec_lo, s6
	v_mbcnt_lo_u32_b32 v9, -1, 0
	s_waitcnt lgkmcnt(0)
	ds_bpermute_b32 v1, v2, v0
	v_max_f32_e32 v0, v0, v0
	v_xor_b32_e32 v8, 1, v9
	v_cmp_gt_i32_e64 s6, 32, v8
	v_cndmask_b32_e64 v8, v9, v8, s6
	v_lshlrev_b32_e32 v18, 2, v8
	buffer_load_dword v8, off, s[0:3], s32 offset:224 ; 4-byte Folded Reload
	s_waitcnt lgkmcnt(0)
	v_max_f32_e32 v1, v1, v1
	v_max_f32_e32 v0, v0, v1
	ds_bpermute_b32 v1, v18, v0
	s_waitcnt lgkmcnt(0)
	v_max_f32_e32 v1, v1, v1
	v_max_f32_e32 v0, v0, v1
	s_waitcnt vmcnt(0)
	v_subrev_nc_u32_e32 v9, s13, v8
	v_mov_b32_e32 v8, 0
	v_lshl_add_u32 v1, v9, 4, s20
	buffer_load_dword v9, off, s[0:3], s32 offset:396 ; 4-byte Folded Reload
	ds_bpermute_b32 v0, v8, v0
	v_min_i32_e32 v1, v1, v96
	v_subrev_nc_u32_e32 v1, s20, v1
	s_waitcnt vmcnt(0)
	v_cmp_lt_i32_e64 s6, v9, v1
	s_and_saveexec_b32 s9, s6
	s_cbranch_execz .LBB356_797
; %bb.794:
	buffer_load_dword v10, off, s[0:3], s32 offset:396 ; 4-byte Folded Reload
	s_getpc_b64 s[20:21]
	s_add_u32 s20, s20, llvm.amdgcn.dynlds.offset.table@rel32@lo+4
	s_addc_u32 s21, s21, llvm.amdgcn.dynlds.offset.table@rel32@hi+12
	s_ashr_i32 s17, s16, 31
	v_mov_b32_e32 v8, 0
	s_lshl_b64 s[22:23], s[16:17], 2
	s_mov_b32 s13, 0
	s_add_u32 s20, s20, s22
	s_addc_u32 s21, s21, s23
	s_load_dword s7, s[20:21], 0x0
	s_waitcnt vmcnt(0) lgkmcnt(0)
	v_lshl_add_u32 v9, v10, 2, s7
	.p2align	6
.LBB356_795:                            ; =>This Inner Loop Header: Depth=1
	ds_read_b32 v12, v9
	v_add_nc_u32_e32 v10, 0x80, v10
	v_cmp_ge_i32_e64 s7, v10, v1
	s_or_b32 s13, s7, s13
	s_waitcnt lgkmcnt(0)
	v_sub_f32_e32 v12, v12, v0
	v_mul_f32_e32 v12, 0x3fb8aa3b, v12
	v_exp_f32_e32 v12, v12
	ds_write_b32 v9, v12
	v_add_f32_e32 v8, v8, v12
	v_add_nc_u32_e32 v9, 0x200, v9
	s_andn2_b32 exec_lo, exec_lo, s13
	s_cbranch_execnz .LBB356_795
; %bb.796:
	s_or_b32 exec_lo, exec_lo, s13
.LBB356_797:
	s_or_b32 exec_lo, exec_lo, s9
	ds_bpermute_b32 v3, v3, v8
	s_waitcnt lgkmcnt(0)
	v_add_f32_e32 v3, v8, v3
	ds_bpermute_b32 v4, v4, v3
	s_waitcnt lgkmcnt(0)
	v_add_f32_e32 v3, v3, v4
	;; [unrolled: 3-line block ×5, first 2 shown]
	s_and_saveexec_b32 s7, vcc_lo
; %bb.798:
	ds_write_b32 v6, v3 offset:400
; %bb.799:
	s_or_b32 exec_lo, exec_lo, s7
	s_waitcnt lgkmcnt(0)
	s_barrier
	buffer_gl0_inv
	s_and_saveexec_b32 s7, s5
; %bb.800:
	ds_read_b32 v3, v7 offset:400
; %bb.801:
	s_or_b32 exec_lo, exec_lo, s7
	s_waitcnt lgkmcnt(0)
	ds_bpermute_b32 v2, v2, v3
	s_waitcnt lgkmcnt(0)
	v_add_f32_e32 v2, v3, v2
	ds_bpermute_b32 v3, v18, v2
	s_waitcnt lgkmcnt(0)
	v_add_f32_e32 v2, v2, v3
	v_mov_b32_e32 v3, 0
	ds_bpermute_b32 v2, v3, v2
	s_and_saveexec_b32 s5, s6
	s_cbranch_execz .LBB356_804
; %bb.802:
	s_waitcnt lgkmcnt(0)
	v_add_f32_e32 v4, 0x358637bd, v2
	s_getpc_b64 s[6:7]
	s_add_u32 s6, s6, llvm.amdgcn.dynlds.offset.table@rel32@lo+4
	s_addc_u32 s7, s7, llvm.amdgcn.dynlds.offset.table@rel32@hi+12
	s_ashr_i32 s17, s16, 31
	s_lshl_b64 s[20:21], s[16:17], 2
	v_div_scale_f32 v3, null, v4, v4, 1.0
	v_div_scale_f32 v7, vcc_lo, 1.0, v4, 1.0
	s_add_u32 s6, s6, s20
	v_rcp_f32_e32 v5, v3
	s_addc_u32 s7, s7, s21
	s_load_dword s6, s[6:7], 0x0
	v_fma_f32 v6, -v3, v5, 1.0
	v_fmac_f32_e32 v5, v6, v5
	v_mul_f32_e32 v6, v7, v5
	v_fma_f32 v8, -v3, v6, v7
	v_fmac_f32_e32 v6, v8, v5
	v_fma_f32 v3, -v3, v6, v7
	v_div_fmas_f32 v5, v3, v5, v6
	buffer_load_dword v6, off, s[0:3], s32 offset:396 ; 4-byte Folded Reload
	v_div_fixup_f32 v4, v5, v4, 1.0
	s_waitcnt vmcnt(0) lgkmcnt(0)
	v_lshl_add_u32 v3, v6, 2, s6
	v_mov_b32_e32 v5, v6
	s_mov_b32 s6, 0
.LBB356_803:                            ; =>This Inner Loop Header: Depth=1
	ds_read_b32 v6, v3
	v_add_nc_u32_e32 v5, 0x80, v5
	v_cmp_ge_i32_e32 vcc_lo, v5, v1
	s_or_b32 s6, vcc_lo, s6
	s_waitcnt lgkmcnt(0)
	v_mul_f32_e32 v6, v4, v6
	ds_write_b32 v3, v6
	v_add_nc_u32_e32 v3, 0x200, v3
	s_andn2_b32 exec_lo, exec_lo, s6
	s_cbranch_execnz .LBB356_803
.LBB356_804:
	s_or_b32 exec_lo, exec_lo, s5
	s_waitcnt lgkmcnt(0)
	buffer_load_dword v1, off, s[0:3], s32 offset:396 ; 4-byte Folded Reload
	s_and_b32 s5, 0xffff, s8
	s_mov_b32 s8, exec_lo
	s_cmp_lg_u32 s5, 0
	s_barrier
	s_cselect_b32 s5, -1, 0
	s_waitcnt vmcnt(0)
	buffer_gl0_inv
	s_cmp_lg_u32 s5, 0
	s_addc_u32 s5, s11, 0
	s_mul_i32 s6, s5, s18
	s_mul_i32 s6, s6, s15
	v_cmpx_eq_u32_e32 0, v1
	s_cbranch_execz .LBB356_806
; %bb.805:
	s_ashr_i32 s7, s6, 31
	s_mul_i32 s12, s5, s12
	s_lshl_b64 s[20:21], s[6:7], 2
	s_ashr_i32 s13, s12, 31
	v_add_co_u32 v1, vcc_lo, v26, s20
	v_add_co_ci_u32_e64 v3, null, s21, v25, vcc_lo
	s_lshl_b64 s[12:13], s[12:13], 2
	s_ashr_i32 s15, s14, 31
	v_add_co_u32 v1, vcc_lo, v1, s12
	v_add_co_ci_u32_e64 v4, null, s13, v3, vcc_lo
	v_add_co_u32 v3, vcc_lo, v24, s20
	v_add_co_ci_u32_e64 v5, null, s21, v22, vcc_lo
	s_lshl_b64 s[20:21], s[14:15], 2
	v_add_co_u32 v6, vcc_lo, v3, s12
	v_add_co_ci_u32_e64 v7, null, s13, v5, vcc_lo
	v_add_co_u32 v3, vcc_lo, v1, s20
	v_add_co_ci_u32_e64 v4, null, s21, v4, vcc_lo
	;; [unrolled: 2-line block ×3, first 2 shown]
	flat_store_dword v[3:4], v0
	flat_store_dword v[5:6], v2
.LBB356_806:
	s_or_b32 exec_lo, exec_lo, s8
	s_getpc_b64 s[8:9]
	s_add_u32 s8, s8, llvm.amdgcn.dynlds.offset.table@rel32@lo+4
	s_addc_u32 s9, s9, llvm.amdgcn.dynlds.offset.table@rel32@hi+12
	s_ashr_i32 s17, s16, 31
	v_mov_b32_e32 v10, 0
	s_lshl_b64 s[12:13], s[16:17], 2
	v_mov_b32_e32 v20, 0
	s_add_u32 s8, s8, s12
	s_addc_u32 s9, s9, s13
	v_mov_b32_e32 v9, 0
	s_load_dword s11, s[8:9], 0x0
	v_mov_b32_e32 v26, 0
	v_mov_b32_e32 v7, 0
	;; [unrolled: 1-line block ×9, first 2 shown]
	s_waitcnt lgkmcnt(0)
	v_mov_b32_e32 v12, s11
	s_and_saveexec_b32 s7, s4
	s_cbranch_execz .LBB356_1604
; %bb.807:
	v_max_i32_e32 v30, v30, v32
	v_and_b32_e32 v0, 8, v31
	buffer_store_dword v18, off, s[0:3], s32 offset:316 ; 4-byte Folded Spill
	buffer_store_dword v19, off, s[0:3], s32 offset:308 ; 4-byte Folded Spill
	v_mov_b32_e32 v9, 0
	v_mov_b32_e32 v7, 0
	v_add_co_u32 v2, vcc_lo, v27, v13
	buffer_store_dword v0, off, s[0:3], s32 offset:292 ; 4-byte Folded Spill
	v_cvt_f32_u32_e32 v0, v30
	v_and_b32_e32 v5, 0xf8, v31
	v_add_co_ci_u32_e64 v3, null, v11, v33, vcc_lo
	v_mov_b32_e32 v11, 0
	v_rcp_iflag_f32_e32 v4, v0
	v_add_nc_u32_e32 v0, -1, v28
	v_add_co_u32 v2, vcc_lo, v2, v5
	v_add_co_ci_u32_e64 v3, null, 0, v3, vcc_lo
	buffer_store_dword v0, off, s[0:3], s32 offset:296 ; 4-byte Folded Spill
	s_clause 0x1
	buffer_load_dword v0, off, s[0:3], s32 offset:200
	buffer_load_dword v1, off, s[0:3], s32 offset:204
	buffer_store_dword v9, off, s[0:3], s32 offset:244 ; 4-byte Folded Spill
	v_mov_b32_e32 v9, 0
	v_mul_f32_e32 v4, 0x4f7ffffe, v4
	buffer_store_dword v7, off, s[0:3], s32 offset:240 ; 4-byte Folded Spill
	v_sub_nc_u32_e32 v7, 0, v30
	buffer_load_dword v6, off, s[0:3], s32 offset:396 ; 4-byte Folded Reload
	buffer_store_dword v9, off, s[0:3], s32 offset:248 ; 4-byte Folded Spill
	v_mov_b32_e32 v9, 0
	v_cvt_u32_f32_e32 v4, v4
	v_mov_b32_e32 v53, 0x80
	v_mov_b32_e32 v55, 0xff
	;; [unrolled: 1-line block ×3, first 2 shown]
	buffer_store_dword v9, off, s[0:3], s32 offset:252 ; 4-byte Folded Spill
	v_mov_b32_e32 v9, 0
	v_mul_lo_u32 v7, v7, v4
	s_mov_b32 s12, -1
	s_mov_b32 s13, 0xffffff
	buffer_store_dword v9, off, s[0:3], s32 offset:256 ; 4-byte Folded Spill
	v_mov_b32_e32 v9, 0
	buffer_store_dword v9, off, s[0:3], s32 offset:260 ; 4-byte Folded Spill
	v_mov_b32_e32 v9, 0
	buffer_store_dword v9, off, s[0:3], s32 offset:264 ; 4-byte Folded Spill
	buffer_store_dword v2, off, s[0:3], s32 offset:300 ; 4-byte Folded Spill
	;; [unrolled: 1-line block ×3, first 2 shown]
	buffer_load_dword v5, off, s[0:3], s32 offset:444 ; 4-byte Folded Reload
	v_mul_hi_u32 v3, v4, v7
	s_waitcnt vmcnt(2)
	v_lshlrev_b64 v[0:1], 2, v[0:1]
	s_waitcnt vmcnt(1)
	v_and_b32_e32 v6, 1, v6
	v_add_co_u32 v0, vcc_lo, v16, v0
	v_add_co_ci_u32_e64 v1, null, v17, v1, vcc_lo
	v_lshlrev_b32_e32 v2, 5, v6
	v_add_co_u32 v14, vcc_lo, v14, v0
	v_add_nc_u32_e32 v0, v4, v3
	buffer_load_dword v4, off, s[0:3], s32 offset:464 ; 4-byte Folded Reload
	v_add_co_ci_u32_e64 v15, null, v15, v1, vcc_lo
	buffer_store_dword v0, off, s[0:3], s32 offset:284 ; 4-byte Folded Spill
	v_mov_b32_e32 v0, 0
	buffer_store_dword v0, off, s[0:3], s32 offset:268 ; 4-byte Folded Spill
	v_mov_b32_e32 v0, 0
	;; [unrolled: 2-line block ×3, first 2 shown]
	s_waitcnt vmcnt(1)
	v_lshl_or_b32 v2, v5, 6, v2
	buffer_store_dword v0, off, s[0:3], s32 offset:280 ; 4-byte Folded Spill
	v_add_nc_u32_e32 v66, s11, v2
	v_mov_b32_e32 v0, 0
	s_mov_b32 s11, 0
	buffer_store_dword v0, off, s[0:3], s32 offset:276 ; 4-byte Folded Spill
	s_branch .LBB356_810
.LBB356_808:                            ;   in Loop: Header=BB356_810 Depth=1
	s_or_b32 exec_lo, exec_lo, s4
	v_bfe_u32 v50, v6, 16, 1
	v_or_b32_e32 v54, 0x400000, v6
	v_cmp_u_f32_e32 vcc_lo, v6, v6
	v_lshlrev_b32_e32 v49, 16, v49
	v_lshlrev_b32_e32 v37, 16, v37
	v_add3_u32 v50, v50, v6, 0x7fff
	v_lshlrev_b32_e32 v29, 16, v29
	v_lshlrev_b32_e32 v31, 16, v31
	;; [unrolled: 1-line block ×4, first 2 shown]
	v_cndmask_b32_e32 v6, v50, v54, vcc_lo
	v_bfe_u32 v50, v7, 16, 1
	v_or_b32_e32 v54, 0x400000, v7
	v_cmp_u_f32_e32 vcc_lo, v7, v7
	v_lshlrev_b32_e32 v12, 16, v12
	v_lshlrev_b32_e32 v32, 16, v32
	v_add3_u32 v50, v50, v7, 0x7fff
	v_lshlrev_b32_e32 v25, 16, v25
	v_lshlrev_b32_e32 v4, 16, v4
	;; [unrolled: 1-line block ×3, first 2 shown]
	v_cndmask_b32_e32 v7, v50, v54, vcc_lo
	v_bfe_u32 v50, v8, 16, 1
	v_or_b32_e32 v54, 0x400000, v8
	v_cmp_u_f32_e32 vcc_lo, v8, v8
	v_and_b32_e32 v7, 0xffff0000, v7
	v_add3_u32 v50, v50, v8, 0x7fff
	v_mul_f32_e32 v29, v7, v29
	v_cndmask_b32_e32 v8, v50, v54, vcc_lo
	v_bfe_u32 v50, v9, 16, 1
	v_or_b32_e32 v54, 0x400000, v9
	v_cmp_u_f32_e32 vcc_lo, v9, v9
	v_and_b32_e32 v8, 0xffff0000, v8
	v_add3_u32 v50, v50, v9, 0x7fff
	v_bfe_u32 v9, v0, 16, 1
	v_mul_f32_e32 v28, v8, v28
	v_cndmask_b32_e32 v50, v50, v54, vcc_lo
	v_add3_u32 v9, v9, v0, 0x7fff
	v_or_b32_e32 v54, 0x400000, v0
	v_cmp_u_f32_e32 vcc_lo, v0, v0
	v_cndmask_b32_e32 v0, v9, v54, vcc_lo
	v_bfe_u32 v9, v1, 16, 1
	v_or_b32_e32 v54, 0x400000, v1
	v_cmp_u_f32_e32 vcc_lo, v1, v1
	v_add3_u32 v9, v9, v1, 0x7fff
	v_cndmask_b32_e32 v1, v9, v54, vcc_lo
	v_bfe_u32 v9, v2, 16, 1
	v_or_b32_e32 v54, 0x400000, v2
	v_cmp_u_f32_e32 vcc_lo, v2, v2
	v_and_b32_e32 v1, 0xffff0000, v1
	v_add3_u32 v9, v9, v2, 0x7fff
	v_mul_f32_e32 v4, v1, v4
	v_cndmask_b32_e32 v2, v9, v54, vcc_lo
	v_bfe_u32 v9, v3, 16, 1
	v_or_b32_e32 v54, 0x400000, v3
	v_cmp_u_f32_e32 vcc_lo, v3, v3
	v_and_b32_e32 v2, 0xffff0000, v2
	v_add3_u32 v9, v9, v3, 0x7fff
	v_lshlrev_b32_e32 v3, 16, v38
	v_mul_f32_e32 v37, v2, v37
	v_cndmask_b32_e32 v54, v9, v54, vcc_lo
	v_mul_f32_e32 v3, v7, v3
	v_bfe_u32 v9, v3, 16, 1
	v_or_b32_e32 v38, 0x400000, v3
	v_cmp_u_f32_e32 vcc_lo, v3, v3
	v_add3_u32 v9, v9, v3, 0x7fff
	v_lshlrev_b32_e32 v3, 16, v48
	v_cndmask_b32_e32 v38, v9, v38, vcc_lo
	v_and_b32_e32 v9, 0xffff0000, v6
	v_and_b32_e32 v38, 0xffff0000, v38
	v_mul_f32_e32 v3, v9, v3
	v_mul_f32_e32 v31, v9, v31
	v_bfe_u32 v6, v3, 16, 1
	v_or_b32_e32 v48, 0x400000, v3
	v_cmp_u_f32_e32 vcc_lo, v3, v3
	v_add3_u32 v6, v6, v3, 0x7fff
	v_and_b32_e32 v3, 0xffff0000, v50
	v_cndmask_b32_e32 v48, v6, v48, vcc_lo
	v_lshlrev_b32_e32 v6, 16, v35
	v_mul_f32_e32 v13, v3, v13
	v_and_b32_e32 v48, 0xffff0000, v48
	v_mul_f32_e32 v6, v3, v6
	v_add_f32_e32 v38, v48, v38
	v_bfe_u32 v35, v6, 16, 1
	v_or_b32_e32 v50, 0x400000, v6
	v_cmp_u_f32_e32 vcc_lo, v6, v6
	v_add3_u32 v35, v35, v6, 0x7fff
	v_lshlrev_b32_e32 v6, 16, v36
	v_cndmask_b32_e32 v35, v35, v50, vcc_lo
	v_mul_f32_e32 v6, v8, v6
	v_and_b32_e32 v35, 0xffff0000, v35
	v_bfe_u32 v36, v6, 16, 1
	v_or_b32_e32 v50, 0x400000, v6
	v_cmp_u_f32_e32 vcc_lo, v6, v6
	v_add3_u32 v36, v36, v6, 0x7fff
	v_lshlrev_b32_e32 v6, 16, v33
	v_cndmask_b32_e32 v36, v36, v50, vcc_lo
	v_mul_f32_e32 v6, v1, v6
	v_and_b32_e32 v36, 0xffff0000, v36
	v_bfe_u32 v33, v6, 16, 1
	v_or_b32_e32 v50, 0x400000, v6
	v_cmp_u_f32_e32 vcc_lo, v6, v6
	v_add_f32_e32 v35, v36, v35
	v_add3_u32 v33, v33, v6, 0x7fff
	v_and_b32_e32 v6, 0xffff0000, v0
	v_lshlrev_b32_e32 v0, 16, v34
	v_add_f32_e32 v35, v38, v35
	v_cndmask_b32_e32 v33, v33, v50, vcc_lo
	v_mul_f32_e32 v12, v6, v12
	v_mul_f32_e32 v0, v6, v0
	v_mul_f32_e32 v21, v6, v21
	v_and_b32_e32 v33, 0xffff0000, v33
	v_bfe_u32 v34, v0, 16, 1
	v_or_b32_e32 v50, 0x400000, v0
	v_cmp_u_f32_e32 vcc_lo, v0, v0
	v_add3_u32 v34, v34, v0, 0x7fff
	v_and_b32_e32 v0, 0xffff0000, v54
	v_cndmask_b32_e32 v34, v34, v50, vcc_lo
	v_mul_f32_e32 v49, v0, v49
	v_mul_f32_e32 v32, v0, v32
	;; [unrolled: 1-line block ×3, first 2 shown]
	v_and_b32_e32 v34, 0xffff0000, v34
	v_bfe_u32 v50, v49, 16, 1
	v_or_b32_e32 v54, 0x400000, v49
	v_cmp_u_f32_e32 vcc_lo, v49, v49
	v_add_f32_e32 v33, v34, v33
	v_add3_u32 v50, v50, v49, 0x7fff
	v_add_f32_e32 v33, v35, v33
	v_cndmask_b32_e32 v49, v50, v54, vcc_lo
	v_bfe_u32 v50, v37, 16, 1
	v_or_b32_e32 v54, 0x400000, v37
	v_cmp_u_f32_e32 vcc_lo, v37, v37
	v_and_b32_e32 v35, 0xffff0000, v49
	v_add3_u32 v50, v50, v37, 0x7fff
	v_cndmask_b32_e32 v37, v50, v54, vcc_lo
	v_cmp_u_f32_e32 vcc_lo, v29, v29
	v_and_b32_e32 v34, 0xffff0000, v37
	v_add_f32_e32 v34, v34, v35
	v_add_f32_e32 v33, v33, v34
	buffer_load_dword v34, off, s[0:3], s32 offset:240 ; 4-byte Folded Reload
	s_waitcnt vmcnt(0)
	v_add_f32_e32 v34, v34, v33
	v_bfe_u32 v33, v29, 16, 1
	buffer_store_dword v34, off, s[0:3], s32 offset:240 ; 4-byte Folded Spill
	v_add3_u32 v33, v33, v29, 0x7fff
	v_or_b32_e32 v34, 0x400000, v29
	v_cndmask_b32_e32 v29, v33, v34, vcc_lo
	v_bfe_u32 v33, v31, 16, 1
	v_or_b32_e32 v34, 0x400000, v31
	v_cmp_u_f32_e32 vcc_lo, v31, v31
	v_and_b32_e32 v29, 0xffff0000, v29
	v_add3_u32 v33, v33, v31, 0x7fff
	v_cndmask_b32_e32 v31, v33, v34, vcc_lo
	v_bfe_u32 v33, v13, 16, 1
	v_or_b32_e32 v34, 0x400000, v13
	v_cmp_u_f32_e32 vcc_lo, v13, v13
	v_and_b32_e32 v31, 0xffff0000, v31
	v_add3_u32 v33, v33, v13, 0x7fff
	v_add_f32_e32 v29, v31, v29
	v_cndmask_b32_e32 v13, v33, v34, vcc_lo
	v_bfe_u32 v33, v28, 16, 1
	v_or_b32_e32 v34, 0x400000, v28
	v_cmp_u_f32_e32 vcc_lo, v28, v28
	v_and_b32_e32 v13, 0xffff0000, v13
	v_add3_u32 v33, v33, v28, 0x7fff
	v_cndmask_b32_e32 v28, v33, v34, vcc_lo
	v_lshlrev_b32_e32 v33, 16, v52
	v_and_b32_e32 v28, 0xffff0000, v28
	v_mul_f32_e32 v33, v1, v33
	v_add_f32_e32 v13, v28, v13
	v_bfe_u32 v34, v33, 16, 1
	v_or_b32_e32 v35, 0x400000, v33
	v_cmp_u_f32_e32 vcc_lo, v33, v33
	v_add_f32_e32 v13, v29, v13
	v_add3_u32 v34, v34, v33, 0x7fff
	v_cndmask_b32_e32 v33, v34, v35, vcc_lo
	v_bfe_u32 v34, v12, 16, 1
	v_or_b32_e32 v35, 0x400000, v12
	v_cmp_u_f32_e32 vcc_lo, v12, v12
	v_and_b32_e32 v28, 0xffff0000, v33
	v_add3_u32 v34, v34, v12, 0x7fff
	v_cndmask_b32_e32 v12, v34, v35, vcc_lo
	v_bfe_u32 v34, v32, 16, 1
	v_or_b32_e32 v35, 0x400000, v32
	v_cmp_u_f32_e32 vcc_lo, v32, v32
	v_and_b32_e32 v12, 0xffff0000, v12
	v_add3_u32 v34, v34, v32, 0x7fff
	v_add_f32_e32 v12, v12, v28
	v_cndmask_b32_e32 v32, v34, v35, vcc_lo
	v_lshlrev_b32_e32 v34, 16, v67
	v_add_f32_e32 v12, v13, v12
	v_and_b32_e32 v28, 0xffff0000, v32
	v_mul_f32_e32 v34, v2, v34
	v_bfe_u32 v35, v34, 16, 1
	v_or_b32_e32 v36, 0x400000, v34
	v_cmp_u_f32_e32 vcc_lo, v34, v34
	v_add3_u32 v35, v35, v34, 0x7fff
	v_cndmask_b32_e32 v34, v35, v36, vcc_lo
	v_and_b32_e32 v13, 0xffff0000, v34
	v_add_f32_e32 v13, v13, v28
	v_add_f32_e32 v12, v12, v13
	buffer_load_dword v13, off, s[0:3], s32 offset:244 ; 4-byte Folded Reload
	s_waitcnt vmcnt(0)
	v_add_f32_e32 v13, v13, v12
	v_lshlrev_b32_e32 v12, 16, v126
	buffer_store_dword v13, off, s[0:3], s32 offset:244 ; 4-byte Folded Spill
	v_mul_f32_e32 v12, v7, v12
	v_bfe_u32 v13, v12, 16, 1
	v_or_b32_e32 v28, 0x400000, v12
	v_cmp_u_f32_e32 vcc_lo, v12, v12
	v_add3_u32 v13, v13, v12, 0x7fff
	v_cndmask_b32_e32 v12, v13, v28, vcc_lo
	v_lshlrev_b32_e32 v13, 16, v127
	v_and_b32_e32 v12, 0xffff0000, v12
	v_mul_f32_e32 v13, v9, v13
	v_bfe_u32 v28, v13, 16, 1
	v_or_b32_e32 v29, 0x400000, v13
	v_cmp_u_f32_e32 vcc_lo, v13, v13
	v_add3_u32 v28, v28, v13, 0x7fff
	v_cndmask_b32_e32 v13, v28, v29, vcc_lo
	v_lshlrev_b32_e32 v28, 16, v101
	v_and_b32_e32 v13, 0xffff0000, v13
	v_mul_f32_e32 v28, v3, v28
	v_add_f32_e32 v12, v13, v12
	v_bfe_u32 v29, v28, 16, 1
	v_or_b32_e32 v31, 0x400000, v28
	v_cmp_u_f32_e32 vcc_lo, v28, v28
	v_add3_u32 v29, v29, v28, 0x7fff
	v_cndmask_b32_e32 v28, v29, v31, vcc_lo
	v_lshlrev_b32_e32 v29, 16, v102
	v_and_b32_e32 v28, 0xffff0000, v28
	v_mul_f32_e32 v29, v8, v29
	v_bfe_u32 v31, v29, 16, 1
	v_or_b32_e32 v32, 0x400000, v29
	v_cmp_u_f32_e32 vcc_lo, v29, v29
	v_add3_u32 v31, v31, v29, 0x7fff
	v_cndmask_b32_e32 v29, v31, v32, vcc_lo
	v_lshlrev_b32_e32 v31, 16, v98
	v_and_b32_e32 v13, 0xffff0000, v29
	v_mul_f32_e32 v31, v1, v31
	v_add_f32_e32 v13, v13, v28
	v_bfe_u32 v32, v31, 16, 1
	v_or_b32_e32 v33, 0x400000, v31
	v_cmp_u_f32_e32 vcc_lo, v31, v31
	v_add_f32_e32 v12, v12, v13
	v_add3_u32 v32, v32, v31, 0x7fff
	v_cndmask_b32_e32 v31, v32, v33, vcc_lo
	v_lshlrev_b32_e32 v32, 16, v99
	v_and_b32_e32 v28, 0xffff0000, v31
	v_mul_f32_e32 v32, v6, v32
	v_bfe_u32 v33, v32, 16, 1
	v_or_b32_e32 v34, 0x400000, v32
	v_cmp_u_f32_e32 vcc_lo, v32, v32
	v_add3_u32 v33, v33, v32, 0x7fff
	v_cndmask_b32_e32 v32, v33, v34, vcc_lo
	v_bfe_u32 v33, v25, 16, 1
	v_or_b32_e32 v34, 0x400000, v25
	v_cmp_u_f32_e32 vcc_lo, v25, v25
	v_and_b32_e32 v13, 0xffff0000, v32
	v_add3_u32 v33, v33, v25, 0x7fff
	v_add_f32_e32 v13, v13, v28
	v_cndmask_b32_e32 v25, v33, v34, vcc_lo
	v_lshlrev_b32_e32 v33, 16, v125
	v_add_f32_e32 v12, v12, v13
	v_and_b32_e32 v25, 0xffff0000, v25
	v_mul_f32_e32 v33, v2, v33
	v_bfe_u32 v34, v33, 16, 1
	v_or_b32_e32 v35, 0x400000, v33
	v_cmp_u_f32_e32 vcc_lo, v33, v33
	v_add3_u32 v34, v34, v33, 0x7fff
	v_cndmask_b32_e32 v33, v34, v35, vcc_lo
	v_and_b32_e32 v13, 0xffff0000, v33
	v_add_f32_e32 v13, v13, v25
	v_add_f32_e32 v12, v12, v13
	buffer_load_dword v13, off, s[0:3], s32 offset:248 ; 4-byte Folded Reload
	s_waitcnt vmcnt(0)
	v_add_f32_e32 v13, v13, v12
	v_lshlrev_b32_e32 v12, 16, v22
	buffer_store_dword v13, off, s[0:3], s32 offset:248 ; 4-byte Folded Spill
	v_mul_f32_e32 v12, v7, v12
	v_bfe_u32 v13, v12, 16, 1
	v_or_b32_e32 v22, 0x400000, v12
	v_cmp_u_f32_e32 vcc_lo, v12, v12
	v_add3_u32 v13, v13, v12, 0x7fff
	v_cndmask_b32_e32 v12, v13, v22, vcc_lo
	v_lshlrev_b32_e32 v13, 16, v20
	v_and_b32_e32 v12, 0xffff0000, v12
	v_mul_f32_e32 v13, v9, v13
	v_bfe_u32 v20, v13, 16, 1
	v_or_b32_e32 v22, 0x400000, v13
	v_cmp_u_f32_e32 vcc_lo, v13, v13
	v_add3_u32 v20, v20, v13, 0x7fff
	v_cndmask_b32_e32 v13, v20, v22, vcc_lo
	v_lshlrev_b32_e32 v20, 16, v26
	v_and_b32_e32 v13, 0xffff0000, v13
	v_mul_f32_e32 v20, v3, v20
	v_add_f32_e32 v12, v13, v12
	v_bfe_u32 v22, v20, 16, 1
	v_or_b32_e32 v25, 0x400000, v20
	v_cmp_u_f32_e32 vcc_lo, v20, v20
	v_add3_u32 v22, v22, v20, 0x7fff
	v_cndmask_b32_e32 v20, v22, v25, vcc_lo
	v_lshlrev_b32_e32 v22, 16, v27
	v_and_b32_e32 v20, 0xffff0000, v20
	v_mul_f32_e32 v22, v8, v22
	v_bfe_u32 v25, v22, 16, 1
	v_or_b32_e32 v26, 0x400000, v22
	v_cmp_u_f32_e32 vcc_lo, v22, v22
	v_add3_u32 v25, v25, v22, 0x7fff
	v_cndmask_b32_e32 v22, v25, v26, vcc_lo
	v_bfe_u32 v25, v4, 16, 1
	v_or_b32_e32 v26, 0x400000, v4
	v_cmp_u_f32_e32 vcc_lo, v4, v4
	v_and_b32_e32 v13, 0xffff0000, v22
	v_add3_u32 v25, v25, v4, 0x7fff
	v_add_f32_e32 v13, v13, v20
	v_cndmask_b32_e32 v4, v25, v26, vcc_lo
	v_bfe_u32 v25, v21, 16, 1
	v_or_b32_e32 v26, 0x400000, v21
	v_cmp_u_f32_e32 vcc_lo, v21, v21
	v_add_f32_e32 v12, v12, v13
	v_and_b32_e32 v4, 0xffff0000, v4
	v_add3_u32 v25, v25, v21, 0x7fff
	v_cndmask_b32_e32 v21, v25, v26, vcc_lo
	v_lshlrev_b32_e32 v25, 16, v87
	v_and_b32_e32 v13, 0xffff0000, v21
	v_mul_f32_e32 v25, v0, v25
	v_add_f32_e32 v4, v13, v4
	v_bfe_u32 v26, v25, 16, 1
	v_or_b32_e32 v27, 0x400000, v25
	v_cmp_u_f32_e32 vcc_lo, v25, v25
	v_add_f32_e32 v4, v12, v4
	v_add3_u32 v26, v26, v25, 0x7fff
	v_cndmask_b32_e32 v25, v26, v27, vcc_lo
	v_lshlrev_b32_e32 v26, 16, v86
	v_and_b32_e32 v13, 0xffff0000, v25
	v_mul_f32_e32 v26, v2, v26
	v_bfe_u32 v27, v26, 16, 1
	v_or_b32_e32 v28, 0x400000, v26
	v_cmp_u_f32_e32 vcc_lo, v26, v26
	v_add3_u32 v27, v27, v26, 0x7fff
	v_cndmask_b32_e32 v26, v27, v28, vcc_lo
	v_and_b32_e32 v12, 0xffff0000, v26
	v_add_f32_e32 v12, v12, v13
	v_add_f32_e32 v4, v4, v12
	buffer_load_dword v12, off, s[0:3], s32 offset:252 ; 4-byte Folded Reload
	s_waitcnt vmcnt(0)
	v_add_f32_e32 v12, v12, v4
	v_lshlrev_b32_e32 v4, 16, v5
	buffer_store_dword v12, off, s[0:3], s32 offset:252 ; 4-byte Folded Spill
	v_mul_f32_e32 v4, v7, v4
	v_bfe_u32 v5, v4, 16, 1
	v_or_b32_e32 v12, 0x400000, v4
	v_cmp_u_f32_e32 vcc_lo, v4, v4
	v_add3_u32 v5, v5, v4, 0x7fff
	v_cndmask_b32_e32 v4, v5, v12, vcc_lo
	v_lshlrev_b32_e32 v5, 16, v39
	v_and_b32_e32 v4, 0xffff0000, v4
	v_mul_f32_e32 v5, v9, v5
	v_bfe_u32 v12, v5, 16, 1
	v_or_b32_e32 v13, 0x400000, v5
	v_cmp_u_f32_e32 vcc_lo, v5, v5
	v_add3_u32 v12, v12, v5, 0x7fff
	v_cndmask_b32_e32 v5, v12, v13, vcc_lo
	v_lshlrev_b32_e32 v12, 16, v121
	v_and_b32_e32 v5, 0xffff0000, v5
	v_mul_f32_e32 v12, v3, v12
	v_add_f32_e32 v4, v5, v4
	v_bfe_u32 v13, v12, 16, 1
	v_or_b32_e32 v20, 0x400000, v12
	v_cmp_u_f32_e32 vcc_lo, v12, v12
	v_add3_u32 v13, v13, v12, 0x7fff
	v_cndmask_b32_e32 v12, v13, v20, vcc_lo
	v_lshlrev_b32_e32 v13, 16, v122
	v_and_b32_e32 v12, 0xffff0000, v12
	v_mul_f32_e32 v13, v8, v13
	v_bfe_u32 v20, v13, 16, 1
	v_or_b32_e32 v21, 0x400000, v13
	v_cmp_u_f32_e32 vcc_lo, v13, v13
	v_add3_u32 v20, v20, v13, 0x7fff
	v_cndmask_b32_e32 v13, v20, v21, vcc_lo
	v_lshlrev_b32_e32 v20, 16, v111
	v_and_b32_e32 v5, 0xffff0000, v13
	v_mul_f32_e32 v20, v1, v20
	v_add_f32_e32 v5, v5, v12
	v_bfe_u32 v21, v20, 16, 1
	v_or_b32_e32 v22, 0x400000, v20
	v_cmp_u_f32_e32 vcc_lo, v20, v20
	v_add_f32_e32 v4, v4, v5
	v_add3_u32 v21, v21, v20, 0x7fff
	v_cndmask_b32_e32 v20, v21, v22, vcc_lo
	v_lshlrev_b32_e32 v21, 16, v120
	v_and_b32_e32 v12, 0xffff0000, v20
	v_mul_f32_e32 v21, v6, v21
	v_bfe_u32 v22, v21, 16, 1
	v_or_b32_e32 v25, 0x400000, v21
	v_cmp_u_f32_e32 vcc_lo, v21, v21
	v_add3_u32 v22, v22, v21, 0x7fff
	v_cndmask_b32_e32 v21, v22, v25, vcc_lo
	v_lshlrev_b32_e32 v22, 16, v124
	v_and_b32_e32 v5, 0xffff0000, v21
	v_mul_f32_e32 v22, v0, v22
	v_add_f32_e32 v5, v5, v12
	v_bfe_u32 v25, v22, 16, 1
	v_or_b32_e32 v26, 0x400000, v22
	v_cmp_u_f32_e32 vcc_lo, v22, v22
	v_add_f32_e32 v4, v4, v5
	v_add3_u32 v25, v25, v22, 0x7fff
	v_cndmask_b32_e32 v22, v25, v26, vcc_lo
	v_lshlrev_b32_e32 v25, 16, v123
	v_and_b32_e32 v12, 0xffff0000, v22
	v_mul_f32_e32 v25, v2, v25
	v_bfe_u32 v26, v25, 16, 1
	v_or_b32_e32 v27, 0x400000, v25
	v_cmp_u_f32_e32 vcc_lo, v25, v25
	v_add3_u32 v26, v26, v25, 0x7fff
	v_cndmask_b32_e32 v25, v26, v27, vcc_lo
	v_and_b32_e32 v5, 0xffff0000, v25
	v_add_f32_e32 v5, v5, v12
	v_add_f32_e32 v4, v4, v5
	buffer_load_dword v5, off, s[0:3], s32 offset:256 ; 4-byte Folded Reload
	s_waitcnt vmcnt(0)
	v_add_f32_e32 v5, v5, v4
	v_lshlrev_b32_e32 v4, 16, v110
	buffer_store_dword v5, off, s[0:3], s32 offset:256 ; 4-byte Folded Spill
	v_mul_f32_e32 v4, v7, v4
	v_bfe_u32 v5, v4, 16, 1
	v_or_b32_e32 v12, 0x400000, v4
	v_cmp_u_f32_e32 vcc_lo, v4, v4
	v_add3_u32 v5, v5, v4, 0x7fff
	v_cndmask_b32_e32 v4, v5, v12, vcc_lo
	v_lshlrev_b32_e32 v5, 16, v109
	v_and_b32_e32 v4, 0xffff0000, v4
	v_mul_f32_e32 v5, v9, v5
	v_bfe_u32 v12, v5, 16, 1
	v_or_b32_e32 v13, 0x400000, v5
	v_cmp_u_f32_e32 vcc_lo, v5, v5
	v_add3_u32 v12, v12, v5, 0x7fff
	v_cndmask_b32_e32 v5, v12, v13, vcc_lo
	v_lshlrev_b32_e32 v12, 16, v107
	v_and_b32_e32 v5, 0xffff0000, v5
	v_mul_f32_e32 v12, v3, v12
	v_add_f32_e32 v4, v5, v4
	v_bfe_u32 v13, v12, 16, 1
	v_or_b32_e32 v20, 0x400000, v12
	v_cmp_u_f32_e32 vcc_lo, v12, v12
	v_add3_u32 v13, v13, v12, 0x7fff
	v_cndmask_b32_e32 v12, v13, v20, vcc_lo
	v_lshlrev_b32_e32 v13, 16, v108
	v_and_b32_e32 v12, 0xffff0000, v12
	v_mul_f32_e32 v13, v8, v13
	v_bfe_u32 v20, v13, 16, 1
	v_or_b32_e32 v21, 0x400000, v13
	v_cmp_u_f32_e32 vcc_lo, v13, v13
	v_add3_u32 v20, v20, v13, 0x7fff
	v_cndmask_b32_e32 v13, v20, v21, vcc_lo
	v_lshlrev_b32_e32 v20, 16, v104
	v_and_b32_e32 v5, 0xffff0000, v13
	v_mul_f32_e32 v20, v1, v20
	v_add_f32_e32 v5, v5, v12
	v_bfe_u32 v21, v20, 16, 1
	v_or_b32_e32 v22, 0x400000, v20
	v_cmp_u_f32_e32 vcc_lo, v20, v20
	v_add_f32_e32 v4, v4, v5
	v_add3_u32 v21, v21, v20, 0x7fff
	v_cndmask_b32_e32 v20, v21, v22, vcc_lo
	v_lshlrev_b32_e32 v21, 16, v95
	v_and_b32_e32 v12, 0xffff0000, v20
	v_mul_f32_e32 v21, v6, v21
	v_bfe_u32 v22, v21, 16, 1
	v_or_b32_e32 v25, 0x400000, v21
	v_cmp_u_f32_e32 vcc_lo, v21, v21
	v_add3_u32 v22, v22, v21, 0x7fff
	v_cndmask_b32_e32 v21, v22, v25, vcc_lo
	v_lshlrev_b32_e32 v22, 16, v106
	v_and_b32_e32 v5, 0xffff0000, v21
	v_mul_f32_e32 v22, v0, v22
	v_add_f32_e32 v5, v5, v12
	v_bfe_u32 v25, v22, 16, 1
	v_or_b32_e32 v26, 0x400000, v22
	v_cmp_u_f32_e32 vcc_lo, v22, v22
	v_add_f32_e32 v4, v4, v5
	v_add3_u32 v25, v25, v22, 0x7fff
	v_cndmask_b32_e32 v22, v25, v26, vcc_lo
	v_lshlrev_b32_e32 v25, 16, v105
	v_and_b32_e32 v12, 0xffff0000, v22
	v_mul_f32_e32 v25, v2, v25
	v_bfe_u32 v26, v25, 16, 1
	v_or_b32_e32 v27, 0x400000, v25
	v_cmp_u_f32_e32 vcc_lo, v25, v25
	v_add3_u32 v26, v26, v25, 0x7fff
	v_cndmask_b32_e32 v25, v26, v27, vcc_lo
	v_and_b32_e32 v5, 0xffff0000, v25
	v_add_f32_e32 v5, v5, v12
	v_add_f32_e32 v4, v4, v5
	buffer_load_dword v5, off, s[0:3], s32 offset:260 ; 4-byte Folded Reload
	s_waitcnt vmcnt(0)
	v_add_f32_e32 v5, v5, v4
	v_lshlrev_b32_e32 v4, 16, v94
	buffer_store_dword v5, off, s[0:3], s32 offset:260 ; 4-byte Folded Spill
	v_mul_f32_e32 v4, v7, v4
	v_bfe_u32 v5, v4, 16, 1
	v_or_b32_e32 v12, 0x400000, v4
	v_cmp_u_f32_e32 vcc_lo, v4, v4
	v_add3_u32 v5, v5, v4, 0x7fff
	v_cndmask_b32_e32 v4, v5, v12, vcc_lo
	v_lshlrev_b32_e32 v5, 16, v93
	v_and_b32_e32 v4, 0xffff0000, v4
	v_mul_f32_e32 v5, v9, v5
	v_bfe_u32 v12, v5, 16, 1
	v_or_b32_e32 v13, 0x400000, v5
	v_cmp_u_f32_e32 vcc_lo, v5, v5
	v_add3_u32 v12, v12, v5, 0x7fff
	v_cndmask_b32_e32 v5, v12, v13, vcc_lo
	v_lshlrev_b32_e32 v12, 16, v91
	v_and_b32_e32 v5, 0xffff0000, v5
	v_mul_f32_e32 v12, v3, v12
	v_add_f32_e32 v4, v5, v4
	v_bfe_u32 v13, v12, 16, 1
	v_or_b32_e32 v20, 0x400000, v12
	v_cmp_u_f32_e32 vcc_lo, v12, v12
	v_add3_u32 v13, v13, v12, 0x7fff
	v_cndmask_b32_e32 v12, v13, v20, vcc_lo
	v_lshlrev_b32_e32 v13, 16, v92
	v_and_b32_e32 v12, 0xffff0000, v12
	v_mul_f32_e32 v13, v8, v13
	v_bfe_u32 v20, v13, 16, 1
	v_or_b32_e32 v21, 0x400000, v13
	v_cmp_u_f32_e32 vcc_lo, v13, v13
	v_add3_u32 v20, v20, v13, 0x7fff
	v_cndmask_b32_e32 v13, v20, v21, vcc_lo
	v_lshlrev_b32_e32 v20, 16, v88
	v_and_b32_e32 v5, 0xffff0000, v13
	v_mul_f32_e32 v20, v1, v20
	v_add_f32_e32 v5, v5, v12
	v_bfe_u32 v21, v20, 16, 1
	v_or_b32_e32 v22, 0x400000, v20
	v_cmp_u_f32_e32 vcc_lo, v20, v20
	v_add_f32_e32 v4, v4, v5
	v_add3_u32 v21, v21, v20, 0x7fff
	v_cndmask_b32_e32 v20, v21, v22, vcc_lo
	v_lshlrev_b32_e32 v21, 16, v79
	v_and_b32_e32 v12, 0xffff0000, v20
	v_mul_f32_e32 v21, v6, v21
	v_bfe_u32 v22, v21, 16, 1
	v_or_b32_e32 v25, 0x400000, v21
	v_cmp_u_f32_e32 vcc_lo, v21, v21
	v_add3_u32 v22, v22, v21, 0x7fff
	v_cndmask_b32_e32 v21, v22, v25, vcc_lo
	v_lshlrev_b32_e32 v22, 16, v90
	v_and_b32_e32 v5, 0xffff0000, v21
	v_mul_f32_e32 v22, v0, v22
	v_add_f32_e32 v5, v5, v12
	v_bfe_u32 v25, v22, 16, 1
	v_or_b32_e32 v26, 0x400000, v22
	v_cmp_u_f32_e32 vcc_lo, v22, v22
	v_add_f32_e32 v4, v4, v5
	v_add3_u32 v25, v25, v22, 0x7fff
	v_cndmask_b32_e32 v22, v25, v26, vcc_lo
	v_lshlrev_b32_e32 v25, 16, v89
	v_and_b32_e32 v12, 0xffff0000, v22
	v_mul_f32_e32 v25, v2, v25
	v_bfe_u32 v26, v25, 16, 1
	v_or_b32_e32 v27, 0x400000, v25
	v_cmp_u_f32_e32 vcc_lo, v25, v25
	v_add3_u32 v26, v26, v25, 0x7fff
	v_cndmask_b32_e32 v25, v26, v27, vcc_lo
	v_and_b32_e32 v5, 0xffff0000, v25
	v_add_f32_e32 v5, v5, v12
	v_add_f32_e32 v4, v4, v5
	buffer_load_dword v5, off, s[0:3], s32 offset:264 ; 4-byte Folded Reload
	s_waitcnt vmcnt(0)
	v_add_f32_e32 v5, v5, v4
	v_lshlrev_b32_e32 v4, 16, v78
	buffer_store_dword v5, off, s[0:3], s32 offset:264 ; 4-byte Folded Spill
	v_mul_f32_e32 v4, v7, v4
	v_bfe_u32 v5, v4, 16, 1
	v_or_b32_e32 v12, 0x400000, v4
	v_cmp_u_f32_e32 vcc_lo, v4, v4
	v_add3_u32 v5, v5, v4, 0x7fff
	v_cndmask_b32_e32 v4, v5, v12, vcc_lo
	v_lshlrev_b32_e32 v5, 16, v77
	v_and_b32_e32 v4, 0xffff0000, v4
	v_mul_f32_e32 v5, v9, v5
	v_bfe_u32 v12, v5, 16, 1
	v_or_b32_e32 v13, 0x400000, v5
	v_cmp_u_f32_e32 vcc_lo, v5, v5
	v_add3_u32 v12, v12, v5, 0x7fff
	v_cndmask_b32_e32 v5, v12, v13, vcc_lo
	v_lshlrev_b32_e32 v12, 16, v75
	v_and_b32_e32 v5, 0xffff0000, v5
	v_mul_f32_e32 v12, v3, v12
	v_add_f32_e32 v4, v5, v4
	v_bfe_u32 v13, v12, 16, 1
	v_or_b32_e32 v20, 0x400000, v12
	v_cmp_u_f32_e32 vcc_lo, v12, v12
	v_add3_u32 v13, v13, v12, 0x7fff
	v_cndmask_b32_e32 v12, v13, v20, vcc_lo
	v_lshlrev_b32_e32 v13, 16, v76
	v_and_b32_e32 v12, 0xffff0000, v12
	v_mul_f32_e32 v13, v8, v13
	v_bfe_u32 v20, v13, 16, 1
	v_or_b32_e32 v21, 0x400000, v13
	v_cmp_u_f32_e32 vcc_lo, v13, v13
	v_add3_u32 v20, v20, v13, 0x7fff
	v_cndmask_b32_e32 v13, v20, v21, vcc_lo
	v_lshlrev_b32_e32 v20, 16, v72
	v_and_b32_e32 v5, 0xffff0000, v13
	v_mul_f32_e32 v20, v1, v20
	v_add_f32_e32 v5, v5, v12
	v_bfe_u32 v21, v20, 16, 1
	v_or_b32_e32 v22, 0x400000, v20
	v_cmp_u_f32_e32 vcc_lo, v20, v20
	v_add_f32_e32 v4, v4, v5
	v_add3_u32 v21, v21, v20, 0x7fff
	v_cndmask_b32_e32 v20, v21, v22, vcc_lo
	v_lshlrev_b32_e32 v21, 16, v63
	v_and_b32_e32 v12, 0xffff0000, v20
	v_mul_f32_e32 v21, v6, v21
	v_bfe_u32 v22, v21, 16, 1
	v_or_b32_e32 v25, 0x400000, v21
	v_cmp_u_f32_e32 vcc_lo, v21, v21
	v_add3_u32 v22, v22, v21, 0x7fff
	v_cndmask_b32_e32 v21, v22, v25, vcc_lo
	v_lshlrev_b32_e32 v22, 16, v74
	v_and_b32_e32 v5, 0xffff0000, v21
	v_mul_f32_e32 v22, v0, v22
	v_add_f32_e32 v5, v5, v12
	v_bfe_u32 v25, v22, 16, 1
	v_or_b32_e32 v26, 0x400000, v22
	v_cmp_u_f32_e32 vcc_lo, v22, v22
	v_add_f32_e32 v4, v4, v5
	v_add3_u32 v25, v25, v22, 0x7fff
	v_cndmask_b32_e32 v22, v25, v26, vcc_lo
	v_lshlrev_b32_e32 v25, 16, v73
	v_and_b32_e32 v12, 0xffff0000, v22
	v_mul_f32_e32 v25, v2, v25
	v_bfe_u32 v26, v25, 16, 1
	v_or_b32_e32 v27, 0x400000, v25
	v_cmp_u_f32_e32 vcc_lo, v25, v25
	v_add3_u32 v26, v26, v25, 0x7fff
	v_cndmask_b32_e32 v25, v26, v27, vcc_lo
	v_and_b32_e32 v5, 0xffff0000, v25
	v_add_f32_e32 v5, v5, v12
	v_add_f32_e32 v4, v4, v5
	buffer_load_dword v5, off, s[0:3], s32 offset:268 ; 4-byte Folded Reload
	s_waitcnt vmcnt(0)
	v_add_f32_e32 v5, v5, v4
	v_lshlrev_b32_e32 v4, 16, v46
	buffer_store_dword v5, off, s[0:3], s32 offset:268 ; 4-byte Folded Spill
	v_mul_f32_e32 v4, v7, v4
	v_bfe_u32 v5, v4, 16, 1
	v_or_b32_e32 v12, 0x400000, v4
	v_cmp_u_f32_e32 vcc_lo, v4, v4
	v_add3_u32 v5, v5, v4, 0x7fff
	v_cndmask_b32_e32 v4, v5, v12, vcc_lo
	v_lshlrev_b32_e32 v5, 16, v45
	v_and_b32_e32 v4, 0xffff0000, v4
	v_mul_f32_e32 v5, v9, v5
	v_bfe_u32 v12, v5, 16, 1
	v_or_b32_e32 v13, 0x400000, v5
	v_cmp_u_f32_e32 vcc_lo, v5, v5
	v_add3_u32 v12, v12, v5, 0x7fff
	v_cndmask_b32_e32 v5, v12, v13, vcc_lo
	v_lshlrev_b32_e32 v12, 16, v42
	v_and_b32_e32 v5, 0xffff0000, v5
	v_mul_f32_e32 v12, v3, v12
	v_add_f32_e32 v4, v5, v4
	v_bfe_u32 v13, v12, 16, 1
	v_or_b32_e32 v20, 0x400000, v12
	v_cmp_u_f32_e32 vcc_lo, v12, v12
	v_add3_u32 v13, v13, v12, 0x7fff
	v_cndmask_b32_e32 v12, v13, v20, vcc_lo
	v_lshlrev_b32_e32 v13, 16, v43
	v_and_b32_e32 v12, 0xffff0000, v12
	v_mul_f32_e32 v13, v8, v13
	v_bfe_u32 v20, v13, 16, 1
	v_or_b32_e32 v21, 0x400000, v13
	v_cmp_u_f32_e32 vcc_lo, v13, v13
	v_add3_u32 v20, v20, v13, 0x7fff
	v_cndmask_b32_e32 v13, v20, v21, vcc_lo
	v_lshlrev_b32_e32 v20, 16, v40
	v_and_b32_e32 v5, 0xffff0000, v13
	v_mul_f32_e32 v20, v1, v20
	v_add_f32_e32 v5, v5, v12
	v_bfe_u32 v21, v20, 16, 1
	v_or_b32_e32 v22, 0x400000, v20
	v_cmp_u_f32_e32 vcc_lo, v20, v20
	v_add_f32_e32 v4, v4, v5
	v_add3_u32 v21, v21, v20, 0x7fff
	v_cndmask_b32_e32 v20, v21, v22, vcc_lo
	v_lshlrev_b32_e32 v21, 16, v119
	v_and_b32_e32 v12, 0xffff0000, v20
	v_mul_f32_e32 v21, v6, v21
	v_bfe_u32 v22, v21, 16, 1
	v_or_b32_e32 v25, 0x400000, v21
	v_cmp_u_f32_e32 vcc_lo, v21, v21
	v_add3_u32 v22, v22, v21, 0x7fff
	v_cndmask_b32_e32 v21, v22, v25, vcc_lo
	v_lshlrev_b32_e32 v22, 16, v41
	v_and_b32_e32 v5, 0xffff0000, v21
	v_mul_f32_e32 v22, v0, v22
	v_add_f32_e32 v5, v5, v12
	v_bfe_u32 v25, v22, 16, 1
	v_or_b32_e32 v26, 0x400000, v22
	v_cmp_u_f32_e32 vcc_lo, v22, v22
	v_add_f32_e32 v4, v4, v5
	v_add3_u32 v25, v25, v22, 0x7fff
	v_cndmask_b32_e32 v22, v25, v26, vcc_lo
	v_lshlrev_b32_e32 v25, 16, v118
	v_and_b32_e32 v12, 0xffff0000, v22
	v_mul_f32_e32 v25, v2, v25
	v_bfe_u32 v26, v25, 16, 1
	v_or_b32_e32 v27, 0x400000, v25
	v_cmp_u_f32_e32 vcc_lo, v25, v25
	v_add3_u32 v26, v26, v25, 0x7fff
	v_cndmask_b32_e32 v25, v26, v27, vcc_lo
	v_and_b32_e32 v5, 0xffff0000, v25
	v_add_f32_e32 v5, v5, v12
	v_add_f32_e32 v4, v4, v5
	buffer_load_dword v5, off, s[0:3], s32 offset:272 ; 4-byte Folded Reload
	s_waitcnt vmcnt(0)
	v_add_f32_e32 v5, v5, v4
	v_lshlrev_b32_e32 v4, 16, v117
	buffer_store_dword v5, off, s[0:3], s32 offset:272 ; 4-byte Folded Spill
	v_mul_f32_e32 v4, v7, v4
	v_bfe_u32 v5, v4, 16, 1
	v_or_b32_e32 v12, 0x400000, v4
	v_cmp_u_f32_e32 vcc_lo, v4, v4
	v_add3_u32 v5, v5, v4, 0x7fff
	v_cndmask_b32_e32 v4, v5, v12, vcc_lo
	v_lshlrev_b32_e32 v5, 16, v116
	v_and_b32_e32 v4, 0xffff0000, v4
	v_mul_f32_e32 v5, v9, v5
	v_bfe_u32 v12, v5, 16, 1
	v_or_b32_e32 v13, 0x400000, v5
	v_cmp_u_f32_e32 vcc_lo, v5, v5
	v_add3_u32 v12, v12, v5, 0x7fff
	v_cndmask_b32_e32 v5, v12, v13, vcc_lo
	v_lshlrev_b32_e32 v12, 16, v114
	v_and_b32_e32 v5, 0xffff0000, v5
	v_mul_f32_e32 v12, v3, v12
	v_add_f32_e32 v4, v5, v4
	v_bfe_u32 v13, v12, 16, 1
	v_or_b32_e32 v20, 0x400000, v12
	v_cmp_u_f32_e32 vcc_lo, v12, v12
	v_add3_u32 v13, v13, v12, 0x7fff
	v_cndmask_b32_e32 v12, v13, v20, vcc_lo
	v_lshlrev_b32_e32 v13, 16, v115
	v_and_b32_e32 v12, 0xffff0000, v12
	v_mul_f32_e32 v13, v8, v13
	v_bfe_u32 v20, v13, 16, 1
	v_or_b32_e32 v21, 0x400000, v13
	v_cmp_u_f32_e32 vcc_lo, v13, v13
	v_add3_u32 v20, v20, v13, 0x7fff
	v_cndmask_b32_e32 v13, v20, v21, vcc_lo
	v_lshlrev_b32_e32 v20, 16, v113
	v_and_b32_e32 v5, 0xffff0000, v13
	v_mul_f32_e32 v20, v1, v20
	v_add_f32_e32 v5, v5, v12
	v_bfe_u32 v21, v20, 16, 1
	v_or_b32_e32 v22, 0x400000, v20
	v_cmp_u_f32_e32 vcc_lo, v20, v20
	v_add_f32_e32 v4, v4, v5
	v_add3_u32 v21, v21, v20, 0x7fff
	v_cndmask_b32_e32 v20, v21, v22, vcc_lo
	v_lshlrev_b32_e32 v21, 16, v103
	v_and_b32_e32 v12, 0xffff0000, v20
	v_mul_f32_e32 v21, v6, v21
	v_bfe_u32 v22, v21, 16, 1
	v_or_b32_e32 v25, 0x400000, v21
	v_cmp_u_f32_e32 vcc_lo, v21, v21
	v_add3_u32 v22, v22, v21, 0x7fff
	v_cndmask_b32_e32 v21, v22, v25, vcc_lo
	v_lshlrev_b32_e32 v22, 16, v112
	v_and_b32_e32 v5, 0xffff0000, v21
	v_mul_f32_e32 v22, v0, v22
	v_add_f32_e32 v5, v5, v12
	v_bfe_u32 v25, v22, 16, 1
	v_or_b32_e32 v26, 0x400000, v22
	v_cmp_u_f32_e32 vcc_lo, v22, v22
	v_add_f32_e32 v4, v4, v5
	v_add3_u32 v25, v25, v22, 0x7fff
	v_cndmask_b32_e32 v22, v25, v26, vcc_lo
	v_lshlrev_b32_e32 v25, 16, v85
	v_and_b32_e32 v12, 0xffff0000, v22
	v_mul_f32_e32 v25, v2, v25
	v_bfe_u32 v26, v25, 16, 1
	v_or_b32_e32 v27, 0x400000, v25
	v_cmp_u_f32_e32 vcc_lo, v25, v25
	v_add3_u32 v26, v26, v25, 0x7fff
	v_cndmask_b32_e32 v25, v26, v27, vcc_lo
	v_and_b32_e32 v5, 0xffff0000, v25
	v_add_f32_e32 v5, v5, v12
	v_add_f32_e32 v4, v4, v5
	buffer_load_dword v5, off, s[0:3], s32 offset:280 ; 4-byte Folded Reload
	s_waitcnt vmcnt(0)
	v_add_f32_e32 v5, v5, v4
	v_lshlrev_b32_e32 v4, 16, v84
	buffer_store_dword v5, off, s[0:3], s32 offset:280 ; 4-byte Folded Spill
	v_mul_f32_e32 v4, v7, v4
	v_bfe_u32 v5, v4, 16, 1
	v_or_b32_e32 v12, 0x400000, v4
	v_cmp_u_f32_e32 vcc_lo, v4, v4
	v_add3_u32 v5, v5, v4, 0x7fff
	v_cndmask_b32_e32 v4, v5, v12, vcc_lo
	v_lshlrev_b32_e32 v5, 16, v83
	v_and_b32_e32 v4, 0xffff0000, v4
	v_mul_f32_e32 v5, v9, v5
	v_bfe_u32 v12, v5, 16, 1
	v_or_b32_e32 v13, 0x400000, v5
	v_cmp_u_f32_e32 vcc_lo, v5, v5
	v_add3_u32 v12, v12, v5, 0x7fff
	v_cndmask_b32_e32 v5, v12, v13, vcc_lo
	v_lshlrev_b32_e32 v12, 16, v81
	v_and_b32_e32 v5, 0xffff0000, v5
	v_mul_f32_e32 v12, v3, v12
	v_add_f32_e32 v4, v5, v4
	v_bfe_u32 v13, v12, 16, 1
	v_or_b32_e32 v20, 0x400000, v12
	v_cmp_u_f32_e32 vcc_lo, v12, v12
	v_add3_u32 v13, v13, v12, 0x7fff
	v_cndmask_b32_e32 v12, v13, v20, vcc_lo
	v_lshlrev_b32_e32 v13, 16, v82
	v_and_b32_e32 v12, 0xffff0000, v12
	v_mul_f32_e32 v13, v8, v13
	v_bfe_u32 v20, v13, 16, 1
	v_or_b32_e32 v21, 0x400000, v13
	v_cmp_u_f32_e32 vcc_lo, v13, v13
	v_add3_u32 v20, v20, v13, 0x7fff
	v_cndmask_b32_e32 v13, v20, v21, vcc_lo
	v_lshlrev_b32_e32 v20, 16, v80
	v_and_b32_e32 v5, 0xffff0000, v13
	v_mul_f32_e32 v20, v1, v20
	v_add_f32_e32 v5, v5, v12
	v_bfe_u32 v21, v20, 16, 1
	v_or_b32_e32 v22, 0x400000, v20
	v_cmp_u_f32_e32 vcc_lo, v20, v20
	v_add_f32_e32 v4, v4, v5
	v_add3_u32 v21, v21, v20, 0x7fff
	v_cndmask_b32_e32 v20, v21, v22, vcc_lo
	v_lshlrev_b32_e32 v21, 16, v70
	v_and_b32_e32 v12, 0xffff0000, v20
	v_mul_f32_e32 v21, v6, v21
	v_bfe_u32 v22, v21, 16, 1
	v_or_b32_e32 v25, 0x400000, v21
	v_cmp_u_f32_e32 vcc_lo, v21, v21
	v_add3_u32 v22, v22, v21, 0x7fff
	v_cndmask_b32_e32 v21, v22, v25, vcc_lo
	v_lshlrev_b32_e32 v22, 16, v71
	v_and_b32_e32 v5, 0xffff0000, v21
	v_mul_f32_e32 v22, v0, v22
	v_add_f32_e32 v5, v5, v12
	v_bfe_u32 v25, v22, 16, 1
	v_or_b32_e32 v26, 0x400000, v22
	v_cmp_u_f32_e32 vcc_lo, v22, v22
	v_add_f32_e32 v4, v4, v5
	v_add3_u32 v25, v25, v22, 0x7fff
	v_cndmask_b32_e32 v22, v25, v26, vcc_lo
	buffer_load_dword v25, off, s[0:3], s32 offset:208 ; 4-byte Folded Reload
	v_and_b32_e32 v12, 0xffff0000, v22
	s_waitcnt vmcnt(0)
	v_lshlrev_b32_e32 v25, 16, v25
	v_mul_f32_e32 v25, v2, v25
	v_bfe_u32 v26, v25, 16, 1
	v_or_b32_e32 v27, 0x400000, v25
	v_cmp_u_f32_e32 vcc_lo, v25, v25
	v_add3_u32 v26, v26, v25, 0x7fff
	v_cndmask_b32_e32 v25, v26, v27, vcc_lo
	v_and_b32_e32 v5, 0xffff0000, v25
	v_add_f32_e32 v5, v5, v12
	v_add_f32_e32 v4, v4, v5
	buffer_load_dword v5, off, s[0:3], s32 offset:276 ; 4-byte Folded Reload
	s_waitcnt vmcnt(0)
	v_add_f32_e32 v5, v5, v4
	v_lshlrev_b32_e32 v4, 16, v51
	buffer_store_dword v5, off, s[0:3], s32 offset:276 ; 4-byte Folded Spill
	v_mul_f32_e32 v4, v9, v4
	v_bfe_u32 v5, v4, 16, 1
	v_or_b32_e32 v9, 0x400000, v4
	v_cmp_u_f32_e32 vcc_lo, v4, v4
	v_add3_u32 v5, v5, v4, 0x7fff
	v_cndmask_b32_e32 v4, v5, v9, vcc_lo
	v_lshlrev_b32_e32 v5, 16, v24
	v_and_b32_e32 v4, 0xffff0000, v4
	v_mul_f32_e32 v5, v7, v5
	v_bfe_u32 v7, v5, 16, 1
	v_or_b32_e32 v9, 0x400000, v5
	v_cmp_u_f32_e32 vcc_lo, v5, v5
	v_add3_u32 v7, v7, v5, 0x7fff
	v_cndmask_b32_e32 v5, v7, v9, vcc_lo
	v_lshlrev_b32_e32 v7, 16, v19
	v_and_b32_e32 v5, 0xffff0000, v5
	v_mul_f32_e32 v7, v8, v7
	v_add_f32_e32 v4, v4, v5
	v_bfe_u32 v8, v7, 16, 1
	v_or_b32_e32 v9, 0x400000, v7
	v_cmp_u_f32_e32 vcc_lo, v7, v7
	v_add3_u32 v8, v8, v7, 0x7fff
	v_cndmask_b32_e32 v7, v8, v9, vcc_lo
	v_lshlrev_b32_e32 v8, 16, v17
	v_and_b32_e32 v5, 0xffff0000, v7
	v_mul_f32_e32 v3, v3, v8
	v_bfe_u32 v8, v3, 16, 1
	v_or_b32_e32 v9, 0x400000, v3
	v_cmp_u_f32_e32 vcc_lo, v3, v3
	v_add3_u32 v8, v8, v3, 0x7fff
	v_cndmask_b32_e32 v3, v8, v9, vcc_lo
	v_lshlrev_b32_e32 v8, 16, v16
	v_and_b32_e32 v3, 0xffff0000, v3
	v_mul_f32_e32 v6, v6, v8
	v_add_f32_e32 v3, v5, v3
	v_bfe_u32 v8, v6, 16, 1
	v_or_b32_e32 v9, 0x400000, v6
	v_cmp_u_f32_e32 vcc_lo, v6, v6
	v_add_f32_e32 v3, v4, v3
	v_add3_u32 v8, v8, v6, 0x7fff
	v_cndmask_b32_e32 v6, v8, v9, vcc_lo
	v_lshlrev_b32_e32 v8, 16, v10
	v_and_b32_e32 v4, 0xffff0000, v6
	v_mul_f32_e32 v1, v1, v8
	v_bfe_u32 v8, v1, 16, 1
	v_or_b32_e32 v9, 0x400000, v1
	v_cmp_u_f32_e32 vcc_lo, v1, v1
	v_add3_u32 v8, v8, v1, 0x7fff
	v_cndmask_b32_e32 v1, v8, v9, vcc_lo
	v_lshlrev_b32_e32 v8, 16, v18
	v_and_b32_e32 v1, 0xffff0000, v1
	v_mul_f32_e32 v2, v2, v8
	v_add_f32_e32 v1, v4, v1
	v_bfe_u32 v8, v2, 16, 1
	v_or_b32_e32 v9, 0x400000, v2
	v_cmp_u_f32_e32 vcc_lo, v2, v2
	v_add_f32_e32 v1, v3, v1
	v_add3_u32 v8, v8, v2, 0x7fff
	v_cndmask_b32_e32 v2, v8, v9, vcc_lo
	v_lshlrev_b32_e32 v8, 16, v23
	v_and_b32_e32 v2, 0xffff0000, v2
	v_mul_f32_e32 v0, v0, v8
	v_bfe_u32 v8, v0, 16, 1
	v_or_b32_e32 v9, 0x400000, v0
	v_cmp_u_f32_e32 vcc_lo, v0, v0
	v_add3_u32 v8, v8, v0, 0x7fff
	v_cndmask_b32_e32 v0, v8, v9, vcc_lo
	buffer_load_dword v8, off, s[0:3], s32 offset:288 ; 4-byte Folded Reload
	v_and_b32_e32 v0, 0xffff0000, v0
	v_add_f32_e32 v0, v2, v0
	v_add_f32_e32 v0, v1, v0
	s_waitcnt vmcnt(0)
	v_add_f32_e32 v8, v8, v0
.LBB356_809:                            ;   in Loop: Header=BB356_810 Depth=1
	s_or_b32 exec_lo, exec_lo, s15
	s_clause 0x1
	buffer_load_dword v0, off, s[0:3], s32 offset:200
	buffer_load_dword v1, off, s[0:3], s32 offset:204
	v_mov_b32_e32 v4, v64
	v_add_co_u32 v14, s4, v14, 16
	v_add_co_ci_u32_e64 v15, null, 0, v15, s4
	v_add_nc_u32_e32 v4, 64, v4
	v_add_nc_u32_e32 v66, 0x100, v66
	s_waitcnt vmcnt(1)
	v_mov_b32_e32 v2, v0
	buffer_load_dword v0, off, s[0:3], s32 offset:224 ; 4-byte Folded Reload
	v_add_nc_u32_e32 v2, 4, v2
	s_waitcnt vmcnt(1)
	v_mov_b32_e32 v1, v2
	buffer_store_dword v1, off, s[0:3], s32 offset:200 ; 4-byte Folded Spill
	buffer_store_dword v2, off, s[0:3], s32 offset:204 ; 4-byte Folded Spill
	s_waitcnt vmcnt(0)
	v_cmp_ge_i32_e32 vcc_lo, v2, v0
	s_or_b32 s11, vcc_lo, s11
	s_andn2_b32 exec_lo, exec_lo, s11
	s_cbranch_execz .LBB356_1603
.LBB356_810:                            ; =>This Inner Loop Header: Depth=1
	s_clause 0x1
	buffer_load_dword v1, off, s[0:3], s32 offset:232
	buffer_load_dword v5, off, s[0:3], s32 offset:228
	s_waitcnt vmcnt(2)
	v_sub_nc_u32_e32 v0, 0, v4
	v_mov_b32_e32 v64, v4
	v_max_i32_e32 v0, v4, v0
	s_waitcnt vmcnt(1)
	v_mul_hi_u32 v1, v0, v1
	s_waitcnt vmcnt(0)
	v_mul_lo_u32 v2, v1, v5
	v_sub_nc_u32_e32 v0, v0, v2
	v_add_nc_u32_e32 v2, 1, v1
	v_cmp_ge_u32_e32 vcc_lo, v0, v5
	v_sub_nc_u32_e32 v3, v0, v5
	v_cndmask_b32_e32 v1, v1, v2, vcc_lo
	v_ashrrev_i32_e32 v2, 31, v4
	buffer_load_dword v4, off, s[0:3], s32 offset:220 ; 4-byte Folded Reload
	v_cndmask_b32_e32 v0, v0, v3, vcc_lo
	v_add_nc_u32_e32 v3, 1, v1
	v_cmp_ge_u32_e32 vcc_lo, v0, v5
	v_cndmask_b32_e32 v0, v1, v3, vcc_lo
	s_waitcnt vmcnt(0)
	v_xor_b32_e32 v2, v2, v4
	v_xor_b32_e32 v0, v0, v2
	v_sub_nc_u32_e32 v0, v0, v2
	s_clause 0x2
	buffer_load_dword v1, off, s[0:3], s32 offset:212
	buffer_load_dword v2, off, s[0:3], s32 offset:216
	;; [unrolled: 1-line block ×3, first 2 shown]
	s_waitcnt vmcnt(2)
	v_add_nc_u32_e32 v1, v0, v1
	s_waitcnt vmcnt(1)
	v_sub_nc_u32_e32 v2, 0, v1
	v_max_i32_e32 v2, v1, v2
	v_ashrrev_i32_e32 v1, 31, v1
	s_waitcnt vmcnt(0)
	v_mul_hi_u32 v3, v2, v3
	v_mul_lo_u32 v3, v3, v30
	v_sub_nc_u32_e32 v2, v2, v3
	v_sub_nc_u32_e32 v3, v2, v30
	v_cmp_ge_u32_e32 vcc_lo, v2, v30
	v_cndmask_b32_e32 v2, v2, v3, vcc_lo
	v_sub_nc_u32_e32 v3, v2, v30
	v_cmp_ge_u32_e32 vcc_lo, v2, v30
	v_cndmask_b32_e32 v2, v2, v3, vcc_lo
	v_xor_b32_e32 v2, v2, v1
	v_sub_nc_u32_e32 v1, v2, v1
	v_cmp_eq_u32_e32 vcc_lo, 0, v1
	buffer_load_dword v1, off, s[0:3], s32 offset:236 ; 4-byte Folded Reload
	s_waitcnt vmcnt(0)
	v_cmp_gt_i32_e64 s4, v0, v1
	s_or_b32 s4, vcc_lo, s4
	s_and_saveexec_b32 s15, s4
	s_cbranch_execz .LBB356_809
; %bb.811:                              ;   in Loop: Header=BB356_810 Depth=1
	buffer_store_dword v8, off, s[0:3], s32 offset:288 ; 4-byte Folded Spill
	flat_load_dword v0, v[14:15]
	s_clause 0x2
	buffer_load_dword v1, off, s[0:3], s32 offset:312
	buffer_load_dword v2, off, s[0:3], s32 offset:300
	;; [unrolled: 1-line block ×3, first 2 shown]
	v_mov_b32_e32 v5, 0
	v_mov_b32_e32 v4, 0
	s_waitcnt vmcnt(0) lgkmcnt(0)
	v_mad_i64_i32 v[16:17], null, v0, v1, v[2:3]
	flat_load_dwordx2 v[18:19], v[16:17]
	s_clause 0x1
	buffer_load_dword v0, off, s[0:3], s32 offset:400
	buffer_load_dword v1, off, s[0:3], s32 offset:404
	s_waitcnt vmcnt(2) lgkmcnt(0)
	v_cmp_ne_u16_sdwa s16, v18, v11 src0_sel:BYTE_0 src1_sel:DWORD
	s_waitcnt vmcnt(0)
	flat_load_dword v44, v[0:1]
	ds_read2_b64 v[6:9], v66 offset1:1
	ds_read2_b64 v[0:3], v66 offset0:2 offset1:3
	s_and_saveexec_b32 s4, s16
	s_cbranch_execz .LBB356_819
; %bb.812:                              ;   in Loop: Header=BB356_810 Depth=1
	v_cmp_ne_u16_sdwa s17, v18, v53 src0_sel:BYTE_0 src1_sel:DWORD
	v_bfrev_b32_e32 v4, 1
	s_and_saveexec_b32 s16, s17
	s_cbranch_execz .LBB356_818
; %bb.813:                              ;   in Loop: Header=BB356_810 Depth=1
	v_and_b32_e32 v10, 0x7f, v18
	v_mov_b32_e32 v4, 0x7f800001
	s_mov_b32 s17, exec_lo
	v_cmpx_ne_u32_e32 0x7f, v10
	s_cbranch_execz .LBB356_817
; %bb.814:                              ;   in Loop: Header=BB356_810 Depth=1
	v_mov_b32_e32 v24, v19
	v_lshrrev_b32_e32 v4, 3, v10
	v_mov_b32_e32 v23, v18
	s_mov_b32 s18, exec_lo
	v_cmpx_gt_u32_e32 8, v10
; %bb.815:                              ;   in Loop: Header=BB356_810 Depth=1
	v_and_b32_e32 v4, 7, v18
	v_ffbh_u32_e32 v4, v4
	v_min_u32_e32 v4, 32, v4
	v_subrev_nc_u32_e32 v10, 28, v4
	v_sub_nc_u32_e32 v4, 29, v4
	v_lshlrev_b64 v[23:24], v10, v[18:19]
; %bb.816:                              ;   in Loop: Header=BB356_810 Depth=1
	s_or_b32 exec_lo, exec_lo, s18
	v_lshlrev_b32_e32 v10, 20, v23
	v_lshlrev_b32_e32 v12, 24, v18
	v_lshl_add_u32 v4, v4, 23, 0x3c000000
	v_and_b32_e32 v10, 0x700000, v10
	v_and_b32_e32 v12, 0x80000000, v12
	v_or3_b32 v4, v10, v12, v4
.LBB356_817:                            ;   in Loop: Header=BB356_810 Depth=1
	s_or_b32 exec_lo, exec_lo, s17
.LBB356_818:                            ;   in Loop: Header=BB356_810 Depth=1
	s_or_b32 exec_lo, exec_lo, s16
.LBB356_819:                            ;   in Loop: Header=BB356_810 Depth=1
	s_or_b32 exec_lo, exec_lo, s4
	v_cmp_ne_u16_sdwa s16, v18, v11 src0_sel:BYTE_1 src1_sel:DWORD
	s_and_saveexec_b32 s4, s16
	s_cbranch_execz .LBB356_827
; %bb.820:                              ;   in Loop: Header=BB356_810 Depth=1
	v_cmp_ne_u16_sdwa s17, v18, v53 src0_sel:BYTE_1 src1_sel:DWORD
	v_bfrev_b32_e32 v5, 1
	s_and_saveexec_b32 s16, s17
	s_cbranch_execz .LBB356_826
; %bb.821:                              ;   in Loop: Header=BB356_810 Depth=1
	v_mov_b32_e32 v5, 0xffff
	s_mov_b32 s17, exec_lo
	v_and_b32_sdwa v10, v5, v18 dst_sel:DWORD dst_unused:UNUSED_PAD src0_sel:DWORD src1_sel:BYTE_1
	v_mov_b32_e32 v5, 0x7f800001
	v_and_b32_e32 v12, 0x7f, v10
	v_cmpx_ne_u32_e32 0x7f, v12
	s_cbranch_execz .LBB356_825
; %bb.822:                              ;   in Loop: Header=BB356_810 Depth=1
	v_and_b32_e32 v10, 7, v10
	v_lshrrev_b32_e32 v5, 3, v12
	s_mov_b32 s18, exec_lo
	v_cmpx_gt_u32_e32 8, v12
; %bb.823:                              ;   in Loop: Header=BB356_810 Depth=1
	v_ffbh_u32_e32 v5, v10
	v_min_u32_e32 v5, 32, v5
	v_subrev_nc_u32_e32 v12, 28, v5
	v_sub_nc_u32_e32 v5, 29, v5
	v_lshlrev_b64 v[12:13], v12, v[10:11]
	v_and_b32_e32 v10, 7, v12
; %bb.824:                              ;   in Loop: Header=BB356_810 Depth=1
	s_or_b32 exec_lo, exec_lo, s18
	v_lshlrev_b32_e32 v12, 16, v18
	v_lshlrev_b32_e32 v10, 20, v10
	v_lshl_add_u32 v5, v5, 23, 0x3c000000
	v_and_b32_e32 v12, 0x80000000, v12
	v_or3_b32 v5, v10, v12, v5
.LBB356_825:                            ;   in Loop: Header=BB356_810 Depth=1
	s_or_b32 exec_lo, exec_lo, s17
.LBB356_826:                            ;   in Loop: Header=BB356_810 Depth=1
	s_or_b32 exec_lo, exec_lo, s16
.LBB356_827:                            ;   in Loop: Header=BB356_810 Depth=1
	s_or_b32 exec_lo, exec_lo, s4
	v_and_b32_sdwa v10, v18, v55 dst_sel:DWORD dst_unused:UNUSED_PAD src0_sel:WORD_1 src1_sel:DWORD
	v_mov_b32_e32 v13, 0
	v_mov_b32_e32 v12, 0
	s_mov_b32 s4, exec_lo
	v_cmpx_ne_u16_e32 0, v10
	s_cbranch_execz .LBB356_835
; %bb.828:                              ;   in Loop: Header=BB356_810 Depth=1
	v_bfrev_b32_e32 v12, 1
	s_mov_b32 s16, exec_lo
	v_cmpx_ne_u16_e32 0x80, v10
	s_cbranch_execz .LBB356_834
; %bb.829:                              ;   in Loop: Header=BB356_810 Depth=1
	v_bfe_u32 v20, v18, 16, 7
	v_mov_b32_e32 v12, 0x7f800001
	s_mov_b32 s17, exec_lo
	v_cmpx_ne_u32_e32 0x7f, v20
	s_cbranch_execz .LBB356_833
; %bb.830:                              ;   in Loop: Header=BB356_810 Depth=1
	v_mov_b32_e32 v10, 7
	v_lshrrev_b32_e32 v12, 3, v20
	s_mov_b32 s18, exec_lo
	v_and_b32_sdwa v10, v18, v10 dst_sel:DWORD dst_unused:UNUSED_PAD src0_sel:WORD_1 src1_sel:DWORD
	v_cmpx_gt_u32_e32 8, v20
; %bb.831:                              ;   in Loop: Header=BB356_810 Depth=1
	v_ffbh_u32_e32 v12, v10
	v_min_u32_e32 v12, 32, v12
	v_subrev_nc_u32_e32 v20, 28, v12
	v_sub_nc_u32_e32 v12, 29, v12
	v_lshlrev_b64 v[20:21], v20, v[10:11]
	v_and_b32_e32 v10, 7, v20
; %bb.832:                              ;   in Loop: Header=BB356_810 Depth=1
	s_or_b32 exec_lo, exec_lo, s18
	v_mov_b32_e32 v20, 24
	v_lshlrev_b32_e32 v10, 20, v10
	v_lshl_add_u32 v12, v12, 23, 0x3c000000
	v_lshlrev_b32_sdwa v20, v20, v18 dst_sel:DWORD dst_unused:UNUSED_PAD src0_sel:DWORD src1_sel:WORD_1
	v_and_b32_e32 v20, 0x80000000, v20
	v_or3_b32 v12, v10, v20, v12
.LBB356_833:                            ;   in Loop: Header=BB356_810 Depth=1
	s_or_b32 exec_lo, exec_lo, s17
.LBB356_834:                            ;   in Loop: Header=BB356_810 Depth=1
	s_or_b32 exec_lo, exec_lo, s16
.LBB356_835:                            ;   in Loop: Header=BB356_810 Depth=1
	s_or_b32 exec_lo, exec_lo, s4
	s_mov_b32 s4, exec_lo
	v_cmpx_lt_u32_e32 0xffffff, v18
	s_cbranch_execz .LBB356_843
; %bb.836:                              ;   in Loop: Header=BB356_810 Depth=1
	v_cmp_ne_u32_sdwa s17, v18, v53 src0_sel:BYTE_3 src1_sel:DWORD
	v_bfrev_b32_e32 v13, 1
	s_and_saveexec_b32 s16, s17
	s_cbranch_execz .LBB356_842
; %bb.837:                              ;   in Loop: Header=BB356_810 Depth=1
	v_bfe_u32 v20, v18, 24, 7
	v_mov_b32_e32 v13, 0x7f800001
	s_mov_b32 s17, exec_lo
	v_cmpx_ne_u32_e32 0x7f, v20
	s_cbranch_execz .LBB356_841
; %bb.838:                              ;   in Loop: Header=BB356_810 Depth=1
	v_mov_b32_e32 v10, 7
	v_lshrrev_b32_e32 v13, 3, v20
	s_mov_b32 s18, exec_lo
	v_and_b32_sdwa v10, v18, v10 dst_sel:DWORD dst_unused:UNUSED_PAD src0_sel:BYTE_3 src1_sel:DWORD
	v_cmpx_gt_u32_e32 8, v20
; %bb.839:                              ;   in Loop: Header=BB356_810 Depth=1
	v_ffbh_u32_e32 v13, v10
	v_min_u32_e32 v13, 32, v13
	v_subrev_nc_u32_e32 v20, 28, v13
	v_sub_nc_u32_e32 v13, 29, v13
	v_lshlrev_b64 v[20:21], v20, v[10:11]
	v_and_b32_e32 v10, 7, v20
; %bb.840:                              ;   in Loop: Header=BB356_810 Depth=1
	s_or_b32 exec_lo, exec_lo, s18
	v_mov_b32_e32 v20, 24
	v_lshlrev_b32_e32 v10, 20, v10
	v_lshl_add_u32 v13, v13, 23, 0x3c000000
	v_lshlrev_b32_sdwa v20, v20, v18 dst_sel:DWORD dst_unused:UNUSED_PAD src0_sel:DWORD src1_sel:BYTE_3
	v_and_b32_e32 v20, 0x80000000, v20
	v_or3_b32 v13, v10, v20, v13
.LBB356_841:                            ;   in Loop: Header=BB356_810 Depth=1
	s_or_b32 exec_lo, exec_lo, s17
.LBB356_842:                            ;   in Loop: Header=BB356_810 Depth=1
	s_or_b32 exec_lo, exec_lo, s16
.LBB356_843:                            ;   in Loop: Header=BB356_810 Depth=1
	s_or_b32 exec_lo, exec_lo, s4
	v_mov_b32_e32 v10, v19
	v_cmp_ne_u16_sdwa s16, v19, v11 src0_sel:BYTE_0 src1_sel:DWORD
	v_mov_b32_e32 v21, 0
	v_mov_b32_e32 v20, 0
	s_and_saveexec_b32 s4, s16
	s_cbranch_execz .LBB356_851
; %bb.844:                              ;   in Loop: Header=BB356_810 Depth=1
	v_cmp_ne_u16_sdwa s17, v19, v53 src0_sel:BYTE_0 src1_sel:DWORD
	v_bfrev_b32_e32 v20, 1
	s_and_saveexec_b32 s16, s17
	s_cbranch_execz .LBB356_850
; %bb.845:                              ;   in Loop: Header=BB356_810 Depth=1
	v_and_b32_e32 v22, 0x7f, v19
	v_mov_b32_e32 v20, 0x7f800001
	s_mov_b32 s17, exec_lo
	v_cmpx_ne_u32_e32 0x7f, v22
	s_cbranch_execz .LBB356_849
; %bb.846:                              ;   in Loop: Header=BB356_810 Depth=1
	v_mov_b32_e32 v24, v11
	v_lshrrev_b32_e32 v20, 3, v22
	v_mov_b32_e32 v23, v10
	s_mov_b32 s18, exec_lo
	v_cmpx_gt_u32_e32 8, v22
; %bb.847:                              ;   in Loop: Header=BB356_810 Depth=1
	v_and_b32_e32 v20, 7, v19
	v_ffbh_u32_e32 v20, v20
	v_min_u32_e32 v20, 32, v20
	v_subrev_nc_u32_e32 v22, 28, v20
	v_sub_nc_u32_e32 v20, 29, v20
	v_lshlrev_b64 v[23:24], v22, v[10:11]
; %bb.848:                              ;   in Loop: Header=BB356_810 Depth=1
	s_or_b32 exec_lo, exec_lo, s18
	v_lshlrev_b32_e32 v22, 20, v23
	v_lshlrev_b32_e32 v23, 24, v10
	v_lshl_add_u32 v20, v20, 23, 0x3c000000
	v_and_b32_e32 v22, 0x700000, v22
	v_and_b32_e32 v23, 0x80000000, v23
	v_or3_b32 v20, v22, v23, v20
.LBB356_849:                            ;   in Loop: Header=BB356_810 Depth=1
	s_or_b32 exec_lo, exec_lo, s17
.LBB356_850:                            ;   in Loop: Header=BB356_810 Depth=1
	s_or_b32 exec_lo, exec_lo, s16
.LBB356_851:                            ;   in Loop: Header=BB356_810 Depth=1
	s_or_b32 exec_lo, exec_lo, s4
	v_cmp_ne_u16_sdwa s16, v10, v11 src0_sel:BYTE_1 src1_sel:DWORD
	s_and_saveexec_b32 s4, s16
	s_cbranch_execz .LBB356_859
; %bb.852:                              ;   in Loop: Header=BB356_810 Depth=1
	v_cmp_ne_u16_sdwa s17, v10, v53 src0_sel:BYTE_1 src1_sel:DWORD
	v_bfrev_b32_e32 v21, 1
	s_and_saveexec_b32 s16, s17
	s_cbranch_execz .LBB356_858
; %bb.853:                              ;   in Loop: Header=BB356_810 Depth=1
	v_mov_b32_e32 v21, 0xffff
	s_mov_b32 s17, exec_lo
	v_and_b32_sdwa v23, v21, v10 dst_sel:DWORD dst_unused:UNUSED_PAD src0_sel:DWORD src1_sel:BYTE_1
	v_mov_b32_e32 v21, 0x7f800001
	v_and_b32_e32 v22, 0x7f, v23
	v_cmpx_ne_u32_e32 0x7f, v22
	s_cbranch_execz .LBB356_857
; %bb.854:                              ;   in Loop: Header=BB356_810 Depth=1
	v_and_b32_e32 v23, 7, v23
	v_mov_b32_e32 v24, v11
	v_lshrrev_b32_e32 v21, 3, v22
	s_mov_b32 s18, exec_lo
	v_cmpx_gt_u32_e32 8, v22
; %bb.855:                              ;   in Loop: Header=BB356_810 Depth=1
	v_ffbh_u32_e32 v21, v23
	v_min_u32_e32 v21, 32, v21
	v_subrev_nc_u32_e32 v22, 28, v21
	v_sub_nc_u32_e32 v21, 29, v21
	v_lshlrev_b64 v[22:23], v22, v[23:24]
	v_and_b32_e32 v23, 7, v22
; %bb.856:                              ;   in Loop: Header=BB356_810 Depth=1
	s_or_b32 exec_lo, exec_lo, s18
	v_lshlrev_b32_e32 v10, 16, v10
	v_lshlrev_b32_e32 v22, 20, v23
	v_lshl_add_u32 v21, v21, 23, 0x3c000000
	v_and_b32_e32 v10, 0x80000000, v10
	v_or3_b32 v21, v22, v10, v21
.LBB356_857:                            ;   in Loop: Header=BB356_810 Depth=1
	s_or_b32 exec_lo, exec_lo, s17
.LBB356_858:                            ;   in Loop: Header=BB356_810 Depth=1
	s_or_b32 exec_lo, exec_lo, s16
.LBB356_859:                            ;   in Loop: Header=BB356_810 Depth=1
	s_or_b32 exec_lo, exec_lo, s4
	v_and_b32_sdwa v10, v19, v55 dst_sel:DWORD dst_unused:UNUSED_PAD src0_sel:WORD_1 src1_sel:DWORD
	v_mov_b32_e32 v22, 0
	v_mov_b32_e32 v23, 0
	s_mov_b32 s4, exec_lo
	v_cmpx_ne_u16_e32 0, v10
	s_cbranch_execz .LBB356_867
; %bb.860:                              ;   in Loop: Header=BB356_810 Depth=1
	v_bfrev_b32_e32 v23, 1
	s_mov_b32 s16, exec_lo
	v_cmpx_ne_u16_e32 0x80, v10
	s_cbranch_execz .LBB356_866
; %bb.861:                              ;   in Loop: Header=BB356_810 Depth=1
	v_bfe_u32 v24, v19, 16, 7
	v_mov_b32_e32 v23, 0x7f800001
	s_mov_b32 s17, exec_lo
	v_cmpx_ne_u32_e32 0x7f, v24
	s_cbranch_execz .LBB356_865
; %bb.862:                              ;   in Loop: Header=BB356_810 Depth=1
	v_mov_b32_e32 v10, 7
	v_lshrrev_b32_e32 v23, 3, v24
	s_mov_b32 s18, exec_lo
	v_and_b32_sdwa v10, v19, v10 dst_sel:DWORD dst_unused:UNUSED_PAD src0_sel:WORD_1 src1_sel:DWORD
	v_cmpx_gt_u32_e32 8, v24
; %bb.863:                              ;   in Loop: Header=BB356_810 Depth=1
	v_ffbh_u32_e32 v23, v10
	v_min_u32_e32 v23, 32, v23
	v_subrev_nc_u32_e32 v24, 28, v23
	v_sub_nc_u32_e32 v23, 29, v23
	v_lshlrev_b64 v[24:25], v24, v[10:11]
	v_and_b32_e32 v10, 7, v24
; %bb.864:                              ;   in Loop: Header=BB356_810 Depth=1
	s_or_b32 exec_lo, exec_lo, s18
	v_mov_b32_e32 v24, 24
	v_lshlrev_b32_e32 v10, 20, v10
	v_lshl_add_u32 v23, v23, 23, 0x3c000000
	v_lshlrev_b32_sdwa v24, v24, v19 dst_sel:DWORD dst_unused:UNUSED_PAD src0_sel:DWORD src1_sel:WORD_1
	v_and_b32_e32 v24, 0x80000000, v24
	v_or3_b32 v23, v10, v24, v23
.LBB356_865:                            ;   in Loop: Header=BB356_810 Depth=1
	s_or_b32 exec_lo, exec_lo, s17
.LBB356_866:                            ;   in Loop: Header=BB356_810 Depth=1
	s_or_b32 exec_lo, exec_lo, s16
.LBB356_867:                            ;   in Loop: Header=BB356_810 Depth=1
	s_or_b32 exec_lo, exec_lo, s4
	s_mov_b32 s4, exec_lo
	v_cmpx_lt_u64_e64 s[12:13], v[18:19]
	s_cbranch_execz .LBB356_875
; %bb.868:                              ;   in Loop: Header=BB356_810 Depth=1
	v_cmp_ne_u32_sdwa s17, v19, v53 src0_sel:BYTE_3 src1_sel:DWORD
	v_bfrev_b32_e32 v22, 1
	s_and_saveexec_b32 s16, s17
	s_cbranch_execz .LBB356_874
; %bb.869:                              ;   in Loop: Header=BB356_810 Depth=1
	v_bfe_u32 v24, v19, 24, 7
	v_mov_b32_e32 v22, 0x7f800001
	s_mov_b32 s17, exec_lo
	v_cmpx_ne_u32_e32 0x7f, v24
	s_cbranch_execz .LBB356_873
; %bb.870:                              ;   in Loop: Header=BB356_810 Depth=1
	v_mov_b32_e32 v10, 7
	v_lshrrev_b32_e32 v18, 3, v24
	s_mov_b32 s18, exec_lo
	v_and_b32_sdwa v10, v19, v10 dst_sel:DWORD dst_unused:UNUSED_PAD src0_sel:BYTE_3 src1_sel:DWORD
	v_cmpx_gt_u32_e32 8, v24
; %bb.871:                              ;   in Loop: Header=BB356_810 Depth=1
	v_ffbh_u32_e32 v18, v10
	v_min_u32_e32 v18, 32, v18
	v_subrev_nc_u32_e32 v22, 28, v18
	v_sub_nc_u32_e32 v18, 29, v18
	v_lshlrev_b64 v[24:25], v22, v[10:11]
	v_and_b32_e32 v10, 7, v24
; %bb.872:                              ;   in Loop: Header=BB356_810 Depth=1
	s_or_b32 exec_lo, exec_lo, s18
	v_mov_b32_e32 v22, 24
	v_lshlrev_b32_e32 v10, 20, v10
	v_lshl_add_u32 v18, v18, 23, 0x3c000000
	v_lshlrev_b32_sdwa v19, v22, v19 dst_sel:DWORD dst_unused:UNUSED_PAD src0_sel:DWORD src1_sel:BYTE_3
	v_and_b32_e32 v19, 0x80000000, v19
	v_or3_b32 v22, v10, v19, v18
.LBB356_873:                            ;   in Loop: Header=BB356_810 Depth=1
	s_or_b32 exec_lo, exec_lo, s17
.LBB356_874:                            ;   in Loop: Header=BB356_810 Depth=1
	s_or_b32 exec_lo, exec_lo, s16
.LBB356_875:                            ;   in Loop: Header=BB356_810 Depth=1
	s_or_b32 exec_lo, exec_lo, s4
	buffer_load_dword v18, off, s[0:3], s32 offset:292 ; 4-byte Folded Reload
	s_waitcnt vmcnt(1) lgkmcnt(2)
	v_mul_f32_e32 v10, v44, v21
	v_mul_f32_e32 v13, v44, v13
	;; [unrolled: 1-line block ×5, first 2 shown]
	v_bfe_u32 v19, v10, 16, 1
	v_cmp_u_f32_e64 s4, v10, v10
	v_or_b32_e32 v26, 0x400000, v13
	v_add3_u32 v19, v19, v10, 0x7fff
	s_waitcnt vmcnt(0)
	v_add_nc_u32_e32 v47, v18, v64
	s_clause 0x2
	buffer_load_dword v18, off, s[0:3], s32 offset:296
	buffer_load_dword v24, off, s[0:3], s32 offset:200
	;; [unrolled: 1-line block ×3, first 2 shown]
	s_waitcnt vmcnt(0)
	v_bfe_u32 v25, v13, 16, 1
	v_add_nc_u32_e32 v62, 1, v47
	v_add_nc_u32_e32 v61, 2, v47
	;; [unrolled: 1-line block ×7, first 2 shown]
	v_cmp_eq_u32_e32 vcc_lo, v18, v24
	v_mul_f32_e32 v18, v44, v20
	v_or_b32_e32 v20, 0x400000, v10
	v_bfe_u32 v21, v18, 16, 1
	v_or_b32_e32 v24, 0x400000, v18
	v_cndmask_b32_e64 v10, v19, v20, s4
	v_cmp_u_f32_e64 s4, v18, v18
	v_add3_u32 v20, v25, v13, 0x7fff
	v_add3_u32 v21, v21, v18, 0x7fff
	v_bfe_u32 v19, v12, 16, 1
	v_lshrrev_b32_e32 v80, 16, v10
	v_cndmask_b32_e64 v18, v21, v24, s4
	v_cmp_u_f32_e64 s4, v13, v13
	v_add3_u32 v13, v19, v12, 0x7fff
	v_or_b32_e32 v19, 0x400000, v12
	v_lshrrev_b32_e32 v70, 16, v18
	v_cndmask_b32_e64 v10, v20, v26, s4
	v_cmp_u_f32_e64 s4, v12, v12
	v_or_b32_e32 v18, 0x400000, v5
	v_bfe_u32 v20, v4, 16, 1
	v_lshrrev_b32_e32 v81, 16, v10
	v_bfe_u32 v10, v5, 16, 1
	v_cndmask_b32_e64 v12, v13, v19, s4
	v_mul_f32_e32 v13, v44, v23
	v_cmp_u_f32_e64 s4, v5, v5
	v_mul_f32_e32 v19, v44, v22
	v_add3_u32 v10, v10, v5, 0x7fff
	v_lshrrev_b32_e32 v82, 16, v12
	v_bfe_u32 v21, v13, 16, 1
	v_or_b32_e32 v22, 0x400000, v13
	v_or_b32_e32 v23, 0x400000, v19
	v_cndmask_b32_e64 v5, v10, v18, s4
	v_add3_u32 v18, v20, v4, 0x7fff
	v_or_b32_e32 v20, 0x400000, v4
	v_cmp_u_f32_e64 s4, v4, v4
	v_bfe_u32 v10, v19, 16, 1
	v_add3_u32 v21, v21, v13, 0x7fff
	v_lshrrev_b32_e32 v84, 16, v5
	v_cndmask_b32_e64 v4, v18, v20, s4
	v_cmp_u_f32_e64 s4, v13, v13
	v_add3_u32 v10, v10, v19, 0x7fff
	v_lshrrev_b32_e32 v83, 16, v4
	v_cndmask_b32_e64 v13, v21, v22, s4
	v_cmp_u_f32_e64 s4, v19, v19
	v_lshrrev_b32_e32 v4, 16, v13
	v_cndmask_b32_e64 v10, v10, v23, s4
	buffer_store_dword v4, off, s[0:3], s32 offset:208 ; 4-byte Folded Spill
	v_lshrrev_b32_e32 v71, 16, v10
	s_and_saveexec_b32 s16, vcc_lo
	s_cbranch_execz .LBB356_877
; %bb.876:                              ;   in Loop: Header=BB356_810 Depth=1
	buffer_load_dword v4, off, s[0:3], s32 offset:208 ; 4-byte Folded Reload
	v_cmp_lt_i32_e64 s4, v47, v96
	v_cndmask_b32_e64 v83, 0, v83, s4
	v_cmp_lt_i32_e64 s4, v62, v96
	v_cndmask_b32_e64 v84, 0, v84, s4
	;; [unrolled: 2-line block ×6, first 2 shown]
	v_cmp_lt_i32_e64 s4, v57, v96
	s_waitcnt vmcnt(0)
	v_cndmask_b32_e64 v4, 0, v4, s4
	v_cmp_lt_i32_e64 s4, v56, v96
	buffer_store_dword v4, off, s[0:3], s32 offset:208 ; 4-byte Folded Spill
	v_cndmask_b32_e64 v71, 0, v71, s4
.LBB356_877:                            ;   in Loop: Header=BB356_810 Depth=1
	s_or_b32 exec_lo, exec_lo, s16
	flat_load_dwordx2 v[18:19], v[16:17] offset:256
	v_mov_b32_e32 v5, 0
	v_mov_b32_e32 v4, 0
	s_waitcnt vmcnt(0) lgkmcnt(0)
	v_cmp_ne_u16_sdwa s4, v18, v11 src0_sel:BYTE_0 src1_sel:DWORD
	s_and_saveexec_b32 s16, s4
	s_cbranch_execz .LBB356_885
; %bb.878:                              ;   in Loop: Header=BB356_810 Depth=1
	v_cmp_ne_u16_sdwa s4, v18, v53 src0_sel:BYTE_0 src1_sel:DWORD
	v_bfrev_b32_e32 v4, 1
	s_and_saveexec_b32 s17, s4
	s_cbranch_execz .LBB356_884
; %bb.879:                              ;   in Loop: Header=BB356_810 Depth=1
	v_and_b32_e32 v10, 0x7f, v18
	v_mov_b32_e32 v4, 0x7f800001
	s_mov_b32 s18, exec_lo
	v_cmpx_ne_u32_e32 0x7f, v10
	s_cbranch_execz .LBB356_883
; %bb.880:                              ;   in Loop: Header=BB356_810 Depth=1
	v_mov_b32_e32 v24, v19
	v_lshrrev_b32_e32 v4, 3, v10
	v_mov_b32_e32 v23, v18
	s_mov_b32 s20, exec_lo
	v_cmpx_gt_u32_e32 8, v10
; %bb.881:                              ;   in Loop: Header=BB356_810 Depth=1
	v_and_b32_e32 v4, 7, v18
	v_ffbh_u32_e32 v4, v4
	v_min_u32_e32 v4, 32, v4
	v_subrev_nc_u32_e32 v10, 28, v4
	v_sub_nc_u32_e32 v4, 29, v4
	v_lshlrev_b64 v[23:24], v10, v[18:19]
; %bb.882:                              ;   in Loop: Header=BB356_810 Depth=1
	s_or_b32 exec_lo, exec_lo, s20
	v_lshlrev_b32_e32 v10, 20, v23
	v_lshlrev_b32_e32 v12, 24, v18
	v_lshl_add_u32 v4, v4, 23, 0x3c000000
	v_and_b32_e32 v10, 0x700000, v10
	v_and_b32_e32 v12, 0x80000000, v12
	v_or3_b32 v4, v10, v12, v4
.LBB356_883:                            ;   in Loop: Header=BB356_810 Depth=1
	s_or_b32 exec_lo, exec_lo, s18
.LBB356_884:                            ;   in Loop: Header=BB356_810 Depth=1
	s_or_b32 exec_lo, exec_lo, s17
.LBB356_885:                            ;   in Loop: Header=BB356_810 Depth=1
	s_or_b32 exec_lo, exec_lo, s16
	v_cmp_ne_u16_sdwa s4, v18, v11 src0_sel:BYTE_1 src1_sel:DWORD
	s_and_saveexec_b32 s16, s4
	s_cbranch_execz .LBB356_893
; %bb.886:                              ;   in Loop: Header=BB356_810 Depth=1
	v_cmp_ne_u16_sdwa s4, v18, v53 src0_sel:BYTE_1 src1_sel:DWORD
	v_bfrev_b32_e32 v5, 1
	s_and_saveexec_b32 s17, s4
	s_cbranch_execz .LBB356_892
; %bb.887:                              ;   in Loop: Header=BB356_810 Depth=1
	v_mov_b32_e32 v5, 0xffff
	s_mov_b32 s18, exec_lo
	v_and_b32_sdwa v10, v5, v18 dst_sel:DWORD dst_unused:UNUSED_PAD src0_sel:DWORD src1_sel:BYTE_1
	v_mov_b32_e32 v5, 0x7f800001
	v_and_b32_e32 v12, 0x7f, v10
	v_cmpx_ne_u32_e32 0x7f, v12
	s_cbranch_execz .LBB356_891
; %bb.888:                              ;   in Loop: Header=BB356_810 Depth=1
	v_and_b32_e32 v10, 7, v10
	v_lshrrev_b32_e32 v5, 3, v12
	s_mov_b32 s20, exec_lo
	v_cmpx_gt_u32_e32 8, v12
; %bb.889:                              ;   in Loop: Header=BB356_810 Depth=1
	v_ffbh_u32_e32 v5, v10
	v_min_u32_e32 v5, 32, v5
	v_subrev_nc_u32_e32 v12, 28, v5
	v_sub_nc_u32_e32 v5, 29, v5
	v_lshlrev_b64 v[12:13], v12, v[10:11]
	v_and_b32_e32 v10, 7, v12
; %bb.890:                              ;   in Loop: Header=BB356_810 Depth=1
	s_or_b32 exec_lo, exec_lo, s20
	v_lshlrev_b32_e32 v12, 16, v18
	v_lshlrev_b32_e32 v10, 20, v10
	v_lshl_add_u32 v5, v5, 23, 0x3c000000
	v_and_b32_e32 v12, 0x80000000, v12
	v_or3_b32 v5, v10, v12, v5
.LBB356_891:                            ;   in Loop: Header=BB356_810 Depth=1
	s_or_b32 exec_lo, exec_lo, s18
.LBB356_892:                            ;   in Loop: Header=BB356_810 Depth=1
	s_or_b32 exec_lo, exec_lo, s17
.LBB356_893:                            ;   in Loop: Header=BB356_810 Depth=1
	s_or_b32 exec_lo, exec_lo, s16
	v_and_b32_sdwa v10, v18, v55 dst_sel:DWORD dst_unused:UNUSED_PAD src0_sel:WORD_1 src1_sel:DWORD
	v_mov_b32_e32 v13, 0
	v_mov_b32_e32 v12, 0
	s_mov_b32 s16, exec_lo
	v_cmpx_ne_u16_e32 0, v10
	s_cbranch_execz .LBB356_901
; %bb.894:                              ;   in Loop: Header=BB356_810 Depth=1
	v_bfrev_b32_e32 v12, 1
	s_mov_b32 s17, exec_lo
	v_cmpx_ne_u16_e32 0x80, v10
	s_cbranch_execz .LBB356_900
; %bb.895:                              ;   in Loop: Header=BB356_810 Depth=1
	v_bfe_u32 v20, v18, 16, 7
	v_mov_b32_e32 v12, 0x7f800001
	s_mov_b32 s18, exec_lo
	v_cmpx_ne_u32_e32 0x7f, v20
	s_cbranch_execz .LBB356_899
; %bb.896:                              ;   in Loop: Header=BB356_810 Depth=1
	v_mov_b32_e32 v10, 7
	v_lshrrev_b32_e32 v12, 3, v20
	s_mov_b32 s20, exec_lo
	v_and_b32_sdwa v10, v18, v10 dst_sel:DWORD dst_unused:UNUSED_PAD src0_sel:WORD_1 src1_sel:DWORD
	v_cmpx_gt_u32_e32 8, v20
; %bb.897:                              ;   in Loop: Header=BB356_810 Depth=1
	v_ffbh_u32_e32 v12, v10
	v_min_u32_e32 v12, 32, v12
	v_subrev_nc_u32_e32 v20, 28, v12
	v_sub_nc_u32_e32 v12, 29, v12
	v_lshlrev_b64 v[20:21], v20, v[10:11]
	v_and_b32_e32 v10, 7, v20
; %bb.898:                              ;   in Loop: Header=BB356_810 Depth=1
	s_or_b32 exec_lo, exec_lo, s20
	v_mov_b32_e32 v20, 24
	v_lshlrev_b32_e32 v10, 20, v10
	v_lshl_add_u32 v12, v12, 23, 0x3c000000
	v_lshlrev_b32_sdwa v20, v20, v18 dst_sel:DWORD dst_unused:UNUSED_PAD src0_sel:DWORD src1_sel:WORD_1
	v_and_b32_e32 v20, 0x80000000, v20
	v_or3_b32 v12, v10, v20, v12
.LBB356_899:                            ;   in Loop: Header=BB356_810 Depth=1
	s_or_b32 exec_lo, exec_lo, s18
.LBB356_900:                            ;   in Loop: Header=BB356_810 Depth=1
	s_or_b32 exec_lo, exec_lo, s17
.LBB356_901:                            ;   in Loop: Header=BB356_810 Depth=1
	s_or_b32 exec_lo, exec_lo, s16
	s_mov_b32 s16, exec_lo
	v_cmpx_lt_u32_e32 0xffffff, v18
	s_cbranch_execz .LBB356_909
; %bb.902:                              ;   in Loop: Header=BB356_810 Depth=1
	v_cmp_ne_u32_sdwa s4, v18, v53 src0_sel:BYTE_3 src1_sel:DWORD
	v_bfrev_b32_e32 v13, 1
	s_and_saveexec_b32 s17, s4
	s_cbranch_execz .LBB356_908
; %bb.903:                              ;   in Loop: Header=BB356_810 Depth=1
	v_bfe_u32 v20, v18, 24, 7
	v_mov_b32_e32 v13, 0x7f800001
	s_mov_b32 s18, exec_lo
	v_cmpx_ne_u32_e32 0x7f, v20
	s_cbranch_execz .LBB356_907
; %bb.904:                              ;   in Loop: Header=BB356_810 Depth=1
	v_mov_b32_e32 v10, 7
	v_lshrrev_b32_e32 v13, 3, v20
	s_mov_b32 s20, exec_lo
	v_and_b32_sdwa v10, v18, v10 dst_sel:DWORD dst_unused:UNUSED_PAD src0_sel:BYTE_3 src1_sel:DWORD
	v_cmpx_gt_u32_e32 8, v20
; %bb.905:                              ;   in Loop: Header=BB356_810 Depth=1
	v_ffbh_u32_e32 v13, v10
	v_min_u32_e32 v13, 32, v13
	v_subrev_nc_u32_e32 v20, 28, v13
	v_sub_nc_u32_e32 v13, 29, v13
	v_lshlrev_b64 v[20:21], v20, v[10:11]
	v_and_b32_e32 v10, 7, v20
; %bb.906:                              ;   in Loop: Header=BB356_810 Depth=1
	s_or_b32 exec_lo, exec_lo, s20
	v_mov_b32_e32 v20, 24
	v_lshlrev_b32_e32 v10, 20, v10
	v_lshl_add_u32 v13, v13, 23, 0x3c000000
	v_lshlrev_b32_sdwa v20, v20, v18 dst_sel:DWORD dst_unused:UNUSED_PAD src0_sel:DWORD src1_sel:BYTE_3
	v_and_b32_e32 v20, 0x80000000, v20
	v_or3_b32 v13, v10, v20, v13
.LBB356_907:                            ;   in Loop: Header=BB356_810 Depth=1
	s_or_b32 exec_lo, exec_lo, s18
.LBB356_908:                            ;   in Loop: Header=BB356_810 Depth=1
	s_or_b32 exec_lo, exec_lo, s17
.LBB356_909:                            ;   in Loop: Header=BB356_810 Depth=1
	s_or_b32 exec_lo, exec_lo, s16
	v_mov_b32_e32 v10, v19
	v_cmp_ne_u16_sdwa s4, v19, v11 src0_sel:BYTE_0 src1_sel:DWORD
	v_mov_b32_e32 v21, 0
	v_mov_b32_e32 v20, 0
	s_and_saveexec_b32 s16, s4
	s_cbranch_execz .LBB356_917
; %bb.910:                              ;   in Loop: Header=BB356_810 Depth=1
	v_cmp_ne_u16_sdwa s4, v19, v53 src0_sel:BYTE_0 src1_sel:DWORD
	v_bfrev_b32_e32 v20, 1
	s_and_saveexec_b32 s17, s4
	s_cbranch_execz .LBB356_916
; %bb.911:                              ;   in Loop: Header=BB356_810 Depth=1
	v_and_b32_e32 v22, 0x7f, v19
	v_mov_b32_e32 v20, 0x7f800001
	s_mov_b32 s18, exec_lo
	v_cmpx_ne_u32_e32 0x7f, v22
	s_cbranch_execz .LBB356_915
; %bb.912:                              ;   in Loop: Header=BB356_810 Depth=1
	v_mov_b32_e32 v24, v11
	v_lshrrev_b32_e32 v20, 3, v22
	v_mov_b32_e32 v23, v10
	s_mov_b32 s20, exec_lo
	v_cmpx_gt_u32_e32 8, v22
; %bb.913:                              ;   in Loop: Header=BB356_810 Depth=1
	v_and_b32_e32 v20, 7, v19
	v_ffbh_u32_e32 v20, v20
	v_min_u32_e32 v20, 32, v20
	v_subrev_nc_u32_e32 v22, 28, v20
	v_sub_nc_u32_e32 v20, 29, v20
	v_lshlrev_b64 v[23:24], v22, v[10:11]
; %bb.914:                              ;   in Loop: Header=BB356_810 Depth=1
	s_or_b32 exec_lo, exec_lo, s20
	v_lshlrev_b32_e32 v22, 20, v23
	v_lshlrev_b32_e32 v23, 24, v10
	v_lshl_add_u32 v20, v20, 23, 0x3c000000
	v_and_b32_e32 v22, 0x700000, v22
	v_and_b32_e32 v23, 0x80000000, v23
	v_or3_b32 v20, v22, v23, v20
.LBB356_915:                            ;   in Loop: Header=BB356_810 Depth=1
	s_or_b32 exec_lo, exec_lo, s18
.LBB356_916:                            ;   in Loop: Header=BB356_810 Depth=1
	s_or_b32 exec_lo, exec_lo, s17
.LBB356_917:                            ;   in Loop: Header=BB356_810 Depth=1
	s_or_b32 exec_lo, exec_lo, s16
	v_cmp_ne_u16_sdwa s4, v10, v11 src0_sel:BYTE_1 src1_sel:DWORD
	s_and_saveexec_b32 s16, s4
	s_cbranch_execz .LBB356_925
; %bb.918:                              ;   in Loop: Header=BB356_810 Depth=1
	v_cmp_ne_u16_sdwa s4, v10, v53 src0_sel:BYTE_1 src1_sel:DWORD
	v_bfrev_b32_e32 v21, 1
	s_and_saveexec_b32 s17, s4
	s_cbranch_execz .LBB356_924
; %bb.919:                              ;   in Loop: Header=BB356_810 Depth=1
	v_mov_b32_e32 v21, 0xffff
	s_mov_b32 s18, exec_lo
	v_and_b32_sdwa v23, v21, v10 dst_sel:DWORD dst_unused:UNUSED_PAD src0_sel:DWORD src1_sel:BYTE_1
	v_mov_b32_e32 v21, 0x7f800001
	v_and_b32_e32 v22, 0x7f, v23
	v_cmpx_ne_u32_e32 0x7f, v22
	s_cbranch_execz .LBB356_923
; %bb.920:                              ;   in Loop: Header=BB356_810 Depth=1
	v_and_b32_e32 v23, 7, v23
	v_mov_b32_e32 v24, v11
	v_lshrrev_b32_e32 v21, 3, v22
	s_mov_b32 s20, exec_lo
	v_cmpx_gt_u32_e32 8, v22
; %bb.921:                              ;   in Loop: Header=BB356_810 Depth=1
	v_ffbh_u32_e32 v21, v23
	v_min_u32_e32 v21, 32, v21
	v_subrev_nc_u32_e32 v22, 28, v21
	v_sub_nc_u32_e32 v21, 29, v21
	v_lshlrev_b64 v[22:23], v22, v[23:24]
	v_and_b32_e32 v23, 7, v22
; %bb.922:                              ;   in Loop: Header=BB356_810 Depth=1
	s_or_b32 exec_lo, exec_lo, s20
	v_lshlrev_b32_e32 v10, 16, v10
	v_lshlrev_b32_e32 v22, 20, v23
	v_lshl_add_u32 v21, v21, 23, 0x3c000000
	v_and_b32_e32 v10, 0x80000000, v10
	v_or3_b32 v21, v22, v10, v21
.LBB356_923:                            ;   in Loop: Header=BB356_810 Depth=1
	s_or_b32 exec_lo, exec_lo, s18
.LBB356_924:                            ;   in Loop: Header=BB356_810 Depth=1
	s_or_b32 exec_lo, exec_lo, s17
.LBB356_925:                            ;   in Loop: Header=BB356_810 Depth=1
	s_or_b32 exec_lo, exec_lo, s16
	v_and_b32_sdwa v10, v19, v55 dst_sel:DWORD dst_unused:UNUSED_PAD src0_sel:WORD_1 src1_sel:DWORD
	v_mov_b32_e32 v22, 0
	v_mov_b32_e32 v23, 0
	s_mov_b32 s16, exec_lo
	v_cmpx_ne_u16_e32 0, v10
	s_cbranch_execz .LBB356_933
; %bb.926:                              ;   in Loop: Header=BB356_810 Depth=1
	v_bfrev_b32_e32 v23, 1
	s_mov_b32 s17, exec_lo
	v_cmpx_ne_u16_e32 0x80, v10
	s_cbranch_execz .LBB356_932
; %bb.927:                              ;   in Loop: Header=BB356_810 Depth=1
	v_bfe_u32 v24, v19, 16, 7
	v_mov_b32_e32 v23, 0x7f800001
	s_mov_b32 s18, exec_lo
	v_cmpx_ne_u32_e32 0x7f, v24
	s_cbranch_execz .LBB356_931
; %bb.928:                              ;   in Loop: Header=BB356_810 Depth=1
	v_mov_b32_e32 v10, 7
	v_lshrrev_b32_e32 v23, 3, v24
	s_mov_b32 s20, exec_lo
	v_and_b32_sdwa v10, v19, v10 dst_sel:DWORD dst_unused:UNUSED_PAD src0_sel:WORD_1 src1_sel:DWORD
	v_cmpx_gt_u32_e32 8, v24
; %bb.929:                              ;   in Loop: Header=BB356_810 Depth=1
	v_ffbh_u32_e32 v23, v10
	v_min_u32_e32 v23, 32, v23
	v_subrev_nc_u32_e32 v24, 28, v23
	v_sub_nc_u32_e32 v23, 29, v23
	v_lshlrev_b64 v[24:25], v24, v[10:11]
	v_and_b32_e32 v10, 7, v24
; %bb.930:                              ;   in Loop: Header=BB356_810 Depth=1
	s_or_b32 exec_lo, exec_lo, s20
	v_mov_b32_e32 v24, 24
	v_lshlrev_b32_e32 v10, 20, v10
	v_lshl_add_u32 v23, v23, 23, 0x3c000000
	v_lshlrev_b32_sdwa v24, v24, v19 dst_sel:DWORD dst_unused:UNUSED_PAD src0_sel:DWORD src1_sel:WORD_1
	v_and_b32_e32 v24, 0x80000000, v24
	v_or3_b32 v23, v10, v24, v23
.LBB356_931:                            ;   in Loop: Header=BB356_810 Depth=1
	s_or_b32 exec_lo, exec_lo, s18
.LBB356_932:                            ;   in Loop: Header=BB356_810 Depth=1
	s_or_b32 exec_lo, exec_lo, s17
.LBB356_933:                            ;   in Loop: Header=BB356_810 Depth=1
	s_or_b32 exec_lo, exec_lo, s16
	s_mov_b32 s16, exec_lo
	v_cmpx_lt_u64_e64 s[12:13], v[18:19]
	s_cbranch_execz .LBB356_941
; %bb.934:                              ;   in Loop: Header=BB356_810 Depth=1
	v_cmp_ne_u32_sdwa s4, v19, v53 src0_sel:BYTE_3 src1_sel:DWORD
	v_bfrev_b32_e32 v22, 1
	s_and_saveexec_b32 s17, s4
	s_cbranch_execz .LBB356_940
; %bb.935:                              ;   in Loop: Header=BB356_810 Depth=1
	v_bfe_u32 v24, v19, 24, 7
	v_mov_b32_e32 v22, 0x7f800001
	s_mov_b32 s18, exec_lo
	v_cmpx_ne_u32_e32 0x7f, v24
	s_cbranch_execz .LBB356_939
; %bb.936:                              ;   in Loop: Header=BB356_810 Depth=1
	v_mov_b32_e32 v10, 7
	v_lshrrev_b32_e32 v18, 3, v24
	s_mov_b32 s20, exec_lo
	v_and_b32_sdwa v10, v19, v10 dst_sel:DWORD dst_unused:UNUSED_PAD src0_sel:BYTE_3 src1_sel:DWORD
	v_cmpx_gt_u32_e32 8, v24
; %bb.937:                              ;   in Loop: Header=BB356_810 Depth=1
	v_ffbh_u32_e32 v18, v10
	v_min_u32_e32 v18, 32, v18
	v_subrev_nc_u32_e32 v22, 28, v18
	v_sub_nc_u32_e32 v18, 29, v18
	v_lshlrev_b64 v[24:25], v22, v[10:11]
	v_and_b32_e32 v10, 7, v24
; %bb.938:                              ;   in Loop: Header=BB356_810 Depth=1
	s_or_b32 exec_lo, exec_lo, s20
	v_mov_b32_e32 v22, 24
	v_lshlrev_b32_e32 v10, 20, v10
	v_lshl_add_u32 v18, v18, 23, 0x3c000000
	v_lshlrev_b32_sdwa v19, v22, v19 dst_sel:DWORD dst_unused:UNUSED_PAD src0_sel:DWORD src1_sel:BYTE_3
	v_and_b32_e32 v19, 0x80000000, v19
	v_or3_b32 v22, v10, v19, v18
.LBB356_939:                            ;   in Loop: Header=BB356_810 Depth=1
	s_or_b32 exec_lo, exec_lo, s18
.LBB356_940:                            ;   in Loop: Header=BB356_810 Depth=1
	s_or_b32 exec_lo, exec_lo, s17
.LBB356_941:                            ;   in Loop: Header=BB356_810 Depth=1
	s_or_b32 exec_lo, exec_lo, s16
	v_mul_f32_e32 v10, v44, v21
	v_mul_f32_e32 v18, v44, v20
	;; [unrolled: 1-line block ×5, first 2 shown]
	v_bfe_u32 v19, v10, 16, 1
	v_or_b32_e32 v20, 0x400000, v10
	v_bfe_u32 v21, v18, 16, 1
	v_cmp_u_f32_e64 s4, v10, v10
	v_or_b32_e32 v24, 0x400000, v18
	v_add3_u32 v19, v19, v10, 0x7fff
	v_bfe_u32 v25, v13, 16, 1
	v_add3_u32 v21, v21, v18, 0x7fff
	v_or_b32_e32 v26, 0x400000, v13
	v_bfe_u32 v27, v12, 16, 1
	v_cndmask_b32_e64 v10, v19, v20, s4
	v_cmp_u_f32_e64 s4, v18, v18
	v_add3_u32 v25, v25, v13, 0x7fff
	v_or_b32_e32 v19, 0x400000, v12
	v_mul_f32_e32 v4, v44, v4
	v_lshrrev_b32_e32 v113, 16, v10
	v_cndmask_b32_e64 v18, v21, v24, s4
	v_cmp_u_f32_e64 s4, v13, v13
	v_add3_u32 v10, v27, v12, 0x7fff
	v_bfe_u32 v20, v4, 16, 1
	v_lshrrev_b32_e32 v103, 16, v18
	v_cndmask_b32_e64 v13, v25, v26, s4
	v_cmp_u_f32_e64 s4, v12, v12
	v_mul_f32_e32 v12, v44, v23
	v_or_b32_e32 v18, 0x400000, v5
	v_lshrrev_b32_e32 v114, 16, v13
	v_bfe_u32 v13, v5, 16, 1
	v_cndmask_b32_e64 v10, v10, v19, s4
	v_cmp_u_f32_e64 s4, v5, v5
	v_mul_f32_e32 v19, v44, v22
	v_bfe_u32 v21, v12, 16, 1
	v_add3_u32 v13, v13, v5, 0x7fff
	v_or_b32_e32 v22, 0x400000, v12
	v_lshrrev_b32_e32 v115, 16, v10
	v_or_b32_e32 v23, 0x400000, v19
	v_add3_u32 v21, v21, v12, 0x7fff
	v_cndmask_b32_e64 v5, v13, v18, s4
	v_add3_u32 v18, v20, v4, 0x7fff
	v_or_b32_e32 v20, 0x400000, v4
	v_cmp_u_f32_e64 s4, v4, v4
	v_bfe_u32 v13, v19, 16, 1
	v_lshrrev_b32_e32 v117, 16, v5
	v_cndmask_b32_e64 v4, v18, v20, s4
	v_cmp_u_f32_e64 s4, v12, v12
	v_add3_u32 v13, v13, v19, 0x7fff
	v_lshrrev_b32_e32 v116, 16, v4
	v_cndmask_b32_e64 v12, v21, v22, s4
	v_cmp_u_f32_e64 s4, v19, v19
	v_lshrrev_b32_e32 v85, 16, v12
	v_cndmask_b32_e64 v13, v13, v23, s4
	v_lshrrev_b32_e32 v112, 16, v13
	s_and_saveexec_b32 s16, vcc_lo
	s_cbranch_execz .LBB356_943
; %bb.942:                              ;   in Loop: Header=BB356_810 Depth=1
	v_cmp_lt_i32_e64 s4, v47, v96
	v_cndmask_b32_e64 v116, 0, v116, s4
	v_cmp_lt_i32_e64 s4, v62, v96
	v_cndmask_b32_e64 v117, 0, v117, s4
	;; [unrolled: 2-line block ×8, first 2 shown]
.LBB356_943:                            ;   in Loop: Header=BB356_810 Depth=1
	s_or_b32 exec_lo, exec_lo, s16
	flat_load_dwordx2 v[18:19], v[16:17] offset:512
	v_mov_b32_e32 v5, 0
	v_mov_b32_e32 v4, 0
	s_waitcnt vmcnt(0) lgkmcnt(0)
	v_cmp_ne_u16_sdwa s4, v18, v11 src0_sel:BYTE_0 src1_sel:DWORD
	s_and_saveexec_b32 s16, s4
	s_cbranch_execz .LBB356_951
; %bb.944:                              ;   in Loop: Header=BB356_810 Depth=1
	v_cmp_ne_u16_sdwa s4, v18, v53 src0_sel:BYTE_0 src1_sel:DWORD
	v_bfrev_b32_e32 v4, 1
	s_and_saveexec_b32 s17, s4
	s_cbranch_execz .LBB356_950
; %bb.945:                              ;   in Loop: Header=BB356_810 Depth=1
	v_and_b32_e32 v10, 0x7f, v18
	v_mov_b32_e32 v4, 0x7f800001
	s_mov_b32 s18, exec_lo
	v_cmpx_ne_u32_e32 0x7f, v10
	s_cbranch_execz .LBB356_949
; %bb.946:                              ;   in Loop: Header=BB356_810 Depth=1
	v_mov_b32_e32 v24, v19
	v_lshrrev_b32_e32 v4, 3, v10
	v_mov_b32_e32 v23, v18
	s_mov_b32 s20, exec_lo
	v_cmpx_gt_u32_e32 8, v10
; %bb.947:                              ;   in Loop: Header=BB356_810 Depth=1
	v_and_b32_e32 v4, 7, v18
	v_ffbh_u32_e32 v4, v4
	v_min_u32_e32 v4, 32, v4
	v_subrev_nc_u32_e32 v10, 28, v4
	v_sub_nc_u32_e32 v4, 29, v4
	v_lshlrev_b64 v[23:24], v10, v[18:19]
; %bb.948:                              ;   in Loop: Header=BB356_810 Depth=1
	s_or_b32 exec_lo, exec_lo, s20
	v_lshlrev_b32_e32 v10, 20, v23
	v_lshlrev_b32_e32 v12, 24, v18
	v_lshl_add_u32 v4, v4, 23, 0x3c000000
	v_and_b32_e32 v10, 0x700000, v10
	v_and_b32_e32 v12, 0x80000000, v12
	v_or3_b32 v4, v10, v12, v4
.LBB356_949:                            ;   in Loop: Header=BB356_810 Depth=1
	s_or_b32 exec_lo, exec_lo, s18
.LBB356_950:                            ;   in Loop: Header=BB356_810 Depth=1
	s_or_b32 exec_lo, exec_lo, s17
.LBB356_951:                            ;   in Loop: Header=BB356_810 Depth=1
	s_or_b32 exec_lo, exec_lo, s16
	v_cmp_ne_u16_sdwa s4, v18, v11 src0_sel:BYTE_1 src1_sel:DWORD
	s_and_saveexec_b32 s16, s4
	s_cbranch_execz .LBB356_959
; %bb.952:                              ;   in Loop: Header=BB356_810 Depth=1
	v_cmp_ne_u16_sdwa s4, v18, v53 src0_sel:BYTE_1 src1_sel:DWORD
	v_bfrev_b32_e32 v5, 1
	s_and_saveexec_b32 s17, s4
	s_cbranch_execz .LBB356_958
; %bb.953:                              ;   in Loop: Header=BB356_810 Depth=1
	v_mov_b32_e32 v5, 0xffff
	s_mov_b32 s18, exec_lo
	v_and_b32_sdwa v10, v5, v18 dst_sel:DWORD dst_unused:UNUSED_PAD src0_sel:DWORD src1_sel:BYTE_1
	v_mov_b32_e32 v5, 0x7f800001
	v_and_b32_e32 v12, 0x7f, v10
	v_cmpx_ne_u32_e32 0x7f, v12
	s_cbranch_execz .LBB356_957
; %bb.954:                              ;   in Loop: Header=BB356_810 Depth=1
	v_and_b32_e32 v10, 7, v10
	v_lshrrev_b32_e32 v5, 3, v12
	s_mov_b32 s20, exec_lo
	v_cmpx_gt_u32_e32 8, v12
; %bb.955:                              ;   in Loop: Header=BB356_810 Depth=1
	v_ffbh_u32_e32 v5, v10
	v_min_u32_e32 v5, 32, v5
	v_subrev_nc_u32_e32 v12, 28, v5
	v_sub_nc_u32_e32 v5, 29, v5
	v_lshlrev_b64 v[12:13], v12, v[10:11]
	v_and_b32_e32 v10, 7, v12
; %bb.956:                              ;   in Loop: Header=BB356_810 Depth=1
	s_or_b32 exec_lo, exec_lo, s20
	v_lshlrev_b32_e32 v12, 16, v18
	v_lshlrev_b32_e32 v10, 20, v10
	v_lshl_add_u32 v5, v5, 23, 0x3c000000
	v_and_b32_e32 v12, 0x80000000, v12
	v_or3_b32 v5, v10, v12, v5
.LBB356_957:                            ;   in Loop: Header=BB356_810 Depth=1
	s_or_b32 exec_lo, exec_lo, s18
.LBB356_958:                            ;   in Loop: Header=BB356_810 Depth=1
	s_or_b32 exec_lo, exec_lo, s17
.LBB356_959:                            ;   in Loop: Header=BB356_810 Depth=1
	s_or_b32 exec_lo, exec_lo, s16
	v_and_b32_sdwa v10, v18, v55 dst_sel:DWORD dst_unused:UNUSED_PAD src0_sel:WORD_1 src1_sel:DWORD
	v_mov_b32_e32 v13, 0
	v_mov_b32_e32 v12, 0
	s_mov_b32 s16, exec_lo
	v_cmpx_ne_u16_e32 0, v10
	s_cbranch_execz .LBB356_967
; %bb.960:                              ;   in Loop: Header=BB356_810 Depth=1
	v_bfrev_b32_e32 v12, 1
	s_mov_b32 s17, exec_lo
	v_cmpx_ne_u16_e32 0x80, v10
	s_cbranch_execz .LBB356_966
; %bb.961:                              ;   in Loop: Header=BB356_810 Depth=1
	v_bfe_u32 v20, v18, 16, 7
	v_mov_b32_e32 v12, 0x7f800001
	s_mov_b32 s18, exec_lo
	v_cmpx_ne_u32_e32 0x7f, v20
	s_cbranch_execz .LBB356_965
; %bb.962:                              ;   in Loop: Header=BB356_810 Depth=1
	v_mov_b32_e32 v10, 7
	v_lshrrev_b32_e32 v12, 3, v20
	s_mov_b32 s20, exec_lo
	v_and_b32_sdwa v10, v18, v10 dst_sel:DWORD dst_unused:UNUSED_PAD src0_sel:WORD_1 src1_sel:DWORD
	v_cmpx_gt_u32_e32 8, v20
; %bb.963:                              ;   in Loop: Header=BB356_810 Depth=1
	v_ffbh_u32_e32 v12, v10
	v_min_u32_e32 v12, 32, v12
	v_subrev_nc_u32_e32 v20, 28, v12
	v_sub_nc_u32_e32 v12, 29, v12
	v_lshlrev_b64 v[20:21], v20, v[10:11]
	v_and_b32_e32 v10, 7, v20
; %bb.964:                              ;   in Loop: Header=BB356_810 Depth=1
	s_or_b32 exec_lo, exec_lo, s20
	v_mov_b32_e32 v20, 24
	v_lshlrev_b32_e32 v10, 20, v10
	v_lshl_add_u32 v12, v12, 23, 0x3c000000
	v_lshlrev_b32_sdwa v20, v20, v18 dst_sel:DWORD dst_unused:UNUSED_PAD src0_sel:DWORD src1_sel:WORD_1
	v_and_b32_e32 v20, 0x80000000, v20
	v_or3_b32 v12, v10, v20, v12
.LBB356_965:                            ;   in Loop: Header=BB356_810 Depth=1
	s_or_b32 exec_lo, exec_lo, s18
.LBB356_966:                            ;   in Loop: Header=BB356_810 Depth=1
	s_or_b32 exec_lo, exec_lo, s17
.LBB356_967:                            ;   in Loop: Header=BB356_810 Depth=1
	s_or_b32 exec_lo, exec_lo, s16
	s_mov_b32 s16, exec_lo
	v_cmpx_lt_u32_e32 0xffffff, v18
	s_cbranch_execz .LBB356_975
; %bb.968:                              ;   in Loop: Header=BB356_810 Depth=1
	v_cmp_ne_u32_sdwa s4, v18, v53 src0_sel:BYTE_3 src1_sel:DWORD
	v_bfrev_b32_e32 v13, 1
	s_and_saveexec_b32 s17, s4
	s_cbranch_execz .LBB356_974
; %bb.969:                              ;   in Loop: Header=BB356_810 Depth=1
	v_bfe_u32 v20, v18, 24, 7
	v_mov_b32_e32 v13, 0x7f800001
	s_mov_b32 s18, exec_lo
	v_cmpx_ne_u32_e32 0x7f, v20
	s_cbranch_execz .LBB356_973
; %bb.970:                              ;   in Loop: Header=BB356_810 Depth=1
	v_mov_b32_e32 v10, 7
	v_lshrrev_b32_e32 v13, 3, v20
	s_mov_b32 s20, exec_lo
	v_and_b32_sdwa v10, v18, v10 dst_sel:DWORD dst_unused:UNUSED_PAD src0_sel:BYTE_3 src1_sel:DWORD
	v_cmpx_gt_u32_e32 8, v20
; %bb.971:                              ;   in Loop: Header=BB356_810 Depth=1
	v_ffbh_u32_e32 v13, v10
	v_min_u32_e32 v13, 32, v13
	v_subrev_nc_u32_e32 v20, 28, v13
	v_sub_nc_u32_e32 v13, 29, v13
	v_lshlrev_b64 v[20:21], v20, v[10:11]
	v_and_b32_e32 v10, 7, v20
; %bb.972:                              ;   in Loop: Header=BB356_810 Depth=1
	s_or_b32 exec_lo, exec_lo, s20
	v_mov_b32_e32 v20, 24
	v_lshlrev_b32_e32 v10, 20, v10
	v_lshl_add_u32 v13, v13, 23, 0x3c000000
	v_lshlrev_b32_sdwa v20, v20, v18 dst_sel:DWORD dst_unused:UNUSED_PAD src0_sel:DWORD src1_sel:BYTE_3
	v_and_b32_e32 v20, 0x80000000, v20
	v_or3_b32 v13, v10, v20, v13
.LBB356_973:                            ;   in Loop: Header=BB356_810 Depth=1
	s_or_b32 exec_lo, exec_lo, s18
.LBB356_974:                            ;   in Loop: Header=BB356_810 Depth=1
	s_or_b32 exec_lo, exec_lo, s17
.LBB356_975:                            ;   in Loop: Header=BB356_810 Depth=1
	s_or_b32 exec_lo, exec_lo, s16
	v_mov_b32_e32 v10, v19
	v_cmp_ne_u16_sdwa s4, v19, v11 src0_sel:BYTE_0 src1_sel:DWORD
	v_mov_b32_e32 v21, 0
	v_mov_b32_e32 v20, 0
	s_and_saveexec_b32 s16, s4
	s_cbranch_execz .LBB356_983
; %bb.976:                              ;   in Loop: Header=BB356_810 Depth=1
	v_cmp_ne_u16_sdwa s4, v19, v53 src0_sel:BYTE_0 src1_sel:DWORD
	v_bfrev_b32_e32 v20, 1
	s_and_saveexec_b32 s17, s4
	s_cbranch_execz .LBB356_982
; %bb.977:                              ;   in Loop: Header=BB356_810 Depth=1
	v_and_b32_e32 v22, 0x7f, v19
	v_mov_b32_e32 v20, 0x7f800001
	s_mov_b32 s18, exec_lo
	v_cmpx_ne_u32_e32 0x7f, v22
	s_cbranch_execz .LBB356_981
; %bb.978:                              ;   in Loop: Header=BB356_810 Depth=1
	v_mov_b32_e32 v24, v11
	v_lshrrev_b32_e32 v20, 3, v22
	v_mov_b32_e32 v23, v10
	s_mov_b32 s20, exec_lo
	v_cmpx_gt_u32_e32 8, v22
; %bb.979:                              ;   in Loop: Header=BB356_810 Depth=1
	v_and_b32_e32 v20, 7, v19
	v_ffbh_u32_e32 v20, v20
	v_min_u32_e32 v20, 32, v20
	v_subrev_nc_u32_e32 v22, 28, v20
	v_sub_nc_u32_e32 v20, 29, v20
	v_lshlrev_b64 v[23:24], v22, v[10:11]
; %bb.980:                              ;   in Loop: Header=BB356_810 Depth=1
	s_or_b32 exec_lo, exec_lo, s20
	v_lshlrev_b32_e32 v22, 20, v23
	v_lshlrev_b32_e32 v23, 24, v10
	v_lshl_add_u32 v20, v20, 23, 0x3c000000
	v_and_b32_e32 v22, 0x700000, v22
	v_and_b32_e32 v23, 0x80000000, v23
	v_or3_b32 v20, v22, v23, v20
.LBB356_981:                            ;   in Loop: Header=BB356_810 Depth=1
	s_or_b32 exec_lo, exec_lo, s18
.LBB356_982:                            ;   in Loop: Header=BB356_810 Depth=1
	s_or_b32 exec_lo, exec_lo, s17
.LBB356_983:                            ;   in Loop: Header=BB356_810 Depth=1
	s_or_b32 exec_lo, exec_lo, s16
	v_cmp_ne_u16_sdwa s4, v10, v11 src0_sel:BYTE_1 src1_sel:DWORD
	s_and_saveexec_b32 s16, s4
	s_cbranch_execz .LBB356_991
; %bb.984:                              ;   in Loop: Header=BB356_810 Depth=1
	v_cmp_ne_u16_sdwa s4, v10, v53 src0_sel:BYTE_1 src1_sel:DWORD
	v_bfrev_b32_e32 v21, 1
	s_and_saveexec_b32 s17, s4
	s_cbranch_execz .LBB356_990
; %bb.985:                              ;   in Loop: Header=BB356_810 Depth=1
	v_mov_b32_e32 v21, 0xffff
	s_mov_b32 s18, exec_lo
	v_and_b32_sdwa v23, v21, v10 dst_sel:DWORD dst_unused:UNUSED_PAD src0_sel:DWORD src1_sel:BYTE_1
	v_mov_b32_e32 v21, 0x7f800001
	v_and_b32_e32 v22, 0x7f, v23
	v_cmpx_ne_u32_e32 0x7f, v22
	s_cbranch_execz .LBB356_989
; %bb.986:                              ;   in Loop: Header=BB356_810 Depth=1
	v_and_b32_e32 v23, 7, v23
	v_mov_b32_e32 v24, v11
	v_lshrrev_b32_e32 v21, 3, v22
	s_mov_b32 s20, exec_lo
	v_cmpx_gt_u32_e32 8, v22
; %bb.987:                              ;   in Loop: Header=BB356_810 Depth=1
	v_ffbh_u32_e32 v21, v23
	v_min_u32_e32 v21, 32, v21
	v_subrev_nc_u32_e32 v22, 28, v21
	v_sub_nc_u32_e32 v21, 29, v21
	v_lshlrev_b64 v[22:23], v22, v[23:24]
	v_and_b32_e32 v23, 7, v22
; %bb.988:                              ;   in Loop: Header=BB356_810 Depth=1
	s_or_b32 exec_lo, exec_lo, s20
	v_lshlrev_b32_e32 v10, 16, v10
	v_lshlrev_b32_e32 v22, 20, v23
	v_lshl_add_u32 v21, v21, 23, 0x3c000000
	v_and_b32_e32 v10, 0x80000000, v10
	v_or3_b32 v21, v22, v10, v21
.LBB356_989:                            ;   in Loop: Header=BB356_810 Depth=1
	s_or_b32 exec_lo, exec_lo, s18
.LBB356_990:                            ;   in Loop: Header=BB356_810 Depth=1
	s_or_b32 exec_lo, exec_lo, s17
.LBB356_991:                            ;   in Loop: Header=BB356_810 Depth=1
	s_or_b32 exec_lo, exec_lo, s16
	v_and_b32_sdwa v10, v19, v55 dst_sel:DWORD dst_unused:UNUSED_PAD src0_sel:WORD_1 src1_sel:DWORD
	v_mov_b32_e32 v22, 0
	v_mov_b32_e32 v23, 0
	s_mov_b32 s16, exec_lo
	v_cmpx_ne_u16_e32 0, v10
	s_cbranch_execz .LBB356_999
; %bb.992:                              ;   in Loop: Header=BB356_810 Depth=1
	v_bfrev_b32_e32 v23, 1
	s_mov_b32 s17, exec_lo
	v_cmpx_ne_u16_e32 0x80, v10
	s_cbranch_execz .LBB356_998
; %bb.993:                              ;   in Loop: Header=BB356_810 Depth=1
	v_bfe_u32 v24, v19, 16, 7
	v_mov_b32_e32 v23, 0x7f800001
	s_mov_b32 s18, exec_lo
	v_cmpx_ne_u32_e32 0x7f, v24
	s_cbranch_execz .LBB356_997
; %bb.994:                              ;   in Loop: Header=BB356_810 Depth=1
	v_mov_b32_e32 v10, 7
	v_lshrrev_b32_e32 v23, 3, v24
	s_mov_b32 s20, exec_lo
	v_and_b32_sdwa v10, v19, v10 dst_sel:DWORD dst_unused:UNUSED_PAD src0_sel:WORD_1 src1_sel:DWORD
	v_cmpx_gt_u32_e32 8, v24
; %bb.995:                              ;   in Loop: Header=BB356_810 Depth=1
	v_ffbh_u32_e32 v23, v10
	v_min_u32_e32 v23, 32, v23
	v_subrev_nc_u32_e32 v24, 28, v23
	v_sub_nc_u32_e32 v23, 29, v23
	v_lshlrev_b64 v[24:25], v24, v[10:11]
	v_and_b32_e32 v10, 7, v24
; %bb.996:                              ;   in Loop: Header=BB356_810 Depth=1
	s_or_b32 exec_lo, exec_lo, s20
	v_mov_b32_e32 v24, 24
	v_lshlrev_b32_e32 v10, 20, v10
	v_lshl_add_u32 v23, v23, 23, 0x3c000000
	v_lshlrev_b32_sdwa v24, v24, v19 dst_sel:DWORD dst_unused:UNUSED_PAD src0_sel:DWORD src1_sel:WORD_1
	v_and_b32_e32 v24, 0x80000000, v24
	v_or3_b32 v23, v10, v24, v23
.LBB356_997:                            ;   in Loop: Header=BB356_810 Depth=1
	s_or_b32 exec_lo, exec_lo, s18
.LBB356_998:                            ;   in Loop: Header=BB356_810 Depth=1
	s_or_b32 exec_lo, exec_lo, s17
.LBB356_999:                            ;   in Loop: Header=BB356_810 Depth=1
	s_or_b32 exec_lo, exec_lo, s16
	s_mov_b32 s16, exec_lo
	v_cmpx_lt_u64_e64 s[12:13], v[18:19]
	s_cbranch_execz .LBB356_1007
; %bb.1000:                             ;   in Loop: Header=BB356_810 Depth=1
	v_cmp_ne_u32_sdwa s4, v19, v53 src0_sel:BYTE_3 src1_sel:DWORD
	v_bfrev_b32_e32 v22, 1
	s_and_saveexec_b32 s17, s4
	s_cbranch_execz .LBB356_1006
; %bb.1001:                             ;   in Loop: Header=BB356_810 Depth=1
	v_bfe_u32 v24, v19, 24, 7
	v_mov_b32_e32 v22, 0x7f800001
	s_mov_b32 s18, exec_lo
	v_cmpx_ne_u32_e32 0x7f, v24
	s_cbranch_execz .LBB356_1005
; %bb.1002:                             ;   in Loop: Header=BB356_810 Depth=1
	v_mov_b32_e32 v10, 7
	v_lshrrev_b32_e32 v18, 3, v24
	s_mov_b32 s20, exec_lo
	v_and_b32_sdwa v10, v19, v10 dst_sel:DWORD dst_unused:UNUSED_PAD src0_sel:BYTE_3 src1_sel:DWORD
	v_cmpx_gt_u32_e32 8, v24
; %bb.1003:                             ;   in Loop: Header=BB356_810 Depth=1
	v_ffbh_u32_e32 v18, v10
	v_min_u32_e32 v18, 32, v18
	v_subrev_nc_u32_e32 v22, 28, v18
	v_sub_nc_u32_e32 v18, 29, v18
	v_lshlrev_b64 v[24:25], v22, v[10:11]
	v_and_b32_e32 v10, 7, v24
; %bb.1004:                             ;   in Loop: Header=BB356_810 Depth=1
	s_or_b32 exec_lo, exec_lo, s20
	v_mov_b32_e32 v22, 24
	v_lshlrev_b32_e32 v10, 20, v10
	v_lshl_add_u32 v18, v18, 23, 0x3c000000
	v_lshlrev_b32_sdwa v19, v22, v19 dst_sel:DWORD dst_unused:UNUSED_PAD src0_sel:DWORD src1_sel:BYTE_3
	v_and_b32_e32 v19, 0x80000000, v19
	v_or3_b32 v22, v10, v19, v18
.LBB356_1005:                           ;   in Loop: Header=BB356_810 Depth=1
	s_or_b32 exec_lo, exec_lo, s18
.LBB356_1006:                           ;   in Loop: Header=BB356_810 Depth=1
	s_or_b32 exec_lo, exec_lo, s17
.LBB356_1007:                           ;   in Loop: Header=BB356_810 Depth=1
	s_or_b32 exec_lo, exec_lo, s16
	v_mul_f32_e32 v10, v44, v21
	v_mul_f32_e32 v18, v44, v20
	;; [unrolled: 1-line block ×5, first 2 shown]
	v_bfe_u32 v19, v10, 16, 1
	v_or_b32_e32 v20, 0x400000, v10
	v_bfe_u32 v21, v18, 16, 1
	v_cmp_u_f32_e64 s4, v10, v10
	v_or_b32_e32 v24, 0x400000, v18
	v_add3_u32 v19, v19, v10, 0x7fff
	v_bfe_u32 v25, v13, 16, 1
	v_add3_u32 v21, v21, v18, 0x7fff
	v_or_b32_e32 v26, 0x400000, v13
	v_bfe_u32 v27, v12, 16, 1
	v_cndmask_b32_e64 v10, v19, v20, s4
	v_cmp_u_f32_e64 s4, v18, v18
	v_add3_u32 v25, v25, v13, 0x7fff
	v_or_b32_e32 v19, 0x400000, v12
	v_mul_f32_e32 v4, v44, v4
	v_lshrrev_b32_e32 v40, 16, v10
	v_cndmask_b32_e64 v18, v21, v24, s4
	v_cmp_u_f32_e64 s4, v13, v13
	v_add3_u32 v10, v27, v12, 0x7fff
	v_bfe_u32 v20, v4, 16, 1
	v_lshrrev_b32_e32 v119, 16, v18
	v_cndmask_b32_e64 v13, v25, v26, s4
	v_cmp_u_f32_e64 s4, v12, v12
	v_mul_f32_e32 v12, v44, v23
	v_or_b32_e32 v18, 0x400000, v5
	v_lshrrev_b32_e32 v42, 16, v13
	v_bfe_u32 v13, v5, 16, 1
	v_cndmask_b32_e64 v10, v10, v19, s4
	v_cmp_u_f32_e64 s4, v5, v5
	v_mul_f32_e32 v19, v44, v22
	v_bfe_u32 v21, v12, 16, 1
	v_add3_u32 v13, v13, v5, 0x7fff
	v_or_b32_e32 v22, 0x400000, v12
	v_lshrrev_b32_e32 v43, 16, v10
	v_or_b32_e32 v23, 0x400000, v19
	v_add3_u32 v21, v21, v12, 0x7fff
	v_cndmask_b32_e64 v5, v13, v18, s4
	v_add3_u32 v18, v20, v4, 0x7fff
	v_or_b32_e32 v20, 0x400000, v4
	v_cmp_u_f32_e64 s4, v4, v4
	v_bfe_u32 v13, v19, 16, 1
	v_lshrrev_b32_e32 v46, 16, v5
	v_cndmask_b32_e64 v4, v18, v20, s4
	v_cmp_u_f32_e64 s4, v12, v12
	v_add3_u32 v13, v13, v19, 0x7fff
	v_lshrrev_b32_e32 v45, 16, v4
	v_cndmask_b32_e64 v12, v21, v22, s4
	v_cmp_u_f32_e64 s4, v19, v19
	v_lshrrev_b32_e32 v118, 16, v12
	v_cndmask_b32_e64 v13, v13, v23, s4
	v_lshrrev_b32_e32 v41, 16, v13
	s_and_saveexec_b32 s16, vcc_lo
	s_cbranch_execz .LBB356_1009
; %bb.1008:                             ;   in Loop: Header=BB356_810 Depth=1
	v_cmp_lt_i32_e64 s4, v47, v96
	v_cndmask_b32_e64 v45, 0, v45, s4
	v_cmp_lt_i32_e64 s4, v62, v96
	v_cndmask_b32_e64 v46, 0, v46, s4
	;; [unrolled: 2-line block ×8, first 2 shown]
.LBB356_1009:                           ;   in Loop: Header=BB356_810 Depth=1
	s_or_b32 exec_lo, exec_lo, s16
	flat_load_dwordx2 v[18:19], v[16:17] offset:768
	v_mov_b32_e32 v5, 0
	v_mov_b32_e32 v4, 0
	s_waitcnt vmcnt(0) lgkmcnt(0)
	v_cmp_ne_u16_sdwa s4, v18, v11 src0_sel:BYTE_0 src1_sel:DWORD
	s_and_saveexec_b32 s16, s4
	s_cbranch_execz .LBB356_1017
; %bb.1010:                             ;   in Loop: Header=BB356_810 Depth=1
	v_cmp_ne_u16_sdwa s4, v18, v53 src0_sel:BYTE_0 src1_sel:DWORD
	v_bfrev_b32_e32 v4, 1
	s_and_saveexec_b32 s17, s4
	s_cbranch_execz .LBB356_1016
; %bb.1011:                             ;   in Loop: Header=BB356_810 Depth=1
	v_and_b32_e32 v10, 0x7f, v18
	v_mov_b32_e32 v4, 0x7f800001
	s_mov_b32 s18, exec_lo
	v_cmpx_ne_u32_e32 0x7f, v10
	s_cbranch_execz .LBB356_1015
; %bb.1012:                             ;   in Loop: Header=BB356_810 Depth=1
	v_mov_b32_e32 v24, v19
	v_lshrrev_b32_e32 v4, 3, v10
	v_mov_b32_e32 v23, v18
	s_mov_b32 s20, exec_lo
	v_cmpx_gt_u32_e32 8, v10
; %bb.1013:                             ;   in Loop: Header=BB356_810 Depth=1
	v_and_b32_e32 v4, 7, v18
	v_ffbh_u32_e32 v4, v4
	v_min_u32_e32 v4, 32, v4
	v_subrev_nc_u32_e32 v10, 28, v4
	v_sub_nc_u32_e32 v4, 29, v4
	v_lshlrev_b64 v[23:24], v10, v[18:19]
; %bb.1014:                             ;   in Loop: Header=BB356_810 Depth=1
	s_or_b32 exec_lo, exec_lo, s20
	v_lshlrev_b32_e32 v10, 20, v23
	v_lshlrev_b32_e32 v12, 24, v18
	v_lshl_add_u32 v4, v4, 23, 0x3c000000
	v_and_b32_e32 v10, 0x700000, v10
	v_and_b32_e32 v12, 0x80000000, v12
	v_or3_b32 v4, v10, v12, v4
.LBB356_1015:                           ;   in Loop: Header=BB356_810 Depth=1
	s_or_b32 exec_lo, exec_lo, s18
.LBB356_1016:                           ;   in Loop: Header=BB356_810 Depth=1
	s_or_b32 exec_lo, exec_lo, s17
.LBB356_1017:                           ;   in Loop: Header=BB356_810 Depth=1
	s_or_b32 exec_lo, exec_lo, s16
	v_cmp_ne_u16_sdwa s4, v18, v11 src0_sel:BYTE_1 src1_sel:DWORD
	s_and_saveexec_b32 s16, s4
	s_cbranch_execz .LBB356_1025
; %bb.1018:                             ;   in Loop: Header=BB356_810 Depth=1
	v_cmp_ne_u16_sdwa s4, v18, v53 src0_sel:BYTE_1 src1_sel:DWORD
	v_bfrev_b32_e32 v5, 1
	s_and_saveexec_b32 s17, s4
	s_cbranch_execz .LBB356_1024
; %bb.1019:                             ;   in Loop: Header=BB356_810 Depth=1
	v_mov_b32_e32 v5, 0xffff
	s_mov_b32 s18, exec_lo
	v_and_b32_sdwa v10, v5, v18 dst_sel:DWORD dst_unused:UNUSED_PAD src0_sel:DWORD src1_sel:BYTE_1
	v_mov_b32_e32 v5, 0x7f800001
	v_and_b32_e32 v12, 0x7f, v10
	v_cmpx_ne_u32_e32 0x7f, v12
	s_cbranch_execz .LBB356_1023
; %bb.1020:                             ;   in Loop: Header=BB356_810 Depth=1
	v_and_b32_e32 v10, 7, v10
	v_lshrrev_b32_e32 v5, 3, v12
	s_mov_b32 s20, exec_lo
	v_cmpx_gt_u32_e32 8, v12
; %bb.1021:                             ;   in Loop: Header=BB356_810 Depth=1
	v_ffbh_u32_e32 v5, v10
	v_min_u32_e32 v5, 32, v5
	v_subrev_nc_u32_e32 v12, 28, v5
	v_sub_nc_u32_e32 v5, 29, v5
	v_lshlrev_b64 v[12:13], v12, v[10:11]
	v_and_b32_e32 v10, 7, v12
; %bb.1022:                             ;   in Loop: Header=BB356_810 Depth=1
	s_or_b32 exec_lo, exec_lo, s20
	v_lshlrev_b32_e32 v12, 16, v18
	v_lshlrev_b32_e32 v10, 20, v10
	v_lshl_add_u32 v5, v5, 23, 0x3c000000
	v_and_b32_e32 v12, 0x80000000, v12
	v_or3_b32 v5, v10, v12, v5
.LBB356_1023:                           ;   in Loop: Header=BB356_810 Depth=1
	s_or_b32 exec_lo, exec_lo, s18
.LBB356_1024:                           ;   in Loop: Header=BB356_810 Depth=1
	s_or_b32 exec_lo, exec_lo, s17
.LBB356_1025:                           ;   in Loop: Header=BB356_810 Depth=1
	s_or_b32 exec_lo, exec_lo, s16
	v_and_b32_sdwa v10, v18, v55 dst_sel:DWORD dst_unused:UNUSED_PAD src0_sel:WORD_1 src1_sel:DWORD
	v_mov_b32_e32 v13, 0
	v_mov_b32_e32 v12, 0
	s_mov_b32 s16, exec_lo
	v_cmpx_ne_u16_e32 0, v10
	s_cbranch_execz .LBB356_1033
; %bb.1026:                             ;   in Loop: Header=BB356_810 Depth=1
	v_bfrev_b32_e32 v12, 1
	s_mov_b32 s17, exec_lo
	v_cmpx_ne_u16_e32 0x80, v10
	s_cbranch_execz .LBB356_1032
; %bb.1027:                             ;   in Loop: Header=BB356_810 Depth=1
	v_bfe_u32 v20, v18, 16, 7
	v_mov_b32_e32 v12, 0x7f800001
	s_mov_b32 s18, exec_lo
	v_cmpx_ne_u32_e32 0x7f, v20
	s_cbranch_execz .LBB356_1031
; %bb.1028:                             ;   in Loop: Header=BB356_810 Depth=1
	v_mov_b32_e32 v10, 7
	v_lshrrev_b32_e32 v12, 3, v20
	s_mov_b32 s20, exec_lo
	v_and_b32_sdwa v10, v18, v10 dst_sel:DWORD dst_unused:UNUSED_PAD src0_sel:WORD_1 src1_sel:DWORD
	v_cmpx_gt_u32_e32 8, v20
; %bb.1029:                             ;   in Loop: Header=BB356_810 Depth=1
	v_ffbh_u32_e32 v12, v10
	v_min_u32_e32 v12, 32, v12
	v_subrev_nc_u32_e32 v20, 28, v12
	v_sub_nc_u32_e32 v12, 29, v12
	v_lshlrev_b64 v[20:21], v20, v[10:11]
	v_and_b32_e32 v10, 7, v20
; %bb.1030:                             ;   in Loop: Header=BB356_810 Depth=1
	s_or_b32 exec_lo, exec_lo, s20
	v_mov_b32_e32 v20, 24
	v_lshlrev_b32_e32 v10, 20, v10
	v_lshl_add_u32 v12, v12, 23, 0x3c000000
	v_lshlrev_b32_sdwa v20, v20, v18 dst_sel:DWORD dst_unused:UNUSED_PAD src0_sel:DWORD src1_sel:WORD_1
	v_and_b32_e32 v20, 0x80000000, v20
	v_or3_b32 v12, v10, v20, v12
.LBB356_1031:                           ;   in Loop: Header=BB356_810 Depth=1
	s_or_b32 exec_lo, exec_lo, s18
.LBB356_1032:                           ;   in Loop: Header=BB356_810 Depth=1
	s_or_b32 exec_lo, exec_lo, s17
.LBB356_1033:                           ;   in Loop: Header=BB356_810 Depth=1
	s_or_b32 exec_lo, exec_lo, s16
	s_mov_b32 s16, exec_lo
	v_cmpx_lt_u32_e32 0xffffff, v18
	s_cbranch_execz .LBB356_1041
; %bb.1034:                             ;   in Loop: Header=BB356_810 Depth=1
	v_cmp_ne_u32_sdwa s4, v18, v53 src0_sel:BYTE_3 src1_sel:DWORD
	v_bfrev_b32_e32 v13, 1
	s_and_saveexec_b32 s17, s4
	s_cbranch_execz .LBB356_1040
; %bb.1035:                             ;   in Loop: Header=BB356_810 Depth=1
	v_bfe_u32 v20, v18, 24, 7
	v_mov_b32_e32 v13, 0x7f800001
	s_mov_b32 s18, exec_lo
	v_cmpx_ne_u32_e32 0x7f, v20
	s_cbranch_execz .LBB356_1039
; %bb.1036:                             ;   in Loop: Header=BB356_810 Depth=1
	v_mov_b32_e32 v10, 7
	v_lshrrev_b32_e32 v13, 3, v20
	s_mov_b32 s20, exec_lo
	v_and_b32_sdwa v10, v18, v10 dst_sel:DWORD dst_unused:UNUSED_PAD src0_sel:BYTE_3 src1_sel:DWORD
	v_cmpx_gt_u32_e32 8, v20
; %bb.1037:                             ;   in Loop: Header=BB356_810 Depth=1
	v_ffbh_u32_e32 v13, v10
	v_min_u32_e32 v13, 32, v13
	v_subrev_nc_u32_e32 v20, 28, v13
	v_sub_nc_u32_e32 v13, 29, v13
	v_lshlrev_b64 v[20:21], v20, v[10:11]
	v_and_b32_e32 v10, 7, v20
; %bb.1038:                             ;   in Loop: Header=BB356_810 Depth=1
	s_or_b32 exec_lo, exec_lo, s20
	v_mov_b32_e32 v20, 24
	v_lshlrev_b32_e32 v10, 20, v10
	v_lshl_add_u32 v13, v13, 23, 0x3c000000
	v_lshlrev_b32_sdwa v20, v20, v18 dst_sel:DWORD dst_unused:UNUSED_PAD src0_sel:DWORD src1_sel:BYTE_3
	v_and_b32_e32 v20, 0x80000000, v20
	v_or3_b32 v13, v10, v20, v13
.LBB356_1039:                           ;   in Loop: Header=BB356_810 Depth=1
	s_or_b32 exec_lo, exec_lo, s18
.LBB356_1040:                           ;   in Loop: Header=BB356_810 Depth=1
	s_or_b32 exec_lo, exec_lo, s17
.LBB356_1041:                           ;   in Loop: Header=BB356_810 Depth=1
	s_or_b32 exec_lo, exec_lo, s16
	v_mov_b32_e32 v10, v19
	v_cmp_ne_u16_sdwa s4, v19, v11 src0_sel:BYTE_0 src1_sel:DWORD
	v_mov_b32_e32 v21, 0
	v_mov_b32_e32 v20, 0
	s_and_saveexec_b32 s16, s4
	s_cbranch_execz .LBB356_1049
; %bb.1042:                             ;   in Loop: Header=BB356_810 Depth=1
	v_cmp_ne_u16_sdwa s4, v19, v53 src0_sel:BYTE_0 src1_sel:DWORD
	v_bfrev_b32_e32 v20, 1
	s_and_saveexec_b32 s17, s4
	s_cbranch_execz .LBB356_1048
; %bb.1043:                             ;   in Loop: Header=BB356_810 Depth=1
	v_and_b32_e32 v22, 0x7f, v19
	v_mov_b32_e32 v20, 0x7f800001
	s_mov_b32 s18, exec_lo
	v_cmpx_ne_u32_e32 0x7f, v22
	s_cbranch_execz .LBB356_1047
; %bb.1044:                             ;   in Loop: Header=BB356_810 Depth=1
	v_mov_b32_e32 v24, v11
	v_lshrrev_b32_e32 v20, 3, v22
	v_mov_b32_e32 v23, v10
	s_mov_b32 s20, exec_lo
	v_cmpx_gt_u32_e32 8, v22
; %bb.1045:                             ;   in Loop: Header=BB356_810 Depth=1
	v_and_b32_e32 v20, 7, v19
	v_ffbh_u32_e32 v20, v20
	v_min_u32_e32 v20, 32, v20
	v_subrev_nc_u32_e32 v22, 28, v20
	v_sub_nc_u32_e32 v20, 29, v20
	v_lshlrev_b64 v[23:24], v22, v[10:11]
; %bb.1046:                             ;   in Loop: Header=BB356_810 Depth=1
	s_or_b32 exec_lo, exec_lo, s20
	v_lshlrev_b32_e32 v22, 20, v23
	v_lshlrev_b32_e32 v23, 24, v10
	v_lshl_add_u32 v20, v20, 23, 0x3c000000
	v_and_b32_e32 v22, 0x700000, v22
	v_and_b32_e32 v23, 0x80000000, v23
	v_or3_b32 v20, v22, v23, v20
.LBB356_1047:                           ;   in Loop: Header=BB356_810 Depth=1
	s_or_b32 exec_lo, exec_lo, s18
.LBB356_1048:                           ;   in Loop: Header=BB356_810 Depth=1
	s_or_b32 exec_lo, exec_lo, s17
.LBB356_1049:                           ;   in Loop: Header=BB356_810 Depth=1
	s_or_b32 exec_lo, exec_lo, s16
	v_cmp_ne_u16_sdwa s4, v10, v11 src0_sel:BYTE_1 src1_sel:DWORD
	s_and_saveexec_b32 s16, s4
	s_cbranch_execz .LBB356_1057
; %bb.1050:                             ;   in Loop: Header=BB356_810 Depth=1
	v_cmp_ne_u16_sdwa s4, v10, v53 src0_sel:BYTE_1 src1_sel:DWORD
	v_bfrev_b32_e32 v21, 1
	s_and_saveexec_b32 s17, s4
	s_cbranch_execz .LBB356_1056
; %bb.1051:                             ;   in Loop: Header=BB356_810 Depth=1
	v_mov_b32_e32 v21, 0xffff
	s_mov_b32 s18, exec_lo
	v_and_b32_sdwa v23, v21, v10 dst_sel:DWORD dst_unused:UNUSED_PAD src0_sel:DWORD src1_sel:BYTE_1
	v_mov_b32_e32 v21, 0x7f800001
	v_and_b32_e32 v22, 0x7f, v23
	v_cmpx_ne_u32_e32 0x7f, v22
	s_cbranch_execz .LBB356_1055
; %bb.1052:                             ;   in Loop: Header=BB356_810 Depth=1
	v_and_b32_e32 v23, 7, v23
	v_mov_b32_e32 v24, v11
	v_lshrrev_b32_e32 v21, 3, v22
	s_mov_b32 s20, exec_lo
	v_cmpx_gt_u32_e32 8, v22
; %bb.1053:                             ;   in Loop: Header=BB356_810 Depth=1
	v_ffbh_u32_e32 v21, v23
	v_min_u32_e32 v21, 32, v21
	v_subrev_nc_u32_e32 v22, 28, v21
	v_sub_nc_u32_e32 v21, 29, v21
	v_lshlrev_b64 v[22:23], v22, v[23:24]
	v_and_b32_e32 v23, 7, v22
; %bb.1054:                             ;   in Loop: Header=BB356_810 Depth=1
	s_or_b32 exec_lo, exec_lo, s20
	v_lshlrev_b32_e32 v10, 16, v10
	v_lshlrev_b32_e32 v22, 20, v23
	v_lshl_add_u32 v21, v21, 23, 0x3c000000
	v_and_b32_e32 v10, 0x80000000, v10
	v_or3_b32 v21, v22, v10, v21
.LBB356_1055:                           ;   in Loop: Header=BB356_810 Depth=1
	s_or_b32 exec_lo, exec_lo, s18
.LBB356_1056:                           ;   in Loop: Header=BB356_810 Depth=1
	s_or_b32 exec_lo, exec_lo, s17
.LBB356_1057:                           ;   in Loop: Header=BB356_810 Depth=1
	s_or_b32 exec_lo, exec_lo, s16
	v_and_b32_sdwa v10, v19, v55 dst_sel:DWORD dst_unused:UNUSED_PAD src0_sel:WORD_1 src1_sel:DWORD
	v_mov_b32_e32 v22, 0
	v_mov_b32_e32 v23, 0
	s_mov_b32 s16, exec_lo
	v_cmpx_ne_u16_e32 0, v10
	s_cbranch_execz .LBB356_1065
; %bb.1058:                             ;   in Loop: Header=BB356_810 Depth=1
	v_bfrev_b32_e32 v23, 1
	s_mov_b32 s17, exec_lo
	v_cmpx_ne_u16_e32 0x80, v10
	s_cbranch_execz .LBB356_1064
; %bb.1059:                             ;   in Loop: Header=BB356_810 Depth=1
	v_bfe_u32 v24, v19, 16, 7
	v_mov_b32_e32 v23, 0x7f800001
	s_mov_b32 s18, exec_lo
	v_cmpx_ne_u32_e32 0x7f, v24
	s_cbranch_execz .LBB356_1063
; %bb.1060:                             ;   in Loop: Header=BB356_810 Depth=1
	v_mov_b32_e32 v10, 7
	v_lshrrev_b32_e32 v23, 3, v24
	s_mov_b32 s20, exec_lo
	v_and_b32_sdwa v10, v19, v10 dst_sel:DWORD dst_unused:UNUSED_PAD src0_sel:WORD_1 src1_sel:DWORD
	v_cmpx_gt_u32_e32 8, v24
; %bb.1061:                             ;   in Loop: Header=BB356_810 Depth=1
	v_ffbh_u32_e32 v23, v10
	v_min_u32_e32 v23, 32, v23
	v_subrev_nc_u32_e32 v24, 28, v23
	v_sub_nc_u32_e32 v23, 29, v23
	v_lshlrev_b64 v[24:25], v24, v[10:11]
	v_and_b32_e32 v10, 7, v24
; %bb.1062:                             ;   in Loop: Header=BB356_810 Depth=1
	s_or_b32 exec_lo, exec_lo, s20
	v_mov_b32_e32 v24, 24
	v_lshlrev_b32_e32 v10, 20, v10
	v_lshl_add_u32 v23, v23, 23, 0x3c000000
	v_lshlrev_b32_sdwa v24, v24, v19 dst_sel:DWORD dst_unused:UNUSED_PAD src0_sel:DWORD src1_sel:WORD_1
	v_and_b32_e32 v24, 0x80000000, v24
	v_or3_b32 v23, v10, v24, v23
.LBB356_1063:                           ;   in Loop: Header=BB356_810 Depth=1
	s_or_b32 exec_lo, exec_lo, s18
.LBB356_1064:                           ;   in Loop: Header=BB356_810 Depth=1
	s_or_b32 exec_lo, exec_lo, s17
.LBB356_1065:                           ;   in Loop: Header=BB356_810 Depth=1
	s_or_b32 exec_lo, exec_lo, s16
	s_mov_b32 s16, exec_lo
	v_cmpx_lt_u64_e64 s[12:13], v[18:19]
	s_cbranch_execz .LBB356_1073
; %bb.1066:                             ;   in Loop: Header=BB356_810 Depth=1
	v_cmp_ne_u32_sdwa s4, v19, v53 src0_sel:BYTE_3 src1_sel:DWORD
	v_bfrev_b32_e32 v22, 1
	s_and_saveexec_b32 s17, s4
	s_cbranch_execz .LBB356_1072
; %bb.1067:                             ;   in Loop: Header=BB356_810 Depth=1
	v_bfe_u32 v24, v19, 24, 7
	v_mov_b32_e32 v22, 0x7f800001
	s_mov_b32 s18, exec_lo
	v_cmpx_ne_u32_e32 0x7f, v24
	s_cbranch_execz .LBB356_1071
; %bb.1068:                             ;   in Loop: Header=BB356_810 Depth=1
	v_mov_b32_e32 v10, 7
	v_lshrrev_b32_e32 v18, 3, v24
	s_mov_b32 s20, exec_lo
	v_and_b32_sdwa v10, v19, v10 dst_sel:DWORD dst_unused:UNUSED_PAD src0_sel:BYTE_3 src1_sel:DWORD
	v_cmpx_gt_u32_e32 8, v24
; %bb.1069:                             ;   in Loop: Header=BB356_810 Depth=1
	v_ffbh_u32_e32 v18, v10
	v_min_u32_e32 v18, 32, v18
	v_subrev_nc_u32_e32 v22, 28, v18
	v_sub_nc_u32_e32 v18, 29, v18
	v_lshlrev_b64 v[24:25], v22, v[10:11]
	v_and_b32_e32 v10, 7, v24
; %bb.1070:                             ;   in Loop: Header=BB356_810 Depth=1
	s_or_b32 exec_lo, exec_lo, s20
	v_mov_b32_e32 v22, 24
	v_lshlrev_b32_e32 v10, 20, v10
	v_lshl_add_u32 v18, v18, 23, 0x3c000000
	v_lshlrev_b32_sdwa v19, v22, v19 dst_sel:DWORD dst_unused:UNUSED_PAD src0_sel:DWORD src1_sel:BYTE_3
	v_and_b32_e32 v19, 0x80000000, v19
	v_or3_b32 v22, v10, v19, v18
.LBB356_1071:                           ;   in Loop: Header=BB356_810 Depth=1
	s_or_b32 exec_lo, exec_lo, s18
.LBB356_1072:                           ;   in Loop: Header=BB356_810 Depth=1
	s_or_b32 exec_lo, exec_lo, s17
.LBB356_1073:                           ;   in Loop: Header=BB356_810 Depth=1
	s_or_b32 exec_lo, exec_lo, s16
	v_mul_f32_e32 v10, v44, v21
	v_mul_f32_e32 v18, v44, v20
	;; [unrolled: 1-line block ×5, first 2 shown]
	v_bfe_u32 v19, v10, 16, 1
	v_or_b32_e32 v20, 0x400000, v10
	v_bfe_u32 v21, v18, 16, 1
	v_cmp_u_f32_e64 s4, v10, v10
	v_or_b32_e32 v24, 0x400000, v18
	v_add3_u32 v19, v19, v10, 0x7fff
	v_bfe_u32 v25, v13, 16, 1
	v_add3_u32 v21, v21, v18, 0x7fff
	v_or_b32_e32 v26, 0x400000, v13
	v_bfe_u32 v27, v12, 16, 1
	v_cndmask_b32_e64 v10, v19, v20, s4
	v_cmp_u_f32_e64 s4, v18, v18
	v_add3_u32 v25, v25, v13, 0x7fff
	v_or_b32_e32 v19, 0x400000, v12
	v_mul_f32_e32 v4, v44, v4
	v_lshrrev_b32_e32 v72, 16, v10
	v_cndmask_b32_e64 v18, v21, v24, s4
	v_cmp_u_f32_e64 s4, v13, v13
	v_add3_u32 v10, v27, v12, 0x7fff
	v_bfe_u32 v20, v4, 16, 1
	v_lshrrev_b32_e32 v63, 16, v18
	v_cndmask_b32_e64 v13, v25, v26, s4
	v_cmp_u_f32_e64 s4, v12, v12
	v_mul_f32_e32 v12, v44, v23
	v_or_b32_e32 v18, 0x400000, v5
	v_lshrrev_b32_e32 v75, 16, v13
	v_bfe_u32 v13, v5, 16, 1
	v_cndmask_b32_e64 v10, v10, v19, s4
	v_cmp_u_f32_e64 s4, v5, v5
	v_mul_f32_e32 v19, v44, v22
	v_bfe_u32 v21, v12, 16, 1
	v_add3_u32 v13, v13, v5, 0x7fff
	v_or_b32_e32 v22, 0x400000, v12
	v_lshrrev_b32_e32 v76, 16, v10
	v_or_b32_e32 v23, 0x400000, v19
	v_add3_u32 v21, v21, v12, 0x7fff
	v_cndmask_b32_e64 v5, v13, v18, s4
	v_add3_u32 v18, v20, v4, 0x7fff
	v_or_b32_e32 v20, 0x400000, v4
	v_cmp_u_f32_e64 s4, v4, v4
	v_bfe_u32 v13, v19, 16, 1
	v_lshrrev_b32_e32 v78, 16, v5
	v_cndmask_b32_e64 v4, v18, v20, s4
	v_cmp_u_f32_e64 s4, v12, v12
	v_add3_u32 v13, v13, v19, 0x7fff
	v_lshrrev_b32_e32 v77, 16, v4
	v_cndmask_b32_e64 v12, v21, v22, s4
	v_cmp_u_f32_e64 s4, v19, v19
	v_lshrrev_b32_e32 v73, 16, v12
	v_cndmask_b32_e64 v13, v13, v23, s4
	v_lshrrev_b32_e32 v74, 16, v13
	s_and_saveexec_b32 s16, vcc_lo
	s_cbranch_execz .LBB356_1075
; %bb.1074:                             ;   in Loop: Header=BB356_810 Depth=1
	v_cmp_lt_i32_e64 s4, v47, v96
	v_cndmask_b32_e64 v77, 0, v77, s4
	v_cmp_lt_i32_e64 s4, v62, v96
	v_cndmask_b32_e64 v78, 0, v78, s4
	;; [unrolled: 2-line block ×8, first 2 shown]
.LBB356_1075:                           ;   in Loop: Header=BB356_810 Depth=1
	s_or_b32 exec_lo, exec_lo, s16
	flat_load_dwordx2 v[18:19], v[16:17] offset:1024
	v_mov_b32_e32 v5, 0
	v_mov_b32_e32 v4, 0
	s_waitcnt vmcnt(0) lgkmcnt(0)
	v_cmp_ne_u16_sdwa s4, v18, v11 src0_sel:BYTE_0 src1_sel:DWORD
	s_and_saveexec_b32 s16, s4
	s_cbranch_execz .LBB356_1083
; %bb.1076:                             ;   in Loop: Header=BB356_810 Depth=1
	v_cmp_ne_u16_sdwa s4, v18, v53 src0_sel:BYTE_0 src1_sel:DWORD
	v_bfrev_b32_e32 v4, 1
	s_and_saveexec_b32 s17, s4
	s_cbranch_execz .LBB356_1082
; %bb.1077:                             ;   in Loop: Header=BB356_810 Depth=1
	v_and_b32_e32 v10, 0x7f, v18
	v_mov_b32_e32 v4, 0x7f800001
	s_mov_b32 s18, exec_lo
	v_cmpx_ne_u32_e32 0x7f, v10
	s_cbranch_execz .LBB356_1081
; %bb.1078:                             ;   in Loop: Header=BB356_810 Depth=1
	v_mov_b32_e32 v24, v19
	v_lshrrev_b32_e32 v4, 3, v10
	v_mov_b32_e32 v23, v18
	s_mov_b32 s20, exec_lo
	v_cmpx_gt_u32_e32 8, v10
; %bb.1079:                             ;   in Loop: Header=BB356_810 Depth=1
	v_and_b32_e32 v4, 7, v18
	v_ffbh_u32_e32 v4, v4
	v_min_u32_e32 v4, 32, v4
	v_subrev_nc_u32_e32 v10, 28, v4
	v_sub_nc_u32_e32 v4, 29, v4
	v_lshlrev_b64 v[23:24], v10, v[18:19]
; %bb.1080:                             ;   in Loop: Header=BB356_810 Depth=1
	s_or_b32 exec_lo, exec_lo, s20
	v_lshlrev_b32_e32 v10, 20, v23
	v_lshlrev_b32_e32 v12, 24, v18
	v_lshl_add_u32 v4, v4, 23, 0x3c000000
	v_and_b32_e32 v10, 0x700000, v10
	v_and_b32_e32 v12, 0x80000000, v12
	v_or3_b32 v4, v10, v12, v4
.LBB356_1081:                           ;   in Loop: Header=BB356_810 Depth=1
	s_or_b32 exec_lo, exec_lo, s18
.LBB356_1082:                           ;   in Loop: Header=BB356_810 Depth=1
	s_or_b32 exec_lo, exec_lo, s17
.LBB356_1083:                           ;   in Loop: Header=BB356_810 Depth=1
	s_or_b32 exec_lo, exec_lo, s16
	v_cmp_ne_u16_sdwa s4, v18, v11 src0_sel:BYTE_1 src1_sel:DWORD
	s_and_saveexec_b32 s16, s4
	s_cbranch_execz .LBB356_1091
; %bb.1084:                             ;   in Loop: Header=BB356_810 Depth=1
	v_cmp_ne_u16_sdwa s4, v18, v53 src0_sel:BYTE_1 src1_sel:DWORD
	v_bfrev_b32_e32 v5, 1
	s_and_saveexec_b32 s17, s4
	s_cbranch_execz .LBB356_1090
; %bb.1085:                             ;   in Loop: Header=BB356_810 Depth=1
	v_mov_b32_e32 v5, 0xffff
	s_mov_b32 s18, exec_lo
	v_and_b32_sdwa v10, v5, v18 dst_sel:DWORD dst_unused:UNUSED_PAD src0_sel:DWORD src1_sel:BYTE_1
	v_mov_b32_e32 v5, 0x7f800001
	v_and_b32_e32 v12, 0x7f, v10
	v_cmpx_ne_u32_e32 0x7f, v12
	s_cbranch_execz .LBB356_1089
; %bb.1086:                             ;   in Loop: Header=BB356_810 Depth=1
	v_and_b32_e32 v10, 7, v10
	v_lshrrev_b32_e32 v5, 3, v12
	s_mov_b32 s20, exec_lo
	v_cmpx_gt_u32_e32 8, v12
; %bb.1087:                             ;   in Loop: Header=BB356_810 Depth=1
	v_ffbh_u32_e32 v5, v10
	v_min_u32_e32 v5, 32, v5
	v_subrev_nc_u32_e32 v12, 28, v5
	v_sub_nc_u32_e32 v5, 29, v5
	v_lshlrev_b64 v[12:13], v12, v[10:11]
	v_and_b32_e32 v10, 7, v12
; %bb.1088:                             ;   in Loop: Header=BB356_810 Depth=1
	s_or_b32 exec_lo, exec_lo, s20
	v_lshlrev_b32_e32 v12, 16, v18
	v_lshlrev_b32_e32 v10, 20, v10
	v_lshl_add_u32 v5, v5, 23, 0x3c000000
	v_and_b32_e32 v12, 0x80000000, v12
	v_or3_b32 v5, v10, v12, v5
.LBB356_1089:                           ;   in Loop: Header=BB356_810 Depth=1
	s_or_b32 exec_lo, exec_lo, s18
.LBB356_1090:                           ;   in Loop: Header=BB356_810 Depth=1
	s_or_b32 exec_lo, exec_lo, s17
.LBB356_1091:                           ;   in Loop: Header=BB356_810 Depth=1
	s_or_b32 exec_lo, exec_lo, s16
	v_and_b32_sdwa v10, v18, v55 dst_sel:DWORD dst_unused:UNUSED_PAD src0_sel:WORD_1 src1_sel:DWORD
	v_mov_b32_e32 v13, 0
	v_mov_b32_e32 v12, 0
	s_mov_b32 s16, exec_lo
	v_cmpx_ne_u16_e32 0, v10
	s_cbranch_execz .LBB356_1099
; %bb.1092:                             ;   in Loop: Header=BB356_810 Depth=1
	v_bfrev_b32_e32 v12, 1
	s_mov_b32 s17, exec_lo
	v_cmpx_ne_u16_e32 0x80, v10
	s_cbranch_execz .LBB356_1098
; %bb.1093:                             ;   in Loop: Header=BB356_810 Depth=1
	v_bfe_u32 v20, v18, 16, 7
	v_mov_b32_e32 v12, 0x7f800001
	s_mov_b32 s18, exec_lo
	v_cmpx_ne_u32_e32 0x7f, v20
	s_cbranch_execz .LBB356_1097
; %bb.1094:                             ;   in Loop: Header=BB356_810 Depth=1
	v_mov_b32_e32 v10, 7
	v_lshrrev_b32_e32 v12, 3, v20
	s_mov_b32 s20, exec_lo
	v_and_b32_sdwa v10, v18, v10 dst_sel:DWORD dst_unused:UNUSED_PAD src0_sel:WORD_1 src1_sel:DWORD
	v_cmpx_gt_u32_e32 8, v20
; %bb.1095:                             ;   in Loop: Header=BB356_810 Depth=1
	v_ffbh_u32_e32 v12, v10
	v_min_u32_e32 v12, 32, v12
	v_subrev_nc_u32_e32 v20, 28, v12
	v_sub_nc_u32_e32 v12, 29, v12
	v_lshlrev_b64 v[20:21], v20, v[10:11]
	v_and_b32_e32 v10, 7, v20
; %bb.1096:                             ;   in Loop: Header=BB356_810 Depth=1
	s_or_b32 exec_lo, exec_lo, s20
	v_mov_b32_e32 v20, 24
	v_lshlrev_b32_e32 v10, 20, v10
	v_lshl_add_u32 v12, v12, 23, 0x3c000000
	v_lshlrev_b32_sdwa v20, v20, v18 dst_sel:DWORD dst_unused:UNUSED_PAD src0_sel:DWORD src1_sel:WORD_1
	v_and_b32_e32 v20, 0x80000000, v20
	v_or3_b32 v12, v10, v20, v12
.LBB356_1097:                           ;   in Loop: Header=BB356_810 Depth=1
	s_or_b32 exec_lo, exec_lo, s18
.LBB356_1098:                           ;   in Loop: Header=BB356_810 Depth=1
	s_or_b32 exec_lo, exec_lo, s17
.LBB356_1099:                           ;   in Loop: Header=BB356_810 Depth=1
	s_or_b32 exec_lo, exec_lo, s16
	s_mov_b32 s16, exec_lo
	v_cmpx_lt_u32_e32 0xffffff, v18
	s_cbranch_execz .LBB356_1107
; %bb.1100:                             ;   in Loop: Header=BB356_810 Depth=1
	v_cmp_ne_u32_sdwa s4, v18, v53 src0_sel:BYTE_3 src1_sel:DWORD
	v_bfrev_b32_e32 v13, 1
	s_and_saveexec_b32 s17, s4
	s_cbranch_execz .LBB356_1106
; %bb.1101:                             ;   in Loop: Header=BB356_810 Depth=1
	v_bfe_u32 v20, v18, 24, 7
	v_mov_b32_e32 v13, 0x7f800001
	s_mov_b32 s18, exec_lo
	v_cmpx_ne_u32_e32 0x7f, v20
	s_cbranch_execz .LBB356_1105
; %bb.1102:                             ;   in Loop: Header=BB356_810 Depth=1
	v_mov_b32_e32 v10, 7
	v_lshrrev_b32_e32 v13, 3, v20
	s_mov_b32 s20, exec_lo
	v_and_b32_sdwa v10, v18, v10 dst_sel:DWORD dst_unused:UNUSED_PAD src0_sel:BYTE_3 src1_sel:DWORD
	v_cmpx_gt_u32_e32 8, v20
; %bb.1103:                             ;   in Loop: Header=BB356_810 Depth=1
	v_ffbh_u32_e32 v13, v10
	v_min_u32_e32 v13, 32, v13
	v_subrev_nc_u32_e32 v20, 28, v13
	v_sub_nc_u32_e32 v13, 29, v13
	v_lshlrev_b64 v[20:21], v20, v[10:11]
	v_and_b32_e32 v10, 7, v20
; %bb.1104:                             ;   in Loop: Header=BB356_810 Depth=1
	s_or_b32 exec_lo, exec_lo, s20
	v_mov_b32_e32 v20, 24
	v_lshlrev_b32_e32 v10, 20, v10
	v_lshl_add_u32 v13, v13, 23, 0x3c000000
	v_lshlrev_b32_sdwa v20, v20, v18 dst_sel:DWORD dst_unused:UNUSED_PAD src0_sel:DWORD src1_sel:BYTE_3
	v_and_b32_e32 v20, 0x80000000, v20
	v_or3_b32 v13, v10, v20, v13
.LBB356_1105:                           ;   in Loop: Header=BB356_810 Depth=1
	s_or_b32 exec_lo, exec_lo, s18
.LBB356_1106:                           ;   in Loop: Header=BB356_810 Depth=1
	s_or_b32 exec_lo, exec_lo, s17
.LBB356_1107:                           ;   in Loop: Header=BB356_810 Depth=1
	s_or_b32 exec_lo, exec_lo, s16
	v_mov_b32_e32 v10, v19
	v_cmp_ne_u16_sdwa s4, v19, v11 src0_sel:BYTE_0 src1_sel:DWORD
	v_mov_b32_e32 v21, 0
	v_mov_b32_e32 v20, 0
	s_and_saveexec_b32 s16, s4
	s_cbranch_execz .LBB356_1115
; %bb.1108:                             ;   in Loop: Header=BB356_810 Depth=1
	v_cmp_ne_u16_sdwa s4, v19, v53 src0_sel:BYTE_0 src1_sel:DWORD
	v_bfrev_b32_e32 v20, 1
	s_and_saveexec_b32 s17, s4
	s_cbranch_execz .LBB356_1114
; %bb.1109:                             ;   in Loop: Header=BB356_810 Depth=1
	v_and_b32_e32 v22, 0x7f, v19
	v_mov_b32_e32 v20, 0x7f800001
	s_mov_b32 s18, exec_lo
	v_cmpx_ne_u32_e32 0x7f, v22
	s_cbranch_execz .LBB356_1113
; %bb.1110:                             ;   in Loop: Header=BB356_810 Depth=1
	v_mov_b32_e32 v24, v11
	v_lshrrev_b32_e32 v20, 3, v22
	v_mov_b32_e32 v23, v10
	s_mov_b32 s20, exec_lo
	v_cmpx_gt_u32_e32 8, v22
; %bb.1111:                             ;   in Loop: Header=BB356_810 Depth=1
	v_and_b32_e32 v20, 7, v19
	v_ffbh_u32_e32 v20, v20
	v_min_u32_e32 v20, 32, v20
	v_subrev_nc_u32_e32 v22, 28, v20
	v_sub_nc_u32_e32 v20, 29, v20
	v_lshlrev_b64 v[23:24], v22, v[10:11]
; %bb.1112:                             ;   in Loop: Header=BB356_810 Depth=1
	s_or_b32 exec_lo, exec_lo, s20
	v_lshlrev_b32_e32 v22, 20, v23
	v_lshlrev_b32_e32 v23, 24, v10
	v_lshl_add_u32 v20, v20, 23, 0x3c000000
	v_and_b32_e32 v22, 0x700000, v22
	v_and_b32_e32 v23, 0x80000000, v23
	v_or3_b32 v20, v22, v23, v20
.LBB356_1113:                           ;   in Loop: Header=BB356_810 Depth=1
	s_or_b32 exec_lo, exec_lo, s18
.LBB356_1114:                           ;   in Loop: Header=BB356_810 Depth=1
	s_or_b32 exec_lo, exec_lo, s17
.LBB356_1115:                           ;   in Loop: Header=BB356_810 Depth=1
	s_or_b32 exec_lo, exec_lo, s16
	v_cmp_ne_u16_sdwa s4, v10, v11 src0_sel:BYTE_1 src1_sel:DWORD
	s_and_saveexec_b32 s16, s4
	s_cbranch_execz .LBB356_1123
; %bb.1116:                             ;   in Loop: Header=BB356_810 Depth=1
	v_cmp_ne_u16_sdwa s4, v10, v53 src0_sel:BYTE_1 src1_sel:DWORD
	v_bfrev_b32_e32 v21, 1
	s_and_saveexec_b32 s17, s4
	s_cbranch_execz .LBB356_1122
; %bb.1117:                             ;   in Loop: Header=BB356_810 Depth=1
	v_mov_b32_e32 v21, 0xffff
	s_mov_b32 s18, exec_lo
	v_and_b32_sdwa v23, v21, v10 dst_sel:DWORD dst_unused:UNUSED_PAD src0_sel:DWORD src1_sel:BYTE_1
	v_mov_b32_e32 v21, 0x7f800001
	v_and_b32_e32 v22, 0x7f, v23
	v_cmpx_ne_u32_e32 0x7f, v22
	s_cbranch_execz .LBB356_1121
; %bb.1118:                             ;   in Loop: Header=BB356_810 Depth=1
	v_and_b32_e32 v23, 7, v23
	v_mov_b32_e32 v24, v11
	v_lshrrev_b32_e32 v21, 3, v22
	s_mov_b32 s20, exec_lo
	v_cmpx_gt_u32_e32 8, v22
; %bb.1119:                             ;   in Loop: Header=BB356_810 Depth=1
	v_ffbh_u32_e32 v21, v23
	v_min_u32_e32 v21, 32, v21
	v_subrev_nc_u32_e32 v22, 28, v21
	v_sub_nc_u32_e32 v21, 29, v21
	v_lshlrev_b64 v[22:23], v22, v[23:24]
	v_and_b32_e32 v23, 7, v22
; %bb.1120:                             ;   in Loop: Header=BB356_810 Depth=1
	s_or_b32 exec_lo, exec_lo, s20
	v_lshlrev_b32_e32 v10, 16, v10
	v_lshlrev_b32_e32 v22, 20, v23
	v_lshl_add_u32 v21, v21, 23, 0x3c000000
	v_and_b32_e32 v10, 0x80000000, v10
	v_or3_b32 v21, v22, v10, v21
.LBB356_1121:                           ;   in Loop: Header=BB356_810 Depth=1
	s_or_b32 exec_lo, exec_lo, s18
.LBB356_1122:                           ;   in Loop: Header=BB356_810 Depth=1
	s_or_b32 exec_lo, exec_lo, s17
.LBB356_1123:                           ;   in Loop: Header=BB356_810 Depth=1
	s_or_b32 exec_lo, exec_lo, s16
	v_and_b32_sdwa v10, v19, v55 dst_sel:DWORD dst_unused:UNUSED_PAD src0_sel:WORD_1 src1_sel:DWORD
	v_mov_b32_e32 v22, 0
	v_mov_b32_e32 v25, 0
	s_mov_b32 s16, exec_lo
	v_cmpx_ne_u16_e32 0, v10
	s_cbranch_execz .LBB356_1131
; %bb.1124:                             ;   in Loop: Header=BB356_810 Depth=1
	v_bfrev_b32_e32 v25, 1
	s_mov_b32 s17, exec_lo
	v_cmpx_ne_u16_e32 0x80, v10
	s_cbranch_execz .LBB356_1130
; %bb.1125:                             ;   in Loop: Header=BB356_810 Depth=1
	v_bfe_u32 v23, v19, 16, 7
	v_mov_b32_e32 v25, 0x7f800001
	s_mov_b32 s18, exec_lo
	v_cmpx_ne_u32_e32 0x7f, v23
	s_cbranch_execz .LBB356_1129
; %bb.1126:                             ;   in Loop: Header=BB356_810 Depth=1
	v_mov_b32_e32 v10, 7
	v_lshrrev_b32_e32 v25, 3, v23
	v_cmp_gt_u32_e64 s4, 8, v23
	v_and_b32_sdwa v10, v19, v10 dst_sel:DWORD dst_unused:UNUSED_PAD src0_sel:WORD_1 src1_sel:DWORD
	v_mov_b32_e32 v24, v11
	v_mov_b32_e32 v23, v10
	s_and_saveexec_b32 s20, s4
; %bb.1127:                             ;   in Loop: Header=BB356_810 Depth=1
	v_ffbh_u32_e32 v23, v10
	v_min_u32_e32 v25, 32, v23
	v_subrev_nc_u32_e32 v23, 28, v25
	v_sub_nc_u32_e32 v25, 29, v25
	v_lshlrev_b64 v[23:24], v23, v[10:11]
	v_and_b32_e32 v23, 7, v23
; %bb.1128:                             ;   in Loop: Header=BB356_810 Depth=1
	s_or_b32 exec_lo, exec_lo, s20
	v_mov_b32_e32 v10, 24
	v_lshlrev_b32_e32 v23, 20, v23
	v_lshl_add_u32 v24, v25, 23, 0x3c000000
	v_lshlrev_b32_sdwa v10, v10, v19 dst_sel:DWORD dst_unused:UNUSED_PAD src0_sel:DWORD src1_sel:WORD_1
	v_and_b32_e32 v10, 0x80000000, v10
	v_or3_b32 v25, v23, v10, v24
.LBB356_1129:                           ;   in Loop: Header=BB356_810 Depth=1
	s_or_b32 exec_lo, exec_lo, s18
.LBB356_1130:                           ;   in Loop: Header=BB356_810 Depth=1
	s_or_b32 exec_lo, exec_lo, s17
.LBB356_1131:                           ;   in Loop: Header=BB356_810 Depth=1
	s_or_b32 exec_lo, exec_lo, s16
	s_mov_b32 s16, exec_lo
	v_cmpx_lt_u64_e64 s[12:13], v[18:19]
	s_cbranch_execz .LBB356_1139
; %bb.1132:                             ;   in Loop: Header=BB356_810 Depth=1
	v_cmp_ne_u32_sdwa s4, v19, v53 src0_sel:BYTE_3 src1_sel:DWORD
	v_bfrev_b32_e32 v22, 1
	s_and_saveexec_b32 s17, s4
	s_cbranch_execz .LBB356_1138
; %bb.1133:                             ;   in Loop: Header=BB356_810 Depth=1
	v_bfe_u32 v23, v19, 24, 7
	v_mov_b32_e32 v22, 0x7f800001
	s_mov_b32 s18, exec_lo
	v_cmpx_ne_u32_e32 0x7f, v23
	s_cbranch_execz .LBB356_1137
; %bb.1134:                             ;   in Loop: Header=BB356_810 Depth=1
	v_mov_b32_e32 v10, 7
	v_lshrrev_b32_e32 v18, 3, v23
	v_cmp_gt_u32_e64 s4, 8, v23
	v_and_b32_sdwa v10, v19, v10 dst_sel:DWORD dst_unused:UNUSED_PAD src0_sel:BYTE_3 src1_sel:DWORD
	v_mov_b32_e32 v24, v11
	v_mov_b32_e32 v23, v10
	s_and_saveexec_b32 s20, s4
; %bb.1135:                             ;   in Loop: Header=BB356_810 Depth=1
	v_ffbh_u32_e32 v18, v10
	v_min_u32_e32 v18, 32, v18
	v_subrev_nc_u32_e32 v22, 28, v18
	v_sub_nc_u32_e32 v18, 29, v18
	v_lshlrev_b64 v[22:23], v22, v[10:11]
	v_and_b32_e32 v23, 7, v22
; %bb.1136:                             ;   in Loop: Header=BB356_810 Depth=1
	s_or_b32 exec_lo, exec_lo, s20
	v_mov_b32_e32 v10, 24
	v_lshl_add_u32 v18, v18, 23, 0x3c000000
	v_lshlrev_b32_sdwa v10, v10, v19 dst_sel:DWORD dst_unused:UNUSED_PAD src0_sel:DWORD src1_sel:BYTE_3
	v_lshlrev_b32_e32 v19, 20, v23
	v_and_b32_e32 v10, 0x80000000, v10
	v_or3_b32 v22, v19, v10, v18
.LBB356_1137:                           ;   in Loop: Header=BB356_810 Depth=1
	s_or_b32 exec_lo, exec_lo, s18
.LBB356_1138:                           ;   in Loop: Header=BB356_810 Depth=1
	s_or_b32 exec_lo, exec_lo, s17
.LBB356_1139:                           ;   in Loop: Header=BB356_810 Depth=1
	s_or_b32 exec_lo, exec_lo, s16
	v_mul_f32_e32 v10, v44, v21
	v_mul_f32_e32 v18, v44, v20
	;; [unrolled: 1-line block ×5, first 2 shown]
	v_bfe_u32 v19, v10, 16, 1
	v_or_b32_e32 v20, 0x400000, v10
	v_bfe_u32 v21, v18, 16, 1
	v_cmp_u_f32_e64 s4, v10, v10
	v_or_b32_e32 v23, 0x400000, v18
	v_add3_u32 v19, v19, v10, 0x7fff
	v_bfe_u32 v24, v13, 16, 1
	v_add3_u32 v21, v21, v18, 0x7fff
	v_or_b32_e32 v26, 0x400000, v13
	v_bfe_u32 v27, v12, 16, 1
	v_cndmask_b32_e64 v10, v19, v20, s4
	v_cmp_u_f32_e64 s4, v18, v18
	v_add3_u32 v24, v24, v13, 0x7fff
	v_or_b32_e32 v19, 0x400000, v12
	v_mul_f32_e32 v4, v44, v4
	v_lshrrev_b32_e32 v88, 16, v10
	v_cndmask_b32_e64 v18, v21, v23, s4
	v_cmp_u_f32_e64 s4, v13, v13
	v_add3_u32 v10, v27, v12, 0x7fff
	v_bfe_u32 v20, v4, 16, 1
	v_lshrrev_b32_e32 v79, 16, v18
	v_cndmask_b32_e64 v13, v24, v26, s4
	v_cmp_u_f32_e64 s4, v12, v12
	v_mul_f32_e32 v12, v44, v25
	v_or_b32_e32 v18, 0x400000, v5
	v_lshrrev_b32_e32 v91, 16, v13
	v_bfe_u32 v13, v5, 16, 1
	v_cndmask_b32_e64 v10, v10, v19, s4
	v_cmp_u_f32_e64 s4, v5, v5
	v_mul_f32_e32 v19, v44, v22
	v_bfe_u32 v21, v12, 16, 1
	v_add3_u32 v13, v13, v5, 0x7fff
	v_or_b32_e32 v22, 0x400000, v12
	v_lshrrev_b32_e32 v92, 16, v10
	v_or_b32_e32 v23, 0x400000, v19
	v_add3_u32 v21, v21, v12, 0x7fff
	v_cndmask_b32_e64 v5, v13, v18, s4
	v_add3_u32 v18, v20, v4, 0x7fff
	v_or_b32_e32 v20, 0x400000, v4
	v_cmp_u_f32_e64 s4, v4, v4
	v_bfe_u32 v13, v19, 16, 1
	v_lshrrev_b32_e32 v94, 16, v5
	v_cndmask_b32_e64 v4, v18, v20, s4
	v_cmp_u_f32_e64 s4, v12, v12
	v_add3_u32 v13, v13, v19, 0x7fff
	v_lshrrev_b32_e32 v93, 16, v4
	v_cndmask_b32_e64 v12, v21, v22, s4
	v_cmp_u_f32_e64 s4, v19, v19
	v_lshrrev_b32_e32 v89, 16, v12
	v_cndmask_b32_e64 v13, v13, v23, s4
	v_lshrrev_b32_e32 v90, 16, v13
	s_and_saveexec_b32 s16, vcc_lo
	s_cbranch_execz .LBB356_1141
; %bb.1140:                             ;   in Loop: Header=BB356_810 Depth=1
	v_cmp_lt_i32_e64 s4, v47, v96
	v_cndmask_b32_e64 v93, 0, v93, s4
	v_cmp_lt_i32_e64 s4, v62, v96
	v_cndmask_b32_e64 v94, 0, v94, s4
	;; [unrolled: 2-line block ×8, first 2 shown]
.LBB356_1141:                           ;   in Loop: Header=BB356_810 Depth=1
	s_or_b32 exec_lo, exec_lo, s16
	flat_load_dwordx2 v[18:19], v[16:17] offset:1280
	v_mov_b32_e32 v5, 0
	v_mov_b32_e32 v4, 0
	s_waitcnt vmcnt(0) lgkmcnt(0)
	v_cmp_ne_u16_sdwa s4, v18, v11 src0_sel:BYTE_0 src1_sel:DWORD
	s_and_saveexec_b32 s16, s4
	s_cbranch_execz .LBB356_1149
; %bb.1142:                             ;   in Loop: Header=BB356_810 Depth=1
	v_cmp_ne_u16_sdwa s4, v18, v53 src0_sel:BYTE_0 src1_sel:DWORD
	v_bfrev_b32_e32 v4, 1
	s_and_saveexec_b32 s17, s4
	s_cbranch_execz .LBB356_1148
; %bb.1143:                             ;   in Loop: Header=BB356_810 Depth=1
	v_and_b32_e32 v10, 0x7f, v18
	v_mov_b32_e32 v4, 0x7f800001
	s_mov_b32 s18, exec_lo
	v_cmpx_ne_u32_e32 0x7f, v10
	s_cbranch_execz .LBB356_1147
; %bb.1144:                             ;   in Loop: Header=BB356_810 Depth=1
	v_mov_b32_e32 v24, v19
	v_lshrrev_b32_e32 v4, 3, v10
	v_mov_b32_e32 v23, v18
	s_mov_b32 s20, exec_lo
	v_cmpx_gt_u32_e32 8, v10
; %bb.1145:                             ;   in Loop: Header=BB356_810 Depth=1
	v_and_b32_e32 v4, 7, v18
	v_ffbh_u32_e32 v4, v4
	v_min_u32_e32 v4, 32, v4
	v_subrev_nc_u32_e32 v10, 28, v4
	v_sub_nc_u32_e32 v4, 29, v4
	v_lshlrev_b64 v[23:24], v10, v[18:19]
; %bb.1146:                             ;   in Loop: Header=BB356_810 Depth=1
	s_or_b32 exec_lo, exec_lo, s20
	v_lshlrev_b32_e32 v10, 20, v23
	v_lshlrev_b32_e32 v12, 24, v18
	v_lshl_add_u32 v4, v4, 23, 0x3c000000
	v_and_b32_e32 v10, 0x700000, v10
	v_and_b32_e32 v12, 0x80000000, v12
	v_or3_b32 v4, v10, v12, v4
.LBB356_1147:                           ;   in Loop: Header=BB356_810 Depth=1
	s_or_b32 exec_lo, exec_lo, s18
.LBB356_1148:                           ;   in Loop: Header=BB356_810 Depth=1
	s_or_b32 exec_lo, exec_lo, s17
.LBB356_1149:                           ;   in Loop: Header=BB356_810 Depth=1
	s_or_b32 exec_lo, exec_lo, s16
	v_cmp_ne_u16_sdwa s4, v18, v11 src0_sel:BYTE_1 src1_sel:DWORD
	s_and_saveexec_b32 s16, s4
	s_cbranch_execz .LBB356_1157
; %bb.1150:                             ;   in Loop: Header=BB356_810 Depth=1
	v_cmp_ne_u16_sdwa s4, v18, v53 src0_sel:BYTE_1 src1_sel:DWORD
	v_bfrev_b32_e32 v5, 1
	s_and_saveexec_b32 s17, s4
	s_cbranch_execz .LBB356_1156
; %bb.1151:                             ;   in Loop: Header=BB356_810 Depth=1
	v_mov_b32_e32 v5, 0xffff
	s_mov_b32 s18, exec_lo
	v_and_b32_sdwa v10, v5, v18 dst_sel:DWORD dst_unused:UNUSED_PAD src0_sel:DWORD src1_sel:BYTE_1
	v_mov_b32_e32 v5, 0x7f800001
	v_and_b32_e32 v12, 0x7f, v10
	v_cmpx_ne_u32_e32 0x7f, v12
	s_cbranch_execz .LBB356_1155
; %bb.1152:                             ;   in Loop: Header=BB356_810 Depth=1
	v_and_b32_e32 v10, 7, v10
	v_mov_b32_e32 v24, v11
	v_lshrrev_b32_e32 v5, 3, v12
	s_mov_b32 s20, exec_lo
	v_mov_b32_e32 v23, v10
	v_cmpx_gt_u32_e32 8, v12
; %bb.1153:                             ;   in Loop: Header=BB356_810 Depth=1
	v_ffbh_u32_e32 v5, v10
	v_min_u32_e32 v5, 32, v5
	v_subrev_nc_u32_e32 v12, 28, v5
	v_sub_nc_u32_e32 v5, 29, v5
	v_lshlrev_b64 v[12:13], v12, v[10:11]
	v_and_b32_e32 v23, 7, v12
; %bb.1154:                             ;   in Loop: Header=BB356_810 Depth=1
	s_or_b32 exec_lo, exec_lo, s20
	v_lshlrev_b32_e32 v10, 16, v18
	v_lshlrev_b32_e32 v12, 20, v23
	v_lshl_add_u32 v5, v5, 23, 0x3c000000
	v_and_b32_e32 v10, 0x80000000, v10
	v_or3_b32 v5, v12, v10, v5
.LBB356_1155:                           ;   in Loop: Header=BB356_810 Depth=1
	s_or_b32 exec_lo, exec_lo, s18
.LBB356_1156:                           ;   in Loop: Header=BB356_810 Depth=1
	s_or_b32 exec_lo, exec_lo, s17
.LBB356_1157:                           ;   in Loop: Header=BB356_810 Depth=1
	s_or_b32 exec_lo, exec_lo, s16
	v_and_b32_sdwa v10, v18, v55 dst_sel:DWORD dst_unused:UNUSED_PAD src0_sel:WORD_1 src1_sel:DWORD
	v_mov_b32_e32 v13, 0
	v_mov_b32_e32 v12, 0
	s_mov_b32 s16, exec_lo
	v_cmpx_ne_u16_e32 0, v10
	s_cbranch_execz .LBB356_1165
; %bb.1158:                             ;   in Loop: Header=BB356_810 Depth=1
	v_bfrev_b32_e32 v12, 1
	s_mov_b32 s17, exec_lo
	v_cmpx_ne_u16_e32 0x80, v10
	s_cbranch_execz .LBB356_1164
; %bb.1159:                             ;   in Loop: Header=BB356_810 Depth=1
	v_bfe_u32 v20, v18, 16, 7
	v_mov_b32_e32 v12, 0x7f800001
	s_mov_b32 s18, exec_lo
	v_cmpx_ne_u32_e32 0x7f, v20
	s_cbranch_execz .LBB356_1163
; %bb.1160:                             ;   in Loop: Header=BB356_810 Depth=1
	v_mov_b32_e32 v10, 7
	v_lshrrev_b32_e32 v12, 3, v20
	s_mov_b32 s20, exec_lo
	v_and_b32_sdwa v10, v18, v10 dst_sel:DWORD dst_unused:UNUSED_PAD src0_sel:WORD_1 src1_sel:DWORD
	v_mov_b32_e32 v24, v11
	v_mov_b32_e32 v23, v10
	v_cmpx_gt_u32_e32 8, v20
; %bb.1161:                             ;   in Loop: Header=BB356_810 Depth=1
	v_ffbh_u32_e32 v12, v10
	v_min_u32_e32 v12, 32, v12
	v_subrev_nc_u32_e32 v20, 28, v12
	v_sub_nc_u32_e32 v12, 29, v12
	v_lshlrev_b64 v[20:21], v20, v[10:11]
	v_and_b32_e32 v23, 7, v20
; %bb.1162:                             ;   in Loop: Header=BB356_810 Depth=1
	s_or_b32 exec_lo, exec_lo, s20
	v_mov_b32_e32 v10, 24
	v_lshlrev_b32_e32 v20, 20, v23
	v_lshl_add_u32 v12, v12, 23, 0x3c000000
	v_lshlrev_b32_sdwa v10, v10, v18 dst_sel:DWORD dst_unused:UNUSED_PAD src0_sel:DWORD src1_sel:WORD_1
	v_and_b32_e32 v10, 0x80000000, v10
	v_or3_b32 v12, v20, v10, v12
.LBB356_1163:                           ;   in Loop: Header=BB356_810 Depth=1
	s_or_b32 exec_lo, exec_lo, s18
.LBB356_1164:                           ;   in Loop: Header=BB356_810 Depth=1
	s_or_b32 exec_lo, exec_lo, s17
.LBB356_1165:                           ;   in Loop: Header=BB356_810 Depth=1
	s_or_b32 exec_lo, exec_lo, s16
	s_mov_b32 s16, exec_lo
	v_cmpx_lt_u32_e32 0xffffff, v18
	s_cbranch_execz .LBB356_1173
; %bb.1166:                             ;   in Loop: Header=BB356_810 Depth=1
	v_cmp_ne_u32_sdwa s4, v18, v53 src0_sel:BYTE_3 src1_sel:DWORD
	v_bfrev_b32_e32 v13, 1
	s_and_saveexec_b32 s17, s4
	s_cbranch_execz .LBB356_1172
; %bb.1167:                             ;   in Loop: Header=BB356_810 Depth=1
	v_bfe_u32 v20, v18, 24, 7
	v_mov_b32_e32 v13, 0x7f800001
	s_mov_b32 s18, exec_lo
	v_cmpx_ne_u32_e32 0x7f, v20
	s_cbranch_execz .LBB356_1171
; %bb.1168:                             ;   in Loop: Header=BB356_810 Depth=1
	v_mov_b32_e32 v10, 7
	v_lshrrev_b32_e32 v13, 3, v20
	s_mov_b32 s20, exec_lo
	v_and_b32_sdwa v10, v18, v10 dst_sel:DWORD dst_unused:UNUSED_PAD src0_sel:BYTE_3 src1_sel:DWORD
	v_mov_b32_e32 v24, v11
	v_mov_b32_e32 v23, v10
	v_cmpx_gt_u32_e32 8, v20
; %bb.1169:                             ;   in Loop: Header=BB356_810 Depth=1
	v_ffbh_u32_e32 v13, v10
	v_min_u32_e32 v13, 32, v13
	v_subrev_nc_u32_e32 v20, 28, v13
	v_sub_nc_u32_e32 v13, 29, v13
	v_lshlrev_b64 v[20:21], v20, v[10:11]
	v_and_b32_e32 v23, 7, v20
; %bb.1170:                             ;   in Loop: Header=BB356_810 Depth=1
	s_or_b32 exec_lo, exec_lo, s20
	v_mov_b32_e32 v10, 24
	v_lshlrev_b32_e32 v20, 20, v23
	v_lshl_add_u32 v13, v13, 23, 0x3c000000
	v_lshlrev_b32_sdwa v10, v10, v18 dst_sel:DWORD dst_unused:UNUSED_PAD src0_sel:DWORD src1_sel:BYTE_3
	v_and_b32_e32 v10, 0x80000000, v10
	v_or3_b32 v13, v20, v10, v13
.LBB356_1171:                           ;   in Loop: Header=BB356_810 Depth=1
	s_or_b32 exec_lo, exec_lo, s18
.LBB356_1172:                           ;   in Loop: Header=BB356_810 Depth=1
	s_or_b32 exec_lo, exec_lo, s17
.LBB356_1173:                           ;   in Loop: Header=BB356_810 Depth=1
	s_or_b32 exec_lo, exec_lo, s16
	v_mov_b32_e32 v10, v19
	v_cmp_ne_u16_sdwa s4, v19, v11 src0_sel:BYTE_0 src1_sel:DWORD
	v_mov_b32_e32 v21, 0
	v_mov_b32_e32 v20, 0
	s_and_saveexec_b32 s16, s4
	s_cbranch_execz .LBB356_1181
; %bb.1174:                             ;   in Loop: Header=BB356_810 Depth=1
	v_cmp_ne_u16_sdwa s4, v19, v53 src0_sel:BYTE_0 src1_sel:DWORD
	v_bfrev_b32_e32 v20, 1
	s_and_saveexec_b32 s17, s4
	s_cbranch_execz .LBB356_1180
; %bb.1175:                             ;   in Loop: Header=BB356_810 Depth=1
	v_and_b32_e32 v22, 0x7f, v19
	v_mov_b32_e32 v20, 0x7f800001
	s_mov_b32 s18, exec_lo
	v_cmpx_ne_u32_e32 0x7f, v22
	s_cbranch_execz .LBB356_1179
; %bb.1176:                             ;   in Loop: Header=BB356_810 Depth=1
	v_mov_b32_e32 v24, v11
	v_lshrrev_b32_e32 v20, 3, v22
	v_mov_b32_e32 v23, v10
	s_mov_b32 s20, exec_lo
	v_cmpx_gt_u32_e32 8, v22
; %bb.1177:                             ;   in Loop: Header=BB356_810 Depth=1
	v_and_b32_e32 v20, 7, v19
	v_ffbh_u32_e32 v20, v20
	v_min_u32_e32 v20, 32, v20
	v_subrev_nc_u32_e32 v22, 28, v20
	v_sub_nc_u32_e32 v20, 29, v20
	v_lshlrev_b64 v[23:24], v22, v[10:11]
; %bb.1178:                             ;   in Loop: Header=BB356_810 Depth=1
	s_or_b32 exec_lo, exec_lo, s20
	v_lshlrev_b32_e32 v22, 20, v23
	v_lshlrev_b32_e32 v23, 24, v10
	v_lshl_add_u32 v20, v20, 23, 0x3c000000
	v_and_b32_e32 v22, 0x700000, v22
	v_and_b32_e32 v23, 0x80000000, v23
	v_or3_b32 v20, v22, v23, v20
.LBB356_1179:                           ;   in Loop: Header=BB356_810 Depth=1
	s_or_b32 exec_lo, exec_lo, s18
.LBB356_1180:                           ;   in Loop: Header=BB356_810 Depth=1
	s_or_b32 exec_lo, exec_lo, s17
.LBB356_1181:                           ;   in Loop: Header=BB356_810 Depth=1
	s_or_b32 exec_lo, exec_lo, s16
	v_cmp_ne_u16_sdwa s4, v10, v11 src0_sel:BYTE_1 src1_sel:DWORD
	s_and_saveexec_b32 s16, s4
	s_cbranch_execz .LBB356_1189
; %bb.1182:                             ;   in Loop: Header=BB356_810 Depth=1
	v_cmp_ne_u16_sdwa s4, v10, v53 src0_sel:BYTE_1 src1_sel:DWORD
	v_bfrev_b32_e32 v21, 1
	s_and_saveexec_b32 s17, s4
	s_cbranch_execz .LBB356_1188
; %bb.1183:                             ;   in Loop: Header=BB356_810 Depth=1
	v_mov_b32_e32 v21, 0xffff
	s_mov_b32 s18, exec_lo
	v_and_b32_sdwa v23, v21, v10 dst_sel:DWORD dst_unused:UNUSED_PAD src0_sel:DWORD src1_sel:BYTE_1
	v_mov_b32_e32 v21, 0x7f800001
	v_and_b32_e32 v22, 0x7f, v23
	v_cmpx_ne_u32_e32 0x7f, v22
	s_cbranch_execz .LBB356_1187
; %bb.1184:                             ;   in Loop: Header=BB356_810 Depth=1
	v_and_b32_e32 v23, 7, v23
	v_mov_b32_e32 v24, v11
	v_lshrrev_b32_e32 v21, 3, v22
	s_mov_b32 s20, exec_lo
	v_cmpx_gt_u32_e32 8, v22
; %bb.1185:                             ;   in Loop: Header=BB356_810 Depth=1
	v_ffbh_u32_e32 v21, v23
	v_min_u32_e32 v21, 32, v21
	v_subrev_nc_u32_e32 v22, 28, v21
	v_sub_nc_u32_e32 v21, 29, v21
	v_lshlrev_b64 v[22:23], v22, v[23:24]
	v_and_b32_e32 v23, 7, v22
; %bb.1186:                             ;   in Loop: Header=BB356_810 Depth=1
	s_or_b32 exec_lo, exec_lo, s20
	v_lshlrev_b32_e32 v10, 16, v10
	v_lshlrev_b32_e32 v22, 20, v23
	v_lshl_add_u32 v21, v21, 23, 0x3c000000
	v_and_b32_e32 v10, 0x80000000, v10
	v_or3_b32 v21, v22, v10, v21
.LBB356_1187:                           ;   in Loop: Header=BB356_810 Depth=1
	s_or_b32 exec_lo, exec_lo, s18
.LBB356_1188:                           ;   in Loop: Header=BB356_810 Depth=1
	s_or_b32 exec_lo, exec_lo, s17
.LBB356_1189:                           ;   in Loop: Header=BB356_810 Depth=1
	s_or_b32 exec_lo, exec_lo, s16
	v_and_b32_sdwa v10, v19, v55 dst_sel:DWORD dst_unused:UNUSED_PAD src0_sel:WORD_1 src1_sel:DWORD
	v_mov_b32_e32 v22, 0
	v_mov_b32_e32 v25, 0
	s_mov_b32 s16, exec_lo
	v_cmpx_ne_u16_e32 0, v10
	s_cbranch_execz .LBB356_1197
; %bb.1190:                             ;   in Loop: Header=BB356_810 Depth=1
	v_bfrev_b32_e32 v25, 1
	s_mov_b32 s17, exec_lo
	v_cmpx_ne_u16_e32 0x80, v10
	s_cbranch_execz .LBB356_1196
; %bb.1191:                             ;   in Loop: Header=BB356_810 Depth=1
	v_bfe_u32 v23, v19, 16, 7
	v_mov_b32_e32 v25, 0x7f800001
	s_mov_b32 s18, exec_lo
	v_cmpx_ne_u32_e32 0x7f, v23
	s_cbranch_execz .LBB356_1195
; %bb.1192:                             ;   in Loop: Header=BB356_810 Depth=1
	v_mov_b32_e32 v10, 7
	v_lshrrev_b32_e32 v25, 3, v23
	v_cmp_gt_u32_e64 s4, 8, v23
	v_and_b32_sdwa v10, v19, v10 dst_sel:DWORD dst_unused:UNUSED_PAD src0_sel:WORD_1 src1_sel:DWORD
	v_mov_b32_e32 v24, v11
	v_mov_b32_e32 v23, v10
	s_and_saveexec_b32 s20, s4
; %bb.1193:                             ;   in Loop: Header=BB356_810 Depth=1
	v_ffbh_u32_e32 v23, v10
	v_min_u32_e32 v25, 32, v23
	v_subrev_nc_u32_e32 v23, 28, v25
	v_sub_nc_u32_e32 v25, 29, v25
	v_lshlrev_b64 v[23:24], v23, v[10:11]
	v_and_b32_e32 v23, 7, v23
; %bb.1194:                             ;   in Loop: Header=BB356_810 Depth=1
	s_or_b32 exec_lo, exec_lo, s20
	v_mov_b32_e32 v10, 24
	v_lshlrev_b32_e32 v23, 20, v23
	v_lshl_add_u32 v24, v25, 23, 0x3c000000
	v_lshlrev_b32_sdwa v10, v10, v19 dst_sel:DWORD dst_unused:UNUSED_PAD src0_sel:DWORD src1_sel:WORD_1
	v_and_b32_e32 v10, 0x80000000, v10
	v_or3_b32 v25, v23, v10, v24
.LBB356_1195:                           ;   in Loop: Header=BB356_810 Depth=1
	s_or_b32 exec_lo, exec_lo, s18
.LBB356_1196:                           ;   in Loop: Header=BB356_810 Depth=1
	s_or_b32 exec_lo, exec_lo, s17
.LBB356_1197:                           ;   in Loop: Header=BB356_810 Depth=1
	s_or_b32 exec_lo, exec_lo, s16
	s_mov_b32 s16, exec_lo
	v_cmpx_lt_u64_e64 s[12:13], v[18:19]
	s_cbranch_execz .LBB356_1205
; %bb.1198:                             ;   in Loop: Header=BB356_810 Depth=1
	v_cmp_ne_u32_sdwa s4, v19, v53 src0_sel:BYTE_3 src1_sel:DWORD
	v_bfrev_b32_e32 v22, 1
	s_and_saveexec_b32 s17, s4
	s_cbranch_execz .LBB356_1204
; %bb.1199:                             ;   in Loop: Header=BB356_810 Depth=1
	v_bfe_u32 v23, v19, 24, 7
	v_mov_b32_e32 v22, 0x7f800001
	s_mov_b32 s18, exec_lo
	v_cmpx_ne_u32_e32 0x7f, v23
	s_cbranch_execz .LBB356_1203
; %bb.1200:                             ;   in Loop: Header=BB356_810 Depth=1
	v_mov_b32_e32 v10, 7
	v_lshrrev_b32_e32 v18, 3, v23
	v_cmp_gt_u32_e64 s4, 8, v23
	v_and_b32_sdwa v10, v19, v10 dst_sel:DWORD dst_unused:UNUSED_PAD src0_sel:BYTE_3 src1_sel:DWORD
	v_mov_b32_e32 v24, v11
	v_mov_b32_e32 v23, v10
	s_and_saveexec_b32 s20, s4
; %bb.1201:                             ;   in Loop: Header=BB356_810 Depth=1
	v_ffbh_u32_e32 v18, v10
	v_min_u32_e32 v18, 32, v18
	v_subrev_nc_u32_e32 v22, 28, v18
	v_sub_nc_u32_e32 v18, 29, v18
	v_lshlrev_b64 v[22:23], v22, v[10:11]
	v_and_b32_e32 v23, 7, v22
; %bb.1202:                             ;   in Loop: Header=BB356_810 Depth=1
	s_or_b32 exec_lo, exec_lo, s20
	v_mov_b32_e32 v10, 24
	v_lshl_add_u32 v18, v18, 23, 0x3c000000
	v_lshlrev_b32_sdwa v10, v10, v19 dst_sel:DWORD dst_unused:UNUSED_PAD src0_sel:DWORD src1_sel:BYTE_3
	v_lshlrev_b32_e32 v19, 20, v23
	v_and_b32_e32 v10, 0x80000000, v10
	v_or3_b32 v22, v19, v10, v18
.LBB356_1203:                           ;   in Loop: Header=BB356_810 Depth=1
	s_or_b32 exec_lo, exec_lo, s18
.LBB356_1204:                           ;   in Loop: Header=BB356_810 Depth=1
	s_or_b32 exec_lo, exec_lo, s17
.LBB356_1205:                           ;   in Loop: Header=BB356_810 Depth=1
	s_or_b32 exec_lo, exec_lo, s16
	v_mul_f32_e32 v10, v44, v21
	v_mul_f32_e32 v18, v44, v20
	;; [unrolled: 1-line block ×5, first 2 shown]
	v_bfe_u32 v19, v10, 16, 1
	v_or_b32_e32 v20, 0x400000, v10
	v_bfe_u32 v21, v18, 16, 1
	v_cmp_u_f32_e64 s4, v10, v10
	v_or_b32_e32 v23, 0x400000, v18
	v_add3_u32 v19, v19, v10, 0x7fff
	v_bfe_u32 v24, v13, 16, 1
	v_add3_u32 v21, v21, v18, 0x7fff
	v_or_b32_e32 v26, 0x400000, v13
	v_bfe_u32 v27, v12, 16, 1
	v_cndmask_b32_e64 v10, v19, v20, s4
	v_cmp_u_f32_e64 s4, v18, v18
	v_add3_u32 v24, v24, v13, 0x7fff
	v_or_b32_e32 v19, 0x400000, v12
	v_mul_f32_e32 v4, v44, v4
	v_lshrrev_b32_e32 v104, 16, v10
	v_cndmask_b32_e64 v18, v21, v23, s4
	v_cmp_u_f32_e64 s4, v13, v13
	v_add3_u32 v10, v27, v12, 0x7fff
	v_bfe_u32 v20, v4, 16, 1
	v_lshrrev_b32_e32 v95, 16, v18
	v_cndmask_b32_e64 v13, v24, v26, s4
	v_cmp_u_f32_e64 s4, v12, v12
	v_mul_f32_e32 v12, v44, v25
	v_or_b32_e32 v18, 0x400000, v5
	v_lshrrev_b32_e32 v107, 16, v13
	v_bfe_u32 v13, v5, 16, 1
	v_cndmask_b32_e64 v10, v10, v19, s4
	v_cmp_u_f32_e64 s4, v5, v5
	v_mul_f32_e32 v19, v44, v22
	v_bfe_u32 v21, v12, 16, 1
	v_add3_u32 v13, v13, v5, 0x7fff
	v_or_b32_e32 v22, 0x400000, v12
	v_lshrrev_b32_e32 v108, 16, v10
	v_or_b32_e32 v23, 0x400000, v19
	v_add3_u32 v21, v21, v12, 0x7fff
	v_cndmask_b32_e64 v5, v13, v18, s4
	v_add3_u32 v18, v20, v4, 0x7fff
	v_or_b32_e32 v20, 0x400000, v4
	v_cmp_u_f32_e64 s4, v4, v4
	v_bfe_u32 v13, v19, 16, 1
	v_lshrrev_b32_e32 v110, 16, v5
	v_cndmask_b32_e64 v4, v18, v20, s4
	v_cmp_u_f32_e64 s4, v12, v12
	v_add3_u32 v13, v13, v19, 0x7fff
	v_lshrrev_b32_e32 v109, 16, v4
	v_cndmask_b32_e64 v12, v21, v22, s4
	v_cmp_u_f32_e64 s4, v19, v19
	v_lshrrev_b32_e32 v105, 16, v12
	v_cndmask_b32_e64 v13, v13, v23, s4
	v_lshrrev_b32_e32 v106, 16, v13
	s_and_saveexec_b32 s16, vcc_lo
	s_cbranch_execz .LBB356_1207
; %bb.1206:                             ;   in Loop: Header=BB356_810 Depth=1
	v_cmp_lt_i32_e64 s4, v47, v96
	v_cndmask_b32_e64 v109, 0, v109, s4
	v_cmp_lt_i32_e64 s4, v62, v96
	v_cndmask_b32_e64 v110, 0, v110, s4
	;; [unrolled: 2-line block ×8, first 2 shown]
.LBB356_1207:                           ;   in Loop: Header=BB356_810 Depth=1
	s_or_b32 exec_lo, exec_lo, s16
	flat_load_dwordx2 v[18:19], v[16:17] offset:1536
	v_mov_b32_e32 v5, 0
	v_mov_b32_e32 v4, 0
	s_waitcnt vmcnt(0) lgkmcnt(0)
	v_cmp_ne_u16_sdwa s4, v18, v11 src0_sel:BYTE_0 src1_sel:DWORD
	s_and_saveexec_b32 s16, s4
	s_cbranch_execz .LBB356_1215
; %bb.1208:                             ;   in Loop: Header=BB356_810 Depth=1
	v_cmp_ne_u16_sdwa s4, v18, v53 src0_sel:BYTE_0 src1_sel:DWORD
	v_bfrev_b32_e32 v4, 1
	s_and_saveexec_b32 s17, s4
	s_cbranch_execz .LBB356_1214
; %bb.1209:                             ;   in Loop: Header=BB356_810 Depth=1
	v_and_b32_e32 v10, 0x7f, v18
	v_mov_b32_e32 v4, 0x7f800001
	s_mov_b32 s18, exec_lo
	v_cmpx_ne_u32_e32 0x7f, v10
	s_cbranch_execz .LBB356_1213
; %bb.1210:                             ;   in Loop: Header=BB356_810 Depth=1
	v_mov_b32_e32 v24, v19
	v_lshrrev_b32_e32 v4, 3, v10
	v_mov_b32_e32 v23, v18
	s_mov_b32 s20, exec_lo
	v_cmpx_gt_u32_e32 8, v10
; %bb.1211:                             ;   in Loop: Header=BB356_810 Depth=1
	v_and_b32_e32 v4, 7, v18
	v_ffbh_u32_e32 v4, v4
	v_min_u32_e32 v4, 32, v4
	v_subrev_nc_u32_e32 v10, 28, v4
	v_sub_nc_u32_e32 v4, 29, v4
	v_lshlrev_b64 v[23:24], v10, v[18:19]
; %bb.1212:                             ;   in Loop: Header=BB356_810 Depth=1
	s_or_b32 exec_lo, exec_lo, s20
	v_lshlrev_b32_e32 v10, 20, v23
	v_lshlrev_b32_e32 v12, 24, v18
	v_lshl_add_u32 v4, v4, 23, 0x3c000000
	v_and_b32_e32 v10, 0x700000, v10
	v_and_b32_e32 v12, 0x80000000, v12
	v_or3_b32 v4, v10, v12, v4
.LBB356_1213:                           ;   in Loop: Header=BB356_810 Depth=1
	s_or_b32 exec_lo, exec_lo, s18
.LBB356_1214:                           ;   in Loop: Header=BB356_810 Depth=1
	s_or_b32 exec_lo, exec_lo, s17
.LBB356_1215:                           ;   in Loop: Header=BB356_810 Depth=1
	s_or_b32 exec_lo, exec_lo, s16
	v_cmp_ne_u16_sdwa s4, v18, v11 src0_sel:BYTE_1 src1_sel:DWORD
	s_and_saveexec_b32 s16, s4
	s_cbranch_execz .LBB356_1223
; %bb.1216:                             ;   in Loop: Header=BB356_810 Depth=1
	v_cmp_ne_u16_sdwa s4, v18, v53 src0_sel:BYTE_1 src1_sel:DWORD
	v_bfrev_b32_e32 v5, 1
	s_and_saveexec_b32 s17, s4
	s_cbranch_execz .LBB356_1222
; %bb.1217:                             ;   in Loop: Header=BB356_810 Depth=1
	v_mov_b32_e32 v5, 0xffff
	s_mov_b32 s18, exec_lo
	v_and_b32_sdwa v10, v5, v18 dst_sel:DWORD dst_unused:UNUSED_PAD src0_sel:DWORD src1_sel:BYTE_1
	v_mov_b32_e32 v5, 0x7f800001
	v_and_b32_e32 v12, 0x7f, v10
	v_cmpx_ne_u32_e32 0x7f, v12
	s_cbranch_execz .LBB356_1221
; %bb.1218:                             ;   in Loop: Header=BB356_810 Depth=1
	v_and_b32_e32 v10, 7, v10
	v_mov_b32_e32 v24, v11
	v_lshrrev_b32_e32 v5, 3, v12
	s_mov_b32 s20, exec_lo
	v_mov_b32_e32 v23, v10
	v_cmpx_gt_u32_e32 8, v12
; %bb.1219:                             ;   in Loop: Header=BB356_810 Depth=1
	v_ffbh_u32_e32 v5, v10
	v_min_u32_e32 v5, 32, v5
	v_subrev_nc_u32_e32 v12, 28, v5
	v_sub_nc_u32_e32 v5, 29, v5
	v_lshlrev_b64 v[12:13], v12, v[10:11]
	v_and_b32_e32 v23, 7, v12
; %bb.1220:                             ;   in Loop: Header=BB356_810 Depth=1
	s_or_b32 exec_lo, exec_lo, s20
	v_lshlrev_b32_e32 v10, 16, v18
	v_lshlrev_b32_e32 v12, 20, v23
	v_lshl_add_u32 v5, v5, 23, 0x3c000000
	v_and_b32_e32 v10, 0x80000000, v10
	v_or3_b32 v5, v12, v10, v5
.LBB356_1221:                           ;   in Loop: Header=BB356_810 Depth=1
	s_or_b32 exec_lo, exec_lo, s18
.LBB356_1222:                           ;   in Loop: Header=BB356_810 Depth=1
	s_or_b32 exec_lo, exec_lo, s17
.LBB356_1223:                           ;   in Loop: Header=BB356_810 Depth=1
	s_or_b32 exec_lo, exec_lo, s16
	v_and_b32_sdwa v10, v18, v55 dst_sel:DWORD dst_unused:UNUSED_PAD src0_sel:WORD_1 src1_sel:DWORD
	v_mov_b32_e32 v13, 0
	v_mov_b32_e32 v12, 0
	s_mov_b32 s16, exec_lo
	v_cmpx_ne_u16_e32 0, v10
	s_cbranch_execz .LBB356_1231
; %bb.1224:                             ;   in Loop: Header=BB356_810 Depth=1
	v_bfrev_b32_e32 v12, 1
	s_mov_b32 s17, exec_lo
	v_cmpx_ne_u16_e32 0x80, v10
	s_cbranch_execz .LBB356_1230
; %bb.1225:                             ;   in Loop: Header=BB356_810 Depth=1
	v_bfe_u32 v20, v18, 16, 7
	v_mov_b32_e32 v12, 0x7f800001
	s_mov_b32 s18, exec_lo
	v_cmpx_ne_u32_e32 0x7f, v20
	s_cbranch_execz .LBB356_1229
; %bb.1226:                             ;   in Loop: Header=BB356_810 Depth=1
	v_mov_b32_e32 v10, 7
	v_lshrrev_b32_e32 v12, 3, v20
	s_mov_b32 s20, exec_lo
	v_and_b32_sdwa v10, v18, v10 dst_sel:DWORD dst_unused:UNUSED_PAD src0_sel:WORD_1 src1_sel:DWORD
	v_mov_b32_e32 v24, v11
	v_mov_b32_e32 v23, v10
	v_cmpx_gt_u32_e32 8, v20
; %bb.1227:                             ;   in Loop: Header=BB356_810 Depth=1
	v_ffbh_u32_e32 v12, v10
	v_min_u32_e32 v12, 32, v12
	v_subrev_nc_u32_e32 v20, 28, v12
	v_sub_nc_u32_e32 v12, 29, v12
	v_lshlrev_b64 v[20:21], v20, v[10:11]
	v_and_b32_e32 v23, 7, v20
; %bb.1228:                             ;   in Loop: Header=BB356_810 Depth=1
	s_or_b32 exec_lo, exec_lo, s20
	v_mov_b32_e32 v10, 24
	v_lshlrev_b32_e32 v20, 20, v23
	v_lshl_add_u32 v12, v12, 23, 0x3c000000
	v_lshlrev_b32_sdwa v10, v10, v18 dst_sel:DWORD dst_unused:UNUSED_PAD src0_sel:DWORD src1_sel:WORD_1
	v_and_b32_e32 v10, 0x80000000, v10
	v_or3_b32 v12, v20, v10, v12
.LBB356_1229:                           ;   in Loop: Header=BB356_810 Depth=1
	s_or_b32 exec_lo, exec_lo, s18
.LBB356_1230:                           ;   in Loop: Header=BB356_810 Depth=1
	s_or_b32 exec_lo, exec_lo, s17
.LBB356_1231:                           ;   in Loop: Header=BB356_810 Depth=1
	s_or_b32 exec_lo, exec_lo, s16
	s_mov_b32 s16, exec_lo
	v_cmpx_lt_u32_e32 0xffffff, v18
	s_cbranch_execz .LBB356_1239
; %bb.1232:                             ;   in Loop: Header=BB356_810 Depth=1
	v_cmp_ne_u32_sdwa s4, v18, v53 src0_sel:BYTE_3 src1_sel:DWORD
	v_bfrev_b32_e32 v13, 1
	s_and_saveexec_b32 s17, s4
	s_cbranch_execz .LBB356_1238
; %bb.1233:                             ;   in Loop: Header=BB356_810 Depth=1
	v_bfe_u32 v20, v18, 24, 7
	v_mov_b32_e32 v13, 0x7f800001
	s_mov_b32 s18, exec_lo
	v_cmpx_ne_u32_e32 0x7f, v20
	s_cbranch_execz .LBB356_1237
; %bb.1234:                             ;   in Loop: Header=BB356_810 Depth=1
	v_mov_b32_e32 v10, 7
	v_lshrrev_b32_e32 v13, 3, v20
	s_mov_b32 s20, exec_lo
	v_and_b32_sdwa v10, v18, v10 dst_sel:DWORD dst_unused:UNUSED_PAD src0_sel:BYTE_3 src1_sel:DWORD
	v_mov_b32_e32 v24, v11
	v_mov_b32_e32 v23, v10
	v_cmpx_gt_u32_e32 8, v20
; %bb.1235:                             ;   in Loop: Header=BB356_810 Depth=1
	v_ffbh_u32_e32 v13, v10
	v_min_u32_e32 v13, 32, v13
	v_subrev_nc_u32_e32 v20, 28, v13
	v_sub_nc_u32_e32 v13, 29, v13
	v_lshlrev_b64 v[20:21], v20, v[10:11]
	v_and_b32_e32 v23, 7, v20
; %bb.1236:                             ;   in Loop: Header=BB356_810 Depth=1
	s_or_b32 exec_lo, exec_lo, s20
	v_mov_b32_e32 v10, 24
	v_lshlrev_b32_e32 v20, 20, v23
	v_lshl_add_u32 v13, v13, 23, 0x3c000000
	v_lshlrev_b32_sdwa v10, v10, v18 dst_sel:DWORD dst_unused:UNUSED_PAD src0_sel:DWORD src1_sel:BYTE_3
	v_and_b32_e32 v10, 0x80000000, v10
	v_or3_b32 v13, v20, v10, v13
.LBB356_1237:                           ;   in Loop: Header=BB356_810 Depth=1
	s_or_b32 exec_lo, exec_lo, s18
.LBB356_1238:                           ;   in Loop: Header=BB356_810 Depth=1
	s_or_b32 exec_lo, exec_lo, s17
.LBB356_1239:                           ;   in Loop: Header=BB356_810 Depth=1
	s_or_b32 exec_lo, exec_lo, s16
	v_mov_b32_e32 v10, v19
	v_cmp_ne_u16_sdwa s4, v19, v11 src0_sel:BYTE_0 src1_sel:DWORD
	v_mov_b32_e32 v25, 0
	v_mov_b32_e32 v22, 0
	s_and_saveexec_b32 s16, s4
	s_cbranch_execz .LBB356_1247
; %bb.1240:                             ;   in Loop: Header=BB356_810 Depth=1
	v_cmp_ne_u16_sdwa s4, v19, v53 src0_sel:BYTE_0 src1_sel:DWORD
	v_bfrev_b32_e32 v22, 1
	s_and_saveexec_b32 s17, s4
	s_cbranch_execz .LBB356_1246
; %bb.1241:                             ;   in Loop: Header=BB356_810 Depth=1
	v_and_b32_e32 v21, 0x7f, v19
	v_mov_b32_e32 v22, 0x7f800001
	s_mov_b32 s18, exec_lo
	v_cmpx_ne_u32_e32 0x7f, v21
	s_cbranch_execz .LBB356_1245
; %bb.1242:                             ;   in Loop: Header=BB356_810 Depth=1
	v_mov_b32_e32 v24, v11
	v_lshrrev_b32_e32 v20, 3, v21
	v_mov_b32_e32 v23, v10
	s_mov_b32 s20, exec_lo
	v_cmpx_gt_u32_e32 8, v21
; %bb.1243:                             ;   in Loop: Header=BB356_810 Depth=1
	v_and_b32_e32 v20, 7, v19
	v_ffbh_u32_e32 v20, v20
	v_min_u32_e32 v20, 32, v20
	v_subrev_nc_u32_e32 v21, 28, v20
	v_sub_nc_u32_e32 v20, 29, v20
	v_lshlrev_b64 v[23:24], v21, v[10:11]
; %bb.1244:                             ;   in Loop: Header=BB356_810 Depth=1
	s_or_b32 exec_lo, exec_lo, s20
	v_lshlrev_b32_e32 v21, 20, v23
	v_lshlrev_b32_e32 v22, 24, v10
	v_lshl_add_u32 v20, v20, 23, 0x3c000000
	v_and_b32_e32 v21, 0x700000, v21
	v_and_b32_e32 v22, 0x80000000, v22
	v_or3_b32 v22, v21, v22, v20
.LBB356_1245:                           ;   in Loop: Header=BB356_810 Depth=1
	s_or_b32 exec_lo, exec_lo, s18
.LBB356_1246:                           ;   in Loop: Header=BB356_810 Depth=1
	s_or_b32 exec_lo, exec_lo, s17
.LBB356_1247:                           ;   in Loop: Header=BB356_810 Depth=1
	s_or_b32 exec_lo, exec_lo, s16
	v_cmp_ne_u16_sdwa s4, v10, v11 src0_sel:BYTE_1 src1_sel:DWORD
	s_and_saveexec_b32 s16, s4
	s_cbranch_execz .LBB356_1255
; %bb.1248:                             ;   in Loop: Header=BB356_810 Depth=1
	v_cmp_ne_u16_sdwa s4, v10, v53 src0_sel:BYTE_1 src1_sel:DWORD
	v_bfrev_b32_e32 v25, 1
	s_and_saveexec_b32 s17, s4
	s_cbranch_execz .LBB356_1254
; %bb.1249:                             ;   in Loop: Header=BB356_810 Depth=1
	v_mov_b32_e32 v20, 0xffff
	v_mov_b32_e32 v25, 0x7f800001
	s_mov_b32 s18, exec_lo
	v_and_b32_sdwa v20, v20, v10 dst_sel:DWORD dst_unused:UNUSED_PAD src0_sel:DWORD src1_sel:BYTE_1
	v_and_b32_e32 v21, 0x7f, v20
	v_cmpx_ne_u32_e32 0x7f, v21
	s_cbranch_execz .LBB356_1253
; %bb.1250:                             ;   in Loop: Header=BB356_810 Depth=1
	v_and_b32_e32 v23, 7, v20
	v_mov_b32_e32 v24, v11
	v_lshrrev_b32_e32 v20, 3, v21
	s_mov_b32 s20, exec_lo
	v_cmpx_gt_u32_e32 8, v21
; %bb.1251:                             ;   in Loop: Header=BB356_810 Depth=1
	v_ffbh_u32_e32 v20, v23
	v_min_u32_e32 v20, 32, v20
	v_subrev_nc_u32_e32 v21, 28, v20
	v_sub_nc_u32_e32 v20, 29, v20
	v_lshlrev_b64 v[23:24], v21, v[23:24]
	v_and_b32_e32 v23, 7, v23
; %bb.1252:                             ;   in Loop: Header=BB356_810 Depth=1
	s_or_b32 exec_lo, exec_lo, s20
	v_lshlrev_b32_e32 v10, 16, v10
	v_lshlrev_b32_e32 v21, 20, v23
	v_lshl_add_u32 v20, v20, 23, 0x3c000000
	v_and_b32_e32 v10, 0x80000000, v10
	v_or3_b32 v25, v21, v10, v20
.LBB356_1253:                           ;   in Loop: Header=BB356_810 Depth=1
	s_or_b32 exec_lo, exec_lo, s18
.LBB356_1254:                           ;   in Loop: Header=BB356_810 Depth=1
	s_or_b32 exec_lo, exec_lo, s17
.LBB356_1255:                           ;   in Loop: Header=BB356_810 Depth=1
	s_or_b32 exec_lo, exec_lo, s16
	v_and_b32_sdwa v10, v19, v55 dst_sel:DWORD dst_unused:UNUSED_PAD src0_sel:WORD_1 src1_sel:DWORD
	v_mov_b32_e32 v20, 0
	v_mov_b32_e32 v21, 0
	s_mov_b32 s16, exec_lo
	v_cmpx_ne_u16_e32 0, v10
	s_cbranch_execz .LBB356_1263
; %bb.1256:                             ;   in Loop: Header=BB356_810 Depth=1
	v_bfrev_b32_e32 v21, 1
	s_mov_b32 s17, exec_lo
	v_cmpx_ne_u16_e32 0x80, v10
	s_cbranch_execz .LBB356_1262
; %bb.1257:                             ;   in Loop: Header=BB356_810 Depth=1
	v_bfe_u32 v23, v19, 16, 7
	v_mov_b32_e32 v21, 0x7f800001
	s_mov_b32 s18, exec_lo
	v_cmpx_ne_u32_e32 0x7f, v23
	s_cbranch_execz .LBB356_1261
; %bb.1258:                             ;   in Loop: Header=BB356_810 Depth=1
	v_mov_b32_e32 v10, 7
	v_lshrrev_b32_e32 v21, 3, v23
	v_cmp_gt_u32_e64 s4, 8, v23
	v_and_b32_sdwa v10, v19, v10 dst_sel:DWORD dst_unused:UNUSED_PAD src0_sel:WORD_1 src1_sel:DWORD
	v_mov_b32_e32 v24, v11
	v_mov_b32_e32 v23, v10
	s_and_saveexec_b32 s20, s4
; %bb.1259:                             ;   in Loop: Header=BB356_810 Depth=1
	v_ffbh_u32_e32 v21, v10
	v_min_u32_e32 v21, 32, v21
	v_subrev_nc_u32_e32 v23, 28, v21
	v_sub_nc_u32_e32 v21, 29, v21
	v_lshlrev_b64 v[23:24], v23, v[10:11]
	v_and_b32_e32 v23, 7, v23
; %bb.1260:                             ;   in Loop: Header=BB356_810 Depth=1
	s_or_b32 exec_lo, exec_lo, s20
	v_mov_b32_e32 v10, 24
	v_lshlrev_b32_e32 v23, 20, v23
	v_lshl_add_u32 v21, v21, 23, 0x3c000000
	v_lshlrev_b32_sdwa v10, v10, v19 dst_sel:DWORD dst_unused:UNUSED_PAD src0_sel:DWORD src1_sel:WORD_1
	v_and_b32_e32 v10, 0x80000000, v10
	v_or3_b32 v21, v23, v10, v21
.LBB356_1261:                           ;   in Loop: Header=BB356_810 Depth=1
	s_or_b32 exec_lo, exec_lo, s18
.LBB356_1262:                           ;   in Loop: Header=BB356_810 Depth=1
	s_or_b32 exec_lo, exec_lo, s17
.LBB356_1263:                           ;   in Loop: Header=BB356_810 Depth=1
	s_or_b32 exec_lo, exec_lo, s16
	s_mov_b32 s16, exec_lo
	v_cmpx_lt_u64_e64 s[12:13], v[18:19]
	s_cbranch_execz .LBB356_1271
; %bb.1264:                             ;   in Loop: Header=BB356_810 Depth=1
	v_cmp_ne_u32_sdwa s4, v19, v53 src0_sel:BYTE_3 src1_sel:DWORD
	v_bfrev_b32_e32 v20, 1
	s_and_saveexec_b32 s17, s4
	s_cbranch_execz .LBB356_1270
; %bb.1265:                             ;   in Loop: Header=BB356_810 Depth=1
	v_bfe_u32 v23, v19, 24, 7
	v_mov_b32_e32 v20, 0x7f800001
	s_mov_b32 s18, exec_lo
	v_cmpx_ne_u32_e32 0x7f, v23
	s_cbranch_execz .LBB356_1269
; %bb.1266:                             ;   in Loop: Header=BB356_810 Depth=1
	v_mov_b32_e32 v10, 7
	v_lshrrev_b32_e32 v18, 3, v23
	v_cmp_gt_u32_e64 s4, 8, v23
	v_and_b32_sdwa v10, v19, v10 dst_sel:DWORD dst_unused:UNUSED_PAD src0_sel:BYTE_3 src1_sel:DWORD
	v_mov_b32_e32 v24, v11
	v_mov_b32_e32 v23, v10
	s_and_saveexec_b32 s20, s4
; %bb.1267:                             ;   in Loop: Header=BB356_810 Depth=1
	v_ffbh_u32_e32 v18, v10
	v_min_u32_e32 v18, 32, v18
	v_subrev_nc_u32_e32 v20, 28, v18
	v_sub_nc_u32_e32 v18, 29, v18
	v_lshlrev_b64 v[23:24], v20, v[10:11]
	v_and_b32_e32 v23, 7, v23
; %bb.1268:                             ;   in Loop: Header=BB356_810 Depth=1
	s_or_b32 exec_lo, exec_lo, s20
	v_mov_b32_e32 v10, 24
	v_lshl_add_u32 v18, v18, 23, 0x3c000000
	v_lshlrev_b32_sdwa v10, v10, v19 dst_sel:DWORD dst_unused:UNUSED_PAD src0_sel:DWORD src1_sel:BYTE_3
	v_lshlrev_b32_e32 v19, 20, v23
	v_and_b32_e32 v10, 0x80000000, v10
	v_or3_b32 v20, v19, v10, v18
.LBB356_1269:                           ;   in Loop: Header=BB356_810 Depth=1
	s_or_b32 exec_lo, exec_lo, s18
.LBB356_1270:                           ;   in Loop: Header=BB356_810 Depth=1
	s_or_b32 exec_lo, exec_lo, s17
.LBB356_1271:                           ;   in Loop: Header=BB356_810 Depth=1
	s_or_b32 exec_lo, exec_lo, s16
	v_mul_f32_e32 v10, v44, v25
	v_mul_f32_e32 v5, v44, v5
	;; [unrolled: 1-line block ×3, first 2 shown]
	v_bfe_u32 v18, v10, 16, 1
	v_or_b32_e32 v19, 0x400000, v10
	v_cmp_u_f32_e64 s4, v10, v10
	v_add3_u32 v18, v18, v10, 0x7fff
	v_cndmask_b32_e64 v10, v18, v19, s4
	v_lshrrev_b32_e32 v111, 16, v10
	v_mul_f32_e32 v10, v44, v22
	v_bfe_u32 v18, v10, 16, 1
	v_or_b32_e32 v19, 0x400000, v10
	v_cmp_u_f32_e64 s4, v10, v10
	v_add3_u32 v18, v18, v10, 0x7fff
	v_cndmask_b32_e64 v10, v18, v19, s4
	v_lshrrev_b32_e32 v120, 16, v10
	v_mul_f32_e32 v10, v44, v13
	;; [unrolled: 7-line block ×3, first 2 shown]
	v_bfe_u32 v12, v10, 16, 1
	v_or_b32_e32 v13, 0x400000, v10
	v_cmp_u_f32_e64 s4, v10, v10
	v_add3_u32 v12, v12, v10, 0x7fff
	v_cndmask_b32_e64 v10, v12, v13, s4
	v_or_b32_e32 v12, 0x400000, v5
	v_cmp_u_f32_e64 s4, v5, v5
	v_lshrrev_b32_e32 v122, 16, v10
	v_bfe_u32 v10, v5, 16, 1
	v_add3_u32 v10, v10, v5, 0x7fff
	v_cndmask_b32_e64 v5, v10, v12, s4
	v_bfe_u32 v10, v4, 16, 1
	v_or_b32_e32 v12, 0x400000, v4
	v_cmp_u_f32_e64 s4, v4, v4
	v_lshrrev_b32_e32 v5, 16, v5
	v_add3_u32 v10, v10, v4, 0x7fff
	v_cndmask_b32_e64 v4, v10, v12, s4
	v_lshrrev_b32_e32 v39, 16, v4
	v_mul_f32_e32 v4, v44, v21
	v_bfe_u32 v10, v4, 16, 1
	v_or_b32_e32 v12, 0x400000, v4
	v_cmp_u_f32_e64 s4, v4, v4
	v_add3_u32 v10, v10, v4, 0x7fff
	v_cndmask_b32_e64 v4, v10, v12, s4
	v_lshrrev_b32_e32 v123, 16, v4
	v_mul_f32_e32 v4, v44, v20
	v_bfe_u32 v10, v4, 16, 1
	v_or_b32_e32 v12, 0x400000, v4
	v_cmp_u_f32_e64 s4, v4, v4
	v_add3_u32 v10, v10, v4, 0x7fff
	v_cndmask_b32_e64 v4, v10, v12, s4
	v_lshrrev_b32_e32 v124, 16, v4
	s_and_saveexec_b32 s16, vcc_lo
	s_cbranch_execz .LBB356_1273
; %bb.1272:                             ;   in Loop: Header=BB356_810 Depth=1
	v_cmp_lt_i32_e64 s4, v47, v96
	v_cndmask_b32_e64 v39, 0, v39, s4
	v_cmp_lt_i32_e64 s4, v62, v96
	v_cndmask_b32_e64 v5, 0, v5, s4
	;; [unrolled: 2-line block ×8, first 2 shown]
.LBB356_1273:                           ;   in Loop: Header=BB356_810 Depth=1
	s_or_b32 exec_lo, exec_lo, s16
	flat_load_dwordx2 v[18:19], v[16:17] offset:1792
	v_mov_b32_e32 v13, 0
	v_mov_b32_e32 v12, 0
	s_waitcnt vmcnt(0) lgkmcnt(0)
	v_cmp_ne_u16_sdwa s4, v18, v11 src0_sel:BYTE_0 src1_sel:DWORD
	s_and_saveexec_b32 s16, s4
	s_cbranch_execz .LBB356_1281
; %bb.1274:                             ;   in Loop: Header=BB356_810 Depth=1
	v_cmp_ne_u16_sdwa s4, v18, v53 src0_sel:BYTE_0 src1_sel:DWORD
	v_bfrev_b32_e32 v12, 1
	s_and_saveexec_b32 s17, s4
	s_cbranch_execz .LBB356_1280
; %bb.1275:                             ;   in Loop: Header=BB356_810 Depth=1
	v_and_b32_e32 v10, 0x7f, v18
	v_mov_b32_e32 v12, 0x7f800001
	s_mov_b32 s18, exec_lo
	v_cmpx_ne_u32_e32 0x7f, v10
	s_cbranch_execz .LBB356_1279
; %bb.1276:                             ;   in Loop: Header=BB356_810 Depth=1
	v_mov_b32_e32 v24, v19
	v_lshrrev_b32_e32 v4, 3, v10
	v_mov_b32_e32 v23, v18
	s_mov_b32 s20, exec_lo
	v_cmpx_gt_u32_e32 8, v10
; %bb.1277:                             ;   in Loop: Header=BB356_810 Depth=1
	v_and_b32_e32 v4, 7, v18
	v_ffbh_u32_e32 v4, v4
	v_min_u32_e32 v4, 32, v4
	v_subrev_nc_u32_e32 v10, 28, v4
	v_sub_nc_u32_e32 v4, 29, v4
	v_lshlrev_b64 v[23:24], v10, v[18:19]
; %bb.1278:                             ;   in Loop: Header=BB356_810 Depth=1
	s_or_b32 exec_lo, exec_lo, s20
	v_lshlrev_b32_e32 v10, 20, v23
	v_lshlrev_b32_e32 v12, 24, v18
	v_lshl_add_u32 v4, v4, 23, 0x3c000000
	v_and_b32_e32 v10, 0x700000, v10
	v_and_b32_e32 v12, 0x80000000, v12
	v_or3_b32 v12, v10, v12, v4
.LBB356_1279:                           ;   in Loop: Header=BB356_810 Depth=1
	s_or_b32 exec_lo, exec_lo, s18
.LBB356_1280:                           ;   in Loop: Header=BB356_810 Depth=1
	s_or_b32 exec_lo, exec_lo, s17
.LBB356_1281:                           ;   in Loop: Header=BB356_810 Depth=1
	s_or_b32 exec_lo, exec_lo, s16
	v_cmp_ne_u16_sdwa s4, v18, v11 src0_sel:BYTE_1 src1_sel:DWORD
	s_and_saveexec_b32 s16, s4
	s_cbranch_execz .LBB356_1289
; %bb.1282:                             ;   in Loop: Header=BB356_810 Depth=1
	v_cmp_ne_u16_sdwa s4, v18, v53 src0_sel:BYTE_1 src1_sel:DWORD
	v_bfrev_b32_e32 v13, 1
	s_and_saveexec_b32 s17, s4
	s_cbranch_execz .LBB356_1288
; %bb.1283:                             ;   in Loop: Header=BB356_810 Depth=1
	v_mov_b32_e32 v4, 0xffff
	v_mov_b32_e32 v13, 0x7f800001
	s_mov_b32 s18, exec_lo
	v_and_b32_sdwa v4, v4, v18 dst_sel:DWORD dst_unused:UNUSED_PAD src0_sel:DWORD src1_sel:BYTE_1
	v_and_b32_e32 v20, 0x7f, v4
	v_cmpx_ne_u32_e32 0x7f, v20
	s_cbranch_execz .LBB356_1287
; %bb.1284:                             ;   in Loop: Header=BB356_810 Depth=1
	v_and_b32_e32 v10, 7, v4
	v_mov_b32_e32 v24, v11
	v_lshrrev_b32_e32 v4, 3, v20
	s_mov_b32 s20, exec_lo
	v_mov_b32_e32 v23, v10
	v_cmpx_gt_u32_e32 8, v20
; %bb.1285:                             ;   in Loop: Header=BB356_810 Depth=1
	v_ffbh_u32_e32 v4, v10
	v_min_u32_e32 v4, 32, v4
	v_subrev_nc_u32_e32 v13, 28, v4
	v_sub_nc_u32_e32 v4, 29, v4
	v_lshlrev_b64 v[20:21], v13, v[10:11]
	v_and_b32_e32 v23, 7, v20
; %bb.1286:                             ;   in Loop: Header=BB356_810 Depth=1
	s_or_b32 exec_lo, exec_lo, s20
	v_lshlrev_b32_e32 v10, 16, v18
	v_lshlrev_b32_e32 v13, 20, v23
	v_lshl_add_u32 v4, v4, 23, 0x3c000000
	v_and_b32_e32 v10, 0x80000000, v10
	v_or3_b32 v13, v13, v10, v4
.LBB356_1287:                           ;   in Loop: Header=BB356_810 Depth=1
	s_or_b32 exec_lo, exec_lo, s18
.LBB356_1288:                           ;   in Loop: Header=BB356_810 Depth=1
	s_or_b32 exec_lo, exec_lo, s17
.LBB356_1289:                           ;   in Loop: Header=BB356_810 Depth=1
	s_or_b32 exec_lo, exec_lo, s16
	v_and_b32_sdwa v4, v18, v55 dst_sel:DWORD dst_unused:UNUSED_PAD src0_sel:WORD_1 src1_sel:DWORD
	v_mov_b32_e32 v22, 0
	v_mov_b32_e32 v20, 0
	s_mov_b32 s16, exec_lo
	v_cmpx_ne_u16_e32 0, v4
	s_cbranch_execz .LBB356_1297
; %bb.1290:                             ;   in Loop: Header=BB356_810 Depth=1
	v_bfrev_b32_e32 v20, 1
	s_mov_b32 s17, exec_lo
	v_cmpx_ne_u16_e32 0x80, v4
	s_cbranch_execz .LBB356_1296
; %bb.1291:                             ;   in Loop: Header=BB356_810 Depth=1
	v_bfe_u32 v21, v18, 16, 7
	v_mov_b32_e32 v20, 0x7f800001
	s_mov_b32 s18, exec_lo
	v_cmpx_ne_u32_e32 0x7f, v21
	s_cbranch_execz .LBB356_1295
; %bb.1292:                             ;   in Loop: Header=BB356_810 Depth=1
	v_mov_b32_e32 v4, 7
	s_mov_b32 s20, exec_lo
	v_and_b32_sdwa v10, v18, v4 dst_sel:DWORD dst_unused:UNUSED_PAD src0_sel:WORD_1 src1_sel:DWORD
	v_mov_b32_e32 v24, v11
	v_lshrrev_b32_e32 v4, 3, v21
	v_mov_b32_e32 v23, v10
	v_cmpx_gt_u32_e32 8, v21
; %bb.1293:                             ;   in Loop: Header=BB356_810 Depth=1
	v_ffbh_u32_e32 v4, v10
	v_min_u32_e32 v4, 32, v4
	v_subrev_nc_u32_e32 v20, 28, v4
	v_sub_nc_u32_e32 v4, 29, v4
	v_lshlrev_b64 v[20:21], v20, v[10:11]
	v_and_b32_e32 v23, 7, v20
; %bb.1294:                             ;   in Loop: Header=BB356_810 Depth=1
	s_or_b32 exec_lo, exec_lo, s20
	v_mov_b32_e32 v10, 24
	v_lshlrev_b32_e32 v20, 20, v23
	v_lshl_add_u32 v4, v4, 23, 0x3c000000
	v_lshlrev_b32_sdwa v10, v10, v18 dst_sel:DWORD dst_unused:UNUSED_PAD src0_sel:DWORD src1_sel:WORD_1
	v_and_b32_e32 v10, 0x80000000, v10
	v_or3_b32 v20, v20, v10, v4
.LBB356_1295:                           ;   in Loop: Header=BB356_810 Depth=1
	s_or_b32 exec_lo, exec_lo, s18
.LBB356_1296:                           ;   in Loop: Header=BB356_810 Depth=1
	s_or_b32 exec_lo, exec_lo, s17
.LBB356_1297:                           ;   in Loop: Header=BB356_810 Depth=1
	s_or_b32 exec_lo, exec_lo, s16
	s_mov_b32 s16, exec_lo
	v_cmpx_lt_u32_e32 0xffffff, v18
	s_cbranch_execz .LBB356_1305
; %bb.1298:                             ;   in Loop: Header=BB356_810 Depth=1
	v_cmp_ne_u32_sdwa s4, v18, v53 src0_sel:BYTE_3 src1_sel:DWORD
	v_bfrev_b32_e32 v22, 1
	s_and_saveexec_b32 s17, s4
	s_cbranch_execz .LBB356_1304
; %bb.1299:                             ;   in Loop: Header=BB356_810 Depth=1
	v_bfe_u32 v21, v18, 24, 7
	v_mov_b32_e32 v22, 0x7f800001
	s_mov_b32 s18, exec_lo
	v_cmpx_ne_u32_e32 0x7f, v21
	s_cbranch_execz .LBB356_1303
; %bb.1300:                             ;   in Loop: Header=BB356_810 Depth=1
	v_mov_b32_e32 v4, 7
	s_mov_b32 s20, exec_lo
	v_and_b32_sdwa v10, v18, v4 dst_sel:DWORD dst_unused:UNUSED_PAD src0_sel:BYTE_3 src1_sel:DWORD
	v_mov_b32_e32 v24, v11
	v_lshrrev_b32_e32 v4, 3, v21
	v_mov_b32_e32 v23, v10
	v_cmpx_gt_u32_e32 8, v21
; %bb.1301:                             ;   in Loop: Header=BB356_810 Depth=1
	v_ffbh_u32_e32 v4, v10
	v_min_u32_e32 v4, 32, v4
	v_subrev_nc_u32_e32 v21, 28, v4
	v_sub_nc_u32_e32 v4, 29, v4
	v_lshlrev_b64 v[21:22], v21, v[10:11]
	v_and_b32_e32 v23, 7, v21
; %bb.1302:                             ;   in Loop: Header=BB356_810 Depth=1
	s_or_b32 exec_lo, exec_lo, s20
	v_mov_b32_e32 v10, 24
	v_lshlrev_b32_e32 v21, 20, v23
	v_lshl_add_u32 v4, v4, 23, 0x3c000000
	v_lshlrev_b32_sdwa v10, v10, v18 dst_sel:DWORD dst_unused:UNUSED_PAD src0_sel:DWORD src1_sel:BYTE_3
	v_and_b32_e32 v10, 0x80000000, v10
	v_or3_b32 v22, v21, v10, v4
.LBB356_1303:                           ;   in Loop: Header=BB356_810 Depth=1
	s_or_b32 exec_lo, exec_lo, s18
.LBB356_1304:                           ;   in Loop: Header=BB356_810 Depth=1
	s_or_b32 exec_lo, exec_lo, s17
.LBB356_1305:                           ;   in Loop: Header=BB356_810 Depth=1
	s_or_b32 exec_lo, exec_lo, s16
	v_mov_b32_e32 v10, v19
	v_cmp_ne_u16_sdwa s4, v19, v11 src0_sel:BYTE_0 src1_sel:DWORD
	v_mov_b32_e32 v4, 0
	v_mov_b32_e32 v21, 0
	s_and_saveexec_b32 s16, s4
	s_cbranch_execz .LBB356_1313
; %bb.1306:                             ;   in Loop: Header=BB356_810 Depth=1
	v_cmp_ne_u16_sdwa s4, v19, v53 src0_sel:BYTE_0 src1_sel:DWORD
	v_bfrev_b32_e32 v21, 1
	s_and_saveexec_b32 s17, s4
	s_cbranch_execz .LBB356_1312
; %bb.1307:                             ;   in Loop: Header=BB356_810 Depth=1
	v_and_b32_e32 v23, 0x7f, v19
	v_mov_b32_e32 v21, 0x7f800001
	s_mov_b32 s18, exec_lo
	v_cmpx_ne_u32_e32 0x7f, v23
	s_cbranch_execz .LBB356_1311
; %bb.1308:                             ;   in Loop: Header=BB356_810 Depth=1
	v_lshrrev_b32_e32 v21, 3, v23
	v_cmp_gt_u32_e64 s4, 8, v23
	v_mov_b32_e32 v24, v11
	v_mov_b32_e32 v23, v10
	s_and_saveexec_b32 s20, s4
; %bb.1309:                             ;   in Loop: Header=BB356_810 Depth=1
	v_and_b32_e32 v21, 7, v19
	v_ffbh_u32_e32 v21, v21
	v_min_u32_e32 v21, 32, v21
	v_subrev_nc_u32_e32 v23, 28, v21
	v_sub_nc_u32_e32 v21, 29, v21
	v_lshlrev_b64 v[23:24], v23, v[10:11]
; %bb.1310:                             ;   in Loop: Header=BB356_810 Depth=1
	s_or_b32 exec_lo, exec_lo, s20
	v_lshlrev_b32_e32 v23, 20, v23
	v_lshlrev_b32_e32 v24, 24, v10
	v_lshl_add_u32 v21, v21, 23, 0x3c000000
	v_and_b32_e32 v23, 0x700000, v23
	v_and_b32_e32 v24, 0x80000000, v24
	v_or3_b32 v21, v23, v24, v21
.LBB356_1311:                           ;   in Loop: Header=BB356_810 Depth=1
	s_or_b32 exec_lo, exec_lo, s18
.LBB356_1312:                           ;   in Loop: Header=BB356_810 Depth=1
	s_or_b32 exec_lo, exec_lo, s17
.LBB356_1313:                           ;   in Loop: Header=BB356_810 Depth=1
	s_or_b32 exec_lo, exec_lo, s16
	v_cmp_ne_u16_sdwa s4, v10, v11 src0_sel:BYTE_1 src1_sel:DWORD
	s_and_saveexec_b32 s16, s4
	s_cbranch_execz .LBB356_1321
; %bb.1314:                             ;   in Loop: Header=BB356_810 Depth=1
	v_cmp_ne_u16_sdwa s4, v10, v53 src0_sel:BYTE_1 src1_sel:DWORD
	v_bfrev_b32_e32 v4, 1
	s_and_saveexec_b32 s17, s4
	s_cbranch_execz .LBB356_1320
; %bb.1315:                             ;   in Loop: Header=BB356_810 Depth=1
	v_mov_b32_e32 v4, 0xffff
	s_mov_b32 s18, exec_lo
	v_and_b32_sdwa v23, v4, v10 dst_sel:DWORD dst_unused:UNUSED_PAD src0_sel:DWORD src1_sel:BYTE_1
	v_mov_b32_e32 v4, 0x7f800001
	v_and_b32_e32 v25, 0x7f, v23
	v_cmpx_ne_u32_e32 0x7f, v25
	s_cbranch_execz .LBB356_1319
; %bb.1316:                             ;   in Loop: Header=BB356_810 Depth=1
	v_and_b32_e32 v23, 7, v23
	v_mov_b32_e32 v24, v11
	v_lshrrev_b32_e32 v4, 3, v25
	s_mov_b32 s20, exec_lo
	v_cmpx_gt_u32_e32 8, v25
; %bb.1317:                             ;   in Loop: Header=BB356_810 Depth=1
	v_ffbh_u32_e32 v4, v23
	v_min_u32_e32 v4, 32, v4
	v_subrev_nc_u32_e32 v25, 28, v4
	v_sub_nc_u32_e32 v4, 29, v4
	v_lshlrev_b64 v[23:24], v25, v[23:24]
	v_and_b32_e32 v23, 7, v23
; %bb.1318:                             ;   in Loop: Header=BB356_810 Depth=1
	s_or_b32 exec_lo, exec_lo, s20
	v_lshlrev_b32_e32 v10, 16, v10
	v_lshlrev_b32_e32 v23, 20, v23
	v_lshl_add_u32 v4, v4, 23, 0x3c000000
	v_and_b32_e32 v10, 0x80000000, v10
	v_or3_b32 v4, v23, v10, v4
.LBB356_1319:                           ;   in Loop: Header=BB356_810 Depth=1
	s_or_b32 exec_lo, exec_lo, s18
.LBB356_1320:                           ;   in Loop: Header=BB356_810 Depth=1
	s_or_b32 exec_lo, exec_lo, s17
.LBB356_1321:                           ;   in Loop: Header=BB356_810 Depth=1
	s_or_b32 exec_lo, exec_lo, s16
	v_and_b32_sdwa v10, v19, v55 dst_sel:DWORD dst_unused:UNUSED_PAD src0_sel:WORD_1 src1_sel:DWORD
	v_mov_b32_e32 v25, 0
	v_mov_b32_e32 v28, 0
	s_mov_b32 s16, exec_lo
	v_cmpx_ne_u16_e32 0, v10
	s_cbranch_execz .LBB356_1329
; %bb.1322:                             ;   in Loop: Header=BB356_810 Depth=1
	v_bfrev_b32_e32 v28, 1
	s_mov_b32 s17, exec_lo
	v_cmpx_ne_u16_e32 0x80, v10
	s_cbranch_execz .LBB356_1328
; %bb.1323:                             ;   in Loop: Header=BB356_810 Depth=1
	v_bfe_u32 v23, v19, 16, 7
	v_mov_b32_e32 v28, 0x7f800001
	s_mov_b32 s18, exec_lo
	v_cmpx_ne_u32_e32 0x7f, v23
	s_cbranch_execz .LBB356_1327
; %bb.1324:                             ;   in Loop: Header=BB356_810 Depth=1
	v_mov_b32_e32 v10, 7
	v_lshrrev_b32_e32 v26, 3, v23
	v_cmp_gt_u32_e64 s4, 8, v23
	v_and_b32_sdwa v10, v19, v10 dst_sel:DWORD dst_unused:UNUSED_PAD src0_sel:WORD_1 src1_sel:DWORD
	v_mov_b32_e32 v24, v11
	v_mov_b32_e32 v23, v10
	s_and_saveexec_b32 s20, s4
; %bb.1325:                             ;   in Loop: Header=BB356_810 Depth=1
	v_ffbh_u32_e32 v23, v10
	v_min_u32_e32 v26, 32, v23
	v_subrev_nc_u32_e32 v23, 28, v26
	v_sub_nc_u32_e32 v26, 29, v26
	v_lshlrev_b64 v[23:24], v23, v[10:11]
	v_and_b32_e32 v23, 7, v23
; %bb.1326:                             ;   in Loop: Header=BB356_810 Depth=1
	s_or_b32 exec_lo, exec_lo, s20
	v_mov_b32_e32 v10, 24
	v_lshlrev_b32_e32 v23, 20, v23
	v_lshl_add_u32 v24, v26, 23, 0x3c000000
	v_lshlrev_b32_sdwa v10, v10, v19 dst_sel:DWORD dst_unused:UNUSED_PAD src0_sel:DWORD src1_sel:WORD_1
	v_and_b32_e32 v10, 0x80000000, v10
	v_or3_b32 v28, v23, v10, v24
.LBB356_1327:                           ;   in Loop: Header=BB356_810 Depth=1
	s_or_b32 exec_lo, exec_lo, s18
.LBB356_1328:                           ;   in Loop: Header=BB356_810 Depth=1
	s_or_b32 exec_lo, exec_lo, s17
.LBB356_1329:                           ;   in Loop: Header=BB356_810 Depth=1
	s_or_b32 exec_lo, exec_lo, s16
	s_mov_b32 s16, exec_lo
	v_cmpx_lt_u64_e64 s[12:13], v[18:19]
	s_cbranch_execz .LBB356_1337
; %bb.1330:                             ;   in Loop: Header=BB356_810 Depth=1
	v_cmp_ne_u32_sdwa s4, v19, v53 src0_sel:BYTE_3 src1_sel:DWORD
	v_bfrev_b32_e32 v25, 1
	s_and_saveexec_b32 s17, s4
	s_cbranch_execz .LBB356_1336
; %bb.1331:                             ;   in Loop: Header=BB356_810 Depth=1
	v_bfe_u32 v23, v19, 24, 7
	v_mov_b32_e32 v25, 0x7f800001
	s_mov_b32 s18, exec_lo
	v_cmpx_ne_u32_e32 0x7f, v23
	s_cbranch_execz .LBB356_1335
; %bb.1332:                             ;   in Loop: Header=BB356_810 Depth=1
	v_mov_b32_e32 v10, 7
	v_lshrrev_b32_e32 v18, 3, v23
	v_cmp_gt_u32_e64 s4, 8, v23
	v_and_b32_sdwa v10, v19, v10 dst_sel:DWORD dst_unused:UNUSED_PAD src0_sel:BYTE_3 src1_sel:DWORD
	v_mov_b32_e32 v24, v11
	v_mov_b32_e32 v23, v10
	s_and_saveexec_b32 s20, s4
; %bb.1333:                             ;   in Loop: Header=BB356_810 Depth=1
	v_ffbh_u32_e32 v18, v10
	v_min_u32_e32 v18, 32, v18
	v_subrev_nc_u32_e32 v23, 28, v18
	v_sub_nc_u32_e32 v18, 29, v18
	v_lshlrev_b64 v[23:24], v23, v[10:11]
	v_and_b32_e32 v23, 7, v23
; %bb.1334:                             ;   in Loop: Header=BB356_810 Depth=1
	s_or_b32 exec_lo, exec_lo, s20
	v_mov_b32_e32 v10, 24
	v_lshl_add_u32 v18, v18, 23, 0x3c000000
	v_lshlrev_b32_sdwa v10, v10, v19 dst_sel:DWORD dst_unused:UNUSED_PAD src0_sel:DWORD src1_sel:BYTE_3
	v_lshlrev_b32_e32 v19, 20, v23
	v_and_b32_e32 v10, 0x80000000, v10
	v_or3_b32 v25, v19, v10, v18
.LBB356_1335:                           ;   in Loop: Header=BB356_810 Depth=1
	s_or_b32 exec_lo, exec_lo, s18
.LBB356_1336:                           ;   in Loop: Header=BB356_810 Depth=1
	s_or_b32 exec_lo, exec_lo, s17
.LBB356_1337:                           ;   in Loop: Header=BB356_810 Depth=1
	s_or_b32 exec_lo, exec_lo, s16
	v_mul_f32_e32 v4, v44, v4
	v_bfe_u32 v10, v4, 16, 1
	v_or_b32_e32 v18, 0x400000, v4
	v_cmp_u_f32_e64 s4, v4, v4
	v_add3_u32 v10, v10, v4, 0x7fff
	v_cndmask_b32_e64 v4, v10, v18, s4
	v_mul_f32_e32 v10, v44, v21
	v_lshrrev_b32_e32 v4, 16, v4
	v_bfe_u32 v18, v10, 16, 1
	v_or_b32_e32 v19, 0x400000, v10
	v_cmp_u_f32_e64 s4, v10, v10
	v_add3_u32 v18, v18, v10, 0x7fff
	v_cndmask_b32_e64 v10, v18, v19, s4
	v_lshrrev_b32_e32 v21, 16, v10
	v_mul_f32_e32 v10, v44, v22
	v_bfe_u32 v18, v10, 16, 1
	v_or_b32_e32 v19, 0x400000, v10
	v_cmp_u_f32_e64 s4, v10, v10
	v_add3_u32 v18, v18, v10, 0x7fff
	v_cndmask_b32_e64 v10, v18, v19, s4
	v_lshrrev_b32_e32 v26, 16, v10
	v_mul_f32_e32 v10, v44, v20
	;; [unrolled: 7-line block ×6, first 2 shown]
	v_bfe_u32 v12, v10, 16, 1
	v_or_b32_e32 v13, 0x400000, v10
	v_cmp_u_f32_e64 s4, v10, v10
	v_add3_u32 v12, v12, v10, 0x7fff
	v_cndmask_b32_e64 v10, v12, v13, s4
	v_lshrrev_b32_e32 v87, 16, v10
	s_and_saveexec_b32 s16, vcc_lo
	s_cbranch_execz .LBB356_1339
; %bb.1338:                             ;   in Loop: Header=BB356_810 Depth=1
	v_cmp_lt_i32_e64 s4, v47, v96
	v_cndmask_b32_e64 v20, 0, v20, s4
	v_cmp_lt_i32_e64 s4, v62, v96
	v_cndmask_b32_e64 v22, 0, v22, s4
	;; [unrolled: 2-line block ×8, first 2 shown]
.LBB356_1339:                           ;   in Loop: Header=BB356_810 Depth=1
	s_or_b32 exec_lo, exec_lo, s16
	v_add_co_u32 v16, s4, 0x800, v16
	v_add_co_ci_u32_e64 v17, null, 0, v17, s4
	v_mov_b32_e32 v13, 0
	v_mov_b32_e32 v12, 0
	flat_load_dwordx2 v[18:19], v[16:17]
	s_waitcnt vmcnt(0) lgkmcnt(0)
	v_cmp_ne_u16_sdwa s4, v18, v11 src0_sel:BYTE_0 src1_sel:DWORD
	s_and_saveexec_b32 s16, s4
	s_cbranch_execz .LBB356_1347
; %bb.1340:                             ;   in Loop: Header=BB356_810 Depth=1
	v_cmp_ne_u16_sdwa s4, v18, v53 src0_sel:BYTE_0 src1_sel:DWORD
	v_bfrev_b32_e32 v12, 1
	s_and_saveexec_b32 s17, s4
	s_cbranch_execz .LBB356_1346
; %bb.1341:                             ;   in Loop: Header=BB356_810 Depth=1
	v_and_b32_e32 v23, 0x7f, v18
	v_mov_b32_e32 v12, 0x7f800001
	s_mov_b32 s18, exec_lo
	v_cmpx_ne_u32_e32 0x7f, v23
	s_cbranch_execz .LBB356_1345
; %bb.1342:                             ;   in Loop: Header=BB356_810 Depth=1
	v_lshrrev_b32_e32 v10, 3, v23
	v_cmp_gt_u32_e64 s4, 8, v23
	v_mov_b32_e32 v24, v19
	v_mov_b32_e32 v23, v18
	s_and_saveexec_b32 s20, s4
; %bb.1343:                             ;   in Loop: Header=BB356_810 Depth=1
	v_and_b32_e32 v10, 7, v18
	v_ffbh_u32_e32 v10, v10
	v_min_u32_e32 v10, 32, v10
	v_subrev_nc_u32_e32 v12, 28, v10
	v_sub_nc_u32_e32 v10, 29, v10
	v_lshlrev_b64 v[23:24], v12, v[18:19]
; %bb.1344:                             ;   in Loop: Header=BB356_810 Depth=1
	s_or_b32 exec_lo, exec_lo, s20
	v_lshlrev_b32_e32 v12, 20, v23
	v_lshlrev_b32_e32 v23, 24, v18
	v_lshl_add_u32 v10, v10, 23, 0x3c000000
	v_and_b32_e32 v12, 0x700000, v12
	v_and_b32_e32 v23, 0x80000000, v23
	v_or3_b32 v12, v12, v23, v10
.LBB356_1345:                           ;   in Loop: Header=BB356_810 Depth=1
	s_or_b32 exec_lo, exec_lo, s18
.LBB356_1346:                           ;   in Loop: Header=BB356_810 Depth=1
	s_or_b32 exec_lo, exec_lo, s17
.LBB356_1347:                           ;   in Loop: Header=BB356_810 Depth=1
	s_or_b32 exec_lo, exec_lo, s16
	v_cmp_ne_u16_sdwa s4, v18, v11 src0_sel:BYTE_1 src1_sel:DWORD
	s_and_saveexec_b32 s16, s4
	s_cbranch_execz .LBB356_1355
; %bb.1348:                             ;   in Loop: Header=BB356_810 Depth=1
	v_cmp_ne_u16_sdwa s4, v18, v53 src0_sel:BYTE_1 src1_sel:DWORD
	v_bfrev_b32_e32 v13, 1
	s_and_saveexec_b32 s17, s4
	s_cbranch_execz .LBB356_1354
; %bb.1349:                             ;   in Loop: Header=BB356_810 Depth=1
	v_mov_b32_e32 v10, 0xffff
	v_mov_b32_e32 v13, 0x7f800001
	s_mov_b32 s18, exec_lo
	v_and_b32_sdwa v10, v10, v18 dst_sel:DWORD dst_unused:UNUSED_PAD src0_sel:DWORD src1_sel:BYTE_1
	v_and_b32_e32 v23, 0x7f, v10
	v_cmpx_ne_u32_e32 0x7f, v23
	s_cbranch_execz .LBB356_1353
; %bb.1350:                             ;   in Loop: Header=BB356_810 Depth=1
	v_and_b32_e32 v10, 7, v10
	v_lshrrev_b32_e32 v13, 3, v23
	v_cmp_gt_u32_e64 s4, 8, v23
	v_mov_b32_e32 v24, v11
	v_mov_b32_e32 v23, v10
	s_and_saveexec_b32 s20, s4
; %bb.1351:                             ;   in Loop: Header=BB356_810 Depth=1
	v_ffbh_u32_e32 v13, v10
	v_min_u32_e32 v13, 32, v13
	v_subrev_nc_u32_e32 v23, 28, v13
	v_sub_nc_u32_e32 v13, 29, v13
	v_lshlrev_b64 v[23:24], v23, v[10:11]
	v_and_b32_e32 v23, 7, v23
; %bb.1352:                             ;   in Loop: Header=BB356_810 Depth=1
	s_or_b32 exec_lo, exec_lo, s20
	v_lshlrev_b32_e32 v10, 16, v18
	v_lshlrev_b32_e32 v23, 20, v23
	v_lshl_add_u32 v13, v13, 23, 0x3c000000
	v_and_b32_e32 v10, 0x80000000, v10
	v_or3_b32 v13, v23, v10, v13
.LBB356_1353:                           ;   in Loop: Header=BB356_810 Depth=1
	s_or_b32 exec_lo, exec_lo, s18
.LBB356_1354:                           ;   in Loop: Header=BB356_810 Depth=1
	s_or_b32 exec_lo, exec_lo, s17
.LBB356_1355:                           ;   in Loop: Header=BB356_810 Depth=1
	s_or_b32 exec_lo, exec_lo, s16
	v_and_b32_sdwa v10, v18, v55 dst_sel:DWORD dst_unused:UNUSED_PAD src0_sel:WORD_1 src1_sel:DWORD
	v_mov_b32_e32 v28, 0
	v_mov_b32_e32 v25, 0
	s_mov_b32 s16, exec_lo
	v_cmpx_ne_u16_e32 0, v10
	s_cbranch_execz .LBB356_1363
; %bb.1356:                             ;   in Loop: Header=BB356_810 Depth=1
	v_bfrev_b32_e32 v25, 1
	s_mov_b32 s17, exec_lo
	v_cmpx_ne_u16_e32 0x80, v10
	s_cbranch_execz .LBB356_1362
; %bb.1357:                             ;   in Loop: Header=BB356_810 Depth=1
	v_bfe_u32 v23, v18, 16, 7
	v_mov_b32_e32 v25, 0x7f800001
	s_mov_b32 s18, exec_lo
	v_cmpx_ne_u32_e32 0x7f, v23
	s_cbranch_execz .LBB356_1361
; %bb.1358:                             ;   in Loop: Header=BB356_810 Depth=1
	v_mov_b32_e32 v10, 7
	v_lshrrev_b32_e32 v25, 3, v23
	v_cmp_gt_u32_e64 s4, 8, v23
	v_and_b32_sdwa v10, v18, v10 dst_sel:DWORD dst_unused:UNUSED_PAD src0_sel:WORD_1 src1_sel:DWORD
	v_mov_b32_e32 v24, v11
	v_mov_b32_e32 v23, v10
	s_and_saveexec_b32 s20, s4
; %bb.1359:                             ;   in Loop: Header=BB356_810 Depth=1
	v_ffbh_u32_e32 v23, v10
	v_min_u32_e32 v25, 32, v23
	v_subrev_nc_u32_e32 v23, 28, v25
	v_sub_nc_u32_e32 v25, 29, v25
	v_lshlrev_b64 v[23:24], v23, v[10:11]
	v_and_b32_e32 v23, 7, v23
; %bb.1360:                             ;   in Loop: Header=BB356_810 Depth=1
	s_or_b32 exec_lo, exec_lo, s20
	v_mov_b32_e32 v10, 24
	v_lshlrev_b32_e32 v23, 20, v23
	v_lshl_add_u32 v24, v25, 23, 0x3c000000
	v_lshlrev_b32_sdwa v10, v10, v18 dst_sel:DWORD dst_unused:UNUSED_PAD src0_sel:DWORD src1_sel:WORD_1
	v_and_b32_e32 v10, 0x80000000, v10
	v_or3_b32 v25, v23, v10, v24
.LBB356_1361:                           ;   in Loop: Header=BB356_810 Depth=1
	s_or_b32 exec_lo, exec_lo, s18
.LBB356_1362:                           ;   in Loop: Header=BB356_810 Depth=1
	s_or_b32 exec_lo, exec_lo, s17
.LBB356_1363:                           ;   in Loop: Header=BB356_810 Depth=1
	s_or_b32 exec_lo, exec_lo, s16
	s_mov_b32 s16, exec_lo
	v_cmpx_lt_u32_e32 0xffffff, v18
	s_cbranch_execz .LBB356_1371
; %bb.1364:                             ;   in Loop: Header=BB356_810 Depth=1
	v_cmp_ne_u32_sdwa s4, v18, v53 src0_sel:BYTE_3 src1_sel:DWORD
	v_bfrev_b32_e32 v28, 1
	s_and_saveexec_b32 s17, s4
	s_cbranch_execz .LBB356_1370
; %bb.1365:                             ;   in Loop: Header=BB356_810 Depth=1
	v_bfe_u32 v23, v18, 24, 7
	v_mov_b32_e32 v28, 0x7f800001
	s_mov_b32 s18, exec_lo
	v_cmpx_ne_u32_e32 0x7f, v23
	s_cbranch_execz .LBB356_1369
; %bb.1366:                             ;   in Loop: Header=BB356_810 Depth=1
	v_mov_b32_e32 v10, 7
	v_lshrrev_b32_e32 v28, 3, v23
	v_cmp_gt_u32_e64 s4, 8, v23
	v_and_b32_sdwa v10, v18, v10 dst_sel:DWORD dst_unused:UNUSED_PAD src0_sel:BYTE_3 src1_sel:DWORD
	v_mov_b32_e32 v24, v11
	v_mov_b32_e32 v23, v10
	s_and_saveexec_b32 s20, s4
; %bb.1367:                             ;   in Loop: Header=BB356_810 Depth=1
	v_ffbh_u32_e32 v23, v10
	v_min_u32_e32 v28, 32, v23
	v_subrev_nc_u32_e32 v23, 28, v28
	v_sub_nc_u32_e32 v28, 29, v28
	v_lshlrev_b64 v[23:24], v23, v[10:11]
	v_and_b32_e32 v23, 7, v23
; %bb.1368:                             ;   in Loop: Header=BB356_810 Depth=1
	s_or_b32 exec_lo, exec_lo, s20
	v_mov_b32_e32 v10, 24
	v_lshlrev_b32_e32 v23, 20, v23
	v_lshl_add_u32 v24, v28, 23, 0x3c000000
	v_lshlrev_b32_sdwa v10, v10, v18 dst_sel:DWORD dst_unused:UNUSED_PAD src0_sel:DWORD src1_sel:BYTE_3
	v_and_b32_e32 v10, 0x80000000, v10
	v_or3_b32 v28, v23, v10, v24
.LBB356_1369:                           ;   in Loop: Header=BB356_810 Depth=1
	s_or_b32 exec_lo, exec_lo, s18
.LBB356_1370:                           ;   in Loop: Header=BB356_810 Depth=1
	s_or_b32 exec_lo, exec_lo, s17
.LBB356_1371:                           ;   in Loop: Header=BB356_810 Depth=1
	s_or_b32 exec_lo, exec_lo, s16
	v_mov_b32_e32 v10, v19
	v_cmp_ne_u16_sdwa s4, v19, v11 src0_sel:BYTE_0 src1_sel:DWORD
	v_mov_b32_e32 v33, 0
	v_mov_b32_e32 v32, 0
	s_and_saveexec_b32 s16, s4
	s_cbranch_execz .LBB356_1379
; %bb.1372:                             ;   in Loop: Header=BB356_810 Depth=1
	v_cmp_ne_u16_sdwa s4, v19, v53 src0_sel:BYTE_0 src1_sel:DWORD
	v_bfrev_b32_e32 v32, 1
	s_and_saveexec_b32 s17, s4
	s_cbranch_execz .LBB356_1378
; %bb.1373:                             ;   in Loop: Header=BB356_810 Depth=1
	v_and_b32_e32 v23, 0x7f, v19
	v_mov_b32_e32 v32, 0x7f800001
	s_mov_b32 s18, exec_lo
	v_cmpx_ne_u32_e32 0x7f, v23
	s_cbranch_execz .LBB356_1377
; %bb.1374:                             ;   in Loop: Header=BB356_810 Depth=1
	v_lshrrev_b32_e32 v29, 3, v23
	v_cmp_gt_u32_e64 s4, 8, v23
	v_mov_b32_e32 v24, v11
	v_mov_b32_e32 v23, v10
	s_and_saveexec_b32 s20, s4
; %bb.1375:                             ;   in Loop: Header=BB356_810 Depth=1
	v_and_b32_e32 v23, 7, v19
	v_ffbh_u32_e32 v23, v23
	v_min_u32_e32 v29, 32, v23
	v_subrev_nc_u32_e32 v23, 28, v29
	v_sub_nc_u32_e32 v29, 29, v29
	v_lshlrev_b64 v[23:24], v23, v[10:11]
; %bb.1376:                             ;   in Loop: Header=BB356_810 Depth=1
	s_or_b32 exec_lo, exec_lo, s20
	v_lshlrev_b32_e32 v23, 20, v23
	v_lshlrev_b32_e32 v24, 24, v10
	v_lshl_add_u32 v29, v29, 23, 0x3c000000
	v_and_b32_e32 v23, 0x700000, v23
	v_and_b32_e32 v24, 0x80000000, v24
	v_or3_b32 v32, v23, v24, v29
.LBB356_1377:                           ;   in Loop: Header=BB356_810 Depth=1
	s_or_b32 exec_lo, exec_lo, s18
.LBB356_1378:                           ;   in Loop: Header=BB356_810 Depth=1
	s_or_b32 exec_lo, exec_lo, s17
.LBB356_1379:                           ;   in Loop: Header=BB356_810 Depth=1
	s_or_b32 exec_lo, exec_lo, s16
	v_cmp_ne_u16_sdwa s4, v10, v11 src0_sel:BYTE_1 src1_sel:DWORD
	s_and_saveexec_b32 s16, s4
	s_cbranch_execz .LBB356_1387
; %bb.1380:                             ;   in Loop: Header=BB356_810 Depth=1
	v_cmp_ne_u16_sdwa s4, v10, v53 src0_sel:BYTE_1 src1_sel:DWORD
	v_bfrev_b32_e32 v33, 1
	s_and_saveexec_b32 s17, s4
	s_cbranch_execz .LBB356_1386
; %bb.1381:                             ;   in Loop: Header=BB356_810 Depth=1
	v_mov_b32_e32 v23, 0xffff
	v_mov_b32_e32 v33, 0x7f800001
	s_mov_b32 s18, exec_lo
	v_and_b32_sdwa v23, v23, v10 dst_sel:DWORD dst_unused:UNUSED_PAD src0_sel:DWORD src1_sel:BYTE_1
	v_and_b32_e32 v31, 0x7f, v23
	v_cmpx_ne_u32_e32 0x7f, v31
	s_cbranch_execz .LBB356_1385
; %bb.1382:                             ;   in Loop: Header=BB356_810 Depth=1
	v_and_b32_e32 v23, 7, v23
	v_mov_b32_e32 v24, v11
	v_lshrrev_b32_e32 v29, 3, v31
	s_mov_b32 s20, exec_lo
	v_cmpx_gt_u32_e32 8, v31
; %bb.1383:                             ;   in Loop: Header=BB356_810 Depth=1
	v_ffbh_u32_e32 v29, v23
	v_min_u32_e32 v29, 32, v29
	v_subrev_nc_u32_e32 v31, 28, v29
	v_sub_nc_u32_e32 v29, 29, v29
	v_lshlrev_b64 v[23:24], v31, v[23:24]
	v_and_b32_e32 v23, 7, v23
; %bb.1384:                             ;   in Loop: Header=BB356_810 Depth=1
	s_or_b32 exec_lo, exec_lo, s20
	v_lshlrev_b32_e32 v10, 16, v10
	v_lshlrev_b32_e32 v23, 20, v23
	v_lshl_add_u32 v24, v29, 23, 0x3c000000
	v_and_b32_e32 v10, 0x80000000, v10
	v_or3_b32 v33, v23, v10, v24
.LBB356_1385:                           ;   in Loop: Header=BB356_810 Depth=1
	s_or_b32 exec_lo, exec_lo, s18
.LBB356_1386:                           ;   in Loop: Header=BB356_810 Depth=1
	s_or_b32 exec_lo, exec_lo, s17
.LBB356_1387:                           ;   in Loop: Header=BB356_810 Depth=1
	s_or_b32 exec_lo, exec_lo, s16
	v_and_b32_sdwa v10, v19, v55 dst_sel:DWORD dst_unused:UNUSED_PAD src0_sel:WORD_1 src1_sel:DWORD
	v_mov_b32_e32 v29, 0
	v_mov_b32_e32 v31, 0
	s_mov_b32 s16, exec_lo
	v_cmpx_ne_u16_e32 0, v10
	s_cbranch_execz .LBB356_1395
; %bb.1388:                             ;   in Loop: Header=BB356_810 Depth=1
	v_bfrev_b32_e32 v31, 1
	s_mov_b32 s17, exec_lo
	v_cmpx_ne_u16_e32 0x80, v10
	s_cbranch_execz .LBB356_1394
; %bb.1389:                             ;   in Loop: Header=BB356_810 Depth=1
	v_bfe_u32 v23, v19, 16, 7
	v_mov_b32_e32 v31, 0x7f800001
	s_mov_b32 s18, exec_lo
	v_cmpx_ne_u32_e32 0x7f, v23
	s_cbranch_execz .LBB356_1393
; %bb.1390:                             ;   in Loop: Header=BB356_810 Depth=1
	v_mov_b32_e32 v10, 7
	v_lshrrev_b32_e32 v31, 3, v23
	v_cmp_gt_u32_e64 s4, 8, v23
	v_and_b32_sdwa v10, v19, v10 dst_sel:DWORD dst_unused:UNUSED_PAD src0_sel:WORD_1 src1_sel:DWORD
	v_mov_b32_e32 v24, v11
	v_mov_b32_e32 v23, v10
	s_and_saveexec_b32 s20, s4
; %bb.1391:                             ;   in Loop: Header=BB356_810 Depth=1
	v_ffbh_u32_e32 v23, v10
	v_min_u32_e32 v31, 32, v23
	v_subrev_nc_u32_e32 v23, 28, v31
	v_sub_nc_u32_e32 v31, 29, v31
	v_lshlrev_b64 v[23:24], v23, v[10:11]
	v_and_b32_e32 v23, 7, v23
; %bb.1392:                             ;   in Loop: Header=BB356_810 Depth=1
	s_or_b32 exec_lo, exec_lo, s20
	v_mov_b32_e32 v10, 24
	v_lshlrev_b32_e32 v23, 20, v23
	v_lshl_add_u32 v24, v31, 23, 0x3c000000
	v_lshlrev_b32_sdwa v10, v10, v19 dst_sel:DWORD dst_unused:UNUSED_PAD src0_sel:DWORD src1_sel:WORD_1
	v_and_b32_e32 v10, 0x80000000, v10
	v_or3_b32 v31, v23, v10, v24
.LBB356_1393:                           ;   in Loop: Header=BB356_810 Depth=1
	s_or_b32 exec_lo, exec_lo, s18
.LBB356_1394:                           ;   in Loop: Header=BB356_810 Depth=1
	s_or_b32 exec_lo, exec_lo, s17
.LBB356_1395:                           ;   in Loop: Header=BB356_810 Depth=1
	s_or_b32 exec_lo, exec_lo, s16
	s_mov_b32 s16, exec_lo
	v_cmpx_lt_u64_e64 s[12:13], v[18:19]
	s_cbranch_execz .LBB356_1403
; %bb.1396:                             ;   in Loop: Header=BB356_810 Depth=1
	v_cmp_ne_u32_sdwa s4, v19, v53 src0_sel:BYTE_3 src1_sel:DWORD
	v_bfrev_b32_e32 v29, 1
	s_and_saveexec_b32 s17, s4
	s_cbranch_execz .LBB356_1402
; %bb.1397:                             ;   in Loop: Header=BB356_810 Depth=1
	v_bfe_u32 v23, v19, 24, 7
	v_mov_b32_e32 v29, 0x7f800001
	s_mov_b32 s18, exec_lo
	v_cmpx_ne_u32_e32 0x7f, v23
	s_cbranch_execz .LBB356_1401
; %bb.1398:                             ;   in Loop: Header=BB356_810 Depth=1
	v_mov_b32_e32 v10, 7
	v_lshrrev_b32_e32 v18, 3, v23
	v_cmp_gt_u32_e64 s4, 8, v23
	v_and_b32_sdwa v10, v19, v10 dst_sel:DWORD dst_unused:UNUSED_PAD src0_sel:BYTE_3 src1_sel:DWORD
	v_mov_b32_e32 v24, v11
	v_mov_b32_e32 v23, v10
	s_and_saveexec_b32 s20, s4
; %bb.1399:                             ;   in Loop: Header=BB356_810 Depth=1
	v_ffbh_u32_e32 v18, v10
	v_min_u32_e32 v18, 32, v18
	v_subrev_nc_u32_e32 v23, 28, v18
	v_sub_nc_u32_e32 v18, 29, v18
	v_lshlrev_b64 v[23:24], v23, v[10:11]
	v_and_b32_e32 v23, 7, v23
; %bb.1400:                             ;   in Loop: Header=BB356_810 Depth=1
	s_or_b32 exec_lo, exec_lo, s20
	v_mov_b32_e32 v10, 24
	v_lshl_add_u32 v18, v18, 23, 0x3c000000
	v_lshlrev_b32_sdwa v10, v10, v19 dst_sel:DWORD dst_unused:UNUSED_PAD src0_sel:DWORD src1_sel:BYTE_3
	v_lshlrev_b32_e32 v19, 20, v23
	v_and_b32_e32 v10, 0x80000000, v10
	v_or3_b32 v29, v19, v10, v18
.LBB356_1401:                           ;   in Loop: Header=BB356_810 Depth=1
	s_or_b32 exec_lo, exec_lo, s18
.LBB356_1402:                           ;   in Loop: Header=BB356_810 Depth=1
	s_or_b32 exec_lo, exec_lo, s17
.LBB356_1403:                           ;   in Loop: Header=BB356_810 Depth=1
	s_or_b32 exec_lo, exec_lo, s16
	v_mul_f32_e32 v10, v44, v33
	v_bfe_u32 v18, v10, 16, 1
	v_or_b32_e32 v19, 0x400000, v10
	v_cmp_u_f32_e64 s4, v10, v10
	v_add3_u32 v18, v18, v10, 0x7fff
	v_cndmask_b32_e64 v10, v18, v19, s4
	v_lshrrev_b32_e32 v98, 16, v10
	v_mul_f32_e32 v10, v44, v32
	v_bfe_u32 v18, v10, 16, 1
	v_or_b32_e32 v19, 0x400000, v10
	v_cmp_u_f32_e64 s4, v10, v10
	v_add3_u32 v18, v18, v10, 0x7fff
	v_cndmask_b32_e64 v10, v18, v19, s4
	v_lshrrev_b32_e32 v99, 16, v10
	;; [unrolled: 7-line block ×8, first 2 shown]
	s_and_saveexec_b32 s16, vcc_lo
	s_cbranch_execz .LBB356_1405
; %bb.1404:                             ;   in Loop: Header=BB356_810 Depth=1
	v_cmp_lt_i32_e64 s4, v47, v96
	v_cndmask_b32_e64 v127, 0, v127, s4
	v_cmp_lt_i32_e64 s4, v62, v96
	v_cndmask_b32_e64 v126, 0, v126, s4
	;; [unrolled: 2-line block ×8, first 2 shown]
.LBB356_1405:                           ;   in Loop: Header=BB356_810 Depth=1
	s_or_b32 exec_lo, exec_lo, s16
	flat_load_dwordx2 v[18:19], v[16:17] offset:256
	v_mov_b32_e32 v29, 0
	v_mov_b32_e32 v31, 0
	s_waitcnt vmcnt(0) lgkmcnt(0)
	v_cmp_ne_u16_sdwa s4, v18, v11 src0_sel:BYTE_0 src1_sel:DWORD
	s_and_saveexec_b32 s16, s4
	s_cbranch_execz .LBB356_1413
; %bb.1406:                             ;   in Loop: Header=BB356_810 Depth=1
	v_cmp_ne_u16_sdwa s4, v18, v53 src0_sel:BYTE_0 src1_sel:DWORD
	v_bfrev_b32_e32 v31, 1
	s_and_saveexec_b32 s17, s4
	s_cbranch_execz .LBB356_1412
; %bb.1407:                             ;   in Loop: Header=BB356_810 Depth=1
	v_and_b32_e32 v12, 0x7f, v18
	v_mov_b32_e32 v31, 0x7f800001
	s_mov_b32 s18, exec_lo
	v_cmpx_ne_u32_e32 0x7f, v12
	s_cbranch_execz .LBB356_1411
; %bb.1408:                             ;   in Loop: Header=BB356_810 Depth=1
	v_mov_b32_e32 v24, v19
	v_lshrrev_b32_e32 v10, 3, v12
	v_mov_b32_e32 v23, v18
	s_mov_b32 s20, exec_lo
	v_cmpx_gt_u32_e32 8, v12
; %bb.1409:                             ;   in Loop: Header=BB356_810 Depth=1
	v_and_b32_e32 v10, 7, v18
	v_ffbh_u32_e32 v10, v10
	v_min_u32_e32 v10, 32, v10
	v_subrev_nc_u32_e32 v12, 28, v10
	v_sub_nc_u32_e32 v10, 29, v10
	v_lshlrev_b64 v[23:24], v12, v[18:19]
; %bb.1410:                             ;   in Loop: Header=BB356_810 Depth=1
	s_or_b32 exec_lo, exec_lo, s20
	v_lshlrev_b32_e32 v12, 20, v23
	v_lshlrev_b32_e32 v13, 24, v18
	v_lshl_add_u32 v10, v10, 23, 0x3c000000
	v_and_b32_e32 v12, 0x700000, v12
	v_and_b32_e32 v13, 0x80000000, v13
	v_or3_b32 v31, v12, v13, v10
.LBB356_1411:                           ;   in Loop: Header=BB356_810 Depth=1
	s_or_b32 exec_lo, exec_lo, s18
.LBB356_1412:                           ;   in Loop: Header=BB356_810 Depth=1
	s_or_b32 exec_lo, exec_lo, s17
.LBB356_1413:                           ;   in Loop: Header=BB356_810 Depth=1
	s_or_b32 exec_lo, exec_lo, s16
	v_cmp_ne_u16_sdwa s4, v18, v11 src0_sel:BYTE_1 src1_sel:DWORD
	s_and_saveexec_b32 s16, s4
	s_cbranch_execz .LBB356_1421
; %bb.1414:                             ;   in Loop: Header=BB356_810 Depth=1
	v_cmp_ne_u16_sdwa s4, v18, v53 src0_sel:BYTE_1 src1_sel:DWORD
	v_bfrev_b32_e32 v29, 1
	s_and_saveexec_b32 s17, s4
	s_cbranch_execz .LBB356_1420
; %bb.1415:                             ;   in Loop: Header=BB356_810 Depth=1
	v_mov_b32_e32 v10, 0xffff
	v_mov_b32_e32 v29, 0x7f800001
	s_mov_b32 s18, exec_lo
	v_and_b32_sdwa v10, v10, v18 dst_sel:DWORD dst_unused:UNUSED_PAD src0_sel:DWORD src1_sel:BYTE_1
	v_and_b32_e32 v13, 0x7f, v10
	v_cmpx_ne_u32_e32 0x7f, v13
	s_cbranch_execz .LBB356_1419
; %bb.1416:                             ;   in Loop: Header=BB356_810 Depth=1
	v_and_b32_e32 v10, 7, v10
	v_mov_b32_e32 v24, v11
	v_lshrrev_b32_e32 v12, 3, v13
	s_mov_b32 s20, exec_lo
	v_mov_b32_e32 v23, v10
	v_cmpx_gt_u32_e32 8, v13
; %bb.1417:                             ;   in Loop: Header=BB356_810 Depth=1
	v_ffbh_u32_e32 v12, v10
	v_min_u32_e32 v12, 32, v12
	v_subrev_nc_u32_e32 v13, 28, v12
	v_sub_nc_u32_e32 v12, 29, v12
	v_lshlrev_b64 v[23:24], v13, v[10:11]
	v_and_b32_e32 v23, 7, v23
; %bb.1418:                             ;   in Loop: Header=BB356_810 Depth=1
	s_or_b32 exec_lo, exec_lo, s20
	v_lshlrev_b32_e32 v10, 16, v18
	v_lshlrev_b32_e32 v13, 20, v23
	v_lshl_add_u32 v12, v12, 23, 0x3c000000
	v_and_b32_e32 v10, 0x80000000, v10
	v_or3_b32 v29, v13, v10, v12
.LBB356_1419:                           ;   in Loop: Header=BB356_810 Depth=1
	s_or_b32 exec_lo, exec_lo, s18
.LBB356_1420:                           ;   in Loop: Header=BB356_810 Depth=1
	s_or_b32 exec_lo, exec_lo, s17
.LBB356_1421:                           ;   in Loop: Header=BB356_810 Depth=1
	s_or_b32 exec_lo, exec_lo, s16
	v_and_b32_sdwa v10, v18, v55 dst_sel:DWORD dst_unused:UNUSED_PAD src0_sel:WORD_1 src1_sel:DWORD
	v_mov_b32_e32 v13, 0
	v_mov_b32_e32 v28, 0
	s_mov_b32 s16, exec_lo
	v_cmpx_ne_u16_e32 0, v10
	s_cbranch_execz .LBB356_1429
; %bb.1422:                             ;   in Loop: Header=BB356_810 Depth=1
	v_bfrev_b32_e32 v28, 1
	s_mov_b32 s17, exec_lo
	v_cmpx_ne_u16_e32 0x80, v10
	s_cbranch_execz .LBB356_1428
; %bb.1423:                             ;   in Loop: Header=BB356_810 Depth=1
	v_bfe_u32 v23, v18, 16, 7
	v_mov_b32_e32 v28, 0x7f800001
	s_mov_b32 s18, exec_lo
	v_cmpx_ne_u32_e32 0x7f, v23
	s_cbranch_execz .LBB356_1427
; %bb.1424:                             ;   in Loop: Header=BB356_810 Depth=1
	v_mov_b32_e32 v10, 7
	v_lshrrev_b32_e32 v12, 3, v23
	v_cmp_gt_u32_e64 s4, 8, v23
	v_and_b32_sdwa v10, v18, v10 dst_sel:DWORD dst_unused:UNUSED_PAD src0_sel:WORD_1 src1_sel:DWORD
	v_mov_b32_e32 v24, v11
	v_mov_b32_e32 v23, v10
	s_and_saveexec_b32 s20, s4
; %bb.1425:                             ;   in Loop: Header=BB356_810 Depth=1
	v_ffbh_u32_e32 v12, v10
	v_min_u32_e32 v12, 32, v12
	v_subrev_nc_u32_e32 v23, 28, v12
	v_sub_nc_u32_e32 v12, 29, v12
	v_lshlrev_b64 v[23:24], v23, v[10:11]
	v_and_b32_e32 v23, 7, v23
; %bb.1426:                             ;   in Loop: Header=BB356_810 Depth=1
	s_or_b32 exec_lo, exec_lo, s20
	v_mov_b32_e32 v10, 24
	v_lshlrev_b32_e32 v23, 20, v23
	v_lshl_add_u32 v12, v12, 23, 0x3c000000
	v_lshlrev_b32_sdwa v10, v10, v18 dst_sel:DWORD dst_unused:UNUSED_PAD src0_sel:DWORD src1_sel:WORD_1
	v_and_b32_e32 v10, 0x80000000, v10
	v_or3_b32 v28, v23, v10, v12
.LBB356_1427:                           ;   in Loop: Header=BB356_810 Depth=1
	s_or_b32 exec_lo, exec_lo, s18
.LBB356_1428:                           ;   in Loop: Header=BB356_810 Depth=1
	s_or_b32 exec_lo, exec_lo, s17
.LBB356_1429:                           ;   in Loop: Header=BB356_810 Depth=1
	s_or_b32 exec_lo, exec_lo, s16
	s_mov_b32 s16, exec_lo
	v_cmpx_lt_u32_e32 0xffffff, v18
	s_cbranch_execz .LBB356_1437
; %bb.1430:                             ;   in Loop: Header=BB356_810 Depth=1
	v_cmp_ne_u32_sdwa s4, v18, v53 src0_sel:BYTE_3 src1_sel:DWORD
	v_bfrev_b32_e32 v13, 1
	s_and_saveexec_b32 s17, s4
	s_cbranch_execz .LBB356_1436
; %bb.1431:                             ;   in Loop: Header=BB356_810 Depth=1
	v_bfe_u32 v23, v18, 24, 7
	v_mov_b32_e32 v13, 0x7f800001
	s_mov_b32 s18, exec_lo
	v_cmpx_ne_u32_e32 0x7f, v23
	s_cbranch_execz .LBB356_1435
; %bb.1432:                             ;   in Loop: Header=BB356_810 Depth=1
	v_mov_b32_e32 v10, 7
	v_lshrrev_b32_e32 v12, 3, v23
	v_cmp_gt_u32_e64 s4, 8, v23
	v_and_b32_sdwa v10, v18, v10 dst_sel:DWORD dst_unused:UNUSED_PAD src0_sel:BYTE_3 src1_sel:DWORD
	v_mov_b32_e32 v24, v11
	v_mov_b32_e32 v23, v10
	s_and_saveexec_b32 s20, s4
; %bb.1433:                             ;   in Loop: Header=BB356_810 Depth=1
	v_ffbh_u32_e32 v12, v10
	v_min_u32_e32 v12, 32, v12
	v_subrev_nc_u32_e32 v13, 28, v12
	v_sub_nc_u32_e32 v12, 29, v12
	v_lshlrev_b64 v[23:24], v13, v[10:11]
	v_and_b32_e32 v23, 7, v23
; %bb.1434:                             ;   in Loop: Header=BB356_810 Depth=1
	s_or_b32 exec_lo, exec_lo, s20
	v_mov_b32_e32 v10, 24
	v_lshlrev_b32_e32 v13, 20, v23
	v_lshl_add_u32 v12, v12, 23, 0x3c000000
	v_lshlrev_b32_sdwa v10, v10, v18 dst_sel:DWORD dst_unused:UNUSED_PAD src0_sel:DWORD src1_sel:BYTE_3
	v_and_b32_e32 v10, 0x80000000, v10
	v_or3_b32 v13, v13, v10, v12
.LBB356_1435:                           ;   in Loop: Header=BB356_810 Depth=1
	s_or_b32 exec_lo, exec_lo, s18
.LBB356_1436:                           ;   in Loop: Header=BB356_810 Depth=1
	s_or_b32 exec_lo, exec_lo, s17
.LBB356_1437:                           ;   in Loop: Header=BB356_810 Depth=1
	s_or_b32 exec_lo, exec_lo, s16
	v_mov_b32_e32 v10, v19
	v_cmp_ne_u16_sdwa s4, v19, v11 src0_sel:BYTE_0 src1_sel:DWORD
	v_mov_b32_e32 v34, 0
	v_mov_b32_e32 v12, 0
	s_and_saveexec_b32 s16, s4
	s_cbranch_execz .LBB356_1445
; %bb.1438:                             ;   in Loop: Header=BB356_810 Depth=1
	v_cmp_ne_u16_sdwa s4, v19, v53 src0_sel:BYTE_0 src1_sel:DWORD
	v_bfrev_b32_e32 v12, 1
	s_and_saveexec_b32 s17, s4
	s_cbranch_execz .LBB356_1444
; %bb.1439:                             ;   in Loop: Header=BB356_810 Depth=1
	v_and_b32_e32 v23, 0x7f, v19
	v_mov_b32_e32 v12, 0x7f800001
	s_mov_b32 s18, exec_lo
	v_cmpx_ne_u32_e32 0x7f, v23
	s_cbranch_execz .LBB356_1443
; %bb.1440:                             ;   in Loop: Header=BB356_810 Depth=1
	v_lshrrev_b32_e32 v12, 3, v23
	v_cmp_gt_u32_e64 s4, 8, v23
	v_mov_b32_e32 v24, v11
	v_mov_b32_e32 v23, v10
	s_and_saveexec_b32 s20, s4
; %bb.1441:                             ;   in Loop: Header=BB356_810 Depth=1
	v_and_b32_e32 v12, 7, v19
	v_ffbh_u32_e32 v12, v12
	v_min_u32_e32 v12, 32, v12
	v_subrev_nc_u32_e32 v23, 28, v12
	v_sub_nc_u32_e32 v12, 29, v12
	v_lshlrev_b64 v[23:24], v23, v[10:11]
; %bb.1442:                             ;   in Loop: Header=BB356_810 Depth=1
	s_or_b32 exec_lo, exec_lo, s20
	v_lshlrev_b32_e32 v23, 20, v23
	v_lshlrev_b32_e32 v24, 24, v10
	v_lshl_add_u32 v12, v12, 23, 0x3c000000
	v_and_b32_e32 v23, 0x700000, v23
	v_and_b32_e32 v24, 0x80000000, v24
	v_or3_b32 v12, v23, v24, v12
.LBB356_1443:                           ;   in Loop: Header=BB356_810 Depth=1
	s_or_b32 exec_lo, exec_lo, s18
.LBB356_1444:                           ;   in Loop: Header=BB356_810 Depth=1
	s_or_b32 exec_lo, exec_lo, s17
.LBB356_1445:                           ;   in Loop: Header=BB356_810 Depth=1
	s_or_b32 exec_lo, exec_lo, s16
	v_cmp_ne_u16_sdwa s4, v10, v11 src0_sel:BYTE_1 src1_sel:DWORD
	s_and_saveexec_b32 s16, s4
	s_cbranch_execz .LBB356_1453
; %bb.1446:                             ;   in Loop: Header=BB356_810 Depth=1
	v_cmp_ne_u16_sdwa s4, v10, v53 src0_sel:BYTE_1 src1_sel:DWORD
	v_bfrev_b32_e32 v34, 1
	s_and_saveexec_b32 s17, s4
	s_cbranch_execz .LBB356_1452
; %bb.1447:                             ;   in Loop: Header=BB356_810 Depth=1
	v_mov_b32_e32 v23, 0xffff
	v_mov_b32_e32 v34, 0x7f800001
	s_mov_b32 s18, exec_lo
	v_and_b32_sdwa v23, v23, v10 dst_sel:DWORD dst_unused:UNUSED_PAD src0_sel:DWORD src1_sel:BYTE_1
	v_and_b32_e32 v33, 0x7f, v23
	v_cmpx_ne_u32_e32 0x7f, v33
	s_cbranch_execz .LBB356_1451
; %bb.1448:                             ;   in Loop: Header=BB356_810 Depth=1
	v_and_b32_e32 v23, 7, v23
	v_mov_b32_e32 v24, v11
	v_lshrrev_b32_e32 v32, 3, v33
	s_mov_b32 s20, exec_lo
	v_cmpx_gt_u32_e32 8, v33
; %bb.1449:                             ;   in Loop: Header=BB356_810 Depth=1
	v_ffbh_u32_e32 v32, v23
	v_min_u32_e32 v32, 32, v32
	v_subrev_nc_u32_e32 v33, 28, v32
	v_sub_nc_u32_e32 v32, 29, v32
	v_lshlrev_b64 v[23:24], v33, v[23:24]
	v_and_b32_e32 v23, 7, v23
; %bb.1450:                             ;   in Loop: Header=BB356_810 Depth=1
	s_or_b32 exec_lo, exec_lo, s20
	v_lshlrev_b32_e32 v10, 16, v10
	v_lshlrev_b32_e32 v23, 20, v23
	v_lshl_add_u32 v24, v32, 23, 0x3c000000
	v_and_b32_e32 v10, 0x80000000, v10
	v_or3_b32 v34, v23, v10, v24
.LBB356_1451:                           ;   in Loop: Header=BB356_810 Depth=1
	s_or_b32 exec_lo, exec_lo, s18
.LBB356_1452:                           ;   in Loop: Header=BB356_810 Depth=1
	s_or_b32 exec_lo, exec_lo, s17
.LBB356_1453:                           ;   in Loop: Header=BB356_810 Depth=1
	s_or_b32 exec_lo, exec_lo, s16
	v_and_b32_sdwa v10, v19, v55 dst_sel:DWORD dst_unused:UNUSED_PAD src0_sel:WORD_1 src1_sel:DWORD
	v_mov_b32_e32 v32, 0
	v_mov_b32_e32 v33, 0
	s_mov_b32 s16, exec_lo
	v_cmpx_ne_u16_e32 0, v10
	s_cbranch_execz .LBB356_1461
; %bb.1454:                             ;   in Loop: Header=BB356_810 Depth=1
	v_bfrev_b32_e32 v33, 1
	s_mov_b32 s17, exec_lo
	v_cmpx_ne_u16_e32 0x80, v10
	s_cbranch_execz .LBB356_1460
; %bb.1455:                             ;   in Loop: Header=BB356_810 Depth=1
	v_bfe_u32 v23, v19, 16, 7
	v_mov_b32_e32 v33, 0x7f800001
	s_mov_b32 s18, exec_lo
	v_cmpx_ne_u32_e32 0x7f, v23
	s_cbranch_execz .LBB356_1459
; %bb.1456:                             ;   in Loop: Header=BB356_810 Depth=1
	v_mov_b32_e32 v10, 7
	v_lshrrev_b32_e32 v33, 3, v23
	v_cmp_gt_u32_e64 s4, 8, v23
	v_and_b32_sdwa v10, v19, v10 dst_sel:DWORD dst_unused:UNUSED_PAD src0_sel:WORD_1 src1_sel:DWORD
	v_mov_b32_e32 v24, v11
	v_mov_b32_e32 v23, v10
	s_and_saveexec_b32 s20, s4
; %bb.1457:                             ;   in Loop: Header=BB356_810 Depth=1
	v_ffbh_u32_e32 v23, v10
	v_min_u32_e32 v33, 32, v23
	v_subrev_nc_u32_e32 v23, 28, v33
	v_sub_nc_u32_e32 v33, 29, v33
	v_lshlrev_b64 v[23:24], v23, v[10:11]
	v_and_b32_e32 v23, 7, v23
; %bb.1458:                             ;   in Loop: Header=BB356_810 Depth=1
	s_or_b32 exec_lo, exec_lo, s20
	v_mov_b32_e32 v10, 24
	v_lshlrev_b32_e32 v23, 20, v23
	v_lshl_add_u32 v24, v33, 23, 0x3c000000
	v_lshlrev_b32_sdwa v10, v10, v19 dst_sel:DWORD dst_unused:UNUSED_PAD src0_sel:DWORD src1_sel:WORD_1
	v_and_b32_e32 v10, 0x80000000, v10
	v_or3_b32 v33, v23, v10, v24
.LBB356_1459:                           ;   in Loop: Header=BB356_810 Depth=1
	s_or_b32 exec_lo, exec_lo, s18
.LBB356_1460:                           ;   in Loop: Header=BB356_810 Depth=1
	s_or_b32 exec_lo, exec_lo, s17
.LBB356_1461:                           ;   in Loop: Header=BB356_810 Depth=1
	s_or_b32 exec_lo, exec_lo, s16
	s_mov_b32 s16, exec_lo
	v_cmpx_lt_u64_e64 s[12:13], v[18:19]
	s_cbranch_execz .LBB356_1469
; %bb.1462:                             ;   in Loop: Header=BB356_810 Depth=1
	v_cmp_ne_u32_sdwa s4, v19, v53 src0_sel:BYTE_3 src1_sel:DWORD
	v_bfrev_b32_e32 v32, 1
	s_and_saveexec_b32 s17, s4
	s_cbranch_execz .LBB356_1468
; %bb.1463:                             ;   in Loop: Header=BB356_810 Depth=1
	v_bfe_u32 v23, v19, 24, 7
	v_mov_b32_e32 v32, 0x7f800001
	s_mov_b32 s18, exec_lo
	v_cmpx_ne_u32_e32 0x7f, v23
	s_cbranch_execz .LBB356_1467
; %bb.1464:                             ;   in Loop: Header=BB356_810 Depth=1
	v_mov_b32_e32 v10, 7
	v_lshrrev_b32_e32 v18, 3, v23
	v_cmp_gt_u32_e64 s4, 8, v23
	v_and_b32_sdwa v10, v19, v10 dst_sel:DWORD dst_unused:UNUSED_PAD src0_sel:BYTE_3 src1_sel:DWORD
	v_mov_b32_e32 v24, v11
	v_mov_b32_e32 v23, v10
	s_and_saveexec_b32 s20, s4
; %bb.1465:                             ;   in Loop: Header=BB356_810 Depth=1
	v_ffbh_u32_e32 v18, v10
	v_min_u32_e32 v18, 32, v18
	v_subrev_nc_u32_e32 v23, 28, v18
	v_sub_nc_u32_e32 v18, 29, v18
	v_lshlrev_b64 v[23:24], v23, v[10:11]
	v_and_b32_e32 v23, 7, v23
; %bb.1466:                             ;   in Loop: Header=BB356_810 Depth=1
	s_or_b32 exec_lo, exec_lo, s20
	v_mov_b32_e32 v10, 24
	v_lshl_add_u32 v18, v18, 23, 0x3c000000
	v_lshlrev_b32_sdwa v10, v10, v19 dst_sel:DWORD dst_unused:UNUSED_PAD src0_sel:DWORD src1_sel:BYTE_3
	v_lshlrev_b32_e32 v19, 20, v23
	v_and_b32_e32 v10, 0x80000000, v10
	v_or3_b32 v32, v19, v10, v18
.LBB356_1467:                           ;   in Loop: Header=BB356_810 Depth=1
	s_or_b32 exec_lo, exec_lo, s18
.LBB356_1468:                           ;   in Loop: Header=BB356_810 Depth=1
	s_or_b32 exec_lo, exec_lo, s17
.LBB356_1469:                           ;   in Loop: Header=BB356_810 Depth=1
	s_or_b32 exec_lo, exec_lo, s16
	v_mul_f32_e32 v10, v44, v34
	v_bfe_u32 v18, v10, 16, 1
	v_or_b32_e32 v19, 0x400000, v10
	v_cmp_u_f32_e64 s4, v10, v10
	v_add3_u32 v18, v18, v10, 0x7fff
	v_cndmask_b32_e64 v10, v18, v19, s4
	v_lshrrev_b32_e32 v52, 16, v10
	v_mul_f32_e32 v10, v44, v12
	v_bfe_u32 v12, v10, 16, 1
	v_or_b32_e32 v18, 0x400000, v10
	v_cmp_u_f32_e64 s4, v10, v10
	v_add3_u32 v12, v12, v10, 0x7fff
	v_cndmask_b32_e64 v10, v12, v18, s4
	v_lshrrev_b32_e32 v12, 16, v10
	;; [unrolled: 7-line block ×8, first 2 shown]
	s_and_saveexec_b32 s16, vcc_lo
	s_cbranch_execz .LBB356_1471
; %bb.1470:                             ;   in Loop: Header=BB356_810 Depth=1
	v_cmp_lt_i32_e64 s4, v47, v96
	v_cndmask_b32_e64 v31, 0, v31, s4
	v_cmp_lt_i32_e64 s4, v62, v96
	v_cndmask_b32_e64 v29, 0, v29, s4
	;; [unrolled: 2-line block ×8, first 2 shown]
.LBB356_1471:                           ;   in Loop: Header=BB356_810 Depth=1
	s_or_b32 exec_lo, exec_lo, s16
	flat_load_dwordx2 v[18:19], v[16:17] offset:512
	v_mov_b32_e32 v38, 0
	v_mov_b32_e32 v37, 0
	s_waitcnt vmcnt(0) lgkmcnt(0)
	v_cmp_ne_u16_sdwa s4, v18, v11 src0_sel:BYTE_0 src1_sel:DWORD
	s_and_saveexec_b32 s16, s4
	s_cbranch_execz .LBB356_1479
; %bb.1472:                             ;   in Loop: Header=BB356_810 Depth=1
	v_cmp_ne_u16_sdwa s4, v18, v53 src0_sel:BYTE_0 src1_sel:DWORD
	v_bfrev_b32_e32 v37, 1
	s_and_saveexec_b32 s17, s4
	s_cbranch_execz .LBB356_1478
; %bb.1473:                             ;   in Loop: Header=BB356_810 Depth=1
	v_and_b32_e32 v23, 0x7f, v18
	v_mov_b32_e32 v37, 0x7f800001
	s_mov_b32 s18, exec_lo
	v_cmpx_ne_u32_e32 0x7f, v23
	s_cbranch_execz .LBB356_1477
; %bb.1474:                             ;   in Loop: Header=BB356_810 Depth=1
	v_lshrrev_b32_e32 v10, 3, v23
	v_cmp_gt_u32_e64 s4, 8, v23
	v_mov_b32_e32 v24, v19
	v_mov_b32_e32 v23, v18
	s_and_saveexec_b32 s20, s4
; %bb.1475:                             ;   in Loop: Header=BB356_810 Depth=1
	v_and_b32_e32 v10, 7, v18
	v_ffbh_u32_e32 v10, v10
	v_min_u32_e32 v10, 32, v10
	v_subrev_nc_u32_e32 v23, 28, v10
	v_sub_nc_u32_e32 v10, 29, v10
	v_lshlrev_b64 v[23:24], v23, v[18:19]
; %bb.1476:                             ;   in Loop: Header=BB356_810 Depth=1
	s_or_b32 exec_lo, exec_lo, s20
	v_lshlrev_b32_e32 v23, 20, v23
	v_lshlrev_b32_e32 v24, 24, v18
	v_lshl_add_u32 v10, v10, 23, 0x3c000000
	v_and_b32_e32 v23, 0x700000, v23
	v_and_b32_e32 v24, 0x80000000, v24
	v_or3_b32 v37, v23, v24, v10
.LBB356_1477:                           ;   in Loop: Header=BB356_810 Depth=1
	s_or_b32 exec_lo, exec_lo, s18
.LBB356_1478:                           ;   in Loop: Header=BB356_810 Depth=1
	s_or_b32 exec_lo, exec_lo, s17
.LBB356_1479:                           ;   in Loop: Header=BB356_810 Depth=1
	s_or_b32 exec_lo, exec_lo, s16
	v_cmp_ne_u16_sdwa s4, v18, v11 src0_sel:BYTE_1 src1_sel:DWORD
	s_and_saveexec_b32 s16, s4
	s_cbranch_execz .LBB356_1487
; %bb.1480:                             ;   in Loop: Header=BB356_810 Depth=1
	v_cmp_ne_u16_sdwa s4, v18, v53 src0_sel:BYTE_1 src1_sel:DWORD
	v_bfrev_b32_e32 v38, 1
	s_and_saveexec_b32 s17, s4
	s_cbranch_execz .LBB356_1486
; %bb.1481:                             ;   in Loop: Header=BB356_810 Depth=1
	v_mov_b32_e32 v10, 0xffff
	v_mov_b32_e32 v38, 0x7f800001
	s_mov_b32 s18, exec_lo
	v_and_b32_sdwa v10, v10, v18 dst_sel:DWORD dst_unused:UNUSED_PAD src0_sel:DWORD src1_sel:BYTE_1
	v_and_b32_e32 v23, 0x7f, v10
	v_cmpx_ne_u32_e32 0x7f, v23
	s_cbranch_execz .LBB356_1485
; %bb.1482:                             ;   in Loop: Header=BB356_810 Depth=1
	v_and_b32_e32 v10, 7, v10
	v_lshrrev_b32_e32 v33, 3, v23
	v_cmp_gt_u32_e64 s4, 8, v23
	v_mov_b32_e32 v24, v11
	v_mov_b32_e32 v23, v10
	s_and_saveexec_b32 s20, s4
; %bb.1483:                             ;   in Loop: Header=BB356_810 Depth=1
	v_ffbh_u32_e32 v23, v10
	v_min_u32_e32 v33, 32, v23
	v_subrev_nc_u32_e32 v23, 28, v33
	v_sub_nc_u32_e32 v33, 29, v33
	v_lshlrev_b64 v[23:24], v23, v[10:11]
	v_and_b32_e32 v23, 7, v23
; %bb.1484:                             ;   in Loop: Header=BB356_810 Depth=1
	s_or_b32 exec_lo, exec_lo, s20
	v_lshlrev_b32_e32 v10, 16, v18
	v_lshlrev_b32_e32 v23, 20, v23
	v_lshl_add_u32 v24, v33, 23, 0x3c000000
	v_and_b32_e32 v10, 0x80000000, v10
	v_or3_b32 v38, v23, v10, v24
.LBB356_1485:                           ;   in Loop: Header=BB356_810 Depth=1
	s_or_b32 exec_lo, exec_lo, s18
.LBB356_1486:                           ;   in Loop: Header=BB356_810 Depth=1
	s_or_b32 exec_lo, exec_lo, s17
.LBB356_1487:                           ;   in Loop: Header=BB356_810 Depth=1
	s_or_b32 exec_lo, exec_lo, s16
	v_and_b32_sdwa v10, v18, v55 dst_sel:DWORD dst_unused:UNUSED_PAD src0_sel:WORD_1 src1_sel:DWORD
	v_mov_b32_e32 v35, 0
	v_mov_b32_e32 v36, 0
	s_mov_b32 s16, exec_lo
	v_cmpx_ne_u16_e32 0, v10
	s_cbranch_execz .LBB356_1495
; %bb.1488:                             ;   in Loop: Header=BB356_810 Depth=1
	v_bfrev_b32_e32 v36, 1
	s_mov_b32 s17, exec_lo
	v_cmpx_ne_u16_e32 0x80, v10
	s_cbranch_execz .LBB356_1494
; %bb.1489:                             ;   in Loop: Header=BB356_810 Depth=1
	v_bfe_u32 v23, v18, 16, 7
	v_mov_b32_e32 v36, 0x7f800001
	s_mov_b32 s18, exec_lo
	v_cmpx_ne_u32_e32 0x7f, v23
	s_cbranch_execz .LBB356_1493
; %bb.1490:                             ;   in Loop: Header=BB356_810 Depth=1
	v_mov_b32_e32 v10, 7
	v_lshrrev_b32_e32 v33, 3, v23
	v_cmp_gt_u32_e64 s4, 8, v23
	v_and_b32_sdwa v10, v18, v10 dst_sel:DWORD dst_unused:UNUSED_PAD src0_sel:WORD_1 src1_sel:DWORD
	v_mov_b32_e32 v24, v11
	v_mov_b32_e32 v23, v10
	s_and_saveexec_b32 s20, s4
; %bb.1491:                             ;   in Loop: Header=BB356_810 Depth=1
	v_ffbh_u32_e32 v23, v10
	v_min_u32_e32 v33, 32, v23
	v_subrev_nc_u32_e32 v23, 28, v33
	v_sub_nc_u32_e32 v33, 29, v33
	v_lshlrev_b64 v[23:24], v23, v[10:11]
	v_and_b32_e32 v23, 7, v23
; %bb.1492:                             ;   in Loop: Header=BB356_810 Depth=1
	s_or_b32 exec_lo, exec_lo, s20
	v_mov_b32_e32 v10, 24
	v_lshlrev_b32_e32 v23, 20, v23
	v_lshl_add_u32 v24, v33, 23, 0x3c000000
	v_lshlrev_b32_sdwa v10, v10, v18 dst_sel:DWORD dst_unused:UNUSED_PAD src0_sel:DWORD src1_sel:WORD_1
	v_and_b32_e32 v10, 0x80000000, v10
	v_or3_b32 v36, v23, v10, v24
.LBB356_1493:                           ;   in Loop: Header=BB356_810 Depth=1
	s_or_b32 exec_lo, exec_lo, s18
.LBB356_1494:                           ;   in Loop: Header=BB356_810 Depth=1
	s_or_b32 exec_lo, exec_lo, s17
.LBB356_1495:                           ;   in Loop: Header=BB356_810 Depth=1
	s_or_b32 exec_lo, exec_lo, s16
	s_mov_b32 s16, exec_lo
	v_cmpx_lt_u32_e32 0xffffff, v18
	s_cbranch_execz .LBB356_1503
; %bb.1496:                             ;   in Loop: Header=BB356_810 Depth=1
	v_cmp_ne_u32_sdwa s4, v18, v53 src0_sel:BYTE_3 src1_sel:DWORD
	v_bfrev_b32_e32 v35, 1
	s_and_saveexec_b32 s17, s4
	s_cbranch_execz .LBB356_1502
; %bb.1497:                             ;   in Loop: Header=BB356_810 Depth=1
	v_bfe_u32 v23, v18, 24, 7
	v_mov_b32_e32 v35, 0x7f800001
	s_mov_b32 s18, exec_lo
	v_cmpx_ne_u32_e32 0x7f, v23
	s_cbranch_execz .LBB356_1501
; %bb.1498:                             ;   in Loop: Header=BB356_810 Depth=1
	v_mov_b32_e32 v10, 7
	v_lshrrev_b32_e32 v33, 3, v23
	v_cmp_gt_u32_e64 s4, 8, v23
	v_and_b32_sdwa v10, v18, v10 dst_sel:DWORD dst_unused:UNUSED_PAD src0_sel:BYTE_3 src1_sel:DWORD
	v_mov_b32_e32 v24, v11
	v_mov_b32_e32 v23, v10
	s_and_saveexec_b32 s20, s4
; %bb.1499:                             ;   in Loop: Header=BB356_810 Depth=1
	v_ffbh_u32_e32 v23, v10
	v_min_u32_e32 v33, 32, v23
	v_subrev_nc_u32_e32 v23, 28, v33
	v_sub_nc_u32_e32 v33, 29, v33
	v_lshlrev_b64 v[23:24], v23, v[10:11]
	v_and_b32_e32 v23, 7, v23
; %bb.1500:                             ;   in Loop: Header=BB356_810 Depth=1
	s_or_b32 exec_lo, exec_lo, s20
	v_mov_b32_e32 v10, 24
	v_lshlrev_b32_e32 v23, 20, v23
	v_lshl_add_u32 v24, v33, 23, 0x3c000000
	v_lshlrev_b32_sdwa v10, v10, v18 dst_sel:DWORD dst_unused:UNUSED_PAD src0_sel:DWORD src1_sel:BYTE_3
	v_and_b32_e32 v10, 0x80000000, v10
	v_or3_b32 v35, v23, v10, v24
.LBB356_1501:                           ;   in Loop: Header=BB356_810 Depth=1
	s_or_b32 exec_lo, exec_lo, s18
.LBB356_1502:                           ;   in Loop: Header=BB356_810 Depth=1
	s_or_b32 exec_lo, exec_lo, s17
.LBB356_1503:                           ;   in Loop: Header=BB356_810 Depth=1
	s_or_b32 exec_lo, exec_lo, s16
	v_mov_b32_e32 v10, v19
	v_cmp_ne_u16_sdwa s4, v19, v11 src0_sel:BYTE_0 src1_sel:DWORD
	v_mov_b32_e32 v33, 0
	v_mov_b32_e32 v34, 0
	s_and_saveexec_b32 s16, s4
	s_cbranch_execz .LBB356_1511
; %bb.1504:                             ;   in Loop: Header=BB356_810 Depth=1
	v_cmp_ne_u16_sdwa s4, v19, v53 src0_sel:BYTE_0 src1_sel:DWORD
	v_bfrev_b32_e32 v34, 1
	s_and_saveexec_b32 s17, s4
	s_cbranch_execz .LBB356_1510
; %bb.1505:                             ;   in Loop: Header=BB356_810 Depth=1
	v_and_b32_e32 v23, 0x7f, v19
	v_mov_b32_e32 v34, 0x7f800001
	s_mov_b32 s18, exec_lo
	v_cmpx_ne_u32_e32 0x7f, v23
	s_cbranch_execz .LBB356_1509
; %bb.1506:                             ;   in Loop: Header=BB356_810 Depth=1
	v_lshrrev_b32_e32 v34, 3, v23
	v_cmp_gt_u32_e64 s4, 8, v23
	v_mov_b32_e32 v24, v11
	v_mov_b32_e32 v23, v10
	s_and_saveexec_b32 s20, s4
; %bb.1507:                             ;   in Loop: Header=BB356_810 Depth=1
	v_and_b32_e32 v23, 7, v19
	v_ffbh_u32_e32 v23, v23
	v_min_u32_e32 v34, 32, v23
	v_subrev_nc_u32_e32 v23, 28, v34
	v_sub_nc_u32_e32 v34, 29, v34
	v_lshlrev_b64 v[23:24], v23, v[10:11]
; %bb.1508:                             ;   in Loop: Header=BB356_810 Depth=1
	s_or_b32 exec_lo, exec_lo, s20
	v_lshlrev_b32_e32 v23, 20, v23
	v_lshlrev_b32_e32 v24, 24, v10
	v_lshl_add_u32 v34, v34, 23, 0x3c000000
	v_and_b32_e32 v23, 0x700000, v23
	v_and_b32_e32 v24, 0x80000000, v24
	v_or3_b32 v34, v23, v24, v34
.LBB356_1509:                           ;   in Loop: Header=BB356_810 Depth=1
	s_or_b32 exec_lo, exec_lo, s18
.LBB356_1510:                           ;   in Loop: Header=BB356_810 Depth=1
	s_or_b32 exec_lo, exec_lo, s17
.LBB356_1511:                           ;   in Loop: Header=BB356_810 Depth=1
	s_or_b32 exec_lo, exec_lo, s16
	v_cmp_ne_u16_sdwa s4, v10, v11 src0_sel:BYTE_1 src1_sel:DWORD
	s_and_saveexec_b32 s16, s4
	s_cbranch_execz .LBB356_1519
; %bb.1512:                             ;   in Loop: Header=BB356_810 Depth=1
	v_cmp_ne_u16_sdwa s4, v10, v53 src0_sel:BYTE_1 src1_sel:DWORD
	v_bfrev_b32_e32 v33, 1
	s_and_saveexec_b32 s17, s4
	s_cbranch_execz .LBB356_1518
; %bb.1513:                             ;   in Loop: Header=BB356_810 Depth=1
	v_mov_b32_e32 v23, 0xffff
	v_mov_b32_e32 v33, 0x7f800001
	s_mov_b32 s18, exec_lo
	v_and_b32_sdwa v23, v23, v10 dst_sel:DWORD dst_unused:UNUSED_PAD src0_sel:DWORD src1_sel:BYTE_1
	v_and_b32_e32 v48, 0x7f, v23
	v_cmpx_ne_u32_e32 0x7f, v48
	s_cbranch_execz .LBB356_1517
; %bb.1514:                             ;   in Loop: Header=BB356_810 Depth=1
	v_and_b32_e32 v23, 7, v23
	v_mov_b32_e32 v24, v11
	v_lshrrev_b32_e32 v33, 3, v48
	s_mov_b32 s20, exec_lo
	v_cmpx_gt_u32_e32 8, v48
; %bb.1515:                             ;   in Loop: Header=BB356_810 Depth=1
	v_ffbh_u32_e32 v33, v23
	v_min_u32_e32 v33, 32, v33
	v_subrev_nc_u32_e32 v48, 28, v33
	v_sub_nc_u32_e32 v33, 29, v33
	v_lshlrev_b64 v[23:24], v48, v[23:24]
	v_and_b32_e32 v23, 7, v23
; %bb.1516:                             ;   in Loop: Header=BB356_810 Depth=1
	s_or_b32 exec_lo, exec_lo, s20
	v_lshlrev_b32_e32 v10, 16, v10
	v_lshlrev_b32_e32 v23, 20, v23
	v_lshl_add_u32 v24, v33, 23, 0x3c000000
	v_and_b32_e32 v10, 0x80000000, v10
	v_or3_b32 v33, v23, v10, v24
.LBB356_1517:                           ;   in Loop: Header=BB356_810 Depth=1
	s_or_b32 exec_lo, exec_lo, s18
.LBB356_1518:                           ;   in Loop: Header=BB356_810 Depth=1
	s_or_b32 exec_lo, exec_lo, s17
.LBB356_1519:                           ;   in Loop: Header=BB356_810 Depth=1
	s_or_b32 exec_lo, exec_lo, s16
	v_and_b32_sdwa v10, v19, v55 dst_sel:DWORD dst_unused:UNUSED_PAD src0_sel:WORD_1 src1_sel:DWORD
	v_mov_b32_e32 v49, 0
	v_mov_b32_e32 v50, 0
	s_mov_b32 s16, exec_lo
	v_cmpx_ne_u16_e32 0, v10
	s_cbranch_execz .LBB356_1527
; %bb.1520:                             ;   in Loop: Header=BB356_810 Depth=1
	v_bfrev_b32_e32 v50, 1
	s_mov_b32 s17, exec_lo
	v_cmpx_ne_u16_e32 0x80, v10
	s_cbranch_execz .LBB356_1526
; %bb.1521:                             ;   in Loop: Header=BB356_810 Depth=1
	v_bfe_u32 v23, v19, 16, 7
	v_mov_b32_e32 v50, 0x7f800001
	s_mov_b32 s18, exec_lo
	v_cmpx_ne_u32_e32 0x7f, v23
	s_cbranch_execz .LBB356_1525
; %bb.1522:                             ;   in Loop: Header=BB356_810 Depth=1
	v_mov_b32_e32 v10, 7
	v_lshrrev_b32_e32 v48, 3, v23
	v_cmp_gt_u32_e64 s4, 8, v23
	v_and_b32_sdwa v10, v19, v10 dst_sel:DWORD dst_unused:UNUSED_PAD src0_sel:WORD_1 src1_sel:DWORD
	v_mov_b32_e32 v24, v11
	v_mov_b32_e32 v23, v10
	s_and_saveexec_b32 s20, s4
; %bb.1523:                             ;   in Loop: Header=BB356_810 Depth=1
	v_ffbh_u32_e32 v23, v10
	v_min_u32_e32 v48, 32, v23
	v_subrev_nc_u32_e32 v23, 28, v48
	v_sub_nc_u32_e32 v48, 29, v48
	v_lshlrev_b64 v[23:24], v23, v[10:11]
	v_and_b32_e32 v23, 7, v23
; %bb.1524:                             ;   in Loop: Header=BB356_810 Depth=1
	s_or_b32 exec_lo, exec_lo, s20
	v_mov_b32_e32 v10, 24
	v_lshlrev_b32_e32 v23, 20, v23
	v_lshl_add_u32 v24, v48, 23, 0x3c000000
	v_lshlrev_b32_sdwa v10, v10, v19 dst_sel:DWORD dst_unused:UNUSED_PAD src0_sel:DWORD src1_sel:WORD_1
	v_and_b32_e32 v10, 0x80000000, v10
	v_or3_b32 v50, v23, v10, v24
.LBB356_1525:                           ;   in Loop: Header=BB356_810 Depth=1
	s_or_b32 exec_lo, exec_lo, s18
.LBB356_1526:                           ;   in Loop: Header=BB356_810 Depth=1
	s_or_b32 exec_lo, exec_lo, s17
.LBB356_1527:                           ;   in Loop: Header=BB356_810 Depth=1
	s_or_b32 exec_lo, exec_lo, s16
	s_mov_b32 s16, exec_lo
	v_cmpx_lt_u64_e64 s[12:13], v[18:19]
	s_cbranch_execz .LBB356_1535
; %bb.1528:                             ;   in Loop: Header=BB356_810 Depth=1
	v_cmp_ne_u32_sdwa s4, v19, v53 src0_sel:BYTE_3 src1_sel:DWORD
	v_bfrev_b32_e32 v49, 1
	s_and_saveexec_b32 s17, s4
	s_cbranch_execz .LBB356_1534
; %bb.1529:                             ;   in Loop: Header=BB356_810 Depth=1
	v_bfe_u32 v23, v19, 24, 7
	v_mov_b32_e32 v49, 0x7f800001
	s_mov_b32 s18, exec_lo
	v_cmpx_ne_u32_e32 0x7f, v23
	s_cbranch_execz .LBB356_1533
; %bb.1530:                             ;   in Loop: Header=BB356_810 Depth=1
	v_mov_b32_e32 v10, 7
	v_lshrrev_b32_e32 v18, 3, v23
	v_cmp_gt_u32_e64 s4, 8, v23
	v_and_b32_sdwa v10, v19, v10 dst_sel:DWORD dst_unused:UNUSED_PAD src0_sel:BYTE_3 src1_sel:DWORD
	v_mov_b32_e32 v24, v11
	v_mov_b32_e32 v23, v10
	s_and_saveexec_b32 s20, s4
; %bb.1531:                             ;   in Loop: Header=BB356_810 Depth=1
	v_ffbh_u32_e32 v18, v10
	v_min_u32_e32 v18, 32, v18
	v_subrev_nc_u32_e32 v23, 28, v18
	v_sub_nc_u32_e32 v18, 29, v18
	v_lshlrev_b64 v[23:24], v23, v[10:11]
	v_and_b32_e32 v23, 7, v23
; %bb.1532:                             ;   in Loop: Header=BB356_810 Depth=1
	s_or_b32 exec_lo, exec_lo, s20
	v_mov_b32_e32 v10, 24
	v_lshl_add_u32 v18, v18, 23, 0x3c000000
	v_lshlrev_b32_sdwa v10, v10, v19 dst_sel:DWORD dst_unused:UNUSED_PAD src0_sel:DWORD src1_sel:BYTE_3
	v_lshlrev_b32_e32 v19, 20, v23
	v_and_b32_e32 v10, 0x80000000, v10
	v_or3_b32 v49, v19, v10, v18
.LBB356_1533:                           ;   in Loop: Header=BB356_810 Depth=1
	s_or_b32 exec_lo, exec_lo, s18
.LBB356_1534:                           ;   in Loop: Header=BB356_810 Depth=1
	s_or_b32 exec_lo, exec_lo, s17
.LBB356_1535:                           ;   in Loop: Header=BB356_810 Depth=1
	s_or_b32 exec_lo, exec_lo, s16
	v_mul_f32_e32 v10, v44, v33
	v_bfe_u32 v18, v10, 16, 1
	v_or_b32_e32 v19, 0x400000, v10
	v_cmp_u_f32_e64 s4, v10, v10
	v_add3_u32 v18, v18, v10, 0x7fff
	v_cndmask_b32_e64 v10, v18, v19, s4
	v_lshrrev_b32_e32 v33, 16, v10
	v_mul_f32_e32 v10, v44, v34
	v_bfe_u32 v18, v10, 16, 1
	v_or_b32_e32 v19, 0x400000, v10
	v_cmp_u_f32_e64 s4, v10, v10
	v_add3_u32 v18, v18, v10, 0x7fff
	v_cndmask_b32_e64 v10, v18, v19, s4
	v_lshrrev_b32_e32 v34, 16, v10
	v_mul_f32_e32 v10, v44, v35
	v_bfe_u32 v18, v10, 16, 1
	v_or_b32_e32 v19, 0x400000, v10
	v_cmp_u_f32_e64 s4, v10, v10
	v_add3_u32 v18, v18, v10, 0x7fff
	v_cndmask_b32_e64 v10, v18, v19, s4
	v_lshrrev_b32_e32 v35, 16, v10
	v_mul_f32_e32 v10, v44, v36
	v_bfe_u32 v18, v10, 16, 1
	v_or_b32_e32 v19, 0x400000, v10
	v_cmp_u_f32_e64 s4, v10, v10
	v_add3_u32 v18, v18, v10, 0x7fff
	v_cndmask_b32_e64 v10, v18, v19, s4
	v_lshrrev_b32_e32 v36, 16, v10
	v_mul_f32_e32 v10, v44, v38
	v_bfe_u32 v18, v10, 16, 1
	v_or_b32_e32 v19, 0x400000, v10
	v_cmp_u_f32_e64 s4, v10, v10
	v_add3_u32 v18, v18, v10, 0x7fff
	v_cndmask_b32_e64 v10, v18, v19, s4
	v_lshrrev_b32_e32 v38, 16, v10
	v_mul_f32_e32 v10, v44, v37
	v_bfe_u32 v18, v10, 16, 1
	v_or_b32_e32 v19, 0x400000, v10
	v_cmp_u_f32_e64 s4, v10, v10
	v_add3_u32 v18, v18, v10, 0x7fff
	v_cndmask_b32_e64 v10, v18, v19, s4
	v_lshrrev_b32_e32 v48, 16, v10
	v_mul_f32_e32 v10, v44, v50
	v_bfe_u32 v18, v10, 16, 1
	v_or_b32_e32 v19, 0x400000, v10
	v_cmp_u_f32_e64 s4, v10, v10
	v_add3_u32 v18, v18, v10, 0x7fff
	v_cndmask_b32_e64 v10, v18, v19, s4
	v_lshrrev_b32_e32 v37, 16, v10
	v_mul_f32_e32 v10, v44, v49
	v_bfe_u32 v18, v10, 16, 1
	v_or_b32_e32 v19, 0x400000, v10
	v_cmp_u_f32_e64 s4, v10, v10
	v_add3_u32 v18, v18, v10, 0x7fff
	v_cndmask_b32_e64 v10, v18, v19, s4
	v_lshrrev_b32_e32 v49, 16, v10
	s_and_saveexec_b32 s16, vcc_lo
	s_cbranch_execz .LBB356_1537
; %bb.1536:                             ;   in Loop: Header=BB356_810 Depth=1
	v_cmp_lt_i32_e64 s4, v47, v96
	v_cndmask_b32_e64 v48, 0, v48, s4
	v_cmp_lt_i32_e64 s4, v62, v96
	v_cndmask_b32_e64 v38, 0, v38, s4
	;; [unrolled: 2-line block ×8, first 2 shown]
.LBB356_1537:                           ;   in Loop: Header=BB356_810 Depth=1
	s_or_b32 exec_lo, exec_lo, s16
	flat_load_dwordx2 v[16:17], v[16:17] offset:768
	v_mov_b32_e32 v24, 0
	v_mov_b32_e32 v23, 0
	s_waitcnt vmcnt(0) lgkmcnt(0)
	v_cmp_ne_u16_sdwa s4, v16, v11 src0_sel:BYTE_0 src1_sel:DWORD
	s_and_saveexec_b32 s16, s4
	s_cbranch_execz .LBB356_1545
; %bb.1538:                             ;   in Loop: Header=BB356_810 Depth=1
	v_cmp_ne_u16_sdwa s4, v16, v53 src0_sel:BYTE_0 src1_sel:DWORD
	v_bfrev_b32_e32 v23, 1
	s_and_saveexec_b32 s17, s4
	s_cbranch_execz .LBB356_1544
; %bb.1539:                             ;   in Loop: Header=BB356_810 Depth=1
	v_and_b32_e32 v18, 0x7f, v16
	v_mov_b32_e32 v23, 0x7f800001
	s_mov_b32 s18, exec_lo
	v_cmpx_ne_u32_e32 0x7f, v18
	s_cbranch_execz .LBB356_1543
; %bb.1540:                             ;   in Loop: Header=BB356_810 Depth=1
	v_lshrrev_b32_e32 v10, 3, v18
	v_cmp_gt_u32_e64 s4, 8, v18
	v_mov_b32_e32 v19, v17
	v_mov_b32_e32 v18, v16
	s_and_saveexec_b32 s20, s4
; %bb.1541:                             ;   in Loop: Header=BB356_810 Depth=1
	v_and_b32_e32 v10, 7, v16
	v_ffbh_u32_e32 v10, v10
	v_min_u32_e32 v10, 32, v10
	v_subrev_nc_u32_e32 v18, 28, v10
	v_sub_nc_u32_e32 v10, 29, v10
	v_lshlrev_b64 v[18:19], v18, v[16:17]
; %bb.1542:                             ;   in Loop: Header=BB356_810 Depth=1
	s_or_b32 exec_lo, exec_lo, s20
	v_lshlrev_b32_e32 v18, 20, v18
	v_lshlrev_b32_e32 v19, 24, v16
	v_lshl_add_u32 v10, v10, 23, 0x3c000000
	v_and_b32_e32 v18, 0x700000, v18
	v_and_b32_e32 v19, 0x80000000, v19
	v_or3_b32 v23, v18, v19, v10
.LBB356_1543:                           ;   in Loop: Header=BB356_810 Depth=1
	s_or_b32 exec_lo, exec_lo, s18
.LBB356_1544:                           ;   in Loop: Header=BB356_810 Depth=1
	s_or_b32 exec_lo, exec_lo, s17
.LBB356_1545:                           ;   in Loop: Header=BB356_810 Depth=1
	s_or_b32 exec_lo, exec_lo, s16
	v_cmp_ne_u16_sdwa s4, v16, v11 src0_sel:BYTE_1 src1_sel:DWORD
	s_and_saveexec_b32 s16, s4
	s_cbranch_execz .LBB356_1553
; %bb.1546:                             ;   in Loop: Header=BB356_810 Depth=1
	v_cmp_ne_u16_sdwa s4, v16, v53 src0_sel:BYTE_1 src1_sel:DWORD
	v_bfrev_b32_e32 v24, 1
	s_and_saveexec_b32 s17, s4
	s_cbranch_execz .LBB356_1552
; %bb.1547:                             ;   in Loop: Header=BB356_810 Depth=1
	v_mov_b32_e32 v10, 0xffff
	v_mov_b32_e32 v24, 0x7f800001
	s_mov_b32 s18, exec_lo
	v_and_b32_sdwa v10, v10, v16 dst_sel:DWORD dst_unused:UNUSED_PAD src0_sel:DWORD src1_sel:BYTE_1
	v_and_b32_e32 v18, 0x7f, v10
	v_cmpx_ne_u32_e32 0x7f, v18
	s_cbranch_execz .LBB356_1551
; %bb.1548:                             ;   in Loop: Header=BB356_810 Depth=1
	v_and_b32_e32 v10, 7, v10
	v_lshrrev_b32_e32 v24, 3, v18
	v_cmp_gt_u32_e64 s4, 8, v18
	v_mov_b32_e32 v19, v11
	v_mov_b32_e32 v18, v10
	s_and_saveexec_b32 s20, s4
; %bb.1549:                             ;   in Loop: Header=BB356_810 Depth=1
	v_ffbh_u32_e32 v18, v10
	v_min_u32_e32 v24, 32, v18
	v_subrev_nc_u32_e32 v18, 28, v24
	v_sub_nc_u32_e32 v24, 29, v24
	v_lshlrev_b64 v[18:19], v18, v[10:11]
	v_and_b32_e32 v18, 7, v18
; %bb.1550:                             ;   in Loop: Header=BB356_810 Depth=1
	s_or_b32 exec_lo, exec_lo, s20
	v_lshlrev_b32_e32 v10, 16, v16
	v_lshlrev_b32_e32 v18, 20, v18
	v_lshl_add_u32 v19, v24, 23, 0x3c000000
	v_and_b32_e32 v10, 0x80000000, v10
	v_or3_b32 v24, v18, v10, v19
.LBB356_1551:                           ;   in Loop: Header=BB356_810 Depth=1
	s_or_b32 exec_lo, exec_lo, s18
.LBB356_1552:                           ;   in Loop: Header=BB356_810 Depth=1
	s_or_b32 exec_lo, exec_lo, s17
.LBB356_1553:                           ;   in Loop: Header=BB356_810 Depth=1
	s_or_b32 exec_lo, exec_lo, s16
	v_and_b32_sdwa v10, v16, v55 dst_sel:DWORD dst_unused:UNUSED_PAD src0_sel:WORD_1 src1_sel:DWORD
	v_mov_b32_e32 v50, 0
	v_mov_b32_e32 v51, 0
	s_mov_b32 s16, exec_lo
	v_cmpx_ne_u16_e32 0, v10
	s_cbranch_execz .LBB356_1561
; %bb.1554:                             ;   in Loop: Header=BB356_810 Depth=1
	v_bfrev_b32_e32 v51, 1
	s_mov_b32 s17, exec_lo
	v_cmpx_ne_u16_e32 0x80, v10
	s_cbranch_execz .LBB356_1560
; %bb.1555:                             ;   in Loop: Header=BB356_810 Depth=1
	v_bfe_u32 v18, v16, 16, 7
	v_mov_b32_e32 v51, 0x7f800001
	s_mov_b32 s18, exec_lo
	v_cmpx_ne_u32_e32 0x7f, v18
	s_cbranch_execz .LBB356_1559
; %bb.1556:                             ;   in Loop: Header=BB356_810 Depth=1
	v_mov_b32_e32 v10, 7
	v_lshrrev_b32_e32 v51, 3, v18
	v_cmp_gt_u32_e64 s4, 8, v18
	v_and_b32_sdwa v10, v16, v10 dst_sel:DWORD dst_unused:UNUSED_PAD src0_sel:WORD_1 src1_sel:DWORD
	v_mov_b32_e32 v19, v11
	v_mov_b32_e32 v18, v10
	s_and_saveexec_b32 s20, s4
; %bb.1557:                             ;   in Loop: Header=BB356_810 Depth=1
	v_ffbh_u32_e32 v18, v10
	v_min_u32_e32 v51, 32, v18
	v_subrev_nc_u32_e32 v18, 28, v51
	v_sub_nc_u32_e32 v51, 29, v51
	v_lshlrev_b64 v[18:19], v18, v[10:11]
	v_and_b32_e32 v18, 7, v18
; %bb.1558:                             ;   in Loop: Header=BB356_810 Depth=1
	s_or_b32 exec_lo, exec_lo, s20
	v_mov_b32_e32 v10, 24
	v_lshlrev_b32_e32 v18, 20, v18
	v_lshl_add_u32 v19, v51, 23, 0x3c000000
	v_lshlrev_b32_sdwa v10, v10, v16 dst_sel:DWORD dst_unused:UNUSED_PAD src0_sel:DWORD src1_sel:WORD_1
	v_and_b32_e32 v10, 0x80000000, v10
	v_or3_b32 v51, v18, v10, v19
.LBB356_1559:                           ;   in Loop: Header=BB356_810 Depth=1
	s_or_b32 exec_lo, exec_lo, s18
.LBB356_1560:                           ;   in Loop: Header=BB356_810 Depth=1
	s_or_b32 exec_lo, exec_lo, s17
.LBB356_1561:                           ;   in Loop: Header=BB356_810 Depth=1
	s_or_b32 exec_lo, exec_lo, s16
	s_mov_b32 s16, exec_lo
	v_cmpx_lt_u32_e32 0xffffff, v16
	s_cbranch_execz .LBB356_1569
; %bb.1562:                             ;   in Loop: Header=BB356_810 Depth=1
	v_cmp_ne_u32_sdwa s4, v16, v53 src0_sel:BYTE_3 src1_sel:DWORD
	v_bfrev_b32_e32 v50, 1
	s_and_saveexec_b32 s17, s4
	s_cbranch_execz .LBB356_1568
; %bb.1563:                             ;   in Loop: Header=BB356_810 Depth=1
	v_bfe_u32 v18, v16, 24, 7
	v_mov_b32_e32 v50, 0x7f800001
	s_mov_b32 s18, exec_lo
	v_cmpx_ne_u32_e32 0x7f, v18
	s_cbranch_execz .LBB356_1567
; %bb.1564:                             ;   in Loop: Header=BB356_810 Depth=1
	v_mov_b32_e32 v10, 7
	v_lshrrev_b32_e32 v50, 3, v18
	v_cmp_gt_u32_e64 s4, 8, v18
	v_and_b32_sdwa v10, v16, v10 dst_sel:DWORD dst_unused:UNUSED_PAD src0_sel:BYTE_3 src1_sel:DWORD
	v_mov_b32_e32 v19, v11
	v_mov_b32_e32 v18, v10
	s_and_saveexec_b32 s20, s4
; %bb.1565:                             ;   in Loop: Header=BB356_810 Depth=1
	v_ffbh_u32_e32 v18, v10
	v_min_u32_e32 v50, 32, v18
	v_subrev_nc_u32_e32 v18, 28, v50
	v_sub_nc_u32_e32 v50, 29, v50
	v_lshlrev_b64 v[18:19], v18, v[10:11]
	v_and_b32_e32 v18, 7, v18
; %bb.1566:                             ;   in Loop: Header=BB356_810 Depth=1
	s_or_b32 exec_lo, exec_lo, s20
	v_mov_b32_e32 v10, 24
	v_lshlrev_b32_e32 v18, 20, v18
	v_lshl_add_u32 v19, v50, 23, 0x3c000000
	v_lshlrev_b32_sdwa v10, v10, v16 dst_sel:DWORD dst_unused:UNUSED_PAD src0_sel:DWORD src1_sel:BYTE_3
	v_and_b32_e32 v10, 0x80000000, v10
	v_or3_b32 v50, v18, v10, v19
.LBB356_1567:                           ;   in Loop: Header=BB356_810 Depth=1
	s_or_b32 exec_lo, exec_lo, s18
.LBB356_1568:                           ;   in Loop: Header=BB356_810 Depth=1
	s_or_b32 exec_lo, exec_lo, s17
.LBB356_1569:                           ;   in Loop: Header=BB356_810 Depth=1
	s_or_b32 exec_lo, exec_lo, s16
	v_mov_b32_e32 v10, v17
	v_cmp_ne_u16_sdwa s4, v17, v11 src0_sel:BYTE_0 src1_sel:DWORD
	v_mov_b32_e32 v69, 0
	v_mov_b32_e32 v68, 0
	s_and_saveexec_b32 s16, s4
	s_cbranch_execz .LBB356_1577
; %bb.1570:                             ;   in Loop: Header=BB356_810 Depth=1
	v_cmp_ne_u16_sdwa s4, v17, v53 src0_sel:BYTE_0 src1_sel:DWORD
	v_bfrev_b32_e32 v68, 1
	s_and_saveexec_b32 s17, s4
	s_cbranch_execz .LBB356_1576
; %bb.1571:                             ;   in Loop: Header=BB356_810 Depth=1
	v_and_b32_e32 v18, 0x7f, v17
	v_mov_b32_e32 v68, 0x7f800001
	s_mov_b32 s18, exec_lo
	v_cmpx_ne_u32_e32 0x7f, v18
	s_cbranch_execz .LBB356_1575
; %bb.1572:                             ;   in Loop: Header=BB356_810 Depth=1
	v_lshrrev_b32_e32 v54, 3, v18
	v_cmp_gt_u32_e64 s4, 8, v18
	v_mov_b32_e32 v19, v11
	v_mov_b32_e32 v18, v10
	s_and_saveexec_b32 s20, s4
; %bb.1573:                             ;   in Loop: Header=BB356_810 Depth=1
	v_and_b32_e32 v18, 7, v17
	v_ffbh_u32_e32 v18, v18
	v_min_u32_e32 v54, 32, v18
	v_subrev_nc_u32_e32 v18, 28, v54
	v_sub_nc_u32_e32 v54, 29, v54
	v_lshlrev_b64 v[18:19], v18, v[10:11]
; %bb.1574:                             ;   in Loop: Header=BB356_810 Depth=1
	s_or_b32 exec_lo, exec_lo, s20
	v_lshlrev_b32_e32 v18, 20, v18
	v_lshlrev_b32_e32 v19, 24, v10
	v_lshl_add_u32 v54, v54, 23, 0x3c000000
	v_and_b32_e32 v18, 0x700000, v18
	v_and_b32_e32 v19, 0x80000000, v19
	v_or3_b32 v68, v18, v19, v54
.LBB356_1575:                           ;   in Loop: Header=BB356_810 Depth=1
	s_or_b32 exec_lo, exec_lo, s18
.LBB356_1576:                           ;   in Loop: Header=BB356_810 Depth=1
	s_or_b32 exec_lo, exec_lo, s17
.LBB356_1577:                           ;   in Loop: Header=BB356_810 Depth=1
	s_or_b32 exec_lo, exec_lo, s16
	v_cmp_ne_u16_sdwa s4, v10, v11 src0_sel:BYTE_1 src1_sel:DWORD
	s_and_saveexec_b32 s16, s4
	s_cbranch_execz .LBB356_1585
; %bb.1578:                             ;   in Loop: Header=BB356_810 Depth=1
	v_cmp_ne_u16_sdwa s4, v10, v53 src0_sel:BYTE_1 src1_sel:DWORD
	v_bfrev_b32_e32 v69, 1
	s_and_saveexec_b32 s17, s4
	s_cbranch_execz .LBB356_1584
; %bb.1579:                             ;   in Loop: Header=BB356_810 Depth=1
	v_mov_b32_e32 v18, 0xffff
	v_mov_b32_e32 v69, 0x7f800001
	s_mov_b32 s18, exec_lo
	v_and_b32_sdwa v18, v18, v10 dst_sel:DWORD dst_unused:UNUSED_PAD src0_sel:DWORD src1_sel:BYTE_1
	v_and_b32_e32 v65, 0x7f, v18
	v_cmpx_ne_u32_e32 0x7f, v65
	s_cbranch_execz .LBB356_1583
; %bb.1580:                             ;   in Loop: Header=BB356_810 Depth=1
	v_and_b32_e32 v18, 7, v18
	v_mov_b32_e32 v19, v11
	v_lshrrev_b32_e32 v54, 3, v65
	s_mov_b32 s20, exec_lo
	v_cmpx_gt_u32_e32 8, v65
; %bb.1581:                             ;   in Loop: Header=BB356_810 Depth=1
	v_ffbh_u32_e32 v54, v18
	v_min_u32_e32 v54, 32, v54
	v_subrev_nc_u32_e32 v65, 28, v54
	v_sub_nc_u32_e32 v54, 29, v54
	v_lshlrev_b64 v[18:19], v65, v[18:19]
	v_and_b32_e32 v18, 7, v18
; %bb.1582:                             ;   in Loop: Header=BB356_810 Depth=1
	s_or_b32 exec_lo, exec_lo, s20
	v_lshlrev_b32_e32 v10, 16, v10
	v_lshlrev_b32_e32 v18, 20, v18
	v_lshl_add_u32 v19, v54, 23, 0x3c000000
	v_and_b32_e32 v10, 0x80000000, v10
	v_or3_b32 v69, v18, v10, v19
.LBB356_1583:                           ;   in Loop: Header=BB356_810 Depth=1
	s_or_b32 exec_lo, exec_lo, s18
.LBB356_1584:                           ;   in Loop: Header=BB356_810 Depth=1
	s_or_b32 exec_lo, exec_lo, s17
.LBB356_1585:                           ;   in Loop: Header=BB356_810 Depth=1
	s_or_b32 exec_lo, exec_lo, s16
	v_and_b32_sdwa v10, v17, v55 dst_sel:DWORD dst_unused:UNUSED_PAD src0_sel:WORD_1 src1_sel:DWORD
	v_mov_b32_e32 v54, 0
	v_mov_b32_e32 v65, 0
	s_mov_b32 s16, exec_lo
	v_cmpx_ne_u16_e32 0, v10
	s_cbranch_execz .LBB356_1593
; %bb.1586:                             ;   in Loop: Header=BB356_810 Depth=1
	v_bfrev_b32_e32 v65, 1
	s_mov_b32 s17, exec_lo
	v_cmpx_ne_u16_e32 0x80, v10
	s_cbranch_execz .LBB356_1592
; %bb.1587:                             ;   in Loop: Header=BB356_810 Depth=1
	v_bfe_u32 v18, v17, 16, 7
	v_mov_b32_e32 v65, 0x7f800001
	s_mov_b32 s18, exec_lo
	v_cmpx_ne_u32_e32 0x7f, v18
	s_cbranch_execz .LBB356_1591
; %bb.1588:                             ;   in Loop: Header=BB356_810 Depth=1
	v_mov_b32_e32 v10, 7
	v_lshrrev_b32_e32 v65, 3, v18
	v_cmp_gt_u32_e64 s4, 8, v18
	v_and_b32_sdwa v10, v17, v10 dst_sel:DWORD dst_unused:UNUSED_PAD src0_sel:WORD_1 src1_sel:DWORD
	v_mov_b32_e32 v19, v11
	v_mov_b32_e32 v18, v10
	s_and_saveexec_b32 s20, s4
; %bb.1589:                             ;   in Loop: Header=BB356_810 Depth=1
	v_ffbh_u32_e32 v18, v10
	v_min_u32_e32 v65, 32, v18
	v_subrev_nc_u32_e32 v18, 28, v65
	v_sub_nc_u32_e32 v65, 29, v65
	v_lshlrev_b64 v[18:19], v18, v[10:11]
	v_and_b32_e32 v18, 7, v18
; %bb.1590:                             ;   in Loop: Header=BB356_810 Depth=1
	s_or_b32 exec_lo, exec_lo, s20
	v_mov_b32_e32 v10, 24
	v_lshlrev_b32_e32 v18, 20, v18
	v_lshl_add_u32 v19, v65, 23, 0x3c000000
	v_lshlrev_b32_sdwa v10, v10, v17 dst_sel:DWORD dst_unused:UNUSED_PAD src0_sel:DWORD src1_sel:WORD_1
	v_and_b32_e32 v10, 0x80000000, v10
	v_or3_b32 v65, v18, v10, v19
.LBB356_1591:                           ;   in Loop: Header=BB356_810 Depth=1
	s_or_b32 exec_lo, exec_lo, s18
.LBB356_1592:                           ;   in Loop: Header=BB356_810 Depth=1
	s_or_b32 exec_lo, exec_lo, s17
.LBB356_1593:                           ;   in Loop: Header=BB356_810 Depth=1
	s_or_b32 exec_lo, exec_lo, s16
	s_mov_b32 s16, exec_lo
	v_cmpx_lt_u64_e64 s[12:13], v[16:17]
	s_cbranch_execz .LBB356_1601
; %bb.1594:                             ;   in Loop: Header=BB356_810 Depth=1
	v_cmp_ne_u32_sdwa s4, v17, v53 src0_sel:BYTE_3 src1_sel:DWORD
	v_bfrev_b32_e32 v54, 1
	s_and_saveexec_b32 s17, s4
	s_cbranch_execz .LBB356_1600
; %bb.1595:                             ;   in Loop: Header=BB356_810 Depth=1
	v_bfe_u32 v18, v17, 24, 7
	v_mov_b32_e32 v54, 0x7f800001
	s_mov_b32 s18, exec_lo
	v_cmpx_ne_u32_e32 0x7f, v18
	s_cbranch_execz .LBB356_1599
; %bb.1596:                             ;   in Loop: Header=BB356_810 Depth=1
	v_mov_b32_e32 v10, 7
	v_lshrrev_b32_e32 v16, 3, v18
	v_cmp_gt_u32_e64 s4, 8, v18
	v_and_b32_sdwa v10, v17, v10 dst_sel:DWORD dst_unused:UNUSED_PAD src0_sel:BYTE_3 src1_sel:DWORD
	v_mov_b32_e32 v19, v11
	v_mov_b32_e32 v18, v10
	s_and_saveexec_b32 s20, s4
; %bb.1597:                             ;   in Loop: Header=BB356_810 Depth=1
	v_ffbh_u32_e32 v16, v10
	v_min_u32_e32 v16, 32, v16
	v_subrev_nc_u32_e32 v18, 28, v16
	v_sub_nc_u32_e32 v16, 29, v16
	v_lshlrev_b64 v[18:19], v18, v[10:11]
	v_and_b32_e32 v18, 7, v18
; %bb.1598:                             ;   in Loop: Header=BB356_810 Depth=1
	s_or_b32 exec_lo, exec_lo, s20
	v_mov_b32_e32 v10, 24
	v_lshl_add_u32 v16, v16, 23, 0x3c000000
	v_lshlrev_b32_sdwa v10, v10, v17 dst_sel:DWORD dst_unused:UNUSED_PAD src0_sel:DWORD src1_sel:BYTE_3
	v_lshlrev_b32_e32 v17, 20, v18
	v_and_b32_e32 v10, 0x80000000, v10
	v_or3_b32 v54, v17, v10, v16
.LBB356_1599:                           ;   in Loop: Header=BB356_810 Depth=1
	s_or_b32 exec_lo, exec_lo, s18
.LBB356_1600:                           ;   in Loop: Header=BB356_810 Depth=1
	s_or_b32 exec_lo, exec_lo, s17
.LBB356_1601:                           ;   in Loop: Header=BB356_810 Depth=1
	s_or_b32 exec_lo, exec_lo, s16
	v_mul_f32_e32 v10, v44, v69
	v_bfe_u32 v16, v10, 16, 1
	v_or_b32_e32 v17, 0x400000, v10
	v_cmp_u_f32_e64 s4, v10, v10
	v_add3_u32 v16, v16, v10, 0x7fff
	v_cndmask_b32_e64 v10, v16, v17, s4
	v_mul_f32_e32 v16, v44, v68
	v_lshrrev_b32_e32 v10, 16, v10
	v_bfe_u32 v17, v16, 16, 1
	v_or_b32_e32 v18, 0x400000, v16
	v_cmp_u_f32_e64 s4, v16, v16
	v_add3_u32 v17, v17, v16, 0x7fff
	v_cndmask_b32_e64 v16, v17, v18, s4
	v_mul_f32_e32 v17, v44, v50
	v_lshrrev_b32_e32 v16, 16, v16
	;; [unrolled: 7-line block ×3, first 2 shown]
	v_bfe_u32 v19, v18, 16, 1
	v_or_b32_e32 v50, 0x400000, v18
	v_cmp_u_f32_e64 s4, v18, v18
	v_add3_u32 v19, v19, v18, 0x7fff
	v_cndmask_b32_e64 v18, v19, v50, s4
	v_lshrrev_b32_e32 v19, 16, v18
	v_mul_f32_e32 v18, v44, v24
	v_bfe_u32 v24, v18, 16, 1
	v_or_b32_e32 v50, 0x400000, v18
	v_cmp_u_f32_e64 s4, v18, v18
	v_add3_u32 v24, v24, v18, 0x7fff
	v_cndmask_b32_e64 v18, v24, v50, s4
	v_lshrrev_b32_e32 v24, 16, v18
	v_mul_f32_e32 v18, v44, v23
	;; [unrolled: 7-line block ×3, first 2 shown]
	v_bfe_u32 v23, v18, 16, 1
	v_or_b32_e32 v50, 0x400000, v18
	v_cmp_u_f32_e64 s4, v18, v18
	v_add3_u32 v23, v23, v18, 0x7fff
	v_cndmask_b32_e64 v18, v23, v50, s4
	v_mul_f32_e32 v23, v44, v54
	v_lshrrev_b32_e32 v18, 16, v18
	v_bfe_u32 v50, v23, 16, 1
	v_or_b32_e32 v54, 0x400000, v23
	v_cmp_u_f32_e64 s4, v23, v23
	v_add3_u32 v50, v50, v23, 0x7fff
	v_cndmask_b32_e64 v23, v50, v54, s4
	v_lshrrev_b32_e32 v23, 16, v23
	s_and_saveexec_b32 s4, vcc_lo
	s_cbranch_execz .LBB356_808
; %bb.1602:                             ;   in Loop: Header=BB356_810 Depth=1
	v_cmp_lt_i32_e32 vcc_lo, v47, v96
	v_cndmask_b32_e32 v51, 0, v51, vcc_lo
	v_cmp_lt_i32_e32 vcc_lo, v62, v96
	v_cndmask_b32_e32 v24, 0, v24, vcc_lo
	;; [unrolled: 2-line block ×8, first 2 shown]
	s_branch .LBB356_808
.LBB356_1603:
	s_or_b32 exec_lo, exec_lo, s11
	s_load_dword s4, s[8:9], 0x0
	s_clause 0xc
	buffer_load_dword v19, off, s[0:3], s32 offset:308
	buffer_load_dword v18, off, s[0:3], s32 offset:316
	buffer_load_dword v21, off, s[0:3], s32 offset:240
	buffer_load_dword v22, off, s[0:3], s32 offset:244
	buffer_load_dword v23, off, s[0:3], s32 offset:248
	buffer_load_dword v24, off, s[0:3], s32 offset:252
	buffer_load_dword v25, off, s[0:3], s32 offset:256
	buffer_load_dword v6, off, s[0:3], s32 offset:260
	buffer_load_dword v7, off, s[0:3], s32 offset:264
	buffer_load_dword v26, off, s[0:3], s32 offset:268
	buffer_load_dword v9, off, s[0:3], s32 offset:272
	buffer_load_dword v10, off, s[0:3], s32 offset:276
	buffer_load_dword v20, off, s[0:3], s32 offset:280
	s_waitcnt lgkmcnt(0)
	v_mov_b32_e32 v12, s4
.LBB356_1604:
	s_or_b32 exec_lo, exec_lo, s7
	s_waitcnt vmcnt(1)
	ds_bpermute_b32 v0, v18, v10
	s_waitcnt vmcnt(0)
	ds_bpermute_b32 v1, v18, v20
	ds_bpermute_b32 v3, v18, v26
	;; [unrolled: 1-line block ×11, first 2 shown]
	s_mov_b32 s4, exec_lo
	s_waitcnt lgkmcnt(11)
	v_add_f32_e32 v11, v10, v0
	s_waitcnt lgkmcnt(10)
	v_add_f32_e32 v10, v20, v1
	v_mov_b32_e32 v20, v8
	s_waitcnt lgkmcnt(9)
	v_add_f32_e32 v8, v26, v3
	s_waitcnt lgkmcnt(8)
	v_add_f32_e32 v3, v23, v15
	s_clause 0x1
	buffer_load_dword v1, off, s[0:3], s32 offset:396
	buffer_load_dword v15, off, s[0:3], s32 offset:444
	s_waitcnt lgkmcnt(6)
	v_add_f32_e32 v7, v7, v4
	s_waitcnt lgkmcnt(3)
	v_add_f32_e32 v4, v24, v14
	v_lshrrev_b32_e32 v14, 1, v19
	v_add_f32_e32 v9, v9, v2
	v_add_f32_e32 v6, v6, v5
	;; [unrolled: 1-line block ×3, first 2 shown]
	s_waitcnt lgkmcnt(2)
	v_add_f32_e32 v0, v22, v16
	s_waitcnt lgkmcnt(1)
	v_add_f32_e32 v2, v21, v17
	v_lshl_add_u32 v13, v14, 2, v12
	s_waitcnt vmcnt(0) lgkmcnt(0)
	s_waitcnt_vscnt null, 0x0
	s_barrier
	buffer_gl0_inv
	v_and_b32_e32 v16, 0x3c1, v1
	v_add_f32_e32 v1, v20, v18
	v_mul_u32_u24_e32 v15, 0x300, v15
	v_cmpx_eq_u32_e32 64, v16
	s_cbranch_execz .LBB356_1606
; %bb.1605:
	v_add_nc_u32_e32 v16, v13, v15
	v_add_nc_u32_e32 v17, 0xfffffa00, v16
	;; [unrolled: 1-line block ×8, first 2 shown]
	ds_write_b32 v17, v11
	ds_write_b32 v18, v10
	;; [unrolled: 1-line block ×7, first 2 shown]
	v_add_nc_u32_e32 v17, 0xfffffbc0, v16
	v_add_nc_u32_e32 v18, 0xfffffc00, v16
	;; [unrolled: 1-line block ×5, first 2 shown]
	ds_write_b32 v17, v4
	ds_write_b32 v18, v3
	;; [unrolled: 1-line block ×5, first 2 shown]
.LBB356_1606:
	s_or_b32 exec_lo, exec_lo, s4
	v_lshlrev_b32_e32 v14, 2, v14
	buffer_load_dword v16, off, s[0:3], s32 offset:448 ; 4-byte Folded Reload
	s_mov_b32 s7, exec_lo
	v_add3_u32 v12, v12, v15, v14
	buffer_load_dword v14, off, s[0:3], s32 offset:396 ; 4-byte Folded Reload
	s_waitcnt vmcnt(0) lgkmcnt(0)
	s_barrier
	buffer_gl0_inv
	v_cmp_eq_u32_e32 vcc_lo, 0, v16
	v_cmpx_gt_u32_e32 64, v14
	s_cbranch_execz .LBB356_1621
; %bb.1607:
	s_and_saveexec_b32 s4, vcc_lo
	s_cbranch_execnz .LBB356_1641
; %bb.1608:
	s_or_b32 exec_lo, exec_lo, s4
	s_and_saveexec_b32 s4, vcc_lo
	s_cbranch_execnz .LBB356_1642
.LBB356_1609:
	s_or_b32 exec_lo, exec_lo, s4
	s_and_saveexec_b32 s4, vcc_lo
	s_cbranch_execnz .LBB356_1643
.LBB356_1610:
	s_or_b32 exec_lo, exec_lo, s4
	s_and_saveexec_b32 s4, vcc_lo
	s_cbranch_execnz .LBB356_1644
.LBB356_1611:
	s_or_b32 exec_lo, exec_lo, s4
	s_and_saveexec_b32 s4, vcc_lo
	s_cbranch_execnz .LBB356_1645
.LBB356_1612:
	s_or_b32 exec_lo, exec_lo, s4
	s_and_saveexec_b32 s4, vcc_lo
	s_cbranch_execnz .LBB356_1646
.LBB356_1613:
	s_or_b32 exec_lo, exec_lo, s4
	s_and_saveexec_b32 s4, vcc_lo
	s_cbranch_execnz .LBB356_1647
.LBB356_1614:
	s_or_b32 exec_lo, exec_lo, s4
	s_and_saveexec_b32 s4, vcc_lo
	s_cbranch_execnz .LBB356_1648
.LBB356_1615:
	s_or_b32 exec_lo, exec_lo, s4
	s_and_saveexec_b32 s4, vcc_lo
	s_cbranch_execnz .LBB356_1649
.LBB356_1616:
	s_or_b32 exec_lo, exec_lo, s4
	s_and_saveexec_b32 s4, vcc_lo
	s_cbranch_execnz .LBB356_1650
.LBB356_1617:
	s_or_b32 exec_lo, exec_lo, s4
	s_and_saveexec_b32 s4, vcc_lo
	s_cbranch_execnz .LBB356_1651
.LBB356_1618:
	s_or_b32 exec_lo, exec_lo, s4
	s_and_saveexec_b32 s4, vcc_lo
	s_cbranch_execz .LBB356_1620
.LBB356_1619:
	ds_read_b32 v14, v12 offset:704
	s_waitcnt lgkmcnt(0)
	v_add_f32_e32 v1, v14, v1
.LBB356_1620:
	s_or_b32 exec_lo, exec_lo, s4
.LBB356_1621:
	s_or_b32 exec_lo, exec_lo, s7
	buffer_load_dword v14, off, s[0:3], s32 offset:396 ; 4-byte Folded Reload
	s_mov_b32 s7, exec_lo
	s_waitcnt vmcnt(0)
	s_barrier
	buffer_gl0_inv
	v_and_b32_e32 v14, 0x3e1, v14
	v_cmpx_eq_u32_e32 32, v14
	s_cbranch_execz .LBB356_1623
; %bb.1622:
	ds_write2_b32 v13, v11, v10 offset1:16
	ds_write2_b32 v13, v9, v8 offset0:32 offset1:48
	ds_write2_b32 v13, v7, v6 offset0:64 offset1:80
	ds_write2_b32 v13, v5, v4 offset0:96 offset1:112
	ds_write2_b32 v13, v3, v0 offset0:128 offset1:144
	ds_write2_b32 v13, v2, v1 offset0:160 offset1:176
.LBB356_1623:
	s_or_b32 exec_lo, exec_lo, s7
	buffer_load_dword v13, off, s[0:3], s32 offset:396 ; 4-byte Folded Reload
	s_mov_b32 s7, exec_lo
	s_waitcnt vmcnt(0) lgkmcnt(0)
	s_barrier
	buffer_gl0_inv
	v_cmpx_gt_u32_e32 32, v13
	s_cbranch_execz .LBB356_1638
; %bb.1624:
	s_and_saveexec_b32 s4, vcc_lo
	s_cbranch_execnz .LBB356_1652
; %bb.1625:
	s_or_b32 exec_lo, exec_lo, s4
	s_and_saveexec_b32 s4, vcc_lo
	s_cbranch_execnz .LBB356_1653
.LBB356_1626:
	s_or_b32 exec_lo, exec_lo, s4
	s_and_saveexec_b32 s4, vcc_lo
	s_cbranch_execnz .LBB356_1654
.LBB356_1627:
	s_or_b32 exec_lo, exec_lo, s4
	s_and_saveexec_b32 s4, vcc_lo
	s_cbranch_execnz .LBB356_1655
.LBB356_1628:
	s_or_b32 exec_lo, exec_lo, s4
	s_and_saveexec_b32 s4, vcc_lo
	s_cbranch_execnz .LBB356_1656
.LBB356_1629:
	s_or_b32 exec_lo, exec_lo, s4
	s_and_saveexec_b32 s4, vcc_lo
	s_cbranch_execnz .LBB356_1657
.LBB356_1630:
	s_or_b32 exec_lo, exec_lo, s4
	s_and_saveexec_b32 s4, vcc_lo
	s_cbranch_execnz .LBB356_1658
.LBB356_1631:
	s_or_b32 exec_lo, exec_lo, s4
	s_and_saveexec_b32 s4, vcc_lo
	s_cbranch_execnz .LBB356_1659
.LBB356_1632:
	s_or_b32 exec_lo, exec_lo, s4
	s_and_saveexec_b32 s4, vcc_lo
	s_cbranch_execnz .LBB356_1660
.LBB356_1633:
	s_or_b32 exec_lo, exec_lo, s4
	s_and_saveexec_b32 s4, vcc_lo
	s_cbranch_execnz .LBB356_1661
.LBB356_1634:
	s_or_b32 exec_lo, exec_lo, s4
	s_and_saveexec_b32 s4, vcc_lo
	s_cbranch_execnz .LBB356_1662
.LBB356_1635:
	s_or_b32 exec_lo, exec_lo, s4
	s_and_saveexec_b32 s4, vcc_lo
	s_cbranch_execz .LBB356_1637
.LBB356_1636:
	ds_read_b32 v12, v12 offset:704
	s_waitcnt lgkmcnt(0)
	v_add_f32_e32 v1, v12, v1
.LBB356_1637:
	s_or_b32 exec_lo, exec_lo, s4
.LBB356_1638:
	s_or_b32 exec_lo, exec_lo, s7
	v_cmp_eq_u32_e32 vcc_lo, 0, v14
	s_barrier
	buffer_gl0_inv
	s_and_b32 exec_lo, exec_lo, vcc_lo
	s_cbranch_execz .LBB356_1640
; %bb.1639:
	s_clause 0x2
	buffer_load_dword v12, off, s[0:3], s32 offset:456
	buffer_load_dword v14, off, s[0:3], s32 offset:460
	;; [unrolled: 1-line block ×3, first 2 shown]
	s_mulk_i32 s6, 0xc0
	s_mul_i32 s4, s10, s5
	s_ashr_i32 s7, s6, 31
	s_ashr_i32 s5, s4, 31
	s_lshl_b64 s[6:7], s[6:7], 1
	s_lshl_b64 s[4:5], s[4:5], 1
	v_bfe_u32 v15, v11, 16, 1
	v_or_b32_e32 v16, 0x400000, v11
	v_add3_u32 v15, v15, v11, 0x7fff
	s_waitcnt vmcnt(2)
	v_add_co_u32 v12, vcc_lo, v12, s6
	s_waitcnt vmcnt(0)
	v_add_co_ci_u32_e64 v13, null, s7, v13, vcc_lo
	s_mul_i32 s6, s14, 0xc0
	v_add_co_u32 v12, vcc_lo, v12, s4
	s_ashr_i32 s7, s6, 31
	v_add_co_ci_u32_e64 v13, null, s5, v13, vcc_lo
	s_lshl_b64 s[4:5], s[6:7], 1
	v_lshlrev_b32_e32 v14, 1, v14
	v_add_co_u32 v12, vcc_lo, v12, s4
	v_add_co_ci_u32_e64 v13, null, s5, v13, vcc_lo
	v_add_co_u32 v12, vcc_lo, v12, v14
	v_add_co_ci_u32_e64 v13, null, 0, v13, vcc_lo
	v_bfe_u32 v14, v10, 16, 1
	v_cmp_u_f32_e32 vcc_lo, v11, v11
	v_add3_u32 v14, v14, v10, 0x7fff
	v_cndmask_b32_e32 v11, v15, v16, vcc_lo
	v_bfe_u32 v15, v9, 16, 1
	v_or_b32_e32 v16, 0x400000, v10
	v_cmp_u_f32_e32 vcc_lo, v10, v10
	flat_store_short_d16_hi v[12:13], v11
	v_add3_u32 v11, v15, v9, 0x7fff
	v_or_b32_e32 v15, 0x400000, v9
	v_cndmask_b32_e32 v10, v14, v16, vcc_lo
	v_bfe_u32 v14, v8, 16, 1
	v_cmp_u_f32_e32 vcc_lo, v9, v9
	flat_store_short_d16_hi v[12:13], v10 offset:32
	v_add3_u32 v10, v14, v8, 0x7fff
	v_cndmask_b32_e32 v9, v11, v15, vcc_lo
	v_bfe_u32 v11, v7, 16, 1
	v_or_b32_e32 v14, 0x400000, v8
	v_cmp_u_f32_e32 vcc_lo, v8, v8
	flat_store_short_d16_hi v[12:13], v9 offset:64
	v_add3_u32 v9, v11, v7, 0x7fff
	v_or_b32_e32 v11, 0x400000, v7
	v_cndmask_b32_e32 v8, v10, v14, vcc_lo
	v_bfe_u32 v10, v6, 16, 1
	v_cmp_u_f32_e32 vcc_lo, v7, v7
	flat_store_short_d16_hi v[12:13], v8 offset:96
	v_add3_u32 v8, v10, v6, 0x7fff
	v_cndmask_b32_e32 v7, v9, v11, vcc_lo
	v_bfe_u32 v9, v5, 16, 1
	v_or_b32_e32 v10, 0x400000, v6
	v_cmp_u_f32_e32 vcc_lo, v6, v6
	flat_store_short_d16_hi v[12:13], v7 offset:128
	v_add3_u32 v7, v9, v5, 0x7fff
	v_or_b32_e32 v9, 0x400000, v5
	v_cndmask_b32_e32 v6, v8, v10, vcc_lo
	v_bfe_u32 v8, v4, 16, 1
	v_cmp_u_f32_e32 vcc_lo, v5, v5
	v_or_b32_e32 v10, 0x400000, v1
	flat_store_short_d16_hi v[12:13], v6 offset:160
	v_add3_u32 v6, v8, v4, 0x7fff
	v_cndmask_b32_e32 v5, v7, v9, vcc_lo
	v_bfe_u32 v7, v3, 16, 1
	v_or_b32_e32 v8, 0x400000, v4
	v_cmp_u_f32_e32 vcc_lo, v4, v4
	v_or_b32_e32 v9, 0x400000, v2
	flat_store_short_d16_hi v[12:13], v5 offset:192
	v_add3_u32 v5, v7, v3, 0x7fff
	v_or_b32_e32 v7, 0x400000, v3
	v_cndmask_b32_e32 v4, v6, v8, vcc_lo
	v_bfe_u32 v6, v0, 16, 1
	v_cmp_u_f32_e32 vcc_lo, v3, v3
	v_bfe_u32 v8, v2, 16, 1
	v_add3_u32 v6, v6, v0, 0x7fff
	v_cndmask_b32_e32 v3, v5, v7, vcc_lo
	v_or_b32_e32 v7, 0x400000, v0
	v_cmp_u_f32_e32 vcc_lo, v0, v0
	v_bfe_u32 v5, v1, 16, 1
	v_add3_u32 v8, v8, v2, 0x7fff
	v_cndmask_b32_e32 v0, v6, v7, vcc_lo
	v_cmp_u_f32_e32 vcc_lo, v2, v2
	v_add3_u32 v5, v5, v1, 0x7fff
	v_cndmask_b32_e32 v2, v8, v9, vcc_lo
	v_cmp_u_f32_e32 vcc_lo, v1, v1
	v_cndmask_b32_e32 v1, v5, v10, vcc_lo
	flat_store_short_d16_hi v[12:13], v4 offset:224
	flat_store_short_d16_hi v[12:13], v3 offset:256
	;; [unrolled: 1-line block ×5, first 2 shown]
.LBB356_1640:
	s_or_b32 exec_lo, exec_lo, s19
	s_clause 0x2f
	buffer_load_dword v127, off, s[0:3], s32 offset:8
	buffer_load_dword v126, off, s[0:3], s32 offset:12
	buffer_load_dword v125, off, s[0:3], s32 offset:16
	buffer_load_dword v124, off, s[0:3], s32 offset:20
	buffer_load_dword v123, off, s[0:3], s32 offset:24
	buffer_load_dword v122, off, s[0:3], s32 offset:28
	buffer_load_dword v121, off, s[0:3], s32 offset:32
	buffer_load_dword v120, off, s[0:3], s32 offset:36
	buffer_load_dword v111, off, s[0:3], s32 offset:40
	buffer_load_dword v110, off, s[0:3], s32 offset:44
	buffer_load_dword v109, off, s[0:3], s32 offset:48
	buffer_load_dword v108, off, s[0:3], s32 offset:52
	buffer_load_dword v107, off, s[0:3], s32 offset:56
	buffer_load_dword v106, off, s[0:3], s32 offset:60
	buffer_load_dword v105, off, s[0:3], s32 offset:64
	buffer_load_dword v104, off, s[0:3], s32 offset:68
	buffer_load_dword v95, off, s[0:3], s32 offset:72
	buffer_load_dword v94, off, s[0:3], s32 offset:76
	buffer_load_dword v93, off, s[0:3], s32 offset:80
	buffer_load_dword v92, off, s[0:3], s32 offset:84
	buffer_load_dword v91, off, s[0:3], s32 offset:88
	buffer_load_dword v90, off, s[0:3], s32 offset:92
	buffer_load_dword v89, off, s[0:3], s32 offset:96
	buffer_load_dword v88, off, s[0:3], s32 offset:100
	buffer_load_dword v79, off, s[0:3], s32 offset:104
	buffer_load_dword v78, off, s[0:3], s32 offset:108
	buffer_load_dword v77, off, s[0:3], s32 offset:112
	buffer_load_dword v76, off, s[0:3], s32 offset:116
	buffer_load_dword v75, off, s[0:3], s32 offset:120
	buffer_load_dword v74, off, s[0:3], s32 offset:124
	buffer_load_dword v73, off, s[0:3], s32 offset:128
	buffer_load_dword v72, off, s[0:3], s32 offset:132
	buffer_load_dword v63, off, s[0:3], s32 offset:136
	buffer_load_dword v62, off, s[0:3], s32 offset:140
	buffer_load_dword v61, off, s[0:3], s32 offset:144
	buffer_load_dword v60, off, s[0:3], s32 offset:148
	buffer_load_dword v59, off, s[0:3], s32 offset:152
	buffer_load_dword v58, off, s[0:3], s32 offset:156
	buffer_load_dword v57, off, s[0:3], s32 offset:160
	buffer_load_dword v56, off, s[0:3], s32 offset:164
	buffer_load_dword v47, off, s[0:3], s32 offset:168
	buffer_load_dword v46, off, s[0:3], s32 offset:172
	buffer_load_dword v45, off, s[0:3], s32 offset:176
	buffer_load_dword v44, off, s[0:3], s32 offset:180
	buffer_load_dword v43, off, s[0:3], s32 offset:184
	buffer_load_dword v42, off, s[0:3], s32 offset:188
	buffer_load_dword v41, off, s[0:3], s32 offset:192
	buffer_load_dword v40, off, s[0:3], s32 offset:196
	s_waitcnt vmcnt(0) lgkmcnt(0)
	s_setpc_b64 s[30:31]
.LBB356_1641:
	ds_read_b32 v14, v12
	s_waitcnt lgkmcnt(0)
	v_add_f32_e32 v11, v14, v11
	s_or_b32 exec_lo, exec_lo, s4
	s_and_saveexec_b32 s4, vcc_lo
	s_cbranch_execz .LBB356_1609
.LBB356_1642:
	ds_read_b32 v14, v12 offset:64
	s_waitcnt lgkmcnt(0)
	v_add_f32_e32 v10, v14, v10
	s_or_b32 exec_lo, exec_lo, s4
	s_and_saveexec_b32 s4, vcc_lo
	s_cbranch_execz .LBB356_1610
.LBB356_1643:
	ds_read_b32 v14, v12 offset:128
	s_waitcnt lgkmcnt(0)
	v_add_f32_e32 v9, v14, v9
	s_or_b32 exec_lo, exec_lo, s4
	s_and_saveexec_b32 s4, vcc_lo
	s_cbranch_execz .LBB356_1611
.LBB356_1644:
	ds_read_b32 v14, v12 offset:192
	s_waitcnt lgkmcnt(0)
	v_add_f32_e32 v8, v14, v8
	s_or_b32 exec_lo, exec_lo, s4
	s_and_saveexec_b32 s4, vcc_lo
	s_cbranch_execz .LBB356_1612
.LBB356_1645:
	ds_read_b32 v14, v12 offset:256
	s_waitcnt lgkmcnt(0)
	v_add_f32_e32 v7, v14, v7
	s_or_b32 exec_lo, exec_lo, s4
	s_and_saveexec_b32 s4, vcc_lo
	s_cbranch_execz .LBB356_1613
.LBB356_1646:
	ds_read_b32 v14, v12 offset:320
	s_waitcnt lgkmcnt(0)
	v_add_f32_e32 v6, v14, v6
	s_or_b32 exec_lo, exec_lo, s4
	s_and_saveexec_b32 s4, vcc_lo
	s_cbranch_execz .LBB356_1614
.LBB356_1647:
	ds_read_b32 v14, v12 offset:384
	s_waitcnt lgkmcnt(0)
	v_add_f32_e32 v5, v14, v5
	s_or_b32 exec_lo, exec_lo, s4
	s_and_saveexec_b32 s4, vcc_lo
	s_cbranch_execz .LBB356_1615
.LBB356_1648:
	ds_read_b32 v14, v12 offset:448
	s_waitcnt lgkmcnt(0)
	v_add_f32_e32 v4, v14, v4
	s_or_b32 exec_lo, exec_lo, s4
	s_and_saveexec_b32 s4, vcc_lo
	s_cbranch_execz .LBB356_1616
.LBB356_1649:
	ds_read_b32 v14, v12 offset:512
	s_waitcnt lgkmcnt(0)
	v_add_f32_e32 v3, v14, v3
	s_or_b32 exec_lo, exec_lo, s4
	s_and_saveexec_b32 s4, vcc_lo
	s_cbranch_execz .LBB356_1617
.LBB356_1650:
	ds_read_b32 v14, v12 offset:576
	s_waitcnt lgkmcnt(0)
	v_add_f32_e32 v0, v14, v0
	s_or_b32 exec_lo, exec_lo, s4
	s_and_saveexec_b32 s4, vcc_lo
	s_cbranch_execz .LBB356_1618
.LBB356_1651:
	ds_read_b32 v14, v12 offset:640
	s_waitcnt lgkmcnt(0)
	v_add_f32_e32 v2, v14, v2
	s_or_b32 exec_lo, exec_lo, s4
	s_and_saveexec_b32 s4, vcc_lo
	s_cbranch_execnz .LBB356_1619
	s_branch .LBB356_1620
.LBB356_1652:
	ds_read_b32 v13, v12
	s_waitcnt lgkmcnt(0)
	v_add_f32_e32 v11, v13, v11
	s_or_b32 exec_lo, exec_lo, s4
	s_and_saveexec_b32 s4, vcc_lo
	s_cbranch_execz .LBB356_1626
.LBB356_1653:
	ds_read_b32 v13, v12 offset:64
	s_waitcnt lgkmcnt(0)
	v_add_f32_e32 v10, v13, v10
	s_or_b32 exec_lo, exec_lo, s4
	s_and_saveexec_b32 s4, vcc_lo
	s_cbranch_execz .LBB356_1627
.LBB356_1654:
	ds_read_b32 v13, v12 offset:128
	s_waitcnt lgkmcnt(0)
	v_add_f32_e32 v9, v13, v9
	s_or_b32 exec_lo, exec_lo, s4
	s_and_saveexec_b32 s4, vcc_lo
	s_cbranch_execz .LBB356_1628
.LBB356_1655:
	ds_read_b32 v13, v12 offset:192
	s_waitcnt lgkmcnt(0)
	v_add_f32_e32 v8, v13, v8
	s_or_b32 exec_lo, exec_lo, s4
	s_and_saveexec_b32 s4, vcc_lo
	s_cbranch_execz .LBB356_1629
.LBB356_1656:
	ds_read_b32 v13, v12 offset:256
	s_waitcnt lgkmcnt(0)
	v_add_f32_e32 v7, v13, v7
	s_or_b32 exec_lo, exec_lo, s4
	s_and_saveexec_b32 s4, vcc_lo
	s_cbranch_execz .LBB356_1630
.LBB356_1657:
	ds_read_b32 v13, v12 offset:320
	s_waitcnt lgkmcnt(0)
	v_add_f32_e32 v6, v13, v6
	s_or_b32 exec_lo, exec_lo, s4
	s_and_saveexec_b32 s4, vcc_lo
	s_cbranch_execz .LBB356_1631
.LBB356_1658:
	ds_read_b32 v13, v12 offset:384
	s_waitcnt lgkmcnt(0)
	v_add_f32_e32 v5, v13, v5
	s_or_b32 exec_lo, exec_lo, s4
	s_and_saveexec_b32 s4, vcc_lo
	s_cbranch_execz .LBB356_1632
.LBB356_1659:
	ds_read_b32 v13, v12 offset:448
	s_waitcnt lgkmcnt(0)
	v_add_f32_e32 v4, v13, v4
	s_or_b32 exec_lo, exec_lo, s4
	s_and_saveexec_b32 s4, vcc_lo
	s_cbranch_execz .LBB356_1633
.LBB356_1660:
	ds_read_b32 v13, v12 offset:512
	s_waitcnt lgkmcnt(0)
	v_add_f32_e32 v3, v13, v3
	s_or_b32 exec_lo, exec_lo, s4
	s_and_saveexec_b32 s4, vcc_lo
	s_cbranch_execz .LBB356_1634
.LBB356_1661:
	ds_read_b32 v13, v12 offset:576
	s_waitcnt lgkmcnt(0)
	v_add_f32_e32 v0, v13, v0
	s_or_b32 exec_lo, exec_lo, s4
	s_and_saveexec_b32 s4, vcc_lo
	s_cbranch_execz .LBB356_1635
.LBB356_1662:
	ds_read_b32 v13, v12 offset:640
	s_waitcnt lgkmcnt(0)
	v_add_f32_e32 v2, v13, v2
	s_or_b32 exec_lo, exec_lo, s4
	s_and_saveexec_b32 s4, vcc_lo
	s_cbranch_execnz .LBB356_1636
	s_branch .LBB356_1637
.Lfunc_end356:
	.size	_ZN4vllm22paged_attention_kernelI14__hip_bfloat16hLi192ELi16ELi128ELNS_18Fp8KVCacheDataTypeE1ELb1ELi512EEEvPfS3_PT_PKS4_PKT0_SA_ifPKiSC_iPKfiiiSE_SE_iiiii, .Lfunc_end356-_ZN4vllm22paged_attention_kernelI14__hip_bfloat16hLi192ELi16ELi128ELNS_18Fp8KVCacheDataTypeE1ELb1ELi512EEEvPfS3_PT_PKS4_PKT0_SA_ifPKiSC_iPKfiiiSE_SE_iiiii
                                        ; -- End function
	.set .L_ZN4vllm22paged_attention_kernelI14__hip_bfloat16hLi192ELi16ELi128ELNS_18Fp8KVCacheDataTypeE1ELb1ELi512EEEvPfS3_PT_PKS4_PKT0_SA_ifPKiSC_iPKfiiiSE_SE_iiiii.num_vgpr, 128
	.set .L_ZN4vllm22paged_attention_kernelI14__hip_bfloat16hLi192ELi16ELi128ELNS_18Fp8KVCacheDataTypeE1ELb1ELi512EEEvPfS3_PT_PKS4_PKT0_SA_ifPKiSC_iPKfiiiSE_SE_iiiii.num_agpr, 0
	.set .L_ZN4vllm22paged_attention_kernelI14__hip_bfloat16hLi192ELi16ELi128ELNS_18Fp8KVCacheDataTypeE1ELb1ELi512EEEvPfS3_PT_PKS4_PKT0_SA_ifPKiSC_iPKfiiiSE_SE_iiiii.numbered_sgpr, 33
	.set .L_ZN4vllm22paged_attention_kernelI14__hip_bfloat16hLi192ELi16ELi128ELNS_18Fp8KVCacheDataTypeE1ELb1ELi512EEEvPfS3_PT_PKS4_PKT0_SA_ifPKiSC_iPKfiiiSE_SE_iiiii.num_named_barrier, 0
	.set .L_ZN4vllm22paged_attention_kernelI14__hip_bfloat16hLi192ELi16ELi128ELNS_18Fp8KVCacheDataTypeE1ELb1ELi512EEEvPfS3_PT_PKS4_PKT0_SA_ifPKiSC_iPKfiiiSE_SE_iiiii.private_seg_size, 536
	.set .L_ZN4vllm22paged_attention_kernelI14__hip_bfloat16hLi192ELi16ELi128ELNS_18Fp8KVCacheDataTypeE1ELb1ELi512EEEvPfS3_PT_PKS4_PKT0_SA_ifPKiSC_iPKfiiiSE_SE_iiiii.uses_vcc, 1
	.set .L_ZN4vllm22paged_attention_kernelI14__hip_bfloat16hLi192ELi16ELi128ELNS_18Fp8KVCacheDataTypeE1ELb1ELi512EEEvPfS3_PT_PKS4_PKT0_SA_ifPKiSC_iPKfiiiSE_SE_iiiii.uses_flat_scratch, 0
	.set .L_ZN4vllm22paged_attention_kernelI14__hip_bfloat16hLi192ELi16ELi128ELNS_18Fp8KVCacheDataTypeE1ELb1ELi512EEEvPfS3_PT_PKS4_PKT0_SA_ifPKiSC_iPKfiiiSE_SE_iiiii.has_dyn_sized_stack, 0
	.set .L_ZN4vllm22paged_attention_kernelI14__hip_bfloat16hLi192ELi16ELi128ELNS_18Fp8KVCacheDataTypeE1ELb1ELi512EEEvPfS3_PT_PKS4_PKT0_SA_ifPKiSC_iPKfiiiSE_SE_iiiii.has_recursion, 0
	.set .L_ZN4vllm22paged_attention_kernelI14__hip_bfloat16hLi192ELi16ELi128ELNS_18Fp8KVCacheDataTypeE1ELb1ELi512EEEvPfS3_PT_PKS4_PKT0_SA_ifPKiSC_iPKfiiiSE_SE_iiiii.has_indirect_call, 0
	.section	.AMDGPU.csdata,"",@progbits
; Function info:
; codeLenInByte = 65720
; TotalNumSgprs: 35
; NumVgprs: 128
; ScratchSize: 536
; MemoryBound: 0
	.section	.text._ZN4vllm25paged_attention_v2_kernelI14__hip_bfloat16hLi192ELi16ELi128ELNS_18Fp8KVCacheDataTypeE1ELb1ELi512EEEvPfS3_PT_PKS4_PKT0_SA_ifPKiSC_iPKfiiiSE_SE_iiiii,"axG",@progbits,_ZN4vllm25paged_attention_v2_kernelI14__hip_bfloat16hLi192ELi16ELi128ELNS_18Fp8KVCacheDataTypeE1ELb1ELi512EEEvPfS3_PT_PKS4_PKT0_SA_ifPKiSC_iPKfiiiSE_SE_iiiii,comdat
	.protected	_ZN4vllm25paged_attention_v2_kernelI14__hip_bfloat16hLi192ELi16ELi128ELNS_18Fp8KVCacheDataTypeE1ELb1ELi512EEEvPfS3_PT_PKS4_PKT0_SA_ifPKiSC_iPKfiiiSE_SE_iiiii ; -- Begin function _ZN4vllm25paged_attention_v2_kernelI14__hip_bfloat16hLi192ELi16ELi128ELNS_18Fp8KVCacheDataTypeE1ELb1ELi512EEEvPfS3_PT_PKS4_PKT0_SA_ifPKiSC_iPKfiiiSE_SE_iiiii
	.globl	_ZN4vllm25paged_attention_v2_kernelI14__hip_bfloat16hLi192ELi16ELi128ELNS_18Fp8KVCacheDataTypeE1ELb1ELi512EEEvPfS3_PT_PKS4_PKT0_SA_ifPKiSC_iPKfiiiSE_SE_iiiii
	.p2align	8
	.type	_ZN4vllm25paged_attention_v2_kernelI14__hip_bfloat16hLi192ELi16ELi128ELNS_18Fp8KVCacheDataTypeE1ELb1ELi512EEEvPfS3_PT_PKS4_PKT0_SA_ifPKiSC_iPKfiiiSE_SE_iiiii,@function
_ZN4vllm25paged_attention_v2_kernelI14__hip_bfloat16hLi192ELi16ELi128ELNS_18Fp8KVCacheDataTypeE1ELb1ELi512EEEvPfS3_PT_PKS4_PKT0_SA_ifPKiSC_iPKfiiiSE_SE_iiiii: ; @_ZN4vllm25paged_attention_v2_kernelI14__hip_bfloat16hLi192ELi16ELi128ELNS_18Fp8KVCacheDataTypeE1ELb1ELi512EEEvPfS3_PT_PKS4_PKT0_SA_ifPKiSC_iPKfiiiSE_SE_iiiii
; %bb.0:
	s_mov_b32 s14, s8
	s_clause 0x7
	s_load_dwordx4 s[36:39], s[4:5], 0x78
	s_load_dword s8, s[4:5], 0x88
	s_load_dwordx8 s[40:47], s[4:5], 0x0
	s_load_dwordx8 s[24:31], s[4:5], 0x20
	s_load_dwordx2 s[10:11], s[4:5], 0x40
	s_load_dwordx2 s[34:35], s[4:5], 0x50
	s_load_dword s13, s[4:5], 0x48
	s_load_dwordx8 s[16:23], s[4:5], 0x58
	s_add_u32 s0, s0, s9
	s_mov_b32 s32, 0
	s_addc_u32 s1, s1, 0
	v_mov_b32_e32 v31, v0
	s_mov_b32 s12, s6
	s_mov_b32 s15, 7
	s_waitcnt lgkmcnt(0)
	v_mov_b32_e32 v1, s39
	v_mov_b32_e32 v2, s8
	;; [unrolled: 1-line block ×4, first 2 shown]
	buffer_store_dword v1, off, s[0:3], s32
	buffer_store_dword v2, off, s[0:3], s32 offset:4
	v_mov_b32_e32 v1, s41
	v_mov_b32_e32 v2, s42
	;; [unrolled: 1-line block ×29, first 2 shown]
	s_add_u32 s8, s4, 0x90
	s_addc_u32 s9, s5, 0
	s_getpc_b64 s[4:5]
	s_add_u32 s4, s4, _ZN4vllm22paged_attention_kernelI14__hip_bfloat16hLi192ELi16ELi128ELNS_18Fp8KVCacheDataTypeE1ELb1ELi512EEEvPfS3_PT_PKS4_PKT0_SA_ifPKiSC_iPKfiiiSE_SE_iiiii@rel32@lo+4
	s_addc_u32 s5, s5, _ZN4vllm22paged_attention_kernelI14__hip_bfloat16hLi192ELi16ELi128ELNS_18Fp8KVCacheDataTypeE1ELb1ELi512EEEvPfS3_PT_PKS4_PKT0_SA_ifPKiSC_iPKfiiiSE_SE_iiiii@rel32@hi+12
	s_mov_b32 s13, s7
	s_swappc_b64 s[30:31], s[4:5]
	s_endpgm
	.section	.rodata,"a",@progbits
	.p2align	6, 0x0
	.amdhsa_kernel _ZN4vllm25paged_attention_v2_kernelI14__hip_bfloat16hLi192ELi16ELi128ELNS_18Fp8KVCacheDataTypeE1ELb1ELi512EEEvPfS3_PT_PKS4_PKT0_SA_ifPKiSC_iPKfiiiSE_SE_iiiii
		.amdhsa_group_segment_fixed_size 416
		.amdhsa_private_segment_fixed_size 536
		.amdhsa_kernarg_size 400
		.amdhsa_user_sgpr_count 6
		.amdhsa_user_sgpr_private_segment_buffer 1
		.amdhsa_user_sgpr_dispatch_ptr 0
		.amdhsa_user_sgpr_queue_ptr 0
		.amdhsa_user_sgpr_kernarg_segment_ptr 1
		.amdhsa_user_sgpr_dispatch_id 0
		.amdhsa_user_sgpr_flat_scratch_init 0
		.amdhsa_user_sgpr_private_segment_size 0
		.amdhsa_wavefront_size32 1
		.amdhsa_uses_dynamic_stack 0
		.amdhsa_system_sgpr_private_segment_wavefront_offset 1
		.amdhsa_system_sgpr_workgroup_id_x 1
		.amdhsa_system_sgpr_workgroup_id_y 1
		.amdhsa_system_sgpr_workgroup_id_z 1
		.amdhsa_system_sgpr_workgroup_info 0
		.amdhsa_system_vgpr_workitem_id 0
		.amdhsa_next_free_vgpr 128
		.amdhsa_next_free_sgpr 48
		.amdhsa_reserve_vcc 1
		.amdhsa_reserve_flat_scratch 0
		.amdhsa_float_round_mode_32 0
		.amdhsa_float_round_mode_16_64 0
		.amdhsa_float_denorm_mode_32 3
		.amdhsa_float_denorm_mode_16_64 3
		.amdhsa_dx10_clamp 1
		.amdhsa_ieee_mode 1
		.amdhsa_fp16_overflow 0
		.amdhsa_workgroup_processor_mode 1
		.amdhsa_memory_ordered 1
		.amdhsa_forward_progress 1
		.amdhsa_shared_vgpr_count 0
		.amdhsa_exception_fp_ieee_invalid_op 0
		.amdhsa_exception_fp_denorm_src 0
		.amdhsa_exception_fp_ieee_div_zero 0
		.amdhsa_exception_fp_ieee_overflow 0
		.amdhsa_exception_fp_ieee_underflow 0
		.amdhsa_exception_fp_ieee_inexact 0
		.amdhsa_exception_int_div_zero 0
	.end_amdhsa_kernel
	.section	.text._ZN4vllm25paged_attention_v2_kernelI14__hip_bfloat16hLi192ELi16ELi128ELNS_18Fp8KVCacheDataTypeE1ELb1ELi512EEEvPfS3_PT_PKS4_PKT0_SA_ifPKiSC_iPKfiiiSE_SE_iiiii,"axG",@progbits,_ZN4vllm25paged_attention_v2_kernelI14__hip_bfloat16hLi192ELi16ELi128ELNS_18Fp8KVCacheDataTypeE1ELb1ELi512EEEvPfS3_PT_PKS4_PKT0_SA_ifPKiSC_iPKfiiiSE_SE_iiiii,comdat
.Lfunc_end357:
	.size	_ZN4vllm25paged_attention_v2_kernelI14__hip_bfloat16hLi192ELi16ELi128ELNS_18Fp8KVCacheDataTypeE1ELb1ELi512EEEvPfS3_PT_PKS4_PKT0_SA_ifPKiSC_iPKfiiiSE_SE_iiiii, .Lfunc_end357-_ZN4vllm25paged_attention_v2_kernelI14__hip_bfloat16hLi192ELi16ELi128ELNS_18Fp8KVCacheDataTypeE1ELb1ELi512EEEvPfS3_PT_PKS4_PKT0_SA_ifPKiSC_iPKfiiiSE_SE_iiiii
                                        ; -- End function
	.set _ZN4vllm25paged_attention_v2_kernelI14__hip_bfloat16hLi192ELi16ELi128ELNS_18Fp8KVCacheDataTypeE1ELb1ELi512EEEvPfS3_PT_PKS4_PKT0_SA_ifPKiSC_iPKfiiiSE_SE_iiiii.num_vgpr, max(32, .L_ZN4vllm22paged_attention_kernelI14__hip_bfloat16hLi192ELi16ELi128ELNS_18Fp8KVCacheDataTypeE1ELb1ELi512EEEvPfS3_PT_PKS4_PKT0_SA_ifPKiSC_iPKfiiiSE_SE_iiiii.num_vgpr)
	.set _ZN4vllm25paged_attention_v2_kernelI14__hip_bfloat16hLi192ELi16ELi128ELNS_18Fp8KVCacheDataTypeE1ELb1ELi512EEEvPfS3_PT_PKS4_PKT0_SA_ifPKiSC_iPKfiiiSE_SE_iiiii.num_agpr, max(0, .L_ZN4vllm22paged_attention_kernelI14__hip_bfloat16hLi192ELi16ELi128ELNS_18Fp8KVCacheDataTypeE1ELb1ELi512EEEvPfS3_PT_PKS4_PKT0_SA_ifPKiSC_iPKfiiiSE_SE_iiiii.num_agpr)
	.set _ZN4vllm25paged_attention_v2_kernelI14__hip_bfloat16hLi192ELi16ELi128ELNS_18Fp8KVCacheDataTypeE1ELb1ELi512EEEvPfS3_PT_PKS4_PKT0_SA_ifPKiSC_iPKfiiiSE_SE_iiiii.numbered_sgpr, max(48, .L_ZN4vllm22paged_attention_kernelI14__hip_bfloat16hLi192ELi16ELi128ELNS_18Fp8KVCacheDataTypeE1ELb1ELi512EEEvPfS3_PT_PKS4_PKT0_SA_ifPKiSC_iPKfiiiSE_SE_iiiii.numbered_sgpr)
	.set _ZN4vllm25paged_attention_v2_kernelI14__hip_bfloat16hLi192ELi16ELi128ELNS_18Fp8KVCacheDataTypeE1ELb1ELi512EEEvPfS3_PT_PKS4_PKT0_SA_ifPKiSC_iPKfiiiSE_SE_iiiii.num_named_barrier, max(0, .L_ZN4vllm22paged_attention_kernelI14__hip_bfloat16hLi192ELi16ELi128ELNS_18Fp8KVCacheDataTypeE1ELb1ELi512EEEvPfS3_PT_PKS4_PKT0_SA_ifPKiSC_iPKfiiiSE_SE_iiiii.num_named_barrier)
	.set _ZN4vllm25paged_attention_v2_kernelI14__hip_bfloat16hLi192ELi16ELi128ELNS_18Fp8KVCacheDataTypeE1ELb1ELi512EEEvPfS3_PT_PKS4_PKT0_SA_ifPKiSC_iPKfiiiSE_SE_iiiii.private_seg_size, 0+max(.L_ZN4vllm22paged_attention_kernelI14__hip_bfloat16hLi192ELi16ELi128ELNS_18Fp8KVCacheDataTypeE1ELb1ELi512EEEvPfS3_PT_PKS4_PKT0_SA_ifPKiSC_iPKfiiiSE_SE_iiiii.private_seg_size)
	.set _ZN4vllm25paged_attention_v2_kernelI14__hip_bfloat16hLi192ELi16ELi128ELNS_18Fp8KVCacheDataTypeE1ELb1ELi512EEEvPfS3_PT_PKS4_PKT0_SA_ifPKiSC_iPKfiiiSE_SE_iiiii.uses_vcc, or(1, .L_ZN4vllm22paged_attention_kernelI14__hip_bfloat16hLi192ELi16ELi128ELNS_18Fp8KVCacheDataTypeE1ELb1ELi512EEEvPfS3_PT_PKS4_PKT0_SA_ifPKiSC_iPKfiiiSE_SE_iiiii.uses_vcc)
	.set _ZN4vllm25paged_attention_v2_kernelI14__hip_bfloat16hLi192ELi16ELi128ELNS_18Fp8KVCacheDataTypeE1ELb1ELi512EEEvPfS3_PT_PKS4_PKT0_SA_ifPKiSC_iPKfiiiSE_SE_iiiii.uses_flat_scratch, or(0, .L_ZN4vllm22paged_attention_kernelI14__hip_bfloat16hLi192ELi16ELi128ELNS_18Fp8KVCacheDataTypeE1ELb1ELi512EEEvPfS3_PT_PKS4_PKT0_SA_ifPKiSC_iPKfiiiSE_SE_iiiii.uses_flat_scratch)
	.set _ZN4vllm25paged_attention_v2_kernelI14__hip_bfloat16hLi192ELi16ELi128ELNS_18Fp8KVCacheDataTypeE1ELb1ELi512EEEvPfS3_PT_PKS4_PKT0_SA_ifPKiSC_iPKfiiiSE_SE_iiiii.has_dyn_sized_stack, or(0, .L_ZN4vllm22paged_attention_kernelI14__hip_bfloat16hLi192ELi16ELi128ELNS_18Fp8KVCacheDataTypeE1ELb1ELi512EEEvPfS3_PT_PKS4_PKT0_SA_ifPKiSC_iPKfiiiSE_SE_iiiii.has_dyn_sized_stack)
	.set _ZN4vllm25paged_attention_v2_kernelI14__hip_bfloat16hLi192ELi16ELi128ELNS_18Fp8KVCacheDataTypeE1ELb1ELi512EEEvPfS3_PT_PKS4_PKT0_SA_ifPKiSC_iPKfiiiSE_SE_iiiii.has_recursion, or(0, .L_ZN4vllm22paged_attention_kernelI14__hip_bfloat16hLi192ELi16ELi128ELNS_18Fp8KVCacheDataTypeE1ELb1ELi512EEEvPfS3_PT_PKS4_PKT0_SA_ifPKiSC_iPKfiiiSE_SE_iiiii.has_recursion)
	.set _ZN4vllm25paged_attention_v2_kernelI14__hip_bfloat16hLi192ELi16ELi128ELNS_18Fp8KVCacheDataTypeE1ELb1ELi512EEEvPfS3_PT_PKS4_PKT0_SA_ifPKiSC_iPKfiiiSE_SE_iiiii.has_indirect_call, or(0, .L_ZN4vllm22paged_attention_kernelI14__hip_bfloat16hLi192ELi16ELi128ELNS_18Fp8KVCacheDataTypeE1ELb1ELi512EEEvPfS3_PT_PKS4_PKT0_SA_ifPKiSC_iPKfiiiSE_SE_iiiii.has_indirect_call)
	.section	.AMDGPU.csdata,"",@progbits
; Kernel info:
; codeLenInByte = 292
; TotalNumSgprs: 50
; NumVgprs: 128
; ScratchSize: 536
; MemoryBound: 0
; FloatMode: 240
; IeeeMode: 1
; LDSByteSize: 416 bytes/workgroup (compile time only)
; SGPRBlocks: 0
; VGPRBlocks: 15
; NumSGPRsForWavesPerEU: 50
; NumVGPRsForWavesPerEU: 128
; Occupancy: 8
; WaveLimiterHint : 1
; COMPUTE_PGM_RSRC2:SCRATCH_EN: 1
; COMPUTE_PGM_RSRC2:USER_SGPR: 6
; COMPUTE_PGM_RSRC2:TRAP_HANDLER: 0
; COMPUTE_PGM_RSRC2:TGID_X_EN: 1
; COMPUTE_PGM_RSRC2:TGID_Y_EN: 1
; COMPUTE_PGM_RSRC2:TGID_Z_EN: 1
; COMPUTE_PGM_RSRC2:TIDIG_COMP_CNT: 0
	.text
	.p2align	2                               ; -- Begin function _ZN4vllm22paged_attention_kernelI14__hip_bfloat16hLi256ELi16ELi128ELNS_18Fp8KVCacheDataTypeE1ELb1ELi512EEEvPfS3_PT_PKS4_PKT0_SA_ifPKiSC_iPKfiiiSE_SE_iiiii
	.type	_ZN4vllm22paged_attention_kernelI14__hip_bfloat16hLi256ELi16ELi128ELNS_18Fp8KVCacheDataTypeE1ELb1ELi512EEEvPfS3_PT_PKS4_PKT0_SA_ifPKiSC_iPKfiiiSE_SE_iiiii,@function
_ZN4vllm22paged_attention_kernelI14__hip_bfloat16hLi256ELi16ELi128ELNS_18Fp8KVCacheDataTypeE1ELb1ELi512EEEvPfS3_PT_PKS4_PKT0_SA_ifPKiSC_iPKfiiiSE_SE_iiiii: ; @_ZN4vllm22paged_attention_kernelI14__hip_bfloat16hLi256ELi16ELi128ELNS_18Fp8KVCacheDataTypeE1ELb1ELi512EEEvPfS3_PT_PKS4_PKT0_SA_ifPKiSC_iPKfiiiSE_SE_iiiii
; %bb.0:
	s_waitcnt vmcnt(0) expcnt(0) lgkmcnt(0)
	buffer_store_dword v40, off, s[0:3], s32 offset:196 ; 4-byte Folded Spill
	buffer_store_dword v41, off, s[0:3], s32 offset:192 ; 4-byte Folded Spill
	buffer_store_dword v42, off, s[0:3], s32 offset:188 ; 4-byte Folded Spill
	buffer_store_dword v43, off, s[0:3], s32 offset:184 ; 4-byte Folded Spill
	buffer_store_dword v44, off, s[0:3], s32 offset:180 ; 4-byte Folded Spill
	buffer_store_dword v45, off, s[0:3], s32 offset:176 ; 4-byte Folded Spill
	buffer_store_dword v46, off, s[0:3], s32 offset:172 ; 4-byte Folded Spill
	buffer_store_dword v47, off, s[0:3], s32 offset:168 ; 4-byte Folded Spill
	buffer_store_dword v56, off, s[0:3], s32 offset:164 ; 4-byte Folded Spill
	buffer_store_dword v57, off, s[0:3], s32 offset:160 ; 4-byte Folded Spill
	buffer_store_dword v58, off, s[0:3], s32 offset:156 ; 4-byte Folded Spill
	buffer_store_dword v59, off, s[0:3], s32 offset:152 ; 4-byte Folded Spill
	buffer_store_dword v60, off, s[0:3], s32 offset:148 ; 4-byte Folded Spill
	buffer_store_dword v61, off, s[0:3], s32 offset:144 ; 4-byte Folded Spill
	buffer_store_dword v62, off, s[0:3], s32 offset:140 ; 4-byte Folded Spill
	buffer_store_dword v63, off, s[0:3], s32 offset:136 ; 4-byte Folded Spill
	buffer_store_dword v72, off, s[0:3], s32 offset:132 ; 4-byte Folded Spill
	buffer_store_dword v73, off, s[0:3], s32 offset:128 ; 4-byte Folded Spill
	buffer_store_dword v74, off, s[0:3], s32 offset:124 ; 4-byte Folded Spill
	buffer_store_dword v75, off, s[0:3], s32 offset:120 ; 4-byte Folded Spill
	buffer_store_dword v76, off, s[0:3], s32 offset:116 ; 4-byte Folded Spill
	buffer_store_dword v77, off, s[0:3], s32 offset:112 ; 4-byte Folded Spill
	buffer_store_dword v78, off, s[0:3], s32 offset:108 ; 4-byte Folded Spill
	buffer_store_dword v79, off, s[0:3], s32 offset:104 ; 4-byte Folded Spill
	buffer_store_dword v88, off, s[0:3], s32 offset:100 ; 4-byte Folded Spill
	buffer_store_dword v89, off, s[0:3], s32 offset:96 ; 4-byte Folded Spill
	buffer_store_dword v90, off, s[0:3], s32 offset:92 ; 4-byte Folded Spill
	buffer_store_dword v91, off, s[0:3], s32 offset:88 ; 4-byte Folded Spill
	buffer_store_dword v92, off, s[0:3], s32 offset:84 ; 4-byte Folded Spill
	buffer_store_dword v93, off, s[0:3], s32 offset:80 ; 4-byte Folded Spill
	buffer_store_dword v94, off, s[0:3], s32 offset:76 ; 4-byte Folded Spill
	buffer_store_dword v95, off, s[0:3], s32 offset:72 ; 4-byte Folded Spill
	buffer_store_dword v104, off, s[0:3], s32 offset:68 ; 4-byte Folded Spill
	buffer_store_dword v105, off, s[0:3], s32 offset:64 ; 4-byte Folded Spill
	buffer_store_dword v106, off, s[0:3], s32 offset:60 ; 4-byte Folded Spill
	buffer_store_dword v107, off, s[0:3], s32 offset:56 ; 4-byte Folded Spill
	buffer_store_dword v108, off, s[0:3], s32 offset:52 ; 4-byte Folded Spill
	buffer_store_dword v109, off, s[0:3], s32 offset:48 ; 4-byte Folded Spill
	buffer_store_dword v110, off, s[0:3], s32 offset:44 ; 4-byte Folded Spill
	buffer_store_dword v111, off, s[0:3], s32 offset:40 ; 4-byte Folded Spill
	buffer_store_dword v120, off, s[0:3], s32 offset:36 ; 4-byte Folded Spill
	buffer_store_dword v121, off, s[0:3], s32 offset:32 ; 4-byte Folded Spill
	buffer_store_dword v122, off, s[0:3], s32 offset:28 ; 4-byte Folded Spill
	buffer_store_dword v123, off, s[0:3], s32 offset:24 ; 4-byte Folded Spill
	buffer_store_dword v124, off, s[0:3], s32 offset:20 ; 4-byte Folded Spill
	buffer_store_dword v125, off, s[0:3], s32 offset:16 ; 4-byte Folded Spill
	buffer_store_dword v126, off, s[0:3], s32 offset:12 ; 4-byte Folded Spill
	buffer_store_dword v127, off, s[0:3], s32 offset:8 ; 4-byte Folded Spill
	s_mov_b32 s18, s13
	s_ashr_i32 s19, s13, 31
	buffer_store_dword v26, off, s[0:3], s32 offset:524 ; 4-byte Folded Spill
	buffer_store_dword v27, off, s[0:3], s32 offset:528 ; 4-byte Folded Spill
	buffer_store_dword v24, off, s[0:3], s32 offset:532 ; 4-byte Folded Spill
	buffer_store_dword v25, off, s[0:3], s32 offset:536 ; 4-byte Folded Spill
	buffer_store_dword v22, off, s[0:3], s32 offset:476 ; 4-byte Folded Spill
	buffer_store_dword v13, off, s[0:3], s32 offset:552 ; 4-byte Folded Spill
	s_lshl_b64 s[4:5], s[18:19], 2
	v_mov_b32_e32 v24, v0
	v_add_co_u32 v0, vcc_lo, v16, s4
	v_mov_b32_e32 v22, v1
	v_add_co_ci_u32_e64 v1, null, s5, v17, vcc_lo
	v_mov_b32_e32 v27, v5
	v_mov_b32_e32 v33, v4
	;; [unrolled: 1-line block ×3, first 2 shown]
	flat_load_dword v96, v[0:1]
	s_clause 0x1
	buffer_load_dword v0, off, s[0:3], s32 offset:4
	buffer_load_dword v1, off, s[0:3], s32
	v_mov_b32_e32 v34, v2
	s_lshl_b32 s22, s14, 9
	s_mov_b32 s19, exec_lo
	s_waitcnt vmcnt(2) lgkmcnt(0)
	v_cmpx_lt_i32_e64 s22, v96
	s_cbranch_execz .LBB358_2168
; %bb.1:
	v_sub_nc_u32_e32 v2, 0, v12
	s_clause 0x1
	s_load_dword s4, s[8:9], 0x10
	s_load_dword s5, s[8:9], 0x0
	s_mov_b32 s16, s15
	v_max_i32_e32 v2, v12, v2
	v_cvt_f32_u32_e32 v3, v2
	v_sub_nc_u32_e32 v4, 0, v2
	v_rcp_iflag_f32_e32 v3, v3
	s_waitcnt lgkmcnt(0)
	s_lshr_b32 s4, s4, 16
	s_cmp_lg_u32 s4, 0
	s_cselect_b32 s4, -1, 0
	v_mul_f32_e32 v3, 0x4f7ffffe, v3
	s_cmp_lg_u32 s4, 0
	s_addc_u32 s15, s5, 0
	s_abs_i32 s5, s12
	v_cvt_u32_f32_e32 v3, v3
	s_abs_i32 s4, s15
	v_mul_lo_u32 v4, v4, v3
	v_mul_hi_u32 v4, v3, v4
	v_add_nc_u32_e32 v3, v3, v4
	v_mul_hi_u32 v3, s4, v3
	v_mul_lo_u32 v4, v3, v2
	v_add_nc_u32_e32 v5, 1, v3
	v_sub_nc_u32_e32 v4, s4, v4
	s_mov_b32 s4, exec_lo
	v_sub_nc_u32_e32 v13, v4, v2
	v_cmp_ge_u32_e32 vcc_lo, v4, v2
	v_cndmask_b32_e32 v3, v3, v5, vcc_lo
	v_cndmask_b32_e32 v4, v4, v13, vcc_lo
	v_xor_b32_e32 v5, s15, v12
	v_add_nc_u32_e32 v13, 1, v3
	v_cmp_ge_u32_e32 vcc_lo, v4, v2
	v_ashrrev_i32_e32 v5, 31, v5
	v_cndmask_b32_e32 v2, v3, v13, vcc_lo
	v_xor_b32_e32 v2, v2, v5
	v_sub_nc_u32_e32 v3, v2, v5
	v_sub_nc_u32_e32 v2, 0, v3
	v_max_i32_e32 v2, v3, v2
	v_cvt_f32_u32_e32 v4, v2
	v_sub_nc_u32_e32 v5, 0, v2
	v_rcp_iflag_f32_e32 v4, v4
	v_mul_f32_e32 v4, 0x4f7ffffe, v4
	v_cvt_u32_f32_e32 v4, v4
	v_mul_lo_u32 v5, v5, v4
	v_mul_hi_u32 v5, v4, v5
	v_add_nc_u32_e32 v4, v4, v5
	v_mad_u64_u32 v[16:17], null, s5, v4, 0
	v_mov_b32_e32 v4, 0
	buffer_store_dword v4, off, s[0:3], s32 offset:556 ; 4-byte Folded Spill
	v_cmpx_ne_u64_e32 0, v[19:20]
	s_cbranch_execz .LBB358_3
; %bb.2:
	s_ashr_i32 s13, s12, 31
	s_lshl_b64 s[6:7], s[12:13], 2
	v_add_co_u32 v4, vcc_lo, v19, s6
	v_add_co_ci_u32_e64 v5, null, s7, v20, vcc_lo
	flat_load_dword v4, v[4:5]
	s_waitcnt vmcnt(0) lgkmcnt(0)
	buffer_store_dword v4, off, s[0:3], s32 offset:556 ; 4-byte Folded Spill
.LBB358_3:
	s_or_b32 exec_lo, exec_lo, s4
	v_and_b32_e32 v32, 0x3ff, v31
	v_ashrrev_i32_e32 v3, 31, v3
	v_bfe_u32 v4, v31, 1, 9
	v_and_b32_e32 v31, 1, v31
	s_ashr_i32 s6, s12, 31
	v_cmp_gt_u32_e64 s4, 64, v32
	v_lshlrev_b32_e32 v19, 3, v32
	s_lshl_b32 s10, s12, 8
	buffer_store_dword v4, off, s[0:3], s32 offset:576 ; 4-byte Folded Spill
	s_and_saveexec_b32 s7, s4
	s_cbranch_execz .LBB358_5
; %bb.4:
	v_mul_lo_u32 v4, v21, s18
	s_ashr_i32 s11, s10, 31
	s_lshl_b64 s[20:21], s[10:11], 1
	v_ashrrev_i32_e32 v5, 31, v4
	v_lshlrev_b64 v[4:5], 1, v[4:5]
	v_add_co_u32 v4, vcc_lo, v6, v4
	v_add_co_ci_u32_e64 v5, null, v7, v5, vcc_lo
	buffer_load_dword v6, off, s[0:3], s32 offset:576 ; 4-byte Folded Reload
	v_add_co_u32 v4, vcc_lo, v4, s20
	v_add_co_ci_u32_e64 v5, null, s21, v5, vcc_lo
	v_add_co_u32 v4, vcc_lo, v4, v19
	v_add_co_ci_u32_e64 v5, null, 0, v5, vcc_lo
	flat_load_dwordx2 v[4:5], v[4:5]
	s_waitcnt vmcnt(1)
	v_lshlrev_b32_e32 v6, 3, v6
	v_lshl_add_u32 v6, v31, 8, v6
	s_waitcnt vmcnt(0) lgkmcnt(0)
	ds_write_b64 v6, v[4:5]
.LBB358_5:
	s_or_b32 exec_lo, exec_lo, s7
	s_waitcnt vmcnt(0)
	v_sub_nc_u32_e32 v4, 0, v1
	v_mul_lo_u32 v5, v17, v2
	v_add_nc_u32_e32 v7, 1, v17
	v_xor_b32_e32 v3, s6, v3
	v_max_i32_e32 v97, v1, v4
	v_sub_nc_u32_e32 v5, s5, v5
	v_cvt_f32_u32_e32 v4, v97
	s_mov_b32 s5, exec_lo
	v_sub_nc_u32_e32 v16, v5, v2
	v_rcp_iflag_f32_e32 v4, v4
	v_cmp_ge_u32_e32 vcc_lo, v5, v2
	v_cndmask_b32_e32 v7, v17, v7, vcc_lo
	v_cndmask_b32_e32 v5, v5, v16, vcc_lo
	v_mul_f32_e32 v4, 0x4f7ffffe, v4
	v_add_nc_u32_e32 v17, 1, v7
	v_cmp_ge_u32_e32 vcc_lo, v5, v2
	v_cvt_u32_f32_e32 v6, v4
	v_sub_nc_u32_e32 v4, 0, v97
	v_cndmask_b32_e32 v5, v7, v17, vcc_lo
	v_mul_lo_u32 v13, v4, v6
	v_add_nc_u32_e32 v4, -1, v96
	v_xor_b32_e32 v5, v5, v3
	v_mul_hi_u32 v16, v6, v13
	v_sub_nc_u32_e32 v13, 0, v4
	v_max_i32_e32 v2, v4, v13
	v_add_nc_u32_e32 v6, v6, v16
	buffer_store_dword v6, off, s[0:3], s32 offset:232 ; 4-byte Folded Spill
	v_mad_u64_u32 v[6:7], null, v2, v6, 0
	v_sub_nc_u32_e32 v6, v5, v3
                                        ; implicit-def: $vgpr3
	s_waitcnt lgkmcnt(0)
	s_waitcnt_vscnt null, 0x0
	s_barrier
	buffer_gl0_inv
	buffer_store_dword v3, off, s[0:3], s32 offset:216 ; 4-byte Folded Spill
	buffer_store_dword v4, off, s[0:3], s32 offset:220 ; 4-byte Folded Spill
	v_cmpx_gt_i32_e32 0, v0
	s_xor_b32 s5, exec_lo, s5
	s_cbranch_execz .LBB358_7
; %bb.6:
	v_mad_u64_u32 v[12:13], null, v28, v12, v[6:7]
                                        ; implicit-def: $vgpr28
	v_mul_lo_u32 v0, v12, v0
	v_sub_nc_u32_e32 v0, 1, v0
	buffer_store_dword v0, off, s[0:3], s32 offset:216 ; 4-byte Folded Spill
	buffer_store_dword v1, off, s[0:3], s32 offset:220 ; 4-byte Folded Spill
                                        ; implicit-def: $vgpr0
.LBB358_7:
	s_or_saveexec_b32 s5, s5
	v_ashrrev_i32_e32 v3, 31, v4
	v_ashrrev_i32_e32 v1, 31, v1
	buffer_store_dword v1, off, s[0:3], s32 offset:224 ; 4-byte Folded Spill
	s_xor_b32 exec_lo, exec_lo, s5
	s_cbranch_execz .LBB358_9
; %bb.8:
	v_mad_u64_u32 v[4:5], null, s15, v28, s[12:13]
	v_mad_u64_u32 v[0:1], null, v4, v0, 1
	buffer_store_dword v0, off, s[0:3], s32 offset:216 ; 4-byte Folded Spill
	buffer_store_dword v1, off, s[0:3], s32 offset:220 ; 4-byte Folded Spill
.LBB358_9:
	s_or_b32 exec_lo, exec_lo, s5
	v_mul_lo_u32 v0, v7, v97
	v_add_nc_u32_e32 v4, 1, v7
	s_clause 0x1
	s_load_dword s13, s[8:9], 0x14
	s_load_dword s9, s[8:9], 0x8
	v_add_nc_u32_e32 v1, 15, v96
	v_lshrrev_b32_e32 v25, 5, v32
	s_lshl_b32 s11, s14, 5
	v_mul_lo_u32 v20, v6, v23
	s_add_i32 s5, s11, 32
	v_sub_nc_u32_e32 v2, v2, v0
	v_ashrrev_i32_e32 v5, 31, v1
	v_mul_lo_u32 v0, v18, s18
	v_sub_nc_u32_e32 v23, 0, v30
	v_cmp_ge_u32_e32 vcc_lo, v2, v97
	v_sub_nc_u32_e32 v12, v2, v97
	v_lshrrev_b32_e32 v5, 28, v5
	v_ashrrev_i32_e32 v35, 31, v20
	v_cndmask_b32_e32 v4, v7, v4, vcc_lo
	buffer_load_dword v7, off, s[0:3], s32 offset:224 ; 4-byte Folded Reload
	v_cndmask_b32_e32 v2, v2, v12, vcc_lo
	v_add_nc_u32_e32 v1, v1, v5
	v_mov_b32_e32 v12, 0xff7fffff
	v_cmp_ge_u32_e32 vcc_lo, v2, v97
	v_ashrrev_i32_e32 v21, 4, v1
	v_lshl_add_u32 v1, v25, 4, s22
	v_min_i32_e32 v6, s5, v21
	buffer_store_dword v1, off, s[0:3], s32 offset:592 ; 4-byte Folded Spill
	v_ashrrev_i32_e32 v1, 31, v0
	v_lshlrev_b64 v[17:18], 2, v[0:1]
	s_waitcnt vmcnt(0)
	v_xor_b32_e32 v3, v3, v7
	v_add_nc_u32_e32 v7, 1, v4
	v_cndmask_b32_e32 v2, v4, v7, vcc_lo
	v_or_b32_e32 v4, s11, v25
	v_xor_b32_e32 v2, v2, v3
	v_ashrrev_i32_e32 v5, 31, v4
	buffer_store_dword v4, off, s[0:3], s32 offset:208 ; 4-byte Folded Spill
	buffer_store_dword v5, off, s[0:3], s32 offset:212 ; 4-byte Folded Spill
	buffer_store_dword v6, off, s[0:3], s32 offset:228 ; 4-byte Folded Spill
	v_sub_nc_u32_e32 v2, v2, v3
	v_sub_nc_u32_e32 v0, v2, v29
	buffer_store_dword v0, off, s[0:3], s32 offset:236 ; 4-byte Folded Spill
	v_cmp_lt_i32_e64 s5, v4, v6
	s_mov_b32 s23, exec_lo
	s_and_b32 s6, s23, s5
	buffer_store_dword v27, off, s[0:3], s32 offset:568 ; 4-byte Folded Spill
	buffer_store_dword v33, off, s[0:3], s32 offset:572 ; 4-byte Folded Spill
	;; [unrolled: 1-line block ×5, first 2 shown]
	s_mov_b32 exec_lo, s6
	s_cbranch_execz .LBB358_1045
; %bb.10:
	v_max_i32_e32 v5, v30, v23
	v_add_co_u32 v3, s6, v8, v20
	buffer_store_dword v97, off, s[0:3], s32 offset:480 ; 4-byte Folded Spill
	buffer_store_dword v21, off, s[0:3], s32 offset:648 ; 4-byte Folded Spill
	;; [unrolled: 1-line block ×12, first 2 shown]
	v_cvt_f32_u32_e32 v0, v5
	buffer_store_dword v35, off, s[0:3], s32 offset:656 ; 4-byte Folded Spill
	v_add_co_ci_u32_e64 v4, null, v9, v35, s6
	v_lshlrev_b32_e32 v7, 2, v31
	v_rcp_iflag_f32_e32 v2, v0
	v_lshlrev_b32_e32 v0, 8, v31
	v_bfe_u32 v11, v32, 1, 4
	s_ashr_i32 s17, s16, 31
	s_getpc_b64 s[20:21]
	s_add_u32 s20, s20, llvm.amdgcn.dynlds.offset.table@rel32@lo+4
	s_addc_u32 s21, s21, llvm.amdgcn.dynlds.offset.table@rel32@hi+12
	s_lshl_b64 s[24:25], s[16:17], 2
	buffer_store_dword v0, off, s[0:3], s32 offset:492 ; 4-byte Folded Spill
	s_clause 0x2
	buffer_load_dword v0, off, s[0:3], s32 offset:556
	buffer_load_dword v9, off, s[0:3], s32 offset:208
	;; [unrolled: 1-line block ×3, first 2 shown]
	buffer_store_dword v7, off, s[0:3], s32 offset:200 ; 4-byte Folded Spill
	v_or_b32_e32 v7, 8, v7
	buffer_store_dword v5, off, s[0:3], s32 offset:484 ; 4-byte Folded Spill
	buffer_store_dword v11, off, s[0:3], s32 offset:560 ; 4-byte Folded Spill
	v_mul_f32_e32 v2, 0x4f7ffffe, v2
	v_sub_nc_u32_e32 v5, 0, v5
	buffer_store_dword v7, off, s[0:3], s32 offset:204 ; 4-byte Folded Spill
	v_lshlrev_b32_e32 v6, 4, v11
	s_add_u32 s20, s20, s24
	v_cvt_u32_f32_e32 v2, v2
	s_addc_u32 s21, s21, s25
	v_sub_nc_u32_e32 v8, v11, v96
	v_lshlrev_b32_e32 v7, 2, v11
	v_mov_b32_e32 v29, 0
	v_mul_lo_u32 v5, v5, v2
	v_lshl_add_u32 v40, v25, 4, s22
	v_mov_b32_e32 v42, 0x80
	v_lshl_or_b32 v45, v25, 6, v7
	v_mov_b32_e32 v56, 0xff
	s_mov_b32 s24, 0
	v_cmp_eq_u32_e32 vcc_lo, 0, v31
	v_mul_hi_u32 v5, v2, v5
	s_waitcnt vmcnt(2)
	v_cmp_neq_f32_e64 s6, 0, v0
	s_waitcnt vmcnt(0)
	v_lshlrev_b64 v[0:1], 2, v[9:10]
	v_mov_b32_e32 v59, v9
	v_add_co_u32 v0, s7, v17, v0
	buffer_store_dword v17, off, s[0:3], s32 offset:636 ; 4-byte Folded Spill
	buffer_store_dword v18, off, s[0:3], s32 offset:640 ; 4-byte Folded Spill
	s_load_dword s17, s[20:21], 0x0
	v_add_co_ci_u32_e64 v1, null, v18, v1, s7
	v_add_co_u32 v3, s7, v3, v6
	v_add_co_ci_u32_e64 v4, null, 0, v4, s7
	buffer_store_dword v3, off, s[0:3], s32 offset:544 ; 4-byte Folded Spill
	buffer_store_dword v4, off, s[0:3], s32 offset:548 ; 4-byte Folded Spill
	v_add_nc_u32_e32 v3, 1, v8
	v_add_co_u32 v70, s7, v14, v0
	v_add_nc_u32_e32 v0, v2, v5
	buffer_store_dword v3, off, s[0:3], s32 offset:564 ; 4-byte Folded Spill
	buffer_store_dword v14, off, s[0:3], s32 offset:600 ; 4-byte Folded Spill
	v_add_co_ci_u32_e64 v71, null, v15, v1, s7
	buffer_store_dword v0, off, s[0:3], s32 offset:488 ; 4-byte Folded Spill
	v_mov_b32_e32 v0, 0xff7fffff
	buffer_store_dword v15, off, s[0:3], s32 offset:596 ; 4-byte Folded Spill
	buffer_store_dword v0, off, s[0:3], s32 offset:540 ; 4-byte Folded Spill
	s_branch .LBB358_13
.LBB358_11:                             ;   in Loop: Header=BB358_13 Depth=1
	s_or_b32 exec_lo, exec_lo, s8
.LBB358_12:                             ;   in Loop: Header=BB358_13 Depth=1
	s_or_b32 exec_lo, exec_lo, s25
	buffer_load_dword v0, off, s[0:3], s32 offset:228 ; 4-byte Folded Reload
	v_add_nc_u32_e32 v59, 4, v59
	v_add_co_u32 v70, s8, v70, 16
	v_add_co_ci_u32_e64 v71, null, 0, v71, s8
	v_add_nc_u32_e32 v40, 64, v40
	v_add_nc_u32_e32 v45, 0x100, v45
	s_waitcnt vmcnt(0)
	v_cmp_ge_i32_e64 s7, v59, v0
	s_or_b32 s24, s7, s24
	s_andn2_b32 exec_lo, exec_lo, s24
	s_cbranch_execz .LBB358_1044
.LBB358_13:                             ; =>This Inner Loop Header: Depth=1
	s_waitcnt lgkmcnt(0)
	s_clause 0x2
	buffer_load_dword v1, off, s[0:3], s32 offset:232
	buffer_load_dword v5, off, s[0:3], s32 offset:480
	buffer_load_dword v4, off, s[0:3], s32 offset:224
	v_sub_nc_u32_e32 v0, 0, v40
	v_max_i32_e32 v0, v40, v0
	s_waitcnt vmcnt(2)
	v_mul_hi_u32 v1, v0, v1
	s_waitcnt vmcnt(1)
	v_mul_lo_u32 v2, v1, v5
	v_sub_nc_u32_e32 v0, v0, v2
	v_add_nc_u32_e32 v2, 1, v1
	v_sub_nc_u32_e32 v3, v0, v5
	v_cmp_ge_u32_e64 s7, v0, v5
	v_cndmask_b32_e64 v1, v1, v2, s7
	v_cndmask_b32_e64 v0, v0, v3, s7
	v_ashrrev_i32_e32 v2, 31, v40
	v_add_nc_u32_e32 v3, 1, v1
	v_cmp_ge_u32_e64 s7, v0, v5
	s_waitcnt vmcnt(0)
	v_xor_b32_e32 v2, v2, v4
	v_cndmask_b32_e64 v0, v1, v3, s7
	v_xor_b32_e32 v0, v0, v2
	v_sub_nc_u32_e32 v0, v0, v2
	s_clause 0x3
	buffer_load_dword v1, off, s[0:3], s32 offset:216
	buffer_load_dword v2, off, s[0:3], s32 offset:220
	;; [unrolled: 1-line block ×4, first 2 shown]
	s_waitcnt vmcnt(3)
	v_add_nc_u32_e32 v1, v0, v1
	s_waitcnt vmcnt(2)
	v_sub_nc_u32_e32 v2, 0, v1
	v_max_i32_e32 v2, v1, v2
	v_ashrrev_i32_e32 v1, 31, v1
	s_waitcnt vmcnt(1)
	v_mul_hi_u32 v3, v2, v3
	s_waitcnt vmcnt(0)
	v_mul_lo_u32 v3, v3, v4
	v_sub_nc_u32_e32 v2, v2, v3
	v_sub_nc_u32_e32 v3, v2, v4
	v_cmp_ge_u32_e64 s7, v2, v4
	v_cndmask_b32_e64 v2, v2, v3, s7
	v_sub_nc_u32_e32 v3, v2, v4
	v_cmp_ge_u32_e64 s7, v2, v4
	v_cndmask_b32_e64 v2, v2, v3, s7
	v_xor_b32_e32 v2, v2, v1
	v_sub_nc_u32_e32 v1, v2, v1
	v_cmp_ne_u32_e64 s7, 0, v1
	buffer_load_dword v1, off, s[0:3], s32 offset:236 ; 4-byte Folded Reload
	s_waitcnt vmcnt(0)
	v_cmp_le_i32_e64 s8, v0, v1
	s_and_b32 s7, s7, s8
	s_and_saveexec_b32 s8, s7
	s_xor_b32 s7, exec_lo, s8
	s_cbranch_execz .LBB358_17
; %bb.14:                               ;   in Loop: Header=BB358_13 Depth=1
	s_and_saveexec_b32 s8, vcc_lo
	s_cbranch_execz .LBB358_16
; %bb.15:                               ;   in Loop: Header=BB358_13 Depth=1
	s_waitcnt lgkmcnt(0)
	v_add_nc_u32_e32 v0, s17, v45
	v_mov_b32_e32 v1, 0xff7fffff
	ds_write_b32 v0, v1
.LBB358_16:                             ;   in Loop: Header=BB358_13 Depth=1
	s_or_b32 exec_lo, exec_lo, s8
.LBB358_17:                             ;   in Loop: Header=BB358_13 Depth=1
	s_andn2_saveexec_b32 s25, s7
	s_cbranch_execz .LBB358_12
; %bb.18:                               ;   in Loop: Header=BB358_13 Depth=1
	flat_load_dword v0, v[70:71]
	s_clause 0x2
	buffer_load_dword v1, off, s[0:3], s32 offset:476
	buffer_load_dword v2, off, s[0:3], s32 offset:544
	;; [unrolled: 1-line block ×3, first 2 shown]
	v_mov_b32_e32 v46, 0
	v_mov_b32_e32 v10, 0
	s_waitcnt vmcnt(0) lgkmcnt(0)
	v_mad_i64_i32 v[80:81], null, v0, v1, v[2:3]
	buffer_load_dword v0, off, s[0:3], s32 offset:200 ; 4-byte Folded Reload
	s_waitcnt vmcnt(0)
	v_add_co_u32 v82, s7, v80, v0
	v_add_co_ci_u32_e64 v83, null, 0, v81, s7
	flat_load_dword v0, v[82:83]
	s_clause 0x1
	buffer_load_dword v1, off, s[0:3], s32 offset:532
	buffer_load_dword v2, off, s[0:3], s32 offset:536
	s_waitcnt vmcnt(2) lgkmcnt(0)
	v_cmp_ne_u16_sdwa s7, v0, v29 src0_sel:BYTE_0 src1_sel:DWORD
	s_waitcnt vmcnt(0)
	flat_load_dword v60, v[1:2]
	buffer_load_dword v2, off, s[0:3], s32 offset:492 ; 4-byte Folded Reload
	s_waitcnt vmcnt(0)
	ds_read_b128 v[52:55], v2
	ds_read_b128 v[48:51], v2 offset:16
	ds_read_b128 v[35:38], v2 offset:32
	;; [unrolled: 1-line block ×5, first 2 shown]
	ds_read_b32 v1, v2 offset:96
	s_waitcnt lgkmcnt(0)
	buffer_store_dword v1, off, s[0:3], s32 offset:496 ; 4-byte Folded Spill
	ds_read_u16 v1, v2 offset:100
	s_waitcnt lgkmcnt(0)
	buffer_store_dword v1, off, s[0:3], s32 offset:500 ; 4-byte Folded Spill
	s_and_saveexec_b32 s8, s7
	s_cbranch_execz .LBB358_26
; %bb.19:                               ;   in Loop: Header=BB358_13 Depth=1
	v_cmp_ne_u16_sdwa s7, v0, v42 src0_sel:BYTE_0 src1_sel:DWORD
	v_bfrev_b32_e32 v10, 1
	s_and_saveexec_b32 s26, s7
	s_cbranch_execz .LBB358_25
; %bb.20:                               ;   in Loop: Header=BB358_13 Depth=1
	v_and_b32_e32 v2, 0x7f, v0
	v_mov_b32_e32 v10, 0x7f800001
	s_mov_b32 s27, exec_lo
	v_cmpx_ne_u32_e32 0x7f, v2
	s_cbranch_execz .LBB358_24
; %bb.21:                               ;   in Loop: Header=BB358_13 Depth=1
	v_and_b32_e32 v28, 7, v0
	v_mov_b32_e32 v85, v29
	v_lshrrev_b32_e32 v1, 3, v2
	s_mov_b32 s28, exec_lo
	v_mov_b32_e32 v84, v28
	v_cmpx_gt_u32_e32 8, v2
; %bb.22:                               ;   in Loop: Header=BB358_13 Depth=1
	v_ffbh_u32_e32 v1, v28
	v_min_u32_e32 v1, 32, v1
	v_subrev_nc_u32_e32 v2, 28, v1
	v_sub_nc_u32_e32 v1, 29, v1
	v_lshlrev_b64 v[2:3], v2, v[28:29]
	v_and_b32_e32 v84, 7, v2
; %bb.23:                               ;   in Loop: Header=BB358_13 Depth=1
	s_or_b32 exec_lo, exec_lo, s28
	v_lshlrev_b32_e32 v2, 24, v0
	v_lshlrev_b32_e32 v3, 20, v84
	v_lshl_add_u32 v1, v1, 23, 0x3c000000
	v_and_b32_e32 v2, 0x80000000, v2
	v_or3_b32 v10, v3, v2, v1
.LBB358_24:                             ;   in Loop: Header=BB358_13 Depth=1
	s_or_b32 exec_lo, exec_lo, s27
.LBB358_25:                             ;   in Loop: Header=BB358_13 Depth=1
	s_or_b32 exec_lo, exec_lo, s26
.LBB358_26:                             ;   in Loop: Header=BB358_13 Depth=1
	s_or_b32 exec_lo, exec_lo, s8
	v_cmp_ne_u16_sdwa s7, v0, v29 src0_sel:BYTE_1 src1_sel:DWORD
	s_and_saveexec_b32 s8, s7
	s_cbranch_execz .LBB358_34
; %bb.27:                               ;   in Loop: Header=BB358_13 Depth=1
	v_cmp_ne_u16_sdwa s7, v0, v42 src0_sel:BYTE_1 src1_sel:DWORD
	v_bfrev_b32_e32 v46, 1
	s_and_saveexec_b32 s26, s7
	s_cbranch_execz .LBB358_33
; %bb.28:                               ;   in Loop: Header=BB358_13 Depth=1
	v_mov_b32_e32 v1, 0xffff
	v_mov_b32_e32 v46, 0x7f800001
	s_mov_b32 s27, exec_lo
	v_and_b32_sdwa v1, v1, v0 dst_sel:DWORD dst_unused:UNUSED_PAD src0_sel:DWORD src1_sel:BYTE_1
	v_and_b32_e32 v2, 0x7f, v1
	v_cmpx_ne_u32_e32 0x7f, v2
	s_cbranch_execz .LBB358_32
; %bb.29:                               ;   in Loop: Header=BB358_13 Depth=1
	v_and_b32_e32 v28, 7, v1
	v_mov_b32_e32 v85, v29
	v_lshrrev_b32_e32 v1, 3, v2
	s_mov_b32 s28, exec_lo
	v_mov_b32_e32 v84, v28
	v_cmpx_gt_u32_e32 8, v2
; %bb.30:                               ;   in Loop: Header=BB358_13 Depth=1
	v_ffbh_u32_e32 v1, v28
	v_min_u32_e32 v1, 32, v1
	v_subrev_nc_u32_e32 v2, 28, v1
	v_sub_nc_u32_e32 v1, 29, v1
	v_lshlrev_b64 v[2:3], v2, v[28:29]
	v_and_b32_e32 v84, 7, v2
; %bb.31:                               ;   in Loop: Header=BB358_13 Depth=1
	s_or_b32 exec_lo, exec_lo, s28
	v_lshlrev_b32_e32 v2, 16, v0
	v_lshlrev_b32_e32 v3, 20, v84
	v_lshl_add_u32 v1, v1, 23, 0x3c000000
	v_and_b32_e32 v2, 0x80000000, v2
	v_or3_b32 v46, v3, v2, v1
.LBB358_32:                             ;   in Loop: Header=BB358_13 Depth=1
	s_or_b32 exec_lo, exec_lo, s27
.LBB358_33:                             ;   in Loop: Header=BB358_13 Depth=1
	s_or_b32 exec_lo, exec_lo, s26
.LBB358_34:                             ;   in Loop: Header=BB358_13 Depth=1
	s_or_b32 exec_lo, exec_lo, s8
	v_and_b32_sdwa v1, v0, v56 dst_sel:DWORD dst_unused:UNUSED_PAD src0_sel:WORD_1 src1_sel:DWORD
	v_mov_b32_e32 v11, 0
	v_mov_b32_e32 v21, 0
	s_mov_b32 s8, exec_lo
	v_cmpx_ne_u16_e32 0, v1
	s_cbranch_execz .LBB358_42
; %bb.35:                               ;   in Loop: Header=BB358_13 Depth=1
	v_bfrev_b32_e32 v21, 1
	s_mov_b32 s26, exec_lo
	v_cmpx_ne_u16_e32 0x80, v1
	s_cbranch_execz .LBB358_41
; %bb.36:                               ;   in Loop: Header=BB358_13 Depth=1
	v_bfe_u32 v2, v0, 16, 7
	v_mov_b32_e32 v21, 0x7f800001
	s_mov_b32 s27, exec_lo
	v_cmpx_ne_u32_e32 0x7f, v2
	s_cbranch_execz .LBB358_40
; %bb.37:                               ;   in Loop: Header=BB358_13 Depth=1
	v_mov_b32_e32 v1, 7
	s_mov_b32 s28, exec_lo
	v_and_b32_sdwa v28, v0, v1 dst_sel:DWORD dst_unused:UNUSED_PAD src0_sel:WORD_1 src1_sel:DWORD
	v_mov_b32_e32 v85, v29
	v_lshrrev_b32_e32 v1, 3, v2
	v_mov_b32_e32 v84, v28
	v_cmpx_gt_u32_e32 8, v2
; %bb.38:                               ;   in Loop: Header=BB358_13 Depth=1
	v_ffbh_u32_e32 v1, v28
	v_min_u32_e32 v1, 32, v1
	v_subrev_nc_u32_e32 v2, 28, v1
	v_sub_nc_u32_e32 v1, 29, v1
	v_lshlrev_b64 v[2:3], v2, v[28:29]
	v_and_b32_e32 v84, 7, v2
; %bb.39:                               ;   in Loop: Header=BB358_13 Depth=1
	s_or_b32 exec_lo, exec_lo, s28
	v_mov_b32_e32 v2, 24
	v_lshlrev_b32_e32 v3, 20, v84
	v_lshl_add_u32 v1, v1, 23, 0x3c000000
	v_lshlrev_b32_sdwa v2, v2, v0 dst_sel:DWORD dst_unused:UNUSED_PAD src0_sel:DWORD src1_sel:WORD_1
	v_and_b32_e32 v2, 0x80000000, v2
	v_or3_b32 v21, v3, v2, v1
.LBB358_40:                             ;   in Loop: Header=BB358_13 Depth=1
	s_or_b32 exec_lo, exec_lo, s27
.LBB358_41:                             ;   in Loop: Header=BB358_13 Depth=1
	s_or_b32 exec_lo, exec_lo, s26
.LBB358_42:                             ;   in Loop: Header=BB358_13 Depth=1
	s_or_b32 exec_lo, exec_lo, s8
	s_mov_b32 s8, exec_lo
	v_cmpx_lt_u32_e32 0xffffff, v0
	s_cbranch_execz .LBB358_50
; %bb.43:                               ;   in Loop: Header=BB358_13 Depth=1
	v_cmp_ne_u32_sdwa s7, v0, v42 src0_sel:BYTE_3 src1_sel:DWORD
	v_bfrev_b32_e32 v11, 1
	s_and_saveexec_b32 s26, s7
	s_cbranch_execz .LBB358_49
; %bb.44:                               ;   in Loop: Header=BB358_13 Depth=1
	v_bfe_u32 v2, v0, 24, 7
	v_mov_b32_e32 v11, 0x7f800001
	s_mov_b32 s27, exec_lo
	v_cmpx_ne_u32_e32 0x7f, v2
	s_cbranch_execz .LBB358_48
; %bb.45:                               ;   in Loop: Header=BB358_13 Depth=1
	v_mov_b32_e32 v1, 7
	s_mov_b32 s28, exec_lo
	v_and_b32_sdwa v28, v0, v1 dst_sel:DWORD dst_unused:UNUSED_PAD src0_sel:BYTE_3 src1_sel:DWORD
	v_mov_b32_e32 v85, v29
	v_lshrrev_b32_e32 v1, 3, v2
	v_mov_b32_e32 v84, v28
	v_cmpx_gt_u32_e32 8, v2
; %bb.46:                               ;   in Loop: Header=BB358_13 Depth=1
	v_ffbh_u32_e32 v1, v28
	v_min_u32_e32 v1, 32, v1
	v_subrev_nc_u32_e32 v2, 28, v1
	v_sub_nc_u32_e32 v1, 29, v1
	v_lshlrev_b64 v[2:3], v2, v[28:29]
	v_and_b32_e32 v84, 7, v2
; %bb.47:                               ;   in Loop: Header=BB358_13 Depth=1
	s_or_b32 exec_lo, exec_lo, s28
	v_mov_b32_e32 v2, 24
	v_lshl_add_u32 v1, v1, 23, 0x3c000000
	v_lshlrev_b32_sdwa v0, v2, v0 dst_sel:DWORD dst_unused:UNUSED_PAD src0_sel:DWORD src1_sel:BYTE_3
	v_lshlrev_b32_e32 v2, 20, v84
	v_and_b32_e32 v0, 0x80000000, v0
	v_or3_b32 v11, v2, v0, v1
.LBB358_48:                             ;   in Loop: Header=BB358_13 Depth=1
	s_or_b32 exec_lo, exec_lo, s27
.LBB358_49:                             ;   in Loop: Header=BB358_13 Depth=1
	s_or_b32 exec_lo, exec_lo, s26
.LBB358_50:                             ;   in Loop: Header=BB358_13 Depth=1
	s_or_b32 exec_lo, exec_lo, s8
	flat_load_dword v0, v[82:83] offset:8
	v_mov_b32_e32 v22, 0
	v_mov_b32_e32 v23, 0
	s_waitcnt vmcnt(0) lgkmcnt(0)
	v_cmp_ne_u16_sdwa s7, v0, v29 src0_sel:BYTE_0 src1_sel:DWORD
	s_and_saveexec_b32 s8, s7
	s_cbranch_execz .LBB358_58
; %bb.51:                               ;   in Loop: Header=BB358_13 Depth=1
	v_cmp_ne_u16_sdwa s7, v0, v42 src0_sel:BYTE_0 src1_sel:DWORD
	v_bfrev_b32_e32 v23, 1
	s_and_saveexec_b32 s26, s7
	s_cbranch_execz .LBB358_57
; %bb.52:                               ;   in Loop: Header=BB358_13 Depth=1
	v_and_b32_e32 v2, 0x7f, v0
	v_mov_b32_e32 v23, 0x7f800001
	s_mov_b32 s27, exec_lo
	v_cmpx_ne_u32_e32 0x7f, v2
	s_cbranch_execz .LBB358_56
; %bb.53:                               ;   in Loop: Header=BB358_13 Depth=1
	v_and_b32_e32 v28, 7, v0
	v_mov_b32_e32 v85, v29
	v_lshrrev_b32_e32 v1, 3, v2
	s_mov_b32 s28, exec_lo
	v_mov_b32_e32 v84, v28
	v_cmpx_gt_u32_e32 8, v2
; %bb.54:                               ;   in Loop: Header=BB358_13 Depth=1
	v_ffbh_u32_e32 v1, v28
	v_min_u32_e32 v1, 32, v1
	v_subrev_nc_u32_e32 v2, 28, v1
	v_sub_nc_u32_e32 v1, 29, v1
	v_lshlrev_b64 v[2:3], v2, v[28:29]
	v_and_b32_e32 v84, 7, v2
; %bb.55:                               ;   in Loop: Header=BB358_13 Depth=1
	s_or_b32 exec_lo, exec_lo, s28
	v_lshlrev_b32_e32 v2, 24, v0
	v_lshlrev_b32_e32 v3, 20, v84
	v_lshl_add_u32 v1, v1, 23, 0x3c000000
	v_and_b32_e32 v2, 0x80000000, v2
	v_or3_b32 v23, v3, v2, v1
.LBB358_56:                             ;   in Loop: Header=BB358_13 Depth=1
	s_or_b32 exec_lo, exec_lo, s27
.LBB358_57:                             ;   in Loop: Header=BB358_13 Depth=1
	s_or_b32 exec_lo, exec_lo, s26
.LBB358_58:                             ;   in Loop: Header=BB358_13 Depth=1
	s_or_b32 exec_lo, exec_lo, s8
	v_cmp_ne_u16_sdwa s7, v0, v29 src0_sel:BYTE_1 src1_sel:DWORD
	s_and_saveexec_b32 s8, s7
	s_cbranch_execz .LBB358_66
; %bb.59:                               ;   in Loop: Header=BB358_13 Depth=1
	v_cmp_ne_u16_sdwa s7, v0, v42 src0_sel:BYTE_1 src1_sel:DWORD
	v_bfrev_b32_e32 v22, 1
	s_and_saveexec_b32 s26, s7
	s_cbranch_execz .LBB358_65
; %bb.60:                               ;   in Loop: Header=BB358_13 Depth=1
	v_mov_b32_e32 v1, 0xffff
	v_mov_b32_e32 v22, 0x7f800001
	s_mov_b32 s27, exec_lo
	v_and_b32_sdwa v1, v1, v0 dst_sel:DWORD dst_unused:UNUSED_PAD src0_sel:DWORD src1_sel:BYTE_1
	v_and_b32_e32 v2, 0x7f, v1
	v_cmpx_ne_u32_e32 0x7f, v2
	s_cbranch_execz .LBB358_64
; %bb.61:                               ;   in Loop: Header=BB358_13 Depth=1
	v_and_b32_e32 v28, 7, v1
	v_mov_b32_e32 v85, v29
	v_lshrrev_b32_e32 v1, 3, v2
	s_mov_b32 s28, exec_lo
	v_mov_b32_e32 v84, v28
	v_cmpx_gt_u32_e32 8, v2
; %bb.62:                               ;   in Loop: Header=BB358_13 Depth=1
	v_ffbh_u32_e32 v1, v28
	v_min_u32_e32 v1, 32, v1
	v_subrev_nc_u32_e32 v2, 28, v1
	v_sub_nc_u32_e32 v1, 29, v1
	v_lshlrev_b64 v[2:3], v2, v[28:29]
	v_and_b32_e32 v84, 7, v2
; %bb.63:                               ;   in Loop: Header=BB358_13 Depth=1
	s_or_b32 exec_lo, exec_lo, s28
	v_lshlrev_b32_e32 v2, 16, v0
	v_lshlrev_b32_e32 v3, 20, v84
	v_lshl_add_u32 v1, v1, 23, 0x3c000000
	v_and_b32_e32 v2, 0x80000000, v2
	v_or3_b32 v22, v3, v2, v1
.LBB358_64:                             ;   in Loop: Header=BB358_13 Depth=1
	s_or_b32 exec_lo, exec_lo, s27
.LBB358_65:                             ;   in Loop: Header=BB358_13 Depth=1
	s_or_b32 exec_lo, exec_lo, s26
.LBB358_66:                             ;   in Loop: Header=BB358_13 Depth=1
	s_or_b32 exec_lo, exec_lo, s8
	v_and_b32_sdwa v1, v0, v56 dst_sel:DWORD dst_unused:UNUSED_PAD src0_sel:WORD_1 src1_sel:DWORD
	v_mov_b32_e32 v30, 0
	v_mov_b32_e32 v41, 0
	s_mov_b32 s8, exec_lo
	v_cmpx_ne_u16_e32 0, v1
	s_cbranch_execz .LBB358_74
; %bb.67:                               ;   in Loop: Header=BB358_13 Depth=1
	v_bfrev_b32_e32 v41, 1
	s_mov_b32 s26, exec_lo
	v_cmpx_ne_u16_e32 0x80, v1
	s_cbranch_execz .LBB358_73
; %bb.68:                               ;   in Loop: Header=BB358_13 Depth=1
	v_bfe_u32 v2, v0, 16, 7
	v_mov_b32_e32 v41, 0x7f800001
	s_mov_b32 s27, exec_lo
	v_cmpx_ne_u32_e32 0x7f, v2
	s_cbranch_execz .LBB358_72
; %bb.69:                               ;   in Loop: Header=BB358_13 Depth=1
	v_mov_b32_e32 v1, 7
	s_mov_b32 s28, exec_lo
	v_and_b32_sdwa v28, v0, v1 dst_sel:DWORD dst_unused:UNUSED_PAD src0_sel:WORD_1 src1_sel:DWORD
	v_mov_b32_e32 v85, v29
	v_lshrrev_b32_e32 v1, 3, v2
	v_mov_b32_e32 v84, v28
	v_cmpx_gt_u32_e32 8, v2
; %bb.70:                               ;   in Loop: Header=BB358_13 Depth=1
	v_ffbh_u32_e32 v1, v28
	v_min_u32_e32 v1, 32, v1
	v_subrev_nc_u32_e32 v2, 28, v1
	v_sub_nc_u32_e32 v1, 29, v1
	v_lshlrev_b64 v[2:3], v2, v[28:29]
	v_and_b32_e32 v84, 7, v2
; %bb.71:                               ;   in Loop: Header=BB358_13 Depth=1
	s_or_b32 exec_lo, exec_lo, s28
	v_mov_b32_e32 v2, 24
	v_lshlrev_b32_e32 v3, 20, v84
	v_lshl_add_u32 v1, v1, 23, 0x3c000000
	v_lshlrev_b32_sdwa v2, v2, v0 dst_sel:DWORD dst_unused:UNUSED_PAD src0_sel:DWORD src1_sel:WORD_1
	v_and_b32_e32 v2, 0x80000000, v2
	v_or3_b32 v41, v3, v2, v1
.LBB358_72:                             ;   in Loop: Header=BB358_13 Depth=1
	s_or_b32 exec_lo, exec_lo, s27
.LBB358_73:                             ;   in Loop: Header=BB358_13 Depth=1
	s_or_b32 exec_lo, exec_lo, s26
.LBB358_74:                             ;   in Loop: Header=BB358_13 Depth=1
	s_or_b32 exec_lo, exec_lo, s8
	s_mov_b32 s8, exec_lo
	v_cmpx_lt_u32_e32 0xffffff, v0
	s_cbranch_execz .LBB358_82
; %bb.75:                               ;   in Loop: Header=BB358_13 Depth=1
	v_cmp_ne_u32_sdwa s7, v0, v42 src0_sel:BYTE_3 src1_sel:DWORD
	v_bfrev_b32_e32 v30, 1
	s_and_saveexec_b32 s26, s7
	s_cbranch_execz .LBB358_81
; %bb.76:                               ;   in Loop: Header=BB358_13 Depth=1
	v_bfe_u32 v2, v0, 24, 7
	v_mov_b32_e32 v30, 0x7f800001
	s_mov_b32 s27, exec_lo
	v_cmpx_ne_u32_e32 0x7f, v2
	s_cbranch_execz .LBB358_80
; %bb.77:                               ;   in Loop: Header=BB358_13 Depth=1
	v_mov_b32_e32 v1, 7
	s_mov_b32 s28, exec_lo
	v_and_b32_sdwa v28, v0, v1 dst_sel:DWORD dst_unused:UNUSED_PAD src0_sel:BYTE_3 src1_sel:DWORD
	v_mov_b32_e32 v85, v29
	v_lshrrev_b32_e32 v1, 3, v2
	v_mov_b32_e32 v84, v28
	v_cmpx_gt_u32_e32 8, v2
; %bb.78:                               ;   in Loop: Header=BB358_13 Depth=1
	v_ffbh_u32_e32 v1, v28
	v_min_u32_e32 v1, 32, v1
	v_subrev_nc_u32_e32 v2, 28, v1
	v_sub_nc_u32_e32 v1, 29, v1
	v_lshlrev_b64 v[2:3], v2, v[28:29]
	v_and_b32_e32 v84, 7, v2
; %bb.79:                               ;   in Loop: Header=BB358_13 Depth=1
	s_or_b32 exec_lo, exec_lo, s28
	v_mov_b32_e32 v2, 24
	v_lshl_add_u32 v1, v1, 23, 0x3c000000
	v_lshlrev_b32_sdwa v0, v2, v0 dst_sel:DWORD dst_unused:UNUSED_PAD src0_sel:DWORD src1_sel:BYTE_3
	v_lshlrev_b32_e32 v2, 20, v84
	v_and_b32_e32 v0, 0x80000000, v0
	v_or3_b32 v30, v2, v0, v1
.LBB358_80:                             ;   in Loop: Header=BB358_13 Depth=1
	s_or_b32 exec_lo, exec_lo, s27
.LBB358_81:                             ;   in Loop: Header=BB358_13 Depth=1
	s_or_b32 exec_lo, exec_lo, s26
.LBB358_82:                             ;   in Loop: Header=BB358_13 Depth=1
	s_or_b32 exec_lo, exec_lo, s8
	flat_load_dword v0, v[82:83] offset:256
	v_mov_b32_e32 v65, 0
	v_mov_b32_e32 v66, 0
	s_waitcnt vmcnt(0) lgkmcnt(0)
	v_cmp_ne_u16_sdwa s7, v0, v29 src0_sel:BYTE_0 src1_sel:DWORD
	s_and_saveexec_b32 s8, s7
	s_cbranch_execz .LBB358_90
; %bb.83:                               ;   in Loop: Header=BB358_13 Depth=1
	v_cmp_ne_u16_sdwa s7, v0, v42 src0_sel:BYTE_0 src1_sel:DWORD
	v_bfrev_b32_e32 v66, 1
	s_and_saveexec_b32 s26, s7
	s_cbranch_execz .LBB358_89
; %bb.84:                               ;   in Loop: Header=BB358_13 Depth=1
	v_and_b32_e32 v2, 0x7f, v0
	v_mov_b32_e32 v66, 0x7f800001
	s_mov_b32 s27, exec_lo
	v_cmpx_ne_u32_e32 0x7f, v2
	s_cbranch_execz .LBB358_88
; %bb.85:                               ;   in Loop: Header=BB358_13 Depth=1
	v_and_b32_e32 v28, 7, v0
	v_mov_b32_e32 v85, v29
	v_lshrrev_b32_e32 v1, 3, v2
	s_mov_b32 s28, exec_lo
	v_mov_b32_e32 v84, v28
	v_cmpx_gt_u32_e32 8, v2
; %bb.86:                               ;   in Loop: Header=BB358_13 Depth=1
	v_ffbh_u32_e32 v1, v28
	v_min_u32_e32 v1, 32, v1
	v_subrev_nc_u32_e32 v2, 28, v1
	v_sub_nc_u32_e32 v1, 29, v1
	v_lshlrev_b64 v[2:3], v2, v[28:29]
	v_and_b32_e32 v84, 7, v2
; %bb.87:                               ;   in Loop: Header=BB358_13 Depth=1
	s_or_b32 exec_lo, exec_lo, s28
	v_lshlrev_b32_e32 v2, 24, v0
	v_lshlrev_b32_e32 v3, 20, v84
	v_lshl_add_u32 v1, v1, 23, 0x3c000000
	v_and_b32_e32 v2, 0x80000000, v2
	v_or3_b32 v66, v3, v2, v1
.LBB358_88:                             ;   in Loop: Header=BB358_13 Depth=1
	s_or_b32 exec_lo, exec_lo, s27
.LBB358_89:                             ;   in Loop: Header=BB358_13 Depth=1
	s_or_b32 exec_lo, exec_lo, s26
.LBB358_90:                             ;   in Loop: Header=BB358_13 Depth=1
	s_or_b32 exec_lo, exec_lo, s8
	v_cmp_ne_u16_sdwa s7, v0, v29 src0_sel:BYTE_1 src1_sel:DWORD
	s_and_saveexec_b32 s8, s7
	s_cbranch_execz .LBB358_98
; %bb.91:                               ;   in Loop: Header=BB358_13 Depth=1
	v_cmp_ne_u16_sdwa s7, v0, v42 src0_sel:BYTE_1 src1_sel:DWORD
	v_bfrev_b32_e32 v65, 1
	s_and_saveexec_b32 s26, s7
	s_cbranch_execz .LBB358_97
; %bb.92:                               ;   in Loop: Header=BB358_13 Depth=1
	v_mov_b32_e32 v1, 0xffff
	v_mov_b32_e32 v65, 0x7f800001
	s_mov_b32 s27, exec_lo
	v_and_b32_sdwa v1, v1, v0 dst_sel:DWORD dst_unused:UNUSED_PAD src0_sel:DWORD src1_sel:BYTE_1
	v_and_b32_e32 v2, 0x7f, v1
	v_cmpx_ne_u32_e32 0x7f, v2
	s_cbranch_execz .LBB358_96
; %bb.93:                               ;   in Loop: Header=BB358_13 Depth=1
	v_and_b32_e32 v28, 7, v1
	v_mov_b32_e32 v85, v29
	v_lshrrev_b32_e32 v1, 3, v2
	s_mov_b32 s28, exec_lo
	v_mov_b32_e32 v84, v28
	v_cmpx_gt_u32_e32 8, v2
; %bb.94:                               ;   in Loop: Header=BB358_13 Depth=1
	v_ffbh_u32_e32 v1, v28
	v_min_u32_e32 v1, 32, v1
	v_subrev_nc_u32_e32 v2, 28, v1
	v_sub_nc_u32_e32 v1, 29, v1
	v_lshlrev_b64 v[2:3], v2, v[28:29]
	v_and_b32_e32 v84, 7, v2
; %bb.95:                               ;   in Loop: Header=BB358_13 Depth=1
	s_or_b32 exec_lo, exec_lo, s28
	v_lshlrev_b32_e32 v2, 16, v0
	v_lshlrev_b32_e32 v3, 20, v84
	v_lshl_add_u32 v1, v1, 23, 0x3c000000
	v_and_b32_e32 v2, 0x80000000, v2
	v_or3_b32 v65, v3, v2, v1
.LBB358_96:                             ;   in Loop: Header=BB358_13 Depth=1
	s_or_b32 exec_lo, exec_lo, s27
.LBB358_97:                             ;   in Loop: Header=BB358_13 Depth=1
	s_or_b32 exec_lo, exec_lo, s26
.LBB358_98:                             ;   in Loop: Header=BB358_13 Depth=1
	s_or_b32 exec_lo, exec_lo, s8
	v_and_b32_sdwa v1, v0, v56 dst_sel:DWORD dst_unused:UNUSED_PAD src0_sel:WORD_1 src1_sel:DWORD
	v_mov_b32_e32 v47, 0
	v_mov_b32_e32 v68, 0
	s_mov_b32 s8, exec_lo
	v_cmpx_ne_u16_e32 0, v1
	s_cbranch_execz .LBB358_106
; %bb.99:                               ;   in Loop: Header=BB358_13 Depth=1
	v_bfrev_b32_e32 v68, 1
	s_mov_b32 s26, exec_lo
	v_cmpx_ne_u16_e32 0x80, v1
	s_cbranch_execz .LBB358_105
; %bb.100:                              ;   in Loop: Header=BB358_13 Depth=1
	v_bfe_u32 v2, v0, 16, 7
	v_mov_b32_e32 v68, 0x7f800001
	s_mov_b32 s27, exec_lo
	v_cmpx_ne_u32_e32 0x7f, v2
	s_cbranch_execz .LBB358_104
; %bb.101:                              ;   in Loop: Header=BB358_13 Depth=1
	v_mov_b32_e32 v1, 7
	s_mov_b32 s28, exec_lo
	v_and_b32_sdwa v28, v0, v1 dst_sel:DWORD dst_unused:UNUSED_PAD src0_sel:WORD_1 src1_sel:DWORD
	v_mov_b32_e32 v85, v29
	v_lshrrev_b32_e32 v1, 3, v2
	v_mov_b32_e32 v84, v28
	v_cmpx_gt_u32_e32 8, v2
; %bb.102:                              ;   in Loop: Header=BB358_13 Depth=1
	v_ffbh_u32_e32 v1, v28
	v_min_u32_e32 v1, 32, v1
	v_subrev_nc_u32_e32 v2, 28, v1
	v_sub_nc_u32_e32 v1, 29, v1
	v_lshlrev_b64 v[2:3], v2, v[28:29]
	v_and_b32_e32 v84, 7, v2
; %bb.103:                              ;   in Loop: Header=BB358_13 Depth=1
	s_or_b32 exec_lo, exec_lo, s28
	v_mov_b32_e32 v2, 24
	v_lshlrev_b32_e32 v3, 20, v84
	v_lshl_add_u32 v1, v1, 23, 0x3c000000
	v_lshlrev_b32_sdwa v2, v2, v0 dst_sel:DWORD dst_unused:UNUSED_PAD src0_sel:DWORD src1_sel:WORD_1
	v_and_b32_e32 v2, 0x80000000, v2
	v_or3_b32 v68, v3, v2, v1
.LBB358_104:                            ;   in Loop: Header=BB358_13 Depth=1
	s_or_b32 exec_lo, exec_lo, s27
.LBB358_105:                            ;   in Loop: Header=BB358_13 Depth=1
	s_or_b32 exec_lo, exec_lo, s26
.LBB358_106:                            ;   in Loop: Header=BB358_13 Depth=1
	s_or_b32 exec_lo, exec_lo, s8
	s_mov_b32 s8, exec_lo
	v_cmpx_lt_u32_e32 0xffffff, v0
	s_cbranch_execz .LBB358_114
; %bb.107:                              ;   in Loop: Header=BB358_13 Depth=1
	v_cmp_ne_u32_sdwa s7, v0, v42 src0_sel:BYTE_3 src1_sel:DWORD
	v_bfrev_b32_e32 v47, 1
	s_and_saveexec_b32 s26, s7
	s_cbranch_execz .LBB358_113
; %bb.108:                              ;   in Loop: Header=BB358_13 Depth=1
	v_bfe_u32 v2, v0, 24, 7
	v_mov_b32_e32 v47, 0x7f800001
	s_mov_b32 s27, exec_lo
	v_cmpx_ne_u32_e32 0x7f, v2
	s_cbranch_execz .LBB358_112
; %bb.109:                              ;   in Loop: Header=BB358_13 Depth=1
	v_mov_b32_e32 v1, 7
	s_mov_b32 s28, exec_lo
	v_and_b32_sdwa v28, v0, v1 dst_sel:DWORD dst_unused:UNUSED_PAD src0_sel:BYTE_3 src1_sel:DWORD
	v_mov_b32_e32 v85, v29
	v_lshrrev_b32_e32 v1, 3, v2
	v_mov_b32_e32 v84, v28
	v_cmpx_gt_u32_e32 8, v2
; %bb.110:                              ;   in Loop: Header=BB358_13 Depth=1
	v_ffbh_u32_e32 v1, v28
	v_min_u32_e32 v1, 32, v1
	v_subrev_nc_u32_e32 v2, 28, v1
	v_sub_nc_u32_e32 v1, 29, v1
	v_lshlrev_b64 v[2:3], v2, v[28:29]
	v_and_b32_e32 v84, 7, v2
; %bb.111:                              ;   in Loop: Header=BB358_13 Depth=1
	s_or_b32 exec_lo, exec_lo, s28
	v_mov_b32_e32 v2, 24
	v_lshl_add_u32 v1, v1, 23, 0x3c000000
	v_lshlrev_b32_sdwa v0, v2, v0 dst_sel:DWORD dst_unused:UNUSED_PAD src0_sel:DWORD src1_sel:BYTE_3
	v_lshlrev_b32_e32 v2, 20, v84
	v_and_b32_e32 v0, 0x80000000, v0
	v_or3_b32 v47, v2, v0, v1
.LBB358_112:                            ;   in Loop: Header=BB358_13 Depth=1
	s_or_b32 exec_lo, exec_lo, s27
.LBB358_113:                            ;   in Loop: Header=BB358_13 Depth=1
	s_or_b32 exec_lo, exec_lo, s26
.LBB358_114:                            ;   in Loop: Header=BB358_13 Depth=1
	s_or_b32 exec_lo, exec_lo, s8
	flat_load_dword v0, v[82:83] offset:264
	v_mov_b32_e32 v62, 0
	v_mov_b32_e32 v43, 0
	s_waitcnt vmcnt(0) lgkmcnt(0)
	v_cmp_ne_u16_sdwa s7, v0, v29 src0_sel:BYTE_0 src1_sel:DWORD
	s_and_saveexec_b32 s8, s7
	s_cbranch_execz .LBB358_122
; %bb.115:                              ;   in Loop: Header=BB358_13 Depth=1
	v_cmp_ne_u16_sdwa s7, v0, v42 src0_sel:BYTE_0 src1_sel:DWORD
	v_bfrev_b32_e32 v43, 1
	s_and_saveexec_b32 s26, s7
	s_cbranch_execz .LBB358_121
; %bb.116:                              ;   in Loop: Header=BB358_13 Depth=1
	v_and_b32_e32 v2, 0x7f, v0
	v_mov_b32_e32 v43, 0x7f800001
	s_mov_b32 s27, exec_lo
	v_cmpx_ne_u32_e32 0x7f, v2
	s_cbranch_execz .LBB358_120
; %bb.117:                              ;   in Loop: Header=BB358_13 Depth=1
	v_and_b32_e32 v28, 7, v0
	v_mov_b32_e32 v85, v29
	v_lshrrev_b32_e32 v1, 3, v2
	s_mov_b32 s28, exec_lo
	v_mov_b32_e32 v84, v28
	v_cmpx_gt_u32_e32 8, v2
; %bb.118:                              ;   in Loop: Header=BB358_13 Depth=1
	v_ffbh_u32_e32 v1, v28
	v_min_u32_e32 v1, 32, v1
	v_subrev_nc_u32_e32 v2, 28, v1
	v_sub_nc_u32_e32 v1, 29, v1
	v_lshlrev_b64 v[2:3], v2, v[28:29]
	v_and_b32_e32 v84, 7, v2
; %bb.119:                              ;   in Loop: Header=BB358_13 Depth=1
	s_or_b32 exec_lo, exec_lo, s28
	v_lshlrev_b32_e32 v2, 24, v0
	v_lshlrev_b32_e32 v3, 20, v84
	v_lshl_add_u32 v1, v1, 23, 0x3c000000
	v_and_b32_e32 v2, 0x80000000, v2
	v_or3_b32 v43, v3, v2, v1
.LBB358_120:                            ;   in Loop: Header=BB358_13 Depth=1
	s_or_b32 exec_lo, exec_lo, s27
.LBB358_121:                            ;   in Loop: Header=BB358_13 Depth=1
	s_or_b32 exec_lo, exec_lo, s26
.LBB358_122:                            ;   in Loop: Header=BB358_13 Depth=1
	s_or_b32 exec_lo, exec_lo, s8
	v_cmp_ne_u16_sdwa s7, v0, v29 src0_sel:BYTE_1 src1_sel:DWORD
	s_and_saveexec_b32 s8, s7
	s_cbranch_execz .LBB358_130
; %bb.123:                              ;   in Loop: Header=BB358_13 Depth=1
	v_cmp_ne_u16_sdwa s7, v0, v42 src0_sel:BYTE_1 src1_sel:DWORD
	v_bfrev_b32_e32 v62, 1
	s_and_saveexec_b32 s26, s7
	s_cbranch_execz .LBB358_129
; %bb.124:                              ;   in Loop: Header=BB358_13 Depth=1
	v_mov_b32_e32 v1, 0xffff
	v_mov_b32_e32 v62, 0x7f800001
	s_mov_b32 s27, exec_lo
	v_and_b32_sdwa v1, v1, v0 dst_sel:DWORD dst_unused:UNUSED_PAD src0_sel:DWORD src1_sel:BYTE_1
	v_and_b32_e32 v2, 0x7f, v1
	v_cmpx_ne_u32_e32 0x7f, v2
	s_cbranch_execz .LBB358_128
; %bb.125:                              ;   in Loop: Header=BB358_13 Depth=1
	v_and_b32_e32 v28, 7, v1
	v_mov_b32_e32 v85, v29
	v_lshrrev_b32_e32 v1, 3, v2
	s_mov_b32 s28, exec_lo
	v_mov_b32_e32 v84, v28
	v_cmpx_gt_u32_e32 8, v2
; %bb.126:                              ;   in Loop: Header=BB358_13 Depth=1
	v_ffbh_u32_e32 v1, v28
	v_min_u32_e32 v1, 32, v1
	v_subrev_nc_u32_e32 v2, 28, v1
	v_sub_nc_u32_e32 v1, 29, v1
	v_lshlrev_b64 v[2:3], v2, v[28:29]
	v_and_b32_e32 v84, 7, v2
; %bb.127:                              ;   in Loop: Header=BB358_13 Depth=1
	s_or_b32 exec_lo, exec_lo, s28
	v_lshlrev_b32_e32 v2, 16, v0
	v_lshlrev_b32_e32 v3, 20, v84
	v_lshl_add_u32 v1, v1, 23, 0x3c000000
	v_and_b32_e32 v2, 0x80000000, v2
	v_or3_b32 v62, v3, v2, v1
.LBB358_128:                            ;   in Loop: Header=BB358_13 Depth=1
	s_or_b32 exec_lo, exec_lo, s27
.LBB358_129:                            ;   in Loop: Header=BB358_13 Depth=1
	s_or_b32 exec_lo, exec_lo, s26
.LBB358_130:                            ;   in Loop: Header=BB358_13 Depth=1
	s_or_b32 exec_lo, exec_lo, s8
	v_and_b32_sdwa v1, v0, v56 dst_sel:DWORD dst_unused:UNUSED_PAD src0_sel:WORD_1 src1_sel:DWORD
	v_mov_b32_e32 v98, 0
	v_mov_b32_e32 v44, 0
	s_mov_b32 s8, exec_lo
	v_cmpx_ne_u16_e32 0, v1
	s_cbranch_execz .LBB358_138
; %bb.131:                              ;   in Loop: Header=BB358_13 Depth=1
	v_bfrev_b32_e32 v44, 1
	s_mov_b32 s26, exec_lo
	v_cmpx_ne_u16_e32 0x80, v1
	s_cbranch_execz .LBB358_137
; %bb.132:                              ;   in Loop: Header=BB358_13 Depth=1
	v_bfe_u32 v2, v0, 16, 7
	v_mov_b32_e32 v44, 0x7f800001
	s_mov_b32 s27, exec_lo
	v_cmpx_ne_u32_e32 0x7f, v2
	s_cbranch_execz .LBB358_136
; %bb.133:                              ;   in Loop: Header=BB358_13 Depth=1
	v_mov_b32_e32 v1, 7
	s_mov_b32 s28, exec_lo
	v_and_b32_sdwa v28, v0, v1 dst_sel:DWORD dst_unused:UNUSED_PAD src0_sel:WORD_1 src1_sel:DWORD
	v_mov_b32_e32 v85, v29
	v_lshrrev_b32_e32 v1, 3, v2
	v_mov_b32_e32 v84, v28
	v_cmpx_gt_u32_e32 8, v2
; %bb.134:                              ;   in Loop: Header=BB358_13 Depth=1
	v_ffbh_u32_e32 v1, v28
	v_min_u32_e32 v1, 32, v1
	v_subrev_nc_u32_e32 v2, 28, v1
	v_sub_nc_u32_e32 v1, 29, v1
	v_lshlrev_b64 v[2:3], v2, v[28:29]
	v_and_b32_e32 v84, 7, v2
; %bb.135:                              ;   in Loop: Header=BB358_13 Depth=1
	s_or_b32 exec_lo, exec_lo, s28
	v_mov_b32_e32 v2, 24
	v_lshlrev_b32_e32 v3, 20, v84
	v_lshl_add_u32 v1, v1, 23, 0x3c000000
	v_lshlrev_b32_sdwa v2, v2, v0 dst_sel:DWORD dst_unused:UNUSED_PAD src0_sel:DWORD src1_sel:WORD_1
	v_and_b32_e32 v2, 0x80000000, v2
	v_or3_b32 v44, v3, v2, v1
.LBB358_136:                            ;   in Loop: Header=BB358_13 Depth=1
	s_or_b32 exec_lo, exec_lo, s27
.LBB358_137:                            ;   in Loop: Header=BB358_13 Depth=1
	s_or_b32 exec_lo, exec_lo, s26
.LBB358_138:                            ;   in Loop: Header=BB358_13 Depth=1
	s_or_b32 exec_lo, exec_lo, s8
	s_mov_b32 s8, exec_lo
	v_cmpx_lt_u32_e32 0xffffff, v0
	s_cbranch_execz .LBB358_146
; %bb.139:                              ;   in Loop: Header=BB358_13 Depth=1
	v_cmp_ne_u32_sdwa s7, v0, v42 src0_sel:BYTE_3 src1_sel:DWORD
	v_bfrev_b32_e32 v98, 1
	s_and_saveexec_b32 s26, s7
	s_cbranch_execz .LBB358_145
; %bb.140:                              ;   in Loop: Header=BB358_13 Depth=1
	v_bfe_u32 v2, v0, 24, 7
	v_mov_b32_e32 v98, 0x7f800001
	s_mov_b32 s27, exec_lo
	v_cmpx_ne_u32_e32 0x7f, v2
	s_cbranch_execz .LBB358_144
; %bb.141:                              ;   in Loop: Header=BB358_13 Depth=1
	v_mov_b32_e32 v1, 7
	s_mov_b32 s28, exec_lo
	v_and_b32_sdwa v28, v0, v1 dst_sel:DWORD dst_unused:UNUSED_PAD src0_sel:BYTE_3 src1_sel:DWORD
	v_mov_b32_e32 v85, v29
	v_lshrrev_b32_e32 v1, 3, v2
	v_mov_b32_e32 v84, v28
	v_cmpx_gt_u32_e32 8, v2
; %bb.142:                              ;   in Loop: Header=BB358_13 Depth=1
	v_ffbh_u32_e32 v1, v28
	v_min_u32_e32 v1, 32, v1
	v_subrev_nc_u32_e32 v2, 28, v1
	v_sub_nc_u32_e32 v1, 29, v1
	v_lshlrev_b64 v[2:3], v2, v[28:29]
	v_and_b32_e32 v84, 7, v2
; %bb.143:                              ;   in Loop: Header=BB358_13 Depth=1
	s_or_b32 exec_lo, exec_lo, s28
	v_mov_b32_e32 v2, 24
	v_lshl_add_u32 v1, v1, 23, 0x3c000000
	v_lshlrev_b32_sdwa v0, v2, v0 dst_sel:DWORD dst_unused:UNUSED_PAD src0_sel:DWORD src1_sel:BYTE_3
	v_lshlrev_b32_e32 v2, 20, v84
	v_and_b32_e32 v0, 0x80000000, v0
	v_or3_b32 v98, v2, v0, v1
.LBB358_144:                            ;   in Loop: Header=BB358_13 Depth=1
	s_or_b32 exec_lo, exec_lo, s27
.LBB358_145:                            ;   in Loop: Header=BB358_13 Depth=1
	s_or_b32 exec_lo, exec_lo, s26
.LBB358_146:                            ;   in Loop: Header=BB358_13 Depth=1
	s_or_b32 exec_lo, exec_lo, s8
	flat_load_dword v0, v[82:83] offset:512
	v_mov_b32_e32 v57, 0
	v_mov_b32_e32 v119, 0
	s_waitcnt vmcnt(0) lgkmcnt(0)
	v_cmp_ne_u16_sdwa s7, v0, v29 src0_sel:BYTE_0 src1_sel:DWORD
	s_and_saveexec_b32 s8, s7
	s_cbranch_execz .LBB358_154
; %bb.147:                              ;   in Loop: Header=BB358_13 Depth=1
	v_cmp_ne_u16_sdwa s7, v0, v42 src0_sel:BYTE_0 src1_sel:DWORD
	v_bfrev_b32_e32 v119, 1
	s_and_saveexec_b32 s26, s7
	s_cbranch_execz .LBB358_153
; %bb.148:                              ;   in Loop: Header=BB358_13 Depth=1
	v_and_b32_e32 v2, 0x7f, v0
	v_mov_b32_e32 v119, 0x7f800001
	s_mov_b32 s27, exec_lo
	v_cmpx_ne_u32_e32 0x7f, v2
	s_cbranch_execz .LBB358_152
; %bb.149:                              ;   in Loop: Header=BB358_13 Depth=1
	v_and_b32_e32 v28, 7, v0
	v_mov_b32_e32 v85, v29
	v_lshrrev_b32_e32 v1, 3, v2
	s_mov_b32 s28, exec_lo
	v_mov_b32_e32 v84, v28
	v_cmpx_gt_u32_e32 8, v2
; %bb.150:                              ;   in Loop: Header=BB358_13 Depth=1
	v_ffbh_u32_e32 v1, v28
	v_min_u32_e32 v1, 32, v1
	v_subrev_nc_u32_e32 v2, 28, v1
	v_sub_nc_u32_e32 v1, 29, v1
	v_lshlrev_b64 v[2:3], v2, v[28:29]
	v_and_b32_e32 v84, 7, v2
; %bb.151:                              ;   in Loop: Header=BB358_13 Depth=1
	s_or_b32 exec_lo, exec_lo, s28
	v_lshlrev_b32_e32 v2, 24, v0
	v_lshlrev_b32_e32 v3, 20, v84
	v_lshl_add_u32 v1, v1, 23, 0x3c000000
	v_and_b32_e32 v2, 0x80000000, v2
	v_or3_b32 v119, v3, v2, v1
.LBB358_152:                            ;   in Loop: Header=BB358_13 Depth=1
	s_or_b32 exec_lo, exec_lo, s27
.LBB358_153:                            ;   in Loop: Header=BB358_13 Depth=1
	s_or_b32 exec_lo, exec_lo, s26
.LBB358_154:                            ;   in Loop: Header=BB358_13 Depth=1
	s_or_b32 exec_lo, exec_lo, s8
	v_cmp_ne_u16_sdwa s7, v0, v29 src0_sel:BYTE_1 src1_sel:DWORD
	s_and_saveexec_b32 s8, s7
	s_cbranch_execz .LBB358_162
; %bb.155:                              ;   in Loop: Header=BB358_13 Depth=1
	v_cmp_ne_u16_sdwa s7, v0, v42 src0_sel:BYTE_1 src1_sel:DWORD
	v_bfrev_b32_e32 v57, 1
	s_and_saveexec_b32 s26, s7
	s_cbranch_execz .LBB358_161
; %bb.156:                              ;   in Loop: Header=BB358_13 Depth=1
	v_mov_b32_e32 v1, 0xffff
	v_mov_b32_e32 v57, 0x7f800001
	s_mov_b32 s27, exec_lo
	v_and_b32_sdwa v1, v1, v0 dst_sel:DWORD dst_unused:UNUSED_PAD src0_sel:DWORD src1_sel:BYTE_1
	v_and_b32_e32 v2, 0x7f, v1
	v_cmpx_ne_u32_e32 0x7f, v2
	s_cbranch_execz .LBB358_160
; %bb.157:                              ;   in Loop: Header=BB358_13 Depth=1
	v_and_b32_e32 v28, 7, v1
	v_mov_b32_e32 v85, v29
	v_lshrrev_b32_e32 v1, 3, v2
	s_mov_b32 s28, exec_lo
	v_mov_b32_e32 v84, v28
	v_cmpx_gt_u32_e32 8, v2
; %bb.158:                              ;   in Loop: Header=BB358_13 Depth=1
	v_ffbh_u32_e32 v1, v28
	v_min_u32_e32 v1, 32, v1
	v_subrev_nc_u32_e32 v2, 28, v1
	v_sub_nc_u32_e32 v1, 29, v1
	v_lshlrev_b64 v[2:3], v2, v[28:29]
	v_and_b32_e32 v84, 7, v2
; %bb.159:                              ;   in Loop: Header=BB358_13 Depth=1
	s_or_b32 exec_lo, exec_lo, s28
	v_lshlrev_b32_e32 v2, 16, v0
	v_lshlrev_b32_e32 v3, 20, v84
	v_lshl_add_u32 v1, v1, 23, 0x3c000000
	v_and_b32_e32 v2, 0x80000000, v2
	v_or3_b32 v57, v3, v2, v1
.LBB358_160:                            ;   in Loop: Header=BB358_13 Depth=1
	s_or_b32 exec_lo, exec_lo, s27
.LBB358_161:                            ;   in Loop: Header=BB358_13 Depth=1
	s_or_b32 exec_lo, exec_lo, s26
.LBB358_162:                            ;   in Loop: Header=BB358_13 Depth=1
	s_or_b32 exec_lo, exec_lo, s8
	v_and_b32_sdwa v1, v0, v56 dst_sel:DWORD dst_unused:UNUSED_PAD src0_sel:WORD_1 src1_sel:DWORD
	v_mov_b32_e32 v58, 0
	v_mov_b32_e32 v118, 0
	s_mov_b32 s8, exec_lo
	v_cmpx_ne_u16_e32 0, v1
	s_cbranch_execz .LBB358_170
; %bb.163:                              ;   in Loop: Header=BB358_13 Depth=1
	v_bfrev_b32_e32 v118, 1
	s_mov_b32 s26, exec_lo
	v_cmpx_ne_u16_e32 0x80, v1
	s_cbranch_execz .LBB358_169
; %bb.164:                              ;   in Loop: Header=BB358_13 Depth=1
	v_bfe_u32 v2, v0, 16, 7
	v_mov_b32_e32 v118, 0x7f800001
	s_mov_b32 s27, exec_lo
	v_cmpx_ne_u32_e32 0x7f, v2
	s_cbranch_execz .LBB358_168
; %bb.165:                              ;   in Loop: Header=BB358_13 Depth=1
	v_mov_b32_e32 v1, 7
	s_mov_b32 s28, exec_lo
	v_and_b32_sdwa v28, v0, v1 dst_sel:DWORD dst_unused:UNUSED_PAD src0_sel:WORD_1 src1_sel:DWORD
	v_mov_b32_e32 v85, v29
	v_lshrrev_b32_e32 v1, 3, v2
	v_mov_b32_e32 v84, v28
	v_cmpx_gt_u32_e32 8, v2
; %bb.166:                              ;   in Loop: Header=BB358_13 Depth=1
	v_ffbh_u32_e32 v1, v28
	v_min_u32_e32 v1, 32, v1
	v_subrev_nc_u32_e32 v2, 28, v1
	v_sub_nc_u32_e32 v1, 29, v1
	v_lshlrev_b64 v[2:3], v2, v[28:29]
	v_and_b32_e32 v84, 7, v2
; %bb.167:                              ;   in Loop: Header=BB358_13 Depth=1
	s_or_b32 exec_lo, exec_lo, s28
	v_mov_b32_e32 v2, 24
	v_lshlrev_b32_e32 v3, 20, v84
	v_lshl_add_u32 v1, v1, 23, 0x3c000000
	v_lshlrev_b32_sdwa v2, v2, v0 dst_sel:DWORD dst_unused:UNUSED_PAD src0_sel:DWORD src1_sel:WORD_1
	v_and_b32_e32 v2, 0x80000000, v2
	v_or3_b32 v118, v3, v2, v1
.LBB358_168:                            ;   in Loop: Header=BB358_13 Depth=1
	s_or_b32 exec_lo, exec_lo, s27
.LBB358_169:                            ;   in Loop: Header=BB358_13 Depth=1
	s_or_b32 exec_lo, exec_lo, s26
.LBB358_170:                            ;   in Loop: Header=BB358_13 Depth=1
	s_or_b32 exec_lo, exec_lo, s8
	s_mov_b32 s8, exec_lo
	v_cmpx_lt_u32_e32 0xffffff, v0
	s_cbranch_execz .LBB358_178
; %bb.171:                              ;   in Loop: Header=BB358_13 Depth=1
	v_cmp_ne_u32_sdwa s7, v0, v42 src0_sel:BYTE_3 src1_sel:DWORD
	v_bfrev_b32_e32 v58, 1
	s_and_saveexec_b32 s26, s7
	s_cbranch_execz .LBB358_177
; %bb.172:                              ;   in Loop: Header=BB358_13 Depth=1
	v_bfe_u32 v2, v0, 24, 7
	v_mov_b32_e32 v58, 0x7f800001
	s_mov_b32 s27, exec_lo
	v_cmpx_ne_u32_e32 0x7f, v2
	s_cbranch_execz .LBB358_176
; %bb.173:                              ;   in Loop: Header=BB358_13 Depth=1
	v_mov_b32_e32 v1, 7
	s_mov_b32 s28, exec_lo
	v_and_b32_sdwa v28, v0, v1 dst_sel:DWORD dst_unused:UNUSED_PAD src0_sel:BYTE_3 src1_sel:DWORD
	v_mov_b32_e32 v85, v29
	v_lshrrev_b32_e32 v1, 3, v2
	v_mov_b32_e32 v84, v28
	v_cmpx_gt_u32_e32 8, v2
; %bb.174:                              ;   in Loop: Header=BB358_13 Depth=1
	v_ffbh_u32_e32 v1, v28
	v_min_u32_e32 v1, 32, v1
	v_subrev_nc_u32_e32 v2, 28, v1
	v_sub_nc_u32_e32 v1, 29, v1
	v_lshlrev_b64 v[2:3], v2, v[28:29]
	v_and_b32_e32 v84, 7, v2
; %bb.175:                              ;   in Loop: Header=BB358_13 Depth=1
	s_or_b32 exec_lo, exec_lo, s28
	v_mov_b32_e32 v2, 24
	v_lshl_add_u32 v1, v1, 23, 0x3c000000
	v_lshlrev_b32_sdwa v0, v2, v0 dst_sel:DWORD dst_unused:UNUSED_PAD src0_sel:DWORD src1_sel:BYTE_3
	v_lshlrev_b32_e32 v2, 20, v84
	v_and_b32_e32 v0, 0x80000000, v0
	v_or3_b32 v58, v2, v0, v1
.LBB358_176:                            ;   in Loop: Header=BB358_13 Depth=1
	s_or_b32 exec_lo, exec_lo, s27
.LBB358_177:                            ;   in Loop: Header=BB358_13 Depth=1
	s_or_b32 exec_lo, exec_lo, s26
.LBB358_178:                            ;   in Loop: Header=BB358_13 Depth=1
	s_or_b32 exec_lo, exec_lo, s8
	flat_load_dword v0, v[82:83] offset:520
	v_mov_b32_e32 v61, 0
	v_mov_b32_e32 v1, 0
	buffer_store_dword v1, off, s[0:3], s32 offset:240 ; 4-byte Folded Spill
	s_waitcnt vmcnt(0) lgkmcnt(0)
	v_cmp_ne_u16_sdwa s7, v0, v29 src0_sel:BYTE_0 src1_sel:DWORD
	s_and_saveexec_b32 s8, s7
	s_cbranch_execz .LBB358_186
; %bb.179:                              ;   in Loop: Header=BB358_13 Depth=1
	v_cmp_ne_u16_sdwa s7, v0, v42 src0_sel:BYTE_0 src1_sel:DWORD
	v_bfrev_b32_e32 v1, 1
	buffer_store_dword v1, off, s[0:3], s32 offset:240 ; 4-byte Folded Spill
	s_and_saveexec_b32 s26, s7
	s_cbranch_execz .LBB358_185
; %bb.180:                              ;   in Loop: Header=BB358_13 Depth=1
	v_and_b32_e32 v2, 0x7f, v0
	v_mov_b32_e32 v1, 0x7f800001
	s_mov_b32 s27, exec_lo
	buffer_store_dword v1, off, s[0:3], s32 offset:240 ; 4-byte Folded Spill
	v_cmpx_ne_u32_e32 0x7f, v2
	s_cbranch_execz .LBB358_184
; %bb.181:                              ;   in Loop: Header=BB358_13 Depth=1
	v_and_b32_e32 v28, 7, v0
	v_mov_b32_e32 v85, v29
	v_lshrrev_b32_e32 v1, 3, v2
	s_mov_b32 s28, exec_lo
	v_mov_b32_e32 v84, v28
	v_cmpx_gt_u32_e32 8, v2
; %bb.182:                              ;   in Loop: Header=BB358_13 Depth=1
	v_ffbh_u32_e32 v1, v28
	v_min_u32_e32 v1, 32, v1
	v_subrev_nc_u32_e32 v2, 28, v1
	v_sub_nc_u32_e32 v1, 29, v1
	v_lshlrev_b64 v[2:3], v2, v[28:29]
	v_and_b32_e32 v84, 7, v2
; %bb.183:                              ;   in Loop: Header=BB358_13 Depth=1
	s_or_b32 exec_lo, exec_lo, s28
	v_lshlrev_b32_e32 v2, 24, v0
	v_lshlrev_b32_e32 v3, 20, v84
	v_lshl_add_u32 v1, v1, 23, 0x3c000000
	v_and_b32_e32 v2, 0x80000000, v2
	v_or3_b32 v1, v3, v2, v1
	buffer_store_dword v1, off, s[0:3], s32 offset:240 ; 4-byte Folded Spill
.LBB358_184:                            ;   in Loop: Header=BB358_13 Depth=1
	s_or_b32 exec_lo, exec_lo, s27
.LBB358_185:                            ;   in Loop: Header=BB358_13 Depth=1
	s_or_b32 exec_lo, exec_lo, s26
.LBB358_186:                            ;   in Loop: Header=BB358_13 Depth=1
	s_or_b32 exec_lo, exec_lo, s8
	v_cmp_ne_u16_sdwa s7, v0, v29 src0_sel:BYTE_1 src1_sel:DWORD
	s_and_saveexec_b32 s8, s7
	s_cbranch_execz .LBB358_194
; %bb.187:                              ;   in Loop: Header=BB358_13 Depth=1
	v_cmp_ne_u16_sdwa s7, v0, v42 src0_sel:BYTE_1 src1_sel:DWORD
	v_bfrev_b32_e32 v61, 1
	s_and_saveexec_b32 s26, s7
	s_cbranch_execz .LBB358_193
; %bb.188:                              ;   in Loop: Header=BB358_13 Depth=1
	v_mov_b32_e32 v1, 0xffff
	v_mov_b32_e32 v61, 0x7f800001
	s_mov_b32 s27, exec_lo
	v_and_b32_sdwa v1, v1, v0 dst_sel:DWORD dst_unused:UNUSED_PAD src0_sel:DWORD src1_sel:BYTE_1
	v_and_b32_e32 v2, 0x7f, v1
	v_cmpx_ne_u32_e32 0x7f, v2
	s_cbranch_execz .LBB358_192
; %bb.189:                              ;   in Loop: Header=BB358_13 Depth=1
	v_and_b32_e32 v28, 7, v1
	v_mov_b32_e32 v85, v29
	v_lshrrev_b32_e32 v1, 3, v2
	s_mov_b32 s28, exec_lo
	v_mov_b32_e32 v84, v28
	v_cmpx_gt_u32_e32 8, v2
; %bb.190:                              ;   in Loop: Header=BB358_13 Depth=1
	v_ffbh_u32_e32 v1, v28
	v_min_u32_e32 v1, 32, v1
	v_subrev_nc_u32_e32 v2, 28, v1
	v_sub_nc_u32_e32 v1, 29, v1
	v_lshlrev_b64 v[2:3], v2, v[28:29]
	v_and_b32_e32 v84, 7, v2
; %bb.191:                              ;   in Loop: Header=BB358_13 Depth=1
	s_or_b32 exec_lo, exec_lo, s28
	v_lshlrev_b32_e32 v2, 16, v0
	v_lshlrev_b32_e32 v3, 20, v84
	v_lshl_add_u32 v1, v1, 23, 0x3c000000
	v_and_b32_e32 v2, 0x80000000, v2
	v_or3_b32 v61, v3, v2, v1
.LBB358_192:                            ;   in Loop: Header=BB358_13 Depth=1
	s_or_b32 exec_lo, exec_lo, s27
.LBB358_193:                            ;   in Loop: Header=BB358_13 Depth=1
	s_or_b32 exec_lo, exec_lo, s26
.LBB358_194:                            ;   in Loop: Header=BB358_13 Depth=1
	s_or_b32 exec_lo, exec_lo, s8
	v_mov_b32_e32 v2, 0
	v_and_b32_sdwa v1, v0, v56 dst_sel:DWORD dst_unused:UNUSED_PAD src0_sel:WORD_1 src1_sel:DWORD
	s_mov_b32 s8, exec_lo
	buffer_store_dword v2, off, s[0:3], s32 offset:244 ; 4-byte Folded Spill
	v_mov_b32_e32 v2, 0
	buffer_store_dword v2, off, s[0:3], s32 offset:420 ; 4-byte Folded Spill
	v_cmpx_ne_u16_e32 0, v1
	s_cbranch_execz .LBB358_202
; %bb.195:                              ;   in Loop: Header=BB358_13 Depth=1
	v_cmp_ne_u16_e64 s7, 0x80, v1
	v_bfrev_b32_e32 v1, 1
	s_and_saveexec_b32 s26, s7
	s_cbranch_execz .LBB358_201
; %bb.196:                              ;   in Loop: Header=BB358_13 Depth=1
	v_bfe_u32 v2, v0, 16, 7
	v_mov_b32_e32 v1, 0x7f800001
	s_mov_b32 s27, exec_lo
	v_cmpx_ne_u32_e32 0x7f, v2
	s_cbranch_execz .LBB358_200
; %bb.197:                              ;   in Loop: Header=BB358_13 Depth=1
	v_mov_b32_e32 v1, 7
	s_mov_b32 s28, exec_lo
	v_and_b32_sdwa v28, v0, v1 dst_sel:DWORD dst_unused:UNUSED_PAD src0_sel:WORD_1 src1_sel:DWORD
	v_mov_b32_e32 v85, v29
	v_lshrrev_b32_e32 v1, 3, v2
	v_mov_b32_e32 v84, v28
	v_cmpx_gt_u32_e32 8, v2
; %bb.198:                              ;   in Loop: Header=BB358_13 Depth=1
	v_ffbh_u32_e32 v1, v28
	v_min_u32_e32 v1, 32, v1
	v_subrev_nc_u32_e32 v2, 28, v1
	v_sub_nc_u32_e32 v1, 29, v1
	v_lshlrev_b64 v[2:3], v2, v[28:29]
	v_and_b32_e32 v84, 7, v2
; %bb.199:                              ;   in Loop: Header=BB358_13 Depth=1
	s_or_b32 exec_lo, exec_lo, s28
	v_mov_b32_e32 v2, 24
	v_lshlrev_b32_e32 v3, 20, v84
	v_lshl_add_u32 v1, v1, 23, 0x3c000000
	v_lshlrev_b32_sdwa v2, v2, v0 dst_sel:DWORD dst_unused:UNUSED_PAD src0_sel:DWORD src1_sel:WORD_1
	v_and_b32_e32 v2, 0x80000000, v2
	v_or3_b32 v1, v3, v2, v1
.LBB358_200:                            ;   in Loop: Header=BB358_13 Depth=1
	s_or_b32 exec_lo, exec_lo, s27
.LBB358_201:                            ;   in Loop: Header=BB358_13 Depth=1
	s_or_b32 exec_lo, exec_lo, s26
	buffer_store_dword v1, off, s[0:3], s32 offset:420 ; 4-byte Folded Spill
.LBB358_202:                            ;   in Loop: Header=BB358_13 Depth=1
	s_or_b32 exec_lo, exec_lo, s8
	s_mov_b32 s8, exec_lo
	v_cmpx_lt_u32_e32 0xffffff, v0
	s_cbranch_execz .LBB358_210
; %bb.203:                              ;   in Loop: Header=BB358_13 Depth=1
	v_cmp_ne_u32_sdwa s7, v0, v42 src0_sel:BYTE_3 src1_sel:DWORD
	v_bfrev_b32_e32 v1, 1
	buffer_store_dword v1, off, s[0:3], s32 offset:244 ; 4-byte Folded Spill
	s_and_saveexec_b32 s26, s7
	s_cbranch_execz .LBB358_209
; %bb.204:                              ;   in Loop: Header=BB358_13 Depth=1
	v_bfe_u32 v2, v0, 24, 7
	v_mov_b32_e32 v1, 0x7f800001
	s_mov_b32 s27, exec_lo
	buffer_store_dword v1, off, s[0:3], s32 offset:244 ; 4-byte Folded Spill
	v_cmpx_ne_u32_e32 0x7f, v2
	s_cbranch_execz .LBB358_208
; %bb.205:                              ;   in Loop: Header=BB358_13 Depth=1
	v_mov_b32_e32 v1, 7
	s_mov_b32 s28, exec_lo
	v_and_b32_sdwa v28, v0, v1 dst_sel:DWORD dst_unused:UNUSED_PAD src0_sel:BYTE_3 src1_sel:DWORD
	v_mov_b32_e32 v85, v29
	v_lshrrev_b32_e32 v1, 3, v2
	v_mov_b32_e32 v84, v28
	v_cmpx_gt_u32_e32 8, v2
; %bb.206:                              ;   in Loop: Header=BB358_13 Depth=1
	v_ffbh_u32_e32 v1, v28
	v_min_u32_e32 v1, 32, v1
	v_subrev_nc_u32_e32 v2, 28, v1
	v_sub_nc_u32_e32 v1, 29, v1
	v_lshlrev_b64 v[2:3], v2, v[28:29]
	v_and_b32_e32 v84, 7, v2
; %bb.207:                              ;   in Loop: Header=BB358_13 Depth=1
	s_or_b32 exec_lo, exec_lo, s28
	v_mov_b32_e32 v2, 24
	v_lshl_add_u32 v1, v1, 23, 0x3c000000
	v_lshlrev_b32_sdwa v0, v2, v0 dst_sel:DWORD dst_unused:UNUSED_PAD src0_sel:DWORD src1_sel:BYTE_3
	v_lshlrev_b32_e32 v2, 20, v84
	v_and_b32_e32 v0, 0x80000000, v0
	v_or3_b32 v0, v2, v0, v1
	buffer_store_dword v0, off, s[0:3], s32 offset:244 ; 4-byte Folded Spill
.LBB358_208:                            ;   in Loop: Header=BB358_13 Depth=1
	s_or_b32 exec_lo, exec_lo, s27
.LBB358_209:                            ;   in Loop: Header=BB358_13 Depth=1
	s_or_b32 exec_lo, exec_lo, s26
.LBB358_210:                            ;   in Loop: Header=BB358_13 Depth=1
	s_or_b32 exec_lo, exec_lo, s8
	flat_load_dword v0, v[82:83] offset:768
	v_mov_b32_e32 v1, 0
	buffer_store_dword v1, off, s[0:3], s32 offset:252 ; 4-byte Folded Spill
	v_mov_b32_e32 v1, 0
	buffer_store_dword v1, off, s[0:3], s32 offset:256 ; 4-byte Folded Spill
	s_waitcnt vmcnt(0) lgkmcnt(0)
	v_cmp_ne_u16_sdwa s7, v0, v29 src0_sel:BYTE_0 src1_sel:DWORD
	s_and_saveexec_b32 s8, s7
	s_cbranch_execz .LBB358_218
; %bb.211:                              ;   in Loop: Header=BB358_13 Depth=1
	v_cmp_ne_u16_sdwa s7, v0, v42 src0_sel:BYTE_0 src1_sel:DWORD
	v_bfrev_b32_e32 v1, 1
	buffer_store_dword v1, off, s[0:3], s32 offset:256 ; 4-byte Folded Spill
	s_and_saveexec_b32 s26, s7
	s_cbranch_execz .LBB358_217
; %bb.212:                              ;   in Loop: Header=BB358_13 Depth=1
	v_and_b32_e32 v2, 0x7f, v0
	v_mov_b32_e32 v1, 0x7f800001
	s_mov_b32 s27, exec_lo
	buffer_store_dword v1, off, s[0:3], s32 offset:256 ; 4-byte Folded Spill
	v_cmpx_ne_u32_e32 0x7f, v2
	s_cbranch_execz .LBB358_216
; %bb.213:                              ;   in Loop: Header=BB358_13 Depth=1
	v_and_b32_e32 v28, 7, v0
	v_mov_b32_e32 v85, v29
	v_lshrrev_b32_e32 v1, 3, v2
	s_mov_b32 s28, exec_lo
	v_mov_b32_e32 v84, v28
	v_cmpx_gt_u32_e32 8, v2
; %bb.214:                              ;   in Loop: Header=BB358_13 Depth=1
	v_ffbh_u32_e32 v1, v28
	v_min_u32_e32 v1, 32, v1
	v_subrev_nc_u32_e32 v2, 28, v1
	v_sub_nc_u32_e32 v1, 29, v1
	v_lshlrev_b64 v[2:3], v2, v[28:29]
	v_and_b32_e32 v84, 7, v2
; %bb.215:                              ;   in Loop: Header=BB358_13 Depth=1
	s_or_b32 exec_lo, exec_lo, s28
	v_lshlrev_b32_e32 v2, 24, v0
	v_lshlrev_b32_e32 v3, 20, v84
	v_lshl_add_u32 v1, v1, 23, 0x3c000000
	v_and_b32_e32 v2, 0x80000000, v2
	v_or3_b32 v1, v3, v2, v1
	buffer_store_dword v1, off, s[0:3], s32 offset:256 ; 4-byte Folded Spill
.LBB358_216:                            ;   in Loop: Header=BB358_13 Depth=1
	s_or_b32 exec_lo, exec_lo, s27
.LBB358_217:                            ;   in Loop: Header=BB358_13 Depth=1
	s_or_b32 exec_lo, exec_lo, s26
.LBB358_218:                            ;   in Loop: Header=BB358_13 Depth=1
	s_or_b32 exec_lo, exec_lo, s8
	v_cmp_ne_u16_sdwa s7, v0, v29 src0_sel:BYTE_1 src1_sel:DWORD
	s_and_saveexec_b32 s8, s7
	s_cbranch_execz .LBB358_226
; %bb.219:                              ;   in Loop: Header=BB358_13 Depth=1
	v_cmp_ne_u16_sdwa s7, v0, v42 src0_sel:BYTE_1 src1_sel:DWORD
	v_bfrev_b32_e32 v1, 1
	buffer_store_dword v1, off, s[0:3], s32 offset:252 ; 4-byte Folded Spill
	s_and_saveexec_b32 s26, s7
	s_cbranch_execz .LBB358_225
; %bb.220:                              ;   in Loop: Header=BB358_13 Depth=1
	v_mov_b32_e32 v1, 0xffff
	v_mov_b32_e32 v3, 0x7f800001
	s_mov_b32 s27, exec_lo
	v_and_b32_sdwa v1, v1, v0 dst_sel:DWORD dst_unused:UNUSED_PAD src0_sel:DWORD src1_sel:BYTE_1
	buffer_store_dword v3, off, s[0:3], s32 offset:252 ; 4-byte Folded Spill
	v_and_b32_e32 v2, 0x7f, v1
	v_cmpx_ne_u32_e32 0x7f, v2
	s_cbranch_execz .LBB358_224
; %bb.221:                              ;   in Loop: Header=BB358_13 Depth=1
	v_and_b32_e32 v28, 7, v1
	v_mov_b32_e32 v85, v29
	v_lshrrev_b32_e32 v1, 3, v2
	s_mov_b32 s28, exec_lo
	v_mov_b32_e32 v84, v28
	v_cmpx_gt_u32_e32 8, v2
; %bb.222:                              ;   in Loop: Header=BB358_13 Depth=1
	v_ffbh_u32_e32 v1, v28
	v_min_u32_e32 v1, 32, v1
	v_subrev_nc_u32_e32 v2, 28, v1
	v_sub_nc_u32_e32 v1, 29, v1
	v_lshlrev_b64 v[2:3], v2, v[28:29]
	v_and_b32_e32 v84, 7, v2
; %bb.223:                              ;   in Loop: Header=BB358_13 Depth=1
	s_or_b32 exec_lo, exec_lo, s28
	v_lshlrev_b32_e32 v2, 16, v0
	v_lshlrev_b32_e32 v3, 20, v84
	v_lshl_add_u32 v1, v1, 23, 0x3c000000
	v_and_b32_e32 v2, 0x80000000, v2
	v_or3_b32 v1, v3, v2, v1
	buffer_store_dword v1, off, s[0:3], s32 offset:252 ; 4-byte Folded Spill
.LBB358_224:                            ;   in Loop: Header=BB358_13 Depth=1
	s_or_b32 exec_lo, exec_lo, s27
.LBB358_225:                            ;   in Loop: Header=BB358_13 Depth=1
	s_or_b32 exec_lo, exec_lo, s26
.LBB358_226:                            ;   in Loop: Header=BB358_13 Depth=1
	s_or_b32 exec_lo, exec_lo, s8
	v_mov_b32_e32 v2, 0
	v_and_b32_sdwa v1, v0, v56 dst_sel:DWORD dst_unused:UNUSED_PAD src0_sel:WORD_1 src1_sel:DWORD
	s_mov_b32 s8, exec_lo
	buffer_store_dword v2, off, s[0:3], s32 offset:268 ; 4-byte Folded Spill
	v_mov_b32_e32 v2, 0
	buffer_store_dword v2, off, s[0:3], s32 offset:424 ; 4-byte Folded Spill
	v_cmpx_ne_u16_e32 0, v1
	s_cbranch_execz .LBB358_234
; %bb.227:                              ;   in Loop: Header=BB358_13 Depth=1
	v_cmp_ne_u16_e64 s7, 0x80, v1
	v_bfrev_b32_e32 v1, 1
	s_and_saveexec_b32 s26, s7
	s_cbranch_execz .LBB358_233
; %bb.228:                              ;   in Loop: Header=BB358_13 Depth=1
	v_bfe_u32 v2, v0, 16, 7
	v_mov_b32_e32 v1, 0x7f800001
	s_mov_b32 s27, exec_lo
	v_cmpx_ne_u32_e32 0x7f, v2
	s_cbranch_execz .LBB358_232
; %bb.229:                              ;   in Loop: Header=BB358_13 Depth=1
	v_mov_b32_e32 v1, 7
	s_mov_b32 s28, exec_lo
	v_and_b32_sdwa v28, v0, v1 dst_sel:DWORD dst_unused:UNUSED_PAD src0_sel:WORD_1 src1_sel:DWORD
	v_mov_b32_e32 v85, v29
	v_lshrrev_b32_e32 v1, 3, v2
	v_mov_b32_e32 v84, v28
	v_cmpx_gt_u32_e32 8, v2
; %bb.230:                              ;   in Loop: Header=BB358_13 Depth=1
	v_ffbh_u32_e32 v1, v28
	v_min_u32_e32 v1, 32, v1
	v_subrev_nc_u32_e32 v2, 28, v1
	v_sub_nc_u32_e32 v1, 29, v1
	v_lshlrev_b64 v[2:3], v2, v[28:29]
	v_and_b32_e32 v84, 7, v2
; %bb.231:                              ;   in Loop: Header=BB358_13 Depth=1
	s_or_b32 exec_lo, exec_lo, s28
	v_mov_b32_e32 v2, 24
	v_lshlrev_b32_e32 v3, 20, v84
	v_lshl_add_u32 v1, v1, 23, 0x3c000000
	v_lshlrev_b32_sdwa v2, v2, v0 dst_sel:DWORD dst_unused:UNUSED_PAD src0_sel:DWORD src1_sel:WORD_1
	v_and_b32_e32 v2, 0x80000000, v2
	v_or3_b32 v1, v3, v2, v1
.LBB358_232:                            ;   in Loop: Header=BB358_13 Depth=1
	s_or_b32 exec_lo, exec_lo, s27
.LBB358_233:                            ;   in Loop: Header=BB358_13 Depth=1
	s_or_b32 exec_lo, exec_lo, s26
	buffer_store_dword v1, off, s[0:3], s32 offset:424 ; 4-byte Folded Spill
.LBB358_234:                            ;   in Loop: Header=BB358_13 Depth=1
	s_or_b32 exec_lo, exec_lo, s8
	s_mov_b32 s8, exec_lo
	v_cmpx_lt_u32_e32 0xffffff, v0
	s_cbranch_execz .LBB358_242
; %bb.235:                              ;   in Loop: Header=BB358_13 Depth=1
	v_cmp_ne_u32_sdwa s7, v0, v42 src0_sel:BYTE_3 src1_sel:DWORD
	v_bfrev_b32_e32 v1, 1
	buffer_store_dword v1, off, s[0:3], s32 offset:268 ; 4-byte Folded Spill
	s_and_saveexec_b32 s26, s7
	s_cbranch_execz .LBB358_241
; %bb.236:                              ;   in Loop: Header=BB358_13 Depth=1
	v_bfe_u32 v2, v0, 24, 7
	v_mov_b32_e32 v1, 0x7f800001
	s_mov_b32 s27, exec_lo
	buffer_store_dword v1, off, s[0:3], s32 offset:268 ; 4-byte Folded Spill
	v_cmpx_ne_u32_e32 0x7f, v2
	s_cbranch_execz .LBB358_240
; %bb.237:                              ;   in Loop: Header=BB358_13 Depth=1
	v_mov_b32_e32 v1, 7
	s_mov_b32 s28, exec_lo
	v_and_b32_sdwa v28, v0, v1 dst_sel:DWORD dst_unused:UNUSED_PAD src0_sel:BYTE_3 src1_sel:DWORD
	v_mov_b32_e32 v85, v29
	v_lshrrev_b32_e32 v1, 3, v2
	v_mov_b32_e32 v84, v28
	v_cmpx_gt_u32_e32 8, v2
; %bb.238:                              ;   in Loop: Header=BB358_13 Depth=1
	v_ffbh_u32_e32 v1, v28
	v_min_u32_e32 v1, 32, v1
	v_subrev_nc_u32_e32 v2, 28, v1
	v_sub_nc_u32_e32 v1, 29, v1
	v_lshlrev_b64 v[2:3], v2, v[28:29]
	v_and_b32_e32 v84, 7, v2
; %bb.239:                              ;   in Loop: Header=BB358_13 Depth=1
	s_or_b32 exec_lo, exec_lo, s28
	v_mov_b32_e32 v2, 24
	v_lshl_add_u32 v1, v1, 23, 0x3c000000
	v_lshlrev_b32_sdwa v0, v2, v0 dst_sel:DWORD dst_unused:UNUSED_PAD src0_sel:DWORD src1_sel:BYTE_3
	v_lshlrev_b32_e32 v2, 20, v84
	v_and_b32_e32 v0, 0x80000000, v0
	v_or3_b32 v0, v2, v0, v1
	buffer_store_dword v0, off, s[0:3], s32 offset:268 ; 4-byte Folded Spill
.LBB358_240:                            ;   in Loop: Header=BB358_13 Depth=1
	s_or_b32 exec_lo, exec_lo, s27
.LBB358_241:                            ;   in Loop: Header=BB358_13 Depth=1
	s_or_b32 exec_lo, exec_lo, s26
.LBB358_242:                            ;   in Loop: Header=BB358_13 Depth=1
	s_or_b32 exec_lo, exec_lo, s8
	flat_load_dword v0, v[82:83] offset:776
	v_mov_b32_e32 v1, 0
	buffer_store_dword v1, off, s[0:3], s32 offset:276 ; 4-byte Folded Spill
	v_mov_b32_e32 v1, 0
	buffer_store_dword v1, off, s[0:3], s32 offset:280 ; 4-byte Folded Spill
	s_waitcnt vmcnt(0) lgkmcnt(0)
	v_cmp_ne_u16_sdwa s7, v0, v29 src0_sel:BYTE_0 src1_sel:DWORD
	s_and_saveexec_b32 s8, s7
	s_cbranch_execz .LBB358_250
; %bb.243:                              ;   in Loop: Header=BB358_13 Depth=1
	v_cmp_ne_u16_sdwa s7, v0, v42 src0_sel:BYTE_0 src1_sel:DWORD
	v_bfrev_b32_e32 v1, 1
	buffer_store_dword v1, off, s[0:3], s32 offset:280 ; 4-byte Folded Spill
	s_and_saveexec_b32 s26, s7
	s_cbranch_execz .LBB358_249
; %bb.244:                              ;   in Loop: Header=BB358_13 Depth=1
	v_and_b32_e32 v2, 0x7f, v0
	v_mov_b32_e32 v1, 0x7f800001
	s_mov_b32 s27, exec_lo
	buffer_store_dword v1, off, s[0:3], s32 offset:280 ; 4-byte Folded Spill
	v_cmpx_ne_u32_e32 0x7f, v2
	s_cbranch_execz .LBB358_248
; %bb.245:                              ;   in Loop: Header=BB358_13 Depth=1
	v_and_b32_e32 v28, 7, v0
	v_mov_b32_e32 v85, v29
	v_lshrrev_b32_e32 v1, 3, v2
	s_mov_b32 s28, exec_lo
	v_mov_b32_e32 v84, v28
	v_cmpx_gt_u32_e32 8, v2
; %bb.246:                              ;   in Loop: Header=BB358_13 Depth=1
	v_ffbh_u32_e32 v1, v28
	v_min_u32_e32 v1, 32, v1
	v_subrev_nc_u32_e32 v2, 28, v1
	v_sub_nc_u32_e32 v1, 29, v1
	v_lshlrev_b64 v[2:3], v2, v[28:29]
	v_and_b32_e32 v84, 7, v2
; %bb.247:                              ;   in Loop: Header=BB358_13 Depth=1
	s_or_b32 exec_lo, exec_lo, s28
	v_lshlrev_b32_e32 v2, 24, v0
	v_lshlrev_b32_e32 v3, 20, v84
	v_lshl_add_u32 v1, v1, 23, 0x3c000000
	v_and_b32_e32 v2, 0x80000000, v2
	v_or3_b32 v1, v3, v2, v1
	buffer_store_dword v1, off, s[0:3], s32 offset:280 ; 4-byte Folded Spill
.LBB358_248:                            ;   in Loop: Header=BB358_13 Depth=1
	s_or_b32 exec_lo, exec_lo, s27
.LBB358_249:                            ;   in Loop: Header=BB358_13 Depth=1
	s_or_b32 exec_lo, exec_lo, s26
.LBB358_250:                            ;   in Loop: Header=BB358_13 Depth=1
	s_or_b32 exec_lo, exec_lo, s8
	v_cmp_ne_u16_sdwa s7, v0, v29 src0_sel:BYTE_1 src1_sel:DWORD
	s_and_saveexec_b32 s8, s7
	s_cbranch_execz .LBB358_258
; %bb.251:                              ;   in Loop: Header=BB358_13 Depth=1
	v_cmp_ne_u16_sdwa s7, v0, v42 src0_sel:BYTE_1 src1_sel:DWORD
	v_bfrev_b32_e32 v1, 1
	buffer_store_dword v1, off, s[0:3], s32 offset:276 ; 4-byte Folded Spill
	s_and_saveexec_b32 s26, s7
	s_cbranch_execz .LBB358_257
; %bb.252:                              ;   in Loop: Header=BB358_13 Depth=1
	v_mov_b32_e32 v1, 0xffff
	v_mov_b32_e32 v3, 0x7f800001
	s_mov_b32 s27, exec_lo
	v_and_b32_sdwa v1, v1, v0 dst_sel:DWORD dst_unused:UNUSED_PAD src0_sel:DWORD src1_sel:BYTE_1
	buffer_store_dword v3, off, s[0:3], s32 offset:276 ; 4-byte Folded Spill
	v_and_b32_e32 v2, 0x7f, v1
	v_cmpx_ne_u32_e32 0x7f, v2
	s_cbranch_execz .LBB358_256
; %bb.253:                              ;   in Loop: Header=BB358_13 Depth=1
	v_and_b32_e32 v28, 7, v1
	v_mov_b32_e32 v85, v29
	v_lshrrev_b32_e32 v1, 3, v2
	s_mov_b32 s28, exec_lo
	v_mov_b32_e32 v84, v28
	v_cmpx_gt_u32_e32 8, v2
; %bb.254:                              ;   in Loop: Header=BB358_13 Depth=1
	v_ffbh_u32_e32 v1, v28
	v_min_u32_e32 v1, 32, v1
	v_subrev_nc_u32_e32 v2, 28, v1
	v_sub_nc_u32_e32 v1, 29, v1
	v_lshlrev_b64 v[2:3], v2, v[28:29]
	v_and_b32_e32 v84, 7, v2
; %bb.255:                              ;   in Loop: Header=BB358_13 Depth=1
	s_or_b32 exec_lo, exec_lo, s28
	v_lshlrev_b32_e32 v2, 16, v0
	v_lshlrev_b32_e32 v3, 20, v84
	v_lshl_add_u32 v1, v1, 23, 0x3c000000
	v_and_b32_e32 v2, 0x80000000, v2
	v_or3_b32 v1, v3, v2, v1
	buffer_store_dword v1, off, s[0:3], s32 offset:276 ; 4-byte Folded Spill
.LBB358_256:                            ;   in Loop: Header=BB358_13 Depth=1
	s_or_b32 exec_lo, exec_lo, s27
.LBB358_257:                            ;   in Loop: Header=BB358_13 Depth=1
	s_or_b32 exec_lo, exec_lo, s26
.LBB358_258:                            ;   in Loop: Header=BB358_13 Depth=1
	s_or_b32 exec_lo, exec_lo, s8
	v_mov_b32_e32 v2, 0
	v_and_b32_sdwa v1, v0, v56 dst_sel:DWORD dst_unused:UNUSED_PAD src0_sel:WORD_1 src1_sel:DWORD
	s_mov_b32 s8, exec_lo
	buffer_store_dword v2, off, s[0:3], s32 offset:248 ; 4-byte Folded Spill
	v_mov_b32_e32 v2, 0
	buffer_store_dword v2, off, s[0:3], s32 offset:432 ; 4-byte Folded Spill
	v_cmpx_ne_u16_e32 0, v1
	s_cbranch_execz .LBB358_266
; %bb.259:                              ;   in Loop: Header=BB358_13 Depth=1
	v_cmp_ne_u16_e64 s7, 0x80, v1
	v_bfrev_b32_e32 v1, 1
	s_and_saveexec_b32 s26, s7
	s_cbranch_execz .LBB358_265
; %bb.260:                              ;   in Loop: Header=BB358_13 Depth=1
	v_bfe_u32 v2, v0, 16, 7
	v_mov_b32_e32 v1, 0x7f800001
	s_mov_b32 s27, exec_lo
	v_cmpx_ne_u32_e32 0x7f, v2
	s_cbranch_execz .LBB358_264
; %bb.261:                              ;   in Loop: Header=BB358_13 Depth=1
	v_mov_b32_e32 v1, 7
	s_mov_b32 s28, exec_lo
	v_and_b32_sdwa v28, v0, v1 dst_sel:DWORD dst_unused:UNUSED_PAD src0_sel:WORD_1 src1_sel:DWORD
	v_mov_b32_e32 v85, v29
	v_lshrrev_b32_e32 v1, 3, v2
	v_mov_b32_e32 v84, v28
	v_cmpx_gt_u32_e32 8, v2
; %bb.262:                              ;   in Loop: Header=BB358_13 Depth=1
	v_ffbh_u32_e32 v1, v28
	v_min_u32_e32 v1, 32, v1
	v_subrev_nc_u32_e32 v2, 28, v1
	v_sub_nc_u32_e32 v1, 29, v1
	v_lshlrev_b64 v[2:3], v2, v[28:29]
	v_and_b32_e32 v84, 7, v2
; %bb.263:                              ;   in Loop: Header=BB358_13 Depth=1
	s_or_b32 exec_lo, exec_lo, s28
	v_mov_b32_e32 v2, 24
	v_lshlrev_b32_e32 v3, 20, v84
	v_lshl_add_u32 v1, v1, 23, 0x3c000000
	v_lshlrev_b32_sdwa v2, v2, v0 dst_sel:DWORD dst_unused:UNUSED_PAD src0_sel:DWORD src1_sel:WORD_1
	v_and_b32_e32 v2, 0x80000000, v2
	v_or3_b32 v1, v3, v2, v1
.LBB358_264:                            ;   in Loop: Header=BB358_13 Depth=1
	s_or_b32 exec_lo, exec_lo, s27
.LBB358_265:                            ;   in Loop: Header=BB358_13 Depth=1
	s_or_b32 exec_lo, exec_lo, s26
	buffer_store_dword v1, off, s[0:3], s32 offset:432 ; 4-byte Folded Spill
.LBB358_266:                            ;   in Loop: Header=BB358_13 Depth=1
	s_or_b32 exec_lo, exec_lo, s8
	s_mov_b32 s8, exec_lo
	v_cmpx_lt_u32_e32 0xffffff, v0
	s_cbranch_execz .LBB358_274
; %bb.267:                              ;   in Loop: Header=BB358_13 Depth=1
	v_cmp_ne_u32_sdwa s7, v0, v42 src0_sel:BYTE_3 src1_sel:DWORD
	v_bfrev_b32_e32 v1, 1
	buffer_store_dword v1, off, s[0:3], s32 offset:248 ; 4-byte Folded Spill
	s_and_saveexec_b32 s26, s7
	s_cbranch_execz .LBB358_273
; %bb.268:                              ;   in Loop: Header=BB358_13 Depth=1
	v_bfe_u32 v2, v0, 24, 7
	v_mov_b32_e32 v1, 0x7f800001
	s_mov_b32 s27, exec_lo
	buffer_store_dword v1, off, s[0:3], s32 offset:248 ; 4-byte Folded Spill
	v_cmpx_ne_u32_e32 0x7f, v2
	s_cbranch_execz .LBB358_272
; %bb.269:                              ;   in Loop: Header=BB358_13 Depth=1
	v_mov_b32_e32 v1, 7
	s_mov_b32 s28, exec_lo
	v_and_b32_sdwa v28, v0, v1 dst_sel:DWORD dst_unused:UNUSED_PAD src0_sel:BYTE_3 src1_sel:DWORD
	v_mov_b32_e32 v85, v29
	v_lshrrev_b32_e32 v1, 3, v2
	v_mov_b32_e32 v84, v28
	v_cmpx_gt_u32_e32 8, v2
; %bb.270:                              ;   in Loop: Header=BB358_13 Depth=1
	v_ffbh_u32_e32 v1, v28
	v_min_u32_e32 v1, 32, v1
	v_subrev_nc_u32_e32 v2, 28, v1
	v_sub_nc_u32_e32 v1, 29, v1
	v_lshlrev_b64 v[2:3], v2, v[28:29]
	v_and_b32_e32 v84, 7, v2
; %bb.271:                              ;   in Loop: Header=BB358_13 Depth=1
	s_or_b32 exec_lo, exec_lo, s28
	v_mov_b32_e32 v2, 24
	v_lshl_add_u32 v1, v1, 23, 0x3c000000
	v_lshlrev_b32_sdwa v0, v2, v0 dst_sel:DWORD dst_unused:UNUSED_PAD src0_sel:DWORD src1_sel:BYTE_3
	v_lshlrev_b32_e32 v2, 20, v84
	v_and_b32_e32 v0, 0x80000000, v0
	v_or3_b32 v0, v2, v0, v1
	buffer_store_dword v0, off, s[0:3], s32 offset:248 ; 4-byte Folded Spill
.LBB358_272:                            ;   in Loop: Header=BB358_13 Depth=1
	s_or_b32 exec_lo, exec_lo, s27
.LBB358_273:                            ;   in Loop: Header=BB358_13 Depth=1
	s_or_b32 exec_lo, exec_lo, s26
.LBB358_274:                            ;   in Loop: Header=BB358_13 Depth=1
	s_or_b32 exec_lo, exec_lo, s8
	flat_load_dword v0, v[82:83] offset:1024
	v_mov_b32_e32 v1, 0
	buffer_store_dword v1, off, s[0:3], s32 offset:260 ; 4-byte Folded Spill
	v_mov_b32_e32 v1, 0
	buffer_store_dword v1, off, s[0:3], s32 offset:264 ; 4-byte Folded Spill
	s_waitcnt vmcnt(0) lgkmcnt(0)
	v_cmp_ne_u16_sdwa s7, v0, v29 src0_sel:BYTE_0 src1_sel:DWORD
	s_and_saveexec_b32 s8, s7
	s_cbranch_execz .LBB358_282
; %bb.275:                              ;   in Loop: Header=BB358_13 Depth=1
	v_cmp_ne_u16_sdwa s7, v0, v42 src0_sel:BYTE_0 src1_sel:DWORD
	v_bfrev_b32_e32 v1, 1
	buffer_store_dword v1, off, s[0:3], s32 offset:264 ; 4-byte Folded Spill
	s_and_saveexec_b32 s26, s7
	s_cbranch_execz .LBB358_281
; %bb.276:                              ;   in Loop: Header=BB358_13 Depth=1
	v_and_b32_e32 v2, 0x7f, v0
	v_mov_b32_e32 v1, 0x7f800001
	s_mov_b32 s27, exec_lo
	buffer_store_dword v1, off, s[0:3], s32 offset:264 ; 4-byte Folded Spill
	v_cmpx_ne_u32_e32 0x7f, v2
	s_cbranch_execz .LBB358_280
; %bb.277:                              ;   in Loop: Header=BB358_13 Depth=1
	v_and_b32_e32 v28, 7, v0
	v_mov_b32_e32 v85, v29
	v_lshrrev_b32_e32 v1, 3, v2
	s_mov_b32 s28, exec_lo
	v_mov_b32_e32 v84, v28
	v_cmpx_gt_u32_e32 8, v2
; %bb.278:                              ;   in Loop: Header=BB358_13 Depth=1
	v_ffbh_u32_e32 v1, v28
	v_min_u32_e32 v1, 32, v1
	v_subrev_nc_u32_e32 v2, 28, v1
	v_sub_nc_u32_e32 v1, 29, v1
	v_lshlrev_b64 v[2:3], v2, v[28:29]
	v_and_b32_e32 v84, 7, v2
; %bb.279:                              ;   in Loop: Header=BB358_13 Depth=1
	s_or_b32 exec_lo, exec_lo, s28
	v_lshlrev_b32_e32 v2, 24, v0
	v_lshlrev_b32_e32 v3, 20, v84
	v_lshl_add_u32 v1, v1, 23, 0x3c000000
	v_and_b32_e32 v2, 0x80000000, v2
	v_or3_b32 v1, v3, v2, v1
	buffer_store_dword v1, off, s[0:3], s32 offset:264 ; 4-byte Folded Spill
.LBB358_280:                            ;   in Loop: Header=BB358_13 Depth=1
	s_or_b32 exec_lo, exec_lo, s27
.LBB358_281:                            ;   in Loop: Header=BB358_13 Depth=1
	s_or_b32 exec_lo, exec_lo, s26
.LBB358_282:                            ;   in Loop: Header=BB358_13 Depth=1
	s_or_b32 exec_lo, exec_lo, s8
	v_cmp_ne_u16_sdwa s7, v0, v29 src0_sel:BYTE_1 src1_sel:DWORD
	s_and_saveexec_b32 s8, s7
	s_cbranch_execz .LBB358_290
; %bb.283:                              ;   in Loop: Header=BB358_13 Depth=1
	v_cmp_ne_u16_sdwa s7, v0, v42 src0_sel:BYTE_1 src1_sel:DWORD
	v_bfrev_b32_e32 v1, 1
	buffer_store_dword v1, off, s[0:3], s32 offset:260 ; 4-byte Folded Spill
	s_and_saveexec_b32 s26, s7
	s_cbranch_execz .LBB358_289
; %bb.284:                              ;   in Loop: Header=BB358_13 Depth=1
	v_mov_b32_e32 v1, 0xffff
	v_mov_b32_e32 v3, 0x7f800001
	s_mov_b32 s27, exec_lo
	v_and_b32_sdwa v1, v1, v0 dst_sel:DWORD dst_unused:UNUSED_PAD src0_sel:DWORD src1_sel:BYTE_1
	buffer_store_dword v3, off, s[0:3], s32 offset:260 ; 4-byte Folded Spill
	v_and_b32_e32 v2, 0x7f, v1
	v_cmpx_ne_u32_e32 0x7f, v2
	s_cbranch_execz .LBB358_288
; %bb.285:                              ;   in Loop: Header=BB358_13 Depth=1
	v_and_b32_e32 v28, 7, v1
	v_mov_b32_e32 v85, v29
	v_lshrrev_b32_e32 v1, 3, v2
	s_mov_b32 s28, exec_lo
	v_mov_b32_e32 v84, v28
	v_cmpx_gt_u32_e32 8, v2
; %bb.286:                              ;   in Loop: Header=BB358_13 Depth=1
	v_ffbh_u32_e32 v1, v28
	v_min_u32_e32 v1, 32, v1
	v_subrev_nc_u32_e32 v2, 28, v1
	v_sub_nc_u32_e32 v1, 29, v1
	v_lshlrev_b64 v[2:3], v2, v[28:29]
	v_and_b32_e32 v84, 7, v2
; %bb.287:                              ;   in Loop: Header=BB358_13 Depth=1
	s_or_b32 exec_lo, exec_lo, s28
	v_lshlrev_b32_e32 v2, 16, v0
	v_lshlrev_b32_e32 v3, 20, v84
	v_lshl_add_u32 v1, v1, 23, 0x3c000000
	v_and_b32_e32 v2, 0x80000000, v2
	v_or3_b32 v1, v3, v2, v1
	buffer_store_dword v1, off, s[0:3], s32 offset:260 ; 4-byte Folded Spill
.LBB358_288:                            ;   in Loop: Header=BB358_13 Depth=1
	s_or_b32 exec_lo, exec_lo, s27
.LBB358_289:                            ;   in Loop: Header=BB358_13 Depth=1
	s_or_b32 exec_lo, exec_lo, s26
.LBB358_290:                            ;   in Loop: Header=BB358_13 Depth=1
	s_or_b32 exec_lo, exec_lo, s8
	v_mov_b32_e32 v2, 0
	v_and_b32_sdwa v1, v0, v56 dst_sel:DWORD dst_unused:UNUSED_PAD src0_sel:WORD_1 src1_sel:DWORD
	s_mov_b32 s8, exec_lo
	buffer_store_dword v2, off, s[0:3], s32 offset:272 ; 4-byte Folded Spill
	v_mov_b32_e32 v2, 0
	buffer_store_dword v2, off, s[0:3], s32 offset:428 ; 4-byte Folded Spill
	v_cmpx_ne_u16_e32 0, v1
	s_cbranch_execz .LBB358_298
; %bb.291:                              ;   in Loop: Header=BB358_13 Depth=1
	v_cmp_ne_u16_e64 s7, 0x80, v1
	v_bfrev_b32_e32 v1, 1
	s_and_saveexec_b32 s26, s7
	s_cbranch_execz .LBB358_297
; %bb.292:                              ;   in Loop: Header=BB358_13 Depth=1
	v_bfe_u32 v2, v0, 16, 7
	v_mov_b32_e32 v1, 0x7f800001
	s_mov_b32 s27, exec_lo
	v_cmpx_ne_u32_e32 0x7f, v2
	s_cbranch_execz .LBB358_296
; %bb.293:                              ;   in Loop: Header=BB358_13 Depth=1
	v_mov_b32_e32 v1, 7
	s_mov_b32 s28, exec_lo
	v_and_b32_sdwa v28, v0, v1 dst_sel:DWORD dst_unused:UNUSED_PAD src0_sel:WORD_1 src1_sel:DWORD
	v_mov_b32_e32 v85, v29
	v_lshrrev_b32_e32 v1, 3, v2
	v_mov_b32_e32 v84, v28
	v_cmpx_gt_u32_e32 8, v2
; %bb.294:                              ;   in Loop: Header=BB358_13 Depth=1
	v_ffbh_u32_e32 v1, v28
	v_min_u32_e32 v1, 32, v1
	v_subrev_nc_u32_e32 v2, 28, v1
	v_sub_nc_u32_e32 v1, 29, v1
	v_lshlrev_b64 v[2:3], v2, v[28:29]
	v_and_b32_e32 v84, 7, v2
; %bb.295:                              ;   in Loop: Header=BB358_13 Depth=1
	s_or_b32 exec_lo, exec_lo, s28
	v_mov_b32_e32 v2, 24
	v_lshlrev_b32_e32 v3, 20, v84
	v_lshl_add_u32 v1, v1, 23, 0x3c000000
	v_lshlrev_b32_sdwa v2, v2, v0 dst_sel:DWORD dst_unused:UNUSED_PAD src0_sel:DWORD src1_sel:WORD_1
	v_and_b32_e32 v2, 0x80000000, v2
	v_or3_b32 v1, v3, v2, v1
.LBB358_296:                            ;   in Loop: Header=BB358_13 Depth=1
	s_or_b32 exec_lo, exec_lo, s27
.LBB358_297:                            ;   in Loop: Header=BB358_13 Depth=1
	s_or_b32 exec_lo, exec_lo, s26
	buffer_store_dword v1, off, s[0:3], s32 offset:428 ; 4-byte Folded Spill
.LBB358_298:                            ;   in Loop: Header=BB358_13 Depth=1
	s_or_b32 exec_lo, exec_lo, s8
	s_mov_b32 s8, exec_lo
	v_cmpx_lt_u32_e32 0xffffff, v0
	s_cbranch_execz .LBB358_306
; %bb.299:                              ;   in Loop: Header=BB358_13 Depth=1
	v_cmp_ne_u32_sdwa s7, v0, v42 src0_sel:BYTE_3 src1_sel:DWORD
	v_bfrev_b32_e32 v1, 1
	buffer_store_dword v1, off, s[0:3], s32 offset:272 ; 4-byte Folded Spill
	s_and_saveexec_b32 s26, s7
	s_cbranch_execz .LBB358_305
; %bb.300:                              ;   in Loop: Header=BB358_13 Depth=1
	v_bfe_u32 v2, v0, 24, 7
	v_mov_b32_e32 v1, 0x7f800001
	s_mov_b32 s27, exec_lo
	buffer_store_dword v1, off, s[0:3], s32 offset:272 ; 4-byte Folded Spill
	v_cmpx_ne_u32_e32 0x7f, v2
	s_cbranch_execz .LBB358_304
; %bb.301:                              ;   in Loop: Header=BB358_13 Depth=1
	v_mov_b32_e32 v1, 7
	s_mov_b32 s28, exec_lo
	v_and_b32_sdwa v28, v0, v1 dst_sel:DWORD dst_unused:UNUSED_PAD src0_sel:BYTE_3 src1_sel:DWORD
	v_mov_b32_e32 v85, v29
	v_lshrrev_b32_e32 v1, 3, v2
	v_mov_b32_e32 v84, v28
	v_cmpx_gt_u32_e32 8, v2
; %bb.302:                              ;   in Loop: Header=BB358_13 Depth=1
	v_ffbh_u32_e32 v1, v28
	v_min_u32_e32 v1, 32, v1
	v_subrev_nc_u32_e32 v2, 28, v1
	v_sub_nc_u32_e32 v1, 29, v1
	v_lshlrev_b64 v[2:3], v2, v[28:29]
	v_and_b32_e32 v84, 7, v2
; %bb.303:                              ;   in Loop: Header=BB358_13 Depth=1
	s_or_b32 exec_lo, exec_lo, s28
	v_mov_b32_e32 v2, 24
	v_lshl_add_u32 v1, v1, 23, 0x3c000000
	v_lshlrev_b32_sdwa v0, v2, v0 dst_sel:DWORD dst_unused:UNUSED_PAD src0_sel:DWORD src1_sel:BYTE_3
	v_lshlrev_b32_e32 v2, 20, v84
	v_and_b32_e32 v0, 0x80000000, v0
	v_or3_b32 v0, v2, v0, v1
	buffer_store_dword v0, off, s[0:3], s32 offset:272 ; 4-byte Folded Spill
.LBB358_304:                            ;   in Loop: Header=BB358_13 Depth=1
	s_or_b32 exec_lo, exec_lo, s27
.LBB358_305:                            ;   in Loop: Header=BB358_13 Depth=1
	s_or_b32 exec_lo, exec_lo, s26
.LBB358_306:                            ;   in Loop: Header=BB358_13 Depth=1
	s_or_b32 exec_lo, exec_lo, s8
	flat_load_dword v0, v[82:83] offset:1032
	v_mov_b32_e32 v1, 0
	buffer_store_dword v1, off, s[0:3], s32 offset:288 ; 4-byte Folded Spill
	v_mov_b32_e32 v1, 0
	buffer_store_dword v1, off, s[0:3], s32 offset:284 ; 4-byte Folded Spill
	s_waitcnt vmcnt(0) lgkmcnt(0)
	v_cmp_ne_u16_sdwa s7, v0, v29 src0_sel:BYTE_0 src1_sel:DWORD
	s_and_saveexec_b32 s8, s7
	s_cbranch_execz .LBB358_314
; %bb.307:                              ;   in Loop: Header=BB358_13 Depth=1
	v_cmp_ne_u16_sdwa s7, v0, v42 src0_sel:BYTE_0 src1_sel:DWORD
	v_bfrev_b32_e32 v1, 1
	buffer_store_dword v1, off, s[0:3], s32 offset:284 ; 4-byte Folded Spill
	s_and_saveexec_b32 s26, s7
	s_cbranch_execz .LBB358_313
; %bb.308:                              ;   in Loop: Header=BB358_13 Depth=1
	v_and_b32_e32 v2, 0x7f, v0
	v_mov_b32_e32 v1, 0x7f800001
	s_mov_b32 s27, exec_lo
	buffer_store_dword v1, off, s[0:3], s32 offset:284 ; 4-byte Folded Spill
	v_cmpx_ne_u32_e32 0x7f, v2
	s_cbranch_execz .LBB358_312
; %bb.309:                              ;   in Loop: Header=BB358_13 Depth=1
	v_and_b32_e32 v28, 7, v0
	v_mov_b32_e32 v85, v29
	v_lshrrev_b32_e32 v1, 3, v2
	s_mov_b32 s28, exec_lo
	v_mov_b32_e32 v84, v28
	v_cmpx_gt_u32_e32 8, v2
; %bb.310:                              ;   in Loop: Header=BB358_13 Depth=1
	v_ffbh_u32_e32 v1, v28
	v_min_u32_e32 v1, 32, v1
	v_subrev_nc_u32_e32 v2, 28, v1
	v_sub_nc_u32_e32 v1, 29, v1
	v_lshlrev_b64 v[2:3], v2, v[28:29]
	v_and_b32_e32 v84, 7, v2
; %bb.311:                              ;   in Loop: Header=BB358_13 Depth=1
	s_or_b32 exec_lo, exec_lo, s28
	v_lshlrev_b32_e32 v2, 24, v0
	v_lshlrev_b32_e32 v3, 20, v84
	v_lshl_add_u32 v1, v1, 23, 0x3c000000
	v_and_b32_e32 v2, 0x80000000, v2
	v_or3_b32 v1, v3, v2, v1
	buffer_store_dword v1, off, s[0:3], s32 offset:284 ; 4-byte Folded Spill
.LBB358_312:                            ;   in Loop: Header=BB358_13 Depth=1
	s_or_b32 exec_lo, exec_lo, s27
.LBB358_313:                            ;   in Loop: Header=BB358_13 Depth=1
	s_or_b32 exec_lo, exec_lo, s26
.LBB358_314:                            ;   in Loop: Header=BB358_13 Depth=1
	s_or_b32 exec_lo, exec_lo, s8
	v_cmp_ne_u16_sdwa s7, v0, v29 src0_sel:BYTE_1 src1_sel:DWORD
	s_and_saveexec_b32 s8, s7
	s_cbranch_execz .LBB358_322
; %bb.315:                              ;   in Loop: Header=BB358_13 Depth=1
	v_cmp_ne_u16_sdwa s7, v0, v42 src0_sel:BYTE_1 src1_sel:DWORD
	v_bfrev_b32_e32 v1, 1
	buffer_store_dword v1, off, s[0:3], s32 offset:288 ; 4-byte Folded Spill
	s_and_saveexec_b32 s26, s7
	s_cbranch_execz .LBB358_321
; %bb.316:                              ;   in Loop: Header=BB358_13 Depth=1
	v_mov_b32_e32 v1, 0xffff
	v_mov_b32_e32 v3, 0x7f800001
	s_mov_b32 s27, exec_lo
	v_and_b32_sdwa v1, v1, v0 dst_sel:DWORD dst_unused:UNUSED_PAD src0_sel:DWORD src1_sel:BYTE_1
	buffer_store_dword v3, off, s[0:3], s32 offset:288 ; 4-byte Folded Spill
	v_and_b32_e32 v2, 0x7f, v1
	v_cmpx_ne_u32_e32 0x7f, v2
	s_cbranch_execz .LBB358_320
; %bb.317:                              ;   in Loop: Header=BB358_13 Depth=1
	v_and_b32_e32 v28, 7, v1
	v_mov_b32_e32 v85, v29
	v_lshrrev_b32_e32 v1, 3, v2
	s_mov_b32 s28, exec_lo
	v_mov_b32_e32 v84, v28
	v_cmpx_gt_u32_e32 8, v2
; %bb.318:                              ;   in Loop: Header=BB358_13 Depth=1
	v_ffbh_u32_e32 v1, v28
	v_min_u32_e32 v1, 32, v1
	v_subrev_nc_u32_e32 v2, 28, v1
	v_sub_nc_u32_e32 v1, 29, v1
	v_lshlrev_b64 v[2:3], v2, v[28:29]
	v_and_b32_e32 v84, 7, v2
; %bb.319:                              ;   in Loop: Header=BB358_13 Depth=1
	s_or_b32 exec_lo, exec_lo, s28
	v_lshlrev_b32_e32 v2, 16, v0
	v_lshlrev_b32_e32 v3, 20, v84
	v_lshl_add_u32 v1, v1, 23, 0x3c000000
	v_and_b32_e32 v2, 0x80000000, v2
	v_or3_b32 v1, v3, v2, v1
	buffer_store_dword v1, off, s[0:3], s32 offset:288 ; 4-byte Folded Spill
.LBB358_320:                            ;   in Loop: Header=BB358_13 Depth=1
	s_or_b32 exec_lo, exec_lo, s27
.LBB358_321:                            ;   in Loop: Header=BB358_13 Depth=1
	s_or_b32 exec_lo, exec_lo, s26
.LBB358_322:                            ;   in Loop: Header=BB358_13 Depth=1
	s_or_b32 exec_lo, exec_lo, s8
	v_mov_b32_e32 v2, 0
	v_and_b32_sdwa v1, v0, v56 dst_sel:DWORD dst_unused:UNUSED_PAD src0_sel:WORD_1 src1_sel:DWORD
	s_mov_b32 s8, exec_lo
	buffer_store_dword v2, off, s[0:3], s32 offset:292 ; 4-byte Folded Spill
	v_mov_b32_e32 v2, 0
	buffer_store_dword v2, off, s[0:3], s32 offset:436 ; 4-byte Folded Spill
	v_cmpx_ne_u16_e32 0, v1
	s_cbranch_execz .LBB358_330
; %bb.323:                              ;   in Loop: Header=BB358_13 Depth=1
	v_cmp_ne_u16_e64 s7, 0x80, v1
	v_bfrev_b32_e32 v1, 1
	s_and_saveexec_b32 s26, s7
	s_cbranch_execz .LBB358_329
; %bb.324:                              ;   in Loop: Header=BB358_13 Depth=1
	v_bfe_u32 v2, v0, 16, 7
	v_mov_b32_e32 v1, 0x7f800001
	s_mov_b32 s27, exec_lo
	v_cmpx_ne_u32_e32 0x7f, v2
	s_cbranch_execz .LBB358_328
; %bb.325:                              ;   in Loop: Header=BB358_13 Depth=1
	v_mov_b32_e32 v1, 7
	s_mov_b32 s28, exec_lo
	v_and_b32_sdwa v28, v0, v1 dst_sel:DWORD dst_unused:UNUSED_PAD src0_sel:WORD_1 src1_sel:DWORD
	v_mov_b32_e32 v85, v29
	v_lshrrev_b32_e32 v1, 3, v2
	v_mov_b32_e32 v84, v28
	v_cmpx_gt_u32_e32 8, v2
; %bb.326:                              ;   in Loop: Header=BB358_13 Depth=1
	v_ffbh_u32_e32 v1, v28
	v_min_u32_e32 v1, 32, v1
	v_subrev_nc_u32_e32 v2, 28, v1
	v_sub_nc_u32_e32 v1, 29, v1
	v_lshlrev_b64 v[2:3], v2, v[28:29]
	v_and_b32_e32 v84, 7, v2
; %bb.327:                              ;   in Loop: Header=BB358_13 Depth=1
	s_or_b32 exec_lo, exec_lo, s28
	v_mov_b32_e32 v2, 24
	v_lshlrev_b32_e32 v3, 20, v84
	v_lshl_add_u32 v1, v1, 23, 0x3c000000
	v_lshlrev_b32_sdwa v2, v2, v0 dst_sel:DWORD dst_unused:UNUSED_PAD src0_sel:DWORD src1_sel:WORD_1
	v_and_b32_e32 v2, 0x80000000, v2
	v_or3_b32 v1, v3, v2, v1
.LBB358_328:                            ;   in Loop: Header=BB358_13 Depth=1
	s_or_b32 exec_lo, exec_lo, s27
.LBB358_329:                            ;   in Loop: Header=BB358_13 Depth=1
	s_or_b32 exec_lo, exec_lo, s26
	buffer_store_dword v1, off, s[0:3], s32 offset:436 ; 4-byte Folded Spill
.LBB358_330:                            ;   in Loop: Header=BB358_13 Depth=1
	s_or_b32 exec_lo, exec_lo, s8
	s_mov_b32 s8, exec_lo
	v_cmpx_lt_u32_e32 0xffffff, v0
	s_cbranch_execz .LBB358_338
; %bb.331:                              ;   in Loop: Header=BB358_13 Depth=1
	v_cmp_ne_u32_sdwa s7, v0, v42 src0_sel:BYTE_3 src1_sel:DWORD
	v_bfrev_b32_e32 v1, 1
	buffer_store_dword v1, off, s[0:3], s32 offset:292 ; 4-byte Folded Spill
	s_and_saveexec_b32 s26, s7
	s_cbranch_execz .LBB358_337
; %bb.332:                              ;   in Loop: Header=BB358_13 Depth=1
	v_bfe_u32 v2, v0, 24, 7
	v_mov_b32_e32 v1, 0x7f800001
	s_mov_b32 s27, exec_lo
	buffer_store_dword v1, off, s[0:3], s32 offset:292 ; 4-byte Folded Spill
	v_cmpx_ne_u32_e32 0x7f, v2
	s_cbranch_execz .LBB358_336
; %bb.333:                              ;   in Loop: Header=BB358_13 Depth=1
	v_mov_b32_e32 v1, 7
	s_mov_b32 s28, exec_lo
	v_and_b32_sdwa v28, v0, v1 dst_sel:DWORD dst_unused:UNUSED_PAD src0_sel:BYTE_3 src1_sel:DWORD
	v_mov_b32_e32 v85, v29
	v_lshrrev_b32_e32 v1, 3, v2
	v_mov_b32_e32 v84, v28
	v_cmpx_gt_u32_e32 8, v2
; %bb.334:                              ;   in Loop: Header=BB358_13 Depth=1
	v_ffbh_u32_e32 v1, v28
	v_min_u32_e32 v1, 32, v1
	v_subrev_nc_u32_e32 v2, 28, v1
	v_sub_nc_u32_e32 v1, 29, v1
	v_lshlrev_b64 v[2:3], v2, v[28:29]
	v_and_b32_e32 v84, 7, v2
; %bb.335:                              ;   in Loop: Header=BB358_13 Depth=1
	s_or_b32 exec_lo, exec_lo, s28
	v_mov_b32_e32 v2, 24
	v_lshl_add_u32 v1, v1, 23, 0x3c000000
	v_lshlrev_b32_sdwa v0, v2, v0 dst_sel:DWORD dst_unused:UNUSED_PAD src0_sel:DWORD src1_sel:BYTE_3
	v_lshlrev_b32_e32 v2, 20, v84
	v_and_b32_e32 v0, 0x80000000, v0
	v_or3_b32 v0, v2, v0, v1
	buffer_store_dword v0, off, s[0:3], s32 offset:292 ; 4-byte Folded Spill
.LBB358_336:                            ;   in Loop: Header=BB358_13 Depth=1
	s_or_b32 exec_lo, exec_lo, s27
.LBB358_337:                            ;   in Loop: Header=BB358_13 Depth=1
	s_or_b32 exec_lo, exec_lo, s26
.LBB358_338:                            ;   in Loop: Header=BB358_13 Depth=1
	s_or_b32 exec_lo, exec_lo, s8
	flat_load_dword v0, v[82:83] offset:1280
	v_mov_b32_e32 v1, 0
	buffer_store_dword v1, off, s[0:3], s32 offset:300 ; 4-byte Folded Spill
	v_mov_b32_e32 v1, 0
	buffer_store_dword v1, off, s[0:3], s32 offset:296 ; 4-byte Folded Spill
	s_waitcnt vmcnt(0) lgkmcnt(0)
	v_cmp_ne_u16_sdwa s7, v0, v29 src0_sel:BYTE_0 src1_sel:DWORD
	s_and_saveexec_b32 s8, s7
	s_cbranch_execz .LBB358_346
; %bb.339:                              ;   in Loop: Header=BB358_13 Depth=1
	v_cmp_ne_u16_sdwa s7, v0, v42 src0_sel:BYTE_0 src1_sel:DWORD
	v_bfrev_b32_e32 v1, 1
	buffer_store_dword v1, off, s[0:3], s32 offset:296 ; 4-byte Folded Spill
	s_and_saveexec_b32 s26, s7
	s_cbranch_execz .LBB358_345
; %bb.340:                              ;   in Loop: Header=BB358_13 Depth=1
	v_and_b32_e32 v2, 0x7f, v0
	v_mov_b32_e32 v1, 0x7f800001
	s_mov_b32 s27, exec_lo
	buffer_store_dword v1, off, s[0:3], s32 offset:296 ; 4-byte Folded Spill
	v_cmpx_ne_u32_e32 0x7f, v2
	s_cbranch_execz .LBB358_344
; %bb.341:                              ;   in Loop: Header=BB358_13 Depth=1
	v_and_b32_e32 v28, 7, v0
	v_mov_b32_e32 v85, v29
	v_lshrrev_b32_e32 v1, 3, v2
	s_mov_b32 s28, exec_lo
	v_mov_b32_e32 v84, v28
	v_cmpx_gt_u32_e32 8, v2
; %bb.342:                              ;   in Loop: Header=BB358_13 Depth=1
	v_ffbh_u32_e32 v1, v28
	v_min_u32_e32 v1, 32, v1
	v_subrev_nc_u32_e32 v2, 28, v1
	v_sub_nc_u32_e32 v1, 29, v1
	v_lshlrev_b64 v[2:3], v2, v[28:29]
	v_and_b32_e32 v84, 7, v2
; %bb.343:                              ;   in Loop: Header=BB358_13 Depth=1
	s_or_b32 exec_lo, exec_lo, s28
	v_lshlrev_b32_e32 v2, 24, v0
	v_lshlrev_b32_e32 v3, 20, v84
	v_lshl_add_u32 v1, v1, 23, 0x3c000000
	v_and_b32_e32 v2, 0x80000000, v2
	v_or3_b32 v1, v3, v2, v1
	buffer_store_dword v1, off, s[0:3], s32 offset:296 ; 4-byte Folded Spill
.LBB358_344:                            ;   in Loop: Header=BB358_13 Depth=1
	s_or_b32 exec_lo, exec_lo, s27
.LBB358_345:                            ;   in Loop: Header=BB358_13 Depth=1
	s_or_b32 exec_lo, exec_lo, s26
.LBB358_346:                            ;   in Loop: Header=BB358_13 Depth=1
	s_or_b32 exec_lo, exec_lo, s8
	v_cmp_ne_u16_sdwa s7, v0, v29 src0_sel:BYTE_1 src1_sel:DWORD
	s_and_saveexec_b32 s8, s7
	s_cbranch_execz .LBB358_354
; %bb.347:                              ;   in Loop: Header=BB358_13 Depth=1
	v_cmp_ne_u16_sdwa s7, v0, v42 src0_sel:BYTE_1 src1_sel:DWORD
	v_bfrev_b32_e32 v1, 1
	buffer_store_dword v1, off, s[0:3], s32 offset:300 ; 4-byte Folded Spill
	s_and_saveexec_b32 s26, s7
	s_cbranch_execz .LBB358_353
; %bb.348:                              ;   in Loop: Header=BB358_13 Depth=1
	v_mov_b32_e32 v1, 0xffff
	v_mov_b32_e32 v3, 0x7f800001
	s_mov_b32 s27, exec_lo
	v_and_b32_sdwa v1, v1, v0 dst_sel:DWORD dst_unused:UNUSED_PAD src0_sel:DWORD src1_sel:BYTE_1
	buffer_store_dword v3, off, s[0:3], s32 offset:300 ; 4-byte Folded Spill
	v_and_b32_e32 v2, 0x7f, v1
	v_cmpx_ne_u32_e32 0x7f, v2
	s_cbranch_execz .LBB358_352
; %bb.349:                              ;   in Loop: Header=BB358_13 Depth=1
	v_and_b32_e32 v28, 7, v1
	v_mov_b32_e32 v85, v29
	v_lshrrev_b32_e32 v1, 3, v2
	s_mov_b32 s28, exec_lo
	v_mov_b32_e32 v84, v28
	v_cmpx_gt_u32_e32 8, v2
; %bb.350:                              ;   in Loop: Header=BB358_13 Depth=1
	v_ffbh_u32_e32 v1, v28
	v_min_u32_e32 v1, 32, v1
	v_subrev_nc_u32_e32 v2, 28, v1
	v_sub_nc_u32_e32 v1, 29, v1
	v_lshlrev_b64 v[2:3], v2, v[28:29]
	v_and_b32_e32 v84, 7, v2
; %bb.351:                              ;   in Loop: Header=BB358_13 Depth=1
	s_or_b32 exec_lo, exec_lo, s28
	v_lshlrev_b32_e32 v2, 16, v0
	v_lshlrev_b32_e32 v3, 20, v84
	v_lshl_add_u32 v1, v1, 23, 0x3c000000
	v_and_b32_e32 v2, 0x80000000, v2
	v_or3_b32 v1, v3, v2, v1
	buffer_store_dword v1, off, s[0:3], s32 offset:300 ; 4-byte Folded Spill
.LBB358_352:                            ;   in Loop: Header=BB358_13 Depth=1
	s_or_b32 exec_lo, exec_lo, s27
.LBB358_353:                            ;   in Loop: Header=BB358_13 Depth=1
	s_or_b32 exec_lo, exec_lo, s26
.LBB358_354:                            ;   in Loop: Header=BB358_13 Depth=1
	s_or_b32 exec_lo, exec_lo, s8
	v_mov_b32_e32 v2, 0
	v_and_b32_sdwa v1, v0, v56 dst_sel:DWORD dst_unused:UNUSED_PAD src0_sel:WORD_1 src1_sel:DWORD
	s_mov_b32 s8, exec_lo
	buffer_store_dword v2, off, s[0:3], s32 offset:304 ; 4-byte Folded Spill
	v_mov_b32_e32 v2, 0
	buffer_store_dword v2, off, s[0:3], s32 offset:440 ; 4-byte Folded Spill
	v_cmpx_ne_u16_e32 0, v1
	s_cbranch_execz .LBB358_362
; %bb.355:                              ;   in Loop: Header=BB358_13 Depth=1
	v_cmp_ne_u16_e64 s7, 0x80, v1
	v_bfrev_b32_e32 v1, 1
	s_and_saveexec_b32 s26, s7
	s_cbranch_execz .LBB358_361
; %bb.356:                              ;   in Loop: Header=BB358_13 Depth=1
	v_bfe_u32 v2, v0, 16, 7
	v_mov_b32_e32 v1, 0x7f800001
	s_mov_b32 s27, exec_lo
	v_cmpx_ne_u32_e32 0x7f, v2
	s_cbranch_execz .LBB358_360
; %bb.357:                              ;   in Loop: Header=BB358_13 Depth=1
	v_mov_b32_e32 v1, 7
	s_mov_b32 s28, exec_lo
	v_and_b32_sdwa v28, v0, v1 dst_sel:DWORD dst_unused:UNUSED_PAD src0_sel:WORD_1 src1_sel:DWORD
	v_mov_b32_e32 v85, v29
	v_lshrrev_b32_e32 v1, 3, v2
	v_mov_b32_e32 v84, v28
	v_cmpx_gt_u32_e32 8, v2
; %bb.358:                              ;   in Loop: Header=BB358_13 Depth=1
	v_ffbh_u32_e32 v1, v28
	v_min_u32_e32 v1, 32, v1
	v_subrev_nc_u32_e32 v2, 28, v1
	v_sub_nc_u32_e32 v1, 29, v1
	v_lshlrev_b64 v[2:3], v2, v[28:29]
	v_and_b32_e32 v84, 7, v2
; %bb.359:                              ;   in Loop: Header=BB358_13 Depth=1
	s_or_b32 exec_lo, exec_lo, s28
	v_mov_b32_e32 v2, 24
	v_lshlrev_b32_e32 v3, 20, v84
	v_lshl_add_u32 v1, v1, 23, 0x3c000000
	v_lshlrev_b32_sdwa v2, v2, v0 dst_sel:DWORD dst_unused:UNUSED_PAD src0_sel:DWORD src1_sel:WORD_1
	v_and_b32_e32 v2, 0x80000000, v2
	v_or3_b32 v1, v3, v2, v1
.LBB358_360:                            ;   in Loop: Header=BB358_13 Depth=1
	s_or_b32 exec_lo, exec_lo, s27
.LBB358_361:                            ;   in Loop: Header=BB358_13 Depth=1
	s_or_b32 exec_lo, exec_lo, s26
	buffer_store_dword v1, off, s[0:3], s32 offset:440 ; 4-byte Folded Spill
.LBB358_362:                            ;   in Loop: Header=BB358_13 Depth=1
	s_or_b32 exec_lo, exec_lo, s8
	s_mov_b32 s8, exec_lo
	v_cmpx_lt_u32_e32 0xffffff, v0
	s_cbranch_execz .LBB358_370
; %bb.363:                              ;   in Loop: Header=BB358_13 Depth=1
	v_cmp_ne_u32_sdwa s7, v0, v42 src0_sel:BYTE_3 src1_sel:DWORD
	v_bfrev_b32_e32 v1, 1
	buffer_store_dword v1, off, s[0:3], s32 offset:304 ; 4-byte Folded Spill
	s_and_saveexec_b32 s26, s7
	s_cbranch_execz .LBB358_369
; %bb.364:                              ;   in Loop: Header=BB358_13 Depth=1
	v_bfe_u32 v2, v0, 24, 7
	v_mov_b32_e32 v1, 0x7f800001
	s_mov_b32 s27, exec_lo
	buffer_store_dword v1, off, s[0:3], s32 offset:304 ; 4-byte Folded Spill
	v_cmpx_ne_u32_e32 0x7f, v2
	s_cbranch_execz .LBB358_368
; %bb.365:                              ;   in Loop: Header=BB358_13 Depth=1
	v_mov_b32_e32 v1, 7
	s_mov_b32 s28, exec_lo
	v_and_b32_sdwa v28, v0, v1 dst_sel:DWORD dst_unused:UNUSED_PAD src0_sel:BYTE_3 src1_sel:DWORD
	v_mov_b32_e32 v85, v29
	v_lshrrev_b32_e32 v1, 3, v2
	v_mov_b32_e32 v84, v28
	v_cmpx_gt_u32_e32 8, v2
; %bb.366:                              ;   in Loop: Header=BB358_13 Depth=1
	v_ffbh_u32_e32 v1, v28
	v_min_u32_e32 v1, 32, v1
	v_subrev_nc_u32_e32 v2, 28, v1
	v_sub_nc_u32_e32 v1, 29, v1
	v_lshlrev_b64 v[2:3], v2, v[28:29]
	v_and_b32_e32 v84, 7, v2
; %bb.367:                              ;   in Loop: Header=BB358_13 Depth=1
	s_or_b32 exec_lo, exec_lo, s28
	v_mov_b32_e32 v2, 24
	v_lshl_add_u32 v1, v1, 23, 0x3c000000
	v_lshlrev_b32_sdwa v0, v2, v0 dst_sel:DWORD dst_unused:UNUSED_PAD src0_sel:DWORD src1_sel:BYTE_3
	v_lshlrev_b32_e32 v2, 20, v84
	v_and_b32_e32 v0, 0x80000000, v0
	v_or3_b32 v0, v2, v0, v1
	buffer_store_dword v0, off, s[0:3], s32 offset:304 ; 4-byte Folded Spill
.LBB358_368:                            ;   in Loop: Header=BB358_13 Depth=1
	s_or_b32 exec_lo, exec_lo, s27
.LBB358_369:                            ;   in Loop: Header=BB358_13 Depth=1
	s_or_b32 exec_lo, exec_lo, s26
.LBB358_370:                            ;   in Loop: Header=BB358_13 Depth=1
	s_or_b32 exec_lo, exec_lo, s8
	flat_load_dword v0, v[82:83] offset:1288
	v_mov_b32_e32 v1, 0
	buffer_store_dword v1, off, s[0:3], s32 offset:312 ; 4-byte Folded Spill
	v_mov_b32_e32 v1, 0
	buffer_store_dword v1, off, s[0:3], s32 offset:308 ; 4-byte Folded Spill
	s_waitcnt vmcnt(0) lgkmcnt(0)
	v_cmp_ne_u16_sdwa s7, v0, v29 src0_sel:BYTE_0 src1_sel:DWORD
	s_and_saveexec_b32 s8, s7
	s_cbranch_execz .LBB358_378
; %bb.371:                              ;   in Loop: Header=BB358_13 Depth=1
	v_cmp_ne_u16_sdwa s7, v0, v42 src0_sel:BYTE_0 src1_sel:DWORD
	v_bfrev_b32_e32 v1, 1
	buffer_store_dword v1, off, s[0:3], s32 offset:308 ; 4-byte Folded Spill
	s_and_saveexec_b32 s26, s7
	s_cbranch_execz .LBB358_377
; %bb.372:                              ;   in Loop: Header=BB358_13 Depth=1
	v_and_b32_e32 v2, 0x7f, v0
	v_mov_b32_e32 v1, 0x7f800001
	s_mov_b32 s27, exec_lo
	buffer_store_dword v1, off, s[0:3], s32 offset:308 ; 4-byte Folded Spill
	v_cmpx_ne_u32_e32 0x7f, v2
	s_cbranch_execz .LBB358_376
; %bb.373:                              ;   in Loop: Header=BB358_13 Depth=1
	v_and_b32_e32 v28, 7, v0
	v_mov_b32_e32 v85, v29
	v_lshrrev_b32_e32 v1, 3, v2
	s_mov_b32 s28, exec_lo
	v_mov_b32_e32 v84, v28
	v_cmpx_gt_u32_e32 8, v2
; %bb.374:                              ;   in Loop: Header=BB358_13 Depth=1
	v_ffbh_u32_e32 v1, v28
	v_min_u32_e32 v1, 32, v1
	v_subrev_nc_u32_e32 v2, 28, v1
	v_sub_nc_u32_e32 v1, 29, v1
	v_lshlrev_b64 v[2:3], v2, v[28:29]
	v_and_b32_e32 v84, 7, v2
; %bb.375:                              ;   in Loop: Header=BB358_13 Depth=1
	s_or_b32 exec_lo, exec_lo, s28
	v_lshlrev_b32_e32 v2, 24, v0
	v_lshlrev_b32_e32 v3, 20, v84
	v_lshl_add_u32 v1, v1, 23, 0x3c000000
	v_and_b32_e32 v2, 0x80000000, v2
	v_or3_b32 v1, v3, v2, v1
	buffer_store_dword v1, off, s[0:3], s32 offset:308 ; 4-byte Folded Spill
.LBB358_376:                            ;   in Loop: Header=BB358_13 Depth=1
	s_or_b32 exec_lo, exec_lo, s27
.LBB358_377:                            ;   in Loop: Header=BB358_13 Depth=1
	s_or_b32 exec_lo, exec_lo, s26
.LBB358_378:                            ;   in Loop: Header=BB358_13 Depth=1
	s_or_b32 exec_lo, exec_lo, s8
	v_cmp_ne_u16_sdwa s7, v0, v29 src0_sel:BYTE_1 src1_sel:DWORD
	s_and_saveexec_b32 s8, s7
	s_cbranch_execz .LBB358_386
; %bb.379:                              ;   in Loop: Header=BB358_13 Depth=1
	v_cmp_ne_u16_sdwa s7, v0, v42 src0_sel:BYTE_1 src1_sel:DWORD
	v_bfrev_b32_e32 v1, 1
	buffer_store_dword v1, off, s[0:3], s32 offset:312 ; 4-byte Folded Spill
	s_and_saveexec_b32 s26, s7
	s_cbranch_execz .LBB358_385
; %bb.380:                              ;   in Loop: Header=BB358_13 Depth=1
	v_mov_b32_e32 v1, 0xffff
	v_mov_b32_e32 v3, 0x7f800001
	s_mov_b32 s27, exec_lo
	v_and_b32_sdwa v1, v1, v0 dst_sel:DWORD dst_unused:UNUSED_PAD src0_sel:DWORD src1_sel:BYTE_1
	buffer_store_dword v3, off, s[0:3], s32 offset:312 ; 4-byte Folded Spill
	v_and_b32_e32 v2, 0x7f, v1
	v_cmpx_ne_u32_e32 0x7f, v2
	s_cbranch_execz .LBB358_384
; %bb.381:                              ;   in Loop: Header=BB358_13 Depth=1
	v_and_b32_e32 v28, 7, v1
	v_mov_b32_e32 v85, v29
	v_lshrrev_b32_e32 v1, 3, v2
	s_mov_b32 s28, exec_lo
	v_mov_b32_e32 v84, v28
	v_cmpx_gt_u32_e32 8, v2
; %bb.382:                              ;   in Loop: Header=BB358_13 Depth=1
	v_ffbh_u32_e32 v1, v28
	v_min_u32_e32 v1, 32, v1
	v_subrev_nc_u32_e32 v2, 28, v1
	v_sub_nc_u32_e32 v1, 29, v1
	v_lshlrev_b64 v[2:3], v2, v[28:29]
	v_and_b32_e32 v84, 7, v2
; %bb.383:                              ;   in Loop: Header=BB358_13 Depth=1
	s_or_b32 exec_lo, exec_lo, s28
	v_lshlrev_b32_e32 v2, 16, v0
	v_lshlrev_b32_e32 v3, 20, v84
	v_lshl_add_u32 v1, v1, 23, 0x3c000000
	v_and_b32_e32 v2, 0x80000000, v2
	v_or3_b32 v1, v3, v2, v1
	buffer_store_dword v1, off, s[0:3], s32 offset:312 ; 4-byte Folded Spill
.LBB358_384:                            ;   in Loop: Header=BB358_13 Depth=1
	s_or_b32 exec_lo, exec_lo, s27
.LBB358_385:                            ;   in Loop: Header=BB358_13 Depth=1
	s_or_b32 exec_lo, exec_lo, s26
.LBB358_386:                            ;   in Loop: Header=BB358_13 Depth=1
	s_or_b32 exec_lo, exec_lo, s8
	v_mov_b32_e32 v2, 0
	v_and_b32_sdwa v1, v0, v56 dst_sel:DWORD dst_unused:UNUSED_PAD src0_sel:WORD_1 src1_sel:DWORD
	s_mov_b32 s8, exec_lo
	buffer_store_dword v2, off, s[0:3], s32 offset:316 ; 4-byte Folded Spill
	v_mov_b32_e32 v2, 0
	buffer_store_dword v2, off, s[0:3], s32 offset:444 ; 4-byte Folded Spill
	v_cmpx_ne_u16_e32 0, v1
	s_cbranch_execz .LBB358_394
; %bb.387:                              ;   in Loop: Header=BB358_13 Depth=1
	v_cmp_ne_u16_e64 s7, 0x80, v1
	v_bfrev_b32_e32 v1, 1
	s_and_saveexec_b32 s26, s7
	s_cbranch_execz .LBB358_393
; %bb.388:                              ;   in Loop: Header=BB358_13 Depth=1
	v_bfe_u32 v2, v0, 16, 7
	v_mov_b32_e32 v1, 0x7f800001
	s_mov_b32 s27, exec_lo
	v_cmpx_ne_u32_e32 0x7f, v2
	s_cbranch_execz .LBB358_392
; %bb.389:                              ;   in Loop: Header=BB358_13 Depth=1
	v_mov_b32_e32 v1, 7
	s_mov_b32 s28, exec_lo
	v_and_b32_sdwa v28, v0, v1 dst_sel:DWORD dst_unused:UNUSED_PAD src0_sel:WORD_1 src1_sel:DWORD
	v_mov_b32_e32 v85, v29
	v_lshrrev_b32_e32 v1, 3, v2
	v_mov_b32_e32 v84, v28
	v_cmpx_gt_u32_e32 8, v2
; %bb.390:                              ;   in Loop: Header=BB358_13 Depth=1
	v_ffbh_u32_e32 v1, v28
	v_min_u32_e32 v1, 32, v1
	v_subrev_nc_u32_e32 v2, 28, v1
	v_sub_nc_u32_e32 v1, 29, v1
	v_lshlrev_b64 v[2:3], v2, v[28:29]
	v_and_b32_e32 v84, 7, v2
; %bb.391:                              ;   in Loop: Header=BB358_13 Depth=1
	s_or_b32 exec_lo, exec_lo, s28
	v_mov_b32_e32 v2, 24
	v_lshlrev_b32_e32 v3, 20, v84
	v_lshl_add_u32 v1, v1, 23, 0x3c000000
	v_lshlrev_b32_sdwa v2, v2, v0 dst_sel:DWORD dst_unused:UNUSED_PAD src0_sel:DWORD src1_sel:WORD_1
	v_and_b32_e32 v2, 0x80000000, v2
	v_or3_b32 v1, v3, v2, v1
.LBB358_392:                            ;   in Loop: Header=BB358_13 Depth=1
	s_or_b32 exec_lo, exec_lo, s27
.LBB358_393:                            ;   in Loop: Header=BB358_13 Depth=1
	s_or_b32 exec_lo, exec_lo, s26
	buffer_store_dword v1, off, s[0:3], s32 offset:444 ; 4-byte Folded Spill
.LBB358_394:                            ;   in Loop: Header=BB358_13 Depth=1
	s_or_b32 exec_lo, exec_lo, s8
	s_mov_b32 s8, exec_lo
	v_cmpx_lt_u32_e32 0xffffff, v0
	s_cbranch_execz .LBB358_402
; %bb.395:                              ;   in Loop: Header=BB358_13 Depth=1
	v_cmp_ne_u32_sdwa s7, v0, v42 src0_sel:BYTE_3 src1_sel:DWORD
	v_bfrev_b32_e32 v1, 1
	buffer_store_dword v1, off, s[0:3], s32 offset:316 ; 4-byte Folded Spill
	s_and_saveexec_b32 s26, s7
	s_cbranch_execz .LBB358_401
; %bb.396:                              ;   in Loop: Header=BB358_13 Depth=1
	v_bfe_u32 v2, v0, 24, 7
	v_mov_b32_e32 v1, 0x7f800001
	s_mov_b32 s27, exec_lo
	buffer_store_dword v1, off, s[0:3], s32 offset:316 ; 4-byte Folded Spill
	v_cmpx_ne_u32_e32 0x7f, v2
	s_cbranch_execz .LBB358_400
; %bb.397:                              ;   in Loop: Header=BB358_13 Depth=1
	v_mov_b32_e32 v1, 7
	s_mov_b32 s28, exec_lo
	v_and_b32_sdwa v28, v0, v1 dst_sel:DWORD dst_unused:UNUSED_PAD src0_sel:BYTE_3 src1_sel:DWORD
	v_mov_b32_e32 v85, v29
	v_lshrrev_b32_e32 v1, 3, v2
	v_mov_b32_e32 v84, v28
	v_cmpx_gt_u32_e32 8, v2
; %bb.398:                              ;   in Loop: Header=BB358_13 Depth=1
	v_ffbh_u32_e32 v1, v28
	v_min_u32_e32 v1, 32, v1
	v_subrev_nc_u32_e32 v2, 28, v1
	v_sub_nc_u32_e32 v1, 29, v1
	v_lshlrev_b64 v[2:3], v2, v[28:29]
	v_and_b32_e32 v84, 7, v2
; %bb.399:                              ;   in Loop: Header=BB358_13 Depth=1
	s_or_b32 exec_lo, exec_lo, s28
	v_mov_b32_e32 v2, 24
	v_lshl_add_u32 v1, v1, 23, 0x3c000000
	v_lshlrev_b32_sdwa v0, v2, v0 dst_sel:DWORD dst_unused:UNUSED_PAD src0_sel:DWORD src1_sel:BYTE_3
	v_lshlrev_b32_e32 v2, 20, v84
	v_and_b32_e32 v0, 0x80000000, v0
	v_or3_b32 v0, v2, v0, v1
	buffer_store_dword v0, off, s[0:3], s32 offset:316 ; 4-byte Folded Spill
.LBB358_400:                            ;   in Loop: Header=BB358_13 Depth=1
	s_or_b32 exec_lo, exec_lo, s27
.LBB358_401:                            ;   in Loop: Header=BB358_13 Depth=1
	s_or_b32 exec_lo, exec_lo, s26
.LBB358_402:                            ;   in Loop: Header=BB358_13 Depth=1
	s_or_b32 exec_lo, exec_lo, s8
	flat_load_dword v0, v[82:83] offset:1536
	v_mov_b32_e32 v1, 0
	buffer_store_dword v1, off, s[0:3], s32 offset:324 ; 4-byte Folded Spill
	v_mov_b32_e32 v1, 0
	buffer_store_dword v1, off, s[0:3], s32 offset:320 ; 4-byte Folded Spill
	s_waitcnt vmcnt(0) lgkmcnt(0)
	v_cmp_ne_u16_sdwa s7, v0, v29 src0_sel:BYTE_0 src1_sel:DWORD
	s_and_saveexec_b32 s8, s7
	s_cbranch_execz .LBB358_410
; %bb.403:                              ;   in Loop: Header=BB358_13 Depth=1
	v_cmp_ne_u16_sdwa s7, v0, v42 src0_sel:BYTE_0 src1_sel:DWORD
	v_bfrev_b32_e32 v1, 1
	buffer_store_dword v1, off, s[0:3], s32 offset:320 ; 4-byte Folded Spill
	s_and_saveexec_b32 s26, s7
	s_cbranch_execz .LBB358_409
; %bb.404:                              ;   in Loop: Header=BB358_13 Depth=1
	v_and_b32_e32 v2, 0x7f, v0
	v_mov_b32_e32 v1, 0x7f800001
	s_mov_b32 s27, exec_lo
	buffer_store_dword v1, off, s[0:3], s32 offset:320 ; 4-byte Folded Spill
	v_cmpx_ne_u32_e32 0x7f, v2
	s_cbranch_execz .LBB358_408
; %bb.405:                              ;   in Loop: Header=BB358_13 Depth=1
	v_and_b32_e32 v28, 7, v0
	v_mov_b32_e32 v85, v29
	v_lshrrev_b32_e32 v1, 3, v2
	s_mov_b32 s28, exec_lo
	v_mov_b32_e32 v84, v28
	v_cmpx_gt_u32_e32 8, v2
; %bb.406:                              ;   in Loop: Header=BB358_13 Depth=1
	v_ffbh_u32_e32 v1, v28
	v_min_u32_e32 v1, 32, v1
	v_subrev_nc_u32_e32 v2, 28, v1
	v_sub_nc_u32_e32 v1, 29, v1
	v_lshlrev_b64 v[2:3], v2, v[28:29]
	v_and_b32_e32 v84, 7, v2
; %bb.407:                              ;   in Loop: Header=BB358_13 Depth=1
	s_or_b32 exec_lo, exec_lo, s28
	v_lshlrev_b32_e32 v2, 24, v0
	v_lshlrev_b32_e32 v3, 20, v84
	v_lshl_add_u32 v1, v1, 23, 0x3c000000
	v_and_b32_e32 v2, 0x80000000, v2
	v_or3_b32 v1, v3, v2, v1
	buffer_store_dword v1, off, s[0:3], s32 offset:320 ; 4-byte Folded Spill
.LBB358_408:                            ;   in Loop: Header=BB358_13 Depth=1
	s_or_b32 exec_lo, exec_lo, s27
.LBB358_409:                            ;   in Loop: Header=BB358_13 Depth=1
	s_or_b32 exec_lo, exec_lo, s26
.LBB358_410:                            ;   in Loop: Header=BB358_13 Depth=1
	s_or_b32 exec_lo, exec_lo, s8
	v_cmp_ne_u16_sdwa s7, v0, v29 src0_sel:BYTE_1 src1_sel:DWORD
	s_and_saveexec_b32 s8, s7
	s_cbranch_execz .LBB358_418
; %bb.411:                              ;   in Loop: Header=BB358_13 Depth=1
	v_cmp_ne_u16_sdwa s7, v0, v42 src0_sel:BYTE_1 src1_sel:DWORD
	v_bfrev_b32_e32 v1, 1
	buffer_store_dword v1, off, s[0:3], s32 offset:324 ; 4-byte Folded Spill
	s_and_saveexec_b32 s26, s7
	s_cbranch_execz .LBB358_417
; %bb.412:                              ;   in Loop: Header=BB358_13 Depth=1
	v_mov_b32_e32 v1, 0xffff
	v_mov_b32_e32 v3, 0x7f800001
	s_mov_b32 s27, exec_lo
	v_and_b32_sdwa v1, v1, v0 dst_sel:DWORD dst_unused:UNUSED_PAD src0_sel:DWORD src1_sel:BYTE_1
	buffer_store_dword v3, off, s[0:3], s32 offset:324 ; 4-byte Folded Spill
	v_and_b32_e32 v2, 0x7f, v1
	v_cmpx_ne_u32_e32 0x7f, v2
	s_cbranch_execz .LBB358_416
; %bb.413:                              ;   in Loop: Header=BB358_13 Depth=1
	v_and_b32_e32 v28, 7, v1
	v_mov_b32_e32 v85, v29
	v_lshrrev_b32_e32 v1, 3, v2
	s_mov_b32 s28, exec_lo
	v_mov_b32_e32 v84, v28
	v_cmpx_gt_u32_e32 8, v2
; %bb.414:                              ;   in Loop: Header=BB358_13 Depth=1
	v_ffbh_u32_e32 v1, v28
	v_min_u32_e32 v1, 32, v1
	v_subrev_nc_u32_e32 v2, 28, v1
	v_sub_nc_u32_e32 v1, 29, v1
	v_lshlrev_b64 v[2:3], v2, v[28:29]
	v_and_b32_e32 v84, 7, v2
; %bb.415:                              ;   in Loop: Header=BB358_13 Depth=1
	s_or_b32 exec_lo, exec_lo, s28
	v_lshlrev_b32_e32 v2, 16, v0
	v_lshlrev_b32_e32 v3, 20, v84
	v_lshl_add_u32 v1, v1, 23, 0x3c000000
	v_and_b32_e32 v2, 0x80000000, v2
	v_or3_b32 v1, v3, v2, v1
	buffer_store_dword v1, off, s[0:3], s32 offset:324 ; 4-byte Folded Spill
.LBB358_416:                            ;   in Loop: Header=BB358_13 Depth=1
	s_or_b32 exec_lo, exec_lo, s27
.LBB358_417:                            ;   in Loop: Header=BB358_13 Depth=1
	s_or_b32 exec_lo, exec_lo, s26
.LBB358_418:                            ;   in Loop: Header=BB358_13 Depth=1
	s_or_b32 exec_lo, exec_lo, s8
	v_mov_b32_e32 v2, 0
	v_and_b32_sdwa v1, v0, v56 dst_sel:DWORD dst_unused:UNUSED_PAD src0_sel:WORD_1 src1_sel:DWORD
	s_mov_b32 s8, exec_lo
	buffer_store_dword v2, off, s[0:3], s32 offset:328 ; 4-byte Folded Spill
	v_mov_b32_e32 v2, 0
	buffer_store_dword v2, off, s[0:3], s32 offset:452 ; 4-byte Folded Spill
	v_cmpx_ne_u16_e32 0, v1
	s_cbranch_execz .LBB358_426
; %bb.419:                              ;   in Loop: Header=BB358_13 Depth=1
	v_cmp_ne_u16_e64 s7, 0x80, v1
	v_bfrev_b32_e32 v1, 1
	s_and_saveexec_b32 s26, s7
	s_cbranch_execz .LBB358_425
; %bb.420:                              ;   in Loop: Header=BB358_13 Depth=1
	v_bfe_u32 v2, v0, 16, 7
	v_mov_b32_e32 v1, 0x7f800001
	s_mov_b32 s27, exec_lo
	v_cmpx_ne_u32_e32 0x7f, v2
	s_cbranch_execz .LBB358_424
; %bb.421:                              ;   in Loop: Header=BB358_13 Depth=1
	v_mov_b32_e32 v1, 7
	s_mov_b32 s28, exec_lo
	v_and_b32_sdwa v28, v0, v1 dst_sel:DWORD dst_unused:UNUSED_PAD src0_sel:WORD_1 src1_sel:DWORD
	v_mov_b32_e32 v85, v29
	v_lshrrev_b32_e32 v1, 3, v2
	v_mov_b32_e32 v84, v28
	v_cmpx_gt_u32_e32 8, v2
; %bb.422:                              ;   in Loop: Header=BB358_13 Depth=1
	v_ffbh_u32_e32 v1, v28
	v_min_u32_e32 v1, 32, v1
	v_subrev_nc_u32_e32 v2, 28, v1
	v_sub_nc_u32_e32 v1, 29, v1
	v_lshlrev_b64 v[2:3], v2, v[28:29]
	v_and_b32_e32 v84, 7, v2
; %bb.423:                              ;   in Loop: Header=BB358_13 Depth=1
	s_or_b32 exec_lo, exec_lo, s28
	v_mov_b32_e32 v2, 24
	v_lshlrev_b32_e32 v3, 20, v84
	v_lshl_add_u32 v1, v1, 23, 0x3c000000
	v_lshlrev_b32_sdwa v2, v2, v0 dst_sel:DWORD dst_unused:UNUSED_PAD src0_sel:DWORD src1_sel:WORD_1
	v_and_b32_e32 v2, 0x80000000, v2
	v_or3_b32 v1, v3, v2, v1
.LBB358_424:                            ;   in Loop: Header=BB358_13 Depth=1
	s_or_b32 exec_lo, exec_lo, s27
.LBB358_425:                            ;   in Loop: Header=BB358_13 Depth=1
	s_or_b32 exec_lo, exec_lo, s26
	buffer_store_dword v1, off, s[0:3], s32 offset:452 ; 4-byte Folded Spill
.LBB358_426:                            ;   in Loop: Header=BB358_13 Depth=1
	s_or_b32 exec_lo, exec_lo, s8
	s_mov_b32 s8, exec_lo
	v_cmpx_lt_u32_e32 0xffffff, v0
	s_cbranch_execz .LBB358_434
; %bb.427:                              ;   in Loop: Header=BB358_13 Depth=1
	v_cmp_ne_u32_sdwa s7, v0, v42 src0_sel:BYTE_3 src1_sel:DWORD
	v_bfrev_b32_e32 v1, 1
	buffer_store_dword v1, off, s[0:3], s32 offset:328 ; 4-byte Folded Spill
	s_and_saveexec_b32 s26, s7
	s_cbranch_execz .LBB358_433
; %bb.428:                              ;   in Loop: Header=BB358_13 Depth=1
	v_bfe_u32 v2, v0, 24, 7
	v_mov_b32_e32 v1, 0x7f800001
	s_mov_b32 s27, exec_lo
	buffer_store_dword v1, off, s[0:3], s32 offset:328 ; 4-byte Folded Spill
	v_cmpx_ne_u32_e32 0x7f, v2
	s_cbranch_execz .LBB358_432
; %bb.429:                              ;   in Loop: Header=BB358_13 Depth=1
	v_mov_b32_e32 v1, 7
	s_mov_b32 s28, exec_lo
	v_and_b32_sdwa v28, v0, v1 dst_sel:DWORD dst_unused:UNUSED_PAD src0_sel:BYTE_3 src1_sel:DWORD
	v_mov_b32_e32 v85, v29
	v_lshrrev_b32_e32 v1, 3, v2
	v_mov_b32_e32 v84, v28
	v_cmpx_gt_u32_e32 8, v2
; %bb.430:                              ;   in Loop: Header=BB358_13 Depth=1
	v_ffbh_u32_e32 v1, v28
	v_min_u32_e32 v1, 32, v1
	v_subrev_nc_u32_e32 v2, 28, v1
	v_sub_nc_u32_e32 v1, 29, v1
	v_lshlrev_b64 v[2:3], v2, v[28:29]
	v_and_b32_e32 v84, 7, v2
; %bb.431:                              ;   in Loop: Header=BB358_13 Depth=1
	s_or_b32 exec_lo, exec_lo, s28
	v_mov_b32_e32 v2, 24
	v_lshl_add_u32 v1, v1, 23, 0x3c000000
	v_lshlrev_b32_sdwa v0, v2, v0 dst_sel:DWORD dst_unused:UNUSED_PAD src0_sel:DWORD src1_sel:BYTE_3
	v_lshlrev_b32_e32 v2, 20, v84
	v_and_b32_e32 v0, 0x80000000, v0
	v_or3_b32 v0, v2, v0, v1
	buffer_store_dword v0, off, s[0:3], s32 offset:328 ; 4-byte Folded Spill
.LBB358_432:                            ;   in Loop: Header=BB358_13 Depth=1
	s_or_b32 exec_lo, exec_lo, s27
.LBB358_433:                            ;   in Loop: Header=BB358_13 Depth=1
	s_or_b32 exec_lo, exec_lo, s26
.LBB358_434:                            ;   in Loop: Header=BB358_13 Depth=1
	s_or_b32 exec_lo, exec_lo, s8
	flat_load_dword v4, v[82:83] offset:1544
	v_mov_b32_e32 v0, 0
	buffer_store_dword v0, off, s[0:3], s32 offset:336 ; 4-byte Folded Spill
	v_mov_b32_e32 v0, 0
	buffer_store_dword v0, off, s[0:3], s32 offset:332 ; 4-byte Folded Spill
	s_waitcnt vmcnt(0) lgkmcnt(0)
	v_cmp_ne_u16_sdwa s7, v4, v29 src0_sel:BYTE_0 src1_sel:DWORD
	s_and_saveexec_b32 s8, s7
	s_cbranch_execz .LBB358_442
; %bb.435:                              ;   in Loop: Header=BB358_13 Depth=1
	v_cmp_ne_u16_sdwa s7, v4, v42 src0_sel:BYTE_0 src1_sel:DWORD
	v_bfrev_b32_e32 v0, 1
	buffer_store_dword v0, off, s[0:3], s32 offset:332 ; 4-byte Folded Spill
	s_and_saveexec_b32 s26, s7
	s_cbranch_execz .LBB358_441
; %bb.436:                              ;   in Loop: Header=BB358_13 Depth=1
	v_and_b32_e32 v2, 0x7f, v4
	v_mov_b32_e32 v0, 0x7f800001
	s_mov_b32 s27, exec_lo
	buffer_store_dword v0, off, s[0:3], s32 offset:332 ; 4-byte Folded Spill
	v_cmpx_ne_u32_e32 0x7f, v2
	s_cbranch_execz .LBB358_440
; %bb.437:                              ;   in Loop: Header=BB358_13 Depth=1
	v_and_b32_e32 v28, 7, v4
	v_mov_b32_e32 v85, v29
	v_lshrrev_b32_e32 v1, 3, v2
	s_mov_b32 s28, exec_lo
	v_mov_b32_e32 v84, v28
	v_cmpx_gt_u32_e32 8, v2
; %bb.438:                              ;   in Loop: Header=BB358_13 Depth=1
	v_ffbh_u32_e32 v1, v28
	v_min_u32_e32 v1, 32, v1
	v_subrev_nc_u32_e32 v2, 28, v1
	v_sub_nc_u32_e32 v1, 29, v1
	v_lshlrev_b64 v[2:3], v2, v[28:29]
	v_and_b32_e32 v84, 7, v2
; %bb.439:                              ;   in Loop: Header=BB358_13 Depth=1
	s_or_b32 exec_lo, exec_lo, s28
	v_lshlrev_b32_e32 v2, 24, v4
	v_lshlrev_b32_e32 v3, 20, v84
	v_lshl_add_u32 v1, v1, 23, 0x3c000000
	v_and_b32_e32 v2, 0x80000000, v2
	v_or3_b32 v0, v3, v2, v1
	buffer_store_dword v0, off, s[0:3], s32 offset:332 ; 4-byte Folded Spill
.LBB358_440:                            ;   in Loop: Header=BB358_13 Depth=1
	s_or_b32 exec_lo, exec_lo, s27
.LBB358_441:                            ;   in Loop: Header=BB358_13 Depth=1
	s_or_b32 exec_lo, exec_lo, s26
.LBB358_442:                            ;   in Loop: Header=BB358_13 Depth=1
	s_or_b32 exec_lo, exec_lo, s8
	v_cmp_ne_u16_sdwa s7, v4, v29 src0_sel:BYTE_1 src1_sel:DWORD
	s_and_saveexec_b32 s8, s7
	s_cbranch_execz .LBB358_450
; %bb.443:                              ;   in Loop: Header=BB358_13 Depth=1
	v_cmp_ne_u16_sdwa s7, v4, v42 src0_sel:BYTE_1 src1_sel:DWORD
	v_bfrev_b32_e32 v0, 1
	buffer_store_dword v0, off, s[0:3], s32 offset:336 ; 4-byte Folded Spill
	s_and_saveexec_b32 s26, s7
	s_cbranch_execz .LBB358_449
; %bb.444:                              ;   in Loop: Header=BB358_13 Depth=1
	v_mov_b32_e32 v0, 0xffff
	s_mov_b32 s27, exec_lo
	v_and_b32_sdwa v3, v0, v4 dst_sel:DWORD dst_unused:UNUSED_PAD src0_sel:DWORD src1_sel:BYTE_1
	v_mov_b32_e32 v0, 0x7f800001
	v_and_b32_e32 v2, 0x7f, v3
	buffer_store_dword v0, off, s[0:3], s32 offset:336 ; 4-byte Folded Spill
	v_cmpx_ne_u32_e32 0x7f, v2
	s_cbranch_execz .LBB358_448
; %bb.445:                              ;   in Loop: Header=BB358_13 Depth=1
	v_and_b32_e32 v28, 7, v3
	v_mov_b32_e32 v85, v29
	v_lshrrev_b32_e32 v0, 3, v2
	s_mov_b32 s28, exec_lo
	v_mov_b32_e32 v84, v28
	v_cmpx_gt_u32_e32 8, v2
; %bb.446:                              ;   in Loop: Header=BB358_13 Depth=1
	v_ffbh_u32_e32 v0, v28
	v_min_u32_e32 v0, 32, v0
	v_subrev_nc_u32_e32 v2, 28, v0
	v_sub_nc_u32_e32 v0, 29, v0
	v_lshlrev_b64 v[2:3], v2, v[28:29]
	v_and_b32_e32 v84, 7, v2
; %bb.447:                              ;   in Loop: Header=BB358_13 Depth=1
	s_or_b32 exec_lo, exec_lo, s28
	v_lshlrev_b32_e32 v2, 16, v4
	v_lshlrev_b32_e32 v3, 20, v84
	v_lshl_add_u32 v0, v0, 23, 0x3c000000
	v_and_b32_e32 v2, 0x80000000, v2
	v_or3_b32 v0, v3, v2, v0
	buffer_store_dword v0, off, s[0:3], s32 offset:336 ; 4-byte Folded Spill
.LBB358_448:                            ;   in Loop: Header=BB358_13 Depth=1
	s_or_b32 exec_lo, exec_lo, s27
.LBB358_449:                            ;   in Loop: Header=BB358_13 Depth=1
	s_or_b32 exec_lo, exec_lo, s26
.LBB358_450:                            ;   in Loop: Header=BB358_13 Depth=1
	s_or_b32 exec_lo, exec_lo, s8
	v_and_b32_sdwa v12, v4, v56 dst_sel:DWORD dst_unused:UNUSED_PAD src0_sel:WORD_1 src1_sel:DWORD
	v_mov_b32_e32 v116, 0
	v_mov_b32_e32 v2, 0
	s_mov_b32 s8, exec_lo
	v_cmpx_ne_u16_e32 0, v12
	s_cbranch_execz .LBB358_458
; %bb.451:                              ;   in Loop: Header=BB358_13 Depth=1
	v_bfrev_b32_e32 v2, 1
	s_mov_b32 s26, exec_lo
	v_cmpx_ne_u16_e32 0x80, v12
	s_cbranch_execz .LBB358_457
; %bb.452:                              ;   in Loop: Header=BB358_13 Depth=1
	v_bfe_u32 v12, v4, 16, 7
	v_mov_b32_e32 v2, 0x7f800001
	s_mov_b32 s27, exec_lo
	v_cmpx_ne_u32_e32 0x7f, v12
	s_cbranch_execz .LBB358_456
; %bb.453:                              ;   in Loop: Header=BB358_13 Depth=1
	v_mov_b32_e32 v0, 7
	v_lshrrev_b32_e32 v2, 3, v12
	s_mov_b32 s28, exec_lo
	v_and_b32_sdwa v28, v4, v0 dst_sel:DWORD dst_unused:UNUSED_PAD src0_sel:WORD_1 src1_sel:DWORD
	v_mov_b32_e32 v85, v29
	v_mov_b32_e32 v84, v28
	v_cmpx_gt_u32_e32 8, v12
; %bb.454:                              ;   in Loop: Header=BB358_13 Depth=1
	v_ffbh_u32_e32 v2, v28
	v_min_u32_e32 v2, 32, v2
	v_subrev_nc_u32_e32 v12, 28, v2
	v_sub_nc_u32_e32 v2, 29, v2
	v_lshlrev_b64 v[12:13], v12, v[28:29]
	v_and_b32_e32 v84, 7, v12
; %bb.455:                              ;   in Loop: Header=BB358_13 Depth=1
	s_or_b32 exec_lo, exec_lo, s28
	v_mov_b32_e32 v0, 24
	v_lshlrev_b32_e32 v13, 20, v84
	v_lshl_add_u32 v2, v2, 23, 0x3c000000
	v_lshlrev_b32_sdwa v12, v0, v4 dst_sel:DWORD dst_unused:UNUSED_PAD src0_sel:DWORD src1_sel:WORD_1
	v_and_b32_e32 v12, 0x80000000, v12
	v_or3_b32 v2, v13, v12, v2
.LBB358_456:                            ;   in Loop: Header=BB358_13 Depth=1
	s_or_b32 exec_lo, exec_lo, s27
.LBB358_457:                            ;   in Loop: Header=BB358_13 Depth=1
	s_or_b32 exec_lo, exec_lo, s26
.LBB358_458:                            ;   in Loop: Header=BB358_13 Depth=1
	s_or_b32 exec_lo, exec_lo, s8
	s_mov_b32 s8, exec_lo
	v_cmpx_lt_u32_e32 0xffffff, v4
	s_cbranch_execz .LBB358_466
; %bb.459:                              ;   in Loop: Header=BB358_13 Depth=1
	v_cmp_ne_u32_sdwa s7, v4, v42 src0_sel:BYTE_3 src1_sel:DWORD
	v_bfrev_b32_e32 v116, 1
	s_and_saveexec_b32 s26, s7
	s_cbranch_execz .LBB358_465
; %bb.460:                              ;   in Loop: Header=BB358_13 Depth=1
	v_bfe_u32 v12, v4, 24, 7
	v_mov_b32_e32 v116, 0x7f800001
	s_mov_b32 s27, exec_lo
	v_cmpx_ne_u32_e32 0x7f, v12
	s_cbranch_execz .LBB358_464
; %bb.461:                              ;   in Loop: Header=BB358_13 Depth=1
	v_mov_b32_e32 v0, 7
	v_lshrrev_b32_e32 v3, 3, v12
	s_mov_b32 s28, exec_lo
	v_and_b32_sdwa v28, v4, v0 dst_sel:DWORD dst_unused:UNUSED_PAD src0_sel:BYTE_3 src1_sel:DWORD
	v_mov_b32_e32 v85, v29
	v_mov_b32_e32 v84, v28
	v_cmpx_gt_u32_e32 8, v12
; %bb.462:                              ;   in Loop: Header=BB358_13 Depth=1
	v_ffbh_u32_e32 v3, v28
	v_min_u32_e32 v3, 32, v3
	v_subrev_nc_u32_e32 v12, 28, v3
	v_sub_nc_u32_e32 v3, 29, v3
	v_lshlrev_b64 v[12:13], v12, v[28:29]
	v_and_b32_e32 v84, 7, v12
; %bb.463:                              ;   in Loop: Header=BB358_13 Depth=1
	s_or_b32 exec_lo, exec_lo, s28
	v_mov_b32_e32 v0, 24
	v_lshlrev_b32_e32 v12, 20, v84
	v_lshl_add_u32 v3, v3, 23, 0x3c000000
	v_lshlrev_b32_sdwa v4, v0, v4 dst_sel:DWORD dst_unused:UNUSED_PAD src0_sel:DWORD src1_sel:BYTE_3
	v_and_b32_e32 v4, 0x80000000, v4
	v_or3_b32 v116, v12, v4, v3
.LBB358_464:                            ;   in Loop: Header=BB358_13 Depth=1
	s_or_b32 exec_lo, exec_lo, s27
.LBB358_465:                            ;   in Loop: Header=BB358_13 Depth=1
	s_or_b32 exec_lo, exec_lo, s26
.LBB358_466:                            ;   in Loop: Header=BB358_13 Depth=1
	s_or_b32 exec_lo, exec_lo, s8
	flat_load_dword v4, v[82:83] offset:1792
	v_mov_b32_e32 v1, 0
	v_mov_b32_e32 v0, 0
	s_waitcnt vmcnt(0) lgkmcnt(0)
	v_cmp_ne_u16_sdwa s7, v4, v29 src0_sel:BYTE_0 src1_sel:DWORD
	s_and_saveexec_b32 s8, s7
	s_cbranch_execz .LBB358_474
; %bb.467:                              ;   in Loop: Header=BB358_13 Depth=1
	v_cmp_ne_u16_sdwa s7, v4, v42 src0_sel:BYTE_0 src1_sel:DWORD
	v_bfrev_b32_e32 v0, 1
	s_and_saveexec_b32 s26, s7
	s_cbranch_execz .LBB358_473
; %bb.468:                              ;   in Loop: Header=BB358_13 Depth=1
	v_and_b32_e32 v13, 0x7f, v4
	v_mov_b32_e32 v0, 0x7f800001
	s_mov_b32 s27, exec_lo
	v_cmpx_ne_u32_e32 0x7f, v13
	s_cbranch_execz .LBB358_472
; %bb.469:                              ;   in Loop: Header=BB358_13 Depth=1
	v_and_b32_e32 v28, 7, v4
	v_mov_b32_e32 v85, v29
	v_lshrrev_b32_e32 v12, 3, v13
	s_mov_b32 s28, exec_lo
	v_mov_b32_e32 v84, v28
	v_cmpx_gt_u32_e32 8, v13
; %bb.470:                              ;   in Loop: Header=BB358_13 Depth=1
	v_ffbh_u32_e32 v12, v28
	v_min_u32_e32 v12, 32, v12
	v_subrev_nc_u32_e32 v13, 28, v12
	v_sub_nc_u32_e32 v12, 29, v12
	v_lshlrev_b64 v[13:14], v13, v[28:29]
	v_and_b32_e32 v84, 7, v13
; %bb.471:                              ;   in Loop: Header=BB358_13 Depth=1
	s_or_b32 exec_lo, exec_lo, s28
	v_lshlrev_b32_e32 v13, 24, v4
	v_lshlrev_b32_e32 v14, 20, v84
	v_lshl_add_u32 v12, v12, 23, 0x3c000000
	v_mov_b32_e32 v1, 0
	v_and_b32_e32 v13, 0x80000000, v13
	v_or3_b32 v0, v14, v13, v12
.LBB358_472:                            ;   in Loop: Header=BB358_13 Depth=1
	s_or_b32 exec_lo, exec_lo, s27
.LBB358_473:                            ;   in Loop: Header=BB358_13 Depth=1
	s_or_b32 exec_lo, exec_lo, s26
.LBB358_474:                            ;   in Loop: Header=BB358_13 Depth=1
	s_or_b32 exec_lo, exec_lo, s8
	v_cmp_ne_u16_sdwa s7, v4, v29 src0_sel:BYTE_1 src1_sel:DWORD
	buffer_store_dword v0, off, s[0:3], s32 offset:504 ; 4-byte Folded Spill
	s_and_saveexec_b32 s8, s7
	s_cbranch_execz .LBB358_482
; %bb.475:                              ;   in Loop: Header=BB358_13 Depth=1
	v_cmp_ne_u16_sdwa s7, v4, v42 src0_sel:BYTE_1 src1_sel:DWORD
	v_bfrev_b32_e32 v1, 1
	s_and_saveexec_b32 s26, s7
	s_cbranch_execz .LBB358_481
; %bb.476:                              ;   in Loop: Header=BB358_13 Depth=1
	v_mov_b32_e32 v0, 0xffff
	v_mov_b32_e32 v1, 0x7f800001
	s_mov_b32 s27, exec_lo
	v_and_b32_sdwa v12, v0, v4 dst_sel:DWORD dst_unused:UNUSED_PAD src0_sel:DWORD src1_sel:BYTE_1
	v_and_b32_e32 v13, 0x7f, v12
	v_cmpx_ne_u32_e32 0x7f, v13
	s_cbranch_execz .LBB358_480
; %bb.477:                              ;   in Loop: Header=BB358_13 Depth=1
	v_and_b32_e32 v28, 7, v12
	v_mov_b32_e32 v85, v29
	v_lshrrev_b32_e32 v12, 3, v13
	s_mov_b32 s28, exec_lo
	v_mov_b32_e32 v84, v28
	v_cmpx_gt_u32_e32 8, v13
; %bb.478:                              ;   in Loop: Header=BB358_13 Depth=1
	v_ffbh_u32_e32 v12, v28
	v_min_u32_e32 v12, 32, v12
	v_subrev_nc_u32_e32 v13, 28, v12
	v_sub_nc_u32_e32 v12, 29, v12
	v_lshlrev_b64 v[13:14], v13, v[28:29]
	v_and_b32_e32 v84, 7, v13
; %bb.479:                              ;   in Loop: Header=BB358_13 Depth=1
	s_or_b32 exec_lo, exec_lo, s28
	v_lshlrev_b32_e32 v13, 16, v4
	v_lshlrev_b32_e32 v14, 20, v84
	v_lshl_add_u32 v12, v12, 23, 0x3c000000
	v_and_b32_e32 v13, 0x80000000, v13
	v_or3_b32 v1, v14, v13, v12
.LBB358_480:                            ;   in Loop: Header=BB358_13 Depth=1
	s_or_b32 exec_lo, exec_lo, s27
.LBB358_481:                            ;   in Loop: Header=BB358_13 Depth=1
	s_or_b32 exec_lo, exec_lo, s26
.LBB358_482:                            ;   in Loop: Header=BB358_13 Depth=1
	s_or_b32 exec_lo, exec_lo, s8
	v_and_b32_sdwa v12, v4, v56 dst_sel:DWORD dst_unused:UNUSED_PAD src0_sel:WORD_1 src1_sel:DWORD
	v_mov_b32_e32 v94, 0
	v_mov_b32_e32 v0, 0
	s_mov_b32 s8, exec_lo
	buffer_store_dword v1, off, s[0:3], s32 offset:508 ; 4-byte Folded Spill
	v_cmpx_ne_u16_e32 0, v12
	s_cbranch_execz .LBB358_490
; %bb.483:                              ;   in Loop: Header=BB358_13 Depth=1
	v_bfrev_b32_e32 v0, 1
	s_mov_b32 s26, exec_lo
	v_cmpx_ne_u16_e32 0x80, v12
	s_cbranch_execz .LBB358_489
; %bb.484:                              ;   in Loop: Header=BB358_13 Depth=1
	v_bfe_u32 v13, v4, 16, 7
	v_mov_b32_e32 v0, 0x7f800001
	s_mov_b32 s27, exec_lo
	v_cmpx_ne_u32_e32 0x7f, v13
	s_cbranch_execz .LBB358_488
; %bb.485:                              ;   in Loop: Header=BB358_13 Depth=1
	v_mov_b32_e32 v0, 7
	v_lshrrev_b32_e32 v12, 3, v13
	s_mov_b32 s28, exec_lo
	v_and_b32_sdwa v28, v4, v0 dst_sel:DWORD dst_unused:UNUSED_PAD src0_sel:WORD_1 src1_sel:DWORD
	v_mov_b32_e32 v85, v29
	v_mov_b32_e32 v84, v28
	v_cmpx_gt_u32_e32 8, v13
; %bb.486:                              ;   in Loop: Header=BB358_13 Depth=1
	v_ffbh_u32_e32 v12, v28
	v_min_u32_e32 v12, 32, v12
	v_subrev_nc_u32_e32 v13, 28, v12
	v_sub_nc_u32_e32 v12, 29, v12
	v_lshlrev_b64 v[13:14], v13, v[28:29]
	v_and_b32_e32 v84, 7, v13
; %bb.487:                              ;   in Loop: Header=BB358_13 Depth=1
	s_or_b32 exec_lo, exec_lo, s28
	v_mov_b32_e32 v0, 24
	v_lshlrev_b32_e32 v14, 20, v84
	v_lshl_add_u32 v12, v12, 23, 0x3c000000
	v_mov_b32_e32 v94, 0
	v_lshlrev_b32_sdwa v13, v0, v4 dst_sel:DWORD dst_unused:UNUSED_PAD src0_sel:DWORD src1_sel:WORD_1
	v_and_b32_e32 v13, 0x80000000, v13
	v_or3_b32 v0, v14, v13, v12
.LBB358_488:                            ;   in Loop: Header=BB358_13 Depth=1
	s_or_b32 exec_lo, exec_lo, s27
.LBB358_489:                            ;   in Loop: Header=BB358_13 Depth=1
	s_or_b32 exec_lo, exec_lo, s26
.LBB358_490:                            ;   in Loop: Header=BB358_13 Depth=1
	s_or_b32 exec_lo, exec_lo, s8
	s_mov_b32 s8, exec_lo
	buffer_store_dword v0, off, s[0:3], s32 offset:512 ; 4-byte Folded Spill
	v_cmpx_lt_u32_e32 0xffffff, v4
	s_cbranch_execz .LBB358_498
; %bb.491:                              ;   in Loop: Header=BB358_13 Depth=1
	v_cmp_ne_u32_sdwa s7, v4, v42 src0_sel:BYTE_3 src1_sel:DWORD
	v_bfrev_b32_e32 v94, 1
	s_and_saveexec_b32 s26, s7
	s_cbranch_execz .LBB358_497
; %bb.492:                              ;   in Loop: Header=BB358_13 Depth=1
	v_bfe_u32 v13, v4, 24, 7
	v_mov_b32_e32 v94, 0x7f800001
	s_mov_b32 s27, exec_lo
	v_cmpx_ne_u32_e32 0x7f, v13
	s_cbranch_execz .LBB358_496
; %bb.493:                              ;   in Loop: Header=BB358_13 Depth=1
	v_mov_b32_e32 v0, 7
	v_lshrrev_b32_e32 v12, 3, v13
	s_mov_b32 s28, exec_lo
	v_and_b32_sdwa v28, v4, v0 dst_sel:DWORD dst_unused:UNUSED_PAD src0_sel:BYTE_3 src1_sel:DWORD
	v_mov_b32_e32 v85, v29
	v_mov_b32_e32 v84, v28
	v_cmpx_gt_u32_e32 8, v13
; %bb.494:                              ;   in Loop: Header=BB358_13 Depth=1
	v_ffbh_u32_e32 v12, v28
	v_min_u32_e32 v12, 32, v12
	v_subrev_nc_u32_e32 v13, 28, v12
	v_sub_nc_u32_e32 v12, 29, v12
	v_lshlrev_b64 v[24:25], v13, v[28:29]
	v_and_b32_e32 v84, 7, v24
; %bb.495:                              ;   in Loop: Header=BB358_13 Depth=1
	s_or_b32 exec_lo, exec_lo, s28
	v_mov_b32_e32 v0, 24
	v_lshlrev_b32_e32 v13, 20, v84
	v_lshl_add_u32 v12, v12, 23, 0x3c000000
	v_lshlrev_b32_sdwa v4, v0, v4 dst_sel:DWORD dst_unused:UNUSED_PAD src0_sel:DWORD src1_sel:BYTE_3
	v_and_b32_e32 v4, 0x80000000, v4
	v_or3_b32 v94, v13, v4, v12
.LBB358_496:                            ;   in Loop: Header=BB358_13 Depth=1
	s_or_b32 exec_lo, exec_lo, s27
.LBB358_497:                            ;   in Loop: Header=BB358_13 Depth=1
	s_or_b32 exec_lo, exec_lo, s26
.LBB358_498:                            ;   in Loop: Header=BB358_13 Depth=1
	s_or_b32 exec_lo, exec_lo, s8
	flat_load_dword v4, v[82:83] offset:1800
	v_mov_b32_e32 v93, 0
	v_mov_b32_e32 v95, 0
	s_waitcnt vmcnt(0) lgkmcnt(0)
	v_cmp_ne_u16_sdwa s7, v4, v29 src0_sel:BYTE_0 src1_sel:DWORD
	s_and_saveexec_b32 s8, s7
	s_cbranch_execz .LBB358_506
; %bb.499:                              ;   in Loop: Header=BB358_13 Depth=1
	v_cmp_ne_u16_sdwa s7, v4, v42 src0_sel:BYTE_0 src1_sel:DWORD
	v_bfrev_b32_e32 v95, 1
	s_and_saveexec_b32 s26, s7
	s_cbranch_execz .LBB358_505
; %bb.500:                              ;   in Loop: Header=BB358_13 Depth=1
	v_and_b32_e32 v13, 0x7f, v4
	v_mov_b32_e32 v95, 0x7f800001
	s_mov_b32 s27, exec_lo
	v_cmpx_ne_u32_e32 0x7f, v13
	s_cbranch_execz .LBB358_504
; %bb.501:                              ;   in Loop: Header=BB358_13 Depth=1
	v_and_b32_e32 v28, 7, v4
	v_mov_b32_e32 v83, v29
	v_lshrrev_b32_e32 v12, 3, v13
	s_mov_b32 s28, exec_lo
	v_mov_b32_e32 v82, v28
	v_cmpx_gt_u32_e32 8, v13
; %bb.502:                              ;   in Loop: Header=BB358_13 Depth=1
	v_ffbh_u32_e32 v12, v28
	v_min_u32_e32 v12, 32, v12
	v_subrev_nc_u32_e32 v13, 28, v12
	v_sub_nc_u32_e32 v12, 29, v12
	v_lshlrev_b64 v[24:25], v13, v[28:29]
	v_and_b32_e32 v82, 7, v24
; %bb.503:                              ;   in Loop: Header=BB358_13 Depth=1
	s_or_b32 exec_lo, exec_lo, s28
	v_lshlrev_b32_e32 v13, 24, v4
	v_lshlrev_b32_e32 v15, 20, v82
	v_lshl_add_u32 v12, v12, 23, 0x3c000000
	v_and_b32_e32 v13, 0x80000000, v13
	v_or3_b32 v95, v15, v13, v12
.LBB358_504:                            ;   in Loop: Header=BB358_13 Depth=1
	s_or_b32 exec_lo, exec_lo, s27
.LBB358_505:                            ;   in Loop: Header=BB358_13 Depth=1
	s_or_b32 exec_lo, exec_lo, s26
.LBB358_506:                            ;   in Loop: Header=BB358_13 Depth=1
	s_or_b32 exec_lo, exec_lo, s8
	v_cmp_ne_u16_sdwa s7, v4, v29 src0_sel:BYTE_1 src1_sel:DWORD
	s_and_saveexec_b32 s8, s7
	s_cbranch_execz .LBB358_514
; %bb.507:                              ;   in Loop: Header=BB358_13 Depth=1
	v_cmp_ne_u16_sdwa s7, v4, v42 src0_sel:BYTE_1 src1_sel:DWORD
	v_bfrev_b32_e32 v93, 1
	s_and_saveexec_b32 s26, s7
	s_cbranch_execz .LBB358_513
; %bb.508:                              ;   in Loop: Header=BB358_13 Depth=1
	v_mov_b32_e32 v0, 0xffff
	v_mov_b32_e32 v93, 0x7f800001
	s_mov_b32 s27, exec_lo
	v_and_b32_sdwa v12, v0, v4 dst_sel:DWORD dst_unused:UNUSED_PAD src0_sel:DWORD src1_sel:BYTE_1
	v_and_b32_e32 v13, 0x7f, v12
	v_cmpx_ne_u32_e32 0x7f, v13
	s_cbranch_execz .LBB358_512
; %bb.509:                              ;   in Loop: Header=BB358_13 Depth=1
	v_and_b32_e32 v28, 7, v12
	v_mov_b32_e32 v83, v29
	v_lshrrev_b32_e32 v12, 3, v13
	s_mov_b32 s28, exec_lo
	v_mov_b32_e32 v82, v28
	v_cmpx_gt_u32_e32 8, v13
; %bb.510:                              ;   in Loop: Header=BB358_13 Depth=1
	v_ffbh_u32_e32 v12, v28
	v_min_u32_e32 v12, 32, v12
	v_subrev_nc_u32_e32 v13, 28, v12
	v_sub_nc_u32_e32 v12, 29, v12
	v_lshlrev_b64 v[24:25], v13, v[28:29]
	v_and_b32_e32 v82, 7, v24
; %bb.511:                              ;   in Loop: Header=BB358_13 Depth=1
	s_or_b32 exec_lo, exec_lo, s28
	v_lshlrev_b32_e32 v13, 16, v4
	v_lshlrev_b32_e32 v20, 20, v82
	v_lshl_add_u32 v12, v12, 23, 0x3c000000
	v_and_b32_e32 v13, 0x80000000, v13
	v_or3_b32 v93, v20, v13, v12
.LBB358_512:                            ;   in Loop: Header=BB358_13 Depth=1
	s_or_b32 exec_lo, exec_lo, s27
.LBB358_513:                            ;   in Loop: Header=BB358_13 Depth=1
	s_or_b32 exec_lo, exec_lo, s26
.LBB358_514:                            ;   in Loop: Header=BB358_13 Depth=1
	s_or_b32 exec_lo, exec_lo, s8
	v_and_b32_sdwa v13, v4, v56 dst_sel:DWORD dst_unused:UNUSED_PAD src0_sel:WORD_1 src1_sel:DWORD
	v_mov_b32_e32 v85, 0
	v_mov_b32_e32 v92, 0
	s_mov_b32 s8, exec_lo
	v_cmpx_ne_u16_e32 0, v13
	s_cbranch_execz .LBB358_522
; %bb.515:                              ;   in Loop: Header=BB358_13 Depth=1
	v_bfrev_b32_e32 v92, 1
	s_mov_b32 s26, exec_lo
	v_cmpx_ne_u16_e32 0x80, v13
	s_cbranch_execz .LBB358_521
; %bb.516:                              ;   in Loop: Header=BB358_13 Depth=1
	v_bfe_u32 v13, v4, 16, 7
	v_mov_b32_e32 v92, 0x7f800001
	s_mov_b32 s27, exec_lo
	v_cmpx_ne_u32_e32 0x7f, v13
	s_cbranch_execz .LBB358_520
; %bb.517:                              ;   in Loop: Header=BB358_13 Depth=1
	v_mov_b32_e32 v0, 7
	v_lshrrev_b32_e32 v12, 3, v13
	s_mov_b32 s28, exec_lo
	v_and_b32_sdwa v28, v4, v0 dst_sel:DWORD dst_unused:UNUSED_PAD src0_sel:WORD_1 src1_sel:DWORD
	v_mov_b32_e32 v83, v29
	v_mov_b32_e32 v82, v28
	v_cmpx_gt_u32_e32 8, v13
; %bb.518:                              ;   in Loop: Header=BB358_13 Depth=1
	v_ffbh_u32_e32 v12, v28
	v_min_u32_e32 v12, 32, v12
	v_subrev_nc_u32_e32 v13, 28, v12
	v_sub_nc_u32_e32 v12, 29, v12
	v_lshlrev_b64 v[24:25], v13, v[28:29]
	v_and_b32_e32 v82, 7, v24
; %bb.519:                              ;   in Loop: Header=BB358_13 Depth=1
	s_or_b32 exec_lo, exec_lo, s28
	v_mov_b32_e32 v0, 24
	v_lshlrev_b32_e32 v20, 20, v82
	v_lshl_add_u32 v12, v12, 23, 0x3c000000
	v_lshlrev_b32_sdwa v13, v0, v4 dst_sel:DWORD dst_unused:UNUSED_PAD src0_sel:DWORD src1_sel:WORD_1
	v_and_b32_e32 v13, 0x80000000, v13
	v_or3_b32 v92, v20, v13, v12
.LBB358_520:                            ;   in Loop: Header=BB358_13 Depth=1
	s_or_b32 exec_lo, exec_lo, s27
.LBB358_521:                            ;   in Loop: Header=BB358_13 Depth=1
	s_or_b32 exec_lo, exec_lo, s26
.LBB358_522:                            ;   in Loop: Header=BB358_13 Depth=1
	s_or_b32 exec_lo, exec_lo, s8
	s_mov_b32 s8, exec_lo
	v_cmpx_lt_u32_e32 0xffffff, v4
	s_cbranch_execz .LBB358_530
; %bb.523:                              ;   in Loop: Header=BB358_13 Depth=1
	v_cmp_ne_u32_sdwa s7, v4, v42 src0_sel:BYTE_3 src1_sel:DWORD
	v_bfrev_b32_e32 v85, 1
	s_and_saveexec_b32 s26, s7
	s_cbranch_execz .LBB358_529
; %bb.524:                              ;   in Loop: Header=BB358_13 Depth=1
	v_bfe_u32 v20, v4, 24, 7
	v_mov_b32_e32 v85, 0x7f800001
	s_mov_b32 s27, exec_lo
	v_cmpx_ne_u32_e32 0x7f, v20
	s_cbranch_execz .LBB358_528
; %bb.525:                              ;   in Loop: Header=BB358_13 Depth=1
	v_mov_b32_e32 v0, 7
	v_lshrrev_b32_e32 v13, 3, v20
	s_mov_b32 s28, exec_lo
	v_and_b32_sdwa v28, v4, v0 dst_sel:DWORD dst_unused:UNUSED_PAD src0_sel:BYTE_3 src1_sel:DWORD
	v_mov_b32_e32 v83, v29
	v_mov_b32_e32 v82, v28
	v_cmpx_gt_u32_e32 8, v20
; %bb.526:                              ;   in Loop: Header=BB358_13 Depth=1
	v_ffbh_u32_e32 v13, v28
	v_min_u32_e32 v13, 32, v13
	v_subrev_nc_u32_e32 v20, 28, v13
	v_sub_nc_u32_e32 v13, 29, v13
	v_lshlrev_b64 v[24:25], v20, v[28:29]
	v_and_b32_e32 v82, 7, v24
; %bb.527:                              ;   in Loop: Header=BB358_13 Depth=1
	s_or_b32 exec_lo, exec_lo, s28
	v_mov_b32_e32 v0, 24
	v_lshlrev_b32_e32 v20, 20, v82
	v_lshl_add_u32 v13, v13, 23, 0x3c000000
	v_lshlrev_b32_sdwa v4, v0, v4 dst_sel:DWORD dst_unused:UNUSED_PAD src0_sel:DWORD src1_sel:BYTE_3
	v_and_b32_e32 v4, 0x80000000, v4
	v_or3_b32 v85, v20, v4, v13
.LBB358_528:                            ;   in Loop: Header=BB358_13 Depth=1
	s_or_b32 exec_lo, exec_lo, s27
.LBB358_529:                            ;   in Loop: Header=BB358_13 Depth=1
	s_or_b32 exec_lo, exec_lo, s26
.LBB358_530:                            ;   in Loop: Header=BB358_13 Depth=1
	s_or_b32 exec_lo, exec_lo, s8
	buffer_load_dword v0, off, s[0:3], s32 offset:200 ; 4-byte Folded Reload
	v_add_co_u32 v4, s7, 0x800, v80
	v_add_co_ci_u32_e64 v13, null, 0, v81, s7
	s_waitcnt vmcnt(0)
	v_add_co_u32 v24, s7, v4, v0
	v_add_co_ci_u32_e64 v25, null, 0, v13, s7
	v_mov_b32_e32 v0, 0
	flat_load_dword v20, v[24:25]
	buffer_store_dword v0, off, s[0:3], s32 offset:344 ; 4-byte Folded Spill
	v_mov_b32_e32 v0, 0
	buffer_store_dword v0, off, s[0:3], s32 offset:340 ; 4-byte Folded Spill
	s_waitcnt vmcnt(0) lgkmcnt(0)
	v_cmp_ne_u16_sdwa s7, v20, v29 src0_sel:BYTE_0 src1_sel:DWORD
	s_and_saveexec_b32 s8, s7
	s_cbranch_execz .LBB358_538
; %bb.531:                              ;   in Loop: Header=BB358_13 Depth=1
	v_cmp_ne_u16_sdwa s7, v20, v42 src0_sel:BYTE_0 src1_sel:DWORD
	v_bfrev_b32_e32 v0, 1
	buffer_store_dword v0, off, s[0:3], s32 offset:340 ; 4-byte Folded Spill
	s_and_saveexec_b32 s26, s7
	s_cbranch_execz .LBB358_537
; %bb.532:                              ;   in Loop: Header=BB358_13 Depth=1
	v_and_b32_e32 v25, 0x7f, v20
	v_mov_b32_e32 v0, 0x7f800001
	s_mov_b32 s27, exec_lo
	buffer_store_dword v0, off, s[0:3], s32 offset:340 ; 4-byte Folded Spill
	v_cmpx_ne_u32_e32 0x7f, v25
	s_cbranch_execz .LBB358_536
; %bb.533:                              ;   in Loop: Header=BB358_13 Depth=1
	v_and_b32_e32 v28, 7, v20
	v_mov_b32_e32 v83, v29
	v_lshrrev_b32_e32 v24, 3, v25
	s_mov_b32 s28, exec_lo
	v_mov_b32_e32 v82, v28
	v_cmpx_gt_u32_e32 8, v25
; %bb.534:                              ;   in Loop: Header=BB358_13 Depth=1
	v_ffbh_u32_e32 v24, v28
	v_min_u32_e32 v24, 32, v24
	v_subrev_nc_u32_e32 v25, 28, v24
	v_sub_nc_u32_e32 v24, 29, v24
	v_lshlrev_b64 v[25:26], v25, v[28:29]
	v_and_b32_e32 v82, 7, v25
; %bb.535:                              ;   in Loop: Header=BB358_13 Depth=1
	s_or_b32 exec_lo, exec_lo, s28
	v_lshlrev_b32_e32 v25, 24, v20
	v_lshlrev_b32_e32 v26, 20, v82
	v_lshl_add_u32 v24, v24, 23, 0x3c000000
	v_and_b32_e32 v25, 0x80000000, v25
	v_or3_b32 v0, v26, v25, v24
	buffer_store_dword v0, off, s[0:3], s32 offset:340 ; 4-byte Folded Spill
.LBB358_536:                            ;   in Loop: Header=BB358_13 Depth=1
	s_or_b32 exec_lo, exec_lo, s27
.LBB358_537:                            ;   in Loop: Header=BB358_13 Depth=1
	s_or_b32 exec_lo, exec_lo, s26
.LBB358_538:                            ;   in Loop: Header=BB358_13 Depth=1
	s_or_b32 exec_lo, exec_lo, s8
	v_cmp_ne_u16_sdwa s7, v20, v29 src0_sel:BYTE_1 src1_sel:DWORD
	s_and_saveexec_b32 s8, s7
	s_cbranch_execz .LBB358_546
; %bb.539:                              ;   in Loop: Header=BB358_13 Depth=1
	v_cmp_ne_u16_sdwa s7, v20, v42 src0_sel:BYTE_1 src1_sel:DWORD
	v_bfrev_b32_e32 v0, 1
	buffer_store_dword v0, off, s[0:3], s32 offset:344 ; 4-byte Folded Spill
	s_and_saveexec_b32 s26, s7
	s_cbranch_execz .LBB358_545
; %bb.540:                              ;   in Loop: Header=BB358_13 Depth=1
	v_mov_b32_e32 v0, 0xffff
	s_mov_b32 s27, exec_lo
	v_and_b32_sdwa v24, v0, v20 dst_sel:DWORD dst_unused:UNUSED_PAD src0_sel:DWORD src1_sel:BYTE_1
	v_mov_b32_e32 v0, 0x7f800001
	v_and_b32_e32 v25, 0x7f, v24
	buffer_store_dword v0, off, s[0:3], s32 offset:344 ; 4-byte Folded Spill
	v_cmpx_ne_u32_e32 0x7f, v25
	s_cbranch_execz .LBB358_544
; %bb.541:                              ;   in Loop: Header=BB358_13 Depth=1
	v_and_b32_e32 v28, 7, v24
	v_mov_b32_e32 v83, v29
	v_lshrrev_b32_e32 v24, 3, v25
	s_mov_b32 s28, exec_lo
	v_mov_b32_e32 v82, v28
	v_cmpx_gt_u32_e32 8, v25
; %bb.542:                              ;   in Loop: Header=BB358_13 Depth=1
	v_ffbh_u32_e32 v24, v28
	v_min_u32_e32 v24, 32, v24
	v_subrev_nc_u32_e32 v25, 28, v24
	v_sub_nc_u32_e32 v24, 29, v24
	v_lshlrev_b64 v[25:26], v25, v[28:29]
	v_and_b32_e32 v82, 7, v25
; %bb.543:                              ;   in Loop: Header=BB358_13 Depth=1
	s_or_b32 exec_lo, exec_lo, s28
	v_lshlrev_b32_e32 v25, 16, v20
	v_lshlrev_b32_e32 v26, 20, v82
	v_lshl_add_u32 v24, v24, 23, 0x3c000000
	v_and_b32_e32 v25, 0x80000000, v25
	v_or3_b32 v0, v26, v25, v24
	buffer_store_dword v0, off, s[0:3], s32 offset:344 ; 4-byte Folded Spill
.LBB358_544:                            ;   in Loop: Header=BB358_13 Depth=1
	s_or_b32 exec_lo, exec_lo, s27
.LBB358_545:                            ;   in Loop: Header=BB358_13 Depth=1
	s_or_b32 exec_lo, exec_lo, s26
.LBB358_546:                            ;   in Loop: Header=BB358_13 Depth=1
	s_or_b32 exec_lo, exec_lo, s8
	v_mov_b32_e32 v0, 0
	v_and_b32_sdwa v24, v20, v56 dst_sel:DWORD dst_unused:UNUSED_PAD src0_sel:WORD_1 src1_sel:DWORD
	s_mov_b32 s8, exec_lo
	buffer_store_dword v0, off, s[0:3], s32 offset:348 ; 4-byte Folded Spill
	v_mov_b32_e32 v0, 0
	buffer_store_dword v0, off, s[0:3], s32 offset:456 ; 4-byte Folded Spill
	v_cmpx_ne_u16_e32 0, v24
	s_cbranch_execz .LBB358_554
; %bb.547:                              ;   in Loop: Header=BB358_13 Depth=1
	v_bfrev_b32_e32 v0, 1
	s_mov_b32 s26, exec_lo
	v_cmpx_ne_u16_e32 0x80, v24
	s_cbranch_execz .LBB358_553
; %bb.548:                              ;   in Loop: Header=BB358_13 Depth=1
	v_bfe_u32 v25, v20, 16, 7
	v_mov_b32_e32 v0, 0x7f800001
	s_mov_b32 s27, exec_lo
	v_cmpx_ne_u32_e32 0x7f, v25
	s_cbranch_execz .LBB358_552
; %bb.549:                              ;   in Loop: Header=BB358_13 Depth=1
	v_mov_b32_e32 v0, 7
	v_lshrrev_b32_e32 v24, 3, v25
	s_mov_b32 s28, exec_lo
	v_and_b32_sdwa v28, v20, v0 dst_sel:DWORD dst_unused:UNUSED_PAD src0_sel:WORD_1 src1_sel:DWORD
	v_mov_b32_e32 v83, v29
	v_mov_b32_e32 v82, v28
	v_cmpx_gt_u32_e32 8, v25
; %bb.550:                              ;   in Loop: Header=BB358_13 Depth=1
	v_ffbh_u32_e32 v24, v28
	v_min_u32_e32 v24, 32, v24
	v_subrev_nc_u32_e32 v25, 28, v24
	v_sub_nc_u32_e32 v24, 29, v24
	v_lshlrev_b64 v[25:26], v25, v[28:29]
	v_and_b32_e32 v82, 7, v25
; %bb.551:                              ;   in Loop: Header=BB358_13 Depth=1
	s_or_b32 exec_lo, exec_lo, s28
	v_mov_b32_e32 v0, 24
	v_lshlrev_b32_e32 v26, 20, v82
	v_lshl_add_u32 v24, v24, 23, 0x3c000000
	v_lshlrev_b32_sdwa v25, v0, v20 dst_sel:DWORD dst_unused:UNUSED_PAD src0_sel:DWORD src1_sel:WORD_1
	v_and_b32_e32 v25, 0x80000000, v25
	v_or3_b32 v0, v26, v25, v24
.LBB358_552:                            ;   in Loop: Header=BB358_13 Depth=1
	s_or_b32 exec_lo, exec_lo, s27
.LBB358_553:                            ;   in Loop: Header=BB358_13 Depth=1
	s_or_b32 exec_lo, exec_lo, s26
	buffer_store_dword v0, off, s[0:3], s32 offset:456 ; 4-byte Folded Spill
.LBB358_554:                            ;   in Loop: Header=BB358_13 Depth=1
	s_or_b32 exec_lo, exec_lo, s8
	s_mov_b32 s8, exec_lo
	v_cmpx_lt_u32_e32 0xffffff, v20
	s_cbranch_execz .LBB358_562
; %bb.555:                              ;   in Loop: Header=BB358_13 Depth=1
	v_cmp_ne_u32_sdwa s7, v20, v42 src0_sel:BYTE_3 src1_sel:DWORD
	v_bfrev_b32_e32 v0, 1
	buffer_store_dword v0, off, s[0:3], s32 offset:348 ; 4-byte Folded Spill
	s_and_saveexec_b32 s26, s7
	s_cbranch_execz .LBB358_561
; %bb.556:                              ;   in Loop: Header=BB358_13 Depth=1
	v_bfe_u32 v25, v20, 24, 7
	v_mov_b32_e32 v0, 0x7f800001
	s_mov_b32 s27, exec_lo
	buffer_store_dword v0, off, s[0:3], s32 offset:348 ; 4-byte Folded Spill
	v_cmpx_ne_u32_e32 0x7f, v25
	s_cbranch_execz .LBB358_560
; %bb.557:                              ;   in Loop: Header=BB358_13 Depth=1
	v_mov_b32_e32 v0, 7
	v_lshrrev_b32_e32 v24, 3, v25
	s_mov_b32 s28, exec_lo
	v_and_b32_sdwa v28, v20, v0 dst_sel:DWORD dst_unused:UNUSED_PAD src0_sel:BYTE_3 src1_sel:DWORD
	v_mov_b32_e32 v83, v29
	v_mov_b32_e32 v82, v28
	v_cmpx_gt_u32_e32 8, v25
; %bb.558:                              ;   in Loop: Header=BB358_13 Depth=1
	v_ffbh_u32_e32 v24, v28
	v_min_u32_e32 v24, 32, v24
	v_subrev_nc_u32_e32 v25, 28, v24
	v_sub_nc_u32_e32 v24, 29, v24
	v_lshlrev_b64 v[25:26], v25, v[28:29]
	v_and_b32_e32 v82, 7, v25
; %bb.559:                              ;   in Loop: Header=BB358_13 Depth=1
	s_or_b32 exec_lo, exec_lo, s28
	v_mov_b32_e32 v0, 24
	v_lshlrev_b32_e32 v25, 20, v82
	v_lshl_add_u32 v24, v24, 23, 0x3c000000
	v_lshlrev_b32_sdwa v20, v0, v20 dst_sel:DWORD dst_unused:UNUSED_PAD src0_sel:DWORD src1_sel:BYTE_3
	v_and_b32_e32 v20, 0x80000000, v20
	v_or3_b32 v0, v25, v20, v24
	buffer_store_dword v0, off, s[0:3], s32 offset:348 ; 4-byte Folded Spill
.LBB358_560:                            ;   in Loop: Header=BB358_13 Depth=1
	s_or_b32 exec_lo, exec_lo, s27
.LBB358_561:                            ;   in Loop: Header=BB358_13 Depth=1
	s_or_b32 exec_lo, exec_lo, s26
.LBB358_562:                            ;   in Loop: Header=BB358_13 Depth=1
	s_or_b32 exec_lo, exec_lo, s8
	buffer_load_dword v0, off, s[0:3], s32 offset:204 ; 4-byte Folded Reload
	s_waitcnt vmcnt(0)
	v_add_co_u32 v24, s7, v4, v0
	v_add_co_ci_u32_e64 v25, null, 0, v13, s7
	v_mov_b32_e32 v0, 0
	flat_load_dword v4, v[24:25]
	buffer_store_dword v0, off, s[0:3], s32 offset:356 ; 4-byte Folded Spill
	v_mov_b32_e32 v0, 0
	buffer_store_dword v0, off, s[0:3], s32 offset:352 ; 4-byte Folded Spill
	s_waitcnt vmcnt(0) lgkmcnt(0)
	v_cmp_ne_u16_sdwa s7, v4, v29 src0_sel:BYTE_0 src1_sel:DWORD
	s_and_saveexec_b32 s8, s7
	s_cbranch_execz .LBB358_570
; %bb.563:                              ;   in Loop: Header=BB358_13 Depth=1
	v_cmp_ne_u16_sdwa s7, v4, v42 src0_sel:BYTE_0 src1_sel:DWORD
	v_bfrev_b32_e32 v0, 1
	buffer_store_dword v0, off, s[0:3], s32 offset:352 ; 4-byte Folded Spill
	s_and_saveexec_b32 s26, s7
	s_cbranch_execz .LBB358_569
; %bb.564:                              ;   in Loop: Header=BB358_13 Depth=1
	v_and_b32_e32 v20, 0x7f, v4
	v_mov_b32_e32 v0, 0x7f800001
	s_mov_b32 s27, exec_lo
	buffer_store_dword v0, off, s[0:3], s32 offset:352 ; 4-byte Folded Spill
	v_cmpx_ne_u32_e32 0x7f, v20
	s_cbranch_execz .LBB358_568
; %bb.565:                              ;   in Loop: Header=BB358_13 Depth=1
	v_and_b32_e32 v28, 7, v4
	v_mov_b32_e32 v83, v29
	v_lshrrev_b32_e32 v13, 3, v20
	s_mov_b32 s28, exec_lo
	v_mov_b32_e32 v82, v28
	v_cmpx_gt_u32_e32 8, v20
; %bb.566:                              ;   in Loop: Header=BB358_13 Depth=1
	v_ffbh_u32_e32 v13, v28
	v_min_u32_e32 v13, 32, v13
	v_subrev_nc_u32_e32 v20, 28, v13
	v_sub_nc_u32_e32 v13, 29, v13
	v_lshlrev_b64 v[24:25], v20, v[28:29]
	v_and_b32_e32 v82, 7, v24
; %bb.567:                              ;   in Loop: Header=BB358_13 Depth=1
	s_or_b32 exec_lo, exec_lo, s28
	v_lshlrev_b32_e32 v20, 24, v4
	v_lshlrev_b32_e32 v24, 20, v82
	v_lshl_add_u32 v13, v13, 23, 0x3c000000
	v_and_b32_e32 v20, 0x80000000, v20
	v_or3_b32 v0, v24, v20, v13
	buffer_store_dword v0, off, s[0:3], s32 offset:352 ; 4-byte Folded Spill
.LBB358_568:                            ;   in Loop: Header=BB358_13 Depth=1
	s_or_b32 exec_lo, exec_lo, s27
.LBB358_569:                            ;   in Loop: Header=BB358_13 Depth=1
	s_or_b32 exec_lo, exec_lo, s26
.LBB358_570:                            ;   in Loop: Header=BB358_13 Depth=1
	s_or_b32 exec_lo, exec_lo, s8
	v_cmp_ne_u16_sdwa s7, v4, v29 src0_sel:BYTE_1 src1_sel:DWORD
	s_and_saveexec_b32 s8, s7
	s_cbranch_execz .LBB358_578
; %bb.571:                              ;   in Loop: Header=BB358_13 Depth=1
	v_cmp_ne_u16_sdwa s7, v4, v42 src0_sel:BYTE_1 src1_sel:DWORD
	v_bfrev_b32_e32 v0, 1
	buffer_store_dword v0, off, s[0:3], s32 offset:356 ; 4-byte Folded Spill
	s_and_saveexec_b32 s26, s7
	s_cbranch_execz .LBB358_577
; %bb.572:                              ;   in Loop: Header=BB358_13 Depth=1
	v_mov_b32_e32 v0, 0xffff
	s_mov_b32 s27, exec_lo
	v_and_b32_sdwa v13, v0, v4 dst_sel:DWORD dst_unused:UNUSED_PAD src0_sel:DWORD src1_sel:BYTE_1
	v_mov_b32_e32 v0, 0x7f800001
	v_and_b32_e32 v20, 0x7f, v13
	buffer_store_dword v0, off, s[0:3], s32 offset:356 ; 4-byte Folded Spill
	v_cmpx_ne_u32_e32 0x7f, v20
	s_cbranch_execz .LBB358_576
; %bb.573:                              ;   in Loop: Header=BB358_13 Depth=1
	v_and_b32_e32 v28, 7, v13
	v_mov_b32_e32 v83, v29
	v_lshrrev_b32_e32 v13, 3, v20
	s_mov_b32 s28, exec_lo
	v_mov_b32_e32 v82, v28
	v_cmpx_gt_u32_e32 8, v20
; %bb.574:                              ;   in Loop: Header=BB358_13 Depth=1
	v_ffbh_u32_e32 v13, v28
	v_min_u32_e32 v13, 32, v13
	v_subrev_nc_u32_e32 v20, 28, v13
	v_sub_nc_u32_e32 v13, 29, v13
	v_lshlrev_b64 v[24:25], v20, v[28:29]
	v_and_b32_e32 v82, 7, v24
; %bb.575:                              ;   in Loop: Header=BB358_13 Depth=1
	s_or_b32 exec_lo, exec_lo, s28
	v_lshlrev_b32_e32 v20, 16, v4
	v_lshlrev_b32_e32 v24, 20, v82
	v_lshl_add_u32 v13, v13, 23, 0x3c000000
	v_and_b32_e32 v20, 0x80000000, v20
	v_or3_b32 v0, v24, v20, v13
	buffer_store_dword v0, off, s[0:3], s32 offset:356 ; 4-byte Folded Spill
.LBB358_576:                            ;   in Loop: Header=BB358_13 Depth=1
	s_or_b32 exec_lo, exec_lo, s27
.LBB358_577:                            ;   in Loop: Header=BB358_13 Depth=1
	s_or_b32 exec_lo, exec_lo, s26
.LBB358_578:                            ;   in Loop: Header=BB358_13 Depth=1
	s_or_b32 exec_lo, exec_lo, s8
	v_mov_b32_e32 v0, 0
	v_and_b32_sdwa v20, v4, v56 dst_sel:DWORD dst_unused:UNUSED_PAD src0_sel:WORD_1 src1_sel:DWORD
	s_mov_b32 s8, exec_lo
	buffer_store_dword v0, off, s[0:3], s32 offset:360 ; 4-byte Folded Spill
	v_mov_b32_e32 v0, 0
	buffer_store_dword v0, off, s[0:3], s32 offset:364 ; 4-byte Folded Spill
	v_cmpx_ne_u16_e32 0, v20
	s_cbranch_execz .LBB358_586
; %bb.579:                              ;   in Loop: Header=BB358_13 Depth=1
	v_bfrev_b32_e32 v0, 1
	s_mov_b32 s26, exec_lo
	buffer_store_dword v0, off, s[0:3], s32 offset:364 ; 4-byte Folded Spill
	v_cmpx_ne_u16_e32 0x80, v20
	s_cbranch_execz .LBB358_585
; %bb.580:                              ;   in Loop: Header=BB358_13 Depth=1
	v_bfe_u32 v20, v4, 16, 7
	v_mov_b32_e32 v0, 0x7f800001
	s_mov_b32 s27, exec_lo
	buffer_store_dword v0, off, s[0:3], s32 offset:364 ; 4-byte Folded Spill
	v_cmpx_ne_u32_e32 0x7f, v20
	s_cbranch_execz .LBB358_584
; %bb.581:                              ;   in Loop: Header=BB358_13 Depth=1
	v_mov_b32_e32 v0, 7
	v_lshrrev_b32_e32 v13, 3, v20
	s_mov_b32 s28, exec_lo
	v_and_b32_sdwa v28, v4, v0 dst_sel:DWORD dst_unused:UNUSED_PAD src0_sel:WORD_1 src1_sel:DWORD
	v_mov_b32_e32 v83, v29
	v_mov_b32_e32 v82, v28
	v_cmpx_gt_u32_e32 8, v20
; %bb.582:                              ;   in Loop: Header=BB358_13 Depth=1
	v_ffbh_u32_e32 v13, v28
	v_min_u32_e32 v13, 32, v13
	v_subrev_nc_u32_e32 v20, 28, v13
	v_sub_nc_u32_e32 v13, 29, v13
	v_lshlrev_b64 v[24:25], v20, v[28:29]
	v_and_b32_e32 v82, 7, v24
; %bb.583:                              ;   in Loop: Header=BB358_13 Depth=1
	s_or_b32 exec_lo, exec_lo, s28
	v_mov_b32_e32 v0, 24
	v_lshlrev_b32_e32 v24, 20, v82
	v_lshl_add_u32 v13, v13, 23, 0x3c000000
	v_lshlrev_b32_sdwa v20, v0, v4 dst_sel:DWORD dst_unused:UNUSED_PAD src0_sel:DWORD src1_sel:WORD_1
	v_and_b32_e32 v20, 0x80000000, v20
	v_or3_b32 v0, v24, v20, v13
	buffer_store_dword v0, off, s[0:3], s32 offset:364 ; 4-byte Folded Spill
.LBB358_584:                            ;   in Loop: Header=BB358_13 Depth=1
	s_or_b32 exec_lo, exec_lo, s27
.LBB358_585:                            ;   in Loop: Header=BB358_13 Depth=1
	s_or_b32 exec_lo, exec_lo, s26
.LBB358_586:                            ;   in Loop: Header=BB358_13 Depth=1
	s_or_b32 exec_lo, exec_lo, s8
	s_mov_b32 s8, exec_lo
	v_cmpx_lt_u32_e32 0xffffff, v4
	s_cbranch_execz .LBB358_594
; %bb.587:                              ;   in Loop: Header=BB358_13 Depth=1
	v_cmp_ne_u32_sdwa s7, v4, v42 src0_sel:BYTE_3 src1_sel:DWORD
	v_bfrev_b32_e32 v0, 1
	buffer_store_dword v0, off, s[0:3], s32 offset:360 ; 4-byte Folded Spill
	s_and_saveexec_b32 s26, s7
	s_cbranch_execz .LBB358_593
; %bb.588:                              ;   in Loop: Header=BB358_13 Depth=1
	v_bfe_u32 v24, v4, 24, 7
	v_mov_b32_e32 v0, 0x7f800001
	s_mov_b32 s27, exec_lo
	buffer_store_dword v0, off, s[0:3], s32 offset:360 ; 4-byte Folded Spill
	v_cmpx_ne_u32_e32 0x7f, v24
	s_cbranch_execz .LBB358_592
; %bb.589:                              ;   in Loop: Header=BB358_13 Depth=1
	v_mov_b32_e32 v0, 7
	v_lshrrev_b32_e32 v20, 3, v24
	s_mov_b32 s28, exec_lo
	v_and_b32_sdwa v28, v4, v0 dst_sel:DWORD dst_unused:UNUSED_PAD src0_sel:BYTE_3 src1_sel:DWORD
	v_mov_b32_e32 v83, v29
	v_mov_b32_e32 v82, v28
	v_cmpx_gt_u32_e32 8, v24
; %bb.590:                              ;   in Loop: Header=BB358_13 Depth=1
	v_ffbh_u32_e32 v20, v28
	v_min_u32_e32 v20, 32, v20
	v_subrev_nc_u32_e32 v24, 28, v20
	v_sub_nc_u32_e32 v20, 29, v20
	v_lshlrev_b64 v[24:25], v24, v[28:29]
	v_and_b32_e32 v82, 7, v24
; %bb.591:                              ;   in Loop: Header=BB358_13 Depth=1
	s_or_b32 exec_lo, exec_lo, s28
	v_mov_b32_e32 v0, 24
	v_lshlrev_b32_e32 v24, 20, v82
	v_lshl_add_u32 v20, v20, 23, 0x3c000000
	v_lshlrev_b32_sdwa v4, v0, v4 dst_sel:DWORD dst_unused:UNUSED_PAD src0_sel:DWORD src1_sel:BYTE_3
	v_and_b32_e32 v4, 0x80000000, v4
	v_or3_b32 v0, v24, v4, v20
	buffer_store_dword v0, off, s[0:3], s32 offset:360 ; 4-byte Folded Spill
.LBB358_592:                            ;   in Loop: Header=BB358_13 Depth=1
	s_or_b32 exec_lo, exec_lo, s27
.LBB358_593:                            ;   in Loop: Header=BB358_13 Depth=1
	s_or_b32 exec_lo, exec_lo, s26
.LBB358_594:                            ;   in Loop: Header=BB358_13 Depth=1
	s_or_b32 exec_lo, exec_lo, s8
	buffer_load_dword v0, off, s[0:3], s32 offset:200 ; 4-byte Folded Reload
	v_add_co_u32 v4, s7, 0x900, v80
	v_add_co_ci_u32_e64 v20, null, 0, v81, s7
	s_waitcnt vmcnt(0)
	v_add_co_u32 v24, s7, v4, v0
	v_add_co_ci_u32_e64 v25, null, 0, v20, s7
	v_mov_b32_e32 v0, 0
	flat_load_dword v26, v[24:25]
	buffer_store_dword v0, off, s[0:3], s32 offset:372 ; 4-byte Folded Spill
	v_mov_b32_e32 v0, 0
	buffer_store_dword v0, off, s[0:3], s32 offset:368 ; 4-byte Folded Spill
	s_waitcnt vmcnt(0) lgkmcnt(0)
	v_cmp_ne_u16_sdwa s7, v26, v29 src0_sel:BYTE_0 src1_sel:DWORD
	s_and_saveexec_b32 s8, s7
	s_cbranch_execz .LBB358_602
; %bb.595:                              ;   in Loop: Header=BB358_13 Depth=1
	v_cmp_ne_u16_sdwa s7, v26, v42 src0_sel:BYTE_0 src1_sel:DWORD
	v_bfrev_b32_e32 v0, 1
	buffer_store_dword v0, off, s[0:3], s32 offset:368 ; 4-byte Folded Spill
	s_and_saveexec_b32 s26, s7
	s_cbranch_execz .LBB358_601
; %bb.596:                              ;   in Loop: Header=BB358_13 Depth=1
	v_and_b32_e32 v27, 0x7f, v26
	v_mov_b32_e32 v0, 0x7f800001
	s_mov_b32 s27, exec_lo
	buffer_store_dword v0, off, s[0:3], s32 offset:368 ; 4-byte Folded Spill
	v_cmpx_ne_u32_e32 0x7f, v27
	s_cbranch_execz .LBB358_600
; %bb.597:                              ;   in Loop: Header=BB358_13 Depth=1
	v_and_b32_e32 v28, 7, v26
	v_mov_b32_e32 v83, v29
	v_lshrrev_b32_e32 v24, 3, v27
	s_mov_b32 s28, exec_lo
	v_mov_b32_e32 v82, v28
	v_cmpx_gt_u32_e32 8, v27
; %bb.598:                              ;   in Loop: Header=BB358_13 Depth=1
	v_ffbh_u32_e32 v24, v28
	v_min_u32_e32 v24, 32, v24
	v_subrev_nc_u32_e32 v27, 28, v24
	v_sub_nc_u32_e32 v24, 29, v24
	v_lshlrev_b64 v[27:28], v27, v[28:29]
	v_and_b32_e32 v82, 7, v27
; %bb.599:                              ;   in Loop: Header=BB358_13 Depth=1
	s_or_b32 exec_lo, exec_lo, s28
	v_lshlrev_b32_e32 v27, 24, v26
	v_lshlrev_b32_e32 v28, 20, v82
	v_lshl_add_u32 v24, v24, 23, 0x3c000000
	v_and_b32_e32 v27, 0x80000000, v27
	v_or3_b32 v0, v28, v27, v24
	buffer_store_dword v0, off, s[0:3], s32 offset:368 ; 4-byte Folded Spill
.LBB358_600:                            ;   in Loop: Header=BB358_13 Depth=1
	s_or_b32 exec_lo, exec_lo, s27
.LBB358_601:                            ;   in Loop: Header=BB358_13 Depth=1
	s_or_b32 exec_lo, exec_lo, s26
.LBB358_602:                            ;   in Loop: Header=BB358_13 Depth=1
	s_or_b32 exec_lo, exec_lo, s8
	v_cmp_ne_u16_sdwa s7, v26, v29 src0_sel:BYTE_1 src1_sel:DWORD
	s_and_saveexec_b32 s8, s7
	s_cbranch_execz .LBB358_610
; %bb.603:                              ;   in Loop: Header=BB358_13 Depth=1
	v_cmp_ne_u16_sdwa s7, v26, v42 src0_sel:BYTE_1 src1_sel:DWORD
	v_bfrev_b32_e32 v0, 1
	buffer_store_dword v0, off, s[0:3], s32 offset:372 ; 4-byte Folded Spill
	s_and_saveexec_b32 s26, s7
	s_cbranch_execz .LBB358_609
; %bb.604:                              ;   in Loop: Header=BB358_13 Depth=1
	v_mov_b32_e32 v0, 0xffff
	s_mov_b32 s27, exec_lo
	v_and_b32_sdwa v24, v0, v26 dst_sel:DWORD dst_unused:UNUSED_PAD src0_sel:DWORD src1_sel:BYTE_1
	v_mov_b32_e32 v0, 0x7f800001
	v_and_b32_e32 v27, 0x7f, v24
	buffer_store_dword v0, off, s[0:3], s32 offset:372 ; 4-byte Folded Spill
	v_cmpx_ne_u32_e32 0x7f, v27
	s_cbranch_execz .LBB358_608
; %bb.605:                              ;   in Loop: Header=BB358_13 Depth=1
	v_and_b32_e32 v28, 7, v24
	v_mov_b32_e32 v83, v29
	v_lshrrev_b32_e32 v24, 3, v27
	s_mov_b32 s28, exec_lo
	v_mov_b32_e32 v82, v28
	v_cmpx_gt_u32_e32 8, v27
; %bb.606:                              ;   in Loop: Header=BB358_13 Depth=1
	v_ffbh_u32_e32 v24, v28
	v_min_u32_e32 v24, 32, v24
	v_subrev_nc_u32_e32 v25, 28, v24
	v_sub_nc_u32_e32 v24, 29, v24
	v_lshlrev_b64 v[27:28], v25, v[28:29]
	v_and_b32_e32 v82, 7, v27
; %bb.607:                              ;   in Loop: Header=BB358_13 Depth=1
	s_or_b32 exec_lo, exec_lo, s28
	v_lshlrev_b32_e32 v25, 16, v26
	v_lshlrev_b32_e32 v27, 20, v82
	v_lshl_add_u32 v24, v24, 23, 0x3c000000
	v_and_b32_e32 v25, 0x80000000, v25
	v_or3_b32 v0, v27, v25, v24
	buffer_store_dword v0, off, s[0:3], s32 offset:372 ; 4-byte Folded Spill
.LBB358_608:                            ;   in Loop: Header=BB358_13 Depth=1
	s_or_b32 exec_lo, exec_lo, s27
.LBB358_609:                            ;   in Loop: Header=BB358_13 Depth=1
	s_or_b32 exec_lo, exec_lo, s26
.LBB358_610:                            ;   in Loop: Header=BB358_13 Depth=1
	s_or_b32 exec_lo, exec_lo, s8
	v_mov_b32_e32 v0, 0
	v_and_b32_sdwa v27, v26, v56 dst_sel:DWORD dst_unused:UNUSED_PAD src0_sel:WORD_1 src1_sel:DWORD
	s_mov_b32 s8, exec_lo
	buffer_store_dword v0, off, s[0:3], s32 offset:376 ; 4-byte Folded Spill
	v_mov_b32_e32 v0, 0
	buffer_store_dword v0, off, s[0:3], s32 offset:460 ; 4-byte Folded Spill
	v_cmpx_ne_u16_e32 0, v27
	s_cbranch_execz .LBB358_618
; %bb.611:                              ;   in Loop: Header=BB358_13 Depth=1
	v_bfrev_b32_e32 v0, 1
	s_mov_b32 s26, exec_lo
	v_cmpx_ne_u16_e32 0x80, v27
	s_cbranch_execz .LBB358_617
; %bb.612:                              ;   in Loop: Header=BB358_13 Depth=1
	v_bfe_u32 v39, v26, 16, 7
	v_mov_b32_e32 v0, 0x7f800001
	s_mov_b32 s27, exec_lo
	v_cmpx_ne_u32_e32 0x7f, v39
	s_cbranch_execz .LBB358_616
; %bb.613:                              ;   in Loop: Header=BB358_13 Depth=1
	v_mov_b32_e32 v0, 7
	v_lshrrev_b32_e32 v27, 3, v39
	s_mov_b32 s28, exec_lo
	v_and_b32_sdwa v28, v26, v0 dst_sel:DWORD dst_unused:UNUSED_PAD src0_sel:WORD_1 src1_sel:DWORD
	v_mov_b32_e32 v83, v29
	v_mov_b32_e32 v82, v28
	v_cmpx_gt_u32_e32 8, v39
; %bb.614:                              ;   in Loop: Header=BB358_13 Depth=1
	v_ffbh_u32_e32 v27, v28
	v_min_u32_e32 v27, 32, v27
	v_subrev_nc_u32_e32 v39, 28, v27
	v_sub_nc_u32_e32 v27, 29, v27
	v_lshlrev_b64 v[82:83], v39, v[28:29]
	v_and_b32_e32 v82, 7, v82
; %bb.615:                              ;   in Loop: Header=BB358_13 Depth=1
	s_or_b32 exec_lo, exec_lo, s28
	v_mov_b32_e32 v0, 24
	v_lshlrev_b32_e32 v39, 20, v82
	v_lshl_add_u32 v27, v27, 23, 0x3c000000
	v_lshlrev_b32_sdwa v28, v0, v26 dst_sel:DWORD dst_unused:UNUSED_PAD src0_sel:DWORD src1_sel:WORD_1
	v_and_b32_e32 v28, 0x80000000, v28
	v_or3_b32 v0, v39, v28, v27
.LBB358_616:                            ;   in Loop: Header=BB358_13 Depth=1
	s_or_b32 exec_lo, exec_lo, s27
.LBB358_617:                            ;   in Loop: Header=BB358_13 Depth=1
	s_or_b32 exec_lo, exec_lo, s26
	buffer_store_dword v0, off, s[0:3], s32 offset:460 ; 4-byte Folded Spill
.LBB358_618:                            ;   in Loop: Header=BB358_13 Depth=1
	s_or_b32 exec_lo, exec_lo, s8
	s_mov_b32 s8, exec_lo
	v_cmpx_lt_u32_e32 0xffffff, v26
	s_cbranch_execz .LBB358_626
; %bb.619:                              ;   in Loop: Header=BB358_13 Depth=1
	v_cmp_ne_u32_sdwa s7, v26, v42 src0_sel:BYTE_3 src1_sel:DWORD
	v_bfrev_b32_e32 v0, 1
	buffer_store_dword v0, off, s[0:3], s32 offset:376 ; 4-byte Folded Spill
	s_and_saveexec_b32 s26, s7
	s_cbranch_execz .LBB358_625
; %bb.620:                              ;   in Loop: Header=BB358_13 Depth=1
	v_bfe_u32 v27, v26, 24, 7
	v_mov_b32_e32 v0, 0x7f800001
	s_mov_b32 s27, exec_lo
	buffer_store_dword v0, off, s[0:3], s32 offset:376 ; 4-byte Folded Spill
	v_cmpx_ne_u32_e32 0x7f, v27
	s_cbranch_execz .LBB358_624
; %bb.621:                              ;   in Loop: Header=BB358_13 Depth=1
	v_mov_b32_e32 v0, 7
	v_lshrrev_b32_e32 v24, 3, v27
	s_mov_b32 s28, exec_lo
	v_and_b32_sdwa v28, v26, v0 dst_sel:DWORD dst_unused:UNUSED_PAD src0_sel:BYTE_3 src1_sel:DWORD
	v_mov_b32_e32 v83, v29
	v_mov_b32_e32 v82, v28
	v_cmpx_gt_u32_e32 8, v27
; %bb.622:                              ;   in Loop: Header=BB358_13 Depth=1
	v_ffbh_u32_e32 v24, v28
	v_min_u32_e32 v24, 32, v24
	v_subrev_nc_u32_e32 v27, 28, v24
	v_sub_nc_u32_e32 v24, 29, v24
	v_lshlrev_b64 v[27:28], v27, v[28:29]
	v_and_b32_e32 v82, 7, v27
; %bb.623:                              ;   in Loop: Header=BB358_13 Depth=1
	s_or_b32 exec_lo, exec_lo, s28
	v_mov_b32_e32 v0, 24
	v_lshlrev_b32_e32 v27, 20, v82
	v_lshl_add_u32 v24, v24, 23, 0x3c000000
	v_lshlrev_b32_sdwa v26, v0, v26 dst_sel:DWORD dst_unused:UNUSED_PAD src0_sel:DWORD src1_sel:BYTE_3
	v_and_b32_e32 v26, 0x80000000, v26
	v_or3_b32 v0, v27, v26, v24
	buffer_store_dword v0, off, s[0:3], s32 offset:376 ; 4-byte Folded Spill
.LBB358_624:                            ;   in Loop: Header=BB358_13 Depth=1
	s_or_b32 exec_lo, exec_lo, s27
.LBB358_625:                            ;   in Loop: Header=BB358_13 Depth=1
	s_or_b32 exec_lo, exec_lo, s26
.LBB358_626:                            ;   in Loop: Header=BB358_13 Depth=1
	s_or_b32 exec_lo, exec_lo, s8
	buffer_load_dword v0, off, s[0:3], s32 offset:204 ; 4-byte Folded Reload
	s_waitcnt vmcnt(0)
	v_add_co_u32 v26, s7, v4, v0
	v_add_co_ci_u32_e64 v27, null, 0, v20, s7
	v_mov_b32_e32 v0, 0
	flat_load_dword v4, v[26:27]
	buffer_store_dword v0, off, s[0:3], s32 offset:384 ; 4-byte Folded Spill
	v_mov_b32_e32 v0, 0
	buffer_store_dword v0, off, s[0:3], s32 offset:380 ; 4-byte Folded Spill
	s_waitcnt vmcnt(0) lgkmcnt(0)
	v_cmp_ne_u16_sdwa s7, v4, v29 src0_sel:BYTE_0 src1_sel:DWORD
	s_and_saveexec_b32 s8, s7
	s_cbranch_execz .LBB358_634
; %bb.627:                              ;   in Loop: Header=BB358_13 Depth=1
	v_cmp_ne_u16_sdwa s7, v4, v42 src0_sel:BYTE_0 src1_sel:DWORD
	v_bfrev_b32_e32 v0, 1
	buffer_store_dword v0, off, s[0:3], s32 offset:380 ; 4-byte Folded Spill
	s_and_saveexec_b32 s26, s7
	s_cbranch_execz .LBB358_633
; %bb.628:                              ;   in Loop: Header=BB358_13 Depth=1
	v_and_b32_e32 v26, 0x7f, v4
	v_mov_b32_e32 v0, 0x7f800001
	s_mov_b32 s27, exec_lo
	buffer_store_dword v0, off, s[0:3], s32 offset:380 ; 4-byte Folded Spill
	v_cmpx_ne_u32_e32 0x7f, v26
	s_cbranch_execz .LBB358_632
; %bb.629:                              ;   in Loop: Header=BB358_13 Depth=1
	v_and_b32_e32 v28, 7, v4
	v_mov_b32_e32 v83, v29
	v_lshrrev_b32_e32 v20, 3, v26
	s_mov_b32 s28, exec_lo
	v_mov_b32_e32 v82, v28
	v_cmpx_gt_u32_e32 8, v26
; %bb.630:                              ;   in Loop: Header=BB358_13 Depth=1
	v_ffbh_u32_e32 v20, v28
	v_min_u32_e32 v20, 32, v20
	v_subrev_nc_u32_e32 v26, 28, v20
	v_sub_nc_u32_e32 v20, 29, v20
	v_lshlrev_b64 v[26:27], v26, v[28:29]
	v_and_b32_e32 v82, 7, v26
; %bb.631:                              ;   in Loop: Header=BB358_13 Depth=1
	s_or_b32 exec_lo, exec_lo, s28
	v_lshlrev_b32_e32 v26, 24, v4
	v_lshlrev_b32_e32 v27, 20, v82
	v_lshl_add_u32 v20, v20, 23, 0x3c000000
	v_and_b32_e32 v26, 0x80000000, v26
	v_or3_b32 v0, v27, v26, v20
	buffer_store_dword v0, off, s[0:3], s32 offset:380 ; 4-byte Folded Spill
.LBB358_632:                            ;   in Loop: Header=BB358_13 Depth=1
	s_or_b32 exec_lo, exec_lo, s27
.LBB358_633:                            ;   in Loop: Header=BB358_13 Depth=1
	s_or_b32 exec_lo, exec_lo, s26
.LBB358_634:                            ;   in Loop: Header=BB358_13 Depth=1
	s_or_b32 exec_lo, exec_lo, s8
	v_cmp_ne_u16_sdwa s7, v4, v29 src0_sel:BYTE_1 src1_sel:DWORD
	s_and_saveexec_b32 s8, s7
	s_cbranch_execz .LBB358_642
; %bb.635:                              ;   in Loop: Header=BB358_13 Depth=1
	v_cmp_ne_u16_sdwa s7, v4, v42 src0_sel:BYTE_1 src1_sel:DWORD
	v_bfrev_b32_e32 v0, 1
	buffer_store_dword v0, off, s[0:3], s32 offset:384 ; 4-byte Folded Spill
	s_and_saveexec_b32 s26, s7
	s_cbranch_execz .LBB358_641
; %bb.636:                              ;   in Loop: Header=BB358_13 Depth=1
	v_mov_b32_e32 v0, 0xffff
	s_mov_b32 s27, exec_lo
	v_and_b32_sdwa v20, v0, v4 dst_sel:DWORD dst_unused:UNUSED_PAD src0_sel:DWORD src1_sel:BYTE_1
	v_mov_b32_e32 v0, 0x7f800001
	v_and_b32_e32 v26, 0x7f, v20
	buffer_store_dword v0, off, s[0:3], s32 offset:384 ; 4-byte Folded Spill
	v_cmpx_ne_u32_e32 0x7f, v26
	s_cbranch_execz .LBB358_640
; %bb.637:                              ;   in Loop: Header=BB358_13 Depth=1
	v_and_b32_e32 v28, 7, v20
	v_mov_b32_e32 v83, v29
	v_lshrrev_b32_e32 v20, 3, v26
	s_mov_b32 s28, exec_lo
	v_mov_b32_e32 v82, v28
	v_cmpx_gt_u32_e32 8, v26
; %bb.638:                              ;   in Loop: Header=BB358_13 Depth=1
	v_ffbh_u32_e32 v20, v28
	v_min_u32_e32 v20, 32, v20
	v_subrev_nc_u32_e32 v26, 28, v20
	v_sub_nc_u32_e32 v20, 29, v20
	v_lshlrev_b64 v[26:27], v26, v[28:29]
	v_and_b32_e32 v82, 7, v26
; %bb.639:                              ;   in Loop: Header=BB358_13 Depth=1
	s_or_b32 exec_lo, exec_lo, s28
	v_lshlrev_b32_e32 v26, 16, v4
	v_lshlrev_b32_e32 v27, 20, v82
	v_lshl_add_u32 v20, v20, 23, 0x3c000000
	v_and_b32_e32 v26, 0x80000000, v26
	v_or3_b32 v0, v27, v26, v20
	buffer_store_dword v0, off, s[0:3], s32 offset:384 ; 4-byte Folded Spill
.LBB358_640:                            ;   in Loop: Header=BB358_13 Depth=1
	s_or_b32 exec_lo, exec_lo, s27
.LBB358_641:                            ;   in Loop: Header=BB358_13 Depth=1
	s_or_b32 exec_lo, exec_lo, s26
.LBB358_642:                            ;   in Loop: Header=BB358_13 Depth=1
	s_or_b32 exec_lo, exec_lo, s8
	v_mov_b32_e32 v0, 0
	v_and_b32_sdwa v20, v4, v56 dst_sel:DWORD dst_unused:UNUSED_PAD src0_sel:WORD_1 src1_sel:DWORD
	s_mov_b32 s8, exec_lo
	buffer_store_dword v0, off, s[0:3], s32 offset:388 ; 4-byte Folded Spill
	v_mov_b32_e32 v0, 0
	buffer_store_dword v0, off, s[0:3], s32 offset:464 ; 4-byte Folded Spill
	v_cmpx_ne_u16_e32 0, v20
	s_cbranch_execz .LBB358_650
; %bb.643:                              ;   in Loop: Header=BB358_13 Depth=1
	v_bfrev_b32_e32 v0, 1
	s_mov_b32 s26, exec_lo
	v_cmpx_ne_u16_e32 0x80, v20
	s_cbranch_execz .LBB358_649
; %bb.644:                              ;   in Loop: Header=BB358_13 Depth=1
	v_bfe_u32 v26, v4, 16, 7
	v_mov_b32_e32 v0, 0x7f800001
	s_mov_b32 s27, exec_lo
	v_cmpx_ne_u32_e32 0x7f, v26
	s_cbranch_execz .LBB358_648
; %bb.645:                              ;   in Loop: Header=BB358_13 Depth=1
	v_mov_b32_e32 v0, 7
	v_lshrrev_b32_e32 v20, 3, v26
	s_mov_b32 s28, exec_lo
	v_and_b32_sdwa v28, v4, v0 dst_sel:DWORD dst_unused:UNUSED_PAD src0_sel:WORD_1 src1_sel:DWORD
	v_mov_b32_e32 v83, v29
	v_mov_b32_e32 v82, v28
	v_cmpx_gt_u32_e32 8, v26
; %bb.646:                              ;   in Loop: Header=BB358_13 Depth=1
	v_ffbh_u32_e32 v20, v28
	v_min_u32_e32 v20, 32, v20
	v_subrev_nc_u32_e32 v26, 28, v20
	v_sub_nc_u32_e32 v20, 29, v20
	v_lshlrev_b64 v[26:27], v26, v[28:29]
	v_and_b32_e32 v82, 7, v26
; %bb.647:                              ;   in Loop: Header=BB358_13 Depth=1
	s_or_b32 exec_lo, exec_lo, s28
	v_mov_b32_e32 v0, 24
	v_lshlrev_b32_e32 v27, 20, v82
	v_lshl_add_u32 v20, v20, 23, 0x3c000000
	v_lshlrev_b32_sdwa v26, v0, v4 dst_sel:DWORD dst_unused:UNUSED_PAD src0_sel:DWORD src1_sel:WORD_1
	v_and_b32_e32 v26, 0x80000000, v26
	v_or3_b32 v0, v27, v26, v20
.LBB358_648:                            ;   in Loop: Header=BB358_13 Depth=1
	s_or_b32 exec_lo, exec_lo, s27
.LBB358_649:                            ;   in Loop: Header=BB358_13 Depth=1
	s_or_b32 exec_lo, exec_lo, s26
	buffer_store_dword v0, off, s[0:3], s32 offset:464 ; 4-byte Folded Spill
.LBB358_650:                            ;   in Loop: Header=BB358_13 Depth=1
	s_or_b32 exec_lo, exec_lo, s8
	s_mov_b32 s8, exec_lo
	v_cmpx_lt_u32_e32 0xffffff, v4
	s_cbranch_execz .LBB358_658
; %bb.651:                              ;   in Loop: Header=BB358_13 Depth=1
	v_cmp_ne_u32_sdwa s7, v4, v42 src0_sel:BYTE_3 src1_sel:DWORD
	v_bfrev_b32_e32 v0, 1
	buffer_store_dword v0, off, s[0:3], s32 offset:388 ; 4-byte Folded Spill
	s_and_saveexec_b32 s26, s7
	s_cbranch_execz .LBB358_657
; %bb.652:                              ;   in Loop: Header=BB358_13 Depth=1
	v_bfe_u32 v26, v4, 24, 7
	v_mov_b32_e32 v0, 0x7f800001
	s_mov_b32 s27, exec_lo
	buffer_store_dword v0, off, s[0:3], s32 offset:388 ; 4-byte Folded Spill
	v_cmpx_ne_u32_e32 0x7f, v26
	s_cbranch_execz .LBB358_656
; %bb.653:                              ;   in Loop: Header=BB358_13 Depth=1
	v_mov_b32_e32 v0, 7
	v_lshrrev_b32_e32 v20, 3, v26
	s_mov_b32 s28, exec_lo
	v_and_b32_sdwa v28, v4, v0 dst_sel:DWORD dst_unused:UNUSED_PAD src0_sel:BYTE_3 src1_sel:DWORD
	v_mov_b32_e32 v83, v29
	v_mov_b32_e32 v82, v28
	v_cmpx_gt_u32_e32 8, v26
; %bb.654:                              ;   in Loop: Header=BB358_13 Depth=1
	v_ffbh_u32_e32 v20, v28
	v_min_u32_e32 v20, 32, v20
	v_subrev_nc_u32_e32 v26, 28, v20
	v_sub_nc_u32_e32 v20, 29, v20
	v_lshlrev_b64 v[26:27], v26, v[28:29]
	v_and_b32_e32 v82, 7, v26
; %bb.655:                              ;   in Loop: Header=BB358_13 Depth=1
	s_or_b32 exec_lo, exec_lo, s28
	v_mov_b32_e32 v0, 24
	v_lshlrev_b32_e32 v26, 20, v82
	v_lshl_add_u32 v20, v20, 23, 0x3c000000
	v_lshlrev_b32_sdwa v4, v0, v4 dst_sel:DWORD dst_unused:UNUSED_PAD src0_sel:DWORD src1_sel:BYTE_3
	v_and_b32_e32 v4, 0x80000000, v4
	v_or3_b32 v0, v26, v4, v20
	buffer_store_dword v0, off, s[0:3], s32 offset:388 ; 4-byte Folded Spill
.LBB358_656:                            ;   in Loop: Header=BB358_13 Depth=1
	s_or_b32 exec_lo, exec_lo, s27
.LBB358_657:                            ;   in Loop: Header=BB358_13 Depth=1
	s_or_b32 exec_lo, exec_lo, s26
.LBB358_658:                            ;   in Loop: Header=BB358_13 Depth=1
	s_or_b32 exec_lo, exec_lo, s8
	buffer_load_dword v0, off, s[0:3], s32 offset:200 ; 4-byte Folded Reload
	v_add_co_u32 v4, s7, 0xa00, v80
	v_add_co_ci_u32_e64 v20, null, 0, v81, s7
	s_waitcnt vmcnt(0)
	v_add_co_u32 v26, s7, v4, v0
	v_add_co_ci_u32_e64 v27, null, 0, v20, s7
	v_mov_b32_e32 v0, 0
	flat_load_dword v26, v[26:27]
	buffer_store_dword v0, off, s[0:3], s32 offset:396 ; 4-byte Folded Spill
	v_mov_b32_e32 v0, 0
	buffer_store_dword v0, off, s[0:3], s32 offset:392 ; 4-byte Folded Spill
	s_waitcnt vmcnt(0) lgkmcnt(0)
	v_cmp_ne_u16_sdwa s7, v26, v29 src0_sel:BYTE_0 src1_sel:DWORD
	s_and_saveexec_b32 s8, s7
	s_cbranch_execz .LBB358_666
; %bb.659:                              ;   in Loop: Header=BB358_13 Depth=1
	v_cmp_ne_u16_sdwa s7, v26, v42 src0_sel:BYTE_0 src1_sel:DWORD
	v_bfrev_b32_e32 v0, 1
	buffer_store_dword v0, off, s[0:3], s32 offset:392 ; 4-byte Folded Spill
	s_and_saveexec_b32 s26, s7
	s_cbranch_execz .LBB358_665
; %bb.660:                              ;   in Loop: Header=BB358_13 Depth=1
	v_and_b32_e32 v39, 0x7f, v26
	v_mov_b32_e32 v0, 0x7f800001
	s_mov_b32 s27, exec_lo
	buffer_store_dword v0, off, s[0:3], s32 offset:392 ; 4-byte Folded Spill
	v_cmpx_ne_u32_e32 0x7f, v39
	s_cbranch_execz .LBB358_664
; %bb.661:                              ;   in Loop: Header=BB358_13 Depth=1
	v_and_b32_e32 v28, 7, v26
	v_mov_b32_e32 v83, v29
	v_lshrrev_b32_e32 v27, 3, v39
	s_mov_b32 s28, exec_lo
	v_mov_b32_e32 v82, v28
	v_cmpx_gt_u32_e32 8, v39
; %bb.662:                              ;   in Loop: Header=BB358_13 Depth=1
	v_ffbh_u32_e32 v27, v28
	v_min_u32_e32 v27, 32, v27
	v_subrev_nc_u32_e32 v39, 28, v27
	v_sub_nc_u32_e32 v27, 29, v27
	v_lshlrev_b64 v[82:83], v39, v[28:29]
	v_and_b32_e32 v82, 7, v82
; %bb.663:                              ;   in Loop: Header=BB358_13 Depth=1
	s_or_b32 exec_lo, exec_lo, s28
	v_lshlrev_b32_e32 v28, 24, v26
	v_lshlrev_b32_e32 v39, 20, v82
	v_lshl_add_u32 v27, v27, 23, 0x3c000000
	v_and_b32_e32 v28, 0x80000000, v28
	v_or3_b32 v0, v39, v28, v27
	buffer_store_dword v0, off, s[0:3], s32 offset:392 ; 4-byte Folded Spill
.LBB358_664:                            ;   in Loop: Header=BB358_13 Depth=1
	s_or_b32 exec_lo, exec_lo, s27
.LBB358_665:                            ;   in Loop: Header=BB358_13 Depth=1
	s_or_b32 exec_lo, exec_lo, s26
.LBB358_666:                            ;   in Loop: Header=BB358_13 Depth=1
	s_or_b32 exec_lo, exec_lo, s8
	v_cmp_ne_u16_sdwa s7, v26, v29 src0_sel:BYTE_1 src1_sel:DWORD
	s_and_saveexec_b32 s8, s7
	s_cbranch_execz .LBB358_674
; %bb.667:                              ;   in Loop: Header=BB358_13 Depth=1
	v_cmp_ne_u16_sdwa s7, v26, v42 src0_sel:BYTE_1 src1_sel:DWORD
	v_bfrev_b32_e32 v0, 1
	buffer_store_dword v0, off, s[0:3], s32 offset:396 ; 4-byte Folded Spill
	s_and_saveexec_b32 s26, s7
	s_cbranch_execz .LBB358_673
; %bb.668:                              ;   in Loop: Header=BB358_13 Depth=1
	v_mov_b32_e32 v0, 0xffff
	s_mov_b32 s27, exec_lo
	v_and_b32_sdwa v27, v0, v26 dst_sel:DWORD dst_unused:UNUSED_PAD src0_sel:DWORD src1_sel:BYTE_1
	v_mov_b32_e32 v0, 0x7f800001
	v_and_b32_e32 v39, 0x7f, v27
	buffer_store_dword v0, off, s[0:3], s32 offset:396 ; 4-byte Folded Spill
	v_cmpx_ne_u32_e32 0x7f, v39
	s_cbranch_execz .LBB358_672
; %bb.669:                              ;   in Loop: Header=BB358_13 Depth=1
	v_and_b32_e32 v28, 7, v27
	v_mov_b32_e32 v83, v29
	v_lshrrev_b32_e32 v27, 3, v39
	s_mov_b32 s28, exec_lo
	v_mov_b32_e32 v82, v28
	v_cmpx_gt_u32_e32 8, v39
; %bb.670:                              ;   in Loop: Header=BB358_13 Depth=1
	v_ffbh_u32_e32 v27, v28
	v_min_u32_e32 v27, 32, v27
	v_subrev_nc_u32_e32 v39, 28, v27
	v_sub_nc_u32_e32 v27, 29, v27
	v_lshlrev_b64 v[82:83], v39, v[28:29]
	v_and_b32_e32 v82, 7, v82
; %bb.671:                              ;   in Loop: Header=BB358_13 Depth=1
	s_or_b32 exec_lo, exec_lo, s28
	v_lshlrev_b32_e32 v28, 16, v26
	v_lshlrev_b32_e32 v39, 20, v82
	v_lshl_add_u32 v27, v27, 23, 0x3c000000
	v_and_b32_e32 v28, 0x80000000, v28
	v_or3_b32 v0, v39, v28, v27
	buffer_store_dword v0, off, s[0:3], s32 offset:396 ; 4-byte Folded Spill
.LBB358_672:                            ;   in Loop: Header=BB358_13 Depth=1
	s_or_b32 exec_lo, exec_lo, s27
.LBB358_673:                            ;   in Loop: Header=BB358_13 Depth=1
	s_or_b32 exec_lo, exec_lo, s26
.LBB358_674:                            ;   in Loop: Header=BB358_13 Depth=1
	s_or_b32 exec_lo, exec_lo, s8
	v_mov_b32_e32 v0, 0
	v_and_b32_sdwa v27, v26, v56 dst_sel:DWORD dst_unused:UNUSED_PAD src0_sel:WORD_1 src1_sel:DWORD
	s_mov_b32 s8, exec_lo
	buffer_store_dword v0, off, s[0:3], s32 offset:400 ; 4-byte Folded Spill
	v_mov_b32_e32 v0, 0
	buffer_store_dword v0, off, s[0:3], s32 offset:468 ; 4-byte Folded Spill
	v_cmpx_ne_u16_e32 0, v27
	s_cbranch_execz .LBB358_682
; %bb.675:                              ;   in Loop: Header=BB358_13 Depth=1
	v_bfrev_b32_e32 v0, 1
	s_mov_b32 s26, exec_lo
	v_cmpx_ne_u16_e32 0x80, v27
	s_cbranch_execz .LBB358_681
; %bb.676:                              ;   in Loop: Header=BB358_13 Depth=1
	v_bfe_u32 v39, v26, 16, 7
	v_mov_b32_e32 v0, 0x7f800001
	s_mov_b32 s27, exec_lo
	v_cmpx_ne_u32_e32 0x7f, v39
	s_cbranch_execz .LBB358_680
; %bb.677:                              ;   in Loop: Header=BB358_13 Depth=1
	v_mov_b32_e32 v0, 7
	v_lshrrev_b32_e32 v27, 3, v39
	s_mov_b32 s28, exec_lo
	v_and_b32_sdwa v28, v26, v0 dst_sel:DWORD dst_unused:UNUSED_PAD src0_sel:WORD_1 src1_sel:DWORD
	v_mov_b32_e32 v83, v29
	v_mov_b32_e32 v82, v28
	v_cmpx_gt_u32_e32 8, v39
; %bb.678:                              ;   in Loop: Header=BB358_13 Depth=1
	v_ffbh_u32_e32 v27, v28
	v_min_u32_e32 v27, 32, v27
	v_subrev_nc_u32_e32 v39, 28, v27
	v_sub_nc_u32_e32 v27, 29, v27
	v_lshlrev_b64 v[82:83], v39, v[28:29]
	v_and_b32_e32 v82, 7, v82
; %bb.679:                              ;   in Loop: Header=BB358_13 Depth=1
	s_or_b32 exec_lo, exec_lo, s28
	v_mov_b32_e32 v0, 24
	v_lshlrev_b32_e32 v39, 20, v82
	v_lshl_add_u32 v27, v27, 23, 0x3c000000
	v_lshlrev_b32_sdwa v28, v0, v26 dst_sel:DWORD dst_unused:UNUSED_PAD src0_sel:DWORD src1_sel:WORD_1
	v_and_b32_e32 v28, 0x80000000, v28
	v_or3_b32 v0, v39, v28, v27
.LBB358_680:                            ;   in Loop: Header=BB358_13 Depth=1
	s_or_b32 exec_lo, exec_lo, s27
.LBB358_681:                            ;   in Loop: Header=BB358_13 Depth=1
	s_or_b32 exec_lo, exec_lo, s26
	buffer_store_dword v0, off, s[0:3], s32 offset:468 ; 4-byte Folded Spill
.LBB358_682:                            ;   in Loop: Header=BB358_13 Depth=1
	s_or_b32 exec_lo, exec_lo, s8
	s_mov_b32 s8, exec_lo
	v_cmpx_lt_u32_e32 0xffffff, v26
	s_cbranch_execz .LBB358_690
; %bb.683:                              ;   in Loop: Header=BB358_13 Depth=1
	v_cmp_ne_u32_sdwa s7, v26, v42 src0_sel:BYTE_3 src1_sel:DWORD
	v_bfrev_b32_e32 v0, 1
	buffer_store_dword v0, off, s[0:3], s32 offset:400 ; 4-byte Folded Spill
	s_and_saveexec_b32 s26, s7
	s_cbranch_execz .LBB358_689
; %bb.684:                              ;   in Loop: Header=BB358_13 Depth=1
	v_bfe_u32 v39, v26, 24, 7
	v_mov_b32_e32 v0, 0x7f800001
	s_mov_b32 s27, exec_lo
	buffer_store_dword v0, off, s[0:3], s32 offset:400 ; 4-byte Folded Spill
	v_cmpx_ne_u32_e32 0x7f, v39
	s_cbranch_execz .LBB358_688
; %bb.685:                              ;   in Loop: Header=BB358_13 Depth=1
	v_mov_b32_e32 v0, 7
	v_lshrrev_b32_e32 v27, 3, v39
	s_mov_b32 s28, exec_lo
	v_and_b32_sdwa v28, v26, v0 dst_sel:DWORD dst_unused:UNUSED_PAD src0_sel:BYTE_3 src1_sel:DWORD
	v_mov_b32_e32 v83, v29
	v_mov_b32_e32 v82, v28
	v_cmpx_gt_u32_e32 8, v39
; %bb.686:                              ;   in Loop: Header=BB358_13 Depth=1
	v_ffbh_u32_e32 v27, v28
	v_min_u32_e32 v27, 32, v27
	v_subrev_nc_u32_e32 v39, 28, v27
	v_sub_nc_u32_e32 v27, 29, v27
	v_lshlrev_b64 v[82:83], v39, v[28:29]
	v_and_b32_e32 v82, 7, v82
; %bb.687:                              ;   in Loop: Header=BB358_13 Depth=1
	s_or_b32 exec_lo, exec_lo, s28
	v_mov_b32_e32 v0, 24
	v_lshlrev_b32_e32 v28, 20, v82
	v_lshl_add_u32 v27, v27, 23, 0x3c000000
	v_lshlrev_b32_sdwa v26, v0, v26 dst_sel:DWORD dst_unused:UNUSED_PAD src0_sel:DWORD src1_sel:BYTE_3
	v_and_b32_e32 v26, 0x80000000, v26
	v_or3_b32 v0, v28, v26, v27
	buffer_store_dword v0, off, s[0:3], s32 offset:400 ; 4-byte Folded Spill
.LBB358_688:                            ;   in Loop: Header=BB358_13 Depth=1
	s_or_b32 exec_lo, exec_lo, s27
.LBB358_689:                            ;   in Loop: Header=BB358_13 Depth=1
	s_or_b32 exec_lo, exec_lo, s26
.LBB358_690:                            ;   in Loop: Header=BB358_13 Depth=1
	s_or_b32 exec_lo, exec_lo, s8
	buffer_load_dword v0, off, s[0:3], s32 offset:204 ; 4-byte Folded Reload
	s_waitcnt vmcnt(0)
	v_add_co_u32 v26, s7, v4, v0
	v_add_co_ci_u32_e64 v27, null, 0, v20, s7
	v_mov_b32_e32 v0, 0
	flat_load_dword v20, v[26:27]
	buffer_store_dword v0, off, s[0:3], s32 offset:408 ; 4-byte Folded Spill
	v_mov_b32_e32 v0, 0
	buffer_store_dword v0, off, s[0:3], s32 offset:404 ; 4-byte Folded Spill
	s_waitcnt vmcnt(0) lgkmcnt(0)
	v_cmp_ne_u16_sdwa s7, v20, v29 src0_sel:BYTE_0 src1_sel:DWORD
	s_and_saveexec_b32 s8, s7
	s_cbranch_execz .LBB358_698
; %bb.691:                              ;   in Loop: Header=BB358_13 Depth=1
	v_cmp_ne_u16_sdwa s7, v20, v42 src0_sel:BYTE_0 src1_sel:DWORD
	v_bfrev_b32_e32 v0, 1
	buffer_store_dword v0, off, s[0:3], s32 offset:404 ; 4-byte Folded Spill
	s_and_saveexec_b32 s26, s7
	s_cbranch_execz .LBB358_697
; %bb.692:                              ;   in Loop: Header=BB358_13 Depth=1
	v_and_b32_e32 v26, 0x7f, v20
	v_mov_b32_e32 v0, 0x7f800001
	s_mov_b32 s27, exec_lo
	buffer_store_dword v0, off, s[0:3], s32 offset:404 ; 4-byte Folded Spill
	v_cmpx_ne_u32_e32 0x7f, v26
	s_cbranch_execz .LBB358_696
; %bb.693:                              ;   in Loop: Header=BB358_13 Depth=1
	v_and_b32_e32 v28, 7, v20
	v_mov_b32_e32 v83, v29
	v_lshrrev_b32_e32 v4, 3, v26
	s_mov_b32 s28, exec_lo
	v_mov_b32_e32 v82, v28
	v_cmpx_gt_u32_e32 8, v26
; %bb.694:                              ;   in Loop: Header=BB358_13 Depth=1
	v_ffbh_u32_e32 v4, v28
	v_min_u32_e32 v4, 32, v4
	v_subrev_nc_u32_e32 v26, 28, v4
	v_sub_nc_u32_e32 v4, 29, v4
	v_lshlrev_b64 v[26:27], v26, v[28:29]
	v_and_b32_e32 v82, 7, v26
; %bb.695:                              ;   in Loop: Header=BB358_13 Depth=1
	s_or_b32 exec_lo, exec_lo, s28
	v_lshlrev_b32_e32 v26, 24, v20
	v_lshlrev_b32_e32 v27, 20, v82
	v_lshl_add_u32 v4, v4, 23, 0x3c000000
	v_and_b32_e32 v26, 0x80000000, v26
	v_or3_b32 v0, v27, v26, v4
	buffer_store_dword v0, off, s[0:3], s32 offset:404 ; 4-byte Folded Spill
.LBB358_696:                            ;   in Loop: Header=BB358_13 Depth=1
	s_or_b32 exec_lo, exec_lo, s27
.LBB358_697:                            ;   in Loop: Header=BB358_13 Depth=1
	s_or_b32 exec_lo, exec_lo, s26
.LBB358_698:                            ;   in Loop: Header=BB358_13 Depth=1
	s_or_b32 exec_lo, exec_lo, s8
	v_cmp_ne_u16_sdwa s7, v20, v29 src0_sel:BYTE_1 src1_sel:DWORD
	s_and_saveexec_b32 s8, s7
	s_cbranch_execz .LBB358_706
; %bb.699:                              ;   in Loop: Header=BB358_13 Depth=1
	v_cmp_ne_u16_sdwa s7, v20, v42 src0_sel:BYTE_1 src1_sel:DWORD
	v_bfrev_b32_e32 v0, 1
	buffer_store_dword v0, off, s[0:3], s32 offset:408 ; 4-byte Folded Spill
	s_and_saveexec_b32 s26, s7
	s_cbranch_execz .LBB358_705
; %bb.700:                              ;   in Loop: Header=BB358_13 Depth=1
	v_mov_b32_e32 v0, 0xffff
	s_mov_b32 s27, exec_lo
	v_and_b32_sdwa v26, v0, v20 dst_sel:DWORD dst_unused:UNUSED_PAD src0_sel:DWORD src1_sel:BYTE_1
	v_mov_b32_e32 v0, 0x7f800001
	v_and_b32_e32 v27, 0x7f, v26
	buffer_store_dword v0, off, s[0:3], s32 offset:408 ; 4-byte Folded Spill
	v_cmpx_ne_u32_e32 0x7f, v27
	s_cbranch_execz .LBB358_704
; %bb.701:                              ;   in Loop: Header=BB358_13 Depth=1
	v_and_b32_e32 v28, 7, v26
	v_mov_b32_e32 v83, v29
	v_lshrrev_b32_e32 v26, 3, v27
	s_mov_b32 s28, exec_lo
	v_mov_b32_e32 v82, v28
	v_cmpx_gt_u32_e32 8, v27
; %bb.702:                              ;   in Loop: Header=BB358_13 Depth=1
	v_ffbh_u32_e32 v26, v28
	v_min_u32_e32 v26, 32, v26
	v_subrev_nc_u32_e32 v27, 28, v26
	v_sub_nc_u32_e32 v26, 29, v26
	v_lshlrev_b64 v[27:28], v27, v[28:29]
	v_and_b32_e32 v82, 7, v27
; %bb.703:                              ;   in Loop: Header=BB358_13 Depth=1
	s_or_b32 exec_lo, exec_lo, s28
	v_lshlrev_b32_e32 v27, 16, v20
	v_lshlrev_b32_e32 v28, 20, v82
	v_lshl_add_u32 v26, v26, 23, 0x3c000000
	v_and_b32_e32 v27, 0x80000000, v27
	v_or3_b32 v0, v28, v27, v26
	buffer_store_dword v0, off, s[0:3], s32 offset:408 ; 4-byte Folded Spill
.LBB358_704:                            ;   in Loop: Header=BB358_13 Depth=1
	s_or_b32 exec_lo, exec_lo, s27
.LBB358_705:                            ;   in Loop: Header=BB358_13 Depth=1
	s_or_b32 exec_lo, exec_lo, s26
.LBB358_706:                            ;   in Loop: Header=BB358_13 Depth=1
	s_or_b32 exec_lo, exec_lo, s8
	v_mov_b32_e32 v0, 0
	v_and_b32_sdwa v26, v20, v56 dst_sel:DWORD dst_unused:UNUSED_PAD src0_sel:WORD_1 src1_sel:DWORD
	s_mov_b32 s8, exec_lo
	buffer_store_dword v0, off, s[0:3], s32 offset:412 ; 4-byte Folded Spill
	v_mov_b32_e32 v0, 0
	buffer_store_dword v0, off, s[0:3], s32 offset:472 ; 4-byte Folded Spill
	v_cmpx_ne_u16_e32 0, v26
	s_cbranch_execz .LBB358_714
; %bb.707:                              ;   in Loop: Header=BB358_13 Depth=1
	v_bfrev_b32_e32 v0, 1
	s_mov_b32 s26, exec_lo
	v_cmpx_ne_u16_e32 0x80, v26
	s_cbranch_execz .LBB358_713
; %bb.708:                              ;   in Loop: Header=BB358_13 Depth=1
	v_bfe_u32 v27, v20, 16, 7
	v_mov_b32_e32 v0, 0x7f800001
	s_mov_b32 s27, exec_lo
	v_cmpx_ne_u32_e32 0x7f, v27
	s_cbranch_execz .LBB358_712
; %bb.709:                              ;   in Loop: Header=BB358_13 Depth=1
	v_mov_b32_e32 v0, 7
	v_lshrrev_b32_e32 v26, 3, v27
	s_mov_b32 s28, exec_lo
	v_and_b32_sdwa v28, v20, v0 dst_sel:DWORD dst_unused:UNUSED_PAD src0_sel:WORD_1 src1_sel:DWORD
	v_mov_b32_e32 v83, v29
	v_mov_b32_e32 v82, v28
	v_cmpx_gt_u32_e32 8, v27
; %bb.710:                              ;   in Loop: Header=BB358_13 Depth=1
	v_ffbh_u32_e32 v26, v28
	v_min_u32_e32 v26, 32, v26
	v_subrev_nc_u32_e32 v27, 28, v26
	v_sub_nc_u32_e32 v26, 29, v26
	v_lshlrev_b64 v[27:28], v27, v[28:29]
	v_and_b32_e32 v82, 7, v27
; %bb.711:                              ;   in Loop: Header=BB358_13 Depth=1
	s_or_b32 exec_lo, exec_lo, s28
	v_mov_b32_e32 v0, 24
	v_lshlrev_b32_e32 v28, 20, v82
	v_lshl_add_u32 v26, v26, 23, 0x3c000000
	v_lshlrev_b32_sdwa v27, v0, v20 dst_sel:DWORD dst_unused:UNUSED_PAD src0_sel:DWORD src1_sel:WORD_1
	v_and_b32_e32 v27, 0x80000000, v27
	v_or3_b32 v0, v28, v27, v26
.LBB358_712:                            ;   in Loop: Header=BB358_13 Depth=1
	s_or_b32 exec_lo, exec_lo, s27
.LBB358_713:                            ;   in Loop: Header=BB358_13 Depth=1
	s_or_b32 exec_lo, exec_lo, s26
	buffer_store_dword v0, off, s[0:3], s32 offset:472 ; 4-byte Folded Spill
.LBB358_714:                            ;   in Loop: Header=BB358_13 Depth=1
	s_or_b32 exec_lo, exec_lo, s8
	s_mov_b32 s8, exec_lo
	v_cmpx_lt_u32_e32 0xffffff, v20
	s_cbranch_execz .LBB358_722
; %bb.715:                              ;   in Loop: Header=BB358_13 Depth=1
	v_cmp_ne_u32_sdwa s7, v20, v42 src0_sel:BYTE_3 src1_sel:DWORD
	v_bfrev_b32_e32 v0, 1
	buffer_store_dword v0, off, s[0:3], s32 offset:412 ; 4-byte Folded Spill
	s_and_saveexec_b32 s26, s7
	s_cbranch_execz .LBB358_721
; %bb.716:                              ;   in Loop: Header=BB358_13 Depth=1
	v_bfe_u32 v27, v20, 24, 7
	v_mov_b32_e32 v0, 0x7f800001
	s_mov_b32 s27, exec_lo
	buffer_store_dword v0, off, s[0:3], s32 offset:412 ; 4-byte Folded Spill
	v_cmpx_ne_u32_e32 0x7f, v27
	s_cbranch_execz .LBB358_720
; %bb.717:                              ;   in Loop: Header=BB358_13 Depth=1
	v_mov_b32_e32 v0, 7
	v_lshrrev_b32_e32 v26, 3, v27
	s_mov_b32 s28, exec_lo
	v_and_b32_sdwa v28, v20, v0 dst_sel:DWORD dst_unused:UNUSED_PAD src0_sel:BYTE_3 src1_sel:DWORD
	v_mov_b32_e32 v83, v29
	v_mov_b32_e32 v82, v28
	v_cmpx_gt_u32_e32 8, v27
; %bb.718:                              ;   in Loop: Header=BB358_13 Depth=1
	v_ffbh_u32_e32 v26, v28
	v_min_u32_e32 v26, 32, v26
	v_subrev_nc_u32_e32 v27, 28, v26
	v_sub_nc_u32_e32 v26, 29, v26
	v_lshlrev_b64 v[27:28], v27, v[28:29]
	v_and_b32_e32 v82, 7, v27
; %bb.719:                              ;   in Loop: Header=BB358_13 Depth=1
	s_or_b32 exec_lo, exec_lo, s28
	v_mov_b32_e32 v0, 24
	v_lshlrev_b32_e32 v27, 20, v82
	v_lshl_add_u32 v26, v26, 23, 0x3c000000
	v_lshlrev_b32_sdwa v20, v0, v20 dst_sel:DWORD dst_unused:UNUSED_PAD src0_sel:DWORD src1_sel:BYTE_3
	v_and_b32_e32 v20, 0x80000000, v20
	v_or3_b32 v0, v27, v20, v26
	buffer_store_dword v0, off, s[0:3], s32 offset:412 ; 4-byte Folded Spill
.LBB358_720:                            ;   in Loop: Header=BB358_13 Depth=1
	s_or_b32 exec_lo, exec_lo, s27
.LBB358_721:                            ;   in Loop: Header=BB358_13 Depth=1
	s_or_b32 exec_lo, exec_lo, s26
.LBB358_722:                            ;   in Loop: Header=BB358_13 Depth=1
	s_or_b32 exec_lo, exec_lo, s8
	buffer_load_dword v0, off, s[0:3], s32 offset:200 ; 4-byte Folded Reload
	v_add_co_u32 v20, s7, 0xb00, v80
	v_add_co_ci_u32_e64 v26, null, 0, v81, s7
	v_mov_b32_e32 v91, 0
	s_waitcnt vmcnt(0)
	v_add_co_u32 v27, s7, v20, v0
	v_add_co_ci_u32_e64 v28, null, 0, v26, s7
	v_mov_b32_e32 v0, 0
	flat_load_dword v27, v[27:28]
	buffer_store_dword v0, off, s[0:3], s32 offset:416 ; 4-byte Folded Spill
	s_waitcnt vmcnt(0) lgkmcnt(0)
	v_cmp_ne_u16_sdwa s7, v27, v29 src0_sel:BYTE_0 src1_sel:DWORD
	s_and_saveexec_b32 s8, s7
	s_cbranch_execz .LBB358_730
; %bb.723:                              ;   in Loop: Header=BB358_13 Depth=1
	v_cmp_ne_u16_sdwa s7, v27, v42 src0_sel:BYTE_0 src1_sel:DWORD
	v_bfrev_b32_e32 v0, 1
	buffer_store_dword v0, off, s[0:3], s32 offset:416 ; 4-byte Folded Spill
	s_and_saveexec_b32 s26, s7
	s_cbranch_execz .LBB358_729
; %bb.724:                              ;   in Loop: Header=BB358_13 Depth=1
	v_and_b32_e32 v86, 0x7f, v27
	v_mov_b32_e32 v0, 0x7f800001
	s_mov_b32 s27, exec_lo
	buffer_store_dword v0, off, s[0:3], s32 offset:416 ; 4-byte Folded Spill
	v_cmpx_ne_u32_e32 0x7f, v86
	s_cbranch_execz .LBB358_728
; %bb.725:                              ;   in Loop: Header=BB358_13 Depth=1
	v_and_b32_e32 v28, 7, v27
	v_mov_b32_e32 v83, v29
	v_lshrrev_b32_e32 v39, 3, v86
	s_mov_b32 s28, exec_lo
	v_mov_b32_e32 v82, v28
	v_cmpx_gt_u32_e32 8, v86
; %bb.726:                              ;   in Loop: Header=BB358_13 Depth=1
	v_ffbh_u32_e32 v39, v28
	v_min_u32_e32 v39, 32, v39
	v_subrev_nc_u32_e32 v82, 28, v39
	v_sub_nc_u32_e32 v39, 29, v39
	v_lshlrev_b64 v[82:83], v82, v[28:29]
	v_and_b32_e32 v82, 7, v82
; %bb.727:                              ;   in Loop: Header=BB358_13 Depth=1
	s_or_b32 exec_lo, exec_lo, s28
	v_lshlrev_b32_e32 v28, 24, v27
	v_lshlrev_b32_e32 v82, 20, v82
	v_lshl_add_u32 v39, v39, 23, 0x3c000000
	v_and_b32_e32 v28, 0x80000000, v28
	v_or3_b32 v0, v82, v28, v39
	buffer_store_dword v0, off, s[0:3], s32 offset:416 ; 4-byte Folded Spill
.LBB358_728:                            ;   in Loop: Header=BB358_13 Depth=1
	s_or_b32 exec_lo, exec_lo, s27
.LBB358_729:                            ;   in Loop: Header=BB358_13 Depth=1
	s_or_b32 exec_lo, exec_lo, s26
.LBB358_730:                            ;   in Loop: Header=BB358_13 Depth=1
	s_or_b32 exec_lo, exec_lo, s8
	v_cmp_ne_u16_sdwa s7, v27, v29 src0_sel:BYTE_1 src1_sel:DWORD
	s_and_saveexec_b32 s8, s7
	s_cbranch_execz .LBB358_738
; %bb.731:                              ;   in Loop: Header=BB358_13 Depth=1
	v_cmp_ne_u16_sdwa s7, v27, v42 src0_sel:BYTE_1 src1_sel:DWORD
	v_bfrev_b32_e32 v91, 1
	s_and_saveexec_b32 s26, s7
	s_cbranch_execz .LBB358_737
; %bb.732:                              ;   in Loop: Header=BB358_13 Depth=1
	v_mov_b32_e32 v0, 0xffff
	v_mov_b32_e32 v91, 0x7f800001
	s_mov_b32 s27, exec_lo
	v_and_b32_sdwa v28, v0, v27 dst_sel:DWORD dst_unused:UNUSED_PAD src0_sel:DWORD src1_sel:BYTE_1
	v_and_b32_e32 v86, 0x7f, v28
	v_cmpx_ne_u32_e32 0x7f, v86
	s_cbranch_execz .LBB358_736
; %bb.733:                              ;   in Loop: Header=BB358_13 Depth=1
	v_and_b32_e32 v28, 7, v28
	v_mov_b32_e32 v83, v29
	v_lshrrev_b32_e32 v39, 3, v86
	s_mov_b32 s28, exec_lo
	v_mov_b32_e32 v82, v28
	v_cmpx_gt_u32_e32 8, v86
; %bb.734:                              ;   in Loop: Header=BB358_13 Depth=1
	v_ffbh_u32_e32 v39, v28
	v_min_u32_e32 v39, 32, v39
	v_subrev_nc_u32_e32 v82, 28, v39
	v_sub_nc_u32_e32 v39, 29, v39
	v_lshlrev_b64 v[82:83], v82, v[28:29]
	v_and_b32_e32 v82, 7, v82
; %bb.735:                              ;   in Loop: Header=BB358_13 Depth=1
	s_or_b32 exec_lo, exec_lo, s28
	v_lshlrev_b32_e32 v28, 16, v27
	v_lshlrev_b32_e32 v82, 20, v82
	v_lshl_add_u32 v39, v39, 23, 0x3c000000
	v_and_b32_e32 v28, 0x80000000, v28
	v_or3_b32 v91, v82, v28, v39
.LBB358_736:                            ;   in Loop: Header=BB358_13 Depth=1
	s_or_b32 exec_lo, exec_lo, s27
.LBB358_737:                            ;   in Loop: Header=BB358_13 Depth=1
	s_or_b32 exec_lo, exec_lo, s26
.LBB358_738:                            ;   in Loop: Header=BB358_13 Depth=1
	s_or_b32 exec_lo, exec_lo, s8
	v_and_b32_sdwa v28, v27, v56 dst_sel:DWORD dst_unused:UNUSED_PAD src0_sel:WORD_1 src1_sel:DWORD
	v_mov_b32_e32 v90, 0
	v_mov_b32_e32 v89, 0
	s_mov_b32 s8, exec_lo
	v_cmpx_ne_u16_e32 0, v28
	s_cbranch_execz .LBB358_746
; %bb.739:                              ;   in Loop: Header=BB358_13 Depth=1
	v_bfrev_b32_e32 v89, 1
	s_mov_b32 s26, exec_lo
	v_cmpx_ne_u16_e32 0x80, v28
	s_cbranch_execz .LBB358_745
; %bb.740:                              ;   in Loop: Header=BB358_13 Depth=1
	v_bfe_u32 v86, v27, 16, 7
	v_mov_b32_e32 v89, 0x7f800001
	s_mov_b32 s27, exec_lo
	v_cmpx_ne_u32_e32 0x7f, v86
	s_cbranch_execz .LBB358_744
; %bb.741:                              ;   in Loop: Header=BB358_13 Depth=1
	v_mov_b32_e32 v0, 7
	v_lshrrev_b32_e32 v39, 3, v86
	s_mov_b32 s28, exec_lo
	v_and_b32_sdwa v28, v27, v0 dst_sel:DWORD dst_unused:UNUSED_PAD src0_sel:WORD_1 src1_sel:DWORD
	v_mov_b32_e32 v83, v29
	v_mov_b32_e32 v82, v28
	v_cmpx_gt_u32_e32 8, v86
; %bb.742:                              ;   in Loop: Header=BB358_13 Depth=1
	v_ffbh_u32_e32 v39, v28
	v_min_u32_e32 v39, 32, v39
	v_subrev_nc_u32_e32 v82, 28, v39
	v_sub_nc_u32_e32 v39, 29, v39
	v_lshlrev_b64 v[82:83], v82, v[28:29]
	v_and_b32_e32 v82, 7, v82
; %bb.743:                              ;   in Loop: Header=BB358_13 Depth=1
	s_or_b32 exec_lo, exec_lo, s28
	v_mov_b32_e32 v0, 24
	v_lshlrev_b32_e32 v82, 20, v82
	v_lshl_add_u32 v39, v39, 23, 0x3c000000
	v_lshlrev_b32_sdwa v28, v0, v27 dst_sel:DWORD dst_unused:UNUSED_PAD src0_sel:DWORD src1_sel:WORD_1
	v_and_b32_e32 v28, 0x80000000, v28
	v_or3_b32 v89, v82, v28, v39
.LBB358_744:                            ;   in Loop: Header=BB358_13 Depth=1
	s_or_b32 exec_lo, exec_lo, s27
.LBB358_745:                            ;   in Loop: Header=BB358_13 Depth=1
	s_or_b32 exec_lo, exec_lo, s26
.LBB358_746:                            ;   in Loop: Header=BB358_13 Depth=1
	s_or_b32 exec_lo, exec_lo, s8
	s_mov_b32 s8, exec_lo
	v_cmpx_lt_u32_e32 0xffffff, v27
	s_cbranch_execz .LBB358_754
; %bb.747:                              ;   in Loop: Header=BB358_13 Depth=1
	v_cmp_ne_u32_sdwa s7, v27, v42 src0_sel:BYTE_3 src1_sel:DWORD
	v_bfrev_b32_e32 v90, 1
	s_and_saveexec_b32 s26, s7
	s_cbranch_execz .LBB358_753
; %bb.748:                              ;   in Loop: Header=BB358_13 Depth=1
	v_bfe_u32 v86, v27, 24, 7
	v_mov_b32_e32 v90, 0x7f800001
	s_mov_b32 s27, exec_lo
	v_cmpx_ne_u32_e32 0x7f, v86
	s_cbranch_execz .LBB358_752
; %bb.749:                              ;   in Loop: Header=BB358_13 Depth=1
	v_mov_b32_e32 v0, 7
	v_lshrrev_b32_e32 v39, 3, v86
	s_mov_b32 s28, exec_lo
	v_and_b32_sdwa v28, v27, v0 dst_sel:DWORD dst_unused:UNUSED_PAD src0_sel:BYTE_3 src1_sel:DWORD
	v_mov_b32_e32 v83, v29
	v_mov_b32_e32 v82, v28
	v_cmpx_gt_u32_e32 8, v86
; %bb.750:                              ;   in Loop: Header=BB358_13 Depth=1
	v_ffbh_u32_e32 v39, v28
	v_min_u32_e32 v39, 32, v39
	v_subrev_nc_u32_e32 v82, 28, v39
	v_sub_nc_u32_e32 v39, 29, v39
	v_lshlrev_b64 v[82:83], v82, v[28:29]
	v_and_b32_e32 v82, 7, v82
; %bb.751:                              ;   in Loop: Header=BB358_13 Depth=1
	s_or_b32 exec_lo, exec_lo, s28
	v_mov_b32_e32 v0, 24
	v_lshlrev_b32_e32 v28, 20, v82
	v_lshl_add_u32 v39, v39, 23, 0x3c000000
	v_lshlrev_b32_sdwa v27, v0, v27 dst_sel:DWORD dst_unused:UNUSED_PAD src0_sel:DWORD src1_sel:BYTE_3
	v_and_b32_e32 v27, 0x80000000, v27
	v_or3_b32 v90, v28, v27, v39
.LBB358_752:                            ;   in Loop: Header=BB358_13 Depth=1
	s_or_b32 exec_lo, exec_lo, s27
.LBB358_753:                            ;   in Loop: Header=BB358_13 Depth=1
	s_or_b32 exec_lo, exec_lo, s26
.LBB358_754:                            ;   in Loop: Header=BB358_13 Depth=1
	s_or_b32 exec_lo, exec_lo, s8
	buffer_load_dword v0, off, s[0:3], s32 offset:204 ; 4-byte Folded Reload
	v_mov_b32_e32 v79, 0
	v_mov_b32_e32 v88, 0
	s_waitcnt vmcnt(0)
	v_add_co_u32 v27, s7, v20, v0
	v_add_co_ci_u32_e64 v28, null, 0, v26, s7
	flat_load_dword v20, v[27:28]
	s_waitcnt vmcnt(0) lgkmcnt(0)
	v_cmp_ne_u16_sdwa s7, v20, v29 src0_sel:BYTE_0 src1_sel:DWORD
	s_and_saveexec_b32 s8, s7
	s_cbranch_execz .LBB358_762
; %bb.755:                              ;   in Loop: Header=BB358_13 Depth=1
	v_cmp_ne_u16_sdwa s7, v20, v42 src0_sel:BYTE_0 src1_sel:DWORD
	v_bfrev_b32_e32 v88, 1
	s_and_saveexec_b32 s26, s7
	s_cbranch_execz .LBB358_761
; %bb.756:                              ;   in Loop: Header=BB358_13 Depth=1
	v_and_b32_e32 v27, 0x7f, v20
	v_mov_b32_e32 v88, 0x7f800001
	s_mov_b32 s27, exec_lo
	v_cmpx_ne_u32_e32 0x7f, v27
	s_cbranch_execz .LBB358_760
; %bb.757:                              ;   in Loop: Header=BB358_13 Depth=1
	v_and_b32_e32 v28, 7, v20
	v_mov_b32_e32 v83, v29
	v_lshrrev_b32_e32 v26, 3, v27
	s_mov_b32 s28, exec_lo
	v_mov_b32_e32 v82, v28
	v_cmpx_gt_u32_e32 8, v27
; %bb.758:                              ;   in Loop: Header=BB358_13 Depth=1
	v_ffbh_u32_e32 v26, v28
	v_min_u32_e32 v26, 32, v26
	v_subrev_nc_u32_e32 v27, 28, v26
	v_sub_nc_u32_e32 v26, 29, v26
	v_lshlrev_b64 v[27:28], v27, v[28:29]
	v_and_b32_e32 v82, 7, v27
; %bb.759:                              ;   in Loop: Header=BB358_13 Depth=1
	s_or_b32 exec_lo, exec_lo, s28
	v_lshlrev_b32_e32 v27, 24, v20
	v_lshlrev_b32_e32 v28, 20, v82
	v_lshl_add_u32 v26, v26, 23, 0x3c000000
	v_and_b32_e32 v27, 0x80000000, v27
	v_or3_b32 v88, v28, v27, v26
.LBB358_760:                            ;   in Loop: Header=BB358_13 Depth=1
	s_or_b32 exec_lo, exec_lo, s27
.LBB358_761:                            ;   in Loop: Header=BB358_13 Depth=1
	s_or_b32 exec_lo, exec_lo, s26
.LBB358_762:                            ;   in Loop: Header=BB358_13 Depth=1
	s_or_b32 exec_lo, exec_lo, s8
	v_cmp_ne_u16_sdwa s7, v20, v29 src0_sel:BYTE_1 src1_sel:DWORD
	s_and_saveexec_b32 s8, s7
	s_cbranch_execz .LBB358_770
; %bb.763:                              ;   in Loop: Header=BB358_13 Depth=1
	v_cmp_ne_u16_sdwa s7, v20, v42 src0_sel:BYTE_1 src1_sel:DWORD
	v_bfrev_b32_e32 v79, 1
	s_and_saveexec_b32 s26, s7
	s_cbranch_execz .LBB358_769
; %bb.764:                              ;   in Loop: Header=BB358_13 Depth=1
	v_mov_b32_e32 v0, 0xffff
	v_mov_b32_e32 v79, 0x7f800001
	s_mov_b32 s27, exec_lo
	v_and_b32_sdwa v26, v0, v20 dst_sel:DWORD dst_unused:UNUSED_PAD src0_sel:DWORD src1_sel:BYTE_1
	v_and_b32_e32 v27, 0x7f, v26
	v_cmpx_ne_u32_e32 0x7f, v27
	s_cbranch_execz .LBB358_768
; %bb.765:                              ;   in Loop: Header=BB358_13 Depth=1
	v_and_b32_e32 v28, 7, v26
	v_mov_b32_e32 v83, v29
	v_lshrrev_b32_e32 v26, 3, v27
	s_mov_b32 s28, exec_lo
	v_mov_b32_e32 v82, v28
	v_cmpx_gt_u32_e32 8, v27
; %bb.766:                              ;   in Loop: Header=BB358_13 Depth=1
	v_ffbh_u32_e32 v26, v28
	v_min_u32_e32 v26, 32, v26
	v_subrev_nc_u32_e32 v27, 28, v26
	v_sub_nc_u32_e32 v26, 29, v26
	v_lshlrev_b64 v[27:28], v27, v[28:29]
	v_and_b32_e32 v82, 7, v27
; %bb.767:                              ;   in Loop: Header=BB358_13 Depth=1
	s_or_b32 exec_lo, exec_lo, s28
	v_lshlrev_b32_e32 v27, 16, v20
	v_lshlrev_b32_e32 v28, 20, v82
	v_lshl_add_u32 v26, v26, 23, 0x3c000000
	v_and_b32_e32 v27, 0x80000000, v27
	v_or3_b32 v79, v28, v27, v26
.LBB358_768:                            ;   in Loop: Header=BB358_13 Depth=1
	s_or_b32 exec_lo, exec_lo, s27
.LBB358_769:                            ;   in Loop: Header=BB358_13 Depth=1
	s_or_b32 exec_lo, exec_lo, s26
.LBB358_770:                            ;   in Loop: Header=BB358_13 Depth=1
	s_or_b32 exec_lo, exec_lo, s8
	v_and_b32_sdwa v26, v20, v56 dst_sel:DWORD dst_unused:UNUSED_PAD src0_sel:WORD_1 src1_sel:DWORD
	v_mov_b32_e32 v78, 0
	v_mov_b32_e32 v77, 0
	s_mov_b32 s8, exec_lo
	v_cmpx_ne_u16_e32 0, v26
	s_cbranch_execz .LBB358_778
; %bb.771:                              ;   in Loop: Header=BB358_13 Depth=1
	v_bfrev_b32_e32 v77, 1
	s_mov_b32 s26, exec_lo
	v_cmpx_ne_u16_e32 0x80, v26
	s_cbranch_execz .LBB358_777
; %bb.772:                              ;   in Loop: Header=BB358_13 Depth=1
	v_bfe_u32 v27, v20, 16, 7
	v_mov_b32_e32 v77, 0x7f800001
	s_mov_b32 s27, exec_lo
	v_cmpx_ne_u32_e32 0x7f, v27
	s_cbranch_execz .LBB358_776
; %bb.773:                              ;   in Loop: Header=BB358_13 Depth=1
	v_mov_b32_e32 v0, 7
	v_lshrrev_b32_e32 v26, 3, v27
	s_mov_b32 s28, exec_lo
	v_and_b32_sdwa v28, v20, v0 dst_sel:DWORD dst_unused:UNUSED_PAD src0_sel:WORD_1 src1_sel:DWORD
	v_mov_b32_e32 v83, v29
	v_mov_b32_e32 v82, v28
	v_cmpx_gt_u32_e32 8, v27
; %bb.774:                              ;   in Loop: Header=BB358_13 Depth=1
	v_ffbh_u32_e32 v26, v28
	v_min_u32_e32 v26, 32, v26
	v_subrev_nc_u32_e32 v27, 28, v26
	v_sub_nc_u32_e32 v26, 29, v26
	v_lshlrev_b64 v[27:28], v27, v[28:29]
	v_and_b32_e32 v82, 7, v27
; %bb.775:                              ;   in Loop: Header=BB358_13 Depth=1
	s_or_b32 exec_lo, exec_lo, s28
	v_mov_b32_e32 v0, 24
	v_lshlrev_b32_e32 v28, 20, v82
	v_lshl_add_u32 v26, v26, 23, 0x3c000000
	v_lshlrev_b32_sdwa v27, v0, v20 dst_sel:DWORD dst_unused:UNUSED_PAD src0_sel:DWORD src1_sel:WORD_1
	v_and_b32_e32 v27, 0x80000000, v27
	v_or3_b32 v77, v28, v27, v26
.LBB358_776:                            ;   in Loop: Header=BB358_13 Depth=1
	s_or_b32 exec_lo, exec_lo, s27
.LBB358_777:                            ;   in Loop: Header=BB358_13 Depth=1
	s_or_b32 exec_lo, exec_lo, s26
.LBB358_778:                            ;   in Loop: Header=BB358_13 Depth=1
	s_or_b32 exec_lo, exec_lo, s8
	s_mov_b32 s8, exec_lo
	v_cmpx_lt_u32_e32 0xffffff, v20
	s_cbranch_execz .LBB358_786
; %bb.779:                              ;   in Loop: Header=BB358_13 Depth=1
	v_cmp_ne_u32_sdwa s7, v20, v42 src0_sel:BYTE_3 src1_sel:DWORD
	v_bfrev_b32_e32 v78, 1
	s_and_saveexec_b32 s26, s7
	s_cbranch_execz .LBB358_785
; %bb.780:                              ;   in Loop: Header=BB358_13 Depth=1
	v_bfe_u32 v27, v20, 24, 7
	v_mov_b32_e32 v78, 0x7f800001
	s_mov_b32 s27, exec_lo
	v_cmpx_ne_u32_e32 0x7f, v27
	s_cbranch_execz .LBB358_784
; %bb.781:                              ;   in Loop: Header=BB358_13 Depth=1
	v_mov_b32_e32 v0, 7
	v_lshrrev_b32_e32 v26, 3, v27
	s_mov_b32 s28, exec_lo
	v_and_b32_sdwa v28, v20, v0 dst_sel:DWORD dst_unused:UNUSED_PAD src0_sel:BYTE_3 src1_sel:DWORD
	v_mov_b32_e32 v83, v29
	v_mov_b32_e32 v82, v28
	v_cmpx_gt_u32_e32 8, v27
; %bb.782:                              ;   in Loop: Header=BB358_13 Depth=1
	v_ffbh_u32_e32 v26, v28
	v_min_u32_e32 v26, 32, v26
	v_subrev_nc_u32_e32 v27, 28, v26
	v_sub_nc_u32_e32 v26, 29, v26
	v_lshlrev_b64 v[27:28], v27, v[28:29]
	v_and_b32_e32 v82, 7, v27
; %bb.783:                              ;   in Loop: Header=BB358_13 Depth=1
	s_or_b32 exec_lo, exec_lo, s28
	v_mov_b32_e32 v0, 24
	v_lshlrev_b32_e32 v27, 20, v82
	v_lshl_add_u32 v26, v26, 23, 0x3c000000
	v_lshlrev_b32_sdwa v20, v0, v20 dst_sel:DWORD dst_unused:UNUSED_PAD src0_sel:DWORD src1_sel:BYTE_3
	v_and_b32_e32 v20, 0x80000000, v20
	v_or3_b32 v78, v27, v20, v26
.LBB358_784:                            ;   in Loop: Header=BB358_13 Depth=1
	s_or_b32 exec_lo, exec_lo, s27
.LBB358_785:                            ;   in Loop: Header=BB358_13 Depth=1
	s_or_b32 exec_lo, exec_lo, s26
.LBB358_786:                            ;   in Loop: Header=BB358_13 Depth=1
	s_or_b32 exec_lo, exec_lo, s8
	buffer_load_dword v0, off, s[0:3], s32 offset:200 ; 4-byte Folded Reload
	v_add_co_u32 v20, s7, 0xc00, v80
	v_add_co_ci_u32_e64 v26, null, 0, v81, s7
	v_mov_b32_e32 v75, 0
	v_mov_b32_e32 v76, 0
	s_waitcnt vmcnt(0)
	v_add_co_u32 v27, s7, v20, v0
	v_add_co_ci_u32_e64 v28, null, 0, v26, s7
	flat_load_dword v27, v[27:28]
	s_waitcnt vmcnt(0) lgkmcnt(0)
	v_cmp_ne_u16_sdwa s7, v27, v29 src0_sel:BYTE_0 src1_sel:DWORD
	s_and_saveexec_b32 s8, s7
	s_cbranch_execz .LBB358_794
; %bb.787:                              ;   in Loop: Header=BB358_13 Depth=1
	v_cmp_ne_u16_sdwa s7, v27, v42 src0_sel:BYTE_0 src1_sel:DWORD
	v_bfrev_b32_e32 v76, 1
	s_and_saveexec_b32 s26, s7
	s_cbranch_execz .LBB358_793
; %bb.788:                              ;   in Loop: Header=BB358_13 Depth=1
	v_and_b32_e32 v86, 0x7f, v27
	v_mov_b32_e32 v76, 0x7f800001
	s_mov_b32 s27, exec_lo
	v_cmpx_ne_u32_e32 0x7f, v86
	s_cbranch_execz .LBB358_792
; %bb.789:                              ;   in Loop: Header=BB358_13 Depth=1
	v_and_b32_e32 v28, 7, v27
	v_mov_b32_e32 v83, v29
	v_lshrrev_b32_e32 v39, 3, v86
	s_mov_b32 s28, exec_lo
	v_mov_b32_e32 v82, v28
	v_cmpx_gt_u32_e32 8, v86
; %bb.790:                              ;   in Loop: Header=BB358_13 Depth=1
	v_ffbh_u32_e32 v39, v28
	v_min_u32_e32 v39, 32, v39
	v_subrev_nc_u32_e32 v82, 28, v39
	v_sub_nc_u32_e32 v39, 29, v39
	v_lshlrev_b64 v[82:83], v82, v[28:29]
	v_and_b32_e32 v82, 7, v82
; %bb.791:                              ;   in Loop: Header=BB358_13 Depth=1
	s_or_b32 exec_lo, exec_lo, s28
	v_lshlrev_b32_e32 v28, 24, v27
	v_lshlrev_b32_e32 v82, 20, v82
	v_lshl_add_u32 v39, v39, 23, 0x3c000000
	v_and_b32_e32 v28, 0x80000000, v28
	v_or3_b32 v76, v82, v28, v39
.LBB358_792:                            ;   in Loop: Header=BB358_13 Depth=1
	s_or_b32 exec_lo, exec_lo, s27
.LBB358_793:                            ;   in Loop: Header=BB358_13 Depth=1
	s_or_b32 exec_lo, exec_lo, s26
.LBB358_794:                            ;   in Loop: Header=BB358_13 Depth=1
	s_or_b32 exec_lo, exec_lo, s8
	v_cmp_ne_u16_sdwa s7, v27, v29 src0_sel:BYTE_1 src1_sel:DWORD
	s_and_saveexec_b32 s8, s7
	s_cbranch_execz .LBB358_802
; %bb.795:                              ;   in Loop: Header=BB358_13 Depth=1
	v_cmp_ne_u16_sdwa s7, v27, v42 src0_sel:BYTE_1 src1_sel:DWORD
	v_bfrev_b32_e32 v75, 1
	s_and_saveexec_b32 s26, s7
	s_cbranch_execz .LBB358_801
; %bb.796:                              ;   in Loop: Header=BB358_13 Depth=1
	v_mov_b32_e32 v0, 0xffff
	v_mov_b32_e32 v75, 0x7f800001
	s_mov_b32 s27, exec_lo
	v_and_b32_sdwa v28, v0, v27 dst_sel:DWORD dst_unused:UNUSED_PAD src0_sel:DWORD src1_sel:BYTE_1
	v_and_b32_e32 v86, 0x7f, v28
	v_cmpx_ne_u32_e32 0x7f, v86
	s_cbranch_execz .LBB358_800
; %bb.797:                              ;   in Loop: Header=BB358_13 Depth=1
	v_and_b32_e32 v28, 7, v28
	v_mov_b32_e32 v83, v29
	v_lshrrev_b32_e32 v39, 3, v86
	s_mov_b32 s28, exec_lo
	v_mov_b32_e32 v82, v28
	v_cmpx_gt_u32_e32 8, v86
; %bb.798:                              ;   in Loop: Header=BB358_13 Depth=1
	v_ffbh_u32_e32 v39, v28
	v_min_u32_e32 v39, 32, v39
	v_subrev_nc_u32_e32 v82, 28, v39
	v_sub_nc_u32_e32 v39, 29, v39
	v_lshlrev_b64 v[82:83], v82, v[28:29]
	v_and_b32_e32 v82, 7, v82
; %bb.799:                              ;   in Loop: Header=BB358_13 Depth=1
	s_or_b32 exec_lo, exec_lo, s28
	v_lshlrev_b32_e32 v28, 16, v27
	v_lshlrev_b32_e32 v82, 20, v82
	v_lshl_add_u32 v39, v39, 23, 0x3c000000
	v_and_b32_e32 v28, 0x80000000, v28
	v_or3_b32 v75, v82, v28, v39
.LBB358_800:                            ;   in Loop: Header=BB358_13 Depth=1
	s_or_b32 exec_lo, exec_lo, s27
.LBB358_801:                            ;   in Loop: Header=BB358_13 Depth=1
	s_or_b32 exec_lo, exec_lo, s26
.LBB358_802:                            ;   in Loop: Header=BB358_13 Depth=1
	s_or_b32 exec_lo, exec_lo, s8
	v_and_b32_sdwa v28, v27, v56 dst_sel:DWORD dst_unused:UNUSED_PAD src0_sel:WORD_1 src1_sel:DWORD
	v_mov_b32_e32 v74, 0
	v_mov_b32_e32 v73, 0
	s_mov_b32 s8, exec_lo
	v_cmpx_ne_u16_e32 0, v28
	s_cbranch_execz .LBB358_810
; %bb.803:                              ;   in Loop: Header=BB358_13 Depth=1
	v_bfrev_b32_e32 v73, 1
	s_mov_b32 s26, exec_lo
	v_cmpx_ne_u16_e32 0x80, v28
	s_cbranch_execz .LBB358_809
; %bb.804:                              ;   in Loop: Header=BB358_13 Depth=1
	v_bfe_u32 v86, v27, 16, 7
	v_mov_b32_e32 v73, 0x7f800001
	s_mov_b32 s27, exec_lo
	v_cmpx_ne_u32_e32 0x7f, v86
	s_cbranch_execz .LBB358_808
; %bb.805:                              ;   in Loop: Header=BB358_13 Depth=1
	v_mov_b32_e32 v0, 7
	v_lshrrev_b32_e32 v39, 3, v86
	s_mov_b32 s28, exec_lo
	v_and_b32_sdwa v28, v27, v0 dst_sel:DWORD dst_unused:UNUSED_PAD src0_sel:WORD_1 src1_sel:DWORD
	v_mov_b32_e32 v83, v29
	v_mov_b32_e32 v82, v28
	v_cmpx_gt_u32_e32 8, v86
; %bb.806:                              ;   in Loop: Header=BB358_13 Depth=1
	v_ffbh_u32_e32 v39, v28
	v_min_u32_e32 v39, 32, v39
	v_subrev_nc_u32_e32 v82, 28, v39
	v_sub_nc_u32_e32 v39, 29, v39
	v_lshlrev_b64 v[82:83], v82, v[28:29]
	v_and_b32_e32 v82, 7, v82
; %bb.807:                              ;   in Loop: Header=BB358_13 Depth=1
	s_or_b32 exec_lo, exec_lo, s28
	v_mov_b32_e32 v0, 24
	v_lshlrev_b32_e32 v82, 20, v82
	v_lshl_add_u32 v39, v39, 23, 0x3c000000
	v_lshlrev_b32_sdwa v28, v0, v27 dst_sel:DWORD dst_unused:UNUSED_PAD src0_sel:DWORD src1_sel:WORD_1
	v_and_b32_e32 v28, 0x80000000, v28
	v_or3_b32 v73, v82, v28, v39
.LBB358_808:                            ;   in Loop: Header=BB358_13 Depth=1
	s_or_b32 exec_lo, exec_lo, s27
.LBB358_809:                            ;   in Loop: Header=BB358_13 Depth=1
	s_or_b32 exec_lo, exec_lo, s26
.LBB358_810:                            ;   in Loop: Header=BB358_13 Depth=1
	s_or_b32 exec_lo, exec_lo, s8
	s_mov_b32 s8, exec_lo
	v_cmpx_lt_u32_e32 0xffffff, v27
	s_cbranch_execz .LBB358_818
; %bb.811:                              ;   in Loop: Header=BB358_13 Depth=1
	v_cmp_ne_u32_sdwa s7, v27, v42 src0_sel:BYTE_3 src1_sel:DWORD
	v_bfrev_b32_e32 v74, 1
	s_and_saveexec_b32 s26, s7
	s_cbranch_execz .LBB358_817
; %bb.812:                              ;   in Loop: Header=BB358_13 Depth=1
	v_bfe_u32 v86, v27, 24, 7
	v_mov_b32_e32 v74, 0x7f800001
	s_mov_b32 s27, exec_lo
	v_cmpx_ne_u32_e32 0x7f, v86
	s_cbranch_execz .LBB358_816
; %bb.813:                              ;   in Loop: Header=BB358_13 Depth=1
	v_mov_b32_e32 v0, 7
	v_lshrrev_b32_e32 v39, 3, v86
	s_mov_b32 s28, exec_lo
	v_and_b32_sdwa v28, v27, v0 dst_sel:DWORD dst_unused:UNUSED_PAD src0_sel:BYTE_3 src1_sel:DWORD
	v_mov_b32_e32 v83, v29
	v_mov_b32_e32 v82, v28
	v_cmpx_gt_u32_e32 8, v86
; %bb.814:                              ;   in Loop: Header=BB358_13 Depth=1
	v_ffbh_u32_e32 v39, v28
	v_min_u32_e32 v39, 32, v39
	v_subrev_nc_u32_e32 v82, 28, v39
	v_sub_nc_u32_e32 v39, 29, v39
	v_lshlrev_b64 v[82:83], v82, v[28:29]
	v_and_b32_e32 v82, 7, v82
; %bb.815:                              ;   in Loop: Header=BB358_13 Depth=1
	s_or_b32 exec_lo, exec_lo, s28
	v_mov_b32_e32 v0, 24
	v_lshlrev_b32_e32 v28, 20, v82
	v_lshl_add_u32 v39, v39, 23, 0x3c000000
	v_lshlrev_b32_sdwa v27, v0, v27 dst_sel:DWORD dst_unused:UNUSED_PAD src0_sel:DWORD src1_sel:BYTE_3
	v_and_b32_e32 v27, 0x80000000, v27
	v_or3_b32 v74, v28, v27, v39
.LBB358_816:                            ;   in Loop: Header=BB358_13 Depth=1
	s_or_b32 exec_lo, exec_lo, s27
.LBB358_817:                            ;   in Loop: Header=BB358_13 Depth=1
	s_or_b32 exec_lo, exec_lo, s26
.LBB358_818:                            ;   in Loop: Header=BB358_13 Depth=1
	s_or_b32 exec_lo, exec_lo, s8
	buffer_load_dword v0, off, s[0:3], s32 offset:204 ; 4-byte Folded Reload
	v_mov_b32_e32 v63, 0
	v_mov_b32_e32 v72, 0
	s_waitcnt vmcnt(0)
	v_add_co_u32 v27, s7, v20, v0
	v_add_co_ci_u32_e64 v28, null, 0, v26, s7
	flat_load_dword v20, v[27:28]
	s_waitcnt vmcnt(0) lgkmcnt(0)
	v_cmp_ne_u16_sdwa s7, v20, v29 src0_sel:BYTE_0 src1_sel:DWORD
	s_and_saveexec_b32 s8, s7
	s_cbranch_execz .LBB358_826
; %bb.819:                              ;   in Loop: Header=BB358_13 Depth=1
	v_cmp_ne_u16_sdwa s7, v20, v42 src0_sel:BYTE_0 src1_sel:DWORD
	v_bfrev_b32_e32 v72, 1
	s_and_saveexec_b32 s26, s7
	s_cbranch_execz .LBB358_825
; %bb.820:                              ;   in Loop: Header=BB358_13 Depth=1
	v_and_b32_e32 v27, 0x7f, v20
	v_mov_b32_e32 v72, 0x7f800001
	s_mov_b32 s27, exec_lo
	v_cmpx_ne_u32_e32 0x7f, v27
	s_cbranch_execz .LBB358_824
; %bb.821:                              ;   in Loop: Header=BB358_13 Depth=1
	v_and_b32_e32 v28, 7, v20
	v_mov_b32_e32 v83, v29
	v_lshrrev_b32_e32 v26, 3, v27
	s_mov_b32 s28, exec_lo
	v_mov_b32_e32 v82, v28
	v_cmpx_gt_u32_e32 8, v27
; %bb.822:                              ;   in Loop: Header=BB358_13 Depth=1
	v_ffbh_u32_e32 v26, v28
	v_min_u32_e32 v26, 32, v26
	v_subrev_nc_u32_e32 v27, 28, v26
	v_sub_nc_u32_e32 v26, 29, v26
	v_lshlrev_b64 v[27:28], v27, v[28:29]
	v_and_b32_e32 v82, 7, v27
; %bb.823:                              ;   in Loop: Header=BB358_13 Depth=1
	s_or_b32 exec_lo, exec_lo, s28
	v_lshlrev_b32_e32 v27, 24, v20
	v_lshlrev_b32_e32 v28, 20, v82
	v_lshl_add_u32 v26, v26, 23, 0x3c000000
	v_and_b32_e32 v27, 0x80000000, v27
	v_or3_b32 v72, v28, v27, v26
.LBB358_824:                            ;   in Loop: Header=BB358_13 Depth=1
	s_or_b32 exec_lo, exec_lo, s27
.LBB358_825:                            ;   in Loop: Header=BB358_13 Depth=1
	s_or_b32 exec_lo, exec_lo, s26
.LBB358_826:                            ;   in Loop: Header=BB358_13 Depth=1
	s_or_b32 exec_lo, exec_lo, s8
	v_cmp_ne_u16_sdwa s7, v20, v29 src0_sel:BYTE_1 src1_sel:DWORD
	s_and_saveexec_b32 s8, s7
	s_cbranch_execz .LBB358_834
; %bb.827:                              ;   in Loop: Header=BB358_13 Depth=1
	v_cmp_ne_u16_sdwa s7, v20, v42 src0_sel:BYTE_1 src1_sel:DWORD
	v_bfrev_b32_e32 v63, 1
	s_and_saveexec_b32 s26, s7
	s_cbranch_execz .LBB358_833
; %bb.828:                              ;   in Loop: Header=BB358_13 Depth=1
	v_mov_b32_e32 v0, 0xffff
	v_mov_b32_e32 v63, 0x7f800001
	s_mov_b32 s27, exec_lo
	v_and_b32_sdwa v26, v0, v20 dst_sel:DWORD dst_unused:UNUSED_PAD src0_sel:DWORD src1_sel:BYTE_1
	v_and_b32_e32 v27, 0x7f, v26
	v_cmpx_ne_u32_e32 0x7f, v27
	s_cbranch_execz .LBB358_832
; %bb.829:                              ;   in Loop: Header=BB358_13 Depth=1
	v_and_b32_e32 v28, 7, v26
	v_mov_b32_e32 v83, v29
	v_lshrrev_b32_e32 v26, 3, v27
	s_mov_b32 s28, exec_lo
	v_mov_b32_e32 v82, v28
	v_cmpx_gt_u32_e32 8, v27
; %bb.830:                              ;   in Loop: Header=BB358_13 Depth=1
	v_ffbh_u32_e32 v26, v28
	v_min_u32_e32 v26, 32, v26
	v_subrev_nc_u32_e32 v27, 28, v26
	v_sub_nc_u32_e32 v26, 29, v26
	v_lshlrev_b64 v[27:28], v27, v[28:29]
	v_and_b32_e32 v82, 7, v27
; %bb.831:                              ;   in Loop: Header=BB358_13 Depth=1
	s_or_b32 exec_lo, exec_lo, s28
	v_lshlrev_b32_e32 v27, 16, v20
	v_lshlrev_b32_e32 v28, 20, v82
	v_lshl_add_u32 v26, v26, 23, 0x3c000000
	v_and_b32_e32 v27, 0x80000000, v27
	v_or3_b32 v63, v28, v27, v26
.LBB358_832:                            ;   in Loop: Header=BB358_13 Depth=1
	s_or_b32 exec_lo, exec_lo, s27
.LBB358_833:                            ;   in Loop: Header=BB358_13 Depth=1
	s_or_b32 exec_lo, exec_lo, s26
.LBB358_834:                            ;   in Loop: Header=BB358_13 Depth=1
	s_or_b32 exec_lo, exec_lo, s8
	v_and_b32_sdwa v26, v20, v56 dst_sel:DWORD dst_unused:UNUSED_PAD src0_sel:WORD_1 src1_sel:DWORD
	v_mov_b32_e32 v87, 0
	v_mov_b32_e32 v39, 0
	s_mov_b32 s8, exec_lo
	v_cmpx_ne_u16_e32 0, v26
	s_cbranch_execz .LBB358_842
; %bb.835:                              ;   in Loop: Header=BB358_13 Depth=1
	v_bfrev_b32_e32 v39, 1
	s_mov_b32 s26, exec_lo
	v_cmpx_ne_u16_e32 0x80, v26
	s_cbranch_execz .LBB358_841
; %bb.836:                              ;   in Loop: Header=BB358_13 Depth=1
	v_bfe_u32 v27, v20, 16, 7
	v_mov_b32_e32 v39, 0x7f800001
	s_mov_b32 s27, exec_lo
	v_cmpx_ne_u32_e32 0x7f, v27
	s_cbranch_execz .LBB358_840
; %bb.837:                              ;   in Loop: Header=BB358_13 Depth=1
	v_mov_b32_e32 v0, 7
	v_lshrrev_b32_e32 v26, 3, v27
	s_mov_b32 s28, exec_lo
	v_and_b32_sdwa v28, v20, v0 dst_sel:DWORD dst_unused:UNUSED_PAD src0_sel:WORD_1 src1_sel:DWORD
	v_mov_b32_e32 v83, v29
	v_mov_b32_e32 v82, v28
	v_cmpx_gt_u32_e32 8, v27
; %bb.838:                              ;   in Loop: Header=BB358_13 Depth=1
	v_ffbh_u32_e32 v26, v28
	v_min_u32_e32 v26, 32, v26
	v_subrev_nc_u32_e32 v27, 28, v26
	v_sub_nc_u32_e32 v26, 29, v26
	v_lshlrev_b64 v[27:28], v27, v[28:29]
	v_and_b32_e32 v82, 7, v27
; %bb.839:                              ;   in Loop: Header=BB358_13 Depth=1
	s_or_b32 exec_lo, exec_lo, s28
	v_mov_b32_e32 v0, 24
	v_lshlrev_b32_e32 v28, 20, v82
	v_lshl_add_u32 v26, v26, 23, 0x3c000000
	v_lshlrev_b32_sdwa v27, v0, v20 dst_sel:DWORD dst_unused:UNUSED_PAD src0_sel:DWORD src1_sel:WORD_1
	v_and_b32_e32 v27, 0x80000000, v27
	v_or3_b32 v39, v28, v27, v26
.LBB358_840:                            ;   in Loop: Header=BB358_13 Depth=1
	s_or_b32 exec_lo, exec_lo, s27
.LBB358_841:                            ;   in Loop: Header=BB358_13 Depth=1
	s_or_b32 exec_lo, exec_lo, s26
.LBB358_842:                            ;   in Loop: Header=BB358_13 Depth=1
	s_or_b32 exec_lo, exec_lo, s8
	s_mov_b32 s8, exec_lo
	v_cmpx_lt_u32_e32 0xffffff, v20
	s_cbranch_execz .LBB358_850
; %bb.843:                              ;   in Loop: Header=BB358_13 Depth=1
	v_cmp_ne_u32_sdwa s7, v20, v42 src0_sel:BYTE_3 src1_sel:DWORD
	v_bfrev_b32_e32 v87, 1
	s_and_saveexec_b32 s26, s7
	s_cbranch_execz .LBB358_849
; %bb.844:                              ;   in Loop: Header=BB358_13 Depth=1
	v_bfe_u32 v27, v20, 24, 7
	v_mov_b32_e32 v87, 0x7f800001
	s_mov_b32 s27, exec_lo
	v_cmpx_ne_u32_e32 0x7f, v27
	s_cbranch_execz .LBB358_848
; %bb.845:                              ;   in Loop: Header=BB358_13 Depth=1
	v_mov_b32_e32 v0, 7
	v_lshrrev_b32_e32 v26, 3, v27
	s_mov_b32 s28, exec_lo
	v_and_b32_sdwa v28, v20, v0 dst_sel:DWORD dst_unused:UNUSED_PAD src0_sel:BYTE_3 src1_sel:DWORD
	v_mov_b32_e32 v83, v29
	v_mov_b32_e32 v82, v28
	v_cmpx_gt_u32_e32 8, v27
; %bb.846:                              ;   in Loop: Header=BB358_13 Depth=1
	v_ffbh_u32_e32 v26, v28
	v_min_u32_e32 v26, 32, v26
	v_subrev_nc_u32_e32 v27, 28, v26
	v_sub_nc_u32_e32 v26, 29, v26
	v_lshlrev_b64 v[27:28], v27, v[28:29]
	v_and_b32_e32 v82, 7, v27
; %bb.847:                              ;   in Loop: Header=BB358_13 Depth=1
	s_or_b32 exec_lo, exec_lo, s28
	v_mov_b32_e32 v0, 24
	v_lshlrev_b32_e32 v27, 20, v82
	v_lshl_add_u32 v26, v26, 23, 0x3c000000
	v_lshlrev_b32_sdwa v20, v0, v20 dst_sel:DWORD dst_unused:UNUSED_PAD src0_sel:DWORD src1_sel:BYTE_3
	v_and_b32_e32 v20, 0x80000000, v20
	v_or3_b32 v87, v27, v20, v26
.LBB358_848:                            ;   in Loop: Header=BB358_13 Depth=1
	s_or_b32 exec_lo, exec_lo, s27
.LBB358_849:                            ;   in Loop: Header=BB358_13 Depth=1
	s_or_b32 exec_lo, exec_lo, s26
.LBB358_850:                            ;   in Loop: Header=BB358_13 Depth=1
	s_or_b32 exec_lo, exec_lo, s8
	buffer_load_dword v0, off, s[0:3], s32 offset:200 ; 4-byte Folded Reload
	v_add_co_u32 v20, s7, 0xd00, v80
	v_add_co_ci_u32_e64 v26, null, 0, v81, s7
	v_mov_b32_e32 v105, 0
	v_mov_b32_e32 v104, 0
	s_waitcnt vmcnt(0)
	v_add_co_u32 v27, s7, v20, v0
	v_add_co_ci_u32_e64 v28, null, 0, v26, s7
	flat_load_dword v27, v[27:28]
	s_waitcnt vmcnt(0) lgkmcnt(0)
	v_cmp_ne_u16_sdwa s7, v27, v29 src0_sel:BYTE_0 src1_sel:DWORD
	s_and_saveexec_b32 s8, s7
	s_cbranch_execz .LBB358_858
; %bb.851:                              ;   in Loop: Header=BB358_13 Depth=1
	v_cmp_ne_u16_sdwa s7, v27, v42 src0_sel:BYTE_0 src1_sel:DWORD
	v_bfrev_b32_e32 v104, 1
	s_and_saveexec_b32 s26, s7
	s_cbranch_execz .LBB358_857
; %bb.852:                              ;   in Loop: Header=BB358_13 Depth=1
	v_and_b32_e32 v86, 0x7f, v27
	v_mov_b32_e32 v104, 0x7f800001
	s_mov_b32 s27, exec_lo
	v_cmpx_ne_u32_e32 0x7f, v86
	s_cbranch_execz .LBB358_856
; %bb.853:                              ;   in Loop: Header=BB358_13 Depth=1
	v_and_b32_e32 v28, 7, v27
	v_mov_b32_e32 v83, v29
	v_lshrrev_b32_e32 v83, 3, v86
	s_mov_b32 s28, exec_lo
	v_mov_b32_e32 v82, v28
	v_cmpx_gt_u32_e32 8, v86
; %bb.854:                              ;   in Loop: Header=BB358_13 Depth=1
	v_ffbh_u32_e32 v82, v28
	v_min_u32_e32 v86, 32, v82
	v_subrev_nc_u32_e32 v82, 28, v86
	v_lshlrev_b64 v[82:83], v82, v[28:29]
	v_sub_nc_u32_e32 v83, 29, v86
	v_and_b32_e32 v82, 7, v82
; %bb.855:                              ;   in Loop: Header=BB358_13 Depth=1
	s_or_b32 exec_lo, exec_lo, s28
	v_lshlrev_b32_e32 v28, 24, v27
	v_lshlrev_b32_e32 v82, 20, v82
	v_lshl_add_u32 v83, v83, 23, 0x3c000000
	v_and_b32_e32 v28, 0x80000000, v28
	v_or3_b32 v104, v82, v28, v83
.LBB358_856:                            ;   in Loop: Header=BB358_13 Depth=1
	s_or_b32 exec_lo, exec_lo, s27
.LBB358_857:                            ;   in Loop: Header=BB358_13 Depth=1
	s_or_b32 exec_lo, exec_lo, s26
.LBB358_858:                            ;   in Loop: Header=BB358_13 Depth=1
	s_or_b32 exec_lo, exec_lo, s8
	v_cmp_ne_u16_sdwa s7, v27, v29 src0_sel:BYTE_1 src1_sel:DWORD
	s_and_saveexec_b32 s8, s7
	s_cbranch_execz .LBB358_866
; %bb.859:                              ;   in Loop: Header=BB358_13 Depth=1
	v_cmp_ne_u16_sdwa s7, v27, v42 src0_sel:BYTE_1 src1_sel:DWORD
	v_bfrev_b32_e32 v105, 1
	s_and_saveexec_b32 s26, s7
	s_cbranch_execz .LBB358_865
; %bb.860:                              ;   in Loop: Header=BB358_13 Depth=1
	v_mov_b32_e32 v0, 0xffff
	v_mov_b32_e32 v105, 0x7f800001
	s_mov_b32 s27, exec_lo
	v_and_b32_sdwa v28, v0, v27 dst_sel:DWORD dst_unused:UNUSED_PAD src0_sel:DWORD src1_sel:BYTE_1
	v_and_b32_e32 v86, 0x7f, v28
	v_cmpx_ne_u32_e32 0x7f, v86
	s_cbranch_execz .LBB358_864
; %bb.861:                              ;   in Loop: Header=BB358_13 Depth=1
	v_and_b32_e32 v28, 7, v28
	v_mov_b32_e32 v83, v29
	v_lshrrev_b32_e32 v83, 3, v86
	s_mov_b32 s28, exec_lo
	v_mov_b32_e32 v82, v28
	v_cmpx_gt_u32_e32 8, v86
; %bb.862:                              ;   in Loop: Header=BB358_13 Depth=1
	v_ffbh_u32_e32 v82, v28
	v_min_u32_e32 v86, 32, v82
	v_subrev_nc_u32_e32 v82, 28, v86
	v_lshlrev_b64 v[82:83], v82, v[28:29]
	v_sub_nc_u32_e32 v83, 29, v86
	v_and_b32_e32 v82, 7, v82
; %bb.863:                              ;   in Loop: Header=BB358_13 Depth=1
	s_or_b32 exec_lo, exec_lo, s28
	v_lshlrev_b32_e32 v28, 16, v27
	v_lshlrev_b32_e32 v82, 20, v82
	v_lshl_add_u32 v83, v83, 23, 0x3c000000
	v_and_b32_e32 v28, 0x80000000, v28
	v_or3_b32 v105, v82, v28, v83
.LBB358_864:                            ;   in Loop: Header=BB358_13 Depth=1
	s_or_b32 exec_lo, exec_lo, s27
.LBB358_865:                            ;   in Loop: Header=BB358_13 Depth=1
	s_or_b32 exec_lo, exec_lo, s26
.LBB358_866:                            ;   in Loop: Header=BB358_13 Depth=1
	s_or_b32 exec_lo, exec_lo, s8
	v_and_b32_sdwa v28, v27, v56 dst_sel:DWORD dst_unused:UNUSED_PAD src0_sel:WORD_1 src1_sel:DWORD
	v_mov_b32_e32 v106, 0
	v_mov_b32_e32 v107, 0
	s_mov_b32 s8, exec_lo
	v_cmpx_ne_u16_e32 0, v28
	s_cbranch_execz .LBB358_874
; %bb.867:                              ;   in Loop: Header=BB358_13 Depth=1
	v_bfrev_b32_e32 v107, 1
	s_mov_b32 s26, exec_lo
	v_cmpx_ne_u16_e32 0x80, v28
	s_cbranch_execz .LBB358_873
; %bb.868:                              ;   in Loop: Header=BB358_13 Depth=1
	v_bfe_u32 v86, v27, 16, 7
	v_mov_b32_e32 v107, 0x7f800001
	s_mov_b32 s27, exec_lo
	v_cmpx_ne_u32_e32 0x7f, v86
	s_cbranch_execz .LBB358_872
; %bb.869:                              ;   in Loop: Header=BB358_13 Depth=1
	v_mov_b32_e32 v0, 7
	s_mov_b32 s28, exec_lo
	v_and_b32_sdwa v28, v27, v0 dst_sel:DWORD dst_unused:UNUSED_PAD src0_sel:WORD_1 src1_sel:DWORD
	v_mov_b32_e32 v83, v29
	v_lshrrev_b32_e32 v83, 3, v86
	v_mov_b32_e32 v82, v28
	v_cmpx_gt_u32_e32 8, v86
; %bb.870:                              ;   in Loop: Header=BB358_13 Depth=1
	v_ffbh_u32_e32 v82, v28
	v_min_u32_e32 v86, 32, v82
	v_subrev_nc_u32_e32 v82, 28, v86
	v_lshlrev_b64 v[82:83], v82, v[28:29]
	v_sub_nc_u32_e32 v83, 29, v86
	v_and_b32_e32 v82, 7, v82
; %bb.871:                              ;   in Loop: Header=BB358_13 Depth=1
	s_or_b32 exec_lo, exec_lo, s28
	v_mov_b32_e32 v0, 24
	v_lshlrev_b32_e32 v82, 20, v82
	v_lshl_add_u32 v83, v83, 23, 0x3c000000
	v_lshlrev_b32_sdwa v28, v0, v27 dst_sel:DWORD dst_unused:UNUSED_PAD src0_sel:DWORD src1_sel:WORD_1
	v_and_b32_e32 v28, 0x80000000, v28
	v_or3_b32 v107, v82, v28, v83
.LBB358_872:                            ;   in Loop: Header=BB358_13 Depth=1
	s_or_b32 exec_lo, exec_lo, s27
.LBB358_873:                            ;   in Loop: Header=BB358_13 Depth=1
	s_or_b32 exec_lo, exec_lo, s26
.LBB358_874:                            ;   in Loop: Header=BB358_13 Depth=1
	s_or_b32 exec_lo, exec_lo, s8
	s_mov_b32 s8, exec_lo
	v_cmpx_lt_u32_e32 0xffffff, v27
	s_cbranch_execz .LBB358_882
; %bb.875:                              ;   in Loop: Header=BB358_13 Depth=1
	v_cmp_ne_u32_sdwa s7, v27, v42 src0_sel:BYTE_3 src1_sel:DWORD
	v_bfrev_b32_e32 v106, 1
	s_and_saveexec_b32 s26, s7
	s_cbranch_execz .LBB358_881
; %bb.876:                              ;   in Loop: Header=BB358_13 Depth=1
	v_bfe_u32 v86, v27, 24, 7
	v_mov_b32_e32 v106, 0x7f800001
	s_mov_b32 s27, exec_lo
	v_cmpx_ne_u32_e32 0x7f, v86
	s_cbranch_execz .LBB358_880
; %bb.877:                              ;   in Loop: Header=BB358_13 Depth=1
	v_mov_b32_e32 v0, 7
	s_mov_b32 s28, exec_lo
	v_and_b32_sdwa v28, v27, v0 dst_sel:DWORD dst_unused:UNUSED_PAD src0_sel:BYTE_3 src1_sel:DWORD
	v_mov_b32_e32 v83, v29
	v_lshrrev_b32_e32 v83, 3, v86
	v_mov_b32_e32 v82, v28
	v_cmpx_gt_u32_e32 8, v86
; %bb.878:                              ;   in Loop: Header=BB358_13 Depth=1
	v_ffbh_u32_e32 v82, v28
	v_min_u32_e32 v86, 32, v82
	v_subrev_nc_u32_e32 v82, 28, v86
	v_lshlrev_b64 v[82:83], v82, v[28:29]
	v_sub_nc_u32_e32 v83, 29, v86
	v_and_b32_e32 v82, 7, v82
; %bb.879:                              ;   in Loop: Header=BB358_13 Depth=1
	s_or_b32 exec_lo, exec_lo, s28
	v_mov_b32_e32 v0, 24
	v_lshlrev_b32_e32 v28, 20, v82
	v_lshl_add_u32 v82, v83, 23, 0x3c000000
	v_lshlrev_b32_sdwa v27, v0, v27 dst_sel:DWORD dst_unused:UNUSED_PAD src0_sel:DWORD src1_sel:BYTE_3
	v_and_b32_e32 v27, 0x80000000, v27
	v_or3_b32 v106, v28, v27, v82
.LBB358_880:                            ;   in Loop: Header=BB358_13 Depth=1
	s_or_b32 exec_lo, exec_lo, s27
.LBB358_881:                            ;   in Loop: Header=BB358_13 Depth=1
	s_or_b32 exec_lo, exec_lo, s26
.LBB358_882:                            ;   in Loop: Header=BB358_13 Depth=1
	s_or_b32 exec_lo, exec_lo, s8
	buffer_load_dword v0, off, s[0:3], s32 offset:204 ; 4-byte Folded Reload
	v_mov_b32_e32 v109, 0
	v_mov_b32_e32 v108, 0
	s_waitcnt vmcnt(0)
	v_add_co_u32 v27, s7, v20, v0
	v_add_co_ci_u32_e64 v28, null, 0, v26, s7
	flat_load_dword v20, v[27:28]
	s_waitcnt vmcnt(0) lgkmcnt(0)
	v_cmp_ne_u16_sdwa s7, v20, v29 src0_sel:BYTE_0 src1_sel:DWORD
	s_and_saveexec_b32 s8, s7
	s_cbranch_execz .LBB358_890
; %bb.883:                              ;   in Loop: Header=BB358_13 Depth=1
	v_cmp_ne_u16_sdwa s7, v20, v42 src0_sel:BYTE_0 src1_sel:DWORD
	v_bfrev_b32_e32 v108, 1
	s_and_saveexec_b32 s26, s7
	s_cbranch_execz .LBB358_889
; %bb.884:                              ;   in Loop: Header=BB358_13 Depth=1
	v_and_b32_e32 v27, 0x7f, v20
	v_mov_b32_e32 v108, 0x7f800001
	s_mov_b32 s27, exec_lo
	v_cmpx_ne_u32_e32 0x7f, v27
	s_cbranch_execz .LBB358_888
; %bb.885:                              ;   in Loop: Header=BB358_13 Depth=1
	v_and_b32_e32 v28, 7, v20
	v_mov_b32_e32 v83, v29
	v_lshrrev_b32_e32 v26, 3, v27
	s_mov_b32 s28, exec_lo
	v_mov_b32_e32 v82, v28
	v_cmpx_gt_u32_e32 8, v27
; %bb.886:                              ;   in Loop: Header=BB358_13 Depth=1
	v_ffbh_u32_e32 v26, v28
	v_min_u32_e32 v26, 32, v26
	v_subrev_nc_u32_e32 v27, 28, v26
	v_sub_nc_u32_e32 v26, 29, v26
	v_lshlrev_b64 v[27:28], v27, v[28:29]
	v_and_b32_e32 v82, 7, v27
; %bb.887:                              ;   in Loop: Header=BB358_13 Depth=1
	s_or_b32 exec_lo, exec_lo, s28
	v_lshlrev_b32_e32 v27, 24, v20
	v_lshlrev_b32_e32 v28, 20, v82
	v_lshl_add_u32 v26, v26, 23, 0x3c000000
	v_and_b32_e32 v27, 0x80000000, v27
	v_or3_b32 v108, v28, v27, v26
.LBB358_888:                            ;   in Loop: Header=BB358_13 Depth=1
	s_or_b32 exec_lo, exec_lo, s27
.LBB358_889:                            ;   in Loop: Header=BB358_13 Depth=1
	s_or_b32 exec_lo, exec_lo, s26
.LBB358_890:                            ;   in Loop: Header=BB358_13 Depth=1
	s_or_b32 exec_lo, exec_lo, s8
	v_cmp_ne_u16_sdwa s7, v20, v29 src0_sel:BYTE_1 src1_sel:DWORD
	s_and_saveexec_b32 s8, s7
	s_cbranch_execz .LBB358_898
; %bb.891:                              ;   in Loop: Header=BB358_13 Depth=1
	v_cmp_ne_u16_sdwa s7, v20, v42 src0_sel:BYTE_1 src1_sel:DWORD
	v_bfrev_b32_e32 v109, 1
	s_and_saveexec_b32 s26, s7
	s_cbranch_execz .LBB358_897
; %bb.892:                              ;   in Loop: Header=BB358_13 Depth=1
	v_mov_b32_e32 v0, 0xffff
	v_mov_b32_e32 v109, 0x7f800001
	s_mov_b32 s27, exec_lo
	v_and_b32_sdwa v26, v0, v20 dst_sel:DWORD dst_unused:UNUSED_PAD src0_sel:DWORD src1_sel:BYTE_1
	v_and_b32_e32 v27, 0x7f, v26
	v_cmpx_ne_u32_e32 0x7f, v27
	s_cbranch_execz .LBB358_896
; %bb.893:                              ;   in Loop: Header=BB358_13 Depth=1
	v_and_b32_e32 v28, 7, v26
	v_mov_b32_e32 v83, v29
	v_lshrrev_b32_e32 v26, 3, v27
	s_mov_b32 s28, exec_lo
	v_mov_b32_e32 v82, v28
	v_cmpx_gt_u32_e32 8, v27
; %bb.894:                              ;   in Loop: Header=BB358_13 Depth=1
	v_ffbh_u32_e32 v26, v28
	v_min_u32_e32 v26, 32, v26
	v_subrev_nc_u32_e32 v27, 28, v26
	v_sub_nc_u32_e32 v26, 29, v26
	v_lshlrev_b64 v[27:28], v27, v[28:29]
	v_and_b32_e32 v82, 7, v27
; %bb.895:                              ;   in Loop: Header=BB358_13 Depth=1
	s_or_b32 exec_lo, exec_lo, s28
	v_lshlrev_b32_e32 v27, 16, v20
	v_lshlrev_b32_e32 v28, 20, v82
	v_lshl_add_u32 v26, v26, 23, 0x3c000000
	v_and_b32_e32 v27, 0x80000000, v27
	v_or3_b32 v109, v28, v27, v26
.LBB358_896:                            ;   in Loop: Header=BB358_13 Depth=1
	s_or_b32 exec_lo, exec_lo, s27
.LBB358_897:                            ;   in Loop: Header=BB358_13 Depth=1
	s_or_b32 exec_lo, exec_lo, s26
.LBB358_898:                            ;   in Loop: Header=BB358_13 Depth=1
	s_or_b32 exec_lo, exec_lo, s8
	v_and_b32_sdwa v26, v20, v56 dst_sel:DWORD dst_unused:UNUSED_PAD src0_sel:WORD_1 src1_sel:DWORD
	v_mov_b32_e32 v110, 0
	v_mov_b32_e32 v111, 0
	s_mov_b32 s8, exec_lo
	v_cmpx_ne_u16_e32 0, v26
	s_cbranch_execz .LBB358_906
; %bb.899:                              ;   in Loop: Header=BB358_13 Depth=1
	v_bfrev_b32_e32 v111, 1
	s_mov_b32 s26, exec_lo
	v_cmpx_ne_u16_e32 0x80, v26
	s_cbranch_execz .LBB358_905
; %bb.900:                              ;   in Loop: Header=BB358_13 Depth=1
	v_bfe_u32 v27, v20, 16, 7
	v_mov_b32_e32 v111, 0x7f800001
	s_mov_b32 s27, exec_lo
	v_cmpx_ne_u32_e32 0x7f, v27
	s_cbranch_execz .LBB358_904
; %bb.901:                              ;   in Loop: Header=BB358_13 Depth=1
	v_mov_b32_e32 v0, 7
	v_lshrrev_b32_e32 v26, 3, v27
	s_mov_b32 s28, exec_lo
	v_and_b32_sdwa v28, v20, v0 dst_sel:DWORD dst_unused:UNUSED_PAD src0_sel:WORD_1 src1_sel:DWORD
	v_mov_b32_e32 v83, v29
	v_mov_b32_e32 v82, v28
	v_cmpx_gt_u32_e32 8, v27
; %bb.902:                              ;   in Loop: Header=BB358_13 Depth=1
	v_ffbh_u32_e32 v26, v28
	v_min_u32_e32 v26, 32, v26
	v_subrev_nc_u32_e32 v27, 28, v26
	v_sub_nc_u32_e32 v26, 29, v26
	v_lshlrev_b64 v[27:28], v27, v[28:29]
	v_and_b32_e32 v82, 7, v27
; %bb.903:                              ;   in Loop: Header=BB358_13 Depth=1
	s_or_b32 exec_lo, exec_lo, s28
	v_mov_b32_e32 v0, 24
	v_lshlrev_b32_e32 v28, 20, v82
	v_lshl_add_u32 v26, v26, 23, 0x3c000000
	v_lshlrev_b32_sdwa v27, v0, v20 dst_sel:DWORD dst_unused:UNUSED_PAD src0_sel:DWORD src1_sel:WORD_1
	v_and_b32_e32 v27, 0x80000000, v27
	v_or3_b32 v111, v28, v27, v26
.LBB358_904:                            ;   in Loop: Header=BB358_13 Depth=1
	s_or_b32 exec_lo, exec_lo, s27
.LBB358_905:                            ;   in Loop: Header=BB358_13 Depth=1
	s_or_b32 exec_lo, exec_lo, s26
.LBB358_906:                            ;   in Loop: Header=BB358_13 Depth=1
	s_or_b32 exec_lo, exec_lo, s8
	s_mov_b32 s8, exec_lo
	v_cmpx_lt_u32_e32 0xffffff, v20
	s_cbranch_execz .LBB358_914
; %bb.907:                              ;   in Loop: Header=BB358_13 Depth=1
	v_cmp_ne_u32_sdwa s7, v20, v42 src0_sel:BYTE_3 src1_sel:DWORD
	v_bfrev_b32_e32 v110, 1
	s_and_saveexec_b32 s26, s7
	s_cbranch_execz .LBB358_913
; %bb.908:                              ;   in Loop: Header=BB358_13 Depth=1
	v_bfe_u32 v27, v20, 24, 7
	v_mov_b32_e32 v110, 0x7f800001
	s_mov_b32 s27, exec_lo
	v_cmpx_ne_u32_e32 0x7f, v27
	s_cbranch_execz .LBB358_912
; %bb.909:                              ;   in Loop: Header=BB358_13 Depth=1
	v_mov_b32_e32 v0, 7
	v_lshrrev_b32_e32 v26, 3, v27
	s_mov_b32 s28, exec_lo
	v_and_b32_sdwa v28, v20, v0 dst_sel:DWORD dst_unused:UNUSED_PAD src0_sel:BYTE_3 src1_sel:DWORD
	v_mov_b32_e32 v83, v29
	v_mov_b32_e32 v82, v28
	v_cmpx_gt_u32_e32 8, v27
; %bb.910:                              ;   in Loop: Header=BB358_13 Depth=1
	v_ffbh_u32_e32 v26, v28
	v_min_u32_e32 v26, 32, v26
	v_subrev_nc_u32_e32 v27, 28, v26
	v_sub_nc_u32_e32 v26, 29, v26
	v_lshlrev_b64 v[27:28], v27, v[28:29]
	v_and_b32_e32 v82, 7, v27
; %bb.911:                              ;   in Loop: Header=BB358_13 Depth=1
	s_or_b32 exec_lo, exec_lo, s28
	v_mov_b32_e32 v0, 24
	v_lshlrev_b32_e32 v27, 20, v82
	v_lshl_add_u32 v26, v26, 23, 0x3c000000
	v_lshlrev_b32_sdwa v20, v0, v20 dst_sel:DWORD dst_unused:UNUSED_PAD src0_sel:DWORD src1_sel:BYTE_3
	v_and_b32_e32 v20, 0x80000000, v20
	v_or3_b32 v110, v27, v20, v26
.LBB358_912:                            ;   in Loop: Header=BB358_13 Depth=1
	s_or_b32 exec_lo, exec_lo, s27
.LBB358_913:                            ;   in Loop: Header=BB358_13 Depth=1
	s_or_b32 exec_lo, exec_lo, s26
.LBB358_914:                            ;   in Loop: Header=BB358_13 Depth=1
	s_or_b32 exec_lo, exec_lo, s8
	buffer_load_dword v0, off, s[0:3], s32 offset:200 ; 4-byte Folded Reload
	v_add_co_u32 v20, s7, 0xe00, v80
	v_add_co_ci_u32_e64 v26, null, 0, v81, s7
	v_mov_b32_e32 v121, 0
	v_mov_b32_e32 v120, 0
	s_waitcnt vmcnt(0)
	v_add_co_u32 v27, s7, v20, v0
	v_add_co_ci_u32_e64 v28, null, 0, v26, s7
	flat_load_dword v27, v[27:28]
	s_waitcnt vmcnt(0) lgkmcnt(0)
	v_cmp_ne_u16_sdwa s7, v27, v29 src0_sel:BYTE_0 src1_sel:DWORD
	s_and_saveexec_b32 s8, s7
	s_cbranch_execz .LBB358_922
; %bb.915:                              ;   in Loop: Header=BB358_13 Depth=1
	v_cmp_ne_u16_sdwa s7, v27, v42 src0_sel:BYTE_0 src1_sel:DWORD
	v_bfrev_b32_e32 v120, 1
	s_and_saveexec_b32 s26, s7
	s_cbranch_execz .LBB358_921
; %bb.916:                              ;   in Loop: Header=BB358_13 Depth=1
	v_and_b32_e32 v86, 0x7f, v27
	v_mov_b32_e32 v120, 0x7f800001
	s_mov_b32 s27, exec_lo
	v_cmpx_ne_u32_e32 0x7f, v86
	s_cbranch_execz .LBB358_920
; %bb.917:                              ;   in Loop: Header=BB358_13 Depth=1
	v_and_b32_e32 v28, 7, v27
	v_mov_b32_e32 v83, v29
	v_lshrrev_b32_e32 v83, 3, v86
	s_mov_b32 s28, exec_lo
	v_mov_b32_e32 v82, v28
	v_cmpx_gt_u32_e32 8, v86
; %bb.918:                              ;   in Loop: Header=BB358_13 Depth=1
	v_ffbh_u32_e32 v82, v28
	v_min_u32_e32 v86, 32, v82
	v_subrev_nc_u32_e32 v82, 28, v86
	v_lshlrev_b64 v[82:83], v82, v[28:29]
	v_sub_nc_u32_e32 v83, 29, v86
	v_and_b32_e32 v82, 7, v82
; %bb.919:                              ;   in Loop: Header=BB358_13 Depth=1
	s_or_b32 exec_lo, exec_lo, s28
	v_lshlrev_b32_e32 v28, 24, v27
	v_lshlrev_b32_e32 v82, 20, v82
	v_lshl_add_u32 v83, v83, 23, 0x3c000000
	v_and_b32_e32 v28, 0x80000000, v28
	v_or3_b32 v120, v82, v28, v83
.LBB358_920:                            ;   in Loop: Header=BB358_13 Depth=1
	s_or_b32 exec_lo, exec_lo, s27
.LBB358_921:                            ;   in Loop: Header=BB358_13 Depth=1
	s_or_b32 exec_lo, exec_lo, s26
.LBB358_922:                            ;   in Loop: Header=BB358_13 Depth=1
	s_or_b32 exec_lo, exec_lo, s8
	v_cmp_ne_u16_sdwa s7, v27, v29 src0_sel:BYTE_1 src1_sel:DWORD
	s_and_saveexec_b32 s8, s7
	s_cbranch_execz .LBB358_930
; %bb.923:                              ;   in Loop: Header=BB358_13 Depth=1
	v_cmp_ne_u16_sdwa s7, v27, v42 src0_sel:BYTE_1 src1_sel:DWORD
	v_bfrev_b32_e32 v121, 1
	s_and_saveexec_b32 s26, s7
	s_cbranch_execz .LBB358_929
; %bb.924:                              ;   in Loop: Header=BB358_13 Depth=1
	v_mov_b32_e32 v0, 0xffff
	v_mov_b32_e32 v121, 0x7f800001
	s_mov_b32 s27, exec_lo
	v_and_b32_sdwa v28, v0, v27 dst_sel:DWORD dst_unused:UNUSED_PAD src0_sel:DWORD src1_sel:BYTE_1
	v_and_b32_e32 v86, 0x7f, v28
	v_cmpx_ne_u32_e32 0x7f, v86
	s_cbranch_execz .LBB358_928
; %bb.925:                              ;   in Loop: Header=BB358_13 Depth=1
	v_and_b32_e32 v28, 7, v28
	v_mov_b32_e32 v83, v29
	v_lshrrev_b32_e32 v83, 3, v86
	s_mov_b32 s28, exec_lo
	v_mov_b32_e32 v82, v28
	v_cmpx_gt_u32_e32 8, v86
; %bb.926:                              ;   in Loop: Header=BB358_13 Depth=1
	v_ffbh_u32_e32 v82, v28
	v_min_u32_e32 v86, 32, v82
	v_subrev_nc_u32_e32 v82, 28, v86
	v_lshlrev_b64 v[82:83], v82, v[28:29]
	v_sub_nc_u32_e32 v83, 29, v86
	v_and_b32_e32 v82, 7, v82
; %bb.927:                              ;   in Loop: Header=BB358_13 Depth=1
	s_or_b32 exec_lo, exec_lo, s28
	v_lshlrev_b32_e32 v28, 16, v27
	v_lshlrev_b32_e32 v82, 20, v82
	v_lshl_add_u32 v83, v83, 23, 0x3c000000
	v_and_b32_e32 v28, 0x80000000, v28
	v_or3_b32 v121, v82, v28, v83
.LBB358_928:                            ;   in Loop: Header=BB358_13 Depth=1
	s_or_b32 exec_lo, exec_lo, s27
.LBB358_929:                            ;   in Loop: Header=BB358_13 Depth=1
	s_or_b32 exec_lo, exec_lo, s26
.LBB358_930:                            ;   in Loop: Header=BB358_13 Depth=1
	s_or_b32 exec_lo, exec_lo, s8
	v_and_b32_sdwa v28, v27, v56 dst_sel:DWORD dst_unused:UNUSED_PAD src0_sel:WORD_1 src1_sel:DWORD
	v_mov_b32_e32 v122, 0
	v_mov_b32_e32 v123, 0
	s_mov_b32 s8, exec_lo
	v_cmpx_ne_u16_e32 0, v28
	s_cbranch_execz .LBB358_938
; %bb.931:                              ;   in Loop: Header=BB358_13 Depth=1
	v_bfrev_b32_e32 v123, 1
	s_mov_b32 s26, exec_lo
	v_cmpx_ne_u16_e32 0x80, v28
	s_cbranch_execz .LBB358_937
; %bb.932:                              ;   in Loop: Header=BB358_13 Depth=1
	v_bfe_u32 v86, v27, 16, 7
	v_mov_b32_e32 v123, 0x7f800001
	s_mov_b32 s27, exec_lo
	v_cmpx_ne_u32_e32 0x7f, v86
	s_cbranch_execz .LBB358_936
; %bb.933:                              ;   in Loop: Header=BB358_13 Depth=1
	v_mov_b32_e32 v0, 7
	s_mov_b32 s28, exec_lo
	v_and_b32_sdwa v28, v27, v0 dst_sel:DWORD dst_unused:UNUSED_PAD src0_sel:WORD_1 src1_sel:DWORD
	v_mov_b32_e32 v83, v29
	v_lshrrev_b32_e32 v83, 3, v86
	v_mov_b32_e32 v82, v28
	v_cmpx_gt_u32_e32 8, v86
; %bb.934:                              ;   in Loop: Header=BB358_13 Depth=1
	v_ffbh_u32_e32 v82, v28
	v_min_u32_e32 v86, 32, v82
	v_subrev_nc_u32_e32 v82, 28, v86
	v_lshlrev_b64 v[82:83], v82, v[28:29]
	v_sub_nc_u32_e32 v83, 29, v86
	v_and_b32_e32 v82, 7, v82
; %bb.935:                              ;   in Loop: Header=BB358_13 Depth=1
	s_or_b32 exec_lo, exec_lo, s28
	v_mov_b32_e32 v0, 24
	v_lshlrev_b32_e32 v82, 20, v82
	v_lshl_add_u32 v83, v83, 23, 0x3c000000
	v_lshlrev_b32_sdwa v28, v0, v27 dst_sel:DWORD dst_unused:UNUSED_PAD src0_sel:DWORD src1_sel:WORD_1
	v_and_b32_e32 v28, 0x80000000, v28
	v_or3_b32 v123, v82, v28, v83
.LBB358_936:                            ;   in Loop: Header=BB358_13 Depth=1
	s_or_b32 exec_lo, exec_lo, s27
.LBB358_937:                            ;   in Loop: Header=BB358_13 Depth=1
	s_or_b32 exec_lo, exec_lo, s26
.LBB358_938:                            ;   in Loop: Header=BB358_13 Depth=1
	s_or_b32 exec_lo, exec_lo, s8
	s_mov_b32 s8, exec_lo
	v_cmpx_lt_u32_e32 0xffffff, v27
	s_cbranch_execz .LBB358_946
; %bb.939:                              ;   in Loop: Header=BB358_13 Depth=1
	v_cmp_ne_u32_sdwa s7, v27, v42 src0_sel:BYTE_3 src1_sel:DWORD
	v_bfrev_b32_e32 v122, 1
	s_and_saveexec_b32 s26, s7
	s_cbranch_execz .LBB358_945
; %bb.940:                              ;   in Loop: Header=BB358_13 Depth=1
	v_bfe_u32 v86, v27, 24, 7
	v_mov_b32_e32 v122, 0x7f800001
	s_mov_b32 s27, exec_lo
	v_cmpx_ne_u32_e32 0x7f, v86
	s_cbranch_execz .LBB358_944
; %bb.941:                              ;   in Loop: Header=BB358_13 Depth=1
	v_mov_b32_e32 v0, 7
	s_mov_b32 s28, exec_lo
	v_and_b32_sdwa v28, v27, v0 dst_sel:DWORD dst_unused:UNUSED_PAD src0_sel:BYTE_3 src1_sel:DWORD
	v_mov_b32_e32 v83, v29
	v_lshrrev_b32_e32 v83, 3, v86
	v_mov_b32_e32 v82, v28
	v_cmpx_gt_u32_e32 8, v86
; %bb.942:                              ;   in Loop: Header=BB358_13 Depth=1
	v_ffbh_u32_e32 v82, v28
	v_min_u32_e32 v86, 32, v82
	v_subrev_nc_u32_e32 v82, 28, v86
	v_lshlrev_b64 v[82:83], v82, v[28:29]
	v_sub_nc_u32_e32 v83, 29, v86
	v_and_b32_e32 v82, 7, v82
; %bb.943:                              ;   in Loop: Header=BB358_13 Depth=1
	s_or_b32 exec_lo, exec_lo, s28
	v_mov_b32_e32 v0, 24
	v_lshlrev_b32_e32 v28, 20, v82
	v_lshl_add_u32 v82, v83, 23, 0x3c000000
	v_lshlrev_b32_sdwa v27, v0, v27 dst_sel:DWORD dst_unused:UNUSED_PAD src0_sel:DWORD src1_sel:BYTE_3
	v_and_b32_e32 v27, 0x80000000, v27
	v_or3_b32 v122, v28, v27, v82
.LBB358_944:                            ;   in Loop: Header=BB358_13 Depth=1
	s_or_b32 exec_lo, exec_lo, s27
.LBB358_945:                            ;   in Loop: Header=BB358_13 Depth=1
	s_or_b32 exec_lo, exec_lo, s26
.LBB358_946:                            ;   in Loop: Header=BB358_13 Depth=1
	s_or_b32 exec_lo, exec_lo, s8
	buffer_load_dword v0, off, s[0:3], s32 offset:204 ; 4-byte Folded Reload
	v_mov_b32_e32 v125, 0
	v_mov_b32_e32 v124, 0
	s_waitcnt vmcnt(0)
	v_add_co_u32 v27, s7, v20, v0
	v_add_co_ci_u32_e64 v28, null, 0, v26, s7
	flat_load_dword v20, v[27:28]
	s_waitcnt vmcnt(0) lgkmcnt(0)
	v_cmp_ne_u16_sdwa s7, v20, v29 src0_sel:BYTE_0 src1_sel:DWORD
	s_and_saveexec_b32 s8, s7
	s_cbranch_execz .LBB358_954
; %bb.947:                              ;   in Loop: Header=BB358_13 Depth=1
	v_cmp_ne_u16_sdwa s7, v20, v42 src0_sel:BYTE_0 src1_sel:DWORD
	v_bfrev_b32_e32 v124, 1
	s_and_saveexec_b32 s26, s7
	s_cbranch_execz .LBB358_953
; %bb.948:                              ;   in Loop: Header=BB358_13 Depth=1
	v_and_b32_e32 v27, 0x7f, v20
	v_mov_b32_e32 v124, 0x7f800001
	s_mov_b32 s27, exec_lo
	v_cmpx_ne_u32_e32 0x7f, v27
	s_cbranch_execz .LBB358_952
; %bb.949:                              ;   in Loop: Header=BB358_13 Depth=1
	v_and_b32_e32 v28, 7, v20
	v_mov_b32_e32 v83, v29
	v_lshrrev_b32_e32 v26, 3, v27
	s_mov_b32 s28, exec_lo
	v_mov_b32_e32 v82, v28
	v_cmpx_gt_u32_e32 8, v27
; %bb.950:                              ;   in Loop: Header=BB358_13 Depth=1
	v_ffbh_u32_e32 v26, v28
	v_min_u32_e32 v26, 32, v26
	v_subrev_nc_u32_e32 v27, 28, v26
	v_sub_nc_u32_e32 v26, 29, v26
	v_lshlrev_b64 v[27:28], v27, v[28:29]
	v_and_b32_e32 v82, 7, v27
; %bb.951:                              ;   in Loop: Header=BB358_13 Depth=1
	s_or_b32 exec_lo, exec_lo, s28
	v_lshlrev_b32_e32 v27, 24, v20
	v_lshlrev_b32_e32 v28, 20, v82
	v_lshl_add_u32 v26, v26, 23, 0x3c000000
	v_and_b32_e32 v27, 0x80000000, v27
	v_or3_b32 v124, v28, v27, v26
.LBB358_952:                            ;   in Loop: Header=BB358_13 Depth=1
	s_or_b32 exec_lo, exec_lo, s27
.LBB358_953:                            ;   in Loop: Header=BB358_13 Depth=1
	s_or_b32 exec_lo, exec_lo, s26
.LBB358_954:                            ;   in Loop: Header=BB358_13 Depth=1
	s_or_b32 exec_lo, exec_lo, s8
	v_cmp_ne_u16_sdwa s7, v20, v29 src0_sel:BYTE_1 src1_sel:DWORD
	s_and_saveexec_b32 s8, s7
	s_cbranch_execz .LBB358_962
; %bb.955:                              ;   in Loop: Header=BB358_13 Depth=1
	v_cmp_ne_u16_sdwa s7, v20, v42 src0_sel:BYTE_1 src1_sel:DWORD
	v_bfrev_b32_e32 v125, 1
	s_and_saveexec_b32 s26, s7
	s_cbranch_execz .LBB358_961
; %bb.956:                              ;   in Loop: Header=BB358_13 Depth=1
	v_mov_b32_e32 v0, 0xffff
	v_mov_b32_e32 v125, 0x7f800001
	s_mov_b32 s27, exec_lo
	v_and_b32_sdwa v26, v0, v20 dst_sel:DWORD dst_unused:UNUSED_PAD src0_sel:DWORD src1_sel:BYTE_1
	v_and_b32_e32 v27, 0x7f, v26
	v_cmpx_ne_u32_e32 0x7f, v27
	s_cbranch_execz .LBB358_960
; %bb.957:                              ;   in Loop: Header=BB358_13 Depth=1
	v_and_b32_e32 v28, 7, v26
	v_mov_b32_e32 v83, v29
	v_lshrrev_b32_e32 v26, 3, v27
	s_mov_b32 s28, exec_lo
	v_mov_b32_e32 v82, v28
	v_cmpx_gt_u32_e32 8, v27
; %bb.958:                              ;   in Loop: Header=BB358_13 Depth=1
	v_ffbh_u32_e32 v26, v28
	v_min_u32_e32 v26, 32, v26
	v_subrev_nc_u32_e32 v27, 28, v26
	v_sub_nc_u32_e32 v26, 29, v26
	v_lshlrev_b64 v[27:28], v27, v[28:29]
	v_and_b32_e32 v82, 7, v27
; %bb.959:                              ;   in Loop: Header=BB358_13 Depth=1
	s_or_b32 exec_lo, exec_lo, s28
	v_lshlrev_b32_e32 v27, 16, v20
	v_lshlrev_b32_e32 v28, 20, v82
	v_lshl_add_u32 v26, v26, 23, 0x3c000000
	v_and_b32_e32 v27, 0x80000000, v27
	v_or3_b32 v125, v28, v27, v26
.LBB358_960:                            ;   in Loop: Header=BB358_13 Depth=1
	s_or_b32 exec_lo, exec_lo, s27
.LBB358_961:                            ;   in Loop: Header=BB358_13 Depth=1
	s_or_b32 exec_lo, exec_lo, s26
.LBB358_962:                            ;   in Loop: Header=BB358_13 Depth=1
	s_or_b32 exec_lo, exec_lo, s8
	v_and_b32_sdwa v26, v20, v56 dst_sel:DWORD dst_unused:UNUSED_PAD src0_sel:WORD_1 src1_sel:DWORD
	v_mov_b32_e32 v126, 0
	v_mov_b32_e32 v127, 0
	s_mov_b32 s8, exec_lo
	v_cmpx_ne_u16_e32 0, v26
	s_cbranch_execz .LBB358_970
; %bb.963:                              ;   in Loop: Header=BB358_13 Depth=1
	v_bfrev_b32_e32 v127, 1
	s_mov_b32 s26, exec_lo
	v_cmpx_ne_u16_e32 0x80, v26
	s_cbranch_execz .LBB358_969
; %bb.964:                              ;   in Loop: Header=BB358_13 Depth=1
	v_bfe_u32 v27, v20, 16, 7
	v_mov_b32_e32 v127, 0x7f800001
	s_mov_b32 s27, exec_lo
	v_cmpx_ne_u32_e32 0x7f, v27
	s_cbranch_execz .LBB358_968
; %bb.965:                              ;   in Loop: Header=BB358_13 Depth=1
	v_mov_b32_e32 v0, 7
	v_lshrrev_b32_e32 v26, 3, v27
	s_mov_b32 s28, exec_lo
	v_and_b32_sdwa v28, v20, v0 dst_sel:DWORD dst_unused:UNUSED_PAD src0_sel:WORD_1 src1_sel:DWORD
	v_mov_b32_e32 v83, v29
	v_mov_b32_e32 v82, v28
	v_cmpx_gt_u32_e32 8, v27
; %bb.966:                              ;   in Loop: Header=BB358_13 Depth=1
	v_ffbh_u32_e32 v26, v28
	v_min_u32_e32 v26, 32, v26
	v_subrev_nc_u32_e32 v27, 28, v26
	v_sub_nc_u32_e32 v26, 29, v26
	v_lshlrev_b64 v[27:28], v27, v[28:29]
	v_and_b32_e32 v82, 7, v27
; %bb.967:                              ;   in Loop: Header=BB358_13 Depth=1
	s_or_b32 exec_lo, exec_lo, s28
	v_mov_b32_e32 v0, 24
	v_lshlrev_b32_e32 v28, 20, v82
	v_lshl_add_u32 v26, v26, 23, 0x3c000000
	v_lshlrev_b32_sdwa v27, v0, v20 dst_sel:DWORD dst_unused:UNUSED_PAD src0_sel:DWORD src1_sel:WORD_1
	v_and_b32_e32 v27, 0x80000000, v27
	v_or3_b32 v127, v28, v27, v26
.LBB358_968:                            ;   in Loop: Header=BB358_13 Depth=1
	s_or_b32 exec_lo, exec_lo, s27
.LBB358_969:                            ;   in Loop: Header=BB358_13 Depth=1
	s_or_b32 exec_lo, exec_lo, s26
.LBB358_970:                            ;   in Loop: Header=BB358_13 Depth=1
	s_or_b32 exec_lo, exec_lo, s8
	s_mov_b32 s8, exec_lo
	v_cmpx_lt_u32_e32 0xffffff, v20
	s_cbranch_execz .LBB358_978
; %bb.971:                              ;   in Loop: Header=BB358_13 Depth=1
	v_cmp_ne_u32_sdwa s7, v20, v42 src0_sel:BYTE_3 src1_sel:DWORD
	v_bfrev_b32_e32 v126, 1
	s_and_saveexec_b32 s26, s7
	s_cbranch_execz .LBB358_977
; %bb.972:                              ;   in Loop: Header=BB358_13 Depth=1
	v_bfe_u32 v27, v20, 24, 7
	v_mov_b32_e32 v126, 0x7f800001
	s_mov_b32 s27, exec_lo
	v_cmpx_ne_u32_e32 0x7f, v27
	s_cbranch_execz .LBB358_976
; %bb.973:                              ;   in Loop: Header=BB358_13 Depth=1
	v_mov_b32_e32 v0, 7
	v_lshrrev_b32_e32 v26, 3, v27
	s_mov_b32 s28, exec_lo
	v_and_b32_sdwa v28, v20, v0 dst_sel:DWORD dst_unused:UNUSED_PAD src0_sel:BYTE_3 src1_sel:DWORD
	v_mov_b32_e32 v83, v29
	v_mov_b32_e32 v82, v28
	v_cmpx_gt_u32_e32 8, v27
; %bb.974:                              ;   in Loop: Header=BB358_13 Depth=1
	v_ffbh_u32_e32 v26, v28
	v_min_u32_e32 v26, 32, v26
	v_subrev_nc_u32_e32 v27, 28, v26
	v_sub_nc_u32_e32 v26, 29, v26
	v_lshlrev_b64 v[27:28], v27, v[28:29]
	v_and_b32_e32 v82, 7, v27
; %bb.975:                              ;   in Loop: Header=BB358_13 Depth=1
	s_or_b32 exec_lo, exec_lo, s28
	v_mov_b32_e32 v0, 24
	v_lshlrev_b32_e32 v27, 20, v82
	v_lshl_add_u32 v26, v26, 23, 0x3c000000
	v_lshlrev_b32_sdwa v20, v0, v20 dst_sel:DWORD dst_unused:UNUSED_PAD src0_sel:DWORD src1_sel:BYTE_3
	v_and_b32_e32 v20, 0x80000000, v20
	v_or3_b32 v126, v27, v20, v26
.LBB358_976:                            ;   in Loop: Header=BB358_13 Depth=1
	s_or_b32 exec_lo, exec_lo, s27
.LBB358_977:                            ;   in Loop: Header=BB358_13 Depth=1
	s_or_b32 exec_lo, exec_lo, s26
.LBB358_978:                            ;   in Loop: Header=BB358_13 Depth=1
	s_or_b32 exec_lo, exec_lo, s8
	buffer_load_dword v0, off, s[0:3], s32 offset:200 ; 4-byte Folded Reload
	v_add_co_u32 v20, s7, 0xf00, v80
	v_add_co_ci_u32_e64 v26, null, 0, v81, s7
	v_mov_b32_e32 v112, 0
	v_mov_b32_e32 v83, 0
	s_waitcnt vmcnt(0)
	v_add_co_u32 v27, s7, v20, v0
	v_add_co_ci_u32_e64 v28, null, 0, v26, s7
	flat_load_dword v27, v[27:28]
	s_waitcnt vmcnt(0) lgkmcnt(0)
	v_cmp_ne_u16_sdwa s7, v27, v29 src0_sel:BYTE_0 src1_sel:DWORD
	s_and_saveexec_b32 s8, s7
	s_cbranch_execz .LBB358_986
; %bb.979:                              ;   in Loop: Header=BB358_13 Depth=1
	v_cmp_ne_u16_sdwa s7, v27, v42 src0_sel:BYTE_0 src1_sel:DWORD
	v_bfrev_b32_e32 v83, 1
	s_and_saveexec_b32 s26, s7
	s_cbranch_execz .LBB358_985
; %bb.980:                              ;   in Loop: Header=BB358_13 Depth=1
	v_and_b32_e32 v82, 0x7f, v27
	v_mov_b32_e32 v83, 0x7f800001
	s_mov_b32 s27, exec_lo
	v_cmpx_ne_u32_e32 0x7f, v82
	s_cbranch_execz .LBB358_984
; %bb.981:                              ;   in Loop: Header=BB358_13 Depth=1
	v_and_b32_e32 v28, 7, v27
	v_mov_b32_e32 v81, v29
	v_lshrrev_b32_e32 v81, 3, v82
	s_mov_b32 s28, exec_lo
	v_mov_b32_e32 v80, v28
	v_cmpx_gt_u32_e32 8, v82
; %bb.982:                              ;   in Loop: Header=BB358_13 Depth=1
	v_ffbh_u32_e32 v80, v28
	v_min_u32_e32 v82, 32, v80
	v_subrev_nc_u32_e32 v80, 28, v82
	v_lshlrev_b64 v[80:81], v80, v[28:29]
	v_sub_nc_u32_e32 v81, 29, v82
	v_and_b32_e32 v80, 7, v80
; %bb.983:                              ;   in Loop: Header=BB358_13 Depth=1
	s_or_b32 exec_lo, exec_lo, s28
	v_lshlrev_b32_e32 v28, 24, v27
	v_lshlrev_b32_e32 v80, 20, v80
	v_lshl_add_u32 v81, v81, 23, 0x3c000000
	v_and_b32_e32 v28, 0x80000000, v28
	v_or3_b32 v83, v80, v28, v81
.LBB358_984:                            ;   in Loop: Header=BB358_13 Depth=1
	s_or_b32 exec_lo, exec_lo, s27
.LBB358_985:                            ;   in Loop: Header=BB358_13 Depth=1
	s_or_b32 exec_lo, exec_lo, s26
.LBB358_986:                            ;   in Loop: Header=BB358_13 Depth=1
	s_or_b32 exec_lo, exec_lo, s8
	v_cmp_ne_u16_sdwa s7, v27, v29 src0_sel:BYTE_1 src1_sel:DWORD
	s_and_saveexec_b32 s8, s7
	s_cbranch_execz .LBB358_994
; %bb.987:                              ;   in Loop: Header=BB358_13 Depth=1
	v_cmp_ne_u16_sdwa s7, v27, v42 src0_sel:BYTE_1 src1_sel:DWORD
	v_bfrev_b32_e32 v112, 1
	s_and_saveexec_b32 s26, s7
	s_cbranch_execz .LBB358_993
; %bb.988:                              ;   in Loop: Header=BB358_13 Depth=1
	v_mov_b32_e32 v0, 0xffff
	v_mov_b32_e32 v112, 0x7f800001
	s_mov_b32 s27, exec_lo
	v_and_b32_sdwa v28, v0, v27 dst_sel:DWORD dst_unused:UNUSED_PAD src0_sel:DWORD src1_sel:BYTE_1
	v_and_b32_e32 v82, 0x7f, v28
	v_cmpx_ne_u32_e32 0x7f, v82
	s_cbranch_execz .LBB358_992
; %bb.989:                              ;   in Loop: Header=BB358_13 Depth=1
	v_and_b32_e32 v28, 7, v28
	v_mov_b32_e32 v81, v29
	v_lshrrev_b32_e32 v81, 3, v82
	s_mov_b32 s28, exec_lo
	v_mov_b32_e32 v80, v28
	v_cmpx_gt_u32_e32 8, v82
; %bb.990:                              ;   in Loop: Header=BB358_13 Depth=1
	v_ffbh_u32_e32 v80, v28
	v_min_u32_e32 v82, 32, v80
	v_subrev_nc_u32_e32 v80, 28, v82
	v_lshlrev_b64 v[80:81], v80, v[28:29]
	v_sub_nc_u32_e32 v81, 29, v82
	v_and_b32_e32 v80, 7, v80
; %bb.991:                              ;   in Loop: Header=BB358_13 Depth=1
	s_or_b32 exec_lo, exec_lo, s28
	v_lshlrev_b32_e32 v28, 16, v27
	v_lshlrev_b32_e32 v80, 20, v80
	v_lshl_add_u32 v81, v81, 23, 0x3c000000
	v_and_b32_e32 v28, 0x80000000, v28
	v_or3_b32 v112, v80, v28, v81
.LBB358_992:                            ;   in Loop: Header=BB358_13 Depth=1
	s_or_b32 exec_lo, exec_lo, s27
.LBB358_993:                            ;   in Loop: Header=BB358_13 Depth=1
	s_or_b32 exec_lo, exec_lo, s26
.LBB358_994:                            ;   in Loop: Header=BB358_13 Depth=1
	s_or_b32 exec_lo, exec_lo, s8
	v_and_b32_sdwa v28, v27, v56 dst_sel:DWORD dst_unused:UNUSED_PAD src0_sel:WORD_1 src1_sel:DWORD
	v_mov_b32_e32 v103, 0
	v_mov_b32_e32 v113, 0
	s_mov_b32 s8, exec_lo
	v_cmpx_ne_u16_e32 0, v28
	s_cbranch_execz .LBB358_1002
; %bb.995:                              ;   in Loop: Header=BB358_13 Depth=1
	v_bfrev_b32_e32 v113, 1
	s_mov_b32 s26, exec_lo
	v_cmpx_ne_u16_e32 0x80, v28
	s_cbranch_execz .LBB358_1001
; %bb.996:                              ;   in Loop: Header=BB358_13 Depth=1
	v_bfe_u32 v82, v27, 16, 7
	v_mov_b32_e32 v113, 0x7f800001
	s_mov_b32 s27, exec_lo
	v_cmpx_ne_u32_e32 0x7f, v82
	s_cbranch_execz .LBB358_1000
; %bb.997:                              ;   in Loop: Header=BB358_13 Depth=1
	v_mov_b32_e32 v0, 7
	s_mov_b32 s28, exec_lo
	v_and_b32_sdwa v28, v27, v0 dst_sel:DWORD dst_unused:UNUSED_PAD src0_sel:WORD_1 src1_sel:DWORD
	v_mov_b32_e32 v81, v29
	v_lshrrev_b32_e32 v81, 3, v82
	v_mov_b32_e32 v80, v28
	v_cmpx_gt_u32_e32 8, v82
; %bb.998:                              ;   in Loop: Header=BB358_13 Depth=1
	v_ffbh_u32_e32 v80, v28
	v_min_u32_e32 v82, 32, v80
	v_subrev_nc_u32_e32 v80, 28, v82
	v_lshlrev_b64 v[80:81], v80, v[28:29]
	v_sub_nc_u32_e32 v81, 29, v82
	v_and_b32_e32 v80, 7, v80
; %bb.999:                              ;   in Loop: Header=BB358_13 Depth=1
	s_or_b32 exec_lo, exec_lo, s28
	v_mov_b32_e32 v0, 24
	v_lshlrev_b32_e32 v80, 20, v80
	v_lshl_add_u32 v81, v81, 23, 0x3c000000
	v_lshlrev_b32_sdwa v28, v0, v27 dst_sel:DWORD dst_unused:UNUSED_PAD src0_sel:DWORD src1_sel:WORD_1
	v_and_b32_e32 v28, 0x80000000, v28
	v_or3_b32 v113, v80, v28, v81
.LBB358_1000:                           ;   in Loop: Header=BB358_13 Depth=1
	s_or_b32 exec_lo, exec_lo, s27
.LBB358_1001:                           ;   in Loop: Header=BB358_13 Depth=1
	s_or_b32 exec_lo, exec_lo, s26
.LBB358_1002:                           ;   in Loop: Header=BB358_13 Depth=1
	s_or_b32 exec_lo, exec_lo, s8
	s_mov_b32 s8, exec_lo
	v_cmpx_lt_u32_e32 0xffffff, v27
	s_cbranch_execz .LBB358_1010
; %bb.1003:                             ;   in Loop: Header=BB358_13 Depth=1
	v_cmp_ne_u32_sdwa s7, v27, v42 src0_sel:BYTE_3 src1_sel:DWORD
	v_bfrev_b32_e32 v103, 1
	s_and_saveexec_b32 s26, s7
	s_cbranch_execz .LBB358_1009
; %bb.1004:                             ;   in Loop: Header=BB358_13 Depth=1
	v_bfe_u32 v82, v27, 24, 7
	v_mov_b32_e32 v103, 0x7f800001
	s_mov_b32 s27, exec_lo
	v_cmpx_ne_u32_e32 0x7f, v82
	s_cbranch_execz .LBB358_1008
; %bb.1005:                             ;   in Loop: Header=BB358_13 Depth=1
	v_mov_b32_e32 v0, 7
	s_mov_b32 s28, exec_lo
	v_and_b32_sdwa v28, v27, v0 dst_sel:DWORD dst_unused:UNUSED_PAD src0_sel:BYTE_3 src1_sel:DWORD
	v_mov_b32_e32 v81, v29
	v_lshrrev_b32_e32 v81, 3, v82
	v_mov_b32_e32 v80, v28
	v_cmpx_gt_u32_e32 8, v82
; %bb.1006:                             ;   in Loop: Header=BB358_13 Depth=1
	v_ffbh_u32_e32 v80, v28
	v_min_u32_e32 v82, 32, v80
	v_subrev_nc_u32_e32 v80, 28, v82
	v_lshlrev_b64 v[80:81], v80, v[28:29]
	v_sub_nc_u32_e32 v81, 29, v82
	v_and_b32_e32 v80, 7, v80
; %bb.1007:                             ;   in Loop: Header=BB358_13 Depth=1
	s_or_b32 exec_lo, exec_lo, s28
	v_mov_b32_e32 v0, 24
	v_lshlrev_b32_e32 v28, 20, v80
	v_lshl_add_u32 v80, v81, 23, 0x3c000000
	v_lshlrev_b32_sdwa v27, v0, v27 dst_sel:DWORD dst_unused:UNUSED_PAD src0_sel:DWORD src1_sel:BYTE_3
	v_and_b32_e32 v27, 0x80000000, v27
	v_or3_b32 v103, v28, v27, v80
.LBB358_1008:                           ;   in Loop: Header=BB358_13 Depth=1
	s_or_b32 exec_lo, exec_lo, s27
.LBB358_1009:                           ;   in Loop: Header=BB358_13 Depth=1
	s_or_b32 exec_lo, exec_lo, s26
.LBB358_1010:                           ;   in Loop: Header=BB358_13 Depth=1
	s_or_b32 exec_lo, exec_lo, s8
	buffer_load_dword v0, off, s[0:3], s32 offset:204 ; 4-byte Folded Reload
	v_mov_b32_e32 v102, 0
	s_waitcnt vmcnt(0)
	v_add_co_u32 v27, s7, v20, v0
	v_add_co_ci_u32_e64 v28, null, 0, v26, s7
	v_mov_b32_e32 v20, 0
	flat_load_dword v27, v[27:28]
	s_waitcnt vmcnt(0) lgkmcnt(0)
	v_cmp_ne_u16_sdwa s7, v27, v29 src0_sel:BYTE_0 src1_sel:DWORD
	s_and_saveexec_b32 s8, s7
	s_cbranch_execz .LBB358_1018
; %bb.1011:                             ;   in Loop: Header=BB358_13 Depth=1
	v_cmp_ne_u16_sdwa s7, v27, v42 src0_sel:BYTE_0 src1_sel:DWORD
	v_bfrev_b32_e32 v20, 1
	s_and_saveexec_b32 s26, s7
	s_cbranch_execz .LBB358_1017
; %bb.1012:                             ;   in Loop: Header=BB358_13 Depth=1
	v_and_b32_e32 v26, 0x7f, v27
	v_mov_b32_e32 v20, 0x7f800001
	s_mov_b32 s27, exec_lo
	v_cmpx_ne_u32_e32 0x7f, v26
	s_cbranch_execz .LBB358_1016
; %bb.1013:                             ;   in Loop: Header=BB358_13 Depth=1
	v_and_b32_e32 v28, 7, v27
	v_mov_b32_e32 v81, v29
	v_lshrrev_b32_e32 v20, 3, v26
	s_mov_b32 s28, exec_lo
	v_mov_b32_e32 v80, v28
	v_cmpx_gt_u32_e32 8, v26
; %bb.1014:                             ;   in Loop: Header=BB358_13 Depth=1
	v_ffbh_u32_e32 v20, v28
	v_min_u32_e32 v20, 32, v20
	v_subrev_nc_u32_e32 v26, 28, v20
	v_sub_nc_u32_e32 v20, 29, v20
	v_lshlrev_b64 v[80:81], v26, v[28:29]
	v_and_b32_e32 v80, 7, v80
; %bb.1015:                             ;   in Loop: Header=BB358_13 Depth=1
	s_or_b32 exec_lo, exec_lo, s28
	v_lshlrev_b32_e32 v26, 24, v27
	v_lshlrev_b32_e32 v28, 20, v80
	v_lshl_add_u32 v20, v20, 23, 0x3c000000
	v_and_b32_e32 v26, 0x80000000, v26
	v_or3_b32 v20, v28, v26, v20
.LBB358_1016:                           ;   in Loop: Header=BB358_13 Depth=1
	s_or_b32 exec_lo, exec_lo, s27
.LBB358_1017:                           ;   in Loop: Header=BB358_13 Depth=1
	s_or_b32 exec_lo, exec_lo, s26
.LBB358_1018:                           ;   in Loop: Header=BB358_13 Depth=1
	s_or_b32 exec_lo, exec_lo, s8
	v_cmp_ne_u16_sdwa s7, v27, v29 src0_sel:BYTE_1 src1_sel:DWORD
	s_and_saveexec_b32 s8, s7
	s_cbranch_execz .LBB358_1026
; %bb.1019:                             ;   in Loop: Header=BB358_13 Depth=1
	v_cmp_ne_u16_sdwa s7, v27, v42 src0_sel:BYTE_1 src1_sel:DWORD
	v_bfrev_b32_e32 v102, 1
	s_and_saveexec_b32 s26, s7
	s_cbranch_execz .LBB358_1025
; %bb.1020:                             ;   in Loop: Header=BB358_13 Depth=1
	v_mov_b32_e32 v0, 0xffff
	v_mov_b32_e32 v102, 0x7f800001
	s_mov_b32 s27, exec_lo
	v_and_b32_sdwa v26, v0, v27 dst_sel:DWORD dst_unused:UNUSED_PAD src0_sel:DWORD src1_sel:BYTE_1
	v_and_b32_e32 v82, 0x7f, v26
	v_cmpx_ne_u32_e32 0x7f, v82
	s_cbranch_execz .LBB358_1024
; %bb.1021:                             ;   in Loop: Header=BB358_13 Depth=1
	v_and_b32_e32 v28, 7, v26
	v_mov_b32_e32 v81, v29
	v_lshrrev_b32_e32 v26, 3, v82
	s_mov_b32 s28, exec_lo
	v_mov_b32_e32 v80, v28
	v_cmpx_gt_u32_e32 8, v82
; %bb.1022:                             ;   in Loop: Header=BB358_13 Depth=1
	v_ffbh_u32_e32 v26, v28
	v_min_u32_e32 v26, 32, v26
	v_subrev_nc_u32_e32 v80, 28, v26
	v_sub_nc_u32_e32 v26, 29, v26
	v_lshlrev_b64 v[80:81], v80, v[28:29]
	v_and_b32_e32 v80, 7, v80
; %bb.1023:                             ;   in Loop: Header=BB358_13 Depth=1
	s_or_b32 exec_lo, exec_lo, s28
	v_lshlrev_b32_e32 v28, 16, v27
	v_lshlrev_b32_e32 v80, 20, v80
	v_lshl_add_u32 v26, v26, 23, 0x3c000000
	v_and_b32_e32 v28, 0x80000000, v28
	v_or3_b32 v102, v80, v28, v26
.LBB358_1024:                           ;   in Loop: Header=BB358_13 Depth=1
	s_or_b32 exec_lo, exec_lo, s27
.LBB358_1025:                           ;   in Loop: Header=BB358_13 Depth=1
	s_or_b32 exec_lo, exec_lo, s26
.LBB358_1026:                           ;   in Loop: Header=BB358_13 Depth=1
	s_or_b32 exec_lo, exec_lo, s8
	v_and_b32_sdwa v28, v27, v56 dst_sel:DWORD dst_unused:UNUSED_PAD src0_sel:WORD_1 src1_sel:DWORD
	v_mov_b32_e32 v1, 0
	v_mov_b32_e32 v0, 0
	s_mov_b32 s8, exec_lo
	v_cmpx_ne_u16_e32 0, v28
	s_cbranch_execz .LBB358_1034
; %bb.1027:                             ;   in Loop: Header=BB358_13 Depth=1
	v_bfrev_b32_e32 v0, 1
	s_mov_b32 s26, exec_lo
	v_cmpx_ne_u16_e32 0x80, v28
	s_cbranch_execz .LBB358_1033
; %bb.1028:                             ;   in Loop: Header=BB358_13 Depth=1
	v_bfe_u32 v86, v27, 16, 7
	v_mov_b32_e32 v0, 0x7f800001
	s_mov_b32 s27, exec_lo
	v_cmpx_ne_u32_e32 0x7f, v86
	s_cbranch_execz .LBB358_1032
; %bb.1029:                             ;   in Loop: Header=BB358_13 Depth=1
	v_mov_b32_e32 v0, 7
	v_lshrrev_b32_e32 v26, 3, v86
	s_mov_b32 s28, exec_lo
	v_and_b32_sdwa v28, v27, v0 dst_sel:DWORD dst_unused:UNUSED_PAD src0_sel:WORD_1 src1_sel:DWORD
	v_mov_b32_e32 v81, v29
	v_mov_b32_e32 v80, v28
	v_cmpx_gt_u32_e32 8, v86
; %bb.1030:                             ;   in Loop: Header=BB358_13 Depth=1
	v_ffbh_u32_e32 v26, v28
	v_min_u32_e32 v26, 32, v26
	v_subrev_nc_u32_e32 v80, 28, v26
	v_sub_nc_u32_e32 v26, 29, v26
	v_lshlrev_b64 v[80:81], v80, v[28:29]
	v_and_b32_e32 v80, 7, v80
; %bb.1031:                             ;   in Loop: Header=BB358_13 Depth=1
	s_or_b32 exec_lo, exec_lo, s28
	v_mov_b32_e32 v0, 24
	v_lshlrev_b32_e32 v80, 20, v80
	v_lshl_add_u32 v26, v26, 23, 0x3c000000
	v_lshlrev_b32_sdwa v28, v0, v27 dst_sel:DWORD dst_unused:UNUSED_PAD src0_sel:DWORD src1_sel:WORD_1
	v_and_b32_e32 v28, 0x80000000, v28
	v_or3_b32 v0, v80, v28, v26
.LBB358_1032:                           ;   in Loop: Header=BB358_13 Depth=1
	s_or_b32 exec_lo, exec_lo, s27
.LBB358_1033:                           ;   in Loop: Header=BB358_13 Depth=1
	s_or_b32 exec_lo, exec_lo, s26
.LBB358_1034:                           ;   in Loop: Header=BB358_13 Depth=1
	s_or_b32 exec_lo, exec_lo, s8
	v_mov_b32_e32 v26, v85
	v_mov_b32_e32 v4, v2
	;; [unrolled: 1-line block ×12, first 2 shown]
	s_mov_b32 s8, exec_lo
	buffer_store_dword v0, off, s[0:3], s32 offset:520 ; 4-byte Folded Spill
	v_cmpx_lt_u32_e32 0xffffff, v27
	s_cbranch_execz .LBB358_1042
; %bb.1035:                             ;   in Loop: Header=BB358_13 Depth=1
	v_cmp_ne_u32_sdwa s7, v27, v42 src0_sel:BYTE_3 src1_sel:DWORD
	v_bfrev_b32_e32 v1, 1
	s_and_saveexec_b32 s26, s7
	s_cbranch_execz .LBB358_1041
; %bb.1036:                             ;   in Loop: Header=BB358_13 Depth=1
	v_bfe_u32 v86, v27, 24, 7
	v_mov_b32_e32 v1, 0x7f800001
	s_mov_b32 s27, exec_lo
	v_cmpx_ne_u32_e32 0x7f, v86
	s_cbranch_execz .LBB358_1040
; %bb.1037:                             ;   in Loop: Header=BB358_13 Depth=1
	v_mov_b32_e32 v0, 7
	s_mov_b32 s28, exec_lo
	v_and_b32_sdwa v28, v27, v0 dst_sel:DWORD dst_unused:UNUSED_PAD src0_sel:BYTE_3 src1_sel:DWORD
	v_mov_b32_e32 v81, v29
	v_lshrrev_b32_e32 v81, 3, v86
	v_mov_b32_e32 v80, v28
	v_cmpx_gt_u32_e32 8, v86
; %bb.1038:                             ;   in Loop: Header=BB358_13 Depth=1
	v_ffbh_u32_e32 v80, v28
	v_min_u32_e32 v82, 32, v80
	v_subrev_nc_u32_e32 v80, 28, v82
	v_lshlrev_b64 v[80:81], v80, v[28:29]
	v_sub_nc_u32_e32 v81, 29, v82
	v_and_b32_e32 v80, 7, v80
; %bb.1039:                             ;   in Loop: Header=BB358_13 Depth=1
	s_or_b32 exec_lo, exec_lo, s28
	v_mov_b32_e32 v0, 24
	v_lshlrev_b32_e32 v28, 20, v80
	v_lshl_add_u32 v80, v81, 23, 0x3c000000
	v_lshlrev_b32_sdwa v27, v0, v27 dst_sel:DWORD dst_unused:UNUSED_PAD src0_sel:DWORD src1_sel:BYTE_3
	v_and_b32_e32 v27, 0x80000000, v27
	v_or3_b32 v1, v28, v27, v80
.LBB358_1040:                           ;   in Loop: Header=BB358_13 Depth=1
	s_or_b32 exec_lo, exec_lo, s27
.LBB358_1041:                           ;   in Loop: Header=BB358_13 Depth=1
	s_or_b32 exec_lo, exec_lo, s26
.LBB358_1042:                           ;   in Loop: Header=BB358_13 Depth=1
	s_or_b32 exec_lo, exec_lo, s8
	v_lshlrev_b32_e32 v86, 16, v6
	v_and_b32_e32 v27, 0xffff0000, v6
	v_mul_f32_e32 v6, v60, v115
	v_lshlrev_b32_e32 v81, 16, v53
	v_and_b32_e32 v22, 0xffff0000, v53
	v_lshlrev_b32_e32 v12, 16, v32
	v_lshlrev_b32_e32 v64, 16, v33
	v_and_b32_e32 v117, 0xffff0000, v32
	v_and_b32_e32 v53, 0xffff0000, v33
	v_lshlrev_b32_e32 v32, 16, v7
	v_and_b32_e32 v33, 0xffff0000, v7
	v_bfe_u32 v7, v6, 16, 1
	v_lshlrev_b32_e32 v3, 16, v35
	v_lshlrev_b32_e32 v2, 16, v36
	;; [unrolled: 1-line block ×4, first 2 shown]
	v_and_b32_e32 v101, 0xffff0000, v35
	v_and_b32_e32 v14, 0xffff0000, v36
	;; [unrolled: 1-line block ×4, first 2 shown]
	v_lshlrev_b32_e32 v36, 16, v18
	v_lshlrev_b32_e32 v35, 16, v19
	v_and_b32_e32 v38, 0xffff0000, v18
	v_and_b32_e32 v37, 0xffff0000, v19
	v_lshlrev_b32_e32 v18, 16, v8
	v_and_b32_e32 v19, 0xffff0000, v8
	v_add3_u32 v7, v7, v6, 0x7fff
	v_or_b32_e32 v8, 0x400000, v6
	v_cmp_u_f32_e64 s7, v6, v6
	buffer_store_dword v1, off, s[0:3], s32 offset:516 ; 4-byte Folded Spill
	v_lshlrev_b32_e32 v80, 16, v52
	v_and_b32_e32 v21, 0xffff0000, v52
	v_lshlrev_b32_e32 v98, 16, v48
	v_cndmask_b32_e64 v6, v7, v8, s7
	v_mul_f32_e32 v7, v60, v30
	v_lshlrev_b32_e32 v99, 16, v49
	v_lshlrev_b32_e32 v23, 16, v50
	v_lshlrev_b32_e32 v11, 16, v51
	v_and_b32_e32 v10, 0xffff0000, v48
	v_bfe_u32 v8, v7, 16, 1
	v_and_b32_e32 v82, 0xffff0000, v49
	v_and_b32_e32 v1, 0xffff0000, v50
	;; [unrolled: 1-line block ×3, first 2 shown]
	v_lshlrev_b32_e32 v52, 16, v34
	v_and_b32_e32 v51, 0xffff0000, v34
	v_lshlrev_b32_e32 v50, 16, v16
	v_lshlrev_b32_e32 v34, 16, v17
	v_and_b32_e32 v49, 0xffff0000, v16
	v_and_b32_e32 v48, 0xffff0000, v17
	v_lshlrev_b32_e32 v16, 16, v9
	v_and_b32_e32 v17, 0xffff0000, v9
	v_add3_u32 v8, v8, v7, 0x7fff
	v_or_b32_e32 v9, 0x400000, v7
	v_cmp_u_f32_e64 s7, v7, v7
	v_lshlrev_b32_e32 v28, 16, v54
	v_and_b32_e32 v6, 0xffff0000, v6
	v_and_b32_e32 v54, 0xffff0000, v54
	v_lshlrev_b32_e32 v85, 16, v31
	v_cndmask_b32_e64 v7, v8, v9, s7
	v_and_b32_e32 v65, 0xffff0000, v31
	v_mul_f32_e32 v28, v28, v6
	v_lshlrev_b32_e32 v5, 16, v55
	v_and_b32_e32 v55, 0xffff0000, v55
	v_and_b32_e32 v6, 0xffff0000, v7
	v_fmac_f32_e32 v28, v80, v6
	v_mul_f32_e32 v6, v60, v69
	v_bfe_u32 v7, v6, 16, 1
	v_or_b32_e32 v8, 0x400000, v6
	v_cmp_u_f32_e64 s7, v6, v6
	v_add3_u32 v7, v7, v6, 0x7fff
	v_cndmask_b32_e64 v6, v7, v8, s7
	v_mul_f32_e32 v7, v60, v46
	v_and_b32_e32 v6, 0xffff0000, v6
	v_bfe_u32 v8, v7, 16, 1
	v_or_b32_e32 v9, 0x400000, v7
	v_cmp_u_f32_e64 s7, v7, v7
	v_mul_f32_e32 v31, v54, v6
	v_add3_u32 v8, v8, v7, 0x7fff
	v_cndmask_b32_e64 v7, v8, v9, s7
	v_and_b32_e32 v6, 0xffff0000, v7
	v_fmac_f32_e32 v31, v21, v6
	v_mul_f32_e32 v6, v60, v41
	v_bfe_u32 v7, v6, 16, 1
	v_or_b32_e32 v8, 0x400000, v6
	v_cmp_u_f32_e64 s7, v6, v6
	v_add3_u32 v7, v7, v6, 0x7fff
	v_cndmask_b32_e64 v6, v7, v8, s7
	v_mul_f32_e32 v7, v60, v68
	v_and_b32_e32 v6, 0xffff0000, v6
	v_bfe_u32 v8, v7, 16, 1
	v_or_b32_e32 v9, 0x400000, v7
	v_cmp_u_f32_e64 s7, v7, v7
	v_mul_f32_e32 v21, v5, v6
	v_add3_u32 v8, v8, v7, 0x7fff
	v_cndmask_b32_e64 v7, v8, v9, s7
	;; [unrolled: 16-line block ×3, first 2 shown]
	v_and_b32_e32 v6, 0xffff0000, v6
	v_fmac_f32_e32 v5, v22, v6
	v_mul_f32_e32 v6, v60, v24
	v_bfe_u32 v7, v6, 16, 1
	v_or_b32_e32 v8, 0x400000, v6
	v_cmp_u_f32_e64 s7, v6, v6
	v_add3_u32 v7, v7, v6, 0x7fff
	v_cndmask_b32_e64 v6, v7, v8, s7
	v_and_b32_e32 v6, 0xffff0000, v6
	v_fmac_f32_e32 v28, v98, v6
	v_mul_f32_e32 v6, v60, v25
	v_bfe_u32 v7, v6, 16, 1
	v_or_b32_e32 v8, 0x400000, v6
	v_cmp_u_f32_e64 s7, v6, v6
	v_add3_u32 v7, v7, v6, 0x7fff
	v_cndmask_b32_e64 v6, v7, v8, s7
	v_and_b32_e32 v6, 0xffff0000, v6
	v_fmac_f32_e32 v31, v10, v6
	v_mul_f32_e32 v6, v60, v97
	buffer_load_dword v97, off, s[0:3], s32 offset:428 ; 4-byte Folded Reload
	v_bfe_u32 v7, v6, 16, 1
	v_or_b32_e32 v8, 0x400000, v6
	v_cmp_u_f32_e64 s7, v6, v6
	v_add3_u32 v7, v7, v6, 0x7fff
	v_cndmask_b32_e64 v6, v7, v8, s7
	v_and_b32_e32 v6, 0xffff0000, v6
	v_fmac_f32_e32 v21, v99, v6
	v_mul_f32_e32 v6, v60, v47
	v_bfe_u32 v7, v6, 16, 1
	v_or_b32_e32 v8, 0x400000, v6
	v_cmp_u_f32_e64 s7, v6, v6
	v_add3_u32 v7, v7, v6, 0x7fff
	v_cndmask_b32_e64 v6, v7, v8, s7
	v_and_b32_e32 v6, 0xffff0000, v6
	v_fmac_f32_e32 v5, v82, v6
	v_mul_f32_e32 v6, v60, v43
	v_bfe_u32 v7, v6, 16, 1
	v_or_b32_e32 v8, 0x400000, v6
	v_cmp_u_f32_e64 s7, v6, v6
	v_add3_u32 v7, v7, v6, 0x7fff
	v_cndmask_b32_e64 v6, v7, v8, s7
	v_and_b32_e32 v6, 0xffff0000, v6
	v_fmac_f32_e32 v28, v23, v6
	v_mul_f32_e32 v6, v60, v62
	v_bfe_u32 v7, v6, 16, 1
	v_or_b32_e32 v8, 0x400000, v6
	v_cmp_u_f32_e64 s7, v6, v6
	v_add3_u32 v7, v7, v6, 0x7fff
	v_cndmask_b32_e64 v6, v7, v8, s7
	v_and_b32_e32 v6, 0xffff0000, v6
	v_fmac_f32_e32 v31, v1, v6
	v_mul_f32_e32 v1, v60, v44
	v_bfe_u32 v6, v1, 16, 1
	v_or_b32_e32 v7, 0x400000, v1
	v_cmp_u_f32_e64 s7, v1, v1
	v_add3_u32 v6, v6, v1, 0x7fff
	v_cndmask_b32_e64 v1, v6, v7, s7
	v_and_b32_e32 v1, 0xffff0000, v1
	v_fmac_f32_e32 v21, v11, v1
	v_mul_f32_e32 v1, v60, v100
	v_bfe_u32 v6, v1, 16, 1
	v_or_b32_e32 v7, 0x400000, v1
	v_cmp_u_f32_e64 s7, v1, v1
	v_add3_u32 v6, v6, v1, 0x7fff
	v_cndmask_b32_e64 v1, v6, v7, s7
	v_and_b32_e32 v1, 0xffff0000, v1
	v_fmac_f32_e32 v5, v0, v1
	v_mul_f32_e32 v0, v60, v119
	v_bfe_u32 v1, v0, 16, 1
	v_or_b32_e32 v6, 0x400000, v0
	v_cmp_u_f32_e64 s7, v0, v0
	v_add3_u32 v1, v1, v0, 0x7fff
	v_cndmask_b32_e64 v0, v1, v6, s7
	v_and_b32_e32 v0, 0xffff0000, v0
	v_fmac_f32_e32 v28, v3, v0
	v_mul_f32_e32 v0, v60, v57
	v_bfe_u32 v1, v0, 16, 1
	v_or_b32_e32 v3, 0x400000, v0
	v_cmp_u_f32_e64 s7, v0, v0
	v_add3_u32 v1, v1, v0, 0x7fff
	v_cndmask_b32_e64 v0, v1, v3, s7
	v_and_b32_e32 v0, 0xffff0000, v0
	v_fmac_f32_e32 v31, v101, v0
	v_mul_f32_e32 v0, v60, v118
	v_bfe_u32 v1, v0, 16, 1
	v_or_b32_e32 v3, 0x400000, v0
	v_cmp_u_f32_e64 s7, v0, v0
	v_add3_u32 v1, v1, v0, 0x7fff
	v_cndmask_b32_e64 v0, v1, v3, s7
	v_and_b32_e32 v0, 0xffff0000, v0
	v_fmac_f32_e32 v21, v2, v0
	v_mul_f32_e32 v0, v60, v58
	v_bfe_u32 v1, v0, 16, 1
	v_or_b32_e32 v2, 0x400000, v0
	v_cmp_u_f32_e64 s7, v0, v0
	v_add3_u32 v1, v1, v0, 0x7fff
	v_cndmask_b32_e64 v0, v1, v2, s7
	v_and_b32_e32 v0, 0xffff0000, v0
	v_fmac_f32_e32 v5, v14, v0
	buffer_load_dword v0, off, s[0:3], s32 offset:240 ; 4-byte Folded Reload
	s_waitcnt vmcnt(0)
	v_mul_f32_e32 v0, v60, v0
	v_bfe_u32 v1, v0, 16, 1
	v_or_b32_e32 v2, 0x400000, v0
	v_cmp_u_f32_e64 s7, v0, v0
	v_add3_u32 v1, v1, v0, 0x7fff
	v_cndmask_b32_e64 v0, v1, v2, s7
	v_and_b32_e32 v0, 0xffff0000, v0
	v_fmac_f32_e32 v28, v66, v0
	v_mul_f32_e32 v0, v60, v61
	v_bfe_u32 v1, v0, 16, 1
	v_or_b32_e32 v2, 0x400000, v0
	v_cmp_u_f32_e64 s7, v0, v0
	v_add3_u32 v1, v1, v0, 0x7fff
	v_cndmask_b32_e64 v0, v1, v2, s7
	v_and_b32_e32 v0, 0xffff0000, v0
	v_fmac_f32_e32 v31, v15, v0
	buffer_load_dword v0, off, s[0:3], s32 offset:420 ; 4-byte Folded Reload
	s_waitcnt vmcnt(0)
	v_mul_f32_e32 v0, v60, v0
	v_bfe_u32 v1, v0, 16, 1
	v_or_b32_e32 v2, 0x400000, v0
	v_cmp_u_f32_e64 s7, v0, v0
	v_add3_u32 v1, v1, v0, 0x7fff
	v_cndmask_b32_e64 v0, v1, v2, s7
	v_and_b32_e32 v0, 0xffff0000, v0
	v_fmac_f32_e32 v21, v67, v0
	buffer_load_dword v0, off, s[0:3], s32 offset:244 ; 4-byte Folded Reload
	s_waitcnt vmcnt(0)
	;; [unrolled: 10-line block ×9, first 2 shown]
	v_mul_f32_e32 v0, v60, v0
	v_bfe_u32 v1, v0, 16, 1
	v_or_b32_e32 v2, 0x400000, v0
	v_cmp_u_f32_e64 s7, v0, v0
	v_add3_u32 v1, v1, v0, 0x7fff
	v_cndmask_b32_e64 v0, v1, v2, s7
	v_and_b32_e32 v0, 0xffff0000, v0
	v_fmac_f32_e32 v21, v52, v0
	v_mul_f32_e32 v0, v60, v102
	v_bfe_u32 v1, v0, 16, 1
	v_or_b32_e32 v2, 0x400000, v0
	v_cmp_u_f32_e64 s7, v0, v0
	v_add3_u32 v1, v1, v0, 0x7fff
	v_mul_f32_e32 v0, v60, v20
	v_cndmask_b32_e64 v1, v1, v2, s7
	v_or_b32_e32 v2, 0x400000, v0
	v_cmp_u_f32_e64 s7, v0, v0
	buffer_store_dword v1, off, s[0:3], s32 offset:240 ; 4-byte Folded Spill
	v_bfe_u32 v1, v0, 16, 1
	v_add3_u32 v1, v1, v0, 0x7fff
	v_mul_f32_e32 v0, v60, v113
	v_cndmask_b32_e64 v1, v1, v2, s7
	v_or_b32_e32 v2, 0x400000, v0
	v_cmp_u_f32_e64 s7, v0, v0
	buffer_store_dword v1, off, s[0:3], s32 offset:244 ; 4-byte Folded Spill
	v_bfe_u32 v1, v0, 16, 1
	;; [unrolled: 7-line block ×3, first 2 shown]
	v_add3_u32 v1, v1, v0, 0x7fff
	v_mul_f32_e32 v0, v60, v112
	v_mul_f32_e32 v112, v60, v97
	v_cndmask_b32_e64 v1, v1, v2, s7
	v_or_b32_e32 v2, 0x400000, v0
	v_cmp_u_f32_e64 s7, v0, v0
	buffer_store_dword v1, off, s[0:3], s32 offset:256 ; 4-byte Folded Spill
	v_bfe_u32 v1, v0, 16, 1
	v_add3_u32 v1, v1, v0, 0x7fff
	v_mul_f32_e32 v0, v60, v83
	v_cndmask_b32_e64 v1, v1, v2, s7
	v_or_b32_e32 v2, 0x400000, v0
	v_cmp_u_f32_e64 s7, v0, v0
	buffer_store_dword v1, off, s[0:3], s32 offset:268 ; 4-byte Folded Spill
	v_bfe_u32 v1, v0, 16, 1
	v_add3_u32 v1, v1, v0, 0x7fff
	;; [unrolled: 7-line block ×6, first 2 shown]
	v_mul_f32_e32 v0, v60, v123
	v_cndmask_b32_e64 v126, v1, v2, s7
	v_bfe_u32 v1, v0, 16, 1
	v_or_b32_e32 v2, 0x400000, v0
	v_cmp_u_f32_e64 s7, v0, v0
	v_add3_u32 v1, v1, v0, 0x7fff
	v_mul_f32_e32 v0, v60, v122
	v_cndmask_b32_e64 v125, v1, v2, s7
	v_bfe_u32 v1, v0, 16, 1
	v_or_b32_e32 v2, 0x400000, v0
	v_cmp_u_f32_e64 s7, v0, v0
	v_add3_u32 v1, v1, v0, 0x7fff
	;; [unrolled: 6-line block ×27, first 2 shown]
	buffer_load_dword v0, off, s[0:3], s32 offset:416 ; 4-byte Folded Reload
	v_cndmask_b32_e64 v54, v1, v2, s7
	s_waitcnt vmcnt(0)
	v_mul_f32_e32 v0, v60, v0
	v_bfe_u32 v1, v0, 16, 1
	v_or_b32_e32 v2, 0x400000, v0
	v_cmp_u_f32_e64 s7, v0, v0
	v_add3_u32 v1, v1, v0, 0x7fff
	buffer_load_dword v0, off, s[0:3], s32 offset:472 ; 4-byte Folded Reload
	v_cndmask_b32_e64 v53, v1, v2, s7
	s_waitcnt vmcnt(0)
	v_mul_f32_e32 v0, v60, v0
	v_bfe_u32 v1, v0, 16, 1
	v_or_b32_e32 v2, 0x400000, v0
	v_cmp_u_f32_e64 s7, v0, v0
	v_add3_u32 v1, v1, v0, 0x7fff
	;; [unrolled: 8-line block ×17, first 2 shown]
	buffer_load_dword v0, off, s[0:3], s32 offset:364 ; 4-byte Folded Reload
	v_cndmask_b32_e64 v13, v1, v2, s7
	v_and_b32_e32 v13, 0xffff0000, v13
	s_waitcnt vmcnt(0)
	v_mul_f32_e32 v0, v60, v0
	v_bfe_u32 v1, v0, 16, 1
	v_or_b32_e32 v2, 0x400000, v0
	v_cmp_u_f32_e64 s7, v0, v0
	v_add3_u32 v1, v1, v0, 0x7fff
	buffer_load_dword v0, off, s[0:3], s32 offset:360 ; 4-byte Folded Reload
	v_cndmask_b32_e64 v25, v1, v2, s7
	s_waitcnt vmcnt(0)
	v_mul_f32_e32 v0, v60, v0
	v_bfe_u32 v1, v0, 16, 1
	v_or_b32_e32 v2, 0x400000, v0
	v_cmp_u_f32_e64 s7, v0, v0
	v_add3_u32 v1, v1, v0, 0x7fff
	buffer_load_dword v0, off, s[0:3], s32 offset:356 ; 4-byte Folded Reload
	v_cndmask_b32_e64 v39, v1, v2, s7
	;; [unrolled: 8-line block ×7, first 2 shown]
	s_waitcnt vmcnt(0)
	v_mul_f32_e32 v0, v60, v0
	v_bfe_u32 v1, v0, 16, 1
	v_or_b32_e32 v2, 0x400000, v0
	v_cmp_u_f32_e64 s7, v0, v0
	v_add3_u32 v1, v1, v0, 0x7fff
	v_mul_f32_e32 v0, v60, v92
	v_cndmask_b32_e64 v12, v1, v2, s7
	v_bfe_u32 v1, v0, 16, 1
	v_or_b32_e32 v2, 0x400000, v0
	v_cmp_u_f32_e64 s7, v0, v0
	v_and_b32_e32 v12, 0xffff0000, v12
	v_add3_u32 v1, v1, v0, 0x7fff
	v_mul_f32_e32 v0, v60, v93
	v_cndmask_b32_e64 v84, v1, v2, s7
	v_bfe_u32 v1, v0, 16, 1
	v_or_b32_e32 v2, 0x400000, v0
	v_cmp_u_f32_e64 s7, v0, v0
	v_add3_u32 v1, v1, v0, 0x7fff
	v_mul_f32_e32 v0, v60, v95
	v_cndmask_b32_e64 v15, v1, v2, s7
	v_bfe_u32 v1, v0, 16, 1
	v_or_b32_e32 v2, 0x400000, v0
	v_cmp_u_f32_e64 s7, v0, v0
	v_and_b32_e32 v15, 0xffff0000, v15
	v_add3_u32 v1, v1, v0, 0x7fff
	buffer_load_dword v0, off, s[0:3], s32 offset:512 ; 4-byte Folded Reload
	v_cndmask_b32_e64 v14, v1, v2, s7
	v_and_b32_e32 v14, 0xffff0000, v14
	s_waitcnt vmcnt(0)
	v_mul_f32_e32 v0, v60, v0
	v_bfe_u32 v1, v0, 16, 1
	v_or_b32_e32 v2, 0x400000, v0
	v_cmp_u_f32_e64 s7, v0, v0
	v_add3_u32 v1, v1, v0, 0x7fff
	v_mul_f32_e32 v0, v60, v94
	v_cndmask_b32_e64 v101, v1, v2, s7
	v_bfe_u32 v1, v0, 16, 1
	v_or_b32_e32 v2, 0x400000, v0
	v_cmp_u_f32_e64 s7, v0, v0
	v_add3_u32 v1, v1, v0, 0x7fff
	buffer_load_dword v0, off, s[0:3], s32 offset:508 ; 4-byte Folded Reload
	v_cndmask_b32_e64 v67, v1, v2, s7
	s_waitcnt vmcnt(0)
	v_mul_f32_e32 v0, v60, v0
	v_bfe_u32 v1, v0, 16, 1
	v_or_b32_e32 v2, 0x400000, v0
	v_cmp_u_f32_e64 s7, v0, v0
	v_add3_u32 v1, v1, v0, 0x7fff
	buffer_load_dword v0, off, s[0:3], s32 offset:504 ; 4-byte Folded Reload
	v_cndmask_b32_e64 v66, v1, v2, s7
	s_waitcnt vmcnt(0)
	v_mul_f32_e32 v0, v60, v0
	v_bfe_u32 v1, v0, 16, 1
	v_or_b32_e32 v2, 0x400000, v0
	v_cmp_u_f32_e64 s7, v0, v0
	v_add3_u32 v1, v1, v0, 0x7fff
	v_mul_f32_e32 v0, v60, v4
	v_and_b32_e32 v4, 0xffff0000, v119
	v_cndmask_b32_e64 v2, v1, v2, s7
	v_bfe_u32 v1, v0, 16, 1
	v_or_b32_e32 v3, 0x400000, v0
	v_cmp_u_f32_e64 s7, v0, v0
	v_and_b32_e32 v2, 0xffff0000, v2
	v_add3_u32 v1, v1, v0, 0x7fff
	buffer_load_dword v0, off, s[0:3], s32 offset:336 ; 4-byte Folded Reload
	s_waitcnt vmcnt(0)
	v_mul_f32_e32 v10, v60, v0
	v_cndmask_b32_e64 v0, v1, v3, s7
	v_bfe_u32 v1, v10, 16, 1
	v_or_b32_e32 v3, 0x400000, v10
	v_cmp_u_f32_e64 s7, v10, v10
	v_and_b32_e32 v0, 0xffff0000, v0
	v_add3_u32 v1, v1, v10, 0x7fff
	buffer_load_dword v10, off, s[0:3], s32 offset:332 ; 4-byte Folded Reload
	v_cndmask_b32_e64 v1, v1, v3, s7
	v_and_b32_e32 v1, 0xffff0000, v1
	s_waitcnt vmcnt(0)
	v_mul_f32_e32 v10, v60, v10
	v_bfe_u32 v3, v10, 16, 1
	v_or_b32_e32 v11, 0x400000, v10
	v_cmp_u_f32_e64 s7, v10, v10
	v_add3_u32 v3, v3, v10, 0x7fff
	buffer_load_dword v10, off, s[0:3], s32 offset:452 ; 4-byte Folded Reload
	s_waitcnt vmcnt(0)
	v_mul_f32_e32 v20, v60, v10
	v_cndmask_b32_e64 v10, v3, v11, s7
	v_bfe_u32 v3, v20, 16, 1
	v_or_b32_e32 v11, 0x400000, v20
	v_cmp_u_f32_e64 s7, v20, v20
	v_and_b32_e32 v10, 0xffff0000, v10
	v_add3_u32 v3, v3, v20, 0x7fff
	buffer_load_dword v20, off, s[0:3], s32 offset:328 ; 4-byte Folded Reload
	v_cndmask_b32_e64 v117, v3, v11, s7
	s_waitcnt vmcnt(0)
	v_mul_f32_e32 v20, v60, v20
	v_bfe_u32 v3, v20, 16, 1
	v_or_b32_e32 v11, 0x400000, v20
	v_cmp_u_f32_e64 s7, v20, v20
	v_add3_u32 v3, v3, v20, 0x7fff
	buffer_load_dword v20, off, s[0:3], s32 offset:324 ; 4-byte Folded Reload
	v_cndmask_b32_e64 v23, v3, v11, s7
	s_waitcnt vmcnt(0)
	v_mul_f32_e32 v20, v60, v20
	v_bfe_u32 v3, v20, 16, 1
	v_or_b32_e32 v11, 0x400000, v20
	v_cmp_u_f32_e64 s7, v20, v20
	;; [unrolled: 8-line block ×14, first 2 shown]
	v_add3_u32 v3, v3, v20, 0x7fff
	buffer_load_dword v20, off, s[0:3], s32 offset:248 ; 4-byte Folded Reload
	v_cndmask_b32_e64 v106, v3, v11, s7
	buffer_load_dword v11, off, s[0:3], s32 offset:264 ; 4-byte Folded Reload
	s_waitcnt vmcnt(1)
	v_mul_f32_e32 v20, v60, v20
	v_bfe_u32 v85, v20, 16, 1
	v_or_b32_e32 v103, 0x400000, v20
	v_cmp_u_f32_e64 s8, v20, v20
	v_add3_u32 v85, v85, v20, 0x7fff
	v_cndmask_b32_e64 v20, v85, v103, s8
	buffer_load_dword v85, off, s[0:3], s32 offset:284 ; 4-byte Folded Reload
	s_waitcnt vmcnt(1)
	v_mul_f32_e32 v103, v60, v11
	v_mul_f32_e32 v11, v60, v26
	v_and_b32_e32 v20, 0xffff0000, v20
	v_fmac_f32_e32 v5, v51, v20
	v_bfe_u32 v51, v103, 16, 1
	s_waitcnt vmcnt(0)
	v_mul_f32_e32 v85, v60, v85
	v_bfe_u32 v3, v85, 16, 1
	v_or_b32_e32 v20, 0x400000, v85
	v_cmp_u_f32_e64 s7, v85, v85
	v_add3_u32 v3, v3, v85, 0x7fff
	v_bfe_u32 v85, v11, 16, 1
	v_cndmask_b32_e64 v107, v3, v20, s7
	v_add3_u32 v20, v85, v11, 0x7fff
	buffer_load_dword v85, off, s[0:3], s32 offset:260 ; 4-byte Folded Reload
	v_add3_u32 v3, v51, v103, 0x7fff
	v_or_b32_e32 v51, 0x400000, v103
	v_cmp_u_f32_e64 s7, v103, v103
	v_bfe_u32 v103, v112, 16, 1
	v_cndmask_b32_e64 v3, v3, v51, s7
	v_add3_u32 v103, v103, v112, 0x7fff
	v_or_b32_e32 v51, 0x400000, v112
	v_cmp_u_f32_e64 s7, v112, v112
	v_and_b32_e32 v3, 0xffff0000, v3
	v_cndmask_b32_e64 v51, v103, v51, s7
	v_fmac_f32_e32 v28, v50, v3
	v_and_b32_e32 v51, 0xffff0000, v51
	v_fmac_f32_e32 v21, v34, v51
	v_and_b32_e32 v34, 0xffff0000, v107
	v_and_b32_e32 v51, 0xffff0000, v82
	v_fmac_f32_e32 v28, v36, v34
	v_fmac_f32_e32 v21, v35, v51
	s_waitcnt vmcnt(0)
	v_mul_f32_e32 v113, v60, v85
	buffer_load_dword v85, off, s[0:3], s32 offset:272 ; 4-byte Folded Reload
	v_bfe_u32 v58, v113, 16, 1
	v_or_b32_e32 v3, 0x400000, v113
	v_cmp_u_f32_e64 s7, v113, v113
	v_add3_u32 v58, v58, v113, 0x7fff
	v_cndmask_b32_e64 v58, v58, v3, s7
	v_or_b32_e32 v3, 0x400000, v11
	v_and_b32_e32 v109, 0xffff0000, v58
	v_fmac_f32_e32 v31, v49, v109
	s_waitcnt vmcnt(0)
	v_mul_f32_e32 v112, v60, v85
	v_mul_f32_e32 v85, v60, v116
	v_bfe_u32 v103, v112, 16, 1
	v_bfe_u32 v50, v85, 16, 1
	v_or_b32_e32 v113, 0x400000, v112
	v_cmp_u_f32_e64 s7, v112, v112
	v_add3_u32 v61, v103, v112, 0x7fff
	v_add3_u32 v103, v50, v85, 0x7fff
	v_or_b32_e32 v112, 0x400000, v85
	v_cndmask_b32_e64 v50, v61, v113, s7
	buffer_load_dword v113, off, s[0:3], s32 offset:496 ; 4-byte Folded Reload
	v_cmp_u_f32_e64 s7, v85, v85
	v_and_b32_e32 v49, 0xffff0000, v50
	v_and_b32_e32 v50, 0xffff0000, v106
	;; [unrolled: 1-line block ×3, first 2 shown]
	v_fmac_f32_e32 v5, v48, v49
	v_and_b32_e32 v48, 0xffff0000, v62
	v_and_b32_e32 v62, 0xffff0000, v64
	buffer_load_dword v64, off, s[0:3], s32 offset:492 ; 4-byte Folded Reload
	v_fmac_f32_e32 v31, v38, v50
	v_fmac_f32_e32 v28, v86, v106
	;; [unrolled: 1-line block ×3, first 2 shown]
	v_and_b32_e32 v48, 0xffff0000, v57
	v_and_b32_e32 v49, 0xffff0000, v46
	;; [unrolled: 1-line block ×3, first 2 shown]
	v_fmac_f32_e32 v31, v27, v62
	v_and_b32_e32 v27, 0xffff0000, v41
	v_fmac_f32_e32 v5, v33, v48
	v_fmac_f32_e32 v28, v18, v49
	;; [unrolled: 1-line block ×3, first 2 shown]
	v_and_b32_e32 v18, 0xffff0000, v22
	v_and_b32_e32 v22, 0xffff0000, v102
	v_fmac_f32_e32 v31, v19, v27
	v_and_b32_e32 v19, 0xffff0000, v98
	v_and_b32_e32 v27, 0xffff0000, v99
	v_fmac_f32_e32 v21, v16, v18
	v_fmac_f32_e32 v5, v17, v22
	v_and_b32_e32 v17, 0xffff0000, v117
	v_and_b32_e32 v18, 0xffff0000, v23
	v_cndmask_b32_e64 v23, v103, v112, s7
	v_cmp_u_f32_e64 s7, v11, v11
	v_cndmask_b32_e64 v3, v20, v3, s7
	v_mbcnt_lo_u32_b32 v20, -1, 0
	v_and_b32_e32 v3, 0xffff0000, v3
	s_waitcnt vmcnt(1)
	v_and_b32_e32 v58, 0xffff0000, v113
	v_lshlrev_b32_e32 v61, 16, v113
	buffer_load_dword v113, off, s[0:3], s32 offset:500 ; 4-byte Folded Reload
	v_fmac_f32_e32 v31, v58, v27
	v_fmac_f32_e32 v28, v61, v19
	s_waitcnt vmcnt(1)
	ds_read_b128 v[34:37], v64 offset:102
	ds_read_b128 v[48:51], v64 offset:118
	s_waitcnt lgkmcnt(1)
	v_lshlrev_b32_e32 v16, 16, v34
	v_and_b32_e32 v19, 0xffff0000, v34
	v_lshlrev_b32_e32 v22, 16, v35
	s_waitcnt lgkmcnt(0)
	v_lshlrev_b32_e32 v11, 16, v51
	v_fmac_f32_e32 v5, v16, v18
	v_fmac_f32_e32 v28, v19, v10
	;; [unrolled: 1-line block ×3, first 2 shown]
	v_and_b32_e32 v1, 0xffff0000, v35
	v_lshlrev_b32_e32 v10, 16, v36
	v_and_b32_e32 v16, 0xffff0000, v23
	v_lshlrev_b32_e32 v18, 16, v37
	v_and_b32_e32 v19, 0xffff0000, v66
	ds_read_b128 v[32:35], v64 offset:134
	v_fmac_f32_e32 v5, v10, v16
	v_and_b32_e32 v10, 0xffff0000, v67
	v_fmac_f32_e32 v31, v18, v19
	v_and_b32_e32 v16, 0xffff0000, v48
	s_waitcnt vmcnt(0)
	v_lshlrev_b32_e32 v113, 16, v113
	v_fmac_f32_e32 v21, v113, v17
	v_and_b32_e32 v17, 0xffff0000, v36
	v_fmac_f32_e32 v21, v1, v0
	v_fmac_f32_e32 v28, v17, v2
	v_and_b32_e32 v0, 0xffff0000, v37
	v_lshlrev_b32_e32 v1, 16, v48
	v_and_b32_e32 v2, 0xffff0000, v101
	v_lshlrev_b32_e32 v17, 16, v49
	v_fmac_f32_e32 v28, v16, v14
	v_and_b32_e32 v14, 0xffff0000, v115
	v_fmac_f32_e32 v5, v1, v10
	v_fmac_f32_e32 v21, v0, v2
	v_and_b32_e32 v0, 0xffff0000, v49
	v_lshlrev_b32_e32 v1, 16, v50
	v_and_b32_e32 v2, 0xffff0000, v84
	v_fmac_f32_e32 v31, v17, v15
	ds_read_b128 v[16:19], v64 offset:150
	v_and_b32_e32 v10, 0xffff0000, v50
	v_fmac_f32_e32 v5, v1, v3
	v_fmac_f32_e32 v21, v0, v2
	v_and_b32_e32 v1, 0xffff0000, v51
	v_and_b32_e32 v3, 0xffff0000, v30
	v_fmac_f32_e32 v28, v10, v12
	v_fmac_f32_e32 v31, v11, v14
	s_waitcnt lgkmcnt(1)
	v_lshlrev_b32_e32 v2, 16, v32
	v_and_b32_e32 v10, 0xffff0000, v114
	v_fmac_f32_e32 v21, v1, v3
	buffer_load_dword v1, off, s[0:3], s32 offset:520 ; 4-byte Folded Reload
	v_and_b32_e32 v11, 0xffff0000, v32
	v_lshlrev_b32_e32 v12, 16, v33
	v_and_b32_e32 v14, 0xffff0000, v69
	v_and_b32_e32 v15, 0xffff0000, v68
	v_fmac_f32_e32 v5, v2, v10
	v_and_b32_e32 v2, 0xffff0000, v33
	v_lshlrev_b32_e32 v3, 16, v34
	v_fmac_f32_e32 v28, v11, v14
	v_fmac_f32_e32 v31, v12, v15
	v_and_b32_e32 v10, 0xffff0000, v25
	v_and_b32_e32 v11, 0xffff0000, v39
	;; [unrolled: 1-line block ×3, first 2 shown]
	v_lshlrev_b32_e32 v14, 16, v35
	v_and_b32_e32 v15, 0xffff0000, v24
	v_fmac_f32_e32 v21, v2, v10
	v_fmac_f32_e32 v5, v3, v11
	;; [unrolled: 1-line block ×3, first 2 shown]
	v_and_b32_e32 v10, 0xffff0000, v8
	v_fmac_f32_e32 v31, v14, v15
	v_and_b32_e32 v11, 0xffff0000, v9
	s_waitcnt lgkmcnt(0)
	v_and_b32_e32 v12, 0xffff0000, v16
	v_lshlrev_b32_e32 v13, 16, v17
	v_and_b32_e32 v14, 0xffff0000, v7
	v_and_b32_e32 v15, 0xffff0000, v6
	ds_read_b128 v[6:9], v64 offset:166
	v_and_b32_e32 v3, 0xffff0000, v35
	v_lshlrev_b32_e32 v2, 16, v16
	v_fmac_f32_e32 v28, v12, v14
	v_fmac_f32_e32 v31, v13, v15
	v_lshlrev_b32_e32 v14, 16, v19
	v_fmac_f32_e32 v21, v3, v10
	v_and_b32_e32 v3, 0xffff0000, v17
	v_lshlrev_b32_e32 v10, 16, v18
	v_and_b32_e32 v13, 0xffff0000, v18
	v_fmac_f32_e32 v31, v14, v4
	v_and_b32_e32 v4, 0xffff0000, v19
	ds_read_b128 v[16:19], v64 offset:182
	v_fmac_f32_e32 v5, v2, v11
	v_and_b32_e32 v11, 0xffff0000, v44
	v_and_b32_e32 v12, 0xffff0000, v43
	;; [unrolled: 1-line block ×4, first 2 shown]
	v_xor_b32_e32 v0, 1, v20
	v_fmac_f32_e32 v21, v3, v11
	v_fmac_f32_e32 v5, v10, v12
	;; [unrolled: 1-line block ×3, first 2 shown]
	s_waitcnt lgkmcnt(1)
	v_lshlrev_b32_e32 v3, 16, v6
	v_and_b32_e32 v10, 0xffff0000, v108
	v_and_b32_e32 v11, 0xffff0000, v118
	;; [unrolled: 1-line block ×3, first 2 shown]
	v_lshlrev_b32_e32 v12, 16, v7
	v_and_b32_e32 v13, 0xffff0000, v105
	v_fmac_f32_e32 v21, v4, v10
	v_fmac_f32_e32 v5, v3, v11
	v_and_b32_e32 v10, 0xffff0000, v7
	v_fmac_f32_e32 v31, v12, v14
	v_fmac_f32_e32 v28, v6, v13
	v_lshlrev_b32_e32 v11, 16, v8
	v_and_b32_e32 v12, 0xffff0000, v52
	v_and_b32_e32 v13, 0xffff0000, v127
	;; [unrolled: 1-line block ×3, first 2 shown]
	v_lshlrev_b32_e32 v6, 16, v9
	v_and_b32_e32 v8, 0xffff0000, v54
	v_and_b32_e32 v7, 0xffff0000, v53
	v_fmac_f32_e32 v21, v10, v12
	v_fmac_f32_e32 v5, v11, v13
	s_waitcnt lgkmcnt(0)
	v_lshlrev_b32_e32 v10, 16, v16
	v_fmac_f32_e32 v31, v6, v8
	v_and_b32_e32 v11, 0xffff0000, v91
	v_lshlrev_b32_e32 v13, 16, v17
	v_and_b32_e32 v15, 0xffff0000, v88
	v_fmac_f32_e32 v28, v4, v7
	v_and_b32_e32 v4, 0xffff0000, v9
	v_and_b32_e32 v6, 0xffff0000, v90
	v_fmac_f32_e32 v5, v10, v11
	v_fmac_f32_e32 v31, v13, v15
	v_lshlrev_b32_e32 v10, 16, v18
	v_and_b32_e32 v13, 0xffff0000, v18
	buffer_load_dword v18, off, s[0:3], s32 offset:516 ; 4-byte Folded Reload
	v_fmac_f32_e32 v21, v4, v6
	ds_read_b128 v[6:9], v64 offset:198
	v_and_b32_e32 v4, 0xffff0000, v17
	v_and_b32_e32 v11, 0xffff0000, v78
	;; [unrolled: 1-line block ×6, first 2 shown]
	v_fmac_f32_e32 v21, v4, v11
	v_fmac_f32_e32 v28, v12, v14
	v_and_b32_e32 v12, 0xffff0000, v79
	v_lshlrev_b32_e32 v14, 16, v19
	v_fmac_f32_e32 v28, v13, v15
	v_fmac_f32_e32 v5, v10, v12
	;; [unrolled: 1-line block ×3, first 2 shown]
	v_and_b32_e32 v10, 0xffff0000, v19
	v_and_b32_e32 v12, 0xffff0000, v74
	;; [unrolled: 1-line block ×6, first 2 shown]
	v_fmac_f32_e32 v21, v10, v12
	v_and_b32_e32 v10, 0xffff0000, v87
	s_waitcnt vmcnt(1)
	v_mul_f32_e32 v1, v60, v1
	v_bfe_u32 v2, v1, 16, 1
	v_or_b32_e32 v3, 0x400000, v1
	v_cmp_u_f32_e64 s7, v1, v1
	v_add3_u32 v2, v2, v1, 0x7fff
	v_cndmask_b32_e64 v17, v2, v3, s7
	ds_read_b128 v[1:4], v64 offset:214
	s_waitcnt lgkmcnt(1)
	v_lshlrev_b32_e32 v11, 16, v6
	v_and_b32_e32 v6, 0xffff0000, v6
	v_lshlrev_b32_e32 v14, 16, v7
	v_lshlrev_b32_e32 v12, 16, v9
	v_fmac_f32_e32 v5, v11, v13
	v_fmac_f32_e32 v28, v6, v15
	;; [unrolled: 1-line block ×3, first 2 shown]
	v_and_b32_e32 v6, 0xffff0000, v7
	v_and_b32_e32 v14, 0xffff0000, v81
	v_lshlrev_b32_e32 v7, 16, v8
	v_and_b32_e32 v11, 0xffff0000, v63
	v_and_b32_e32 v8, 0xffff0000, v8
	v_fmac_f32_e32 v21, v6, v10
	v_fmac_f32_e32 v31, v12, v14
	v_and_b32_e32 v10, 0xffff0000, v9
	v_and_b32_e32 v12, 0xffff0000, v55
	;; [unrolled: 1-line block ×3, first 2 shown]
	v_fmac_f32_e32 v5, v7, v11
	s_waitcnt lgkmcnt(0)
	v_lshlrev_b32_e32 v14, 16, v2
	v_lshlrev_b32_e32 v11, 16, v1
	v_fmac_f32_e32 v21, v10, v12
	v_lshlrev_b32_e32 v12, 16, v4
	v_fmac_f32_e32 v28, v8, v13
	v_fmac_f32_e32 v31, v14, v19
	v_and_b32_e32 v14, 0xffff0000, v123
	ds_read_b128 v[6:9], v64 offset:230
	v_and_b32_e32 v13, 0xffff0000, v80
	v_and_b32_e32 v1, 0xffff0000, v1
	;; [unrolled: 1-line block ×3, first 2 shown]
	v_fmac_f32_e32 v31, v12, v14
	buffer_load_dword v14, off, s[0:3], s32 offset:424 ; 4-byte Folded Reload
	v_fmac_f32_e32 v5, v11, v13
	v_and_b32_e32 v10, 0xffff0000, v121
	v_fmac_f32_e32 v28, v1, v16
	v_and_b32_e32 v1, 0xffff0000, v2
	v_lshlrev_b32_e32 v2, 16, v3
	v_and_b32_e32 v11, 0xffff0000, v120
	v_and_b32_e32 v3, 0xffff0000, v3
	;; [unrolled: 1-line block ×3, first 2 shown]
	v_fmac_f32_e32 v21, v1, v10
	v_and_b32_e32 v10, 0xffff0000, v125
	v_fmac_f32_e32 v5, v2, v11
	ds_read_b64 v[1:2], v64 offset:246
	v_fmac_f32_e32 v28, v3, v13
	v_and_b32_e32 v3, 0xffff0000, v4
	s_waitcnt lgkmcnt(1)
	v_lshlrev_b32_e32 v4, 16, v6
	v_and_b32_e32 v11, 0xffff0000, v124
	v_and_b32_e32 v6, 0xffff0000, v6
	v_and_b32_e32 v13, 0xffff0000, v126
	v_lshlrev_b32_e32 v12, 16, v7
	v_fmac_f32_e32 v21, v3, v10
	v_fmac_f32_e32 v5, v4, v11
	v_and_b32_e32 v3, 0xffff0000, v7
	v_fmac_f32_e32 v28, v6, v13
	s_clause 0x2
	buffer_load_dword v6, off, s[0:3], s32 offset:280
	buffer_load_dword v7, off, s[0:3], s32 offset:420
	;; [unrolled: 1-line block ×3, first 2 shown]
	v_lshlrev_b32_e32 v4, 16, v8
	v_and_b32_e32 v8, 0xffff0000, v8
	v_lshlrev_b32_e32 v10, 16, v9
	ds_read_u16 v13, v64 offset:254
	s_waitcnt vmcnt(4)
	v_mul_f32_e32 v18, v60, v18
	v_bfe_u32 v15, v18, 16, 1
	v_or_b32_e32 v16, 0x400000, v18
	v_cmp_u_f32_e64 s7, v18, v18
	v_add3_u32 v15, v15, v18, 0x7fff
	s_waitcnt vmcnt(3)
	v_and_b32_e32 v14, 0xffff0000, v14
	v_fmac_f32_e32 v31, v12, v14
	buffer_load_dword v12, off, s[0:3], s32 offset:268 ; 4-byte Folded Reload
	v_cndmask_b32_e64 v14, v15, v16, s7
	v_cmp_gt_i32_e64 s7, 32, v0
	v_cndmask_b32_e64 v0, v20, v0, s7
	s_waitcnt vmcnt(3)
	v_and_b32_e32 v6, 0xffff0000, v6
	s_waitcnt vmcnt(2)
	v_and_b32_e32 v7, 0xffff0000, v7
	;; [unrolled: 2-line block ×3, first 2 shown]
	v_fmac_f32_e32 v21, v3, v6
	buffer_load_dword v6, off, s[0:3], s32 offset:252 ; 4-byte Folded Reload
	v_fmac_f32_e32 v28, v8, v11
	buffer_load_dword v8, off, s[0:3], s32 offset:256 ; 4-byte Folded Reload
	;; [unrolled: 2-line block ×3, first 2 shown]
	v_and_b32_e32 v3, 0xffff0000, v9
	s_waitcnt lgkmcnt(1)
	v_lshlrev_b32_e32 v4, 16, v1
	v_and_b32_e32 v1, 0xffff0000, v1
	v_lshlrev_b32_e32 v9, 16, v2
	s_waitcnt vmcnt(3)
	v_and_b32_e32 v12, 0xffff0000, v12
	v_fmac_f32_e32 v31, v10, v12
	buffer_load_dword v10, off, s[0:3], s32 offset:240 ; 4-byte Folded Reload
	s_waitcnt vmcnt(3)
	v_and_b32_e32 v6, 0xffff0000, v6
	s_waitcnt vmcnt(2)
	v_and_b32_e32 v8, 0xffff0000, v8
	;; [unrolled: 2-line block ×3, first 2 shown]
	v_fmac_f32_e32 v21, v3, v6
	s_waitcnt lgkmcnt(0)
	v_lshlrev_b32_e32 v3, 16, v13
	v_fmac_f32_e32 v5, v4, v8
	v_and_b32_e32 v4, 0xffff0000, v14
	v_fmac_f32_e32 v28, v1, v7
	v_and_b32_e32 v1, 0xffff0000, v2
	v_and_b32_e32 v2, 0xffff0000, v17
	v_fmac_f32_e32 v5, v3, v4
	v_fmac_f32_e32 v21, v1, v2
	v_lshlrev_b32_e32 v2, 2, v0
	s_waitcnt vmcnt(0)
	v_and_b32_e32 v10, 0xffff0000, v10
	v_fmac_f32_e32 v31, v9, v10
	v_add_f32_e32 v1, v28, v31
	v_add_f32_e32 v1, v1, v21
	;; [unrolled: 1-line block ×3, first 2 shown]
	ds_bpermute_b32 v1, v2, v0
	s_and_saveexec_b32 s8, vcc_lo
	s_cbranch_execz .LBB358_11
; %bb.1043:                             ;   in Loop: Header=BB358_13 Depth=1
	s_clause 0x1
	buffer_load_dword v2, off, s[0:3], s32 offset:564
	buffer_load_dword v3, off, s[0:3], s32 offset:556
	s_waitcnt lgkmcnt(0)
	v_add_f32_e32 v0, v0, v1
	s_load_dword s26, s[20:21], 0x0
	s_waitcnt vmcnt(1)
	v_add_nc_u32_e32 v2, v2, v40
	v_cvt_f32_i32_e32 v2, v2
	s_waitcnt vmcnt(0)
	v_mul_f32_e32 v2, v3, v2
	buffer_load_dword v3, off, s[0:3], s32 offset:552 ; 4-byte Folded Reload
	v_cndmask_b32_e64 v1, 0, v2, s6
	buffer_load_dword v2, off, s[0:3], s32 offset:560 ; 4-byte Folded Reload
	s_waitcnt vmcnt(1)
	v_fmac_f32_e32 v1, v3, v0
	buffer_load_dword v3, off, s[0:3], s32 offset:540 ; 4-byte Folded Reload
	s_waitcnt vmcnt(1)
	v_add_nc_u32_e32 v2, v2, v40
	v_cmp_lt_i32_e64 s7, v2, v96
	s_waitcnt lgkmcnt(0)
	v_add_nc_u32_e32 v2, s26, v45
	s_waitcnt vmcnt(0)
	v_max_f32_e32 v0, v3, v3
	v_max_f32_e32 v0, v0, v1
	v_cndmask_b32_e64 v1, 0, v1, s7
	v_cndmask_b32_e64 v3, v3, v0, s7
	ds_write_b32 v2, v1
	buffer_store_dword v3, off, s[0:3], s32 offset:540 ; 4-byte Folded Spill
	s_branch .LBB358_11
.LBB358_1044:
	s_or_b32 exec_lo, exec_lo, s24
	s_clause 0x16
	buffer_load_dword v27, off, s[0:3], s32 offset:568
	buffer_load_dword v33, off, s[0:3], s32 offset:572
	;; [unrolled: 1-line block ×23, first 2 shown]
.LBB358_1045:
	s_or_b32 exec_lo, exec_lo, s23
	v_mbcnt_lo_u32_b32 v6, -1, 0
	s_waitcnt vmcnt(0)
	v_max_f32_e32 v2, v12, v12
	v_and_b32_e32 v28, 31, v32
	s_waitcnt lgkmcnt(0)
	s_lshr_b32 s13, s13, 16
	v_xor_b32_e32 v0, 16, v6
	v_xor_b32_e32 v1, 8, v6
	v_cmp_gt_i32_e32 vcc_lo, 32, v0
	v_cndmask_b32_e32 v0, v6, v0, vcc_lo
	v_cmp_gt_i32_e32 vcc_lo, 32, v1
	v_lshlrev_b32_e32 v3, 2, v0
	v_cndmask_b32_e32 v1, v6, v1, vcc_lo
	ds_bpermute_b32 v0, v3, v12
	v_lshlrev_b32_e32 v4, 2, v1
	s_waitcnt lgkmcnt(0)
	v_max_f32_e32 v0, v0, v0
	v_max_f32_e32 v0, v2, v0
	v_xor_b32_e32 v2, 4, v6
	ds_bpermute_b32 v1, v4, v0
	v_cmp_gt_i32_e32 vcc_lo, 32, v2
	v_cndmask_b32_e32 v2, v6, v2, vcc_lo
	v_lshlrev_b32_e32 v5, 2, v2
	v_xor_b32_e32 v2, 2, v6
	v_cmp_gt_i32_e32 vcc_lo, 32, v2
	s_waitcnt lgkmcnt(0)
	v_max_f32_e32 v1, v1, v1
	v_cndmask_b32_e32 v2, v6, v2, vcc_lo
	v_cmp_eq_u32_e32 vcc_lo, 0, v28
	v_lshlrev_b32_e32 v6, 2, v25
	v_max_f32_e32 v0, v0, v1
	v_lshlrev_b32_e32 v2, 2, v2
	ds_bpermute_b32 v1, v5, v0
	s_waitcnt lgkmcnt(0)
	v_max_f32_e32 v1, v1, v1
	v_max_f32_e32 v0, v0, v1
	ds_bpermute_b32 v1, v2, v0
	s_and_saveexec_b32 s6, vcc_lo
	s_cbranch_execz .LBB358_1047
; %bb.1046:
	s_waitcnt lgkmcnt(0)
	v_max_f32_e32 v1, v1, v1
	v_max_f32_e32 v0, v0, v0
	v_max_f32_e32 v0, v0, v1
	ds_write_b32 v6, v0 offset:512
.LBB358_1047:
	s_or_b32 exec_lo, exec_lo, s6
	v_cmp_gt_u32_e64 s6, 4, v28
	v_mov_b32_e32 v0, 0xff7fffff
	v_lshlrev_b32_e32 v7, 2, v28
	s_waitcnt lgkmcnt(0)
	s_waitcnt_vscnt null, 0x0
	s_barrier
	buffer_gl0_inv
	s_and_saveexec_b32 s7, s6
; %bb.1048:
	ds_read_b32 v0, v7 offset:512
; %bb.1049:
	s_or_b32 exec_lo, exec_lo, s7
	v_mbcnt_lo_u32_b32 v9, -1, 0
	s_waitcnt lgkmcnt(0)
	ds_bpermute_b32 v1, v2, v0
	v_max_f32_e32 v0, v0, v0
	v_xor_b32_e32 v8, 1, v9
	v_cmp_gt_i32_e64 s7, 32, v8
	v_cndmask_b32_e64 v8, v9, v8, s7
	v_lshlrev_b32_e32 v29, 2, v8
	buffer_load_dword v8, off, s[0:3], s32 offset:228 ; 4-byte Folded Reload
	s_waitcnt lgkmcnt(0)
	v_max_f32_e32 v1, v1, v1
	v_max_f32_e32 v0, v0, v1
	ds_bpermute_b32 v1, v29, v0
	s_waitcnt lgkmcnt(0)
	v_max_f32_e32 v1, v1, v1
	v_max_f32_e32 v0, v0, v1
	s_waitcnt vmcnt(0)
	v_subrev_nc_u32_e32 v9, s11, v8
	v_mov_b32_e32 v8, 0
	v_lshl_add_u32 v1, v9, 4, s22
	ds_bpermute_b32 v0, v8, v0
	v_min_i32_e32 v1, v1, v96
	v_subrev_nc_u32_e32 v1, s22, v1
	v_cmp_lt_i32_e64 s7, v32, v1
	s_and_saveexec_b32 s11, s7
	s_cbranch_execz .LBB358_1053
; %bb.1050:
	s_getpc_b64 s[20:21]
	s_add_u32 s20, s20, llvm.amdgcn.dynlds.offset.table@rel32@lo+4
	s_addc_u32 s21, s21, llvm.amdgcn.dynlds.offset.table@rel32@hi+12
	s_ashr_i32 s17, s16, 31
	v_mov_b32_e32 v8, 0
	s_lshl_b64 s[22:23], s[16:17], 2
	v_mov_b32_e32 v13, v32
	s_add_u32 s20, s20, s22
	s_addc_u32 s21, s21, s23
	s_mov_b32 s17, 0
	s_load_dword s8, s[20:21], 0x0
	s_waitcnt lgkmcnt(0)
	v_lshl_add_u32 v9, v32, 2, s8
	.p2align	6
.LBB358_1051:                           ; =>This Inner Loop Header: Depth=1
	ds_read_b32 v12, v9
	v_add_nc_u32_e32 v13, 0x80, v13
	v_cmp_ge_i32_e64 s8, v13, v1
	s_or_b32 s17, s8, s17
	s_waitcnt lgkmcnt(0)
	v_sub_f32_e32 v12, v12, v0
	v_mul_f32_e32 v12, 0x3fb8aa3b, v12
	v_exp_f32_e32 v12, v12
	ds_write_b32 v9, v12
	v_add_f32_e32 v8, v8, v12
	v_add_nc_u32_e32 v9, 0x200, v9
	s_andn2_b32 exec_lo, exec_lo, s17
	s_cbranch_execnz .LBB358_1051
; %bb.1052:
	s_or_b32 exec_lo, exec_lo, s17
.LBB358_1053:
	s_or_b32 exec_lo, exec_lo, s11
	ds_bpermute_b32 v3, v3, v8
	s_waitcnt lgkmcnt(0)
	v_add_f32_e32 v3, v8, v3
	ds_bpermute_b32 v4, v4, v3
	s_waitcnt lgkmcnt(0)
	v_add_f32_e32 v3, v3, v4
	;; [unrolled: 3-line block ×5, first 2 shown]
	s_and_saveexec_b32 s8, vcc_lo
; %bb.1054:
	ds_write_b32 v6, v3 offset:528
; %bb.1055:
	s_or_b32 exec_lo, exec_lo, s8
	s_waitcnt lgkmcnt(0)
	s_barrier
	buffer_gl0_inv
	s_and_saveexec_b32 s8, s6
; %bb.1056:
	ds_read_b32 v3, v7 offset:528
; %bb.1057:
	s_or_b32 exec_lo, exec_lo, s8
	s_waitcnt lgkmcnt(0)
	ds_bpermute_b32 v2, v2, v3
	s_waitcnt lgkmcnt(0)
	v_add_f32_e32 v2, v3, v2
	ds_bpermute_b32 v3, v29, v2
	s_waitcnt lgkmcnt(0)
	v_add_f32_e32 v2, v2, v3
	v_mov_b32_e32 v3, 0
	ds_bpermute_b32 v2, v3, v2
	s_and_saveexec_b32 s6, s7
	s_cbranch_execz .LBB358_1060
; %bb.1058:
	s_waitcnt lgkmcnt(0)
	v_add_f32_e32 v4, 0x358637bd, v2
	s_getpc_b64 s[20:21]
	s_add_u32 s20, s20, llvm.amdgcn.dynlds.offset.table@rel32@lo+4
	s_addc_u32 s21, s21, llvm.amdgcn.dynlds.offset.table@rel32@hi+12
	s_ashr_i32 s17, s16, 31
	s_lshl_b64 s[22:23], s[16:17], 2
	v_div_scale_f32 v3, null, v4, v4, 1.0
	v_div_scale_f32 v7, vcc_lo, 1.0, v4, 1.0
	s_add_u32 s20, s20, s22
	v_rcp_f32_e32 v5, v3
	s_addc_u32 s21, s21, s23
	s_load_dword s7, s[20:21], 0x0
	v_fma_f32 v6, -v3, v5, 1.0
	v_fmac_f32_e32 v5, v6, v5
	v_mul_f32_e32 v6, v7, v5
	v_fma_f32 v8, -v3, v6, v7
	v_fmac_f32_e32 v6, v8, v5
	v_fma_f32 v3, -v3, v6, v7
	v_div_fmas_f32 v5, v3, v5, v6
	s_waitcnt lgkmcnt(0)
	v_lshl_add_u32 v3, v32, 2, s7
	s_mov_b32 s7, 0
	v_div_fixup_f32 v4, v5, v4, 1.0
	v_mov_b32_e32 v5, v32
.LBB358_1059:                           ; =>This Inner Loop Header: Depth=1
	ds_read_b32 v6, v3
	v_add_nc_u32_e32 v5, 0x80, v5
	v_cmp_ge_i32_e32 vcc_lo, v5, v1
	s_or_b32 s7, vcc_lo, s7
	s_waitcnt lgkmcnt(0)
	v_mul_f32_e32 v6, v4, v6
	ds_write_b32 v3, v6
	v_add_nc_u32_e32 v3, 0x200, v3
	s_andn2_b32 exec_lo, exec_lo, s7
	s_cbranch_execnz .LBB358_1059
.LBB358_1060:
	s_or_b32 exec_lo, exec_lo, s6
	s_and_b32 s6, 0xffff, s13
	s_mov_b32 s8, exec_lo
	s_cmp_lg_u32 s6, 0
	s_waitcnt lgkmcnt(0)
	s_cselect_b32 s6, -1, 0
	s_barrier
	s_cmp_lg_u32 s6, 0
	buffer_gl0_inv
	s_addc_u32 s11, s9, 0
	s_mul_i32 s6, s11, s18
	s_mul_i32 s6, s6, s15
	v_cmpx_eq_u32_e32 0, v32
	s_cbranch_execz .LBB358_1062
; %bb.1061:
	s_ashr_i32 s7, s6, 31
	s_mul_i32 s12, s11, s12
	s_lshl_b64 s[20:21], s[6:7], 2
	s_ashr_i32 s13, s12, 31
	v_add_co_u32 v1, vcc_lo, v34, s20
	v_add_co_ci_u32_e64 v3, null, s21, v26, vcc_lo
	s_lshl_b64 s[12:13], s[12:13], 2
	s_ashr_i32 s15, s14, 31
	v_add_co_u32 v1, vcc_lo, v1, s12
	v_add_co_ci_u32_e64 v4, null, s13, v3, vcc_lo
	v_add_co_u32 v3, vcc_lo, v24, s20
	v_add_co_ci_u32_e64 v5, null, s21, v22, vcc_lo
	s_lshl_b64 s[20:21], s[14:15], 2
	v_add_co_u32 v6, vcc_lo, v3, s12
	v_add_co_ci_u32_e64 v7, null, s13, v5, vcc_lo
	v_add_co_u32 v3, vcc_lo, v1, s20
	v_add_co_ci_u32_e64 v4, null, s21, v4, vcc_lo
	;; [unrolled: 2-line block ×3, first 2 shown]
	flat_store_dword v[3:4], v0
	flat_store_dword v[5:6], v2
.LBB358_1062:
	s_or_b32 exec_lo, exec_lo, s8
	s_getpc_b64 s[8:9]
	s_add_u32 s8, s8, llvm.amdgcn.dynlds.offset.table@rel32@lo+4
	s_addc_u32 s9, s9, llvm.amdgcn.dynlds.offset.table@rel32@hi+12
	s_ashr_i32 s17, s16, 31
	v_mov_b32_e32 v12, 0
	s_lshl_b64 s[12:13], s[16:17], 2
	v_mov_b32_e32 v52, 0
	s_add_u32 s8, s8, s12
	s_addc_u32 s9, s9, s13
	v_mov_b32_e32 v51, 0
	s_load_dword s12, s[8:9], 0x0
	v_mov_b32_e32 v50, 0
	v_mov_b32_e32 v49, 0
	;; [unrolled: 1-line block ×13, first 2 shown]
	s_waitcnt lgkmcnt(0)
	v_mov_b32_e32 v16, s12
	s_and_saveexec_b32 s7, s5
	s_cbranch_execz .LBB358_2124
; %bb.1063:
	v_max_i32_e32 v30, v30, v23
	v_and_b32_e32 v0, 8, v19
	buffer_store_dword v29, off, s[0:3], s32 offset:456 ; 4-byte Folded Spill
	buffer_store_dword v28, off, s[0:3], s32 offset:452 ; 4-byte Folded Spill
	v_add_co_u32 v2, vcc_lo, v10, v20
	v_and_b32_e32 v5, 0xf8, v19
	buffer_store_dword v0, off, s[0:3], s32 offset:436 ; 4-byte Folded Spill
	v_cvt_f32_u32_e32 v0, v30
	v_sub_nc_u32_e32 v7, 0, v30
	v_add_co_ci_u32_e64 v3, null, v11, v35, vcc_lo
	v_add_co_u32 v2, vcc_lo, v2, v5
	v_rcp_iflag_f32_e32 v4, v0
	v_add_nc_u32_e32 v0, -1, v21
	v_add_co_ci_u32_e64 v3, null, 0, v3, vcc_lo
	v_and_b32_e32 v6, 1, v32
	v_mov_b32_e32 v11, 0
	buffer_store_dword v0, off, s[0:3], s32 offset:440 ; 4-byte Folded Spill
	s_clause 0x1
	buffer_load_dword v0, off, s[0:3], s32 offset:208
	buffer_load_dword v1, off, s[0:3], s32 offset:212
	buffer_store_dword v2, off, s[0:3], s32 offset:444 ; 4-byte Folded Spill
	buffer_store_dword v3, off, s[0:3], s32 offset:448 ; 4-byte Folded Spill
	v_lshlrev_b32_e32 v2, 5, v6
	v_mul_f32_e32 v4, 0x4f7ffffe, v4
	v_mov_b32_e32 v65, 0x80
	v_mov_b32_e32 v70, 0xff
	;; [unrolled: 1-line block ×3, first 2 shown]
	v_lshl_or_b32 v2, v25, 6, v2
	v_cvt_u32_f32_e32 v4, v4
	v_mov_b32_e32 v57, 0
	v_mov_b32_e32 v41, 0
	;; [unrolled: 1-line block ×4, first 2 shown]
	v_mul_lo_u32 v7, v7, v4
	v_mov_b32_e32 v48, 0
	v_mov_b32_e32 v36, 0
	;; [unrolled: 1-line block ×3, first 2 shown]
	v_add_nc_u32_e32 v66, s12, v2
	v_mov_b32_e32 v37, 0
	v_mov_b32_e32 v38, 0
	;; [unrolled: 1-line block ×3, first 2 shown]
	v_mul_hi_u32 v3, v4, v7
	v_mov_b32_e32 v49, 0
	v_mov_b32_e32 v50, 0
	;; [unrolled: 1-line block ×5, first 2 shown]
	s_mov_b32 s12, -1
	s_mov_b32 s13, 0xffffff
	s_mov_b32 s15, 0
	s_waitcnt vmcnt(0)
	v_lshlrev_b64 v[0:1], 2, v[0:1]
	v_add_co_u32 v0, vcc_lo, v17, v0
	v_add_co_ci_u32_e64 v1, null, v18, v1, vcc_lo
	v_add_co_u32 v14, vcc_lo, v14, v0
	v_add_nc_u32_e32 v0, v4, v3
	buffer_load_dword v4, off, s[0:3], s32 offset:592 ; 4-byte Folded Reload
	v_add_co_ci_u32_e64 v15, null, v15, v1, vcc_lo
	buffer_store_dword v0, off, s[0:3], s32 offset:372 ; 4-byte Folded Spill
	s_branch .LBB358_1066
.LBB358_1064:                           ;   in Loop: Header=BB358_1066 Depth=1
	s_or_b32 exec_lo, exec_lo, s5
	v_bfe_u32 v64, v6, 16, 1
	v_or_b32_e32 v80, 0x400000, v6
	v_cmp_u_f32_e32 vcc_lo, v6, v6
	v_lshlrev_b32_e32 v71, 16, v71
	v_lshlrev_b32_e32 v41, 16, v41
	v_add3_u32 v64, v64, v6, 0x7fff
	v_lshlrev_b32_e32 v42, 16, v42
	v_lshlrev_b32_e32 v113, 16, v113
	;; [unrolled: 1-line block ×4, first 2 shown]
	v_cndmask_b32_e32 v6, v64, v80, vcc_lo
	v_bfe_u32 v64, v7, 16, 1
	v_or_b32_e32 v80, 0x400000, v7
	v_cmp_u_f32_e32 vcc_lo, v7, v7
	v_lshlrev_b32_e32 v28, 16, v28
	v_lshlrev_b32_e32 v48, 16, v48
	v_add3_u32 v64, v64, v7, 0x7fff
	v_lshlrev_b32_e32 v49, 16, v49
	v_lshlrev_b32_e32 v37, 16, v37
	;; [unrolled: 1-line block ×4, first 2 shown]
	v_cndmask_b32_e32 v7, v64, v80, vcc_lo
	v_bfe_u32 v64, v8, 16, 1
	v_or_b32_e32 v80, 0x400000, v8
	v_cmp_u_f32_e32 vcc_lo, v8, v8
	v_lshlrev_b32_e32 v31, 16, v31
	v_lshlrev_b32_e32 v32, 16, v32
	v_add3_u32 v64, v64, v8, 0x7fff
	v_bfe_u32 v8, v9, 16, 1
	v_lshlrev_b32_e32 v29, 16, v29
	v_lshlrev_b32_e32 v36, 16, v36
	;; [unrolled: 1-line block ×3, first 2 shown]
	v_cndmask_b32_e32 v64, v64, v80, vcc_lo
	v_add3_u32 v8, v8, v9, 0x7fff
	v_or_b32_e32 v80, 0x400000, v9
	v_cmp_u_f32_e32 vcc_lo, v9, v9
	v_or_b32_e32 v9, 0x400000, v0
	v_lshlrev_b32_e32 v20, 16, v20
	v_lshlrev_b32_e32 v12, 16, v12
	;; [unrolled: 1-line block ×3, first 2 shown]
	v_cndmask_b32_e32 v80, v8, v80, vcc_lo
	v_bfe_u32 v8, v0, 16, 1
	v_cmp_u_f32_e32 vcc_lo, v0, v0
	v_lshlrev_b32_e32 v22, 16, v22
	v_lshlrev_b32_e32 v4, 16, v4
	v_lshlrev_b32_e32 v5, 16, v5
	v_add3_u32 v8, v8, v0, 0x7fff
	v_cndmask_b32_e32 v0, v8, v9, vcc_lo
	v_bfe_u32 v8, v1, 16, 1
	v_or_b32_e32 v9, 0x400000, v1
	v_cmp_u_f32_e32 vcc_lo, v1, v1
	v_add3_u32 v8, v8, v1, 0x7fff
	v_cndmask_b32_e32 v1, v8, v9, vcc_lo
	v_bfe_u32 v8, v2, 16, 1
	v_or_b32_e32 v9, 0x400000, v2
	v_cmp_u_f32_e32 vcc_lo, v2, v2
	v_and_b32_e32 v1, 0xffff0000, v1
	v_add3_u32 v8, v8, v2, 0x7fff
	v_mul_f32_e32 v41, v1, v41
	v_cndmask_b32_e32 v2, v8, v9, vcc_lo
	v_bfe_u32 v8, v3, 16, 1
	v_or_b32_e32 v9, 0x400000, v3
	v_cmp_u_f32_e32 vcc_lo, v3, v3
	v_mul_f32_e32 v113, v1, v113
	v_and_b32_e32 v2, 0xffff0000, v2
	v_add3_u32 v8, v8, v3, 0x7fff
	v_lshlrev_b32_e32 v3, 16, v63
	v_mul_f32_e32 v54, v1, v54
	v_mul_f32_e32 v37, v1, v37
	;; [unrolled: 1-line block ×3, first 2 shown]
	v_cndmask_b32_e32 v58, v8, v9, vcc_lo
	v_and_b32_e32 v8, 0xffff0000, v7
	v_mul_f32_e32 v33, v2, v33
	v_mul_f32_e32 v12, v1, v12
	;; [unrolled: 1-line block ×5, first 2 shown]
	v_bfe_u32 v7, v3, 16, 1
	v_or_b32_e32 v9, 0x400000, v3
	v_cmp_u_f32_e32 vcc_lo, v3, v3
	v_add3_u32 v7, v7, v3, 0x7fff
	v_lshlrev_b32_e32 v3, 16, v69
	v_cndmask_b32_e32 v63, v7, v9, vcc_lo
	v_and_b32_e32 v9, 0xffff0000, v6
	v_mul_f32_e32 v3, v9, v3
	v_bfe_u32 v6, v3, 16, 1
	v_or_b32_e32 v7, 0x400000, v3
	v_cmp_u_f32_e32 vcc_lo, v3, v3
	v_add3_u32 v6, v6, v3, 0x7fff
	v_and_b32_e32 v3, 0xffff0000, v80
	v_cndmask_b32_e32 v69, v6, v7, vcc_lo
	v_lshlrev_b32_e32 v6, 16, v60
	v_mul_f32_e32 v48, v3, v48
	v_mul_f32_e32 v31, v3, v31
	;; [unrolled: 1-line block ×3, first 2 shown]
	v_and_b32_e32 v69, 0xffff0000, v69
	v_mul_f32_e32 v6, v3, v6
	v_bfe_u32 v7, v6, 16, 1
	v_or_b32_e32 v80, 0x400000, v6
	v_cmp_u_f32_e32 vcc_lo, v6, v6
	v_add3_u32 v7, v7, v6, 0x7fff
	v_lshlrev_b32_e32 v6, 16, v61
	v_cndmask_b32_e32 v80, v7, v80, vcc_lo
	v_and_b32_e32 v7, 0xffff0000, v64
	v_and_b32_e32 v80, 0xffff0000, v80
	v_mul_f32_e32 v6, v7, v6
	v_mul_f32_e32 v49, v7, v49
	v_mul_f32_e32 v32, v7, v32
	v_bfe_u32 v64, v6, 16, 1
	v_or_b32_e32 v60, 0x400000, v6
	v_cmp_u_f32_e32 vcc_lo, v6, v6
	v_add3_u32 v64, v64, v6, 0x7fff
	v_lshlrev_b32_e32 v6, 16, v57
	v_cndmask_b32_e32 v64, v64, v60, vcc_lo
	v_mul_f32_e32 v6, v1, v6
	v_and_b32_e32 v64, 0xffff0000, v64
	v_bfe_u32 v57, v6, 16, 1
	v_or_b32_e32 v60, 0x400000, v6
	v_cmp_u_f32_e32 vcc_lo, v6, v6
	v_add_f32_e32 v64, v64, v80
	v_add3_u32 v57, v57, v6, 0x7fff
	v_and_b32_e32 v6, 0xffff0000, v0
	v_lshlrev_b32_e32 v0, 16, v59
	v_cndmask_b32_e32 v57, v57, v60, vcc_lo
	v_mul_f32_e32 v42, v6, v42
	v_mul_f32_e32 v0, v6, v0
	;; [unrolled: 1-line block ×4, first 2 shown]
	v_and_b32_e32 v80, 0xffff0000, v57
	buffer_load_dword v57, off, s[0:3], s32 offset:376 ; 4-byte Folded Reload
	v_bfe_u32 v59, v0, 16, 1
	v_or_b32_e32 v60, 0x400000, v0
	v_cmp_u_f32_e32 vcc_lo, v0, v0
	v_mul_f32_e32 v38, v6, v38
	v_mul_f32_e32 v29, v6, v29
	v_add3_u32 v59, v59, v0, 0x7fff
	v_and_b32_e32 v0, 0xffff0000, v58
	v_mul_f32_e32 v13, v6, v13
	v_cndmask_b32_e32 v59, v59, v60, vcc_lo
	v_mul_f32_e32 v71, v0, v71
	v_mul_f32_e32 v36, v0, v36
	;; [unrolled: 1-line block ×3, first 2 shown]
	v_bfe_u32 v58, v71, 16, 1
	v_or_b32_e32 v60, 0x400000, v71
	v_cmp_u_f32_e32 vcc_lo, v71, v71
	v_add3_u32 v58, v58, v71, 0x7fff
	v_cndmask_b32_e32 v71, v58, v60, vcc_lo
	v_lshlrev_b32_e32 v58, 16, v62
	v_and_b32_e32 v71, 0xffff0000, v71
	v_mul_f32_e32 v58, v2, v58
	v_bfe_u32 v60, v58, 16, 1
	v_or_b32_e32 v61, 0x400000, v58
	v_cmp_u_f32_e32 vcc_lo, v58, v58
	v_add3_u32 v60, v60, v58, 0x7fff
	v_cndmask_b32_e32 v58, v60, v61, vcc_lo
	v_and_b32_e32 v60, 0xffff0000, v63
	v_add_f32_e32 v69, v69, v60
	v_add_f32_e32 v64, v69, v64
	v_and_b32_e32 v69, 0xffff0000, v59
	v_add_f32_e32 v69, v69, v80
	v_add_f32_e32 v64, v64, v69
	;; [unrolled: 3-line block ×3, first 2 shown]
	s_waitcnt vmcnt(0)
	v_add_f32_e32 v57, v57, v64
	v_lshlrev_b32_e32 v64, 16, v46
	v_mul_f32_e32 v64, v8, v64
	v_bfe_u32 v69, v64, 16, 1
	v_or_b32_e32 v71, 0x400000, v64
	v_cmp_u_f32_e32 vcc_lo, v64, v64
	v_add3_u32 v69, v69, v64, 0x7fff
	v_cndmask_b32_e32 v64, v69, v71, vcc_lo
	v_lshlrev_b32_e32 v69, 16, v47
	v_and_b32_e32 v64, 0xffff0000, v64
	v_mul_f32_e32 v69, v9, v69
	v_bfe_u32 v71, v69, 16, 1
	v_or_b32_e32 v80, 0x400000, v69
	v_cmp_u_f32_e32 vcc_lo, v69, v69
	v_add3_u32 v71, v71, v69, 0x7fff
	v_cndmask_b32_e32 v69, v71, v80, vcc_lo
	v_lshlrev_b32_e32 v71, 16, v43
	v_and_b32_e32 v69, 0xffff0000, v69
	v_mul_f32_e32 v71, v3, v71
	v_add_f32_e32 v64, v69, v64
	v_bfe_u32 v80, v71, 16, 1
	v_or_b32_e32 v43, 0x400000, v71
	v_cmp_u_f32_e32 vcc_lo, v71, v71
	v_add3_u32 v80, v80, v71, 0x7fff
	v_cndmask_b32_e32 v71, v80, v43, vcc_lo
	v_lshlrev_b32_e32 v80, 16, v44
	v_and_b32_e32 v71, 0xffff0000, v71
	v_mul_f32_e32 v80, v7, v80
	v_bfe_u32 v43, v80, 16, 1
	v_or_b32_e32 v44, 0x400000, v80
	v_cmp_u_f32_e32 vcc_lo, v80, v80
	v_add3_u32 v43, v43, v80, 0x7fff
	v_cndmask_b32_e32 v80, v43, v44, vcc_lo
	v_bfe_u32 v43, v41, 16, 1
	v_or_b32_e32 v44, 0x400000, v41
	v_cmp_u_f32_e32 vcc_lo, v41, v41
	v_and_b32_e32 v69, 0xffff0000, v80
	v_add3_u32 v43, v43, v41, 0x7fff
	v_add_f32_e32 v69, v69, v71
	v_cndmask_b32_e32 v41, v43, v44, vcc_lo
	v_bfe_u32 v43, v42, 16, 1
	v_or_b32_e32 v44, 0x400000, v42
	v_cmp_u_f32_e32 vcc_lo, v42, v42
	v_add_f32_e32 v64, v64, v69
	v_and_b32_e32 v71, 0xffff0000, v41
	buffer_load_dword v41, off, s[0:3], s32 offset:380 ; 4-byte Folded Reload
	v_add3_u32 v43, v43, v42, 0x7fff
	v_cndmask_b32_e32 v42, v43, v44, vcc_lo
	v_lshlrev_b32_e32 v43, 16, v56
	v_and_b32_e32 v69, 0xffff0000, v42
	v_mul_f32_e32 v43, v0, v43
	v_add_f32_e32 v69, v69, v71
	v_bfe_u32 v44, v43, 16, 1
	v_or_b32_e32 v46, 0x400000, v43
	v_cmp_u_f32_e32 vcc_lo, v43, v43
	v_add_f32_e32 v64, v64, v69
	v_add3_u32 v44, v44, v43, 0x7fff
	v_cndmask_b32_e32 v43, v44, v46, vcc_lo
	v_lshlrev_b32_e32 v44, 16, v45
	v_and_b32_e32 v71, 0xffff0000, v43
	v_mul_f32_e32 v44, v2, v44
	v_bfe_u32 v45, v44, 16, 1
	v_or_b32_e32 v46, 0x400000, v44
	v_cmp_u_f32_e32 vcc_lo, v44, v44
	v_add3_u32 v45, v45, v44, 0x7fff
	v_cndmask_b32_e32 v44, v45, v46, vcc_lo
	v_and_b32_e32 v69, 0xffff0000, v44
	v_add_f32_e32 v69, v69, v71
	v_add_f32_e32 v64, v64, v69
	s_waitcnt vmcnt(0)
	v_add_f32_e32 v41, v41, v64
	v_lshlrev_b32_e32 v64, 16, v118
	v_mul_f32_e32 v64, v8, v64
	v_bfe_u32 v69, v64, 16, 1
	v_or_b32_e32 v71, 0x400000, v64
	v_cmp_u_f32_e32 vcc_lo, v64, v64
	v_add3_u32 v69, v69, v64, 0x7fff
	v_cndmask_b32_e32 v64, v69, v71, vcc_lo
	v_lshlrev_b32_e32 v69, 16, v119
	v_and_b32_e32 v64, 0xffff0000, v64
	v_mul_f32_e32 v69, v9, v69
	v_bfe_u32 v71, v69, 16, 1
	v_or_b32_e32 v80, 0x400000, v69
	v_cmp_u_f32_e32 vcc_lo, v69, v69
	v_add3_u32 v71, v71, v69, 0x7fff
	v_cndmask_b32_e32 v69, v71, v80, vcc_lo
	v_lshlrev_b32_e32 v71, 16, v115
	v_and_b32_e32 v69, 0xffff0000, v69
	v_mul_f32_e32 v71, v3, v71
	v_add_f32_e32 v64, v69, v64
	v_bfe_u32 v80, v71, 16, 1
	v_or_b32_e32 v115, 0x400000, v71
	v_cmp_u_f32_e32 vcc_lo, v71, v71
	v_add3_u32 v80, v80, v71, 0x7fff
	v_cndmask_b32_e32 v71, v80, v115, vcc_lo
	v_lshlrev_b32_e32 v80, 16, v116
	v_and_b32_e32 v71, 0xffff0000, v71
	v_mul_f32_e32 v80, v7, v80
	v_bfe_u32 v115, v80, 16, 1
	v_or_b32_e32 v116, 0x400000, v80
	v_cmp_u_f32_e32 vcc_lo, v80, v80
	v_add3_u32 v115, v115, v80, 0x7fff
	v_cndmask_b32_e32 v80, v115, v116, vcc_lo
	v_bfe_u32 v115, v113, 16, 1
	v_or_b32_e32 v116, 0x400000, v113
	v_cmp_u_f32_e32 vcc_lo, v113, v113
	v_and_b32_e32 v69, 0xffff0000, v80
	v_add3_u32 v115, v115, v113, 0x7fff
	v_add_f32_e32 v69, v69, v71
	v_cndmask_b32_e32 v113, v115, v116, vcc_lo
	v_bfe_u32 v115, v114, 16, 1
	v_or_b32_e32 v116, 0x400000, v114
	v_cmp_u_f32_e32 vcc_lo, v114, v114
	v_add_f32_e32 v64, v64, v69
	v_and_b32_e32 v71, 0xffff0000, v113
	buffer_load_dword v113, off, s[0:3], s32 offset:384 ; 4-byte Folded Reload
	v_add3_u32 v115, v115, v114, 0x7fff
	v_cndmask_b32_e32 v114, v115, v116, vcc_lo
	v_lshlrev_b32_e32 v115, 16, v40
	v_and_b32_e32 v69, 0xffff0000, v114
	v_mul_f32_e32 v115, v0, v115
	v_add_f32_e32 v69, v69, v71
	v_bfe_u32 v116, v115, 16, 1
	v_or_b32_e32 v118, 0x400000, v115
	v_cmp_u_f32_e32 vcc_lo, v115, v115
	v_add_f32_e32 v64, v64, v69
	v_add3_u32 v116, v116, v115, 0x7fff
	v_cndmask_b32_e32 v115, v116, v118, vcc_lo
	v_lshlrev_b32_e32 v116, 16, v117
	v_and_b32_e32 v71, 0xffff0000, v115
	v_mul_f32_e32 v116, v2, v116
	v_bfe_u32 v117, v116, 16, 1
	v_or_b32_e32 v118, 0x400000, v116
	v_cmp_u_f32_e32 vcc_lo, v116, v116
	v_add3_u32 v117, v117, v116, 0x7fff
	v_cndmask_b32_e32 v116, v117, v118, vcc_lo
	v_and_b32_e32 v69, 0xffff0000, v116
	v_add_f32_e32 v69, v69, v71
	v_add_f32_e32 v64, v64, v69
	s_waitcnt vmcnt(0)
	v_add_f32_e32 v113, v113, v64
	v_lshlrev_b32_e32 v64, 16, v84
	v_mul_f32_e32 v64, v8, v64
	v_bfe_u32 v69, v64, 16, 1
	v_or_b32_e32 v71, 0x400000, v64
	v_cmp_u_f32_e32 vcc_lo, v64, v64
	v_add3_u32 v69, v69, v64, 0x7fff
	v_cndmask_b32_e32 v64, v69, v71, vcc_lo
	v_lshlrev_b32_e32 v69, 16, v85
	v_and_b32_e32 v64, 0xffff0000, v64
	v_mul_f32_e32 v69, v9, v69
	v_bfe_u32 v71, v69, 16, 1
	v_or_b32_e32 v80, 0x400000, v69
	v_cmp_u_f32_e32 vcc_lo, v69, v69
	v_add3_u32 v71, v71, v69, 0x7fff
	v_cndmask_b32_e32 v69, v71, v80, vcc_lo
	v_lshlrev_b32_e32 v71, 16, v81
	v_and_b32_e32 v69, 0xffff0000, v69
	v_mul_f32_e32 v71, v3, v71
	v_add_f32_e32 v64, v69, v64
	v_bfe_u32 v80, v71, 16, 1
	v_or_b32_e32 v81, 0x400000, v71
	v_cmp_u_f32_e32 vcc_lo, v71, v71
	v_add3_u32 v80, v80, v71, 0x7fff
	v_cndmask_b32_e32 v71, v80, v81, vcc_lo
	v_lshlrev_b32_e32 v80, 16, v82
	v_and_b32_e32 v71, 0xffff0000, v71
	v_mul_f32_e32 v80, v7, v80
	v_bfe_u32 v81, v80, 16, 1
	v_or_b32_e32 v82, 0x400000, v80
	v_cmp_u_f32_e32 vcc_lo, v80, v80
	v_add3_u32 v81, v81, v80, 0x7fff
	v_cndmask_b32_e32 v80, v81, v82, vcc_lo
	v_bfe_u32 v81, v54, 16, 1
	v_or_b32_e32 v82, 0x400000, v54
	v_cmp_u_f32_e32 vcc_lo, v54, v54
	v_and_b32_e32 v69, 0xffff0000, v80
	v_add3_u32 v81, v81, v54, 0x7fff
	v_add_f32_e32 v69, v69, v71
	v_cndmask_b32_e32 v54, v81, v82, vcc_lo
	v_bfe_u32 v81, v28, 16, 1
	v_or_b32_e32 v82, 0x400000, v28
	v_cmp_u_f32_e32 vcc_lo, v28, v28
	v_add_f32_e32 v64, v64, v69
	v_and_b32_e32 v54, 0xffff0000, v54
	v_add3_u32 v81, v81, v28, 0x7fff
	v_cndmask_b32_e32 v28, v81, v82, vcc_lo
	v_lshlrev_b32_e32 v81, 16, v103
	v_and_b32_e32 v28, 0xffff0000, v28
	v_mul_f32_e32 v81, v0, v81
	v_add_f32_e32 v28, v28, v54
	v_bfe_u32 v82, v81, 16, 1
	v_or_b32_e32 v84, 0x400000, v81
	v_cmp_u_f32_e32 vcc_lo, v81, v81
	v_add_f32_e32 v28, v64, v28
	v_add3_u32 v82, v82, v81, 0x7fff
	v_cndmask_b32_e32 v81, v82, v84, vcc_lo
	v_lshlrev_b32_e32 v82, 16, v83
	v_and_b32_e32 v64, 0xffff0000, v81
	v_mul_f32_e32 v82, v2, v82
	v_bfe_u32 v83, v82, 16, 1
	v_or_b32_e32 v84, 0x400000, v82
	v_cmp_u_f32_e32 vcc_lo, v82, v82
	v_add3_u32 v83, v83, v82, 0x7fff
	v_cndmask_b32_e32 v82, v83, v84, vcc_lo
	v_and_b32_e32 v54, 0xffff0000, v82
	v_add_f32_e32 v54, v54, v64
	buffer_load_dword v64, off, s[0:3], s32 offset:388 ; 4-byte Folded Reload
	v_add_f32_e32 v28, v28, v54
	s_waitcnt vmcnt(0)
	v_add_f32_e32 v64, v64, v28
	v_lshlrev_b32_e32 v28, 16, v51
	v_mul_f32_e32 v28, v8, v28
	v_bfe_u32 v51, v28, 16, 1
	v_or_b32_e32 v54, 0x400000, v28
	v_cmp_u_f32_e32 vcc_lo, v28, v28
	v_add3_u32 v51, v51, v28, 0x7fff
	v_cndmask_b32_e32 v28, v51, v54, vcc_lo
	v_lshlrev_b32_e32 v51, 16, v52
	v_and_b32_e32 v28, 0xffff0000, v28
	v_mul_f32_e32 v51, v9, v51
	v_bfe_u32 v52, v51, 16, 1
	v_or_b32_e32 v54, 0x400000, v51
	v_cmp_u_f32_e32 vcc_lo, v51, v51
	v_add3_u32 v52, v52, v51, 0x7fff
	v_cndmask_b32_e32 v51, v52, v54, vcc_lo
	v_bfe_u32 v52, v48, 16, 1
	v_or_b32_e32 v54, 0x400000, v48
	v_cmp_u_f32_e32 vcc_lo, v48, v48
	v_and_b32_e32 v51, 0xffff0000, v51
	v_add3_u32 v52, v52, v48, 0x7fff
	v_add_f32_e32 v28, v51, v28
	v_cndmask_b32_e32 v48, v52, v54, vcc_lo
	v_bfe_u32 v52, v49, 16, 1
	v_or_b32_e32 v54, 0x400000, v49
	v_cmp_u_f32_e32 vcc_lo, v49, v49
	buffer_load_dword v51, off, s[0:3], s32 offset:424 ; 4-byte Folded Reload
	v_and_b32_e32 v48, 0xffff0000, v48
	v_add3_u32 v52, v52, v49, 0x7fff
	v_cndmask_b32_e32 v49, v52, v54, vcc_lo
	v_bfe_u32 v52, v37, 16, 1
	v_or_b32_e32 v54, 0x400000, v37
	v_cmp_u_f32_e32 vcc_lo, v37, v37
	v_and_b32_e32 v49, 0xffff0000, v49
	v_add3_u32 v52, v52, v37, 0x7fff
	v_add_f32_e32 v48, v49, v48
	v_cndmask_b32_e32 v37, v52, v54, vcc_lo
	v_bfe_u32 v52, v38, 16, 1
	v_or_b32_e32 v54, 0x400000, v38
	v_cmp_u_f32_e32 vcc_lo, v38, v38
	v_add_f32_e32 v28, v28, v48
	buffer_load_dword v48, off, s[0:3], s32 offset:392 ; 4-byte Folded Reload
	v_add3_u32 v52, v52, v38, 0x7fff
	v_and_b32_e32 v37, 0xffff0000, v37
	buffer_load_dword v49, off, s[0:3], s32 offset:416 ; 4-byte Folded Reload
	v_cndmask_b32_e32 v38, v52, v54, vcc_lo
	v_lshlrev_b32_e32 v52, 16, v53
	v_and_b32_e32 v38, 0xffff0000, v38
	v_mul_f32_e32 v52, v0, v52
	v_add_f32_e32 v37, v38, v37
	v_bfe_u32 v53, v52, 16, 1
	v_or_b32_e32 v54, 0x400000, v52
	v_cmp_u_f32_e32 vcc_lo, v52, v52
	v_add_f32_e32 v28, v28, v37
	v_add3_u32 v53, v53, v52, 0x7fff
	v_cndmask_b32_e32 v52, v53, v54, vcc_lo
	v_bfe_u32 v53, v50, 16, 1
	v_or_b32_e32 v54, 0x400000, v50
	v_cmp_u_f32_e32 vcc_lo, v50, v50
	v_and_b32_e32 v38, 0xffff0000, v52
	v_add3_u32 v53, v53, v50, 0x7fff
	buffer_load_dword v52, off, s[0:3], s32 offset:432 ; 4-byte Folded Reload
	v_cndmask_b32_e32 v50, v53, v54, vcc_lo
	v_and_b32_e32 v37, 0xffff0000, v50
	buffer_load_dword v50, off, s[0:3], s32 offset:420 ; 4-byte Folded Reload
	v_add_f32_e32 v37, v37, v38
	v_add_f32_e32 v28, v28, v37
	s_waitcnt vmcnt(3)
	v_add_f32_e32 v48, v48, v28
	v_lshlrev_b32_e32 v28, 16, v34
	v_mul_f32_e32 v28, v8, v28
	v_bfe_u32 v34, v28, 16, 1
	v_or_b32_e32 v37, 0x400000, v28
	v_cmp_u_f32_e32 vcc_lo, v28, v28
	v_add3_u32 v34, v34, v28, 0x7fff
	v_cndmask_b32_e32 v28, v34, v37, vcc_lo
	v_lshlrev_b32_e32 v34, 16, v35
	v_and_b32_e32 v28, 0xffff0000, v28
	v_mul_f32_e32 v34, v9, v34
	v_bfe_u32 v35, v34, 16, 1
	v_or_b32_e32 v37, 0x400000, v34
	v_cmp_u_f32_e32 vcc_lo, v34, v34
	v_add3_u32 v35, v35, v34, 0x7fff
	v_cndmask_b32_e32 v34, v35, v37, vcc_lo
	v_bfe_u32 v35, v31, 16, 1
	v_or_b32_e32 v37, 0x400000, v31
	v_cmp_u_f32_e32 vcc_lo, v31, v31
	v_and_b32_e32 v34, 0xffff0000, v34
	v_add3_u32 v35, v35, v31, 0x7fff
	v_add_f32_e32 v28, v34, v28
	v_cndmask_b32_e32 v31, v35, v37, vcc_lo
	v_bfe_u32 v35, v32, 16, 1
	v_or_b32_e32 v37, 0x400000, v32
	v_cmp_u_f32_e32 vcc_lo, v32, v32
	v_and_b32_e32 v31, 0xffff0000, v31
	v_add3_u32 v35, v35, v32, 0x7fff
	v_cndmask_b32_e32 v32, v35, v37, vcc_lo
	v_lshlrev_b32_e32 v35, 16, v101
	v_and_b32_e32 v32, 0xffff0000, v32
	v_mul_f32_e32 v35, v1, v35
	v_add_f32_e32 v31, v32, v31
	v_bfe_u32 v37, v35, 16, 1
	v_or_b32_e32 v38, 0x400000, v35
	v_cmp_u_f32_e32 vcc_lo, v35, v35
	v_add_f32_e32 v28, v28, v31
	v_add3_u32 v37, v37, v35, 0x7fff
	v_cndmask_b32_e32 v35, v37, v38, vcc_lo
	v_bfe_u32 v37, v29, 16, 1
	v_or_b32_e32 v38, 0x400000, v29
	v_cmp_u_f32_e32 vcc_lo, v29, v29
	v_and_b32_e32 v31, 0xffff0000, v35
	v_add3_u32 v37, v37, v29, 0x7fff
	v_cndmask_b32_e32 v29, v37, v38, vcc_lo
	v_bfe_u32 v37, v36, 16, 1
	v_or_b32_e32 v38, 0x400000, v36
	v_cmp_u_f32_e32 vcc_lo, v36, v36
	v_and_b32_e32 v29, 0xffff0000, v29
	v_add3_u32 v37, v37, v36, 0x7fff
	v_add_f32_e32 v29, v29, v31
	v_cndmask_b32_e32 v36, v37, v38, vcc_lo
	v_bfe_u32 v37, v33, 16, 1
	v_or_b32_e32 v38, 0x400000, v33
	v_cmp_u_f32_e32 vcc_lo, v33, v33
	v_add_f32_e32 v28, v28, v29
	v_and_b32_e32 v31, 0xffff0000, v36
	buffer_load_dword v36, off, s[0:3], s32 offset:396 ; 4-byte Folded Reload
	v_add3_u32 v37, v37, v33, 0x7fff
	v_cndmask_b32_e32 v33, v37, v38, vcc_lo
	s_clause 0x1
	buffer_load_dword v37, off, s[0:3], s32 offset:404
	buffer_load_dword v38, off, s[0:3], s32 offset:408
	v_and_b32_e32 v29, 0xffff0000, v33
	v_add_f32_e32 v29, v29, v31
	v_add_f32_e32 v28, v28, v29
	s_waitcnt vmcnt(2)
	v_add_f32_e32 v36, v36, v28
	v_lshlrev_b32_e32 v28, 16, v67
	v_mul_f32_e32 v28, v8, v28
	v_bfe_u32 v29, v28, 16, 1
	v_or_b32_e32 v31, 0x400000, v28
	v_cmp_u_f32_e32 vcc_lo, v28, v28
	v_add3_u32 v29, v29, v28, 0x7fff
	v_cndmask_b32_e32 v28, v29, v31, vcc_lo
	v_lshlrev_b32_e32 v29, 16, v98
	v_and_b32_e32 v28, 0xffff0000, v28
	v_mul_f32_e32 v29, v9, v29
	v_bfe_u32 v31, v29, 16, 1
	v_or_b32_e32 v32, 0x400000, v29
	v_cmp_u_f32_e32 vcc_lo, v29, v29
	v_add3_u32 v31, v31, v29, 0x7fff
	v_cndmask_b32_e32 v29, v31, v32, vcc_lo
	v_bfe_u32 v31, v20, 16, 1
	v_or_b32_e32 v32, 0x400000, v20
	v_cmp_u_f32_e32 vcc_lo, v20, v20
	v_and_b32_e32 v29, 0xffff0000, v29
	v_add3_u32 v31, v31, v20, 0x7fff
	v_add_f32_e32 v28, v29, v28
	v_cndmask_b32_e32 v20, v31, v32, vcc_lo
	v_lshlrev_b32_e32 v31, 16, v102
	v_and_b32_e32 v20, 0xffff0000, v20
	v_mul_f32_e32 v31, v7, v31
	v_bfe_u32 v32, v31, 16, 1
	v_or_b32_e32 v33, 0x400000, v31
	v_cmp_u_f32_e32 vcc_lo, v31, v31
	v_add3_u32 v32, v32, v31, 0x7fff
	v_cndmask_b32_e32 v31, v32, v33, vcc_lo
	v_bfe_u32 v32, v12, 16, 1
	v_or_b32_e32 v33, 0x400000, v12
	v_cmp_u_f32_e32 vcc_lo, v12, v12
	v_and_b32_e32 v29, 0xffff0000, v31
	v_add3_u32 v32, v32, v12, 0x7fff
	v_add_f32_e32 v20, v29, v20
	v_cndmask_b32_e32 v12, v32, v33, vcc_lo
	v_bfe_u32 v32, v13, 16, 1
	v_or_b32_e32 v33, 0x400000, v13
	v_cmp_u_f32_e32 vcc_lo, v13, v13
	v_add_f32_e32 v20, v28, v20
	v_and_b32_e32 v12, 0xffff0000, v12
	v_add3_u32 v32, v32, v13, 0x7fff
	v_cndmask_b32_e32 v13, v32, v33, vcc_lo
	v_lshlrev_b32_e32 v32, 16, v99
	v_and_b32_e32 v13, 0xffff0000, v13
	v_mul_f32_e32 v32, v0, v32
	v_add_f32_e32 v12, v13, v12
	v_bfe_u32 v33, v32, 16, 1
	v_or_b32_e32 v34, 0x400000, v32
	v_cmp_u_f32_e32 vcc_lo, v32, v32
	v_add_f32_e32 v12, v20, v12
	v_add3_u32 v33, v33, v32, 0x7fff
	v_cndmask_b32_e32 v32, v33, v34, vcc_lo
	v_bfe_u32 v33, v22, 16, 1
	v_or_b32_e32 v34, 0x400000, v22
	v_cmp_u_f32_e32 vcc_lo, v22, v22
	v_and_b32_e32 v20, 0xffff0000, v32
	v_add3_u32 v33, v33, v22, 0x7fff
	v_cndmask_b32_e32 v22, v33, v34, vcc_lo
	buffer_load_dword v34, off, s[0:3], s32 offset:400 ; 4-byte Folded Reload
	v_and_b32_e32 v13, 0xffff0000, v22
	v_add_f32_e32 v13, v13, v20
	v_add_f32_e32 v12, v12, v13
	s_waitcnt vmcnt(0)
	v_add_f32_e32 v34, v34, v12
	v_lshlrev_b32_e32 v12, 16, v27
	v_mul_f32_e32 v12, v8, v12
	v_bfe_u32 v13, v12, 16, 1
	v_or_b32_e32 v20, 0x400000, v12
	v_cmp_u_f32_e32 vcc_lo, v12, v12
	v_add3_u32 v13, v13, v12, 0x7fff
	v_cndmask_b32_e32 v12, v13, v20, vcc_lo
	v_lshlrev_b32_e32 v13, 16, v26
	v_and_b32_e32 v12, 0xffff0000, v12
	v_mul_f32_e32 v13, v9, v13
	v_bfe_u32 v20, v13, 16, 1
	v_or_b32_e32 v22, 0x400000, v13
	v_cmp_u_f32_e32 vcc_lo, v13, v13
	v_add3_u32 v20, v20, v13, 0x7fff
	v_cndmask_b32_e32 v13, v20, v22, vcc_lo
	v_lshlrev_b32_e32 v20, 16, v25
	v_and_b32_e32 v13, 0xffff0000, v13
	v_mul_f32_e32 v20, v3, v20
	v_add_f32_e32 v12, v13, v12
	v_bfe_u32 v22, v20, 16, 1
	v_or_b32_e32 v25, 0x400000, v20
	v_cmp_u_f32_e32 vcc_lo, v20, v20
	v_add3_u32 v22, v22, v20, 0x7fff
	v_cndmask_b32_e32 v20, v22, v25, vcc_lo
	v_lshlrev_b32_e32 v22, 16, v86
	v_and_b32_e32 v20, 0xffff0000, v20
	v_mul_f32_e32 v22, v7, v22
	v_bfe_u32 v25, v22, 16, 1
	v_or_b32_e32 v26, 0x400000, v22
	v_cmp_u_f32_e32 vcc_lo, v22, v22
	v_add3_u32 v25, v25, v22, 0x7fff
	v_cndmask_b32_e32 v22, v25, v26, vcc_lo
	v_bfe_u32 v25, v4, 16, 1
	v_or_b32_e32 v26, 0x400000, v4
	v_cmp_u_f32_e32 vcc_lo, v4, v4
	v_and_b32_e32 v13, 0xffff0000, v22
	v_add3_u32 v25, v25, v4, 0x7fff
	v_add_f32_e32 v13, v13, v20
	v_cndmask_b32_e32 v4, v25, v26, vcc_lo
	v_lshlrev_b32_e32 v25, 16, v87
	v_add_f32_e32 v12, v12, v13
	v_and_b32_e32 v4, 0xffff0000, v4
	v_mul_f32_e32 v25, v6, v25
	v_bfe_u32 v26, v25, 16, 1
	v_or_b32_e32 v27, 0x400000, v25
	v_cmp_u_f32_e32 vcc_lo, v25, v25
	v_add3_u32 v26, v26, v25, 0x7fff
	v_cndmask_b32_e32 v25, v26, v27, vcc_lo
	v_lshlrev_b32_e32 v26, 16, v68
	v_and_b32_e32 v13, 0xffff0000, v25
	v_mul_f32_e32 v26, v0, v26
	v_add_f32_e32 v4, v13, v4
	v_bfe_u32 v27, v26, 16, 1
	v_or_b32_e32 v28, 0x400000, v26
	v_cmp_u_f32_e32 vcc_lo, v26, v26
	v_add_f32_e32 v4, v12, v4
	v_add3_u32 v27, v27, v26, 0x7fff
	v_cndmask_b32_e32 v26, v27, v28, vcc_lo
	v_lshlrev_b32_e32 v27, 16, v55
	v_and_b32_e32 v13, 0xffff0000, v26
	v_mul_f32_e32 v27, v2, v27
	v_bfe_u32 v28, v27, 16, 1
	v_or_b32_e32 v29, 0x400000, v27
	v_cmp_u_f32_e32 vcc_lo, v27, v27
	v_add3_u32 v28, v28, v27, 0x7fff
	v_cndmask_b32_e32 v27, v28, v29, vcc_lo
	v_and_b32_e32 v12, 0xffff0000, v27
	v_add_f32_e32 v12, v12, v13
	v_add_f32_e32 v4, v4, v12
	v_add_f32_e32 v37, v37, v4
	v_lshlrev_b32_e32 v4, 16, v39
	buffer_load_dword v39, off, s[0:3], s32 offset:412 ; 4-byte Folded Reload
	v_mul_f32_e32 v4, v8, v4
	v_bfe_u32 v12, v4, 16, 1
	v_or_b32_e32 v13, 0x400000, v4
	v_cmp_u_f32_e32 vcc_lo, v4, v4
	v_add3_u32 v12, v12, v4, 0x7fff
	v_cndmask_b32_e32 v4, v12, v13, vcc_lo
	v_lshlrev_b32_e32 v12, 16, v21
	v_and_b32_e32 v4, 0xffff0000, v4
	v_mul_f32_e32 v12, v9, v12
	v_bfe_u32 v13, v12, 16, 1
	v_or_b32_e32 v20, 0x400000, v12
	v_cmp_u_f32_e32 vcc_lo, v12, v12
	v_add3_u32 v13, v13, v12, 0x7fff
	v_cndmask_b32_e32 v12, v13, v20, vcc_lo
	v_lshlrev_b32_e32 v13, 16, v125
	v_and_b32_e32 v12, 0xffff0000, v12
	v_mul_f32_e32 v13, v3, v13
	v_add_f32_e32 v4, v12, v4
	v_bfe_u32 v20, v13, 16, 1
	v_or_b32_e32 v21, 0x400000, v13
	v_cmp_u_f32_e32 vcc_lo, v13, v13
	v_add3_u32 v20, v20, v13, 0x7fff
	v_cndmask_b32_e32 v13, v20, v21, vcc_lo
	v_lshlrev_b32_e32 v20, 16, v126
	v_and_b32_e32 v13, 0xffff0000, v13
	v_mul_f32_e32 v20, v7, v20
	v_bfe_u32 v21, v20, 16, 1
	v_or_b32_e32 v22, 0x400000, v20
	v_cmp_u_f32_e32 vcc_lo, v20, v20
	v_add3_u32 v21, v21, v20, 0x7fff
	v_cndmask_b32_e32 v20, v21, v22, vcc_lo
	v_lshlrev_b32_e32 v21, 16, v123
	v_and_b32_e32 v12, 0xffff0000, v20
	v_mul_f32_e32 v21, v1, v21
	v_add_f32_e32 v12, v12, v13
	v_bfe_u32 v22, v21, 16, 1
	v_or_b32_e32 v25, 0x400000, v21
	v_cmp_u_f32_e32 vcc_lo, v21, v21
	v_add_f32_e32 v4, v4, v12
	v_add3_u32 v22, v22, v21, 0x7fff
	v_cndmask_b32_e32 v21, v22, v25, vcc_lo
	v_lshlrev_b32_e32 v22, 16, v124
	v_and_b32_e32 v13, 0xffff0000, v21
	v_mul_f32_e32 v22, v6, v22
	v_bfe_u32 v25, v22, 16, 1
	v_or_b32_e32 v26, 0x400000, v22
	v_cmp_u_f32_e32 vcc_lo, v22, v22
	v_add3_u32 v25, v25, v22, 0x7fff
	v_cndmask_b32_e32 v22, v25, v26, vcc_lo
	v_bfe_u32 v25, v5, 16, 1
	v_or_b32_e32 v26, 0x400000, v5
	v_cmp_u_f32_e32 vcc_lo, v5, v5
	v_and_b32_e32 v12, 0xffff0000, v22
	v_add3_u32 v25, v25, v5, 0x7fff
	v_add_f32_e32 v12, v12, v13
	v_cndmask_b32_e32 v5, v25, v26, vcc_lo
	v_lshlrev_b32_e32 v25, 16, v127
	v_add_f32_e32 v4, v4, v12
	v_and_b32_e32 v5, 0xffff0000, v5
	v_mul_f32_e32 v25, v2, v25
	v_bfe_u32 v26, v25, 16, 1
	v_or_b32_e32 v27, 0x400000, v25
	v_cmp_u_f32_e32 vcc_lo, v25, v25
	v_add3_u32 v26, v26, v25, 0x7fff
	v_cndmask_b32_e32 v25, v26, v27, vcc_lo
	v_and_b32_e32 v12, 0xffff0000, v25
	v_add_f32_e32 v5, v12, v5
	v_add_f32_e32 v4, v4, v5
	;; [unrolled: 1-line block ×3, first 2 shown]
	v_lshlrev_b32_e32 v4, 16, v122
	v_mul_f32_e32 v4, v8, v4
	v_bfe_u32 v5, v4, 16, 1
	v_or_b32_e32 v12, 0x400000, v4
	v_cmp_u_f32_e32 vcc_lo, v4, v4
	v_add3_u32 v5, v5, v4, 0x7fff
	v_cndmask_b32_e32 v4, v5, v12, vcc_lo
	v_lshlrev_b32_e32 v5, 16, v121
	v_and_b32_e32 v4, 0xffff0000, v4
	v_mul_f32_e32 v5, v9, v5
	v_bfe_u32 v12, v5, 16, 1
	v_or_b32_e32 v13, 0x400000, v5
	v_cmp_u_f32_e32 vcc_lo, v5, v5
	v_add3_u32 v12, v12, v5, 0x7fff
	v_cndmask_b32_e32 v5, v12, v13, vcc_lo
	v_lshlrev_b32_e32 v12, 16, v111
	v_and_b32_e32 v5, 0xffff0000, v5
	v_mul_f32_e32 v12, v3, v12
	v_add_f32_e32 v4, v5, v4
	v_bfe_u32 v13, v12, 16, 1
	v_or_b32_e32 v20, 0x400000, v12
	v_cmp_u_f32_e32 vcc_lo, v12, v12
	v_add3_u32 v13, v13, v12, 0x7fff
	v_cndmask_b32_e32 v12, v13, v20, vcc_lo
	v_lshlrev_b32_e32 v13, 16, v120
	v_and_b32_e32 v12, 0xffff0000, v12
	v_mul_f32_e32 v13, v7, v13
	v_bfe_u32 v20, v13, 16, 1
	v_or_b32_e32 v21, 0x400000, v13
	v_cmp_u_f32_e32 vcc_lo, v13, v13
	v_add3_u32 v20, v20, v13, 0x7fff
	v_cndmask_b32_e32 v13, v20, v21, vcc_lo
	v_lshlrev_b32_e32 v20, 16, v108
	v_and_b32_e32 v5, 0xffff0000, v13
	v_mul_f32_e32 v20, v1, v20
	v_add_f32_e32 v5, v5, v12
	v_bfe_u32 v21, v20, 16, 1
	v_or_b32_e32 v22, 0x400000, v20
	v_cmp_u_f32_e32 vcc_lo, v20, v20
	v_add_f32_e32 v4, v4, v5
	v_add3_u32 v21, v21, v20, 0x7fff
	v_cndmask_b32_e32 v20, v21, v22, vcc_lo
	v_lshlrev_b32_e32 v21, 16, v107
	v_and_b32_e32 v12, 0xffff0000, v20
	v_mul_f32_e32 v21, v6, v21
	v_bfe_u32 v22, v21, 16, 1
	v_or_b32_e32 v25, 0x400000, v21
	v_cmp_u_f32_e32 vcc_lo, v21, v21
	v_add3_u32 v22, v22, v21, 0x7fff
	v_cndmask_b32_e32 v21, v22, v25, vcc_lo
	v_lshlrev_b32_e32 v22, 16, v110
	v_and_b32_e32 v5, 0xffff0000, v21
	v_mul_f32_e32 v22, v0, v22
	v_add_f32_e32 v5, v5, v12
	v_bfe_u32 v25, v22, 16, 1
	v_or_b32_e32 v26, 0x400000, v22
	v_cmp_u_f32_e32 vcc_lo, v22, v22
	v_add_f32_e32 v4, v4, v5
	v_add3_u32 v25, v25, v22, 0x7fff
	v_cndmask_b32_e32 v22, v25, v26, vcc_lo
	v_lshlrev_b32_e32 v25, 16, v109
	v_and_b32_e32 v12, 0xffff0000, v22
	v_mul_f32_e32 v25, v2, v25
	v_bfe_u32 v26, v25, 16, 1
	v_or_b32_e32 v27, 0x400000, v25
	v_cmp_u_f32_e32 vcc_lo, v25, v25
	v_add3_u32 v26, v26, v25, 0x7fff
	v_cndmask_b32_e32 v25, v26, v27, vcc_lo
	v_and_b32_e32 v5, 0xffff0000, v25
	v_add_f32_e32 v5, v5, v12
	v_add_f32_e32 v4, v4, v5
	s_waitcnt vmcnt(0)
	v_add_f32_e32 v39, v39, v4
	v_lshlrev_b32_e32 v4, 16, v106
	v_mul_f32_e32 v4, v8, v4
	v_bfe_u32 v5, v4, 16, 1
	v_or_b32_e32 v12, 0x400000, v4
	v_cmp_u_f32_e32 vcc_lo, v4, v4
	v_add3_u32 v5, v5, v4, 0x7fff
	v_cndmask_b32_e32 v4, v5, v12, vcc_lo
	v_lshlrev_b32_e32 v5, 16, v105
	v_and_b32_e32 v4, 0xffff0000, v4
	v_mul_f32_e32 v5, v9, v5
	v_bfe_u32 v12, v5, 16, 1
	v_or_b32_e32 v13, 0x400000, v5
	v_cmp_u_f32_e32 vcc_lo, v5, v5
	v_add3_u32 v12, v12, v5, 0x7fff
	v_cndmask_b32_e32 v5, v12, v13, vcc_lo
	v_lshlrev_b32_e32 v12, 16, v95
	v_and_b32_e32 v5, 0xffff0000, v5
	v_mul_f32_e32 v12, v3, v12
	v_add_f32_e32 v4, v5, v4
	v_bfe_u32 v13, v12, 16, 1
	v_or_b32_e32 v20, 0x400000, v12
	v_cmp_u_f32_e32 vcc_lo, v12, v12
	v_add3_u32 v13, v13, v12, 0x7fff
	v_cndmask_b32_e32 v12, v13, v20, vcc_lo
	v_lshlrev_b32_e32 v13, 16, v104
	v_and_b32_e32 v12, 0xffff0000, v12
	v_mul_f32_e32 v13, v7, v13
	v_bfe_u32 v20, v13, 16, 1
	v_or_b32_e32 v21, 0x400000, v13
	v_cmp_u_f32_e32 vcc_lo, v13, v13
	v_add3_u32 v20, v20, v13, 0x7fff
	v_cndmask_b32_e32 v13, v20, v21, vcc_lo
	buffer_load_dword v20, off, s[0:3], s32 offset:364 ; 4-byte Folded Reload
	v_and_b32_e32 v5, 0xffff0000, v13
	v_add_f32_e32 v5, v5, v12
	v_add_f32_e32 v4, v4, v5
	s_waitcnt vmcnt(0)
	v_lshlrev_b32_e32 v20, 16, v20
	v_mul_f32_e32 v20, v1, v20
	v_bfe_u32 v21, v20, 16, 1
	v_or_b32_e32 v22, 0x400000, v20
	v_cmp_u_f32_e32 vcc_lo, v20, v20
	v_add3_u32 v21, v21, v20, 0x7fff
	v_cndmask_b32_e32 v20, v21, v22, vcc_lo
	buffer_load_dword v21, off, s[0:3], s32 offset:360 ; 4-byte Folded Reload
	v_and_b32_e32 v12, 0xffff0000, v20
	s_waitcnt vmcnt(0)
	v_lshlrev_b32_e32 v21, 16, v21
	v_mul_f32_e32 v21, v6, v21
	v_bfe_u32 v22, v21, 16, 1
	v_or_b32_e32 v25, 0x400000, v21
	v_cmp_u_f32_e32 vcc_lo, v21, v21
	v_add3_u32 v22, v22, v21, 0x7fff
	v_cndmask_b32_e32 v21, v22, v25, vcc_lo
	v_lshlrev_b32_e32 v22, 16, v94
	v_and_b32_e32 v5, 0xffff0000, v21
	v_mul_f32_e32 v22, v0, v22
	v_add_f32_e32 v5, v5, v12
	v_bfe_u32 v25, v22, 16, 1
	v_or_b32_e32 v26, 0x400000, v22
	v_cmp_u_f32_e32 vcc_lo, v22, v22
	v_add_f32_e32 v4, v4, v5
	v_add3_u32 v25, v25, v22, 0x7fff
	v_cndmask_b32_e32 v22, v25, v26, vcc_lo
	buffer_load_dword v25, off, s[0:3], s32 offset:368 ; 4-byte Folded Reload
	v_and_b32_e32 v12, 0xffff0000, v22
	s_waitcnt vmcnt(0)
	v_lshlrev_b32_e32 v25, 16, v25
	v_mul_f32_e32 v25, v2, v25
	v_bfe_u32 v26, v25, 16, 1
	v_or_b32_e32 v27, 0x400000, v25
	v_cmp_u_f32_e32 vcc_lo, v25, v25
	v_add3_u32 v26, v26, v25, 0x7fff
	v_cndmask_b32_e32 v25, v26, v27, vcc_lo
	v_and_b32_e32 v5, 0xffff0000, v25
	v_add_f32_e32 v5, v5, v12
	v_add_f32_e32 v4, v4, v5
	;; [unrolled: 1-line block ×3, first 2 shown]
	buffer_load_dword v4, off, s[0:3], s32 offset:356 ; 4-byte Folded Reload
	s_waitcnt vmcnt(0)
	v_lshlrev_b32_e32 v4, 16, v4
	v_mul_f32_e32 v4, v8, v4
	v_bfe_u32 v5, v4, 16, 1
	v_or_b32_e32 v12, 0x400000, v4
	v_cmp_u_f32_e32 vcc_lo, v4, v4
	v_add3_u32 v5, v5, v4, 0x7fff
	v_cndmask_b32_e32 v4, v5, v12, vcc_lo
	buffer_load_dword v5, off, s[0:3], s32 offset:352 ; 4-byte Folded Reload
	v_and_b32_e32 v4, 0xffff0000, v4
	s_waitcnt vmcnt(0)
	v_lshlrev_b32_e32 v5, 16, v5
	v_mul_f32_e32 v5, v9, v5
	v_bfe_u32 v12, v5, 16, 1
	v_or_b32_e32 v13, 0x400000, v5
	v_cmp_u_f32_e32 vcc_lo, v5, v5
	v_add3_u32 v12, v12, v5, 0x7fff
	v_cndmask_b32_e32 v5, v12, v13, vcc_lo
	buffer_load_dword v12, off, s[0:3], s32 offset:344 ; 4-byte Folded Reload
	v_and_b32_e32 v5, 0xffff0000, v5
	v_add_f32_e32 v4, v5, v4
	s_waitcnt vmcnt(0)
	v_lshlrev_b32_e32 v12, 16, v12
	v_mul_f32_e32 v12, v3, v12
	v_bfe_u32 v13, v12, 16, 1
	v_or_b32_e32 v20, 0x400000, v12
	v_cmp_u_f32_e32 vcc_lo, v12, v12
	v_add3_u32 v13, v13, v12, 0x7fff
	v_cndmask_b32_e32 v12, v13, v20, vcc_lo
	buffer_load_dword v13, off, s[0:3], s32 offset:348 ; 4-byte Folded Reload
	v_and_b32_e32 v12, 0xffff0000, v12
	s_waitcnt vmcnt(0)
	v_lshlrev_b32_e32 v13, 16, v13
	v_mul_f32_e32 v13, v7, v13
	v_bfe_u32 v20, v13, 16, 1
	v_or_b32_e32 v21, 0x400000, v13
	v_cmp_u_f32_e32 vcc_lo, v13, v13
	v_add3_u32 v20, v20, v13, 0x7fff
	v_cndmask_b32_e32 v13, v20, v21, vcc_lo
	buffer_load_dword v20, off, s[0:3], s32 offset:332 ; 4-byte Folded Reload
	v_and_b32_e32 v5, 0xffff0000, v13
	v_add_f32_e32 v5, v5, v12
	v_add_f32_e32 v4, v4, v5
	s_waitcnt vmcnt(0)
	v_lshlrev_b32_e32 v20, 16, v20
	v_mul_f32_e32 v20, v1, v20
	v_bfe_u32 v21, v20, 16, 1
	v_or_b32_e32 v22, 0x400000, v20
	v_cmp_u_f32_e32 vcc_lo, v20, v20
	v_add3_u32 v21, v21, v20, 0x7fff
	v_cndmask_b32_e32 v20, v21, v22, vcc_lo
	buffer_load_dword v21, off, s[0:3], s32 offset:328 ; 4-byte Folded Reload
	v_and_b32_e32 v12, 0xffff0000, v20
	s_waitcnt vmcnt(0)
	v_lshlrev_b32_e32 v21, 16, v21
	v_mul_f32_e32 v21, v6, v21
	v_bfe_u32 v22, v21, 16, 1
	v_or_b32_e32 v25, 0x400000, v21
	v_cmp_u_f32_e32 vcc_lo, v21, v21
	v_add3_u32 v22, v22, v21, 0x7fff
	v_cndmask_b32_e32 v21, v22, v25, vcc_lo
	buffer_load_dword v22, off, s[0:3], s32 offset:340 ; 4-byte Folded Reload
	v_and_b32_e32 v5, 0xffff0000, v21
	v_add_f32_e32 v5, v5, v12
	v_add_f32_e32 v4, v4, v5
	s_waitcnt vmcnt(0)
	v_lshlrev_b32_e32 v22, 16, v22
	v_mul_f32_e32 v22, v0, v22
	v_bfe_u32 v25, v22, 16, 1
	v_or_b32_e32 v26, 0x400000, v22
	v_cmp_u_f32_e32 vcc_lo, v22, v22
	v_add3_u32 v25, v25, v22, 0x7fff
	v_cndmask_b32_e32 v22, v25, v26, vcc_lo
	buffer_load_dword v25, off, s[0:3], s32 offset:336 ; 4-byte Folded Reload
	v_and_b32_e32 v12, 0xffff0000, v22
	s_waitcnt vmcnt(0)
	v_lshlrev_b32_e32 v25, 16, v25
	v_mul_f32_e32 v25, v2, v25
	v_bfe_u32 v26, v25, 16, 1
	v_or_b32_e32 v27, 0x400000, v25
	v_cmp_u_f32_e32 vcc_lo, v25, v25
	v_add3_u32 v26, v26, v25, 0x7fff
	v_cndmask_b32_e32 v25, v26, v27, vcc_lo
	v_and_b32_e32 v5, 0xffff0000, v25
	v_add_f32_e32 v5, v5, v12
	v_add_f32_e32 v4, v4, v5
	;; [unrolled: 1-line block ×3, first 2 shown]
	buffer_load_dword v4, off, s[0:3], s32 offset:324 ; 4-byte Folded Reload
	s_waitcnt vmcnt(0)
	v_lshlrev_b32_e32 v4, 16, v4
	v_mul_f32_e32 v4, v8, v4
	v_bfe_u32 v5, v4, 16, 1
	v_or_b32_e32 v12, 0x400000, v4
	v_cmp_u_f32_e32 vcc_lo, v4, v4
	v_add3_u32 v5, v5, v4, 0x7fff
	v_cndmask_b32_e32 v4, v5, v12, vcc_lo
	buffer_load_dword v5, off, s[0:3], s32 offset:320 ; 4-byte Folded Reload
	v_and_b32_e32 v4, 0xffff0000, v4
	s_waitcnt vmcnt(0)
	v_lshlrev_b32_e32 v5, 16, v5
	v_mul_f32_e32 v5, v9, v5
	v_bfe_u32 v12, v5, 16, 1
	v_or_b32_e32 v13, 0x400000, v5
	v_cmp_u_f32_e32 vcc_lo, v5, v5
	v_add3_u32 v12, v12, v5, 0x7fff
	v_cndmask_b32_e32 v5, v12, v13, vcc_lo
	buffer_load_dword v12, off, s[0:3], s32 offset:312 ; 4-byte Folded Reload
	v_and_b32_e32 v5, 0xffff0000, v5
	v_add_f32_e32 v4, v5, v4
	s_waitcnt vmcnt(0)
	v_lshlrev_b32_e32 v12, 16, v12
	v_mul_f32_e32 v12, v3, v12
	v_bfe_u32 v13, v12, 16, 1
	v_or_b32_e32 v20, 0x400000, v12
	v_cmp_u_f32_e32 vcc_lo, v12, v12
	v_add3_u32 v13, v13, v12, 0x7fff
	v_cndmask_b32_e32 v12, v13, v20, vcc_lo
	buffer_load_dword v13, off, s[0:3], s32 offset:316 ; 4-byte Folded Reload
	v_and_b32_e32 v12, 0xffff0000, v12
	s_waitcnt vmcnt(0)
	v_lshlrev_b32_e32 v13, 16, v13
	v_mul_f32_e32 v13, v7, v13
	v_bfe_u32 v20, v13, 16, 1
	v_or_b32_e32 v21, 0x400000, v13
	v_cmp_u_f32_e32 vcc_lo, v13, v13
	v_add3_u32 v20, v20, v13, 0x7fff
	v_cndmask_b32_e32 v13, v20, v21, vcc_lo
	buffer_load_dword v20, off, s[0:3], s32 offset:304 ; 4-byte Folded Reload
	v_and_b32_e32 v5, 0xffff0000, v13
	v_add_f32_e32 v5, v5, v12
	v_add_f32_e32 v4, v4, v5
	s_waitcnt vmcnt(0)
	v_lshlrev_b32_e32 v20, 16, v20
	v_mul_f32_e32 v20, v1, v20
	v_bfe_u32 v21, v20, 16, 1
	v_or_b32_e32 v22, 0x400000, v20
	v_cmp_u_f32_e32 vcc_lo, v20, v20
	v_add3_u32 v21, v21, v20, 0x7fff
	v_cndmask_b32_e32 v20, v21, v22, vcc_lo
	buffer_load_dword v21, off, s[0:3], s32 offset:296 ; 4-byte Folded Reload
	v_and_b32_e32 v12, 0xffff0000, v20
	s_waitcnt vmcnt(0)
	v_lshlrev_b32_e32 v21, 16, v21
	v_mul_f32_e32 v21, v6, v21
	v_bfe_u32 v22, v21, 16, 1
	v_or_b32_e32 v25, 0x400000, v21
	v_cmp_u_f32_e32 vcc_lo, v21, v21
	v_add3_u32 v22, v22, v21, 0x7fff
	v_cndmask_b32_e32 v21, v22, v25, vcc_lo
	buffer_load_dword v22, off, s[0:3], s32 offset:308 ; 4-byte Folded Reload
	v_and_b32_e32 v5, 0xffff0000, v21
	v_add_f32_e32 v5, v5, v12
	v_add_f32_e32 v4, v4, v5
	s_waitcnt vmcnt(0)
	v_lshlrev_b32_e32 v22, 16, v22
	v_mul_f32_e32 v22, v0, v22
	v_bfe_u32 v25, v22, 16, 1
	v_or_b32_e32 v26, 0x400000, v22
	v_cmp_u_f32_e32 vcc_lo, v22, v22
	v_add3_u32 v25, v25, v22, 0x7fff
	v_cndmask_b32_e32 v22, v25, v26, vcc_lo
	buffer_load_dword v25, off, s[0:3], s32 offset:300 ; 4-byte Folded Reload
	v_and_b32_e32 v12, 0xffff0000, v22
	s_waitcnt vmcnt(0)
	v_lshlrev_b32_e32 v25, 16, v25
	v_mul_f32_e32 v25, v2, v25
	v_bfe_u32 v26, v25, 16, 1
	v_or_b32_e32 v27, 0x400000, v25
	v_cmp_u_f32_e32 vcc_lo, v25, v25
	v_add3_u32 v26, v26, v25, 0x7fff
	v_cndmask_b32_e32 v25, v26, v27, vcc_lo
	v_and_b32_e32 v5, 0xffff0000, v25
	v_add_f32_e32 v5, v5, v12
	v_add_f32_e32 v4, v4, v5
	;; [unrolled: 1-line block ×3, first 2 shown]
	buffer_load_dword v4, off, s[0:3], s32 offset:292 ; 4-byte Folded Reload
	s_waitcnt vmcnt(0)
	v_lshlrev_b32_e32 v4, 16, v4
	v_mul_f32_e32 v4, v8, v4
	v_bfe_u32 v5, v4, 16, 1
	v_or_b32_e32 v12, 0x400000, v4
	v_cmp_u_f32_e32 vcc_lo, v4, v4
	v_add3_u32 v5, v5, v4, 0x7fff
	v_cndmask_b32_e32 v4, v5, v12, vcc_lo
	buffer_load_dword v5, off, s[0:3], s32 offset:288 ; 4-byte Folded Reload
	v_and_b32_e32 v4, 0xffff0000, v4
	s_waitcnt vmcnt(0)
	v_lshlrev_b32_e32 v5, 16, v5
	v_mul_f32_e32 v5, v9, v5
	v_bfe_u32 v12, v5, 16, 1
	v_or_b32_e32 v13, 0x400000, v5
	v_cmp_u_f32_e32 vcc_lo, v5, v5
	v_add3_u32 v12, v12, v5, 0x7fff
	v_cndmask_b32_e32 v5, v12, v13, vcc_lo
	buffer_load_dword v12, off, s[0:3], s32 offset:280 ; 4-byte Folded Reload
	v_and_b32_e32 v5, 0xffff0000, v5
	v_add_f32_e32 v4, v5, v4
	s_waitcnt vmcnt(0)
	v_lshlrev_b32_e32 v12, 16, v12
	v_mul_f32_e32 v12, v3, v12
	v_bfe_u32 v13, v12, 16, 1
	v_or_b32_e32 v20, 0x400000, v12
	v_cmp_u_f32_e32 vcc_lo, v12, v12
	v_add3_u32 v13, v13, v12, 0x7fff
	v_cndmask_b32_e32 v12, v13, v20, vcc_lo
	buffer_load_dword v13, off, s[0:3], s32 offset:284 ; 4-byte Folded Reload
	v_and_b32_e32 v12, 0xffff0000, v12
	s_waitcnt vmcnt(0)
	v_lshlrev_b32_e32 v13, 16, v13
	v_mul_f32_e32 v13, v7, v13
	v_bfe_u32 v20, v13, 16, 1
	v_or_b32_e32 v21, 0x400000, v13
	v_cmp_u_f32_e32 vcc_lo, v13, v13
	v_add3_u32 v20, v20, v13, 0x7fff
	v_cndmask_b32_e32 v13, v20, v21, vcc_lo
	buffer_load_dword v20, off, s[0:3], s32 offset:276 ; 4-byte Folded Reload
	v_and_b32_e32 v5, 0xffff0000, v13
	v_add_f32_e32 v5, v5, v12
	v_add_f32_e32 v4, v4, v5
	s_waitcnt vmcnt(0)
	v_lshlrev_b32_e32 v20, 16, v20
	v_mul_f32_e32 v20, v1, v20
	v_bfe_u32 v21, v20, 16, 1
	v_or_b32_e32 v22, 0x400000, v20
	v_cmp_u_f32_e32 vcc_lo, v20, v20
	v_add3_u32 v21, v21, v20, 0x7fff
	v_cndmask_b32_e32 v20, v21, v22, vcc_lo
	buffer_load_dword v21, off, s[0:3], s32 offset:268 ; 4-byte Folded Reload
	v_and_b32_e32 v12, 0xffff0000, v20
	s_waitcnt vmcnt(0)
	v_lshlrev_b32_e32 v21, 16, v21
	v_mul_f32_e32 v21, v6, v21
	v_bfe_u32 v22, v21, 16, 1
	v_or_b32_e32 v25, 0x400000, v21
	v_cmp_u_f32_e32 vcc_lo, v21, v21
	v_add3_u32 v22, v22, v21, 0x7fff
	v_cndmask_b32_e32 v21, v22, v25, vcc_lo
	buffer_load_dword v22, off, s[0:3], s32 offset:272 ; 4-byte Folded Reload
	v_and_b32_e32 v5, 0xffff0000, v21
	v_add_f32_e32 v5, v5, v12
	v_add_f32_e32 v4, v4, v5
	s_waitcnt vmcnt(0)
	v_lshlrev_b32_e32 v22, 16, v22
	v_mul_f32_e32 v22, v0, v22
	v_bfe_u32 v25, v22, 16, 1
	v_or_b32_e32 v26, 0x400000, v22
	v_cmp_u_f32_e32 vcc_lo, v22, v22
	v_add3_u32 v25, v25, v22, 0x7fff
	v_cndmask_b32_e32 v22, v25, v26, vcc_lo
	buffer_load_dword v25, off, s[0:3], s32 offset:264 ; 4-byte Folded Reload
	v_and_b32_e32 v12, 0xffff0000, v22
	s_waitcnt vmcnt(0)
	v_lshlrev_b32_e32 v25, 16, v25
	v_mul_f32_e32 v25, v2, v25
	v_bfe_u32 v26, v25, 16, 1
	v_or_b32_e32 v27, 0x400000, v25
	v_cmp_u_f32_e32 vcc_lo, v25, v25
	v_add3_u32 v26, v26, v25, 0x7fff
	v_cndmask_b32_e32 v25, v26, v27, vcc_lo
	v_and_b32_e32 v5, 0xffff0000, v25
	v_add_f32_e32 v5, v5, v12
	v_add_f32_e32 v4, v4, v5
	;; [unrolled: 1-line block ×3, first 2 shown]
	buffer_load_dword v4, off, s[0:3], s32 offset:260 ; 4-byte Folded Reload
	s_waitcnt vmcnt(0)
	v_lshlrev_b32_e32 v4, 16, v4
	v_mul_f32_e32 v4, v8, v4
	v_bfe_u32 v5, v4, 16, 1
	v_or_b32_e32 v12, 0x400000, v4
	v_cmp_u_f32_e32 vcc_lo, v4, v4
	v_add3_u32 v5, v5, v4, 0x7fff
	v_cndmask_b32_e32 v4, v5, v12, vcc_lo
	buffer_load_dword v5, off, s[0:3], s32 offset:256 ; 4-byte Folded Reload
	v_and_b32_e32 v4, 0xffff0000, v4
	s_waitcnt vmcnt(0)
	v_lshlrev_b32_e32 v5, 16, v5
	v_mul_f32_e32 v5, v9, v5
	v_bfe_u32 v12, v5, 16, 1
	v_or_b32_e32 v13, 0x400000, v5
	v_cmp_u_f32_e32 vcc_lo, v5, v5
	v_add3_u32 v12, v12, v5, 0x7fff
	v_cndmask_b32_e32 v5, v12, v13, vcc_lo
	buffer_load_dword v12, off, s[0:3], s32 offset:248 ; 4-byte Folded Reload
	v_and_b32_e32 v5, 0xffff0000, v5
	v_add_f32_e32 v4, v5, v4
	s_waitcnt vmcnt(0)
	v_lshlrev_b32_e32 v12, 16, v12
	v_mul_f32_e32 v12, v3, v12
	v_bfe_u32 v13, v12, 16, 1
	v_or_b32_e32 v20, 0x400000, v12
	v_cmp_u_f32_e32 vcc_lo, v12, v12
	v_add3_u32 v13, v13, v12, 0x7fff
	v_cndmask_b32_e32 v12, v13, v20, vcc_lo
	buffer_load_dword v13, off, s[0:3], s32 offset:252 ; 4-byte Folded Reload
	v_and_b32_e32 v12, 0xffff0000, v12
	s_waitcnt vmcnt(0)
	v_lshlrev_b32_e32 v13, 16, v13
	v_mul_f32_e32 v13, v7, v13
	v_bfe_u32 v20, v13, 16, 1
	v_or_b32_e32 v21, 0x400000, v13
	v_cmp_u_f32_e32 vcc_lo, v13, v13
	v_add3_u32 v20, v20, v13, 0x7fff
	v_cndmask_b32_e32 v13, v20, v21, vcc_lo
	buffer_load_dword v20, off, s[0:3], s32 offset:244 ; 4-byte Folded Reload
	v_and_b32_e32 v5, 0xffff0000, v13
	v_add_f32_e32 v5, v5, v12
	v_add_f32_e32 v4, v4, v5
	s_waitcnt vmcnt(0)
	v_lshlrev_b32_e32 v20, 16, v20
	v_mul_f32_e32 v20, v1, v20
	v_bfe_u32 v21, v20, 16, 1
	v_or_b32_e32 v22, 0x400000, v20
	v_cmp_u_f32_e32 vcc_lo, v20, v20
	v_add3_u32 v21, v21, v20, 0x7fff
	v_cndmask_b32_e32 v20, v21, v22, vcc_lo
	buffer_load_dword v21, off, s[0:3], s32 offset:204 ; 4-byte Folded Reload
	v_and_b32_e32 v12, 0xffff0000, v20
	s_waitcnt vmcnt(0)
	v_lshlrev_b32_e32 v21, 16, v21
	v_mul_f32_e32 v21, v6, v21
	v_bfe_u32 v22, v21, 16, 1
	v_or_b32_e32 v25, 0x400000, v21
	v_cmp_u_f32_e32 vcc_lo, v21, v21
	v_add3_u32 v22, v22, v21, 0x7fff
	v_cndmask_b32_e32 v21, v22, v25, vcc_lo
	buffer_load_dword v22, off, s[0:3], s32 offset:240 ; 4-byte Folded Reload
	v_and_b32_e32 v5, 0xffff0000, v21
	v_add_f32_e32 v5, v5, v12
	v_add_f32_e32 v4, v4, v5
	s_waitcnt vmcnt(0)
	v_lshlrev_b32_e32 v22, 16, v22
	v_mul_f32_e32 v22, v0, v22
	v_bfe_u32 v25, v22, 16, 1
	v_or_b32_e32 v26, 0x400000, v22
	v_cmp_u_f32_e32 vcc_lo, v22, v22
	v_add3_u32 v25, v25, v22, 0x7fff
	v_cndmask_b32_e32 v22, v25, v26, vcc_lo
	buffer_load_dword v25, off, s[0:3], s32 offset:200 ; 4-byte Folded Reload
	v_and_b32_e32 v12, 0xffff0000, v22
	s_waitcnt vmcnt(0)
	v_lshlrev_b32_e32 v25, 16, v25
	v_mul_f32_e32 v25, v2, v25
	v_bfe_u32 v26, v25, 16, 1
	v_or_b32_e32 v27, 0x400000, v25
	v_cmp_u_f32_e32 vcc_lo, v25, v25
	v_add3_u32 v26, v26, v25, 0x7fff
	v_cndmask_b32_e32 v25, v26, v27, vcc_lo
	v_and_b32_e32 v5, 0xffff0000, v25
	v_add_f32_e32 v5, v5, v12
	buffer_load_dword v12, off, s[0:3], s32 offset:428 ; 4-byte Folded Reload
	v_add_f32_e32 v4, v4, v5
	s_waitcnt vmcnt(0)
	v_add_f32_e32 v12, v12, v4
	v_lshlrev_b32_e32 v4, 16, v112
	v_mul_f32_e32 v4, v9, v4
	v_bfe_u32 v5, v4, 16, 1
	v_or_b32_e32 v9, 0x400000, v4
	v_cmp_u_f32_e32 vcc_lo, v4, v4
	v_add3_u32 v5, v5, v4, 0x7fff
	v_cndmask_b32_e32 v4, v5, v9, vcc_lo
	v_lshlrev_b32_e32 v5, 16, v24
	v_and_b32_e32 v4, 0xffff0000, v4
	v_mul_f32_e32 v5, v8, v5
	v_bfe_u32 v8, v5, 16, 1
	v_or_b32_e32 v9, 0x400000, v5
	v_cmp_u_f32_e32 vcc_lo, v5, v5
	v_add3_u32 v8, v8, v5, 0x7fff
	v_cndmask_b32_e32 v5, v8, v9, vcc_lo
	v_lshlrev_b32_e32 v8, 16, v19
	v_and_b32_e32 v5, 0xffff0000, v5
	v_mul_f32_e32 v7, v7, v8
	v_add_f32_e32 v4, v4, v5
	v_bfe_u32 v8, v7, 16, 1
	v_or_b32_e32 v9, 0x400000, v7
	v_cmp_u_f32_e32 vcc_lo, v7, v7
	v_add3_u32 v8, v8, v7, 0x7fff
	v_cndmask_b32_e32 v7, v8, v9, vcc_lo
	v_lshlrev_b32_e32 v8, 16, v17
	v_and_b32_e32 v5, 0xffff0000, v7
	v_mul_f32_e32 v3, v3, v8
	v_bfe_u32 v8, v3, 16, 1
	v_or_b32_e32 v9, 0x400000, v3
	v_cmp_u_f32_e32 vcc_lo, v3, v3
	v_add3_u32 v8, v8, v3, 0x7fff
	v_cndmask_b32_e32 v3, v8, v9, vcc_lo
	v_lshlrev_b32_e32 v8, 16, v16
	v_and_b32_e32 v3, 0xffff0000, v3
	v_mul_f32_e32 v6, v6, v8
	v_add_f32_e32 v3, v5, v3
	v_bfe_u32 v8, v6, 16, 1
	v_or_b32_e32 v9, 0x400000, v6
	v_cmp_u_f32_e32 vcc_lo, v6, v6
	v_add_f32_e32 v3, v4, v3
	v_add3_u32 v8, v8, v6, 0x7fff
	v_cndmask_b32_e32 v6, v8, v9, vcc_lo
	v_lshlrev_b32_e32 v8, 16, v10
	v_and_b32_e32 v4, 0xffff0000, v6
	v_mul_f32_e32 v1, v1, v8
	v_bfe_u32 v8, v1, 16, 1
	v_or_b32_e32 v9, 0x400000, v1
	v_cmp_u_f32_e32 vcc_lo, v1, v1
	v_add3_u32 v8, v8, v1, 0x7fff
	v_cndmask_b32_e32 v1, v8, v9, vcc_lo
	v_lshlrev_b32_e32 v8, 16, v18
	v_and_b32_e32 v1, 0xffff0000, v1
	v_mul_f32_e32 v2, v2, v8
	v_add_f32_e32 v1, v4, v1
	v_bfe_u32 v8, v2, 16, 1
	v_or_b32_e32 v9, 0x400000, v2
	v_cmp_u_f32_e32 vcc_lo, v2, v2
	v_add_f32_e32 v1, v3, v1
	v_add3_u32 v8, v8, v2, 0x7fff
	v_cndmask_b32_e32 v2, v8, v9, vcc_lo
	v_lshlrev_b32_e32 v8, 16, v23
	v_and_b32_e32 v2, 0xffff0000, v2
	v_mul_f32_e32 v0, v0, v8
	v_bfe_u32 v8, v0, 16, 1
	v_or_b32_e32 v9, 0x400000, v0
	v_cmp_u_f32_e32 vcc_lo, v0, v0
	v_add3_u32 v8, v8, v0, 0x7fff
	v_cndmask_b32_e32 v0, v8, v9, vcc_lo
	v_and_b32_e32 v0, 0xffff0000, v0
	v_add_f32_e32 v0, v2, v0
	v_add_f32_e32 v0, v1, v0
	;; [unrolled: 1-line block ×3, first 2 shown]
.LBB358_1065:                           ;   in Loop: Header=BB358_1066 Depth=1
	s_or_b32 exec_lo, exec_lo, s16
	s_clause 0x1
	buffer_load_dword v0, off, s[0:3], s32 offset:208
	buffer_load_dword v1, off, s[0:3], s32 offset:212
	v_mov_b32_e32 v4, v100
	v_add_co_u32 v14, s5, v14, 16
	v_add_co_ci_u32_e64 v15, null, 0, v15, s5
	v_add_nc_u32_e32 v4, 64, v4
	v_add_nc_u32_e32 v66, 0x100, v66
	s_waitcnt vmcnt(0)
	v_mov_b32_e32 v1, v0
	v_add_nc_u32_e32 v1, 4, v1
	v_mov_b32_e32 v0, v1
	buffer_store_dword v0, off, s[0:3], s32 offset:208 ; 4-byte Folded Spill
	buffer_store_dword v1, off, s[0:3], s32 offset:212 ; 4-byte Folded Spill
	buffer_load_dword v0, off, s[0:3], s32 offset:228 ; 4-byte Folded Reload
	s_waitcnt vmcnt(0)
	v_cmp_ge_i32_e32 vcc_lo, v1, v0
	s_or_b32 s15, vcc_lo, s15
	s_andn2_b32 exec_lo, exec_lo, s15
	s_cbranch_execz .LBB358_2123
.LBB358_1066:                           ; =>This Inner Loop Header: Depth=1
	buffer_load_dword v1, off, s[0:3], s32 offset:232 ; 4-byte Folded Reload
	s_waitcnt vmcnt(1)
	v_sub_nc_u32_e32 v0, 0, v4
	v_mov_b32_e32 v100, v4
	v_max_i32_e32 v0, v4, v0
	s_waitcnt vmcnt(0)
	v_mul_hi_u32 v1, v0, v1
	v_mul_lo_u32 v2, v1, v97
	v_sub_nc_u32_e32 v0, v0, v2
	v_add_nc_u32_e32 v2, 1, v1
	v_cmp_ge_u32_e32 vcc_lo, v0, v97
	v_sub_nc_u32_e32 v3, v0, v97
	v_cndmask_b32_e32 v1, v1, v2, vcc_lo
	v_ashrrev_i32_e32 v2, 31, v4
	buffer_load_dword v4, off, s[0:3], s32 offset:224 ; 4-byte Folded Reload
	v_cndmask_b32_e32 v0, v0, v3, vcc_lo
	v_add_nc_u32_e32 v3, 1, v1
	v_cmp_ge_u32_e32 vcc_lo, v0, v97
	v_cndmask_b32_e32 v0, v1, v3, vcc_lo
	s_waitcnt vmcnt(0)
	v_xor_b32_e32 v2, v2, v4
	v_xor_b32_e32 v0, v0, v2
	v_sub_nc_u32_e32 v0, v0, v2
	s_clause 0x2
	buffer_load_dword v1, off, s[0:3], s32 offset:216
	buffer_load_dword v2, off, s[0:3], s32 offset:220
	;; [unrolled: 1-line block ×3, first 2 shown]
	s_waitcnt vmcnt(2)
	v_add_nc_u32_e32 v1, v0, v1
	s_waitcnt vmcnt(1)
	v_sub_nc_u32_e32 v2, 0, v1
	v_max_i32_e32 v2, v1, v2
	v_ashrrev_i32_e32 v1, 31, v1
	s_waitcnt vmcnt(0)
	v_mul_hi_u32 v3, v2, v3
	v_mul_lo_u32 v3, v3, v30
	v_sub_nc_u32_e32 v2, v2, v3
	v_sub_nc_u32_e32 v3, v2, v30
	v_cmp_ge_u32_e32 vcc_lo, v2, v30
	v_cndmask_b32_e32 v2, v2, v3, vcc_lo
	v_sub_nc_u32_e32 v3, v2, v30
	v_cmp_ge_u32_e32 vcc_lo, v2, v30
	v_cndmask_b32_e32 v2, v2, v3, vcc_lo
	v_xor_b32_e32 v2, v2, v1
	v_sub_nc_u32_e32 v1, v2, v1
	v_cmp_eq_u32_e32 vcc_lo, 0, v1
	buffer_load_dword v1, off, s[0:3], s32 offset:236 ; 4-byte Folded Reload
	s_waitcnt vmcnt(0)
	v_cmp_gt_i32_e64 s5, v0, v1
	s_or_b32 s5, vcc_lo, s5
	s_and_saveexec_b32 s16, s5
	s_cbranch_execz .LBB358_1065
; %bb.1067:                             ;   in Loop: Header=BB358_1066 Depth=1
	buffer_store_dword v52, off, s[0:3], s32 offset:432 ; 4-byte Folded Spill
	buffer_store_dword v12, off, s[0:3], s32 offset:428 ; 4-byte Folded Spill
	;; [unrolled: 1-line block ×15, first 2 shown]
	flat_load_dword v0, v[14:15]
	s_clause 0x2
	buffer_load_dword v1, off, s[0:3], s32 offset:476
	buffer_load_dword v2, off, s[0:3], s32 offset:444
	;; [unrolled: 1-line block ×3, first 2 shown]
	v_mov_b32_e32 v5, 0
	v_mov_b32_e32 v4, 0
	s_waitcnt vmcnt(0) lgkmcnt(0)
	v_mad_i64_i32 v[16:17], null, v0, v1, v[2:3]
	flat_load_dwordx2 v[18:19], v[16:17]
	s_clause 0x1
	buffer_load_dword v0, off, s[0:3], s32 offset:524
	buffer_load_dword v1, off, s[0:3], s32 offset:528
	s_waitcnt vmcnt(2) lgkmcnt(0)
	v_cmp_ne_u16_sdwa s17, v18, v11 src0_sel:BYTE_0 src1_sel:DWORD
	s_waitcnt vmcnt(0)
	flat_load_dword v58, v[0:1]
	ds_read2_b64 v[6:9], v66 offset1:1
	ds_read2_b64 v[0:3], v66 offset0:2 offset1:3
	s_and_saveexec_b32 s5, s17
	s_cbranch_execz .LBB358_1075
; %bb.1068:                             ;   in Loop: Header=BB358_1066 Depth=1
	v_cmp_ne_u16_sdwa s18, v18, v65 src0_sel:BYTE_0 src1_sel:DWORD
	v_bfrev_b32_e32 v4, 1
	s_and_saveexec_b32 s17, s18
	s_cbranch_execz .LBB358_1074
; %bb.1069:                             ;   in Loop: Header=BB358_1066 Depth=1
	v_and_b32_e32 v10, 0x7f, v18
	v_mov_b32_e32 v4, 0x7f800001
	s_mov_b32 s18, exec_lo
	v_cmpx_ne_u32_e32 0x7f, v10
	s_cbranch_execz .LBB358_1073
; %bb.1070:                             ;   in Loop: Header=BB358_1066 Depth=1
	v_mov_b32_e32 v24, v19
	v_lshrrev_b32_e32 v4, 3, v10
	v_mov_b32_e32 v23, v18
	s_mov_b32 s20, exec_lo
	v_cmpx_gt_u32_e32 8, v10
; %bb.1071:                             ;   in Loop: Header=BB358_1066 Depth=1
	v_and_b32_e32 v4, 7, v18
	v_ffbh_u32_e32 v4, v4
	v_min_u32_e32 v4, 32, v4
	v_subrev_nc_u32_e32 v10, 28, v4
	v_sub_nc_u32_e32 v4, 29, v4
	v_lshlrev_b64 v[23:24], v10, v[18:19]
; %bb.1072:                             ;   in Loop: Header=BB358_1066 Depth=1
	s_or_b32 exec_lo, exec_lo, s20
	v_lshlrev_b32_e32 v10, 20, v23
	v_lshlrev_b32_e32 v12, 24, v18
	v_lshl_add_u32 v4, v4, 23, 0x3c000000
	v_and_b32_e32 v10, 0x700000, v10
	v_and_b32_e32 v12, 0x80000000, v12
	v_or3_b32 v4, v10, v12, v4
.LBB358_1073:                           ;   in Loop: Header=BB358_1066 Depth=1
	s_or_b32 exec_lo, exec_lo, s18
.LBB358_1074:                           ;   in Loop: Header=BB358_1066 Depth=1
	s_or_b32 exec_lo, exec_lo, s17
.LBB358_1075:                           ;   in Loop: Header=BB358_1066 Depth=1
	s_or_b32 exec_lo, exec_lo, s5
	v_cmp_ne_u16_sdwa s17, v18, v11 src0_sel:BYTE_1 src1_sel:DWORD
	s_and_saveexec_b32 s5, s17
	s_cbranch_execz .LBB358_1083
; %bb.1076:                             ;   in Loop: Header=BB358_1066 Depth=1
	v_cmp_ne_u16_sdwa s18, v18, v65 src0_sel:BYTE_1 src1_sel:DWORD
	v_bfrev_b32_e32 v5, 1
	s_and_saveexec_b32 s17, s18
	s_cbranch_execz .LBB358_1082
; %bb.1077:                             ;   in Loop: Header=BB358_1066 Depth=1
	v_mov_b32_e32 v5, 0xffff
	s_mov_b32 s18, exec_lo
	v_and_b32_sdwa v10, v5, v18 dst_sel:DWORD dst_unused:UNUSED_PAD src0_sel:DWORD src1_sel:BYTE_1
	v_mov_b32_e32 v5, 0x7f800001
	v_and_b32_e32 v12, 0x7f, v10
	v_cmpx_ne_u32_e32 0x7f, v12
	s_cbranch_execz .LBB358_1081
; %bb.1078:                             ;   in Loop: Header=BB358_1066 Depth=1
	v_and_b32_e32 v10, 7, v10
	v_mov_b32_e32 v24, v11
	v_lshrrev_b32_e32 v5, 3, v12
	s_mov_b32 s20, exec_lo
	v_mov_b32_e32 v23, v10
	v_cmpx_gt_u32_e32 8, v12
; %bb.1079:                             ;   in Loop: Header=BB358_1066 Depth=1
	v_ffbh_u32_e32 v5, v10
	v_min_u32_e32 v5, 32, v5
	v_subrev_nc_u32_e32 v12, 28, v5
	v_sub_nc_u32_e32 v5, 29, v5
	v_lshlrev_b64 v[12:13], v12, v[10:11]
	v_and_b32_e32 v23, 7, v12
; %bb.1080:                             ;   in Loop: Header=BB358_1066 Depth=1
	s_or_b32 exec_lo, exec_lo, s20
	v_lshlrev_b32_e32 v10, 16, v18
	v_lshlrev_b32_e32 v12, 20, v23
	v_lshl_add_u32 v5, v5, 23, 0x3c000000
	v_and_b32_e32 v10, 0x80000000, v10
	v_or3_b32 v5, v12, v10, v5
.LBB358_1081:                           ;   in Loop: Header=BB358_1066 Depth=1
	s_or_b32 exec_lo, exec_lo, s18
.LBB358_1082:                           ;   in Loop: Header=BB358_1066 Depth=1
	s_or_b32 exec_lo, exec_lo, s17
.LBB358_1083:                           ;   in Loop: Header=BB358_1066 Depth=1
	s_or_b32 exec_lo, exec_lo, s5
	v_and_b32_sdwa v10, v18, v70 dst_sel:DWORD dst_unused:UNUSED_PAD src0_sel:WORD_1 src1_sel:DWORD
	v_mov_b32_e32 v13, 0
	v_mov_b32_e32 v12, 0
	s_mov_b32 s5, exec_lo
	v_cmpx_ne_u16_e32 0, v10
	s_cbranch_execz .LBB358_1091
; %bb.1084:                             ;   in Loop: Header=BB358_1066 Depth=1
	v_bfrev_b32_e32 v12, 1
	s_mov_b32 s17, exec_lo
	v_cmpx_ne_u16_e32 0x80, v10
	s_cbranch_execz .LBB358_1090
; %bb.1085:                             ;   in Loop: Header=BB358_1066 Depth=1
	v_bfe_u32 v20, v18, 16, 7
	v_mov_b32_e32 v12, 0x7f800001
	s_mov_b32 s18, exec_lo
	v_cmpx_ne_u32_e32 0x7f, v20
	s_cbranch_execz .LBB358_1089
; %bb.1086:                             ;   in Loop: Header=BB358_1066 Depth=1
	v_mov_b32_e32 v10, 7
	v_lshrrev_b32_e32 v12, 3, v20
	s_mov_b32 s20, exec_lo
	v_and_b32_sdwa v10, v18, v10 dst_sel:DWORD dst_unused:UNUSED_PAD src0_sel:WORD_1 src1_sel:DWORD
	v_mov_b32_e32 v24, v11
	v_mov_b32_e32 v23, v10
	v_cmpx_gt_u32_e32 8, v20
; %bb.1087:                             ;   in Loop: Header=BB358_1066 Depth=1
	v_ffbh_u32_e32 v12, v10
	v_min_u32_e32 v12, 32, v12
	v_subrev_nc_u32_e32 v20, 28, v12
	v_sub_nc_u32_e32 v12, 29, v12
	v_lshlrev_b64 v[20:21], v20, v[10:11]
	v_and_b32_e32 v23, 7, v20
; %bb.1088:                             ;   in Loop: Header=BB358_1066 Depth=1
	s_or_b32 exec_lo, exec_lo, s20
	v_mov_b32_e32 v10, 24
	v_lshlrev_b32_e32 v20, 20, v23
	v_lshl_add_u32 v12, v12, 23, 0x3c000000
	v_lshlrev_b32_sdwa v10, v10, v18 dst_sel:DWORD dst_unused:UNUSED_PAD src0_sel:DWORD src1_sel:WORD_1
	v_and_b32_e32 v10, 0x80000000, v10
	v_or3_b32 v12, v20, v10, v12
.LBB358_1089:                           ;   in Loop: Header=BB358_1066 Depth=1
	s_or_b32 exec_lo, exec_lo, s18
.LBB358_1090:                           ;   in Loop: Header=BB358_1066 Depth=1
	s_or_b32 exec_lo, exec_lo, s17
.LBB358_1091:                           ;   in Loop: Header=BB358_1066 Depth=1
	s_or_b32 exec_lo, exec_lo, s5
	s_mov_b32 s5, exec_lo
	v_cmpx_lt_u32_e32 0xffffff, v18
	s_cbranch_execz .LBB358_1099
; %bb.1092:                             ;   in Loop: Header=BB358_1066 Depth=1
	v_cmp_ne_u32_sdwa s18, v18, v65 src0_sel:BYTE_3 src1_sel:DWORD
	v_bfrev_b32_e32 v13, 1
	s_and_saveexec_b32 s17, s18
	s_cbranch_execz .LBB358_1098
; %bb.1093:                             ;   in Loop: Header=BB358_1066 Depth=1
	v_bfe_u32 v20, v18, 24, 7
	v_mov_b32_e32 v13, 0x7f800001
	s_mov_b32 s18, exec_lo
	v_cmpx_ne_u32_e32 0x7f, v20
	s_cbranch_execz .LBB358_1097
; %bb.1094:                             ;   in Loop: Header=BB358_1066 Depth=1
	v_mov_b32_e32 v10, 7
	v_lshrrev_b32_e32 v13, 3, v20
	s_mov_b32 s20, exec_lo
	v_and_b32_sdwa v10, v18, v10 dst_sel:DWORD dst_unused:UNUSED_PAD src0_sel:BYTE_3 src1_sel:DWORD
	v_mov_b32_e32 v24, v11
	v_mov_b32_e32 v23, v10
	v_cmpx_gt_u32_e32 8, v20
; %bb.1095:                             ;   in Loop: Header=BB358_1066 Depth=1
	v_ffbh_u32_e32 v13, v10
	v_min_u32_e32 v13, 32, v13
	v_subrev_nc_u32_e32 v20, 28, v13
	v_sub_nc_u32_e32 v13, 29, v13
	v_lshlrev_b64 v[20:21], v20, v[10:11]
	v_and_b32_e32 v23, 7, v20
; %bb.1096:                             ;   in Loop: Header=BB358_1066 Depth=1
	s_or_b32 exec_lo, exec_lo, s20
	v_mov_b32_e32 v10, 24
	v_lshlrev_b32_e32 v20, 20, v23
	v_lshl_add_u32 v13, v13, 23, 0x3c000000
	v_lshlrev_b32_sdwa v10, v10, v18 dst_sel:DWORD dst_unused:UNUSED_PAD src0_sel:DWORD src1_sel:BYTE_3
	v_and_b32_e32 v10, 0x80000000, v10
	v_or3_b32 v13, v20, v10, v13
.LBB358_1097:                           ;   in Loop: Header=BB358_1066 Depth=1
	s_or_b32 exec_lo, exec_lo, s18
.LBB358_1098:                           ;   in Loop: Header=BB358_1066 Depth=1
	s_or_b32 exec_lo, exec_lo, s17
.LBB358_1099:                           ;   in Loop: Header=BB358_1066 Depth=1
	s_or_b32 exec_lo, exec_lo, s5
	v_mov_b32_e32 v10, v19
	v_cmp_ne_u16_sdwa s17, v19, v11 src0_sel:BYTE_0 src1_sel:DWORD
	v_mov_b32_e32 v21, 0
	v_mov_b32_e32 v20, 0
	s_and_saveexec_b32 s5, s17
	s_cbranch_execz .LBB358_1107
; %bb.1100:                             ;   in Loop: Header=BB358_1066 Depth=1
	v_cmp_ne_u16_sdwa s18, v19, v65 src0_sel:BYTE_0 src1_sel:DWORD
	v_bfrev_b32_e32 v20, 1
	s_and_saveexec_b32 s17, s18
	s_cbranch_execz .LBB358_1106
; %bb.1101:                             ;   in Loop: Header=BB358_1066 Depth=1
	v_and_b32_e32 v22, 0x7f, v19
	v_mov_b32_e32 v20, 0x7f800001
	s_mov_b32 s18, exec_lo
	v_cmpx_ne_u32_e32 0x7f, v22
	s_cbranch_execz .LBB358_1105
; %bb.1102:                             ;   in Loop: Header=BB358_1066 Depth=1
	v_mov_b32_e32 v24, v11
	v_lshrrev_b32_e32 v20, 3, v22
	v_mov_b32_e32 v23, v10
	s_mov_b32 s20, exec_lo
	v_cmpx_gt_u32_e32 8, v22
; %bb.1103:                             ;   in Loop: Header=BB358_1066 Depth=1
	v_and_b32_e32 v20, 7, v19
	v_ffbh_u32_e32 v20, v20
	v_min_u32_e32 v20, 32, v20
	v_subrev_nc_u32_e32 v22, 28, v20
	v_sub_nc_u32_e32 v20, 29, v20
	v_lshlrev_b64 v[23:24], v22, v[10:11]
; %bb.1104:                             ;   in Loop: Header=BB358_1066 Depth=1
	s_or_b32 exec_lo, exec_lo, s20
	v_lshlrev_b32_e32 v22, 20, v23
	v_lshlrev_b32_e32 v23, 24, v10
	v_lshl_add_u32 v20, v20, 23, 0x3c000000
	v_and_b32_e32 v22, 0x700000, v22
	v_and_b32_e32 v23, 0x80000000, v23
	v_or3_b32 v20, v22, v23, v20
.LBB358_1105:                           ;   in Loop: Header=BB358_1066 Depth=1
	s_or_b32 exec_lo, exec_lo, s18
.LBB358_1106:                           ;   in Loop: Header=BB358_1066 Depth=1
	s_or_b32 exec_lo, exec_lo, s17
.LBB358_1107:                           ;   in Loop: Header=BB358_1066 Depth=1
	s_or_b32 exec_lo, exec_lo, s5
	v_cmp_ne_u16_sdwa s17, v10, v11 src0_sel:BYTE_1 src1_sel:DWORD
	s_and_saveexec_b32 s5, s17
	s_cbranch_execz .LBB358_1115
; %bb.1108:                             ;   in Loop: Header=BB358_1066 Depth=1
	v_cmp_ne_u16_sdwa s18, v10, v65 src0_sel:BYTE_1 src1_sel:DWORD
	v_bfrev_b32_e32 v21, 1
	s_and_saveexec_b32 s17, s18
	s_cbranch_execz .LBB358_1114
; %bb.1109:                             ;   in Loop: Header=BB358_1066 Depth=1
	v_mov_b32_e32 v21, 0xffff
	s_mov_b32 s18, exec_lo
	v_and_b32_sdwa v23, v21, v10 dst_sel:DWORD dst_unused:UNUSED_PAD src0_sel:DWORD src1_sel:BYTE_1
	v_mov_b32_e32 v21, 0x7f800001
	v_and_b32_e32 v22, 0x7f, v23
	v_cmpx_ne_u32_e32 0x7f, v22
	s_cbranch_execz .LBB358_1113
; %bb.1110:                             ;   in Loop: Header=BB358_1066 Depth=1
	v_and_b32_e32 v23, 7, v23
	v_mov_b32_e32 v24, v11
	v_lshrrev_b32_e32 v21, 3, v22
	s_mov_b32 s20, exec_lo
	v_cmpx_gt_u32_e32 8, v22
; %bb.1111:                             ;   in Loop: Header=BB358_1066 Depth=1
	v_ffbh_u32_e32 v21, v23
	v_min_u32_e32 v21, 32, v21
	v_subrev_nc_u32_e32 v22, 28, v21
	v_sub_nc_u32_e32 v21, 29, v21
	v_lshlrev_b64 v[22:23], v22, v[23:24]
	v_and_b32_e32 v23, 7, v22
; %bb.1112:                             ;   in Loop: Header=BB358_1066 Depth=1
	s_or_b32 exec_lo, exec_lo, s20
	v_lshlrev_b32_e32 v10, 16, v10
	v_lshlrev_b32_e32 v22, 20, v23
	v_lshl_add_u32 v21, v21, 23, 0x3c000000
	v_and_b32_e32 v10, 0x80000000, v10
	v_or3_b32 v21, v22, v10, v21
.LBB358_1113:                           ;   in Loop: Header=BB358_1066 Depth=1
	s_or_b32 exec_lo, exec_lo, s18
.LBB358_1114:                           ;   in Loop: Header=BB358_1066 Depth=1
	s_or_b32 exec_lo, exec_lo, s17
.LBB358_1115:                           ;   in Loop: Header=BB358_1066 Depth=1
	s_or_b32 exec_lo, exec_lo, s5
	v_and_b32_sdwa v10, v19, v70 dst_sel:DWORD dst_unused:UNUSED_PAD src0_sel:WORD_1 src1_sel:DWORD
	v_mov_b32_e32 v22, 0
	v_mov_b32_e32 v25, 0
	s_mov_b32 s5, exec_lo
	v_cmpx_ne_u16_e32 0, v10
	s_cbranch_execz .LBB358_1123
; %bb.1116:                             ;   in Loop: Header=BB358_1066 Depth=1
	v_bfrev_b32_e32 v25, 1
	s_mov_b32 s17, exec_lo
	v_cmpx_ne_u16_e32 0x80, v10
	s_cbranch_execz .LBB358_1122
; %bb.1117:                             ;   in Loop: Header=BB358_1066 Depth=1
	v_bfe_u32 v23, v19, 16, 7
	v_mov_b32_e32 v25, 0x7f800001
	s_mov_b32 s18, exec_lo
	v_cmpx_ne_u32_e32 0x7f, v23
	s_cbranch_execz .LBB358_1121
; %bb.1118:                             ;   in Loop: Header=BB358_1066 Depth=1
	v_mov_b32_e32 v10, 7
	v_lshrrev_b32_e32 v25, 3, v23
	v_cmp_gt_u32_e32 vcc_lo, 8, v23
	v_and_b32_sdwa v10, v19, v10 dst_sel:DWORD dst_unused:UNUSED_PAD src0_sel:WORD_1 src1_sel:DWORD
	v_mov_b32_e32 v24, v11
	v_mov_b32_e32 v23, v10
	s_and_saveexec_b32 s20, vcc_lo
; %bb.1119:                             ;   in Loop: Header=BB358_1066 Depth=1
	v_ffbh_u32_e32 v23, v10
	v_min_u32_e32 v25, 32, v23
	v_subrev_nc_u32_e32 v23, 28, v25
	v_sub_nc_u32_e32 v25, 29, v25
	v_lshlrev_b64 v[23:24], v23, v[10:11]
	v_and_b32_e32 v23, 7, v23
; %bb.1120:                             ;   in Loop: Header=BB358_1066 Depth=1
	s_or_b32 exec_lo, exec_lo, s20
	v_mov_b32_e32 v10, 24
	v_lshlrev_b32_e32 v23, 20, v23
	v_lshl_add_u32 v24, v25, 23, 0x3c000000
	v_lshlrev_b32_sdwa v10, v10, v19 dst_sel:DWORD dst_unused:UNUSED_PAD src0_sel:DWORD src1_sel:WORD_1
	v_and_b32_e32 v10, 0x80000000, v10
	v_or3_b32 v25, v23, v10, v24
.LBB358_1121:                           ;   in Loop: Header=BB358_1066 Depth=1
	s_or_b32 exec_lo, exec_lo, s18
.LBB358_1122:                           ;   in Loop: Header=BB358_1066 Depth=1
	s_or_b32 exec_lo, exec_lo, s17
.LBB358_1123:                           ;   in Loop: Header=BB358_1066 Depth=1
	s_or_b32 exec_lo, exec_lo, s5
	s_mov_b32 s5, exec_lo
	v_cmpx_lt_u64_e64 s[12:13], v[18:19]
	s_cbranch_execz .LBB358_1131
; %bb.1124:                             ;   in Loop: Header=BB358_1066 Depth=1
	v_cmp_ne_u32_sdwa s18, v19, v65 src0_sel:BYTE_3 src1_sel:DWORD
	v_bfrev_b32_e32 v22, 1
	s_and_saveexec_b32 s17, s18
	s_cbranch_execz .LBB358_1130
; %bb.1125:                             ;   in Loop: Header=BB358_1066 Depth=1
	v_bfe_u32 v23, v19, 24, 7
	v_mov_b32_e32 v22, 0x7f800001
	s_mov_b32 s18, exec_lo
	v_cmpx_ne_u32_e32 0x7f, v23
	s_cbranch_execz .LBB358_1129
; %bb.1126:                             ;   in Loop: Header=BB358_1066 Depth=1
	v_mov_b32_e32 v10, 7
	v_lshrrev_b32_e32 v18, 3, v23
	v_cmp_gt_u32_e32 vcc_lo, 8, v23
	v_and_b32_sdwa v10, v19, v10 dst_sel:DWORD dst_unused:UNUSED_PAD src0_sel:BYTE_3 src1_sel:DWORD
	v_mov_b32_e32 v24, v11
	v_mov_b32_e32 v23, v10
	s_and_saveexec_b32 s20, vcc_lo
; %bb.1127:                             ;   in Loop: Header=BB358_1066 Depth=1
	v_ffbh_u32_e32 v18, v10
	v_min_u32_e32 v18, 32, v18
	v_subrev_nc_u32_e32 v22, 28, v18
	v_sub_nc_u32_e32 v18, 29, v18
	v_lshlrev_b64 v[22:23], v22, v[10:11]
	v_and_b32_e32 v23, 7, v22
; %bb.1128:                             ;   in Loop: Header=BB358_1066 Depth=1
	s_or_b32 exec_lo, exec_lo, s20
	v_mov_b32_e32 v10, 24
	v_lshl_add_u32 v18, v18, 23, 0x3c000000
	v_lshlrev_b32_sdwa v10, v10, v19 dst_sel:DWORD dst_unused:UNUSED_PAD src0_sel:DWORD src1_sel:BYTE_3
	v_lshlrev_b32_e32 v19, 20, v23
	v_and_b32_e32 v10, 0x80000000, v10
	v_or3_b32 v22, v19, v10, v18
.LBB358_1129:                           ;   in Loop: Header=BB358_1066 Depth=1
	s_or_b32 exec_lo, exec_lo, s18
.LBB358_1130:                           ;   in Loop: Header=BB358_1066 Depth=1
	s_or_b32 exec_lo, exec_lo, s17
.LBB358_1131:                           ;   in Loop: Header=BB358_1066 Depth=1
	s_or_b32 exec_lo, exec_lo, s5
	buffer_load_dword v18, off, s[0:3], s32 offset:436 ; 4-byte Folded Reload
	s_waitcnt vmcnt(1) lgkmcnt(2)
	v_mul_f32_e32 v10, v58, v21
	v_mul_f32_e32 v13, v58, v13
	;; [unrolled: 1-line block ×5, first 2 shown]
	v_cmp_u_f32_e64 s5, v10, v10
	v_bfe_u32 v24, v13, 16, 1
	v_or_b32_e32 v26, 0x400000, v13
	s_waitcnt vmcnt(0)
	v_add_nc_u32_e32 v75, v18, v100
	s_clause 0x2
	buffer_load_dword v18, off, s[0:3], s32 offset:208
	buffer_load_dword v19, off, s[0:3], s32 offset:212
	;; [unrolled: 1-line block ×3, first 2 shown]
	v_add_nc_u32_e32 v90, 1, v75
	v_add_nc_u32_e32 v89, 2, v75
	;; [unrolled: 1-line block ×7, first 2 shown]
	s_waitcnt vmcnt(0)
	v_cmp_eq_u32_e32 vcc_lo, v19, v18
	v_mul_f32_e32 v18, v58, v20
	v_bfe_u32 v19, v10, 16, 1
	v_or_b32_e32 v20, 0x400000, v10
	v_bfe_u32 v21, v18, 16, 1
	v_add3_u32 v19, v19, v10, 0x7fff
	v_or_b32_e32 v23, 0x400000, v18
	v_add3_u32 v21, v21, v18, 0x7fff
	v_cndmask_b32_e64 v10, v19, v20, s5
	v_cmp_u_f32_e64 s5, v18, v18
	v_add3_u32 v20, v24, v13, 0x7fff
	v_bfe_u32 v19, v12, 16, 1
	v_lshrrev_b32_e32 v10, 16, v10
	v_cndmask_b32_e64 v18, v21, v23, s5
	v_cmp_u_f32_e64 s5, v13, v13
	v_add3_u32 v13, v19, v12, 0x7fff
	v_or_b32_e32 v19, 0x400000, v12
	buffer_store_dword v10, off, s[0:3], s32 offset:244 ; 4-byte Folded Spill
	v_lshrrev_b32_e32 v18, 16, v18
	v_cndmask_b32_e64 v10, v20, v26, s5
	v_cmp_u_f32_e64 s5, v12, v12
	v_bfe_u32 v20, v4, 16, 1
	buffer_store_dword v18, off, s[0:3], s32 offset:204 ; 4-byte Folded Spill
	v_lshrrev_b32_e32 v10, 16, v10
	v_cndmask_b32_e64 v12, v13, v19, s5
	v_mul_f32_e32 v13, v58, v25
	v_or_b32_e32 v18, 0x400000, v5
	v_cmp_u_f32_e64 s5, v5, v5
	buffer_store_dword v10, off, s[0:3], s32 offset:248 ; 4-byte Folded Spill
	v_bfe_u32 v10, v5, 16, 1
	v_mul_f32_e32 v19, v58, v22
	v_bfe_u32 v21, v13, 16, 1
	v_or_b32_e32 v22, 0x400000, v13
	v_lshrrev_b32_e32 v12, 16, v12
	v_add3_u32 v10, v10, v5, 0x7fff
	v_or_b32_e32 v23, 0x400000, v19
	v_add3_u32 v21, v21, v13, 0x7fff
	buffer_store_dword v12, off, s[0:3], s32 offset:252 ; 4-byte Folded Spill
	v_cndmask_b32_e64 v5, v10, v18, s5
	v_add3_u32 v18, v20, v4, 0x7fff
	v_or_b32_e32 v20, 0x400000, v4
	v_cmp_u_f32_e64 s5, v4, v4
	v_bfe_u32 v10, v19, 16, 1
	v_lshrrev_b32_e32 v5, 16, v5
	v_cndmask_b32_e64 v4, v18, v20, s5
	v_cmp_u_f32_e64 s5, v13, v13
	v_add3_u32 v10, v10, v19, 0x7fff
	buffer_store_dword v5, off, s[0:3], s32 offset:260 ; 4-byte Folded Spill
	v_lshrrev_b32_e32 v4, 16, v4
	v_cndmask_b32_e64 v13, v21, v22, s5
	v_cmp_u_f32_e64 s5, v19, v19
	buffer_store_dword v4, off, s[0:3], s32 offset:256 ; 4-byte Folded Spill
	v_lshrrev_b32_e32 v4, 16, v13
	v_cndmask_b32_e64 v10, v10, v23, s5
	buffer_store_dword v4, off, s[0:3], s32 offset:200 ; 4-byte Folded Spill
	v_lshrrev_b32_e32 v4, 16, v10
	buffer_store_dword v4, off, s[0:3], s32 offset:240 ; 4-byte Folded Spill
	s_and_saveexec_b32 s17, vcc_lo
	s_cbranch_execz .LBB358_1133
; %bb.1132:                             ;   in Loop: Header=BB358_1066 Depth=1
	buffer_load_dword v4, off, s[0:3], s32 offset:256 ; 4-byte Folded Reload
	v_cmp_lt_i32_e64 s5, v75, v96
	s_waitcnt vmcnt(0)
	v_cndmask_b32_e64 v4, 0, v4, s5
	v_cmp_lt_i32_e64 s5, v90, v96
	buffer_store_dword v4, off, s[0:3], s32 offset:256 ; 4-byte Folded Spill
	buffer_load_dword v4, off, s[0:3], s32 offset:260 ; 4-byte Folded Reload
	s_waitcnt vmcnt(0)
	v_cndmask_b32_e64 v4, 0, v4, s5
	v_cmp_lt_i32_e64 s5, v89, v96
	buffer_store_dword v4, off, s[0:3], s32 offset:260 ; 4-byte Folded Spill
	buffer_load_dword v4, off, s[0:3], s32 offset:252 ; 4-byte Folded Reload
	;; [unrolled: 5-line block ×7, first 2 shown]
	s_waitcnt vmcnt(0)
	v_cndmask_b32_e64 v4, 0, v4, s5
	buffer_store_dword v4, off, s[0:3], s32 offset:240 ; 4-byte Folded Spill
.LBB358_1133:                           ;   in Loop: Header=BB358_1066 Depth=1
	s_or_b32 exec_lo, exec_lo, s17
	flat_load_dwordx2 v[18:19], v[16:17] offset:256
	v_mov_b32_e32 v5, 0
	v_mov_b32_e32 v4, 0
	s_waitcnt vmcnt(0) lgkmcnt(0)
	v_cmp_ne_u16_sdwa s5, v18, v11 src0_sel:BYTE_0 src1_sel:DWORD
	s_and_saveexec_b32 s17, s5
	s_cbranch_execz .LBB358_1141
; %bb.1134:                             ;   in Loop: Header=BB358_1066 Depth=1
	v_cmp_ne_u16_sdwa s5, v18, v65 src0_sel:BYTE_0 src1_sel:DWORD
	v_bfrev_b32_e32 v4, 1
	s_and_saveexec_b32 s18, s5
	s_cbranch_execz .LBB358_1140
; %bb.1135:                             ;   in Loop: Header=BB358_1066 Depth=1
	v_and_b32_e32 v10, 0x7f, v18
	v_mov_b32_e32 v4, 0x7f800001
	s_mov_b32 s20, exec_lo
	v_cmpx_ne_u32_e32 0x7f, v10
	s_cbranch_execz .LBB358_1139
; %bb.1136:                             ;   in Loop: Header=BB358_1066 Depth=1
	v_mov_b32_e32 v24, v19
	v_lshrrev_b32_e32 v4, 3, v10
	v_mov_b32_e32 v23, v18
	s_mov_b32 s21, exec_lo
	v_cmpx_gt_u32_e32 8, v10
; %bb.1137:                             ;   in Loop: Header=BB358_1066 Depth=1
	v_and_b32_e32 v4, 7, v18
	v_ffbh_u32_e32 v4, v4
	v_min_u32_e32 v4, 32, v4
	v_subrev_nc_u32_e32 v10, 28, v4
	v_sub_nc_u32_e32 v4, 29, v4
	v_lshlrev_b64 v[23:24], v10, v[18:19]
; %bb.1138:                             ;   in Loop: Header=BB358_1066 Depth=1
	s_or_b32 exec_lo, exec_lo, s21
	v_lshlrev_b32_e32 v10, 20, v23
	v_lshlrev_b32_e32 v12, 24, v18
	v_lshl_add_u32 v4, v4, 23, 0x3c000000
	v_and_b32_e32 v10, 0x700000, v10
	v_and_b32_e32 v12, 0x80000000, v12
	v_or3_b32 v4, v10, v12, v4
.LBB358_1139:                           ;   in Loop: Header=BB358_1066 Depth=1
	s_or_b32 exec_lo, exec_lo, s20
.LBB358_1140:                           ;   in Loop: Header=BB358_1066 Depth=1
	s_or_b32 exec_lo, exec_lo, s18
.LBB358_1141:                           ;   in Loop: Header=BB358_1066 Depth=1
	s_or_b32 exec_lo, exec_lo, s17
	v_cmp_ne_u16_sdwa s5, v18, v11 src0_sel:BYTE_1 src1_sel:DWORD
	s_and_saveexec_b32 s17, s5
	s_cbranch_execz .LBB358_1149
; %bb.1142:                             ;   in Loop: Header=BB358_1066 Depth=1
	v_cmp_ne_u16_sdwa s5, v18, v65 src0_sel:BYTE_1 src1_sel:DWORD
	v_bfrev_b32_e32 v5, 1
	s_and_saveexec_b32 s18, s5
	s_cbranch_execz .LBB358_1148
; %bb.1143:                             ;   in Loop: Header=BB358_1066 Depth=1
	v_mov_b32_e32 v5, 0xffff
	s_mov_b32 s20, exec_lo
	v_and_b32_sdwa v10, v5, v18 dst_sel:DWORD dst_unused:UNUSED_PAD src0_sel:DWORD src1_sel:BYTE_1
	v_mov_b32_e32 v5, 0x7f800001
	v_and_b32_e32 v12, 0x7f, v10
	v_cmpx_ne_u32_e32 0x7f, v12
	s_cbranch_execz .LBB358_1147
; %bb.1144:                             ;   in Loop: Header=BB358_1066 Depth=1
	v_and_b32_e32 v10, 7, v10
	v_mov_b32_e32 v24, v11
	v_lshrrev_b32_e32 v5, 3, v12
	s_mov_b32 s21, exec_lo
	v_mov_b32_e32 v23, v10
	v_cmpx_gt_u32_e32 8, v12
; %bb.1145:                             ;   in Loop: Header=BB358_1066 Depth=1
	v_ffbh_u32_e32 v5, v10
	v_min_u32_e32 v5, 32, v5
	v_subrev_nc_u32_e32 v12, 28, v5
	v_sub_nc_u32_e32 v5, 29, v5
	v_lshlrev_b64 v[12:13], v12, v[10:11]
	v_and_b32_e32 v23, 7, v12
; %bb.1146:                             ;   in Loop: Header=BB358_1066 Depth=1
	s_or_b32 exec_lo, exec_lo, s21
	v_lshlrev_b32_e32 v10, 16, v18
	v_lshlrev_b32_e32 v12, 20, v23
	v_lshl_add_u32 v5, v5, 23, 0x3c000000
	v_and_b32_e32 v10, 0x80000000, v10
	v_or3_b32 v5, v12, v10, v5
.LBB358_1147:                           ;   in Loop: Header=BB358_1066 Depth=1
	s_or_b32 exec_lo, exec_lo, s20
.LBB358_1148:                           ;   in Loop: Header=BB358_1066 Depth=1
	s_or_b32 exec_lo, exec_lo, s18
.LBB358_1149:                           ;   in Loop: Header=BB358_1066 Depth=1
	s_or_b32 exec_lo, exec_lo, s17
	v_and_b32_sdwa v10, v18, v70 dst_sel:DWORD dst_unused:UNUSED_PAD src0_sel:WORD_1 src1_sel:DWORD
	v_mov_b32_e32 v13, 0
	v_mov_b32_e32 v12, 0
	s_mov_b32 s17, exec_lo
	v_cmpx_ne_u16_e32 0, v10
	s_cbranch_execz .LBB358_1157
; %bb.1150:                             ;   in Loop: Header=BB358_1066 Depth=1
	v_bfrev_b32_e32 v12, 1
	s_mov_b32 s18, exec_lo
	v_cmpx_ne_u16_e32 0x80, v10
	s_cbranch_execz .LBB358_1156
; %bb.1151:                             ;   in Loop: Header=BB358_1066 Depth=1
	v_bfe_u32 v20, v18, 16, 7
	v_mov_b32_e32 v12, 0x7f800001
	s_mov_b32 s20, exec_lo
	v_cmpx_ne_u32_e32 0x7f, v20
	s_cbranch_execz .LBB358_1155
; %bb.1152:                             ;   in Loop: Header=BB358_1066 Depth=1
	v_mov_b32_e32 v10, 7
	v_lshrrev_b32_e32 v12, 3, v20
	s_mov_b32 s21, exec_lo
	v_and_b32_sdwa v10, v18, v10 dst_sel:DWORD dst_unused:UNUSED_PAD src0_sel:WORD_1 src1_sel:DWORD
	v_mov_b32_e32 v24, v11
	v_mov_b32_e32 v23, v10
	v_cmpx_gt_u32_e32 8, v20
; %bb.1153:                             ;   in Loop: Header=BB358_1066 Depth=1
	v_ffbh_u32_e32 v12, v10
	v_min_u32_e32 v12, 32, v12
	v_subrev_nc_u32_e32 v20, 28, v12
	v_sub_nc_u32_e32 v12, 29, v12
	v_lshlrev_b64 v[20:21], v20, v[10:11]
	v_and_b32_e32 v23, 7, v20
; %bb.1154:                             ;   in Loop: Header=BB358_1066 Depth=1
	s_or_b32 exec_lo, exec_lo, s21
	v_mov_b32_e32 v10, 24
	v_lshlrev_b32_e32 v20, 20, v23
	v_lshl_add_u32 v12, v12, 23, 0x3c000000
	v_lshlrev_b32_sdwa v10, v10, v18 dst_sel:DWORD dst_unused:UNUSED_PAD src0_sel:DWORD src1_sel:WORD_1
	v_and_b32_e32 v10, 0x80000000, v10
	v_or3_b32 v12, v20, v10, v12
.LBB358_1155:                           ;   in Loop: Header=BB358_1066 Depth=1
	s_or_b32 exec_lo, exec_lo, s20
.LBB358_1156:                           ;   in Loop: Header=BB358_1066 Depth=1
	s_or_b32 exec_lo, exec_lo, s18
.LBB358_1157:                           ;   in Loop: Header=BB358_1066 Depth=1
	s_or_b32 exec_lo, exec_lo, s17
	s_mov_b32 s17, exec_lo
	v_cmpx_lt_u32_e32 0xffffff, v18
	s_cbranch_execz .LBB358_1165
; %bb.1158:                             ;   in Loop: Header=BB358_1066 Depth=1
	v_cmp_ne_u32_sdwa s5, v18, v65 src0_sel:BYTE_3 src1_sel:DWORD
	v_bfrev_b32_e32 v13, 1
	s_and_saveexec_b32 s18, s5
	s_cbranch_execz .LBB358_1164
; %bb.1159:                             ;   in Loop: Header=BB358_1066 Depth=1
	v_bfe_u32 v20, v18, 24, 7
	v_mov_b32_e32 v13, 0x7f800001
	s_mov_b32 s20, exec_lo
	v_cmpx_ne_u32_e32 0x7f, v20
	s_cbranch_execz .LBB358_1163
; %bb.1160:                             ;   in Loop: Header=BB358_1066 Depth=1
	v_mov_b32_e32 v10, 7
	v_lshrrev_b32_e32 v13, 3, v20
	s_mov_b32 s21, exec_lo
	v_and_b32_sdwa v10, v18, v10 dst_sel:DWORD dst_unused:UNUSED_PAD src0_sel:BYTE_3 src1_sel:DWORD
	v_mov_b32_e32 v24, v11
	v_mov_b32_e32 v23, v10
	v_cmpx_gt_u32_e32 8, v20
; %bb.1161:                             ;   in Loop: Header=BB358_1066 Depth=1
	v_ffbh_u32_e32 v13, v10
	v_min_u32_e32 v13, 32, v13
	v_subrev_nc_u32_e32 v20, 28, v13
	v_sub_nc_u32_e32 v13, 29, v13
	v_lshlrev_b64 v[20:21], v20, v[10:11]
	v_and_b32_e32 v23, 7, v20
; %bb.1162:                             ;   in Loop: Header=BB358_1066 Depth=1
	s_or_b32 exec_lo, exec_lo, s21
	v_mov_b32_e32 v10, 24
	v_lshlrev_b32_e32 v20, 20, v23
	v_lshl_add_u32 v13, v13, 23, 0x3c000000
	v_lshlrev_b32_sdwa v10, v10, v18 dst_sel:DWORD dst_unused:UNUSED_PAD src0_sel:DWORD src1_sel:BYTE_3
	v_and_b32_e32 v10, 0x80000000, v10
	v_or3_b32 v13, v20, v10, v13
.LBB358_1163:                           ;   in Loop: Header=BB358_1066 Depth=1
	s_or_b32 exec_lo, exec_lo, s20
.LBB358_1164:                           ;   in Loop: Header=BB358_1066 Depth=1
	s_or_b32 exec_lo, exec_lo, s18
.LBB358_1165:                           ;   in Loop: Header=BB358_1066 Depth=1
	s_or_b32 exec_lo, exec_lo, s17
	v_mov_b32_e32 v10, v19
	v_cmp_ne_u16_sdwa s5, v19, v11 src0_sel:BYTE_0 src1_sel:DWORD
	v_mov_b32_e32 v21, 0
	v_mov_b32_e32 v20, 0
	s_and_saveexec_b32 s17, s5
	s_cbranch_execz .LBB358_1173
; %bb.1166:                             ;   in Loop: Header=BB358_1066 Depth=1
	v_cmp_ne_u16_sdwa s5, v19, v65 src0_sel:BYTE_0 src1_sel:DWORD
	v_bfrev_b32_e32 v20, 1
	s_and_saveexec_b32 s18, s5
	s_cbranch_execz .LBB358_1172
; %bb.1167:                             ;   in Loop: Header=BB358_1066 Depth=1
	v_and_b32_e32 v22, 0x7f, v19
	v_mov_b32_e32 v20, 0x7f800001
	s_mov_b32 s20, exec_lo
	v_cmpx_ne_u32_e32 0x7f, v22
	s_cbranch_execz .LBB358_1171
; %bb.1168:                             ;   in Loop: Header=BB358_1066 Depth=1
	v_mov_b32_e32 v24, v11
	v_lshrrev_b32_e32 v20, 3, v22
	v_mov_b32_e32 v23, v10
	s_mov_b32 s21, exec_lo
	v_cmpx_gt_u32_e32 8, v22
; %bb.1169:                             ;   in Loop: Header=BB358_1066 Depth=1
	v_and_b32_e32 v20, 7, v19
	v_ffbh_u32_e32 v20, v20
	v_min_u32_e32 v20, 32, v20
	v_subrev_nc_u32_e32 v22, 28, v20
	v_sub_nc_u32_e32 v20, 29, v20
	v_lshlrev_b64 v[23:24], v22, v[10:11]
; %bb.1170:                             ;   in Loop: Header=BB358_1066 Depth=1
	s_or_b32 exec_lo, exec_lo, s21
	v_lshlrev_b32_e32 v22, 20, v23
	v_lshlrev_b32_e32 v23, 24, v10
	v_lshl_add_u32 v20, v20, 23, 0x3c000000
	v_and_b32_e32 v22, 0x700000, v22
	v_and_b32_e32 v23, 0x80000000, v23
	v_or3_b32 v20, v22, v23, v20
.LBB358_1171:                           ;   in Loop: Header=BB358_1066 Depth=1
	s_or_b32 exec_lo, exec_lo, s20
.LBB358_1172:                           ;   in Loop: Header=BB358_1066 Depth=1
	s_or_b32 exec_lo, exec_lo, s18
.LBB358_1173:                           ;   in Loop: Header=BB358_1066 Depth=1
	s_or_b32 exec_lo, exec_lo, s17
	v_cmp_ne_u16_sdwa s5, v10, v11 src0_sel:BYTE_1 src1_sel:DWORD
	s_and_saveexec_b32 s17, s5
	s_cbranch_execz .LBB358_1181
; %bb.1174:                             ;   in Loop: Header=BB358_1066 Depth=1
	v_cmp_ne_u16_sdwa s5, v10, v65 src0_sel:BYTE_1 src1_sel:DWORD
	v_bfrev_b32_e32 v21, 1
	s_and_saveexec_b32 s18, s5
	s_cbranch_execz .LBB358_1180
; %bb.1175:                             ;   in Loop: Header=BB358_1066 Depth=1
	v_mov_b32_e32 v21, 0xffff
	s_mov_b32 s20, exec_lo
	v_and_b32_sdwa v23, v21, v10 dst_sel:DWORD dst_unused:UNUSED_PAD src0_sel:DWORD src1_sel:BYTE_1
	v_mov_b32_e32 v21, 0x7f800001
	v_and_b32_e32 v22, 0x7f, v23
	v_cmpx_ne_u32_e32 0x7f, v22
	s_cbranch_execz .LBB358_1179
; %bb.1176:                             ;   in Loop: Header=BB358_1066 Depth=1
	v_and_b32_e32 v23, 7, v23
	v_mov_b32_e32 v24, v11
	v_lshrrev_b32_e32 v21, 3, v22
	s_mov_b32 s21, exec_lo
	v_cmpx_gt_u32_e32 8, v22
; %bb.1177:                             ;   in Loop: Header=BB358_1066 Depth=1
	v_ffbh_u32_e32 v21, v23
	v_min_u32_e32 v21, 32, v21
	v_subrev_nc_u32_e32 v22, 28, v21
	v_sub_nc_u32_e32 v21, 29, v21
	v_lshlrev_b64 v[22:23], v22, v[23:24]
	v_and_b32_e32 v23, 7, v22
; %bb.1178:                             ;   in Loop: Header=BB358_1066 Depth=1
	s_or_b32 exec_lo, exec_lo, s21
	v_lshlrev_b32_e32 v10, 16, v10
	v_lshlrev_b32_e32 v22, 20, v23
	v_lshl_add_u32 v21, v21, 23, 0x3c000000
	v_and_b32_e32 v10, 0x80000000, v10
	v_or3_b32 v21, v22, v10, v21
.LBB358_1179:                           ;   in Loop: Header=BB358_1066 Depth=1
	s_or_b32 exec_lo, exec_lo, s20
.LBB358_1180:                           ;   in Loop: Header=BB358_1066 Depth=1
	s_or_b32 exec_lo, exec_lo, s18
.LBB358_1181:                           ;   in Loop: Header=BB358_1066 Depth=1
	s_or_b32 exec_lo, exec_lo, s17
	v_and_b32_sdwa v10, v19, v70 dst_sel:DWORD dst_unused:UNUSED_PAD src0_sel:WORD_1 src1_sel:DWORD
	v_mov_b32_e32 v22, 0
	v_mov_b32_e32 v25, 0
	s_mov_b32 s17, exec_lo
	v_cmpx_ne_u16_e32 0, v10
	s_cbranch_execz .LBB358_1189
; %bb.1182:                             ;   in Loop: Header=BB358_1066 Depth=1
	v_bfrev_b32_e32 v25, 1
	s_mov_b32 s18, exec_lo
	v_cmpx_ne_u16_e32 0x80, v10
	s_cbranch_execz .LBB358_1188
; %bb.1183:                             ;   in Loop: Header=BB358_1066 Depth=1
	v_bfe_u32 v23, v19, 16, 7
	v_mov_b32_e32 v25, 0x7f800001
	s_mov_b32 s20, exec_lo
	v_cmpx_ne_u32_e32 0x7f, v23
	s_cbranch_execz .LBB358_1187
; %bb.1184:                             ;   in Loop: Header=BB358_1066 Depth=1
	v_mov_b32_e32 v10, 7
	v_lshrrev_b32_e32 v25, 3, v23
	v_cmp_gt_u32_e64 s5, 8, v23
	v_and_b32_sdwa v10, v19, v10 dst_sel:DWORD dst_unused:UNUSED_PAD src0_sel:WORD_1 src1_sel:DWORD
	v_mov_b32_e32 v24, v11
	v_mov_b32_e32 v23, v10
	s_and_saveexec_b32 s21, s5
; %bb.1185:                             ;   in Loop: Header=BB358_1066 Depth=1
	v_ffbh_u32_e32 v23, v10
	v_min_u32_e32 v25, 32, v23
	v_subrev_nc_u32_e32 v23, 28, v25
	v_sub_nc_u32_e32 v25, 29, v25
	v_lshlrev_b64 v[23:24], v23, v[10:11]
	v_and_b32_e32 v23, 7, v23
; %bb.1186:                             ;   in Loop: Header=BB358_1066 Depth=1
	s_or_b32 exec_lo, exec_lo, s21
	v_mov_b32_e32 v10, 24
	v_lshlrev_b32_e32 v23, 20, v23
	v_lshl_add_u32 v24, v25, 23, 0x3c000000
	v_lshlrev_b32_sdwa v10, v10, v19 dst_sel:DWORD dst_unused:UNUSED_PAD src0_sel:DWORD src1_sel:WORD_1
	v_and_b32_e32 v10, 0x80000000, v10
	v_or3_b32 v25, v23, v10, v24
.LBB358_1187:                           ;   in Loop: Header=BB358_1066 Depth=1
	s_or_b32 exec_lo, exec_lo, s20
.LBB358_1188:                           ;   in Loop: Header=BB358_1066 Depth=1
	s_or_b32 exec_lo, exec_lo, s18
.LBB358_1189:                           ;   in Loop: Header=BB358_1066 Depth=1
	s_or_b32 exec_lo, exec_lo, s17
	s_mov_b32 s17, exec_lo
	v_cmpx_lt_u64_e64 s[12:13], v[18:19]
	s_cbranch_execz .LBB358_1197
; %bb.1190:                             ;   in Loop: Header=BB358_1066 Depth=1
	v_cmp_ne_u32_sdwa s5, v19, v65 src0_sel:BYTE_3 src1_sel:DWORD
	v_bfrev_b32_e32 v22, 1
	s_and_saveexec_b32 s18, s5
	s_cbranch_execz .LBB358_1196
; %bb.1191:                             ;   in Loop: Header=BB358_1066 Depth=1
	v_bfe_u32 v23, v19, 24, 7
	v_mov_b32_e32 v22, 0x7f800001
	s_mov_b32 s20, exec_lo
	v_cmpx_ne_u32_e32 0x7f, v23
	s_cbranch_execz .LBB358_1195
; %bb.1192:                             ;   in Loop: Header=BB358_1066 Depth=1
	v_mov_b32_e32 v10, 7
	v_lshrrev_b32_e32 v18, 3, v23
	v_cmp_gt_u32_e64 s5, 8, v23
	v_and_b32_sdwa v10, v19, v10 dst_sel:DWORD dst_unused:UNUSED_PAD src0_sel:BYTE_3 src1_sel:DWORD
	v_mov_b32_e32 v24, v11
	v_mov_b32_e32 v23, v10
	s_and_saveexec_b32 s21, s5
; %bb.1193:                             ;   in Loop: Header=BB358_1066 Depth=1
	v_ffbh_u32_e32 v18, v10
	v_min_u32_e32 v18, 32, v18
	v_subrev_nc_u32_e32 v22, 28, v18
	v_sub_nc_u32_e32 v18, 29, v18
	v_lshlrev_b64 v[22:23], v22, v[10:11]
	v_and_b32_e32 v23, 7, v22
; %bb.1194:                             ;   in Loop: Header=BB358_1066 Depth=1
	s_or_b32 exec_lo, exec_lo, s21
	v_mov_b32_e32 v10, 24
	v_lshl_add_u32 v18, v18, 23, 0x3c000000
	v_lshlrev_b32_sdwa v10, v10, v19 dst_sel:DWORD dst_unused:UNUSED_PAD src0_sel:DWORD src1_sel:BYTE_3
	v_lshlrev_b32_e32 v19, 20, v23
	v_and_b32_e32 v10, 0x80000000, v10
	v_or3_b32 v22, v19, v10, v18
.LBB358_1195:                           ;   in Loop: Header=BB358_1066 Depth=1
	s_or_b32 exec_lo, exec_lo, s20
.LBB358_1196:                           ;   in Loop: Header=BB358_1066 Depth=1
	s_or_b32 exec_lo, exec_lo, s18
.LBB358_1197:                           ;   in Loop: Header=BB358_1066 Depth=1
	s_or_b32 exec_lo, exec_lo, s17
	v_mul_f32_e32 v10, v58, v21
	v_mul_f32_e32 v18, v58, v20
	;; [unrolled: 1-line block ×5, first 2 shown]
	v_bfe_u32 v19, v10, 16, 1
	v_or_b32_e32 v20, 0x400000, v10
	v_bfe_u32 v21, v18, 16, 1
	v_cmp_u_f32_e64 s5, v10, v10
	v_or_b32_e32 v23, 0x400000, v18
	v_add3_u32 v19, v19, v10, 0x7fff
	v_bfe_u32 v24, v13, 16, 1
	v_add3_u32 v21, v21, v18, 0x7fff
	v_or_b32_e32 v26, 0x400000, v13
	v_bfe_u32 v27, v12, 16, 1
	v_cndmask_b32_e64 v10, v19, v20, s5
	v_cmp_u_f32_e64 s5, v18, v18
	v_add3_u32 v24, v24, v13, 0x7fff
	v_or_b32_e32 v19, 0x400000, v12
	v_mul_f32_e32 v4, v58, v4
	v_lshrrev_b32_e32 v10, 16, v10
	v_cndmask_b32_e64 v18, v21, v23, s5
	v_cmp_u_f32_e64 s5, v13, v13
	v_bfe_u32 v20, v4, 16, 1
	buffer_store_dword v10, off, s[0:3], s32 offset:276 ; 4-byte Folded Spill
	v_add3_u32 v10, v27, v12, 0x7fff
	v_cndmask_b32_e64 v13, v24, v26, s5
	v_lshrrev_b32_e32 v18, 16, v18
	v_cmp_u_f32_e64 s5, v12, v12
	v_mul_f32_e32 v12, v58, v25
	v_lshrrev_b32_e32 v13, 16, v13
	buffer_store_dword v18, off, s[0:3], s32 offset:268 ; 4-byte Folded Spill
	v_cndmask_b32_e64 v10, v10, v19, s5
	v_or_b32_e32 v18, 0x400000, v5
	v_cmp_u_f32_e64 s5, v5, v5
	buffer_store_dword v13, off, s[0:3], s32 offset:280 ; 4-byte Folded Spill
	v_bfe_u32 v13, v5, 16, 1
	v_mul_f32_e32 v19, v58, v22
	v_bfe_u32 v21, v12, 16, 1
	v_or_b32_e32 v22, 0x400000, v12
	v_lshrrev_b32_e32 v10, 16, v10
	v_add3_u32 v13, v13, v5, 0x7fff
	v_or_b32_e32 v23, 0x400000, v19
	v_add3_u32 v21, v21, v12, 0x7fff
	buffer_store_dword v10, off, s[0:3], s32 offset:284 ; 4-byte Folded Spill
	v_cndmask_b32_e64 v5, v13, v18, s5
	v_add3_u32 v18, v20, v4, 0x7fff
	v_or_b32_e32 v20, 0x400000, v4
	v_cmp_u_f32_e64 s5, v4, v4
	v_bfe_u32 v13, v19, 16, 1
	v_lshrrev_b32_e32 v5, 16, v5
	v_cndmask_b32_e64 v4, v18, v20, s5
	v_cmp_u_f32_e64 s5, v12, v12
	v_add3_u32 v13, v13, v19, 0x7fff
	buffer_store_dword v5, off, s[0:3], s32 offset:292 ; 4-byte Folded Spill
	v_lshrrev_b32_e32 v4, 16, v4
	v_cndmask_b32_e64 v12, v21, v22, s5
	v_cmp_u_f32_e64 s5, v19, v19
	buffer_store_dword v4, off, s[0:3], s32 offset:288 ; 4-byte Folded Spill
	v_lshrrev_b32_e32 v4, 16, v12
	v_cndmask_b32_e64 v13, v13, v23, s5
	buffer_store_dword v4, off, s[0:3], s32 offset:264 ; 4-byte Folded Spill
	v_lshrrev_b32_e32 v4, 16, v13
	buffer_store_dword v4, off, s[0:3], s32 offset:272 ; 4-byte Folded Spill
	s_and_saveexec_b32 s17, vcc_lo
	s_cbranch_execz .LBB358_1199
; %bb.1198:                             ;   in Loop: Header=BB358_1066 Depth=1
	buffer_load_dword v4, off, s[0:3], s32 offset:288 ; 4-byte Folded Reload
	v_cmp_lt_i32_e64 s5, v75, v96
	s_waitcnt vmcnt(0)
	v_cndmask_b32_e64 v4, 0, v4, s5
	v_cmp_lt_i32_e64 s5, v90, v96
	buffer_store_dword v4, off, s[0:3], s32 offset:288 ; 4-byte Folded Spill
	buffer_load_dword v4, off, s[0:3], s32 offset:292 ; 4-byte Folded Reload
	s_waitcnt vmcnt(0)
	v_cndmask_b32_e64 v4, 0, v4, s5
	v_cmp_lt_i32_e64 s5, v89, v96
	buffer_store_dword v4, off, s[0:3], s32 offset:292 ; 4-byte Folded Spill
	buffer_load_dword v4, off, s[0:3], s32 offset:284 ; 4-byte Folded Reload
	;; [unrolled: 5-line block ×7, first 2 shown]
	s_waitcnt vmcnt(0)
	v_cndmask_b32_e64 v4, 0, v4, s5
	buffer_store_dword v4, off, s[0:3], s32 offset:272 ; 4-byte Folded Spill
.LBB358_1199:                           ;   in Loop: Header=BB358_1066 Depth=1
	s_or_b32 exec_lo, exec_lo, s17
	flat_load_dwordx2 v[18:19], v[16:17] offset:512
	v_mov_b32_e32 v5, 0
	v_mov_b32_e32 v4, 0
	s_waitcnt vmcnt(0) lgkmcnt(0)
	v_cmp_ne_u16_sdwa s5, v18, v11 src0_sel:BYTE_0 src1_sel:DWORD
	s_and_saveexec_b32 s17, s5
	s_cbranch_execz .LBB358_1207
; %bb.1200:                             ;   in Loop: Header=BB358_1066 Depth=1
	v_cmp_ne_u16_sdwa s5, v18, v65 src0_sel:BYTE_0 src1_sel:DWORD
	v_bfrev_b32_e32 v4, 1
	s_and_saveexec_b32 s18, s5
	s_cbranch_execz .LBB358_1206
; %bb.1201:                             ;   in Loop: Header=BB358_1066 Depth=1
	v_and_b32_e32 v10, 0x7f, v18
	v_mov_b32_e32 v4, 0x7f800001
	s_mov_b32 s20, exec_lo
	v_cmpx_ne_u32_e32 0x7f, v10
	s_cbranch_execz .LBB358_1205
; %bb.1202:                             ;   in Loop: Header=BB358_1066 Depth=1
	v_mov_b32_e32 v24, v19
	v_lshrrev_b32_e32 v4, 3, v10
	v_mov_b32_e32 v23, v18
	s_mov_b32 s21, exec_lo
	v_cmpx_gt_u32_e32 8, v10
; %bb.1203:                             ;   in Loop: Header=BB358_1066 Depth=1
	v_and_b32_e32 v4, 7, v18
	v_ffbh_u32_e32 v4, v4
	v_min_u32_e32 v4, 32, v4
	v_subrev_nc_u32_e32 v10, 28, v4
	v_sub_nc_u32_e32 v4, 29, v4
	v_lshlrev_b64 v[23:24], v10, v[18:19]
; %bb.1204:                             ;   in Loop: Header=BB358_1066 Depth=1
	s_or_b32 exec_lo, exec_lo, s21
	v_lshlrev_b32_e32 v10, 20, v23
	v_lshlrev_b32_e32 v12, 24, v18
	v_lshl_add_u32 v4, v4, 23, 0x3c000000
	v_and_b32_e32 v10, 0x700000, v10
	v_and_b32_e32 v12, 0x80000000, v12
	v_or3_b32 v4, v10, v12, v4
.LBB358_1205:                           ;   in Loop: Header=BB358_1066 Depth=1
	s_or_b32 exec_lo, exec_lo, s20
.LBB358_1206:                           ;   in Loop: Header=BB358_1066 Depth=1
	s_or_b32 exec_lo, exec_lo, s18
.LBB358_1207:                           ;   in Loop: Header=BB358_1066 Depth=1
	s_or_b32 exec_lo, exec_lo, s17
	v_cmp_ne_u16_sdwa s5, v18, v11 src0_sel:BYTE_1 src1_sel:DWORD
	s_and_saveexec_b32 s17, s5
	s_cbranch_execz .LBB358_1215
; %bb.1208:                             ;   in Loop: Header=BB358_1066 Depth=1
	v_cmp_ne_u16_sdwa s5, v18, v65 src0_sel:BYTE_1 src1_sel:DWORD
	v_bfrev_b32_e32 v5, 1
	s_and_saveexec_b32 s18, s5
	s_cbranch_execz .LBB358_1214
; %bb.1209:                             ;   in Loop: Header=BB358_1066 Depth=1
	v_mov_b32_e32 v5, 0xffff
	s_mov_b32 s20, exec_lo
	v_and_b32_sdwa v10, v5, v18 dst_sel:DWORD dst_unused:UNUSED_PAD src0_sel:DWORD src1_sel:BYTE_1
	v_mov_b32_e32 v5, 0x7f800001
	v_and_b32_e32 v12, 0x7f, v10
	v_cmpx_ne_u32_e32 0x7f, v12
	s_cbranch_execz .LBB358_1213
; %bb.1210:                             ;   in Loop: Header=BB358_1066 Depth=1
	v_and_b32_e32 v10, 7, v10
	v_mov_b32_e32 v24, v11
	v_lshrrev_b32_e32 v5, 3, v12
	s_mov_b32 s21, exec_lo
	v_mov_b32_e32 v23, v10
	v_cmpx_gt_u32_e32 8, v12
; %bb.1211:                             ;   in Loop: Header=BB358_1066 Depth=1
	v_ffbh_u32_e32 v5, v10
	v_min_u32_e32 v5, 32, v5
	v_subrev_nc_u32_e32 v12, 28, v5
	v_sub_nc_u32_e32 v5, 29, v5
	v_lshlrev_b64 v[12:13], v12, v[10:11]
	v_and_b32_e32 v23, 7, v12
; %bb.1212:                             ;   in Loop: Header=BB358_1066 Depth=1
	s_or_b32 exec_lo, exec_lo, s21
	v_lshlrev_b32_e32 v10, 16, v18
	v_lshlrev_b32_e32 v12, 20, v23
	v_lshl_add_u32 v5, v5, 23, 0x3c000000
	v_and_b32_e32 v10, 0x80000000, v10
	v_or3_b32 v5, v12, v10, v5
.LBB358_1213:                           ;   in Loop: Header=BB358_1066 Depth=1
	s_or_b32 exec_lo, exec_lo, s20
.LBB358_1214:                           ;   in Loop: Header=BB358_1066 Depth=1
	s_or_b32 exec_lo, exec_lo, s18
.LBB358_1215:                           ;   in Loop: Header=BB358_1066 Depth=1
	s_or_b32 exec_lo, exec_lo, s17
	v_and_b32_sdwa v10, v18, v70 dst_sel:DWORD dst_unused:UNUSED_PAD src0_sel:WORD_1 src1_sel:DWORD
	v_mov_b32_e32 v13, 0
	v_mov_b32_e32 v12, 0
	s_mov_b32 s17, exec_lo
	v_cmpx_ne_u16_e32 0, v10
	s_cbranch_execz .LBB358_1223
; %bb.1216:                             ;   in Loop: Header=BB358_1066 Depth=1
	v_bfrev_b32_e32 v12, 1
	s_mov_b32 s18, exec_lo
	v_cmpx_ne_u16_e32 0x80, v10
	s_cbranch_execz .LBB358_1222
; %bb.1217:                             ;   in Loop: Header=BB358_1066 Depth=1
	v_bfe_u32 v20, v18, 16, 7
	v_mov_b32_e32 v12, 0x7f800001
	s_mov_b32 s20, exec_lo
	v_cmpx_ne_u32_e32 0x7f, v20
	s_cbranch_execz .LBB358_1221
; %bb.1218:                             ;   in Loop: Header=BB358_1066 Depth=1
	v_mov_b32_e32 v10, 7
	v_lshrrev_b32_e32 v12, 3, v20
	s_mov_b32 s21, exec_lo
	v_and_b32_sdwa v10, v18, v10 dst_sel:DWORD dst_unused:UNUSED_PAD src0_sel:WORD_1 src1_sel:DWORD
	v_mov_b32_e32 v24, v11
	v_mov_b32_e32 v23, v10
	v_cmpx_gt_u32_e32 8, v20
; %bb.1219:                             ;   in Loop: Header=BB358_1066 Depth=1
	v_ffbh_u32_e32 v12, v10
	v_min_u32_e32 v12, 32, v12
	v_subrev_nc_u32_e32 v20, 28, v12
	v_sub_nc_u32_e32 v12, 29, v12
	v_lshlrev_b64 v[20:21], v20, v[10:11]
	v_and_b32_e32 v23, 7, v20
; %bb.1220:                             ;   in Loop: Header=BB358_1066 Depth=1
	s_or_b32 exec_lo, exec_lo, s21
	v_mov_b32_e32 v10, 24
	v_lshlrev_b32_e32 v20, 20, v23
	v_lshl_add_u32 v12, v12, 23, 0x3c000000
	v_lshlrev_b32_sdwa v10, v10, v18 dst_sel:DWORD dst_unused:UNUSED_PAD src0_sel:DWORD src1_sel:WORD_1
	v_and_b32_e32 v10, 0x80000000, v10
	v_or3_b32 v12, v20, v10, v12
.LBB358_1221:                           ;   in Loop: Header=BB358_1066 Depth=1
	s_or_b32 exec_lo, exec_lo, s20
.LBB358_1222:                           ;   in Loop: Header=BB358_1066 Depth=1
	s_or_b32 exec_lo, exec_lo, s18
.LBB358_1223:                           ;   in Loop: Header=BB358_1066 Depth=1
	s_or_b32 exec_lo, exec_lo, s17
	s_mov_b32 s17, exec_lo
	v_cmpx_lt_u32_e32 0xffffff, v18
	s_cbranch_execz .LBB358_1231
; %bb.1224:                             ;   in Loop: Header=BB358_1066 Depth=1
	v_cmp_ne_u32_sdwa s5, v18, v65 src0_sel:BYTE_3 src1_sel:DWORD
	v_bfrev_b32_e32 v13, 1
	s_and_saveexec_b32 s18, s5
	s_cbranch_execz .LBB358_1230
; %bb.1225:                             ;   in Loop: Header=BB358_1066 Depth=1
	v_bfe_u32 v20, v18, 24, 7
	v_mov_b32_e32 v13, 0x7f800001
	s_mov_b32 s20, exec_lo
	v_cmpx_ne_u32_e32 0x7f, v20
	s_cbranch_execz .LBB358_1229
; %bb.1226:                             ;   in Loop: Header=BB358_1066 Depth=1
	v_mov_b32_e32 v10, 7
	v_lshrrev_b32_e32 v13, 3, v20
	s_mov_b32 s21, exec_lo
	v_and_b32_sdwa v10, v18, v10 dst_sel:DWORD dst_unused:UNUSED_PAD src0_sel:BYTE_3 src1_sel:DWORD
	v_mov_b32_e32 v24, v11
	v_mov_b32_e32 v23, v10
	v_cmpx_gt_u32_e32 8, v20
; %bb.1227:                             ;   in Loop: Header=BB358_1066 Depth=1
	v_ffbh_u32_e32 v13, v10
	v_min_u32_e32 v13, 32, v13
	v_subrev_nc_u32_e32 v20, 28, v13
	v_sub_nc_u32_e32 v13, 29, v13
	v_lshlrev_b64 v[20:21], v20, v[10:11]
	v_and_b32_e32 v23, 7, v20
; %bb.1228:                             ;   in Loop: Header=BB358_1066 Depth=1
	s_or_b32 exec_lo, exec_lo, s21
	v_mov_b32_e32 v10, 24
	v_lshlrev_b32_e32 v20, 20, v23
	v_lshl_add_u32 v13, v13, 23, 0x3c000000
	v_lshlrev_b32_sdwa v10, v10, v18 dst_sel:DWORD dst_unused:UNUSED_PAD src0_sel:DWORD src1_sel:BYTE_3
	v_and_b32_e32 v10, 0x80000000, v10
	v_or3_b32 v13, v20, v10, v13
.LBB358_1229:                           ;   in Loop: Header=BB358_1066 Depth=1
	s_or_b32 exec_lo, exec_lo, s20
.LBB358_1230:                           ;   in Loop: Header=BB358_1066 Depth=1
	s_or_b32 exec_lo, exec_lo, s18
.LBB358_1231:                           ;   in Loop: Header=BB358_1066 Depth=1
	s_or_b32 exec_lo, exec_lo, s17
	v_mov_b32_e32 v10, v19
	v_cmp_ne_u16_sdwa s5, v19, v11 src0_sel:BYTE_0 src1_sel:DWORD
	v_mov_b32_e32 v21, 0
	v_mov_b32_e32 v20, 0
	s_and_saveexec_b32 s17, s5
	s_cbranch_execz .LBB358_1239
; %bb.1232:                             ;   in Loop: Header=BB358_1066 Depth=1
	v_cmp_ne_u16_sdwa s5, v19, v65 src0_sel:BYTE_0 src1_sel:DWORD
	v_bfrev_b32_e32 v20, 1
	s_and_saveexec_b32 s18, s5
	s_cbranch_execz .LBB358_1238
; %bb.1233:                             ;   in Loop: Header=BB358_1066 Depth=1
	v_and_b32_e32 v22, 0x7f, v19
	v_mov_b32_e32 v20, 0x7f800001
	s_mov_b32 s20, exec_lo
	v_cmpx_ne_u32_e32 0x7f, v22
	s_cbranch_execz .LBB358_1237
; %bb.1234:                             ;   in Loop: Header=BB358_1066 Depth=1
	v_mov_b32_e32 v24, v11
	v_lshrrev_b32_e32 v20, 3, v22
	v_mov_b32_e32 v23, v10
	s_mov_b32 s21, exec_lo
	v_cmpx_gt_u32_e32 8, v22
; %bb.1235:                             ;   in Loop: Header=BB358_1066 Depth=1
	v_and_b32_e32 v20, 7, v19
	v_ffbh_u32_e32 v20, v20
	v_min_u32_e32 v20, 32, v20
	v_subrev_nc_u32_e32 v22, 28, v20
	v_sub_nc_u32_e32 v20, 29, v20
	v_lshlrev_b64 v[23:24], v22, v[10:11]
; %bb.1236:                             ;   in Loop: Header=BB358_1066 Depth=1
	s_or_b32 exec_lo, exec_lo, s21
	v_lshlrev_b32_e32 v22, 20, v23
	v_lshlrev_b32_e32 v23, 24, v10
	v_lshl_add_u32 v20, v20, 23, 0x3c000000
	v_and_b32_e32 v22, 0x700000, v22
	v_and_b32_e32 v23, 0x80000000, v23
	v_or3_b32 v20, v22, v23, v20
.LBB358_1237:                           ;   in Loop: Header=BB358_1066 Depth=1
	s_or_b32 exec_lo, exec_lo, s20
.LBB358_1238:                           ;   in Loop: Header=BB358_1066 Depth=1
	s_or_b32 exec_lo, exec_lo, s18
.LBB358_1239:                           ;   in Loop: Header=BB358_1066 Depth=1
	s_or_b32 exec_lo, exec_lo, s17
	v_cmp_ne_u16_sdwa s5, v10, v11 src0_sel:BYTE_1 src1_sel:DWORD
	s_and_saveexec_b32 s17, s5
	s_cbranch_execz .LBB358_1247
; %bb.1240:                             ;   in Loop: Header=BB358_1066 Depth=1
	v_cmp_ne_u16_sdwa s5, v10, v65 src0_sel:BYTE_1 src1_sel:DWORD
	v_bfrev_b32_e32 v21, 1
	s_and_saveexec_b32 s18, s5
	s_cbranch_execz .LBB358_1246
; %bb.1241:                             ;   in Loop: Header=BB358_1066 Depth=1
	v_mov_b32_e32 v21, 0xffff
	s_mov_b32 s20, exec_lo
	v_and_b32_sdwa v23, v21, v10 dst_sel:DWORD dst_unused:UNUSED_PAD src0_sel:DWORD src1_sel:BYTE_1
	v_mov_b32_e32 v21, 0x7f800001
	v_and_b32_e32 v22, 0x7f, v23
	v_cmpx_ne_u32_e32 0x7f, v22
	s_cbranch_execz .LBB358_1245
; %bb.1242:                             ;   in Loop: Header=BB358_1066 Depth=1
	v_and_b32_e32 v23, 7, v23
	v_mov_b32_e32 v24, v11
	v_lshrrev_b32_e32 v21, 3, v22
	s_mov_b32 s21, exec_lo
	v_cmpx_gt_u32_e32 8, v22
; %bb.1243:                             ;   in Loop: Header=BB358_1066 Depth=1
	v_ffbh_u32_e32 v21, v23
	v_min_u32_e32 v21, 32, v21
	v_subrev_nc_u32_e32 v22, 28, v21
	v_sub_nc_u32_e32 v21, 29, v21
	v_lshlrev_b64 v[22:23], v22, v[23:24]
	v_and_b32_e32 v23, 7, v22
; %bb.1244:                             ;   in Loop: Header=BB358_1066 Depth=1
	s_or_b32 exec_lo, exec_lo, s21
	v_lshlrev_b32_e32 v10, 16, v10
	v_lshlrev_b32_e32 v22, 20, v23
	v_lshl_add_u32 v21, v21, 23, 0x3c000000
	v_and_b32_e32 v10, 0x80000000, v10
	v_or3_b32 v21, v22, v10, v21
.LBB358_1245:                           ;   in Loop: Header=BB358_1066 Depth=1
	s_or_b32 exec_lo, exec_lo, s20
.LBB358_1246:                           ;   in Loop: Header=BB358_1066 Depth=1
	s_or_b32 exec_lo, exec_lo, s18
.LBB358_1247:                           ;   in Loop: Header=BB358_1066 Depth=1
	s_or_b32 exec_lo, exec_lo, s17
	v_and_b32_sdwa v10, v19, v70 dst_sel:DWORD dst_unused:UNUSED_PAD src0_sel:WORD_1 src1_sel:DWORD
	v_mov_b32_e32 v22, 0
	v_mov_b32_e32 v25, 0
	s_mov_b32 s17, exec_lo
	v_cmpx_ne_u16_e32 0, v10
	s_cbranch_execz .LBB358_1255
; %bb.1248:                             ;   in Loop: Header=BB358_1066 Depth=1
	v_bfrev_b32_e32 v25, 1
	s_mov_b32 s18, exec_lo
	v_cmpx_ne_u16_e32 0x80, v10
	s_cbranch_execz .LBB358_1254
; %bb.1249:                             ;   in Loop: Header=BB358_1066 Depth=1
	v_bfe_u32 v23, v19, 16, 7
	v_mov_b32_e32 v25, 0x7f800001
	s_mov_b32 s20, exec_lo
	v_cmpx_ne_u32_e32 0x7f, v23
	s_cbranch_execz .LBB358_1253
; %bb.1250:                             ;   in Loop: Header=BB358_1066 Depth=1
	v_mov_b32_e32 v10, 7
	v_lshrrev_b32_e32 v25, 3, v23
	v_cmp_gt_u32_e64 s5, 8, v23
	v_and_b32_sdwa v10, v19, v10 dst_sel:DWORD dst_unused:UNUSED_PAD src0_sel:WORD_1 src1_sel:DWORD
	v_mov_b32_e32 v24, v11
	v_mov_b32_e32 v23, v10
	s_and_saveexec_b32 s21, s5
; %bb.1251:                             ;   in Loop: Header=BB358_1066 Depth=1
	v_ffbh_u32_e32 v23, v10
	v_min_u32_e32 v25, 32, v23
	v_subrev_nc_u32_e32 v23, 28, v25
	v_sub_nc_u32_e32 v25, 29, v25
	v_lshlrev_b64 v[23:24], v23, v[10:11]
	v_and_b32_e32 v23, 7, v23
; %bb.1252:                             ;   in Loop: Header=BB358_1066 Depth=1
	s_or_b32 exec_lo, exec_lo, s21
	v_mov_b32_e32 v10, 24
	v_lshlrev_b32_e32 v23, 20, v23
	v_lshl_add_u32 v24, v25, 23, 0x3c000000
	v_lshlrev_b32_sdwa v10, v10, v19 dst_sel:DWORD dst_unused:UNUSED_PAD src0_sel:DWORD src1_sel:WORD_1
	v_and_b32_e32 v10, 0x80000000, v10
	v_or3_b32 v25, v23, v10, v24
.LBB358_1253:                           ;   in Loop: Header=BB358_1066 Depth=1
	s_or_b32 exec_lo, exec_lo, s20
.LBB358_1254:                           ;   in Loop: Header=BB358_1066 Depth=1
	s_or_b32 exec_lo, exec_lo, s18
.LBB358_1255:                           ;   in Loop: Header=BB358_1066 Depth=1
	s_or_b32 exec_lo, exec_lo, s17
	s_mov_b32 s17, exec_lo
	v_cmpx_lt_u64_e64 s[12:13], v[18:19]
	s_cbranch_execz .LBB358_1263
; %bb.1256:                             ;   in Loop: Header=BB358_1066 Depth=1
	v_cmp_ne_u32_sdwa s5, v19, v65 src0_sel:BYTE_3 src1_sel:DWORD
	v_bfrev_b32_e32 v22, 1
	s_and_saveexec_b32 s18, s5
	s_cbranch_execz .LBB358_1262
; %bb.1257:                             ;   in Loop: Header=BB358_1066 Depth=1
	v_bfe_u32 v23, v19, 24, 7
	v_mov_b32_e32 v22, 0x7f800001
	s_mov_b32 s20, exec_lo
	v_cmpx_ne_u32_e32 0x7f, v23
	s_cbranch_execz .LBB358_1261
; %bb.1258:                             ;   in Loop: Header=BB358_1066 Depth=1
	v_mov_b32_e32 v10, 7
	v_lshrrev_b32_e32 v18, 3, v23
	v_cmp_gt_u32_e64 s5, 8, v23
	v_and_b32_sdwa v10, v19, v10 dst_sel:DWORD dst_unused:UNUSED_PAD src0_sel:BYTE_3 src1_sel:DWORD
	v_mov_b32_e32 v24, v11
	v_mov_b32_e32 v23, v10
	s_and_saveexec_b32 s21, s5
; %bb.1259:                             ;   in Loop: Header=BB358_1066 Depth=1
	v_ffbh_u32_e32 v18, v10
	v_min_u32_e32 v18, 32, v18
	v_subrev_nc_u32_e32 v22, 28, v18
	v_sub_nc_u32_e32 v18, 29, v18
	v_lshlrev_b64 v[22:23], v22, v[10:11]
	v_and_b32_e32 v23, 7, v22
; %bb.1260:                             ;   in Loop: Header=BB358_1066 Depth=1
	s_or_b32 exec_lo, exec_lo, s21
	v_mov_b32_e32 v10, 24
	v_lshl_add_u32 v18, v18, 23, 0x3c000000
	v_lshlrev_b32_sdwa v10, v10, v19 dst_sel:DWORD dst_unused:UNUSED_PAD src0_sel:DWORD src1_sel:BYTE_3
	v_lshlrev_b32_e32 v19, 20, v23
	v_and_b32_e32 v10, 0x80000000, v10
	v_or3_b32 v22, v19, v10, v18
.LBB358_1261:                           ;   in Loop: Header=BB358_1066 Depth=1
	s_or_b32 exec_lo, exec_lo, s20
.LBB358_1262:                           ;   in Loop: Header=BB358_1066 Depth=1
	s_or_b32 exec_lo, exec_lo, s18
.LBB358_1263:                           ;   in Loop: Header=BB358_1066 Depth=1
	s_or_b32 exec_lo, exec_lo, s17
	v_mul_f32_e32 v10, v58, v21
	v_mul_f32_e32 v18, v58, v20
	v_mul_f32_e32 v13, v58, v13
	v_mul_f32_e32 v12, v58, v12
	v_mul_f32_e32 v5, v58, v5
	v_bfe_u32 v19, v10, 16, 1
	v_or_b32_e32 v20, 0x400000, v10
	v_bfe_u32 v21, v18, 16, 1
	v_cmp_u_f32_e64 s5, v10, v10
	v_or_b32_e32 v23, 0x400000, v18
	v_add3_u32 v19, v19, v10, 0x7fff
	v_bfe_u32 v24, v13, 16, 1
	v_add3_u32 v21, v21, v18, 0x7fff
	v_or_b32_e32 v26, 0x400000, v13
	v_bfe_u32 v27, v12, 16, 1
	v_cndmask_b32_e64 v10, v19, v20, s5
	v_cmp_u_f32_e64 s5, v18, v18
	v_add3_u32 v24, v24, v13, 0x7fff
	v_or_b32_e32 v19, 0x400000, v12
	v_mul_f32_e32 v4, v58, v4
	v_lshrrev_b32_e32 v10, 16, v10
	v_cndmask_b32_e64 v18, v21, v23, s5
	v_cmp_u_f32_e64 s5, v13, v13
	v_bfe_u32 v20, v4, 16, 1
	buffer_store_dword v10, off, s[0:3], s32 offset:304 ; 4-byte Folded Spill
	v_add3_u32 v10, v27, v12, 0x7fff
	v_cndmask_b32_e64 v13, v24, v26, s5
	v_lshrrev_b32_e32 v18, 16, v18
	v_cmp_u_f32_e64 s5, v12, v12
	v_mul_f32_e32 v12, v58, v25
	v_lshrrev_b32_e32 v13, 16, v13
	buffer_store_dword v18, off, s[0:3], s32 offset:296 ; 4-byte Folded Spill
	v_cndmask_b32_e64 v10, v10, v19, s5
	v_or_b32_e32 v18, 0x400000, v5
	v_cmp_u_f32_e64 s5, v5, v5
	buffer_store_dword v13, off, s[0:3], s32 offset:312 ; 4-byte Folded Spill
	v_bfe_u32 v13, v5, 16, 1
	v_mul_f32_e32 v19, v58, v22
	v_bfe_u32 v21, v12, 16, 1
	v_or_b32_e32 v22, 0x400000, v12
	v_lshrrev_b32_e32 v10, 16, v10
	v_add3_u32 v13, v13, v5, 0x7fff
	v_or_b32_e32 v23, 0x400000, v19
	v_add3_u32 v21, v21, v12, 0x7fff
	buffer_store_dword v10, off, s[0:3], s32 offset:316 ; 4-byte Folded Spill
	v_cndmask_b32_e64 v5, v13, v18, s5
	v_add3_u32 v18, v20, v4, 0x7fff
	v_or_b32_e32 v20, 0x400000, v4
	v_cmp_u_f32_e64 s5, v4, v4
	v_bfe_u32 v13, v19, 16, 1
	v_lshrrev_b32_e32 v5, 16, v5
	v_cndmask_b32_e64 v4, v18, v20, s5
	v_cmp_u_f32_e64 s5, v12, v12
	v_add3_u32 v13, v13, v19, 0x7fff
	buffer_store_dword v5, off, s[0:3], s32 offset:324 ; 4-byte Folded Spill
	v_lshrrev_b32_e32 v4, 16, v4
	v_cndmask_b32_e64 v12, v21, v22, s5
	v_cmp_u_f32_e64 s5, v19, v19
	buffer_store_dword v4, off, s[0:3], s32 offset:320 ; 4-byte Folded Spill
	v_lshrrev_b32_e32 v4, 16, v12
	v_cndmask_b32_e64 v13, v13, v23, s5
	buffer_store_dword v4, off, s[0:3], s32 offset:300 ; 4-byte Folded Spill
	v_lshrrev_b32_e32 v4, 16, v13
	buffer_store_dword v4, off, s[0:3], s32 offset:308 ; 4-byte Folded Spill
	s_and_saveexec_b32 s17, vcc_lo
	s_cbranch_execz .LBB358_1265
; %bb.1264:                             ;   in Loop: Header=BB358_1066 Depth=1
	buffer_load_dword v4, off, s[0:3], s32 offset:320 ; 4-byte Folded Reload
	v_cmp_lt_i32_e64 s5, v75, v96
	s_waitcnt vmcnt(0)
	v_cndmask_b32_e64 v4, 0, v4, s5
	v_cmp_lt_i32_e64 s5, v90, v96
	buffer_store_dword v4, off, s[0:3], s32 offset:320 ; 4-byte Folded Spill
	buffer_load_dword v4, off, s[0:3], s32 offset:324 ; 4-byte Folded Reload
	s_waitcnt vmcnt(0)
	v_cndmask_b32_e64 v4, 0, v4, s5
	v_cmp_lt_i32_e64 s5, v89, v96
	buffer_store_dword v4, off, s[0:3], s32 offset:324 ; 4-byte Folded Spill
	buffer_load_dword v4, off, s[0:3], s32 offset:316 ; 4-byte Folded Reload
	;; [unrolled: 5-line block ×7, first 2 shown]
	s_waitcnt vmcnt(0)
	v_cndmask_b32_e64 v4, 0, v4, s5
	buffer_store_dword v4, off, s[0:3], s32 offset:308 ; 4-byte Folded Spill
.LBB358_1265:                           ;   in Loop: Header=BB358_1066 Depth=1
	s_or_b32 exec_lo, exec_lo, s17
	flat_load_dwordx2 v[18:19], v[16:17] offset:768
	v_mov_b32_e32 v5, 0
	v_mov_b32_e32 v4, 0
	s_waitcnt vmcnt(0) lgkmcnt(0)
	v_cmp_ne_u16_sdwa s5, v18, v11 src0_sel:BYTE_0 src1_sel:DWORD
	s_and_saveexec_b32 s17, s5
	s_cbranch_execz .LBB358_1273
; %bb.1266:                             ;   in Loop: Header=BB358_1066 Depth=1
	v_cmp_ne_u16_sdwa s5, v18, v65 src0_sel:BYTE_0 src1_sel:DWORD
	v_bfrev_b32_e32 v4, 1
	s_and_saveexec_b32 s18, s5
	s_cbranch_execz .LBB358_1272
; %bb.1267:                             ;   in Loop: Header=BB358_1066 Depth=1
	v_and_b32_e32 v10, 0x7f, v18
	v_mov_b32_e32 v4, 0x7f800001
	s_mov_b32 s20, exec_lo
	v_cmpx_ne_u32_e32 0x7f, v10
	s_cbranch_execz .LBB358_1271
; %bb.1268:                             ;   in Loop: Header=BB358_1066 Depth=1
	v_mov_b32_e32 v24, v19
	v_lshrrev_b32_e32 v4, 3, v10
	v_mov_b32_e32 v23, v18
	s_mov_b32 s21, exec_lo
	v_cmpx_gt_u32_e32 8, v10
; %bb.1269:                             ;   in Loop: Header=BB358_1066 Depth=1
	v_and_b32_e32 v4, 7, v18
	v_ffbh_u32_e32 v4, v4
	v_min_u32_e32 v4, 32, v4
	v_subrev_nc_u32_e32 v10, 28, v4
	v_sub_nc_u32_e32 v4, 29, v4
	v_lshlrev_b64 v[23:24], v10, v[18:19]
; %bb.1270:                             ;   in Loop: Header=BB358_1066 Depth=1
	s_or_b32 exec_lo, exec_lo, s21
	v_lshlrev_b32_e32 v10, 20, v23
	v_lshlrev_b32_e32 v12, 24, v18
	v_lshl_add_u32 v4, v4, 23, 0x3c000000
	v_and_b32_e32 v10, 0x700000, v10
	v_and_b32_e32 v12, 0x80000000, v12
	v_or3_b32 v4, v10, v12, v4
.LBB358_1271:                           ;   in Loop: Header=BB358_1066 Depth=1
	s_or_b32 exec_lo, exec_lo, s20
.LBB358_1272:                           ;   in Loop: Header=BB358_1066 Depth=1
	s_or_b32 exec_lo, exec_lo, s18
.LBB358_1273:                           ;   in Loop: Header=BB358_1066 Depth=1
	s_or_b32 exec_lo, exec_lo, s17
	v_cmp_ne_u16_sdwa s5, v18, v11 src0_sel:BYTE_1 src1_sel:DWORD
	s_and_saveexec_b32 s17, s5
	s_cbranch_execz .LBB358_1281
; %bb.1274:                             ;   in Loop: Header=BB358_1066 Depth=1
	v_cmp_ne_u16_sdwa s5, v18, v65 src0_sel:BYTE_1 src1_sel:DWORD
	v_bfrev_b32_e32 v5, 1
	s_and_saveexec_b32 s18, s5
	s_cbranch_execz .LBB358_1280
; %bb.1275:                             ;   in Loop: Header=BB358_1066 Depth=1
	v_mov_b32_e32 v5, 0xffff
	s_mov_b32 s20, exec_lo
	v_and_b32_sdwa v10, v5, v18 dst_sel:DWORD dst_unused:UNUSED_PAD src0_sel:DWORD src1_sel:BYTE_1
	v_mov_b32_e32 v5, 0x7f800001
	v_and_b32_e32 v12, 0x7f, v10
	v_cmpx_ne_u32_e32 0x7f, v12
	s_cbranch_execz .LBB358_1279
; %bb.1276:                             ;   in Loop: Header=BB358_1066 Depth=1
	v_and_b32_e32 v10, 7, v10
	v_mov_b32_e32 v24, v11
	v_lshrrev_b32_e32 v5, 3, v12
	s_mov_b32 s21, exec_lo
	v_mov_b32_e32 v23, v10
	v_cmpx_gt_u32_e32 8, v12
; %bb.1277:                             ;   in Loop: Header=BB358_1066 Depth=1
	v_ffbh_u32_e32 v5, v10
	v_min_u32_e32 v5, 32, v5
	v_subrev_nc_u32_e32 v12, 28, v5
	v_sub_nc_u32_e32 v5, 29, v5
	v_lshlrev_b64 v[12:13], v12, v[10:11]
	v_and_b32_e32 v23, 7, v12
; %bb.1278:                             ;   in Loop: Header=BB358_1066 Depth=1
	s_or_b32 exec_lo, exec_lo, s21
	v_lshlrev_b32_e32 v10, 16, v18
	v_lshlrev_b32_e32 v12, 20, v23
	v_lshl_add_u32 v5, v5, 23, 0x3c000000
	v_and_b32_e32 v10, 0x80000000, v10
	v_or3_b32 v5, v12, v10, v5
.LBB358_1279:                           ;   in Loop: Header=BB358_1066 Depth=1
	s_or_b32 exec_lo, exec_lo, s20
.LBB358_1280:                           ;   in Loop: Header=BB358_1066 Depth=1
	s_or_b32 exec_lo, exec_lo, s18
.LBB358_1281:                           ;   in Loop: Header=BB358_1066 Depth=1
	s_or_b32 exec_lo, exec_lo, s17
	v_and_b32_sdwa v10, v18, v70 dst_sel:DWORD dst_unused:UNUSED_PAD src0_sel:WORD_1 src1_sel:DWORD
	v_mov_b32_e32 v13, 0
	v_mov_b32_e32 v12, 0
	s_mov_b32 s17, exec_lo
	v_cmpx_ne_u16_e32 0, v10
	s_cbranch_execz .LBB358_1289
; %bb.1282:                             ;   in Loop: Header=BB358_1066 Depth=1
	v_bfrev_b32_e32 v12, 1
	s_mov_b32 s18, exec_lo
	v_cmpx_ne_u16_e32 0x80, v10
	s_cbranch_execz .LBB358_1288
; %bb.1283:                             ;   in Loop: Header=BB358_1066 Depth=1
	v_bfe_u32 v20, v18, 16, 7
	v_mov_b32_e32 v12, 0x7f800001
	s_mov_b32 s20, exec_lo
	v_cmpx_ne_u32_e32 0x7f, v20
	s_cbranch_execz .LBB358_1287
; %bb.1284:                             ;   in Loop: Header=BB358_1066 Depth=1
	v_mov_b32_e32 v10, 7
	v_lshrrev_b32_e32 v12, 3, v20
	s_mov_b32 s21, exec_lo
	v_and_b32_sdwa v10, v18, v10 dst_sel:DWORD dst_unused:UNUSED_PAD src0_sel:WORD_1 src1_sel:DWORD
	v_mov_b32_e32 v24, v11
	v_mov_b32_e32 v23, v10
	v_cmpx_gt_u32_e32 8, v20
; %bb.1285:                             ;   in Loop: Header=BB358_1066 Depth=1
	v_ffbh_u32_e32 v12, v10
	v_min_u32_e32 v12, 32, v12
	v_subrev_nc_u32_e32 v20, 28, v12
	v_sub_nc_u32_e32 v12, 29, v12
	v_lshlrev_b64 v[20:21], v20, v[10:11]
	v_and_b32_e32 v23, 7, v20
; %bb.1286:                             ;   in Loop: Header=BB358_1066 Depth=1
	s_or_b32 exec_lo, exec_lo, s21
	v_mov_b32_e32 v10, 24
	v_lshlrev_b32_e32 v20, 20, v23
	v_lshl_add_u32 v12, v12, 23, 0x3c000000
	v_lshlrev_b32_sdwa v10, v10, v18 dst_sel:DWORD dst_unused:UNUSED_PAD src0_sel:DWORD src1_sel:WORD_1
	v_and_b32_e32 v10, 0x80000000, v10
	v_or3_b32 v12, v20, v10, v12
.LBB358_1287:                           ;   in Loop: Header=BB358_1066 Depth=1
	s_or_b32 exec_lo, exec_lo, s20
.LBB358_1288:                           ;   in Loop: Header=BB358_1066 Depth=1
	s_or_b32 exec_lo, exec_lo, s18
.LBB358_1289:                           ;   in Loop: Header=BB358_1066 Depth=1
	s_or_b32 exec_lo, exec_lo, s17
	s_mov_b32 s17, exec_lo
	v_cmpx_lt_u32_e32 0xffffff, v18
	s_cbranch_execz .LBB358_1297
; %bb.1290:                             ;   in Loop: Header=BB358_1066 Depth=1
	v_cmp_ne_u32_sdwa s5, v18, v65 src0_sel:BYTE_3 src1_sel:DWORD
	v_bfrev_b32_e32 v13, 1
	s_and_saveexec_b32 s18, s5
	s_cbranch_execz .LBB358_1296
; %bb.1291:                             ;   in Loop: Header=BB358_1066 Depth=1
	v_bfe_u32 v20, v18, 24, 7
	v_mov_b32_e32 v13, 0x7f800001
	s_mov_b32 s20, exec_lo
	v_cmpx_ne_u32_e32 0x7f, v20
	s_cbranch_execz .LBB358_1295
; %bb.1292:                             ;   in Loop: Header=BB358_1066 Depth=1
	v_mov_b32_e32 v10, 7
	v_lshrrev_b32_e32 v13, 3, v20
	s_mov_b32 s21, exec_lo
	v_and_b32_sdwa v10, v18, v10 dst_sel:DWORD dst_unused:UNUSED_PAD src0_sel:BYTE_3 src1_sel:DWORD
	v_mov_b32_e32 v24, v11
	v_mov_b32_e32 v23, v10
	v_cmpx_gt_u32_e32 8, v20
; %bb.1293:                             ;   in Loop: Header=BB358_1066 Depth=1
	v_ffbh_u32_e32 v13, v10
	v_min_u32_e32 v13, 32, v13
	v_subrev_nc_u32_e32 v20, 28, v13
	v_sub_nc_u32_e32 v13, 29, v13
	v_lshlrev_b64 v[20:21], v20, v[10:11]
	v_and_b32_e32 v23, 7, v20
; %bb.1294:                             ;   in Loop: Header=BB358_1066 Depth=1
	s_or_b32 exec_lo, exec_lo, s21
	v_mov_b32_e32 v10, 24
	v_lshlrev_b32_e32 v20, 20, v23
	v_lshl_add_u32 v13, v13, 23, 0x3c000000
	v_lshlrev_b32_sdwa v10, v10, v18 dst_sel:DWORD dst_unused:UNUSED_PAD src0_sel:DWORD src1_sel:BYTE_3
	v_and_b32_e32 v10, 0x80000000, v10
	v_or3_b32 v13, v20, v10, v13
.LBB358_1295:                           ;   in Loop: Header=BB358_1066 Depth=1
	s_or_b32 exec_lo, exec_lo, s20
.LBB358_1296:                           ;   in Loop: Header=BB358_1066 Depth=1
	s_or_b32 exec_lo, exec_lo, s18
.LBB358_1297:                           ;   in Loop: Header=BB358_1066 Depth=1
	s_or_b32 exec_lo, exec_lo, s17
	v_mov_b32_e32 v10, v19
	v_cmp_ne_u16_sdwa s5, v19, v11 src0_sel:BYTE_0 src1_sel:DWORD
	v_mov_b32_e32 v21, 0
	v_mov_b32_e32 v20, 0
	s_and_saveexec_b32 s17, s5
	s_cbranch_execz .LBB358_1305
; %bb.1298:                             ;   in Loop: Header=BB358_1066 Depth=1
	v_cmp_ne_u16_sdwa s5, v19, v65 src0_sel:BYTE_0 src1_sel:DWORD
	v_bfrev_b32_e32 v20, 1
	s_and_saveexec_b32 s18, s5
	s_cbranch_execz .LBB358_1304
; %bb.1299:                             ;   in Loop: Header=BB358_1066 Depth=1
	v_and_b32_e32 v22, 0x7f, v19
	v_mov_b32_e32 v20, 0x7f800001
	s_mov_b32 s20, exec_lo
	v_cmpx_ne_u32_e32 0x7f, v22
	s_cbranch_execz .LBB358_1303
; %bb.1300:                             ;   in Loop: Header=BB358_1066 Depth=1
	v_mov_b32_e32 v24, v11
	v_lshrrev_b32_e32 v20, 3, v22
	v_mov_b32_e32 v23, v10
	s_mov_b32 s21, exec_lo
	v_cmpx_gt_u32_e32 8, v22
; %bb.1301:                             ;   in Loop: Header=BB358_1066 Depth=1
	v_and_b32_e32 v20, 7, v19
	v_ffbh_u32_e32 v20, v20
	v_min_u32_e32 v20, 32, v20
	v_subrev_nc_u32_e32 v22, 28, v20
	v_sub_nc_u32_e32 v20, 29, v20
	v_lshlrev_b64 v[23:24], v22, v[10:11]
; %bb.1302:                             ;   in Loop: Header=BB358_1066 Depth=1
	s_or_b32 exec_lo, exec_lo, s21
	v_lshlrev_b32_e32 v22, 20, v23
	v_lshlrev_b32_e32 v23, 24, v10
	v_lshl_add_u32 v20, v20, 23, 0x3c000000
	v_and_b32_e32 v22, 0x700000, v22
	v_and_b32_e32 v23, 0x80000000, v23
	v_or3_b32 v20, v22, v23, v20
.LBB358_1303:                           ;   in Loop: Header=BB358_1066 Depth=1
	s_or_b32 exec_lo, exec_lo, s20
.LBB358_1304:                           ;   in Loop: Header=BB358_1066 Depth=1
	s_or_b32 exec_lo, exec_lo, s18
.LBB358_1305:                           ;   in Loop: Header=BB358_1066 Depth=1
	s_or_b32 exec_lo, exec_lo, s17
	v_cmp_ne_u16_sdwa s5, v10, v11 src0_sel:BYTE_1 src1_sel:DWORD
	s_and_saveexec_b32 s17, s5
	s_cbranch_execz .LBB358_1313
; %bb.1306:                             ;   in Loop: Header=BB358_1066 Depth=1
	v_cmp_ne_u16_sdwa s5, v10, v65 src0_sel:BYTE_1 src1_sel:DWORD
	v_bfrev_b32_e32 v21, 1
	s_and_saveexec_b32 s18, s5
	s_cbranch_execz .LBB358_1312
; %bb.1307:                             ;   in Loop: Header=BB358_1066 Depth=1
	v_mov_b32_e32 v21, 0xffff
	s_mov_b32 s20, exec_lo
	v_and_b32_sdwa v23, v21, v10 dst_sel:DWORD dst_unused:UNUSED_PAD src0_sel:DWORD src1_sel:BYTE_1
	v_mov_b32_e32 v21, 0x7f800001
	v_and_b32_e32 v22, 0x7f, v23
	v_cmpx_ne_u32_e32 0x7f, v22
	s_cbranch_execz .LBB358_1311
; %bb.1308:                             ;   in Loop: Header=BB358_1066 Depth=1
	v_and_b32_e32 v23, 7, v23
	v_mov_b32_e32 v24, v11
	v_lshrrev_b32_e32 v21, 3, v22
	s_mov_b32 s21, exec_lo
	v_cmpx_gt_u32_e32 8, v22
; %bb.1309:                             ;   in Loop: Header=BB358_1066 Depth=1
	v_ffbh_u32_e32 v21, v23
	v_min_u32_e32 v21, 32, v21
	v_subrev_nc_u32_e32 v22, 28, v21
	v_sub_nc_u32_e32 v21, 29, v21
	v_lshlrev_b64 v[22:23], v22, v[23:24]
	v_and_b32_e32 v23, 7, v22
; %bb.1310:                             ;   in Loop: Header=BB358_1066 Depth=1
	s_or_b32 exec_lo, exec_lo, s21
	v_lshlrev_b32_e32 v10, 16, v10
	v_lshlrev_b32_e32 v22, 20, v23
	v_lshl_add_u32 v21, v21, 23, 0x3c000000
	v_and_b32_e32 v10, 0x80000000, v10
	v_or3_b32 v21, v22, v10, v21
.LBB358_1311:                           ;   in Loop: Header=BB358_1066 Depth=1
	s_or_b32 exec_lo, exec_lo, s20
.LBB358_1312:                           ;   in Loop: Header=BB358_1066 Depth=1
	s_or_b32 exec_lo, exec_lo, s18
.LBB358_1313:                           ;   in Loop: Header=BB358_1066 Depth=1
	s_or_b32 exec_lo, exec_lo, s17
	v_and_b32_sdwa v10, v19, v70 dst_sel:DWORD dst_unused:UNUSED_PAD src0_sel:WORD_1 src1_sel:DWORD
	v_mov_b32_e32 v22, 0
	v_mov_b32_e32 v25, 0
	s_mov_b32 s17, exec_lo
	v_cmpx_ne_u16_e32 0, v10
	s_cbranch_execz .LBB358_1321
; %bb.1314:                             ;   in Loop: Header=BB358_1066 Depth=1
	v_bfrev_b32_e32 v25, 1
	s_mov_b32 s18, exec_lo
	v_cmpx_ne_u16_e32 0x80, v10
	s_cbranch_execz .LBB358_1320
; %bb.1315:                             ;   in Loop: Header=BB358_1066 Depth=1
	v_bfe_u32 v23, v19, 16, 7
	v_mov_b32_e32 v25, 0x7f800001
	s_mov_b32 s20, exec_lo
	v_cmpx_ne_u32_e32 0x7f, v23
	s_cbranch_execz .LBB358_1319
; %bb.1316:                             ;   in Loop: Header=BB358_1066 Depth=1
	v_mov_b32_e32 v10, 7
	v_lshrrev_b32_e32 v25, 3, v23
	v_cmp_gt_u32_e64 s5, 8, v23
	v_and_b32_sdwa v10, v19, v10 dst_sel:DWORD dst_unused:UNUSED_PAD src0_sel:WORD_1 src1_sel:DWORD
	v_mov_b32_e32 v24, v11
	v_mov_b32_e32 v23, v10
	s_and_saveexec_b32 s21, s5
; %bb.1317:                             ;   in Loop: Header=BB358_1066 Depth=1
	v_ffbh_u32_e32 v23, v10
	v_min_u32_e32 v25, 32, v23
	v_subrev_nc_u32_e32 v23, 28, v25
	v_sub_nc_u32_e32 v25, 29, v25
	v_lshlrev_b64 v[23:24], v23, v[10:11]
	v_and_b32_e32 v23, 7, v23
; %bb.1318:                             ;   in Loop: Header=BB358_1066 Depth=1
	s_or_b32 exec_lo, exec_lo, s21
	v_mov_b32_e32 v10, 24
	v_lshlrev_b32_e32 v23, 20, v23
	v_lshl_add_u32 v24, v25, 23, 0x3c000000
	v_lshlrev_b32_sdwa v10, v10, v19 dst_sel:DWORD dst_unused:UNUSED_PAD src0_sel:DWORD src1_sel:WORD_1
	v_and_b32_e32 v10, 0x80000000, v10
	v_or3_b32 v25, v23, v10, v24
.LBB358_1319:                           ;   in Loop: Header=BB358_1066 Depth=1
	s_or_b32 exec_lo, exec_lo, s20
.LBB358_1320:                           ;   in Loop: Header=BB358_1066 Depth=1
	s_or_b32 exec_lo, exec_lo, s18
.LBB358_1321:                           ;   in Loop: Header=BB358_1066 Depth=1
	s_or_b32 exec_lo, exec_lo, s17
	s_mov_b32 s17, exec_lo
	v_cmpx_lt_u64_e64 s[12:13], v[18:19]
	s_cbranch_execz .LBB358_1329
; %bb.1322:                             ;   in Loop: Header=BB358_1066 Depth=1
	v_cmp_ne_u32_sdwa s5, v19, v65 src0_sel:BYTE_3 src1_sel:DWORD
	v_bfrev_b32_e32 v22, 1
	s_and_saveexec_b32 s18, s5
	s_cbranch_execz .LBB358_1328
; %bb.1323:                             ;   in Loop: Header=BB358_1066 Depth=1
	v_bfe_u32 v23, v19, 24, 7
	v_mov_b32_e32 v22, 0x7f800001
	s_mov_b32 s20, exec_lo
	v_cmpx_ne_u32_e32 0x7f, v23
	s_cbranch_execz .LBB358_1327
; %bb.1324:                             ;   in Loop: Header=BB358_1066 Depth=1
	v_mov_b32_e32 v10, 7
	v_lshrrev_b32_e32 v18, 3, v23
	v_cmp_gt_u32_e64 s5, 8, v23
	v_and_b32_sdwa v10, v19, v10 dst_sel:DWORD dst_unused:UNUSED_PAD src0_sel:BYTE_3 src1_sel:DWORD
	v_mov_b32_e32 v24, v11
	v_mov_b32_e32 v23, v10
	s_and_saveexec_b32 s21, s5
; %bb.1325:                             ;   in Loop: Header=BB358_1066 Depth=1
	v_ffbh_u32_e32 v18, v10
	v_min_u32_e32 v18, 32, v18
	v_subrev_nc_u32_e32 v22, 28, v18
	v_sub_nc_u32_e32 v18, 29, v18
	v_lshlrev_b64 v[22:23], v22, v[10:11]
	v_and_b32_e32 v23, 7, v22
; %bb.1326:                             ;   in Loop: Header=BB358_1066 Depth=1
	s_or_b32 exec_lo, exec_lo, s21
	v_mov_b32_e32 v10, 24
	v_lshl_add_u32 v18, v18, 23, 0x3c000000
	v_lshlrev_b32_sdwa v10, v10, v19 dst_sel:DWORD dst_unused:UNUSED_PAD src0_sel:DWORD src1_sel:BYTE_3
	v_lshlrev_b32_e32 v19, 20, v23
	v_and_b32_e32 v10, 0x80000000, v10
	v_or3_b32 v22, v19, v10, v18
.LBB358_1327:                           ;   in Loop: Header=BB358_1066 Depth=1
	s_or_b32 exec_lo, exec_lo, s20
.LBB358_1328:                           ;   in Loop: Header=BB358_1066 Depth=1
	s_or_b32 exec_lo, exec_lo, s18
.LBB358_1329:                           ;   in Loop: Header=BB358_1066 Depth=1
	s_or_b32 exec_lo, exec_lo, s17
	v_mul_f32_e32 v10, v58, v21
	v_mul_f32_e32 v18, v58, v20
	;; [unrolled: 1-line block ×5, first 2 shown]
	v_bfe_u32 v19, v10, 16, 1
	v_or_b32_e32 v20, 0x400000, v10
	v_bfe_u32 v21, v18, 16, 1
	v_cmp_u_f32_e64 s5, v10, v10
	v_or_b32_e32 v23, 0x400000, v18
	v_add3_u32 v19, v19, v10, 0x7fff
	v_bfe_u32 v24, v13, 16, 1
	v_add3_u32 v21, v21, v18, 0x7fff
	v_or_b32_e32 v26, 0x400000, v13
	v_bfe_u32 v27, v12, 16, 1
	v_cndmask_b32_e64 v10, v19, v20, s5
	v_cmp_u_f32_e64 s5, v18, v18
	v_add3_u32 v24, v24, v13, 0x7fff
	v_or_b32_e32 v19, 0x400000, v12
	v_mul_f32_e32 v4, v58, v4
	v_lshrrev_b32_e32 v10, 16, v10
	v_cndmask_b32_e64 v18, v21, v23, s5
	v_cmp_u_f32_e64 s5, v13, v13
	v_bfe_u32 v20, v4, 16, 1
	buffer_store_dword v10, off, s[0:3], s32 offset:332 ; 4-byte Folded Spill
	v_add3_u32 v10, v27, v12, 0x7fff
	v_cndmask_b32_e64 v13, v24, v26, s5
	v_lshrrev_b32_e32 v18, 16, v18
	v_cmp_u_f32_e64 s5, v12, v12
	v_mul_f32_e32 v12, v58, v25
	v_lshrrev_b32_e32 v13, 16, v13
	buffer_store_dword v18, off, s[0:3], s32 offset:328 ; 4-byte Folded Spill
	v_cndmask_b32_e64 v10, v10, v19, s5
	v_or_b32_e32 v18, 0x400000, v5
	v_cmp_u_f32_e64 s5, v5, v5
	buffer_store_dword v13, off, s[0:3], s32 offset:344 ; 4-byte Folded Spill
	v_bfe_u32 v13, v5, 16, 1
	v_mul_f32_e32 v19, v58, v22
	v_bfe_u32 v21, v12, 16, 1
	v_or_b32_e32 v22, 0x400000, v12
	v_lshrrev_b32_e32 v10, 16, v10
	v_add3_u32 v13, v13, v5, 0x7fff
	v_or_b32_e32 v23, 0x400000, v19
	v_add3_u32 v21, v21, v12, 0x7fff
	buffer_store_dword v10, off, s[0:3], s32 offset:348 ; 4-byte Folded Spill
	v_cndmask_b32_e64 v5, v13, v18, s5
	v_add3_u32 v18, v20, v4, 0x7fff
	v_or_b32_e32 v20, 0x400000, v4
	v_cmp_u_f32_e64 s5, v4, v4
	v_bfe_u32 v13, v19, 16, 1
	v_lshrrev_b32_e32 v5, 16, v5
	v_cndmask_b32_e64 v4, v18, v20, s5
	v_cmp_u_f32_e64 s5, v12, v12
	v_add3_u32 v13, v13, v19, 0x7fff
	buffer_store_dword v5, off, s[0:3], s32 offset:356 ; 4-byte Folded Spill
	v_lshrrev_b32_e32 v4, 16, v4
	v_cndmask_b32_e64 v12, v21, v22, s5
	v_cmp_u_f32_e64 s5, v19, v19
	buffer_store_dword v4, off, s[0:3], s32 offset:352 ; 4-byte Folded Spill
	v_lshrrev_b32_e32 v4, 16, v12
	v_cndmask_b32_e64 v13, v13, v23, s5
	buffer_store_dword v4, off, s[0:3], s32 offset:336 ; 4-byte Folded Spill
	v_lshrrev_b32_e32 v4, 16, v13
	buffer_store_dword v4, off, s[0:3], s32 offset:340 ; 4-byte Folded Spill
	s_and_saveexec_b32 s17, vcc_lo
	s_cbranch_execz .LBB358_1331
; %bb.1330:                             ;   in Loop: Header=BB358_1066 Depth=1
	buffer_load_dword v4, off, s[0:3], s32 offset:352 ; 4-byte Folded Reload
	v_cmp_lt_i32_e64 s5, v75, v96
	s_waitcnt vmcnt(0)
	v_cndmask_b32_e64 v4, 0, v4, s5
	v_cmp_lt_i32_e64 s5, v90, v96
	buffer_store_dword v4, off, s[0:3], s32 offset:352 ; 4-byte Folded Spill
	buffer_load_dword v4, off, s[0:3], s32 offset:356 ; 4-byte Folded Reload
	s_waitcnt vmcnt(0)
	v_cndmask_b32_e64 v4, 0, v4, s5
	v_cmp_lt_i32_e64 s5, v89, v96
	buffer_store_dword v4, off, s[0:3], s32 offset:356 ; 4-byte Folded Spill
	buffer_load_dword v4, off, s[0:3], s32 offset:348 ; 4-byte Folded Reload
	;; [unrolled: 5-line block ×7, first 2 shown]
	s_waitcnt vmcnt(0)
	v_cndmask_b32_e64 v4, 0, v4, s5
	buffer_store_dword v4, off, s[0:3], s32 offset:340 ; 4-byte Folded Spill
.LBB358_1331:                           ;   in Loop: Header=BB358_1066 Depth=1
	s_or_b32 exec_lo, exec_lo, s17
	flat_load_dwordx2 v[18:19], v[16:17] offset:1024
	v_mov_b32_e32 v5, 0
	v_mov_b32_e32 v4, 0
	s_waitcnt vmcnt(0) lgkmcnt(0)
	v_cmp_ne_u16_sdwa s5, v18, v11 src0_sel:BYTE_0 src1_sel:DWORD
	s_and_saveexec_b32 s17, s5
	s_cbranch_execz .LBB358_1339
; %bb.1332:                             ;   in Loop: Header=BB358_1066 Depth=1
	v_cmp_ne_u16_sdwa s5, v18, v65 src0_sel:BYTE_0 src1_sel:DWORD
	v_bfrev_b32_e32 v4, 1
	s_and_saveexec_b32 s18, s5
	s_cbranch_execz .LBB358_1338
; %bb.1333:                             ;   in Loop: Header=BB358_1066 Depth=1
	v_and_b32_e32 v10, 0x7f, v18
	v_mov_b32_e32 v4, 0x7f800001
	s_mov_b32 s20, exec_lo
	v_cmpx_ne_u32_e32 0x7f, v10
	s_cbranch_execz .LBB358_1337
; %bb.1334:                             ;   in Loop: Header=BB358_1066 Depth=1
	v_mov_b32_e32 v24, v19
	v_lshrrev_b32_e32 v4, 3, v10
	v_mov_b32_e32 v23, v18
	s_mov_b32 s21, exec_lo
	v_cmpx_gt_u32_e32 8, v10
; %bb.1335:                             ;   in Loop: Header=BB358_1066 Depth=1
	v_and_b32_e32 v4, 7, v18
	v_ffbh_u32_e32 v4, v4
	v_min_u32_e32 v4, 32, v4
	v_subrev_nc_u32_e32 v10, 28, v4
	v_sub_nc_u32_e32 v4, 29, v4
	v_lshlrev_b64 v[23:24], v10, v[18:19]
; %bb.1336:                             ;   in Loop: Header=BB358_1066 Depth=1
	s_or_b32 exec_lo, exec_lo, s21
	v_lshlrev_b32_e32 v10, 20, v23
	v_lshlrev_b32_e32 v12, 24, v18
	v_lshl_add_u32 v4, v4, 23, 0x3c000000
	v_and_b32_e32 v10, 0x700000, v10
	v_and_b32_e32 v12, 0x80000000, v12
	v_or3_b32 v4, v10, v12, v4
.LBB358_1337:                           ;   in Loop: Header=BB358_1066 Depth=1
	s_or_b32 exec_lo, exec_lo, s20
.LBB358_1338:                           ;   in Loop: Header=BB358_1066 Depth=1
	s_or_b32 exec_lo, exec_lo, s18
.LBB358_1339:                           ;   in Loop: Header=BB358_1066 Depth=1
	s_or_b32 exec_lo, exec_lo, s17
	v_cmp_ne_u16_sdwa s5, v18, v11 src0_sel:BYTE_1 src1_sel:DWORD
	s_and_saveexec_b32 s17, s5
	s_cbranch_execz .LBB358_1347
; %bb.1340:                             ;   in Loop: Header=BB358_1066 Depth=1
	v_cmp_ne_u16_sdwa s5, v18, v65 src0_sel:BYTE_1 src1_sel:DWORD
	v_bfrev_b32_e32 v5, 1
	s_and_saveexec_b32 s18, s5
	s_cbranch_execz .LBB358_1346
; %bb.1341:                             ;   in Loop: Header=BB358_1066 Depth=1
	v_mov_b32_e32 v5, 0xffff
	s_mov_b32 s20, exec_lo
	v_and_b32_sdwa v10, v5, v18 dst_sel:DWORD dst_unused:UNUSED_PAD src0_sel:DWORD src1_sel:BYTE_1
	v_mov_b32_e32 v5, 0x7f800001
	v_and_b32_e32 v12, 0x7f, v10
	v_cmpx_ne_u32_e32 0x7f, v12
	s_cbranch_execz .LBB358_1345
; %bb.1342:                             ;   in Loop: Header=BB358_1066 Depth=1
	v_and_b32_e32 v10, 7, v10
	v_mov_b32_e32 v24, v11
	v_lshrrev_b32_e32 v5, 3, v12
	s_mov_b32 s21, exec_lo
	v_mov_b32_e32 v23, v10
	v_cmpx_gt_u32_e32 8, v12
; %bb.1343:                             ;   in Loop: Header=BB358_1066 Depth=1
	v_ffbh_u32_e32 v5, v10
	v_min_u32_e32 v5, 32, v5
	v_subrev_nc_u32_e32 v12, 28, v5
	v_sub_nc_u32_e32 v5, 29, v5
	v_lshlrev_b64 v[12:13], v12, v[10:11]
	v_and_b32_e32 v23, 7, v12
; %bb.1344:                             ;   in Loop: Header=BB358_1066 Depth=1
	s_or_b32 exec_lo, exec_lo, s21
	v_lshlrev_b32_e32 v10, 16, v18
	v_lshlrev_b32_e32 v12, 20, v23
	v_lshl_add_u32 v5, v5, 23, 0x3c000000
	v_and_b32_e32 v10, 0x80000000, v10
	v_or3_b32 v5, v12, v10, v5
.LBB358_1345:                           ;   in Loop: Header=BB358_1066 Depth=1
	s_or_b32 exec_lo, exec_lo, s20
.LBB358_1346:                           ;   in Loop: Header=BB358_1066 Depth=1
	s_or_b32 exec_lo, exec_lo, s18
.LBB358_1347:                           ;   in Loop: Header=BB358_1066 Depth=1
	s_or_b32 exec_lo, exec_lo, s17
	v_and_b32_sdwa v10, v18, v70 dst_sel:DWORD dst_unused:UNUSED_PAD src0_sel:WORD_1 src1_sel:DWORD
	v_mov_b32_e32 v13, 0
	v_mov_b32_e32 v12, 0
	s_mov_b32 s17, exec_lo
	v_cmpx_ne_u16_e32 0, v10
	s_cbranch_execz .LBB358_1355
; %bb.1348:                             ;   in Loop: Header=BB358_1066 Depth=1
	v_bfrev_b32_e32 v12, 1
	s_mov_b32 s18, exec_lo
	v_cmpx_ne_u16_e32 0x80, v10
	s_cbranch_execz .LBB358_1354
; %bb.1349:                             ;   in Loop: Header=BB358_1066 Depth=1
	v_bfe_u32 v20, v18, 16, 7
	v_mov_b32_e32 v12, 0x7f800001
	s_mov_b32 s20, exec_lo
	v_cmpx_ne_u32_e32 0x7f, v20
	s_cbranch_execz .LBB358_1353
; %bb.1350:                             ;   in Loop: Header=BB358_1066 Depth=1
	v_mov_b32_e32 v10, 7
	v_lshrrev_b32_e32 v12, 3, v20
	s_mov_b32 s21, exec_lo
	v_and_b32_sdwa v10, v18, v10 dst_sel:DWORD dst_unused:UNUSED_PAD src0_sel:WORD_1 src1_sel:DWORD
	v_mov_b32_e32 v24, v11
	v_mov_b32_e32 v23, v10
	v_cmpx_gt_u32_e32 8, v20
; %bb.1351:                             ;   in Loop: Header=BB358_1066 Depth=1
	v_ffbh_u32_e32 v12, v10
	v_min_u32_e32 v12, 32, v12
	v_subrev_nc_u32_e32 v20, 28, v12
	v_sub_nc_u32_e32 v12, 29, v12
	v_lshlrev_b64 v[20:21], v20, v[10:11]
	v_and_b32_e32 v23, 7, v20
; %bb.1352:                             ;   in Loop: Header=BB358_1066 Depth=1
	s_or_b32 exec_lo, exec_lo, s21
	v_mov_b32_e32 v10, 24
	v_lshlrev_b32_e32 v20, 20, v23
	v_lshl_add_u32 v12, v12, 23, 0x3c000000
	v_lshlrev_b32_sdwa v10, v10, v18 dst_sel:DWORD dst_unused:UNUSED_PAD src0_sel:DWORD src1_sel:WORD_1
	v_and_b32_e32 v10, 0x80000000, v10
	v_or3_b32 v12, v20, v10, v12
.LBB358_1353:                           ;   in Loop: Header=BB358_1066 Depth=1
	s_or_b32 exec_lo, exec_lo, s20
.LBB358_1354:                           ;   in Loop: Header=BB358_1066 Depth=1
	s_or_b32 exec_lo, exec_lo, s18
.LBB358_1355:                           ;   in Loop: Header=BB358_1066 Depth=1
	s_or_b32 exec_lo, exec_lo, s17
	s_mov_b32 s17, exec_lo
	v_cmpx_lt_u32_e32 0xffffff, v18
	s_cbranch_execz .LBB358_1363
; %bb.1356:                             ;   in Loop: Header=BB358_1066 Depth=1
	v_cmp_ne_u32_sdwa s5, v18, v65 src0_sel:BYTE_3 src1_sel:DWORD
	v_bfrev_b32_e32 v13, 1
	s_and_saveexec_b32 s18, s5
	s_cbranch_execz .LBB358_1362
; %bb.1357:                             ;   in Loop: Header=BB358_1066 Depth=1
	v_bfe_u32 v20, v18, 24, 7
	v_mov_b32_e32 v13, 0x7f800001
	s_mov_b32 s20, exec_lo
	v_cmpx_ne_u32_e32 0x7f, v20
	s_cbranch_execz .LBB358_1361
; %bb.1358:                             ;   in Loop: Header=BB358_1066 Depth=1
	v_mov_b32_e32 v10, 7
	v_lshrrev_b32_e32 v13, 3, v20
	s_mov_b32 s21, exec_lo
	v_and_b32_sdwa v10, v18, v10 dst_sel:DWORD dst_unused:UNUSED_PAD src0_sel:BYTE_3 src1_sel:DWORD
	v_mov_b32_e32 v24, v11
	v_mov_b32_e32 v23, v10
	v_cmpx_gt_u32_e32 8, v20
; %bb.1359:                             ;   in Loop: Header=BB358_1066 Depth=1
	v_ffbh_u32_e32 v13, v10
	v_min_u32_e32 v13, 32, v13
	v_subrev_nc_u32_e32 v20, 28, v13
	v_sub_nc_u32_e32 v13, 29, v13
	v_lshlrev_b64 v[20:21], v20, v[10:11]
	v_and_b32_e32 v23, 7, v20
; %bb.1360:                             ;   in Loop: Header=BB358_1066 Depth=1
	s_or_b32 exec_lo, exec_lo, s21
	v_mov_b32_e32 v10, 24
	v_lshlrev_b32_e32 v20, 20, v23
	v_lshl_add_u32 v13, v13, 23, 0x3c000000
	v_lshlrev_b32_sdwa v10, v10, v18 dst_sel:DWORD dst_unused:UNUSED_PAD src0_sel:DWORD src1_sel:BYTE_3
	v_and_b32_e32 v10, 0x80000000, v10
	v_or3_b32 v13, v20, v10, v13
.LBB358_1361:                           ;   in Loop: Header=BB358_1066 Depth=1
	s_or_b32 exec_lo, exec_lo, s20
.LBB358_1362:                           ;   in Loop: Header=BB358_1066 Depth=1
	s_or_b32 exec_lo, exec_lo, s18
.LBB358_1363:                           ;   in Loop: Header=BB358_1066 Depth=1
	s_or_b32 exec_lo, exec_lo, s17
	v_mov_b32_e32 v10, v19
	v_cmp_ne_u16_sdwa s5, v19, v11 src0_sel:BYTE_0 src1_sel:DWORD
	v_mov_b32_e32 v21, 0
	v_mov_b32_e32 v20, 0
	s_and_saveexec_b32 s17, s5
	s_cbranch_execz .LBB358_1371
; %bb.1364:                             ;   in Loop: Header=BB358_1066 Depth=1
	v_cmp_ne_u16_sdwa s5, v19, v65 src0_sel:BYTE_0 src1_sel:DWORD
	v_bfrev_b32_e32 v20, 1
	s_and_saveexec_b32 s18, s5
	s_cbranch_execz .LBB358_1370
; %bb.1365:                             ;   in Loop: Header=BB358_1066 Depth=1
	v_and_b32_e32 v22, 0x7f, v19
	v_mov_b32_e32 v20, 0x7f800001
	s_mov_b32 s20, exec_lo
	v_cmpx_ne_u32_e32 0x7f, v22
	s_cbranch_execz .LBB358_1369
; %bb.1366:                             ;   in Loop: Header=BB358_1066 Depth=1
	v_mov_b32_e32 v24, v11
	v_lshrrev_b32_e32 v20, 3, v22
	v_mov_b32_e32 v23, v10
	s_mov_b32 s21, exec_lo
	v_cmpx_gt_u32_e32 8, v22
; %bb.1367:                             ;   in Loop: Header=BB358_1066 Depth=1
	v_and_b32_e32 v20, 7, v19
	v_ffbh_u32_e32 v20, v20
	v_min_u32_e32 v20, 32, v20
	v_subrev_nc_u32_e32 v22, 28, v20
	v_sub_nc_u32_e32 v20, 29, v20
	v_lshlrev_b64 v[23:24], v22, v[10:11]
; %bb.1368:                             ;   in Loop: Header=BB358_1066 Depth=1
	s_or_b32 exec_lo, exec_lo, s21
	v_lshlrev_b32_e32 v22, 20, v23
	v_lshlrev_b32_e32 v23, 24, v10
	v_lshl_add_u32 v20, v20, 23, 0x3c000000
	v_and_b32_e32 v22, 0x700000, v22
	v_and_b32_e32 v23, 0x80000000, v23
	v_or3_b32 v20, v22, v23, v20
.LBB358_1369:                           ;   in Loop: Header=BB358_1066 Depth=1
	s_or_b32 exec_lo, exec_lo, s20
.LBB358_1370:                           ;   in Loop: Header=BB358_1066 Depth=1
	s_or_b32 exec_lo, exec_lo, s18
.LBB358_1371:                           ;   in Loop: Header=BB358_1066 Depth=1
	s_or_b32 exec_lo, exec_lo, s17
	v_cmp_ne_u16_sdwa s5, v10, v11 src0_sel:BYTE_1 src1_sel:DWORD
	s_and_saveexec_b32 s17, s5
	s_cbranch_execz .LBB358_1379
; %bb.1372:                             ;   in Loop: Header=BB358_1066 Depth=1
	v_cmp_ne_u16_sdwa s5, v10, v65 src0_sel:BYTE_1 src1_sel:DWORD
	v_bfrev_b32_e32 v21, 1
	s_and_saveexec_b32 s18, s5
	s_cbranch_execz .LBB358_1378
; %bb.1373:                             ;   in Loop: Header=BB358_1066 Depth=1
	v_mov_b32_e32 v21, 0xffff
	s_mov_b32 s20, exec_lo
	v_and_b32_sdwa v23, v21, v10 dst_sel:DWORD dst_unused:UNUSED_PAD src0_sel:DWORD src1_sel:BYTE_1
	v_mov_b32_e32 v21, 0x7f800001
	v_and_b32_e32 v22, 0x7f, v23
	v_cmpx_ne_u32_e32 0x7f, v22
	s_cbranch_execz .LBB358_1377
; %bb.1374:                             ;   in Loop: Header=BB358_1066 Depth=1
	v_and_b32_e32 v23, 7, v23
	v_mov_b32_e32 v24, v11
	v_lshrrev_b32_e32 v21, 3, v22
	s_mov_b32 s21, exec_lo
	v_cmpx_gt_u32_e32 8, v22
; %bb.1375:                             ;   in Loop: Header=BB358_1066 Depth=1
	v_ffbh_u32_e32 v21, v23
	v_min_u32_e32 v21, 32, v21
	v_subrev_nc_u32_e32 v22, 28, v21
	v_sub_nc_u32_e32 v21, 29, v21
	v_lshlrev_b64 v[22:23], v22, v[23:24]
	v_and_b32_e32 v23, 7, v22
; %bb.1376:                             ;   in Loop: Header=BB358_1066 Depth=1
	s_or_b32 exec_lo, exec_lo, s21
	v_lshlrev_b32_e32 v10, 16, v10
	v_lshlrev_b32_e32 v22, 20, v23
	v_lshl_add_u32 v21, v21, 23, 0x3c000000
	v_and_b32_e32 v10, 0x80000000, v10
	v_or3_b32 v21, v22, v10, v21
.LBB358_1377:                           ;   in Loop: Header=BB358_1066 Depth=1
	s_or_b32 exec_lo, exec_lo, s20
.LBB358_1378:                           ;   in Loop: Header=BB358_1066 Depth=1
	s_or_b32 exec_lo, exec_lo, s18
.LBB358_1379:                           ;   in Loop: Header=BB358_1066 Depth=1
	s_or_b32 exec_lo, exec_lo, s17
	v_and_b32_sdwa v10, v19, v70 dst_sel:DWORD dst_unused:UNUSED_PAD src0_sel:WORD_1 src1_sel:DWORD
	v_mov_b32_e32 v22, 0
	v_mov_b32_e32 v25, 0
	s_mov_b32 s17, exec_lo
	v_cmpx_ne_u16_e32 0, v10
	s_cbranch_execz .LBB358_1387
; %bb.1380:                             ;   in Loop: Header=BB358_1066 Depth=1
	v_bfrev_b32_e32 v25, 1
	s_mov_b32 s18, exec_lo
	v_cmpx_ne_u16_e32 0x80, v10
	s_cbranch_execz .LBB358_1386
; %bb.1381:                             ;   in Loop: Header=BB358_1066 Depth=1
	v_bfe_u32 v23, v19, 16, 7
	v_mov_b32_e32 v25, 0x7f800001
	s_mov_b32 s20, exec_lo
	v_cmpx_ne_u32_e32 0x7f, v23
	s_cbranch_execz .LBB358_1385
; %bb.1382:                             ;   in Loop: Header=BB358_1066 Depth=1
	v_mov_b32_e32 v10, 7
	v_lshrrev_b32_e32 v25, 3, v23
	v_cmp_gt_u32_e64 s5, 8, v23
	v_and_b32_sdwa v10, v19, v10 dst_sel:DWORD dst_unused:UNUSED_PAD src0_sel:WORD_1 src1_sel:DWORD
	v_mov_b32_e32 v24, v11
	v_mov_b32_e32 v23, v10
	s_and_saveexec_b32 s21, s5
; %bb.1383:                             ;   in Loop: Header=BB358_1066 Depth=1
	v_ffbh_u32_e32 v23, v10
	v_min_u32_e32 v25, 32, v23
	v_subrev_nc_u32_e32 v23, 28, v25
	v_sub_nc_u32_e32 v25, 29, v25
	v_lshlrev_b64 v[23:24], v23, v[10:11]
	v_and_b32_e32 v23, 7, v23
; %bb.1384:                             ;   in Loop: Header=BB358_1066 Depth=1
	s_or_b32 exec_lo, exec_lo, s21
	v_mov_b32_e32 v10, 24
	v_lshlrev_b32_e32 v23, 20, v23
	v_lshl_add_u32 v24, v25, 23, 0x3c000000
	v_lshlrev_b32_sdwa v10, v10, v19 dst_sel:DWORD dst_unused:UNUSED_PAD src0_sel:DWORD src1_sel:WORD_1
	v_and_b32_e32 v10, 0x80000000, v10
	v_or3_b32 v25, v23, v10, v24
.LBB358_1385:                           ;   in Loop: Header=BB358_1066 Depth=1
	s_or_b32 exec_lo, exec_lo, s20
.LBB358_1386:                           ;   in Loop: Header=BB358_1066 Depth=1
	s_or_b32 exec_lo, exec_lo, s18
.LBB358_1387:                           ;   in Loop: Header=BB358_1066 Depth=1
	s_or_b32 exec_lo, exec_lo, s17
	s_mov_b32 s17, exec_lo
	v_cmpx_lt_u64_e64 s[12:13], v[18:19]
	s_cbranch_execz .LBB358_1395
; %bb.1388:                             ;   in Loop: Header=BB358_1066 Depth=1
	v_cmp_ne_u32_sdwa s5, v19, v65 src0_sel:BYTE_3 src1_sel:DWORD
	v_bfrev_b32_e32 v22, 1
	s_and_saveexec_b32 s18, s5
	s_cbranch_execz .LBB358_1394
; %bb.1389:                             ;   in Loop: Header=BB358_1066 Depth=1
	v_bfe_u32 v23, v19, 24, 7
	v_mov_b32_e32 v22, 0x7f800001
	s_mov_b32 s20, exec_lo
	v_cmpx_ne_u32_e32 0x7f, v23
	s_cbranch_execz .LBB358_1393
; %bb.1390:                             ;   in Loop: Header=BB358_1066 Depth=1
	v_mov_b32_e32 v10, 7
	v_lshrrev_b32_e32 v18, 3, v23
	v_cmp_gt_u32_e64 s5, 8, v23
	v_and_b32_sdwa v10, v19, v10 dst_sel:DWORD dst_unused:UNUSED_PAD src0_sel:BYTE_3 src1_sel:DWORD
	v_mov_b32_e32 v24, v11
	v_mov_b32_e32 v23, v10
	s_and_saveexec_b32 s21, s5
; %bb.1391:                             ;   in Loop: Header=BB358_1066 Depth=1
	v_ffbh_u32_e32 v18, v10
	v_min_u32_e32 v18, 32, v18
	v_subrev_nc_u32_e32 v22, 28, v18
	v_sub_nc_u32_e32 v18, 29, v18
	v_lshlrev_b64 v[22:23], v22, v[10:11]
	v_and_b32_e32 v23, 7, v22
; %bb.1392:                             ;   in Loop: Header=BB358_1066 Depth=1
	s_or_b32 exec_lo, exec_lo, s21
	v_mov_b32_e32 v10, 24
	v_lshl_add_u32 v18, v18, 23, 0x3c000000
	v_lshlrev_b32_sdwa v10, v10, v19 dst_sel:DWORD dst_unused:UNUSED_PAD src0_sel:DWORD src1_sel:BYTE_3
	v_lshlrev_b32_e32 v19, 20, v23
	v_and_b32_e32 v10, 0x80000000, v10
	v_or3_b32 v22, v19, v10, v18
.LBB358_1393:                           ;   in Loop: Header=BB358_1066 Depth=1
	s_or_b32 exec_lo, exec_lo, s20
.LBB358_1394:                           ;   in Loop: Header=BB358_1066 Depth=1
	s_or_b32 exec_lo, exec_lo, s18
.LBB358_1395:                           ;   in Loop: Header=BB358_1066 Depth=1
	s_or_b32 exec_lo, exec_lo, s17
	v_mul_f32_e32 v10, v58, v21
	v_mul_f32_e32 v18, v58, v20
	;; [unrolled: 1-line block ×5, first 2 shown]
	v_bfe_u32 v19, v10, 16, 1
	v_or_b32_e32 v20, 0x400000, v10
	v_bfe_u32 v21, v18, 16, 1
	v_cmp_u_f32_e64 s5, v10, v10
	v_or_b32_e32 v23, 0x400000, v18
	v_add3_u32 v19, v19, v10, 0x7fff
	v_bfe_u32 v24, v13, 16, 1
	v_add3_u32 v21, v21, v18, 0x7fff
	v_or_b32_e32 v26, 0x400000, v13
	v_bfe_u32 v27, v12, 16, 1
	v_cndmask_b32_e64 v10, v19, v20, s5
	v_cmp_u_f32_e64 s5, v18, v18
	v_add3_u32 v24, v24, v13, 0x7fff
	v_or_b32_e32 v19, 0x400000, v12
	v_mul_f32_e32 v4, v58, v4
	v_lshrrev_b32_e32 v10, 16, v10
	v_cndmask_b32_e64 v18, v21, v23, s5
	v_cmp_u_f32_e64 s5, v13, v13
	v_bfe_u32 v20, v4, 16, 1
	buffer_store_dword v10, off, s[0:3], s32 offset:364 ; 4-byte Folded Spill
	v_add3_u32 v10, v27, v12, 0x7fff
	v_cndmask_b32_e64 v13, v24, v26, s5
	v_lshrrev_b32_e32 v18, 16, v18
	v_cmp_u_f32_e64 s5, v12, v12
	v_mul_f32_e32 v12, v58, v25
	v_lshrrev_b32_e32 v95, 16, v13
	v_bfe_u32 v13, v5, 16, 1
	buffer_store_dword v18, off, s[0:3], s32 offset:360 ; 4-byte Folded Spill
	v_cndmask_b32_e64 v10, v10, v19, s5
	v_or_b32_e32 v18, 0x400000, v5
	v_cmp_u_f32_e64 s5, v5, v5
	v_add3_u32 v13, v13, v5, 0x7fff
	v_mul_f32_e32 v19, v58, v22
	v_bfe_u32 v21, v12, 16, 1
	v_or_b32_e32 v22, 0x400000, v12
	v_lshrrev_b32_e32 v104, 16, v10
	v_cndmask_b32_e64 v5, v13, v18, s5
	v_add3_u32 v18, v20, v4, 0x7fff
	v_or_b32_e32 v20, 0x400000, v4
	v_cmp_u_f32_e64 s5, v4, v4
	v_bfe_u32 v13, v19, 16, 1
	v_add3_u32 v21, v21, v12, 0x7fff
	v_or_b32_e32 v23, 0x400000, v19
	v_lshrrev_b32_e32 v106, 16, v5
	v_cndmask_b32_e64 v4, v18, v20, s5
	v_cmp_u_f32_e64 s5, v12, v12
	v_add3_u32 v13, v13, v19, 0x7fff
	v_lshrrev_b32_e32 v105, 16, v4
	v_cndmask_b32_e64 v12, v21, v22, s5
	v_cmp_u_f32_e64 s5, v19, v19
	v_lshrrev_b32_e32 v4, 16, v12
	v_cndmask_b32_e64 v13, v13, v23, s5
	buffer_store_dword v4, off, s[0:3], s32 offset:368 ; 4-byte Folded Spill
	v_lshrrev_b32_e32 v94, 16, v13
	s_and_saveexec_b32 s17, vcc_lo
	s_cbranch_execz .LBB358_1397
; %bb.1396:                             ;   in Loop: Header=BB358_1066 Depth=1
	buffer_load_dword v4, off, s[0:3], s32 offset:360 ; 4-byte Folded Reload
	v_cmp_lt_i32_e64 s5, v75, v96
	v_cndmask_b32_e64 v105, 0, v105, s5
	v_cmp_lt_i32_e64 s5, v90, v96
	v_cndmask_b32_e64 v106, 0, v106, s5
	;; [unrolled: 2-line block ×4, first 2 shown]
	v_cmp_lt_i32_e64 s5, v79, v96
	s_waitcnt vmcnt(0)
	v_cndmask_b32_e64 v4, 0, v4, s5
	v_cmp_lt_i32_e64 s5, v78, v96
	buffer_store_dword v4, off, s[0:3], s32 offset:360 ; 4-byte Folded Spill
	buffer_load_dword v4, off, s[0:3], s32 offset:364 ; 4-byte Folded Reload
	s_waitcnt vmcnt(0)
	v_cndmask_b32_e64 v4, 0, v4, s5
	v_cmp_lt_i32_e64 s5, v77, v96
	buffer_store_dword v4, off, s[0:3], s32 offset:364 ; 4-byte Folded Spill
	buffer_load_dword v4, off, s[0:3], s32 offset:368 ; 4-byte Folded Reload
	s_waitcnt vmcnt(0)
	v_cndmask_b32_e64 v4, 0, v4, s5
	v_cmp_lt_i32_e64 s5, v76, v96
	buffer_store_dword v4, off, s[0:3], s32 offset:368 ; 4-byte Folded Spill
	v_cndmask_b32_e64 v94, 0, v94, s5
.LBB358_1397:                           ;   in Loop: Header=BB358_1066 Depth=1
	s_or_b32 exec_lo, exec_lo, s17
	flat_load_dwordx2 v[18:19], v[16:17] offset:1280
	v_mov_b32_e32 v5, 0
	v_mov_b32_e32 v4, 0
	s_waitcnt vmcnt(0) lgkmcnt(0)
	v_cmp_ne_u16_sdwa s5, v18, v11 src0_sel:BYTE_0 src1_sel:DWORD
	s_and_saveexec_b32 s17, s5
	s_cbranch_execz .LBB358_1405
; %bb.1398:                             ;   in Loop: Header=BB358_1066 Depth=1
	v_cmp_ne_u16_sdwa s5, v18, v65 src0_sel:BYTE_0 src1_sel:DWORD
	v_bfrev_b32_e32 v4, 1
	s_and_saveexec_b32 s18, s5
	s_cbranch_execz .LBB358_1404
; %bb.1399:                             ;   in Loop: Header=BB358_1066 Depth=1
	v_and_b32_e32 v10, 0x7f, v18
	v_mov_b32_e32 v4, 0x7f800001
	s_mov_b32 s20, exec_lo
	v_cmpx_ne_u32_e32 0x7f, v10
	s_cbranch_execz .LBB358_1403
; %bb.1400:                             ;   in Loop: Header=BB358_1066 Depth=1
	v_mov_b32_e32 v24, v19
	v_lshrrev_b32_e32 v4, 3, v10
	v_mov_b32_e32 v23, v18
	s_mov_b32 s21, exec_lo
	v_cmpx_gt_u32_e32 8, v10
; %bb.1401:                             ;   in Loop: Header=BB358_1066 Depth=1
	v_and_b32_e32 v4, 7, v18
	v_ffbh_u32_e32 v4, v4
	v_min_u32_e32 v4, 32, v4
	v_subrev_nc_u32_e32 v10, 28, v4
	v_sub_nc_u32_e32 v4, 29, v4
	v_lshlrev_b64 v[23:24], v10, v[18:19]
; %bb.1402:                             ;   in Loop: Header=BB358_1066 Depth=1
	s_or_b32 exec_lo, exec_lo, s21
	v_lshlrev_b32_e32 v10, 20, v23
	v_lshlrev_b32_e32 v12, 24, v18
	v_lshl_add_u32 v4, v4, 23, 0x3c000000
	v_and_b32_e32 v10, 0x700000, v10
	v_and_b32_e32 v12, 0x80000000, v12
	v_or3_b32 v4, v10, v12, v4
.LBB358_1403:                           ;   in Loop: Header=BB358_1066 Depth=1
	s_or_b32 exec_lo, exec_lo, s20
.LBB358_1404:                           ;   in Loop: Header=BB358_1066 Depth=1
	s_or_b32 exec_lo, exec_lo, s18
.LBB358_1405:                           ;   in Loop: Header=BB358_1066 Depth=1
	s_or_b32 exec_lo, exec_lo, s17
	v_cmp_ne_u16_sdwa s5, v18, v11 src0_sel:BYTE_1 src1_sel:DWORD
	s_and_saveexec_b32 s17, s5
	s_cbranch_execz .LBB358_1413
; %bb.1406:                             ;   in Loop: Header=BB358_1066 Depth=1
	v_cmp_ne_u16_sdwa s5, v18, v65 src0_sel:BYTE_1 src1_sel:DWORD
	v_bfrev_b32_e32 v5, 1
	s_and_saveexec_b32 s18, s5
	s_cbranch_execz .LBB358_1412
; %bb.1407:                             ;   in Loop: Header=BB358_1066 Depth=1
	v_mov_b32_e32 v5, 0xffff
	s_mov_b32 s20, exec_lo
	v_and_b32_sdwa v10, v5, v18 dst_sel:DWORD dst_unused:UNUSED_PAD src0_sel:DWORD src1_sel:BYTE_1
	v_mov_b32_e32 v5, 0x7f800001
	v_and_b32_e32 v12, 0x7f, v10
	v_cmpx_ne_u32_e32 0x7f, v12
	s_cbranch_execz .LBB358_1411
; %bb.1408:                             ;   in Loop: Header=BB358_1066 Depth=1
	v_and_b32_e32 v10, 7, v10
	v_mov_b32_e32 v24, v11
	v_lshrrev_b32_e32 v5, 3, v12
	s_mov_b32 s21, exec_lo
	v_mov_b32_e32 v23, v10
	v_cmpx_gt_u32_e32 8, v12
; %bb.1409:                             ;   in Loop: Header=BB358_1066 Depth=1
	v_ffbh_u32_e32 v5, v10
	v_min_u32_e32 v5, 32, v5
	v_subrev_nc_u32_e32 v12, 28, v5
	v_sub_nc_u32_e32 v5, 29, v5
	v_lshlrev_b64 v[12:13], v12, v[10:11]
	v_and_b32_e32 v23, 7, v12
; %bb.1410:                             ;   in Loop: Header=BB358_1066 Depth=1
	s_or_b32 exec_lo, exec_lo, s21
	v_lshlrev_b32_e32 v10, 16, v18
	v_lshlrev_b32_e32 v12, 20, v23
	v_lshl_add_u32 v5, v5, 23, 0x3c000000
	v_and_b32_e32 v10, 0x80000000, v10
	v_or3_b32 v5, v12, v10, v5
.LBB358_1411:                           ;   in Loop: Header=BB358_1066 Depth=1
	s_or_b32 exec_lo, exec_lo, s20
.LBB358_1412:                           ;   in Loop: Header=BB358_1066 Depth=1
	s_or_b32 exec_lo, exec_lo, s18
.LBB358_1413:                           ;   in Loop: Header=BB358_1066 Depth=1
	s_or_b32 exec_lo, exec_lo, s17
	v_and_b32_sdwa v10, v18, v70 dst_sel:DWORD dst_unused:UNUSED_PAD src0_sel:WORD_1 src1_sel:DWORD
	v_mov_b32_e32 v13, 0
	v_mov_b32_e32 v12, 0
	s_mov_b32 s17, exec_lo
	v_cmpx_ne_u16_e32 0, v10
	s_cbranch_execz .LBB358_1421
; %bb.1414:                             ;   in Loop: Header=BB358_1066 Depth=1
	v_bfrev_b32_e32 v12, 1
	s_mov_b32 s18, exec_lo
	v_cmpx_ne_u16_e32 0x80, v10
	s_cbranch_execz .LBB358_1420
; %bb.1415:                             ;   in Loop: Header=BB358_1066 Depth=1
	v_bfe_u32 v20, v18, 16, 7
	v_mov_b32_e32 v12, 0x7f800001
	s_mov_b32 s20, exec_lo
	v_cmpx_ne_u32_e32 0x7f, v20
	s_cbranch_execz .LBB358_1419
; %bb.1416:                             ;   in Loop: Header=BB358_1066 Depth=1
	v_mov_b32_e32 v10, 7
	v_lshrrev_b32_e32 v12, 3, v20
	s_mov_b32 s21, exec_lo
	v_and_b32_sdwa v10, v18, v10 dst_sel:DWORD dst_unused:UNUSED_PAD src0_sel:WORD_1 src1_sel:DWORD
	v_mov_b32_e32 v24, v11
	v_mov_b32_e32 v23, v10
	v_cmpx_gt_u32_e32 8, v20
; %bb.1417:                             ;   in Loop: Header=BB358_1066 Depth=1
	v_ffbh_u32_e32 v12, v10
	v_min_u32_e32 v12, 32, v12
	v_subrev_nc_u32_e32 v20, 28, v12
	v_sub_nc_u32_e32 v12, 29, v12
	v_lshlrev_b64 v[20:21], v20, v[10:11]
	v_and_b32_e32 v23, 7, v20
; %bb.1418:                             ;   in Loop: Header=BB358_1066 Depth=1
	s_or_b32 exec_lo, exec_lo, s21
	v_mov_b32_e32 v10, 24
	v_lshlrev_b32_e32 v20, 20, v23
	v_lshl_add_u32 v12, v12, 23, 0x3c000000
	v_lshlrev_b32_sdwa v10, v10, v18 dst_sel:DWORD dst_unused:UNUSED_PAD src0_sel:DWORD src1_sel:WORD_1
	v_and_b32_e32 v10, 0x80000000, v10
	v_or3_b32 v12, v20, v10, v12
.LBB358_1419:                           ;   in Loop: Header=BB358_1066 Depth=1
	s_or_b32 exec_lo, exec_lo, s20
.LBB358_1420:                           ;   in Loop: Header=BB358_1066 Depth=1
	s_or_b32 exec_lo, exec_lo, s18
.LBB358_1421:                           ;   in Loop: Header=BB358_1066 Depth=1
	s_or_b32 exec_lo, exec_lo, s17
	s_mov_b32 s17, exec_lo
	v_cmpx_lt_u32_e32 0xffffff, v18
	s_cbranch_execz .LBB358_1429
; %bb.1422:                             ;   in Loop: Header=BB358_1066 Depth=1
	v_cmp_ne_u32_sdwa s5, v18, v65 src0_sel:BYTE_3 src1_sel:DWORD
	v_bfrev_b32_e32 v13, 1
	s_and_saveexec_b32 s18, s5
	s_cbranch_execz .LBB358_1428
; %bb.1423:                             ;   in Loop: Header=BB358_1066 Depth=1
	v_bfe_u32 v20, v18, 24, 7
	v_mov_b32_e32 v13, 0x7f800001
	s_mov_b32 s20, exec_lo
	v_cmpx_ne_u32_e32 0x7f, v20
	s_cbranch_execz .LBB358_1427
; %bb.1424:                             ;   in Loop: Header=BB358_1066 Depth=1
	v_mov_b32_e32 v10, 7
	v_lshrrev_b32_e32 v13, 3, v20
	s_mov_b32 s21, exec_lo
	v_and_b32_sdwa v10, v18, v10 dst_sel:DWORD dst_unused:UNUSED_PAD src0_sel:BYTE_3 src1_sel:DWORD
	v_mov_b32_e32 v24, v11
	v_mov_b32_e32 v23, v10
	v_cmpx_gt_u32_e32 8, v20
; %bb.1425:                             ;   in Loop: Header=BB358_1066 Depth=1
	v_ffbh_u32_e32 v13, v10
	v_min_u32_e32 v13, 32, v13
	v_subrev_nc_u32_e32 v20, 28, v13
	v_sub_nc_u32_e32 v13, 29, v13
	v_lshlrev_b64 v[20:21], v20, v[10:11]
	v_and_b32_e32 v23, 7, v20
; %bb.1426:                             ;   in Loop: Header=BB358_1066 Depth=1
	s_or_b32 exec_lo, exec_lo, s21
	v_mov_b32_e32 v10, 24
	v_lshlrev_b32_e32 v20, 20, v23
	v_lshl_add_u32 v13, v13, 23, 0x3c000000
	v_lshlrev_b32_sdwa v10, v10, v18 dst_sel:DWORD dst_unused:UNUSED_PAD src0_sel:DWORD src1_sel:BYTE_3
	v_and_b32_e32 v10, 0x80000000, v10
	v_or3_b32 v13, v20, v10, v13
.LBB358_1427:                           ;   in Loop: Header=BB358_1066 Depth=1
	s_or_b32 exec_lo, exec_lo, s20
.LBB358_1428:                           ;   in Loop: Header=BB358_1066 Depth=1
	s_or_b32 exec_lo, exec_lo, s18
.LBB358_1429:                           ;   in Loop: Header=BB358_1066 Depth=1
	s_or_b32 exec_lo, exec_lo, s17
	v_mov_b32_e32 v10, v19
	v_cmp_ne_u16_sdwa s5, v19, v11 src0_sel:BYTE_0 src1_sel:DWORD
	v_mov_b32_e32 v21, 0
	v_mov_b32_e32 v20, 0
	s_and_saveexec_b32 s17, s5
	s_cbranch_execz .LBB358_1437
; %bb.1430:                             ;   in Loop: Header=BB358_1066 Depth=1
	v_cmp_ne_u16_sdwa s5, v19, v65 src0_sel:BYTE_0 src1_sel:DWORD
	v_bfrev_b32_e32 v20, 1
	s_and_saveexec_b32 s18, s5
	s_cbranch_execz .LBB358_1436
; %bb.1431:                             ;   in Loop: Header=BB358_1066 Depth=1
	v_and_b32_e32 v22, 0x7f, v19
	v_mov_b32_e32 v20, 0x7f800001
	s_mov_b32 s20, exec_lo
	v_cmpx_ne_u32_e32 0x7f, v22
	s_cbranch_execz .LBB358_1435
; %bb.1432:                             ;   in Loop: Header=BB358_1066 Depth=1
	v_mov_b32_e32 v24, v11
	v_lshrrev_b32_e32 v20, 3, v22
	v_mov_b32_e32 v23, v10
	s_mov_b32 s21, exec_lo
	v_cmpx_gt_u32_e32 8, v22
; %bb.1433:                             ;   in Loop: Header=BB358_1066 Depth=1
	v_and_b32_e32 v20, 7, v19
	v_ffbh_u32_e32 v20, v20
	v_min_u32_e32 v20, 32, v20
	v_subrev_nc_u32_e32 v22, 28, v20
	v_sub_nc_u32_e32 v20, 29, v20
	v_lshlrev_b64 v[23:24], v22, v[10:11]
; %bb.1434:                             ;   in Loop: Header=BB358_1066 Depth=1
	s_or_b32 exec_lo, exec_lo, s21
	v_lshlrev_b32_e32 v22, 20, v23
	v_lshlrev_b32_e32 v23, 24, v10
	v_lshl_add_u32 v20, v20, 23, 0x3c000000
	v_and_b32_e32 v22, 0x700000, v22
	v_and_b32_e32 v23, 0x80000000, v23
	v_or3_b32 v20, v22, v23, v20
.LBB358_1435:                           ;   in Loop: Header=BB358_1066 Depth=1
	s_or_b32 exec_lo, exec_lo, s20
.LBB358_1436:                           ;   in Loop: Header=BB358_1066 Depth=1
	s_or_b32 exec_lo, exec_lo, s18
.LBB358_1437:                           ;   in Loop: Header=BB358_1066 Depth=1
	s_or_b32 exec_lo, exec_lo, s17
	v_cmp_ne_u16_sdwa s5, v10, v11 src0_sel:BYTE_1 src1_sel:DWORD
	s_and_saveexec_b32 s17, s5
	s_cbranch_execz .LBB358_1445
; %bb.1438:                             ;   in Loop: Header=BB358_1066 Depth=1
	v_cmp_ne_u16_sdwa s5, v10, v65 src0_sel:BYTE_1 src1_sel:DWORD
	v_bfrev_b32_e32 v21, 1
	s_and_saveexec_b32 s18, s5
	s_cbranch_execz .LBB358_1444
; %bb.1439:                             ;   in Loop: Header=BB358_1066 Depth=1
	v_mov_b32_e32 v21, 0xffff
	s_mov_b32 s20, exec_lo
	v_and_b32_sdwa v23, v21, v10 dst_sel:DWORD dst_unused:UNUSED_PAD src0_sel:DWORD src1_sel:BYTE_1
	v_mov_b32_e32 v21, 0x7f800001
	v_and_b32_e32 v22, 0x7f, v23
	v_cmpx_ne_u32_e32 0x7f, v22
	s_cbranch_execz .LBB358_1443
; %bb.1440:                             ;   in Loop: Header=BB358_1066 Depth=1
	v_and_b32_e32 v23, 7, v23
	v_mov_b32_e32 v24, v11
	v_lshrrev_b32_e32 v21, 3, v22
	s_mov_b32 s21, exec_lo
	v_cmpx_gt_u32_e32 8, v22
; %bb.1441:                             ;   in Loop: Header=BB358_1066 Depth=1
	v_ffbh_u32_e32 v21, v23
	v_min_u32_e32 v21, 32, v21
	v_subrev_nc_u32_e32 v22, 28, v21
	v_sub_nc_u32_e32 v21, 29, v21
	v_lshlrev_b64 v[22:23], v22, v[23:24]
	v_and_b32_e32 v23, 7, v22
; %bb.1442:                             ;   in Loop: Header=BB358_1066 Depth=1
	s_or_b32 exec_lo, exec_lo, s21
	v_lshlrev_b32_e32 v10, 16, v10
	v_lshlrev_b32_e32 v22, 20, v23
	v_lshl_add_u32 v21, v21, 23, 0x3c000000
	v_and_b32_e32 v10, 0x80000000, v10
	v_or3_b32 v21, v22, v10, v21
.LBB358_1443:                           ;   in Loop: Header=BB358_1066 Depth=1
	s_or_b32 exec_lo, exec_lo, s20
.LBB358_1444:                           ;   in Loop: Header=BB358_1066 Depth=1
	s_or_b32 exec_lo, exec_lo, s18
.LBB358_1445:                           ;   in Loop: Header=BB358_1066 Depth=1
	s_or_b32 exec_lo, exec_lo, s17
	v_and_b32_sdwa v10, v19, v70 dst_sel:DWORD dst_unused:UNUSED_PAD src0_sel:WORD_1 src1_sel:DWORD
	v_mov_b32_e32 v22, 0
	v_mov_b32_e32 v25, 0
	s_mov_b32 s17, exec_lo
	v_cmpx_ne_u16_e32 0, v10
	s_cbranch_execz .LBB358_1453
; %bb.1446:                             ;   in Loop: Header=BB358_1066 Depth=1
	v_bfrev_b32_e32 v25, 1
	s_mov_b32 s18, exec_lo
	v_cmpx_ne_u16_e32 0x80, v10
	s_cbranch_execz .LBB358_1452
; %bb.1447:                             ;   in Loop: Header=BB358_1066 Depth=1
	v_bfe_u32 v23, v19, 16, 7
	v_mov_b32_e32 v25, 0x7f800001
	s_mov_b32 s20, exec_lo
	v_cmpx_ne_u32_e32 0x7f, v23
	s_cbranch_execz .LBB358_1451
; %bb.1448:                             ;   in Loop: Header=BB358_1066 Depth=1
	v_mov_b32_e32 v10, 7
	v_lshrrev_b32_e32 v25, 3, v23
	v_cmp_gt_u32_e64 s5, 8, v23
	v_and_b32_sdwa v10, v19, v10 dst_sel:DWORD dst_unused:UNUSED_PAD src0_sel:WORD_1 src1_sel:DWORD
	v_mov_b32_e32 v24, v11
	v_mov_b32_e32 v23, v10
	s_and_saveexec_b32 s21, s5
; %bb.1449:                             ;   in Loop: Header=BB358_1066 Depth=1
	v_ffbh_u32_e32 v23, v10
	v_min_u32_e32 v25, 32, v23
	v_subrev_nc_u32_e32 v23, 28, v25
	v_sub_nc_u32_e32 v25, 29, v25
	v_lshlrev_b64 v[23:24], v23, v[10:11]
	v_and_b32_e32 v23, 7, v23
; %bb.1450:                             ;   in Loop: Header=BB358_1066 Depth=1
	s_or_b32 exec_lo, exec_lo, s21
	v_mov_b32_e32 v10, 24
	v_lshlrev_b32_e32 v23, 20, v23
	v_lshl_add_u32 v24, v25, 23, 0x3c000000
	v_lshlrev_b32_sdwa v10, v10, v19 dst_sel:DWORD dst_unused:UNUSED_PAD src0_sel:DWORD src1_sel:WORD_1
	v_and_b32_e32 v10, 0x80000000, v10
	v_or3_b32 v25, v23, v10, v24
.LBB358_1451:                           ;   in Loop: Header=BB358_1066 Depth=1
	s_or_b32 exec_lo, exec_lo, s20
.LBB358_1452:                           ;   in Loop: Header=BB358_1066 Depth=1
	s_or_b32 exec_lo, exec_lo, s18
.LBB358_1453:                           ;   in Loop: Header=BB358_1066 Depth=1
	s_or_b32 exec_lo, exec_lo, s17
	s_mov_b32 s17, exec_lo
	v_cmpx_lt_u64_e64 s[12:13], v[18:19]
	s_cbranch_execz .LBB358_1461
; %bb.1454:                             ;   in Loop: Header=BB358_1066 Depth=1
	v_cmp_ne_u32_sdwa s5, v19, v65 src0_sel:BYTE_3 src1_sel:DWORD
	v_bfrev_b32_e32 v22, 1
	s_and_saveexec_b32 s18, s5
	s_cbranch_execz .LBB358_1460
; %bb.1455:                             ;   in Loop: Header=BB358_1066 Depth=1
	v_bfe_u32 v23, v19, 24, 7
	v_mov_b32_e32 v22, 0x7f800001
	s_mov_b32 s20, exec_lo
	v_cmpx_ne_u32_e32 0x7f, v23
	s_cbranch_execz .LBB358_1459
; %bb.1456:                             ;   in Loop: Header=BB358_1066 Depth=1
	v_mov_b32_e32 v10, 7
	v_lshrrev_b32_e32 v18, 3, v23
	v_cmp_gt_u32_e64 s5, 8, v23
	v_and_b32_sdwa v10, v19, v10 dst_sel:DWORD dst_unused:UNUSED_PAD src0_sel:BYTE_3 src1_sel:DWORD
	v_mov_b32_e32 v24, v11
	v_mov_b32_e32 v23, v10
	s_and_saveexec_b32 s21, s5
; %bb.1457:                             ;   in Loop: Header=BB358_1066 Depth=1
	v_ffbh_u32_e32 v18, v10
	v_min_u32_e32 v18, 32, v18
	v_subrev_nc_u32_e32 v22, 28, v18
	v_sub_nc_u32_e32 v18, 29, v18
	v_lshlrev_b64 v[22:23], v22, v[10:11]
	v_and_b32_e32 v23, 7, v22
; %bb.1458:                             ;   in Loop: Header=BB358_1066 Depth=1
	s_or_b32 exec_lo, exec_lo, s21
	v_mov_b32_e32 v10, 24
	v_lshl_add_u32 v18, v18, 23, 0x3c000000
	v_lshlrev_b32_sdwa v10, v10, v19 dst_sel:DWORD dst_unused:UNUSED_PAD src0_sel:DWORD src1_sel:BYTE_3
	v_lshlrev_b32_e32 v19, 20, v23
	v_and_b32_e32 v10, 0x80000000, v10
	v_or3_b32 v22, v19, v10, v18
.LBB358_1459:                           ;   in Loop: Header=BB358_1066 Depth=1
	s_or_b32 exec_lo, exec_lo, s20
.LBB358_1460:                           ;   in Loop: Header=BB358_1066 Depth=1
	s_or_b32 exec_lo, exec_lo, s18
.LBB358_1461:                           ;   in Loop: Header=BB358_1066 Depth=1
	s_or_b32 exec_lo, exec_lo, s17
	v_mul_f32_e32 v10, v58, v21
	v_mul_f32_e32 v18, v58, v20
	;; [unrolled: 1-line block ×5, first 2 shown]
	v_bfe_u32 v19, v10, 16, 1
	v_or_b32_e32 v20, 0x400000, v10
	v_bfe_u32 v21, v18, 16, 1
	v_cmp_u_f32_e64 s5, v10, v10
	v_or_b32_e32 v23, 0x400000, v18
	v_add3_u32 v19, v19, v10, 0x7fff
	v_bfe_u32 v24, v13, 16, 1
	v_add3_u32 v21, v21, v18, 0x7fff
	v_or_b32_e32 v26, 0x400000, v13
	v_bfe_u32 v27, v12, 16, 1
	v_cndmask_b32_e64 v10, v19, v20, s5
	v_cmp_u_f32_e64 s5, v18, v18
	v_add3_u32 v24, v24, v13, 0x7fff
	v_or_b32_e32 v19, 0x400000, v12
	v_mul_f32_e32 v4, v58, v4
	v_lshrrev_b32_e32 v108, 16, v10
	v_cndmask_b32_e64 v18, v21, v23, s5
	v_cmp_u_f32_e64 s5, v13, v13
	v_add3_u32 v10, v27, v12, 0x7fff
	v_bfe_u32 v20, v4, 16, 1
	v_lshrrev_b32_e32 v107, 16, v18
	v_cndmask_b32_e64 v13, v24, v26, s5
	v_cmp_u_f32_e64 s5, v12, v12
	v_mul_f32_e32 v12, v58, v25
	v_or_b32_e32 v18, 0x400000, v5
	v_lshrrev_b32_e32 v111, 16, v13
	v_bfe_u32 v13, v5, 16, 1
	v_cndmask_b32_e64 v10, v10, v19, s5
	v_cmp_u_f32_e64 s5, v5, v5
	v_mul_f32_e32 v19, v58, v22
	v_bfe_u32 v21, v12, 16, 1
	v_add3_u32 v13, v13, v5, 0x7fff
	v_or_b32_e32 v22, 0x400000, v12
	v_lshrrev_b32_e32 v120, 16, v10
	v_or_b32_e32 v23, 0x400000, v19
	v_add3_u32 v21, v21, v12, 0x7fff
	v_cndmask_b32_e64 v5, v13, v18, s5
	v_add3_u32 v18, v20, v4, 0x7fff
	v_or_b32_e32 v20, 0x400000, v4
	v_cmp_u_f32_e64 s5, v4, v4
	v_bfe_u32 v13, v19, 16, 1
	v_lshrrev_b32_e32 v122, 16, v5
	v_cndmask_b32_e64 v4, v18, v20, s5
	v_cmp_u_f32_e64 s5, v12, v12
	v_add3_u32 v13, v13, v19, 0x7fff
	v_lshrrev_b32_e32 v121, 16, v4
	v_cndmask_b32_e64 v12, v21, v22, s5
	v_cmp_u_f32_e64 s5, v19, v19
	v_lshrrev_b32_e32 v109, 16, v12
	v_cndmask_b32_e64 v13, v13, v23, s5
	v_lshrrev_b32_e32 v110, 16, v13
	s_and_saveexec_b32 s17, vcc_lo
	s_cbranch_execz .LBB358_1463
; %bb.1462:                             ;   in Loop: Header=BB358_1066 Depth=1
	v_cmp_lt_i32_e64 s5, v75, v96
	v_cndmask_b32_e64 v121, 0, v121, s5
	v_cmp_lt_i32_e64 s5, v90, v96
	v_cndmask_b32_e64 v122, 0, v122, s5
	;; [unrolled: 2-line block ×8, first 2 shown]
.LBB358_1463:                           ;   in Loop: Header=BB358_1066 Depth=1
	s_or_b32 exec_lo, exec_lo, s17
	flat_load_dwordx2 v[18:19], v[16:17] offset:1536
	v_mov_b32_e32 v5, 0
	v_mov_b32_e32 v4, 0
	s_waitcnt vmcnt(0) lgkmcnt(0)
	v_cmp_ne_u16_sdwa s5, v18, v11 src0_sel:BYTE_0 src1_sel:DWORD
	s_and_saveexec_b32 s17, s5
	s_cbranch_execz .LBB358_1471
; %bb.1464:                             ;   in Loop: Header=BB358_1066 Depth=1
	v_cmp_ne_u16_sdwa s5, v18, v65 src0_sel:BYTE_0 src1_sel:DWORD
	v_bfrev_b32_e32 v4, 1
	s_and_saveexec_b32 s18, s5
	s_cbranch_execz .LBB358_1470
; %bb.1465:                             ;   in Loop: Header=BB358_1066 Depth=1
	v_and_b32_e32 v10, 0x7f, v18
	v_mov_b32_e32 v4, 0x7f800001
	s_mov_b32 s20, exec_lo
	v_cmpx_ne_u32_e32 0x7f, v10
	s_cbranch_execz .LBB358_1469
; %bb.1466:                             ;   in Loop: Header=BB358_1066 Depth=1
	v_mov_b32_e32 v24, v19
	v_lshrrev_b32_e32 v4, 3, v10
	v_mov_b32_e32 v23, v18
	s_mov_b32 s21, exec_lo
	v_cmpx_gt_u32_e32 8, v10
; %bb.1467:                             ;   in Loop: Header=BB358_1066 Depth=1
	v_and_b32_e32 v4, 7, v18
	v_ffbh_u32_e32 v4, v4
	v_min_u32_e32 v4, 32, v4
	v_subrev_nc_u32_e32 v10, 28, v4
	v_sub_nc_u32_e32 v4, 29, v4
	v_lshlrev_b64 v[23:24], v10, v[18:19]
; %bb.1468:                             ;   in Loop: Header=BB358_1066 Depth=1
	s_or_b32 exec_lo, exec_lo, s21
	v_lshlrev_b32_e32 v10, 20, v23
	v_lshlrev_b32_e32 v12, 24, v18
	v_lshl_add_u32 v4, v4, 23, 0x3c000000
	v_and_b32_e32 v10, 0x700000, v10
	v_and_b32_e32 v12, 0x80000000, v12
	v_or3_b32 v4, v10, v12, v4
.LBB358_1469:                           ;   in Loop: Header=BB358_1066 Depth=1
	s_or_b32 exec_lo, exec_lo, s20
.LBB358_1470:                           ;   in Loop: Header=BB358_1066 Depth=1
	s_or_b32 exec_lo, exec_lo, s18
.LBB358_1471:                           ;   in Loop: Header=BB358_1066 Depth=1
	s_or_b32 exec_lo, exec_lo, s17
	v_cmp_ne_u16_sdwa s5, v18, v11 src0_sel:BYTE_1 src1_sel:DWORD
	s_and_saveexec_b32 s17, s5
	s_cbranch_execz .LBB358_1479
; %bb.1472:                             ;   in Loop: Header=BB358_1066 Depth=1
	v_cmp_ne_u16_sdwa s5, v18, v65 src0_sel:BYTE_1 src1_sel:DWORD
	v_bfrev_b32_e32 v5, 1
	s_and_saveexec_b32 s18, s5
	s_cbranch_execz .LBB358_1478
; %bb.1473:                             ;   in Loop: Header=BB358_1066 Depth=1
	v_mov_b32_e32 v5, 0xffff
	s_mov_b32 s20, exec_lo
	v_and_b32_sdwa v10, v5, v18 dst_sel:DWORD dst_unused:UNUSED_PAD src0_sel:DWORD src1_sel:BYTE_1
	v_mov_b32_e32 v5, 0x7f800001
	v_and_b32_e32 v12, 0x7f, v10
	v_cmpx_ne_u32_e32 0x7f, v12
	s_cbranch_execz .LBB358_1477
; %bb.1474:                             ;   in Loop: Header=BB358_1066 Depth=1
	v_and_b32_e32 v10, 7, v10
	v_mov_b32_e32 v24, v11
	v_lshrrev_b32_e32 v5, 3, v12
	s_mov_b32 s21, exec_lo
	v_mov_b32_e32 v23, v10
	v_cmpx_gt_u32_e32 8, v12
; %bb.1475:                             ;   in Loop: Header=BB358_1066 Depth=1
	v_ffbh_u32_e32 v5, v10
	v_min_u32_e32 v5, 32, v5
	v_subrev_nc_u32_e32 v12, 28, v5
	v_sub_nc_u32_e32 v5, 29, v5
	v_lshlrev_b64 v[12:13], v12, v[10:11]
	v_and_b32_e32 v23, 7, v12
; %bb.1476:                             ;   in Loop: Header=BB358_1066 Depth=1
	s_or_b32 exec_lo, exec_lo, s21
	v_lshlrev_b32_e32 v10, 16, v18
	v_lshlrev_b32_e32 v12, 20, v23
	v_lshl_add_u32 v5, v5, 23, 0x3c000000
	v_and_b32_e32 v10, 0x80000000, v10
	v_or3_b32 v5, v12, v10, v5
.LBB358_1477:                           ;   in Loop: Header=BB358_1066 Depth=1
	s_or_b32 exec_lo, exec_lo, s20
.LBB358_1478:                           ;   in Loop: Header=BB358_1066 Depth=1
	s_or_b32 exec_lo, exec_lo, s18
.LBB358_1479:                           ;   in Loop: Header=BB358_1066 Depth=1
	s_or_b32 exec_lo, exec_lo, s17
	v_and_b32_sdwa v10, v18, v70 dst_sel:DWORD dst_unused:UNUSED_PAD src0_sel:WORD_1 src1_sel:DWORD
	v_mov_b32_e32 v13, 0
	v_mov_b32_e32 v12, 0
	s_mov_b32 s17, exec_lo
	v_cmpx_ne_u16_e32 0, v10
	s_cbranch_execz .LBB358_1487
; %bb.1480:                             ;   in Loop: Header=BB358_1066 Depth=1
	v_bfrev_b32_e32 v12, 1
	s_mov_b32 s18, exec_lo
	v_cmpx_ne_u16_e32 0x80, v10
	s_cbranch_execz .LBB358_1486
; %bb.1481:                             ;   in Loop: Header=BB358_1066 Depth=1
	v_bfe_u32 v20, v18, 16, 7
	v_mov_b32_e32 v12, 0x7f800001
	s_mov_b32 s20, exec_lo
	v_cmpx_ne_u32_e32 0x7f, v20
	s_cbranch_execz .LBB358_1485
; %bb.1482:                             ;   in Loop: Header=BB358_1066 Depth=1
	v_mov_b32_e32 v10, 7
	v_lshrrev_b32_e32 v12, 3, v20
	s_mov_b32 s21, exec_lo
	v_and_b32_sdwa v10, v18, v10 dst_sel:DWORD dst_unused:UNUSED_PAD src0_sel:WORD_1 src1_sel:DWORD
	v_mov_b32_e32 v24, v11
	v_mov_b32_e32 v23, v10
	v_cmpx_gt_u32_e32 8, v20
; %bb.1483:                             ;   in Loop: Header=BB358_1066 Depth=1
	v_ffbh_u32_e32 v12, v10
	v_min_u32_e32 v12, 32, v12
	v_subrev_nc_u32_e32 v20, 28, v12
	v_sub_nc_u32_e32 v12, 29, v12
	v_lshlrev_b64 v[20:21], v20, v[10:11]
	v_and_b32_e32 v23, 7, v20
; %bb.1484:                             ;   in Loop: Header=BB358_1066 Depth=1
	s_or_b32 exec_lo, exec_lo, s21
	v_mov_b32_e32 v10, 24
	v_lshlrev_b32_e32 v20, 20, v23
	v_lshl_add_u32 v12, v12, 23, 0x3c000000
	v_lshlrev_b32_sdwa v10, v10, v18 dst_sel:DWORD dst_unused:UNUSED_PAD src0_sel:DWORD src1_sel:WORD_1
	v_and_b32_e32 v10, 0x80000000, v10
	v_or3_b32 v12, v20, v10, v12
.LBB358_1485:                           ;   in Loop: Header=BB358_1066 Depth=1
	s_or_b32 exec_lo, exec_lo, s20
.LBB358_1486:                           ;   in Loop: Header=BB358_1066 Depth=1
	s_or_b32 exec_lo, exec_lo, s18
.LBB358_1487:                           ;   in Loop: Header=BB358_1066 Depth=1
	s_or_b32 exec_lo, exec_lo, s17
	s_mov_b32 s17, exec_lo
	v_cmpx_lt_u32_e32 0xffffff, v18
	s_cbranch_execz .LBB358_1495
; %bb.1488:                             ;   in Loop: Header=BB358_1066 Depth=1
	v_cmp_ne_u32_sdwa s5, v18, v65 src0_sel:BYTE_3 src1_sel:DWORD
	v_bfrev_b32_e32 v13, 1
	s_and_saveexec_b32 s18, s5
	s_cbranch_execz .LBB358_1494
; %bb.1489:                             ;   in Loop: Header=BB358_1066 Depth=1
	v_bfe_u32 v20, v18, 24, 7
	v_mov_b32_e32 v13, 0x7f800001
	s_mov_b32 s20, exec_lo
	v_cmpx_ne_u32_e32 0x7f, v20
	s_cbranch_execz .LBB358_1493
; %bb.1490:                             ;   in Loop: Header=BB358_1066 Depth=1
	v_mov_b32_e32 v10, 7
	v_lshrrev_b32_e32 v13, 3, v20
	s_mov_b32 s21, exec_lo
	v_and_b32_sdwa v10, v18, v10 dst_sel:DWORD dst_unused:UNUSED_PAD src0_sel:BYTE_3 src1_sel:DWORD
	v_mov_b32_e32 v24, v11
	v_mov_b32_e32 v23, v10
	v_cmpx_gt_u32_e32 8, v20
; %bb.1491:                             ;   in Loop: Header=BB358_1066 Depth=1
	v_ffbh_u32_e32 v13, v10
	v_min_u32_e32 v13, 32, v13
	v_subrev_nc_u32_e32 v20, 28, v13
	v_sub_nc_u32_e32 v13, 29, v13
	v_lshlrev_b64 v[20:21], v20, v[10:11]
	v_and_b32_e32 v23, 7, v20
; %bb.1492:                             ;   in Loop: Header=BB358_1066 Depth=1
	s_or_b32 exec_lo, exec_lo, s21
	v_mov_b32_e32 v10, 24
	v_lshlrev_b32_e32 v20, 20, v23
	v_lshl_add_u32 v13, v13, 23, 0x3c000000
	v_lshlrev_b32_sdwa v10, v10, v18 dst_sel:DWORD dst_unused:UNUSED_PAD src0_sel:DWORD src1_sel:BYTE_3
	v_and_b32_e32 v10, 0x80000000, v10
	v_or3_b32 v13, v20, v10, v13
.LBB358_1493:                           ;   in Loop: Header=BB358_1066 Depth=1
	s_or_b32 exec_lo, exec_lo, s20
.LBB358_1494:                           ;   in Loop: Header=BB358_1066 Depth=1
	s_or_b32 exec_lo, exec_lo, s18
.LBB358_1495:                           ;   in Loop: Header=BB358_1066 Depth=1
	s_or_b32 exec_lo, exec_lo, s17
	v_mov_b32_e32 v10, v19
	v_cmp_ne_u16_sdwa s5, v19, v11 src0_sel:BYTE_0 src1_sel:DWORD
	v_mov_b32_e32 v25, 0
	v_mov_b32_e32 v21, 0
	s_and_saveexec_b32 s17, s5
	s_cbranch_execz .LBB358_1503
; %bb.1496:                             ;   in Loop: Header=BB358_1066 Depth=1
	v_cmp_ne_u16_sdwa s5, v19, v65 src0_sel:BYTE_0 src1_sel:DWORD
	v_bfrev_b32_e32 v21, 1
	s_and_saveexec_b32 s18, s5
	s_cbranch_execz .LBB358_1502
; %bb.1497:                             ;   in Loop: Header=BB358_1066 Depth=1
	v_and_b32_e32 v22, 0x7f, v19
	v_mov_b32_e32 v21, 0x7f800001
	s_mov_b32 s20, exec_lo
	v_cmpx_ne_u32_e32 0x7f, v22
	s_cbranch_execz .LBB358_1501
; %bb.1498:                             ;   in Loop: Header=BB358_1066 Depth=1
	v_mov_b32_e32 v24, v11
	v_lshrrev_b32_e32 v20, 3, v22
	v_mov_b32_e32 v23, v10
	s_mov_b32 s21, exec_lo
	v_cmpx_gt_u32_e32 8, v22
; %bb.1499:                             ;   in Loop: Header=BB358_1066 Depth=1
	v_and_b32_e32 v20, 7, v19
	v_ffbh_u32_e32 v20, v20
	v_min_u32_e32 v20, 32, v20
	v_subrev_nc_u32_e32 v21, 28, v20
	v_sub_nc_u32_e32 v20, 29, v20
	v_lshlrev_b64 v[23:24], v21, v[10:11]
; %bb.1500:                             ;   in Loop: Header=BB358_1066 Depth=1
	s_or_b32 exec_lo, exec_lo, s21
	v_lshlrev_b32_e32 v21, 20, v23
	v_lshlrev_b32_e32 v22, 24, v10
	v_lshl_add_u32 v20, v20, 23, 0x3c000000
	v_and_b32_e32 v21, 0x700000, v21
	v_and_b32_e32 v22, 0x80000000, v22
	v_or3_b32 v21, v21, v22, v20
.LBB358_1501:                           ;   in Loop: Header=BB358_1066 Depth=1
	s_or_b32 exec_lo, exec_lo, s20
.LBB358_1502:                           ;   in Loop: Header=BB358_1066 Depth=1
	s_or_b32 exec_lo, exec_lo, s18
.LBB358_1503:                           ;   in Loop: Header=BB358_1066 Depth=1
	s_or_b32 exec_lo, exec_lo, s17
	v_cmp_ne_u16_sdwa s5, v10, v11 src0_sel:BYTE_1 src1_sel:DWORD
	s_and_saveexec_b32 s17, s5
	s_cbranch_execz .LBB358_1511
; %bb.1504:                             ;   in Loop: Header=BB358_1066 Depth=1
	v_cmp_ne_u16_sdwa s5, v10, v65 src0_sel:BYTE_1 src1_sel:DWORD
	v_bfrev_b32_e32 v25, 1
	s_and_saveexec_b32 s18, s5
	s_cbranch_execz .LBB358_1510
; %bb.1505:                             ;   in Loop: Header=BB358_1066 Depth=1
	v_mov_b32_e32 v20, 0xffff
	v_mov_b32_e32 v25, 0x7f800001
	s_mov_b32 s20, exec_lo
	v_and_b32_sdwa v20, v20, v10 dst_sel:DWORD dst_unused:UNUSED_PAD src0_sel:DWORD src1_sel:BYTE_1
	v_and_b32_e32 v22, 0x7f, v20
	v_cmpx_ne_u32_e32 0x7f, v22
	s_cbranch_execz .LBB358_1509
; %bb.1506:                             ;   in Loop: Header=BB358_1066 Depth=1
	v_and_b32_e32 v23, 7, v20
	v_mov_b32_e32 v24, v11
	v_lshrrev_b32_e32 v20, 3, v22
	s_mov_b32 s21, exec_lo
	v_cmpx_gt_u32_e32 8, v22
; %bb.1507:                             ;   in Loop: Header=BB358_1066 Depth=1
	v_ffbh_u32_e32 v20, v23
	v_min_u32_e32 v20, 32, v20
	v_subrev_nc_u32_e32 v22, 28, v20
	v_sub_nc_u32_e32 v20, 29, v20
	v_lshlrev_b64 v[22:23], v22, v[23:24]
	v_and_b32_e32 v23, 7, v22
; %bb.1508:                             ;   in Loop: Header=BB358_1066 Depth=1
	s_or_b32 exec_lo, exec_lo, s21
	v_lshlrev_b32_e32 v10, 16, v10
	v_lshlrev_b32_e32 v22, 20, v23
	v_lshl_add_u32 v20, v20, 23, 0x3c000000
	v_and_b32_e32 v10, 0x80000000, v10
	v_or3_b32 v25, v22, v10, v20
.LBB358_1509:                           ;   in Loop: Header=BB358_1066 Depth=1
	s_or_b32 exec_lo, exec_lo, s20
.LBB358_1510:                           ;   in Loop: Header=BB358_1066 Depth=1
	s_or_b32 exec_lo, exec_lo, s18
.LBB358_1511:                           ;   in Loop: Header=BB358_1066 Depth=1
	s_or_b32 exec_lo, exec_lo, s17
	v_and_b32_sdwa v10, v19, v70 dst_sel:DWORD dst_unused:UNUSED_PAD src0_sel:WORD_1 src1_sel:DWORD
	v_mov_b32_e32 v20, 0
	v_mov_b32_e32 v22, 0
	s_mov_b32 s17, exec_lo
	v_cmpx_ne_u16_e32 0, v10
	s_cbranch_execz .LBB358_1519
; %bb.1512:                             ;   in Loop: Header=BB358_1066 Depth=1
	v_bfrev_b32_e32 v22, 1
	s_mov_b32 s18, exec_lo
	v_cmpx_ne_u16_e32 0x80, v10
	s_cbranch_execz .LBB358_1518
; %bb.1513:                             ;   in Loop: Header=BB358_1066 Depth=1
	v_bfe_u32 v23, v19, 16, 7
	v_mov_b32_e32 v22, 0x7f800001
	s_mov_b32 s20, exec_lo
	v_cmpx_ne_u32_e32 0x7f, v23
	s_cbranch_execz .LBB358_1517
; %bb.1514:                             ;   in Loop: Header=BB358_1066 Depth=1
	v_mov_b32_e32 v10, 7
	v_lshrrev_b32_e32 v22, 3, v23
	v_cmp_gt_u32_e64 s5, 8, v23
	v_and_b32_sdwa v10, v19, v10 dst_sel:DWORD dst_unused:UNUSED_PAD src0_sel:WORD_1 src1_sel:DWORD
	v_mov_b32_e32 v24, v11
	v_mov_b32_e32 v23, v10
	s_and_saveexec_b32 s21, s5
; %bb.1515:                             ;   in Loop: Header=BB358_1066 Depth=1
	v_ffbh_u32_e32 v22, v10
	v_min_u32_e32 v22, 32, v22
	v_subrev_nc_u32_e32 v23, 28, v22
	v_sub_nc_u32_e32 v22, 29, v22
	v_lshlrev_b64 v[23:24], v23, v[10:11]
	v_and_b32_e32 v23, 7, v23
; %bb.1516:                             ;   in Loop: Header=BB358_1066 Depth=1
	s_or_b32 exec_lo, exec_lo, s21
	v_mov_b32_e32 v10, 24
	v_lshlrev_b32_e32 v23, 20, v23
	v_lshl_add_u32 v22, v22, 23, 0x3c000000
	v_lshlrev_b32_sdwa v10, v10, v19 dst_sel:DWORD dst_unused:UNUSED_PAD src0_sel:DWORD src1_sel:WORD_1
	v_and_b32_e32 v10, 0x80000000, v10
	v_or3_b32 v22, v23, v10, v22
.LBB358_1517:                           ;   in Loop: Header=BB358_1066 Depth=1
	s_or_b32 exec_lo, exec_lo, s20
.LBB358_1518:                           ;   in Loop: Header=BB358_1066 Depth=1
	s_or_b32 exec_lo, exec_lo, s18
.LBB358_1519:                           ;   in Loop: Header=BB358_1066 Depth=1
	s_or_b32 exec_lo, exec_lo, s17
	s_mov_b32 s17, exec_lo
	v_cmpx_lt_u64_e64 s[12:13], v[18:19]
	s_cbranch_execz .LBB358_1527
; %bb.1520:                             ;   in Loop: Header=BB358_1066 Depth=1
	v_cmp_ne_u32_sdwa s5, v19, v65 src0_sel:BYTE_3 src1_sel:DWORD
	v_bfrev_b32_e32 v20, 1
	s_and_saveexec_b32 s18, s5
	s_cbranch_execz .LBB358_1526
; %bb.1521:                             ;   in Loop: Header=BB358_1066 Depth=1
	v_bfe_u32 v23, v19, 24, 7
	v_mov_b32_e32 v20, 0x7f800001
	s_mov_b32 s20, exec_lo
	v_cmpx_ne_u32_e32 0x7f, v23
	s_cbranch_execz .LBB358_1525
; %bb.1522:                             ;   in Loop: Header=BB358_1066 Depth=1
	v_mov_b32_e32 v10, 7
	v_lshrrev_b32_e32 v18, 3, v23
	v_cmp_gt_u32_e64 s5, 8, v23
	v_and_b32_sdwa v10, v19, v10 dst_sel:DWORD dst_unused:UNUSED_PAD src0_sel:BYTE_3 src1_sel:DWORD
	v_mov_b32_e32 v24, v11
	v_mov_b32_e32 v23, v10
	s_and_saveexec_b32 s21, s5
; %bb.1523:                             ;   in Loop: Header=BB358_1066 Depth=1
	v_ffbh_u32_e32 v18, v10
	v_min_u32_e32 v18, 32, v18
	v_subrev_nc_u32_e32 v20, 28, v18
	v_sub_nc_u32_e32 v18, 29, v18
	v_lshlrev_b64 v[23:24], v20, v[10:11]
	v_and_b32_e32 v23, 7, v23
; %bb.1524:                             ;   in Loop: Header=BB358_1066 Depth=1
	s_or_b32 exec_lo, exec_lo, s21
	v_mov_b32_e32 v10, 24
	v_lshl_add_u32 v18, v18, 23, 0x3c000000
	v_lshlrev_b32_sdwa v10, v10, v19 dst_sel:DWORD dst_unused:UNUSED_PAD src0_sel:DWORD src1_sel:BYTE_3
	v_lshlrev_b32_e32 v19, 20, v23
	v_and_b32_e32 v10, 0x80000000, v10
	v_or3_b32 v20, v19, v10, v18
.LBB358_1525:                           ;   in Loop: Header=BB358_1066 Depth=1
	s_or_b32 exec_lo, exec_lo, s20
.LBB358_1526:                           ;   in Loop: Header=BB358_1066 Depth=1
	s_or_b32 exec_lo, exec_lo, s18
.LBB358_1527:                           ;   in Loop: Header=BB358_1066 Depth=1
	s_or_b32 exec_lo, exec_lo, s17
	v_mul_f32_e32 v10, v58, v25
	v_mul_f32_e32 v5, v58, v5
	;; [unrolled: 1-line block ×3, first 2 shown]
	v_bfe_u32 v18, v10, 16, 1
	v_or_b32_e32 v19, 0x400000, v10
	v_cmp_u_f32_e64 s5, v10, v10
	v_add3_u32 v18, v18, v10, 0x7fff
	v_cndmask_b32_e64 v10, v18, v19, s5
	v_lshrrev_b32_e32 v123, 16, v10
	v_mul_f32_e32 v10, v58, v21
	v_bfe_u32 v18, v10, 16, 1
	v_or_b32_e32 v19, 0x400000, v10
	v_cmp_u_f32_e64 s5, v10, v10
	v_add3_u32 v18, v18, v10, 0x7fff
	v_cndmask_b32_e64 v10, v18, v19, s5
	v_lshrrev_b32_e32 v124, 16, v10
	v_mul_f32_e32 v10, v58, v13
	;; [unrolled: 7-line block ×3, first 2 shown]
	v_bfe_u32 v12, v10, 16, 1
	v_or_b32_e32 v13, 0x400000, v10
	v_cmp_u_f32_e64 s5, v10, v10
	v_add3_u32 v12, v12, v10, 0x7fff
	v_cndmask_b32_e64 v10, v12, v13, s5
	v_or_b32_e32 v12, 0x400000, v5
	v_cmp_u_f32_e64 s5, v5, v5
	v_lshrrev_b32_e32 v126, 16, v10
	v_bfe_u32 v10, v5, 16, 1
	v_add3_u32 v10, v10, v5, 0x7fff
	v_cndmask_b32_e64 v5, v10, v12, s5
	v_or_b32_e32 v10, 0x400000, v4
	v_cmp_u_f32_e64 s5, v4, v4
	v_lshrrev_b32_e32 v39, 16, v5
	v_bfe_u32 v5, v4, 16, 1
	v_add3_u32 v5, v5, v4, 0x7fff
	v_cndmask_b32_e64 v4, v5, v10, s5
	v_lshrrev_b32_e32 v21, 16, v4
	v_mul_f32_e32 v4, v58, v22
	v_bfe_u32 v5, v4, 16, 1
	v_or_b32_e32 v10, 0x400000, v4
	v_cmp_u_f32_e64 s5, v4, v4
	v_add3_u32 v5, v5, v4, 0x7fff
	v_cndmask_b32_e64 v4, v5, v10, s5
	v_lshrrev_b32_e32 v127, 16, v4
	v_mul_f32_e32 v4, v58, v20
	v_bfe_u32 v5, v4, 16, 1
	v_or_b32_e32 v10, 0x400000, v4
	v_cmp_u_f32_e64 s5, v4, v4
	v_add3_u32 v5, v5, v4, 0x7fff
	v_cndmask_b32_e64 v4, v5, v10, s5
	v_lshrrev_b32_e32 v5, 16, v4
	s_and_saveexec_b32 s17, vcc_lo
	s_cbranch_execz .LBB358_1529
; %bb.1528:                             ;   in Loop: Header=BB358_1066 Depth=1
	v_cmp_lt_i32_e64 s5, v75, v96
	v_cndmask_b32_e64 v21, 0, v21, s5
	v_cmp_lt_i32_e64 s5, v90, v96
	v_cndmask_b32_e64 v39, 0, v39, s5
	;; [unrolled: 2-line block ×8, first 2 shown]
.LBB358_1529:                           ;   in Loop: Header=BB358_1066 Depth=1
	s_or_b32 exec_lo, exec_lo, s17
	flat_load_dwordx2 v[18:19], v[16:17] offset:1792
	v_mov_b32_e32 v13, 0
	v_mov_b32_e32 v12, 0
	s_waitcnt vmcnt(0) lgkmcnt(0)
	v_cmp_ne_u16_sdwa s5, v18, v11 src0_sel:BYTE_0 src1_sel:DWORD
	s_and_saveexec_b32 s17, s5
	s_cbranch_execz .LBB358_1537
; %bb.1530:                             ;   in Loop: Header=BB358_1066 Depth=1
	v_cmp_ne_u16_sdwa s5, v18, v65 src0_sel:BYTE_0 src1_sel:DWORD
	v_bfrev_b32_e32 v12, 1
	s_and_saveexec_b32 s18, s5
	s_cbranch_execz .LBB358_1536
; %bb.1531:                             ;   in Loop: Header=BB358_1066 Depth=1
	v_and_b32_e32 v10, 0x7f, v18
	v_mov_b32_e32 v12, 0x7f800001
	s_mov_b32 s20, exec_lo
	v_cmpx_ne_u32_e32 0x7f, v10
	s_cbranch_execz .LBB358_1535
; %bb.1532:                             ;   in Loop: Header=BB358_1066 Depth=1
	v_mov_b32_e32 v24, v19
	v_lshrrev_b32_e32 v4, 3, v10
	v_mov_b32_e32 v23, v18
	s_mov_b32 s21, exec_lo
	v_cmpx_gt_u32_e32 8, v10
; %bb.1533:                             ;   in Loop: Header=BB358_1066 Depth=1
	v_and_b32_e32 v4, 7, v18
	v_ffbh_u32_e32 v4, v4
	v_min_u32_e32 v4, 32, v4
	v_subrev_nc_u32_e32 v10, 28, v4
	v_sub_nc_u32_e32 v4, 29, v4
	v_lshlrev_b64 v[23:24], v10, v[18:19]
; %bb.1534:                             ;   in Loop: Header=BB358_1066 Depth=1
	s_or_b32 exec_lo, exec_lo, s21
	v_lshlrev_b32_e32 v10, 20, v23
	v_lshlrev_b32_e32 v12, 24, v18
	v_lshl_add_u32 v4, v4, 23, 0x3c000000
	v_and_b32_e32 v10, 0x700000, v10
	v_and_b32_e32 v12, 0x80000000, v12
	v_or3_b32 v12, v10, v12, v4
.LBB358_1535:                           ;   in Loop: Header=BB358_1066 Depth=1
	s_or_b32 exec_lo, exec_lo, s20
.LBB358_1536:                           ;   in Loop: Header=BB358_1066 Depth=1
	s_or_b32 exec_lo, exec_lo, s18
.LBB358_1537:                           ;   in Loop: Header=BB358_1066 Depth=1
	s_or_b32 exec_lo, exec_lo, s17
	v_cmp_ne_u16_sdwa s5, v18, v11 src0_sel:BYTE_1 src1_sel:DWORD
	s_and_saveexec_b32 s17, s5
	s_cbranch_execz .LBB358_1545
; %bb.1538:                             ;   in Loop: Header=BB358_1066 Depth=1
	v_cmp_ne_u16_sdwa s5, v18, v65 src0_sel:BYTE_1 src1_sel:DWORD
	v_bfrev_b32_e32 v13, 1
	s_and_saveexec_b32 s18, s5
	s_cbranch_execz .LBB358_1544
; %bb.1539:                             ;   in Loop: Header=BB358_1066 Depth=1
	v_mov_b32_e32 v4, 0xffff
	v_mov_b32_e32 v13, 0x7f800001
	s_mov_b32 s20, exec_lo
	v_and_b32_sdwa v4, v4, v18 dst_sel:DWORD dst_unused:UNUSED_PAD src0_sel:DWORD src1_sel:BYTE_1
	v_and_b32_e32 v20, 0x7f, v4
	v_cmpx_ne_u32_e32 0x7f, v20
	s_cbranch_execz .LBB358_1543
; %bb.1540:                             ;   in Loop: Header=BB358_1066 Depth=1
	v_and_b32_e32 v10, 7, v4
	v_mov_b32_e32 v24, v11
	v_lshrrev_b32_e32 v4, 3, v20
	s_mov_b32 s21, exec_lo
	v_mov_b32_e32 v23, v10
	v_cmpx_gt_u32_e32 8, v20
; %bb.1541:                             ;   in Loop: Header=BB358_1066 Depth=1
	v_ffbh_u32_e32 v4, v10
	v_min_u32_e32 v4, 32, v4
	v_subrev_nc_u32_e32 v13, 28, v4
	v_sub_nc_u32_e32 v4, 29, v4
	v_lshlrev_b64 v[22:23], v13, v[10:11]
	v_and_b32_e32 v23, 7, v22
; %bb.1542:                             ;   in Loop: Header=BB358_1066 Depth=1
	s_or_b32 exec_lo, exec_lo, s21
	v_lshlrev_b32_e32 v10, 16, v18
	v_lshlrev_b32_e32 v13, 20, v23
	v_lshl_add_u32 v4, v4, 23, 0x3c000000
	v_and_b32_e32 v10, 0x80000000, v10
	v_or3_b32 v13, v13, v10, v4
.LBB358_1543:                           ;   in Loop: Header=BB358_1066 Depth=1
	s_or_b32 exec_lo, exec_lo, s20
.LBB358_1544:                           ;   in Loop: Header=BB358_1066 Depth=1
	s_or_b32 exec_lo, exec_lo, s18
.LBB358_1545:                           ;   in Loop: Header=BB358_1066 Depth=1
	s_or_b32 exec_lo, exec_lo, s17
	v_and_b32_sdwa v4, v18, v70 dst_sel:DWORD dst_unused:UNUSED_PAD src0_sel:WORD_1 src1_sel:DWORD
	v_mov_b32_e32 v22, 0
	v_mov_b32_e32 v20, 0
	s_mov_b32 s17, exec_lo
	v_cmpx_ne_u16_e32 0, v4
	s_cbranch_execz .LBB358_1553
; %bb.1546:                             ;   in Loop: Header=BB358_1066 Depth=1
	v_bfrev_b32_e32 v20, 1
	s_mov_b32 s18, exec_lo
	v_cmpx_ne_u16_e32 0x80, v4
	s_cbranch_execz .LBB358_1552
; %bb.1547:                             ;   in Loop: Header=BB358_1066 Depth=1
	v_bfe_u32 v23, v18, 16, 7
	v_mov_b32_e32 v20, 0x7f800001
	s_mov_b32 s20, exec_lo
	v_cmpx_ne_u32_e32 0x7f, v23
	s_cbranch_execz .LBB358_1551
; %bb.1548:                             ;   in Loop: Header=BB358_1066 Depth=1
	v_mov_b32_e32 v4, 7
	v_cmp_gt_u32_e64 s5, 8, v23
	v_and_b32_sdwa v10, v18, v4 dst_sel:DWORD dst_unused:UNUSED_PAD src0_sel:WORD_1 src1_sel:DWORD
	v_lshrrev_b32_e32 v4, 3, v23
	v_mov_b32_e32 v24, v11
	v_mov_b32_e32 v23, v10
	s_and_saveexec_b32 s21, s5
; %bb.1549:                             ;   in Loop: Header=BB358_1066 Depth=1
	v_ffbh_u32_e32 v4, v10
	v_min_u32_e32 v4, 32, v4
	v_subrev_nc_u32_e32 v20, 28, v4
	v_sub_nc_u32_e32 v4, 29, v4
	v_lshlrev_b64 v[23:24], v20, v[10:11]
	v_and_b32_e32 v23, 7, v23
; %bb.1550:                             ;   in Loop: Header=BB358_1066 Depth=1
	s_or_b32 exec_lo, exec_lo, s21
	v_mov_b32_e32 v10, 24
	v_lshlrev_b32_e32 v20, 20, v23
	v_lshl_add_u32 v4, v4, 23, 0x3c000000
	v_lshlrev_b32_sdwa v10, v10, v18 dst_sel:DWORD dst_unused:UNUSED_PAD src0_sel:DWORD src1_sel:WORD_1
	v_and_b32_e32 v10, 0x80000000, v10
	v_or3_b32 v20, v20, v10, v4
.LBB358_1551:                           ;   in Loop: Header=BB358_1066 Depth=1
	s_or_b32 exec_lo, exec_lo, s20
.LBB358_1552:                           ;   in Loop: Header=BB358_1066 Depth=1
	s_or_b32 exec_lo, exec_lo, s18
.LBB358_1553:                           ;   in Loop: Header=BB358_1066 Depth=1
	s_or_b32 exec_lo, exec_lo, s17
	s_mov_b32 s17, exec_lo
	v_cmpx_lt_u32_e32 0xffffff, v18
	s_cbranch_execz .LBB358_1561
; %bb.1554:                             ;   in Loop: Header=BB358_1066 Depth=1
	v_cmp_ne_u32_sdwa s5, v18, v65 src0_sel:BYTE_3 src1_sel:DWORD
	v_bfrev_b32_e32 v22, 1
	s_and_saveexec_b32 s18, s5
	s_cbranch_execz .LBB358_1560
; %bb.1555:                             ;   in Loop: Header=BB358_1066 Depth=1
	v_bfe_u32 v23, v18, 24, 7
	v_mov_b32_e32 v22, 0x7f800001
	s_mov_b32 s20, exec_lo
	v_cmpx_ne_u32_e32 0x7f, v23
	s_cbranch_execz .LBB358_1559
; %bb.1556:                             ;   in Loop: Header=BB358_1066 Depth=1
	v_mov_b32_e32 v4, 7
	v_cmp_gt_u32_e64 s5, 8, v23
	v_and_b32_sdwa v10, v18, v4 dst_sel:DWORD dst_unused:UNUSED_PAD src0_sel:BYTE_3 src1_sel:DWORD
	v_lshrrev_b32_e32 v4, 3, v23
	v_mov_b32_e32 v24, v11
	v_mov_b32_e32 v23, v10
	s_and_saveexec_b32 s21, s5
; %bb.1557:                             ;   in Loop: Header=BB358_1066 Depth=1
	v_ffbh_u32_e32 v4, v10
	v_min_u32_e32 v4, 32, v4
	v_subrev_nc_u32_e32 v22, 28, v4
	v_sub_nc_u32_e32 v4, 29, v4
	v_lshlrev_b64 v[22:23], v22, v[10:11]
	v_and_b32_e32 v23, 7, v22
; %bb.1558:                             ;   in Loop: Header=BB358_1066 Depth=1
	s_or_b32 exec_lo, exec_lo, s21
	v_mov_b32_e32 v10, 24
	v_lshlrev_b32_e32 v22, 20, v23
	v_lshl_add_u32 v4, v4, 23, 0x3c000000
	v_lshlrev_b32_sdwa v10, v10, v18 dst_sel:DWORD dst_unused:UNUSED_PAD src0_sel:DWORD src1_sel:BYTE_3
	v_and_b32_e32 v10, 0x80000000, v10
	v_or3_b32 v22, v22, v10, v4
.LBB358_1559:                           ;   in Loop: Header=BB358_1066 Depth=1
	s_or_b32 exec_lo, exec_lo, s20
.LBB358_1560:                           ;   in Loop: Header=BB358_1066 Depth=1
	s_or_b32 exec_lo, exec_lo, s18
.LBB358_1561:                           ;   in Loop: Header=BB358_1066 Depth=1
	s_or_b32 exec_lo, exec_lo, s17
	v_mov_b32_e32 v10, v19
	v_cmp_ne_u16_sdwa s5, v19, v11 src0_sel:BYTE_0 src1_sel:DWORD
	v_mov_b32_e32 v4, 0
	v_mov_b32_e32 v25, 0
	s_and_saveexec_b32 s17, s5
	s_cbranch_execz .LBB358_1569
; %bb.1562:                             ;   in Loop: Header=BB358_1066 Depth=1
	v_cmp_ne_u16_sdwa s5, v19, v65 src0_sel:BYTE_0 src1_sel:DWORD
	v_bfrev_b32_e32 v25, 1
	s_and_saveexec_b32 s18, s5
	s_cbranch_execz .LBB358_1568
; %bb.1563:                             ;   in Loop: Header=BB358_1066 Depth=1
	v_and_b32_e32 v23, 0x7f, v19
	v_mov_b32_e32 v25, 0x7f800001
	s_mov_b32 s20, exec_lo
	v_cmpx_ne_u32_e32 0x7f, v23
	s_cbranch_execz .LBB358_1567
; %bb.1564:                             ;   in Loop: Header=BB358_1066 Depth=1
	v_lshrrev_b32_e32 v25, 3, v23
	v_cmp_gt_u32_e64 s5, 8, v23
	v_mov_b32_e32 v24, v11
	v_mov_b32_e32 v23, v10
	s_and_saveexec_b32 s21, s5
; %bb.1565:                             ;   in Loop: Header=BB358_1066 Depth=1
	v_and_b32_e32 v23, 7, v19
	v_ffbh_u32_e32 v23, v23
	v_min_u32_e32 v25, 32, v23
	v_subrev_nc_u32_e32 v23, 28, v25
	v_sub_nc_u32_e32 v25, 29, v25
	v_lshlrev_b64 v[23:24], v23, v[10:11]
; %bb.1566:                             ;   in Loop: Header=BB358_1066 Depth=1
	s_or_b32 exec_lo, exec_lo, s21
	v_lshlrev_b32_e32 v23, 20, v23
	v_lshlrev_b32_e32 v24, 24, v10
	v_lshl_add_u32 v25, v25, 23, 0x3c000000
	v_and_b32_e32 v23, 0x700000, v23
	v_and_b32_e32 v24, 0x80000000, v24
	v_or3_b32 v25, v23, v24, v25
.LBB358_1567:                           ;   in Loop: Header=BB358_1066 Depth=1
	s_or_b32 exec_lo, exec_lo, s20
.LBB358_1568:                           ;   in Loop: Header=BB358_1066 Depth=1
	s_or_b32 exec_lo, exec_lo, s18
.LBB358_1569:                           ;   in Loop: Header=BB358_1066 Depth=1
	s_or_b32 exec_lo, exec_lo, s17
	v_cmp_ne_u16_sdwa s5, v10, v11 src0_sel:BYTE_1 src1_sel:DWORD
	s_and_saveexec_b32 s17, s5
	s_cbranch_execz .LBB358_1577
; %bb.1570:                             ;   in Loop: Header=BB358_1066 Depth=1
	v_cmp_ne_u16_sdwa s5, v10, v65 src0_sel:BYTE_1 src1_sel:DWORD
	v_bfrev_b32_e32 v4, 1
	s_and_saveexec_b32 s18, s5
	s_cbranch_execz .LBB358_1576
; %bb.1571:                             ;   in Loop: Header=BB358_1066 Depth=1
	v_mov_b32_e32 v4, 0xffff
	s_mov_b32 s20, exec_lo
	v_and_b32_sdwa v23, v4, v10 dst_sel:DWORD dst_unused:UNUSED_PAD src0_sel:DWORD src1_sel:BYTE_1
	v_mov_b32_e32 v4, 0x7f800001
	v_and_b32_e32 v26, 0x7f, v23
	v_cmpx_ne_u32_e32 0x7f, v26
	s_cbranch_execz .LBB358_1575
; %bb.1572:                             ;   in Loop: Header=BB358_1066 Depth=1
	v_and_b32_e32 v23, 7, v23
	v_mov_b32_e32 v24, v11
	v_lshrrev_b32_e32 v4, 3, v26
	s_mov_b32 s21, exec_lo
	v_cmpx_gt_u32_e32 8, v26
; %bb.1573:                             ;   in Loop: Header=BB358_1066 Depth=1
	v_ffbh_u32_e32 v4, v23
	v_min_u32_e32 v4, 32, v4
	v_subrev_nc_u32_e32 v26, 28, v4
	v_sub_nc_u32_e32 v4, 29, v4
	v_lshlrev_b64 v[23:24], v26, v[23:24]
	v_and_b32_e32 v23, 7, v23
; %bb.1574:                             ;   in Loop: Header=BB358_1066 Depth=1
	s_or_b32 exec_lo, exec_lo, s21
	v_lshlrev_b32_e32 v10, 16, v10
	v_lshlrev_b32_e32 v23, 20, v23
	v_lshl_add_u32 v4, v4, 23, 0x3c000000
	v_and_b32_e32 v10, 0x80000000, v10
	v_or3_b32 v4, v23, v10, v4
.LBB358_1575:                           ;   in Loop: Header=BB358_1066 Depth=1
	s_or_b32 exec_lo, exec_lo, s20
.LBB358_1576:                           ;   in Loop: Header=BB358_1066 Depth=1
	s_or_b32 exec_lo, exec_lo, s18
.LBB358_1577:                           ;   in Loop: Header=BB358_1066 Depth=1
	s_or_b32 exec_lo, exec_lo, s17
	v_and_b32_sdwa v10, v19, v70 dst_sel:DWORD dst_unused:UNUSED_PAD src0_sel:WORD_1 src1_sel:DWORD
	v_mov_b32_e32 v28, 0
	v_mov_b32_e32 v29, 0
	s_mov_b32 s17, exec_lo
	v_cmpx_ne_u16_e32 0, v10
	s_cbranch_execz .LBB358_1585
; %bb.1578:                             ;   in Loop: Header=BB358_1066 Depth=1
	v_bfrev_b32_e32 v29, 1
	s_mov_b32 s18, exec_lo
	v_cmpx_ne_u16_e32 0x80, v10
	s_cbranch_execz .LBB358_1584
; %bb.1579:                             ;   in Loop: Header=BB358_1066 Depth=1
	v_bfe_u32 v23, v19, 16, 7
	v_mov_b32_e32 v29, 0x7f800001
	s_mov_b32 s20, exec_lo
	v_cmpx_ne_u32_e32 0x7f, v23
	s_cbranch_execz .LBB358_1583
; %bb.1580:                             ;   in Loop: Header=BB358_1066 Depth=1
	v_mov_b32_e32 v10, 7
	v_lshrrev_b32_e32 v26, 3, v23
	v_cmp_gt_u32_e64 s5, 8, v23
	v_and_b32_sdwa v10, v19, v10 dst_sel:DWORD dst_unused:UNUSED_PAD src0_sel:WORD_1 src1_sel:DWORD
	v_mov_b32_e32 v24, v11
	v_mov_b32_e32 v23, v10
	s_and_saveexec_b32 s21, s5
; %bb.1581:                             ;   in Loop: Header=BB358_1066 Depth=1
	v_ffbh_u32_e32 v23, v10
	v_min_u32_e32 v26, 32, v23
	v_subrev_nc_u32_e32 v23, 28, v26
	v_sub_nc_u32_e32 v26, 29, v26
	v_lshlrev_b64 v[23:24], v23, v[10:11]
	v_and_b32_e32 v23, 7, v23
; %bb.1582:                             ;   in Loop: Header=BB358_1066 Depth=1
	s_or_b32 exec_lo, exec_lo, s21
	v_mov_b32_e32 v10, 24
	v_lshlrev_b32_e32 v23, 20, v23
	v_lshl_add_u32 v24, v26, 23, 0x3c000000
	v_lshlrev_b32_sdwa v10, v10, v19 dst_sel:DWORD dst_unused:UNUSED_PAD src0_sel:DWORD src1_sel:WORD_1
	v_and_b32_e32 v10, 0x80000000, v10
	v_or3_b32 v29, v23, v10, v24
.LBB358_1583:                           ;   in Loop: Header=BB358_1066 Depth=1
	s_or_b32 exec_lo, exec_lo, s20
.LBB358_1584:                           ;   in Loop: Header=BB358_1066 Depth=1
	s_or_b32 exec_lo, exec_lo, s18
.LBB358_1585:                           ;   in Loop: Header=BB358_1066 Depth=1
	s_or_b32 exec_lo, exec_lo, s17
	s_mov_b32 s17, exec_lo
	v_cmpx_lt_u64_e64 s[12:13], v[18:19]
	s_cbranch_execz .LBB358_1593
; %bb.1586:                             ;   in Loop: Header=BB358_1066 Depth=1
	v_cmp_ne_u32_sdwa s5, v19, v65 src0_sel:BYTE_3 src1_sel:DWORD
	v_bfrev_b32_e32 v28, 1
	s_and_saveexec_b32 s18, s5
	s_cbranch_execz .LBB358_1592
; %bb.1587:                             ;   in Loop: Header=BB358_1066 Depth=1
	v_bfe_u32 v23, v19, 24, 7
	v_mov_b32_e32 v28, 0x7f800001
	s_mov_b32 s20, exec_lo
	v_cmpx_ne_u32_e32 0x7f, v23
	s_cbranch_execz .LBB358_1591
; %bb.1588:                             ;   in Loop: Header=BB358_1066 Depth=1
	v_mov_b32_e32 v10, 7
	v_lshrrev_b32_e32 v18, 3, v23
	v_cmp_gt_u32_e64 s5, 8, v23
	v_and_b32_sdwa v10, v19, v10 dst_sel:DWORD dst_unused:UNUSED_PAD src0_sel:BYTE_3 src1_sel:DWORD
	v_mov_b32_e32 v24, v11
	v_mov_b32_e32 v23, v10
	s_and_saveexec_b32 s21, s5
; %bb.1589:                             ;   in Loop: Header=BB358_1066 Depth=1
	v_ffbh_u32_e32 v18, v10
	v_min_u32_e32 v18, 32, v18
	v_subrev_nc_u32_e32 v23, 28, v18
	v_sub_nc_u32_e32 v18, 29, v18
	v_lshlrev_b64 v[23:24], v23, v[10:11]
	v_and_b32_e32 v23, 7, v23
; %bb.1590:                             ;   in Loop: Header=BB358_1066 Depth=1
	s_or_b32 exec_lo, exec_lo, s21
	v_mov_b32_e32 v10, 24
	v_lshl_add_u32 v18, v18, 23, 0x3c000000
	v_lshlrev_b32_sdwa v10, v10, v19 dst_sel:DWORD dst_unused:UNUSED_PAD src0_sel:DWORD src1_sel:BYTE_3
	v_lshlrev_b32_e32 v19, 20, v23
	v_and_b32_e32 v10, 0x80000000, v10
	v_or3_b32 v28, v19, v10, v18
.LBB358_1591:                           ;   in Loop: Header=BB358_1066 Depth=1
	s_or_b32 exec_lo, exec_lo, s20
.LBB358_1592:                           ;   in Loop: Header=BB358_1066 Depth=1
	s_or_b32 exec_lo, exec_lo, s18
.LBB358_1593:                           ;   in Loop: Header=BB358_1066 Depth=1
	s_or_b32 exec_lo, exec_lo, s17
	v_mul_f32_e32 v4, v58, v4
	v_bfe_u32 v10, v4, 16, 1
	v_or_b32_e32 v18, 0x400000, v4
	v_cmp_u_f32_e64 s5, v4, v4
	v_add3_u32 v10, v10, v4, 0x7fff
	v_cndmask_b32_e64 v4, v10, v18, s5
	v_mul_f32_e32 v10, v58, v25
	v_lshrrev_b32_e32 v4, 16, v4
	v_bfe_u32 v18, v10, 16, 1
	v_or_b32_e32 v19, 0x400000, v10
	v_cmp_u_f32_e64 s5, v10, v10
	v_add3_u32 v18, v18, v10, 0x7fff
	v_cndmask_b32_e64 v10, v18, v19, s5
	v_lshrrev_b32_e32 v87, 16, v10
	v_mul_f32_e32 v10, v58, v22
	v_bfe_u32 v18, v10, 16, 1
	v_or_b32_e32 v19, 0x400000, v10
	v_cmp_u_f32_e64 s5, v10, v10
	v_add3_u32 v18, v18, v10, 0x7fff
	v_cndmask_b32_e64 v10, v18, v19, s5
	v_lshrrev_b32_e32 v25, 16, v10
	v_mul_f32_e32 v10, v58, v20
	v_bfe_u32 v18, v10, 16, 1
	v_or_b32_e32 v19, 0x400000, v10
	v_cmp_u_f32_e64 s5, v10, v10
	v_add3_u32 v18, v18, v10, 0x7fff
	v_cndmask_b32_e64 v10, v18, v19, s5
	v_lshrrev_b32_e32 v86, 16, v10
	v_mul_f32_e32 v10, v58, v13
	v_bfe_u32 v13, v10, 16, 1
	v_or_b32_e32 v18, 0x400000, v10
	v_cmp_u_f32_e64 s5, v10, v10
	v_add3_u32 v13, v13, v10, 0x7fff
	v_cndmask_b32_e64 v10, v13, v18, s5
	v_lshrrev_b32_e32 v27, 16, v10
	v_mul_f32_e32 v10, v58, v12
	v_bfe_u32 v12, v10, 16, 1
	v_or_b32_e32 v13, 0x400000, v10
	v_cmp_u_f32_e64 s5, v10, v10
	v_add3_u32 v12, v12, v10, 0x7fff
	v_cndmask_b32_e64 v10, v12, v13, s5
	v_lshrrev_b32_e32 v26, 16, v10
	v_mul_f32_e32 v10, v58, v29
	v_bfe_u32 v12, v10, 16, 1
	v_or_b32_e32 v13, 0x400000, v10
	v_cmp_u_f32_e64 s5, v10, v10
	v_add3_u32 v12, v12, v10, 0x7fff
	v_cndmask_b32_e64 v10, v12, v13, s5
	v_lshrrev_b32_e32 v55, 16, v10
	v_mul_f32_e32 v10, v58, v28
	v_bfe_u32 v12, v10, 16, 1
	v_or_b32_e32 v13, 0x400000, v10
	v_cmp_u_f32_e64 s5, v10, v10
	v_add3_u32 v12, v12, v10, 0x7fff
	v_cndmask_b32_e64 v10, v12, v13, s5
	v_lshrrev_b32_e32 v68, 16, v10
	s_and_saveexec_b32 s17, vcc_lo
	s_cbranch_execz .LBB358_1595
; %bb.1594:                             ;   in Loop: Header=BB358_1066 Depth=1
	v_cmp_lt_i32_e64 s5, v75, v96
	v_cndmask_b32_e64 v26, 0, v26, s5
	v_cmp_lt_i32_e64 s5, v90, v96
	v_cndmask_b32_e64 v27, 0, v27, s5
	;; [unrolled: 2-line block ×8, first 2 shown]
.LBB358_1595:                           ;   in Loop: Header=BB358_1066 Depth=1
	s_or_b32 exec_lo, exec_lo, s17
	v_add_co_u32 v16, s5, 0x800, v16
	v_add_co_ci_u32_e64 v17, null, 0, v17, s5
	v_mov_b32_e32 v28, 0
	v_mov_b32_e32 v22, 0
	flat_load_dwordx2 v[18:19], v[16:17]
	s_waitcnt vmcnt(0) lgkmcnt(0)
	v_cmp_ne_u16_sdwa s5, v18, v11 src0_sel:BYTE_0 src1_sel:DWORD
	s_and_saveexec_b32 s17, s5
	s_cbranch_execz .LBB358_1603
; %bb.1596:                             ;   in Loop: Header=BB358_1066 Depth=1
	v_cmp_ne_u16_sdwa s5, v18, v65 src0_sel:BYTE_0 src1_sel:DWORD
	v_bfrev_b32_e32 v22, 1
	s_and_saveexec_b32 s18, s5
	s_cbranch_execz .LBB358_1602
; %bb.1597:                             ;   in Loop: Header=BB358_1066 Depth=1
	v_and_b32_e32 v12, 0x7f, v18
	v_mov_b32_e32 v22, 0x7f800001
	s_mov_b32 s20, exec_lo
	v_cmpx_ne_u32_e32 0x7f, v12
	s_cbranch_execz .LBB358_1601
; %bb.1598:                             ;   in Loop: Header=BB358_1066 Depth=1
	v_mov_b32_e32 v24, v19
	v_lshrrev_b32_e32 v10, 3, v12
	v_mov_b32_e32 v23, v18
	s_mov_b32 s21, exec_lo
	v_cmpx_gt_u32_e32 8, v12
; %bb.1599:                             ;   in Loop: Header=BB358_1066 Depth=1
	v_and_b32_e32 v10, 7, v18
	v_ffbh_u32_e32 v10, v10
	v_min_u32_e32 v10, 32, v10
	v_subrev_nc_u32_e32 v12, 28, v10
	v_sub_nc_u32_e32 v10, 29, v10
	v_lshlrev_b64 v[23:24], v12, v[18:19]
; %bb.1600:                             ;   in Loop: Header=BB358_1066 Depth=1
	s_or_b32 exec_lo, exec_lo, s21
	v_lshlrev_b32_e32 v12, 20, v23
	v_lshlrev_b32_e32 v13, 24, v18
	v_lshl_add_u32 v10, v10, 23, 0x3c000000
	v_and_b32_e32 v12, 0x700000, v12
	v_and_b32_e32 v13, 0x80000000, v13
	v_or3_b32 v22, v12, v13, v10
.LBB358_1601:                           ;   in Loop: Header=BB358_1066 Depth=1
	s_or_b32 exec_lo, exec_lo, s20
.LBB358_1602:                           ;   in Loop: Header=BB358_1066 Depth=1
	s_or_b32 exec_lo, exec_lo, s18
.LBB358_1603:                           ;   in Loop: Header=BB358_1066 Depth=1
	s_or_b32 exec_lo, exec_lo, s17
	v_cmp_ne_u16_sdwa s5, v18, v11 src0_sel:BYTE_1 src1_sel:DWORD
	s_and_saveexec_b32 s17, s5
	s_cbranch_execz .LBB358_1611
; %bb.1604:                             ;   in Loop: Header=BB358_1066 Depth=1
	v_cmp_ne_u16_sdwa s5, v18, v65 src0_sel:BYTE_1 src1_sel:DWORD
	v_bfrev_b32_e32 v28, 1
	s_and_saveexec_b32 s18, s5
	s_cbranch_execz .LBB358_1610
; %bb.1605:                             ;   in Loop: Header=BB358_1066 Depth=1
	v_mov_b32_e32 v10, 0xffff
	v_mov_b32_e32 v28, 0x7f800001
	s_mov_b32 s20, exec_lo
	v_and_b32_sdwa v10, v10, v18 dst_sel:DWORD dst_unused:UNUSED_PAD src0_sel:DWORD src1_sel:BYTE_1
	v_and_b32_e32 v13, 0x7f, v10
	v_cmpx_ne_u32_e32 0x7f, v13
	s_cbranch_execz .LBB358_1609
; %bb.1606:                             ;   in Loop: Header=BB358_1066 Depth=1
	v_and_b32_e32 v10, 7, v10
	v_mov_b32_e32 v24, v11
	v_lshrrev_b32_e32 v12, 3, v13
	s_mov_b32 s21, exec_lo
	v_mov_b32_e32 v23, v10
	v_cmpx_gt_u32_e32 8, v13
; %bb.1607:                             ;   in Loop: Header=BB358_1066 Depth=1
	v_ffbh_u32_e32 v12, v10
	v_min_u32_e32 v12, 32, v12
	v_subrev_nc_u32_e32 v13, 28, v12
	v_sub_nc_u32_e32 v12, 29, v12
	v_lshlrev_b64 v[23:24], v13, v[10:11]
	v_and_b32_e32 v23, 7, v23
; %bb.1608:                             ;   in Loop: Header=BB358_1066 Depth=1
	s_or_b32 exec_lo, exec_lo, s21
	v_lshlrev_b32_e32 v10, 16, v18
	v_lshlrev_b32_e32 v13, 20, v23
	v_lshl_add_u32 v12, v12, 23, 0x3c000000
	v_and_b32_e32 v10, 0x80000000, v10
	v_or3_b32 v28, v13, v10, v12
.LBB358_1609:                           ;   in Loop: Header=BB358_1066 Depth=1
	s_or_b32 exec_lo, exec_lo, s20
.LBB358_1610:                           ;   in Loop: Header=BB358_1066 Depth=1
	s_or_b32 exec_lo, exec_lo, s18
.LBB358_1611:                           ;   in Loop: Header=BB358_1066 Depth=1
	s_or_b32 exec_lo, exec_lo, s17
	v_and_b32_sdwa v10, v18, v70 dst_sel:DWORD dst_unused:UNUSED_PAD src0_sel:WORD_1 src1_sel:DWORD
	v_mov_b32_e32 v20, 0
	v_mov_b32_e32 v29, 0
	s_mov_b32 s17, exec_lo
	v_cmpx_ne_u16_e32 0, v10
	s_cbranch_execz .LBB358_1619
; %bb.1612:                             ;   in Loop: Header=BB358_1066 Depth=1
	v_bfrev_b32_e32 v29, 1
	s_mov_b32 s18, exec_lo
	v_cmpx_ne_u16_e32 0x80, v10
	s_cbranch_execz .LBB358_1618
; %bb.1613:                             ;   in Loop: Header=BB358_1066 Depth=1
	v_bfe_u32 v13, v18, 16, 7
	v_mov_b32_e32 v29, 0x7f800001
	s_mov_b32 s20, exec_lo
	v_cmpx_ne_u32_e32 0x7f, v13
	s_cbranch_execz .LBB358_1617
; %bb.1614:                             ;   in Loop: Header=BB358_1066 Depth=1
	v_mov_b32_e32 v10, 7
	v_lshrrev_b32_e32 v12, 3, v13
	s_mov_b32 s21, exec_lo
	v_and_b32_sdwa v10, v18, v10 dst_sel:DWORD dst_unused:UNUSED_PAD src0_sel:WORD_1 src1_sel:DWORD
	v_mov_b32_e32 v24, v11
	v_mov_b32_e32 v23, v10
	v_cmpx_gt_u32_e32 8, v13
; %bb.1615:                             ;   in Loop: Header=BB358_1066 Depth=1
	v_ffbh_u32_e32 v12, v10
	v_min_u32_e32 v12, 32, v12
	v_subrev_nc_u32_e32 v13, 28, v12
	v_sub_nc_u32_e32 v12, 29, v12
	v_lshlrev_b64 v[23:24], v13, v[10:11]
	v_and_b32_e32 v23, 7, v23
; %bb.1616:                             ;   in Loop: Header=BB358_1066 Depth=1
	s_or_b32 exec_lo, exec_lo, s21
	v_mov_b32_e32 v10, 24
	v_lshlrev_b32_e32 v13, 20, v23
	v_lshl_add_u32 v12, v12, 23, 0x3c000000
	v_lshlrev_b32_sdwa v10, v10, v18 dst_sel:DWORD dst_unused:UNUSED_PAD src0_sel:DWORD src1_sel:WORD_1
	v_and_b32_e32 v10, 0x80000000, v10
	v_or3_b32 v29, v13, v10, v12
.LBB358_1617:                           ;   in Loop: Header=BB358_1066 Depth=1
	s_or_b32 exec_lo, exec_lo, s20
.LBB358_1618:                           ;   in Loop: Header=BB358_1066 Depth=1
	s_or_b32 exec_lo, exec_lo, s18
.LBB358_1619:                           ;   in Loop: Header=BB358_1066 Depth=1
	s_or_b32 exec_lo, exec_lo, s17
	s_mov_b32 s17, exec_lo
	v_cmpx_lt_u32_e32 0xffffff, v18
	s_cbranch_execz .LBB358_1627
; %bb.1620:                             ;   in Loop: Header=BB358_1066 Depth=1
	v_cmp_ne_u32_sdwa s5, v18, v65 src0_sel:BYTE_3 src1_sel:DWORD
	v_bfrev_b32_e32 v20, 1
	s_and_saveexec_b32 s18, s5
	s_cbranch_execz .LBB358_1626
; %bb.1621:                             ;   in Loop: Header=BB358_1066 Depth=1
	v_bfe_u32 v13, v18, 24, 7
	v_mov_b32_e32 v20, 0x7f800001
	s_mov_b32 s20, exec_lo
	v_cmpx_ne_u32_e32 0x7f, v13
	s_cbranch_execz .LBB358_1625
; %bb.1622:                             ;   in Loop: Header=BB358_1066 Depth=1
	v_mov_b32_e32 v10, 7
	v_lshrrev_b32_e32 v12, 3, v13
	s_mov_b32 s21, exec_lo
	v_and_b32_sdwa v10, v18, v10 dst_sel:DWORD dst_unused:UNUSED_PAD src0_sel:BYTE_3 src1_sel:DWORD
	v_mov_b32_e32 v24, v11
	v_mov_b32_e32 v23, v10
	v_cmpx_gt_u32_e32 8, v13
; %bb.1623:                             ;   in Loop: Header=BB358_1066 Depth=1
	v_ffbh_u32_e32 v12, v10
	v_min_u32_e32 v12, 32, v12
	v_subrev_nc_u32_e32 v13, 28, v12
	v_sub_nc_u32_e32 v12, 29, v12
	v_lshlrev_b64 v[23:24], v13, v[10:11]
	v_and_b32_e32 v23, 7, v23
; %bb.1624:                             ;   in Loop: Header=BB358_1066 Depth=1
	s_or_b32 exec_lo, exec_lo, s21
	v_mov_b32_e32 v10, 24
	v_lshlrev_b32_e32 v13, 20, v23
	v_lshl_add_u32 v12, v12, 23, 0x3c000000
	v_lshlrev_b32_sdwa v10, v10, v18 dst_sel:DWORD dst_unused:UNUSED_PAD src0_sel:DWORD src1_sel:BYTE_3
	v_and_b32_e32 v10, 0x80000000, v10
	v_or3_b32 v20, v13, v10, v12
.LBB358_1625:                           ;   in Loop: Header=BB358_1066 Depth=1
	s_or_b32 exec_lo, exec_lo, s20
.LBB358_1626:                           ;   in Loop: Header=BB358_1066 Depth=1
	s_or_b32 exec_lo, exec_lo, s18
.LBB358_1627:                           ;   in Loop: Header=BB358_1066 Depth=1
	s_or_b32 exec_lo, exec_lo, s17
	v_mov_b32_e32 v10, v19
	v_cmp_ne_u16_sdwa s5, v19, v11 src0_sel:BYTE_0 src1_sel:DWORD
	v_mov_b32_e32 v12, 0
	v_mov_b32_e32 v13, 0
	s_and_saveexec_b32 s17, s5
	s_cbranch_execz .LBB358_1635
; %bb.1628:                             ;   in Loop: Header=BB358_1066 Depth=1
	v_cmp_ne_u16_sdwa s5, v19, v65 src0_sel:BYTE_0 src1_sel:DWORD
	v_bfrev_b32_e32 v13, 1
	s_and_saveexec_b32 s18, s5
	s_cbranch_execz .LBB358_1634
; %bb.1629:                             ;   in Loop: Header=BB358_1066 Depth=1
	v_and_b32_e32 v23, 0x7f, v19
	v_mov_b32_e32 v13, 0x7f800001
	s_mov_b32 s20, exec_lo
	v_cmpx_ne_u32_e32 0x7f, v23
	s_cbranch_execz .LBB358_1633
; %bb.1630:                             ;   in Loop: Header=BB358_1066 Depth=1
	v_lshrrev_b32_e32 v13, 3, v23
	v_cmp_gt_u32_e64 s5, 8, v23
	v_mov_b32_e32 v24, v11
	v_mov_b32_e32 v23, v10
	s_and_saveexec_b32 s21, s5
; %bb.1631:                             ;   in Loop: Header=BB358_1066 Depth=1
	v_and_b32_e32 v13, 7, v19
	v_ffbh_u32_e32 v13, v13
	v_min_u32_e32 v13, 32, v13
	v_subrev_nc_u32_e32 v23, 28, v13
	v_sub_nc_u32_e32 v13, 29, v13
	v_lshlrev_b64 v[23:24], v23, v[10:11]
; %bb.1632:                             ;   in Loop: Header=BB358_1066 Depth=1
	s_or_b32 exec_lo, exec_lo, s21
	v_lshlrev_b32_e32 v23, 20, v23
	v_lshlrev_b32_e32 v24, 24, v10
	v_lshl_add_u32 v13, v13, 23, 0x3c000000
	v_and_b32_e32 v23, 0x700000, v23
	v_and_b32_e32 v24, 0x80000000, v24
	v_or3_b32 v13, v23, v24, v13
.LBB358_1633:                           ;   in Loop: Header=BB358_1066 Depth=1
	s_or_b32 exec_lo, exec_lo, s20
.LBB358_1634:                           ;   in Loop: Header=BB358_1066 Depth=1
	s_or_b32 exec_lo, exec_lo, s18
.LBB358_1635:                           ;   in Loop: Header=BB358_1066 Depth=1
	s_or_b32 exec_lo, exec_lo, s17
	v_cmp_ne_u16_sdwa s5, v10, v11 src0_sel:BYTE_1 src1_sel:DWORD
	s_and_saveexec_b32 s17, s5
	s_cbranch_execz .LBB358_1643
; %bb.1636:                             ;   in Loop: Header=BB358_1066 Depth=1
	v_cmp_ne_u16_sdwa s5, v10, v65 src0_sel:BYTE_1 src1_sel:DWORD
	v_bfrev_b32_e32 v12, 1
	s_and_saveexec_b32 s18, s5
	s_cbranch_execz .LBB358_1642
; %bb.1637:                             ;   in Loop: Header=BB358_1066 Depth=1
	v_mov_b32_e32 v12, 0xffff
	s_mov_b32 s20, exec_lo
	v_and_b32_sdwa v23, v12, v10 dst_sel:DWORD dst_unused:UNUSED_PAD src0_sel:DWORD src1_sel:BYTE_1
	v_mov_b32_e32 v12, 0x7f800001
	v_and_b32_e32 v31, 0x7f, v23
	v_cmpx_ne_u32_e32 0x7f, v31
	s_cbranch_execz .LBB358_1641
; %bb.1638:                             ;   in Loop: Header=BB358_1066 Depth=1
	v_and_b32_e32 v23, 7, v23
	v_mov_b32_e32 v24, v11
	v_lshrrev_b32_e32 v12, 3, v31
	s_mov_b32 s21, exec_lo
	v_cmpx_gt_u32_e32 8, v31
; %bb.1639:                             ;   in Loop: Header=BB358_1066 Depth=1
	v_ffbh_u32_e32 v12, v23
	v_min_u32_e32 v12, 32, v12
	v_subrev_nc_u32_e32 v31, 28, v12
	v_sub_nc_u32_e32 v12, 29, v12
	v_lshlrev_b64 v[23:24], v31, v[23:24]
	v_and_b32_e32 v23, 7, v23
; %bb.1640:                             ;   in Loop: Header=BB358_1066 Depth=1
	s_or_b32 exec_lo, exec_lo, s21
	v_lshlrev_b32_e32 v10, 16, v10
	v_lshlrev_b32_e32 v23, 20, v23
	v_lshl_add_u32 v12, v12, 23, 0x3c000000
	v_and_b32_e32 v10, 0x80000000, v10
	v_or3_b32 v12, v23, v10, v12
.LBB358_1641:                           ;   in Loop: Header=BB358_1066 Depth=1
	s_or_b32 exec_lo, exec_lo, s20
.LBB358_1642:                           ;   in Loop: Header=BB358_1066 Depth=1
	s_or_b32 exec_lo, exec_lo, s18
.LBB358_1643:                           ;   in Loop: Header=BB358_1066 Depth=1
	s_or_b32 exec_lo, exec_lo, s17
	v_and_b32_sdwa v10, v19, v70 dst_sel:DWORD dst_unused:UNUSED_PAD src0_sel:WORD_1 src1_sel:DWORD
	v_mov_b32_e32 v31, 0
	v_mov_b32_e32 v32, 0
	s_mov_b32 s17, exec_lo
	v_cmpx_ne_u16_e32 0, v10
	s_cbranch_execz .LBB358_1651
; %bb.1644:                             ;   in Loop: Header=BB358_1066 Depth=1
	v_bfrev_b32_e32 v32, 1
	s_mov_b32 s18, exec_lo
	v_cmpx_ne_u16_e32 0x80, v10
	s_cbranch_execz .LBB358_1650
; %bb.1645:                             ;   in Loop: Header=BB358_1066 Depth=1
	v_bfe_u32 v23, v19, 16, 7
	v_mov_b32_e32 v32, 0x7f800001
	s_mov_b32 s20, exec_lo
	v_cmpx_ne_u32_e32 0x7f, v23
	s_cbranch_execz .LBB358_1649
; %bb.1646:                             ;   in Loop: Header=BB358_1066 Depth=1
	v_mov_b32_e32 v10, 7
	v_lshrrev_b32_e32 v32, 3, v23
	v_cmp_gt_u32_e64 s5, 8, v23
	v_and_b32_sdwa v10, v19, v10 dst_sel:DWORD dst_unused:UNUSED_PAD src0_sel:WORD_1 src1_sel:DWORD
	v_mov_b32_e32 v24, v11
	v_mov_b32_e32 v23, v10
	s_and_saveexec_b32 s21, s5
; %bb.1647:                             ;   in Loop: Header=BB358_1066 Depth=1
	v_ffbh_u32_e32 v23, v10
	v_min_u32_e32 v32, 32, v23
	v_subrev_nc_u32_e32 v23, 28, v32
	v_sub_nc_u32_e32 v32, 29, v32
	v_lshlrev_b64 v[23:24], v23, v[10:11]
	v_and_b32_e32 v23, 7, v23
; %bb.1648:                             ;   in Loop: Header=BB358_1066 Depth=1
	s_or_b32 exec_lo, exec_lo, s21
	v_mov_b32_e32 v10, 24
	v_lshlrev_b32_e32 v23, 20, v23
	v_lshl_add_u32 v24, v32, 23, 0x3c000000
	v_lshlrev_b32_sdwa v10, v10, v19 dst_sel:DWORD dst_unused:UNUSED_PAD src0_sel:DWORD src1_sel:WORD_1
	v_and_b32_e32 v10, 0x80000000, v10
	v_or3_b32 v32, v23, v10, v24
.LBB358_1649:                           ;   in Loop: Header=BB358_1066 Depth=1
	s_or_b32 exec_lo, exec_lo, s20
.LBB358_1650:                           ;   in Loop: Header=BB358_1066 Depth=1
	s_or_b32 exec_lo, exec_lo, s18
.LBB358_1651:                           ;   in Loop: Header=BB358_1066 Depth=1
	s_or_b32 exec_lo, exec_lo, s17
	s_mov_b32 s17, exec_lo
	v_cmpx_lt_u64_e64 s[12:13], v[18:19]
	s_cbranch_execz .LBB358_1659
; %bb.1652:                             ;   in Loop: Header=BB358_1066 Depth=1
	v_cmp_ne_u32_sdwa s5, v19, v65 src0_sel:BYTE_3 src1_sel:DWORD
	v_bfrev_b32_e32 v31, 1
	s_and_saveexec_b32 s18, s5
	s_cbranch_execz .LBB358_1658
; %bb.1653:                             ;   in Loop: Header=BB358_1066 Depth=1
	v_bfe_u32 v23, v19, 24, 7
	v_mov_b32_e32 v31, 0x7f800001
	s_mov_b32 s20, exec_lo
	v_cmpx_ne_u32_e32 0x7f, v23
	s_cbranch_execz .LBB358_1657
; %bb.1654:                             ;   in Loop: Header=BB358_1066 Depth=1
	v_mov_b32_e32 v10, 7
	v_lshrrev_b32_e32 v18, 3, v23
	v_cmp_gt_u32_e64 s5, 8, v23
	v_and_b32_sdwa v10, v19, v10 dst_sel:DWORD dst_unused:UNUSED_PAD src0_sel:BYTE_3 src1_sel:DWORD
	v_mov_b32_e32 v24, v11
	v_mov_b32_e32 v23, v10
	s_and_saveexec_b32 s21, s5
; %bb.1655:                             ;   in Loop: Header=BB358_1066 Depth=1
	v_ffbh_u32_e32 v18, v10
	v_min_u32_e32 v18, 32, v18
	v_subrev_nc_u32_e32 v23, 28, v18
	v_sub_nc_u32_e32 v18, 29, v18
	v_lshlrev_b64 v[23:24], v23, v[10:11]
	v_and_b32_e32 v23, 7, v23
; %bb.1656:                             ;   in Loop: Header=BB358_1066 Depth=1
	s_or_b32 exec_lo, exec_lo, s21
	v_mov_b32_e32 v10, 24
	v_lshl_add_u32 v18, v18, 23, 0x3c000000
	v_lshlrev_b32_sdwa v10, v10, v19 dst_sel:DWORD dst_unused:UNUSED_PAD src0_sel:DWORD src1_sel:BYTE_3
	v_lshlrev_b32_e32 v19, 20, v23
	v_and_b32_e32 v10, 0x80000000, v10
	v_or3_b32 v31, v19, v10, v18
.LBB358_1657:                           ;   in Loop: Header=BB358_1066 Depth=1
	s_or_b32 exec_lo, exec_lo, s20
.LBB358_1658:                           ;   in Loop: Header=BB358_1066 Depth=1
	s_or_b32 exec_lo, exec_lo, s18
.LBB358_1659:                           ;   in Loop: Header=BB358_1066 Depth=1
	s_or_b32 exec_lo, exec_lo, s17
	v_mul_f32_e32 v10, v58, v12
	v_bfe_u32 v12, v10, 16, 1
	v_or_b32_e32 v18, 0x400000, v10
	v_cmp_u_f32_e64 s5, v10, v10
	v_add3_u32 v12, v12, v10, 0x7fff
	v_cndmask_b32_e64 v10, v12, v18, s5
	v_lshrrev_b32_e32 v12, 16, v10
	v_mul_f32_e32 v10, v58, v13
	v_bfe_u32 v13, v10, 16, 1
	v_or_b32_e32 v18, 0x400000, v10
	v_cmp_u_f32_e64 s5, v10, v10
	v_add3_u32 v13, v13, v10, 0x7fff
	v_cndmask_b32_e64 v10, v13, v18, s5
	v_lshrrev_b32_e32 v13, 16, v10
	v_mul_f32_e32 v10, v58, v20
	v_bfe_u32 v18, v10, 16, 1
	v_or_b32_e32 v19, 0x400000, v10
	v_cmp_u_f32_e64 s5, v10, v10
	v_add3_u32 v18, v18, v10, 0x7fff
	v_cndmask_b32_e64 v10, v18, v19, s5
	v_lshrrev_b32_e32 v20, 16, v10
	v_mul_f32_e32 v10, v58, v29
	v_bfe_u32 v18, v10, 16, 1
	v_or_b32_e32 v19, 0x400000, v10
	v_cmp_u_f32_e64 s5, v10, v10
	v_add3_u32 v18, v18, v10, 0x7fff
	v_cndmask_b32_e64 v10, v18, v19, s5
	v_lshrrev_b32_e32 v102, 16, v10
	v_mul_f32_e32 v10, v58, v28
	v_bfe_u32 v18, v10, 16, 1
	v_or_b32_e32 v19, 0x400000, v10
	v_cmp_u_f32_e64 s5, v10, v10
	v_add3_u32 v18, v18, v10, 0x7fff
	v_cndmask_b32_e64 v10, v18, v19, s5
	v_lshrrev_b32_e32 v67, 16, v10
	v_mul_f32_e32 v10, v58, v22
	v_bfe_u32 v18, v10, 16, 1
	v_or_b32_e32 v19, 0x400000, v10
	v_cmp_u_f32_e64 s5, v10, v10
	v_add3_u32 v18, v18, v10, 0x7fff
	v_cndmask_b32_e64 v10, v18, v19, s5
	v_lshrrev_b32_e32 v98, 16, v10
	v_mul_f32_e32 v10, v58, v32
	v_bfe_u32 v18, v10, 16, 1
	v_or_b32_e32 v19, 0x400000, v10
	v_cmp_u_f32_e64 s5, v10, v10
	v_add3_u32 v18, v18, v10, 0x7fff
	v_cndmask_b32_e64 v10, v18, v19, s5
	v_lshrrev_b32_e32 v22, 16, v10
	v_mul_f32_e32 v10, v58, v31
	v_bfe_u32 v18, v10, 16, 1
	v_or_b32_e32 v19, 0x400000, v10
	v_cmp_u_f32_e64 s5, v10, v10
	v_add3_u32 v18, v18, v10, 0x7fff
	v_cndmask_b32_e64 v10, v18, v19, s5
	v_lshrrev_b32_e32 v99, 16, v10
	s_and_saveexec_b32 s17, vcc_lo
	s_cbranch_execz .LBB358_1661
; %bb.1660:                             ;   in Loop: Header=BB358_1066 Depth=1
	v_cmp_lt_i32_e64 s5, v75, v96
	v_cndmask_b32_e64 v98, 0, v98, s5
	v_cmp_lt_i32_e64 s5, v90, v96
	v_cndmask_b32_e64 v67, 0, v67, s5
	;; [unrolled: 2-line block ×8, first 2 shown]
.LBB358_1661:                           ;   in Loop: Header=BB358_1066 Depth=1
	s_or_b32 exec_lo, exec_lo, s17
	flat_load_dwordx2 v[18:19], v[16:17] offset:256
	v_mov_b32_e32 v33, 0
	v_mov_b32_e32 v28, 0
	s_waitcnt vmcnt(0) lgkmcnt(0)
	v_cmp_ne_u16_sdwa s5, v18, v11 src0_sel:BYTE_0 src1_sel:DWORD
	s_and_saveexec_b32 s17, s5
	s_cbranch_execz .LBB358_1669
; %bb.1662:                             ;   in Loop: Header=BB358_1066 Depth=1
	v_cmp_ne_u16_sdwa s5, v18, v65 src0_sel:BYTE_0 src1_sel:DWORD
	v_bfrev_b32_e32 v28, 1
	s_and_saveexec_b32 s18, s5
	s_cbranch_execz .LBB358_1668
; %bb.1663:                             ;   in Loop: Header=BB358_1066 Depth=1
	v_and_b32_e32 v23, 0x7f, v18
	v_mov_b32_e32 v28, 0x7f800001
	s_mov_b32 s20, exec_lo
	v_cmpx_ne_u32_e32 0x7f, v23
	s_cbranch_execz .LBB358_1667
; %bb.1664:                             ;   in Loop: Header=BB358_1066 Depth=1
	v_lshrrev_b32_e32 v10, 3, v23
	v_cmp_gt_u32_e64 s5, 8, v23
	v_mov_b32_e32 v24, v19
	v_mov_b32_e32 v23, v18
	s_and_saveexec_b32 s21, s5
; %bb.1665:                             ;   in Loop: Header=BB358_1066 Depth=1
	v_and_b32_e32 v10, 7, v18
	v_ffbh_u32_e32 v10, v10
	v_min_u32_e32 v10, 32, v10
	v_subrev_nc_u32_e32 v23, 28, v10
	v_sub_nc_u32_e32 v10, 29, v10
	v_lshlrev_b64 v[23:24], v23, v[18:19]
; %bb.1666:                             ;   in Loop: Header=BB358_1066 Depth=1
	s_or_b32 exec_lo, exec_lo, s21
	v_lshlrev_b32_e32 v23, 20, v23
	v_lshlrev_b32_e32 v24, 24, v18
	v_lshl_add_u32 v10, v10, 23, 0x3c000000
	v_and_b32_e32 v23, 0x700000, v23
	v_and_b32_e32 v24, 0x80000000, v24
	v_or3_b32 v28, v23, v24, v10
.LBB358_1667:                           ;   in Loop: Header=BB358_1066 Depth=1
	s_or_b32 exec_lo, exec_lo, s20
.LBB358_1668:                           ;   in Loop: Header=BB358_1066 Depth=1
	s_or_b32 exec_lo, exec_lo, s18
.LBB358_1669:                           ;   in Loop: Header=BB358_1066 Depth=1
	s_or_b32 exec_lo, exec_lo, s17
	v_cmp_ne_u16_sdwa s5, v18, v11 src0_sel:BYTE_1 src1_sel:DWORD
	s_and_saveexec_b32 s17, s5
	s_cbranch_execz .LBB358_1677
; %bb.1670:                             ;   in Loop: Header=BB358_1066 Depth=1
	v_cmp_ne_u16_sdwa s5, v18, v65 src0_sel:BYTE_1 src1_sel:DWORD
	v_bfrev_b32_e32 v33, 1
	s_and_saveexec_b32 s18, s5
	s_cbranch_execz .LBB358_1676
; %bb.1671:                             ;   in Loop: Header=BB358_1066 Depth=1
	v_mov_b32_e32 v10, 0xffff
	v_mov_b32_e32 v33, 0x7f800001
	s_mov_b32 s20, exec_lo
	v_and_b32_sdwa v10, v10, v18 dst_sel:DWORD dst_unused:UNUSED_PAD src0_sel:DWORD src1_sel:BYTE_1
	v_and_b32_e32 v23, 0x7f, v10
	v_cmpx_ne_u32_e32 0x7f, v23
	s_cbranch_execz .LBB358_1675
; %bb.1672:                             ;   in Loop: Header=BB358_1066 Depth=1
	v_and_b32_e32 v10, 7, v10
	v_lshrrev_b32_e32 v29, 3, v23
	v_cmp_gt_u32_e64 s5, 8, v23
	v_mov_b32_e32 v24, v11
	v_mov_b32_e32 v23, v10
	s_and_saveexec_b32 s21, s5
; %bb.1673:                             ;   in Loop: Header=BB358_1066 Depth=1
	v_ffbh_u32_e32 v23, v10
	v_min_u32_e32 v29, 32, v23
	v_subrev_nc_u32_e32 v23, 28, v29
	v_sub_nc_u32_e32 v29, 29, v29
	v_lshlrev_b64 v[23:24], v23, v[10:11]
	v_and_b32_e32 v23, 7, v23
; %bb.1674:                             ;   in Loop: Header=BB358_1066 Depth=1
	s_or_b32 exec_lo, exec_lo, s21
	v_lshlrev_b32_e32 v10, 16, v18
	v_lshlrev_b32_e32 v23, 20, v23
	v_lshl_add_u32 v24, v29, 23, 0x3c000000
	v_and_b32_e32 v10, 0x80000000, v10
	v_or3_b32 v33, v23, v10, v24
.LBB358_1675:                           ;   in Loop: Header=BB358_1066 Depth=1
	s_or_b32 exec_lo, exec_lo, s20
.LBB358_1676:                           ;   in Loop: Header=BB358_1066 Depth=1
	s_or_b32 exec_lo, exec_lo, s18
.LBB358_1677:                           ;   in Loop: Header=BB358_1066 Depth=1
	s_or_b32 exec_lo, exec_lo, s17
	v_and_b32_sdwa v10, v18, v70 dst_sel:DWORD dst_unused:UNUSED_PAD src0_sel:WORD_1 src1_sel:DWORD
	v_mov_b32_e32 v31, 0
	v_mov_b32_e32 v32, 0
	s_mov_b32 s17, exec_lo
	v_cmpx_ne_u16_e32 0, v10
	s_cbranch_execz .LBB358_1685
; %bb.1678:                             ;   in Loop: Header=BB358_1066 Depth=1
	v_bfrev_b32_e32 v32, 1
	s_mov_b32 s18, exec_lo
	v_cmpx_ne_u16_e32 0x80, v10
	s_cbranch_execz .LBB358_1684
; %bb.1679:                             ;   in Loop: Header=BB358_1066 Depth=1
	v_bfe_u32 v23, v18, 16, 7
	v_mov_b32_e32 v32, 0x7f800001
	s_mov_b32 s20, exec_lo
	v_cmpx_ne_u32_e32 0x7f, v23
	s_cbranch_execz .LBB358_1683
; %bb.1680:                             ;   in Loop: Header=BB358_1066 Depth=1
	v_mov_b32_e32 v10, 7
	v_lshrrev_b32_e32 v29, 3, v23
	v_cmp_gt_u32_e64 s5, 8, v23
	v_and_b32_sdwa v10, v18, v10 dst_sel:DWORD dst_unused:UNUSED_PAD src0_sel:WORD_1 src1_sel:DWORD
	v_mov_b32_e32 v24, v11
	v_mov_b32_e32 v23, v10
	s_and_saveexec_b32 s21, s5
; %bb.1681:                             ;   in Loop: Header=BB358_1066 Depth=1
	v_ffbh_u32_e32 v23, v10
	v_min_u32_e32 v29, 32, v23
	v_subrev_nc_u32_e32 v23, 28, v29
	v_sub_nc_u32_e32 v29, 29, v29
	v_lshlrev_b64 v[23:24], v23, v[10:11]
	v_and_b32_e32 v23, 7, v23
; %bb.1682:                             ;   in Loop: Header=BB358_1066 Depth=1
	s_or_b32 exec_lo, exec_lo, s21
	v_mov_b32_e32 v10, 24
	v_lshlrev_b32_e32 v23, 20, v23
	v_lshl_add_u32 v24, v29, 23, 0x3c000000
	v_lshlrev_b32_sdwa v10, v10, v18 dst_sel:DWORD dst_unused:UNUSED_PAD src0_sel:DWORD src1_sel:WORD_1
	v_and_b32_e32 v10, 0x80000000, v10
	v_or3_b32 v32, v23, v10, v24
.LBB358_1683:                           ;   in Loop: Header=BB358_1066 Depth=1
	s_or_b32 exec_lo, exec_lo, s20
.LBB358_1684:                           ;   in Loop: Header=BB358_1066 Depth=1
	s_or_b32 exec_lo, exec_lo, s18
.LBB358_1685:                           ;   in Loop: Header=BB358_1066 Depth=1
	s_or_b32 exec_lo, exec_lo, s17
	s_mov_b32 s17, exec_lo
	v_cmpx_lt_u32_e32 0xffffff, v18
	s_cbranch_execz .LBB358_1693
; %bb.1686:                             ;   in Loop: Header=BB358_1066 Depth=1
	v_cmp_ne_u32_sdwa s5, v18, v65 src0_sel:BYTE_3 src1_sel:DWORD
	v_bfrev_b32_e32 v31, 1
	s_and_saveexec_b32 s18, s5
	s_cbranch_execz .LBB358_1692
; %bb.1687:                             ;   in Loop: Header=BB358_1066 Depth=1
	v_bfe_u32 v23, v18, 24, 7
	v_mov_b32_e32 v31, 0x7f800001
	s_mov_b32 s20, exec_lo
	v_cmpx_ne_u32_e32 0x7f, v23
	s_cbranch_execz .LBB358_1691
; %bb.1688:                             ;   in Loop: Header=BB358_1066 Depth=1
	v_mov_b32_e32 v10, 7
	v_lshrrev_b32_e32 v29, 3, v23
	v_cmp_gt_u32_e64 s5, 8, v23
	v_and_b32_sdwa v10, v18, v10 dst_sel:DWORD dst_unused:UNUSED_PAD src0_sel:BYTE_3 src1_sel:DWORD
	v_mov_b32_e32 v24, v11
	v_mov_b32_e32 v23, v10
	s_and_saveexec_b32 s21, s5
; %bb.1689:                             ;   in Loop: Header=BB358_1066 Depth=1
	v_ffbh_u32_e32 v23, v10
	v_min_u32_e32 v29, 32, v23
	v_subrev_nc_u32_e32 v23, 28, v29
	v_sub_nc_u32_e32 v29, 29, v29
	v_lshlrev_b64 v[23:24], v23, v[10:11]
	v_and_b32_e32 v23, 7, v23
; %bb.1690:                             ;   in Loop: Header=BB358_1066 Depth=1
	s_or_b32 exec_lo, exec_lo, s21
	v_mov_b32_e32 v10, 24
	v_lshlrev_b32_e32 v23, 20, v23
	v_lshl_add_u32 v24, v29, 23, 0x3c000000
	v_lshlrev_b32_sdwa v10, v10, v18 dst_sel:DWORD dst_unused:UNUSED_PAD src0_sel:DWORD src1_sel:BYTE_3
	v_and_b32_e32 v10, 0x80000000, v10
	v_or3_b32 v31, v23, v10, v24
.LBB358_1691:                           ;   in Loop: Header=BB358_1066 Depth=1
	s_or_b32 exec_lo, exec_lo, s20
.LBB358_1692:                           ;   in Loop: Header=BB358_1066 Depth=1
	s_or_b32 exec_lo, exec_lo, s18
.LBB358_1693:                           ;   in Loop: Header=BB358_1066 Depth=1
	s_or_b32 exec_lo, exec_lo, s17
	v_mov_b32_e32 v10, v19
	v_cmp_ne_u16_sdwa s5, v19, v11 src0_sel:BYTE_0 src1_sel:DWORD
	v_mov_b32_e32 v34, 0
	v_mov_b32_e32 v29, 0
	s_and_saveexec_b32 s17, s5
	s_cbranch_execz .LBB358_1701
; %bb.1694:                             ;   in Loop: Header=BB358_1066 Depth=1
	v_cmp_ne_u16_sdwa s5, v19, v65 src0_sel:BYTE_0 src1_sel:DWORD
	v_bfrev_b32_e32 v29, 1
	s_and_saveexec_b32 s18, s5
	s_cbranch_execz .LBB358_1700
; %bb.1695:                             ;   in Loop: Header=BB358_1066 Depth=1
	v_and_b32_e32 v23, 0x7f, v19
	v_mov_b32_e32 v29, 0x7f800001
	s_mov_b32 s20, exec_lo
	v_cmpx_ne_u32_e32 0x7f, v23
	s_cbranch_execz .LBB358_1699
; %bb.1696:                             ;   in Loop: Header=BB358_1066 Depth=1
	v_lshrrev_b32_e32 v29, 3, v23
	v_cmp_gt_u32_e64 s5, 8, v23
	v_mov_b32_e32 v24, v11
	v_mov_b32_e32 v23, v10
	s_and_saveexec_b32 s21, s5
; %bb.1697:                             ;   in Loop: Header=BB358_1066 Depth=1
	v_and_b32_e32 v23, 7, v19
	v_ffbh_u32_e32 v23, v23
	v_min_u32_e32 v29, 32, v23
	v_subrev_nc_u32_e32 v23, 28, v29
	v_sub_nc_u32_e32 v29, 29, v29
	v_lshlrev_b64 v[23:24], v23, v[10:11]
; %bb.1698:                             ;   in Loop: Header=BB358_1066 Depth=1
	s_or_b32 exec_lo, exec_lo, s21
	v_lshlrev_b32_e32 v23, 20, v23
	v_lshlrev_b32_e32 v24, 24, v10
	v_lshl_add_u32 v29, v29, 23, 0x3c000000
	v_and_b32_e32 v23, 0x700000, v23
	v_and_b32_e32 v24, 0x80000000, v24
	v_or3_b32 v29, v23, v24, v29
.LBB358_1699:                           ;   in Loop: Header=BB358_1066 Depth=1
	s_or_b32 exec_lo, exec_lo, s20
.LBB358_1700:                           ;   in Loop: Header=BB358_1066 Depth=1
	s_or_b32 exec_lo, exec_lo, s18
.LBB358_1701:                           ;   in Loop: Header=BB358_1066 Depth=1
	s_or_b32 exec_lo, exec_lo, s17
	v_cmp_ne_u16_sdwa s5, v10, v11 src0_sel:BYTE_1 src1_sel:DWORD
	s_and_saveexec_b32 s17, s5
	s_cbranch_execz .LBB358_1709
; %bb.1702:                             ;   in Loop: Header=BB358_1066 Depth=1
	v_cmp_ne_u16_sdwa s5, v10, v65 src0_sel:BYTE_1 src1_sel:DWORD
	v_bfrev_b32_e32 v34, 1
	s_and_saveexec_b32 s18, s5
	s_cbranch_execz .LBB358_1708
; %bb.1703:                             ;   in Loop: Header=BB358_1066 Depth=1
	v_mov_b32_e32 v23, 0xffff
	v_mov_b32_e32 v34, 0x7f800001
	s_mov_b32 s20, exec_lo
	v_and_b32_sdwa v23, v23, v10 dst_sel:DWORD dst_unused:UNUSED_PAD src0_sel:DWORD src1_sel:BYTE_1
	v_and_b32_e32 v35, 0x7f, v23
	v_cmpx_ne_u32_e32 0x7f, v35
	s_cbranch_execz .LBB358_1707
; %bb.1704:                             ;   in Loop: Header=BB358_1066 Depth=1
	v_and_b32_e32 v23, 7, v23
	v_mov_b32_e32 v24, v11
	v_lshrrev_b32_e32 v34, 3, v35
	s_mov_b32 s21, exec_lo
	v_cmpx_gt_u32_e32 8, v35
; %bb.1705:                             ;   in Loop: Header=BB358_1066 Depth=1
	v_ffbh_u32_e32 v34, v23
	v_min_u32_e32 v34, 32, v34
	v_subrev_nc_u32_e32 v35, 28, v34
	v_sub_nc_u32_e32 v34, 29, v34
	v_lshlrev_b64 v[23:24], v35, v[23:24]
	v_and_b32_e32 v23, 7, v23
; %bb.1706:                             ;   in Loop: Header=BB358_1066 Depth=1
	s_or_b32 exec_lo, exec_lo, s21
	v_lshlrev_b32_e32 v10, 16, v10
	v_lshlrev_b32_e32 v23, 20, v23
	v_lshl_add_u32 v24, v34, 23, 0x3c000000
	v_and_b32_e32 v10, 0x80000000, v10
	v_or3_b32 v34, v23, v10, v24
.LBB358_1707:                           ;   in Loop: Header=BB358_1066 Depth=1
	s_or_b32 exec_lo, exec_lo, s20
.LBB358_1708:                           ;   in Loop: Header=BB358_1066 Depth=1
	s_or_b32 exec_lo, exec_lo, s18
.LBB358_1709:                           ;   in Loop: Header=BB358_1066 Depth=1
	s_or_b32 exec_lo, exec_lo, s17
	v_and_b32_sdwa v10, v19, v70 dst_sel:DWORD dst_unused:UNUSED_PAD src0_sel:WORD_1 src1_sel:DWORD
	v_mov_b32_e32 v36, 0
	v_mov_b32_e32 v37, 0
	s_mov_b32 s17, exec_lo
	v_cmpx_ne_u16_e32 0, v10
	s_cbranch_execz .LBB358_1717
; %bb.1710:                             ;   in Loop: Header=BB358_1066 Depth=1
	v_bfrev_b32_e32 v37, 1
	s_mov_b32 s18, exec_lo
	v_cmpx_ne_u16_e32 0x80, v10
	s_cbranch_execz .LBB358_1716
; %bb.1711:                             ;   in Loop: Header=BB358_1066 Depth=1
	v_bfe_u32 v23, v19, 16, 7
	v_mov_b32_e32 v37, 0x7f800001
	s_mov_b32 s20, exec_lo
	v_cmpx_ne_u32_e32 0x7f, v23
	s_cbranch_execz .LBB358_1715
; %bb.1712:                             ;   in Loop: Header=BB358_1066 Depth=1
	v_mov_b32_e32 v10, 7
	v_lshrrev_b32_e32 v35, 3, v23
	v_cmp_gt_u32_e64 s5, 8, v23
	v_and_b32_sdwa v10, v19, v10 dst_sel:DWORD dst_unused:UNUSED_PAD src0_sel:WORD_1 src1_sel:DWORD
	v_mov_b32_e32 v24, v11
	v_mov_b32_e32 v23, v10
	s_and_saveexec_b32 s21, s5
; %bb.1713:                             ;   in Loop: Header=BB358_1066 Depth=1
	v_ffbh_u32_e32 v23, v10
	v_min_u32_e32 v35, 32, v23
	v_subrev_nc_u32_e32 v23, 28, v35
	v_sub_nc_u32_e32 v35, 29, v35
	v_lshlrev_b64 v[23:24], v23, v[10:11]
	v_and_b32_e32 v23, 7, v23
; %bb.1714:                             ;   in Loop: Header=BB358_1066 Depth=1
	s_or_b32 exec_lo, exec_lo, s21
	v_mov_b32_e32 v10, 24
	v_lshlrev_b32_e32 v23, 20, v23
	v_lshl_add_u32 v24, v35, 23, 0x3c000000
	v_lshlrev_b32_sdwa v10, v10, v19 dst_sel:DWORD dst_unused:UNUSED_PAD src0_sel:DWORD src1_sel:WORD_1
	v_and_b32_e32 v10, 0x80000000, v10
	v_or3_b32 v37, v23, v10, v24
.LBB358_1715:                           ;   in Loop: Header=BB358_1066 Depth=1
	s_or_b32 exec_lo, exec_lo, s20
.LBB358_1716:                           ;   in Loop: Header=BB358_1066 Depth=1
	s_or_b32 exec_lo, exec_lo, s18
.LBB358_1717:                           ;   in Loop: Header=BB358_1066 Depth=1
	s_or_b32 exec_lo, exec_lo, s17
	s_mov_b32 s17, exec_lo
	v_cmpx_lt_u64_e64 s[12:13], v[18:19]
	s_cbranch_execz .LBB358_1725
; %bb.1718:                             ;   in Loop: Header=BB358_1066 Depth=1
	v_cmp_ne_u32_sdwa s5, v19, v65 src0_sel:BYTE_3 src1_sel:DWORD
	v_bfrev_b32_e32 v36, 1
	s_and_saveexec_b32 s18, s5
	s_cbranch_execz .LBB358_1724
; %bb.1719:                             ;   in Loop: Header=BB358_1066 Depth=1
	v_bfe_u32 v23, v19, 24, 7
	v_mov_b32_e32 v36, 0x7f800001
	s_mov_b32 s20, exec_lo
	v_cmpx_ne_u32_e32 0x7f, v23
	s_cbranch_execz .LBB358_1723
; %bb.1720:                             ;   in Loop: Header=BB358_1066 Depth=1
	v_mov_b32_e32 v10, 7
	v_lshrrev_b32_e32 v18, 3, v23
	v_cmp_gt_u32_e64 s5, 8, v23
	v_and_b32_sdwa v10, v19, v10 dst_sel:DWORD dst_unused:UNUSED_PAD src0_sel:BYTE_3 src1_sel:DWORD
	v_mov_b32_e32 v24, v11
	v_mov_b32_e32 v23, v10
	s_and_saveexec_b32 s21, s5
; %bb.1721:                             ;   in Loop: Header=BB358_1066 Depth=1
	v_ffbh_u32_e32 v18, v10
	v_min_u32_e32 v18, 32, v18
	v_subrev_nc_u32_e32 v23, 28, v18
	v_sub_nc_u32_e32 v18, 29, v18
	v_lshlrev_b64 v[23:24], v23, v[10:11]
	v_and_b32_e32 v23, 7, v23
; %bb.1722:                             ;   in Loop: Header=BB358_1066 Depth=1
	s_or_b32 exec_lo, exec_lo, s21
	v_mov_b32_e32 v10, 24
	v_lshl_add_u32 v18, v18, 23, 0x3c000000
	v_lshlrev_b32_sdwa v10, v10, v19 dst_sel:DWORD dst_unused:UNUSED_PAD src0_sel:DWORD src1_sel:BYTE_3
	v_lshlrev_b32_e32 v19, 20, v23
	v_and_b32_e32 v10, 0x80000000, v10
	v_or3_b32 v36, v19, v10, v18
.LBB358_1723:                           ;   in Loop: Header=BB358_1066 Depth=1
	s_or_b32 exec_lo, exec_lo, s20
.LBB358_1724:                           ;   in Loop: Header=BB358_1066 Depth=1
	s_or_b32 exec_lo, exec_lo, s18
.LBB358_1725:                           ;   in Loop: Header=BB358_1066 Depth=1
	s_or_b32 exec_lo, exec_lo, s17
	v_mul_f32_e32 v10, v58, v34
	v_bfe_u32 v18, v10, 16, 1
	v_or_b32_e32 v19, 0x400000, v10
	v_cmp_u_f32_e64 s5, v10, v10
	v_add3_u32 v18, v18, v10, 0x7fff
	v_cndmask_b32_e64 v10, v18, v19, s5
	v_lshrrev_b32_e32 v101, 16, v10
	v_mul_f32_e32 v10, v58, v29
	v_bfe_u32 v18, v10, 16, 1
	v_or_b32_e32 v19, 0x400000, v10
	v_cmp_u_f32_e64 s5, v10, v10
	v_add3_u32 v18, v18, v10, 0x7fff
	v_cndmask_b32_e64 v10, v18, v19, s5
	v_lshrrev_b32_e32 v29, 16, v10
	;; [unrolled: 7-line block ×8, first 2 shown]
	s_and_saveexec_b32 s17, vcc_lo
	s_cbranch_execz .LBB358_1727
; %bb.1726:                             ;   in Loop: Header=BB358_1066 Depth=1
	v_cmp_lt_i32_e64 s5, v75, v96
	v_cndmask_b32_e64 v35, 0, v35, s5
	v_cmp_lt_i32_e64 s5, v90, v96
	v_cndmask_b32_e64 v34, 0, v34, s5
	;; [unrolled: 2-line block ×8, first 2 shown]
.LBB358_1727:                           ;   in Loop: Header=BB358_1066 Depth=1
	s_or_b32 exec_lo, exec_lo, s17
	flat_load_dwordx2 v[18:19], v[16:17] offset:512
	v_mov_b32_e32 v50, 0
	v_mov_b32_e32 v28, 0
	s_waitcnt vmcnt(0) lgkmcnt(0)
	v_cmp_ne_u16_sdwa s5, v18, v11 src0_sel:BYTE_0 src1_sel:DWORD
	s_and_saveexec_b32 s17, s5
	s_cbranch_execz .LBB358_1735
; %bb.1728:                             ;   in Loop: Header=BB358_1066 Depth=1
	v_cmp_ne_u16_sdwa s5, v18, v65 src0_sel:BYTE_0 src1_sel:DWORD
	v_bfrev_b32_e32 v28, 1
	s_and_saveexec_b32 s18, s5
	s_cbranch_execz .LBB358_1734
; %bb.1729:                             ;   in Loop: Header=BB358_1066 Depth=1
	v_and_b32_e32 v23, 0x7f, v18
	v_mov_b32_e32 v28, 0x7f800001
	s_mov_b32 s20, exec_lo
	v_cmpx_ne_u32_e32 0x7f, v23
	s_cbranch_execz .LBB358_1733
; %bb.1730:                             ;   in Loop: Header=BB358_1066 Depth=1
	v_lshrrev_b32_e32 v10, 3, v23
	v_cmp_gt_u32_e64 s5, 8, v23
	v_mov_b32_e32 v24, v19
	v_mov_b32_e32 v23, v18
	s_and_saveexec_b32 s21, s5
; %bb.1731:                             ;   in Loop: Header=BB358_1066 Depth=1
	v_and_b32_e32 v10, 7, v18
	v_ffbh_u32_e32 v10, v10
	v_min_u32_e32 v10, 32, v10
	v_subrev_nc_u32_e32 v23, 28, v10
	v_sub_nc_u32_e32 v10, 29, v10
	v_lshlrev_b64 v[23:24], v23, v[18:19]
; %bb.1732:                             ;   in Loop: Header=BB358_1066 Depth=1
	s_or_b32 exec_lo, exec_lo, s21
	v_lshlrev_b32_e32 v23, 20, v23
	v_lshlrev_b32_e32 v24, 24, v18
	v_lshl_add_u32 v10, v10, 23, 0x3c000000
	v_and_b32_e32 v23, 0x700000, v23
	v_and_b32_e32 v24, 0x80000000, v24
	v_or3_b32 v28, v23, v24, v10
.LBB358_1733:                           ;   in Loop: Header=BB358_1066 Depth=1
	s_or_b32 exec_lo, exec_lo, s20
.LBB358_1734:                           ;   in Loop: Header=BB358_1066 Depth=1
	s_or_b32 exec_lo, exec_lo, s18
.LBB358_1735:                           ;   in Loop: Header=BB358_1066 Depth=1
	s_or_b32 exec_lo, exec_lo, s17
	v_cmp_ne_u16_sdwa s5, v18, v11 src0_sel:BYTE_1 src1_sel:DWORD
	s_and_saveexec_b32 s17, s5
	s_cbranch_execz .LBB358_1743
; %bb.1736:                             ;   in Loop: Header=BB358_1066 Depth=1
	v_cmp_ne_u16_sdwa s5, v18, v65 src0_sel:BYTE_1 src1_sel:DWORD
	v_bfrev_b32_e32 v50, 1
	s_and_saveexec_b32 s18, s5
	s_cbranch_execz .LBB358_1742
; %bb.1737:                             ;   in Loop: Header=BB358_1066 Depth=1
	v_mov_b32_e32 v10, 0xffff
	v_mov_b32_e32 v50, 0x7f800001
	s_mov_b32 s20, exec_lo
	v_and_b32_sdwa v10, v10, v18 dst_sel:DWORD dst_unused:UNUSED_PAD src0_sel:DWORD src1_sel:BYTE_1
	v_and_b32_e32 v23, 0x7f, v10
	v_cmpx_ne_u32_e32 0x7f, v23
	s_cbranch_execz .LBB358_1741
; %bb.1738:                             ;   in Loop: Header=BB358_1066 Depth=1
	v_and_b32_e32 v10, 7, v10
	v_lshrrev_b32_e32 v37, 3, v23
	v_cmp_gt_u32_e64 s5, 8, v23
	v_mov_b32_e32 v24, v11
	v_mov_b32_e32 v23, v10
	s_and_saveexec_b32 s21, s5
; %bb.1739:                             ;   in Loop: Header=BB358_1066 Depth=1
	v_ffbh_u32_e32 v23, v10
	v_min_u32_e32 v37, 32, v23
	v_subrev_nc_u32_e32 v23, 28, v37
	v_sub_nc_u32_e32 v37, 29, v37
	v_lshlrev_b64 v[23:24], v23, v[10:11]
	v_and_b32_e32 v23, 7, v23
; %bb.1740:                             ;   in Loop: Header=BB358_1066 Depth=1
	s_or_b32 exec_lo, exec_lo, s21
	v_lshlrev_b32_e32 v10, 16, v18
	v_lshlrev_b32_e32 v23, 20, v23
	v_lshl_add_u32 v24, v37, 23, 0x3c000000
	v_and_b32_e32 v10, 0x80000000, v10
	v_or3_b32 v50, v23, v10, v24
.LBB358_1741:                           ;   in Loop: Header=BB358_1066 Depth=1
	s_or_b32 exec_lo, exec_lo, s20
.LBB358_1742:                           ;   in Loop: Header=BB358_1066 Depth=1
	s_or_b32 exec_lo, exec_lo, s18
.LBB358_1743:                           ;   in Loop: Header=BB358_1066 Depth=1
	s_or_b32 exec_lo, exec_lo, s17
	v_and_b32_sdwa v10, v18, v70 dst_sel:DWORD dst_unused:UNUSED_PAD src0_sel:WORD_1 src1_sel:DWORD
	v_mov_b32_e32 v48, 0
	v_mov_b32_e32 v49, 0
	s_mov_b32 s17, exec_lo
	v_cmpx_ne_u16_e32 0, v10
	s_cbranch_execz .LBB358_1751
; %bb.1744:                             ;   in Loop: Header=BB358_1066 Depth=1
	v_bfrev_b32_e32 v49, 1
	s_mov_b32 s18, exec_lo
	v_cmpx_ne_u16_e32 0x80, v10
	s_cbranch_execz .LBB358_1750
; %bb.1745:                             ;   in Loop: Header=BB358_1066 Depth=1
	v_bfe_u32 v23, v18, 16, 7
	v_mov_b32_e32 v49, 0x7f800001
	s_mov_b32 s20, exec_lo
	v_cmpx_ne_u32_e32 0x7f, v23
	s_cbranch_execz .LBB358_1749
; %bb.1746:                             ;   in Loop: Header=BB358_1066 Depth=1
	v_mov_b32_e32 v10, 7
	v_lshrrev_b32_e32 v37, 3, v23
	v_cmp_gt_u32_e64 s5, 8, v23
	v_and_b32_sdwa v10, v18, v10 dst_sel:DWORD dst_unused:UNUSED_PAD src0_sel:WORD_1 src1_sel:DWORD
	v_mov_b32_e32 v24, v11
	v_mov_b32_e32 v23, v10
	s_and_saveexec_b32 s21, s5
; %bb.1747:                             ;   in Loop: Header=BB358_1066 Depth=1
	v_ffbh_u32_e32 v23, v10
	v_min_u32_e32 v37, 32, v23
	v_subrev_nc_u32_e32 v23, 28, v37
	v_sub_nc_u32_e32 v37, 29, v37
	v_lshlrev_b64 v[23:24], v23, v[10:11]
	v_and_b32_e32 v23, 7, v23
; %bb.1748:                             ;   in Loop: Header=BB358_1066 Depth=1
	s_or_b32 exec_lo, exec_lo, s21
	v_mov_b32_e32 v10, 24
	v_lshlrev_b32_e32 v23, 20, v23
	v_lshl_add_u32 v24, v37, 23, 0x3c000000
	v_lshlrev_b32_sdwa v10, v10, v18 dst_sel:DWORD dst_unused:UNUSED_PAD src0_sel:DWORD src1_sel:WORD_1
	v_and_b32_e32 v10, 0x80000000, v10
	v_or3_b32 v49, v23, v10, v24
.LBB358_1749:                           ;   in Loop: Header=BB358_1066 Depth=1
	s_or_b32 exec_lo, exec_lo, s20
.LBB358_1750:                           ;   in Loop: Header=BB358_1066 Depth=1
	s_or_b32 exec_lo, exec_lo, s18
.LBB358_1751:                           ;   in Loop: Header=BB358_1066 Depth=1
	s_or_b32 exec_lo, exec_lo, s17
	s_mov_b32 s17, exec_lo
	v_cmpx_lt_u32_e32 0xffffff, v18
	s_cbranch_execz .LBB358_1759
; %bb.1752:                             ;   in Loop: Header=BB358_1066 Depth=1
	v_cmp_ne_u32_sdwa s5, v18, v65 src0_sel:BYTE_3 src1_sel:DWORD
	v_bfrev_b32_e32 v48, 1
	s_and_saveexec_b32 s18, s5
	s_cbranch_execz .LBB358_1758
; %bb.1753:                             ;   in Loop: Header=BB358_1066 Depth=1
	v_bfe_u32 v23, v18, 24, 7
	v_mov_b32_e32 v48, 0x7f800001
	s_mov_b32 s20, exec_lo
	v_cmpx_ne_u32_e32 0x7f, v23
	s_cbranch_execz .LBB358_1757
; %bb.1754:                             ;   in Loop: Header=BB358_1066 Depth=1
	v_mov_b32_e32 v10, 7
	v_lshrrev_b32_e32 v37, 3, v23
	v_cmp_gt_u32_e64 s5, 8, v23
	v_and_b32_sdwa v10, v18, v10 dst_sel:DWORD dst_unused:UNUSED_PAD src0_sel:BYTE_3 src1_sel:DWORD
	v_mov_b32_e32 v24, v11
	v_mov_b32_e32 v23, v10
	s_and_saveexec_b32 s21, s5
; %bb.1755:                             ;   in Loop: Header=BB358_1066 Depth=1
	v_ffbh_u32_e32 v23, v10
	v_min_u32_e32 v37, 32, v23
	v_subrev_nc_u32_e32 v23, 28, v37
	v_sub_nc_u32_e32 v37, 29, v37
	v_lshlrev_b64 v[23:24], v23, v[10:11]
	v_and_b32_e32 v23, 7, v23
; %bb.1756:                             ;   in Loop: Header=BB358_1066 Depth=1
	s_or_b32 exec_lo, exec_lo, s21
	v_mov_b32_e32 v10, 24
	v_lshlrev_b32_e32 v23, 20, v23
	v_lshl_add_u32 v24, v37, 23, 0x3c000000
	v_lshlrev_b32_sdwa v10, v10, v18 dst_sel:DWORD dst_unused:UNUSED_PAD src0_sel:DWORD src1_sel:BYTE_3
	v_and_b32_e32 v10, 0x80000000, v10
	v_or3_b32 v48, v23, v10, v24
.LBB358_1757:                           ;   in Loop: Header=BB358_1066 Depth=1
	s_or_b32 exec_lo, exec_lo, s20
.LBB358_1758:                           ;   in Loop: Header=BB358_1066 Depth=1
	s_or_b32 exec_lo, exec_lo, s18
.LBB358_1759:                           ;   in Loop: Header=BB358_1066 Depth=1
	s_or_b32 exec_lo, exec_lo, s17
	v_mov_b32_e32 v10, v19
	v_cmp_ne_u16_sdwa s5, v19, v11 src0_sel:BYTE_0 src1_sel:DWORD
	v_mov_b32_e32 v37, 0
	v_mov_b32_e32 v38, 0
	s_and_saveexec_b32 s17, s5
	s_cbranch_execz .LBB358_1767
; %bb.1760:                             ;   in Loop: Header=BB358_1066 Depth=1
	v_cmp_ne_u16_sdwa s5, v19, v65 src0_sel:BYTE_0 src1_sel:DWORD
	v_bfrev_b32_e32 v38, 1
	s_and_saveexec_b32 s18, s5
	s_cbranch_execz .LBB358_1766
; %bb.1761:                             ;   in Loop: Header=BB358_1066 Depth=1
	v_and_b32_e32 v23, 0x7f, v19
	v_mov_b32_e32 v38, 0x7f800001
	s_mov_b32 s20, exec_lo
	v_cmpx_ne_u32_e32 0x7f, v23
	s_cbranch_execz .LBB358_1765
; %bb.1762:                             ;   in Loop: Header=BB358_1066 Depth=1
	v_lshrrev_b32_e32 v38, 3, v23
	v_cmp_gt_u32_e64 s5, 8, v23
	v_mov_b32_e32 v24, v11
	v_mov_b32_e32 v23, v10
	s_and_saveexec_b32 s21, s5
; %bb.1763:                             ;   in Loop: Header=BB358_1066 Depth=1
	v_and_b32_e32 v23, 7, v19
	v_ffbh_u32_e32 v23, v23
	v_min_u32_e32 v38, 32, v23
	v_subrev_nc_u32_e32 v23, 28, v38
	v_sub_nc_u32_e32 v38, 29, v38
	v_lshlrev_b64 v[23:24], v23, v[10:11]
; %bb.1764:                             ;   in Loop: Header=BB358_1066 Depth=1
	s_or_b32 exec_lo, exec_lo, s21
	v_lshlrev_b32_e32 v23, 20, v23
	v_lshlrev_b32_e32 v24, 24, v10
	v_lshl_add_u32 v38, v38, 23, 0x3c000000
	v_and_b32_e32 v23, 0x700000, v23
	v_and_b32_e32 v24, 0x80000000, v24
	v_or3_b32 v38, v23, v24, v38
.LBB358_1765:                           ;   in Loop: Header=BB358_1066 Depth=1
	s_or_b32 exec_lo, exec_lo, s20
.LBB358_1766:                           ;   in Loop: Header=BB358_1066 Depth=1
	s_or_b32 exec_lo, exec_lo, s18
.LBB358_1767:                           ;   in Loop: Header=BB358_1066 Depth=1
	s_or_b32 exec_lo, exec_lo, s17
	v_cmp_ne_u16_sdwa s5, v10, v11 src0_sel:BYTE_1 src1_sel:DWORD
	s_and_saveexec_b32 s17, s5
	s_cbranch_execz .LBB358_1775
; %bb.1768:                             ;   in Loop: Header=BB358_1066 Depth=1
	v_cmp_ne_u16_sdwa s5, v10, v65 src0_sel:BYTE_1 src1_sel:DWORD
	v_bfrev_b32_e32 v37, 1
	s_and_saveexec_b32 s18, s5
	s_cbranch_execz .LBB358_1774
; %bb.1769:                             ;   in Loop: Header=BB358_1066 Depth=1
	v_mov_b32_e32 v23, 0xffff
	v_mov_b32_e32 v37, 0x7f800001
	s_mov_b32 s20, exec_lo
	v_and_b32_sdwa v23, v23, v10 dst_sel:DWORD dst_unused:UNUSED_PAD src0_sel:DWORD src1_sel:BYTE_1
	v_and_b32_e32 v51, 0x7f, v23
	v_cmpx_ne_u32_e32 0x7f, v51
	s_cbranch_execz .LBB358_1773
; %bb.1770:                             ;   in Loop: Header=BB358_1066 Depth=1
	v_and_b32_e32 v23, 7, v23
	v_mov_b32_e32 v24, v11
	v_lshrrev_b32_e32 v37, 3, v51
	s_mov_b32 s21, exec_lo
	v_cmpx_gt_u32_e32 8, v51
; %bb.1771:                             ;   in Loop: Header=BB358_1066 Depth=1
	v_ffbh_u32_e32 v37, v23
	v_min_u32_e32 v37, 32, v37
	v_subrev_nc_u32_e32 v51, 28, v37
	v_sub_nc_u32_e32 v37, 29, v37
	v_lshlrev_b64 v[23:24], v51, v[23:24]
	v_and_b32_e32 v23, 7, v23
; %bb.1772:                             ;   in Loop: Header=BB358_1066 Depth=1
	s_or_b32 exec_lo, exec_lo, s21
	v_lshlrev_b32_e32 v10, 16, v10
	v_lshlrev_b32_e32 v23, 20, v23
	v_lshl_add_u32 v24, v37, 23, 0x3c000000
	v_and_b32_e32 v10, 0x80000000, v10
	v_or3_b32 v37, v23, v10, v24
.LBB358_1773:                           ;   in Loop: Header=BB358_1066 Depth=1
	s_or_b32 exec_lo, exec_lo, s20
.LBB358_1774:                           ;   in Loop: Header=BB358_1066 Depth=1
	s_or_b32 exec_lo, exec_lo, s18
.LBB358_1775:                           ;   in Loop: Header=BB358_1066 Depth=1
	s_or_b32 exec_lo, exec_lo, s17
	v_and_b32_sdwa v10, v19, v70 dst_sel:DWORD dst_unused:UNUSED_PAD src0_sel:WORD_1 src1_sel:DWORD
	v_mov_b32_e32 v53, 0
	v_mov_b32_e32 v54, 0
	s_mov_b32 s17, exec_lo
	v_cmpx_ne_u16_e32 0, v10
	s_cbranch_execz .LBB358_1783
; %bb.1776:                             ;   in Loop: Header=BB358_1066 Depth=1
	v_bfrev_b32_e32 v54, 1
	s_mov_b32 s18, exec_lo
	v_cmpx_ne_u16_e32 0x80, v10
	s_cbranch_execz .LBB358_1782
; %bb.1777:                             ;   in Loop: Header=BB358_1066 Depth=1
	v_bfe_u32 v23, v19, 16, 7
	v_mov_b32_e32 v54, 0x7f800001
	s_mov_b32 s20, exec_lo
	v_cmpx_ne_u32_e32 0x7f, v23
	s_cbranch_execz .LBB358_1781
; %bb.1778:                             ;   in Loop: Header=BB358_1066 Depth=1
	v_mov_b32_e32 v10, 7
	v_lshrrev_b32_e32 v51, 3, v23
	v_cmp_gt_u32_e64 s5, 8, v23
	v_and_b32_sdwa v10, v19, v10 dst_sel:DWORD dst_unused:UNUSED_PAD src0_sel:WORD_1 src1_sel:DWORD
	v_mov_b32_e32 v24, v11
	v_mov_b32_e32 v23, v10
	s_and_saveexec_b32 s21, s5
; %bb.1779:                             ;   in Loop: Header=BB358_1066 Depth=1
	v_ffbh_u32_e32 v23, v10
	v_min_u32_e32 v51, 32, v23
	v_subrev_nc_u32_e32 v23, 28, v51
	v_sub_nc_u32_e32 v51, 29, v51
	v_lshlrev_b64 v[23:24], v23, v[10:11]
	v_and_b32_e32 v23, 7, v23
; %bb.1780:                             ;   in Loop: Header=BB358_1066 Depth=1
	s_or_b32 exec_lo, exec_lo, s21
	v_mov_b32_e32 v10, 24
	v_lshlrev_b32_e32 v23, 20, v23
	v_lshl_add_u32 v24, v51, 23, 0x3c000000
	v_lshlrev_b32_sdwa v10, v10, v19 dst_sel:DWORD dst_unused:UNUSED_PAD src0_sel:DWORD src1_sel:WORD_1
	v_and_b32_e32 v10, 0x80000000, v10
	v_or3_b32 v54, v23, v10, v24
.LBB358_1781:                           ;   in Loop: Header=BB358_1066 Depth=1
	s_or_b32 exec_lo, exec_lo, s20
.LBB358_1782:                           ;   in Loop: Header=BB358_1066 Depth=1
	s_or_b32 exec_lo, exec_lo, s18
.LBB358_1783:                           ;   in Loop: Header=BB358_1066 Depth=1
	s_or_b32 exec_lo, exec_lo, s17
	s_mov_b32 s17, exec_lo
	v_cmpx_lt_u64_e64 s[12:13], v[18:19]
	s_cbranch_execz .LBB358_1791
; %bb.1784:                             ;   in Loop: Header=BB358_1066 Depth=1
	v_cmp_ne_u32_sdwa s5, v19, v65 src0_sel:BYTE_3 src1_sel:DWORD
	v_bfrev_b32_e32 v53, 1
	s_and_saveexec_b32 s18, s5
	s_cbranch_execz .LBB358_1790
; %bb.1785:                             ;   in Loop: Header=BB358_1066 Depth=1
	v_bfe_u32 v23, v19, 24, 7
	v_mov_b32_e32 v53, 0x7f800001
	s_mov_b32 s20, exec_lo
	v_cmpx_ne_u32_e32 0x7f, v23
	s_cbranch_execz .LBB358_1789
; %bb.1786:                             ;   in Loop: Header=BB358_1066 Depth=1
	v_mov_b32_e32 v10, 7
	v_lshrrev_b32_e32 v18, 3, v23
	v_cmp_gt_u32_e64 s5, 8, v23
	v_and_b32_sdwa v10, v19, v10 dst_sel:DWORD dst_unused:UNUSED_PAD src0_sel:BYTE_3 src1_sel:DWORD
	v_mov_b32_e32 v24, v11
	v_mov_b32_e32 v23, v10
	s_and_saveexec_b32 s21, s5
; %bb.1787:                             ;   in Loop: Header=BB358_1066 Depth=1
	v_ffbh_u32_e32 v18, v10
	v_min_u32_e32 v18, 32, v18
	v_subrev_nc_u32_e32 v23, 28, v18
	v_sub_nc_u32_e32 v18, 29, v18
	v_lshlrev_b64 v[23:24], v23, v[10:11]
	v_and_b32_e32 v23, 7, v23
; %bb.1788:                             ;   in Loop: Header=BB358_1066 Depth=1
	s_or_b32 exec_lo, exec_lo, s21
	v_mov_b32_e32 v10, 24
	v_lshl_add_u32 v18, v18, 23, 0x3c000000
	v_lshlrev_b32_sdwa v10, v10, v19 dst_sel:DWORD dst_unused:UNUSED_PAD src0_sel:DWORD src1_sel:BYTE_3
	v_lshlrev_b32_e32 v19, 20, v23
	v_and_b32_e32 v10, 0x80000000, v10
	v_or3_b32 v53, v19, v10, v18
.LBB358_1789:                           ;   in Loop: Header=BB358_1066 Depth=1
	s_or_b32 exec_lo, exec_lo, s20
.LBB358_1790:                           ;   in Loop: Header=BB358_1066 Depth=1
	s_or_b32 exec_lo, exec_lo, s18
.LBB358_1791:                           ;   in Loop: Header=BB358_1066 Depth=1
	s_or_b32 exec_lo, exec_lo, s17
	v_mul_f32_e32 v10, v58, v37
	v_bfe_u32 v18, v10, 16, 1
	v_or_b32_e32 v19, 0x400000, v10
	v_cmp_u_f32_e64 s5, v10, v10
	v_add3_u32 v18, v18, v10, 0x7fff
	v_cndmask_b32_e64 v10, v18, v19, s5
	v_lshrrev_b32_e32 v37, 16, v10
	v_mul_f32_e32 v10, v58, v38
	v_bfe_u32 v18, v10, 16, 1
	v_or_b32_e32 v19, 0x400000, v10
	v_cmp_u_f32_e64 s5, v10, v10
	v_add3_u32 v18, v18, v10, 0x7fff
	v_cndmask_b32_e64 v10, v18, v19, s5
	v_lshrrev_b32_e32 v38, 16, v10
	;; [unrolled: 7-line block ×8, first 2 shown]
	s_and_saveexec_b32 s17, vcc_lo
	s_cbranch_execz .LBB358_1793
; %bb.1792:                             ;   in Loop: Header=BB358_1066 Depth=1
	v_cmp_lt_i32_e64 s5, v75, v96
	v_cndmask_b32_e64 v52, 0, v52, s5
	v_cmp_lt_i32_e64 s5, v90, v96
	v_cndmask_b32_e64 v51, 0, v51, s5
	;; [unrolled: 2-line block ×8, first 2 shown]
.LBB358_1793:                           ;   in Loop: Header=BB358_1066 Depth=1
	s_or_b32 exec_lo, exec_lo, s17
	flat_load_dwordx2 v[18:19], v[16:17] offset:768
	v_mov_b32_e32 v71, 0
	v_mov_b32_e32 v69, 0
	s_waitcnt vmcnt(0) lgkmcnt(0)
	v_cmp_ne_u16_sdwa s5, v18, v11 src0_sel:BYTE_0 src1_sel:DWORD
	s_and_saveexec_b32 s17, s5
	s_cbranch_execz .LBB358_1801
; %bb.1794:                             ;   in Loop: Header=BB358_1066 Depth=1
	v_cmp_ne_u16_sdwa s5, v18, v65 src0_sel:BYTE_0 src1_sel:DWORD
	v_bfrev_b32_e32 v69, 1
	s_and_saveexec_b32 s18, s5
	s_cbranch_execz .LBB358_1800
; %bb.1795:                             ;   in Loop: Header=BB358_1066 Depth=1
	v_and_b32_e32 v23, 0x7f, v18
	v_mov_b32_e32 v69, 0x7f800001
	s_mov_b32 s20, exec_lo
	v_cmpx_ne_u32_e32 0x7f, v23
	s_cbranch_execz .LBB358_1799
; %bb.1796:                             ;   in Loop: Header=BB358_1066 Depth=1
	v_lshrrev_b32_e32 v10, 3, v23
	v_cmp_gt_u32_e64 s5, 8, v23
	v_mov_b32_e32 v24, v19
	v_mov_b32_e32 v23, v18
	s_and_saveexec_b32 s21, s5
; %bb.1797:                             ;   in Loop: Header=BB358_1066 Depth=1
	v_and_b32_e32 v10, 7, v18
	v_ffbh_u32_e32 v10, v10
	v_min_u32_e32 v10, 32, v10
	v_subrev_nc_u32_e32 v23, 28, v10
	v_sub_nc_u32_e32 v10, 29, v10
	v_lshlrev_b64 v[23:24], v23, v[18:19]
; %bb.1798:                             ;   in Loop: Header=BB358_1066 Depth=1
	s_or_b32 exec_lo, exec_lo, s21
	v_lshlrev_b32_e32 v23, 20, v23
	v_lshlrev_b32_e32 v24, 24, v18
	v_lshl_add_u32 v10, v10, 23, 0x3c000000
	v_and_b32_e32 v23, 0x700000, v23
	v_and_b32_e32 v24, 0x80000000, v24
	v_or3_b32 v69, v23, v24, v10
.LBB358_1799:                           ;   in Loop: Header=BB358_1066 Depth=1
	s_or_b32 exec_lo, exec_lo, s20
.LBB358_1800:                           ;   in Loop: Header=BB358_1066 Depth=1
	s_or_b32 exec_lo, exec_lo, s18
.LBB358_1801:                           ;   in Loop: Header=BB358_1066 Depth=1
	s_or_b32 exec_lo, exec_lo, s17
	v_cmp_ne_u16_sdwa s5, v18, v11 src0_sel:BYTE_1 src1_sel:DWORD
	s_and_saveexec_b32 s17, s5
	s_cbranch_execz .LBB358_1809
; %bb.1802:                             ;   in Loop: Header=BB358_1066 Depth=1
	v_cmp_ne_u16_sdwa s5, v18, v65 src0_sel:BYTE_1 src1_sel:DWORD
	v_bfrev_b32_e32 v71, 1
	s_and_saveexec_b32 s18, s5
	s_cbranch_execz .LBB358_1808
; %bb.1803:                             ;   in Loop: Header=BB358_1066 Depth=1
	v_mov_b32_e32 v10, 0xffff
	v_mov_b32_e32 v71, 0x7f800001
	s_mov_b32 s20, exec_lo
	v_and_b32_sdwa v10, v10, v18 dst_sel:DWORD dst_unused:UNUSED_PAD src0_sel:DWORD src1_sel:BYTE_1
	v_and_b32_e32 v23, 0x7f, v10
	v_cmpx_ne_u32_e32 0x7f, v23
	s_cbranch_execz .LBB358_1807
; %bb.1804:                             ;   in Loop: Header=BB358_1066 Depth=1
	v_and_b32_e32 v10, 7, v10
	v_lshrrev_b32_e32 v28, 3, v23
	v_cmp_gt_u32_e64 s5, 8, v23
	v_mov_b32_e32 v24, v11
	v_mov_b32_e32 v23, v10
	s_and_saveexec_b32 s21, s5
; %bb.1805:                             ;   in Loop: Header=BB358_1066 Depth=1
	v_ffbh_u32_e32 v23, v10
	v_min_u32_e32 v28, 32, v23
	v_subrev_nc_u32_e32 v23, 28, v28
	v_sub_nc_u32_e32 v28, 29, v28
	v_lshlrev_b64 v[23:24], v23, v[10:11]
	v_and_b32_e32 v23, 7, v23
; %bb.1806:                             ;   in Loop: Header=BB358_1066 Depth=1
	s_or_b32 exec_lo, exec_lo, s21
	v_lshlrev_b32_e32 v10, 16, v18
	v_lshlrev_b32_e32 v23, 20, v23
	v_lshl_add_u32 v24, v28, 23, 0x3c000000
	v_and_b32_e32 v10, 0x80000000, v10
	v_or3_b32 v71, v23, v10, v24
.LBB358_1807:                           ;   in Loop: Header=BB358_1066 Depth=1
	s_or_b32 exec_lo, exec_lo, s20
.LBB358_1808:                           ;   in Loop: Header=BB358_1066 Depth=1
	s_or_b32 exec_lo, exec_lo, s18
.LBB358_1809:                           ;   in Loop: Header=BB358_1066 Depth=1
	s_or_b32 exec_lo, exec_lo, s17
	v_and_b32_sdwa v10, v18, v70 dst_sel:DWORD dst_unused:UNUSED_PAD src0_sel:WORD_1 src1_sel:DWORD
	v_mov_b32_e32 v80, 0
	v_mov_b32_e32 v82, 0
	s_mov_b32 s17, exec_lo
	v_cmpx_ne_u16_e32 0, v10
	s_cbranch_execz .LBB358_1817
; %bb.1810:                             ;   in Loop: Header=BB358_1066 Depth=1
	v_bfrev_b32_e32 v82, 1
	s_mov_b32 s18, exec_lo
	v_cmpx_ne_u16_e32 0x80, v10
	s_cbranch_execz .LBB358_1816
; %bb.1811:                             ;   in Loop: Header=BB358_1066 Depth=1
	v_bfe_u32 v23, v18, 16, 7
	v_mov_b32_e32 v82, 0x7f800001
	s_mov_b32 s20, exec_lo
	v_cmpx_ne_u32_e32 0x7f, v23
	s_cbranch_execz .LBB358_1815
; %bb.1812:                             ;   in Loop: Header=BB358_1066 Depth=1
	v_mov_b32_e32 v10, 7
	v_lshrrev_b32_e32 v28, 3, v23
	v_cmp_gt_u32_e64 s5, 8, v23
	v_and_b32_sdwa v10, v18, v10 dst_sel:DWORD dst_unused:UNUSED_PAD src0_sel:WORD_1 src1_sel:DWORD
	v_mov_b32_e32 v24, v11
	v_mov_b32_e32 v23, v10
	s_and_saveexec_b32 s21, s5
; %bb.1813:                             ;   in Loop: Header=BB358_1066 Depth=1
	v_ffbh_u32_e32 v23, v10
	v_min_u32_e32 v28, 32, v23
	v_subrev_nc_u32_e32 v23, 28, v28
	v_sub_nc_u32_e32 v28, 29, v28
	v_lshlrev_b64 v[23:24], v23, v[10:11]
	v_and_b32_e32 v23, 7, v23
; %bb.1814:                             ;   in Loop: Header=BB358_1066 Depth=1
	s_or_b32 exec_lo, exec_lo, s21
	v_mov_b32_e32 v10, 24
	v_lshlrev_b32_e32 v23, 20, v23
	v_lshl_add_u32 v24, v28, 23, 0x3c000000
	v_lshlrev_b32_sdwa v10, v10, v18 dst_sel:DWORD dst_unused:UNUSED_PAD src0_sel:DWORD src1_sel:WORD_1
	v_and_b32_e32 v10, 0x80000000, v10
	v_or3_b32 v82, v23, v10, v24
.LBB358_1815:                           ;   in Loop: Header=BB358_1066 Depth=1
	s_or_b32 exec_lo, exec_lo, s20
.LBB358_1816:                           ;   in Loop: Header=BB358_1066 Depth=1
	s_or_b32 exec_lo, exec_lo, s18
.LBB358_1817:                           ;   in Loop: Header=BB358_1066 Depth=1
	s_or_b32 exec_lo, exec_lo, s17
	s_mov_b32 s17, exec_lo
	v_cmpx_lt_u32_e32 0xffffff, v18
	s_cbranch_execz .LBB358_1825
; %bb.1818:                             ;   in Loop: Header=BB358_1066 Depth=1
	v_cmp_ne_u32_sdwa s5, v18, v65 src0_sel:BYTE_3 src1_sel:DWORD
	v_bfrev_b32_e32 v80, 1
	s_and_saveexec_b32 s18, s5
	s_cbranch_execz .LBB358_1824
; %bb.1819:                             ;   in Loop: Header=BB358_1066 Depth=1
	v_bfe_u32 v23, v18, 24, 7
	v_mov_b32_e32 v80, 0x7f800001
	s_mov_b32 s20, exec_lo
	v_cmpx_ne_u32_e32 0x7f, v23
	s_cbranch_execz .LBB358_1823
; %bb.1820:                             ;   in Loop: Header=BB358_1066 Depth=1
	v_mov_b32_e32 v10, 7
	v_lshrrev_b32_e32 v28, 3, v23
	v_cmp_gt_u32_e64 s5, 8, v23
	v_and_b32_sdwa v10, v18, v10 dst_sel:DWORD dst_unused:UNUSED_PAD src0_sel:BYTE_3 src1_sel:DWORD
	v_mov_b32_e32 v24, v11
	v_mov_b32_e32 v23, v10
	s_and_saveexec_b32 s21, s5
; %bb.1821:                             ;   in Loop: Header=BB358_1066 Depth=1
	v_ffbh_u32_e32 v23, v10
	v_min_u32_e32 v28, 32, v23
	v_subrev_nc_u32_e32 v23, 28, v28
	v_sub_nc_u32_e32 v28, 29, v28
	v_lshlrev_b64 v[23:24], v23, v[10:11]
	v_and_b32_e32 v23, 7, v23
; %bb.1822:                             ;   in Loop: Header=BB358_1066 Depth=1
	s_or_b32 exec_lo, exec_lo, s21
	v_mov_b32_e32 v10, 24
	v_lshlrev_b32_e32 v23, 20, v23
	v_lshl_add_u32 v24, v28, 23, 0x3c000000
	v_lshlrev_b32_sdwa v10, v10, v18 dst_sel:DWORD dst_unused:UNUSED_PAD src0_sel:DWORD src1_sel:BYTE_3
	v_and_b32_e32 v10, 0x80000000, v10
	v_or3_b32 v80, v23, v10, v24
.LBB358_1823:                           ;   in Loop: Header=BB358_1066 Depth=1
	s_or_b32 exec_lo, exec_lo, s20
.LBB358_1824:                           ;   in Loop: Header=BB358_1066 Depth=1
	s_or_b32 exec_lo, exec_lo, s18
.LBB358_1825:                           ;   in Loop: Header=BB358_1066 Depth=1
	s_or_b32 exec_lo, exec_lo, s17
	v_mov_b32_e32 v10, v19
	v_cmp_ne_u16_sdwa s5, v19, v11 src0_sel:BYTE_0 src1_sel:DWORD
	v_mov_b32_e32 v54, 0
	v_mov_b32_e32 v28, 0
	s_and_saveexec_b32 s17, s5
	s_cbranch_execz .LBB358_1833
; %bb.1826:                             ;   in Loop: Header=BB358_1066 Depth=1
	v_cmp_ne_u16_sdwa s5, v19, v65 src0_sel:BYTE_0 src1_sel:DWORD
	v_bfrev_b32_e32 v28, 1
	s_and_saveexec_b32 s18, s5
	s_cbranch_execz .LBB358_1832
; %bb.1827:                             ;   in Loop: Header=BB358_1066 Depth=1
	v_and_b32_e32 v23, 0x7f, v19
	v_mov_b32_e32 v28, 0x7f800001
	s_mov_b32 s20, exec_lo
	v_cmpx_ne_u32_e32 0x7f, v23
	s_cbranch_execz .LBB358_1831
; %bb.1828:                             ;   in Loop: Header=BB358_1066 Depth=1
	v_lshrrev_b32_e32 v28, 3, v23
	v_cmp_gt_u32_e64 s5, 8, v23
	v_mov_b32_e32 v24, v11
	v_mov_b32_e32 v23, v10
	s_and_saveexec_b32 s21, s5
; %bb.1829:                             ;   in Loop: Header=BB358_1066 Depth=1
	v_and_b32_e32 v23, 7, v19
	v_ffbh_u32_e32 v23, v23
	v_min_u32_e32 v28, 32, v23
	v_subrev_nc_u32_e32 v23, 28, v28
	v_sub_nc_u32_e32 v28, 29, v28
	v_lshlrev_b64 v[23:24], v23, v[10:11]
; %bb.1830:                             ;   in Loop: Header=BB358_1066 Depth=1
	s_or_b32 exec_lo, exec_lo, s21
	v_lshlrev_b32_e32 v23, 20, v23
	v_lshlrev_b32_e32 v24, 24, v10
	v_lshl_add_u32 v28, v28, 23, 0x3c000000
	v_and_b32_e32 v23, 0x700000, v23
	v_and_b32_e32 v24, 0x80000000, v24
	v_or3_b32 v28, v23, v24, v28
.LBB358_1831:                           ;   in Loop: Header=BB358_1066 Depth=1
	s_or_b32 exec_lo, exec_lo, s20
.LBB358_1832:                           ;   in Loop: Header=BB358_1066 Depth=1
	s_or_b32 exec_lo, exec_lo, s18
.LBB358_1833:                           ;   in Loop: Header=BB358_1066 Depth=1
	s_or_b32 exec_lo, exec_lo, s17
	v_cmp_ne_u16_sdwa s5, v10, v11 src0_sel:BYTE_1 src1_sel:DWORD
	s_and_saveexec_b32 s17, s5
	s_cbranch_execz .LBB358_1841
; %bb.1834:                             ;   in Loop: Header=BB358_1066 Depth=1
	v_cmp_ne_u16_sdwa s5, v10, v65 src0_sel:BYTE_1 src1_sel:DWORD
	v_bfrev_b32_e32 v54, 1
	s_and_saveexec_b32 s18, s5
	s_cbranch_execz .LBB358_1840
; %bb.1835:                             ;   in Loop: Header=BB358_1066 Depth=1
	v_mov_b32_e32 v23, 0xffff
	v_mov_b32_e32 v54, 0x7f800001
	s_mov_b32 s20, exec_lo
	v_and_b32_sdwa v23, v23, v10 dst_sel:DWORD dst_unused:UNUSED_PAD src0_sel:DWORD src1_sel:BYTE_1
	v_and_b32_e32 v81, 0x7f, v23
	v_cmpx_ne_u32_e32 0x7f, v81
	s_cbranch_execz .LBB358_1839
; %bb.1836:                             ;   in Loop: Header=BB358_1066 Depth=1
	v_and_b32_e32 v23, 7, v23
	v_mov_b32_e32 v24, v11
	v_lshrrev_b32_e32 v54, 3, v81
	s_mov_b32 s21, exec_lo
	v_cmpx_gt_u32_e32 8, v81
; %bb.1837:                             ;   in Loop: Header=BB358_1066 Depth=1
	v_ffbh_u32_e32 v54, v23
	v_min_u32_e32 v54, 32, v54
	v_subrev_nc_u32_e32 v64, 28, v54
	v_sub_nc_u32_e32 v54, 29, v54
	v_lshlrev_b64 v[23:24], v64, v[23:24]
	v_and_b32_e32 v23, 7, v23
; %bb.1838:                             ;   in Loop: Header=BB358_1066 Depth=1
	s_or_b32 exec_lo, exec_lo, s21
	v_lshlrev_b32_e32 v10, 16, v10
	v_lshlrev_b32_e32 v23, 20, v23
	v_lshl_add_u32 v24, v54, 23, 0x3c000000
	v_and_b32_e32 v10, 0x80000000, v10
	v_or3_b32 v54, v23, v10, v24
.LBB358_1839:                           ;   in Loop: Header=BB358_1066 Depth=1
	s_or_b32 exec_lo, exec_lo, s20
.LBB358_1840:                           ;   in Loop: Header=BB358_1066 Depth=1
	s_or_b32 exec_lo, exec_lo, s18
.LBB358_1841:                           ;   in Loop: Header=BB358_1066 Depth=1
	s_or_b32 exec_lo, exec_lo, s17
	v_and_b32_sdwa v10, v19, v70 dst_sel:DWORD dst_unused:UNUSED_PAD src0_sel:WORD_1 src1_sel:DWORD
	v_mov_b32_e32 v103, 0
	v_mov_b32_e32 v83, 0
	s_mov_b32 s17, exec_lo
	v_cmpx_ne_u16_e32 0, v10
	s_cbranch_execz .LBB358_1849
; %bb.1842:                             ;   in Loop: Header=BB358_1066 Depth=1
	v_bfrev_b32_e32 v83, 1
	s_mov_b32 s18, exec_lo
	v_cmpx_ne_u16_e32 0x80, v10
	s_cbranch_execz .LBB358_1848
; %bb.1843:                             ;   in Loop: Header=BB358_1066 Depth=1
	v_bfe_u32 v23, v19, 16, 7
	v_mov_b32_e32 v83, 0x7f800001
	s_mov_b32 s20, exec_lo
	v_cmpx_ne_u32_e32 0x7f, v23
	s_cbranch_execz .LBB358_1847
; %bb.1844:                             ;   in Loop: Header=BB358_1066 Depth=1
	v_mov_b32_e32 v10, 7
	v_lshrrev_b32_e32 v81, 3, v23
	v_cmp_gt_u32_e64 s5, 8, v23
	v_and_b32_sdwa v10, v19, v10 dst_sel:DWORD dst_unused:UNUSED_PAD src0_sel:WORD_1 src1_sel:DWORD
	v_mov_b32_e32 v24, v11
	v_mov_b32_e32 v23, v10
	s_and_saveexec_b32 s21, s5
; %bb.1845:                             ;   in Loop: Header=BB358_1066 Depth=1
	v_ffbh_u32_e32 v23, v10
	v_min_u32_e32 v64, 32, v23
	v_subrev_nc_u32_e32 v23, 28, v64
	v_sub_nc_u32_e32 v81, 29, v64
	v_lshlrev_b64 v[23:24], v23, v[10:11]
	v_and_b32_e32 v23, 7, v23
; %bb.1846:                             ;   in Loop: Header=BB358_1066 Depth=1
	s_or_b32 exec_lo, exec_lo, s21
	v_mov_b32_e32 v10, 24
	v_lshlrev_b32_e32 v23, 20, v23
	v_lshl_add_u32 v24, v81, 23, 0x3c000000
	v_lshlrev_b32_sdwa v10, v10, v19 dst_sel:DWORD dst_unused:UNUSED_PAD src0_sel:DWORD src1_sel:WORD_1
	v_and_b32_e32 v10, 0x80000000, v10
	v_or3_b32 v83, v23, v10, v24
.LBB358_1847:                           ;   in Loop: Header=BB358_1066 Depth=1
	s_or_b32 exec_lo, exec_lo, s20
.LBB358_1848:                           ;   in Loop: Header=BB358_1066 Depth=1
	s_or_b32 exec_lo, exec_lo, s18
.LBB358_1849:                           ;   in Loop: Header=BB358_1066 Depth=1
	s_or_b32 exec_lo, exec_lo, s17
	s_mov_b32 s17, exec_lo
	v_cmpx_lt_u64_e64 s[12:13], v[18:19]
	s_cbranch_execz .LBB358_1857
; %bb.1850:                             ;   in Loop: Header=BB358_1066 Depth=1
	v_cmp_ne_u32_sdwa s5, v19, v65 src0_sel:BYTE_3 src1_sel:DWORD
	v_bfrev_b32_e32 v103, 1
	s_and_saveexec_b32 s18, s5
	s_cbranch_execz .LBB358_1856
; %bb.1851:                             ;   in Loop: Header=BB358_1066 Depth=1
	v_bfe_u32 v23, v19, 24, 7
	v_mov_b32_e32 v103, 0x7f800001
	s_mov_b32 s20, exec_lo
	v_cmpx_ne_u32_e32 0x7f, v23
	s_cbranch_execz .LBB358_1855
; %bb.1852:                             ;   in Loop: Header=BB358_1066 Depth=1
	v_mov_b32_e32 v10, 7
	v_lshrrev_b32_e32 v18, 3, v23
	v_cmp_gt_u32_e64 s5, 8, v23
	v_and_b32_sdwa v10, v19, v10 dst_sel:DWORD dst_unused:UNUSED_PAD src0_sel:BYTE_3 src1_sel:DWORD
	v_mov_b32_e32 v24, v11
	v_mov_b32_e32 v23, v10
	s_and_saveexec_b32 s21, s5
; %bb.1853:                             ;   in Loop: Header=BB358_1066 Depth=1
	v_ffbh_u32_e32 v18, v10
	v_min_u32_e32 v18, 32, v18
	v_subrev_nc_u32_e32 v23, 28, v18
	v_sub_nc_u32_e32 v18, 29, v18
	v_lshlrev_b64 v[23:24], v23, v[10:11]
	v_and_b32_e32 v23, 7, v23
; %bb.1854:                             ;   in Loop: Header=BB358_1066 Depth=1
	s_or_b32 exec_lo, exec_lo, s21
	v_mov_b32_e32 v10, 24
	v_lshl_add_u32 v18, v18, 23, 0x3c000000
	v_lshlrev_b32_sdwa v10, v10, v19 dst_sel:DWORD dst_unused:UNUSED_PAD src0_sel:DWORD src1_sel:BYTE_3
	v_lshlrev_b32_e32 v19, 20, v23
	v_and_b32_e32 v10, 0x80000000, v10
	v_or3_b32 v103, v19, v10, v18
.LBB358_1855:                           ;   in Loop: Header=BB358_1066 Depth=1
	s_or_b32 exec_lo, exec_lo, s20
.LBB358_1856:                           ;   in Loop: Header=BB358_1066 Depth=1
	s_or_b32 exec_lo, exec_lo, s18
.LBB358_1857:                           ;   in Loop: Header=BB358_1066 Depth=1
	s_or_b32 exec_lo, exec_lo, s17
	v_mul_f32_e32 v10, v58, v54
	v_bfe_u32 v18, v10, 16, 1
	v_or_b32_e32 v19, 0x400000, v10
	v_cmp_u_f32_e64 s5, v10, v10
	v_add3_u32 v18, v18, v10, 0x7fff
	v_cndmask_b32_e64 v10, v18, v19, s5
	v_lshrrev_b32_e32 v54, 16, v10
	v_mul_f32_e32 v10, v58, v28
	v_bfe_u32 v18, v10, 16, 1
	v_or_b32_e32 v19, 0x400000, v10
	v_cmp_u_f32_e64 s5, v10, v10
	v_add3_u32 v18, v18, v10, 0x7fff
	v_cndmask_b32_e64 v10, v18, v19, s5
	v_lshrrev_b32_e32 v28, 16, v10
	;; [unrolled: 7-line block ×8, first 2 shown]
	s_and_saveexec_b32 s17, vcc_lo
	s_cbranch_execz .LBB358_1859
; %bb.1858:                             ;   in Loop: Header=BB358_1066 Depth=1
	v_cmp_lt_i32_e64 s5, v75, v96
	v_cndmask_b32_e64 v85, 0, v85, s5
	v_cmp_lt_i32_e64 s5, v90, v96
	v_cndmask_b32_e64 v84, 0, v84, s5
	;; [unrolled: 2-line block ×8, first 2 shown]
.LBB358_1859:                           ;   in Loop: Header=BB358_1066 Depth=1
	s_or_b32 exec_lo, exec_lo, s17
	flat_load_dwordx2 v[18:19], v[16:17] offset:1024
	v_mov_b32_e32 v71, 0
	v_mov_b32_e32 v69, 0
	s_waitcnt vmcnt(0) lgkmcnt(0)
	v_cmp_ne_u16_sdwa s5, v18, v11 src0_sel:BYTE_0 src1_sel:DWORD
	s_and_saveexec_b32 s17, s5
	s_cbranch_execz .LBB358_1867
; %bb.1860:                             ;   in Loop: Header=BB358_1066 Depth=1
	v_cmp_ne_u16_sdwa s5, v18, v65 src0_sel:BYTE_0 src1_sel:DWORD
	v_bfrev_b32_e32 v69, 1
	s_and_saveexec_b32 s18, s5
	s_cbranch_execz .LBB358_1866
; %bb.1861:                             ;   in Loop: Header=BB358_1066 Depth=1
	v_and_b32_e32 v23, 0x7f, v18
	v_mov_b32_e32 v69, 0x7f800001
	s_mov_b32 s20, exec_lo
	v_cmpx_ne_u32_e32 0x7f, v23
	s_cbranch_execz .LBB358_1865
; %bb.1862:                             ;   in Loop: Header=BB358_1066 Depth=1
	v_lshrrev_b32_e32 v10, 3, v23
	v_cmp_gt_u32_e64 s5, 8, v23
	v_mov_b32_e32 v24, v19
	v_mov_b32_e32 v23, v18
	s_and_saveexec_b32 s21, s5
; %bb.1863:                             ;   in Loop: Header=BB358_1066 Depth=1
	v_and_b32_e32 v10, 7, v18
	v_ffbh_u32_e32 v10, v10
	v_min_u32_e32 v10, 32, v10
	v_subrev_nc_u32_e32 v23, 28, v10
	v_sub_nc_u32_e32 v10, 29, v10
	v_lshlrev_b64 v[23:24], v23, v[18:19]
; %bb.1864:                             ;   in Loop: Header=BB358_1066 Depth=1
	s_or_b32 exec_lo, exec_lo, s21
	v_lshlrev_b32_e32 v23, 20, v23
	v_lshlrev_b32_e32 v24, 24, v18
	v_lshl_add_u32 v10, v10, 23, 0x3c000000
	v_and_b32_e32 v23, 0x700000, v23
	v_and_b32_e32 v24, 0x80000000, v24
	v_or3_b32 v69, v23, v24, v10
.LBB358_1865:                           ;   in Loop: Header=BB358_1066 Depth=1
	s_or_b32 exec_lo, exec_lo, s20
.LBB358_1866:                           ;   in Loop: Header=BB358_1066 Depth=1
	s_or_b32 exec_lo, exec_lo, s18
.LBB358_1867:                           ;   in Loop: Header=BB358_1066 Depth=1
	s_or_b32 exec_lo, exec_lo, s17
	v_cmp_ne_u16_sdwa s5, v18, v11 src0_sel:BYTE_1 src1_sel:DWORD
	s_and_saveexec_b32 s17, s5
	s_cbranch_execz .LBB358_1875
; %bb.1868:                             ;   in Loop: Header=BB358_1066 Depth=1
	v_cmp_ne_u16_sdwa s5, v18, v65 src0_sel:BYTE_1 src1_sel:DWORD
	v_bfrev_b32_e32 v71, 1
	s_and_saveexec_b32 s18, s5
	s_cbranch_execz .LBB358_1874
; %bb.1869:                             ;   in Loop: Header=BB358_1066 Depth=1
	v_mov_b32_e32 v10, 0xffff
	v_mov_b32_e32 v71, 0x7f800001
	s_mov_b32 s20, exec_lo
	v_and_b32_sdwa v10, v10, v18 dst_sel:DWORD dst_unused:UNUSED_PAD src0_sel:DWORD src1_sel:BYTE_1
	v_and_b32_e32 v23, 0x7f, v10
	v_cmpx_ne_u32_e32 0x7f, v23
	s_cbranch_execz .LBB358_1873
; %bb.1870:                             ;   in Loop: Header=BB358_1066 Depth=1
	v_and_b32_e32 v10, 7, v10
	v_lshrrev_b32_e32 v71, 3, v23
	v_cmp_gt_u32_e64 s5, 8, v23
	v_mov_b32_e32 v24, v11
	v_mov_b32_e32 v23, v10
	s_and_saveexec_b32 s21, s5
; %bb.1871:                             ;   in Loop: Header=BB358_1066 Depth=1
	v_ffbh_u32_e32 v23, v10
	v_min_u32_e32 v64, 32, v23
	v_subrev_nc_u32_e32 v23, 28, v64
	v_sub_nc_u32_e32 v71, 29, v64
	v_lshlrev_b64 v[23:24], v23, v[10:11]
	v_and_b32_e32 v23, 7, v23
; %bb.1872:                             ;   in Loop: Header=BB358_1066 Depth=1
	s_or_b32 exec_lo, exec_lo, s21
	v_lshlrev_b32_e32 v10, 16, v18
	v_lshlrev_b32_e32 v23, 20, v23
	v_lshl_add_u32 v24, v71, 23, 0x3c000000
	v_and_b32_e32 v10, 0x80000000, v10
	v_or3_b32 v71, v23, v10, v24
.LBB358_1873:                           ;   in Loop: Header=BB358_1066 Depth=1
	s_or_b32 exec_lo, exec_lo, s20
.LBB358_1874:                           ;   in Loop: Header=BB358_1066 Depth=1
	s_or_b32 exec_lo, exec_lo, s18
.LBB358_1875:                           ;   in Loop: Header=BB358_1066 Depth=1
	s_or_b32 exec_lo, exec_lo, s17
	v_and_b32_sdwa v10, v18, v70 dst_sel:DWORD dst_unused:UNUSED_PAD src0_sel:WORD_1 src1_sel:DWORD
	v_mov_b32_e32 v80, 0
	v_mov_b32_e32 v112, 0
	s_mov_b32 s17, exec_lo
	v_cmpx_ne_u16_e32 0, v10
	s_cbranch_execz .LBB358_1883
; %bb.1876:                             ;   in Loop: Header=BB358_1066 Depth=1
	v_bfrev_b32_e32 v112, 1
	s_mov_b32 s18, exec_lo
	v_cmpx_ne_u16_e32 0x80, v10
	s_cbranch_execz .LBB358_1882
; %bb.1877:                             ;   in Loop: Header=BB358_1066 Depth=1
	v_bfe_u32 v23, v18, 16, 7
	v_mov_b32_e32 v112, 0x7f800001
	s_mov_b32 s20, exec_lo
	v_cmpx_ne_u32_e32 0x7f, v23
	s_cbranch_execz .LBB358_1881
; %bb.1878:                             ;   in Loop: Header=BB358_1066 Depth=1
	v_mov_b32_e32 v10, 7
	v_lshrrev_b32_e32 v112, 3, v23
	v_cmp_gt_u32_e64 s5, 8, v23
	v_and_b32_sdwa v10, v18, v10 dst_sel:DWORD dst_unused:UNUSED_PAD src0_sel:WORD_1 src1_sel:DWORD
	v_mov_b32_e32 v24, v11
	v_mov_b32_e32 v23, v10
	s_and_saveexec_b32 s21, s5
; %bb.1879:                             ;   in Loop: Header=BB358_1066 Depth=1
	v_ffbh_u32_e32 v23, v10
	v_min_u32_e32 v64, 32, v23
	v_subrev_nc_u32_e32 v23, 28, v64
	v_sub_nc_u32_e32 v112, 29, v64
	v_lshlrev_b64 v[23:24], v23, v[10:11]
	v_and_b32_e32 v23, 7, v23
; %bb.1880:                             ;   in Loop: Header=BB358_1066 Depth=1
	s_or_b32 exec_lo, exec_lo, s21
	v_mov_b32_e32 v10, 24
	v_lshlrev_b32_e32 v23, 20, v23
	v_lshl_add_u32 v24, v112, 23, 0x3c000000
	v_lshlrev_b32_sdwa v10, v10, v18 dst_sel:DWORD dst_unused:UNUSED_PAD src0_sel:DWORD src1_sel:WORD_1
	v_and_b32_e32 v10, 0x80000000, v10
	v_or3_b32 v112, v23, v10, v24
.LBB358_1881:                           ;   in Loop: Header=BB358_1066 Depth=1
	s_or_b32 exec_lo, exec_lo, s20
.LBB358_1882:                           ;   in Loop: Header=BB358_1066 Depth=1
	s_or_b32 exec_lo, exec_lo, s18
.LBB358_1883:                           ;   in Loop: Header=BB358_1066 Depth=1
	s_or_b32 exec_lo, exec_lo, s17
	s_mov_b32 s17, exec_lo
	v_cmpx_lt_u32_e32 0xffffff, v18
	s_cbranch_execz .LBB358_1891
; %bb.1884:                             ;   in Loop: Header=BB358_1066 Depth=1
	v_cmp_ne_u32_sdwa s5, v18, v65 src0_sel:BYTE_3 src1_sel:DWORD
	v_bfrev_b32_e32 v80, 1
	s_and_saveexec_b32 s18, s5
	s_cbranch_execz .LBB358_1890
; %bb.1885:                             ;   in Loop: Header=BB358_1066 Depth=1
	v_bfe_u32 v23, v18, 24, 7
	v_mov_b32_e32 v80, 0x7f800001
	s_mov_b32 s20, exec_lo
	v_cmpx_ne_u32_e32 0x7f, v23
	s_cbranch_execz .LBB358_1889
; %bb.1886:                             ;   in Loop: Header=BB358_1066 Depth=1
	v_mov_b32_e32 v10, 7
	v_lshrrev_b32_e32 v80, 3, v23
	v_cmp_gt_u32_e64 s5, 8, v23
	v_and_b32_sdwa v10, v18, v10 dst_sel:DWORD dst_unused:UNUSED_PAD src0_sel:BYTE_3 src1_sel:DWORD
	v_mov_b32_e32 v24, v11
	v_mov_b32_e32 v23, v10
	s_and_saveexec_b32 s21, s5
; %bb.1887:                             ;   in Loop: Header=BB358_1066 Depth=1
	v_ffbh_u32_e32 v23, v10
	v_min_u32_e32 v64, 32, v23
	v_subrev_nc_u32_e32 v23, 28, v64
	v_sub_nc_u32_e32 v80, 29, v64
	v_lshlrev_b64 v[23:24], v23, v[10:11]
	v_and_b32_e32 v23, 7, v23
; %bb.1888:                             ;   in Loop: Header=BB358_1066 Depth=1
	s_or_b32 exec_lo, exec_lo, s21
	v_mov_b32_e32 v10, 24
	v_lshlrev_b32_e32 v23, 20, v23
	v_lshl_add_u32 v24, v80, 23, 0x3c000000
	v_lshlrev_b32_sdwa v10, v10, v18 dst_sel:DWORD dst_unused:UNUSED_PAD src0_sel:DWORD src1_sel:BYTE_3
	v_and_b32_e32 v10, 0x80000000, v10
	v_or3_b32 v80, v23, v10, v24
.LBB358_1889:                           ;   in Loop: Header=BB358_1066 Depth=1
	s_or_b32 exec_lo, exec_lo, s20
.LBB358_1890:                           ;   in Loop: Header=BB358_1066 Depth=1
	s_or_b32 exec_lo, exec_lo, s18
.LBB358_1891:                           ;   in Loop: Header=BB358_1066 Depth=1
	s_or_b32 exec_lo, exec_lo, s17
	v_mov_b32_e32 v10, v19
	v_cmp_ne_u16_sdwa s5, v19, v11 src0_sel:BYTE_0 src1_sel:DWORD
	v_mov_b32_e32 v113, 0
	v_mov_b32_e32 v114, 0
	s_and_saveexec_b32 s17, s5
	s_cbranch_execz .LBB358_1899
; %bb.1892:                             ;   in Loop: Header=BB358_1066 Depth=1
	v_cmp_ne_u16_sdwa s5, v19, v65 src0_sel:BYTE_0 src1_sel:DWORD
	v_bfrev_b32_e32 v114, 1
	s_and_saveexec_b32 s18, s5
	s_cbranch_execz .LBB358_1898
; %bb.1893:                             ;   in Loop: Header=BB358_1066 Depth=1
	v_and_b32_e32 v23, 0x7f, v19
	v_mov_b32_e32 v114, 0x7f800001
	s_mov_b32 s20, exec_lo
	v_cmpx_ne_u32_e32 0x7f, v23
	s_cbranch_execz .LBB358_1897
; %bb.1894:                             ;   in Loop: Header=BB358_1066 Depth=1
	v_lshrrev_b32_e32 v114, 3, v23
	v_cmp_gt_u32_e64 s5, 8, v23
	v_mov_b32_e32 v24, v11
	v_mov_b32_e32 v23, v10
	s_and_saveexec_b32 s21, s5
; %bb.1895:                             ;   in Loop: Header=BB358_1066 Depth=1
	v_and_b32_e32 v23, 7, v19
	v_ffbh_u32_e32 v23, v23
	v_min_u32_e32 v64, 32, v23
	v_subrev_nc_u32_e32 v23, 28, v64
	v_sub_nc_u32_e32 v114, 29, v64
	v_lshlrev_b64 v[23:24], v23, v[10:11]
; %bb.1896:                             ;   in Loop: Header=BB358_1066 Depth=1
	s_or_b32 exec_lo, exec_lo, s21
	v_lshlrev_b32_e32 v23, 20, v23
	v_lshlrev_b32_e32 v24, 24, v10
	v_lshl_add_u32 v64, v114, 23, 0x3c000000
	v_and_b32_e32 v23, 0x700000, v23
	v_and_b32_e32 v24, 0x80000000, v24
	v_or3_b32 v114, v23, v24, v64
.LBB358_1897:                           ;   in Loop: Header=BB358_1066 Depth=1
	s_or_b32 exec_lo, exec_lo, s20
.LBB358_1898:                           ;   in Loop: Header=BB358_1066 Depth=1
	s_or_b32 exec_lo, exec_lo, s18
.LBB358_1899:                           ;   in Loop: Header=BB358_1066 Depth=1
	s_or_b32 exec_lo, exec_lo, s17
	v_cmp_ne_u16_sdwa s5, v10, v11 src0_sel:BYTE_1 src1_sel:DWORD
	s_and_saveexec_b32 s17, s5
	s_cbranch_execz .LBB358_1907
; %bb.1900:                             ;   in Loop: Header=BB358_1066 Depth=1
	v_cmp_ne_u16_sdwa s5, v10, v65 src0_sel:BYTE_1 src1_sel:DWORD
	v_bfrev_b32_e32 v113, 1
	s_and_saveexec_b32 s18, s5
	s_cbranch_execz .LBB358_1906
; %bb.1901:                             ;   in Loop: Header=BB358_1066 Depth=1
	v_mov_b32_e32 v23, 0xffff
	v_mov_b32_e32 v113, 0x7f800001
	s_mov_b32 s20, exec_lo
	v_and_b32_sdwa v23, v23, v10 dst_sel:DWORD dst_unused:UNUSED_PAD src0_sel:DWORD src1_sel:BYTE_1
	v_and_b32_e32 v115, 0x7f, v23
	v_cmpx_ne_u32_e32 0x7f, v115
	s_cbranch_execz .LBB358_1905
; %bb.1902:                             ;   in Loop: Header=BB358_1066 Depth=1
	v_and_b32_e32 v23, 7, v23
	v_mov_b32_e32 v24, v11
	v_lshrrev_b32_e32 v113, 3, v115
	s_mov_b32 s21, exec_lo
	v_cmpx_gt_u32_e32 8, v115
; %bb.1903:                             ;   in Loop: Header=BB358_1066 Depth=1
	v_ffbh_u32_e32 v64, v23
	v_min_u32_e32 v64, 32, v64
	v_subrev_nc_u32_e32 v113, 28, v64
	v_lshlrev_b64 v[23:24], v113, v[23:24]
	v_sub_nc_u32_e32 v113, 29, v64
	v_and_b32_e32 v23, 7, v23
; %bb.1904:                             ;   in Loop: Header=BB358_1066 Depth=1
	s_or_b32 exec_lo, exec_lo, s21
	v_lshlrev_b32_e32 v10, 16, v10
	v_lshlrev_b32_e32 v23, 20, v23
	v_lshl_add_u32 v24, v113, 23, 0x3c000000
	v_and_b32_e32 v10, 0x80000000, v10
	v_or3_b32 v113, v23, v10, v24
.LBB358_1905:                           ;   in Loop: Header=BB358_1066 Depth=1
	s_or_b32 exec_lo, exec_lo, s20
.LBB358_1906:                           ;   in Loop: Header=BB358_1066 Depth=1
	s_or_b32 exec_lo, exec_lo, s18
.LBB358_1907:                           ;   in Loop: Header=BB358_1066 Depth=1
	s_or_b32 exec_lo, exec_lo, s17
	v_and_b32_sdwa v10, v19, v70 dst_sel:DWORD dst_unused:UNUSED_PAD src0_sel:WORD_1 src1_sel:DWORD
	v_mov_b32_e32 v40, 0
	v_mov_b32_e32 v117, 0
	s_mov_b32 s17, exec_lo
	v_cmpx_ne_u16_e32 0, v10
	s_cbranch_execz .LBB358_1915
; %bb.1908:                             ;   in Loop: Header=BB358_1066 Depth=1
	v_bfrev_b32_e32 v117, 1
	s_mov_b32 s18, exec_lo
	v_cmpx_ne_u16_e32 0x80, v10
	s_cbranch_execz .LBB358_1914
; %bb.1909:                             ;   in Loop: Header=BB358_1066 Depth=1
	v_bfe_u32 v23, v19, 16, 7
	v_mov_b32_e32 v117, 0x7f800001
	s_mov_b32 s20, exec_lo
	v_cmpx_ne_u32_e32 0x7f, v23
	s_cbranch_execz .LBB358_1913
; %bb.1910:                             ;   in Loop: Header=BB358_1066 Depth=1
	v_mov_b32_e32 v10, 7
	v_lshrrev_b32_e32 v115, 3, v23
	v_cmp_gt_u32_e64 s5, 8, v23
	v_and_b32_sdwa v10, v19, v10 dst_sel:DWORD dst_unused:UNUSED_PAD src0_sel:WORD_1 src1_sel:DWORD
	v_mov_b32_e32 v24, v11
	v_mov_b32_e32 v23, v10
	s_and_saveexec_b32 s21, s5
; %bb.1911:                             ;   in Loop: Header=BB358_1066 Depth=1
	v_ffbh_u32_e32 v23, v10
	v_min_u32_e32 v64, 32, v23
	v_subrev_nc_u32_e32 v23, 28, v64
	v_sub_nc_u32_e32 v115, 29, v64
	v_lshlrev_b64 v[23:24], v23, v[10:11]
	v_and_b32_e32 v23, 7, v23
; %bb.1912:                             ;   in Loop: Header=BB358_1066 Depth=1
	s_or_b32 exec_lo, exec_lo, s21
	v_mov_b32_e32 v10, 24
	v_lshlrev_b32_e32 v23, 20, v23
	v_lshl_add_u32 v24, v115, 23, 0x3c000000
	v_lshlrev_b32_sdwa v10, v10, v19 dst_sel:DWORD dst_unused:UNUSED_PAD src0_sel:DWORD src1_sel:WORD_1
	v_and_b32_e32 v10, 0x80000000, v10
	v_or3_b32 v117, v23, v10, v24
.LBB358_1913:                           ;   in Loop: Header=BB358_1066 Depth=1
	s_or_b32 exec_lo, exec_lo, s20
.LBB358_1914:                           ;   in Loop: Header=BB358_1066 Depth=1
	s_or_b32 exec_lo, exec_lo, s18
.LBB358_1915:                           ;   in Loop: Header=BB358_1066 Depth=1
	s_or_b32 exec_lo, exec_lo, s17
	s_mov_b32 s17, exec_lo
	v_cmpx_lt_u64_e64 s[12:13], v[18:19]
	s_cbranch_execz .LBB358_1923
; %bb.1916:                             ;   in Loop: Header=BB358_1066 Depth=1
	v_cmp_ne_u32_sdwa s5, v19, v65 src0_sel:BYTE_3 src1_sel:DWORD
	v_bfrev_b32_e32 v40, 1
	s_and_saveexec_b32 s18, s5
	s_cbranch_execz .LBB358_1922
; %bb.1917:                             ;   in Loop: Header=BB358_1066 Depth=1
	v_bfe_u32 v23, v19, 24, 7
	v_mov_b32_e32 v40, 0x7f800001
	s_mov_b32 s20, exec_lo
	v_cmpx_ne_u32_e32 0x7f, v23
	s_cbranch_execz .LBB358_1921
; %bb.1918:                             ;   in Loop: Header=BB358_1066 Depth=1
	v_mov_b32_e32 v10, 7
	v_lshrrev_b32_e32 v18, 3, v23
	v_cmp_gt_u32_e64 s5, 8, v23
	v_and_b32_sdwa v10, v19, v10 dst_sel:DWORD dst_unused:UNUSED_PAD src0_sel:BYTE_3 src1_sel:DWORD
	v_mov_b32_e32 v24, v11
	v_mov_b32_e32 v23, v10
	s_and_saveexec_b32 s21, s5
; %bb.1919:                             ;   in Loop: Header=BB358_1066 Depth=1
	v_ffbh_u32_e32 v18, v10
	v_min_u32_e32 v18, 32, v18
	v_subrev_nc_u32_e32 v23, 28, v18
	v_sub_nc_u32_e32 v18, 29, v18
	v_lshlrev_b64 v[23:24], v23, v[10:11]
	v_and_b32_e32 v23, 7, v23
; %bb.1920:                             ;   in Loop: Header=BB358_1066 Depth=1
	s_or_b32 exec_lo, exec_lo, s21
	v_mov_b32_e32 v10, 24
	v_lshl_add_u32 v18, v18, 23, 0x3c000000
	v_lshlrev_b32_sdwa v10, v10, v19 dst_sel:DWORD dst_unused:UNUSED_PAD src0_sel:DWORD src1_sel:BYTE_3
	v_lshlrev_b32_e32 v19, 20, v23
	v_and_b32_e32 v10, 0x80000000, v10
	v_or3_b32 v40, v19, v10, v18
.LBB358_1921:                           ;   in Loop: Header=BB358_1066 Depth=1
	s_or_b32 exec_lo, exec_lo, s20
.LBB358_1922:                           ;   in Loop: Header=BB358_1066 Depth=1
	s_or_b32 exec_lo, exec_lo, s18
.LBB358_1923:                           ;   in Loop: Header=BB358_1066 Depth=1
	s_or_b32 exec_lo, exec_lo, s17
	v_mul_f32_e32 v10, v58, v113
	v_bfe_u32 v18, v10, 16, 1
	v_or_b32_e32 v19, 0x400000, v10
	v_cmp_u_f32_e64 s5, v10, v10
	v_add3_u32 v18, v18, v10, 0x7fff
	v_cndmask_b32_e64 v10, v18, v19, s5
	v_lshrrev_b32_e32 v113, 16, v10
	v_mul_f32_e32 v10, v58, v114
	v_bfe_u32 v18, v10, 16, 1
	v_or_b32_e32 v19, 0x400000, v10
	v_cmp_u_f32_e64 s5, v10, v10
	v_add3_u32 v18, v18, v10, 0x7fff
	v_cndmask_b32_e64 v10, v18, v19, s5
	v_lshrrev_b32_e32 v114, 16, v10
	;; [unrolled: 7-line block ×8, first 2 shown]
	s_and_saveexec_b32 s17, vcc_lo
	s_cbranch_execz .LBB358_1925
; %bb.1924:                             ;   in Loop: Header=BB358_1066 Depth=1
	v_cmp_lt_i32_e64 s5, v75, v96
	v_cndmask_b32_e64 v119, 0, v119, s5
	v_cmp_lt_i32_e64 s5, v90, v96
	v_cndmask_b32_e64 v118, 0, v118, s5
	;; [unrolled: 2-line block ×8, first 2 shown]
.LBB358_1925:                           ;   in Loop: Header=BB358_1066 Depth=1
	s_or_b32 exec_lo, exec_lo, s17
	flat_load_dwordx2 v[18:19], v[16:17] offset:1280
	v_mov_b32_e32 v71, 0
	v_mov_b32_e32 v69, 0
	s_waitcnt vmcnt(0) lgkmcnt(0)
	v_cmp_ne_u16_sdwa s5, v18, v11 src0_sel:BYTE_0 src1_sel:DWORD
	s_and_saveexec_b32 s17, s5
	s_cbranch_execz .LBB358_1933
; %bb.1926:                             ;   in Loop: Header=BB358_1066 Depth=1
	v_cmp_ne_u16_sdwa s5, v18, v65 src0_sel:BYTE_0 src1_sel:DWORD
	v_bfrev_b32_e32 v69, 1
	s_and_saveexec_b32 s18, s5
	s_cbranch_execz .LBB358_1932
; %bb.1927:                             ;   in Loop: Header=BB358_1066 Depth=1
	v_and_b32_e32 v23, 0x7f, v18
	v_mov_b32_e32 v69, 0x7f800001
	s_mov_b32 s20, exec_lo
	v_cmpx_ne_u32_e32 0x7f, v23
	s_cbranch_execz .LBB358_1931
; %bb.1928:                             ;   in Loop: Header=BB358_1066 Depth=1
	v_lshrrev_b32_e32 v10, 3, v23
	v_cmp_gt_u32_e64 s5, 8, v23
	v_mov_b32_e32 v24, v19
	v_mov_b32_e32 v23, v18
	s_and_saveexec_b32 s21, s5
; %bb.1929:                             ;   in Loop: Header=BB358_1066 Depth=1
	v_and_b32_e32 v10, 7, v18
	v_ffbh_u32_e32 v10, v10
	v_min_u32_e32 v10, 32, v10
	v_subrev_nc_u32_e32 v23, 28, v10
	v_sub_nc_u32_e32 v10, 29, v10
	v_lshlrev_b64 v[23:24], v23, v[18:19]
; %bb.1930:                             ;   in Loop: Header=BB358_1066 Depth=1
	s_or_b32 exec_lo, exec_lo, s21
	v_lshlrev_b32_e32 v23, 20, v23
	v_lshlrev_b32_e32 v24, 24, v18
	v_lshl_add_u32 v10, v10, 23, 0x3c000000
	v_and_b32_e32 v23, 0x700000, v23
	v_and_b32_e32 v24, 0x80000000, v24
	v_or3_b32 v69, v23, v24, v10
.LBB358_1931:                           ;   in Loop: Header=BB358_1066 Depth=1
	s_or_b32 exec_lo, exec_lo, s20
.LBB358_1932:                           ;   in Loop: Header=BB358_1066 Depth=1
	s_or_b32 exec_lo, exec_lo, s18
.LBB358_1933:                           ;   in Loop: Header=BB358_1066 Depth=1
	s_or_b32 exec_lo, exec_lo, s17
	v_cmp_ne_u16_sdwa s5, v18, v11 src0_sel:BYTE_1 src1_sel:DWORD
	s_and_saveexec_b32 s17, s5
	s_cbranch_execz .LBB358_1941
; %bb.1934:                             ;   in Loop: Header=BB358_1066 Depth=1
	v_cmp_ne_u16_sdwa s5, v18, v65 src0_sel:BYTE_1 src1_sel:DWORD
	v_bfrev_b32_e32 v71, 1
	s_and_saveexec_b32 s18, s5
	s_cbranch_execz .LBB358_1940
; %bb.1935:                             ;   in Loop: Header=BB358_1066 Depth=1
	v_mov_b32_e32 v10, 0xffff
	v_mov_b32_e32 v71, 0x7f800001
	s_mov_b32 s20, exec_lo
	v_and_b32_sdwa v10, v10, v18 dst_sel:DWORD dst_unused:UNUSED_PAD src0_sel:DWORD src1_sel:BYTE_1
	v_and_b32_e32 v23, 0x7f, v10
	v_cmpx_ne_u32_e32 0x7f, v23
	s_cbranch_execz .LBB358_1939
; %bb.1936:                             ;   in Loop: Header=BB358_1066 Depth=1
	v_and_b32_e32 v10, 7, v10
	v_lshrrev_b32_e32 v71, 3, v23
	v_cmp_gt_u32_e64 s5, 8, v23
	v_mov_b32_e32 v24, v11
	v_mov_b32_e32 v23, v10
	s_and_saveexec_b32 s21, s5
; %bb.1937:                             ;   in Loop: Header=BB358_1066 Depth=1
	v_ffbh_u32_e32 v23, v10
	v_min_u32_e32 v64, 32, v23
	v_subrev_nc_u32_e32 v23, 28, v64
	v_sub_nc_u32_e32 v71, 29, v64
	v_lshlrev_b64 v[23:24], v23, v[10:11]
	v_and_b32_e32 v23, 7, v23
; %bb.1938:                             ;   in Loop: Header=BB358_1066 Depth=1
	s_or_b32 exec_lo, exec_lo, s21
	v_lshlrev_b32_e32 v10, 16, v18
	v_lshlrev_b32_e32 v23, 20, v23
	v_lshl_add_u32 v24, v71, 23, 0x3c000000
	v_and_b32_e32 v10, 0x80000000, v10
	v_or3_b32 v71, v23, v10, v24
.LBB358_1939:                           ;   in Loop: Header=BB358_1066 Depth=1
	s_or_b32 exec_lo, exec_lo, s20
.LBB358_1940:                           ;   in Loop: Header=BB358_1066 Depth=1
	s_or_b32 exec_lo, exec_lo, s18
.LBB358_1941:                           ;   in Loop: Header=BB358_1066 Depth=1
	s_or_b32 exec_lo, exec_lo, s17
	v_and_b32_sdwa v10, v18, v70 dst_sel:DWORD dst_unused:UNUSED_PAD src0_sel:WORD_1 src1_sel:DWORD
	v_mov_b32_e32 v80, 0
	v_mov_b32_e32 v112, 0
	s_mov_b32 s17, exec_lo
	v_cmpx_ne_u16_e32 0, v10
	s_cbranch_execz .LBB358_1949
; %bb.1942:                             ;   in Loop: Header=BB358_1066 Depth=1
	v_bfrev_b32_e32 v112, 1
	s_mov_b32 s18, exec_lo
	v_cmpx_ne_u16_e32 0x80, v10
	s_cbranch_execz .LBB358_1948
; %bb.1943:                             ;   in Loop: Header=BB358_1066 Depth=1
	v_bfe_u32 v23, v18, 16, 7
	v_mov_b32_e32 v112, 0x7f800001
	s_mov_b32 s20, exec_lo
	v_cmpx_ne_u32_e32 0x7f, v23
	s_cbranch_execz .LBB358_1947
; %bb.1944:                             ;   in Loop: Header=BB358_1066 Depth=1
	v_mov_b32_e32 v10, 7
	v_lshrrev_b32_e32 v112, 3, v23
	v_cmp_gt_u32_e64 s5, 8, v23
	v_and_b32_sdwa v10, v18, v10 dst_sel:DWORD dst_unused:UNUSED_PAD src0_sel:WORD_1 src1_sel:DWORD
	v_mov_b32_e32 v24, v11
	v_mov_b32_e32 v23, v10
	s_and_saveexec_b32 s21, s5
; %bb.1945:                             ;   in Loop: Header=BB358_1066 Depth=1
	v_ffbh_u32_e32 v23, v10
	v_min_u32_e32 v64, 32, v23
	v_subrev_nc_u32_e32 v23, 28, v64
	v_sub_nc_u32_e32 v112, 29, v64
	v_lshlrev_b64 v[23:24], v23, v[10:11]
	v_and_b32_e32 v23, 7, v23
; %bb.1946:                             ;   in Loop: Header=BB358_1066 Depth=1
	s_or_b32 exec_lo, exec_lo, s21
	v_mov_b32_e32 v10, 24
	v_lshlrev_b32_e32 v23, 20, v23
	v_lshl_add_u32 v24, v112, 23, 0x3c000000
	v_lshlrev_b32_sdwa v10, v10, v18 dst_sel:DWORD dst_unused:UNUSED_PAD src0_sel:DWORD src1_sel:WORD_1
	v_and_b32_e32 v10, 0x80000000, v10
	v_or3_b32 v112, v23, v10, v24
.LBB358_1947:                           ;   in Loop: Header=BB358_1066 Depth=1
	s_or_b32 exec_lo, exec_lo, s20
.LBB358_1948:                           ;   in Loop: Header=BB358_1066 Depth=1
	s_or_b32 exec_lo, exec_lo, s18
.LBB358_1949:                           ;   in Loop: Header=BB358_1066 Depth=1
	s_or_b32 exec_lo, exec_lo, s17
	s_mov_b32 s17, exec_lo
	v_cmpx_lt_u32_e32 0xffffff, v18
	s_cbranch_execz .LBB358_1957
; %bb.1950:                             ;   in Loop: Header=BB358_1066 Depth=1
	v_cmp_ne_u32_sdwa s5, v18, v65 src0_sel:BYTE_3 src1_sel:DWORD
	v_bfrev_b32_e32 v80, 1
	s_and_saveexec_b32 s18, s5
	s_cbranch_execz .LBB358_1956
; %bb.1951:                             ;   in Loop: Header=BB358_1066 Depth=1
	v_bfe_u32 v23, v18, 24, 7
	v_mov_b32_e32 v80, 0x7f800001
	s_mov_b32 s20, exec_lo
	v_cmpx_ne_u32_e32 0x7f, v23
	s_cbranch_execz .LBB358_1955
; %bb.1952:                             ;   in Loop: Header=BB358_1066 Depth=1
	v_mov_b32_e32 v10, 7
	v_lshrrev_b32_e32 v80, 3, v23
	v_cmp_gt_u32_e64 s5, 8, v23
	v_and_b32_sdwa v10, v18, v10 dst_sel:DWORD dst_unused:UNUSED_PAD src0_sel:BYTE_3 src1_sel:DWORD
	v_mov_b32_e32 v24, v11
	v_mov_b32_e32 v23, v10
	s_and_saveexec_b32 s21, s5
; %bb.1953:                             ;   in Loop: Header=BB358_1066 Depth=1
	v_ffbh_u32_e32 v23, v10
	v_min_u32_e32 v64, 32, v23
	v_subrev_nc_u32_e32 v23, 28, v64
	v_sub_nc_u32_e32 v80, 29, v64
	v_lshlrev_b64 v[23:24], v23, v[10:11]
	v_and_b32_e32 v23, 7, v23
; %bb.1954:                             ;   in Loop: Header=BB358_1066 Depth=1
	s_or_b32 exec_lo, exec_lo, s21
	v_mov_b32_e32 v10, 24
	v_lshlrev_b32_e32 v23, 20, v23
	v_lshl_add_u32 v24, v80, 23, 0x3c000000
	v_lshlrev_b32_sdwa v10, v10, v18 dst_sel:DWORD dst_unused:UNUSED_PAD src0_sel:DWORD src1_sel:BYTE_3
	v_and_b32_e32 v10, 0x80000000, v10
	v_or3_b32 v80, v23, v10, v24
.LBB358_1955:                           ;   in Loop: Header=BB358_1066 Depth=1
	s_or_b32 exec_lo, exec_lo, s20
.LBB358_1956:                           ;   in Loop: Header=BB358_1066 Depth=1
	s_or_b32 exec_lo, exec_lo, s18
.LBB358_1957:                           ;   in Loop: Header=BB358_1066 Depth=1
	s_or_b32 exec_lo, exec_lo, s17
	v_mov_b32_e32 v10, v19
	v_cmp_ne_u16_sdwa s5, v19, v11 src0_sel:BYTE_0 src1_sel:DWORD
	v_mov_b32_e32 v41, 0
	v_mov_b32_e32 v42, 0
	s_and_saveexec_b32 s17, s5
	s_cbranch_execz .LBB358_1965
; %bb.1958:                             ;   in Loop: Header=BB358_1066 Depth=1
	v_cmp_ne_u16_sdwa s5, v19, v65 src0_sel:BYTE_0 src1_sel:DWORD
	v_bfrev_b32_e32 v42, 1
	s_and_saveexec_b32 s18, s5
	s_cbranch_execz .LBB358_1964
; %bb.1959:                             ;   in Loop: Header=BB358_1066 Depth=1
	v_and_b32_e32 v23, 0x7f, v19
	v_mov_b32_e32 v42, 0x7f800001
	s_mov_b32 s20, exec_lo
	v_cmpx_ne_u32_e32 0x7f, v23
	s_cbranch_execz .LBB358_1963
; %bb.1960:                             ;   in Loop: Header=BB358_1066 Depth=1
	v_lshrrev_b32_e32 v42, 3, v23
	v_cmp_gt_u32_e64 s5, 8, v23
	v_mov_b32_e32 v24, v11
	v_mov_b32_e32 v23, v10
	s_and_saveexec_b32 s21, s5
; %bb.1961:                             ;   in Loop: Header=BB358_1066 Depth=1
	v_and_b32_e32 v23, 7, v19
	v_ffbh_u32_e32 v23, v23
	v_min_u32_e32 v64, 32, v23
	v_subrev_nc_u32_e32 v23, 28, v64
	v_sub_nc_u32_e32 v42, 29, v64
	v_lshlrev_b64 v[23:24], v23, v[10:11]
; %bb.1962:                             ;   in Loop: Header=BB358_1066 Depth=1
	s_or_b32 exec_lo, exec_lo, s21
	v_lshlrev_b32_e32 v23, 20, v23
	v_lshlrev_b32_e32 v24, 24, v10
	v_lshl_add_u32 v64, v42, 23, 0x3c000000
	v_and_b32_e32 v23, 0x700000, v23
	v_and_b32_e32 v24, 0x80000000, v24
	v_or3_b32 v42, v23, v24, v64
.LBB358_1963:                           ;   in Loop: Header=BB358_1066 Depth=1
	s_or_b32 exec_lo, exec_lo, s20
.LBB358_1964:                           ;   in Loop: Header=BB358_1066 Depth=1
	s_or_b32 exec_lo, exec_lo, s18
.LBB358_1965:                           ;   in Loop: Header=BB358_1066 Depth=1
	s_or_b32 exec_lo, exec_lo, s17
	v_cmp_ne_u16_sdwa s5, v10, v11 src0_sel:BYTE_1 src1_sel:DWORD
	s_and_saveexec_b32 s17, s5
	s_cbranch_execz .LBB358_1973
; %bb.1966:                             ;   in Loop: Header=BB358_1066 Depth=1
	v_cmp_ne_u16_sdwa s5, v10, v65 src0_sel:BYTE_1 src1_sel:DWORD
	v_bfrev_b32_e32 v41, 1
	s_and_saveexec_b32 s18, s5
	s_cbranch_execz .LBB358_1972
; %bb.1967:                             ;   in Loop: Header=BB358_1066 Depth=1
	v_mov_b32_e32 v23, 0xffff
	v_mov_b32_e32 v41, 0x7f800001
	s_mov_b32 s20, exec_lo
	v_and_b32_sdwa v23, v23, v10 dst_sel:DWORD dst_unused:UNUSED_PAD src0_sel:DWORD src1_sel:BYTE_1
	v_and_b32_e32 v43, 0x7f, v23
	v_cmpx_ne_u32_e32 0x7f, v43
	s_cbranch_execz .LBB358_1971
; %bb.1968:                             ;   in Loop: Header=BB358_1066 Depth=1
	v_and_b32_e32 v23, 7, v23
	v_mov_b32_e32 v24, v11
	v_lshrrev_b32_e32 v41, 3, v43
	s_mov_b32 s21, exec_lo
	v_cmpx_gt_u32_e32 8, v43
; %bb.1969:                             ;   in Loop: Header=BB358_1066 Depth=1
	v_ffbh_u32_e32 v64, v23
	v_min_u32_e32 v64, 32, v64
	v_subrev_nc_u32_e32 v41, 28, v64
	v_lshlrev_b64 v[23:24], v41, v[23:24]
	v_sub_nc_u32_e32 v41, 29, v64
	v_and_b32_e32 v23, 7, v23
; %bb.1970:                             ;   in Loop: Header=BB358_1066 Depth=1
	s_or_b32 exec_lo, exec_lo, s21
	v_lshlrev_b32_e32 v10, 16, v10
	v_lshlrev_b32_e32 v23, 20, v23
	v_lshl_add_u32 v24, v41, 23, 0x3c000000
	v_and_b32_e32 v10, 0x80000000, v10
	v_or3_b32 v41, v23, v10, v24
.LBB358_1971:                           ;   in Loop: Header=BB358_1066 Depth=1
	s_or_b32 exec_lo, exec_lo, s20
.LBB358_1972:                           ;   in Loop: Header=BB358_1066 Depth=1
	s_or_b32 exec_lo, exec_lo, s18
.LBB358_1973:                           ;   in Loop: Header=BB358_1066 Depth=1
	s_or_b32 exec_lo, exec_lo, s17
	v_and_b32_sdwa v10, v19, v70 dst_sel:DWORD dst_unused:UNUSED_PAD src0_sel:WORD_1 src1_sel:DWORD
	v_mov_b32_e32 v56, 0
	v_mov_b32_e32 v45, 0
	s_mov_b32 s17, exec_lo
	v_cmpx_ne_u16_e32 0, v10
	s_cbranch_execz .LBB358_1981
; %bb.1974:                             ;   in Loop: Header=BB358_1066 Depth=1
	v_bfrev_b32_e32 v45, 1
	s_mov_b32 s18, exec_lo
	v_cmpx_ne_u16_e32 0x80, v10
	s_cbranch_execz .LBB358_1980
; %bb.1975:                             ;   in Loop: Header=BB358_1066 Depth=1
	v_bfe_u32 v23, v19, 16, 7
	v_mov_b32_e32 v45, 0x7f800001
	s_mov_b32 s20, exec_lo
	v_cmpx_ne_u32_e32 0x7f, v23
	s_cbranch_execz .LBB358_1979
; %bb.1976:                             ;   in Loop: Header=BB358_1066 Depth=1
	v_mov_b32_e32 v10, 7
	v_lshrrev_b32_e32 v43, 3, v23
	v_cmp_gt_u32_e64 s5, 8, v23
	v_and_b32_sdwa v10, v19, v10 dst_sel:DWORD dst_unused:UNUSED_PAD src0_sel:WORD_1 src1_sel:DWORD
	v_mov_b32_e32 v24, v11
	v_mov_b32_e32 v23, v10
	s_and_saveexec_b32 s21, s5
; %bb.1977:                             ;   in Loop: Header=BB358_1066 Depth=1
	v_ffbh_u32_e32 v23, v10
	v_min_u32_e32 v64, 32, v23
	v_subrev_nc_u32_e32 v23, 28, v64
	v_sub_nc_u32_e32 v43, 29, v64
	v_lshlrev_b64 v[23:24], v23, v[10:11]
	v_and_b32_e32 v23, 7, v23
; %bb.1978:                             ;   in Loop: Header=BB358_1066 Depth=1
	s_or_b32 exec_lo, exec_lo, s21
	v_mov_b32_e32 v10, 24
	v_lshlrev_b32_e32 v23, 20, v23
	v_lshl_add_u32 v24, v43, 23, 0x3c000000
	v_lshlrev_b32_sdwa v10, v10, v19 dst_sel:DWORD dst_unused:UNUSED_PAD src0_sel:DWORD src1_sel:WORD_1
	v_and_b32_e32 v10, 0x80000000, v10
	v_or3_b32 v45, v23, v10, v24
.LBB358_1979:                           ;   in Loop: Header=BB358_1066 Depth=1
	s_or_b32 exec_lo, exec_lo, s20
.LBB358_1980:                           ;   in Loop: Header=BB358_1066 Depth=1
	s_or_b32 exec_lo, exec_lo, s18
.LBB358_1981:                           ;   in Loop: Header=BB358_1066 Depth=1
	s_or_b32 exec_lo, exec_lo, s17
	s_mov_b32 s17, exec_lo
	v_cmpx_lt_u64_e64 s[12:13], v[18:19]
	s_cbranch_execz .LBB358_1989
; %bb.1982:                             ;   in Loop: Header=BB358_1066 Depth=1
	v_cmp_ne_u32_sdwa s5, v19, v65 src0_sel:BYTE_3 src1_sel:DWORD
	v_bfrev_b32_e32 v56, 1
	s_and_saveexec_b32 s18, s5
	s_cbranch_execz .LBB358_1988
; %bb.1983:                             ;   in Loop: Header=BB358_1066 Depth=1
	v_bfe_u32 v23, v19, 24, 7
	v_mov_b32_e32 v56, 0x7f800001
	s_mov_b32 s20, exec_lo
	v_cmpx_ne_u32_e32 0x7f, v23
	s_cbranch_execz .LBB358_1987
; %bb.1984:                             ;   in Loop: Header=BB358_1066 Depth=1
	v_mov_b32_e32 v10, 7
	v_lshrrev_b32_e32 v18, 3, v23
	v_cmp_gt_u32_e64 s5, 8, v23
	v_and_b32_sdwa v10, v19, v10 dst_sel:DWORD dst_unused:UNUSED_PAD src0_sel:BYTE_3 src1_sel:DWORD
	v_mov_b32_e32 v24, v11
	v_mov_b32_e32 v23, v10
	s_and_saveexec_b32 s21, s5
; %bb.1985:                             ;   in Loop: Header=BB358_1066 Depth=1
	v_ffbh_u32_e32 v18, v10
	v_min_u32_e32 v18, 32, v18
	v_subrev_nc_u32_e32 v23, 28, v18
	v_sub_nc_u32_e32 v18, 29, v18
	v_lshlrev_b64 v[23:24], v23, v[10:11]
	v_and_b32_e32 v23, 7, v23
; %bb.1986:                             ;   in Loop: Header=BB358_1066 Depth=1
	s_or_b32 exec_lo, exec_lo, s21
	v_mov_b32_e32 v10, 24
	v_lshl_add_u32 v18, v18, 23, 0x3c000000
	v_lshlrev_b32_sdwa v10, v10, v19 dst_sel:DWORD dst_unused:UNUSED_PAD src0_sel:DWORD src1_sel:BYTE_3
	v_lshlrev_b32_e32 v19, 20, v23
	v_and_b32_e32 v10, 0x80000000, v10
	v_or3_b32 v56, v19, v10, v18
.LBB358_1987:                           ;   in Loop: Header=BB358_1066 Depth=1
	s_or_b32 exec_lo, exec_lo, s20
.LBB358_1988:                           ;   in Loop: Header=BB358_1066 Depth=1
	s_or_b32 exec_lo, exec_lo, s18
.LBB358_1989:                           ;   in Loop: Header=BB358_1066 Depth=1
	s_or_b32 exec_lo, exec_lo, s17
	v_mul_f32_e32 v10, v58, v41
	v_bfe_u32 v18, v10, 16, 1
	v_or_b32_e32 v19, 0x400000, v10
	v_cmp_u_f32_e64 s5, v10, v10
	v_add3_u32 v18, v18, v10, 0x7fff
	v_cndmask_b32_e64 v10, v18, v19, s5
	v_lshrrev_b32_e32 v41, 16, v10
	v_mul_f32_e32 v10, v58, v42
	v_bfe_u32 v18, v10, 16, 1
	v_or_b32_e32 v19, 0x400000, v10
	v_cmp_u_f32_e64 s5, v10, v10
	v_add3_u32 v18, v18, v10, 0x7fff
	v_cndmask_b32_e64 v10, v18, v19, s5
	v_lshrrev_b32_e32 v42, 16, v10
	;; [unrolled: 7-line block ×8, first 2 shown]
	s_and_saveexec_b32 s17, vcc_lo
	s_cbranch_execz .LBB358_1991
; %bb.1990:                             ;   in Loop: Header=BB358_1066 Depth=1
	v_cmp_lt_i32_e64 s5, v75, v96
	v_cndmask_b32_e64 v47, 0, v47, s5
	v_cmp_lt_i32_e64 s5, v90, v96
	v_cndmask_b32_e64 v46, 0, v46, s5
	;; [unrolled: 2-line block ×8, first 2 shown]
.LBB358_1991:                           ;   in Loop: Header=BB358_1066 Depth=1
	s_or_b32 exec_lo, exec_lo, s17
	flat_load_dwordx2 v[18:19], v[16:17] offset:1536
	v_mov_b32_e32 v71, 0
	v_mov_b32_e32 v69, 0
	s_waitcnt vmcnt(0) lgkmcnt(0)
	v_cmp_ne_u16_sdwa s5, v18, v11 src0_sel:BYTE_0 src1_sel:DWORD
	s_and_saveexec_b32 s17, s5
	s_cbranch_execz .LBB358_1999
; %bb.1992:                             ;   in Loop: Header=BB358_1066 Depth=1
	v_cmp_ne_u16_sdwa s5, v18, v65 src0_sel:BYTE_0 src1_sel:DWORD
	v_bfrev_b32_e32 v69, 1
	s_and_saveexec_b32 s18, s5
	s_cbranch_execz .LBB358_1998
; %bb.1993:                             ;   in Loop: Header=BB358_1066 Depth=1
	v_and_b32_e32 v23, 0x7f, v18
	v_mov_b32_e32 v69, 0x7f800001
	s_mov_b32 s20, exec_lo
	v_cmpx_ne_u32_e32 0x7f, v23
	s_cbranch_execz .LBB358_1997
; %bb.1994:                             ;   in Loop: Header=BB358_1066 Depth=1
	v_lshrrev_b32_e32 v10, 3, v23
	v_cmp_gt_u32_e64 s5, 8, v23
	v_mov_b32_e32 v24, v19
	v_mov_b32_e32 v23, v18
	s_and_saveexec_b32 s21, s5
; %bb.1995:                             ;   in Loop: Header=BB358_1066 Depth=1
	v_and_b32_e32 v10, 7, v18
	v_ffbh_u32_e32 v10, v10
	v_min_u32_e32 v10, 32, v10
	v_subrev_nc_u32_e32 v23, 28, v10
	v_sub_nc_u32_e32 v10, 29, v10
	v_lshlrev_b64 v[23:24], v23, v[18:19]
; %bb.1996:                             ;   in Loop: Header=BB358_1066 Depth=1
	s_or_b32 exec_lo, exec_lo, s21
	v_lshlrev_b32_e32 v23, 20, v23
	v_lshlrev_b32_e32 v24, 24, v18
	v_lshl_add_u32 v10, v10, 23, 0x3c000000
	v_and_b32_e32 v23, 0x700000, v23
	v_and_b32_e32 v24, 0x80000000, v24
	v_or3_b32 v69, v23, v24, v10
.LBB358_1997:                           ;   in Loop: Header=BB358_1066 Depth=1
	s_or_b32 exec_lo, exec_lo, s20
.LBB358_1998:                           ;   in Loop: Header=BB358_1066 Depth=1
	s_or_b32 exec_lo, exec_lo, s18
.LBB358_1999:                           ;   in Loop: Header=BB358_1066 Depth=1
	s_or_b32 exec_lo, exec_lo, s17
	v_cmp_ne_u16_sdwa s5, v18, v11 src0_sel:BYTE_1 src1_sel:DWORD
	s_and_saveexec_b32 s17, s5
	s_cbranch_execz .LBB358_2007
; %bb.2000:                             ;   in Loop: Header=BB358_1066 Depth=1
	v_cmp_ne_u16_sdwa s5, v18, v65 src0_sel:BYTE_1 src1_sel:DWORD
	v_bfrev_b32_e32 v71, 1
	s_and_saveexec_b32 s18, s5
	s_cbranch_execz .LBB358_2006
; %bb.2001:                             ;   in Loop: Header=BB358_1066 Depth=1
	v_mov_b32_e32 v10, 0xffff
	v_mov_b32_e32 v71, 0x7f800001
	s_mov_b32 s20, exec_lo
	v_and_b32_sdwa v10, v10, v18 dst_sel:DWORD dst_unused:UNUSED_PAD src0_sel:DWORD src1_sel:BYTE_1
	v_and_b32_e32 v23, 0x7f, v10
	v_cmpx_ne_u32_e32 0x7f, v23
	s_cbranch_execz .LBB358_2005
; %bb.2002:                             ;   in Loop: Header=BB358_1066 Depth=1
	v_and_b32_e32 v10, 7, v10
	v_lshrrev_b32_e32 v71, 3, v23
	v_cmp_gt_u32_e64 s5, 8, v23
	v_mov_b32_e32 v24, v11
	v_mov_b32_e32 v23, v10
	s_and_saveexec_b32 s21, s5
; %bb.2003:                             ;   in Loop: Header=BB358_1066 Depth=1
	v_ffbh_u32_e32 v23, v10
	v_min_u32_e32 v64, 32, v23
	v_subrev_nc_u32_e32 v23, 28, v64
	v_sub_nc_u32_e32 v71, 29, v64
	v_lshlrev_b64 v[23:24], v23, v[10:11]
	v_and_b32_e32 v23, 7, v23
; %bb.2004:                             ;   in Loop: Header=BB358_1066 Depth=1
	s_or_b32 exec_lo, exec_lo, s21
	v_lshlrev_b32_e32 v10, 16, v18
	v_lshlrev_b32_e32 v23, 20, v23
	v_lshl_add_u32 v24, v71, 23, 0x3c000000
	v_and_b32_e32 v10, 0x80000000, v10
	v_or3_b32 v71, v23, v10, v24
.LBB358_2005:                           ;   in Loop: Header=BB358_1066 Depth=1
	s_or_b32 exec_lo, exec_lo, s20
.LBB358_2006:                           ;   in Loop: Header=BB358_1066 Depth=1
	s_or_b32 exec_lo, exec_lo, s18
.LBB358_2007:                           ;   in Loop: Header=BB358_1066 Depth=1
	s_or_b32 exec_lo, exec_lo, s17
	v_and_b32_sdwa v10, v18, v70 dst_sel:DWORD dst_unused:UNUSED_PAD src0_sel:WORD_1 src1_sel:DWORD
	v_mov_b32_e32 v80, 0
	v_mov_b32_e32 v112, 0
	s_mov_b32 s17, exec_lo
	v_cmpx_ne_u16_e32 0, v10
	s_cbranch_execz .LBB358_2015
; %bb.2008:                             ;   in Loop: Header=BB358_1066 Depth=1
	v_bfrev_b32_e32 v112, 1
	s_mov_b32 s18, exec_lo
	v_cmpx_ne_u16_e32 0x80, v10
	s_cbranch_execz .LBB358_2014
; %bb.2009:                             ;   in Loop: Header=BB358_1066 Depth=1
	v_bfe_u32 v23, v18, 16, 7
	v_mov_b32_e32 v112, 0x7f800001
	s_mov_b32 s20, exec_lo
	v_cmpx_ne_u32_e32 0x7f, v23
	s_cbranch_execz .LBB358_2013
; %bb.2010:                             ;   in Loop: Header=BB358_1066 Depth=1
	v_mov_b32_e32 v10, 7
	v_lshrrev_b32_e32 v112, 3, v23
	v_cmp_gt_u32_e64 s5, 8, v23
	v_and_b32_sdwa v10, v18, v10 dst_sel:DWORD dst_unused:UNUSED_PAD src0_sel:WORD_1 src1_sel:DWORD
	v_mov_b32_e32 v24, v11
	v_mov_b32_e32 v23, v10
	s_and_saveexec_b32 s21, s5
; %bb.2011:                             ;   in Loop: Header=BB358_1066 Depth=1
	v_ffbh_u32_e32 v23, v10
	v_min_u32_e32 v64, 32, v23
	v_subrev_nc_u32_e32 v23, 28, v64
	v_sub_nc_u32_e32 v112, 29, v64
	v_lshlrev_b64 v[23:24], v23, v[10:11]
	v_and_b32_e32 v23, 7, v23
; %bb.2012:                             ;   in Loop: Header=BB358_1066 Depth=1
	s_or_b32 exec_lo, exec_lo, s21
	v_mov_b32_e32 v10, 24
	v_lshlrev_b32_e32 v23, 20, v23
	v_lshl_add_u32 v24, v112, 23, 0x3c000000
	v_lshlrev_b32_sdwa v10, v10, v18 dst_sel:DWORD dst_unused:UNUSED_PAD src0_sel:DWORD src1_sel:WORD_1
	v_and_b32_e32 v10, 0x80000000, v10
	v_or3_b32 v112, v23, v10, v24
.LBB358_2013:                           ;   in Loop: Header=BB358_1066 Depth=1
	s_or_b32 exec_lo, exec_lo, s20
.LBB358_2014:                           ;   in Loop: Header=BB358_1066 Depth=1
	s_or_b32 exec_lo, exec_lo, s18
.LBB358_2015:                           ;   in Loop: Header=BB358_1066 Depth=1
	s_or_b32 exec_lo, exec_lo, s17
	s_mov_b32 s17, exec_lo
	v_cmpx_lt_u32_e32 0xffffff, v18
	s_cbranch_execz .LBB358_2023
; %bb.2016:                             ;   in Loop: Header=BB358_1066 Depth=1
	v_cmp_ne_u32_sdwa s5, v18, v65 src0_sel:BYTE_3 src1_sel:DWORD
	v_bfrev_b32_e32 v80, 1
	s_and_saveexec_b32 s18, s5
	s_cbranch_execz .LBB358_2022
; %bb.2017:                             ;   in Loop: Header=BB358_1066 Depth=1
	v_bfe_u32 v23, v18, 24, 7
	v_mov_b32_e32 v80, 0x7f800001
	s_mov_b32 s20, exec_lo
	v_cmpx_ne_u32_e32 0x7f, v23
	s_cbranch_execz .LBB358_2021
; %bb.2018:                             ;   in Loop: Header=BB358_1066 Depth=1
	v_mov_b32_e32 v10, 7
	v_lshrrev_b32_e32 v80, 3, v23
	v_cmp_gt_u32_e64 s5, 8, v23
	v_and_b32_sdwa v10, v18, v10 dst_sel:DWORD dst_unused:UNUSED_PAD src0_sel:BYTE_3 src1_sel:DWORD
	v_mov_b32_e32 v24, v11
	v_mov_b32_e32 v23, v10
	s_and_saveexec_b32 s21, s5
; %bb.2019:                             ;   in Loop: Header=BB358_1066 Depth=1
	v_ffbh_u32_e32 v23, v10
	v_min_u32_e32 v64, 32, v23
	v_subrev_nc_u32_e32 v23, 28, v64
	v_sub_nc_u32_e32 v80, 29, v64
	v_lshlrev_b64 v[23:24], v23, v[10:11]
	v_and_b32_e32 v23, 7, v23
; %bb.2020:                             ;   in Loop: Header=BB358_1066 Depth=1
	s_or_b32 exec_lo, exec_lo, s21
	v_mov_b32_e32 v10, 24
	v_lshlrev_b32_e32 v23, 20, v23
	v_lshl_add_u32 v24, v80, 23, 0x3c000000
	v_lshlrev_b32_sdwa v10, v10, v18 dst_sel:DWORD dst_unused:UNUSED_PAD src0_sel:DWORD src1_sel:BYTE_3
	v_and_b32_e32 v10, 0x80000000, v10
	v_or3_b32 v80, v23, v10, v24
.LBB358_2021:                           ;   in Loop: Header=BB358_1066 Depth=1
	s_or_b32 exec_lo, exec_lo, s20
.LBB358_2022:                           ;   in Loop: Header=BB358_1066 Depth=1
	s_or_b32 exec_lo, exec_lo, s18
.LBB358_2023:                           ;   in Loop: Header=BB358_1066 Depth=1
	s_or_b32 exec_lo, exec_lo, s17
	v_mov_b32_e32 v10, v19
	v_cmp_ne_u16_sdwa s5, v19, v11 src0_sel:BYTE_0 src1_sel:DWORD
	v_mov_b32_e32 v57, 0
	v_mov_b32_e32 v59, 0
	s_and_saveexec_b32 s17, s5
	s_cbranch_execz .LBB358_2031
; %bb.2024:                             ;   in Loop: Header=BB358_1066 Depth=1
	v_cmp_ne_u16_sdwa s5, v19, v65 src0_sel:BYTE_0 src1_sel:DWORD
	v_bfrev_b32_e32 v59, 1
	s_and_saveexec_b32 s18, s5
	s_cbranch_execz .LBB358_2030
; %bb.2025:                             ;   in Loop: Header=BB358_1066 Depth=1
	v_and_b32_e32 v23, 0x7f, v19
	v_mov_b32_e32 v59, 0x7f800001
	s_mov_b32 s20, exec_lo
	v_cmpx_ne_u32_e32 0x7f, v23
	s_cbranch_execz .LBB358_2029
; %bb.2026:                             ;   in Loop: Header=BB358_1066 Depth=1
	v_lshrrev_b32_e32 v59, 3, v23
	v_cmp_gt_u32_e64 s5, 8, v23
	v_mov_b32_e32 v24, v11
	v_mov_b32_e32 v23, v10
	s_and_saveexec_b32 s21, s5
; %bb.2027:                             ;   in Loop: Header=BB358_1066 Depth=1
	v_and_b32_e32 v23, 7, v19
	v_ffbh_u32_e32 v23, v23
	v_min_u32_e32 v64, 32, v23
	v_subrev_nc_u32_e32 v23, 28, v64
	v_sub_nc_u32_e32 v59, 29, v64
	v_lshlrev_b64 v[23:24], v23, v[10:11]
; %bb.2028:                             ;   in Loop: Header=BB358_1066 Depth=1
	s_or_b32 exec_lo, exec_lo, s21
	v_lshlrev_b32_e32 v23, 20, v23
	v_lshlrev_b32_e32 v24, 24, v10
	v_lshl_add_u32 v64, v59, 23, 0x3c000000
	v_and_b32_e32 v23, 0x700000, v23
	v_and_b32_e32 v24, 0x80000000, v24
	v_or3_b32 v59, v23, v24, v64
.LBB358_2029:                           ;   in Loop: Header=BB358_1066 Depth=1
	s_or_b32 exec_lo, exec_lo, s20
.LBB358_2030:                           ;   in Loop: Header=BB358_1066 Depth=1
	s_or_b32 exec_lo, exec_lo, s18
.LBB358_2031:                           ;   in Loop: Header=BB358_1066 Depth=1
	s_or_b32 exec_lo, exec_lo, s17
	v_cmp_ne_u16_sdwa s5, v10, v11 src0_sel:BYTE_1 src1_sel:DWORD
	s_and_saveexec_b32 s17, s5
	s_cbranch_execz .LBB358_2039
; %bb.2032:                             ;   in Loop: Header=BB358_1066 Depth=1
	v_cmp_ne_u16_sdwa s5, v10, v65 src0_sel:BYTE_1 src1_sel:DWORD
	v_bfrev_b32_e32 v57, 1
	s_and_saveexec_b32 s18, s5
	s_cbranch_execz .LBB358_2038
; %bb.2033:                             ;   in Loop: Header=BB358_1066 Depth=1
	v_mov_b32_e32 v23, 0xffff
	v_mov_b32_e32 v57, 0x7f800001
	s_mov_b32 s20, exec_lo
	v_and_b32_sdwa v23, v23, v10 dst_sel:DWORD dst_unused:UNUSED_PAD src0_sel:DWORD src1_sel:BYTE_1
	v_and_b32_e32 v60, 0x7f, v23
	v_cmpx_ne_u32_e32 0x7f, v60
	s_cbranch_execz .LBB358_2037
; %bb.2034:                             ;   in Loop: Header=BB358_1066 Depth=1
	v_and_b32_e32 v23, 7, v23
	v_mov_b32_e32 v24, v11
	v_lshrrev_b32_e32 v57, 3, v60
	s_mov_b32 s21, exec_lo
	v_cmpx_gt_u32_e32 8, v60
; %bb.2035:                             ;   in Loop: Header=BB358_1066 Depth=1
	v_ffbh_u32_e32 v64, v23
	v_min_u32_e32 v64, 32, v64
	v_subrev_nc_u32_e32 v57, 28, v64
	v_lshlrev_b64 v[23:24], v57, v[23:24]
	v_sub_nc_u32_e32 v57, 29, v64
	v_and_b32_e32 v23, 7, v23
; %bb.2036:                             ;   in Loop: Header=BB358_1066 Depth=1
	s_or_b32 exec_lo, exec_lo, s21
	v_lshlrev_b32_e32 v10, 16, v10
	v_lshlrev_b32_e32 v23, 20, v23
	v_lshl_add_u32 v24, v57, 23, 0x3c000000
	v_and_b32_e32 v10, 0x80000000, v10
	v_or3_b32 v57, v23, v10, v24
.LBB358_2037:                           ;   in Loop: Header=BB358_1066 Depth=1
	s_or_b32 exec_lo, exec_lo, s20
.LBB358_2038:                           ;   in Loop: Header=BB358_1066 Depth=1
	s_or_b32 exec_lo, exec_lo, s18
.LBB358_2039:                           ;   in Loop: Header=BB358_1066 Depth=1
	s_or_b32 exec_lo, exec_lo, s17
	v_and_b32_sdwa v10, v19, v70 dst_sel:DWORD dst_unused:UNUSED_PAD src0_sel:WORD_1 src1_sel:DWORD
	v_mov_b32_e32 v72, 0
	v_mov_b32_e32 v62, 0
	s_mov_b32 s17, exec_lo
	v_cmpx_ne_u16_e32 0, v10
	s_cbranch_execz .LBB358_2047
; %bb.2040:                             ;   in Loop: Header=BB358_1066 Depth=1
	v_bfrev_b32_e32 v62, 1
	s_mov_b32 s18, exec_lo
	v_cmpx_ne_u16_e32 0x80, v10
	s_cbranch_execz .LBB358_2046
; %bb.2041:                             ;   in Loop: Header=BB358_1066 Depth=1
	v_bfe_u32 v23, v19, 16, 7
	v_mov_b32_e32 v62, 0x7f800001
	s_mov_b32 s20, exec_lo
	v_cmpx_ne_u32_e32 0x7f, v23
	s_cbranch_execz .LBB358_2045
; %bb.2042:                             ;   in Loop: Header=BB358_1066 Depth=1
	v_mov_b32_e32 v10, 7
	v_lshrrev_b32_e32 v60, 3, v23
	v_cmp_gt_u32_e64 s5, 8, v23
	v_and_b32_sdwa v10, v19, v10 dst_sel:DWORD dst_unused:UNUSED_PAD src0_sel:WORD_1 src1_sel:DWORD
	v_mov_b32_e32 v24, v11
	v_mov_b32_e32 v23, v10
	s_and_saveexec_b32 s21, s5
; %bb.2043:                             ;   in Loop: Header=BB358_1066 Depth=1
	v_ffbh_u32_e32 v23, v10
	v_min_u32_e32 v64, 32, v23
	v_subrev_nc_u32_e32 v23, 28, v64
	v_sub_nc_u32_e32 v60, 29, v64
	v_lshlrev_b64 v[23:24], v23, v[10:11]
	v_and_b32_e32 v23, 7, v23
; %bb.2044:                             ;   in Loop: Header=BB358_1066 Depth=1
	s_or_b32 exec_lo, exec_lo, s21
	v_mov_b32_e32 v10, 24
	v_lshlrev_b32_e32 v23, 20, v23
	v_lshl_add_u32 v24, v60, 23, 0x3c000000
	v_lshlrev_b32_sdwa v10, v10, v19 dst_sel:DWORD dst_unused:UNUSED_PAD src0_sel:DWORD src1_sel:WORD_1
	v_and_b32_e32 v10, 0x80000000, v10
	v_or3_b32 v62, v23, v10, v24
.LBB358_2045:                           ;   in Loop: Header=BB358_1066 Depth=1
	s_or_b32 exec_lo, exec_lo, s20
.LBB358_2046:                           ;   in Loop: Header=BB358_1066 Depth=1
	s_or_b32 exec_lo, exec_lo, s18
.LBB358_2047:                           ;   in Loop: Header=BB358_1066 Depth=1
	s_or_b32 exec_lo, exec_lo, s17
	s_mov_b32 s17, exec_lo
	v_cmpx_lt_u64_e64 s[12:13], v[18:19]
	s_cbranch_execz .LBB358_2055
; %bb.2048:                             ;   in Loop: Header=BB358_1066 Depth=1
	v_cmp_ne_u32_sdwa s5, v19, v65 src0_sel:BYTE_3 src1_sel:DWORD
	v_bfrev_b32_e32 v72, 1
	s_and_saveexec_b32 s18, s5
	s_cbranch_execz .LBB358_2054
; %bb.2049:                             ;   in Loop: Header=BB358_1066 Depth=1
	v_bfe_u32 v23, v19, 24, 7
	v_mov_b32_e32 v72, 0x7f800001
	s_mov_b32 s20, exec_lo
	v_cmpx_ne_u32_e32 0x7f, v23
	s_cbranch_execz .LBB358_2053
; %bb.2050:                             ;   in Loop: Header=BB358_1066 Depth=1
	v_mov_b32_e32 v10, 7
	v_lshrrev_b32_e32 v18, 3, v23
	v_cmp_gt_u32_e64 s5, 8, v23
	v_and_b32_sdwa v10, v19, v10 dst_sel:DWORD dst_unused:UNUSED_PAD src0_sel:BYTE_3 src1_sel:DWORD
	v_mov_b32_e32 v24, v11
	v_mov_b32_e32 v23, v10
	s_and_saveexec_b32 s21, s5
; %bb.2051:                             ;   in Loop: Header=BB358_1066 Depth=1
	v_ffbh_u32_e32 v18, v10
	v_min_u32_e32 v18, 32, v18
	v_subrev_nc_u32_e32 v23, 28, v18
	v_sub_nc_u32_e32 v18, 29, v18
	v_lshlrev_b64 v[23:24], v23, v[10:11]
	v_and_b32_e32 v23, 7, v23
; %bb.2052:                             ;   in Loop: Header=BB358_1066 Depth=1
	s_or_b32 exec_lo, exec_lo, s21
	v_mov_b32_e32 v10, 24
	v_lshl_add_u32 v18, v18, 23, 0x3c000000
	v_lshlrev_b32_sdwa v10, v10, v19 dst_sel:DWORD dst_unused:UNUSED_PAD src0_sel:DWORD src1_sel:BYTE_3
	v_lshlrev_b32_e32 v19, 20, v23
	v_and_b32_e32 v10, 0x80000000, v10
	v_or3_b32 v72, v19, v10, v18
.LBB358_2053:                           ;   in Loop: Header=BB358_1066 Depth=1
	s_or_b32 exec_lo, exec_lo, s20
.LBB358_2054:                           ;   in Loop: Header=BB358_1066 Depth=1
	s_or_b32 exec_lo, exec_lo, s18
.LBB358_2055:                           ;   in Loop: Header=BB358_1066 Depth=1
	s_or_b32 exec_lo, exec_lo, s17
	v_mul_f32_e32 v10, v58, v57
	v_bfe_u32 v18, v10, 16, 1
	v_or_b32_e32 v19, 0x400000, v10
	v_cmp_u_f32_e64 s5, v10, v10
	v_add3_u32 v18, v18, v10, 0x7fff
	v_cndmask_b32_e64 v10, v18, v19, s5
	v_lshrrev_b32_e32 v57, 16, v10
	v_mul_f32_e32 v10, v58, v59
	v_bfe_u32 v18, v10, 16, 1
	v_or_b32_e32 v19, 0x400000, v10
	v_cmp_u_f32_e64 s5, v10, v10
	v_add3_u32 v18, v18, v10, 0x7fff
	v_cndmask_b32_e64 v10, v18, v19, s5
	v_lshrrev_b32_e32 v59, 16, v10
	v_mul_f32_e32 v10, v58, v80
	v_bfe_u32 v18, v10, 16, 1
	v_or_b32_e32 v19, 0x400000, v10
	v_cmp_u_f32_e64 s5, v10, v10
	v_add3_u32 v18, v18, v10, 0x7fff
	v_cndmask_b32_e64 v10, v18, v19, s5
	v_lshrrev_b32_e32 v60, 16, v10
	v_mul_f32_e32 v10, v58, v112
	v_bfe_u32 v18, v10, 16, 1
	v_or_b32_e32 v19, 0x400000, v10
	v_cmp_u_f32_e64 s5, v10, v10
	v_add3_u32 v18, v18, v10, 0x7fff
	v_cndmask_b32_e64 v10, v18, v19, s5
	v_lshrrev_b32_e32 v61, 16, v10
	v_mul_f32_e32 v10, v58, v71
	v_bfe_u32 v18, v10, 16, 1
	v_or_b32_e32 v19, 0x400000, v10
	v_cmp_u_f32_e64 s5, v10, v10
	v_add3_u32 v18, v18, v10, 0x7fff
	v_cndmask_b32_e64 v10, v18, v19, s5
	v_lshrrev_b32_e32 v63, 16, v10
	v_mul_f32_e32 v10, v58, v69
	v_bfe_u32 v18, v10, 16, 1
	v_or_b32_e32 v19, 0x400000, v10
	v_cmp_u_f32_e64 s5, v10, v10
	v_add3_u32 v18, v18, v10, 0x7fff
	v_cndmask_b32_e64 v10, v18, v19, s5
	v_lshrrev_b32_e32 v69, 16, v10
	v_mul_f32_e32 v10, v58, v62
	v_bfe_u32 v18, v10, 16, 1
	v_or_b32_e32 v19, 0x400000, v10
	v_cmp_u_f32_e64 s5, v10, v10
	v_add3_u32 v18, v18, v10, 0x7fff
	v_cndmask_b32_e64 v10, v18, v19, s5
	v_lshrrev_b32_e32 v62, 16, v10
	v_mul_f32_e32 v10, v58, v72
	v_bfe_u32 v18, v10, 16, 1
	v_or_b32_e32 v19, 0x400000, v10
	v_cmp_u_f32_e64 s5, v10, v10
	v_add3_u32 v18, v18, v10, 0x7fff
	v_cndmask_b32_e64 v10, v18, v19, s5
	v_lshrrev_b32_e32 v71, 16, v10
	s_and_saveexec_b32 s17, vcc_lo
	s_cbranch_execz .LBB358_2057
; %bb.2056:                             ;   in Loop: Header=BB358_1066 Depth=1
	v_cmp_lt_i32_e64 s5, v75, v96
	v_cndmask_b32_e64 v69, 0, v69, s5
	v_cmp_lt_i32_e64 s5, v90, v96
	v_cndmask_b32_e64 v63, 0, v63, s5
	;; [unrolled: 2-line block ×8, first 2 shown]
.LBB358_2057:                           ;   in Loop: Header=BB358_1066 Depth=1
	s_or_b32 exec_lo, exec_lo, s17
	flat_load_dwordx2 v[16:17], v[16:17] offset:1792
	v_mov_b32_e32 v24, 0
	v_mov_b32_e32 v23, 0
	s_waitcnt vmcnt(0) lgkmcnt(0)
	v_cmp_ne_u16_sdwa s5, v16, v11 src0_sel:BYTE_0 src1_sel:DWORD
	s_and_saveexec_b32 s17, s5
	s_cbranch_execz .LBB358_2065
; %bb.2058:                             ;   in Loop: Header=BB358_1066 Depth=1
	v_cmp_ne_u16_sdwa s5, v16, v65 src0_sel:BYTE_0 src1_sel:DWORD
	v_bfrev_b32_e32 v23, 1
	s_and_saveexec_b32 s18, s5
	s_cbranch_execz .LBB358_2064
; %bb.2059:                             ;   in Loop: Header=BB358_1066 Depth=1
	v_and_b32_e32 v18, 0x7f, v16
	v_mov_b32_e32 v23, 0x7f800001
	s_mov_b32 s20, exec_lo
	v_cmpx_ne_u32_e32 0x7f, v18
	s_cbranch_execz .LBB358_2063
; %bb.2060:                             ;   in Loop: Header=BB358_1066 Depth=1
	v_lshrrev_b32_e32 v10, 3, v18
	v_cmp_gt_u32_e64 s5, 8, v18
	v_mov_b32_e32 v19, v17
	v_mov_b32_e32 v18, v16
	s_and_saveexec_b32 s21, s5
; %bb.2061:                             ;   in Loop: Header=BB358_1066 Depth=1
	v_and_b32_e32 v10, 7, v16
	v_ffbh_u32_e32 v10, v10
	v_min_u32_e32 v10, 32, v10
	v_subrev_nc_u32_e32 v18, 28, v10
	v_sub_nc_u32_e32 v10, 29, v10
	v_lshlrev_b64 v[18:19], v18, v[16:17]
; %bb.2062:                             ;   in Loop: Header=BB358_1066 Depth=1
	s_or_b32 exec_lo, exec_lo, s21
	v_lshlrev_b32_e32 v18, 20, v18
	v_lshlrev_b32_e32 v19, 24, v16
	v_lshl_add_u32 v10, v10, 23, 0x3c000000
	v_and_b32_e32 v18, 0x700000, v18
	v_and_b32_e32 v19, 0x80000000, v19
	v_or3_b32 v23, v18, v19, v10
.LBB358_2063:                           ;   in Loop: Header=BB358_1066 Depth=1
	s_or_b32 exec_lo, exec_lo, s20
.LBB358_2064:                           ;   in Loop: Header=BB358_1066 Depth=1
	s_or_b32 exec_lo, exec_lo, s18
.LBB358_2065:                           ;   in Loop: Header=BB358_1066 Depth=1
	s_or_b32 exec_lo, exec_lo, s17
	v_cmp_ne_u16_sdwa s5, v16, v11 src0_sel:BYTE_1 src1_sel:DWORD
	s_and_saveexec_b32 s17, s5
	s_cbranch_execz .LBB358_2073
; %bb.2066:                             ;   in Loop: Header=BB358_1066 Depth=1
	v_cmp_ne_u16_sdwa s5, v16, v65 src0_sel:BYTE_1 src1_sel:DWORD
	v_bfrev_b32_e32 v24, 1
	s_and_saveexec_b32 s18, s5
	s_cbranch_execz .LBB358_2072
; %bb.2067:                             ;   in Loop: Header=BB358_1066 Depth=1
	v_mov_b32_e32 v10, 0xffff
	v_mov_b32_e32 v24, 0x7f800001
	s_mov_b32 s20, exec_lo
	v_and_b32_sdwa v10, v10, v16 dst_sel:DWORD dst_unused:UNUSED_PAD src0_sel:DWORD src1_sel:BYTE_1
	v_and_b32_e32 v80, 0x7f, v10
	v_cmpx_ne_u32_e32 0x7f, v80
	s_cbranch_execz .LBB358_2071
; %bb.2068:                             ;   in Loop: Header=BB358_1066 Depth=1
	v_and_b32_e32 v10, 7, v10
	v_mov_b32_e32 v19, v11
	v_lshrrev_b32_e32 v19, 3, v80
	s_mov_b32 s21, exec_lo
	v_mov_b32_e32 v18, v10
	v_cmpx_gt_u32_e32 8, v80
; %bb.2069:                             ;   in Loop: Header=BB358_1066 Depth=1
	v_ffbh_u32_e32 v18, v10
	v_min_u32_e32 v24, 32, v18
	v_subrev_nc_u32_e32 v18, 28, v24
	v_lshlrev_b64 v[18:19], v18, v[10:11]
	v_sub_nc_u32_e32 v19, 29, v24
	v_and_b32_e32 v18, 7, v18
; %bb.2070:                             ;   in Loop: Header=BB358_1066 Depth=1
	s_or_b32 exec_lo, exec_lo, s21
	v_lshlrev_b32_e32 v10, 16, v16
	v_lshlrev_b32_e32 v18, 20, v18
	v_lshl_add_u32 v19, v19, 23, 0x3c000000
	v_and_b32_e32 v10, 0x80000000, v10
	v_or3_b32 v24, v18, v10, v19
.LBB358_2071:                           ;   in Loop: Header=BB358_1066 Depth=1
	s_or_b32 exec_lo, exec_lo, s20
.LBB358_2072:                           ;   in Loop: Header=BB358_1066 Depth=1
	s_or_b32 exec_lo, exec_lo, s18
.LBB358_2073:                           ;   in Loop: Header=BB358_1066 Depth=1
	s_or_b32 exec_lo, exec_lo, s17
	v_and_b32_sdwa v10, v16, v70 dst_sel:DWORD dst_unused:UNUSED_PAD src0_sel:WORD_1 src1_sel:DWORD
	v_mov_b32_e32 v80, 0
	v_mov_b32_e32 v112, 0
	s_mov_b32 s17, exec_lo
	v_cmpx_ne_u16_e32 0, v10
	s_cbranch_execz .LBB358_2081
; %bb.2074:                             ;   in Loop: Header=BB358_1066 Depth=1
	v_bfrev_b32_e32 v112, 1
	s_mov_b32 s18, exec_lo
	v_cmpx_ne_u16_e32 0x80, v10
	s_cbranch_execz .LBB358_2080
; %bb.2075:                             ;   in Loop: Header=BB358_1066 Depth=1
	v_bfe_u32 v72, v16, 16, 7
	v_mov_b32_e32 v112, 0x7f800001
	s_mov_b32 s20, exec_lo
	v_cmpx_ne_u32_e32 0x7f, v72
	s_cbranch_execz .LBB358_2079
; %bb.2076:                             ;   in Loop: Header=BB358_1066 Depth=1
	v_mov_b32_e32 v10, 7
	s_mov_b32 s21, exec_lo
	v_and_b32_sdwa v10, v16, v10 dst_sel:DWORD dst_unused:UNUSED_PAD src0_sel:WORD_1 src1_sel:DWORD
	v_mov_b32_e32 v19, v11
	v_lshrrev_b32_e32 v19, 3, v72
	v_mov_b32_e32 v18, v10
	v_cmpx_gt_u32_e32 8, v72
; %bb.2077:                             ;   in Loop: Header=BB358_1066 Depth=1
	v_ffbh_u32_e32 v18, v10
	v_min_u32_e32 v64, 32, v18
	v_subrev_nc_u32_e32 v18, 28, v64
	v_lshlrev_b64 v[18:19], v18, v[10:11]
	v_sub_nc_u32_e32 v19, 29, v64
	v_and_b32_e32 v18, 7, v18
; %bb.2078:                             ;   in Loop: Header=BB358_1066 Depth=1
	s_or_b32 exec_lo, exec_lo, s21
	v_mov_b32_e32 v10, 24
	v_lshlrev_b32_e32 v18, 20, v18
	v_lshl_add_u32 v19, v19, 23, 0x3c000000
	v_lshlrev_b32_sdwa v10, v10, v16 dst_sel:DWORD dst_unused:UNUSED_PAD src0_sel:DWORD src1_sel:WORD_1
	v_and_b32_e32 v10, 0x80000000, v10
	v_or3_b32 v112, v18, v10, v19
.LBB358_2079:                           ;   in Loop: Header=BB358_1066 Depth=1
	s_or_b32 exec_lo, exec_lo, s20
.LBB358_2080:                           ;   in Loop: Header=BB358_1066 Depth=1
	s_or_b32 exec_lo, exec_lo, s18
.LBB358_2081:                           ;   in Loop: Header=BB358_1066 Depth=1
	s_or_b32 exec_lo, exec_lo, s17
	s_mov_b32 s17, exec_lo
	v_cmpx_lt_u32_e32 0xffffff, v16
	s_cbranch_execz .LBB358_2089
; %bb.2082:                             ;   in Loop: Header=BB358_1066 Depth=1
	v_cmp_ne_u32_sdwa s5, v16, v65 src0_sel:BYTE_3 src1_sel:DWORD
	v_bfrev_b32_e32 v80, 1
	s_and_saveexec_b32 s18, s5
	s_cbranch_execz .LBB358_2088
; %bb.2083:                             ;   in Loop: Header=BB358_1066 Depth=1
	v_bfe_u32 v72, v16, 24, 7
	v_mov_b32_e32 v80, 0x7f800001
	s_mov_b32 s20, exec_lo
	v_cmpx_ne_u32_e32 0x7f, v72
	s_cbranch_execz .LBB358_2087
; %bb.2084:                             ;   in Loop: Header=BB358_1066 Depth=1
	v_mov_b32_e32 v10, 7
	s_mov_b32 s21, exec_lo
	v_and_b32_sdwa v10, v16, v10 dst_sel:DWORD dst_unused:UNUSED_PAD src0_sel:BYTE_3 src1_sel:DWORD
	v_mov_b32_e32 v19, v11
	v_lshrrev_b32_e32 v19, 3, v72
	v_mov_b32_e32 v18, v10
	v_cmpx_gt_u32_e32 8, v72
; %bb.2085:                             ;   in Loop: Header=BB358_1066 Depth=1
	v_ffbh_u32_e32 v18, v10
	v_min_u32_e32 v64, 32, v18
	v_subrev_nc_u32_e32 v18, 28, v64
	v_lshlrev_b64 v[18:19], v18, v[10:11]
	v_sub_nc_u32_e32 v19, 29, v64
	v_and_b32_e32 v18, 7, v18
; %bb.2086:                             ;   in Loop: Header=BB358_1066 Depth=1
	s_or_b32 exec_lo, exec_lo, s21
	v_mov_b32_e32 v10, 24
	v_lshlrev_b32_e32 v18, 20, v18
	v_lshl_add_u32 v19, v19, 23, 0x3c000000
	v_lshlrev_b32_sdwa v10, v10, v16 dst_sel:DWORD dst_unused:UNUSED_PAD src0_sel:DWORD src1_sel:BYTE_3
	v_and_b32_e32 v10, 0x80000000, v10
	v_or3_b32 v80, v18, v10, v19
.LBB358_2087:                           ;   in Loop: Header=BB358_1066 Depth=1
	s_or_b32 exec_lo, exec_lo, s20
.LBB358_2088:                           ;   in Loop: Header=BB358_1066 Depth=1
	s_or_b32 exec_lo, exec_lo, s18
.LBB358_2089:                           ;   in Loop: Header=BB358_1066 Depth=1
	s_or_b32 exec_lo, exec_lo, s17
	v_mov_b32_e32 v10, v17
	v_cmp_ne_u16_sdwa s5, v17, v11 src0_sel:BYTE_0 src1_sel:DWORD
	v_mov_b32_e32 v91, 0
	v_mov_b32_e32 v74, 0
	s_and_saveexec_b32 s17, s5
	s_cbranch_execz .LBB358_2097
; %bb.2090:                             ;   in Loop: Header=BB358_1066 Depth=1
	v_cmp_ne_u16_sdwa s5, v17, v65 src0_sel:BYTE_0 src1_sel:DWORD
	v_bfrev_b32_e32 v74, 1
	s_and_saveexec_b32 s18, s5
	s_cbranch_execz .LBB358_2096
; %bb.2091:                             ;   in Loop: Header=BB358_1066 Depth=1
	v_and_b32_e32 v72, 0x7f, v17
	v_mov_b32_e32 v74, 0x7f800001
	s_mov_b32 s20, exec_lo
	v_cmpx_ne_u32_e32 0x7f, v72
	s_cbranch_execz .LBB358_2095
; %bb.2092:                             ;   in Loop: Header=BB358_1066 Depth=1
	v_mov_b32_e32 v19, v11
	v_mov_b32_e32 v18, v10
	v_lshrrev_b32_e32 v19, 3, v72
	s_mov_b32 s21, exec_lo
	v_cmpx_gt_u32_e32 8, v72
; %bb.2093:                             ;   in Loop: Header=BB358_1066 Depth=1
	v_and_b32_e32 v18, 7, v17
	v_ffbh_u32_e32 v18, v18
	v_min_u32_e32 v64, 32, v18
	v_subrev_nc_u32_e32 v18, 28, v64
	v_lshlrev_b64 v[18:19], v18, v[10:11]
	v_sub_nc_u32_e32 v19, 29, v64
; %bb.2094:                             ;   in Loop: Header=BB358_1066 Depth=1
	s_or_b32 exec_lo, exec_lo, s21
	v_lshlrev_b32_e32 v18, 20, v18
	v_lshlrev_b32_e32 v64, 24, v10
	v_lshl_add_u32 v19, v19, 23, 0x3c000000
	v_and_b32_e32 v18, 0x700000, v18
	v_and_b32_e32 v64, 0x80000000, v64
	v_or3_b32 v74, v18, v64, v19
.LBB358_2095:                           ;   in Loop: Header=BB358_1066 Depth=1
	s_or_b32 exec_lo, exec_lo, s20
.LBB358_2096:                           ;   in Loop: Header=BB358_1066 Depth=1
	s_or_b32 exec_lo, exec_lo, s18
.LBB358_2097:                           ;   in Loop: Header=BB358_1066 Depth=1
	s_or_b32 exec_lo, exec_lo, s17
	v_cmp_ne_u16_sdwa s5, v10, v11 src0_sel:BYTE_1 src1_sel:DWORD
	s_and_saveexec_b32 s17, s5
	s_cbranch_execz .LBB358_2105
; %bb.2098:                             ;   in Loop: Header=BB358_1066 Depth=1
	v_cmp_ne_u16_sdwa s5, v10, v65 src0_sel:BYTE_1 src1_sel:DWORD
	v_bfrev_b32_e32 v91, 1
	s_and_saveexec_b32 s18, s5
	s_cbranch_execz .LBB358_2104
; %bb.2099:                             ;   in Loop: Header=BB358_1066 Depth=1
	v_mov_b32_e32 v18, 0xffff
	v_mov_b32_e32 v91, 0x7f800001
	s_mov_b32 s20, exec_lo
	v_and_b32_sdwa v18, v18, v10 dst_sel:DWORD dst_unused:UNUSED_PAD src0_sel:DWORD src1_sel:BYTE_1
	v_and_b32_e32 v73, 0x7f, v18
	v_cmpx_ne_u32_e32 0x7f, v73
	s_cbranch_execz .LBB358_2103
; %bb.2100:                             ;   in Loop: Header=BB358_1066 Depth=1
	v_and_b32_e32 v18, 7, v18
	v_mov_b32_e32 v19, v11
	v_lshrrev_b32_e32 v72, 3, v73
	s_mov_b32 s21, exec_lo
	v_cmpx_gt_u32_e32 8, v73
; %bb.2101:                             ;   in Loop: Header=BB358_1066 Depth=1
	v_ffbh_u32_e32 v64, v18
	v_min_u32_e32 v64, 32, v64
	v_subrev_nc_u32_e32 v72, 28, v64
	v_lshlrev_b64 v[18:19], v72, v[18:19]
	v_sub_nc_u32_e32 v72, 29, v64
	v_and_b32_e32 v18, 7, v18
; %bb.2102:                             ;   in Loop: Header=BB358_1066 Depth=1
	s_or_b32 exec_lo, exec_lo, s21
	v_lshlrev_b32_e32 v10, 16, v10
	v_lshlrev_b32_e32 v18, 20, v18
	v_lshl_add_u32 v19, v72, 23, 0x3c000000
	v_and_b32_e32 v10, 0x80000000, v10
	v_or3_b32 v91, v18, v10, v19
.LBB358_2103:                           ;   in Loop: Header=BB358_1066 Depth=1
	s_or_b32 exec_lo, exec_lo, s20
.LBB358_2104:                           ;   in Loop: Header=BB358_1066 Depth=1
	s_or_b32 exec_lo, exec_lo, s18
.LBB358_2105:                           ;   in Loop: Header=BB358_1066 Depth=1
	s_or_b32 exec_lo, exec_lo, s17
	v_and_b32_sdwa v10, v17, v70 dst_sel:DWORD dst_unused:UNUSED_PAD src0_sel:WORD_1 src1_sel:DWORD
	v_mov_b32_e32 v72, 0
	v_mov_b32_e32 v73, 0
	s_mov_b32 s17, exec_lo
	v_cmpx_ne_u16_e32 0, v10
	s_cbranch_execz .LBB358_2113
; %bb.2106:                             ;   in Loop: Header=BB358_1066 Depth=1
	v_bfrev_b32_e32 v73, 1
	s_mov_b32 s18, exec_lo
	v_cmpx_ne_u16_e32 0x80, v10
	s_cbranch_execz .LBB358_2112
; %bb.2107:                             ;   in Loop: Header=BB358_1066 Depth=1
	v_bfe_u32 v92, v17, 16, 7
	v_mov_b32_e32 v73, 0x7f800001
	s_mov_b32 s20, exec_lo
	v_cmpx_ne_u32_e32 0x7f, v92
	s_cbranch_execz .LBB358_2111
; %bb.2108:                             ;   in Loop: Header=BB358_1066 Depth=1
	v_mov_b32_e32 v10, 7
	s_mov_b32 s21, exec_lo
	v_and_b32_sdwa v10, v17, v10 dst_sel:DWORD dst_unused:UNUSED_PAD src0_sel:WORD_1 src1_sel:DWORD
	v_mov_b32_e32 v19, v11
	v_lshrrev_b32_e32 v19, 3, v92
	v_mov_b32_e32 v18, v10
	v_cmpx_gt_u32_e32 8, v92
; %bb.2109:                             ;   in Loop: Header=BB358_1066 Depth=1
	v_ffbh_u32_e32 v18, v10
	v_min_u32_e32 v64, 32, v18
	v_subrev_nc_u32_e32 v18, 28, v64
	v_lshlrev_b64 v[18:19], v18, v[10:11]
	v_sub_nc_u32_e32 v19, 29, v64
	v_and_b32_e32 v18, 7, v18
; %bb.2110:                             ;   in Loop: Header=BB358_1066 Depth=1
	s_or_b32 exec_lo, exec_lo, s21
	v_mov_b32_e32 v10, 24
	v_lshlrev_b32_e32 v18, 20, v18
	v_lshl_add_u32 v19, v19, 23, 0x3c000000
	v_lshlrev_b32_sdwa v10, v10, v17 dst_sel:DWORD dst_unused:UNUSED_PAD src0_sel:DWORD src1_sel:WORD_1
	v_and_b32_e32 v10, 0x80000000, v10
	v_or3_b32 v73, v18, v10, v19
.LBB358_2111:                           ;   in Loop: Header=BB358_1066 Depth=1
	s_or_b32 exec_lo, exec_lo, s20
.LBB358_2112:                           ;   in Loop: Header=BB358_1066 Depth=1
	s_or_b32 exec_lo, exec_lo, s18
.LBB358_2113:                           ;   in Loop: Header=BB358_1066 Depth=1
	s_or_b32 exec_lo, exec_lo, s17
	s_mov_b32 s17, exec_lo
	v_cmpx_lt_u64_e64 s[12:13], v[16:17]
	s_cbranch_execz .LBB358_2121
; %bb.2114:                             ;   in Loop: Header=BB358_1066 Depth=1
	v_cmp_ne_u32_sdwa s5, v17, v65 src0_sel:BYTE_3 src1_sel:DWORD
	v_bfrev_b32_e32 v72, 1
	s_and_saveexec_b32 s18, s5
	s_cbranch_execz .LBB358_2120
; %bb.2115:                             ;   in Loop: Header=BB358_1066 Depth=1
	v_bfe_u32 v92, v17, 24, 7
	v_mov_b32_e32 v72, 0x7f800001
	s_mov_b32 s20, exec_lo
	v_cmpx_ne_u32_e32 0x7f, v92
	s_cbranch_execz .LBB358_2119
; %bb.2116:                             ;   in Loop: Header=BB358_1066 Depth=1
	v_mov_b32_e32 v10, 7
	v_lshrrev_b32_e32 v16, 3, v92
	s_mov_b32 s21, exec_lo
	v_and_b32_sdwa v10, v17, v10 dst_sel:DWORD dst_unused:UNUSED_PAD src0_sel:BYTE_3 src1_sel:DWORD
	v_mov_b32_e32 v19, v11
	v_mov_b32_e32 v18, v10
	v_cmpx_gt_u32_e32 8, v92
; %bb.2117:                             ;   in Loop: Header=BB358_1066 Depth=1
	v_ffbh_u32_e32 v16, v10
	v_min_u32_e32 v16, 32, v16
	v_subrev_nc_u32_e32 v18, 28, v16
	v_sub_nc_u32_e32 v16, 29, v16
	v_lshlrev_b64 v[18:19], v18, v[10:11]
	v_and_b32_e32 v18, 7, v18
; %bb.2118:                             ;   in Loop: Header=BB358_1066 Depth=1
	s_or_b32 exec_lo, exec_lo, s21
	v_mov_b32_e32 v10, 24
	v_lshl_add_u32 v16, v16, 23, 0x3c000000
	v_lshlrev_b32_sdwa v10, v10, v17 dst_sel:DWORD dst_unused:UNUSED_PAD src0_sel:DWORD src1_sel:BYTE_3
	v_lshlrev_b32_e32 v17, 20, v18
	v_and_b32_e32 v10, 0x80000000, v10
	v_or3_b32 v72, v17, v10, v16
.LBB358_2119:                           ;   in Loop: Header=BB358_1066 Depth=1
	s_or_b32 exec_lo, exec_lo, s20
.LBB358_2120:                           ;   in Loop: Header=BB358_1066 Depth=1
	s_or_b32 exec_lo, exec_lo, s18
.LBB358_2121:                           ;   in Loop: Header=BB358_1066 Depth=1
	s_or_b32 exec_lo, exec_lo, s17
	v_mul_f32_e32 v10, v58, v91
	v_bfe_u32 v16, v10, 16, 1
	v_or_b32_e32 v17, 0x400000, v10
	v_cmp_u_f32_e64 s5, v10, v10
	v_add3_u32 v16, v16, v10, 0x7fff
	v_cndmask_b32_e64 v10, v16, v17, s5
	v_mul_f32_e32 v16, v58, v74
	v_lshrrev_b32_e32 v10, 16, v10
	v_bfe_u32 v17, v16, 16, 1
	v_or_b32_e32 v18, 0x400000, v16
	v_cmp_u_f32_e64 s5, v16, v16
	v_add3_u32 v17, v17, v16, 0x7fff
	v_cndmask_b32_e64 v16, v17, v18, s5
	v_mul_f32_e32 v17, v58, v80
	v_lshrrev_b32_e32 v16, 16, v16
	;; [unrolled: 7-line block ×3, first 2 shown]
	v_bfe_u32 v19, v18, 16, 1
	v_or_b32_e32 v64, 0x400000, v18
	v_cmp_u_f32_e64 s5, v18, v18
	v_add3_u32 v19, v19, v18, 0x7fff
	v_cndmask_b32_e64 v18, v19, v64, s5
	v_lshrrev_b32_e32 v19, 16, v18
	v_mul_f32_e32 v18, v58, v24
	v_bfe_u32 v24, v18, 16, 1
	v_or_b32_e32 v64, 0x400000, v18
	v_cmp_u_f32_e64 s5, v18, v18
	v_add3_u32 v24, v24, v18, 0x7fff
	v_cndmask_b32_e64 v18, v24, v64, s5
	v_lshrrev_b32_e32 v24, 16, v18
	v_mul_f32_e32 v18, v58, v23
	;; [unrolled: 7-line block ×3, first 2 shown]
	v_bfe_u32 v23, v18, 16, 1
	v_or_b32_e32 v64, 0x400000, v18
	v_cmp_u_f32_e64 s5, v18, v18
	v_add3_u32 v23, v23, v18, 0x7fff
	v_cndmask_b32_e64 v18, v23, v64, s5
	v_mul_f32_e32 v23, v58, v72
	v_lshrrev_b32_e32 v18, 16, v18
	v_bfe_u32 v64, v23, 16, 1
	v_or_b32_e32 v80, 0x400000, v23
	v_cmp_u_f32_e64 s5, v23, v23
	v_add3_u32 v64, v64, v23, 0x7fff
	v_cndmask_b32_e64 v23, v64, v80, s5
	v_lshrrev_b32_e32 v23, 16, v23
	s_and_saveexec_b32 s5, vcc_lo
	s_cbranch_execz .LBB358_1064
; %bb.2122:                             ;   in Loop: Header=BB358_1066 Depth=1
	v_cmp_lt_i32_e32 vcc_lo, v75, v96
	v_cndmask_b32_e32 v112, 0, v112, vcc_lo
	v_cmp_lt_i32_e32 vcc_lo, v90, v96
	v_cndmask_b32_e32 v24, 0, v24, vcc_lo
	;; [unrolled: 2-line block ×8, first 2 shown]
	s_branch .LBB358_1064
.LBB358_2123:
	s_or_b32 exec_lo, exec_lo, s15
	s_load_dword s5, s[8:9], 0x0
	s_clause 0x6
	buffer_load_dword v27, off, s[0:3], s32 offset:568
	buffer_load_dword v33, off, s[0:3], s32 offset:572
	;; [unrolled: 1-line block ×7, first 2 shown]
	s_waitcnt lgkmcnt(0)
	v_mov_b32_e32 v16, s5
.LBB358_2124:
	s_or_b32 exec_lo, exec_lo, s7
	s_waitcnt vmcnt(0)
	ds_bpermute_b32 v6, v29, v38
	ds_bpermute_b32 v18, v29, v36
	;; [unrolled: 1-line block ×16, first 2 shown]
	s_mov_b32 s5, exec_lo
	s_waitcnt lgkmcnt(0)
	s_waitcnt_vscnt null, 0x0
	s_barrier
	buffer_gl0_inv
	v_add_f32_e32 v9, v38, v6
	v_add_f32_e32 v6, v36, v18
	v_lshrrev_b32_e32 v18, 1, v28
	v_add_f32_e32 v15, v12, v0
	v_add_f32_e32 v14, v52, v1
	;; [unrolled: 1-line block ×12, first 2 shown]
	v_and_b32_e32 v20, 0x3c1, v32
	v_add_f32_e32 v2, v57, v23
	v_add_f32_e32 v1, v93, v24
	v_lshl_add_u32 v17, v18, 2, v16
	v_lshlrev_b32_e32 v19, 10, v25
	v_cmpx_eq_u32_e32 64, v20
	s_cbranch_execz .LBB358_2126
; %bb.2125:
	v_add_nc_u32_e32 v20, v17, v19
	v_add_nc_u32_e32 v21, 0xfffff800, v20
	;; [unrolled: 1-line block ×7, first 2 shown]
	ds_write_b32 v21, v15
	ds_write_b32 v22, v14
	;; [unrolled: 1-line block ×6, first 2 shown]
	v_add_nc_u32_e32 v21, 0xfffff980, v20
	v_add_nc_u32_e32 v22, 0xfffff9c0, v20
	;; [unrolled: 1-line block ×5, first 2 shown]
	ds_write_b32 v21, v9
	ds_write_b32 v22, v8
	;; [unrolled: 1-line block ×5, first 2 shown]
	v_add_nc_u32_e32 v21, 0xfffffac0, v20
	v_add_nc_u32_e32 v22, 0xfffffb00, v20
	v_add_nc_u32_e32 v23, 0xfffffb40, v20
	v_add_nc_u32_e32 v24, 0xfffffb80, v20
	v_add_nc_u32_e32 v20, 0xfffffbc0, v20
	ds_write_b32 v21, v4
	ds_write_b32 v22, v3
	;; [unrolled: 1-line block ×5, first 2 shown]
.LBB358_2126:
	s_or_b32 exec_lo, exec_lo, s5
	v_lshlrev_b32_e32 v18, 2, v18
	v_cmp_eq_u32_e32 vcc_lo, 0, v31
	s_waitcnt lgkmcnt(0)
	s_barrier
	buffer_gl0_inv
	v_add3_u32 v16, v16, v19, v18
	s_and_saveexec_b32 s5, s4
	s_cbranch_execz .LBB358_2145
; %bb.2127:
	s_and_saveexec_b32 s4, vcc_lo
	s_cbranch_execnz .LBB358_2169
; %bb.2128:
	s_or_b32 exec_lo, exec_lo, s4
	s_and_saveexec_b32 s4, vcc_lo
	s_cbranch_execnz .LBB358_2170
.LBB358_2129:
	s_or_b32 exec_lo, exec_lo, s4
	s_and_saveexec_b32 s4, vcc_lo
	s_cbranch_execnz .LBB358_2171
.LBB358_2130:
	s_or_b32 exec_lo, exec_lo, s4
	s_and_saveexec_b32 s4, vcc_lo
	s_cbranch_execnz .LBB358_2172
.LBB358_2131:
	s_or_b32 exec_lo, exec_lo, s4
	s_and_saveexec_b32 s4, vcc_lo
	s_cbranch_execnz .LBB358_2173
.LBB358_2132:
	s_or_b32 exec_lo, exec_lo, s4
	s_and_saveexec_b32 s4, vcc_lo
	s_cbranch_execnz .LBB358_2174
.LBB358_2133:
	s_or_b32 exec_lo, exec_lo, s4
	s_and_saveexec_b32 s4, vcc_lo
	s_cbranch_execnz .LBB358_2175
.LBB358_2134:
	s_or_b32 exec_lo, exec_lo, s4
	s_and_saveexec_b32 s4, vcc_lo
	s_cbranch_execnz .LBB358_2176
.LBB358_2135:
	s_or_b32 exec_lo, exec_lo, s4
	s_and_saveexec_b32 s4, vcc_lo
	s_cbranch_execnz .LBB358_2177
.LBB358_2136:
	s_or_b32 exec_lo, exec_lo, s4
	s_and_saveexec_b32 s4, vcc_lo
	s_cbranch_execnz .LBB358_2178
.LBB358_2137:
	s_or_b32 exec_lo, exec_lo, s4
	s_and_saveexec_b32 s4, vcc_lo
	s_cbranch_execnz .LBB358_2179
.LBB358_2138:
	s_or_b32 exec_lo, exec_lo, s4
	s_and_saveexec_b32 s4, vcc_lo
	s_cbranch_execnz .LBB358_2180
.LBB358_2139:
	s_or_b32 exec_lo, exec_lo, s4
	s_and_saveexec_b32 s4, vcc_lo
	s_cbranch_execnz .LBB358_2181
.LBB358_2140:
	s_or_b32 exec_lo, exec_lo, s4
	s_and_saveexec_b32 s4, vcc_lo
	s_cbranch_execnz .LBB358_2182
.LBB358_2141:
	s_or_b32 exec_lo, exec_lo, s4
	s_and_saveexec_b32 s4, vcc_lo
	s_cbranch_execnz .LBB358_2183
.LBB358_2142:
	s_or_b32 exec_lo, exec_lo, s4
	s_and_saveexec_b32 s4, vcc_lo
	s_cbranch_execz .LBB358_2144
.LBB358_2143:
	ds_read_b32 v18, v16 offset:960
	s_waitcnt lgkmcnt(0)
	v_add_f32_e32 v1, v18, v1
.LBB358_2144:
	s_or_b32 exec_lo, exec_lo, s4
.LBB358_2145:
	s_or_b32 exec_lo, exec_lo, s5
	v_and_b32_e32 v18, 0x3e1, v32
	s_mov_b32 s5, exec_lo
	s_barrier
	buffer_gl0_inv
	v_cmpx_eq_u32_e32 32, v18
	s_cbranch_execz .LBB358_2147
; %bb.2146:
	ds_write2_b32 v17, v15, v14 offset1:16
	ds_write2_b32 v17, v13, v12 offset0:32 offset1:48
	ds_write2_b32 v17, v11, v10 offset0:64 offset1:80
	;; [unrolled: 1-line block ×7, first 2 shown]
.LBB358_2147:
	s_or_b32 exec_lo, exec_lo, s5
	s_mov_b32 s5, exec_lo
	s_waitcnt lgkmcnt(0)
	s_barrier
	buffer_gl0_inv
	v_cmpx_gt_u32_e32 32, v32
	s_cbranch_execz .LBB358_2166
; %bb.2148:
	s_and_saveexec_b32 s4, vcc_lo
	s_cbranch_execnz .LBB358_2184
; %bb.2149:
	s_or_b32 exec_lo, exec_lo, s4
	s_and_saveexec_b32 s4, vcc_lo
	s_cbranch_execnz .LBB358_2185
.LBB358_2150:
	s_or_b32 exec_lo, exec_lo, s4
	s_and_saveexec_b32 s4, vcc_lo
	s_cbranch_execnz .LBB358_2186
.LBB358_2151:
	s_or_b32 exec_lo, exec_lo, s4
	s_and_saveexec_b32 s4, vcc_lo
	s_cbranch_execnz .LBB358_2187
.LBB358_2152:
	s_or_b32 exec_lo, exec_lo, s4
	s_and_saveexec_b32 s4, vcc_lo
	s_cbranch_execnz .LBB358_2188
.LBB358_2153:
	s_or_b32 exec_lo, exec_lo, s4
	s_and_saveexec_b32 s4, vcc_lo
	s_cbranch_execnz .LBB358_2189
.LBB358_2154:
	s_or_b32 exec_lo, exec_lo, s4
	s_and_saveexec_b32 s4, vcc_lo
	s_cbranch_execnz .LBB358_2190
.LBB358_2155:
	s_or_b32 exec_lo, exec_lo, s4
	s_and_saveexec_b32 s4, vcc_lo
	s_cbranch_execnz .LBB358_2191
.LBB358_2156:
	s_or_b32 exec_lo, exec_lo, s4
	s_and_saveexec_b32 s4, vcc_lo
	s_cbranch_execnz .LBB358_2192
.LBB358_2157:
	s_or_b32 exec_lo, exec_lo, s4
	s_and_saveexec_b32 s4, vcc_lo
	s_cbranch_execnz .LBB358_2193
.LBB358_2158:
	s_or_b32 exec_lo, exec_lo, s4
	s_and_saveexec_b32 s4, vcc_lo
	s_cbranch_execnz .LBB358_2194
.LBB358_2159:
	s_or_b32 exec_lo, exec_lo, s4
	s_and_saveexec_b32 s4, vcc_lo
	s_cbranch_execnz .LBB358_2195
.LBB358_2160:
	s_or_b32 exec_lo, exec_lo, s4
	s_and_saveexec_b32 s4, vcc_lo
	s_cbranch_execnz .LBB358_2196
.LBB358_2161:
	s_or_b32 exec_lo, exec_lo, s4
	s_and_saveexec_b32 s4, vcc_lo
	s_cbranch_execnz .LBB358_2197
.LBB358_2162:
	s_or_b32 exec_lo, exec_lo, s4
	s_and_saveexec_b32 s4, vcc_lo
	s_cbranch_execnz .LBB358_2198
.LBB358_2163:
	s_or_b32 exec_lo, exec_lo, s4
	s_and_saveexec_b32 s4, vcc_lo
	s_cbranch_execz .LBB358_2165
.LBB358_2164:
	ds_read_b32 v16, v16 offset:960
	s_waitcnt lgkmcnt(0)
	v_add_f32_e32 v1, v16, v1
.LBB358_2165:
	s_or_b32 exec_lo, exec_lo, s4
.LBB358_2166:
	s_or_b32 exec_lo, exec_lo, s5
	v_cmp_eq_u32_e32 vcc_lo, 0, v18
	s_barrier
	buffer_gl0_inv
	s_and_b32 exec_lo, exec_lo, vcc_lo
	s_cbranch_execz .LBB358_2168
; %bb.2167:
	buffer_load_dword v18, off, s[0:3], s32 offset:576 ; 4-byte Folded Reload
	s_lshl_b32 s4, s6, 8
	s_mul_i32 s6, s10, s11
	s_ashr_i32 s5, s4, 31
	s_ashr_i32 s7, s6, 31
	s_lshl_b64 s[4:5], s[4:5], 1
	s_lshl_b64 s[6:7], s[6:7], 1
	v_add_co_u32 v16, vcc_lo, v33, s4
	v_add_co_ci_u32_e64 v17, null, s5, v27, vcc_lo
	s_lshl_b32 s4, s14, 8
	v_add_co_u32 v16, vcc_lo, v16, s6
	s_ashr_i32 s5, s4, 31
	v_add_co_ci_u32_e64 v17, null, s7, v17, vcc_lo
	s_lshl_b64 s[4:5], s[4:5], 1
	v_bfe_u32 v19, v15, 16, 1
	v_add_co_u32 v16, vcc_lo, v16, s4
	v_add_co_ci_u32_e64 v17, null, s5, v17, vcc_lo
	v_add3_u32 v19, v19, v15, 0x7fff
	v_or_b32_e32 v20, 0x400000, v15
	s_waitcnt vmcnt(0)
	v_lshlrev_b32_e32 v18, 1, v18
	v_add_co_u32 v16, vcc_lo, v16, v18
	v_add_co_ci_u32_e64 v17, null, 0, v17, vcc_lo
	v_bfe_u32 v18, v14, 16, 1
	v_cmp_u_f32_e32 vcc_lo, v15, v15
	v_add3_u32 v18, v18, v14, 0x7fff
	v_cndmask_b32_e32 v15, v19, v20, vcc_lo
	v_bfe_u32 v19, v13, 16, 1
	v_or_b32_e32 v20, 0x400000, v14
	v_cmp_u_f32_e32 vcc_lo, v14, v14
	flat_store_short_d16_hi v[16:17], v15
	v_add3_u32 v15, v19, v13, 0x7fff
	v_or_b32_e32 v19, 0x400000, v13
	v_cndmask_b32_e32 v14, v18, v20, vcc_lo
	v_bfe_u32 v18, v12, 16, 1
	v_cmp_u_f32_e32 vcc_lo, v13, v13
	flat_store_short_d16_hi v[16:17], v14 offset:32
	v_add3_u32 v14, v18, v12, 0x7fff
	v_cndmask_b32_e32 v13, v15, v19, vcc_lo
	v_bfe_u32 v15, v11, 16, 1
	v_or_b32_e32 v18, 0x400000, v12
	v_cmp_u_f32_e32 vcc_lo, v12, v12
	flat_store_short_d16_hi v[16:17], v13 offset:64
	v_add3_u32 v13, v15, v11, 0x7fff
	v_or_b32_e32 v15, 0x400000, v11
	v_cndmask_b32_e32 v12, v14, v18, vcc_lo
	v_bfe_u32 v14, v10, 16, 1
	v_cmp_u_f32_e32 vcc_lo, v11, v11
	flat_store_short_d16_hi v[16:17], v12 offset:96
	v_add3_u32 v12, v14, v10, 0x7fff
	v_cndmask_b32_e32 v11, v13, v15, vcc_lo
	v_bfe_u32 v13, v9, 16, 1
	v_or_b32_e32 v14, 0x400000, v10
	v_cmp_u_f32_e32 vcc_lo, v10, v10
	flat_store_short_d16_hi v[16:17], v11 offset:128
	;; [unrolled: 12-line block ×4, first 2 shown]
	v_add3_u32 v7, v9, v5, 0x7fff
	v_or_b32_e32 v9, 0x400000, v5
	v_cndmask_b32_e32 v6, v8, v10, vcc_lo
	v_bfe_u32 v8, v4, 16, 1
	v_cmp_u_f32_e32 vcc_lo, v5, v5
	v_or_b32_e32 v10, 0x400000, v1
	flat_store_short_d16_hi v[16:17], v6 offset:288
	v_add3_u32 v6, v8, v4, 0x7fff
	v_cndmask_b32_e32 v5, v7, v9, vcc_lo
	v_bfe_u32 v7, v3, 16, 1
	v_or_b32_e32 v8, 0x400000, v4
	v_cmp_u_f32_e32 vcc_lo, v4, v4
	v_or_b32_e32 v9, 0x400000, v2
	flat_store_short_d16_hi v[16:17], v5 offset:320
	v_add3_u32 v5, v7, v3, 0x7fff
	v_or_b32_e32 v7, 0x400000, v3
	v_cndmask_b32_e32 v4, v6, v8, vcc_lo
	v_bfe_u32 v6, v0, 16, 1
	v_cmp_u_f32_e32 vcc_lo, v3, v3
	v_bfe_u32 v8, v2, 16, 1
	v_add3_u32 v6, v6, v0, 0x7fff
	v_cndmask_b32_e32 v3, v5, v7, vcc_lo
	v_or_b32_e32 v7, 0x400000, v0
	v_cmp_u_f32_e32 vcc_lo, v0, v0
	v_bfe_u32 v5, v1, 16, 1
	v_add3_u32 v8, v8, v2, 0x7fff
	v_cndmask_b32_e32 v0, v6, v7, vcc_lo
	v_cmp_u_f32_e32 vcc_lo, v2, v2
	v_add3_u32 v5, v5, v1, 0x7fff
	v_cndmask_b32_e32 v2, v8, v9, vcc_lo
	v_cmp_u_f32_e32 vcc_lo, v1, v1
	v_cndmask_b32_e32 v1, v5, v10, vcc_lo
	flat_store_short_d16_hi v[16:17], v4 offset:352
	flat_store_short_d16_hi v[16:17], v3 offset:384
	;; [unrolled: 1-line block ×5, first 2 shown]
.LBB358_2168:
	s_or_b32 exec_lo, exec_lo, s19
	s_clause 0x2f
	buffer_load_dword v127, off, s[0:3], s32 offset:8
	buffer_load_dword v126, off, s[0:3], s32 offset:12
	;; [unrolled: 1-line block ×48, first 2 shown]
	s_waitcnt vmcnt(0) lgkmcnt(0)
	s_setpc_b64 s[30:31]
.LBB358_2169:
	ds_read_b32 v18, v16
	s_waitcnt lgkmcnt(0)
	v_add_f32_e32 v15, v18, v15
	s_or_b32 exec_lo, exec_lo, s4
	s_and_saveexec_b32 s4, vcc_lo
	s_cbranch_execz .LBB358_2129
.LBB358_2170:
	ds_read_b32 v18, v16 offset:64
	s_waitcnt lgkmcnt(0)
	v_add_f32_e32 v14, v18, v14
	s_or_b32 exec_lo, exec_lo, s4
	s_and_saveexec_b32 s4, vcc_lo
	s_cbranch_execz .LBB358_2130
.LBB358_2171:
	ds_read_b32 v18, v16 offset:128
	s_waitcnt lgkmcnt(0)
	v_add_f32_e32 v13, v18, v13
	s_or_b32 exec_lo, exec_lo, s4
	s_and_saveexec_b32 s4, vcc_lo
	s_cbranch_execz .LBB358_2131
.LBB358_2172:
	ds_read_b32 v18, v16 offset:192
	s_waitcnt lgkmcnt(0)
	v_add_f32_e32 v12, v18, v12
	s_or_b32 exec_lo, exec_lo, s4
	s_and_saveexec_b32 s4, vcc_lo
	s_cbranch_execz .LBB358_2132
.LBB358_2173:
	ds_read_b32 v18, v16 offset:256
	s_waitcnt lgkmcnt(0)
	v_add_f32_e32 v11, v18, v11
	s_or_b32 exec_lo, exec_lo, s4
	s_and_saveexec_b32 s4, vcc_lo
	s_cbranch_execz .LBB358_2133
.LBB358_2174:
	ds_read_b32 v18, v16 offset:320
	s_waitcnt lgkmcnt(0)
	v_add_f32_e32 v10, v18, v10
	s_or_b32 exec_lo, exec_lo, s4
	s_and_saveexec_b32 s4, vcc_lo
	s_cbranch_execz .LBB358_2134
.LBB358_2175:
	ds_read_b32 v18, v16 offset:384
	s_waitcnt lgkmcnt(0)
	v_add_f32_e32 v9, v18, v9
	s_or_b32 exec_lo, exec_lo, s4
	s_and_saveexec_b32 s4, vcc_lo
	s_cbranch_execz .LBB358_2135
.LBB358_2176:
	ds_read_b32 v18, v16 offset:448
	s_waitcnt lgkmcnt(0)
	v_add_f32_e32 v8, v18, v8
	s_or_b32 exec_lo, exec_lo, s4
	s_and_saveexec_b32 s4, vcc_lo
	s_cbranch_execz .LBB358_2136
.LBB358_2177:
	ds_read_b32 v18, v16 offset:512
	s_waitcnt lgkmcnt(0)
	v_add_f32_e32 v7, v18, v7
	s_or_b32 exec_lo, exec_lo, s4
	s_and_saveexec_b32 s4, vcc_lo
	s_cbranch_execz .LBB358_2137
.LBB358_2178:
	ds_read_b32 v18, v16 offset:576
	s_waitcnt lgkmcnt(0)
	v_add_f32_e32 v6, v18, v6
	s_or_b32 exec_lo, exec_lo, s4
	s_and_saveexec_b32 s4, vcc_lo
	s_cbranch_execz .LBB358_2138
.LBB358_2179:
	ds_read_b32 v18, v16 offset:640
	s_waitcnt lgkmcnt(0)
	v_add_f32_e32 v5, v18, v5
	s_or_b32 exec_lo, exec_lo, s4
	s_and_saveexec_b32 s4, vcc_lo
	s_cbranch_execz .LBB358_2139
.LBB358_2180:
	ds_read_b32 v18, v16 offset:704
	s_waitcnt lgkmcnt(0)
	v_add_f32_e32 v4, v18, v4
	s_or_b32 exec_lo, exec_lo, s4
	s_and_saveexec_b32 s4, vcc_lo
	s_cbranch_execz .LBB358_2140
.LBB358_2181:
	ds_read_b32 v18, v16 offset:768
	s_waitcnt lgkmcnt(0)
	v_add_f32_e32 v3, v18, v3
	s_or_b32 exec_lo, exec_lo, s4
	s_and_saveexec_b32 s4, vcc_lo
	s_cbranch_execz .LBB358_2141
.LBB358_2182:
	ds_read_b32 v18, v16 offset:832
	s_waitcnt lgkmcnt(0)
	v_add_f32_e32 v0, v18, v0
	s_or_b32 exec_lo, exec_lo, s4
	s_and_saveexec_b32 s4, vcc_lo
	s_cbranch_execz .LBB358_2142
.LBB358_2183:
	ds_read_b32 v18, v16 offset:896
	s_waitcnt lgkmcnt(0)
	v_add_f32_e32 v2, v18, v2
	s_or_b32 exec_lo, exec_lo, s4
	s_and_saveexec_b32 s4, vcc_lo
	s_cbranch_execnz .LBB358_2143
	s_branch .LBB358_2144
.LBB358_2184:
	ds_read_b32 v17, v16
	s_waitcnt lgkmcnt(0)
	v_add_f32_e32 v15, v17, v15
	s_or_b32 exec_lo, exec_lo, s4
	s_and_saveexec_b32 s4, vcc_lo
	s_cbranch_execz .LBB358_2150
.LBB358_2185:
	ds_read_b32 v17, v16 offset:64
	s_waitcnt lgkmcnt(0)
	v_add_f32_e32 v14, v17, v14
	s_or_b32 exec_lo, exec_lo, s4
	s_and_saveexec_b32 s4, vcc_lo
	s_cbranch_execz .LBB358_2151
.LBB358_2186:
	ds_read_b32 v17, v16 offset:128
	s_waitcnt lgkmcnt(0)
	v_add_f32_e32 v13, v17, v13
	s_or_b32 exec_lo, exec_lo, s4
	s_and_saveexec_b32 s4, vcc_lo
	s_cbranch_execz .LBB358_2152
.LBB358_2187:
	ds_read_b32 v17, v16 offset:192
	s_waitcnt lgkmcnt(0)
	v_add_f32_e32 v12, v17, v12
	s_or_b32 exec_lo, exec_lo, s4
	s_and_saveexec_b32 s4, vcc_lo
	s_cbranch_execz .LBB358_2153
.LBB358_2188:
	ds_read_b32 v17, v16 offset:256
	s_waitcnt lgkmcnt(0)
	v_add_f32_e32 v11, v17, v11
	s_or_b32 exec_lo, exec_lo, s4
	s_and_saveexec_b32 s4, vcc_lo
	s_cbranch_execz .LBB358_2154
.LBB358_2189:
	ds_read_b32 v17, v16 offset:320
	s_waitcnt lgkmcnt(0)
	v_add_f32_e32 v10, v17, v10
	s_or_b32 exec_lo, exec_lo, s4
	s_and_saveexec_b32 s4, vcc_lo
	s_cbranch_execz .LBB358_2155
.LBB358_2190:
	ds_read_b32 v17, v16 offset:384
	s_waitcnt lgkmcnt(0)
	v_add_f32_e32 v9, v17, v9
	s_or_b32 exec_lo, exec_lo, s4
	s_and_saveexec_b32 s4, vcc_lo
	s_cbranch_execz .LBB358_2156
.LBB358_2191:
	ds_read_b32 v17, v16 offset:448
	s_waitcnt lgkmcnt(0)
	v_add_f32_e32 v8, v17, v8
	s_or_b32 exec_lo, exec_lo, s4
	s_and_saveexec_b32 s4, vcc_lo
	s_cbranch_execz .LBB358_2157
.LBB358_2192:
	ds_read_b32 v17, v16 offset:512
	s_waitcnt lgkmcnt(0)
	v_add_f32_e32 v7, v17, v7
	s_or_b32 exec_lo, exec_lo, s4
	s_and_saveexec_b32 s4, vcc_lo
	s_cbranch_execz .LBB358_2158
.LBB358_2193:
	ds_read_b32 v17, v16 offset:576
	s_waitcnt lgkmcnt(0)
	v_add_f32_e32 v6, v17, v6
	s_or_b32 exec_lo, exec_lo, s4
	s_and_saveexec_b32 s4, vcc_lo
	s_cbranch_execz .LBB358_2159
.LBB358_2194:
	ds_read_b32 v17, v16 offset:640
	s_waitcnt lgkmcnt(0)
	v_add_f32_e32 v5, v17, v5
	s_or_b32 exec_lo, exec_lo, s4
	s_and_saveexec_b32 s4, vcc_lo
	s_cbranch_execz .LBB358_2160
.LBB358_2195:
	ds_read_b32 v17, v16 offset:704
	s_waitcnt lgkmcnt(0)
	v_add_f32_e32 v4, v17, v4
	s_or_b32 exec_lo, exec_lo, s4
	s_and_saveexec_b32 s4, vcc_lo
	s_cbranch_execz .LBB358_2161
.LBB358_2196:
	ds_read_b32 v17, v16 offset:768
	s_waitcnt lgkmcnt(0)
	v_add_f32_e32 v3, v17, v3
	s_or_b32 exec_lo, exec_lo, s4
	s_and_saveexec_b32 s4, vcc_lo
	s_cbranch_execz .LBB358_2162
.LBB358_2197:
	ds_read_b32 v17, v16 offset:832
	s_waitcnt lgkmcnt(0)
	v_add_f32_e32 v0, v17, v0
	s_or_b32 exec_lo, exec_lo, s4
	s_and_saveexec_b32 s4, vcc_lo
	s_cbranch_execz .LBB358_2163
.LBB358_2198:
	ds_read_b32 v17, v16 offset:896
	s_waitcnt lgkmcnt(0)
	v_add_f32_e32 v2, v17, v2
	s_or_b32 exec_lo, exec_lo, s4
	s_and_saveexec_b32 s4, vcc_lo
	s_cbranch_execnz .LBB358_2164
	s_branch .LBB358_2165
.Lfunc_end358:
	.size	_ZN4vllm22paged_attention_kernelI14__hip_bfloat16hLi256ELi16ELi128ELNS_18Fp8KVCacheDataTypeE1ELb1ELi512EEEvPfS3_PT_PKS4_PKT0_SA_ifPKiSC_iPKfiiiSE_SE_iiiii, .Lfunc_end358-_ZN4vllm22paged_attention_kernelI14__hip_bfloat16hLi256ELi16ELi128ELNS_18Fp8KVCacheDataTypeE1ELb1ELi512EEEvPfS3_PT_PKS4_PKT0_SA_ifPKiSC_iPKfiiiSE_SE_iiiii
                                        ; -- End function
	.set .L_ZN4vllm22paged_attention_kernelI14__hip_bfloat16hLi256ELi16ELi128ELNS_18Fp8KVCacheDataTypeE1ELb1ELi512EEEvPfS3_PT_PKS4_PKT0_SA_ifPKiSC_iPKfiiiSE_SE_iiiii.num_vgpr, 128
	.set .L_ZN4vllm22paged_attention_kernelI14__hip_bfloat16hLi256ELi16ELi128ELNS_18Fp8KVCacheDataTypeE1ELb1ELi512EEEvPfS3_PT_PKS4_PKT0_SA_ifPKiSC_iPKfiiiSE_SE_iiiii.num_agpr, 0
	.set .L_ZN4vllm22paged_attention_kernelI14__hip_bfloat16hLi256ELi16ELi128ELNS_18Fp8KVCacheDataTypeE1ELb1ELi512EEEvPfS3_PT_PKS4_PKT0_SA_ifPKiSC_iPKfiiiSE_SE_iiiii.numbered_sgpr, 33
	.set .L_ZN4vllm22paged_attention_kernelI14__hip_bfloat16hLi256ELi16ELi128ELNS_18Fp8KVCacheDataTypeE1ELb1ELi512EEEvPfS3_PT_PKS4_PKT0_SA_ifPKiSC_iPKfiiiSE_SE_iiiii.num_named_barrier, 0
	.set .L_ZN4vllm22paged_attention_kernelI14__hip_bfloat16hLi256ELi16ELi128ELNS_18Fp8KVCacheDataTypeE1ELb1ELi512EEEvPfS3_PT_PKS4_PKT0_SA_ifPKiSC_iPKfiiiSE_SE_iiiii.private_seg_size, 664
	.set .L_ZN4vllm22paged_attention_kernelI14__hip_bfloat16hLi256ELi16ELi128ELNS_18Fp8KVCacheDataTypeE1ELb1ELi512EEEvPfS3_PT_PKS4_PKT0_SA_ifPKiSC_iPKfiiiSE_SE_iiiii.uses_vcc, 1
	.set .L_ZN4vllm22paged_attention_kernelI14__hip_bfloat16hLi256ELi16ELi128ELNS_18Fp8KVCacheDataTypeE1ELb1ELi512EEEvPfS3_PT_PKS4_PKT0_SA_ifPKiSC_iPKfiiiSE_SE_iiiii.uses_flat_scratch, 0
	.set .L_ZN4vllm22paged_attention_kernelI14__hip_bfloat16hLi256ELi16ELi128ELNS_18Fp8KVCacheDataTypeE1ELb1ELi512EEEvPfS3_PT_PKS4_PKT0_SA_ifPKiSC_iPKfiiiSE_SE_iiiii.has_dyn_sized_stack, 0
	.set .L_ZN4vllm22paged_attention_kernelI14__hip_bfloat16hLi256ELi16ELi128ELNS_18Fp8KVCacheDataTypeE1ELb1ELi512EEEvPfS3_PT_PKS4_PKT0_SA_ifPKiSC_iPKfiiiSE_SE_iiiii.has_recursion, 0
	.set .L_ZN4vllm22paged_attention_kernelI14__hip_bfloat16hLi256ELi16ELi128ELNS_18Fp8KVCacheDataTypeE1ELb1ELi512EEEvPfS3_PT_PKS4_PKT0_SA_ifPKiSC_iPKfiiiSE_SE_iiiii.has_indirect_call, 0
	.section	.AMDGPU.csdata,"",@progbits
; Function info:
; codeLenInByte = 87996
; TotalNumSgprs: 35
; NumVgprs: 128
; ScratchSize: 664
; MemoryBound: 0
	.section	.text._ZN4vllm25paged_attention_v2_kernelI14__hip_bfloat16hLi256ELi16ELi128ELNS_18Fp8KVCacheDataTypeE1ELb1ELi512EEEvPfS3_PT_PKS4_PKT0_SA_ifPKiSC_iPKfiiiSE_SE_iiiii,"axG",@progbits,_ZN4vllm25paged_attention_v2_kernelI14__hip_bfloat16hLi256ELi16ELi128ELNS_18Fp8KVCacheDataTypeE1ELb1ELi512EEEvPfS3_PT_PKS4_PKT0_SA_ifPKiSC_iPKfiiiSE_SE_iiiii,comdat
	.protected	_ZN4vllm25paged_attention_v2_kernelI14__hip_bfloat16hLi256ELi16ELi128ELNS_18Fp8KVCacheDataTypeE1ELb1ELi512EEEvPfS3_PT_PKS4_PKT0_SA_ifPKiSC_iPKfiiiSE_SE_iiiii ; -- Begin function _ZN4vllm25paged_attention_v2_kernelI14__hip_bfloat16hLi256ELi16ELi128ELNS_18Fp8KVCacheDataTypeE1ELb1ELi512EEEvPfS3_PT_PKS4_PKT0_SA_ifPKiSC_iPKfiiiSE_SE_iiiii
	.globl	_ZN4vllm25paged_attention_v2_kernelI14__hip_bfloat16hLi256ELi16ELi128ELNS_18Fp8KVCacheDataTypeE1ELb1ELi512EEEvPfS3_PT_PKS4_PKT0_SA_ifPKiSC_iPKfiiiSE_SE_iiiii
	.p2align	8
	.type	_ZN4vllm25paged_attention_v2_kernelI14__hip_bfloat16hLi256ELi16ELi128ELNS_18Fp8KVCacheDataTypeE1ELb1ELi512EEEvPfS3_PT_PKS4_PKT0_SA_ifPKiSC_iPKfiiiSE_SE_iiiii,@function
_ZN4vllm25paged_attention_v2_kernelI14__hip_bfloat16hLi256ELi16ELi128ELNS_18Fp8KVCacheDataTypeE1ELb1ELi512EEEvPfS3_PT_PKS4_PKT0_SA_ifPKiSC_iPKfiiiSE_SE_iiiii: ; @_ZN4vllm25paged_attention_v2_kernelI14__hip_bfloat16hLi256ELi16ELi128ELNS_18Fp8KVCacheDataTypeE1ELb1ELi512EEEvPfS3_PT_PKS4_PKT0_SA_ifPKiSC_iPKfiiiSE_SE_iiiii
; %bb.0:
	s_mov_b32 s14, s8
	s_clause 0x7
	s_load_dwordx4 s[36:39], s[4:5], 0x78
	s_load_dword s8, s[4:5], 0x88
	s_load_dwordx8 s[40:47], s[4:5], 0x0
	s_load_dwordx8 s[24:31], s[4:5], 0x20
	s_load_dwordx2 s[10:11], s[4:5], 0x40
	s_load_dwordx2 s[34:35], s[4:5], 0x50
	s_load_dword s13, s[4:5], 0x48
	s_load_dwordx8 s[16:23], s[4:5], 0x58
	s_add_u32 s0, s0, s9
	s_mov_b32 s32, 0
	s_addc_u32 s1, s1, 0
	v_mov_b32_e32 v31, v0
	s_mov_b32 s12, s6
	s_mov_b32 s15, 11
	s_waitcnt lgkmcnt(0)
	v_mov_b32_e32 v1, s39
	v_mov_b32_e32 v2, s8
	;; [unrolled: 1-line block ×4, first 2 shown]
	buffer_store_dword v1, off, s[0:3], s32
	buffer_store_dword v2, off, s[0:3], s32 offset:4
	v_mov_b32_e32 v1, s41
	v_mov_b32_e32 v2, s42
	;; [unrolled: 1-line block ×29, first 2 shown]
	s_add_u32 s8, s4, 0x90
	s_addc_u32 s9, s5, 0
	s_getpc_b64 s[4:5]
	s_add_u32 s4, s4, _ZN4vllm22paged_attention_kernelI14__hip_bfloat16hLi256ELi16ELi128ELNS_18Fp8KVCacheDataTypeE1ELb1ELi512EEEvPfS3_PT_PKS4_PKT0_SA_ifPKiSC_iPKfiiiSE_SE_iiiii@rel32@lo+4
	s_addc_u32 s5, s5, _ZN4vllm22paged_attention_kernelI14__hip_bfloat16hLi256ELi16ELi128ELNS_18Fp8KVCacheDataTypeE1ELb1ELi512EEEvPfS3_PT_PKS4_PKT0_SA_ifPKiSC_iPKfiiiSE_SE_iiiii@rel32@hi+12
	s_mov_b32 s13, s7
	s_swappc_b64 s[30:31], s[4:5]
	s_endpgm
	.section	.rodata,"a",@progbits
	.p2align	6, 0x0
	.amdhsa_kernel _ZN4vllm25paged_attention_v2_kernelI14__hip_bfloat16hLi256ELi16ELi128ELNS_18Fp8KVCacheDataTypeE1ELb1ELi512EEEvPfS3_PT_PKS4_PKT0_SA_ifPKiSC_iPKfiiiSE_SE_iiiii
		.amdhsa_group_segment_fixed_size 544
		.amdhsa_private_segment_fixed_size 664
		.amdhsa_kernarg_size 400
		.amdhsa_user_sgpr_count 6
		.amdhsa_user_sgpr_private_segment_buffer 1
		.amdhsa_user_sgpr_dispatch_ptr 0
		.amdhsa_user_sgpr_queue_ptr 0
		.amdhsa_user_sgpr_kernarg_segment_ptr 1
		.amdhsa_user_sgpr_dispatch_id 0
		.amdhsa_user_sgpr_flat_scratch_init 0
		.amdhsa_user_sgpr_private_segment_size 0
		.amdhsa_wavefront_size32 1
		.amdhsa_uses_dynamic_stack 0
		.amdhsa_system_sgpr_private_segment_wavefront_offset 1
		.amdhsa_system_sgpr_workgroup_id_x 1
		.amdhsa_system_sgpr_workgroup_id_y 1
		.amdhsa_system_sgpr_workgroup_id_z 1
		.amdhsa_system_sgpr_workgroup_info 0
		.amdhsa_system_vgpr_workitem_id 0
		.amdhsa_next_free_vgpr 128
		.amdhsa_next_free_sgpr 48
		.amdhsa_reserve_vcc 1
		.amdhsa_reserve_flat_scratch 0
		.amdhsa_float_round_mode_32 0
		.amdhsa_float_round_mode_16_64 0
		.amdhsa_float_denorm_mode_32 3
		.amdhsa_float_denorm_mode_16_64 3
		.amdhsa_dx10_clamp 1
		.amdhsa_ieee_mode 1
		.amdhsa_fp16_overflow 0
		.amdhsa_workgroup_processor_mode 1
		.amdhsa_memory_ordered 1
		.amdhsa_forward_progress 1
		.amdhsa_shared_vgpr_count 0
		.amdhsa_exception_fp_ieee_invalid_op 0
		.amdhsa_exception_fp_denorm_src 0
		.amdhsa_exception_fp_ieee_div_zero 0
		.amdhsa_exception_fp_ieee_overflow 0
		.amdhsa_exception_fp_ieee_underflow 0
		.amdhsa_exception_fp_ieee_inexact 0
		.amdhsa_exception_int_div_zero 0
	.end_amdhsa_kernel
	.section	.text._ZN4vllm25paged_attention_v2_kernelI14__hip_bfloat16hLi256ELi16ELi128ELNS_18Fp8KVCacheDataTypeE1ELb1ELi512EEEvPfS3_PT_PKS4_PKT0_SA_ifPKiSC_iPKfiiiSE_SE_iiiii,"axG",@progbits,_ZN4vllm25paged_attention_v2_kernelI14__hip_bfloat16hLi256ELi16ELi128ELNS_18Fp8KVCacheDataTypeE1ELb1ELi512EEEvPfS3_PT_PKS4_PKT0_SA_ifPKiSC_iPKfiiiSE_SE_iiiii,comdat
.Lfunc_end359:
	.size	_ZN4vllm25paged_attention_v2_kernelI14__hip_bfloat16hLi256ELi16ELi128ELNS_18Fp8KVCacheDataTypeE1ELb1ELi512EEEvPfS3_PT_PKS4_PKT0_SA_ifPKiSC_iPKfiiiSE_SE_iiiii, .Lfunc_end359-_ZN4vllm25paged_attention_v2_kernelI14__hip_bfloat16hLi256ELi16ELi128ELNS_18Fp8KVCacheDataTypeE1ELb1ELi512EEEvPfS3_PT_PKS4_PKT0_SA_ifPKiSC_iPKfiiiSE_SE_iiiii
                                        ; -- End function
	.set _ZN4vllm25paged_attention_v2_kernelI14__hip_bfloat16hLi256ELi16ELi128ELNS_18Fp8KVCacheDataTypeE1ELb1ELi512EEEvPfS3_PT_PKS4_PKT0_SA_ifPKiSC_iPKfiiiSE_SE_iiiii.num_vgpr, max(32, .L_ZN4vllm22paged_attention_kernelI14__hip_bfloat16hLi256ELi16ELi128ELNS_18Fp8KVCacheDataTypeE1ELb1ELi512EEEvPfS3_PT_PKS4_PKT0_SA_ifPKiSC_iPKfiiiSE_SE_iiiii.num_vgpr)
	.set _ZN4vllm25paged_attention_v2_kernelI14__hip_bfloat16hLi256ELi16ELi128ELNS_18Fp8KVCacheDataTypeE1ELb1ELi512EEEvPfS3_PT_PKS4_PKT0_SA_ifPKiSC_iPKfiiiSE_SE_iiiii.num_agpr, max(0, .L_ZN4vllm22paged_attention_kernelI14__hip_bfloat16hLi256ELi16ELi128ELNS_18Fp8KVCacheDataTypeE1ELb1ELi512EEEvPfS3_PT_PKS4_PKT0_SA_ifPKiSC_iPKfiiiSE_SE_iiiii.num_agpr)
	.set _ZN4vllm25paged_attention_v2_kernelI14__hip_bfloat16hLi256ELi16ELi128ELNS_18Fp8KVCacheDataTypeE1ELb1ELi512EEEvPfS3_PT_PKS4_PKT0_SA_ifPKiSC_iPKfiiiSE_SE_iiiii.numbered_sgpr, max(48, .L_ZN4vllm22paged_attention_kernelI14__hip_bfloat16hLi256ELi16ELi128ELNS_18Fp8KVCacheDataTypeE1ELb1ELi512EEEvPfS3_PT_PKS4_PKT0_SA_ifPKiSC_iPKfiiiSE_SE_iiiii.numbered_sgpr)
	.set _ZN4vllm25paged_attention_v2_kernelI14__hip_bfloat16hLi256ELi16ELi128ELNS_18Fp8KVCacheDataTypeE1ELb1ELi512EEEvPfS3_PT_PKS4_PKT0_SA_ifPKiSC_iPKfiiiSE_SE_iiiii.num_named_barrier, max(0, .L_ZN4vllm22paged_attention_kernelI14__hip_bfloat16hLi256ELi16ELi128ELNS_18Fp8KVCacheDataTypeE1ELb1ELi512EEEvPfS3_PT_PKS4_PKT0_SA_ifPKiSC_iPKfiiiSE_SE_iiiii.num_named_barrier)
	.set _ZN4vllm25paged_attention_v2_kernelI14__hip_bfloat16hLi256ELi16ELi128ELNS_18Fp8KVCacheDataTypeE1ELb1ELi512EEEvPfS3_PT_PKS4_PKT0_SA_ifPKiSC_iPKfiiiSE_SE_iiiii.private_seg_size, 0+max(.L_ZN4vllm22paged_attention_kernelI14__hip_bfloat16hLi256ELi16ELi128ELNS_18Fp8KVCacheDataTypeE1ELb1ELi512EEEvPfS3_PT_PKS4_PKT0_SA_ifPKiSC_iPKfiiiSE_SE_iiiii.private_seg_size)
	.set _ZN4vllm25paged_attention_v2_kernelI14__hip_bfloat16hLi256ELi16ELi128ELNS_18Fp8KVCacheDataTypeE1ELb1ELi512EEEvPfS3_PT_PKS4_PKT0_SA_ifPKiSC_iPKfiiiSE_SE_iiiii.uses_vcc, or(1, .L_ZN4vllm22paged_attention_kernelI14__hip_bfloat16hLi256ELi16ELi128ELNS_18Fp8KVCacheDataTypeE1ELb1ELi512EEEvPfS3_PT_PKS4_PKT0_SA_ifPKiSC_iPKfiiiSE_SE_iiiii.uses_vcc)
	.set _ZN4vllm25paged_attention_v2_kernelI14__hip_bfloat16hLi256ELi16ELi128ELNS_18Fp8KVCacheDataTypeE1ELb1ELi512EEEvPfS3_PT_PKS4_PKT0_SA_ifPKiSC_iPKfiiiSE_SE_iiiii.uses_flat_scratch, or(0, .L_ZN4vllm22paged_attention_kernelI14__hip_bfloat16hLi256ELi16ELi128ELNS_18Fp8KVCacheDataTypeE1ELb1ELi512EEEvPfS3_PT_PKS4_PKT0_SA_ifPKiSC_iPKfiiiSE_SE_iiiii.uses_flat_scratch)
	.set _ZN4vllm25paged_attention_v2_kernelI14__hip_bfloat16hLi256ELi16ELi128ELNS_18Fp8KVCacheDataTypeE1ELb1ELi512EEEvPfS3_PT_PKS4_PKT0_SA_ifPKiSC_iPKfiiiSE_SE_iiiii.has_dyn_sized_stack, or(0, .L_ZN4vllm22paged_attention_kernelI14__hip_bfloat16hLi256ELi16ELi128ELNS_18Fp8KVCacheDataTypeE1ELb1ELi512EEEvPfS3_PT_PKS4_PKT0_SA_ifPKiSC_iPKfiiiSE_SE_iiiii.has_dyn_sized_stack)
	.set _ZN4vllm25paged_attention_v2_kernelI14__hip_bfloat16hLi256ELi16ELi128ELNS_18Fp8KVCacheDataTypeE1ELb1ELi512EEEvPfS3_PT_PKS4_PKT0_SA_ifPKiSC_iPKfiiiSE_SE_iiiii.has_recursion, or(0, .L_ZN4vllm22paged_attention_kernelI14__hip_bfloat16hLi256ELi16ELi128ELNS_18Fp8KVCacheDataTypeE1ELb1ELi512EEEvPfS3_PT_PKS4_PKT0_SA_ifPKiSC_iPKfiiiSE_SE_iiiii.has_recursion)
	.set _ZN4vllm25paged_attention_v2_kernelI14__hip_bfloat16hLi256ELi16ELi128ELNS_18Fp8KVCacheDataTypeE1ELb1ELi512EEEvPfS3_PT_PKS4_PKT0_SA_ifPKiSC_iPKfiiiSE_SE_iiiii.has_indirect_call, or(0, .L_ZN4vllm22paged_attention_kernelI14__hip_bfloat16hLi256ELi16ELi128ELNS_18Fp8KVCacheDataTypeE1ELb1ELi512EEEvPfS3_PT_PKS4_PKT0_SA_ifPKiSC_iPKfiiiSE_SE_iiiii.has_indirect_call)
	.section	.AMDGPU.csdata,"",@progbits
; Kernel info:
; codeLenInByte = 292
; TotalNumSgprs: 50
; NumVgprs: 128
; ScratchSize: 664
; MemoryBound: 0
; FloatMode: 240
; IeeeMode: 1
; LDSByteSize: 544 bytes/workgroup (compile time only)
; SGPRBlocks: 0
; VGPRBlocks: 15
; NumSGPRsForWavesPerEU: 50
; NumVGPRsForWavesPerEU: 128
; Occupancy: 8
; WaveLimiterHint : 1
; COMPUTE_PGM_RSRC2:SCRATCH_EN: 1
; COMPUTE_PGM_RSRC2:USER_SGPR: 6
; COMPUTE_PGM_RSRC2:TRAP_HANDLER: 0
; COMPUTE_PGM_RSRC2:TGID_X_EN: 1
; COMPUTE_PGM_RSRC2:TGID_Y_EN: 1
; COMPUTE_PGM_RSRC2:TGID_Z_EN: 1
; COMPUTE_PGM_RSRC2:TIDIG_COMP_CNT: 0
	.section	.text._ZN4vllm25paged_attention_v2_kernelI14__hip_bfloat16hLi32ELi16ELi128ELNS_18Fp8KVCacheDataTypeE1ELb0ELi512EEEvPfS3_PT_PKS4_PKT0_SA_ifPKiSC_iPKfiiiSE_SE_iiiii,"axG",@progbits,_ZN4vllm25paged_attention_v2_kernelI14__hip_bfloat16hLi32ELi16ELi128ELNS_18Fp8KVCacheDataTypeE1ELb0ELi512EEEvPfS3_PT_PKS4_PKT0_SA_ifPKiSC_iPKfiiiSE_SE_iiiii,comdat
	.protected	_ZN4vllm25paged_attention_v2_kernelI14__hip_bfloat16hLi32ELi16ELi128ELNS_18Fp8KVCacheDataTypeE1ELb0ELi512EEEvPfS3_PT_PKS4_PKT0_SA_ifPKiSC_iPKfiiiSE_SE_iiiii ; -- Begin function _ZN4vllm25paged_attention_v2_kernelI14__hip_bfloat16hLi32ELi16ELi128ELNS_18Fp8KVCacheDataTypeE1ELb0ELi512EEEvPfS3_PT_PKS4_PKT0_SA_ifPKiSC_iPKfiiiSE_SE_iiiii
	.globl	_ZN4vllm25paged_attention_v2_kernelI14__hip_bfloat16hLi32ELi16ELi128ELNS_18Fp8KVCacheDataTypeE1ELb0ELi512EEEvPfS3_PT_PKS4_PKT0_SA_ifPKiSC_iPKfiiiSE_SE_iiiii
	.p2align	8
	.type	_ZN4vllm25paged_attention_v2_kernelI14__hip_bfloat16hLi32ELi16ELi128ELNS_18Fp8KVCacheDataTypeE1ELb0ELi512EEEvPfS3_PT_PKS4_PKT0_SA_ifPKiSC_iPKfiiiSE_SE_iiiii,@function
_ZN4vllm25paged_attention_v2_kernelI14__hip_bfloat16hLi32ELi16ELi128ELNS_18Fp8KVCacheDataTypeE1ELb0ELi512EEEvPfS3_PT_PKS4_PKT0_SA_ifPKiSC_iPKfiiiSE_SE_iiiii: ; @_ZN4vllm25paged_attention_v2_kernelI14__hip_bfloat16hLi32ELi16ELi128ELNS_18Fp8KVCacheDataTypeE1ELb0ELi512EEEvPfS3_PT_PKS4_PKT0_SA_ifPKiSC_iPKfiiiSE_SE_iiiii
; %bb.0:
	s_load_dwordx2 s[0:1], s[4:5], 0x40
	s_mov_b32 s26, s7
	s_ashr_i32 s27, s7, 31
	s_lshl_b64 s[2:3], s[26:27], 2
	s_waitcnt lgkmcnt(0)
	s_add_u32 s0, s0, s2
	s_addc_u32 s1, s1, s3
	s_lshl_b32 s33, s8, 9
	s_load_dword s27, s[0:1], 0x0
	s_waitcnt lgkmcnt(0)
	s_cmp_ge_i32 s33, s27
	s_cbranch_scc1 .LBB360_304
; %bb.1:
	s_clause 0x1
	s_load_dword s9, s[4:5], 0x90
	s_load_dwordx2 s[36:37], s[4:5], 0x30
	s_waitcnt lgkmcnt(0)
	s_abs_i32 s3, s9
	s_abs_i32 s0, s36
	v_cvt_f32_u32_e32 v1, s0
	s_sub_i32 s2, 0, s0
	v_rcp_iflag_f32_e32 v1, v1
	v_mul_f32_e32 v1, 0x4f7ffffe, v1
	v_cvt_u32_f32_e32 v1, v1
	v_readfirstlane_b32 s1, v1
	s_mul_i32 s2, s2, s1
	s_mul_hi_u32 s2, s1, s2
	s_add_i32 s1, s1, s2
	s_xor_b32 s2, s9, s36
	s_mul_hi_u32 s1, s3, s1
	s_ashr_i32 s2, s2, 31
	s_mul_i32 s7, s1, s0
	s_mov_b32 s36, 0
	s_sub_i32 s3, s3, s7
	s_add_i32 s7, s1, 1
	s_sub_i32 s10, s3, s0
	s_cmp_ge_u32 s3, s0
	s_cselect_b32 s1, s7, s1
	s_cselect_b32 s3, s10, s3
	s_add_i32 s7, s1, 1
	s_cmp_ge_u32 s3, s0
	s_cselect_b32 s0, s7, s1
	s_abs_i32 s16, s6
	s_xor_b32 s0, s0, s2
	s_sub_i32 s10, s0, s2
	s_load_dwordx2 s[0:1], s[4:5], 0x50
	s_abs_i32 s2, s10
	v_cvt_f32_u32_e32 v1, s2
	s_sub_i32 s7, 0, s2
	v_rcp_iflag_f32_e32 v1, v1
	v_mul_f32_e32 v1, 0x4f7ffffe, v1
	v_cvt_u32_f32_e32 v1, v1
	v_readfirstlane_b32 s3, v1
	s_mul_i32 s7, s7, s3
	s_mul_hi_u32 s7, s3, s7
	s_add_i32 s3, s3, s7
	s_waitcnt lgkmcnt(0)
	s_cmp_eq_u64 s[0:1], 0
	s_mul_hi_u32 s3, s16, s3
	s_cbranch_scc1 .LBB360_3
; %bb.2:
	s_ashr_i32 s7, s6, 31
	s_lshl_b64 s[12:13], s[6:7], 2
	s_add_u32 s0, s0, s12
	s_addc_u32 s1, s1, s13
	s_load_dword s36, s[0:1], 0x0
.LBB360_3:
	s_load_dwordx4 s[12:15], s[4:5], 0x58
	v_lshrrev_b32_e32 v22, 1, v0
	v_and_b32_e32 v23, 1, v0
	v_lshlrev_b32_e32 v11, 3, v0
	s_ashr_i32 s0, s6, 31
	s_ashr_i32 s1, s10, 31
	s_lshl_b32 s10, s6, 5
	s_mov_b32 s7, exec_lo
	v_cmpx_gt_u32_e32 8, v0
	s_cbranch_execz .LBB360_5
; %bb.4:
	s_load_dwordx2 s[18:19], s[4:5], 0x18
	s_waitcnt lgkmcnt(0)
	s_mul_i32 s20, s12, s26
	v_lshlrev_b32_e32 v3, 3, v22
	s_ashr_i32 s21, s20, 31
	s_lshl_b64 s[20:21], s[20:21], 1
	v_lshl_add_u32 v3, v23, 5, v3
	s_add_u32 s12, s18, s20
	s_addc_u32 s15, s19, s21
	s_ashr_i32 s11, s10, 31
	s_lshl_b64 s[18:19], s[10:11], 1
	s_add_u32 s18, s12, s18
	s_addc_u32 s19, s15, s19
	global_load_dwordx2 v[1:2], v11, s[18:19]
	s_waitcnt vmcnt(0)
	ds_write_b64 v3, v[1:2]
.LBB360_5:
	s_or_b32 exec_lo, exec_lo, s7
	s_add_i32 s7, s27, 15
	s_clause 0x1
	s_load_dwordx2 s[28:29], s[4:5], 0x38
	s_load_dword s17, s[4:5], 0x48
	s_ashr_i32 s11, s7, 31
	s_waitcnt lgkmcnt(0)
	s_lshl_b32 s12, s8, 5
	s_lshr_b32 s11, s11, 28
	s_xor_b32 s0, s0, s1
	s_add_i32 s7, s7, s11
	s_add_i32 s1, s12, 32
	s_ashr_i32 s15, s7, 4
	s_mul_i32 s7, s3, s2
	s_min_i32 s11, s1, s15
	s_sub_i32 s1, s16, s7
	s_add_i32 s7, s3, 1
	s_sub_i32 s16, s1, s2
	s_cmp_ge_u32 s1, s2
	v_lshrrev_b32_e32 v24, 5, v0
	s_cselect_b32 s3, s7, s3
	s_cselect_b32 s1, s16, s1
	s_add_i32 s7, s3, 1
	s_cmp_ge_u32 s1, s2
	v_or_b32_e32 v9, s12, v24
	s_cselect_b32 s1, s7, s3
	v_mbcnt_lo_u32_b32 v12, -1, 0
	s_xor_b32 s1, s1, s0
	s_mul_i32 s30, s17, s26
	s_sub_i32 s1, s1, s0
	v_cmp_gt_i32_e64 s0, s11, v9
	s_ashr_i32 s31, s30, 31
	s_mov_b32 s2, exec_lo
	s_barrier
	buffer_gl0_inv
                                        ; implicit-def: $vgpr2
                                        ; implicit-def: $vgpr13
	v_cmpx_le_i32_e64 s11, v9
	s_xor_b32 s2, exec_lo, s2
; %bb.6:
	v_mov_b32_e32 v2, 0
	v_mbcnt_lo_u32_b32 v12, -1, 0
	v_mov_b32_e32 v13, 32
; %bb.7:
	s_or_saveexec_b32 s38, s2
	s_clause 0x4
	s_load_dwordx4 s[20:23], s[4:5], 0x0
	s_load_dwordx2 s[24:25], s[4:5], 0x10
	s_load_dword s7, s[4:5], 0x98
	s_load_dwordx2 s[34:35], s[4:5], 0x28
	s_load_dwordx4 s[16:19], s[4:5], 0x68
	v_mov_b32_e32 v30, 0xff7fffff
	v_ashrrev_i32_e32 v10, 31, v9
	s_mul_i32 s14, s1, s14
	s_xor_b32 exec_lo, exec_lo, s38
	s_cbranch_execz .LBB360_141
; %bb.8:
	v_lshlrev_b32_e32 v1, 5, v23
	s_load_dwordx2 s[2:3], s[4:5], 0x20
	v_bfe_u32 v7, v0, 1, 4
	v_xor_b32_e32 v13, 1, v12
	s_ashr_i32 s1, s14, 31
	ds_read_b128 v[3:6], v1
	ds_read_b128 v[30:33], v1 offset:16
	v_lshlrev_b32_e32 v8, 4, v7
	v_cmp_gt_i32_e32 vcc_lo, 32, v13
	v_lshlrev_b32_e32 v1, 2, v23
	s_waitcnt lgkmcnt(0)
	s_load_dword s4, s[16:17], 0x0
	v_mov_b32_e32 v2, 0
	v_mov_b32_e32 v37, 0x80
	;; [unrolled: 1-line block ×7, first 2 shown]
	s_mov_b32 s17, s13
	s_mov_b32 s16, 0
	s_add_u32 s2, s2, s14
	s_addc_u32 s1, s3, s1
	v_add_co_u32 v8, s2, s2, v8
	v_lshlrev_b32_e32 v14, 16, v3
	v_and_b32_e32 v15, 0xffff0000, v3
	v_cndmask_b32_e32 v3, v12, v13, vcc_lo
	v_add_co_ci_u32_e64 v35, null, s1, 0, s2
	v_lshlrev_b32_e32 v18, 16, v5
	v_and_b32_e32 v19, 0xffff0000, v5
	v_lshlrev_b32_e32 v20, 16, v6
	v_and_b32_e32 v21, 0xffff0000, v6
	v_lshlrev_b32_e32 v5, 4, v24
	v_lshlrev_b32_e32 v6, 2, v7
	;; [unrolled: 1-line block ×3, first 2 shown]
	v_add_co_u32 v3, s2, v8, v1
	v_lshlrev_b32_e32 v16, 16, v4
	v_and_b32_e32 v17, 0xffff0000, v4
	v_add_co_ci_u32_e64 v4, null, 0, v35, s2
	v_lshl_or_b32 v1, v24, 6, v6
	v_add3_u32 v35, s33, v5, v7
	v_lshlrev_b64 v[5:6], 2, v[9:10]
	s_lshl_b64 s[2:3], s[30:31], 2
	s_sub_i32 s5, 1, s27
	s_add_u32 s2, s28, s2
	s_addc_u32 s3, s29, s3
	v_lshlrev_b32_e32 v25, 16, v30
	v_add_co_u32 v5, s2, s2, v5
	v_and_b32_e32 v26, 0xffff0000, v30
	v_lshlrev_b32_e32 v27, 16, v31
	v_and_b32_e32 v28, 0xffff0000, v31
	v_lshlrev_b32_e32 v29, 16, v32
	;; [unrolled: 2-line block ×3, first 2 shown]
	v_and_b32_e32 v33, 0xffff0000, v33
	v_mov_b32_e32 v13, 32
	v_cmp_neq_f32_e64 s1, s36, 0
	v_add_nc_u32_e32 v36, 0x60, v1
	v_add_co_ci_u32_e64 v6, null, s3, v6, s2
	v_mov_b32_e32 v30, 0xff7fffff
	v_cmp_eq_u32_e32 vcc_lo, 0, v23
	s_branch .LBB360_10
.LBB360_9:                              ;   in Loop: Header=BB360_10 Depth=1
	s_or_b32 exec_lo, exec_lo, s3
	v_add_nc_u32_e32 v42, 4, v42
	v_add_co_u32 v5, s3, v5, 16
	v_add_nc_u32_e32 v35, 64, v35
	v_add_nc_u32_e32 v36, 0x100, v36
	v_cmp_le_i32_e64 s2, s11, v42
	v_add_co_ci_u32_e64 v6, null, 0, v6, s3
	s_or_b32 s16, s2, s16
	s_andn2_b32 exec_lo, exec_lo, s16
	s_cbranch_execz .LBB360_140
.LBB360_10:                             ; =>This Inner Loop Header: Depth=1
	global_load_dword v1, v[5:6], off
	v_mov_b32_e32 v43, 0
	s_waitcnt vmcnt(0) lgkmcnt(0)
	v_mad_i64_i32 v[7:8], null, v1, s17, v[3:4]
	global_load_dword v47, v[7:8], off
	s_waitcnt vmcnt(0)
	v_cmp_ne_u16_sdwa s2, v47, v2 src0_sel:BYTE_0 src1_sel:DWORD
	s_and_saveexec_b32 s3, s2
	s_cbranch_execz .LBB360_18
; %bb.11:                               ;   in Loop: Header=BB360_10 Depth=1
	v_cmp_ne_u16_sdwa s2, v47, v37 src0_sel:BYTE_0 src1_sel:DWORD
	v_bfrev_b32_e32 v43, 1
	s_and_saveexec_b32 s39, s2
	s_cbranch_execz .LBB360_17
; %bb.12:                               ;   in Loop: Header=BB360_10 Depth=1
	v_and_b32_e32 v44, 0x7f, v47
	v_mov_b32_e32 v43, 0x7f800001
	s_mov_b32 s40, exec_lo
	v_cmpx_ne_u32_e32 0x7f, v44
	s_cbranch_execz .LBB360_16
; %bb.13:                               ;   in Loop: Header=BB360_10 Depth=1
	v_and_b32_e32 v1, 7, v47
	v_lshrrev_b32_e32 v43, 3, v44
	s_mov_b32 s41, exec_lo
	v_cmpx_gt_u32_e32 8, v44
; %bb.14:                               ;   in Loop: Header=BB360_10 Depth=1
	v_ffbh_u32_e32 v43, v1
	v_min_u32_e32 v43, 32, v43
	v_subrev_nc_u32_e32 v44, 28, v43
	v_sub_nc_u32_e32 v43, 29, v43
	v_lshlrev_b64 v[44:45], v44, v[1:2]
	v_and_b32_e32 v1, 7, v44
; %bb.15:                               ;   in Loop: Header=BB360_10 Depth=1
	s_or_b32 exec_lo, exec_lo, s41
	v_lshlrev_b32_e32 v44, 24, v47
	v_lshlrev_b32_e32 v1, 20, v1
	v_lshl_add_u32 v43, v43, 23, 0x3c000000
	v_and_b32_e32 v44, 0x80000000, v44
	v_or3_b32 v43, v1, v44, v43
.LBB360_16:                             ;   in Loop: Header=BB360_10 Depth=1
	s_or_b32 exec_lo, exec_lo, s40
.LBB360_17:                             ;   in Loop: Header=BB360_10 Depth=1
	s_or_b32 exec_lo, exec_lo, s39
.LBB360_18:                             ;   in Loop: Header=BB360_10 Depth=1
	s_or_b32 exec_lo, exec_lo, s3
	v_cmp_ne_u16_sdwa s2, v47, v2 src0_sel:BYTE_1 src1_sel:DWORD
	v_mov_b32_e32 v44, 0
	s_and_saveexec_b32 s3, s2
	s_cbranch_execz .LBB360_26
; %bb.19:                               ;   in Loop: Header=BB360_10 Depth=1
	v_cmp_ne_u16_sdwa s2, v47, v37 src0_sel:BYTE_1 src1_sel:DWORD
	v_bfrev_b32_e32 v44, 1
	s_and_saveexec_b32 s39, s2
	s_cbranch_execz .LBB360_25
; %bb.20:                               ;   in Loop: Header=BB360_10 Depth=1
	v_and_b32_sdwa v1, v38, v47 dst_sel:DWORD dst_unused:UNUSED_PAD src0_sel:DWORD src1_sel:BYTE_1
	v_mov_b32_e32 v44, 0x7f800001
	s_mov_b32 s40, exec_lo
	v_and_b32_e32 v45, 0x7f, v1
	v_cmpx_ne_u32_e32 0x7f, v45
	s_cbranch_execz .LBB360_24
; %bb.21:                               ;   in Loop: Header=BB360_10 Depth=1
	v_and_b32_e32 v1, 7, v1
	v_lshrrev_b32_e32 v44, 3, v45
	s_mov_b32 s41, exec_lo
	v_cmpx_gt_u32_e32 8, v45
; %bb.22:                               ;   in Loop: Header=BB360_10 Depth=1
	v_ffbh_u32_e32 v44, v1
	v_min_u32_e32 v44, 32, v44
	v_subrev_nc_u32_e32 v45, 28, v44
	v_sub_nc_u32_e32 v44, 29, v44
	v_lshlrev_b64 v[45:46], v45, v[1:2]
	v_and_b32_e32 v1, 7, v45
; %bb.23:                               ;   in Loop: Header=BB360_10 Depth=1
	s_or_b32 exec_lo, exec_lo, s41
	v_lshlrev_b32_e32 v45, 16, v47
	v_lshlrev_b32_e32 v1, 20, v1
	v_lshl_add_u32 v44, v44, 23, 0x3c000000
	v_and_b32_e32 v45, 0x80000000, v45
	v_or3_b32 v44, v1, v45, v44
.LBB360_24:                             ;   in Loop: Header=BB360_10 Depth=1
	s_or_b32 exec_lo, exec_lo, s40
.LBB360_25:                             ;   in Loop: Header=BB360_10 Depth=1
	s_or_b32 exec_lo, exec_lo, s39
.LBB360_26:                             ;   in Loop: Header=BB360_10 Depth=1
	s_or_b32 exec_lo, exec_lo, s3
	v_and_b32_sdwa v1, v47, v39 dst_sel:DWORD dst_unused:UNUSED_PAD src0_sel:WORD_1 src1_sel:DWORD
	v_mov_b32_e32 v45, 0
	v_mov_b32_e32 v46, 0
	s_mov_b32 s3, exec_lo
	v_cmpx_ne_u16_e32 0, v1
	s_cbranch_execz .LBB360_34
; %bb.27:                               ;   in Loop: Header=BB360_10 Depth=1
	v_bfrev_b32_e32 v46, 1
	s_mov_b32 s39, exec_lo
	v_cmpx_ne_u16_e32 0x80, v1
	s_cbranch_execz .LBB360_33
; %bb.28:                               ;   in Loop: Header=BB360_10 Depth=1
	v_bfe_u32 v48, v47, 16, 7
	v_mov_b32_e32 v46, 0x7f800001
	s_mov_b32 s40, exec_lo
	v_cmpx_ne_u32_e32 0x7f, v48
	s_cbranch_execz .LBB360_32
; %bb.29:                               ;   in Loop: Header=BB360_10 Depth=1
	v_and_b32_sdwa v1, v47, v40 dst_sel:DWORD dst_unused:UNUSED_PAD src0_sel:WORD_1 src1_sel:DWORD
	v_lshrrev_b32_e32 v46, 3, v48
	s_mov_b32 s41, exec_lo
	v_cmpx_gt_u32_e32 8, v48
; %bb.30:                               ;   in Loop: Header=BB360_10 Depth=1
	v_ffbh_u32_e32 v46, v1
	v_min_u32_e32 v46, 32, v46
	v_subrev_nc_u32_e32 v48, 28, v46
	v_sub_nc_u32_e32 v46, 29, v46
	v_lshlrev_b64 v[48:49], v48, v[1:2]
	v_and_b32_e32 v1, 7, v48
; %bb.31:                               ;   in Loop: Header=BB360_10 Depth=1
	s_or_b32 exec_lo, exec_lo, s41
	v_lshlrev_b32_sdwa v48, v41, v47 dst_sel:DWORD dst_unused:UNUSED_PAD src0_sel:DWORD src1_sel:WORD_1
	v_lshlrev_b32_e32 v1, 20, v1
	v_lshl_add_u32 v46, v46, 23, 0x3c000000
	v_and_b32_e32 v48, 0x80000000, v48
	v_or3_b32 v46, v1, v48, v46
.LBB360_32:                             ;   in Loop: Header=BB360_10 Depth=1
	s_or_b32 exec_lo, exec_lo, s40
.LBB360_33:                             ;   in Loop: Header=BB360_10 Depth=1
	s_or_b32 exec_lo, exec_lo, s39
.LBB360_34:                             ;   in Loop: Header=BB360_10 Depth=1
	s_or_b32 exec_lo, exec_lo, s3
	s_mov_b32 s3, exec_lo
	v_cmpx_lt_u32_e32 0xffffff, v47
	s_cbranch_execz .LBB360_42
; %bb.35:                               ;   in Loop: Header=BB360_10 Depth=1
	v_cmp_ne_u32_sdwa s2, v47, v37 src0_sel:BYTE_3 src1_sel:DWORD
	v_bfrev_b32_e32 v45, 1
	s_and_saveexec_b32 s39, s2
	s_cbranch_execz .LBB360_41
; %bb.36:                               ;   in Loop: Header=BB360_10 Depth=1
	v_bfe_u32 v48, v47, 24, 7
	v_mov_b32_e32 v45, 0x7f800001
	s_mov_b32 s40, exec_lo
	v_cmpx_ne_u32_e32 0x7f, v48
	s_cbranch_execz .LBB360_40
; %bb.37:                               ;   in Loop: Header=BB360_10 Depth=1
	v_and_b32_sdwa v1, v47, v40 dst_sel:DWORD dst_unused:UNUSED_PAD src0_sel:BYTE_3 src1_sel:DWORD
	v_lshrrev_b32_e32 v45, 3, v48
	s_mov_b32 s41, exec_lo
	v_cmpx_gt_u32_e32 8, v48
; %bb.38:                               ;   in Loop: Header=BB360_10 Depth=1
	v_ffbh_u32_e32 v45, v1
	v_min_u32_e32 v45, 32, v45
	v_subrev_nc_u32_e32 v48, 28, v45
	v_sub_nc_u32_e32 v45, 29, v45
	v_lshlrev_b64 v[48:49], v48, v[1:2]
	v_and_b32_e32 v1, 7, v48
; %bb.39:                               ;   in Loop: Header=BB360_10 Depth=1
	s_or_b32 exec_lo, exec_lo, s41
	v_lshlrev_b32_sdwa v47, v41, v47 dst_sel:DWORD dst_unused:UNUSED_PAD src0_sel:DWORD src1_sel:BYTE_3
	v_lshlrev_b32_e32 v1, 20, v1
	v_lshl_add_u32 v45, v45, 23, 0x3c000000
	v_and_b32_e32 v47, 0x80000000, v47
	v_or3_b32 v45, v1, v47, v45
.LBB360_40:                             ;   in Loop: Header=BB360_10 Depth=1
	s_or_b32 exec_lo, exec_lo, s40
.LBB360_41:                             ;   in Loop: Header=BB360_10 Depth=1
	s_or_b32 exec_lo, exec_lo, s39
.LBB360_42:                             ;   in Loop: Header=BB360_10 Depth=1
	s_or_b32 exec_lo, exec_lo, s3
	global_load_dword v51, v[7:8], off offset:8
	v_mov_b32_e32 v48, 0
	v_mov_b32_e32 v47, 0
	s_waitcnt vmcnt(0)
	v_cmp_ne_u16_sdwa s2, v51, v2 src0_sel:BYTE_0 src1_sel:DWORD
	s_and_saveexec_b32 s3, s2
	s_cbranch_execz .LBB360_50
; %bb.43:                               ;   in Loop: Header=BB360_10 Depth=1
	v_cmp_ne_u16_sdwa s2, v51, v37 src0_sel:BYTE_0 src1_sel:DWORD
	v_bfrev_b32_e32 v47, 1
	s_and_saveexec_b32 s39, s2
	s_cbranch_execz .LBB360_49
; %bb.44:                               ;   in Loop: Header=BB360_10 Depth=1
	v_and_b32_e32 v49, 0x7f, v51
	v_mov_b32_e32 v47, 0x7f800001
	s_mov_b32 s40, exec_lo
	v_cmpx_ne_u32_e32 0x7f, v49
	s_cbranch_execz .LBB360_48
; %bb.45:                               ;   in Loop: Header=BB360_10 Depth=1
	v_and_b32_e32 v1, 7, v51
	v_lshrrev_b32_e32 v47, 3, v49
	s_mov_b32 s41, exec_lo
	v_cmpx_gt_u32_e32 8, v49
; %bb.46:                               ;   in Loop: Header=BB360_10 Depth=1
	v_ffbh_u32_e32 v47, v1
	v_min_u32_e32 v47, 32, v47
	v_subrev_nc_u32_e32 v49, 28, v47
	v_sub_nc_u32_e32 v47, 29, v47
	v_lshlrev_b64 v[49:50], v49, v[1:2]
	v_and_b32_e32 v1, 7, v49
; %bb.47:                               ;   in Loop: Header=BB360_10 Depth=1
	s_or_b32 exec_lo, exec_lo, s41
	v_lshlrev_b32_e32 v49, 24, v51
	v_lshlrev_b32_e32 v1, 20, v1
	v_lshl_add_u32 v47, v47, 23, 0x3c000000
	v_and_b32_e32 v49, 0x80000000, v49
	v_or3_b32 v47, v1, v49, v47
.LBB360_48:                             ;   in Loop: Header=BB360_10 Depth=1
	s_or_b32 exec_lo, exec_lo, s40
.LBB360_49:                             ;   in Loop: Header=BB360_10 Depth=1
	s_or_b32 exec_lo, exec_lo, s39
.LBB360_50:                             ;   in Loop: Header=BB360_10 Depth=1
	s_or_b32 exec_lo, exec_lo, s3
	v_cmp_ne_u16_sdwa s2, v51, v2 src0_sel:BYTE_1 src1_sel:DWORD
	s_and_saveexec_b32 s3, s2
	s_cbranch_execz .LBB360_58
; %bb.51:                               ;   in Loop: Header=BB360_10 Depth=1
	v_cmp_ne_u16_sdwa s2, v51, v37 src0_sel:BYTE_1 src1_sel:DWORD
	v_bfrev_b32_e32 v48, 1
	s_and_saveexec_b32 s39, s2
	s_cbranch_execz .LBB360_57
; %bb.52:                               ;   in Loop: Header=BB360_10 Depth=1
	v_and_b32_sdwa v1, v38, v51 dst_sel:DWORD dst_unused:UNUSED_PAD src0_sel:DWORD src1_sel:BYTE_1
	v_mov_b32_e32 v48, 0x7f800001
	s_mov_b32 s40, exec_lo
	v_and_b32_e32 v49, 0x7f, v1
	v_cmpx_ne_u32_e32 0x7f, v49
	s_cbranch_execz .LBB360_56
; %bb.53:                               ;   in Loop: Header=BB360_10 Depth=1
	v_and_b32_e32 v1, 7, v1
	v_lshrrev_b32_e32 v48, 3, v49
	s_mov_b32 s41, exec_lo
	v_cmpx_gt_u32_e32 8, v49
; %bb.54:                               ;   in Loop: Header=BB360_10 Depth=1
	v_ffbh_u32_e32 v48, v1
	v_min_u32_e32 v48, 32, v48
	v_subrev_nc_u32_e32 v49, 28, v48
	v_sub_nc_u32_e32 v48, 29, v48
	v_lshlrev_b64 v[49:50], v49, v[1:2]
	v_and_b32_e32 v1, 7, v49
; %bb.55:                               ;   in Loop: Header=BB360_10 Depth=1
	s_or_b32 exec_lo, exec_lo, s41
	v_lshlrev_b32_e32 v49, 16, v51
	v_lshlrev_b32_e32 v1, 20, v1
	v_lshl_add_u32 v48, v48, 23, 0x3c000000
	v_and_b32_e32 v49, 0x80000000, v49
	v_or3_b32 v48, v1, v49, v48
.LBB360_56:                             ;   in Loop: Header=BB360_10 Depth=1
	s_or_b32 exec_lo, exec_lo, s40
.LBB360_57:                             ;   in Loop: Header=BB360_10 Depth=1
	s_or_b32 exec_lo, exec_lo, s39
.LBB360_58:                             ;   in Loop: Header=BB360_10 Depth=1
	s_or_b32 exec_lo, exec_lo, s3
	v_and_b32_sdwa v1, v51, v39 dst_sel:DWORD dst_unused:UNUSED_PAD src0_sel:WORD_1 src1_sel:DWORD
	v_mov_b32_e32 v49, 0
	v_mov_b32_e32 v50, 0
	s_mov_b32 s3, exec_lo
	v_cmpx_ne_u16_e32 0, v1
	s_cbranch_execz .LBB360_66
; %bb.59:                               ;   in Loop: Header=BB360_10 Depth=1
	v_bfrev_b32_e32 v50, 1
	s_mov_b32 s39, exec_lo
	v_cmpx_ne_u16_e32 0x80, v1
	s_cbranch_execz .LBB360_65
; %bb.60:                               ;   in Loop: Header=BB360_10 Depth=1
	v_bfe_u32 v52, v51, 16, 7
	v_mov_b32_e32 v50, 0x7f800001
	s_mov_b32 s40, exec_lo
	v_cmpx_ne_u32_e32 0x7f, v52
	s_cbranch_execz .LBB360_64
; %bb.61:                               ;   in Loop: Header=BB360_10 Depth=1
	v_and_b32_sdwa v1, v51, v40 dst_sel:DWORD dst_unused:UNUSED_PAD src0_sel:WORD_1 src1_sel:DWORD
	v_lshrrev_b32_e32 v50, 3, v52
	s_mov_b32 s41, exec_lo
	v_cmpx_gt_u32_e32 8, v52
; %bb.62:                               ;   in Loop: Header=BB360_10 Depth=1
	v_ffbh_u32_e32 v50, v1
	v_min_u32_e32 v50, 32, v50
	v_subrev_nc_u32_e32 v52, 28, v50
	v_sub_nc_u32_e32 v50, 29, v50
	v_lshlrev_b64 v[52:53], v52, v[1:2]
	v_and_b32_e32 v1, 7, v52
; %bb.63:                               ;   in Loop: Header=BB360_10 Depth=1
	s_or_b32 exec_lo, exec_lo, s41
	v_lshlrev_b32_sdwa v52, v41, v51 dst_sel:DWORD dst_unused:UNUSED_PAD src0_sel:DWORD src1_sel:WORD_1
	v_lshlrev_b32_e32 v1, 20, v1
	v_lshl_add_u32 v50, v50, 23, 0x3c000000
	v_and_b32_e32 v52, 0x80000000, v52
	v_or3_b32 v50, v1, v52, v50
.LBB360_64:                             ;   in Loop: Header=BB360_10 Depth=1
	s_or_b32 exec_lo, exec_lo, s40
.LBB360_65:                             ;   in Loop: Header=BB360_10 Depth=1
	s_or_b32 exec_lo, exec_lo, s39
.LBB360_66:                             ;   in Loop: Header=BB360_10 Depth=1
	s_or_b32 exec_lo, exec_lo, s3
	s_mov_b32 s3, exec_lo
	v_cmpx_lt_u32_e32 0xffffff, v51
	s_cbranch_execz .LBB360_74
; %bb.67:                               ;   in Loop: Header=BB360_10 Depth=1
	v_cmp_ne_u32_sdwa s2, v51, v37 src0_sel:BYTE_3 src1_sel:DWORD
	v_bfrev_b32_e32 v49, 1
	s_and_saveexec_b32 s39, s2
	s_cbranch_execz .LBB360_73
; %bb.68:                               ;   in Loop: Header=BB360_10 Depth=1
	v_bfe_u32 v52, v51, 24, 7
	v_mov_b32_e32 v49, 0x7f800001
	s_mov_b32 s40, exec_lo
	v_cmpx_ne_u32_e32 0x7f, v52
	s_cbranch_execz .LBB360_72
; %bb.69:                               ;   in Loop: Header=BB360_10 Depth=1
	v_and_b32_sdwa v1, v51, v40 dst_sel:DWORD dst_unused:UNUSED_PAD src0_sel:BYTE_3 src1_sel:DWORD
	v_lshrrev_b32_e32 v49, 3, v52
	s_mov_b32 s41, exec_lo
	v_cmpx_gt_u32_e32 8, v52
; %bb.70:                               ;   in Loop: Header=BB360_10 Depth=1
	v_ffbh_u32_e32 v49, v1
	v_min_u32_e32 v49, 32, v49
	v_subrev_nc_u32_e32 v52, 28, v49
	v_sub_nc_u32_e32 v49, 29, v49
	v_lshlrev_b64 v[52:53], v52, v[1:2]
	v_and_b32_e32 v1, 7, v52
; %bb.71:                               ;   in Loop: Header=BB360_10 Depth=1
	s_or_b32 exec_lo, exec_lo, s41
	v_lshlrev_b32_sdwa v51, v41, v51 dst_sel:DWORD dst_unused:UNUSED_PAD src0_sel:DWORD src1_sel:BYTE_3
	v_lshlrev_b32_e32 v1, 20, v1
	v_lshl_add_u32 v49, v49, 23, 0x3c000000
	v_and_b32_e32 v51, 0x80000000, v51
	v_or3_b32 v49, v1, v51, v49
.LBB360_72:                             ;   in Loop: Header=BB360_10 Depth=1
	s_or_b32 exec_lo, exec_lo, s40
.LBB360_73:                             ;   in Loop: Header=BB360_10 Depth=1
	s_or_b32 exec_lo, exec_lo, s39
.LBB360_74:                             ;   in Loop: Header=BB360_10 Depth=1
	s_or_b32 exec_lo, exec_lo, s3
	global_load_dword v55, v[7:8], off offset:256
	v_mov_b32_e32 v52, 0
	v_mov_b32_e32 v51, 0
	s_waitcnt vmcnt(0)
	v_cmp_ne_u16_sdwa s2, v55, v2 src0_sel:BYTE_0 src1_sel:DWORD
	s_and_saveexec_b32 s3, s2
	s_cbranch_execz .LBB360_82
; %bb.75:                               ;   in Loop: Header=BB360_10 Depth=1
	v_cmp_ne_u16_sdwa s2, v55, v37 src0_sel:BYTE_0 src1_sel:DWORD
	v_bfrev_b32_e32 v51, 1
	s_and_saveexec_b32 s39, s2
	s_cbranch_execz .LBB360_81
; %bb.76:                               ;   in Loop: Header=BB360_10 Depth=1
	v_and_b32_e32 v53, 0x7f, v55
	v_mov_b32_e32 v51, 0x7f800001
	s_mov_b32 s40, exec_lo
	v_cmpx_ne_u32_e32 0x7f, v53
	s_cbranch_execz .LBB360_80
; %bb.77:                               ;   in Loop: Header=BB360_10 Depth=1
	v_and_b32_e32 v1, 7, v55
	v_lshrrev_b32_e32 v51, 3, v53
	s_mov_b32 s41, exec_lo
	v_cmpx_gt_u32_e32 8, v53
; %bb.78:                               ;   in Loop: Header=BB360_10 Depth=1
	v_ffbh_u32_e32 v51, v1
	v_min_u32_e32 v51, 32, v51
	v_subrev_nc_u32_e32 v53, 28, v51
	v_sub_nc_u32_e32 v51, 29, v51
	v_lshlrev_b64 v[53:54], v53, v[1:2]
	v_and_b32_e32 v1, 7, v53
; %bb.79:                               ;   in Loop: Header=BB360_10 Depth=1
	s_or_b32 exec_lo, exec_lo, s41
	v_lshlrev_b32_e32 v53, 24, v55
	v_lshlrev_b32_e32 v1, 20, v1
	v_lshl_add_u32 v51, v51, 23, 0x3c000000
	v_and_b32_e32 v53, 0x80000000, v53
	v_or3_b32 v51, v1, v53, v51
.LBB360_80:                             ;   in Loop: Header=BB360_10 Depth=1
	s_or_b32 exec_lo, exec_lo, s40
.LBB360_81:                             ;   in Loop: Header=BB360_10 Depth=1
	s_or_b32 exec_lo, exec_lo, s39
.LBB360_82:                             ;   in Loop: Header=BB360_10 Depth=1
	s_or_b32 exec_lo, exec_lo, s3
	v_cmp_ne_u16_sdwa s2, v55, v2 src0_sel:BYTE_1 src1_sel:DWORD
	s_and_saveexec_b32 s3, s2
	s_cbranch_execz .LBB360_90
; %bb.83:                               ;   in Loop: Header=BB360_10 Depth=1
	v_cmp_ne_u16_sdwa s2, v55, v37 src0_sel:BYTE_1 src1_sel:DWORD
	v_bfrev_b32_e32 v52, 1
	s_and_saveexec_b32 s39, s2
	s_cbranch_execz .LBB360_89
; %bb.84:                               ;   in Loop: Header=BB360_10 Depth=1
	v_and_b32_sdwa v1, v38, v55 dst_sel:DWORD dst_unused:UNUSED_PAD src0_sel:DWORD src1_sel:BYTE_1
	v_mov_b32_e32 v52, 0x7f800001
	s_mov_b32 s40, exec_lo
	v_and_b32_e32 v53, 0x7f, v1
	v_cmpx_ne_u32_e32 0x7f, v53
	s_cbranch_execz .LBB360_88
; %bb.85:                               ;   in Loop: Header=BB360_10 Depth=1
	v_and_b32_e32 v1, 7, v1
	v_lshrrev_b32_e32 v52, 3, v53
	s_mov_b32 s41, exec_lo
	v_cmpx_gt_u32_e32 8, v53
; %bb.86:                               ;   in Loop: Header=BB360_10 Depth=1
	v_ffbh_u32_e32 v52, v1
	v_min_u32_e32 v52, 32, v52
	v_subrev_nc_u32_e32 v53, 28, v52
	v_sub_nc_u32_e32 v52, 29, v52
	v_lshlrev_b64 v[53:54], v53, v[1:2]
	v_and_b32_e32 v1, 7, v53
; %bb.87:                               ;   in Loop: Header=BB360_10 Depth=1
	s_or_b32 exec_lo, exec_lo, s41
	v_lshlrev_b32_e32 v53, 16, v55
	v_lshlrev_b32_e32 v1, 20, v1
	v_lshl_add_u32 v52, v52, 23, 0x3c000000
	v_and_b32_e32 v53, 0x80000000, v53
	v_or3_b32 v52, v1, v53, v52
.LBB360_88:                             ;   in Loop: Header=BB360_10 Depth=1
	s_or_b32 exec_lo, exec_lo, s40
.LBB360_89:                             ;   in Loop: Header=BB360_10 Depth=1
	s_or_b32 exec_lo, exec_lo, s39
.LBB360_90:                             ;   in Loop: Header=BB360_10 Depth=1
	s_or_b32 exec_lo, exec_lo, s3
	v_and_b32_sdwa v1, v55, v39 dst_sel:DWORD dst_unused:UNUSED_PAD src0_sel:WORD_1 src1_sel:DWORD
	v_mov_b32_e32 v53, 0
	v_mov_b32_e32 v54, 0
	s_mov_b32 s3, exec_lo
	v_cmpx_ne_u16_e32 0, v1
	s_cbranch_execz .LBB360_98
; %bb.91:                               ;   in Loop: Header=BB360_10 Depth=1
	v_bfrev_b32_e32 v54, 1
	s_mov_b32 s39, exec_lo
	v_cmpx_ne_u16_e32 0x80, v1
	s_cbranch_execz .LBB360_97
; %bb.92:                               ;   in Loop: Header=BB360_10 Depth=1
	v_bfe_u32 v56, v55, 16, 7
	v_mov_b32_e32 v54, 0x7f800001
	s_mov_b32 s40, exec_lo
	v_cmpx_ne_u32_e32 0x7f, v56
	s_cbranch_execz .LBB360_96
; %bb.93:                               ;   in Loop: Header=BB360_10 Depth=1
	v_and_b32_sdwa v1, v55, v40 dst_sel:DWORD dst_unused:UNUSED_PAD src0_sel:WORD_1 src1_sel:DWORD
	v_lshrrev_b32_e32 v54, 3, v56
	s_mov_b32 s41, exec_lo
	v_cmpx_gt_u32_e32 8, v56
; %bb.94:                               ;   in Loop: Header=BB360_10 Depth=1
	v_ffbh_u32_e32 v54, v1
	v_min_u32_e32 v54, 32, v54
	v_subrev_nc_u32_e32 v56, 28, v54
	v_sub_nc_u32_e32 v54, 29, v54
	v_lshlrev_b64 v[56:57], v56, v[1:2]
	v_and_b32_e32 v1, 7, v56
; %bb.95:                               ;   in Loop: Header=BB360_10 Depth=1
	s_or_b32 exec_lo, exec_lo, s41
	v_lshlrev_b32_sdwa v56, v41, v55 dst_sel:DWORD dst_unused:UNUSED_PAD src0_sel:DWORD src1_sel:WORD_1
	v_lshlrev_b32_e32 v1, 20, v1
	v_lshl_add_u32 v54, v54, 23, 0x3c000000
	v_and_b32_e32 v56, 0x80000000, v56
	v_or3_b32 v54, v1, v56, v54
.LBB360_96:                             ;   in Loop: Header=BB360_10 Depth=1
	s_or_b32 exec_lo, exec_lo, s40
.LBB360_97:                             ;   in Loop: Header=BB360_10 Depth=1
	s_or_b32 exec_lo, exec_lo, s39
.LBB360_98:                             ;   in Loop: Header=BB360_10 Depth=1
	s_or_b32 exec_lo, exec_lo, s3
	s_mov_b32 s3, exec_lo
	v_cmpx_lt_u32_e32 0xffffff, v55
	s_cbranch_execz .LBB360_106
; %bb.99:                               ;   in Loop: Header=BB360_10 Depth=1
	v_cmp_ne_u32_sdwa s2, v55, v37 src0_sel:BYTE_3 src1_sel:DWORD
	v_bfrev_b32_e32 v53, 1
	s_and_saveexec_b32 s39, s2
	s_cbranch_execz .LBB360_105
; %bb.100:                              ;   in Loop: Header=BB360_10 Depth=1
	v_bfe_u32 v56, v55, 24, 7
	v_mov_b32_e32 v53, 0x7f800001
	s_mov_b32 s40, exec_lo
	v_cmpx_ne_u32_e32 0x7f, v56
	s_cbranch_execz .LBB360_104
; %bb.101:                              ;   in Loop: Header=BB360_10 Depth=1
	v_and_b32_sdwa v1, v55, v40 dst_sel:DWORD dst_unused:UNUSED_PAD src0_sel:BYTE_3 src1_sel:DWORD
	v_lshrrev_b32_e32 v53, 3, v56
	s_mov_b32 s41, exec_lo
	v_cmpx_gt_u32_e32 8, v56
; %bb.102:                              ;   in Loop: Header=BB360_10 Depth=1
	v_ffbh_u32_e32 v53, v1
	v_min_u32_e32 v53, 32, v53
	v_subrev_nc_u32_e32 v56, 28, v53
	v_sub_nc_u32_e32 v53, 29, v53
	v_lshlrev_b64 v[56:57], v56, v[1:2]
	v_and_b32_e32 v1, 7, v56
; %bb.103:                              ;   in Loop: Header=BB360_10 Depth=1
	s_or_b32 exec_lo, exec_lo, s41
	v_lshlrev_b32_sdwa v55, v41, v55 dst_sel:DWORD dst_unused:UNUSED_PAD src0_sel:DWORD src1_sel:BYTE_3
	v_lshlrev_b32_e32 v1, 20, v1
	v_lshl_add_u32 v53, v53, 23, 0x3c000000
	v_and_b32_e32 v55, 0x80000000, v55
	v_or3_b32 v53, v1, v55, v53
.LBB360_104:                            ;   in Loop: Header=BB360_10 Depth=1
	s_or_b32 exec_lo, exec_lo, s40
.LBB360_105:                            ;   in Loop: Header=BB360_10 Depth=1
	s_or_b32 exec_lo, exec_lo, s39
.LBB360_106:                            ;   in Loop: Header=BB360_10 Depth=1
	s_or_b32 exec_lo, exec_lo, s3
	global_load_dword v7, v[7:8], off offset:264
	v_mov_b32_e32 v55, 0
	v_mov_b32_e32 v8, 0
	s_waitcnt vmcnt(0)
	v_cmp_ne_u16_sdwa s2, v7, v2 src0_sel:BYTE_0 src1_sel:DWORD
	s_and_saveexec_b32 s3, s2
	s_cbranch_execz .LBB360_114
; %bb.107:                              ;   in Loop: Header=BB360_10 Depth=1
	v_cmp_ne_u16_sdwa s2, v7, v37 src0_sel:BYTE_0 src1_sel:DWORD
	v_bfrev_b32_e32 v8, 1
	s_and_saveexec_b32 s39, s2
	s_cbranch_execz .LBB360_113
; %bb.108:                              ;   in Loop: Header=BB360_10 Depth=1
	v_and_b32_e32 v56, 0x7f, v7
	v_mov_b32_e32 v8, 0x7f800001
	s_mov_b32 s40, exec_lo
	v_cmpx_ne_u32_e32 0x7f, v56
	s_cbranch_execz .LBB360_112
; %bb.109:                              ;   in Loop: Header=BB360_10 Depth=1
	v_and_b32_e32 v1, 7, v7
	v_lshrrev_b32_e32 v8, 3, v56
	s_mov_b32 s41, exec_lo
	v_cmpx_gt_u32_e32 8, v56
; %bb.110:                              ;   in Loop: Header=BB360_10 Depth=1
	v_ffbh_u32_e32 v8, v1
	v_min_u32_e32 v8, 32, v8
	v_subrev_nc_u32_e32 v56, 28, v8
	v_sub_nc_u32_e32 v8, 29, v8
	v_lshlrev_b64 v[56:57], v56, v[1:2]
	v_and_b32_e32 v1, 7, v56
; %bb.111:                              ;   in Loop: Header=BB360_10 Depth=1
	s_or_b32 exec_lo, exec_lo, s41
	v_lshlrev_b32_e32 v56, 24, v7
	v_lshlrev_b32_e32 v1, 20, v1
	v_lshl_add_u32 v8, v8, 23, 0x3c000000
	v_and_b32_e32 v56, 0x80000000, v56
	v_or3_b32 v8, v1, v56, v8
.LBB360_112:                            ;   in Loop: Header=BB360_10 Depth=1
	s_or_b32 exec_lo, exec_lo, s40
.LBB360_113:                            ;   in Loop: Header=BB360_10 Depth=1
	s_or_b32 exec_lo, exec_lo, s39
.LBB360_114:                            ;   in Loop: Header=BB360_10 Depth=1
	s_or_b32 exec_lo, exec_lo, s3
	v_cmp_ne_u16_sdwa s2, v7, v2 src0_sel:BYTE_1 src1_sel:DWORD
	s_and_saveexec_b32 s3, s2
	s_cbranch_execz .LBB360_122
; %bb.115:                              ;   in Loop: Header=BB360_10 Depth=1
	v_cmp_ne_u16_sdwa s2, v7, v37 src0_sel:BYTE_1 src1_sel:DWORD
	v_bfrev_b32_e32 v55, 1
	s_and_saveexec_b32 s39, s2
	s_cbranch_execz .LBB360_121
; %bb.116:                              ;   in Loop: Header=BB360_10 Depth=1
	v_and_b32_sdwa v1, v38, v7 dst_sel:DWORD dst_unused:UNUSED_PAD src0_sel:DWORD src1_sel:BYTE_1
	v_mov_b32_e32 v55, 0x7f800001
	s_mov_b32 s40, exec_lo
	v_and_b32_e32 v56, 0x7f, v1
	v_cmpx_ne_u32_e32 0x7f, v56
	s_cbranch_execz .LBB360_120
; %bb.117:                              ;   in Loop: Header=BB360_10 Depth=1
	v_and_b32_e32 v1, 7, v1
	v_lshrrev_b32_e32 v55, 3, v56
	s_mov_b32 s41, exec_lo
	v_cmpx_gt_u32_e32 8, v56
; %bb.118:                              ;   in Loop: Header=BB360_10 Depth=1
	v_ffbh_u32_e32 v55, v1
	v_min_u32_e32 v55, 32, v55
	v_subrev_nc_u32_e32 v56, 28, v55
	v_sub_nc_u32_e32 v55, 29, v55
	v_lshlrev_b64 v[56:57], v56, v[1:2]
	v_and_b32_e32 v1, 7, v56
; %bb.119:                              ;   in Loop: Header=BB360_10 Depth=1
	s_or_b32 exec_lo, exec_lo, s41
	v_lshlrev_b32_e32 v56, 16, v7
	v_lshlrev_b32_e32 v1, 20, v1
	v_lshl_add_u32 v55, v55, 23, 0x3c000000
	v_and_b32_e32 v56, 0x80000000, v56
	v_or3_b32 v55, v1, v56, v55
.LBB360_120:                            ;   in Loop: Header=BB360_10 Depth=1
	s_or_b32 exec_lo, exec_lo, s40
.LBB360_121:                            ;   in Loop: Header=BB360_10 Depth=1
	s_or_b32 exec_lo, exec_lo, s39
.LBB360_122:                            ;   in Loop: Header=BB360_10 Depth=1
	s_or_b32 exec_lo, exec_lo, s3
	v_and_b32_sdwa v1, v7, v39 dst_sel:DWORD dst_unused:UNUSED_PAD src0_sel:WORD_1 src1_sel:DWORD
	v_mov_b32_e32 v56, 0
	v_mov_b32_e32 v57, 0
	s_mov_b32 s3, exec_lo
	v_cmpx_ne_u16_e32 0, v1
	s_cbranch_execz .LBB360_130
; %bb.123:                              ;   in Loop: Header=BB360_10 Depth=1
	v_bfrev_b32_e32 v57, 1
	s_mov_b32 s39, exec_lo
	v_cmpx_ne_u16_e32 0x80, v1
	s_cbranch_execz .LBB360_129
; %bb.124:                              ;   in Loop: Header=BB360_10 Depth=1
	v_bfe_u32 v58, v7, 16, 7
	v_mov_b32_e32 v57, 0x7f800001
	s_mov_b32 s40, exec_lo
	v_cmpx_ne_u32_e32 0x7f, v58
	s_cbranch_execz .LBB360_128
; %bb.125:                              ;   in Loop: Header=BB360_10 Depth=1
	v_and_b32_sdwa v1, v7, v40 dst_sel:DWORD dst_unused:UNUSED_PAD src0_sel:WORD_1 src1_sel:DWORD
	v_lshrrev_b32_e32 v57, 3, v58
	s_mov_b32 s41, exec_lo
	v_cmpx_gt_u32_e32 8, v58
; %bb.126:                              ;   in Loop: Header=BB360_10 Depth=1
	v_ffbh_u32_e32 v57, v1
	v_min_u32_e32 v57, 32, v57
	v_subrev_nc_u32_e32 v58, 28, v57
	v_sub_nc_u32_e32 v57, 29, v57
	v_lshlrev_b64 v[58:59], v58, v[1:2]
	v_and_b32_e32 v1, 7, v58
; %bb.127:                              ;   in Loop: Header=BB360_10 Depth=1
	s_or_b32 exec_lo, exec_lo, s41
	v_lshlrev_b32_sdwa v58, v41, v7 dst_sel:DWORD dst_unused:UNUSED_PAD src0_sel:DWORD src1_sel:WORD_1
	v_lshlrev_b32_e32 v1, 20, v1
	v_lshl_add_u32 v57, v57, 23, 0x3c000000
	v_and_b32_e32 v58, 0x80000000, v58
	v_or3_b32 v57, v1, v58, v57
.LBB360_128:                            ;   in Loop: Header=BB360_10 Depth=1
	s_or_b32 exec_lo, exec_lo, s40
.LBB360_129:                            ;   in Loop: Header=BB360_10 Depth=1
	s_or_b32 exec_lo, exec_lo, s39
.LBB360_130:                            ;   in Loop: Header=BB360_10 Depth=1
	s_or_b32 exec_lo, exec_lo, s3
	s_mov_b32 s3, exec_lo
	v_cmpx_lt_u32_e32 0xffffff, v7
	s_cbranch_execz .LBB360_138
; %bb.131:                              ;   in Loop: Header=BB360_10 Depth=1
	v_cmp_ne_u32_sdwa s2, v7, v37 src0_sel:BYTE_3 src1_sel:DWORD
	v_bfrev_b32_e32 v56, 1
	s_and_saveexec_b32 s39, s2
	s_cbranch_execz .LBB360_137
; %bb.132:                              ;   in Loop: Header=BB360_10 Depth=1
	v_bfe_u32 v58, v7, 24, 7
	v_mov_b32_e32 v56, 0x7f800001
	s_mov_b32 s40, exec_lo
	v_cmpx_ne_u32_e32 0x7f, v58
	s_cbranch_execz .LBB360_136
; %bb.133:                              ;   in Loop: Header=BB360_10 Depth=1
	v_and_b32_sdwa v1, v7, v40 dst_sel:DWORD dst_unused:UNUSED_PAD src0_sel:BYTE_3 src1_sel:DWORD
	v_lshrrev_b32_e32 v56, 3, v58
	s_mov_b32 s41, exec_lo
	v_cmpx_gt_u32_e32 8, v58
; %bb.134:                              ;   in Loop: Header=BB360_10 Depth=1
	v_ffbh_u32_e32 v56, v1
	v_min_u32_e32 v56, 32, v56
	v_subrev_nc_u32_e32 v58, 28, v56
	v_sub_nc_u32_e32 v56, 29, v56
	v_lshlrev_b64 v[58:59], v58, v[1:2]
	v_and_b32_e32 v1, 7, v58
; %bb.135:                              ;   in Loop: Header=BB360_10 Depth=1
	s_or_b32 exec_lo, exec_lo, s41
	v_lshlrev_b32_sdwa v7, v41, v7 dst_sel:DWORD dst_unused:UNUSED_PAD src0_sel:DWORD src1_sel:BYTE_3
	v_lshlrev_b32_e32 v1, 20, v1
	v_lshl_add_u32 v56, v56, 23, 0x3c000000
	v_and_b32_e32 v7, 0x80000000, v7
	v_or3_b32 v56, v1, v7, v56
.LBB360_136:                            ;   in Loop: Header=BB360_10 Depth=1
	s_or_b32 exec_lo, exec_lo, s40
.LBB360_137:                            ;   in Loop: Header=BB360_10 Depth=1
	s_or_b32 exec_lo, exec_lo, s39
.LBB360_138:                            ;   in Loop: Header=BB360_10 Depth=1
	s_or_b32 exec_lo, exec_lo, s3
	s_waitcnt lgkmcnt(0)
	v_mul_f32_e32 v1, s4, v55
	v_mul_f32_e32 v7, s4, v8
	;; [unrolled: 1-line block ×5, first 2 shown]
	v_bfe_u32 v54, v1, 16, 1
	v_bfe_u32 v55, v7, 16, 1
	v_or_b32_e32 v58, 0x400000, v1
	v_cmp_u_f32_e64 s2, v1, v1
	v_or_b32_e32 v59, 0x400000, v7
	v_add3_u32 v54, v54, v1, 0x7fff
	v_bfe_u32 v60, v8, 16, 1
	v_add3_u32 v55, v55, v7, 0x7fff
	v_bfe_u32 v61, v53, 16, 1
	v_mul_f32_e32 v51, s4, v51
	v_cndmask_b32_e64 v1, v54, v58, s2
	v_cmp_u_f32_e64 s2, v7, v7
	v_add3_u32 v54, v60, v8, 0x7fff
	v_add3_u32 v58, v61, v53, 0x7fff
	v_bfe_u32 v60, v52, 16, 1
	v_mul_f32_e32 v50, s4, v50
	v_cndmask_b32_e64 v7, v55, v59, s2
	v_or_b32_e32 v55, 0x400000, v8
	v_cmp_u_f32_e64 s2, v8, v8
	v_or_b32_e32 v59, 0x400000, v53
	v_mul_f32_e32 v49, s4, v49
	v_mul_f32_e32 v48, s4, v48
	;; [unrolled: 1-line block ×3, first 2 shown]
	v_cndmask_b32_e64 v8, v54, v55, s2
	v_cmp_u_f32_e64 s2, v53, v53
	v_bfe_u32 v54, v51, 16, 1
	v_add3_u32 v55, v60, v52, 0x7fff
	v_bfe_u32 v60, v50, 16, 1
	v_mul_f32_e32 v46, s4, v46
	v_cndmask_b32_e64 v53, v58, v59, s2
	v_or_b32_e32 v58, 0x400000, v52
	v_cmp_u_f32_e64 s2, v52, v52
	v_add3_u32 v54, v54, v51, 0x7fff
	v_or_b32_e32 v59, 0x400000, v51
	v_mul_f32_e32 v45, s4, v45
	v_mul_f32_e32 v44, s4, v44
	v_cndmask_b32_e64 v52, v55, v58, s2
	v_cmp_u_f32_e64 s2, v51, v51
	v_bfe_u32 v55, v49, 16, 1
	v_or_b32_e32 v58, 0x400000, v50
	v_mul_f32_e32 v43, s4, v43
	v_mul_f32_e32 v56, s4, v56
	v_cndmask_b32_e64 v51, v54, v59, s2
	v_add3_u32 v54, v60, v50, 0x7fff
	v_cmp_u_f32_e64 s2, v50, v50
	v_add3_u32 v55, v55, v49, 0x7fff
	v_or_b32_e32 v59, 0x400000, v49
	v_bfe_u32 v60, v48, 16, 1
	v_or_b32_e32 v61, 0x400000, v56
	v_cndmask_b32_e64 v50, v54, v58, s2
	v_cmp_u_f32_e64 s2, v49, v49
	v_bfe_u32 v54, v47, 16, 1
	v_or_b32_e32 v58, 0x400000, v48
	v_and_b32_e32 v8, 0xffff0000, v8
	v_and_b32_e32 v50, 0xffff0000, v50
	v_cndmask_b32_e64 v49, v55, v59, s2
	v_add3_u32 v55, v60, v48, 0x7fff
	v_cmp_u_f32_e64 s2, v48, v48
	v_add3_u32 v54, v54, v47, 0x7fff
	v_or_b32_e32 v59, 0x400000, v47
	v_bfe_u32 v60, v46, 16, 1
	v_and_b32_e32 v49, 0xffff0000, v49
	v_cndmask_b32_e64 v48, v55, v58, s2
	v_cmp_u_f32_e64 s2, v47, v47
	v_bfe_u32 v55, v45, 16, 1
	v_or_b32_e32 v58, 0x400000, v46
	v_mul_f32_e32 v50, v20, v50
	v_and_b32_e32 v48, 0xffff0000, v48
	v_cndmask_b32_e64 v47, v54, v59, s2
	v_add3_u32 v54, v60, v46, 0x7fff
	v_cmp_u_f32_e64 s2, v46, v46
	v_add3_u32 v55, v55, v45, 0x7fff
	v_or_b32_e32 v59, 0x400000, v45
	v_and_b32_e32 v47, 0xffff0000, v47
	v_mul_f32_e32 v48, v19, v48
	v_cndmask_b32_e64 v46, v54, v58, s2
	v_bfe_u32 v54, v44, 16, 1
	v_cmp_u_f32_e64 s2, v45, v45
	v_bfe_u32 v58, v43, 16, 1
	v_mul_f32_e32 v47, v18, v47
	v_and_b32_e32 v46, 0xffff0000, v46
	v_add3_u32 v54, v54, v44, 0x7fff
	v_cndmask_b32_e64 v45, v55, v59, s2
	v_mul_f32_e32 v55, s4, v57
	v_or_b32_e32 v57, 0x400000, v44
	v_cmp_u_f32_e64 s2, v44, v44
	v_fmac_f32_e32 v50, v16, v46
	v_and_b32_e32 v45, 0xffff0000, v45
	v_bfe_u32 v59, v55, 16, 1
	v_or_b32_e32 v60, 0x400000, v55
	v_cndmask_b32_e64 v44, v54, v57, s2
	v_add3_u32 v57, v58, v43, 0x7fff
	v_or_b32_e32 v58, 0x400000, v43
	v_cmp_u_f32_e64 s2, v43, v43
	v_bfe_u32 v54, v56, 16, 1
	v_and_b32_e32 v44, 0xffff0000, v44
	v_add3_u32 v59, v59, v55, 0x7fff
	v_and_b32_e32 v7, 0xffff0000, v7
	v_cndmask_b32_e64 v43, v57, v58, s2
	v_cmp_u_f32_e64 s2, v55, v55
	v_fmac_f32_e32 v48, v15, v44
	v_and_b32_e32 v44, 0xffff0000, v52
	v_add3_u32 v54, v54, v56, 0x7fff
	v_and_b32_e32 v43, 0xffff0000, v43
	v_cndmask_b32_e64 v55, v59, v60, s2
	v_cmp_u_f32_e64 s2, v56, v56
	v_fmac_f32_e32 v48, v26, v44
	v_and_b32_e32 v1, 0xffff0000, v1
	v_fmac_f32_e32 v47, v14, v43
	v_mul_f32_e32 v43, v21, v49
	v_and_b32_e32 v49, 0xffff0000, v51
	v_cndmask_b32_e64 v54, v54, v61, s2
	v_and_b32_e32 v44, 0xffff0000, v53
	v_fmac_f32_e32 v50, v27, v8
	v_fmac_f32_e32 v43, v17, v45
	;; [unrolled: 1-line block ×4, first 2 shown]
	v_and_b32_e32 v1, 0xffff0000, v54
	v_fmac_f32_e32 v43, v28, v44
	v_fmac_f32_e32 v47, v29, v7
	v_and_b32_e32 v7, 0xffff0000, v55
	v_fmac_f32_e32 v43, v33, v1
	v_fmac_f32_e32 v50, v32, v7
	v_add_f32_e32 v7, v47, v48
	v_add_f32_e32 v1, v7, v50
	;; [unrolled: 1-line block ×3, first 2 shown]
	ds_bpermute_b32 v7, v34, v1
	s_and_saveexec_b32 s3, vcc_lo
	s_cbranch_execz .LBB360_9
; %bb.139:                              ;   in Loop: Header=BB360_10 Depth=1
	v_add_nc_u32_e32 v8, s5, v35
	s_waitcnt lgkmcnt(0)
	v_add_f32_e32 v1, v1, v7
	v_cmp_gt_i32_e64 s2, s27, v35
	v_cvt_f32_i32_e32 v8, v8
	v_mul_f32_e32 v8, s36, v8
	v_cndmask_b32_e64 v7, 0, v8, s1
	v_max_f32_e32 v8, v30, v30
	v_fmac_f32_e32 v7, s37, v1
	v_max_f32_e32 v1, v8, v7
	v_cndmask_b32_e64 v7, 0, v7, s2
	v_cndmask_b32_e64 v30, v30, v1, s2
	ds_write_b32 v36, v7
	s_branch .LBB360_9
.LBB360_140:
	s_or_b32 exec_lo, exec_lo, s16
.LBB360_141:
	s_or_b32 exec_lo, exec_lo, s38
	v_xor_b32_e32 v1, 16, v12
	v_xor_b32_e32 v3, 8, v12
	v_max_f32_e32 v6, v30, v30
	s_waitcnt lgkmcnt(0)
	v_xor_b32_e32 v7, 2, v12
	v_and_b32_e32 v25, 31, v0
	v_cmp_lt_i32_e32 vcc_lo, v1, v13
	v_cndmask_b32_e32 v1, v12, v1, vcc_lo
	v_cmp_lt_i32_e32 vcc_lo, v3, v13
	v_lshlrev_b32_e32 v4, 2, v1
	v_cndmask_b32_e32 v3, v12, v3, vcc_lo
	ds_bpermute_b32 v1, v4, v30
	v_lshlrev_b32_e32 v5, 2, v3
	s_waitcnt lgkmcnt(0)
	v_max_f32_e32 v1, v1, v1
	v_max_f32_e32 v1, v6, v1
	v_xor_b32_e32 v6, 4, v12
	ds_bpermute_b32 v3, v5, v1
	v_cmp_lt_i32_e32 vcc_lo, v6, v13
	v_cndmask_b32_e32 v6, v12, v6, vcc_lo
	v_cmp_lt_i32_e32 vcc_lo, v7, v13
	v_lshlrev_b32_e32 v6, 2, v6
	v_cndmask_b32_e32 v7, v12, v7, vcc_lo
	v_cmp_eq_u32_e32 vcc_lo, 0, v25
	s_waitcnt lgkmcnt(0)
	v_max_f32_e32 v3, v3, v3
	v_max_f32_e32 v1, v1, v3
	ds_bpermute_b32 v3, v6, v1
	s_waitcnt lgkmcnt(0)
	v_max_f32_e32 v3, v3, v3
	v_max_f32_e32 v1, v1, v3
	v_lshlrev_b32_e32 v3, 2, v7
	v_lshlrev_b32_e32 v7, 2, v24
	ds_bpermute_b32 v8, v3, v1
	s_and_saveexec_b32 s1, vcc_lo
	s_cbranch_execz .LBB360_143
; %bb.142:
	s_waitcnt lgkmcnt(0)
	v_max_f32_e32 v8, v8, v8
	v_max_f32_e32 v1, v1, v1
	;; [unrolled: 1-line block ×3, first 2 shown]
	ds_write_b32 v7, v1 offset:64
.LBB360_143:
	s_or_b32 exec_lo, exec_lo, s1
	v_cmp_gt_u32_e64 s1, 4, v25
	v_mov_b32_e32 v1, 0xff7fffff
	s_waitcnt lgkmcnt(0)
	v_lshlrev_b32_e32 v8, 2, v25
	s_barrier
	buffer_gl0_inv
	s_and_saveexec_b32 s2, s1
; %bb.144:
	ds_read_b32 v1, v8 offset:64
; %bb.145:
	s_or_b32 exec_lo, exec_lo, s2
	s_waitcnt lgkmcnt(0)
	ds_bpermute_b32 v14, v3, v1
	v_xor_b32_e32 v15, 1, v12
	v_max_f32_e32 v1, v1, v1
	v_lshlrev_b32_e32 v2, 2, v2
	v_cmp_lt_i32_e64 s2, v15, v13
	v_cndmask_b32_e64 v13, v12, v15, s2
	s_sub_i32 s2, s11, s12
	s_lshl_b32 s2, s2, 4
	v_lshlrev_b32_e32 v26, 2, v13
	s_add_i32 s2, s2, s33
	s_min_i32 s2, s2, s27
	s_waitcnt lgkmcnt(0)
	v_max_f32_e32 v14, v14, v14
	s_sub_i32 s4, s2, s33
	v_cmp_gt_i32_e64 s2, s4, v0
	v_max_f32_e32 v1, v1, v14
	ds_bpermute_b32 v13, v26, v1
	s_waitcnt lgkmcnt(0)
	v_max_f32_e32 v13, v13, v13
	v_max_f32_e32 v1, v1, v13
	v_mov_b32_e32 v13, 0
	ds_bpermute_b32 v1, v2, v1
	v_lshl_add_u32 v2, v0, 2, 0x60
	s_and_saveexec_b32 s5, s2
	s_cbranch_execz .LBB360_149
; %bb.146:
	v_lshl_add_u32 v14, v0, 2, 0x60
	v_mov_b32_e32 v13, 0
	v_mov_b32_e32 v15, v0
	s_mov_b32 s16, 0
	.p2align	6
.LBB360_147:                            ; =>This Inner Loop Header: Depth=1
	ds_read_b32 v16, v14
	v_add_nc_u32_e32 v15, 0x80, v15
	v_cmp_le_i32_e64 s3, s4, v15
	s_or_b32 s16, s3, s16
	s_waitcnt lgkmcnt(0)
	v_sub_f32_e32 v16, v16, v1
	v_mul_f32_e32 v16, 0x3fb8aa3b, v16
	v_exp_f32_e32 v16, v16
	ds_write_b32 v14, v16
	v_add_f32_e32 v13, v13, v16
	v_add_nc_u32_e32 v14, 0x200, v14
	s_andn2_b32 exec_lo, exec_lo, s16
	s_cbranch_execnz .LBB360_147
; %bb.148:
	s_or_b32 exec_lo, exec_lo, s16
.LBB360_149:
	s_or_b32 exec_lo, exec_lo, s5
	ds_bpermute_b32 v4, v4, v13
	s_waitcnt lgkmcnt(0)
	v_add_f32_e32 v4, v13, v4
	ds_bpermute_b32 v5, v5, v4
	s_waitcnt lgkmcnt(0)
	v_add_f32_e32 v4, v4, v5
	ds_bpermute_b32 v5, v6, v4
	s_waitcnt lgkmcnt(0)
	v_add_f32_e32 v4, v4, v5
	ds_bpermute_b32 v5, v3, v4
	s_waitcnt lgkmcnt(0)
	v_add_f32_e32 v4, v4, v5
	ds_bpermute_b32 v5, v26, v4
	s_waitcnt lgkmcnt(0)
	v_add_f32_e32 v4, v4, v5
	s_and_saveexec_b32 s3, vcc_lo
; %bb.150:
	ds_write_b32 v7, v4 offset:80
; %bb.151:
	s_or_b32 exec_lo, exec_lo, s3
	s_waitcnt lgkmcnt(0)
	s_barrier
	buffer_gl0_inv
	s_and_saveexec_b32 s3, s1
; %bb.152:
	ds_read_b32 v4, v8 offset:80
; %bb.153:
	s_or_b32 exec_lo, exec_lo, s3
	s_waitcnt lgkmcnt(0)
	ds_bpermute_b32 v3, v3, v4
	v_lshlrev_b32_e32 v5, 2, v12
	s_waitcnt lgkmcnt(0)
	v_add_f32_e32 v3, v4, v3
	ds_bpermute_b32 v4, v26, v3
	s_waitcnt lgkmcnt(0)
	v_add_f32_e32 v3, v3, v4
	v_and_b32_e32 v4, 0xffffff80, v5
	ds_bpermute_b32 v3, v4, v3
	s_and_saveexec_b32 s1, s2
	s_cbranch_execz .LBB360_156
; %bb.154:
	s_waitcnt lgkmcnt(0)
	v_add_f32_e32 v4, 0x358637bd, v3
	s_mov_b32 s2, 0
	v_div_scale_f32 v5, null, v4, v4, 1.0
	v_div_scale_f32 v8, vcc_lo, 1.0, v4, 1.0
	v_rcp_f32_e32 v6, v5
	v_fma_f32 v7, -v5, v6, 1.0
	v_fmac_f32_e32 v6, v7, v6
	v_mul_f32_e32 v7, v8, v6
	v_fma_f32 v12, -v5, v7, v8
	v_fmac_f32_e32 v7, v12, v6
	v_fma_f32 v5, -v5, v7, v8
	v_div_fmas_f32 v5, v5, v6, v7
	v_div_fixup_f32 v4, v5, v4, 1.0
	v_mov_b32_e32 v5, v0
.LBB360_155:                            ; =>This Inner Loop Header: Depth=1
	ds_read_b32 v6, v2
	v_add_nc_u32_e32 v5, 0x80, v5
	v_cmp_le_i32_e32 vcc_lo, s4, v5
	s_or_b32 s2, vcc_lo, s2
	s_waitcnt lgkmcnt(0)
	v_mul_f32_e32 v6, v4, v6
	ds_write_b32 v2, v6
	v_add_nc_u32_e32 v2, 0x200, v2
	s_andn2_b32 exec_lo, exec_lo, s2
	s_cbranch_execnz .LBB360_155
.LBB360_156:
	s_or_b32 exec_lo, exec_lo, s1
	s_mul_i32 s1, s7, s26
	s_waitcnt lgkmcnt(0)
	s_mul_i32 s2, s1, s9
	s_mov_b32 s1, exec_lo
	s_barrier
	buffer_gl0_inv
	v_cmpx_eq_u32_e32 0, v0
	s_cbranch_execz .LBB360_158
; %bb.157:
	s_ashr_i32 s3, s2, 31
	s_mul_i32 s16, s7, s6
	s_lshl_b64 s[4:5], s[2:3], 2
	v_mov_b32_e32 v2, 0
	s_add_u32 s3, s22, s4
	s_addc_u32 s6, s23, s5
	s_ashr_i32 s17, s16, 31
	s_lshl_b64 s[16:17], s[16:17], 2
	s_add_u32 s3, s3, s16
	s_addc_u32 s6, s6, s17
	s_ashr_i32 s9, s8, 31
	s_lshl_b64 s[8:9], s[8:9], 2
	s_add_u32 s22, s3, s8
	s_addc_u32 s23, s6, s9
	s_add_u32 s3, s20, s4
	s_addc_u32 s4, s21, s5
	;; [unrolled: 2-line block ×4, first 2 shown]
	global_store_dword v2, v1, s[22:23]
	global_store_dword v2, v3, s[4:5]
.LBB360_158:
	s_or_b32 exec_lo, exec_lo, s1
	v_mov_b32_e32 v27, 0
	v_mov_b32_e32 v28, 0
	s_and_saveexec_b32 s1, s0
	s_cbranch_execz .LBB360_286
; %bb.159:
	s_load_dword s6, s[18:19], 0x0
	v_and_b32_e32 v1, 8, v11
	v_and_b32_e32 v2, 0xf8, v11
	v_lshl_add_u32 v4, v24, 4, s33
	s_ashr_i32 s0, s14, 31
	s_add_u32 s4, s34, s14
	v_lshlrev_b32_e32 v3, 5, v23
	s_addc_u32 s0, s35, s0
	v_add_co_u32 v12, s4, s4, v2
	v_add3_u32 v29, v4, v1, 7
	v_lshlrev_b64 v[1:2], 2, v[9:10]
	v_add_co_ci_u32_e64 v13, null, s0, 0, s4
	s_lshl_b64 s[4:5], s[30:31], 2
	s_add_i32 s15, s15, -1
	v_lshl_or_b32 v3, v24, 6, v3
	s_add_u32 s0, s28, s4
	s_addc_u32 s4, s29, s5
	v_add_co_u32 v14, vcc_lo, s0, v1
	v_mov_b32_e32 v11, 0
	v_add_nc_u32_e32 v30, 0x60, v3
	v_add_co_ci_u32_e64 v15, null, s4, v2, vcc_lo
	v_mov_b32_e32 v31, 0x80
	v_mov_b32_e32 v32, 0xffff
	;; [unrolled: 1-line block ×7, first 2 shown]
	s_mov_b32 s4, -1
	s_mov_b32 s3, s13
	s_mov_b32 s5, 0xffffff
	;; [unrolled: 1-line block ×3, first 2 shown]
	s_branch .LBB360_161
.LBB360_160:                            ;   in Loop: Header=BB360_161 Depth=1
	s_or_b32 exec_lo, exec_lo, s0
	v_bfe_u32 v41, v5, 16, 1
	v_or_b32_e32 v43, 0x400000, v5
	v_bfe_u32 v44, v6, 16, 1
	v_cmp_u_f32_e32 vcc_lo, v5, v5
	v_bfe_u32 v45, v7, 16, 1
	v_add3_u32 v41, v41, v5, 0x7fff
	v_or_b32_e32 v46, 0x400000, v6
	v_add3_u32 v44, v44, v6, 0x7fff
	v_or_b32_e32 v47, 0x400000, v7
	v_add3_u32 v45, v45, v7, 0x7fff
	v_cndmask_b32_e32 v5, v41, v43, vcc_lo
	v_cmp_u_f32_e32 vcc_lo, v6, v6
	v_bfe_u32 v41, v8, 16, 1
	v_bfe_u32 v43, v1, 16, 1
	v_lshlrev_b32_e32 v42, 16, v42
	v_and_b32_e32 v5, 0xffff0000, v5
	v_cndmask_b32_e32 v6, v44, v46, vcc_lo
	v_cmp_u_f32_e32 vcc_lo, v7, v7
	v_add3_u32 v41, v41, v8, 0x7fff
	v_or_b32_e32 v44, 0x400000, v8
	v_add3_u32 v43, v43, v1, 0x7fff
	v_bfe_u32 v46, v2, 16, 1
	v_cndmask_b32_e32 v7, v45, v47, vcc_lo
	v_cmp_u_f32_e32 vcc_lo, v8, v8
	v_or_b32_e32 v45, 0x400000, v1
	v_mul_f32_e32 v42, v5, v42
	v_and_b32_e32 v6, 0xffff0000, v6
	v_lshlrev_b32_e32 v40, 16, v40
	v_cndmask_b32_e32 v8, v41, v44, vcc_lo
	v_cmp_u_f32_e32 vcc_lo, v1, v1
	v_add3_u32 v41, v46, v2, 0x7fff
	v_bfe_u32 v44, v3, 16, 1
	v_mul_f32_e32 v40, v6, v40
	v_and_b32_e32 v7, 0xffff0000, v7
	v_cndmask_b32_e32 v1, v43, v45, vcc_lo
	v_or_b32_e32 v43, 0x400000, v2
	v_cmp_u_f32_e32 vcc_lo, v2, v2
	v_lshlrev_b32_e32 v39, 16, v39
	v_and_b32_e32 v8, 0xffff0000, v8
	v_lshlrev_b32_e32 v37, 16, v37
	v_and_b32_e32 v1, 0xffff0000, v1
	v_cndmask_b32_e32 v2, v41, v43, vcc_lo
	v_add3_u32 v41, v44, v3, 0x7fff
	v_or_b32_e32 v43, 0x400000, v3
	v_bfe_u32 v44, v4, 16, 1
	v_cmp_u_f32_e32 vcc_lo, v3, v3
	v_mul_f32_e32 v39, v7, v39
	v_mul_f32_e32 v37, v8, v37
	v_lshlrev_b32_e32 v21, 16, v21
	v_and_b32_e32 v2, 0xffff0000, v2
	v_cndmask_b32_e32 v3, v41, v43, vcc_lo
	v_add3_u32 v41, v44, v4, 0x7fff
	v_or_b32_e32 v43, 0x400000, v4
	v_bfe_u32 v44, v42, 16, 1
	v_cmp_u_f32_e32 vcc_lo, v4, v4
	v_or_b32_e32 v45, 0x400000, v39
	v_bfe_u32 v46, v37, 16, 1
	v_mul_f32_e32 v21, v1, v21
	v_lshlrev_b32_e32 v20, 16, v20
	v_cndmask_b32_e32 v4, v41, v43, vcc_lo
	v_add3_u32 v41, v44, v42, 0x7fff
	v_or_b32_e32 v43, 0x400000, v42
	v_bfe_u32 v44, v40, 16, 1
	v_cmp_u_f32_e32 vcc_lo, v42, v42
	v_mul_f32_e32 v20, v2, v20
	v_and_b32_e32 v3, 0xffff0000, v3
	v_lshlrev_b32_e32 v38, 16, v38
	v_add3_u32 v42, v44, v40, 0x7fff
	v_cndmask_b32_e32 v41, v41, v43, vcc_lo
	v_bfe_u32 v43, v39, 16, 1
	v_or_b32_e32 v44, 0x400000, v40
	v_cmp_u_f32_e32 vcc_lo, v40, v40
	v_mul_f32_e32 v38, v3, v38
	v_and_b32_e32 v4, 0xffff0000, v4
	v_add3_u32 v43, v43, v39, 0x7fff
	v_lshlrev_b32_e32 v36, 16, v36
	v_cndmask_b32_e32 v40, v42, v44, vcc_lo
	v_cmp_u_f32_e32 vcc_lo, v39, v39
	v_add3_u32 v42, v46, v37, 0x7fff
	v_or_b32_e32 v44, 0x400000, v37
	v_mul_f32_e32 v36, v4, v36
	v_and_b32_e32 v40, 0xffff0000, v40
	v_cndmask_b32_e32 v39, v43, v45, vcc_lo
	v_bfe_u32 v43, v21, 16, 1
	v_cmp_u_f32_e32 vcc_lo, v37, v37
	v_or_b32_e32 v45, 0x400000, v21
	v_and_b32_e32 v41, 0xffff0000, v41
	v_and_b32_e32 v39, 0xffff0000, v39
	v_add3_u32 v43, v43, v21, 0x7fff
	v_cndmask_b32_e32 v37, v42, v44, vcc_lo
	v_bfe_u32 v42, v20, 16, 1
	v_cmp_u_f32_e32 vcc_lo, v21, v21
	v_or_b32_e32 v44, 0x400000, v20
	v_add_f32_e32 v40, v41, v40
	v_and_b32_e32 v37, 0xffff0000, v37
	v_add3_u32 v42, v42, v20, 0x7fff
	v_cndmask_b32_e32 v21, v43, v45, vcc_lo
	v_cmp_u_f32_e32 vcc_lo, v20, v20
	v_bfe_u32 v43, v38, 16, 1
	v_or_b32_e32 v45, 0x400000, v38
	v_add_f32_e32 v37, v39, v37
	v_and_b32_e32 v21, 0xffff0000, v21
	v_cndmask_b32_e32 v20, v42, v44, vcc_lo
	v_lshlrev_b32_e32 v44, 16, v51
	v_add3_u32 v43, v43, v38, 0x7fff
	v_cmp_u_f32_e32 vcc_lo, v38, v38
	v_bfe_u32 v42, v36, 16, 1
	v_and_b32_e32 v20, 0xffff0000, v20
	v_mul_f32_e32 v5, v5, v44
	v_lshlrev_b32_e32 v39, 16, v50
	v_cndmask_b32_e32 v38, v43, v45, vcc_lo
	v_add3_u32 v42, v42, v36, 0x7fff
	v_or_b32_e32 v43, 0x400000, v36
	v_cmp_u_f32_e32 vcc_lo, v36, v36
	v_add_f32_e32 v37, v37, v40
	v_bfe_u32 v40, v5, 16, 1
	v_add_f32_e32 v20, v21, v20
	v_mul_f32_e32 v6, v6, v39
	v_lshlrev_b32_e32 v21, 16, v49
	v_cndmask_b32_e32 v36, v42, v43, vcc_lo
	v_add3_u32 v39, v40, v5, 0x7fff
	v_or_b32_e32 v40, 0x400000, v5
	v_bfe_u32 v41, v6, 16, 1
	v_mul_f32_e32 v7, v7, v21
	v_lshlrev_b32_e32 v17, 16, v17
	v_cmp_u_f32_e32 vcc_lo, v5, v5
	v_lshlrev_b32_e32 v16, 16, v16
	v_add3_u32 v21, v41, v6, 0x7fff
	v_lshlrev_b32_e32 v10, 16, v10
	v_mul_f32_e32 v8, v8, v17
	v_cndmask_b32_e32 v5, v39, v40, vcc_lo
	v_or_b32_e32 v39, 0x400000, v6
	v_bfe_u32 v40, v7, 16, 1
	v_cmp_u_f32_e32 vcc_lo, v6, v6
	v_mul_f32_e32 v1, v1, v16
	v_mul_f32_e32 v2, v2, v10
	v_lshlrev_b32_e32 v10, 16, v19
	v_add3_u32 v17, v40, v7, 0x7fff
	v_cndmask_b32_e32 v6, v21, v39, vcc_lo
	v_or_b32_e32 v21, 0x400000, v7
	v_bfe_u32 v39, v8, 16, 1
	v_cmp_u_f32_e32 vcc_lo, v7, v7
	v_lshlrev_b32_e32 v18, 16, v18
	v_mul_f32_e32 v3, v3, v10
	v_or_b32_e32 v10, 0x400000, v1
	v_add3_u32 v16, v39, v8, 0x7fff
	v_cndmask_b32_e32 v7, v17, v21, vcc_lo
	v_or_b32_e32 v17, 0x400000, v8
	v_bfe_u32 v21, v1, 16, 1
	v_cmp_u_f32_e32 vcc_lo, v8, v8
	v_mul_f32_e32 v4, v4, v18
	v_or_b32_e32 v18, 0x400000, v2
	v_bfe_u32 v19, v3, 16, 1
	v_and_b32_e32 v6, 0xffff0000, v6
	v_cndmask_b32_e32 v8, v16, v17, vcc_lo
	v_bfe_u32 v16, v2, 16, 1
	v_add3_u32 v17, v21, v1, 0x7fff
	v_cmp_u_f32_e32 vcc_lo, v1, v1
	v_bfe_u32 v21, v4, 16, 1
	v_and_b32_e32 v5, 0xffff0000, v5
	v_add3_u32 v16, v16, v2, 0x7fff
	v_and_b32_e32 v8, 0xffff0000, v8
	v_cndmask_b32_e32 v1, v17, v10, vcc_lo
	v_cmp_u_f32_e32 vcc_lo, v2, v2
	v_or_b32_e32 v17, 0x400000, v4
	v_add3_u32 v10, v19, v3, 0x7fff
	v_and_b32_e32 v7, 0xffff0000, v7
	v_add_f32_e32 v5, v5, v6
	v_cndmask_b32_e32 v2, v16, v18, vcc_lo
	v_add3_u32 v16, v21, v4, 0x7fff
	v_cmp_u_f32_e32 vcc_lo, v4, v4
	v_or_b32_e32 v18, 0x400000, v3
	v_add_f32_e32 v6, v7, v8
	v_and_b32_e32 v2, 0xffff0000, v2
	v_and_b32_e32 v1, 0xffff0000, v1
	v_cndmask_b32_e32 v4, v16, v17, vcc_lo
	v_cmp_u_f32_e32 vcc_lo, v3, v3
	v_and_b32_e32 v36, 0xffff0000, v36
	v_and_b32_e32 v7, 0xffff0000, v38
	v_add_f32_e32 v5, v6, v5
	v_add_f32_e32 v1, v1, v2
	v_cndmask_b32_e32 v3, v10, v18, vcc_lo
	v_and_b32_e32 v2, 0xffff0000, v4
	v_add_f32_e32 v4, v20, v37
	v_add_f32_e32 v6, v7, v36
	;; [unrolled: 1-line block ×3, first 2 shown]
	v_and_b32_e32 v3, 0xffff0000, v3
	v_add_nc_u32_e32 v9, 4, v9
	v_add_co_u32 v14, s0, v14, 16
	v_add_nc_u32_e32 v29, 64, v29
	v_add_f32_e32 v2, v3, v2
	v_add_f32_e32 v3, v6, v4
	v_cmp_le_i32_e32 vcc_lo, s11, v9
	v_add_nc_u32_e32 v30, 0x100, v30
	v_add_co_ci_u32_e64 v15, null, 0, v15, s0
	v_add_f32_e32 v1, v2, v1
	v_add_f32_e32 v28, v28, v3
	s_or_b32 s8, vcc_lo, s8
	v_add_f32_e32 v27, v27, v1
	s_andn2_b32 exec_lo, exec_lo, s8
	s_cbranch_execz .LBB360_285
.LBB360_161:                            ; =>This Inner Loop Header: Depth=1
	global_load_dword v1, v[14:15], off
	v_mov_b32_e32 v36, 0
	s_waitcnt vmcnt(0)
	v_mad_i64_i32 v[16:17], null, v1, s3, v[12:13]
	global_load_dwordx2 v[18:19], v[16:17], off
	ds_read2_b64 v[5:8], v30 offset1:1
	ds_read2_b64 v[1:4], v30 offset0:2 offset1:3
	s_waitcnt vmcnt(0)
	v_cmp_ne_u16_sdwa s9, v18, v11 src0_sel:BYTE_0 src1_sel:DWORD
	s_and_saveexec_b32 s0, s9
	s_cbranch_execz .LBB360_167
; %bb.162:                              ;   in Loop: Header=BB360_161 Depth=1
	v_cmp_ne_u16_sdwa s13, v18, v31 src0_sel:BYTE_0 src1_sel:DWORD
	v_bfrev_b32_e32 v36, 1
	s_and_saveexec_b32 s9, s13
	s_cbranch_execz .LBB360_166
; %bb.163:                              ;   in Loop: Header=BB360_161 Depth=1
	v_and_b32_e32 v10, 0x7f, v18
	v_mov_b32_e32 v36, 0x7f800001
	s_mov_b32 s13, exec_lo
	v_cmpx_ne_u32_e32 0x7f, v10
	s_cbranch_execz .LBB360_165
; %bb.164:                              ;   in Loop: Header=BB360_161 Depth=1
	v_and_b32_e32 v20, 7, v18
	v_lshrrev_b32_e32 v21, 3, v10
	v_cmp_gt_u32_e32 vcc_lo, 8, v10
	v_ffbh_u32_e32 v20, v20
	v_min_u32_e32 v20, 32, v20
	v_subrev_nc_u32_e32 v36, 28, v20
	v_sub_nc_u32_e32 v20, 29, v20
	v_cndmask_b32_e32 v10, v21, v20, vcc_lo
	v_cndmask_b32_e32 v20, 0, v36, vcc_lo
	v_lshl_add_u32 v10, v10, 23, 0x3c000000
	v_lshlrev_b64 v[20:21], v20, v[18:19]
	v_lshlrev_b32_e32 v21, 24, v18
	v_lshlrev_b32_e32 v20, 20, v20
	v_and_b32_e32 v21, 0x80000000, v21
	v_and_b32_e32 v20, 0x700000, v20
	v_or3_b32 v36, v20, v21, v10
.LBB360_165:                            ;   in Loop: Header=BB360_161 Depth=1
	s_or_b32 exec_lo, exec_lo, s13
.LBB360_166:                            ;   in Loop: Header=BB360_161 Depth=1
	s_or_b32 exec_lo, exec_lo, s9
.LBB360_167:                            ;   in Loop: Header=BB360_161 Depth=1
	s_or_b32 exec_lo, exec_lo, s0
	v_cmp_ne_u16_sdwa s9, v18, v11 src0_sel:BYTE_1 src1_sel:DWORD
	v_mov_b32_e32 v38, 0
	v_mov_b32_e32 v37, 0
	s_and_saveexec_b32 s0, s9
	s_cbranch_execz .LBB360_175
; %bb.168:                              ;   in Loop: Header=BB360_161 Depth=1
	v_cmp_ne_u16_sdwa s13, v18, v31 src0_sel:BYTE_1 src1_sel:DWORD
	v_bfrev_b32_e32 v37, 1
	s_and_saveexec_b32 s9, s13
	s_cbranch_execz .LBB360_174
; %bb.169:                              ;   in Loop: Header=BB360_161 Depth=1
	v_and_b32_sdwa v10, v32, v18 dst_sel:DWORD dst_unused:UNUSED_PAD src0_sel:DWORD src1_sel:BYTE_1
	v_mov_b32_e32 v37, 0x7f800001
	s_mov_b32 s13, exec_lo
	v_and_b32_e32 v21, 0x7f, v10
	v_cmpx_ne_u32_e32 0x7f, v21
	s_cbranch_execz .LBB360_173
; %bb.170:                              ;   in Loop: Header=BB360_161 Depth=1
	v_and_b32_e32 v10, 7, v10
	v_lshrrev_b32_e32 v20, 3, v21
	s_mov_b32 s14, exec_lo
	v_cmpx_gt_u32_e32 8, v21
; %bb.171:                              ;   in Loop: Header=BB360_161 Depth=1
	v_ffbh_u32_e32 v20, v10
	v_min_u32_e32 v20, 32, v20
	v_subrev_nc_u32_e32 v21, 28, v20
	v_sub_nc_u32_e32 v20, 29, v20
	v_lshlrev_b64 v[39:40], v21, v[10:11]
	v_and_b32_e32 v10, 7, v39
; %bb.172:                              ;   in Loop: Header=BB360_161 Depth=1
	s_or_b32 exec_lo, exec_lo, s14
	v_lshlrev_b32_e32 v21, 16, v18
	v_lshlrev_b32_e32 v10, 20, v10
	v_lshl_add_u32 v20, v20, 23, 0x3c000000
	v_and_b32_e32 v21, 0x80000000, v21
	v_or3_b32 v37, v10, v21, v20
.LBB360_173:                            ;   in Loop: Header=BB360_161 Depth=1
	s_or_b32 exec_lo, exec_lo, s13
.LBB360_174:                            ;   in Loop: Header=BB360_161 Depth=1
	s_or_b32 exec_lo, exec_lo, s9
.LBB360_175:                            ;   in Loop: Header=BB360_161 Depth=1
	s_or_b32 exec_lo, exec_lo, s0
	v_and_b32_sdwa v10, v18, v33 dst_sel:DWORD dst_unused:UNUSED_PAD src0_sel:WORD_1 src1_sel:DWORD
	s_mov_b32 s0, exec_lo
	v_cmpx_ne_u16_e32 0, v10
	s_cbranch_execz .LBB360_183
; %bb.176:                              ;   in Loop: Header=BB360_161 Depth=1
	v_bfrev_b32_e32 v38, 1
	s_mov_b32 s9, exec_lo
	v_cmpx_ne_u16_e32 0x80, v10
	s_cbranch_execz .LBB360_182
; %bb.177:                              ;   in Loop: Header=BB360_161 Depth=1
	v_bfe_u32 v21, v18, 16, 7
	v_mov_b32_e32 v38, 0x7f800001
	s_mov_b32 s13, exec_lo
	v_cmpx_ne_u32_e32 0x7f, v21
	s_cbranch_execz .LBB360_181
; %bb.178:                              ;   in Loop: Header=BB360_161 Depth=1
	v_and_b32_sdwa v10, v18, v34 dst_sel:DWORD dst_unused:UNUSED_PAD src0_sel:WORD_1 src1_sel:DWORD
	v_lshrrev_b32_e32 v20, 3, v21
	s_mov_b32 s14, exec_lo
	v_cmpx_gt_u32_e32 8, v21
; %bb.179:                              ;   in Loop: Header=BB360_161 Depth=1
	v_ffbh_u32_e32 v20, v10
	v_min_u32_e32 v20, 32, v20
	v_subrev_nc_u32_e32 v21, 28, v20
	v_sub_nc_u32_e32 v20, 29, v20
	v_lshlrev_b64 v[38:39], v21, v[10:11]
	v_and_b32_e32 v10, 7, v38
; %bb.180:                              ;   in Loop: Header=BB360_161 Depth=1
	s_or_b32 exec_lo, exec_lo, s14
	v_lshlrev_b32_sdwa v21, v35, v18 dst_sel:DWORD dst_unused:UNUSED_PAD src0_sel:DWORD src1_sel:WORD_1
	v_lshlrev_b32_e32 v10, 20, v10
	v_lshl_add_u32 v20, v20, 23, 0x3c000000
	v_and_b32_e32 v21, 0x80000000, v21
	v_or3_b32 v38, v10, v21, v20
.LBB360_181:                            ;   in Loop: Header=BB360_161 Depth=1
	s_or_b32 exec_lo, exec_lo, s13
.LBB360_182:                            ;   in Loop: Header=BB360_161 Depth=1
	s_or_b32 exec_lo, exec_lo, s9
.LBB360_183:                            ;   in Loop: Header=BB360_161 Depth=1
	s_or_b32 exec_lo, exec_lo, s0
	v_mov_b32_e32 v39, 0
	v_mov_b32_e32 v40, 0
	s_mov_b32 s0, exec_lo
	v_cmpx_lt_u32_e32 0xffffff, v18
	s_cbranch_execz .LBB360_191
; %bb.184:                              ;   in Loop: Header=BB360_161 Depth=1
	v_cmp_ne_u32_sdwa s13, v18, v31 src0_sel:BYTE_3 src1_sel:DWORD
	v_bfrev_b32_e32 v40, 1
	s_and_saveexec_b32 s9, s13
	s_cbranch_execz .LBB360_190
; %bb.185:                              ;   in Loop: Header=BB360_161 Depth=1
	v_bfe_u32 v21, v18, 24, 7
	v_mov_b32_e32 v40, 0x7f800001
	s_mov_b32 s13, exec_lo
	v_cmpx_ne_u32_e32 0x7f, v21
	s_cbranch_execz .LBB360_189
; %bb.186:                              ;   in Loop: Header=BB360_161 Depth=1
	v_and_b32_sdwa v10, v18, v34 dst_sel:DWORD dst_unused:UNUSED_PAD src0_sel:BYTE_3 src1_sel:DWORD
	v_lshrrev_b32_e32 v20, 3, v21
	s_mov_b32 s14, exec_lo
	v_cmpx_gt_u32_e32 8, v21
; %bb.187:                              ;   in Loop: Header=BB360_161 Depth=1
	v_ffbh_u32_e32 v20, v10
	v_min_u32_e32 v20, 32, v20
	v_subrev_nc_u32_e32 v21, 28, v20
	v_sub_nc_u32_e32 v20, 29, v20
	v_lshlrev_b64 v[40:41], v21, v[10:11]
	v_and_b32_e32 v10, 7, v40
; %bb.188:                              ;   in Loop: Header=BB360_161 Depth=1
	s_or_b32 exec_lo, exec_lo, s14
	v_lshlrev_b32_sdwa v21, v35, v18 dst_sel:DWORD dst_unused:UNUSED_PAD src0_sel:DWORD src1_sel:BYTE_3
	v_lshlrev_b32_e32 v10, 20, v10
	v_lshl_add_u32 v20, v20, 23, 0x3c000000
	v_and_b32_e32 v21, 0x80000000, v21
	v_or3_b32 v40, v10, v21, v20
.LBB360_189:                            ;   in Loop: Header=BB360_161 Depth=1
	s_or_b32 exec_lo, exec_lo, s13
.LBB360_190:                            ;   in Loop: Header=BB360_161 Depth=1
	s_or_b32 exec_lo, exec_lo, s9
.LBB360_191:                            ;   in Loop: Header=BB360_161 Depth=1
	s_or_b32 exec_lo, exec_lo, s0
	v_mov_b32_e32 v10, v19
	v_cmp_ne_u16_sdwa s9, v19, v11 src0_sel:BYTE_0 src1_sel:DWORD
	s_and_saveexec_b32 s0, s9
	s_cbranch_execz .LBB360_197
; %bb.192:                              ;   in Loop: Header=BB360_161 Depth=1
	v_cmp_ne_u16_sdwa s13, v19, v31 src0_sel:BYTE_0 src1_sel:DWORD
	v_bfrev_b32_e32 v39, 1
	s_and_saveexec_b32 s9, s13
	s_cbranch_execz .LBB360_196
; %bb.193:                              ;   in Loop: Header=BB360_161 Depth=1
	v_and_b32_e32 v20, 0x7f, v19
	v_mov_b32_e32 v39, 0x7f800001
	s_mov_b32 s13, exec_lo
	v_cmpx_ne_u32_e32 0x7f, v20
	s_cbranch_execz .LBB360_195
; %bb.194:                              ;   in Loop: Header=BB360_161 Depth=1
	v_and_b32_e32 v21, 7, v19
	v_cmp_gt_u32_e32 vcc_lo, 8, v20
	v_lshrrev_b32_e32 v39, 3, v20
	v_ffbh_u32_e32 v21, v21
	v_min_u32_e32 v21, 32, v21
	v_subrev_nc_u32_e32 v41, 28, v21
	v_sub_nc_u32_e32 v21, 29, v21
	v_cndmask_b32_e32 v20, 0, v41, vcc_lo
	v_cndmask_b32_e32 v39, v39, v21, vcc_lo
	v_lshlrev_b64 v[20:21], v20, v[10:11]
	v_lshlrev_b32_e32 v21, 24, v10
	v_lshl_add_u32 v39, v39, 23, 0x3c000000
	v_lshlrev_b32_e32 v20, 20, v20
	v_and_b32_e32 v21, 0x80000000, v21
	v_and_b32_e32 v20, 0x700000, v20
	v_or3_b32 v39, v20, v21, v39
.LBB360_195:                            ;   in Loop: Header=BB360_161 Depth=1
	s_or_b32 exec_lo, exec_lo, s13
.LBB360_196:                            ;   in Loop: Header=BB360_161 Depth=1
	s_or_b32 exec_lo, exec_lo, s9
.LBB360_197:                            ;   in Loop: Header=BB360_161 Depth=1
	s_or_b32 exec_lo, exec_lo, s0
	v_cmp_ne_u16_sdwa s9, v10, v11 src0_sel:BYTE_1 src1_sel:DWORD
	v_mov_b32_e32 v42, 0
	v_mov_b32_e32 v20, 0
	s_and_saveexec_b32 s0, s9
	s_cbranch_execz .LBB360_205
; %bb.198:                              ;   in Loop: Header=BB360_161 Depth=1
	v_cmp_ne_u16_sdwa s13, v10, v31 src0_sel:BYTE_1 src1_sel:DWORD
	v_bfrev_b32_e32 v20, 1
	s_and_saveexec_b32 s9, s13
	s_cbranch_execz .LBB360_204
; %bb.199:                              ;   in Loop: Header=BB360_161 Depth=1
	v_and_b32_sdwa v21, v32, v10 dst_sel:DWORD dst_unused:UNUSED_PAD src0_sel:DWORD src1_sel:BYTE_1
	v_mov_b32_e32 v20, 0x7f800001
	s_mov_b32 s13, exec_lo
	v_and_b32_e32 v43, 0x7f, v21
	v_cmpx_ne_u32_e32 0x7f, v43
	s_cbranch_execz .LBB360_203
; %bb.200:                              ;   in Loop: Header=BB360_161 Depth=1
	v_and_b32_e32 v20, 7, v21
	v_mov_b32_e32 v21, v11
	v_lshrrev_b32_e32 v41, 3, v43
	s_mov_b32 s14, exec_lo
	v_cmpx_gt_u32_e32 8, v43
; %bb.201:                              ;   in Loop: Header=BB360_161 Depth=1
	v_ffbh_u32_e32 v41, v20
	v_min_u32_e32 v41, 32, v41
	v_subrev_nc_u32_e32 v43, 28, v41
	v_sub_nc_u32_e32 v41, 29, v41
	v_lshlrev_b64 v[20:21], v43, v[20:21]
	v_and_b32_e32 v20, 7, v20
; %bb.202:                              ;   in Loop: Header=BB360_161 Depth=1
	s_or_b32 exec_lo, exec_lo, s14
	v_lshlrev_b32_e32 v10, 16, v10
	v_lshlrev_b32_e32 v20, 20, v20
	v_lshl_add_u32 v21, v41, 23, 0x3c000000
	v_and_b32_e32 v10, 0x80000000, v10
	v_or3_b32 v20, v20, v10, v21
.LBB360_203:                            ;   in Loop: Header=BB360_161 Depth=1
	s_or_b32 exec_lo, exec_lo, s13
.LBB360_204:                            ;   in Loop: Header=BB360_161 Depth=1
	s_or_b32 exec_lo, exec_lo, s9
.LBB360_205:                            ;   in Loop: Header=BB360_161 Depth=1
	s_or_b32 exec_lo, exec_lo, s0
	v_and_b32_sdwa v10, v19, v33 dst_sel:DWORD dst_unused:UNUSED_PAD src0_sel:WORD_1 src1_sel:DWORD
	s_mov_b32 s0, exec_lo
	v_cmpx_ne_u16_e32 0, v10
	s_cbranch_execz .LBB360_213
; %bb.206:                              ;   in Loop: Header=BB360_161 Depth=1
	v_bfrev_b32_e32 v42, 1
	s_mov_b32 s9, exec_lo
	v_cmpx_ne_u16_e32 0x80, v10
	s_cbranch_execz .LBB360_212
; %bb.207:                              ;   in Loop: Header=BB360_161 Depth=1
	v_bfe_u32 v41, v19, 16, 7
	v_mov_b32_e32 v42, 0x7f800001
	s_mov_b32 s13, exec_lo
	v_cmpx_ne_u32_e32 0x7f, v41
	s_cbranch_execz .LBB360_211
; %bb.208:                              ;   in Loop: Header=BB360_161 Depth=1
	v_and_b32_sdwa v10, v19, v34 dst_sel:DWORD dst_unused:UNUSED_PAD src0_sel:WORD_1 src1_sel:DWORD
	v_lshrrev_b32_e32 v21, 3, v41
	s_mov_b32 s14, exec_lo
	v_cmpx_gt_u32_e32 8, v41
; %bb.209:                              ;   in Loop: Header=BB360_161 Depth=1
	v_ffbh_u32_e32 v21, v10
	v_min_u32_e32 v21, 32, v21
	v_subrev_nc_u32_e32 v41, 28, v21
	v_sub_nc_u32_e32 v21, 29, v21
	v_lshlrev_b64 v[41:42], v41, v[10:11]
	v_and_b32_e32 v10, 7, v41
; %bb.210:                              ;   in Loop: Header=BB360_161 Depth=1
	s_or_b32 exec_lo, exec_lo, s14
	v_lshlrev_b32_sdwa v41, v35, v19 dst_sel:DWORD dst_unused:UNUSED_PAD src0_sel:DWORD src1_sel:WORD_1
	v_lshlrev_b32_e32 v10, 20, v10
	v_lshl_add_u32 v21, v21, 23, 0x3c000000
	v_and_b32_e32 v41, 0x80000000, v41
	v_or3_b32 v42, v10, v41, v21
.LBB360_211:                            ;   in Loop: Header=BB360_161 Depth=1
	s_or_b32 exec_lo, exec_lo, s13
.LBB360_212:                            ;   in Loop: Header=BB360_161 Depth=1
	s_or_b32 exec_lo, exec_lo, s9
.LBB360_213:                            ;   in Loop: Header=BB360_161 Depth=1
	s_or_b32 exec_lo, exec_lo, s0
	v_mov_b32_e32 v10, 0
	s_mov_b32 s0, exec_lo
	v_cmpx_lt_u64_e64 s[4:5], v[18:19]
	s_cbranch_execz .LBB360_221
; %bb.214:                              ;   in Loop: Header=BB360_161 Depth=1
	v_cmp_ne_u32_sdwa s13, v19, v31 src0_sel:BYTE_3 src1_sel:DWORD
	v_bfrev_b32_e32 v10, 1
	s_and_saveexec_b32 s9, s13
	s_cbranch_execz .LBB360_220
; %bb.215:                              ;   in Loop: Header=BB360_161 Depth=1
	v_bfe_u32 v21, v19, 24, 7
	v_mov_b32_e32 v10, 0x7f800001
	s_mov_b32 s13, exec_lo
	v_cmpx_ne_u32_e32 0x7f, v21
	s_cbranch_execz .LBB360_219
; %bb.216:                              ;   in Loop: Header=BB360_161 Depth=1
	v_and_b32_sdwa v10, v19, v34 dst_sel:DWORD dst_unused:UNUSED_PAD src0_sel:BYTE_3 src1_sel:DWORD
	v_lshrrev_b32_e32 v18, 3, v21
	s_mov_b32 s14, exec_lo
	v_cmpx_gt_u32_e32 8, v21
; %bb.217:                              ;   in Loop: Header=BB360_161 Depth=1
	v_ffbh_u32_e32 v18, v10
	v_min_u32_e32 v18, 32, v18
	v_subrev_nc_u32_e32 v21, 28, v18
	v_sub_nc_u32_e32 v18, 29, v18
	v_lshlrev_b64 v[43:44], v21, v[10:11]
	v_and_b32_e32 v10, 7, v43
; %bb.218:                              ;   in Loop: Header=BB360_161 Depth=1
	s_or_b32 exec_lo, exec_lo, s14
	v_lshlrev_b32_sdwa v19, v35, v19 dst_sel:DWORD dst_unused:UNUSED_PAD src0_sel:DWORD src1_sel:BYTE_3
	v_lshlrev_b32_e32 v10, 20, v10
	v_lshl_add_u32 v18, v18, 23, 0x3c000000
	v_and_b32_e32 v19, 0x80000000, v19
	v_or3_b32 v10, v10, v19, v18
.LBB360_219:                            ;   in Loop: Header=BB360_161 Depth=1
	s_or_b32 exec_lo, exec_lo, s13
.LBB360_220:                            ;   in Loop: Header=BB360_161 Depth=1
	s_or_b32 exec_lo, exec_lo, s9
.LBB360_221:                            ;   in Loop: Header=BB360_161 Depth=1
	s_or_b32 exec_lo, exec_lo, s0
	s_waitcnt lgkmcnt(0)
	v_mul_f32_e32 v18, s6, v20
	v_mul_f32_e32 v19, s6, v39
	;; [unrolled: 1-line block ×5, first 2 shown]
	v_bfe_u32 v20, v18, 16, 1
	v_or_b32_e32 v39, 0x400000, v18
	v_bfe_u32 v40, v19, 16, 1
	v_cmp_u_f32_e64 s0, v18, v18
	v_or_b32_e32 v43, 0x400000, v19
	v_add3_u32 v20, v20, v18, 0x7fff
	v_bfe_u32 v44, v21, 16, 1
	v_add3_u32 v40, v40, v19, 0x7fff
	v_or_b32_e32 v45, 0x400000, v21
	v_mul_f32_e32 v10, s6, v10
	v_cndmask_b32_e64 v18, v20, v39, s0
	v_cmp_u_f32_e64 s0, v19, v19
	v_add3_u32 v44, v44, v21, 0x7fff
	v_bfe_u32 v39, v38, 16, 1
	v_add_nc_u32_e32 v41, -7, v29
	v_lshrrev_b32_e32 v20, 16, v18
	v_cndmask_b32_e64 v19, v40, v43, s0
	v_cmp_u_f32_e64 s0, v21, v21
	v_mul_f32_e32 v40, s6, v37
	v_add3_u32 v39, v39, v38, 0x7fff
	v_or_b32_e32 v43, 0x400000, v38
	v_lshrrev_b32_e32 v21, 16, v19
	v_cndmask_b32_e64 v18, v44, v45, s0
	v_cmp_u_f32_e64 s0, v38, v38
	v_mul_f32_e32 v38, s6, v42
	v_bfe_u32 v42, v36, 16, 1
	v_or_b32_e32 v45, 0x400000, v10
	v_lshrrev_b32_e32 v37, 16, v18
	v_bfe_u32 v18, v40, 16, 1
	v_cndmask_b32_e64 v19, v39, v43, s0
	v_or_b32_e32 v39, 0x400000, v40
	v_cmp_u_f32_e64 s0, v40, v40
	v_bfe_u32 v43, v38, 16, 1
	v_add3_u32 v18, v18, v40, 0x7fff
	v_add3_u32 v40, v42, v36, 0x7fff
	v_or_b32_e32 v42, 0x400000, v36
	v_or_b32_e32 v44, 0x400000, v38
	v_add3_u32 v43, v43, v38, 0x7fff
	v_cndmask_b32_e64 v18, v18, v39, s0
	v_cmp_u_f32_e64 s0, v36, v36
	v_bfe_u32 v39, v10, 16, 1
	v_cmp_eq_u32_e32 vcc_lo, s15, v9
	v_add_nc_u32_e32 v48, -6, v29
	v_add_nc_u32_e32 v47, -5, v29
	v_cndmask_b32_e64 v36, v40, v42, s0
	v_cmp_u_f32_e64 s0, v38, v38
	v_add3_u32 v39, v39, v10, 0x7fff
	v_lshrrev_b32_e32 v40, 16, v18
	v_add_nc_u32_e32 v46, -4, v29
	v_lshrrev_b32_e32 v42, 16, v36
	v_cndmask_b32_e64 v38, v43, v44, s0
	v_cmp_u_f32_e64 s0, v10, v10
	v_add_nc_u32_e32 v44, -2, v29
	v_add_nc_u32_e32 v43, -1, v29
	v_lshrrev_b32_e32 v38, 16, v38
	v_cndmask_b32_e64 v10, v39, v45, s0
	v_lshrrev_b32_e32 v39, 16, v19
	v_add_nc_u32_e32 v45, -3, v29
	v_lshrrev_b32_e32 v36, 16, v10
	s_and_saveexec_b32 s9, vcc_lo
	s_cbranch_execz .LBB360_223
; %bb.222:                              ;   in Loop: Header=BB360_161 Depth=1
	v_cmp_gt_i32_e64 s0, s27, v41
	v_cndmask_b32_e64 v42, 0, v42, s0
	v_cmp_gt_i32_e64 s0, s27, v48
	v_cndmask_b32_e64 v40, 0, v40, s0
	;; [unrolled: 2-line block ×8, first 2 shown]
.LBB360_223:                            ;   in Loop: Header=BB360_161 Depth=1
	s_or_b32 exec_lo, exec_lo, s9
	global_load_dwordx2 v[16:17], v[16:17], off offset:256
	v_mov_b32_e32 v50, 0
	v_mov_b32_e32 v49, 0
	s_waitcnt vmcnt(0)
	v_cmp_ne_u16_sdwa s0, v16, v11 src0_sel:BYTE_0 src1_sel:DWORD
	s_and_saveexec_b32 s9, s0
	s_cbranch_execz .LBB360_229
; %bb.224:                              ;   in Loop: Header=BB360_161 Depth=1
	v_cmp_ne_u16_sdwa s0, v16, v31 src0_sel:BYTE_0 src1_sel:DWORD
	v_bfrev_b32_e32 v49, 1
	s_and_saveexec_b32 s13, s0
	s_cbranch_execz .LBB360_228
; %bb.225:                              ;   in Loop: Header=BB360_161 Depth=1
	v_and_b32_e32 v10, 0x7f, v16
	v_mov_b32_e32 v49, 0x7f800001
	s_mov_b32 s14, exec_lo
	v_cmpx_ne_u32_e32 0x7f, v10
	s_cbranch_execz .LBB360_227
; %bb.226:                              ;   in Loop: Header=BB360_161 Depth=1
	v_and_b32_e32 v18, 7, v16
	v_lshrrev_b32_e32 v19, 3, v10
	v_cmp_gt_u32_e64 s0, 8, v10
	v_ffbh_u32_e32 v18, v18
	v_min_u32_e32 v18, 32, v18
	v_subrev_nc_u32_e32 v49, 28, v18
	v_sub_nc_u32_e32 v18, 29, v18
	v_cndmask_b32_e64 v10, v19, v18, s0
	v_cndmask_b32_e64 v18, 0, v49, s0
	v_lshl_add_u32 v10, v10, 23, 0x3c000000
	v_lshlrev_b64 v[18:19], v18, v[16:17]
	v_lshlrev_b32_e32 v19, 24, v16
	v_lshlrev_b32_e32 v18, 20, v18
	v_and_b32_e32 v19, 0x80000000, v19
	v_and_b32_e32 v18, 0x700000, v18
	v_or3_b32 v49, v18, v19, v10
.LBB360_227:                            ;   in Loop: Header=BB360_161 Depth=1
	s_or_b32 exec_lo, exec_lo, s14
.LBB360_228:                            ;   in Loop: Header=BB360_161 Depth=1
	s_or_b32 exec_lo, exec_lo, s13
.LBB360_229:                            ;   in Loop: Header=BB360_161 Depth=1
	s_or_b32 exec_lo, exec_lo, s9
	v_cmp_ne_u16_sdwa s0, v16, v11 src0_sel:BYTE_1 src1_sel:DWORD
	s_and_saveexec_b32 s9, s0
	s_cbranch_execz .LBB360_237
; %bb.230:                              ;   in Loop: Header=BB360_161 Depth=1
	v_cmp_ne_u16_sdwa s0, v16, v31 src0_sel:BYTE_1 src1_sel:DWORD
	v_bfrev_b32_e32 v50, 1
	s_and_saveexec_b32 s13, s0
	s_cbranch_execz .LBB360_236
; %bb.231:                              ;   in Loop: Header=BB360_161 Depth=1
	v_and_b32_sdwa v10, v32, v16 dst_sel:DWORD dst_unused:UNUSED_PAD src0_sel:DWORD src1_sel:BYTE_1
	v_mov_b32_e32 v50, 0x7f800001
	s_mov_b32 s14, exec_lo
	v_and_b32_e32 v19, 0x7f, v10
	v_cmpx_ne_u32_e32 0x7f, v19
	s_cbranch_execz .LBB360_235
; %bb.232:                              ;   in Loop: Header=BB360_161 Depth=1
	v_and_b32_e32 v10, 7, v10
	v_lshrrev_b32_e32 v18, 3, v19
	s_mov_b32 s16, exec_lo
	v_cmpx_gt_u32_e32 8, v19
; %bb.233:                              ;   in Loop: Header=BB360_161 Depth=1
	v_ffbh_u32_e32 v18, v10
	v_min_u32_e32 v18, 32, v18
	v_subrev_nc_u32_e32 v19, 28, v18
	v_sub_nc_u32_e32 v18, 29, v18
	v_lshlrev_b64 v[50:51], v19, v[10:11]
	v_and_b32_e32 v10, 7, v50
; %bb.234:                              ;   in Loop: Header=BB360_161 Depth=1
	s_or_b32 exec_lo, exec_lo, s16
	v_lshlrev_b32_e32 v19, 16, v16
	v_lshlrev_b32_e32 v10, 20, v10
	v_lshl_add_u32 v18, v18, 23, 0x3c000000
	v_and_b32_e32 v19, 0x80000000, v19
	v_or3_b32 v50, v10, v19, v18
.LBB360_235:                            ;   in Loop: Header=BB360_161 Depth=1
	s_or_b32 exec_lo, exec_lo, s14
.LBB360_236:                            ;   in Loop: Header=BB360_161 Depth=1
	s_or_b32 exec_lo, exec_lo, s13
.LBB360_237:                            ;   in Loop: Header=BB360_161 Depth=1
	s_or_b32 exec_lo, exec_lo, s9
	v_and_b32_sdwa v10, v16, v33 dst_sel:DWORD dst_unused:UNUSED_PAD src0_sel:WORD_1 src1_sel:DWORD
	v_mov_b32_e32 v52, 0
	v_mov_b32_e32 v51, 0
	s_mov_b32 s9, exec_lo
	v_cmpx_ne_u16_e32 0, v10
	s_cbranch_execz .LBB360_245
; %bb.238:                              ;   in Loop: Header=BB360_161 Depth=1
	v_bfrev_b32_e32 v51, 1
	s_mov_b32 s13, exec_lo
	v_cmpx_ne_u16_e32 0x80, v10
	s_cbranch_execz .LBB360_244
; %bb.239:                              ;   in Loop: Header=BB360_161 Depth=1
	v_bfe_u32 v19, v16, 16, 7
	v_mov_b32_e32 v51, 0x7f800001
	s_mov_b32 s14, exec_lo
	v_cmpx_ne_u32_e32 0x7f, v19
	s_cbranch_execz .LBB360_243
; %bb.240:                              ;   in Loop: Header=BB360_161 Depth=1
	v_and_b32_sdwa v10, v16, v34 dst_sel:DWORD dst_unused:UNUSED_PAD src0_sel:WORD_1 src1_sel:DWORD
	v_lshrrev_b32_e32 v18, 3, v19
	s_mov_b32 s16, exec_lo
	v_cmpx_gt_u32_e32 8, v19
; %bb.241:                              ;   in Loop: Header=BB360_161 Depth=1
	v_ffbh_u32_e32 v18, v10
	v_min_u32_e32 v18, 32, v18
	v_subrev_nc_u32_e32 v19, 28, v18
	v_sub_nc_u32_e32 v18, 29, v18
	v_lshlrev_b64 v[53:54], v19, v[10:11]
	v_and_b32_e32 v10, 7, v53
; %bb.242:                              ;   in Loop: Header=BB360_161 Depth=1
	s_or_b32 exec_lo, exec_lo, s16
	v_lshlrev_b32_sdwa v19, v35, v16 dst_sel:DWORD dst_unused:UNUSED_PAD src0_sel:DWORD src1_sel:WORD_1
	v_lshlrev_b32_e32 v10, 20, v10
	v_lshl_add_u32 v18, v18, 23, 0x3c000000
	v_and_b32_e32 v19, 0x80000000, v19
	v_or3_b32 v51, v10, v19, v18
.LBB360_243:                            ;   in Loop: Header=BB360_161 Depth=1
	s_or_b32 exec_lo, exec_lo, s14
.LBB360_244:                            ;   in Loop: Header=BB360_161 Depth=1
	s_or_b32 exec_lo, exec_lo, s13
.LBB360_245:                            ;   in Loop: Header=BB360_161 Depth=1
	s_or_b32 exec_lo, exec_lo, s9
	s_mov_b32 s9, exec_lo
	v_cmpx_lt_u32_e32 0xffffff, v16
	s_cbranch_execz .LBB360_253
; %bb.246:                              ;   in Loop: Header=BB360_161 Depth=1
	v_cmp_ne_u32_sdwa s0, v16, v31 src0_sel:BYTE_3 src1_sel:DWORD
	v_bfrev_b32_e32 v52, 1
	s_and_saveexec_b32 s13, s0
	s_cbranch_execz .LBB360_252
; %bb.247:                              ;   in Loop: Header=BB360_161 Depth=1
	v_bfe_u32 v19, v16, 24, 7
	v_mov_b32_e32 v52, 0x7f800001
	s_mov_b32 s14, exec_lo
	v_cmpx_ne_u32_e32 0x7f, v19
	s_cbranch_execz .LBB360_251
; %bb.248:                              ;   in Loop: Header=BB360_161 Depth=1
	v_and_b32_sdwa v10, v16, v34 dst_sel:DWORD dst_unused:UNUSED_PAD src0_sel:BYTE_3 src1_sel:DWORD
	v_lshrrev_b32_e32 v18, 3, v19
	s_mov_b32 s16, exec_lo
	v_cmpx_gt_u32_e32 8, v19
; %bb.249:                              ;   in Loop: Header=BB360_161 Depth=1
	v_ffbh_u32_e32 v18, v10
	v_min_u32_e32 v18, 32, v18
	v_subrev_nc_u32_e32 v19, 28, v18
	v_sub_nc_u32_e32 v18, 29, v18
	v_lshlrev_b64 v[52:53], v19, v[10:11]
	v_and_b32_e32 v10, 7, v52
; %bb.250:                              ;   in Loop: Header=BB360_161 Depth=1
	s_or_b32 exec_lo, exec_lo, s16
	v_lshlrev_b32_sdwa v19, v35, v16 dst_sel:DWORD dst_unused:UNUSED_PAD src0_sel:DWORD src1_sel:BYTE_3
	v_lshlrev_b32_e32 v10, 20, v10
	v_lshl_add_u32 v18, v18, 23, 0x3c000000
	v_and_b32_e32 v19, 0x80000000, v19
	v_or3_b32 v52, v10, v19, v18
.LBB360_251:                            ;   in Loop: Header=BB360_161 Depth=1
	s_or_b32 exec_lo, exec_lo, s14
.LBB360_252:                            ;   in Loop: Header=BB360_161 Depth=1
	s_or_b32 exec_lo, exec_lo, s13
.LBB360_253:                            ;   in Loop: Header=BB360_161 Depth=1
	s_or_b32 exec_lo, exec_lo, s9
	v_mov_b32_e32 v10, v17
	v_cmp_ne_u16_sdwa s0, v17, v11 src0_sel:BYTE_0 src1_sel:DWORD
	v_mov_b32_e32 v18, 0
	v_mov_b32_e32 v53, 0
	s_and_saveexec_b32 s9, s0
	s_cbranch_execz .LBB360_259
; %bb.254:                              ;   in Loop: Header=BB360_161 Depth=1
	v_cmp_ne_u16_sdwa s0, v17, v31 src0_sel:BYTE_0 src1_sel:DWORD
	v_bfrev_b32_e32 v53, 1
	s_and_saveexec_b32 s13, s0
	s_cbranch_execz .LBB360_258
; %bb.255:                              ;   in Loop: Header=BB360_161 Depth=1
	v_and_b32_e32 v19, 0x7f, v17
	v_mov_b32_e32 v53, 0x7f800001
	s_mov_b32 s14, exec_lo
	v_cmpx_ne_u32_e32 0x7f, v19
	s_cbranch_execz .LBB360_257
; %bb.256:                              ;   in Loop: Header=BB360_161 Depth=1
	v_and_b32_e32 v53, 7, v17
	v_lshrrev_b32_e32 v54, 3, v19
	v_cmp_gt_u32_e64 s0, 8, v19
	v_ffbh_u32_e32 v53, v53
	v_min_u32_e32 v53, 32, v53
	v_subrev_nc_u32_e32 v55, 28, v53
	v_sub_nc_u32_e32 v53, 29, v53
	v_cndmask_b32_e64 v19, v54, v53, s0
	v_cndmask_b32_e64 v53, 0, v55, s0
	v_lshl_add_u32 v19, v19, 23, 0x3c000000
	v_lshlrev_b64 v[53:54], v53, v[10:11]
	v_lshlrev_b32_e32 v54, 24, v10
	v_lshlrev_b32_e32 v53, 20, v53
	v_and_b32_e32 v54, 0x80000000, v54
	v_and_b32_e32 v53, 0x700000, v53
	v_or3_b32 v53, v53, v54, v19
.LBB360_257:                            ;   in Loop: Header=BB360_161 Depth=1
	s_or_b32 exec_lo, exec_lo, s14
.LBB360_258:                            ;   in Loop: Header=BB360_161 Depth=1
	s_or_b32 exec_lo, exec_lo, s13
.LBB360_259:                            ;   in Loop: Header=BB360_161 Depth=1
	s_or_b32 exec_lo, exec_lo, s9
	v_cmp_ne_u16_sdwa s0, v10, v11 src0_sel:BYTE_1 src1_sel:DWORD
	s_and_saveexec_b32 s9, s0
	s_cbranch_execz .LBB360_267
; %bb.260:                              ;   in Loop: Header=BB360_161 Depth=1
	v_cmp_ne_u16_sdwa s0, v10, v31 src0_sel:BYTE_1 src1_sel:DWORD
	v_bfrev_b32_e32 v18, 1
	s_and_saveexec_b32 s13, s0
	s_cbranch_execz .LBB360_266
; %bb.261:                              ;   in Loop: Header=BB360_161 Depth=1
	v_and_b32_sdwa v19, v32, v10 dst_sel:DWORD dst_unused:UNUSED_PAD src0_sel:DWORD src1_sel:BYTE_1
	v_mov_b32_e32 v18, 0x7f800001
	s_mov_b32 s14, exec_lo
	v_and_b32_e32 v55, 0x7f, v19
	v_cmpx_ne_u32_e32 0x7f, v55
	s_cbranch_execz .LBB360_265
; %bb.262:                              ;   in Loop: Header=BB360_161 Depth=1
	v_and_b32_e32 v18, 7, v19
	v_mov_b32_e32 v19, v11
	v_lshrrev_b32_e32 v54, 3, v55
	s_mov_b32 s16, exec_lo
	v_cmpx_gt_u32_e32 8, v55
; %bb.263:                              ;   in Loop: Header=BB360_161 Depth=1
	v_ffbh_u32_e32 v54, v18
	v_min_u32_e32 v54, 32, v54
	v_subrev_nc_u32_e32 v55, 28, v54
	v_sub_nc_u32_e32 v54, 29, v54
	v_lshlrev_b64 v[18:19], v55, v[18:19]
	v_and_b32_e32 v18, 7, v18
; %bb.264:                              ;   in Loop: Header=BB360_161 Depth=1
	s_or_b32 exec_lo, exec_lo, s16
	v_lshlrev_b32_e32 v10, 16, v10
	v_lshlrev_b32_e32 v18, 20, v18
	v_lshl_add_u32 v19, v54, 23, 0x3c000000
	v_and_b32_e32 v10, 0x80000000, v10
	v_or3_b32 v18, v18, v10, v19
.LBB360_265:                            ;   in Loop: Header=BB360_161 Depth=1
	s_or_b32 exec_lo, exec_lo, s14
.LBB360_266:                            ;   in Loop: Header=BB360_161 Depth=1
	s_or_b32 exec_lo, exec_lo, s13
.LBB360_267:                            ;   in Loop: Header=BB360_161 Depth=1
	s_or_b32 exec_lo, exec_lo, s9
	v_and_b32_sdwa v10, v17, v33 dst_sel:DWORD dst_unused:UNUSED_PAD src0_sel:WORD_1 src1_sel:DWORD
	v_mov_b32_e32 v19, 0
	v_mov_b32_e32 v54, 0
	s_mov_b32 s9, exec_lo
	v_cmpx_ne_u16_e32 0, v10
	s_cbranch_execz .LBB360_275
; %bb.268:                              ;   in Loop: Header=BB360_161 Depth=1
	v_bfrev_b32_e32 v54, 1
	s_mov_b32 s13, exec_lo
	v_cmpx_ne_u16_e32 0x80, v10
	s_cbranch_execz .LBB360_274
; %bb.269:                              ;   in Loop: Header=BB360_161 Depth=1
	v_bfe_u32 v55, v17, 16, 7
	v_mov_b32_e32 v54, 0x7f800001
	s_mov_b32 s14, exec_lo
	v_cmpx_ne_u32_e32 0x7f, v55
	s_cbranch_execz .LBB360_273
; %bb.270:                              ;   in Loop: Header=BB360_161 Depth=1
	v_and_b32_sdwa v10, v17, v34 dst_sel:DWORD dst_unused:UNUSED_PAD src0_sel:WORD_1 src1_sel:DWORD
	v_lshrrev_b32_e32 v54, 3, v55
	s_mov_b32 s16, exec_lo
	v_cmpx_gt_u32_e32 8, v55
; %bb.271:                              ;   in Loop: Header=BB360_161 Depth=1
	v_ffbh_u32_e32 v54, v10
	v_min_u32_e32 v54, 32, v54
	v_subrev_nc_u32_e32 v55, 28, v54
	v_sub_nc_u32_e32 v54, 29, v54
	v_lshlrev_b64 v[55:56], v55, v[10:11]
	v_and_b32_e32 v10, 7, v55
; %bb.272:                              ;   in Loop: Header=BB360_161 Depth=1
	s_or_b32 exec_lo, exec_lo, s16
	v_lshlrev_b32_sdwa v55, v35, v17 dst_sel:DWORD dst_unused:UNUSED_PAD src0_sel:DWORD src1_sel:WORD_1
	v_lshlrev_b32_e32 v10, 20, v10
	v_lshl_add_u32 v54, v54, 23, 0x3c000000
	v_and_b32_e32 v55, 0x80000000, v55
	v_or3_b32 v54, v10, v55, v54
.LBB360_273:                            ;   in Loop: Header=BB360_161 Depth=1
	s_or_b32 exec_lo, exec_lo, s14
.LBB360_274:                            ;   in Loop: Header=BB360_161 Depth=1
	s_or_b32 exec_lo, exec_lo, s13
.LBB360_275:                            ;   in Loop: Header=BB360_161 Depth=1
	s_or_b32 exec_lo, exec_lo, s9
	s_mov_b32 s9, exec_lo
	v_cmpx_lt_u64_e64 s[4:5], v[16:17]
	s_cbranch_execz .LBB360_283
; %bb.276:                              ;   in Loop: Header=BB360_161 Depth=1
	v_cmp_ne_u32_sdwa s0, v17, v31 src0_sel:BYTE_3 src1_sel:DWORD
	v_bfrev_b32_e32 v19, 1
	s_and_saveexec_b32 s13, s0
	s_cbranch_execz .LBB360_282
; %bb.277:                              ;   in Loop: Header=BB360_161 Depth=1
	v_bfe_u32 v55, v17, 24, 7
	v_mov_b32_e32 v19, 0x7f800001
	s_mov_b32 s14, exec_lo
	v_cmpx_ne_u32_e32 0x7f, v55
	s_cbranch_execz .LBB360_281
; %bb.278:                              ;   in Loop: Header=BB360_161 Depth=1
	v_and_b32_sdwa v10, v17, v34 dst_sel:DWORD dst_unused:UNUSED_PAD src0_sel:BYTE_3 src1_sel:DWORD
	v_lshrrev_b32_e32 v16, 3, v55
	s_mov_b32 s16, exec_lo
	v_cmpx_gt_u32_e32 8, v55
; %bb.279:                              ;   in Loop: Header=BB360_161 Depth=1
	v_ffbh_u32_e32 v16, v10
	v_min_u32_e32 v16, 32, v16
	v_subrev_nc_u32_e32 v19, 28, v16
	v_sub_nc_u32_e32 v16, 29, v16
	v_lshlrev_b64 v[55:56], v19, v[10:11]
	v_and_b32_e32 v10, 7, v55
; %bb.280:                              ;   in Loop: Header=BB360_161 Depth=1
	s_or_b32 exec_lo, exec_lo, s16
	v_lshlrev_b32_sdwa v17, v35, v17 dst_sel:DWORD dst_unused:UNUSED_PAD src0_sel:DWORD src1_sel:BYTE_3
	v_lshlrev_b32_e32 v10, 20, v10
	v_lshl_add_u32 v16, v16, 23, 0x3c000000
	v_and_b32_e32 v17, 0x80000000, v17
	v_or3_b32 v19, v10, v17, v16
.LBB360_281:                            ;   in Loop: Header=BB360_161 Depth=1
	s_or_b32 exec_lo, exec_lo, s14
.LBB360_282:                            ;   in Loop: Header=BB360_161 Depth=1
	s_or_b32 exec_lo, exec_lo, s13
.LBB360_283:                            ;   in Loop: Header=BB360_161 Depth=1
	s_or_b32 exec_lo, exec_lo, s9
	v_mul_f32_e32 v10, s6, v18
	v_mul_f32_e32 v16, s6, v53
	;; [unrolled: 1-line block ×5, first 2 shown]
	v_bfe_u32 v51, v10, 16, 1
	v_or_b32_e32 v52, 0x400000, v10
	v_bfe_u32 v53, v16, 16, 1
	v_cmp_u_f32_e64 s0, v10, v10
	v_or_b32_e32 v55, 0x400000, v16
	v_add3_u32 v51, v51, v10, 0x7fff
	v_bfe_u32 v56, v17, 16, 1
	v_add3_u32 v53, v53, v16, 0x7fff
	v_or_b32_e32 v57, 0x400000, v17
	v_bfe_u32 v58, v18, 16, 1
	v_cndmask_b32_e64 v10, v51, v52, s0
	v_cmp_u_f32_e64 s0, v16, v16
	v_add3_u32 v56, v56, v17, 0x7fff
	v_or_b32_e32 v52, 0x400000, v18
	v_add3_u32 v51, v58, v18, 0x7fff
	v_mul_f32_e32 v49, s6, v49
	v_cndmask_b32_e64 v16, v53, v55, s0
	v_cmp_u_f32_e64 s0, v17, v17
	v_bfe_u32 v53, v50, 16, 1
	v_mul_f32_e32 v19, s6, v19
	v_lshrrev_b32_e32 v10, 16, v10
	v_lshrrev_b32_e32 v16, 16, v16
	v_cndmask_b32_e64 v17, v56, v57, s0
	v_cmp_u_f32_e64 s0, v18, v18
	v_or_b32_e32 v57, 0x400000, v19
	v_lshrrev_b32_e32 v17, 16, v17
	v_cndmask_b32_e64 v18, v51, v52, s0
	v_mul_f32_e32 v51, s6, v54
	v_add3_u32 v52, v53, v50, 0x7fff
	v_or_b32_e32 v53, 0x400000, v50
	v_bfe_u32 v54, v49, 16, 1
	v_cmp_u_f32_e64 s0, v50, v50
	v_bfe_u32 v55, v51, 16, 1
	v_or_b32_e32 v56, 0x400000, v51
	v_cndmask_b32_e64 v50, v52, v53, s0
	v_add3_u32 v53, v54, v49, 0x7fff
	v_or_b32_e32 v54, 0x400000, v49
	v_cmp_u_f32_e64 s0, v49, v49
	v_bfe_u32 v52, v19, 16, 1
	v_add3_u32 v55, v55, v51, 0x7fff
	v_lshrrev_b32_e32 v49, 16, v18
	v_lshrrev_b32_e32 v50, 16, v50
	v_cndmask_b32_e64 v53, v53, v54, s0
	v_cmp_u_f32_e64 s0, v51, v51
	v_add3_u32 v52, v52, v19, 0x7fff
	v_lshrrev_b32_e32 v51, 16, v53
	v_cndmask_b32_e64 v54, v55, v56, s0
	v_cmp_u_f32_e64 s0, v19, v19
	v_lshrrev_b32_e32 v19, 16, v54
	v_cndmask_b32_e64 v52, v52, v57, s0
	v_lshrrev_b32_e32 v18, 16, v52
	s_and_saveexec_b32 s0, vcc_lo
	s_cbranch_execz .LBB360_160
; %bb.284:                              ;   in Loop: Header=BB360_161 Depth=1
	v_cmp_gt_i32_e32 vcc_lo, s27, v41
	v_cndmask_b32_e32 v51, 0, v51, vcc_lo
	v_cmp_gt_i32_e32 vcc_lo, s27, v48
	v_cndmask_b32_e32 v50, 0, v50, vcc_lo
	;; [unrolled: 2-line block ×8, first 2 shown]
	s_branch .LBB360_160
.LBB360_285:
	s_or_b32 exec_lo, exec_lo, s8
.LBB360_286:
	s_or_b32 exec_lo, exec_lo, s1
	ds_bpermute_b32 v1, v26, v28
	ds_bpermute_b32 v5, v26, v27
	v_lshrrev_b32_e32 v3, 1, v25
	v_and_b32_e32 v6, 0x3c1, v0
	s_mov_b32 s0, exec_lo
	s_waitcnt lgkmcnt(0)
	s_waitcnt_vscnt null, 0x0
	s_barrier
	v_lshl_add_u32 v4, v3, 2, 0x60
	buffer_gl0_inv
	v_add_f32_e32 v2, v28, v1
	v_add_f32_e32 v1, v27, v5
	v_cmpx_eq_u32_e32 64, v6
	s_cbranch_execz .LBB360_288
; %bb.287:
	v_lshl_add_u32 v5, v24, 7, v4
	v_add_nc_u32_e32 v6, 0xffffff00, v5
	v_add_nc_u32_e32 v5, 0xffffff40, v5
	ds_write_b32 v6, v2
	ds_write_b32 v5, v1
.LBB360_288:
	s_or_b32 exec_lo, exec_lo, s0
	v_and_b32_e32 v5, 0x3e0, v0
	v_lshlrev_b32_e32 v3, 2, v3
	s_mov_b32 s1, exec_lo
	v_cmp_eq_u32_e32 vcc_lo, 0, v23
	s_waitcnt lgkmcnt(0)
	v_lshlrev_b32_e32 v5, 2, v5
	s_barrier
	buffer_gl0_inv
	v_add3_u32 v3, 0x60, v5, v3
	v_cmpx_gt_u32_e32 64, v0
	s_cbranch_execz .LBB360_294
; %bb.289:
	s_and_saveexec_b32 s0, vcc_lo
	s_cbranch_execz .LBB360_291
; %bb.290:
	ds_read_b32 v5, v3
	s_waitcnt lgkmcnt(0)
	v_add_f32_e32 v2, v2, v5
.LBB360_291:
	s_or_b32 exec_lo, exec_lo, s0
	s_and_saveexec_b32 s0, vcc_lo
	s_cbranch_execz .LBB360_293
; %bb.292:
	ds_read_b32 v5, v3 offset:64
	s_waitcnt lgkmcnt(0)
	v_add_f32_e32 v1, v1, v5
.LBB360_293:
	s_or_b32 exec_lo, exec_lo, s0
.LBB360_294:
	s_or_b32 exec_lo, exec_lo, s1
	v_and_b32_e32 v5, 0x3e1, v0
	s_mov_b32 s1, exec_lo
	s_barrier
	buffer_gl0_inv
	v_cmpx_eq_u32_e32 32, v5
; %bb.295:
	ds_write2_b32 v4, v2, v1 offset1:16
; %bb.296:
	s_or_b32 exec_lo, exec_lo, s1
	s_mov_b32 s1, exec_lo
	s_waitcnt lgkmcnt(0)
	s_barrier
	buffer_gl0_inv
	v_cmpx_gt_u32_e32 32, v0
	s_cbranch_execz .LBB360_302
; %bb.297:
	s_and_saveexec_b32 s0, vcc_lo
	s_cbranch_execz .LBB360_299
; %bb.298:
	ds_read_b32 v0, v3
	s_waitcnt lgkmcnt(0)
	v_add_f32_e32 v2, v2, v0
.LBB360_299:
	s_or_b32 exec_lo, exec_lo, s0
	s_and_saveexec_b32 s0, vcc_lo
	s_cbranch_execz .LBB360_301
; %bb.300:
	ds_read_b32 v0, v3 offset:64
	s_waitcnt lgkmcnt(0)
	v_add_f32_e32 v1, v1, v0
.LBB360_301:
	s_or_b32 exec_lo, exec_lo, s0
.LBB360_302:
	s_or_b32 exec_lo, exec_lo, s1
	s_barrier
	buffer_gl0_inv
	s_mov_b32 s0, exec_lo
	v_cmpx_eq_u32_e32 0, v5
	s_cbranch_execz .LBB360_304
; %bb.303:
	s_lshl_b32 s0, s2, 5
	v_bfe_u32 v0, v2, 16, 1
	s_ashr_i32 s1, s0, 31
	s_mul_i32 s2, s7, s10
	s_lshl_b64 s[0:1], s[0:1], 1
	v_bfe_u32 v3, v1, 16, 1
	v_add3_u32 v0, v0, v2, 0x7fff
	v_or_b32_e32 v4, 0x400000, v2
	v_cmp_u_f32_e32 vcc_lo, v2, v2
	s_add_u32 s4, s24, s0
	s_addc_u32 s5, s25, s1
	s_ashr_i32 s3, s2, 31
	v_add3_u32 v3, v3, v1, 0x7fff
	s_lshl_b64 s[0:1], s[2:3], 1
	v_or_b32_e32 v5, 0x400000, v1
	v_cndmask_b32_e32 v0, v0, v4, vcc_lo
	v_cmp_u_f32_e32 vcc_lo, v1, v1
	s_add_u32 s2, s4, s0
	s_addc_u32 s3, s5, s1
	s_ashr_i32 s13, s12, 31
	v_lshlrev_b32_e32 v2, 1, v22
	s_lshl_b64 s[0:1], s[12:13], 1
	v_cndmask_b32_e32 v1, v3, v5, vcc_lo
	s_add_u32 s0, s2, s0
	s_addc_u32 s1, s3, s1
	global_store_short_d16_hi v2, v0, s[0:1]
	global_store_short_d16_hi v2, v1, s[0:1] offset:32
.LBB360_304:
	s_endpgm
	.section	.rodata,"a",@progbits
	.p2align	6, 0x0
	.amdhsa_kernel _ZN4vllm25paged_attention_v2_kernelI14__hip_bfloat16hLi32ELi16ELi128ELNS_18Fp8KVCacheDataTypeE1ELb0ELi512EEEvPfS3_PT_PKS4_PKT0_SA_ifPKiSC_iPKfiiiSE_SE_iiiii
		.amdhsa_group_segment_fixed_size 96
		.amdhsa_private_segment_fixed_size 0
		.amdhsa_kernarg_size 400
		.amdhsa_user_sgpr_count 6
		.amdhsa_user_sgpr_private_segment_buffer 1
		.amdhsa_user_sgpr_dispatch_ptr 0
		.amdhsa_user_sgpr_queue_ptr 0
		.amdhsa_user_sgpr_kernarg_segment_ptr 1
		.amdhsa_user_sgpr_dispatch_id 0
		.amdhsa_user_sgpr_flat_scratch_init 0
		.amdhsa_user_sgpr_private_segment_size 0
		.amdhsa_wavefront_size32 1
		.amdhsa_uses_dynamic_stack 0
		.amdhsa_system_sgpr_private_segment_wavefront_offset 0
		.amdhsa_system_sgpr_workgroup_id_x 1
		.amdhsa_system_sgpr_workgroup_id_y 1
		.amdhsa_system_sgpr_workgroup_id_z 1
		.amdhsa_system_sgpr_workgroup_info 0
		.amdhsa_system_vgpr_workitem_id 0
		.amdhsa_next_free_vgpr 62
		.amdhsa_next_free_sgpr 42
		.amdhsa_reserve_vcc 1
		.amdhsa_reserve_flat_scratch 0
		.amdhsa_float_round_mode_32 0
		.amdhsa_float_round_mode_16_64 0
		.amdhsa_float_denorm_mode_32 3
		.amdhsa_float_denorm_mode_16_64 3
		.amdhsa_dx10_clamp 1
		.amdhsa_ieee_mode 1
		.amdhsa_fp16_overflow 0
		.amdhsa_workgroup_processor_mode 1
		.amdhsa_memory_ordered 1
		.amdhsa_forward_progress 1
		.amdhsa_shared_vgpr_count 0
		.amdhsa_exception_fp_ieee_invalid_op 0
		.amdhsa_exception_fp_denorm_src 0
		.amdhsa_exception_fp_ieee_div_zero 0
		.amdhsa_exception_fp_ieee_overflow 0
		.amdhsa_exception_fp_ieee_underflow 0
		.amdhsa_exception_fp_ieee_inexact 0
		.amdhsa_exception_int_div_zero 0
	.end_amdhsa_kernel
	.section	.text._ZN4vllm25paged_attention_v2_kernelI14__hip_bfloat16hLi32ELi16ELi128ELNS_18Fp8KVCacheDataTypeE1ELb0ELi512EEEvPfS3_PT_PKS4_PKT0_SA_ifPKiSC_iPKfiiiSE_SE_iiiii,"axG",@progbits,_ZN4vllm25paged_attention_v2_kernelI14__hip_bfloat16hLi32ELi16ELi128ELNS_18Fp8KVCacheDataTypeE1ELb0ELi512EEEvPfS3_PT_PKS4_PKT0_SA_ifPKiSC_iPKfiiiSE_SE_iiiii,comdat
.Lfunc_end360:
	.size	_ZN4vllm25paged_attention_v2_kernelI14__hip_bfloat16hLi32ELi16ELi128ELNS_18Fp8KVCacheDataTypeE1ELb0ELi512EEEvPfS3_PT_PKS4_PKT0_SA_ifPKiSC_iPKfiiiSE_SE_iiiii, .Lfunc_end360-_ZN4vllm25paged_attention_v2_kernelI14__hip_bfloat16hLi32ELi16ELi128ELNS_18Fp8KVCacheDataTypeE1ELb0ELi512EEEvPfS3_PT_PKS4_PKT0_SA_ifPKiSC_iPKfiiiSE_SE_iiiii
                                        ; -- End function
	.set _ZN4vllm25paged_attention_v2_kernelI14__hip_bfloat16hLi32ELi16ELi128ELNS_18Fp8KVCacheDataTypeE1ELb0ELi512EEEvPfS3_PT_PKS4_PKT0_SA_ifPKiSC_iPKfiiiSE_SE_iiiii.num_vgpr, 62
	.set _ZN4vllm25paged_attention_v2_kernelI14__hip_bfloat16hLi32ELi16ELi128ELNS_18Fp8KVCacheDataTypeE1ELb0ELi512EEEvPfS3_PT_PKS4_PKT0_SA_ifPKiSC_iPKfiiiSE_SE_iiiii.num_agpr, 0
	.set _ZN4vllm25paged_attention_v2_kernelI14__hip_bfloat16hLi32ELi16ELi128ELNS_18Fp8KVCacheDataTypeE1ELb0ELi512EEEvPfS3_PT_PKS4_PKT0_SA_ifPKiSC_iPKfiiiSE_SE_iiiii.numbered_sgpr, 42
	.set _ZN4vllm25paged_attention_v2_kernelI14__hip_bfloat16hLi32ELi16ELi128ELNS_18Fp8KVCacheDataTypeE1ELb0ELi512EEEvPfS3_PT_PKS4_PKT0_SA_ifPKiSC_iPKfiiiSE_SE_iiiii.num_named_barrier, 0
	.set _ZN4vllm25paged_attention_v2_kernelI14__hip_bfloat16hLi32ELi16ELi128ELNS_18Fp8KVCacheDataTypeE1ELb0ELi512EEEvPfS3_PT_PKS4_PKT0_SA_ifPKiSC_iPKfiiiSE_SE_iiiii.private_seg_size, 0
	.set _ZN4vllm25paged_attention_v2_kernelI14__hip_bfloat16hLi32ELi16ELi128ELNS_18Fp8KVCacheDataTypeE1ELb0ELi512EEEvPfS3_PT_PKS4_PKT0_SA_ifPKiSC_iPKfiiiSE_SE_iiiii.uses_vcc, 1
	.set _ZN4vllm25paged_attention_v2_kernelI14__hip_bfloat16hLi32ELi16ELi128ELNS_18Fp8KVCacheDataTypeE1ELb0ELi512EEEvPfS3_PT_PKS4_PKT0_SA_ifPKiSC_iPKfiiiSE_SE_iiiii.uses_flat_scratch, 0
	.set _ZN4vllm25paged_attention_v2_kernelI14__hip_bfloat16hLi32ELi16ELi128ELNS_18Fp8KVCacheDataTypeE1ELb0ELi512EEEvPfS3_PT_PKS4_PKT0_SA_ifPKiSC_iPKfiiiSE_SE_iiiii.has_dyn_sized_stack, 0
	.set _ZN4vllm25paged_attention_v2_kernelI14__hip_bfloat16hLi32ELi16ELi128ELNS_18Fp8KVCacheDataTypeE1ELb0ELi512EEEvPfS3_PT_PKS4_PKT0_SA_ifPKiSC_iPKfiiiSE_SE_iiiii.has_recursion, 0
	.set _ZN4vllm25paged_attention_v2_kernelI14__hip_bfloat16hLi32ELi16ELi128ELNS_18Fp8KVCacheDataTypeE1ELb0ELi512EEEvPfS3_PT_PKS4_PKT0_SA_ifPKiSC_iPKfiiiSE_SE_iiiii.has_indirect_call, 0
	.section	.AMDGPU.csdata,"",@progbits
; Kernel info:
; codeLenInByte = 12068
; TotalNumSgprs: 44
; NumVgprs: 62
; ScratchSize: 0
; MemoryBound: 0
; FloatMode: 240
; IeeeMode: 1
; LDSByteSize: 96 bytes/workgroup (compile time only)
; SGPRBlocks: 0
; VGPRBlocks: 7
; NumSGPRsForWavesPerEU: 44
; NumVGPRsForWavesPerEU: 62
; Occupancy: 16
; WaveLimiterHint : 1
; COMPUTE_PGM_RSRC2:SCRATCH_EN: 0
; COMPUTE_PGM_RSRC2:USER_SGPR: 6
; COMPUTE_PGM_RSRC2:TRAP_HANDLER: 0
; COMPUTE_PGM_RSRC2:TGID_X_EN: 1
; COMPUTE_PGM_RSRC2:TGID_Y_EN: 1
; COMPUTE_PGM_RSRC2:TGID_Z_EN: 1
; COMPUTE_PGM_RSRC2:TIDIG_COMP_CNT: 0
	.section	.text._ZN4vllm25paged_attention_v2_kernelI14__hip_bfloat16hLi64ELi16ELi128ELNS_18Fp8KVCacheDataTypeE1ELb0ELi512EEEvPfS3_PT_PKS4_PKT0_SA_ifPKiSC_iPKfiiiSE_SE_iiiii,"axG",@progbits,_ZN4vllm25paged_attention_v2_kernelI14__hip_bfloat16hLi64ELi16ELi128ELNS_18Fp8KVCacheDataTypeE1ELb0ELi512EEEvPfS3_PT_PKS4_PKT0_SA_ifPKiSC_iPKfiiiSE_SE_iiiii,comdat
	.protected	_ZN4vllm25paged_attention_v2_kernelI14__hip_bfloat16hLi64ELi16ELi128ELNS_18Fp8KVCacheDataTypeE1ELb0ELi512EEEvPfS3_PT_PKS4_PKT0_SA_ifPKiSC_iPKfiiiSE_SE_iiiii ; -- Begin function _ZN4vllm25paged_attention_v2_kernelI14__hip_bfloat16hLi64ELi16ELi128ELNS_18Fp8KVCacheDataTypeE1ELb0ELi512EEEvPfS3_PT_PKS4_PKT0_SA_ifPKiSC_iPKfiiiSE_SE_iiiii
	.globl	_ZN4vllm25paged_attention_v2_kernelI14__hip_bfloat16hLi64ELi16ELi128ELNS_18Fp8KVCacheDataTypeE1ELb0ELi512EEEvPfS3_PT_PKS4_PKT0_SA_ifPKiSC_iPKfiiiSE_SE_iiiii
	.p2align	8
	.type	_ZN4vllm25paged_attention_v2_kernelI14__hip_bfloat16hLi64ELi16ELi128ELNS_18Fp8KVCacheDataTypeE1ELb0ELi512EEEvPfS3_PT_PKS4_PKT0_SA_ifPKiSC_iPKfiiiSE_SE_iiiii,@function
_ZN4vllm25paged_attention_v2_kernelI14__hip_bfloat16hLi64ELi16ELi128ELNS_18Fp8KVCacheDataTypeE1ELb0ELi512EEEvPfS3_PT_PKS4_PKT0_SA_ifPKiSC_iPKfiiiSE_SE_iiiii: ; @_ZN4vllm25paged_attention_v2_kernelI14__hip_bfloat16hLi64ELi16ELi128ELNS_18Fp8KVCacheDataTypeE1ELb0ELi512EEEvPfS3_PT_PKS4_PKT0_SA_ifPKiSC_iPKfiiiSE_SE_iiiii
; %bb.0:
	s_load_dwordx2 s[0:1], s[4:5], 0x40
	s_mov_b32 s26, s7
	s_ashr_i32 s27, s7, 31
	s_lshl_b64 s[2:3], s[26:27], 2
	s_waitcnt lgkmcnt(0)
	s_add_u32 s0, s0, s2
	s_addc_u32 s1, s1, s3
	s_lshl_b32 s33, s8, 9
	s_load_dword s27, s[0:1], 0x0
	s_waitcnt lgkmcnt(0)
	s_cmp_ge_i32 s33, s27
	s_cbranch_scc1 .LBB361_558
; %bb.1:
	s_clause 0x1
	s_load_dword s9, s[4:5], 0x90
	s_load_dwordx2 s[36:37], s[4:5], 0x30
	s_waitcnt lgkmcnt(0)
	s_abs_i32 s3, s9
	s_abs_i32 s0, s36
	v_cvt_f32_u32_e32 v1, s0
	s_sub_i32 s2, 0, s0
	v_rcp_iflag_f32_e32 v1, v1
	v_mul_f32_e32 v1, 0x4f7ffffe, v1
	v_cvt_u32_f32_e32 v1, v1
	v_readfirstlane_b32 s1, v1
	s_mul_i32 s2, s2, s1
	s_mul_hi_u32 s2, s1, s2
	s_add_i32 s1, s1, s2
	s_xor_b32 s2, s9, s36
	s_mul_hi_u32 s1, s3, s1
	s_ashr_i32 s2, s2, 31
	s_mul_i32 s7, s1, s0
	s_mov_b32 s36, 0
	s_sub_i32 s3, s3, s7
	s_add_i32 s7, s1, 1
	s_sub_i32 s10, s3, s0
	s_cmp_ge_u32 s3, s0
	s_cselect_b32 s1, s7, s1
	s_cselect_b32 s3, s10, s3
	s_add_i32 s7, s1, 1
	s_cmp_ge_u32 s3, s0
	s_cselect_b32 s0, s7, s1
	s_abs_i32 s16, s6
	s_xor_b32 s0, s0, s2
	s_sub_i32 s10, s0, s2
	s_load_dwordx2 s[0:1], s[4:5], 0x50
	s_abs_i32 s2, s10
	v_cvt_f32_u32_e32 v1, s2
	s_sub_i32 s7, 0, s2
	v_rcp_iflag_f32_e32 v1, v1
	v_mul_f32_e32 v1, 0x4f7ffffe, v1
	v_cvt_u32_f32_e32 v1, v1
	v_readfirstlane_b32 s3, v1
	s_mul_i32 s7, s7, s3
	s_mul_hi_u32 s7, s3, s7
	s_add_i32 s3, s3, s7
	s_waitcnt lgkmcnt(0)
	s_cmp_eq_u64 s[0:1], 0
	s_mul_hi_u32 s3, s16, s3
	s_cbranch_scc1 .LBB361_3
; %bb.2:
	s_ashr_i32 s7, s6, 31
	s_lshl_b64 s[12:13], s[6:7], 2
	s_add_u32 s0, s0, s12
	s_addc_u32 s1, s1, s13
	s_load_dword s36, s[0:1], 0x0
.LBB361_3:
	s_load_dwordx4 s[12:15], s[4:5], 0x58
	v_lshrrev_b32_e32 v22, 1, v0
	v_and_b32_e32 v23, 1, v0
	v_lshlrev_b32_e32 v11, 3, v0
	s_ashr_i32 s0, s6, 31
	s_ashr_i32 s1, s10, 31
	s_lshl_b32 s10, s6, 6
	s_mov_b32 s7, exec_lo
	v_cmpx_gt_u32_e32 16, v0
	s_cbranch_execz .LBB361_5
; %bb.4:
	s_load_dwordx2 s[18:19], s[4:5], 0x18
	s_waitcnt lgkmcnt(0)
	s_mul_i32 s20, s12, s26
	v_lshlrev_b32_e32 v3, 3, v22
	s_ashr_i32 s21, s20, 31
	s_lshl_b64 s[20:21], s[20:21], 1
	v_lshl_add_u32 v3, v23, 6, v3
	s_add_u32 s12, s18, s20
	s_addc_u32 s15, s19, s21
	s_ashr_i32 s11, s10, 31
	s_lshl_b64 s[18:19], s[10:11], 1
	s_add_u32 s18, s12, s18
	s_addc_u32 s19, s15, s19
	global_load_dwordx2 v[1:2], v11, s[18:19]
	s_waitcnt vmcnt(0)
	ds_write_b64 v3, v[1:2]
.LBB361_5:
	s_or_b32 exec_lo, exec_lo, s7
	s_add_i32 s7, s27, 15
	s_clause 0x1
	s_load_dwordx2 s[28:29], s[4:5], 0x38
	s_load_dword s17, s[4:5], 0x48
	s_ashr_i32 s11, s7, 31
	s_waitcnt lgkmcnt(0)
	s_lshl_b32 s15, s8, 5
	s_lshr_b32 s11, s11, 28
	s_xor_b32 s0, s0, s1
	s_add_i32 s7, s7, s11
	s_add_i32 s1, s15, 32
	s_ashr_i32 s12, s7, 4
	s_mul_i32 s7, s3, s2
	s_min_i32 s11, s1, s12
	s_sub_i32 s1, s16, s7
	s_add_i32 s7, s3, 1
	s_sub_i32 s16, s1, s2
	s_cmp_ge_u32 s1, s2
	v_lshrrev_b32_e32 v24, 5, v0
	s_cselect_b32 s3, s7, s3
	s_cselect_b32 s1, s16, s1
	s_add_i32 s7, s3, 1
	s_cmp_ge_u32 s1, s2
	v_or_b32_e32 v9, s15, v24
	s_cselect_b32 s1, s7, s3
	v_mbcnt_lo_u32_b32 v12, -1, 0
	s_xor_b32 s1, s1, s0
	s_mul_i32 s30, s17, s26
	s_sub_i32 s1, s1, s0
	v_cmp_gt_i32_e64 s0, s11, v9
	s_ashr_i32 s31, s30, 31
	s_mov_b32 s2, exec_lo
	s_barrier
	buffer_gl0_inv
                                        ; implicit-def: $vgpr2
                                        ; implicit-def: $vgpr13
	v_cmpx_le_i32_e64 s11, v9
	s_xor_b32 s2, exec_lo, s2
; %bb.6:
	v_mov_b32_e32 v2, 0
	v_mbcnt_lo_u32_b32 v12, -1, 0
	v_mov_b32_e32 v13, 32
; %bb.7:
	s_or_saveexec_b32 s38, s2
	s_clause 0x4
	s_load_dwordx4 s[20:23], s[4:5], 0x0
	s_load_dwordx2 s[24:25], s[4:5], 0x10
	s_load_dword s7, s[4:5], 0x98
	s_load_dwordx2 s[34:35], s[4:5], 0x28
	s_load_dwordx4 s[16:19], s[4:5], 0x68
	v_mov_b32_e32 v46, 0xff7fffff
	v_ashrrev_i32_e32 v10, 31, v9
	s_mul_i32 s14, s1, s14
	s_xor_b32 exec_lo, exec_lo, s38
	s_cbranch_execz .LBB361_269
; %bb.8:
	v_lshlrev_b32_e32 v1, 6, v23
	s_load_dwordx2 s[2:3], s[4:5], 0x20
	v_bfe_u32 v7, v0, 1, 4
	s_ashr_i32 s1, s14, 31
	v_lshlrev_b32_e32 v8, 2, v23
	ds_read_b128 v[3:6], v1
	ds_read_b128 v[29:32], v1 offset:16
	v_lshlrev_b32_e32 v13, 4, v7
	ds_read_b128 v[37:40], v1 offset:32
	ds_read_b128 v[46:49], v1 offset:48
	s_waitcnt lgkmcnt(0)
	s_load_dword s4, s[16:17], 0x0
	v_mov_b32_e32 v2, 0
	v_mov_b32_e32 v53, 0x80
	;; [unrolled: 1-line block ×7, first 2 shown]
	s_mov_b32 s17, s13
	s_mov_b32 s16, 0
	s_add_u32 s2, s2, s14
	s_addc_u32 s1, s3, s1
	v_add_co_u32 v1, s2, s2, v13
	v_lshlrev_b32_e32 v14, 16, v3
	v_and_b32_e32 v15, 0xffff0000, v3
	v_xor_b32_e32 v3, 1, v12
	v_add_co_ci_u32_e64 v51, null, s1, 0, s2
	v_lshlrev_b32_e32 v18, 16, v5
	v_and_b32_e32 v19, 0xffff0000, v5
	v_cmp_gt_i32_e32 vcc_lo, 32, v3
	v_lshlrev_b32_e32 v20, 16, v6
	v_and_b32_e32 v21, 0xffff0000, v6
	v_lshlrev_b32_e32 v5, 4, v24
	v_lshlrev_b32_e32 v6, 2, v7
	v_cndmask_b32_e32 v3, v12, v3, vcc_lo
	v_lshlrev_b32_e32 v16, 16, v4
	v_and_b32_e32 v17, 0xffff0000, v4
	s_sub_i32 s5, 1, s27
	v_lshlrev_b32_e32 v25, 16, v29
	v_lshlrev_b32_e32 v50, 2, v3
	v_add_co_u32 v3, s2, v1, v8
	v_add_co_ci_u32_e64 v4, null, 0, v51, s2
	v_lshl_or_b32 v1, v24, 6, v6
	v_add3_u32 v51, s33, v5, v7
	v_lshlrev_b64 v[5:6], 2, v[9:10]
	s_lshl_b64 s[2:3], s[30:31], 2
	v_and_b32_e32 v26, 0xffff0000, v29
	s_add_u32 s2, s28, s2
	s_addc_u32 s3, s29, s3
	v_lshlrev_b32_e32 v27, 16, v30
	v_add_co_u32 v5, s2, s2, v5
	v_and_b32_e32 v28, 0xffff0000, v30
	v_lshlrev_b32_e32 v29, 16, v31
	v_and_b32_e32 v30, 0xffff0000, v31
	v_lshlrev_b32_e32 v31, 16, v32
	;; [unrolled: 2-line block ×10, first 2 shown]
	v_and_b32_e32 v49, 0xffff0000, v49
	v_mov_b32_e32 v13, 32
	v_cmp_neq_f32_e64 s1, s36, 0
	v_add_nc_u32_e32 v52, 0xa0, v1
	v_add_co_ci_u32_e64 v6, null, s3, v6, s2
	v_mov_b32_e32 v46, 0xff7fffff
	v_cmp_eq_u32_e32 vcc_lo, 0, v23
	s_branch .LBB361_10
.LBB361_9:                              ;   in Loop: Header=BB361_10 Depth=1
	s_or_b32 exec_lo, exec_lo, s3
	v_add_nc_u32_e32 v58, 4, v58
	v_add_co_u32 v5, s3, v5, 16
	v_add_nc_u32_e32 v51, 64, v51
	v_add_nc_u32_e32 v52, 0x100, v52
	v_cmp_le_i32_e64 s2, s11, v58
	v_add_co_ci_u32_e64 v6, null, 0, v6, s3
	s_or_b32 s16, s2, s16
	s_andn2_b32 exec_lo, exec_lo, s16
	s_cbranch_execz .LBB361_268
.LBB361_10:                             ; =>This Inner Loop Header: Depth=1
	global_load_dword v1, v[5:6], off
	v_mov_b32_e32 v59, 0
	s_waitcnt vmcnt(0) lgkmcnt(0)
	v_mad_i64_i32 v[7:8], null, v1, s17, v[3:4]
	global_load_dword v63, v[7:8], off
	s_waitcnt vmcnt(0)
	v_cmp_ne_u16_sdwa s2, v63, v2 src0_sel:BYTE_0 src1_sel:DWORD
	s_and_saveexec_b32 s3, s2
	s_cbranch_execz .LBB361_18
; %bb.11:                               ;   in Loop: Header=BB361_10 Depth=1
	v_cmp_ne_u16_sdwa s2, v63, v53 src0_sel:BYTE_0 src1_sel:DWORD
	v_bfrev_b32_e32 v59, 1
	s_and_saveexec_b32 s39, s2
	s_cbranch_execz .LBB361_17
; %bb.12:                               ;   in Loop: Header=BB361_10 Depth=1
	v_and_b32_e32 v60, 0x7f, v63
	v_mov_b32_e32 v59, 0x7f800001
	s_mov_b32 s40, exec_lo
	v_cmpx_ne_u32_e32 0x7f, v60
	s_cbranch_execz .LBB361_16
; %bb.13:                               ;   in Loop: Header=BB361_10 Depth=1
	v_and_b32_e32 v1, 7, v63
	v_lshrrev_b32_e32 v59, 3, v60
	s_mov_b32 s41, exec_lo
	v_cmpx_gt_u32_e32 8, v60
; %bb.14:                               ;   in Loop: Header=BB361_10 Depth=1
	v_ffbh_u32_e32 v59, v1
	v_min_u32_e32 v59, 32, v59
	v_subrev_nc_u32_e32 v60, 28, v59
	v_sub_nc_u32_e32 v59, 29, v59
	v_lshlrev_b64 v[60:61], v60, v[1:2]
	v_and_b32_e32 v1, 7, v60
; %bb.15:                               ;   in Loop: Header=BB361_10 Depth=1
	s_or_b32 exec_lo, exec_lo, s41
	v_lshlrev_b32_e32 v60, 24, v63
	v_lshlrev_b32_e32 v1, 20, v1
	v_lshl_add_u32 v59, v59, 23, 0x3c000000
	v_and_b32_e32 v60, 0x80000000, v60
	v_or3_b32 v59, v1, v60, v59
.LBB361_16:                             ;   in Loop: Header=BB361_10 Depth=1
	s_or_b32 exec_lo, exec_lo, s40
.LBB361_17:                             ;   in Loop: Header=BB361_10 Depth=1
	s_or_b32 exec_lo, exec_lo, s39
.LBB361_18:                             ;   in Loop: Header=BB361_10 Depth=1
	s_or_b32 exec_lo, exec_lo, s3
	v_cmp_ne_u16_sdwa s2, v63, v2 src0_sel:BYTE_1 src1_sel:DWORD
	v_mov_b32_e32 v60, 0
	s_and_saveexec_b32 s3, s2
	s_cbranch_execz .LBB361_26
; %bb.19:                               ;   in Loop: Header=BB361_10 Depth=1
	v_cmp_ne_u16_sdwa s2, v63, v53 src0_sel:BYTE_1 src1_sel:DWORD
	v_bfrev_b32_e32 v60, 1
	s_and_saveexec_b32 s39, s2
	s_cbranch_execz .LBB361_25
; %bb.20:                               ;   in Loop: Header=BB361_10 Depth=1
	v_and_b32_sdwa v1, v54, v63 dst_sel:DWORD dst_unused:UNUSED_PAD src0_sel:DWORD src1_sel:BYTE_1
	v_mov_b32_e32 v60, 0x7f800001
	s_mov_b32 s40, exec_lo
	v_and_b32_e32 v61, 0x7f, v1
	v_cmpx_ne_u32_e32 0x7f, v61
	s_cbranch_execz .LBB361_24
; %bb.21:                               ;   in Loop: Header=BB361_10 Depth=1
	v_and_b32_e32 v1, 7, v1
	v_lshrrev_b32_e32 v60, 3, v61
	s_mov_b32 s41, exec_lo
	v_cmpx_gt_u32_e32 8, v61
; %bb.22:                               ;   in Loop: Header=BB361_10 Depth=1
	v_ffbh_u32_e32 v60, v1
	v_min_u32_e32 v60, 32, v60
	v_subrev_nc_u32_e32 v61, 28, v60
	v_sub_nc_u32_e32 v60, 29, v60
	v_lshlrev_b64 v[61:62], v61, v[1:2]
	v_and_b32_e32 v1, 7, v61
; %bb.23:                               ;   in Loop: Header=BB361_10 Depth=1
	s_or_b32 exec_lo, exec_lo, s41
	v_lshlrev_b32_e32 v61, 16, v63
	v_lshlrev_b32_e32 v1, 20, v1
	v_lshl_add_u32 v60, v60, 23, 0x3c000000
	v_and_b32_e32 v61, 0x80000000, v61
	v_or3_b32 v60, v1, v61, v60
.LBB361_24:                             ;   in Loop: Header=BB361_10 Depth=1
	s_or_b32 exec_lo, exec_lo, s40
.LBB361_25:                             ;   in Loop: Header=BB361_10 Depth=1
	s_or_b32 exec_lo, exec_lo, s39
.LBB361_26:                             ;   in Loop: Header=BB361_10 Depth=1
	s_or_b32 exec_lo, exec_lo, s3
	v_and_b32_sdwa v1, v63, v55 dst_sel:DWORD dst_unused:UNUSED_PAD src0_sel:WORD_1 src1_sel:DWORD
	v_mov_b32_e32 v61, 0
	v_mov_b32_e32 v62, 0
	s_mov_b32 s3, exec_lo
	v_cmpx_ne_u16_e32 0, v1
	s_cbranch_execz .LBB361_34
; %bb.27:                               ;   in Loop: Header=BB361_10 Depth=1
	v_bfrev_b32_e32 v62, 1
	s_mov_b32 s39, exec_lo
	v_cmpx_ne_u16_e32 0x80, v1
	s_cbranch_execz .LBB361_33
; %bb.28:                               ;   in Loop: Header=BB361_10 Depth=1
	v_bfe_u32 v64, v63, 16, 7
	v_mov_b32_e32 v62, 0x7f800001
	s_mov_b32 s40, exec_lo
	v_cmpx_ne_u32_e32 0x7f, v64
	s_cbranch_execz .LBB361_32
; %bb.29:                               ;   in Loop: Header=BB361_10 Depth=1
	v_and_b32_sdwa v1, v63, v56 dst_sel:DWORD dst_unused:UNUSED_PAD src0_sel:WORD_1 src1_sel:DWORD
	v_lshrrev_b32_e32 v62, 3, v64
	s_mov_b32 s41, exec_lo
	v_cmpx_gt_u32_e32 8, v64
; %bb.30:                               ;   in Loop: Header=BB361_10 Depth=1
	v_ffbh_u32_e32 v62, v1
	v_min_u32_e32 v62, 32, v62
	v_subrev_nc_u32_e32 v64, 28, v62
	v_sub_nc_u32_e32 v62, 29, v62
	v_lshlrev_b64 v[64:65], v64, v[1:2]
	v_and_b32_e32 v1, 7, v64
; %bb.31:                               ;   in Loop: Header=BB361_10 Depth=1
	s_or_b32 exec_lo, exec_lo, s41
	v_lshlrev_b32_sdwa v64, v57, v63 dst_sel:DWORD dst_unused:UNUSED_PAD src0_sel:DWORD src1_sel:WORD_1
	v_lshlrev_b32_e32 v1, 20, v1
	v_lshl_add_u32 v62, v62, 23, 0x3c000000
	v_and_b32_e32 v64, 0x80000000, v64
	v_or3_b32 v62, v1, v64, v62
.LBB361_32:                             ;   in Loop: Header=BB361_10 Depth=1
	s_or_b32 exec_lo, exec_lo, s40
.LBB361_33:                             ;   in Loop: Header=BB361_10 Depth=1
	s_or_b32 exec_lo, exec_lo, s39
.LBB361_34:                             ;   in Loop: Header=BB361_10 Depth=1
	s_or_b32 exec_lo, exec_lo, s3
	s_mov_b32 s3, exec_lo
	v_cmpx_lt_u32_e32 0xffffff, v63
	s_cbranch_execz .LBB361_42
; %bb.35:                               ;   in Loop: Header=BB361_10 Depth=1
	v_cmp_ne_u32_sdwa s2, v63, v53 src0_sel:BYTE_3 src1_sel:DWORD
	v_bfrev_b32_e32 v61, 1
	s_and_saveexec_b32 s39, s2
	s_cbranch_execz .LBB361_41
; %bb.36:                               ;   in Loop: Header=BB361_10 Depth=1
	v_bfe_u32 v64, v63, 24, 7
	v_mov_b32_e32 v61, 0x7f800001
	s_mov_b32 s40, exec_lo
	v_cmpx_ne_u32_e32 0x7f, v64
	s_cbranch_execz .LBB361_40
; %bb.37:                               ;   in Loop: Header=BB361_10 Depth=1
	v_and_b32_sdwa v1, v63, v56 dst_sel:DWORD dst_unused:UNUSED_PAD src0_sel:BYTE_3 src1_sel:DWORD
	v_lshrrev_b32_e32 v61, 3, v64
	s_mov_b32 s41, exec_lo
	v_cmpx_gt_u32_e32 8, v64
; %bb.38:                               ;   in Loop: Header=BB361_10 Depth=1
	v_ffbh_u32_e32 v61, v1
	v_min_u32_e32 v61, 32, v61
	v_subrev_nc_u32_e32 v64, 28, v61
	v_sub_nc_u32_e32 v61, 29, v61
	v_lshlrev_b64 v[64:65], v64, v[1:2]
	v_and_b32_e32 v1, 7, v64
; %bb.39:                               ;   in Loop: Header=BB361_10 Depth=1
	s_or_b32 exec_lo, exec_lo, s41
	v_lshlrev_b32_sdwa v63, v57, v63 dst_sel:DWORD dst_unused:UNUSED_PAD src0_sel:DWORD src1_sel:BYTE_3
	v_lshlrev_b32_e32 v1, 20, v1
	v_lshl_add_u32 v61, v61, 23, 0x3c000000
	v_and_b32_e32 v63, 0x80000000, v63
	v_or3_b32 v61, v1, v63, v61
.LBB361_40:                             ;   in Loop: Header=BB361_10 Depth=1
	s_or_b32 exec_lo, exec_lo, s40
.LBB361_41:                             ;   in Loop: Header=BB361_10 Depth=1
	s_or_b32 exec_lo, exec_lo, s39
.LBB361_42:                             ;   in Loop: Header=BB361_10 Depth=1
	s_or_b32 exec_lo, exec_lo, s3
	global_load_dword v67, v[7:8], off offset:8
	v_mov_b32_e32 v64, 0
	v_mov_b32_e32 v63, 0
	s_waitcnt vmcnt(0)
	v_cmp_ne_u16_sdwa s2, v67, v2 src0_sel:BYTE_0 src1_sel:DWORD
	s_and_saveexec_b32 s3, s2
	s_cbranch_execz .LBB361_50
; %bb.43:                               ;   in Loop: Header=BB361_10 Depth=1
	v_cmp_ne_u16_sdwa s2, v67, v53 src0_sel:BYTE_0 src1_sel:DWORD
	v_bfrev_b32_e32 v63, 1
	s_and_saveexec_b32 s39, s2
	s_cbranch_execz .LBB361_49
; %bb.44:                               ;   in Loop: Header=BB361_10 Depth=1
	v_and_b32_e32 v65, 0x7f, v67
	v_mov_b32_e32 v63, 0x7f800001
	s_mov_b32 s40, exec_lo
	v_cmpx_ne_u32_e32 0x7f, v65
	s_cbranch_execz .LBB361_48
; %bb.45:                               ;   in Loop: Header=BB361_10 Depth=1
	v_and_b32_e32 v1, 7, v67
	v_lshrrev_b32_e32 v63, 3, v65
	s_mov_b32 s41, exec_lo
	v_cmpx_gt_u32_e32 8, v65
; %bb.46:                               ;   in Loop: Header=BB361_10 Depth=1
	v_ffbh_u32_e32 v63, v1
	v_min_u32_e32 v63, 32, v63
	v_subrev_nc_u32_e32 v65, 28, v63
	v_sub_nc_u32_e32 v63, 29, v63
	v_lshlrev_b64 v[65:66], v65, v[1:2]
	v_and_b32_e32 v1, 7, v65
; %bb.47:                               ;   in Loop: Header=BB361_10 Depth=1
	s_or_b32 exec_lo, exec_lo, s41
	v_lshlrev_b32_e32 v65, 24, v67
	v_lshlrev_b32_e32 v1, 20, v1
	v_lshl_add_u32 v63, v63, 23, 0x3c000000
	v_and_b32_e32 v65, 0x80000000, v65
	v_or3_b32 v63, v1, v65, v63
.LBB361_48:                             ;   in Loop: Header=BB361_10 Depth=1
	s_or_b32 exec_lo, exec_lo, s40
.LBB361_49:                             ;   in Loop: Header=BB361_10 Depth=1
	s_or_b32 exec_lo, exec_lo, s39
.LBB361_50:                             ;   in Loop: Header=BB361_10 Depth=1
	s_or_b32 exec_lo, exec_lo, s3
	v_cmp_ne_u16_sdwa s2, v67, v2 src0_sel:BYTE_1 src1_sel:DWORD
	s_and_saveexec_b32 s3, s2
	s_cbranch_execz .LBB361_58
; %bb.51:                               ;   in Loop: Header=BB361_10 Depth=1
	v_cmp_ne_u16_sdwa s2, v67, v53 src0_sel:BYTE_1 src1_sel:DWORD
	v_bfrev_b32_e32 v64, 1
	s_and_saveexec_b32 s39, s2
	s_cbranch_execz .LBB361_57
; %bb.52:                               ;   in Loop: Header=BB361_10 Depth=1
	v_and_b32_sdwa v1, v54, v67 dst_sel:DWORD dst_unused:UNUSED_PAD src0_sel:DWORD src1_sel:BYTE_1
	v_mov_b32_e32 v64, 0x7f800001
	s_mov_b32 s40, exec_lo
	v_and_b32_e32 v65, 0x7f, v1
	v_cmpx_ne_u32_e32 0x7f, v65
	s_cbranch_execz .LBB361_56
; %bb.53:                               ;   in Loop: Header=BB361_10 Depth=1
	v_and_b32_e32 v1, 7, v1
	v_lshrrev_b32_e32 v64, 3, v65
	s_mov_b32 s41, exec_lo
	v_cmpx_gt_u32_e32 8, v65
; %bb.54:                               ;   in Loop: Header=BB361_10 Depth=1
	v_ffbh_u32_e32 v64, v1
	v_min_u32_e32 v64, 32, v64
	v_subrev_nc_u32_e32 v65, 28, v64
	v_sub_nc_u32_e32 v64, 29, v64
	v_lshlrev_b64 v[65:66], v65, v[1:2]
	v_and_b32_e32 v1, 7, v65
; %bb.55:                               ;   in Loop: Header=BB361_10 Depth=1
	s_or_b32 exec_lo, exec_lo, s41
	v_lshlrev_b32_e32 v65, 16, v67
	v_lshlrev_b32_e32 v1, 20, v1
	v_lshl_add_u32 v64, v64, 23, 0x3c000000
	v_and_b32_e32 v65, 0x80000000, v65
	v_or3_b32 v64, v1, v65, v64
.LBB361_56:                             ;   in Loop: Header=BB361_10 Depth=1
	s_or_b32 exec_lo, exec_lo, s40
.LBB361_57:                             ;   in Loop: Header=BB361_10 Depth=1
	s_or_b32 exec_lo, exec_lo, s39
.LBB361_58:                             ;   in Loop: Header=BB361_10 Depth=1
	s_or_b32 exec_lo, exec_lo, s3
	v_and_b32_sdwa v1, v67, v55 dst_sel:DWORD dst_unused:UNUSED_PAD src0_sel:WORD_1 src1_sel:DWORD
	v_mov_b32_e32 v65, 0
	v_mov_b32_e32 v66, 0
	s_mov_b32 s3, exec_lo
	v_cmpx_ne_u16_e32 0, v1
	s_cbranch_execz .LBB361_66
; %bb.59:                               ;   in Loop: Header=BB361_10 Depth=1
	v_bfrev_b32_e32 v66, 1
	s_mov_b32 s39, exec_lo
	v_cmpx_ne_u16_e32 0x80, v1
	s_cbranch_execz .LBB361_65
; %bb.60:                               ;   in Loop: Header=BB361_10 Depth=1
	v_bfe_u32 v68, v67, 16, 7
	v_mov_b32_e32 v66, 0x7f800001
	s_mov_b32 s40, exec_lo
	v_cmpx_ne_u32_e32 0x7f, v68
	s_cbranch_execz .LBB361_64
; %bb.61:                               ;   in Loop: Header=BB361_10 Depth=1
	v_and_b32_sdwa v1, v67, v56 dst_sel:DWORD dst_unused:UNUSED_PAD src0_sel:WORD_1 src1_sel:DWORD
	v_lshrrev_b32_e32 v66, 3, v68
	s_mov_b32 s41, exec_lo
	v_cmpx_gt_u32_e32 8, v68
; %bb.62:                               ;   in Loop: Header=BB361_10 Depth=1
	v_ffbh_u32_e32 v66, v1
	v_min_u32_e32 v66, 32, v66
	v_subrev_nc_u32_e32 v68, 28, v66
	v_sub_nc_u32_e32 v66, 29, v66
	v_lshlrev_b64 v[68:69], v68, v[1:2]
	v_and_b32_e32 v1, 7, v68
; %bb.63:                               ;   in Loop: Header=BB361_10 Depth=1
	s_or_b32 exec_lo, exec_lo, s41
	v_lshlrev_b32_sdwa v68, v57, v67 dst_sel:DWORD dst_unused:UNUSED_PAD src0_sel:DWORD src1_sel:WORD_1
	v_lshlrev_b32_e32 v1, 20, v1
	v_lshl_add_u32 v66, v66, 23, 0x3c000000
	v_and_b32_e32 v68, 0x80000000, v68
	v_or3_b32 v66, v1, v68, v66
.LBB361_64:                             ;   in Loop: Header=BB361_10 Depth=1
	s_or_b32 exec_lo, exec_lo, s40
.LBB361_65:                             ;   in Loop: Header=BB361_10 Depth=1
	s_or_b32 exec_lo, exec_lo, s39
.LBB361_66:                             ;   in Loop: Header=BB361_10 Depth=1
	s_or_b32 exec_lo, exec_lo, s3
	s_mov_b32 s3, exec_lo
	v_cmpx_lt_u32_e32 0xffffff, v67
	s_cbranch_execz .LBB361_74
; %bb.67:                               ;   in Loop: Header=BB361_10 Depth=1
	v_cmp_ne_u32_sdwa s2, v67, v53 src0_sel:BYTE_3 src1_sel:DWORD
	v_bfrev_b32_e32 v65, 1
	s_and_saveexec_b32 s39, s2
	s_cbranch_execz .LBB361_73
; %bb.68:                               ;   in Loop: Header=BB361_10 Depth=1
	v_bfe_u32 v68, v67, 24, 7
	v_mov_b32_e32 v65, 0x7f800001
	s_mov_b32 s40, exec_lo
	v_cmpx_ne_u32_e32 0x7f, v68
	s_cbranch_execz .LBB361_72
; %bb.69:                               ;   in Loop: Header=BB361_10 Depth=1
	v_and_b32_sdwa v1, v67, v56 dst_sel:DWORD dst_unused:UNUSED_PAD src0_sel:BYTE_3 src1_sel:DWORD
	v_lshrrev_b32_e32 v65, 3, v68
	s_mov_b32 s41, exec_lo
	v_cmpx_gt_u32_e32 8, v68
; %bb.70:                               ;   in Loop: Header=BB361_10 Depth=1
	v_ffbh_u32_e32 v65, v1
	v_min_u32_e32 v65, 32, v65
	v_subrev_nc_u32_e32 v68, 28, v65
	v_sub_nc_u32_e32 v65, 29, v65
	v_lshlrev_b64 v[68:69], v68, v[1:2]
	v_and_b32_e32 v1, 7, v68
; %bb.71:                               ;   in Loop: Header=BB361_10 Depth=1
	s_or_b32 exec_lo, exec_lo, s41
	v_lshlrev_b32_sdwa v67, v57, v67 dst_sel:DWORD dst_unused:UNUSED_PAD src0_sel:DWORD src1_sel:BYTE_3
	v_lshlrev_b32_e32 v1, 20, v1
	v_lshl_add_u32 v65, v65, 23, 0x3c000000
	v_and_b32_e32 v67, 0x80000000, v67
	v_or3_b32 v65, v1, v67, v65
.LBB361_72:                             ;   in Loop: Header=BB361_10 Depth=1
	s_or_b32 exec_lo, exec_lo, s40
.LBB361_73:                             ;   in Loop: Header=BB361_10 Depth=1
	s_or_b32 exec_lo, exec_lo, s39
.LBB361_74:                             ;   in Loop: Header=BB361_10 Depth=1
	s_or_b32 exec_lo, exec_lo, s3
	global_load_dword v71, v[7:8], off offset:256
	v_mov_b32_e32 v68, 0
	v_mov_b32_e32 v67, 0
	s_waitcnt vmcnt(0)
	v_cmp_ne_u16_sdwa s2, v71, v2 src0_sel:BYTE_0 src1_sel:DWORD
	s_and_saveexec_b32 s3, s2
	s_cbranch_execz .LBB361_82
; %bb.75:                               ;   in Loop: Header=BB361_10 Depth=1
	v_cmp_ne_u16_sdwa s2, v71, v53 src0_sel:BYTE_0 src1_sel:DWORD
	v_bfrev_b32_e32 v67, 1
	s_and_saveexec_b32 s39, s2
	s_cbranch_execz .LBB361_81
; %bb.76:                               ;   in Loop: Header=BB361_10 Depth=1
	v_and_b32_e32 v69, 0x7f, v71
	v_mov_b32_e32 v67, 0x7f800001
	s_mov_b32 s40, exec_lo
	v_cmpx_ne_u32_e32 0x7f, v69
	s_cbranch_execz .LBB361_80
; %bb.77:                               ;   in Loop: Header=BB361_10 Depth=1
	v_and_b32_e32 v1, 7, v71
	v_lshrrev_b32_e32 v67, 3, v69
	s_mov_b32 s41, exec_lo
	v_cmpx_gt_u32_e32 8, v69
; %bb.78:                               ;   in Loop: Header=BB361_10 Depth=1
	v_ffbh_u32_e32 v67, v1
	v_min_u32_e32 v67, 32, v67
	v_subrev_nc_u32_e32 v69, 28, v67
	v_sub_nc_u32_e32 v67, 29, v67
	v_lshlrev_b64 v[69:70], v69, v[1:2]
	v_and_b32_e32 v1, 7, v69
; %bb.79:                               ;   in Loop: Header=BB361_10 Depth=1
	s_or_b32 exec_lo, exec_lo, s41
	v_lshlrev_b32_e32 v69, 24, v71
	v_lshlrev_b32_e32 v1, 20, v1
	v_lshl_add_u32 v67, v67, 23, 0x3c000000
	v_and_b32_e32 v69, 0x80000000, v69
	v_or3_b32 v67, v1, v69, v67
.LBB361_80:                             ;   in Loop: Header=BB361_10 Depth=1
	s_or_b32 exec_lo, exec_lo, s40
.LBB361_81:                             ;   in Loop: Header=BB361_10 Depth=1
	s_or_b32 exec_lo, exec_lo, s39
.LBB361_82:                             ;   in Loop: Header=BB361_10 Depth=1
	s_or_b32 exec_lo, exec_lo, s3
	v_cmp_ne_u16_sdwa s2, v71, v2 src0_sel:BYTE_1 src1_sel:DWORD
	s_and_saveexec_b32 s3, s2
	s_cbranch_execz .LBB361_90
; %bb.83:                               ;   in Loop: Header=BB361_10 Depth=1
	v_cmp_ne_u16_sdwa s2, v71, v53 src0_sel:BYTE_1 src1_sel:DWORD
	v_bfrev_b32_e32 v68, 1
	s_and_saveexec_b32 s39, s2
	s_cbranch_execz .LBB361_89
; %bb.84:                               ;   in Loop: Header=BB361_10 Depth=1
	v_and_b32_sdwa v1, v54, v71 dst_sel:DWORD dst_unused:UNUSED_PAD src0_sel:DWORD src1_sel:BYTE_1
	v_mov_b32_e32 v68, 0x7f800001
	s_mov_b32 s40, exec_lo
	v_and_b32_e32 v69, 0x7f, v1
	v_cmpx_ne_u32_e32 0x7f, v69
	s_cbranch_execz .LBB361_88
; %bb.85:                               ;   in Loop: Header=BB361_10 Depth=1
	v_and_b32_e32 v1, 7, v1
	v_lshrrev_b32_e32 v68, 3, v69
	s_mov_b32 s41, exec_lo
	v_cmpx_gt_u32_e32 8, v69
; %bb.86:                               ;   in Loop: Header=BB361_10 Depth=1
	v_ffbh_u32_e32 v68, v1
	v_min_u32_e32 v68, 32, v68
	v_subrev_nc_u32_e32 v69, 28, v68
	v_sub_nc_u32_e32 v68, 29, v68
	v_lshlrev_b64 v[69:70], v69, v[1:2]
	v_and_b32_e32 v1, 7, v69
; %bb.87:                               ;   in Loop: Header=BB361_10 Depth=1
	s_or_b32 exec_lo, exec_lo, s41
	v_lshlrev_b32_e32 v69, 16, v71
	v_lshlrev_b32_e32 v1, 20, v1
	v_lshl_add_u32 v68, v68, 23, 0x3c000000
	v_and_b32_e32 v69, 0x80000000, v69
	v_or3_b32 v68, v1, v69, v68
.LBB361_88:                             ;   in Loop: Header=BB361_10 Depth=1
	s_or_b32 exec_lo, exec_lo, s40
.LBB361_89:                             ;   in Loop: Header=BB361_10 Depth=1
	s_or_b32 exec_lo, exec_lo, s39
.LBB361_90:                             ;   in Loop: Header=BB361_10 Depth=1
	s_or_b32 exec_lo, exec_lo, s3
	v_and_b32_sdwa v1, v71, v55 dst_sel:DWORD dst_unused:UNUSED_PAD src0_sel:WORD_1 src1_sel:DWORD
	v_mov_b32_e32 v69, 0
	v_mov_b32_e32 v70, 0
	s_mov_b32 s3, exec_lo
	v_cmpx_ne_u16_e32 0, v1
	s_cbranch_execz .LBB361_98
; %bb.91:                               ;   in Loop: Header=BB361_10 Depth=1
	v_bfrev_b32_e32 v70, 1
	s_mov_b32 s39, exec_lo
	v_cmpx_ne_u16_e32 0x80, v1
	s_cbranch_execz .LBB361_97
; %bb.92:                               ;   in Loop: Header=BB361_10 Depth=1
	v_bfe_u32 v72, v71, 16, 7
	v_mov_b32_e32 v70, 0x7f800001
	s_mov_b32 s40, exec_lo
	v_cmpx_ne_u32_e32 0x7f, v72
	s_cbranch_execz .LBB361_96
; %bb.93:                               ;   in Loop: Header=BB361_10 Depth=1
	v_and_b32_sdwa v1, v71, v56 dst_sel:DWORD dst_unused:UNUSED_PAD src0_sel:WORD_1 src1_sel:DWORD
	v_lshrrev_b32_e32 v70, 3, v72
	s_mov_b32 s41, exec_lo
	v_cmpx_gt_u32_e32 8, v72
; %bb.94:                               ;   in Loop: Header=BB361_10 Depth=1
	v_ffbh_u32_e32 v70, v1
	v_min_u32_e32 v70, 32, v70
	v_subrev_nc_u32_e32 v72, 28, v70
	v_sub_nc_u32_e32 v70, 29, v70
	v_lshlrev_b64 v[72:73], v72, v[1:2]
	v_and_b32_e32 v1, 7, v72
; %bb.95:                               ;   in Loop: Header=BB361_10 Depth=1
	s_or_b32 exec_lo, exec_lo, s41
	v_lshlrev_b32_sdwa v72, v57, v71 dst_sel:DWORD dst_unused:UNUSED_PAD src0_sel:DWORD src1_sel:WORD_1
	v_lshlrev_b32_e32 v1, 20, v1
	v_lshl_add_u32 v70, v70, 23, 0x3c000000
	v_and_b32_e32 v72, 0x80000000, v72
	v_or3_b32 v70, v1, v72, v70
.LBB361_96:                             ;   in Loop: Header=BB361_10 Depth=1
	s_or_b32 exec_lo, exec_lo, s40
.LBB361_97:                             ;   in Loop: Header=BB361_10 Depth=1
	s_or_b32 exec_lo, exec_lo, s39
.LBB361_98:                             ;   in Loop: Header=BB361_10 Depth=1
	s_or_b32 exec_lo, exec_lo, s3
	s_mov_b32 s3, exec_lo
	v_cmpx_lt_u32_e32 0xffffff, v71
	s_cbranch_execz .LBB361_106
; %bb.99:                               ;   in Loop: Header=BB361_10 Depth=1
	v_cmp_ne_u32_sdwa s2, v71, v53 src0_sel:BYTE_3 src1_sel:DWORD
	v_bfrev_b32_e32 v69, 1
	s_and_saveexec_b32 s39, s2
	s_cbranch_execz .LBB361_105
; %bb.100:                              ;   in Loop: Header=BB361_10 Depth=1
	v_bfe_u32 v72, v71, 24, 7
	v_mov_b32_e32 v69, 0x7f800001
	s_mov_b32 s40, exec_lo
	v_cmpx_ne_u32_e32 0x7f, v72
	s_cbranch_execz .LBB361_104
; %bb.101:                              ;   in Loop: Header=BB361_10 Depth=1
	v_and_b32_sdwa v1, v71, v56 dst_sel:DWORD dst_unused:UNUSED_PAD src0_sel:BYTE_3 src1_sel:DWORD
	v_lshrrev_b32_e32 v69, 3, v72
	s_mov_b32 s41, exec_lo
	v_cmpx_gt_u32_e32 8, v72
; %bb.102:                              ;   in Loop: Header=BB361_10 Depth=1
	v_ffbh_u32_e32 v69, v1
	v_min_u32_e32 v69, 32, v69
	v_subrev_nc_u32_e32 v72, 28, v69
	v_sub_nc_u32_e32 v69, 29, v69
	v_lshlrev_b64 v[72:73], v72, v[1:2]
	v_and_b32_e32 v1, 7, v72
; %bb.103:                              ;   in Loop: Header=BB361_10 Depth=1
	s_or_b32 exec_lo, exec_lo, s41
	v_lshlrev_b32_sdwa v71, v57, v71 dst_sel:DWORD dst_unused:UNUSED_PAD src0_sel:DWORD src1_sel:BYTE_3
	v_lshlrev_b32_e32 v1, 20, v1
	v_lshl_add_u32 v69, v69, 23, 0x3c000000
	v_and_b32_e32 v71, 0x80000000, v71
	v_or3_b32 v69, v1, v71, v69
.LBB361_104:                            ;   in Loop: Header=BB361_10 Depth=1
	s_or_b32 exec_lo, exec_lo, s40
.LBB361_105:                            ;   in Loop: Header=BB361_10 Depth=1
	s_or_b32 exec_lo, exec_lo, s39
.LBB361_106:                            ;   in Loop: Header=BB361_10 Depth=1
	s_or_b32 exec_lo, exec_lo, s3
	global_load_dword v75, v[7:8], off offset:264
	v_mov_b32_e32 v72, 0
	v_mov_b32_e32 v71, 0
	s_waitcnt vmcnt(0)
	v_cmp_ne_u16_sdwa s2, v75, v2 src0_sel:BYTE_0 src1_sel:DWORD
	s_and_saveexec_b32 s3, s2
	s_cbranch_execz .LBB361_114
; %bb.107:                              ;   in Loop: Header=BB361_10 Depth=1
	v_cmp_ne_u16_sdwa s2, v75, v53 src0_sel:BYTE_0 src1_sel:DWORD
	v_bfrev_b32_e32 v71, 1
	s_and_saveexec_b32 s39, s2
	s_cbranch_execz .LBB361_113
; %bb.108:                              ;   in Loop: Header=BB361_10 Depth=1
	v_and_b32_e32 v73, 0x7f, v75
	v_mov_b32_e32 v71, 0x7f800001
	s_mov_b32 s40, exec_lo
	v_cmpx_ne_u32_e32 0x7f, v73
	s_cbranch_execz .LBB361_112
; %bb.109:                              ;   in Loop: Header=BB361_10 Depth=1
	v_and_b32_e32 v1, 7, v75
	v_lshrrev_b32_e32 v71, 3, v73
	s_mov_b32 s41, exec_lo
	v_cmpx_gt_u32_e32 8, v73
; %bb.110:                              ;   in Loop: Header=BB361_10 Depth=1
	v_ffbh_u32_e32 v71, v1
	v_min_u32_e32 v71, 32, v71
	v_subrev_nc_u32_e32 v73, 28, v71
	v_sub_nc_u32_e32 v71, 29, v71
	v_lshlrev_b64 v[73:74], v73, v[1:2]
	v_and_b32_e32 v1, 7, v73
; %bb.111:                              ;   in Loop: Header=BB361_10 Depth=1
	s_or_b32 exec_lo, exec_lo, s41
	v_lshlrev_b32_e32 v73, 24, v75
	v_lshlrev_b32_e32 v1, 20, v1
	v_lshl_add_u32 v71, v71, 23, 0x3c000000
	v_and_b32_e32 v73, 0x80000000, v73
	v_or3_b32 v71, v1, v73, v71
.LBB361_112:                            ;   in Loop: Header=BB361_10 Depth=1
	s_or_b32 exec_lo, exec_lo, s40
.LBB361_113:                            ;   in Loop: Header=BB361_10 Depth=1
	s_or_b32 exec_lo, exec_lo, s39
.LBB361_114:                            ;   in Loop: Header=BB361_10 Depth=1
	s_or_b32 exec_lo, exec_lo, s3
	v_cmp_ne_u16_sdwa s2, v75, v2 src0_sel:BYTE_1 src1_sel:DWORD
	s_and_saveexec_b32 s3, s2
	s_cbranch_execz .LBB361_122
; %bb.115:                              ;   in Loop: Header=BB361_10 Depth=1
	v_cmp_ne_u16_sdwa s2, v75, v53 src0_sel:BYTE_1 src1_sel:DWORD
	v_bfrev_b32_e32 v72, 1
	s_and_saveexec_b32 s39, s2
	s_cbranch_execz .LBB361_121
; %bb.116:                              ;   in Loop: Header=BB361_10 Depth=1
	v_and_b32_sdwa v1, v54, v75 dst_sel:DWORD dst_unused:UNUSED_PAD src0_sel:DWORD src1_sel:BYTE_1
	v_mov_b32_e32 v72, 0x7f800001
	s_mov_b32 s40, exec_lo
	v_and_b32_e32 v73, 0x7f, v1
	v_cmpx_ne_u32_e32 0x7f, v73
	s_cbranch_execz .LBB361_120
; %bb.117:                              ;   in Loop: Header=BB361_10 Depth=1
	v_and_b32_e32 v1, 7, v1
	v_lshrrev_b32_e32 v72, 3, v73
	s_mov_b32 s41, exec_lo
	v_cmpx_gt_u32_e32 8, v73
; %bb.118:                              ;   in Loop: Header=BB361_10 Depth=1
	v_ffbh_u32_e32 v72, v1
	v_min_u32_e32 v72, 32, v72
	v_subrev_nc_u32_e32 v73, 28, v72
	v_sub_nc_u32_e32 v72, 29, v72
	v_lshlrev_b64 v[73:74], v73, v[1:2]
	v_and_b32_e32 v1, 7, v73
; %bb.119:                              ;   in Loop: Header=BB361_10 Depth=1
	s_or_b32 exec_lo, exec_lo, s41
	v_lshlrev_b32_e32 v73, 16, v75
	v_lshlrev_b32_e32 v1, 20, v1
	v_lshl_add_u32 v72, v72, 23, 0x3c000000
	v_and_b32_e32 v73, 0x80000000, v73
	v_or3_b32 v72, v1, v73, v72
.LBB361_120:                            ;   in Loop: Header=BB361_10 Depth=1
	s_or_b32 exec_lo, exec_lo, s40
.LBB361_121:                            ;   in Loop: Header=BB361_10 Depth=1
	s_or_b32 exec_lo, exec_lo, s39
.LBB361_122:                            ;   in Loop: Header=BB361_10 Depth=1
	s_or_b32 exec_lo, exec_lo, s3
	v_and_b32_sdwa v1, v75, v55 dst_sel:DWORD dst_unused:UNUSED_PAD src0_sel:WORD_1 src1_sel:DWORD
	v_mov_b32_e32 v73, 0
	v_mov_b32_e32 v74, 0
	s_mov_b32 s3, exec_lo
	v_cmpx_ne_u16_e32 0, v1
	s_cbranch_execz .LBB361_130
; %bb.123:                              ;   in Loop: Header=BB361_10 Depth=1
	v_bfrev_b32_e32 v74, 1
	s_mov_b32 s39, exec_lo
	v_cmpx_ne_u16_e32 0x80, v1
	s_cbranch_execz .LBB361_129
; %bb.124:                              ;   in Loop: Header=BB361_10 Depth=1
	v_bfe_u32 v76, v75, 16, 7
	v_mov_b32_e32 v74, 0x7f800001
	s_mov_b32 s40, exec_lo
	v_cmpx_ne_u32_e32 0x7f, v76
	s_cbranch_execz .LBB361_128
; %bb.125:                              ;   in Loop: Header=BB361_10 Depth=1
	v_and_b32_sdwa v1, v75, v56 dst_sel:DWORD dst_unused:UNUSED_PAD src0_sel:WORD_1 src1_sel:DWORD
	v_lshrrev_b32_e32 v74, 3, v76
	s_mov_b32 s41, exec_lo
	v_cmpx_gt_u32_e32 8, v76
; %bb.126:                              ;   in Loop: Header=BB361_10 Depth=1
	v_ffbh_u32_e32 v74, v1
	v_min_u32_e32 v74, 32, v74
	v_subrev_nc_u32_e32 v76, 28, v74
	v_sub_nc_u32_e32 v74, 29, v74
	v_lshlrev_b64 v[76:77], v76, v[1:2]
	v_and_b32_e32 v1, 7, v76
; %bb.127:                              ;   in Loop: Header=BB361_10 Depth=1
	s_or_b32 exec_lo, exec_lo, s41
	v_lshlrev_b32_sdwa v76, v57, v75 dst_sel:DWORD dst_unused:UNUSED_PAD src0_sel:DWORD src1_sel:WORD_1
	v_lshlrev_b32_e32 v1, 20, v1
	v_lshl_add_u32 v74, v74, 23, 0x3c000000
	v_and_b32_e32 v76, 0x80000000, v76
	v_or3_b32 v74, v1, v76, v74
.LBB361_128:                            ;   in Loop: Header=BB361_10 Depth=1
	s_or_b32 exec_lo, exec_lo, s40
.LBB361_129:                            ;   in Loop: Header=BB361_10 Depth=1
	s_or_b32 exec_lo, exec_lo, s39
.LBB361_130:                            ;   in Loop: Header=BB361_10 Depth=1
	s_or_b32 exec_lo, exec_lo, s3
	s_mov_b32 s3, exec_lo
	v_cmpx_lt_u32_e32 0xffffff, v75
	s_cbranch_execz .LBB361_138
; %bb.131:                              ;   in Loop: Header=BB361_10 Depth=1
	v_cmp_ne_u32_sdwa s2, v75, v53 src0_sel:BYTE_3 src1_sel:DWORD
	v_bfrev_b32_e32 v73, 1
	s_and_saveexec_b32 s39, s2
	s_cbranch_execz .LBB361_137
; %bb.132:                              ;   in Loop: Header=BB361_10 Depth=1
	v_bfe_u32 v76, v75, 24, 7
	v_mov_b32_e32 v73, 0x7f800001
	s_mov_b32 s40, exec_lo
	v_cmpx_ne_u32_e32 0x7f, v76
	s_cbranch_execz .LBB361_136
; %bb.133:                              ;   in Loop: Header=BB361_10 Depth=1
	v_and_b32_sdwa v1, v75, v56 dst_sel:DWORD dst_unused:UNUSED_PAD src0_sel:BYTE_3 src1_sel:DWORD
	v_lshrrev_b32_e32 v73, 3, v76
	s_mov_b32 s41, exec_lo
	v_cmpx_gt_u32_e32 8, v76
; %bb.134:                              ;   in Loop: Header=BB361_10 Depth=1
	v_ffbh_u32_e32 v73, v1
	v_min_u32_e32 v73, 32, v73
	v_subrev_nc_u32_e32 v76, 28, v73
	v_sub_nc_u32_e32 v73, 29, v73
	v_lshlrev_b64 v[76:77], v76, v[1:2]
	v_and_b32_e32 v1, 7, v76
; %bb.135:                              ;   in Loop: Header=BB361_10 Depth=1
	s_or_b32 exec_lo, exec_lo, s41
	v_lshlrev_b32_sdwa v75, v57, v75 dst_sel:DWORD dst_unused:UNUSED_PAD src0_sel:DWORD src1_sel:BYTE_3
	v_lshlrev_b32_e32 v1, 20, v1
	v_lshl_add_u32 v73, v73, 23, 0x3c000000
	v_and_b32_e32 v75, 0x80000000, v75
	v_or3_b32 v73, v1, v75, v73
.LBB361_136:                            ;   in Loop: Header=BB361_10 Depth=1
	s_or_b32 exec_lo, exec_lo, s40
.LBB361_137:                            ;   in Loop: Header=BB361_10 Depth=1
	s_or_b32 exec_lo, exec_lo, s39
.LBB361_138:                            ;   in Loop: Header=BB361_10 Depth=1
	s_or_b32 exec_lo, exec_lo, s3
	global_load_dword v79, v[7:8], off offset:512
	v_mov_b32_e32 v76, 0
	v_mov_b32_e32 v75, 0
	s_waitcnt vmcnt(0)
	v_cmp_ne_u16_sdwa s2, v79, v2 src0_sel:BYTE_0 src1_sel:DWORD
	s_and_saveexec_b32 s3, s2
	s_cbranch_execz .LBB361_146
; %bb.139:                              ;   in Loop: Header=BB361_10 Depth=1
	v_cmp_ne_u16_sdwa s2, v79, v53 src0_sel:BYTE_0 src1_sel:DWORD
	v_bfrev_b32_e32 v75, 1
	s_and_saveexec_b32 s39, s2
	s_cbranch_execz .LBB361_145
; %bb.140:                              ;   in Loop: Header=BB361_10 Depth=1
	v_and_b32_e32 v77, 0x7f, v79
	v_mov_b32_e32 v75, 0x7f800001
	s_mov_b32 s40, exec_lo
	v_cmpx_ne_u32_e32 0x7f, v77
	s_cbranch_execz .LBB361_144
; %bb.141:                              ;   in Loop: Header=BB361_10 Depth=1
	v_and_b32_e32 v1, 7, v79
	v_lshrrev_b32_e32 v75, 3, v77
	s_mov_b32 s41, exec_lo
	v_cmpx_gt_u32_e32 8, v77
; %bb.142:                              ;   in Loop: Header=BB361_10 Depth=1
	v_ffbh_u32_e32 v75, v1
	v_min_u32_e32 v75, 32, v75
	v_subrev_nc_u32_e32 v77, 28, v75
	v_sub_nc_u32_e32 v75, 29, v75
	v_lshlrev_b64 v[77:78], v77, v[1:2]
	v_and_b32_e32 v1, 7, v77
; %bb.143:                              ;   in Loop: Header=BB361_10 Depth=1
	s_or_b32 exec_lo, exec_lo, s41
	v_lshlrev_b32_e32 v77, 24, v79
	v_lshlrev_b32_e32 v1, 20, v1
	v_lshl_add_u32 v75, v75, 23, 0x3c000000
	v_and_b32_e32 v77, 0x80000000, v77
	v_or3_b32 v75, v1, v77, v75
.LBB361_144:                            ;   in Loop: Header=BB361_10 Depth=1
	s_or_b32 exec_lo, exec_lo, s40
.LBB361_145:                            ;   in Loop: Header=BB361_10 Depth=1
	s_or_b32 exec_lo, exec_lo, s39
.LBB361_146:                            ;   in Loop: Header=BB361_10 Depth=1
	s_or_b32 exec_lo, exec_lo, s3
	v_cmp_ne_u16_sdwa s2, v79, v2 src0_sel:BYTE_1 src1_sel:DWORD
	s_and_saveexec_b32 s3, s2
	s_cbranch_execz .LBB361_154
; %bb.147:                              ;   in Loop: Header=BB361_10 Depth=1
	v_cmp_ne_u16_sdwa s2, v79, v53 src0_sel:BYTE_1 src1_sel:DWORD
	v_bfrev_b32_e32 v76, 1
	s_and_saveexec_b32 s39, s2
	s_cbranch_execz .LBB361_153
; %bb.148:                              ;   in Loop: Header=BB361_10 Depth=1
	v_and_b32_sdwa v1, v54, v79 dst_sel:DWORD dst_unused:UNUSED_PAD src0_sel:DWORD src1_sel:BYTE_1
	v_mov_b32_e32 v76, 0x7f800001
	s_mov_b32 s40, exec_lo
	v_and_b32_e32 v77, 0x7f, v1
	v_cmpx_ne_u32_e32 0x7f, v77
	s_cbranch_execz .LBB361_152
; %bb.149:                              ;   in Loop: Header=BB361_10 Depth=1
	v_and_b32_e32 v1, 7, v1
	v_lshrrev_b32_e32 v76, 3, v77
	s_mov_b32 s41, exec_lo
	v_cmpx_gt_u32_e32 8, v77
; %bb.150:                              ;   in Loop: Header=BB361_10 Depth=1
	v_ffbh_u32_e32 v76, v1
	v_min_u32_e32 v76, 32, v76
	v_subrev_nc_u32_e32 v77, 28, v76
	v_sub_nc_u32_e32 v76, 29, v76
	v_lshlrev_b64 v[77:78], v77, v[1:2]
	v_and_b32_e32 v1, 7, v77
; %bb.151:                              ;   in Loop: Header=BB361_10 Depth=1
	s_or_b32 exec_lo, exec_lo, s41
	v_lshlrev_b32_e32 v77, 16, v79
	v_lshlrev_b32_e32 v1, 20, v1
	v_lshl_add_u32 v76, v76, 23, 0x3c000000
	v_and_b32_e32 v77, 0x80000000, v77
	v_or3_b32 v76, v1, v77, v76
.LBB361_152:                            ;   in Loop: Header=BB361_10 Depth=1
	s_or_b32 exec_lo, exec_lo, s40
.LBB361_153:                            ;   in Loop: Header=BB361_10 Depth=1
	s_or_b32 exec_lo, exec_lo, s39
.LBB361_154:                            ;   in Loop: Header=BB361_10 Depth=1
	s_or_b32 exec_lo, exec_lo, s3
	v_and_b32_sdwa v1, v79, v55 dst_sel:DWORD dst_unused:UNUSED_PAD src0_sel:WORD_1 src1_sel:DWORD
	v_mov_b32_e32 v77, 0
	v_mov_b32_e32 v78, 0
	s_mov_b32 s3, exec_lo
	v_cmpx_ne_u16_e32 0, v1
	s_cbranch_execz .LBB361_162
; %bb.155:                              ;   in Loop: Header=BB361_10 Depth=1
	v_bfrev_b32_e32 v78, 1
	s_mov_b32 s39, exec_lo
	v_cmpx_ne_u16_e32 0x80, v1
	s_cbranch_execz .LBB361_161
; %bb.156:                              ;   in Loop: Header=BB361_10 Depth=1
	v_bfe_u32 v80, v79, 16, 7
	v_mov_b32_e32 v78, 0x7f800001
	s_mov_b32 s40, exec_lo
	v_cmpx_ne_u32_e32 0x7f, v80
	s_cbranch_execz .LBB361_160
; %bb.157:                              ;   in Loop: Header=BB361_10 Depth=1
	v_and_b32_sdwa v1, v79, v56 dst_sel:DWORD dst_unused:UNUSED_PAD src0_sel:WORD_1 src1_sel:DWORD
	v_lshrrev_b32_e32 v78, 3, v80
	s_mov_b32 s41, exec_lo
	v_cmpx_gt_u32_e32 8, v80
; %bb.158:                              ;   in Loop: Header=BB361_10 Depth=1
	v_ffbh_u32_e32 v78, v1
	v_min_u32_e32 v78, 32, v78
	v_subrev_nc_u32_e32 v80, 28, v78
	v_sub_nc_u32_e32 v78, 29, v78
	v_lshlrev_b64 v[80:81], v80, v[1:2]
	v_and_b32_e32 v1, 7, v80
; %bb.159:                              ;   in Loop: Header=BB361_10 Depth=1
	s_or_b32 exec_lo, exec_lo, s41
	v_lshlrev_b32_sdwa v80, v57, v79 dst_sel:DWORD dst_unused:UNUSED_PAD src0_sel:DWORD src1_sel:WORD_1
	v_lshlrev_b32_e32 v1, 20, v1
	v_lshl_add_u32 v78, v78, 23, 0x3c000000
	v_and_b32_e32 v80, 0x80000000, v80
	v_or3_b32 v78, v1, v80, v78
.LBB361_160:                            ;   in Loop: Header=BB361_10 Depth=1
	s_or_b32 exec_lo, exec_lo, s40
.LBB361_161:                            ;   in Loop: Header=BB361_10 Depth=1
	s_or_b32 exec_lo, exec_lo, s39
.LBB361_162:                            ;   in Loop: Header=BB361_10 Depth=1
	s_or_b32 exec_lo, exec_lo, s3
	s_mov_b32 s3, exec_lo
	v_cmpx_lt_u32_e32 0xffffff, v79
	s_cbranch_execz .LBB361_170
; %bb.163:                              ;   in Loop: Header=BB361_10 Depth=1
	v_cmp_ne_u32_sdwa s2, v79, v53 src0_sel:BYTE_3 src1_sel:DWORD
	v_bfrev_b32_e32 v77, 1
	s_and_saveexec_b32 s39, s2
	s_cbranch_execz .LBB361_169
; %bb.164:                              ;   in Loop: Header=BB361_10 Depth=1
	v_bfe_u32 v80, v79, 24, 7
	v_mov_b32_e32 v77, 0x7f800001
	s_mov_b32 s40, exec_lo
	v_cmpx_ne_u32_e32 0x7f, v80
	s_cbranch_execz .LBB361_168
; %bb.165:                              ;   in Loop: Header=BB361_10 Depth=1
	v_and_b32_sdwa v1, v79, v56 dst_sel:DWORD dst_unused:UNUSED_PAD src0_sel:BYTE_3 src1_sel:DWORD
	v_lshrrev_b32_e32 v77, 3, v80
	s_mov_b32 s41, exec_lo
	v_cmpx_gt_u32_e32 8, v80
; %bb.166:                              ;   in Loop: Header=BB361_10 Depth=1
	v_ffbh_u32_e32 v77, v1
	v_min_u32_e32 v77, 32, v77
	v_subrev_nc_u32_e32 v80, 28, v77
	v_sub_nc_u32_e32 v77, 29, v77
	v_lshlrev_b64 v[80:81], v80, v[1:2]
	v_and_b32_e32 v1, 7, v80
; %bb.167:                              ;   in Loop: Header=BB361_10 Depth=1
	s_or_b32 exec_lo, exec_lo, s41
	v_lshlrev_b32_sdwa v79, v57, v79 dst_sel:DWORD dst_unused:UNUSED_PAD src0_sel:DWORD src1_sel:BYTE_3
	v_lshlrev_b32_e32 v1, 20, v1
	v_lshl_add_u32 v77, v77, 23, 0x3c000000
	v_and_b32_e32 v79, 0x80000000, v79
	v_or3_b32 v77, v1, v79, v77
.LBB361_168:                            ;   in Loop: Header=BB361_10 Depth=1
	s_or_b32 exec_lo, exec_lo, s40
.LBB361_169:                            ;   in Loop: Header=BB361_10 Depth=1
	s_or_b32 exec_lo, exec_lo, s39
.LBB361_170:                            ;   in Loop: Header=BB361_10 Depth=1
	s_or_b32 exec_lo, exec_lo, s3
	global_load_dword v83, v[7:8], off offset:520
	v_mov_b32_e32 v80, 0
	v_mov_b32_e32 v79, 0
	s_waitcnt vmcnt(0)
	v_cmp_ne_u16_sdwa s2, v83, v2 src0_sel:BYTE_0 src1_sel:DWORD
	s_and_saveexec_b32 s3, s2
	s_cbranch_execz .LBB361_178
; %bb.171:                              ;   in Loop: Header=BB361_10 Depth=1
	v_cmp_ne_u16_sdwa s2, v83, v53 src0_sel:BYTE_0 src1_sel:DWORD
	v_bfrev_b32_e32 v79, 1
	s_and_saveexec_b32 s39, s2
	s_cbranch_execz .LBB361_177
; %bb.172:                              ;   in Loop: Header=BB361_10 Depth=1
	v_and_b32_e32 v81, 0x7f, v83
	v_mov_b32_e32 v79, 0x7f800001
	s_mov_b32 s40, exec_lo
	v_cmpx_ne_u32_e32 0x7f, v81
	s_cbranch_execz .LBB361_176
; %bb.173:                              ;   in Loop: Header=BB361_10 Depth=1
	v_and_b32_e32 v1, 7, v83
	v_lshrrev_b32_e32 v79, 3, v81
	s_mov_b32 s41, exec_lo
	v_cmpx_gt_u32_e32 8, v81
; %bb.174:                              ;   in Loop: Header=BB361_10 Depth=1
	v_ffbh_u32_e32 v79, v1
	v_min_u32_e32 v79, 32, v79
	v_subrev_nc_u32_e32 v81, 28, v79
	v_sub_nc_u32_e32 v79, 29, v79
	v_lshlrev_b64 v[81:82], v81, v[1:2]
	v_and_b32_e32 v1, 7, v81
; %bb.175:                              ;   in Loop: Header=BB361_10 Depth=1
	s_or_b32 exec_lo, exec_lo, s41
	v_lshlrev_b32_e32 v81, 24, v83
	v_lshlrev_b32_e32 v1, 20, v1
	v_lshl_add_u32 v79, v79, 23, 0x3c000000
	v_and_b32_e32 v81, 0x80000000, v81
	v_or3_b32 v79, v1, v81, v79
.LBB361_176:                            ;   in Loop: Header=BB361_10 Depth=1
	s_or_b32 exec_lo, exec_lo, s40
.LBB361_177:                            ;   in Loop: Header=BB361_10 Depth=1
	s_or_b32 exec_lo, exec_lo, s39
.LBB361_178:                            ;   in Loop: Header=BB361_10 Depth=1
	s_or_b32 exec_lo, exec_lo, s3
	v_cmp_ne_u16_sdwa s2, v83, v2 src0_sel:BYTE_1 src1_sel:DWORD
	s_and_saveexec_b32 s3, s2
	s_cbranch_execz .LBB361_186
; %bb.179:                              ;   in Loop: Header=BB361_10 Depth=1
	v_cmp_ne_u16_sdwa s2, v83, v53 src0_sel:BYTE_1 src1_sel:DWORD
	v_bfrev_b32_e32 v80, 1
	s_and_saveexec_b32 s39, s2
	s_cbranch_execz .LBB361_185
; %bb.180:                              ;   in Loop: Header=BB361_10 Depth=1
	v_and_b32_sdwa v1, v54, v83 dst_sel:DWORD dst_unused:UNUSED_PAD src0_sel:DWORD src1_sel:BYTE_1
	v_mov_b32_e32 v80, 0x7f800001
	s_mov_b32 s40, exec_lo
	v_and_b32_e32 v81, 0x7f, v1
	v_cmpx_ne_u32_e32 0x7f, v81
	s_cbranch_execz .LBB361_184
; %bb.181:                              ;   in Loop: Header=BB361_10 Depth=1
	v_and_b32_e32 v1, 7, v1
	v_lshrrev_b32_e32 v80, 3, v81
	s_mov_b32 s41, exec_lo
	v_cmpx_gt_u32_e32 8, v81
; %bb.182:                              ;   in Loop: Header=BB361_10 Depth=1
	v_ffbh_u32_e32 v80, v1
	v_min_u32_e32 v80, 32, v80
	v_subrev_nc_u32_e32 v81, 28, v80
	v_sub_nc_u32_e32 v80, 29, v80
	v_lshlrev_b64 v[81:82], v81, v[1:2]
	v_and_b32_e32 v1, 7, v81
; %bb.183:                              ;   in Loop: Header=BB361_10 Depth=1
	s_or_b32 exec_lo, exec_lo, s41
	v_lshlrev_b32_e32 v81, 16, v83
	v_lshlrev_b32_e32 v1, 20, v1
	v_lshl_add_u32 v80, v80, 23, 0x3c000000
	v_and_b32_e32 v81, 0x80000000, v81
	v_or3_b32 v80, v1, v81, v80
.LBB361_184:                            ;   in Loop: Header=BB361_10 Depth=1
	s_or_b32 exec_lo, exec_lo, s40
.LBB361_185:                            ;   in Loop: Header=BB361_10 Depth=1
	s_or_b32 exec_lo, exec_lo, s39
.LBB361_186:                            ;   in Loop: Header=BB361_10 Depth=1
	s_or_b32 exec_lo, exec_lo, s3
	v_and_b32_sdwa v1, v83, v55 dst_sel:DWORD dst_unused:UNUSED_PAD src0_sel:WORD_1 src1_sel:DWORD
	v_mov_b32_e32 v81, 0
	v_mov_b32_e32 v82, 0
	s_mov_b32 s3, exec_lo
	v_cmpx_ne_u16_e32 0, v1
	s_cbranch_execz .LBB361_194
; %bb.187:                              ;   in Loop: Header=BB361_10 Depth=1
	v_bfrev_b32_e32 v82, 1
	s_mov_b32 s39, exec_lo
	v_cmpx_ne_u16_e32 0x80, v1
	s_cbranch_execz .LBB361_193
; %bb.188:                              ;   in Loop: Header=BB361_10 Depth=1
	v_bfe_u32 v84, v83, 16, 7
	v_mov_b32_e32 v82, 0x7f800001
	s_mov_b32 s40, exec_lo
	v_cmpx_ne_u32_e32 0x7f, v84
	s_cbranch_execz .LBB361_192
; %bb.189:                              ;   in Loop: Header=BB361_10 Depth=1
	v_and_b32_sdwa v1, v83, v56 dst_sel:DWORD dst_unused:UNUSED_PAD src0_sel:WORD_1 src1_sel:DWORD
	v_lshrrev_b32_e32 v82, 3, v84
	s_mov_b32 s41, exec_lo
	v_cmpx_gt_u32_e32 8, v84
; %bb.190:                              ;   in Loop: Header=BB361_10 Depth=1
	v_ffbh_u32_e32 v82, v1
	v_min_u32_e32 v82, 32, v82
	v_subrev_nc_u32_e32 v84, 28, v82
	v_sub_nc_u32_e32 v82, 29, v82
	v_lshlrev_b64 v[84:85], v84, v[1:2]
	v_and_b32_e32 v1, 7, v84
; %bb.191:                              ;   in Loop: Header=BB361_10 Depth=1
	s_or_b32 exec_lo, exec_lo, s41
	v_lshlrev_b32_sdwa v84, v57, v83 dst_sel:DWORD dst_unused:UNUSED_PAD src0_sel:DWORD src1_sel:WORD_1
	v_lshlrev_b32_e32 v1, 20, v1
	v_lshl_add_u32 v82, v82, 23, 0x3c000000
	v_and_b32_e32 v84, 0x80000000, v84
	v_or3_b32 v82, v1, v84, v82
.LBB361_192:                            ;   in Loop: Header=BB361_10 Depth=1
	s_or_b32 exec_lo, exec_lo, s40
.LBB361_193:                            ;   in Loop: Header=BB361_10 Depth=1
	s_or_b32 exec_lo, exec_lo, s39
.LBB361_194:                            ;   in Loop: Header=BB361_10 Depth=1
	s_or_b32 exec_lo, exec_lo, s3
	s_mov_b32 s3, exec_lo
	v_cmpx_lt_u32_e32 0xffffff, v83
	s_cbranch_execz .LBB361_202
; %bb.195:                              ;   in Loop: Header=BB361_10 Depth=1
	v_cmp_ne_u32_sdwa s2, v83, v53 src0_sel:BYTE_3 src1_sel:DWORD
	v_bfrev_b32_e32 v81, 1
	s_and_saveexec_b32 s39, s2
	s_cbranch_execz .LBB361_201
; %bb.196:                              ;   in Loop: Header=BB361_10 Depth=1
	v_bfe_u32 v84, v83, 24, 7
	v_mov_b32_e32 v81, 0x7f800001
	s_mov_b32 s40, exec_lo
	v_cmpx_ne_u32_e32 0x7f, v84
	s_cbranch_execz .LBB361_200
; %bb.197:                              ;   in Loop: Header=BB361_10 Depth=1
	v_and_b32_sdwa v1, v83, v56 dst_sel:DWORD dst_unused:UNUSED_PAD src0_sel:BYTE_3 src1_sel:DWORD
	v_lshrrev_b32_e32 v81, 3, v84
	s_mov_b32 s41, exec_lo
	v_cmpx_gt_u32_e32 8, v84
; %bb.198:                              ;   in Loop: Header=BB361_10 Depth=1
	v_ffbh_u32_e32 v81, v1
	v_min_u32_e32 v81, 32, v81
	v_subrev_nc_u32_e32 v84, 28, v81
	v_sub_nc_u32_e32 v81, 29, v81
	v_lshlrev_b64 v[84:85], v84, v[1:2]
	v_and_b32_e32 v1, 7, v84
; %bb.199:                              ;   in Loop: Header=BB361_10 Depth=1
	s_or_b32 exec_lo, exec_lo, s41
	v_lshlrev_b32_sdwa v83, v57, v83 dst_sel:DWORD dst_unused:UNUSED_PAD src0_sel:DWORD src1_sel:BYTE_3
	v_lshlrev_b32_e32 v1, 20, v1
	v_lshl_add_u32 v81, v81, 23, 0x3c000000
	v_and_b32_e32 v83, 0x80000000, v83
	v_or3_b32 v81, v1, v83, v81
.LBB361_200:                            ;   in Loop: Header=BB361_10 Depth=1
	s_or_b32 exec_lo, exec_lo, s40
.LBB361_201:                            ;   in Loop: Header=BB361_10 Depth=1
	s_or_b32 exec_lo, exec_lo, s39
.LBB361_202:                            ;   in Loop: Header=BB361_10 Depth=1
	s_or_b32 exec_lo, exec_lo, s3
	global_load_dword v87, v[7:8], off offset:768
	v_mov_b32_e32 v84, 0
	v_mov_b32_e32 v83, 0
	s_waitcnt vmcnt(0)
	v_cmp_ne_u16_sdwa s2, v87, v2 src0_sel:BYTE_0 src1_sel:DWORD
	s_and_saveexec_b32 s3, s2
	s_cbranch_execz .LBB361_210
; %bb.203:                              ;   in Loop: Header=BB361_10 Depth=1
	v_cmp_ne_u16_sdwa s2, v87, v53 src0_sel:BYTE_0 src1_sel:DWORD
	v_bfrev_b32_e32 v83, 1
	s_and_saveexec_b32 s39, s2
	s_cbranch_execz .LBB361_209
; %bb.204:                              ;   in Loop: Header=BB361_10 Depth=1
	v_and_b32_e32 v85, 0x7f, v87
	v_mov_b32_e32 v83, 0x7f800001
	s_mov_b32 s40, exec_lo
	v_cmpx_ne_u32_e32 0x7f, v85
	s_cbranch_execz .LBB361_208
; %bb.205:                              ;   in Loop: Header=BB361_10 Depth=1
	v_and_b32_e32 v1, 7, v87
	v_lshrrev_b32_e32 v83, 3, v85
	s_mov_b32 s41, exec_lo
	v_cmpx_gt_u32_e32 8, v85
; %bb.206:                              ;   in Loop: Header=BB361_10 Depth=1
	v_ffbh_u32_e32 v83, v1
	v_min_u32_e32 v83, 32, v83
	v_subrev_nc_u32_e32 v85, 28, v83
	v_sub_nc_u32_e32 v83, 29, v83
	v_lshlrev_b64 v[85:86], v85, v[1:2]
	v_and_b32_e32 v1, 7, v85
; %bb.207:                              ;   in Loop: Header=BB361_10 Depth=1
	s_or_b32 exec_lo, exec_lo, s41
	v_lshlrev_b32_e32 v85, 24, v87
	v_lshlrev_b32_e32 v1, 20, v1
	v_lshl_add_u32 v83, v83, 23, 0x3c000000
	v_and_b32_e32 v85, 0x80000000, v85
	v_or3_b32 v83, v1, v85, v83
.LBB361_208:                            ;   in Loop: Header=BB361_10 Depth=1
	s_or_b32 exec_lo, exec_lo, s40
.LBB361_209:                            ;   in Loop: Header=BB361_10 Depth=1
	s_or_b32 exec_lo, exec_lo, s39
.LBB361_210:                            ;   in Loop: Header=BB361_10 Depth=1
	s_or_b32 exec_lo, exec_lo, s3
	v_cmp_ne_u16_sdwa s2, v87, v2 src0_sel:BYTE_1 src1_sel:DWORD
	s_and_saveexec_b32 s3, s2
	s_cbranch_execz .LBB361_218
; %bb.211:                              ;   in Loop: Header=BB361_10 Depth=1
	v_cmp_ne_u16_sdwa s2, v87, v53 src0_sel:BYTE_1 src1_sel:DWORD
	v_bfrev_b32_e32 v84, 1
	s_and_saveexec_b32 s39, s2
	s_cbranch_execz .LBB361_217
; %bb.212:                              ;   in Loop: Header=BB361_10 Depth=1
	v_and_b32_sdwa v1, v54, v87 dst_sel:DWORD dst_unused:UNUSED_PAD src0_sel:DWORD src1_sel:BYTE_1
	v_mov_b32_e32 v84, 0x7f800001
	s_mov_b32 s40, exec_lo
	v_and_b32_e32 v85, 0x7f, v1
	v_cmpx_ne_u32_e32 0x7f, v85
	s_cbranch_execz .LBB361_216
; %bb.213:                              ;   in Loop: Header=BB361_10 Depth=1
	v_and_b32_e32 v1, 7, v1
	v_lshrrev_b32_e32 v84, 3, v85
	s_mov_b32 s41, exec_lo
	v_cmpx_gt_u32_e32 8, v85
; %bb.214:                              ;   in Loop: Header=BB361_10 Depth=1
	v_ffbh_u32_e32 v84, v1
	v_min_u32_e32 v84, 32, v84
	v_subrev_nc_u32_e32 v85, 28, v84
	v_sub_nc_u32_e32 v84, 29, v84
	v_lshlrev_b64 v[85:86], v85, v[1:2]
	v_and_b32_e32 v1, 7, v85
; %bb.215:                              ;   in Loop: Header=BB361_10 Depth=1
	s_or_b32 exec_lo, exec_lo, s41
	v_lshlrev_b32_e32 v85, 16, v87
	v_lshlrev_b32_e32 v1, 20, v1
	v_lshl_add_u32 v84, v84, 23, 0x3c000000
	v_and_b32_e32 v85, 0x80000000, v85
	v_or3_b32 v84, v1, v85, v84
.LBB361_216:                            ;   in Loop: Header=BB361_10 Depth=1
	s_or_b32 exec_lo, exec_lo, s40
.LBB361_217:                            ;   in Loop: Header=BB361_10 Depth=1
	s_or_b32 exec_lo, exec_lo, s39
.LBB361_218:                            ;   in Loop: Header=BB361_10 Depth=1
	s_or_b32 exec_lo, exec_lo, s3
	v_and_b32_sdwa v1, v87, v55 dst_sel:DWORD dst_unused:UNUSED_PAD src0_sel:WORD_1 src1_sel:DWORD
	v_mov_b32_e32 v85, 0
	v_mov_b32_e32 v86, 0
	s_mov_b32 s3, exec_lo
	v_cmpx_ne_u16_e32 0, v1
	s_cbranch_execz .LBB361_226
; %bb.219:                              ;   in Loop: Header=BB361_10 Depth=1
	v_bfrev_b32_e32 v86, 1
	s_mov_b32 s39, exec_lo
	v_cmpx_ne_u16_e32 0x80, v1
	s_cbranch_execz .LBB361_225
; %bb.220:                              ;   in Loop: Header=BB361_10 Depth=1
	v_bfe_u32 v88, v87, 16, 7
	v_mov_b32_e32 v86, 0x7f800001
	s_mov_b32 s40, exec_lo
	v_cmpx_ne_u32_e32 0x7f, v88
	s_cbranch_execz .LBB361_224
; %bb.221:                              ;   in Loop: Header=BB361_10 Depth=1
	v_and_b32_sdwa v1, v87, v56 dst_sel:DWORD dst_unused:UNUSED_PAD src0_sel:WORD_1 src1_sel:DWORD
	v_lshrrev_b32_e32 v86, 3, v88
	s_mov_b32 s41, exec_lo
	v_cmpx_gt_u32_e32 8, v88
; %bb.222:                              ;   in Loop: Header=BB361_10 Depth=1
	v_ffbh_u32_e32 v86, v1
	v_min_u32_e32 v86, 32, v86
	v_subrev_nc_u32_e32 v88, 28, v86
	v_sub_nc_u32_e32 v86, 29, v86
	v_lshlrev_b64 v[88:89], v88, v[1:2]
	v_and_b32_e32 v1, 7, v88
; %bb.223:                              ;   in Loop: Header=BB361_10 Depth=1
	s_or_b32 exec_lo, exec_lo, s41
	v_lshlrev_b32_sdwa v88, v57, v87 dst_sel:DWORD dst_unused:UNUSED_PAD src0_sel:DWORD src1_sel:WORD_1
	v_lshlrev_b32_e32 v1, 20, v1
	v_lshl_add_u32 v86, v86, 23, 0x3c000000
	v_and_b32_e32 v88, 0x80000000, v88
	v_or3_b32 v86, v1, v88, v86
.LBB361_224:                            ;   in Loop: Header=BB361_10 Depth=1
	s_or_b32 exec_lo, exec_lo, s40
.LBB361_225:                            ;   in Loop: Header=BB361_10 Depth=1
	s_or_b32 exec_lo, exec_lo, s39
.LBB361_226:                            ;   in Loop: Header=BB361_10 Depth=1
	s_or_b32 exec_lo, exec_lo, s3
	s_mov_b32 s3, exec_lo
	v_cmpx_lt_u32_e32 0xffffff, v87
	s_cbranch_execz .LBB361_234
; %bb.227:                              ;   in Loop: Header=BB361_10 Depth=1
	v_cmp_ne_u32_sdwa s2, v87, v53 src0_sel:BYTE_3 src1_sel:DWORD
	v_bfrev_b32_e32 v85, 1
	s_and_saveexec_b32 s39, s2
	s_cbranch_execz .LBB361_233
; %bb.228:                              ;   in Loop: Header=BB361_10 Depth=1
	v_bfe_u32 v88, v87, 24, 7
	v_mov_b32_e32 v85, 0x7f800001
	s_mov_b32 s40, exec_lo
	v_cmpx_ne_u32_e32 0x7f, v88
	s_cbranch_execz .LBB361_232
; %bb.229:                              ;   in Loop: Header=BB361_10 Depth=1
	v_and_b32_sdwa v1, v87, v56 dst_sel:DWORD dst_unused:UNUSED_PAD src0_sel:BYTE_3 src1_sel:DWORD
	v_lshrrev_b32_e32 v85, 3, v88
	s_mov_b32 s41, exec_lo
	v_cmpx_gt_u32_e32 8, v88
; %bb.230:                              ;   in Loop: Header=BB361_10 Depth=1
	v_ffbh_u32_e32 v85, v1
	v_min_u32_e32 v85, 32, v85
	v_subrev_nc_u32_e32 v88, 28, v85
	v_sub_nc_u32_e32 v85, 29, v85
	v_lshlrev_b64 v[88:89], v88, v[1:2]
	v_and_b32_e32 v1, 7, v88
; %bb.231:                              ;   in Loop: Header=BB361_10 Depth=1
	s_or_b32 exec_lo, exec_lo, s41
	v_lshlrev_b32_sdwa v87, v57, v87 dst_sel:DWORD dst_unused:UNUSED_PAD src0_sel:DWORD src1_sel:BYTE_3
	v_lshlrev_b32_e32 v1, 20, v1
	v_lshl_add_u32 v85, v85, 23, 0x3c000000
	v_and_b32_e32 v87, 0x80000000, v87
	v_or3_b32 v85, v1, v87, v85
.LBB361_232:                            ;   in Loop: Header=BB361_10 Depth=1
	s_or_b32 exec_lo, exec_lo, s40
.LBB361_233:                            ;   in Loop: Header=BB361_10 Depth=1
	s_or_b32 exec_lo, exec_lo, s39
.LBB361_234:                            ;   in Loop: Header=BB361_10 Depth=1
	s_or_b32 exec_lo, exec_lo, s3
	global_load_dword v87, v[7:8], off offset:776
	v_mov_b32_e32 v89, 0
	v_mov_b32_e32 v88, 0
	s_waitcnt vmcnt(0)
	v_cmp_ne_u16_sdwa s2, v87, v2 src0_sel:BYTE_0 src1_sel:DWORD
	s_and_saveexec_b32 s3, s2
	s_cbranch_execz .LBB361_242
; %bb.235:                              ;   in Loop: Header=BB361_10 Depth=1
	v_cmp_ne_u16_sdwa s2, v87, v53 src0_sel:BYTE_0 src1_sel:DWORD
	v_bfrev_b32_e32 v88, 1
	s_and_saveexec_b32 s39, s2
	s_cbranch_execz .LBB361_241
; %bb.236:                              ;   in Loop: Header=BB361_10 Depth=1
	v_and_b32_e32 v8, 0x7f, v87
	v_mov_b32_e32 v88, 0x7f800001
	s_mov_b32 s40, exec_lo
	v_cmpx_ne_u32_e32 0x7f, v8
	s_cbranch_execz .LBB361_240
; %bb.237:                              ;   in Loop: Header=BB361_10 Depth=1
	v_and_b32_e32 v1, 7, v87
	v_lshrrev_b32_e32 v7, 3, v8
	s_mov_b32 s41, exec_lo
	v_cmpx_gt_u32_e32 8, v8
; %bb.238:                              ;   in Loop: Header=BB361_10 Depth=1
	v_ffbh_u32_e32 v7, v1
	v_min_u32_e32 v7, 32, v7
	v_subrev_nc_u32_e32 v8, 28, v7
	v_sub_nc_u32_e32 v7, 29, v7
	v_lshlrev_b64 v[90:91], v8, v[1:2]
	v_and_b32_e32 v1, 7, v90
; %bb.239:                              ;   in Loop: Header=BB361_10 Depth=1
	s_or_b32 exec_lo, exec_lo, s41
	v_lshlrev_b32_e32 v8, 24, v87
	v_lshlrev_b32_e32 v1, 20, v1
	v_lshl_add_u32 v7, v7, 23, 0x3c000000
	v_and_b32_e32 v8, 0x80000000, v8
	v_or3_b32 v88, v1, v8, v7
.LBB361_240:                            ;   in Loop: Header=BB361_10 Depth=1
	s_or_b32 exec_lo, exec_lo, s40
.LBB361_241:                            ;   in Loop: Header=BB361_10 Depth=1
	s_or_b32 exec_lo, exec_lo, s39
.LBB361_242:                            ;   in Loop: Header=BB361_10 Depth=1
	s_or_b32 exec_lo, exec_lo, s3
	v_cmp_ne_u16_sdwa s2, v87, v2 src0_sel:BYTE_1 src1_sel:DWORD
	s_and_saveexec_b32 s3, s2
	s_cbranch_execz .LBB361_250
; %bb.243:                              ;   in Loop: Header=BB361_10 Depth=1
	v_cmp_ne_u16_sdwa s2, v87, v53 src0_sel:BYTE_1 src1_sel:DWORD
	v_bfrev_b32_e32 v89, 1
	s_and_saveexec_b32 s39, s2
	s_cbranch_execz .LBB361_249
; %bb.244:                              ;   in Loop: Header=BB361_10 Depth=1
	v_and_b32_sdwa v1, v54, v87 dst_sel:DWORD dst_unused:UNUSED_PAD src0_sel:DWORD src1_sel:BYTE_1
	v_mov_b32_e32 v89, 0x7f800001
	s_mov_b32 s40, exec_lo
	v_and_b32_e32 v8, 0x7f, v1
	v_cmpx_ne_u32_e32 0x7f, v8
	s_cbranch_execz .LBB361_248
; %bb.245:                              ;   in Loop: Header=BB361_10 Depth=1
	v_and_b32_e32 v1, 7, v1
	v_lshrrev_b32_e32 v7, 3, v8
	s_mov_b32 s41, exec_lo
	v_cmpx_gt_u32_e32 8, v8
; %bb.246:                              ;   in Loop: Header=BB361_10 Depth=1
	v_ffbh_u32_e32 v7, v1
	v_min_u32_e32 v7, 32, v7
	v_subrev_nc_u32_e32 v8, 28, v7
	v_sub_nc_u32_e32 v7, 29, v7
	v_lshlrev_b64 v[89:90], v8, v[1:2]
	v_and_b32_e32 v1, 7, v89
; %bb.247:                              ;   in Loop: Header=BB361_10 Depth=1
	s_or_b32 exec_lo, exec_lo, s41
	v_lshlrev_b32_e32 v8, 16, v87
	v_lshlrev_b32_e32 v1, 20, v1
	v_lshl_add_u32 v7, v7, 23, 0x3c000000
	v_and_b32_e32 v8, 0x80000000, v8
	v_or3_b32 v89, v1, v8, v7
.LBB361_248:                            ;   in Loop: Header=BB361_10 Depth=1
	s_or_b32 exec_lo, exec_lo, s40
.LBB361_249:                            ;   in Loop: Header=BB361_10 Depth=1
	s_or_b32 exec_lo, exec_lo, s39
.LBB361_250:                            ;   in Loop: Header=BB361_10 Depth=1
	s_or_b32 exec_lo, exec_lo, s3
	v_and_b32_sdwa v1, v87, v55 dst_sel:DWORD dst_unused:UNUSED_PAD src0_sel:WORD_1 src1_sel:DWORD
	v_mov_b32_e32 v7, 0
	v_mov_b32_e32 v8, 0
	s_mov_b32 s3, exec_lo
	v_cmpx_ne_u16_e32 0, v1
	s_cbranch_execz .LBB361_258
; %bb.251:                              ;   in Loop: Header=BB361_10 Depth=1
	v_bfrev_b32_e32 v8, 1
	s_mov_b32 s39, exec_lo
	v_cmpx_ne_u16_e32 0x80, v1
	s_cbranch_execz .LBB361_257
; %bb.252:                              ;   in Loop: Header=BB361_10 Depth=1
	v_bfe_u32 v90, v87, 16, 7
	v_mov_b32_e32 v8, 0x7f800001
	s_mov_b32 s40, exec_lo
	v_cmpx_ne_u32_e32 0x7f, v90
	s_cbranch_execz .LBB361_256
; %bb.253:                              ;   in Loop: Header=BB361_10 Depth=1
	v_and_b32_sdwa v1, v87, v56 dst_sel:DWORD dst_unused:UNUSED_PAD src0_sel:WORD_1 src1_sel:DWORD
	v_lshrrev_b32_e32 v8, 3, v90
	s_mov_b32 s41, exec_lo
	v_cmpx_gt_u32_e32 8, v90
; %bb.254:                              ;   in Loop: Header=BB361_10 Depth=1
	v_ffbh_u32_e32 v8, v1
	v_min_u32_e32 v8, 32, v8
	v_subrev_nc_u32_e32 v90, 28, v8
	v_sub_nc_u32_e32 v8, 29, v8
	v_lshlrev_b64 v[90:91], v90, v[1:2]
	v_and_b32_e32 v1, 7, v90
; %bb.255:                              ;   in Loop: Header=BB361_10 Depth=1
	s_or_b32 exec_lo, exec_lo, s41
	v_lshlrev_b32_sdwa v90, v57, v87 dst_sel:DWORD dst_unused:UNUSED_PAD src0_sel:DWORD src1_sel:WORD_1
	v_lshlrev_b32_e32 v1, 20, v1
	v_lshl_add_u32 v8, v8, 23, 0x3c000000
	v_and_b32_e32 v90, 0x80000000, v90
	v_or3_b32 v8, v1, v90, v8
.LBB361_256:                            ;   in Loop: Header=BB361_10 Depth=1
	s_or_b32 exec_lo, exec_lo, s40
.LBB361_257:                            ;   in Loop: Header=BB361_10 Depth=1
	s_or_b32 exec_lo, exec_lo, s39
.LBB361_258:                            ;   in Loop: Header=BB361_10 Depth=1
	s_or_b32 exec_lo, exec_lo, s3
	s_mov_b32 s3, exec_lo
	v_cmpx_lt_u32_e32 0xffffff, v87
	s_cbranch_execz .LBB361_266
; %bb.259:                              ;   in Loop: Header=BB361_10 Depth=1
	v_cmp_ne_u32_sdwa s2, v87, v53 src0_sel:BYTE_3 src1_sel:DWORD
	v_bfrev_b32_e32 v7, 1
	s_and_saveexec_b32 s39, s2
	s_cbranch_execz .LBB361_265
; %bb.260:                              ;   in Loop: Header=BB361_10 Depth=1
	v_bfe_u32 v90, v87, 24, 7
	v_mov_b32_e32 v7, 0x7f800001
	s_mov_b32 s40, exec_lo
	v_cmpx_ne_u32_e32 0x7f, v90
	s_cbranch_execz .LBB361_264
; %bb.261:                              ;   in Loop: Header=BB361_10 Depth=1
	v_and_b32_sdwa v1, v87, v56 dst_sel:DWORD dst_unused:UNUSED_PAD src0_sel:BYTE_3 src1_sel:DWORD
	v_lshrrev_b32_e32 v7, 3, v90
	s_mov_b32 s41, exec_lo
	v_cmpx_gt_u32_e32 8, v90
; %bb.262:                              ;   in Loop: Header=BB361_10 Depth=1
	v_ffbh_u32_e32 v7, v1
	v_min_u32_e32 v7, 32, v7
	v_subrev_nc_u32_e32 v90, 28, v7
	v_sub_nc_u32_e32 v7, 29, v7
	v_lshlrev_b64 v[90:91], v90, v[1:2]
	v_and_b32_e32 v1, 7, v90
; %bb.263:                              ;   in Loop: Header=BB361_10 Depth=1
	s_or_b32 exec_lo, exec_lo, s41
	v_lshlrev_b32_sdwa v87, v57, v87 dst_sel:DWORD dst_unused:UNUSED_PAD src0_sel:DWORD src1_sel:BYTE_3
	v_lshlrev_b32_e32 v1, 20, v1
	v_lshl_add_u32 v7, v7, 23, 0x3c000000
	v_and_b32_e32 v87, 0x80000000, v87
	v_or3_b32 v7, v1, v87, v7
.LBB361_264:                            ;   in Loop: Header=BB361_10 Depth=1
	s_or_b32 exec_lo, exec_lo, s40
.LBB361_265:                            ;   in Loop: Header=BB361_10 Depth=1
	s_or_b32 exec_lo, exec_lo, s39
.LBB361_266:                            ;   in Loop: Header=BB361_10 Depth=1
	s_or_b32 exec_lo, exec_lo, s3
	s_waitcnt lgkmcnt(0)
	v_mul_f32_e32 v1, s4, v89
	v_mul_f32_e32 v87, s4, v88
	v_mul_f32_e32 v86, s4, v86
	v_mul_f32_e32 v89, s4, v85
	v_mul_f32_e32 v74, s4, v74
	v_bfe_u32 v88, v1, 16, 1
	v_bfe_u32 v85, v87, 16, 1
	v_or_b32_e32 v90, 0x400000, v1
	v_cmp_u_f32_e64 s2, v1, v1
	v_or_b32_e32 v91, 0x400000, v87
	v_add3_u32 v88, v88, v1, 0x7fff
	v_bfe_u32 v92, v86, 16, 1
	v_add3_u32 v85, v85, v87, 0x7fff
	v_bfe_u32 v93, v89, 16, 1
	v_mul_f32_e32 v73, s4, v73
	v_cndmask_b32_e64 v1, v88, v90, s2
	v_cmp_u_f32_e64 s2, v87, v87
	v_add3_u32 v87, v92, v86, 0x7fff
	v_mul_f32_e32 v88, s4, v84
	v_or_b32_e32 v84, 0x400000, v86
	v_add3_u32 v90, v93, v89, 0x7fff
	v_cndmask_b32_e64 v85, v85, v91, s2
	v_cmp_u_f32_e64 s2, v86, v86
	v_mul_f32_e32 v91, s4, v83
	v_or_b32_e32 v83, 0x400000, v89
	v_bfe_u32 v92, v88, 16, 1
	v_mul_f32_e32 v72, s4, v72
	v_cndmask_b32_e64 v84, v87, v84, s2
	v_cmp_u_f32_e64 s2, v89, v89
	v_bfe_u32 v86, v91, 16, 1
	v_add3_u32 v87, v92, v88, 0x7fff
	v_mul_f32_e32 v89, s4, v82
	v_or_b32_e32 v82, 0x400000, v88
	v_cndmask_b32_e64 v83, v90, v83, s2
	v_cmp_u_f32_e64 s2, v88, v88
	v_add3_u32 v86, v86, v91, 0x7fff
	v_mul_f32_e32 v90, s4, v81
	v_or_b32_e32 v92, 0x400000, v91
	v_bfe_u32 v93, v89, 16, 1
	v_cndmask_b32_e64 v81, v87, v82, s2
	v_cmp_u_f32_e64 s2, v91, v91
	v_bfe_u32 v87, v90, 16, 1
	v_mul_f32_e32 v88, s4, v80
	v_or_b32_e32 v80, 0x400000, v89
	v_mul_f32_e32 v91, s4, v79
	v_cndmask_b32_e64 v82, v86, v92, s2
	v_add3_u32 v86, v93, v89, 0x7fff
	v_cmp_u_f32_e64 s2, v89, v89
	v_add3_u32 v87, v87, v90, 0x7fff
	v_or_b32_e32 v92, 0x400000, v90
	v_bfe_u32 v93, v88, 16, 1
	v_mul_f32_e32 v89, s4, v78
	v_cndmask_b32_e64 v79, v86, v80, s2
	v_cmp_u_f32_e64 s2, v90, v90
	v_bfe_u32 v86, v91, 16, 1
	v_or_b32_e32 v78, 0x400000, v88
	v_mul_f32_e32 v90, s4, v77
	v_mul_f32_e32 v71, s4, v71
	v_cndmask_b32_e64 v80, v87, v92, s2
	v_add3_u32 v87, v93, v88, 0x7fff
	v_cmp_u_f32_e64 s2, v88, v88
	v_add3_u32 v86, v86, v91, 0x7fff
	v_or_b32_e32 v92, 0x400000, v91
	v_bfe_u32 v93, v89, 16, 1
	v_mul_f32_e32 v88, s4, v76
	v_cndmask_b32_e64 v77, v87, v78, s2
	v_cmp_u_f32_e64 s2, v91, v91
	v_bfe_u32 v87, v90, 16, 1
	v_or_b32_e32 v76, 0x400000, v89
	v_mul_f32_e32 v91, s4, v75
	v_mul_f32_e32 v70, s4, v70
	v_cndmask_b32_e64 v78, v86, v92, s2
	v_add3_u32 v86, v93, v89, 0x7fff
	v_cmp_u_f32_e64 s2, v89, v89
	v_add3_u32 v87, v87, v90, 0x7fff
	v_or_b32_e32 v92, 0x400000, v90
	v_bfe_u32 v93, v88, 16, 1
	v_or_b32_e32 v89, 0x400000, v88
	v_cndmask_b32_e64 v75, v86, v76, s2
	v_cmp_u_f32_e64 s2, v90, v90
	v_bfe_u32 v86, v91, 16, 1
	v_or_b32_e32 v90, 0x400000, v91
	v_mul_f32_e32 v69, s4, v69
	v_mul_f32_e32 v68, s4, v68
	v_cndmask_b32_e64 v76, v87, v92, s2
	v_add3_u32 v87, v93, v88, 0x7fff
	v_cmp_u_f32_e64 s2, v88, v88
	v_add3_u32 v86, v86, v91, 0x7fff
	v_bfe_u32 v92, v74, 16, 1
	v_bfe_u32 v88, v73, 16, 1
	v_mul_f32_e32 v67, s4, v67
	v_cndmask_b32_e64 v87, v87, v89, s2
	v_cmp_u_f32_e64 s2, v91, v91
	v_add3_u32 v89, v92, v74, 0x7fff
	v_add3_u32 v88, v88, v73, 0x7fff
	v_or_b32_e32 v91, 0x400000, v73
	v_bfe_u32 v92, v72, 16, 1
	v_cndmask_b32_e64 v86, v86, v90, s2
	v_or_b32_e32 v90, 0x400000, v74
	v_cmp_u_f32_e64 s2, v74, v74
	v_mul_f32_e32 v66, s4, v66
	v_mul_f32_e32 v65, s4, v65
	;; [unrolled: 1-line block ×4, first 2 shown]
	v_cndmask_b32_e64 v74, v89, v90, s2
	v_cmp_u_f32_e64 s2, v73, v73
	v_bfe_u32 v89, v71, 16, 1
	v_or_b32_e32 v90, 0x400000, v72
	v_mul_f32_e32 v62, s4, v62
	v_mul_f32_e32 v61, s4, v61
	v_cndmask_b32_e64 v73, v88, v91, s2
	v_add3_u32 v88, v92, v72, 0x7fff
	v_cmp_u_f32_e64 s2, v72, v72
	v_add3_u32 v89, v89, v71, 0x7fff
	v_or_b32_e32 v91, 0x400000, v71
	v_bfe_u32 v92, v70, 16, 1
	v_mul_f32_e32 v60, s4, v60
	v_cndmask_b32_e64 v72, v88, v90, s2
	v_cmp_u_f32_e64 s2, v71, v71
	v_bfe_u32 v88, v69, 16, 1
	v_or_b32_e32 v90, 0x400000, v70
	v_mul_f32_e32 v59, s4, v59
	v_mul_f32_e32 v8, s4, v8
	v_cndmask_b32_e64 v71, v89, v91, s2
	v_add3_u32 v89, v92, v70, 0x7fff
	v_cmp_u_f32_e64 s2, v70, v70
	v_add3_u32 v88, v88, v69, 0x7fff
	v_or_b32_e32 v91, 0x400000, v69
	v_bfe_u32 v92, v68, 16, 1
	v_mul_f32_e32 v7, s4, v7
	v_cndmask_b32_e64 v70, v89, v90, s2
	v_cmp_u_f32_e64 s2, v69, v69
	v_bfe_u32 v89, v67, 16, 1
	v_or_b32_e32 v90, 0x400000, v68
	v_or_b32_e32 v93, 0x400000, v7
	v_and_b32_e32 v1, 0xffff0000, v1
	v_cndmask_b32_e64 v69, v88, v91, s2
	v_add3_u32 v88, v92, v68, 0x7fff
	v_cmp_u_f32_e64 s2, v68, v68
	v_add3_u32 v89, v89, v67, 0x7fff
	v_or_b32_e32 v91, 0x400000, v67
	v_bfe_u32 v92, v66, 16, 1
	v_cndmask_b32_e64 v68, v88, v90, s2
	v_cmp_u_f32_e64 s2, v67, v67
	v_bfe_u32 v88, v65, 16, 1
	v_or_b32_e32 v90, 0x400000, v66
	v_cndmask_b32_e64 v67, v89, v91, s2
	v_add3_u32 v89, v92, v66, 0x7fff
	v_cmp_u_f32_e64 s2, v66, v66
	v_add3_u32 v88, v88, v65, 0x7fff
	v_or_b32_e32 v91, 0x400000, v65
	v_bfe_u32 v92, v64, 16, 1
	v_cndmask_b32_e64 v66, v89, v90, s2
	v_cmp_u_f32_e64 s2, v65, v65
	v_bfe_u32 v89, v63, 16, 1
	v_or_b32_e32 v90, 0x400000, v64
	v_and_b32_e32 v66, 0xffff0000, v66
	v_cndmask_b32_e64 v65, v88, v91, s2
	v_add3_u32 v88, v92, v64, 0x7fff
	v_cmp_u_f32_e64 s2, v64, v64
	v_add3_u32 v89, v89, v63, 0x7fff
	v_or_b32_e32 v91, 0x400000, v63
	v_bfe_u32 v92, v62, 16, 1
	v_and_b32_e32 v65, 0xffff0000, v65
	v_cndmask_b32_e64 v64, v88, v90, s2
	v_cmp_u_f32_e64 s2, v63, v63
	v_bfe_u32 v88, v61, 16, 1
	v_or_b32_e32 v90, 0x400000, v62
	v_mul_f32_e32 v65, v21, v65
	v_and_b32_e32 v64, 0xffff0000, v64
	v_cndmask_b32_e64 v63, v89, v91, s2
	v_add3_u32 v89, v92, v62, 0x7fff
	v_cmp_u_f32_e64 s2, v62, v62
	v_add3_u32 v88, v88, v61, 0x7fff
	v_or_b32_e32 v91, 0x400000, v61
	v_and_b32_e32 v63, 0xffff0000, v63
	v_mul_f32_e32 v64, v19, v64
	v_cndmask_b32_e64 v62, v89, v90, s2
	v_bfe_u32 v89, v60, 16, 1
	v_cmp_u_f32_e64 s2, v61, v61
	v_bfe_u32 v90, v59, 16, 1
	v_mul_f32_e32 v63, v18, v63
	v_and_b32_e32 v62, 0xffff0000, v62
	v_or_b32_e32 v92, 0x400000, v8
	v_cndmask_b32_e64 v61, v88, v91, s2
	v_add3_u32 v88, v89, v60, 0x7fff
	v_or_b32_e32 v89, 0x400000, v60
	v_cmp_u_f32_e64 s2, v60, v60
	v_bfe_u32 v91, v8, 16, 1
	v_and_b32_e32 v61, 0xffff0000, v61
	v_cndmask_b32_e64 v60, v88, v89, s2
	v_add3_u32 v89, v90, v59, 0x7fff
	v_or_b32_e32 v90, 0x400000, v59
	v_cmp_u_f32_e64 s2, v59, v59
	v_fmac_f32_e32 v65, v17, v61
	v_and_b32_e32 v60, 0xffff0000, v60
	v_and_b32_e32 v61, 0xffff0000, v70
	v_bfe_u32 v88, v7, 16, 1
	v_cndmask_b32_e64 v59, v89, v90, s2
	v_add3_u32 v91, v91, v8, 0x7fff
	v_fmac_f32_e32 v64, v15, v60
	v_and_b32_e32 v60, 0xffff0000, v67
	v_cmp_u_f32_e64 s2, v8, v8
	v_and_b32_e32 v59, 0xffff0000, v59
	v_add3_u32 v88, v88, v7, 0x7fff
	v_cndmask_b32_e64 v8, v91, v92, s2
	v_fmac_f32_e32 v63, v14, v59
	v_mul_f32_e32 v59, v20, v66
	v_and_b32_e32 v66, 0xffff0000, v68
	v_cmp_u_f32_e64 s2, v7, v7
	v_and_b32_e32 v8, 0xffff0000, v8
	v_fmac_f32_e32 v63, v25, v60
	v_fmac_f32_e32 v59, v16, v62
	v_and_b32_e32 v60, 0xffff0000, v69
	v_fmac_f32_e32 v64, v26, v66
	v_and_b32_e32 v62, 0xffff0000, v71
	v_and_b32_e32 v66, 0xffff0000, v74
	v_fmac_f32_e32 v59, v27, v61
	v_and_b32_e32 v61, 0xffff0000, v72
	v_fmac_f32_e32 v65, v28, v60
	;; [unrolled: 2-line block ×3, first 2 shown]
	v_fmac_f32_e32 v59, v31, v66
	v_fmac_f32_e32 v64, v30, v61
	v_and_b32_e32 v61, 0xffff0000, v86
	v_and_b32_e32 v62, 0xffff0000, v87
	v_fmac_f32_e32 v65, v32, v60
	v_and_b32_e32 v60, 0xffff0000, v75
	v_and_b32_e32 v66, 0xffff0000, v76
	v_fmac_f32_e32 v63, v33, v61
	v_fmac_f32_e32 v64, v34, v62
	v_and_b32_e32 v61, 0xffff0000, v78
	v_fmac_f32_e32 v59, v35, v60
	v_and_b32_e32 v60, 0xffff0000, v77
	;; [unrolled: 2-line block ×4, first 2 shown]
	v_and_b32_e32 v66, 0xffff0000, v82
	v_fmac_f32_e32 v64, v38, v60
	v_and_b32_e32 v60, 0xffff0000, v81
	v_fmac_f32_e32 v59, v39, v62
	v_fmac_f32_e32 v65, v40, v61
	;; [unrolled: 1-line block ×3, first 2 shown]
	v_and_b32_e32 v61, 0xffff0000, v84
	v_and_b32_e32 v62, 0xffff0000, v85
	v_fmac_f32_e32 v64, v42, v60
	v_cndmask_b32_e64 v7, v88, v93, s2
	v_and_b32_e32 v60, 0xffff0000, v83
	v_fmac_f32_e32 v59, v43, v61
	v_fmac_f32_e32 v63, v45, v62
	;; [unrolled: 1-line block ×3, first 2 shown]
	v_and_b32_e32 v1, 0xffff0000, v7
	v_fmac_f32_e32 v65, v44, v60
	v_fmac_f32_e32 v59, v48, v8
	v_add_f32_e32 v7, v63, v64
	v_fmac_f32_e32 v65, v49, v1
	v_add_f32_e32 v1, v7, v59
	v_add_f32_e32 v1, v1, v65
	ds_bpermute_b32 v7, v50, v1
	s_and_saveexec_b32 s3, vcc_lo
	s_cbranch_execz .LBB361_9
; %bb.267:                              ;   in Loop: Header=BB361_10 Depth=1
	v_add_nc_u32_e32 v8, s5, v51
	s_waitcnt lgkmcnt(0)
	v_add_f32_e32 v1, v1, v7
	v_cmp_gt_i32_e64 s2, s27, v51
	v_cvt_f32_i32_e32 v8, v8
	v_mul_f32_e32 v8, s36, v8
	v_cndmask_b32_e64 v7, 0, v8, s1
	v_max_f32_e32 v8, v46, v46
	v_fmac_f32_e32 v7, s37, v1
	v_max_f32_e32 v1, v8, v7
	v_cndmask_b32_e64 v7, 0, v7, s2
	v_cndmask_b32_e64 v46, v46, v1, s2
	ds_write_b32 v52, v7
	s_branch .LBB361_9
.LBB361_268:
	s_or_b32 exec_lo, exec_lo, s16
.LBB361_269:
	s_or_b32 exec_lo, exec_lo, s38
	v_xor_b32_e32 v1, 16, v12
	v_xor_b32_e32 v3, 8, v12
	v_max_f32_e32 v6, v46, v46
	s_waitcnt lgkmcnt(0)
	v_xor_b32_e32 v7, 2, v12
	v_and_b32_e32 v25, 31, v0
	v_cmp_lt_i32_e32 vcc_lo, v1, v13
	v_cndmask_b32_e32 v1, v12, v1, vcc_lo
	v_cmp_lt_i32_e32 vcc_lo, v3, v13
	v_lshlrev_b32_e32 v4, 2, v1
	v_cndmask_b32_e32 v3, v12, v3, vcc_lo
	ds_bpermute_b32 v1, v4, v46
	v_lshlrev_b32_e32 v5, 2, v3
	s_waitcnt lgkmcnt(0)
	v_max_f32_e32 v1, v1, v1
	v_max_f32_e32 v1, v6, v1
	v_xor_b32_e32 v6, 4, v12
	ds_bpermute_b32 v3, v5, v1
	v_cmp_lt_i32_e32 vcc_lo, v6, v13
	v_cndmask_b32_e32 v6, v12, v6, vcc_lo
	v_cmp_lt_i32_e32 vcc_lo, v7, v13
	v_lshlrev_b32_e32 v6, 2, v6
	v_cndmask_b32_e32 v7, v12, v7, vcc_lo
	v_cmp_eq_u32_e32 vcc_lo, 0, v25
	s_waitcnt lgkmcnt(0)
	v_max_f32_e32 v3, v3, v3
	v_max_f32_e32 v1, v1, v3
	ds_bpermute_b32 v3, v6, v1
	s_waitcnt lgkmcnt(0)
	v_max_f32_e32 v3, v3, v3
	v_max_f32_e32 v1, v1, v3
	v_lshlrev_b32_e32 v3, 2, v7
	v_lshlrev_b32_e32 v7, 2, v24
	ds_bpermute_b32 v8, v3, v1
	s_and_saveexec_b32 s1, vcc_lo
	s_cbranch_execz .LBB361_271
; %bb.270:
	s_waitcnt lgkmcnt(0)
	v_max_f32_e32 v8, v8, v8
	v_max_f32_e32 v1, v1, v1
	;; [unrolled: 1-line block ×3, first 2 shown]
	ds_write_b32 v7, v1 offset:128
.LBB361_271:
	s_or_b32 exec_lo, exec_lo, s1
	v_cmp_gt_u32_e64 s1, 4, v25
	v_mov_b32_e32 v1, 0xff7fffff
	s_waitcnt lgkmcnt(0)
	v_lshlrev_b32_e32 v8, 2, v25
	s_barrier
	buffer_gl0_inv
	s_and_saveexec_b32 s2, s1
; %bb.272:
	ds_read_b32 v1, v8 offset:128
; %bb.273:
	s_or_b32 exec_lo, exec_lo, s2
	s_waitcnt lgkmcnt(0)
	ds_bpermute_b32 v14, v3, v1
	v_xor_b32_e32 v15, 1, v12
	v_max_f32_e32 v1, v1, v1
	v_lshlrev_b32_e32 v2, 2, v2
	v_cmp_lt_i32_e64 s2, v15, v13
	v_cndmask_b32_e64 v13, v12, v15, s2
	s_sub_i32 s2, s11, s15
	s_lshl_b32 s2, s2, 4
	v_lshlrev_b32_e32 v26, 2, v13
	s_add_i32 s2, s2, s33
	s_min_i32 s2, s2, s27
	s_waitcnt lgkmcnt(0)
	v_max_f32_e32 v14, v14, v14
	s_sub_i32 s4, s2, s33
	v_cmp_gt_i32_e64 s2, s4, v0
	v_max_f32_e32 v1, v1, v14
	ds_bpermute_b32 v13, v26, v1
	s_waitcnt lgkmcnt(0)
	v_max_f32_e32 v13, v13, v13
	v_max_f32_e32 v1, v1, v13
	v_mov_b32_e32 v13, 0
	ds_bpermute_b32 v1, v2, v1
	v_lshl_add_u32 v2, v0, 2, 0xa0
	s_and_saveexec_b32 s5, s2
	s_cbranch_execz .LBB361_277
; %bb.274:
	v_lshl_add_u32 v14, v0, 2, 0xa0
	v_mov_b32_e32 v13, 0
	v_mov_b32_e32 v15, v0
	s_mov_b32 s15, 0
	.p2align	6
.LBB361_275:                            ; =>This Inner Loop Header: Depth=1
	ds_read_b32 v16, v14
	v_add_nc_u32_e32 v15, 0x80, v15
	v_cmp_le_i32_e64 s3, s4, v15
	s_or_b32 s15, s3, s15
	s_waitcnt lgkmcnt(0)
	v_sub_f32_e32 v16, v16, v1
	v_mul_f32_e32 v16, 0x3fb8aa3b, v16
	v_exp_f32_e32 v16, v16
	ds_write_b32 v14, v16
	v_add_f32_e32 v13, v13, v16
	v_add_nc_u32_e32 v14, 0x200, v14
	s_andn2_b32 exec_lo, exec_lo, s15
	s_cbranch_execnz .LBB361_275
; %bb.276:
	s_or_b32 exec_lo, exec_lo, s15
.LBB361_277:
	s_or_b32 exec_lo, exec_lo, s5
	ds_bpermute_b32 v4, v4, v13
	s_waitcnt lgkmcnt(0)
	v_add_f32_e32 v4, v13, v4
	ds_bpermute_b32 v5, v5, v4
	s_waitcnt lgkmcnt(0)
	v_add_f32_e32 v4, v4, v5
	;; [unrolled: 3-line block ×5, first 2 shown]
	s_and_saveexec_b32 s3, vcc_lo
; %bb.278:
	ds_write_b32 v7, v4 offset:144
; %bb.279:
	s_or_b32 exec_lo, exec_lo, s3
	s_waitcnt lgkmcnt(0)
	s_barrier
	buffer_gl0_inv
	s_and_saveexec_b32 s3, s1
; %bb.280:
	ds_read_b32 v4, v8 offset:144
; %bb.281:
	s_or_b32 exec_lo, exec_lo, s3
	s_waitcnt lgkmcnt(0)
	ds_bpermute_b32 v3, v3, v4
	v_lshlrev_b32_e32 v5, 2, v12
	s_waitcnt lgkmcnt(0)
	v_add_f32_e32 v3, v4, v3
	ds_bpermute_b32 v4, v26, v3
	s_waitcnt lgkmcnt(0)
	v_add_f32_e32 v3, v3, v4
	v_and_b32_e32 v4, 0xffffff80, v5
	ds_bpermute_b32 v3, v4, v3
	s_and_saveexec_b32 s1, s2
	s_cbranch_execz .LBB361_284
; %bb.282:
	s_waitcnt lgkmcnt(0)
	v_add_f32_e32 v4, 0x358637bd, v3
	s_mov_b32 s2, 0
	v_div_scale_f32 v5, null, v4, v4, 1.0
	v_div_scale_f32 v8, vcc_lo, 1.0, v4, 1.0
	v_rcp_f32_e32 v6, v5
	v_fma_f32 v7, -v5, v6, 1.0
	v_fmac_f32_e32 v6, v7, v6
	v_mul_f32_e32 v7, v8, v6
	v_fma_f32 v12, -v5, v7, v8
	v_fmac_f32_e32 v7, v12, v6
	v_fma_f32 v5, -v5, v7, v8
	v_div_fmas_f32 v5, v5, v6, v7
	v_div_fixup_f32 v4, v5, v4, 1.0
	v_mov_b32_e32 v5, v0
.LBB361_283:                            ; =>This Inner Loop Header: Depth=1
	ds_read_b32 v6, v2
	v_add_nc_u32_e32 v5, 0x80, v5
	v_cmp_le_i32_e32 vcc_lo, s4, v5
	s_or_b32 s2, vcc_lo, s2
	s_waitcnt lgkmcnt(0)
	v_mul_f32_e32 v6, v4, v6
	ds_write_b32 v2, v6
	v_add_nc_u32_e32 v2, 0x200, v2
	s_andn2_b32 exec_lo, exec_lo, s2
	s_cbranch_execnz .LBB361_283
.LBB361_284:
	s_or_b32 exec_lo, exec_lo, s1
	s_mul_i32 s1, s7, s26
	s_waitcnt lgkmcnt(0)
	s_mul_i32 s2, s1, s9
	s_mov_b32 s1, exec_lo
	s_barrier
	buffer_gl0_inv
	v_cmpx_eq_u32_e32 0, v0
	s_cbranch_execz .LBB361_286
; %bb.285:
	s_ashr_i32 s3, s2, 31
	s_mul_i32 s16, s7, s6
	s_lshl_b64 s[4:5], s[2:3], 2
	v_mov_b32_e32 v2, 0
	s_add_u32 s3, s22, s4
	s_addc_u32 s6, s23, s5
	s_ashr_i32 s17, s16, 31
	s_lshl_b64 s[16:17], s[16:17], 2
	s_add_u32 s3, s3, s16
	s_addc_u32 s6, s6, s17
	s_ashr_i32 s9, s8, 31
	s_lshl_b64 s[22:23], s[8:9], 2
	s_add_u32 s36, s3, s22
	s_addc_u32 s37, s6, s23
	s_add_u32 s3, s20, s4
	s_addc_u32 s4, s21, s5
	;; [unrolled: 2-line block ×4, first 2 shown]
	global_store_dword v2, v1, s[36:37]
	global_store_dword v2, v3, s[4:5]
.LBB361_286:
	s_or_b32 exec_lo, exec_lo, s1
	v_mov_b32_e32 v29, 0
	v_mov_b32_e32 v30, 0
	;; [unrolled: 1-line block ×4, first 2 shown]
	s_and_saveexec_b32 s1, s0
	s_cbranch_execz .LBB361_538
; %bb.287:
	s_load_dword s6, s[18:19], 0x0
	v_and_b32_e32 v1, 8, v11
	v_and_b32_e32 v2, 0xf8, v11
	v_lshl_add_u32 v4, v24, 4, s33
	s_ashr_i32 s0, s14, 31
	s_add_u32 s4, s34, s14
	v_lshlrev_b32_e32 v3, 5, v23
	s_addc_u32 s0, s35, s0
	v_add_co_u32 v12, s4, s4, v2
	v_add3_u32 v31, v4, v1, 7
	v_lshlrev_b64 v[1:2], 2, v[9:10]
	v_add_co_ci_u32_e64 v13, null, s0, 0, s4
	s_lshl_b64 s[4:5], s[30:31], 2
	s_add_i32 s9, s12, -1
	v_lshl_or_b32 v3, v24, 6, v3
	s_add_u32 s0, s28, s4
	s_addc_u32 s4, s29, s5
	v_add_co_u32 v14, vcc_lo, s0, v1
	v_mov_b32_e32 v11, 0
	v_add_nc_u32_e32 v32, 0xa0, v3
	v_add_co_ci_u32_e64 v15, null, s4, v2, vcc_lo
	v_mov_b32_e32 v33, 0x80
	v_mov_b32_e32 v34, 0xffff
	;; [unrolled: 1-line block ×9, first 2 shown]
	s_mov_b32 s4, -1
	s_mov_b32 s3, s13
	s_mov_b32 s5, 0xffffff
	;; [unrolled: 1-line block ×3, first 2 shown]
	s_branch .LBB361_289
.LBB361_288:                            ;   in Loop: Header=BB361_289 Depth=1
	s_or_b32 exec_lo, exec_lo, s0
	v_bfe_u32 v46, v5, 16, 1
	v_bfe_u32 v47, v6, 16, 1
	v_or_b32_e32 v48, 0x400000, v5
	v_cmp_u_f32_e32 vcc_lo, v5, v5
	v_or_b32_e32 v49, 0x400000, v6
	v_add3_u32 v46, v46, v5, 0x7fff
	v_bfe_u32 v50, v7, 16, 1
	v_add3_u32 v47, v47, v6, 0x7fff
	v_bfe_u32 v51, v8, 16, 1
	v_lshlrev_b32_e32 v20, 16, v20
	v_cndmask_b32_e32 v5, v46, v48, vcc_lo
	v_cmp_u_f32_e32 vcc_lo, v6, v6
	v_add3_u32 v46, v50, v7, 0x7fff
	v_add3_u32 v48, v51, v8, 0x7fff
	v_bfe_u32 v50, v1, 16, 1
	v_and_b32_e32 v5, 0xffff0000, v5
	v_cndmask_b32_e32 v6, v47, v49, vcc_lo
	v_or_b32_e32 v47, 0x400000, v7
	v_cmp_u_f32_e32 vcc_lo, v7, v7
	v_or_b32_e32 v49, 0x400000, v8
	v_or_b32_e32 v51, 0x400000, v4
	v_lshlrev_b32_e32 v21, 16, v21
	v_lshlrev_b32_e32 v62, 16, v62
	v_cndmask_b32_e32 v7, v46, v47, vcc_lo
	v_cmp_u_f32_e32 vcc_lo, v8, v8
	v_bfe_u32 v46, v2, 16, 1
	v_add3_u32 v47, v50, v1, 0x7fff
	v_bfe_u32 v50, v3, 16, 1
	v_lshlrev_b32_e32 v58, 16, v58
	v_cndmask_b32_e32 v8, v48, v49, vcc_lo
	v_or_b32_e32 v48, 0x400000, v1
	v_cmp_u_f32_e32 vcc_lo, v1, v1
	v_add3_u32 v46, v46, v2, 0x7fff
	v_or_b32_e32 v49, 0x400000, v2
	v_and_b32_e32 v1, 0xffff0000, v6
	v_lshlrev_b32_e32 v6, 16, v66
	v_cndmask_b32_e32 v47, v47, v48, vcc_lo
	v_cmp_u_f32_e32 vcc_lo, v2, v2
	v_add3_u32 v2, v50, v3, 0x7fff
	v_bfe_u32 v48, v4, 16, 1
	v_or_b32_e32 v50, 0x400000, v3
	v_mul_f32_e32 v6, v1, v6
	v_cndmask_b32_e32 v46, v46, v49, vcc_lo
	v_lshlrev_b32_e32 v49, 16, v65
	v_cmp_u_f32_e32 vcc_lo, v3, v3
	v_add3_u32 v48, v48, v4, 0x7fff
	v_bfe_u32 v3, v6, 16, 1
	v_lshlrev_b32_e32 v45, 16, v45
	v_mul_f32_e32 v49, v5, v49
	v_cndmask_b32_e32 v50, v2, v50, vcc_lo
	v_cmp_u_f32_e32 vcc_lo, v4, v4
	v_and_b32_e32 v2, 0xffff0000, v8
	v_lshlrev_b32_e32 v8, 16, v63
	v_add3_u32 v3, v3, v6, 0x7fff
	v_or_b32_e32 v52, 0x400000, v49
	v_cndmask_b32_e32 v4, v48, v51, vcc_lo
	v_bfe_u32 v48, v49, 16, 1
	v_or_b32_e32 v51, 0x400000, v6
	v_mul_f32_e32 v63, v2, v8
	v_and_b32_e32 v8, 0xffff0000, v7
	v_lshlrev_b32_e32 v7, 16, v64
	v_cmp_u_f32_e32 vcc_lo, v6, v6
	v_add3_u32 v48, v48, v49, 0x7fff
	v_and_b32_e32 v6, 0xffff0000, v47
	v_or_b32_e32 v47, 0x400000, v63
	v_mul_f32_e32 v7, v8, v7
	v_cndmask_b32_e32 v51, v3, v51, vcc_lo
	v_cmp_u_f32_e32 vcc_lo, v49, v49
	v_bfe_u32 v49, v63, 16, 1
	v_and_b32_e32 v3, 0xffff0000, v46
	v_mul_f32_e32 v21, v6, v21
	v_and_b32_e32 v4, 0xffff0000, v4
	v_cndmask_b32_e32 v48, v48, v52, vcc_lo
	v_add3_u32 v46, v49, v63, 0x7fff
	v_bfe_u32 v49, v7, 16, 1
	v_mul_f32_e32 v20, v3, v20
	v_cmp_u_f32_e32 vcc_lo, v63, v63
	v_bfe_u32 v63, v21, 16, 1
	v_mul_f32_e32 v62, v4, v62
	v_and_b32_e32 v48, 0xffff0000, v48
	v_bfe_u32 v52, v20, 16, 1
	v_cndmask_b32_e32 v46, v46, v47, vcc_lo
	v_add3_u32 v47, v49, v7, 0x7fff
	v_or_b32_e32 v49, 0x400000, v7
	v_cmp_u_f32_e32 vcc_lo, v7, v7
	v_and_b32_e32 v7, 0xffff0000, v50
	v_lshlrev_b32_e32 v50, 16, v61
	v_add3_u32 v63, v63, v21, 0x7fff
	v_or_b32_e32 v61, 0x400000, v21
	v_cndmask_b32_e32 v47, v47, v49, vcc_lo
	v_add3_u32 v49, v52, v20, 0x7fff
	v_or_b32_e32 v52, 0x400000, v20
	v_cmp_u_f32_e32 vcc_lo, v20, v20
	v_bfe_u32 v64, v62, 16, 1
	v_and_b32_e32 v47, 0xffff0000, v47
	v_and_b32_e32 v46, 0xffff0000, v46
	;; [unrolled: 1-line block ×3, first 2 shown]
	v_cndmask_b32_e32 v20, v49, v52, vcc_lo
	v_mul_f32_e32 v49, v7, v50
	v_cmp_u_f32_e32 vcc_lo, v21, v21
	v_add3_u32 v50, v64, v62, 0x7fff
	v_or_b32_e32 v52, 0x400000, v62
	v_add_f32_e32 v46, v47, v46
	v_lshlrev_b32_e32 v47, 16, v60
	v_cndmask_b32_e32 v21, v63, v61, vcc_lo
	v_bfe_u32 v61, v49, 16, 1
	v_cmp_u_f32_e32 vcc_lo, v62, v62
	v_add_f32_e32 v48, v48, v51
	v_and_b32_e32 v20, 0xffff0000, v20
	v_and_b32_e32 v21, 0xffff0000, v21
	v_lshlrev_b32_e32 v51, 16, v59
	v_cndmask_b32_e32 v50, v50, v52, vcc_lo
	v_add3_u32 v52, v61, v49, 0x7fff
	v_or_b32_e32 v61, 0x400000, v49
	v_cmp_u_f32_e32 vcc_lo, v49, v49
	v_mul_f32_e32 v47, v1, v47
	v_add_f32_e32 v46, v46, v48
	v_add_f32_e32 v20, v21, v20
	v_mul_f32_e32 v48, v5, v51
	v_cndmask_b32_e32 v49, v52, v61, vcc_lo
	v_bfe_u32 v51, v47, 16, 1
	v_cmp_u_f32_e32 vcc_lo, v47, v47
	v_add_f32_e32 v20, v20, v46
	v_bfe_u32 v46, v48, 16, 1
	v_and_b32_e32 v21, 0xffff0000, v49
	v_and_b32_e32 v49, 0xffff0000, v50
	v_lshlrev_b32_e32 v50, 16, v56
	v_or_b32_e32 v52, 0x400000, v48
	v_add3_u32 v46, v46, v48, 0x7fff
	v_mul_f32_e32 v45, v1, v45
	v_add_f32_e32 v21, v21, v49
	v_mul_f32_e32 v49, v2, v50
	v_add3_u32 v50, v51, v47, 0x7fff
	v_or_b32_e32 v51, 0x400000, v47
	v_lshlrev_b32_e32 v44, 16, v44
	v_lshlrev_b32_e32 v41, 16, v41
	v_bfe_u32 v56, v49, 16, 1
	v_lshlrev_b32_e32 v43, 16, v43
	v_cndmask_b32_e32 v47, v50, v51, vcc_lo
	v_cmp_u_f32_e32 vcc_lo, v48, v48
	v_mul_f32_e32 v48, v8, v58
	v_add3_u32 v50, v56, v49, 0x7fff
	v_or_b32_e32 v51, 0x400000, v49
	v_and_b32_e32 v47, 0xffff0000, v47
	v_cndmask_b32_e32 v46, v46, v52, vcc_lo
	v_lshlrev_b32_e32 v52, 16, v53
	v_cmp_u_f32_e32 vcc_lo, v49, v49
	v_lshlrev_b32_e32 v53, 16, v54
	v_bfe_u32 v54, v48, 16, 1
	v_and_b32_e32 v46, 0xffff0000, v46
	v_mul_f32_e32 v44, v5, v44
	v_cndmask_b32_e32 v49, v50, v51, vcc_lo
	v_mul_f32_e32 v50, v3, v52
	v_mul_f32_e32 v51, v6, v53
	v_add3_u32 v52, v54, v48, 0x7fff
	v_or_b32_e32 v53, 0x400000, v48
	v_lshlrev_b32_e32 v54, 16, v57
	v_bfe_u32 v56, v50, 16, 1
	v_cmp_u_f32_e32 vcc_lo, v48, v48
	v_bfe_u32 v57, v51, 16, 1
	v_and_b32_e32 v49, 0xffff0000, v49
	v_add_f32_e32 v46, v46, v47
	v_mul_f32_e32 v41, v2, v41
	v_cndmask_b32_e32 v48, v52, v53, vcc_lo
	v_mul_f32_e32 v52, v4, v54
	v_add3_u32 v53, v56, v50, 0x7fff
	v_or_b32_e32 v54, 0x400000, v50
	v_cmp_u_f32_e32 vcc_lo, v50, v50
	v_add3_u32 v56, v57, v51, 0x7fff
	v_or_b32_e32 v57, 0x400000, v51
	v_bfe_u32 v58, v52, 16, 1
	v_and_b32_e32 v48, 0xffff0000, v48
	v_cndmask_b32_e32 v50, v53, v54, vcc_lo
	v_lshlrev_b32_e32 v53, 16, v55
	v_cmp_u_f32_e32 vcc_lo, v51, v51
	v_add3_u32 v54, v58, v52, 0x7fff
	v_or_b32_e32 v55, 0x400000, v52
	v_add_f32_e32 v47, v48, v49
	v_mul_f32_e32 v53, v7, v53
	v_cndmask_b32_e32 v51, v56, v57, vcc_lo
	v_cmp_u_f32_e32 vcc_lo, v52, v52
	v_and_b32_e32 v49, 0xffff0000, v50
	v_add_f32_e32 v46, v47, v46
	v_lshlrev_b32_e32 v39, 16, v39
	v_and_b32_e32 v48, 0xffff0000, v51
	v_cndmask_b32_e32 v52, v54, v55, vcc_lo
	v_bfe_u32 v54, v53, 16, 1
	v_or_b32_e32 v51, 0x400000, v53
	v_cmp_u_f32_e32 vcc_lo, v53, v53
	v_add_f32_e32 v47, v48, v49
	v_bfe_u32 v49, v45, 16, 1
	v_add3_u32 v50, v54, v53, 0x7fff
	v_mul_f32_e32 v43, v8, v43
	v_mul_f32_e32 v39, v3, v39
	v_add_f32_e32 v46, v47, v46
	v_lshlrev_b32_e32 v38, 16, v38
	v_cndmask_b32_e32 v48, v50, v51, vcc_lo
	v_bfe_u32 v51, v44, 16, 1
	v_cmp_u_f32_e32 vcc_lo, v45, v45
	v_and_b32_e32 v50, 0xffff0000, v52
	v_or_b32_e32 v52, 0x400000, v41
	v_and_b32_e32 v47, 0xffff0000, v48
	v_add3_u32 v48, v49, v45, 0x7fff
	v_or_b32_e32 v49, 0x400000, v45
	v_lshlrev_b32_e32 v42, 16, v42
	v_mul_f32_e32 v38, v6, v38
	v_lshlrev_b32_e32 v40, 16, v40
	v_lshlrev_b32_e32 v17, 16, v17
	v_cndmask_b32_e32 v45, v48, v49, vcc_lo
	v_bfe_u32 v48, v41, 16, 1
	v_add3_u32 v49, v51, v44, 0x7fff
	v_or_b32_e32 v51, 0x400000, v44
	v_cmp_u_f32_e32 vcc_lo, v44, v44
	v_mul_f32_e32 v42, v4, v42
	v_add3_u32 v48, v48, v41, 0x7fff
	v_mul_f32_e32 v40, v7, v40
	v_and_b32_e32 v45, 0xffff0000, v45
	v_cndmask_b32_e32 v44, v49, v51, vcc_lo
	v_bfe_u32 v49, v43, 16, 1
	v_cmp_u_f32_e32 vcc_lo, v41, v41
	v_or_b32_e32 v51, 0x400000, v43
	v_mul_f32_e32 v2, v2, v17
	v_and_b32_e32 v44, 0xffff0000, v44
	v_add3_u32 v49, v49, v43, 0x7fff
	v_cndmask_b32_e32 v41, v48, v52, vcc_lo
	v_bfe_u32 v48, v39, 16, 1
	v_cmp_u_f32_e32 vcc_lo, v43, v43
	v_or_b32_e32 v52, 0x400000, v39
	v_add_f32_e32 v44, v44, v45
	v_and_b32_e32 v41, 0xffff0000, v41
	v_add3_u32 v48, v48, v39, 0x7fff
	v_cndmask_b32_e32 v43, v49, v51, vcc_lo
	v_bfe_u32 v49, v38, 16, 1
	v_cmp_u_f32_e32 vcc_lo, v39, v39
	v_bfe_u32 v51, v42, 16, 1
	v_lshlrev_b32_e32 v16, 16, v16
	v_and_b32_e32 v43, 0xffff0000, v43
	v_lshlrev_b32_e32 v10, 16, v10
	v_cndmask_b32_e32 v39, v48, v52, vcc_lo
	v_add3_u32 v48, v49, v38, 0x7fff
	v_or_b32_e32 v49, 0x400000, v38
	v_cmp_u_f32_e32 vcc_lo, v38, v38
	v_add3_u32 v51, v51, v42, 0x7fff
	v_or_b32_e32 v52, 0x400000, v42
	v_add_f32_e32 v41, v43, v41
	v_and_b32_e32 v39, 0xffff0000, v39
	v_cndmask_b32_e32 v38, v48, v49, vcc_lo
	v_cmp_u_f32_e32 vcc_lo, v42, v42
	v_bfe_u32 v48, v40, 16, 1
	v_lshlrev_b32_e32 v43, 16, v68
	v_or_b32_e32 v49, 0x400000, v40
	v_and_b32_e32 v38, 0xffff0000, v38
	v_cndmask_b32_e32 v42, v51, v52, vcc_lo
	v_lshlrev_b32_e32 v51, 16, v69
	v_add3_u32 v48, v48, v40, 0x7fff
	v_cmp_u_f32_e32 vcc_lo, v40, v40
	v_add_f32_e32 v41, v41, v44
	v_add_f32_e32 v38, v38, v39
	v_mul_f32_e32 v5, v5, v51
	v_mul_f32_e32 v1, v1, v43
	v_lshlrev_b32_e32 v39, 16, v67
	v_cndmask_b32_e32 v40, v48, v49, vcc_lo
	v_mul_f32_e32 v6, v6, v16
	v_bfe_u32 v44, v5, 16, 1
	v_bfe_u32 v45, v1, 16, 1
	v_mul_f32_e32 v8, v8, v39
	v_cmp_u_f32_e32 vcc_lo, v5, v5
	v_mul_f32_e32 v3, v3, v10
	v_add3_u32 v43, v44, v5, 0x7fff
	v_or_b32_e32 v44, 0x400000, v5
	v_add3_u32 v39, v45, v1, 0x7fff
	v_lshlrev_b32_e32 v10, 16, v19
	v_lshlrev_b32_e32 v18, 16, v18
	v_and_b32_e32 v40, 0xffff0000, v40
	v_cndmask_b32_e32 v5, v43, v44, vcc_lo
	v_or_b32_e32 v43, 0x400000, v1
	v_bfe_u32 v44, v8, 16, 1
	v_cmp_u_f32_e32 vcc_lo, v1, v1
	v_mul_f32_e32 v7, v7, v10
	v_mul_f32_e32 v4, v4, v18
	v_or_b32_e32 v10, 0x400000, v6
	v_add3_u32 v17, v44, v8, 0x7fff
	v_cndmask_b32_e32 v1, v39, v43, vcc_lo
	v_or_b32_e32 v39, 0x400000, v8
	v_bfe_u32 v43, v2, 16, 1
	v_cmp_u_f32_e32 vcc_lo, v8, v8
	v_or_b32_e32 v18, 0x400000, v3
	v_bfe_u32 v19, v7, 16, 1
	v_and_b32_e32 v1, 0xffff0000, v1
	v_add3_u32 v16, v43, v2, 0x7fff
	v_cndmask_b32_e32 v8, v17, v39, vcc_lo
	v_or_b32_e32 v17, 0x400000, v2
	v_bfe_u32 v39, v6, 16, 1
	v_cmp_u_f32_e32 vcc_lo, v2, v2
	v_and_b32_e32 v5, 0xffff0000, v5
	v_and_b32_e32 v8, 0xffff0000, v8
	v_add_nc_u32_e32 v9, 4, v9
	v_add_co_u32 v14, s0, v14, 16
	v_cndmask_b32_e32 v2, v16, v17, vcc_lo
	v_bfe_u32 v16, v3, 16, 1
	v_add3_u32 v17, v39, v6, 0x7fff
	v_cmp_u_f32_e32 vcc_lo, v6, v6
	v_bfe_u32 v39, v4, 16, 1
	v_and_b32_e32 v2, 0xffff0000, v2
	v_add3_u32 v16, v16, v3, 0x7fff
	v_add_f32_e32 v1, v5, v1
	v_cndmask_b32_e32 v6, v17, v10, vcc_lo
	v_cmp_u_f32_e32 vcc_lo, v3, v3
	v_or_b32_e32 v17, 0x400000, v4
	v_add3_u32 v10, v19, v7, 0x7fff
	v_add_f32_e32 v2, v8, v2
	v_and_b32_e32 v5, 0xffff0000, v6
	v_cndmask_b32_e32 v3, v16, v18, vcc_lo
	v_add3_u32 v16, v39, v4, 0x7fff
	v_cmp_u_f32_e32 vcc_lo, v4, v4
	v_or_b32_e32 v18, 0x400000, v7
	v_add_f32_e32 v1, v2, v1
	v_and_b32_e32 v3, 0xffff0000, v3
	v_add_nc_u32_e32 v31, 64, v31
	v_cndmask_b32_e32 v4, v16, v17, vcc_lo
	v_cmp_u_f32_e32 vcc_lo, v7, v7
	v_and_b32_e32 v7, 0xffff0000, v42
	v_add_f32_e32 v2, v5, v3
	v_add_f32_e32 v5, v47, v50
	v_and_b32_e32 v3, 0xffff0000, v4
	v_cndmask_b32_e32 v6, v10, v18, vcc_lo
	v_add_f32_e32 v7, v40, v7
	v_add_f32_e32 v1, v2, v1
	v_cmp_le_i32_e32 vcc_lo, s11, v9
	v_add_nc_u32_e32 v32, 0x100, v32
	v_and_b32_e32 v4, 0xffff0000, v6
	v_add_f32_e32 v6, v38, v41
	v_add_co_ci_u32_e64 v15, null, 0, v15, s0
	s_or_b32 s12, vcc_lo, s12
	v_add_f32_e32 v2, v4, v3
	v_add_f32_e32 v3, v21, v20
	;; [unrolled: 1-line block ×9, first 2 shown]
	s_andn2_b32 exec_lo, exec_lo, s12
	s_cbranch_execz .LBB361_537
.LBB361_289:                            ; =>This Inner Loop Header: Depth=1
	global_load_dword v1, v[14:15], off
	v_mov_b32_e32 v40, 0
	s_waitcnt vmcnt(0)
	v_mad_i64_i32 v[16:17], null, v1, s3, v[12:13]
	global_load_dwordx2 v[18:19], v[16:17], off
	ds_read2_b64 v[5:8], v32 offset1:1
	ds_read2_b64 v[1:4], v32 offset0:2 offset1:3
	s_waitcnt vmcnt(0)
	v_cmp_ne_u16_sdwa s13, v18, v11 src0_sel:BYTE_0 src1_sel:DWORD
	s_and_saveexec_b32 s0, s13
	s_cbranch_execz .LBB361_295
; %bb.290:                              ;   in Loop: Header=BB361_289 Depth=1
	v_cmp_ne_u16_sdwa s14, v18, v33 src0_sel:BYTE_0 src1_sel:DWORD
	v_bfrev_b32_e32 v40, 1
	s_and_saveexec_b32 s13, s14
	s_cbranch_execz .LBB361_294
; %bb.291:                              ;   in Loop: Header=BB361_289 Depth=1
	v_and_b32_e32 v10, 0x7f, v18
	v_mov_b32_e32 v40, 0x7f800001
	s_mov_b32 s14, exec_lo
	v_cmpx_ne_u32_e32 0x7f, v10
	s_cbranch_execz .LBB361_293
; %bb.292:                              ;   in Loop: Header=BB361_289 Depth=1
	v_and_b32_e32 v20, 7, v18
	v_lshrrev_b32_e32 v21, 3, v10
	v_cmp_gt_u32_e32 vcc_lo, 8, v10
	v_ffbh_u32_e32 v20, v20
	v_min_u32_e32 v20, 32, v20
	v_subrev_nc_u32_e32 v38, 28, v20
	v_sub_nc_u32_e32 v20, 29, v20
	v_cndmask_b32_e32 v10, v21, v20, vcc_lo
	v_cndmask_b32_e32 v20, 0, v38, vcc_lo
	v_lshl_add_u32 v10, v10, 23, 0x3c000000
	v_lshlrev_b64 v[20:21], v20, v[18:19]
	v_lshlrev_b32_e32 v21, 24, v18
	v_lshlrev_b32_e32 v20, 20, v20
	v_and_b32_e32 v21, 0x80000000, v21
	v_and_b32_e32 v20, 0x700000, v20
	v_or3_b32 v40, v20, v21, v10
.LBB361_293:                            ;   in Loop: Header=BB361_289 Depth=1
	s_or_b32 exec_lo, exec_lo, s14
.LBB361_294:                            ;   in Loop: Header=BB361_289 Depth=1
	s_or_b32 exec_lo, exec_lo, s13
.LBB361_295:                            ;   in Loop: Header=BB361_289 Depth=1
	s_or_b32 exec_lo, exec_lo, s0
	v_cmp_ne_u16_sdwa s13, v18, v11 src0_sel:BYTE_1 src1_sel:DWORD
	v_mov_b32_e32 v39, 0
	v_mov_b32_e32 v38, 0
	s_and_saveexec_b32 s0, s13
	s_cbranch_execz .LBB361_303
; %bb.296:                              ;   in Loop: Header=BB361_289 Depth=1
	v_cmp_ne_u16_sdwa s14, v18, v33 src0_sel:BYTE_1 src1_sel:DWORD
	v_bfrev_b32_e32 v38, 1
	s_and_saveexec_b32 s13, s14
	s_cbranch_execz .LBB361_302
; %bb.297:                              ;   in Loop: Header=BB361_289 Depth=1
	v_and_b32_sdwa v10, v34, v18 dst_sel:DWORD dst_unused:UNUSED_PAD src0_sel:DWORD src1_sel:BYTE_1
	v_mov_b32_e32 v38, 0x7f800001
	s_mov_b32 s14, exec_lo
	v_and_b32_e32 v21, 0x7f, v10
	v_cmpx_ne_u32_e32 0x7f, v21
	s_cbranch_execz .LBB361_301
; %bb.298:                              ;   in Loop: Header=BB361_289 Depth=1
	v_and_b32_e32 v10, 7, v10
	v_lshrrev_b32_e32 v20, 3, v21
	s_mov_b32 s15, exec_lo
	v_cmpx_gt_u32_e32 8, v21
; %bb.299:                              ;   in Loop: Header=BB361_289 Depth=1
	v_ffbh_u32_e32 v20, v10
	v_min_u32_e32 v20, 32, v20
	v_subrev_nc_u32_e32 v21, 28, v20
	v_sub_nc_u32_e32 v20, 29, v20
	v_lshlrev_b64 v[41:42], v21, v[10:11]
	v_and_b32_e32 v10, 7, v41
; %bb.300:                              ;   in Loop: Header=BB361_289 Depth=1
	s_or_b32 exec_lo, exec_lo, s15
	v_lshlrev_b32_e32 v21, 16, v18
	v_lshlrev_b32_e32 v10, 20, v10
	v_lshl_add_u32 v20, v20, 23, 0x3c000000
	v_and_b32_e32 v21, 0x80000000, v21
	v_or3_b32 v38, v10, v21, v20
.LBB361_301:                            ;   in Loop: Header=BB361_289 Depth=1
	s_or_b32 exec_lo, exec_lo, s14
.LBB361_302:                            ;   in Loop: Header=BB361_289 Depth=1
	s_or_b32 exec_lo, exec_lo, s13
.LBB361_303:                            ;   in Loop: Header=BB361_289 Depth=1
	s_or_b32 exec_lo, exec_lo, s0
	v_and_b32_sdwa v10, v18, v35 dst_sel:DWORD dst_unused:UNUSED_PAD src0_sel:WORD_1 src1_sel:DWORD
	s_mov_b32 s0, exec_lo
	v_cmpx_ne_u16_e32 0, v10
	s_cbranch_execz .LBB361_311
; %bb.304:                              ;   in Loop: Header=BB361_289 Depth=1
	v_bfrev_b32_e32 v39, 1
	s_mov_b32 s13, exec_lo
	v_cmpx_ne_u16_e32 0x80, v10
	s_cbranch_execz .LBB361_310
; %bb.305:                              ;   in Loop: Header=BB361_289 Depth=1
	v_bfe_u32 v21, v18, 16, 7
	v_mov_b32_e32 v39, 0x7f800001
	s_mov_b32 s14, exec_lo
	v_cmpx_ne_u32_e32 0x7f, v21
	s_cbranch_execz .LBB361_309
; %bb.306:                              ;   in Loop: Header=BB361_289 Depth=1
	v_and_b32_sdwa v10, v18, v36 dst_sel:DWORD dst_unused:UNUSED_PAD src0_sel:WORD_1 src1_sel:DWORD
	v_lshrrev_b32_e32 v20, 3, v21
	s_mov_b32 s15, exec_lo
	v_cmpx_gt_u32_e32 8, v21
; %bb.307:                              ;   in Loop: Header=BB361_289 Depth=1
	v_ffbh_u32_e32 v20, v10
	v_min_u32_e32 v20, 32, v20
	v_subrev_nc_u32_e32 v21, 28, v20
	v_sub_nc_u32_e32 v20, 29, v20
	v_lshlrev_b64 v[41:42], v21, v[10:11]
	v_and_b32_e32 v10, 7, v41
; %bb.308:                              ;   in Loop: Header=BB361_289 Depth=1
	s_or_b32 exec_lo, exec_lo, s15
	v_lshlrev_b32_sdwa v21, v37, v18 dst_sel:DWORD dst_unused:UNUSED_PAD src0_sel:DWORD src1_sel:WORD_1
	v_lshlrev_b32_e32 v10, 20, v10
	v_lshl_add_u32 v20, v20, 23, 0x3c000000
	v_and_b32_e32 v21, 0x80000000, v21
	v_or3_b32 v39, v10, v21, v20
.LBB361_309:                            ;   in Loop: Header=BB361_289 Depth=1
	s_or_b32 exec_lo, exec_lo, s14
.LBB361_310:                            ;   in Loop: Header=BB361_289 Depth=1
	s_or_b32 exec_lo, exec_lo, s13
.LBB361_311:                            ;   in Loop: Header=BB361_289 Depth=1
	s_or_b32 exec_lo, exec_lo, s0
	v_mov_b32_e32 v41, 0
	v_mov_b32_e32 v42, 0
	s_mov_b32 s0, exec_lo
	v_cmpx_lt_u32_e32 0xffffff, v18
	s_cbranch_execz .LBB361_319
; %bb.312:                              ;   in Loop: Header=BB361_289 Depth=1
	v_cmp_ne_u32_sdwa s14, v18, v33 src0_sel:BYTE_3 src1_sel:DWORD
	v_bfrev_b32_e32 v42, 1
	s_and_saveexec_b32 s13, s14
	s_cbranch_execz .LBB361_318
; %bb.313:                              ;   in Loop: Header=BB361_289 Depth=1
	v_bfe_u32 v21, v18, 24, 7
	v_mov_b32_e32 v42, 0x7f800001
	s_mov_b32 s14, exec_lo
	v_cmpx_ne_u32_e32 0x7f, v21
	s_cbranch_execz .LBB361_317
; %bb.314:                              ;   in Loop: Header=BB361_289 Depth=1
	v_and_b32_sdwa v10, v18, v36 dst_sel:DWORD dst_unused:UNUSED_PAD src0_sel:BYTE_3 src1_sel:DWORD
	v_lshrrev_b32_e32 v20, 3, v21
	s_mov_b32 s15, exec_lo
	v_cmpx_gt_u32_e32 8, v21
; %bb.315:                              ;   in Loop: Header=BB361_289 Depth=1
	v_ffbh_u32_e32 v20, v10
	v_min_u32_e32 v20, 32, v20
	v_subrev_nc_u32_e32 v21, 28, v20
	v_sub_nc_u32_e32 v20, 29, v20
	v_lshlrev_b64 v[42:43], v21, v[10:11]
	v_and_b32_e32 v10, 7, v42
; %bb.316:                              ;   in Loop: Header=BB361_289 Depth=1
	s_or_b32 exec_lo, exec_lo, s15
	v_lshlrev_b32_sdwa v21, v37, v18 dst_sel:DWORD dst_unused:UNUSED_PAD src0_sel:DWORD src1_sel:BYTE_3
	v_lshlrev_b32_e32 v10, 20, v10
	v_lshl_add_u32 v20, v20, 23, 0x3c000000
	v_and_b32_e32 v21, 0x80000000, v21
	v_or3_b32 v42, v10, v21, v20
.LBB361_317:                            ;   in Loop: Header=BB361_289 Depth=1
	s_or_b32 exec_lo, exec_lo, s14
.LBB361_318:                            ;   in Loop: Header=BB361_289 Depth=1
	s_or_b32 exec_lo, exec_lo, s13
.LBB361_319:                            ;   in Loop: Header=BB361_289 Depth=1
	s_or_b32 exec_lo, exec_lo, s0
	v_mov_b32_e32 v10, v19
	v_cmp_ne_u16_sdwa s13, v19, v11 src0_sel:BYTE_0 src1_sel:DWORD
	s_and_saveexec_b32 s0, s13
	s_cbranch_execz .LBB361_325
; %bb.320:                              ;   in Loop: Header=BB361_289 Depth=1
	v_cmp_ne_u16_sdwa s14, v19, v33 src0_sel:BYTE_0 src1_sel:DWORD
	v_bfrev_b32_e32 v41, 1
	s_and_saveexec_b32 s13, s14
	s_cbranch_execz .LBB361_324
; %bb.321:                              ;   in Loop: Header=BB361_289 Depth=1
	v_and_b32_e32 v20, 0x7f, v19
	v_mov_b32_e32 v41, 0x7f800001
	s_mov_b32 s14, exec_lo
	v_cmpx_ne_u32_e32 0x7f, v20
	s_cbranch_execz .LBB361_323
; %bb.322:                              ;   in Loop: Header=BB361_289 Depth=1
	v_and_b32_e32 v21, 7, v19
	v_cmp_gt_u32_e32 vcc_lo, 8, v20
	v_lshrrev_b32_e32 v41, 3, v20
	v_ffbh_u32_e32 v21, v21
	v_min_u32_e32 v21, 32, v21
	v_subrev_nc_u32_e32 v43, 28, v21
	v_sub_nc_u32_e32 v21, 29, v21
	v_cndmask_b32_e32 v20, 0, v43, vcc_lo
	v_cndmask_b32_e32 v41, v41, v21, vcc_lo
	v_lshlrev_b64 v[20:21], v20, v[10:11]
	v_lshlrev_b32_e32 v21, 24, v10
	v_lshl_add_u32 v41, v41, 23, 0x3c000000
	v_lshlrev_b32_e32 v20, 20, v20
	v_and_b32_e32 v21, 0x80000000, v21
	v_and_b32_e32 v20, 0x700000, v20
	v_or3_b32 v41, v20, v21, v41
.LBB361_323:                            ;   in Loop: Header=BB361_289 Depth=1
	s_or_b32 exec_lo, exec_lo, s14
.LBB361_324:                            ;   in Loop: Header=BB361_289 Depth=1
	s_or_b32 exec_lo, exec_lo, s13
.LBB361_325:                            ;   in Loop: Header=BB361_289 Depth=1
	s_or_b32 exec_lo, exec_lo, s0
	v_cmp_ne_u16_sdwa s13, v10, v11 src0_sel:BYTE_1 src1_sel:DWORD
	v_mov_b32_e32 v43, 0
	v_mov_b32_e32 v20, 0
	s_and_saveexec_b32 s0, s13
	s_cbranch_execz .LBB361_333
; %bb.326:                              ;   in Loop: Header=BB361_289 Depth=1
	v_cmp_ne_u16_sdwa s14, v10, v33 src0_sel:BYTE_1 src1_sel:DWORD
	v_bfrev_b32_e32 v20, 1
	s_and_saveexec_b32 s13, s14
	s_cbranch_execz .LBB361_332
; %bb.327:                              ;   in Loop: Header=BB361_289 Depth=1
	v_and_b32_sdwa v21, v34, v10 dst_sel:DWORD dst_unused:UNUSED_PAD src0_sel:DWORD src1_sel:BYTE_1
	v_mov_b32_e32 v20, 0x7f800001
	s_mov_b32 s14, exec_lo
	v_and_b32_e32 v45, 0x7f, v21
	v_cmpx_ne_u32_e32 0x7f, v45
	s_cbranch_execz .LBB361_331
; %bb.328:                              ;   in Loop: Header=BB361_289 Depth=1
	v_and_b32_e32 v20, 7, v21
	v_mov_b32_e32 v21, v11
	v_lshrrev_b32_e32 v44, 3, v45
	s_mov_b32 s15, exec_lo
	v_cmpx_gt_u32_e32 8, v45
; %bb.329:                              ;   in Loop: Header=BB361_289 Depth=1
	v_ffbh_u32_e32 v44, v20
	v_min_u32_e32 v44, 32, v44
	v_subrev_nc_u32_e32 v45, 28, v44
	v_sub_nc_u32_e32 v44, 29, v44
	v_lshlrev_b64 v[20:21], v45, v[20:21]
	v_and_b32_e32 v20, 7, v20
; %bb.330:                              ;   in Loop: Header=BB361_289 Depth=1
	s_or_b32 exec_lo, exec_lo, s15
	v_lshlrev_b32_e32 v10, 16, v10
	v_lshlrev_b32_e32 v20, 20, v20
	v_lshl_add_u32 v21, v44, 23, 0x3c000000
	v_and_b32_e32 v10, 0x80000000, v10
	v_or3_b32 v20, v20, v10, v21
.LBB361_331:                            ;   in Loop: Header=BB361_289 Depth=1
	s_or_b32 exec_lo, exec_lo, s14
.LBB361_332:                            ;   in Loop: Header=BB361_289 Depth=1
	s_or_b32 exec_lo, exec_lo, s13
.LBB361_333:                            ;   in Loop: Header=BB361_289 Depth=1
	s_or_b32 exec_lo, exec_lo, s0
	v_and_b32_sdwa v10, v19, v35 dst_sel:DWORD dst_unused:UNUSED_PAD src0_sel:WORD_1 src1_sel:DWORD
	s_mov_b32 s0, exec_lo
	v_cmpx_ne_u16_e32 0, v10
	s_cbranch_execz .LBB361_341
; %bb.334:                              ;   in Loop: Header=BB361_289 Depth=1
	v_bfrev_b32_e32 v43, 1
	s_mov_b32 s13, exec_lo
	v_cmpx_ne_u16_e32 0x80, v10
	s_cbranch_execz .LBB361_340
; %bb.335:                              ;   in Loop: Header=BB361_289 Depth=1
	v_bfe_u32 v44, v19, 16, 7
	v_mov_b32_e32 v43, 0x7f800001
	s_mov_b32 s14, exec_lo
	v_cmpx_ne_u32_e32 0x7f, v44
	s_cbranch_execz .LBB361_339
; %bb.336:                              ;   in Loop: Header=BB361_289 Depth=1
	v_and_b32_sdwa v10, v19, v36 dst_sel:DWORD dst_unused:UNUSED_PAD src0_sel:WORD_1 src1_sel:DWORD
	v_lshrrev_b32_e32 v21, 3, v44
	s_mov_b32 s15, exec_lo
	v_cmpx_gt_u32_e32 8, v44
; %bb.337:                              ;   in Loop: Header=BB361_289 Depth=1
	v_ffbh_u32_e32 v21, v10
	v_min_u32_e32 v21, 32, v21
	v_subrev_nc_u32_e32 v43, 28, v21
	v_sub_nc_u32_e32 v21, 29, v21
	v_lshlrev_b64 v[43:44], v43, v[10:11]
	v_and_b32_e32 v10, 7, v43
; %bb.338:                              ;   in Loop: Header=BB361_289 Depth=1
	s_or_b32 exec_lo, exec_lo, s15
	v_lshlrev_b32_sdwa v43, v37, v19 dst_sel:DWORD dst_unused:UNUSED_PAD src0_sel:DWORD src1_sel:WORD_1
	v_lshlrev_b32_e32 v10, 20, v10
	v_lshl_add_u32 v21, v21, 23, 0x3c000000
	v_and_b32_e32 v43, 0x80000000, v43
	v_or3_b32 v43, v10, v43, v21
.LBB361_339:                            ;   in Loop: Header=BB361_289 Depth=1
	s_or_b32 exec_lo, exec_lo, s14
.LBB361_340:                            ;   in Loop: Header=BB361_289 Depth=1
	s_or_b32 exec_lo, exec_lo, s13
.LBB361_341:                            ;   in Loop: Header=BB361_289 Depth=1
	s_or_b32 exec_lo, exec_lo, s0
	v_mov_b32_e32 v10, 0
	s_mov_b32 s0, exec_lo
	v_cmpx_lt_u64_e64 s[4:5], v[18:19]
	s_cbranch_execz .LBB361_349
; %bb.342:                              ;   in Loop: Header=BB361_289 Depth=1
	v_cmp_ne_u32_sdwa s14, v19, v33 src0_sel:BYTE_3 src1_sel:DWORD
	v_bfrev_b32_e32 v10, 1
	s_and_saveexec_b32 s13, s14
	s_cbranch_execz .LBB361_348
; %bb.343:                              ;   in Loop: Header=BB361_289 Depth=1
	v_bfe_u32 v21, v19, 24, 7
	v_mov_b32_e32 v10, 0x7f800001
	s_mov_b32 s14, exec_lo
	v_cmpx_ne_u32_e32 0x7f, v21
	s_cbranch_execz .LBB361_347
; %bb.344:                              ;   in Loop: Header=BB361_289 Depth=1
	v_and_b32_sdwa v10, v19, v36 dst_sel:DWORD dst_unused:UNUSED_PAD src0_sel:BYTE_3 src1_sel:DWORD
	v_lshrrev_b32_e32 v18, 3, v21
	s_mov_b32 s15, exec_lo
	v_cmpx_gt_u32_e32 8, v21
; %bb.345:                              ;   in Loop: Header=BB361_289 Depth=1
	v_ffbh_u32_e32 v18, v10
	v_min_u32_e32 v18, 32, v18
	v_subrev_nc_u32_e32 v21, 28, v18
	v_sub_nc_u32_e32 v18, 29, v18
	v_lshlrev_b64 v[44:45], v21, v[10:11]
	v_and_b32_e32 v10, 7, v44
; %bb.346:                              ;   in Loop: Header=BB361_289 Depth=1
	s_or_b32 exec_lo, exec_lo, s15
	v_lshlrev_b32_sdwa v19, v37, v19 dst_sel:DWORD dst_unused:UNUSED_PAD src0_sel:DWORD src1_sel:BYTE_3
	v_lshlrev_b32_e32 v10, 20, v10
	v_lshl_add_u32 v18, v18, 23, 0x3c000000
	v_and_b32_e32 v19, 0x80000000, v19
	v_or3_b32 v10, v10, v19, v18
.LBB361_347:                            ;   in Loop: Header=BB361_289 Depth=1
	s_or_b32 exec_lo, exec_lo, s14
.LBB361_348:                            ;   in Loop: Header=BB361_289 Depth=1
	s_or_b32 exec_lo, exec_lo, s13
.LBB361_349:                            ;   in Loop: Header=BB361_289 Depth=1
	s_or_b32 exec_lo, exec_lo, s0
	s_waitcnt lgkmcnt(0)
	v_mul_f32_e32 v18, s6, v20
	v_mul_f32_e32 v19, s6, v41
	v_mul_f32_e32 v20, s6, v42
	v_mul_f32_e32 v42, s6, v39
	v_mul_f32_e32 v10, s6, v10
	v_bfe_u32 v21, v18, 16, 1
	v_or_b32_e32 v39, 0x400000, v18
	v_bfe_u32 v41, v19, 16, 1
	v_cmp_u_f32_e64 s0, v18, v18
	v_or_b32_e32 v44, 0x400000, v19
	v_add3_u32 v21, v21, v18, 0x7fff
	v_bfe_u32 v45, v20, 16, 1
	v_add3_u32 v41, v41, v19, 0x7fff
	v_or_b32_e32 v47, 0x400000, v20
	v_add_nc_u32_e32 v46, -7, v31
	v_cndmask_b32_e64 v18, v21, v39, s0
	v_cmp_u_f32_e64 s0, v19, v19
	v_bfe_u32 v21, v42, 16, 1
	v_add3_u32 v45, v45, v20, 0x7fff
	v_cmp_eq_u32_e32 vcc_lo, s9, v9
	v_lshrrev_b32_e32 v39, 16, v18
	v_cndmask_b32_e64 v19, v41, v44, s0
	v_cmp_u_f32_e64 s0, v20, v20
	v_mul_f32_e32 v20, s6, v38
	v_add3_u32 v21, v21, v42, 0x7fff
	v_or_b32_e32 v44, 0x400000, v42
	v_lshrrev_b32_e32 v38, 16, v19
	v_cndmask_b32_e64 v18, v45, v47, s0
	v_cmp_u_f32_e64 s0, v42, v42
	v_or_b32_e32 v42, 0x400000, v20
	v_or_b32_e32 v47, 0x400000, v10
	v_add_nc_u32_e32 v52, -6, v31
	v_lshrrev_b32_e32 v41, 16, v18
	v_bfe_u32 v18, v20, 16, 1
	v_cndmask_b32_e64 v19, v21, v44, s0
	v_mul_f32_e32 v21, s6, v40
	v_mul_f32_e32 v40, s6, v43
	v_cmp_u_f32_e64 s0, v20, v20
	v_add3_u32 v18, v18, v20, 0x7fff
	v_bfe_u32 v20, v10, 16, 1
	v_bfe_u32 v43, v21, 16, 1
	;; [unrolled: 1-line block ×3, first 2 shown]
	v_or_b32_e32 v45, 0x400000, v40
	v_cndmask_b32_e64 v18, v18, v42, s0
	v_cmp_u_f32_e64 s0, v21, v21
	v_add3_u32 v42, v43, v21, 0x7fff
	v_or_b32_e32 v43, 0x400000, v21
	v_add3_u32 v44, v44, v40, 0x7fff
	v_add3_u32 v20, v20, v10, 0x7fff
	v_add_nc_u32_e32 v51, -5, v31
	v_add_nc_u32_e32 v50, -4, v31
	v_cndmask_b32_e64 v21, v42, v43, s0
	v_cmp_u_f32_e64 s0, v40, v40
	v_lshrrev_b32_e32 v43, 16, v19
	v_add_nc_u32_e32 v49, -3, v31
	v_add_nc_u32_e32 v48, -2, v31
	v_cndmask_b32_e64 v40, v44, v45, s0
	v_cmp_u_f32_e64 s0, v10, v10
	v_lshrrev_b32_e32 v45, 16, v18
	v_lshrrev_b32_e32 v44, 16, v21
	;; [unrolled: 1-line block ×3, first 2 shown]
	v_cndmask_b32_e64 v10, v20, v47, s0
	v_add_nc_u32_e32 v47, -1, v31
	v_lshrrev_b32_e32 v42, 16, v10
	s_and_saveexec_b32 s13, vcc_lo
	s_cbranch_execz .LBB361_351
; %bb.350:                              ;   in Loop: Header=BB361_289 Depth=1
	v_cmp_gt_i32_e64 s0, s27, v46
	v_cndmask_b32_e64 v44, 0, v44, s0
	v_cmp_gt_i32_e64 s0, s27, v52
	v_cndmask_b32_e64 v45, 0, v45, s0
	;; [unrolled: 2-line block ×8, first 2 shown]
.LBB361_351:                            ;   in Loop: Header=BB361_289 Depth=1
	s_or_b32 exec_lo, exec_lo, s13
	global_load_dwordx2 v[18:19], v[16:17], off offset:256
	v_mov_b32_e32 v54, 0
	v_mov_b32_e32 v55, 0
	s_waitcnt vmcnt(0)
	v_cmp_ne_u16_sdwa s0, v18, v11 src0_sel:BYTE_0 src1_sel:DWORD
	s_and_saveexec_b32 s13, s0
	s_cbranch_execz .LBB361_357
; %bb.352:                              ;   in Loop: Header=BB361_289 Depth=1
	v_cmp_ne_u16_sdwa s0, v18, v33 src0_sel:BYTE_0 src1_sel:DWORD
	v_bfrev_b32_e32 v55, 1
	s_and_saveexec_b32 s14, s0
	s_cbranch_execz .LBB361_356
; %bb.353:                              ;   in Loop: Header=BB361_289 Depth=1
	v_and_b32_e32 v10, 0x7f, v18
	v_mov_b32_e32 v55, 0x7f800001
	s_mov_b32 s15, exec_lo
	v_cmpx_ne_u32_e32 0x7f, v10
	s_cbranch_execz .LBB361_355
; %bb.354:                              ;   in Loop: Header=BB361_289 Depth=1
	v_and_b32_e32 v20, 7, v18
	v_lshrrev_b32_e32 v21, 3, v10
	v_cmp_gt_u32_e64 s0, 8, v10
	v_ffbh_u32_e32 v20, v20
	v_min_u32_e32 v20, 32, v20
	v_subrev_nc_u32_e32 v53, 28, v20
	v_sub_nc_u32_e32 v20, 29, v20
	v_cndmask_b32_e64 v10, v21, v20, s0
	v_cndmask_b32_e64 v20, 0, v53, s0
	v_lshl_add_u32 v10, v10, 23, 0x3c000000
	v_lshlrev_b64 v[20:21], v20, v[18:19]
	v_lshlrev_b32_e32 v21, 24, v18
	v_lshlrev_b32_e32 v20, 20, v20
	v_and_b32_e32 v21, 0x80000000, v21
	v_and_b32_e32 v20, 0x700000, v20
	v_or3_b32 v55, v20, v21, v10
.LBB361_355:                            ;   in Loop: Header=BB361_289 Depth=1
	s_or_b32 exec_lo, exec_lo, s15
.LBB361_356:                            ;   in Loop: Header=BB361_289 Depth=1
	s_or_b32 exec_lo, exec_lo, s14
.LBB361_357:                            ;   in Loop: Header=BB361_289 Depth=1
	s_or_b32 exec_lo, exec_lo, s13
	v_cmp_ne_u16_sdwa s0, v18, v11 src0_sel:BYTE_1 src1_sel:DWORD
	s_and_saveexec_b32 s13, s0
	s_cbranch_execz .LBB361_365
; %bb.358:                              ;   in Loop: Header=BB361_289 Depth=1
	v_cmp_ne_u16_sdwa s0, v18, v33 src0_sel:BYTE_1 src1_sel:DWORD
	v_bfrev_b32_e32 v54, 1
	s_and_saveexec_b32 s14, s0
	s_cbranch_execz .LBB361_364
; %bb.359:                              ;   in Loop: Header=BB361_289 Depth=1
	v_and_b32_sdwa v10, v34, v18 dst_sel:DWORD dst_unused:UNUSED_PAD src0_sel:DWORD src1_sel:BYTE_1
	v_mov_b32_e32 v54, 0x7f800001
	s_mov_b32 s15, exec_lo
	v_and_b32_e32 v21, 0x7f, v10
	v_cmpx_ne_u32_e32 0x7f, v21
	s_cbranch_execz .LBB361_363
; %bb.360:                              ;   in Loop: Header=BB361_289 Depth=1
	v_and_b32_e32 v10, 7, v10
	v_lshrrev_b32_e32 v20, 3, v21
	s_mov_b32 s16, exec_lo
	v_cmpx_gt_u32_e32 8, v21
; %bb.361:                              ;   in Loop: Header=BB361_289 Depth=1
	v_ffbh_u32_e32 v20, v10
	v_min_u32_e32 v20, 32, v20
	v_subrev_nc_u32_e32 v21, 28, v20
	v_sub_nc_u32_e32 v20, 29, v20
	v_lshlrev_b64 v[53:54], v21, v[10:11]
	v_and_b32_e32 v10, 7, v53
; %bb.362:                              ;   in Loop: Header=BB361_289 Depth=1
	s_or_b32 exec_lo, exec_lo, s16
	v_lshlrev_b32_e32 v21, 16, v18
	v_lshlrev_b32_e32 v10, 20, v10
	v_lshl_add_u32 v20, v20, 23, 0x3c000000
	v_and_b32_e32 v21, 0x80000000, v21
	v_or3_b32 v54, v10, v21, v20
.LBB361_363:                            ;   in Loop: Header=BB361_289 Depth=1
	s_or_b32 exec_lo, exec_lo, s15
.LBB361_364:                            ;   in Loop: Header=BB361_289 Depth=1
	s_or_b32 exec_lo, exec_lo, s14
.LBB361_365:                            ;   in Loop: Header=BB361_289 Depth=1
	s_or_b32 exec_lo, exec_lo, s13
	v_and_b32_sdwa v10, v18, v35 dst_sel:DWORD dst_unused:UNUSED_PAD src0_sel:WORD_1 src1_sel:DWORD
	v_mov_b32_e32 v56, 0
	v_mov_b32_e32 v53, 0
	s_mov_b32 s13, exec_lo
	v_cmpx_ne_u16_e32 0, v10
	s_cbranch_execz .LBB361_373
; %bb.366:                              ;   in Loop: Header=BB361_289 Depth=1
	v_bfrev_b32_e32 v53, 1
	s_mov_b32 s14, exec_lo
	v_cmpx_ne_u16_e32 0x80, v10
	s_cbranch_execz .LBB361_372
; %bb.367:                              ;   in Loop: Header=BB361_289 Depth=1
	v_bfe_u32 v21, v18, 16, 7
	v_mov_b32_e32 v53, 0x7f800001
	s_mov_b32 s15, exec_lo
	v_cmpx_ne_u32_e32 0x7f, v21
	s_cbranch_execz .LBB361_371
; %bb.368:                              ;   in Loop: Header=BB361_289 Depth=1
	v_and_b32_sdwa v10, v18, v36 dst_sel:DWORD dst_unused:UNUSED_PAD src0_sel:WORD_1 src1_sel:DWORD
	v_lshrrev_b32_e32 v20, 3, v21
	s_mov_b32 s16, exec_lo
	v_cmpx_gt_u32_e32 8, v21
; %bb.369:                              ;   in Loop: Header=BB361_289 Depth=1
	v_ffbh_u32_e32 v20, v10
	v_min_u32_e32 v20, 32, v20
	v_subrev_nc_u32_e32 v21, 28, v20
	v_sub_nc_u32_e32 v20, 29, v20
	v_lshlrev_b64 v[57:58], v21, v[10:11]
	v_and_b32_e32 v10, 7, v57
; %bb.370:                              ;   in Loop: Header=BB361_289 Depth=1
	s_or_b32 exec_lo, exec_lo, s16
	v_lshlrev_b32_sdwa v21, v37, v18 dst_sel:DWORD dst_unused:UNUSED_PAD src0_sel:DWORD src1_sel:WORD_1
	v_lshlrev_b32_e32 v10, 20, v10
	v_lshl_add_u32 v20, v20, 23, 0x3c000000
	v_and_b32_e32 v21, 0x80000000, v21
	v_or3_b32 v53, v10, v21, v20
.LBB361_371:                            ;   in Loop: Header=BB361_289 Depth=1
	s_or_b32 exec_lo, exec_lo, s15
.LBB361_372:                            ;   in Loop: Header=BB361_289 Depth=1
	s_or_b32 exec_lo, exec_lo, s14
.LBB361_373:                            ;   in Loop: Header=BB361_289 Depth=1
	s_or_b32 exec_lo, exec_lo, s13
	s_mov_b32 s13, exec_lo
	v_cmpx_lt_u32_e32 0xffffff, v18
	s_cbranch_execz .LBB361_381
; %bb.374:                              ;   in Loop: Header=BB361_289 Depth=1
	v_cmp_ne_u32_sdwa s0, v18, v33 src0_sel:BYTE_3 src1_sel:DWORD
	v_bfrev_b32_e32 v56, 1
	s_and_saveexec_b32 s14, s0
	s_cbranch_execz .LBB361_380
; %bb.375:                              ;   in Loop: Header=BB361_289 Depth=1
	v_bfe_u32 v21, v18, 24, 7
	v_mov_b32_e32 v56, 0x7f800001
	s_mov_b32 s15, exec_lo
	v_cmpx_ne_u32_e32 0x7f, v21
	s_cbranch_execz .LBB361_379
; %bb.376:                              ;   in Loop: Header=BB361_289 Depth=1
	v_and_b32_sdwa v10, v18, v36 dst_sel:DWORD dst_unused:UNUSED_PAD src0_sel:BYTE_3 src1_sel:DWORD
	v_lshrrev_b32_e32 v20, 3, v21
	s_mov_b32 s16, exec_lo
	v_cmpx_gt_u32_e32 8, v21
; %bb.377:                              ;   in Loop: Header=BB361_289 Depth=1
	v_ffbh_u32_e32 v20, v10
	v_min_u32_e32 v20, 32, v20
	v_subrev_nc_u32_e32 v21, 28, v20
	v_sub_nc_u32_e32 v20, 29, v20
	v_lshlrev_b64 v[56:57], v21, v[10:11]
	v_and_b32_e32 v10, 7, v56
; %bb.378:                              ;   in Loop: Header=BB361_289 Depth=1
	s_or_b32 exec_lo, exec_lo, s16
	v_lshlrev_b32_sdwa v21, v37, v18 dst_sel:DWORD dst_unused:UNUSED_PAD src0_sel:DWORD src1_sel:BYTE_3
	v_lshlrev_b32_e32 v10, 20, v10
	v_lshl_add_u32 v20, v20, 23, 0x3c000000
	v_and_b32_e32 v21, 0x80000000, v21
	v_or3_b32 v56, v10, v21, v20
.LBB361_379:                            ;   in Loop: Header=BB361_289 Depth=1
	s_or_b32 exec_lo, exec_lo, s15
.LBB361_380:                            ;   in Loop: Header=BB361_289 Depth=1
	s_or_b32 exec_lo, exec_lo, s14
.LBB361_381:                            ;   in Loop: Header=BB361_289 Depth=1
	s_or_b32 exec_lo, exec_lo, s13
	v_mov_b32_e32 v10, v19
	v_cmp_ne_u16_sdwa s0, v19, v11 src0_sel:BYTE_0 src1_sel:DWORD
	v_mov_b32_e32 v20, 0
	v_mov_b32_e32 v57, 0
	s_and_saveexec_b32 s13, s0
	s_cbranch_execz .LBB361_387
; %bb.382:                              ;   in Loop: Header=BB361_289 Depth=1
	v_cmp_ne_u16_sdwa s0, v19, v33 src0_sel:BYTE_0 src1_sel:DWORD
	v_bfrev_b32_e32 v57, 1
	s_and_saveexec_b32 s14, s0
	s_cbranch_execz .LBB361_386
; %bb.383:                              ;   in Loop: Header=BB361_289 Depth=1
	v_and_b32_e32 v21, 0x7f, v19
	v_mov_b32_e32 v57, 0x7f800001
	s_mov_b32 s15, exec_lo
	v_cmpx_ne_u32_e32 0x7f, v21
	s_cbranch_execz .LBB361_385
; %bb.384:                              ;   in Loop: Header=BB361_289 Depth=1
	v_and_b32_e32 v57, 7, v19
	v_lshrrev_b32_e32 v58, 3, v21
	v_cmp_gt_u32_e64 s0, 8, v21
	v_ffbh_u32_e32 v57, v57
	v_min_u32_e32 v57, 32, v57
	v_subrev_nc_u32_e32 v59, 28, v57
	v_sub_nc_u32_e32 v57, 29, v57
	v_cndmask_b32_e64 v21, v58, v57, s0
	v_cndmask_b32_e64 v57, 0, v59, s0
	v_lshl_add_u32 v21, v21, 23, 0x3c000000
	v_lshlrev_b64 v[57:58], v57, v[10:11]
	v_lshlrev_b32_e32 v58, 24, v10
	v_lshlrev_b32_e32 v57, 20, v57
	v_and_b32_e32 v58, 0x80000000, v58
	v_and_b32_e32 v57, 0x700000, v57
	v_or3_b32 v57, v57, v58, v21
.LBB361_385:                            ;   in Loop: Header=BB361_289 Depth=1
	s_or_b32 exec_lo, exec_lo, s15
.LBB361_386:                            ;   in Loop: Header=BB361_289 Depth=1
	s_or_b32 exec_lo, exec_lo, s14
.LBB361_387:                            ;   in Loop: Header=BB361_289 Depth=1
	s_or_b32 exec_lo, exec_lo, s13
	v_cmp_ne_u16_sdwa s0, v10, v11 src0_sel:BYTE_1 src1_sel:DWORD
	s_and_saveexec_b32 s13, s0
	s_cbranch_execz .LBB361_395
; %bb.388:                              ;   in Loop: Header=BB361_289 Depth=1
	v_cmp_ne_u16_sdwa s0, v10, v33 src0_sel:BYTE_1 src1_sel:DWORD
	v_bfrev_b32_e32 v20, 1
	s_and_saveexec_b32 s14, s0
	s_cbranch_execz .LBB361_394
; %bb.389:                              ;   in Loop: Header=BB361_289 Depth=1
	v_and_b32_sdwa v21, v34, v10 dst_sel:DWORD dst_unused:UNUSED_PAD src0_sel:DWORD src1_sel:BYTE_1
	v_mov_b32_e32 v20, 0x7f800001
	s_mov_b32 s15, exec_lo
	v_and_b32_e32 v59, 0x7f, v21
	v_cmpx_ne_u32_e32 0x7f, v59
	s_cbranch_execz .LBB361_393
; %bb.390:                              ;   in Loop: Header=BB361_289 Depth=1
	v_and_b32_e32 v20, 7, v21
	v_mov_b32_e32 v21, v11
	v_lshrrev_b32_e32 v58, 3, v59
	s_mov_b32 s16, exec_lo
	v_cmpx_gt_u32_e32 8, v59
; %bb.391:                              ;   in Loop: Header=BB361_289 Depth=1
	v_ffbh_u32_e32 v58, v20
	v_min_u32_e32 v58, 32, v58
	v_subrev_nc_u32_e32 v59, 28, v58
	v_sub_nc_u32_e32 v58, 29, v58
	v_lshlrev_b64 v[20:21], v59, v[20:21]
	v_and_b32_e32 v20, 7, v20
; %bb.392:                              ;   in Loop: Header=BB361_289 Depth=1
	s_or_b32 exec_lo, exec_lo, s16
	v_lshlrev_b32_e32 v10, 16, v10
	v_lshlrev_b32_e32 v20, 20, v20
	v_lshl_add_u32 v21, v58, 23, 0x3c000000
	v_and_b32_e32 v10, 0x80000000, v10
	v_or3_b32 v20, v20, v10, v21
.LBB361_393:                            ;   in Loop: Header=BB361_289 Depth=1
	s_or_b32 exec_lo, exec_lo, s15
.LBB361_394:                            ;   in Loop: Header=BB361_289 Depth=1
	s_or_b32 exec_lo, exec_lo, s14
.LBB361_395:                            ;   in Loop: Header=BB361_289 Depth=1
	s_or_b32 exec_lo, exec_lo, s13
	v_and_b32_sdwa v10, v19, v35 dst_sel:DWORD dst_unused:UNUSED_PAD src0_sel:WORD_1 src1_sel:DWORD
	v_mov_b32_e32 v21, 0
	v_mov_b32_e32 v58, 0
	s_mov_b32 s13, exec_lo
	v_cmpx_ne_u16_e32 0, v10
	s_cbranch_execz .LBB361_403
; %bb.396:                              ;   in Loop: Header=BB361_289 Depth=1
	v_bfrev_b32_e32 v58, 1
	s_mov_b32 s14, exec_lo
	v_cmpx_ne_u16_e32 0x80, v10
	s_cbranch_execz .LBB361_402
; %bb.397:                              ;   in Loop: Header=BB361_289 Depth=1
	v_bfe_u32 v59, v19, 16, 7
	v_mov_b32_e32 v58, 0x7f800001
	s_mov_b32 s15, exec_lo
	v_cmpx_ne_u32_e32 0x7f, v59
	s_cbranch_execz .LBB361_401
; %bb.398:                              ;   in Loop: Header=BB361_289 Depth=1
	v_and_b32_sdwa v10, v19, v36 dst_sel:DWORD dst_unused:UNUSED_PAD src0_sel:WORD_1 src1_sel:DWORD
	v_lshrrev_b32_e32 v58, 3, v59
	s_mov_b32 s16, exec_lo
	v_cmpx_gt_u32_e32 8, v59
; %bb.399:                              ;   in Loop: Header=BB361_289 Depth=1
	v_ffbh_u32_e32 v58, v10
	v_min_u32_e32 v58, 32, v58
	v_subrev_nc_u32_e32 v59, 28, v58
	v_sub_nc_u32_e32 v58, 29, v58
	v_lshlrev_b64 v[59:60], v59, v[10:11]
	v_and_b32_e32 v10, 7, v59
; %bb.400:                              ;   in Loop: Header=BB361_289 Depth=1
	s_or_b32 exec_lo, exec_lo, s16
	v_lshlrev_b32_sdwa v59, v37, v19 dst_sel:DWORD dst_unused:UNUSED_PAD src0_sel:DWORD src1_sel:WORD_1
	v_lshlrev_b32_e32 v10, 20, v10
	v_lshl_add_u32 v58, v58, 23, 0x3c000000
	v_and_b32_e32 v59, 0x80000000, v59
	v_or3_b32 v58, v10, v59, v58
.LBB361_401:                            ;   in Loop: Header=BB361_289 Depth=1
	s_or_b32 exec_lo, exec_lo, s15
.LBB361_402:                            ;   in Loop: Header=BB361_289 Depth=1
	s_or_b32 exec_lo, exec_lo, s14
.LBB361_403:                            ;   in Loop: Header=BB361_289 Depth=1
	s_or_b32 exec_lo, exec_lo, s13
	s_mov_b32 s13, exec_lo
	v_cmpx_lt_u64_e64 s[4:5], v[18:19]
	s_cbranch_execz .LBB361_411
; %bb.404:                              ;   in Loop: Header=BB361_289 Depth=1
	v_cmp_ne_u32_sdwa s0, v19, v33 src0_sel:BYTE_3 src1_sel:DWORD
	v_bfrev_b32_e32 v21, 1
	s_and_saveexec_b32 s14, s0
	s_cbranch_execz .LBB361_410
; %bb.405:                              ;   in Loop: Header=BB361_289 Depth=1
	v_bfe_u32 v59, v19, 24, 7
	v_mov_b32_e32 v21, 0x7f800001
	s_mov_b32 s15, exec_lo
	v_cmpx_ne_u32_e32 0x7f, v59
	s_cbranch_execz .LBB361_409
; %bb.406:                              ;   in Loop: Header=BB361_289 Depth=1
	v_and_b32_sdwa v10, v19, v36 dst_sel:DWORD dst_unused:UNUSED_PAD src0_sel:BYTE_3 src1_sel:DWORD
	v_lshrrev_b32_e32 v18, 3, v59
	s_mov_b32 s16, exec_lo
	v_cmpx_gt_u32_e32 8, v59
; %bb.407:                              ;   in Loop: Header=BB361_289 Depth=1
	v_ffbh_u32_e32 v18, v10
	v_min_u32_e32 v18, 32, v18
	v_subrev_nc_u32_e32 v21, 28, v18
	v_sub_nc_u32_e32 v18, 29, v18
	v_lshlrev_b64 v[59:60], v21, v[10:11]
	v_and_b32_e32 v10, 7, v59
; %bb.408:                              ;   in Loop: Header=BB361_289 Depth=1
	s_or_b32 exec_lo, exec_lo, s16
	v_lshlrev_b32_sdwa v19, v37, v19 dst_sel:DWORD dst_unused:UNUSED_PAD src0_sel:DWORD src1_sel:BYTE_3
	v_lshlrev_b32_e32 v10, 20, v10
	v_lshl_add_u32 v18, v18, 23, 0x3c000000
	v_and_b32_e32 v19, 0x80000000, v19
	v_or3_b32 v21, v10, v19, v18
.LBB361_409:                            ;   in Loop: Header=BB361_289 Depth=1
	s_or_b32 exec_lo, exec_lo, s15
.LBB361_410:                            ;   in Loop: Header=BB361_289 Depth=1
	s_or_b32 exec_lo, exec_lo, s14
.LBB361_411:                            ;   in Loop: Header=BB361_289 Depth=1
	s_or_b32 exec_lo, exec_lo, s13
	v_mul_f32_e32 v10, s6, v20
	v_mul_f32_e32 v18, s6, v57
	v_mul_f32_e32 v20, s6, v53
	v_mul_f32_e32 v19, s6, v56
	v_mul_f32_e32 v21, s6, v21
	v_bfe_u32 v53, v10, 16, 1
	v_or_b32_e32 v56, 0x400000, v10
	v_bfe_u32 v57, v18, 16, 1
	v_cmp_u_f32_e64 s0, v10, v10
	v_or_b32_e32 v59, 0x400000, v18
	v_add3_u32 v53, v53, v10, 0x7fff
	v_bfe_u32 v60, v19, 16, 1
	v_add3_u32 v57, v57, v18, 0x7fff
	v_or_b32_e32 v61, 0x400000, v19
	v_bfe_u32 v62, v20, 16, 1
	v_cndmask_b32_e64 v10, v53, v56, s0
	v_cmp_u_f32_e64 s0, v18, v18
	v_add3_u32 v60, v60, v19, 0x7fff
	v_lshrrev_b32_e32 v53, 16, v10
	v_cndmask_b32_e64 v18, v57, v59, s0
	v_cmp_u_f32_e64 s0, v19, v19
	v_mul_f32_e32 v10, s6, v54
	v_add3_u32 v57, v62, v20, 0x7fff
	v_or_b32_e32 v59, 0x400000, v20
	v_lshrrev_b32_e32 v54, 16, v18
	v_cndmask_b32_e64 v19, v60, v61, s0
	v_bfe_u32 v18, v10, 16, 1
	v_cmp_u_f32_e64 s0, v20, v20
	v_mul_f32_e32 v20, s6, v55
	v_mul_f32_e32 v55, s6, v58
	v_lshrrev_b32_e32 v56, 16, v19
	v_add3_u32 v18, v18, v10, 0x7fff
	v_cndmask_b32_e64 v19, v57, v59, s0
	v_or_b32_e32 v57, 0x400000, v10
	v_bfe_u32 v58, v20, 16, 1
	v_cmp_u_f32_e64 s0, v10, v10
	v_bfe_u32 v59, v55, 16, 1
	v_or_b32_e32 v60, 0x400000, v55
	v_or_b32_e32 v61, 0x400000, v21
	v_cndmask_b32_e64 v10, v18, v57, s0
	v_add3_u32 v57, v58, v20, 0x7fff
	v_or_b32_e32 v58, 0x400000, v20
	v_cmp_u_f32_e64 s0, v20, v20
	v_bfe_u32 v18, v21, 16, 1
	v_add3_u32 v59, v59, v55, 0x7fff
	v_cndmask_b32_e64 v20, v57, v58, s0
	v_cmp_u_f32_e64 s0, v55, v55
	v_add3_u32 v18, v18, v21, 0x7fff
	v_lshrrev_b32_e32 v58, 16, v19
	v_cndmask_b32_e64 v55, v59, v60, s0
	v_cmp_u_f32_e64 s0, v21, v21
	v_lshrrev_b32_e32 v60, 16, v10
	v_lshrrev_b32_e32 v59, 16, v20
	;; [unrolled: 1-line block ×3, first 2 shown]
	v_cndmask_b32_e64 v18, v18, v61, s0
	v_lshrrev_b32_e32 v57, 16, v18
	s_and_saveexec_b32 s13, vcc_lo
	s_cbranch_execz .LBB361_413
; %bb.412:                              ;   in Loop: Header=BB361_289 Depth=1
	v_cmp_gt_i32_e64 s0, s27, v46
	v_cndmask_b32_e64 v59, 0, v59, s0
	v_cmp_gt_i32_e64 s0, s27, v52
	v_cndmask_b32_e64 v60, 0, v60, s0
	;; [unrolled: 2-line block ×8, first 2 shown]
.LBB361_413:                            ;   in Loop: Header=BB361_289 Depth=1
	s_or_b32 exec_lo, exec_lo, s13
	global_load_dwordx2 v[18:19], v[16:17], off offset:512
	v_mov_b32_e32 v62, 0
	v_mov_b32_e32 v61, 0
	s_waitcnt vmcnt(0)
	v_cmp_ne_u16_sdwa s0, v18, v11 src0_sel:BYTE_0 src1_sel:DWORD
	s_and_saveexec_b32 s13, s0
	s_cbranch_execz .LBB361_419
; %bb.414:                              ;   in Loop: Header=BB361_289 Depth=1
	v_cmp_ne_u16_sdwa s0, v18, v33 src0_sel:BYTE_0 src1_sel:DWORD
	v_bfrev_b32_e32 v61, 1
	s_and_saveexec_b32 s14, s0
	s_cbranch_execz .LBB361_418
; %bb.415:                              ;   in Loop: Header=BB361_289 Depth=1
	v_and_b32_e32 v10, 0x7f, v18
	v_mov_b32_e32 v61, 0x7f800001
	s_mov_b32 s15, exec_lo
	v_cmpx_ne_u32_e32 0x7f, v10
	s_cbranch_execz .LBB361_417
; %bb.416:                              ;   in Loop: Header=BB361_289 Depth=1
	v_and_b32_e32 v20, 7, v18
	v_lshrrev_b32_e32 v21, 3, v10
	v_cmp_gt_u32_e64 s0, 8, v10
	v_ffbh_u32_e32 v20, v20
	v_min_u32_e32 v20, 32, v20
	v_subrev_nc_u32_e32 v61, 28, v20
	v_sub_nc_u32_e32 v20, 29, v20
	v_cndmask_b32_e64 v10, v21, v20, s0
	v_cndmask_b32_e64 v20, 0, v61, s0
	v_lshl_add_u32 v10, v10, 23, 0x3c000000
	v_lshlrev_b64 v[20:21], v20, v[18:19]
	v_lshlrev_b32_e32 v21, 24, v18
	v_lshlrev_b32_e32 v20, 20, v20
	v_and_b32_e32 v21, 0x80000000, v21
	v_and_b32_e32 v20, 0x700000, v20
	v_or3_b32 v61, v20, v21, v10
.LBB361_417:                            ;   in Loop: Header=BB361_289 Depth=1
	s_or_b32 exec_lo, exec_lo, s15
.LBB361_418:                            ;   in Loop: Header=BB361_289 Depth=1
	s_or_b32 exec_lo, exec_lo, s14
.LBB361_419:                            ;   in Loop: Header=BB361_289 Depth=1
	s_or_b32 exec_lo, exec_lo, s13
	v_cmp_ne_u16_sdwa s0, v18, v11 src0_sel:BYTE_1 src1_sel:DWORD
	s_and_saveexec_b32 s13, s0
	s_cbranch_execz .LBB361_427
; %bb.420:                              ;   in Loop: Header=BB361_289 Depth=1
	v_cmp_ne_u16_sdwa s0, v18, v33 src0_sel:BYTE_1 src1_sel:DWORD
	v_bfrev_b32_e32 v62, 1
	s_and_saveexec_b32 s14, s0
	s_cbranch_execz .LBB361_426
; %bb.421:                              ;   in Loop: Header=BB361_289 Depth=1
	v_and_b32_sdwa v10, v34, v18 dst_sel:DWORD dst_unused:UNUSED_PAD src0_sel:DWORD src1_sel:BYTE_1
	v_mov_b32_e32 v62, 0x7f800001
	s_mov_b32 s15, exec_lo
	v_and_b32_e32 v21, 0x7f, v10
	v_cmpx_ne_u32_e32 0x7f, v21
	s_cbranch_execz .LBB361_425
; %bb.422:                              ;   in Loop: Header=BB361_289 Depth=1
	v_and_b32_e32 v10, 7, v10
	v_lshrrev_b32_e32 v20, 3, v21
	s_mov_b32 s16, exec_lo
	v_cmpx_gt_u32_e32 8, v21
; %bb.423:                              ;   in Loop: Header=BB361_289 Depth=1
	v_ffbh_u32_e32 v20, v10
	v_min_u32_e32 v20, 32, v20
	v_subrev_nc_u32_e32 v21, 28, v20
	v_sub_nc_u32_e32 v20, 29, v20
	v_lshlrev_b64 v[62:63], v21, v[10:11]
	v_and_b32_e32 v10, 7, v62
; %bb.424:                              ;   in Loop: Header=BB361_289 Depth=1
	s_or_b32 exec_lo, exec_lo, s16
	v_lshlrev_b32_e32 v21, 16, v18
	v_lshlrev_b32_e32 v10, 20, v10
	v_lshl_add_u32 v20, v20, 23, 0x3c000000
	v_and_b32_e32 v21, 0x80000000, v21
	v_or3_b32 v62, v10, v21, v20
.LBB361_425:                            ;   in Loop: Header=BB361_289 Depth=1
	s_or_b32 exec_lo, exec_lo, s15
.LBB361_426:                            ;   in Loop: Header=BB361_289 Depth=1
	s_or_b32 exec_lo, exec_lo, s14
.LBB361_427:                            ;   in Loop: Header=BB361_289 Depth=1
	s_or_b32 exec_lo, exec_lo, s13
	v_and_b32_sdwa v10, v18, v35 dst_sel:DWORD dst_unused:UNUSED_PAD src0_sel:WORD_1 src1_sel:DWORD
	v_mov_b32_e32 v64, 0
	v_mov_b32_e32 v63, 0
	s_mov_b32 s13, exec_lo
	v_cmpx_ne_u16_e32 0, v10
	s_cbranch_execz .LBB361_435
; %bb.428:                              ;   in Loop: Header=BB361_289 Depth=1
	v_bfrev_b32_e32 v63, 1
	s_mov_b32 s14, exec_lo
	v_cmpx_ne_u16_e32 0x80, v10
	s_cbranch_execz .LBB361_434
; %bb.429:                              ;   in Loop: Header=BB361_289 Depth=1
	v_bfe_u32 v21, v18, 16, 7
	v_mov_b32_e32 v63, 0x7f800001
	s_mov_b32 s15, exec_lo
	v_cmpx_ne_u32_e32 0x7f, v21
	s_cbranch_execz .LBB361_433
; %bb.430:                              ;   in Loop: Header=BB361_289 Depth=1
	v_and_b32_sdwa v10, v18, v36 dst_sel:DWORD dst_unused:UNUSED_PAD src0_sel:WORD_1 src1_sel:DWORD
	v_lshrrev_b32_e32 v20, 3, v21
	s_mov_b32 s16, exec_lo
	v_cmpx_gt_u32_e32 8, v21
; %bb.431:                              ;   in Loop: Header=BB361_289 Depth=1
	v_ffbh_u32_e32 v20, v10
	v_min_u32_e32 v20, 32, v20
	v_subrev_nc_u32_e32 v21, 28, v20
	v_sub_nc_u32_e32 v20, 29, v20
	v_lshlrev_b64 v[65:66], v21, v[10:11]
	v_and_b32_e32 v10, 7, v65
; %bb.432:                              ;   in Loop: Header=BB361_289 Depth=1
	s_or_b32 exec_lo, exec_lo, s16
	v_lshlrev_b32_sdwa v21, v37, v18 dst_sel:DWORD dst_unused:UNUSED_PAD src0_sel:DWORD src1_sel:WORD_1
	v_lshlrev_b32_e32 v10, 20, v10
	v_lshl_add_u32 v20, v20, 23, 0x3c000000
	v_and_b32_e32 v21, 0x80000000, v21
	v_or3_b32 v63, v10, v21, v20
.LBB361_433:                            ;   in Loop: Header=BB361_289 Depth=1
	s_or_b32 exec_lo, exec_lo, s15
.LBB361_434:                            ;   in Loop: Header=BB361_289 Depth=1
	s_or_b32 exec_lo, exec_lo, s14
.LBB361_435:                            ;   in Loop: Header=BB361_289 Depth=1
	s_or_b32 exec_lo, exec_lo, s13
	s_mov_b32 s13, exec_lo
	v_cmpx_lt_u32_e32 0xffffff, v18
	s_cbranch_execz .LBB361_443
; %bb.436:                              ;   in Loop: Header=BB361_289 Depth=1
	v_cmp_ne_u32_sdwa s0, v18, v33 src0_sel:BYTE_3 src1_sel:DWORD
	v_bfrev_b32_e32 v64, 1
	s_and_saveexec_b32 s14, s0
	s_cbranch_execz .LBB361_442
; %bb.437:                              ;   in Loop: Header=BB361_289 Depth=1
	v_bfe_u32 v21, v18, 24, 7
	v_mov_b32_e32 v64, 0x7f800001
	s_mov_b32 s15, exec_lo
	v_cmpx_ne_u32_e32 0x7f, v21
	s_cbranch_execz .LBB361_441
; %bb.438:                              ;   in Loop: Header=BB361_289 Depth=1
	v_and_b32_sdwa v10, v18, v36 dst_sel:DWORD dst_unused:UNUSED_PAD src0_sel:BYTE_3 src1_sel:DWORD
	v_lshrrev_b32_e32 v20, 3, v21
	s_mov_b32 s16, exec_lo
	v_cmpx_gt_u32_e32 8, v21
; %bb.439:                              ;   in Loop: Header=BB361_289 Depth=1
	v_ffbh_u32_e32 v20, v10
	v_min_u32_e32 v20, 32, v20
	v_subrev_nc_u32_e32 v21, 28, v20
	v_sub_nc_u32_e32 v20, 29, v20
	v_lshlrev_b64 v[64:65], v21, v[10:11]
	v_and_b32_e32 v10, 7, v64
; %bb.440:                              ;   in Loop: Header=BB361_289 Depth=1
	s_or_b32 exec_lo, exec_lo, s16
	v_lshlrev_b32_sdwa v21, v37, v18 dst_sel:DWORD dst_unused:UNUSED_PAD src0_sel:DWORD src1_sel:BYTE_3
	v_lshlrev_b32_e32 v10, 20, v10
	v_lshl_add_u32 v20, v20, 23, 0x3c000000
	v_and_b32_e32 v21, 0x80000000, v21
	v_or3_b32 v64, v10, v21, v20
.LBB361_441:                            ;   in Loop: Header=BB361_289 Depth=1
	s_or_b32 exec_lo, exec_lo, s15
.LBB361_442:                            ;   in Loop: Header=BB361_289 Depth=1
	s_or_b32 exec_lo, exec_lo, s14
.LBB361_443:                            ;   in Loop: Header=BB361_289 Depth=1
	s_or_b32 exec_lo, exec_lo, s13
	v_mov_b32_e32 v10, v19
	v_cmp_ne_u16_sdwa s0, v19, v11 src0_sel:BYTE_0 src1_sel:DWORD
	v_mov_b32_e32 v20, 0
	v_mov_b32_e32 v65, 0
	s_and_saveexec_b32 s13, s0
	s_cbranch_execz .LBB361_449
; %bb.444:                              ;   in Loop: Header=BB361_289 Depth=1
	v_cmp_ne_u16_sdwa s0, v19, v33 src0_sel:BYTE_0 src1_sel:DWORD
	v_bfrev_b32_e32 v65, 1
	s_and_saveexec_b32 s14, s0
	s_cbranch_execz .LBB361_448
; %bb.445:                              ;   in Loop: Header=BB361_289 Depth=1
	v_and_b32_e32 v21, 0x7f, v19
	v_mov_b32_e32 v65, 0x7f800001
	s_mov_b32 s15, exec_lo
	v_cmpx_ne_u32_e32 0x7f, v21
	s_cbranch_execz .LBB361_447
; %bb.446:                              ;   in Loop: Header=BB361_289 Depth=1
	v_and_b32_e32 v65, 7, v19
	v_lshrrev_b32_e32 v66, 3, v21
	v_cmp_gt_u32_e64 s0, 8, v21
	v_ffbh_u32_e32 v65, v65
	v_min_u32_e32 v65, 32, v65
	v_subrev_nc_u32_e32 v67, 28, v65
	v_sub_nc_u32_e32 v65, 29, v65
	v_cndmask_b32_e64 v21, v66, v65, s0
	v_cndmask_b32_e64 v65, 0, v67, s0
	v_lshl_add_u32 v21, v21, 23, 0x3c000000
	v_lshlrev_b64 v[65:66], v65, v[10:11]
	v_lshlrev_b32_e32 v66, 24, v10
	v_lshlrev_b32_e32 v65, 20, v65
	v_and_b32_e32 v66, 0x80000000, v66
	v_and_b32_e32 v65, 0x700000, v65
	v_or3_b32 v65, v65, v66, v21
.LBB361_447:                            ;   in Loop: Header=BB361_289 Depth=1
	s_or_b32 exec_lo, exec_lo, s15
.LBB361_448:                            ;   in Loop: Header=BB361_289 Depth=1
	s_or_b32 exec_lo, exec_lo, s14
.LBB361_449:                            ;   in Loop: Header=BB361_289 Depth=1
	s_or_b32 exec_lo, exec_lo, s13
	v_cmp_ne_u16_sdwa s0, v10, v11 src0_sel:BYTE_1 src1_sel:DWORD
	s_and_saveexec_b32 s13, s0
	s_cbranch_execz .LBB361_457
; %bb.450:                              ;   in Loop: Header=BB361_289 Depth=1
	v_cmp_ne_u16_sdwa s0, v10, v33 src0_sel:BYTE_1 src1_sel:DWORD
	v_bfrev_b32_e32 v20, 1
	s_and_saveexec_b32 s14, s0
	s_cbranch_execz .LBB361_456
; %bb.451:                              ;   in Loop: Header=BB361_289 Depth=1
	v_and_b32_sdwa v21, v34, v10 dst_sel:DWORD dst_unused:UNUSED_PAD src0_sel:DWORD src1_sel:BYTE_1
	v_mov_b32_e32 v20, 0x7f800001
	s_mov_b32 s15, exec_lo
	v_and_b32_e32 v67, 0x7f, v21
	v_cmpx_ne_u32_e32 0x7f, v67
	s_cbranch_execz .LBB361_455
; %bb.452:                              ;   in Loop: Header=BB361_289 Depth=1
	v_and_b32_e32 v20, 7, v21
	v_mov_b32_e32 v21, v11
	v_lshrrev_b32_e32 v66, 3, v67
	s_mov_b32 s16, exec_lo
	v_cmpx_gt_u32_e32 8, v67
; %bb.453:                              ;   in Loop: Header=BB361_289 Depth=1
	v_ffbh_u32_e32 v66, v20
	v_min_u32_e32 v66, 32, v66
	v_subrev_nc_u32_e32 v67, 28, v66
	v_sub_nc_u32_e32 v66, 29, v66
	v_lshlrev_b64 v[20:21], v67, v[20:21]
	v_and_b32_e32 v20, 7, v20
; %bb.454:                              ;   in Loop: Header=BB361_289 Depth=1
	s_or_b32 exec_lo, exec_lo, s16
	v_lshlrev_b32_e32 v10, 16, v10
	v_lshlrev_b32_e32 v20, 20, v20
	v_lshl_add_u32 v21, v66, 23, 0x3c000000
	v_and_b32_e32 v10, 0x80000000, v10
	v_or3_b32 v20, v20, v10, v21
.LBB361_455:                            ;   in Loop: Header=BB361_289 Depth=1
	s_or_b32 exec_lo, exec_lo, s15
.LBB361_456:                            ;   in Loop: Header=BB361_289 Depth=1
	s_or_b32 exec_lo, exec_lo, s14
.LBB361_457:                            ;   in Loop: Header=BB361_289 Depth=1
	s_or_b32 exec_lo, exec_lo, s13
	v_and_b32_sdwa v10, v19, v35 dst_sel:DWORD dst_unused:UNUSED_PAD src0_sel:WORD_1 src1_sel:DWORD
	v_mov_b32_e32 v66, 0
	v_mov_b32_e32 v67, 0
	s_mov_b32 s13, exec_lo
	v_cmpx_ne_u16_e32 0, v10
	s_cbranch_execz .LBB361_465
; %bb.458:                              ;   in Loop: Header=BB361_289 Depth=1
	v_bfrev_b32_e32 v67, 1
	s_mov_b32 s14, exec_lo
	v_cmpx_ne_u16_e32 0x80, v10
	s_cbranch_execz .LBB361_464
; %bb.459:                              ;   in Loop: Header=BB361_289 Depth=1
	v_bfe_u32 v68, v19, 16, 7
	v_mov_b32_e32 v67, 0x7f800001
	s_mov_b32 s15, exec_lo
	v_cmpx_ne_u32_e32 0x7f, v68
	s_cbranch_execz .LBB361_463
; %bb.460:                              ;   in Loop: Header=BB361_289 Depth=1
	v_and_b32_sdwa v10, v19, v36 dst_sel:DWORD dst_unused:UNUSED_PAD src0_sel:WORD_1 src1_sel:DWORD
	v_lshrrev_b32_e32 v21, 3, v68
	s_mov_b32 s16, exec_lo
	v_cmpx_gt_u32_e32 8, v68
; %bb.461:                              ;   in Loop: Header=BB361_289 Depth=1
	v_ffbh_u32_e32 v21, v10
	v_min_u32_e32 v21, 32, v21
	v_subrev_nc_u32_e32 v67, 28, v21
	v_sub_nc_u32_e32 v21, 29, v21
	v_lshlrev_b64 v[67:68], v67, v[10:11]
	v_and_b32_e32 v10, 7, v67
; %bb.462:                              ;   in Loop: Header=BB361_289 Depth=1
	s_or_b32 exec_lo, exec_lo, s16
	v_lshlrev_b32_sdwa v67, v37, v19 dst_sel:DWORD dst_unused:UNUSED_PAD src0_sel:DWORD src1_sel:WORD_1
	v_lshlrev_b32_e32 v10, 20, v10
	v_lshl_add_u32 v21, v21, 23, 0x3c000000
	v_and_b32_e32 v67, 0x80000000, v67
	v_or3_b32 v67, v10, v67, v21
.LBB361_463:                            ;   in Loop: Header=BB361_289 Depth=1
	s_or_b32 exec_lo, exec_lo, s15
.LBB361_464:                            ;   in Loop: Header=BB361_289 Depth=1
	s_or_b32 exec_lo, exec_lo, s14
.LBB361_465:                            ;   in Loop: Header=BB361_289 Depth=1
	s_or_b32 exec_lo, exec_lo, s13
	s_mov_b32 s13, exec_lo
	v_cmpx_lt_u64_e64 s[4:5], v[18:19]
	s_cbranch_execz .LBB361_473
; %bb.466:                              ;   in Loop: Header=BB361_289 Depth=1
	v_cmp_ne_u32_sdwa s0, v19, v33 src0_sel:BYTE_3 src1_sel:DWORD
	v_bfrev_b32_e32 v66, 1
	s_and_saveexec_b32 s14, s0
	s_cbranch_execz .LBB361_472
; %bb.467:                              ;   in Loop: Header=BB361_289 Depth=1
	v_bfe_u32 v21, v19, 24, 7
	v_mov_b32_e32 v66, 0x7f800001
	s_mov_b32 s15, exec_lo
	v_cmpx_ne_u32_e32 0x7f, v21
	s_cbranch_execz .LBB361_471
; %bb.468:                              ;   in Loop: Header=BB361_289 Depth=1
	v_and_b32_sdwa v10, v19, v36 dst_sel:DWORD dst_unused:UNUSED_PAD src0_sel:BYTE_3 src1_sel:DWORD
	v_lshrrev_b32_e32 v18, 3, v21
	s_mov_b32 s16, exec_lo
	v_cmpx_gt_u32_e32 8, v21
; %bb.469:                              ;   in Loop: Header=BB361_289 Depth=1
	v_ffbh_u32_e32 v18, v10
	v_min_u32_e32 v18, 32, v18
	v_subrev_nc_u32_e32 v21, 28, v18
	v_sub_nc_u32_e32 v18, 29, v18
	v_lshlrev_b64 v[68:69], v21, v[10:11]
	v_and_b32_e32 v10, 7, v68
; %bb.470:                              ;   in Loop: Header=BB361_289 Depth=1
	s_or_b32 exec_lo, exec_lo, s16
	v_lshlrev_b32_sdwa v19, v37, v19 dst_sel:DWORD dst_unused:UNUSED_PAD src0_sel:DWORD src1_sel:BYTE_3
	v_lshlrev_b32_e32 v10, 20, v10
	v_lshl_add_u32 v18, v18, 23, 0x3c000000
	v_and_b32_e32 v19, 0x80000000, v19
	v_or3_b32 v66, v10, v19, v18
.LBB361_471:                            ;   in Loop: Header=BB361_289 Depth=1
	s_or_b32 exec_lo, exec_lo, s15
.LBB361_472:                            ;   in Loop: Header=BB361_289 Depth=1
	s_or_b32 exec_lo, exec_lo, s14
.LBB361_473:                            ;   in Loop: Header=BB361_289 Depth=1
	s_or_b32 exec_lo, exec_lo, s13
	v_mul_f32_e32 v10, s6, v20
	v_mul_f32_e32 v18, s6, v65
	;; [unrolled: 1-line block ×5, first 2 shown]
	v_bfe_u32 v20, v10, 16, 1
	v_or_b32_e32 v21, 0x400000, v10
	v_bfe_u32 v63, v18, 16, 1
	v_cmp_u_f32_e64 s0, v10, v10
	v_or_b32_e32 v65, 0x400000, v18
	v_add3_u32 v20, v20, v10, 0x7fff
	v_bfe_u32 v68, v19, 16, 1
	v_add3_u32 v63, v63, v18, 0x7fff
	v_or_b32_e32 v69, 0x400000, v19
	v_bfe_u32 v70, v64, 16, 1
	v_cndmask_b32_e64 v10, v20, v21, s0
	v_cmp_u_f32_e64 s0, v18, v18
	v_add3_u32 v68, v68, v19, 0x7fff
	v_lshrrev_b32_e32 v20, 16, v10
	v_cndmask_b32_e64 v18, v63, v65, s0
	v_cmp_u_f32_e64 s0, v19, v19
	v_mul_f32_e32 v10, s6, v62
	v_add3_u32 v62, v70, v64, 0x7fff
	v_or_b32_e32 v65, 0x400000, v64
	v_lshrrev_b32_e32 v21, 16, v18
	v_cndmask_b32_e64 v19, v68, v69, s0
	v_bfe_u32 v18, v10, 16, 1
	v_cmp_u_f32_e64 s0, v64, v64
	v_or_b32_e32 v64, 0x400000, v10
	v_lshrrev_b32_e32 v63, 16, v19
	v_add3_u32 v18, v18, v10, 0x7fff
	v_cndmask_b32_e64 v19, v62, v65, s0
	v_mul_f32_e32 v62, s6, v67
	v_mul_f32_e32 v65, s6, v66
	v_bfe_u32 v66, v61, 16, 1
	v_cmp_u_f32_e64 s0, v10, v10
	v_bfe_u32 v67, v62, 16, 1
	v_or_b32_e32 v68, 0x400000, v62
	v_or_b32_e32 v69, 0x400000, v65
	v_cndmask_b32_e64 v10, v18, v64, s0
	v_add3_u32 v64, v66, v61, 0x7fff
	v_or_b32_e32 v66, 0x400000, v61
	v_cmp_u_f32_e64 s0, v61, v61
	v_bfe_u32 v18, v65, 16, 1
	v_add3_u32 v67, v67, v62, 0x7fff
	v_cndmask_b32_e64 v61, v64, v66, s0
	v_cmp_u_f32_e64 s0, v62, v62
	v_add3_u32 v18, v18, v65, 0x7fff
	v_lshrrev_b32_e32 v64, 16, v19
	v_lshrrev_b32_e32 v66, 16, v10
	v_cndmask_b32_e64 v62, v67, v68, s0
	v_cmp_u_f32_e64 s0, v65, v65
	v_lshrrev_b32_e32 v65, 16, v61
	v_lshrrev_b32_e32 v61, 16, v62
	v_cndmask_b32_e64 v18, v18, v69, s0
	v_lshrrev_b32_e32 v62, 16, v18
	s_and_saveexec_b32 s13, vcc_lo
	s_cbranch_execz .LBB361_475
; %bb.474:                              ;   in Loop: Header=BB361_289 Depth=1
	v_cmp_gt_i32_e64 s0, s27, v46
	v_cndmask_b32_e64 v65, 0, v65, s0
	v_cmp_gt_i32_e64 s0, s27, v52
	v_cndmask_b32_e64 v66, 0, v66, s0
	;; [unrolled: 2-line block ×8, first 2 shown]
.LBB361_475:                            ;   in Loop: Header=BB361_289 Depth=1
	s_or_b32 exec_lo, exec_lo, s13
	global_load_dwordx2 v[16:17], v[16:17], off offset:768
	v_mov_b32_e32 v68, 0
	v_mov_b32_e32 v67, 0
	s_waitcnt vmcnt(0)
	v_cmp_ne_u16_sdwa s0, v16, v11 src0_sel:BYTE_0 src1_sel:DWORD
	s_and_saveexec_b32 s13, s0
	s_cbranch_execz .LBB361_481
; %bb.476:                              ;   in Loop: Header=BB361_289 Depth=1
	v_cmp_ne_u16_sdwa s0, v16, v33 src0_sel:BYTE_0 src1_sel:DWORD
	v_bfrev_b32_e32 v67, 1
	s_and_saveexec_b32 s14, s0
	s_cbranch_execz .LBB361_480
; %bb.477:                              ;   in Loop: Header=BB361_289 Depth=1
	v_and_b32_e32 v10, 0x7f, v16
	v_mov_b32_e32 v67, 0x7f800001
	s_mov_b32 s15, exec_lo
	v_cmpx_ne_u32_e32 0x7f, v10
	s_cbranch_execz .LBB361_479
; %bb.478:                              ;   in Loop: Header=BB361_289 Depth=1
	v_and_b32_e32 v18, 7, v16
	v_lshrrev_b32_e32 v19, 3, v10
	v_cmp_gt_u32_e64 s0, 8, v10
	v_ffbh_u32_e32 v18, v18
	v_min_u32_e32 v18, 32, v18
	v_subrev_nc_u32_e32 v67, 28, v18
	v_sub_nc_u32_e32 v18, 29, v18
	v_cndmask_b32_e64 v10, v19, v18, s0
	v_cndmask_b32_e64 v18, 0, v67, s0
	v_lshl_add_u32 v10, v10, 23, 0x3c000000
	v_lshlrev_b64 v[18:19], v18, v[16:17]
	v_lshlrev_b32_e32 v19, 24, v16
	v_lshlrev_b32_e32 v18, 20, v18
	v_and_b32_e32 v19, 0x80000000, v19
	v_and_b32_e32 v18, 0x700000, v18
	v_or3_b32 v67, v18, v19, v10
.LBB361_479:                            ;   in Loop: Header=BB361_289 Depth=1
	s_or_b32 exec_lo, exec_lo, s15
.LBB361_480:                            ;   in Loop: Header=BB361_289 Depth=1
	s_or_b32 exec_lo, exec_lo, s14
.LBB361_481:                            ;   in Loop: Header=BB361_289 Depth=1
	s_or_b32 exec_lo, exec_lo, s13
	v_cmp_ne_u16_sdwa s0, v16, v11 src0_sel:BYTE_1 src1_sel:DWORD
	s_and_saveexec_b32 s13, s0
	s_cbranch_execz .LBB361_489
; %bb.482:                              ;   in Loop: Header=BB361_289 Depth=1
	v_cmp_ne_u16_sdwa s0, v16, v33 src0_sel:BYTE_1 src1_sel:DWORD
	v_bfrev_b32_e32 v68, 1
	s_and_saveexec_b32 s14, s0
	s_cbranch_execz .LBB361_488
; %bb.483:                              ;   in Loop: Header=BB361_289 Depth=1
	v_and_b32_sdwa v10, v34, v16 dst_sel:DWORD dst_unused:UNUSED_PAD src0_sel:DWORD src1_sel:BYTE_1
	v_mov_b32_e32 v68, 0x7f800001
	s_mov_b32 s15, exec_lo
	v_and_b32_e32 v19, 0x7f, v10
	v_cmpx_ne_u32_e32 0x7f, v19
	s_cbranch_execz .LBB361_487
; %bb.484:                              ;   in Loop: Header=BB361_289 Depth=1
	v_and_b32_e32 v10, 7, v10
	v_lshrrev_b32_e32 v18, 3, v19
	s_mov_b32 s16, exec_lo
	v_cmpx_gt_u32_e32 8, v19
; %bb.485:                              ;   in Loop: Header=BB361_289 Depth=1
	v_ffbh_u32_e32 v18, v10
	v_min_u32_e32 v18, 32, v18
	v_subrev_nc_u32_e32 v19, 28, v18
	v_sub_nc_u32_e32 v18, 29, v18
	v_lshlrev_b64 v[68:69], v19, v[10:11]
	v_and_b32_e32 v10, 7, v68
; %bb.486:                              ;   in Loop: Header=BB361_289 Depth=1
	s_or_b32 exec_lo, exec_lo, s16
	v_lshlrev_b32_e32 v19, 16, v16
	v_lshlrev_b32_e32 v10, 20, v10
	v_lshl_add_u32 v18, v18, 23, 0x3c000000
	v_and_b32_e32 v19, 0x80000000, v19
	v_or3_b32 v68, v10, v19, v18
.LBB361_487:                            ;   in Loop: Header=BB361_289 Depth=1
	s_or_b32 exec_lo, exec_lo, s15
.LBB361_488:                            ;   in Loop: Header=BB361_289 Depth=1
	s_or_b32 exec_lo, exec_lo, s14
.LBB361_489:                            ;   in Loop: Header=BB361_289 Depth=1
	s_or_b32 exec_lo, exec_lo, s13
	v_and_b32_sdwa v10, v16, v35 dst_sel:DWORD dst_unused:UNUSED_PAD src0_sel:WORD_1 src1_sel:DWORD
	v_mov_b32_e32 v70, 0
	v_mov_b32_e32 v69, 0
	s_mov_b32 s13, exec_lo
	v_cmpx_ne_u16_e32 0, v10
	s_cbranch_execz .LBB361_497
; %bb.490:                              ;   in Loop: Header=BB361_289 Depth=1
	v_bfrev_b32_e32 v69, 1
	s_mov_b32 s14, exec_lo
	v_cmpx_ne_u16_e32 0x80, v10
	s_cbranch_execz .LBB361_496
; %bb.491:                              ;   in Loop: Header=BB361_289 Depth=1
	v_bfe_u32 v19, v16, 16, 7
	v_mov_b32_e32 v69, 0x7f800001
	s_mov_b32 s15, exec_lo
	v_cmpx_ne_u32_e32 0x7f, v19
	s_cbranch_execz .LBB361_495
; %bb.492:                              ;   in Loop: Header=BB361_289 Depth=1
	v_and_b32_sdwa v10, v16, v36 dst_sel:DWORD dst_unused:UNUSED_PAD src0_sel:WORD_1 src1_sel:DWORD
	v_lshrrev_b32_e32 v18, 3, v19
	s_mov_b32 s16, exec_lo
	v_cmpx_gt_u32_e32 8, v19
; %bb.493:                              ;   in Loop: Header=BB361_289 Depth=1
	v_ffbh_u32_e32 v18, v10
	v_min_u32_e32 v18, 32, v18
	v_subrev_nc_u32_e32 v19, 28, v18
	v_sub_nc_u32_e32 v18, 29, v18
	v_lshlrev_b64 v[71:72], v19, v[10:11]
	v_and_b32_e32 v10, 7, v71
; %bb.494:                              ;   in Loop: Header=BB361_289 Depth=1
	s_or_b32 exec_lo, exec_lo, s16
	v_lshlrev_b32_sdwa v19, v37, v16 dst_sel:DWORD dst_unused:UNUSED_PAD src0_sel:DWORD src1_sel:WORD_1
	v_lshlrev_b32_e32 v10, 20, v10
	v_lshl_add_u32 v18, v18, 23, 0x3c000000
	v_and_b32_e32 v19, 0x80000000, v19
	v_or3_b32 v69, v10, v19, v18
.LBB361_495:                            ;   in Loop: Header=BB361_289 Depth=1
	s_or_b32 exec_lo, exec_lo, s15
.LBB361_496:                            ;   in Loop: Header=BB361_289 Depth=1
	s_or_b32 exec_lo, exec_lo, s14
.LBB361_497:                            ;   in Loop: Header=BB361_289 Depth=1
	s_or_b32 exec_lo, exec_lo, s13
	s_mov_b32 s13, exec_lo
	v_cmpx_lt_u32_e32 0xffffff, v16
	s_cbranch_execz .LBB361_505
; %bb.498:                              ;   in Loop: Header=BB361_289 Depth=1
	v_cmp_ne_u32_sdwa s0, v16, v33 src0_sel:BYTE_3 src1_sel:DWORD
	v_bfrev_b32_e32 v70, 1
	s_and_saveexec_b32 s14, s0
	s_cbranch_execz .LBB361_504
; %bb.499:                              ;   in Loop: Header=BB361_289 Depth=1
	v_bfe_u32 v19, v16, 24, 7
	v_mov_b32_e32 v70, 0x7f800001
	s_mov_b32 s15, exec_lo
	v_cmpx_ne_u32_e32 0x7f, v19
	s_cbranch_execz .LBB361_503
; %bb.500:                              ;   in Loop: Header=BB361_289 Depth=1
	v_and_b32_sdwa v10, v16, v36 dst_sel:DWORD dst_unused:UNUSED_PAD src0_sel:BYTE_3 src1_sel:DWORD
	v_lshrrev_b32_e32 v18, 3, v19
	s_mov_b32 s16, exec_lo
	v_cmpx_gt_u32_e32 8, v19
; %bb.501:                              ;   in Loop: Header=BB361_289 Depth=1
	v_ffbh_u32_e32 v18, v10
	v_min_u32_e32 v18, 32, v18
	v_subrev_nc_u32_e32 v19, 28, v18
	v_sub_nc_u32_e32 v18, 29, v18
	v_lshlrev_b64 v[70:71], v19, v[10:11]
	v_and_b32_e32 v10, 7, v70
; %bb.502:                              ;   in Loop: Header=BB361_289 Depth=1
	s_or_b32 exec_lo, exec_lo, s16
	v_lshlrev_b32_sdwa v19, v37, v16 dst_sel:DWORD dst_unused:UNUSED_PAD src0_sel:DWORD src1_sel:BYTE_3
	v_lshlrev_b32_e32 v10, 20, v10
	v_lshl_add_u32 v18, v18, 23, 0x3c000000
	v_and_b32_e32 v19, 0x80000000, v19
	v_or3_b32 v70, v10, v19, v18
.LBB361_503:                            ;   in Loop: Header=BB361_289 Depth=1
	s_or_b32 exec_lo, exec_lo, s15
.LBB361_504:                            ;   in Loop: Header=BB361_289 Depth=1
	s_or_b32 exec_lo, exec_lo, s14
.LBB361_505:                            ;   in Loop: Header=BB361_289 Depth=1
	s_or_b32 exec_lo, exec_lo, s13
	v_mov_b32_e32 v10, v17
	v_cmp_ne_u16_sdwa s0, v17, v11 src0_sel:BYTE_0 src1_sel:DWORD
	v_mov_b32_e32 v18, 0
	v_mov_b32_e32 v71, 0
	s_and_saveexec_b32 s13, s0
	s_cbranch_execz .LBB361_511
; %bb.506:                              ;   in Loop: Header=BB361_289 Depth=1
	v_cmp_ne_u16_sdwa s0, v17, v33 src0_sel:BYTE_0 src1_sel:DWORD
	v_bfrev_b32_e32 v71, 1
	s_and_saveexec_b32 s14, s0
	s_cbranch_execz .LBB361_510
; %bb.507:                              ;   in Loop: Header=BB361_289 Depth=1
	v_and_b32_e32 v19, 0x7f, v17
	v_mov_b32_e32 v71, 0x7f800001
	s_mov_b32 s15, exec_lo
	v_cmpx_ne_u32_e32 0x7f, v19
	s_cbranch_execz .LBB361_509
; %bb.508:                              ;   in Loop: Header=BB361_289 Depth=1
	v_and_b32_e32 v71, 7, v17
	v_lshrrev_b32_e32 v72, 3, v19
	v_cmp_gt_u32_e64 s0, 8, v19
	v_ffbh_u32_e32 v71, v71
	v_min_u32_e32 v71, 32, v71
	v_subrev_nc_u32_e32 v73, 28, v71
	v_sub_nc_u32_e32 v71, 29, v71
	v_cndmask_b32_e64 v19, v72, v71, s0
	v_cndmask_b32_e64 v71, 0, v73, s0
	v_lshl_add_u32 v19, v19, 23, 0x3c000000
	v_lshlrev_b64 v[71:72], v71, v[10:11]
	v_lshlrev_b32_e32 v72, 24, v10
	v_lshlrev_b32_e32 v71, 20, v71
	v_and_b32_e32 v72, 0x80000000, v72
	v_and_b32_e32 v71, 0x700000, v71
	v_or3_b32 v71, v71, v72, v19
.LBB361_509:                            ;   in Loop: Header=BB361_289 Depth=1
	s_or_b32 exec_lo, exec_lo, s15
.LBB361_510:                            ;   in Loop: Header=BB361_289 Depth=1
	s_or_b32 exec_lo, exec_lo, s14
.LBB361_511:                            ;   in Loop: Header=BB361_289 Depth=1
	s_or_b32 exec_lo, exec_lo, s13
	v_cmp_ne_u16_sdwa s0, v10, v11 src0_sel:BYTE_1 src1_sel:DWORD
	s_and_saveexec_b32 s13, s0
	s_cbranch_execz .LBB361_519
; %bb.512:                              ;   in Loop: Header=BB361_289 Depth=1
	v_cmp_ne_u16_sdwa s0, v10, v33 src0_sel:BYTE_1 src1_sel:DWORD
	v_bfrev_b32_e32 v18, 1
	s_and_saveexec_b32 s14, s0
	s_cbranch_execz .LBB361_518
; %bb.513:                              ;   in Loop: Header=BB361_289 Depth=1
	v_and_b32_sdwa v19, v34, v10 dst_sel:DWORD dst_unused:UNUSED_PAD src0_sel:DWORD src1_sel:BYTE_1
	v_mov_b32_e32 v18, 0x7f800001
	s_mov_b32 s15, exec_lo
	v_and_b32_e32 v73, 0x7f, v19
	v_cmpx_ne_u32_e32 0x7f, v73
	s_cbranch_execz .LBB361_517
; %bb.514:                              ;   in Loop: Header=BB361_289 Depth=1
	v_and_b32_e32 v18, 7, v19
	v_mov_b32_e32 v19, v11
	v_lshrrev_b32_e32 v72, 3, v73
	s_mov_b32 s16, exec_lo
	v_cmpx_gt_u32_e32 8, v73
; %bb.515:                              ;   in Loop: Header=BB361_289 Depth=1
	v_ffbh_u32_e32 v72, v18
	v_min_u32_e32 v72, 32, v72
	v_subrev_nc_u32_e32 v73, 28, v72
	v_sub_nc_u32_e32 v72, 29, v72
	v_lshlrev_b64 v[18:19], v73, v[18:19]
	v_and_b32_e32 v18, 7, v18
; %bb.516:                              ;   in Loop: Header=BB361_289 Depth=1
	s_or_b32 exec_lo, exec_lo, s16
	v_lshlrev_b32_e32 v10, 16, v10
	v_lshlrev_b32_e32 v18, 20, v18
	v_lshl_add_u32 v19, v72, 23, 0x3c000000
	v_and_b32_e32 v10, 0x80000000, v10
	v_or3_b32 v18, v18, v10, v19
.LBB361_517:                            ;   in Loop: Header=BB361_289 Depth=1
	s_or_b32 exec_lo, exec_lo, s15
.LBB361_518:                            ;   in Loop: Header=BB361_289 Depth=1
	s_or_b32 exec_lo, exec_lo, s14
.LBB361_519:                            ;   in Loop: Header=BB361_289 Depth=1
	s_or_b32 exec_lo, exec_lo, s13
	v_and_b32_sdwa v10, v17, v35 dst_sel:DWORD dst_unused:UNUSED_PAD src0_sel:WORD_1 src1_sel:DWORD
	v_mov_b32_e32 v19, 0
	v_mov_b32_e32 v72, 0
	s_mov_b32 s13, exec_lo
	v_cmpx_ne_u16_e32 0, v10
	s_cbranch_execz .LBB361_527
; %bb.520:                              ;   in Loop: Header=BB361_289 Depth=1
	v_bfrev_b32_e32 v72, 1
	s_mov_b32 s14, exec_lo
	v_cmpx_ne_u16_e32 0x80, v10
	s_cbranch_execz .LBB361_526
; %bb.521:                              ;   in Loop: Header=BB361_289 Depth=1
	v_bfe_u32 v73, v17, 16, 7
	v_mov_b32_e32 v72, 0x7f800001
	s_mov_b32 s15, exec_lo
	v_cmpx_ne_u32_e32 0x7f, v73
	s_cbranch_execz .LBB361_525
; %bb.522:                              ;   in Loop: Header=BB361_289 Depth=1
	v_and_b32_sdwa v10, v17, v36 dst_sel:DWORD dst_unused:UNUSED_PAD src0_sel:WORD_1 src1_sel:DWORD
	v_lshrrev_b32_e32 v72, 3, v73
	s_mov_b32 s16, exec_lo
	v_cmpx_gt_u32_e32 8, v73
; %bb.523:                              ;   in Loop: Header=BB361_289 Depth=1
	v_ffbh_u32_e32 v72, v10
	v_min_u32_e32 v72, 32, v72
	v_subrev_nc_u32_e32 v73, 28, v72
	v_sub_nc_u32_e32 v72, 29, v72
	v_lshlrev_b64 v[73:74], v73, v[10:11]
	v_and_b32_e32 v10, 7, v73
; %bb.524:                              ;   in Loop: Header=BB361_289 Depth=1
	s_or_b32 exec_lo, exec_lo, s16
	v_lshlrev_b32_sdwa v73, v37, v17 dst_sel:DWORD dst_unused:UNUSED_PAD src0_sel:DWORD src1_sel:WORD_1
	v_lshlrev_b32_e32 v10, 20, v10
	v_lshl_add_u32 v72, v72, 23, 0x3c000000
	v_and_b32_e32 v73, 0x80000000, v73
	v_or3_b32 v72, v10, v73, v72
.LBB361_525:                            ;   in Loop: Header=BB361_289 Depth=1
	s_or_b32 exec_lo, exec_lo, s15
.LBB361_526:                            ;   in Loop: Header=BB361_289 Depth=1
	s_or_b32 exec_lo, exec_lo, s14
.LBB361_527:                            ;   in Loop: Header=BB361_289 Depth=1
	s_or_b32 exec_lo, exec_lo, s13
	s_mov_b32 s13, exec_lo
	v_cmpx_lt_u64_e64 s[4:5], v[16:17]
	s_cbranch_execz .LBB361_535
; %bb.528:                              ;   in Loop: Header=BB361_289 Depth=1
	v_cmp_ne_u32_sdwa s0, v17, v33 src0_sel:BYTE_3 src1_sel:DWORD
	v_bfrev_b32_e32 v19, 1
	s_and_saveexec_b32 s14, s0
	s_cbranch_execz .LBB361_534
; %bb.529:                              ;   in Loop: Header=BB361_289 Depth=1
	v_bfe_u32 v73, v17, 24, 7
	v_mov_b32_e32 v19, 0x7f800001
	s_mov_b32 s15, exec_lo
	v_cmpx_ne_u32_e32 0x7f, v73
	s_cbranch_execz .LBB361_533
; %bb.530:                              ;   in Loop: Header=BB361_289 Depth=1
	v_and_b32_sdwa v10, v17, v36 dst_sel:DWORD dst_unused:UNUSED_PAD src0_sel:BYTE_3 src1_sel:DWORD
	v_lshrrev_b32_e32 v16, 3, v73
	s_mov_b32 s16, exec_lo
	v_cmpx_gt_u32_e32 8, v73
; %bb.531:                              ;   in Loop: Header=BB361_289 Depth=1
	v_ffbh_u32_e32 v16, v10
	v_min_u32_e32 v16, 32, v16
	v_subrev_nc_u32_e32 v19, 28, v16
	v_sub_nc_u32_e32 v16, 29, v16
	v_lshlrev_b64 v[73:74], v19, v[10:11]
	v_and_b32_e32 v10, 7, v73
; %bb.532:                              ;   in Loop: Header=BB361_289 Depth=1
	s_or_b32 exec_lo, exec_lo, s16
	v_lshlrev_b32_sdwa v17, v37, v17 dst_sel:DWORD dst_unused:UNUSED_PAD src0_sel:DWORD src1_sel:BYTE_3
	v_lshlrev_b32_e32 v10, 20, v10
	v_lshl_add_u32 v16, v16, 23, 0x3c000000
	v_and_b32_e32 v17, 0x80000000, v17
	v_or3_b32 v19, v10, v17, v16
.LBB361_533:                            ;   in Loop: Header=BB361_289 Depth=1
	s_or_b32 exec_lo, exec_lo, s15
.LBB361_534:                            ;   in Loop: Header=BB361_289 Depth=1
	s_or_b32 exec_lo, exec_lo, s14
.LBB361_535:                            ;   in Loop: Header=BB361_289 Depth=1
	s_or_b32 exec_lo, exec_lo, s13
	v_mul_f32_e32 v10, s6, v18
	v_mul_f32_e32 v16, s6, v71
	;; [unrolled: 1-line block ×5, first 2 shown]
	v_bfe_u32 v69, v10, 16, 1
	v_or_b32_e32 v70, 0x400000, v10
	v_bfe_u32 v71, v16, 16, 1
	v_cmp_u_f32_e64 s0, v10, v10
	v_or_b32_e32 v73, 0x400000, v16
	v_add3_u32 v69, v69, v10, 0x7fff
	v_bfe_u32 v74, v17, 16, 1
	v_add3_u32 v71, v71, v16, 0x7fff
	v_or_b32_e32 v75, 0x400000, v17
	v_bfe_u32 v76, v18, 16, 1
	v_cndmask_b32_e64 v10, v69, v70, s0
	v_cmp_u_f32_e64 s0, v16, v16
	v_add3_u32 v74, v74, v17, 0x7fff
	v_or_b32_e32 v70, 0x400000, v18
	v_add3_u32 v69, v76, v18, 0x7fff
	v_mul_f32_e32 v67, s6, v67
	v_cndmask_b32_e64 v16, v71, v73, s0
	v_cmp_u_f32_e64 s0, v17, v17
	v_bfe_u32 v71, v68, 16, 1
	v_mul_f32_e32 v19, s6, v19
	v_lshrrev_b32_e32 v10, 16, v10
	v_lshrrev_b32_e32 v16, 16, v16
	v_cndmask_b32_e64 v17, v74, v75, s0
	v_cmp_u_f32_e64 s0, v18, v18
	v_or_b32_e32 v75, 0x400000, v19
	v_lshrrev_b32_e32 v17, 16, v17
	v_cndmask_b32_e64 v18, v69, v70, s0
	v_mul_f32_e32 v69, s6, v72
	v_add3_u32 v70, v71, v68, 0x7fff
	v_or_b32_e32 v71, 0x400000, v68
	v_bfe_u32 v72, v67, 16, 1
	v_cmp_u_f32_e64 s0, v68, v68
	v_bfe_u32 v73, v69, 16, 1
	v_or_b32_e32 v74, 0x400000, v69
	v_cndmask_b32_e64 v68, v70, v71, s0
	v_add3_u32 v71, v72, v67, 0x7fff
	v_or_b32_e32 v72, 0x400000, v67
	v_cmp_u_f32_e64 s0, v67, v67
	v_bfe_u32 v70, v19, 16, 1
	v_add3_u32 v73, v73, v69, 0x7fff
	v_lshrrev_b32_e32 v67, 16, v18
	v_lshrrev_b32_e32 v68, 16, v68
	v_cndmask_b32_e64 v71, v71, v72, s0
	v_cmp_u_f32_e64 s0, v69, v69
	v_add3_u32 v70, v70, v19, 0x7fff
	v_lshrrev_b32_e32 v69, 16, v71
	v_cndmask_b32_e64 v72, v73, v74, s0
	v_cmp_u_f32_e64 s0, v19, v19
	v_lshrrev_b32_e32 v19, 16, v72
	v_cndmask_b32_e64 v70, v70, v75, s0
	v_lshrrev_b32_e32 v18, 16, v70
	s_and_saveexec_b32 s0, vcc_lo
	s_cbranch_execz .LBB361_288
; %bb.536:                              ;   in Loop: Header=BB361_289 Depth=1
	v_cmp_gt_i32_e32 vcc_lo, s27, v46
	v_cndmask_b32_e32 v69, 0, v69, vcc_lo
	v_cmp_gt_i32_e32 vcc_lo, s27, v52
	v_cndmask_b32_e32 v68, 0, v68, vcc_lo
	;; [unrolled: 2-line block ×8, first 2 shown]
	s_branch .LBB361_288
.LBB361_537:
	s_or_b32 exec_lo, exec_lo, s12
.LBB361_538:
	s_or_b32 exec_lo, exec_lo, s1
	ds_bpermute_b32 v1, v26, v29
	ds_bpermute_b32 v2, v26, v30
	ds_bpermute_b32 v8, v26, v28
	ds_bpermute_b32 v9, v26, v27
	v_lshrrev_b32_e32 v5, 1, v25
	v_lshlrev_b32_e32 v7, 8, v24
	v_and_b32_e32 v10, 0x3c1, v0
	s_mov_b32 s0, exec_lo
	s_waitcnt lgkmcnt(0)
	s_waitcnt_vscnt null, 0x0
	v_lshl_add_u32 v6, v5, 2, 0xa0
	s_barrier
	buffer_gl0_inv
	v_add_f32_e32 v4, v29, v1
	v_add_f32_e32 v3, v30, v2
	;; [unrolled: 1-line block ×4, first 2 shown]
	v_cmpx_eq_u32_e32 64, v10
	s_cbranch_execz .LBB361_540
; %bb.539:
	v_add_nc_u32_e32 v8, v6, v7
	v_add_nc_u32_e32 v9, 0xfffffe00, v8
	;; [unrolled: 1-line block ×5, first 2 shown]
	ds_write_b32 v9, v4
	ds_write_b32 v10, v3
	;; [unrolled: 1-line block ×4, first 2 shown]
.LBB361_540:
	s_or_b32 exec_lo, exec_lo, s0
	v_lshlrev_b32_e32 v5, 2, v5
	s_mov_b32 s1, exec_lo
	v_cmp_eq_u32_e32 vcc_lo, 0, v23
	s_waitcnt lgkmcnt(0)
	s_barrier
	v_add3_u32 v5, 0xa0, v7, v5
	buffer_gl0_inv
	v_cmpx_gt_u32_e32 64, v0
	s_cbranch_execz .LBB361_547
; %bb.541:
	s_and_saveexec_b32 s0, vcc_lo
	s_cbranch_execnz .LBB361_559
; %bb.542:
	s_or_b32 exec_lo, exec_lo, s0
	s_and_saveexec_b32 s0, vcc_lo
	s_cbranch_execnz .LBB361_560
.LBB361_543:
	s_or_b32 exec_lo, exec_lo, s0
	s_and_saveexec_b32 s0, vcc_lo
	s_cbranch_execnz .LBB361_561
.LBB361_544:
	s_or_b32 exec_lo, exec_lo, s0
	s_and_saveexec_b32 s0, vcc_lo
	s_cbranch_execz .LBB361_546
.LBB361_545:
	ds_read_b32 v7, v5 offset:192
	s_waitcnt lgkmcnt(0)
	v_add_f32_e32 v1, v1, v7
.LBB361_546:
	s_or_b32 exec_lo, exec_lo, s0
.LBB361_547:
	s_or_b32 exec_lo, exec_lo, s1
	v_and_b32_e32 v7, 0x3e1, v0
	s_mov_b32 s1, exec_lo
	s_barrier
	buffer_gl0_inv
	v_cmpx_eq_u32_e32 32, v7
	s_cbranch_execz .LBB361_549
; %bb.548:
	ds_write2_b32 v6, v4, v3 offset1:16
	ds_write2_b32 v6, v2, v1 offset0:32 offset1:48
.LBB361_549:
	s_or_b32 exec_lo, exec_lo, s1
	s_mov_b32 s1, exec_lo
	s_waitcnt lgkmcnt(0)
	s_barrier
	buffer_gl0_inv
	v_cmpx_gt_u32_e32 32, v0
	s_cbranch_execz .LBB361_556
; %bb.550:
	s_and_saveexec_b32 s0, vcc_lo
	s_cbranch_execnz .LBB361_562
; %bb.551:
	s_or_b32 exec_lo, exec_lo, s0
	s_and_saveexec_b32 s0, vcc_lo
	s_cbranch_execnz .LBB361_563
.LBB361_552:
	s_or_b32 exec_lo, exec_lo, s0
	s_and_saveexec_b32 s0, vcc_lo
	s_cbranch_execnz .LBB361_564
.LBB361_553:
	s_or_b32 exec_lo, exec_lo, s0
	s_and_saveexec_b32 s0, vcc_lo
	s_cbranch_execz .LBB361_555
.LBB361_554:
	ds_read_b32 v0, v5 offset:192
	s_waitcnt lgkmcnt(0)
	v_add_f32_e32 v1, v1, v0
.LBB361_555:
	s_or_b32 exec_lo, exec_lo, s0
.LBB361_556:
	s_or_b32 exec_lo, exec_lo, s1
	s_barrier
	buffer_gl0_inv
	s_mov_b32 s0, exec_lo
	v_cmpx_eq_u32_e32 0, v7
	s_cbranch_execz .LBB361_558
; %bb.557:
	v_bfe_u32 v5, v4, 16, 1
	v_or_b32_e32 v6, 0x400000, v4
	v_bfe_u32 v7, v3, 16, 1
	v_cmp_u_f32_e32 vcc_lo, v4, v4
	s_lshl_b32 s0, s2, 6
	v_add3_u32 v5, v5, v4, 0x7fff
	s_ashr_i32 s1, s0, 31
	v_bfe_u32 v8, v2, 16, 1
	s_lshl_b64 s[0:1], s[0:1], 1
	s_mul_i32 s2, s7, s10
	v_cndmask_b32_e32 v4, v5, v6, vcc_lo
	v_add3_u32 v6, v7, v3, 0x7fff
	v_or_b32_e32 v7, 0x400000, v3
	v_cmp_u_f32_e32 vcc_lo, v3, v3
	s_add_u32 s4, s24, s0
	s_addc_u32 s5, s25, s1
	s_ashr_i32 s3, s2, 31
	v_bfe_u32 v5, v1, 16, 1
	s_lshl_b64 s[0:1], s[2:3], 1
	v_add3_u32 v8, v8, v2, 0x7fff
	v_or_b32_e32 v9, 0x400000, v2
	v_cndmask_b32_e32 v3, v6, v7, vcc_lo
	v_cmp_u_f32_e32 vcc_lo, v2, v2
	s_add_u32 s2, s4, s0
	s_addc_u32 s3, s5, s1
	s_lshl_b32 s0, s8, 6
	v_add3_u32 v5, v5, v1, 0x7fff
	s_ashr_i32 s1, s0, 31
	v_or_b32_e32 v10, 0x400000, v1
	v_cndmask_b32_e32 v2, v8, v9, vcc_lo
	v_cmp_u_f32_e32 vcc_lo, v1, v1
	v_lshlrev_b32_e32 v0, 1, v22
	s_lshl_b64 s[0:1], s[0:1], 1
	s_add_u32 s0, s2, s0
	s_addc_u32 s1, s3, s1
	v_cndmask_b32_e32 v1, v5, v10, vcc_lo
	global_store_short_d16_hi v0, v4, s[0:1]
	global_store_short_d16_hi v0, v3, s[0:1] offset:32
	global_store_short_d16_hi v0, v2, s[0:1] offset:64
	;; [unrolled: 1-line block ×3, first 2 shown]
.LBB361_558:
	s_endpgm
.LBB361_559:
	ds_read_b32 v7, v5
	s_waitcnt lgkmcnt(0)
	v_add_f32_e32 v4, v4, v7
	s_or_b32 exec_lo, exec_lo, s0
	s_and_saveexec_b32 s0, vcc_lo
	s_cbranch_execz .LBB361_543
.LBB361_560:
	ds_read_b32 v7, v5 offset:64
	s_waitcnt lgkmcnt(0)
	v_add_f32_e32 v3, v3, v7
	s_or_b32 exec_lo, exec_lo, s0
	s_and_saveexec_b32 s0, vcc_lo
	s_cbranch_execz .LBB361_544
.LBB361_561:
	ds_read_b32 v7, v5 offset:128
	s_waitcnt lgkmcnt(0)
	v_add_f32_e32 v2, v2, v7
	s_or_b32 exec_lo, exec_lo, s0
	s_and_saveexec_b32 s0, vcc_lo
	s_cbranch_execnz .LBB361_545
	s_branch .LBB361_546
.LBB361_562:
	ds_read_b32 v0, v5
	s_waitcnt lgkmcnt(0)
	v_add_f32_e32 v4, v4, v0
	s_or_b32 exec_lo, exec_lo, s0
	s_and_saveexec_b32 s0, vcc_lo
	s_cbranch_execz .LBB361_552
.LBB361_563:
	ds_read_b32 v0, v5 offset:64
	s_waitcnt lgkmcnt(0)
	v_add_f32_e32 v3, v3, v0
	s_or_b32 exec_lo, exec_lo, s0
	s_and_saveexec_b32 s0, vcc_lo
	s_cbranch_execz .LBB361_553
.LBB361_564:
	ds_read_b32 v0, v5 offset:128
	s_waitcnt lgkmcnt(0)
	v_add_f32_e32 v2, v2, v0
	s_or_b32 exec_lo, exec_lo, s0
	s_and_saveexec_b32 s0, vcc_lo
	s_cbranch_execnz .LBB361_554
	s_branch .LBB361_555
	.section	.rodata,"a",@progbits
	.p2align	6, 0x0
	.amdhsa_kernel _ZN4vllm25paged_attention_v2_kernelI14__hip_bfloat16hLi64ELi16ELi128ELNS_18Fp8KVCacheDataTypeE1ELb0ELi512EEEvPfS3_PT_PKS4_PKT0_SA_ifPKiSC_iPKfiiiSE_SE_iiiii
		.amdhsa_group_segment_fixed_size 160
		.amdhsa_private_segment_fixed_size 0
		.amdhsa_kernarg_size 400
		.amdhsa_user_sgpr_count 6
		.amdhsa_user_sgpr_private_segment_buffer 1
		.amdhsa_user_sgpr_dispatch_ptr 0
		.amdhsa_user_sgpr_queue_ptr 0
		.amdhsa_user_sgpr_kernarg_segment_ptr 1
		.amdhsa_user_sgpr_dispatch_id 0
		.amdhsa_user_sgpr_flat_scratch_init 0
		.amdhsa_user_sgpr_private_segment_size 0
		.amdhsa_wavefront_size32 1
		.amdhsa_uses_dynamic_stack 0
		.amdhsa_system_sgpr_private_segment_wavefront_offset 0
		.amdhsa_system_sgpr_workgroup_id_x 1
		.amdhsa_system_sgpr_workgroup_id_y 1
		.amdhsa_system_sgpr_workgroup_id_z 1
		.amdhsa_system_sgpr_workgroup_info 0
		.amdhsa_system_vgpr_workitem_id 0
		.amdhsa_next_free_vgpr 94
		.amdhsa_next_free_sgpr 42
		.amdhsa_reserve_vcc 1
		.amdhsa_reserve_flat_scratch 0
		.amdhsa_float_round_mode_32 0
		.amdhsa_float_round_mode_16_64 0
		.amdhsa_float_denorm_mode_32 3
		.amdhsa_float_denorm_mode_16_64 3
		.amdhsa_dx10_clamp 1
		.amdhsa_ieee_mode 1
		.amdhsa_fp16_overflow 0
		.amdhsa_workgroup_processor_mode 1
		.amdhsa_memory_ordered 1
		.amdhsa_forward_progress 1
		.amdhsa_shared_vgpr_count 0
		.amdhsa_exception_fp_ieee_invalid_op 0
		.amdhsa_exception_fp_denorm_src 0
		.amdhsa_exception_fp_ieee_div_zero 0
		.amdhsa_exception_fp_ieee_overflow 0
		.amdhsa_exception_fp_ieee_underflow 0
		.amdhsa_exception_fp_ieee_inexact 0
		.amdhsa_exception_int_div_zero 0
	.end_amdhsa_kernel
	.section	.text._ZN4vllm25paged_attention_v2_kernelI14__hip_bfloat16hLi64ELi16ELi128ELNS_18Fp8KVCacheDataTypeE1ELb0ELi512EEEvPfS3_PT_PKS4_PKT0_SA_ifPKiSC_iPKfiiiSE_SE_iiiii,"axG",@progbits,_ZN4vllm25paged_attention_v2_kernelI14__hip_bfloat16hLi64ELi16ELi128ELNS_18Fp8KVCacheDataTypeE1ELb0ELi512EEEvPfS3_PT_PKS4_PKT0_SA_ifPKiSC_iPKfiiiSE_SE_iiiii,comdat
.Lfunc_end361:
	.size	_ZN4vllm25paged_attention_v2_kernelI14__hip_bfloat16hLi64ELi16ELi128ELNS_18Fp8KVCacheDataTypeE1ELb0ELi512EEEvPfS3_PT_PKS4_PKT0_SA_ifPKiSC_iPKfiiiSE_SE_iiiii, .Lfunc_end361-_ZN4vllm25paged_attention_v2_kernelI14__hip_bfloat16hLi64ELi16ELi128ELNS_18Fp8KVCacheDataTypeE1ELb0ELi512EEEvPfS3_PT_PKS4_PKT0_SA_ifPKiSC_iPKfiiiSE_SE_iiiii
                                        ; -- End function
	.set _ZN4vllm25paged_attention_v2_kernelI14__hip_bfloat16hLi64ELi16ELi128ELNS_18Fp8KVCacheDataTypeE1ELb0ELi512EEEvPfS3_PT_PKS4_PKT0_SA_ifPKiSC_iPKfiiiSE_SE_iiiii.num_vgpr, 94
	.set _ZN4vllm25paged_attention_v2_kernelI14__hip_bfloat16hLi64ELi16ELi128ELNS_18Fp8KVCacheDataTypeE1ELb0ELi512EEEvPfS3_PT_PKS4_PKT0_SA_ifPKiSC_iPKfiiiSE_SE_iiiii.num_agpr, 0
	.set _ZN4vllm25paged_attention_v2_kernelI14__hip_bfloat16hLi64ELi16ELi128ELNS_18Fp8KVCacheDataTypeE1ELb0ELi512EEEvPfS3_PT_PKS4_PKT0_SA_ifPKiSC_iPKfiiiSE_SE_iiiii.numbered_sgpr, 42
	.set _ZN4vllm25paged_attention_v2_kernelI14__hip_bfloat16hLi64ELi16ELi128ELNS_18Fp8KVCacheDataTypeE1ELb0ELi512EEEvPfS3_PT_PKS4_PKT0_SA_ifPKiSC_iPKfiiiSE_SE_iiiii.num_named_barrier, 0
	.set _ZN4vllm25paged_attention_v2_kernelI14__hip_bfloat16hLi64ELi16ELi128ELNS_18Fp8KVCacheDataTypeE1ELb0ELi512EEEvPfS3_PT_PKS4_PKT0_SA_ifPKiSC_iPKfiiiSE_SE_iiiii.private_seg_size, 0
	.set _ZN4vllm25paged_attention_v2_kernelI14__hip_bfloat16hLi64ELi16ELi128ELNS_18Fp8KVCacheDataTypeE1ELb0ELi512EEEvPfS3_PT_PKS4_PKT0_SA_ifPKiSC_iPKfiiiSE_SE_iiiii.uses_vcc, 1
	.set _ZN4vllm25paged_attention_v2_kernelI14__hip_bfloat16hLi64ELi16ELi128ELNS_18Fp8KVCacheDataTypeE1ELb0ELi512EEEvPfS3_PT_PKS4_PKT0_SA_ifPKiSC_iPKfiiiSE_SE_iiiii.uses_flat_scratch, 0
	.set _ZN4vllm25paged_attention_v2_kernelI14__hip_bfloat16hLi64ELi16ELi128ELNS_18Fp8KVCacheDataTypeE1ELb0ELi512EEEvPfS3_PT_PKS4_PKT0_SA_ifPKiSC_iPKfiiiSE_SE_iiiii.has_dyn_sized_stack, 0
	.set _ZN4vllm25paged_attention_v2_kernelI14__hip_bfloat16hLi64ELi16ELi128ELNS_18Fp8KVCacheDataTypeE1ELb0ELi512EEEvPfS3_PT_PKS4_PKT0_SA_ifPKiSC_iPKfiiiSE_SE_iiiii.has_recursion, 0
	.set _ZN4vllm25paged_attention_v2_kernelI14__hip_bfloat16hLi64ELi16ELi128ELNS_18Fp8KVCacheDataTypeE1ELb0ELi512EEEvPfS3_PT_PKS4_PKT0_SA_ifPKiSC_iPKfiiiSE_SE_iiiii.has_indirect_call, 0
	.section	.AMDGPU.csdata,"",@progbits
; Kernel info:
; codeLenInByte = 21304
; TotalNumSgprs: 44
; NumVgprs: 94
; ScratchSize: 0
; MemoryBound: 0
; FloatMode: 240
; IeeeMode: 1
; LDSByteSize: 160 bytes/workgroup (compile time only)
; SGPRBlocks: 0
; VGPRBlocks: 11
; NumSGPRsForWavesPerEU: 44
; NumVGPRsForWavesPerEU: 94
; Occupancy: 10
; WaveLimiterHint : 1
; COMPUTE_PGM_RSRC2:SCRATCH_EN: 0
; COMPUTE_PGM_RSRC2:USER_SGPR: 6
; COMPUTE_PGM_RSRC2:TRAP_HANDLER: 0
; COMPUTE_PGM_RSRC2:TGID_X_EN: 1
; COMPUTE_PGM_RSRC2:TGID_Y_EN: 1
; COMPUTE_PGM_RSRC2:TGID_Z_EN: 1
; COMPUTE_PGM_RSRC2:TIDIG_COMP_CNT: 0
	.section	.text._ZN4vllm25paged_attention_v2_kernelI14__hip_bfloat16hLi80ELi16ELi128ELNS_18Fp8KVCacheDataTypeE1ELb0ELi512EEEvPfS3_PT_PKS4_PKT0_SA_ifPKiSC_iPKfiiiSE_SE_iiiii,"axG",@progbits,_ZN4vllm25paged_attention_v2_kernelI14__hip_bfloat16hLi80ELi16ELi128ELNS_18Fp8KVCacheDataTypeE1ELb0ELi512EEEvPfS3_PT_PKS4_PKT0_SA_ifPKiSC_iPKfiiiSE_SE_iiiii,comdat
	.protected	_ZN4vllm25paged_attention_v2_kernelI14__hip_bfloat16hLi80ELi16ELi128ELNS_18Fp8KVCacheDataTypeE1ELb0ELi512EEEvPfS3_PT_PKS4_PKT0_SA_ifPKiSC_iPKfiiiSE_SE_iiiii ; -- Begin function _ZN4vllm25paged_attention_v2_kernelI14__hip_bfloat16hLi80ELi16ELi128ELNS_18Fp8KVCacheDataTypeE1ELb0ELi512EEEvPfS3_PT_PKS4_PKT0_SA_ifPKiSC_iPKfiiiSE_SE_iiiii
	.globl	_ZN4vllm25paged_attention_v2_kernelI14__hip_bfloat16hLi80ELi16ELi128ELNS_18Fp8KVCacheDataTypeE1ELb0ELi512EEEvPfS3_PT_PKS4_PKT0_SA_ifPKiSC_iPKfiiiSE_SE_iiiii
	.p2align	8
	.type	_ZN4vllm25paged_attention_v2_kernelI14__hip_bfloat16hLi80ELi16ELi128ELNS_18Fp8KVCacheDataTypeE1ELb0ELi512EEEvPfS3_PT_PKS4_PKT0_SA_ifPKiSC_iPKfiiiSE_SE_iiiii,@function
_ZN4vllm25paged_attention_v2_kernelI14__hip_bfloat16hLi80ELi16ELi128ELNS_18Fp8KVCacheDataTypeE1ELb0ELi512EEEvPfS3_PT_PKS4_PKT0_SA_ifPKiSC_iPKfiiiSE_SE_iiiii: ; @_ZN4vllm25paged_attention_v2_kernelI14__hip_bfloat16hLi80ELi16ELi128ELNS_18Fp8KVCacheDataTypeE1ELb0ELi512EEEvPfS3_PT_PKS4_PKT0_SA_ifPKiSC_iPKfiiiSE_SE_iiiii
; %bb.0:
	s_load_dwordx2 s[0:1], s[4:5], 0x40
	s_mov_b32 s26, s7
	s_ashr_i32 s27, s7, 31
	s_lshl_b64 s[2:3], s[26:27], 2
	s_waitcnt lgkmcnt(0)
	s_add_u32 s0, s0, s2
	s_addc_u32 s1, s1, s3
	s_lshl_b32 s33, s8, 9
	s_load_dword s27, s[0:1], 0x0
	s_waitcnt lgkmcnt(0)
	s_cmp_ge_i32 s33, s27
	s_cbranch_scc1 .LBB362_686
; %bb.1:
	s_clause 0x1
	s_load_dword s9, s[4:5], 0x90
	s_load_dwordx2 s[36:37], s[4:5], 0x30
	s_waitcnt lgkmcnt(0)
	s_abs_i32 s3, s9
	s_abs_i32 s0, s36
	v_cvt_f32_u32_e32 v1, s0
	s_sub_i32 s2, 0, s0
	v_rcp_iflag_f32_e32 v1, v1
	v_mul_f32_e32 v1, 0x4f7ffffe, v1
	v_cvt_u32_f32_e32 v1, v1
	v_readfirstlane_b32 s1, v1
	s_mul_i32 s2, s2, s1
	s_mul_hi_u32 s2, s1, s2
	s_add_i32 s1, s1, s2
	s_xor_b32 s2, s9, s36
	s_mul_hi_u32 s1, s3, s1
	s_ashr_i32 s2, s2, 31
	s_mul_i32 s7, s1, s0
	s_mov_b32 s36, 0
	s_sub_i32 s3, s3, s7
	s_add_i32 s7, s1, 1
	s_sub_i32 s10, s3, s0
	s_cmp_ge_u32 s3, s0
	s_cselect_b32 s1, s7, s1
	s_cselect_b32 s3, s10, s3
	s_add_i32 s7, s1, 1
	s_cmp_ge_u32 s3, s0
	s_cselect_b32 s0, s7, s1
	s_abs_i32 s16, s6
	s_xor_b32 s0, s0, s2
	s_sub_i32 s10, s0, s2
	s_load_dwordx2 s[0:1], s[4:5], 0x50
	s_abs_i32 s2, s10
	v_cvt_f32_u32_e32 v1, s2
	s_sub_i32 s7, 0, s2
	v_rcp_iflag_f32_e32 v1, v1
	v_mul_f32_e32 v1, 0x4f7ffffe, v1
	v_cvt_u32_f32_e32 v1, v1
	v_readfirstlane_b32 s3, v1
	s_mul_i32 s7, s7, s3
	s_mul_hi_u32 s7, s3, s7
	s_add_i32 s3, s3, s7
	s_waitcnt lgkmcnt(0)
	s_cmp_eq_u64 s[0:1], 0
	s_mul_hi_u32 s3, s16, s3
	s_cbranch_scc1 .LBB362_3
; %bb.2:
	s_ashr_i32 s7, s6, 31
	s_lshl_b64 s[12:13], s[6:7], 2
	s_add_u32 s0, s0, s12
	s_addc_u32 s1, s1, s13
	s_load_dword s36, s[0:1], 0x0
.LBB362_3:
	s_load_dwordx4 s[12:15], s[4:5], 0x58
	v_lshrrev_b32_e32 v22, 1, v0
	v_and_b32_e32 v23, 1, v0
	v_lshlrev_b32_e32 v11, 3, v0
	s_ashr_i32 s0, s6, 31
	s_ashr_i32 s1, s10, 31
	s_mul_i32 s10, s6, 0x50
	s_mov_b32 s7, exec_lo
	v_cmpx_gt_u32_e32 20, v0
	s_cbranch_execz .LBB362_5
; %bb.4:
	s_load_dwordx2 s[18:19], s[4:5], 0x18
	s_waitcnt lgkmcnt(0)
	s_mul_i32 s20, s12, s26
	v_lshlrev_b32_e32 v3, 3, v22
	s_ashr_i32 s21, s20, 31
	s_lshl_b64 s[20:21], s[20:21], 1
	v_mad_u32_u24 v3, 0x50, v23, v3
	s_add_u32 s12, s18, s20
	s_addc_u32 s15, s19, s21
	s_ashr_i32 s11, s10, 31
	s_lshl_b64 s[18:19], s[10:11], 1
	s_add_u32 s18, s12, s18
	s_addc_u32 s19, s15, s19
	global_load_dwordx2 v[1:2], v11, s[18:19]
	s_waitcnt vmcnt(0)
	ds_write_b64 v3, v[1:2]
.LBB362_5:
	s_or_b32 exec_lo, exec_lo, s7
	s_add_i32 s7, s27, 15
	s_clause 0x1
	s_load_dwordx2 s[28:29], s[4:5], 0x38
	s_load_dword s17, s[4:5], 0x48
	s_ashr_i32 s11, s7, 31
	s_waitcnt lgkmcnt(0)
	s_lshl_b32 s15, s8, 5
	s_lshr_b32 s11, s11, 28
	s_xor_b32 s0, s0, s1
	s_add_i32 s7, s7, s11
	s_add_i32 s1, s15, 32
	s_ashr_i32 s12, s7, 4
	s_mul_i32 s7, s3, s2
	s_min_i32 s11, s1, s12
	s_sub_i32 s1, s16, s7
	s_add_i32 s7, s3, 1
	s_sub_i32 s16, s1, s2
	s_cmp_ge_u32 s1, s2
	v_lshrrev_b32_e32 v24, 5, v0
	s_cselect_b32 s3, s7, s3
	s_cselect_b32 s1, s16, s1
	s_add_i32 s7, s3, 1
	s_cmp_ge_u32 s1, s2
	v_or_b32_e32 v9, s15, v24
	s_cselect_b32 s1, s7, s3
	v_mbcnt_lo_u32_b32 v12, -1, 0
	s_xor_b32 s1, s1, s0
	s_mul_i32 s30, s17, s26
	s_sub_i32 s1, s1, s0
	v_cmp_gt_i32_e64 s0, s11, v9
	s_ashr_i32 s31, s30, 31
	s_mov_b32 s2, exec_lo
	s_barrier
	buffer_gl0_inv
                                        ; implicit-def: $vgpr2
                                        ; implicit-def: $vgpr13
	v_cmpx_le_i32_e64 s11, v9
	s_xor_b32 s2, exec_lo, s2
; %bb.6:
	v_mov_b32_e32 v2, 0
	v_mbcnt_lo_u32_b32 v12, -1, 0
	v_mov_b32_e32 v13, 32
; %bb.7:
	s_or_saveexec_b32 s38, s2
	s_clause 0x4
	s_load_dwordx4 s[20:23], s[4:5], 0x0
	s_load_dwordx2 s[24:25], s[4:5], 0x10
	s_load_dword s7, s[4:5], 0x98
	s_load_dwordx2 s[34:35], s[4:5], 0x28
	s_load_dwordx4 s[16:19], s[4:5], 0x68
	v_mov_b32_e32 v54, 0xff7fffff
	v_ashrrev_i32_e32 v10, 31, v9
	s_mul_i32 s14, s1, s14
	s_xor_b32 exec_lo, exec_lo, s38
	s_cbranch_execz .LBB362_333
; %bb.8:
	v_mul_u32_u24_e32 v13, 0x50, v23
	s_load_dwordx2 s[2:3], s[4:5], 0x20
	v_bfe_u32 v54, v0, 1, 4
	s_ashr_i32 s1, s14, 31
	v_lshlrev_b32_e32 v59, 2, v23
	ds_read_b128 v[1:4], v13
	ds_read_b128 v[5:8], v13 offset:16
	v_lshlrev_b32_e32 v14, 4, v54
	ds_read_b128 v[37:40], v13 offset:32
	ds_read_b128 v[45:48], v13 offset:48
	s_waitcnt lgkmcnt(0)
	s_load_dword s4, s[16:17], 0x0
	v_mov_b32_e32 v62, 0xffff
	v_mov_b32_e32 v63, 0xff
	;; [unrolled: 1-line block ×5, first 2 shown]
	s_mov_b32 s17, s13
	s_mov_b32 s16, 0
	s_add_u32 s2, s2, s14
	s_addc_u32 s1, s3, s1
	v_add_co_u32 v60, s2, s2, v14
	v_lshlrev_b32_e32 v14, 16, v1
	v_and_b32_e32 v15, 0xffff0000, v1
	v_lshlrev_b32_e32 v16, 16, v2
	v_and_b32_e32 v17, 0xffff0000, v2
	;; [unrolled: 2-line block ×4, first 2 shown]
	ds_read_b128 v[1:4], v13 offset:64
	v_lshlrev_b32_e32 v25, 16, v5
	v_and_b32_e32 v26, 0xffff0000, v5
	v_xor_b32_e32 v5, 1, v12
	v_add_co_ci_u32_e64 v61, null, s1, 0, s2
	s_sub_i32 s5, 1, s27
	v_lshlrev_b32_e32 v27, 16, v6
	v_cmp_gt_i32_e32 vcc_lo, 32, v5
	v_and_b32_e32 v28, 0xffff0000, v6
	v_lshlrev_b32_e32 v29, 16, v7
	v_and_b32_e32 v30, 0xffff0000, v7
	v_lshlrev_b32_e32 v31, 16, v8
	v_and_b32_e32 v32, 0xffff0000, v8
	v_lshlrev_b32_e32 v33, 16, v37
	v_and_b32_e32 v34, 0xffff0000, v37
	v_lshlrev_b32_e32 v35, 16, v38
	v_and_b32_e32 v36, 0xffff0000, v38
	v_lshlrev_b32_e32 v37, 16, v39
	v_and_b32_e32 v38, 0xffff0000, v39
	s_waitcnt lgkmcnt(0)
	v_lshlrev_b32_e32 v49, 16, v1
	v_and_b32_e32 v50, 0xffff0000, v1
	v_cndmask_b32_e32 v1, v12, v5, vcc_lo
	v_lshlrev_b32_e32 v51, 16, v2
	v_and_b32_e32 v52, 0xffff0000, v2
	v_lshlrev_b32_e32 v2, 2, v54
	v_lshlrev_b32_e32 v53, 16, v3
	v_lshlrev_b32_e32 v58, 2, v1
	v_lshlrev_b32_e32 v1, 4, v24
	v_and_b32_e32 v55, 0xffff0000, v3
	v_add_co_u32 v3, s2, v60, v59
	v_lshl_or_b32 v5, v24, 6, v2
	v_add3_u32 v59, s33, v1, v54
	v_lshlrev_b64 v[1:2], 2, v[9:10]
	v_lshlrev_b32_e32 v56, 16, v4
	v_and_b32_e32 v57, 0xffff0000, v4
	v_add_co_ci_u32_e64 v4, null, 0, v61, s2
	s_lshl_b64 s[2:3], s[30:31], 2
	v_add_nc_u32_e32 v60, 0xc0, v5
	s_add_u32 s2, s28, s2
	s_addc_u32 s3, s29, s3
	v_add_co_u32 v5, s2, s2, v1
	v_lshlrev_b32_e32 v39, 16, v40
	v_and_b32_e32 v40, 0xffff0000, v40
	v_lshlrev_b32_e32 v41, 16, v45
	v_and_b32_e32 v42, 0xffff0000, v45
	;; [unrolled: 2-line block ×5, first 2 shown]
	v_mov_b32_e32 v13, 32
	v_cmp_neq_f32_e64 s1, s36, 0
	v_add_co_ci_u32_e64 v6, null, s3, v2, s2
	v_mov_b32_e32 v54, 0xff7fffff
	v_mov_b32_e32 v61, 0x80
	;; [unrolled: 1-line block ×3, first 2 shown]
	v_cmp_eq_u32_e32 vcc_lo, 0, v23
	s_branch .LBB362_10
.LBB362_9:                              ;   in Loop: Header=BB362_10 Depth=1
	s_or_b32 exec_lo, exec_lo, s3
	v_add_nc_u32_e32 v66, 4, v66
	v_add_co_u32 v5, s3, v5, 16
	v_add_nc_u32_e32 v59, 64, v59
	v_add_nc_u32_e32 v60, 0x100, v60
	v_cmp_le_i32_e64 s2, s11, v66
	v_add_co_ci_u32_e64 v6, null, 0, v6, s3
	s_or_b32 s16, s2, s16
	s_andn2_b32 exec_lo, exec_lo, s16
	s_cbranch_execz .LBB362_332
.LBB362_10:                             ; =>This Inner Loop Header: Depth=1
	global_load_dword v1, v[5:6], off
	v_mov_b32_e32 v67, 0
	s_waitcnt vmcnt(0) lgkmcnt(0)
	v_mad_i64_i32 v[7:8], null, v1, s17, v[3:4]
	global_load_dword v71, v[7:8], off
	s_waitcnt vmcnt(0)
	v_cmp_ne_u16_sdwa s2, v71, v2 src0_sel:BYTE_0 src1_sel:DWORD
	s_and_saveexec_b32 s3, s2
	s_cbranch_execz .LBB362_18
; %bb.11:                               ;   in Loop: Header=BB362_10 Depth=1
	v_cmp_ne_u16_sdwa s2, v71, v61 src0_sel:BYTE_0 src1_sel:DWORD
	v_bfrev_b32_e32 v67, 1
	s_and_saveexec_b32 s39, s2
	s_cbranch_execz .LBB362_17
; %bb.12:                               ;   in Loop: Header=BB362_10 Depth=1
	v_and_b32_e32 v68, 0x7f, v71
	v_mov_b32_e32 v67, 0x7f800001
	s_mov_b32 s40, exec_lo
	v_cmpx_ne_u32_e32 0x7f, v68
	s_cbranch_execz .LBB362_16
; %bb.13:                               ;   in Loop: Header=BB362_10 Depth=1
	v_and_b32_e32 v1, 7, v71
	v_lshrrev_b32_e32 v67, 3, v68
	s_mov_b32 s41, exec_lo
	v_cmpx_gt_u32_e32 8, v68
; %bb.14:                               ;   in Loop: Header=BB362_10 Depth=1
	v_ffbh_u32_e32 v67, v1
	v_min_u32_e32 v67, 32, v67
	v_subrev_nc_u32_e32 v68, 28, v67
	v_sub_nc_u32_e32 v67, 29, v67
	v_lshlrev_b64 v[68:69], v68, v[1:2]
	v_and_b32_e32 v1, 7, v68
; %bb.15:                               ;   in Loop: Header=BB362_10 Depth=1
	s_or_b32 exec_lo, exec_lo, s41
	v_lshlrev_b32_e32 v68, 24, v71
	v_lshlrev_b32_e32 v1, 20, v1
	v_lshl_add_u32 v67, v67, 23, 0x3c000000
	v_and_b32_e32 v68, 0x80000000, v68
	v_or3_b32 v67, v1, v68, v67
.LBB362_16:                             ;   in Loop: Header=BB362_10 Depth=1
	s_or_b32 exec_lo, exec_lo, s40
.LBB362_17:                             ;   in Loop: Header=BB362_10 Depth=1
	s_or_b32 exec_lo, exec_lo, s39
.LBB362_18:                             ;   in Loop: Header=BB362_10 Depth=1
	s_or_b32 exec_lo, exec_lo, s3
	v_cmp_ne_u16_sdwa s2, v71, v2 src0_sel:BYTE_1 src1_sel:DWORD
	v_mov_b32_e32 v68, 0
	s_and_saveexec_b32 s3, s2
	s_cbranch_execz .LBB362_26
; %bb.19:                               ;   in Loop: Header=BB362_10 Depth=1
	v_cmp_ne_u16_sdwa s2, v71, v61 src0_sel:BYTE_1 src1_sel:DWORD
	v_bfrev_b32_e32 v68, 1
	s_and_saveexec_b32 s39, s2
	s_cbranch_execz .LBB362_25
; %bb.20:                               ;   in Loop: Header=BB362_10 Depth=1
	v_and_b32_sdwa v1, v62, v71 dst_sel:DWORD dst_unused:UNUSED_PAD src0_sel:DWORD src1_sel:BYTE_1
	v_mov_b32_e32 v68, 0x7f800001
	s_mov_b32 s40, exec_lo
	v_and_b32_e32 v69, 0x7f, v1
	v_cmpx_ne_u32_e32 0x7f, v69
	s_cbranch_execz .LBB362_24
; %bb.21:                               ;   in Loop: Header=BB362_10 Depth=1
	v_and_b32_e32 v1, 7, v1
	v_lshrrev_b32_e32 v68, 3, v69
	s_mov_b32 s41, exec_lo
	v_cmpx_gt_u32_e32 8, v69
; %bb.22:                               ;   in Loop: Header=BB362_10 Depth=1
	v_ffbh_u32_e32 v68, v1
	v_min_u32_e32 v68, 32, v68
	v_subrev_nc_u32_e32 v69, 28, v68
	v_sub_nc_u32_e32 v68, 29, v68
	v_lshlrev_b64 v[69:70], v69, v[1:2]
	v_and_b32_e32 v1, 7, v69
; %bb.23:                               ;   in Loop: Header=BB362_10 Depth=1
	s_or_b32 exec_lo, exec_lo, s41
	v_lshlrev_b32_e32 v69, 16, v71
	v_lshlrev_b32_e32 v1, 20, v1
	v_lshl_add_u32 v68, v68, 23, 0x3c000000
	v_and_b32_e32 v69, 0x80000000, v69
	v_or3_b32 v68, v1, v69, v68
.LBB362_24:                             ;   in Loop: Header=BB362_10 Depth=1
	s_or_b32 exec_lo, exec_lo, s40
.LBB362_25:                             ;   in Loop: Header=BB362_10 Depth=1
	s_or_b32 exec_lo, exec_lo, s39
.LBB362_26:                             ;   in Loop: Header=BB362_10 Depth=1
	s_or_b32 exec_lo, exec_lo, s3
	v_and_b32_sdwa v1, v71, v63 dst_sel:DWORD dst_unused:UNUSED_PAD src0_sel:WORD_1 src1_sel:DWORD
	v_mov_b32_e32 v69, 0
	v_mov_b32_e32 v70, 0
	s_mov_b32 s3, exec_lo
	v_cmpx_ne_u16_e32 0, v1
	s_cbranch_execz .LBB362_34
; %bb.27:                               ;   in Loop: Header=BB362_10 Depth=1
	v_bfrev_b32_e32 v70, 1
	s_mov_b32 s39, exec_lo
	v_cmpx_ne_u16_e32 0x80, v1
	s_cbranch_execz .LBB362_33
; %bb.28:                               ;   in Loop: Header=BB362_10 Depth=1
	v_bfe_u32 v72, v71, 16, 7
	v_mov_b32_e32 v70, 0x7f800001
	s_mov_b32 s40, exec_lo
	v_cmpx_ne_u32_e32 0x7f, v72
	s_cbranch_execz .LBB362_32
; %bb.29:                               ;   in Loop: Header=BB362_10 Depth=1
	v_and_b32_sdwa v1, v71, v64 dst_sel:DWORD dst_unused:UNUSED_PAD src0_sel:WORD_1 src1_sel:DWORD
	v_lshrrev_b32_e32 v70, 3, v72
	s_mov_b32 s41, exec_lo
	v_cmpx_gt_u32_e32 8, v72
; %bb.30:                               ;   in Loop: Header=BB362_10 Depth=1
	v_ffbh_u32_e32 v70, v1
	v_min_u32_e32 v70, 32, v70
	v_subrev_nc_u32_e32 v72, 28, v70
	v_sub_nc_u32_e32 v70, 29, v70
	v_lshlrev_b64 v[72:73], v72, v[1:2]
	v_and_b32_e32 v1, 7, v72
; %bb.31:                               ;   in Loop: Header=BB362_10 Depth=1
	s_or_b32 exec_lo, exec_lo, s41
	v_lshlrev_b32_sdwa v72, v65, v71 dst_sel:DWORD dst_unused:UNUSED_PAD src0_sel:DWORD src1_sel:WORD_1
	v_lshlrev_b32_e32 v1, 20, v1
	v_lshl_add_u32 v70, v70, 23, 0x3c000000
	v_and_b32_e32 v72, 0x80000000, v72
	v_or3_b32 v70, v1, v72, v70
.LBB362_32:                             ;   in Loop: Header=BB362_10 Depth=1
	s_or_b32 exec_lo, exec_lo, s40
.LBB362_33:                             ;   in Loop: Header=BB362_10 Depth=1
	s_or_b32 exec_lo, exec_lo, s39
.LBB362_34:                             ;   in Loop: Header=BB362_10 Depth=1
	s_or_b32 exec_lo, exec_lo, s3
	s_mov_b32 s3, exec_lo
	v_cmpx_lt_u32_e32 0xffffff, v71
	s_cbranch_execz .LBB362_42
; %bb.35:                               ;   in Loop: Header=BB362_10 Depth=1
	v_cmp_ne_u32_sdwa s2, v71, v61 src0_sel:BYTE_3 src1_sel:DWORD
	v_bfrev_b32_e32 v69, 1
	s_and_saveexec_b32 s39, s2
	s_cbranch_execz .LBB362_41
; %bb.36:                               ;   in Loop: Header=BB362_10 Depth=1
	v_bfe_u32 v72, v71, 24, 7
	v_mov_b32_e32 v69, 0x7f800001
	s_mov_b32 s40, exec_lo
	v_cmpx_ne_u32_e32 0x7f, v72
	s_cbranch_execz .LBB362_40
; %bb.37:                               ;   in Loop: Header=BB362_10 Depth=1
	v_and_b32_sdwa v1, v71, v64 dst_sel:DWORD dst_unused:UNUSED_PAD src0_sel:BYTE_3 src1_sel:DWORD
	v_lshrrev_b32_e32 v69, 3, v72
	s_mov_b32 s41, exec_lo
	v_cmpx_gt_u32_e32 8, v72
; %bb.38:                               ;   in Loop: Header=BB362_10 Depth=1
	v_ffbh_u32_e32 v69, v1
	v_min_u32_e32 v69, 32, v69
	v_subrev_nc_u32_e32 v72, 28, v69
	v_sub_nc_u32_e32 v69, 29, v69
	v_lshlrev_b64 v[72:73], v72, v[1:2]
	v_and_b32_e32 v1, 7, v72
; %bb.39:                               ;   in Loop: Header=BB362_10 Depth=1
	s_or_b32 exec_lo, exec_lo, s41
	v_lshlrev_b32_sdwa v71, v65, v71 dst_sel:DWORD dst_unused:UNUSED_PAD src0_sel:DWORD src1_sel:BYTE_3
	v_lshlrev_b32_e32 v1, 20, v1
	v_lshl_add_u32 v69, v69, 23, 0x3c000000
	v_and_b32_e32 v71, 0x80000000, v71
	v_or3_b32 v69, v1, v71, v69
.LBB362_40:                             ;   in Loop: Header=BB362_10 Depth=1
	s_or_b32 exec_lo, exec_lo, s40
.LBB362_41:                             ;   in Loop: Header=BB362_10 Depth=1
	s_or_b32 exec_lo, exec_lo, s39
.LBB362_42:                             ;   in Loop: Header=BB362_10 Depth=1
	s_or_b32 exec_lo, exec_lo, s3
	global_load_dword v75, v[7:8], off offset:8
	v_mov_b32_e32 v72, 0
	v_mov_b32_e32 v71, 0
	s_waitcnt vmcnt(0)
	v_cmp_ne_u16_sdwa s2, v75, v2 src0_sel:BYTE_0 src1_sel:DWORD
	s_and_saveexec_b32 s3, s2
	s_cbranch_execz .LBB362_50
; %bb.43:                               ;   in Loop: Header=BB362_10 Depth=1
	v_cmp_ne_u16_sdwa s2, v75, v61 src0_sel:BYTE_0 src1_sel:DWORD
	v_bfrev_b32_e32 v71, 1
	s_and_saveexec_b32 s39, s2
	s_cbranch_execz .LBB362_49
; %bb.44:                               ;   in Loop: Header=BB362_10 Depth=1
	v_and_b32_e32 v73, 0x7f, v75
	v_mov_b32_e32 v71, 0x7f800001
	s_mov_b32 s40, exec_lo
	v_cmpx_ne_u32_e32 0x7f, v73
	s_cbranch_execz .LBB362_48
; %bb.45:                               ;   in Loop: Header=BB362_10 Depth=1
	v_and_b32_e32 v1, 7, v75
	v_lshrrev_b32_e32 v71, 3, v73
	s_mov_b32 s41, exec_lo
	v_cmpx_gt_u32_e32 8, v73
; %bb.46:                               ;   in Loop: Header=BB362_10 Depth=1
	v_ffbh_u32_e32 v71, v1
	v_min_u32_e32 v71, 32, v71
	v_subrev_nc_u32_e32 v73, 28, v71
	v_sub_nc_u32_e32 v71, 29, v71
	v_lshlrev_b64 v[73:74], v73, v[1:2]
	v_and_b32_e32 v1, 7, v73
; %bb.47:                               ;   in Loop: Header=BB362_10 Depth=1
	s_or_b32 exec_lo, exec_lo, s41
	v_lshlrev_b32_e32 v73, 24, v75
	v_lshlrev_b32_e32 v1, 20, v1
	v_lshl_add_u32 v71, v71, 23, 0x3c000000
	v_and_b32_e32 v73, 0x80000000, v73
	v_or3_b32 v71, v1, v73, v71
.LBB362_48:                             ;   in Loop: Header=BB362_10 Depth=1
	s_or_b32 exec_lo, exec_lo, s40
.LBB362_49:                             ;   in Loop: Header=BB362_10 Depth=1
	s_or_b32 exec_lo, exec_lo, s39
.LBB362_50:                             ;   in Loop: Header=BB362_10 Depth=1
	s_or_b32 exec_lo, exec_lo, s3
	v_cmp_ne_u16_sdwa s2, v75, v2 src0_sel:BYTE_1 src1_sel:DWORD
	s_and_saveexec_b32 s3, s2
	s_cbranch_execz .LBB362_58
; %bb.51:                               ;   in Loop: Header=BB362_10 Depth=1
	v_cmp_ne_u16_sdwa s2, v75, v61 src0_sel:BYTE_1 src1_sel:DWORD
	v_bfrev_b32_e32 v72, 1
	s_and_saveexec_b32 s39, s2
	s_cbranch_execz .LBB362_57
; %bb.52:                               ;   in Loop: Header=BB362_10 Depth=1
	v_and_b32_sdwa v1, v62, v75 dst_sel:DWORD dst_unused:UNUSED_PAD src0_sel:DWORD src1_sel:BYTE_1
	v_mov_b32_e32 v72, 0x7f800001
	s_mov_b32 s40, exec_lo
	v_and_b32_e32 v73, 0x7f, v1
	v_cmpx_ne_u32_e32 0x7f, v73
	s_cbranch_execz .LBB362_56
; %bb.53:                               ;   in Loop: Header=BB362_10 Depth=1
	v_and_b32_e32 v1, 7, v1
	v_lshrrev_b32_e32 v72, 3, v73
	s_mov_b32 s41, exec_lo
	v_cmpx_gt_u32_e32 8, v73
; %bb.54:                               ;   in Loop: Header=BB362_10 Depth=1
	v_ffbh_u32_e32 v72, v1
	v_min_u32_e32 v72, 32, v72
	v_subrev_nc_u32_e32 v73, 28, v72
	v_sub_nc_u32_e32 v72, 29, v72
	v_lshlrev_b64 v[73:74], v73, v[1:2]
	v_and_b32_e32 v1, 7, v73
; %bb.55:                               ;   in Loop: Header=BB362_10 Depth=1
	s_or_b32 exec_lo, exec_lo, s41
	v_lshlrev_b32_e32 v73, 16, v75
	v_lshlrev_b32_e32 v1, 20, v1
	v_lshl_add_u32 v72, v72, 23, 0x3c000000
	v_and_b32_e32 v73, 0x80000000, v73
	v_or3_b32 v72, v1, v73, v72
.LBB362_56:                             ;   in Loop: Header=BB362_10 Depth=1
	s_or_b32 exec_lo, exec_lo, s40
.LBB362_57:                             ;   in Loop: Header=BB362_10 Depth=1
	s_or_b32 exec_lo, exec_lo, s39
.LBB362_58:                             ;   in Loop: Header=BB362_10 Depth=1
	s_or_b32 exec_lo, exec_lo, s3
	v_and_b32_sdwa v1, v75, v63 dst_sel:DWORD dst_unused:UNUSED_PAD src0_sel:WORD_1 src1_sel:DWORD
	v_mov_b32_e32 v73, 0
	v_mov_b32_e32 v74, 0
	s_mov_b32 s3, exec_lo
	v_cmpx_ne_u16_e32 0, v1
	s_cbranch_execz .LBB362_66
; %bb.59:                               ;   in Loop: Header=BB362_10 Depth=1
	v_bfrev_b32_e32 v74, 1
	s_mov_b32 s39, exec_lo
	v_cmpx_ne_u16_e32 0x80, v1
	s_cbranch_execz .LBB362_65
; %bb.60:                               ;   in Loop: Header=BB362_10 Depth=1
	v_bfe_u32 v76, v75, 16, 7
	v_mov_b32_e32 v74, 0x7f800001
	s_mov_b32 s40, exec_lo
	v_cmpx_ne_u32_e32 0x7f, v76
	s_cbranch_execz .LBB362_64
; %bb.61:                               ;   in Loop: Header=BB362_10 Depth=1
	v_and_b32_sdwa v1, v75, v64 dst_sel:DWORD dst_unused:UNUSED_PAD src0_sel:WORD_1 src1_sel:DWORD
	v_lshrrev_b32_e32 v74, 3, v76
	s_mov_b32 s41, exec_lo
	v_cmpx_gt_u32_e32 8, v76
; %bb.62:                               ;   in Loop: Header=BB362_10 Depth=1
	v_ffbh_u32_e32 v74, v1
	v_min_u32_e32 v74, 32, v74
	v_subrev_nc_u32_e32 v76, 28, v74
	v_sub_nc_u32_e32 v74, 29, v74
	v_lshlrev_b64 v[76:77], v76, v[1:2]
	v_and_b32_e32 v1, 7, v76
; %bb.63:                               ;   in Loop: Header=BB362_10 Depth=1
	s_or_b32 exec_lo, exec_lo, s41
	v_lshlrev_b32_sdwa v76, v65, v75 dst_sel:DWORD dst_unused:UNUSED_PAD src0_sel:DWORD src1_sel:WORD_1
	v_lshlrev_b32_e32 v1, 20, v1
	v_lshl_add_u32 v74, v74, 23, 0x3c000000
	v_and_b32_e32 v76, 0x80000000, v76
	v_or3_b32 v74, v1, v76, v74
.LBB362_64:                             ;   in Loop: Header=BB362_10 Depth=1
	s_or_b32 exec_lo, exec_lo, s40
.LBB362_65:                             ;   in Loop: Header=BB362_10 Depth=1
	s_or_b32 exec_lo, exec_lo, s39
.LBB362_66:                             ;   in Loop: Header=BB362_10 Depth=1
	s_or_b32 exec_lo, exec_lo, s3
	s_mov_b32 s3, exec_lo
	v_cmpx_lt_u32_e32 0xffffff, v75
	s_cbranch_execz .LBB362_74
; %bb.67:                               ;   in Loop: Header=BB362_10 Depth=1
	v_cmp_ne_u32_sdwa s2, v75, v61 src0_sel:BYTE_3 src1_sel:DWORD
	v_bfrev_b32_e32 v73, 1
	s_and_saveexec_b32 s39, s2
	s_cbranch_execz .LBB362_73
; %bb.68:                               ;   in Loop: Header=BB362_10 Depth=1
	v_bfe_u32 v76, v75, 24, 7
	v_mov_b32_e32 v73, 0x7f800001
	s_mov_b32 s40, exec_lo
	v_cmpx_ne_u32_e32 0x7f, v76
	s_cbranch_execz .LBB362_72
; %bb.69:                               ;   in Loop: Header=BB362_10 Depth=1
	v_and_b32_sdwa v1, v75, v64 dst_sel:DWORD dst_unused:UNUSED_PAD src0_sel:BYTE_3 src1_sel:DWORD
	v_lshrrev_b32_e32 v73, 3, v76
	s_mov_b32 s41, exec_lo
	v_cmpx_gt_u32_e32 8, v76
; %bb.70:                               ;   in Loop: Header=BB362_10 Depth=1
	v_ffbh_u32_e32 v73, v1
	v_min_u32_e32 v73, 32, v73
	v_subrev_nc_u32_e32 v76, 28, v73
	v_sub_nc_u32_e32 v73, 29, v73
	v_lshlrev_b64 v[76:77], v76, v[1:2]
	v_and_b32_e32 v1, 7, v76
; %bb.71:                               ;   in Loop: Header=BB362_10 Depth=1
	s_or_b32 exec_lo, exec_lo, s41
	v_lshlrev_b32_sdwa v75, v65, v75 dst_sel:DWORD dst_unused:UNUSED_PAD src0_sel:DWORD src1_sel:BYTE_3
	v_lshlrev_b32_e32 v1, 20, v1
	v_lshl_add_u32 v73, v73, 23, 0x3c000000
	v_and_b32_e32 v75, 0x80000000, v75
	v_or3_b32 v73, v1, v75, v73
.LBB362_72:                             ;   in Loop: Header=BB362_10 Depth=1
	s_or_b32 exec_lo, exec_lo, s40
.LBB362_73:                             ;   in Loop: Header=BB362_10 Depth=1
	s_or_b32 exec_lo, exec_lo, s39
.LBB362_74:                             ;   in Loop: Header=BB362_10 Depth=1
	s_or_b32 exec_lo, exec_lo, s3
	global_load_dword v79, v[7:8], off offset:256
	v_mov_b32_e32 v76, 0
	v_mov_b32_e32 v75, 0
	s_waitcnt vmcnt(0)
	v_cmp_ne_u16_sdwa s2, v79, v2 src0_sel:BYTE_0 src1_sel:DWORD
	s_and_saveexec_b32 s3, s2
	s_cbranch_execz .LBB362_82
; %bb.75:                               ;   in Loop: Header=BB362_10 Depth=1
	v_cmp_ne_u16_sdwa s2, v79, v61 src0_sel:BYTE_0 src1_sel:DWORD
	v_bfrev_b32_e32 v75, 1
	s_and_saveexec_b32 s39, s2
	s_cbranch_execz .LBB362_81
; %bb.76:                               ;   in Loop: Header=BB362_10 Depth=1
	v_and_b32_e32 v77, 0x7f, v79
	v_mov_b32_e32 v75, 0x7f800001
	s_mov_b32 s40, exec_lo
	v_cmpx_ne_u32_e32 0x7f, v77
	s_cbranch_execz .LBB362_80
; %bb.77:                               ;   in Loop: Header=BB362_10 Depth=1
	v_and_b32_e32 v1, 7, v79
	v_lshrrev_b32_e32 v75, 3, v77
	s_mov_b32 s41, exec_lo
	v_cmpx_gt_u32_e32 8, v77
; %bb.78:                               ;   in Loop: Header=BB362_10 Depth=1
	v_ffbh_u32_e32 v75, v1
	v_min_u32_e32 v75, 32, v75
	v_subrev_nc_u32_e32 v77, 28, v75
	v_sub_nc_u32_e32 v75, 29, v75
	v_lshlrev_b64 v[77:78], v77, v[1:2]
	v_and_b32_e32 v1, 7, v77
; %bb.79:                               ;   in Loop: Header=BB362_10 Depth=1
	s_or_b32 exec_lo, exec_lo, s41
	v_lshlrev_b32_e32 v77, 24, v79
	v_lshlrev_b32_e32 v1, 20, v1
	v_lshl_add_u32 v75, v75, 23, 0x3c000000
	v_and_b32_e32 v77, 0x80000000, v77
	v_or3_b32 v75, v1, v77, v75
.LBB362_80:                             ;   in Loop: Header=BB362_10 Depth=1
	s_or_b32 exec_lo, exec_lo, s40
.LBB362_81:                             ;   in Loop: Header=BB362_10 Depth=1
	s_or_b32 exec_lo, exec_lo, s39
.LBB362_82:                             ;   in Loop: Header=BB362_10 Depth=1
	s_or_b32 exec_lo, exec_lo, s3
	v_cmp_ne_u16_sdwa s2, v79, v2 src0_sel:BYTE_1 src1_sel:DWORD
	s_and_saveexec_b32 s3, s2
	s_cbranch_execz .LBB362_90
; %bb.83:                               ;   in Loop: Header=BB362_10 Depth=1
	v_cmp_ne_u16_sdwa s2, v79, v61 src0_sel:BYTE_1 src1_sel:DWORD
	v_bfrev_b32_e32 v76, 1
	s_and_saveexec_b32 s39, s2
	s_cbranch_execz .LBB362_89
; %bb.84:                               ;   in Loop: Header=BB362_10 Depth=1
	v_and_b32_sdwa v1, v62, v79 dst_sel:DWORD dst_unused:UNUSED_PAD src0_sel:DWORD src1_sel:BYTE_1
	v_mov_b32_e32 v76, 0x7f800001
	s_mov_b32 s40, exec_lo
	v_and_b32_e32 v77, 0x7f, v1
	v_cmpx_ne_u32_e32 0x7f, v77
	s_cbranch_execz .LBB362_88
; %bb.85:                               ;   in Loop: Header=BB362_10 Depth=1
	v_and_b32_e32 v1, 7, v1
	v_lshrrev_b32_e32 v76, 3, v77
	s_mov_b32 s41, exec_lo
	v_cmpx_gt_u32_e32 8, v77
; %bb.86:                               ;   in Loop: Header=BB362_10 Depth=1
	v_ffbh_u32_e32 v76, v1
	v_min_u32_e32 v76, 32, v76
	v_subrev_nc_u32_e32 v77, 28, v76
	v_sub_nc_u32_e32 v76, 29, v76
	v_lshlrev_b64 v[77:78], v77, v[1:2]
	v_and_b32_e32 v1, 7, v77
; %bb.87:                               ;   in Loop: Header=BB362_10 Depth=1
	s_or_b32 exec_lo, exec_lo, s41
	v_lshlrev_b32_e32 v77, 16, v79
	v_lshlrev_b32_e32 v1, 20, v1
	v_lshl_add_u32 v76, v76, 23, 0x3c000000
	v_and_b32_e32 v77, 0x80000000, v77
	v_or3_b32 v76, v1, v77, v76
.LBB362_88:                             ;   in Loop: Header=BB362_10 Depth=1
	s_or_b32 exec_lo, exec_lo, s40
.LBB362_89:                             ;   in Loop: Header=BB362_10 Depth=1
	s_or_b32 exec_lo, exec_lo, s39
.LBB362_90:                             ;   in Loop: Header=BB362_10 Depth=1
	s_or_b32 exec_lo, exec_lo, s3
	v_and_b32_sdwa v1, v79, v63 dst_sel:DWORD dst_unused:UNUSED_PAD src0_sel:WORD_1 src1_sel:DWORD
	v_mov_b32_e32 v77, 0
	v_mov_b32_e32 v78, 0
	s_mov_b32 s3, exec_lo
	v_cmpx_ne_u16_e32 0, v1
	s_cbranch_execz .LBB362_98
; %bb.91:                               ;   in Loop: Header=BB362_10 Depth=1
	v_bfrev_b32_e32 v78, 1
	s_mov_b32 s39, exec_lo
	v_cmpx_ne_u16_e32 0x80, v1
	s_cbranch_execz .LBB362_97
; %bb.92:                               ;   in Loop: Header=BB362_10 Depth=1
	v_bfe_u32 v80, v79, 16, 7
	v_mov_b32_e32 v78, 0x7f800001
	s_mov_b32 s40, exec_lo
	v_cmpx_ne_u32_e32 0x7f, v80
	s_cbranch_execz .LBB362_96
; %bb.93:                               ;   in Loop: Header=BB362_10 Depth=1
	v_and_b32_sdwa v1, v79, v64 dst_sel:DWORD dst_unused:UNUSED_PAD src0_sel:WORD_1 src1_sel:DWORD
	v_lshrrev_b32_e32 v78, 3, v80
	s_mov_b32 s41, exec_lo
	v_cmpx_gt_u32_e32 8, v80
; %bb.94:                               ;   in Loop: Header=BB362_10 Depth=1
	v_ffbh_u32_e32 v78, v1
	v_min_u32_e32 v78, 32, v78
	v_subrev_nc_u32_e32 v80, 28, v78
	v_sub_nc_u32_e32 v78, 29, v78
	v_lshlrev_b64 v[80:81], v80, v[1:2]
	v_and_b32_e32 v1, 7, v80
; %bb.95:                               ;   in Loop: Header=BB362_10 Depth=1
	s_or_b32 exec_lo, exec_lo, s41
	v_lshlrev_b32_sdwa v80, v65, v79 dst_sel:DWORD dst_unused:UNUSED_PAD src0_sel:DWORD src1_sel:WORD_1
	v_lshlrev_b32_e32 v1, 20, v1
	v_lshl_add_u32 v78, v78, 23, 0x3c000000
	v_and_b32_e32 v80, 0x80000000, v80
	v_or3_b32 v78, v1, v80, v78
.LBB362_96:                             ;   in Loop: Header=BB362_10 Depth=1
	s_or_b32 exec_lo, exec_lo, s40
.LBB362_97:                             ;   in Loop: Header=BB362_10 Depth=1
	s_or_b32 exec_lo, exec_lo, s39
.LBB362_98:                             ;   in Loop: Header=BB362_10 Depth=1
	s_or_b32 exec_lo, exec_lo, s3
	s_mov_b32 s3, exec_lo
	v_cmpx_lt_u32_e32 0xffffff, v79
	s_cbranch_execz .LBB362_106
; %bb.99:                               ;   in Loop: Header=BB362_10 Depth=1
	v_cmp_ne_u32_sdwa s2, v79, v61 src0_sel:BYTE_3 src1_sel:DWORD
	v_bfrev_b32_e32 v77, 1
	s_and_saveexec_b32 s39, s2
	s_cbranch_execz .LBB362_105
; %bb.100:                              ;   in Loop: Header=BB362_10 Depth=1
	v_bfe_u32 v80, v79, 24, 7
	v_mov_b32_e32 v77, 0x7f800001
	s_mov_b32 s40, exec_lo
	v_cmpx_ne_u32_e32 0x7f, v80
	s_cbranch_execz .LBB362_104
; %bb.101:                              ;   in Loop: Header=BB362_10 Depth=1
	v_and_b32_sdwa v1, v79, v64 dst_sel:DWORD dst_unused:UNUSED_PAD src0_sel:BYTE_3 src1_sel:DWORD
	v_lshrrev_b32_e32 v77, 3, v80
	s_mov_b32 s41, exec_lo
	v_cmpx_gt_u32_e32 8, v80
; %bb.102:                              ;   in Loop: Header=BB362_10 Depth=1
	v_ffbh_u32_e32 v77, v1
	v_min_u32_e32 v77, 32, v77
	v_subrev_nc_u32_e32 v80, 28, v77
	v_sub_nc_u32_e32 v77, 29, v77
	v_lshlrev_b64 v[80:81], v80, v[1:2]
	v_and_b32_e32 v1, 7, v80
; %bb.103:                              ;   in Loop: Header=BB362_10 Depth=1
	s_or_b32 exec_lo, exec_lo, s41
	v_lshlrev_b32_sdwa v79, v65, v79 dst_sel:DWORD dst_unused:UNUSED_PAD src0_sel:DWORD src1_sel:BYTE_3
	v_lshlrev_b32_e32 v1, 20, v1
	v_lshl_add_u32 v77, v77, 23, 0x3c000000
	v_and_b32_e32 v79, 0x80000000, v79
	v_or3_b32 v77, v1, v79, v77
.LBB362_104:                            ;   in Loop: Header=BB362_10 Depth=1
	s_or_b32 exec_lo, exec_lo, s40
.LBB362_105:                            ;   in Loop: Header=BB362_10 Depth=1
	s_or_b32 exec_lo, exec_lo, s39
.LBB362_106:                            ;   in Loop: Header=BB362_10 Depth=1
	s_or_b32 exec_lo, exec_lo, s3
	global_load_dword v83, v[7:8], off offset:264
	v_mov_b32_e32 v80, 0
	v_mov_b32_e32 v79, 0
	s_waitcnt vmcnt(0)
	v_cmp_ne_u16_sdwa s2, v83, v2 src0_sel:BYTE_0 src1_sel:DWORD
	s_and_saveexec_b32 s3, s2
	s_cbranch_execz .LBB362_114
; %bb.107:                              ;   in Loop: Header=BB362_10 Depth=1
	v_cmp_ne_u16_sdwa s2, v83, v61 src0_sel:BYTE_0 src1_sel:DWORD
	v_bfrev_b32_e32 v79, 1
	s_and_saveexec_b32 s39, s2
	s_cbranch_execz .LBB362_113
; %bb.108:                              ;   in Loop: Header=BB362_10 Depth=1
	v_and_b32_e32 v81, 0x7f, v83
	v_mov_b32_e32 v79, 0x7f800001
	s_mov_b32 s40, exec_lo
	v_cmpx_ne_u32_e32 0x7f, v81
	s_cbranch_execz .LBB362_112
; %bb.109:                              ;   in Loop: Header=BB362_10 Depth=1
	v_and_b32_e32 v1, 7, v83
	v_lshrrev_b32_e32 v79, 3, v81
	s_mov_b32 s41, exec_lo
	v_cmpx_gt_u32_e32 8, v81
; %bb.110:                              ;   in Loop: Header=BB362_10 Depth=1
	v_ffbh_u32_e32 v79, v1
	v_min_u32_e32 v79, 32, v79
	v_subrev_nc_u32_e32 v81, 28, v79
	v_sub_nc_u32_e32 v79, 29, v79
	v_lshlrev_b64 v[81:82], v81, v[1:2]
	v_and_b32_e32 v1, 7, v81
; %bb.111:                              ;   in Loop: Header=BB362_10 Depth=1
	s_or_b32 exec_lo, exec_lo, s41
	v_lshlrev_b32_e32 v81, 24, v83
	v_lshlrev_b32_e32 v1, 20, v1
	v_lshl_add_u32 v79, v79, 23, 0x3c000000
	v_and_b32_e32 v81, 0x80000000, v81
	v_or3_b32 v79, v1, v81, v79
.LBB362_112:                            ;   in Loop: Header=BB362_10 Depth=1
	s_or_b32 exec_lo, exec_lo, s40
.LBB362_113:                            ;   in Loop: Header=BB362_10 Depth=1
	s_or_b32 exec_lo, exec_lo, s39
.LBB362_114:                            ;   in Loop: Header=BB362_10 Depth=1
	s_or_b32 exec_lo, exec_lo, s3
	v_cmp_ne_u16_sdwa s2, v83, v2 src0_sel:BYTE_1 src1_sel:DWORD
	s_and_saveexec_b32 s3, s2
	s_cbranch_execz .LBB362_122
; %bb.115:                              ;   in Loop: Header=BB362_10 Depth=1
	v_cmp_ne_u16_sdwa s2, v83, v61 src0_sel:BYTE_1 src1_sel:DWORD
	v_bfrev_b32_e32 v80, 1
	s_and_saveexec_b32 s39, s2
	s_cbranch_execz .LBB362_121
; %bb.116:                              ;   in Loop: Header=BB362_10 Depth=1
	v_and_b32_sdwa v1, v62, v83 dst_sel:DWORD dst_unused:UNUSED_PAD src0_sel:DWORD src1_sel:BYTE_1
	v_mov_b32_e32 v80, 0x7f800001
	s_mov_b32 s40, exec_lo
	v_and_b32_e32 v81, 0x7f, v1
	v_cmpx_ne_u32_e32 0x7f, v81
	s_cbranch_execz .LBB362_120
; %bb.117:                              ;   in Loop: Header=BB362_10 Depth=1
	v_and_b32_e32 v1, 7, v1
	v_lshrrev_b32_e32 v80, 3, v81
	s_mov_b32 s41, exec_lo
	v_cmpx_gt_u32_e32 8, v81
; %bb.118:                              ;   in Loop: Header=BB362_10 Depth=1
	v_ffbh_u32_e32 v80, v1
	v_min_u32_e32 v80, 32, v80
	v_subrev_nc_u32_e32 v81, 28, v80
	v_sub_nc_u32_e32 v80, 29, v80
	v_lshlrev_b64 v[81:82], v81, v[1:2]
	v_and_b32_e32 v1, 7, v81
; %bb.119:                              ;   in Loop: Header=BB362_10 Depth=1
	s_or_b32 exec_lo, exec_lo, s41
	v_lshlrev_b32_e32 v81, 16, v83
	v_lshlrev_b32_e32 v1, 20, v1
	v_lshl_add_u32 v80, v80, 23, 0x3c000000
	v_and_b32_e32 v81, 0x80000000, v81
	v_or3_b32 v80, v1, v81, v80
.LBB362_120:                            ;   in Loop: Header=BB362_10 Depth=1
	s_or_b32 exec_lo, exec_lo, s40
.LBB362_121:                            ;   in Loop: Header=BB362_10 Depth=1
	s_or_b32 exec_lo, exec_lo, s39
.LBB362_122:                            ;   in Loop: Header=BB362_10 Depth=1
	s_or_b32 exec_lo, exec_lo, s3
	v_and_b32_sdwa v1, v83, v63 dst_sel:DWORD dst_unused:UNUSED_PAD src0_sel:WORD_1 src1_sel:DWORD
	v_mov_b32_e32 v81, 0
	v_mov_b32_e32 v82, 0
	s_mov_b32 s3, exec_lo
	v_cmpx_ne_u16_e32 0, v1
	s_cbranch_execz .LBB362_130
; %bb.123:                              ;   in Loop: Header=BB362_10 Depth=1
	v_bfrev_b32_e32 v82, 1
	s_mov_b32 s39, exec_lo
	v_cmpx_ne_u16_e32 0x80, v1
	s_cbranch_execz .LBB362_129
; %bb.124:                              ;   in Loop: Header=BB362_10 Depth=1
	v_bfe_u32 v84, v83, 16, 7
	v_mov_b32_e32 v82, 0x7f800001
	s_mov_b32 s40, exec_lo
	v_cmpx_ne_u32_e32 0x7f, v84
	s_cbranch_execz .LBB362_128
; %bb.125:                              ;   in Loop: Header=BB362_10 Depth=1
	v_and_b32_sdwa v1, v83, v64 dst_sel:DWORD dst_unused:UNUSED_PAD src0_sel:WORD_1 src1_sel:DWORD
	v_lshrrev_b32_e32 v82, 3, v84
	s_mov_b32 s41, exec_lo
	v_cmpx_gt_u32_e32 8, v84
; %bb.126:                              ;   in Loop: Header=BB362_10 Depth=1
	v_ffbh_u32_e32 v82, v1
	v_min_u32_e32 v82, 32, v82
	v_subrev_nc_u32_e32 v84, 28, v82
	v_sub_nc_u32_e32 v82, 29, v82
	v_lshlrev_b64 v[84:85], v84, v[1:2]
	v_and_b32_e32 v1, 7, v84
; %bb.127:                              ;   in Loop: Header=BB362_10 Depth=1
	s_or_b32 exec_lo, exec_lo, s41
	v_lshlrev_b32_sdwa v84, v65, v83 dst_sel:DWORD dst_unused:UNUSED_PAD src0_sel:DWORD src1_sel:WORD_1
	v_lshlrev_b32_e32 v1, 20, v1
	v_lshl_add_u32 v82, v82, 23, 0x3c000000
	v_and_b32_e32 v84, 0x80000000, v84
	v_or3_b32 v82, v1, v84, v82
.LBB362_128:                            ;   in Loop: Header=BB362_10 Depth=1
	s_or_b32 exec_lo, exec_lo, s40
.LBB362_129:                            ;   in Loop: Header=BB362_10 Depth=1
	s_or_b32 exec_lo, exec_lo, s39
.LBB362_130:                            ;   in Loop: Header=BB362_10 Depth=1
	s_or_b32 exec_lo, exec_lo, s3
	s_mov_b32 s3, exec_lo
	v_cmpx_lt_u32_e32 0xffffff, v83
	s_cbranch_execz .LBB362_138
; %bb.131:                              ;   in Loop: Header=BB362_10 Depth=1
	v_cmp_ne_u32_sdwa s2, v83, v61 src0_sel:BYTE_3 src1_sel:DWORD
	v_bfrev_b32_e32 v81, 1
	s_and_saveexec_b32 s39, s2
	s_cbranch_execz .LBB362_137
; %bb.132:                              ;   in Loop: Header=BB362_10 Depth=1
	v_bfe_u32 v84, v83, 24, 7
	v_mov_b32_e32 v81, 0x7f800001
	s_mov_b32 s40, exec_lo
	v_cmpx_ne_u32_e32 0x7f, v84
	s_cbranch_execz .LBB362_136
; %bb.133:                              ;   in Loop: Header=BB362_10 Depth=1
	v_and_b32_sdwa v1, v83, v64 dst_sel:DWORD dst_unused:UNUSED_PAD src0_sel:BYTE_3 src1_sel:DWORD
	v_lshrrev_b32_e32 v81, 3, v84
	s_mov_b32 s41, exec_lo
	v_cmpx_gt_u32_e32 8, v84
; %bb.134:                              ;   in Loop: Header=BB362_10 Depth=1
	v_ffbh_u32_e32 v81, v1
	v_min_u32_e32 v81, 32, v81
	v_subrev_nc_u32_e32 v84, 28, v81
	v_sub_nc_u32_e32 v81, 29, v81
	v_lshlrev_b64 v[84:85], v84, v[1:2]
	v_and_b32_e32 v1, 7, v84
; %bb.135:                              ;   in Loop: Header=BB362_10 Depth=1
	s_or_b32 exec_lo, exec_lo, s41
	v_lshlrev_b32_sdwa v83, v65, v83 dst_sel:DWORD dst_unused:UNUSED_PAD src0_sel:DWORD src1_sel:BYTE_3
	v_lshlrev_b32_e32 v1, 20, v1
	v_lshl_add_u32 v81, v81, 23, 0x3c000000
	v_and_b32_e32 v83, 0x80000000, v83
	v_or3_b32 v81, v1, v83, v81
.LBB362_136:                            ;   in Loop: Header=BB362_10 Depth=1
	s_or_b32 exec_lo, exec_lo, s40
.LBB362_137:                            ;   in Loop: Header=BB362_10 Depth=1
	s_or_b32 exec_lo, exec_lo, s39
.LBB362_138:                            ;   in Loop: Header=BB362_10 Depth=1
	s_or_b32 exec_lo, exec_lo, s3
	global_load_dword v87, v[7:8], off offset:512
	v_mov_b32_e32 v84, 0
	v_mov_b32_e32 v83, 0
	s_waitcnt vmcnt(0)
	v_cmp_ne_u16_sdwa s2, v87, v2 src0_sel:BYTE_0 src1_sel:DWORD
	s_and_saveexec_b32 s3, s2
	s_cbranch_execz .LBB362_146
; %bb.139:                              ;   in Loop: Header=BB362_10 Depth=1
	v_cmp_ne_u16_sdwa s2, v87, v61 src0_sel:BYTE_0 src1_sel:DWORD
	v_bfrev_b32_e32 v83, 1
	s_and_saveexec_b32 s39, s2
	s_cbranch_execz .LBB362_145
; %bb.140:                              ;   in Loop: Header=BB362_10 Depth=1
	v_and_b32_e32 v85, 0x7f, v87
	v_mov_b32_e32 v83, 0x7f800001
	s_mov_b32 s40, exec_lo
	v_cmpx_ne_u32_e32 0x7f, v85
	s_cbranch_execz .LBB362_144
; %bb.141:                              ;   in Loop: Header=BB362_10 Depth=1
	v_and_b32_e32 v1, 7, v87
	v_lshrrev_b32_e32 v83, 3, v85
	s_mov_b32 s41, exec_lo
	v_cmpx_gt_u32_e32 8, v85
; %bb.142:                              ;   in Loop: Header=BB362_10 Depth=1
	v_ffbh_u32_e32 v83, v1
	v_min_u32_e32 v83, 32, v83
	v_subrev_nc_u32_e32 v85, 28, v83
	v_sub_nc_u32_e32 v83, 29, v83
	v_lshlrev_b64 v[85:86], v85, v[1:2]
	v_and_b32_e32 v1, 7, v85
; %bb.143:                              ;   in Loop: Header=BB362_10 Depth=1
	s_or_b32 exec_lo, exec_lo, s41
	v_lshlrev_b32_e32 v85, 24, v87
	v_lshlrev_b32_e32 v1, 20, v1
	v_lshl_add_u32 v83, v83, 23, 0x3c000000
	v_and_b32_e32 v85, 0x80000000, v85
	v_or3_b32 v83, v1, v85, v83
.LBB362_144:                            ;   in Loop: Header=BB362_10 Depth=1
	s_or_b32 exec_lo, exec_lo, s40
.LBB362_145:                            ;   in Loop: Header=BB362_10 Depth=1
	s_or_b32 exec_lo, exec_lo, s39
.LBB362_146:                            ;   in Loop: Header=BB362_10 Depth=1
	s_or_b32 exec_lo, exec_lo, s3
	v_cmp_ne_u16_sdwa s2, v87, v2 src0_sel:BYTE_1 src1_sel:DWORD
	s_and_saveexec_b32 s3, s2
	s_cbranch_execz .LBB362_154
; %bb.147:                              ;   in Loop: Header=BB362_10 Depth=1
	v_cmp_ne_u16_sdwa s2, v87, v61 src0_sel:BYTE_1 src1_sel:DWORD
	v_bfrev_b32_e32 v84, 1
	s_and_saveexec_b32 s39, s2
	s_cbranch_execz .LBB362_153
; %bb.148:                              ;   in Loop: Header=BB362_10 Depth=1
	v_and_b32_sdwa v1, v62, v87 dst_sel:DWORD dst_unused:UNUSED_PAD src0_sel:DWORD src1_sel:BYTE_1
	v_mov_b32_e32 v84, 0x7f800001
	s_mov_b32 s40, exec_lo
	v_and_b32_e32 v85, 0x7f, v1
	v_cmpx_ne_u32_e32 0x7f, v85
	s_cbranch_execz .LBB362_152
; %bb.149:                              ;   in Loop: Header=BB362_10 Depth=1
	v_and_b32_e32 v1, 7, v1
	v_lshrrev_b32_e32 v84, 3, v85
	s_mov_b32 s41, exec_lo
	v_cmpx_gt_u32_e32 8, v85
; %bb.150:                              ;   in Loop: Header=BB362_10 Depth=1
	v_ffbh_u32_e32 v84, v1
	v_min_u32_e32 v84, 32, v84
	v_subrev_nc_u32_e32 v85, 28, v84
	v_sub_nc_u32_e32 v84, 29, v84
	v_lshlrev_b64 v[85:86], v85, v[1:2]
	v_and_b32_e32 v1, 7, v85
; %bb.151:                              ;   in Loop: Header=BB362_10 Depth=1
	s_or_b32 exec_lo, exec_lo, s41
	v_lshlrev_b32_e32 v85, 16, v87
	v_lshlrev_b32_e32 v1, 20, v1
	v_lshl_add_u32 v84, v84, 23, 0x3c000000
	v_and_b32_e32 v85, 0x80000000, v85
	v_or3_b32 v84, v1, v85, v84
.LBB362_152:                            ;   in Loop: Header=BB362_10 Depth=1
	s_or_b32 exec_lo, exec_lo, s40
.LBB362_153:                            ;   in Loop: Header=BB362_10 Depth=1
	s_or_b32 exec_lo, exec_lo, s39
.LBB362_154:                            ;   in Loop: Header=BB362_10 Depth=1
	s_or_b32 exec_lo, exec_lo, s3
	v_and_b32_sdwa v1, v87, v63 dst_sel:DWORD dst_unused:UNUSED_PAD src0_sel:WORD_1 src1_sel:DWORD
	v_mov_b32_e32 v85, 0
	v_mov_b32_e32 v86, 0
	s_mov_b32 s3, exec_lo
	v_cmpx_ne_u16_e32 0, v1
	s_cbranch_execz .LBB362_162
; %bb.155:                              ;   in Loop: Header=BB362_10 Depth=1
	v_bfrev_b32_e32 v86, 1
	s_mov_b32 s39, exec_lo
	v_cmpx_ne_u16_e32 0x80, v1
	s_cbranch_execz .LBB362_161
; %bb.156:                              ;   in Loop: Header=BB362_10 Depth=1
	v_bfe_u32 v88, v87, 16, 7
	v_mov_b32_e32 v86, 0x7f800001
	s_mov_b32 s40, exec_lo
	v_cmpx_ne_u32_e32 0x7f, v88
	s_cbranch_execz .LBB362_160
; %bb.157:                              ;   in Loop: Header=BB362_10 Depth=1
	v_and_b32_sdwa v1, v87, v64 dst_sel:DWORD dst_unused:UNUSED_PAD src0_sel:WORD_1 src1_sel:DWORD
	v_lshrrev_b32_e32 v86, 3, v88
	s_mov_b32 s41, exec_lo
	v_cmpx_gt_u32_e32 8, v88
; %bb.158:                              ;   in Loop: Header=BB362_10 Depth=1
	v_ffbh_u32_e32 v86, v1
	v_min_u32_e32 v86, 32, v86
	v_subrev_nc_u32_e32 v88, 28, v86
	v_sub_nc_u32_e32 v86, 29, v86
	v_lshlrev_b64 v[88:89], v88, v[1:2]
	v_and_b32_e32 v1, 7, v88
; %bb.159:                              ;   in Loop: Header=BB362_10 Depth=1
	s_or_b32 exec_lo, exec_lo, s41
	v_lshlrev_b32_sdwa v88, v65, v87 dst_sel:DWORD dst_unused:UNUSED_PAD src0_sel:DWORD src1_sel:WORD_1
	v_lshlrev_b32_e32 v1, 20, v1
	v_lshl_add_u32 v86, v86, 23, 0x3c000000
	v_and_b32_e32 v88, 0x80000000, v88
	v_or3_b32 v86, v1, v88, v86
.LBB362_160:                            ;   in Loop: Header=BB362_10 Depth=1
	s_or_b32 exec_lo, exec_lo, s40
.LBB362_161:                            ;   in Loop: Header=BB362_10 Depth=1
	s_or_b32 exec_lo, exec_lo, s39
.LBB362_162:                            ;   in Loop: Header=BB362_10 Depth=1
	s_or_b32 exec_lo, exec_lo, s3
	s_mov_b32 s3, exec_lo
	v_cmpx_lt_u32_e32 0xffffff, v87
	s_cbranch_execz .LBB362_170
; %bb.163:                              ;   in Loop: Header=BB362_10 Depth=1
	v_cmp_ne_u32_sdwa s2, v87, v61 src0_sel:BYTE_3 src1_sel:DWORD
	v_bfrev_b32_e32 v85, 1
	s_and_saveexec_b32 s39, s2
	s_cbranch_execz .LBB362_169
; %bb.164:                              ;   in Loop: Header=BB362_10 Depth=1
	v_bfe_u32 v88, v87, 24, 7
	v_mov_b32_e32 v85, 0x7f800001
	s_mov_b32 s40, exec_lo
	v_cmpx_ne_u32_e32 0x7f, v88
	s_cbranch_execz .LBB362_168
; %bb.165:                              ;   in Loop: Header=BB362_10 Depth=1
	v_and_b32_sdwa v1, v87, v64 dst_sel:DWORD dst_unused:UNUSED_PAD src0_sel:BYTE_3 src1_sel:DWORD
	v_lshrrev_b32_e32 v85, 3, v88
	s_mov_b32 s41, exec_lo
	v_cmpx_gt_u32_e32 8, v88
; %bb.166:                              ;   in Loop: Header=BB362_10 Depth=1
	v_ffbh_u32_e32 v85, v1
	v_min_u32_e32 v85, 32, v85
	v_subrev_nc_u32_e32 v88, 28, v85
	v_sub_nc_u32_e32 v85, 29, v85
	v_lshlrev_b64 v[88:89], v88, v[1:2]
	v_and_b32_e32 v1, 7, v88
; %bb.167:                              ;   in Loop: Header=BB362_10 Depth=1
	s_or_b32 exec_lo, exec_lo, s41
	v_lshlrev_b32_sdwa v87, v65, v87 dst_sel:DWORD dst_unused:UNUSED_PAD src0_sel:DWORD src1_sel:BYTE_3
	v_lshlrev_b32_e32 v1, 20, v1
	v_lshl_add_u32 v85, v85, 23, 0x3c000000
	v_and_b32_e32 v87, 0x80000000, v87
	v_or3_b32 v85, v1, v87, v85
.LBB362_168:                            ;   in Loop: Header=BB362_10 Depth=1
	s_or_b32 exec_lo, exec_lo, s40
.LBB362_169:                            ;   in Loop: Header=BB362_10 Depth=1
	s_or_b32 exec_lo, exec_lo, s39
.LBB362_170:                            ;   in Loop: Header=BB362_10 Depth=1
	s_or_b32 exec_lo, exec_lo, s3
	global_load_dword v91, v[7:8], off offset:520
	v_mov_b32_e32 v88, 0
	v_mov_b32_e32 v87, 0
	s_waitcnt vmcnt(0)
	v_cmp_ne_u16_sdwa s2, v91, v2 src0_sel:BYTE_0 src1_sel:DWORD
	s_and_saveexec_b32 s3, s2
	s_cbranch_execz .LBB362_178
; %bb.171:                              ;   in Loop: Header=BB362_10 Depth=1
	v_cmp_ne_u16_sdwa s2, v91, v61 src0_sel:BYTE_0 src1_sel:DWORD
	v_bfrev_b32_e32 v87, 1
	s_and_saveexec_b32 s39, s2
	s_cbranch_execz .LBB362_177
; %bb.172:                              ;   in Loop: Header=BB362_10 Depth=1
	v_and_b32_e32 v89, 0x7f, v91
	v_mov_b32_e32 v87, 0x7f800001
	s_mov_b32 s40, exec_lo
	v_cmpx_ne_u32_e32 0x7f, v89
	s_cbranch_execz .LBB362_176
; %bb.173:                              ;   in Loop: Header=BB362_10 Depth=1
	v_and_b32_e32 v1, 7, v91
	v_lshrrev_b32_e32 v87, 3, v89
	s_mov_b32 s41, exec_lo
	v_cmpx_gt_u32_e32 8, v89
; %bb.174:                              ;   in Loop: Header=BB362_10 Depth=1
	v_ffbh_u32_e32 v87, v1
	v_min_u32_e32 v87, 32, v87
	v_subrev_nc_u32_e32 v89, 28, v87
	v_sub_nc_u32_e32 v87, 29, v87
	v_lshlrev_b64 v[89:90], v89, v[1:2]
	v_and_b32_e32 v1, 7, v89
; %bb.175:                              ;   in Loop: Header=BB362_10 Depth=1
	s_or_b32 exec_lo, exec_lo, s41
	v_lshlrev_b32_e32 v89, 24, v91
	v_lshlrev_b32_e32 v1, 20, v1
	v_lshl_add_u32 v87, v87, 23, 0x3c000000
	v_and_b32_e32 v89, 0x80000000, v89
	v_or3_b32 v87, v1, v89, v87
.LBB362_176:                            ;   in Loop: Header=BB362_10 Depth=1
	s_or_b32 exec_lo, exec_lo, s40
.LBB362_177:                            ;   in Loop: Header=BB362_10 Depth=1
	s_or_b32 exec_lo, exec_lo, s39
.LBB362_178:                            ;   in Loop: Header=BB362_10 Depth=1
	s_or_b32 exec_lo, exec_lo, s3
	v_cmp_ne_u16_sdwa s2, v91, v2 src0_sel:BYTE_1 src1_sel:DWORD
	s_and_saveexec_b32 s3, s2
	s_cbranch_execz .LBB362_186
; %bb.179:                              ;   in Loop: Header=BB362_10 Depth=1
	v_cmp_ne_u16_sdwa s2, v91, v61 src0_sel:BYTE_1 src1_sel:DWORD
	v_bfrev_b32_e32 v88, 1
	s_and_saveexec_b32 s39, s2
	s_cbranch_execz .LBB362_185
; %bb.180:                              ;   in Loop: Header=BB362_10 Depth=1
	v_and_b32_sdwa v1, v62, v91 dst_sel:DWORD dst_unused:UNUSED_PAD src0_sel:DWORD src1_sel:BYTE_1
	v_mov_b32_e32 v88, 0x7f800001
	s_mov_b32 s40, exec_lo
	v_and_b32_e32 v89, 0x7f, v1
	v_cmpx_ne_u32_e32 0x7f, v89
	s_cbranch_execz .LBB362_184
; %bb.181:                              ;   in Loop: Header=BB362_10 Depth=1
	v_and_b32_e32 v1, 7, v1
	v_lshrrev_b32_e32 v88, 3, v89
	s_mov_b32 s41, exec_lo
	v_cmpx_gt_u32_e32 8, v89
; %bb.182:                              ;   in Loop: Header=BB362_10 Depth=1
	v_ffbh_u32_e32 v88, v1
	v_min_u32_e32 v88, 32, v88
	v_subrev_nc_u32_e32 v89, 28, v88
	v_sub_nc_u32_e32 v88, 29, v88
	v_lshlrev_b64 v[89:90], v89, v[1:2]
	v_and_b32_e32 v1, 7, v89
; %bb.183:                              ;   in Loop: Header=BB362_10 Depth=1
	s_or_b32 exec_lo, exec_lo, s41
	v_lshlrev_b32_e32 v89, 16, v91
	v_lshlrev_b32_e32 v1, 20, v1
	v_lshl_add_u32 v88, v88, 23, 0x3c000000
	v_and_b32_e32 v89, 0x80000000, v89
	v_or3_b32 v88, v1, v89, v88
.LBB362_184:                            ;   in Loop: Header=BB362_10 Depth=1
	s_or_b32 exec_lo, exec_lo, s40
.LBB362_185:                            ;   in Loop: Header=BB362_10 Depth=1
	s_or_b32 exec_lo, exec_lo, s39
.LBB362_186:                            ;   in Loop: Header=BB362_10 Depth=1
	s_or_b32 exec_lo, exec_lo, s3
	v_and_b32_sdwa v1, v91, v63 dst_sel:DWORD dst_unused:UNUSED_PAD src0_sel:WORD_1 src1_sel:DWORD
	v_mov_b32_e32 v89, 0
	v_mov_b32_e32 v90, 0
	s_mov_b32 s3, exec_lo
	v_cmpx_ne_u16_e32 0, v1
	s_cbranch_execz .LBB362_194
; %bb.187:                              ;   in Loop: Header=BB362_10 Depth=1
	v_bfrev_b32_e32 v90, 1
	s_mov_b32 s39, exec_lo
	v_cmpx_ne_u16_e32 0x80, v1
	s_cbranch_execz .LBB362_193
; %bb.188:                              ;   in Loop: Header=BB362_10 Depth=1
	v_bfe_u32 v92, v91, 16, 7
	v_mov_b32_e32 v90, 0x7f800001
	s_mov_b32 s40, exec_lo
	v_cmpx_ne_u32_e32 0x7f, v92
	s_cbranch_execz .LBB362_192
; %bb.189:                              ;   in Loop: Header=BB362_10 Depth=1
	v_and_b32_sdwa v1, v91, v64 dst_sel:DWORD dst_unused:UNUSED_PAD src0_sel:WORD_1 src1_sel:DWORD
	v_lshrrev_b32_e32 v90, 3, v92
	s_mov_b32 s41, exec_lo
	v_cmpx_gt_u32_e32 8, v92
; %bb.190:                              ;   in Loop: Header=BB362_10 Depth=1
	v_ffbh_u32_e32 v90, v1
	v_min_u32_e32 v90, 32, v90
	v_subrev_nc_u32_e32 v92, 28, v90
	v_sub_nc_u32_e32 v90, 29, v90
	v_lshlrev_b64 v[92:93], v92, v[1:2]
	v_and_b32_e32 v1, 7, v92
; %bb.191:                              ;   in Loop: Header=BB362_10 Depth=1
	s_or_b32 exec_lo, exec_lo, s41
	v_lshlrev_b32_sdwa v92, v65, v91 dst_sel:DWORD dst_unused:UNUSED_PAD src0_sel:DWORD src1_sel:WORD_1
	v_lshlrev_b32_e32 v1, 20, v1
	v_lshl_add_u32 v90, v90, 23, 0x3c000000
	v_and_b32_e32 v92, 0x80000000, v92
	v_or3_b32 v90, v1, v92, v90
.LBB362_192:                            ;   in Loop: Header=BB362_10 Depth=1
	s_or_b32 exec_lo, exec_lo, s40
.LBB362_193:                            ;   in Loop: Header=BB362_10 Depth=1
	s_or_b32 exec_lo, exec_lo, s39
.LBB362_194:                            ;   in Loop: Header=BB362_10 Depth=1
	s_or_b32 exec_lo, exec_lo, s3
	s_mov_b32 s3, exec_lo
	v_cmpx_lt_u32_e32 0xffffff, v91
	s_cbranch_execz .LBB362_202
; %bb.195:                              ;   in Loop: Header=BB362_10 Depth=1
	v_cmp_ne_u32_sdwa s2, v91, v61 src0_sel:BYTE_3 src1_sel:DWORD
	v_bfrev_b32_e32 v89, 1
	s_and_saveexec_b32 s39, s2
	s_cbranch_execz .LBB362_201
; %bb.196:                              ;   in Loop: Header=BB362_10 Depth=1
	v_bfe_u32 v92, v91, 24, 7
	v_mov_b32_e32 v89, 0x7f800001
	s_mov_b32 s40, exec_lo
	v_cmpx_ne_u32_e32 0x7f, v92
	s_cbranch_execz .LBB362_200
; %bb.197:                              ;   in Loop: Header=BB362_10 Depth=1
	v_and_b32_sdwa v1, v91, v64 dst_sel:DWORD dst_unused:UNUSED_PAD src0_sel:BYTE_3 src1_sel:DWORD
	v_lshrrev_b32_e32 v89, 3, v92
	s_mov_b32 s41, exec_lo
	v_cmpx_gt_u32_e32 8, v92
; %bb.198:                              ;   in Loop: Header=BB362_10 Depth=1
	v_ffbh_u32_e32 v89, v1
	v_min_u32_e32 v89, 32, v89
	v_subrev_nc_u32_e32 v92, 28, v89
	v_sub_nc_u32_e32 v89, 29, v89
	v_lshlrev_b64 v[92:93], v92, v[1:2]
	v_and_b32_e32 v1, 7, v92
; %bb.199:                              ;   in Loop: Header=BB362_10 Depth=1
	s_or_b32 exec_lo, exec_lo, s41
	v_lshlrev_b32_sdwa v91, v65, v91 dst_sel:DWORD dst_unused:UNUSED_PAD src0_sel:DWORD src1_sel:BYTE_3
	v_lshlrev_b32_e32 v1, 20, v1
	v_lshl_add_u32 v89, v89, 23, 0x3c000000
	v_and_b32_e32 v91, 0x80000000, v91
	v_or3_b32 v89, v1, v91, v89
.LBB362_200:                            ;   in Loop: Header=BB362_10 Depth=1
	s_or_b32 exec_lo, exec_lo, s40
.LBB362_201:                            ;   in Loop: Header=BB362_10 Depth=1
	s_or_b32 exec_lo, exec_lo, s39
.LBB362_202:                            ;   in Loop: Header=BB362_10 Depth=1
	s_or_b32 exec_lo, exec_lo, s3
	global_load_dword v95, v[7:8], off offset:768
	v_mov_b32_e32 v92, 0
	v_mov_b32_e32 v91, 0
	s_waitcnt vmcnt(0)
	v_cmp_ne_u16_sdwa s2, v95, v2 src0_sel:BYTE_0 src1_sel:DWORD
	s_and_saveexec_b32 s3, s2
	s_cbranch_execz .LBB362_210
; %bb.203:                              ;   in Loop: Header=BB362_10 Depth=1
	v_cmp_ne_u16_sdwa s2, v95, v61 src0_sel:BYTE_0 src1_sel:DWORD
	v_bfrev_b32_e32 v91, 1
	s_and_saveexec_b32 s39, s2
	s_cbranch_execz .LBB362_209
; %bb.204:                              ;   in Loop: Header=BB362_10 Depth=1
	v_and_b32_e32 v93, 0x7f, v95
	v_mov_b32_e32 v91, 0x7f800001
	s_mov_b32 s40, exec_lo
	v_cmpx_ne_u32_e32 0x7f, v93
	s_cbranch_execz .LBB362_208
; %bb.205:                              ;   in Loop: Header=BB362_10 Depth=1
	v_and_b32_e32 v1, 7, v95
	v_lshrrev_b32_e32 v91, 3, v93
	s_mov_b32 s41, exec_lo
	v_cmpx_gt_u32_e32 8, v93
; %bb.206:                              ;   in Loop: Header=BB362_10 Depth=1
	v_ffbh_u32_e32 v91, v1
	v_min_u32_e32 v91, 32, v91
	v_subrev_nc_u32_e32 v93, 28, v91
	v_sub_nc_u32_e32 v91, 29, v91
	v_lshlrev_b64 v[93:94], v93, v[1:2]
	v_and_b32_e32 v1, 7, v93
; %bb.207:                              ;   in Loop: Header=BB362_10 Depth=1
	s_or_b32 exec_lo, exec_lo, s41
	v_lshlrev_b32_e32 v93, 24, v95
	v_lshlrev_b32_e32 v1, 20, v1
	v_lshl_add_u32 v91, v91, 23, 0x3c000000
	v_and_b32_e32 v93, 0x80000000, v93
	v_or3_b32 v91, v1, v93, v91
.LBB362_208:                            ;   in Loop: Header=BB362_10 Depth=1
	s_or_b32 exec_lo, exec_lo, s40
.LBB362_209:                            ;   in Loop: Header=BB362_10 Depth=1
	s_or_b32 exec_lo, exec_lo, s39
.LBB362_210:                            ;   in Loop: Header=BB362_10 Depth=1
	s_or_b32 exec_lo, exec_lo, s3
	v_cmp_ne_u16_sdwa s2, v95, v2 src0_sel:BYTE_1 src1_sel:DWORD
	s_and_saveexec_b32 s3, s2
	s_cbranch_execz .LBB362_218
; %bb.211:                              ;   in Loop: Header=BB362_10 Depth=1
	v_cmp_ne_u16_sdwa s2, v95, v61 src0_sel:BYTE_1 src1_sel:DWORD
	v_bfrev_b32_e32 v92, 1
	s_and_saveexec_b32 s39, s2
	s_cbranch_execz .LBB362_217
; %bb.212:                              ;   in Loop: Header=BB362_10 Depth=1
	v_and_b32_sdwa v1, v62, v95 dst_sel:DWORD dst_unused:UNUSED_PAD src0_sel:DWORD src1_sel:BYTE_1
	v_mov_b32_e32 v92, 0x7f800001
	s_mov_b32 s40, exec_lo
	v_and_b32_e32 v93, 0x7f, v1
	v_cmpx_ne_u32_e32 0x7f, v93
	s_cbranch_execz .LBB362_216
; %bb.213:                              ;   in Loop: Header=BB362_10 Depth=1
	v_and_b32_e32 v1, 7, v1
	v_lshrrev_b32_e32 v92, 3, v93
	s_mov_b32 s41, exec_lo
	v_cmpx_gt_u32_e32 8, v93
; %bb.214:                              ;   in Loop: Header=BB362_10 Depth=1
	v_ffbh_u32_e32 v92, v1
	v_min_u32_e32 v92, 32, v92
	v_subrev_nc_u32_e32 v93, 28, v92
	v_sub_nc_u32_e32 v92, 29, v92
	v_lshlrev_b64 v[93:94], v93, v[1:2]
	v_and_b32_e32 v1, 7, v93
; %bb.215:                              ;   in Loop: Header=BB362_10 Depth=1
	s_or_b32 exec_lo, exec_lo, s41
	v_lshlrev_b32_e32 v93, 16, v95
	v_lshlrev_b32_e32 v1, 20, v1
	v_lshl_add_u32 v92, v92, 23, 0x3c000000
	v_and_b32_e32 v93, 0x80000000, v93
	v_or3_b32 v92, v1, v93, v92
.LBB362_216:                            ;   in Loop: Header=BB362_10 Depth=1
	s_or_b32 exec_lo, exec_lo, s40
.LBB362_217:                            ;   in Loop: Header=BB362_10 Depth=1
	s_or_b32 exec_lo, exec_lo, s39
.LBB362_218:                            ;   in Loop: Header=BB362_10 Depth=1
	s_or_b32 exec_lo, exec_lo, s3
	v_and_b32_sdwa v1, v95, v63 dst_sel:DWORD dst_unused:UNUSED_PAD src0_sel:WORD_1 src1_sel:DWORD
	v_mov_b32_e32 v93, 0
	v_mov_b32_e32 v94, 0
	s_mov_b32 s3, exec_lo
	v_cmpx_ne_u16_e32 0, v1
	s_cbranch_execz .LBB362_226
; %bb.219:                              ;   in Loop: Header=BB362_10 Depth=1
	v_bfrev_b32_e32 v94, 1
	s_mov_b32 s39, exec_lo
	v_cmpx_ne_u16_e32 0x80, v1
	s_cbranch_execz .LBB362_225
; %bb.220:                              ;   in Loop: Header=BB362_10 Depth=1
	v_bfe_u32 v96, v95, 16, 7
	v_mov_b32_e32 v94, 0x7f800001
	s_mov_b32 s40, exec_lo
	v_cmpx_ne_u32_e32 0x7f, v96
	s_cbranch_execz .LBB362_224
; %bb.221:                              ;   in Loop: Header=BB362_10 Depth=1
	v_and_b32_sdwa v1, v95, v64 dst_sel:DWORD dst_unused:UNUSED_PAD src0_sel:WORD_1 src1_sel:DWORD
	v_lshrrev_b32_e32 v94, 3, v96
	s_mov_b32 s41, exec_lo
	v_cmpx_gt_u32_e32 8, v96
; %bb.222:                              ;   in Loop: Header=BB362_10 Depth=1
	v_ffbh_u32_e32 v94, v1
	v_min_u32_e32 v94, 32, v94
	v_subrev_nc_u32_e32 v96, 28, v94
	v_sub_nc_u32_e32 v94, 29, v94
	v_lshlrev_b64 v[96:97], v96, v[1:2]
	v_and_b32_e32 v1, 7, v96
; %bb.223:                              ;   in Loop: Header=BB362_10 Depth=1
	s_or_b32 exec_lo, exec_lo, s41
	v_lshlrev_b32_sdwa v96, v65, v95 dst_sel:DWORD dst_unused:UNUSED_PAD src0_sel:DWORD src1_sel:WORD_1
	v_lshlrev_b32_e32 v1, 20, v1
	v_lshl_add_u32 v94, v94, 23, 0x3c000000
	v_and_b32_e32 v96, 0x80000000, v96
	v_or3_b32 v94, v1, v96, v94
.LBB362_224:                            ;   in Loop: Header=BB362_10 Depth=1
	s_or_b32 exec_lo, exec_lo, s40
.LBB362_225:                            ;   in Loop: Header=BB362_10 Depth=1
	s_or_b32 exec_lo, exec_lo, s39
.LBB362_226:                            ;   in Loop: Header=BB362_10 Depth=1
	s_or_b32 exec_lo, exec_lo, s3
	s_mov_b32 s3, exec_lo
	v_cmpx_lt_u32_e32 0xffffff, v95
	s_cbranch_execz .LBB362_234
; %bb.227:                              ;   in Loop: Header=BB362_10 Depth=1
	v_cmp_ne_u32_sdwa s2, v95, v61 src0_sel:BYTE_3 src1_sel:DWORD
	v_bfrev_b32_e32 v93, 1
	s_and_saveexec_b32 s39, s2
	s_cbranch_execz .LBB362_233
; %bb.228:                              ;   in Loop: Header=BB362_10 Depth=1
	v_bfe_u32 v96, v95, 24, 7
	v_mov_b32_e32 v93, 0x7f800001
	s_mov_b32 s40, exec_lo
	v_cmpx_ne_u32_e32 0x7f, v96
	s_cbranch_execz .LBB362_232
; %bb.229:                              ;   in Loop: Header=BB362_10 Depth=1
	v_and_b32_sdwa v1, v95, v64 dst_sel:DWORD dst_unused:UNUSED_PAD src0_sel:BYTE_3 src1_sel:DWORD
	v_lshrrev_b32_e32 v93, 3, v96
	s_mov_b32 s41, exec_lo
	v_cmpx_gt_u32_e32 8, v96
; %bb.230:                              ;   in Loop: Header=BB362_10 Depth=1
	v_ffbh_u32_e32 v93, v1
	v_min_u32_e32 v93, 32, v93
	v_subrev_nc_u32_e32 v96, 28, v93
	v_sub_nc_u32_e32 v93, 29, v93
	v_lshlrev_b64 v[96:97], v96, v[1:2]
	v_and_b32_e32 v1, 7, v96
; %bb.231:                              ;   in Loop: Header=BB362_10 Depth=1
	s_or_b32 exec_lo, exec_lo, s41
	v_lshlrev_b32_sdwa v95, v65, v95 dst_sel:DWORD dst_unused:UNUSED_PAD src0_sel:DWORD src1_sel:BYTE_3
	v_lshlrev_b32_e32 v1, 20, v1
	v_lshl_add_u32 v93, v93, 23, 0x3c000000
	v_and_b32_e32 v95, 0x80000000, v95
	v_or3_b32 v93, v1, v95, v93
.LBB362_232:                            ;   in Loop: Header=BB362_10 Depth=1
	s_or_b32 exec_lo, exec_lo, s40
.LBB362_233:                            ;   in Loop: Header=BB362_10 Depth=1
	s_or_b32 exec_lo, exec_lo, s39
.LBB362_234:                            ;   in Loop: Header=BB362_10 Depth=1
	s_or_b32 exec_lo, exec_lo, s3
	global_load_dword v99, v[7:8], off offset:776
	v_mov_b32_e32 v96, 0
	v_mov_b32_e32 v95, 0
	s_waitcnt vmcnt(0)
	v_cmp_ne_u16_sdwa s2, v99, v2 src0_sel:BYTE_0 src1_sel:DWORD
	s_and_saveexec_b32 s3, s2
	s_cbranch_execz .LBB362_242
; %bb.235:                              ;   in Loop: Header=BB362_10 Depth=1
	v_cmp_ne_u16_sdwa s2, v99, v61 src0_sel:BYTE_0 src1_sel:DWORD
	v_bfrev_b32_e32 v95, 1
	s_and_saveexec_b32 s39, s2
	s_cbranch_execz .LBB362_241
; %bb.236:                              ;   in Loop: Header=BB362_10 Depth=1
	v_and_b32_e32 v97, 0x7f, v99
	v_mov_b32_e32 v95, 0x7f800001
	s_mov_b32 s40, exec_lo
	v_cmpx_ne_u32_e32 0x7f, v97
	s_cbranch_execz .LBB362_240
; %bb.237:                              ;   in Loop: Header=BB362_10 Depth=1
	v_and_b32_e32 v1, 7, v99
	v_lshrrev_b32_e32 v95, 3, v97
	s_mov_b32 s41, exec_lo
	v_cmpx_gt_u32_e32 8, v97
; %bb.238:                              ;   in Loop: Header=BB362_10 Depth=1
	v_ffbh_u32_e32 v95, v1
	v_min_u32_e32 v95, 32, v95
	v_subrev_nc_u32_e32 v97, 28, v95
	v_sub_nc_u32_e32 v95, 29, v95
	v_lshlrev_b64 v[97:98], v97, v[1:2]
	v_and_b32_e32 v1, 7, v97
; %bb.239:                              ;   in Loop: Header=BB362_10 Depth=1
	s_or_b32 exec_lo, exec_lo, s41
	v_lshlrev_b32_e32 v97, 24, v99
	v_lshlrev_b32_e32 v1, 20, v1
	v_lshl_add_u32 v95, v95, 23, 0x3c000000
	v_and_b32_e32 v97, 0x80000000, v97
	v_or3_b32 v95, v1, v97, v95
.LBB362_240:                            ;   in Loop: Header=BB362_10 Depth=1
	s_or_b32 exec_lo, exec_lo, s40
.LBB362_241:                            ;   in Loop: Header=BB362_10 Depth=1
	s_or_b32 exec_lo, exec_lo, s39
.LBB362_242:                            ;   in Loop: Header=BB362_10 Depth=1
	s_or_b32 exec_lo, exec_lo, s3
	v_cmp_ne_u16_sdwa s2, v99, v2 src0_sel:BYTE_1 src1_sel:DWORD
	s_and_saveexec_b32 s3, s2
	s_cbranch_execz .LBB362_250
; %bb.243:                              ;   in Loop: Header=BB362_10 Depth=1
	v_cmp_ne_u16_sdwa s2, v99, v61 src0_sel:BYTE_1 src1_sel:DWORD
	v_bfrev_b32_e32 v96, 1
	s_and_saveexec_b32 s39, s2
	s_cbranch_execz .LBB362_249
; %bb.244:                              ;   in Loop: Header=BB362_10 Depth=1
	v_and_b32_sdwa v1, v62, v99 dst_sel:DWORD dst_unused:UNUSED_PAD src0_sel:DWORD src1_sel:BYTE_1
	v_mov_b32_e32 v96, 0x7f800001
	s_mov_b32 s40, exec_lo
	v_and_b32_e32 v97, 0x7f, v1
	v_cmpx_ne_u32_e32 0x7f, v97
	s_cbranch_execz .LBB362_248
; %bb.245:                              ;   in Loop: Header=BB362_10 Depth=1
	v_and_b32_e32 v1, 7, v1
	v_lshrrev_b32_e32 v96, 3, v97
	s_mov_b32 s41, exec_lo
	v_cmpx_gt_u32_e32 8, v97
; %bb.246:                              ;   in Loop: Header=BB362_10 Depth=1
	v_ffbh_u32_e32 v96, v1
	v_min_u32_e32 v96, 32, v96
	v_subrev_nc_u32_e32 v97, 28, v96
	v_sub_nc_u32_e32 v96, 29, v96
	v_lshlrev_b64 v[97:98], v97, v[1:2]
	v_and_b32_e32 v1, 7, v97
; %bb.247:                              ;   in Loop: Header=BB362_10 Depth=1
	s_or_b32 exec_lo, exec_lo, s41
	v_lshlrev_b32_e32 v97, 16, v99
	v_lshlrev_b32_e32 v1, 20, v1
	v_lshl_add_u32 v96, v96, 23, 0x3c000000
	v_and_b32_e32 v97, 0x80000000, v97
	v_or3_b32 v96, v1, v97, v96
.LBB362_248:                            ;   in Loop: Header=BB362_10 Depth=1
	s_or_b32 exec_lo, exec_lo, s40
.LBB362_249:                            ;   in Loop: Header=BB362_10 Depth=1
	s_or_b32 exec_lo, exec_lo, s39
.LBB362_250:                            ;   in Loop: Header=BB362_10 Depth=1
	s_or_b32 exec_lo, exec_lo, s3
	v_and_b32_sdwa v1, v99, v63 dst_sel:DWORD dst_unused:UNUSED_PAD src0_sel:WORD_1 src1_sel:DWORD
	v_mov_b32_e32 v97, 0
	v_mov_b32_e32 v98, 0
	s_mov_b32 s3, exec_lo
	v_cmpx_ne_u16_e32 0, v1
	s_cbranch_execz .LBB362_258
; %bb.251:                              ;   in Loop: Header=BB362_10 Depth=1
	v_bfrev_b32_e32 v98, 1
	s_mov_b32 s39, exec_lo
	v_cmpx_ne_u16_e32 0x80, v1
	s_cbranch_execz .LBB362_257
; %bb.252:                              ;   in Loop: Header=BB362_10 Depth=1
	v_bfe_u32 v100, v99, 16, 7
	v_mov_b32_e32 v98, 0x7f800001
	s_mov_b32 s40, exec_lo
	v_cmpx_ne_u32_e32 0x7f, v100
	s_cbranch_execz .LBB362_256
; %bb.253:                              ;   in Loop: Header=BB362_10 Depth=1
	v_and_b32_sdwa v1, v99, v64 dst_sel:DWORD dst_unused:UNUSED_PAD src0_sel:WORD_1 src1_sel:DWORD
	v_lshrrev_b32_e32 v98, 3, v100
	s_mov_b32 s41, exec_lo
	v_cmpx_gt_u32_e32 8, v100
; %bb.254:                              ;   in Loop: Header=BB362_10 Depth=1
	v_ffbh_u32_e32 v98, v1
	v_min_u32_e32 v98, 32, v98
	v_subrev_nc_u32_e32 v100, 28, v98
	v_sub_nc_u32_e32 v98, 29, v98
	v_lshlrev_b64 v[100:101], v100, v[1:2]
	v_and_b32_e32 v1, 7, v100
; %bb.255:                              ;   in Loop: Header=BB362_10 Depth=1
	s_or_b32 exec_lo, exec_lo, s41
	v_lshlrev_b32_sdwa v100, v65, v99 dst_sel:DWORD dst_unused:UNUSED_PAD src0_sel:DWORD src1_sel:WORD_1
	v_lshlrev_b32_e32 v1, 20, v1
	v_lshl_add_u32 v98, v98, 23, 0x3c000000
	v_and_b32_e32 v100, 0x80000000, v100
	v_or3_b32 v98, v1, v100, v98
.LBB362_256:                            ;   in Loop: Header=BB362_10 Depth=1
	s_or_b32 exec_lo, exec_lo, s40
.LBB362_257:                            ;   in Loop: Header=BB362_10 Depth=1
	s_or_b32 exec_lo, exec_lo, s39
.LBB362_258:                            ;   in Loop: Header=BB362_10 Depth=1
	s_or_b32 exec_lo, exec_lo, s3
	s_mov_b32 s3, exec_lo
	v_cmpx_lt_u32_e32 0xffffff, v99
	s_cbranch_execz .LBB362_266
; %bb.259:                              ;   in Loop: Header=BB362_10 Depth=1
	v_cmp_ne_u32_sdwa s2, v99, v61 src0_sel:BYTE_3 src1_sel:DWORD
	v_bfrev_b32_e32 v97, 1
	s_and_saveexec_b32 s39, s2
	s_cbranch_execz .LBB362_265
; %bb.260:                              ;   in Loop: Header=BB362_10 Depth=1
	v_bfe_u32 v100, v99, 24, 7
	v_mov_b32_e32 v97, 0x7f800001
	s_mov_b32 s40, exec_lo
	v_cmpx_ne_u32_e32 0x7f, v100
	s_cbranch_execz .LBB362_264
; %bb.261:                              ;   in Loop: Header=BB362_10 Depth=1
	v_and_b32_sdwa v1, v99, v64 dst_sel:DWORD dst_unused:UNUSED_PAD src0_sel:BYTE_3 src1_sel:DWORD
	v_lshrrev_b32_e32 v97, 3, v100
	s_mov_b32 s41, exec_lo
	v_cmpx_gt_u32_e32 8, v100
; %bb.262:                              ;   in Loop: Header=BB362_10 Depth=1
	v_ffbh_u32_e32 v97, v1
	v_min_u32_e32 v97, 32, v97
	v_subrev_nc_u32_e32 v100, 28, v97
	v_sub_nc_u32_e32 v97, 29, v97
	v_lshlrev_b64 v[100:101], v100, v[1:2]
	v_and_b32_e32 v1, 7, v100
; %bb.263:                              ;   in Loop: Header=BB362_10 Depth=1
	s_or_b32 exec_lo, exec_lo, s41
	v_lshlrev_b32_sdwa v99, v65, v99 dst_sel:DWORD dst_unused:UNUSED_PAD src0_sel:DWORD src1_sel:BYTE_3
	v_lshlrev_b32_e32 v1, 20, v1
	v_lshl_add_u32 v97, v97, 23, 0x3c000000
	v_and_b32_e32 v99, 0x80000000, v99
	v_or3_b32 v97, v1, v99, v97
.LBB362_264:                            ;   in Loop: Header=BB362_10 Depth=1
	s_or_b32 exec_lo, exec_lo, s40
.LBB362_265:                            ;   in Loop: Header=BB362_10 Depth=1
	s_or_b32 exec_lo, exec_lo, s39
.LBB362_266:                            ;   in Loop: Header=BB362_10 Depth=1
	s_or_b32 exec_lo, exec_lo, s3
	global_load_dword v101, v[7:8], off offset:1024
	v_mov_b32_e32 v100, 0
	v_mov_b32_e32 v99, 0
	s_waitcnt vmcnt(0)
	v_cmp_ne_u16_sdwa s2, v101, v2 src0_sel:BYTE_0 src1_sel:DWORD
	s_and_saveexec_b32 s3, s2
	s_cbranch_execz .LBB362_274
; %bb.267:                              ;   in Loop: Header=BB362_10 Depth=1
	v_cmp_ne_u16_sdwa s2, v101, v61 src0_sel:BYTE_0 src1_sel:DWORD
	v_bfrev_b32_e32 v99, 1
	s_and_saveexec_b32 s39, s2
	s_cbranch_execz .LBB362_273
; %bb.268:                              ;   in Loop: Header=BB362_10 Depth=1
	v_and_b32_e32 v102, 0x7f, v101
	v_mov_b32_e32 v99, 0x7f800001
	s_mov_b32 s40, exec_lo
	v_cmpx_ne_u32_e32 0x7f, v102
	s_cbranch_execz .LBB362_272
; %bb.269:                              ;   in Loop: Header=BB362_10 Depth=1
	v_and_b32_e32 v1, 7, v101
	v_lshrrev_b32_e32 v99, 3, v102
	s_mov_b32 s41, exec_lo
	v_cmpx_gt_u32_e32 8, v102
; %bb.270:                              ;   in Loop: Header=BB362_10 Depth=1
	v_ffbh_u32_e32 v99, v1
	v_min_u32_e32 v99, 32, v99
	v_subrev_nc_u32_e32 v102, 28, v99
	v_sub_nc_u32_e32 v99, 29, v99
	v_lshlrev_b64 v[102:103], v102, v[1:2]
	v_and_b32_e32 v1, 7, v102
; %bb.271:                              ;   in Loop: Header=BB362_10 Depth=1
	s_or_b32 exec_lo, exec_lo, s41
	v_lshlrev_b32_e32 v102, 24, v101
	v_lshlrev_b32_e32 v1, 20, v1
	v_lshl_add_u32 v99, v99, 23, 0x3c000000
	v_and_b32_e32 v102, 0x80000000, v102
	v_or3_b32 v99, v1, v102, v99
.LBB362_272:                            ;   in Loop: Header=BB362_10 Depth=1
	s_or_b32 exec_lo, exec_lo, s40
.LBB362_273:                            ;   in Loop: Header=BB362_10 Depth=1
	s_or_b32 exec_lo, exec_lo, s39
.LBB362_274:                            ;   in Loop: Header=BB362_10 Depth=1
	s_or_b32 exec_lo, exec_lo, s3
	v_cmp_ne_u16_sdwa s2, v101, v2 src0_sel:BYTE_1 src1_sel:DWORD
	s_and_saveexec_b32 s3, s2
	s_cbranch_execz .LBB362_282
; %bb.275:                              ;   in Loop: Header=BB362_10 Depth=1
	v_cmp_ne_u16_sdwa s2, v101, v61 src0_sel:BYTE_1 src1_sel:DWORD
	v_bfrev_b32_e32 v100, 1
	s_and_saveexec_b32 s39, s2
	s_cbranch_execz .LBB362_281
; %bb.276:                              ;   in Loop: Header=BB362_10 Depth=1
	v_and_b32_sdwa v1, v62, v101 dst_sel:DWORD dst_unused:UNUSED_PAD src0_sel:DWORD src1_sel:BYTE_1
	v_mov_b32_e32 v100, 0x7f800001
	s_mov_b32 s40, exec_lo
	v_and_b32_e32 v102, 0x7f, v1
	v_cmpx_ne_u32_e32 0x7f, v102
	s_cbranch_execz .LBB362_280
; %bb.277:                              ;   in Loop: Header=BB362_10 Depth=1
	v_and_b32_e32 v1, 7, v1
	v_lshrrev_b32_e32 v100, 3, v102
	s_mov_b32 s41, exec_lo
	v_cmpx_gt_u32_e32 8, v102
; %bb.278:                              ;   in Loop: Header=BB362_10 Depth=1
	v_ffbh_u32_e32 v100, v1
	v_min_u32_e32 v100, 32, v100
	v_subrev_nc_u32_e32 v102, 28, v100
	v_sub_nc_u32_e32 v100, 29, v100
	v_lshlrev_b64 v[102:103], v102, v[1:2]
	v_and_b32_e32 v1, 7, v102
; %bb.279:                              ;   in Loop: Header=BB362_10 Depth=1
	s_or_b32 exec_lo, exec_lo, s41
	v_lshlrev_b32_e32 v102, 16, v101
	v_lshlrev_b32_e32 v1, 20, v1
	v_lshl_add_u32 v100, v100, 23, 0x3c000000
	v_and_b32_e32 v102, 0x80000000, v102
	v_or3_b32 v100, v1, v102, v100
.LBB362_280:                            ;   in Loop: Header=BB362_10 Depth=1
	s_or_b32 exec_lo, exec_lo, s40
.LBB362_281:                            ;   in Loop: Header=BB362_10 Depth=1
	s_or_b32 exec_lo, exec_lo, s39
.LBB362_282:                            ;   in Loop: Header=BB362_10 Depth=1
	s_or_b32 exec_lo, exec_lo, s3
	v_and_b32_sdwa v1, v101, v63 dst_sel:DWORD dst_unused:UNUSED_PAD src0_sel:WORD_1 src1_sel:DWORD
	v_mov_b32_e32 v102, 0
	v_mov_b32_e32 v103, 0
	s_mov_b32 s3, exec_lo
	v_cmpx_ne_u16_e32 0, v1
	s_cbranch_execz .LBB362_290
; %bb.283:                              ;   in Loop: Header=BB362_10 Depth=1
	v_bfrev_b32_e32 v103, 1
	s_mov_b32 s39, exec_lo
	v_cmpx_ne_u16_e32 0x80, v1
	s_cbranch_execz .LBB362_289
; %bb.284:                              ;   in Loop: Header=BB362_10 Depth=1
	v_bfe_u32 v104, v101, 16, 7
	v_mov_b32_e32 v103, 0x7f800001
	s_mov_b32 s40, exec_lo
	v_cmpx_ne_u32_e32 0x7f, v104
	s_cbranch_execz .LBB362_288
; %bb.285:                              ;   in Loop: Header=BB362_10 Depth=1
	v_and_b32_sdwa v1, v101, v64 dst_sel:DWORD dst_unused:UNUSED_PAD src0_sel:WORD_1 src1_sel:DWORD
	v_lshrrev_b32_e32 v103, 3, v104
	s_mov_b32 s41, exec_lo
	v_cmpx_gt_u32_e32 8, v104
; %bb.286:                              ;   in Loop: Header=BB362_10 Depth=1
	v_ffbh_u32_e32 v103, v1
	v_min_u32_e32 v103, 32, v103
	v_subrev_nc_u32_e32 v104, 28, v103
	v_sub_nc_u32_e32 v103, 29, v103
	v_lshlrev_b64 v[104:105], v104, v[1:2]
	v_and_b32_e32 v1, 7, v104
; %bb.287:                              ;   in Loop: Header=BB362_10 Depth=1
	s_or_b32 exec_lo, exec_lo, s41
	v_lshlrev_b32_sdwa v104, v65, v101 dst_sel:DWORD dst_unused:UNUSED_PAD src0_sel:DWORD src1_sel:WORD_1
	v_lshlrev_b32_e32 v1, 20, v1
	v_lshl_add_u32 v103, v103, 23, 0x3c000000
	v_and_b32_e32 v104, 0x80000000, v104
	v_or3_b32 v103, v1, v104, v103
.LBB362_288:                            ;   in Loop: Header=BB362_10 Depth=1
	s_or_b32 exec_lo, exec_lo, s40
.LBB362_289:                            ;   in Loop: Header=BB362_10 Depth=1
	s_or_b32 exec_lo, exec_lo, s39
.LBB362_290:                            ;   in Loop: Header=BB362_10 Depth=1
	s_or_b32 exec_lo, exec_lo, s3
	s_mov_b32 s3, exec_lo
	v_cmpx_lt_u32_e32 0xffffff, v101
	s_cbranch_execz .LBB362_298
; %bb.291:                              ;   in Loop: Header=BB362_10 Depth=1
	v_cmp_ne_u32_sdwa s2, v101, v61 src0_sel:BYTE_3 src1_sel:DWORD
	v_bfrev_b32_e32 v102, 1
	s_and_saveexec_b32 s39, s2
	s_cbranch_execz .LBB362_297
; %bb.292:                              ;   in Loop: Header=BB362_10 Depth=1
	v_bfe_u32 v104, v101, 24, 7
	v_mov_b32_e32 v102, 0x7f800001
	s_mov_b32 s40, exec_lo
	v_cmpx_ne_u32_e32 0x7f, v104
	s_cbranch_execz .LBB362_296
; %bb.293:                              ;   in Loop: Header=BB362_10 Depth=1
	v_and_b32_sdwa v1, v101, v64 dst_sel:DWORD dst_unused:UNUSED_PAD src0_sel:BYTE_3 src1_sel:DWORD
	v_lshrrev_b32_e32 v102, 3, v104
	s_mov_b32 s41, exec_lo
	v_cmpx_gt_u32_e32 8, v104
; %bb.294:                              ;   in Loop: Header=BB362_10 Depth=1
	v_ffbh_u32_e32 v102, v1
	v_min_u32_e32 v102, 32, v102
	v_subrev_nc_u32_e32 v104, 28, v102
	v_sub_nc_u32_e32 v102, 29, v102
	v_lshlrev_b64 v[104:105], v104, v[1:2]
	v_and_b32_e32 v1, 7, v104
; %bb.295:                              ;   in Loop: Header=BB362_10 Depth=1
	s_or_b32 exec_lo, exec_lo, s41
	v_lshlrev_b32_sdwa v101, v65, v101 dst_sel:DWORD dst_unused:UNUSED_PAD src0_sel:DWORD src1_sel:BYTE_3
	v_lshlrev_b32_e32 v1, 20, v1
	v_lshl_add_u32 v102, v102, 23, 0x3c000000
	v_and_b32_e32 v101, 0x80000000, v101
	v_or3_b32 v102, v1, v101, v102
.LBB362_296:                            ;   in Loop: Header=BB362_10 Depth=1
	s_or_b32 exec_lo, exec_lo, s40
.LBB362_297:                            ;   in Loop: Header=BB362_10 Depth=1
	s_or_b32 exec_lo, exec_lo, s39
.LBB362_298:                            ;   in Loop: Header=BB362_10 Depth=1
	s_or_b32 exec_lo, exec_lo, s3
	global_load_dword v7, v[7:8], off offset:1032
	v_mov_b32_e32 v105, 0
	v_mov_b32_e32 v104, 0
	s_waitcnt vmcnt(0)
	v_cmp_ne_u16_sdwa s2, v7, v2 src0_sel:BYTE_0 src1_sel:DWORD
	s_and_saveexec_b32 s3, s2
	s_cbranch_execz .LBB362_306
; %bb.299:                              ;   in Loop: Header=BB362_10 Depth=1
	v_cmp_ne_u16_sdwa s2, v7, v61 src0_sel:BYTE_0 src1_sel:DWORD
	v_bfrev_b32_e32 v104, 1
	s_and_saveexec_b32 s39, s2
	s_cbranch_execz .LBB362_305
; %bb.300:                              ;   in Loop: Header=BB362_10 Depth=1
	v_and_b32_e32 v101, 0x7f, v7
	v_mov_b32_e32 v104, 0x7f800001
	s_mov_b32 s40, exec_lo
	v_cmpx_ne_u32_e32 0x7f, v101
	s_cbranch_execz .LBB362_304
; %bb.301:                              ;   in Loop: Header=BB362_10 Depth=1
	v_and_b32_e32 v1, 7, v7
	v_lshrrev_b32_e32 v8, 3, v101
	s_mov_b32 s41, exec_lo
	v_cmpx_gt_u32_e32 8, v101
; %bb.302:                              ;   in Loop: Header=BB362_10 Depth=1
	v_ffbh_u32_e32 v8, v1
	v_min_u32_e32 v8, 32, v8
	v_subrev_nc_u32_e32 v101, 28, v8
	v_sub_nc_u32_e32 v8, 29, v8
	v_lshlrev_b64 v[106:107], v101, v[1:2]
	v_and_b32_e32 v1, 7, v106
; %bb.303:                              ;   in Loop: Header=BB362_10 Depth=1
	s_or_b32 exec_lo, exec_lo, s41
	v_lshlrev_b32_e32 v101, 24, v7
	v_lshlrev_b32_e32 v1, 20, v1
	v_lshl_add_u32 v8, v8, 23, 0x3c000000
	v_and_b32_e32 v101, 0x80000000, v101
	v_or3_b32 v104, v1, v101, v8
.LBB362_304:                            ;   in Loop: Header=BB362_10 Depth=1
	s_or_b32 exec_lo, exec_lo, s40
.LBB362_305:                            ;   in Loop: Header=BB362_10 Depth=1
	s_or_b32 exec_lo, exec_lo, s39
.LBB362_306:                            ;   in Loop: Header=BB362_10 Depth=1
	s_or_b32 exec_lo, exec_lo, s3
	v_cmp_ne_u16_sdwa s2, v7, v2 src0_sel:BYTE_1 src1_sel:DWORD
	s_and_saveexec_b32 s3, s2
	s_cbranch_execz .LBB362_314
; %bb.307:                              ;   in Loop: Header=BB362_10 Depth=1
	v_cmp_ne_u16_sdwa s2, v7, v61 src0_sel:BYTE_1 src1_sel:DWORD
	v_bfrev_b32_e32 v105, 1
	s_and_saveexec_b32 s39, s2
	s_cbranch_execz .LBB362_313
; %bb.308:                              ;   in Loop: Header=BB362_10 Depth=1
	v_and_b32_sdwa v1, v62, v7 dst_sel:DWORD dst_unused:UNUSED_PAD src0_sel:DWORD src1_sel:BYTE_1
	v_mov_b32_e32 v105, 0x7f800001
	s_mov_b32 s40, exec_lo
	v_and_b32_e32 v101, 0x7f, v1
	v_cmpx_ne_u32_e32 0x7f, v101
	s_cbranch_execz .LBB362_312
; %bb.309:                              ;   in Loop: Header=BB362_10 Depth=1
	v_and_b32_e32 v1, 7, v1
	v_lshrrev_b32_e32 v8, 3, v101
	s_mov_b32 s41, exec_lo
	v_cmpx_gt_u32_e32 8, v101
; %bb.310:                              ;   in Loop: Header=BB362_10 Depth=1
	v_ffbh_u32_e32 v8, v1
	v_min_u32_e32 v8, 32, v8
	v_subrev_nc_u32_e32 v101, 28, v8
	v_sub_nc_u32_e32 v8, 29, v8
	v_lshlrev_b64 v[105:106], v101, v[1:2]
	v_and_b32_e32 v1, 7, v105
; %bb.311:                              ;   in Loop: Header=BB362_10 Depth=1
	s_or_b32 exec_lo, exec_lo, s41
	v_lshlrev_b32_e32 v101, 16, v7
	v_lshlrev_b32_e32 v1, 20, v1
	v_lshl_add_u32 v8, v8, 23, 0x3c000000
	v_and_b32_e32 v101, 0x80000000, v101
	v_or3_b32 v105, v1, v101, v8
.LBB362_312:                            ;   in Loop: Header=BB362_10 Depth=1
	s_or_b32 exec_lo, exec_lo, s40
.LBB362_313:                            ;   in Loop: Header=BB362_10 Depth=1
	s_or_b32 exec_lo, exec_lo, s39
.LBB362_314:                            ;   in Loop: Header=BB362_10 Depth=1
	s_or_b32 exec_lo, exec_lo, s3
	v_and_b32_sdwa v1, v7, v63 dst_sel:DWORD dst_unused:UNUSED_PAD src0_sel:WORD_1 src1_sel:DWORD
	v_mov_b32_e32 v8, 0
	v_mov_b32_e32 v101, 0
	s_mov_b32 s3, exec_lo
	v_cmpx_ne_u16_e32 0, v1
	s_cbranch_execz .LBB362_322
; %bb.315:                              ;   in Loop: Header=BB362_10 Depth=1
	v_bfrev_b32_e32 v101, 1
	s_mov_b32 s39, exec_lo
	v_cmpx_ne_u16_e32 0x80, v1
	s_cbranch_execz .LBB362_321
; %bb.316:                              ;   in Loop: Header=BB362_10 Depth=1
	v_bfe_u32 v106, v7, 16, 7
	v_mov_b32_e32 v101, 0x7f800001
	s_mov_b32 s40, exec_lo
	v_cmpx_ne_u32_e32 0x7f, v106
	s_cbranch_execz .LBB362_320
; %bb.317:                              ;   in Loop: Header=BB362_10 Depth=1
	v_and_b32_sdwa v1, v7, v64 dst_sel:DWORD dst_unused:UNUSED_PAD src0_sel:WORD_1 src1_sel:DWORD
	v_lshrrev_b32_e32 v101, 3, v106
	s_mov_b32 s41, exec_lo
	v_cmpx_gt_u32_e32 8, v106
; %bb.318:                              ;   in Loop: Header=BB362_10 Depth=1
	v_ffbh_u32_e32 v101, v1
	v_min_u32_e32 v101, 32, v101
	v_subrev_nc_u32_e32 v106, 28, v101
	v_sub_nc_u32_e32 v101, 29, v101
	v_lshlrev_b64 v[106:107], v106, v[1:2]
	v_and_b32_e32 v1, 7, v106
; %bb.319:                              ;   in Loop: Header=BB362_10 Depth=1
	s_or_b32 exec_lo, exec_lo, s41
	v_lshlrev_b32_sdwa v106, v65, v7 dst_sel:DWORD dst_unused:UNUSED_PAD src0_sel:DWORD src1_sel:WORD_1
	v_lshlrev_b32_e32 v1, 20, v1
	v_lshl_add_u32 v101, v101, 23, 0x3c000000
	v_and_b32_e32 v106, 0x80000000, v106
	v_or3_b32 v101, v1, v106, v101
.LBB362_320:                            ;   in Loop: Header=BB362_10 Depth=1
	s_or_b32 exec_lo, exec_lo, s40
.LBB362_321:                            ;   in Loop: Header=BB362_10 Depth=1
	s_or_b32 exec_lo, exec_lo, s39
.LBB362_322:                            ;   in Loop: Header=BB362_10 Depth=1
	s_or_b32 exec_lo, exec_lo, s3
	s_mov_b32 s3, exec_lo
	v_cmpx_lt_u32_e32 0xffffff, v7
	s_cbranch_execz .LBB362_330
; %bb.323:                              ;   in Loop: Header=BB362_10 Depth=1
	v_cmp_ne_u32_sdwa s2, v7, v61 src0_sel:BYTE_3 src1_sel:DWORD
	v_bfrev_b32_e32 v8, 1
	s_and_saveexec_b32 s39, s2
	s_cbranch_execz .LBB362_329
; %bb.324:                              ;   in Loop: Header=BB362_10 Depth=1
	v_bfe_u32 v106, v7, 24, 7
	v_mov_b32_e32 v8, 0x7f800001
	s_mov_b32 s40, exec_lo
	v_cmpx_ne_u32_e32 0x7f, v106
	s_cbranch_execz .LBB362_328
; %bb.325:                              ;   in Loop: Header=BB362_10 Depth=1
	v_and_b32_sdwa v1, v7, v64 dst_sel:DWORD dst_unused:UNUSED_PAD src0_sel:BYTE_3 src1_sel:DWORD
	v_lshrrev_b32_e32 v8, 3, v106
	s_mov_b32 s41, exec_lo
	v_cmpx_gt_u32_e32 8, v106
; %bb.326:                              ;   in Loop: Header=BB362_10 Depth=1
	v_ffbh_u32_e32 v8, v1
	v_min_u32_e32 v8, 32, v8
	v_subrev_nc_u32_e32 v106, 28, v8
	v_sub_nc_u32_e32 v8, 29, v8
	v_lshlrev_b64 v[106:107], v106, v[1:2]
	v_and_b32_e32 v1, 7, v106
; %bb.327:                              ;   in Loop: Header=BB362_10 Depth=1
	s_or_b32 exec_lo, exec_lo, s41
	v_lshlrev_b32_sdwa v7, v65, v7 dst_sel:DWORD dst_unused:UNUSED_PAD src0_sel:DWORD src1_sel:BYTE_3
	v_lshlrev_b32_e32 v1, 20, v1
	v_lshl_add_u32 v8, v8, 23, 0x3c000000
	v_and_b32_e32 v7, 0x80000000, v7
	v_or3_b32 v8, v1, v7, v8
.LBB362_328:                            ;   in Loop: Header=BB362_10 Depth=1
	s_or_b32 exec_lo, exec_lo, s40
.LBB362_329:                            ;   in Loop: Header=BB362_10 Depth=1
	s_or_b32 exec_lo, exec_lo, s39
.LBB362_330:                            ;   in Loop: Header=BB362_10 Depth=1
	s_or_b32 exec_lo, exec_lo, s3
	v_mul_f32_e32 v1, s4, v105
	v_mul_f32_e32 v7, s4, v104
	;; [unrolled: 1-line block ×5, first 2 shown]
	v_bfe_u32 v104, v1, 16, 1
	v_bfe_u32 v105, v7, 16, 1
	v_or_b32_e32 v106, 0x400000, v1
	v_cmp_u_f32_e64 s2, v1, v1
	v_or_b32_e32 v107, 0x400000, v7
	v_add3_u32 v104, v104, v1, 0x7fff
	v_bfe_u32 v108, v103, 16, 1
	v_add3_u32 v105, v105, v7, 0x7fff
	v_bfe_u32 v109, v102, 16, 1
	v_mul_f32_e32 v81, s4, v81
	v_cndmask_b32_e64 v1, v104, v106, s2
	v_cmp_u_f32_e64 s2, v7, v7
	v_add3_u32 v104, v108, v103, 0x7fff
	v_add3_u32 v106, v109, v102, 0x7fff
	v_mul_f32_e32 v80, s4, v80
	v_mul_f32_e32 v79, s4, v79
	v_cndmask_b32_e64 v7, v105, v107, s2
	v_mul_f32_e32 v105, s4, v100
	v_or_b32_e32 v100, 0x400000, v103
	v_cmp_u_f32_e64 s2, v103, v103
	v_mul_f32_e32 v107, s4, v99
	v_or_b32_e32 v99, 0x400000, v102
	v_bfe_u32 v108, v105, 16, 1
	v_mul_f32_e32 v78, s4, v78
	v_cndmask_b32_e64 v100, v104, v100, s2
	v_cmp_u_f32_e64 s2, v102, v102
	v_bfe_u32 v103, v107, 16, 1
	v_add3_u32 v102, v108, v105, 0x7fff
	v_mul_f32_e32 v104, s4, v98
	v_or_b32_e32 v98, 0x400000, v105
	v_cndmask_b32_e64 v99, v106, v99, s2
	v_cmp_u_f32_e64 s2, v105, v105
	v_add3_u32 v103, v103, v107, 0x7fff
	v_mul_f32_e32 v106, s4, v97
	v_or_b32_e32 v108, 0x400000, v107
	v_bfe_u32 v109, v104, 16, 1
	v_cndmask_b32_e64 v97, v102, v98, s2
	v_cmp_u_f32_e64 s2, v107, v107
	v_bfe_u32 v102, v106, 16, 1
	v_mul_f32_e32 v105, s4, v96
	v_or_b32_e32 v96, 0x400000, v104
	v_mul_f32_e32 v107, s4, v95
	v_cndmask_b32_e64 v98, v103, v108, s2
	v_add3_u32 v103, v109, v104, 0x7fff
	v_cmp_u_f32_e64 s2, v104, v104
	v_add3_u32 v102, v102, v106, 0x7fff
	v_or_b32_e32 v108, 0x400000, v106
	v_bfe_u32 v109, v105, 16, 1
	v_mul_f32_e32 v104, s4, v94
	v_cndmask_b32_e64 v95, v103, v96, s2
	v_cmp_u_f32_e64 s2, v106, v106
	v_bfe_u32 v103, v107, 16, 1
	v_or_b32_e32 v94, 0x400000, v105
	v_mul_f32_e32 v106, s4, v93
	v_mul_f32_e32 v77, s4, v77
	v_cndmask_b32_e64 v96, v102, v108, s2
	v_add3_u32 v102, v109, v105, 0x7fff
	v_cmp_u_f32_e64 s2, v105, v105
	v_add3_u32 v103, v103, v107, 0x7fff
	v_or_b32_e32 v108, 0x400000, v107
	v_bfe_u32 v109, v104, 16, 1
	v_mul_f32_e32 v105, s4, v92
	v_cndmask_b32_e64 v93, v102, v94, s2
	v_cmp_u_f32_e64 s2, v107, v107
	v_bfe_u32 v102, v106, 16, 1
	v_or_b32_e32 v92, 0x400000, v104
	v_mul_f32_e32 v107, s4, v91
	;; [unrolled: 13-line block ×6, first 2 shown]
	v_mul_f32_e32 v72, s4, v72
	v_cndmask_b32_e64 v86, v103, v108, s2
	v_add3_u32 v103, v109, v104, 0x7fff
	v_cmp_u_f32_e64 s2, v104, v104
	v_add3_u32 v102, v102, v106, 0x7fff
	v_or_b32_e32 v108, 0x400000, v106
	v_bfe_u32 v109, v105, 16, 1
	v_or_b32_e32 v104, 0x400000, v105
	v_cndmask_b32_e64 v83, v103, v84, s2
	v_cmp_u_f32_e64 s2, v106, v106
	v_bfe_u32 v103, v107, 16, 1
	v_or_b32_e32 v106, 0x400000, v107
	v_mul_f32_e32 v71, s4, v71
	v_mul_f32_e32 v70, s4, v70
	v_cndmask_b32_e64 v84, v102, v108, s2
	v_add3_u32 v102, v109, v105, 0x7fff
	v_cmp_u_f32_e64 s2, v105, v105
	v_add3_u32 v103, v103, v107, 0x7fff
	v_bfe_u32 v108, v82, 16, 1
	v_mul_f32_e32 v69, s4, v69
	v_mul_f32_e32 v68, s4, v68
	v_cndmask_b32_e64 v102, v102, v104, s2
	v_cmp_u_f32_e64 s2, v107, v107
	v_bfe_u32 v104, v81, 16, 1
	v_add3_u32 v105, v108, v82, 0x7fff
	v_or_b32_e32 v107, 0x400000, v81
	v_bfe_u32 v108, v80, 16, 1
	v_cndmask_b32_e64 v103, v103, v106, s2
	v_or_b32_e32 v106, 0x400000, v82
	v_cmp_u_f32_e64 s2, v82, v82
	v_add3_u32 v104, v104, v81, 0x7fff
	v_mul_f32_e32 v67, s4, v67
	v_mul_f32_e32 v101, s4, v101
	;; [unrolled: 1-line block ×3, first 2 shown]
	v_cndmask_b32_e64 v82, v105, v106, s2
	v_cmp_u_f32_e64 s2, v81, v81
	v_bfe_u32 v105, v79, 16, 1
	v_or_b32_e32 v106, 0x400000, v80
	v_or_b32_e32 v109, 0x400000, v8
	v_and_b32_e32 v7, 0xffff0000, v7
	v_cndmask_b32_e64 v81, v104, v107, s2
	v_add3_u32 v104, v108, v80, 0x7fff
	v_cmp_u_f32_e64 s2, v80, v80
	v_add3_u32 v105, v105, v79, 0x7fff
	v_or_b32_e32 v107, 0x400000, v79
	v_bfe_u32 v108, v78, 16, 1
	v_and_b32_e32 v1, 0xffff0000, v1
	v_cndmask_b32_e64 v80, v104, v106, s2
	v_cmp_u_f32_e64 s2, v79, v79
	v_bfe_u32 v104, v77, 16, 1
	v_or_b32_e32 v106, 0x400000, v78
	v_cndmask_b32_e64 v79, v105, v107, s2
	v_add3_u32 v105, v108, v78, 0x7fff
	v_cmp_u_f32_e64 s2, v78, v78
	v_add3_u32 v104, v104, v77, 0x7fff
	v_or_b32_e32 v107, 0x400000, v77
	v_bfe_u32 v108, v76, 16, 1
	v_cndmask_b32_e64 v78, v105, v106, s2
	v_cmp_u_f32_e64 s2, v77, v77
	v_bfe_u32 v105, v75, 16, 1
	v_or_b32_e32 v106, 0x400000, v76
	v_cndmask_b32_e64 v77, v104, v107, s2
	v_add3_u32 v104, v108, v76, 0x7fff
	v_cmp_u_f32_e64 s2, v76, v76
	v_add3_u32 v105, v105, v75, 0x7fff
	v_or_b32_e32 v107, 0x400000, v75
	v_bfe_u32 v108, v74, 16, 1
	;; [unrolled: 10-line block ×3, first 2 shown]
	v_cndmask_b32_e64 v74, v105, v106, s2
	v_cmp_u_f32_e64 s2, v73, v73
	v_bfe_u32 v105, v71, 16, 1
	v_or_b32_e32 v106, 0x400000, v72
	v_and_b32_e32 v74, 0xffff0000, v74
	v_cndmask_b32_e64 v73, v104, v107, s2
	v_add3_u32 v104, v108, v72, 0x7fff
	v_cmp_u_f32_e64 s2, v72, v72
	v_add3_u32 v105, v105, v71, 0x7fff
	v_or_b32_e32 v107, 0x400000, v71
	v_bfe_u32 v108, v70, 16, 1
	v_and_b32_e32 v73, 0xffff0000, v73
	v_cndmask_b32_e64 v72, v104, v106, s2
	v_cmp_u_f32_e64 s2, v71, v71
	v_bfe_u32 v104, v69, 16, 1
	v_or_b32_e32 v106, 0x400000, v70
	v_mul_f32_e32 v74, v20, v74
	v_and_b32_e32 v72, 0xffff0000, v72
	v_cndmask_b32_e64 v71, v105, v107, s2
	v_add3_u32 v105, v108, v70, 0x7fff
	v_cmp_u_f32_e64 s2, v70, v70
	v_add3_u32 v104, v104, v69, 0x7fff
	v_or_b32_e32 v107, 0x400000, v69
	v_and_b32_e32 v71, 0xffff0000, v71
	v_mul_f32_e32 v72, v19, v72
	v_cndmask_b32_e64 v70, v105, v106, s2
	v_bfe_u32 v105, v68, 16, 1
	v_cmp_u_f32_e64 s2, v69, v69
	v_bfe_u32 v106, v67, 16, 1
	v_mul_f32_e32 v71, v18, v71
	v_and_b32_e32 v70, 0xffff0000, v70
	v_mul_f32_e32 v73, v21, v73
	v_cndmask_b32_e64 v69, v104, v107, s2
	v_add3_u32 v104, v105, v68, 0x7fff
	v_or_b32_e32 v105, 0x400000, v68
	v_cmp_u_f32_e64 s2, v68, v68
	v_fmac_f32_e32 v74, v16, v70
	v_and_b32_e32 v69, 0xffff0000, v69
	v_and_b32_e32 v70, 0xffff0000, v79
	v_bfe_u32 v107, v101, 16, 1
	v_cndmask_b32_e64 v68, v104, v105, s2
	v_add3_u32 v105, v106, v67, 0x7fff
	v_or_b32_e32 v106, 0x400000, v67
	v_cmp_u_f32_e64 s2, v67, v67
	v_fmac_f32_e32 v73, v17, v69
	v_and_b32_e32 v68, 0xffff0000, v68
	v_and_b32_e32 v69, 0xffff0000, v78
	v_bfe_u32 v104, v8, 16, 1
	v_cndmask_b32_e64 v67, v105, v106, s2
	v_add3_u32 v107, v107, v101, 0x7fff
	v_fmac_f32_e32 v72, v15, v68
	v_and_b32_e32 v68, 0xffff0000, v76
	v_fmac_f32_e32 v74, v27, v69
	v_and_b32_e32 v67, 0xffff0000, v67
	v_and_b32_e32 v69, 0xffff0000, v81
	v_or_b32_e32 v108, 0x400000, v101
	v_fmac_f32_e32 v72, v26, v68
	v_and_b32_e32 v68, 0xffff0000, v80
	v_fmac_f32_e32 v71, v14, v67
	v_and_b32_e32 v67, 0xffff0000, v75
	v_cmp_u_f32_e64 s2, v101, v101
	v_add3_u32 v104, v104, v8, 0x7fff
	v_fmac_f32_e32 v72, v30, v68
	v_and_b32_e32 v68, 0xffff0000, v103
	v_fmac_f32_e32 v71, v25, v67
	v_and_b32_e32 v67, 0xffff0000, v77
	v_cndmask_b32_e64 v101, v107, v108, s2
	v_cmp_u_f32_e64 s2, v8, v8
	v_fmac_f32_e32 v71, v29, v70
	v_fmac_f32_e32 v73, v28, v67
	v_and_b32_e32 v67, 0xffff0000, v82
	v_and_b32_e32 v70, 0xffff0000, v102
	v_cndmask_b32_e64 v8, v104, v109, s2
	v_fmac_f32_e32 v71, v33, v68
	v_fmac_f32_e32 v73, v32, v69
	;; [unrolled: 1-line block ×3, first 2 shown]
	v_and_b32_e32 v67, 0xffff0000, v83
	v_and_b32_e32 v68, 0xffff0000, v84
	v_fmac_f32_e32 v72, v34, v70
	v_and_b32_e32 v69, 0xffff0000, v86
	v_and_b32_e32 v70, 0xffff0000, v87
	v_fmac_f32_e32 v74, v35, v67
	v_and_b32_e32 v67, 0xffff0000, v85
	v_fmac_f32_e32 v73, v36, v68
	;; [unrolled: 2-line block ×3, first 2 shown]
	v_fmac_f32_e32 v74, v39, v70
	v_fmac_f32_e32 v72, v38, v67
	v_and_b32_e32 v67, 0xffff0000, v90
	v_and_b32_e32 v69, 0xffff0000, v89
	v_fmac_f32_e32 v73, v40, v68
	v_and_b32_e32 v68, 0xffff0000, v91
	v_and_b32_e32 v70, 0xffff0000, v92
	v_fmac_f32_e32 v71, v41, v67
	v_fmac_f32_e32 v72, v42, v69
	v_and_b32_e32 v67, 0xffff0000, v94
	v_fmac_f32_e32 v74, v43, v68
	v_and_b32_e32 v68, 0xffff0000, v93
	v_fmac_f32_e32 v73, v44, v70
	v_and_b32_e32 v69, 0xffff0000, v95
	v_fmac_f32_e32 v71, v45, v67
	v_and_b32_e32 v67, 0xffff0000, v96
	v_and_b32_e32 v70, 0xffff0000, v98
	v_fmac_f32_e32 v72, v46, v68
	v_and_b32_e32 v68, 0xffff0000, v97
	v_fmac_f32_e32 v74, v47, v69
	v_fmac_f32_e32 v73, v48, v67
	;; [unrolled: 1-line block ×3, first 2 shown]
	v_and_b32_e32 v67, 0xffff0000, v100
	v_fmac_f32_e32 v72, v50, v68
	v_and_b32_e32 v68, 0xffff0000, v99
	v_fmac_f32_e32 v71, v53, v7
	v_fmac_f32_e32 v74, v51, v67
	v_and_b32_e32 v7, 0xffff0000, v101
	v_fmac_f32_e32 v72, v55, v1
	;; [unrolled: 3-line block ×3, first 2 shown]
	v_add_f32_e32 v7, v71, v72
	v_fmac_f32_e32 v73, v57, v1
	v_add_f32_e32 v1, v7, v74
	v_add_f32_e32 v1, v1, v73
	ds_bpermute_b32 v7, v58, v1
	s_and_saveexec_b32 s3, vcc_lo
	s_cbranch_execz .LBB362_9
; %bb.331:                              ;   in Loop: Header=BB362_10 Depth=1
	v_add_nc_u32_e32 v8, s5, v59
	s_waitcnt lgkmcnt(0)
	v_add_f32_e32 v1, v1, v7
	v_cmp_gt_i32_e64 s2, s27, v59
	v_cvt_f32_i32_e32 v8, v8
	v_mul_f32_e32 v8, s36, v8
	v_cndmask_b32_e64 v7, 0, v8, s1
	v_max_f32_e32 v8, v54, v54
	v_fmac_f32_e32 v7, s37, v1
	v_max_f32_e32 v1, v8, v7
	v_cndmask_b32_e64 v7, 0, v7, s2
	v_cndmask_b32_e64 v54, v54, v1, s2
	ds_write_b32 v60, v7
	s_branch .LBB362_9
.LBB362_332:
	s_or_b32 exec_lo, exec_lo, s16
.LBB362_333:
	s_or_b32 exec_lo, exec_lo, s38
	v_xor_b32_e32 v1, 16, v12
	v_xor_b32_e32 v3, 8, v12
	v_max_f32_e32 v6, v54, v54
	s_waitcnt lgkmcnt(0)
	v_xor_b32_e32 v7, 2, v12
	v_and_b32_e32 v25, 31, v0
	v_cmp_lt_i32_e32 vcc_lo, v1, v13
	v_cndmask_b32_e32 v1, v12, v1, vcc_lo
	v_cmp_lt_i32_e32 vcc_lo, v3, v13
	v_lshlrev_b32_e32 v4, 2, v1
	v_cndmask_b32_e32 v3, v12, v3, vcc_lo
	ds_bpermute_b32 v1, v4, v54
	v_lshlrev_b32_e32 v5, 2, v3
	s_waitcnt lgkmcnt(0)
	v_max_f32_e32 v1, v1, v1
	v_max_f32_e32 v1, v6, v1
	v_xor_b32_e32 v6, 4, v12
	ds_bpermute_b32 v3, v5, v1
	v_cmp_lt_i32_e32 vcc_lo, v6, v13
	v_cndmask_b32_e32 v6, v12, v6, vcc_lo
	v_cmp_lt_i32_e32 vcc_lo, v7, v13
	v_lshlrev_b32_e32 v6, 2, v6
	v_cndmask_b32_e32 v7, v12, v7, vcc_lo
	v_cmp_eq_u32_e32 vcc_lo, 0, v25
	s_waitcnt lgkmcnt(0)
	v_max_f32_e32 v3, v3, v3
	v_max_f32_e32 v1, v1, v3
	ds_bpermute_b32 v3, v6, v1
	s_waitcnt lgkmcnt(0)
	v_max_f32_e32 v3, v3, v3
	v_max_f32_e32 v1, v1, v3
	v_lshlrev_b32_e32 v3, 2, v7
	v_lshlrev_b32_e32 v7, 2, v24
	ds_bpermute_b32 v8, v3, v1
	s_and_saveexec_b32 s1, vcc_lo
	s_cbranch_execz .LBB362_335
; %bb.334:
	s_waitcnt lgkmcnt(0)
	v_max_f32_e32 v8, v8, v8
	v_max_f32_e32 v1, v1, v1
	;; [unrolled: 1-line block ×3, first 2 shown]
	ds_write_b32 v7, v1 offset:160
.LBB362_335:
	s_or_b32 exec_lo, exec_lo, s1
	v_cmp_gt_u32_e64 s1, 4, v25
	v_mov_b32_e32 v1, 0xff7fffff
	s_waitcnt lgkmcnt(0)
	v_lshlrev_b32_e32 v8, 2, v25
	s_barrier
	buffer_gl0_inv
	s_and_saveexec_b32 s2, s1
; %bb.336:
	ds_read_b32 v1, v8 offset:160
; %bb.337:
	s_or_b32 exec_lo, exec_lo, s2
	s_waitcnt lgkmcnt(0)
	ds_bpermute_b32 v14, v3, v1
	v_xor_b32_e32 v15, 1, v12
	v_max_f32_e32 v1, v1, v1
	v_lshlrev_b32_e32 v2, 2, v2
	v_cmp_lt_i32_e64 s2, v15, v13
	v_cndmask_b32_e64 v13, v12, v15, s2
	s_sub_i32 s2, s11, s15
	s_lshl_b32 s2, s2, 4
	v_lshlrev_b32_e32 v26, 2, v13
	s_add_i32 s2, s2, s33
	s_min_i32 s2, s2, s27
	s_waitcnt lgkmcnt(0)
	v_max_f32_e32 v14, v14, v14
	s_sub_i32 s4, s2, s33
	v_cmp_gt_i32_e64 s2, s4, v0
	v_max_f32_e32 v1, v1, v14
	ds_bpermute_b32 v13, v26, v1
	s_waitcnt lgkmcnt(0)
	v_max_f32_e32 v13, v13, v13
	v_max_f32_e32 v1, v1, v13
	v_mov_b32_e32 v13, 0
	ds_bpermute_b32 v1, v2, v1
	v_lshl_add_u32 v2, v0, 2, 0xc0
	s_and_saveexec_b32 s5, s2
	s_cbranch_execz .LBB362_341
; %bb.338:
	v_lshl_add_u32 v14, v0, 2, 0xc0
	v_mov_b32_e32 v13, 0
	v_mov_b32_e32 v15, v0
	s_mov_b32 s15, 0
	.p2align	6
.LBB362_339:                            ; =>This Inner Loop Header: Depth=1
	ds_read_b32 v16, v14
	v_add_nc_u32_e32 v15, 0x80, v15
	v_cmp_le_i32_e64 s3, s4, v15
	s_or_b32 s15, s3, s15
	s_waitcnt lgkmcnt(0)
	v_sub_f32_e32 v16, v16, v1
	v_mul_f32_e32 v16, 0x3fb8aa3b, v16
	v_exp_f32_e32 v16, v16
	ds_write_b32 v14, v16
	v_add_f32_e32 v13, v13, v16
	v_add_nc_u32_e32 v14, 0x200, v14
	s_andn2_b32 exec_lo, exec_lo, s15
	s_cbranch_execnz .LBB362_339
; %bb.340:
	s_or_b32 exec_lo, exec_lo, s15
.LBB362_341:
	s_or_b32 exec_lo, exec_lo, s5
	ds_bpermute_b32 v4, v4, v13
	s_waitcnt lgkmcnt(0)
	v_add_f32_e32 v4, v13, v4
	ds_bpermute_b32 v5, v5, v4
	s_waitcnt lgkmcnt(0)
	v_add_f32_e32 v4, v4, v5
	;; [unrolled: 3-line block ×5, first 2 shown]
	s_and_saveexec_b32 s3, vcc_lo
; %bb.342:
	ds_write_b32 v7, v4 offset:176
; %bb.343:
	s_or_b32 exec_lo, exec_lo, s3
	s_waitcnt lgkmcnt(0)
	s_barrier
	buffer_gl0_inv
	s_and_saveexec_b32 s3, s1
; %bb.344:
	ds_read_b32 v4, v8 offset:176
; %bb.345:
	s_or_b32 exec_lo, exec_lo, s3
	s_waitcnt lgkmcnt(0)
	ds_bpermute_b32 v3, v3, v4
	v_lshlrev_b32_e32 v5, 2, v12
	s_waitcnt lgkmcnt(0)
	v_add_f32_e32 v3, v4, v3
	ds_bpermute_b32 v4, v26, v3
	s_waitcnt lgkmcnt(0)
	v_add_f32_e32 v3, v3, v4
	v_and_b32_e32 v4, 0xffffff80, v5
	ds_bpermute_b32 v3, v4, v3
	s_and_saveexec_b32 s1, s2
	s_cbranch_execz .LBB362_348
; %bb.346:
	s_waitcnt lgkmcnt(0)
	v_add_f32_e32 v4, 0x358637bd, v3
	s_mov_b32 s2, 0
	v_div_scale_f32 v5, null, v4, v4, 1.0
	v_div_scale_f32 v8, vcc_lo, 1.0, v4, 1.0
	v_rcp_f32_e32 v6, v5
	v_fma_f32 v7, -v5, v6, 1.0
	v_fmac_f32_e32 v6, v7, v6
	v_mul_f32_e32 v7, v8, v6
	v_fma_f32 v12, -v5, v7, v8
	v_fmac_f32_e32 v7, v12, v6
	v_fma_f32 v5, -v5, v7, v8
	v_div_fmas_f32 v5, v5, v6, v7
	v_div_fixup_f32 v4, v5, v4, 1.0
	v_mov_b32_e32 v5, v0
.LBB362_347:                            ; =>This Inner Loop Header: Depth=1
	ds_read_b32 v6, v2
	v_add_nc_u32_e32 v5, 0x80, v5
	v_cmp_le_i32_e32 vcc_lo, s4, v5
	s_or_b32 s2, vcc_lo, s2
	s_waitcnt lgkmcnt(0)
	v_mul_f32_e32 v6, v4, v6
	ds_write_b32 v2, v6
	v_add_nc_u32_e32 v2, 0x200, v2
	s_andn2_b32 exec_lo, exec_lo, s2
	s_cbranch_execnz .LBB362_347
.LBB362_348:
	s_or_b32 exec_lo, exec_lo, s1
	s_mul_i32 s1, s7, s26
	s_waitcnt lgkmcnt(0)
	s_mul_i32 s2, s1, s9
	s_mov_b32 s1, exec_lo
	s_barrier
	buffer_gl0_inv
	v_cmpx_eq_u32_e32 0, v0
	s_cbranch_execz .LBB362_350
; %bb.349:
	s_ashr_i32 s3, s2, 31
	s_mul_i32 s16, s7, s6
	s_lshl_b64 s[4:5], s[2:3], 2
	v_mov_b32_e32 v2, 0
	s_add_u32 s3, s22, s4
	s_addc_u32 s6, s23, s5
	s_ashr_i32 s17, s16, 31
	s_lshl_b64 s[16:17], s[16:17], 2
	s_add_u32 s3, s3, s16
	s_addc_u32 s6, s6, s17
	s_ashr_i32 s9, s8, 31
	s_lshl_b64 s[22:23], s[8:9], 2
	s_add_u32 s36, s3, s22
	s_addc_u32 s37, s6, s23
	s_add_u32 s3, s20, s4
	s_addc_u32 s4, s21, s5
	s_add_u32 s3, s3, s16
	s_addc_u32 s5, s4, s17
	s_add_u32 s4, s3, s22
	s_addc_u32 s5, s5, s23
	global_store_dword v2, v1, s[36:37]
	global_store_dword v2, v3, s[4:5]
.LBB362_350:
	s_or_b32 exec_lo, exec_lo, s1
	v_mov_b32_e32 v30, 0
	v_mov_b32_e32 v31, 0
	;; [unrolled: 1-line block ×5, first 2 shown]
	s_and_saveexec_b32 s1, s0
	s_cbranch_execz .LBB362_664
; %bb.351:
	s_load_dword s6, s[18:19], 0x0
	v_and_b32_e32 v1, 8, v11
	v_and_b32_e32 v2, 0xf8, v11
	v_lshl_add_u32 v4, v24, 4, s33
	s_ashr_i32 s0, s14, 31
	s_add_u32 s4, s34, s14
	v_lshlrev_b32_e32 v3, 5, v23
	s_addc_u32 s0, s35, s0
	v_add_co_u32 v12, s4, s4, v2
	v_add3_u32 v32, v4, v1, 7
	v_lshlrev_b64 v[1:2], 2, v[9:10]
	v_add_co_ci_u32_e64 v13, null, s0, 0, s4
	s_lshl_b64 s[4:5], s[30:31], 2
	s_add_i32 s9, s12, -1
	v_lshl_or_b32 v3, v24, 6, v3
	s_add_u32 s0, s28, s4
	s_addc_u32 s4, s29, s5
	v_add_co_u32 v14, vcc_lo, s0, v1
	v_mov_b32_e32 v11, 0
	v_add_nc_u32_e32 v33, 0xc0, v3
	v_add_co_ci_u32_e64 v15, null, s4, v2, vcc_lo
	v_mov_b32_e32 v34, 0x80
	v_mov_b32_e32 v35, 0xffff
	;; [unrolled: 1-line block ×10, first 2 shown]
	s_mov_b32 s4, -1
	s_mov_b32 s3, s13
	s_mov_b32 s5, 0xffffff
	s_mov_b32 s12, 0
	s_branch .LBB362_353
.LBB362_352:                            ;   in Loop: Header=BB362_353 Depth=1
	s_or_b32 exec_lo, exec_lo, s0
	v_bfe_u32 v47, v5, 16, 1
	v_bfe_u32 v48, v6, 16, 1
	v_or_b32_e32 v49, 0x400000, v5
	v_cmp_u_f32_e32 vcc_lo, v5, v5
	v_or_b32_e32 v50, 0x400000, v6
	v_add3_u32 v47, v47, v5, 0x7fff
	v_bfe_u32 v51, v7, 16, 1
	v_add3_u32 v48, v48, v6, 0x7fff
	v_bfe_u32 v52, v8, 16, 1
	v_lshlrev_b32_e32 v20, 16, v20
	v_cndmask_b32_e32 v5, v47, v49, vcc_lo
	v_cmp_u_f32_e32 vcc_lo, v6, v6
	v_add3_u32 v47, v51, v7, 0x7fff
	v_add3_u32 v49, v52, v8, 0x7fff
	v_bfe_u32 v51, v1, 16, 1
	v_and_b32_e32 v5, 0xffff0000, v5
	v_cndmask_b32_e32 v6, v48, v50, vcc_lo
	v_or_b32_e32 v48, 0x400000, v7
	v_cmp_u_f32_e32 vcc_lo, v7, v7
	v_or_b32_e32 v50, 0x400000, v8
	v_or_b32_e32 v52, 0x400000, v4
	v_lshlrev_b32_e32 v21, 16, v21
	v_lshlrev_b32_e32 v71, 16, v71
	v_cndmask_b32_e32 v7, v47, v48, vcc_lo
	v_cmp_u_f32_e32 vcc_lo, v8, v8
	v_bfe_u32 v47, v2, 16, 1
	v_add3_u32 v48, v51, v1, 0x7fff
	v_bfe_u32 v51, v3, 16, 1
	v_lshlrev_b32_e32 v64, 16, v64
	v_cndmask_b32_e32 v8, v49, v50, vcc_lo
	v_or_b32_e32 v49, 0x400000, v1
	v_cmp_u_f32_e32 vcc_lo, v1, v1
	v_add3_u32 v47, v47, v2, 0x7fff
	v_or_b32_e32 v50, 0x400000, v2
	v_and_b32_e32 v1, 0xffff0000, v6
	v_lshlrev_b32_e32 v6, 16, v75
	v_cndmask_b32_e32 v48, v48, v49, vcc_lo
	v_cmp_u_f32_e32 vcc_lo, v2, v2
	v_add3_u32 v2, v51, v3, 0x7fff
	v_bfe_u32 v49, v4, 16, 1
	v_or_b32_e32 v51, 0x400000, v3
	v_mul_f32_e32 v6, v1, v6
	v_cndmask_b32_e32 v47, v47, v50, vcc_lo
	v_lshlrev_b32_e32 v50, 16, v74
	v_cmp_u_f32_e32 vcc_lo, v3, v3
	v_add3_u32 v49, v49, v4, 0x7fff
	v_bfe_u32 v3, v6, 16, 1
	v_lshlrev_b32_e32 v59, 16, v59
	v_mul_f32_e32 v50, v5, v50
	v_cndmask_b32_e32 v51, v2, v51, vcc_lo
	v_cmp_u_f32_e32 vcc_lo, v4, v4
	v_and_b32_e32 v2, 0xffff0000, v8
	v_lshlrev_b32_e32 v8, 16, v72
	v_add3_u32 v3, v3, v6, 0x7fff
	v_or_b32_e32 v53, 0x400000, v50
	v_cndmask_b32_e32 v4, v49, v52, vcc_lo
	v_bfe_u32 v49, v50, 16, 1
	v_or_b32_e32 v52, 0x400000, v6
	v_mul_f32_e32 v72, v2, v8
	v_and_b32_e32 v8, 0xffff0000, v7
	v_lshlrev_b32_e32 v7, 16, v73
	v_cmp_u_f32_e32 vcc_lo, v6, v6
	v_add3_u32 v49, v49, v50, 0x7fff
	v_and_b32_e32 v6, 0xffff0000, v48
	v_or_b32_e32 v48, 0x400000, v72
	v_mul_f32_e32 v7, v8, v7
	v_cndmask_b32_e32 v52, v3, v52, vcc_lo
	v_cmp_u_f32_e32 vcc_lo, v50, v50
	v_bfe_u32 v50, v72, 16, 1
	v_and_b32_e32 v3, 0xffff0000, v47
	v_mul_f32_e32 v21, v6, v21
	v_and_b32_e32 v4, 0xffff0000, v4
	v_cndmask_b32_e32 v49, v49, v53, vcc_lo
	v_add3_u32 v47, v50, v72, 0x7fff
	v_bfe_u32 v50, v7, 16, 1
	v_mul_f32_e32 v20, v3, v20
	v_cmp_u_f32_e32 vcc_lo, v72, v72
	v_bfe_u32 v72, v21, 16, 1
	v_mul_f32_e32 v71, v4, v71
	v_and_b32_e32 v49, 0xffff0000, v49
	v_bfe_u32 v53, v20, 16, 1
	v_cndmask_b32_e32 v47, v47, v48, vcc_lo
	v_add3_u32 v48, v50, v7, 0x7fff
	v_or_b32_e32 v50, 0x400000, v7
	v_cmp_u_f32_e32 vcc_lo, v7, v7
	v_and_b32_e32 v7, 0xffff0000, v51
	v_lshlrev_b32_e32 v51, 16, v70
	v_add3_u32 v72, v72, v21, 0x7fff
	v_or_b32_e32 v70, 0x400000, v21
	v_cndmask_b32_e32 v48, v48, v50, vcc_lo
	v_add3_u32 v50, v53, v20, 0x7fff
	v_or_b32_e32 v53, 0x400000, v20
	v_cmp_u_f32_e32 vcc_lo, v20, v20
	v_bfe_u32 v73, v71, 16, 1
	v_and_b32_e32 v52, 0xffff0000, v52
	v_and_b32_e32 v48, 0xffff0000, v48
	;; [unrolled: 1-line block ×3, first 2 shown]
	v_cndmask_b32_e32 v20, v50, v53, vcc_lo
	v_mul_f32_e32 v50, v7, v51
	v_cmp_u_f32_e32 vcc_lo, v21, v21
	v_add3_u32 v51, v73, v71, 0x7fff
	v_or_b32_e32 v53, 0x400000, v71
	v_add_f32_e32 v49, v49, v52
	v_add_f32_e32 v47, v48, v47
	v_cndmask_b32_e32 v21, v72, v70, vcc_lo
	v_bfe_u32 v70, v50, 16, 1
	v_cmp_u_f32_e32 vcc_lo, v71, v71
	v_and_b32_e32 v20, 0xffff0000, v20
	v_add_f32_e32 v47, v47, v49
	v_and_b32_e32 v21, 0xffff0000, v21
	v_lshlrev_b32_e32 v49, 16, v69
	v_cndmask_b32_e32 v51, v51, v53, vcc_lo
	v_add3_u32 v53, v70, v50, 0x7fff
	v_or_b32_e32 v70, 0x400000, v50
	v_cmp_u_f32_e32 vcc_lo, v50, v50
	v_add_f32_e32 v20, v21, v20
	v_lshlrev_b32_e32 v21, 16, v68
	v_and_b32_e32 v50, 0xffff0000, v51
	v_mul_f32_e32 v49, v1, v49
	v_cndmask_b32_e32 v48, v53, v70, vcc_lo
	v_add_f32_e32 v20, v20, v47
	v_mul_f32_e32 v21, v5, v21
	v_lshlrev_b32_e32 v51, 16, v65
	v_cmp_u_f32_e32 vcc_lo, v49, v49
	v_and_b32_e32 v48, 0xffff0000, v48
	v_lshlrev_b32_e32 v53, 16, v67
	v_or_b32_e32 v52, 0x400000, v21
	v_mul_f32_e32 v51, v2, v51
	v_lshlrev_b32_e32 v54, 16, v54
	v_add_f32_e32 v47, v48, v50
	v_bfe_u32 v48, v49, 16, 1
	v_bfe_u32 v50, v21, 16, 1
	v_lshlrev_b32_e32 v55, 16, v55
	v_lshlrev_b32_e32 v46, 16, v46
	v_add_f32_e32 v20, v47, v20
	v_add3_u32 v47, v48, v49, 0x7fff
	v_or_b32_e32 v48, 0x400000, v49
	v_add3_u32 v50, v50, v21, 0x7fff
	v_mul_f32_e32 v49, v8, v53
	v_lshlrev_b32_e32 v53, 16, v63
	v_lshlrev_b32_e32 v63, 16, v66
	v_cndmask_b32_e32 v47, v47, v48, vcc_lo
	v_cmp_u_f32_e32 vcc_lo, v21, v21
	v_bfe_u32 v48, v51, 16, 1
	v_mul_f32_e32 v46, v1, v46
	v_lshlrev_b32_e32 v45, 16, v45
	v_and_b32_e32 v47, 0xffff0000, v47
	v_cndmask_b32_e32 v21, v50, v52, vcc_lo
	v_lshlrev_b32_e32 v50, 16, v62
	v_add3_u32 v48, v48, v51, 0x7fff
	v_or_b32_e32 v52, 0x400000, v51
	v_bfe_u32 v62, v49, 16, 1
	v_cmp_u_f32_e32 vcc_lo, v51, v51
	v_mul_f32_e32 v50, v3, v50
	v_mul_f32_e32 v51, v6, v53
	v_or_b32_e32 v53, 0x400000, v49
	v_and_b32_e32 v21, 0xffff0000, v21
	v_cndmask_b32_e32 v48, v48, v52, vcc_lo
	v_add3_u32 v52, v62, v49, 0x7fff
	v_bfe_u32 v62, v50, 16, 1
	v_cmp_u_f32_e32 vcc_lo, v49, v49
	v_bfe_u32 v65, v51, 16, 1
	v_and_b32_e32 v48, 0xffff0000, v48
	v_add_f32_e32 v21, v21, v47
	v_lshlrev_b32_e32 v42, 16, v42
	v_cndmask_b32_e32 v49, v52, v53, vcc_lo
	v_add3_u32 v52, v62, v50, 0x7fff
	v_mul_f32_e32 v53, v4, v63
	v_or_b32_e32 v62, 0x400000, v50
	v_cmp_u_f32_e32 vcc_lo, v50, v50
	v_add3_u32 v63, v65, v51, 0x7fff
	v_or_b32_e32 v65, 0x400000, v51
	v_bfe_u32 v66, v53, 16, 1
	v_and_b32_e32 v49, 0xffff0000, v49
	v_cndmask_b32_e32 v50, v52, v62, vcc_lo
	v_mul_f32_e32 v52, v7, v64
	v_cmp_u_f32_e32 vcc_lo, v51, v51
	v_add3_u32 v62, v66, v53, 0x7fff
	v_add_f32_e32 v47, v49, v48
	v_and_b32_e32 v49, 0xffff0000, v50
	v_bfe_u32 v64, v52, 16, 1
	v_cndmask_b32_e32 v51, v63, v65, vcc_lo
	v_or_b32_e32 v63, 0x400000, v53
	v_cmp_u_f32_e32 vcc_lo, v53, v53
	v_lshlrev_b32_e32 v50, 16, v61
	v_add_f32_e32 v21, v47, v21
	v_and_b32_e32 v48, 0xffff0000, v51
	v_mul_f32_e32 v45, v5, v45
	v_cndmask_b32_e32 v53, v62, v63, vcc_lo
	v_add3_u32 v62, v64, v52, 0x7fff
	v_or_b32_e32 v63, 0x400000, v52
	v_cmp_u_f32_e32 vcc_lo, v52, v52
	v_lshlrev_b32_e32 v52, 16, v60
	v_add_f32_e32 v47, v48, v49
	v_mul_f32_e32 v48, v1, v50
	v_mul_f32_e32 v42, v2, v42
	v_cndmask_b32_e32 v51, v62, v63, vcc_lo
	v_mul_f32_e32 v50, v5, v52
	v_lshlrev_b32_e32 v52, 16, v57
	v_add_f32_e32 v21, v47, v21
	v_cmp_u_f32_e32 vcc_lo, v48, v48
	v_and_b32_e32 v49, 0xffff0000, v51
	v_and_b32_e32 v51, 0xffff0000, v53
	v_bfe_u32 v53, v48, 16, 1
	v_bfe_u32 v57, v50, 16, 1
	v_lshlrev_b32_e32 v44, 16, v44
	v_lshlrev_b32_e32 v40, 16, v40
	v_add_f32_e32 v47, v49, v51
	v_mul_f32_e32 v49, v2, v52
	v_add3_u32 v51, v53, v48, 0x7fff
	v_or_b32_e32 v52, 0x400000, v48
	v_add3_u32 v53, v57, v50, 0x7fff
	v_or_b32_e32 v57, 0x400000, v50
	v_bfe_u32 v60, v49, 16, 1
	v_mul_f32_e32 v44, v8, v44
	v_cndmask_b32_e32 v48, v51, v52, vcc_lo
	v_cmp_u_f32_e32 vcc_lo, v50, v50
	v_mul_f32_e32 v51, v8, v59
	v_add3_u32 v52, v60, v49, 0x7fff
	v_mul_f32_e32 v40, v3, v40
	v_and_b32_e32 v48, 0xffff0000, v48
	v_cndmask_b32_e32 v50, v53, v57, vcc_lo
	v_or_b32_e32 v53, 0x400000, v49
	v_cmp_u_f32_e32 vcc_lo, v49, v49
	v_bfe_u32 v57, v51, 16, 1
	v_lshlrev_b32_e32 v39, 16, v39
	v_and_b32_e32 v50, 0xffff0000, v50
	v_lshlrev_b32_e32 v43, 16, v43
	v_cndmask_b32_e32 v49, v52, v53, vcc_lo
	v_mul_f32_e32 v52, v3, v54
	v_mul_f32_e32 v53, v6, v55
	v_add3_u32 v54, v57, v51, 0x7fff
	v_or_b32_e32 v55, 0x400000, v51
	v_lshlrev_b32_e32 v57, 16, v58
	v_bfe_u32 v58, v52, 16, 1
	v_cmp_u_f32_e32 vcc_lo, v51, v51
	v_bfe_u32 v59, v53, 16, 1
	v_and_b32_e32 v49, 0xffff0000, v49
	v_add_f32_e32 v48, v50, v48
	v_mul_f32_e32 v39, v6, v39
	v_cndmask_b32_e32 v51, v54, v55, vcc_lo
	v_mul_f32_e32 v54, v4, v57
	v_add3_u32 v55, v58, v52, 0x7fff
	v_or_b32_e32 v57, 0x400000, v52
	v_cmp_u_f32_e32 vcc_lo, v52, v52
	v_add3_u32 v58, v59, v53, 0x7fff
	v_or_b32_e32 v59, 0x400000, v53
	v_bfe_u32 v60, v54, 16, 1
	v_and_b32_e32 v51, 0xffff0000, v51
	v_cndmask_b32_e32 v52, v55, v57, vcc_lo
	v_lshlrev_b32_e32 v55, 16, v56
	v_cmp_u_f32_e32 vcc_lo, v53, v53
	v_add3_u32 v56, v60, v54, 0x7fff
	v_or_b32_e32 v57, 0x400000, v54
	v_add_f32_e32 v49, v51, v49
	v_mul_f32_e32 v55, v7, v55
	v_cndmask_b32_e32 v53, v58, v59, vcc_lo
	v_cmp_u_f32_e32 vcc_lo, v54, v54
	v_and_b32_e32 v51, 0xffff0000, v52
	v_add_f32_e32 v48, v49, v48
	v_mul_f32_e32 v43, v4, v43
	v_and_b32_e32 v50, 0xffff0000, v53
	v_cndmask_b32_e32 v54, v56, v57, vcc_lo
	v_bfe_u32 v56, v55, 16, 1
	v_or_b32_e32 v53, 0x400000, v55
	v_cmp_u_f32_e32 vcc_lo, v55, v55
	v_add_f32_e32 v49, v50, v51
	v_bfe_u32 v51, v46, 16, 1
	v_add3_u32 v52, v56, v55, 0x7fff
	v_lshlrev_b32_e32 v41, 16, v41
	v_lshlrev_b32_e32 v17, 16, v17
	v_add_f32_e32 v48, v49, v48
	v_lshlrev_b32_e32 v16, 16, v16
	v_cndmask_b32_e32 v50, v52, v53, vcc_lo
	v_bfe_u32 v53, v45, 16, 1
	v_cmp_u_f32_e32 vcc_lo, v46, v46
	v_and_b32_e32 v52, 0xffff0000, v54
	v_or_b32_e32 v54, 0x400000, v42
	v_and_b32_e32 v49, 0xffff0000, v50
	v_add3_u32 v50, v51, v46, 0x7fff
	v_or_b32_e32 v51, 0x400000, v46
	v_mul_f32_e32 v41, v7, v41
	v_mul_f32_e32 v2, v2, v17
	;; [unrolled: 1-line block ×3, first 2 shown]
	v_lshlrev_b32_e32 v10, 16, v10
	v_cndmask_b32_e32 v46, v50, v51, vcc_lo
	v_bfe_u32 v50, v42, 16, 1
	v_add3_u32 v51, v53, v45, 0x7fff
	v_or_b32_e32 v53, 0x400000, v45
	v_cmp_u_f32_e32 vcc_lo, v45, v45
	v_and_b32_e32 v46, 0xffff0000, v46
	v_add3_u32 v50, v50, v42, 0x7fff
	v_mul_f32_e32 v3, v3, v10
	v_lshlrev_b32_e32 v10, 16, v19
	v_cndmask_b32_e32 v45, v51, v53, vcc_lo
	v_bfe_u32 v51, v44, 16, 1
	v_cmp_u_f32_e32 vcc_lo, v42, v42
	v_or_b32_e32 v53, 0x400000, v44
	v_lshlrev_b32_e32 v18, 16, v18
	v_and_b32_e32 v45, 0xffff0000, v45
	v_add3_u32 v51, v51, v44, 0x7fff
	v_cndmask_b32_e32 v42, v50, v54, vcc_lo
	v_bfe_u32 v50, v40, 16, 1
	v_cmp_u_f32_e32 vcc_lo, v44, v44
	v_or_b32_e32 v54, 0x400000, v40
	v_add_f32_e32 v45, v45, v46
	v_and_b32_e32 v42, 0xffff0000, v42
	v_add3_u32 v50, v50, v40, 0x7fff
	v_cndmask_b32_e32 v44, v51, v53, vcc_lo
	v_bfe_u32 v51, v39, 16, 1
	v_cmp_u_f32_e32 vcc_lo, v40, v40
	v_bfe_u32 v53, v43, 16, 1
	v_mul_f32_e32 v7, v7, v10
	v_and_b32_e32 v44, 0xffff0000, v44
	v_mul_f32_e32 v4, v4, v18
	v_cndmask_b32_e32 v40, v50, v54, vcc_lo
	v_add3_u32 v50, v51, v39, 0x7fff
	v_or_b32_e32 v51, 0x400000, v39
	v_cmp_u_f32_e32 vcc_lo, v39, v39
	v_add3_u32 v53, v53, v43, 0x7fff
	v_or_b32_e32 v54, 0x400000, v43
	v_add_f32_e32 v42, v44, v42
	v_and_b32_e32 v40, 0xffff0000, v40
	v_cndmask_b32_e32 v39, v50, v51, vcc_lo
	v_cmp_u_f32_e32 vcc_lo, v43, v43
	v_bfe_u32 v50, v41, 16, 1
	v_lshlrev_b32_e32 v44, 16, v77
	v_or_b32_e32 v51, 0x400000, v41
	v_and_b32_e32 v39, 0xffff0000, v39
	v_cndmask_b32_e32 v43, v53, v54, vcc_lo
	v_lshlrev_b32_e32 v53, 16, v78
	v_add3_u32 v50, v50, v41, 0x7fff
	v_cmp_u_f32_e32 vcc_lo, v41, v41
	v_add_f32_e32 v42, v42, v45
	v_add_f32_e32 v39, v39, v40
	v_mul_f32_e32 v5, v5, v53
	v_mul_f32_e32 v1, v1, v44
	v_lshlrev_b32_e32 v40, 16, v76
	v_cndmask_b32_e32 v41, v50, v51, vcc_lo
	v_or_b32_e32 v10, 0x400000, v6
	v_bfe_u32 v45, v5, 16, 1
	v_bfe_u32 v46, v1, 16, 1
	v_mul_f32_e32 v8, v8, v40
	v_cmp_u_f32_e32 vcc_lo, v5, v5
	v_or_b32_e32 v18, 0x400000, v3
	v_add3_u32 v44, v45, v5, 0x7fff
	v_or_b32_e32 v45, 0x400000, v5
	v_add3_u32 v40, v46, v1, 0x7fff
	v_bfe_u32 v19, v7, 16, 1
	v_and_b32_e32 v41, 0xffff0000, v41
	v_add_nc_u32_e32 v9, 4, v9
	v_cndmask_b32_e32 v5, v44, v45, vcc_lo
	v_or_b32_e32 v44, 0x400000, v1
	v_bfe_u32 v45, v8, 16, 1
	v_cmp_u_f32_e32 vcc_lo, v1, v1
	v_add_co_u32 v14, s0, v14, 16
	v_and_b32_e32 v5, 0xffff0000, v5
	v_add3_u32 v17, v45, v8, 0x7fff
	v_cndmask_b32_e32 v1, v40, v44, vcc_lo
	v_or_b32_e32 v40, 0x400000, v8
	v_bfe_u32 v44, v2, 16, 1
	v_cmp_u_f32_e32 vcc_lo, v8, v8
	v_add_f32_e32 v28, v28, v20
	v_and_b32_e32 v1, 0xffff0000, v1
	v_add_nc_u32_e32 v32, 64, v32
	v_add3_u32 v16, v44, v2, 0x7fff
	v_cndmask_b32_e32 v8, v17, v40, vcc_lo
	v_or_b32_e32 v17, 0x400000, v2
	v_bfe_u32 v40, v6, 16, 1
	v_cmp_u_f32_e32 vcc_lo, v2, v2
	v_add_f32_e32 v1, v5, v1
	v_and_b32_e32 v8, 0xffff0000, v8
	v_add_nc_u32_e32 v33, 0x100, v33
	v_add_co_ci_u32_e64 v15, null, 0, v15, s0
	v_cndmask_b32_e32 v2, v16, v17, vcc_lo
	v_bfe_u32 v16, v3, 16, 1
	v_add3_u32 v17, v40, v6, 0x7fff
	v_cmp_u_f32_e32 vcc_lo, v6, v6
	v_bfe_u32 v40, v4, 16, 1
	v_and_b32_e32 v2, 0xffff0000, v2
	v_add3_u32 v16, v16, v3, 0x7fff
	v_cndmask_b32_e32 v6, v17, v10, vcc_lo
	v_cmp_u_f32_e32 vcc_lo, v3, v3
	v_or_b32_e32 v17, 0x400000, v4
	v_add3_u32 v10, v19, v7, 0x7fff
	v_add_f32_e32 v2, v8, v2
	v_and_b32_e32 v5, 0xffff0000, v6
	v_cndmask_b32_e32 v3, v16, v18, vcc_lo
	v_add3_u32 v16, v40, v4, 0x7fff
	v_cmp_u_f32_e32 vcc_lo, v4, v4
	v_or_b32_e32 v18, 0x400000, v7
	v_add_f32_e32 v1, v2, v1
	v_and_b32_e32 v3, 0xffff0000, v3
	v_cndmask_b32_e32 v4, v16, v17, vcc_lo
	v_cmp_u_f32_e32 vcc_lo, v7, v7
	v_and_b32_e32 v7, 0xffff0000, v43
	v_add_f32_e32 v2, v5, v3
	v_add_f32_e32 v5, v49, v52
	v_and_b32_e32 v3, 0xffff0000, v4
	v_cndmask_b32_e32 v6, v10, v18, vcc_lo
	v_add_f32_e32 v7, v41, v7
	v_add_f32_e32 v1, v2, v1
	v_cmp_le_i32_e32 vcc_lo, s11, v9
	v_and_b32_e32 v4, 0xffff0000, v6
	v_add_f32_e32 v6, v39, v42
	s_or_b32 s12, vcc_lo, s12
	v_add_f32_e32 v2, v4, v3
	v_add_f32_e32 v3, v47, v21
	v_add_f32_e32 v4, v5, v48
	v_add_f32_e32 v5, v7, v6
	v_add_f32_e32 v1, v2, v1
	v_add_f32_e32 v29, v29, v3
	v_add_f32_e32 v31, v31, v4
	v_add_f32_e32 v30, v30, v5
	v_add_f32_e32 v27, v27, v1
	s_andn2_b32 exec_lo, exec_lo, s12
	s_cbranch_execz .LBB362_663
.LBB362_353:                            ; =>This Inner Loop Header: Depth=1
	global_load_dword v1, v[14:15], off
	v_mov_b32_e32 v41, 0
	s_waitcnt vmcnt(0)
	v_mad_i64_i32 v[16:17], null, v1, s3, v[12:13]
	global_load_dwordx2 v[18:19], v[16:17], off
	ds_read2_b64 v[5:8], v33 offset1:1
	ds_read2_b64 v[1:4], v33 offset0:2 offset1:3
	s_waitcnt vmcnt(0)
	v_cmp_ne_u16_sdwa s13, v18, v11 src0_sel:BYTE_0 src1_sel:DWORD
	s_and_saveexec_b32 s0, s13
	s_cbranch_execz .LBB362_359
; %bb.354:                              ;   in Loop: Header=BB362_353 Depth=1
	v_cmp_ne_u16_sdwa s14, v18, v34 src0_sel:BYTE_0 src1_sel:DWORD
	v_bfrev_b32_e32 v41, 1
	s_and_saveexec_b32 s13, s14
	s_cbranch_execz .LBB362_358
; %bb.355:                              ;   in Loop: Header=BB362_353 Depth=1
	v_and_b32_e32 v10, 0x7f, v18
	v_mov_b32_e32 v41, 0x7f800001
	s_mov_b32 s14, exec_lo
	v_cmpx_ne_u32_e32 0x7f, v10
	s_cbranch_execz .LBB362_357
; %bb.356:                              ;   in Loop: Header=BB362_353 Depth=1
	v_and_b32_e32 v20, 7, v18
	v_lshrrev_b32_e32 v21, 3, v10
	v_cmp_gt_u32_e32 vcc_lo, 8, v10
	v_ffbh_u32_e32 v20, v20
	v_min_u32_e32 v20, 32, v20
	v_subrev_nc_u32_e32 v39, 28, v20
	v_sub_nc_u32_e32 v20, 29, v20
	v_cndmask_b32_e32 v10, v21, v20, vcc_lo
	v_cndmask_b32_e32 v20, 0, v39, vcc_lo
	v_lshl_add_u32 v10, v10, 23, 0x3c000000
	v_lshlrev_b64 v[20:21], v20, v[18:19]
	v_lshlrev_b32_e32 v21, 24, v18
	v_lshlrev_b32_e32 v20, 20, v20
	v_and_b32_e32 v21, 0x80000000, v21
	v_and_b32_e32 v20, 0x700000, v20
	v_or3_b32 v41, v20, v21, v10
.LBB362_357:                            ;   in Loop: Header=BB362_353 Depth=1
	s_or_b32 exec_lo, exec_lo, s14
.LBB362_358:                            ;   in Loop: Header=BB362_353 Depth=1
	s_or_b32 exec_lo, exec_lo, s13
.LBB362_359:                            ;   in Loop: Header=BB362_353 Depth=1
	s_or_b32 exec_lo, exec_lo, s0
	v_cmp_ne_u16_sdwa s13, v18, v11 src0_sel:BYTE_1 src1_sel:DWORD
	v_mov_b32_e32 v40, 0
	v_mov_b32_e32 v39, 0
	s_and_saveexec_b32 s0, s13
	s_cbranch_execz .LBB362_367
; %bb.360:                              ;   in Loop: Header=BB362_353 Depth=1
	v_cmp_ne_u16_sdwa s14, v18, v34 src0_sel:BYTE_1 src1_sel:DWORD
	v_bfrev_b32_e32 v39, 1
	s_and_saveexec_b32 s13, s14
	s_cbranch_execz .LBB362_366
; %bb.361:                              ;   in Loop: Header=BB362_353 Depth=1
	v_and_b32_sdwa v10, v35, v18 dst_sel:DWORD dst_unused:UNUSED_PAD src0_sel:DWORD src1_sel:BYTE_1
	v_mov_b32_e32 v39, 0x7f800001
	s_mov_b32 s14, exec_lo
	v_and_b32_e32 v21, 0x7f, v10
	v_cmpx_ne_u32_e32 0x7f, v21
	s_cbranch_execz .LBB362_365
; %bb.362:                              ;   in Loop: Header=BB362_353 Depth=1
	v_and_b32_e32 v10, 7, v10
	v_lshrrev_b32_e32 v20, 3, v21
	s_mov_b32 s15, exec_lo
	v_cmpx_gt_u32_e32 8, v21
; %bb.363:                              ;   in Loop: Header=BB362_353 Depth=1
	v_ffbh_u32_e32 v20, v10
	v_min_u32_e32 v20, 32, v20
	v_subrev_nc_u32_e32 v21, 28, v20
	v_sub_nc_u32_e32 v20, 29, v20
	v_lshlrev_b64 v[42:43], v21, v[10:11]
	v_and_b32_e32 v10, 7, v42
; %bb.364:                              ;   in Loop: Header=BB362_353 Depth=1
	s_or_b32 exec_lo, exec_lo, s15
	v_lshlrev_b32_e32 v21, 16, v18
	v_lshlrev_b32_e32 v10, 20, v10
	v_lshl_add_u32 v20, v20, 23, 0x3c000000
	v_and_b32_e32 v21, 0x80000000, v21
	v_or3_b32 v39, v10, v21, v20
.LBB362_365:                            ;   in Loop: Header=BB362_353 Depth=1
	s_or_b32 exec_lo, exec_lo, s14
.LBB362_366:                            ;   in Loop: Header=BB362_353 Depth=1
	s_or_b32 exec_lo, exec_lo, s13
.LBB362_367:                            ;   in Loop: Header=BB362_353 Depth=1
	s_or_b32 exec_lo, exec_lo, s0
	v_and_b32_sdwa v10, v18, v36 dst_sel:DWORD dst_unused:UNUSED_PAD src0_sel:WORD_1 src1_sel:DWORD
	s_mov_b32 s0, exec_lo
	v_cmpx_ne_u16_e32 0, v10
	s_cbranch_execz .LBB362_375
; %bb.368:                              ;   in Loop: Header=BB362_353 Depth=1
	v_bfrev_b32_e32 v40, 1
	s_mov_b32 s13, exec_lo
	v_cmpx_ne_u16_e32 0x80, v10
	s_cbranch_execz .LBB362_374
; %bb.369:                              ;   in Loop: Header=BB362_353 Depth=1
	v_bfe_u32 v21, v18, 16, 7
	v_mov_b32_e32 v40, 0x7f800001
	s_mov_b32 s14, exec_lo
	v_cmpx_ne_u32_e32 0x7f, v21
	s_cbranch_execz .LBB362_373
; %bb.370:                              ;   in Loop: Header=BB362_353 Depth=1
	v_and_b32_sdwa v10, v18, v37 dst_sel:DWORD dst_unused:UNUSED_PAD src0_sel:WORD_1 src1_sel:DWORD
	v_lshrrev_b32_e32 v20, 3, v21
	s_mov_b32 s15, exec_lo
	v_cmpx_gt_u32_e32 8, v21
; %bb.371:                              ;   in Loop: Header=BB362_353 Depth=1
	v_ffbh_u32_e32 v20, v10
	v_min_u32_e32 v20, 32, v20
	v_subrev_nc_u32_e32 v21, 28, v20
	v_sub_nc_u32_e32 v20, 29, v20
	v_lshlrev_b64 v[42:43], v21, v[10:11]
	v_and_b32_e32 v10, 7, v42
; %bb.372:                              ;   in Loop: Header=BB362_353 Depth=1
	s_or_b32 exec_lo, exec_lo, s15
	v_lshlrev_b32_sdwa v21, v38, v18 dst_sel:DWORD dst_unused:UNUSED_PAD src0_sel:DWORD src1_sel:WORD_1
	v_lshlrev_b32_e32 v10, 20, v10
	v_lshl_add_u32 v20, v20, 23, 0x3c000000
	v_and_b32_e32 v21, 0x80000000, v21
	v_or3_b32 v40, v10, v21, v20
.LBB362_373:                            ;   in Loop: Header=BB362_353 Depth=1
	s_or_b32 exec_lo, exec_lo, s14
.LBB362_374:                            ;   in Loop: Header=BB362_353 Depth=1
	s_or_b32 exec_lo, exec_lo, s13
.LBB362_375:                            ;   in Loop: Header=BB362_353 Depth=1
	s_or_b32 exec_lo, exec_lo, s0
	v_mov_b32_e32 v42, 0
	v_mov_b32_e32 v43, 0
	s_mov_b32 s0, exec_lo
	v_cmpx_lt_u32_e32 0xffffff, v18
	s_cbranch_execz .LBB362_383
; %bb.376:                              ;   in Loop: Header=BB362_353 Depth=1
	v_cmp_ne_u32_sdwa s14, v18, v34 src0_sel:BYTE_3 src1_sel:DWORD
	v_bfrev_b32_e32 v43, 1
	s_and_saveexec_b32 s13, s14
	s_cbranch_execz .LBB362_382
; %bb.377:                              ;   in Loop: Header=BB362_353 Depth=1
	v_bfe_u32 v21, v18, 24, 7
	v_mov_b32_e32 v43, 0x7f800001
	s_mov_b32 s14, exec_lo
	v_cmpx_ne_u32_e32 0x7f, v21
	s_cbranch_execz .LBB362_381
; %bb.378:                              ;   in Loop: Header=BB362_353 Depth=1
	v_and_b32_sdwa v10, v18, v37 dst_sel:DWORD dst_unused:UNUSED_PAD src0_sel:BYTE_3 src1_sel:DWORD
	v_lshrrev_b32_e32 v20, 3, v21
	s_mov_b32 s15, exec_lo
	v_cmpx_gt_u32_e32 8, v21
; %bb.379:                              ;   in Loop: Header=BB362_353 Depth=1
	v_ffbh_u32_e32 v20, v10
	v_min_u32_e32 v20, 32, v20
	v_subrev_nc_u32_e32 v21, 28, v20
	v_sub_nc_u32_e32 v20, 29, v20
	v_lshlrev_b64 v[43:44], v21, v[10:11]
	v_and_b32_e32 v10, 7, v43
; %bb.380:                              ;   in Loop: Header=BB362_353 Depth=1
	s_or_b32 exec_lo, exec_lo, s15
	v_lshlrev_b32_sdwa v21, v38, v18 dst_sel:DWORD dst_unused:UNUSED_PAD src0_sel:DWORD src1_sel:BYTE_3
	v_lshlrev_b32_e32 v10, 20, v10
	v_lshl_add_u32 v20, v20, 23, 0x3c000000
	v_and_b32_e32 v21, 0x80000000, v21
	v_or3_b32 v43, v10, v21, v20
.LBB362_381:                            ;   in Loop: Header=BB362_353 Depth=1
	s_or_b32 exec_lo, exec_lo, s14
.LBB362_382:                            ;   in Loop: Header=BB362_353 Depth=1
	s_or_b32 exec_lo, exec_lo, s13
.LBB362_383:                            ;   in Loop: Header=BB362_353 Depth=1
	s_or_b32 exec_lo, exec_lo, s0
	v_mov_b32_e32 v10, v19
	v_cmp_ne_u16_sdwa s13, v19, v11 src0_sel:BYTE_0 src1_sel:DWORD
	s_and_saveexec_b32 s0, s13
	s_cbranch_execz .LBB362_389
; %bb.384:                              ;   in Loop: Header=BB362_353 Depth=1
	v_cmp_ne_u16_sdwa s14, v19, v34 src0_sel:BYTE_0 src1_sel:DWORD
	v_bfrev_b32_e32 v42, 1
	s_and_saveexec_b32 s13, s14
	s_cbranch_execz .LBB362_388
; %bb.385:                              ;   in Loop: Header=BB362_353 Depth=1
	v_and_b32_e32 v20, 0x7f, v19
	v_mov_b32_e32 v42, 0x7f800001
	s_mov_b32 s14, exec_lo
	v_cmpx_ne_u32_e32 0x7f, v20
	s_cbranch_execz .LBB362_387
; %bb.386:                              ;   in Loop: Header=BB362_353 Depth=1
	v_and_b32_e32 v21, 7, v19
	v_cmp_gt_u32_e32 vcc_lo, 8, v20
	v_lshrrev_b32_e32 v42, 3, v20
	v_ffbh_u32_e32 v21, v21
	v_min_u32_e32 v21, 32, v21
	v_subrev_nc_u32_e32 v44, 28, v21
	v_sub_nc_u32_e32 v21, 29, v21
	v_cndmask_b32_e32 v20, 0, v44, vcc_lo
	v_cndmask_b32_e32 v42, v42, v21, vcc_lo
	v_lshlrev_b64 v[20:21], v20, v[10:11]
	v_lshlrev_b32_e32 v21, 24, v10
	v_lshl_add_u32 v42, v42, 23, 0x3c000000
	v_lshlrev_b32_e32 v20, 20, v20
	v_and_b32_e32 v21, 0x80000000, v21
	v_and_b32_e32 v20, 0x700000, v20
	v_or3_b32 v42, v20, v21, v42
.LBB362_387:                            ;   in Loop: Header=BB362_353 Depth=1
	s_or_b32 exec_lo, exec_lo, s14
.LBB362_388:                            ;   in Loop: Header=BB362_353 Depth=1
	s_or_b32 exec_lo, exec_lo, s13
.LBB362_389:                            ;   in Loop: Header=BB362_353 Depth=1
	s_or_b32 exec_lo, exec_lo, s0
	v_cmp_ne_u16_sdwa s13, v10, v11 src0_sel:BYTE_1 src1_sel:DWORD
	v_mov_b32_e32 v44, 0
	v_mov_b32_e32 v20, 0
	s_and_saveexec_b32 s0, s13
	s_cbranch_execz .LBB362_397
; %bb.390:                              ;   in Loop: Header=BB362_353 Depth=1
	v_cmp_ne_u16_sdwa s14, v10, v34 src0_sel:BYTE_1 src1_sel:DWORD
	v_bfrev_b32_e32 v20, 1
	s_and_saveexec_b32 s13, s14
	s_cbranch_execz .LBB362_396
; %bb.391:                              ;   in Loop: Header=BB362_353 Depth=1
	v_and_b32_sdwa v21, v35, v10 dst_sel:DWORD dst_unused:UNUSED_PAD src0_sel:DWORD src1_sel:BYTE_1
	v_mov_b32_e32 v20, 0x7f800001
	s_mov_b32 s14, exec_lo
	v_and_b32_e32 v46, 0x7f, v21
	v_cmpx_ne_u32_e32 0x7f, v46
	s_cbranch_execz .LBB362_395
; %bb.392:                              ;   in Loop: Header=BB362_353 Depth=1
	v_and_b32_e32 v20, 7, v21
	v_mov_b32_e32 v21, v11
	v_lshrrev_b32_e32 v45, 3, v46
	s_mov_b32 s15, exec_lo
	v_cmpx_gt_u32_e32 8, v46
; %bb.393:                              ;   in Loop: Header=BB362_353 Depth=1
	v_ffbh_u32_e32 v45, v20
	v_min_u32_e32 v45, 32, v45
	v_subrev_nc_u32_e32 v46, 28, v45
	v_sub_nc_u32_e32 v45, 29, v45
	v_lshlrev_b64 v[20:21], v46, v[20:21]
	v_and_b32_e32 v20, 7, v20
; %bb.394:                              ;   in Loop: Header=BB362_353 Depth=1
	s_or_b32 exec_lo, exec_lo, s15
	v_lshlrev_b32_e32 v10, 16, v10
	v_lshlrev_b32_e32 v20, 20, v20
	v_lshl_add_u32 v21, v45, 23, 0x3c000000
	v_and_b32_e32 v10, 0x80000000, v10
	v_or3_b32 v20, v20, v10, v21
.LBB362_395:                            ;   in Loop: Header=BB362_353 Depth=1
	s_or_b32 exec_lo, exec_lo, s14
.LBB362_396:                            ;   in Loop: Header=BB362_353 Depth=1
	s_or_b32 exec_lo, exec_lo, s13
.LBB362_397:                            ;   in Loop: Header=BB362_353 Depth=1
	s_or_b32 exec_lo, exec_lo, s0
	v_and_b32_sdwa v10, v19, v36 dst_sel:DWORD dst_unused:UNUSED_PAD src0_sel:WORD_1 src1_sel:DWORD
	s_mov_b32 s0, exec_lo
	v_cmpx_ne_u16_e32 0, v10
	s_cbranch_execz .LBB362_405
; %bb.398:                              ;   in Loop: Header=BB362_353 Depth=1
	v_bfrev_b32_e32 v44, 1
	s_mov_b32 s13, exec_lo
	v_cmpx_ne_u16_e32 0x80, v10
	s_cbranch_execz .LBB362_404
; %bb.399:                              ;   in Loop: Header=BB362_353 Depth=1
	v_bfe_u32 v45, v19, 16, 7
	v_mov_b32_e32 v44, 0x7f800001
	s_mov_b32 s14, exec_lo
	v_cmpx_ne_u32_e32 0x7f, v45
	s_cbranch_execz .LBB362_403
; %bb.400:                              ;   in Loop: Header=BB362_353 Depth=1
	v_and_b32_sdwa v10, v19, v37 dst_sel:DWORD dst_unused:UNUSED_PAD src0_sel:WORD_1 src1_sel:DWORD
	v_lshrrev_b32_e32 v21, 3, v45
	s_mov_b32 s15, exec_lo
	v_cmpx_gt_u32_e32 8, v45
; %bb.401:                              ;   in Loop: Header=BB362_353 Depth=1
	v_ffbh_u32_e32 v21, v10
	v_min_u32_e32 v21, 32, v21
	v_subrev_nc_u32_e32 v44, 28, v21
	v_sub_nc_u32_e32 v21, 29, v21
	v_lshlrev_b64 v[44:45], v44, v[10:11]
	v_and_b32_e32 v10, 7, v44
; %bb.402:                              ;   in Loop: Header=BB362_353 Depth=1
	s_or_b32 exec_lo, exec_lo, s15
	v_lshlrev_b32_sdwa v44, v38, v19 dst_sel:DWORD dst_unused:UNUSED_PAD src0_sel:DWORD src1_sel:WORD_1
	v_lshlrev_b32_e32 v10, 20, v10
	v_lshl_add_u32 v21, v21, 23, 0x3c000000
	v_and_b32_e32 v44, 0x80000000, v44
	v_or3_b32 v44, v10, v44, v21
.LBB362_403:                            ;   in Loop: Header=BB362_353 Depth=1
	s_or_b32 exec_lo, exec_lo, s14
.LBB362_404:                            ;   in Loop: Header=BB362_353 Depth=1
	s_or_b32 exec_lo, exec_lo, s13
.LBB362_405:                            ;   in Loop: Header=BB362_353 Depth=1
	s_or_b32 exec_lo, exec_lo, s0
	v_mov_b32_e32 v10, 0
	s_mov_b32 s0, exec_lo
	v_cmpx_lt_u64_e64 s[4:5], v[18:19]
	s_cbranch_execz .LBB362_413
; %bb.406:                              ;   in Loop: Header=BB362_353 Depth=1
	v_cmp_ne_u32_sdwa s14, v19, v34 src0_sel:BYTE_3 src1_sel:DWORD
	v_bfrev_b32_e32 v10, 1
	s_and_saveexec_b32 s13, s14
	s_cbranch_execz .LBB362_412
; %bb.407:                              ;   in Loop: Header=BB362_353 Depth=1
	v_bfe_u32 v21, v19, 24, 7
	v_mov_b32_e32 v10, 0x7f800001
	s_mov_b32 s14, exec_lo
	v_cmpx_ne_u32_e32 0x7f, v21
	s_cbranch_execz .LBB362_411
; %bb.408:                              ;   in Loop: Header=BB362_353 Depth=1
	v_and_b32_sdwa v10, v19, v37 dst_sel:DWORD dst_unused:UNUSED_PAD src0_sel:BYTE_3 src1_sel:DWORD
	v_lshrrev_b32_e32 v18, 3, v21
	s_mov_b32 s15, exec_lo
	v_cmpx_gt_u32_e32 8, v21
; %bb.409:                              ;   in Loop: Header=BB362_353 Depth=1
	v_ffbh_u32_e32 v18, v10
	v_min_u32_e32 v18, 32, v18
	v_subrev_nc_u32_e32 v21, 28, v18
	v_sub_nc_u32_e32 v18, 29, v18
	v_lshlrev_b64 v[45:46], v21, v[10:11]
	v_and_b32_e32 v10, 7, v45
; %bb.410:                              ;   in Loop: Header=BB362_353 Depth=1
	s_or_b32 exec_lo, exec_lo, s15
	v_lshlrev_b32_sdwa v19, v38, v19 dst_sel:DWORD dst_unused:UNUSED_PAD src0_sel:DWORD src1_sel:BYTE_3
	v_lshlrev_b32_e32 v10, 20, v10
	v_lshl_add_u32 v18, v18, 23, 0x3c000000
	v_and_b32_e32 v19, 0x80000000, v19
	v_or3_b32 v10, v10, v19, v18
.LBB362_411:                            ;   in Loop: Header=BB362_353 Depth=1
	s_or_b32 exec_lo, exec_lo, s14
.LBB362_412:                            ;   in Loop: Header=BB362_353 Depth=1
	s_or_b32 exec_lo, exec_lo, s13
.LBB362_413:                            ;   in Loop: Header=BB362_353 Depth=1
	s_or_b32 exec_lo, exec_lo, s0
	s_waitcnt lgkmcnt(0)
	v_mul_f32_e32 v18, s6, v20
	v_mul_f32_e32 v19, s6, v42
	;; [unrolled: 1-line block ×5, first 2 shown]
	v_bfe_u32 v21, v18, 16, 1
	v_or_b32_e32 v40, 0x400000, v18
	v_bfe_u32 v42, v19, 16, 1
	v_cmp_u_f32_e64 s0, v18, v18
	v_or_b32_e32 v45, 0x400000, v19
	v_add3_u32 v21, v21, v18, 0x7fff
	v_bfe_u32 v46, v20, 16, 1
	v_add3_u32 v42, v42, v19, 0x7fff
	v_or_b32_e32 v48, 0x400000, v20
	v_add_nc_u32_e32 v47, -7, v32
	v_cndmask_b32_e64 v18, v21, v40, s0
	v_cmp_u_f32_e64 s0, v19, v19
	v_bfe_u32 v21, v43, 16, 1
	v_add3_u32 v46, v46, v20, 0x7fff
	v_cmp_eq_u32_e32 vcc_lo, s9, v9
	v_lshrrev_b32_e32 v40, 16, v18
	v_cndmask_b32_e64 v19, v42, v45, s0
	v_cmp_u_f32_e64 s0, v20, v20
	v_mul_f32_e32 v20, s6, v39
	v_add3_u32 v21, v21, v43, 0x7fff
	v_or_b32_e32 v45, 0x400000, v43
	v_lshrrev_b32_e32 v39, 16, v19
	v_cndmask_b32_e64 v18, v46, v48, s0
	v_cmp_u_f32_e64 s0, v43, v43
	v_or_b32_e32 v43, 0x400000, v20
	v_or_b32_e32 v48, 0x400000, v10
	v_add_nc_u32_e32 v53, -6, v32
	v_lshrrev_b32_e32 v42, 16, v18
	v_bfe_u32 v18, v20, 16, 1
	v_cndmask_b32_e64 v19, v21, v45, s0
	v_mul_f32_e32 v21, s6, v41
	v_mul_f32_e32 v41, s6, v44
	v_cmp_u_f32_e64 s0, v20, v20
	v_add3_u32 v18, v18, v20, 0x7fff
	v_bfe_u32 v20, v10, 16, 1
	v_bfe_u32 v44, v21, 16, 1
	;; [unrolled: 1-line block ×3, first 2 shown]
	v_or_b32_e32 v46, 0x400000, v41
	v_cndmask_b32_e64 v18, v18, v43, s0
	v_cmp_u_f32_e64 s0, v21, v21
	v_add3_u32 v43, v44, v21, 0x7fff
	v_or_b32_e32 v44, 0x400000, v21
	v_add3_u32 v45, v45, v41, 0x7fff
	v_add3_u32 v20, v20, v10, 0x7fff
	v_add_nc_u32_e32 v52, -5, v32
	v_add_nc_u32_e32 v51, -4, v32
	v_cndmask_b32_e64 v21, v43, v44, s0
	v_cmp_u_f32_e64 s0, v41, v41
	v_lshrrev_b32_e32 v44, 16, v19
	v_add_nc_u32_e32 v50, -3, v32
	v_add_nc_u32_e32 v49, -2, v32
	v_cndmask_b32_e64 v41, v45, v46, s0
	v_cmp_u_f32_e64 s0, v10, v10
	v_lshrrev_b32_e32 v46, 16, v18
	v_lshrrev_b32_e32 v45, 16, v21
	;; [unrolled: 1-line block ×3, first 2 shown]
	v_cndmask_b32_e64 v10, v20, v48, s0
	v_add_nc_u32_e32 v48, -1, v32
	v_lshrrev_b32_e32 v43, 16, v10
	s_and_saveexec_b32 s13, vcc_lo
	s_cbranch_execz .LBB362_415
; %bb.414:                              ;   in Loop: Header=BB362_353 Depth=1
	v_cmp_gt_i32_e64 s0, s27, v47
	v_cndmask_b32_e64 v45, 0, v45, s0
	v_cmp_gt_i32_e64 s0, s27, v53
	v_cndmask_b32_e64 v46, 0, v46, s0
	;; [unrolled: 2-line block ×8, first 2 shown]
.LBB362_415:                            ;   in Loop: Header=BB362_353 Depth=1
	s_or_b32 exec_lo, exec_lo, s13
	global_load_dwordx2 v[18:19], v[16:17], off offset:256
	v_mov_b32_e32 v55, 0
	v_mov_b32_e32 v56, 0
	s_waitcnt vmcnt(0)
	v_cmp_ne_u16_sdwa s0, v18, v11 src0_sel:BYTE_0 src1_sel:DWORD
	s_and_saveexec_b32 s13, s0
	s_cbranch_execz .LBB362_421
; %bb.416:                              ;   in Loop: Header=BB362_353 Depth=1
	v_cmp_ne_u16_sdwa s0, v18, v34 src0_sel:BYTE_0 src1_sel:DWORD
	v_bfrev_b32_e32 v56, 1
	s_and_saveexec_b32 s14, s0
	s_cbranch_execz .LBB362_420
; %bb.417:                              ;   in Loop: Header=BB362_353 Depth=1
	v_and_b32_e32 v10, 0x7f, v18
	v_mov_b32_e32 v56, 0x7f800001
	s_mov_b32 s15, exec_lo
	v_cmpx_ne_u32_e32 0x7f, v10
	s_cbranch_execz .LBB362_419
; %bb.418:                              ;   in Loop: Header=BB362_353 Depth=1
	v_and_b32_e32 v20, 7, v18
	v_lshrrev_b32_e32 v21, 3, v10
	v_cmp_gt_u32_e64 s0, 8, v10
	v_ffbh_u32_e32 v20, v20
	v_min_u32_e32 v20, 32, v20
	v_subrev_nc_u32_e32 v54, 28, v20
	v_sub_nc_u32_e32 v20, 29, v20
	v_cndmask_b32_e64 v10, v21, v20, s0
	v_cndmask_b32_e64 v20, 0, v54, s0
	v_lshl_add_u32 v10, v10, 23, 0x3c000000
	v_lshlrev_b64 v[20:21], v20, v[18:19]
	v_lshlrev_b32_e32 v21, 24, v18
	v_lshlrev_b32_e32 v20, 20, v20
	v_and_b32_e32 v21, 0x80000000, v21
	v_and_b32_e32 v20, 0x700000, v20
	v_or3_b32 v56, v20, v21, v10
.LBB362_419:                            ;   in Loop: Header=BB362_353 Depth=1
	s_or_b32 exec_lo, exec_lo, s15
.LBB362_420:                            ;   in Loop: Header=BB362_353 Depth=1
	s_or_b32 exec_lo, exec_lo, s14
.LBB362_421:                            ;   in Loop: Header=BB362_353 Depth=1
	s_or_b32 exec_lo, exec_lo, s13
	v_cmp_ne_u16_sdwa s0, v18, v11 src0_sel:BYTE_1 src1_sel:DWORD
	s_and_saveexec_b32 s13, s0
	s_cbranch_execz .LBB362_429
; %bb.422:                              ;   in Loop: Header=BB362_353 Depth=1
	v_cmp_ne_u16_sdwa s0, v18, v34 src0_sel:BYTE_1 src1_sel:DWORD
	v_bfrev_b32_e32 v55, 1
	s_and_saveexec_b32 s14, s0
	s_cbranch_execz .LBB362_428
; %bb.423:                              ;   in Loop: Header=BB362_353 Depth=1
	v_and_b32_sdwa v10, v35, v18 dst_sel:DWORD dst_unused:UNUSED_PAD src0_sel:DWORD src1_sel:BYTE_1
	v_mov_b32_e32 v55, 0x7f800001
	s_mov_b32 s15, exec_lo
	v_and_b32_e32 v21, 0x7f, v10
	v_cmpx_ne_u32_e32 0x7f, v21
	s_cbranch_execz .LBB362_427
; %bb.424:                              ;   in Loop: Header=BB362_353 Depth=1
	v_and_b32_e32 v10, 7, v10
	v_lshrrev_b32_e32 v20, 3, v21
	s_mov_b32 s16, exec_lo
	v_cmpx_gt_u32_e32 8, v21
; %bb.425:                              ;   in Loop: Header=BB362_353 Depth=1
	v_ffbh_u32_e32 v20, v10
	v_min_u32_e32 v20, 32, v20
	v_subrev_nc_u32_e32 v21, 28, v20
	v_sub_nc_u32_e32 v20, 29, v20
	v_lshlrev_b64 v[54:55], v21, v[10:11]
	v_and_b32_e32 v10, 7, v54
; %bb.426:                              ;   in Loop: Header=BB362_353 Depth=1
	s_or_b32 exec_lo, exec_lo, s16
	v_lshlrev_b32_e32 v21, 16, v18
	v_lshlrev_b32_e32 v10, 20, v10
	v_lshl_add_u32 v20, v20, 23, 0x3c000000
	v_and_b32_e32 v21, 0x80000000, v21
	v_or3_b32 v55, v10, v21, v20
.LBB362_427:                            ;   in Loop: Header=BB362_353 Depth=1
	s_or_b32 exec_lo, exec_lo, s15
.LBB362_428:                            ;   in Loop: Header=BB362_353 Depth=1
	s_or_b32 exec_lo, exec_lo, s14
.LBB362_429:                            ;   in Loop: Header=BB362_353 Depth=1
	s_or_b32 exec_lo, exec_lo, s13
	v_and_b32_sdwa v10, v18, v36 dst_sel:DWORD dst_unused:UNUSED_PAD src0_sel:WORD_1 src1_sel:DWORD
	v_mov_b32_e32 v57, 0
	v_mov_b32_e32 v54, 0
	s_mov_b32 s13, exec_lo
	v_cmpx_ne_u16_e32 0, v10
	s_cbranch_execz .LBB362_437
; %bb.430:                              ;   in Loop: Header=BB362_353 Depth=1
	v_bfrev_b32_e32 v54, 1
	s_mov_b32 s14, exec_lo
	v_cmpx_ne_u16_e32 0x80, v10
	s_cbranch_execz .LBB362_436
; %bb.431:                              ;   in Loop: Header=BB362_353 Depth=1
	v_bfe_u32 v21, v18, 16, 7
	v_mov_b32_e32 v54, 0x7f800001
	s_mov_b32 s15, exec_lo
	v_cmpx_ne_u32_e32 0x7f, v21
	s_cbranch_execz .LBB362_435
; %bb.432:                              ;   in Loop: Header=BB362_353 Depth=1
	v_and_b32_sdwa v10, v18, v37 dst_sel:DWORD dst_unused:UNUSED_PAD src0_sel:WORD_1 src1_sel:DWORD
	v_lshrrev_b32_e32 v20, 3, v21
	s_mov_b32 s16, exec_lo
	v_cmpx_gt_u32_e32 8, v21
; %bb.433:                              ;   in Loop: Header=BB362_353 Depth=1
	v_ffbh_u32_e32 v20, v10
	v_min_u32_e32 v20, 32, v20
	v_subrev_nc_u32_e32 v21, 28, v20
	v_sub_nc_u32_e32 v20, 29, v20
	v_lshlrev_b64 v[58:59], v21, v[10:11]
	v_and_b32_e32 v10, 7, v58
; %bb.434:                              ;   in Loop: Header=BB362_353 Depth=1
	s_or_b32 exec_lo, exec_lo, s16
	v_lshlrev_b32_sdwa v21, v38, v18 dst_sel:DWORD dst_unused:UNUSED_PAD src0_sel:DWORD src1_sel:WORD_1
	v_lshlrev_b32_e32 v10, 20, v10
	v_lshl_add_u32 v20, v20, 23, 0x3c000000
	v_and_b32_e32 v21, 0x80000000, v21
	v_or3_b32 v54, v10, v21, v20
.LBB362_435:                            ;   in Loop: Header=BB362_353 Depth=1
	s_or_b32 exec_lo, exec_lo, s15
.LBB362_436:                            ;   in Loop: Header=BB362_353 Depth=1
	s_or_b32 exec_lo, exec_lo, s14
.LBB362_437:                            ;   in Loop: Header=BB362_353 Depth=1
	s_or_b32 exec_lo, exec_lo, s13
	s_mov_b32 s13, exec_lo
	v_cmpx_lt_u32_e32 0xffffff, v18
	s_cbranch_execz .LBB362_445
; %bb.438:                              ;   in Loop: Header=BB362_353 Depth=1
	v_cmp_ne_u32_sdwa s0, v18, v34 src0_sel:BYTE_3 src1_sel:DWORD
	v_bfrev_b32_e32 v57, 1
	s_and_saveexec_b32 s14, s0
	s_cbranch_execz .LBB362_444
; %bb.439:                              ;   in Loop: Header=BB362_353 Depth=1
	v_bfe_u32 v21, v18, 24, 7
	v_mov_b32_e32 v57, 0x7f800001
	s_mov_b32 s15, exec_lo
	v_cmpx_ne_u32_e32 0x7f, v21
	s_cbranch_execz .LBB362_443
; %bb.440:                              ;   in Loop: Header=BB362_353 Depth=1
	v_and_b32_sdwa v10, v18, v37 dst_sel:DWORD dst_unused:UNUSED_PAD src0_sel:BYTE_3 src1_sel:DWORD
	v_lshrrev_b32_e32 v20, 3, v21
	s_mov_b32 s16, exec_lo
	v_cmpx_gt_u32_e32 8, v21
; %bb.441:                              ;   in Loop: Header=BB362_353 Depth=1
	v_ffbh_u32_e32 v20, v10
	v_min_u32_e32 v20, 32, v20
	v_subrev_nc_u32_e32 v21, 28, v20
	v_sub_nc_u32_e32 v20, 29, v20
	v_lshlrev_b64 v[57:58], v21, v[10:11]
	v_and_b32_e32 v10, 7, v57
; %bb.442:                              ;   in Loop: Header=BB362_353 Depth=1
	s_or_b32 exec_lo, exec_lo, s16
	v_lshlrev_b32_sdwa v21, v38, v18 dst_sel:DWORD dst_unused:UNUSED_PAD src0_sel:DWORD src1_sel:BYTE_3
	v_lshlrev_b32_e32 v10, 20, v10
	v_lshl_add_u32 v20, v20, 23, 0x3c000000
	v_and_b32_e32 v21, 0x80000000, v21
	v_or3_b32 v57, v10, v21, v20
.LBB362_443:                            ;   in Loop: Header=BB362_353 Depth=1
	s_or_b32 exec_lo, exec_lo, s15
.LBB362_444:                            ;   in Loop: Header=BB362_353 Depth=1
	s_or_b32 exec_lo, exec_lo, s14
.LBB362_445:                            ;   in Loop: Header=BB362_353 Depth=1
	s_or_b32 exec_lo, exec_lo, s13
	v_mov_b32_e32 v10, v19
	v_cmp_ne_u16_sdwa s0, v19, v11 src0_sel:BYTE_0 src1_sel:DWORD
	v_mov_b32_e32 v20, 0
	v_mov_b32_e32 v58, 0
	s_and_saveexec_b32 s13, s0
	s_cbranch_execz .LBB362_451
; %bb.446:                              ;   in Loop: Header=BB362_353 Depth=1
	v_cmp_ne_u16_sdwa s0, v19, v34 src0_sel:BYTE_0 src1_sel:DWORD
	v_bfrev_b32_e32 v58, 1
	s_and_saveexec_b32 s14, s0
	s_cbranch_execz .LBB362_450
; %bb.447:                              ;   in Loop: Header=BB362_353 Depth=1
	v_and_b32_e32 v21, 0x7f, v19
	v_mov_b32_e32 v58, 0x7f800001
	s_mov_b32 s15, exec_lo
	v_cmpx_ne_u32_e32 0x7f, v21
	s_cbranch_execz .LBB362_449
; %bb.448:                              ;   in Loop: Header=BB362_353 Depth=1
	v_and_b32_e32 v58, 7, v19
	v_lshrrev_b32_e32 v59, 3, v21
	v_cmp_gt_u32_e64 s0, 8, v21
	v_ffbh_u32_e32 v58, v58
	v_min_u32_e32 v58, 32, v58
	v_subrev_nc_u32_e32 v60, 28, v58
	v_sub_nc_u32_e32 v58, 29, v58
	v_cndmask_b32_e64 v21, v59, v58, s0
	v_cndmask_b32_e64 v58, 0, v60, s0
	v_lshl_add_u32 v21, v21, 23, 0x3c000000
	v_lshlrev_b64 v[58:59], v58, v[10:11]
	v_lshlrev_b32_e32 v59, 24, v10
	v_lshlrev_b32_e32 v58, 20, v58
	v_and_b32_e32 v59, 0x80000000, v59
	v_and_b32_e32 v58, 0x700000, v58
	v_or3_b32 v58, v58, v59, v21
.LBB362_449:                            ;   in Loop: Header=BB362_353 Depth=1
	s_or_b32 exec_lo, exec_lo, s15
.LBB362_450:                            ;   in Loop: Header=BB362_353 Depth=1
	s_or_b32 exec_lo, exec_lo, s14
.LBB362_451:                            ;   in Loop: Header=BB362_353 Depth=1
	s_or_b32 exec_lo, exec_lo, s13
	v_cmp_ne_u16_sdwa s0, v10, v11 src0_sel:BYTE_1 src1_sel:DWORD
	s_and_saveexec_b32 s13, s0
	s_cbranch_execz .LBB362_459
; %bb.452:                              ;   in Loop: Header=BB362_353 Depth=1
	v_cmp_ne_u16_sdwa s0, v10, v34 src0_sel:BYTE_1 src1_sel:DWORD
	v_bfrev_b32_e32 v20, 1
	s_and_saveexec_b32 s14, s0
	s_cbranch_execz .LBB362_458
; %bb.453:                              ;   in Loop: Header=BB362_353 Depth=1
	v_and_b32_sdwa v21, v35, v10 dst_sel:DWORD dst_unused:UNUSED_PAD src0_sel:DWORD src1_sel:BYTE_1
	v_mov_b32_e32 v20, 0x7f800001
	s_mov_b32 s15, exec_lo
	v_and_b32_e32 v60, 0x7f, v21
	v_cmpx_ne_u32_e32 0x7f, v60
	s_cbranch_execz .LBB362_457
; %bb.454:                              ;   in Loop: Header=BB362_353 Depth=1
	v_and_b32_e32 v20, 7, v21
	v_mov_b32_e32 v21, v11
	v_lshrrev_b32_e32 v59, 3, v60
	s_mov_b32 s16, exec_lo
	v_cmpx_gt_u32_e32 8, v60
; %bb.455:                              ;   in Loop: Header=BB362_353 Depth=1
	v_ffbh_u32_e32 v59, v20
	v_min_u32_e32 v59, 32, v59
	v_subrev_nc_u32_e32 v60, 28, v59
	v_sub_nc_u32_e32 v59, 29, v59
	v_lshlrev_b64 v[20:21], v60, v[20:21]
	v_and_b32_e32 v20, 7, v20
; %bb.456:                              ;   in Loop: Header=BB362_353 Depth=1
	s_or_b32 exec_lo, exec_lo, s16
	v_lshlrev_b32_e32 v10, 16, v10
	v_lshlrev_b32_e32 v20, 20, v20
	v_lshl_add_u32 v21, v59, 23, 0x3c000000
	v_and_b32_e32 v10, 0x80000000, v10
	v_or3_b32 v20, v20, v10, v21
.LBB362_457:                            ;   in Loop: Header=BB362_353 Depth=1
	s_or_b32 exec_lo, exec_lo, s15
.LBB362_458:                            ;   in Loop: Header=BB362_353 Depth=1
	s_or_b32 exec_lo, exec_lo, s14
.LBB362_459:                            ;   in Loop: Header=BB362_353 Depth=1
	s_or_b32 exec_lo, exec_lo, s13
	v_and_b32_sdwa v10, v19, v36 dst_sel:DWORD dst_unused:UNUSED_PAD src0_sel:WORD_1 src1_sel:DWORD
	v_mov_b32_e32 v21, 0
	v_mov_b32_e32 v59, 0
	s_mov_b32 s13, exec_lo
	v_cmpx_ne_u16_e32 0, v10
	s_cbranch_execz .LBB362_467
; %bb.460:                              ;   in Loop: Header=BB362_353 Depth=1
	v_bfrev_b32_e32 v59, 1
	s_mov_b32 s14, exec_lo
	v_cmpx_ne_u16_e32 0x80, v10
	s_cbranch_execz .LBB362_466
; %bb.461:                              ;   in Loop: Header=BB362_353 Depth=1
	v_bfe_u32 v60, v19, 16, 7
	v_mov_b32_e32 v59, 0x7f800001
	s_mov_b32 s15, exec_lo
	v_cmpx_ne_u32_e32 0x7f, v60
	s_cbranch_execz .LBB362_465
; %bb.462:                              ;   in Loop: Header=BB362_353 Depth=1
	v_and_b32_sdwa v10, v19, v37 dst_sel:DWORD dst_unused:UNUSED_PAD src0_sel:WORD_1 src1_sel:DWORD
	v_lshrrev_b32_e32 v59, 3, v60
	s_mov_b32 s16, exec_lo
	v_cmpx_gt_u32_e32 8, v60
; %bb.463:                              ;   in Loop: Header=BB362_353 Depth=1
	v_ffbh_u32_e32 v59, v10
	v_min_u32_e32 v59, 32, v59
	v_subrev_nc_u32_e32 v60, 28, v59
	v_sub_nc_u32_e32 v59, 29, v59
	v_lshlrev_b64 v[60:61], v60, v[10:11]
	v_and_b32_e32 v10, 7, v60
; %bb.464:                              ;   in Loop: Header=BB362_353 Depth=1
	s_or_b32 exec_lo, exec_lo, s16
	v_lshlrev_b32_sdwa v60, v38, v19 dst_sel:DWORD dst_unused:UNUSED_PAD src0_sel:DWORD src1_sel:WORD_1
	v_lshlrev_b32_e32 v10, 20, v10
	v_lshl_add_u32 v59, v59, 23, 0x3c000000
	v_and_b32_e32 v60, 0x80000000, v60
	v_or3_b32 v59, v10, v60, v59
.LBB362_465:                            ;   in Loop: Header=BB362_353 Depth=1
	s_or_b32 exec_lo, exec_lo, s15
.LBB362_466:                            ;   in Loop: Header=BB362_353 Depth=1
	s_or_b32 exec_lo, exec_lo, s14
.LBB362_467:                            ;   in Loop: Header=BB362_353 Depth=1
	s_or_b32 exec_lo, exec_lo, s13
	s_mov_b32 s13, exec_lo
	v_cmpx_lt_u64_e64 s[4:5], v[18:19]
	s_cbranch_execz .LBB362_475
; %bb.468:                              ;   in Loop: Header=BB362_353 Depth=1
	v_cmp_ne_u32_sdwa s0, v19, v34 src0_sel:BYTE_3 src1_sel:DWORD
	v_bfrev_b32_e32 v21, 1
	s_and_saveexec_b32 s14, s0
	s_cbranch_execz .LBB362_474
; %bb.469:                              ;   in Loop: Header=BB362_353 Depth=1
	v_bfe_u32 v60, v19, 24, 7
	v_mov_b32_e32 v21, 0x7f800001
	s_mov_b32 s15, exec_lo
	v_cmpx_ne_u32_e32 0x7f, v60
	s_cbranch_execz .LBB362_473
; %bb.470:                              ;   in Loop: Header=BB362_353 Depth=1
	v_and_b32_sdwa v10, v19, v37 dst_sel:DWORD dst_unused:UNUSED_PAD src0_sel:BYTE_3 src1_sel:DWORD
	v_lshrrev_b32_e32 v18, 3, v60
	s_mov_b32 s16, exec_lo
	v_cmpx_gt_u32_e32 8, v60
; %bb.471:                              ;   in Loop: Header=BB362_353 Depth=1
	v_ffbh_u32_e32 v18, v10
	v_min_u32_e32 v18, 32, v18
	v_subrev_nc_u32_e32 v21, 28, v18
	v_sub_nc_u32_e32 v18, 29, v18
	v_lshlrev_b64 v[60:61], v21, v[10:11]
	v_and_b32_e32 v10, 7, v60
; %bb.472:                              ;   in Loop: Header=BB362_353 Depth=1
	s_or_b32 exec_lo, exec_lo, s16
	v_lshlrev_b32_sdwa v19, v38, v19 dst_sel:DWORD dst_unused:UNUSED_PAD src0_sel:DWORD src1_sel:BYTE_3
	v_lshlrev_b32_e32 v10, 20, v10
	v_lshl_add_u32 v18, v18, 23, 0x3c000000
	v_and_b32_e32 v19, 0x80000000, v19
	v_or3_b32 v21, v10, v19, v18
.LBB362_473:                            ;   in Loop: Header=BB362_353 Depth=1
	s_or_b32 exec_lo, exec_lo, s15
.LBB362_474:                            ;   in Loop: Header=BB362_353 Depth=1
	s_or_b32 exec_lo, exec_lo, s14
.LBB362_475:                            ;   in Loop: Header=BB362_353 Depth=1
	s_or_b32 exec_lo, exec_lo, s13
	v_mul_f32_e32 v10, s6, v20
	v_mul_f32_e32 v18, s6, v58
	;; [unrolled: 1-line block ×5, first 2 shown]
	v_bfe_u32 v54, v10, 16, 1
	v_or_b32_e32 v57, 0x400000, v10
	v_bfe_u32 v58, v18, 16, 1
	v_cmp_u_f32_e64 s0, v10, v10
	v_or_b32_e32 v60, 0x400000, v18
	v_add3_u32 v54, v54, v10, 0x7fff
	v_bfe_u32 v61, v19, 16, 1
	v_add3_u32 v58, v58, v18, 0x7fff
	v_or_b32_e32 v62, 0x400000, v19
	v_bfe_u32 v63, v20, 16, 1
	v_cndmask_b32_e64 v10, v54, v57, s0
	v_cmp_u_f32_e64 s0, v18, v18
	v_add3_u32 v61, v61, v19, 0x7fff
	v_lshrrev_b32_e32 v54, 16, v10
	v_cndmask_b32_e64 v18, v58, v60, s0
	v_cmp_u_f32_e64 s0, v19, v19
	v_mul_f32_e32 v10, s6, v55
	v_add3_u32 v58, v63, v20, 0x7fff
	v_or_b32_e32 v60, 0x400000, v20
	v_lshrrev_b32_e32 v55, 16, v18
	v_cndmask_b32_e64 v19, v61, v62, s0
	v_bfe_u32 v18, v10, 16, 1
	v_cmp_u_f32_e64 s0, v20, v20
	v_mul_f32_e32 v20, s6, v56
	v_mul_f32_e32 v56, s6, v59
	v_lshrrev_b32_e32 v57, 16, v19
	v_add3_u32 v18, v18, v10, 0x7fff
	v_cndmask_b32_e64 v19, v58, v60, s0
	v_or_b32_e32 v58, 0x400000, v10
	v_bfe_u32 v59, v20, 16, 1
	v_cmp_u_f32_e64 s0, v10, v10
	v_bfe_u32 v60, v56, 16, 1
	v_or_b32_e32 v61, 0x400000, v56
	v_or_b32_e32 v62, 0x400000, v21
	v_cndmask_b32_e64 v10, v18, v58, s0
	v_add3_u32 v58, v59, v20, 0x7fff
	v_or_b32_e32 v59, 0x400000, v20
	v_cmp_u_f32_e64 s0, v20, v20
	v_bfe_u32 v18, v21, 16, 1
	v_add3_u32 v60, v60, v56, 0x7fff
	v_cndmask_b32_e64 v20, v58, v59, s0
	v_cmp_u_f32_e64 s0, v56, v56
	v_add3_u32 v18, v18, v21, 0x7fff
	v_lshrrev_b32_e32 v59, 16, v19
	v_cndmask_b32_e64 v56, v60, v61, s0
	v_cmp_u_f32_e64 s0, v21, v21
	v_lshrrev_b32_e32 v61, 16, v10
	v_lshrrev_b32_e32 v60, 16, v20
	;; [unrolled: 1-line block ×3, first 2 shown]
	v_cndmask_b32_e64 v18, v18, v62, s0
	v_lshrrev_b32_e32 v58, 16, v18
	s_and_saveexec_b32 s13, vcc_lo
	s_cbranch_execz .LBB362_477
; %bb.476:                              ;   in Loop: Header=BB362_353 Depth=1
	v_cmp_gt_i32_e64 s0, s27, v47
	v_cndmask_b32_e64 v60, 0, v60, s0
	v_cmp_gt_i32_e64 s0, s27, v53
	v_cndmask_b32_e64 v61, 0, v61, s0
	;; [unrolled: 2-line block ×8, first 2 shown]
.LBB362_477:                            ;   in Loop: Header=BB362_353 Depth=1
	s_or_b32 exec_lo, exec_lo, s13
	global_load_dwordx2 v[18:19], v[16:17], off offset:512
	v_mov_b32_e32 v63, 0
	v_mov_b32_e32 v64, 0
	s_waitcnt vmcnt(0)
	v_cmp_ne_u16_sdwa s0, v18, v11 src0_sel:BYTE_0 src1_sel:DWORD
	s_and_saveexec_b32 s13, s0
	s_cbranch_execz .LBB362_483
; %bb.478:                              ;   in Loop: Header=BB362_353 Depth=1
	v_cmp_ne_u16_sdwa s0, v18, v34 src0_sel:BYTE_0 src1_sel:DWORD
	v_bfrev_b32_e32 v64, 1
	s_and_saveexec_b32 s14, s0
	s_cbranch_execz .LBB362_482
; %bb.479:                              ;   in Loop: Header=BB362_353 Depth=1
	v_and_b32_e32 v10, 0x7f, v18
	v_mov_b32_e32 v64, 0x7f800001
	s_mov_b32 s15, exec_lo
	v_cmpx_ne_u32_e32 0x7f, v10
	s_cbranch_execz .LBB362_481
; %bb.480:                              ;   in Loop: Header=BB362_353 Depth=1
	v_and_b32_e32 v20, 7, v18
	v_lshrrev_b32_e32 v21, 3, v10
	v_cmp_gt_u32_e64 s0, 8, v10
	v_ffbh_u32_e32 v20, v20
	v_min_u32_e32 v20, 32, v20
	v_subrev_nc_u32_e32 v62, 28, v20
	v_sub_nc_u32_e32 v20, 29, v20
	v_cndmask_b32_e64 v10, v21, v20, s0
	v_cndmask_b32_e64 v20, 0, v62, s0
	v_lshl_add_u32 v10, v10, 23, 0x3c000000
	v_lshlrev_b64 v[20:21], v20, v[18:19]
	v_lshlrev_b32_e32 v21, 24, v18
	v_lshlrev_b32_e32 v20, 20, v20
	v_and_b32_e32 v21, 0x80000000, v21
	v_and_b32_e32 v20, 0x700000, v20
	v_or3_b32 v64, v20, v21, v10
.LBB362_481:                            ;   in Loop: Header=BB362_353 Depth=1
	s_or_b32 exec_lo, exec_lo, s15
.LBB362_482:                            ;   in Loop: Header=BB362_353 Depth=1
	s_or_b32 exec_lo, exec_lo, s14
.LBB362_483:                            ;   in Loop: Header=BB362_353 Depth=1
	s_or_b32 exec_lo, exec_lo, s13
	v_cmp_ne_u16_sdwa s0, v18, v11 src0_sel:BYTE_1 src1_sel:DWORD
	s_and_saveexec_b32 s13, s0
	s_cbranch_execz .LBB362_491
; %bb.484:                              ;   in Loop: Header=BB362_353 Depth=1
	v_cmp_ne_u16_sdwa s0, v18, v34 src0_sel:BYTE_1 src1_sel:DWORD
	v_bfrev_b32_e32 v63, 1
	s_and_saveexec_b32 s14, s0
	s_cbranch_execz .LBB362_490
; %bb.485:                              ;   in Loop: Header=BB362_353 Depth=1
	v_and_b32_sdwa v10, v35, v18 dst_sel:DWORD dst_unused:UNUSED_PAD src0_sel:DWORD src1_sel:BYTE_1
	v_mov_b32_e32 v63, 0x7f800001
	s_mov_b32 s15, exec_lo
	v_and_b32_e32 v21, 0x7f, v10
	v_cmpx_ne_u32_e32 0x7f, v21
	s_cbranch_execz .LBB362_489
; %bb.486:                              ;   in Loop: Header=BB362_353 Depth=1
	v_and_b32_e32 v10, 7, v10
	v_lshrrev_b32_e32 v20, 3, v21
	s_mov_b32 s16, exec_lo
	v_cmpx_gt_u32_e32 8, v21
; %bb.487:                              ;   in Loop: Header=BB362_353 Depth=1
	v_ffbh_u32_e32 v20, v10
	v_min_u32_e32 v20, 32, v20
	v_subrev_nc_u32_e32 v21, 28, v20
	v_sub_nc_u32_e32 v20, 29, v20
	v_lshlrev_b64 v[62:63], v21, v[10:11]
	v_and_b32_e32 v10, 7, v62
; %bb.488:                              ;   in Loop: Header=BB362_353 Depth=1
	s_or_b32 exec_lo, exec_lo, s16
	v_lshlrev_b32_e32 v21, 16, v18
	v_lshlrev_b32_e32 v10, 20, v10
	v_lshl_add_u32 v20, v20, 23, 0x3c000000
	v_and_b32_e32 v21, 0x80000000, v21
	v_or3_b32 v63, v10, v21, v20
.LBB362_489:                            ;   in Loop: Header=BB362_353 Depth=1
	s_or_b32 exec_lo, exec_lo, s15
.LBB362_490:                            ;   in Loop: Header=BB362_353 Depth=1
	s_or_b32 exec_lo, exec_lo, s14
.LBB362_491:                            ;   in Loop: Header=BB362_353 Depth=1
	s_or_b32 exec_lo, exec_lo, s13
	v_and_b32_sdwa v10, v18, v36 dst_sel:DWORD dst_unused:UNUSED_PAD src0_sel:WORD_1 src1_sel:DWORD
	v_mov_b32_e32 v65, 0
	v_mov_b32_e32 v62, 0
	s_mov_b32 s13, exec_lo
	v_cmpx_ne_u16_e32 0, v10
	s_cbranch_execz .LBB362_499
; %bb.492:                              ;   in Loop: Header=BB362_353 Depth=1
	v_bfrev_b32_e32 v62, 1
	s_mov_b32 s14, exec_lo
	v_cmpx_ne_u16_e32 0x80, v10
	s_cbranch_execz .LBB362_498
; %bb.493:                              ;   in Loop: Header=BB362_353 Depth=1
	v_bfe_u32 v21, v18, 16, 7
	v_mov_b32_e32 v62, 0x7f800001
	s_mov_b32 s15, exec_lo
	v_cmpx_ne_u32_e32 0x7f, v21
	s_cbranch_execz .LBB362_497
; %bb.494:                              ;   in Loop: Header=BB362_353 Depth=1
	v_and_b32_sdwa v10, v18, v37 dst_sel:DWORD dst_unused:UNUSED_PAD src0_sel:WORD_1 src1_sel:DWORD
	v_lshrrev_b32_e32 v20, 3, v21
	s_mov_b32 s16, exec_lo
	v_cmpx_gt_u32_e32 8, v21
; %bb.495:                              ;   in Loop: Header=BB362_353 Depth=1
	v_ffbh_u32_e32 v20, v10
	v_min_u32_e32 v20, 32, v20
	v_subrev_nc_u32_e32 v21, 28, v20
	v_sub_nc_u32_e32 v20, 29, v20
	v_lshlrev_b64 v[66:67], v21, v[10:11]
	v_and_b32_e32 v10, 7, v66
; %bb.496:                              ;   in Loop: Header=BB362_353 Depth=1
	s_or_b32 exec_lo, exec_lo, s16
	v_lshlrev_b32_sdwa v21, v38, v18 dst_sel:DWORD dst_unused:UNUSED_PAD src0_sel:DWORD src1_sel:WORD_1
	v_lshlrev_b32_e32 v10, 20, v10
	v_lshl_add_u32 v20, v20, 23, 0x3c000000
	v_and_b32_e32 v21, 0x80000000, v21
	v_or3_b32 v62, v10, v21, v20
.LBB362_497:                            ;   in Loop: Header=BB362_353 Depth=1
	s_or_b32 exec_lo, exec_lo, s15
.LBB362_498:                            ;   in Loop: Header=BB362_353 Depth=1
	s_or_b32 exec_lo, exec_lo, s14
.LBB362_499:                            ;   in Loop: Header=BB362_353 Depth=1
	s_or_b32 exec_lo, exec_lo, s13
	s_mov_b32 s13, exec_lo
	v_cmpx_lt_u32_e32 0xffffff, v18
	s_cbranch_execz .LBB362_507
; %bb.500:                              ;   in Loop: Header=BB362_353 Depth=1
	v_cmp_ne_u32_sdwa s0, v18, v34 src0_sel:BYTE_3 src1_sel:DWORD
	v_bfrev_b32_e32 v65, 1
	s_and_saveexec_b32 s14, s0
	s_cbranch_execz .LBB362_506
; %bb.501:                              ;   in Loop: Header=BB362_353 Depth=1
	v_bfe_u32 v21, v18, 24, 7
	v_mov_b32_e32 v65, 0x7f800001
	s_mov_b32 s15, exec_lo
	v_cmpx_ne_u32_e32 0x7f, v21
	s_cbranch_execz .LBB362_505
; %bb.502:                              ;   in Loop: Header=BB362_353 Depth=1
	v_and_b32_sdwa v10, v18, v37 dst_sel:DWORD dst_unused:UNUSED_PAD src0_sel:BYTE_3 src1_sel:DWORD
	v_lshrrev_b32_e32 v20, 3, v21
	s_mov_b32 s16, exec_lo
	v_cmpx_gt_u32_e32 8, v21
; %bb.503:                              ;   in Loop: Header=BB362_353 Depth=1
	v_ffbh_u32_e32 v20, v10
	v_min_u32_e32 v20, 32, v20
	v_subrev_nc_u32_e32 v21, 28, v20
	v_sub_nc_u32_e32 v20, 29, v20
	v_lshlrev_b64 v[65:66], v21, v[10:11]
	v_and_b32_e32 v10, 7, v65
; %bb.504:                              ;   in Loop: Header=BB362_353 Depth=1
	s_or_b32 exec_lo, exec_lo, s16
	v_lshlrev_b32_sdwa v21, v38, v18 dst_sel:DWORD dst_unused:UNUSED_PAD src0_sel:DWORD src1_sel:BYTE_3
	v_lshlrev_b32_e32 v10, 20, v10
	v_lshl_add_u32 v20, v20, 23, 0x3c000000
	v_and_b32_e32 v21, 0x80000000, v21
	v_or3_b32 v65, v10, v21, v20
.LBB362_505:                            ;   in Loop: Header=BB362_353 Depth=1
	s_or_b32 exec_lo, exec_lo, s15
.LBB362_506:                            ;   in Loop: Header=BB362_353 Depth=1
	s_or_b32 exec_lo, exec_lo, s14
.LBB362_507:                            ;   in Loop: Header=BB362_353 Depth=1
	s_or_b32 exec_lo, exec_lo, s13
	v_mov_b32_e32 v10, v19
	v_cmp_ne_u16_sdwa s0, v19, v11 src0_sel:BYTE_0 src1_sel:DWORD
	v_mov_b32_e32 v20, 0
	v_mov_b32_e32 v66, 0
	s_and_saveexec_b32 s13, s0
	s_cbranch_execz .LBB362_513
; %bb.508:                              ;   in Loop: Header=BB362_353 Depth=1
	v_cmp_ne_u16_sdwa s0, v19, v34 src0_sel:BYTE_0 src1_sel:DWORD
	v_bfrev_b32_e32 v66, 1
	s_and_saveexec_b32 s14, s0
	s_cbranch_execz .LBB362_512
; %bb.509:                              ;   in Loop: Header=BB362_353 Depth=1
	v_and_b32_e32 v21, 0x7f, v19
	v_mov_b32_e32 v66, 0x7f800001
	s_mov_b32 s15, exec_lo
	v_cmpx_ne_u32_e32 0x7f, v21
	s_cbranch_execz .LBB362_511
; %bb.510:                              ;   in Loop: Header=BB362_353 Depth=1
	v_and_b32_e32 v66, 7, v19
	v_lshrrev_b32_e32 v67, 3, v21
	v_cmp_gt_u32_e64 s0, 8, v21
	v_ffbh_u32_e32 v66, v66
	v_min_u32_e32 v66, 32, v66
	v_subrev_nc_u32_e32 v68, 28, v66
	v_sub_nc_u32_e32 v66, 29, v66
	v_cndmask_b32_e64 v21, v67, v66, s0
	v_cndmask_b32_e64 v66, 0, v68, s0
	v_lshl_add_u32 v21, v21, 23, 0x3c000000
	v_lshlrev_b64 v[66:67], v66, v[10:11]
	v_lshlrev_b32_e32 v67, 24, v10
	v_lshlrev_b32_e32 v66, 20, v66
	v_and_b32_e32 v67, 0x80000000, v67
	v_and_b32_e32 v66, 0x700000, v66
	v_or3_b32 v66, v66, v67, v21
.LBB362_511:                            ;   in Loop: Header=BB362_353 Depth=1
	s_or_b32 exec_lo, exec_lo, s15
.LBB362_512:                            ;   in Loop: Header=BB362_353 Depth=1
	s_or_b32 exec_lo, exec_lo, s14
.LBB362_513:                            ;   in Loop: Header=BB362_353 Depth=1
	s_or_b32 exec_lo, exec_lo, s13
	v_cmp_ne_u16_sdwa s0, v10, v11 src0_sel:BYTE_1 src1_sel:DWORD
	s_and_saveexec_b32 s13, s0
	s_cbranch_execz .LBB362_521
; %bb.514:                              ;   in Loop: Header=BB362_353 Depth=1
	v_cmp_ne_u16_sdwa s0, v10, v34 src0_sel:BYTE_1 src1_sel:DWORD
	v_bfrev_b32_e32 v20, 1
	s_and_saveexec_b32 s14, s0
	s_cbranch_execz .LBB362_520
; %bb.515:                              ;   in Loop: Header=BB362_353 Depth=1
	v_and_b32_sdwa v21, v35, v10 dst_sel:DWORD dst_unused:UNUSED_PAD src0_sel:DWORD src1_sel:BYTE_1
	v_mov_b32_e32 v20, 0x7f800001
	s_mov_b32 s15, exec_lo
	v_and_b32_e32 v68, 0x7f, v21
	v_cmpx_ne_u32_e32 0x7f, v68
	s_cbranch_execz .LBB362_519
; %bb.516:                              ;   in Loop: Header=BB362_353 Depth=1
	v_and_b32_e32 v20, 7, v21
	v_mov_b32_e32 v21, v11
	v_lshrrev_b32_e32 v67, 3, v68
	s_mov_b32 s16, exec_lo
	v_cmpx_gt_u32_e32 8, v68
; %bb.517:                              ;   in Loop: Header=BB362_353 Depth=1
	v_ffbh_u32_e32 v67, v20
	v_min_u32_e32 v67, 32, v67
	v_subrev_nc_u32_e32 v68, 28, v67
	v_sub_nc_u32_e32 v67, 29, v67
	v_lshlrev_b64 v[20:21], v68, v[20:21]
	v_and_b32_e32 v20, 7, v20
; %bb.518:                              ;   in Loop: Header=BB362_353 Depth=1
	s_or_b32 exec_lo, exec_lo, s16
	v_lshlrev_b32_e32 v10, 16, v10
	v_lshlrev_b32_e32 v20, 20, v20
	v_lshl_add_u32 v21, v67, 23, 0x3c000000
	v_and_b32_e32 v10, 0x80000000, v10
	v_or3_b32 v20, v20, v10, v21
.LBB362_519:                            ;   in Loop: Header=BB362_353 Depth=1
	s_or_b32 exec_lo, exec_lo, s15
.LBB362_520:                            ;   in Loop: Header=BB362_353 Depth=1
	s_or_b32 exec_lo, exec_lo, s14
.LBB362_521:                            ;   in Loop: Header=BB362_353 Depth=1
	s_or_b32 exec_lo, exec_lo, s13
	v_and_b32_sdwa v10, v19, v36 dst_sel:DWORD dst_unused:UNUSED_PAD src0_sel:WORD_1 src1_sel:DWORD
	v_mov_b32_e32 v21, 0
	v_mov_b32_e32 v67, 0
	s_mov_b32 s13, exec_lo
	v_cmpx_ne_u16_e32 0, v10
	s_cbranch_execz .LBB362_529
; %bb.522:                              ;   in Loop: Header=BB362_353 Depth=1
	v_bfrev_b32_e32 v67, 1
	s_mov_b32 s14, exec_lo
	v_cmpx_ne_u16_e32 0x80, v10
	s_cbranch_execz .LBB362_528
; %bb.523:                              ;   in Loop: Header=BB362_353 Depth=1
	v_bfe_u32 v68, v19, 16, 7
	v_mov_b32_e32 v67, 0x7f800001
	s_mov_b32 s15, exec_lo
	v_cmpx_ne_u32_e32 0x7f, v68
	s_cbranch_execz .LBB362_527
; %bb.524:                              ;   in Loop: Header=BB362_353 Depth=1
	v_and_b32_sdwa v10, v19, v37 dst_sel:DWORD dst_unused:UNUSED_PAD src0_sel:WORD_1 src1_sel:DWORD
	v_lshrrev_b32_e32 v67, 3, v68
	s_mov_b32 s16, exec_lo
	v_cmpx_gt_u32_e32 8, v68
; %bb.525:                              ;   in Loop: Header=BB362_353 Depth=1
	v_ffbh_u32_e32 v67, v10
	v_min_u32_e32 v67, 32, v67
	v_subrev_nc_u32_e32 v68, 28, v67
	v_sub_nc_u32_e32 v67, 29, v67
	v_lshlrev_b64 v[68:69], v68, v[10:11]
	v_and_b32_e32 v10, 7, v68
; %bb.526:                              ;   in Loop: Header=BB362_353 Depth=1
	s_or_b32 exec_lo, exec_lo, s16
	v_lshlrev_b32_sdwa v68, v38, v19 dst_sel:DWORD dst_unused:UNUSED_PAD src0_sel:DWORD src1_sel:WORD_1
	v_lshlrev_b32_e32 v10, 20, v10
	v_lshl_add_u32 v67, v67, 23, 0x3c000000
	v_and_b32_e32 v68, 0x80000000, v68
	v_or3_b32 v67, v10, v68, v67
.LBB362_527:                            ;   in Loop: Header=BB362_353 Depth=1
	s_or_b32 exec_lo, exec_lo, s15
.LBB362_528:                            ;   in Loop: Header=BB362_353 Depth=1
	s_or_b32 exec_lo, exec_lo, s14
.LBB362_529:                            ;   in Loop: Header=BB362_353 Depth=1
	s_or_b32 exec_lo, exec_lo, s13
	s_mov_b32 s13, exec_lo
	v_cmpx_lt_u64_e64 s[4:5], v[18:19]
	s_cbranch_execz .LBB362_537
; %bb.530:                              ;   in Loop: Header=BB362_353 Depth=1
	v_cmp_ne_u32_sdwa s0, v19, v34 src0_sel:BYTE_3 src1_sel:DWORD
	v_bfrev_b32_e32 v21, 1
	s_and_saveexec_b32 s14, s0
	s_cbranch_execz .LBB362_536
; %bb.531:                              ;   in Loop: Header=BB362_353 Depth=1
	v_bfe_u32 v68, v19, 24, 7
	v_mov_b32_e32 v21, 0x7f800001
	s_mov_b32 s15, exec_lo
	v_cmpx_ne_u32_e32 0x7f, v68
	s_cbranch_execz .LBB362_535
; %bb.532:                              ;   in Loop: Header=BB362_353 Depth=1
	v_and_b32_sdwa v10, v19, v37 dst_sel:DWORD dst_unused:UNUSED_PAD src0_sel:BYTE_3 src1_sel:DWORD
	v_lshrrev_b32_e32 v18, 3, v68
	s_mov_b32 s16, exec_lo
	v_cmpx_gt_u32_e32 8, v68
; %bb.533:                              ;   in Loop: Header=BB362_353 Depth=1
	v_ffbh_u32_e32 v18, v10
	v_min_u32_e32 v18, 32, v18
	v_subrev_nc_u32_e32 v21, 28, v18
	v_sub_nc_u32_e32 v18, 29, v18
	v_lshlrev_b64 v[68:69], v21, v[10:11]
	v_and_b32_e32 v10, 7, v68
; %bb.534:                              ;   in Loop: Header=BB362_353 Depth=1
	s_or_b32 exec_lo, exec_lo, s16
	v_lshlrev_b32_sdwa v19, v38, v19 dst_sel:DWORD dst_unused:UNUSED_PAD src0_sel:DWORD src1_sel:BYTE_3
	v_lshlrev_b32_e32 v10, 20, v10
	v_lshl_add_u32 v18, v18, 23, 0x3c000000
	v_and_b32_e32 v19, 0x80000000, v19
	v_or3_b32 v21, v10, v19, v18
.LBB362_535:                            ;   in Loop: Header=BB362_353 Depth=1
	s_or_b32 exec_lo, exec_lo, s15
.LBB362_536:                            ;   in Loop: Header=BB362_353 Depth=1
	s_or_b32 exec_lo, exec_lo, s14
.LBB362_537:                            ;   in Loop: Header=BB362_353 Depth=1
	s_or_b32 exec_lo, exec_lo, s13
	v_mul_f32_e32 v10, s6, v20
	v_mul_f32_e32 v18, s6, v66
	;; [unrolled: 1-line block ×5, first 2 shown]
	v_bfe_u32 v62, v10, 16, 1
	v_or_b32_e32 v65, 0x400000, v10
	v_bfe_u32 v66, v18, 16, 1
	v_cmp_u_f32_e64 s0, v10, v10
	v_or_b32_e32 v68, 0x400000, v18
	v_add3_u32 v62, v62, v10, 0x7fff
	v_bfe_u32 v69, v19, 16, 1
	v_add3_u32 v66, v66, v18, 0x7fff
	v_or_b32_e32 v70, 0x400000, v19
	v_bfe_u32 v71, v20, 16, 1
	v_cndmask_b32_e64 v10, v62, v65, s0
	v_cmp_u_f32_e64 s0, v18, v18
	v_add3_u32 v69, v69, v19, 0x7fff
	v_lshrrev_b32_e32 v62, 16, v10
	v_cndmask_b32_e64 v18, v66, v68, s0
	v_cmp_u_f32_e64 s0, v19, v19
	v_mul_f32_e32 v10, s6, v63
	v_add3_u32 v66, v71, v20, 0x7fff
	v_or_b32_e32 v68, 0x400000, v20
	v_lshrrev_b32_e32 v63, 16, v18
	v_cndmask_b32_e64 v19, v69, v70, s0
	v_bfe_u32 v18, v10, 16, 1
	v_cmp_u_f32_e64 s0, v20, v20
	v_mul_f32_e32 v20, s6, v64
	v_mul_f32_e32 v64, s6, v67
	v_lshrrev_b32_e32 v65, 16, v19
	v_add3_u32 v18, v18, v10, 0x7fff
	v_cndmask_b32_e64 v19, v66, v68, s0
	v_or_b32_e32 v66, 0x400000, v10
	v_bfe_u32 v67, v20, 16, 1
	v_cmp_u_f32_e64 s0, v10, v10
	v_bfe_u32 v68, v64, 16, 1
	v_or_b32_e32 v69, 0x400000, v64
	v_or_b32_e32 v70, 0x400000, v21
	v_cndmask_b32_e64 v10, v18, v66, s0
	v_add3_u32 v66, v67, v20, 0x7fff
	v_or_b32_e32 v67, 0x400000, v20
	v_cmp_u_f32_e64 s0, v20, v20
	v_bfe_u32 v18, v21, 16, 1
	v_add3_u32 v68, v68, v64, 0x7fff
	v_cndmask_b32_e64 v20, v66, v67, s0
	v_cmp_u_f32_e64 s0, v64, v64
	v_add3_u32 v18, v18, v21, 0x7fff
	v_lshrrev_b32_e32 v67, 16, v19
	v_cndmask_b32_e64 v64, v68, v69, s0
	v_cmp_u_f32_e64 s0, v21, v21
	v_lshrrev_b32_e32 v69, 16, v10
	v_lshrrev_b32_e32 v68, 16, v20
	;; [unrolled: 1-line block ×3, first 2 shown]
	v_cndmask_b32_e64 v18, v18, v70, s0
	v_lshrrev_b32_e32 v66, 16, v18
	s_and_saveexec_b32 s13, vcc_lo
	s_cbranch_execz .LBB362_539
; %bb.538:                              ;   in Loop: Header=BB362_353 Depth=1
	v_cmp_gt_i32_e64 s0, s27, v47
	v_cndmask_b32_e64 v68, 0, v68, s0
	v_cmp_gt_i32_e64 s0, s27, v53
	v_cndmask_b32_e64 v69, 0, v69, s0
	v_cmp_gt_i32_e64 s0, s27, v52
	v_cndmask_b32_e64 v67, 0, v67, s0
	v_cmp_gt_i32_e64 s0, s27, v51
	v_cndmask_b32_e64 v65, 0, v65, s0
	v_cmp_gt_i32_e64 s0, s27, v50
	v_cndmask_b32_e64 v63, 0, v63, s0
	v_cmp_gt_i32_e64 s0, s27, v49
	v_cndmask_b32_e64 v62, 0, v62, s0
	v_cmp_gt_i32_e64 s0, s27, v48
	v_cndmask_b32_e64 v64, 0, v64, s0
	v_cmp_gt_i32_e64 s0, s27, v32
	v_cndmask_b32_e64 v66, 0, v66, s0
.LBB362_539:                            ;   in Loop: Header=BB362_353 Depth=1
	s_or_b32 exec_lo, exec_lo, s13
	global_load_dwordx2 v[18:19], v[16:17], off offset:768
	v_mov_b32_e32 v71, 0
	v_mov_b32_e32 v70, 0
	s_waitcnt vmcnt(0)
	v_cmp_ne_u16_sdwa s0, v18, v11 src0_sel:BYTE_0 src1_sel:DWORD
	s_and_saveexec_b32 s13, s0
	s_cbranch_execz .LBB362_545
; %bb.540:                              ;   in Loop: Header=BB362_353 Depth=1
	v_cmp_ne_u16_sdwa s0, v18, v34 src0_sel:BYTE_0 src1_sel:DWORD
	v_bfrev_b32_e32 v70, 1
	s_and_saveexec_b32 s14, s0
	s_cbranch_execz .LBB362_544
; %bb.541:                              ;   in Loop: Header=BB362_353 Depth=1
	v_and_b32_e32 v10, 0x7f, v18
	v_mov_b32_e32 v70, 0x7f800001
	s_mov_b32 s15, exec_lo
	v_cmpx_ne_u32_e32 0x7f, v10
	s_cbranch_execz .LBB362_543
; %bb.542:                              ;   in Loop: Header=BB362_353 Depth=1
	v_and_b32_e32 v20, 7, v18
	v_lshrrev_b32_e32 v21, 3, v10
	v_cmp_gt_u32_e64 s0, 8, v10
	v_ffbh_u32_e32 v20, v20
	v_min_u32_e32 v20, 32, v20
	v_subrev_nc_u32_e32 v70, 28, v20
	v_sub_nc_u32_e32 v20, 29, v20
	v_cndmask_b32_e64 v10, v21, v20, s0
	v_cndmask_b32_e64 v20, 0, v70, s0
	v_lshl_add_u32 v10, v10, 23, 0x3c000000
	v_lshlrev_b64 v[20:21], v20, v[18:19]
	v_lshlrev_b32_e32 v21, 24, v18
	v_lshlrev_b32_e32 v20, 20, v20
	v_and_b32_e32 v21, 0x80000000, v21
	v_and_b32_e32 v20, 0x700000, v20
	v_or3_b32 v70, v20, v21, v10
.LBB362_543:                            ;   in Loop: Header=BB362_353 Depth=1
	s_or_b32 exec_lo, exec_lo, s15
.LBB362_544:                            ;   in Loop: Header=BB362_353 Depth=1
	s_or_b32 exec_lo, exec_lo, s14
.LBB362_545:                            ;   in Loop: Header=BB362_353 Depth=1
	s_or_b32 exec_lo, exec_lo, s13
	v_cmp_ne_u16_sdwa s0, v18, v11 src0_sel:BYTE_1 src1_sel:DWORD
	s_and_saveexec_b32 s13, s0
	s_cbranch_execz .LBB362_553
; %bb.546:                              ;   in Loop: Header=BB362_353 Depth=1
	v_cmp_ne_u16_sdwa s0, v18, v34 src0_sel:BYTE_1 src1_sel:DWORD
	v_bfrev_b32_e32 v71, 1
	s_and_saveexec_b32 s14, s0
	s_cbranch_execz .LBB362_552
; %bb.547:                              ;   in Loop: Header=BB362_353 Depth=1
	v_and_b32_sdwa v10, v35, v18 dst_sel:DWORD dst_unused:UNUSED_PAD src0_sel:DWORD src1_sel:BYTE_1
	v_mov_b32_e32 v71, 0x7f800001
	s_mov_b32 s15, exec_lo
	v_and_b32_e32 v21, 0x7f, v10
	v_cmpx_ne_u32_e32 0x7f, v21
	s_cbranch_execz .LBB362_551
; %bb.548:                              ;   in Loop: Header=BB362_353 Depth=1
	v_and_b32_e32 v10, 7, v10
	v_lshrrev_b32_e32 v20, 3, v21
	s_mov_b32 s16, exec_lo
	v_cmpx_gt_u32_e32 8, v21
; %bb.549:                              ;   in Loop: Header=BB362_353 Depth=1
	v_ffbh_u32_e32 v20, v10
	v_min_u32_e32 v20, 32, v20
	v_subrev_nc_u32_e32 v21, 28, v20
	v_sub_nc_u32_e32 v20, 29, v20
	v_lshlrev_b64 v[71:72], v21, v[10:11]
	v_and_b32_e32 v10, 7, v71
; %bb.550:                              ;   in Loop: Header=BB362_353 Depth=1
	s_or_b32 exec_lo, exec_lo, s16
	v_lshlrev_b32_e32 v21, 16, v18
	v_lshlrev_b32_e32 v10, 20, v10
	v_lshl_add_u32 v20, v20, 23, 0x3c000000
	v_and_b32_e32 v21, 0x80000000, v21
	v_or3_b32 v71, v10, v21, v20
.LBB362_551:                            ;   in Loop: Header=BB362_353 Depth=1
	s_or_b32 exec_lo, exec_lo, s15
.LBB362_552:                            ;   in Loop: Header=BB362_353 Depth=1
	s_or_b32 exec_lo, exec_lo, s14
.LBB362_553:                            ;   in Loop: Header=BB362_353 Depth=1
	s_or_b32 exec_lo, exec_lo, s13
	v_and_b32_sdwa v10, v18, v36 dst_sel:DWORD dst_unused:UNUSED_PAD src0_sel:WORD_1 src1_sel:DWORD
	v_mov_b32_e32 v73, 0
	v_mov_b32_e32 v72, 0
	s_mov_b32 s13, exec_lo
	v_cmpx_ne_u16_e32 0, v10
	s_cbranch_execz .LBB362_561
; %bb.554:                              ;   in Loop: Header=BB362_353 Depth=1
	v_bfrev_b32_e32 v72, 1
	s_mov_b32 s14, exec_lo
	v_cmpx_ne_u16_e32 0x80, v10
	s_cbranch_execz .LBB362_560
; %bb.555:                              ;   in Loop: Header=BB362_353 Depth=1
	v_bfe_u32 v21, v18, 16, 7
	v_mov_b32_e32 v72, 0x7f800001
	s_mov_b32 s15, exec_lo
	v_cmpx_ne_u32_e32 0x7f, v21
	s_cbranch_execz .LBB362_559
; %bb.556:                              ;   in Loop: Header=BB362_353 Depth=1
	v_and_b32_sdwa v10, v18, v37 dst_sel:DWORD dst_unused:UNUSED_PAD src0_sel:WORD_1 src1_sel:DWORD
	v_lshrrev_b32_e32 v20, 3, v21
	s_mov_b32 s16, exec_lo
	v_cmpx_gt_u32_e32 8, v21
; %bb.557:                              ;   in Loop: Header=BB362_353 Depth=1
	v_ffbh_u32_e32 v20, v10
	v_min_u32_e32 v20, 32, v20
	v_subrev_nc_u32_e32 v21, 28, v20
	v_sub_nc_u32_e32 v20, 29, v20
	v_lshlrev_b64 v[74:75], v21, v[10:11]
	v_and_b32_e32 v10, 7, v74
; %bb.558:                              ;   in Loop: Header=BB362_353 Depth=1
	s_or_b32 exec_lo, exec_lo, s16
	v_lshlrev_b32_sdwa v21, v38, v18 dst_sel:DWORD dst_unused:UNUSED_PAD src0_sel:DWORD src1_sel:WORD_1
	v_lshlrev_b32_e32 v10, 20, v10
	v_lshl_add_u32 v20, v20, 23, 0x3c000000
	v_and_b32_e32 v21, 0x80000000, v21
	v_or3_b32 v72, v10, v21, v20
.LBB362_559:                            ;   in Loop: Header=BB362_353 Depth=1
	s_or_b32 exec_lo, exec_lo, s15
.LBB362_560:                            ;   in Loop: Header=BB362_353 Depth=1
	s_or_b32 exec_lo, exec_lo, s14
.LBB362_561:                            ;   in Loop: Header=BB362_353 Depth=1
	s_or_b32 exec_lo, exec_lo, s13
	s_mov_b32 s13, exec_lo
	v_cmpx_lt_u32_e32 0xffffff, v18
	s_cbranch_execz .LBB362_569
; %bb.562:                              ;   in Loop: Header=BB362_353 Depth=1
	v_cmp_ne_u32_sdwa s0, v18, v34 src0_sel:BYTE_3 src1_sel:DWORD
	v_bfrev_b32_e32 v73, 1
	s_and_saveexec_b32 s14, s0
	s_cbranch_execz .LBB362_568
; %bb.563:                              ;   in Loop: Header=BB362_353 Depth=1
	v_bfe_u32 v21, v18, 24, 7
	v_mov_b32_e32 v73, 0x7f800001
	s_mov_b32 s15, exec_lo
	v_cmpx_ne_u32_e32 0x7f, v21
	s_cbranch_execz .LBB362_567
; %bb.564:                              ;   in Loop: Header=BB362_353 Depth=1
	v_and_b32_sdwa v10, v18, v37 dst_sel:DWORD dst_unused:UNUSED_PAD src0_sel:BYTE_3 src1_sel:DWORD
	v_lshrrev_b32_e32 v20, 3, v21
	s_mov_b32 s16, exec_lo
	v_cmpx_gt_u32_e32 8, v21
; %bb.565:                              ;   in Loop: Header=BB362_353 Depth=1
	v_ffbh_u32_e32 v20, v10
	v_min_u32_e32 v20, 32, v20
	v_subrev_nc_u32_e32 v21, 28, v20
	v_sub_nc_u32_e32 v20, 29, v20
	v_lshlrev_b64 v[73:74], v21, v[10:11]
	v_and_b32_e32 v10, 7, v73
; %bb.566:                              ;   in Loop: Header=BB362_353 Depth=1
	s_or_b32 exec_lo, exec_lo, s16
	v_lshlrev_b32_sdwa v21, v38, v18 dst_sel:DWORD dst_unused:UNUSED_PAD src0_sel:DWORD src1_sel:BYTE_3
	v_lshlrev_b32_e32 v10, 20, v10
	v_lshl_add_u32 v20, v20, 23, 0x3c000000
	v_and_b32_e32 v21, 0x80000000, v21
	v_or3_b32 v73, v10, v21, v20
.LBB362_567:                            ;   in Loop: Header=BB362_353 Depth=1
	s_or_b32 exec_lo, exec_lo, s15
.LBB362_568:                            ;   in Loop: Header=BB362_353 Depth=1
	s_or_b32 exec_lo, exec_lo, s14
.LBB362_569:                            ;   in Loop: Header=BB362_353 Depth=1
	s_or_b32 exec_lo, exec_lo, s13
	v_mov_b32_e32 v10, v19
	v_cmp_ne_u16_sdwa s0, v19, v11 src0_sel:BYTE_0 src1_sel:DWORD
	v_mov_b32_e32 v20, 0
	v_mov_b32_e32 v74, 0
	s_and_saveexec_b32 s13, s0
	s_cbranch_execz .LBB362_575
; %bb.570:                              ;   in Loop: Header=BB362_353 Depth=1
	v_cmp_ne_u16_sdwa s0, v19, v34 src0_sel:BYTE_0 src1_sel:DWORD
	v_bfrev_b32_e32 v74, 1
	s_and_saveexec_b32 s14, s0
	s_cbranch_execz .LBB362_574
; %bb.571:                              ;   in Loop: Header=BB362_353 Depth=1
	v_and_b32_e32 v21, 0x7f, v19
	v_mov_b32_e32 v74, 0x7f800001
	s_mov_b32 s15, exec_lo
	v_cmpx_ne_u32_e32 0x7f, v21
	s_cbranch_execz .LBB362_573
; %bb.572:                              ;   in Loop: Header=BB362_353 Depth=1
	v_and_b32_e32 v74, 7, v19
	v_lshrrev_b32_e32 v75, 3, v21
	v_cmp_gt_u32_e64 s0, 8, v21
	v_ffbh_u32_e32 v74, v74
	v_min_u32_e32 v74, 32, v74
	v_subrev_nc_u32_e32 v76, 28, v74
	v_sub_nc_u32_e32 v74, 29, v74
	v_cndmask_b32_e64 v21, v75, v74, s0
	v_cndmask_b32_e64 v74, 0, v76, s0
	v_lshl_add_u32 v21, v21, 23, 0x3c000000
	v_lshlrev_b64 v[74:75], v74, v[10:11]
	v_lshlrev_b32_e32 v75, 24, v10
	v_lshlrev_b32_e32 v74, 20, v74
	v_and_b32_e32 v75, 0x80000000, v75
	v_and_b32_e32 v74, 0x700000, v74
	v_or3_b32 v74, v74, v75, v21
.LBB362_573:                            ;   in Loop: Header=BB362_353 Depth=1
	s_or_b32 exec_lo, exec_lo, s15
.LBB362_574:                            ;   in Loop: Header=BB362_353 Depth=1
	s_or_b32 exec_lo, exec_lo, s14
.LBB362_575:                            ;   in Loop: Header=BB362_353 Depth=1
	s_or_b32 exec_lo, exec_lo, s13
	v_cmp_ne_u16_sdwa s0, v10, v11 src0_sel:BYTE_1 src1_sel:DWORD
	s_and_saveexec_b32 s13, s0
	s_cbranch_execz .LBB362_583
; %bb.576:                              ;   in Loop: Header=BB362_353 Depth=1
	v_cmp_ne_u16_sdwa s0, v10, v34 src0_sel:BYTE_1 src1_sel:DWORD
	v_bfrev_b32_e32 v20, 1
	s_and_saveexec_b32 s14, s0
	s_cbranch_execz .LBB362_582
; %bb.577:                              ;   in Loop: Header=BB362_353 Depth=1
	v_and_b32_sdwa v21, v35, v10 dst_sel:DWORD dst_unused:UNUSED_PAD src0_sel:DWORD src1_sel:BYTE_1
	v_mov_b32_e32 v20, 0x7f800001
	s_mov_b32 s15, exec_lo
	v_and_b32_e32 v76, 0x7f, v21
	v_cmpx_ne_u32_e32 0x7f, v76
	s_cbranch_execz .LBB362_581
; %bb.578:                              ;   in Loop: Header=BB362_353 Depth=1
	v_and_b32_e32 v20, 7, v21
	v_mov_b32_e32 v21, v11
	v_lshrrev_b32_e32 v75, 3, v76
	s_mov_b32 s16, exec_lo
	v_cmpx_gt_u32_e32 8, v76
; %bb.579:                              ;   in Loop: Header=BB362_353 Depth=1
	v_ffbh_u32_e32 v75, v20
	v_min_u32_e32 v75, 32, v75
	v_subrev_nc_u32_e32 v76, 28, v75
	v_sub_nc_u32_e32 v75, 29, v75
	v_lshlrev_b64 v[20:21], v76, v[20:21]
	v_and_b32_e32 v20, 7, v20
; %bb.580:                              ;   in Loop: Header=BB362_353 Depth=1
	s_or_b32 exec_lo, exec_lo, s16
	v_lshlrev_b32_e32 v10, 16, v10
	v_lshlrev_b32_e32 v20, 20, v20
	v_lshl_add_u32 v21, v75, 23, 0x3c000000
	v_and_b32_e32 v10, 0x80000000, v10
	v_or3_b32 v20, v20, v10, v21
.LBB362_581:                            ;   in Loop: Header=BB362_353 Depth=1
	s_or_b32 exec_lo, exec_lo, s15
.LBB362_582:                            ;   in Loop: Header=BB362_353 Depth=1
	s_or_b32 exec_lo, exec_lo, s14
.LBB362_583:                            ;   in Loop: Header=BB362_353 Depth=1
	s_or_b32 exec_lo, exec_lo, s13
	v_and_b32_sdwa v10, v19, v36 dst_sel:DWORD dst_unused:UNUSED_PAD src0_sel:WORD_1 src1_sel:DWORD
	v_mov_b32_e32 v75, 0
	v_mov_b32_e32 v76, 0
	s_mov_b32 s13, exec_lo
	v_cmpx_ne_u16_e32 0, v10
	s_cbranch_execz .LBB362_591
; %bb.584:                              ;   in Loop: Header=BB362_353 Depth=1
	v_bfrev_b32_e32 v76, 1
	s_mov_b32 s14, exec_lo
	v_cmpx_ne_u16_e32 0x80, v10
	s_cbranch_execz .LBB362_590
; %bb.585:                              ;   in Loop: Header=BB362_353 Depth=1
	v_bfe_u32 v77, v19, 16, 7
	v_mov_b32_e32 v76, 0x7f800001
	s_mov_b32 s15, exec_lo
	v_cmpx_ne_u32_e32 0x7f, v77
	s_cbranch_execz .LBB362_589
; %bb.586:                              ;   in Loop: Header=BB362_353 Depth=1
	v_and_b32_sdwa v10, v19, v37 dst_sel:DWORD dst_unused:UNUSED_PAD src0_sel:WORD_1 src1_sel:DWORD
	v_lshrrev_b32_e32 v21, 3, v77
	s_mov_b32 s16, exec_lo
	v_cmpx_gt_u32_e32 8, v77
; %bb.587:                              ;   in Loop: Header=BB362_353 Depth=1
	v_ffbh_u32_e32 v21, v10
	v_min_u32_e32 v21, 32, v21
	v_subrev_nc_u32_e32 v76, 28, v21
	v_sub_nc_u32_e32 v21, 29, v21
	v_lshlrev_b64 v[76:77], v76, v[10:11]
	v_and_b32_e32 v10, 7, v76
; %bb.588:                              ;   in Loop: Header=BB362_353 Depth=1
	s_or_b32 exec_lo, exec_lo, s16
	v_lshlrev_b32_sdwa v76, v38, v19 dst_sel:DWORD dst_unused:UNUSED_PAD src0_sel:DWORD src1_sel:WORD_1
	v_lshlrev_b32_e32 v10, 20, v10
	v_lshl_add_u32 v21, v21, 23, 0x3c000000
	v_and_b32_e32 v76, 0x80000000, v76
	v_or3_b32 v76, v10, v76, v21
.LBB362_589:                            ;   in Loop: Header=BB362_353 Depth=1
	s_or_b32 exec_lo, exec_lo, s15
.LBB362_590:                            ;   in Loop: Header=BB362_353 Depth=1
	s_or_b32 exec_lo, exec_lo, s14
.LBB362_591:                            ;   in Loop: Header=BB362_353 Depth=1
	s_or_b32 exec_lo, exec_lo, s13
	s_mov_b32 s13, exec_lo
	v_cmpx_lt_u64_e64 s[4:5], v[18:19]
	s_cbranch_execz .LBB362_599
; %bb.592:                              ;   in Loop: Header=BB362_353 Depth=1
	v_cmp_ne_u32_sdwa s0, v19, v34 src0_sel:BYTE_3 src1_sel:DWORD
	v_bfrev_b32_e32 v75, 1
	s_and_saveexec_b32 s14, s0
	s_cbranch_execz .LBB362_598
; %bb.593:                              ;   in Loop: Header=BB362_353 Depth=1
	v_bfe_u32 v21, v19, 24, 7
	v_mov_b32_e32 v75, 0x7f800001
	s_mov_b32 s15, exec_lo
	v_cmpx_ne_u32_e32 0x7f, v21
	s_cbranch_execz .LBB362_597
; %bb.594:                              ;   in Loop: Header=BB362_353 Depth=1
	v_and_b32_sdwa v10, v19, v37 dst_sel:DWORD dst_unused:UNUSED_PAD src0_sel:BYTE_3 src1_sel:DWORD
	v_lshrrev_b32_e32 v18, 3, v21
	s_mov_b32 s16, exec_lo
	v_cmpx_gt_u32_e32 8, v21
; %bb.595:                              ;   in Loop: Header=BB362_353 Depth=1
	v_ffbh_u32_e32 v18, v10
	v_min_u32_e32 v18, 32, v18
	v_subrev_nc_u32_e32 v21, 28, v18
	v_sub_nc_u32_e32 v18, 29, v18
	v_lshlrev_b64 v[77:78], v21, v[10:11]
	v_and_b32_e32 v10, 7, v77
; %bb.596:                              ;   in Loop: Header=BB362_353 Depth=1
	s_or_b32 exec_lo, exec_lo, s16
	v_lshlrev_b32_sdwa v19, v38, v19 dst_sel:DWORD dst_unused:UNUSED_PAD src0_sel:DWORD src1_sel:BYTE_3
	v_lshlrev_b32_e32 v10, 20, v10
	v_lshl_add_u32 v18, v18, 23, 0x3c000000
	v_and_b32_e32 v19, 0x80000000, v19
	v_or3_b32 v75, v10, v19, v18
.LBB362_597:                            ;   in Loop: Header=BB362_353 Depth=1
	s_or_b32 exec_lo, exec_lo, s15
.LBB362_598:                            ;   in Loop: Header=BB362_353 Depth=1
	s_or_b32 exec_lo, exec_lo, s14
.LBB362_599:                            ;   in Loop: Header=BB362_353 Depth=1
	s_or_b32 exec_lo, exec_lo, s13
	v_mul_f32_e32 v10, s6, v20
	v_mul_f32_e32 v18, s6, v74
	;; [unrolled: 1-line block ×5, first 2 shown]
	v_bfe_u32 v20, v10, 16, 1
	v_or_b32_e32 v21, 0x400000, v10
	v_bfe_u32 v72, v18, 16, 1
	v_cmp_u_f32_e64 s0, v10, v10
	v_or_b32_e32 v74, 0x400000, v18
	v_add3_u32 v20, v20, v10, 0x7fff
	v_bfe_u32 v77, v19, 16, 1
	v_add3_u32 v72, v72, v18, 0x7fff
	v_or_b32_e32 v78, 0x400000, v19
	v_bfe_u32 v79, v73, 16, 1
	v_cndmask_b32_e64 v10, v20, v21, s0
	v_cmp_u_f32_e64 s0, v18, v18
	v_add3_u32 v77, v77, v19, 0x7fff
	v_lshrrev_b32_e32 v20, 16, v10
	v_cndmask_b32_e64 v18, v72, v74, s0
	v_cmp_u_f32_e64 s0, v19, v19
	v_mul_f32_e32 v10, s6, v71
	v_add3_u32 v71, v79, v73, 0x7fff
	v_or_b32_e32 v74, 0x400000, v73
	v_lshrrev_b32_e32 v21, 16, v18
	v_cndmask_b32_e64 v19, v77, v78, s0
	v_bfe_u32 v18, v10, 16, 1
	v_cmp_u_f32_e64 s0, v73, v73
	v_or_b32_e32 v73, 0x400000, v10
	v_lshrrev_b32_e32 v72, 16, v19
	v_add3_u32 v18, v18, v10, 0x7fff
	v_cndmask_b32_e64 v19, v71, v74, s0
	v_mul_f32_e32 v71, s6, v76
	v_mul_f32_e32 v74, s6, v75
	v_bfe_u32 v75, v70, 16, 1
	v_cmp_u_f32_e64 s0, v10, v10
	v_bfe_u32 v76, v71, 16, 1
	v_or_b32_e32 v77, 0x400000, v71
	v_or_b32_e32 v78, 0x400000, v74
	v_cndmask_b32_e64 v10, v18, v73, s0
	v_add3_u32 v73, v75, v70, 0x7fff
	v_or_b32_e32 v75, 0x400000, v70
	v_cmp_u_f32_e64 s0, v70, v70
	v_bfe_u32 v18, v74, 16, 1
	v_add3_u32 v76, v76, v71, 0x7fff
	v_cndmask_b32_e64 v70, v73, v75, s0
	v_cmp_u_f32_e64 s0, v71, v71
	v_add3_u32 v18, v18, v74, 0x7fff
	v_lshrrev_b32_e32 v73, 16, v19
	v_lshrrev_b32_e32 v75, 16, v10
	v_cndmask_b32_e64 v71, v76, v77, s0
	v_cmp_u_f32_e64 s0, v74, v74
	v_lshrrev_b32_e32 v74, 16, v70
	v_lshrrev_b32_e32 v70, 16, v71
	v_cndmask_b32_e64 v18, v18, v78, s0
	v_lshrrev_b32_e32 v71, 16, v18
	s_and_saveexec_b32 s13, vcc_lo
	s_cbranch_execz .LBB362_601
; %bb.600:                              ;   in Loop: Header=BB362_353 Depth=1
	v_cmp_gt_i32_e64 s0, s27, v47
	v_cndmask_b32_e64 v74, 0, v74, s0
	v_cmp_gt_i32_e64 s0, s27, v53
	v_cndmask_b32_e64 v75, 0, v75, s0
	;; [unrolled: 2-line block ×8, first 2 shown]
.LBB362_601:                            ;   in Loop: Header=BB362_353 Depth=1
	s_or_b32 exec_lo, exec_lo, s13
	global_load_dwordx2 v[16:17], v[16:17], off offset:1024
	v_mov_b32_e32 v77, 0
	v_mov_b32_e32 v76, 0
	s_waitcnt vmcnt(0)
	v_cmp_ne_u16_sdwa s0, v16, v11 src0_sel:BYTE_0 src1_sel:DWORD
	s_and_saveexec_b32 s13, s0
	s_cbranch_execz .LBB362_607
; %bb.602:                              ;   in Loop: Header=BB362_353 Depth=1
	v_cmp_ne_u16_sdwa s0, v16, v34 src0_sel:BYTE_0 src1_sel:DWORD
	v_bfrev_b32_e32 v76, 1
	s_and_saveexec_b32 s14, s0
	s_cbranch_execz .LBB362_606
; %bb.603:                              ;   in Loop: Header=BB362_353 Depth=1
	v_and_b32_e32 v10, 0x7f, v16
	v_mov_b32_e32 v76, 0x7f800001
	s_mov_b32 s15, exec_lo
	v_cmpx_ne_u32_e32 0x7f, v10
	s_cbranch_execz .LBB362_605
; %bb.604:                              ;   in Loop: Header=BB362_353 Depth=1
	v_and_b32_e32 v18, 7, v16
	v_lshrrev_b32_e32 v19, 3, v10
	v_cmp_gt_u32_e64 s0, 8, v10
	v_ffbh_u32_e32 v18, v18
	v_min_u32_e32 v18, 32, v18
	v_subrev_nc_u32_e32 v76, 28, v18
	v_sub_nc_u32_e32 v18, 29, v18
	v_cndmask_b32_e64 v10, v19, v18, s0
	v_cndmask_b32_e64 v18, 0, v76, s0
	v_lshl_add_u32 v10, v10, 23, 0x3c000000
	v_lshlrev_b64 v[18:19], v18, v[16:17]
	v_lshlrev_b32_e32 v19, 24, v16
	v_lshlrev_b32_e32 v18, 20, v18
	v_and_b32_e32 v19, 0x80000000, v19
	v_and_b32_e32 v18, 0x700000, v18
	v_or3_b32 v76, v18, v19, v10
.LBB362_605:                            ;   in Loop: Header=BB362_353 Depth=1
	s_or_b32 exec_lo, exec_lo, s15
.LBB362_606:                            ;   in Loop: Header=BB362_353 Depth=1
	s_or_b32 exec_lo, exec_lo, s14
.LBB362_607:                            ;   in Loop: Header=BB362_353 Depth=1
	s_or_b32 exec_lo, exec_lo, s13
	v_cmp_ne_u16_sdwa s0, v16, v11 src0_sel:BYTE_1 src1_sel:DWORD
	s_and_saveexec_b32 s13, s0
	s_cbranch_execz .LBB362_615
; %bb.608:                              ;   in Loop: Header=BB362_353 Depth=1
	v_cmp_ne_u16_sdwa s0, v16, v34 src0_sel:BYTE_1 src1_sel:DWORD
	v_bfrev_b32_e32 v77, 1
	s_and_saveexec_b32 s14, s0
	s_cbranch_execz .LBB362_614
; %bb.609:                              ;   in Loop: Header=BB362_353 Depth=1
	v_and_b32_sdwa v10, v35, v16 dst_sel:DWORD dst_unused:UNUSED_PAD src0_sel:DWORD src1_sel:BYTE_1
	v_mov_b32_e32 v77, 0x7f800001
	s_mov_b32 s15, exec_lo
	v_and_b32_e32 v19, 0x7f, v10
	v_cmpx_ne_u32_e32 0x7f, v19
	s_cbranch_execz .LBB362_613
; %bb.610:                              ;   in Loop: Header=BB362_353 Depth=1
	v_and_b32_e32 v10, 7, v10
	v_lshrrev_b32_e32 v18, 3, v19
	s_mov_b32 s16, exec_lo
	v_cmpx_gt_u32_e32 8, v19
; %bb.611:                              ;   in Loop: Header=BB362_353 Depth=1
	v_ffbh_u32_e32 v18, v10
	v_min_u32_e32 v18, 32, v18
	v_subrev_nc_u32_e32 v19, 28, v18
	v_sub_nc_u32_e32 v18, 29, v18
	v_lshlrev_b64 v[77:78], v19, v[10:11]
	v_and_b32_e32 v10, 7, v77
; %bb.612:                              ;   in Loop: Header=BB362_353 Depth=1
	s_or_b32 exec_lo, exec_lo, s16
	v_lshlrev_b32_e32 v19, 16, v16
	v_lshlrev_b32_e32 v10, 20, v10
	v_lshl_add_u32 v18, v18, 23, 0x3c000000
	v_and_b32_e32 v19, 0x80000000, v19
	v_or3_b32 v77, v10, v19, v18
.LBB362_613:                            ;   in Loop: Header=BB362_353 Depth=1
	s_or_b32 exec_lo, exec_lo, s15
.LBB362_614:                            ;   in Loop: Header=BB362_353 Depth=1
	s_or_b32 exec_lo, exec_lo, s14
.LBB362_615:                            ;   in Loop: Header=BB362_353 Depth=1
	s_or_b32 exec_lo, exec_lo, s13
	v_and_b32_sdwa v10, v16, v36 dst_sel:DWORD dst_unused:UNUSED_PAD src0_sel:WORD_1 src1_sel:DWORD
	v_mov_b32_e32 v79, 0
	v_mov_b32_e32 v78, 0
	s_mov_b32 s13, exec_lo
	v_cmpx_ne_u16_e32 0, v10
	s_cbranch_execz .LBB362_623
; %bb.616:                              ;   in Loop: Header=BB362_353 Depth=1
	v_bfrev_b32_e32 v78, 1
	s_mov_b32 s14, exec_lo
	v_cmpx_ne_u16_e32 0x80, v10
	s_cbranch_execz .LBB362_622
; %bb.617:                              ;   in Loop: Header=BB362_353 Depth=1
	v_bfe_u32 v19, v16, 16, 7
	v_mov_b32_e32 v78, 0x7f800001
	s_mov_b32 s15, exec_lo
	v_cmpx_ne_u32_e32 0x7f, v19
	s_cbranch_execz .LBB362_621
; %bb.618:                              ;   in Loop: Header=BB362_353 Depth=1
	v_and_b32_sdwa v10, v16, v37 dst_sel:DWORD dst_unused:UNUSED_PAD src0_sel:WORD_1 src1_sel:DWORD
	v_lshrrev_b32_e32 v18, 3, v19
	s_mov_b32 s16, exec_lo
	v_cmpx_gt_u32_e32 8, v19
; %bb.619:                              ;   in Loop: Header=BB362_353 Depth=1
	v_ffbh_u32_e32 v18, v10
	v_min_u32_e32 v18, 32, v18
	v_subrev_nc_u32_e32 v19, 28, v18
	v_sub_nc_u32_e32 v18, 29, v18
	v_lshlrev_b64 v[80:81], v19, v[10:11]
	v_and_b32_e32 v10, 7, v80
; %bb.620:                              ;   in Loop: Header=BB362_353 Depth=1
	s_or_b32 exec_lo, exec_lo, s16
	v_lshlrev_b32_sdwa v19, v38, v16 dst_sel:DWORD dst_unused:UNUSED_PAD src0_sel:DWORD src1_sel:WORD_1
	v_lshlrev_b32_e32 v10, 20, v10
	v_lshl_add_u32 v18, v18, 23, 0x3c000000
	v_and_b32_e32 v19, 0x80000000, v19
	v_or3_b32 v78, v10, v19, v18
.LBB362_621:                            ;   in Loop: Header=BB362_353 Depth=1
	s_or_b32 exec_lo, exec_lo, s15
.LBB362_622:                            ;   in Loop: Header=BB362_353 Depth=1
	s_or_b32 exec_lo, exec_lo, s14
.LBB362_623:                            ;   in Loop: Header=BB362_353 Depth=1
	s_or_b32 exec_lo, exec_lo, s13
	s_mov_b32 s13, exec_lo
	v_cmpx_lt_u32_e32 0xffffff, v16
	s_cbranch_execz .LBB362_631
; %bb.624:                              ;   in Loop: Header=BB362_353 Depth=1
	v_cmp_ne_u32_sdwa s0, v16, v34 src0_sel:BYTE_3 src1_sel:DWORD
	v_bfrev_b32_e32 v79, 1
	s_and_saveexec_b32 s14, s0
	s_cbranch_execz .LBB362_630
; %bb.625:                              ;   in Loop: Header=BB362_353 Depth=1
	v_bfe_u32 v19, v16, 24, 7
	v_mov_b32_e32 v79, 0x7f800001
	s_mov_b32 s15, exec_lo
	v_cmpx_ne_u32_e32 0x7f, v19
	s_cbranch_execz .LBB362_629
; %bb.626:                              ;   in Loop: Header=BB362_353 Depth=1
	v_and_b32_sdwa v10, v16, v37 dst_sel:DWORD dst_unused:UNUSED_PAD src0_sel:BYTE_3 src1_sel:DWORD
	v_lshrrev_b32_e32 v18, 3, v19
	s_mov_b32 s16, exec_lo
	v_cmpx_gt_u32_e32 8, v19
; %bb.627:                              ;   in Loop: Header=BB362_353 Depth=1
	v_ffbh_u32_e32 v18, v10
	v_min_u32_e32 v18, 32, v18
	v_subrev_nc_u32_e32 v19, 28, v18
	v_sub_nc_u32_e32 v18, 29, v18
	v_lshlrev_b64 v[79:80], v19, v[10:11]
	v_and_b32_e32 v10, 7, v79
; %bb.628:                              ;   in Loop: Header=BB362_353 Depth=1
	s_or_b32 exec_lo, exec_lo, s16
	v_lshlrev_b32_sdwa v19, v38, v16 dst_sel:DWORD dst_unused:UNUSED_PAD src0_sel:DWORD src1_sel:BYTE_3
	v_lshlrev_b32_e32 v10, 20, v10
	v_lshl_add_u32 v18, v18, 23, 0x3c000000
	v_and_b32_e32 v19, 0x80000000, v19
	v_or3_b32 v79, v10, v19, v18
.LBB362_629:                            ;   in Loop: Header=BB362_353 Depth=1
	s_or_b32 exec_lo, exec_lo, s15
.LBB362_630:                            ;   in Loop: Header=BB362_353 Depth=1
	s_or_b32 exec_lo, exec_lo, s14
.LBB362_631:                            ;   in Loop: Header=BB362_353 Depth=1
	s_or_b32 exec_lo, exec_lo, s13
	v_mov_b32_e32 v10, v17
	v_cmp_ne_u16_sdwa s0, v17, v11 src0_sel:BYTE_0 src1_sel:DWORD
	v_mov_b32_e32 v18, 0
	v_mov_b32_e32 v80, 0
	s_and_saveexec_b32 s13, s0
	s_cbranch_execz .LBB362_637
; %bb.632:                              ;   in Loop: Header=BB362_353 Depth=1
	v_cmp_ne_u16_sdwa s0, v17, v34 src0_sel:BYTE_0 src1_sel:DWORD
	v_bfrev_b32_e32 v80, 1
	s_and_saveexec_b32 s14, s0
	s_cbranch_execz .LBB362_636
; %bb.633:                              ;   in Loop: Header=BB362_353 Depth=1
	v_and_b32_e32 v19, 0x7f, v17
	v_mov_b32_e32 v80, 0x7f800001
	s_mov_b32 s15, exec_lo
	v_cmpx_ne_u32_e32 0x7f, v19
	s_cbranch_execz .LBB362_635
; %bb.634:                              ;   in Loop: Header=BB362_353 Depth=1
	v_and_b32_e32 v80, 7, v17
	v_lshrrev_b32_e32 v81, 3, v19
	v_cmp_gt_u32_e64 s0, 8, v19
	v_ffbh_u32_e32 v80, v80
	v_min_u32_e32 v80, 32, v80
	v_subrev_nc_u32_e32 v82, 28, v80
	v_sub_nc_u32_e32 v80, 29, v80
	v_cndmask_b32_e64 v19, v81, v80, s0
	v_cndmask_b32_e64 v80, 0, v82, s0
	v_lshl_add_u32 v19, v19, 23, 0x3c000000
	v_lshlrev_b64 v[80:81], v80, v[10:11]
	v_lshlrev_b32_e32 v81, 24, v10
	v_lshlrev_b32_e32 v80, 20, v80
	v_and_b32_e32 v81, 0x80000000, v81
	v_and_b32_e32 v80, 0x700000, v80
	v_or3_b32 v80, v80, v81, v19
.LBB362_635:                            ;   in Loop: Header=BB362_353 Depth=1
	s_or_b32 exec_lo, exec_lo, s15
.LBB362_636:                            ;   in Loop: Header=BB362_353 Depth=1
	s_or_b32 exec_lo, exec_lo, s14
.LBB362_637:                            ;   in Loop: Header=BB362_353 Depth=1
	s_or_b32 exec_lo, exec_lo, s13
	v_cmp_ne_u16_sdwa s0, v10, v11 src0_sel:BYTE_1 src1_sel:DWORD
	s_and_saveexec_b32 s13, s0
	s_cbranch_execz .LBB362_645
; %bb.638:                              ;   in Loop: Header=BB362_353 Depth=1
	v_cmp_ne_u16_sdwa s0, v10, v34 src0_sel:BYTE_1 src1_sel:DWORD
	v_bfrev_b32_e32 v18, 1
	s_and_saveexec_b32 s14, s0
	s_cbranch_execz .LBB362_644
; %bb.639:                              ;   in Loop: Header=BB362_353 Depth=1
	v_and_b32_sdwa v19, v35, v10 dst_sel:DWORD dst_unused:UNUSED_PAD src0_sel:DWORD src1_sel:BYTE_1
	v_mov_b32_e32 v18, 0x7f800001
	s_mov_b32 s15, exec_lo
	v_and_b32_e32 v82, 0x7f, v19
	v_cmpx_ne_u32_e32 0x7f, v82
	s_cbranch_execz .LBB362_643
; %bb.640:                              ;   in Loop: Header=BB362_353 Depth=1
	v_and_b32_e32 v18, 7, v19
	v_mov_b32_e32 v19, v11
	v_lshrrev_b32_e32 v81, 3, v82
	s_mov_b32 s16, exec_lo
	v_cmpx_gt_u32_e32 8, v82
; %bb.641:                              ;   in Loop: Header=BB362_353 Depth=1
	v_ffbh_u32_e32 v81, v18
	v_min_u32_e32 v81, 32, v81
	v_subrev_nc_u32_e32 v82, 28, v81
	v_sub_nc_u32_e32 v81, 29, v81
	v_lshlrev_b64 v[18:19], v82, v[18:19]
	v_and_b32_e32 v18, 7, v18
; %bb.642:                              ;   in Loop: Header=BB362_353 Depth=1
	s_or_b32 exec_lo, exec_lo, s16
	v_lshlrev_b32_e32 v10, 16, v10
	v_lshlrev_b32_e32 v18, 20, v18
	v_lshl_add_u32 v19, v81, 23, 0x3c000000
	v_and_b32_e32 v10, 0x80000000, v10
	v_or3_b32 v18, v18, v10, v19
.LBB362_643:                            ;   in Loop: Header=BB362_353 Depth=1
	s_or_b32 exec_lo, exec_lo, s15
.LBB362_644:                            ;   in Loop: Header=BB362_353 Depth=1
	s_or_b32 exec_lo, exec_lo, s14
.LBB362_645:                            ;   in Loop: Header=BB362_353 Depth=1
	s_or_b32 exec_lo, exec_lo, s13
	v_and_b32_sdwa v10, v17, v36 dst_sel:DWORD dst_unused:UNUSED_PAD src0_sel:WORD_1 src1_sel:DWORD
	v_mov_b32_e32 v19, 0
	v_mov_b32_e32 v81, 0
	s_mov_b32 s13, exec_lo
	v_cmpx_ne_u16_e32 0, v10
	s_cbranch_execz .LBB362_653
; %bb.646:                              ;   in Loop: Header=BB362_353 Depth=1
	v_bfrev_b32_e32 v81, 1
	s_mov_b32 s14, exec_lo
	v_cmpx_ne_u16_e32 0x80, v10
	s_cbranch_execz .LBB362_652
; %bb.647:                              ;   in Loop: Header=BB362_353 Depth=1
	v_bfe_u32 v82, v17, 16, 7
	v_mov_b32_e32 v81, 0x7f800001
	s_mov_b32 s15, exec_lo
	v_cmpx_ne_u32_e32 0x7f, v82
	s_cbranch_execz .LBB362_651
; %bb.648:                              ;   in Loop: Header=BB362_353 Depth=1
	v_and_b32_sdwa v10, v17, v37 dst_sel:DWORD dst_unused:UNUSED_PAD src0_sel:WORD_1 src1_sel:DWORD
	v_lshrrev_b32_e32 v81, 3, v82
	s_mov_b32 s16, exec_lo
	v_cmpx_gt_u32_e32 8, v82
; %bb.649:                              ;   in Loop: Header=BB362_353 Depth=1
	v_ffbh_u32_e32 v81, v10
	v_min_u32_e32 v81, 32, v81
	v_subrev_nc_u32_e32 v82, 28, v81
	v_sub_nc_u32_e32 v81, 29, v81
	v_lshlrev_b64 v[82:83], v82, v[10:11]
	v_and_b32_e32 v10, 7, v82
; %bb.650:                              ;   in Loop: Header=BB362_353 Depth=1
	s_or_b32 exec_lo, exec_lo, s16
	v_lshlrev_b32_sdwa v82, v38, v17 dst_sel:DWORD dst_unused:UNUSED_PAD src0_sel:DWORD src1_sel:WORD_1
	v_lshlrev_b32_e32 v10, 20, v10
	v_lshl_add_u32 v81, v81, 23, 0x3c000000
	v_and_b32_e32 v82, 0x80000000, v82
	v_or3_b32 v81, v10, v82, v81
.LBB362_651:                            ;   in Loop: Header=BB362_353 Depth=1
	s_or_b32 exec_lo, exec_lo, s15
.LBB362_652:                            ;   in Loop: Header=BB362_353 Depth=1
	s_or_b32 exec_lo, exec_lo, s14
.LBB362_653:                            ;   in Loop: Header=BB362_353 Depth=1
	s_or_b32 exec_lo, exec_lo, s13
	s_mov_b32 s13, exec_lo
	v_cmpx_lt_u64_e64 s[4:5], v[16:17]
	s_cbranch_execz .LBB362_661
; %bb.654:                              ;   in Loop: Header=BB362_353 Depth=1
	v_cmp_ne_u32_sdwa s0, v17, v34 src0_sel:BYTE_3 src1_sel:DWORD
	v_bfrev_b32_e32 v19, 1
	s_and_saveexec_b32 s14, s0
	s_cbranch_execz .LBB362_660
; %bb.655:                              ;   in Loop: Header=BB362_353 Depth=1
	v_bfe_u32 v82, v17, 24, 7
	v_mov_b32_e32 v19, 0x7f800001
	s_mov_b32 s15, exec_lo
	v_cmpx_ne_u32_e32 0x7f, v82
	s_cbranch_execz .LBB362_659
; %bb.656:                              ;   in Loop: Header=BB362_353 Depth=1
	v_and_b32_sdwa v10, v17, v37 dst_sel:DWORD dst_unused:UNUSED_PAD src0_sel:BYTE_3 src1_sel:DWORD
	v_lshrrev_b32_e32 v16, 3, v82
	s_mov_b32 s16, exec_lo
	v_cmpx_gt_u32_e32 8, v82
; %bb.657:                              ;   in Loop: Header=BB362_353 Depth=1
	v_ffbh_u32_e32 v16, v10
	v_min_u32_e32 v16, 32, v16
	v_subrev_nc_u32_e32 v19, 28, v16
	v_sub_nc_u32_e32 v16, 29, v16
	v_lshlrev_b64 v[82:83], v19, v[10:11]
	v_and_b32_e32 v10, 7, v82
; %bb.658:                              ;   in Loop: Header=BB362_353 Depth=1
	s_or_b32 exec_lo, exec_lo, s16
	v_lshlrev_b32_sdwa v17, v38, v17 dst_sel:DWORD dst_unused:UNUSED_PAD src0_sel:DWORD src1_sel:BYTE_3
	v_lshlrev_b32_e32 v10, 20, v10
	v_lshl_add_u32 v16, v16, 23, 0x3c000000
	v_and_b32_e32 v17, 0x80000000, v17
	v_or3_b32 v19, v10, v17, v16
.LBB362_659:                            ;   in Loop: Header=BB362_353 Depth=1
	s_or_b32 exec_lo, exec_lo, s15
.LBB362_660:                            ;   in Loop: Header=BB362_353 Depth=1
	s_or_b32 exec_lo, exec_lo, s14
.LBB362_661:                            ;   in Loop: Header=BB362_353 Depth=1
	s_or_b32 exec_lo, exec_lo, s13
	v_mul_f32_e32 v10, s6, v18
	v_mul_f32_e32 v16, s6, v80
	;; [unrolled: 1-line block ×5, first 2 shown]
	v_bfe_u32 v78, v10, 16, 1
	v_or_b32_e32 v79, 0x400000, v10
	v_bfe_u32 v80, v16, 16, 1
	v_cmp_u_f32_e64 s0, v10, v10
	v_or_b32_e32 v82, 0x400000, v16
	v_add3_u32 v78, v78, v10, 0x7fff
	v_bfe_u32 v83, v17, 16, 1
	v_add3_u32 v80, v80, v16, 0x7fff
	v_or_b32_e32 v84, 0x400000, v17
	v_bfe_u32 v85, v18, 16, 1
	v_cndmask_b32_e64 v10, v78, v79, s0
	v_cmp_u_f32_e64 s0, v16, v16
	v_add3_u32 v83, v83, v17, 0x7fff
	v_or_b32_e32 v79, 0x400000, v18
	v_add3_u32 v78, v85, v18, 0x7fff
	v_mul_f32_e32 v76, s6, v76
	v_cndmask_b32_e64 v16, v80, v82, s0
	v_cmp_u_f32_e64 s0, v17, v17
	v_bfe_u32 v80, v77, 16, 1
	v_mul_f32_e32 v19, s6, v19
	v_lshrrev_b32_e32 v10, 16, v10
	v_lshrrev_b32_e32 v16, 16, v16
	v_cndmask_b32_e64 v17, v83, v84, s0
	v_cmp_u_f32_e64 s0, v18, v18
	v_or_b32_e32 v84, 0x400000, v19
	v_lshrrev_b32_e32 v17, 16, v17
	v_cndmask_b32_e64 v18, v78, v79, s0
	v_mul_f32_e32 v78, s6, v81
	v_add3_u32 v79, v80, v77, 0x7fff
	v_or_b32_e32 v80, 0x400000, v77
	v_bfe_u32 v81, v76, 16, 1
	v_cmp_u_f32_e64 s0, v77, v77
	v_bfe_u32 v82, v78, 16, 1
	v_or_b32_e32 v83, 0x400000, v78
	v_cndmask_b32_e64 v77, v79, v80, s0
	v_add3_u32 v80, v81, v76, 0x7fff
	v_or_b32_e32 v81, 0x400000, v76
	v_cmp_u_f32_e64 s0, v76, v76
	v_bfe_u32 v79, v19, 16, 1
	v_add3_u32 v82, v82, v78, 0x7fff
	v_lshrrev_b32_e32 v76, 16, v18
	v_lshrrev_b32_e32 v77, 16, v77
	v_cndmask_b32_e64 v80, v80, v81, s0
	v_cmp_u_f32_e64 s0, v78, v78
	v_add3_u32 v79, v79, v19, 0x7fff
	v_lshrrev_b32_e32 v78, 16, v80
	v_cndmask_b32_e64 v81, v82, v83, s0
	v_cmp_u_f32_e64 s0, v19, v19
	v_lshrrev_b32_e32 v19, 16, v81
	v_cndmask_b32_e64 v79, v79, v84, s0
	v_lshrrev_b32_e32 v18, 16, v79
	s_and_saveexec_b32 s0, vcc_lo
	s_cbranch_execz .LBB362_352
; %bb.662:                              ;   in Loop: Header=BB362_353 Depth=1
	v_cmp_gt_i32_e32 vcc_lo, s27, v47
	v_cndmask_b32_e32 v78, 0, v78, vcc_lo
	v_cmp_gt_i32_e32 vcc_lo, s27, v53
	v_cndmask_b32_e32 v77, 0, v77, vcc_lo
	v_cmp_gt_i32_e32 vcc_lo, s27, v52
	v_cndmask_b32_e32 v76, 0, v76, vcc_lo
	v_cmp_gt_i32_e32 vcc_lo, s27, v51
	v_cndmask_b32_e32 v17, 0, v17, vcc_lo
	v_cmp_gt_i32_e32 vcc_lo, s27, v50
	v_cndmask_b32_e32 v16, 0, v16, vcc_lo
	v_cmp_gt_i32_e32 vcc_lo, s27, v49
	v_cndmask_b32_e32 v10, 0, v10, vcc_lo
	v_cmp_gt_i32_e32 vcc_lo, s27, v48
	v_cndmask_b32_e32 v19, 0, v19, vcc_lo
	v_cmp_gt_i32_e32 vcc_lo, s27, v32
	v_cndmask_b32_e32 v18, 0, v18, vcc_lo
	s_branch .LBB362_352
.LBB362_663:
	s_or_b32 exec_lo, exec_lo, s12
.LBB362_664:
	s_or_b32 exec_lo, exec_lo, s1
	ds_bpermute_b32 v1, v26, v30
	ds_bpermute_b32 v2, v26, v31
	ds_bpermute_b32 v3, v26, v29
	ds_bpermute_b32 v9, v26, v28
	ds_bpermute_b32 v10, v26, v27
	v_lshrrev_b32_e32 v6, 1, v25
	v_mul_u32_u24_e32 v8, 0x140, v24
	v_and_b32_e32 v11, 0x3c1, v0
	s_mov_b32 s0, exec_lo
	s_waitcnt lgkmcnt(0)
	s_waitcnt_vscnt null, 0x0
	v_lshl_add_u32 v7, v6, 2, 0xc0
	s_barrier
	buffer_gl0_inv
	v_add_f32_e32 v5, v30, v1
	v_add_f32_e32 v4, v31, v2
	;; [unrolled: 1-line block ×5, first 2 shown]
	v_cmpx_eq_u32_e32 64, v11
	s_cbranch_execz .LBB362_666
; %bb.665:
	v_add_nc_u32_e32 v9, v7, v8
	v_add_nc_u32_e32 v10, 0xfffffd80, v9
	;; [unrolled: 1-line block ×6, first 2 shown]
	ds_write_b32 v10, v5
	ds_write_b32 v11, v4
	;; [unrolled: 1-line block ×5, first 2 shown]
.LBB362_666:
	s_or_b32 exec_lo, exec_lo, s0
	v_lshlrev_b32_e32 v6, 2, v6
	s_mov_b32 s1, exec_lo
	v_cmp_eq_u32_e32 vcc_lo, 0, v23
	s_waitcnt lgkmcnt(0)
	s_barrier
	v_add3_u32 v6, 0xc0, v8, v6
	buffer_gl0_inv
	v_cmpx_gt_u32_e32 64, v0
	s_cbranch_execz .LBB362_674
; %bb.667:
	s_and_saveexec_b32 s0, vcc_lo
	s_cbranch_execnz .LBB362_687
; %bb.668:
	s_or_b32 exec_lo, exec_lo, s0
	s_and_saveexec_b32 s0, vcc_lo
	s_cbranch_execnz .LBB362_688
.LBB362_669:
	s_or_b32 exec_lo, exec_lo, s0
	s_and_saveexec_b32 s0, vcc_lo
	s_cbranch_execnz .LBB362_689
.LBB362_670:
	s_or_b32 exec_lo, exec_lo, s0
	s_and_saveexec_b32 s0, vcc_lo
	s_cbranch_execnz .LBB362_690
.LBB362_671:
	s_or_b32 exec_lo, exec_lo, s0
	s_and_saveexec_b32 s0, vcc_lo
	s_cbranch_execz .LBB362_673
.LBB362_672:
	ds_read_b32 v8, v6 offset:256
	s_waitcnt lgkmcnt(0)
	v_add_f32_e32 v1, v1, v8
.LBB362_673:
	s_or_b32 exec_lo, exec_lo, s0
.LBB362_674:
	s_or_b32 exec_lo, exec_lo, s1
	v_and_b32_e32 v8, 0x3e1, v0
	s_mov_b32 s1, exec_lo
	s_barrier
	buffer_gl0_inv
	v_cmpx_eq_u32_e32 32, v8
	s_cbranch_execz .LBB362_676
; %bb.675:
	ds_write2_b32 v7, v5, v4 offset1:16
	ds_write2_b32 v7, v3, v2 offset0:32 offset1:48
	ds_write_b32 v7, v1 offset:256
.LBB362_676:
	s_or_b32 exec_lo, exec_lo, s1
	s_mov_b32 s1, exec_lo
	s_waitcnt lgkmcnt(0)
	s_barrier
	buffer_gl0_inv
	v_cmpx_gt_u32_e32 32, v0
	s_cbranch_execz .LBB362_684
; %bb.677:
	s_and_saveexec_b32 s0, vcc_lo
	s_cbranch_execnz .LBB362_691
; %bb.678:
	s_or_b32 exec_lo, exec_lo, s0
	s_and_saveexec_b32 s0, vcc_lo
	s_cbranch_execnz .LBB362_692
.LBB362_679:
	s_or_b32 exec_lo, exec_lo, s0
	s_and_saveexec_b32 s0, vcc_lo
	s_cbranch_execnz .LBB362_693
.LBB362_680:
	s_or_b32 exec_lo, exec_lo, s0
	s_and_saveexec_b32 s0, vcc_lo
	s_cbranch_execnz .LBB362_694
.LBB362_681:
	s_or_b32 exec_lo, exec_lo, s0
	s_and_saveexec_b32 s0, vcc_lo
	s_cbranch_execz .LBB362_683
.LBB362_682:
	ds_read_b32 v0, v6 offset:256
	s_waitcnt lgkmcnt(0)
	v_add_f32_e32 v1, v1, v0
.LBB362_683:
	s_or_b32 exec_lo, exec_lo, s0
.LBB362_684:
	s_or_b32 exec_lo, exec_lo, s1
	s_barrier
	buffer_gl0_inv
	s_mov_b32 s0, exec_lo
	v_cmpx_eq_u32_e32 0, v8
	s_cbranch_execz .LBB362_686
; %bb.685:
	v_bfe_u32 v0, v5, 16, 1
	v_bfe_u32 v6, v4, 16, 1
	v_or_b32_e32 v7, 0x400000, v5
	v_cmp_u_f32_e32 vcc_lo, v5, v5
	v_or_b32_e32 v9, 0x400000, v4
	v_add3_u32 v0, v0, v5, 0x7fff
	v_add3_u32 v6, v6, v4, 0x7fff
	v_bfe_u32 v5, v3, 16, 1
	s_mul_i32 s0, s2, 0x50
	s_mul_i32 s2, s7, s10
	v_cndmask_b32_e32 v0, v0, v7, vcc_lo
	v_cmp_u_f32_e32 vcc_lo, v4, v4
	s_ashr_i32 s1, s0, 31
	v_bfe_u32 v7, v2, 16, 1
	v_add3_u32 v5, v5, v3, 0x7fff
	s_lshl_b64 s[0:1], s[0:1], 1
	v_cndmask_b32_e32 v4, v6, v9, vcc_lo
	v_or_b32_e32 v9, 0x400000, v3
	v_cmp_u_f32_e32 vcc_lo, v3, v3
	s_add_u32 s4, s24, s0
	s_addc_u32 s1, s25, s1
	s_ashr_i32 s3, s2, 31
	v_bfe_u32 v6, v1, 16, 1
	v_add3_u32 v7, v7, v2, 0x7fff
	v_or_b32_e32 v10, 0x400000, v2
	v_cndmask_b32_e32 v3, v5, v9, vcc_lo
	v_cmp_u_f32_e32 vcc_lo, v2, v2
	s_lshl_b64 s[2:3], s[2:3], 1
	s_mul_i32 s0, s8, 0x50
	s_add_u32 s2, s4, s2
	s_addc_u32 s3, s1, s3
	s_ashr_i32 s1, s0, 31
	v_add3_u32 v6, v6, v1, 0x7fff
	v_or_b32_e32 v11, 0x400000, v1
	v_cndmask_b32_e32 v2, v7, v10, vcc_lo
	v_cmp_u_f32_e32 vcc_lo, v1, v1
	s_lshl_b64 s[0:1], s[0:1], 1
	v_lshlrev_b32_e32 v8, 1, v22
	s_add_u32 s0, s2, s0
	s_addc_u32 s1, s3, s1
	v_cndmask_b32_e32 v1, v6, v11, vcc_lo
	global_store_short_d16_hi v8, v0, s[0:1]
	global_store_short_d16_hi v8, v4, s[0:1] offset:32
	global_store_short_d16_hi v8, v3, s[0:1] offset:64
	;; [unrolled: 1-line block ×4, first 2 shown]
.LBB362_686:
	s_endpgm
.LBB362_687:
	ds_read_b32 v8, v6
	s_waitcnt lgkmcnt(0)
	v_add_f32_e32 v5, v5, v8
	s_or_b32 exec_lo, exec_lo, s0
	s_and_saveexec_b32 s0, vcc_lo
	s_cbranch_execz .LBB362_669
.LBB362_688:
	ds_read_b32 v8, v6 offset:64
	s_waitcnt lgkmcnt(0)
	v_add_f32_e32 v4, v4, v8
	s_or_b32 exec_lo, exec_lo, s0
	s_and_saveexec_b32 s0, vcc_lo
	s_cbranch_execz .LBB362_670
.LBB362_689:
	ds_read_b32 v8, v6 offset:128
	s_waitcnt lgkmcnt(0)
	v_add_f32_e32 v3, v3, v8
	s_or_b32 exec_lo, exec_lo, s0
	s_and_saveexec_b32 s0, vcc_lo
	s_cbranch_execz .LBB362_671
.LBB362_690:
	ds_read_b32 v8, v6 offset:192
	s_waitcnt lgkmcnt(0)
	v_add_f32_e32 v2, v2, v8
	s_or_b32 exec_lo, exec_lo, s0
	s_and_saveexec_b32 s0, vcc_lo
	s_cbranch_execnz .LBB362_672
	s_branch .LBB362_673
.LBB362_691:
	ds_read_b32 v0, v6
	s_waitcnt lgkmcnt(0)
	v_add_f32_e32 v5, v5, v0
	s_or_b32 exec_lo, exec_lo, s0
	s_and_saveexec_b32 s0, vcc_lo
	s_cbranch_execz .LBB362_679
.LBB362_692:
	ds_read_b32 v0, v6 offset:64
	s_waitcnt lgkmcnt(0)
	v_add_f32_e32 v4, v4, v0
	s_or_b32 exec_lo, exec_lo, s0
	s_and_saveexec_b32 s0, vcc_lo
	s_cbranch_execz .LBB362_680
.LBB362_693:
	ds_read_b32 v0, v6 offset:128
	s_waitcnt lgkmcnt(0)
	v_add_f32_e32 v3, v3, v0
	s_or_b32 exec_lo, exec_lo, s0
	s_and_saveexec_b32 s0, vcc_lo
	s_cbranch_execz .LBB362_681
.LBB362_694:
	ds_read_b32 v0, v6 offset:192
	s_waitcnt lgkmcnt(0)
	v_add_f32_e32 v2, v2, v0
	s_or_b32 exec_lo, exec_lo, s0
	s_and_saveexec_b32 s0, vcc_lo
	s_cbranch_execnz .LBB362_682
	s_branch .LBB362_683
	.section	.rodata,"a",@progbits
	.p2align	6, 0x0
	.amdhsa_kernel _ZN4vllm25paged_attention_v2_kernelI14__hip_bfloat16hLi80ELi16ELi128ELNS_18Fp8KVCacheDataTypeE1ELb0ELi512EEEvPfS3_PT_PKS4_PKT0_SA_ifPKiSC_iPKfiiiSE_SE_iiiii
		.amdhsa_group_segment_fixed_size 192
		.amdhsa_private_segment_fixed_size 0
		.amdhsa_kernarg_size 400
		.amdhsa_user_sgpr_count 6
		.amdhsa_user_sgpr_private_segment_buffer 1
		.amdhsa_user_sgpr_dispatch_ptr 0
		.amdhsa_user_sgpr_queue_ptr 0
		.amdhsa_user_sgpr_kernarg_segment_ptr 1
		.amdhsa_user_sgpr_dispatch_id 0
		.amdhsa_user_sgpr_flat_scratch_init 0
		.amdhsa_user_sgpr_private_segment_size 0
		.amdhsa_wavefront_size32 1
		.amdhsa_uses_dynamic_stack 0
		.amdhsa_system_sgpr_private_segment_wavefront_offset 0
		.amdhsa_system_sgpr_workgroup_id_x 1
		.amdhsa_system_sgpr_workgroup_id_y 1
		.amdhsa_system_sgpr_workgroup_id_z 1
		.amdhsa_system_sgpr_workgroup_info 0
		.amdhsa_system_vgpr_workitem_id 0
		.amdhsa_next_free_vgpr 110
		.amdhsa_next_free_sgpr 42
		.amdhsa_reserve_vcc 1
		.amdhsa_reserve_flat_scratch 0
		.amdhsa_float_round_mode_32 0
		.amdhsa_float_round_mode_16_64 0
		.amdhsa_float_denorm_mode_32 3
		.amdhsa_float_denorm_mode_16_64 3
		.amdhsa_dx10_clamp 1
		.amdhsa_ieee_mode 1
		.amdhsa_fp16_overflow 0
		.amdhsa_workgroup_processor_mode 1
		.amdhsa_memory_ordered 1
		.amdhsa_forward_progress 1
		.amdhsa_shared_vgpr_count 0
		.amdhsa_exception_fp_ieee_invalid_op 0
		.amdhsa_exception_fp_denorm_src 0
		.amdhsa_exception_fp_ieee_div_zero 0
		.amdhsa_exception_fp_ieee_overflow 0
		.amdhsa_exception_fp_ieee_underflow 0
		.amdhsa_exception_fp_ieee_inexact 0
		.amdhsa_exception_int_div_zero 0
	.end_amdhsa_kernel
	.section	.text._ZN4vllm25paged_attention_v2_kernelI14__hip_bfloat16hLi80ELi16ELi128ELNS_18Fp8KVCacheDataTypeE1ELb0ELi512EEEvPfS3_PT_PKS4_PKT0_SA_ifPKiSC_iPKfiiiSE_SE_iiiii,"axG",@progbits,_ZN4vllm25paged_attention_v2_kernelI14__hip_bfloat16hLi80ELi16ELi128ELNS_18Fp8KVCacheDataTypeE1ELb0ELi512EEEvPfS3_PT_PKS4_PKT0_SA_ifPKiSC_iPKfiiiSE_SE_iiiii,comdat
.Lfunc_end362:
	.size	_ZN4vllm25paged_attention_v2_kernelI14__hip_bfloat16hLi80ELi16ELi128ELNS_18Fp8KVCacheDataTypeE1ELb0ELi512EEEvPfS3_PT_PKS4_PKT0_SA_ifPKiSC_iPKfiiiSE_SE_iiiii, .Lfunc_end362-_ZN4vllm25paged_attention_v2_kernelI14__hip_bfloat16hLi80ELi16ELi128ELNS_18Fp8KVCacheDataTypeE1ELb0ELi512EEEvPfS3_PT_PKS4_PKT0_SA_ifPKiSC_iPKfiiiSE_SE_iiiii
                                        ; -- End function
	.set _ZN4vllm25paged_attention_v2_kernelI14__hip_bfloat16hLi80ELi16ELi128ELNS_18Fp8KVCacheDataTypeE1ELb0ELi512EEEvPfS3_PT_PKS4_PKT0_SA_ifPKiSC_iPKfiiiSE_SE_iiiii.num_vgpr, 110
	.set _ZN4vllm25paged_attention_v2_kernelI14__hip_bfloat16hLi80ELi16ELi128ELNS_18Fp8KVCacheDataTypeE1ELb0ELi512EEEvPfS3_PT_PKS4_PKT0_SA_ifPKiSC_iPKfiiiSE_SE_iiiii.num_agpr, 0
	.set _ZN4vllm25paged_attention_v2_kernelI14__hip_bfloat16hLi80ELi16ELi128ELNS_18Fp8KVCacheDataTypeE1ELb0ELi512EEEvPfS3_PT_PKS4_PKT0_SA_ifPKiSC_iPKfiiiSE_SE_iiiii.numbered_sgpr, 42
	.set _ZN4vllm25paged_attention_v2_kernelI14__hip_bfloat16hLi80ELi16ELi128ELNS_18Fp8KVCacheDataTypeE1ELb0ELi512EEEvPfS3_PT_PKS4_PKT0_SA_ifPKiSC_iPKfiiiSE_SE_iiiii.num_named_barrier, 0
	.set _ZN4vllm25paged_attention_v2_kernelI14__hip_bfloat16hLi80ELi16ELi128ELNS_18Fp8KVCacheDataTypeE1ELb0ELi512EEEvPfS3_PT_PKS4_PKT0_SA_ifPKiSC_iPKfiiiSE_SE_iiiii.private_seg_size, 0
	.set _ZN4vllm25paged_attention_v2_kernelI14__hip_bfloat16hLi80ELi16ELi128ELNS_18Fp8KVCacheDataTypeE1ELb0ELi512EEEvPfS3_PT_PKS4_PKT0_SA_ifPKiSC_iPKfiiiSE_SE_iiiii.uses_vcc, 1
	.set _ZN4vllm25paged_attention_v2_kernelI14__hip_bfloat16hLi80ELi16ELi128ELNS_18Fp8KVCacheDataTypeE1ELb0ELi512EEEvPfS3_PT_PKS4_PKT0_SA_ifPKiSC_iPKfiiiSE_SE_iiiii.uses_flat_scratch, 0
	.set _ZN4vllm25paged_attention_v2_kernelI14__hip_bfloat16hLi80ELi16ELi128ELNS_18Fp8KVCacheDataTypeE1ELb0ELi512EEEvPfS3_PT_PKS4_PKT0_SA_ifPKiSC_iPKfiiiSE_SE_iiiii.has_dyn_sized_stack, 0
	.set _ZN4vllm25paged_attention_v2_kernelI14__hip_bfloat16hLi80ELi16ELi128ELNS_18Fp8KVCacheDataTypeE1ELb0ELi512EEEvPfS3_PT_PKS4_PKT0_SA_ifPKiSC_iPKfiiiSE_SE_iiiii.has_recursion, 0
	.set _ZN4vllm25paged_attention_v2_kernelI14__hip_bfloat16hLi80ELi16ELi128ELNS_18Fp8KVCacheDataTypeE1ELb0ELi512EEEvPfS3_PT_PKS4_PKT0_SA_ifPKiSC_iPKfiiiSE_SE_iiiii.has_indirect_call, 0
	.section	.AMDGPU.csdata,"",@progbits
; Kernel info:
; codeLenInByte = 25860
; TotalNumSgprs: 44
; NumVgprs: 110
; ScratchSize: 0
; MemoryBound: 0
; FloatMode: 240
; IeeeMode: 1
; LDSByteSize: 192 bytes/workgroup (compile time only)
; SGPRBlocks: 0
; VGPRBlocks: 13
; NumSGPRsForWavesPerEU: 44
; NumVGPRsForWavesPerEU: 110
; Occupancy: 9
; WaveLimiterHint : 1
; COMPUTE_PGM_RSRC2:SCRATCH_EN: 0
; COMPUTE_PGM_RSRC2:USER_SGPR: 6
; COMPUTE_PGM_RSRC2:TRAP_HANDLER: 0
; COMPUTE_PGM_RSRC2:TGID_X_EN: 1
; COMPUTE_PGM_RSRC2:TGID_Y_EN: 1
; COMPUTE_PGM_RSRC2:TGID_Z_EN: 1
; COMPUTE_PGM_RSRC2:TIDIG_COMP_CNT: 0
	.section	.text._ZN4vllm25paged_attention_v2_kernelI14__hip_bfloat16hLi96ELi16ELi128ELNS_18Fp8KVCacheDataTypeE1ELb0ELi512EEEvPfS3_PT_PKS4_PKT0_SA_ifPKiSC_iPKfiiiSE_SE_iiiii,"axG",@progbits,_ZN4vllm25paged_attention_v2_kernelI14__hip_bfloat16hLi96ELi16ELi128ELNS_18Fp8KVCacheDataTypeE1ELb0ELi512EEEvPfS3_PT_PKS4_PKT0_SA_ifPKiSC_iPKfiiiSE_SE_iiiii,comdat
	.protected	_ZN4vllm25paged_attention_v2_kernelI14__hip_bfloat16hLi96ELi16ELi128ELNS_18Fp8KVCacheDataTypeE1ELb0ELi512EEEvPfS3_PT_PKS4_PKT0_SA_ifPKiSC_iPKfiiiSE_SE_iiiii ; -- Begin function _ZN4vllm25paged_attention_v2_kernelI14__hip_bfloat16hLi96ELi16ELi128ELNS_18Fp8KVCacheDataTypeE1ELb0ELi512EEEvPfS3_PT_PKS4_PKT0_SA_ifPKiSC_iPKfiiiSE_SE_iiiii
	.globl	_ZN4vllm25paged_attention_v2_kernelI14__hip_bfloat16hLi96ELi16ELi128ELNS_18Fp8KVCacheDataTypeE1ELb0ELi512EEEvPfS3_PT_PKS4_PKT0_SA_ifPKiSC_iPKfiiiSE_SE_iiiii
	.p2align	8
	.type	_ZN4vllm25paged_attention_v2_kernelI14__hip_bfloat16hLi96ELi16ELi128ELNS_18Fp8KVCacheDataTypeE1ELb0ELi512EEEvPfS3_PT_PKS4_PKT0_SA_ifPKiSC_iPKfiiiSE_SE_iiiii,@function
_ZN4vllm25paged_attention_v2_kernelI14__hip_bfloat16hLi96ELi16ELi128ELNS_18Fp8KVCacheDataTypeE1ELb0ELi512EEEvPfS3_PT_PKS4_PKT0_SA_ifPKiSC_iPKfiiiSE_SE_iiiii: ; @_ZN4vllm25paged_attention_v2_kernelI14__hip_bfloat16hLi96ELi16ELi128ELNS_18Fp8KVCacheDataTypeE1ELb0ELi512EEEvPfS3_PT_PKS4_PKT0_SA_ifPKiSC_iPKfiiiSE_SE_iiiii
; %bb.0:
	s_load_dwordx2 s[0:1], s[4:5], 0x40
	s_mov_b32 s26, s7
	s_ashr_i32 s27, s7, 31
	s_lshl_b64 s[2:3], s[26:27], 2
	s_waitcnt lgkmcnt(0)
	s_add_u32 s0, s0, s2
	s_addc_u32 s1, s1, s3
	s_lshl_b32 s33, s8, 9
	s_load_dword s27, s[0:1], 0x0
	s_waitcnt lgkmcnt(0)
	s_cmp_ge_i32 s33, s27
	s_cbranch_scc1 .LBB363_814
; %bb.1:
	s_clause 0x1
	s_load_dword s9, s[4:5], 0x90
	s_load_dwordx2 s[36:37], s[4:5], 0x30
	s_waitcnt lgkmcnt(0)
	s_abs_i32 s3, s9
	s_abs_i32 s0, s36
	v_cvt_f32_u32_e32 v1, s0
	s_sub_i32 s2, 0, s0
	v_rcp_iflag_f32_e32 v1, v1
	v_mul_f32_e32 v1, 0x4f7ffffe, v1
	v_cvt_u32_f32_e32 v1, v1
	v_readfirstlane_b32 s1, v1
	s_mul_i32 s2, s2, s1
	s_mul_hi_u32 s2, s1, s2
	s_add_i32 s1, s1, s2
	s_xor_b32 s2, s9, s36
	s_mul_hi_u32 s1, s3, s1
	s_ashr_i32 s2, s2, 31
	s_mul_i32 s7, s1, s0
	s_mov_b32 s36, 0
	s_sub_i32 s3, s3, s7
	s_add_i32 s7, s1, 1
	s_sub_i32 s10, s3, s0
	s_cmp_ge_u32 s3, s0
	s_cselect_b32 s1, s7, s1
	s_cselect_b32 s3, s10, s3
	s_add_i32 s7, s1, 1
	s_cmp_ge_u32 s3, s0
	s_cselect_b32 s0, s7, s1
	s_abs_i32 s16, s6
	s_xor_b32 s0, s0, s2
	s_sub_i32 s10, s0, s2
	s_load_dwordx2 s[0:1], s[4:5], 0x50
	s_abs_i32 s2, s10
	v_cvt_f32_u32_e32 v1, s2
	s_sub_i32 s7, 0, s2
	v_rcp_iflag_f32_e32 v1, v1
	v_mul_f32_e32 v1, 0x4f7ffffe, v1
	v_cvt_u32_f32_e32 v1, v1
	v_readfirstlane_b32 s3, v1
	s_mul_i32 s7, s7, s3
	s_mul_hi_u32 s7, s3, s7
	s_add_i32 s3, s3, s7
	s_waitcnt lgkmcnt(0)
	s_cmp_eq_u64 s[0:1], 0
	s_mul_hi_u32 s3, s16, s3
	s_cbranch_scc1 .LBB363_3
; %bb.2:
	s_ashr_i32 s7, s6, 31
	s_lshl_b64 s[12:13], s[6:7], 2
	s_add_u32 s0, s0, s12
	s_addc_u32 s1, s1, s13
	s_load_dword s36, s[0:1], 0x0
.LBB363_3:
	s_load_dwordx4 s[12:15], s[4:5], 0x58
	v_lshrrev_b32_e32 v22, 1, v0
	v_and_b32_e32 v23, 1, v0
	v_lshlrev_b32_e32 v11, 3, v0
	s_ashr_i32 s0, s6, 31
	s_ashr_i32 s1, s10, 31
	s_mul_i32 s10, s6, 0x60
	s_mov_b32 s7, exec_lo
	v_cmpx_gt_u32_e32 24, v0
	s_cbranch_execz .LBB363_5
; %bb.4:
	s_load_dwordx2 s[18:19], s[4:5], 0x18
	s_waitcnt lgkmcnt(0)
	s_mul_i32 s20, s12, s26
	v_lshlrev_b32_e32 v3, 3, v22
	s_ashr_i32 s21, s20, 31
	s_lshl_b64 s[20:21], s[20:21], 1
	v_mad_u32_u24 v3, 0x60, v23, v3
	s_add_u32 s12, s18, s20
	s_addc_u32 s15, s19, s21
	s_ashr_i32 s11, s10, 31
	s_lshl_b64 s[18:19], s[10:11], 1
	s_add_u32 s18, s12, s18
	s_addc_u32 s19, s15, s19
	global_load_dwordx2 v[1:2], v11, s[18:19]
	s_waitcnt vmcnt(0)
	ds_write_b64 v3, v[1:2]
.LBB363_5:
	s_or_b32 exec_lo, exec_lo, s7
	s_add_i32 s7, s27, 15
	s_clause 0x1
	s_load_dwordx2 s[28:29], s[4:5], 0x38
	s_load_dword s17, s[4:5], 0x48
	s_ashr_i32 s11, s7, 31
	s_waitcnt lgkmcnt(0)
	s_lshl_b32 s15, s8, 5
	s_lshr_b32 s11, s11, 28
	s_xor_b32 s0, s0, s1
	s_add_i32 s7, s7, s11
	s_add_i32 s1, s15, 32
	s_ashr_i32 s12, s7, 4
	s_mul_i32 s7, s3, s2
	s_min_i32 s11, s1, s12
	s_sub_i32 s1, s16, s7
	s_add_i32 s7, s3, 1
	s_sub_i32 s16, s1, s2
	s_cmp_ge_u32 s1, s2
	v_lshrrev_b32_e32 v24, 5, v0
	s_cselect_b32 s3, s7, s3
	s_cselect_b32 s1, s16, s1
	s_add_i32 s7, s3, 1
	s_cmp_ge_u32 s1, s2
	v_or_b32_e32 v9, s15, v24
	s_cselect_b32 s1, s7, s3
	v_mbcnt_lo_u32_b32 v12, -1, 0
	s_xor_b32 s1, s1, s0
	s_mul_i32 s30, s17, s26
	s_sub_i32 s1, s1, s0
	v_cmp_gt_i32_e64 s0, s11, v9
	s_ashr_i32 s31, s30, 31
	s_mov_b32 s2, exec_lo
	s_barrier
	buffer_gl0_inv
                                        ; implicit-def: $vgpr2
                                        ; implicit-def: $vgpr13
	v_cmpx_le_i32_e64 s11, v9
	s_xor_b32 s2, exec_lo, s2
; %bb.6:
	v_mov_b32_e32 v2, 0
	v_mbcnt_lo_u32_b32 v12, -1, 0
	v_mov_b32_e32 v13, 32
; %bb.7:
	s_or_saveexec_b32 s38, s2
	s_clause 0x4
	s_load_dwordx4 s[20:23], s[4:5], 0x0
	s_load_dwordx2 s[24:25], s[4:5], 0x10
	s_load_dword s7, s[4:5], 0x98
	s_load_dwordx2 s[34:35], s[4:5], 0x28
	s_load_dwordx4 s[16:19], s[4:5], 0x68
	v_mov_b32_e32 v65, 0xff7fffff
	v_ashrrev_i32_e32 v10, 31, v9
	s_mul_i32 s14, s1, s14
	s_xor_b32 exec_lo, exec_lo, s38
	s_cbranch_execz .LBB363_397
; %bb.8:
	v_mul_u32_u24_e32 v13, 0x60, v23
	s_load_dwordx2 s[2:3], s[4:5], 0x20
	v_bfe_u32 v65, v0, 1, 4
	s_ashr_i32 s1, s14, 31
	v_mov_b32_e32 v69, 0x80
	ds_read_b128 v[1:4], v13
	ds_read_b128 v[5:8], v13 offset:16
	ds_read_b128 v[37:40], v13 offset:32
	;; [unrolled: 1-line block ×4, first 2 shown]
	v_lshlrev_b32_e32 v66, 4, v65
	v_mov_b32_e32 v70, 0xffff
	v_mov_b32_e32 v71, 0xff
	v_mov_b32_e32 v72, 7
	v_mov_b32_e32 v73, 24
	v_mov_b32_e32 v74, v9
	s_waitcnt lgkmcnt(0)
	s_add_u32 s5, s2, s14
	s_addc_u32 s1, s3, s1
	s_lshl_b64 s[2:3], s[30:31], 2
	v_lshlrev_b32_e32 v14, 16, v1
	v_and_b32_e32 v15, 0xffff0000, v1
	v_lshlrev_b32_e32 v16, 16, v2
	v_and_b32_e32 v17, 0xffff0000, v2
	;; [unrolled: 2-line block ×4, first 2 shown]
	ds_read_b128 v[1:4], v13 offset:80
	s_sub_i32 s4, 1, s27
	s_add_u32 s2, s28, s2
	s_addc_u32 s3, s29, s3
	v_lshlrev_b32_e32 v25, 16, v5
	v_and_b32_e32 v26, 0xffff0000, v5
	v_lshlrev_b32_e32 v31, 16, v8
	v_and_b32_e32 v32, 0xffff0000, v8
	v_lshlrev_b32_e32 v8, 2, v65
	v_lshlrev_b32_e32 v27, 16, v6
	v_and_b32_e32 v28, 0xffff0000, v6
	v_lshlrev_b32_e32 v29, 16, v7
	v_and_b32_e32 v30, 0xffff0000, v7
	v_lshlrev_b32_e32 v7, 4, v24
	v_lshlrev_b32_e32 v33, 16, v37
	v_and_b32_e32 v34, 0xffff0000, v37
	v_lshlrev_b32_e32 v35, 16, v38
	v_and_b32_e32 v36, 0xffff0000, v38
	v_lshlrev_b32_e32 v37, 16, v39
	v_and_b32_e32 v38, 0xffff0000, v39
	s_waitcnt lgkmcnt(0)
	v_lshlrev_b32_e32 v57, 16, v1
	v_and_b32_e32 v58, 0xffff0000, v1
	v_lshlrev_b32_e32 v59, 16, v2
	v_and_b32_e32 v60, 0xffff0000, v2
	v_lshlrev_b64 v[1:2], 2, v[9:10]
	v_lshlrev_b32_e32 v61, 16, v3
	v_and_b32_e32 v62, 0xffff0000, v3
	v_lshlrev_b32_e32 v63, 16, v4
	v_and_b32_e32 v64, 0xffff0000, v4
	v_lshlrev_b32_e32 v39, 16, v40
	v_add_co_u32 v3, vcc_lo, s2, v1
	v_add_co_ci_u32_e64 v4, null, s3, v2, vcc_lo
	v_xor_b32_e32 v2, 1, v12
	v_add_co_u32 v5, s2, s5, v66
	s_load_dword s5, s[16:17], 0x0
	v_lshlrev_b32_e32 v1, 2, v23
	v_cmp_gt_i32_e32 vcc_lo, 32, v2
	v_add_co_ci_u32_e64 v6, null, s1, 0, s2
	v_and_b32_e32 v40, 0xffff0000, v40
	v_lshlrev_b32_e32 v41, 16, v45
	v_cndmask_b32_e32 v2, v12, v2, vcc_lo
	v_add_co_u32 v5, vcc_lo, v5, v1
	v_lshl_or_b32 v1, v24, 6, v8
	v_and_b32_e32 v42, 0xffff0000, v45
	v_lshlrev_b32_e32 v43, 16, v46
	v_and_b32_e32 v44, 0xffff0000, v46
	v_lshlrev_b32_e32 v45, 16, v47
	;; [unrolled: 2-line block ×7, first 2 shown]
	v_and_b32_e32 v56, 0xffff0000, v56
	v_add_co_ci_u32_e64 v6, null, 0, v6, vcc_lo
	v_add3_u32 v66, s33, v7, v65
	v_lshlrev_b32_e32 v67, 2, v2
	v_cmp_neq_f32_e64 s1, s36, 0
	v_add_nc_u32_e32 v68, 0xe0, v1
	v_mov_b32_e32 v13, 32
	v_mov_b32_e32 v65, 0xff7fffff
	;; [unrolled: 1-line block ×3, first 2 shown]
	s_mov_b32 s17, s13
	s_mov_b32 s16, 0
	v_cmp_eq_u32_e32 vcc_lo, 0, v23
	s_branch .LBB363_10
.LBB363_9:                              ;   in Loop: Header=BB363_10 Depth=1
	s_or_b32 exec_lo, exec_lo, s3
	v_add_nc_u32_e32 v74, 4, v74
	v_add_co_u32 v3, s3, v3, 16
	v_add_nc_u32_e32 v66, 64, v66
	v_add_nc_u32_e32 v68, 0x100, v68
	v_cmp_le_i32_e64 s2, s11, v74
	v_add_co_ci_u32_e64 v4, null, 0, v4, s3
	s_or_b32 s16, s2, s16
	s_andn2_b32 exec_lo, exec_lo, s16
	s_cbranch_execz .LBB363_396
.LBB363_10:                             ; =>This Inner Loop Header: Depth=1
	global_load_dword v1, v[3:4], off
	v_mov_b32_e32 v75, 0
	s_waitcnt vmcnt(0) lgkmcnt(0)
	v_mad_i64_i32 v[7:8], null, v1, s17, v[5:6]
	global_load_dword v79, v[7:8], off
	s_waitcnt vmcnt(0)
	v_cmp_ne_u16_sdwa s2, v79, v2 src0_sel:BYTE_0 src1_sel:DWORD
	s_and_saveexec_b32 s3, s2
	s_cbranch_execz .LBB363_18
; %bb.11:                               ;   in Loop: Header=BB363_10 Depth=1
	v_cmp_ne_u16_sdwa s2, v79, v69 src0_sel:BYTE_0 src1_sel:DWORD
	v_bfrev_b32_e32 v75, 1
	s_and_saveexec_b32 s39, s2
	s_cbranch_execz .LBB363_17
; %bb.12:                               ;   in Loop: Header=BB363_10 Depth=1
	v_and_b32_e32 v76, 0x7f, v79
	v_mov_b32_e32 v75, 0x7f800001
	s_mov_b32 s40, exec_lo
	v_cmpx_ne_u32_e32 0x7f, v76
	s_cbranch_execz .LBB363_16
; %bb.13:                               ;   in Loop: Header=BB363_10 Depth=1
	v_and_b32_e32 v1, 7, v79
	v_lshrrev_b32_e32 v75, 3, v76
	s_mov_b32 s41, exec_lo
	v_cmpx_gt_u32_e32 8, v76
; %bb.14:                               ;   in Loop: Header=BB363_10 Depth=1
	v_ffbh_u32_e32 v75, v1
	v_min_u32_e32 v75, 32, v75
	v_subrev_nc_u32_e32 v76, 28, v75
	v_sub_nc_u32_e32 v75, 29, v75
	v_lshlrev_b64 v[76:77], v76, v[1:2]
	v_and_b32_e32 v1, 7, v76
; %bb.15:                               ;   in Loop: Header=BB363_10 Depth=1
	s_or_b32 exec_lo, exec_lo, s41
	v_lshlrev_b32_e32 v76, 24, v79
	v_lshlrev_b32_e32 v1, 20, v1
	v_lshl_add_u32 v75, v75, 23, 0x3c000000
	v_and_b32_e32 v76, 0x80000000, v76
	v_or3_b32 v75, v1, v76, v75
.LBB363_16:                             ;   in Loop: Header=BB363_10 Depth=1
	s_or_b32 exec_lo, exec_lo, s40
.LBB363_17:                             ;   in Loop: Header=BB363_10 Depth=1
	s_or_b32 exec_lo, exec_lo, s39
.LBB363_18:                             ;   in Loop: Header=BB363_10 Depth=1
	s_or_b32 exec_lo, exec_lo, s3
	v_cmp_ne_u16_sdwa s2, v79, v2 src0_sel:BYTE_1 src1_sel:DWORD
	v_mov_b32_e32 v76, 0
	s_and_saveexec_b32 s3, s2
	s_cbranch_execz .LBB363_26
; %bb.19:                               ;   in Loop: Header=BB363_10 Depth=1
	v_cmp_ne_u16_sdwa s2, v79, v69 src0_sel:BYTE_1 src1_sel:DWORD
	v_bfrev_b32_e32 v76, 1
	s_and_saveexec_b32 s39, s2
	s_cbranch_execz .LBB363_25
; %bb.20:                               ;   in Loop: Header=BB363_10 Depth=1
	v_and_b32_sdwa v1, v70, v79 dst_sel:DWORD dst_unused:UNUSED_PAD src0_sel:DWORD src1_sel:BYTE_1
	v_mov_b32_e32 v76, 0x7f800001
	s_mov_b32 s40, exec_lo
	v_and_b32_e32 v77, 0x7f, v1
	v_cmpx_ne_u32_e32 0x7f, v77
	s_cbranch_execz .LBB363_24
; %bb.21:                               ;   in Loop: Header=BB363_10 Depth=1
	v_and_b32_e32 v1, 7, v1
	v_lshrrev_b32_e32 v76, 3, v77
	s_mov_b32 s41, exec_lo
	v_cmpx_gt_u32_e32 8, v77
; %bb.22:                               ;   in Loop: Header=BB363_10 Depth=1
	v_ffbh_u32_e32 v76, v1
	v_min_u32_e32 v76, 32, v76
	v_subrev_nc_u32_e32 v77, 28, v76
	v_sub_nc_u32_e32 v76, 29, v76
	v_lshlrev_b64 v[77:78], v77, v[1:2]
	v_and_b32_e32 v1, 7, v77
; %bb.23:                               ;   in Loop: Header=BB363_10 Depth=1
	s_or_b32 exec_lo, exec_lo, s41
	v_lshlrev_b32_e32 v77, 16, v79
	v_lshlrev_b32_e32 v1, 20, v1
	v_lshl_add_u32 v76, v76, 23, 0x3c000000
	v_and_b32_e32 v77, 0x80000000, v77
	v_or3_b32 v76, v1, v77, v76
.LBB363_24:                             ;   in Loop: Header=BB363_10 Depth=1
	s_or_b32 exec_lo, exec_lo, s40
.LBB363_25:                             ;   in Loop: Header=BB363_10 Depth=1
	s_or_b32 exec_lo, exec_lo, s39
.LBB363_26:                             ;   in Loop: Header=BB363_10 Depth=1
	s_or_b32 exec_lo, exec_lo, s3
	v_and_b32_sdwa v1, v79, v71 dst_sel:DWORD dst_unused:UNUSED_PAD src0_sel:WORD_1 src1_sel:DWORD
	v_mov_b32_e32 v77, 0
	v_mov_b32_e32 v78, 0
	s_mov_b32 s3, exec_lo
	v_cmpx_ne_u16_e32 0, v1
	s_cbranch_execz .LBB363_34
; %bb.27:                               ;   in Loop: Header=BB363_10 Depth=1
	v_bfrev_b32_e32 v78, 1
	s_mov_b32 s39, exec_lo
	v_cmpx_ne_u16_e32 0x80, v1
	s_cbranch_execz .LBB363_33
; %bb.28:                               ;   in Loop: Header=BB363_10 Depth=1
	v_bfe_u32 v80, v79, 16, 7
	v_mov_b32_e32 v78, 0x7f800001
	s_mov_b32 s40, exec_lo
	v_cmpx_ne_u32_e32 0x7f, v80
	s_cbranch_execz .LBB363_32
; %bb.29:                               ;   in Loop: Header=BB363_10 Depth=1
	v_and_b32_sdwa v1, v79, v72 dst_sel:DWORD dst_unused:UNUSED_PAD src0_sel:WORD_1 src1_sel:DWORD
	v_lshrrev_b32_e32 v78, 3, v80
	s_mov_b32 s41, exec_lo
	v_cmpx_gt_u32_e32 8, v80
; %bb.30:                               ;   in Loop: Header=BB363_10 Depth=1
	v_ffbh_u32_e32 v78, v1
	v_min_u32_e32 v78, 32, v78
	v_subrev_nc_u32_e32 v80, 28, v78
	v_sub_nc_u32_e32 v78, 29, v78
	v_lshlrev_b64 v[80:81], v80, v[1:2]
	v_and_b32_e32 v1, 7, v80
; %bb.31:                               ;   in Loop: Header=BB363_10 Depth=1
	s_or_b32 exec_lo, exec_lo, s41
	v_lshlrev_b32_sdwa v80, v73, v79 dst_sel:DWORD dst_unused:UNUSED_PAD src0_sel:DWORD src1_sel:WORD_1
	v_lshlrev_b32_e32 v1, 20, v1
	v_lshl_add_u32 v78, v78, 23, 0x3c000000
	v_and_b32_e32 v80, 0x80000000, v80
	v_or3_b32 v78, v1, v80, v78
.LBB363_32:                             ;   in Loop: Header=BB363_10 Depth=1
	s_or_b32 exec_lo, exec_lo, s40
.LBB363_33:                             ;   in Loop: Header=BB363_10 Depth=1
	s_or_b32 exec_lo, exec_lo, s39
.LBB363_34:                             ;   in Loop: Header=BB363_10 Depth=1
	s_or_b32 exec_lo, exec_lo, s3
	s_mov_b32 s3, exec_lo
	v_cmpx_lt_u32_e32 0xffffff, v79
	s_cbranch_execz .LBB363_42
; %bb.35:                               ;   in Loop: Header=BB363_10 Depth=1
	v_cmp_ne_u32_sdwa s2, v79, v69 src0_sel:BYTE_3 src1_sel:DWORD
	v_bfrev_b32_e32 v77, 1
	s_and_saveexec_b32 s39, s2
	s_cbranch_execz .LBB363_41
; %bb.36:                               ;   in Loop: Header=BB363_10 Depth=1
	v_bfe_u32 v80, v79, 24, 7
	v_mov_b32_e32 v77, 0x7f800001
	s_mov_b32 s40, exec_lo
	v_cmpx_ne_u32_e32 0x7f, v80
	s_cbranch_execz .LBB363_40
; %bb.37:                               ;   in Loop: Header=BB363_10 Depth=1
	v_and_b32_sdwa v1, v79, v72 dst_sel:DWORD dst_unused:UNUSED_PAD src0_sel:BYTE_3 src1_sel:DWORD
	v_lshrrev_b32_e32 v77, 3, v80
	s_mov_b32 s41, exec_lo
	v_cmpx_gt_u32_e32 8, v80
; %bb.38:                               ;   in Loop: Header=BB363_10 Depth=1
	v_ffbh_u32_e32 v77, v1
	v_min_u32_e32 v77, 32, v77
	v_subrev_nc_u32_e32 v80, 28, v77
	v_sub_nc_u32_e32 v77, 29, v77
	v_lshlrev_b64 v[80:81], v80, v[1:2]
	v_and_b32_e32 v1, 7, v80
; %bb.39:                               ;   in Loop: Header=BB363_10 Depth=1
	s_or_b32 exec_lo, exec_lo, s41
	v_lshlrev_b32_sdwa v79, v73, v79 dst_sel:DWORD dst_unused:UNUSED_PAD src0_sel:DWORD src1_sel:BYTE_3
	v_lshlrev_b32_e32 v1, 20, v1
	v_lshl_add_u32 v77, v77, 23, 0x3c000000
	v_and_b32_e32 v79, 0x80000000, v79
	v_or3_b32 v77, v1, v79, v77
.LBB363_40:                             ;   in Loop: Header=BB363_10 Depth=1
	s_or_b32 exec_lo, exec_lo, s40
.LBB363_41:                             ;   in Loop: Header=BB363_10 Depth=1
	s_or_b32 exec_lo, exec_lo, s39
.LBB363_42:                             ;   in Loop: Header=BB363_10 Depth=1
	s_or_b32 exec_lo, exec_lo, s3
	global_load_dword v83, v[7:8], off offset:8
	v_mov_b32_e32 v80, 0
	v_mov_b32_e32 v79, 0
	s_waitcnt vmcnt(0)
	v_cmp_ne_u16_sdwa s2, v83, v2 src0_sel:BYTE_0 src1_sel:DWORD
	s_and_saveexec_b32 s3, s2
	s_cbranch_execz .LBB363_50
; %bb.43:                               ;   in Loop: Header=BB363_10 Depth=1
	v_cmp_ne_u16_sdwa s2, v83, v69 src0_sel:BYTE_0 src1_sel:DWORD
	v_bfrev_b32_e32 v79, 1
	s_and_saveexec_b32 s39, s2
	s_cbranch_execz .LBB363_49
; %bb.44:                               ;   in Loop: Header=BB363_10 Depth=1
	v_and_b32_e32 v81, 0x7f, v83
	v_mov_b32_e32 v79, 0x7f800001
	s_mov_b32 s40, exec_lo
	v_cmpx_ne_u32_e32 0x7f, v81
	s_cbranch_execz .LBB363_48
; %bb.45:                               ;   in Loop: Header=BB363_10 Depth=1
	v_and_b32_e32 v1, 7, v83
	v_lshrrev_b32_e32 v79, 3, v81
	s_mov_b32 s41, exec_lo
	v_cmpx_gt_u32_e32 8, v81
; %bb.46:                               ;   in Loop: Header=BB363_10 Depth=1
	v_ffbh_u32_e32 v79, v1
	v_min_u32_e32 v79, 32, v79
	v_subrev_nc_u32_e32 v81, 28, v79
	v_sub_nc_u32_e32 v79, 29, v79
	v_lshlrev_b64 v[81:82], v81, v[1:2]
	v_and_b32_e32 v1, 7, v81
; %bb.47:                               ;   in Loop: Header=BB363_10 Depth=1
	s_or_b32 exec_lo, exec_lo, s41
	v_lshlrev_b32_e32 v81, 24, v83
	v_lshlrev_b32_e32 v1, 20, v1
	v_lshl_add_u32 v79, v79, 23, 0x3c000000
	v_and_b32_e32 v81, 0x80000000, v81
	v_or3_b32 v79, v1, v81, v79
.LBB363_48:                             ;   in Loop: Header=BB363_10 Depth=1
	s_or_b32 exec_lo, exec_lo, s40
.LBB363_49:                             ;   in Loop: Header=BB363_10 Depth=1
	s_or_b32 exec_lo, exec_lo, s39
.LBB363_50:                             ;   in Loop: Header=BB363_10 Depth=1
	s_or_b32 exec_lo, exec_lo, s3
	v_cmp_ne_u16_sdwa s2, v83, v2 src0_sel:BYTE_1 src1_sel:DWORD
	s_and_saveexec_b32 s3, s2
	s_cbranch_execz .LBB363_58
; %bb.51:                               ;   in Loop: Header=BB363_10 Depth=1
	v_cmp_ne_u16_sdwa s2, v83, v69 src0_sel:BYTE_1 src1_sel:DWORD
	v_bfrev_b32_e32 v80, 1
	s_and_saveexec_b32 s39, s2
	s_cbranch_execz .LBB363_57
; %bb.52:                               ;   in Loop: Header=BB363_10 Depth=1
	v_and_b32_sdwa v1, v70, v83 dst_sel:DWORD dst_unused:UNUSED_PAD src0_sel:DWORD src1_sel:BYTE_1
	v_mov_b32_e32 v80, 0x7f800001
	s_mov_b32 s40, exec_lo
	v_and_b32_e32 v81, 0x7f, v1
	v_cmpx_ne_u32_e32 0x7f, v81
	s_cbranch_execz .LBB363_56
; %bb.53:                               ;   in Loop: Header=BB363_10 Depth=1
	v_and_b32_e32 v1, 7, v1
	v_lshrrev_b32_e32 v80, 3, v81
	s_mov_b32 s41, exec_lo
	v_cmpx_gt_u32_e32 8, v81
; %bb.54:                               ;   in Loop: Header=BB363_10 Depth=1
	v_ffbh_u32_e32 v80, v1
	v_min_u32_e32 v80, 32, v80
	v_subrev_nc_u32_e32 v81, 28, v80
	v_sub_nc_u32_e32 v80, 29, v80
	v_lshlrev_b64 v[81:82], v81, v[1:2]
	v_and_b32_e32 v1, 7, v81
; %bb.55:                               ;   in Loop: Header=BB363_10 Depth=1
	s_or_b32 exec_lo, exec_lo, s41
	v_lshlrev_b32_e32 v81, 16, v83
	v_lshlrev_b32_e32 v1, 20, v1
	v_lshl_add_u32 v80, v80, 23, 0x3c000000
	v_and_b32_e32 v81, 0x80000000, v81
	v_or3_b32 v80, v1, v81, v80
.LBB363_56:                             ;   in Loop: Header=BB363_10 Depth=1
	s_or_b32 exec_lo, exec_lo, s40
.LBB363_57:                             ;   in Loop: Header=BB363_10 Depth=1
	s_or_b32 exec_lo, exec_lo, s39
.LBB363_58:                             ;   in Loop: Header=BB363_10 Depth=1
	s_or_b32 exec_lo, exec_lo, s3
	v_and_b32_sdwa v1, v83, v71 dst_sel:DWORD dst_unused:UNUSED_PAD src0_sel:WORD_1 src1_sel:DWORD
	v_mov_b32_e32 v81, 0
	v_mov_b32_e32 v82, 0
	s_mov_b32 s3, exec_lo
	v_cmpx_ne_u16_e32 0, v1
	s_cbranch_execz .LBB363_66
; %bb.59:                               ;   in Loop: Header=BB363_10 Depth=1
	v_bfrev_b32_e32 v82, 1
	s_mov_b32 s39, exec_lo
	v_cmpx_ne_u16_e32 0x80, v1
	s_cbranch_execz .LBB363_65
; %bb.60:                               ;   in Loop: Header=BB363_10 Depth=1
	v_bfe_u32 v84, v83, 16, 7
	v_mov_b32_e32 v82, 0x7f800001
	s_mov_b32 s40, exec_lo
	v_cmpx_ne_u32_e32 0x7f, v84
	s_cbranch_execz .LBB363_64
; %bb.61:                               ;   in Loop: Header=BB363_10 Depth=1
	v_and_b32_sdwa v1, v83, v72 dst_sel:DWORD dst_unused:UNUSED_PAD src0_sel:WORD_1 src1_sel:DWORD
	v_lshrrev_b32_e32 v82, 3, v84
	s_mov_b32 s41, exec_lo
	v_cmpx_gt_u32_e32 8, v84
; %bb.62:                               ;   in Loop: Header=BB363_10 Depth=1
	v_ffbh_u32_e32 v82, v1
	v_min_u32_e32 v82, 32, v82
	v_subrev_nc_u32_e32 v84, 28, v82
	v_sub_nc_u32_e32 v82, 29, v82
	v_lshlrev_b64 v[84:85], v84, v[1:2]
	v_and_b32_e32 v1, 7, v84
; %bb.63:                               ;   in Loop: Header=BB363_10 Depth=1
	s_or_b32 exec_lo, exec_lo, s41
	v_lshlrev_b32_sdwa v84, v73, v83 dst_sel:DWORD dst_unused:UNUSED_PAD src0_sel:DWORD src1_sel:WORD_1
	v_lshlrev_b32_e32 v1, 20, v1
	v_lshl_add_u32 v82, v82, 23, 0x3c000000
	v_and_b32_e32 v84, 0x80000000, v84
	v_or3_b32 v82, v1, v84, v82
.LBB363_64:                             ;   in Loop: Header=BB363_10 Depth=1
	s_or_b32 exec_lo, exec_lo, s40
.LBB363_65:                             ;   in Loop: Header=BB363_10 Depth=1
	s_or_b32 exec_lo, exec_lo, s39
.LBB363_66:                             ;   in Loop: Header=BB363_10 Depth=1
	s_or_b32 exec_lo, exec_lo, s3
	s_mov_b32 s3, exec_lo
	v_cmpx_lt_u32_e32 0xffffff, v83
	s_cbranch_execz .LBB363_74
; %bb.67:                               ;   in Loop: Header=BB363_10 Depth=1
	v_cmp_ne_u32_sdwa s2, v83, v69 src0_sel:BYTE_3 src1_sel:DWORD
	v_bfrev_b32_e32 v81, 1
	s_and_saveexec_b32 s39, s2
	s_cbranch_execz .LBB363_73
; %bb.68:                               ;   in Loop: Header=BB363_10 Depth=1
	v_bfe_u32 v84, v83, 24, 7
	v_mov_b32_e32 v81, 0x7f800001
	s_mov_b32 s40, exec_lo
	v_cmpx_ne_u32_e32 0x7f, v84
	s_cbranch_execz .LBB363_72
; %bb.69:                               ;   in Loop: Header=BB363_10 Depth=1
	v_and_b32_sdwa v1, v83, v72 dst_sel:DWORD dst_unused:UNUSED_PAD src0_sel:BYTE_3 src1_sel:DWORD
	v_lshrrev_b32_e32 v81, 3, v84
	s_mov_b32 s41, exec_lo
	v_cmpx_gt_u32_e32 8, v84
; %bb.70:                               ;   in Loop: Header=BB363_10 Depth=1
	v_ffbh_u32_e32 v81, v1
	v_min_u32_e32 v81, 32, v81
	v_subrev_nc_u32_e32 v84, 28, v81
	v_sub_nc_u32_e32 v81, 29, v81
	v_lshlrev_b64 v[84:85], v84, v[1:2]
	v_and_b32_e32 v1, 7, v84
; %bb.71:                               ;   in Loop: Header=BB363_10 Depth=1
	s_or_b32 exec_lo, exec_lo, s41
	v_lshlrev_b32_sdwa v83, v73, v83 dst_sel:DWORD dst_unused:UNUSED_PAD src0_sel:DWORD src1_sel:BYTE_3
	v_lshlrev_b32_e32 v1, 20, v1
	v_lshl_add_u32 v81, v81, 23, 0x3c000000
	v_and_b32_e32 v83, 0x80000000, v83
	v_or3_b32 v81, v1, v83, v81
.LBB363_72:                             ;   in Loop: Header=BB363_10 Depth=1
	s_or_b32 exec_lo, exec_lo, s40
.LBB363_73:                             ;   in Loop: Header=BB363_10 Depth=1
	s_or_b32 exec_lo, exec_lo, s39
.LBB363_74:                             ;   in Loop: Header=BB363_10 Depth=1
	s_or_b32 exec_lo, exec_lo, s3
	global_load_dword v87, v[7:8], off offset:256
	v_mov_b32_e32 v84, 0
	v_mov_b32_e32 v83, 0
	s_waitcnt vmcnt(0)
	v_cmp_ne_u16_sdwa s2, v87, v2 src0_sel:BYTE_0 src1_sel:DWORD
	s_and_saveexec_b32 s3, s2
	s_cbranch_execz .LBB363_82
; %bb.75:                               ;   in Loop: Header=BB363_10 Depth=1
	v_cmp_ne_u16_sdwa s2, v87, v69 src0_sel:BYTE_0 src1_sel:DWORD
	v_bfrev_b32_e32 v83, 1
	s_and_saveexec_b32 s39, s2
	s_cbranch_execz .LBB363_81
; %bb.76:                               ;   in Loop: Header=BB363_10 Depth=1
	v_and_b32_e32 v85, 0x7f, v87
	v_mov_b32_e32 v83, 0x7f800001
	s_mov_b32 s40, exec_lo
	v_cmpx_ne_u32_e32 0x7f, v85
	s_cbranch_execz .LBB363_80
; %bb.77:                               ;   in Loop: Header=BB363_10 Depth=1
	v_and_b32_e32 v1, 7, v87
	v_lshrrev_b32_e32 v83, 3, v85
	s_mov_b32 s41, exec_lo
	v_cmpx_gt_u32_e32 8, v85
; %bb.78:                               ;   in Loop: Header=BB363_10 Depth=1
	v_ffbh_u32_e32 v83, v1
	v_min_u32_e32 v83, 32, v83
	v_subrev_nc_u32_e32 v85, 28, v83
	v_sub_nc_u32_e32 v83, 29, v83
	v_lshlrev_b64 v[85:86], v85, v[1:2]
	v_and_b32_e32 v1, 7, v85
; %bb.79:                               ;   in Loop: Header=BB363_10 Depth=1
	s_or_b32 exec_lo, exec_lo, s41
	v_lshlrev_b32_e32 v85, 24, v87
	v_lshlrev_b32_e32 v1, 20, v1
	v_lshl_add_u32 v83, v83, 23, 0x3c000000
	v_and_b32_e32 v85, 0x80000000, v85
	v_or3_b32 v83, v1, v85, v83
.LBB363_80:                             ;   in Loop: Header=BB363_10 Depth=1
	s_or_b32 exec_lo, exec_lo, s40
.LBB363_81:                             ;   in Loop: Header=BB363_10 Depth=1
	s_or_b32 exec_lo, exec_lo, s39
.LBB363_82:                             ;   in Loop: Header=BB363_10 Depth=1
	s_or_b32 exec_lo, exec_lo, s3
	v_cmp_ne_u16_sdwa s2, v87, v2 src0_sel:BYTE_1 src1_sel:DWORD
	s_and_saveexec_b32 s3, s2
	s_cbranch_execz .LBB363_90
; %bb.83:                               ;   in Loop: Header=BB363_10 Depth=1
	v_cmp_ne_u16_sdwa s2, v87, v69 src0_sel:BYTE_1 src1_sel:DWORD
	v_bfrev_b32_e32 v84, 1
	s_and_saveexec_b32 s39, s2
	s_cbranch_execz .LBB363_89
; %bb.84:                               ;   in Loop: Header=BB363_10 Depth=1
	v_and_b32_sdwa v1, v70, v87 dst_sel:DWORD dst_unused:UNUSED_PAD src0_sel:DWORD src1_sel:BYTE_1
	v_mov_b32_e32 v84, 0x7f800001
	s_mov_b32 s40, exec_lo
	v_and_b32_e32 v85, 0x7f, v1
	v_cmpx_ne_u32_e32 0x7f, v85
	s_cbranch_execz .LBB363_88
; %bb.85:                               ;   in Loop: Header=BB363_10 Depth=1
	v_and_b32_e32 v1, 7, v1
	v_lshrrev_b32_e32 v84, 3, v85
	s_mov_b32 s41, exec_lo
	v_cmpx_gt_u32_e32 8, v85
; %bb.86:                               ;   in Loop: Header=BB363_10 Depth=1
	v_ffbh_u32_e32 v84, v1
	v_min_u32_e32 v84, 32, v84
	v_subrev_nc_u32_e32 v85, 28, v84
	v_sub_nc_u32_e32 v84, 29, v84
	v_lshlrev_b64 v[85:86], v85, v[1:2]
	v_and_b32_e32 v1, 7, v85
; %bb.87:                               ;   in Loop: Header=BB363_10 Depth=1
	s_or_b32 exec_lo, exec_lo, s41
	v_lshlrev_b32_e32 v85, 16, v87
	v_lshlrev_b32_e32 v1, 20, v1
	v_lshl_add_u32 v84, v84, 23, 0x3c000000
	v_and_b32_e32 v85, 0x80000000, v85
	v_or3_b32 v84, v1, v85, v84
.LBB363_88:                             ;   in Loop: Header=BB363_10 Depth=1
	s_or_b32 exec_lo, exec_lo, s40
.LBB363_89:                             ;   in Loop: Header=BB363_10 Depth=1
	s_or_b32 exec_lo, exec_lo, s39
.LBB363_90:                             ;   in Loop: Header=BB363_10 Depth=1
	s_or_b32 exec_lo, exec_lo, s3
	v_and_b32_sdwa v1, v87, v71 dst_sel:DWORD dst_unused:UNUSED_PAD src0_sel:WORD_1 src1_sel:DWORD
	v_mov_b32_e32 v85, 0
	v_mov_b32_e32 v86, 0
	s_mov_b32 s3, exec_lo
	v_cmpx_ne_u16_e32 0, v1
	s_cbranch_execz .LBB363_98
; %bb.91:                               ;   in Loop: Header=BB363_10 Depth=1
	v_bfrev_b32_e32 v86, 1
	s_mov_b32 s39, exec_lo
	v_cmpx_ne_u16_e32 0x80, v1
	s_cbranch_execz .LBB363_97
; %bb.92:                               ;   in Loop: Header=BB363_10 Depth=1
	v_bfe_u32 v88, v87, 16, 7
	v_mov_b32_e32 v86, 0x7f800001
	s_mov_b32 s40, exec_lo
	v_cmpx_ne_u32_e32 0x7f, v88
	s_cbranch_execz .LBB363_96
; %bb.93:                               ;   in Loop: Header=BB363_10 Depth=1
	v_and_b32_sdwa v1, v87, v72 dst_sel:DWORD dst_unused:UNUSED_PAD src0_sel:WORD_1 src1_sel:DWORD
	v_lshrrev_b32_e32 v86, 3, v88
	s_mov_b32 s41, exec_lo
	v_cmpx_gt_u32_e32 8, v88
; %bb.94:                               ;   in Loop: Header=BB363_10 Depth=1
	v_ffbh_u32_e32 v86, v1
	v_min_u32_e32 v86, 32, v86
	v_subrev_nc_u32_e32 v88, 28, v86
	v_sub_nc_u32_e32 v86, 29, v86
	v_lshlrev_b64 v[88:89], v88, v[1:2]
	v_and_b32_e32 v1, 7, v88
; %bb.95:                               ;   in Loop: Header=BB363_10 Depth=1
	s_or_b32 exec_lo, exec_lo, s41
	v_lshlrev_b32_sdwa v88, v73, v87 dst_sel:DWORD dst_unused:UNUSED_PAD src0_sel:DWORD src1_sel:WORD_1
	v_lshlrev_b32_e32 v1, 20, v1
	v_lshl_add_u32 v86, v86, 23, 0x3c000000
	v_and_b32_e32 v88, 0x80000000, v88
	v_or3_b32 v86, v1, v88, v86
.LBB363_96:                             ;   in Loop: Header=BB363_10 Depth=1
	s_or_b32 exec_lo, exec_lo, s40
.LBB363_97:                             ;   in Loop: Header=BB363_10 Depth=1
	s_or_b32 exec_lo, exec_lo, s39
.LBB363_98:                             ;   in Loop: Header=BB363_10 Depth=1
	s_or_b32 exec_lo, exec_lo, s3
	s_mov_b32 s3, exec_lo
	v_cmpx_lt_u32_e32 0xffffff, v87
	s_cbranch_execz .LBB363_106
; %bb.99:                               ;   in Loop: Header=BB363_10 Depth=1
	v_cmp_ne_u32_sdwa s2, v87, v69 src0_sel:BYTE_3 src1_sel:DWORD
	v_bfrev_b32_e32 v85, 1
	s_and_saveexec_b32 s39, s2
	s_cbranch_execz .LBB363_105
; %bb.100:                              ;   in Loop: Header=BB363_10 Depth=1
	v_bfe_u32 v88, v87, 24, 7
	v_mov_b32_e32 v85, 0x7f800001
	s_mov_b32 s40, exec_lo
	v_cmpx_ne_u32_e32 0x7f, v88
	s_cbranch_execz .LBB363_104
; %bb.101:                              ;   in Loop: Header=BB363_10 Depth=1
	v_and_b32_sdwa v1, v87, v72 dst_sel:DWORD dst_unused:UNUSED_PAD src0_sel:BYTE_3 src1_sel:DWORD
	v_lshrrev_b32_e32 v85, 3, v88
	s_mov_b32 s41, exec_lo
	v_cmpx_gt_u32_e32 8, v88
; %bb.102:                              ;   in Loop: Header=BB363_10 Depth=1
	v_ffbh_u32_e32 v85, v1
	v_min_u32_e32 v85, 32, v85
	v_subrev_nc_u32_e32 v88, 28, v85
	v_sub_nc_u32_e32 v85, 29, v85
	v_lshlrev_b64 v[88:89], v88, v[1:2]
	v_and_b32_e32 v1, 7, v88
; %bb.103:                              ;   in Loop: Header=BB363_10 Depth=1
	s_or_b32 exec_lo, exec_lo, s41
	v_lshlrev_b32_sdwa v87, v73, v87 dst_sel:DWORD dst_unused:UNUSED_PAD src0_sel:DWORD src1_sel:BYTE_3
	v_lshlrev_b32_e32 v1, 20, v1
	v_lshl_add_u32 v85, v85, 23, 0x3c000000
	v_and_b32_e32 v87, 0x80000000, v87
	v_or3_b32 v85, v1, v87, v85
.LBB363_104:                            ;   in Loop: Header=BB363_10 Depth=1
	s_or_b32 exec_lo, exec_lo, s40
.LBB363_105:                            ;   in Loop: Header=BB363_10 Depth=1
	s_or_b32 exec_lo, exec_lo, s39
.LBB363_106:                            ;   in Loop: Header=BB363_10 Depth=1
	s_or_b32 exec_lo, exec_lo, s3
	global_load_dword v91, v[7:8], off offset:264
	v_mov_b32_e32 v88, 0
	v_mov_b32_e32 v87, 0
	s_waitcnt vmcnt(0)
	v_cmp_ne_u16_sdwa s2, v91, v2 src0_sel:BYTE_0 src1_sel:DWORD
	s_and_saveexec_b32 s3, s2
	s_cbranch_execz .LBB363_114
; %bb.107:                              ;   in Loop: Header=BB363_10 Depth=1
	v_cmp_ne_u16_sdwa s2, v91, v69 src0_sel:BYTE_0 src1_sel:DWORD
	v_bfrev_b32_e32 v87, 1
	s_and_saveexec_b32 s39, s2
	s_cbranch_execz .LBB363_113
; %bb.108:                              ;   in Loop: Header=BB363_10 Depth=1
	v_and_b32_e32 v89, 0x7f, v91
	v_mov_b32_e32 v87, 0x7f800001
	s_mov_b32 s40, exec_lo
	v_cmpx_ne_u32_e32 0x7f, v89
	s_cbranch_execz .LBB363_112
; %bb.109:                              ;   in Loop: Header=BB363_10 Depth=1
	v_and_b32_e32 v1, 7, v91
	v_lshrrev_b32_e32 v87, 3, v89
	s_mov_b32 s41, exec_lo
	v_cmpx_gt_u32_e32 8, v89
; %bb.110:                              ;   in Loop: Header=BB363_10 Depth=1
	v_ffbh_u32_e32 v87, v1
	v_min_u32_e32 v87, 32, v87
	v_subrev_nc_u32_e32 v89, 28, v87
	v_sub_nc_u32_e32 v87, 29, v87
	v_lshlrev_b64 v[89:90], v89, v[1:2]
	v_and_b32_e32 v1, 7, v89
; %bb.111:                              ;   in Loop: Header=BB363_10 Depth=1
	s_or_b32 exec_lo, exec_lo, s41
	v_lshlrev_b32_e32 v89, 24, v91
	v_lshlrev_b32_e32 v1, 20, v1
	v_lshl_add_u32 v87, v87, 23, 0x3c000000
	v_and_b32_e32 v89, 0x80000000, v89
	v_or3_b32 v87, v1, v89, v87
.LBB363_112:                            ;   in Loop: Header=BB363_10 Depth=1
	s_or_b32 exec_lo, exec_lo, s40
.LBB363_113:                            ;   in Loop: Header=BB363_10 Depth=1
	s_or_b32 exec_lo, exec_lo, s39
.LBB363_114:                            ;   in Loop: Header=BB363_10 Depth=1
	s_or_b32 exec_lo, exec_lo, s3
	v_cmp_ne_u16_sdwa s2, v91, v2 src0_sel:BYTE_1 src1_sel:DWORD
	s_and_saveexec_b32 s3, s2
	s_cbranch_execz .LBB363_122
; %bb.115:                              ;   in Loop: Header=BB363_10 Depth=1
	v_cmp_ne_u16_sdwa s2, v91, v69 src0_sel:BYTE_1 src1_sel:DWORD
	v_bfrev_b32_e32 v88, 1
	s_and_saveexec_b32 s39, s2
	s_cbranch_execz .LBB363_121
; %bb.116:                              ;   in Loop: Header=BB363_10 Depth=1
	v_and_b32_sdwa v1, v70, v91 dst_sel:DWORD dst_unused:UNUSED_PAD src0_sel:DWORD src1_sel:BYTE_1
	v_mov_b32_e32 v88, 0x7f800001
	s_mov_b32 s40, exec_lo
	v_and_b32_e32 v89, 0x7f, v1
	v_cmpx_ne_u32_e32 0x7f, v89
	s_cbranch_execz .LBB363_120
; %bb.117:                              ;   in Loop: Header=BB363_10 Depth=1
	v_and_b32_e32 v1, 7, v1
	v_lshrrev_b32_e32 v88, 3, v89
	s_mov_b32 s41, exec_lo
	v_cmpx_gt_u32_e32 8, v89
; %bb.118:                              ;   in Loop: Header=BB363_10 Depth=1
	v_ffbh_u32_e32 v88, v1
	v_min_u32_e32 v88, 32, v88
	v_subrev_nc_u32_e32 v89, 28, v88
	v_sub_nc_u32_e32 v88, 29, v88
	v_lshlrev_b64 v[89:90], v89, v[1:2]
	v_and_b32_e32 v1, 7, v89
; %bb.119:                              ;   in Loop: Header=BB363_10 Depth=1
	s_or_b32 exec_lo, exec_lo, s41
	v_lshlrev_b32_e32 v89, 16, v91
	v_lshlrev_b32_e32 v1, 20, v1
	v_lshl_add_u32 v88, v88, 23, 0x3c000000
	v_and_b32_e32 v89, 0x80000000, v89
	v_or3_b32 v88, v1, v89, v88
.LBB363_120:                            ;   in Loop: Header=BB363_10 Depth=1
	s_or_b32 exec_lo, exec_lo, s40
.LBB363_121:                            ;   in Loop: Header=BB363_10 Depth=1
	s_or_b32 exec_lo, exec_lo, s39
.LBB363_122:                            ;   in Loop: Header=BB363_10 Depth=1
	s_or_b32 exec_lo, exec_lo, s3
	v_and_b32_sdwa v1, v91, v71 dst_sel:DWORD dst_unused:UNUSED_PAD src0_sel:WORD_1 src1_sel:DWORD
	v_mov_b32_e32 v89, 0
	v_mov_b32_e32 v90, 0
	s_mov_b32 s3, exec_lo
	v_cmpx_ne_u16_e32 0, v1
	s_cbranch_execz .LBB363_130
; %bb.123:                              ;   in Loop: Header=BB363_10 Depth=1
	v_bfrev_b32_e32 v90, 1
	s_mov_b32 s39, exec_lo
	v_cmpx_ne_u16_e32 0x80, v1
	s_cbranch_execz .LBB363_129
; %bb.124:                              ;   in Loop: Header=BB363_10 Depth=1
	v_bfe_u32 v92, v91, 16, 7
	v_mov_b32_e32 v90, 0x7f800001
	s_mov_b32 s40, exec_lo
	v_cmpx_ne_u32_e32 0x7f, v92
	s_cbranch_execz .LBB363_128
; %bb.125:                              ;   in Loop: Header=BB363_10 Depth=1
	v_and_b32_sdwa v1, v91, v72 dst_sel:DWORD dst_unused:UNUSED_PAD src0_sel:WORD_1 src1_sel:DWORD
	v_lshrrev_b32_e32 v90, 3, v92
	s_mov_b32 s41, exec_lo
	v_cmpx_gt_u32_e32 8, v92
; %bb.126:                              ;   in Loop: Header=BB363_10 Depth=1
	v_ffbh_u32_e32 v90, v1
	v_min_u32_e32 v90, 32, v90
	v_subrev_nc_u32_e32 v92, 28, v90
	v_sub_nc_u32_e32 v90, 29, v90
	v_lshlrev_b64 v[92:93], v92, v[1:2]
	v_and_b32_e32 v1, 7, v92
; %bb.127:                              ;   in Loop: Header=BB363_10 Depth=1
	s_or_b32 exec_lo, exec_lo, s41
	v_lshlrev_b32_sdwa v92, v73, v91 dst_sel:DWORD dst_unused:UNUSED_PAD src0_sel:DWORD src1_sel:WORD_1
	v_lshlrev_b32_e32 v1, 20, v1
	v_lshl_add_u32 v90, v90, 23, 0x3c000000
	v_and_b32_e32 v92, 0x80000000, v92
	v_or3_b32 v90, v1, v92, v90
.LBB363_128:                            ;   in Loop: Header=BB363_10 Depth=1
	s_or_b32 exec_lo, exec_lo, s40
.LBB363_129:                            ;   in Loop: Header=BB363_10 Depth=1
	s_or_b32 exec_lo, exec_lo, s39
.LBB363_130:                            ;   in Loop: Header=BB363_10 Depth=1
	s_or_b32 exec_lo, exec_lo, s3
	s_mov_b32 s3, exec_lo
	v_cmpx_lt_u32_e32 0xffffff, v91
	s_cbranch_execz .LBB363_138
; %bb.131:                              ;   in Loop: Header=BB363_10 Depth=1
	v_cmp_ne_u32_sdwa s2, v91, v69 src0_sel:BYTE_3 src1_sel:DWORD
	v_bfrev_b32_e32 v89, 1
	s_and_saveexec_b32 s39, s2
	s_cbranch_execz .LBB363_137
; %bb.132:                              ;   in Loop: Header=BB363_10 Depth=1
	v_bfe_u32 v92, v91, 24, 7
	v_mov_b32_e32 v89, 0x7f800001
	s_mov_b32 s40, exec_lo
	v_cmpx_ne_u32_e32 0x7f, v92
	s_cbranch_execz .LBB363_136
; %bb.133:                              ;   in Loop: Header=BB363_10 Depth=1
	v_and_b32_sdwa v1, v91, v72 dst_sel:DWORD dst_unused:UNUSED_PAD src0_sel:BYTE_3 src1_sel:DWORD
	v_lshrrev_b32_e32 v89, 3, v92
	s_mov_b32 s41, exec_lo
	v_cmpx_gt_u32_e32 8, v92
; %bb.134:                              ;   in Loop: Header=BB363_10 Depth=1
	v_ffbh_u32_e32 v89, v1
	v_min_u32_e32 v89, 32, v89
	v_subrev_nc_u32_e32 v92, 28, v89
	v_sub_nc_u32_e32 v89, 29, v89
	v_lshlrev_b64 v[92:93], v92, v[1:2]
	v_and_b32_e32 v1, 7, v92
; %bb.135:                              ;   in Loop: Header=BB363_10 Depth=1
	s_or_b32 exec_lo, exec_lo, s41
	v_lshlrev_b32_sdwa v91, v73, v91 dst_sel:DWORD dst_unused:UNUSED_PAD src0_sel:DWORD src1_sel:BYTE_3
	v_lshlrev_b32_e32 v1, 20, v1
	v_lshl_add_u32 v89, v89, 23, 0x3c000000
	v_and_b32_e32 v91, 0x80000000, v91
	v_or3_b32 v89, v1, v91, v89
.LBB363_136:                            ;   in Loop: Header=BB363_10 Depth=1
	s_or_b32 exec_lo, exec_lo, s40
.LBB363_137:                            ;   in Loop: Header=BB363_10 Depth=1
	s_or_b32 exec_lo, exec_lo, s39
.LBB363_138:                            ;   in Loop: Header=BB363_10 Depth=1
	s_or_b32 exec_lo, exec_lo, s3
	global_load_dword v95, v[7:8], off offset:512
	v_mov_b32_e32 v92, 0
	v_mov_b32_e32 v91, 0
	s_waitcnt vmcnt(0)
	v_cmp_ne_u16_sdwa s2, v95, v2 src0_sel:BYTE_0 src1_sel:DWORD
	s_and_saveexec_b32 s3, s2
	s_cbranch_execz .LBB363_146
; %bb.139:                              ;   in Loop: Header=BB363_10 Depth=1
	v_cmp_ne_u16_sdwa s2, v95, v69 src0_sel:BYTE_0 src1_sel:DWORD
	v_bfrev_b32_e32 v91, 1
	s_and_saveexec_b32 s39, s2
	s_cbranch_execz .LBB363_145
; %bb.140:                              ;   in Loop: Header=BB363_10 Depth=1
	v_and_b32_e32 v93, 0x7f, v95
	v_mov_b32_e32 v91, 0x7f800001
	s_mov_b32 s40, exec_lo
	v_cmpx_ne_u32_e32 0x7f, v93
	s_cbranch_execz .LBB363_144
; %bb.141:                              ;   in Loop: Header=BB363_10 Depth=1
	v_and_b32_e32 v1, 7, v95
	v_lshrrev_b32_e32 v91, 3, v93
	s_mov_b32 s41, exec_lo
	v_cmpx_gt_u32_e32 8, v93
; %bb.142:                              ;   in Loop: Header=BB363_10 Depth=1
	v_ffbh_u32_e32 v91, v1
	v_min_u32_e32 v91, 32, v91
	v_subrev_nc_u32_e32 v93, 28, v91
	v_sub_nc_u32_e32 v91, 29, v91
	v_lshlrev_b64 v[93:94], v93, v[1:2]
	v_and_b32_e32 v1, 7, v93
; %bb.143:                              ;   in Loop: Header=BB363_10 Depth=1
	s_or_b32 exec_lo, exec_lo, s41
	v_lshlrev_b32_e32 v93, 24, v95
	v_lshlrev_b32_e32 v1, 20, v1
	v_lshl_add_u32 v91, v91, 23, 0x3c000000
	v_and_b32_e32 v93, 0x80000000, v93
	v_or3_b32 v91, v1, v93, v91
.LBB363_144:                            ;   in Loop: Header=BB363_10 Depth=1
	s_or_b32 exec_lo, exec_lo, s40
.LBB363_145:                            ;   in Loop: Header=BB363_10 Depth=1
	s_or_b32 exec_lo, exec_lo, s39
.LBB363_146:                            ;   in Loop: Header=BB363_10 Depth=1
	s_or_b32 exec_lo, exec_lo, s3
	v_cmp_ne_u16_sdwa s2, v95, v2 src0_sel:BYTE_1 src1_sel:DWORD
	s_and_saveexec_b32 s3, s2
	s_cbranch_execz .LBB363_154
; %bb.147:                              ;   in Loop: Header=BB363_10 Depth=1
	v_cmp_ne_u16_sdwa s2, v95, v69 src0_sel:BYTE_1 src1_sel:DWORD
	v_bfrev_b32_e32 v92, 1
	s_and_saveexec_b32 s39, s2
	s_cbranch_execz .LBB363_153
; %bb.148:                              ;   in Loop: Header=BB363_10 Depth=1
	v_and_b32_sdwa v1, v70, v95 dst_sel:DWORD dst_unused:UNUSED_PAD src0_sel:DWORD src1_sel:BYTE_1
	v_mov_b32_e32 v92, 0x7f800001
	s_mov_b32 s40, exec_lo
	v_and_b32_e32 v93, 0x7f, v1
	v_cmpx_ne_u32_e32 0x7f, v93
	s_cbranch_execz .LBB363_152
; %bb.149:                              ;   in Loop: Header=BB363_10 Depth=1
	v_and_b32_e32 v1, 7, v1
	v_lshrrev_b32_e32 v92, 3, v93
	s_mov_b32 s41, exec_lo
	v_cmpx_gt_u32_e32 8, v93
; %bb.150:                              ;   in Loop: Header=BB363_10 Depth=1
	v_ffbh_u32_e32 v92, v1
	v_min_u32_e32 v92, 32, v92
	v_subrev_nc_u32_e32 v93, 28, v92
	v_sub_nc_u32_e32 v92, 29, v92
	v_lshlrev_b64 v[93:94], v93, v[1:2]
	v_and_b32_e32 v1, 7, v93
; %bb.151:                              ;   in Loop: Header=BB363_10 Depth=1
	s_or_b32 exec_lo, exec_lo, s41
	v_lshlrev_b32_e32 v93, 16, v95
	v_lshlrev_b32_e32 v1, 20, v1
	v_lshl_add_u32 v92, v92, 23, 0x3c000000
	v_and_b32_e32 v93, 0x80000000, v93
	v_or3_b32 v92, v1, v93, v92
.LBB363_152:                            ;   in Loop: Header=BB363_10 Depth=1
	s_or_b32 exec_lo, exec_lo, s40
.LBB363_153:                            ;   in Loop: Header=BB363_10 Depth=1
	s_or_b32 exec_lo, exec_lo, s39
.LBB363_154:                            ;   in Loop: Header=BB363_10 Depth=1
	s_or_b32 exec_lo, exec_lo, s3
	v_and_b32_sdwa v1, v95, v71 dst_sel:DWORD dst_unused:UNUSED_PAD src0_sel:WORD_1 src1_sel:DWORD
	v_mov_b32_e32 v93, 0
	v_mov_b32_e32 v94, 0
	s_mov_b32 s3, exec_lo
	v_cmpx_ne_u16_e32 0, v1
	s_cbranch_execz .LBB363_162
; %bb.155:                              ;   in Loop: Header=BB363_10 Depth=1
	v_bfrev_b32_e32 v94, 1
	s_mov_b32 s39, exec_lo
	v_cmpx_ne_u16_e32 0x80, v1
	s_cbranch_execz .LBB363_161
; %bb.156:                              ;   in Loop: Header=BB363_10 Depth=1
	v_bfe_u32 v96, v95, 16, 7
	v_mov_b32_e32 v94, 0x7f800001
	s_mov_b32 s40, exec_lo
	v_cmpx_ne_u32_e32 0x7f, v96
	s_cbranch_execz .LBB363_160
; %bb.157:                              ;   in Loop: Header=BB363_10 Depth=1
	v_and_b32_sdwa v1, v95, v72 dst_sel:DWORD dst_unused:UNUSED_PAD src0_sel:WORD_1 src1_sel:DWORD
	v_lshrrev_b32_e32 v94, 3, v96
	s_mov_b32 s41, exec_lo
	v_cmpx_gt_u32_e32 8, v96
; %bb.158:                              ;   in Loop: Header=BB363_10 Depth=1
	v_ffbh_u32_e32 v94, v1
	v_min_u32_e32 v94, 32, v94
	v_subrev_nc_u32_e32 v96, 28, v94
	v_sub_nc_u32_e32 v94, 29, v94
	v_lshlrev_b64 v[96:97], v96, v[1:2]
	v_and_b32_e32 v1, 7, v96
; %bb.159:                              ;   in Loop: Header=BB363_10 Depth=1
	s_or_b32 exec_lo, exec_lo, s41
	v_lshlrev_b32_sdwa v96, v73, v95 dst_sel:DWORD dst_unused:UNUSED_PAD src0_sel:DWORD src1_sel:WORD_1
	v_lshlrev_b32_e32 v1, 20, v1
	v_lshl_add_u32 v94, v94, 23, 0x3c000000
	v_and_b32_e32 v96, 0x80000000, v96
	v_or3_b32 v94, v1, v96, v94
.LBB363_160:                            ;   in Loop: Header=BB363_10 Depth=1
	s_or_b32 exec_lo, exec_lo, s40
.LBB363_161:                            ;   in Loop: Header=BB363_10 Depth=1
	s_or_b32 exec_lo, exec_lo, s39
.LBB363_162:                            ;   in Loop: Header=BB363_10 Depth=1
	s_or_b32 exec_lo, exec_lo, s3
	s_mov_b32 s3, exec_lo
	v_cmpx_lt_u32_e32 0xffffff, v95
	s_cbranch_execz .LBB363_170
; %bb.163:                              ;   in Loop: Header=BB363_10 Depth=1
	v_cmp_ne_u32_sdwa s2, v95, v69 src0_sel:BYTE_3 src1_sel:DWORD
	v_bfrev_b32_e32 v93, 1
	s_and_saveexec_b32 s39, s2
	s_cbranch_execz .LBB363_169
; %bb.164:                              ;   in Loop: Header=BB363_10 Depth=1
	v_bfe_u32 v96, v95, 24, 7
	v_mov_b32_e32 v93, 0x7f800001
	s_mov_b32 s40, exec_lo
	v_cmpx_ne_u32_e32 0x7f, v96
	s_cbranch_execz .LBB363_168
; %bb.165:                              ;   in Loop: Header=BB363_10 Depth=1
	v_and_b32_sdwa v1, v95, v72 dst_sel:DWORD dst_unused:UNUSED_PAD src0_sel:BYTE_3 src1_sel:DWORD
	v_lshrrev_b32_e32 v93, 3, v96
	s_mov_b32 s41, exec_lo
	v_cmpx_gt_u32_e32 8, v96
; %bb.166:                              ;   in Loop: Header=BB363_10 Depth=1
	v_ffbh_u32_e32 v93, v1
	v_min_u32_e32 v93, 32, v93
	v_subrev_nc_u32_e32 v96, 28, v93
	v_sub_nc_u32_e32 v93, 29, v93
	v_lshlrev_b64 v[96:97], v96, v[1:2]
	v_and_b32_e32 v1, 7, v96
; %bb.167:                              ;   in Loop: Header=BB363_10 Depth=1
	s_or_b32 exec_lo, exec_lo, s41
	v_lshlrev_b32_sdwa v95, v73, v95 dst_sel:DWORD dst_unused:UNUSED_PAD src0_sel:DWORD src1_sel:BYTE_3
	v_lshlrev_b32_e32 v1, 20, v1
	v_lshl_add_u32 v93, v93, 23, 0x3c000000
	v_and_b32_e32 v95, 0x80000000, v95
	v_or3_b32 v93, v1, v95, v93
.LBB363_168:                            ;   in Loop: Header=BB363_10 Depth=1
	s_or_b32 exec_lo, exec_lo, s40
.LBB363_169:                            ;   in Loop: Header=BB363_10 Depth=1
	s_or_b32 exec_lo, exec_lo, s39
.LBB363_170:                            ;   in Loop: Header=BB363_10 Depth=1
	s_or_b32 exec_lo, exec_lo, s3
	global_load_dword v99, v[7:8], off offset:520
	v_mov_b32_e32 v96, 0
	v_mov_b32_e32 v95, 0
	s_waitcnt vmcnt(0)
	v_cmp_ne_u16_sdwa s2, v99, v2 src0_sel:BYTE_0 src1_sel:DWORD
	s_and_saveexec_b32 s3, s2
	s_cbranch_execz .LBB363_178
; %bb.171:                              ;   in Loop: Header=BB363_10 Depth=1
	v_cmp_ne_u16_sdwa s2, v99, v69 src0_sel:BYTE_0 src1_sel:DWORD
	v_bfrev_b32_e32 v95, 1
	s_and_saveexec_b32 s39, s2
	s_cbranch_execz .LBB363_177
; %bb.172:                              ;   in Loop: Header=BB363_10 Depth=1
	v_and_b32_e32 v97, 0x7f, v99
	v_mov_b32_e32 v95, 0x7f800001
	s_mov_b32 s40, exec_lo
	v_cmpx_ne_u32_e32 0x7f, v97
	s_cbranch_execz .LBB363_176
; %bb.173:                              ;   in Loop: Header=BB363_10 Depth=1
	v_and_b32_e32 v1, 7, v99
	v_lshrrev_b32_e32 v95, 3, v97
	s_mov_b32 s41, exec_lo
	v_cmpx_gt_u32_e32 8, v97
; %bb.174:                              ;   in Loop: Header=BB363_10 Depth=1
	v_ffbh_u32_e32 v95, v1
	v_min_u32_e32 v95, 32, v95
	v_subrev_nc_u32_e32 v97, 28, v95
	v_sub_nc_u32_e32 v95, 29, v95
	v_lshlrev_b64 v[97:98], v97, v[1:2]
	v_and_b32_e32 v1, 7, v97
; %bb.175:                              ;   in Loop: Header=BB363_10 Depth=1
	s_or_b32 exec_lo, exec_lo, s41
	v_lshlrev_b32_e32 v97, 24, v99
	v_lshlrev_b32_e32 v1, 20, v1
	v_lshl_add_u32 v95, v95, 23, 0x3c000000
	v_and_b32_e32 v97, 0x80000000, v97
	v_or3_b32 v95, v1, v97, v95
.LBB363_176:                            ;   in Loop: Header=BB363_10 Depth=1
	s_or_b32 exec_lo, exec_lo, s40
.LBB363_177:                            ;   in Loop: Header=BB363_10 Depth=1
	s_or_b32 exec_lo, exec_lo, s39
.LBB363_178:                            ;   in Loop: Header=BB363_10 Depth=1
	s_or_b32 exec_lo, exec_lo, s3
	v_cmp_ne_u16_sdwa s2, v99, v2 src0_sel:BYTE_1 src1_sel:DWORD
	s_and_saveexec_b32 s3, s2
	s_cbranch_execz .LBB363_186
; %bb.179:                              ;   in Loop: Header=BB363_10 Depth=1
	v_cmp_ne_u16_sdwa s2, v99, v69 src0_sel:BYTE_1 src1_sel:DWORD
	v_bfrev_b32_e32 v96, 1
	s_and_saveexec_b32 s39, s2
	s_cbranch_execz .LBB363_185
; %bb.180:                              ;   in Loop: Header=BB363_10 Depth=1
	v_and_b32_sdwa v1, v70, v99 dst_sel:DWORD dst_unused:UNUSED_PAD src0_sel:DWORD src1_sel:BYTE_1
	v_mov_b32_e32 v96, 0x7f800001
	s_mov_b32 s40, exec_lo
	v_and_b32_e32 v97, 0x7f, v1
	v_cmpx_ne_u32_e32 0x7f, v97
	s_cbranch_execz .LBB363_184
; %bb.181:                              ;   in Loop: Header=BB363_10 Depth=1
	v_and_b32_e32 v1, 7, v1
	v_lshrrev_b32_e32 v96, 3, v97
	s_mov_b32 s41, exec_lo
	v_cmpx_gt_u32_e32 8, v97
; %bb.182:                              ;   in Loop: Header=BB363_10 Depth=1
	v_ffbh_u32_e32 v96, v1
	v_min_u32_e32 v96, 32, v96
	v_subrev_nc_u32_e32 v97, 28, v96
	v_sub_nc_u32_e32 v96, 29, v96
	v_lshlrev_b64 v[97:98], v97, v[1:2]
	v_and_b32_e32 v1, 7, v97
; %bb.183:                              ;   in Loop: Header=BB363_10 Depth=1
	s_or_b32 exec_lo, exec_lo, s41
	v_lshlrev_b32_e32 v97, 16, v99
	v_lshlrev_b32_e32 v1, 20, v1
	v_lshl_add_u32 v96, v96, 23, 0x3c000000
	v_and_b32_e32 v97, 0x80000000, v97
	v_or3_b32 v96, v1, v97, v96
.LBB363_184:                            ;   in Loop: Header=BB363_10 Depth=1
	s_or_b32 exec_lo, exec_lo, s40
.LBB363_185:                            ;   in Loop: Header=BB363_10 Depth=1
	s_or_b32 exec_lo, exec_lo, s39
.LBB363_186:                            ;   in Loop: Header=BB363_10 Depth=1
	s_or_b32 exec_lo, exec_lo, s3
	v_and_b32_sdwa v1, v99, v71 dst_sel:DWORD dst_unused:UNUSED_PAD src0_sel:WORD_1 src1_sel:DWORD
	v_mov_b32_e32 v97, 0
	v_mov_b32_e32 v98, 0
	s_mov_b32 s3, exec_lo
	v_cmpx_ne_u16_e32 0, v1
	s_cbranch_execz .LBB363_194
; %bb.187:                              ;   in Loop: Header=BB363_10 Depth=1
	v_bfrev_b32_e32 v98, 1
	s_mov_b32 s39, exec_lo
	v_cmpx_ne_u16_e32 0x80, v1
	s_cbranch_execz .LBB363_193
; %bb.188:                              ;   in Loop: Header=BB363_10 Depth=1
	v_bfe_u32 v100, v99, 16, 7
	v_mov_b32_e32 v98, 0x7f800001
	s_mov_b32 s40, exec_lo
	v_cmpx_ne_u32_e32 0x7f, v100
	s_cbranch_execz .LBB363_192
; %bb.189:                              ;   in Loop: Header=BB363_10 Depth=1
	v_and_b32_sdwa v1, v99, v72 dst_sel:DWORD dst_unused:UNUSED_PAD src0_sel:WORD_1 src1_sel:DWORD
	v_lshrrev_b32_e32 v98, 3, v100
	s_mov_b32 s41, exec_lo
	v_cmpx_gt_u32_e32 8, v100
; %bb.190:                              ;   in Loop: Header=BB363_10 Depth=1
	v_ffbh_u32_e32 v98, v1
	v_min_u32_e32 v98, 32, v98
	v_subrev_nc_u32_e32 v100, 28, v98
	v_sub_nc_u32_e32 v98, 29, v98
	v_lshlrev_b64 v[100:101], v100, v[1:2]
	v_and_b32_e32 v1, 7, v100
; %bb.191:                              ;   in Loop: Header=BB363_10 Depth=1
	s_or_b32 exec_lo, exec_lo, s41
	v_lshlrev_b32_sdwa v100, v73, v99 dst_sel:DWORD dst_unused:UNUSED_PAD src0_sel:DWORD src1_sel:WORD_1
	v_lshlrev_b32_e32 v1, 20, v1
	v_lshl_add_u32 v98, v98, 23, 0x3c000000
	v_and_b32_e32 v100, 0x80000000, v100
	v_or3_b32 v98, v1, v100, v98
.LBB363_192:                            ;   in Loop: Header=BB363_10 Depth=1
	s_or_b32 exec_lo, exec_lo, s40
.LBB363_193:                            ;   in Loop: Header=BB363_10 Depth=1
	s_or_b32 exec_lo, exec_lo, s39
.LBB363_194:                            ;   in Loop: Header=BB363_10 Depth=1
	s_or_b32 exec_lo, exec_lo, s3
	s_mov_b32 s3, exec_lo
	v_cmpx_lt_u32_e32 0xffffff, v99
	s_cbranch_execz .LBB363_202
; %bb.195:                              ;   in Loop: Header=BB363_10 Depth=1
	v_cmp_ne_u32_sdwa s2, v99, v69 src0_sel:BYTE_3 src1_sel:DWORD
	v_bfrev_b32_e32 v97, 1
	s_and_saveexec_b32 s39, s2
	s_cbranch_execz .LBB363_201
; %bb.196:                              ;   in Loop: Header=BB363_10 Depth=1
	v_bfe_u32 v100, v99, 24, 7
	v_mov_b32_e32 v97, 0x7f800001
	s_mov_b32 s40, exec_lo
	v_cmpx_ne_u32_e32 0x7f, v100
	s_cbranch_execz .LBB363_200
; %bb.197:                              ;   in Loop: Header=BB363_10 Depth=1
	v_and_b32_sdwa v1, v99, v72 dst_sel:DWORD dst_unused:UNUSED_PAD src0_sel:BYTE_3 src1_sel:DWORD
	v_lshrrev_b32_e32 v97, 3, v100
	s_mov_b32 s41, exec_lo
	v_cmpx_gt_u32_e32 8, v100
; %bb.198:                              ;   in Loop: Header=BB363_10 Depth=1
	v_ffbh_u32_e32 v97, v1
	v_min_u32_e32 v97, 32, v97
	v_subrev_nc_u32_e32 v100, 28, v97
	v_sub_nc_u32_e32 v97, 29, v97
	v_lshlrev_b64 v[100:101], v100, v[1:2]
	v_and_b32_e32 v1, 7, v100
; %bb.199:                              ;   in Loop: Header=BB363_10 Depth=1
	s_or_b32 exec_lo, exec_lo, s41
	v_lshlrev_b32_sdwa v99, v73, v99 dst_sel:DWORD dst_unused:UNUSED_PAD src0_sel:DWORD src1_sel:BYTE_3
	v_lshlrev_b32_e32 v1, 20, v1
	v_lshl_add_u32 v97, v97, 23, 0x3c000000
	v_and_b32_e32 v99, 0x80000000, v99
	v_or3_b32 v97, v1, v99, v97
.LBB363_200:                            ;   in Loop: Header=BB363_10 Depth=1
	s_or_b32 exec_lo, exec_lo, s40
.LBB363_201:                            ;   in Loop: Header=BB363_10 Depth=1
	s_or_b32 exec_lo, exec_lo, s39
.LBB363_202:                            ;   in Loop: Header=BB363_10 Depth=1
	s_or_b32 exec_lo, exec_lo, s3
	global_load_dword v103, v[7:8], off offset:768
	v_mov_b32_e32 v100, 0
	v_mov_b32_e32 v99, 0
	s_waitcnt vmcnt(0)
	v_cmp_ne_u16_sdwa s2, v103, v2 src0_sel:BYTE_0 src1_sel:DWORD
	s_and_saveexec_b32 s3, s2
	s_cbranch_execz .LBB363_210
; %bb.203:                              ;   in Loop: Header=BB363_10 Depth=1
	v_cmp_ne_u16_sdwa s2, v103, v69 src0_sel:BYTE_0 src1_sel:DWORD
	v_bfrev_b32_e32 v99, 1
	s_and_saveexec_b32 s39, s2
	s_cbranch_execz .LBB363_209
; %bb.204:                              ;   in Loop: Header=BB363_10 Depth=1
	v_and_b32_e32 v101, 0x7f, v103
	v_mov_b32_e32 v99, 0x7f800001
	s_mov_b32 s40, exec_lo
	v_cmpx_ne_u32_e32 0x7f, v101
	s_cbranch_execz .LBB363_208
; %bb.205:                              ;   in Loop: Header=BB363_10 Depth=1
	v_and_b32_e32 v1, 7, v103
	v_lshrrev_b32_e32 v99, 3, v101
	s_mov_b32 s41, exec_lo
	v_cmpx_gt_u32_e32 8, v101
; %bb.206:                              ;   in Loop: Header=BB363_10 Depth=1
	v_ffbh_u32_e32 v99, v1
	v_min_u32_e32 v99, 32, v99
	v_subrev_nc_u32_e32 v101, 28, v99
	v_sub_nc_u32_e32 v99, 29, v99
	v_lshlrev_b64 v[101:102], v101, v[1:2]
	v_and_b32_e32 v1, 7, v101
; %bb.207:                              ;   in Loop: Header=BB363_10 Depth=1
	s_or_b32 exec_lo, exec_lo, s41
	v_lshlrev_b32_e32 v101, 24, v103
	v_lshlrev_b32_e32 v1, 20, v1
	v_lshl_add_u32 v99, v99, 23, 0x3c000000
	v_and_b32_e32 v101, 0x80000000, v101
	v_or3_b32 v99, v1, v101, v99
.LBB363_208:                            ;   in Loop: Header=BB363_10 Depth=1
	s_or_b32 exec_lo, exec_lo, s40
.LBB363_209:                            ;   in Loop: Header=BB363_10 Depth=1
	s_or_b32 exec_lo, exec_lo, s39
.LBB363_210:                            ;   in Loop: Header=BB363_10 Depth=1
	s_or_b32 exec_lo, exec_lo, s3
	v_cmp_ne_u16_sdwa s2, v103, v2 src0_sel:BYTE_1 src1_sel:DWORD
	s_and_saveexec_b32 s3, s2
	s_cbranch_execz .LBB363_218
; %bb.211:                              ;   in Loop: Header=BB363_10 Depth=1
	v_cmp_ne_u16_sdwa s2, v103, v69 src0_sel:BYTE_1 src1_sel:DWORD
	v_bfrev_b32_e32 v100, 1
	s_and_saveexec_b32 s39, s2
	s_cbranch_execz .LBB363_217
; %bb.212:                              ;   in Loop: Header=BB363_10 Depth=1
	v_and_b32_sdwa v1, v70, v103 dst_sel:DWORD dst_unused:UNUSED_PAD src0_sel:DWORD src1_sel:BYTE_1
	v_mov_b32_e32 v100, 0x7f800001
	s_mov_b32 s40, exec_lo
	v_and_b32_e32 v101, 0x7f, v1
	v_cmpx_ne_u32_e32 0x7f, v101
	s_cbranch_execz .LBB363_216
; %bb.213:                              ;   in Loop: Header=BB363_10 Depth=1
	v_and_b32_e32 v1, 7, v1
	v_lshrrev_b32_e32 v100, 3, v101
	s_mov_b32 s41, exec_lo
	v_cmpx_gt_u32_e32 8, v101
; %bb.214:                              ;   in Loop: Header=BB363_10 Depth=1
	v_ffbh_u32_e32 v100, v1
	v_min_u32_e32 v100, 32, v100
	v_subrev_nc_u32_e32 v101, 28, v100
	v_sub_nc_u32_e32 v100, 29, v100
	v_lshlrev_b64 v[101:102], v101, v[1:2]
	v_and_b32_e32 v1, 7, v101
; %bb.215:                              ;   in Loop: Header=BB363_10 Depth=1
	s_or_b32 exec_lo, exec_lo, s41
	v_lshlrev_b32_e32 v101, 16, v103
	v_lshlrev_b32_e32 v1, 20, v1
	v_lshl_add_u32 v100, v100, 23, 0x3c000000
	v_and_b32_e32 v101, 0x80000000, v101
	v_or3_b32 v100, v1, v101, v100
.LBB363_216:                            ;   in Loop: Header=BB363_10 Depth=1
	s_or_b32 exec_lo, exec_lo, s40
.LBB363_217:                            ;   in Loop: Header=BB363_10 Depth=1
	s_or_b32 exec_lo, exec_lo, s39
.LBB363_218:                            ;   in Loop: Header=BB363_10 Depth=1
	s_or_b32 exec_lo, exec_lo, s3
	v_and_b32_sdwa v1, v103, v71 dst_sel:DWORD dst_unused:UNUSED_PAD src0_sel:WORD_1 src1_sel:DWORD
	v_mov_b32_e32 v101, 0
	v_mov_b32_e32 v102, 0
	s_mov_b32 s3, exec_lo
	v_cmpx_ne_u16_e32 0, v1
	s_cbranch_execz .LBB363_226
; %bb.219:                              ;   in Loop: Header=BB363_10 Depth=1
	v_bfrev_b32_e32 v102, 1
	s_mov_b32 s39, exec_lo
	v_cmpx_ne_u16_e32 0x80, v1
	s_cbranch_execz .LBB363_225
; %bb.220:                              ;   in Loop: Header=BB363_10 Depth=1
	v_bfe_u32 v104, v103, 16, 7
	v_mov_b32_e32 v102, 0x7f800001
	s_mov_b32 s40, exec_lo
	v_cmpx_ne_u32_e32 0x7f, v104
	s_cbranch_execz .LBB363_224
; %bb.221:                              ;   in Loop: Header=BB363_10 Depth=1
	v_and_b32_sdwa v1, v103, v72 dst_sel:DWORD dst_unused:UNUSED_PAD src0_sel:WORD_1 src1_sel:DWORD
	v_lshrrev_b32_e32 v102, 3, v104
	s_mov_b32 s41, exec_lo
	v_cmpx_gt_u32_e32 8, v104
; %bb.222:                              ;   in Loop: Header=BB363_10 Depth=1
	v_ffbh_u32_e32 v102, v1
	v_min_u32_e32 v102, 32, v102
	v_subrev_nc_u32_e32 v104, 28, v102
	v_sub_nc_u32_e32 v102, 29, v102
	v_lshlrev_b64 v[104:105], v104, v[1:2]
	v_and_b32_e32 v1, 7, v104
; %bb.223:                              ;   in Loop: Header=BB363_10 Depth=1
	s_or_b32 exec_lo, exec_lo, s41
	v_lshlrev_b32_sdwa v104, v73, v103 dst_sel:DWORD dst_unused:UNUSED_PAD src0_sel:DWORD src1_sel:WORD_1
	v_lshlrev_b32_e32 v1, 20, v1
	v_lshl_add_u32 v102, v102, 23, 0x3c000000
	v_and_b32_e32 v104, 0x80000000, v104
	v_or3_b32 v102, v1, v104, v102
.LBB363_224:                            ;   in Loop: Header=BB363_10 Depth=1
	s_or_b32 exec_lo, exec_lo, s40
.LBB363_225:                            ;   in Loop: Header=BB363_10 Depth=1
	s_or_b32 exec_lo, exec_lo, s39
.LBB363_226:                            ;   in Loop: Header=BB363_10 Depth=1
	s_or_b32 exec_lo, exec_lo, s3
	s_mov_b32 s3, exec_lo
	v_cmpx_lt_u32_e32 0xffffff, v103
	s_cbranch_execz .LBB363_234
; %bb.227:                              ;   in Loop: Header=BB363_10 Depth=1
	v_cmp_ne_u32_sdwa s2, v103, v69 src0_sel:BYTE_3 src1_sel:DWORD
	v_bfrev_b32_e32 v101, 1
	s_and_saveexec_b32 s39, s2
	s_cbranch_execz .LBB363_233
; %bb.228:                              ;   in Loop: Header=BB363_10 Depth=1
	v_bfe_u32 v104, v103, 24, 7
	v_mov_b32_e32 v101, 0x7f800001
	s_mov_b32 s40, exec_lo
	v_cmpx_ne_u32_e32 0x7f, v104
	s_cbranch_execz .LBB363_232
; %bb.229:                              ;   in Loop: Header=BB363_10 Depth=1
	v_and_b32_sdwa v1, v103, v72 dst_sel:DWORD dst_unused:UNUSED_PAD src0_sel:BYTE_3 src1_sel:DWORD
	v_lshrrev_b32_e32 v101, 3, v104
	s_mov_b32 s41, exec_lo
	v_cmpx_gt_u32_e32 8, v104
; %bb.230:                              ;   in Loop: Header=BB363_10 Depth=1
	v_ffbh_u32_e32 v101, v1
	v_min_u32_e32 v101, 32, v101
	v_subrev_nc_u32_e32 v104, 28, v101
	v_sub_nc_u32_e32 v101, 29, v101
	v_lshlrev_b64 v[104:105], v104, v[1:2]
	v_and_b32_e32 v1, 7, v104
; %bb.231:                              ;   in Loop: Header=BB363_10 Depth=1
	s_or_b32 exec_lo, exec_lo, s41
	v_lshlrev_b32_sdwa v103, v73, v103 dst_sel:DWORD dst_unused:UNUSED_PAD src0_sel:DWORD src1_sel:BYTE_3
	v_lshlrev_b32_e32 v1, 20, v1
	v_lshl_add_u32 v101, v101, 23, 0x3c000000
	v_and_b32_e32 v103, 0x80000000, v103
	v_or3_b32 v101, v1, v103, v101
.LBB363_232:                            ;   in Loop: Header=BB363_10 Depth=1
	s_or_b32 exec_lo, exec_lo, s40
.LBB363_233:                            ;   in Loop: Header=BB363_10 Depth=1
	s_or_b32 exec_lo, exec_lo, s39
.LBB363_234:                            ;   in Loop: Header=BB363_10 Depth=1
	s_or_b32 exec_lo, exec_lo, s3
	global_load_dword v107, v[7:8], off offset:776
	v_mov_b32_e32 v104, 0
	v_mov_b32_e32 v103, 0
	s_waitcnt vmcnt(0)
	v_cmp_ne_u16_sdwa s2, v107, v2 src0_sel:BYTE_0 src1_sel:DWORD
	s_and_saveexec_b32 s3, s2
	s_cbranch_execz .LBB363_242
; %bb.235:                              ;   in Loop: Header=BB363_10 Depth=1
	v_cmp_ne_u16_sdwa s2, v107, v69 src0_sel:BYTE_0 src1_sel:DWORD
	v_bfrev_b32_e32 v103, 1
	s_and_saveexec_b32 s39, s2
	s_cbranch_execz .LBB363_241
; %bb.236:                              ;   in Loop: Header=BB363_10 Depth=1
	v_and_b32_e32 v105, 0x7f, v107
	v_mov_b32_e32 v103, 0x7f800001
	s_mov_b32 s40, exec_lo
	v_cmpx_ne_u32_e32 0x7f, v105
	s_cbranch_execz .LBB363_240
; %bb.237:                              ;   in Loop: Header=BB363_10 Depth=1
	v_and_b32_e32 v1, 7, v107
	v_lshrrev_b32_e32 v103, 3, v105
	s_mov_b32 s41, exec_lo
	v_cmpx_gt_u32_e32 8, v105
; %bb.238:                              ;   in Loop: Header=BB363_10 Depth=1
	v_ffbh_u32_e32 v103, v1
	v_min_u32_e32 v103, 32, v103
	v_subrev_nc_u32_e32 v105, 28, v103
	v_sub_nc_u32_e32 v103, 29, v103
	v_lshlrev_b64 v[105:106], v105, v[1:2]
	v_and_b32_e32 v1, 7, v105
; %bb.239:                              ;   in Loop: Header=BB363_10 Depth=1
	s_or_b32 exec_lo, exec_lo, s41
	v_lshlrev_b32_e32 v105, 24, v107
	v_lshlrev_b32_e32 v1, 20, v1
	v_lshl_add_u32 v103, v103, 23, 0x3c000000
	v_and_b32_e32 v105, 0x80000000, v105
	v_or3_b32 v103, v1, v105, v103
.LBB363_240:                            ;   in Loop: Header=BB363_10 Depth=1
	s_or_b32 exec_lo, exec_lo, s40
.LBB363_241:                            ;   in Loop: Header=BB363_10 Depth=1
	s_or_b32 exec_lo, exec_lo, s39
.LBB363_242:                            ;   in Loop: Header=BB363_10 Depth=1
	s_or_b32 exec_lo, exec_lo, s3
	v_cmp_ne_u16_sdwa s2, v107, v2 src0_sel:BYTE_1 src1_sel:DWORD
	s_and_saveexec_b32 s3, s2
	s_cbranch_execz .LBB363_250
; %bb.243:                              ;   in Loop: Header=BB363_10 Depth=1
	v_cmp_ne_u16_sdwa s2, v107, v69 src0_sel:BYTE_1 src1_sel:DWORD
	v_bfrev_b32_e32 v104, 1
	s_and_saveexec_b32 s39, s2
	s_cbranch_execz .LBB363_249
; %bb.244:                              ;   in Loop: Header=BB363_10 Depth=1
	v_and_b32_sdwa v1, v70, v107 dst_sel:DWORD dst_unused:UNUSED_PAD src0_sel:DWORD src1_sel:BYTE_1
	v_mov_b32_e32 v104, 0x7f800001
	s_mov_b32 s40, exec_lo
	v_and_b32_e32 v105, 0x7f, v1
	v_cmpx_ne_u32_e32 0x7f, v105
	s_cbranch_execz .LBB363_248
; %bb.245:                              ;   in Loop: Header=BB363_10 Depth=1
	v_and_b32_e32 v1, 7, v1
	v_lshrrev_b32_e32 v104, 3, v105
	s_mov_b32 s41, exec_lo
	v_cmpx_gt_u32_e32 8, v105
; %bb.246:                              ;   in Loop: Header=BB363_10 Depth=1
	v_ffbh_u32_e32 v104, v1
	v_min_u32_e32 v104, 32, v104
	v_subrev_nc_u32_e32 v105, 28, v104
	v_sub_nc_u32_e32 v104, 29, v104
	v_lshlrev_b64 v[105:106], v105, v[1:2]
	v_and_b32_e32 v1, 7, v105
; %bb.247:                              ;   in Loop: Header=BB363_10 Depth=1
	s_or_b32 exec_lo, exec_lo, s41
	v_lshlrev_b32_e32 v105, 16, v107
	v_lshlrev_b32_e32 v1, 20, v1
	v_lshl_add_u32 v104, v104, 23, 0x3c000000
	v_and_b32_e32 v105, 0x80000000, v105
	v_or3_b32 v104, v1, v105, v104
.LBB363_248:                            ;   in Loop: Header=BB363_10 Depth=1
	s_or_b32 exec_lo, exec_lo, s40
.LBB363_249:                            ;   in Loop: Header=BB363_10 Depth=1
	s_or_b32 exec_lo, exec_lo, s39
.LBB363_250:                            ;   in Loop: Header=BB363_10 Depth=1
	s_or_b32 exec_lo, exec_lo, s3
	v_and_b32_sdwa v1, v107, v71 dst_sel:DWORD dst_unused:UNUSED_PAD src0_sel:WORD_1 src1_sel:DWORD
	v_mov_b32_e32 v105, 0
	v_mov_b32_e32 v106, 0
	s_mov_b32 s3, exec_lo
	v_cmpx_ne_u16_e32 0, v1
	s_cbranch_execz .LBB363_258
; %bb.251:                              ;   in Loop: Header=BB363_10 Depth=1
	v_bfrev_b32_e32 v106, 1
	s_mov_b32 s39, exec_lo
	v_cmpx_ne_u16_e32 0x80, v1
	s_cbranch_execz .LBB363_257
; %bb.252:                              ;   in Loop: Header=BB363_10 Depth=1
	v_bfe_u32 v108, v107, 16, 7
	v_mov_b32_e32 v106, 0x7f800001
	s_mov_b32 s40, exec_lo
	v_cmpx_ne_u32_e32 0x7f, v108
	s_cbranch_execz .LBB363_256
; %bb.253:                              ;   in Loop: Header=BB363_10 Depth=1
	v_and_b32_sdwa v1, v107, v72 dst_sel:DWORD dst_unused:UNUSED_PAD src0_sel:WORD_1 src1_sel:DWORD
	v_lshrrev_b32_e32 v106, 3, v108
	s_mov_b32 s41, exec_lo
	v_cmpx_gt_u32_e32 8, v108
; %bb.254:                              ;   in Loop: Header=BB363_10 Depth=1
	v_ffbh_u32_e32 v106, v1
	v_min_u32_e32 v106, 32, v106
	v_subrev_nc_u32_e32 v108, 28, v106
	v_sub_nc_u32_e32 v106, 29, v106
	v_lshlrev_b64 v[108:109], v108, v[1:2]
	v_and_b32_e32 v1, 7, v108
; %bb.255:                              ;   in Loop: Header=BB363_10 Depth=1
	s_or_b32 exec_lo, exec_lo, s41
	v_lshlrev_b32_sdwa v108, v73, v107 dst_sel:DWORD dst_unused:UNUSED_PAD src0_sel:DWORD src1_sel:WORD_1
	v_lshlrev_b32_e32 v1, 20, v1
	v_lshl_add_u32 v106, v106, 23, 0x3c000000
	v_and_b32_e32 v108, 0x80000000, v108
	v_or3_b32 v106, v1, v108, v106
.LBB363_256:                            ;   in Loop: Header=BB363_10 Depth=1
	s_or_b32 exec_lo, exec_lo, s40
.LBB363_257:                            ;   in Loop: Header=BB363_10 Depth=1
	s_or_b32 exec_lo, exec_lo, s39
.LBB363_258:                            ;   in Loop: Header=BB363_10 Depth=1
	s_or_b32 exec_lo, exec_lo, s3
	s_mov_b32 s3, exec_lo
	v_cmpx_lt_u32_e32 0xffffff, v107
	s_cbranch_execz .LBB363_266
; %bb.259:                              ;   in Loop: Header=BB363_10 Depth=1
	v_cmp_ne_u32_sdwa s2, v107, v69 src0_sel:BYTE_3 src1_sel:DWORD
	v_bfrev_b32_e32 v105, 1
	s_and_saveexec_b32 s39, s2
	s_cbranch_execz .LBB363_265
; %bb.260:                              ;   in Loop: Header=BB363_10 Depth=1
	v_bfe_u32 v108, v107, 24, 7
	v_mov_b32_e32 v105, 0x7f800001
	s_mov_b32 s40, exec_lo
	v_cmpx_ne_u32_e32 0x7f, v108
	s_cbranch_execz .LBB363_264
; %bb.261:                              ;   in Loop: Header=BB363_10 Depth=1
	v_and_b32_sdwa v1, v107, v72 dst_sel:DWORD dst_unused:UNUSED_PAD src0_sel:BYTE_3 src1_sel:DWORD
	v_lshrrev_b32_e32 v105, 3, v108
	s_mov_b32 s41, exec_lo
	v_cmpx_gt_u32_e32 8, v108
; %bb.262:                              ;   in Loop: Header=BB363_10 Depth=1
	v_ffbh_u32_e32 v105, v1
	v_min_u32_e32 v105, 32, v105
	v_subrev_nc_u32_e32 v108, 28, v105
	v_sub_nc_u32_e32 v105, 29, v105
	v_lshlrev_b64 v[108:109], v108, v[1:2]
	v_and_b32_e32 v1, 7, v108
; %bb.263:                              ;   in Loop: Header=BB363_10 Depth=1
	s_or_b32 exec_lo, exec_lo, s41
	v_lshlrev_b32_sdwa v107, v73, v107 dst_sel:DWORD dst_unused:UNUSED_PAD src0_sel:DWORD src1_sel:BYTE_3
	v_lshlrev_b32_e32 v1, 20, v1
	v_lshl_add_u32 v105, v105, 23, 0x3c000000
	v_and_b32_e32 v107, 0x80000000, v107
	v_or3_b32 v105, v1, v107, v105
.LBB363_264:                            ;   in Loop: Header=BB363_10 Depth=1
	s_or_b32 exec_lo, exec_lo, s40
.LBB363_265:                            ;   in Loop: Header=BB363_10 Depth=1
	s_or_b32 exec_lo, exec_lo, s39
.LBB363_266:                            ;   in Loop: Header=BB363_10 Depth=1
	s_or_b32 exec_lo, exec_lo, s3
	global_load_dword v111, v[7:8], off offset:1024
	v_mov_b32_e32 v108, 0
	v_mov_b32_e32 v107, 0
	s_waitcnt vmcnt(0)
	v_cmp_ne_u16_sdwa s2, v111, v2 src0_sel:BYTE_0 src1_sel:DWORD
	s_and_saveexec_b32 s3, s2
	s_cbranch_execz .LBB363_274
; %bb.267:                              ;   in Loop: Header=BB363_10 Depth=1
	v_cmp_ne_u16_sdwa s2, v111, v69 src0_sel:BYTE_0 src1_sel:DWORD
	v_bfrev_b32_e32 v107, 1
	s_and_saveexec_b32 s39, s2
	s_cbranch_execz .LBB363_273
; %bb.268:                              ;   in Loop: Header=BB363_10 Depth=1
	v_and_b32_e32 v109, 0x7f, v111
	v_mov_b32_e32 v107, 0x7f800001
	s_mov_b32 s40, exec_lo
	v_cmpx_ne_u32_e32 0x7f, v109
	s_cbranch_execz .LBB363_272
; %bb.269:                              ;   in Loop: Header=BB363_10 Depth=1
	v_and_b32_e32 v1, 7, v111
	v_lshrrev_b32_e32 v107, 3, v109
	s_mov_b32 s41, exec_lo
	v_cmpx_gt_u32_e32 8, v109
; %bb.270:                              ;   in Loop: Header=BB363_10 Depth=1
	v_ffbh_u32_e32 v107, v1
	v_min_u32_e32 v107, 32, v107
	v_subrev_nc_u32_e32 v109, 28, v107
	v_sub_nc_u32_e32 v107, 29, v107
	v_lshlrev_b64 v[109:110], v109, v[1:2]
	v_and_b32_e32 v1, 7, v109
; %bb.271:                              ;   in Loop: Header=BB363_10 Depth=1
	s_or_b32 exec_lo, exec_lo, s41
	v_lshlrev_b32_e32 v109, 24, v111
	v_lshlrev_b32_e32 v1, 20, v1
	v_lshl_add_u32 v107, v107, 23, 0x3c000000
	v_and_b32_e32 v109, 0x80000000, v109
	v_or3_b32 v107, v1, v109, v107
.LBB363_272:                            ;   in Loop: Header=BB363_10 Depth=1
	s_or_b32 exec_lo, exec_lo, s40
.LBB363_273:                            ;   in Loop: Header=BB363_10 Depth=1
	s_or_b32 exec_lo, exec_lo, s39
.LBB363_274:                            ;   in Loop: Header=BB363_10 Depth=1
	s_or_b32 exec_lo, exec_lo, s3
	v_cmp_ne_u16_sdwa s2, v111, v2 src0_sel:BYTE_1 src1_sel:DWORD
	s_and_saveexec_b32 s3, s2
	s_cbranch_execz .LBB363_282
; %bb.275:                              ;   in Loop: Header=BB363_10 Depth=1
	v_cmp_ne_u16_sdwa s2, v111, v69 src0_sel:BYTE_1 src1_sel:DWORD
	v_bfrev_b32_e32 v108, 1
	s_and_saveexec_b32 s39, s2
	s_cbranch_execz .LBB363_281
; %bb.276:                              ;   in Loop: Header=BB363_10 Depth=1
	v_and_b32_sdwa v1, v70, v111 dst_sel:DWORD dst_unused:UNUSED_PAD src0_sel:DWORD src1_sel:BYTE_1
	v_mov_b32_e32 v108, 0x7f800001
	s_mov_b32 s40, exec_lo
	v_and_b32_e32 v109, 0x7f, v1
	v_cmpx_ne_u32_e32 0x7f, v109
	s_cbranch_execz .LBB363_280
; %bb.277:                              ;   in Loop: Header=BB363_10 Depth=1
	v_and_b32_e32 v1, 7, v1
	v_lshrrev_b32_e32 v108, 3, v109
	s_mov_b32 s41, exec_lo
	v_cmpx_gt_u32_e32 8, v109
; %bb.278:                              ;   in Loop: Header=BB363_10 Depth=1
	v_ffbh_u32_e32 v108, v1
	v_min_u32_e32 v108, 32, v108
	v_subrev_nc_u32_e32 v109, 28, v108
	v_sub_nc_u32_e32 v108, 29, v108
	v_lshlrev_b64 v[109:110], v109, v[1:2]
	v_and_b32_e32 v1, 7, v109
; %bb.279:                              ;   in Loop: Header=BB363_10 Depth=1
	s_or_b32 exec_lo, exec_lo, s41
	v_lshlrev_b32_e32 v109, 16, v111
	v_lshlrev_b32_e32 v1, 20, v1
	v_lshl_add_u32 v108, v108, 23, 0x3c000000
	v_and_b32_e32 v109, 0x80000000, v109
	v_or3_b32 v108, v1, v109, v108
.LBB363_280:                            ;   in Loop: Header=BB363_10 Depth=1
	s_or_b32 exec_lo, exec_lo, s40
.LBB363_281:                            ;   in Loop: Header=BB363_10 Depth=1
	s_or_b32 exec_lo, exec_lo, s39
.LBB363_282:                            ;   in Loop: Header=BB363_10 Depth=1
	s_or_b32 exec_lo, exec_lo, s3
	v_and_b32_sdwa v1, v111, v71 dst_sel:DWORD dst_unused:UNUSED_PAD src0_sel:WORD_1 src1_sel:DWORD
	v_mov_b32_e32 v109, 0
	v_mov_b32_e32 v110, 0
	s_mov_b32 s3, exec_lo
	v_cmpx_ne_u16_e32 0, v1
	s_cbranch_execz .LBB363_290
; %bb.283:                              ;   in Loop: Header=BB363_10 Depth=1
	v_bfrev_b32_e32 v110, 1
	s_mov_b32 s39, exec_lo
	v_cmpx_ne_u16_e32 0x80, v1
	s_cbranch_execz .LBB363_289
; %bb.284:                              ;   in Loop: Header=BB363_10 Depth=1
	v_bfe_u32 v112, v111, 16, 7
	v_mov_b32_e32 v110, 0x7f800001
	s_mov_b32 s40, exec_lo
	v_cmpx_ne_u32_e32 0x7f, v112
	s_cbranch_execz .LBB363_288
; %bb.285:                              ;   in Loop: Header=BB363_10 Depth=1
	v_and_b32_sdwa v1, v111, v72 dst_sel:DWORD dst_unused:UNUSED_PAD src0_sel:WORD_1 src1_sel:DWORD
	v_lshrrev_b32_e32 v110, 3, v112
	s_mov_b32 s41, exec_lo
	v_cmpx_gt_u32_e32 8, v112
; %bb.286:                              ;   in Loop: Header=BB363_10 Depth=1
	v_ffbh_u32_e32 v110, v1
	v_min_u32_e32 v110, 32, v110
	v_subrev_nc_u32_e32 v112, 28, v110
	v_sub_nc_u32_e32 v110, 29, v110
	v_lshlrev_b64 v[112:113], v112, v[1:2]
	v_and_b32_e32 v1, 7, v112
; %bb.287:                              ;   in Loop: Header=BB363_10 Depth=1
	s_or_b32 exec_lo, exec_lo, s41
	v_lshlrev_b32_sdwa v112, v73, v111 dst_sel:DWORD dst_unused:UNUSED_PAD src0_sel:DWORD src1_sel:WORD_1
	v_lshlrev_b32_e32 v1, 20, v1
	v_lshl_add_u32 v110, v110, 23, 0x3c000000
	v_and_b32_e32 v112, 0x80000000, v112
	v_or3_b32 v110, v1, v112, v110
.LBB363_288:                            ;   in Loop: Header=BB363_10 Depth=1
	s_or_b32 exec_lo, exec_lo, s40
.LBB363_289:                            ;   in Loop: Header=BB363_10 Depth=1
	s_or_b32 exec_lo, exec_lo, s39
.LBB363_290:                            ;   in Loop: Header=BB363_10 Depth=1
	s_or_b32 exec_lo, exec_lo, s3
	s_mov_b32 s3, exec_lo
	v_cmpx_lt_u32_e32 0xffffff, v111
	s_cbranch_execz .LBB363_298
; %bb.291:                              ;   in Loop: Header=BB363_10 Depth=1
	v_cmp_ne_u32_sdwa s2, v111, v69 src0_sel:BYTE_3 src1_sel:DWORD
	v_bfrev_b32_e32 v109, 1
	s_and_saveexec_b32 s39, s2
	s_cbranch_execz .LBB363_297
; %bb.292:                              ;   in Loop: Header=BB363_10 Depth=1
	v_bfe_u32 v112, v111, 24, 7
	v_mov_b32_e32 v109, 0x7f800001
	s_mov_b32 s40, exec_lo
	v_cmpx_ne_u32_e32 0x7f, v112
	s_cbranch_execz .LBB363_296
; %bb.293:                              ;   in Loop: Header=BB363_10 Depth=1
	v_and_b32_sdwa v1, v111, v72 dst_sel:DWORD dst_unused:UNUSED_PAD src0_sel:BYTE_3 src1_sel:DWORD
	v_lshrrev_b32_e32 v109, 3, v112
	s_mov_b32 s41, exec_lo
	v_cmpx_gt_u32_e32 8, v112
; %bb.294:                              ;   in Loop: Header=BB363_10 Depth=1
	v_ffbh_u32_e32 v109, v1
	v_min_u32_e32 v109, 32, v109
	v_subrev_nc_u32_e32 v112, 28, v109
	v_sub_nc_u32_e32 v109, 29, v109
	v_lshlrev_b64 v[112:113], v112, v[1:2]
	v_and_b32_e32 v1, 7, v112
; %bb.295:                              ;   in Loop: Header=BB363_10 Depth=1
	s_or_b32 exec_lo, exec_lo, s41
	v_lshlrev_b32_sdwa v111, v73, v111 dst_sel:DWORD dst_unused:UNUSED_PAD src0_sel:DWORD src1_sel:BYTE_3
	v_lshlrev_b32_e32 v1, 20, v1
	v_lshl_add_u32 v109, v109, 23, 0x3c000000
	v_and_b32_e32 v111, 0x80000000, v111
	v_or3_b32 v109, v1, v111, v109
.LBB363_296:                            ;   in Loop: Header=BB363_10 Depth=1
	s_or_b32 exec_lo, exec_lo, s40
.LBB363_297:                            ;   in Loop: Header=BB363_10 Depth=1
	s_or_b32 exec_lo, exec_lo, s39
.LBB363_298:                            ;   in Loop: Header=BB363_10 Depth=1
	s_or_b32 exec_lo, exec_lo, s3
	global_load_dword v115, v[7:8], off offset:1032
	v_mov_b32_e32 v112, 0
	v_mov_b32_e32 v111, 0
	s_waitcnt vmcnt(0)
	v_cmp_ne_u16_sdwa s2, v115, v2 src0_sel:BYTE_0 src1_sel:DWORD
	s_and_saveexec_b32 s3, s2
	s_cbranch_execz .LBB363_306
; %bb.299:                              ;   in Loop: Header=BB363_10 Depth=1
	v_cmp_ne_u16_sdwa s2, v115, v69 src0_sel:BYTE_0 src1_sel:DWORD
	v_bfrev_b32_e32 v111, 1
	s_and_saveexec_b32 s39, s2
	s_cbranch_execz .LBB363_305
; %bb.300:                              ;   in Loop: Header=BB363_10 Depth=1
	v_and_b32_e32 v113, 0x7f, v115
	v_mov_b32_e32 v111, 0x7f800001
	s_mov_b32 s40, exec_lo
	v_cmpx_ne_u32_e32 0x7f, v113
	s_cbranch_execz .LBB363_304
; %bb.301:                              ;   in Loop: Header=BB363_10 Depth=1
	v_and_b32_e32 v1, 7, v115
	v_lshrrev_b32_e32 v111, 3, v113
	s_mov_b32 s41, exec_lo
	v_cmpx_gt_u32_e32 8, v113
; %bb.302:                              ;   in Loop: Header=BB363_10 Depth=1
	v_ffbh_u32_e32 v111, v1
	v_min_u32_e32 v111, 32, v111
	v_subrev_nc_u32_e32 v113, 28, v111
	v_sub_nc_u32_e32 v111, 29, v111
	v_lshlrev_b64 v[113:114], v113, v[1:2]
	v_and_b32_e32 v1, 7, v113
; %bb.303:                              ;   in Loop: Header=BB363_10 Depth=1
	s_or_b32 exec_lo, exec_lo, s41
	v_lshlrev_b32_e32 v113, 24, v115
	v_lshlrev_b32_e32 v1, 20, v1
	v_lshl_add_u32 v111, v111, 23, 0x3c000000
	v_and_b32_e32 v113, 0x80000000, v113
	v_or3_b32 v111, v1, v113, v111
.LBB363_304:                            ;   in Loop: Header=BB363_10 Depth=1
	s_or_b32 exec_lo, exec_lo, s40
.LBB363_305:                            ;   in Loop: Header=BB363_10 Depth=1
	s_or_b32 exec_lo, exec_lo, s39
.LBB363_306:                            ;   in Loop: Header=BB363_10 Depth=1
	s_or_b32 exec_lo, exec_lo, s3
	v_cmp_ne_u16_sdwa s2, v115, v2 src0_sel:BYTE_1 src1_sel:DWORD
	s_and_saveexec_b32 s3, s2
	s_cbranch_execz .LBB363_314
; %bb.307:                              ;   in Loop: Header=BB363_10 Depth=1
	v_cmp_ne_u16_sdwa s2, v115, v69 src0_sel:BYTE_1 src1_sel:DWORD
	v_bfrev_b32_e32 v112, 1
	s_and_saveexec_b32 s39, s2
	s_cbranch_execz .LBB363_313
; %bb.308:                              ;   in Loop: Header=BB363_10 Depth=1
	v_and_b32_sdwa v1, v70, v115 dst_sel:DWORD dst_unused:UNUSED_PAD src0_sel:DWORD src1_sel:BYTE_1
	v_mov_b32_e32 v112, 0x7f800001
	s_mov_b32 s40, exec_lo
	v_and_b32_e32 v113, 0x7f, v1
	v_cmpx_ne_u32_e32 0x7f, v113
	s_cbranch_execz .LBB363_312
; %bb.309:                              ;   in Loop: Header=BB363_10 Depth=1
	v_and_b32_e32 v1, 7, v1
	v_lshrrev_b32_e32 v112, 3, v113
	s_mov_b32 s41, exec_lo
	v_cmpx_gt_u32_e32 8, v113
; %bb.310:                              ;   in Loop: Header=BB363_10 Depth=1
	v_ffbh_u32_e32 v112, v1
	v_min_u32_e32 v112, 32, v112
	v_subrev_nc_u32_e32 v113, 28, v112
	v_sub_nc_u32_e32 v112, 29, v112
	v_lshlrev_b64 v[113:114], v113, v[1:2]
	v_and_b32_e32 v1, 7, v113
; %bb.311:                              ;   in Loop: Header=BB363_10 Depth=1
	s_or_b32 exec_lo, exec_lo, s41
	v_lshlrev_b32_e32 v113, 16, v115
	v_lshlrev_b32_e32 v1, 20, v1
	v_lshl_add_u32 v112, v112, 23, 0x3c000000
	v_and_b32_e32 v113, 0x80000000, v113
	v_or3_b32 v112, v1, v113, v112
.LBB363_312:                            ;   in Loop: Header=BB363_10 Depth=1
	s_or_b32 exec_lo, exec_lo, s40
.LBB363_313:                            ;   in Loop: Header=BB363_10 Depth=1
	s_or_b32 exec_lo, exec_lo, s39
.LBB363_314:                            ;   in Loop: Header=BB363_10 Depth=1
	s_or_b32 exec_lo, exec_lo, s3
	v_and_b32_sdwa v1, v115, v71 dst_sel:DWORD dst_unused:UNUSED_PAD src0_sel:WORD_1 src1_sel:DWORD
	v_mov_b32_e32 v113, 0
	v_mov_b32_e32 v114, 0
	s_mov_b32 s3, exec_lo
	v_cmpx_ne_u16_e32 0, v1
	s_cbranch_execz .LBB363_322
; %bb.315:                              ;   in Loop: Header=BB363_10 Depth=1
	v_bfrev_b32_e32 v114, 1
	s_mov_b32 s39, exec_lo
	v_cmpx_ne_u16_e32 0x80, v1
	s_cbranch_execz .LBB363_321
; %bb.316:                              ;   in Loop: Header=BB363_10 Depth=1
	v_bfe_u32 v116, v115, 16, 7
	v_mov_b32_e32 v114, 0x7f800001
	s_mov_b32 s40, exec_lo
	v_cmpx_ne_u32_e32 0x7f, v116
	s_cbranch_execz .LBB363_320
; %bb.317:                              ;   in Loop: Header=BB363_10 Depth=1
	v_and_b32_sdwa v1, v115, v72 dst_sel:DWORD dst_unused:UNUSED_PAD src0_sel:WORD_1 src1_sel:DWORD
	v_lshrrev_b32_e32 v114, 3, v116
	s_mov_b32 s41, exec_lo
	v_cmpx_gt_u32_e32 8, v116
; %bb.318:                              ;   in Loop: Header=BB363_10 Depth=1
	v_ffbh_u32_e32 v114, v1
	v_min_u32_e32 v114, 32, v114
	v_subrev_nc_u32_e32 v116, 28, v114
	v_sub_nc_u32_e32 v114, 29, v114
	v_lshlrev_b64 v[116:117], v116, v[1:2]
	v_and_b32_e32 v1, 7, v116
; %bb.319:                              ;   in Loop: Header=BB363_10 Depth=1
	s_or_b32 exec_lo, exec_lo, s41
	v_lshlrev_b32_sdwa v116, v73, v115 dst_sel:DWORD dst_unused:UNUSED_PAD src0_sel:DWORD src1_sel:WORD_1
	v_lshlrev_b32_e32 v1, 20, v1
	v_lshl_add_u32 v114, v114, 23, 0x3c000000
	v_and_b32_e32 v116, 0x80000000, v116
	v_or3_b32 v114, v1, v116, v114
.LBB363_320:                            ;   in Loop: Header=BB363_10 Depth=1
	s_or_b32 exec_lo, exec_lo, s40
.LBB363_321:                            ;   in Loop: Header=BB363_10 Depth=1
	s_or_b32 exec_lo, exec_lo, s39
.LBB363_322:                            ;   in Loop: Header=BB363_10 Depth=1
	s_or_b32 exec_lo, exec_lo, s3
	s_mov_b32 s3, exec_lo
	v_cmpx_lt_u32_e32 0xffffff, v115
	s_cbranch_execz .LBB363_330
; %bb.323:                              ;   in Loop: Header=BB363_10 Depth=1
	v_cmp_ne_u32_sdwa s2, v115, v69 src0_sel:BYTE_3 src1_sel:DWORD
	v_bfrev_b32_e32 v113, 1
	s_and_saveexec_b32 s39, s2
	s_cbranch_execz .LBB363_329
; %bb.324:                              ;   in Loop: Header=BB363_10 Depth=1
	v_bfe_u32 v116, v115, 24, 7
	v_mov_b32_e32 v113, 0x7f800001
	s_mov_b32 s40, exec_lo
	v_cmpx_ne_u32_e32 0x7f, v116
	s_cbranch_execz .LBB363_328
; %bb.325:                              ;   in Loop: Header=BB363_10 Depth=1
	v_and_b32_sdwa v1, v115, v72 dst_sel:DWORD dst_unused:UNUSED_PAD src0_sel:BYTE_3 src1_sel:DWORD
	v_lshrrev_b32_e32 v113, 3, v116
	s_mov_b32 s41, exec_lo
	v_cmpx_gt_u32_e32 8, v116
; %bb.326:                              ;   in Loop: Header=BB363_10 Depth=1
	v_ffbh_u32_e32 v113, v1
	v_min_u32_e32 v113, 32, v113
	v_subrev_nc_u32_e32 v116, 28, v113
	v_sub_nc_u32_e32 v113, 29, v113
	v_lshlrev_b64 v[116:117], v116, v[1:2]
	v_and_b32_e32 v1, 7, v116
; %bb.327:                              ;   in Loop: Header=BB363_10 Depth=1
	s_or_b32 exec_lo, exec_lo, s41
	v_lshlrev_b32_sdwa v115, v73, v115 dst_sel:DWORD dst_unused:UNUSED_PAD src0_sel:DWORD src1_sel:BYTE_3
	v_lshlrev_b32_e32 v1, 20, v1
	v_lshl_add_u32 v113, v113, 23, 0x3c000000
	v_and_b32_e32 v115, 0x80000000, v115
	v_or3_b32 v113, v1, v115, v113
.LBB363_328:                            ;   in Loop: Header=BB363_10 Depth=1
	s_or_b32 exec_lo, exec_lo, s40
.LBB363_329:                            ;   in Loop: Header=BB363_10 Depth=1
	s_or_b32 exec_lo, exec_lo, s39
.LBB363_330:                            ;   in Loop: Header=BB363_10 Depth=1
	s_or_b32 exec_lo, exec_lo, s3
	global_load_dword v117, v[7:8], off offset:1280
	v_mov_b32_e32 v116, 0
	v_mov_b32_e32 v115, 0
	s_waitcnt vmcnt(0)
	v_cmp_ne_u16_sdwa s2, v117, v2 src0_sel:BYTE_0 src1_sel:DWORD
	s_and_saveexec_b32 s3, s2
	s_cbranch_execz .LBB363_338
; %bb.331:                              ;   in Loop: Header=BB363_10 Depth=1
	v_cmp_ne_u16_sdwa s2, v117, v69 src0_sel:BYTE_0 src1_sel:DWORD
	v_bfrev_b32_e32 v115, 1
	s_and_saveexec_b32 s39, s2
	s_cbranch_execz .LBB363_337
; %bb.332:                              ;   in Loop: Header=BB363_10 Depth=1
	v_and_b32_e32 v118, 0x7f, v117
	v_mov_b32_e32 v115, 0x7f800001
	s_mov_b32 s40, exec_lo
	v_cmpx_ne_u32_e32 0x7f, v118
	s_cbranch_execz .LBB363_336
; %bb.333:                              ;   in Loop: Header=BB363_10 Depth=1
	v_and_b32_e32 v1, 7, v117
	v_lshrrev_b32_e32 v115, 3, v118
	s_mov_b32 s41, exec_lo
	v_cmpx_gt_u32_e32 8, v118
; %bb.334:                              ;   in Loop: Header=BB363_10 Depth=1
	v_ffbh_u32_e32 v115, v1
	v_min_u32_e32 v115, 32, v115
	v_subrev_nc_u32_e32 v118, 28, v115
	v_sub_nc_u32_e32 v115, 29, v115
	v_lshlrev_b64 v[118:119], v118, v[1:2]
	v_and_b32_e32 v1, 7, v118
; %bb.335:                              ;   in Loop: Header=BB363_10 Depth=1
	s_or_b32 exec_lo, exec_lo, s41
	v_lshlrev_b32_e32 v118, 24, v117
	v_lshlrev_b32_e32 v1, 20, v1
	v_lshl_add_u32 v115, v115, 23, 0x3c000000
	v_and_b32_e32 v118, 0x80000000, v118
	v_or3_b32 v115, v1, v118, v115
.LBB363_336:                            ;   in Loop: Header=BB363_10 Depth=1
	s_or_b32 exec_lo, exec_lo, s40
.LBB363_337:                            ;   in Loop: Header=BB363_10 Depth=1
	s_or_b32 exec_lo, exec_lo, s39
.LBB363_338:                            ;   in Loop: Header=BB363_10 Depth=1
	s_or_b32 exec_lo, exec_lo, s3
	v_cmp_ne_u16_sdwa s2, v117, v2 src0_sel:BYTE_1 src1_sel:DWORD
	s_and_saveexec_b32 s3, s2
	s_cbranch_execz .LBB363_346
; %bb.339:                              ;   in Loop: Header=BB363_10 Depth=1
	v_cmp_ne_u16_sdwa s2, v117, v69 src0_sel:BYTE_1 src1_sel:DWORD
	v_bfrev_b32_e32 v116, 1
	s_and_saveexec_b32 s39, s2
	s_cbranch_execz .LBB363_345
; %bb.340:                              ;   in Loop: Header=BB363_10 Depth=1
	v_and_b32_sdwa v1, v70, v117 dst_sel:DWORD dst_unused:UNUSED_PAD src0_sel:DWORD src1_sel:BYTE_1
	v_mov_b32_e32 v116, 0x7f800001
	s_mov_b32 s40, exec_lo
	v_and_b32_e32 v118, 0x7f, v1
	v_cmpx_ne_u32_e32 0x7f, v118
	s_cbranch_execz .LBB363_344
; %bb.341:                              ;   in Loop: Header=BB363_10 Depth=1
	v_and_b32_e32 v1, 7, v1
	v_lshrrev_b32_e32 v116, 3, v118
	s_mov_b32 s41, exec_lo
	v_cmpx_gt_u32_e32 8, v118
; %bb.342:                              ;   in Loop: Header=BB363_10 Depth=1
	v_ffbh_u32_e32 v116, v1
	v_min_u32_e32 v116, 32, v116
	v_subrev_nc_u32_e32 v118, 28, v116
	v_sub_nc_u32_e32 v116, 29, v116
	v_lshlrev_b64 v[118:119], v118, v[1:2]
	v_and_b32_e32 v1, 7, v118
; %bb.343:                              ;   in Loop: Header=BB363_10 Depth=1
	s_or_b32 exec_lo, exec_lo, s41
	v_lshlrev_b32_e32 v118, 16, v117
	v_lshlrev_b32_e32 v1, 20, v1
	v_lshl_add_u32 v116, v116, 23, 0x3c000000
	v_and_b32_e32 v118, 0x80000000, v118
	v_or3_b32 v116, v1, v118, v116
.LBB363_344:                            ;   in Loop: Header=BB363_10 Depth=1
	s_or_b32 exec_lo, exec_lo, s40
.LBB363_345:                            ;   in Loop: Header=BB363_10 Depth=1
	s_or_b32 exec_lo, exec_lo, s39
.LBB363_346:                            ;   in Loop: Header=BB363_10 Depth=1
	s_or_b32 exec_lo, exec_lo, s3
	v_and_b32_sdwa v1, v117, v71 dst_sel:DWORD dst_unused:UNUSED_PAD src0_sel:WORD_1 src1_sel:DWORD
	v_mov_b32_e32 v119, 0
	v_mov_b32_e32 v120, 0
	s_mov_b32 s3, exec_lo
	v_cmpx_ne_u16_e32 0, v1
	s_cbranch_execz .LBB363_354
; %bb.347:                              ;   in Loop: Header=BB363_10 Depth=1
	v_bfrev_b32_e32 v120, 1
	s_mov_b32 s39, exec_lo
	v_cmpx_ne_u16_e32 0x80, v1
	s_cbranch_execz .LBB363_353
; %bb.348:                              ;   in Loop: Header=BB363_10 Depth=1
	v_bfe_u32 v121, v117, 16, 7
	v_mov_b32_e32 v120, 0x7f800001
	s_mov_b32 s40, exec_lo
	v_cmpx_ne_u32_e32 0x7f, v121
	s_cbranch_execz .LBB363_352
; %bb.349:                              ;   in Loop: Header=BB363_10 Depth=1
	v_and_b32_sdwa v1, v117, v72 dst_sel:DWORD dst_unused:UNUSED_PAD src0_sel:WORD_1 src1_sel:DWORD
	v_lshrrev_b32_e32 v118, 3, v121
	s_mov_b32 s41, exec_lo
	v_cmpx_gt_u32_e32 8, v121
; %bb.350:                              ;   in Loop: Header=BB363_10 Depth=1
	v_ffbh_u32_e32 v118, v1
	v_min_u32_e32 v118, 32, v118
	v_subrev_nc_u32_e32 v120, 28, v118
	v_sub_nc_u32_e32 v118, 29, v118
	v_lshlrev_b64 v[120:121], v120, v[1:2]
	v_and_b32_e32 v1, 7, v120
; %bb.351:                              ;   in Loop: Header=BB363_10 Depth=1
	s_or_b32 exec_lo, exec_lo, s41
	v_lshlrev_b32_sdwa v120, v73, v117 dst_sel:DWORD dst_unused:UNUSED_PAD src0_sel:DWORD src1_sel:WORD_1
	v_lshlrev_b32_e32 v1, 20, v1
	v_lshl_add_u32 v118, v118, 23, 0x3c000000
	v_and_b32_e32 v120, 0x80000000, v120
	v_or3_b32 v120, v1, v120, v118
.LBB363_352:                            ;   in Loop: Header=BB363_10 Depth=1
	s_or_b32 exec_lo, exec_lo, s40
.LBB363_353:                            ;   in Loop: Header=BB363_10 Depth=1
	s_or_b32 exec_lo, exec_lo, s39
.LBB363_354:                            ;   in Loop: Header=BB363_10 Depth=1
	s_or_b32 exec_lo, exec_lo, s3
	s_mov_b32 s3, exec_lo
	v_cmpx_lt_u32_e32 0xffffff, v117
	s_cbranch_execz .LBB363_362
; %bb.355:                              ;   in Loop: Header=BB363_10 Depth=1
	v_cmp_ne_u32_sdwa s2, v117, v69 src0_sel:BYTE_3 src1_sel:DWORD
	v_bfrev_b32_e32 v119, 1
	s_and_saveexec_b32 s39, s2
	s_cbranch_execz .LBB363_361
; %bb.356:                              ;   in Loop: Header=BB363_10 Depth=1
	v_bfe_u32 v121, v117, 24, 7
	v_mov_b32_e32 v119, 0x7f800001
	s_mov_b32 s40, exec_lo
	v_cmpx_ne_u32_e32 0x7f, v121
	s_cbranch_execz .LBB363_360
; %bb.357:                              ;   in Loop: Header=BB363_10 Depth=1
	v_and_b32_sdwa v1, v117, v72 dst_sel:DWORD dst_unused:UNUSED_PAD src0_sel:BYTE_3 src1_sel:DWORD
	v_lshrrev_b32_e32 v118, 3, v121
	s_mov_b32 s41, exec_lo
	v_cmpx_gt_u32_e32 8, v121
; %bb.358:                              ;   in Loop: Header=BB363_10 Depth=1
	v_ffbh_u32_e32 v118, v1
	v_min_u32_e32 v118, 32, v118
	v_subrev_nc_u32_e32 v119, 28, v118
	v_sub_nc_u32_e32 v118, 29, v118
	v_lshlrev_b64 v[121:122], v119, v[1:2]
	v_and_b32_e32 v1, 7, v121
; %bb.359:                              ;   in Loop: Header=BB363_10 Depth=1
	s_or_b32 exec_lo, exec_lo, s41
	v_lshlrev_b32_sdwa v117, v73, v117 dst_sel:DWORD dst_unused:UNUSED_PAD src0_sel:DWORD src1_sel:BYTE_3
	v_lshlrev_b32_e32 v1, 20, v1
	v_lshl_add_u32 v118, v118, 23, 0x3c000000
	v_and_b32_e32 v117, 0x80000000, v117
	v_or3_b32 v119, v1, v117, v118
.LBB363_360:                            ;   in Loop: Header=BB363_10 Depth=1
	s_or_b32 exec_lo, exec_lo, s40
.LBB363_361:                            ;   in Loop: Header=BB363_10 Depth=1
	s_or_b32 exec_lo, exec_lo, s39
.LBB363_362:                            ;   in Loop: Header=BB363_10 Depth=1
	s_or_b32 exec_lo, exec_lo, s3
	global_load_dword v7, v[7:8], off offset:1288
	v_mov_b32_e32 v121, 0
	v_mov_b32_e32 v8, 0
	s_waitcnt vmcnt(0)
	v_cmp_ne_u16_sdwa s2, v7, v2 src0_sel:BYTE_0 src1_sel:DWORD
	s_and_saveexec_b32 s3, s2
	s_cbranch_execz .LBB363_370
; %bb.363:                              ;   in Loop: Header=BB363_10 Depth=1
	v_cmp_ne_u16_sdwa s2, v7, v69 src0_sel:BYTE_0 src1_sel:DWORD
	v_bfrev_b32_e32 v8, 1
	s_and_saveexec_b32 s39, s2
	s_cbranch_execz .LBB363_369
; %bb.364:                              ;   in Loop: Header=BB363_10 Depth=1
	v_and_b32_e32 v117, 0x7f, v7
	v_mov_b32_e32 v8, 0x7f800001
	s_mov_b32 s40, exec_lo
	v_cmpx_ne_u32_e32 0x7f, v117
	s_cbranch_execz .LBB363_368
; %bb.365:                              ;   in Loop: Header=BB363_10 Depth=1
	v_and_b32_e32 v1, 7, v7
	v_lshrrev_b32_e32 v8, 3, v117
	s_mov_b32 s41, exec_lo
	v_cmpx_gt_u32_e32 8, v117
; %bb.366:                              ;   in Loop: Header=BB363_10 Depth=1
	v_ffbh_u32_e32 v8, v1
	v_min_u32_e32 v8, 32, v8
	v_subrev_nc_u32_e32 v117, 28, v8
	v_sub_nc_u32_e32 v8, 29, v8
	v_lshlrev_b64 v[117:118], v117, v[1:2]
	v_and_b32_e32 v1, 7, v117
; %bb.367:                              ;   in Loop: Header=BB363_10 Depth=1
	s_or_b32 exec_lo, exec_lo, s41
	v_lshlrev_b32_e32 v117, 24, v7
	v_lshlrev_b32_e32 v1, 20, v1
	v_lshl_add_u32 v8, v8, 23, 0x3c000000
	v_and_b32_e32 v117, 0x80000000, v117
	v_or3_b32 v8, v1, v117, v8
.LBB363_368:                            ;   in Loop: Header=BB363_10 Depth=1
	s_or_b32 exec_lo, exec_lo, s40
.LBB363_369:                            ;   in Loop: Header=BB363_10 Depth=1
	s_or_b32 exec_lo, exec_lo, s39
.LBB363_370:                            ;   in Loop: Header=BB363_10 Depth=1
	s_or_b32 exec_lo, exec_lo, s3
	v_cmp_ne_u16_sdwa s2, v7, v2 src0_sel:BYTE_1 src1_sel:DWORD
	s_and_saveexec_b32 s3, s2
	s_cbranch_execz .LBB363_378
; %bb.371:                              ;   in Loop: Header=BB363_10 Depth=1
	v_cmp_ne_u16_sdwa s2, v7, v69 src0_sel:BYTE_1 src1_sel:DWORD
	v_bfrev_b32_e32 v121, 1
	s_and_saveexec_b32 s39, s2
	s_cbranch_execz .LBB363_377
; %bb.372:                              ;   in Loop: Header=BB363_10 Depth=1
	v_and_b32_sdwa v1, v70, v7 dst_sel:DWORD dst_unused:UNUSED_PAD src0_sel:DWORD src1_sel:BYTE_1
	v_mov_b32_e32 v121, 0x7f800001
	s_mov_b32 s40, exec_lo
	v_and_b32_e32 v118, 0x7f, v1
	v_cmpx_ne_u32_e32 0x7f, v118
	s_cbranch_execz .LBB363_376
; %bb.373:                              ;   in Loop: Header=BB363_10 Depth=1
	v_and_b32_e32 v1, 7, v1
	v_lshrrev_b32_e32 v117, 3, v118
	s_mov_b32 s41, exec_lo
	v_cmpx_gt_u32_e32 8, v118
; %bb.374:                              ;   in Loop: Header=BB363_10 Depth=1
	v_ffbh_u32_e32 v117, v1
	v_min_u32_e32 v117, 32, v117
	v_subrev_nc_u32_e32 v118, 28, v117
	v_sub_nc_u32_e32 v117, 29, v117
	v_lshlrev_b64 v[121:122], v118, v[1:2]
	v_and_b32_e32 v1, 7, v121
; %bb.375:                              ;   in Loop: Header=BB363_10 Depth=1
	s_or_b32 exec_lo, exec_lo, s41
	v_lshlrev_b32_e32 v118, 16, v7
	v_lshlrev_b32_e32 v1, 20, v1
	v_lshl_add_u32 v117, v117, 23, 0x3c000000
	v_and_b32_e32 v118, 0x80000000, v118
	v_or3_b32 v121, v1, v118, v117
.LBB363_376:                            ;   in Loop: Header=BB363_10 Depth=1
	s_or_b32 exec_lo, exec_lo, s40
.LBB363_377:                            ;   in Loop: Header=BB363_10 Depth=1
	s_or_b32 exec_lo, exec_lo, s39
.LBB363_378:                            ;   in Loop: Header=BB363_10 Depth=1
	s_or_b32 exec_lo, exec_lo, s3
	v_and_b32_sdwa v1, v7, v71 dst_sel:DWORD dst_unused:UNUSED_PAD src0_sel:WORD_1 src1_sel:DWORD
	v_mov_b32_e32 v117, 0
	v_mov_b32_e32 v118, 0
	s_mov_b32 s3, exec_lo
	v_cmpx_ne_u16_e32 0, v1
	s_cbranch_execz .LBB363_386
; %bb.379:                              ;   in Loop: Header=BB363_10 Depth=1
	v_bfrev_b32_e32 v118, 1
	s_mov_b32 s39, exec_lo
	v_cmpx_ne_u16_e32 0x80, v1
	s_cbranch_execz .LBB363_385
; %bb.380:                              ;   in Loop: Header=BB363_10 Depth=1
	v_bfe_u32 v122, v7, 16, 7
	v_mov_b32_e32 v118, 0x7f800001
	s_mov_b32 s40, exec_lo
	v_cmpx_ne_u32_e32 0x7f, v122
	s_cbranch_execz .LBB363_384
; %bb.381:                              ;   in Loop: Header=BB363_10 Depth=1
	v_and_b32_sdwa v1, v7, v72 dst_sel:DWORD dst_unused:UNUSED_PAD src0_sel:WORD_1 src1_sel:DWORD
	v_lshrrev_b32_e32 v118, 3, v122
	s_mov_b32 s41, exec_lo
	v_cmpx_gt_u32_e32 8, v122
; %bb.382:                              ;   in Loop: Header=BB363_10 Depth=1
	v_ffbh_u32_e32 v118, v1
	v_min_u32_e32 v118, 32, v118
	v_subrev_nc_u32_e32 v122, 28, v118
	v_sub_nc_u32_e32 v118, 29, v118
	v_lshlrev_b64 v[122:123], v122, v[1:2]
	v_and_b32_e32 v1, 7, v122
; %bb.383:                              ;   in Loop: Header=BB363_10 Depth=1
	s_or_b32 exec_lo, exec_lo, s41
	v_lshlrev_b32_sdwa v122, v73, v7 dst_sel:DWORD dst_unused:UNUSED_PAD src0_sel:DWORD src1_sel:WORD_1
	v_lshlrev_b32_e32 v1, 20, v1
	v_lshl_add_u32 v118, v118, 23, 0x3c000000
	v_and_b32_e32 v122, 0x80000000, v122
	v_or3_b32 v118, v1, v122, v118
.LBB363_384:                            ;   in Loop: Header=BB363_10 Depth=1
	s_or_b32 exec_lo, exec_lo, s40
.LBB363_385:                            ;   in Loop: Header=BB363_10 Depth=1
	s_or_b32 exec_lo, exec_lo, s39
.LBB363_386:                            ;   in Loop: Header=BB363_10 Depth=1
	s_or_b32 exec_lo, exec_lo, s3
	s_mov_b32 s3, exec_lo
	v_cmpx_lt_u32_e32 0xffffff, v7
	s_cbranch_execz .LBB363_394
; %bb.387:                              ;   in Loop: Header=BB363_10 Depth=1
	v_cmp_ne_u32_sdwa s2, v7, v69 src0_sel:BYTE_3 src1_sel:DWORD
	v_bfrev_b32_e32 v117, 1
	s_and_saveexec_b32 s39, s2
	s_cbranch_execz .LBB363_393
; %bb.388:                              ;   in Loop: Header=BB363_10 Depth=1
	v_bfe_u32 v122, v7, 24, 7
	v_mov_b32_e32 v117, 0x7f800001
	s_mov_b32 s40, exec_lo
	v_cmpx_ne_u32_e32 0x7f, v122
	s_cbranch_execz .LBB363_392
; %bb.389:                              ;   in Loop: Header=BB363_10 Depth=1
	v_and_b32_sdwa v1, v7, v72 dst_sel:DWORD dst_unused:UNUSED_PAD src0_sel:BYTE_3 src1_sel:DWORD
	v_lshrrev_b32_e32 v117, 3, v122
	s_mov_b32 s41, exec_lo
	v_cmpx_gt_u32_e32 8, v122
; %bb.390:                              ;   in Loop: Header=BB363_10 Depth=1
	v_ffbh_u32_e32 v117, v1
	v_min_u32_e32 v117, 32, v117
	v_subrev_nc_u32_e32 v122, 28, v117
	v_sub_nc_u32_e32 v117, 29, v117
	v_lshlrev_b64 v[122:123], v122, v[1:2]
	v_and_b32_e32 v1, 7, v122
; %bb.391:                              ;   in Loop: Header=BB363_10 Depth=1
	s_or_b32 exec_lo, exec_lo, s41
	v_lshlrev_b32_sdwa v7, v73, v7 dst_sel:DWORD dst_unused:UNUSED_PAD src0_sel:DWORD src1_sel:BYTE_3
	v_lshlrev_b32_e32 v1, 20, v1
	v_lshl_add_u32 v117, v117, 23, 0x3c000000
	v_and_b32_e32 v7, 0x80000000, v7
	v_or3_b32 v117, v1, v7, v117
.LBB363_392:                            ;   in Loop: Header=BB363_10 Depth=1
	s_or_b32 exec_lo, exec_lo, s40
.LBB363_393:                            ;   in Loop: Header=BB363_10 Depth=1
	s_or_b32 exec_lo, exec_lo, s39
.LBB363_394:                            ;   in Loop: Header=BB363_10 Depth=1
	s_or_b32 exec_lo, exec_lo, s3
	s_waitcnt lgkmcnt(0)
	v_mul_f32_e32 v1, s5, v121
	v_mul_f32_e32 v7, s5, v8
	;; [unrolled: 1-line block ×5, first 2 shown]
	v_bfe_u32 v120, v1, 16, 1
	v_bfe_u32 v121, v7, 16, 1
	v_or_b32_e32 v122, 0x400000, v1
	v_cmp_u_f32_e64 s2, v1, v1
	v_or_b32_e32 v123, 0x400000, v7
	v_add3_u32 v120, v120, v1, 0x7fff
	v_bfe_u32 v124, v8, 16, 1
	v_add3_u32 v121, v121, v7, 0x7fff
	v_bfe_u32 v125, v119, 16, 1
	v_mul_f32_e32 v90, s5, v90
	v_cndmask_b32_e64 v1, v120, v122, s2
	v_cmp_u_f32_e64 s2, v7, v7
	v_add3_u32 v120, v124, v8, 0x7fff
	v_add3_u32 v122, v125, v119, 0x7fff
	v_or_b32_e32 v124, 0x400000, v119
	v_bfe_u32 v125, v116, 16, 1
	v_cndmask_b32_e64 v7, v121, v123, s2
	v_or_b32_e32 v121, 0x400000, v8
	v_cmp_u_f32_e64 s2, v8, v8
	v_mul_f32_e32 v123, s5, v115
	v_mul_f32_e32 v89, s5, v89
	;; [unrolled: 1-line block ×4, first 2 shown]
	v_cndmask_b32_e64 v115, v120, v121, s2
	v_cmp_u_f32_e64 s2, v119, v119
	v_bfe_u32 v120, v123, 16, 1
	v_add3_u32 v119, v125, v116, 0x7fff
	v_mul_f32_e32 v121, s5, v114
	v_or_b32_e32 v114, 0x400000, v116
	v_cndmask_b32_e64 v8, v122, v124, s2
	v_cmp_u_f32_e64 s2, v116, v116
	v_add3_u32 v120, v120, v123, 0x7fff
	v_mul_f32_e32 v122, s5, v113
	v_or_b32_e32 v124, 0x400000, v123
	v_bfe_u32 v125, v121, 16, 1
	v_cndmask_b32_e64 v113, v119, v114, s2
	v_cmp_u_f32_e64 s2, v123, v123
	v_bfe_u32 v116, v122, 16, 1
	v_mul_f32_e32 v123, s5, v111
	v_add3_u32 v119, v125, v121, 0x7fff
	v_mul_f32_e32 v86, s5, v86
	v_cndmask_b32_e64 v114, v120, v124, s2
	v_mul_f32_e32 v120, s5, v112
	v_or_b32_e32 v112, 0x400000, v121
	v_cmp_u_f32_e64 s2, v121, v121
	v_add3_u32 v116, v116, v122, 0x7fff
	v_or_b32_e32 v124, 0x400000, v122
	v_bfe_u32 v125, v120, 16, 1
	v_mul_f32_e32 v121, s5, v110
	v_cndmask_b32_e64 v111, v119, v112, s2
	v_cmp_u_f32_e64 s2, v122, v122
	v_bfe_u32 v119, v123, 16, 1
	v_or_b32_e32 v110, 0x400000, v120
	v_mul_f32_e32 v122, s5, v109
	v_mul_f32_e32 v85, s5, v85
	v_cndmask_b32_e64 v112, v116, v124, s2
	v_add3_u32 v116, v125, v120, 0x7fff
	v_cmp_u_f32_e64 s2, v120, v120
	v_add3_u32 v119, v119, v123, 0x7fff
	v_or_b32_e32 v124, 0x400000, v123
	v_bfe_u32 v125, v121, 16, 1
	v_mul_f32_e32 v120, s5, v108
	v_cndmask_b32_e64 v109, v116, v110, s2
	v_cmp_u_f32_e64 s2, v123, v123
	v_bfe_u32 v116, v122, 16, 1
	v_or_b32_e32 v108, 0x400000, v121
	v_mul_f32_e32 v123, s5, v107
	v_mul_f32_e32 v84, s5, v84
	v_cndmask_b32_e64 v110, v119, v124, s2
	v_add3_u32 v119, v125, v121, 0x7fff
	;; [unrolled: 13-line block ×10, first 2 shown]
	v_cmp_u_f32_e64 s2, v121, v121
	v_add3_u32 v116, v116, v122, 0x7fff
	v_or_b32_e32 v124, 0x400000, v122
	v_bfe_u32 v125, v120, 16, 1
	v_or_b32_e32 v121, 0x400000, v120
	v_cndmask_b32_e64 v91, v119, v92, s2
	v_cmp_u_f32_e64 s2, v122, v122
	v_bfe_u32 v119, v123, 16, 1
	v_or_b32_e32 v122, 0x400000, v123
	v_mul_f32_e32 v75, s5, v75
	v_mul_f32_e32 v118, s5, v118
	v_cndmask_b32_e64 v92, v116, v124, s2
	v_add3_u32 v116, v125, v120, 0x7fff
	v_cmp_u_f32_e64 s2, v120, v120
	v_add3_u32 v119, v119, v123, 0x7fff
	v_bfe_u32 v124, v90, 16, 1
	v_bfe_u32 v120, v89, 16, 1
	v_mul_f32_e32 v117, s5, v117
	v_cndmask_b32_e64 v116, v116, v121, s2
	v_cmp_u_f32_e64 s2, v123, v123
	v_add3_u32 v121, v124, v90, 0x7fff
	v_add3_u32 v120, v120, v89, 0x7fff
	v_or_b32_e32 v123, 0x400000, v89
	v_bfe_u32 v124, v88, 16, 1
	v_cndmask_b32_e64 v119, v119, v122, s2
	v_or_b32_e32 v122, 0x400000, v90
	v_cmp_u_f32_e64 s2, v90, v90
	v_or_b32_e32 v125, 0x400000, v117
	v_and_b32_e32 v7, 0xffff0000, v7
	v_and_b32_e32 v1, 0xffff0000, v1
	;; [unrolled: 1-line block ×3, first 2 shown]
	v_cndmask_b32_e64 v90, v121, v122, s2
	v_cmp_u_f32_e64 s2, v89, v89
	v_bfe_u32 v121, v87, 16, 1
	v_or_b32_e32 v122, 0x400000, v88
	v_cndmask_b32_e64 v89, v120, v123, s2
	v_add3_u32 v120, v124, v88, 0x7fff
	v_cmp_u_f32_e64 s2, v88, v88
	v_add3_u32 v121, v121, v87, 0x7fff
	v_or_b32_e32 v123, 0x400000, v87
	v_bfe_u32 v124, v86, 16, 1
	v_cndmask_b32_e64 v88, v120, v122, s2
	v_cmp_u_f32_e64 s2, v87, v87
	v_bfe_u32 v120, v85, 16, 1
	v_or_b32_e32 v122, 0x400000, v86
	v_cndmask_b32_e64 v87, v121, v123, s2
	v_add3_u32 v121, v124, v86, 0x7fff
	v_cmp_u_f32_e64 s2, v86, v86
	v_add3_u32 v120, v120, v85, 0x7fff
	v_or_b32_e32 v123, 0x400000, v85
	v_bfe_u32 v124, v84, 16, 1
	;; [unrolled: 10-line block ×4, first 2 shown]
	v_cndmask_b32_e64 v82, v121, v122, s2
	v_cmp_u_f32_e64 s2, v81, v81
	v_bfe_u32 v121, v79, 16, 1
	v_or_b32_e32 v122, 0x400000, v80
	v_and_b32_e32 v82, 0xffff0000, v82
	v_cndmask_b32_e64 v81, v120, v123, s2
	v_add3_u32 v120, v124, v80, 0x7fff
	v_cmp_u_f32_e64 s2, v80, v80
	v_add3_u32 v121, v121, v79, 0x7fff
	v_or_b32_e32 v123, 0x400000, v79
	v_bfe_u32 v124, v78, 16, 1
	v_and_b32_e32 v81, 0xffff0000, v81
	v_cndmask_b32_e64 v80, v120, v122, s2
	v_cmp_u_f32_e64 s2, v79, v79
	v_bfe_u32 v120, v77, 16, 1
	v_or_b32_e32 v122, 0x400000, v78
	v_mul_f32_e32 v82, v20, v82
	v_and_b32_e32 v80, 0xffff0000, v80
	v_cndmask_b32_e64 v79, v121, v123, s2
	v_add3_u32 v121, v124, v78, 0x7fff
	v_cmp_u_f32_e64 s2, v78, v78
	v_add3_u32 v120, v120, v77, 0x7fff
	v_or_b32_e32 v123, 0x400000, v77
	v_and_b32_e32 v79, 0xffff0000, v79
	v_mul_f32_e32 v80, v19, v80
	v_cndmask_b32_e64 v78, v121, v122, s2
	v_bfe_u32 v121, v76, 16, 1
	v_cmp_u_f32_e64 s2, v77, v77
	v_bfe_u32 v122, v75, 16, 1
	v_mul_f32_e32 v79, v18, v79
	v_and_b32_e32 v78, 0xffff0000, v78
	v_or_b32_e32 v124, 0x400000, v118
	v_cndmask_b32_e64 v77, v120, v123, s2
	v_add3_u32 v120, v121, v76, 0x7fff
	v_or_b32_e32 v121, 0x400000, v76
	v_cmp_u_f32_e64 s2, v76, v76
	v_fmac_f32_e32 v82, v16, v78
	v_and_b32_e32 v77, 0xffff0000, v77
	v_and_b32_e32 v78, 0xffff0000, v84
	v_bfe_u32 v123, v118, 16, 1
	v_cndmask_b32_e64 v76, v120, v121, s2
	v_add3_u32 v121, v122, v75, 0x7fff
	v_or_b32_e32 v122, 0x400000, v75
	v_cmp_u_f32_e64 s2, v75, v75
	v_bfe_u32 v120, v117, 16, 1
	v_and_b32_e32 v76, 0xffff0000, v76
	v_add3_u32 v123, v123, v118, 0x7fff
	v_cndmask_b32_e64 v75, v121, v122, s2
	v_cmp_u_f32_e64 s2, v118, v118
	v_fmac_f32_e32 v80, v15, v76
	v_and_b32_e32 v76, 0xffff0000, v83
	v_add3_u32 v120, v120, v117, 0x7fff
	v_and_b32_e32 v75, 0xffff0000, v75
	v_cndmask_b32_e64 v118, v123, v124, s2
	v_fmac_f32_e32 v80, v26, v78
	v_and_b32_e32 v78, 0xffff0000, v88
	v_cmp_u_f32_e64 s2, v117, v117
	v_fmac_f32_e32 v79, v14, v75
	v_mul_f32_e32 v75, v21, v81
	v_and_b32_e32 v81, 0xffff0000, v86
	v_fmac_f32_e32 v80, v30, v78
	v_and_b32_e32 v78, 0xffff0000, v91
	v_fmac_f32_e32 v79, v25, v76
	v_fmac_f32_e32 v75, v17, v77
	v_and_b32_e32 v76, 0xffff0000, v85
	v_fmac_f32_e32 v82, v27, v81
	v_and_b32_e32 v77, 0xffff0000, v87
	v_and_b32_e32 v81, 0xffff0000, v89
	v_cndmask_b32_e64 v117, v120, v125, s2
	v_fmac_f32_e32 v75, v28, v76
	v_and_b32_e32 v76, 0xffff0000, v90
	v_fmac_f32_e32 v79, v29, v77
	v_and_b32_e32 v77, 0xffff0000, v119
	v_fmac_f32_e32 v75, v32, v81
	v_fmac_f32_e32 v82, v31, v76
	v_and_b32_e32 v76, 0xffff0000, v116
	v_fmac_f32_e32 v79, v33, v77
	v_and_b32_e32 v77, 0xffff0000, v92
	v_and_b32_e32 v81, 0xffff0000, v94
	v_fmac_f32_e32 v82, v35, v78
	v_fmac_f32_e32 v80, v34, v76
	v_and_b32_e32 v76, 0xffff0000, v93
	v_fmac_f32_e32 v75, v36, v77
	v_fmac_f32_e32 v79, v37, v81
	v_and_b32_e32 v77, 0xffff0000, v95
	v_and_b32_e32 v78, 0xffff0000, v96
	v_fmac_f32_e32 v80, v38, v76
	v_and_b32_e32 v76, 0xffff0000, v98
	v_and_b32_e32 v81, 0xffff0000, v97
	v_fmac_f32_e32 v82, v39, v77
	v_fmac_f32_e32 v75, v40, v78
	v_and_b32_e32 v77, 0xffff0000, v99
	v_fmac_f32_e32 v79, v41, v76
	v_and_b32_e32 v76, 0xffff0000, v100
	;; [unrolled: 2-line block ×4, first 2 shown]
	v_and_b32_e32 v81, 0xffff0000, v103
	v_fmac_f32_e32 v75, v44, v76
	v_and_b32_e32 v76, 0xffff0000, v104
	v_fmac_f32_e32 v79, v45, v78
	v_fmac_f32_e32 v80, v46, v77
	;; [unrolled: 1-line block ×3, first 2 shown]
	v_and_b32_e32 v77, 0xffff0000, v106
	v_and_b32_e32 v78, 0xffff0000, v105
	v_fmac_f32_e32 v75, v48, v76
	v_and_b32_e32 v76, 0xffff0000, v107
	v_and_b32_e32 v81, 0xffff0000, v108
	v_fmac_f32_e32 v79, v49, v77
	v_fmac_f32_e32 v80, v50, v78
	v_and_b32_e32 v77, 0xffff0000, v110
	v_fmac_f32_e32 v82, v51, v76
	v_and_b32_e32 v76, 0xffff0000, v109
	;; [unrolled: 2-line block ×4, first 2 shown]
	v_and_b32_e32 v81, 0xffff0000, v114
	v_fmac_f32_e32 v80, v54, v76
	v_and_b32_e32 v76, 0xffff0000, v113
	v_fmac_f32_e32 v82, v55, v78
	v_fmac_f32_e32 v75, v56, v77
	v_fmac_f32_e32 v79, v57, v81
	v_and_b32_e32 v77, 0xffff0000, v115
	v_fmac_f32_e32 v80, v58, v76
	v_fmac_f32_e32 v75, v60, v8
	;; [unrolled: 1-line block ×4, first 2 shown]
	v_and_b32_e32 v7, 0xffff0000, v118
	v_fmac_f32_e32 v80, v62, v1
	v_and_b32_e32 v1, 0xffff0000, v117
	v_fmac_f32_e32 v82, v63, v7
	v_add_f32_e32 v7, v79, v80
	v_fmac_f32_e32 v75, v64, v1
	v_add_f32_e32 v1, v7, v82
	v_add_f32_e32 v1, v1, v75
	ds_bpermute_b32 v7, v67, v1
	s_and_saveexec_b32 s3, vcc_lo
	s_cbranch_execz .LBB363_9
; %bb.395:                              ;   in Loop: Header=BB363_10 Depth=1
	v_add_nc_u32_e32 v8, s4, v66
	s_waitcnt lgkmcnt(0)
	v_add_f32_e32 v1, v1, v7
	v_cmp_gt_i32_e64 s2, s27, v66
	v_cvt_f32_i32_e32 v8, v8
	v_mul_f32_e32 v8, s36, v8
	v_cndmask_b32_e64 v7, 0, v8, s1
	v_max_f32_e32 v8, v65, v65
	v_fmac_f32_e32 v7, s37, v1
	v_max_f32_e32 v1, v8, v7
	v_cndmask_b32_e64 v7, 0, v7, s2
	v_cndmask_b32_e64 v65, v65, v1, s2
	ds_write_b32 v68, v7
	s_branch .LBB363_9
.LBB363_396:
	s_or_b32 exec_lo, exec_lo, s16
.LBB363_397:
	s_or_b32 exec_lo, exec_lo, s38
	v_xor_b32_e32 v1, 16, v12
	v_xor_b32_e32 v3, 8, v12
	v_max_f32_e32 v6, v65, v65
	s_waitcnt lgkmcnt(0)
	v_xor_b32_e32 v7, 2, v12
	v_and_b32_e32 v25, 31, v0
	v_cmp_lt_i32_e32 vcc_lo, v1, v13
	v_cndmask_b32_e32 v1, v12, v1, vcc_lo
	v_cmp_lt_i32_e32 vcc_lo, v3, v13
	v_lshlrev_b32_e32 v4, 2, v1
	v_cndmask_b32_e32 v3, v12, v3, vcc_lo
	ds_bpermute_b32 v1, v4, v65
	v_lshlrev_b32_e32 v5, 2, v3
	s_waitcnt lgkmcnt(0)
	v_max_f32_e32 v1, v1, v1
	v_max_f32_e32 v1, v6, v1
	v_xor_b32_e32 v6, 4, v12
	ds_bpermute_b32 v3, v5, v1
	v_cmp_lt_i32_e32 vcc_lo, v6, v13
	v_cndmask_b32_e32 v6, v12, v6, vcc_lo
	v_cmp_lt_i32_e32 vcc_lo, v7, v13
	v_lshlrev_b32_e32 v6, 2, v6
	v_cndmask_b32_e32 v7, v12, v7, vcc_lo
	v_cmp_eq_u32_e32 vcc_lo, 0, v25
	s_waitcnt lgkmcnt(0)
	v_max_f32_e32 v3, v3, v3
	v_max_f32_e32 v1, v1, v3
	ds_bpermute_b32 v3, v6, v1
	s_waitcnt lgkmcnt(0)
	v_max_f32_e32 v3, v3, v3
	v_max_f32_e32 v1, v1, v3
	v_lshlrev_b32_e32 v3, 2, v7
	v_lshlrev_b32_e32 v7, 2, v24
	ds_bpermute_b32 v8, v3, v1
	s_and_saveexec_b32 s1, vcc_lo
	s_cbranch_execz .LBB363_399
; %bb.398:
	s_waitcnt lgkmcnt(0)
	v_max_f32_e32 v8, v8, v8
	v_max_f32_e32 v1, v1, v1
	;; [unrolled: 1-line block ×3, first 2 shown]
	ds_write_b32 v7, v1 offset:192
.LBB363_399:
	s_or_b32 exec_lo, exec_lo, s1
	v_cmp_gt_u32_e64 s1, 4, v25
	v_mov_b32_e32 v1, 0xff7fffff
	s_waitcnt lgkmcnt(0)
	v_lshlrev_b32_e32 v8, 2, v25
	s_barrier
	buffer_gl0_inv
	s_and_saveexec_b32 s2, s1
; %bb.400:
	ds_read_b32 v1, v8 offset:192
; %bb.401:
	s_or_b32 exec_lo, exec_lo, s2
	s_waitcnt lgkmcnt(0)
	ds_bpermute_b32 v14, v3, v1
	v_xor_b32_e32 v15, 1, v12
	v_max_f32_e32 v1, v1, v1
	v_lshlrev_b32_e32 v2, 2, v2
	v_cmp_lt_i32_e64 s2, v15, v13
	v_cndmask_b32_e64 v13, v12, v15, s2
	s_sub_i32 s2, s11, s15
	s_lshl_b32 s2, s2, 4
	v_lshlrev_b32_e32 v26, 2, v13
	s_add_i32 s2, s2, s33
	s_min_i32 s2, s2, s27
	s_waitcnt lgkmcnt(0)
	v_max_f32_e32 v14, v14, v14
	s_sub_i32 s4, s2, s33
	v_cmp_gt_i32_e64 s2, s4, v0
	v_max_f32_e32 v1, v1, v14
	ds_bpermute_b32 v13, v26, v1
	s_waitcnt lgkmcnt(0)
	v_max_f32_e32 v13, v13, v13
	v_max_f32_e32 v1, v1, v13
	v_mov_b32_e32 v13, 0
	ds_bpermute_b32 v1, v2, v1
	v_lshl_add_u32 v2, v0, 2, 0xe0
	s_and_saveexec_b32 s5, s2
	s_cbranch_execz .LBB363_405
; %bb.402:
	v_lshl_add_u32 v14, v0, 2, 0xe0
	v_mov_b32_e32 v13, 0
	v_mov_b32_e32 v15, v0
	s_mov_b32 s15, 0
	.p2align	6
.LBB363_403:                            ; =>This Inner Loop Header: Depth=1
	ds_read_b32 v16, v14
	v_add_nc_u32_e32 v15, 0x80, v15
	v_cmp_le_i32_e64 s3, s4, v15
	s_or_b32 s15, s3, s15
	s_waitcnt lgkmcnt(0)
	v_sub_f32_e32 v16, v16, v1
	v_mul_f32_e32 v16, 0x3fb8aa3b, v16
	v_exp_f32_e32 v16, v16
	ds_write_b32 v14, v16
	v_add_f32_e32 v13, v13, v16
	v_add_nc_u32_e32 v14, 0x200, v14
	s_andn2_b32 exec_lo, exec_lo, s15
	s_cbranch_execnz .LBB363_403
; %bb.404:
	s_or_b32 exec_lo, exec_lo, s15
.LBB363_405:
	s_or_b32 exec_lo, exec_lo, s5
	ds_bpermute_b32 v4, v4, v13
	s_waitcnt lgkmcnt(0)
	v_add_f32_e32 v4, v13, v4
	ds_bpermute_b32 v5, v5, v4
	s_waitcnt lgkmcnt(0)
	v_add_f32_e32 v4, v4, v5
	;; [unrolled: 3-line block ×5, first 2 shown]
	s_and_saveexec_b32 s3, vcc_lo
; %bb.406:
	ds_write_b32 v7, v4 offset:208
; %bb.407:
	s_or_b32 exec_lo, exec_lo, s3
	s_waitcnt lgkmcnt(0)
	s_barrier
	buffer_gl0_inv
	s_and_saveexec_b32 s3, s1
; %bb.408:
	ds_read_b32 v4, v8 offset:208
; %bb.409:
	s_or_b32 exec_lo, exec_lo, s3
	s_waitcnt lgkmcnt(0)
	ds_bpermute_b32 v3, v3, v4
	v_lshlrev_b32_e32 v5, 2, v12
	s_waitcnt lgkmcnt(0)
	v_add_f32_e32 v3, v4, v3
	ds_bpermute_b32 v4, v26, v3
	s_waitcnt lgkmcnt(0)
	v_add_f32_e32 v3, v3, v4
	v_and_b32_e32 v4, 0xffffff80, v5
	ds_bpermute_b32 v3, v4, v3
	s_and_saveexec_b32 s1, s2
	s_cbranch_execz .LBB363_412
; %bb.410:
	s_waitcnt lgkmcnt(0)
	v_add_f32_e32 v4, 0x358637bd, v3
	s_mov_b32 s2, 0
	v_div_scale_f32 v5, null, v4, v4, 1.0
	v_div_scale_f32 v8, vcc_lo, 1.0, v4, 1.0
	v_rcp_f32_e32 v6, v5
	v_fma_f32 v7, -v5, v6, 1.0
	v_fmac_f32_e32 v6, v7, v6
	v_mul_f32_e32 v7, v8, v6
	v_fma_f32 v12, -v5, v7, v8
	v_fmac_f32_e32 v7, v12, v6
	v_fma_f32 v5, -v5, v7, v8
	v_div_fmas_f32 v5, v5, v6, v7
	v_div_fixup_f32 v4, v5, v4, 1.0
	v_mov_b32_e32 v5, v0
.LBB363_411:                            ; =>This Inner Loop Header: Depth=1
	ds_read_b32 v6, v2
	v_add_nc_u32_e32 v5, 0x80, v5
	v_cmp_le_i32_e32 vcc_lo, s4, v5
	s_or_b32 s2, vcc_lo, s2
	s_waitcnt lgkmcnt(0)
	v_mul_f32_e32 v6, v4, v6
	ds_write_b32 v2, v6
	v_add_nc_u32_e32 v2, 0x200, v2
	s_andn2_b32 exec_lo, exec_lo, s2
	s_cbranch_execnz .LBB363_411
.LBB363_412:
	s_or_b32 exec_lo, exec_lo, s1
	s_mul_i32 s1, s7, s26
	s_waitcnt lgkmcnt(0)
	s_mul_i32 s2, s1, s9
	s_mov_b32 s1, exec_lo
	s_barrier
	buffer_gl0_inv
	v_cmpx_eq_u32_e32 0, v0
	s_cbranch_execz .LBB363_414
; %bb.413:
	s_ashr_i32 s3, s2, 31
	s_mul_i32 s16, s7, s6
	s_lshl_b64 s[4:5], s[2:3], 2
	v_mov_b32_e32 v2, 0
	s_add_u32 s3, s22, s4
	s_addc_u32 s6, s23, s5
	s_ashr_i32 s17, s16, 31
	s_lshl_b64 s[16:17], s[16:17], 2
	s_add_u32 s3, s3, s16
	s_addc_u32 s6, s6, s17
	s_ashr_i32 s9, s8, 31
	s_lshl_b64 s[22:23], s[8:9], 2
	s_add_u32 s36, s3, s22
	s_addc_u32 s37, s6, s23
	s_add_u32 s3, s20, s4
	s_addc_u32 s4, s21, s5
	;; [unrolled: 2-line block ×4, first 2 shown]
	global_store_dword v2, v1, s[36:37]
	global_store_dword v2, v3, s[4:5]
.LBB363_414:
	s_or_b32 exec_lo, exec_lo, s1
	v_mov_b32_e32 v31, 0
	v_mov_b32_e32 v32, 0
	;; [unrolled: 1-line block ×6, first 2 shown]
	s_and_saveexec_b32 s1, s0
	s_cbranch_execz .LBB363_790
; %bb.415:
	s_load_dword s6, s[18:19], 0x0
	v_and_b32_e32 v1, 8, v11
	v_and_b32_e32 v2, 0xf8, v11
	v_lshl_add_u32 v4, v24, 4, s33
	s_ashr_i32 s0, s14, 31
	s_add_u32 s4, s34, s14
	v_lshlrev_b32_e32 v3, 5, v23
	s_addc_u32 s0, s35, s0
	v_add_co_u32 v12, s4, s4, v2
	v_add3_u32 v33, v4, v1, 7
	v_lshlrev_b64 v[1:2], 2, v[9:10]
	v_add_co_ci_u32_e64 v13, null, s0, 0, s4
	s_lshl_b64 s[4:5], s[30:31], 2
	s_add_i32 s9, s12, -1
	v_lshl_or_b32 v3, v24, 6, v3
	s_add_u32 s0, s28, s4
	s_addc_u32 s4, s29, s5
	v_add_co_u32 v14, vcc_lo, s0, v1
	v_mov_b32_e32 v11, 0
	v_add_nc_u32_e32 v34, 0xe0, v3
	v_add_co_ci_u32_e64 v15, null, s4, v2, vcc_lo
	v_mov_b32_e32 v35, 0x80
	v_mov_b32_e32 v36, 0xffff
	;; [unrolled: 1-line block ×11, first 2 shown]
	s_mov_b32 s4, -1
	s_mov_b32 s3, s13
	s_mov_b32 s5, 0xffffff
	s_mov_b32 s12, 0
	s_branch .LBB363_417
.LBB363_416:                            ;   in Loop: Header=BB363_417 Depth=1
	s_or_b32 exec_lo, exec_lo, s0
	v_bfe_u32 v48, v5, 16, 1
	v_bfe_u32 v49, v6, 16, 1
	v_or_b32_e32 v50, 0x400000, v5
	v_cmp_u_f32_e32 vcc_lo, v5, v5
	v_or_b32_e32 v51, 0x400000, v6
	v_add3_u32 v48, v48, v5, 0x7fff
	v_bfe_u32 v52, v7, 16, 1
	v_add3_u32 v49, v49, v6, 0x7fff
	v_bfe_u32 v53, v8, 16, 1
	v_lshlrev_b32_e32 v20, 16, v20
	v_cndmask_b32_e32 v5, v48, v50, vcc_lo
	v_cmp_u_f32_e32 vcc_lo, v6, v6
	v_add3_u32 v48, v52, v7, 0x7fff
	v_add3_u32 v50, v53, v8, 0x7fff
	v_bfe_u32 v52, v1, 16, 1
	v_and_b32_e32 v5, 0xffff0000, v5
	v_cndmask_b32_e32 v6, v49, v51, vcc_lo
	v_or_b32_e32 v49, 0x400000, v7
	v_cmp_u_f32_e32 vcc_lo, v7, v7
	v_or_b32_e32 v51, 0x400000, v8
	v_or_b32_e32 v53, 0x400000, v4
	v_lshlrev_b32_e32 v21, 16, v21
	v_lshlrev_b32_e32 v80, 16, v80
	v_cndmask_b32_e32 v7, v48, v49, vcc_lo
	v_cmp_u_f32_e32 vcc_lo, v8, v8
	v_bfe_u32 v48, v2, 16, 1
	v_add3_u32 v49, v52, v1, 0x7fff
	v_bfe_u32 v52, v3, 16, 1
	v_lshlrev_b32_e32 v73, 16, v73
	v_cndmask_b32_e32 v8, v50, v51, vcc_lo
	v_or_b32_e32 v50, 0x400000, v1
	v_cmp_u_f32_e32 vcc_lo, v1, v1
	v_add3_u32 v48, v48, v2, 0x7fff
	v_or_b32_e32 v51, 0x400000, v2
	v_and_b32_e32 v1, 0xffff0000, v6
	v_lshlrev_b32_e32 v6, 16, v84
	v_cndmask_b32_e32 v49, v49, v50, vcc_lo
	v_cmp_u_f32_e32 vcc_lo, v2, v2
	v_add3_u32 v2, v52, v3, 0x7fff
	v_bfe_u32 v50, v4, 16, 1
	v_or_b32_e32 v52, 0x400000, v3
	v_mul_f32_e32 v6, v1, v6
	v_cndmask_b32_e32 v48, v48, v51, vcc_lo
	v_lshlrev_b32_e32 v51, 16, v83
	v_cmp_u_f32_e32 vcc_lo, v3, v3
	v_add3_u32 v50, v50, v4, 0x7fff
	v_bfe_u32 v3, v6, 16, 1
	v_lshlrev_b32_e32 v65, 16, v65
	v_mul_f32_e32 v51, v5, v51
	v_cndmask_b32_e32 v52, v2, v52, vcc_lo
	v_cmp_u_f32_e32 vcc_lo, v4, v4
	v_and_b32_e32 v2, 0xffff0000, v8
	v_lshlrev_b32_e32 v8, 16, v81
	v_add3_u32 v3, v3, v6, 0x7fff
	v_or_b32_e32 v54, 0x400000, v51
	v_cndmask_b32_e32 v4, v50, v53, vcc_lo
	v_bfe_u32 v50, v51, 16, 1
	v_or_b32_e32 v53, 0x400000, v6
	v_mul_f32_e32 v81, v2, v8
	v_and_b32_e32 v8, 0xffff0000, v7
	v_lshlrev_b32_e32 v7, 16, v82
	v_cmp_u_f32_e32 vcc_lo, v6, v6
	v_add3_u32 v50, v50, v51, 0x7fff
	v_and_b32_e32 v6, 0xffff0000, v49
	v_or_b32_e32 v49, 0x400000, v81
	v_mul_f32_e32 v7, v8, v7
	v_cndmask_b32_e32 v53, v3, v53, vcc_lo
	v_cmp_u_f32_e32 vcc_lo, v51, v51
	v_bfe_u32 v51, v81, 16, 1
	v_and_b32_e32 v3, 0xffff0000, v48
	v_mul_f32_e32 v21, v6, v21
	v_and_b32_e32 v4, 0xffff0000, v4
	v_cndmask_b32_e32 v50, v50, v54, vcc_lo
	v_add3_u32 v48, v51, v81, 0x7fff
	v_bfe_u32 v51, v7, 16, 1
	v_mul_f32_e32 v20, v3, v20
	v_cmp_u_f32_e32 vcc_lo, v81, v81
	v_bfe_u32 v81, v21, 16, 1
	v_mul_f32_e32 v80, v4, v80
	v_and_b32_e32 v50, 0xffff0000, v50
	v_bfe_u32 v54, v20, 16, 1
	v_cndmask_b32_e32 v48, v48, v49, vcc_lo
	v_add3_u32 v49, v51, v7, 0x7fff
	v_or_b32_e32 v51, 0x400000, v7
	v_cmp_u_f32_e32 vcc_lo, v7, v7
	v_and_b32_e32 v7, 0xffff0000, v52
	v_lshlrev_b32_e32 v52, 16, v79
	v_add3_u32 v81, v81, v21, 0x7fff
	v_or_b32_e32 v79, 0x400000, v21
	v_cndmask_b32_e32 v49, v49, v51, vcc_lo
	v_add3_u32 v51, v54, v20, 0x7fff
	v_or_b32_e32 v54, 0x400000, v20
	v_cmp_u_f32_e32 vcc_lo, v20, v20
	v_bfe_u32 v82, v80, 16, 1
	v_and_b32_e32 v49, 0xffff0000, v49
	v_and_b32_e32 v48, 0xffff0000, v48
	;; [unrolled: 1-line block ×3, first 2 shown]
	v_cndmask_b32_e32 v20, v51, v54, vcc_lo
	v_mul_f32_e32 v51, v7, v52
	v_cmp_u_f32_e32 vcc_lo, v21, v21
	v_add3_u32 v52, v82, v80, 0x7fff
	v_or_b32_e32 v54, 0x400000, v80
	v_add_f32_e32 v48, v49, v48
	v_lshlrev_b32_e32 v49, 16, v78
	v_cndmask_b32_e32 v21, v81, v79, vcc_lo
	v_bfe_u32 v79, v51, 16, 1
	v_cmp_u_f32_e32 vcc_lo, v80, v80
	v_add_f32_e32 v50, v50, v53
	v_and_b32_e32 v20, 0xffff0000, v20
	v_and_b32_e32 v21, 0xffff0000, v21
	v_lshlrev_b32_e32 v53, 16, v77
	v_cndmask_b32_e32 v52, v52, v54, vcc_lo
	v_add3_u32 v54, v79, v51, 0x7fff
	v_or_b32_e32 v79, 0x400000, v51
	v_cmp_u_f32_e32 vcc_lo, v51, v51
	v_mul_f32_e32 v49, v1, v49
	v_add_f32_e32 v48, v48, v50
	v_add_f32_e32 v20, v21, v20
	v_mul_f32_e32 v21, v5, v53
	v_cndmask_b32_e32 v51, v54, v79, vcc_lo
	v_lshlrev_b32_e32 v53, 16, v74
	v_cmp_u_f32_e32 vcc_lo, v49, v49
	v_add_f32_e32 v20, v20, v48
	v_bfe_u32 v48, v21, 16, 1
	v_and_b32_e32 v50, 0xffff0000, v51
	v_and_b32_e32 v51, 0xffff0000, v52
	v_bfe_u32 v52, v49, 16, 1
	v_mul_f32_e32 v53, v2, v53
	v_add3_u32 v48, v48, v21, 0x7fff
	v_or_b32_e32 v54, 0x400000, v21
	v_add_f32_e32 v50, v50, v51
	v_add3_u32 v51, v52, v49, 0x7fff
	v_or_b32_e32 v52, 0x400000, v49
	v_lshlrev_b32_e32 v74, 16, v76
	v_lshlrev_b32_e32 v60, 16, v60
	v_add_f32_e32 v20, v50, v20
	v_lshlrev_b32_e32 v55, 16, v55
	v_cndmask_b32_e32 v49, v51, v52, vcc_lo
	v_cmp_u_f32_e32 vcc_lo, v21, v21
	v_bfe_u32 v51, v53, 16, 1
	v_lshlrev_b32_e32 v52, 16, v71
	v_lshlrev_b32_e32 v71, 16, v72
	v_and_b32_e32 v49, 0xffff0000, v49
	v_cndmask_b32_e32 v21, v48, v54, vcc_lo
	v_mul_f32_e32 v48, v8, v74
	v_add3_u32 v51, v51, v53, 0x7fff
	v_or_b32_e32 v54, 0x400000, v53
	v_mul_f32_e32 v52, v3, v52
	v_cmp_u_f32_e32 vcc_lo, v53, v53
	v_bfe_u32 v72, v48, 16, 1
	v_mul_f32_e32 v53, v6, v71
	v_or_b32_e32 v71, 0x400000, v48
	v_lshlrev_b32_e32 v74, 16, v75
	v_cndmask_b32_e32 v51, v51, v54, vcc_lo
	v_add3_u32 v54, v72, v48, 0x7fff
	v_bfe_u32 v72, v52, 16, 1
	v_cmp_u_f32_e32 vcc_lo, v48, v48
	v_bfe_u32 v75, v53, 16, 1
	v_and_b32_e32 v21, 0xffff0000, v21
	v_and_b32_e32 v51, 0xffff0000, v51
	v_add_f32_e32 v28, v28, v20
	v_cndmask_b32_e32 v48, v54, v71, vcc_lo
	v_add3_u32 v54, v72, v52, 0x7fff
	v_mul_f32_e32 v71, v4, v74
	v_or_b32_e32 v72, 0x400000, v52
	v_cmp_u_f32_e32 vcc_lo, v52, v52
	v_add3_u32 v74, v75, v53, 0x7fff
	v_or_b32_e32 v75, 0x400000, v53
	v_bfe_u32 v76, v71, 16, 1
	v_and_b32_e32 v48, 0xffff0000, v48
	v_cndmask_b32_e32 v52, v54, v72, vcc_lo
	v_mul_f32_e32 v54, v7, v73
	v_cmp_u_f32_e32 vcc_lo, v53, v53
	v_add3_u32 v72, v76, v71, 0x7fff
	v_or_b32_e32 v73, 0x400000, v71
	v_add_f32_e32 v21, v21, v49
	v_add_f32_e32 v48, v48, v51
	v_cndmask_b32_e32 v53, v74, v75, vcc_lo
	v_bfe_u32 v74, v54, 16, 1
	v_cmp_u_f32_e32 vcc_lo, v71, v71
	v_and_b32_e32 v51, 0xffff0000, v52
	v_add_f32_e32 v21, v48, v21
	v_and_b32_e32 v49, 0xffff0000, v53
	v_lshlrev_b32_e32 v48, 16, v70
	v_cndmask_b32_e32 v71, v72, v73, vcc_lo
	v_add3_u32 v72, v74, v54, 0x7fff
	v_or_b32_e32 v73, 0x400000, v54
	v_cmp_u_f32_e32 vcc_lo, v54, v54
	v_add_f32_e32 v49, v49, v51
	v_lshlrev_b32_e32 v51, 16, v69
	v_and_b32_e32 v53, 0xffff0000, v71
	v_mul_f32_e32 v48, v1, v48
	v_cndmask_b32_e32 v52, v72, v73, vcc_lo
	v_add_f32_e32 v21, v49, v21
	v_mul_f32_e32 v50, v5, v51
	v_lshlrev_b32_e32 v54, 16, v68
	v_bfe_u32 v51, v48, 16, 1
	v_and_b32_e32 v52, 0xffff0000, v52
	v_cmp_u_f32_e32 vcc_lo, v48, v48
	v_lshlrev_b32_e32 v56, 16, v56
	v_lshlrev_b32_e32 v47, 16, v47
	;; [unrolled: 1-line block ×3, first 2 shown]
	v_add_f32_e32 v49, v52, v53
	v_bfe_u32 v52, v50, 16, 1
	v_lshlrev_b32_e32 v53, 16, v66
	v_mul_f32_e32 v47, v1, v47
	v_lshlrev_b32_e32 v43, 16, v43
	v_add_f32_e32 v20, v49, v21
	v_add3_u32 v21, v51, v48, 0x7fff
	v_or_b32_e32 v49, 0x400000, v48
	v_add3_u32 v51, v52, v50, 0x7fff
	v_mul_f32_e32 v52, v2, v53
	v_or_b32_e32 v53, 0x400000, v50
	v_mul_f32_e32 v46, v5, v46
	v_cndmask_b32_e32 v21, v21, v49, vcc_lo
	v_cmp_u_f32_e32 vcc_lo, v50, v50
	v_bfe_u32 v48, v52, 16, 1
	v_mul_f32_e32 v50, v8, v54
	v_lshlrev_b32_e32 v54, 16, v64
	v_lshlrev_b32_e32 v64, 16, v67
	v_cndmask_b32_e32 v49, v51, v53, vcc_lo
	v_lshlrev_b32_e32 v51, 16, v63
	v_add3_u32 v48, v48, v52, 0x7fff
	v_or_b32_e32 v53, 0x400000, v52
	v_bfe_u32 v63, v50, 16, 1
	v_cmp_u_f32_e32 vcc_lo, v52, v52
	v_mul_f32_e32 v51, v3, v51
	v_mul_f32_e32 v52, v6, v54
	v_or_b32_e32 v54, 0x400000, v50
	v_and_b32_e32 v49, 0xffff0000, v49
	v_cndmask_b32_e32 v48, v48, v53, vcc_lo
	v_add3_u32 v53, v63, v50, 0x7fff
	v_bfe_u32 v63, v51, 16, 1
	v_cmp_u_f32_e32 vcc_lo, v50, v50
	v_bfe_u32 v66, v52, 16, 1
	v_and_b32_e32 v21, 0xffff0000, v21
	v_and_b32_e32 v48, 0xffff0000, v48
	v_mul_f32_e32 v43, v2, v43
	v_cndmask_b32_e32 v50, v53, v54, vcc_lo
	v_add3_u32 v53, v63, v51, 0x7fff
	v_mul_f32_e32 v54, v4, v64
	v_or_b32_e32 v63, 0x400000, v51
	v_cmp_u_f32_e32 vcc_lo, v51, v51
	v_add3_u32 v64, v66, v52, 0x7fff
	v_or_b32_e32 v66, 0x400000, v52
	v_bfe_u32 v67, v54, 16, 1
	v_and_b32_e32 v50, 0xffff0000, v50
	v_cndmask_b32_e32 v51, v53, v63, vcc_lo
	v_mul_f32_e32 v53, v7, v65
	v_cmp_u_f32_e32 vcc_lo, v52, v52
	v_add3_u32 v63, v67, v54, 0x7fff
	v_add_f32_e32 v21, v49, v21
	v_add_f32_e32 v48, v50, v48
	v_bfe_u32 v65, v53, 16, 1
	v_cndmask_b32_e32 v52, v64, v66, vcc_lo
	v_or_b32_e32 v64, 0x400000, v54
	v_cmp_u_f32_e32 vcc_lo, v54, v54
	v_and_b32_e32 v50, 0xffff0000, v51
	v_lshlrev_b32_e32 v51, 16, v62
	v_and_b32_e32 v49, 0xffff0000, v52
	v_add_f32_e32 v21, v48, v21
	v_cndmask_b32_e32 v54, v63, v64, vcc_lo
	v_add3_u32 v63, v65, v53, 0x7fff
	v_or_b32_e32 v64, 0x400000, v53
	v_cmp_u_f32_e32 vcc_lo, v53, v53
	v_lshlrev_b32_e32 v53, 16, v61
	v_add_f32_e32 v48, v49, v50
	v_mul_f32_e32 v49, v1, v51
	v_lshlrev_b32_e32 v45, 16, v45
	v_cndmask_b32_e32 v52, v63, v64, vcc_lo
	v_mul_f32_e32 v51, v5, v53
	v_lshlrev_b32_e32 v53, 16, v58
	v_add_f32_e32 v21, v48, v21
	v_cmp_u_f32_e32 vcc_lo, v49, v49
	v_and_b32_e32 v50, 0xffff0000, v52
	v_and_b32_e32 v52, 0xffff0000, v54
	v_bfe_u32 v54, v49, 16, 1
	v_bfe_u32 v58, v51, 16, 1
	v_lshlrev_b32_e32 v41, 16, v41
	v_mul_f32_e32 v45, v8, v45
	v_add_f32_e32 v48, v50, v52
	v_mul_f32_e32 v50, v2, v53
	v_add3_u32 v52, v54, v49, 0x7fff
	v_or_b32_e32 v53, 0x400000, v49
	v_add3_u32 v54, v58, v51, 0x7fff
	v_or_b32_e32 v58, 0x400000, v51
	v_bfe_u32 v61, v50, 16, 1
	v_mul_f32_e32 v41, v3, v41
	v_cndmask_b32_e32 v49, v52, v53, vcc_lo
	v_cmp_u_f32_e32 vcc_lo, v51, v51
	v_mul_f32_e32 v52, v8, v60
	v_add3_u32 v53, v61, v50, 0x7fff
	v_lshlrev_b32_e32 v40, 16, v40
	v_and_b32_e32 v49, 0xffff0000, v49
	v_cndmask_b32_e32 v51, v54, v58, vcc_lo
	v_or_b32_e32 v54, 0x400000, v50
	v_cmp_u_f32_e32 vcc_lo, v50, v50
	v_bfe_u32 v58, v52, 16, 1
	v_lshlrev_b32_e32 v44, 16, v44
	v_and_b32_e32 v51, 0xffff0000, v51
	v_mul_f32_e32 v40, v6, v40
	v_cndmask_b32_e32 v50, v53, v54, vcc_lo
	v_mul_f32_e32 v53, v3, v55
	v_mul_f32_e32 v54, v6, v56
	v_add3_u32 v55, v58, v52, 0x7fff
	v_or_b32_e32 v56, 0x400000, v52
	v_lshlrev_b32_e32 v58, 16, v59
	v_bfe_u32 v59, v53, 16, 1
	v_cmp_u_f32_e32 vcc_lo, v52, v52
	v_bfe_u32 v60, v54, 16, 1
	v_and_b32_e32 v50, 0xffff0000, v50
	v_add_f32_e32 v49, v51, v49
	v_mul_f32_e32 v44, v4, v44
	v_cndmask_b32_e32 v52, v55, v56, vcc_lo
	v_mul_f32_e32 v55, v4, v58
	v_add3_u32 v56, v59, v53, 0x7fff
	v_or_b32_e32 v58, 0x400000, v53
	v_cmp_u_f32_e32 vcc_lo, v53, v53
	v_add3_u32 v59, v60, v54, 0x7fff
	v_or_b32_e32 v60, 0x400000, v54
	v_bfe_u32 v61, v55, 16, 1
	v_and_b32_e32 v52, 0xffff0000, v52
	v_cndmask_b32_e32 v53, v56, v58, vcc_lo
	v_lshlrev_b32_e32 v56, 16, v57
	v_cmp_u_f32_e32 vcc_lo, v54, v54
	v_add3_u32 v57, v61, v55, 0x7fff
	v_or_b32_e32 v58, 0x400000, v55
	v_add_f32_e32 v50, v52, v50
	v_mul_f32_e32 v56, v7, v56
	v_cndmask_b32_e32 v54, v59, v60, vcc_lo
	v_cmp_u_f32_e32 vcc_lo, v55, v55
	v_and_b32_e32 v52, 0xffff0000, v53
	v_add_f32_e32 v49, v50, v49
	v_lshlrev_b32_e32 v42, 16, v42
	v_and_b32_e32 v51, 0xffff0000, v54
	v_cndmask_b32_e32 v55, v57, v58, vcc_lo
	v_bfe_u32 v57, v56, 16, 1
	v_or_b32_e32 v54, 0x400000, v56
	v_cmp_u_f32_e32 vcc_lo, v56, v56
	v_add_f32_e32 v50, v51, v52
	v_bfe_u32 v52, v47, 16, 1
	v_add3_u32 v53, v57, v56, 0x7fff
	v_mul_f32_e32 v42, v7, v42
	v_lshlrev_b32_e32 v17, 16, v17
	v_add_f32_e32 v49, v50, v49
	v_lshlrev_b32_e32 v16, 16, v16
	v_cndmask_b32_e32 v51, v53, v54, vcc_lo
	v_bfe_u32 v54, v46, 16, 1
	v_cmp_u_f32_e32 vcc_lo, v47, v47
	v_and_b32_e32 v53, 0xffff0000, v55
	v_or_b32_e32 v55, 0x400000, v43
	v_and_b32_e32 v50, 0xffff0000, v51
	v_add3_u32 v51, v52, v47, 0x7fff
	v_or_b32_e32 v52, 0x400000, v47
	v_mul_f32_e32 v2, v2, v17
	v_mul_f32_e32 v6, v6, v16
	v_lshlrev_b32_e32 v10, 16, v10
	v_lshlrev_b32_e32 v18, 16, v18
	v_cndmask_b32_e32 v47, v51, v52, vcc_lo
	v_bfe_u32 v51, v43, 16, 1
	v_add3_u32 v52, v54, v46, 0x7fff
	v_or_b32_e32 v54, 0x400000, v46
	v_cmp_u_f32_e32 vcc_lo, v46, v46
	v_and_b32_e32 v47, 0xffff0000, v47
	v_add3_u32 v51, v51, v43, 0x7fff
	v_mul_f32_e32 v3, v3, v10
	v_lshlrev_b32_e32 v10, 16, v19
	v_cndmask_b32_e32 v46, v52, v54, vcc_lo
	v_bfe_u32 v52, v45, 16, 1
	v_cmp_u_f32_e32 vcc_lo, v43, v43
	v_or_b32_e32 v54, 0x400000, v45
	v_mul_f32_e32 v7, v7, v10
	v_and_b32_e32 v46, 0xffff0000, v46
	v_add3_u32 v52, v52, v45, 0x7fff
	v_cndmask_b32_e32 v43, v51, v55, vcc_lo
	v_bfe_u32 v51, v41, 16, 1
	v_cmp_u_f32_e32 vcc_lo, v45, v45
	v_or_b32_e32 v55, 0x400000, v41
	v_add_f32_e32 v46, v46, v47
	v_and_b32_e32 v43, 0xffff0000, v43
	v_add3_u32 v51, v51, v41, 0x7fff
	v_cndmask_b32_e32 v45, v52, v54, vcc_lo
	v_bfe_u32 v52, v40, 16, 1
	v_cmp_u_f32_e32 vcc_lo, v41, v41
	v_bfe_u32 v54, v44, 16, 1
	v_mul_f32_e32 v4, v4, v18
	v_and_b32_e32 v45, 0xffff0000, v45
	v_or_b32_e32 v10, 0x400000, v6
	v_cndmask_b32_e32 v41, v51, v55, vcc_lo
	v_add3_u32 v51, v52, v40, 0x7fff
	v_or_b32_e32 v52, 0x400000, v40
	v_cmp_u_f32_e32 vcc_lo, v40, v40
	v_add3_u32 v54, v54, v44, 0x7fff
	v_or_b32_e32 v55, 0x400000, v44
	v_add_f32_e32 v43, v45, v43
	v_and_b32_e32 v41, 0xffff0000, v41
	v_cndmask_b32_e32 v40, v51, v52, vcc_lo
	v_cmp_u_f32_e32 vcc_lo, v44, v44
	v_bfe_u32 v51, v42, 16, 1
	v_lshlrev_b32_e32 v45, 16, v86
	v_or_b32_e32 v52, 0x400000, v42
	v_and_b32_e32 v40, 0xffff0000, v40
	v_cndmask_b32_e32 v44, v54, v55, vcc_lo
	v_lshlrev_b32_e32 v54, 16, v87
	v_add3_u32 v51, v51, v42, 0x7fff
	v_cmp_u_f32_e32 vcc_lo, v42, v42
	v_add_f32_e32 v43, v43, v46
	v_add_f32_e32 v40, v40, v41
	v_mul_f32_e32 v5, v5, v54
	v_mul_f32_e32 v1, v1, v45
	v_lshlrev_b32_e32 v41, 16, v85
	v_cndmask_b32_e32 v42, v51, v52, vcc_lo
	v_or_b32_e32 v18, 0x400000, v3
	v_bfe_u32 v46, v5, 16, 1
	v_bfe_u32 v47, v1, 16, 1
	v_mul_f32_e32 v8, v8, v41
	v_cmp_u_f32_e32 vcc_lo, v5, v5
	v_bfe_u32 v19, v7, 16, 1
	v_add3_u32 v45, v46, v5, 0x7fff
	v_or_b32_e32 v46, 0x400000, v5
	v_add3_u32 v41, v47, v1, 0x7fff
	v_and_b32_e32 v42, 0xffff0000, v42
	v_add_nc_u32_e32 v9, 4, v9
	v_add_co_u32 v14, s0, v14, 16
	v_cndmask_b32_e32 v5, v45, v46, vcc_lo
	v_or_b32_e32 v45, 0x400000, v1
	v_bfe_u32 v46, v8, 16, 1
	v_cmp_u_f32_e32 vcc_lo, v1, v1
	v_add_f32_e32 v29, v29, v20
	v_and_b32_e32 v5, 0xffff0000, v5
	v_add_nc_u32_e32 v33, 64, v33
	v_add3_u32 v17, v46, v8, 0x7fff
	v_cndmask_b32_e32 v1, v41, v45, vcc_lo
	v_or_b32_e32 v41, 0x400000, v8
	v_bfe_u32 v45, v2, 16, 1
	v_cmp_u_f32_e32 vcc_lo, v8, v8
	v_add_nc_u32_e32 v34, 0x100, v34
	v_and_b32_e32 v1, 0xffff0000, v1
	v_add_co_ci_u32_e64 v15, null, 0, v15, s0
	v_cndmask_b32_e32 v8, v17, v41, vcc_lo
	v_add3_u32 v16, v45, v2, 0x7fff
	v_or_b32_e32 v17, 0x400000, v2
	v_bfe_u32 v41, v6, 16, 1
	v_cmp_u_f32_e32 vcc_lo, v2, v2
	v_and_b32_e32 v8, 0xffff0000, v8
	v_add_f32_e32 v1, v5, v1
	v_cndmask_b32_e32 v2, v16, v17, vcc_lo
	v_bfe_u32 v16, v3, 16, 1
	v_add3_u32 v17, v41, v6, 0x7fff
	v_cmp_u_f32_e32 vcc_lo, v6, v6
	v_bfe_u32 v41, v4, 16, 1
	v_and_b32_e32 v2, 0xffff0000, v2
	v_add3_u32 v16, v16, v3, 0x7fff
	v_cndmask_b32_e32 v6, v17, v10, vcc_lo
	v_cmp_u_f32_e32 vcc_lo, v3, v3
	v_or_b32_e32 v17, 0x400000, v4
	v_add3_u32 v10, v19, v7, 0x7fff
	v_add_f32_e32 v2, v8, v2
	v_and_b32_e32 v5, 0xffff0000, v6
	v_cndmask_b32_e32 v3, v16, v18, vcc_lo
	v_add3_u32 v16, v41, v4, 0x7fff
	v_cmp_u_f32_e32 vcc_lo, v4, v4
	v_or_b32_e32 v18, 0x400000, v7
	v_add_f32_e32 v1, v2, v1
	v_and_b32_e32 v3, 0xffff0000, v3
	v_cndmask_b32_e32 v4, v16, v17, vcc_lo
	v_cmp_u_f32_e32 vcc_lo, v7, v7
	v_and_b32_e32 v7, 0xffff0000, v44
	v_add_f32_e32 v2, v5, v3
	v_add_f32_e32 v5, v50, v53
	v_and_b32_e32 v3, 0xffff0000, v4
	v_cndmask_b32_e32 v6, v10, v18, vcc_lo
	v_add_f32_e32 v7, v42, v7
	v_add_f32_e32 v1, v2, v1
	v_cmp_le_i32_e32 vcc_lo, s11, v9
	v_and_b32_e32 v4, 0xffff0000, v6
	v_add_f32_e32 v6, v40, v43
	s_or_b32 s12, vcc_lo, s12
	v_add_f32_e32 v2, v4, v3
	v_add_f32_e32 v3, v48, v21
	;; [unrolled: 1-line block ×9, first 2 shown]
	s_andn2_b32 exec_lo, exec_lo, s12
	s_cbranch_execz .LBB363_789
.LBB363_417:                            ; =>This Inner Loop Header: Depth=1
	global_load_dword v1, v[14:15], off
	v_mov_b32_e32 v42, 0
	s_waitcnt vmcnt(0)
	v_mad_i64_i32 v[16:17], null, v1, s3, v[12:13]
	global_load_dwordx2 v[18:19], v[16:17], off
	ds_read2_b64 v[5:8], v34 offset1:1
	ds_read2_b64 v[1:4], v34 offset0:2 offset1:3
	s_waitcnt vmcnt(0)
	v_cmp_ne_u16_sdwa s13, v18, v11 src0_sel:BYTE_0 src1_sel:DWORD
	s_and_saveexec_b32 s0, s13
	s_cbranch_execz .LBB363_423
; %bb.418:                              ;   in Loop: Header=BB363_417 Depth=1
	v_cmp_ne_u16_sdwa s14, v18, v35 src0_sel:BYTE_0 src1_sel:DWORD
	v_bfrev_b32_e32 v42, 1
	s_and_saveexec_b32 s13, s14
	s_cbranch_execz .LBB363_422
; %bb.419:                              ;   in Loop: Header=BB363_417 Depth=1
	v_and_b32_e32 v10, 0x7f, v18
	v_mov_b32_e32 v42, 0x7f800001
	s_mov_b32 s14, exec_lo
	v_cmpx_ne_u32_e32 0x7f, v10
	s_cbranch_execz .LBB363_421
; %bb.420:                              ;   in Loop: Header=BB363_417 Depth=1
	v_and_b32_e32 v20, 7, v18
	v_lshrrev_b32_e32 v21, 3, v10
	v_cmp_gt_u32_e32 vcc_lo, 8, v10
	v_ffbh_u32_e32 v20, v20
	v_min_u32_e32 v20, 32, v20
	v_subrev_nc_u32_e32 v40, 28, v20
	v_sub_nc_u32_e32 v20, 29, v20
	v_cndmask_b32_e32 v10, v21, v20, vcc_lo
	v_cndmask_b32_e32 v20, 0, v40, vcc_lo
	v_lshl_add_u32 v10, v10, 23, 0x3c000000
	v_lshlrev_b64 v[20:21], v20, v[18:19]
	v_lshlrev_b32_e32 v21, 24, v18
	v_lshlrev_b32_e32 v20, 20, v20
	v_and_b32_e32 v21, 0x80000000, v21
	v_and_b32_e32 v20, 0x700000, v20
	v_or3_b32 v42, v20, v21, v10
.LBB363_421:                            ;   in Loop: Header=BB363_417 Depth=1
	s_or_b32 exec_lo, exec_lo, s14
.LBB363_422:                            ;   in Loop: Header=BB363_417 Depth=1
	s_or_b32 exec_lo, exec_lo, s13
.LBB363_423:                            ;   in Loop: Header=BB363_417 Depth=1
	s_or_b32 exec_lo, exec_lo, s0
	v_cmp_ne_u16_sdwa s13, v18, v11 src0_sel:BYTE_1 src1_sel:DWORD
	v_mov_b32_e32 v41, 0
	v_mov_b32_e32 v40, 0
	s_and_saveexec_b32 s0, s13
	s_cbranch_execz .LBB363_431
; %bb.424:                              ;   in Loop: Header=BB363_417 Depth=1
	v_cmp_ne_u16_sdwa s14, v18, v35 src0_sel:BYTE_1 src1_sel:DWORD
	v_bfrev_b32_e32 v40, 1
	s_and_saveexec_b32 s13, s14
	s_cbranch_execz .LBB363_430
; %bb.425:                              ;   in Loop: Header=BB363_417 Depth=1
	v_and_b32_sdwa v10, v36, v18 dst_sel:DWORD dst_unused:UNUSED_PAD src0_sel:DWORD src1_sel:BYTE_1
	v_mov_b32_e32 v40, 0x7f800001
	s_mov_b32 s14, exec_lo
	v_and_b32_e32 v21, 0x7f, v10
	v_cmpx_ne_u32_e32 0x7f, v21
	s_cbranch_execz .LBB363_429
; %bb.426:                              ;   in Loop: Header=BB363_417 Depth=1
	v_and_b32_e32 v10, 7, v10
	v_lshrrev_b32_e32 v20, 3, v21
	s_mov_b32 s15, exec_lo
	v_cmpx_gt_u32_e32 8, v21
; %bb.427:                              ;   in Loop: Header=BB363_417 Depth=1
	v_ffbh_u32_e32 v20, v10
	v_min_u32_e32 v20, 32, v20
	v_subrev_nc_u32_e32 v21, 28, v20
	v_sub_nc_u32_e32 v20, 29, v20
	v_lshlrev_b64 v[43:44], v21, v[10:11]
	v_and_b32_e32 v10, 7, v43
; %bb.428:                              ;   in Loop: Header=BB363_417 Depth=1
	s_or_b32 exec_lo, exec_lo, s15
	v_lshlrev_b32_e32 v21, 16, v18
	v_lshlrev_b32_e32 v10, 20, v10
	v_lshl_add_u32 v20, v20, 23, 0x3c000000
	v_and_b32_e32 v21, 0x80000000, v21
	v_or3_b32 v40, v10, v21, v20
.LBB363_429:                            ;   in Loop: Header=BB363_417 Depth=1
	s_or_b32 exec_lo, exec_lo, s14
.LBB363_430:                            ;   in Loop: Header=BB363_417 Depth=1
	s_or_b32 exec_lo, exec_lo, s13
.LBB363_431:                            ;   in Loop: Header=BB363_417 Depth=1
	s_or_b32 exec_lo, exec_lo, s0
	v_and_b32_sdwa v10, v18, v37 dst_sel:DWORD dst_unused:UNUSED_PAD src0_sel:WORD_1 src1_sel:DWORD
	s_mov_b32 s0, exec_lo
	v_cmpx_ne_u16_e32 0, v10
	s_cbranch_execz .LBB363_439
; %bb.432:                              ;   in Loop: Header=BB363_417 Depth=1
	v_bfrev_b32_e32 v41, 1
	s_mov_b32 s13, exec_lo
	v_cmpx_ne_u16_e32 0x80, v10
	s_cbranch_execz .LBB363_438
; %bb.433:                              ;   in Loop: Header=BB363_417 Depth=1
	v_bfe_u32 v21, v18, 16, 7
	v_mov_b32_e32 v41, 0x7f800001
	s_mov_b32 s14, exec_lo
	v_cmpx_ne_u32_e32 0x7f, v21
	s_cbranch_execz .LBB363_437
; %bb.434:                              ;   in Loop: Header=BB363_417 Depth=1
	v_and_b32_sdwa v10, v18, v38 dst_sel:DWORD dst_unused:UNUSED_PAD src0_sel:WORD_1 src1_sel:DWORD
	v_lshrrev_b32_e32 v20, 3, v21
	s_mov_b32 s15, exec_lo
	v_cmpx_gt_u32_e32 8, v21
; %bb.435:                              ;   in Loop: Header=BB363_417 Depth=1
	v_ffbh_u32_e32 v20, v10
	v_min_u32_e32 v20, 32, v20
	v_subrev_nc_u32_e32 v21, 28, v20
	v_sub_nc_u32_e32 v20, 29, v20
	v_lshlrev_b64 v[43:44], v21, v[10:11]
	v_and_b32_e32 v10, 7, v43
; %bb.436:                              ;   in Loop: Header=BB363_417 Depth=1
	s_or_b32 exec_lo, exec_lo, s15
	v_lshlrev_b32_sdwa v21, v39, v18 dst_sel:DWORD dst_unused:UNUSED_PAD src0_sel:DWORD src1_sel:WORD_1
	v_lshlrev_b32_e32 v10, 20, v10
	v_lshl_add_u32 v20, v20, 23, 0x3c000000
	v_and_b32_e32 v21, 0x80000000, v21
	v_or3_b32 v41, v10, v21, v20
.LBB363_437:                            ;   in Loop: Header=BB363_417 Depth=1
	s_or_b32 exec_lo, exec_lo, s14
.LBB363_438:                            ;   in Loop: Header=BB363_417 Depth=1
	s_or_b32 exec_lo, exec_lo, s13
.LBB363_439:                            ;   in Loop: Header=BB363_417 Depth=1
	s_or_b32 exec_lo, exec_lo, s0
	v_mov_b32_e32 v43, 0
	v_mov_b32_e32 v44, 0
	s_mov_b32 s0, exec_lo
	v_cmpx_lt_u32_e32 0xffffff, v18
	s_cbranch_execz .LBB363_447
; %bb.440:                              ;   in Loop: Header=BB363_417 Depth=1
	v_cmp_ne_u32_sdwa s14, v18, v35 src0_sel:BYTE_3 src1_sel:DWORD
	v_bfrev_b32_e32 v44, 1
	s_and_saveexec_b32 s13, s14
	s_cbranch_execz .LBB363_446
; %bb.441:                              ;   in Loop: Header=BB363_417 Depth=1
	v_bfe_u32 v21, v18, 24, 7
	v_mov_b32_e32 v44, 0x7f800001
	s_mov_b32 s14, exec_lo
	v_cmpx_ne_u32_e32 0x7f, v21
	s_cbranch_execz .LBB363_445
; %bb.442:                              ;   in Loop: Header=BB363_417 Depth=1
	v_and_b32_sdwa v10, v18, v38 dst_sel:DWORD dst_unused:UNUSED_PAD src0_sel:BYTE_3 src1_sel:DWORD
	v_lshrrev_b32_e32 v20, 3, v21
	s_mov_b32 s15, exec_lo
	v_cmpx_gt_u32_e32 8, v21
; %bb.443:                              ;   in Loop: Header=BB363_417 Depth=1
	v_ffbh_u32_e32 v20, v10
	v_min_u32_e32 v20, 32, v20
	v_subrev_nc_u32_e32 v21, 28, v20
	v_sub_nc_u32_e32 v20, 29, v20
	v_lshlrev_b64 v[44:45], v21, v[10:11]
	v_and_b32_e32 v10, 7, v44
; %bb.444:                              ;   in Loop: Header=BB363_417 Depth=1
	s_or_b32 exec_lo, exec_lo, s15
	v_lshlrev_b32_sdwa v21, v39, v18 dst_sel:DWORD dst_unused:UNUSED_PAD src0_sel:DWORD src1_sel:BYTE_3
	v_lshlrev_b32_e32 v10, 20, v10
	v_lshl_add_u32 v20, v20, 23, 0x3c000000
	v_and_b32_e32 v21, 0x80000000, v21
	v_or3_b32 v44, v10, v21, v20
.LBB363_445:                            ;   in Loop: Header=BB363_417 Depth=1
	s_or_b32 exec_lo, exec_lo, s14
.LBB363_446:                            ;   in Loop: Header=BB363_417 Depth=1
	s_or_b32 exec_lo, exec_lo, s13
.LBB363_447:                            ;   in Loop: Header=BB363_417 Depth=1
	s_or_b32 exec_lo, exec_lo, s0
	v_mov_b32_e32 v10, v19
	v_cmp_ne_u16_sdwa s13, v19, v11 src0_sel:BYTE_0 src1_sel:DWORD
	s_and_saveexec_b32 s0, s13
	s_cbranch_execz .LBB363_453
; %bb.448:                              ;   in Loop: Header=BB363_417 Depth=1
	v_cmp_ne_u16_sdwa s14, v19, v35 src0_sel:BYTE_0 src1_sel:DWORD
	v_bfrev_b32_e32 v43, 1
	s_and_saveexec_b32 s13, s14
	s_cbranch_execz .LBB363_452
; %bb.449:                              ;   in Loop: Header=BB363_417 Depth=1
	v_and_b32_e32 v20, 0x7f, v19
	v_mov_b32_e32 v43, 0x7f800001
	s_mov_b32 s14, exec_lo
	v_cmpx_ne_u32_e32 0x7f, v20
	s_cbranch_execz .LBB363_451
; %bb.450:                              ;   in Loop: Header=BB363_417 Depth=1
	v_and_b32_e32 v21, 7, v19
	v_cmp_gt_u32_e32 vcc_lo, 8, v20
	v_lshrrev_b32_e32 v43, 3, v20
	v_ffbh_u32_e32 v21, v21
	v_min_u32_e32 v21, 32, v21
	v_subrev_nc_u32_e32 v45, 28, v21
	v_sub_nc_u32_e32 v21, 29, v21
	v_cndmask_b32_e32 v20, 0, v45, vcc_lo
	v_cndmask_b32_e32 v43, v43, v21, vcc_lo
	v_lshlrev_b64 v[20:21], v20, v[10:11]
	v_lshlrev_b32_e32 v21, 24, v10
	v_lshl_add_u32 v43, v43, 23, 0x3c000000
	v_lshlrev_b32_e32 v20, 20, v20
	v_and_b32_e32 v21, 0x80000000, v21
	v_and_b32_e32 v20, 0x700000, v20
	v_or3_b32 v43, v20, v21, v43
.LBB363_451:                            ;   in Loop: Header=BB363_417 Depth=1
	s_or_b32 exec_lo, exec_lo, s14
.LBB363_452:                            ;   in Loop: Header=BB363_417 Depth=1
	s_or_b32 exec_lo, exec_lo, s13
.LBB363_453:                            ;   in Loop: Header=BB363_417 Depth=1
	s_or_b32 exec_lo, exec_lo, s0
	v_cmp_ne_u16_sdwa s13, v10, v11 src0_sel:BYTE_1 src1_sel:DWORD
	v_mov_b32_e32 v45, 0
	v_mov_b32_e32 v20, 0
	s_and_saveexec_b32 s0, s13
	s_cbranch_execz .LBB363_461
; %bb.454:                              ;   in Loop: Header=BB363_417 Depth=1
	v_cmp_ne_u16_sdwa s14, v10, v35 src0_sel:BYTE_1 src1_sel:DWORD
	v_bfrev_b32_e32 v20, 1
	s_and_saveexec_b32 s13, s14
	s_cbranch_execz .LBB363_460
; %bb.455:                              ;   in Loop: Header=BB363_417 Depth=1
	v_and_b32_sdwa v21, v36, v10 dst_sel:DWORD dst_unused:UNUSED_PAD src0_sel:DWORD src1_sel:BYTE_1
	v_mov_b32_e32 v20, 0x7f800001
	s_mov_b32 s14, exec_lo
	v_and_b32_e32 v47, 0x7f, v21
	v_cmpx_ne_u32_e32 0x7f, v47
	s_cbranch_execz .LBB363_459
; %bb.456:                              ;   in Loop: Header=BB363_417 Depth=1
	v_and_b32_e32 v20, 7, v21
	v_mov_b32_e32 v21, v11
	v_lshrrev_b32_e32 v46, 3, v47
	s_mov_b32 s15, exec_lo
	v_cmpx_gt_u32_e32 8, v47
; %bb.457:                              ;   in Loop: Header=BB363_417 Depth=1
	v_ffbh_u32_e32 v46, v20
	v_min_u32_e32 v46, 32, v46
	v_subrev_nc_u32_e32 v47, 28, v46
	v_sub_nc_u32_e32 v46, 29, v46
	v_lshlrev_b64 v[20:21], v47, v[20:21]
	v_and_b32_e32 v20, 7, v20
; %bb.458:                              ;   in Loop: Header=BB363_417 Depth=1
	s_or_b32 exec_lo, exec_lo, s15
	v_lshlrev_b32_e32 v10, 16, v10
	v_lshlrev_b32_e32 v20, 20, v20
	v_lshl_add_u32 v21, v46, 23, 0x3c000000
	v_and_b32_e32 v10, 0x80000000, v10
	v_or3_b32 v20, v20, v10, v21
.LBB363_459:                            ;   in Loop: Header=BB363_417 Depth=1
	s_or_b32 exec_lo, exec_lo, s14
.LBB363_460:                            ;   in Loop: Header=BB363_417 Depth=1
	s_or_b32 exec_lo, exec_lo, s13
.LBB363_461:                            ;   in Loop: Header=BB363_417 Depth=1
	s_or_b32 exec_lo, exec_lo, s0
	v_and_b32_sdwa v10, v19, v37 dst_sel:DWORD dst_unused:UNUSED_PAD src0_sel:WORD_1 src1_sel:DWORD
	s_mov_b32 s0, exec_lo
	v_cmpx_ne_u16_e32 0, v10
	s_cbranch_execz .LBB363_469
; %bb.462:                              ;   in Loop: Header=BB363_417 Depth=1
	v_bfrev_b32_e32 v45, 1
	s_mov_b32 s13, exec_lo
	v_cmpx_ne_u16_e32 0x80, v10
	s_cbranch_execz .LBB363_468
; %bb.463:                              ;   in Loop: Header=BB363_417 Depth=1
	v_bfe_u32 v46, v19, 16, 7
	v_mov_b32_e32 v45, 0x7f800001
	s_mov_b32 s14, exec_lo
	v_cmpx_ne_u32_e32 0x7f, v46
	s_cbranch_execz .LBB363_467
; %bb.464:                              ;   in Loop: Header=BB363_417 Depth=1
	v_and_b32_sdwa v10, v19, v38 dst_sel:DWORD dst_unused:UNUSED_PAD src0_sel:WORD_1 src1_sel:DWORD
	v_lshrrev_b32_e32 v21, 3, v46
	s_mov_b32 s15, exec_lo
	v_cmpx_gt_u32_e32 8, v46
; %bb.465:                              ;   in Loop: Header=BB363_417 Depth=1
	v_ffbh_u32_e32 v21, v10
	v_min_u32_e32 v21, 32, v21
	v_subrev_nc_u32_e32 v45, 28, v21
	v_sub_nc_u32_e32 v21, 29, v21
	v_lshlrev_b64 v[45:46], v45, v[10:11]
	v_and_b32_e32 v10, 7, v45
; %bb.466:                              ;   in Loop: Header=BB363_417 Depth=1
	s_or_b32 exec_lo, exec_lo, s15
	v_lshlrev_b32_sdwa v45, v39, v19 dst_sel:DWORD dst_unused:UNUSED_PAD src0_sel:DWORD src1_sel:WORD_1
	v_lshlrev_b32_e32 v10, 20, v10
	v_lshl_add_u32 v21, v21, 23, 0x3c000000
	v_and_b32_e32 v45, 0x80000000, v45
	v_or3_b32 v45, v10, v45, v21
.LBB363_467:                            ;   in Loop: Header=BB363_417 Depth=1
	s_or_b32 exec_lo, exec_lo, s14
.LBB363_468:                            ;   in Loop: Header=BB363_417 Depth=1
	s_or_b32 exec_lo, exec_lo, s13
.LBB363_469:                            ;   in Loop: Header=BB363_417 Depth=1
	s_or_b32 exec_lo, exec_lo, s0
	v_mov_b32_e32 v10, 0
	s_mov_b32 s0, exec_lo
	v_cmpx_lt_u64_e64 s[4:5], v[18:19]
	s_cbranch_execz .LBB363_477
; %bb.470:                              ;   in Loop: Header=BB363_417 Depth=1
	v_cmp_ne_u32_sdwa s14, v19, v35 src0_sel:BYTE_3 src1_sel:DWORD
	v_bfrev_b32_e32 v10, 1
	s_and_saveexec_b32 s13, s14
	s_cbranch_execz .LBB363_476
; %bb.471:                              ;   in Loop: Header=BB363_417 Depth=1
	v_bfe_u32 v21, v19, 24, 7
	v_mov_b32_e32 v10, 0x7f800001
	s_mov_b32 s14, exec_lo
	v_cmpx_ne_u32_e32 0x7f, v21
	s_cbranch_execz .LBB363_475
; %bb.472:                              ;   in Loop: Header=BB363_417 Depth=1
	v_and_b32_sdwa v10, v19, v38 dst_sel:DWORD dst_unused:UNUSED_PAD src0_sel:BYTE_3 src1_sel:DWORD
	v_lshrrev_b32_e32 v18, 3, v21
	s_mov_b32 s15, exec_lo
	v_cmpx_gt_u32_e32 8, v21
; %bb.473:                              ;   in Loop: Header=BB363_417 Depth=1
	v_ffbh_u32_e32 v18, v10
	v_min_u32_e32 v18, 32, v18
	v_subrev_nc_u32_e32 v21, 28, v18
	v_sub_nc_u32_e32 v18, 29, v18
	v_lshlrev_b64 v[46:47], v21, v[10:11]
	v_and_b32_e32 v10, 7, v46
; %bb.474:                              ;   in Loop: Header=BB363_417 Depth=1
	s_or_b32 exec_lo, exec_lo, s15
	v_lshlrev_b32_sdwa v19, v39, v19 dst_sel:DWORD dst_unused:UNUSED_PAD src0_sel:DWORD src1_sel:BYTE_3
	v_lshlrev_b32_e32 v10, 20, v10
	v_lshl_add_u32 v18, v18, 23, 0x3c000000
	v_and_b32_e32 v19, 0x80000000, v19
	v_or3_b32 v10, v10, v19, v18
.LBB363_475:                            ;   in Loop: Header=BB363_417 Depth=1
	s_or_b32 exec_lo, exec_lo, s14
.LBB363_476:                            ;   in Loop: Header=BB363_417 Depth=1
	s_or_b32 exec_lo, exec_lo, s13
.LBB363_477:                            ;   in Loop: Header=BB363_417 Depth=1
	s_or_b32 exec_lo, exec_lo, s0
	s_waitcnt lgkmcnt(0)
	v_mul_f32_e32 v18, s6, v20
	v_mul_f32_e32 v19, s6, v43
	;; [unrolled: 1-line block ×5, first 2 shown]
	v_bfe_u32 v21, v18, 16, 1
	v_or_b32_e32 v41, 0x400000, v18
	v_bfe_u32 v43, v19, 16, 1
	v_cmp_u_f32_e64 s0, v18, v18
	v_or_b32_e32 v46, 0x400000, v19
	v_add3_u32 v21, v21, v18, 0x7fff
	v_bfe_u32 v47, v20, 16, 1
	v_add3_u32 v43, v43, v19, 0x7fff
	v_or_b32_e32 v49, 0x400000, v20
	v_add_nc_u32_e32 v48, -7, v33
	v_cndmask_b32_e64 v18, v21, v41, s0
	v_cmp_u_f32_e64 s0, v19, v19
	v_bfe_u32 v21, v44, 16, 1
	v_add3_u32 v47, v47, v20, 0x7fff
	v_cmp_eq_u32_e32 vcc_lo, s9, v9
	v_lshrrev_b32_e32 v41, 16, v18
	v_cndmask_b32_e64 v19, v43, v46, s0
	v_cmp_u_f32_e64 s0, v20, v20
	v_mul_f32_e32 v20, s6, v40
	v_add3_u32 v21, v21, v44, 0x7fff
	v_or_b32_e32 v46, 0x400000, v44
	v_lshrrev_b32_e32 v40, 16, v19
	v_cndmask_b32_e64 v18, v47, v49, s0
	v_cmp_u_f32_e64 s0, v44, v44
	v_or_b32_e32 v44, 0x400000, v20
	v_or_b32_e32 v49, 0x400000, v10
	v_add_nc_u32_e32 v54, -6, v33
	v_lshrrev_b32_e32 v43, 16, v18
	v_bfe_u32 v18, v20, 16, 1
	v_cndmask_b32_e64 v19, v21, v46, s0
	v_mul_f32_e32 v21, s6, v42
	v_mul_f32_e32 v42, s6, v45
	v_cmp_u_f32_e64 s0, v20, v20
	v_add3_u32 v18, v18, v20, 0x7fff
	v_bfe_u32 v20, v10, 16, 1
	v_bfe_u32 v45, v21, 16, 1
	;; [unrolled: 1-line block ×3, first 2 shown]
	v_or_b32_e32 v47, 0x400000, v42
	v_cndmask_b32_e64 v18, v18, v44, s0
	v_cmp_u_f32_e64 s0, v21, v21
	v_add3_u32 v44, v45, v21, 0x7fff
	v_or_b32_e32 v45, 0x400000, v21
	v_add3_u32 v46, v46, v42, 0x7fff
	v_add3_u32 v20, v20, v10, 0x7fff
	v_add_nc_u32_e32 v53, -5, v33
	v_add_nc_u32_e32 v52, -4, v33
	v_cndmask_b32_e64 v21, v44, v45, s0
	v_cmp_u_f32_e64 s0, v42, v42
	v_lshrrev_b32_e32 v45, 16, v19
	v_add_nc_u32_e32 v51, -3, v33
	v_add_nc_u32_e32 v50, -2, v33
	v_cndmask_b32_e64 v42, v46, v47, s0
	v_cmp_u_f32_e64 s0, v10, v10
	v_lshrrev_b32_e32 v47, 16, v18
	v_lshrrev_b32_e32 v46, 16, v21
	v_lshrrev_b32_e32 v42, 16, v42
	v_cndmask_b32_e64 v10, v20, v49, s0
	v_add_nc_u32_e32 v49, -1, v33
	v_lshrrev_b32_e32 v44, 16, v10
	s_and_saveexec_b32 s13, vcc_lo
	s_cbranch_execz .LBB363_479
; %bb.478:                              ;   in Loop: Header=BB363_417 Depth=1
	v_cmp_gt_i32_e64 s0, s27, v48
	v_cndmask_b32_e64 v46, 0, v46, s0
	v_cmp_gt_i32_e64 s0, s27, v54
	v_cndmask_b32_e64 v47, 0, v47, s0
	;; [unrolled: 2-line block ×8, first 2 shown]
.LBB363_479:                            ;   in Loop: Header=BB363_417 Depth=1
	s_or_b32 exec_lo, exec_lo, s13
	global_load_dwordx2 v[18:19], v[16:17], off offset:256
	v_mov_b32_e32 v56, 0
	v_mov_b32_e32 v57, 0
	s_waitcnt vmcnt(0)
	v_cmp_ne_u16_sdwa s0, v18, v11 src0_sel:BYTE_0 src1_sel:DWORD
	s_and_saveexec_b32 s13, s0
	s_cbranch_execz .LBB363_485
; %bb.480:                              ;   in Loop: Header=BB363_417 Depth=1
	v_cmp_ne_u16_sdwa s0, v18, v35 src0_sel:BYTE_0 src1_sel:DWORD
	v_bfrev_b32_e32 v57, 1
	s_and_saveexec_b32 s14, s0
	s_cbranch_execz .LBB363_484
; %bb.481:                              ;   in Loop: Header=BB363_417 Depth=1
	v_and_b32_e32 v10, 0x7f, v18
	v_mov_b32_e32 v57, 0x7f800001
	s_mov_b32 s15, exec_lo
	v_cmpx_ne_u32_e32 0x7f, v10
	s_cbranch_execz .LBB363_483
; %bb.482:                              ;   in Loop: Header=BB363_417 Depth=1
	v_and_b32_e32 v20, 7, v18
	v_lshrrev_b32_e32 v21, 3, v10
	v_cmp_gt_u32_e64 s0, 8, v10
	v_ffbh_u32_e32 v20, v20
	v_min_u32_e32 v20, 32, v20
	v_subrev_nc_u32_e32 v55, 28, v20
	v_sub_nc_u32_e32 v20, 29, v20
	v_cndmask_b32_e64 v10, v21, v20, s0
	v_cndmask_b32_e64 v20, 0, v55, s0
	v_lshl_add_u32 v10, v10, 23, 0x3c000000
	v_lshlrev_b64 v[20:21], v20, v[18:19]
	v_lshlrev_b32_e32 v21, 24, v18
	v_lshlrev_b32_e32 v20, 20, v20
	v_and_b32_e32 v21, 0x80000000, v21
	v_and_b32_e32 v20, 0x700000, v20
	v_or3_b32 v57, v20, v21, v10
.LBB363_483:                            ;   in Loop: Header=BB363_417 Depth=1
	s_or_b32 exec_lo, exec_lo, s15
.LBB363_484:                            ;   in Loop: Header=BB363_417 Depth=1
	s_or_b32 exec_lo, exec_lo, s14
.LBB363_485:                            ;   in Loop: Header=BB363_417 Depth=1
	s_or_b32 exec_lo, exec_lo, s13
	v_cmp_ne_u16_sdwa s0, v18, v11 src0_sel:BYTE_1 src1_sel:DWORD
	s_and_saveexec_b32 s13, s0
	s_cbranch_execz .LBB363_493
; %bb.486:                              ;   in Loop: Header=BB363_417 Depth=1
	v_cmp_ne_u16_sdwa s0, v18, v35 src0_sel:BYTE_1 src1_sel:DWORD
	v_bfrev_b32_e32 v56, 1
	s_and_saveexec_b32 s14, s0
	s_cbranch_execz .LBB363_492
; %bb.487:                              ;   in Loop: Header=BB363_417 Depth=1
	v_and_b32_sdwa v10, v36, v18 dst_sel:DWORD dst_unused:UNUSED_PAD src0_sel:DWORD src1_sel:BYTE_1
	v_mov_b32_e32 v56, 0x7f800001
	s_mov_b32 s15, exec_lo
	v_and_b32_e32 v21, 0x7f, v10
	v_cmpx_ne_u32_e32 0x7f, v21
	s_cbranch_execz .LBB363_491
; %bb.488:                              ;   in Loop: Header=BB363_417 Depth=1
	v_and_b32_e32 v10, 7, v10
	v_lshrrev_b32_e32 v20, 3, v21
	s_mov_b32 s16, exec_lo
	v_cmpx_gt_u32_e32 8, v21
; %bb.489:                              ;   in Loop: Header=BB363_417 Depth=1
	v_ffbh_u32_e32 v20, v10
	v_min_u32_e32 v20, 32, v20
	v_subrev_nc_u32_e32 v21, 28, v20
	v_sub_nc_u32_e32 v20, 29, v20
	v_lshlrev_b64 v[55:56], v21, v[10:11]
	v_and_b32_e32 v10, 7, v55
; %bb.490:                              ;   in Loop: Header=BB363_417 Depth=1
	s_or_b32 exec_lo, exec_lo, s16
	v_lshlrev_b32_e32 v21, 16, v18
	v_lshlrev_b32_e32 v10, 20, v10
	v_lshl_add_u32 v20, v20, 23, 0x3c000000
	v_and_b32_e32 v21, 0x80000000, v21
	v_or3_b32 v56, v10, v21, v20
.LBB363_491:                            ;   in Loop: Header=BB363_417 Depth=1
	s_or_b32 exec_lo, exec_lo, s15
.LBB363_492:                            ;   in Loop: Header=BB363_417 Depth=1
	s_or_b32 exec_lo, exec_lo, s14
.LBB363_493:                            ;   in Loop: Header=BB363_417 Depth=1
	s_or_b32 exec_lo, exec_lo, s13
	v_and_b32_sdwa v10, v18, v37 dst_sel:DWORD dst_unused:UNUSED_PAD src0_sel:WORD_1 src1_sel:DWORD
	v_mov_b32_e32 v58, 0
	v_mov_b32_e32 v55, 0
	s_mov_b32 s13, exec_lo
	v_cmpx_ne_u16_e32 0, v10
	s_cbranch_execz .LBB363_501
; %bb.494:                              ;   in Loop: Header=BB363_417 Depth=1
	v_bfrev_b32_e32 v55, 1
	s_mov_b32 s14, exec_lo
	v_cmpx_ne_u16_e32 0x80, v10
	s_cbranch_execz .LBB363_500
; %bb.495:                              ;   in Loop: Header=BB363_417 Depth=1
	v_bfe_u32 v21, v18, 16, 7
	v_mov_b32_e32 v55, 0x7f800001
	s_mov_b32 s15, exec_lo
	v_cmpx_ne_u32_e32 0x7f, v21
	s_cbranch_execz .LBB363_499
; %bb.496:                              ;   in Loop: Header=BB363_417 Depth=1
	v_and_b32_sdwa v10, v18, v38 dst_sel:DWORD dst_unused:UNUSED_PAD src0_sel:WORD_1 src1_sel:DWORD
	v_lshrrev_b32_e32 v20, 3, v21
	s_mov_b32 s16, exec_lo
	v_cmpx_gt_u32_e32 8, v21
; %bb.497:                              ;   in Loop: Header=BB363_417 Depth=1
	v_ffbh_u32_e32 v20, v10
	v_min_u32_e32 v20, 32, v20
	v_subrev_nc_u32_e32 v21, 28, v20
	v_sub_nc_u32_e32 v20, 29, v20
	v_lshlrev_b64 v[59:60], v21, v[10:11]
	v_and_b32_e32 v10, 7, v59
; %bb.498:                              ;   in Loop: Header=BB363_417 Depth=1
	s_or_b32 exec_lo, exec_lo, s16
	v_lshlrev_b32_sdwa v21, v39, v18 dst_sel:DWORD dst_unused:UNUSED_PAD src0_sel:DWORD src1_sel:WORD_1
	v_lshlrev_b32_e32 v10, 20, v10
	v_lshl_add_u32 v20, v20, 23, 0x3c000000
	v_and_b32_e32 v21, 0x80000000, v21
	v_or3_b32 v55, v10, v21, v20
.LBB363_499:                            ;   in Loop: Header=BB363_417 Depth=1
	s_or_b32 exec_lo, exec_lo, s15
.LBB363_500:                            ;   in Loop: Header=BB363_417 Depth=1
	s_or_b32 exec_lo, exec_lo, s14
.LBB363_501:                            ;   in Loop: Header=BB363_417 Depth=1
	s_or_b32 exec_lo, exec_lo, s13
	s_mov_b32 s13, exec_lo
	v_cmpx_lt_u32_e32 0xffffff, v18
	s_cbranch_execz .LBB363_509
; %bb.502:                              ;   in Loop: Header=BB363_417 Depth=1
	v_cmp_ne_u32_sdwa s0, v18, v35 src0_sel:BYTE_3 src1_sel:DWORD
	v_bfrev_b32_e32 v58, 1
	s_and_saveexec_b32 s14, s0
	s_cbranch_execz .LBB363_508
; %bb.503:                              ;   in Loop: Header=BB363_417 Depth=1
	v_bfe_u32 v21, v18, 24, 7
	v_mov_b32_e32 v58, 0x7f800001
	s_mov_b32 s15, exec_lo
	v_cmpx_ne_u32_e32 0x7f, v21
	s_cbranch_execz .LBB363_507
; %bb.504:                              ;   in Loop: Header=BB363_417 Depth=1
	v_and_b32_sdwa v10, v18, v38 dst_sel:DWORD dst_unused:UNUSED_PAD src0_sel:BYTE_3 src1_sel:DWORD
	v_lshrrev_b32_e32 v20, 3, v21
	s_mov_b32 s16, exec_lo
	v_cmpx_gt_u32_e32 8, v21
; %bb.505:                              ;   in Loop: Header=BB363_417 Depth=1
	v_ffbh_u32_e32 v20, v10
	v_min_u32_e32 v20, 32, v20
	v_subrev_nc_u32_e32 v21, 28, v20
	v_sub_nc_u32_e32 v20, 29, v20
	v_lshlrev_b64 v[58:59], v21, v[10:11]
	v_and_b32_e32 v10, 7, v58
; %bb.506:                              ;   in Loop: Header=BB363_417 Depth=1
	s_or_b32 exec_lo, exec_lo, s16
	v_lshlrev_b32_sdwa v21, v39, v18 dst_sel:DWORD dst_unused:UNUSED_PAD src0_sel:DWORD src1_sel:BYTE_3
	v_lshlrev_b32_e32 v10, 20, v10
	v_lshl_add_u32 v20, v20, 23, 0x3c000000
	v_and_b32_e32 v21, 0x80000000, v21
	v_or3_b32 v58, v10, v21, v20
.LBB363_507:                            ;   in Loop: Header=BB363_417 Depth=1
	s_or_b32 exec_lo, exec_lo, s15
.LBB363_508:                            ;   in Loop: Header=BB363_417 Depth=1
	s_or_b32 exec_lo, exec_lo, s14
.LBB363_509:                            ;   in Loop: Header=BB363_417 Depth=1
	s_or_b32 exec_lo, exec_lo, s13
	v_mov_b32_e32 v10, v19
	v_cmp_ne_u16_sdwa s0, v19, v11 src0_sel:BYTE_0 src1_sel:DWORD
	v_mov_b32_e32 v20, 0
	v_mov_b32_e32 v59, 0
	s_and_saveexec_b32 s13, s0
	s_cbranch_execz .LBB363_515
; %bb.510:                              ;   in Loop: Header=BB363_417 Depth=1
	v_cmp_ne_u16_sdwa s0, v19, v35 src0_sel:BYTE_0 src1_sel:DWORD
	v_bfrev_b32_e32 v59, 1
	s_and_saveexec_b32 s14, s0
	s_cbranch_execz .LBB363_514
; %bb.511:                              ;   in Loop: Header=BB363_417 Depth=1
	v_and_b32_e32 v21, 0x7f, v19
	v_mov_b32_e32 v59, 0x7f800001
	s_mov_b32 s15, exec_lo
	v_cmpx_ne_u32_e32 0x7f, v21
	s_cbranch_execz .LBB363_513
; %bb.512:                              ;   in Loop: Header=BB363_417 Depth=1
	v_and_b32_e32 v59, 7, v19
	v_lshrrev_b32_e32 v60, 3, v21
	v_cmp_gt_u32_e64 s0, 8, v21
	v_ffbh_u32_e32 v59, v59
	v_min_u32_e32 v59, 32, v59
	v_subrev_nc_u32_e32 v61, 28, v59
	v_sub_nc_u32_e32 v59, 29, v59
	v_cndmask_b32_e64 v21, v60, v59, s0
	v_cndmask_b32_e64 v59, 0, v61, s0
	v_lshl_add_u32 v21, v21, 23, 0x3c000000
	v_lshlrev_b64 v[59:60], v59, v[10:11]
	v_lshlrev_b32_e32 v60, 24, v10
	v_lshlrev_b32_e32 v59, 20, v59
	v_and_b32_e32 v60, 0x80000000, v60
	v_and_b32_e32 v59, 0x700000, v59
	v_or3_b32 v59, v59, v60, v21
.LBB363_513:                            ;   in Loop: Header=BB363_417 Depth=1
	s_or_b32 exec_lo, exec_lo, s15
.LBB363_514:                            ;   in Loop: Header=BB363_417 Depth=1
	s_or_b32 exec_lo, exec_lo, s14
.LBB363_515:                            ;   in Loop: Header=BB363_417 Depth=1
	s_or_b32 exec_lo, exec_lo, s13
	v_cmp_ne_u16_sdwa s0, v10, v11 src0_sel:BYTE_1 src1_sel:DWORD
	s_and_saveexec_b32 s13, s0
	s_cbranch_execz .LBB363_523
; %bb.516:                              ;   in Loop: Header=BB363_417 Depth=1
	v_cmp_ne_u16_sdwa s0, v10, v35 src0_sel:BYTE_1 src1_sel:DWORD
	v_bfrev_b32_e32 v20, 1
	s_and_saveexec_b32 s14, s0
	s_cbranch_execz .LBB363_522
; %bb.517:                              ;   in Loop: Header=BB363_417 Depth=1
	v_and_b32_sdwa v21, v36, v10 dst_sel:DWORD dst_unused:UNUSED_PAD src0_sel:DWORD src1_sel:BYTE_1
	v_mov_b32_e32 v20, 0x7f800001
	s_mov_b32 s15, exec_lo
	v_and_b32_e32 v61, 0x7f, v21
	v_cmpx_ne_u32_e32 0x7f, v61
	s_cbranch_execz .LBB363_521
; %bb.518:                              ;   in Loop: Header=BB363_417 Depth=1
	v_and_b32_e32 v20, 7, v21
	v_mov_b32_e32 v21, v11
	v_lshrrev_b32_e32 v60, 3, v61
	s_mov_b32 s16, exec_lo
	v_cmpx_gt_u32_e32 8, v61
; %bb.519:                              ;   in Loop: Header=BB363_417 Depth=1
	v_ffbh_u32_e32 v60, v20
	v_min_u32_e32 v60, 32, v60
	v_subrev_nc_u32_e32 v61, 28, v60
	v_sub_nc_u32_e32 v60, 29, v60
	v_lshlrev_b64 v[20:21], v61, v[20:21]
	v_and_b32_e32 v20, 7, v20
; %bb.520:                              ;   in Loop: Header=BB363_417 Depth=1
	s_or_b32 exec_lo, exec_lo, s16
	v_lshlrev_b32_e32 v10, 16, v10
	v_lshlrev_b32_e32 v20, 20, v20
	v_lshl_add_u32 v21, v60, 23, 0x3c000000
	v_and_b32_e32 v10, 0x80000000, v10
	v_or3_b32 v20, v20, v10, v21
.LBB363_521:                            ;   in Loop: Header=BB363_417 Depth=1
	s_or_b32 exec_lo, exec_lo, s15
.LBB363_522:                            ;   in Loop: Header=BB363_417 Depth=1
	s_or_b32 exec_lo, exec_lo, s14
.LBB363_523:                            ;   in Loop: Header=BB363_417 Depth=1
	s_or_b32 exec_lo, exec_lo, s13
	v_and_b32_sdwa v10, v19, v37 dst_sel:DWORD dst_unused:UNUSED_PAD src0_sel:WORD_1 src1_sel:DWORD
	v_mov_b32_e32 v21, 0
	v_mov_b32_e32 v60, 0
	s_mov_b32 s13, exec_lo
	v_cmpx_ne_u16_e32 0, v10
	s_cbranch_execz .LBB363_531
; %bb.524:                              ;   in Loop: Header=BB363_417 Depth=1
	v_bfrev_b32_e32 v60, 1
	s_mov_b32 s14, exec_lo
	v_cmpx_ne_u16_e32 0x80, v10
	s_cbranch_execz .LBB363_530
; %bb.525:                              ;   in Loop: Header=BB363_417 Depth=1
	v_bfe_u32 v61, v19, 16, 7
	v_mov_b32_e32 v60, 0x7f800001
	s_mov_b32 s15, exec_lo
	v_cmpx_ne_u32_e32 0x7f, v61
	s_cbranch_execz .LBB363_529
; %bb.526:                              ;   in Loop: Header=BB363_417 Depth=1
	v_and_b32_sdwa v10, v19, v38 dst_sel:DWORD dst_unused:UNUSED_PAD src0_sel:WORD_1 src1_sel:DWORD
	v_lshrrev_b32_e32 v60, 3, v61
	s_mov_b32 s16, exec_lo
	v_cmpx_gt_u32_e32 8, v61
; %bb.527:                              ;   in Loop: Header=BB363_417 Depth=1
	v_ffbh_u32_e32 v60, v10
	v_min_u32_e32 v60, 32, v60
	v_subrev_nc_u32_e32 v61, 28, v60
	v_sub_nc_u32_e32 v60, 29, v60
	v_lshlrev_b64 v[61:62], v61, v[10:11]
	v_and_b32_e32 v10, 7, v61
; %bb.528:                              ;   in Loop: Header=BB363_417 Depth=1
	s_or_b32 exec_lo, exec_lo, s16
	v_lshlrev_b32_sdwa v61, v39, v19 dst_sel:DWORD dst_unused:UNUSED_PAD src0_sel:DWORD src1_sel:WORD_1
	v_lshlrev_b32_e32 v10, 20, v10
	v_lshl_add_u32 v60, v60, 23, 0x3c000000
	v_and_b32_e32 v61, 0x80000000, v61
	v_or3_b32 v60, v10, v61, v60
.LBB363_529:                            ;   in Loop: Header=BB363_417 Depth=1
	s_or_b32 exec_lo, exec_lo, s15
.LBB363_530:                            ;   in Loop: Header=BB363_417 Depth=1
	s_or_b32 exec_lo, exec_lo, s14
.LBB363_531:                            ;   in Loop: Header=BB363_417 Depth=1
	s_or_b32 exec_lo, exec_lo, s13
	s_mov_b32 s13, exec_lo
	v_cmpx_lt_u64_e64 s[4:5], v[18:19]
	s_cbranch_execz .LBB363_539
; %bb.532:                              ;   in Loop: Header=BB363_417 Depth=1
	v_cmp_ne_u32_sdwa s0, v19, v35 src0_sel:BYTE_3 src1_sel:DWORD
	v_bfrev_b32_e32 v21, 1
	s_and_saveexec_b32 s14, s0
	s_cbranch_execz .LBB363_538
; %bb.533:                              ;   in Loop: Header=BB363_417 Depth=1
	v_bfe_u32 v61, v19, 24, 7
	v_mov_b32_e32 v21, 0x7f800001
	s_mov_b32 s15, exec_lo
	v_cmpx_ne_u32_e32 0x7f, v61
	s_cbranch_execz .LBB363_537
; %bb.534:                              ;   in Loop: Header=BB363_417 Depth=1
	v_and_b32_sdwa v10, v19, v38 dst_sel:DWORD dst_unused:UNUSED_PAD src0_sel:BYTE_3 src1_sel:DWORD
	v_lshrrev_b32_e32 v18, 3, v61
	s_mov_b32 s16, exec_lo
	v_cmpx_gt_u32_e32 8, v61
; %bb.535:                              ;   in Loop: Header=BB363_417 Depth=1
	v_ffbh_u32_e32 v18, v10
	v_min_u32_e32 v18, 32, v18
	v_subrev_nc_u32_e32 v21, 28, v18
	v_sub_nc_u32_e32 v18, 29, v18
	v_lshlrev_b64 v[61:62], v21, v[10:11]
	v_and_b32_e32 v10, 7, v61
; %bb.536:                              ;   in Loop: Header=BB363_417 Depth=1
	s_or_b32 exec_lo, exec_lo, s16
	v_lshlrev_b32_sdwa v19, v39, v19 dst_sel:DWORD dst_unused:UNUSED_PAD src0_sel:DWORD src1_sel:BYTE_3
	v_lshlrev_b32_e32 v10, 20, v10
	v_lshl_add_u32 v18, v18, 23, 0x3c000000
	v_and_b32_e32 v19, 0x80000000, v19
	v_or3_b32 v21, v10, v19, v18
.LBB363_537:                            ;   in Loop: Header=BB363_417 Depth=1
	s_or_b32 exec_lo, exec_lo, s15
.LBB363_538:                            ;   in Loop: Header=BB363_417 Depth=1
	s_or_b32 exec_lo, exec_lo, s14
.LBB363_539:                            ;   in Loop: Header=BB363_417 Depth=1
	s_or_b32 exec_lo, exec_lo, s13
	v_mul_f32_e32 v10, s6, v20
	v_mul_f32_e32 v18, s6, v59
	;; [unrolled: 1-line block ×5, first 2 shown]
	v_bfe_u32 v55, v10, 16, 1
	v_or_b32_e32 v58, 0x400000, v10
	v_bfe_u32 v59, v18, 16, 1
	v_cmp_u_f32_e64 s0, v10, v10
	v_or_b32_e32 v61, 0x400000, v18
	v_add3_u32 v55, v55, v10, 0x7fff
	v_bfe_u32 v62, v19, 16, 1
	v_add3_u32 v59, v59, v18, 0x7fff
	v_or_b32_e32 v63, 0x400000, v19
	v_bfe_u32 v64, v20, 16, 1
	v_cndmask_b32_e64 v10, v55, v58, s0
	v_cmp_u_f32_e64 s0, v18, v18
	v_add3_u32 v62, v62, v19, 0x7fff
	v_lshrrev_b32_e32 v55, 16, v10
	v_cndmask_b32_e64 v18, v59, v61, s0
	v_cmp_u_f32_e64 s0, v19, v19
	v_mul_f32_e32 v10, s6, v56
	v_add3_u32 v59, v64, v20, 0x7fff
	v_or_b32_e32 v61, 0x400000, v20
	v_lshrrev_b32_e32 v56, 16, v18
	v_cndmask_b32_e64 v19, v62, v63, s0
	v_bfe_u32 v18, v10, 16, 1
	v_cmp_u_f32_e64 s0, v20, v20
	v_mul_f32_e32 v20, s6, v57
	v_mul_f32_e32 v57, s6, v60
	v_lshrrev_b32_e32 v58, 16, v19
	v_add3_u32 v18, v18, v10, 0x7fff
	v_cndmask_b32_e64 v19, v59, v61, s0
	v_or_b32_e32 v59, 0x400000, v10
	v_bfe_u32 v60, v20, 16, 1
	v_cmp_u_f32_e64 s0, v10, v10
	v_bfe_u32 v61, v57, 16, 1
	v_or_b32_e32 v62, 0x400000, v57
	v_or_b32_e32 v63, 0x400000, v21
	v_cndmask_b32_e64 v10, v18, v59, s0
	v_add3_u32 v59, v60, v20, 0x7fff
	v_or_b32_e32 v60, 0x400000, v20
	v_cmp_u_f32_e64 s0, v20, v20
	v_bfe_u32 v18, v21, 16, 1
	v_add3_u32 v61, v61, v57, 0x7fff
	v_cndmask_b32_e64 v20, v59, v60, s0
	v_cmp_u_f32_e64 s0, v57, v57
	v_add3_u32 v18, v18, v21, 0x7fff
	v_lshrrev_b32_e32 v60, 16, v19
	v_cndmask_b32_e64 v57, v61, v62, s0
	v_cmp_u_f32_e64 s0, v21, v21
	v_lshrrev_b32_e32 v62, 16, v10
	v_lshrrev_b32_e32 v61, 16, v20
	;; [unrolled: 1-line block ×3, first 2 shown]
	v_cndmask_b32_e64 v18, v18, v63, s0
	v_lshrrev_b32_e32 v59, 16, v18
	s_and_saveexec_b32 s13, vcc_lo
	s_cbranch_execz .LBB363_541
; %bb.540:                              ;   in Loop: Header=BB363_417 Depth=1
	v_cmp_gt_i32_e64 s0, s27, v48
	v_cndmask_b32_e64 v61, 0, v61, s0
	v_cmp_gt_i32_e64 s0, s27, v54
	v_cndmask_b32_e64 v62, 0, v62, s0
	;; [unrolled: 2-line block ×8, first 2 shown]
.LBB363_541:                            ;   in Loop: Header=BB363_417 Depth=1
	s_or_b32 exec_lo, exec_lo, s13
	global_load_dwordx2 v[18:19], v[16:17], off offset:512
	v_mov_b32_e32 v64, 0
	v_mov_b32_e32 v65, 0
	s_waitcnt vmcnt(0)
	v_cmp_ne_u16_sdwa s0, v18, v11 src0_sel:BYTE_0 src1_sel:DWORD
	s_and_saveexec_b32 s13, s0
	s_cbranch_execz .LBB363_547
; %bb.542:                              ;   in Loop: Header=BB363_417 Depth=1
	v_cmp_ne_u16_sdwa s0, v18, v35 src0_sel:BYTE_0 src1_sel:DWORD
	v_bfrev_b32_e32 v65, 1
	s_and_saveexec_b32 s14, s0
	s_cbranch_execz .LBB363_546
; %bb.543:                              ;   in Loop: Header=BB363_417 Depth=1
	v_and_b32_e32 v10, 0x7f, v18
	v_mov_b32_e32 v65, 0x7f800001
	s_mov_b32 s15, exec_lo
	v_cmpx_ne_u32_e32 0x7f, v10
	s_cbranch_execz .LBB363_545
; %bb.544:                              ;   in Loop: Header=BB363_417 Depth=1
	v_and_b32_e32 v20, 7, v18
	v_lshrrev_b32_e32 v21, 3, v10
	v_cmp_gt_u32_e64 s0, 8, v10
	v_ffbh_u32_e32 v20, v20
	v_min_u32_e32 v20, 32, v20
	v_subrev_nc_u32_e32 v63, 28, v20
	v_sub_nc_u32_e32 v20, 29, v20
	v_cndmask_b32_e64 v10, v21, v20, s0
	v_cndmask_b32_e64 v20, 0, v63, s0
	v_lshl_add_u32 v10, v10, 23, 0x3c000000
	v_lshlrev_b64 v[20:21], v20, v[18:19]
	v_lshlrev_b32_e32 v21, 24, v18
	v_lshlrev_b32_e32 v20, 20, v20
	v_and_b32_e32 v21, 0x80000000, v21
	v_and_b32_e32 v20, 0x700000, v20
	v_or3_b32 v65, v20, v21, v10
.LBB363_545:                            ;   in Loop: Header=BB363_417 Depth=1
	s_or_b32 exec_lo, exec_lo, s15
.LBB363_546:                            ;   in Loop: Header=BB363_417 Depth=1
	s_or_b32 exec_lo, exec_lo, s14
.LBB363_547:                            ;   in Loop: Header=BB363_417 Depth=1
	s_or_b32 exec_lo, exec_lo, s13
	v_cmp_ne_u16_sdwa s0, v18, v11 src0_sel:BYTE_1 src1_sel:DWORD
	s_and_saveexec_b32 s13, s0
	s_cbranch_execz .LBB363_555
; %bb.548:                              ;   in Loop: Header=BB363_417 Depth=1
	v_cmp_ne_u16_sdwa s0, v18, v35 src0_sel:BYTE_1 src1_sel:DWORD
	v_bfrev_b32_e32 v64, 1
	s_and_saveexec_b32 s14, s0
	s_cbranch_execz .LBB363_554
; %bb.549:                              ;   in Loop: Header=BB363_417 Depth=1
	v_and_b32_sdwa v10, v36, v18 dst_sel:DWORD dst_unused:UNUSED_PAD src0_sel:DWORD src1_sel:BYTE_1
	v_mov_b32_e32 v64, 0x7f800001
	s_mov_b32 s15, exec_lo
	v_and_b32_e32 v21, 0x7f, v10
	v_cmpx_ne_u32_e32 0x7f, v21
	s_cbranch_execz .LBB363_553
; %bb.550:                              ;   in Loop: Header=BB363_417 Depth=1
	v_and_b32_e32 v10, 7, v10
	v_lshrrev_b32_e32 v20, 3, v21
	s_mov_b32 s16, exec_lo
	v_cmpx_gt_u32_e32 8, v21
; %bb.551:                              ;   in Loop: Header=BB363_417 Depth=1
	v_ffbh_u32_e32 v20, v10
	v_min_u32_e32 v20, 32, v20
	v_subrev_nc_u32_e32 v21, 28, v20
	v_sub_nc_u32_e32 v20, 29, v20
	v_lshlrev_b64 v[63:64], v21, v[10:11]
	v_and_b32_e32 v10, 7, v63
; %bb.552:                              ;   in Loop: Header=BB363_417 Depth=1
	s_or_b32 exec_lo, exec_lo, s16
	v_lshlrev_b32_e32 v21, 16, v18
	v_lshlrev_b32_e32 v10, 20, v10
	v_lshl_add_u32 v20, v20, 23, 0x3c000000
	v_and_b32_e32 v21, 0x80000000, v21
	v_or3_b32 v64, v10, v21, v20
.LBB363_553:                            ;   in Loop: Header=BB363_417 Depth=1
	s_or_b32 exec_lo, exec_lo, s15
.LBB363_554:                            ;   in Loop: Header=BB363_417 Depth=1
	s_or_b32 exec_lo, exec_lo, s14
.LBB363_555:                            ;   in Loop: Header=BB363_417 Depth=1
	s_or_b32 exec_lo, exec_lo, s13
	v_and_b32_sdwa v10, v18, v37 dst_sel:DWORD dst_unused:UNUSED_PAD src0_sel:WORD_1 src1_sel:DWORD
	v_mov_b32_e32 v66, 0
	v_mov_b32_e32 v63, 0
	s_mov_b32 s13, exec_lo
	v_cmpx_ne_u16_e32 0, v10
	s_cbranch_execz .LBB363_563
; %bb.556:                              ;   in Loop: Header=BB363_417 Depth=1
	v_bfrev_b32_e32 v63, 1
	s_mov_b32 s14, exec_lo
	v_cmpx_ne_u16_e32 0x80, v10
	s_cbranch_execz .LBB363_562
; %bb.557:                              ;   in Loop: Header=BB363_417 Depth=1
	v_bfe_u32 v21, v18, 16, 7
	v_mov_b32_e32 v63, 0x7f800001
	s_mov_b32 s15, exec_lo
	v_cmpx_ne_u32_e32 0x7f, v21
	s_cbranch_execz .LBB363_561
; %bb.558:                              ;   in Loop: Header=BB363_417 Depth=1
	v_and_b32_sdwa v10, v18, v38 dst_sel:DWORD dst_unused:UNUSED_PAD src0_sel:WORD_1 src1_sel:DWORD
	v_lshrrev_b32_e32 v20, 3, v21
	s_mov_b32 s16, exec_lo
	v_cmpx_gt_u32_e32 8, v21
; %bb.559:                              ;   in Loop: Header=BB363_417 Depth=1
	v_ffbh_u32_e32 v20, v10
	v_min_u32_e32 v20, 32, v20
	v_subrev_nc_u32_e32 v21, 28, v20
	v_sub_nc_u32_e32 v20, 29, v20
	v_lshlrev_b64 v[67:68], v21, v[10:11]
	v_and_b32_e32 v10, 7, v67
; %bb.560:                              ;   in Loop: Header=BB363_417 Depth=1
	s_or_b32 exec_lo, exec_lo, s16
	v_lshlrev_b32_sdwa v21, v39, v18 dst_sel:DWORD dst_unused:UNUSED_PAD src0_sel:DWORD src1_sel:WORD_1
	v_lshlrev_b32_e32 v10, 20, v10
	v_lshl_add_u32 v20, v20, 23, 0x3c000000
	v_and_b32_e32 v21, 0x80000000, v21
	v_or3_b32 v63, v10, v21, v20
.LBB363_561:                            ;   in Loop: Header=BB363_417 Depth=1
	s_or_b32 exec_lo, exec_lo, s15
.LBB363_562:                            ;   in Loop: Header=BB363_417 Depth=1
	s_or_b32 exec_lo, exec_lo, s14
.LBB363_563:                            ;   in Loop: Header=BB363_417 Depth=1
	s_or_b32 exec_lo, exec_lo, s13
	s_mov_b32 s13, exec_lo
	v_cmpx_lt_u32_e32 0xffffff, v18
	s_cbranch_execz .LBB363_571
; %bb.564:                              ;   in Loop: Header=BB363_417 Depth=1
	v_cmp_ne_u32_sdwa s0, v18, v35 src0_sel:BYTE_3 src1_sel:DWORD
	v_bfrev_b32_e32 v66, 1
	s_and_saveexec_b32 s14, s0
	s_cbranch_execz .LBB363_570
; %bb.565:                              ;   in Loop: Header=BB363_417 Depth=1
	v_bfe_u32 v21, v18, 24, 7
	v_mov_b32_e32 v66, 0x7f800001
	s_mov_b32 s15, exec_lo
	v_cmpx_ne_u32_e32 0x7f, v21
	s_cbranch_execz .LBB363_569
; %bb.566:                              ;   in Loop: Header=BB363_417 Depth=1
	v_and_b32_sdwa v10, v18, v38 dst_sel:DWORD dst_unused:UNUSED_PAD src0_sel:BYTE_3 src1_sel:DWORD
	v_lshrrev_b32_e32 v20, 3, v21
	s_mov_b32 s16, exec_lo
	v_cmpx_gt_u32_e32 8, v21
; %bb.567:                              ;   in Loop: Header=BB363_417 Depth=1
	v_ffbh_u32_e32 v20, v10
	v_min_u32_e32 v20, 32, v20
	v_subrev_nc_u32_e32 v21, 28, v20
	v_sub_nc_u32_e32 v20, 29, v20
	v_lshlrev_b64 v[66:67], v21, v[10:11]
	v_and_b32_e32 v10, 7, v66
; %bb.568:                              ;   in Loop: Header=BB363_417 Depth=1
	s_or_b32 exec_lo, exec_lo, s16
	v_lshlrev_b32_sdwa v21, v39, v18 dst_sel:DWORD dst_unused:UNUSED_PAD src0_sel:DWORD src1_sel:BYTE_3
	v_lshlrev_b32_e32 v10, 20, v10
	v_lshl_add_u32 v20, v20, 23, 0x3c000000
	v_and_b32_e32 v21, 0x80000000, v21
	v_or3_b32 v66, v10, v21, v20
.LBB363_569:                            ;   in Loop: Header=BB363_417 Depth=1
	s_or_b32 exec_lo, exec_lo, s15
.LBB363_570:                            ;   in Loop: Header=BB363_417 Depth=1
	s_or_b32 exec_lo, exec_lo, s14
.LBB363_571:                            ;   in Loop: Header=BB363_417 Depth=1
	s_or_b32 exec_lo, exec_lo, s13
	v_mov_b32_e32 v10, v19
	v_cmp_ne_u16_sdwa s0, v19, v11 src0_sel:BYTE_0 src1_sel:DWORD
	v_mov_b32_e32 v20, 0
	v_mov_b32_e32 v67, 0
	s_and_saveexec_b32 s13, s0
	s_cbranch_execz .LBB363_577
; %bb.572:                              ;   in Loop: Header=BB363_417 Depth=1
	v_cmp_ne_u16_sdwa s0, v19, v35 src0_sel:BYTE_0 src1_sel:DWORD
	v_bfrev_b32_e32 v67, 1
	s_and_saveexec_b32 s14, s0
	s_cbranch_execz .LBB363_576
; %bb.573:                              ;   in Loop: Header=BB363_417 Depth=1
	v_and_b32_e32 v21, 0x7f, v19
	v_mov_b32_e32 v67, 0x7f800001
	s_mov_b32 s15, exec_lo
	v_cmpx_ne_u32_e32 0x7f, v21
	s_cbranch_execz .LBB363_575
; %bb.574:                              ;   in Loop: Header=BB363_417 Depth=1
	v_and_b32_e32 v67, 7, v19
	v_lshrrev_b32_e32 v68, 3, v21
	v_cmp_gt_u32_e64 s0, 8, v21
	v_ffbh_u32_e32 v67, v67
	v_min_u32_e32 v67, 32, v67
	v_subrev_nc_u32_e32 v69, 28, v67
	v_sub_nc_u32_e32 v67, 29, v67
	v_cndmask_b32_e64 v21, v68, v67, s0
	v_cndmask_b32_e64 v67, 0, v69, s0
	v_lshl_add_u32 v21, v21, 23, 0x3c000000
	v_lshlrev_b64 v[67:68], v67, v[10:11]
	v_lshlrev_b32_e32 v68, 24, v10
	v_lshlrev_b32_e32 v67, 20, v67
	v_and_b32_e32 v68, 0x80000000, v68
	v_and_b32_e32 v67, 0x700000, v67
	v_or3_b32 v67, v67, v68, v21
.LBB363_575:                            ;   in Loop: Header=BB363_417 Depth=1
	s_or_b32 exec_lo, exec_lo, s15
.LBB363_576:                            ;   in Loop: Header=BB363_417 Depth=1
	s_or_b32 exec_lo, exec_lo, s14
.LBB363_577:                            ;   in Loop: Header=BB363_417 Depth=1
	s_or_b32 exec_lo, exec_lo, s13
	v_cmp_ne_u16_sdwa s0, v10, v11 src0_sel:BYTE_1 src1_sel:DWORD
	s_and_saveexec_b32 s13, s0
	s_cbranch_execz .LBB363_585
; %bb.578:                              ;   in Loop: Header=BB363_417 Depth=1
	v_cmp_ne_u16_sdwa s0, v10, v35 src0_sel:BYTE_1 src1_sel:DWORD
	v_bfrev_b32_e32 v20, 1
	s_and_saveexec_b32 s14, s0
	s_cbranch_execz .LBB363_584
; %bb.579:                              ;   in Loop: Header=BB363_417 Depth=1
	v_and_b32_sdwa v21, v36, v10 dst_sel:DWORD dst_unused:UNUSED_PAD src0_sel:DWORD src1_sel:BYTE_1
	v_mov_b32_e32 v20, 0x7f800001
	s_mov_b32 s15, exec_lo
	v_and_b32_e32 v69, 0x7f, v21
	v_cmpx_ne_u32_e32 0x7f, v69
	s_cbranch_execz .LBB363_583
; %bb.580:                              ;   in Loop: Header=BB363_417 Depth=1
	v_and_b32_e32 v20, 7, v21
	v_mov_b32_e32 v21, v11
	v_lshrrev_b32_e32 v68, 3, v69
	s_mov_b32 s16, exec_lo
	v_cmpx_gt_u32_e32 8, v69
; %bb.581:                              ;   in Loop: Header=BB363_417 Depth=1
	v_ffbh_u32_e32 v68, v20
	v_min_u32_e32 v68, 32, v68
	v_subrev_nc_u32_e32 v69, 28, v68
	v_sub_nc_u32_e32 v68, 29, v68
	v_lshlrev_b64 v[20:21], v69, v[20:21]
	v_and_b32_e32 v20, 7, v20
; %bb.582:                              ;   in Loop: Header=BB363_417 Depth=1
	s_or_b32 exec_lo, exec_lo, s16
	v_lshlrev_b32_e32 v10, 16, v10
	v_lshlrev_b32_e32 v20, 20, v20
	v_lshl_add_u32 v21, v68, 23, 0x3c000000
	v_and_b32_e32 v10, 0x80000000, v10
	v_or3_b32 v20, v20, v10, v21
.LBB363_583:                            ;   in Loop: Header=BB363_417 Depth=1
	s_or_b32 exec_lo, exec_lo, s15
.LBB363_584:                            ;   in Loop: Header=BB363_417 Depth=1
	s_or_b32 exec_lo, exec_lo, s14
.LBB363_585:                            ;   in Loop: Header=BB363_417 Depth=1
	s_or_b32 exec_lo, exec_lo, s13
	v_and_b32_sdwa v10, v19, v37 dst_sel:DWORD dst_unused:UNUSED_PAD src0_sel:WORD_1 src1_sel:DWORD
	v_mov_b32_e32 v21, 0
	v_mov_b32_e32 v68, 0
	s_mov_b32 s13, exec_lo
	v_cmpx_ne_u16_e32 0, v10
	s_cbranch_execz .LBB363_593
; %bb.586:                              ;   in Loop: Header=BB363_417 Depth=1
	v_bfrev_b32_e32 v68, 1
	s_mov_b32 s14, exec_lo
	v_cmpx_ne_u16_e32 0x80, v10
	s_cbranch_execz .LBB363_592
; %bb.587:                              ;   in Loop: Header=BB363_417 Depth=1
	v_bfe_u32 v69, v19, 16, 7
	v_mov_b32_e32 v68, 0x7f800001
	s_mov_b32 s15, exec_lo
	v_cmpx_ne_u32_e32 0x7f, v69
	s_cbranch_execz .LBB363_591
; %bb.588:                              ;   in Loop: Header=BB363_417 Depth=1
	v_and_b32_sdwa v10, v19, v38 dst_sel:DWORD dst_unused:UNUSED_PAD src0_sel:WORD_1 src1_sel:DWORD
	v_lshrrev_b32_e32 v68, 3, v69
	s_mov_b32 s16, exec_lo
	v_cmpx_gt_u32_e32 8, v69
; %bb.589:                              ;   in Loop: Header=BB363_417 Depth=1
	v_ffbh_u32_e32 v68, v10
	v_min_u32_e32 v68, 32, v68
	v_subrev_nc_u32_e32 v69, 28, v68
	v_sub_nc_u32_e32 v68, 29, v68
	v_lshlrev_b64 v[69:70], v69, v[10:11]
	v_and_b32_e32 v10, 7, v69
; %bb.590:                              ;   in Loop: Header=BB363_417 Depth=1
	s_or_b32 exec_lo, exec_lo, s16
	v_lshlrev_b32_sdwa v69, v39, v19 dst_sel:DWORD dst_unused:UNUSED_PAD src0_sel:DWORD src1_sel:WORD_1
	v_lshlrev_b32_e32 v10, 20, v10
	v_lshl_add_u32 v68, v68, 23, 0x3c000000
	v_and_b32_e32 v69, 0x80000000, v69
	v_or3_b32 v68, v10, v69, v68
.LBB363_591:                            ;   in Loop: Header=BB363_417 Depth=1
	s_or_b32 exec_lo, exec_lo, s15
.LBB363_592:                            ;   in Loop: Header=BB363_417 Depth=1
	s_or_b32 exec_lo, exec_lo, s14
.LBB363_593:                            ;   in Loop: Header=BB363_417 Depth=1
	s_or_b32 exec_lo, exec_lo, s13
	s_mov_b32 s13, exec_lo
	v_cmpx_lt_u64_e64 s[4:5], v[18:19]
	s_cbranch_execz .LBB363_601
; %bb.594:                              ;   in Loop: Header=BB363_417 Depth=1
	v_cmp_ne_u32_sdwa s0, v19, v35 src0_sel:BYTE_3 src1_sel:DWORD
	v_bfrev_b32_e32 v21, 1
	s_and_saveexec_b32 s14, s0
	s_cbranch_execz .LBB363_600
; %bb.595:                              ;   in Loop: Header=BB363_417 Depth=1
	v_bfe_u32 v69, v19, 24, 7
	v_mov_b32_e32 v21, 0x7f800001
	s_mov_b32 s15, exec_lo
	v_cmpx_ne_u32_e32 0x7f, v69
	s_cbranch_execz .LBB363_599
; %bb.596:                              ;   in Loop: Header=BB363_417 Depth=1
	v_and_b32_sdwa v10, v19, v38 dst_sel:DWORD dst_unused:UNUSED_PAD src0_sel:BYTE_3 src1_sel:DWORD
	v_lshrrev_b32_e32 v18, 3, v69
	s_mov_b32 s16, exec_lo
	v_cmpx_gt_u32_e32 8, v69
; %bb.597:                              ;   in Loop: Header=BB363_417 Depth=1
	v_ffbh_u32_e32 v18, v10
	v_min_u32_e32 v18, 32, v18
	v_subrev_nc_u32_e32 v21, 28, v18
	v_sub_nc_u32_e32 v18, 29, v18
	v_lshlrev_b64 v[69:70], v21, v[10:11]
	v_and_b32_e32 v10, 7, v69
; %bb.598:                              ;   in Loop: Header=BB363_417 Depth=1
	s_or_b32 exec_lo, exec_lo, s16
	v_lshlrev_b32_sdwa v19, v39, v19 dst_sel:DWORD dst_unused:UNUSED_PAD src0_sel:DWORD src1_sel:BYTE_3
	v_lshlrev_b32_e32 v10, 20, v10
	v_lshl_add_u32 v18, v18, 23, 0x3c000000
	v_and_b32_e32 v19, 0x80000000, v19
	v_or3_b32 v21, v10, v19, v18
.LBB363_599:                            ;   in Loop: Header=BB363_417 Depth=1
	s_or_b32 exec_lo, exec_lo, s15
.LBB363_600:                            ;   in Loop: Header=BB363_417 Depth=1
	s_or_b32 exec_lo, exec_lo, s14
.LBB363_601:                            ;   in Loop: Header=BB363_417 Depth=1
	s_or_b32 exec_lo, exec_lo, s13
	v_mul_f32_e32 v10, s6, v20
	v_mul_f32_e32 v18, s6, v67
	;; [unrolled: 1-line block ×5, first 2 shown]
	v_bfe_u32 v63, v10, 16, 1
	v_or_b32_e32 v66, 0x400000, v10
	v_bfe_u32 v67, v18, 16, 1
	v_cmp_u_f32_e64 s0, v10, v10
	v_or_b32_e32 v69, 0x400000, v18
	v_add3_u32 v63, v63, v10, 0x7fff
	v_bfe_u32 v70, v19, 16, 1
	v_add3_u32 v67, v67, v18, 0x7fff
	v_or_b32_e32 v71, 0x400000, v19
	v_bfe_u32 v72, v20, 16, 1
	v_cndmask_b32_e64 v10, v63, v66, s0
	v_cmp_u_f32_e64 s0, v18, v18
	v_add3_u32 v70, v70, v19, 0x7fff
	v_lshrrev_b32_e32 v63, 16, v10
	v_cndmask_b32_e64 v18, v67, v69, s0
	v_cmp_u_f32_e64 s0, v19, v19
	v_mul_f32_e32 v10, s6, v64
	v_add3_u32 v67, v72, v20, 0x7fff
	v_or_b32_e32 v69, 0x400000, v20
	v_lshrrev_b32_e32 v64, 16, v18
	v_cndmask_b32_e64 v19, v70, v71, s0
	v_bfe_u32 v18, v10, 16, 1
	v_cmp_u_f32_e64 s0, v20, v20
	v_mul_f32_e32 v20, s6, v65
	v_mul_f32_e32 v65, s6, v68
	v_lshrrev_b32_e32 v66, 16, v19
	v_add3_u32 v18, v18, v10, 0x7fff
	v_cndmask_b32_e64 v19, v67, v69, s0
	v_or_b32_e32 v67, 0x400000, v10
	v_bfe_u32 v68, v20, 16, 1
	v_cmp_u_f32_e64 s0, v10, v10
	v_bfe_u32 v69, v65, 16, 1
	v_or_b32_e32 v70, 0x400000, v65
	v_or_b32_e32 v71, 0x400000, v21
	v_cndmask_b32_e64 v10, v18, v67, s0
	v_add3_u32 v67, v68, v20, 0x7fff
	v_or_b32_e32 v68, 0x400000, v20
	v_cmp_u_f32_e64 s0, v20, v20
	v_bfe_u32 v18, v21, 16, 1
	v_add3_u32 v69, v69, v65, 0x7fff
	v_cndmask_b32_e64 v20, v67, v68, s0
	v_cmp_u_f32_e64 s0, v65, v65
	v_add3_u32 v18, v18, v21, 0x7fff
	v_lshrrev_b32_e32 v68, 16, v19
	v_cndmask_b32_e64 v65, v69, v70, s0
	v_cmp_u_f32_e64 s0, v21, v21
	v_lshrrev_b32_e32 v70, 16, v10
	v_lshrrev_b32_e32 v69, 16, v20
	;; [unrolled: 1-line block ×3, first 2 shown]
	v_cndmask_b32_e64 v18, v18, v71, s0
	v_lshrrev_b32_e32 v67, 16, v18
	s_and_saveexec_b32 s13, vcc_lo
	s_cbranch_execz .LBB363_603
; %bb.602:                              ;   in Loop: Header=BB363_417 Depth=1
	v_cmp_gt_i32_e64 s0, s27, v48
	v_cndmask_b32_e64 v69, 0, v69, s0
	v_cmp_gt_i32_e64 s0, s27, v54
	v_cndmask_b32_e64 v70, 0, v70, s0
	;; [unrolled: 2-line block ×8, first 2 shown]
.LBB363_603:                            ;   in Loop: Header=BB363_417 Depth=1
	s_or_b32 exec_lo, exec_lo, s13
	global_load_dwordx2 v[18:19], v[16:17], off offset:768
	v_mov_b32_e32 v72, 0
	v_mov_b32_e32 v73, 0
	s_waitcnt vmcnt(0)
	v_cmp_ne_u16_sdwa s0, v18, v11 src0_sel:BYTE_0 src1_sel:DWORD
	s_and_saveexec_b32 s13, s0
	s_cbranch_execz .LBB363_609
; %bb.604:                              ;   in Loop: Header=BB363_417 Depth=1
	v_cmp_ne_u16_sdwa s0, v18, v35 src0_sel:BYTE_0 src1_sel:DWORD
	v_bfrev_b32_e32 v73, 1
	s_and_saveexec_b32 s14, s0
	s_cbranch_execz .LBB363_608
; %bb.605:                              ;   in Loop: Header=BB363_417 Depth=1
	v_and_b32_e32 v10, 0x7f, v18
	v_mov_b32_e32 v73, 0x7f800001
	s_mov_b32 s15, exec_lo
	v_cmpx_ne_u32_e32 0x7f, v10
	s_cbranch_execz .LBB363_607
; %bb.606:                              ;   in Loop: Header=BB363_417 Depth=1
	v_and_b32_e32 v20, 7, v18
	v_lshrrev_b32_e32 v21, 3, v10
	v_cmp_gt_u32_e64 s0, 8, v10
	v_ffbh_u32_e32 v20, v20
	v_min_u32_e32 v20, 32, v20
	v_subrev_nc_u32_e32 v71, 28, v20
	v_sub_nc_u32_e32 v20, 29, v20
	v_cndmask_b32_e64 v10, v21, v20, s0
	v_cndmask_b32_e64 v20, 0, v71, s0
	v_lshl_add_u32 v10, v10, 23, 0x3c000000
	v_lshlrev_b64 v[20:21], v20, v[18:19]
	v_lshlrev_b32_e32 v21, 24, v18
	v_lshlrev_b32_e32 v20, 20, v20
	v_and_b32_e32 v21, 0x80000000, v21
	v_and_b32_e32 v20, 0x700000, v20
	v_or3_b32 v73, v20, v21, v10
.LBB363_607:                            ;   in Loop: Header=BB363_417 Depth=1
	s_or_b32 exec_lo, exec_lo, s15
.LBB363_608:                            ;   in Loop: Header=BB363_417 Depth=1
	s_or_b32 exec_lo, exec_lo, s14
.LBB363_609:                            ;   in Loop: Header=BB363_417 Depth=1
	s_or_b32 exec_lo, exec_lo, s13
	v_cmp_ne_u16_sdwa s0, v18, v11 src0_sel:BYTE_1 src1_sel:DWORD
	s_and_saveexec_b32 s13, s0
	s_cbranch_execz .LBB363_617
; %bb.610:                              ;   in Loop: Header=BB363_417 Depth=1
	v_cmp_ne_u16_sdwa s0, v18, v35 src0_sel:BYTE_1 src1_sel:DWORD
	v_bfrev_b32_e32 v72, 1
	s_and_saveexec_b32 s14, s0
	s_cbranch_execz .LBB363_616
; %bb.611:                              ;   in Loop: Header=BB363_417 Depth=1
	v_and_b32_sdwa v10, v36, v18 dst_sel:DWORD dst_unused:UNUSED_PAD src0_sel:DWORD src1_sel:BYTE_1
	v_mov_b32_e32 v72, 0x7f800001
	s_mov_b32 s15, exec_lo
	v_and_b32_e32 v21, 0x7f, v10
	v_cmpx_ne_u32_e32 0x7f, v21
	s_cbranch_execz .LBB363_615
; %bb.612:                              ;   in Loop: Header=BB363_417 Depth=1
	v_and_b32_e32 v10, 7, v10
	v_lshrrev_b32_e32 v20, 3, v21
	s_mov_b32 s16, exec_lo
	v_cmpx_gt_u32_e32 8, v21
; %bb.613:                              ;   in Loop: Header=BB363_417 Depth=1
	v_ffbh_u32_e32 v20, v10
	v_min_u32_e32 v20, 32, v20
	v_subrev_nc_u32_e32 v21, 28, v20
	v_sub_nc_u32_e32 v20, 29, v20
	v_lshlrev_b64 v[71:72], v21, v[10:11]
	v_and_b32_e32 v10, 7, v71
; %bb.614:                              ;   in Loop: Header=BB363_417 Depth=1
	s_or_b32 exec_lo, exec_lo, s16
	v_lshlrev_b32_e32 v21, 16, v18
	v_lshlrev_b32_e32 v10, 20, v10
	v_lshl_add_u32 v20, v20, 23, 0x3c000000
	v_and_b32_e32 v21, 0x80000000, v21
	v_or3_b32 v72, v10, v21, v20
.LBB363_615:                            ;   in Loop: Header=BB363_417 Depth=1
	s_or_b32 exec_lo, exec_lo, s15
.LBB363_616:                            ;   in Loop: Header=BB363_417 Depth=1
	s_or_b32 exec_lo, exec_lo, s14
.LBB363_617:                            ;   in Loop: Header=BB363_417 Depth=1
	s_or_b32 exec_lo, exec_lo, s13
	v_and_b32_sdwa v10, v18, v37 dst_sel:DWORD dst_unused:UNUSED_PAD src0_sel:WORD_1 src1_sel:DWORD
	v_mov_b32_e32 v74, 0
	v_mov_b32_e32 v71, 0
	s_mov_b32 s13, exec_lo
	v_cmpx_ne_u16_e32 0, v10
	s_cbranch_execz .LBB363_625
; %bb.618:                              ;   in Loop: Header=BB363_417 Depth=1
	v_bfrev_b32_e32 v71, 1
	s_mov_b32 s14, exec_lo
	v_cmpx_ne_u16_e32 0x80, v10
	s_cbranch_execz .LBB363_624
; %bb.619:                              ;   in Loop: Header=BB363_417 Depth=1
	v_bfe_u32 v21, v18, 16, 7
	v_mov_b32_e32 v71, 0x7f800001
	s_mov_b32 s15, exec_lo
	v_cmpx_ne_u32_e32 0x7f, v21
	s_cbranch_execz .LBB363_623
; %bb.620:                              ;   in Loop: Header=BB363_417 Depth=1
	v_and_b32_sdwa v10, v18, v38 dst_sel:DWORD dst_unused:UNUSED_PAD src0_sel:WORD_1 src1_sel:DWORD
	v_lshrrev_b32_e32 v20, 3, v21
	s_mov_b32 s16, exec_lo
	v_cmpx_gt_u32_e32 8, v21
; %bb.621:                              ;   in Loop: Header=BB363_417 Depth=1
	v_ffbh_u32_e32 v20, v10
	v_min_u32_e32 v20, 32, v20
	v_subrev_nc_u32_e32 v21, 28, v20
	v_sub_nc_u32_e32 v20, 29, v20
	v_lshlrev_b64 v[75:76], v21, v[10:11]
	v_and_b32_e32 v10, 7, v75
; %bb.622:                              ;   in Loop: Header=BB363_417 Depth=1
	s_or_b32 exec_lo, exec_lo, s16
	v_lshlrev_b32_sdwa v21, v39, v18 dst_sel:DWORD dst_unused:UNUSED_PAD src0_sel:DWORD src1_sel:WORD_1
	v_lshlrev_b32_e32 v10, 20, v10
	v_lshl_add_u32 v20, v20, 23, 0x3c000000
	v_and_b32_e32 v21, 0x80000000, v21
	v_or3_b32 v71, v10, v21, v20
.LBB363_623:                            ;   in Loop: Header=BB363_417 Depth=1
	s_or_b32 exec_lo, exec_lo, s15
.LBB363_624:                            ;   in Loop: Header=BB363_417 Depth=1
	s_or_b32 exec_lo, exec_lo, s14
.LBB363_625:                            ;   in Loop: Header=BB363_417 Depth=1
	s_or_b32 exec_lo, exec_lo, s13
	s_mov_b32 s13, exec_lo
	v_cmpx_lt_u32_e32 0xffffff, v18
	s_cbranch_execz .LBB363_633
; %bb.626:                              ;   in Loop: Header=BB363_417 Depth=1
	v_cmp_ne_u32_sdwa s0, v18, v35 src0_sel:BYTE_3 src1_sel:DWORD
	v_bfrev_b32_e32 v74, 1
	s_and_saveexec_b32 s14, s0
	s_cbranch_execz .LBB363_632
; %bb.627:                              ;   in Loop: Header=BB363_417 Depth=1
	v_bfe_u32 v21, v18, 24, 7
	v_mov_b32_e32 v74, 0x7f800001
	s_mov_b32 s15, exec_lo
	v_cmpx_ne_u32_e32 0x7f, v21
	s_cbranch_execz .LBB363_631
; %bb.628:                              ;   in Loop: Header=BB363_417 Depth=1
	v_and_b32_sdwa v10, v18, v38 dst_sel:DWORD dst_unused:UNUSED_PAD src0_sel:BYTE_3 src1_sel:DWORD
	v_lshrrev_b32_e32 v20, 3, v21
	s_mov_b32 s16, exec_lo
	v_cmpx_gt_u32_e32 8, v21
; %bb.629:                              ;   in Loop: Header=BB363_417 Depth=1
	v_ffbh_u32_e32 v20, v10
	v_min_u32_e32 v20, 32, v20
	v_subrev_nc_u32_e32 v21, 28, v20
	v_sub_nc_u32_e32 v20, 29, v20
	v_lshlrev_b64 v[74:75], v21, v[10:11]
	v_and_b32_e32 v10, 7, v74
; %bb.630:                              ;   in Loop: Header=BB363_417 Depth=1
	s_or_b32 exec_lo, exec_lo, s16
	v_lshlrev_b32_sdwa v21, v39, v18 dst_sel:DWORD dst_unused:UNUSED_PAD src0_sel:DWORD src1_sel:BYTE_3
	v_lshlrev_b32_e32 v10, 20, v10
	v_lshl_add_u32 v20, v20, 23, 0x3c000000
	v_and_b32_e32 v21, 0x80000000, v21
	v_or3_b32 v74, v10, v21, v20
.LBB363_631:                            ;   in Loop: Header=BB363_417 Depth=1
	s_or_b32 exec_lo, exec_lo, s15
.LBB363_632:                            ;   in Loop: Header=BB363_417 Depth=1
	s_or_b32 exec_lo, exec_lo, s14
.LBB363_633:                            ;   in Loop: Header=BB363_417 Depth=1
	s_or_b32 exec_lo, exec_lo, s13
	v_mov_b32_e32 v10, v19
	v_cmp_ne_u16_sdwa s0, v19, v11 src0_sel:BYTE_0 src1_sel:DWORD
	v_mov_b32_e32 v20, 0
	v_mov_b32_e32 v75, 0
	s_and_saveexec_b32 s13, s0
	s_cbranch_execz .LBB363_639
; %bb.634:                              ;   in Loop: Header=BB363_417 Depth=1
	v_cmp_ne_u16_sdwa s0, v19, v35 src0_sel:BYTE_0 src1_sel:DWORD
	v_bfrev_b32_e32 v75, 1
	s_and_saveexec_b32 s14, s0
	s_cbranch_execz .LBB363_638
; %bb.635:                              ;   in Loop: Header=BB363_417 Depth=1
	v_and_b32_e32 v21, 0x7f, v19
	v_mov_b32_e32 v75, 0x7f800001
	s_mov_b32 s15, exec_lo
	v_cmpx_ne_u32_e32 0x7f, v21
	s_cbranch_execz .LBB363_637
; %bb.636:                              ;   in Loop: Header=BB363_417 Depth=1
	v_and_b32_e32 v75, 7, v19
	v_lshrrev_b32_e32 v76, 3, v21
	v_cmp_gt_u32_e64 s0, 8, v21
	v_ffbh_u32_e32 v75, v75
	v_min_u32_e32 v75, 32, v75
	v_subrev_nc_u32_e32 v77, 28, v75
	v_sub_nc_u32_e32 v75, 29, v75
	v_cndmask_b32_e64 v21, v76, v75, s0
	v_cndmask_b32_e64 v75, 0, v77, s0
	v_lshl_add_u32 v21, v21, 23, 0x3c000000
	v_lshlrev_b64 v[75:76], v75, v[10:11]
	v_lshlrev_b32_e32 v76, 24, v10
	v_lshlrev_b32_e32 v75, 20, v75
	v_and_b32_e32 v76, 0x80000000, v76
	v_and_b32_e32 v75, 0x700000, v75
	v_or3_b32 v75, v75, v76, v21
.LBB363_637:                            ;   in Loop: Header=BB363_417 Depth=1
	s_or_b32 exec_lo, exec_lo, s15
.LBB363_638:                            ;   in Loop: Header=BB363_417 Depth=1
	s_or_b32 exec_lo, exec_lo, s14
.LBB363_639:                            ;   in Loop: Header=BB363_417 Depth=1
	s_or_b32 exec_lo, exec_lo, s13
	v_cmp_ne_u16_sdwa s0, v10, v11 src0_sel:BYTE_1 src1_sel:DWORD
	s_and_saveexec_b32 s13, s0
	s_cbranch_execz .LBB363_647
; %bb.640:                              ;   in Loop: Header=BB363_417 Depth=1
	v_cmp_ne_u16_sdwa s0, v10, v35 src0_sel:BYTE_1 src1_sel:DWORD
	v_bfrev_b32_e32 v20, 1
	s_and_saveexec_b32 s14, s0
	s_cbranch_execz .LBB363_646
; %bb.641:                              ;   in Loop: Header=BB363_417 Depth=1
	v_and_b32_sdwa v21, v36, v10 dst_sel:DWORD dst_unused:UNUSED_PAD src0_sel:DWORD src1_sel:BYTE_1
	v_mov_b32_e32 v20, 0x7f800001
	s_mov_b32 s15, exec_lo
	v_and_b32_e32 v77, 0x7f, v21
	v_cmpx_ne_u32_e32 0x7f, v77
	s_cbranch_execz .LBB363_645
; %bb.642:                              ;   in Loop: Header=BB363_417 Depth=1
	v_and_b32_e32 v20, 7, v21
	v_mov_b32_e32 v21, v11
	v_lshrrev_b32_e32 v76, 3, v77
	s_mov_b32 s16, exec_lo
	v_cmpx_gt_u32_e32 8, v77
; %bb.643:                              ;   in Loop: Header=BB363_417 Depth=1
	v_ffbh_u32_e32 v76, v20
	v_min_u32_e32 v76, 32, v76
	v_subrev_nc_u32_e32 v77, 28, v76
	v_sub_nc_u32_e32 v76, 29, v76
	v_lshlrev_b64 v[20:21], v77, v[20:21]
	v_and_b32_e32 v20, 7, v20
; %bb.644:                              ;   in Loop: Header=BB363_417 Depth=1
	s_or_b32 exec_lo, exec_lo, s16
	v_lshlrev_b32_e32 v10, 16, v10
	v_lshlrev_b32_e32 v20, 20, v20
	v_lshl_add_u32 v21, v76, 23, 0x3c000000
	v_and_b32_e32 v10, 0x80000000, v10
	v_or3_b32 v20, v20, v10, v21
.LBB363_645:                            ;   in Loop: Header=BB363_417 Depth=1
	s_or_b32 exec_lo, exec_lo, s15
.LBB363_646:                            ;   in Loop: Header=BB363_417 Depth=1
	s_or_b32 exec_lo, exec_lo, s14
.LBB363_647:                            ;   in Loop: Header=BB363_417 Depth=1
	s_or_b32 exec_lo, exec_lo, s13
	v_and_b32_sdwa v10, v19, v37 dst_sel:DWORD dst_unused:UNUSED_PAD src0_sel:WORD_1 src1_sel:DWORD
	v_mov_b32_e32 v21, 0
	v_mov_b32_e32 v76, 0
	s_mov_b32 s13, exec_lo
	v_cmpx_ne_u16_e32 0, v10
	s_cbranch_execz .LBB363_655
; %bb.648:                              ;   in Loop: Header=BB363_417 Depth=1
	v_bfrev_b32_e32 v76, 1
	s_mov_b32 s14, exec_lo
	v_cmpx_ne_u16_e32 0x80, v10
	s_cbranch_execz .LBB363_654
; %bb.649:                              ;   in Loop: Header=BB363_417 Depth=1
	v_bfe_u32 v77, v19, 16, 7
	v_mov_b32_e32 v76, 0x7f800001
	s_mov_b32 s15, exec_lo
	v_cmpx_ne_u32_e32 0x7f, v77
	s_cbranch_execz .LBB363_653
; %bb.650:                              ;   in Loop: Header=BB363_417 Depth=1
	v_and_b32_sdwa v10, v19, v38 dst_sel:DWORD dst_unused:UNUSED_PAD src0_sel:WORD_1 src1_sel:DWORD
	v_lshrrev_b32_e32 v76, 3, v77
	s_mov_b32 s16, exec_lo
	v_cmpx_gt_u32_e32 8, v77
; %bb.651:                              ;   in Loop: Header=BB363_417 Depth=1
	v_ffbh_u32_e32 v76, v10
	v_min_u32_e32 v76, 32, v76
	v_subrev_nc_u32_e32 v77, 28, v76
	v_sub_nc_u32_e32 v76, 29, v76
	v_lshlrev_b64 v[77:78], v77, v[10:11]
	v_and_b32_e32 v10, 7, v77
; %bb.652:                              ;   in Loop: Header=BB363_417 Depth=1
	s_or_b32 exec_lo, exec_lo, s16
	v_lshlrev_b32_sdwa v77, v39, v19 dst_sel:DWORD dst_unused:UNUSED_PAD src0_sel:DWORD src1_sel:WORD_1
	v_lshlrev_b32_e32 v10, 20, v10
	v_lshl_add_u32 v76, v76, 23, 0x3c000000
	v_and_b32_e32 v77, 0x80000000, v77
	v_or3_b32 v76, v10, v77, v76
.LBB363_653:                            ;   in Loop: Header=BB363_417 Depth=1
	s_or_b32 exec_lo, exec_lo, s15
.LBB363_654:                            ;   in Loop: Header=BB363_417 Depth=1
	s_or_b32 exec_lo, exec_lo, s14
.LBB363_655:                            ;   in Loop: Header=BB363_417 Depth=1
	s_or_b32 exec_lo, exec_lo, s13
	s_mov_b32 s13, exec_lo
	v_cmpx_lt_u64_e64 s[4:5], v[18:19]
	s_cbranch_execz .LBB363_663
; %bb.656:                              ;   in Loop: Header=BB363_417 Depth=1
	v_cmp_ne_u32_sdwa s0, v19, v35 src0_sel:BYTE_3 src1_sel:DWORD
	v_bfrev_b32_e32 v21, 1
	s_and_saveexec_b32 s14, s0
	s_cbranch_execz .LBB363_662
; %bb.657:                              ;   in Loop: Header=BB363_417 Depth=1
	v_bfe_u32 v77, v19, 24, 7
	v_mov_b32_e32 v21, 0x7f800001
	s_mov_b32 s15, exec_lo
	v_cmpx_ne_u32_e32 0x7f, v77
	s_cbranch_execz .LBB363_661
; %bb.658:                              ;   in Loop: Header=BB363_417 Depth=1
	v_and_b32_sdwa v10, v19, v38 dst_sel:DWORD dst_unused:UNUSED_PAD src0_sel:BYTE_3 src1_sel:DWORD
	v_lshrrev_b32_e32 v18, 3, v77
	s_mov_b32 s16, exec_lo
	v_cmpx_gt_u32_e32 8, v77
; %bb.659:                              ;   in Loop: Header=BB363_417 Depth=1
	v_ffbh_u32_e32 v18, v10
	v_min_u32_e32 v18, 32, v18
	v_subrev_nc_u32_e32 v21, 28, v18
	v_sub_nc_u32_e32 v18, 29, v18
	v_lshlrev_b64 v[77:78], v21, v[10:11]
	v_and_b32_e32 v10, 7, v77
; %bb.660:                              ;   in Loop: Header=BB363_417 Depth=1
	s_or_b32 exec_lo, exec_lo, s16
	v_lshlrev_b32_sdwa v19, v39, v19 dst_sel:DWORD dst_unused:UNUSED_PAD src0_sel:DWORD src1_sel:BYTE_3
	v_lshlrev_b32_e32 v10, 20, v10
	v_lshl_add_u32 v18, v18, 23, 0x3c000000
	v_and_b32_e32 v19, 0x80000000, v19
	v_or3_b32 v21, v10, v19, v18
.LBB363_661:                            ;   in Loop: Header=BB363_417 Depth=1
	s_or_b32 exec_lo, exec_lo, s15
.LBB363_662:                            ;   in Loop: Header=BB363_417 Depth=1
	s_or_b32 exec_lo, exec_lo, s14
.LBB363_663:                            ;   in Loop: Header=BB363_417 Depth=1
	s_or_b32 exec_lo, exec_lo, s13
	v_mul_f32_e32 v10, s6, v20
	v_mul_f32_e32 v18, s6, v75
	;; [unrolled: 1-line block ×5, first 2 shown]
	v_bfe_u32 v71, v10, 16, 1
	v_or_b32_e32 v74, 0x400000, v10
	v_bfe_u32 v75, v18, 16, 1
	v_cmp_u_f32_e64 s0, v10, v10
	v_or_b32_e32 v77, 0x400000, v18
	v_add3_u32 v71, v71, v10, 0x7fff
	v_bfe_u32 v78, v19, 16, 1
	v_add3_u32 v75, v75, v18, 0x7fff
	v_or_b32_e32 v79, 0x400000, v19
	v_bfe_u32 v80, v20, 16, 1
	v_cndmask_b32_e64 v10, v71, v74, s0
	v_cmp_u_f32_e64 s0, v18, v18
	v_add3_u32 v78, v78, v19, 0x7fff
	v_lshrrev_b32_e32 v71, 16, v10
	v_cndmask_b32_e64 v18, v75, v77, s0
	v_cmp_u_f32_e64 s0, v19, v19
	v_mul_f32_e32 v10, s6, v72
	v_add3_u32 v75, v80, v20, 0x7fff
	v_or_b32_e32 v77, 0x400000, v20
	v_lshrrev_b32_e32 v72, 16, v18
	v_cndmask_b32_e64 v19, v78, v79, s0
	v_bfe_u32 v18, v10, 16, 1
	v_cmp_u_f32_e64 s0, v20, v20
	v_mul_f32_e32 v20, s6, v73
	v_mul_f32_e32 v73, s6, v76
	v_lshrrev_b32_e32 v74, 16, v19
	v_add3_u32 v18, v18, v10, 0x7fff
	v_cndmask_b32_e64 v19, v75, v77, s0
	v_or_b32_e32 v75, 0x400000, v10
	v_bfe_u32 v76, v20, 16, 1
	v_cmp_u_f32_e64 s0, v10, v10
	v_bfe_u32 v77, v73, 16, 1
	v_or_b32_e32 v78, 0x400000, v73
	v_or_b32_e32 v79, 0x400000, v21
	v_cndmask_b32_e64 v10, v18, v75, s0
	v_add3_u32 v75, v76, v20, 0x7fff
	v_or_b32_e32 v76, 0x400000, v20
	v_cmp_u_f32_e64 s0, v20, v20
	v_bfe_u32 v18, v21, 16, 1
	v_add3_u32 v77, v77, v73, 0x7fff
	v_cndmask_b32_e64 v20, v75, v76, s0
	v_cmp_u_f32_e64 s0, v73, v73
	v_add3_u32 v18, v18, v21, 0x7fff
	v_lshrrev_b32_e32 v76, 16, v19
	v_cndmask_b32_e64 v73, v77, v78, s0
	v_cmp_u_f32_e64 s0, v21, v21
	v_lshrrev_b32_e32 v78, 16, v10
	v_lshrrev_b32_e32 v77, 16, v20
	;; [unrolled: 1-line block ×3, first 2 shown]
	v_cndmask_b32_e64 v18, v18, v79, s0
	v_lshrrev_b32_e32 v75, 16, v18
	s_and_saveexec_b32 s13, vcc_lo
	s_cbranch_execz .LBB363_665
; %bb.664:                              ;   in Loop: Header=BB363_417 Depth=1
	v_cmp_gt_i32_e64 s0, s27, v48
	v_cndmask_b32_e64 v77, 0, v77, s0
	v_cmp_gt_i32_e64 s0, s27, v54
	v_cndmask_b32_e64 v78, 0, v78, s0
	;; [unrolled: 2-line block ×8, first 2 shown]
.LBB363_665:                            ;   in Loop: Header=BB363_417 Depth=1
	s_or_b32 exec_lo, exec_lo, s13
	global_load_dwordx2 v[18:19], v[16:17], off offset:1024
	v_mov_b32_e32 v80, 0
	v_mov_b32_e32 v79, 0
	s_waitcnt vmcnt(0)
	v_cmp_ne_u16_sdwa s0, v18, v11 src0_sel:BYTE_0 src1_sel:DWORD
	s_and_saveexec_b32 s13, s0
	s_cbranch_execz .LBB363_671
; %bb.666:                              ;   in Loop: Header=BB363_417 Depth=1
	v_cmp_ne_u16_sdwa s0, v18, v35 src0_sel:BYTE_0 src1_sel:DWORD
	v_bfrev_b32_e32 v79, 1
	s_and_saveexec_b32 s14, s0
	s_cbranch_execz .LBB363_670
; %bb.667:                              ;   in Loop: Header=BB363_417 Depth=1
	v_and_b32_e32 v10, 0x7f, v18
	v_mov_b32_e32 v79, 0x7f800001
	s_mov_b32 s15, exec_lo
	v_cmpx_ne_u32_e32 0x7f, v10
	s_cbranch_execz .LBB363_669
; %bb.668:                              ;   in Loop: Header=BB363_417 Depth=1
	v_and_b32_e32 v20, 7, v18
	v_lshrrev_b32_e32 v21, 3, v10
	v_cmp_gt_u32_e64 s0, 8, v10
	v_ffbh_u32_e32 v20, v20
	v_min_u32_e32 v20, 32, v20
	v_subrev_nc_u32_e32 v79, 28, v20
	v_sub_nc_u32_e32 v20, 29, v20
	v_cndmask_b32_e64 v10, v21, v20, s0
	v_cndmask_b32_e64 v20, 0, v79, s0
	v_lshl_add_u32 v10, v10, 23, 0x3c000000
	v_lshlrev_b64 v[20:21], v20, v[18:19]
	v_lshlrev_b32_e32 v21, 24, v18
	v_lshlrev_b32_e32 v20, 20, v20
	v_and_b32_e32 v21, 0x80000000, v21
	v_and_b32_e32 v20, 0x700000, v20
	v_or3_b32 v79, v20, v21, v10
.LBB363_669:                            ;   in Loop: Header=BB363_417 Depth=1
	s_or_b32 exec_lo, exec_lo, s15
.LBB363_670:                            ;   in Loop: Header=BB363_417 Depth=1
	s_or_b32 exec_lo, exec_lo, s14
.LBB363_671:                            ;   in Loop: Header=BB363_417 Depth=1
	s_or_b32 exec_lo, exec_lo, s13
	v_cmp_ne_u16_sdwa s0, v18, v11 src0_sel:BYTE_1 src1_sel:DWORD
	s_and_saveexec_b32 s13, s0
	s_cbranch_execz .LBB363_679
; %bb.672:                              ;   in Loop: Header=BB363_417 Depth=1
	v_cmp_ne_u16_sdwa s0, v18, v35 src0_sel:BYTE_1 src1_sel:DWORD
	v_bfrev_b32_e32 v80, 1
	s_and_saveexec_b32 s14, s0
	s_cbranch_execz .LBB363_678
; %bb.673:                              ;   in Loop: Header=BB363_417 Depth=1
	v_and_b32_sdwa v10, v36, v18 dst_sel:DWORD dst_unused:UNUSED_PAD src0_sel:DWORD src1_sel:BYTE_1
	v_mov_b32_e32 v80, 0x7f800001
	s_mov_b32 s15, exec_lo
	v_and_b32_e32 v21, 0x7f, v10
	v_cmpx_ne_u32_e32 0x7f, v21
	s_cbranch_execz .LBB363_677
; %bb.674:                              ;   in Loop: Header=BB363_417 Depth=1
	v_and_b32_e32 v10, 7, v10
	v_lshrrev_b32_e32 v20, 3, v21
	s_mov_b32 s16, exec_lo
	v_cmpx_gt_u32_e32 8, v21
; %bb.675:                              ;   in Loop: Header=BB363_417 Depth=1
	v_ffbh_u32_e32 v20, v10
	v_min_u32_e32 v20, 32, v20
	v_subrev_nc_u32_e32 v21, 28, v20
	v_sub_nc_u32_e32 v20, 29, v20
	v_lshlrev_b64 v[80:81], v21, v[10:11]
	v_and_b32_e32 v10, 7, v80
; %bb.676:                              ;   in Loop: Header=BB363_417 Depth=1
	s_or_b32 exec_lo, exec_lo, s16
	v_lshlrev_b32_e32 v21, 16, v18
	v_lshlrev_b32_e32 v10, 20, v10
	v_lshl_add_u32 v20, v20, 23, 0x3c000000
	v_and_b32_e32 v21, 0x80000000, v21
	v_or3_b32 v80, v10, v21, v20
.LBB363_677:                            ;   in Loop: Header=BB363_417 Depth=1
	s_or_b32 exec_lo, exec_lo, s15
.LBB363_678:                            ;   in Loop: Header=BB363_417 Depth=1
	s_or_b32 exec_lo, exec_lo, s14
.LBB363_679:                            ;   in Loop: Header=BB363_417 Depth=1
	s_or_b32 exec_lo, exec_lo, s13
	v_and_b32_sdwa v10, v18, v37 dst_sel:DWORD dst_unused:UNUSED_PAD src0_sel:WORD_1 src1_sel:DWORD
	v_mov_b32_e32 v82, 0
	v_mov_b32_e32 v81, 0
	s_mov_b32 s13, exec_lo
	v_cmpx_ne_u16_e32 0, v10
	s_cbranch_execz .LBB363_687
; %bb.680:                              ;   in Loop: Header=BB363_417 Depth=1
	v_bfrev_b32_e32 v81, 1
	s_mov_b32 s14, exec_lo
	v_cmpx_ne_u16_e32 0x80, v10
	s_cbranch_execz .LBB363_686
; %bb.681:                              ;   in Loop: Header=BB363_417 Depth=1
	v_bfe_u32 v21, v18, 16, 7
	v_mov_b32_e32 v81, 0x7f800001
	s_mov_b32 s15, exec_lo
	v_cmpx_ne_u32_e32 0x7f, v21
	s_cbranch_execz .LBB363_685
; %bb.682:                              ;   in Loop: Header=BB363_417 Depth=1
	v_and_b32_sdwa v10, v18, v38 dst_sel:DWORD dst_unused:UNUSED_PAD src0_sel:WORD_1 src1_sel:DWORD
	v_lshrrev_b32_e32 v20, 3, v21
	s_mov_b32 s16, exec_lo
	v_cmpx_gt_u32_e32 8, v21
; %bb.683:                              ;   in Loop: Header=BB363_417 Depth=1
	v_ffbh_u32_e32 v20, v10
	v_min_u32_e32 v20, 32, v20
	v_subrev_nc_u32_e32 v21, 28, v20
	v_sub_nc_u32_e32 v20, 29, v20
	v_lshlrev_b64 v[83:84], v21, v[10:11]
	v_and_b32_e32 v10, 7, v83
; %bb.684:                              ;   in Loop: Header=BB363_417 Depth=1
	s_or_b32 exec_lo, exec_lo, s16
	v_lshlrev_b32_sdwa v21, v39, v18 dst_sel:DWORD dst_unused:UNUSED_PAD src0_sel:DWORD src1_sel:WORD_1
	v_lshlrev_b32_e32 v10, 20, v10
	v_lshl_add_u32 v20, v20, 23, 0x3c000000
	v_and_b32_e32 v21, 0x80000000, v21
	v_or3_b32 v81, v10, v21, v20
.LBB363_685:                            ;   in Loop: Header=BB363_417 Depth=1
	s_or_b32 exec_lo, exec_lo, s15
.LBB363_686:                            ;   in Loop: Header=BB363_417 Depth=1
	s_or_b32 exec_lo, exec_lo, s14
.LBB363_687:                            ;   in Loop: Header=BB363_417 Depth=1
	s_or_b32 exec_lo, exec_lo, s13
	s_mov_b32 s13, exec_lo
	v_cmpx_lt_u32_e32 0xffffff, v18
	s_cbranch_execz .LBB363_695
; %bb.688:                              ;   in Loop: Header=BB363_417 Depth=1
	v_cmp_ne_u32_sdwa s0, v18, v35 src0_sel:BYTE_3 src1_sel:DWORD
	v_bfrev_b32_e32 v82, 1
	s_and_saveexec_b32 s14, s0
	s_cbranch_execz .LBB363_694
; %bb.689:                              ;   in Loop: Header=BB363_417 Depth=1
	v_bfe_u32 v21, v18, 24, 7
	v_mov_b32_e32 v82, 0x7f800001
	s_mov_b32 s15, exec_lo
	v_cmpx_ne_u32_e32 0x7f, v21
	s_cbranch_execz .LBB363_693
; %bb.690:                              ;   in Loop: Header=BB363_417 Depth=1
	v_and_b32_sdwa v10, v18, v38 dst_sel:DWORD dst_unused:UNUSED_PAD src0_sel:BYTE_3 src1_sel:DWORD
	v_lshrrev_b32_e32 v20, 3, v21
	s_mov_b32 s16, exec_lo
	v_cmpx_gt_u32_e32 8, v21
; %bb.691:                              ;   in Loop: Header=BB363_417 Depth=1
	v_ffbh_u32_e32 v20, v10
	v_min_u32_e32 v20, 32, v20
	v_subrev_nc_u32_e32 v21, 28, v20
	v_sub_nc_u32_e32 v20, 29, v20
	v_lshlrev_b64 v[82:83], v21, v[10:11]
	v_and_b32_e32 v10, 7, v82
; %bb.692:                              ;   in Loop: Header=BB363_417 Depth=1
	s_or_b32 exec_lo, exec_lo, s16
	v_lshlrev_b32_sdwa v21, v39, v18 dst_sel:DWORD dst_unused:UNUSED_PAD src0_sel:DWORD src1_sel:BYTE_3
	v_lshlrev_b32_e32 v10, 20, v10
	v_lshl_add_u32 v20, v20, 23, 0x3c000000
	v_and_b32_e32 v21, 0x80000000, v21
	v_or3_b32 v82, v10, v21, v20
.LBB363_693:                            ;   in Loop: Header=BB363_417 Depth=1
	s_or_b32 exec_lo, exec_lo, s15
.LBB363_694:                            ;   in Loop: Header=BB363_417 Depth=1
	s_or_b32 exec_lo, exec_lo, s14
.LBB363_695:                            ;   in Loop: Header=BB363_417 Depth=1
	s_or_b32 exec_lo, exec_lo, s13
	v_mov_b32_e32 v10, v19
	v_cmp_ne_u16_sdwa s0, v19, v11 src0_sel:BYTE_0 src1_sel:DWORD
	v_mov_b32_e32 v20, 0
	v_mov_b32_e32 v83, 0
	s_and_saveexec_b32 s13, s0
	s_cbranch_execz .LBB363_701
; %bb.696:                              ;   in Loop: Header=BB363_417 Depth=1
	v_cmp_ne_u16_sdwa s0, v19, v35 src0_sel:BYTE_0 src1_sel:DWORD
	v_bfrev_b32_e32 v83, 1
	s_and_saveexec_b32 s14, s0
	s_cbranch_execz .LBB363_700
; %bb.697:                              ;   in Loop: Header=BB363_417 Depth=1
	v_and_b32_e32 v21, 0x7f, v19
	v_mov_b32_e32 v83, 0x7f800001
	s_mov_b32 s15, exec_lo
	v_cmpx_ne_u32_e32 0x7f, v21
	s_cbranch_execz .LBB363_699
; %bb.698:                              ;   in Loop: Header=BB363_417 Depth=1
	v_and_b32_e32 v83, 7, v19
	v_lshrrev_b32_e32 v84, 3, v21
	v_cmp_gt_u32_e64 s0, 8, v21
	v_ffbh_u32_e32 v83, v83
	v_min_u32_e32 v83, 32, v83
	v_subrev_nc_u32_e32 v85, 28, v83
	v_sub_nc_u32_e32 v83, 29, v83
	v_cndmask_b32_e64 v21, v84, v83, s0
	v_cndmask_b32_e64 v83, 0, v85, s0
	v_lshl_add_u32 v21, v21, 23, 0x3c000000
	v_lshlrev_b64 v[83:84], v83, v[10:11]
	v_lshlrev_b32_e32 v84, 24, v10
	v_lshlrev_b32_e32 v83, 20, v83
	v_and_b32_e32 v84, 0x80000000, v84
	v_and_b32_e32 v83, 0x700000, v83
	v_or3_b32 v83, v83, v84, v21
.LBB363_699:                            ;   in Loop: Header=BB363_417 Depth=1
	s_or_b32 exec_lo, exec_lo, s15
.LBB363_700:                            ;   in Loop: Header=BB363_417 Depth=1
	s_or_b32 exec_lo, exec_lo, s14
.LBB363_701:                            ;   in Loop: Header=BB363_417 Depth=1
	s_or_b32 exec_lo, exec_lo, s13
	v_cmp_ne_u16_sdwa s0, v10, v11 src0_sel:BYTE_1 src1_sel:DWORD
	s_and_saveexec_b32 s13, s0
	s_cbranch_execz .LBB363_709
; %bb.702:                              ;   in Loop: Header=BB363_417 Depth=1
	v_cmp_ne_u16_sdwa s0, v10, v35 src0_sel:BYTE_1 src1_sel:DWORD
	v_bfrev_b32_e32 v20, 1
	s_and_saveexec_b32 s14, s0
	s_cbranch_execz .LBB363_708
; %bb.703:                              ;   in Loop: Header=BB363_417 Depth=1
	v_and_b32_sdwa v21, v36, v10 dst_sel:DWORD dst_unused:UNUSED_PAD src0_sel:DWORD src1_sel:BYTE_1
	v_mov_b32_e32 v20, 0x7f800001
	s_mov_b32 s15, exec_lo
	v_and_b32_e32 v85, 0x7f, v21
	v_cmpx_ne_u32_e32 0x7f, v85
	s_cbranch_execz .LBB363_707
; %bb.704:                              ;   in Loop: Header=BB363_417 Depth=1
	v_and_b32_e32 v20, 7, v21
	v_mov_b32_e32 v21, v11
	v_lshrrev_b32_e32 v84, 3, v85
	s_mov_b32 s16, exec_lo
	v_cmpx_gt_u32_e32 8, v85
; %bb.705:                              ;   in Loop: Header=BB363_417 Depth=1
	v_ffbh_u32_e32 v84, v20
	v_min_u32_e32 v84, 32, v84
	v_subrev_nc_u32_e32 v85, 28, v84
	v_sub_nc_u32_e32 v84, 29, v84
	v_lshlrev_b64 v[20:21], v85, v[20:21]
	v_and_b32_e32 v20, 7, v20
; %bb.706:                              ;   in Loop: Header=BB363_417 Depth=1
	s_or_b32 exec_lo, exec_lo, s16
	v_lshlrev_b32_e32 v10, 16, v10
	v_lshlrev_b32_e32 v20, 20, v20
	v_lshl_add_u32 v21, v84, 23, 0x3c000000
	v_and_b32_e32 v10, 0x80000000, v10
	v_or3_b32 v20, v20, v10, v21
.LBB363_707:                            ;   in Loop: Header=BB363_417 Depth=1
	s_or_b32 exec_lo, exec_lo, s15
.LBB363_708:                            ;   in Loop: Header=BB363_417 Depth=1
	s_or_b32 exec_lo, exec_lo, s14
.LBB363_709:                            ;   in Loop: Header=BB363_417 Depth=1
	s_or_b32 exec_lo, exec_lo, s13
	v_and_b32_sdwa v10, v19, v37 dst_sel:DWORD dst_unused:UNUSED_PAD src0_sel:WORD_1 src1_sel:DWORD
	v_mov_b32_e32 v84, 0
	v_mov_b32_e32 v85, 0
	s_mov_b32 s13, exec_lo
	v_cmpx_ne_u16_e32 0, v10
	s_cbranch_execz .LBB363_717
; %bb.710:                              ;   in Loop: Header=BB363_417 Depth=1
	v_bfrev_b32_e32 v85, 1
	s_mov_b32 s14, exec_lo
	v_cmpx_ne_u16_e32 0x80, v10
	s_cbranch_execz .LBB363_716
; %bb.711:                              ;   in Loop: Header=BB363_417 Depth=1
	v_bfe_u32 v86, v19, 16, 7
	v_mov_b32_e32 v85, 0x7f800001
	s_mov_b32 s15, exec_lo
	v_cmpx_ne_u32_e32 0x7f, v86
	s_cbranch_execz .LBB363_715
; %bb.712:                              ;   in Loop: Header=BB363_417 Depth=1
	v_and_b32_sdwa v10, v19, v38 dst_sel:DWORD dst_unused:UNUSED_PAD src0_sel:WORD_1 src1_sel:DWORD
	v_lshrrev_b32_e32 v21, 3, v86
	s_mov_b32 s16, exec_lo
	v_cmpx_gt_u32_e32 8, v86
; %bb.713:                              ;   in Loop: Header=BB363_417 Depth=1
	v_ffbh_u32_e32 v21, v10
	v_min_u32_e32 v21, 32, v21
	v_subrev_nc_u32_e32 v85, 28, v21
	v_sub_nc_u32_e32 v21, 29, v21
	v_lshlrev_b64 v[85:86], v85, v[10:11]
	v_and_b32_e32 v10, 7, v85
; %bb.714:                              ;   in Loop: Header=BB363_417 Depth=1
	s_or_b32 exec_lo, exec_lo, s16
	v_lshlrev_b32_sdwa v85, v39, v19 dst_sel:DWORD dst_unused:UNUSED_PAD src0_sel:DWORD src1_sel:WORD_1
	v_lshlrev_b32_e32 v10, 20, v10
	v_lshl_add_u32 v21, v21, 23, 0x3c000000
	v_and_b32_e32 v85, 0x80000000, v85
	v_or3_b32 v85, v10, v85, v21
.LBB363_715:                            ;   in Loop: Header=BB363_417 Depth=1
	s_or_b32 exec_lo, exec_lo, s15
.LBB363_716:                            ;   in Loop: Header=BB363_417 Depth=1
	s_or_b32 exec_lo, exec_lo, s14
.LBB363_717:                            ;   in Loop: Header=BB363_417 Depth=1
	s_or_b32 exec_lo, exec_lo, s13
	s_mov_b32 s13, exec_lo
	v_cmpx_lt_u64_e64 s[4:5], v[18:19]
	s_cbranch_execz .LBB363_725
; %bb.718:                              ;   in Loop: Header=BB363_417 Depth=1
	v_cmp_ne_u32_sdwa s0, v19, v35 src0_sel:BYTE_3 src1_sel:DWORD
	v_bfrev_b32_e32 v84, 1
	s_and_saveexec_b32 s14, s0
	s_cbranch_execz .LBB363_724
; %bb.719:                              ;   in Loop: Header=BB363_417 Depth=1
	v_bfe_u32 v21, v19, 24, 7
	v_mov_b32_e32 v84, 0x7f800001
	s_mov_b32 s15, exec_lo
	v_cmpx_ne_u32_e32 0x7f, v21
	s_cbranch_execz .LBB363_723
; %bb.720:                              ;   in Loop: Header=BB363_417 Depth=1
	v_and_b32_sdwa v10, v19, v38 dst_sel:DWORD dst_unused:UNUSED_PAD src0_sel:BYTE_3 src1_sel:DWORD
	v_lshrrev_b32_e32 v18, 3, v21
	s_mov_b32 s16, exec_lo
	v_cmpx_gt_u32_e32 8, v21
; %bb.721:                              ;   in Loop: Header=BB363_417 Depth=1
	v_ffbh_u32_e32 v18, v10
	v_min_u32_e32 v18, 32, v18
	v_subrev_nc_u32_e32 v21, 28, v18
	v_sub_nc_u32_e32 v18, 29, v18
	v_lshlrev_b64 v[86:87], v21, v[10:11]
	v_and_b32_e32 v10, 7, v86
; %bb.722:                              ;   in Loop: Header=BB363_417 Depth=1
	s_or_b32 exec_lo, exec_lo, s16
	v_lshlrev_b32_sdwa v19, v39, v19 dst_sel:DWORD dst_unused:UNUSED_PAD src0_sel:DWORD src1_sel:BYTE_3
	v_lshlrev_b32_e32 v10, 20, v10
	v_lshl_add_u32 v18, v18, 23, 0x3c000000
	v_and_b32_e32 v19, 0x80000000, v19
	v_or3_b32 v84, v10, v19, v18
.LBB363_723:                            ;   in Loop: Header=BB363_417 Depth=1
	s_or_b32 exec_lo, exec_lo, s15
.LBB363_724:                            ;   in Loop: Header=BB363_417 Depth=1
	s_or_b32 exec_lo, exec_lo, s14
.LBB363_725:                            ;   in Loop: Header=BB363_417 Depth=1
	s_or_b32 exec_lo, exec_lo, s13
	v_mul_f32_e32 v10, s6, v20
	v_mul_f32_e32 v18, s6, v83
	;; [unrolled: 1-line block ×5, first 2 shown]
	v_bfe_u32 v20, v10, 16, 1
	v_or_b32_e32 v21, 0x400000, v10
	v_bfe_u32 v81, v18, 16, 1
	v_cmp_u_f32_e64 s0, v10, v10
	v_or_b32_e32 v83, 0x400000, v18
	v_add3_u32 v20, v20, v10, 0x7fff
	v_bfe_u32 v86, v19, 16, 1
	v_add3_u32 v81, v81, v18, 0x7fff
	v_or_b32_e32 v87, 0x400000, v19
	v_bfe_u32 v88, v82, 16, 1
	v_cndmask_b32_e64 v10, v20, v21, s0
	v_cmp_u_f32_e64 s0, v18, v18
	v_add3_u32 v86, v86, v19, 0x7fff
	v_lshrrev_b32_e32 v20, 16, v10
	v_cndmask_b32_e64 v18, v81, v83, s0
	v_cmp_u_f32_e64 s0, v19, v19
	v_mul_f32_e32 v10, s6, v80
	v_add3_u32 v80, v88, v82, 0x7fff
	v_or_b32_e32 v83, 0x400000, v82
	v_lshrrev_b32_e32 v21, 16, v18
	v_cndmask_b32_e64 v19, v86, v87, s0
	v_bfe_u32 v18, v10, 16, 1
	v_cmp_u_f32_e64 s0, v82, v82
	v_or_b32_e32 v82, 0x400000, v10
	v_lshrrev_b32_e32 v81, 16, v19
	v_add3_u32 v18, v18, v10, 0x7fff
	v_cndmask_b32_e64 v19, v80, v83, s0
	v_mul_f32_e32 v80, s6, v85
	v_mul_f32_e32 v83, s6, v84
	v_bfe_u32 v84, v79, 16, 1
	v_cmp_u_f32_e64 s0, v10, v10
	v_bfe_u32 v85, v80, 16, 1
	v_or_b32_e32 v86, 0x400000, v80
	v_or_b32_e32 v87, 0x400000, v83
	v_cndmask_b32_e64 v10, v18, v82, s0
	v_add3_u32 v82, v84, v79, 0x7fff
	v_or_b32_e32 v84, 0x400000, v79
	v_cmp_u_f32_e64 s0, v79, v79
	v_bfe_u32 v18, v83, 16, 1
	v_add3_u32 v85, v85, v80, 0x7fff
	v_cndmask_b32_e64 v79, v82, v84, s0
	v_cmp_u_f32_e64 s0, v80, v80
	v_add3_u32 v18, v18, v83, 0x7fff
	v_lshrrev_b32_e32 v82, 16, v19
	v_lshrrev_b32_e32 v84, 16, v10
	v_cndmask_b32_e64 v80, v85, v86, s0
	v_cmp_u_f32_e64 s0, v83, v83
	v_lshrrev_b32_e32 v83, 16, v79
	v_lshrrev_b32_e32 v79, 16, v80
	v_cndmask_b32_e64 v18, v18, v87, s0
	v_lshrrev_b32_e32 v80, 16, v18
	s_and_saveexec_b32 s13, vcc_lo
	s_cbranch_execz .LBB363_727
; %bb.726:                              ;   in Loop: Header=BB363_417 Depth=1
	v_cmp_gt_i32_e64 s0, s27, v48
	v_cndmask_b32_e64 v83, 0, v83, s0
	v_cmp_gt_i32_e64 s0, s27, v54
	v_cndmask_b32_e64 v84, 0, v84, s0
	;; [unrolled: 2-line block ×8, first 2 shown]
.LBB363_727:                            ;   in Loop: Header=BB363_417 Depth=1
	s_or_b32 exec_lo, exec_lo, s13
	global_load_dwordx2 v[16:17], v[16:17], off offset:1280
	v_mov_b32_e32 v86, 0
	v_mov_b32_e32 v85, 0
	s_waitcnt vmcnt(0)
	v_cmp_ne_u16_sdwa s0, v16, v11 src0_sel:BYTE_0 src1_sel:DWORD
	s_and_saveexec_b32 s13, s0
	s_cbranch_execz .LBB363_733
; %bb.728:                              ;   in Loop: Header=BB363_417 Depth=1
	v_cmp_ne_u16_sdwa s0, v16, v35 src0_sel:BYTE_0 src1_sel:DWORD
	v_bfrev_b32_e32 v85, 1
	s_and_saveexec_b32 s14, s0
	s_cbranch_execz .LBB363_732
; %bb.729:                              ;   in Loop: Header=BB363_417 Depth=1
	v_and_b32_e32 v10, 0x7f, v16
	v_mov_b32_e32 v85, 0x7f800001
	s_mov_b32 s15, exec_lo
	v_cmpx_ne_u32_e32 0x7f, v10
	s_cbranch_execz .LBB363_731
; %bb.730:                              ;   in Loop: Header=BB363_417 Depth=1
	v_and_b32_e32 v18, 7, v16
	v_lshrrev_b32_e32 v19, 3, v10
	v_cmp_gt_u32_e64 s0, 8, v10
	v_ffbh_u32_e32 v18, v18
	v_min_u32_e32 v18, 32, v18
	v_subrev_nc_u32_e32 v85, 28, v18
	v_sub_nc_u32_e32 v18, 29, v18
	v_cndmask_b32_e64 v10, v19, v18, s0
	v_cndmask_b32_e64 v18, 0, v85, s0
	v_lshl_add_u32 v10, v10, 23, 0x3c000000
	v_lshlrev_b64 v[18:19], v18, v[16:17]
	v_lshlrev_b32_e32 v19, 24, v16
	v_lshlrev_b32_e32 v18, 20, v18
	v_and_b32_e32 v19, 0x80000000, v19
	v_and_b32_e32 v18, 0x700000, v18
	v_or3_b32 v85, v18, v19, v10
.LBB363_731:                            ;   in Loop: Header=BB363_417 Depth=1
	s_or_b32 exec_lo, exec_lo, s15
.LBB363_732:                            ;   in Loop: Header=BB363_417 Depth=1
	s_or_b32 exec_lo, exec_lo, s14
.LBB363_733:                            ;   in Loop: Header=BB363_417 Depth=1
	s_or_b32 exec_lo, exec_lo, s13
	v_cmp_ne_u16_sdwa s0, v16, v11 src0_sel:BYTE_1 src1_sel:DWORD
	s_and_saveexec_b32 s13, s0
	s_cbranch_execz .LBB363_741
; %bb.734:                              ;   in Loop: Header=BB363_417 Depth=1
	v_cmp_ne_u16_sdwa s0, v16, v35 src0_sel:BYTE_1 src1_sel:DWORD
	v_bfrev_b32_e32 v86, 1
	s_and_saveexec_b32 s14, s0
	s_cbranch_execz .LBB363_740
; %bb.735:                              ;   in Loop: Header=BB363_417 Depth=1
	v_and_b32_sdwa v10, v36, v16 dst_sel:DWORD dst_unused:UNUSED_PAD src0_sel:DWORD src1_sel:BYTE_1
	v_mov_b32_e32 v86, 0x7f800001
	s_mov_b32 s15, exec_lo
	v_and_b32_e32 v19, 0x7f, v10
	v_cmpx_ne_u32_e32 0x7f, v19
	s_cbranch_execz .LBB363_739
; %bb.736:                              ;   in Loop: Header=BB363_417 Depth=1
	v_and_b32_e32 v10, 7, v10
	v_lshrrev_b32_e32 v18, 3, v19
	s_mov_b32 s16, exec_lo
	v_cmpx_gt_u32_e32 8, v19
; %bb.737:                              ;   in Loop: Header=BB363_417 Depth=1
	v_ffbh_u32_e32 v18, v10
	v_min_u32_e32 v18, 32, v18
	v_subrev_nc_u32_e32 v19, 28, v18
	v_sub_nc_u32_e32 v18, 29, v18
	v_lshlrev_b64 v[86:87], v19, v[10:11]
	v_and_b32_e32 v10, 7, v86
; %bb.738:                              ;   in Loop: Header=BB363_417 Depth=1
	s_or_b32 exec_lo, exec_lo, s16
	v_lshlrev_b32_e32 v19, 16, v16
	v_lshlrev_b32_e32 v10, 20, v10
	v_lshl_add_u32 v18, v18, 23, 0x3c000000
	v_and_b32_e32 v19, 0x80000000, v19
	v_or3_b32 v86, v10, v19, v18
.LBB363_739:                            ;   in Loop: Header=BB363_417 Depth=1
	s_or_b32 exec_lo, exec_lo, s15
.LBB363_740:                            ;   in Loop: Header=BB363_417 Depth=1
	s_or_b32 exec_lo, exec_lo, s14
.LBB363_741:                            ;   in Loop: Header=BB363_417 Depth=1
	s_or_b32 exec_lo, exec_lo, s13
	v_and_b32_sdwa v10, v16, v37 dst_sel:DWORD dst_unused:UNUSED_PAD src0_sel:WORD_1 src1_sel:DWORD
	v_mov_b32_e32 v88, 0
	v_mov_b32_e32 v87, 0
	s_mov_b32 s13, exec_lo
	v_cmpx_ne_u16_e32 0, v10
	s_cbranch_execz .LBB363_749
; %bb.742:                              ;   in Loop: Header=BB363_417 Depth=1
	v_bfrev_b32_e32 v87, 1
	s_mov_b32 s14, exec_lo
	v_cmpx_ne_u16_e32 0x80, v10
	s_cbranch_execz .LBB363_748
; %bb.743:                              ;   in Loop: Header=BB363_417 Depth=1
	v_bfe_u32 v19, v16, 16, 7
	v_mov_b32_e32 v87, 0x7f800001
	s_mov_b32 s15, exec_lo
	v_cmpx_ne_u32_e32 0x7f, v19
	s_cbranch_execz .LBB363_747
; %bb.744:                              ;   in Loop: Header=BB363_417 Depth=1
	v_and_b32_sdwa v10, v16, v38 dst_sel:DWORD dst_unused:UNUSED_PAD src0_sel:WORD_1 src1_sel:DWORD
	v_lshrrev_b32_e32 v18, 3, v19
	s_mov_b32 s16, exec_lo
	v_cmpx_gt_u32_e32 8, v19
; %bb.745:                              ;   in Loop: Header=BB363_417 Depth=1
	v_ffbh_u32_e32 v18, v10
	v_min_u32_e32 v18, 32, v18
	v_subrev_nc_u32_e32 v19, 28, v18
	v_sub_nc_u32_e32 v18, 29, v18
	v_lshlrev_b64 v[89:90], v19, v[10:11]
	v_and_b32_e32 v10, 7, v89
; %bb.746:                              ;   in Loop: Header=BB363_417 Depth=1
	s_or_b32 exec_lo, exec_lo, s16
	v_lshlrev_b32_sdwa v19, v39, v16 dst_sel:DWORD dst_unused:UNUSED_PAD src0_sel:DWORD src1_sel:WORD_1
	v_lshlrev_b32_e32 v10, 20, v10
	v_lshl_add_u32 v18, v18, 23, 0x3c000000
	v_and_b32_e32 v19, 0x80000000, v19
	v_or3_b32 v87, v10, v19, v18
.LBB363_747:                            ;   in Loop: Header=BB363_417 Depth=1
	s_or_b32 exec_lo, exec_lo, s15
.LBB363_748:                            ;   in Loop: Header=BB363_417 Depth=1
	s_or_b32 exec_lo, exec_lo, s14
.LBB363_749:                            ;   in Loop: Header=BB363_417 Depth=1
	s_or_b32 exec_lo, exec_lo, s13
	s_mov_b32 s13, exec_lo
	v_cmpx_lt_u32_e32 0xffffff, v16
	s_cbranch_execz .LBB363_757
; %bb.750:                              ;   in Loop: Header=BB363_417 Depth=1
	v_cmp_ne_u32_sdwa s0, v16, v35 src0_sel:BYTE_3 src1_sel:DWORD
	v_bfrev_b32_e32 v88, 1
	s_and_saveexec_b32 s14, s0
	s_cbranch_execz .LBB363_756
; %bb.751:                              ;   in Loop: Header=BB363_417 Depth=1
	v_bfe_u32 v19, v16, 24, 7
	v_mov_b32_e32 v88, 0x7f800001
	s_mov_b32 s15, exec_lo
	v_cmpx_ne_u32_e32 0x7f, v19
	s_cbranch_execz .LBB363_755
; %bb.752:                              ;   in Loop: Header=BB363_417 Depth=1
	v_and_b32_sdwa v10, v16, v38 dst_sel:DWORD dst_unused:UNUSED_PAD src0_sel:BYTE_3 src1_sel:DWORD
	v_lshrrev_b32_e32 v18, 3, v19
	s_mov_b32 s16, exec_lo
	v_cmpx_gt_u32_e32 8, v19
; %bb.753:                              ;   in Loop: Header=BB363_417 Depth=1
	v_ffbh_u32_e32 v18, v10
	v_min_u32_e32 v18, 32, v18
	v_subrev_nc_u32_e32 v19, 28, v18
	v_sub_nc_u32_e32 v18, 29, v18
	v_lshlrev_b64 v[88:89], v19, v[10:11]
	v_and_b32_e32 v10, 7, v88
; %bb.754:                              ;   in Loop: Header=BB363_417 Depth=1
	s_or_b32 exec_lo, exec_lo, s16
	v_lshlrev_b32_sdwa v19, v39, v16 dst_sel:DWORD dst_unused:UNUSED_PAD src0_sel:DWORD src1_sel:BYTE_3
	v_lshlrev_b32_e32 v10, 20, v10
	v_lshl_add_u32 v18, v18, 23, 0x3c000000
	v_and_b32_e32 v19, 0x80000000, v19
	v_or3_b32 v88, v10, v19, v18
.LBB363_755:                            ;   in Loop: Header=BB363_417 Depth=1
	s_or_b32 exec_lo, exec_lo, s15
.LBB363_756:                            ;   in Loop: Header=BB363_417 Depth=1
	s_or_b32 exec_lo, exec_lo, s14
.LBB363_757:                            ;   in Loop: Header=BB363_417 Depth=1
	s_or_b32 exec_lo, exec_lo, s13
	v_mov_b32_e32 v10, v17
	v_cmp_ne_u16_sdwa s0, v17, v11 src0_sel:BYTE_0 src1_sel:DWORD
	v_mov_b32_e32 v18, 0
	v_mov_b32_e32 v89, 0
	s_and_saveexec_b32 s13, s0
	s_cbranch_execz .LBB363_763
; %bb.758:                              ;   in Loop: Header=BB363_417 Depth=1
	v_cmp_ne_u16_sdwa s0, v17, v35 src0_sel:BYTE_0 src1_sel:DWORD
	v_bfrev_b32_e32 v89, 1
	s_and_saveexec_b32 s14, s0
	s_cbranch_execz .LBB363_762
; %bb.759:                              ;   in Loop: Header=BB363_417 Depth=1
	v_and_b32_e32 v19, 0x7f, v17
	v_mov_b32_e32 v89, 0x7f800001
	s_mov_b32 s15, exec_lo
	v_cmpx_ne_u32_e32 0x7f, v19
	s_cbranch_execz .LBB363_761
; %bb.760:                              ;   in Loop: Header=BB363_417 Depth=1
	v_and_b32_e32 v89, 7, v17
	v_lshrrev_b32_e32 v90, 3, v19
	v_cmp_gt_u32_e64 s0, 8, v19
	v_ffbh_u32_e32 v89, v89
	v_min_u32_e32 v89, 32, v89
	v_subrev_nc_u32_e32 v91, 28, v89
	v_sub_nc_u32_e32 v89, 29, v89
	v_cndmask_b32_e64 v19, v90, v89, s0
	v_cndmask_b32_e64 v89, 0, v91, s0
	v_lshl_add_u32 v19, v19, 23, 0x3c000000
	v_lshlrev_b64 v[89:90], v89, v[10:11]
	v_lshlrev_b32_e32 v90, 24, v10
	v_lshlrev_b32_e32 v89, 20, v89
	v_and_b32_e32 v90, 0x80000000, v90
	v_and_b32_e32 v89, 0x700000, v89
	v_or3_b32 v89, v89, v90, v19
.LBB363_761:                            ;   in Loop: Header=BB363_417 Depth=1
	s_or_b32 exec_lo, exec_lo, s15
.LBB363_762:                            ;   in Loop: Header=BB363_417 Depth=1
	s_or_b32 exec_lo, exec_lo, s14
.LBB363_763:                            ;   in Loop: Header=BB363_417 Depth=1
	s_or_b32 exec_lo, exec_lo, s13
	v_cmp_ne_u16_sdwa s0, v10, v11 src0_sel:BYTE_1 src1_sel:DWORD
	s_and_saveexec_b32 s13, s0
	s_cbranch_execz .LBB363_771
; %bb.764:                              ;   in Loop: Header=BB363_417 Depth=1
	v_cmp_ne_u16_sdwa s0, v10, v35 src0_sel:BYTE_1 src1_sel:DWORD
	v_bfrev_b32_e32 v18, 1
	s_and_saveexec_b32 s14, s0
	s_cbranch_execz .LBB363_770
; %bb.765:                              ;   in Loop: Header=BB363_417 Depth=1
	v_and_b32_sdwa v19, v36, v10 dst_sel:DWORD dst_unused:UNUSED_PAD src0_sel:DWORD src1_sel:BYTE_1
	v_mov_b32_e32 v18, 0x7f800001
	s_mov_b32 s15, exec_lo
	v_and_b32_e32 v91, 0x7f, v19
	v_cmpx_ne_u32_e32 0x7f, v91
	s_cbranch_execz .LBB363_769
; %bb.766:                              ;   in Loop: Header=BB363_417 Depth=1
	v_and_b32_e32 v18, 7, v19
	v_mov_b32_e32 v19, v11
	v_lshrrev_b32_e32 v90, 3, v91
	s_mov_b32 s16, exec_lo
	v_cmpx_gt_u32_e32 8, v91
; %bb.767:                              ;   in Loop: Header=BB363_417 Depth=1
	v_ffbh_u32_e32 v90, v18
	v_min_u32_e32 v90, 32, v90
	v_subrev_nc_u32_e32 v91, 28, v90
	v_sub_nc_u32_e32 v90, 29, v90
	v_lshlrev_b64 v[18:19], v91, v[18:19]
	v_and_b32_e32 v18, 7, v18
; %bb.768:                              ;   in Loop: Header=BB363_417 Depth=1
	s_or_b32 exec_lo, exec_lo, s16
	v_lshlrev_b32_e32 v10, 16, v10
	v_lshlrev_b32_e32 v18, 20, v18
	v_lshl_add_u32 v19, v90, 23, 0x3c000000
	v_and_b32_e32 v10, 0x80000000, v10
	v_or3_b32 v18, v18, v10, v19
.LBB363_769:                            ;   in Loop: Header=BB363_417 Depth=1
	s_or_b32 exec_lo, exec_lo, s15
.LBB363_770:                            ;   in Loop: Header=BB363_417 Depth=1
	s_or_b32 exec_lo, exec_lo, s14
.LBB363_771:                            ;   in Loop: Header=BB363_417 Depth=1
	s_or_b32 exec_lo, exec_lo, s13
	v_and_b32_sdwa v10, v17, v37 dst_sel:DWORD dst_unused:UNUSED_PAD src0_sel:WORD_1 src1_sel:DWORD
	v_mov_b32_e32 v19, 0
	v_mov_b32_e32 v90, 0
	s_mov_b32 s13, exec_lo
	v_cmpx_ne_u16_e32 0, v10
	s_cbranch_execz .LBB363_779
; %bb.772:                              ;   in Loop: Header=BB363_417 Depth=1
	v_bfrev_b32_e32 v90, 1
	s_mov_b32 s14, exec_lo
	v_cmpx_ne_u16_e32 0x80, v10
	s_cbranch_execz .LBB363_778
; %bb.773:                              ;   in Loop: Header=BB363_417 Depth=1
	v_bfe_u32 v91, v17, 16, 7
	v_mov_b32_e32 v90, 0x7f800001
	s_mov_b32 s15, exec_lo
	v_cmpx_ne_u32_e32 0x7f, v91
	s_cbranch_execz .LBB363_777
; %bb.774:                              ;   in Loop: Header=BB363_417 Depth=1
	v_and_b32_sdwa v10, v17, v38 dst_sel:DWORD dst_unused:UNUSED_PAD src0_sel:WORD_1 src1_sel:DWORD
	v_lshrrev_b32_e32 v90, 3, v91
	s_mov_b32 s16, exec_lo
	v_cmpx_gt_u32_e32 8, v91
; %bb.775:                              ;   in Loop: Header=BB363_417 Depth=1
	v_ffbh_u32_e32 v90, v10
	v_min_u32_e32 v90, 32, v90
	v_subrev_nc_u32_e32 v91, 28, v90
	v_sub_nc_u32_e32 v90, 29, v90
	v_lshlrev_b64 v[91:92], v91, v[10:11]
	v_and_b32_e32 v10, 7, v91
; %bb.776:                              ;   in Loop: Header=BB363_417 Depth=1
	s_or_b32 exec_lo, exec_lo, s16
	v_lshlrev_b32_sdwa v91, v39, v17 dst_sel:DWORD dst_unused:UNUSED_PAD src0_sel:DWORD src1_sel:WORD_1
	v_lshlrev_b32_e32 v10, 20, v10
	v_lshl_add_u32 v90, v90, 23, 0x3c000000
	v_and_b32_e32 v91, 0x80000000, v91
	v_or3_b32 v90, v10, v91, v90
.LBB363_777:                            ;   in Loop: Header=BB363_417 Depth=1
	s_or_b32 exec_lo, exec_lo, s15
.LBB363_778:                            ;   in Loop: Header=BB363_417 Depth=1
	s_or_b32 exec_lo, exec_lo, s14
.LBB363_779:                            ;   in Loop: Header=BB363_417 Depth=1
	s_or_b32 exec_lo, exec_lo, s13
	s_mov_b32 s13, exec_lo
	v_cmpx_lt_u64_e64 s[4:5], v[16:17]
	s_cbranch_execz .LBB363_787
; %bb.780:                              ;   in Loop: Header=BB363_417 Depth=1
	v_cmp_ne_u32_sdwa s0, v17, v35 src0_sel:BYTE_3 src1_sel:DWORD
	v_bfrev_b32_e32 v19, 1
	s_and_saveexec_b32 s14, s0
	s_cbranch_execz .LBB363_786
; %bb.781:                              ;   in Loop: Header=BB363_417 Depth=1
	v_bfe_u32 v91, v17, 24, 7
	v_mov_b32_e32 v19, 0x7f800001
	s_mov_b32 s15, exec_lo
	v_cmpx_ne_u32_e32 0x7f, v91
	s_cbranch_execz .LBB363_785
; %bb.782:                              ;   in Loop: Header=BB363_417 Depth=1
	v_and_b32_sdwa v10, v17, v38 dst_sel:DWORD dst_unused:UNUSED_PAD src0_sel:BYTE_3 src1_sel:DWORD
	v_lshrrev_b32_e32 v16, 3, v91
	s_mov_b32 s16, exec_lo
	v_cmpx_gt_u32_e32 8, v91
; %bb.783:                              ;   in Loop: Header=BB363_417 Depth=1
	v_ffbh_u32_e32 v16, v10
	v_min_u32_e32 v16, 32, v16
	v_subrev_nc_u32_e32 v19, 28, v16
	v_sub_nc_u32_e32 v16, 29, v16
	v_lshlrev_b64 v[91:92], v19, v[10:11]
	v_and_b32_e32 v10, 7, v91
; %bb.784:                              ;   in Loop: Header=BB363_417 Depth=1
	s_or_b32 exec_lo, exec_lo, s16
	v_lshlrev_b32_sdwa v17, v39, v17 dst_sel:DWORD dst_unused:UNUSED_PAD src0_sel:DWORD src1_sel:BYTE_3
	v_lshlrev_b32_e32 v10, 20, v10
	v_lshl_add_u32 v16, v16, 23, 0x3c000000
	v_and_b32_e32 v17, 0x80000000, v17
	v_or3_b32 v19, v10, v17, v16
.LBB363_785:                            ;   in Loop: Header=BB363_417 Depth=1
	s_or_b32 exec_lo, exec_lo, s15
.LBB363_786:                            ;   in Loop: Header=BB363_417 Depth=1
	s_or_b32 exec_lo, exec_lo, s14
.LBB363_787:                            ;   in Loop: Header=BB363_417 Depth=1
	s_or_b32 exec_lo, exec_lo, s13
	v_mul_f32_e32 v10, s6, v18
	v_mul_f32_e32 v16, s6, v89
	;; [unrolled: 1-line block ×5, first 2 shown]
	v_bfe_u32 v87, v10, 16, 1
	v_or_b32_e32 v88, 0x400000, v10
	v_bfe_u32 v89, v16, 16, 1
	v_cmp_u_f32_e64 s0, v10, v10
	v_or_b32_e32 v91, 0x400000, v16
	v_add3_u32 v87, v87, v10, 0x7fff
	v_bfe_u32 v92, v17, 16, 1
	v_add3_u32 v89, v89, v16, 0x7fff
	v_or_b32_e32 v93, 0x400000, v17
	v_bfe_u32 v94, v18, 16, 1
	v_cndmask_b32_e64 v10, v87, v88, s0
	v_cmp_u_f32_e64 s0, v16, v16
	v_add3_u32 v92, v92, v17, 0x7fff
	v_or_b32_e32 v88, 0x400000, v18
	v_add3_u32 v87, v94, v18, 0x7fff
	v_mul_f32_e32 v85, s6, v85
	v_cndmask_b32_e64 v16, v89, v91, s0
	v_cmp_u_f32_e64 s0, v17, v17
	v_bfe_u32 v89, v86, 16, 1
	v_mul_f32_e32 v19, s6, v19
	v_lshrrev_b32_e32 v10, 16, v10
	v_lshrrev_b32_e32 v16, 16, v16
	v_cndmask_b32_e64 v17, v92, v93, s0
	v_cmp_u_f32_e64 s0, v18, v18
	v_or_b32_e32 v93, 0x400000, v19
	v_lshrrev_b32_e32 v17, 16, v17
	v_cndmask_b32_e64 v18, v87, v88, s0
	v_mul_f32_e32 v87, s6, v90
	v_add3_u32 v88, v89, v86, 0x7fff
	v_or_b32_e32 v89, 0x400000, v86
	v_bfe_u32 v90, v85, 16, 1
	v_cmp_u_f32_e64 s0, v86, v86
	v_bfe_u32 v91, v87, 16, 1
	v_or_b32_e32 v92, 0x400000, v87
	v_cndmask_b32_e64 v86, v88, v89, s0
	v_add3_u32 v89, v90, v85, 0x7fff
	v_or_b32_e32 v90, 0x400000, v85
	v_cmp_u_f32_e64 s0, v85, v85
	v_bfe_u32 v88, v19, 16, 1
	v_add3_u32 v91, v91, v87, 0x7fff
	v_lshrrev_b32_e32 v85, 16, v18
	v_lshrrev_b32_e32 v86, 16, v86
	v_cndmask_b32_e64 v89, v89, v90, s0
	v_cmp_u_f32_e64 s0, v87, v87
	v_add3_u32 v88, v88, v19, 0x7fff
	v_lshrrev_b32_e32 v87, 16, v89
	v_cndmask_b32_e64 v90, v91, v92, s0
	v_cmp_u_f32_e64 s0, v19, v19
	v_lshrrev_b32_e32 v19, 16, v90
	v_cndmask_b32_e64 v88, v88, v93, s0
	v_lshrrev_b32_e32 v18, 16, v88
	s_and_saveexec_b32 s0, vcc_lo
	s_cbranch_execz .LBB363_416
; %bb.788:                              ;   in Loop: Header=BB363_417 Depth=1
	v_cmp_gt_i32_e32 vcc_lo, s27, v48
	v_cndmask_b32_e32 v87, 0, v87, vcc_lo
	v_cmp_gt_i32_e32 vcc_lo, s27, v54
	v_cndmask_b32_e32 v86, 0, v86, vcc_lo
	;; [unrolled: 2-line block ×8, first 2 shown]
	s_branch .LBB363_416
.LBB363_789:
	s_or_b32 exec_lo, exec_lo, s12
.LBB363_790:
	s_or_b32 exec_lo, exec_lo, s1
	ds_bpermute_b32 v1, v26, v31
	ds_bpermute_b32 v2, v26, v32
	;; [unrolled: 1-line block ×6, first 2 shown]
	v_lshrrev_b32_e32 v7, 1, v25
	v_mul_u32_u24_e32 v9, 0x180, v24
	v_and_b32_e32 v13, 0x3c1, v0
	s_mov_b32 s0, exec_lo
	s_waitcnt lgkmcnt(0)
	s_waitcnt_vscnt null, 0x0
	v_lshl_add_u32 v8, v7, 2, 0xe0
	s_barrier
	buffer_gl0_inv
	v_add_f32_e32 v6, v31, v1
	v_add_f32_e32 v5, v32, v2
	;; [unrolled: 1-line block ×6, first 2 shown]
	v_cmpx_eq_u32_e32 64, v13
	s_cbranch_execz .LBB363_792
; %bb.791:
	v_add_nc_u32_e32 v10, v8, v9
	v_add_nc_u32_e32 v11, 0xfffffd00, v10
	;; [unrolled: 1-line block ×7, first 2 shown]
	ds_write_b32 v11, v6
	ds_write_b32 v12, v5
	ds_write_b32 v13, v4
	ds_write_b32 v14, v3
	ds_write_b32 v15, v2
	ds_write_b32 v10, v1
.LBB363_792:
	s_or_b32 exec_lo, exec_lo, s0
	v_lshlrev_b32_e32 v7, 2, v7
	s_mov_b32 s1, exec_lo
	v_cmp_eq_u32_e32 vcc_lo, 0, v23
	s_waitcnt lgkmcnt(0)
	s_barrier
	v_add3_u32 v7, 0xe0, v9, v7
	buffer_gl0_inv
	v_cmpx_gt_u32_e32 64, v0
	s_cbranch_execz .LBB363_801
; %bb.793:
	s_and_saveexec_b32 s0, vcc_lo
	s_cbranch_execnz .LBB363_815
; %bb.794:
	s_or_b32 exec_lo, exec_lo, s0
	s_and_saveexec_b32 s0, vcc_lo
	s_cbranch_execnz .LBB363_816
.LBB363_795:
	s_or_b32 exec_lo, exec_lo, s0
	s_and_saveexec_b32 s0, vcc_lo
	s_cbranch_execnz .LBB363_817
.LBB363_796:
	s_or_b32 exec_lo, exec_lo, s0
	s_and_saveexec_b32 s0, vcc_lo
	s_cbranch_execnz .LBB363_818
.LBB363_797:
	s_or_b32 exec_lo, exec_lo, s0
	s_and_saveexec_b32 s0, vcc_lo
	s_cbranch_execnz .LBB363_819
.LBB363_798:
	s_or_b32 exec_lo, exec_lo, s0
	s_and_saveexec_b32 s0, vcc_lo
	s_cbranch_execz .LBB363_800
.LBB363_799:
	ds_read_b32 v9, v7 offset:320
	s_waitcnt lgkmcnt(0)
	v_add_f32_e32 v1, v1, v9
.LBB363_800:
	s_or_b32 exec_lo, exec_lo, s0
.LBB363_801:
	s_or_b32 exec_lo, exec_lo, s1
	v_and_b32_e32 v9, 0x3e1, v0
	s_mov_b32 s1, exec_lo
	s_barrier
	buffer_gl0_inv
	v_cmpx_eq_u32_e32 32, v9
	s_cbranch_execz .LBB363_803
; %bb.802:
	ds_write2_b32 v8, v6, v5 offset1:16
	ds_write2_b32 v8, v4, v3 offset0:32 offset1:48
	ds_write2_b32 v8, v2, v1 offset0:64 offset1:80
.LBB363_803:
	s_or_b32 exec_lo, exec_lo, s1
	s_mov_b32 s1, exec_lo
	s_waitcnt lgkmcnt(0)
	s_barrier
	buffer_gl0_inv
	v_cmpx_gt_u32_e32 32, v0
	s_cbranch_execz .LBB363_812
; %bb.804:
	s_and_saveexec_b32 s0, vcc_lo
	s_cbranch_execnz .LBB363_820
; %bb.805:
	s_or_b32 exec_lo, exec_lo, s0
	s_and_saveexec_b32 s0, vcc_lo
	s_cbranch_execnz .LBB363_821
.LBB363_806:
	s_or_b32 exec_lo, exec_lo, s0
	s_and_saveexec_b32 s0, vcc_lo
	s_cbranch_execnz .LBB363_822
.LBB363_807:
	s_or_b32 exec_lo, exec_lo, s0
	s_and_saveexec_b32 s0, vcc_lo
	s_cbranch_execnz .LBB363_823
.LBB363_808:
	s_or_b32 exec_lo, exec_lo, s0
	s_and_saveexec_b32 s0, vcc_lo
	s_cbranch_execnz .LBB363_824
.LBB363_809:
	s_or_b32 exec_lo, exec_lo, s0
	s_and_saveexec_b32 s0, vcc_lo
	s_cbranch_execz .LBB363_811
.LBB363_810:
	ds_read_b32 v0, v7 offset:320
	s_waitcnt lgkmcnt(0)
	v_add_f32_e32 v1, v1, v0
.LBB363_811:
	s_or_b32 exec_lo, exec_lo, s0
.LBB363_812:
	s_or_b32 exec_lo, exec_lo, s1
	s_barrier
	buffer_gl0_inv
	s_mov_b32 s0, exec_lo
	v_cmpx_eq_u32_e32 0, v9
	s_cbranch_execz .LBB363_814
; %bb.813:
	s_mul_i32 s0, s2, 0x60
	v_bfe_u32 v0, v6, 16, 1
	s_ashr_i32 s1, s0, 31
	s_mul_i32 s2, s7, s10
	s_lshl_b64 s[0:1], s[0:1], 1
	v_or_b32_e32 v7, 0x400000, v6
	s_add_u32 s4, s24, s0
	s_addc_u32 s1, s25, s1
	s_ashr_i32 s3, s2, 31
	v_add3_u32 v0, v0, v6, 0x7fff
	s_lshl_b64 s[2:3], s[2:3], 1
	v_bfe_u32 v9, v5, 16, 1
	v_cmp_u_f32_e32 vcc_lo, v6, v6
	s_mul_i32 s0, s8, 0x60
	s_add_u32 s2, s4, s2
	s_addc_u32 s3, s1, s3
	s_ashr_i32 s1, s0, 31
	v_lshlrev_b32_e32 v8, 1, v22
	s_lshl_b64 s[0:1], s[0:1], 1
	v_cndmask_b32_e32 v0, v0, v7, vcc_lo
	v_bfe_u32 v6, v4, 16, 1
	v_add3_u32 v7, v9, v5, 0x7fff
	v_or_b32_e32 v9, 0x400000, v5
	v_cmp_u_f32_e32 vcc_lo, v5, v5
	s_add_u32 s0, s2, s0
	s_addc_u32 s1, s3, s1
	v_or_b32_e32 v10, 0x400000, v2
	global_store_short_d16_hi v8, v0, s[0:1]
	v_add3_u32 v0, v6, v4, 0x7fff
	v_or_b32_e32 v6, 0x400000, v4
	v_cndmask_b32_e32 v5, v7, v9, vcc_lo
	v_bfe_u32 v7, v3, 16, 1
	v_cmp_u_f32_e32 vcc_lo, v4, v4
	v_bfe_u32 v9, v2, 16, 1
	v_bfe_u32 v4, v1, 16, 1
	v_or_b32_e32 v11, 0x400000, v1
	v_cndmask_b32_e32 v0, v0, v6, vcc_lo
	v_add3_u32 v6, v7, v3, 0x7fff
	v_or_b32_e32 v7, 0x400000, v3
	v_cmp_u_f32_e32 vcc_lo, v3, v3
	v_add3_u32 v9, v9, v2, 0x7fff
	v_add3_u32 v4, v4, v1, 0x7fff
	v_cndmask_b32_e32 v3, v6, v7, vcc_lo
	v_cmp_u_f32_e32 vcc_lo, v2, v2
	v_cndmask_b32_e32 v2, v9, v10, vcc_lo
	v_cmp_u_f32_e32 vcc_lo, v1, v1
	v_cndmask_b32_e32 v1, v4, v11, vcc_lo
	global_store_short_d16_hi v8, v5, s[0:1] offset:32
	global_store_short_d16_hi v8, v0, s[0:1] offset:64
	;; [unrolled: 1-line block ×5, first 2 shown]
.LBB363_814:
	s_endpgm
.LBB363_815:
	ds_read_b32 v9, v7
	s_waitcnt lgkmcnt(0)
	v_add_f32_e32 v6, v6, v9
	s_or_b32 exec_lo, exec_lo, s0
	s_and_saveexec_b32 s0, vcc_lo
	s_cbranch_execz .LBB363_795
.LBB363_816:
	ds_read_b32 v9, v7 offset:64
	s_waitcnt lgkmcnt(0)
	v_add_f32_e32 v5, v5, v9
	s_or_b32 exec_lo, exec_lo, s0
	s_and_saveexec_b32 s0, vcc_lo
	s_cbranch_execz .LBB363_796
.LBB363_817:
	ds_read_b32 v9, v7 offset:128
	s_waitcnt lgkmcnt(0)
	v_add_f32_e32 v4, v4, v9
	s_or_b32 exec_lo, exec_lo, s0
	s_and_saveexec_b32 s0, vcc_lo
	s_cbranch_execz .LBB363_797
.LBB363_818:
	ds_read_b32 v9, v7 offset:192
	s_waitcnt lgkmcnt(0)
	v_add_f32_e32 v3, v3, v9
	s_or_b32 exec_lo, exec_lo, s0
	s_and_saveexec_b32 s0, vcc_lo
	s_cbranch_execz .LBB363_798
.LBB363_819:
	ds_read_b32 v9, v7 offset:256
	s_waitcnt lgkmcnt(0)
	v_add_f32_e32 v2, v2, v9
	s_or_b32 exec_lo, exec_lo, s0
	s_and_saveexec_b32 s0, vcc_lo
	s_cbranch_execnz .LBB363_799
	s_branch .LBB363_800
.LBB363_820:
	ds_read_b32 v0, v7
	s_waitcnt lgkmcnt(0)
	v_add_f32_e32 v6, v6, v0
	s_or_b32 exec_lo, exec_lo, s0
	s_and_saveexec_b32 s0, vcc_lo
	s_cbranch_execz .LBB363_806
.LBB363_821:
	ds_read_b32 v0, v7 offset:64
	s_waitcnt lgkmcnt(0)
	v_add_f32_e32 v5, v5, v0
	s_or_b32 exec_lo, exec_lo, s0
	s_and_saveexec_b32 s0, vcc_lo
	s_cbranch_execz .LBB363_807
.LBB363_822:
	ds_read_b32 v0, v7 offset:128
	s_waitcnt lgkmcnt(0)
	v_add_f32_e32 v4, v4, v0
	s_or_b32 exec_lo, exec_lo, s0
	s_and_saveexec_b32 s0, vcc_lo
	s_cbranch_execz .LBB363_808
.LBB363_823:
	ds_read_b32 v0, v7 offset:192
	s_waitcnt lgkmcnt(0)
	v_add_f32_e32 v3, v3, v0
	s_or_b32 exec_lo, exec_lo, s0
	s_and_saveexec_b32 s0, vcc_lo
	s_cbranch_execz .LBB363_809
.LBB363_824:
	ds_read_b32 v0, v7 offset:256
	s_waitcnt lgkmcnt(0)
	v_add_f32_e32 v2, v2, v0
	s_or_b32 exec_lo, exec_lo, s0
	s_and_saveexec_b32 s0, vcc_lo
	s_cbranch_execnz .LBB363_810
	s_branch .LBB363_811
	.section	.rodata,"a",@progbits
	.p2align	6, 0x0
	.amdhsa_kernel _ZN4vllm25paged_attention_v2_kernelI14__hip_bfloat16hLi96ELi16ELi128ELNS_18Fp8KVCacheDataTypeE1ELb0ELi512EEEvPfS3_PT_PKS4_PKT0_SA_ifPKiSC_iPKfiiiSE_SE_iiiii
		.amdhsa_group_segment_fixed_size 224
		.amdhsa_private_segment_fixed_size 0
		.amdhsa_kernarg_size 400
		.amdhsa_user_sgpr_count 6
		.amdhsa_user_sgpr_private_segment_buffer 1
		.amdhsa_user_sgpr_dispatch_ptr 0
		.amdhsa_user_sgpr_queue_ptr 0
		.amdhsa_user_sgpr_kernarg_segment_ptr 1
		.amdhsa_user_sgpr_dispatch_id 0
		.amdhsa_user_sgpr_flat_scratch_init 0
		.amdhsa_user_sgpr_private_segment_size 0
		.amdhsa_wavefront_size32 1
		.amdhsa_uses_dynamic_stack 0
		.amdhsa_system_sgpr_private_segment_wavefront_offset 0
		.amdhsa_system_sgpr_workgroup_id_x 1
		.amdhsa_system_sgpr_workgroup_id_y 1
		.amdhsa_system_sgpr_workgroup_id_z 1
		.amdhsa_system_sgpr_workgroup_info 0
		.amdhsa_system_vgpr_workitem_id 0
		.amdhsa_next_free_vgpr 126
		.amdhsa_next_free_sgpr 42
		.amdhsa_reserve_vcc 1
		.amdhsa_reserve_flat_scratch 0
		.amdhsa_float_round_mode_32 0
		.amdhsa_float_round_mode_16_64 0
		.amdhsa_float_denorm_mode_32 3
		.amdhsa_float_denorm_mode_16_64 3
		.amdhsa_dx10_clamp 1
		.amdhsa_ieee_mode 1
		.amdhsa_fp16_overflow 0
		.amdhsa_workgroup_processor_mode 1
		.amdhsa_memory_ordered 1
		.amdhsa_forward_progress 1
		.amdhsa_shared_vgpr_count 0
		.amdhsa_exception_fp_ieee_invalid_op 0
		.amdhsa_exception_fp_denorm_src 0
		.amdhsa_exception_fp_ieee_div_zero 0
		.amdhsa_exception_fp_ieee_overflow 0
		.amdhsa_exception_fp_ieee_underflow 0
		.amdhsa_exception_fp_ieee_inexact 0
		.amdhsa_exception_int_div_zero 0
	.end_amdhsa_kernel
	.section	.text._ZN4vllm25paged_attention_v2_kernelI14__hip_bfloat16hLi96ELi16ELi128ELNS_18Fp8KVCacheDataTypeE1ELb0ELi512EEEvPfS3_PT_PKS4_PKT0_SA_ifPKiSC_iPKfiiiSE_SE_iiiii,"axG",@progbits,_ZN4vllm25paged_attention_v2_kernelI14__hip_bfloat16hLi96ELi16ELi128ELNS_18Fp8KVCacheDataTypeE1ELb0ELi512EEEvPfS3_PT_PKS4_PKT0_SA_ifPKiSC_iPKfiiiSE_SE_iiiii,comdat
.Lfunc_end363:
	.size	_ZN4vllm25paged_attention_v2_kernelI14__hip_bfloat16hLi96ELi16ELi128ELNS_18Fp8KVCacheDataTypeE1ELb0ELi512EEEvPfS3_PT_PKS4_PKT0_SA_ifPKiSC_iPKfiiiSE_SE_iiiii, .Lfunc_end363-_ZN4vllm25paged_attention_v2_kernelI14__hip_bfloat16hLi96ELi16ELi128ELNS_18Fp8KVCacheDataTypeE1ELb0ELi512EEEvPfS3_PT_PKS4_PKT0_SA_ifPKiSC_iPKfiiiSE_SE_iiiii
                                        ; -- End function
	.set _ZN4vllm25paged_attention_v2_kernelI14__hip_bfloat16hLi96ELi16ELi128ELNS_18Fp8KVCacheDataTypeE1ELb0ELi512EEEvPfS3_PT_PKS4_PKT0_SA_ifPKiSC_iPKfiiiSE_SE_iiiii.num_vgpr, 126
	.set _ZN4vllm25paged_attention_v2_kernelI14__hip_bfloat16hLi96ELi16ELi128ELNS_18Fp8KVCacheDataTypeE1ELb0ELi512EEEvPfS3_PT_PKS4_PKT0_SA_ifPKiSC_iPKfiiiSE_SE_iiiii.num_agpr, 0
	.set _ZN4vllm25paged_attention_v2_kernelI14__hip_bfloat16hLi96ELi16ELi128ELNS_18Fp8KVCacheDataTypeE1ELb0ELi512EEEvPfS3_PT_PKS4_PKT0_SA_ifPKiSC_iPKfiiiSE_SE_iiiii.numbered_sgpr, 42
	.set _ZN4vllm25paged_attention_v2_kernelI14__hip_bfloat16hLi96ELi16ELi128ELNS_18Fp8KVCacheDataTypeE1ELb0ELi512EEEvPfS3_PT_PKS4_PKT0_SA_ifPKiSC_iPKfiiiSE_SE_iiiii.num_named_barrier, 0
	.set _ZN4vllm25paged_attention_v2_kernelI14__hip_bfloat16hLi96ELi16ELi128ELNS_18Fp8KVCacheDataTypeE1ELb0ELi512EEEvPfS3_PT_PKS4_PKT0_SA_ifPKiSC_iPKfiiiSE_SE_iiiii.private_seg_size, 0
	.set _ZN4vllm25paged_attention_v2_kernelI14__hip_bfloat16hLi96ELi16ELi128ELNS_18Fp8KVCacheDataTypeE1ELb0ELi512EEEvPfS3_PT_PKS4_PKT0_SA_ifPKiSC_iPKfiiiSE_SE_iiiii.uses_vcc, 1
	.set _ZN4vllm25paged_attention_v2_kernelI14__hip_bfloat16hLi96ELi16ELi128ELNS_18Fp8KVCacheDataTypeE1ELb0ELi512EEEvPfS3_PT_PKS4_PKT0_SA_ifPKiSC_iPKfiiiSE_SE_iiiii.uses_flat_scratch, 0
	.set _ZN4vllm25paged_attention_v2_kernelI14__hip_bfloat16hLi96ELi16ELi128ELNS_18Fp8KVCacheDataTypeE1ELb0ELi512EEEvPfS3_PT_PKS4_PKT0_SA_ifPKiSC_iPKfiiiSE_SE_iiiii.has_dyn_sized_stack, 0
	.set _ZN4vllm25paged_attention_v2_kernelI14__hip_bfloat16hLi96ELi16ELi128ELNS_18Fp8KVCacheDataTypeE1ELb0ELi512EEEvPfS3_PT_PKS4_PKT0_SA_ifPKiSC_iPKfiiiSE_SE_iiiii.has_recursion, 0
	.set _ZN4vllm25paged_attention_v2_kernelI14__hip_bfloat16hLi96ELi16ELi128ELNS_18Fp8KVCacheDataTypeE1ELb0ELi512EEEvPfS3_PT_PKS4_PKT0_SA_ifPKiSC_iPKfiiiSE_SE_iiiii.has_indirect_call, 0
	.section	.AMDGPU.csdata,"",@progbits
; Kernel info:
; codeLenInByte = 30460
; TotalNumSgprs: 44
; NumVgprs: 126
; ScratchSize: 0
; MemoryBound: 0
; FloatMode: 240
; IeeeMode: 1
; LDSByteSize: 224 bytes/workgroup (compile time only)
; SGPRBlocks: 0
; VGPRBlocks: 15
; NumSGPRsForWavesPerEU: 44
; NumVGPRsForWavesPerEU: 126
; Occupancy: 8
; WaveLimiterHint : 1
; COMPUTE_PGM_RSRC2:SCRATCH_EN: 0
; COMPUTE_PGM_RSRC2:USER_SGPR: 6
; COMPUTE_PGM_RSRC2:TRAP_HANDLER: 0
; COMPUTE_PGM_RSRC2:TGID_X_EN: 1
; COMPUTE_PGM_RSRC2:TGID_Y_EN: 1
; COMPUTE_PGM_RSRC2:TGID_Z_EN: 1
; COMPUTE_PGM_RSRC2:TIDIG_COMP_CNT: 0
	.section	.text._ZN4vllm25paged_attention_v2_kernelI14__hip_bfloat16hLi112ELi16ELi128ELNS_18Fp8KVCacheDataTypeE1ELb0ELi512EEEvPfS3_PT_PKS4_PKT0_SA_ifPKiSC_iPKfiiiSE_SE_iiiii,"axG",@progbits,_ZN4vllm25paged_attention_v2_kernelI14__hip_bfloat16hLi112ELi16ELi128ELNS_18Fp8KVCacheDataTypeE1ELb0ELi512EEEvPfS3_PT_PKS4_PKT0_SA_ifPKiSC_iPKfiiiSE_SE_iiiii,comdat
	.protected	_ZN4vllm25paged_attention_v2_kernelI14__hip_bfloat16hLi112ELi16ELi128ELNS_18Fp8KVCacheDataTypeE1ELb0ELi512EEEvPfS3_PT_PKS4_PKT0_SA_ifPKiSC_iPKfiiiSE_SE_iiiii ; -- Begin function _ZN4vllm25paged_attention_v2_kernelI14__hip_bfloat16hLi112ELi16ELi128ELNS_18Fp8KVCacheDataTypeE1ELb0ELi512EEEvPfS3_PT_PKS4_PKT0_SA_ifPKiSC_iPKfiiiSE_SE_iiiii
	.globl	_ZN4vllm25paged_attention_v2_kernelI14__hip_bfloat16hLi112ELi16ELi128ELNS_18Fp8KVCacheDataTypeE1ELb0ELi512EEEvPfS3_PT_PKS4_PKT0_SA_ifPKiSC_iPKfiiiSE_SE_iiiii
	.p2align	8
	.type	_ZN4vllm25paged_attention_v2_kernelI14__hip_bfloat16hLi112ELi16ELi128ELNS_18Fp8KVCacheDataTypeE1ELb0ELi512EEEvPfS3_PT_PKS4_PKT0_SA_ifPKiSC_iPKfiiiSE_SE_iiiii,@function
_ZN4vllm25paged_attention_v2_kernelI14__hip_bfloat16hLi112ELi16ELi128ELNS_18Fp8KVCacheDataTypeE1ELb0ELi512EEEvPfS3_PT_PKS4_PKT0_SA_ifPKiSC_iPKfiiiSE_SE_iiiii: ; @_ZN4vllm25paged_attention_v2_kernelI14__hip_bfloat16hLi112ELi16ELi128ELNS_18Fp8KVCacheDataTypeE1ELb0ELi512EEEvPfS3_PT_PKS4_PKT0_SA_ifPKiSC_iPKfiiiSE_SE_iiiii
; %bb.0:
	s_mov_b64 s[46:47], s[2:3]
	s_mov_b64 s[44:45], s[0:1]
	s_load_dwordx2 s[0:1], s[4:5], 0x40
	s_add_u32 s44, s44, s9
	s_addc_u32 s45, s45, 0
	s_mov_b32 s26, s7
	s_ashr_i32 s27, s7, 31
	s_lshl_b64 s[2:3], s[26:27], 2
	s_waitcnt lgkmcnt(0)
	s_add_u32 s0, s0, s2
	s_addc_u32 s1, s1, s3
	s_lshl_b32 s33, s8, 9
	s_load_dword s27, s[0:1], 0x0
	s_waitcnt lgkmcnt(0)
	s_cmp_ge_i32 s33, s27
	s_cbranch_scc1 .LBB364_942
; %bb.1:
	s_clause 0x1
	s_load_dword s9, s[4:5], 0x90
	s_load_dwordx2 s[36:37], s[4:5], 0x30
	v_mov_b32_e32 v17, v0
	s_waitcnt lgkmcnt(0)
	s_abs_i32 s3, s9
	s_abs_i32 s0, s36
	v_cvt_f32_u32_e32 v0, s0
	s_sub_i32 s2, 0, s0
	v_rcp_iflag_f32_e32 v0, v0
	v_mul_f32_e32 v0, 0x4f7ffffe, v0
	v_cvt_u32_f32_e32 v0, v0
	v_readfirstlane_b32 s1, v0
	s_mul_i32 s2, s2, s1
	s_mul_hi_u32 s2, s1, s2
	s_add_i32 s1, s1, s2
	s_xor_b32 s2, s9, s36
	s_mul_hi_u32 s1, s3, s1
	s_ashr_i32 s2, s2, 31
	s_mul_i32 s7, s1, s0
	s_mov_b32 s36, 0
	s_sub_i32 s3, s3, s7
	s_add_i32 s7, s1, 1
	s_sub_i32 s10, s3, s0
	s_cmp_ge_u32 s3, s0
	s_cselect_b32 s1, s7, s1
	s_cselect_b32 s3, s10, s3
	s_add_i32 s7, s1, 1
	s_cmp_ge_u32 s3, s0
	s_cselect_b32 s0, s7, s1
	s_abs_i32 s16, s6
	s_xor_b32 s0, s0, s2
	s_sub_i32 s10, s0, s2
	s_load_dwordx2 s[0:1], s[4:5], 0x50
	s_abs_i32 s2, s10
	v_cvt_f32_u32_e32 v0, s2
	s_sub_i32 s7, 0, s2
	v_rcp_iflag_f32_e32 v0, v0
	v_mul_f32_e32 v0, 0x4f7ffffe, v0
	v_cvt_u32_f32_e32 v0, v0
	v_readfirstlane_b32 s3, v0
	s_mul_i32 s7, s7, s3
	s_mul_hi_u32 s7, s3, s7
	s_add_i32 s3, s3, s7
	s_waitcnt lgkmcnt(0)
	s_cmp_eq_u64 s[0:1], 0
	s_mul_hi_u32 s3, s16, s3
	s_cbranch_scc1 .LBB364_3
; %bb.2:
	s_ashr_i32 s7, s6, 31
	s_lshl_b64 s[12:13], s[6:7], 2
	s_add_u32 s0, s0, s12
	s_addc_u32 s1, s1, s13
	s_load_dword s36, s[0:1], 0x0
.LBB364_3:
	s_load_dwordx4 s[12:15], s[4:5], 0x58
	v_lshrrev_b32_e32 v3, 1, v17
	v_and_b32_e32 v22, 1, v17
	v_lshlrev_b32_e32 v14, 3, v17
	s_ashr_i32 s0, s6, 31
	s_ashr_i32 s1, s10, 31
	s_mul_i32 s10, s6, 0x70
	s_mov_b32 s7, exec_lo
	v_cmpx_gt_u32_e32 28, v17
	s_cbranch_execz .LBB364_5
; %bb.4:
	s_load_dwordx2 s[18:19], s[4:5], 0x18
	s_waitcnt lgkmcnt(0)
	s_mul_i32 s20, s12, s26
	v_lshlrev_b32_e32 v2, 3, v3
	s_ashr_i32 s21, s20, 31
	s_lshl_b64 s[20:21], s[20:21], 1
	v_mad_u32_u24 v2, 0x70, v22, v2
	s_add_u32 s12, s18, s20
	s_addc_u32 s15, s19, s21
	s_ashr_i32 s11, s10, 31
	s_lshl_b64 s[18:19], s[10:11], 1
	s_add_u32 s18, s12, s18
	s_addc_u32 s19, s15, s19
	global_load_dwordx2 v[0:1], v14, s[18:19]
	s_waitcnt vmcnt(0)
	ds_write_b64 v2, v[0:1]
.LBB364_5:
	s_or_b32 exec_lo, exec_lo, s7
	s_add_i32 s7, s27, 15
	s_clause 0x1
	s_load_dwordx2 s[28:29], s[4:5], 0x38
	s_load_dword s17, s[4:5], 0x48
	s_ashr_i32 s11, s7, 31
	s_waitcnt lgkmcnt(0)
	s_lshl_b32 s15, s8, 5
	s_lshr_b32 s11, s11, 28
	s_xor_b32 s0, s0, s1
	s_add_i32 s7, s7, s11
	s_add_i32 s1, s15, 32
	s_ashr_i32 s12, s7, 4
	s_mul_i32 s7, s3, s2
	s_min_i32 s11, s1, s12
	s_sub_i32 s1, s16, s7
	s_add_i32 s7, s3, 1
	s_sub_i32 s16, s1, s2
	s_cmp_ge_u32 s1, s2
	v_lshrrev_b32_e32 v15, 5, v17
	s_cselect_b32 s3, s7, s3
	s_cselect_b32 s1, s16, s1
	s_add_i32 s7, s3, 1
	s_cmp_ge_u32 s1, s2
	v_or_b32_e32 v9, s15, v15
	s_cselect_b32 s1, s7, s3
	v_mbcnt_lo_u32_b32 v16, -1, 0
	s_xor_b32 s1, s1, s0
	s_mul_i32 s30, s17, s26
	s_sub_i32 s1, s1, s0
	v_cmp_gt_i32_e64 s0, s11, v9
	s_ashr_i32 s31, s30, 31
	s_mov_b32 s2, exec_lo
	s_barrier
	buffer_gl0_inv
                                        ; implicit-def: $vgpr2
                                        ; implicit-def: $vgpr12
	v_cmpx_le_i32_e64 s11, v9
	s_xor_b32 s2, exec_lo, s2
; %bb.6:
	v_mov_b32_e32 v2, 0
	v_mbcnt_lo_u32_b32 v16, -1, 0
	v_mov_b32_e32 v12, 32
; %bb.7:
	s_or_saveexec_b32 s38, s2
	buffer_store_dword v3, off, s[44:47], 0 offset:20 ; 4-byte Folded Spill
	s_clause 0x4
	s_load_dwordx4 s[20:23], s[4:5], 0x0
	s_load_dwordx2 s[24:25], s[4:5], 0x10
	s_load_dword s7, s[4:5], 0x98
	s_load_dwordx2 s[34:35], s[4:5], 0x28
	s_load_dwordx4 s[16:19], s[4:5], 0x68
	v_mov_b32_e32 v73, 0xff7fffff
	v_ashrrev_i32_e32 v10, 31, v9
	s_mul_i32 s14, s1, s14
	s_xor_b32 exec_lo, exec_lo, s38
	s_cbranch_execz .LBB364_461
; %bb.8:
	v_mul_u32_u24_e32 v8, 0x70, v22
	buffer_store_dword v14, off, s[44:47], 0 offset:36 ; 4-byte Folded Spill
	s_load_dwordx2 s[2:3], s[4:5], 0x20
	s_ashr_i32 s1, s14, 31
	v_mov_b32_e32 v73, 0xff7fffff
	ds_read_b128 v[0:3], v8
	ds_read_b128 v[4:7], v8 offset:16
	ds_read_b128 v[11:14], v8 offset:32
	;; [unrolled: 1-line block ×4, first 2 shown]
	v_mov_b32_e32 v77, 0x80
	v_mov_b32_e32 v78, 0xffff
	;; [unrolled: 1-line block ×6, first 2 shown]
	buffer_store_dword v17, off, s[44:47], 0 offset:24 ; 4-byte Folded Spill
	buffer_store_dword v16, off, s[44:47], 0 offset:40 ; 4-byte Folded Spill
	;; [unrolled: 1-line block ×4, first 2 shown]
	s_waitcnt lgkmcnt(0)
	v_lshlrev_b32_e32 v18, 16, v0
	v_and_b32_e32 v0, 0xffff0000, v0
	v_lshlrev_b32_e32 v19, 16, v3
	v_and_b32_e32 v20, 0xffff0000, v3
	v_lshlrev_b32_e32 v21, 16, v4
	buffer_store_dword v18, off, s[44:47], 0 ; 4-byte Folded Spill
	buffer_store_dword v0, off, s[44:47], 0 offset:4 ; 4-byte Folded Spill
	v_lshlrev_b32_e32 v0, 16, v1
	v_and_b32_e32 v18, 0xffff0000, v2
	v_and_b32_e32 v25, 0xffff0000, v4
	v_lshlrev_b32_e32 v26, 16, v5
	v_and_b32_e32 v27, 0xffff0000, v5
	buffer_store_dword v0, off, s[44:47], 0 offset:8 ; 4-byte Folded Spill
	v_and_b32_e32 v0, 0xffff0000, v1
	v_lshlrev_b32_e32 v28, 16, v6
	v_and_b32_e32 v29, 0xffff0000, v6
	v_lshlrev_b32_e32 v30, 16, v7
	v_and_b32_e32 v31, 0xffff0000, v7
	buffer_store_dword v0, off, s[44:47], 0 offset:12 ; 4-byte Folded Spill
	v_lshlrev_b32_e32 v0, 16, v2
	ds_read_b128 v[4:7], v8 offset:96
	s_add_u32 s5, s2, s14
	s_addc_u32 s1, s3, s1
	s_lshl_b64 s[2:3], s[30:31], 2
	buffer_store_dword v0, off, s[44:47], 0 offset:16 ; 4-byte Folded Spill
	ds_read_b128 v[0:3], v8 offset:80
	s_sub_i32 s4, 1, s27
	s_add_u32 s2, s28, s2
	s_addc_u32 s3, s29, s3
	v_lshlrev_b32_e32 v32, 16, v11
	v_and_b32_e32 v33, 0xffff0000, v11
	v_lshlrev_b32_e32 v34, 16, v12
	v_and_b32_e32 v36, 0xffff0000, v12
	v_lshlrev_b32_e32 v37, 16, v13
	v_and_b32_e32 v38, 0xffff0000, v13
	v_lshlrev_b32_e32 v39, 16, v14
	v_and_b32_e32 v40, 0xffff0000, v14
	v_lshlrev_b32_e32 v41, 16, v45
	v_and_b32_e32 v42, 0xffff0000, v45
	v_lshlrev_b32_e32 v43, 16, v46
	s_waitcnt lgkmcnt(1)
	v_lshlrev_b32_e32 v67, 16, v5
	v_and_b32_e32 v68, 0xffff0000, v5
	v_lshlrev_b32_e32 v65, 16, v4
	v_and_b32_e32 v66, 0xffff0000, v4
	v_lshlrev_b32_e32 v69, 16, v6
	s_waitcnt lgkmcnt(0)
	v_lshlrev_b32_e32 v61, 16, v2
	v_and_b32_e32 v62, 0xffff0000, v2
	v_bfe_u32 v2, v17, 1, 4
	v_lshlrev_b32_e32 v57, 16, v0
	v_and_b32_e32 v58, 0xffff0000, v0
	v_lshlrev_b32_e32 v59, 16, v1
	v_and_b32_e32 v60, 0xffff0000, v1
	v_lshlrev_b64 v[0:1], 2, v[9:10]
	v_lshlrev_b32_e32 v5, 4, v2
	v_lshlrev_b32_e32 v63, 16, v3
	v_and_b32_e32 v64, 0xffff0000, v3
	v_lshlrev_b32_e32 v8, 2, v2
	v_and_b32_e32 v70, 0xffff0000, v6
	v_add_co_u32 v3, vcc_lo, s2, v0
	v_add_co_ci_u32_e64 v4, null, s3, v1, vcc_lo
	v_xor_b32_e32 v1, 1, v16
	v_add_co_u32 v5, s2, s5, v5
	s_load_dword s5, s[16:17], 0x0
	v_lshlrev_b32_e32 v0, 2, v22
	v_cmp_gt_i32_e32 vcc_lo, 32, v1
	v_lshlrev_b32_e32 v71, 16, v7
	v_and_b32_e32 v72, 0xffff0000, v7
	v_add_co_ci_u32_e64 v6, null, s1, 0, s2
	v_lshlrev_b32_e32 v7, 4, v15
	v_cndmask_b32_e32 v1, v16, v1, vcc_lo
	v_add_co_u32 v5, vcc_lo, v5, v0
	v_lshl_or_b32 v0, v15, 6, v8
	v_and_b32_e32 v44, 0xffff0000, v46
	v_lshlrev_b32_e32 v45, 16, v47
	v_and_b32_e32 v46, 0xffff0000, v47
	v_lshlrev_b32_e32 v47, 16, v48
	;; [unrolled: 2-line block ×6, first 2 shown]
	v_and_b32_e32 v56, 0xffff0000, v56
	v_add_co_ci_u32_e64 v6, null, 0, v6, vcc_lo
	v_add3_u32 v74, s33, v7, v2
	v_lshlrev_b32_e32 v75, 2, v1
	v_cmp_neq_f32_e64 s1, s36, 0
	v_add_nc_u32_e32 v76, 0x100, v0
	v_mov_b32_e32 v2, 0
	s_mov_b32 s17, s13
	s_mov_b32 s16, 0
	v_cmp_eq_u32_e32 vcc_lo, 0, v22
	s_branch .LBB364_10
.LBB364_9:                              ;   in Loop: Header=BB364_10 Depth=1
	s_or_b32 exec_lo, exec_lo, s3
	v_add_nc_u32_e32 v82, 4, v82
	v_add_co_u32 v3, s3, v3, 16
	v_add_nc_u32_e32 v74, 64, v74
	v_add_nc_u32_e32 v76, 0x100, v76
	v_cmp_le_i32_e64 s2, s11, v82
	v_add_co_ci_u32_e64 v4, null, 0, v4, s3
	s_or_b32 s16, s2, s16
	s_andn2_b32 exec_lo, exec_lo, s16
	s_cbranch_execz .LBB364_460
.LBB364_10:                             ; =>This Inner Loop Header: Depth=1
	global_load_dword v0, v[3:4], off
	v_mov_b32_e32 v83, 0
	s_waitcnt vmcnt(0)
	v_mad_i64_i32 v[7:8], null, v0, s17, v[5:6]
	global_load_dword v0, v[7:8], off
	s_waitcnt vmcnt(0)
	v_cmp_ne_u16_sdwa s2, v0, v2 src0_sel:BYTE_0 src1_sel:DWORD
	s_and_saveexec_b32 s3, s2
	s_cbranch_execz .LBB364_18
; %bb.11:                               ;   in Loop: Header=BB364_10 Depth=1
	v_cmp_ne_u16_sdwa s2, v0, v77 src0_sel:BYTE_0 src1_sel:DWORD
	v_bfrev_b32_e32 v83, 1
	s_and_saveexec_b32 s39, s2
	s_cbranch_execz .LBB364_17
; %bb.12:                               ;   in Loop: Header=BB364_10 Depth=1
	v_and_b32_e32 v12, 0x7f, v0
	v_mov_b32_e32 v83, 0x7f800001
	s_mov_b32 s40, exec_lo
	v_cmpx_ne_u32_e32 0x7f, v12
	s_cbranch_execz .LBB364_16
; %bb.13:                               ;   in Loop: Header=BB364_10 Depth=1
	s_waitcnt lgkmcnt(0)
	v_and_b32_e32 v1, 7, v0
	v_lshrrev_b32_e32 v11, 3, v12
	s_mov_b32 s41, exec_lo
	v_cmpx_gt_u32_e32 8, v12
; %bb.14:                               ;   in Loop: Header=BB364_10 Depth=1
	v_ffbh_u32_e32 v11, v1
	v_min_u32_e32 v11, 32, v11
	v_subrev_nc_u32_e32 v12, 28, v11
	v_sub_nc_u32_e32 v11, 29, v11
	v_lshlrev_b64 v[12:13], v12, v[1:2]
	v_and_b32_e32 v1, 7, v12
; %bb.15:                               ;   in Loop: Header=BB364_10 Depth=1
	s_or_b32 exec_lo, exec_lo, s41
	v_lshlrev_b32_e32 v12, 24, v0
	v_lshlrev_b32_e32 v1, 20, v1
	v_lshl_add_u32 v11, v11, 23, 0x3c000000
	v_and_b32_e32 v12, 0x80000000, v12
	v_or3_b32 v83, v1, v12, v11
.LBB364_16:                             ;   in Loop: Header=BB364_10 Depth=1
	s_or_b32 exec_lo, exec_lo, s40
.LBB364_17:                             ;   in Loop: Header=BB364_10 Depth=1
	s_or_b32 exec_lo, exec_lo, s39
.LBB364_18:                             ;   in Loop: Header=BB364_10 Depth=1
	s_or_b32 exec_lo, exec_lo, s3
	v_cmp_ne_u16_sdwa s2, v0, v2 src0_sel:BYTE_1 src1_sel:DWORD
	v_mov_b32_e32 v84, 0
	s_and_saveexec_b32 s3, s2
	s_cbranch_execz .LBB364_26
; %bb.19:                               ;   in Loop: Header=BB364_10 Depth=1
	v_cmp_ne_u16_sdwa s2, v0, v77 src0_sel:BYTE_1 src1_sel:DWORD
	v_bfrev_b32_e32 v84, 1
	s_and_saveexec_b32 s39, s2
	s_cbranch_execz .LBB364_25
; %bb.20:                               ;   in Loop: Header=BB364_10 Depth=1
	s_waitcnt lgkmcnt(0)
	v_and_b32_sdwa v1, v78, v0 dst_sel:DWORD dst_unused:UNUSED_PAD src0_sel:DWORD src1_sel:BYTE_1
	v_mov_b32_e32 v84, 0x7f800001
	s_mov_b32 s40, exec_lo
	v_and_b32_e32 v12, 0x7f, v1
	v_cmpx_ne_u32_e32 0x7f, v12
	s_cbranch_execz .LBB364_24
; %bb.21:                               ;   in Loop: Header=BB364_10 Depth=1
	v_and_b32_e32 v1, 7, v1
	v_lshrrev_b32_e32 v11, 3, v12
	s_mov_b32 s41, exec_lo
	v_cmpx_gt_u32_e32 8, v12
; %bb.22:                               ;   in Loop: Header=BB364_10 Depth=1
	v_ffbh_u32_e32 v11, v1
	v_min_u32_e32 v11, 32, v11
	v_subrev_nc_u32_e32 v12, 28, v11
	v_sub_nc_u32_e32 v11, 29, v11
	v_lshlrev_b64 v[12:13], v12, v[1:2]
	v_and_b32_e32 v1, 7, v12
; %bb.23:                               ;   in Loop: Header=BB364_10 Depth=1
	s_or_b32 exec_lo, exec_lo, s41
	v_lshlrev_b32_e32 v12, 16, v0
	v_lshlrev_b32_e32 v1, 20, v1
	v_lshl_add_u32 v11, v11, 23, 0x3c000000
	v_and_b32_e32 v12, 0x80000000, v12
	v_or3_b32 v84, v1, v12, v11
.LBB364_24:                             ;   in Loop: Header=BB364_10 Depth=1
	s_or_b32 exec_lo, exec_lo, s40
.LBB364_25:                             ;   in Loop: Header=BB364_10 Depth=1
	s_or_b32 exec_lo, exec_lo, s39
.LBB364_26:                             ;   in Loop: Header=BB364_10 Depth=1
	s_or_b32 exec_lo, exec_lo, s3
	s_waitcnt lgkmcnt(0)
	v_and_b32_sdwa v1, v0, v79 dst_sel:DWORD dst_unused:UNUSED_PAD src0_sel:WORD_1 src1_sel:DWORD
	v_mov_b32_e32 v85, 0
	v_mov_b32_e32 v86, 0
	s_mov_b32 s3, exec_lo
	v_cmpx_ne_u16_e32 0, v1
	s_cbranch_execz .LBB364_34
; %bb.27:                               ;   in Loop: Header=BB364_10 Depth=1
	v_bfrev_b32_e32 v86, 1
	s_mov_b32 s39, exec_lo
	v_cmpx_ne_u16_e32 0x80, v1
	s_cbranch_execz .LBB364_33
; %bb.28:                               ;   in Loop: Header=BB364_10 Depth=1
	v_bfe_u32 v12, v0, 16, 7
	v_mov_b32_e32 v86, 0x7f800001
	s_mov_b32 s40, exec_lo
	v_cmpx_ne_u32_e32 0x7f, v12
	s_cbranch_execz .LBB364_32
; %bb.29:                               ;   in Loop: Header=BB364_10 Depth=1
	v_and_b32_sdwa v1, v0, v80 dst_sel:DWORD dst_unused:UNUSED_PAD src0_sel:WORD_1 src1_sel:DWORD
	v_lshrrev_b32_e32 v11, 3, v12
	s_mov_b32 s41, exec_lo
	v_cmpx_gt_u32_e32 8, v12
; %bb.30:                               ;   in Loop: Header=BB364_10 Depth=1
	v_ffbh_u32_e32 v11, v1
	v_min_u32_e32 v11, 32, v11
	v_subrev_nc_u32_e32 v12, 28, v11
	v_sub_nc_u32_e32 v11, 29, v11
	v_lshlrev_b64 v[12:13], v12, v[1:2]
	v_and_b32_e32 v1, 7, v12
; %bb.31:                               ;   in Loop: Header=BB364_10 Depth=1
	s_or_b32 exec_lo, exec_lo, s41
	v_lshlrev_b32_sdwa v12, v81, v0 dst_sel:DWORD dst_unused:UNUSED_PAD src0_sel:DWORD src1_sel:WORD_1
	v_lshlrev_b32_e32 v1, 20, v1
	v_lshl_add_u32 v11, v11, 23, 0x3c000000
	v_and_b32_e32 v12, 0x80000000, v12
	v_or3_b32 v86, v1, v12, v11
.LBB364_32:                             ;   in Loop: Header=BB364_10 Depth=1
	s_or_b32 exec_lo, exec_lo, s40
.LBB364_33:                             ;   in Loop: Header=BB364_10 Depth=1
	s_or_b32 exec_lo, exec_lo, s39
.LBB364_34:                             ;   in Loop: Header=BB364_10 Depth=1
	s_or_b32 exec_lo, exec_lo, s3
	s_mov_b32 s3, exec_lo
	v_cmpx_lt_u32_e32 0xffffff, v0
	s_cbranch_execz .LBB364_42
; %bb.35:                               ;   in Loop: Header=BB364_10 Depth=1
	v_cmp_ne_u32_sdwa s2, v0, v77 src0_sel:BYTE_3 src1_sel:DWORD
	v_bfrev_b32_e32 v85, 1
	s_and_saveexec_b32 s39, s2
	s_cbranch_execz .LBB364_41
; %bb.36:                               ;   in Loop: Header=BB364_10 Depth=1
	v_bfe_u32 v12, v0, 24, 7
	v_mov_b32_e32 v85, 0x7f800001
	s_mov_b32 s40, exec_lo
	v_cmpx_ne_u32_e32 0x7f, v12
	s_cbranch_execz .LBB364_40
; %bb.37:                               ;   in Loop: Header=BB364_10 Depth=1
	v_and_b32_sdwa v1, v0, v80 dst_sel:DWORD dst_unused:UNUSED_PAD src0_sel:BYTE_3 src1_sel:DWORD
	v_lshrrev_b32_e32 v11, 3, v12
	s_mov_b32 s41, exec_lo
	v_cmpx_gt_u32_e32 8, v12
; %bb.38:                               ;   in Loop: Header=BB364_10 Depth=1
	v_ffbh_u32_e32 v11, v1
	v_min_u32_e32 v11, 32, v11
	v_subrev_nc_u32_e32 v12, 28, v11
	v_sub_nc_u32_e32 v11, 29, v11
	v_lshlrev_b64 v[12:13], v12, v[1:2]
	v_and_b32_e32 v1, 7, v12
; %bb.39:                               ;   in Loop: Header=BB364_10 Depth=1
	s_or_b32 exec_lo, exec_lo, s41
	v_lshlrev_b32_sdwa v0, v81, v0 dst_sel:DWORD dst_unused:UNUSED_PAD src0_sel:DWORD src1_sel:BYTE_3
	v_lshlrev_b32_e32 v1, 20, v1
	v_lshl_add_u32 v11, v11, 23, 0x3c000000
	v_and_b32_e32 v0, 0x80000000, v0
	v_or3_b32 v85, v1, v0, v11
.LBB364_40:                             ;   in Loop: Header=BB364_10 Depth=1
	s_or_b32 exec_lo, exec_lo, s40
.LBB364_41:                             ;   in Loop: Header=BB364_10 Depth=1
	s_or_b32 exec_lo, exec_lo, s39
.LBB364_42:                             ;   in Loop: Header=BB364_10 Depth=1
	s_or_b32 exec_lo, exec_lo, s3
	global_load_dword v0, v[7:8], off offset:8
	v_mov_b32_e32 v88, 0
	v_mov_b32_e32 v87, 0
	s_waitcnt vmcnt(0)
	v_cmp_ne_u16_sdwa s2, v0, v2 src0_sel:BYTE_0 src1_sel:DWORD
	s_and_saveexec_b32 s3, s2
	s_cbranch_execz .LBB364_50
; %bb.43:                               ;   in Loop: Header=BB364_10 Depth=1
	v_cmp_ne_u16_sdwa s2, v0, v77 src0_sel:BYTE_0 src1_sel:DWORD
	v_bfrev_b32_e32 v87, 1
	s_and_saveexec_b32 s39, s2
	s_cbranch_execz .LBB364_49
; %bb.44:                               ;   in Loop: Header=BB364_10 Depth=1
	v_and_b32_e32 v12, 0x7f, v0
	v_mov_b32_e32 v87, 0x7f800001
	s_mov_b32 s40, exec_lo
	v_cmpx_ne_u32_e32 0x7f, v12
	s_cbranch_execz .LBB364_48
; %bb.45:                               ;   in Loop: Header=BB364_10 Depth=1
	v_and_b32_e32 v1, 7, v0
	v_lshrrev_b32_e32 v11, 3, v12
	s_mov_b32 s41, exec_lo
	v_cmpx_gt_u32_e32 8, v12
; %bb.46:                               ;   in Loop: Header=BB364_10 Depth=1
	v_ffbh_u32_e32 v11, v1
	v_min_u32_e32 v11, 32, v11
	v_subrev_nc_u32_e32 v12, 28, v11
	v_sub_nc_u32_e32 v11, 29, v11
	v_lshlrev_b64 v[12:13], v12, v[1:2]
	v_and_b32_e32 v1, 7, v12
; %bb.47:                               ;   in Loop: Header=BB364_10 Depth=1
	s_or_b32 exec_lo, exec_lo, s41
	v_lshlrev_b32_e32 v12, 24, v0
	v_lshlrev_b32_e32 v1, 20, v1
	v_lshl_add_u32 v11, v11, 23, 0x3c000000
	v_and_b32_e32 v12, 0x80000000, v12
	v_or3_b32 v87, v1, v12, v11
.LBB364_48:                             ;   in Loop: Header=BB364_10 Depth=1
	s_or_b32 exec_lo, exec_lo, s40
.LBB364_49:                             ;   in Loop: Header=BB364_10 Depth=1
	s_or_b32 exec_lo, exec_lo, s39
.LBB364_50:                             ;   in Loop: Header=BB364_10 Depth=1
	s_or_b32 exec_lo, exec_lo, s3
	v_cmp_ne_u16_sdwa s2, v0, v2 src0_sel:BYTE_1 src1_sel:DWORD
	s_and_saveexec_b32 s3, s2
	s_cbranch_execz .LBB364_58
; %bb.51:                               ;   in Loop: Header=BB364_10 Depth=1
	v_cmp_ne_u16_sdwa s2, v0, v77 src0_sel:BYTE_1 src1_sel:DWORD
	v_bfrev_b32_e32 v88, 1
	s_and_saveexec_b32 s39, s2
	s_cbranch_execz .LBB364_57
; %bb.52:                               ;   in Loop: Header=BB364_10 Depth=1
	v_and_b32_sdwa v1, v78, v0 dst_sel:DWORD dst_unused:UNUSED_PAD src0_sel:DWORD src1_sel:BYTE_1
	v_mov_b32_e32 v88, 0x7f800001
	s_mov_b32 s40, exec_lo
	v_and_b32_e32 v12, 0x7f, v1
	v_cmpx_ne_u32_e32 0x7f, v12
	s_cbranch_execz .LBB364_56
; %bb.53:                               ;   in Loop: Header=BB364_10 Depth=1
	v_and_b32_e32 v1, 7, v1
	v_lshrrev_b32_e32 v11, 3, v12
	s_mov_b32 s41, exec_lo
	v_cmpx_gt_u32_e32 8, v12
; %bb.54:                               ;   in Loop: Header=BB364_10 Depth=1
	v_ffbh_u32_e32 v11, v1
	v_min_u32_e32 v11, 32, v11
	v_subrev_nc_u32_e32 v12, 28, v11
	v_sub_nc_u32_e32 v11, 29, v11
	v_lshlrev_b64 v[12:13], v12, v[1:2]
	v_and_b32_e32 v1, 7, v12
; %bb.55:                               ;   in Loop: Header=BB364_10 Depth=1
	s_or_b32 exec_lo, exec_lo, s41
	v_lshlrev_b32_e32 v12, 16, v0
	v_lshlrev_b32_e32 v1, 20, v1
	v_lshl_add_u32 v11, v11, 23, 0x3c000000
	v_and_b32_e32 v12, 0x80000000, v12
	v_or3_b32 v88, v1, v12, v11
.LBB364_56:                             ;   in Loop: Header=BB364_10 Depth=1
	s_or_b32 exec_lo, exec_lo, s40
.LBB364_57:                             ;   in Loop: Header=BB364_10 Depth=1
	s_or_b32 exec_lo, exec_lo, s39
.LBB364_58:                             ;   in Loop: Header=BB364_10 Depth=1
	s_or_b32 exec_lo, exec_lo, s3
	v_and_b32_sdwa v1, v0, v79 dst_sel:DWORD dst_unused:UNUSED_PAD src0_sel:WORD_1 src1_sel:DWORD
	v_mov_b32_e32 v89, 0
	v_mov_b32_e32 v90, 0
	s_mov_b32 s3, exec_lo
	v_cmpx_ne_u16_e32 0, v1
	s_cbranch_execz .LBB364_66
; %bb.59:                               ;   in Loop: Header=BB364_10 Depth=1
	v_bfrev_b32_e32 v90, 1
	s_mov_b32 s39, exec_lo
	v_cmpx_ne_u16_e32 0x80, v1
	s_cbranch_execz .LBB364_65
; %bb.60:                               ;   in Loop: Header=BB364_10 Depth=1
	v_bfe_u32 v12, v0, 16, 7
	v_mov_b32_e32 v90, 0x7f800001
	s_mov_b32 s40, exec_lo
	v_cmpx_ne_u32_e32 0x7f, v12
	s_cbranch_execz .LBB364_64
; %bb.61:                               ;   in Loop: Header=BB364_10 Depth=1
	v_and_b32_sdwa v1, v0, v80 dst_sel:DWORD dst_unused:UNUSED_PAD src0_sel:WORD_1 src1_sel:DWORD
	v_lshrrev_b32_e32 v11, 3, v12
	s_mov_b32 s41, exec_lo
	v_cmpx_gt_u32_e32 8, v12
; %bb.62:                               ;   in Loop: Header=BB364_10 Depth=1
	v_ffbh_u32_e32 v11, v1
	v_min_u32_e32 v11, 32, v11
	v_subrev_nc_u32_e32 v12, 28, v11
	v_sub_nc_u32_e32 v11, 29, v11
	v_lshlrev_b64 v[12:13], v12, v[1:2]
	v_and_b32_e32 v1, 7, v12
; %bb.63:                               ;   in Loop: Header=BB364_10 Depth=1
	s_or_b32 exec_lo, exec_lo, s41
	v_lshlrev_b32_sdwa v12, v81, v0 dst_sel:DWORD dst_unused:UNUSED_PAD src0_sel:DWORD src1_sel:WORD_1
	v_lshlrev_b32_e32 v1, 20, v1
	v_lshl_add_u32 v11, v11, 23, 0x3c000000
	v_and_b32_e32 v12, 0x80000000, v12
	v_or3_b32 v90, v1, v12, v11
.LBB364_64:                             ;   in Loop: Header=BB364_10 Depth=1
	s_or_b32 exec_lo, exec_lo, s40
.LBB364_65:                             ;   in Loop: Header=BB364_10 Depth=1
	s_or_b32 exec_lo, exec_lo, s39
.LBB364_66:                             ;   in Loop: Header=BB364_10 Depth=1
	s_or_b32 exec_lo, exec_lo, s3
	s_mov_b32 s3, exec_lo
	v_cmpx_lt_u32_e32 0xffffff, v0
	s_cbranch_execz .LBB364_74
; %bb.67:                               ;   in Loop: Header=BB364_10 Depth=1
	v_cmp_ne_u32_sdwa s2, v0, v77 src0_sel:BYTE_3 src1_sel:DWORD
	v_bfrev_b32_e32 v89, 1
	s_and_saveexec_b32 s39, s2
	s_cbranch_execz .LBB364_73
; %bb.68:                               ;   in Loop: Header=BB364_10 Depth=1
	v_bfe_u32 v12, v0, 24, 7
	v_mov_b32_e32 v89, 0x7f800001
	s_mov_b32 s40, exec_lo
	v_cmpx_ne_u32_e32 0x7f, v12
	s_cbranch_execz .LBB364_72
; %bb.69:                               ;   in Loop: Header=BB364_10 Depth=1
	v_and_b32_sdwa v1, v0, v80 dst_sel:DWORD dst_unused:UNUSED_PAD src0_sel:BYTE_3 src1_sel:DWORD
	v_lshrrev_b32_e32 v11, 3, v12
	s_mov_b32 s41, exec_lo
	v_cmpx_gt_u32_e32 8, v12
; %bb.70:                               ;   in Loop: Header=BB364_10 Depth=1
	v_ffbh_u32_e32 v11, v1
	v_min_u32_e32 v11, 32, v11
	v_subrev_nc_u32_e32 v12, 28, v11
	v_sub_nc_u32_e32 v11, 29, v11
	v_lshlrev_b64 v[12:13], v12, v[1:2]
	v_and_b32_e32 v1, 7, v12
; %bb.71:                               ;   in Loop: Header=BB364_10 Depth=1
	s_or_b32 exec_lo, exec_lo, s41
	v_lshlrev_b32_sdwa v0, v81, v0 dst_sel:DWORD dst_unused:UNUSED_PAD src0_sel:DWORD src1_sel:BYTE_3
	v_lshlrev_b32_e32 v1, 20, v1
	v_lshl_add_u32 v11, v11, 23, 0x3c000000
	v_and_b32_e32 v0, 0x80000000, v0
	v_or3_b32 v89, v1, v0, v11
.LBB364_72:                             ;   in Loop: Header=BB364_10 Depth=1
	s_or_b32 exec_lo, exec_lo, s40
.LBB364_73:                             ;   in Loop: Header=BB364_10 Depth=1
	s_or_b32 exec_lo, exec_lo, s39
.LBB364_74:                             ;   in Loop: Header=BB364_10 Depth=1
	s_or_b32 exec_lo, exec_lo, s3
	global_load_dword v0, v[7:8], off offset:256
	v_mov_b32_e32 v92, 0
	v_mov_b32_e32 v91, 0
	s_waitcnt vmcnt(0)
	v_cmp_ne_u16_sdwa s2, v0, v2 src0_sel:BYTE_0 src1_sel:DWORD
	s_and_saveexec_b32 s3, s2
	s_cbranch_execz .LBB364_82
; %bb.75:                               ;   in Loop: Header=BB364_10 Depth=1
	v_cmp_ne_u16_sdwa s2, v0, v77 src0_sel:BYTE_0 src1_sel:DWORD
	v_bfrev_b32_e32 v91, 1
	s_and_saveexec_b32 s39, s2
	s_cbranch_execz .LBB364_81
; %bb.76:                               ;   in Loop: Header=BB364_10 Depth=1
	v_and_b32_e32 v12, 0x7f, v0
	v_mov_b32_e32 v91, 0x7f800001
	s_mov_b32 s40, exec_lo
	v_cmpx_ne_u32_e32 0x7f, v12
	s_cbranch_execz .LBB364_80
; %bb.77:                               ;   in Loop: Header=BB364_10 Depth=1
	v_and_b32_e32 v1, 7, v0
	v_lshrrev_b32_e32 v11, 3, v12
	s_mov_b32 s41, exec_lo
	v_cmpx_gt_u32_e32 8, v12
; %bb.78:                               ;   in Loop: Header=BB364_10 Depth=1
	v_ffbh_u32_e32 v11, v1
	v_min_u32_e32 v11, 32, v11
	v_subrev_nc_u32_e32 v12, 28, v11
	v_sub_nc_u32_e32 v11, 29, v11
	v_lshlrev_b64 v[12:13], v12, v[1:2]
	v_and_b32_e32 v1, 7, v12
; %bb.79:                               ;   in Loop: Header=BB364_10 Depth=1
	s_or_b32 exec_lo, exec_lo, s41
	v_lshlrev_b32_e32 v12, 24, v0
	v_lshlrev_b32_e32 v1, 20, v1
	v_lshl_add_u32 v11, v11, 23, 0x3c000000
	v_and_b32_e32 v12, 0x80000000, v12
	v_or3_b32 v91, v1, v12, v11
.LBB364_80:                             ;   in Loop: Header=BB364_10 Depth=1
	s_or_b32 exec_lo, exec_lo, s40
.LBB364_81:                             ;   in Loop: Header=BB364_10 Depth=1
	s_or_b32 exec_lo, exec_lo, s39
.LBB364_82:                             ;   in Loop: Header=BB364_10 Depth=1
	s_or_b32 exec_lo, exec_lo, s3
	v_cmp_ne_u16_sdwa s2, v0, v2 src0_sel:BYTE_1 src1_sel:DWORD
	s_and_saveexec_b32 s3, s2
	s_cbranch_execz .LBB364_90
; %bb.83:                               ;   in Loop: Header=BB364_10 Depth=1
	v_cmp_ne_u16_sdwa s2, v0, v77 src0_sel:BYTE_1 src1_sel:DWORD
	v_bfrev_b32_e32 v92, 1
	s_and_saveexec_b32 s39, s2
	s_cbranch_execz .LBB364_89
; %bb.84:                               ;   in Loop: Header=BB364_10 Depth=1
	v_and_b32_sdwa v1, v78, v0 dst_sel:DWORD dst_unused:UNUSED_PAD src0_sel:DWORD src1_sel:BYTE_1
	v_mov_b32_e32 v92, 0x7f800001
	s_mov_b32 s40, exec_lo
	v_and_b32_e32 v12, 0x7f, v1
	v_cmpx_ne_u32_e32 0x7f, v12
	s_cbranch_execz .LBB364_88
; %bb.85:                               ;   in Loop: Header=BB364_10 Depth=1
	v_and_b32_e32 v1, 7, v1
	v_lshrrev_b32_e32 v11, 3, v12
	s_mov_b32 s41, exec_lo
	v_cmpx_gt_u32_e32 8, v12
; %bb.86:                               ;   in Loop: Header=BB364_10 Depth=1
	v_ffbh_u32_e32 v11, v1
	v_min_u32_e32 v11, 32, v11
	v_subrev_nc_u32_e32 v12, 28, v11
	v_sub_nc_u32_e32 v11, 29, v11
	v_lshlrev_b64 v[12:13], v12, v[1:2]
	v_and_b32_e32 v1, 7, v12
; %bb.87:                               ;   in Loop: Header=BB364_10 Depth=1
	s_or_b32 exec_lo, exec_lo, s41
	v_lshlrev_b32_e32 v12, 16, v0
	v_lshlrev_b32_e32 v1, 20, v1
	v_lshl_add_u32 v11, v11, 23, 0x3c000000
	v_and_b32_e32 v12, 0x80000000, v12
	v_or3_b32 v92, v1, v12, v11
.LBB364_88:                             ;   in Loop: Header=BB364_10 Depth=1
	s_or_b32 exec_lo, exec_lo, s40
.LBB364_89:                             ;   in Loop: Header=BB364_10 Depth=1
	s_or_b32 exec_lo, exec_lo, s39
.LBB364_90:                             ;   in Loop: Header=BB364_10 Depth=1
	s_or_b32 exec_lo, exec_lo, s3
	v_and_b32_sdwa v1, v0, v79 dst_sel:DWORD dst_unused:UNUSED_PAD src0_sel:WORD_1 src1_sel:DWORD
	v_mov_b32_e32 v93, 0
	v_mov_b32_e32 v94, 0
	s_mov_b32 s3, exec_lo
	v_cmpx_ne_u16_e32 0, v1
	s_cbranch_execz .LBB364_98
; %bb.91:                               ;   in Loop: Header=BB364_10 Depth=1
	v_bfrev_b32_e32 v94, 1
	s_mov_b32 s39, exec_lo
	v_cmpx_ne_u16_e32 0x80, v1
	s_cbranch_execz .LBB364_97
; %bb.92:                               ;   in Loop: Header=BB364_10 Depth=1
	v_bfe_u32 v12, v0, 16, 7
	v_mov_b32_e32 v94, 0x7f800001
	s_mov_b32 s40, exec_lo
	v_cmpx_ne_u32_e32 0x7f, v12
	s_cbranch_execz .LBB364_96
; %bb.93:                               ;   in Loop: Header=BB364_10 Depth=1
	v_and_b32_sdwa v1, v0, v80 dst_sel:DWORD dst_unused:UNUSED_PAD src0_sel:WORD_1 src1_sel:DWORD
	v_lshrrev_b32_e32 v11, 3, v12
	s_mov_b32 s41, exec_lo
	v_cmpx_gt_u32_e32 8, v12
; %bb.94:                               ;   in Loop: Header=BB364_10 Depth=1
	v_ffbh_u32_e32 v11, v1
	v_min_u32_e32 v11, 32, v11
	v_subrev_nc_u32_e32 v12, 28, v11
	v_sub_nc_u32_e32 v11, 29, v11
	v_lshlrev_b64 v[12:13], v12, v[1:2]
	v_and_b32_e32 v1, 7, v12
; %bb.95:                               ;   in Loop: Header=BB364_10 Depth=1
	s_or_b32 exec_lo, exec_lo, s41
	v_lshlrev_b32_sdwa v12, v81, v0 dst_sel:DWORD dst_unused:UNUSED_PAD src0_sel:DWORD src1_sel:WORD_1
	v_lshlrev_b32_e32 v1, 20, v1
	v_lshl_add_u32 v11, v11, 23, 0x3c000000
	v_and_b32_e32 v12, 0x80000000, v12
	v_or3_b32 v94, v1, v12, v11
.LBB364_96:                             ;   in Loop: Header=BB364_10 Depth=1
	s_or_b32 exec_lo, exec_lo, s40
.LBB364_97:                             ;   in Loop: Header=BB364_10 Depth=1
	s_or_b32 exec_lo, exec_lo, s39
.LBB364_98:                             ;   in Loop: Header=BB364_10 Depth=1
	s_or_b32 exec_lo, exec_lo, s3
	s_mov_b32 s3, exec_lo
	v_cmpx_lt_u32_e32 0xffffff, v0
	s_cbranch_execz .LBB364_106
; %bb.99:                               ;   in Loop: Header=BB364_10 Depth=1
	v_cmp_ne_u32_sdwa s2, v0, v77 src0_sel:BYTE_3 src1_sel:DWORD
	v_bfrev_b32_e32 v93, 1
	s_and_saveexec_b32 s39, s2
	s_cbranch_execz .LBB364_105
; %bb.100:                              ;   in Loop: Header=BB364_10 Depth=1
	v_bfe_u32 v12, v0, 24, 7
	v_mov_b32_e32 v93, 0x7f800001
	s_mov_b32 s40, exec_lo
	v_cmpx_ne_u32_e32 0x7f, v12
	s_cbranch_execz .LBB364_104
; %bb.101:                              ;   in Loop: Header=BB364_10 Depth=1
	v_and_b32_sdwa v1, v0, v80 dst_sel:DWORD dst_unused:UNUSED_PAD src0_sel:BYTE_3 src1_sel:DWORD
	v_lshrrev_b32_e32 v11, 3, v12
	s_mov_b32 s41, exec_lo
	v_cmpx_gt_u32_e32 8, v12
; %bb.102:                              ;   in Loop: Header=BB364_10 Depth=1
	v_ffbh_u32_e32 v11, v1
	v_min_u32_e32 v11, 32, v11
	v_subrev_nc_u32_e32 v12, 28, v11
	v_sub_nc_u32_e32 v11, 29, v11
	v_lshlrev_b64 v[12:13], v12, v[1:2]
	v_and_b32_e32 v1, 7, v12
; %bb.103:                              ;   in Loop: Header=BB364_10 Depth=1
	s_or_b32 exec_lo, exec_lo, s41
	v_lshlrev_b32_sdwa v0, v81, v0 dst_sel:DWORD dst_unused:UNUSED_PAD src0_sel:DWORD src1_sel:BYTE_3
	v_lshlrev_b32_e32 v1, 20, v1
	v_lshl_add_u32 v11, v11, 23, 0x3c000000
	v_and_b32_e32 v0, 0x80000000, v0
	v_or3_b32 v93, v1, v0, v11
.LBB364_104:                            ;   in Loop: Header=BB364_10 Depth=1
	s_or_b32 exec_lo, exec_lo, s40
.LBB364_105:                            ;   in Loop: Header=BB364_10 Depth=1
	s_or_b32 exec_lo, exec_lo, s39
.LBB364_106:                            ;   in Loop: Header=BB364_10 Depth=1
	s_or_b32 exec_lo, exec_lo, s3
	global_load_dword v0, v[7:8], off offset:264
	v_mov_b32_e32 v96, 0
	v_mov_b32_e32 v95, 0
	s_waitcnt vmcnt(0)
	v_cmp_ne_u16_sdwa s2, v0, v2 src0_sel:BYTE_0 src1_sel:DWORD
	s_and_saveexec_b32 s3, s2
	s_cbranch_execz .LBB364_114
; %bb.107:                              ;   in Loop: Header=BB364_10 Depth=1
	v_cmp_ne_u16_sdwa s2, v0, v77 src0_sel:BYTE_0 src1_sel:DWORD
	v_bfrev_b32_e32 v95, 1
	s_and_saveexec_b32 s39, s2
	s_cbranch_execz .LBB364_113
; %bb.108:                              ;   in Loop: Header=BB364_10 Depth=1
	v_and_b32_e32 v12, 0x7f, v0
	v_mov_b32_e32 v95, 0x7f800001
	s_mov_b32 s40, exec_lo
	v_cmpx_ne_u32_e32 0x7f, v12
	s_cbranch_execz .LBB364_112
; %bb.109:                              ;   in Loop: Header=BB364_10 Depth=1
	v_and_b32_e32 v1, 7, v0
	v_lshrrev_b32_e32 v11, 3, v12
	s_mov_b32 s41, exec_lo
	v_cmpx_gt_u32_e32 8, v12
; %bb.110:                              ;   in Loop: Header=BB364_10 Depth=1
	v_ffbh_u32_e32 v11, v1
	v_min_u32_e32 v11, 32, v11
	v_subrev_nc_u32_e32 v12, 28, v11
	v_sub_nc_u32_e32 v11, 29, v11
	v_lshlrev_b64 v[12:13], v12, v[1:2]
	v_and_b32_e32 v1, 7, v12
; %bb.111:                              ;   in Loop: Header=BB364_10 Depth=1
	s_or_b32 exec_lo, exec_lo, s41
	v_lshlrev_b32_e32 v12, 24, v0
	v_lshlrev_b32_e32 v1, 20, v1
	v_lshl_add_u32 v11, v11, 23, 0x3c000000
	v_and_b32_e32 v12, 0x80000000, v12
	v_or3_b32 v95, v1, v12, v11
.LBB364_112:                            ;   in Loop: Header=BB364_10 Depth=1
	s_or_b32 exec_lo, exec_lo, s40
.LBB364_113:                            ;   in Loop: Header=BB364_10 Depth=1
	s_or_b32 exec_lo, exec_lo, s39
.LBB364_114:                            ;   in Loop: Header=BB364_10 Depth=1
	s_or_b32 exec_lo, exec_lo, s3
	v_cmp_ne_u16_sdwa s2, v0, v2 src0_sel:BYTE_1 src1_sel:DWORD
	s_and_saveexec_b32 s3, s2
	s_cbranch_execz .LBB364_122
; %bb.115:                              ;   in Loop: Header=BB364_10 Depth=1
	v_cmp_ne_u16_sdwa s2, v0, v77 src0_sel:BYTE_1 src1_sel:DWORD
	v_bfrev_b32_e32 v96, 1
	s_and_saveexec_b32 s39, s2
	s_cbranch_execz .LBB364_121
; %bb.116:                              ;   in Loop: Header=BB364_10 Depth=1
	v_and_b32_sdwa v1, v78, v0 dst_sel:DWORD dst_unused:UNUSED_PAD src0_sel:DWORD src1_sel:BYTE_1
	v_mov_b32_e32 v96, 0x7f800001
	s_mov_b32 s40, exec_lo
	v_and_b32_e32 v12, 0x7f, v1
	v_cmpx_ne_u32_e32 0x7f, v12
	s_cbranch_execz .LBB364_120
; %bb.117:                              ;   in Loop: Header=BB364_10 Depth=1
	v_and_b32_e32 v1, 7, v1
	v_lshrrev_b32_e32 v11, 3, v12
	s_mov_b32 s41, exec_lo
	v_cmpx_gt_u32_e32 8, v12
; %bb.118:                              ;   in Loop: Header=BB364_10 Depth=1
	v_ffbh_u32_e32 v11, v1
	v_min_u32_e32 v11, 32, v11
	v_subrev_nc_u32_e32 v12, 28, v11
	v_sub_nc_u32_e32 v11, 29, v11
	v_lshlrev_b64 v[12:13], v12, v[1:2]
	v_and_b32_e32 v1, 7, v12
; %bb.119:                              ;   in Loop: Header=BB364_10 Depth=1
	s_or_b32 exec_lo, exec_lo, s41
	v_lshlrev_b32_e32 v12, 16, v0
	v_lshlrev_b32_e32 v1, 20, v1
	v_lshl_add_u32 v11, v11, 23, 0x3c000000
	v_and_b32_e32 v12, 0x80000000, v12
	v_or3_b32 v96, v1, v12, v11
.LBB364_120:                            ;   in Loop: Header=BB364_10 Depth=1
	s_or_b32 exec_lo, exec_lo, s40
.LBB364_121:                            ;   in Loop: Header=BB364_10 Depth=1
	s_or_b32 exec_lo, exec_lo, s39
.LBB364_122:                            ;   in Loop: Header=BB364_10 Depth=1
	s_or_b32 exec_lo, exec_lo, s3
	v_and_b32_sdwa v1, v0, v79 dst_sel:DWORD dst_unused:UNUSED_PAD src0_sel:WORD_1 src1_sel:DWORD
	v_mov_b32_e32 v97, 0
	v_mov_b32_e32 v98, 0
	s_mov_b32 s3, exec_lo
	v_cmpx_ne_u16_e32 0, v1
	s_cbranch_execz .LBB364_130
; %bb.123:                              ;   in Loop: Header=BB364_10 Depth=1
	v_bfrev_b32_e32 v98, 1
	s_mov_b32 s39, exec_lo
	v_cmpx_ne_u16_e32 0x80, v1
	s_cbranch_execz .LBB364_129
; %bb.124:                              ;   in Loop: Header=BB364_10 Depth=1
	v_bfe_u32 v12, v0, 16, 7
	v_mov_b32_e32 v98, 0x7f800001
	s_mov_b32 s40, exec_lo
	v_cmpx_ne_u32_e32 0x7f, v12
	s_cbranch_execz .LBB364_128
; %bb.125:                              ;   in Loop: Header=BB364_10 Depth=1
	v_and_b32_sdwa v1, v0, v80 dst_sel:DWORD dst_unused:UNUSED_PAD src0_sel:WORD_1 src1_sel:DWORD
	v_lshrrev_b32_e32 v11, 3, v12
	s_mov_b32 s41, exec_lo
	v_cmpx_gt_u32_e32 8, v12
; %bb.126:                              ;   in Loop: Header=BB364_10 Depth=1
	v_ffbh_u32_e32 v11, v1
	v_min_u32_e32 v11, 32, v11
	v_subrev_nc_u32_e32 v12, 28, v11
	v_sub_nc_u32_e32 v11, 29, v11
	v_lshlrev_b64 v[12:13], v12, v[1:2]
	v_and_b32_e32 v1, 7, v12
; %bb.127:                              ;   in Loop: Header=BB364_10 Depth=1
	s_or_b32 exec_lo, exec_lo, s41
	v_lshlrev_b32_sdwa v12, v81, v0 dst_sel:DWORD dst_unused:UNUSED_PAD src0_sel:DWORD src1_sel:WORD_1
	v_lshlrev_b32_e32 v1, 20, v1
	v_lshl_add_u32 v11, v11, 23, 0x3c000000
	v_and_b32_e32 v12, 0x80000000, v12
	v_or3_b32 v98, v1, v12, v11
.LBB364_128:                            ;   in Loop: Header=BB364_10 Depth=1
	s_or_b32 exec_lo, exec_lo, s40
.LBB364_129:                            ;   in Loop: Header=BB364_10 Depth=1
	s_or_b32 exec_lo, exec_lo, s39
.LBB364_130:                            ;   in Loop: Header=BB364_10 Depth=1
	s_or_b32 exec_lo, exec_lo, s3
	s_mov_b32 s3, exec_lo
	v_cmpx_lt_u32_e32 0xffffff, v0
	s_cbranch_execz .LBB364_138
; %bb.131:                              ;   in Loop: Header=BB364_10 Depth=1
	v_cmp_ne_u32_sdwa s2, v0, v77 src0_sel:BYTE_3 src1_sel:DWORD
	v_bfrev_b32_e32 v97, 1
	s_and_saveexec_b32 s39, s2
	s_cbranch_execz .LBB364_137
; %bb.132:                              ;   in Loop: Header=BB364_10 Depth=1
	v_bfe_u32 v12, v0, 24, 7
	v_mov_b32_e32 v97, 0x7f800001
	s_mov_b32 s40, exec_lo
	v_cmpx_ne_u32_e32 0x7f, v12
	s_cbranch_execz .LBB364_136
; %bb.133:                              ;   in Loop: Header=BB364_10 Depth=1
	v_and_b32_sdwa v1, v0, v80 dst_sel:DWORD dst_unused:UNUSED_PAD src0_sel:BYTE_3 src1_sel:DWORD
	v_lshrrev_b32_e32 v11, 3, v12
	s_mov_b32 s41, exec_lo
	v_cmpx_gt_u32_e32 8, v12
; %bb.134:                              ;   in Loop: Header=BB364_10 Depth=1
	v_ffbh_u32_e32 v11, v1
	v_min_u32_e32 v11, 32, v11
	v_subrev_nc_u32_e32 v12, 28, v11
	v_sub_nc_u32_e32 v11, 29, v11
	v_lshlrev_b64 v[12:13], v12, v[1:2]
	v_and_b32_e32 v1, 7, v12
; %bb.135:                              ;   in Loop: Header=BB364_10 Depth=1
	s_or_b32 exec_lo, exec_lo, s41
	v_lshlrev_b32_sdwa v0, v81, v0 dst_sel:DWORD dst_unused:UNUSED_PAD src0_sel:DWORD src1_sel:BYTE_3
	v_lshlrev_b32_e32 v1, 20, v1
	v_lshl_add_u32 v11, v11, 23, 0x3c000000
	v_and_b32_e32 v0, 0x80000000, v0
	v_or3_b32 v97, v1, v0, v11
.LBB364_136:                            ;   in Loop: Header=BB364_10 Depth=1
	s_or_b32 exec_lo, exec_lo, s40
.LBB364_137:                            ;   in Loop: Header=BB364_10 Depth=1
	s_or_b32 exec_lo, exec_lo, s39
.LBB364_138:                            ;   in Loop: Header=BB364_10 Depth=1
	s_or_b32 exec_lo, exec_lo, s3
	global_load_dword v0, v[7:8], off offset:512
	v_mov_b32_e32 v100, 0
	v_mov_b32_e32 v99, 0
	s_waitcnt vmcnt(0)
	v_cmp_ne_u16_sdwa s2, v0, v2 src0_sel:BYTE_0 src1_sel:DWORD
	s_and_saveexec_b32 s3, s2
	s_cbranch_execz .LBB364_146
; %bb.139:                              ;   in Loop: Header=BB364_10 Depth=1
	v_cmp_ne_u16_sdwa s2, v0, v77 src0_sel:BYTE_0 src1_sel:DWORD
	v_bfrev_b32_e32 v99, 1
	s_and_saveexec_b32 s39, s2
	s_cbranch_execz .LBB364_145
; %bb.140:                              ;   in Loop: Header=BB364_10 Depth=1
	v_and_b32_e32 v12, 0x7f, v0
	v_mov_b32_e32 v99, 0x7f800001
	s_mov_b32 s40, exec_lo
	v_cmpx_ne_u32_e32 0x7f, v12
	s_cbranch_execz .LBB364_144
; %bb.141:                              ;   in Loop: Header=BB364_10 Depth=1
	v_and_b32_e32 v1, 7, v0
	v_lshrrev_b32_e32 v11, 3, v12
	s_mov_b32 s41, exec_lo
	v_cmpx_gt_u32_e32 8, v12
; %bb.142:                              ;   in Loop: Header=BB364_10 Depth=1
	v_ffbh_u32_e32 v11, v1
	v_min_u32_e32 v11, 32, v11
	v_subrev_nc_u32_e32 v12, 28, v11
	v_sub_nc_u32_e32 v11, 29, v11
	v_lshlrev_b64 v[12:13], v12, v[1:2]
	v_and_b32_e32 v1, 7, v12
; %bb.143:                              ;   in Loop: Header=BB364_10 Depth=1
	s_or_b32 exec_lo, exec_lo, s41
	v_lshlrev_b32_e32 v12, 24, v0
	v_lshlrev_b32_e32 v1, 20, v1
	v_lshl_add_u32 v11, v11, 23, 0x3c000000
	v_and_b32_e32 v12, 0x80000000, v12
	v_or3_b32 v99, v1, v12, v11
.LBB364_144:                            ;   in Loop: Header=BB364_10 Depth=1
	s_or_b32 exec_lo, exec_lo, s40
.LBB364_145:                            ;   in Loop: Header=BB364_10 Depth=1
	s_or_b32 exec_lo, exec_lo, s39
.LBB364_146:                            ;   in Loop: Header=BB364_10 Depth=1
	s_or_b32 exec_lo, exec_lo, s3
	v_cmp_ne_u16_sdwa s2, v0, v2 src0_sel:BYTE_1 src1_sel:DWORD
	s_and_saveexec_b32 s3, s2
	s_cbranch_execz .LBB364_154
; %bb.147:                              ;   in Loop: Header=BB364_10 Depth=1
	v_cmp_ne_u16_sdwa s2, v0, v77 src0_sel:BYTE_1 src1_sel:DWORD
	v_bfrev_b32_e32 v100, 1
	s_and_saveexec_b32 s39, s2
	s_cbranch_execz .LBB364_153
; %bb.148:                              ;   in Loop: Header=BB364_10 Depth=1
	v_and_b32_sdwa v1, v78, v0 dst_sel:DWORD dst_unused:UNUSED_PAD src0_sel:DWORD src1_sel:BYTE_1
	v_mov_b32_e32 v100, 0x7f800001
	s_mov_b32 s40, exec_lo
	v_and_b32_e32 v12, 0x7f, v1
	v_cmpx_ne_u32_e32 0x7f, v12
	s_cbranch_execz .LBB364_152
; %bb.149:                              ;   in Loop: Header=BB364_10 Depth=1
	v_and_b32_e32 v1, 7, v1
	v_lshrrev_b32_e32 v11, 3, v12
	s_mov_b32 s41, exec_lo
	v_cmpx_gt_u32_e32 8, v12
; %bb.150:                              ;   in Loop: Header=BB364_10 Depth=1
	v_ffbh_u32_e32 v11, v1
	v_min_u32_e32 v11, 32, v11
	v_subrev_nc_u32_e32 v12, 28, v11
	v_sub_nc_u32_e32 v11, 29, v11
	v_lshlrev_b64 v[12:13], v12, v[1:2]
	v_and_b32_e32 v1, 7, v12
; %bb.151:                              ;   in Loop: Header=BB364_10 Depth=1
	s_or_b32 exec_lo, exec_lo, s41
	v_lshlrev_b32_e32 v12, 16, v0
	v_lshlrev_b32_e32 v1, 20, v1
	v_lshl_add_u32 v11, v11, 23, 0x3c000000
	v_and_b32_e32 v12, 0x80000000, v12
	v_or3_b32 v100, v1, v12, v11
.LBB364_152:                            ;   in Loop: Header=BB364_10 Depth=1
	s_or_b32 exec_lo, exec_lo, s40
.LBB364_153:                            ;   in Loop: Header=BB364_10 Depth=1
	s_or_b32 exec_lo, exec_lo, s39
.LBB364_154:                            ;   in Loop: Header=BB364_10 Depth=1
	s_or_b32 exec_lo, exec_lo, s3
	v_and_b32_sdwa v1, v0, v79 dst_sel:DWORD dst_unused:UNUSED_PAD src0_sel:WORD_1 src1_sel:DWORD
	v_mov_b32_e32 v101, 0
	v_mov_b32_e32 v102, 0
	s_mov_b32 s3, exec_lo
	v_cmpx_ne_u16_e32 0, v1
	s_cbranch_execz .LBB364_162
; %bb.155:                              ;   in Loop: Header=BB364_10 Depth=1
	v_bfrev_b32_e32 v102, 1
	s_mov_b32 s39, exec_lo
	v_cmpx_ne_u16_e32 0x80, v1
	s_cbranch_execz .LBB364_161
; %bb.156:                              ;   in Loop: Header=BB364_10 Depth=1
	v_bfe_u32 v12, v0, 16, 7
	v_mov_b32_e32 v102, 0x7f800001
	s_mov_b32 s40, exec_lo
	v_cmpx_ne_u32_e32 0x7f, v12
	s_cbranch_execz .LBB364_160
; %bb.157:                              ;   in Loop: Header=BB364_10 Depth=1
	v_and_b32_sdwa v1, v0, v80 dst_sel:DWORD dst_unused:UNUSED_PAD src0_sel:WORD_1 src1_sel:DWORD
	v_lshrrev_b32_e32 v11, 3, v12
	s_mov_b32 s41, exec_lo
	v_cmpx_gt_u32_e32 8, v12
; %bb.158:                              ;   in Loop: Header=BB364_10 Depth=1
	v_ffbh_u32_e32 v11, v1
	v_min_u32_e32 v11, 32, v11
	v_subrev_nc_u32_e32 v12, 28, v11
	v_sub_nc_u32_e32 v11, 29, v11
	v_lshlrev_b64 v[12:13], v12, v[1:2]
	v_and_b32_e32 v1, 7, v12
; %bb.159:                              ;   in Loop: Header=BB364_10 Depth=1
	s_or_b32 exec_lo, exec_lo, s41
	v_lshlrev_b32_sdwa v12, v81, v0 dst_sel:DWORD dst_unused:UNUSED_PAD src0_sel:DWORD src1_sel:WORD_1
	v_lshlrev_b32_e32 v1, 20, v1
	v_lshl_add_u32 v11, v11, 23, 0x3c000000
	v_and_b32_e32 v12, 0x80000000, v12
	v_or3_b32 v102, v1, v12, v11
.LBB364_160:                            ;   in Loop: Header=BB364_10 Depth=1
	s_or_b32 exec_lo, exec_lo, s40
.LBB364_161:                            ;   in Loop: Header=BB364_10 Depth=1
	s_or_b32 exec_lo, exec_lo, s39
.LBB364_162:                            ;   in Loop: Header=BB364_10 Depth=1
	s_or_b32 exec_lo, exec_lo, s3
	s_mov_b32 s3, exec_lo
	v_cmpx_lt_u32_e32 0xffffff, v0
	s_cbranch_execz .LBB364_170
; %bb.163:                              ;   in Loop: Header=BB364_10 Depth=1
	v_cmp_ne_u32_sdwa s2, v0, v77 src0_sel:BYTE_3 src1_sel:DWORD
	v_bfrev_b32_e32 v101, 1
	s_and_saveexec_b32 s39, s2
	s_cbranch_execz .LBB364_169
; %bb.164:                              ;   in Loop: Header=BB364_10 Depth=1
	v_bfe_u32 v12, v0, 24, 7
	v_mov_b32_e32 v101, 0x7f800001
	s_mov_b32 s40, exec_lo
	v_cmpx_ne_u32_e32 0x7f, v12
	s_cbranch_execz .LBB364_168
; %bb.165:                              ;   in Loop: Header=BB364_10 Depth=1
	v_and_b32_sdwa v1, v0, v80 dst_sel:DWORD dst_unused:UNUSED_PAD src0_sel:BYTE_3 src1_sel:DWORD
	v_lshrrev_b32_e32 v11, 3, v12
	s_mov_b32 s41, exec_lo
	v_cmpx_gt_u32_e32 8, v12
; %bb.166:                              ;   in Loop: Header=BB364_10 Depth=1
	v_ffbh_u32_e32 v11, v1
	v_min_u32_e32 v11, 32, v11
	v_subrev_nc_u32_e32 v12, 28, v11
	v_sub_nc_u32_e32 v11, 29, v11
	v_lshlrev_b64 v[12:13], v12, v[1:2]
	v_and_b32_e32 v1, 7, v12
; %bb.167:                              ;   in Loop: Header=BB364_10 Depth=1
	s_or_b32 exec_lo, exec_lo, s41
	v_lshlrev_b32_sdwa v0, v81, v0 dst_sel:DWORD dst_unused:UNUSED_PAD src0_sel:DWORD src1_sel:BYTE_3
	v_lshlrev_b32_e32 v1, 20, v1
	v_lshl_add_u32 v11, v11, 23, 0x3c000000
	v_and_b32_e32 v0, 0x80000000, v0
	v_or3_b32 v101, v1, v0, v11
.LBB364_168:                            ;   in Loop: Header=BB364_10 Depth=1
	s_or_b32 exec_lo, exec_lo, s40
.LBB364_169:                            ;   in Loop: Header=BB364_10 Depth=1
	s_or_b32 exec_lo, exec_lo, s39
.LBB364_170:                            ;   in Loop: Header=BB364_10 Depth=1
	s_or_b32 exec_lo, exec_lo, s3
	global_load_dword v0, v[7:8], off offset:520
	v_mov_b32_e32 v104, 0
	v_mov_b32_e32 v103, 0
	s_waitcnt vmcnt(0)
	v_cmp_ne_u16_sdwa s2, v0, v2 src0_sel:BYTE_0 src1_sel:DWORD
	s_and_saveexec_b32 s3, s2
	s_cbranch_execz .LBB364_178
; %bb.171:                              ;   in Loop: Header=BB364_10 Depth=1
	v_cmp_ne_u16_sdwa s2, v0, v77 src0_sel:BYTE_0 src1_sel:DWORD
	v_bfrev_b32_e32 v103, 1
	s_and_saveexec_b32 s39, s2
	s_cbranch_execz .LBB364_177
; %bb.172:                              ;   in Loop: Header=BB364_10 Depth=1
	v_and_b32_e32 v12, 0x7f, v0
	v_mov_b32_e32 v103, 0x7f800001
	s_mov_b32 s40, exec_lo
	v_cmpx_ne_u32_e32 0x7f, v12
	s_cbranch_execz .LBB364_176
; %bb.173:                              ;   in Loop: Header=BB364_10 Depth=1
	v_and_b32_e32 v1, 7, v0
	v_lshrrev_b32_e32 v11, 3, v12
	s_mov_b32 s41, exec_lo
	v_cmpx_gt_u32_e32 8, v12
; %bb.174:                              ;   in Loop: Header=BB364_10 Depth=1
	v_ffbh_u32_e32 v11, v1
	v_min_u32_e32 v11, 32, v11
	v_subrev_nc_u32_e32 v12, 28, v11
	v_sub_nc_u32_e32 v11, 29, v11
	v_lshlrev_b64 v[12:13], v12, v[1:2]
	v_and_b32_e32 v1, 7, v12
; %bb.175:                              ;   in Loop: Header=BB364_10 Depth=1
	s_or_b32 exec_lo, exec_lo, s41
	v_lshlrev_b32_e32 v12, 24, v0
	v_lshlrev_b32_e32 v1, 20, v1
	v_lshl_add_u32 v11, v11, 23, 0x3c000000
	v_and_b32_e32 v12, 0x80000000, v12
	v_or3_b32 v103, v1, v12, v11
.LBB364_176:                            ;   in Loop: Header=BB364_10 Depth=1
	s_or_b32 exec_lo, exec_lo, s40
.LBB364_177:                            ;   in Loop: Header=BB364_10 Depth=1
	s_or_b32 exec_lo, exec_lo, s39
.LBB364_178:                            ;   in Loop: Header=BB364_10 Depth=1
	s_or_b32 exec_lo, exec_lo, s3
	v_cmp_ne_u16_sdwa s2, v0, v2 src0_sel:BYTE_1 src1_sel:DWORD
	s_and_saveexec_b32 s3, s2
	s_cbranch_execz .LBB364_186
; %bb.179:                              ;   in Loop: Header=BB364_10 Depth=1
	v_cmp_ne_u16_sdwa s2, v0, v77 src0_sel:BYTE_1 src1_sel:DWORD
	v_bfrev_b32_e32 v104, 1
	s_and_saveexec_b32 s39, s2
	s_cbranch_execz .LBB364_185
; %bb.180:                              ;   in Loop: Header=BB364_10 Depth=1
	v_and_b32_sdwa v1, v78, v0 dst_sel:DWORD dst_unused:UNUSED_PAD src0_sel:DWORD src1_sel:BYTE_1
	v_mov_b32_e32 v104, 0x7f800001
	s_mov_b32 s40, exec_lo
	v_and_b32_e32 v12, 0x7f, v1
	v_cmpx_ne_u32_e32 0x7f, v12
	s_cbranch_execz .LBB364_184
; %bb.181:                              ;   in Loop: Header=BB364_10 Depth=1
	v_and_b32_e32 v1, 7, v1
	v_lshrrev_b32_e32 v11, 3, v12
	s_mov_b32 s41, exec_lo
	v_cmpx_gt_u32_e32 8, v12
; %bb.182:                              ;   in Loop: Header=BB364_10 Depth=1
	v_ffbh_u32_e32 v11, v1
	v_min_u32_e32 v11, 32, v11
	v_subrev_nc_u32_e32 v12, 28, v11
	v_sub_nc_u32_e32 v11, 29, v11
	v_lshlrev_b64 v[12:13], v12, v[1:2]
	v_and_b32_e32 v1, 7, v12
; %bb.183:                              ;   in Loop: Header=BB364_10 Depth=1
	s_or_b32 exec_lo, exec_lo, s41
	v_lshlrev_b32_e32 v12, 16, v0
	v_lshlrev_b32_e32 v1, 20, v1
	v_lshl_add_u32 v11, v11, 23, 0x3c000000
	v_and_b32_e32 v12, 0x80000000, v12
	v_or3_b32 v104, v1, v12, v11
.LBB364_184:                            ;   in Loop: Header=BB364_10 Depth=1
	s_or_b32 exec_lo, exec_lo, s40
.LBB364_185:                            ;   in Loop: Header=BB364_10 Depth=1
	s_or_b32 exec_lo, exec_lo, s39
.LBB364_186:                            ;   in Loop: Header=BB364_10 Depth=1
	s_or_b32 exec_lo, exec_lo, s3
	v_and_b32_sdwa v1, v0, v79 dst_sel:DWORD dst_unused:UNUSED_PAD src0_sel:WORD_1 src1_sel:DWORD
	v_mov_b32_e32 v105, 0
	v_mov_b32_e32 v106, 0
	s_mov_b32 s3, exec_lo
	v_cmpx_ne_u16_e32 0, v1
	s_cbranch_execz .LBB364_194
; %bb.187:                              ;   in Loop: Header=BB364_10 Depth=1
	v_bfrev_b32_e32 v106, 1
	s_mov_b32 s39, exec_lo
	v_cmpx_ne_u16_e32 0x80, v1
	s_cbranch_execz .LBB364_193
; %bb.188:                              ;   in Loop: Header=BB364_10 Depth=1
	v_bfe_u32 v12, v0, 16, 7
	v_mov_b32_e32 v106, 0x7f800001
	s_mov_b32 s40, exec_lo
	v_cmpx_ne_u32_e32 0x7f, v12
	s_cbranch_execz .LBB364_192
; %bb.189:                              ;   in Loop: Header=BB364_10 Depth=1
	v_and_b32_sdwa v1, v0, v80 dst_sel:DWORD dst_unused:UNUSED_PAD src0_sel:WORD_1 src1_sel:DWORD
	v_lshrrev_b32_e32 v11, 3, v12
	s_mov_b32 s41, exec_lo
	v_cmpx_gt_u32_e32 8, v12
; %bb.190:                              ;   in Loop: Header=BB364_10 Depth=1
	v_ffbh_u32_e32 v11, v1
	v_min_u32_e32 v11, 32, v11
	v_subrev_nc_u32_e32 v12, 28, v11
	v_sub_nc_u32_e32 v11, 29, v11
	v_lshlrev_b64 v[12:13], v12, v[1:2]
	v_and_b32_e32 v1, 7, v12
; %bb.191:                              ;   in Loop: Header=BB364_10 Depth=1
	s_or_b32 exec_lo, exec_lo, s41
	v_lshlrev_b32_sdwa v12, v81, v0 dst_sel:DWORD dst_unused:UNUSED_PAD src0_sel:DWORD src1_sel:WORD_1
	v_lshlrev_b32_e32 v1, 20, v1
	v_lshl_add_u32 v11, v11, 23, 0x3c000000
	v_and_b32_e32 v12, 0x80000000, v12
	v_or3_b32 v106, v1, v12, v11
.LBB364_192:                            ;   in Loop: Header=BB364_10 Depth=1
	s_or_b32 exec_lo, exec_lo, s40
.LBB364_193:                            ;   in Loop: Header=BB364_10 Depth=1
	s_or_b32 exec_lo, exec_lo, s39
.LBB364_194:                            ;   in Loop: Header=BB364_10 Depth=1
	s_or_b32 exec_lo, exec_lo, s3
	s_mov_b32 s3, exec_lo
	v_cmpx_lt_u32_e32 0xffffff, v0
	s_cbranch_execz .LBB364_202
; %bb.195:                              ;   in Loop: Header=BB364_10 Depth=1
	v_cmp_ne_u32_sdwa s2, v0, v77 src0_sel:BYTE_3 src1_sel:DWORD
	v_bfrev_b32_e32 v105, 1
	s_and_saveexec_b32 s39, s2
	s_cbranch_execz .LBB364_201
; %bb.196:                              ;   in Loop: Header=BB364_10 Depth=1
	v_bfe_u32 v12, v0, 24, 7
	v_mov_b32_e32 v105, 0x7f800001
	s_mov_b32 s40, exec_lo
	v_cmpx_ne_u32_e32 0x7f, v12
	s_cbranch_execz .LBB364_200
; %bb.197:                              ;   in Loop: Header=BB364_10 Depth=1
	v_and_b32_sdwa v1, v0, v80 dst_sel:DWORD dst_unused:UNUSED_PAD src0_sel:BYTE_3 src1_sel:DWORD
	v_lshrrev_b32_e32 v11, 3, v12
	s_mov_b32 s41, exec_lo
	v_cmpx_gt_u32_e32 8, v12
; %bb.198:                              ;   in Loop: Header=BB364_10 Depth=1
	v_ffbh_u32_e32 v11, v1
	v_min_u32_e32 v11, 32, v11
	v_subrev_nc_u32_e32 v12, 28, v11
	v_sub_nc_u32_e32 v11, 29, v11
	v_lshlrev_b64 v[12:13], v12, v[1:2]
	v_and_b32_e32 v1, 7, v12
; %bb.199:                              ;   in Loop: Header=BB364_10 Depth=1
	s_or_b32 exec_lo, exec_lo, s41
	v_lshlrev_b32_sdwa v0, v81, v0 dst_sel:DWORD dst_unused:UNUSED_PAD src0_sel:DWORD src1_sel:BYTE_3
	v_lshlrev_b32_e32 v1, 20, v1
	v_lshl_add_u32 v11, v11, 23, 0x3c000000
	v_and_b32_e32 v0, 0x80000000, v0
	v_or3_b32 v105, v1, v0, v11
.LBB364_200:                            ;   in Loop: Header=BB364_10 Depth=1
	s_or_b32 exec_lo, exec_lo, s40
.LBB364_201:                            ;   in Loop: Header=BB364_10 Depth=1
	s_or_b32 exec_lo, exec_lo, s39
.LBB364_202:                            ;   in Loop: Header=BB364_10 Depth=1
	s_or_b32 exec_lo, exec_lo, s3
	global_load_dword v0, v[7:8], off offset:768
	v_mov_b32_e32 v108, 0
	v_mov_b32_e32 v107, 0
	s_waitcnt vmcnt(0)
	v_cmp_ne_u16_sdwa s2, v0, v2 src0_sel:BYTE_0 src1_sel:DWORD
	s_and_saveexec_b32 s3, s2
	s_cbranch_execz .LBB364_210
; %bb.203:                              ;   in Loop: Header=BB364_10 Depth=1
	v_cmp_ne_u16_sdwa s2, v0, v77 src0_sel:BYTE_0 src1_sel:DWORD
	v_bfrev_b32_e32 v107, 1
	s_and_saveexec_b32 s39, s2
	s_cbranch_execz .LBB364_209
; %bb.204:                              ;   in Loop: Header=BB364_10 Depth=1
	v_and_b32_e32 v12, 0x7f, v0
	v_mov_b32_e32 v107, 0x7f800001
	s_mov_b32 s40, exec_lo
	v_cmpx_ne_u32_e32 0x7f, v12
	s_cbranch_execz .LBB364_208
; %bb.205:                              ;   in Loop: Header=BB364_10 Depth=1
	v_and_b32_e32 v1, 7, v0
	v_lshrrev_b32_e32 v11, 3, v12
	s_mov_b32 s41, exec_lo
	v_cmpx_gt_u32_e32 8, v12
; %bb.206:                              ;   in Loop: Header=BB364_10 Depth=1
	v_ffbh_u32_e32 v11, v1
	v_min_u32_e32 v11, 32, v11
	v_subrev_nc_u32_e32 v12, 28, v11
	v_sub_nc_u32_e32 v11, 29, v11
	v_lshlrev_b64 v[12:13], v12, v[1:2]
	v_and_b32_e32 v1, 7, v12
; %bb.207:                              ;   in Loop: Header=BB364_10 Depth=1
	s_or_b32 exec_lo, exec_lo, s41
	v_lshlrev_b32_e32 v12, 24, v0
	v_lshlrev_b32_e32 v1, 20, v1
	v_lshl_add_u32 v11, v11, 23, 0x3c000000
	v_and_b32_e32 v12, 0x80000000, v12
	v_or3_b32 v107, v1, v12, v11
.LBB364_208:                            ;   in Loop: Header=BB364_10 Depth=1
	s_or_b32 exec_lo, exec_lo, s40
.LBB364_209:                            ;   in Loop: Header=BB364_10 Depth=1
	s_or_b32 exec_lo, exec_lo, s39
.LBB364_210:                            ;   in Loop: Header=BB364_10 Depth=1
	s_or_b32 exec_lo, exec_lo, s3
	v_cmp_ne_u16_sdwa s2, v0, v2 src0_sel:BYTE_1 src1_sel:DWORD
	s_and_saveexec_b32 s3, s2
	s_cbranch_execz .LBB364_218
; %bb.211:                              ;   in Loop: Header=BB364_10 Depth=1
	v_cmp_ne_u16_sdwa s2, v0, v77 src0_sel:BYTE_1 src1_sel:DWORD
	v_bfrev_b32_e32 v108, 1
	s_and_saveexec_b32 s39, s2
	s_cbranch_execz .LBB364_217
; %bb.212:                              ;   in Loop: Header=BB364_10 Depth=1
	v_and_b32_sdwa v1, v78, v0 dst_sel:DWORD dst_unused:UNUSED_PAD src0_sel:DWORD src1_sel:BYTE_1
	v_mov_b32_e32 v108, 0x7f800001
	s_mov_b32 s40, exec_lo
	v_and_b32_e32 v12, 0x7f, v1
	v_cmpx_ne_u32_e32 0x7f, v12
	s_cbranch_execz .LBB364_216
; %bb.213:                              ;   in Loop: Header=BB364_10 Depth=1
	v_and_b32_e32 v1, 7, v1
	v_lshrrev_b32_e32 v11, 3, v12
	s_mov_b32 s41, exec_lo
	v_cmpx_gt_u32_e32 8, v12
; %bb.214:                              ;   in Loop: Header=BB364_10 Depth=1
	v_ffbh_u32_e32 v11, v1
	v_min_u32_e32 v11, 32, v11
	v_subrev_nc_u32_e32 v12, 28, v11
	v_sub_nc_u32_e32 v11, 29, v11
	v_lshlrev_b64 v[12:13], v12, v[1:2]
	v_and_b32_e32 v1, 7, v12
; %bb.215:                              ;   in Loop: Header=BB364_10 Depth=1
	s_or_b32 exec_lo, exec_lo, s41
	v_lshlrev_b32_e32 v12, 16, v0
	v_lshlrev_b32_e32 v1, 20, v1
	v_lshl_add_u32 v11, v11, 23, 0x3c000000
	v_and_b32_e32 v12, 0x80000000, v12
	v_or3_b32 v108, v1, v12, v11
.LBB364_216:                            ;   in Loop: Header=BB364_10 Depth=1
	s_or_b32 exec_lo, exec_lo, s40
.LBB364_217:                            ;   in Loop: Header=BB364_10 Depth=1
	s_or_b32 exec_lo, exec_lo, s39
.LBB364_218:                            ;   in Loop: Header=BB364_10 Depth=1
	s_or_b32 exec_lo, exec_lo, s3
	v_and_b32_sdwa v1, v0, v79 dst_sel:DWORD dst_unused:UNUSED_PAD src0_sel:WORD_1 src1_sel:DWORD
	v_mov_b32_e32 v109, 0
	v_mov_b32_e32 v110, 0
	s_mov_b32 s3, exec_lo
	v_cmpx_ne_u16_e32 0, v1
	s_cbranch_execz .LBB364_226
; %bb.219:                              ;   in Loop: Header=BB364_10 Depth=1
	v_bfrev_b32_e32 v110, 1
	s_mov_b32 s39, exec_lo
	v_cmpx_ne_u16_e32 0x80, v1
	s_cbranch_execz .LBB364_225
; %bb.220:                              ;   in Loop: Header=BB364_10 Depth=1
	v_bfe_u32 v12, v0, 16, 7
	v_mov_b32_e32 v110, 0x7f800001
	s_mov_b32 s40, exec_lo
	v_cmpx_ne_u32_e32 0x7f, v12
	s_cbranch_execz .LBB364_224
; %bb.221:                              ;   in Loop: Header=BB364_10 Depth=1
	v_and_b32_sdwa v1, v0, v80 dst_sel:DWORD dst_unused:UNUSED_PAD src0_sel:WORD_1 src1_sel:DWORD
	v_lshrrev_b32_e32 v11, 3, v12
	s_mov_b32 s41, exec_lo
	v_cmpx_gt_u32_e32 8, v12
; %bb.222:                              ;   in Loop: Header=BB364_10 Depth=1
	v_ffbh_u32_e32 v11, v1
	v_min_u32_e32 v11, 32, v11
	v_subrev_nc_u32_e32 v12, 28, v11
	v_sub_nc_u32_e32 v11, 29, v11
	v_lshlrev_b64 v[12:13], v12, v[1:2]
	v_and_b32_e32 v1, 7, v12
; %bb.223:                              ;   in Loop: Header=BB364_10 Depth=1
	s_or_b32 exec_lo, exec_lo, s41
	v_lshlrev_b32_sdwa v12, v81, v0 dst_sel:DWORD dst_unused:UNUSED_PAD src0_sel:DWORD src1_sel:WORD_1
	v_lshlrev_b32_e32 v1, 20, v1
	v_lshl_add_u32 v11, v11, 23, 0x3c000000
	v_and_b32_e32 v12, 0x80000000, v12
	v_or3_b32 v110, v1, v12, v11
.LBB364_224:                            ;   in Loop: Header=BB364_10 Depth=1
	s_or_b32 exec_lo, exec_lo, s40
.LBB364_225:                            ;   in Loop: Header=BB364_10 Depth=1
	s_or_b32 exec_lo, exec_lo, s39
.LBB364_226:                            ;   in Loop: Header=BB364_10 Depth=1
	s_or_b32 exec_lo, exec_lo, s3
	s_mov_b32 s3, exec_lo
	v_cmpx_lt_u32_e32 0xffffff, v0
	s_cbranch_execz .LBB364_234
; %bb.227:                              ;   in Loop: Header=BB364_10 Depth=1
	v_cmp_ne_u32_sdwa s2, v0, v77 src0_sel:BYTE_3 src1_sel:DWORD
	v_bfrev_b32_e32 v109, 1
	s_and_saveexec_b32 s39, s2
	s_cbranch_execz .LBB364_233
; %bb.228:                              ;   in Loop: Header=BB364_10 Depth=1
	v_bfe_u32 v12, v0, 24, 7
	v_mov_b32_e32 v109, 0x7f800001
	s_mov_b32 s40, exec_lo
	v_cmpx_ne_u32_e32 0x7f, v12
	s_cbranch_execz .LBB364_232
; %bb.229:                              ;   in Loop: Header=BB364_10 Depth=1
	v_and_b32_sdwa v1, v0, v80 dst_sel:DWORD dst_unused:UNUSED_PAD src0_sel:BYTE_3 src1_sel:DWORD
	v_lshrrev_b32_e32 v11, 3, v12
	s_mov_b32 s41, exec_lo
	v_cmpx_gt_u32_e32 8, v12
; %bb.230:                              ;   in Loop: Header=BB364_10 Depth=1
	v_ffbh_u32_e32 v11, v1
	v_min_u32_e32 v11, 32, v11
	v_subrev_nc_u32_e32 v12, 28, v11
	v_sub_nc_u32_e32 v11, 29, v11
	v_lshlrev_b64 v[12:13], v12, v[1:2]
	v_and_b32_e32 v1, 7, v12
; %bb.231:                              ;   in Loop: Header=BB364_10 Depth=1
	s_or_b32 exec_lo, exec_lo, s41
	v_lshlrev_b32_sdwa v0, v81, v0 dst_sel:DWORD dst_unused:UNUSED_PAD src0_sel:DWORD src1_sel:BYTE_3
	v_lshlrev_b32_e32 v1, 20, v1
	v_lshl_add_u32 v11, v11, 23, 0x3c000000
	v_and_b32_e32 v0, 0x80000000, v0
	v_or3_b32 v109, v1, v0, v11
.LBB364_232:                            ;   in Loop: Header=BB364_10 Depth=1
	s_or_b32 exec_lo, exec_lo, s40
.LBB364_233:                            ;   in Loop: Header=BB364_10 Depth=1
	s_or_b32 exec_lo, exec_lo, s39
.LBB364_234:                            ;   in Loop: Header=BB364_10 Depth=1
	s_or_b32 exec_lo, exec_lo, s3
	global_load_dword v0, v[7:8], off offset:776
	v_mov_b32_e32 v112, 0
	v_mov_b32_e32 v111, 0
	s_waitcnt vmcnt(0)
	v_cmp_ne_u16_sdwa s2, v0, v2 src0_sel:BYTE_0 src1_sel:DWORD
	s_and_saveexec_b32 s3, s2
	s_cbranch_execz .LBB364_242
; %bb.235:                              ;   in Loop: Header=BB364_10 Depth=1
	v_cmp_ne_u16_sdwa s2, v0, v77 src0_sel:BYTE_0 src1_sel:DWORD
	v_bfrev_b32_e32 v111, 1
	s_and_saveexec_b32 s39, s2
	s_cbranch_execz .LBB364_241
; %bb.236:                              ;   in Loop: Header=BB364_10 Depth=1
	v_and_b32_e32 v12, 0x7f, v0
	v_mov_b32_e32 v111, 0x7f800001
	s_mov_b32 s40, exec_lo
	v_cmpx_ne_u32_e32 0x7f, v12
	s_cbranch_execz .LBB364_240
; %bb.237:                              ;   in Loop: Header=BB364_10 Depth=1
	v_and_b32_e32 v1, 7, v0
	v_lshrrev_b32_e32 v11, 3, v12
	s_mov_b32 s41, exec_lo
	v_cmpx_gt_u32_e32 8, v12
; %bb.238:                              ;   in Loop: Header=BB364_10 Depth=1
	v_ffbh_u32_e32 v11, v1
	v_min_u32_e32 v11, 32, v11
	v_subrev_nc_u32_e32 v12, 28, v11
	v_sub_nc_u32_e32 v11, 29, v11
	v_lshlrev_b64 v[12:13], v12, v[1:2]
	v_and_b32_e32 v1, 7, v12
; %bb.239:                              ;   in Loop: Header=BB364_10 Depth=1
	s_or_b32 exec_lo, exec_lo, s41
	v_lshlrev_b32_e32 v12, 24, v0
	v_lshlrev_b32_e32 v1, 20, v1
	v_lshl_add_u32 v11, v11, 23, 0x3c000000
	v_and_b32_e32 v12, 0x80000000, v12
	v_or3_b32 v111, v1, v12, v11
.LBB364_240:                            ;   in Loop: Header=BB364_10 Depth=1
	s_or_b32 exec_lo, exec_lo, s40
.LBB364_241:                            ;   in Loop: Header=BB364_10 Depth=1
	s_or_b32 exec_lo, exec_lo, s39
.LBB364_242:                            ;   in Loop: Header=BB364_10 Depth=1
	s_or_b32 exec_lo, exec_lo, s3
	v_cmp_ne_u16_sdwa s2, v0, v2 src0_sel:BYTE_1 src1_sel:DWORD
	s_and_saveexec_b32 s3, s2
	s_cbranch_execz .LBB364_250
; %bb.243:                              ;   in Loop: Header=BB364_10 Depth=1
	v_cmp_ne_u16_sdwa s2, v0, v77 src0_sel:BYTE_1 src1_sel:DWORD
	v_bfrev_b32_e32 v112, 1
	s_and_saveexec_b32 s39, s2
	s_cbranch_execz .LBB364_249
; %bb.244:                              ;   in Loop: Header=BB364_10 Depth=1
	v_and_b32_sdwa v1, v78, v0 dst_sel:DWORD dst_unused:UNUSED_PAD src0_sel:DWORD src1_sel:BYTE_1
	v_mov_b32_e32 v112, 0x7f800001
	s_mov_b32 s40, exec_lo
	v_and_b32_e32 v12, 0x7f, v1
	v_cmpx_ne_u32_e32 0x7f, v12
	s_cbranch_execz .LBB364_248
; %bb.245:                              ;   in Loop: Header=BB364_10 Depth=1
	v_and_b32_e32 v1, 7, v1
	v_lshrrev_b32_e32 v11, 3, v12
	s_mov_b32 s41, exec_lo
	v_cmpx_gt_u32_e32 8, v12
; %bb.246:                              ;   in Loop: Header=BB364_10 Depth=1
	v_ffbh_u32_e32 v11, v1
	v_min_u32_e32 v11, 32, v11
	v_subrev_nc_u32_e32 v12, 28, v11
	v_sub_nc_u32_e32 v11, 29, v11
	v_lshlrev_b64 v[12:13], v12, v[1:2]
	v_and_b32_e32 v1, 7, v12
; %bb.247:                              ;   in Loop: Header=BB364_10 Depth=1
	s_or_b32 exec_lo, exec_lo, s41
	v_lshlrev_b32_e32 v12, 16, v0
	v_lshlrev_b32_e32 v1, 20, v1
	v_lshl_add_u32 v11, v11, 23, 0x3c000000
	v_and_b32_e32 v12, 0x80000000, v12
	v_or3_b32 v112, v1, v12, v11
.LBB364_248:                            ;   in Loop: Header=BB364_10 Depth=1
	s_or_b32 exec_lo, exec_lo, s40
.LBB364_249:                            ;   in Loop: Header=BB364_10 Depth=1
	s_or_b32 exec_lo, exec_lo, s39
.LBB364_250:                            ;   in Loop: Header=BB364_10 Depth=1
	s_or_b32 exec_lo, exec_lo, s3
	v_and_b32_sdwa v1, v0, v79 dst_sel:DWORD dst_unused:UNUSED_PAD src0_sel:WORD_1 src1_sel:DWORD
	v_mov_b32_e32 v113, 0
	v_mov_b32_e32 v114, 0
	s_mov_b32 s3, exec_lo
	v_cmpx_ne_u16_e32 0, v1
	s_cbranch_execz .LBB364_258
; %bb.251:                              ;   in Loop: Header=BB364_10 Depth=1
	v_bfrev_b32_e32 v114, 1
	s_mov_b32 s39, exec_lo
	v_cmpx_ne_u16_e32 0x80, v1
	s_cbranch_execz .LBB364_257
; %bb.252:                              ;   in Loop: Header=BB364_10 Depth=1
	v_bfe_u32 v12, v0, 16, 7
	v_mov_b32_e32 v114, 0x7f800001
	s_mov_b32 s40, exec_lo
	v_cmpx_ne_u32_e32 0x7f, v12
	s_cbranch_execz .LBB364_256
; %bb.253:                              ;   in Loop: Header=BB364_10 Depth=1
	v_and_b32_sdwa v1, v0, v80 dst_sel:DWORD dst_unused:UNUSED_PAD src0_sel:WORD_1 src1_sel:DWORD
	v_lshrrev_b32_e32 v11, 3, v12
	s_mov_b32 s41, exec_lo
	v_cmpx_gt_u32_e32 8, v12
; %bb.254:                              ;   in Loop: Header=BB364_10 Depth=1
	v_ffbh_u32_e32 v11, v1
	v_min_u32_e32 v11, 32, v11
	v_subrev_nc_u32_e32 v12, 28, v11
	v_sub_nc_u32_e32 v11, 29, v11
	v_lshlrev_b64 v[12:13], v12, v[1:2]
	v_and_b32_e32 v1, 7, v12
; %bb.255:                              ;   in Loop: Header=BB364_10 Depth=1
	s_or_b32 exec_lo, exec_lo, s41
	v_lshlrev_b32_sdwa v12, v81, v0 dst_sel:DWORD dst_unused:UNUSED_PAD src0_sel:DWORD src1_sel:WORD_1
	v_lshlrev_b32_e32 v1, 20, v1
	v_lshl_add_u32 v11, v11, 23, 0x3c000000
	v_and_b32_e32 v12, 0x80000000, v12
	v_or3_b32 v114, v1, v12, v11
.LBB364_256:                            ;   in Loop: Header=BB364_10 Depth=1
	s_or_b32 exec_lo, exec_lo, s40
.LBB364_257:                            ;   in Loop: Header=BB364_10 Depth=1
	s_or_b32 exec_lo, exec_lo, s39
.LBB364_258:                            ;   in Loop: Header=BB364_10 Depth=1
	s_or_b32 exec_lo, exec_lo, s3
	s_mov_b32 s3, exec_lo
	v_cmpx_lt_u32_e32 0xffffff, v0
	s_cbranch_execz .LBB364_266
; %bb.259:                              ;   in Loop: Header=BB364_10 Depth=1
	v_cmp_ne_u32_sdwa s2, v0, v77 src0_sel:BYTE_3 src1_sel:DWORD
	v_bfrev_b32_e32 v113, 1
	s_and_saveexec_b32 s39, s2
	s_cbranch_execz .LBB364_265
; %bb.260:                              ;   in Loop: Header=BB364_10 Depth=1
	v_bfe_u32 v12, v0, 24, 7
	v_mov_b32_e32 v113, 0x7f800001
	s_mov_b32 s40, exec_lo
	v_cmpx_ne_u32_e32 0x7f, v12
	s_cbranch_execz .LBB364_264
; %bb.261:                              ;   in Loop: Header=BB364_10 Depth=1
	v_and_b32_sdwa v1, v0, v80 dst_sel:DWORD dst_unused:UNUSED_PAD src0_sel:BYTE_3 src1_sel:DWORD
	v_lshrrev_b32_e32 v11, 3, v12
	s_mov_b32 s41, exec_lo
	v_cmpx_gt_u32_e32 8, v12
; %bb.262:                              ;   in Loop: Header=BB364_10 Depth=1
	v_ffbh_u32_e32 v11, v1
	v_min_u32_e32 v11, 32, v11
	v_subrev_nc_u32_e32 v12, 28, v11
	v_sub_nc_u32_e32 v11, 29, v11
	v_lshlrev_b64 v[12:13], v12, v[1:2]
	v_and_b32_e32 v1, 7, v12
; %bb.263:                              ;   in Loop: Header=BB364_10 Depth=1
	s_or_b32 exec_lo, exec_lo, s41
	v_lshlrev_b32_sdwa v0, v81, v0 dst_sel:DWORD dst_unused:UNUSED_PAD src0_sel:DWORD src1_sel:BYTE_3
	v_lshlrev_b32_e32 v1, 20, v1
	v_lshl_add_u32 v11, v11, 23, 0x3c000000
	v_and_b32_e32 v0, 0x80000000, v0
	v_or3_b32 v113, v1, v0, v11
.LBB364_264:                            ;   in Loop: Header=BB364_10 Depth=1
	s_or_b32 exec_lo, exec_lo, s40
.LBB364_265:                            ;   in Loop: Header=BB364_10 Depth=1
	s_or_b32 exec_lo, exec_lo, s39
.LBB364_266:                            ;   in Loop: Header=BB364_10 Depth=1
	s_or_b32 exec_lo, exec_lo, s3
	global_load_dword v0, v[7:8], off offset:1024
	v_mov_b32_e32 v116, 0
	v_mov_b32_e32 v115, 0
	s_waitcnt vmcnt(0)
	v_cmp_ne_u16_sdwa s2, v0, v2 src0_sel:BYTE_0 src1_sel:DWORD
	s_and_saveexec_b32 s3, s2
	s_cbranch_execz .LBB364_274
; %bb.267:                              ;   in Loop: Header=BB364_10 Depth=1
	v_cmp_ne_u16_sdwa s2, v0, v77 src0_sel:BYTE_0 src1_sel:DWORD
	v_bfrev_b32_e32 v115, 1
	s_and_saveexec_b32 s39, s2
	s_cbranch_execz .LBB364_273
; %bb.268:                              ;   in Loop: Header=BB364_10 Depth=1
	v_and_b32_e32 v12, 0x7f, v0
	v_mov_b32_e32 v115, 0x7f800001
	s_mov_b32 s40, exec_lo
	v_cmpx_ne_u32_e32 0x7f, v12
	s_cbranch_execz .LBB364_272
; %bb.269:                              ;   in Loop: Header=BB364_10 Depth=1
	v_and_b32_e32 v1, 7, v0
	v_lshrrev_b32_e32 v11, 3, v12
	s_mov_b32 s41, exec_lo
	v_cmpx_gt_u32_e32 8, v12
; %bb.270:                              ;   in Loop: Header=BB364_10 Depth=1
	v_ffbh_u32_e32 v11, v1
	v_min_u32_e32 v11, 32, v11
	v_subrev_nc_u32_e32 v12, 28, v11
	v_sub_nc_u32_e32 v11, 29, v11
	v_lshlrev_b64 v[12:13], v12, v[1:2]
	v_and_b32_e32 v1, 7, v12
; %bb.271:                              ;   in Loop: Header=BB364_10 Depth=1
	s_or_b32 exec_lo, exec_lo, s41
	v_lshlrev_b32_e32 v12, 24, v0
	v_lshlrev_b32_e32 v1, 20, v1
	v_lshl_add_u32 v11, v11, 23, 0x3c000000
	v_and_b32_e32 v12, 0x80000000, v12
	v_or3_b32 v115, v1, v12, v11
.LBB364_272:                            ;   in Loop: Header=BB364_10 Depth=1
	s_or_b32 exec_lo, exec_lo, s40
.LBB364_273:                            ;   in Loop: Header=BB364_10 Depth=1
	s_or_b32 exec_lo, exec_lo, s39
.LBB364_274:                            ;   in Loop: Header=BB364_10 Depth=1
	s_or_b32 exec_lo, exec_lo, s3
	v_cmp_ne_u16_sdwa s2, v0, v2 src0_sel:BYTE_1 src1_sel:DWORD
	s_and_saveexec_b32 s3, s2
	s_cbranch_execz .LBB364_282
; %bb.275:                              ;   in Loop: Header=BB364_10 Depth=1
	v_cmp_ne_u16_sdwa s2, v0, v77 src0_sel:BYTE_1 src1_sel:DWORD
	v_bfrev_b32_e32 v116, 1
	s_and_saveexec_b32 s39, s2
	s_cbranch_execz .LBB364_281
; %bb.276:                              ;   in Loop: Header=BB364_10 Depth=1
	v_and_b32_sdwa v1, v78, v0 dst_sel:DWORD dst_unused:UNUSED_PAD src0_sel:DWORD src1_sel:BYTE_1
	v_mov_b32_e32 v116, 0x7f800001
	s_mov_b32 s40, exec_lo
	v_and_b32_e32 v12, 0x7f, v1
	v_cmpx_ne_u32_e32 0x7f, v12
	s_cbranch_execz .LBB364_280
; %bb.277:                              ;   in Loop: Header=BB364_10 Depth=1
	v_and_b32_e32 v1, 7, v1
	v_lshrrev_b32_e32 v11, 3, v12
	s_mov_b32 s41, exec_lo
	v_cmpx_gt_u32_e32 8, v12
; %bb.278:                              ;   in Loop: Header=BB364_10 Depth=1
	v_ffbh_u32_e32 v11, v1
	v_min_u32_e32 v11, 32, v11
	v_subrev_nc_u32_e32 v12, 28, v11
	v_sub_nc_u32_e32 v11, 29, v11
	v_lshlrev_b64 v[12:13], v12, v[1:2]
	v_and_b32_e32 v1, 7, v12
; %bb.279:                              ;   in Loop: Header=BB364_10 Depth=1
	s_or_b32 exec_lo, exec_lo, s41
	v_lshlrev_b32_e32 v12, 16, v0
	v_lshlrev_b32_e32 v1, 20, v1
	v_lshl_add_u32 v11, v11, 23, 0x3c000000
	v_and_b32_e32 v12, 0x80000000, v12
	v_or3_b32 v116, v1, v12, v11
.LBB364_280:                            ;   in Loop: Header=BB364_10 Depth=1
	s_or_b32 exec_lo, exec_lo, s40
.LBB364_281:                            ;   in Loop: Header=BB364_10 Depth=1
	s_or_b32 exec_lo, exec_lo, s39
.LBB364_282:                            ;   in Loop: Header=BB364_10 Depth=1
	s_or_b32 exec_lo, exec_lo, s3
	v_and_b32_sdwa v1, v0, v79 dst_sel:DWORD dst_unused:UNUSED_PAD src0_sel:WORD_1 src1_sel:DWORD
	v_mov_b32_e32 v117, 0
	v_mov_b32_e32 v118, 0
	s_mov_b32 s3, exec_lo
	v_cmpx_ne_u16_e32 0, v1
	s_cbranch_execz .LBB364_290
; %bb.283:                              ;   in Loop: Header=BB364_10 Depth=1
	v_bfrev_b32_e32 v118, 1
	s_mov_b32 s39, exec_lo
	v_cmpx_ne_u16_e32 0x80, v1
	s_cbranch_execz .LBB364_289
; %bb.284:                              ;   in Loop: Header=BB364_10 Depth=1
	v_bfe_u32 v12, v0, 16, 7
	v_mov_b32_e32 v118, 0x7f800001
	s_mov_b32 s40, exec_lo
	v_cmpx_ne_u32_e32 0x7f, v12
	s_cbranch_execz .LBB364_288
; %bb.285:                              ;   in Loop: Header=BB364_10 Depth=1
	v_and_b32_sdwa v1, v0, v80 dst_sel:DWORD dst_unused:UNUSED_PAD src0_sel:WORD_1 src1_sel:DWORD
	v_lshrrev_b32_e32 v11, 3, v12
	s_mov_b32 s41, exec_lo
	v_cmpx_gt_u32_e32 8, v12
; %bb.286:                              ;   in Loop: Header=BB364_10 Depth=1
	v_ffbh_u32_e32 v11, v1
	v_min_u32_e32 v11, 32, v11
	v_subrev_nc_u32_e32 v12, 28, v11
	v_sub_nc_u32_e32 v11, 29, v11
	v_lshlrev_b64 v[12:13], v12, v[1:2]
	v_and_b32_e32 v1, 7, v12
; %bb.287:                              ;   in Loop: Header=BB364_10 Depth=1
	s_or_b32 exec_lo, exec_lo, s41
	v_lshlrev_b32_sdwa v12, v81, v0 dst_sel:DWORD dst_unused:UNUSED_PAD src0_sel:DWORD src1_sel:WORD_1
	v_lshlrev_b32_e32 v1, 20, v1
	v_lshl_add_u32 v11, v11, 23, 0x3c000000
	v_and_b32_e32 v12, 0x80000000, v12
	v_or3_b32 v118, v1, v12, v11
.LBB364_288:                            ;   in Loop: Header=BB364_10 Depth=1
	s_or_b32 exec_lo, exec_lo, s40
.LBB364_289:                            ;   in Loop: Header=BB364_10 Depth=1
	s_or_b32 exec_lo, exec_lo, s39
.LBB364_290:                            ;   in Loop: Header=BB364_10 Depth=1
	s_or_b32 exec_lo, exec_lo, s3
	s_mov_b32 s3, exec_lo
	v_cmpx_lt_u32_e32 0xffffff, v0
	s_cbranch_execz .LBB364_298
; %bb.291:                              ;   in Loop: Header=BB364_10 Depth=1
	v_cmp_ne_u32_sdwa s2, v0, v77 src0_sel:BYTE_3 src1_sel:DWORD
	v_bfrev_b32_e32 v117, 1
	s_and_saveexec_b32 s39, s2
	s_cbranch_execz .LBB364_297
; %bb.292:                              ;   in Loop: Header=BB364_10 Depth=1
	v_bfe_u32 v12, v0, 24, 7
	v_mov_b32_e32 v117, 0x7f800001
	s_mov_b32 s40, exec_lo
	v_cmpx_ne_u32_e32 0x7f, v12
	s_cbranch_execz .LBB364_296
; %bb.293:                              ;   in Loop: Header=BB364_10 Depth=1
	v_and_b32_sdwa v1, v0, v80 dst_sel:DWORD dst_unused:UNUSED_PAD src0_sel:BYTE_3 src1_sel:DWORD
	v_lshrrev_b32_e32 v11, 3, v12
	s_mov_b32 s41, exec_lo
	v_cmpx_gt_u32_e32 8, v12
; %bb.294:                              ;   in Loop: Header=BB364_10 Depth=1
	v_ffbh_u32_e32 v11, v1
	v_min_u32_e32 v11, 32, v11
	v_subrev_nc_u32_e32 v12, 28, v11
	v_sub_nc_u32_e32 v11, 29, v11
	v_lshlrev_b64 v[12:13], v12, v[1:2]
	v_and_b32_e32 v1, 7, v12
; %bb.295:                              ;   in Loop: Header=BB364_10 Depth=1
	s_or_b32 exec_lo, exec_lo, s41
	v_lshlrev_b32_sdwa v0, v81, v0 dst_sel:DWORD dst_unused:UNUSED_PAD src0_sel:DWORD src1_sel:BYTE_3
	v_lshlrev_b32_e32 v1, 20, v1
	v_lshl_add_u32 v11, v11, 23, 0x3c000000
	v_and_b32_e32 v0, 0x80000000, v0
	v_or3_b32 v117, v1, v0, v11
.LBB364_296:                            ;   in Loop: Header=BB364_10 Depth=1
	s_or_b32 exec_lo, exec_lo, s40
.LBB364_297:                            ;   in Loop: Header=BB364_10 Depth=1
	s_or_b32 exec_lo, exec_lo, s39
.LBB364_298:                            ;   in Loop: Header=BB364_10 Depth=1
	s_or_b32 exec_lo, exec_lo, s3
	global_load_dword v0, v[7:8], off offset:1032
	v_mov_b32_e32 v120, 0
	v_mov_b32_e32 v119, 0
	s_waitcnt vmcnt(0)
	v_cmp_ne_u16_sdwa s2, v0, v2 src0_sel:BYTE_0 src1_sel:DWORD
	s_and_saveexec_b32 s3, s2
	s_cbranch_execz .LBB364_306
; %bb.299:                              ;   in Loop: Header=BB364_10 Depth=1
	v_cmp_ne_u16_sdwa s2, v0, v77 src0_sel:BYTE_0 src1_sel:DWORD
	v_bfrev_b32_e32 v119, 1
	s_and_saveexec_b32 s39, s2
	s_cbranch_execz .LBB364_305
; %bb.300:                              ;   in Loop: Header=BB364_10 Depth=1
	v_and_b32_e32 v12, 0x7f, v0
	v_mov_b32_e32 v119, 0x7f800001
	s_mov_b32 s40, exec_lo
	v_cmpx_ne_u32_e32 0x7f, v12
	s_cbranch_execz .LBB364_304
; %bb.301:                              ;   in Loop: Header=BB364_10 Depth=1
	v_and_b32_e32 v1, 7, v0
	v_lshrrev_b32_e32 v11, 3, v12
	s_mov_b32 s41, exec_lo
	v_cmpx_gt_u32_e32 8, v12
; %bb.302:                              ;   in Loop: Header=BB364_10 Depth=1
	v_ffbh_u32_e32 v11, v1
	v_min_u32_e32 v11, 32, v11
	v_subrev_nc_u32_e32 v12, 28, v11
	v_sub_nc_u32_e32 v11, 29, v11
	v_lshlrev_b64 v[12:13], v12, v[1:2]
	v_and_b32_e32 v1, 7, v12
; %bb.303:                              ;   in Loop: Header=BB364_10 Depth=1
	s_or_b32 exec_lo, exec_lo, s41
	v_lshlrev_b32_e32 v12, 24, v0
	v_lshlrev_b32_e32 v1, 20, v1
	v_lshl_add_u32 v11, v11, 23, 0x3c000000
	v_and_b32_e32 v12, 0x80000000, v12
	v_or3_b32 v119, v1, v12, v11
.LBB364_304:                            ;   in Loop: Header=BB364_10 Depth=1
	s_or_b32 exec_lo, exec_lo, s40
.LBB364_305:                            ;   in Loop: Header=BB364_10 Depth=1
	s_or_b32 exec_lo, exec_lo, s39
.LBB364_306:                            ;   in Loop: Header=BB364_10 Depth=1
	s_or_b32 exec_lo, exec_lo, s3
	v_cmp_ne_u16_sdwa s2, v0, v2 src0_sel:BYTE_1 src1_sel:DWORD
	s_and_saveexec_b32 s3, s2
	s_cbranch_execz .LBB364_314
; %bb.307:                              ;   in Loop: Header=BB364_10 Depth=1
	v_cmp_ne_u16_sdwa s2, v0, v77 src0_sel:BYTE_1 src1_sel:DWORD
	v_bfrev_b32_e32 v120, 1
	s_and_saveexec_b32 s39, s2
	s_cbranch_execz .LBB364_313
; %bb.308:                              ;   in Loop: Header=BB364_10 Depth=1
	v_and_b32_sdwa v1, v78, v0 dst_sel:DWORD dst_unused:UNUSED_PAD src0_sel:DWORD src1_sel:BYTE_1
	v_mov_b32_e32 v120, 0x7f800001
	s_mov_b32 s40, exec_lo
	v_and_b32_e32 v12, 0x7f, v1
	v_cmpx_ne_u32_e32 0x7f, v12
	s_cbranch_execz .LBB364_312
; %bb.309:                              ;   in Loop: Header=BB364_10 Depth=1
	v_and_b32_e32 v1, 7, v1
	v_lshrrev_b32_e32 v11, 3, v12
	s_mov_b32 s41, exec_lo
	v_cmpx_gt_u32_e32 8, v12
; %bb.310:                              ;   in Loop: Header=BB364_10 Depth=1
	v_ffbh_u32_e32 v11, v1
	v_min_u32_e32 v11, 32, v11
	v_subrev_nc_u32_e32 v12, 28, v11
	v_sub_nc_u32_e32 v11, 29, v11
	v_lshlrev_b64 v[12:13], v12, v[1:2]
	v_and_b32_e32 v1, 7, v12
; %bb.311:                              ;   in Loop: Header=BB364_10 Depth=1
	s_or_b32 exec_lo, exec_lo, s41
	v_lshlrev_b32_e32 v12, 16, v0
	v_lshlrev_b32_e32 v1, 20, v1
	v_lshl_add_u32 v11, v11, 23, 0x3c000000
	v_and_b32_e32 v12, 0x80000000, v12
	v_or3_b32 v120, v1, v12, v11
.LBB364_312:                            ;   in Loop: Header=BB364_10 Depth=1
	s_or_b32 exec_lo, exec_lo, s40
.LBB364_313:                            ;   in Loop: Header=BB364_10 Depth=1
	s_or_b32 exec_lo, exec_lo, s39
.LBB364_314:                            ;   in Loop: Header=BB364_10 Depth=1
	s_or_b32 exec_lo, exec_lo, s3
	v_and_b32_sdwa v1, v0, v79 dst_sel:DWORD dst_unused:UNUSED_PAD src0_sel:WORD_1 src1_sel:DWORD
	v_mov_b32_e32 v121, 0
	v_mov_b32_e32 v122, 0
	s_mov_b32 s3, exec_lo
	v_cmpx_ne_u16_e32 0, v1
	s_cbranch_execz .LBB364_322
; %bb.315:                              ;   in Loop: Header=BB364_10 Depth=1
	v_bfrev_b32_e32 v122, 1
	s_mov_b32 s39, exec_lo
	v_cmpx_ne_u16_e32 0x80, v1
	s_cbranch_execz .LBB364_321
; %bb.316:                              ;   in Loop: Header=BB364_10 Depth=1
	v_bfe_u32 v12, v0, 16, 7
	v_mov_b32_e32 v122, 0x7f800001
	s_mov_b32 s40, exec_lo
	v_cmpx_ne_u32_e32 0x7f, v12
	s_cbranch_execz .LBB364_320
; %bb.317:                              ;   in Loop: Header=BB364_10 Depth=1
	v_and_b32_sdwa v1, v0, v80 dst_sel:DWORD dst_unused:UNUSED_PAD src0_sel:WORD_1 src1_sel:DWORD
	v_lshrrev_b32_e32 v11, 3, v12
	s_mov_b32 s41, exec_lo
	v_cmpx_gt_u32_e32 8, v12
; %bb.318:                              ;   in Loop: Header=BB364_10 Depth=1
	v_ffbh_u32_e32 v11, v1
	v_min_u32_e32 v11, 32, v11
	v_subrev_nc_u32_e32 v12, 28, v11
	v_sub_nc_u32_e32 v11, 29, v11
	v_lshlrev_b64 v[12:13], v12, v[1:2]
	v_and_b32_e32 v1, 7, v12
; %bb.319:                              ;   in Loop: Header=BB364_10 Depth=1
	s_or_b32 exec_lo, exec_lo, s41
	v_lshlrev_b32_sdwa v12, v81, v0 dst_sel:DWORD dst_unused:UNUSED_PAD src0_sel:DWORD src1_sel:WORD_1
	v_lshlrev_b32_e32 v1, 20, v1
	v_lshl_add_u32 v11, v11, 23, 0x3c000000
	v_and_b32_e32 v12, 0x80000000, v12
	v_or3_b32 v122, v1, v12, v11
.LBB364_320:                            ;   in Loop: Header=BB364_10 Depth=1
	s_or_b32 exec_lo, exec_lo, s40
.LBB364_321:                            ;   in Loop: Header=BB364_10 Depth=1
	s_or_b32 exec_lo, exec_lo, s39
.LBB364_322:                            ;   in Loop: Header=BB364_10 Depth=1
	s_or_b32 exec_lo, exec_lo, s3
	s_mov_b32 s3, exec_lo
	v_cmpx_lt_u32_e32 0xffffff, v0
	s_cbranch_execz .LBB364_330
; %bb.323:                              ;   in Loop: Header=BB364_10 Depth=1
	v_cmp_ne_u32_sdwa s2, v0, v77 src0_sel:BYTE_3 src1_sel:DWORD
	v_bfrev_b32_e32 v121, 1
	s_and_saveexec_b32 s39, s2
	s_cbranch_execz .LBB364_329
; %bb.324:                              ;   in Loop: Header=BB364_10 Depth=1
	v_bfe_u32 v12, v0, 24, 7
	v_mov_b32_e32 v121, 0x7f800001
	s_mov_b32 s40, exec_lo
	v_cmpx_ne_u32_e32 0x7f, v12
	s_cbranch_execz .LBB364_328
; %bb.325:                              ;   in Loop: Header=BB364_10 Depth=1
	v_and_b32_sdwa v1, v0, v80 dst_sel:DWORD dst_unused:UNUSED_PAD src0_sel:BYTE_3 src1_sel:DWORD
	v_lshrrev_b32_e32 v11, 3, v12
	s_mov_b32 s41, exec_lo
	v_cmpx_gt_u32_e32 8, v12
; %bb.326:                              ;   in Loop: Header=BB364_10 Depth=1
	v_ffbh_u32_e32 v11, v1
	v_min_u32_e32 v11, 32, v11
	v_subrev_nc_u32_e32 v12, 28, v11
	v_sub_nc_u32_e32 v11, 29, v11
	v_lshlrev_b64 v[12:13], v12, v[1:2]
	v_and_b32_e32 v1, 7, v12
; %bb.327:                              ;   in Loop: Header=BB364_10 Depth=1
	s_or_b32 exec_lo, exec_lo, s41
	v_lshlrev_b32_sdwa v0, v81, v0 dst_sel:DWORD dst_unused:UNUSED_PAD src0_sel:DWORD src1_sel:BYTE_3
	v_lshlrev_b32_e32 v1, 20, v1
	v_lshl_add_u32 v11, v11, 23, 0x3c000000
	v_and_b32_e32 v0, 0x80000000, v0
	v_or3_b32 v121, v1, v0, v11
.LBB364_328:                            ;   in Loop: Header=BB364_10 Depth=1
	s_or_b32 exec_lo, exec_lo, s40
.LBB364_329:                            ;   in Loop: Header=BB364_10 Depth=1
	s_or_b32 exec_lo, exec_lo, s39
.LBB364_330:                            ;   in Loop: Header=BB364_10 Depth=1
	s_or_b32 exec_lo, exec_lo, s3
	global_load_dword v0, v[7:8], off offset:1280
	v_mov_b32_e32 v124, 0
	v_mov_b32_e32 v123, 0
	s_waitcnt vmcnt(0)
	v_cmp_ne_u16_sdwa s2, v0, v2 src0_sel:BYTE_0 src1_sel:DWORD
	s_and_saveexec_b32 s3, s2
	s_cbranch_execz .LBB364_338
; %bb.331:                              ;   in Loop: Header=BB364_10 Depth=1
	v_cmp_ne_u16_sdwa s2, v0, v77 src0_sel:BYTE_0 src1_sel:DWORD
	v_bfrev_b32_e32 v123, 1
	s_and_saveexec_b32 s39, s2
	s_cbranch_execz .LBB364_337
; %bb.332:                              ;   in Loop: Header=BB364_10 Depth=1
	v_and_b32_e32 v12, 0x7f, v0
	v_mov_b32_e32 v123, 0x7f800001
	s_mov_b32 s40, exec_lo
	v_cmpx_ne_u32_e32 0x7f, v12
	s_cbranch_execz .LBB364_336
; %bb.333:                              ;   in Loop: Header=BB364_10 Depth=1
	v_and_b32_e32 v1, 7, v0
	v_lshrrev_b32_e32 v11, 3, v12
	s_mov_b32 s41, exec_lo
	v_cmpx_gt_u32_e32 8, v12
; %bb.334:                              ;   in Loop: Header=BB364_10 Depth=1
	v_ffbh_u32_e32 v11, v1
	v_min_u32_e32 v11, 32, v11
	v_subrev_nc_u32_e32 v12, 28, v11
	v_sub_nc_u32_e32 v11, 29, v11
	v_lshlrev_b64 v[12:13], v12, v[1:2]
	v_and_b32_e32 v1, 7, v12
; %bb.335:                              ;   in Loop: Header=BB364_10 Depth=1
	s_or_b32 exec_lo, exec_lo, s41
	v_lshlrev_b32_e32 v12, 24, v0
	v_lshlrev_b32_e32 v1, 20, v1
	v_lshl_add_u32 v11, v11, 23, 0x3c000000
	v_and_b32_e32 v12, 0x80000000, v12
	v_or3_b32 v123, v1, v12, v11
.LBB364_336:                            ;   in Loop: Header=BB364_10 Depth=1
	s_or_b32 exec_lo, exec_lo, s40
.LBB364_337:                            ;   in Loop: Header=BB364_10 Depth=1
	s_or_b32 exec_lo, exec_lo, s39
.LBB364_338:                            ;   in Loop: Header=BB364_10 Depth=1
	s_or_b32 exec_lo, exec_lo, s3
	v_cmp_ne_u16_sdwa s2, v0, v2 src0_sel:BYTE_1 src1_sel:DWORD
	s_and_saveexec_b32 s3, s2
	s_cbranch_execz .LBB364_346
; %bb.339:                              ;   in Loop: Header=BB364_10 Depth=1
	v_cmp_ne_u16_sdwa s2, v0, v77 src0_sel:BYTE_1 src1_sel:DWORD
	v_bfrev_b32_e32 v124, 1
	s_and_saveexec_b32 s39, s2
	s_cbranch_execz .LBB364_345
; %bb.340:                              ;   in Loop: Header=BB364_10 Depth=1
	v_and_b32_sdwa v1, v78, v0 dst_sel:DWORD dst_unused:UNUSED_PAD src0_sel:DWORD src1_sel:BYTE_1
	v_mov_b32_e32 v124, 0x7f800001
	s_mov_b32 s40, exec_lo
	v_and_b32_e32 v12, 0x7f, v1
	v_cmpx_ne_u32_e32 0x7f, v12
	s_cbranch_execz .LBB364_344
; %bb.341:                              ;   in Loop: Header=BB364_10 Depth=1
	v_and_b32_e32 v1, 7, v1
	v_lshrrev_b32_e32 v11, 3, v12
	s_mov_b32 s41, exec_lo
	v_cmpx_gt_u32_e32 8, v12
; %bb.342:                              ;   in Loop: Header=BB364_10 Depth=1
	v_ffbh_u32_e32 v11, v1
	v_min_u32_e32 v11, 32, v11
	v_subrev_nc_u32_e32 v12, 28, v11
	v_sub_nc_u32_e32 v11, 29, v11
	v_lshlrev_b64 v[12:13], v12, v[1:2]
	v_and_b32_e32 v1, 7, v12
; %bb.343:                              ;   in Loop: Header=BB364_10 Depth=1
	s_or_b32 exec_lo, exec_lo, s41
	v_lshlrev_b32_e32 v12, 16, v0
	v_lshlrev_b32_e32 v1, 20, v1
	v_lshl_add_u32 v11, v11, 23, 0x3c000000
	v_and_b32_e32 v12, 0x80000000, v12
	v_or3_b32 v124, v1, v12, v11
.LBB364_344:                            ;   in Loop: Header=BB364_10 Depth=1
	s_or_b32 exec_lo, exec_lo, s40
.LBB364_345:                            ;   in Loop: Header=BB364_10 Depth=1
	s_or_b32 exec_lo, exec_lo, s39
.LBB364_346:                            ;   in Loop: Header=BB364_10 Depth=1
	s_or_b32 exec_lo, exec_lo, s3
	v_and_b32_sdwa v1, v0, v79 dst_sel:DWORD dst_unused:UNUSED_PAD src0_sel:WORD_1 src1_sel:DWORD
	v_mov_b32_e32 v125, 0
	v_mov_b32_e32 v126, 0
	s_mov_b32 s3, exec_lo
	v_cmpx_ne_u16_e32 0, v1
	s_cbranch_execz .LBB364_354
; %bb.347:                              ;   in Loop: Header=BB364_10 Depth=1
	v_bfrev_b32_e32 v126, 1
	s_mov_b32 s39, exec_lo
	v_cmpx_ne_u16_e32 0x80, v1
	s_cbranch_execz .LBB364_353
; %bb.348:                              ;   in Loop: Header=BB364_10 Depth=1
	v_bfe_u32 v12, v0, 16, 7
	v_mov_b32_e32 v126, 0x7f800001
	s_mov_b32 s40, exec_lo
	v_cmpx_ne_u32_e32 0x7f, v12
	s_cbranch_execz .LBB364_352
; %bb.349:                              ;   in Loop: Header=BB364_10 Depth=1
	v_and_b32_sdwa v1, v0, v80 dst_sel:DWORD dst_unused:UNUSED_PAD src0_sel:WORD_1 src1_sel:DWORD
	v_lshrrev_b32_e32 v11, 3, v12
	s_mov_b32 s41, exec_lo
	v_cmpx_gt_u32_e32 8, v12
; %bb.350:                              ;   in Loop: Header=BB364_10 Depth=1
	v_ffbh_u32_e32 v11, v1
	v_min_u32_e32 v11, 32, v11
	v_subrev_nc_u32_e32 v12, 28, v11
	v_sub_nc_u32_e32 v11, 29, v11
	v_lshlrev_b64 v[12:13], v12, v[1:2]
	v_and_b32_e32 v1, 7, v12
; %bb.351:                              ;   in Loop: Header=BB364_10 Depth=1
	s_or_b32 exec_lo, exec_lo, s41
	v_lshlrev_b32_sdwa v12, v81, v0 dst_sel:DWORD dst_unused:UNUSED_PAD src0_sel:DWORD src1_sel:WORD_1
	v_lshlrev_b32_e32 v1, 20, v1
	v_lshl_add_u32 v11, v11, 23, 0x3c000000
	v_and_b32_e32 v12, 0x80000000, v12
	v_or3_b32 v126, v1, v12, v11
.LBB364_352:                            ;   in Loop: Header=BB364_10 Depth=1
	s_or_b32 exec_lo, exec_lo, s40
.LBB364_353:                            ;   in Loop: Header=BB364_10 Depth=1
	s_or_b32 exec_lo, exec_lo, s39
.LBB364_354:                            ;   in Loop: Header=BB364_10 Depth=1
	s_or_b32 exec_lo, exec_lo, s3
	s_mov_b32 s3, exec_lo
	v_cmpx_lt_u32_e32 0xffffff, v0
	s_cbranch_execz .LBB364_362
; %bb.355:                              ;   in Loop: Header=BB364_10 Depth=1
	v_cmp_ne_u32_sdwa s2, v0, v77 src0_sel:BYTE_3 src1_sel:DWORD
	v_bfrev_b32_e32 v125, 1
	s_and_saveexec_b32 s39, s2
	s_cbranch_execz .LBB364_361
; %bb.356:                              ;   in Loop: Header=BB364_10 Depth=1
	v_bfe_u32 v12, v0, 24, 7
	v_mov_b32_e32 v125, 0x7f800001
	s_mov_b32 s40, exec_lo
	v_cmpx_ne_u32_e32 0x7f, v12
	s_cbranch_execz .LBB364_360
; %bb.357:                              ;   in Loop: Header=BB364_10 Depth=1
	v_and_b32_sdwa v1, v0, v80 dst_sel:DWORD dst_unused:UNUSED_PAD src0_sel:BYTE_3 src1_sel:DWORD
	v_lshrrev_b32_e32 v11, 3, v12
	s_mov_b32 s41, exec_lo
	v_cmpx_gt_u32_e32 8, v12
; %bb.358:                              ;   in Loop: Header=BB364_10 Depth=1
	v_ffbh_u32_e32 v11, v1
	v_min_u32_e32 v11, 32, v11
	v_subrev_nc_u32_e32 v12, 28, v11
	v_sub_nc_u32_e32 v11, 29, v11
	v_lshlrev_b64 v[12:13], v12, v[1:2]
	v_and_b32_e32 v1, 7, v12
; %bb.359:                              ;   in Loop: Header=BB364_10 Depth=1
	s_or_b32 exec_lo, exec_lo, s41
	v_lshlrev_b32_sdwa v0, v81, v0 dst_sel:DWORD dst_unused:UNUSED_PAD src0_sel:DWORD src1_sel:BYTE_3
	v_lshlrev_b32_e32 v1, 20, v1
	v_lshl_add_u32 v11, v11, 23, 0x3c000000
	v_and_b32_e32 v0, 0x80000000, v0
	v_or3_b32 v125, v1, v0, v11
.LBB364_360:                            ;   in Loop: Header=BB364_10 Depth=1
	s_or_b32 exec_lo, exec_lo, s40
.LBB364_361:                            ;   in Loop: Header=BB364_10 Depth=1
	s_or_b32 exec_lo, exec_lo, s39
.LBB364_362:                            ;   in Loop: Header=BB364_10 Depth=1
	s_or_b32 exec_lo, exec_lo, s3
	global_load_dword v0, v[7:8], off offset:1288
	v_mov_b32_e32 v35, 0
	v_mov_b32_e32 v12, 0
	s_waitcnt vmcnt(0)
	v_cmp_ne_u16_sdwa s2, v0, v2 src0_sel:BYTE_0 src1_sel:DWORD
	s_and_saveexec_b32 s3, s2
	s_cbranch_execz .LBB364_370
; %bb.363:                              ;   in Loop: Header=BB364_10 Depth=1
	v_cmp_ne_u16_sdwa s2, v0, v77 src0_sel:BYTE_0 src1_sel:DWORD
	v_bfrev_b32_e32 v12, 1
	s_and_saveexec_b32 s39, s2
	s_cbranch_execz .LBB364_369
; %bb.364:                              ;   in Loop: Header=BB364_10 Depth=1
	v_and_b32_e32 v13, 0x7f, v0
	v_mov_b32_e32 v12, 0x7f800001
	s_mov_b32 s40, exec_lo
	v_cmpx_ne_u32_e32 0x7f, v13
	s_cbranch_execz .LBB364_368
; %bb.365:                              ;   in Loop: Header=BB364_10 Depth=1
	v_and_b32_e32 v1, 7, v0
	v_lshrrev_b32_e32 v11, 3, v13
	s_mov_b32 s41, exec_lo
	v_cmpx_gt_u32_e32 8, v13
; %bb.366:                              ;   in Loop: Header=BB364_10 Depth=1
	v_ffbh_u32_e32 v11, v1
	v_min_u32_e32 v11, 32, v11
	v_subrev_nc_u32_e32 v12, 28, v11
	v_sub_nc_u32_e32 v11, 29, v11
	v_lshlrev_b64 v[12:13], v12, v[1:2]
	v_and_b32_e32 v1, 7, v12
; %bb.367:                              ;   in Loop: Header=BB364_10 Depth=1
	s_or_b32 exec_lo, exec_lo, s41
	v_lshlrev_b32_e32 v12, 24, v0
	v_lshlrev_b32_e32 v1, 20, v1
	v_lshl_add_u32 v11, v11, 23, 0x3c000000
	v_and_b32_e32 v12, 0x80000000, v12
	v_or3_b32 v12, v1, v12, v11
.LBB364_368:                            ;   in Loop: Header=BB364_10 Depth=1
	s_or_b32 exec_lo, exec_lo, s40
.LBB364_369:                            ;   in Loop: Header=BB364_10 Depth=1
	s_or_b32 exec_lo, exec_lo, s39
.LBB364_370:                            ;   in Loop: Header=BB364_10 Depth=1
	s_or_b32 exec_lo, exec_lo, s3
	v_cmp_ne_u16_sdwa s2, v0, v2 src0_sel:BYTE_1 src1_sel:DWORD
	s_and_saveexec_b32 s3, s2
	s_cbranch_execz .LBB364_378
; %bb.371:                              ;   in Loop: Header=BB364_10 Depth=1
	v_cmp_ne_u16_sdwa s2, v0, v77 src0_sel:BYTE_1 src1_sel:DWORD
	v_bfrev_b32_e32 v35, 1
	s_and_saveexec_b32 s39, s2
	s_cbranch_execz .LBB364_377
; %bb.372:                              ;   in Loop: Header=BB364_10 Depth=1
	v_and_b32_sdwa v1, v78, v0 dst_sel:DWORD dst_unused:UNUSED_PAD src0_sel:DWORD src1_sel:BYTE_1
	v_mov_b32_e32 v35, 0x7f800001
	s_mov_b32 s40, exec_lo
	v_and_b32_e32 v13, 0x7f, v1
	v_cmpx_ne_u32_e32 0x7f, v13
	s_cbranch_execz .LBB364_376
; %bb.373:                              ;   in Loop: Header=BB364_10 Depth=1
	v_and_b32_e32 v1, 7, v1
	v_lshrrev_b32_e32 v11, 3, v13
	s_mov_b32 s41, exec_lo
	v_cmpx_gt_u32_e32 8, v13
; %bb.374:                              ;   in Loop: Header=BB364_10 Depth=1
	v_ffbh_u32_e32 v11, v1
	v_min_u32_e32 v11, 32, v11
	v_subrev_nc_u32_e32 v13, 28, v11
	v_sub_nc_u32_e32 v11, 29, v11
	v_lshlrev_b64 v[13:14], v13, v[1:2]
	v_and_b32_e32 v1, 7, v13
; %bb.375:                              ;   in Loop: Header=BB364_10 Depth=1
	s_or_b32 exec_lo, exec_lo, s41
	v_lshlrev_b32_e32 v13, 16, v0
	v_lshlrev_b32_e32 v1, 20, v1
	v_lshl_add_u32 v11, v11, 23, 0x3c000000
	v_and_b32_e32 v13, 0x80000000, v13
	v_or3_b32 v35, v1, v13, v11
.LBB364_376:                            ;   in Loop: Header=BB364_10 Depth=1
	s_or_b32 exec_lo, exec_lo, s40
.LBB364_377:                            ;   in Loop: Header=BB364_10 Depth=1
	s_or_b32 exec_lo, exec_lo, s39
.LBB364_378:                            ;   in Loop: Header=BB364_10 Depth=1
	s_or_b32 exec_lo, exec_lo, s3
	v_and_b32_sdwa v1, v0, v79 dst_sel:DWORD dst_unused:UNUSED_PAD src0_sel:WORD_1 src1_sel:DWORD
	v_mov_b32_e32 v24, 0
	v_mov_b32_e32 v11, 0
	s_mov_b32 s3, exec_lo
	v_cmpx_ne_u16_e32 0, v1
	s_cbranch_execz .LBB364_386
; %bb.379:                              ;   in Loop: Header=BB364_10 Depth=1
	v_bfrev_b32_e32 v11, 1
	s_mov_b32 s39, exec_lo
	v_cmpx_ne_u16_e32 0x80, v1
	s_cbranch_execz .LBB364_385
; %bb.380:                              ;   in Loop: Header=BB364_10 Depth=1
	v_bfe_u32 v13, v0, 16, 7
	v_mov_b32_e32 v11, 0x7f800001
	s_mov_b32 s40, exec_lo
	v_cmpx_ne_u32_e32 0x7f, v13
	s_cbranch_execz .LBB364_384
; %bb.381:                              ;   in Loop: Header=BB364_10 Depth=1
	v_and_b32_sdwa v1, v0, v80 dst_sel:DWORD dst_unused:UNUSED_PAD src0_sel:WORD_1 src1_sel:DWORD
	v_lshrrev_b32_e32 v11, 3, v13
	s_mov_b32 s41, exec_lo
	v_cmpx_gt_u32_e32 8, v13
; %bb.382:                              ;   in Loop: Header=BB364_10 Depth=1
	v_ffbh_u32_e32 v11, v1
	v_min_u32_e32 v11, 32, v11
	v_subrev_nc_u32_e32 v13, 28, v11
	v_sub_nc_u32_e32 v11, 29, v11
	v_lshlrev_b64 v[13:14], v13, v[1:2]
	v_and_b32_e32 v1, 7, v13
; %bb.383:                              ;   in Loop: Header=BB364_10 Depth=1
	s_or_b32 exec_lo, exec_lo, s41
	v_lshlrev_b32_sdwa v13, v81, v0 dst_sel:DWORD dst_unused:UNUSED_PAD src0_sel:DWORD src1_sel:WORD_1
	v_lshlrev_b32_e32 v1, 20, v1
	v_lshl_add_u32 v11, v11, 23, 0x3c000000
	v_and_b32_e32 v13, 0x80000000, v13
	v_or3_b32 v11, v1, v13, v11
.LBB364_384:                            ;   in Loop: Header=BB364_10 Depth=1
	s_or_b32 exec_lo, exec_lo, s40
.LBB364_385:                            ;   in Loop: Header=BB364_10 Depth=1
	s_or_b32 exec_lo, exec_lo, s39
.LBB364_386:                            ;   in Loop: Header=BB364_10 Depth=1
	s_or_b32 exec_lo, exec_lo, s3
	s_mov_b32 s3, exec_lo
	v_cmpx_lt_u32_e32 0xffffff, v0
	s_cbranch_execz .LBB364_394
; %bb.387:                              ;   in Loop: Header=BB364_10 Depth=1
	v_cmp_ne_u32_sdwa s2, v0, v77 src0_sel:BYTE_3 src1_sel:DWORD
	v_bfrev_b32_e32 v24, 1
	s_and_saveexec_b32 s39, s2
	s_cbranch_execz .LBB364_393
; %bb.388:                              ;   in Loop: Header=BB364_10 Depth=1
	v_bfe_u32 v14, v0, 24, 7
	v_mov_b32_e32 v24, 0x7f800001
	s_mov_b32 s40, exec_lo
	v_cmpx_ne_u32_e32 0x7f, v14
	s_cbranch_execz .LBB364_392
; %bb.389:                              ;   in Loop: Header=BB364_10 Depth=1
	v_and_b32_sdwa v1, v0, v80 dst_sel:DWORD dst_unused:UNUSED_PAD src0_sel:BYTE_3 src1_sel:DWORD
	v_lshrrev_b32_e32 v13, 3, v14
	s_mov_b32 s41, exec_lo
	v_cmpx_gt_u32_e32 8, v14
; %bb.390:                              ;   in Loop: Header=BB364_10 Depth=1
	v_ffbh_u32_e32 v13, v1
	v_min_u32_e32 v13, 32, v13
	v_subrev_nc_u32_e32 v14, 28, v13
	v_sub_nc_u32_e32 v13, 29, v13
	v_lshlrev_b64 v[14:15], v14, v[1:2]
	v_and_b32_e32 v1, 7, v14
; %bb.391:                              ;   in Loop: Header=BB364_10 Depth=1
	s_or_b32 exec_lo, exec_lo, s41
	v_lshlrev_b32_sdwa v0, v81, v0 dst_sel:DWORD dst_unused:UNUSED_PAD src0_sel:DWORD src1_sel:BYTE_3
	v_lshlrev_b32_e32 v1, 20, v1
	v_lshl_add_u32 v13, v13, 23, 0x3c000000
	v_and_b32_e32 v0, 0x80000000, v0
	v_or3_b32 v24, v1, v0, v13
.LBB364_392:                            ;   in Loop: Header=BB364_10 Depth=1
	s_or_b32 exec_lo, exec_lo, s40
.LBB364_393:                            ;   in Loop: Header=BB364_10 Depth=1
	s_or_b32 exec_lo, exec_lo, s39
.LBB364_394:                            ;   in Loop: Header=BB364_10 Depth=1
	s_or_b32 exec_lo, exec_lo, s3
	global_load_dword v0, v[7:8], off offset:1536
	v_mov_b32_e32 v22, 0
	v_mov_b32_e32 v23, 0
	s_waitcnt vmcnt(0)
	v_cmp_ne_u16_sdwa s2, v0, v2 src0_sel:BYTE_0 src1_sel:DWORD
	s_and_saveexec_b32 s3, s2
	s_cbranch_execz .LBB364_402
; %bb.395:                              ;   in Loop: Header=BB364_10 Depth=1
	v_cmp_ne_u16_sdwa s2, v0, v77 src0_sel:BYTE_0 src1_sel:DWORD
	v_bfrev_b32_e32 v23, 1
	s_and_saveexec_b32 s39, s2
	s_cbranch_execz .LBB364_401
; %bb.396:                              ;   in Loop: Header=BB364_10 Depth=1
	v_and_b32_e32 v14, 0x7f, v0
	v_mov_b32_e32 v23, 0x7f800001
	s_mov_b32 s40, exec_lo
	v_cmpx_ne_u32_e32 0x7f, v14
	s_cbranch_execz .LBB364_400
; %bb.397:                              ;   in Loop: Header=BB364_10 Depth=1
	v_and_b32_e32 v1, 7, v0
	v_lshrrev_b32_e32 v13, 3, v14
	s_mov_b32 s41, exec_lo
	v_cmpx_gt_u32_e32 8, v14
; %bb.398:                              ;   in Loop: Header=BB364_10 Depth=1
	v_ffbh_u32_e32 v13, v1
	v_min_u32_e32 v13, 32, v13
	v_subrev_nc_u32_e32 v14, 28, v13
	v_sub_nc_u32_e32 v13, 29, v13
	v_lshlrev_b64 v[14:15], v14, v[1:2]
	v_and_b32_e32 v1, 7, v14
; %bb.399:                              ;   in Loop: Header=BB364_10 Depth=1
	s_or_b32 exec_lo, exec_lo, s41
	v_lshlrev_b32_e32 v14, 24, v0
	v_lshlrev_b32_e32 v1, 20, v1
	v_lshl_add_u32 v13, v13, 23, 0x3c000000
	v_and_b32_e32 v14, 0x80000000, v14
	v_or3_b32 v23, v1, v14, v13
.LBB364_400:                            ;   in Loop: Header=BB364_10 Depth=1
	s_or_b32 exec_lo, exec_lo, s40
.LBB364_401:                            ;   in Loop: Header=BB364_10 Depth=1
	s_or_b32 exec_lo, exec_lo, s39
.LBB364_402:                            ;   in Loop: Header=BB364_10 Depth=1
	s_or_b32 exec_lo, exec_lo, s3
	v_cmp_ne_u16_sdwa s2, v0, v2 src0_sel:BYTE_1 src1_sel:DWORD
	s_and_saveexec_b32 s3, s2
	s_cbranch_execz .LBB364_410
; %bb.403:                              ;   in Loop: Header=BB364_10 Depth=1
	v_cmp_ne_u16_sdwa s2, v0, v77 src0_sel:BYTE_1 src1_sel:DWORD
	v_bfrev_b32_e32 v22, 1
	s_and_saveexec_b32 s39, s2
	s_cbranch_execz .LBB364_409
; %bb.404:                              ;   in Loop: Header=BB364_10 Depth=1
	v_and_b32_sdwa v1, v78, v0 dst_sel:DWORD dst_unused:UNUSED_PAD src0_sel:DWORD src1_sel:BYTE_1
	v_mov_b32_e32 v22, 0x7f800001
	s_mov_b32 s40, exec_lo
	v_and_b32_e32 v14, 0x7f, v1
	v_cmpx_ne_u32_e32 0x7f, v14
	s_cbranch_execz .LBB364_408
; %bb.405:                              ;   in Loop: Header=BB364_10 Depth=1
	v_and_b32_e32 v1, 7, v1
	v_lshrrev_b32_e32 v13, 3, v14
	s_mov_b32 s41, exec_lo
	v_cmpx_gt_u32_e32 8, v14
; %bb.406:                              ;   in Loop: Header=BB364_10 Depth=1
	v_ffbh_u32_e32 v13, v1
	v_min_u32_e32 v13, 32, v13
	v_subrev_nc_u32_e32 v14, 28, v13
	v_sub_nc_u32_e32 v13, 29, v13
	v_lshlrev_b64 v[14:15], v14, v[1:2]
	v_and_b32_e32 v1, 7, v14
; %bb.407:                              ;   in Loop: Header=BB364_10 Depth=1
	s_or_b32 exec_lo, exec_lo, s41
	v_lshlrev_b32_e32 v14, 16, v0
	v_lshlrev_b32_e32 v1, 20, v1
	v_lshl_add_u32 v13, v13, 23, 0x3c000000
	v_and_b32_e32 v14, 0x80000000, v14
	v_or3_b32 v22, v1, v14, v13
.LBB364_408:                            ;   in Loop: Header=BB364_10 Depth=1
	s_or_b32 exec_lo, exec_lo, s40
.LBB364_409:                            ;   in Loop: Header=BB364_10 Depth=1
	s_or_b32 exec_lo, exec_lo, s39
.LBB364_410:                            ;   in Loop: Header=BB364_10 Depth=1
	s_or_b32 exec_lo, exec_lo, s3
	v_and_b32_sdwa v1, v0, v79 dst_sel:DWORD dst_unused:UNUSED_PAD src0_sel:WORD_1 src1_sel:DWORD
	v_mov_b32_e32 v127, 0
	v_mov_b32_e32 v14, 0
	s_mov_b32 s3, exec_lo
	v_cmpx_ne_u16_e32 0, v1
	s_cbranch_execz .LBB364_418
; %bb.411:                              ;   in Loop: Header=BB364_10 Depth=1
	v_bfrev_b32_e32 v14, 1
	s_mov_b32 s39, exec_lo
	v_cmpx_ne_u16_e32 0x80, v1
	s_cbranch_execz .LBB364_417
; %bb.412:                              ;   in Loop: Header=BB364_10 Depth=1
	v_bfe_u32 v15, v0, 16, 7
	v_mov_b32_e32 v14, 0x7f800001
	s_mov_b32 s40, exec_lo
	v_cmpx_ne_u32_e32 0x7f, v15
	s_cbranch_execz .LBB364_416
; %bb.413:                              ;   in Loop: Header=BB364_10 Depth=1
	v_and_b32_sdwa v1, v0, v80 dst_sel:DWORD dst_unused:UNUSED_PAD src0_sel:WORD_1 src1_sel:DWORD
	v_lshrrev_b32_e32 v13, 3, v15
	s_mov_b32 s41, exec_lo
	v_cmpx_gt_u32_e32 8, v15
; %bb.414:                              ;   in Loop: Header=BB364_10 Depth=1
	v_ffbh_u32_e32 v13, v1
	v_min_u32_e32 v13, 32, v13
	v_subrev_nc_u32_e32 v14, 28, v13
	v_sub_nc_u32_e32 v13, 29, v13
	v_lshlrev_b64 v[14:15], v14, v[1:2]
	v_and_b32_e32 v1, 7, v14
; %bb.415:                              ;   in Loop: Header=BB364_10 Depth=1
	s_or_b32 exec_lo, exec_lo, s41
	v_lshlrev_b32_sdwa v14, v81, v0 dst_sel:DWORD dst_unused:UNUSED_PAD src0_sel:DWORD src1_sel:WORD_1
	v_lshlrev_b32_e32 v1, 20, v1
	v_lshl_add_u32 v13, v13, 23, 0x3c000000
	v_and_b32_e32 v14, 0x80000000, v14
	v_or3_b32 v14, v1, v14, v13
.LBB364_416:                            ;   in Loop: Header=BB364_10 Depth=1
	s_or_b32 exec_lo, exec_lo, s40
.LBB364_417:                            ;   in Loop: Header=BB364_10 Depth=1
	s_or_b32 exec_lo, exec_lo, s39
.LBB364_418:                            ;   in Loop: Header=BB364_10 Depth=1
	s_or_b32 exec_lo, exec_lo, s3
	s_mov_b32 s3, exec_lo
	v_cmpx_lt_u32_e32 0xffffff, v0
	s_cbranch_execz .LBB364_426
; %bb.419:                              ;   in Loop: Header=BB364_10 Depth=1
	v_cmp_ne_u32_sdwa s2, v0, v77 src0_sel:BYTE_3 src1_sel:DWORD
	v_bfrev_b32_e32 v127, 1
	s_and_saveexec_b32 s39, s2
	s_cbranch_execz .LBB364_425
; %bb.420:                              ;   in Loop: Header=BB364_10 Depth=1
	v_bfe_u32 v15, v0, 24, 7
	v_mov_b32_e32 v127, 0x7f800001
	s_mov_b32 s40, exec_lo
	v_cmpx_ne_u32_e32 0x7f, v15
	s_cbranch_execz .LBB364_424
; %bb.421:                              ;   in Loop: Header=BB364_10 Depth=1
	v_and_b32_sdwa v1, v0, v80 dst_sel:DWORD dst_unused:UNUSED_PAD src0_sel:BYTE_3 src1_sel:DWORD
	v_lshrrev_b32_e32 v13, 3, v15
	s_mov_b32 s41, exec_lo
	v_cmpx_gt_u32_e32 8, v15
; %bb.422:                              ;   in Loop: Header=BB364_10 Depth=1
	v_ffbh_u32_e32 v13, v1
	v_min_u32_e32 v13, 32, v13
	v_subrev_nc_u32_e32 v15, 28, v13
	v_sub_nc_u32_e32 v13, 29, v13
	v_lshlrev_b64 v[15:16], v15, v[1:2]
	v_and_b32_e32 v1, 7, v15
; %bb.423:                              ;   in Loop: Header=BB364_10 Depth=1
	s_or_b32 exec_lo, exec_lo, s41
	v_lshlrev_b32_sdwa v0, v81, v0 dst_sel:DWORD dst_unused:UNUSED_PAD src0_sel:DWORD src1_sel:BYTE_3
	v_lshlrev_b32_e32 v1, 20, v1
	v_lshl_add_u32 v13, v13, 23, 0x3c000000
	v_and_b32_e32 v0, 0x80000000, v0
	v_or3_b32 v127, v1, v0, v13
.LBB364_424:                            ;   in Loop: Header=BB364_10 Depth=1
	s_or_b32 exec_lo, exec_lo, s40
.LBB364_425:                            ;   in Loop: Header=BB364_10 Depth=1
	s_or_b32 exec_lo, exec_lo, s39
.LBB364_426:                            ;   in Loop: Header=BB364_10 Depth=1
	s_or_b32 exec_lo, exec_lo, s3
	global_load_dword v7, v[7:8], off offset:1544
	v_mov_b32_e32 v15, 0
	v_mov_b32_e32 v8, 0
	s_waitcnt vmcnt(0)
	v_cmp_ne_u16_sdwa s2, v7, v2 src0_sel:BYTE_0 src1_sel:DWORD
	s_and_saveexec_b32 s3, s2
	s_cbranch_execz .LBB364_434
; %bb.427:                              ;   in Loop: Header=BB364_10 Depth=1
	v_cmp_ne_u16_sdwa s2, v7, v77 src0_sel:BYTE_0 src1_sel:DWORD
	v_bfrev_b32_e32 v8, 1
	s_and_saveexec_b32 s39, s2
	s_cbranch_execz .LBB364_433
; %bb.428:                              ;   in Loop: Header=BB364_10 Depth=1
	v_and_b32_e32 v13, 0x7f, v7
	v_mov_b32_e32 v8, 0x7f800001
	s_mov_b32 s40, exec_lo
	v_cmpx_ne_u32_e32 0x7f, v13
	s_cbranch_execz .LBB364_432
; %bb.429:                              ;   in Loop: Header=BB364_10 Depth=1
	v_and_b32_e32 v1, 7, v7
	v_lshrrev_b32_e32 v0, 3, v13
	s_mov_b32 s41, exec_lo
	v_cmpx_gt_u32_e32 8, v13
; %bb.430:                              ;   in Loop: Header=BB364_10 Depth=1
	v_ffbh_u32_e32 v0, v1
	v_min_u32_e32 v0, 32, v0
	v_subrev_nc_u32_e32 v8, 28, v0
	v_sub_nc_u32_e32 v0, 29, v0
	v_lshlrev_b64 v[16:17], v8, v[1:2]
	v_and_b32_e32 v1, 7, v16
; %bb.431:                              ;   in Loop: Header=BB364_10 Depth=1
	s_or_b32 exec_lo, exec_lo, s41
	v_lshlrev_b32_e32 v8, 24, v7
	v_lshlrev_b32_e32 v1, 20, v1
	v_lshl_add_u32 v0, v0, 23, 0x3c000000
	v_and_b32_e32 v8, 0x80000000, v8
	v_or3_b32 v8, v1, v8, v0
.LBB364_432:                            ;   in Loop: Header=BB364_10 Depth=1
	s_or_b32 exec_lo, exec_lo, s40
.LBB364_433:                            ;   in Loop: Header=BB364_10 Depth=1
	s_or_b32 exec_lo, exec_lo, s39
.LBB364_434:                            ;   in Loop: Header=BB364_10 Depth=1
	s_or_b32 exec_lo, exec_lo, s3
	v_cmp_ne_u16_sdwa s2, v7, v2 src0_sel:BYTE_1 src1_sel:DWORD
	s_and_saveexec_b32 s3, s2
	s_cbranch_execz .LBB364_442
; %bb.435:                              ;   in Loop: Header=BB364_10 Depth=1
	v_cmp_ne_u16_sdwa s2, v7, v77 src0_sel:BYTE_1 src1_sel:DWORD
	v_bfrev_b32_e32 v15, 1
	s_and_saveexec_b32 s39, s2
	s_cbranch_execz .LBB364_441
; %bb.436:                              ;   in Loop: Header=BB364_10 Depth=1
	v_and_b32_sdwa v0, v78, v7 dst_sel:DWORD dst_unused:UNUSED_PAD src0_sel:DWORD src1_sel:BYTE_1
	v_mov_b32_e32 v15, 0x7f800001
	s_mov_b32 s40, exec_lo
	v_and_b32_e32 v13, 0x7f, v0
	v_cmpx_ne_u32_e32 0x7f, v13
	s_cbranch_execz .LBB364_440
; %bb.437:                              ;   in Loop: Header=BB364_10 Depth=1
	v_and_b32_e32 v1, 7, v0
	v_lshrrev_b32_e32 v0, 3, v13
	s_mov_b32 s41, exec_lo
	v_cmpx_gt_u32_e32 8, v13
; %bb.438:                              ;   in Loop: Header=BB364_10 Depth=1
	v_ffbh_u32_e32 v0, v1
	v_min_u32_e32 v0, 32, v0
	v_subrev_nc_u32_e32 v13, 28, v0
	v_sub_nc_u32_e32 v0, 29, v0
	v_lshlrev_b64 v[15:16], v13, v[1:2]
	v_and_b32_e32 v1, 7, v15
; %bb.439:                              ;   in Loop: Header=BB364_10 Depth=1
	s_or_b32 exec_lo, exec_lo, s41
	v_lshlrev_b32_e32 v13, 16, v7
	v_lshlrev_b32_e32 v1, 20, v1
	v_lshl_add_u32 v0, v0, 23, 0x3c000000
	v_and_b32_e32 v13, 0x80000000, v13
	v_or3_b32 v15, v1, v13, v0
.LBB364_440:                            ;   in Loop: Header=BB364_10 Depth=1
	s_or_b32 exec_lo, exec_lo, s40
.LBB364_441:                            ;   in Loop: Header=BB364_10 Depth=1
	s_or_b32 exec_lo, exec_lo, s39
.LBB364_442:                            ;   in Loop: Header=BB364_10 Depth=1
	s_or_b32 exec_lo, exec_lo, s3
	v_and_b32_sdwa v1, v7, v79 dst_sel:DWORD dst_unused:UNUSED_PAD src0_sel:WORD_1 src1_sel:DWORD
	v_mov_b32_e32 v0, 0
	v_mov_b32_e32 v13, 0
	s_mov_b32 s3, exec_lo
	v_cmpx_ne_u16_e32 0, v1
	s_cbranch_execz .LBB364_450
; %bb.443:                              ;   in Loop: Header=BB364_10 Depth=1
	v_bfrev_b32_e32 v13, 1
	s_mov_b32 s39, exec_lo
	v_cmpx_ne_u16_e32 0x80, v1
	s_cbranch_execz .LBB364_449
; %bb.444:                              ;   in Loop: Header=BB364_10 Depth=1
	v_bfe_u32 v16, v7, 16, 7
	v_mov_b32_e32 v13, 0x7f800001
	s_mov_b32 s40, exec_lo
	v_cmpx_ne_u32_e32 0x7f, v16
	s_cbranch_execz .LBB364_448
; %bb.445:                              ;   in Loop: Header=BB364_10 Depth=1
	v_and_b32_sdwa v1, v7, v80 dst_sel:DWORD dst_unused:UNUSED_PAD src0_sel:WORD_1 src1_sel:DWORD
	v_lshrrev_b32_e32 v13, 3, v16
	s_mov_b32 s41, exec_lo
	v_cmpx_gt_u32_e32 8, v16
; %bb.446:                              ;   in Loop: Header=BB364_10 Depth=1
	v_ffbh_u32_e32 v13, v1
	v_min_u32_e32 v13, 32, v13
	v_subrev_nc_u32_e32 v16, 28, v13
	v_sub_nc_u32_e32 v13, 29, v13
	v_lshlrev_b64 v[16:17], v16, v[1:2]
	v_and_b32_e32 v1, 7, v16
; %bb.447:                              ;   in Loop: Header=BB364_10 Depth=1
	s_or_b32 exec_lo, exec_lo, s41
	v_lshlrev_b32_sdwa v16, v81, v7 dst_sel:DWORD dst_unused:UNUSED_PAD src0_sel:DWORD src1_sel:WORD_1
	v_lshlrev_b32_e32 v1, 20, v1
	v_lshl_add_u32 v13, v13, 23, 0x3c000000
	v_and_b32_e32 v16, 0x80000000, v16
	v_or3_b32 v13, v1, v16, v13
.LBB364_448:                            ;   in Loop: Header=BB364_10 Depth=1
	s_or_b32 exec_lo, exec_lo, s40
.LBB364_449:                            ;   in Loop: Header=BB364_10 Depth=1
	s_or_b32 exec_lo, exec_lo, s39
.LBB364_450:                            ;   in Loop: Header=BB364_10 Depth=1
	s_or_b32 exec_lo, exec_lo, s3
	s_mov_b32 s3, exec_lo
	v_cmpx_lt_u32_e32 0xffffff, v7
	s_cbranch_execz .LBB364_458
; %bb.451:                              ;   in Loop: Header=BB364_10 Depth=1
	v_cmp_ne_u32_sdwa s2, v7, v77 src0_sel:BYTE_3 src1_sel:DWORD
	v_bfrev_b32_e32 v0, 1
	s_and_saveexec_b32 s39, s2
	s_cbranch_execz .LBB364_457
; %bb.452:                              ;   in Loop: Header=BB364_10 Depth=1
	v_bfe_u32 v16, v7, 24, 7
	v_mov_b32_e32 v0, 0x7f800001
	s_mov_b32 s40, exec_lo
	v_cmpx_ne_u32_e32 0x7f, v16
	s_cbranch_execz .LBB364_456
; %bb.453:                              ;   in Loop: Header=BB364_10 Depth=1
	v_and_b32_sdwa v1, v7, v80 dst_sel:DWORD dst_unused:UNUSED_PAD src0_sel:BYTE_3 src1_sel:DWORD
	v_lshrrev_b32_e32 v0, 3, v16
	s_mov_b32 s41, exec_lo
	v_cmpx_gt_u32_e32 8, v16
; %bb.454:                              ;   in Loop: Header=BB364_10 Depth=1
	v_ffbh_u32_e32 v0, v1
	v_min_u32_e32 v0, 32, v0
	v_subrev_nc_u32_e32 v16, 28, v0
	v_sub_nc_u32_e32 v0, 29, v0
	v_lshlrev_b64 v[16:17], v16, v[1:2]
	v_and_b32_e32 v1, 7, v16
; %bb.455:                              ;   in Loop: Header=BB364_10 Depth=1
	s_or_b32 exec_lo, exec_lo, s41
	v_lshlrev_b32_sdwa v7, v81, v7 dst_sel:DWORD dst_unused:UNUSED_PAD src0_sel:DWORD src1_sel:BYTE_3
	v_lshlrev_b32_e32 v1, 20, v1
	v_lshl_add_u32 v0, v0, 23, 0x3c000000
	v_and_b32_e32 v7, 0x80000000, v7
	v_or3_b32 v0, v1, v7, v0
.LBB364_456:                            ;   in Loop: Header=BB364_10 Depth=1
	s_or_b32 exec_lo, exec_lo, s40
.LBB364_457:                            ;   in Loop: Header=BB364_10 Depth=1
	s_or_b32 exec_lo, exec_lo, s39
.LBB364_458:                            ;   in Loop: Header=BB364_10 Depth=1
	s_or_b32 exec_lo, exec_lo, s3
	s_waitcnt lgkmcnt(0)
	v_mul_f32_e32 v1, s5, v15
	v_mul_f32_e32 v11, s5, v11
	;; [unrolled: 1-line block ×5, first 2 shown]
	v_bfe_u32 v7, v1, 16, 1
	v_or_b32_e32 v15, 0x400000, v1
	v_cmp_u_f32_e64 s2, v1, v1
	v_mul_f32_e32 v87, s5, v87
	v_mul_f32_e32 v86, s5, v86
	v_add3_u32 v7, v7, v1, 0x7fff
	v_mul_f32_e32 v85, s5, v85
	v_mul_f32_e32 v84, s5, v84
	;; [unrolled: 1-line block ×4, first 2 shown]
	v_cndmask_b32_e64 v1, v7, v15, s2
	v_mul_f32_e32 v7, s5, v8
	v_mul_f32_e32 v0, s5, v0
	v_and_b32_e32 v1, 0xffff0000, v1
	v_bfe_u32 v8, v7, 16, 1
	v_or_b32_e32 v15, 0x400000, v7
	v_cmp_u_f32_e64 s2, v7, v7
	v_add3_u32 v8, v8, v7, 0x7fff
	v_cndmask_b32_e64 v7, v8, v15, s2
	v_mul_f32_e32 v8, s5, v14
	v_and_b32_e32 v7, 0xffff0000, v7
	v_bfe_u32 v14, v8, 16, 1
	v_or_b32_e32 v15, 0x400000, v8
	v_cmp_u_f32_e64 s2, v8, v8
	v_add3_u32 v14, v14, v8, 0x7fff
	v_cndmask_b32_e64 v8, v14, v15, s2
	v_mul_f32_e32 v14, s5, v127
	v_and_b32_e32 v8, 0xffff0000, v8
	v_bfe_u32 v15, v14, 16, 1
	v_or_b32_e32 v16, 0x400000, v14
	v_cmp_u_f32_e64 s2, v14, v14
	v_add3_u32 v15, v15, v14, 0x7fff
	v_mul_f32_e32 v14, s5, v22
	v_cndmask_b32_e64 v127, v15, v16, s2
	v_bfe_u32 v15, v14, 16, 1
	v_or_b32_e32 v16, 0x400000, v14
	v_cmp_u_f32_e64 s2, v14, v14
	v_add3_u32 v15, v15, v14, 0x7fff
	v_mul_f32_e32 v14, s5, v23
	v_cndmask_b32_e64 v22, v15, v16, s2
	v_bfe_u32 v15, v14, 16, 1
	v_or_b32_e32 v16, 0x400000, v14
	v_cmp_u_f32_e64 s2, v14, v14
	v_add3_u32 v15, v15, v14, 0x7fff
	v_bfe_u32 v14, v11, 16, 1
	v_cndmask_b32_e64 v23, v15, v16, s2
	v_add3_u32 v14, v14, v11, 0x7fff
	v_or_b32_e32 v15, 0x400000, v11
	v_cmp_u_f32_e64 s2, v11, v11
	v_cndmask_b32_e64 v11, v14, v15, s2
	v_mul_f32_e32 v14, s5, v24
	v_and_b32_e32 v11, 0xffff0000, v11
	v_bfe_u32 v15, v14, 16, 1
	v_or_b32_e32 v16, 0x400000, v14
	v_cmp_u_f32_e64 s2, v14, v14
	v_add3_u32 v15, v15, v14, 0x7fff
	v_mul_f32_e32 v14, s5, v35
	v_cndmask_b32_e64 v24, v15, v16, s2
	v_bfe_u32 v15, v14, 16, 1
	v_or_b32_e32 v16, 0x400000, v14
	v_cmp_u_f32_e64 s2, v14, v14
	v_add3_u32 v15, v15, v14, 0x7fff
	v_bfe_u32 v14, v12, 16, 1
	v_cndmask_b32_e64 v35, v15, v16, s2
	v_add3_u32 v14, v14, v12, 0x7fff
	v_or_b32_e32 v15, 0x400000, v12
	v_cmp_u_f32_e64 s2, v12, v12
	v_cndmask_b32_e64 v12, v14, v15, s2
	v_mul_f32_e32 v14, s5, v126
	v_and_b32_e32 v12, 0xffff0000, v12
	v_bfe_u32 v15, v14, 16, 1
	v_or_b32_e32 v16, 0x400000, v14
	v_cmp_u_f32_e64 s2, v14, v14
	v_add3_u32 v15, v15, v14, 0x7fff
	v_mul_f32_e32 v14, s5, v125
	v_cndmask_b32_e64 v126, v15, v16, s2
	v_bfe_u32 v15, v14, 16, 1
	v_or_b32_e32 v16, 0x400000, v14
	v_cmp_u_f32_e64 s2, v14, v14
	v_add3_u32 v15, v15, v14, 0x7fff
	v_mul_f32_e32 v14, s5, v124
	v_cndmask_b32_e64 v125, v15, v16, s2
	;; [unrolled: 6-line block ×26, first 2 shown]
	v_bfe_u32 v15, v14, 16, 1
	v_or_b32_e32 v16, 0x400000, v14
	v_cmp_u_f32_e64 s2, v14, v14
	v_add3_u32 v15, v15, v14, 0x7fff
	v_cndmask_b32_e64 v14, v15, v16, s2
	v_mul_f32_e32 v15, s5, v99
	v_and_b32_e32 v14, 0xffff0000, v14
	v_bfe_u32 v16, v15, 16, 1
	v_or_b32_e32 v17, 0x400000, v15
	v_cmp_u_f32_e64 s2, v15, v15
	v_add3_u32 v16, v16, v15, 0x7fff
	v_mul_f32_e32 v15, s5, v98
	v_cndmask_b32_e64 v99, v16, v17, s2
	v_bfe_u32 v16, v15, 16, 1
	v_or_b32_e32 v17, 0x400000, v15
	v_cmp_u_f32_e64 s2, v15, v15
	v_add3_u32 v16, v16, v15, 0x7fff
	v_mul_f32_e32 v15, s5, v97
	v_cndmask_b32_e64 v98, v16, v17, s2
	v_bfe_u32 v16, v15, 16, 1
	v_or_b32_e32 v17, 0x400000, v15
	v_cmp_u_f32_e64 s2, v15, v15
	v_add3_u32 v16, v16, v15, 0x7fff
	v_mul_f32_e32 v15, s5, v96
	v_cndmask_b32_e64 v97, v16, v17, s2
	v_bfe_u32 v16, v15, 16, 1
	v_or_b32_e32 v17, 0x400000, v15
	v_cmp_u_f32_e64 s2, v15, v15
	v_add3_u32 v16, v16, v15, 0x7fff
	v_mul_f32_e32 v15, s5, v95
	v_cndmask_b32_e64 v96, v16, v17, s2
	v_bfe_u32 v16, v15, 16, 1
	v_or_b32_e32 v17, 0x400000, v15
	v_cmp_u_f32_e64 s2, v15, v15
	v_add3_u32 v16, v16, v15, 0x7fff
	v_mul_f32_e32 v15, s5, v94
	v_cndmask_b32_e64 v95, v16, v17, s2
	v_bfe_u32 v16, v15, 16, 1
	v_or_b32_e32 v17, 0x400000, v15
	v_cmp_u_f32_e64 s2, v15, v15
	v_add3_u32 v16, v16, v15, 0x7fff
	v_mul_f32_e32 v15, s5, v93
	v_cndmask_b32_e64 v94, v16, v17, s2
	v_bfe_u32 v16, v15, 16, 1
	v_or_b32_e32 v17, 0x400000, v15
	v_cmp_u_f32_e64 s2, v15, v15
	v_add3_u32 v16, v16, v15, 0x7fff
	v_mul_f32_e32 v15, s5, v92
	v_cndmask_b32_e64 v93, v16, v17, s2
	v_bfe_u32 v16, v15, 16, 1
	v_or_b32_e32 v17, 0x400000, v15
	v_cmp_u_f32_e64 s2, v15, v15
	v_add3_u32 v16, v16, v15, 0x7fff
	v_cndmask_b32_e64 v15, v16, v17, s2
	v_mul_f32_e32 v16, s5, v91
	v_and_b32_e32 v15, 0xffff0000, v15
	v_bfe_u32 v17, v16, 16, 1
	v_or_b32_e32 v91, 0x400000, v16
	v_cmp_u_f32_e64 s2, v16, v16
	v_add3_u32 v17, v17, v16, 0x7fff
	v_cndmask_b32_e64 v16, v17, v91, s2
	v_mul_f32_e32 v17, s5, v90
	v_and_b32_e32 v16, 0xffff0000, v16
	v_bfe_u32 v90, v17, 16, 1
	v_or_b32_e32 v91, 0x400000, v17
	v_cmp_u_f32_e64 s2, v17, v17
	v_add3_u32 v90, v90, v17, 0x7fff
	v_cndmask_b32_e64 v17, v90, v91, s2
	v_bfe_u32 v90, v89, 16, 1
	v_or_b32_e32 v91, 0x400000, v89
	v_cmp_u_f32_e64 s2, v89, v89
	v_and_b32_e32 v17, 0xffff0000, v17
	v_add3_u32 v90, v90, v89, 0x7fff
	v_cndmask_b32_e64 v89, v90, v91, s2
	v_bfe_u32 v90, v88, 16, 1
	v_or_b32_e32 v91, 0x400000, v88
	v_cmp_u_f32_e64 s2, v88, v88
	v_add3_u32 v90, v90, v88, 0x7fff
	v_cndmask_b32_e64 v88, v90, v91, s2
	v_bfe_u32 v90, v87, 16, 1
	v_or_b32_e32 v91, 0x400000, v87
	v_cmp_u_f32_e64 s2, v87, v87
	;; [unrolled: 5-line block ×4, first 2 shown]
	v_and_b32_e32 v86, 0xffff0000, v86
	v_add3_u32 v90, v90, v85, 0x7fff
	v_bfe_u32 v85, v84, 16, 1
	v_cndmask_b32_e64 v90, v90, v91, s2
	v_add3_u32 v85, v85, v84, 0x7fff
	v_or_b32_e32 v91, 0x400000, v84
	v_cmp_u_f32_e64 s2, v84, v84
	v_cndmask_b32_e64 v84, v85, v91, s2
	v_bfe_u32 v85, v83, 16, 1
	v_or_b32_e32 v91, 0x400000, v83
	v_cmp_u_f32_e64 s2, v83, v83
	v_add3_u32 v85, v85, v83, 0x7fff
	v_cndmask_b32_e64 v83, v85, v91, s2
	v_bfe_u32 v85, v13, 16, 1
	v_or_b32_e32 v91, 0x400000, v13
	v_cmp_u_f32_e64 s2, v13, v13
	v_add3_u32 v85, v85, v13, 0x7fff
	;; [unrolled: 5-line block ×3, first 2 shown]
	v_cndmask_b32_e64 v0, v85, v91, s2
	v_and_b32_e32 v85, 0xffff0000, v87
	v_and_b32_e32 v87, 0xffff0000, v83
	buffer_load_dword v83, off, s[44:47], 0 offset:16 ; 4-byte Folded Reload
	v_and_b32_e32 v0, 0xffff0000, v0
	s_waitcnt vmcnt(0)
	v_mul_f32_e32 v83, v83, v85
	buffer_load_dword v85, off, s[44:47], 0 ; 4-byte Folded Reload
	s_waitcnt vmcnt(0)
	v_fmac_f32_e32 v83, v85, v87
	v_and_b32_e32 v85, 0xffff0000, v88
	v_and_b32_e32 v87, 0xffff0000, v84
	v_fmac_f32_e32 v83, v21, v16
	v_mul_f32_e32 v84, v18, v85
	buffer_load_dword v85, off, s[44:47], 0 offset:4 ; 4-byte Folded Reload
	s_waitcnt vmcnt(0)
	v_fmac_f32_e32 v84, v85, v87
	v_mul_f32_e32 v85, v19, v17
	buffer_load_dword v17, off, s[44:47], 0 offset:8 ; 4-byte Folded Reload
	v_and_b32_e32 v87, 0xffff0000, v90
	v_fmac_f32_e32 v84, v25, v15
	v_and_b32_e32 v15, 0xffff0000, v94
	s_waitcnt vmcnt(0)
	v_fmac_f32_e32 v85, v17, v86
	v_and_b32_e32 v17, 0xffff0000, v89
	v_fmac_f32_e32 v85, v26, v15
	v_mul_f32_e32 v86, v20, v17
	buffer_load_dword v17, off, s[44:47], 0 offset:12 ; 4-byte Folded Reload
	v_and_b32_e32 v15, 0xffff0000, v93
	s_waitcnt vmcnt(0)
	v_fmac_f32_e32 v86, v17, v87
	v_fmac_f32_e32 v86, v27, v15
	v_and_b32_e32 v15, 0xffff0000, v95
	v_fmac_f32_e32 v83, v28, v15
	v_and_b32_e32 v15, 0xffff0000, v96
	;; [unrolled: 2-line block ×3, first 2 shown]
	v_fmac_f32_e32 v84, v33, v14
	v_fmac_f32_e32 v85, v30, v15
	v_and_b32_e32 v15, 0xffff0000, v97
	v_and_b32_e32 v14, 0xffff0000, v102
	v_fmac_f32_e32 v86, v31, v15
	v_and_b32_e32 v15, 0xffff0000, v99
	v_fmac_f32_e32 v85, v34, v14
	;; [unrolled: 2-line block ×3, first 2 shown]
	v_fmac_f32_e32 v86, v36, v14
	v_and_b32_e32 v14, 0xffff0000, v103
	v_fmac_f32_e32 v83, v37, v14
	v_and_b32_e32 v14, 0xffff0000, v104
	v_fmac_f32_e32 v84, v38, v14
	v_and_b32_e32 v14, 0xffff0000, v106
	v_fmac_f32_e32 v85, v39, v14
	v_and_b32_e32 v14, 0xffff0000, v105
	v_fmac_f32_e32 v86, v40, v14
	v_and_b32_e32 v14, 0xffff0000, v107
	v_fmac_f32_e32 v83, v41, v14
	v_and_b32_e32 v14, 0xffff0000, v108
	v_fmac_f32_e32 v84, v42, v14
	v_and_b32_e32 v14, 0xffff0000, v110
	v_fmac_f32_e32 v85, v43, v14
	v_and_b32_e32 v14, 0xffff0000, v109
	v_fmac_f32_e32 v86, v44, v14
	v_and_b32_e32 v14, 0xffff0000, v111
	v_fmac_f32_e32 v83, v45, v14
	v_and_b32_e32 v14, 0xffff0000, v112
	v_fmac_f32_e32 v84, v46, v14
	v_and_b32_e32 v14, 0xffff0000, v114
	v_fmac_f32_e32 v85, v47, v14
	v_and_b32_e32 v14, 0xffff0000, v113
	v_fmac_f32_e32 v86, v48, v14
	v_and_b32_e32 v14, 0xffff0000, v115
	v_fmac_f32_e32 v83, v49, v14
	v_and_b32_e32 v14, 0xffff0000, v116
	v_fmac_f32_e32 v84, v50, v14
	v_and_b32_e32 v14, 0xffff0000, v118
	v_fmac_f32_e32 v85, v51, v14
	v_and_b32_e32 v14, 0xffff0000, v117
	v_fmac_f32_e32 v86, v52, v14
	v_and_b32_e32 v14, 0xffff0000, v119
	v_fmac_f32_e32 v83, v53, v14
	v_and_b32_e32 v14, 0xffff0000, v120
	v_fmac_f32_e32 v84, v54, v14
	v_and_b32_e32 v14, 0xffff0000, v122
	v_fmac_f32_e32 v85, v55, v14
	v_and_b32_e32 v14, 0xffff0000, v121
	v_fmac_f32_e32 v86, v56, v14
	v_and_b32_e32 v14, 0xffff0000, v123
	v_fmac_f32_e32 v83, v57, v14
	v_and_b32_e32 v14, 0xffff0000, v124
	v_fmac_f32_e32 v83, v61, v12
	v_fmac_f32_e32 v84, v58, v14
	v_and_b32_e32 v14, 0xffff0000, v126
	v_and_b32_e32 v12, 0xffff0000, v35
	v_fmac_f32_e32 v85, v59, v14
	v_and_b32_e32 v14, 0xffff0000, v125
	v_fmac_f32_e32 v84, v62, v12
	v_fmac_f32_e32 v85, v63, v11
	v_fmac_f32_e32 v86, v60, v14
	v_and_b32_e32 v11, 0xffff0000, v24
	v_fmac_f32_e32 v85, v67, v8
	v_and_b32_e32 v8, 0xffff0000, v127
	v_fmac_f32_e32 v86, v64, v11
	;; [unrolled: 2-line block ×3, first 2 shown]
	v_fmac_f32_e32 v83, v65, v11
	v_and_b32_e32 v11, 0xffff0000, v22
	v_fmac_f32_e32 v86, v72, v0
	v_fmac_f32_e32 v83, v69, v7
	;; [unrolled: 1-line block ×4, first 2 shown]
	v_and_b32_e32 v1, 0xffff0000, v13
	v_fmac_f32_e32 v85, v71, v1
	v_add_f32_e32 v1, v83, v84
	v_add_f32_e32 v0, v1, v85
	;; [unrolled: 1-line block ×3, first 2 shown]
	ds_bpermute_b32 v1, v75, v0
	s_and_saveexec_b32 s3, vcc_lo
	s_cbranch_execz .LBB364_9
; %bb.459:                              ;   in Loop: Header=BB364_10 Depth=1
	v_add_nc_u32_e32 v7, s4, v74
	s_waitcnt lgkmcnt(0)
	v_add_f32_e32 v0, v0, v1
	v_cmp_gt_i32_e64 s2, s27, v74
	v_cvt_f32_i32_e32 v7, v7
	v_mul_f32_e32 v7, s36, v7
	v_cndmask_b32_e64 v1, 0, v7, s1
	v_max_f32_e32 v7, v73, v73
	v_fmac_f32_e32 v1, s37, v0
	v_max_f32_e32 v0, v7, v1
	v_cndmask_b32_e64 v1, 0, v1, s2
	v_cndmask_b32_e64 v73, v73, v0, s2
	ds_write_b32 v76, v1
	s_branch .LBB364_9
.LBB364_460:
	s_or_b32 exec_lo, exec_lo, s16
	s_clause 0x4
	buffer_load_dword v17, off, s[44:47], 0 offset:24
	buffer_load_dword v22, off, s[44:47], 0 offset:28
	;; [unrolled: 1-line block ×5, first 2 shown]
	v_mov_b32_e32 v12, 32
.LBB364_461:
	s_or_b32 exec_lo, exec_lo, s38
	s_waitcnt vmcnt(0)
	v_xor_b32_e32 v0, 16, v16
	s_waitcnt lgkmcnt(0)
	v_xor_b32_e32 v1, 8, v16
	v_max_f32_e32 v5, v73, v73
	v_xor_b32_e32 v6, 2, v16
	v_and_b32_e32 v25, 31, v17
	v_cmp_lt_i32_e32 vcc_lo, v0, v12
	v_cndmask_b32_e32 v0, v16, v0, vcc_lo
	v_cmp_lt_i32_e32 vcc_lo, v1, v12
	v_lshlrev_b32_e32 v3, 2, v0
	v_cndmask_b32_e32 v1, v16, v1, vcc_lo
	ds_bpermute_b32 v0, v3, v73
	v_lshlrev_b32_e32 v4, 2, v1
	s_waitcnt lgkmcnt(0)
	v_max_f32_e32 v0, v0, v0
	v_max_f32_e32 v0, v5, v0
	v_xor_b32_e32 v5, 4, v16
	ds_bpermute_b32 v1, v4, v0
	v_cmp_lt_i32_e32 vcc_lo, v5, v12
	v_cndmask_b32_e32 v5, v16, v5, vcc_lo
	v_cmp_lt_i32_e32 vcc_lo, v6, v12
	v_lshlrev_b32_e32 v5, 2, v5
	v_cndmask_b32_e32 v6, v16, v6, vcc_lo
	v_cmp_eq_u32_e32 vcc_lo, 0, v25
	s_waitcnt lgkmcnt(0)
	v_max_f32_e32 v1, v1, v1
	v_max_f32_e32 v0, v0, v1
	ds_bpermute_b32 v1, v5, v0
	s_waitcnt lgkmcnt(0)
	v_max_f32_e32 v1, v1, v1
	v_max_f32_e32 v0, v0, v1
	v_lshlrev_b32_e32 v1, 2, v6
	v_lshlrev_b32_e32 v6, 2, v15
	ds_bpermute_b32 v7, v1, v0
	s_and_saveexec_b32 s1, vcc_lo
	s_cbranch_execz .LBB364_463
; %bb.462:
	s_waitcnt lgkmcnt(0)
	v_max_f32_e32 v7, v7, v7
	v_max_f32_e32 v0, v0, v0
	;; [unrolled: 1-line block ×3, first 2 shown]
	ds_write_b32 v6, v0 offset:224
.LBB364_463:
	s_or_b32 exec_lo, exec_lo, s1
	v_cmp_gt_u32_e64 s1, 4, v25
	v_mov_b32_e32 v0, 0xff7fffff
	s_waitcnt lgkmcnt(0)
	v_lshlrev_b32_e32 v7, 2, v25
	s_waitcnt_vscnt null, 0x0
	s_barrier
	buffer_gl0_inv
	s_and_saveexec_b32 s2, s1
; %bb.464:
	ds_read_b32 v0, v7 offset:224
; %bb.465:
	s_or_b32 exec_lo, exec_lo, s2
	s_waitcnt lgkmcnt(0)
	ds_bpermute_b32 v8, v1, v0
	v_xor_b32_e32 v11, 1, v16
	v_max_f32_e32 v0, v0, v0
	v_lshlrev_b32_e32 v2, 2, v2
	v_cmp_lt_i32_e64 s2, v11, v12
	v_cndmask_b32_e64 v11, v16, v11, s2
	s_sub_i32 s2, s11, s15
	s_lshl_b32 s2, s2, 4
	v_lshlrev_b32_e32 v26, 2, v11
	s_add_i32 s2, s2, s33
	s_min_i32 s2, s2, s27
	s_waitcnt lgkmcnt(0)
	v_max_f32_e32 v8, v8, v8
	s_sub_i32 s4, s2, s33
	v_cmp_gt_i32_e64 s2, s4, v17
	v_max_f32_e32 v0, v0, v8
	ds_bpermute_b32 v8, v26, v0
	s_waitcnt lgkmcnt(0)
	v_max_f32_e32 v8, v8, v8
	v_max_f32_e32 v0, v0, v8
	v_mov_b32_e32 v8, 0
	ds_bpermute_b32 v0, v2, v0
	v_lshl_add_u32 v2, v17, 2, 0x100
	s_and_saveexec_b32 s5, s2
	s_cbranch_execz .LBB364_469
; %bb.466:
	v_lshl_add_u32 v11, v17, 2, 0x100
	v_mov_b32_e32 v8, 0
	v_mov_b32_e32 v12, v17
	s_mov_b32 s15, 0
	.p2align	6
.LBB364_467:                            ; =>This Inner Loop Header: Depth=1
	ds_read_b32 v13, v11
	v_add_nc_u32_e32 v12, 0x80, v12
	v_cmp_le_i32_e64 s3, s4, v12
	s_or_b32 s15, s3, s15
	s_waitcnt lgkmcnt(0)
	v_sub_f32_e32 v13, v13, v0
	v_mul_f32_e32 v13, 0x3fb8aa3b, v13
	v_exp_f32_e32 v13, v13
	ds_write_b32 v11, v13
	v_add_f32_e32 v8, v8, v13
	v_add_nc_u32_e32 v11, 0x200, v11
	s_andn2_b32 exec_lo, exec_lo, s15
	s_cbranch_execnz .LBB364_467
; %bb.468:
	s_or_b32 exec_lo, exec_lo, s15
.LBB364_469:
	s_or_b32 exec_lo, exec_lo, s5
	ds_bpermute_b32 v3, v3, v8
	s_waitcnt lgkmcnt(0)
	v_add_f32_e32 v3, v8, v3
	ds_bpermute_b32 v4, v4, v3
	s_waitcnt lgkmcnt(0)
	v_add_f32_e32 v3, v3, v4
	;; [unrolled: 3-line block ×5, first 2 shown]
	s_and_saveexec_b32 s3, vcc_lo
; %bb.470:
	ds_write_b32 v6, v3 offset:240
; %bb.471:
	s_or_b32 exec_lo, exec_lo, s3
	s_waitcnt lgkmcnt(0)
	s_barrier
	buffer_gl0_inv
	s_and_saveexec_b32 s3, s1
; %bb.472:
	ds_read_b32 v3, v7 offset:240
; %bb.473:
	s_or_b32 exec_lo, exec_lo, s3
	s_waitcnt lgkmcnt(0)
	ds_bpermute_b32 v1, v1, v3
	v_lshlrev_b32_e32 v4, 2, v16
	s_waitcnt lgkmcnt(0)
	v_add_f32_e32 v1, v3, v1
	ds_bpermute_b32 v3, v26, v1
	s_waitcnt lgkmcnt(0)
	v_add_f32_e32 v1, v1, v3
	v_and_b32_e32 v3, 0xffffff80, v4
	ds_bpermute_b32 v1, v3, v1
	s_and_saveexec_b32 s1, s2
	s_cbranch_execz .LBB364_476
; %bb.474:
	s_waitcnt lgkmcnt(0)
	v_add_f32_e32 v3, 0x358637bd, v1
	s_mov_b32 s2, 0
	v_div_scale_f32 v4, null, v3, v3, 1.0
	v_div_scale_f32 v7, vcc_lo, 1.0, v3, 1.0
	v_rcp_f32_e32 v5, v4
	v_fma_f32 v6, -v4, v5, 1.0
	v_fmac_f32_e32 v5, v6, v5
	v_mul_f32_e32 v6, v7, v5
	v_fma_f32 v8, -v4, v6, v7
	v_fmac_f32_e32 v6, v8, v5
	v_fma_f32 v4, -v4, v6, v7
	v_div_fmas_f32 v4, v4, v5, v6
	v_div_fixup_f32 v3, v4, v3, 1.0
	v_mov_b32_e32 v4, v17
.LBB364_475:                            ; =>This Inner Loop Header: Depth=1
	ds_read_b32 v5, v2
	v_add_nc_u32_e32 v4, 0x80, v4
	v_cmp_le_i32_e32 vcc_lo, s4, v4
	s_or_b32 s2, vcc_lo, s2
	s_waitcnt lgkmcnt(0)
	v_mul_f32_e32 v5, v3, v5
	ds_write_b32 v2, v5
	v_add_nc_u32_e32 v2, 0x200, v2
	s_andn2_b32 exec_lo, exec_lo, s2
	s_cbranch_execnz .LBB364_475
.LBB364_476:
	s_or_b32 exec_lo, exec_lo, s1
	s_mul_i32 s1, s7, s26
	s_waitcnt lgkmcnt(0)
	s_mul_i32 s2, s1, s9
	s_mov_b32 s1, exec_lo
	s_barrier
	buffer_gl0_inv
	v_cmpx_eq_u32_e32 0, v17
	s_cbranch_execz .LBB364_478
; %bb.477:
	s_ashr_i32 s3, s2, 31
	s_mul_i32 s16, s7, s6
	s_lshl_b64 s[4:5], s[2:3], 2
	v_mov_b32_e32 v2, 0
	s_add_u32 s3, s22, s4
	s_addc_u32 s6, s23, s5
	s_ashr_i32 s17, s16, 31
	s_lshl_b64 s[16:17], s[16:17], 2
	s_add_u32 s3, s3, s16
	s_addc_u32 s6, s6, s17
	s_ashr_i32 s9, s8, 31
	s_lshl_b64 s[22:23], s[8:9], 2
	s_add_u32 s36, s3, s22
	s_addc_u32 s37, s6, s23
	s_add_u32 s3, s20, s4
	s_addc_u32 s4, s21, s5
	;; [unrolled: 2-line block ×4, first 2 shown]
	global_store_dword v2, v0, s[36:37]
	global_store_dword v2, v1, s[4:5]
.LBB364_478:
	s_or_b32 exec_lo, exec_lo, s1
	v_mov_b32_e32 v32, 0
	v_mov_b32_e32 v33, 0
	;; [unrolled: 1-line block ×7, first 2 shown]
	s_and_saveexec_b32 s1, s0
	s_cbranch_execz .LBB364_916
; %bb.479:
	s_load_dword s6, s[18:19], 0x0
	v_and_b32_e32 v0, 8, v14
	v_and_b32_e32 v1, 0xf8, v14
	v_lshl_add_u32 v3, v15, 4, s33
	s_ashr_i32 s0, s14, 31
	s_add_u32 s4, s34, s14
	v_lshlrev_b32_e32 v2, 5, v22
	s_addc_u32 s0, s35, s0
	v_add_co_u32 v12, s4, s4, v1
	v_add3_u32 v34, v3, v0, 7
	v_lshlrev_b64 v[0:1], 2, v[9:10]
	v_add_co_ci_u32_e64 v13, null, s0, 0, s4
	s_lshl_b64 s[4:5], s[30:31], 2
	s_add_i32 s12, s12, -1
	v_lshl_or_b32 v2, v15, 6, v2
	s_add_u32 s0, s28, s4
	s_addc_u32 s4, s29, s5
	v_add_co_u32 v14, vcc_lo, s0, v0
	v_mov_b32_e32 v100, v17
	v_mov_b32_e32 v101, v22
	v_mov_b32_e32 v11, 0
	v_mov_b32_e32 v102, v15
	v_add_nc_u32_e32 v35, 0x100, v2
	v_add_co_ci_u32_e64 v15, null, s4, v1, vcc_lo
	v_mov_b32_e32 v36, 0x80
	v_mov_b32_e32 v37, 0xffff
	;; [unrolled: 1-line block ×12, first 2 shown]
	s_mov_b32 s4, -1
	s_mov_b32 s3, s13
	s_mov_b32 s5, 0xffffff
	;; [unrolled: 1-line block ×3, first 2 shown]
	s_branch .LBB364_481
.LBB364_480:                            ;   in Loop: Header=BB364_481 Depth=1
	s_or_b32 exec_lo, exec_lo, s0
	v_bfe_u32 v49, v5, 16, 1
	v_or_b32_e32 v50, 0x400000, v5
	v_bfe_u32 v51, v6, 16, 1
	v_cmp_u_f32_e32 vcc_lo, v5, v5
	v_bfe_u32 v52, v7, 16, 1
	v_add3_u32 v49, v49, v5, 0x7fff
	v_or_b32_e32 v53, 0x400000, v6
	v_add3_u32 v51, v51, v6, 0x7fff
	v_or_b32_e32 v54, 0x400000, v7
	v_add3_u32 v52, v52, v7, 0x7fff
	v_cndmask_b32_e32 v5, v49, v50, vcc_lo
	v_cmp_u_f32_e32 vcc_lo, v6, v6
	v_bfe_u32 v49, v8, 16, 1
	v_bfe_u32 v50, v1, 16, 1
	v_lshlrev_b32_e32 v0, 16, v0
	v_and_b32_e32 v5, 0xffff0000, v5
	v_cndmask_b32_e32 v6, v51, v53, vcc_lo
	v_cmp_u_f32_e32 vcc_lo, v7, v7
	v_add3_u32 v49, v49, v8, 0x7fff
	v_or_b32_e32 v51, 0x400000, v8
	v_add3_u32 v50, v50, v1, 0x7fff
	v_bfe_u32 v53, v2, 16, 1
	v_cndmask_b32_e32 v7, v52, v54, vcc_lo
	v_cmp_u_f32_e32 vcc_lo, v8, v8
	v_or_b32_e32 v52, 0x400000, v1
	v_lshlrev_b32_e32 v21, 16, v21
	v_lshlrev_b32_e32 v22, 16, v22
	;; [unrolled: 1-line block ×3, first 2 shown]
	v_cndmask_b32_e32 v8, v49, v51, vcc_lo
	v_cmp_u_f32_e32 vcc_lo, v1, v1
	v_or_b32_e32 v51, 0x400000, v2
	v_and_b32_e32 v1, 0xffff0000, v6
	v_lshlrev_b32_e32 v6, 16, v90
	v_lshlrev_b32_e32 v47, 16, v47
	v_cndmask_b32_e32 v49, v50, v52, vcc_lo
	v_add3_u32 v50, v53, v2, 0x7fff
	v_bfe_u32 v52, v3, 16, 1
	v_cmp_u_f32_e32 vcc_lo, v2, v2
	v_mul_f32_e32 v53, v1, v6
	v_lshlrev_b32_e32 v6, 16, v88
	v_mul_f32_e32 v47, v5, v47
	v_add3_u32 v2, v52, v3, 0x7fff
	v_cndmask_b32_e32 v50, v50, v51, vcc_lo
	v_or_b32_e32 v51, 0x400000, v3
	v_bfe_u32 v52, v4, 16, 1
	v_cmp_u_f32_e32 vcc_lo, v3, v3
	v_bfe_u32 v54, v53, 16, 1
	v_mul_f32_e32 v55, v5, v6
	v_lshlrev_b32_e32 v6, 16, v23
	v_add3_u32 v3, v52, v4, 0x7fff
	v_cndmask_b32_e32 v51, v2, v51, vcc_lo
	v_or_b32_e32 v52, 0x400000, v4
	v_and_b32_e32 v2, 0xffff0000, v8
	v_cmp_u_f32_e32 vcc_lo, v4, v4
	v_or_b32_e32 v8, 0x400000, v53
	v_bfe_u32 v23, v55, 16, 1
	v_lshlrev_b32_e32 v46, 16, v46
	v_lshlrev_b32_e32 v42, 16, v42
	v_cndmask_b32_e32 v4, v3, v52, vcc_lo
	v_add3_u32 v3, v54, v53, 0x7fff
	v_mul_f32_e32 v52, v2, v6
	v_and_b32_e32 v6, 0xffff0000, v7
	v_lshlrev_b32_e32 v7, 16, v24
	v_cmp_u_f32_e32 vcc_lo, v53, v53
	v_add3_u32 v23, v23, v55, 0x7fff
	v_or_b32_e32 v24, 0x400000, v55
	v_bfe_u32 v53, v52, 16, 1
	v_mul_f32_e32 v54, v6, v7
	v_cndmask_b32_e32 v8, v3, v8, vcc_lo
	v_and_b32_e32 v3, 0xffff0000, v50
	v_lshlrev_b32_e32 v7, 16, v20
	v_cmp_u_f32_e32 vcc_lo, v55, v55
	v_bfe_u32 v50, v54, 16, 1
	v_and_b32_e32 v8, 0xffff0000, v8
	v_mul_f32_e32 v46, v6, v46
	v_mul_f32_e32 v42, v3, v42
	v_cndmask_b32_e32 v20, v23, v24, vcc_lo
	v_add3_u32 v23, v53, v52, 0x7fff
	v_or_b32_e32 v24, 0x400000, v52
	v_mul_f32_e32 v53, v3, v7
	v_and_b32_e32 v7, 0xffff0000, v49
	v_cmp_u_f32_e32 vcc_lo, v52, v52
	v_or_b32_e32 v49, 0x400000, v54
	v_and_b32_e32 v20, 0xffff0000, v20
	v_lshlrev_b32_e32 v41, 16, v41
	v_mul_f32_e32 v52, v7, v0
	v_cndmask_b32_e32 v23, v23, v24, vcc_lo
	v_add3_u32 v24, v50, v54, 0x7fff
	v_bfe_u32 v50, v53, 16, 1
	v_and_b32_e32 v0, 0xffff0000, v4
	v_and_b32_e32 v4, 0xffff0000, v51
	v_cmp_u_f32_e32 vcc_lo, v54, v54
	v_or_b32_e32 v51, 0x400000, v53
	v_add3_u32 v50, v50, v53, 0x7fff
	v_mul_f32_e32 v22, v0, v22
	v_mul_f32_e32 v21, v4, v21
	v_cndmask_b32_e32 v24, v24, v49, vcc_lo
	v_bfe_u32 v49, v52, 16, 1
	v_cmp_u_f32_e32 vcc_lo, v53, v53
	v_or_b32_e32 v54, 0x400000, v52
	v_bfe_u32 v88, v21, 16, 1
	v_bfe_u32 v55, v22, 16, 1
	v_add3_u32 v49, v49, v52, 0x7fff
	v_cndmask_b32_e32 v50, v50, v51, vcc_lo
	v_cmp_u_f32_e32 vcc_lo, v52, v52
	v_add3_u32 v52, v88, v21, 0x7fff
	v_or_b32_e32 v53, 0x400000, v21
	v_add3_u32 v51, v55, v22, 0x7fff
	v_and_b32_e32 v24, 0xffff0000, v24
	v_cndmask_b32_e32 v49, v49, v54, vcc_lo
	v_cmp_u_f32_e32 vcc_lo, v21, v21
	v_and_b32_e32 v23, 0xffff0000, v23
	v_or_b32_e32 v54, 0x400000, v22
	v_add_f32_e32 v8, v20, v8
	v_lshlrev_b32_e32 v45, 16, v45
	v_cndmask_b32_e32 v21, v52, v53, vcc_lo
	v_cmp_u_f32_e32 vcc_lo, v22, v22
	v_add_f32_e32 v20, v24, v23
	v_and_b32_e32 v23, 0xffff0000, v49
	v_and_b32_e32 v24, 0xffff0000, v50
	;; [unrolled: 1-line block ×3, first 2 shown]
	v_cndmask_b32_e32 v22, v51, v54, vcc_lo
	v_add_f32_e32 v8, v20, v8
	v_lshlrev_b32_e32 v50, 16, v85
	v_add_f32_e32 v20, v23, v24
	v_lshlrev_b32_e32 v23, 16, v87
	v_and_b32_e32 v22, 0xffff0000, v22
	v_lshlrev_b32_e32 v24, 16, v86
	v_lshlrev_b32_e32 v52, 16, v84
	v_add_f32_e32 v8, v20, v8
	v_mul_f32_e32 v41, v7, v41
	v_add_f32_e32 v20, v21, v22
	v_mul_f32_e32 v21, v1, v23
	v_mul_f32_e32 v22, v5, v24
	v_lshlrev_b32_e32 v24, 16, v83
	v_mul_f32_e32 v45, v0, v45
	v_add_f32_e32 v8, v20, v8
	v_bfe_u32 v20, v21, 16, 1
	v_bfe_u32 v23, v22, 16, 1
	v_cmp_u_f32_e32 vcc_lo, v21, v21
	v_mul_f32_e32 v24, v2, v24
	v_add_f32_e32 v28, v28, v8
	v_add3_u32 v8, v20, v21, 0x7fff
	v_or_b32_e32 v20, 0x400000, v21
	v_add3_u32 v23, v23, v22, 0x7fff
	v_or_b32_e32 v49, 0x400000, v22
	v_lshlrev_b32_e32 v43, 16, v43
	v_lshlrev_b32_e32 v17, 16, v17
	v_cndmask_b32_e32 v8, v8, v20, vcc_lo
	v_cmp_u_f32_e32 vcc_lo, v22, v22
	v_bfe_u32 v20, v24, 16, 1
	v_mul_f32_e32 v22, v6, v50
	v_lshlrev_b32_e32 v50, 16, v81
	v_and_b32_e32 v8, 0xffff0000, v8
	v_cndmask_b32_e32 v21, v23, v49, vcc_lo
	v_lshlrev_b32_e32 v23, 16, v80
	v_add3_u32 v20, v20, v24, 0x7fff
	v_or_b32_e32 v49, 0x400000, v24
	v_bfe_u32 v51, v22, 16, 1
	v_cmp_u_f32_e32 vcc_lo, v24, v24
	v_mul_f32_e32 v23, v3, v23
	v_mul_f32_e32 v24, v7, v50
	v_or_b32_e32 v50, 0x400000, v22
	v_and_b32_e32 v21, 0xffff0000, v21
	v_cndmask_b32_e32 v20, v20, v49, vcc_lo
	v_add3_u32 v49, v51, v22, 0x7fff
	v_bfe_u32 v51, v23, 16, 1
	v_bfe_u32 v53, v24, 16, 1
	v_cmp_u_f32_e32 vcc_lo, v22, v22
	v_or_b32_e32 v54, 0x400000, v24
	v_and_b32_e32 v20, 0xffff0000, v20
	v_add_f32_e32 v8, v21, v8
	v_mul_f32_e32 v43, v4, v43
	v_cndmask_b32_e32 v22, v49, v50, vcc_lo
	v_add3_u32 v49, v51, v23, 0x7fff
	v_mul_f32_e32 v50, v0, v52
	v_or_b32_e32 v51, 0x400000, v23
	v_add3_u32 v52, v53, v24, 0x7fff
	v_lshlrev_b32_e32 v53, 16, v82
	v_cmp_u_f32_e32 vcc_lo, v23, v23
	v_bfe_u32 v55, v50, 16, 1
	v_and_b32_e32 v22, 0xffff0000, v22
	v_lshlrev_b32_e32 v16, 16, v16
	v_lshlrev_b32_e32 v10, 16, v10
	v_cndmask_b32_e32 v23, v49, v51, vcc_lo
	v_mul_f32_e32 v49, v4, v53
	v_cmp_u_f32_e32 vcc_lo, v24, v24
	v_add3_u32 v51, v55, v50, 0x7fff
	v_add_f32_e32 v20, v22, v20
	v_and_b32_e32 v22, 0xffff0000, v23
	v_bfe_u32 v53, v49, 16, 1
	v_cndmask_b32_e32 v24, v52, v54, vcc_lo
	v_or_b32_e32 v52, 0x400000, v50
	v_cmp_u_f32_e32 vcc_lo, v50, v50
	v_lshlrev_b32_e32 v23, 16, v79
	v_add_f32_e32 v8, v20, v8
	v_and_b32_e32 v21, 0xffff0000, v24
	v_lshlrev_b32_e32 v24, 16, v78
	v_cndmask_b32_e32 v50, v51, v52, vcc_lo
	v_add3_u32 v51, v53, v49, 0x7fff
	v_or_b32_e32 v52, 0x400000, v49
	v_cmp_u_f32_e32 vcc_lo, v49, v49
	v_mul_f32_e32 v20, v1, v23
	v_add_f32_e32 v21, v21, v22
	v_mul_f32_e32 v22, v5, v24
	v_and_b32_e32 v24, 0xffff0000, v50
	v_cndmask_b32_e32 v49, v51, v52, vcc_lo
	v_lshlrev_b32_e32 v50, 16, v75
	v_add_f32_e32 v8, v21, v8
	v_bfe_u32 v21, v22, 16, 1
	v_lshlrev_b32_e32 v52, 16, v77
	v_and_b32_e32 v23, 0xffff0000, v49
	v_bfe_u32 v49, v20, 16, 1
	v_mul_f32_e32 v50, v2, v50
	v_cmp_u_f32_e32 vcc_lo, v20, v20
	v_add3_u32 v21, v21, v22, 0x7fff
	v_add_f32_e32 v23, v23, v24
	v_add3_u32 v24, v49, v20, 0x7fff
	v_or_b32_e32 v49, 0x400000, v20
	v_or_b32_e32 v51, 0x400000, v22
	v_lshlrev_b32_e32 v54, 16, v76
	v_add_f32_e32 v8, v23, v8
	v_lshlrev_b32_e32 v18, 16, v18
	v_cndmask_b32_e32 v20, v24, v49, vcc_lo
	v_bfe_u32 v24, v50, 16, 1
	v_cmp_u_f32_e32 vcc_lo, v22, v22
	v_mul_f32_e32 v22, v6, v52
	v_lshlrev_b32_e32 v49, 16, v72
	v_lshlrev_b32_e32 v52, 16, v73
	v_add3_u32 v24, v24, v50, 0x7fff
	v_cndmask_b32_e32 v21, v21, v51, vcc_lo
	v_or_b32_e32 v51, 0x400000, v50
	v_bfe_u32 v53, v22, 16, 1
	v_mul_f32_e32 v49, v3, v49
	v_cmp_u_f32_e32 vcc_lo, v50, v50
	v_mul_f32_e32 v50, v7, v52
	v_or_b32_e32 v52, 0x400000, v22
	v_and_b32_e32 v21, 0xffff0000, v21
	v_and_b32_e32 v20, 0xffff0000, v20
	v_cndmask_b32_e32 v24, v24, v51, vcc_lo
	v_add3_u32 v51, v53, v22, 0x7fff
	v_bfe_u32 v53, v49, 16, 1
	v_bfe_u32 v55, v50, 16, 1
	v_cmp_u_f32_e32 vcc_lo, v22, v22
	v_or_b32_e32 v72, 0x400000, v50
	v_and_b32_e32 v24, 0xffff0000, v24
	v_add_f32_e32 v20, v21, v20
	v_add_f32_e32 v29, v29, v8
	v_cndmask_b32_e32 v22, v51, v52, vcc_lo
	v_add3_u32 v51, v53, v49, 0x7fff
	v_mul_f32_e32 v52, v0, v54
	v_or_b32_e32 v53, 0x400000, v49
	v_add3_u32 v54, v55, v50, 0x7fff
	v_lshlrev_b32_e32 v55, 16, v74
	v_cmp_u_f32_e32 vcc_lo, v49, v49
	v_bfe_u32 v73, v52, 16, 1
	v_and_b32_e32 v22, 0xffff0000, v22
	v_add_nc_u32_e32 v9, 4, v9
	v_add_co_u32 v14, s0, v14, 16
	v_cndmask_b32_e32 v49, v51, v53, vcc_lo
	v_mul_f32_e32 v51, v4, v55
	v_cmp_u_f32_e32 vcc_lo, v50, v50
	v_add3_u32 v53, v73, v52, 0x7fff
	v_add_f32_e32 v21, v22, v24
	v_and_b32_e32 v24, 0xffff0000, v49
	v_bfe_u32 v55, v51, 16, 1
	v_cndmask_b32_e32 v50, v54, v72, vcc_lo
	v_or_b32_e32 v54, 0x400000, v52
	v_cmp_u_f32_e32 vcc_lo, v52, v52
	v_add_f32_e32 v20, v21, v20
	v_lshlrev_b32_e32 v21, 16, v71
	v_and_b32_e32 v22, 0xffff0000, v50
	v_add_nc_u32_e32 v34, 64, v34
	v_cndmask_b32_e32 v52, v53, v54, vcc_lo
	v_add3_u32 v53, v55, v51, 0x7fff
	v_or_b32_e32 v54, 0x400000, v51
	v_cmp_u_f32_e32 vcc_lo, v51, v51
	v_add_f32_e32 v22, v22, v24
	v_lshlrev_b32_e32 v24, 16, v70
	v_and_b32_e32 v50, 0xffff0000, v52
	v_mul_f32_e32 v21, v1, v21
	v_cndmask_b32_e32 v49, v53, v54, vcc_lo
	v_add_f32_e32 v20, v22, v20
	v_mul_f32_e32 v23, v5, v24
	v_lshlrev_b32_e32 v51, 16, v69
	v_bfe_u32 v24, v21, 16, 1
	v_and_b32_e32 v49, 0xffff0000, v49
	v_cmp_u_f32_e32 vcc_lo, v21, v21
	v_lshlrev_b32_e32 v53, 16, v68
	v_add_nc_u32_e32 v35, 0x100, v35
	v_add_co_ci_u32_e64 v15, null, 0, v15, s0
	v_add_f32_e32 v22, v49, v50
	v_bfe_u32 v49, v23, 16, 1
	v_lshlrev_b32_e32 v50, 16, v67
	v_add_f32_e32 v8, v22, v20
	v_add3_u32 v20, v24, v21, 0x7fff
	v_or_b32_e32 v22, 0x400000, v21
	v_add3_u32 v24, v49, v23, 0x7fff
	v_mul_f32_e32 v49, v2, v50
	v_or_b32_e32 v50, 0x400000, v23
	v_add_f32_e32 v30, v30, v8
	v_cndmask_b32_e32 v20, v20, v22, vcc_lo
	v_cmp_u_f32_e32 vcc_lo, v23, v23
	v_bfe_u32 v21, v49, 16, 1
	v_mul_f32_e32 v23, v6, v51
	v_lshlrev_b32_e32 v51, 16, v65
	v_and_b32_e32 v20, 0xffff0000, v20
	v_cndmask_b32_e32 v22, v24, v50, vcc_lo
	v_lshlrev_b32_e32 v24, 16, v64
	v_add3_u32 v21, v21, v49, 0x7fff
	v_or_b32_e32 v50, 0x400000, v49
	v_bfe_u32 v52, v23, 16, 1
	v_cmp_u_f32_e32 vcc_lo, v49, v49
	v_mul_f32_e32 v24, v3, v24
	v_mul_f32_e32 v49, v7, v51
	v_or_b32_e32 v51, 0x400000, v23
	v_and_b32_e32 v22, 0xffff0000, v22
	v_cndmask_b32_e32 v21, v21, v50, vcc_lo
	v_add3_u32 v50, v52, v23, 0x7fff
	v_bfe_u32 v52, v24, 16, 1
	v_bfe_u32 v54, v49, 16, 1
	v_cmp_u_f32_e32 vcc_lo, v23, v23
	v_or_b32_e32 v55, 0x400000, v49
	v_and_b32_e32 v21, 0xffff0000, v21
	v_add_f32_e32 v20, v22, v20
	v_cndmask_b32_e32 v23, v50, v51, vcc_lo
	v_add3_u32 v50, v52, v24, 0x7fff
	v_mul_f32_e32 v51, v0, v53
	v_or_b32_e32 v52, 0x400000, v24
	v_add3_u32 v53, v54, v49, 0x7fff
	v_lshlrev_b32_e32 v54, 16, v66
	v_cmp_u_f32_e32 vcc_lo, v24, v24
	v_bfe_u32 v64, v51, 16, 1
	v_and_b32_e32 v23, 0xffff0000, v23
	v_cndmask_b32_e32 v24, v50, v52, vcc_lo
	v_mul_f32_e32 v50, v4, v54
	v_cmp_u_f32_e32 vcc_lo, v49, v49
	v_add3_u32 v52, v64, v51, 0x7fff
	v_add_f32_e32 v21, v23, v21
	v_and_b32_e32 v23, 0xffff0000, v24
	v_bfe_u32 v54, v50, 16, 1
	v_cndmask_b32_e32 v49, v53, v55, vcc_lo
	v_or_b32_e32 v53, 0x400000, v51
	v_cmp_u_f32_e32 vcc_lo, v51, v51
	v_lshlrev_b32_e32 v24, 16, v63
	v_add_f32_e32 v20, v21, v20
	v_and_b32_e32 v22, 0xffff0000, v49
	v_cndmask_b32_e32 v51, v52, v53, vcc_lo
	v_add3_u32 v52, v54, v50, 0x7fff
	v_or_b32_e32 v53, 0x400000, v50
	v_cmp_u_f32_e32 vcc_lo, v50, v50
	v_lshlrev_b32_e32 v50, 16, v62
	v_add_f32_e32 v21, v22, v23
	v_mul_f32_e32 v22, v1, v24
	v_lshlrev_b32_e32 v54, 16, v61
	v_cndmask_b32_e32 v49, v52, v53, vcc_lo
	v_mul_f32_e32 v24, v5, v50
	v_lshlrev_b32_e32 v50, 16, v59
	v_add_f32_e32 v20, v21, v20
	v_cmp_u_f32_e32 vcc_lo, v22, v22
	v_and_b32_e32 v23, 0xffff0000, v49
	v_and_b32_e32 v49, 0xffff0000, v51
	v_bfe_u32 v51, v22, 16, 1
	v_bfe_u32 v52, v24, 16, 1
	v_add_f32_e32 v21, v23, v49
	v_mul_f32_e32 v23, v2, v50
	v_add3_u32 v49, v51, v22, 0x7fff
	v_or_b32_e32 v50, 0x400000, v22
	v_add3_u32 v51, v52, v24, 0x7fff
	v_or_b32_e32 v52, 0x400000, v24
	v_bfe_u32 v53, v23, 16, 1
	v_cndmask_b32_e32 v22, v49, v50, vcc_lo
	v_cmp_u_f32_e32 vcc_lo, v24, v24
	v_mul_f32_e32 v49, v6, v54
	v_add3_u32 v50, v53, v23, 0x7fff
	v_lshlrev_b32_e32 v53, 16, v57
	v_and_b32_e32 v22, 0xffff0000, v22
	v_cndmask_b32_e32 v24, v51, v52, vcc_lo
	v_or_b32_e32 v51, 0x400000, v23
	v_lshlrev_b32_e32 v52, 16, v56
	v_cmp_u_f32_e32 vcc_lo, v23, v23
	v_bfe_u32 v54, v49, 16, 1
	v_and_b32_e32 v24, 0xffff0000, v24
	v_cndmask_b32_e32 v23, v50, v51, vcc_lo
	v_mul_f32_e32 v50, v3, v52
	v_mul_f32_e32 v51, v7, v53
	v_add3_u32 v52, v54, v49, 0x7fff
	v_or_b32_e32 v53, 0x400000, v49
	v_lshlrev_b32_e32 v54, 16, v60
	v_bfe_u32 v55, v50, 16, 1
	v_cmp_u_f32_e32 vcc_lo, v49, v49
	v_bfe_u32 v56, v51, 16, 1
	v_and_b32_e32 v23, 0xffff0000, v23
	v_add_f32_e32 v22, v24, v22
	v_mul_f32_e32 v7, v7, v16
	v_cndmask_b32_e32 v49, v52, v53, vcc_lo
	v_mul_f32_e32 v52, v0, v54
	v_add3_u32 v53, v55, v50, 0x7fff
	v_or_b32_e32 v54, 0x400000, v50
	v_cmp_u_f32_e32 vcc_lo, v50, v50
	v_add3_u32 v55, v56, v51, 0x7fff
	v_or_b32_e32 v56, 0x400000, v51
	v_bfe_u32 v57, v52, 16, 1
	v_and_b32_e32 v49, 0xffff0000, v49
	v_cndmask_b32_e32 v50, v53, v54, vcc_lo
	v_lshlrev_b32_e32 v53, 16, v58
	v_cmp_u_f32_e32 vcc_lo, v51, v51
	v_add3_u32 v54, v57, v52, 0x7fff
	v_add_f32_e32 v23, v49, v23
	v_and_b32_e32 v49, 0xffff0000, v50
	v_mul_f32_e32 v53, v4, v53
	v_cndmask_b32_e32 v51, v55, v56, vcc_lo
	v_or_b32_e32 v55, 0x400000, v52
	v_cmp_u_f32_e32 vcc_lo, v52, v52
	v_add_f32_e32 v22, v23, v22
	v_mul_f32_e32 v23, v1, v48
	v_and_b32_e32 v24, 0xffff0000, v51
	v_or_b32_e32 v51, 0x400000, v53
	v_cndmask_b32_e32 v52, v54, v55, vcc_lo
	v_bfe_u32 v54, v53, 16, 1
	v_cmp_u_f32_e32 vcc_lo, v53, v53
	v_add_f32_e32 v24, v24, v49
	v_bfe_u32 v49, v23, 16, 1
	v_mul_f32_e32 v3, v3, v10
	v_add3_u32 v50, v54, v53, 0x7fff
	v_lshlrev_b32_e32 v10, 16, v19
	v_add_f32_e32 v22, v24, v22
	v_lshlrev_b32_e32 v24, 16, v44
	v_mul_f32_e32 v0, v0, v18
	v_cndmask_b32_e32 v48, v50, v51, vcc_lo
	v_bfe_u32 v51, v47, 16, 1
	v_cmp_u_f32_e32 vcc_lo, v23, v23
	v_mul_f32_e32 v24, v2, v24
	v_and_b32_e32 v50, 0xffff0000, v52
	v_and_b32_e32 v44, 0xffff0000, v48
	v_add3_u32 v48, v49, v23, 0x7fff
	v_or_b32_e32 v49, 0x400000, v23
	v_or_b32_e32 v52, 0x400000, v24
	v_mul_f32_e32 v2, v2, v17
	v_mul_f32_e32 v4, v4, v10
	v_or_b32_e32 v10, 0x400000, v7
	v_cndmask_b32_e32 v23, v48, v49, vcc_lo
	v_bfe_u32 v48, v24, 16, 1
	v_add3_u32 v49, v51, v47, 0x7fff
	v_or_b32_e32 v51, 0x400000, v47
	v_cmp_u_f32_e32 vcc_lo, v47, v47
	v_and_b32_e32 v23, 0xffff0000, v23
	v_add3_u32 v48, v48, v24, 0x7fff
	v_or_b32_e32 v18, 0x400000, v3
	v_bfe_u32 v19, v4, 16, 1
	v_cndmask_b32_e32 v47, v49, v51, vcc_lo
	v_bfe_u32 v49, v46, 16, 1
	v_cmp_u_f32_e32 vcc_lo, v24, v24
	v_or_b32_e32 v51, 0x400000, v46
	v_and_b32_e32 v47, 0xffff0000, v47
	v_add3_u32 v49, v49, v46, 0x7fff
	v_cndmask_b32_e32 v24, v48, v52, vcc_lo
	v_bfe_u32 v48, v42, 16, 1
	v_cmp_u_f32_e32 vcc_lo, v46, v46
	v_or_b32_e32 v52, 0x400000, v42
	v_add_f32_e32 v23, v47, v23
	v_and_b32_e32 v24, 0xffff0000, v24
	v_add3_u32 v48, v48, v42, 0x7fff
	v_cndmask_b32_e32 v46, v49, v51, vcc_lo
	v_bfe_u32 v49, v41, 16, 1
	v_cmp_u_f32_e32 vcc_lo, v42, v42
	v_bfe_u32 v51, v45, 16, 1
	v_and_b32_e32 v46, 0xffff0000, v46
	v_cndmask_b32_e32 v42, v48, v52, vcc_lo
	v_add3_u32 v48, v49, v41, 0x7fff
	v_or_b32_e32 v49, 0x400000, v41
	v_cmp_u_f32_e32 vcc_lo, v41, v41
	v_add3_u32 v51, v51, v45, 0x7fff
	v_or_b32_e32 v52, 0x400000, v45
	v_add_f32_e32 v24, v46, v24
	v_and_b32_e32 v42, 0xffff0000, v42
	v_cndmask_b32_e32 v41, v48, v49, vcc_lo
	v_cmp_u_f32_e32 vcc_lo, v45, v45
	v_bfe_u32 v48, v43, 16, 1
	v_lshlrev_b32_e32 v46, 16, v91
	v_or_b32_e32 v49, 0x400000, v43
	v_and_b32_e32 v41, 0xffff0000, v41
	v_cndmask_b32_e32 v45, v51, v52, vcc_lo
	v_lshlrev_b32_e32 v51, 16, v92
	v_add3_u32 v48, v48, v43, 0x7fff
	v_cmp_u_f32_e32 vcc_lo, v43, v43
	v_add_f32_e32 v23, v24, v23
	v_add_f32_e32 v41, v41, v42
	v_mul_f32_e32 v5, v5, v51
	v_mul_f32_e32 v1, v1, v46
	v_lshlrev_b32_e32 v42, 16, v89
	v_cndmask_b32_e32 v43, v48, v49, vcc_lo
	v_bfe_u32 v24, v5, 16, 1
	v_or_b32_e32 v46, 0x400000, v5
	v_bfe_u32 v47, v1, 16, 1
	v_mul_f32_e32 v6, v6, v42
	v_cmp_u_f32_e32 vcc_lo, v5, v5
	v_add3_u32 v24, v24, v5, 0x7fff
	v_or_b32_e32 v42, 0x400000, v1
	v_and_b32_e32 v43, 0xffff0000, v43
	v_cndmask_b32_e32 v5, v24, v46, vcc_lo
	v_add3_u32 v24, v47, v1, 0x7fff
	v_bfe_u32 v46, v6, 16, 1
	v_cmp_u_f32_e32 vcc_lo, v1, v1
	v_and_b32_e32 v5, 0xffff0000, v5
	v_add3_u32 v17, v46, v6, 0x7fff
	v_cndmask_b32_e32 v1, v24, v42, vcc_lo
	v_or_b32_e32 v24, 0x400000, v6
	v_bfe_u32 v42, v2, 16, 1
	v_cmp_u_f32_e32 vcc_lo, v6, v6
	v_and_b32_e32 v1, 0xffff0000, v1
	v_add3_u32 v16, v42, v2, 0x7fff
	v_cndmask_b32_e32 v6, v17, v24, vcc_lo
	v_or_b32_e32 v17, 0x400000, v2
	v_bfe_u32 v24, v7, 16, 1
	v_cmp_u_f32_e32 vcc_lo, v2, v2
	v_add_f32_e32 v1, v5, v1
	v_and_b32_e32 v6, 0xffff0000, v6
	v_cndmask_b32_e32 v2, v16, v17, vcc_lo
	v_bfe_u32 v16, v3, 16, 1
	v_add3_u32 v17, v24, v7, 0x7fff
	v_cmp_u_f32_e32 vcc_lo, v7, v7
	v_bfe_u32 v24, v0, 16, 1
	v_and_b32_e32 v2, 0xffff0000, v2
	v_add3_u32 v16, v16, v3, 0x7fff
	v_cndmask_b32_e32 v7, v17, v10, vcc_lo
	v_cmp_u_f32_e32 vcc_lo, v3, v3
	v_or_b32_e32 v17, 0x400000, v0
	v_add3_u32 v10, v19, v4, 0x7fff
	v_add_f32_e32 v2, v6, v2
	v_and_b32_e32 v5, 0xffff0000, v7
	v_cndmask_b32_e32 v3, v16, v18, vcc_lo
	v_add3_u32 v16, v24, v0, 0x7fff
	v_cmp_u_f32_e32 vcc_lo, v0, v0
	v_or_b32_e32 v18, 0x400000, v4
	v_and_b32_e32 v6, 0xffff0000, v45
	v_and_b32_e32 v3, 0xffff0000, v3
	v_add_f32_e32 v1, v2, v1
	v_cndmask_b32_e32 v0, v16, v17, vcc_lo
	v_cmp_u_f32_e32 vcc_lo, v4, v4
	v_add_f32_e32 v6, v43, v6
	v_add_f32_e32 v2, v5, v3
	;; [unrolled: 1-line block ×3, first 2 shown]
	v_and_b32_e32 v0, 0xffff0000, v0
	v_cndmask_b32_e32 v4, v10, v18, vcc_lo
	v_cmp_le_i32_e32 vcc_lo, s11, v9
	v_add_f32_e32 v1, v2, v1
	v_add_f32_e32 v2, v21, v20
	v_and_b32_e32 v3, 0xffff0000, v4
	v_add_f32_e32 v4, v44, v50
	s_or_b32 s9, vcc_lo, s9
	v_add_f32_e32 v31, v31, v2
	v_add_f32_e32 v0, v3, v0
	;; [unrolled: 1-line block ×8, first 2 shown]
	s_andn2_b32 exec_lo, exec_lo, s9
	s_cbranch_execz .LBB364_915
.LBB364_481:                            ; =>This Inner Loop Header: Depth=1
	global_load_dword v0, v[14:15], off
	s_waitcnt vmcnt(0)
	v_mad_i64_i32 v[16:17], null, v0, s3, v[12:13]
	v_mov_b32_e32 v0, 0
	global_load_dwordx2 v[18:19], v[16:17], off
	ds_read2_b64 v[5:8], v35 offset1:1
	ds_read2_b64 v[1:4], v35 offset0:2 offset1:3
	s_waitcnt vmcnt(0)
	v_cmp_ne_u16_sdwa s13, v18, v11 src0_sel:BYTE_0 src1_sel:DWORD
	s_and_saveexec_b32 s0, s13
	s_cbranch_execz .LBB364_487
; %bb.482:                              ;   in Loop: Header=BB364_481 Depth=1
	v_cmp_ne_u16_sdwa s14, v18, v36 src0_sel:BYTE_0 src1_sel:DWORD
	v_bfrev_b32_e32 v0, 1
	s_and_saveexec_b32 s13, s14
	s_cbranch_execz .LBB364_486
; %bb.483:                              ;   in Loop: Header=BB364_481 Depth=1
	v_and_b32_e32 v10, 0x7f, v18
	v_mov_b32_e32 v0, 0x7f800001
	s_mov_b32 s14, exec_lo
	v_cmpx_ne_u32_e32 0x7f, v10
	s_cbranch_execz .LBB364_485
; %bb.484:                              ;   in Loop: Header=BB364_481 Depth=1
	v_and_b32_e32 v0, 7, v18
	v_cmp_gt_u32_e32 vcc_lo, 8, v10
	v_lshrrev_b32_e32 v20, 3, v10
	v_ffbh_u32_e32 v0, v0
	v_min_u32_e32 v0, 32, v0
	v_subrev_nc_u32_e32 v21, 28, v0
	v_sub_nc_u32_e32 v0, 29, v0
	v_cndmask_b32_e32 v10, 0, v21, vcc_lo
	v_cndmask_b32_e32 v0, v20, v0, vcc_lo
	v_lshlrev_b64 v[20:21], v10, v[18:19]
	v_lshlrev_b32_e32 v10, 24, v18
	v_lshl_add_u32 v0, v0, 23, 0x3c000000
	v_and_b32_e32 v10, 0x80000000, v10
	v_lshlrev_b32_e32 v20, 20, v20
	v_and_b32_e32 v20, 0x700000, v20
	v_or3_b32 v0, v20, v10, v0
.LBB364_485:                            ;   in Loop: Header=BB364_481 Depth=1
	s_or_b32 exec_lo, exec_lo, s14
.LBB364_486:                            ;   in Loop: Header=BB364_481 Depth=1
	s_or_b32 exec_lo, exec_lo, s13
.LBB364_487:                            ;   in Loop: Header=BB364_481 Depth=1
	s_or_b32 exec_lo, exec_lo, s0
	v_cmp_ne_u16_sdwa s13, v18, v11 src0_sel:BYTE_1 src1_sel:DWORD
	v_mov_b32_e32 v23, 0
	v_mov_b32_e32 v22, 0
	s_and_saveexec_b32 s0, s13
	s_cbranch_execz .LBB364_495
; %bb.488:                              ;   in Loop: Header=BB364_481 Depth=1
	v_cmp_ne_u16_sdwa s14, v18, v36 src0_sel:BYTE_1 src1_sel:DWORD
	v_bfrev_b32_e32 v22, 1
	s_and_saveexec_b32 s13, s14
	s_cbranch_execz .LBB364_494
; %bb.489:                              ;   in Loop: Header=BB364_481 Depth=1
	v_and_b32_sdwa v10, v37, v18 dst_sel:DWORD dst_unused:UNUSED_PAD src0_sel:DWORD src1_sel:BYTE_1
	v_mov_b32_e32 v22, 0x7f800001
	s_mov_b32 s14, exec_lo
	v_and_b32_e32 v21, 0x7f, v10
	v_cmpx_ne_u32_e32 0x7f, v21
	s_cbranch_execz .LBB364_493
; %bb.490:                              ;   in Loop: Header=BB364_481 Depth=1
	v_and_b32_e32 v10, 7, v10
	v_lshrrev_b32_e32 v20, 3, v21
	s_mov_b32 s15, exec_lo
	v_cmpx_gt_u32_e32 8, v21
; %bb.491:                              ;   in Loop: Header=BB364_481 Depth=1
	v_ffbh_u32_e32 v20, v10
	v_min_u32_e32 v20, 32, v20
	v_subrev_nc_u32_e32 v21, 28, v20
	v_sub_nc_u32_e32 v20, 29, v20
	v_lshlrev_b64 v[21:22], v21, v[10:11]
	v_and_b32_e32 v10, 7, v21
; %bb.492:                              ;   in Loop: Header=BB364_481 Depth=1
	s_or_b32 exec_lo, exec_lo, s15
	v_lshlrev_b32_e32 v21, 16, v18
	v_lshlrev_b32_e32 v10, 20, v10
	v_lshl_add_u32 v20, v20, 23, 0x3c000000
	v_and_b32_e32 v21, 0x80000000, v21
	v_or3_b32 v22, v10, v21, v20
.LBB364_493:                            ;   in Loop: Header=BB364_481 Depth=1
	s_or_b32 exec_lo, exec_lo, s14
.LBB364_494:                            ;   in Loop: Header=BB364_481 Depth=1
	s_or_b32 exec_lo, exec_lo, s13
.LBB364_495:                            ;   in Loop: Header=BB364_481 Depth=1
	s_or_b32 exec_lo, exec_lo, s0
	v_and_b32_sdwa v10, v18, v38 dst_sel:DWORD dst_unused:UNUSED_PAD src0_sel:WORD_1 src1_sel:DWORD
	s_mov_b32 s0, exec_lo
	v_cmpx_ne_u16_e32 0, v10
	s_cbranch_execz .LBB364_503
; %bb.496:                              ;   in Loop: Header=BB364_481 Depth=1
	v_bfrev_b32_e32 v23, 1
	s_mov_b32 s13, exec_lo
	v_cmpx_ne_u16_e32 0x80, v10
	s_cbranch_execz .LBB364_502
; %bb.497:                              ;   in Loop: Header=BB364_481 Depth=1
	v_bfe_u32 v21, v18, 16, 7
	v_mov_b32_e32 v23, 0x7f800001
	s_mov_b32 s14, exec_lo
	v_cmpx_ne_u32_e32 0x7f, v21
	s_cbranch_execz .LBB364_501
; %bb.498:                              ;   in Loop: Header=BB364_481 Depth=1
	v_and_b32_sdwa v10, v18, v39 dst_sel:DWORD dst_unused:UNUSED_PAD src0_sel:WORD_1 src1_sel:DWORD
	v_lshrrev_b32_e32 v20, 3, v21
	s_mov_b32 s15, exec_lo
	v_cmpx_gt_u32_e32 8, v21
; %bb.499:                              ;   in Loop: Header=BB364_481 Depth=1
	v_ffbh_u32_e32 v20, v10
	v_min_u32_e32 v20, 32, v20
	v_subrev_nc_u32_e32 v21, 28, v20
	v_sub_nc_u32_e32 v20, 29, v20
	v_lshlrev_b64 v[23:24], v21, v[10:11]
	v_and_b32_e32 v10, 7, v23
; %bb.500:                              ;   in Loop: Header=BB364_481 Depth=1
	s_or_b32 exec_lo, exec_lo, s15
	v_lshlrev_b32_sdwa v21, v40, v18 dst_sel:DWORD dst_unused:UNUSED_PAD src0_sel:DWORD src1_sel:WORD_1
	v_lshlrev_b32_e32 v10, 20, v10
	v_lshl_add_u32 v20, v20, 23, 0x3c000000
	v_and_b32_e32 v21, 0x80000000, v21
	v_or3_b32 v23, v10, v21, v20
.LBB364_501:                            ;   in Loop: Header=BB364_481 Depth=1
	s_or_b32 exec_lo, exec_lo, s14
.LBB364_502:                            ;   in Loop: Header=BB364_481 Depth=1
	s_or_b32 exec_lo, exec_lo, s13
.LBB364_503:                            ;   in Loop: Header=BB364_481 Depth=1
	s_or_b32 exec_lo, exec_lo, s0
	v_mov_b32_e32 v24, 0
	v_mov_b32_e32 v41, 0
	s_mov_b32 s0, exec_lo
	v_cmpx_lt_u32_e32 0xffffff, v18
	s_cbranch_execz .LBB364_511
; %bb.504:                              ;   in Loop: Header=BB364_481 Depth=1
	v_cmp_ne_u32_sdwa s14, v18, v36 src0_sel:BYTE_3 src1_sel:DWORD
	v_bfrev_b32_e32 v41, 1
	s_and_saveexec_b32 s13, s14
	s_cbranch_execz .LBB364_510
; %bb.505:                              ;   in Loop: Header=BB364_481 Depth=1
	v_bfe_u32 v21, v18, 24, 7
	v_mov_b32_e32 v41, 0x7f800001
	s_mov_b32 s14, exec_lo
	v_cmpx_ne_u32_e32 0x7f, v21
	s_cbranch_execz .LBB364_509
; %bb.506:                              ;   in Loop: Header=BB364_481 Depth=1
	v_and_b32_sdwa v10, v18, v39 dst_sel:DWORD dst_unused:UNUSED_PAD src0_sel:BYTE_3 src1_sel:DWORD
	v_lshrrev_b32_e32 v20, 3, v21
	s_mov_b32 s15, exec_lo
	v_cmpx_gt_u32_e32 8, v21
; %bb.507:                              ;   in Loop: Header=BB364_481 Depth=1
	v_ffbh_u32_e32 v20, v10
	v_min_u32_e32 v20, 32, v20
	v_subrev_nc_u32_e32 v21, 28, v20
	v_sub_nc_u32_e32 v20, 29, v20
	v_lshlrev_b64 v[41:42], v21, v[10:11]
	v_and_b32_e32 v10, 7, v41
; %bb.508:                              ;   in Loop: Header=BB364_481 Depth=1
	s_or_b32 exec_lo, exec_lo, s15
	v_lshlrev_b32_sdwa v21, v40, v18 dst_sel:DWORD dst_unused:UNUSED_PAD src0_sel:DWORD src1_sel:BYTE_3
	v_lshlrev_b32_e32 v10, 20, v10
	v_lshl_add_u32 v20, v20, 23, 0x3c000000
	v_and_b32_e32 v21, 0x80000000, v21
	v_or3_b32 v41, v10, v21, v20
.LBB364_509:                            ;   in Loop: Header=BB364_481 Depth=1
	s_or_b32 exec_lo, exec_lo, s14
.LBB364_510:                            ;   in Loop: Header=BB364_481 Depth=1
	s_or_b32 exec_lo, exec_lo, s13
.LBB364_511:                            ;   in Loop: Header=BB364_481 Depth=1
	s_or_b32 exec_lo, exec_lo, s0
	v_mov_b32_e32 v10, v19
	v_cmp_ne_u16_sdwa s13, v19, v11 src0_sel:BYTE_0 src1_sel:DWORD
	s_and_saveexec_b32 s0, s13
	s_cbranch_execz .LBB364_517
; %bb.512:                              ;   in Loop: Header=BB364_481 Depth=1
	v_cmp_ne_u16_sdwa s14, v19, v36 src0_sel:BYTE_0 src1_sel:DWORD
	v_bfrev_b32_e32 v24, 1
	s_and_saveexec_b32 s13, s14
	s_cbranch_execz .LBB364_516
; %bb.513:                              ;   in Loop: Header=BB364_481 Depth=1
	v_and_b32_e32 v20, 0x7f, v19
	v_mov_b32_e32 v24, 0x7f800001
	s_mov_b32 s14, exec_lo
	v_cmpx_ne_u32_e32 0x7f, v20
	s_cbranch_execz .LBB364_515
; %bb.514:                              ;   in Loop: Header=BB364_481 Depth=1
	v_and_b32_e32 v21, 7, v19
	v_cmp_gt_u32_e32 vcc_lo, 8, v20
	v_lshrrev_b32_e32 v24, 3, v20
	v_ffbh_u32_e32 v21, v21
	v_min_u32_e32 v21, 32, v21
	v_subrev_nc_u32_e32 v42, 28, v21
	v_sub_nc_u32_e32 v21, 29, v21
	v_cndmask_b32_e32 v20, 0, v42, vcc_lo
	v_cndmask_b32_e32 v24, v24, v21, vcc_lo
	v_lshlrev_b64 v[20:21], v20, v[10:11]
	v_lshlrev_b32_e32 v21, 24, v10
	v_lshl_add_u32 v24, v24, 23, 0x3c000000
	v_lshlrev_b32_e32 v20, 20, v20
	v_and_b32_e32 v21, 0x80000000, v21
	v_and_b32_e32 v20, 0x700000, v20
	v_or3_b32 v24, v20, v21, v24
.LBB364_515:                            ;   in Loop: Header=BB364_481 Depth=1
	s_or_b32 exec_lo, exec_lo, s14
.LBB364_516:                            ;   in Loop: Header=BB364_481 Depth=1
	s_or_b32 exec_lo, exec_lo, s13
.LBB364_517:                            ;   in Loop: Header=BB364_481 Depth=1
	s_or_b32 exec_lo, exec_lo, s0
	v_cmp_ne_u16_sdwa s13, v10, v11 src0_sel:BYTE_1 src1_sel:DWORD
	v_mov_b32_e32 v43, 0
	v_mov_b32_e32 v20, 0
	s_and_saveexec_b32 s0, s13
	s_cbranch_execz .LBB364_525
; %bb.518:                              ;   in Loop: Header=BB364_481 Depth=1
	v_cmp_ne_u16_sdwa s14, v10, v36 src0_sel:BYTE_1 src1_sel:DWORD
	v_bfrev_b32_e32 v20, 1
	s_and_saveexec_b32 s13, s14
	s_cbranch_execz .LBB364_524
; %bb.519:                              ;   in Loop: Header=BB364_481 Depth=1
	v_and_b32_sdwa v21, v37, v10 dst_sel:DWORD dst_unused:UNUSED_PAD src0_sel:DWORD src1_sel:BYTE_1
	v_mov_b32_e32 v20, 0x7f800001
	s_mov_b32 s14, exec_lo
	v_and_b32_e32 v44, 0x7f, v21
	v_cmpx_ne_u32_e32 0x7f, v44
	s_cbranch_execz .LBB364_523
; %bb.520:                              ;   in Loop: Header=BB364_481 Depth=1
	v_and_b32_e32 v20, 7, v21
	v_mov_b32_e32 v21, v11
	v_lshrrev_b32_e32 v42, 3, v44
	s_mov_b32 s15, exec_lo
	v_cmpx_gt_u32_e32 8, v44
; %bb.521:                              ;   in Loop: Header=BB364_481 Depth=1
	v_ffbh_u32_e32 v42, v20
	v_min_u32_e32 v42, 32, v42
	v_subrev_nc_u32_e32 v44, 28, v42
	v_sub_nc_u32_e32 v42, 29, v42
	v_lshlrev_b64 v[20:21], v44, v[20:21]
	v_and_b32_e32 v20, 7, v20
; %bb.522:                              ;   in Loop: Header=BB364_481 Depth=1
	s_or_b32 exec_lo, exec_lo, s15
	v_lshlrev_b32_e32 v10, 16, v10
	v_lshlrev_b32_e32 v20, 20, v20
	v_lshl_add_u32 v21, v42, 23, 0x3c000000
	v_and_b32_e32 v10, 0x80000000, v10
	v_or3_b32 v20, v20, v10, v21
.LBB364_523:                            ;   in Loop: Header=BB364_481 Depth=1
	s_or_b32 exec_lo, exec_lo, s14
.LBB364_524:                            ;   in Loop: Header=BB364_481 Depth=1
	s_or_b32 exec_lo, exec_lo, s13
.LBB364_525:                            ;   in Loop: Header=BB364_481 Depth=1
	s_or_b32 exec_lo, exec_lo, s0
	v_and_b32_sdwa v10, v19, v38 dst_sel:DWORD dst_unused:UNUSED_PAD src0_sel:WORD_1 src1_sel:DWORD
	s_mov_b32 s0, exec_lo
	v_cmpx_ne_u16_e32 0, v10
	s_cbranch_execz .LBB364_533
; %bb.526:                              ;   in Loop: Header=BB364_481 Depth=1
	v_bfrev_b32_e32 v43, 1
	s_mov_b32 s13, exec_lo
	v_cmpx_ne_u16_e32 0x80, v10
	s_cbranch_execz .LBB364_532
; %bb.527:                              ;   in Loop: Header=BB364_481 Depth=1
	v_bfe_u32 v42, v19, 16, 7
	v_mov_b32_e32 v43, 0x7f800001
	s_mov_b32 s14, exec_lo
	v_cmpx_ne_u32_e32 0x7f, v42
	s_cbranch_execz .LBB364_531
; %bb.528:                              ;   in Loop: Header=BB364_481 Depth=1
	v_and_b32_sdwa v10, v19, v39 dst_sel:DWORD dst_unused:UNUSED_PAD src0_sel:WORD_1 src1_sel:DWORD
	v_lshrrev_b32_e32 v21, 3, v42
	s_mov_b32 s15, exec_lo
	v_cmpx_gt_u32_e32 8, v42
; %bb.529:                              ;   in Loop: Header=BB364_481 Depth=1
	v_ffbh_u32_e32 v21, v10
	v_min_u32_e32 v21, 32, v21
	v_subrev_nc_u32_e32 v42, 28, v21
	v_sub_nc_u32_e32 v21, 29, v21
	v_lshlrev_b64 v[42:43], v42, v[10:11]
	v_and_b32_e32 v10, 7, v42
; %bb.530:                              ;   in Loop: Header=BB364_481 Depth=1
	s_or_b32 exec_lo, exec_lo, s15
	v_lshlrev_b32_sdwa v42, v40, v19 dst_sel:DWORD dst_unused:UNUSED_PAD src0_sel:DWORD src1_sel:WORD_1
	v_lshlrev_b32_e32 v10, 20, v10
	v_lshl_add_u32 v21, v21, 23, 0x3c000000
	v_and_b32_e32 v42, 0x80000000, v42
	v_or3_b32 v43, v10, v42, v21
.LBB364_531:                            ;   in Loop: Header=BB364_481 Depth=1
	s_or_b32 exec_lo, exec_lo, s14
.LBB364_532:                            ;   in Loop: Header=BB364_481 Depth=1
	s_or_b32 exec_lo, exec_lo, s13
.LBB364_533:                            ;   in Loop: Header=BB364_481 Depth=1
	s_or_b32 exec_lo, exec_lo, s0
	v_mov_b32_e32 v10, 0
	s_mov_b32 s0, exec_lo
	v_cmpx_lt_u64_e64 s[4:5], v[18:19]
	s_cbranch_execz .LBB364_541
; %bb.534:                              ;   in Loop: Header=BB364_481 Depth=1
	v_cmp_ne_u32_sdwa s14, v19, v36 src0_sel:BYTE_3 src1_sel:DWORD
	v_bfrev_b32_e32 v10, 1
	s_and_saveexec_b32 s13, s14
	s_cbranch_execz .LBB364_540
; %bb.535:                              ;   in Loop: Header=BB364_481 Depth=1
	v_bfe_u32 v21, v19, 24, 7
	v_mov_b32_e32 v10, 0x7f800001
	s_mov_b32 s14, exec_lo
	v_cmpx_ne_u32_e32 0x7f, v21
	s_cbranch_execz .LBB364_539
; %bb.536:                              ;   in Loop: Header=BB364_481 Depth=1
	v_and_b32_sdwa v10, v19, v39 dst_sel:DWORD dst_unused:UNUSED_PAD src0_sel:BYTE_3 src1_sel:DWORD
	v_lshrrev_b32_e32 v18, 3, v21
	s_mov_b32 s15, exec_lo
	v_cmpx_gt_u32_e32 8, v21
; %bb.537:                              ;   in Loop: Header=BB364_481 Depth=1
	v_ffbh_u32_e32 v18, v10
	v_min_u32_e32 v18, 32, v18
	v_subrev_nc_u32_e32 v21, 28, v18
	v_sub_nc_u32_e32 v18, 29, v18
	v_lshlrev_b64 v[44:45], v21, v[10:11]
	v_and_b32_e32 v10, 7, v44
; %bb.538:                              ;   in Loop: Header=BB364_481 Depth=1
	s_or_b32 exec_lo, exec_lo, s15
	v_lshlrev_b32_sdwa v19, v40, v19 dst_sel:DWORD dst_unused:UNUSED_PAD src0_sel:DWORD src1_sel:BYTE_3
	v_lshlrev_b32_e32 v10, 20, v10
	v_lshl_add_u32 v18, v18, 23, 0x3c000000
	v_and_b32_e32 v19, 0x80000000, v19
	v_or3_b32 v10, v10, v19, v18
.LBB364_539:                            ;   in Loop: Header=BB364_481 Depth=1
	s_or_b32 exec_lo, exec_lo, s14
.LBB364_540:                            ;   in Loop: Header=BB364_481 Depth=1
	s_or_b32 exec_lo, exec_lo, s13
.LBB364_541:                            ;   in Loop: Header=BB364_481 Depth=1
	s_or_b32 exec_lo, exec_lo, s0
	s_waitcnt lgkmcnt(0)
	v_mul_f32_e32 v18, s6, v20
	v_mul_f32_e32 v19, s6, v24
	;; [unrolled: 1-line block ×5, first 2 shown]
	v_bfe_u32 v21, v18, 16, 1
	v_or_b32_e32 v24, 0x400000, v18
	v_bfe_u32 v41, v19, 16, 1
	v_cmp_u_f32_e64 s0, v18, v18
	v_or_b32_e32 v42, 0x400000, v19
	v_add3_u32 v21, v21, v18, 0x7fff
	v_bfe_u32 v44, v20, 16, 1
	v_add3_u32 v41, v41, v19, 0x7fff
	v_or_b32_e32 v45, 0x400000, v20
	v_mul_f32_e32 v10, s6, v10
	v_cndmask_b32_e64 v18, v21, v24, s0
	v_cmp_u_f32_e64 s0, v19, v19
	v_add3_u32 v24, v44, v20, 0x7fff
	v_bfe_u32 v21, v23, 16, 1
	v_add_nc_u32_e32 v49, -7, v34
	v_cmp_eq_u32_e32 vcc_lo, s12, v9
	v_cndmask_b32_e64 v19, v41, v42, s0
	v_cmp_u_f32_e64 s0, v20, v20
	v_lshrrev_b32_e32 v42, 16, v18
	v_mul_f32_e32 v20, s6, v22
	v_add3_u32 v21, v21, v23, 0x7fff
	v_or_b32_e32 v22, 0x400000, v23
	v_cndmask_b32_e64 v18, v24, v45, s0
	v_cmp_u_f32_e64 s0, v23, v23
	v_lshrrev_b32_e32 v41, 16, v19
	v_bfe_u32 v23, v0, 16, 1
	v_or_b32_e32 v45, 0x400000, v10
	v_lshrrev_b32_e32 v44, 16, v18
	v_bfe_u32 v18, v20, 16, 1
	v_cndmask_b32_e64 v19, v21, v22, s0
	v_mul_f32_e32 v21, s6, v43
	v_or_b32_e32 v22, 0x400000, v20
	v_cmp_u_f32_e64 s0, v20, v20
	v_add3_u32 v18, v18, v20, 0x7fff
	v_bfe_u32 v20, v10, 16, 1
	v_bfe_u32 v24, v21, 16, 1
	v_or_b32_e32 v43, 0x400000, v21
	v_lshrrev_b32_e32 v46, 16, v19
	v_cndmask_b32_e64 v18, v18, v22, s0
	v_add3_u32 v22, v23, v0, 0x7fff
	v_or_b32_e32 v23, 0x400000, v0
	v_cmp_u_f32_e64 s0, v0, v0
	v_add3_u32 v24, v24, v21, 0x7fff
	v_add3_u32 v20, v20, v10, 0x7fff
	v_lshrrev_b32_e32 v48, 16, v18
	v_add_nc_u32_e32 v55, -6, v34
	v_cndmask_b32_e64 v0, v22, v23, s0
	v_cmp_u_f32_e64 s0, v21, v21
	v_add_nc_u32_e32 v54, -5, v34
	v_add_nc_u32_e32 v53, -4, v34
	;; [unrolled: 1-line block ×3, first 2 shown]
	v_lshrrev_b32_e32 v47, 16, v0
	v_cndmask_b32_e64 v21, v24, v43, s0
	v_cmp_u_f32_e64 s0, v10, v10
	v_add_nc_u32_e32 v51, -2, v34
	v_add_nc_u32_e32 v50, -1, v34
	v_lshrrev_b32_e32 v43, 16, v21
	v_cndmask_b32_e64 v10, v20, v45, s0
	v_lshrrev_b32_e32 v45, 16, v10
	s_and_saveexec_b32 s13, vcc_lo
	s_cbranch_execz .LBB364_543
; %bb.542:                              ;   in Loop: Header=BB364_481 Depth=1
	v_cmp_gt_i32_e64 s0, s27, v49
	v_cndmask_b32_e64 v47, 0, v47, s0
	v_cmp_gt_i32_e64 s0, s27, v55
	v_cndmask_b32_e64 v48, 0, v48, s0
	;; [unrolled: 2-line block ×8, first 2 shown]
.LBB364_543:                            ;   in Loop: Header=BB364_481 Depth=1
	s_or_b32 exec_lo, exec_lo, s13
	global_load_dwordx2 v[18:19], v[16:17], off offset:256
	v_mov_b32_e32 v22, 0
	v_mov_b32_e32 v0, 0
	s_waitcnt vmcnt(0)
	v_cmp_ne_u16_sdwa s0, v18, v11 src0_sel:BYTE_0 src1_sel:DWORD
	s_and_saveexec_b32 s13, s0
	s_cbranch_execz .LBB364_549
; %bb.544:                              ;   in Loop: Header=BB364_481 Depth=1
	v_cmp_ne_u16_sdwa s0, v18, v36 src0_sel:BYTE_0 src1_sel:DWORD
	v_bfrev_b32_e32 v0, 1
	s_and_saveexec_b32 s14, s0
	s_cbranch_execz .LBB364_548
; %bb.545:                              ;   in Loop: Header=BB364_481 Depth=1
	v_and_b32_e32 v10, 0x7f, v18
	v_mov_b32_e32 v0, 0x7f800001
	s_mov_b32 s15, exec_lo
	v_cmpx_ne_u32_e32 0x7f, v10
	s_cbranch_execz .LBB364_547
; %bb.546:                              ;   in Loop: Header=BB364_481 Depth=1
	v_and_b32_e32 v0, 7, v18
	v_cmp_gt_u32_e64 s0, 8, v10
	v_lshrrev_b32_e32 v20, 3, v10
	v_ffbh_u32_e32 v0, v0
	v_min_u32_e32 v0, 32, v0
	v_subrev_nc_u32_e32 v21, 28, v0
	v_sub_nc_u32_e32 v0, 29, v0
	v_cndmask_b32_e64 v10, 0, v21, s0
	v_cndmask_b32_e64 v0, v20, v0, s0
	v_lshlrev_b64 v[20:21], v10, v[18:19]
	v_lshlrev_b32_e32 v10, 24, v18
	v_lshl_add_u32 v0, v0, 23, 0x3c000000
	v_and_b32_e32 v10, 0x80000000, v10
	v_lshlrev_b32_e32 v20, 20, v20
	v_and_b32_e32 v20, 0x700000, v20
	v_or3_b32 v0, v20, v10, v0
.LBB364_547:                            ;   in Loop: Header=BB364_481 Depth=1
	s_or_b32 exec_lo, exec_lo, s15
.LBB364_548:                            ;   in Loop: Header=BB364_481 Depth=1
	s_or_b32 exec_lo, exec_lo, s14
.LBB364_549:                            ;   in Loop: Header=BB364_481 Depth=1
	s_or_b32 exec_lo, exec_lo, s13
	v_cmp_ne_u16_sdwa s0, v18, v11 src0_sel:BYTE_1 src1_sel:DWORD
	s_and_saveexec_b32 s13, s0
	s_cbranch_execz .LBB364_557
; %bb.550:                              ;   in Loop: Header=BB364_481 Depth=1
	v_cmp_ne_u16_sdwa s0, v18, v36 src0_sel:BYTE_1 src1_sel:DWORD
	v_bfrev_b32_e32 v22, 1
	s_and_saveexec_b32 s14, s0
	s_cbranch_execz .LBB364_556
; %bb.551:                              ;   in Loop: Header=BB364_481 Depth=1
	v_and_b32_sdwa v10, v37, v18 dst_sel:DWORD dst_unused:UNUSED_PAD src0_sel:DWORD src1_sel:BYTE_1
	v_mov_b32_e32 v22, 0x7f800001
	s_mov_b32 s15, exec_lo
	v_and_b32_e32 v21, 0x7f, v10
	v_cmpx_ne_u32_e32 0x7f, v21
	s_cbranch_execz .LBB364_555
; %bb.552:                              ;   in Loop: Header=BB364_481 Depth=1
	v_and_b32_e32 v10, 7, v10
	v_lshrrev_b32_e32 v20, 3, v21
	s_mov_b32 s16, exec_lo
	v_cmpx_gt_u32_e32 8, v21
; %bb.553:                              ;   in Loop: Header=BB364_481 Depth=1
	v_ffbh_u32_e32 v20, v10
	v_min_u32_e32 v20, 32, v20
	v_subrev_nc_u32_e32 v21, 28, v20
	v_sub_nc_u32_e32 v20, 29, v20
	v_lshlrev_b64 v[21:22], v21, v[10:11]
	v_and_b32_e32 v10, 7, v21
; %bb.554:                              ;   in Loop: Header=BB364_481 Depth=1
	s_or_b32 exec_lo, exec_lo, s16
	v_lshlrev_b32_e32 v21, 16, v18
	v_lshlrev_b32_e32 v10, 20, v10
	v_lshl_add_u32 v20, v20, 23, 0x3c000000
	v_and_b32_e32 v21, 0x80000000, v21
	v_or3_b32 v22, v10, v21, v20
.LBB364_555:                            ;   in Loop: Header=BB364_481 Depth=1
	s_or_b32 exec_lo, exec_lo, s15
.LBB364_556:                            ;   in Loop: Header=BB364_481 Depth=1
	s_or_b32 exec_lo, exec_lo, s14
.LBB364_557:                            ;   in Loop: Header=BB364_481 Depth=1
	s_or_b32 exec_lo, exec_lo, s13
	v_and_b32_sdwa v10, v18, v38 dst_sel:DWORD dst_unused:UNUSED_PAD src0_sel:WORD_1 src1_sel:DWORD
	v_mov_b32_e32 v24, 0
	v_mov_b32_e32 v23, 0
	s_mov_b32 s13, exec_lo
	v_cmpx_ne_u16_e32 0, v10
	s_cbranch_execz .LBB364_565
; %bb.558:                              ;   in Loop: Header=BB364_481 Depth=1
	v_bfrev_b32_e32 v23, 1
	s_mov_b32 s14, exec_lo
	v_cmpx_ne_u16_e32 0x80, v10
	s_cbranch_execz .LBB364_564
; %bb.559:                              ;   in Loop: Header=BB364_481 Depth=1
	v_bfe_u32 v21, v18, 16, 7
	v_mov_b32_e32 v23, 0x7f800001
	s_mov_b32 s15, exec_lo
	v_cmpx_ne_u32_e32 0x7f, v21
	s_cbranch_execz .LBB364_563
; %bb.560:                              ;   in Loop: Header=BB364_481 Depth=1
	v_and_b32_sdwa v10, v18, v39 dst_sel:DWORD dst_unused:UNUSED_PAD src0_sel:WORD_1 src1_sel:DWORD
	v_lshrrev_b32_e32 v20, 3, v21
	s_mov_b32 s16, exec_lo
	v_cmpx_gt_u32_e32 8, v21
; %bb.561:                              ;   in Loop: Header=BB364_481 Depth=1
	v_ffbh_u32_e32 v20, v10
	v_min_u32_e32 v20, 32, v20
	v_subrev_nc_u32_e32 v21, 28, v20
	v_sub_nc_u32_e32 v20, 29, v20
	v_lshlrev_b64 v[56:57], v21, v[10:11]
	v_and_b32_e32 v10, 7, v56
; %bb.562:                              ;   in Loop: Header=BB364_481 Depth=1
	s_or_b32 exec_lo, exec_lo, s16
	v_lshlrev_b32_sdwa v21, v40, v18 dst_sel:DWORD dst_unused:UNUSED_PAD src0_sel:DWORD src1_sel:WORD_1
	v_lshlrev_b32_e32 v10, 20, v10
	v_lshl_add_u32 v20, v20, 23, 0x3c000000
	v_and_b32_e32 v21, 0x80000000, v21
	v_or3_b32 v23, v10, v21, v20
.LBB364_563:                            ;   in Loop: Header=BB364_481 Depth=1
	s_or_b32 exec_lo, exec_lo, s15
.LBB364_564:                            ;   in Loop: Header=BB364_481 Depth=1
	s_or_b32 exec_lo, exec_lo, s14
.LBB364_565:                            ;   in Loop: Header=BB364_481 Depth=1
	s_or_b32 exec_lo, exec_lo, s13
	s_mov_b32 s13, exec_lo
	v_cmpx_lt_u32_e32 0xffffff, v18
	s_cbranch_execz .LBB364_573
; %bb.566:                              ;   in Loop: Header=BB364_481 Depth=1
	v_cmp_ne_u32_sdwa s0, v18, v36 src0_sel:BYTE_3 src1_sel:DWORD
	v_bfrev_b32_e32 v24, 1
	s_and_saveexec_b32 s14, s0
	s_cbranch_execz .LBB364_572
; %bb.567:                              ;   in Loop: Header=BB364_481 Depth=1
	v_bfe_u32 v21, v18, 24, 7
	v_mov_b32_e32 v24, 0x7f800001
	s_mov_b32 s15, exec_lo
	v_cmpx_ne_u32_e32 0x7f, v21
	s_cbranch_execz .LBB364_571
; %bb.568:                              ;   in Loop: Header=BB364_481 Depth=1
	v_and_b32_sdwa v10, v18, v39 dst_sel:DWORD dst_unused:UNUSED_PAD src0_sel:BYTE_3 src1_sel:DWORD
	v_lshrrev_b32_e32 v20, 3, v21
	s_mov_b32 s16, exec_lo
	v_cmpx_gt_u32_e32 8, v21
; %bb.569:                              ;   in Loop: Header=BB364_481 Depth=1
	v_ffbh_u32_e32 v20, v10
	v_min_u32_e32 v20, 32, v20
	v_subrev_nc_u32_e32 v21, 28, v20
	v_sub_nc_u32_e32 v20, 29, v20
	v_lshlrev_b64 v[56:57], v21, v[10:11]
	v_and_b32_e32 v10, 7, v56
; %bb.570:                              ;   in Loop: Header=BB364_481 Depth=1
	s_or_b32 exec_lo, exec_lo, s16
	v_lshlrev_b32_sdwa v21, v40, v18 dst_sel:DWORD dst_unused:UNUSED_PAD src0_sel:DWORD src1_sel:BYTE_3
	v_lshlrev_b32_e32 v10, 20, v10
	v_lshl_add_u32 v20, v20, 23, 0x3c000000
	v_and_b32_e32 v21, 0x80000000, v21
	v_or3_b32 v24, v10, v21, v20
.LBB364_571:                            ;   in Loop: Header=BB364_481 Depth=1
	s_or_b32 exec_lo, exec_lo, s15
.LBB364_572:                            ;   in Loop: Header=BB364_481 Depth=1
	s_or_b32 exec_lo, exec_lo, s14
.LBB364_573:                            ;   in Loop: Header=BB364_481 Depth=1
	s_or_b32 exec_lo, exec_lo, s13
	v_mov_b32_e32 v10, v19
	v_cmp_ne_u16_sdwa s0, v19, v11 src0_sel:BYTE_0 src1_sel:DWORD
	v_mov_b32_e32 v20, 0
	v_mov_b32_e32 v56, 0
	s_and_saveexec_b32 s13, s0
	s_cbranch_execz .LBB364_579
; %bb.574:                              ;   in Loop: Header=BB364_481 Depth=1
	v_cmp_ne_u16_sdwa s0, v19, v36 src0_sel:BYTE_0 src1_sel:DWORD
	v_bfrev_b32_e32 v56, 1
	s_and_saveexec_b32 s14, s0
	s_cbranch_execz .LBB364_578
; %bb.575:                              ;   in Loop: Header=BB364_481 Depth=1
	v_and_b32_e32 v21, 0x7f, v19
	v_mov_b32_e32 v56, 0x7f800001
	s_mov_b32 s15, exec_lo
	v_cmpx_ne_u32_e32 0x7f, v21
	s_cbranch_execz .LBB364_577
; %bb.576:                              ;   in Loop: Header=BB364_481 Depth=1
	v_and_b32_e32 v56, 7, v19
	v_lshrrev_b32_e32 v57, 3, v21
	v_cmp_gt_u32_e64 s0, 8, v21
	v_ffbh_u32_e32 v56, v56
	v_min_u32_e32 v56, 32, v56
	v_subrev_nc_u32_e32 v58, 28, v56
	v_sub_nc_u32_e32 v56, 29, v56
	v_cndmask_b32_e64 v21, v57, v56, s0
	v_cndmask_b32_e64 v56, 0, v58, s0
	v_lshl_add_u32 v21, v21, 23, 0x3c000000
	v_lshlrev_b64 v[56:57], v56, v[10:11]
	v_lshlrev_b32_e32 v57, 24, v10
	v_lshlrev_b32_e32 v56, 20, v56
	v_and_b32_e32 v57, 0x80000000, v57
	v_and_b32_e32 v56, 0x700000, v56
	v_or3_b32 v56, v56, v57, v21
.LBB364_577:                            ;   in Loop: Header=BB364_481 Depth=1
	s_or_b32 exec_lo, exec_lo, s15
.LBB364_578:                            ;   in Loop: Header=BB364_481 Depth=1
	s_or_b32 exec_lo, exec_lo, s14
.LBB364_579:                            ;   in Loop: Header=BB364_481 Depth=1
	s_or_b32 exec_lo, exec_lo, s13
	v_cmp_ne_u16_sdwa s0, v10, v11 src0_sel:BYTE_1 src1_sel:DWORD
	s_and_saveexec_b32 s13, s0
	s_cbranch_execz .LBB364_587
; %bb.580:                              ;   in Loop: Header=BB364_481 Depth=1
	v_cmp_ne_u16_sdwa s0, v10, v36 src0_sel:BYTE_1 src1_sel:DWORD
	v_bfrev_b32_e32 v20, 1
	s_and_saveexec_b32 s14, s0
	s_cbranch_execz .LBB364_586
; %bb.581:                              ;   in Loop: Header=BB364_481 Depth=1
	v_and_b32_sdwa v21, v37, v10 dst_sel:DWORD dst_unused:UNUSED_PAD src0_sel:DWORD src1_sel:BYTE_1
	v_mov_b32_e32 v20, 0x7f800001
	s_mov_b32 s15, exec_lo
	v_and_b32_e32 v58, 0x7f, v21
	v_cmpx_ne_u32_e32 0x7f, v58
	s_cbranch_execz .LBB364_585
; %bb.582:                              ;   in Loop: Header=BB364_481 Depth=1
	v_and_b32_e32 v20, 7, v21
	v_mov_b32_e32 v21, v11
	v_lshrrev_b32_e32 v57, 3, v58
	s_mov_b32 s16, exec_lo
	v_cmpx_gt_u32_e32 8, v58
; %bb.583:                              ;   in Loop: Header=BB364_481 Depth=1
	v_ffbh_u32_e32 v57, v20
	v_min_u32_e32 v57, 32, v57
	v_subrev_nc_u32_e32 v58, 28, v57
	v_sub_nc_u32_e32 v57, 29, v57
	v_lshlrev_b64 v[20:21], v58, v[20:21]
	v_and_b32_e32 v20, 7, v20
; %bb.584:                              ;   in Loop: Header=BB364_481 Depth=1
	s_or_b32 exec_lo, exec_lo, s16
	v_lshlrev_b32_e32 v10, 16, v10
	v_lshlrev_b32_e32 v20, 20, v20
	v_lshl_add_u32 v21, v57, 23, 0x3c000000
	v_and_b32_e32 v10, 0x80000000, v10
	v_or3_b32 v20, v20, v10, v21
.LBB364_585:                            ;   in Loop: Header=BB364_481 Depth=1
	s_or_b32 exec_lo, exec_lo, s15
.LBB364_586:                            ;   in Loop: Header=BB364_481 Depth=1
	s_or_b32 exec_lo, exec_lo, s14
.LBB364_587:                            ;   in Loop: Header=BB364_481 Depth=1
	s_or_b32 exec_lo, exec_lo, s13
	v_and_b32_sdwa v10, v19, v38 dst_sel:DWORD dst_unused:UNUSED_PAD src0_sel:WORD_1 src1_sel:DWORD
	v_mov_b32_e32 v21, 0
	v_mov_b32_e32 v58, 0
	s_mov_b32 s13, exec_lo
	v_cmpx_ne_u16_e32 0, v10
	s_cbranch_execz .LBB364_595
; %bb.588:                              ;   in Loop: Header=BB364_481 Depth=1
	v_bfrev_b32_e32 v58, 1
	s_mov_b32 s14, exec_lo
	v_cmpx_ne_u16_e32 0x80, v10
	s_cbranch_execz .LBB364_594
; %bb.589:                              ;   in Loop: Header=BB364_481 Depth=1
	v_bfe_u32 v59, v19, 16, 7
	v_mov_b32_e32 v58, 0x7f800001
	s_mov_b32 s15, exec_lo
	v_cmpx_ne_u32_e32 0x7f, v59
	s_cbranch_execz .LBB364_593
; %bb.590:                              ;   in Loop: Header=BB364_481 Depth=1
	v_and_b32_sdwa v10, v19, v39 dst_sel:DWORD dst_unused:UNUSED_PAD src0_sel:WORD_1 src1_sel:DWORD
	v_lshrrev_b32_e32 v57, 3, v59
	s_mov_b32 s16, exec_lo
	v_cmpx_gt_u32_e32 8, v59
; %bb.591:                              ;   in Loop: Header=BB364_481 Depth=1
	v_ffbh_u32_e32 v57, v10
	v_min_u32_e32 v57, 32, v57
	v_subrev_nc_u32_e32 v58, 28, v57
	v_sub_nc_u32_e32 v57, 29, v57
	v_lshlrev_b64 v[58:59], v58, v[10:11]
	v_and_b32_e32 v10, 7, v58
; %bb.592:                              ;   in Loop: Header=BB364_481 Depth=1
	s_or_b32 exec_lo, exec_lo, s16
	v_lshlrev_b32_sdwa v58, v40, v19 dst_sel:DWORD dst_unused:UNUSED_PAD src0_sel:DWORD src1_sel:WORD_1
	v_lshlrev_b32_e32 v10, 20, v10
	v_lshl_add_u32 v57, v57, 23, 0x3c000000
	v_and_b32_e32 v58, 0x80000000, v58
	v_or3_b32 v58, v10, v58, v57
.LBB364_593:                            ;   in Loop: Header=BB364_481 Depth=1
	s_or_b32 exec_lo, exec_lo, s15
.LBB364_594:                            ;   in Loop: Header=BB364_481 Depth=1
	s_or_b32 exec_lo, exec_lo, s14
.LBB364_595:                            ;   in Loop: Header=BB364_481 Depth=1
	s_or_b32 exec_lo, exec_lo, s13
	s_mov_b32 s13, exec_lo
	v_cmpx_lt_u64_e64 s[4:5], v[18:19]
	s_cbranch_execz .LBB364_603
; %bb.596:                              ;   in Loop: Header=BB364_481 Depth=1
	v_cmp_ne_u32_sdwa s0, v19, v36 src0_sel:BYTE_3 src1_sel:DWORD
	v_bfrev_b32_e32 v21, 1
	s_and_saveexec_b32 s14, s0
	s_cbranch_execz .LBB364_602
; %bb.597:                              ;   in Loop: Header=BB364_481 Depth=1
	v_bfe_u32 v57, v19, 24, 7
	v_mov_b32_e32 v21, 0x7f800001
	s_mov_b32 s15, exec_lo
	v_cmpx_ne_u32_e32 0x7f, v57
	s_cbranch_execz .LBB364_601
; %bb.598:                              ;   in Loop: Header=BB364_481 Depth=1
	v_and_b32_sdwa v10, v19, v39 dst_sel:DWORD dst_unused:UNUSED_PAD src0_sel:BYTE_3 src1_sel:DWORD
	v_lshrrev_b32_e32 v18, 3, v57
	s_mov_b32 s16, exec_lo
	v_cmpx_gt_u32_e32 8, v57
; %bb.599:                              ;   in Loop: Header=BB364_481 Depth=1
	v_ffbh_u32_e32 v18, v10
	v_min_u32_e32 v18, 32, v18
	v_subrev_nc_u32_e32 v21, 28, v18
	v_sub_nc_u32_e32 v18, 29, v18
	v_lshlrev_b64 v[59:60], v21, v[10:11]
	v_and_b32_e32 v10, 7, v59
; %bb.600:                              ;   in Loop: Header=BB364_481 Depth=1
	s_or_b32 exec_lo, exec_lo, s16
	v_lshlrev_b32_sdwa v19, v40, v19 dst_sel:DWORD dst_unused:UNUSED_PAD src0_sel:DWORD src1_sel:BYTE_3
	v_lshlrev_b32_e32 v10, 20, v10
	v_lshl_add_u32 v18, v18, 23, 0x3c000000
	v_and_b32_e32 v19, 0x80000000, v19
	v_or3_b32 v21, v10, v19, v18
.LBB364_601:                            ;   in Loop: Header=BB364_481 Depth=1
	s_or_b32 exec_lo, exec_lo, s15
.LBB364_602:                            ;   in Loop: Header=BB364_481 Depth=1
	s_or_b32 exec_lo, exec_lo, s14
.LBB364_603:                            ;   in Loop: Header=BB364_481 Depth=1
	s_or_b32 exec_lo, exec_lo, s13
	v_mul_f32_e32 v10, s6, v20
	v_mul_f32_e32 v18, s6, v56
	;; [unrolled: 1-line block ×5, first 2 shown]
	v_bfe_u32 v23, v10, 16, 1
	v_or_b32_e32 v24, 0x400000, v10
	v_bfe_u32 v56, v18, 16, 1
	v_cmp_u_f32_e64 s0, v10, v10
	v_or_b32_e32 v57, 0x400000, v18
	v_add3_u32 v23, v23, v10, 0x7fff
	v_bfe_u32 v59, v19, 16, 1
	v_add3_u32 v56, v56, v18, 0x7fff
	v_or_b32_e32 v60, 0x400000, v19
	v_bfe_u32 v61, v20, 16, 1
	v_cndmask_b32_e64 v10, v23, v24, s0
	v_cmp_u_f32_e64 s0, v18, v18
	v_add3_u32 v59, v59, v19, 0x7fff
	v_or_b32_e32 v23, 0x400000, v20
	v_mul_f32_e32 v21, s6, v21
	v_cndmask_b32_e64 v18, v56, v57, s0
	v_cmp_u_f32_e64 s0, v19, v19
	v_lshrrev_b32_e32 v56, 16, v10
	v_mul_f32_e32 v10, s6, v22
	v_add3_u32 v22, v61, v20, 0x7fff
	v_lshrrev_b32_e32 v57, 16, v18
	v_cndmask_b32_e64 v19, v59, v60, s0
	v_cmp_u_f32_e64 s0, v20, v20
	v_bfe_u32 v18, v10, 16, 1
	v_mul_f32_e32 v20, s6, v58
	v_or_b32_e32 v60, 0x400000, v21
	v_lshrrev_b32_e32 v59, 16, v19
	v_cndmask_b32_e64 v19, v22, v23, s0
	v_add3_u32 v18, v18, v10, 0x7fff
	v_or_b32_e32 v22, 0x400000, v10
	v_bfe_u32 v23, v0, 16, 1
	v_cmp_u_f32_e64 s0, v10, v10
	v_bfe_u32 v24, v20, 16, 1
	v_or_b32_e32 v58, 0x400000, v20
	v_lshrrev_b32_e32 v61, 16, v19
	v_cndmask_b32_e64 v10, v18, v22, s0
	v_add3_u32 v22, v23, v0, 0x7fff
	v_or_b32_e32 v23, 0x400000, v0
	v_cmp_u_f32_e64 s0, v0, v0
	v_bfe_u32 v18, v21, 16, 1
	v_add3_u32 v24, v24, v20, 0x7fff
	v_lshrrev_b32_e32 v63, 16, v10
	v_cndmask_b32_e64 v0, v22, v23, s0
	v_cmp_u_f32_e64 s0, v20, v20
	v_add3_u32 v18, v18, v21, 0x7fff
	v_lshrrev_b32_e32 v62, 16, v0
	v_cndmask_b32_e64 v20, v24, v58, s0
	v_cmp_u_f32_e64 s0, v21, v21
	v_lshrrev_b32_e32 v58, 16, v20
	v_cndmask_b32_e64 v18, v18, v60, s0
	v_lshrrev_b32_e32 v60, 16, v18
	s_and_saveexec_b32 s13, vcc_lo
	s_cbranch_execz .LBB364_605
; %bb.604:                              ;   in Loop: Header=BB364_481 Depth=1
	v_cmp_gt_i32_e64 s0, s27, v49
	v_cndmask_b32_e64 v62, 0, v62, s0
	v_cmp_gt_i32_e64 s0, s27, v55
	v_cndmask_b32_e64 v63, 0, v63, s0
	;; [unrolled: 2-line block ×8, first 2 shown]
.LBB364_605:                            ;   in Loop: Header=BB364_481 Depth=1
	s_or_b32 exec_lo, exec_lo, s13
	global_load_dwordx2 v[18:19], v[16:17], off offset:512
	v_mov_b32_e32 v22, 0
	v_mov_b32_e32 v0, 0
	s_waitcnt vmcnt(0)
	v_cmp_ne_u16_sdwa s0, v18, v11 src0_sel:BYTE_0 src1_sel:DWORD
	s_and_saveexec_b32 s13, s0
	s_cbranch_execz .LBB364_611
; %bb.606:                              ;   in Loop: Header=BB364_481 Depth=1
	v_cmp_ne_u16_sdwa s0, v18, v36 src0_sel:BYTE_0 src1_sel:DWORD
	v_bfrev_b32_e32 v0, 1
	s_and_saveexec_b32 s14, s0
	s_cbranch_execz .LBB364_610
; %bb.607:                              ;   in Loop: Header=BB364_481 Depth=1
	v_and_b32_e32 v10, 0x7f, v18
	v_mov_b32_e32 v0, 0x7f800001
	s_mov_b32 s15, exec_lo
	v_cmpx_ne_u32_e32 0x7f, v10
	s_cbranch_execz .LBB364_609
; %bb.608:                              ;   in Loop: Header=BB364_481 Depth=1
	v_and_b32_e32 v0, 7, v18
	v_cmp_gt_u32_e64 s0, 8, v10
	v_lshrrev_b32_e32 v20, 3, v10
	v_ffbh_u32_e32 v0, v0
	v_min_u32_e32 v0, 32, v0
	v_subrev_nc_u32_e32 v21, 28, v0
	v_sub_nc_u32_e32 v0, 29, v0
	v_cndmask_b32_e64 v10, 0, v21, s0
	v_cndmask_b32_e64 v0, v20, v0, s0
	v_lshlrev_b64 v[20:21], v10, v[18:19]
	v_lshlrev_b32_e32 v10, 24, v18
	v_lshl_add_u32 v0, v0, 23, 0x3c000000
	v_and_b32_e32 v10, 0x80000000, v10
	v_lshlrev_b32_e32 v20, 20, v20
	v_and_b32_e32 v20, 0x700000, v20
	v_or3_b32 v0, v20, v10, v0
.LBB364_609:                            ;   in Loop: Header=BB364_481 Depth=1
	s_or_b32 exec_lo, exec_lo, s15
.LBB364_610:                            ;   in Loop: Header=BB364_481 Depth=1
	s_or_b32 exec_lo, exec_lo, s14
.LBB364_611:                            ;   in Loop: Header=BB364_481 Depth=1
	s_or_b32 exec_lo, exec_lo, s13
	v_cmp_ne_u16_sdwa s0, v18, v11 src0_sel:BYTE_1 src1_sel:DWORD
	s_and_saveexec_b32 s13, s0
	s_cbranch_execz .LBB364_619
; %bb.612:                              ;   in Loop: Header=BB364_481 Depth=1
	v_cmp_ne_u16_sdwa s0, v18, v36 src0_sel:BYTE_1 src1_sel:DWORD
	v_bfrev_b32_e32 v22, 1
	s_and_saveexec_b32 s14, s0
	s_cbranch_execz .LBB364_618
; %bb.613:                              ;   in Loop: Header=BB364_481 Depth=1
	v_and_b32_sdwa v10, v37, v18 dst_sel:DWORD dst_unused:UNUSED_PAD src0_sel:DWORD src1_sel:BYTE_1
	v_mov_b32_e32 v22, 0x7f800001
	s_mov_b32 s15, exec_lo
	v_and_b32_e32 v21, 0x7f, v10
	v_cmpx_ne_u32_e32 0x7f, v21
	s_cbranch_execz .LBB364_617
; %bb.614:                              ;   in Loop: Header=BB364_481 Depth=1
	v_and_b32_e32 v10, 7, v10
	v_lshrrev_b32_e32 v20, 3, v21
	s_mov_b32 s16, exec_lo
	v_cmpx_gt_u32_e32 8, v21
; %bb.615:                              ;   in Loop: Header=BB364_481 Depth=1
	v_ffbh_u32_e32 v20, v10
	v_min_u32_e32 v20, 32, v20
	v_subrev_nc_u32_e32 v21, 28, v20
	v_sub_nc_u32_e32 v20, 29, v20
	v_lshlrev_b64 v[21:22], v21, v[10:11]
	v_and_b32_e32 v10, 7, v21
; %bb.616:                              ;   in Loop: Header=BB364_481 Depth=1
	s_or_b32 exec_lo, exec_lo, s16
	v_lshlrev_b32_e32 v21, 16, v18
	v_lshlrev_b32_e32 v10, 20, v10
	v_lshl_add_u32 v20, v20, 23, 0x3c000000
	v_and_b32_e32 v21, 0x80000000, v21
	v_or3_b32 v22, v10, v21, v20
.LBB364_617:                            ;   in Loop: Header=BB364_481 Depth=1
	s_or_b32 exec_lo, exec_lo, s15
.LBB364_618:                            ;   in Loop: Header=BB364_481 Depth=1
	s_or_b32 exec_lo, exec_lo, s14
.LBB364_619:                            ;   in Loop: Header=BB364_481 Depth=1
	s_or_b32 exec_lo, exec_lo, s13
	v_and_b32_sdwa v10, v18, v38 dst_sel:DWORD dst_unused:UNUSED_PAD src0_sel:WORD_1 src1_sel:DWORD
	v_mov_b32_e32 v24, 0
	v_mov_b32_e32 v23, 0
	s_mov_b32 s13, exec_lo
	v_cmpx_ne_u16_e32 0, v10
	s_cbranch_execz .LBB364_627
; %bb.620:                              ;   in Loop: Header=BB364_481 Depth=1
	v_bfrev_b32_e32 v23, 1
	s_mov_b32 s14, exec_lo
	v_cmpx_ne_u16_e32 0x80, v10
	s_cbranch_execz .LBB364_626
; %bb.621:                              ;   in Loop: Header=BB364_481 Depth=1
	v_bfe_u32 v21, v18, 16, 7
	v_mov_b32_e32 v23, 0x7f800001
	s_mov_b32 s15, exec_lo
	v_cmpx_ne_u32_e32 0x7f, v21
	s_cbranch_execz .LBB364_625
; %bb.622:                              ;   in Loop: Header=BB364_481 Depth=1
	v_and_b32_sdwa v10, v18, v39 dst_sel:DWORD dst_unused:UNUSED_PAD src0_sel:WORD_1 src1_sel:DWORD
	v_lshrrev_b32_e32 v20, 3, v21
	s_mov_b32 s16, exec_lo
	v_cmpx_gt_u32_e32 8, v21
; %bb.623:                              ;   in Loop: Header=BB364_481 Depth=1
	v_ffbh_u32_e32 v20, v10
	v_min_u32_e32 v20, 32, v20
	v_subrev_nc_u32_e32 v21, 28, v20
	v_sub_nc_u32_e32 v20, 29, v20
	v_lshlrev_b64 v[64:65], v21, v[10:11]
	v_and_b32_e32 v10, 7, v64
; %bb.624:                              ;   in Loop: Header=BB364_481 Depth=1
	s_or_b32 exec_lo, exec_lo, s16
	v_lshlrev_b32_sdwa v21, v40, v18 dst_sel:DWORD dst_unused:UNUSED_PAD src0_sel:DWORD src1_sel:WORD_1
	v_lshlrev_b32_e32 v10, 20, v10
	v_lshl_add_u32 v20, v20, 23, 0x3c000000
	v_and_b32_e32 v21, 0x80000000, v21
	v_or3_b32 v23, v10, v21, v20
.LBB364_625:                            ;   in Loop: Header=BB364_481 Depth=1
	s_or_b32 exec_lo, exec_lo, s15
.LBB364_626:                            ;   in Loop: Header=BB364_481 Depth=1
	s_or_b32 exec_lo, exec_lo, s14
.LBB364_627:                            ;   in Loop: Header=BB364_481 Depth=1
	s_or_b32 exec_lo, exec_lo, s13
	s_mov_b32 s13, exec_lo
	v_cmpx_lt_u32_e32 0xffffff, v18
	s_cbranch_execz .LBB364_635
; %bb.628:                              ;   in Loop: Header=BB364_481 Depth=1
	v_cmp_ne_u32_sdwa s0, v18, v36 src0_sel:BYTE_3 src1_sel:DWORD
	v_bfrev_b32_e32 v24, 1
	s_and_saveexec_b32 s14, s0
	s_cbranch_execz .LBB364_634
; %bb.629:                              ;   in Loop: Header=BB364_481 Depth=1
	v_bfe_u32 v21, v18, 24, 7
	v_mov_b32_e32 v24, 0x7f800001
	s_mov_b32 s15, exec_lo
	v_cmpx_ne_u32_e32 0x7f, v21
	s_cbranch_execz .LBB364_633
; %bb.630:                              ;   in Loop: Header=BB364_481 Depth=1
	v_and_b32_sdwa v10, v18, v39 dst_sel:DWORD dst_unused:UNUSED_PAD src0_sel:BYTE_3 src1_sel:DWORD
	v_lshrrev_b32_e32 v20, 3, v21
	s_mov_b32 s16, exec_lo
	v_cmpx_gt_u32_e32 8, v21
; %bb.631:                              ;   in Loop: Header=BB364_481 Depth=1
	v_ffbh_u32_e32 v20, v10
	v_min_u32_e32 v20, 32, v20
	v_subrev_nc_u32_e32 v21, 28, v20
	v_sub_nc_u32_e32 v20, 29, v20
	v_lshlrev_b64 v[64:65], v21, v[10:11]
	v_and_b32_e32 v10, 7, v64
; %bb.632:                              ;   in Loop: Header=BB364_481 Depth=1
	s_or_b32 exec_lo, exec_lo, s16
	v_lshlrev_b32_sdwa v21, v40, v18 dst_sel:DWORD dst_unused:UNUSED_PAD src0_sel:DWORD src1_sel:BYTE_3
	v_lshlrev_b32_e32 v10, 20, v10
	v_lshl_add_u32 v20, v20, 23, 0x3c000000
	v_and_b32_e32 v21, 0x80000000, v21
	v_or3_b32 v24, v10, v21, v20
.LBB364_633:                            ;   in Loop: Header=BB364_481 Depth=1
	s_or_b32 exec_lo, exec_lo, s15
.LBB364_634:                            ;   in Loop: Header=BB364_481 Depth=1
	s_or_b32 exec_lo, exec_lo, s14
.LBB364_635:                            ;   in Loop: Header=BB364_481 Depth=1
	s_or_b32 exec_lo, exec_lo, s13
	v_mov_b32_e32 v10, v19
	v_cmp_ne_u16_sdwa s0, v19, v11 src0_sel:BYTE_0 src1_sel:DWORD
	v_mov_b32_e32 v20, 0
	v_mov_b32_e32 v64, 0
	s_and_saveexec_b32 s13, s0
	s_cbranch_execz .LBB364_641
; %bb.636:                              ;   in Loop: Header=BB364_481 Depth=1
	v_cmp_ne_u16_sdwa s0, v19, v36 src0_sel:BYTE_0 src1_sel:DWORD
	v_bfrev_b32_e32 v64, 1
	s_and_saveexec_b32 s14, s0
	s_cbranch_execz .LBB364_640
; %bb.637:                              ;   in Loop: Header=BB364_481 Depth=1
	v_and_b32_e32 v21, 0x7f, v19
	v_mov_b32_e32 v64, 0x7f800001
	s_mov_b32 s15, exec_lo
	v_cmpx_ne_u32_e32 0x7f, v21
	s_cbranch_execz .LBB364_639
; %bb.638:                              ;   in Loop: Header=BB364_481 Depth=1
	v_and_b32_e32 v64, 7, v19
	v_lshrrev_b32_e32 v65, 3, v21
	v_cmp_gt_u32_e64 s0, 8, v21
	v_ffbh_u32_e32 v64, v64
	v_min_u32_e32 v64, 32, v64
	v_subrev_nc_u32_e32 v66, 28, v64
	v_sub_nc_u32_e32 v64, 29, v64
	v_cndmask_b32_e64 v21, v65, v64, s0
	v_cndmask_b32_e64 v64, 0, v66, s0
	v_lshl_add_u32 v21, v21, 23, 0x3c000000
	v_lshlrev_b64 v[64:65], v64, v[10:11]
	v_lshlrev_b32_e32 v65, 24, v10
	v_lshlrev_b32_e32 v64, 20, v64
	v_and_b32_e32 v65, 0x80000000, v65
	v_and_b32_e32 v64, 0x700000, v64
	v_or3_b32 v64, v64, v65, v21
.LBB364_639:                            ;   in Loop: Header=BB364_481 Depth=1
	s_or_b32 exec_lo, exec_lo, s15
.LBB364_640:                            ;   in Loop: Header=BB364_481 Depth=1
	s_or_b32 exec_lo, exec_lo, s14
.LBB364_641:                            ;   in Loop: Header=BB364_481 Depth=1
	s_or_b32 exec_lo, exec_lo, s13
	v_cmp_ne_u16_sdwa s0, v10, v11 src0_sel:BYTE_1 src1_sel:DWORD
	s_and_saveexec_b32 s13, s0
	s_cbranch_execz .LBB364_649
; %bb.642:                              ;   in Loop: Header=BB364_481 Depth=1
	v_cmp_ne_u16_sdwa s0, v10, v36 src0_sel:BYTE_1 src1_sel:DWORD
	v_bfrev_b32_e32 v20, 1
	s_and_saveexec_b32 s14, s0
	s_cbranch_execz .LBB364_648
; %bb.643:                              ;   in Loop: Header=BB364_481 Depth=1
	v_and_b32_sdwa v21, v37, v10 dst_sel:DWORD dst_unused:UNUSED_PAD src0_sel:DWORD src1_sel:BYTE_1
	v_mov_b32_e32 v20, 0x7f800001
	s_mov_b32 s15, exec_lo
	v_and_b32_e32 v66, 0x7f, v21
	v_cmpx_ne_u32_e32 0x7f, v66
	s_cbranch_execz .LBB364_647
; %bb.644:                              ;   in Loop: Header=BB364_481 Depth=1
	v_and_b32_e32 v20, 7, v21
	v_mov_b32_e32 v21, v11
	v_lshrrev_b32_e32 v65, 3, v66
	s_mov_b32 s16, exec_lo
	v_cmpx_gt_u32_e32 8, v66
; %bb.645:                              ;   in Loop: Header=BB364_481 Depth=1
	v_ffbh_u32_e32 v65, v20
	v_min_u32_e32 v65, 32, v65
	v_subrev_nc_u32_e32 v66, 28, v65
	v_sub_nc_u32_e32 v65, 29, v65
	v_lshlrev_b64 v[20:21], v66, v[20:21]
	v_and_b32_e32 v20, 7, v20
; %bb.646:                              ;   in Loop: Header=BB364_481 Depth=1
	s_or_b32 exec_lo, exec_lo, s16
	v_lshlrev_b32_e32 v10, 16, v10
	v_lshlrev_b32_e32 v20, 20, v20
	v_lshl_add_u32 v21, v65, 23, 0x3c000000
	v_and_b32_e32 v10, 0x80000000, v10
	v_or3_b32 v20, v20, v10, v21
.LBB364_647:                            ;   in Loop: Header=BB364_481 Depth=1
	s_or_b32 exec_lo, exec_lo, s15
.LBB364_648:                            ;   in Loop: Header=BB364_481 Depth=1
	s_or_b32 exec_lo, exec_lo, s14
.LBB364_649:                            ;   in Loop: Header=BB364_481 Depth=1
	s_or_b32 exec_lo, exec_lo, s13
	v_and_b32_sdwa v10, v19, v38 dst_sel:DWORD dst_unused:UNUSED_PAD src0_sel:WORD_1 src1_sel:DWORD
	v_mov_b32_e32 v21, 0
	v_mov_b32_e32 v66, 0
	s_mov_b32 s13, exec_lo
	v_cmpx_ne_u16_e32 0, v10
	s_cbranch_execz .LBB364_657
; %bb.650:                              ;   in Loop: Header=BB364_481 Depth=1
	v_bfrev_b32_e32 v66, 1
	s_mov_b32 s14, exec_lo
	v_cmpx_ne_u16_e32 0x80, v10
	s_cbranch_execz .LBB364_656
; %bb.651:                              ;   in Loop: Header=BB364_481 Depth=1
	v_bfe_u32 v67, v19, 16, 7
	v_mov_b32_e32 v66, 0x7f800001
	s_mov_b32 s15, exec_lo
	v_cmpx_ne_u32_e32 0x7f, v67
	s_cbranch_execz .LBB364_655
; %bb.652:                              ;   in Loop: Header=BB364_481 Depth=1
	v_and_b32_sdwa v10, v19, v39 dst_sel:DWORD dst_unused:UNUSED_PAD src0_sel:WORD_1 src1_sel:DWORD
	v_lshrrev_b32_e32 v65, 3, v67
	s_mov_b32 s16, exec_lo
	v_cmpx_gt_u32_e32 8, v67
; %bb.653:                              ;   in Loop: Header=BB364_481 Depth=1
	v_ffbh_u32_e32 v65, v10
	v_min_u32_e32 v65, 32, v65
	v_subrev_nc_u32_e32 v66, 28, v65
	v_sub_nc_u32_e32 v65, 29, v65
	v_lshlrev_b64 v[66:67], v66, v[10:11]
	v_and_b32_e32 v10, 7, v66
; %bb.654:                              ;   in Loop: Header=BB364_481 Depth=1
	s_or_b32 exec_lo, exec_lo, s16
	v_lshlrev_b32_sdwa v66, v40, v19 dst_sel:DWORD dst_unused:UNUSED_PAD src0_sel:DWORD src1_sel:WORD_1
	v_lshlrev_b32_e32 v10, 20, v10
	v_lshl_add_u32 v65, v65, 23, 0x3c000000
	v_and_b32_e32 v66, 0x80000000, v66
	v_or3_b32 v66, v10, v66, v65
.LBB364_655:                            ;   in Loop: Header=BB364_481 Depth=1
	s_or_b32 exec_lo, exec_lo, s15
.LBB364_656:                            ;   in Loop: Header=BB364_481 Depth=1
	s_or_b32 exec_lo, exec_lo, s14
.LBB364_657:                            ;   in Loop: Header=BB364_481 Depth=1
	s_or_b32 exec_lo, exec_lo, s13
	s_mov_b32 s13, exec_lo
	v_cmpx_lt_u64_e64 s[4:5], v[18:19]
	s_cbranch_execz .LBB364_665
; %bb.658:                              ;   in Loop: Header=BB364_481 Depth=1
	v_cmp_ne_u32_sdwa s0, v19, v36 src0_sel:BYTE_3 src1_sel:DWORD
	v_bfrev_b32_e32 v21, 1
	s_and_saveexec_b32 s14, s0
	s_cbranch_execz .LBB364_664
; %bb.659:                              ;   in Loop: Header=BB364_481 Depth=1
	v_bfe_u32 v65, v19, 24, 7
	v_mov_b32_e32 v21, 0x7f800001
	s_mov_b32 s15, exec_lo
	v_cmpx_ne_u32_e32 0x7f, v65
	s_cbranch_execz .LBB364_663
; %bb.660:                              ;   in Loop: Header=BB364_481 Depth=1
	v_and_b32_sdwa v10, v19, v39 dst_sel:DWORD dst_unused:UNUSED_PAD src0_sel:BYTE_3 src1_sel:DWORD
	v_lshrrev_b32_e32 v18, 3, v65
	s_mov_b32 s16, exec_lo
	v_cmpx_gt_u32_e32 8, v65
; %bb.661:                              ;   in Loop: Header=BB364_481 Depth=1
	v_ffbh_u32_e32 v18, v10
	v_min_u32_e32 v18, 32, v18
	v_subrev_nc_u32_e32 v21, 28, v18
	v_sub_nc_u32_e32 v18, 29, v18
	v_lshlrev_b64 v[67:68], v21, v[10:11]
	v_and_b32_e32 v10, 7, v67
; %bb.662:                              ;   in Loop: Header=BB364_481 Depth=1
	s_or_b32 exec_lo, exec_lo, s16
	v_lshlrev_b32_sdwa v19, v40, v19 dst_sel:DWORD dst_unused:UNUSED_PAD src0_sel:DWORD src1_sel:BYTE_3
	v_lshlrev_b32_e32 v10, 20, v10
	v_lshl_add_u32 v18, v18, 23, 0x3c000000
	v_and_b32_e32 v19, 0x80000000, v19
	v_or3_b32 v21, v10, v19, v18
.LBB364_663:                            ;   in Loop: Header=BB364_481 Depth=1
	s_or_b32 exec_lo, exec_lo, s15
.LBB364_664:                            ;   in Loop: Header=BB364_481 Depth=1
	s_or_b32 exec_lo, exec_lo, s14
.LBB364_665:                            ;   in Loop: Header=BB364_481 Depth=1
	s_or_b32 exec_lo, exec_lo, s13
	v_mul_f32_e32 v10, s6, v20
	v_mul_f32_e32 v18, s6, v64
	;; [unrolled: 1-line block ×5, first 2 shown]
	v_bfe_u32 v23, v10, 16, 1
	v_or_b32_e32 v24, 0x400000, v10
	v_bfe_u32 v64, v18, 16, 1
	v_cmp_u_f32_e64 s0, v10, v10
	v_or_b32_e32 v65, 0x400000, v18
	v_add3_u32 v23, v23, v10, 0x7fff
	v_bfe_u32 v67, v19, 16, 1
	v_add3_u32 v64, v64, v18, 0x7fff
	v_or_b32_e32 v68, 0x400000, v19
	v_bfe_u32 v69, v20, 16, 1
	v_cndmask_b32_e64 v10, v23, v24, s0
	v_cmp_u_f32_e64 s0, v18, v18
	v_add3_u32 v67, v67, v19, 0x7fff
	v_or_b32_e32 v23, 0x400000, v20
	v_mul_f32_e32 v21, s6, v21
	v_cndmask_b32_e64 v18, v64, v65, s0
	v_cmp_u_f32_e64 s0, v19, v19
	v_lshrrev_b32_e32 v64, 16, v10
	v_mul_f32_e32 v10, s6, v22
	v_add3_u32 v22, v69, v20, 0x7fff
	v_lshrrev_b32_e32 v65, 16, v18
	v_cndmask_b32_e64 v19, v67, v68, s0
	v_cmp_u_f32_e64 s0, v20, v20
	v_bfe_u32 v18, v10, 16, 1
	v_mul_f32_e32 v20, s6, v66
	v_or_b32_e32 v68, 0x400000, v21
	v_lshrrev_b32_e32 v67, 16, v19
	v_cndmask_b32_e64 v19, v22, v23, s0
	v_add3_u32 v18, v18, v10, 0x7fff
	v_or_b32_e32 v22, 0x400000, v10
	v_bfe_u32 v23, v0, 16, 1
	v_cmp_u_f32_e64 s0, v10, v10
	v_bfe_u32 v24, v20, 16, 1
	v_or_b32_e32 v66, 0x400000, v20
	v_lshrrev_b32_e32 v69, 16, v19
	v_cndmask_b32_e64 v10, v18, v22, s0
	v_add3_u32 v22, v23, v0, 0x7fff
	v_or_b32_e32 v23, 0x400000, v0
	v_cmp_u_f32_e64 s0, v0, v0
	v_bfe_u32 v18, v21, 16, 1
	v_add3_u32 v24, v24, v20, 0x7fff
	v_lshrrev_b32_e32 v71, 16, v10
	v_cndmask_b32_e64 v0, v22, v23, s0
	v_cmp_u_f32_e64 s0, v20, v20
	v_add3_u32 v18, v18, v21, 0x7fff
	v_lshrrev_b32_e32 v70, 16, v0
	v_cndmask_b32_e64 v20, v24, v66, s0
	v_cmp_u_f32_e64 s0, v21, v21
	v_lshrrev_b32_e32 v66, 16, v20
	v_cndmask_b32_e64 v18, v18, v68, s0
	v_lshrrev_b32_e32 v68, 16, v18
	s_and_saveexec_b32 s13, vcc_lo
	s_cbranch_execz .LBB364_667
; %bb.666:                              ;   in Loop: Header=BB364_481 Depth=1
	v_cmp_gt_i32_e64 s0, s27, v49
	v_cndmask_b32_e64 v70, 0, v70, s0
	v_cmp_gt_i32_e64 s0, s27, v55
	v_cndmask_b32_e64 v71, 0, v71, s0
	;; [unrolled: 2-line block ×8, first 2 shown]
.LBB364_667:                            ;   in Loop: Header=BB364_481 Depth=1
	s_or_b32 exec_lo, exec_lo, s13
	global_load_dwordx2 v[18:19], v[16:17], off offset:768
	v_mov_b32_e32 v22, 0
	v_mov_b32_e32 v0, 0
	s_waitcnt vmcnt(0)
	v_cmp_ne_u16_sdwa s0, v18, v11 src0_sel:BYTE_0 src1_sel:DWORD
	s_and_saveexec_b32 s13, s0
	s_cbranch_execz .LBB364_673
; %bb.668:                              ;   in Loop: Header=BB364_481 Depth=1
	v_cmp_ne_u16_sdwa s0, v18, v36 src0_sel:BYTE_0 src1_sel:DWORD
	v_bfrev_b32_e32 v0, 1
	s_and_saveexec_b32 s14, s0
	s_cbranch_execz .LBB364_672
; %bb.669:                              ;   in Loop: Header=BB364_481 Depth=1
	v_and_b32_e32 v10, 0x7f, v18
	v_mov_b32_e32 v0, 0x7f800001
	s_mov_b32 s15, exec_lo
	v_cmpx_ne_u32_e32 0x7f, v10
	s_cbranch_execz .LBB364_671
; %bb.670:                              ;   in Loop: Header=BB364_481 Depth=1
	v_and_b32_e32 v0, 7, v18
	v_cmp_gt_u32_e64 s0, 8, v10
	v_lshrrev_b32_e32 v20, 3, v10
	v_ffbh_u32_e32 v0, v0
	v_min_u32_e32 v0, 32, v0
	v_subrev_nc_u32_e32 v21, 28, v0
	v_sub_nc_u32_e32 v0, 29, v0
	v_cndmask_b32_e64 v10, 0, v21, s0
	v_cndmask_b32_e64 v0, v20, v0, s0
	v_lshlrev_b64 v[20:21], v10, v[18:19]
	v_lshlrev_b32_e32 v10, 24, v18
	v_lshl_add_u32 v0, v0, 23, 0x3c000000
	v_and_b32_e32 v10, 0x80000000, v10
	v_lshlrev_b32_e32 v20, 20, v20
	v_and_b32_e32 v20, 0x700000, v20
	v_or3_b32 v0, v20, v10, v0
.LBB364_671:                            ;   in Loop: Header=BB364_481 Depth=1
	s_or_b32 exec_lo, exec_lo, s15
.LBB364_672:                            ;   in Loop: Header=BB364_481 Depth=1
	s_or_b32 exec_lo, exec_lo, s14
.LBB364_673:                            ;   in Loop: Header=BB364_481 Depth=1
	s_or_b32 exec_lo, exec_lo, s13
	v_cmp_ne_u16_sdwa s0, v18, v11 src0_sel:BYTE_1 src1_sel:DWORD
	s_and_saveexec_b32 s13, s0
	s_cbranch_execz .LBB364_681
; %bb.674:                              ;   in Loop: Header=BB364_481 Depth=1
	v_cmp_ne_u16_sdwa s0, v18, v36 src0_sel:BYTE_1 src1_sel:DWORD
	v_bfrev_b32_e32 v22, 1
	s_and_saveexec_b32 s14, s0
	s_cbranch_execz .LBB364_680
; %bb.675:                              ;   in Loop: Header=BB364_481 Depth=1
	v_and_b32_sdwa v10, v37, v18 dst_sel:DWORD dst_unused:UNUSED_PAD src0_sel:DWORD src1_sel:BYTE_1
	v_mov_b32_e32 v22, 0x7f800001
	s_mov_b32 s15, exec_lo
	v_and_b32_e32 v21, 0x7f, v10
	v_cmpx_ne_u32_e32 0x7f, v21
	s_cbranch_execz .LBB364_679
; %bb.676:                              ;   in Loop: Header=BB364_481 Depth=1
	v_and_b32_e32 v10, 7, v10
	v_lshrrev_b32_e32 v20, 3, v21
	s_mov_b32 s16, exec_lo
	v_cmpx_gt_u32_e32 8, v21
; %bb.677:                              ;   in Loop: Header=BB364_481 Depth=1
	v_ffbh_u32_e32 v20, v10
	v_min_u32_e32 v20, 32, v20
	v_subrev_nc_u32_e32 v21, 28, v20
	v_sub_nc_u32_e32 v20, 29, v20
	v_lshlrev_b64 v[21:22], v21, v[10:11]
	v_and_b32_e32 v10, 7, v21
; %bb.678:                              ;   in Loop: Header=BB364_481 Depth=1
	s_or_b32 exec_lo, exec_lo, s16
	v_lshlrev_b32_e32 v21, 16, v18
	v_lshlrev_b32_e32 v10, 20, v10
	v_lshl_add_u32 v20, v20, 23, 0x3c000000
	v_and_b32_e32 v21, 0x80000000, v21
	v_or3_b32 v22, v10, v21, v20
.LBB364_679:                            ;   in Loop: Header=BB364_481 Depth=1
	s_or_b32 exec_lo, exec_lo, s15
.LBB364_680:                            ;   in Loop: Header=BB364_481 Depth=1
	s_or_b32 exec_lo, exec_lo, s14
.LBB364_681:                            ;   in Loop: Header=BB364_481 Depth=1
	s_or_b32 exec_lo, exec_lo, s13
	v_and_b32_sdwa v10, v18, v38 dst_sel:DWORD dst_unused:UNUSED_PAD src0_sel:WORD_1 src1_sel:DWORD
	v_mov_b32_e32 v24, 0
	v_mov_b32_e32 v23, 0
	s_mov_b32 s13, exec_lo
	v_cmpx_ne_u16_e32 0, v10
	s_cbranch_execz .LBB364_689
; %bb.682:                              ;   in Loop: Header=BB364_481 Depth=1
	v_bfrev_b32_e32 v23, 1
	s_mov_b32 s14, exec_lo
	v_cmpx_ne_u16_e32 0x80, v10
	s_cbranch_execz .LBB364_688
; %bb.683:                              ;   in Loop: Header=BB364_481 Depth=1
	v_bfe_u32 v21, v18, 16, 7
	v_mov_b32_e32 v23, 0x7f800001
	s_mov_b32 s15, exec_lo
	v_cmpx_ne_u32_e32 0x7f, v21
	s_cbranch_execz .LBB364_687
; %bb.684:                              ;   in Loop: Header=BB364_481 Depth=1
	v_and_b32_sdwa v10, v18, v39 dst_sel:DWORD dst_unused:UNUSED_PAD src0_sel:WORD_1 src1_sel:DWORD
	v_lshrrev_b32_e32 v20, 3, v21
	s_mov_b32 s16, exec_lo
	v_cmpx_gt_u32_e32 8, v21
; %bb.685:                              ;   in Loop: Header=BB364_481 Depth=1
	v_ffbh_u32_e32 v20, v10
	v_min_u32_e32 v20, 32, v20
	v_subrev_nc_u32_e32 v21, 28, v20
	v_sub_nc_u32_e32 v20, 29, v20
	v_lshlrev_b64 v[72:73], v21, v[10:11]
	v_and_b32_e32 v10, 7, v72
; %bb.686:                              ;   in Loop: Header=BB364_481 Depth=1
	s_or_b32 exec_lo, exec_lo, s16
	v_lshlrev_b32_sdwa v21, v40, v18 dst_sel:DWORD dst_unused:UNUSED_PAD src0_sel:DWORD src1_sel:WORD_1
	v_lshlrev_b32_e32 v10, 20, v10
	v_lshl_add_u32 v20, v20, 23, 0x3c000000
	v_and_b32_e32 v21, 0x80000000, v21
	v_or3_b32 v23, v10, v21, v20
.LBB364_687:                            ;   in Loop: Header=BB364_481 Depth=1
	s_or_b32 exec_lo, exec_lo, s15
.LBB364_688:                            ;   in Loop: Header=BB364_481 Depth=1
	s_or_b32 exec_lo, exec_lo, s14
.LBB364_689:                            ;   in Loop: Header=BB364_481 Depth=1
	s_or_b32 exec_lo, exec_lo, s13
	s_mov_b32 s13, exec_lo
	v_cmpx_lt_u32_e32 0xffffff, v18
	s_cbranch_execz .LBB364_697
; %bb.690:                              ;   in Loop: Header=BB364_481 Depth=1
	v_cmp_ne_u32_sdwa s0, v18, v36 src0_sel:BYTE_3 src1_sel:DWORD
	v_bfrev_b32_e32 v24, 1
	s_and_saveexec_b32 s14, s0
	s_cbranch_execz .LBB364_696
; %bb.691:                              ;   in Loop: Header=BB364_481 Depth=1
	v_bfe_u32 v21, v18, 24, 7
	v_mov_b32_e32 v24, 0x7f800001
	s_mov_b32 s15, exec_lo
	v_cmpx_ne_u32_e32 0x7f, v21
	s_cbranch_execz .LBB364_695
; %bb.692:                              ;   in Loop: Header=BB364_481 Depth=1
	v_and_b32_sdwa v10, v18, v39 dst_sel:DWORD dst_unused:UNUSED_PAD src0_sel:BYTE_3 src1_sel:DWORD
	v_lshrrev_b32_e32 v20, 3, v21
	s_mov_b32 s16, exec_lo
	v_cmpx_gt_u32_e32 8, v21
; %bb.693:                              ;   in Loop: Header=BB364_481 Depth=1
	v_ffbh_u32_e32 v20, v10
	v_min_u32_e32 v20, 32, v20
	v_subrev_nc_u32_e32 v21, 28, v20
	v_sub_nc_u32_e32 v20, 29, v20
	v_lshlrev_b64 v[72:73], v21, v[10:11]
	v_and_b32_e32 v10, 7, v72
; %bb.694:                              ;   in Loop: Header=BB364_481 Depth=1
	s_or_b32 exec_lo, exec_lo, s16
	v_lshlrev_b32_sdwa v21, v40, v18 dst_sel:DWORD dst_unused:UNUSED_PAD src0_sel:DWORD src1_sel:BYTE_3
	v_lshlrev_b32_e32 v10, 20, v10
	v_lshl_add_u32 v20, v20, 23, 0x3c000000
	v_and_b32_e32 v21, 0x80000000, v21
	v_or3_b32 v24, v10, v21, v20
.LBB364_695:                            ;   in Loop: Header=BB364_481 Depth=1
	s_or_b32 exec_lo, exec_lo, s15
.LBB364_696:                            ;   in Loop: Header=BB364_481 Depth=1
	s_or_b32 exec_lo, exec_lo, s14
.LBB364_697:                            ;   in Loop: Header=BB364_481 Depth=1
	s_or_b32 exec_lo, exec_lo, s13
	v_mov_b32_e32 v10, v19
	v_cmp_ne_u16_sdwa s0, v19, v11 src0_sel:BYTE_0 src1_sel:DWORD
	v_mov_b32_e32 v20, 0
	v_mov_b32_e32 v72, 0
	s_and_saveexec_b32 s13, s0
	s_cbranch_execz .LBB364_703
; %bb.698:                              ;   in Loop: Header=BB364_481 Depth=1
	v_cmp_ne_u16_sdwa s0, v19, v36 src0_sel:BYTE_0 src1_sel:DWORD
	v_bfrev_b32_e32 v72, 1
	s_and_saveexec_b32 s14, s0
	s_cbranch_execz .LBB364_702
; %bb.699:                              ;   in Loop: Header=BB364_481 Depth=1
	v_and_b32_e32 v21, 0x7f, v19
	v_mov_b32_e32 v72, 0x7f800001
	s_mov_b32 s15, exec_lo
	v_cmpx_ne_u32_e32 0x7f, v21
	s_cbranch_execz .LBB364_701
; %bb.700:                              ;   in Loop: Header=BB364_481 Depth=1
	v_and_b32_e32 v72, 7, v19
	v_lshrrev_b32_e32 v73, 3, v21
	v_cmp_gt_u32_e64 s0, 8, v21
	v_ffbh_u32_e32 v72, v72
	v_min_u32_e32 v72, 32, v72
	v_subrev_nc_u32_e32 v74, 28, v72
	v_sub_nc_u32_e32 v72, 29, v72
	v_cndmask_b32_e64 v21, v73, v72, s0
	v_cndmask_b32_e64 v72, 0, v74, s0
	v_lshl_add_u32 v21, v21, 23, 0x3c000000
	v_lshlrev_b64 v[72:73], v72, v[10:11]
	v_lshlrev_b32_e32 v73, 24, v10
	v_lshlrev_b32_e32 v72, 20, v72
	v_and_b32_e32 v73, 0x80000000, v73
	v_and_b32_e32 v72, 0x700000, v72
	v_or3_b32 v72, v72, v73, v21
.LBB364_701:                            ;   in Loop: Header=BB364_481 Depth=1
	s_or_b32 exec_lo, exec_lo, s15
.LBB364_702:                            ;   in Loop: Header=BB364_481 Depth=1
	s_or_b32 exec_lo, exec_lo, s14
.LBB364_703:                            ;   in Loop: Header=BB364_481 Depth=1
	s_or_b32 exec_lo, exec_lo, s13
	v_cmp_ne_u16_sdwa s0, v10, v11 src0_sel:BYTE_1 src1_sel:DWORD
	s_and_saveexec_b32 s13, s0
	s_cbranch_execz .LBB364_711
; %bb.704:                              ;   in Loop: Header=BB364_481 Depth=1
	v_cmp_ne_u16_sdwa s0, v10, v36 src0_sel:BYTE_1 src1_sel:DWORD
	v_bfrev_b32_e32 v20, 1
	s_and_saveexec_b32 s14, s0
	s_cbranch_execz .LBB364_710
; %bb.705:                              ;   in Loop: Header=BB364_481 Depth=1
	v_and_b32_sdwa v21, v37, v10 dst_sel:DWORD dst_unused:UNUSED_PAD src0_sel:DWORD src1_sel:BYTE_1
	v_mov_b32_e32 v20, 0x7f800001
	s_mov_b32 s15, exec_lo
	v_and_b32_e32 v74, 0x7f, v21
	v_cmpx_ne_u32_e32 0x7f, v74
	s_cbranch_execz .LBB364_709
; %bb.706:                              ;   in Loop: Header=BB364_481 Depth=1
	v_and_b32_e32 v20, 7, v21
	v_mov_b32_e32 v21, v11
	v_lshrrev_b32_e32 v73, 3, v74
	s_mov_b32 s16, exec_lo
	v_cmpx_gt_u32_e32 8, v74
; %bb.707:                              ;   in Loop: Header=BB364_481 Depth=1
	v_ffbh_u32_e32 v73, v20
	v_min_u32_e32 v73, 32, v73
	v_subrev_nc_u32_e32 v74, 28, v73
	v_sub_nc_u32_e32 v73, 29, v73
	v_lshlrev_b64 v[20:21], v74, v[20:21]
	v_and_b32_e32 v20, 7, v20
; %bb.708:                              ;   in Loop: Header=BB364_481 Depth=1
	s_or_b32 exec_lo, exec_lo, s16
	v_lshlrev_b32_e32 v10, 16, v10
	v_lshlrev_b32_e32 v20, 20, v20
	v_lshl_add_u32 v21, v73, 23, 0x3c000000
	v_and_b32_e32 v10, 0x80000000, v10
	v_or3_b32 v20, v20, v10, v21
.LBB364_709:                            ;   in Loop: Header=BB364_481 Depth=1
	s_or_b32 exec_lo, exec_lo, s15
.LBB364_710:                            ;   in Loop: Header=BB364_481 Depth=1
	s_or_b32 exec_lo, exec_lo, s14
.LBB364_711:                            ;   in Loop: Header=BB364_481 Depth=1
	s_or_b32 exec_lo, exec_lo, s13
	v_and_b32_sdwa v10, v19, v38 dst_sel:DWORD dst_unused:UNUSED_PAD src0_sel:WORD_1 src1_sel:DWORD
	v_mov_b32_e32 v21, 0
	v_mov_b32_e32 v74, 0
	s_mov_b32 s13, exec_lo
	v_cmpx_ne_u16_e32 0, v10
	s_cbranch_execz .LBB364_719
; %bb.712:                              ;   in Loop: Header=BB364_481 Depth=1
	v_bfrev_b32_e32 v74, 1
	s_mov_b32 s14, exec_lo
	v_cmpx_ne_u16_e32 0x80, v10
	s_cbranch_execz .LBB364_718
; %bb.713:                              ;   in Loop: Header=BB364_481 Depth=1
	v_bfe_u32 v75, v19, 16, 7
	v_mov_b32_e32 v74, 0x7f800001
	s_mov_b32 s15, exec_lo
	v_cmpx_ne_u32_e32 0x7f, v75
	s_cbranch_execz .LBB364_717
; %bb.714:                              ;   in Loop: Header=BB364_481 Depth=1
	v_and_b32_sdwa v10, v19, v39 dst_sel:DWORD dst_unused:UNUSED_PAD src0_sel:WORD_1 src1_sel:DWORD
	v_lshrrev_b32_e32 v73, 3, v75
	s_mov_b32 s16, exec_lo
	v_cmpx_gt_u32_e32 8, v75
; %bb.715:                              ;   in Loop: Header=BB364_481 Depth=1
	v_ffbh_u32_e32 v73, v10
	v_min_u32_e32 v73, 32, v73
	v_subrev_nc_u32_e32 v74, 28, v73
	v_sub_nc_u32_e32 v73, 29, v73
	v_lshlrev_b64 v[74:75], v74, v[10:11]
	v_and_b32_e32 v10, 7, v74
; %bb.716:                              ;   in Loop: Header=BB364_481 Depth=1
	s_or_b32 exec_lo, exec_lo, s16
	v_lshlrev_b32_sdwa v74, v40, v19 dst_sel:DWORD dst_unused:UNUSED_PAD src0_sel:DWORD src1_sel:WORD_1
	v_lshlrev_b32_e32 v10, 20, v10
	v_lshl_add_u32 v73, v73, 23, 0x3c000000
	v_and_b32_e32 v74, 0x80000000, v74
	v_or3_b32 v74, v10, v74, v73
.LBB364_717:                            ;   in Loop: Header=BB364_481 Depth=1
	s_or_b32 exec_lo, exec_lo, s15
.LBB364_718:                            ;   in Loop: Header=BB364_481 Depth=1
	s_or_b32 exec_lo, exec_lo, s14
.LBB364_719:                            ;   in Loop: Header=BB364_481 Depth=1
	s_or_b32 exec_lo, exec_lo, s13
	s_mov_b32 s13, exec_lo
	v_cmpx_lt_u64_e64 s[4:5], v[18:19]
	s_cbranch_execz .LBB364_727
; %bb.720:                              ;   in Loop: Header=BB364_481 Depth=1
	v_cmp_ne_u32_sdwa s0, v19, v36 src0_sel:BYTE_3 src1_sel:DWORD
	v_bfrev_b32_e32 v21, 1
	s_and_saveexec_b32 s14, s0
	s_cbranch_execz .LBB364_726
; %bb.721:                              ;   in Loop: Header=BB364_481 Depth=1
	v_bfe_u32 v73, v19, 24, 7
	v_mov_b32_e32 v21, 0x7f800001
	s_mov_b32 s15, exec_lo
	v_cmpx_ne_u32_e32 0x7f, v73
	s_cbranch_execz .LBB364_725
; %bb.722:                              ;   in Loop: Header=BB364_481 Depth=1
	v_and_b32_sdwa v10, v19, v39 dst_sel:DWORD dst_unused:UNUSED_PAD src0_sel:BYTE_3 src1_sel:DWORD
	v_lshrrev_b32_e32 v18, 3, v73
	s_mov_b32 s16, exec_lo
	v_cmpx_gt_u32_e32 8, v73
; %bb.723:                              ;   in Loop: Header=BB364_481 Depth=1
	v_ffbh_u32_e32 v18, v10
	v_min_u32_e32 v18, 32, v18
	v_subrev_nc_u32_e32 v21, 28, v18
	v_sub_nc_u32_e32 v18, 29, v18
	v_lshlrev_b64 v[75:76], v21, v[10:11]
	v_and_b32_e32 v10, 7, v75
; %bb.724:                              ;   in Loop: Header=BB364_481 Depth=1
	s_or_b32 exec_lo, exec_lo, s16
	v_lshlrev_b32_sdwa v19, v40, v19 dst_sel:DWORD dst_unused:UNUSED_PAD src0_sel:DWORD src1_sel:BYTE_3
	v_lshlrev_b32_e32 v10, 20, v10
	v_lshl_add_u32 v18, v18, 23, 0x3c000000
	v_and_b32_e32 v19, 0x80000000, v19
	v_or3_b32 v21, v10, v19, v18
.LBB364_725:                            ;   in Loop: Header=BB364_481 Depth=1
	s_or_b32 exec_lo, exec_lo, s15
.LBB364_726:                            ;   in Loop: Header=BB364_481 Depth=1
	s_or_b32 exec_lo, exec_lo, s14
.LBB364_727:                            ;   in Loop: Header=BB364_481 Depth=1
	s_or_b32 exec_lo, exec_lo, s13
	v_mul_f32_e32 v10, s6, v20
	v_mul_f32_e32 v18, s6, v72
	;; [unrolled: 1-line block ×5, first 2 shown]
	v_bfe_u32 v23, v10, 16, 1
	v_or_b32_e32 v24, 0x400000, v10
	v_bfe_u32 v72, v18, 16, 1
	v_cmp_u_f32_e64 s0, v10, v10
	v_or_b32_e32 v73, 0x400000, v18
	v_add3_u32 v23, v23, v10, 0x7fff
	v_bfe_u32 v75, v19, 16, 1
	v_add3_u32 v72, v72, v18, 0x7fff
	v_or_b32_e32 v76, 0x400000, v19
	v_bfe_u32 v77, v20, 16, 1
	v_cndmask_b32_e64 v10, v23, v24, s0
	v_cmp_u_f32_e64 s0, v18, v18
	v_add3_u32 v75, v75, v19, 0x7fff
	v_or_b32_e32 v23, 0x400000, v20
	v_mul_f32_e32 v21, s6, v21
	v_cndmask_b32_e64 v18, v72, v73, s0
	v_cmp_u_f32_e64 s0, v19, v19
	v_lshrrev_b32_e32 v72, 16, v10
	v_mul_f32_e32 v10, s6, v22
	v_add3_u32 v22, v77, v20, 0x7fff
	v_lshrrev_b32_e32 v73, 16, v18
	v_cndmask_b32_e64 v19, v75, v76, s0
	v_cmp_u_f32_e64 s0, v20, v20
	v_bfe_u32 v18, v10, 16, 1
	v_mul_f32_e32 v20, s6, v74
	v_or_b32_e32 v76, 0x400000, v21
	v_lshrrev_b32_e32 v75, 16, v19
	v_cndmask_b32_e64 v19, v22, v23, s0
	v_add3_u32 v18, v18, v10, 0x7fff
	v_or_b32_e32 v22, 0x400000, v10
	v_bfe_u32 v23, v0, 16, 1
	v_cmp_u_f32_e64 s0, v10, v10
	v_bfe_u32 v24, v20, 16, 1
	v_or_b32_e32 v74, 0x400000, v20
	v_lshrrev_b32_e32 v77, 16, v19
	v_cndmask_b32_e64 v10, v18, v22, s0
	v_add3_u32 v22, v23, v0, 0x7fff
	v_or_b32_e32 v23, 0x400000, v0
	v_cmp_u_f32_e64 s0, v0, v0
	v_bfe_u32 v18, v21, 16, 1
	v_add3_u32 v24, v24, v20, 0x7fff
	v_lshrrev_b32_e32 v79, 16, v10
	v_cndmask_b32_e64 v0, v22, v23, s0
	v_cmp_u_f32_e64 s0, v20, v20
	v_add3_u32 v18, v18, v21, 0x7fff
	v_lshrrev_b32_e32 v78, 16, v0
	v_cndmask_b32_e64 v20, v24, v74, s0
	v_cmp_u_f32_e64 s0, v21, v21
	v_lshrrev_b32_e32 v74, 16, v20
	v_cndmask_b32_e64 v18, v18, v76, s0
	v_lshrrev_b32_e32 v76, 16, v18
	s_and_saveexec_b32 s13, vcc_lo
	s_cbranch_execz .LBB364_729
; %bb.728:                              ;   in Loop: Header=BB364_481 Depth=1
	v_cmp_gt_i32_e64 s0, s27, v49
	v_cndmask_b32_e64 v78, 0, v78, s0
	v_cmp_gt_i32_e64 s0, s27, v55
	v_cndmask_b32_e64 v79, 0, v79, s0
	;; [unrolled: 2-line block ×8, first 2 shown]
.LBB364_729:                            ;   in Loop: Header=BB364_481 Depth=1
	s_or_b32 exec_lo, exec_lo, s13
	global_load_dwordx2 v[18:19], v[16:17], off offset:1024
	v_mov_b32_e32 v22, 0
	v_mov_b32_e32 v0, 0
	s_waitcnt vmcnt(0)
	v_cmp_ne_u16_sdwa s0, v18, v11 src0_sel:BYTE_0 src1_sel:DWORD
	s_and_saveexec_b32 s13, s0
	s_cbranch_execz .LBB364_735
; %bb.730:                              ;   in Loop: Header=BB364_481 Depth=1
	v_cmp_ne_u16_sdwa s0, v18, v36 src0_sel:BYTE_0 src1_sel:DWORD
	v_bfrev_b32_e32 v0, 1
	s_and_saveexec_b32 s14, s0
	s_cbranch_execz .LBB364_734
; %bb.731:                              ;   in Loop: Header=BB364_481 Depth=1
	v_and_b32_e32 v10, 0x7f, v18
	v_mov_b32_e32 v0, 0x7f800001
	s_mov_b32 s15, exec_lo
	v_cmpx_ne_u32_e32 0x7f, v10
	s_cbranch_execz .LBB364_733
; %bb.732:                              ;   in Loop: Header=BB364_481 Depth=1
	v_and_b32_e32 v0, 7, v18
	v_cmp_gt_u32_e64 s0, 8, v10
	v_lshrrev_b32_e32 v20, 3, v10
	v_ffbh_u32_e32 v0, v0
	v_min_u32_e32 v0, 32, v0
	v_subrev_nc_u32_e32 v21, 28, v0
	v_sub_nc_u32_e32 v0, 29, v0
	v_cndmask_b32_e64 v10, 0, v21, s0
	v_cndmask_b32_e64 v0, v20, v0, s0
	v_lshlrev_b64 v[20:21], v10, v[18:19]
	v_lshlrev_b32_e32 v10, 24, v18
	v_lshl_add_u32 v0, v0, 23, 0x3c000000
	v_and_b32_e32 v10, 0x80000000, v10
	v_lshlrev_b32_e32 v20, 20, v20
	v_and_b32_e32 v20, 0x700000, v20
	v_or3_b32 v0, v20, v10, v0
.LBB364_733:                            ;   in Loop: Header=BB364_481 Depth=1
	s_or_b32 exec_lo, exec_lo, s15
.LBB364_734:                            ;   in Loop: Header=BB364_481 Depth=1
	s_or_b32 exec_lo, exec_lo, s14
.LBB364_735:                            ;   in Loop: Header=BB364_481 Depth=1
	s_or_b32 exec_lo, exec_lo, s13
	v_cmp_ne_u16_sdwa s0, v18, v11 src0_sel:BYTE_1 src1_sel:DWORD
	s_and_saveexec_b32 s13, s0
	s_cbranch_execz .LBB364_743
; %bb.736:                              ;   in Loop: Header=BB364_481 Depth=1
	v_cmp_ne_u16_sdwa s0, v18, v36 src0_sel:BYTE_1 src1_sel:DWORD
	v_bfrev_b32_e32 v22, 1
	s_and_saveexec_b32 s14, s0
	s_cbranch_execz .LBB364_742
; %bb.737:                              ;   in Loop: Header=BB364_481 Depth=1
	v_and_b32_sdwa v10, v37, v18 dst_sel:DWORD dst_unused:UNUSED_PAD src0_sel:DWORD src1_sel:BYTE_1
	v_mov_b32_e32 v22, 0x7f800001
	s_mov_b32 s15, exec_lo
	v_and_b32_e32 v21, 0x7f, v10
	v_cmpx_ne_u32_e32 0x7f, v21
	s_cbranch_execz .LBB364_741
; %bb.738:                              ;   in Loop: Header=BB364_481 Depth=1
	v_and_b32_e32 v10, 7, v10
	v_lshrrev_b32_e32 v20, 3, v21
	s_mov_b32 s16, exec_lo
	v_cmpx_gt_u32_e32 8, v21
; %bb.739:                              ;   in Loop: Header=BB364_481 Depth=1
	v_ffbh_u32_e32 v20, v10
	v_min_u32_e32 v20, 32, v20
	v_subrev_nc_u32_e32 v21, 28, v20
	v_sub_nc_u32_e32 v20, 29, v20
	v_lshlrev_b64 v[21:22], v21, v[10:11]
	v_and_b32_e32 v10, 7, v21
; %bb.740:                              ;   in Loop: Header=BB364_481 Depth=1
	s_or_b32 exec_lo, exec_lo, s16
	v_lshlrev_b32_e32 v21, 16, v18
	v_lshlrev_b32_e32 v10, 20, v10
	v_lshl_add_u32 v20, v20, 23, 0x3c000000
	v_and_b32_e32 v21, 0x80000000, v21
	v_or3_b32 v22, v10, v21, v20
.LBB364_741:                            ;   in Loop: Header=BB364_481 Depth=1
	s_or_b32 exec_lo, exec_lo, s15
.LBB364_742:                            ;   in Loop: Header=BB364_481 Depth=1
	s_or_b32 exec_lo, exec_lo, s14
.LBB364_743:                            ;   in Loop: Header=BB364_481 Depth=1
	s_or_b32 exec_lo, exec_lo, s13
	v_and_b32_sdwa v10, v18, v38 dst_sel:DWORD dst_unused:UNUSED_PAD src0_sel:WORD_1 src1_sel:DWORD
	v_mov_b32_e32 v24, 0
	v_mov_b32_e32 v23, 0
	s_mov_b32 s13, exec_lo
	v_cmpx_ne_u16_e32 0, v10
	s_cbranch_execz .LBB364_751
; %bb.744:                              ;   in Loop: Header=BB364_481 Depth=1
	v_bfrev_b32_e32 v23, 1
	s_mov_b32 s14, exec_lo
	v_cmpx_ne_u16_e32 0x80, v10
	s_cbranch_execz .LBB364_750
; %bb.745:                              ;   in Loop: Header=BB364_481 Depth=1
	v_bfe_u32 v21, v18, 16, 7
	v_mov_b32_e32 v23, 0x7f800001
	s_mov_b32 s15, exec_lo
	v_cmpx_ne_u32_e32 0x7f, v21
	s_cbranch_execz .LBB364_749
; %bb.746:                              ;   in Loop: Header=BB364_481 Depth=1
	v_and_b32_sdwa v10, v18, v39 dst_sel:DWORD dst_unused:UNUSED_PAD src0_sel:WORD_1 src1_sel:DWORD
	v_lshrrev_b32_e32 v20, 3, v21
	s_mov_b32 s16, exec_lo
	v_cmpx_gt_u32_e32 8, v21
; %bb.747:                              ;   in Loop: Header=BB364_481 Depth=1
	v_ffbh_u32_e32 v20, v10
	v_min_u32_e32 v20, 32, v20
	v_subrev_nc_u32_e32 v21, 28, v20
	v_sub_nc_u32_e32 v20, 29, v20
	v_lshlrev_b64 v[80:81], v21, v[10:11]
	v_and_b32_e32 v10, 7, v80
; %bb.748:                              ;   in Loop: Header=BB364_481 Depth=1
	s_or_b32 exec_lo, exec_lo, s16
	v_lshlrev_b32_sdwa v21, v40, v18 dst_sel:DWORD dst_unused:UNUSED_PAD src0_sel:DWORD src1_sel:WORD_1
	v_lshlrev_b32_e32 v10, 20, v10
	v_lshl_add_u32 v20, v20, 23, 0x3c000000
	v_and_b32_e32 v21, 0x80000000, v21
	v_or3_b32 v23, v10, v21, v20
.LBB364_749:                            ;   in Loop: Header=BB364_481 Depth=1
	s_or_b32 exec_lo, exec_lo, s15
.LBB364_750:                            ;   in Loop: Header=BB364_481 Depth=1
	s_or_b32 exec_lo, exec_lo, s14
.LBB364_751:                            ;   in Loop: Header=BB364_481 Depth=1
	s_or_b32 exec_lo, exec_lo, s13
	s_mov_b32 s13, exec_lo
	v_cmpx_lt_u32_e32 0xffffff, v18
	s_cbranch_execz .LBB364_759
; %bb.752:                              ;   in Loop: Header=BB364_481 Depth=1
	v_cmp_ne_u32_sdwa s0, v18, v36 src0_sel:BYTE_3 src1_sel:DWORD
	v_bfrev_b32_e32 v24, 1
	s_and_saveexec_b32 s14, s0
	s_cbranch_execz .LBB364_758
; %bb.753:                              ;   in Loop: Header=BB364_481 Depth=1
	v_bfe_u32 v21, v18, 24, 7
	v_mov_b32_e32 v24, 0x7f800001
	s_mov_b32 s15, exec_lo
	v_cmpx_ne_u32_e32 0x7f, v21
	s_cbranch_execz .LBB364_757
; %bb.754:                              ;   in Loop: Header=BB364_481 Depth=1
	v_and_b32_sdwa v10, v18, v39 dst_sel:DWORD dst_unused:UNUSED_PAD src0_sel:BYTE_3 src1_sel:DWORD
	v_lshrrev_b32_e32 v20, 3, v21
	s_mov_b32 s16, exec_lo
	v_cmpx_gt_u32_e32 8, v21
; %bb.755:                              ;   in Loop: Header=BB364_481 Depth=1
	v_ffbh_u32_e32 v20, v10
	v_min_u32_e32 v20, 32, v20
	v_subrev_nc_u32_e32 v21, 28, v20
	v_sub_nc_u32_e32 v20, 29, v20
	v_lshlrev_b64 v[80:81], v21, v[10:11]
	v_and_b32_e32 v10, 7, v80
; %bb.756:                              ;   in Loop: Header=BB364_481 Depth=1
	s_or_b32 exec_lo, exec_lo, s16
	v_lshlrev_b32_sdwa v21, v40, v18 dst_sel:DWORD dst_unused:UNUSED_PAD src0_sel:DWORD src1_sel:BYTE_3
	v_lshlrev_b32_e32 v10, 20, v10
	v_lshl_add_u32 v20, v20, 23, 0x3c000000
	v_and_b32_e32 v21, 0x80000000, v21
	v_or3_b32 v24, v10, v21, v20
.LBB364_757:                            ;   in Loop: Header=BB364_481 Depth=1
	s_or_b32 exec_lo, exec_lo, s15
.LBB364_758:                            ;   in Loop: Header=BB364_481 Depth=1
	s_or_b32 exec_lo, exec_lo, s14
.LBB364_759:                            ;   in Loop: Header=BB364_481 Depth=1
	s_or_b32 exec_lo, exec_lo, s13
	v_mov_b32_e32 v10, v19
	v_cmp_ne_u16_sdwa s0, v19, v11 src0_sel:BYTE_0 src1_sel:DWORD
	v_mov_b32_e32 v20, 0
	v_mov_b32_e32 v80, 0
	s_and_saveexec_b32 s13, s0
	s_cbranch_execz .LBB364_765
; %bb.760:                              ;   in Loop: Header=BB364_481 Depth=1
	v_cmp_ne_u16_sdwa s0, v19, v36 src0_sel:BYTE_0 src1_sel:DWORD
	v_bfrev_b32_e32 v80, 1
	s_and_saveexec_b32 s14, s0
	s_cbranch_execz .LBB364_764
; %bb.761:                              ;   in Loop: Header=BB364_481 Depth=1
	v_and_b32_e32 v21, 0x7f, v19
	v_mov_b32_e32 v80, 0x7f800001
	s_mov_b32 s15, exec_lo
	v_cmpx_ne_u32_e32 0x7f, v21
	s_cbranch_execz .LBB364_763
; %bb.762:                              ;   in Loop: Header=BB364_481 Depth=1
	v_and_b32_e32 v80, 7, v19
	v_lshrrev_b32_e32 v81, 3, v21
	v_cmp_gt_u32_e64 s0, 8, v21
	v_ffbh_u32_e32 v80, v80
	v_min_u32_e32 v80, 32, v80
	v_subrev_nc_u32_e32 v82, 28, v80
	v_sub_nc_u32_e32 v80, 29, v80
	v_cndmask_b32_e64 v21, v81, v80, s0
	v_cndmask_b32_e64 v80, 0, v82, s0
	v_lshl_add_u32 v21, v21, 23, 0x3c000000
	v_lshlrev_b64 v[80:81], v80, v[10:11]
	v_lshlrev_b32_e32 v81, 24, v10
	v_lshlrev_b32_e32 v80, 20, v80
	v_and_b32_e32 v81, 0x80000000, v81
	v_and_b32_e32 v80, 0x700000, v80
	v_or3_b32 v80, v80, v81, v21
.LBB364_763:                            ;   in Loop: Header=BB364_481 Depth=1
	s_or_b32 exec_lo, exec_lo, s15
.LBB364_764:                            ;   in Loop: Header=BB364_481 Depth=1
	s_or_b32 exec_lo, exec_lo, s14
.LBB364_765:                            ;   in Loop: Header=BB364_481 Depth=1
	s_or_b32 exec_lo, exec_lo, s13
	v_cmp_ne_u16_sdwa s0, v10, v11 src0_sel:BYTE_1 src1_sel:DWORD
	s_and_saveexec_b32 s13, s0
	s_cbranch_execz .LBB364_773
; %bb.766:                              ;   in Loop: Header=BB364_481 Depth=1
	v_cmp_ne_u16_sdwa s0, v10, v36 src0_sel:BYTE_1 src1_sel:DWORD
	v_bfrev_b32_e32 v20, 1
	s_and_saveexec_b32 s14, s0
	s_cbranch_execz .LBB364_772
; %bb.767:                              ;   in Loop: Header=BB364_481 Depth=1
	v_and_b32_sdwa v21, v37, v10 dst_sel:DWORD dst_unused:UNUSED_PAD src0_sel:DWORD src1_sel:BYTE_1
	v_mov_b32_e32 v20, 0x7f800001
	s_mov_b32 s15, exec_lo
	v_and_b32_e32 v82, 0x7f, v21
	v_cmpx_ne_u32_e32 0x7f, v82
	s_cbranch_execz .LBB364_771
; %bb.768:                              ;   in Loop: Header=BB364_481 Depth=1
	v_and_b32_e32 v20, 7, v21
	v_mov_b32_e32 v21, v11
	v_lshrrev_b32_e32 v81, 3, v82
	s_mov_b32 s16, exec_lo
	v_cmpx_gt_u32_e32 8, v82
; %bb.769:                              ;   in Loop: Header=BB364_481 Depth=1
	v_ffbh_u32_e32 v81, v20
	v_min_u32_e32 v81, 32, v81
	v_subrev_nc_u32_e32 v82, 28, v81
	v_sub_nc_u32_e32 v81, 29, v81
	v_lshlrev_b64 v[20:21], v82, v[20:21]
	v_and_b32_e32 v20, 7, v20
; %bb.770:                              ;   in Loop: Header=BB364_481 Depth=1
	s_or_b32 exec_lo, exec_lo, s16
	v_lshlrev_b32_e32 v10, 16, v10
	v_lshlrev_b32_e32 v20, 20, v20
	v_lshl_add_u32 v21, v81, 23, 0x3c000000
	v_and_b32_e32 v10, 0x80000000, v10
	v_or3_b32 v20, v20, v10, v21
.LBB364_771:                            ;   in Loop: Header=BB364_481 Depth=1
	s_or_b32 exec_lo, exec_lo, s15
.LBB364_772:                            ;   in Loop: Header=BB364_481 Depth=1
	s_or_b32 exec_lo, exec_lo, s14
.LBB364_773:                            ;   in Loop: Header=BB364_481 Depth=1
	s_or_b32 exec_lo, exec_lo, s13
	v_and_b32_sdwa v10, v19, v38 dst_sel:DWORD dst_unused:UNUSED_PAD src0_sel:WORD_1 src1_sel:DWORD
	v_mov_b32_e32 v21, 0
	v_mov_b32_e32 v82, 0
	s_mov_b32 s13, exec_lo
	v_cmpx_ne_u16_e32 0, v10
	s_cbranch_execz .LBB364_781
; %bb.774:                              ;   in Loop: Header=BB364_481 Depth=1
	v_bfrev_b32_e32 v82, 1
	s_mov_b32 s14, exec_lo
	v_cmpx_ne_u16_e32 0x80, v10
	s_cbranch_execz .LBB364_780
; %bb.775:                              ;   in Loop: Header=BB364_481 Depth=1
	v_bfe_u32 v83, v19, 16, 7
	v_mov_b32_e32 v82, 0x7f800001
	s_mov_b32 s15, exec_lo
	v_cmpx_ne_u32_e32 0x7f, v83
	s_cbranch_execz .LBB364_779
; %bb.776:                              ;   in Loop: Header=BB364_481 Depth=1
	v_and_b32_sdwa v10, v19, v39 dst_sel:DWORD dst_unused:UNUSED_PAD src0_sel:WORD_1 src1_sel:DWORD
	v_lshrrev_b32_e32 v81, 3, v83
	s_mov_b32 s16, exec_lo
	v_cmpx_gt_u32_e32 8, v83
; %bb.777:                              ;   in Loop: Header=BB364_481 Depth=1
	v_ffbh_u32_e32 v81, v10
	v_min_u32_e32 v81, 32, v81
	v_subrev_nc_u32_e32 v82, 28, v81
	v_sub_nc_u32_e32 v81, 29, v81
	v_lshlrev_b64 v[82:83], v82, v[10:11]
	v_and_b32_e32 v10, 7, v82
; %bb.778:                              ;   in Loop: Header=BB364_481 Depth=1
	s_or_b32 exec_lo, exec_lo, s16
	v_lshlrev_b32_sdwa v82, v40, v19 dst_sel:DWORD dst_unused:UNUSED_PAD src0_sel:DWORD src1_sel:WORD_1
	v_lshlrev_b32_e32 v10, 20, v10
	v_lshl_add_u32 v81, v81, 23, 0x3c000000
	v_and_b32_e32 v82, 0x80000000, v82
	v_or3_b32 v82, v10, v82, v81
.LBB364_779:                            ;   in Loop: Header=BB364_481 Depth=1
	s_or_b32 exec_lo, exec_lo, s15
.LBB364_780:                            ;   in Loop: Header=BB364_481 Depth=1
	s_or_b32 exec_lo, exec_lo, s14
.LBB364_781:                            ;   in Loop: Header=BB364_481 Depth=1
	s_or_b32 exec_lo, exec_lo, s13
	s_mov_b32 s13, exec_lo
	v_cmpx_lt_u64_e64 s[4:5], v[18:19]
	s_cbranch_execz .LBB364_789
; %bb.782:                              ;   in Loop: Header=BB364_481 Depth=1
	v_cmp_ne_u32_sdwa s0, v19, v36 src0_sel:BYTE_3 src1_sel:DWORD
	v_bfrev_b32_e32 v21, 1
	s_and_saveexec_b32 s14, s0
	s_cbranch_execz .LBB364_788
; %bb.783:                              ;   in Loop: Header=BB364_481 Depth=1
	v_bfe_u32 v81, v19, 24, 7
	v_mov_b32_e32 v21, 0x7f800001
	s_mov_b32 s15, exec_lo
	v_cmpx_ne_u32_e32 0x7f, v81
	s_cbranch_execz .LBB364_787
; %bb.784:                              ;   in Loop: Header=BB364_481 Depth=1
	v_and_b32_sdwa v10, v19, v39 dst_sel:DWORD dst_unused:UNUSED_PAD src0_sel:BYTE_3 src1_sel:DWORD
	v_lshrrev_b32_e32 v18, 3, v81
	s_mov_b32 s16, exec_lo
	v_cmpx_gt_u32_e32 8, v81
; %bb.785:                              ;   in Loop: Header=BB364_481 Depth=1
	v_ffbh_u32_e32 v18, v10
	v_min_u32_e32 v18, 32, v18
	v_subrev_nc_u32_e32 v21, 28, v18
	v_sub_nc_u32_e32 v18, 29, v18
	v_lshlrev_b64 v[83:84], v21, v[10:11]
	v_and_b32_e32 v10, 7, v83
; %bb.786:                              ;   in Loop: Header=BB364_481 Depth=1
	s_or_b32 exec_lo, exec_lo, s16
	v_lshlrev_b32_sdwa v19, v40, v19 dst_sel:DWORD dst_unused:UNUSED_PAD src0_sel:DWORD src1_sel:BYTE_3
	v_lshlrev_b32_e32 v10, 20, v10
	v_lshl_add_u32 v18, v18, 23, 0x3c000000
	v_and_b32_e32 v19, 0x80000000, v19
	v_or3_b32 v21, v10, v19, v18
.LBB364_787:                            ;   in Loop: Header=BB364_481 Depth=1
	s_or_b32 exec_lo, exec_lo, s15
.LBB364_788:                            ;   in Loop: Header=BB364_481 Depth=1
	s_or_b32 exec_lo, exec_lo, s14
.LBB364_789:                            ;   in Loop: Header=BB364_481 Depth=1
	s_or_b32 exec_lo, exec_lo, s13
	v_mul_f32_e32 v10, s6, v20
	v_mul_f32_e32 v18, s6, v80
	;; [unrolled: 1-line block ×5, first 2 shown]
	v_bfe_u32 v23, v10, 16, 1
	v_or_b32_e32 v24, 0x400000, v10
	v_bfe_u32 v80, v18, 16, 1
	v_cmp_u_f32_e64 s0, v10, v10
	v_or_b32_e32 v81, 0x400000, v18
	v_add3_u32 v23, v23, v10, 0x7fff
	v_bfe_u32 v83, v19, 16, 1
	v_add3_u32 v80, v80, v18, 0x7fff
	v_or_b32_e32 v84, 0x400000, v19
	v_bfe_u32 v85, v20, 16, 1
	v_cndmask_b32_e64 v10, v23, v24, s0
	v_cmp_u_f32_e64 s0, v18, v18
	v_add3_u32 v83, v83, v19, 0x7fff
	v_or_b32_e32 v23, 0x400000, v20
	v_mul_f32_e32 v21, s6, v21
	v_cndmask_b32_e64 v18, v80, v81, s0
	v_cmp_u_f32_e64 s0, v19, v19
	v_lshrrev_b32_e32 v80, 16, v10
	v_mul_f32_e32 v10, s6, v22
	v_add3_u32 v22, v85, v20, 0x7fff
	v_lshrrev_b32_e32 v81, 16, v18
	v_cndmask_b32_e64 v19, v83, v84, s0
	v_cmp_u_f32_e64 s0, v20, v20
	v_bfe_u32 v18, v10, 16, 1
	v_mul_f32_e32 v20, s6, v82
	v_or_b32_e32 v84, 0x400000, v21
	v_lshrrev_b32_e32 v83, 16, v19
	v_cndmask_b32_e64 v19, v22, v23, s0
	v_add3_u32 v18, v18, v10, 0x7fff
	v_or_b32_e32 v22, 0x400000, v10
	v_bfe_u32 v23, v0, 16, 1
	v_cmp_u_f32_e64 s0, v10, v10
	v_bfe_u32 v24, v20, 16, 1
	v_or_b32_e32 v82, 0x400000, v20
	v_lshrrev_b32_e32 v85, 16, v19
	v_cndmask_b32_e64 v10, v18, v22, s0
	v_add3_u32 v22, v23, v0, 0x7fff
	v_or_b32_e32 v23, 0x400000, v0
	v_cmp_u_f32_e64 s0, v0, v0
	v_bfe_u32 v18, v21, 16, 1
	v_add3_u32 v24, v24, v20, 0x7fff
	v_lshrrev_b32_e32 v87, 16, v10
	v_cndmask_b32_e64 v0, v22, v23, s0
	v_cmp_u_f32_e64 s0, v20, v20
	v_add3_u32 v18, v18, v21, 0x7fff
	v_lshrrev_b32_e32 v86, 16, v0
	v_cndmask_b32_e64 v20, v24, v82, s0
	v_cmp_u_f32_e64 s0, v21, v21
	v_lshrrev_b32_e32 v82, 16, v20
	v_cndmask_b32_e64 v18, v18, v84, s0
	v_lshrrev_b32_e32 v84, 16, v18
	s_and_saveexec_b32 s13, vcc_lo
	s_cbranch_execz .LBB364_791
; %bb.790:                              ;   in Loop: Header=BB364_481 Depth=1
	v_cmp_gt_i32_e64 s0, s27, v49
	v_cndmask_b32_e64 v86, 0, v86, s0
	v_cmp_gt_i32_e64 s0, s27, v55
	v_cndmask_b32_e64 v87, 0, v87, s0
	;; [unrolled: 2-line block ×8, first 2 shown]
.LBB364_791:                            ;   in Loop: Header=BB364_481 Depth=1
	s_or_b32 exec_lo, exec_lo, s13
	global_load_dwordx2 v[18:19], v[16:17], off offset:1280
	v_mov_b32_e32 v0, 0
	v_mov_b32_e32 v22, 0
	s_waitcnt vmcnt(0)
	v_cmp_ne_u16_sdwa s0, v18, v11 src0_sel:BYTE_0 src1_sel:DWORD
	s_and_saveexec_b32 s13, s0
	s_cbranch_execz .LBB364_797
; %bb.792:                              ;   in Loop: Header=BB364_481 Depth=1
	v_cmp_ne_u16_sdwa s0, v18, v36 src0_sel:BYTE_0 src1_sel:DWORD
	v_bfrev_b32_e32 v22, 1
	s_and_saveexec_b32 s14, s0
	s_cbranch_execz .LBB364_796
; %bb.793:                              ;   in Loop: Header=BB364_481 Depth=1
	v_and_b32_e32 v10, 0x7f, v18
	v_mov_b32_e32 v22, 0x7f800001
	s_mov_b32 s15, exec_lo
	v_cmpx_ne_u32_e32 0x7f, v10
	s_cbranch_execz .LBB364_795
; %bb.794:                              ;   in Loop: Header=BB364_481 Depth=1
	v_and_b32_e32 v20, 7, v18
	v_lshrrev_b32_e32 v21, 3, v10
	v_cmp_gt_u32_e64 s0, 8, v10
	v_ffbh_u32_e32 v20, v20
	v_min_u32_e32 v20, 32, v20
	v_subrev_nc_u32_e32 v22, 28, v20
	v_sub_nc_u32_e32 v20, 29, v20
	v_cndmask_b32_e64 v10, v21, v20, s0
	v_cndmask_b32_e64 v20, 0, v22, s0
	v_lshl_add_u32 v10, v10, 23, 0x3c000000
	v_lshlrev_b64 v[20:21], v20, v[18:19]
	v_lshlrev_b32_e32 v21, 24, v18
	v_lshlrev_b32_e32 v20, 20, v20
	v_and_b32_e32 v21, 0x80000000, v21
	v_and_b32_e32 v20, 0x700000, v20
	v_or3_b32 v22, v20, v21, v10
.LBB364_795:                            ;   in Loop: Header=BB364_481 Depth=1
	s_or_b32 exec_lo, exec_lo, s15
.LBB364_796:                            ;   in Loop: Header=BB364_481 Depth=1
	s_or_b32 exec_lo, exec_lo, s14
.LBB364_797:                            ;   in Loop: Header=BB364_481 Depth=1
	s_or_b32 exec_lo, exec_lo, s13
	v_cmp_ne_u16_sdwa s0, v18, v11 src0_sel:BYTE_1 src1_sel:DWORD
	s_and_saveexec_b32 s13, s0
	s_cbranch_execz .LBB364_805
; %bb.798:                              ;   in Loop: Header=BB364_481 Depth=1
	v_cmp_ne_u16_sdwa s0, v18, v36 src0_sel:BYTE_1 src1_sel:DWORD
	v_bfrev_b32_e32 v0, 1
	s_and_saveexec_b32 s14, s0
	s_cbranch_execz .LBB364_804
; %bb.799:                              ;   in Loop: Header=BB364_481 Depth=1
	v_and_b32_sdwa v10, v37, v18 dst_sel:DWORD dst_unused:UNUSED_PAD src0_sel:DWORD src1_sel:BYTE_1
	v_mov_b32_e32 v0, 0x7f800001
	s_mov_b32 s15, exec_lo
	v_and_b32_e32 v20, 0x7f, v10
	v_cmpx_ne_u32_e32 0x7f, v20
	s_cbranch_execz .LBB364_803
; %bb.800:                              ;   in Loop: Header=BB364_481 Depth=1
	v_and_b32_e32 v10, 7, v10
	v_lshrrev_b32_e32 v0, 3, v20
	s_mov_b32 s16, exec_lo
	v_cmpx_gt_u32_e32 8, v20
; %bb.801:                              ;   in Loop: Header=BB364_481 Depth=1
	v_ffbh_u32_e32 v0, v10
	v_min_u32_e32 v0, 32, v0
	v_subrev_nc_u32_e32 v20, 28, v0
	v_sub_nc_u32_e32 v0, 29, v0
	v_lshlrev_b64 v[20:21], v20, v[10:11]
	v_and_b32_e32 v10, 7, v20
; %bb.802:                              ;   in Loop: Header=BB364_481 Depth=1
	s_or_b32 exec_lo, exec_lo, s16
	v_lshlrev_b32_e32 v20, 16, v18
	v_lshlrev_b32_e32 v10, 20, v10
	v_lshl_add_u32 v0, v0, 23, 0x3c000000
	v_and_b32_e32 v20, 0x80000000, v20
	v_or3_b32 v0, v10, v20, v0
.LBB364_803:                            ;   in Loop: Header=BB364_481 Depth=1
	s_or_b32 exec_lo, exec_lo, s15
.LBB364_804:                            ;   in Loop: Header=BB364_481 Depth=1
	s_or_b32 exec_lo, exec_lo, s14
.LBB364_805:                            ;   in Loop: Header=BB364_481 Depth=1
	s_or_b32 exec_lo, exec_lo, s13
	v_and_b32_sdwa v10, v18, v38 dst_sel:DWORD dst_unused:UNUSED_PAD src0_sel:WORD_1 src1_sel:DWORD
	v_mov_b32_e32 v24, 0
	v_mov_b32_e32 v23, 0
	s_mov_b32 s13, exec_lo
	v_cmpx_ne_u16_e32 0, v10
	s_cbranch_execz .LBB364_813
; %bb.806:                              ;   in Loop: Header=BB364_481 Depth=1
	v_bfrev_b32_e32 v23, 1
	s_mov_b32 s14, exec_lo
	v_cmpx_ne_u16_e32 0x80, v10
	s_cbranch_execz .LBB364_812
; %bb.807:                              ;   in Loop: Header=BB364_481 Depth=1
	v_bfe_u32 v21, v18, 16, 7
	v_mov_b32_e32 v23, 0x7f800001
	s_mov_b32 s15, exec_lo
	v_cmpx_ne_u32_e32 0x7f, v21
	s_cbranch_execz .LBB364_811
; %bb.808:                              ;   in Loop: Header=BB364_481 Depth=1
	v_and_b32_sdwa v10, v18, v39 dst_sel:DWORD dst_unused:UNUSED_PAD src0_sel:WORD_1 src1_sel:DWORD
	v_lshrrev_b32_e32 v20, 3, v21
	s_mov_b32 s16, exec_lo
	v_cmpx_gt_u32_e32 8, v21
; %bb.809:                              ;   in Loop: Header=BB364_481 Depth=1
	v_ffbh_u32_e32 v20, v10
	v_min_u32_e32 v20, 32, v20
	v_subrev_nc_u32_e32 v21, 28, v20
	v_sub_nc_u32_e32 v20, 29, v20
	v_lshlrev_b64 v[88:89], v21, v[10:11]
	v_and_b32_e32 v10, 7, v88
; %bb.810:                              ;   in Loop: Header=BB364_481 Depth=1
	s_or_b32 exec_lo, exec_lo, s16
	v_lshlrev_b32_sdwa v21, v40, v18 dst_sel:DWORD dst_unused:UNUSED_PAD src0_sel:DWORD src1_sel:WORD_1
	v_lshlrev_b32_e32 v10, 20, v10
	v_lshl_add_u32 v20, v20, 23, 0x3c000000
	v_and_b32_e32 v21, 0x80000000, v21
	v_or3_b32 v23, v10, v21, v20
.LBB364_811:                            ;   in Loop: Header=BB364_481 Depth=1
	s_or_b32 exec_lo, exec_lo, s15
.LBB364_812:                            ;   in Loop: Header=BB364_481 Depth=1
	s_or_b32 exec_lo, exec_lo, s14
.LBB364_813:                            ;   in Loop: Header=BB364_481 Depth=1
	s_or_b32 exec_lo, exec_lo, s13
	s_mov_b32 s13, exec_lo
	v_cmpx_lt_u32_e32 0xffffff, v18
	s_cbranch_execz .LBB364_821
; %bb.814:                              ;   in Loop: Header=BB364_481 Depth=1
	v_cmp_ne_u32_sdwa s0, v18, v36 src0_sel:BYTE_3 src1_sel:DWORD
	v_bfrev_b32_e32 v24, 1
	s_and_saveexec_b32 s14, s0
	s_cbranch_execz .LBB364_820
; %bb.815:                              ;   in Loop: Header=BB364_481 Depth=1
	v_bfe_u32 v21, v18, 24, 7
	v_mov_b32_e32 v24, 0x7f800001
	s_mov_b32 s15, exec_lo
	v_cmpx_ne_u32_e32 0x7f, v21
	s_cbranch_execz .LBB364_819
; %bb.816:                              ;   in Loop: Header=BB364_481 Depth=1
	v_and_b32_sdwa v10, v18, v39 dst_sel:DWORD dst_unused:UNUSED_PAD src0_sel:BYTE_3 src1_sel:DWORD
	v_lshrrev_b32_e32 v20, 3, v21
	s_mov_b32 s16, exec_lo
	v_cmpx_gt_u32_e32 8, v21
; %bb.817:                              ;   in Loop: Header=BB364_481 Depth=1
	v_ffbh_u32_e32 v20, v10
	v_min_u32_e32 v20, 32, v20
	v_subrev_nc_u32_e32 v21, 28, v20
	v_sub_nc_u32_e32 v20, 29, v20
	v_lshlrev_b64 v[88:89], v21, v[10:11]
	v_and_b32_e32 v10, 7, v88
; %bb.818:                              ;   in Loop: Header=BB364_481 Depth=1
	s_or_b32 exec_lo, exec_lo, s16
	v_lshlrev_b32_sdwa v21, v40, v18 dst_sel:DWORD dst_unused:UNUSED_PAD src0_sel:DWORD src1_sel:BYTE_3
	v_lshlrev_b32_e32 v10, 20, v10
	v_lshl_add_u32 v20, v20, 23, 0x3c000000
	v_and_b32_e32 v21, 0x80000000, v21
	v_or3_b32 v24, v10, v21, v20
.LBB364_819:                            ;   in Loop: Header=BB364_481 Depth=1
	s_or_b32 exec_lo, exec_lo, s15
.LBB364_820:                            ;   in Loop: Header=BB364_481 Depth=1
	s_or_b32 exec_lo, exec_lo, s14
.LBB364_821:                            ;   in Loop: Header=BB364_481 Depth=1
	s_or_b32 exec_lo, exec_lo, s13
	v_mov_b32_e32 v10, v19
	v_cmp_ne_u16_sdwa s0, v19, v11 src0_sel:BYTE_0 src1_sel:DWORD
	v_mov_b32_e32 v20, 0
	v_mov_b32_e32 v88, 0
	s_and_saveexec_b32 s13, s0
	s_cbranch_execz .LBB364_827
; %bb.822:                              ;   in Loop: Header=BB364_481 Depth=1
	v_cmp_ne_u16_sdwa s0, v19, v36 src0_sel:BYTE_0 src1_sel:DWORD
	v_bfrev_b32_e32 v88, 1
	s_and_saveexec_b32 s14, s0
	s_cbranch_execz .LBB364_826
; %bb.823:                              ;   in Loop: Header=BB364_481 Depth=1
	v_and_b32_e32 v21, 0x7f, v19
	v_mov_b32_e32 v88, 0x7f800001
	s_mov_b32 s15, exec_lo
	v_cmpx_ne_u32_e32 0x7f, v21
	s_cbranch_execz .LBB364_825
; %bb.824:                              ;   in Loop: Header=BB364_481 Depth=1
	v_and_b32_e32 v88, 7, v19
	v_lshrrev_b32_e32 v89, 3, v21
	v_cmp_gt_u32_e64 s0, 8, v21
	v_ffbh_u32_e32 v88, v88
	v_min_u32_e32 v88, 32, v88
	v_subrev_nc_u32_e32 v90, 28, v88
	v_sub_nc_u32_e32 v88, 29, v88
	v_cndmask_b32_e64 v21, v89, v88, s0
	v_cndmask_b32_e64 v88, 0, v90, s0
	v_lshl_add_u32 v21, v21, 23, 0x3c000000
	v_lshlrev_b64 v[88:89], v88, v[10:11]
	v_lshlrev_b32_e32 v89, 24, v10
	v_lshlrev_b32_e32 v88, 20, v88
	v_and_b32_e32 v89, 0x80000000, v89
	v_and_b32_e32 v88, 0x700000, v88
	v_or3_b32 v88, v88, v89, v21
.LBB364_825:                            ;   in Loop: Header=BB364_481 Depth=1
	s_or_b32 exec_lo, exec_lo, s15
.LBB364_826:                            ;   in Loop: Header=BB364_481 Depth=1
	s_or_b32 exec_lo, exec_lo, s14
.LBB364_827:                            ;   in Loop: Header=BB364_481 Depth=1
	s_or_b32 exec_lo, exec_lo, s13
	v_cmp_ne_u16_sdwa s0, v10, v11 src0_sel:BYTE_1 src1_sel:DWORD
	s_and_saveexec_b32 s13, s0
	s_cbranch_execz .LBB364_835
; %bb.828:                              ;   in Loop: Header=BB364_481 Depth=1
	v_cmp_ne_u16_sdwa s0, v10, v36 src0_sel:BYTE_1 src1_sel:DWORD
	v_bfrev_b32_e32 v20, 1
	s_and_saveexec_b32 s14, s0
	s_cbranch_execz .LBB364_834
; %bb.829:                              ;   in Loop: Header=BB364_481 Depth=1
	v_and_b32_sdwa v21, v37, v10 dst_sel:DWORD dst_unused:UNUSED_PAD src0_sel:DWORD src1_sel:BYTE_1
	v_mov_b32_e32 v20, 0x7f800001
	s_mov_b32 s15, exec_lo
	v_and_b32_e32 v90, 0x7f, v21
	v_cmpx_ne_u32_e32 0x7f, v90
	s_cbranch_execz .LBB364_833
; %bb.830:                              ;   in Loop: Header=BB364_481 Depth=1
	v_and_b32_e32 v20, 7, v21
	v_mov_b32_e32 v21, v11
	v_lshrrev_b32_e32 v89, 3, v90
	s_mov_b32 s16, exec_lo
	v_cmpx_gt_u32_e32 8, v90
; %bb.831:                              ;   in Loop: Header=BB364_481 Depth=1
	v_ffbh_u32_e32 v89, v20
	v_min_u32_e32 v89, 32, v89
	v_subrev_nc_u32_e32 v90, 28, v89
	v_sub_nc_u32_e32 v89, 29, v89
	v_lshlrev_b64 v[20:21], v90, v[20:21]
	v_and_b32_e32 v20, 7, v20
; %bb.832:                              ;   in Loop: Header=BB364_481 Depth=1
	s_or_b32 exec_lo, exec_lo, s16
	v_lshlrev_b32_e32 v10, 16, v10
	v_lshlrev_b32_e32 v20, 20, v20
	v_lshl_add_u32 v21, v89, 23, 0x3c000000
	v_and_b32_e32 v10, 0x80000000, v10
	v_or3_b32 v20, v20, v10, v21
.LBB364_833:                            ;   in Loop: Header=BB364_481 Depth=1
	s_or_b32 exec_lo, exec_lo, s15
.LBB364_834:                            ;   in Loop: Header=BB364_481 Depth=1
	s_or_b32 exec_lo, exec_lo, s14
.LBB364_835:                            ;   in Loop: Header=BB364_481 Depth=1
	s_or_b32 exec_lo, exec_lo, s13
	v_and_b32_sdwa v10, v19, v38 dst_sel:DWORD dst_unused:UNUSED_PAD src0_sel:WORD_1 src1_sel:DWORD
	v_mov_b32_e32 v21, 0
	v_mov_b32_e32 v89, 0
	s_mov_b32 s13, exec_lo
	v_cmpx_ne_u16_e32 0, v10
	s_cbranch_execz .LBB364_843
; %bb.836:                              ;   in Loop: Header=BB364_481 Depth=1
	v_bfrev_b32_e32 v89, 1
	s_mov_b32 s14, exec_lo
	v_cmpx_ne_u16_e32 0x80, v10
	s_cbranch_execz .LBB364_842
; %bb.837:                              ;   in Loop: Header=BB364_481 Depth=1
	v_bfe_u32 v90, v19, 16, 7
	v_mov_b32_e32 v89, 0x7f800001
	s_mov_b32 s15, exec_lo
	v_cmpx_ne_u32_e32 0x7f, v90
	s_cbranch_execz .LBB364_841
; %bb.838:                              ;   in Loop: Header=BB364_481 Depth=1
	v_and_b32_sdwa v10, v19, v39 dst_sel:DWORD dst_unused:UNUSED_PAD src0_sel:WORD_1 src1_sel:DWORD
	v_lshrrev_b32_e32 v89, 3, v90
	s_mov_b32 s16, exec_lo
	v_cmpx_gt_u32_e32 8, v90
; %bb.839:                              ;   in Loop: Header=BB364_481 Depth=1
	v_ffbh_u32_e32 v89, v10
	v_min_u32_e32 v89, 32, v89
	v_subrev_nc_u32_e32 v90, 28, v89
	v_sub_nc_u32_e32 v89, 29, v89
	v_lshlrev_b64 v[90:91], v90, v[10:11]
	v_and_b32_e32 v10, 7, v90
; %bb.840:                              ;   in Loop: Header=BB364_481 Depth=1
	s_or_b32 exec_lo, exec_lo, s16
	v_lshlrev_b32_sdwa v90, v40, v19 dst_sel:DWORD dst_unused:UNUSED_PAD src0_sel:DWORD src1_sel:WORD_1
	v_lshlrev_b32_e32 v10, 20, v10
	v_lshl_add_u32 v89, v89, 23, 0x3c000000
	v_and_b32_e32 v90, 0x80000000, v90
	v_or3_b32 v89, v10, v90, v89
.LBB364_841:                            ;   in Loop: Header=BB364_481 Depth=1
	s_or_b32 exec_lo, exec_lo, s15
.LBB364_842:                            ;   in Loop: Header=BB364_481 Depth=1
	s_or_b32 exec_lo, exec_lo, s14
.LBB364_843:                            ;   in Loop: Header=BB364_481 Depth=1
	s_or_b32 exec_lo, exec_lo, s13
	s_mov_b32 s13, exec_lo
	v_cmpx_lt_u64_e64 s[4:5], v[18:19]
	s_cbranch_execz .LBB364_851
; %bb.844:                              ;   in Loop: Header=BB364_481 Depth=1
	v_cmp_ne_u32_sdwa s0, v19, v36 src0_sel:BYTE_3 src1_sel:DWORD
	v_bfrev_b32_e32 v21, 1
	s_and_saveexec_b32 s14, s0
	s_cbranch_execz .LBB364_850
; %bb.845:                              ;   in Loop: Header=BB364_481 Depth=1
	v_bfe_u32 v90, v19, 24, 7
	v_mov_b32_e32 v21, 0x7f800001
	s_mov_b32 s15, exec_lo
	v_cmpx_ne_u32_e32 0x7f, v90
	s_cbranch_execz .LBB364_849
; %bb.846:                              ;   in Loop: Header=BB364_481 Depth=1
	v_and_b32_sdwa v10, v19, v39 dst_sel:DWORD dst_unused:UNUSED_PAD src0_sel:BYTE_3 src1_sel:DWORD
	v_lshrrev_b32_e32 v18, 3, v90
	s_mov_b32 s16, exec_lo
	v_cmpx_gt_u32_e32 8, v90
; %bb.847:                              ;   in Loop: Header=BB364_481 Depth=1
	v_ffbh_u32_e32 v18, v10
	v_min_u32_e32 v18, 32, v18
	v_subrev_nc_u32_e32 v21, 28, v18
	v_sub_nc_u32_e32 v18, 29, v18
	v_lshlrev_b64 v[90:91], v21, v[10:11]
	v_and_b32_e32 v10, 7, v90
; %bb.848:                              ;   in Loop: Header=BB364_481 Depth=1
	s_or_b32 exec_lo, exec_lo, s16
	v_lshlrev_b32_sdwa v19, v40, v19 dst_sel:DWORD dst_unused:UNUSED_PAD src0_sel:DWORD src1_sel:BYTE_3
	v_lshlrev_b32_e32 v10, 20, v10
	v_lshl_add_u32 v18, v18, 23, 0x3c000000
	v_and_b32_e32 v19, 0x80000000, v19
	v_or3_b32 v21, v10, v19, v18
.LBB364_849:                            ;   in Loop: Header=BB364_481 Depth=1
	s_or_b32 exec_lo, exec_lo, s15
.LBB364_850:                            ;   in Loop: Header=BB364_481 Depth=1
	s_or_b32 exec_lo, exec_lo, s14
.LBB364_851:                            ;   in Loop: Header=BB364_481 Depth=1
	s_or_b32 exec_lo, exec_lo, s13
	v_mul_f32_e32 v10, s6, v20
	v_mul_f32_e32 v18, s6, v88
	;; [unrolled: 1-line block ×5, first 2 shown]
	v_bfe_u32 v20, v10, 16, 1
	v_or_b32_e32 v23, 0x400000, v10
	v_bfe_u32 v88, v18, 16, 1
	v_cmp_u_f32_e64 s0, v10, v10
	v_or_b32_e32 v90, 0x400000, v18
	v_add3_u32 v20, v20, v10, 0x7fff
	v_bfe_u32 v91, v19, 16, 1
	v_add3_u32 v88, v88, v18, 0x7fff
	v_or_b32_e32 v92, 0x400000, v19
	v_bfe_u32 v93, v24, 16, 1
	v_cndmask_b32_e64 v10, v20, v23, s0
	v_cmp_u_f32_e64 s0, v18, v18
	v_add3_u32 v91, v91, v19, 0x7fff
	v_mul_f32_e32 v21, s6, v21
	v_lshrrev_b32_e32 v20, 16, v10
	v_cndmask_b32_e64 v18, v88, v90, s0
	v_cmp_u_f32_e64 s0, v19, v19
	v_mul_f32_e32 v10, s6, v0
	v_add3_u32 v88, v93, v24, 0x7fff
	v_or_b32_e32 v90, 0x400000, v24
	v_lshrrev_b32_e32 v0, 16, v18
	v_cndmask_b32_e64 v19, v91, v92, s0
	v_bfe_u32 v18, v10, 16, 1
	v_cmp_u_f32_e64 s0, v24, v24
	v_mul_f32_e32 v24, s6, v89
	v_bfe_u32 v89, v22, 16, 1
	v_lshrrev_b32_e32 v23, 16, v19
	v_add3_u32 v18, v18, v10, 0x7fff
	v_cndmask_b32_e64 v19, v88, v90, s0
	v_or_b32_e32 v88, 0x400000, v10
	v_cmp_u_f32_e64 s0, v10, v10
	v_bfe_u32 v90, v24, 16, 1
	v_or_b32_e32 v91, 0x400000, v24
	v_or_b32_e32 v92, 0x400000, v21
	v_cndmask_b32_e64 v10, v18, v88, s0
	v_add3_u32 v88, v89, v22, 0x7fff
	v_or_b32_e32 v89, 0x400000, v22
	v_cmp_u_f32_e64 s0, v22, v22
	v_bfe_u32 v18, v21, 16, 1
	v_add3_u32 v90, v90, v24, 0x7fff
	v_cndmask_b32_e64 v22, v88, v89, s0
	v_cmp_u_f32_e64 s0, v24, v24
	v_add3_u32 v18, v18, v21, 0x7fff
	v_lshrrev_b32_e32 v24, 16, v19
	v_lshrrev_b32_e32 v88, 16, v22
	v_cndmask_b32_e64 v89, v90, v91, s0
	v_cmp_u_f32_e64 s0, v21, v21
	v_lshrrev_b32_e32 v90, 16, v10
	v_lshrrev_b32_e32 v21, 16, v89
	v_cndmask_b32_e64 v18, v18, v92, s0
	v_lshrrev_b32_e32 v22, 16, v18
	s_and_saveexec_b32 s13, vcc_lo
	s_cbranch_execz .LBB364_853
; %bb.852:                              ;   in Loop: Header=BB364_481 Depth=1
	v_cmp_gt_i32_e64 s0, s27, v49
	v_cndmask_b32_e64 v88, 0, v88, s0
	v_cmp_gt_i32_e64 s0, s27, v55
	v_cndmask_b32_e64 v90, 0, v90, s0
	;; [unrolled: 2-line block ×8, first 2 shown]
.LBB364_853:                            ;   in Loop: Header=BB364_481 Depth=1
	s_or_b32 exec_lo, exec_lo, s13
	global_load_dwordx2 v[16:17], v[16:17], off offset:1536
	v_mov_b32_e32 v91, 0
	v_mov_b32_e32 v89, 0
	s_waitcnt vmcnt(0)
	v_cmp_ne_u16_sdwa s0, v16, v11 src0_sel:BYTE_0 src1_sel:DWORD
	s_and_saveexec_b32 s13, s0
	s_cbranch_execz .LBB364_859
; %bb.854:                              ;   in Loop: Header=BB364_481 Depth=1
	v_cmp_ne_u16_sdwa s0, v16, v36 src0_sel:BYTE_0 src1_sel:DWORD
	v_bfrev_b32_e32 v89, 1
	s_and_saveexec_b32 s14, s0
	s_cbranch_execz .LBB364_858
; %bb.855:                              ;   in Loop: Header=BB364_481 Depth=1
	v_and_b32_e32 v10, 0x7f, v16
	v_mov_b32_e32 v89, 0x7f800001
	s_mov_b32 s15, exec_lo
	v_cmpx_ne_u32_e32 0x7f, v10
	s_cbranch_execz .LBB364_857
; %bb.856:                              ;   in Loop: Header=BB364_481 Depth=1
	v_and_b32_e32 v18, 7, v16
	v_lshrrev_b32_e32 v19, 3, v10
	v_cmp_gt_u32_e64 s0, 8, v10
	v_ffbh_u32_e32 v18, v18
	v_min_u32_e32 v18, 32, v18
	v_subrev_nc_u32_e32 v89, 28, v18
	v_sub_nc_u32_e32 v18, 29, v18
	v_cndmask_b32_e64 v10, v19, v18, s0
	v_cndmask_b32_e64 v18, 0, v89, s0
	v_lshl_add_u32 v10, v10, 23, 0x3c000000
	v_lshlrev_b64 v[18:19], v18, v[16:17]
	v_lshlrev_b32_e32 v19, 24, v16
	v_lshlrev_b32_e32 v18, 20, v18
	v_and_b32_e32 v19, 0x80000000, v19
	v_and_b32_e32 v18, 0x700000, v18
	v_or3_b32 v89, v18, v19, v10
.LBB364_857:                            ;   in Loop: Header=BB364_481 Depth=1
	s_or_b32 exec_lo, exec_lo, s15
.LBB364_858:                            ;   in Loop: Header=BB364_481 Depth=1
	s_or_b32 exec_lo, exec_lo, s14
.LBB364_859:                            ;   in Loop: Header=BB364_481 Depth=1
	s_or_b32 exec_lo, exec_lo, s13
	v_cmp_ne_u16_sdwa s0, v16, v11 src0_sel:BYTE_1 src1_sel:DWORD
	s_and_saveexec_b32 s13, s0
	s_cbranch_execz .LBB364_867
; %bb.860:                              ;   in Loop: Header=BB364_481 Depth=1
	v_cmp_ne_u16_sdwa s0, v16, v36 src0_sel:BYTE_1 src1_sel:DWORD
	v_bfrev_b32_e32 v91, 1
	s_and_saveexec_b32 s14, s0
	s_cbranch_execz .LBB364_866
; %bb.861:                              ;   in Loop: Header=BB364_481 Depth=1
	v_and_b32_sdwa v10, v37, v16 dst_sel:DWORD dst_unused:UNUSED_PAD src0_sel:DWORD src1_sel:BYTE_1
	v_mov_b32_e32 v91, 0x7f800001
	s_mov_b32 s15, exec_lo
	v_and_b32_e32 v19, 0x7f, v10
	v_cmpx_ne_u32_e32 0x7f, v19
	s_cbranch_execz .LBB364_865
; %bb.862:                              ;   in Loop: Header=BB364_481 Depth=1
	v_and_b32_e32 v10, 7, v10
	v_lshrrev_b32_e32 v18, 3, v19
	s_mov_b32 s16, exec_lo
	v_cmpx_gt_u32_e32 8, v19
; %bb.863:                              ;   in Loop: Header=BB364_481 Depth=1
	v_ffbh_u32_e32 v18, v10
	v_min_u32_e32 v18, 32, v18
	v_subrev_nc_u32_e32 v19, 28, v18
	v_sub_nc_u32_e32 v18, 29, v18
	v_lshlrev_b64 v[91:92], v19, v[10:11]
	v_and_b32_e32 v10, 7, v91
; %bb.864:                              ;   in Loop: Header=BB364_481 Depth=1
	s_or_b32 exec_lo, exec_lo, s16
	v_lshlrev_b32_e32 v19, 16, v16
	v_lshlrev_b32_e32 v10, 20, v10
	v_lshl_add_u32 v18, v18, 23, 0x3c000000
	v_and_b32_e32 v19, 0x80000000, v19
	v_or3_b32 v91, v10, v19, v18
.LBB364_865:                            ;   in Loop: Header=BB364_481 Depth=1
	s_or_b32 exec_lo, exec_lo, s15
.LBB364_866:                            ;   in Loop: Header=BB364_481 Depth=1
	s_or_b32 exec_lo, exec_lo, s14
.LBB364_867:                            ;   in Loop: Header=BB364_481 Depth=1
	s_or_b32 exec_lo, exec_lo, s13
	v_and_b32_sdwa v10, v16, v38 dst_sel:DWORD dst_unused:UNUSED_PAD src0_sel:WORD_1 src1_sel:DWORD
	v_mov_b32_e32 v93, 0
	v_mov_b32_e32 v92, 0
	s_mov_b32 s13, exec_lo
	v_cmpx_ne_u16_e32 0, v10
	s_cbranch_execz .LBB364_875
; %bb.868:                              ;   in Loop: Header=BB364_481 Depth=1
	v_bfrev_b32_e32 v92, 1
	s_mov_b32 s14, exec_lo
	v_cmpx_ne_u16_e32 0x80, v10
	s_cbranch_execz .LBB364_874
; %bb.869:                              ;   in Loop: Header=BB364_481 Depth=1
	v_bfe_u32 v19, v16, 16, 7
	v_mov_b32_e32 v92, 0x7f800001
	s_mov_b32 s15, exec_lo
	v_cmpx_ne_u32_e32 0x7f, v19
	s_cbranch_execz .LBB364_873
; %bb.870:                              ;   in Loop: Header=BB364_481 Depth=1
	v_and_b32_sdwa v10, v16, v39 dst_sel:DWORD dst_unused:UNUSED_PAD src0_sel:WORD_1 src1_sel:DWORD
	v_lshrrev_b32_e32 v18, 3, v19
	s_mov_b32 s16, exec_lo
	v_cmpx_gt_u32_e32 8, v19
; %bb.871:                              ;   in Loop: Header=BB364_481 Depth=1
	v_ffbh_u32_e32 v18, v10
	v_min_u32_e32 v18, 32, v18
	v_subrev_nc_u32_e32 v19, 28, v18
	v_sub_nc_u32_e32 v18, 29, v18
	v_lshlrev_b64 v[94:95], v19, v[10:11]
	v_and_b32_e32 v10, 7, v94
; %bb.872:                              ;   in Loop: Header=BB364_481 Depth=1
	s_or_b32 exec_lo, exec_lo, s16
	v_lshlrev_b32_sdwa v19, v40, v16 dst_sel:DWORD dst_unused:UNUSED_PAD src0_sel:DWORD src1_sel:WORD_1
	v_lshlrev_b32_e32 v10, 20, v10
	v_lshl_add_u32 v18, v18, 23, 0x3c000000
	v_and_b32_e32 v19, 0x80000000, v19
	v_or3_b32 v92, v10, v19, v18
.LBB364_873:                            ;   in Loop: Header=BB364_481 Depth=1
	s_or_b32 exec_lo, exec_lo, s15
.LBB364_874:                            ;   in Loop: Header=BB364_481 Depth=1
	s_or_b32 exec_lo, exec_lo, s14
.LBB364_875:                            ;   in Loop: Header=BB364_481 Depth=1
	s_or_b32 exec_lo, exec_lo, s13
	s_mov_b32 s13, exec_lo
	v_cmpx_lt_u32_e32 0xffffff, v16
	s_cbranch_execz .LBB364_883
; %bb.876:                              ;   in Loop: Header=BB364_481 Depth=1
	v_cmp_ne_u32_sdwa s0, v16, v36 src0_sel:BYTE_3 src1_sel:DWORD
	v_bfrev_b32_e32 v93, 1
	s_and_saveexec_b32 s14, s0
	s_cbranch_execz .LBB364_882
; %bb.877:                              ;   in Loop: Header=BB364_481 Depth=1
	v_bfe_u32 v19, v16, 24, 7
	v_mov_b32_e32 v93, 0x7f800001
	s_mov_b32 s15, exec_lo
	v_cmpx_ne_u32_e32 0x7f, v19
	s_cbranch_execz .LBB364_881
; %bb.878:                              ;   in Loop: Header=BB364_481 Depth=1
	v_and_b32_sdwa v10, v16, v39 dst_sel:DWORD dst_unused:UNUSED_PAD src0_sel:BYTE_3 src1_sel:DWORD
	v_lshrrev_b32_e32 v18, 3, v19
	s_mov_b32 s16, exec_lo
	v_cmpx_gt_u32_e32 8, v19
; %bb.879:                              ;   in Loop: Header=BB364_481 Depth=1
	v_ffbh_u32_e32 v18, v10
	v_min_u32_e32 v18, 32, v18
	v_subrev_nc_u32_e32 v19, 28, v18
	v_sub_nc_u32_e32 v18, 29, v18
	v_lshlrev_b64 v[93:94], v19, v[10:11]
	v_and_b32_e32 v10, 7, v93
; %bb.880:                              ;   in Loop: Header=BB364_481 Depth=1
	s_or_b32 exec_lo, exec_lo, s16
	v_lshlrev_b32_sdwa v19, v40, v16 dst_sel:DWORD dst_unused:UNUSED_PAD src0_sel:DWORD src1_sel:BYTE_3
	v_lshlrev_b32_e32 v10, 20, v10
	v_lshl_add_u32 v18, v18, 23, 0x3c000000
	v_and_b32_e32 v19, 0x80000000, v19
	v_or3_b32 v93, v10, v19, v18
.LBB364_881:                            ;   in Loop: Header=BB364_481 Depth=1
	s_or_b32 exec_lo, exec_lo, s15
.LBB364_882:                            ;   in Loop: Header=BB364_481 Depth=1
	s_or_b32 exec_lo, exec_lo, s14
.LBB364_883:                            ;   in Loop: Header=BB364_481 Depth=1
	s_or_b32 exec_lo, exec_lo, s13
	v_mov_b32_e32 v10, v17
	v_cmp_ne_u16_sdwa s0, v17, v11 src0_sel:BYTE_0 src1_sel:DWORD
	v_mov_b32_e32 v18, 0
	v_mov_b32_e32 v94, 0
	s_and_saveexec_b32 s13, s0
	s_cbranch_execz .LBB364_889
; %bb.884:                              ;   in Loop: Header=BB364_481 Depth=1
	v_cmp_ne_u16_sdwa s0, v17, v36 src0_sel:BYTE_0 src1_sel:DWORD
	v_bfrev_b32_e32 v94, 1
	s_and_saveexec_b32 s14, s0
	s_cbranch_execz .LBB364_888
; %bb.885:                              ;   in Loop: Header=BB364_481 Depth=1
	v_and_b32_e32 v19, 0x7f, v17
	v_mov_b32_e32 v94, 0x7f800001
	s_mov_b32 s15, exec_lo
	v_cmpx_ne_u32_e32 0x7f, v19
	s_cbranch_execz .LBB364_887
; %bb.886:                              ;   in Loop: Header=BB364_481 Depth=1
	v_and_b32_e32 v94, 7, v17
	v_lshrrev_b32_e32 v95, 3, v19
	v_cmp_gt_u32_e64 s0, 8, v19
	v_ffbh_u32_e32 v94, v94
	v_min_u32_e32 v94, 32, v94
	v_subrev_nc_u32_e32 v96, 28, v94
	v_sub_nc_u32_e32 v94, 29, v94
	v_cndmask_b32_e64 v19, v95, v94, s0
	v_cndmask_b32_e64 v94, 0, v96, s0
	v_lshl_add_u32 v19, v19, 23, 0x3c000000
	v_lshlrev_b64 v[94:95], v94, v[10:11]
	v_lshlrev_b32_e32 v95, 24, v10
	v_lshlrev_b32_e32 v94, 20, v94
	v_and_b32_e32 v95, 0x80000000, v95
	v_and_b32_e32 v94, 0x700000, v94
	v_or3_b32 v94, v94, v95, v19
.LBB364_887:                            ;   in Loop: Header=BB364_481 Depth=1
	s_or_b32 exec_lo, exec_lo, s15
.LBB364_888:                            ;   in Loop: Header=BB364_481 Depth=1
	s_or_b32 exec_lo, exec_lo, s14
.LBB364_889:                            ;   in Loop: Header=BB364_481 Depth=1
	s_or_b32 exec_lo, exec_lo, s13
	v_cmp_ne_u16_sdwa s0, v10, v11 src0_sel:BYTE_1 src1_sel:DWORD
	s_and_saveexec_b32 s13, s0
	s_cbranch_execz .LBB364_897
; %bb.890:                              ;   in Loop: Header=BB364_481 Depth=1
	v_cmp_ne_u16_sdwa s0, v10, v36 src0_sel:BYTE_1 src1_sel:DWORD
	v_bfrev_b32_e32 v18, 1
	s_and_saveexec_b32 s14, s0
	s_cbranch_execz .LBB364_896
; %bb.891:                              ;   in Loop: Header=BB364_481 Depth=1
	v_and_b32_sdwa v19, v37, v10 dst_sel:DWORD dst_unused:UNUSED_PAD src0_sel:DWORD src1_sel:BYTE_1
	v_mov_b32_e32 v18, 0x7f800001
	s_mov_b32 s15, exec_lo
	v_and_b32_e32 v96, 0x7f, v19
	v_cmpx_ne_u32_e32 0x7f, v96
	s_cbranch_execz .LBB364_895
; %bb.892:                              ;   in Loop: Header=BB364_481 Depth=1
	v_and_b32_e32 v18, 7, v19
	v_mov_b32_e32 v19, v11
	v_lshrrev_b32_e32 v95, 3, v96
	s_mov_b32 s16, exec_lo
	v_cmpx_gt_u32_e32 8, v96
; %bb.893:                              ;   in Loop: Header=BB364_481 Depth=1
	v_ffbh_u32_e32 v95, v18
	v_min_u32_e32 v95, 32, v95
	v_subrev_nc_u32_e32 v96, 28, v95
	v_sub_nc_u32_e32 v95, 29, v95
	v_lshlrev_b64 v[18:19], v96, v[18:19]
	v_and_b32_e32 v18, 7, v18
; %bb.894:                              ;   in Loop: Header=BB364_481 Depth=1
	s_or_b32 exec_lo, exec_lo, s16
	v_lshlrev_b32_e32 v10, 16, v10
	v_lshlrev_b32_e32 v18, 20, v18
	v_lshl_add_u32 v19, v95, 23, 0x3c000000
	v_and_b32_e32 v10, 0x80000000, v10
	v_or3_b32 v18, v18, v10, v19
.LBB364_895:                            ;   in Loop: Header=BB364_481 Depth=1
	s_or_b32 exec_lo, exec_lo, s15
.LBB364_896:                            ;   in Loop: Header=BB364_481 Depth=1
	s_or_b32 exec_lo, exec_lo, s14
.LBB364_897:                            ;   in Loop: Header=BB364_481 Depth=1
	s_or_b32 exec_lo, exec_lo, s13
	v_and_b32_sdwa v10, v17, v38 dst_sel:DWORD dst_unused:UNUSED_PAD src0_sel:WORD_1 src1_sel:DWORD
	v_mov_b32_e32 v19, 0
	v_mov_b32_e32 v95, 0
	s_mov_b32 s13, exec_lo
	v_cmpx_ne_u16_e32 0, v10
	s_cbranch_execz .LBB364_905
; %bb.898:                              ;   in Loop: Header=BB364_481 Depth=1
	v_bfrev_b32_e32 v95, 1
	s_mov_b32 s14, exec_lo
	v_cmpx_ne_u16_e32 0x80, v10
	s_cbranch_execz .LBB364_904
; %bb.899:                              ;   in Loop: Header=BB364_481 Depth=1
	v_bfe_u32 v96, v17, 16, 7
	v_mov_b32_e32 v95, 0x7f800001
	s_mov_b32 s15, exec_lo
	v_cmpx_ne_u32_e32 0x7f, v96
	s_cbranch_execz .LBB364_903
; %bb.900:                              ;   in Loop: Header=BB364_481 Depth=1
	v_and_b32_sdwa v10, v17, v39 dst_sel:DWORD dst_unused:UNUSED_PAD src0_sel:WORD_1 src1_sel:DWORD
	v_lshrrev_b32_e32 v95, 3, v96
	s_mov_b32 s16, exec_lo
	v_cmpx_gt_u32_e32 8, v96
; %bb.901:                              ;   in Loop: Header=BB364_481 Depth=1
	v_ffbh_u32_e32 v95, v10
	v_min_u32_e32 v95, 32, v95
	v_subrev_nc_u32_e32 v96, 28, v95
	v_sub_nc_u32_e32 v95, 29, v95
	v_lshlrev_b64 v[96:97], v96, v[10:11]
	v_and_b32_e32 v10, 7, v96
; %bb.902:                              ;   in Loop: Header=BB364_481 Depth=1
	s_or_b32 exec_lo, exec_lo, s16
	v_lshlrev_b32_sdwa v96, v40, v17 dst_sel:DWORD dst_unused:UNUSED_PAD src0_sel:DWORD src1_sel:WORD_1
	v_lshlrev_b32_e32 v10, 20, v10
	v_lshl_add_u32 v95, v95, 23, 0x3c000000
	v_and_b32_e32 v96, 0x80000000, v96
	v_or3_b32 v95, v10, v96, v95
.LBB364_903:                            ;   in Loop: Header=BB364_481 Depth=1
	s_or_b32 exec_lo, exec_lo, s15
.LBB364_904:                            ;   in Loop: Header=BB364_481 Depth=1
	s_or_b32 exec_lo, exec_lo, s14
.LBB364_905:                            ;   in Loop: Header=BB364_481 Depth=1
	s_or_b32 exec_lo, exec_lo, s13
	s_mov_b32 s13, exec_lo
	v_cmpx_lt_u64_e64 s[4:5], v[16:17]
	s_cbranch_execz .LBB364_913
; %bb.906:                              ;   in Loop: Header=BB364_481 Depth=1
	v_cmp_ne_u32_sdwa s0, v17, v36 src0_sel:BYTE_3 src1_sel:DWORD
	v_bfrev_b32_e32 v19, 1
	s_and_saveexec_b32 s14, s0
	s_cbranch_execz .LBB364_912
; %bb.907:                              ;   in Loop: Header=BB364_481 Depth=1
	v_bfe_u32 v96, v17, 24, 7
	v_mov_b32_e32 v19, 0x7f800001
	s_mov_b32 s15, exec_lo
	v_cmpx_ne_u32_e32 0x7f, v96
	s_cbranch_execz .LBB364_911
; %bb.908:                              ;   in Loop: Header=BB364_481 Depth=1
	v_and_b32_sdwa v10, v17, v39 dst_sel:DWORD dst_unused:UNUSED_PAD src0_sel:BYTE_3 src1_sel:DWORD
	v_lshrrev_b32_e32 v16, 3, v96
	s_mov_b32 s16, exec_lo
	v_cmpx_gt_u32_e32 8, v96
; %bb.909:                              ;   in Loop: Header=BB364_481 Depth=1
	v_ffbh_u32_e32 v16, v10
	v_min_u32_e32 v16, 32, v16
	v_subrev_nc_u32_e32 v19, 28, v16
	v_sub_nc_u32_e32 v16, 29, v16
	v_lshlrev_b64 v[96:97], v19, v[10:11]
	v_and_b32_e32 v10, 7, v96
; %bb.910:                              ;   in Loop: Header=BB364_481 Depth=1
	s_or_b32 exec_lo, exec_lo, s16
	v_lshlrev_b32_sdwa v17, v40, v17 dst_sel:DWORD dst_unused:UNUSED_PAD src0_sel:DWORD src1_sel:BYTE_3
	v_lshlrev_b32_e32 v10, 20, v10
	v_lshl_add_u32 v16, v16, 23, 0x3c000000
	v_and_b32_e32 v17, 0x80000000, v17
	v_or3_b32 v19, v10, v17, v16
.LBB364_911:                            ;   in Loop: Header=BB364_481 Depth=1
	s_or_b32 exec_lo, exec_lo, s15
.LBB364_912:                            ;   in Loop: Header=BB364_481 Depth=1
	s_or_b32 exec_lo, exec_lo, s14
.LBB364_913:                            ;   in Loop: Header=BB364_481 Depth=1
	s_or_b32 exec_lo, exec_lo, s13
	v_mul_f32_e32 v10, s6, v18
	v_mul_f32_e32 v16, s6, v94
	;; [unrolled: 1-line block ×5, first 2 shown]
	v_bfe_u32 v92, v10, 16, 1
	v_or_b32_e32 v93, 0x400000, v10
	v_bfe_u32 v94, v16, 16, 1
	v_cmp_u_f32_e64 s0, v10, v10
	v_or_b32_e32 v96, 0x400000, v16
	v_add3_u32 v92, v92, v10, 0x7fff
	v_bfe_u32 v97, v17, 16, 1
	v_add3_u32 v94, v94, v16, 0x7fff
	v_or_b32_e32 v98, 0x400000, v17
	v_bfe_u32 v99, v18, 16, 1
	v_cndmask_b32_e64 v10, v92, v93, s0
	v_cmp_u_f32_e64 s0, v16, v16
	v_add3_u32 v97, v97, v17, 0x7fff
	v_or_b32_e32 v93, 0x400000, v18
	v_add3_u32 v92, v99, v18, 0x7fff
	v_mul_f32_e32 v89, s6, v89
	v_cndmask_b32_e64 v16, v94, v96, s0
	v_cmp_u_f32_e64 s0, v17, v17
	v_bfe_u32 v94, v91, 16, 1
	v_mul_f32_e32 v19, s6, v19
	v_lshrrev_b32_e32 v10, 16, v10
	v_lshrrev_b32_e32 v16, 16, v16
	v_cndmask_b32_e64 v17, v97, v98, s0
	v_cmp_u_f32_e64 s0, v18, v18
	v_or_b32_e32 v98, 0x400000, v19
	v_lshrrev_b32_e32 v17, 16, v17
	v_cndmask_b32_e64 v18, v92, v93, s0
	v_mul_f32_e32 v92, s6, v95
	v_add3_u32 v93, v94, v91, 0x7fff
	v_or_b32_e32 v94, 0x400000, v91
	v_bfe_u32 v95, v89, 16, 1
	v_cmp_u_f32_e64 s0, v91, v91
	v_bfe_u32 v96, v92, 16, 1
	v_or_b32_e32 v97, 0x400000, v92
	v_cndmask_b32_e64 v91, v93, v94, s0
	v_add3_u32 v94, v95, v89, 0x7fff
	v_or_b32_e32 v95, 0x400000, v89
	v_cmp_u_f32_e64 s0, v89, v89
	v_bfe_u32 v93, v19, 16, 1
	v_add3_u32 v96, v96, v92, 0x7fff
	v_lshrrev_b32_e32 v89, 16, v18
	v_lshrrev_b32_e32 v91, 16, v91
	v_cndmask_b32_e64 v94, v94, v95, s0
	v_cmp_u_f32_e64 s0, v92, v92
	v_add3_u32 v93, v93, v19, 0x7fff
	v_lshrrev_b32_e32 v92, 16, v94
	v_cndmask_b32_e64 v95, v96, v97, s0
	v_cmp_u_f32_e64 s0, v19, v19
	v_lshrrev_b32_e32 v19, 16, v95
	v_cndmask_b32_e64 v93, v93, v98, s0
	v_lshrrev_b32_e32 v18, 16, v93
	s_and_saveexec_b32 s0, vcc_lo
	s_cbranch_execz .LBB364_480
; %bb.914:                              ;   in Loop: Header=BB364_481 Depth=1
	v_cmp_gt_i32_e32 vcc_lo, s27, v49
	v_cndmask_b32_e32 v92, 0, v92, vcc_lo
	v_cmp_gt_i32_e32 vcc_lo, s27, v55
	v_cndmask_b32_e32 v91, 0, v91, vcc_lo
	;; [unrolled: 2-line block ×8, first 2 shown]
	s_branch .LBB364_480
.LBB364_915:
	s_or_b32 exec_lo, exec_lo, s9
	v_mov_b32_e32 v17, v100
	v_mov_b32_e32 v22, v101
	;; [unrolled: 1-line block ×3, first 2 shown]
.LBB364_916:
	s_or_b32 exec_lo, exec_lo, s1
	ds_bpermute_b32 v0, v26, v32
	ds_bpermute_b32 v1, v26, v33
	;; [unrolled: 1-line block ×7, first 2 shown]
	v_lshrrev_b32_e32 v7, 1, v25
	v_mul_u32_u24_e32 v9, 0x1c0, v15
	v_and_b32_e32 v13, 0x3c1, v17
	s_mov_b32 s0, exec_lo
	s_waitcnt lgkmcnt(0)
	s_waitcnt_vscnt null, 0x0
	v_lshl_add_u32 v8, v7, 2, 0x100
	s_barrier
	buffer_gl0_inv
	v_add_f32_e32 v6, v32, v0
	v_add_f32_e32 v5, v33, v1
	;; [unrolled: 1-line block ×7, first 2 shown]
	v_cmpx_eq_u32_e32 64, v13
	s_cbranch_execz .LBB364_918
; %bb.917:
	v_add_nc_u32_e32 v10, v8, v9
	v_add_nc_u32_e32 v11, 0xfffffc80, v10
	;; [unrolled: 1-line block ×8, first 2 shown]
	ds_write_b32 v11, v6
	ds_write_b32 v12, v5
	;; [unrolled: 1-line block ×7, first 2 shown]
.LBB364_918:
	s_or_b32 exec_lo, exec_lo, s0
	v_lshlrev_b32_e32 v7, 2, v7
	s_mov_b32 s1, exec_lo
	v_cmp_eq_u32_e32 vcc_lo, 0, v22
	s_waitcnt lgkmcnt(0)
	s_barrier
	v_add3_u32 v7, 0x100, v9, v7
	buffer_gl0_inv
	v_cmpx_gt_u32_e32 64, v17
	s_cbranch_execz .LBB364_928
; %bb.919:
	s_and_saveexec_b32 s0, vcc_lo
	s_cbranch_execnz .LBB364_943
; %bb.920:
	s_or_b32 exec_lo, exec_lo, s0
	s_and_saveexec_b32 s0, vcc_lo
	s_cbranch_execnz .LBB364_944
.LBB364_921:
	s_or_b32 exec_lo, exec_lo, s0
	s_and_saveexec_b32 s0, vcc_lo
	s_cbranch_execnz .LBB364_945
.LBB364_922:
	s_or_b32 exec_lo, exec_lo, s0
	s_and_saveexec_b32 s0, vcc_lo
	s_cbranch_execnz .LBB364_946
.LBB364_923:
	s_or_b32 exec_lo, exec_lo, s0
	s_and_saveexec_b32 s0, vcc_lo
	s_cbranch_execnz .LBB364_947
.LBB364_924:
	s_or_b32 exec_lo, exec_lo, s0
	s_and_saveexec_b32 s0, vcc_lo
	s_cbranch_execnz .LBB364_948
.LBB364_925:
	s_or_b32 exec_lo, exec_lo, s0
	s_and_saveexec_b32 s0, vcc_lo
	s_cbranch_execz .LBB364_927
.LBB364_926:
	ds_read_b32 v9, v7 offset:384
	s_waitcnt lgkmcnt(0)
	v_add_f32_e32 v0, v0, v9
.LBB364_927:
	s_or_b32 exec_lo, exec_lo, s0
.LBB364_928:
	s_or_b32 exec_lo, exec_lo, s1
	v_and_b32_e32 v9, 0x3e1, v17
	s_mov_b32 s1, exec_lo
	s_barrier
	buffer_gl0_inv
	v_cmpx_eq_u32_e32 32, v9
	s_cbranch_execz .LBB364_930
; %bb.929:
	ds_write2_b32 v8, v6, v5 offset1:16
	ds_write2_b32 v8, v4, v3 offset0:32 offset1:48
	ds_write2_b32 v8, v2, v1 offset0:64 offset1:80
	ds_write_b32 v8, v0 offset:384
.LBB364_930:
	s_or_b32 exec_lo, exec_lo, s1
	s_mov_b32 s1, exec_lo
	s_waitcnt lgkmcnt(0)
	s_barrier
	buffer_gl0_inv
	v_cmpx_gt_u32_e32 32, v17
	s_cbranch_execz .LBB364_940
; %bb.931:
	s_and_saveexec_b32 s0, vcc_lo
	s_cbranch_execnz .LBB364_949
; %bb.932:
	s_or_b32 exec_lo, exec_lo, s0
	s_and_saveexec_b32 s0, vcc_lo
	s_cbranch_execnz .LBB364_950
.LBB364_933:
	s_or_b32 exec_lo, exec_lo, s0
	s_and_saveexec_b32 s0, vcc_lo
	s_cbranch_execnz .LBB364_951
.LBB364_934:
	s_or_b32 exec_lo, exec_lo, s0
	s_and_saveexec_b32 s0, vcc_lo
	s_cbranch_execnz .LBB364_952
.LBB364_935:
	s_or_b32 exec_lo, exec_lo, s0
	s_and_saveexec_b32 s0, vcc_lo
	s_cbranch_execnz .LBB364_953
.LBB364_936:
	s_or_b32 exec_lo, exec_lo, s0
	s_and_saveexec_b32 s0, vcc_lo
	s_cbranch_execnz .LBB364_954
.LBB364_937:
	s_or_b32 exec_lo, exec_lo, s0
	s_and_saveexec_b32 s0, vcc_lo
	s_cbranch_execz .LBB364_939
.LBB364_938:
	ds_read_b32 v7, v7 offset:384
	s_waitcnt lgkmcnt(0)
	v_add_f32_e32 v0, v0, v7
.LBB364_939:
	s_or_b32 exec_lo, exec_lo, s0
.LBB364_940:
	s_or_b32 exec_lo, exec_lo, s1
	s_barrier
	buffer_gl0_inv
	s_mov_b32 s0, exec_lo
	v_cmpx_eq_u32_e32 0, v9
	s_cbranch_execz .LBB364_942
; %bb.941:
	buffer_load_dword v10, off, s[44:47], 0 offset:20 ; 4-byte Folded Reload
	s_mul_i32 s0, s2, 0x70
	v_bfe_u32 v7, v6, 16, 1
	s_ashr_i32 s1, s0, 31
	s_mul_i32 s2, s7, s10
	s_lshl_b64 s[0:1], s[0:1], 1
	v_bfe_u32 v8, v5, 16, 1
	s_add_u32 s4, s24, s0
	s_addc_u32 s1, s25, s1
	s_ashr_i32 s3, s2, 31
	v_add3_u32 v7, v7, v6, 0x7fff
	s_lshl_b64 s[2:3], s[2:3], 1
	v_or_b32_e32 v9, 0x400000, v6
	v_cmp_u_f32_e32 vcc_lo, v6, v6
	s_mul_i32 s0, s8, 0x70
	s_add_u32 s2, s4, s2
	s_addc_u32 s3, s1, s3
	s_ashr_i32 s1, s0, 31
	v_add3_u32 v8, v8, v5, 0x7fff
	s_lshl_b64 s[0:1], s[0:1], 1
	v_or_b32_e32 v11, 0x400000, v5
	v_cndmask_b32_e32 v6, v7, v9, vcc_lo
	v_bfe_u32 v7, v4, 16, 1
	v_cmp_u_f32_e32 vcc_lo, v5, v5
	s_add_u32 s0, s2, s0
	s_addc_u32 s1, s3, s1
	v_or_b32_e32 v9, 0x400000, v1
	v_cndmask_b32_e32 v5, v8, v11, vcc_lo
	v_bfe_u32 v8, v3, 16, 1
	v_cmp_u_f32_e32 vcc_lo, v4, v4
	v_or_b32_e32 v11, 0x400000, v0
	s_waitcnt vmcnt(0)
	v_lshlrev_b32_e32 v10, 1, v10
	global_store_short_d16_hi v10, v6, s[0:1]
	v_add3_u32 v6, v7, v4, 0x7fff
	v_or_b32_e32 v7, 0x400000, v4
	global_store_short_d16_hi v10, v5, s[0:1] offset:32
	v_add3_u32 v5, v8, v3, 0x7fff
	v_or_b32_e32 v8, 0x400000, v3
	v_cndmask_b32_e32 v4, v6, v7, vcc_lo
	v_bfe_u32 v6, v2, 16, 1
	v_cmp_u_f32_e32 vcc_lo, v3, v3
	v_bfe_u32 v7, v1, 16, 1
	v_add3_u32 v6, v6, v2, 0x7fff
	v_cndmask_b32_e32 v3, v5, v8, vcc_lo
	v_or_b32_e32 v8, 0x400000, v2
	v_cmp_u_f32_e32 vcc_lo, v2, v2
	v_bfe_u32 v5, v0, 16, 1
	v_add3_u32 v7, v7, v1, 0x7fff
	v_cndmask_b32_e32 v2, v6, v8, vcc_lo
	v_cmp_u_f32_e32 vcc_lo, v1, v1
	v_add3_u32 v5, v5, v0, 0x7fff
	v_cndmask_b32_e32 v1, v7, v9, vcc_lo
	v_cmp_u_f32_e32 vcc_lo, v0, v0
	v_cndmask_b32_e32 v0, v5, v11, vcc_lo
	global_store_short_d16_hi v10, v4, s[0:1] offset:64
	global_store_short_d16_hi v10, v3, s[0:1] offset:96
	;; [unrolled: 1-line block ×5, first 2 shown]
.LBB364_942:
	s_endpgm
.LBB364_943:
	ds_read_b32 v9, v7
	s_waitcnt lgkmcnt(0)
	v_add_f32_e32 v6, v6, v9
	s_or_b32 exec_lo, exec_lo, s0
	s_and_saveexec_b32 s0, vcc_lo
	s_cbranch_execz .LBB364_921
.LBB364_944:
	ds_read_b32 v9, v7 offset:64
	s_waitcnt lgkmcnt(0)
	v_add_f32_e32 v5, v5, v9
	s_or_b32 exec_lo, exec_lo, s0
	s_and_saveexec_b32 s0, vcc_lo
	s_cbranch_execz .LBB364_922
.LBB364_945:
	ds_read_b32 v9, v7 offset:128
	s_waitcnt lgkmcnt(0)
	v_add_f32_e32 v4, v4, v9
	s_or_b32 exec_lo, exec_lo, s0
	s_and_saveexec_b32 s0, vcc_lo
	s_cbranch_execz .LBB364_923
.LBB364_946:
	ds_read_b32 v9, v7 offset:192
	s_waitcnt lgkmcnt(0)
	v_add_f32_e32 v3, v3, v9
	s_or_b32 exec_lo, exec_lo, s0
	s_and_saveexec_b32 s0, vcc_lo
	s_cbranch_execz .LBB364_924
.LBB364_947:
	ds_read_b32 v9, v7 offset:256
	s_waitcnt lgkmcnt(0)
	v_add_f32_e32 v2, v2, v9
	s_or_b32 exec_lo, exec_lo, s0
	s_and_saveexec_b32 s0, vcc_lo
	s_cbranch_execz .LBB364_925
.LBB364_948:
	ds_read_b32 v9, v7 offset:320
	s_waitcnt lgkmcnt(0)
	v_add_f32_e32 v1, v1, v9
	s_or_b32 exec_lo, exec_lo, s0
	s_and_saveexec_b32 s0, vcc_lo
	s_cbranch_execnz .LBB364_926
	s_branch .LBB364_927
.LBB364_949:
	ds_read_b32 v8, v7
	s_waitcnt lgkmcnt(0)
	v_add_f32_e32 v6, v6, v8
	s_or_b32 exec_lo, exec_lo, s0
	s_and_saveexec_b32 s0, vcc_lo
	s_cbranch_execz .LBB364_933
.LBB364_950:
	ds_read_b32 v8, v7 offset:64
	s_waitcnt lgkmcnt(0)
	v_add_f32_e32 v5, v5, v8
	s_or_b32 exec_lo, exec_lo, s0
	s_and_saveexec_b32 s0, vcc_lo
	s_cbranch_execz .LBB364_934
.LBB364_951:
	ds_read_b32 v8, v7 offset:128
	s_waitcnt lgkmcnt(0)
	v_add_f32_e32 v4, v4, v8
	s_or_b32 exec_lo, exec_lo, s0
	s_and_saveexec_b32 s0, vcc_lo
	s_cbranch_execz .LBB364_935
.LBB364_952:
	ds_read_b32 v8, v7 offset:192
	s_waitcnt lgkmcnt(0)
	v_add_f32_e32 v3, v3, v8
	s_or_b32 exec_lo, exec_lo, s0
	s_and_saveexec_b32 s0, vcc_lo
	s_cbranch_execz .LBB364_936
.LBB364_953:
	ds_read_b32 v8, v7 offset:256
	s_waitcnt lgkmcnt(0)
	v_add_f32_e32 v2, v2, v8
	s_or_b32 exec_lo, exec_lo, s0
	s_and_saveexec_b32 s0, vcc_lo
	s_cbranch_execz .LBB364_937
.LBB364_954:
	ds_read_b32 v8, v7 offset:320
	s_waitcnt lgkmcnt(0)
	v_add_f32_e32 v1, v1, v8
	s_or_b32 exec_lo, exec_lo, s0
	s_and_saveexec_b32 s0, vcc_lo
	s_cbranch_execnz .LBB364_938
	s_branch .LBB364_939
	.section	.rodata,"a",@progbits
	.p2align	6, 0x0
	.amdhsa_kernel _ZN4vllm25paged_attention_v2_kernelI14__hip_bfloat16hLi112ELi16ELi128ELNS_18Fp8KVCacheDataTypeE1ELb0ELi512EEEvPfS3_PT_PKS4_PKT0_SA_ifPKiSC_iPKfiiiSE_SE_iiiii
		.amdhsa_group_segment_fixed_size 256
		.amdhsa_private_segment_fixed_size 48
		.amdhsa_kernarg_size 400
		.amdhsa_user_sgpr_count 6
		.amdhsa_user_sgpr_private_segment_buffer 1
		.amdhsa_user_sgpr_dispatch_ptr 0
		.amdhsa_user_sgpr_queue_ptr 0
		.amdhsa_user_sgpr_kernarg_segment_ptr 1
		.amdhsa_user_sgpr_dispatch_id 0
		.amdhsa_user_sgpr_flat_scratch_init 0
		.amdhsa_user_sgpr_private_segment_size 0
		.amdhsa_wavefront_size32 1
		.amdhsa_uses_dynamic_stack 0
		.amdhsa_system_sgpr_private_segment_wavefront_offset 1
		.amdhsa_system_sgpr_workgroup_id_x 1
		.amdhsa_system_sgpr_workgroup_id_y 1
		.amdhsa_system_sgpr_workgroup_id_z 1
		.amdhsa_system_sgpr_workgroup_info 0
		.amdhsa_system_vgpr_workitem_id 0
		.amdhsa_next_free_vgpr 128
		.amdhsa_next_free_sgpr 48
		.amdhsa_reserve_vcc 1
		.amdhsa_reserve_flat_scratch 0
		.amdhsa_float_round_mode_32 0
		.amdhsa_float_round_mode_16_64 0
		.amdhsa_float_denorm_mode_32 3
		.amdhsa_float_denorm_mode_16_64 3
		.amdhsa_dx10_clamp 1
		.amdhsa_ieee_mode 1
		.amdhsa_fp16_overflow 0
		.amdhsa_workgroup_processor_mode 1
		.amdhsa_memory_ordered 1
		.amdhsa_forward_progress 1
		.amdhsa_shared_vgpr_count 0
		.amdhsa_exception_fp_ieee_invalid_op 0
		.amdhsa_exception_fp_denorm_src 0
		.amdhsa_exception_fp_ieee_div_zero 0
		.amdhsa_exception_fp_ieee_overflow 0
		.amdhsa_exception_fp_ieee_underflow 0
		.amdhsa_exception_fp_ieee_inexact 0
		.amdhsa_exception_int_div_zero 0
	.end_amdhsa_kernel
	.section	.text._ZN4vllm25paged_attention_v2_kernelI14__hip_bfloat16hLi112ELi16ELi128ELNS_18Fp8KVCacheDataTypeE1ELb0ELi512EEEvPfS3_PT_PKS4_PKT0_SA_ifPKiSC_iPKfiiiSE_SE_iiiii,"axG",@progbits,_ZN4vllm25paged_attention_v2_kernelI14__hip_bfloat16hLi112ELi16ELi128ELNS_18Fp8KVCacheDataTypeE1ELb0ELi512EEEvPfS3_PT_PKS4_PKT0_SA_ifPKiSC_iPKfiiiSE_SE_iiiii,comdat
.Lfunc_end364:
	.size	_ZN4vllm25paged_attention_v2_kernelI14__hip_bfloat16hLi112ELi16ELi128ELNS_18Fp8KVCacheDataTypeE1ELb0ELi512EEEvPfS3_PT_PKS4_PKT0_SA_ifPKiSC_iPKfiiiSE_SE_iiiii, .Lfunc_end364-_ZN4vllm25paged_attention_v2_kernelI14__hip_bfloat16hLi112ELi16ELi128ELNS_18Fp8KVCacheDataTypeE1ELb0ELi512EEEvPfS3_PT_PKS4_PKT0_SA_ifPKiSC_iPKfiiiSE_SE_iiiii
                                        ; -- End function
	.set _ZN4vllm25paged_attention_v2_kernelI14__hip_bfloat16hLi112ELi16ELi128ELNS_18Fp8KVCacheDataTypeE1ELb0ELi512EEEvPfS3_PT_PKS4_PKT0_SA_ifPKiSC_iPKfiiiSE_SE_iiiii.num_vgpr, 128
	.set _ZN4vllm25paged_attention_v2_kernelI14__hip_bfloat16hLi112ELi16ELi128ELNS_18Fp8KVCacheDataTypeE1ELb0ELi512EEEvPfS3_PT_PKS4_PKT0_SA_ifPKiSC_iPKfiiiSE_SE_iiiii.num_agpr, 0
	.set _ZN4vllm25paged_attention_v2_kernelI14__hip_bfloat16hLi112ELi16ELi128ELNS_18Fp8KVCacheDataTypeE1ELb0ELi512EEEvPfS3_PT_PKS4_PKT0_SA_ifPKiSC_iPKfiiiSE_SE_iiiii.numbered_sgpr, 48
	.set _ZN4vllm25paged_attention_v2_kernelI14__hip_bfloat16hLi112ELi16ELi128ELNS_18Fp8KVCacheDataTypeE1ELb0ELi512EEEvPfS3_PT_PKS4_PKT0_SA_ifPKiSC_iPKfiiiSE_SE_iiiii.num_named_barrier, 0
	.set _ZN4vllm25paged_attention_v2_kernelI14__hip_bfloat16hLi112ELi16ELi128ELNS_18Fp8KVCacheDataTypeE1ELb0ELi512EEEvPfS3_PT_PKS4_PKT0_SA_ifPKiSC_iPKfiiiSE_SE_iiiii.private_seg_size, 48
	.set _ZN4vllm25paged_attention_v2_kernelI14__hip_bfloat16hLi112ELi16ELi128ELNS_18Fp8KVCacheDataTypeE1ELb0ELi512EEEvPfS3_PT_PKS4_PKT0_SA_ifPKiSC_iPKfiiiSE_SE_iiiii.uses_vcc, 1
	.set _ZN4vllm25paged_attention_v2_kernelI14__hip_bfloat16hLi112ELi16ELi128ELNS_18Fp8KVCacheDataTypeE1ELb0ELi512EEEvPfS3_PT_PKS4_PKT0_SA_ifPKiSC_iPKfiiiSE_SE_iiiii.uses_flat_scratch, 0
	.set _ZN4vllm25paged_attention_v2_kernelI14__hip_bfloat16hLi112ELi16ELi128ELNS_18Fp8KVCacheDataTypeE1ELb0ELi512EEEvPfS3_PT_PKS4_PKT0_SA_ifPKiSC_iPKfiiiSE_SE_iiiii.has_dyn_sized_stack, 0
	.set _ZN4vllm25paged_attention_v2_kernelI14__hip_bfloat16hLi112ELi16ELi128ELNS_18Fp8KVCacheDataTypeE1ELb0ELi512EEEvPfS3_PT_PKS4_PKT0_SA_ifPKiSC_iPKfiiiSE_SE_iiiii.has_recursion, 0
	.set _ZN4vllm25paged_attention_v2_kernelI14__hip_bfloat16hLi112ELi16ELi128ELNS_18Fp8KVCacheDataTypeE1ELb0ELi512EEEvPfS3_PT_PKS4_PKT0_SA_ifPKiSC_iPKfiiiSE_SE_iiiii.has_indirect_call, 0
	.section	.AMDGPU.csdata,"",@progbits
; Kernel info:
; codeLenInByte = 35296
; TotalNumSgprs: 50
; NumVgprs: 128
; ScratchSize: 48
; MemoryBound: 0
; FloatMode: 240
; IeeeMode: 1
; LDSByteSize: 256 bytes/workgroup (compile time only)
; SGPRBlocks: 0
; VGPRBlocks: 15
; NumSGPRsForWavesPerEU: 50
; NumVGPRsForWavesPerEU: 128
; Occupancy: 8
; WaveLimiterHint : 1
; COMPUTE_PGM_RSRC2:SCRATCH_EN: 1
; COMPUTE_PGM_RSRC2:USER_SGPR: 6
; COMPUTE_PGM_RSRC2:TRAP_HANDLER: 0
; COMPUTE_PGM_RSRC2:TGID_X_EN: 1
; COMPUTE_PGM_RSRC2:TGID_Y_EN: 1
; COMPUTE_PGM_RSRC2:TGID_Z_EN: 1
; COMPUTE_PGM_RSRC2:TIDIG_COMP_CNT: 0
	.section	.text._ZN4vllm25paged_attention_v2_kernelI14__hip_bfloat16hLi120ELi16ELi128ELNS_18Fp8KVCacheDataTypeE1ELb0ELi512EEEvPfS3_PT_PKS4_PKT0_SA_ifPKiSC_iPKfiiiSE_SE_iiiii,"axG",@progbits,_ZN4vllm25paged_attention_v2_kernelI14__hip_bfloat16hLi120ELi16ELi128ELNS_18Fp8KVCacheDataTypeE1ELb0ELi512EEEvPfS3_PT_PKS4_PKT0_SA_ifPKiSC_iPKfiiiSE_SE_iiiii,comdat
	.protected	_ZN4vllm25paged_attention_v2_kernelI14__hip_bfloat16hLi120ELi16ELi128ELNS_18Fp8KVCacheDataTypeE1ELb0ELi512EEEvPfS3_PT_PKS4_PKT0_SA_ifPKiSC_iPKfiiiSE_SE_iiiii ; -- Begin function _ZN4vllm25paged_attention_v2_kernelI14__hip_bfloat16hLi120ELi16ELi128ELNS_18Fp8KVCacheDataTypeE1ELb0ELi512EEEvPfS3_PT_PKS4_PKT0_SA_ifPKiSC_iPKfiiiSE_SE_iiiii
	.globl	_ZN4vllm25paged_attention_v2_kernelI14__hip_bfloat16hLi120ELi16ELi128ELNS_18Fp8KVCacheDataTypeE1ELb0ELi512EEEvPfS3_PT_PKS4_PKT0_SA_ifPKiSC_iPKfiiiSE_SE_iiiii
	.p2align	8
	.type	_ZN4vllm25paged_attention_v2_kernelI14__hip_bfloat16hLi120ELi16ELi128ELNS_18Fp8KVCacheDataTypeE1ELb0ELi512EEEvPfS3_PT_PKS4_PKT0_SA_ifPKiSC_iPKfiiiSE_SE_iiiii,@function
_ZN4vllm25paged_attention_v2_kernelI14__hip_bfloat16hLi120ELi16ELi128ELNS_18Fp8KVCacheDataTypeE1ELb0ELi512EEEvPfS3_PT_PKS4_PKT0_SA_ifPKiSC_iPKfiiiSE_SE_iiiii: ; @_ZN4vllm25paged_attention_v2_kernelI14__hip_bfloat16hLi120ELi16ELi128ELNS_18Fp8KVCacheDataTypeE1ELb0ELi512EEEvPfS3_PT_PKS4_PKT0_SA_ifPKiSC_iPKfiiiSE_SE_iiiii
; %bb.0:
	s_mov_b64 s[46:47], s[2:3]
	s_mov_b64 s[44:45], s[0:1]
	s_load_dwordx2 s[0:1], s[4:5], 0x40
	s_add_u32 s44, s44, s9
	s_addc_u32 s45, s45, 0
	s_mov_b32 s26, s7
	s_ashr_i32 s27, s7, 31
	s_lshl_b64 s[2:3], s[26:27], 2
	s_waitcnt lgkmcnt(0)
	s_add_u32 s0, s0, s2
	s_addc_u32 s1, s1, s3
	s_lshl_b32 s33, s8, 9
	s_load_dword s27, s[0:1], 0x0
	s_waitcnt lgkmcnt(0)
	s_cmp_ge_i32 s33, s27
	s_cbranch_scc1 .LBB365_1065
; %bb.1:
	s_clause 0x1
	s_load_dword s9, s[4:5], 0x90
	s_load_dwordx2 s[36:37], s[4:5], 0x30
	v_mov_b32_e32 v23, v0
	s_waitcnt lgkmcnt(0)
	s_abs_i32 s3, s9
	s_abs_i32 s0, s36
	v_cvt_f32_u32_e32 v0, s0
	s_sub_i32 s2, 0, s0
	v_rcp_iflag_f32_e32 v0, v0
	v_mul_f32_e32 v0, 0x4f7ffffe, v0
	v_cvt_u32_f32_e32 v0, v0
	v_readfirstlane_b32 s1, v0
	s_mul_i32 s2, s2, s1
	s_mul_hi_u32 s2, s1, s2
	s_add_i32 s1, s1, s2
	s_xor_b32 s2, s9, s36
	s_mul_hi_u32 s1, s3, s1
	s_ashr_i32 s2, s2, 31
	s_mul_i32 s7, s1, s0
	s_mov_b32 s36, 0
	s_sub_i32 s3, s3, s7
	s_add_i32 s7, s1, 1
	s_sub_i32 s10, s3, s0
	s_cmp_ge_u32 s3, s0
	s_cselect_b32 s1, s7, s1
	s_cselect_b32 s3, s10, s3
	s_add_i32 s7, s1, 1
	s_cmp_ge_u32 s3, s0
	s_cselect_b32 s0, s7, s1
	s_abs_i32 s16, s6
	s_xor_b32 s0, s0, s2
	s_sub_i32 s10, s0, s2
	s_load_dwordx2 s[0:1], s[4:5], 0x50
	s_abs_i32 s2, s10
	v_cvt_f32_u32_e32 v0, s2
	s_sub_i32 s7, 0, s2
	v_rcp_iflag_f32_e32 v0, v0
	v_mul_f32_e32 v0, 0x4f7ffffe, v0
	v_cvt_u32_f32_e32 v0, v0
	v_readfirstlane_b32 s3, v0
	s_mul_i32 s7, s7, s3
	s_mul_hi_u32 s7, s3, s7
	s_add_i32 s3, s3, s7
	s_waitcnt lgkmcnt(0)
	s_cmp_eq_u64 s[0:1], 0
	s_mul_hi_u32 s3, s16, s3
	s_cbranch_scc1 .LBB365_3
; %bb.2:
	s_ashr_i32 s7, s6, 31
	s_lshl_b64 s[12:13], s[6:7], 2
	s_add_u32 s0, s0, s12
	s_addc_u32 s1, s1, s13
	s_load_dword s36, s[0:1], 0x0
.LBB365_3:
	s_load_dwordx4 s[12:15], s[4:5], 0x58
	v_lshrrev_b32_e32 v99, 1, v23
	v_and_b32_e32 v24, 1, v23
	v_lshlrev_b32_e32 v15, 3, v23
	s_ashr_i32 s0, s6, 31
	s_ashr_i32 s1, s10, 31
	s_mul_i32 s10, s6, 0x78
	s_mov_b32 s7, exec_lo
	v_cmpx_gt_u32_e32 30, v23
	s_cbranch_execz .LBB365_5
; %bb.4:
	s_load_dwordx2 s[18:19], s[4:5], 0x18
	s_waitcnt lgkmcnt(0)
	s_mul_i32 s20, s12, s26
	v_lshlrev_b32_e32 v2, 3, v99
	s_ashr_i32 s21, s20, 31
	s_lshl_b64 s[20:21], s[20:21], 1
	v_mad_u32_u24 v2, 0x78, v24, v2
	s_add_u32 s12, s18, s20
	s_addc_u32 s15, s19, s21
	s_ashr_i32 s11, s10, 31
	s_lshl_b64 s[18:19], s[10:11], 1
	s_add_u32 s18, s12, s18
	s_addc_u32 s19, s15, s19
	global_load_dwordx2 v[0:1], v15, s[18:19]
	s_waitcnt vmcnt(0)
	ds_write_b64 v2, v[0:1]
.LBB365_5:
	s_or_b32 exec_lo, exec_lo, s7
	s_add_i32 s7, s27, 15
	s_clause 0x1
	s_load_dwordx2 s[28:29], s[4:5], 0x38
	s_load_dword s18, s[4:5], 0x48
	s_ashr_i32 s11, s7, 31
	s_waitcnt lgkmcnt(0)
	s_lshl_b32 s15, s8, 5
	s_lshr_b32 s11, s11, 28
	s_mul_i32 s17, s3, s2
	s_add_i32 s7, s7, s11
	s_add_i32 s11, s15, 32
	s_ashr_i32 s7, s7, 4
	s_xor_b32 s0, s0, s1
	s_sub_i32 s1, s16, s17
	s_min_i32 s12, s11, s7
	s_add_i32 s11, s3, 1
	s_sub_i32 s16, s1, s2
	s_cmp_ge_u32 s1, s2
	v_lshrrev_b32_e32 v36, 5, v23
	s_cselect_b32 s3, s11, s3
	s_cselect_b32 s1, s16, s1
	s_add_i32 s11, s3, 1
	s_cmp_ge_u32 s1, s2
	v_or_b32_e32 v9, s15, v36
	s_cselect_b32 s1, s11, s3
	v_mbcnt_lo_u32_b32 v25, -1, 0
	s_xor_b32 s1, s1, s0
	s_mul_i32 s30, s18, s26
	s_sub_i32 s1, s1, s0
	v_cmp_le_i32_e64 s0, s12, v9
	s_ashr_i32 s31, s30, 31
	s_barrier
	buffer_gl0_inv
                                        ; implicit-def: $vgpr2
                                        ; implicit-def: $vgpr13
	s_and_saveexec_b32 s2, s0
	s_xor_b32 s2, exec_lo, s2
; %bb.6:
	v_mov_b32_e32 v2, 0
	v_mbcnt_lo_u32_b32 v25, -1, 0
	v_mov_b32_e32 v13, 32
; %bb.7:
	s_or_saveexec_b32 s38, s2
	s_clause 0x4
	s_load_dwordx4 s[20:23], s[4:5], 0x0
	s_load_dwordx2 s[24:25], s[4:5], 0x10
	s_load_dword s11, s[4:5], 0x98
	s_load_dwordx2 s[34:35], s[4:5], 0x28
	s_load_dwordx4 s[16:19], s[4:5], 0x68
	v_mov_b32_e32 v73, 0xff7fffff
	v_ashrrev_i32_e32 v10, 31, v9
	s_mul_i32 s14, s1, s14
	s_xor_b32 exec_lo, exec_lo, s38
	s_cbranch_execz .LBB365_493
; %bb.8:
	v_mul_u32_u24_e32 v8, 0x78, v24
	buffer_store_dword v15, off, s[44:47], 0 offset:64 ; 4-byte Folded Spill
	s_load_dwordx2 s[2:3], s[4:5], 0x20
	s_ashr_i32 s1, s14, 31
	v_mov_b32_e32 v73, 0xff7fffff
	ds_read2_b64 v[0:3], v8 offset1:1
	ds_read2_b64 v[4:7], v8 offset0:2 offset1:3
	ds_read2_b64 v[11:14], v8 offset0:4 offset1:5
	;; [unrolled: 1-line block ×4, first 2 shown]
	v_mov_b32_e32 v81, 0x80
	v_mov_b32_e32 v82, 0xffff
	;; [unrolled: 1-line block ×6, first 2 shown]
	buffer_store_dword v23, off, s[44:47], 0 offset:52 ; 4-byte Folded Spill
	buffer_store_dword v25, off, s[44:47], 0 offset:68 ; 4-byte Folded Spill
	;; [unrolled: 1-line block ×3, first 2 shown]
	s_waitcnt lgkmcnt(0)
	v_lshlrev_b32_e32 v26, 16, v0
	v_and_b32_e32 v0, 0xffff0000, v0
	v_and_b32_e32 v29, 0xffff0000, v6
	v_lshlrev_b32_e32 v30, 16, v7
	v_and_b32_e32 v31, 0xffff0000, v7
	s_add_u32 s5, s2, s14
	buffer_store_dword v0, off, s[44:47], 0 offset:4 ; 4-byte Folded Spill
	v_lshlrev_b32_e32 v0, 16, v1
	s_addc_u32 s1, s3, s1
	s_lshl_b64 s[2:3], s[30:31], 2
	s_sub_i32 s4, 1, s27
	s_add_u32 s2, s28, s2
	buffer_store_dword v0, off, s[44:47], 0 offset:8 ; 4-byte Folded Spill
	v_and_b32_e32 v0, 0xffff0000, v1
	s_addc_u32 s3, s29, s3
	v_lshlrev_b32_e32 v34, 16, v12
	v_and_b32_e32 v35, 0xffff0000, v12
	v_mov_b32_e32 v12, v36
	buffer_store_dword v0, off, s[44:47], 0 offset:12 ; 4-byte Folded Spill
	v_lshlrev_b32_e32 v0, 16, v2
	v_lshlrev_b32_e32 v32, 16, v11
	v_and_b32_e32 v33, 0xffff0000, v11
	v_lshlrev_b32_e32 v36, 16, v13
	v_and_b32_e32 v37, 0xffff0000, v13
	buffer_store_dword v0, off, s[44:47], 0 offset:16 ; 4-byte Folded Spill
	v_and_b32_e32 v0, 0xffff0000, v2
	v_lshlrev_b32_e32 v38, 16, v14
	v_and_b32_e32 v39, 0xffff0000, v14
	v_lshlrev_b32_e32 v40, 16, v15
	v_and_b32_e32 v41, 0xffff0000, v15
	buffer_store_dword v0, off, s[44:47], 0 offset:20 ; 4-byte Folded Spill
	v_lshlrev_b32_e32 v0, 16, v3
	v_lshlrev_b32_e32 v42, 16, v16
	v_and_b32_e32 v43, 0xffff0000, v16
	v_lshlrev_b32_e32 v44, 16, v17
	v_and_b32_e32 v45, 0xffff0000, v17
	buffer_store_dword v0, off, s[44:47], 0 offset:24 ; 4-byte Folded Spill
	v_and_b32_e32 v0, 0xffff0000, v3
	v_lshlrev_b32_e32 v47, 16, v18
	v_and_b32_e32 v48, 0xffff0000, v18
	v_lshlrev_b32_e32 v49, 16, v19
	v_and_b32_e32 v50, 0xffff0000, v19
	buffer_store_dword v0, off, s[44:47], 0 offset:28 ; 4-byte Folded Spill
	v_lshlrev_b32_e32 v0, 16, v4
	v_lshlrev_b32_e32 v51, 16, v20
	v_and_b32_e32 v52, 0xffff0000, v20
	v_lshlrev_b32_e32 v53, 16, v21
	v_and_b32_e32 v54, 0xffff0000, v21
	buffer_store_dword v0, off, s[44:47], 0 offset:32 ; 4-byte Folded Spill
	v_and_b32_e32 v0, 0xffff0000, v4
	v_lshlrev_b32_e32 v55, 16, v22
	v_and_b32_e32 v56, 0xffff0000, v22
	buffer_store_dword v26, off, s[44:47], 0 ; 4-byte Folded Spill
	buffer_store_dword v12, off, s[44:47], 0 offset:60 ; 4-byte Folded Spill
	buffer_store_dword v0, off, s[44:47], 0 offset:36 ; 4-byte Folded Spill
	v_lshlrev_b32_e32 v0, 16, v5
	buffer_store_dword v0, off, s[44:47], 0 offset:40 ; 4-byte Folded Spill
	v_and_b32_e32 v0, 0xffff0000, v5
	buffer_store_dword v0, off, s[44:47], 0 offset:44 ; 4-byte Folded Spill
	v_lshlrev_b32_e32 v0, 16, v6
	ds_read2_b64 v[4:7], v8 offset0:12 offset1:13
	buffer_store_dword v0, off, s[44:47], 0 offset:48 ; 4-byte Folded Spill
	ds_read2_b64 v[0:3], v8 offset0:10 offset1:11
	s_waitcnt lgkmcnt(1)
	v_lshlrev_b32_e32 v65, 16, v4
	v_and_b32_e32 v66, 0xffff0000, v4
	v_lshlrev_b32_e32 v67, 16, v5
	v_and_b32_e32 v68, 0xffff0000, v5
	v_xor_b32_e32 v5, 1, v25
	s_waitcnt lgkmcnt(0)
	v_lshlrev_b32_e32 v57, 16, v0
	v_and_b32_e32 v58, 0xffff0000, v0
	v_lshlrev_b32_e32 v59, 16, v1
	v_and_b32_e32 v60, 0xffff0000, v1
	ds_read_b64 v[0:1], v8 offset:112
	v_lshlrev_b32_e32 v61, 16, v2
	v_and_b32_e32 v62, 0xffff0000, v2
	v_bfe_u32 v2, v23, 1, 4
	v_lshlrev_b32_e32 v63, 16, v3
	v_and_b32_e32 v64, 0xffff0000, v3
	v_lshlrev_b64 v[3:4], 2, v[9:10]
	v_lshlrev_b32_e32 v69, 16, v6
	v_lshlrev_b32_e32 v8, 2, v2
	v_and_b32_e32 v70, 0xffff0000, v6
	v_lshlrev_b32_e32 v71, 16, v7
	v_and_b32_e32 v72, 0xffff0000, v7
	v_add_co_u32 v3, vcc_lo, s2, v3
	v_add_co_ci_u32_e64 v4, null, s3, v4, vcc_lo
	v_cmp_gt_i32_e32 vcc_lo, 32, v5
	v_lshlrev_b32_e32 v7, 4, v12
	s_waitcnt lgkmcnt(0)
	v_lshlrev_b32_e32 v74, 16, v0
	v_and_b32_e32 v75, 0xffff0000, v0
	v_lshlrev_b32_e32 v0, 4, v2
	v_lshlrev_b32_e32 v76, 16, v1
	v_and_b32_e32 v77, 0xffff0000, v1
	v_lshlrev_b32_e32 v1, 2, v24
	v_cndmask_b32_e32 v11, v25, v5, vcc_lo
	v_add_co_u32 v0, s2, s5, v0
	s_load_dword s5, s[16:17], 0x0
	v_add_co_ci_u32_e64 v6, null, s1, 0, s2
	v_add_co_u32 v5, vcc_lo, v0, v1
	v_lshl_or_b32 v0, v12, 6, v8
	v_add_co_ci_u32_e64 v6, null, 0, v6, vcc_lo
	v_add3_u32 v78, s33, v7, v2
	v_lshlrev_b32_e32 v79, 2, v11
	v_cmp_neq_f32_e64 s1, s36, 0
	v_add_nc_u32_e32 v80, 0x110, v0
	v_mov_b32_e32 v2, 0
	s_mov_b32 s17, s13
	s_mov_b32 s16, 0
	v_cmp_eq_u32_e32 vcc_lo, 0, v24
	s_branch .LBB365_10
.LBB365_9:                              ;   in Loop: Header=BB365_10 Depth=1
	s_or_b32 exec_lo, exec_lo, s3
	v_add_nc_u32_e32 v86, 4, v86
	v_add_co_u32 v3, s3, v3, 16
	v_add_nc_u32_e32 v78, 64, v78
	v_add_nc_u32_e32 v80, 0x100, v80
	v_cmp_le_i32_e64 s2, s12, v86
	v_add_co_ci_u32_e64 v4, null, 0, v4, s3
	s_or_b32 s16, s2, s16
	s_andn2_b32 exec_lo, exec_lo, s16
	s_cbranch_execz .LBB365_492
.LBB365_10:                             ; =>This Inner Loop Header: Depth=1
	global_load_dword v0, v[3:4], off
	v_mov_b32_e32 v87, 0
	s_waitcnt vmcnt(0)
	v_mad_i64_i32 v[7:8], null, v0, s17, v[5:6]
	global_load_dword v0, v[7:8], off
	s_waitcnt vmcnt(0)
	v_cmp_ne_u16_sdwa s2, v0, v2 src0_sel:BYTE_0 src1_sel:DWORD
	s_and_saveexec_b32 s3, s2
	s_cbranch_execz .LBB365_18
; %bb.11:                               ;   in Loop: Header=BB365_10 Depth=1
	v_cmp_ne_u16_sdwa s2, v0, v81 src0_sel:BYTE_0 src1_sel:DWORD
	v_bfrev_b32_e32 v87, 1
	s_and_saveexec_b32 s39, s2
	s_cbranch_execz .LBB365_17
; %bb.12:                               ;   in Loop: Header=BB365_10 Depth=1
	v_and_b32_e32 v12, 0x7f, v0
	v_mov_b32_e32 v87, 0x7f800001
	s_mov_b32 s40, exec_lo
	v_cmpx_ne_u32_e32 0x7f, v12
	s_cbranch_execz .LBB365_16
; %bb.13:                               ;   in Loop: Header=BB365_10 Depth=1
	s_waitcnt lgkmcnt(0)
	v_and_b32_e32 v1, 7, v0
	v_lshrrev_b32_e32 v11, 3, v12
	s_mov_b32 s41, exec_lo
	v_cmpx_gt_u32_e32 8, v12
; %bb.14:                               ;   in Loop: Header=BB365_10 Depth=1
	v_ffbh_u32_e32 v11, v1
	v_min_u32_e32 v11, 32, v11
	v_subrev_nc_u32_e32 v12, 28, v11
	v_sub_nc_u32_e32 v11, 29, v11
	v_lshlrev_b64 v[12:13], v12, v[1:2]
	v_and_b32_e32 v1, 7, v12
; %bb.15:                               ;   in Loop: Header=BB365_10 Depth=1
	s_or_b32 exec_lo, exec_lo, s41
	v_lshlrev_b32_e32 v12, 24, v0
	v_lshlrev_b32_e32 v1, 20, v1
	v_lshl_add_u32 v11, v11, 23, 0x3c000000
	v_and_b32_e32 v12, 0x80000000, v12
	v_or3_b32 v87, v1, v12, v11
.LBB365_16:                             ;   in Loop: Header=BB365_10 Depth=1
	s_or_b32 exec_lo, exec_lo, s40
.LBB365_17:                             ;   in Loop: Header=BB365_10 Depth=1
	s_or_b32 exec_lo, exec_lo, s39
.LBB365_18:                             ;   in Loop: Header=BB365_10 Depth=1
	s_or_b32 exec_lo, exec_lo, s3
	v_cmp_ne_u16_sdwa s2, v0, v2 src0_sel:BYTE_1 src1_sel:DWORD
	v_mov_b32_e32 v88, 0
	s_and_saveexec_b32 s3, s2
	s_cbranch_execz .LBB365_26
; %bb.19:                               ;   in Loop: Header=BB365_10 Depth=1
	v_cmp_ne_u16_sdwa s2, v0, v81 src0_sel:BYTE_1 src1_sel:DWORD
	v_bfrev_b32_e32 v88, 1
	s_and_saveexec_b32 s39, s2
	s_cbranch_execz .LBB365_25
; %bb.20:                               ;   in Loop: Header=BB365_10 Depth=1
	s_waitcnt lgkmcnt(0)
	v_and_b32_sdwa v1, v82, v0 dst_sel:DWORD dst_unused:UNUSED_PAD src0_sel:DWORD src1_sel:BYTE_1
	v_mov_b32_e32 v88, 0x7f800001
	s_mov_b32 s40, exec_lo
	v_and_b32_e32 v12, 0x7f, v1
	v_cmpx_ne_u32_e32 0x7f, v12
	s_cbranch_execz .LBB365_24
; %bb.21:                               ;   in Loop: Header=BB365_10 Depth=1
	v_and_b32_e32 v1, 7, v1
	v_lshrrev_b32_e32 v11, 3, v12
	s_mov_b32 s41, exec_lo
	v_cmpx_gt_u32_e32 8, v12
; %bb.22:                               ;   in Loop: Header=BB365_10 Depth=1
	v_ffbh_u32_e32 v11, v1
	v_min_u32_e32 v11, 32, v11
	v_subrev_nc_u32_e32 v12, 28, v11
	v_sub_nc_u32_e32 v11, 29, v11
	v_lshlrev_b64 v[12:13], v12, v[1:2]
	v_and_b32_e32 v1, 7, v12
; %bb.23:                               ;   in Loop: Header=BB365_10 Depth=1
	s_or_b32 exec_lo, exec_lo, s41
	v_lshlrev_b32_e32 v12, 16, v0
	v_lshlrev_b32_e32 v1, 20, v1
	v_lshl_add_u32 v11, v11, 23, 0x3c000000
	v_and_b32_e32 v12, 0x80000000, v12
	v_or3_b32 v88, v1, v12, v11
.LBB365_24:                             ;   in Loop: Header=BB365_10 Depth=1
	s_or_b32 exec_lo, exec_lo, s40
.LBB365_25:                             ;   in Loop: Header=BB365_10 Depth=1
	s_or_b32 exec_lo, exec_lo, s39
.LBB365_26:                             ;   in Loop: Header=BB365_10 Depth=1
	s_or_b32 exec_lo, exec_lo, s3
	s_waitcnt lgkmcnt(0)
	v_and_b32_sdwa v1, v0, v83 dst_sel:DWORD dst_unused:UNUSED_PAD src0_sel:WORD_1 src1_sel:DWORD
	v_mov_b32_e32 v89, 0
	v_mov_b32_e32 v90, 0
	s_mov_b32 s3, exec_lo
	v_cmpx_ne_u16_e32 0, v1
	s_cbranch_execz .LBB365_34
; %bb.27:                               ;   in Loop: Header=BB365_10 Depth=1
	v_bfrev_b32_e32 v90, 1
	s_mov_b32 s39, exec_lo
	v_cmpx_ne_u16_e32 0x80, v1
	s_cbranch_execz .LBB365_33
; %bb.28:                               ;   in Loop: Header=BB365_10 Depth=1
	v_bfe_u32 v12, v0, 16, 7
	v_mov_b32_e32 v90, 0x7f800001
	s_mov_b32 s40, exec_lo
	v_cmpx_ne_u32_e32 0x7f, v12
	s_cbranch_execz .LBB365_32
; %bb.29:                               ;   in Loop: Header=BB365_10 Depth=1
	v_and_b32_sdwa v1, v0, v84 dst_sel:DWORD dst_unused:UNUSED_PAD src0_sel:WORD_1 src1_sel:DWORD
	v_lshrrev_b32_e32 v11, 3, v12
	s_mov_b32 s41, exec_lo
	v_cmpx_gt_u32_e32 8, v12
; %bb.30:                               ;   in Loop: Header=BB365_10 Depth=1
	v_ffbh_u32_e32 v11, v1
	v_min_u32_e32 v11, 32, v11
	v_subrev_nc_u32_e32 v12, 28, v11
	v_sub_nc_u32_e32 v11, 29, v11
	v_lshlrev_b64 v[12:13], v12, v[1:2]
	v_and_b32_e32 v1, 7, v12
; %bb.31:                               ;   in Loop: Header=BB365_10 Depth=1
	s_or_b32 exec_lo, exec_lo, s41
	v_lshlrev_b32_sdwa v12, v85, v0 dst_sel:DWORD dst_unused:UNUSED_PAD src0_sel:DWORD src1_sel:WORD_1
	v_lshlrev_b32_e32 v1, 20, v1
	v_lshl_add_u32 v11, v11, 23, 0x3c000000
	v_and_b32_e32 v12, 0x80000000, v12
	v_or3_b32 v90, v1, v12, v11
.LBB365_32:                             ;   in Loop: Header=BB365_10 Depth=1
	s_or_b32 exec_lo, exec_lo, s40
.LBB365_33:                             ;   in Loop: Header=BB365_10 Depth=1
	s_or_b32 exec_lo, exec_lo, s39
.LBB365_34:                             ;   in Loop: Header=BB365_10 Depth=1
	s_or_b32 exec_lo, exec_lo, s3
	s_mov_b32 s3, exec_lo
	v_cmpx_lt_u32_e32 0xffffff, v0
	s_cbranch_execz .LBB365_42
; %bb.35:                               ;   in Loop: Header=BB365_10 Depth=1
	v_cmp_ne_u32_sdwa s2, v0, v81 src0_sel:BYTE_3 src1_sel:DWORD
	v_bfrev_b32_e32 v89, 1
	s_and_saveexec_b32 s39, s2
	s_cbranch_execz .LBB365_41
; %bb.36:                               ;   in Loop: Header=BB365_10 Depth=1
	v_bfe_u32 v12, v0, 24, 7
	v_mov_b32_e32 v89, 0x7f800001
	s_mov_b32 s40, exec_lo
	v_cmpx_ne_u32_e32 0x7f, v12
	s_cbranch_execz .LBB365_40
; %bb.37:                               ;   in Loop: Header=BB365_10 Depth=1
	v_and_b32_sdwa v1, v0, v84 dst_sel:DWORD dst_unused:UNUSED_PAD src0_sel:BYTE_3 src1_sel:DWORD
	v_lshrrev_b32_e32 v11, 3, v12
	s_mov_b32 s41, exec_lo
	v_cmpx_gt_u32_e32 8, v12
; %bb.38:                               ;   in Loop: Header=BB365_10 Depth=1
	v_ffbh_u32_e32 v11, v1
	v_min_u32_e32 v11, 32, v11
	v_subrev_nc_u32_e32 v12, 28, v11
	v_sub_nc_u32_e32 v11, 29, v11
	v_lshlrev_b64 v[12:13], v12, v[1:2]
	v_and_b32_e32 v1, 7, v12
; %bb.39:                               ;   in Loop: Header=BB365_10 Depth=1
	s_or_b32 exec_lo, exec_lo, s41
	v_lshlrev_b32_sdwa v0, v85, v0 dst_sel:DWORD dst_unused:UNUSED_PAD src0_sel:DWORD src1_sel:BYTE_3
	v_lshlrev_b32_e32 v1, 20, v1
	v_lshl_add_u32 v11, v11, 23, 0x3c000000
	v_and_b32_e32 v0, 0x80000000, v0
	v_or3_b32 v89, v1, v0, v11
.LBB365_40:                             ;   in Loop: Header=BB365_10 Depth=1
	s_or_b32 exec_lo, exec_lo, s40
.LBB365_41:                             ;   in Loop: Header=BB365_10 Depth=1
	s_or_b32 exec_lo, exec_lo, s39
.LBB365_42:                             ;   in Loop: Header=BB365_10 Depth=1
	s_or_b32 exec_lo, exec_lo, s3
	global_load_dword v0, v[7:8], off offset:8
	v_mov_b32_e32 v92, 0
	v_mov_b32_e32 v91, 0
	s_waitcnt vmcnt(0)
	v_cmp_ne_u16_sdwa s2, v0, v2 src0_sel:BYTE_0 src1_sel:DWORD
	s_and_saveexec_b32 s3, s2
	s_cbranch_execz .LBB365_50
; %bb.43:                               ;   in Loop: Header=BB365_10 Depth=1
	v_cmp_ne_u16_sdwa s2, v0, v81 src0_sel:BYTE_0 src1_sel:DWORD
	v_bfrev_b32_e32 v91, 1
	s_and_saveexec_b32 s39, s2
	s_cbranch_execz .LBB365_49
; %bb.44:                               ;   in Loop: Header=BB365_10 Depth=1
	v_and_b32_e32 v12, 0x7f, v0
	v_mov_b32_e32 v91, 0x7f800001
	s_mov_b32 s40, exec_lo
	v_cmpx_ne_u32_e32 0x7f, v12
	s_cbranch_execz .LBB365_48
; %bb.45:                               ;   in Loop: Header=BB365_10 Depth=1
	v_and_b32_e32 v1, 7, v0
	v_lshrrev_b32_e32 v11, 3, v12
	s_mov_b32 s41, exec_lo
	v_cmpx_gt_u32_e32 8, v12
; %bb.46:                               ;   in Loop: Header=BB365_10 Depth=1
	v_ffbh_u32_e32 v11, v1
	v_min_u32_e32 v11, 32, v11
	v_subrev_nc_u32_e32 v12, 28, v11
	v_sub_nc_u32_e32 v11, 29, v11
	v_lshlrev_b64 v[12:13], v12, v[1:2]
	v_and_b32_e32 v1, 7, v12
; %bb.47:                               ;   in Loop: Header=BB365_10 Depth=1
	s_or_b32 exec_lo, exec_lo, s41
	v_lshlrev_b32_e32 v12, 24, v0
	v_lshlrev_b32_e32 v1, 20, v1
	v_lshl_add_u32 v11, v11, 23, 0x3c000000
	v_and_b32_e32 v12, 0x80000000, v12
	v_or3_b32 v91, v1, v12, v11
.LBB365_48:                             ;   in Loop: Header=BB365_10 Depth=1
	s_or_b32 exec_lo, exec_lo, s40
.LBB365_49:                             ;   in Loop: Header=BB365_10 Depth=1
	s_or_b32 exec_lo, exec_lo, s39
.LBB365_50:                             ;   in Loop: Header=BB365_10 Depth=1
	s_or_b32 exec_lo, exec_lo, s3
	v_cmp_ne_u16_sdwa s2, v0, v2 src0_sel:BYTE_1 src1_sel:DWORD
	s_and_saveexec_b32 s3, s2
	s_cbranch_execz .LBB365_58
; %bb.51:                               ;   in Loop: Header=BB365_10 Depth=1
	v_cmp_ne_u16_sdwa s2, v0, v81 src0_sel:BYTE_1 src1_sel:DWORD
	v_bfrev_b32_e32 v92, 1
	s_and_saveexec_b32 s39, s2
	s_cbranch_execz .LBB365_57
; %bb.52:                               ;   in Loop: Header=BB365_10 Depth=1
	v_and_b32_sdwa v1, v82, v0 dst_sel:DWORD dst_unused:UNUSED_PAD src0_sel:DWORD src1_sel:BYTE_1
	v_mov_b32_e32 v92, 0x7f800001
	s_mov_b32 s40, exec_lo
	v_and_b32_e32 v12, 0x7f, v1
	v_cmpx_ne_u32_e32 0x7f, v12
	s_cbranch_execz .LBB365_56
; %bb.53:                               ;   in Loop: Header=BB365_10 Depth=1
	v_and_b32_e32 v1, 7, v1
	v_lshrrev_b32_e32 v11, 3, v12
	s_mov_b32 s41, exec_lo
	v_cmpx_gt_u32_e32 8, v12
; %bb.54:                               ;   in Loop: Header=BB365_10 Depth=1
	v_ffbh_u32_e32 v11, v1
	v_min_u32_e32 v11, 32, v11
	v_subrev_nc_u32_e32 v12, 28, v11
	v_sub_nc_u32_e32 v11, 29, v11
	v_lshlrev_b64 v[12:13], v12, v[1:2]
	v_and_b32_e32 v1, 7, v12
; %bb.55:                               ;   in Loop: Header=BB365_10 Depth=1
	s_or_b32 exec_lo, exec_lo, s41
	v_lshlrev_b32_e32 v12, 16, v0
	v_lshlrev_b32_e32 v1, 20, v1
	v_lshl_add_u32 v11, v11, 23, 0x3c000000
	v_and_b32_e32 v12, 0x80000000, v12
	v_or3_b32 v92, v1, v12, v11
.LBB365_56:                             ;   in Loop: Header=BB365_10 Depth=1
	s_or_b32 exec_lo, exec_lo, s40
.LBB365_57:                             ;   in Loop: Header=BB365_10 Depth=1
	s_or_b32 exec_lo, exec_lo, s39
.LBB365_58:                             ;   in Loop: Header=BB365_10 Depth=1
	s_or_b32 exec_lo, exec_lo, s3
	v_and_b32_sdwa v1, v0, v83 dst_sel:DWORD dst_unused:UNUSED_PAD src0_sel:WORD_1 src1_sel:DWORD
	v_mov_b32_e32 v93, 0
	v_mov_b32_e32 v94, 0
	s_mov_b32 s3, exec_lo
	v_cmpx_ne_u16_e32 0, v1
	s_cbranch_execz .LBB365_66
; %bb.59:                               ;   in Loop: Header=BB365_10 Depth=1
	v_bfrev_b32_e32 v94, 1
	s_mov_b32 s39, exec_lo
	v_cmpx_ne_u16_e32 0x80, v1
	s_cbranch_execz .LBB365_65
; %bb.60:                               ;   in Loop: Header=BB365_10 Depth=1
	v_bfe_u32 v12, v0, 16, 7
	v_mov_b32_e32 v94, 0x7f800001
	s_mov_b32 s40, exec_lo
	v_cmpx_ne_u32_e32 0x7f, v12
	s_cbranch_execz .LBB365_64
; %bb.61:                               ;   in Loop: Header=BB365_10 Depth=1
	v_and_b32_sdwa v1, v0, v84 dst_sel:DWORD dst_unused:UNUSED_PAD src0_sel:WORD_1 src1_sel:DWORD
	v_lshrrev_b32_e32 v11, 3, v12
	s_mov_b32 s41, exec_lo
	v_cmpx_gt_u32_e32 8, v12
; %bb.62:                               ;   in Loop: Header=BB365_10 Depth=1
	v_ffbh_u32_e32 v11, v1
	v_min_u32_e32 v11, 32, v11
	v_subrev_nc_u32_e32 v12, 28, v11
	v_sub_nc_u32_e32 v11, 29, v11
	v_lshlrev_b64 v[12:13], v12, v[1:2]
	v_and_b32_e32 v1, 7, v12
; %bb.63:                               ;   in Loop: Header=BB365_10 Depth=1
	s_or_b32 exec_lo, exec_lo, s41
	v_lshlrev_b32_sdwa v12, v85, v0 dst_sel:DWORD dst_unused:UNUSED_PAD src0_sel:DWORD src1_sel:WORD_1
	v_lshlrev_b32_e32 v1, 20, v1
	v_lshl_add_u32 v11, v11, 23, 0x3c000000
	v_and_b32_e32 v12, 0x80000000, v12
	v_or3_b32 v94, v1, v12, v11
.LBB365_64:                             ;   in Loop: Header=BB365_10 Depth=1
	s_or_b32 exec_lo, exec_lo, s40
.LBB365_65:                             ;   in Loop: Header=BB365_10 Depth=1
	s_or_b32 exec_lo, exec_lo, s39
.LBB365_66:                             ;   in Loop: Header=BB365_10 Depth=1
	s_or_b32 exec_lo, exec_lo, s3
	s_mov_b32 s3, exec_lo
	v_cmpx_lt_u32_e32 0xffffff, v0
	s_cbranch_execz .LBB365_74
; %bb.67:                               ;   in Loop: Header=BB365_10 Depth=1
	v_cmp_ne_u32_sdwa s2, v0, v81 src0_sel:BYTE_3 src1_sel:DWORD
	v_bfrev_b32_e32 v93, 1
	s_and_saveexec_b32 s39, s2
	s_cbranch_execz .LBB365_73
; %bb.68:                               ;   in Loop: Header=BB365_10 Depth=1
	v_bfe_u32 v12, v0, 24, 7
	v_mov_b32_e32 v93, 0x7f800001
	s_mov_b32 s40, exec_lo
	v_cmpx_ne_u32_e32 0x7f, v12
	s_cbranch_execz .LBB365_72
; %bb.69:                               ;   in Loop: Header=BB365_10 Depth=1
	v_and_b32_sdwa v1, v0, v84 dst_sel:DWORD dst_unused:UNUSED_PAD src0_sel:BYTE_3 src1_sel:DWORD
	v_lshrrev_b32_e32 v11, 3, v12
	s_mov_b32 s41, exec_lo
	v_cmpx_gt_u32_e32 8, v12
; %bb.70:                               ;   in Loop: Header=BB365_10 Depth=1
	v_ffbh_u32_e32 v11, v1
	v_min_u32_e32 v11, 32, v11
	v_subrev_nc_u32_e32 v12, 28, v11
	v_sub_nc_u32_e32 v11, 29, v11
	v_lshlrev_b64 v[12:13], v12, v[1:2]
	v_and_b32_e32 v1, 7, v12
; %bb.71:                               ;   in Loop: Header=BB365_10 Depth=1
	s_or_b32 exec_lo, exec_lo, s41
	v_lshlrev_b32_sdwa v0, v85, v0 dst_sel:DWORD dst_unused:UNUSED_PAD src0_sel:DWORD src1_sel:BYTE_3
	v_lshlrev_b32_e32 v1, 20, v1
	v_lshl_add_u32 v11, v11, 23, 0x3c000000
	v_and_b32_e32 v0, 0x80000000, v0
	v_or3_b32 v93, v1, v0, v11
.LBB365_72:                             ;   in Loop: Header=BB365_10 Depth=1
	s_or_b32 exec_lo, exec_lo, s40
.LBB365_73:                             ;   in Loop: Header=BB365_10 Depth=1
	s_or_b32 exec_lo, exec_lo, s39
.LBB365_74:                             ;   in Loop: Header=BB365_10 Depth=1
	s_or_b32 exec_lo, exec_lo, s3
	global_load_dword v0, v[7:8], off offset:256
	v_mov_b32_e32 v96, 0
	v_mov_b32_e32 v95, 0
	s_waitcnt vmcnt(0)
	v_cmp_ne_u16_sdwa s2, v0, v2 src0_sel:BYTE_0 src1_sel:DWORD
	s_and_saveexec_b32 s3, s2
	s_cbranch_execz .LBB365_82
; %bb.75:                               ;   in Loop: Header=BB365_10 Depth=1
	v_cmp_ne_u16_sdwa s2, v0, v81 src0_sel:BYTE_0 src1_sel:DWORD
	v_bfrev_b32_e32 v95, 1
	s_and_saveexec_b32 s39, s2
	s_cbranch_execz .LBB365_81
; %bb.76:                               ;   in Loop: Header=BB365_10 Depth=1
	v_and_b32_e32 v12, 0x7f, v0
	v_mov_b32_e32 v95, 0x7f800001
	s_mov_b32 s40, exec_lo
	v_cmpx_ne_u32_e32 0x7f, v12
	s_cbranch_execz .LBB365_80
; %bb.77:                               ;   in Loop: Header=BB365_10 Depth=1
	v_and_b32_e32 v1, 7, v0
	v_lshrrev_b32_e32 v11, 3, v12
	s_mov_b32 s41, exec_lo
	v_cmpx_gt_u32_e32 8, v12
; %bb.78:                               ;   in Loop: Header=BB365_10 Depth=1
	v_ffbh_u32_e32 v11, v1
	v_min_u32_e32 v11, 32, v11
	v_subrev_nc_u32_e32 v12, 28, v11
	v_sub_nc_u32_e32 v11, 29, v11
	v_lshlrev_b64 v[12:13], v12, v[1:2]
	v_and_b32_e32 v1, 7, v12
; %bb.79:                               ;   in Loop: Header=BB365_10 Depth=1
	s_or_b32 exec_lo, exec_lo, s41
	v_lshlrev_b32_e32 v12, 24, v0
	v_lshlrev_b32_e32 v1, 20, v1
	v_lshl_add_u32 v11, v11, 23, 0x3c000000
	v_and_b32_e32 v12, 0x80000000, v12
	v_or3_b32 v95, v1, v12, v11
.LBB365_80:                             ;   in Loop: Header=BB365_10 Depth=1
	s_or_b32 exec_lo, exec_lo, s40
.LBB365_81:                             ;   in Loop: Header=BB365_10 Depth=1
	s_or_b32 exec_lo, exec_lo, s39
.LBB365_82:                             ;   in Loop: Header=BB365_10 Depth=1
	s_or_b32 exec_lo, exec_lo, s3
	v_cmp_ne_u16_sdwa s2, v0, v2 src0_sel:BYTE_1 src1_sel:DWORD
	s_and_saveexec_b32 s3, s2
	s_cbranch_execz .LBB365_90
; %bb.83:                               ;   in Loop: Header=BB365_10 Depth=1
	v_cmp_ne_u16_sdwa s2, v0, v81 src0_sel:BYTE_1 src1_sel:DWORD
	v_bfrev_b32_e32 v96, 1
	s_and_saveexec_b32 s39, s2
	s_cbranch_execz .LBB365_89
; %bb.84:                               ;   in Loop: Header=BB365_10 Depth=1
	v_and_b32_sdwa v1, v82, v0 dst_sel:DWORD dst_unused:UNUSED_PAD src0_sel:DWORD src1_sel:BYTE_1
	v_mov_b32_e32 v96, 0x7f800001
	s_mov_b32 s40, exec_lo
	v_and_b32_e32 v12, 0x7f, v1
	v_cmpx_ne_u32_e32 0x7f, v12
	s_cbranch_execz .LBB365_88
; %bb.85:                               ;   in Loop: Header=BB365_10 Depth=1
	v_and_b32_e32 v1, 7, v1
	v_lshrrev_b32_e32 v11, 3, v12
	s_mov_b32 s41, exec_lo
	v_cmpx_gt_u32_e32 8, v12
; %bb.86:                               ;   in Loop: Header=BB365_10 Depth=1
	v_ffbh_u32_e32 v11, v1
	v_min_u32_e32 v11, 32, v11
	v_subrev_nc_u32_e32 v12, 28, v11
	v_sub_nc_u32_e32 v11, 29, v11
	v_lshlrev_b64 v[12:13], v12, v[1:2]
	v_and_b32_e32 v1, 7, v12
; %bb.87:                               ;   in Loop: Header=BB365_10 Depth=1
	s_or_b32 exec_lo, exec_lo, s41
	v_lshlrev_b32_e32 v12, 16, v0
	v_lshlrev_b32_e32 v1, 20, v1
	v_lshl_add_u32 v11, v11, 23, 0x3c000000
	v_and_b32_e32 v12, 0x80000000, v12
	v_or3_b32 v96, v1, v12, v11
.LBB365_88:                             ;   in Loop: Header=BB365_10 Depth=1
	s_or_b32 exec_lo, exec_lo, s40
.LBB365_89:                             ;   in Loop: Header=BB365_10 Depth=1
	s_or_b32 exec_lo, exec_lo, s39
.LBB365_90:                             ;   in Loop: Header=BB365_10 Depth=1
	s_or_b32 exec_lo, exec_lo, s3
	v_and_b32_sdwa v1, v0, v83 dst_sel:DWORD dst_unused:UNUSED_PAD src0_sel:WORD_1 src1_sel:DWORD
	v_mov_b32_e32 v97, 0
	v_mov_b32_e32 v98, 0
	s_mov_b32 s3, exec_lo
	v_cmpx_ne_u16_e32 0, v1
	s_cbranch_execz .LBB365_98
; %bb.91:                               ;   in Loop: Header=BB365_10 Depth=1
	v_bfrev_b32_e32 v98, 1
	s_mov_b32 s39, exec_lo
	v_cmpx_ne_u16_e32 0x80, v1
	s_cbranch_execz .LBB365_97
; %bb.92:                               ;   in Loop: Header=BB365_10 Depth=1
	v_bfe_u32 v12, v0, 16, 7
	v_mov_b32_e32 v98, 0x7f800001
	s_mov_b32 s40, exec_lo
	v_cmpx_ne_u32_e32 0x7f, v12
	s_cbranch_execz .LBB365_96
; %bb.93:                               ;   in Loop: Header=BB365_10 Depth=1
	v_and_b32_sdwa v1, v0, v84 dst_sel:DWORD dst_unused:UNUSED_PAD src0_sel:WORD_1 src1_sel:DWORD
	v_lshrrev_b32_e32 v11, 3, v12
	s_mov_b32 s41, exec_lo
	v_cmpx_gt_u32_e32 8, v12
; %bb.94:                               ;   in Loop: Header=BB365_10 Depth=1
	v_ffbh_u32_e32 v11, v1
	v_min_u32_e32 v11, 32, v11
	v_subrev_nc_u32_e32 v12, 28, v11
	v_sub_nc_u32_e32 v11, 29, v11
	v_lshlrev_b64 v[12:13], v12, v[1:2]
	v_and_b32_e32 v1, 7, v12
; %bb.95:                               ;   in Loop: Header=BB365_10 Depth=1
	s_or_b32 exec_lo, exec_lo, s41
	v_lshlrev_b32_sdwa v12, v85, v0 dst_sel:DWORD dst_unused:UNUSED_PAD src0_sel:DWORD src1_sel:WORD_1
	v_lshlrev_b32_e32 v1, 20, v1
	v_lshl_add_u32 v11, v11, 23, 0x3c000000
	v_and_b32_e32 v12, 0x80000000, v12
	v_or3_b32 v98, v1, v12, v11
.LBB365_96:                             ;   in Loop: Header=BB365_10 Depth=1
	s_or_b32 exec_lo, exec_lo, s40
.LBB365_97:                             ;   in Loop: Header=BB365_10 Depth=1
	s_or_b32 exec_lo, exec_lo, s39
.LBB365_98:                             ;   in Loop: Header=BB365_10 Depth=1
	s_or_b32 exec_lo, exec_lo, s3
	s_mov_b32 s3, exec_lo
	v_cmpx_lt_u32_e32 0xffffff, v0
	s_cbranch_execz .LBB365_106
; %bb.99:                               ;   in Loop: Header=BB365_10 Depth=1
	v_cmp_ne_u32_sdwa s2, v0, v81 src0_sel:BYTE_3 src1_sel:DWORD
	v_bfrev_b32_e32 v97, 1
	s_and_saveexec_b32 s39, s2
	s_cbranch_execz .LBB365_105
; %bb.100:                              ;   in Loop: Header=BB365_10 Depth=1
	v_bfe_u32 v12, v0, 24, 7
	v_mov_b32_e32 v97, 0x7f800001
	s_mov_b32 s40, exec_lo
	v_cmpx_ne_u32_e32 0x7f, v12
	s_cbranch_execz .LBB365_104
; %bb.101:                              ;   in Loop: Header=BB365_10 Depth=1
	v_and_b32_sdwa v1, v0, v84 dst_sel:DWORD dst_unused:UNUSED_PAD src0_sel:BYTE_3 src1_sel:DWORD
	v_lshrrev_b32_e32 v11, 3, v12
	s_mov_b32 s41, exec_lo
	v_cmpx_gt_u32_e32 8, v12
; %bb.102:                              ;   in Loop: Header=BB365_10 Depth=1
	v_ffbh_u32_e32 v11, v1
	v_min_u32_e32 v11, 32, v11
	v_subrev_nc_u32_e32 v12, 28, v11
	v_sub_nc_u32_e32 v11, 29, v11
	v_lshlrev_b64 v[12:13], v12, v[1:2]
	v_and_b32_e32 v1, 7, v12
; %bb.103:                              ;   in Loop: Header=BB365_10 Depth=1
	s_or_b32 exec_lo, exec_lo, s41
	v_lshlrev_b32_sdwa v0, v85, v0 dst_sel:DWORD dst_unused:UNUSED_PAD src0_sel:DWORD src1_sel:BYTE_3
	v_lshlrev_b32_e32 v1, 20, v1
	v_lshl_add_u32 v11, v11, 23, 0x3c000000
	v_and_b32_e32 v0, 0x80000000, v0
	v_or3_b32 v97, v1, v0, v11
.LBB365_104:                            ;   in Loop: Header=BB365_10 Depth=1
	s_or_b32 exec_lo, exec_lo, s40
.LBB365_105:                            ;   in Loop: Header=BB365_10 Depth=1
	s_or_b32 exec_lo, exec_lo, s39
.LBB365_106:                            ;   in Loop: Header=BB365_10 Depth=1
	s_or_b32 exec_lo, exec_lo, s3
	global_load_dword v0, v[7:8], off offset:264
	v_mov_b32_e32 v100, 0
	v_mov_b32_e32 v99, 0
	s_waitcnt vmcnt(0)
	v_cmp_ne_u16_sdwa s2, v0, v2 src0_sel:BYTE_0 src1_sel:DWORD
	s_and_saveexec_b32 s3, s2
	s_cbranch_execz .LBB365_114
; %bb.107:                              ;   in Loop: Header=BB365_10 Depth=1
	v_cmp_ne_u16_sdwa s2, v0, v81 src0_sel:BYTE_0 src1_sel:DWORD
	v_bfrev_b32_e32 v99, 1
	s_and_saveexec_b32 s39, s2
	s_cbranch_execz .LBB365_113
; %bb.108:                              ;   in Loop: Header=BB365_10 Depth=1
	v_and_b32_e32 v12, 0x7f, v0
	v_mov_b32_e32 v99, 0x7f800001
	s_mov_b32 s40, exec_lo
	v_cmpx_ne_u32_e32 0x7f, v12
	s_cbranch_execz .LBB365_112
; %bb.109:                              ;   in Loop: Header=BB365_10 Depth=1
	v_and_b32_e32 v1, 7, v0
	v_lshrrev_b32_e32 v11, 3, v12
	s_mov_b32 s41, exec_lo
	v_cmpx_gt_u32_e32 8, v12
; %bb.110:                              ;   in Loop: Header=BB365_10 Depth=1
	v_ffbh_u32_e32 v11, v1
	v_min_u32_e32 v11, 32, v11
	v_subrev_nc_u32_e32 v12, 28, v11
	v_sub_nc_u32_e32 v11, 29, v11
	v_lshlrev_b64 v[12:13], v12, v[1:2]
	v_and_b32_e32 v1, 7, v12
; %bb.111:                              ;   in Loop: Header=BB365_10 Depth=1
	s_or_b32 exec_lo, exec_lo, s41
	v_lshlrev_b32_e32 v12, 24, v0
	v_lshlrev_b32_e32 v1, 20, v1
	v_lshl_add_u32 v11, v11, 23, 0x3c000000
	v_and_b32_e32 v12, 0x80000000, v12
	v_or3_b32 v99, v1, v12, v11
.LBB365_112:                            ;   in Loop: Header=BB365_10 Depth=1
	s_or_b32 exec_lo, exec_lo, s40
.LBB365_113:                            ;   in Loop: Header=BB365_10 Depth=1
	s_or_b32 exec_lo, exec_lo, s39
.LBB365_114:                            ;   in Loop: Header=BB365_10 Depth=1
	s_or_b32 exec_lo, exec_lo, s3
	v_cmp_ne_u16_sdwa s2, v0, v2 src0_sel:BYTE_1 src1_sel:DWORD
	s_and_saveexec_b32 s3, s2
	s_cbranch_execz .LBB365_122
; %bb.115:                              ;   in Loop: Header=BB365_10 Depth=1
	v_cmp_ne_u16_sdwa s2, v0, v81 src0_sel:BYTE_1 src1_sel:DWORD
	v_bfrev_b32_e32 v100, 1
	s_and_saveexec_b32 s39, s2
	s_cbranch_execz .LBB365_121
; %bb.116:                              ;   in Loop: Header=BB365_10 Depth=1
	v_and_b32_sdwa v1, v82, v0 dst_sel:DWORD dst_unused:UNUSED_PAD src0_sel:DWORD src1_sel:BYTE_1
	v_mov_b32_e32 v100, 0x7f800001
	s_mov_b32 s40, exec_lo
	v_and_b32_e32 v12, 0x7f, v1
	v_cmpx_ne_u32_e32 0x7f, v12
	s_cbranch_execz .LBB365_120
; %bb.117:                              ;   in Loop: Header=BB365_10 Depth=1
	v_and_b32_e32 v1, 7, v1
	v_lshrrev_b32_e32 v11, 3, v12
	s_mov_b32 s41, exec_lo
	v_cmpx_gt_u32_e32 8, v12
; %bb.118:                              ;   in Loop: Header=BB365_10 Depth=1
	v_ffbh_u32_e32 v11, v1
	v_min_u32_e32 v11, 32, v11
	v_subrev_nc_u32_e32 v12, 28, v11
	v_sub_nc_u32_e32 v11, 29, v11
	v_lshlrev_b64 v[12:13], v12, v[1:2]
	v_and_b32_e32 v1, 7, v12
; %bb.119:                              ;   in Loop: Header=BB365_10 Depth=1
	s_or_b32 exec_lo, exec_lo, s41
	v_lshlrev_b32_e32 v12, 16, v0
	v_lshlrev_b32_e32 v1, 20, v1
	v_lshl_add_u32 v11, v11, 23, 0x3c000000
	v_and_b32_e32 v12, 0x80000000, v12
	v_or3_b32 v100, v1, v12, v11
.LBB365_120:                            ;   in Loop: Header=BB365_10 Depth=1
	s_or_b32 exec_lo, exec_lo, s40
.LBB365_121:                            ;   in Loop: Header=BB365_10 Depth=1
	s_or_b32 exec_lo, exec_lo, s39
.LBB365_122:                            ;   in Loop: Header=BB365_10 Depth=1
	s_or_b32 exec_lo, exec_lo, s3
	v_and_b32_sdwa v1, v0, v83 dst_sel:DWORD dst_unused:UNUSED_PAD src0_sel:WORD_1 src1_sel:DWORD
	v_mov_b32_e32 v101, 0
	v_mov_b32_e32 v102, 0
	s_mov_b32 s3, exec_lo
	v_cmpx_ne_u16_e32 0, v1
	s_cbranch_execz .LBB365_130
; %bb.123:                              ;   in Loop: Header=BB365_10 Depth=1
	v_bfrev_b32_e32 v102, 1
	s_mov_b32 s39, exec_lo
	v_cmpx_ne_u16_e32 0x80, v1
	s_cbranch_execz .LBB365_129
; %bb.124:                              ;   in Loop: Header=BB365_10 Depth=1
	v_bfe_u32 v12, v0, 16, 7
	v_mov_b32_e32 v102, 0x7f800001
	s_mov_b32 s40, exec_lo
	v_cmpx_ne_u32_e32 0x7f, v12
	s_cbranch_execz .LBB365_128
; %bb.125:                              ;   in Loop: Header=BB365_10 Depth=1
	v_and_b32_sdwa v1, v0, v84 dst_sel:DWORD dst_unused:UNUSED_PAD src0_sel:WORD_1 src1_sel:DWORD
	v_lshrrev_b32_e32 v11, 3, v12
	s_mov_b32 s41, exec_lo
	v_cmpx_gt_u32_e32 8, v12
; %bb.126:                              ;   in Loop: Header=BB365_10 Depth=1
	v_ffbh_u32_e32 v11, v1
	v_min_u32_e32 v11, 32, v11
	v_subrev_nc_u32_e32 v12, 28, v11
	v_sub_nc_u32_e32 v11, 29, v11
	v_lshlrev_b64 v[12:13], v12, v[1:2]
	v_and_b32_e32 v1, 7, v12
; %bb.127:                              ;   in Loop: Header=BB365_10 Depth=1
	s_or_b32 exec_lo, exec_lo, s41
	v_lshlrev_b32_sdwa v12, v85, v0 dst_sel:DWORD dst_unused:UNUSED_PAD src0_sel:DWORD src1_sel:WORD_1
	v_lshlrev_b32_e32 v1, 20, v1
	v_lshl_add_u32 v11, v11, 23, 0x3c000000
	v_and_b32_e32 v12, 0x80000000, v12
	v_or3_b32 v102, v1, v12, v11
.LBB365_128:                            ;   in Loop: Header=BB365_10 Depth=1
	s_or_b32 exec_lo, exec_lo, s40
.LBB365_129:                            ;   in Loop: Header=BB365_10 Depth=1
	s_or_b32 exec_lo, exec_lo, s39
.LBB365_130:                            ;   in Loop: Header=BB365_10 Depth=1
	s_or_b32 exec_lo, exec_lo, s3
	s_mov_b32 s3, exec_lo
	v_cmpx_lt_u32_e32 0xffffff, v0
	s_cbranch_execz .LBB365_138
; %bb.131:                              ;   in Loop: Header=BB365_10 Depth=1
	v_cmp_ne_u32_sdwa s2, v0, v81 src0_sel:BYTE_3 src1_sel:DWORD
	v_bfrev_b32_e32 v101, 1
	s_and_saveexec_b32 s39, s2
	s_cbranch_execz .LBB365_137
; %bb.132:                              ;   in Loop: Header=BB365_10 Depth=1
	v_bfe_u32 v12, v0, 24, 7
	v_mov_b32_e32 v101, 0x7f800001
	s_mov_b32 s40, exec_lo
	v_cmpx_ne_u32_e32 0x7f, v12
	s_cbranch_execz .LBB365_136
; %bb.133:                              ;   in Loop: Header=BB365_10 Depth=1
	v_and_b32_sdwa v1, v0, v84 dst_sel:DWORD dst_unused:UNUSED_PAD src0_sel:BYTE_3 src1_sel:DWORD
	v_lshrrev_b32_e32 v11, 3, v12
	s_mov_b32 s41, exec_lo
	v_cmpx_gt_u32_e32 8, v12
; %bb.134:                              ;   in Loop: Header=BB365_10 Depth=1
	v_ffbh_u32_e32 v11, v1
	v_min_u32_e32 v11, 32, v11
	v_subrev_nc_u32_e32 v12, 28, v11
	v_sub_nc_u32_e32 v11, 29, v11
	v_lshlrev_b64 v[12:13], v12, v[1:2]
	v_and_b32_e32 v1, 7, v12
; %bb.135:                              ;   in Loop: Header=BB365_10 Depth=1
	s_or_b32 exec_lo, exec_lo, s41
	v_lshlrev_b32_sdwa v0, v85, v0 dst_sel:DWORD dst_unused:UNUSED_PAD src0_sel:DWORD src1_sel:BYTE_3
	v_lshlrev_b32_e32 v1, 20, v1
	v_lshl_add_u32 v11, v11, 23, 0x3c000000
	v_and_b32_e32 v0, 0x80000000, v0
	v_or3_b32 v101, v1, v0, v11
.LBB365_136:                            ;   in Loop: Header=BB365_10 Depth=1
	s_or_b32 exec_lo, exec_lo, s40
.LBB365_137:                            ;   in Loop: Header=BB365_10 Depth=1
	s_or_b32 exec_lo, exec_lo, s39
.LBB365_138:                            ;   in Loop: Header=BB365_10 Depth=1
	s_or_b32 exec_lo, exec_lo, s3
	global_load_dword v0, v[7:8], off offset:512
	v_mov_b32_e32 v104, 0
	v_mov_b32_e32 v103, 0
	s_waitcnt vmcnt(0)
	v_cmp_ne_u16_sdwa s2, v0, v2 src0_sel:BYTE_0 src1_sel:DWORD
	s_and_saveexec_b32 s3, s2
	s_cbranch_execz .LBB365_146
; %bb.139:                              ;   in Loop: Header=BB365_10 Depth=1
	v_cmp_ne_u16_sdwa s2, v0, v81 src0_sel:BYTE_0 src1_sel:DWORD
	v_bfrev_b32_e32 v103, 1
	s_and_saveexec_b32 s39, s2
	s_cbranch_execz .LBB365_145
; %bb.140:                              ;   in Loop: Header=BB365_10 Depth=1
	v_and_b32_e32 v12, 0x7f, v0
	v_mov_b32_e32 v103, 0x7f800001
	s_mov_b32 s40, exec_lo
	v_cmpx_ne_u32_e32 0x7f, v12
	s_cbranch_execz .LBB365_144
; %bb.141:                              ;   in Loop: Header=BB365_10 Depth=1
	v_and_b32_e32 v1, 7, v0
	v_lshrrev_b32_e32 v11, 3, v12
	s_mov_b32 s41, exec_lo
	v_cmpx_gt_u32_e32 8, v12
; %bb.142:                              ;   in Loop: Header=BB365_10 Depth=1
	v_ffbh_u32_e32 v11, v1
	v_min_u32_e32 v11, 32, v11
	v_subrev_nc_u32_e32 v12, 28, v11
	v_sub_nc_u32_e32 v11, 29, v11
	v_lshlrev_b64 v[12:13], v12, v[1:2]
	v_and_b32_e32 v1, 7, v12
; %bb.143:                              ;   in Loop: Header=BB365_10 Depth=1
	s_or_b32 exec_lo, exec_lo, s41
	v_lshlrev_b32_e32 v12, 24, v0
	v_lshlrev_b32_e32 v1, 20, v1
	v_lshl_add_u32 v11, v11, 23, 0x3c000000
	v_and_b32_e32 v12, 0x80000000, v12
	v_or3_b32 v103, v1, v12, v11
.LBB365_144:                            ;   in Loop: Header=BB365_10 Depth=1
	s_or_b32 exec_lo, exec_lo, s40
.LBB365_145:                            ;   in Loop: Header=BB365_10 Depth=1
	s_or_b32 exec_lo, exec_lo, s39
.LBB365_146:                            ;   in Loop: Header=BB365_10 Depth=1
	s_or_b32 exec_lo, exec_lo, s3
	v_cmp_ne_u16_sdwa s2, v0, v2 src0_sel:BYTE_1 src1_sel:DWORD
	s_and_saveexec_b32 s3, s2
	s_cbranch_execz .LBB365_154
; %bb.147:                              ;   in Loop: Header=BB365_10 Depth=1
	v_cmp_ne_u16_sdwa s2, v0, v81 src0_sel:BYTE_1 src1_sel:DWORD
	v_bfrev_b32_e32 v104, 1
	s_and_saveexec_b32 s39, s2
	s_cbranch_execz .LBB365_153
; %bb.148:                              ;   in Loop: Header=BB365_10 Depth=1
	v_and_b32_sdwa v1, v82, v0 dst_sel:DWORD dst_unused:UNUSED_PAD src0_sel:DWORD src1_sel:BYTE_1
	v_mov_b32_e32 v104, 0x7f800001
	s_mov_b32 s40, exec_lo
	v_and_b32_e32 v12, 0x7f, v1
	v_cmpx_ne_u32_e32 0x7f, v12
	s_cbranch_execz .LBB365_152
; %bb.149:                              ;   in Loop: Header=BB365_10 Depth=1
	v_and_b32_e32 v1, 7, v1
	v_lshrrev_b32_e32 v11, 3, v12
	s_mov_b32 s41, exec_lo
	v_cmpx_gt_u32_e32 8, v12
; %bb.150:                              ;   in Loop: Header=BB365_10 Depth=1
	v_ffbh_u32_e32 v11, v1
	v_min_u32_e32 v11, 32, v11
	v_subrev_nc_u32_e32 v12, 28, v11
	v_sub_nc_u32_e32 v11, 29, v11
	v_lshlrev_b64 v[12:13], v12, v[1:2]
	v_and_b32_e32 v1, 7, v12
; %bb.151:                              ;   in Loop: Header=BB365_10 Depth=1
	s_or_b32 exec_lo, exec_lo, s41
	v_lshlrev_b32_e32 v12, 16, v0
	v_lshlrev_b32_e32 v1, 20, v1
	v_lshl_add_u32 v11, v11, 23, 0x3c000000
	v_and_b32_e32 v12, 0x80000000, v12
	v_or3_b32 v104, v1, v12, v11
.LBB365_152:                            ;   in Loop: Header=BB365_10 Depth=1
	s_or_b32 exec_lo, exec_lo, s40
.LBB365_153:                            ;   in Loop: Header=BB365_10 Depth=1
	s_or_b32 exec_lo, exec_lo, s39
.LBB365_154:                            ;   in Loop: Header=BB365_10 Depth=1
	s_or_b32 exec_lo, exec_lo, s3
	v_and_b32_sdwa v1, v0, v83 dst_sel:DWORD dst_unused:UNUSED_PAD src0_sel:WORD_1 src1_sel:DWORD
	v_mov_b32_e32 v105, 0
	v_mov_b32_e32 v106, 0
	s_mov_b32 s3, exec_lo
	v_cmpx_ne_u16_e32 0, v1
	s_cbranch_execz .LBB365_162
; %bb.155:                              ;   in Loop: Header=BB365_10 Depth=1
	v_bfrev_b32_e32 v106, 1
	s_mov_b32 s39, exec_lo
	v_cmpx_ne_u16_e32 0x80, v1
	s_cbranch_execz .LBB365_161
; %bb.156:                              ;   in Loop: Header=BB365_10 Depth=1
	v_bfe_u32 v12, v0, 16, 7
	v_mov_b32_e32 v106, 0x7f800001
	s_mov_b32 s40, exec_lo
	v_cmpx_ne_u32_e32 0x7f, v12
	s_cbranch_execz .LBB365_160
; %bb.157:                              ;   in Loop: Header=BB365_10 Depth=1
	v_and_b32_sdwa v1, v0, v84 dst_sel:DWORD dst_unused:UNUSED_PAD src0_sel:WORD_1 src1_sel:DWORD
	v_lshrrev_b32_e32 v11, 3, v12
	s_mov_b32 s41, exec_lo
	v_cmpx_gt_u32_e32 8, v12
; %bb.158:                              ;   in Loop: Header=BB365_10 Depth=1
	v_ffbh_u32_e32 v11, v1
	v_min_u32_e32 v11, 32, v11
	v_subrev_nc_u32_e32 v12, 28, v11
	v_sub_nc_u32_e32 v11, 29, v11
	v_lshlrev_b64 v[12:13], v12, v[1:2]
	v_and_b32_e32 v1, 7, v12
; %bb.159:                              ;   in Loop: Header=BB365_10 Depth=1
	s_or_b32 exec_lo, exec_lo, s41
	v_lshlrev_b32_sdwa v12, v85, v0 dst_sel:DWORD dst_unused:UNUSED_PAD src0_sel:DWORD src1_sel:WORD_1
	v_lshlrev_b32_e32 v1, 20, v1
	v_lshl_add_u32 v11, v11, 23, 0x3c000000
	v_and_b32_e32 v12, 0x80000000, v12
	v_or3_b32 v106, v1, v12, v11
.LBB365_160:                            ;   in Loop: Header=BB365_10 Depth=1
	s_or_b32 exec_lo, exec_lo, s40
.LBB365_161:                            ;   in Loop: Header=BB365_10 Depth=1
	s_or_b32 exec_lo, exec_lo, s39
.LBB365_162:                            ;   in Loop: Header=BB365_10 Depth=1
	s_or_b32 exec_lo, exec_lo, s3
	s_mov_b32 s3, exec_lo
	v_cmpx_lt_u32_e32 0xffffff, v0
	s_cbranch_execz .LBB365_170
; %bb.163:                              ;   in Loop: Header=BB365_10 Depth=1
	v_cmp_ne_u32_sdwa s2, v0, v81 src0_sel:BYTE_3 src1_sel:DWORD
	v_bfrev_b32_e32 v105, 1
	s_and_saveexec_b32 s39, s2
	s_cbranch_execz .LBB365_169
; %bb.164:                              ;   in Loop: Header=BB365_10 Depth=1
	v_bfe_u32 v12, v0, 24, 7
	v_mov_b32_e32 v105, 0x7f800001
	s_mov_b32 s40, exec_lo
	v_cmpx_ne_u32_e32 0x7f, v12
	s_cbranch_execz .LBB365_168
; %bb.165:                              ;   in Loop: Header=BB365_10 Depth=1
	v_and_b32_sdwa v1, v0, v84 dst_sel:DWORD dst_unused:UNUSED_PAD src0_sel:BYTE_3 src1_sel:DWORD
	v_lshrrev_b32_e32 v11, 3, v12
	s_mov_b32 s41, exec_lo
	v_cmpx_gt_u32_e32 8, v12
; %bb.166:                              ;   in Loop: Header=BB365_10 Depth=1
	v_ffbh_u32_e32 v11, v1
	v_min_u32_e32 v11, 32, v11
	v_subrev_nc_u32_e32 v12, 28, v11
	v_sub_nc_u32_e32 v11, 29, v11
	v_lshlrev_b64 v[12:13], v12, v[1:2]
	v_and_b32_e32 v1, 7, v12
; %bb.167:                              ;   in Loop: Header=BB365_10 Depth=1
	s_or_b32 exec_lo, exec_lo, s41
	v_lshlrev_b32_sdwa v0, v85, v0 dst_sel:DWORD dst_unused:UNUSED_PAD src0_sel:DWORD src1_sel:BYTE_3
	v_lshlrev_b32_e32 v1, 20, v1
	v_lshl_add_u32 v11, v11, 23, 0x3c000000
	v_and_b32_e32 v0, 0x80000000, v0
	v_or3_b32 v105, v1, v0, v11
.LBB365_168:                            ;   in Loop: Header=BB365_10 Depth=1
	s_or_b32 exec_lo, exec_lo, s40
.LBB365_169:                            ;   in Loop: Header=BB365_10 Depth=1
	s_or_b32 exec_lo, exec_lo, s39
.LBB365_170:                            ;   in Loop: Header=BB365_10 Depth=1
	s_or_b32 exec_lo, exec_lo, s3
	global_load_dword v0, v[7:8], off offset:520
	v_mov_b32_e32 v108, 0
	v_mov_b32_e32 v107, 0
	s_waitcnt vmcnt(0)
	v_cmp_ne_u16_sdwa s2, v0, v2 src0_sel:BYTE_0 src1_sel:DWORD
	s_and_saveexec_b32 s3, s2
	s_cbranch_execz .LBB365_178
; %bb.171:                              ;   in Loop: Header=BB365_10 Depth=1
	v_cmp_ne_u16_sdwa s2, v0, v81 src0_sel:BYTE_0 src1_sel:DWORD
	v_bfrev_b32_e32 v107, 1
	s_and_saveexec_b32 s39, s2
	s_cbranch_execz .LBB365_177
; %bb.172:                              ;   in Loop: Header=BB365_10 Depth=1
	v_and_b32_e32 v12, 0x7f, v0
	v_mov_b32_e32 v107, 0x7f800001
	s_mov_b32 s40, exec_lo
	v_cmpx_ne_u32_e32 0x7f, v12
	s_cbranch_execz .LBB365_176
; %bb.173:                              ;   in Loop: Header=BB365_10 Depth=1
	v_and_b32_e32 v1, 7, v0
	v_lshrrev_b32_e32 v11, 3, v12
	s_mov_b32 s41, exec_lo
	v_cmpx_gt_u32_e32 8, v12
; %bb.174:                              ;   in Loop: Header=BB365_10 Depth=1
	v_ffbh_u32_e32 v11, v1
	v_min_u32_e32 v11, 32, v11
	v_subrev_nc_u32_e32 v12, 28, v11
	v_sub_nc_u32_e32 v11, 29, v11
	v_lshlrev_b64 v[12:13], v12, v[1:2]
	v_and_b32_e32 v1, 7, v12
; %bb.175:                              ;   in Loop: Header=BB365_10 Depth=1
	s_or_b32 exec_lo, exec_lo, s41
	v_lshlrev_b32_e32 v12, 24, v0
	v_lshlrev_b32_e32 v1, 20, v1
	v_lshl_add_u32 v11, v11, 23, 0x3c000000
	v_and_b32_e32 v12, 0x80000000, v12
	v_or3_b32 v107, v1, v12, v11
.LBB365_176:                            ;   in Loop: Header=BB365_10 Depth=1
	s_or_b32 exec_lo, exec_lo, s40
.LBB365_177:                            ;   in Loop: Header=BB365_10 Depth=1
	s_or_b32 exec_lo, exec_lo, s39
.LBB365_178:                            ;   in Loop: Header=BB365_10 Depth=1
	s_or_b32 exec_lo, exec_lo, s3
	v_cmp_ne_u16_sdwa s2, v0, v2 src0_sel:BYTE_1 src1_sel:DWORD
	s_and_saveexec_b32 s3, s2
	s_cbranch_execz .LBB365_186
; %bb.179:                              ;   in Loop: Header=BB365_10 Depth=1
	v_cmp_ne_u16_sdwa s2, v0, v81 src0_sel:BYTE_1 src1_sel:DWORD
	v_bfrev_b32_e32 v108, 1
	s_and_saveexec_b32 s39, s2
	s_cbranch_execz .LBB365_185
; %bb.180:                              ;   in Loop: Header=BB365_10 Depth=1
	v_and_b32_sdwa v1, v82, v0 dst_sel:DWORD dst_unused:UNUSED_PAD src0_sel:DWORD src1_sel:BYTE_1
	v_mov_b32_e32 v108, 0x7f800001
	s_mov_b32 s40, exec_lo
	v_and_b32_e32 v12, 0x7f, v1
	v_cmpx_ne_u32_e32 0x7f, v12
	s_cbranch_execz .LBB365_184
; %bb.181:                              ;   in Loop: Header=BB365_10 Depth=1
	v_and_b32_e32 v1, 7, v1
	v_lshrrev_b32_e32 v11, 3, v12
	s_mov_b32 s41, exec_lo
	v_cmpx_gt_u32_e32 8, v12
; %bb.182:                              ;   in Loop: Header=BB365_10 Depth=1
	v_ffbh_u32_e32 v11, v1
	v_min_u32_e32 v11, 32, v11
	v_subrev_nc_u32_e32 v12, 28, v11
	v_sub_nc_u32_e32 v11, 29, v11
	v_lshlrev_b64 v[12:13], v12, v[1:2]
	v_and_b32_e32 v1, 7, v12
; %bb.183:                              ;   in Loop: Header=BB365_10 Depth=1
	s_or_b32 exec_lo, exec_lo, s41
	v_lshlrev_b32_e32 v12, 16, v0
	v_lshlrev_b32_e32 v1, 20, v1
	v_lshl_add_u32 v11, v11, 23, 0x3c000000
	v_and_b32_e32 v12, 0x80000000, v12
	v_or3_b32 v108, v1, v12, v11
.LBB365_184:                            ;   in Loop: Header=BB365_10 Depth=1
	s_or_b32 exec_lo, exec_lo, s40
.LBB365_185:                            ;   in Loop: Header=BB365_10 Depth=1
	s_or_b32 exec_lo, exec_lo, s39
.LBB365_186:                            ;   in Loop: Header=BB365_10 Depth=1
	s_or_b32 exec_lo, exec_lo, s3
	v_and_b32_sdwa v1, v0, v83 dst_sel:DWORD dst_unused:UNUSED_PAD src0_sel:WORD_1 src1_sel:DWORD
	v_mov_b32_e32 v109, 0
	v_mov_b32_e32 v110, 0
	s_mov_b32 s3, exec_lo
	v_cmpx_ne_u16_e32 0, v1
	s_cbranch_execz .LBB365_194
; %bb.187:                              ;   in Loop: Header=BB365_10 Depth=1
	v_bfrev_b32_e32 v110, 1
	s_mov_b32 s39, exec_lo
	v_cmpx_ne_u16_e32 0x80, v1
	s_cbranch_execz .LBB365_193
; %bb.188:                              ;   in Loop: Header=BB365_10 Depth=1
	v_bfe_u32 v12, v0, 16, 7
	v_mov_b32_e32 v110, 0x7f800001
	s_mov_b32 s40, exec_lo
	v_cmpx_ne_u32_e32 0x7f, v12
	s_cbranch_execz .LBB365_192
; %bb.189:                              ;   in Loop: Header=BB365_10 Depth=1
	v_and_b32_sdwa v1, v0, v84 dst_sel:DWORD dst_unused:UNUSED_PAD src0_sel:WORD_1 src1_sel:DWORD
	v_lshrrev_b32_e32 v11, 3, v12
	s_mov_b32 s41, exec_lo
	v_cmpx_gt_u32_e32 8, v12
; %bb.190:                              ;   in Loop: Header=BB365_10 Depth=1
	v_ffbh_u32_e32 v11, v1
	v_min_u32_e32 v11, 32, v11
	v_subrev_nc_u32_e32 v12, 28, v11
	v_sub_nc_u32_e32 v11, 29, v11
	v_lshlrev_b64 v[12:13], v12, v[1:2]
	v_and_b32_e32 v1, 7, v12
; %bb.191:                              ;   in Loop: Header=BB365_10 Depth=1
	s_or_b32 exec_lo, exec_lo, s41
	v_lshlrev_b32_sdwa v12, v85, v0 dst_sel:DWORD dst_unused:UNUSED_PAD src0_sel:DWORD src1_sel:WORD_1
	v_lshlrev_b32_e32 v1, 20, v1
	v_lshl_add_u32 v11, v11, 23, 0x3c000000
	v_and_b32_e32 v12, 0x80000000, v12
	v_or3_b32 v110, v1, v12, v11
.LBB365_192:                            ;   in Loop: Header=BB365_10 Depth=1
	s_or_b32 exec_lo, exec_lo, s40
.LBB365_193:                            ;   in Loop: Header=BB365_10 Depth=1
	s_or_b32 exec_lo, exec_lo, s39
.LBB365_194:                            ;   in Loop: Header=BB365_10 Depth=1
	s_or_b32 exec_lo, exec_lo, s3
	s_mov_b32 s3, exec_lo
	v_cmpx_lt_u32_e32 0xffffff, v0
	s_cbranch_execz .LBB365_202
; %bb.195:                              ;   in Loop: Header=BB365_10 Depth=1
	v_cmp_ne_u32_sdwa s2, v0, v81 src0_sel:BYTE_3 src1_sel:DWORD
	v_bfrev_b32_e32 v109, 1
	s_and_saveexec_b32 s39, s2
	s_cbranch_execz .LBB365_201
; %bb.196:                              ;   in Loop: Header=BB365_10 Depth=1
	v_bfe_u32 v12, v0, 24, 7
	v_mov_b32_e32 v109, 0x7f800001
	s_mov_b32 s40, exec_lo
	v_cmpx_ne_u32_e32 0x7f, v12
	s_cbranch_execz .LBB365_200
; %bb.197:                              ;   in Loop: Header=BB365_10 Depth=1
	v_and_b32_sdwa v1, v0, v84 dst_sel:DWORD dst_unused:UNUSED_PAD src0_sel:BYTE_3 src1_sel:DWORD
	v_lshrrev_b32_e32 v11, 3, v12
	s_mov_b32 s41, exec_lo
	v_cmpx_gt_u32_e32 8, v12
; %bb.198:                              ;   in Loop: Header=BB365_10 Depth=1
	v_ffbh_u32_e32 v11, v1
	v_min_u32_e32 v11, 32, v11
	v_subrev_nc_u32_e32 v12, 28, v11
	v_sub_nc_u32_e32 v11, 29, v11
	v_lshlrev_b64 v[12:13], v12, v[1:2]
	v_and_b32_e32 v1, 7, v12
; %bb.199:                              ;   in Loop: Header=BB365_10 Depth=1
	s_or_b32 exec_lo, exec_lo, s41
	v_lshlrev_b32_sdwa v0, v85, v0 dst_sel:DWORD dst_unused:UNUSED_PAD src0_sel:DWORD src1_sel:BYTE_3
	v_lshlrev_b32_e32 v1, 20, v1
	v_lshl_add_u32 v11, v11, 23, 0x3c000000
	v_and_b32_e32 v0, 0x80000000, v0
	v_or3_b32 v109, v1, v0, v11
.LBB365_200:                            ;   in Loop: Header=BB365_10 Depth=1
	s_or_b32 exec_lo, exec_lo, s40
.LBB365_201:                            ;   in Loop: Header=BB365_10 Depth=1
	s_or_b32 exec_lo, exec_lo, s39
.LBB365_202:                            ;   in Loop: Header=BB365_10 Depth=1
	s_or_b32 exec_lo, exec_lo, s3
	global_load_dword v0, v[7:8], off offset:768
	v_mov_b32_e32 v112, 0
	v_mov_b32_e32 v111, 0
	s_waitcnt vmcnt(0)
	v_cmp_ne_u16_sdwa s2, v0, v2 src0_sel:BYTE_0 src1_sel:DWORD
	s_and_saveexec_b32 s3, s2
	s_cbranch_execz .LBB365_210
; %bb.203:                              ;   in Loop: Header=BB365_10 Depth=1
	v_cmp_ne_u16_sdwa s2, v0, v81 src0_sel:BYTE_0 src1_sel:DWORD
	v_bfrev_b32_e32 v111, 1
	s_and_saveexec_b32 s39, s2
	s_cbranch_execz .LBB365_209
; %bb.204:                              ;   in Loop: Header=BB365_10 Depth=1
	v_and_b32_e32 v12, 0x7f, v0
	v_mov_b32_e32 v111, 0x7f800001
	s_mov_b32 s40, exec_lo
	v_cmpx_ne_u32_e32 0x7f, v12
	s_cbranch_execz .LBB365_208
; %bb.205:                              ;   in Loop: Header=BB365_10 Depth=1
	v_and_b32_e32 v1, 7, v0
	v_lshrrev_b32_e32 v11, 3, v12
	s_mov_b32 s41, exec_lo
	v_cmpx_gt_u32_e32 8, v12
; %bb.206:                              ;   in Loop: Header=BB365_10 Depth=1
	v_ffbh_u32_e32 v11, v1
	v_min_u32_e32 v11, 32, v11
	v_subrev_nc_u32_e32 v12, 28, v11
	v_sub_nc_u32_e32 v11, 29, v11
	v_lshlrev_b64 v[12:13], v12, v[1:2]
	v_and_b32_e32 v1, 7, v12
; %bb.207:                              ;   in Loop: Header=BB365_10 Depth=1
	s_or_b32 exec_lo, exec_lo, s41
	v_lshlrev_b32_e32 v12, 24, v0
	v_lshlrev_b32_e32 v1, 20, v1
	v_lshl_add_u32 v11, v11, 23, 0x3c000000
	v_and_b32_e32 v12, 0x80000000, v12
	v_or3_b32 v111, v1, v12, v11
.LBB365_208:                            ;   in Loop: Header=BB365_10 Depth=1
	s_or_b32 exec_lo, exec_lo, s40
.LBB365_209:                            ;   in Loop: Header=BB365_10 Depth=1
	s_or_b32 exec_lo, exec_lo, s39
.LBB365_210:                            ;   in Loop: Header=BB365_10 Depth=1
	s_or_b32 exec_lo, exec_lo, s3
	v_cmp_ne_u16_sdwa s2, v0, v2 src0_sel:BYTE_1 src1_sel:DWORD
	s_and_saveexec_b32 s3, s2
	s_cbranch_execz .LBB365_218
; %bb.211:                              ;   in Loop: Header=BB365_10 Depth=1
	v_cmp_ne_u16_sdwa s2, v0, v81 src0_sel:BYTE_1 src1_sel:DWORD
	v_bfrev_b32_e32 v112, 1
	s_and_saveexec_b32 s39, s2
	s_cbranch_execz .LBB365_217
; %bb.212:                              ;   in Loop: Header=BB365_10 Depth=1
	v_and_b32_sdwa v1, v82, v0 dst_sel:DWORD dst_unused:UNUSED_PAD src0_sel:DWORD src1_sel:BYTE_1
	v_mov_b32_e32 v112, 0x7f800001
	s_mov_b32 s40, exec_lo
	v_and_b32_e32 v12, 0x7f, v1
	v_cmpx_ne_u32_e32 0x7f, v12
	s_cbranch_execz .LBB365_216
; %bb.213:                              ;   in Loop: Header=BB365_10 Depth=1
	v_and_b32_e32 v1, 7, v1
	v_lshrrev_b32_e32 v11, 3, v12
	s_mov_b32 s41, exec_lo
	v_cmpx_gt_u32_e32 8, v12
; %bb.214:                              ;   in Loop: Header=BB365_10 Depth=1
	v_ffbh_u32_e32 v11, v1
	v_min_u32_e32 v11, 32, v11
	v_subrev_nc_u32_e32 v12, 28, v11
	v_sub_nc_u32_e32 v11, 29, v11
	v_lshlrev_b64 v[12:13], v12, v[1:2]
	v_and_b32_e32 v1, 7, v12
; %bb.215:                              ;   in Loop: Header=BB365_10 Depth=1
	s_or_b32 exec_lo, exec_lo, s41
	v_lshlrev_b32_e32 v12, 16, v0
	v_lshlrev_b32_e32 v1, 20, v1
	v_lshl_add_u32 v11, v11, 23, 0x3c000000
	v_and_b32_e32 v12, 0x80000000, v12
	v_or3_b32 v112, v1, v12, v11
.LBB365_216:                            ;   in Loop: Header=BB365_10 Depth=1
	s_or_b32 exec_lo, exec_lo, s40
.LBB365_217:                            ;   in Loop: Header=BB365_10 Depth=1
	s_or_b32 exec_lo, exec_lo, s39
.LBB365_218:                            ;   in Loop: Header=BB365_10 Depth=1
	s_or_b32 exec_lo, exec_lo, s3
	v_and_b32_sdwa v1, v0, v83 dst_sel:DWORD dst_unused:UNUSED_PAD src0_sel:WORD_1 src1_sel:DWORD
	v_mov_b32_e32 v113, 0
	v_mov_b32_e32 v114, 0
	s_mov_b32 s3, exec_lo
	v_cmpx_ne_u16_e32 0, v1
	s_cbranch_execz .LBB365_226
; %bb.219:                              ;   in Loop: Header=BB365_10 Depth=1
	v_bfrev_b32_e32 v114, 1
	s_mov_b32 s39, exec_lo
	v_cmpx_ne_u16_e32 0x80, v1
	s_cbranch_execz .LBB365_225
; %bb.220:                              ;   in Loop: Header=BB365_10 Depth=1
	v_bfe_u32 v12, v0, 16, 7
	v_mov_b32_e32 v114, 0x7f800001
	s_mov_b32 s40, exec_lo
	v_cmpx_ne_u32_e32 0x7f, v12
	s_cbranch_execz .LBB365_224
; %bb.221:                              ;   in Loop: Header=BB365_10 Depth=1
	v_and_b32_sdwa v1, v0, v84 dst_sel:DWORD dst_unused:UNUSED_PAD src0_sel:WORD_1 src1_sel:DWORD
	v_lshrrev_b32_e32 v11, 3, v12
	s_mov_b32 s41, exec_lo
	v_cmpx_gt_u32_e32 8, v12
; %bb.222:                              ;   in Loop: Header=BB365_10 Depth=1
	v_ffbh_u32_e32 v11, v1
	v_min_u32_e32 v11, 32, v11
	v_subrev_nc_u32_e32 v12, 28, v11
	v_sub_nc_u32_e32 v11, 29, v11
	v_lshlrev_b64 v[12:13], v12, v[1:2]
	v_and_b32_e32 v1, 7, v12
; %bb.223:                              ;   in Loop: Header=BB365_10 Depth=1
	s_or_b32 exec_lo, exec_lo, s41
	v_lshlrev_b32_sdwa v12, v85, v0 dst_sel:DWORD dst_unused:UNUSED_PAD src0_sel:DWORD src1_sel:WORD_1
	v_lshlrev_b32_e32 v1, 20, v1
	v_lshl_add_u32 v11, v11, 23, 0x3c000000
	v_and_b32_e32 v12, 0x80000000, v12
	v_or3_b32 v114, v1, v12, v11
.LBB365_224:                            ;   in Loop: Header=BB365_10 Depth=1
	s_or_b32 exec_lo, exec_lo, s40
.LBB365_225:                            ;   in Loop: Header=BB365_10 Depth=1
	s_or_b32 exec_lo, exec_lo, s39
.LBB365_226:                            ;   in Loop: Header=BB365_10 Depth=1
	s_or_b32 exec_lo, exec_lo, s3
	s_mov_b32 s3, exec_lo
	v_cmpx_lt_u32_e32 0xffffff, v0
	s_cbranch_execz .LBB365_234
; %bb.227:                              ;   in Loop: Header=BB365_10 Depth=1
	v_cmp_ne_u32_sdwa s2, v0, v81 src0_sel:BYTE_3 src1_sel:DWORD
	v_bfrev_b32_e32 v113, 1
	s_and_saveexec_b32 s39, s2
	s_cbranch_execz .LBB365_233
; %bb.228:                              ;   in Loop: Header=BB365_10 Depth=1
	v_bfe_u32 v12, v0, 24, 7
	v_mov_b32_e32 v113, 0x7f800001
	s_mov_b32 s40, exec_lo
	v_cmpx_ne_u32_e32 0x7f, v12
	s_cbranch_execz .LBB365_232
; %bb.229:                              ;   in Loop: Header=BB365_10 Depth=1
	v_and_b32_sdwa v1, v0, v84 dst_sel:DWORD dst_unused:UNUSED_PAD src0_sel:BYTE_3 src1_sel:DWORD
	v_lshrrev_b32_e32 v11, 3, v12
	s_mov_b32 s41, exec_lo
	v_cmpx_gt_u32_e32 8, v12
; %bb.230:                              ;   in Loop: Header=BB365_10 Depth=1
	v_ffbh_u32_e32 v11, v1
	v_min_u32_e32 v11, 32, v11
	v_subrev_nc_u32_e32 v12, 28, v11
	v_sub_nc_u32_e32 v11, 29, v11
	v_lshlrev_b64 v[12:13], v12, v[1:2]
	v_and_b32_e32 v1, 7, v12
; %bb.231:                              ;   in Loop: Header=BB365_10 Depth=1
	s_or_b32 exec_lo, exec_lo, s41
	v_lshlrev_b32_sdwa v0, v85, v0 dst_sel:DWORD dst_unused:UNUSED_PAD src0_sel:DWORD src1_sel:BYTE_3
	v_lshlrev_b32_e32 v1, 20, v1
	v_lshl_add_u32 v11, v11, 23, 0x3c000000
	v_and_b32_e32 v0, 0x80000000, v0
	v_or3_b32 v113, v1, v0, v11
.LBB365_232:                            ;   in Loop: Header=BB365_10 Depth=1
	s_or_b32 exec_lo, exec_lo, s40
.LBB365_233:                            ;   in Loop: Header=BB365_10 Depth=1
	s_or_b32 exec_lo, exec_lo, s39
.LBB365_234:                            ;   in Loop: Header=BB365_10 Depth=1
	s_or_b32 exec_lo, exec_lo, s3
	global_load_dword v0, v[7:8], off offset:776
	v_mov_b32_e32 v116, 0
	v_mov_b32_e32 v115, 0
	s_waitcnt vmcnt(0)
	v_cmp_ne_u16_sdwa s2, v0, v2 src0_sel:BYTE_0 src1_sel:DWORD
	s_and_saveexec_b32 s3, s2
	s_cbranch_execz .LBB365_242
; %bb.235:                              ;   in Loop: Header=BB365_10 Depth=1
	v_cmp_ne_u16_sdwa s2, v0, v81 src0_sel:BYTE_0 src1_sel:DWORD
	v_bfrev_b32_e32 v115, 1
	s_and_saveexec_b32 s39, s2
	s_cbranch_execz .LBB365_241
; %bb.236:                              ;   in Loop: Header=BB365_10 Depth=1
	v_and_b32_e32 v12, 0x7f, v0
	v_mov_b32_e32 v115, 0x7f800001
	s_mov_b32 s40, exec_lo
	v_cmpx_ne_u32_e32 0x7f, v12
	s_cbranch_execz .LBB365_240
; %bb.237:                              ;   in Loop: Header=BB365_10 Depth=1
	v_and_b32_e32 v1, 7, v0
	v_lshrrev_b32_e32 v11, 3, v12
	s_mov_b32 s41, exec_lo
	v_cmpx_gt_u32_e32 8, v12
; %bb.238:                              ;   in Loop: Header=BB365_10 Depth=1
	v_ffbh_u32_e32 v11, v1
	v_min_u32_e32 v11, 32, v11
	v_subrev_nc_u32_e32 v12, 28, v11
	v_sub_nc_u32_e32 v11, 29, v11
	v_lshlrev_b64 v[12:13], v12, v[1:2]
	v_and_b32_e32 v1, 7, v12
; %bb.239:                              ;   in Loop: Header=BB365_10 Depth=1
	s_or_b32 exec_lo, exec_lo, s41
	v_lshlrev_b32_e32 v12, 24, v0
	v_lshlrev_b32_e32 v1, 20, v1
	v_lshl_add_u32 v11, v11, 23, 0x3c000000
	v_and_b32_e32 v12, 0x80000000, v12
	v_or3_b32 v115, v1, v12, v11
.LBB365_240:                            ;   in Loop: Header=BB365_10 Depth=1
	s_or_b32 exec_lo, exec_lo, s40
.LBB365_241:                            ;   in Loop: Header=BB365_10 Depth=1
	s_or_b32 exec_lo, exec_lo, s39
.LBB365_242:                            ;   in Loop: Header=BB365_10 Depth=1
	s_or_b32 exec_lo, exec_lo, s3
	v_cmp_ne_u16_sdwa s2, v0, v2 src0_sel:BYTE_1 src1_sel:DWORD
	s_and_saveexec_b32 s3, s2
	s_cbranch_execz .LBB365_250
; %bb.243:                              ;   in Loop: Header=BB365_10 Depth=1
	v_cmp_ne_u16_sdwa s2, v0, v81 src0_sel:BYTE_1 src1_sel:DWORD
	v_bfrev_b32_e32 v116, 1
	s_and_saveexec_b32 s39, s2
	s_cbranch_execz .LBB365_249
; %bb.244:                              ;   in Loop: Header=BB365_10 Depth=1
	v_and_b32_sdwa v1, v82, v0 dst_sel:DWORD dst_unused:UNUSED_PAD src0_sel:DWORD src1_sel:BYTE_1
	v_mov_b32_e32 v116, 0x7f800001
	s_mov_b32 s40, exec_lo
	v_and_b32_e32 v12, 0x7f, v1
	v_cmpx_ne_u32_e32 0x7f, v12
	s_cbranch_execz .LBB365_248
; %bb.245:                              ;   in Loop: Header=BB365_10 Depth=1
	v_and_b32_e32 v1, 7, v1
	v_lshrrev_b32_e32 v11, 3, v12
	s_mov_b32 s41, exec_lo
	v_cmpx_gt_u32_e32 8, v12
; %bb.246:                              ;   in Loop: Header=BB365_10 Depth=1
	v_ffbh_u32_e32 v11, v1
	v_min_u32_e32 v11, 32, v11
	v_subrev_nc_u32_e32 v12, 28, v11
	v_sub_nc_u32_e32 v11, 29, v11
	v_lshlrev_b64 v[12:13], v12, v[1:2]
	v_and_b32_e32 v1, 7, v12
; %bb.247:                              ;   in Loop: Header=BB365_10 Depth=1
	s_or_b32 exec_lo, exec_lo, s41
	v_lshlrev_b32_e32 v12, 16, v0
	v_lshlrev_b32_e32 v1, 20, v1
	v_lshl_add_u32 v11, v11, 23, 0x3c000000
	v_and_b32_e32 v12, 0x80000000, v12
	v_or3_b32 v116, v1, v12, v11
.LBB365_248:                            ;   in Loop: Header=BB365_10 Depth=1
	s_or_b32 exec_lo, exec_lo, s40
.LBB365_249:                            ;   in Loop: Header=BB365_10 Depth=1
	s_or_b32 exec_lo, exec_lo, s39
.LBB365_250:                            ;   in Loop: Header=BB365_10 Depth=1
	s_or_b32 exec_lo, exec_lo, s3
	v_and_b32_sdwa v1, v0, v83 dst_sel:DWORD dst_unused:UNUSED_PAD src0_sel:WORD_1 src1_sel:DWORD
	v_mov_b32_e32 v117, 0
	v_mov_b32_e32 v118, 0
	s_mov_b32 s3, exec_lo
	v_cmpx_ne_u16_e32 0, v1
	s_cbranch_execz .LBB365_258
; %bb.251:                              ;   in Loop: Header=BB365_10 Depth=1
	v_bfrev_b32_e32 v118, 1
	s_mov_b32 s39, exec_lo
	v_cmpx_ne_u16_e32 0x80, v1
	s_cbranch_execz .LBB365_257
; %bb.252:                              ;   in Loop: Header=BB365_10 Depth=1
	v_bfe_u32 v12, v0, 16, 7
	v_mov_b32_e32 v118, 0x7f800001
	s_mov_b32 s40, exec_lo
	v_cmpx_ne_u32_e32 0x7f, v12
	s_cbranch_execz .LBB365_256
; %bb.253:                              ;   in Loop: Header=BB365_10 Depth=1
	v_and_b32_sdwa v1, v0, v84 dst_sel:DWORD dst_unused:UNUSED_PAD src0_sel:WORD_1 src1_sel:DWORD
	v_lshrrev_b32_e32 v11, 3, v12
	s_mov_b32 s41, exec_lo
	v_cmpx_gt_u32_e32 8, v12
; %bb.254:                              ;   in Loop: Header=BB365_10 Depth=1
	v_ffbh_u32_e32 v11, v1
	v_min_u32_e32 v11, 32, v11
	v_subrev_nc_u32_e32 v12, 28, v11
	v_sub_nc_u32_e32 v11, 29, v11
	v_lshlrev_b64 v[12:13], v12, v[1:2]
	v_and_b32_e32 v1, 7, v12
; %bb.255:                              ;   in Loop: Header=BB365_10 Depth=1
	s_or_b32 exec_lo, exec_lo, s41
	v_lshlrev_b32_sdwa v12, v85, v0 dst_sel:DWORD dst_unused:UNUSED_PAD src0_sel:DWORD src1_sel:WORD_1
	v_lshlrev_b32_e32 v1, 20, v1
	v_lshl_add_u32 v11, v11, 23, 0x3c000000
	v_and_b32_e32 v12, 0x80000000, v12
	v_or3_b32 v118, v1, v12, v11
.LBB365_256:                            ;   in Loop: Header=BB365_10 Depth=1
	s_or_b32 exec_lo, exec_lo, s40
.LBB365_257:                            ;   in Loop: Header=BB365_10 Depth=1
	s_or_b32 exec_lo, exec_lo, s39
.LBB365_258:                            ;   in Loop: Header=BB365_10 Depth=1
	s_or_b32 exec_lo, exec_lo, s3
	s_mov_b32 s3, exec_lo
	v_cmpx_lt_u32_e32 0xffffff, v0
	s_cbranch_execz .LBB365_266
; %bb.259:                              ;   in Loop: Header=BB365_10 Depth=1
	v_cmp_ne_u32_sdwa s2, v0, v81 src0_sel:BYTE_3 src1_sel:DWORD
	v_bfrev_b32_e32 v117, 1
	s_and_saveexec_b32 s39, s2
	s_cbranch_execz .LBB365_265
; %bb.260:                              ;   in Loop: Header=BB365_10 Depth=1
	v_bfe_u32 v12, v0, 24, 7
	v_mov_b32_e32 v117, 0x7f800001
	s_mov_b32 s40, exec_lo
	v_cmpx_ne_u32_e32 0x7f, v12
	s_cbranch_execz .LBB365_264
; %bb.261:                              ;   in Loop: Header=BB365_10 Depth=1
	v_and_b32_sdwa v1, v0, v84 dst_sel:DWORD dst_unused:UNUSED_PAD src0_sel:BYTE_3 src1_sel:DWORD
	v_lshrrev_b32_e32 v11, 3, v12
	s_mov_b32 s41, exec_lo
	v_cmpx_gt_u32_e32 8, v12
; %bb.262:                              ;   in Loop: Header=BB365_10 Depth=1
	v_ffbh_u32_e32 v11, v1
	v_min_u32_e32 v11, 32, v11
	v_subrev_nc_u32_e32 v12, 28, v11
	v_sub_nc_u32_e32 v11, 29, v11
	v_lshlrev_b64 v[12:13], v12, v[1:2]
	v_and_b32_e32 v1, 7, v12
; %bb.263:                              ;   in Loop: Header=BB365_10 Depth=1
	s_or_b32 exec_lo, exec_lo, s41
	v_lshlrev_b32_sdwa v0, v85, v0 dst_sel:DWORD dst_unused:UNUSED_PAD src0_sel:DWORD src1_sel:BYTE_3
	v_lshlrev_b32_e32 v1, 20, v1
	v_lshl_add_u32 v11, v11, 23, 0x3c000000
	v_and_b32_e32 v0, 0x80000000, v0
	v_or3_b32 v117, v1, v0, v11
.LBB365_264:                            ;   in Loop: Header=BB365_10 Depth=1
	s_or_b32 exec_lo, exec_lo, s40
.LBB365_265:                            ;   in Loop: Header=BB365_10 Depth=1
	s_or_b32 exec_lo, exec_lo, s39
.LBB365_266:                            ;   in Loop: Header=BB365_10 Depth=1
	s_or_b32 exec_lo, exec_lo, s3
	global_load_dword v0, v[7:8], off offset:1024
	v_mov_b32_e32 v120, 0
	v_mov_b32_e32 v119, 0
	s_waitcnt vmcnt(0)
	v_cmp_ne_u16_sdwa s2, v0, v2 src0_sel:BYTE_0 src1_sel:DWORD
	s_and_saveexec_b32 s3, s2
	s_cbranch_execz .LBB365_274
; %bb.267:                              ;   in Loop: Header=BB365_10 Depth=1
	v_cmp_ne_u16_sdwa s2, v0, v81 src0_sel:BYTE_0 src1_sel:DWORD
	v_bfrev_b32_e32 v119, 1
	s_and_saveexec_b32 s39, s2
	s_cbranch_execz .LBB365_273
; %bb.268:                              ;   in Loop: Header=BB365_10 Depth=1
	v_and_b32_e32 v12, 0x7f, v0
	v_mov_b32_e32 v119, 0x7f800001
	s_mov_b32 s40, exec_lo
	v_cmpx_ne_u32_e32 0x7f, v12
	s_cbranch_execz .LBB365_272
; %bb.269:                              ;   in Loop: Header=BB365_10 Depth=1
	v_and_b32_e32 v1, 7, v0
	v_lshrrev_b32_e32 v11, 3, v12
	s_mov_b32 s41, exec_lo
	v_cmpx_gt_u32_e32 8, v12
; %bb.270:                              ;   in Loop: Header=BB365_10 Depth=1
	v_ffbh_u32_e32 v11, v1
	v_min_u32_e32 v11, 32, v11
	v_subrev_nc_u32_e32 v12, 28, v11
	v_sub_nc_u32_e32 v11, 29, v11
	v_lshlrev_b64 v[12:13], v12, v[1:2]
	v_and_b32_e32 v1, 7, v12
; %bb.271:                              ;   in Loop: Header=BB365_10 Depth=1
	s_or_b32 exec_lo, exec_lo, s41
	v_lshlrev_b32_e32 v12, 24, v0
	v_lshlrev_b32_e32 v1, 20, v1
	v_lshl_add_u32 v11, v11, 23, 0x3c000000
	v_and_b32_e32 v12, 0x80000000, v12
	v_or3_b32 v119, v1, v12, v11
.LBB365_272:                            ;   in Loop: Header=BB365_10 Depth=1
	s_or_b32 exec_lo, exec_lo, s40
.LBB365_273:                            ;   in Loop: Header=BB365_10 Depth=1
	s_or_b32 exec_lo, exec_lo, s39
.LBB365_274:                            ;   in Loop: Header=BB365_10 Depth=1
	s_or_b32 exec_lo, exec_lo, s3
	v_cmp_ne_u16_sdwa s2, v0, v2 src0_sel:BYTE_1 src1_sel:DWORD
	s_and_saveexec_b32 s3, s2
	s_cbranch_execz .LBB365_282
; %bb.275:                              ;   in Loop: Header=BB365_10 Depth=1
	v_cmp_ne_u16_sdwa s2, v0, v81 src0_sel:BYTE_1 src1_sel:DWORD
	v_bfrev_b32_e32 v120, 1
	s_and_saveexec_b32 s39, s2
	s_cbranch_execz .LBB365_281
; %bb.276:                              ;   in Loop: Header=BB365_10 Depth=1
	v_and_b32_sdwa v1, v82, v0 dst_sel:DWORD dst_unused:UNUSED_PAD src0_sel:DWORD src1_sel:BYTE_1
	v_mov_b32_e32 v120, 0x7f800001
	s_mov_b32 s40, exec_lo
	v_and_b32_e32 v12, 0x7f, v1
	v_cmpx_ne_u32_e32 0x7f, v12
	s_cbranch_execz .LBB365_280
; %bb.277:                              ;   in Loop: Header=BB365_10 Depth=1
	v_and_b32_e32 v1, 7, v1
	v_lshrrev_b32_e32 v11, 3, v12
	s_mov_b32 s41, exec_lo
	v_cmpx_gt_u32_e32 8, v12
; %bb.278:                              ;   in Loop: Header=BB365_10 Depth=1
	v_ffbh_u32_e32 v11, v1
	v_min_u32_e32 v11, 32, v11
	v_subrev_nc_u32_e32 v12, 28, v11
	v_sub_nc_u32_e32 v11, 29, v11
	v_lshlrev_b64 v[12:13], v12, v[1:2]
	v_and_b32_e32 v1, 7, v12
; %bb.279:                              ;   in Loop: Header=BB365_10 Depth=1
	s_or_b32 exec_lo, exec_lo, s41
	v_lshlrev_b32_e32 v12, 16, v0
	v_lshlrev_b32_e32 v1, 20, v1
	v_lshl_add_u32 v11, v11, 23, 0x3c000000
	v_and_b32_e32 v12, 0x80000000, v12
	v_or3_b32 v120, v1, v12, v11
.LBB365_280:                            ;   in Loop: Header=BB365_10 Depth=1
	s_or_b32 exec_lo, exec_lo, s40
.LBB365_281:                            ;   in Loop: Header=BB365_10 Depth=1
	s_or_b32 exec_lo, exec_lo, s39
.LBB365_282:                            ;   in Loop: Header=BB365_10 Depth=1
	s_or_b32 exec_lo, exec_lo, s3
	v_and_b32_sdwa v1, v0, v83 dst_sel:DWORD dst_unused:UNUSED_PAD src0_sel:WORD_1 src1_sel:DWORD
	v_mov_b32_e32 v121, 0
	v_mov_b32_e32 v122, 0
	s_mov_b32 s3, exec_lo
	v_cmpx_ne_u16_e32 0, v1
	s_cbranch_execz .LBB365_290
; %bb.283:                              ;   in Loop: Header=BB365_10 Depth=1
	v_bfrev_b32_e32 v122, 1
	s_mov_b32 s39, exec_lo
	v_cmpx_ne_u16_e32 0x80, v1
	s_cbranch_execz .LBB365_289
; %bb.284:                              ;   in Loop: Header=BB365_10 Depth=1
	v_bfe_u32 v12, v0, 16, 7
	v_mov_b32_e32 v122, 0x7f800001
	s_mov_b32 s40, exec_lo
	v_cmpx_ne_u32_e32 0x7f, v12
	s_cbranch_execz .LBB365_288
; %bb.285:                              ;   in Loop: Header=BB365_10 Depth=1
	v_and_b32_sdwa v1, v0, v84 dst_sel:DWORD dst_unused:UNUSED_PAD src0_sel:WORD_1 src1_sel:DWORD
	v_lshrrev_b32_e32 v11, 3, v12
	s_mov_b32 s41, exec_lo
	v_cmpx_gt_u32_e32 8, v12
; %bb.286:                              ;   in Loop: Header=BB365_10 Depth=1
	v_ffbh_u32_e32 v11, v1
	v_min_u32_e32 v11, 32, v11
	v_subrev_nc_u32_e32 v12, 28, v11
	v_sub_nc_u32_e32 v11, 29, v11
	v_lshlrev_b64 v[12:13], v12, v[1:2]
	v_and_b32_e32 v1, 7, v12
; %bb.287:                              ;   in Loop: Header=BB365_10 Depth=1
	s_or_b32 exec_lo, exec_lo, s41
	v_lshlrev_b32_sdwa v12, v85, v0 dst_sel:DWORD dst_unused:UNUSED_PAD src0_sel:DWORD src1_sel:WORD_1
	v_lshlrev_b32_e32 v1, 20, v1
	v_lshl_add_u32 v11, v11, 23, 0x3c000000
	v_and_b32_e32 v12, 0x80000000, v12
	v_or3_b32 v122, v1, v12, v11
.LBB365_288:                            ;   in Loop: Header=BB365_10 Depth=1
	s_or_b32 exec_lo, exec_lo, s40
.LBB365_289:                            ;   in Loop: Header=BB365_10 Depth=1
	s_or_b32 exec_lo, exec_lo, s39
.LBB365_290:                            ;   in Loop: Header=BB365_10 Depth=1
	s_or_b32 exec_lo, exec_lo, s3
	s_mov_b32 s3, exec_lo
	v_cmpx_lt_u32_e32 0xffffff, v0
	s_cbranch_execz .LBB365_298
; %bb.291:                              ;   in Loop: Header=BB365_10 Depth=1
	v_cmp_ne_u32_sdwa s2, v0, v81 src0_sel:BYTE_3 src1_sel:DWORD
	v_bfrev_b32_e32 v121, 1
	s_and_saveexec_b32 s39, s2
	s_cbranch_execz .LBB365_297
; %bb.292:                              ;   in Loop: Header=BB365_10 Depth=1
	v_bfe_u32 v12, v0, 24, 7
	v_mov_b32_e32 v121, 0x7f800001
	s_mov_b32 s40, exec_lo
	v_cmpx_ne_u32_e32 0x7f, v12
	s_cbranch_execz .LBB365_296
; %bb.293:                              ;   in Loop: Header=BB365_10 Depth=1
	v_and_b32_sdwa v1, v0, v84 dst_sel:DWORD dst_unused:UNUSED_PAD src0_sel:BYTE_3 src1_sel:DWORD
	v_lshrrev_b32_e32 v11, 3, v12
	s_mov_b32 s41, exec_lo
	v_cmpx_gt_u32_e32 8, v12
; %bb.294:                              ;   in Loop: Header=BB365_10 Depth=1
	v_ffbh_u32_e32 v11, v1
	v_min_u32_e32 v11, 32, v11
	v_subrev_nc_u32_e32 v12, 28, v11
	v_sub_nc_u32_e32 v11, 29, v11
	v_lshlrev_b64 v[12:13], v12, v[1:2]
	v_and_b32_e32 v1, 7, v12
; %bb.295:                              ;   in Loop: Header=BB365_10 Depth=1
	s_or_b32 exec_lo, exec_lo, s41
	v_lshlrev_b32_sdwa v0, v85, v0 dst_sel:DWORD dst_unused:UNUSED_PAD src0_sel:DWORD src1_sel:BYTE_3
	v_lshlrev_b32_e32 v1, 20, v1
	v_lshl_add_u32 v11, v11, 23, 0x3c000000
	v_and_b32_e32 v0, 0x80000000, v0
	v_or3_b32 v121, v1, v0, v11
.LBB365_296:                            ;   in Loop: Header=BB365_10 Depth=1
	s_or_b32 exec_lo, exec_lo, s40
.LBB365_297:                            ;   in Loop: Header=BB365_10 Depth=1
	s_or_b32 exec_lo, exec_lo, s39
.LBB365_298:                            ;   in Loop: Header=BB365_10 Depth=1
	s_or_b32 exec_lo, exec_lo, s3
	global_load_dword v0, v[7:8], off offset:1032
	v_mov_b32_e32 v124, 0
	v_mov_b32_e32 v123, 0
	s_waitcnt vmcnt(0)
	v_cmp_ne_u16_sdwa s2, v0, v2 src0_sel:BYTE_0 src1_sel:DWORD
	s_and_saveexec_b32 s3, s2
	s_cbranch_execz .LBB365_306
; %bb.299:                              ;   in Loop: Header=BB365_10 Depth=1
	v_cmp_ne_u16_sdwa s2, v0, v81 src0_sel:BYTE_0 src1_sel:DWORD
	v_bfrev_b32_e32 v123, 1
	s_and_saveexec_b32 s39, s2
	s_cbranch_execz .LBB365_305
; %bb.300:                              ;   in Loop: Header=BB365_10 Depth=1
	v_and_b32_e32 v12, 0x7f, v0
	v_mov_b32_e32 v123, 0x7f800001
	s_mov_b32 s40, exec_lo
	v_cmpx_ne_u32_e32 0x7f, v12
	s_cbranch_execz .LBB365_304
; %bb.301:                              ;   in Loop: Header=BB365_10 Depth=1
	v_and_b32_e32 v1, 7, v0
	v_lshrrev_b32_e32 v11, 3, v12
	s_mov_b32 s41, exec_lo
	v_cmpx_gt_u32_e32 8, v12
; %bb.302:                              ;   in Loop: Header=BB365_10 Depth=1
	v_ffbh_u32_e32 v11, v1
	v_min_u32_e32 v11, 32, v11
	v_subrev_nc_u32_e32 v12, 28, v11
	v_sub_nc_u32_e32 v11, 29, v11
	v_lshlrev_b64 v[12:13], v12, v[1:2]
	v_and_b32_e32 v1, 7, v12
; %bb.303:                              ;   in Loop: Header=BB365_10 Depth=1
	s_or_b32 exec_lo, exec_lo, s41
	v_lshlrev_b32_e32 v12, 24, v0
	v_lshlrev_b32_e32 v1, 20, v1
	v_lshl_add_u32 v11, v11, 23, 0x3c000000
	v_and_b32_e32 v12, 0x80000000, v12
	v_or3_b32 v123, v1, v12, v11
.LBB365_304:                            ;   in Loop: Header=BB365_10 Depth=1
	s_or_b32 exec_lo, exec_lo, s40
.LBB365_305:                            ;   in Loop: Header=BB365_10 Depth=1
	s_or_b32 exec_lo, exec_lo, s39
.LBB365_306:                            ;   in Loop: Header=BB365_10 Depth=1
	s_or_b32 exec_lo, exec_lo, s3
	v_cmp_ne_u16_sdwa s2, v0, v2 src0_sel:BYTE_1 src1_sel:DWORD
	s_and_saveexec_b32 s3, s2
	s_cbranch_execz .LBB365_314
; %bb.307:                              ;   in Loop: Header=BB365_10 Depth=1
	v_cmp_ne_u16_sdwa s2, v0, v81 src0_sel:BYTE_1 src1_sel:DWORD
	v_bfrev_b32_e32 v124, 1
	s_and_saveexec_b32 s39, s2
	s_cbranch_execz .LBB365_313
; %bb.308:                              ;   in Loop: Header=BB365_10 Depth=1
	v_and_b32_sdwa v1, v82, v0 dst_sel:DWORD dst_unused:UNUSED_PAD src0_sel:DWORD src1_sel:BYTE_1
	v_mov_b32_e32 v124, 0x7f800001
	s_mov_b32 s40, exec_lo
	v_and_b32_e32 v12, 0x7f, v1
	v_cmpx_ne_u32_e32 0x7f, v12
	s_cbranch_execz .LBB365_312
; %bb.309:                              ;   in Loop: Header=BB365_10 Depth=1
	v_and_b32_e32 v1, 7, v1
	v_lshrrev_b32_e32 v11, 3, v12
	s_mov_b32 s41, exec_lo
	v_cmpx_gt_u32_e32 8, v12
; %bb.310:                              ;   in Loop: Header=BB365_10 Depth=1
	v_ffbh_u32_e32 v11, v1
	v_min_u32_e32 v11, 32, v11
	v_subrev_nc_u32_e32 v12, 28, v11
	v_sub_nc_u32_e32 v11, 29, v11
	v_lshlrev_b64 v[12:13], v12, v[1:2]
	v_and_b32_e32 v1, 7, v12
; %bb.311:                              ;   in Loop: Header=BB365_10 Depth=1
	s_or_b32 exec_lo, exec_lo, s41
	v_lshlrev_b32_e32 v12, 16, v0
	v_lshlrev_b32_e32 v1, 20, v1
	v_lshl_add_u32 v11, v11, 23, 0x3c000000
	v_and_b32_e32 v12, 0x80000000, v12
	v_or3_b32 v124, v1, v12, v11
.LBB365_312:                            ;   in Loop: Header=BB365_10 Depth=1
	s_or_b32 exec_lo, exec_lo, s40
.LBB365_313:                            ;   in Loop: Header=BB365_10 Depth=1
	s_or_b32 exec_lo, exec_lo, s39
.LBB365_314:                            ;   in Loop: Header=BB365_10 Depth=1
	s_or_b32 exec_lo, exec_lo, s3
	v_and_b32_sdwa v1, v0, v83 dst_sel:DWORD dst_unused:UNUSED_PAD src0_sel:WORD_1 src1_sel:DWORD
	v_mov_b32_e32 v125, 0
	v_mov_b32_e32 v126, 0
	s_mov_b32 s3, exec_lo
	v_cmpx_ne_u16_e32 0, v1
	s_cbranch_execz .LBB365_322
; %bb.315:                              ;   in Loop: Header=BB365_10 Depth=1
	v_bfrev_b32_e32 v126, 1
	s_mov_b32 s39, exec_lo
	v_cmpx_ne_u16_e32 0x80, v1
	s_cbranch_execz .LBB365_321
; %bb.316:                              ;   in Loop: Header=BB365_10 Depth=1
	v_bfe_u32 v12, v0, 16, 7
	v_mov_b32_e32 v126, 0x7f800001
	s_mov_b32 s40, exec_lo
	v_cmpx_ne_u32_e32 0x7f, v12
	s_cbranch_execz .LBB365_320
; %bb.317:                              ;   in Loop: Header=BB365_10 Depth=1
	v_and_b32_sdwa v1, v0, v84 dst_sel:DWORD dst_unused:UNUSED_PAD src0_sel:WORD_1 src1_sel:DWORD
	v_lshrrev_b32_e32 v11, 3, v12
	s_mov_b32 s41, exec_lo
	v_cmpx_gt_u32_e32 8, v12
; %bb.318:                              ;   in Loop: Header=BB365_10 Depth=1
	v_ffbh_u32_e32 v11, v1
	v_min_u32_e32 v11, 32, v11
	v_subrev_nc_u32_e32 v12, 28, v11
	v_sub_nc_u32_e32 v11, 29, v11
	v_lshlrev_b64 v[12:13], v12, v[1:2]
	v_and_b32_e32 v1, 7, v12
; %bb.319:                              ;   in Loop: Header=BB365_10 Depth=1
	s_or_b32 exec_lo, exec_lo, s41
	v_lshlrev_b32_sdwa v12, v85, v0 dst_sel:DWORD dst_unused:UNUSED_PAD src0_sel:DWORD src1_sel:WORD_1
	v_lshlrev_b32_e32 v1, 20, v1
	v_lshl_add_u32 v11, v11, 23, 0x3c000000
	v_and_b32_e32 v12, 0x80000000, v12
	v_or3_b32 v126, v1, v12, v11
.LBB365_320:                            ;   in Loop: Header=BB365_10 Depth=1
	s_or_b32 exec_lo, exec_lo, s40
.LBB365_321:                            ;   in Loop: Header=BB365_10 Depth=1
	s_or_b32 exec_lo, exec_lo, s39
.LBB365_322:                            ;   in Loop: Header=BB365_10 Depth=1
	s_or_b32 exec_lo, exec_lo, s3
	s_mov_b32 s3, exec_lo
	v_cmpx_lt_u32_e32 0xffffff, v0
	s_cbranch_execz .LBB365_330
; %bb.323:                              ;   in Loop: Header=BB365_10 Depth=1
	v_cmp_ne_u32_sdwa s2, v0, v81 src0_sel:BYTE_3 src1_sel:DWORD
	v_bfrev_b32_e32 v125, 1
	s_and_saveexec_b32 s39, s2
	s_cbranch_execz .LBB365_329
; %bb.324:                              ;   in Loop: Header=BB365_10 Depth=1
	v_bfe_u32 v12, v0, 24, 7
	v_mov_b32_e32 v125, 0x7f800001
	s_mov_b32 s40, exec_lo
	v_cmpx_ne_u32_e32 0x7f, v12
	s_cbranch_execz .LBB365_328
; %bb.325:                              ;   in Loop: Header=BB365_10 Depth=1
	v_and_b32_sdwa v1, v0, v84 dst_sel:DWORD dst_unused:UNUSED_PAD src0_sel:BYTE_3 src1_sel:DWORD
	v_lshrrev_b32_e32 v11, 3, v12
	s_mov_b32 s41, exec_lo
	v_cmpx_gt_u32_e32 8, v12
; %bb.326:                              ;   in Loop: Header=BB365_10 Depth=1
	v_ffbh_u32_e32 v11, v1
	v_min_u32_e32 v11, 32, v11
	v_subrev_nc_u32_e32 v12, 28, v11
	v_sub_nc_u32_e32 v11, 29, v11
	v_lshlrev_b64 v[12:13], v12, v[1:2]
	v_and_b32_e32 v1, 7, v12
; %bb.327:                              ;   in Loop: Header=BB365_10 Depth=1
	s_or_b32 exec_lo, exec_lo, s41
	v_lshlrev_b32_sdwa v0, v85, v0 dst_sel:DWORD dst_unused:UNUSED_PAD src0_sel:DWORD src1_sel:BYTE_3
	v_lshlrev_b32_e32 v1, 20, v1
	v_lshl_add_u32 v11, v11, 23, 0x3c000000
	v_and_b32_e32 v0, 0x80000000, v0
	v_or3_b32 v125, v1, v0, v11
.LBB365_328:                            ;   in Loop: Header=BB365_10 Depth=1
	s_or_b32 exec_lo, exec_lo, s40
.LBB365_329:                            ;   in Loop: Header=BB365_10 Depth=1
	s_or_b32 exec_lo, exec_lo, s39
.LBB365_330:                            ;   in Loop: Header=BB365_10 Depth=1
	s_or_b32 exec_lo, exec_lo, s3
	global_load_dword v0, v[7:8], off offset:1280
	v_mov_b32_e32 v23, 0
	v_mov_b32_e32 v127, 0
	s_waitcnt vmcnt(0)
	v_cmp_ne_u16_sdwa s2, v0, v2 src0_sel:BYTE_0 src1_sel:DWORD
	s_and_saveexec_b32 s3, s2
	s_cbranch_execz .LBB365_338
; %bb.331:                              ;   in Loop: Header=BB365_10 Depth=1
	v_cmp_ne_u16_sdwa s2, v0, v81 src0_sel:BYTE_0 src1_sel:DWORD
	v_bfrev_b32_e32 v127, 1
	s_and_saveexec_b32 s39, s2
	s_cbranch_execz .LBB365_337
; %bb.332:                              ;   in Loop: Header=BB365_10 Depth=1
	v_and_b32_e32 v12, 0x7f, v0
	v_mov_b32_e32 v127, 0x7f800001
	s_mov_b32 s40, exec_lo
	v_cmpx_ne_u32_e32 0x7f, v12
	s_cbranch_execz .LBB365_336
; %bb.333:                              ;   in Loop: Header=BB365_10 Depth=1
	v_and_b32_e32 v1, 7, v0
	v_lshrrev_b32_e32 v11, 3, v12
	s_mov_b32 s41, exec_lo
	v_cmpx_gt_u32_e32 8, v12
; %bb.334:                              ;   in Loop: Header=BB365_10 Depth=1
	v_ffbh_u32_e32 v11, v1
	v_min_u32_e32 v11, 32, v11
	v_subrev_nc_u32_e32 v12, 28, v11
	v_sub_nc_u32_e32 v11, 29, v11
	v_lshlrev_b64 v[12:13], v12, v[1:2]
	v_and_b32_e32 v1, 7, v12
; %bb.335:                              ;   in Loop: Header=BB365_10 Depth=1
	s_or_b32 exec_lo, exec_lo, s41
	v_lshlrev_b32_e32 v12, 24, v0
	v_lshlrev_b32_e32 v1, 20, v1
	v_lshl_add_u32 v11, v11, 23, 0x3c000000
	v_and_b32_e32 v12, 0x80000000, v12
	v_or3_b32 v127, v1, v12, v11
.LBB365_336:                            ;   in Loop: Header=BB365_10 Depth=1
	s_or_b32 exec_lo, exec_lo, s40
.LBB365_337:                            ;   in Loop: Header=BB365_10 Depth=1
	s_or_b32 exec_lo, exec_lo, s39
.LBB365_338:                            ;   in Loop: Header=BB365_10 Depth=1
	s_or_b32 exec_lo, exec_lo, s3
	v_cmp_ne_u16_sdwa s2, v0, v2 src0_sel:BYTE_1 src1_sel:DWORD
	s_and_saveexec_b32 s3, s2
	s_cbranch_execz .LBB365_346
; %bb.339:                              ;   in Loop: Header=BB365_10 Depth=1
	v_cmp_ne_u16_sdwa s2, v0, v81 src0_sel:BYTE_1 src1_sel:DWORD
	v_bfrev_b32_e32 v23, 1
	s_and_saveexec_b32 s39, s2
	s_cbranch_execz .LBB365_345
; %bb.340:                              ;   in Loop: Header=BB365_10 Depth=1
	v_and_b32_sdwa v1, v82, v0 dst_sel:DWORD dst_unused:UNUSED_PAD src0_sel:DWORD src1_sel:BYTE_1
	v_mov_b32_e32 v23, 0x7f800001
	s_mov_b32 s40, exec_lo
	v_and_b32_e32 v12, 0x7f, v1
	v_cmpx_ne_u32_e32 0x7f, v12
	s_cbranch_execz .LBB365_344
; %bb.341:                              ;   in Loop: Header=BB365_10 Depth=1
	v_and_b32_e32 v1, 7, v1
	v_lshrrev_b32_e32 v11, 3, v12
	s_mov_b32 s41, exec_lo
	v_cmpx_gt_u32_e32 8, v12
; %bb.342:                              ;   in Loop: Header=BB365_10 Depth=1
	v_ffbh_u32_e32 v11, v1
	v_min_u32_e32 v11, 32, v11
	v_subrev_nc_u32_e32 v12, 28, v11
	v_sub_nc_u32_e32 v11, 29, v11
	v_lshlrev_b64 v[12:13], v12, v[1:2]
	v_and_b32_e32 v1, 7, v12
; %bb.343:                              ;   in Loop: Header=BB365_10 Depth=1
	s_or_b32 exec_lo, exec_lo, s41
	v_lshlrev_b32_e32 v12, 16, v0
	v_lshlrev_b32_e32 v1, 20, v1
	v_lshl_add_u32 v11, v11, 23, 0x3c000000
	v_and_b32_e32 v12, 0x80000000, v12
	v_or3_b32 v23, v1, v12, v11
.LBB365_344:                            ;   in Loop: Header=BB365_10 Depth=1
	s_or_b32 exec_lo, exec_lo, s40
.LBB365_345:                            ;   in Loop: Header=BB365_10 Depth=1
	s_or_b32 exec_lo, exec_lo, s39
.LBB365_346:                            ;   in Loop: Header=BB365_10 Depth=1
	s_or_b32 exec_lo, exec_lo, s3
	v_and_b32_sdwa v1, v0, v83 dst_sel:DWORD dst_unused:UNUSED_PAD src0_sel:WORD_1 src1_sel:DWORD
	v_mov_b32_e32 v24, 0
	v_mov_b32_e32 v11, 0
	s_mov_b32 s3, exec_lo
	v_cmpx_ne_u16_e32 0, v1
	s_cbranch_execz .LBB365_354
; %bb.347:                              ;   in Loop: Header=BB365_10 Depth=1
	v_bfrev_b32_e32 v11, 1
	s_mov_b32 s39, exec_lo
	v_cmpx_ne_u16_e32 0x80, v1
	s_cbranch_execz .LBB365_353
; %bb.348:                              ;   in Loop: Header=BB365_10 Depth=1
	v_bfe_u32 v12, v0, 16, 7
	v_mov_b32_e32 v11, 0x7f800001
	s_mov_b32 s40, exec_lo
	v_cmpx_ne_u32_e32 0x7f, v12
	s_cbranch_execz .LBB365_352
; %bb.349:                              ;   in Loop: Header=BB365_10 Depth=1
	v_and_b32_sdwa v1, v0, v84 dst_sel:DWORD dst_unused:UNUSED_PAD src0_sel:WORD_1 src1_sel:DWORD
	v_lshrrev_b32_e32 v11, 3, v12
	s_mov_b32 s41, exec_lo
	v_cmpx_gt_u32_e32 8, v12
; %bb.350:                              ;   in Loop: Header=BB365_10 Depth=1
	v_ffbh_u32_e32 v11, v1
	v_min_u32_e32 v11, 32, v11
	v_subrev_nc_u32_e32 v12, 28, v11
	v_sub_nc_u32_e32 v11, 29, v11
	v_lshlrev_b64 v[12:13], v12, v[1:2]
	v_and_b32_e32 v1, 7, v12
; %bb.351:                              ;   in Loop: Header=BB365_10 Depth=1
	s_or_b32 exec_lo, exec_lo, s41
	v_lshlrev_b32_sdwa v12, v85, v0 dst_sel:DWORD dst_unused:UNUSED_PAD src0_sel:DWORD src1_sel:WORD_1
	v_lshlrev_b32_e32 v1, 20, v1
	v_lshl_add_u32 v11, v11, 23, 0x3c000000
	v_and_b32_e32 v12, 0x80000000, v12
	v_or3_b32 v11, v1, v12, v11
.LBB365_352:                            ;   in Loop: Header=BB365_10 Depth=1
	s_or_b32 exec_lo, exec_lo, s40
.LBB365_353:                            ;   in Loop: Header=BB365_10 Depth=1
	s_or_b32 exec_lo, exec_lo, s39
.LBB365_354:                            ;   in Loop: Header=BB365_10 Depth=1
	s_or_b32 exec_lo, exec_lo, s3
	s_mov_b32 s3, exec_lo
	v_cmpx_lt_u32_e32 0xffffff, v0
	s_cbranch_execz .LBB365_362
; %bb.355:                              ;   in Loop: Header=BB365_10 Depth=1
	v_cmp_ne_u32_sdwa s2, v0, v81 src0_sel:BYTE_3 src1_sel:DWORD
	v_bfrev_b32_e32 v24, 1
	s_and_saveexec_b32 s39, s2
	s_cbranch_execz .LBB365_361
; %bb.356:                              ;   in Loop: Header=BB365_10 Depth=1
	v_bfe_u32 v13, v0, 24, 7
	v_mov_b32_e32 v24, 0x7f800001
	s_mov_b32 s40, exec_lo
	v_cmpx_ne_u32_e32 0x7f, v13
	s_cbranch_execz .LBB365_360
; %bb.357:                              ;   in Loop: Header=BB365_10 Depth=1
	v_and_b32_sdwa v1, v0, v84 dst_sel:DWORD dst_unused:UNUSED_PAD src0_sel:BYTE_3 src1_sel:DWORD
	v_lshrrev_b32_e32 v12, 3, v13
	s_mov_b32 s41, exec_lo
	v_cmpx_gt_u32_e32 8, v13
; %bb.358:                              ;   in Loop: Header=BB365_10 Depth=1
	v_ffbh_u32_e32 v12, v1
	v_min_u32_e32 v12, 32, v12
	v_subrev_nc_u32_e32 v13, 28, v12
	v_sub_nc_u32_e32 v12, 29, v12
	v_lshlrev_b64 v[13:14], v13, v[1:2]
	v_and_b32_e32 v1, 7, v13
; %bb.359:                              ;   in Loop: Header=BB365_10 Depth=1
	s_or_b32 exec_lo, exec_lo, s41
	v_lshlrev_b32_sdwa v0, v85, v0 dst_sel:DWORD dst_unused:UNUSED_PAD src0_sel:DWORD src1_sel:BYTE_3
	v_lshlrev_b32_e32 v1, 20, v1
	v_lshl_add_u32 v12, v12, 23, 0x3c000000
	v_and_b32_e32 v0, 0x80000000, v0
	v_or3_b32 v24, v1, v0, v12
.LBB365_360:                            ;   in Loop: Header=BB365_10 Depth=1
	s_or_b32 exec_lo, exec_lo, s40
.LBB365_361:                            ;   in Loop: Header=BB365_10 Depth=1
	s_or_b32 exec_lo, exec_lo, s39
.LBB365_362:                            ;   in Loop: Header=BB365_10 Depth=1
	s_or_b32 exec_lo, exec_lo, s3
	global_load_dword v12, v[7:8], off offset:1288
	v_mov_b32_e32 v46, 0
	v_mov_b32_e32 v22, 0
	s_waitcnt vmcnt(0)
	v_cmp_ne_u16_sdwa s2, v12, v2 src0_sel:BYTE_0 src1_sel:DWORD
	s_and_saveexec_b32 s3, s2
	s_cbranch_execz .LBB365_370
; %bb.363:                              ;   in Loop: Header=BB365_10 Depth=1
	v_cmp_ne_u16_sdwa s2, v12, v81 src0_sel:BYTE_0 src1_sel:DWORD
	v_bfrev_b32_e32 v22, 1
	s_and_saveexec_b32 s39, s2
	s_cbranch_execz .LBB365_369
; %bb.364:                              ;   in Loop: Header=BB365_10 Depth=1
	v_and_b32_e32 v13, 0x7f, v12
	v_mov_b32_e32 v22, 0x7f800001
	s_mov_b32 s40, exec_lo
	v_cmpx_ne_u32_e32 0x7f, v13
	s_cbranch_execz .LBB365_368
; %bb.365:                              ;   in Loop: Header=BB365_10 Depth=1
	v_and_b32_e32 v1, 7, v12
	v_lshrrev_b32_e32 v0, 3, v13
	s_mov_b32 s41, exec_lo
	v_cmpx_gt_u32_e32 8, v13
; %bb.366:                              ;   in Loop: Header=BB365_10 Depth=1
	v_ffbh_u32_e32 v0, v1
	v_min_u32_e32 v0, 32, v0
	v_subrev_nc_u32_e32 v13, 28, v0
	v_sub_nc_u32_e32 v0, 29, v0
	v_lshlrev_b64 v[13:14], v13, v[1:2]
	v_and_b32_e32 v1, 7, v13
; %bb.367:                              ;   in Loop: Header=BB365_10 Depth=1
	s_or_b32 exec_lo, exec_lo, s41
	v_lshlrev_b32_e32 v13, 24, v12
	v_lshlrev_b32_e32 v1, 20, v1
	v_lshl_add_u32 v0, v0, 23, 0x3c000000
	v_and_b32_e32 v13, 0x80000000, v13
	v_or3_b32 v22, v1, v13, v0
.LBB365_368:                            ;   in Loop: Header=BB365_10 Depth=1
	s_or_b32 exec_lo, exec_lo, s40
.LBB365_369:                            ;   in Loop: Header=BB365_10 Depth=1
	s_or_b32 exec_lo, exec_lo, s39
.LBB365_370:                            ;   in Loop: Header=BB365_10 Depth=1
	s_or_b32 exec_lo, exec_lo, s3
	v_cmp_ne_u16_sdwa s2, v12, v2 src0_sel:BYTE_1 src1_sel:DWORD
	s_and_saveexec_b32 s3, s2
	s_cbranch_execz .LBB365_378
; %bb.371:                              ;   in Loop: Header=BB365_10 Depth=1
	v_cmp_ne_u16_sdwa s2, v12, v81 src0_sel:BYTE_1 src1_sel:DWORD
	v_bfrev_b32_e32 v46, 1
	s_and_saveexec_b32 s39, s2
	s_cbranch_execz .LBB365_377
; %bb.372:                              ;   in Loop: Header=BB365_10 Depth=1
	v_and_b32_sdwa v0, v82, v12 dst_sel:DWORD dst_unused:UNUSED_PAD src0_sel:DWORD src1_sel:BYTE_1
	v_mov_b32_e32 v46, 0x7f800001
	s_mov_b32 s40, exec_lo
	v_and_b32_e32 v13, 0x7f, v0
	v_cmpx_ne_u32_e32 0x7f, v13
	s_cbranch_execz .LBB365_376
; %bb.373:                              ;   in Loop: Header=BB365_10 Depth=1
	v_and_b32_e32 v1, 7, v0
	v_lshrrev_b32_e32 v0, 3, v13
	s_mov_b32 s41, exec_lo
	v_cmpx_gt_u32_e32 8, v13
; %bb.374:                              ;   in Loop: Header=BB365_10 Depth=1
	v_ffbh_u32_e32 v0, v1
	v_min_u32_e32 v0, 32, v0
	v_subrev_nc_u32_e32 v13, 28, v0
	v_sub_nc_u32_e32 v0, 29, v0
	v_lshlrev_b64 v[13:14], v13, v[1:2]
	v_and_b32_e32 v1, 7, v13
; %bb.375:                              ;   in Loop: Header=BB365_10 Depth=1
	s_or_b32 exec_lo, exec_lo, s41
	v_lshlrev_b32_e32 v13, 16, v12
	v_lshlrev_b32_e32 v1, 20, v1
	v_lshl_add_u32 v0, v0, 23, 0x3c000000
	v_and_b32_e32 v13, 0x80000000, v13
	v_or3_b32 v46, v1, v13, v0
.LBB365_376:                            ;   in Loop: Header=BB365_10 Depth=1
	s_or_b32 exec_lo, exec_lo, s40
.LBB365_377:                            ;   in Loop: Header=BB365_10 Depth=1
	s_or_b32 exec_lo, exec_lo, s39
.LBB365_378:                            ;   in Loop: Header=BB365_10 Depth=1
	s_or_b32 exec_lo, exec_lo, s3
	v_and_b32_sdwa v1, v12, v83 dst_sel:DWORD dst_unused:UNUSED_PAD src0_sel:WORD_1 src1_sel:DWORD
	v_mov_b32_e32 v0, 0
	v_mov_b32_e32 v14, 0
	s_mov_b32 s3, exec_lo
	v_cmpx_ne_u16_e32 0, v1
	s_cbranch_execz .LBB365_386
; %bb.379:                              ;   in Loop: Header=BB365_10 Depth=1
	v_bfrev_b32_e32 v14, 1
	s_mov_b32 s39, exec_lo
	v_cmpx_ne_u16_e32 0x80, v1
	s_cbranch_execz .LBB365_385
; %bb.380:                              ;   in Loop: Header=BB365_10 Depth=1
	v_bfe_u32 v15, v12, 16, 7
	v_mov_b32_e32 v14, 0x7f800001
	s_mov_b32 s40, exec_lo
	v_cmpx_ne_u32_e32 0x7f, v15
	s_cbranch_execz .LBB365_384
; %bb.381:                              ;   in Loop: Header=BB365_10 Depth=1
	v_and_b32_sdwa v1, v12, v84 dst_sel:DWORD dst_unused:UNUSED_PAD src0_sel:WORD_1 src1_sel:DWORD
	v_lshrrev_b32_e32 v13, 3, v15
	s_mov_b32 s41, exec_lo
	v_cmpx_gt_u32_e32 8, v15
; %bb.382:                              ;   in Loop: Header=BB365_10 Depth=1
	v_ffbh_u32_e32 v13, v1
	v_min_u32_e32 v13, 32, v13
	v_subrev_nc_u32_e32 v14, 28, v13
	v_sub_nc_u32_e32 v13, 29, v13
	v_lshlrev_b64 v[14:15], v14, v[1:2]
	v_and_b32_e32 v1, 7, v14
; %bb.383:                              ;   in Loop: Header=BB365_10 Depth=1
	s_or_b32 exec_lo, exec_lo, s41
	v_lshlrev_b32_sdwa v14, v85, v12 dst_sel:DWORD dst_unused:UNUSED_PAD src0_sel:DWORD src1_sel:WORD_1
	v_lshlrev_b32_e32 v1, 20, v1
	v_lshl_add_u32 v13, v13, 23, 0x3c000000
	v_and_b32_e32 v14, 0x80000000, v14
	v_or3_b32 v14, v1, v14, v13
.LBB365_384:                            ;   in Loop: Header=BB365_10 Depth=1
	s_or_b32 exec_lo, exec_lo, s40
.LBB365_385:                            ;   in Loop: Header=BB365_10 Depth=1
	s_or_b32 exec_lo, exec_lo, s39
.LBB365_386:                            ;   in Loop: Header=BB365_10 Depth=1
	s_or_b32 exec_lo, exec_lo, s3
	s_mov_b32 s3, exec_lo
	v_cmpx_lt_u32_e32 0xffffff, v12
	s_cbranch_execz .LBB365_394
; %bb.387:                              ;   in Loop: Header=BB365_10 Depth=1
	v_cmp_ne_u32_sdwa s2, v12, v81 src0_sel:BYTE_3 src1_sel:DWORD
	v_bfrev_b32_e32 v0, 1
	s_and_saveexec_b32 s39, s2
	s_cbranch_execz .LBB365_393
; %bb.388:                              ;   in Loop: Header=BB365_10 Depth=1
	v_bfe_u32 v13, v12, 24, 7
	v_mov_b32_e32 v0, 0x7f800001
	s_mov_b32 s40, exec_lo
	v_cmpx_ne_u32_e32 0x7f, v13
	s_cbranch_execz .LBB365_392
; %bb.389:                              ;   in Loop: Header=BB365_10 Depth=1
	v_and_b32_sdwa v1, v12, v84 dst_sel:DWORD dst_unused:UNUSED_PAD src0_sel:BYTE_3 src1_sel:DWORD
	v_lshrrev_b32_e32 v0, 3, v13
	s_mov_b32 s41, exec_lo
	v_cmpx_gt_u32_e32 8, v13
; %bb.390:                              ;   in Loop: Header=BB365_10 Depth=1
	v_ffbh_u32_e32 v0, v1
	v_min_u32_e32 v0, 32, v0
	v_subrev_nc_u32_e32 v13, 28, v0
	v_sub_nc_u32_e32 v0, 29, v0
	v_lshlrev_b64 v[15:16], v13, v[1:2]
	v_and_b32_e32 v1, 7, v15
; %bb.391:                              ;   in Loop: Header=BB365_10 Depth=1
	s_or_b32 exec_lo, exec_lo, s41
	v_lshlrev_b32_sdwa v12, v85, v12 dst_sel:DWORD dst_unused:UNUSED_PAD src0_sel:DWORD src1_sel:BYTE_3
	v_lshlrev_b32_e32 v1, 20, v1
	v_lshl_add_u32 v0, v0, 23, 0x3c000000
	v_and_b32_e32 v12, 0x80000000, v12
	v_or3_b32 v0, v1, v12, v0
.LBB365_392:                            ;   in Loop: Header=BB365_10 Depth=1
	s_or_b32 exec_lo, exec_lo, s40
.LBB365_393:                            ;   in Loop: Header=BB365_10 Depth=1
	s_or_b32 exec_lo, exec_lo, s39
.LBB365_394:                            ;   in Loop: Header=BB365_10 Depth=1
	s_or_b32 exec_lo, exec_lo, s3
	global_load_dword v12, v[7:8], off offset:1536
	v_mov_b32_e32 v18, 0
	v_mov_b32_e32 v19, 0
	s_waitcnt vmcnt(0)
	v_cmp_ne_u16_sdwa s2, v12, v2 src0_sel:BYTE_0 src1_sel:DWORD
	s_and_saveexec_b32 s3, s2
	s_cbranch_execz .LBB365_402
; %bb.395:                              ;   in Loop: Header=BB365_10 Depth=1
	v_cmp_ne_u16_sdwa s2, v12, v81 src0_sel:BYTE_0 src1_sel:DWORD
	v_bfrev_b32_e32 v19, 1
	s_and_saveexec_b32 s39, s2
	s_cbranch_execz .LBB365_401
; %bb.396:                              ;   in Loop: Header=BB365_10 Depth=1
	v_and_b32_e32 v15, 0x7f, v12
	v_mov_b32_e32 v19, 0x7f800001
	s_mov_b32 s40, exec_lo
	v_cmpx_ne_u32_e32 0x7f, v15
	s_cbranch_execz .LBB365_400
; %bb.397:                              ;   in Loop: Header=BB365_10 Depth=1
	v_and_b32_e32 v1, 7, v12
	v_lshrrev_b32_e32 v13, 3, v15
	s_mov_b32 s41, exec_lo
	v_cmpx_gt_u32_e32 8, v15
; %bb.398:                              ;   in Loop: Header=BB365_10 Depth=1
	v_ffbh_u32_e32 v13, v1
	v_min_u32_e32 v13, 32, v13
	v_subrev_nc_u32_e32 v15, 28, v13
	v_sub_nc_u32_e32 v13, 29, v13
	v_lshlrev_b64 v[15:16], v15, v[1:2]
	v_and_b32_e32 v1, 7, v15
; %bb.399:                              ;   in Loop: Header=BB365_10 Depth=1
	s_or_b32 exec_lo, exec_lo, s41
	v_lshlrev_b32_e32 v15, 24, v12
	v_lshlrev_b32_e32 v1, 20, v1
	v_lshl_add_u32 v13, v13, 23, 0x3c000000
	v_and_b32_e32 v15, 0x80000000, v15
	v_or3_b32 v19, v1, v15, v13
.LBB365_400:                            ;   in Loop: Header=BB365_10 Depth=1
	s_or_b32 exec_lo, exec_lo, s40
.LBB365_401:                            ;   in Loop: Header=BB365_10 Depth=1
	s_or_b32 exec_lo, exec_lo, s39
.LBB365_402:                            ;   in Loop: Header=BB365_10 Depth=1
	s_or_b32 exec_lo, exec_lo, s3
	v_cmp_ne_u16_sdwa s2, v12, v2 src0_sel:BYTE_1 src1_sel:DWORD
	s_and_saveexec_b32 s3, s2
	s_cbranch_execz .LBB365_410
; %bb.403:                              ;   in Loop: Header=BB365_10 Depth=1
	v_cmp_ne_u16_sdwa s2, v12, v81 src0_sel:BYTE_1 src1_sel:DWORD
	v_bfrev_b32_e32 v18, 1
	s_and_saveexec_b32 s39, s2
	s_cbranch_execz .LBB365_409
; %bb.404:                              ;   in Loop: Header=BB365_10 Depth=1
	v_and_b32_sdwa v1, v82, v12 dst_sel:DWORD dst_unused:UNUSED_PAD src0_sel:DWORD src1_sel:BYTE_1
	v_mov_b32_e32 v18, 0x7f800001
	s_mov_b32 s40, exec_lo
	v_and_b32_e32 v15, 0x7f, v1
	v_cmpx_ne_u32_e32 0x7f, v15
	s_cbranch_execz .LBB365_408
; %bb.405:                              ;   in Loop: Header=BB365_10 Depth=1
	v_and_b32_e32 v1, 7, v1
	v_lshrrev_b32_e32 v13, 3, v15
	s_mov_b32 s41, exec_lo
	v_cmpx_gt_u32_e32 8, v15
; %bb.406:                              ;   in Loop: Header=BB365_10 Depth=1
	v_ffbh_u32_e32 v13, v1
	v_min_u32_e32 v13, 32, v13
	v_subrev_nc_u32_e32 v15, 28, v13
	v_sub_nc_u32_e32 v13, 29, v13
	v_lshlrev_b64 v[15:16], v15, v[1:2]
	v_and_b32_e32 v1, 7, v15
; %bb.407:                              ;   in Loop: Header=BB365_10 Depth=1
	s_or_b32 exec_lo, exec_lo, s41
	v_lshlrev_b32_e32 v15, 16, v12
	v_lshlrev_b32_e32 v1, 20, v1
	v_lshl_add_u32 v13, v13, 23, 0x3c000000
	v_and_b32_e32 v15, 0x80000000, v15
	v_or3_b32 v18, v1, v15, v13
.LBB365_408:                            ;   in Loop: Header=BB365_10 Depth=1
	s_or_b32 exec_lo, exec_lo, s40
.LBB365_409:                            ;   in Loop: Header=BB365_10 Depth=1
	s_or_b32 exec_lo, exec_lo, s39
.LBB365_410:                            ;   in Loop: Header=BB365_10 Depth=1
	s_or_b32 exec_lo, exec_lo, s3
	v_and_b32_sdwa v1, v12, v83 dst_sel:DWORD dst_unused:UNUSED_PAD src0_sel:WORD_1 src1_sel:DWORD
	v_mov_b32_e32 v17, 0
	v_mov_b32_e32 v16, 0
	s_mov_b32 s3, exec_lo
	v_cmpx_ne_u16_e32 0, v1
	s_cbranch_execz .LBB365_418
; %bb.411:                              ;   in Loop: Header=BB365_10 Depth=1
	v_bfrev_b32_e32 v16, 1
	s_mov_b32 s39, exec_lo
	v_cmpx_ne_u16_e32 0x80, v1
	s_cbranch_execz .LBB365_417
; %bb.412:                              ;   in Loop: Header=BB365_10 Depth=1
	v_bfe_u32 v15, v12, 16, 7
	v_mov_b32_e32 v16, 0x7f800001
	s_mov_b32 s40, exec_lo
	v_cmpx_ne_u32_e32 0x7f, v15
	s_cbranch_execz .LBB365_416
; %bb.413:                              ;   in Loop: Header=BB365_10 Depth=1
	v_and_b32_sdwa v1, v12, v84 dst_sel:DWORD dst_unused:UNUSED_PAD src0_sel:WORD_1 src1_sel:DWORD
	v_lshrrev_b32_e32 v13, 3, v15
	s_mov_b32 s41, exec_lo
	v_cmpx_gt_u32_e32 8, v15
; %bb.414:                              ;   in Loop: Header=BB365_10 Depth=1
	v_ffbh_u32_e32 v13, v1
	v_min_u32_e32 v13, 32, v13
	v_subrev_nc_u32_e32 v15, 28, v13
	v_sub_nc_u32_e32 v13, 29, v13
	v_lshlrev_b64 v[15:16], v15, v[1:2]
	v_and_b32_e32 v1, 7, v15
; %bb.415:                              ;   in Loop: Header=BB365_10 Depth=1
	s_or_b32 exec_lo, exec_lo, s41
	v_lshlrev_b32_sdwa v15, v85, v12 dst_sel:DWORD dst_unused:UNUSED_PAD src0_sel:DWORD src1_sel:WORD_1
	v_lshlrev_b32_e32 v1, 20, v1
	v_lshl_add_u32 v13, v13, 23, 0x3c000000
	v_and_b32_e32 v15, 0x80000000, v15
	v_or3_b32 v16, v1, v15, v13
.LBB365_416:                            ;   in Loop: Header=BB365_10 Depth=1
	s_or_b32 exec_lo, exec_lo, s40
.LBB365_417:                            ;   in Loop: Header=BB365_10 Depth=1
	s_or_b32 exec_lo, exec_lo, s39
.LBB365_418:                            ;   in Loop: Header=BB365_10 Depth=1
	s_or_b32 exec_lo, exec_lo, s3
	s_mov_b32 s3, exec_lo
	v_cmpx_lt_u32_e32 0xffffff, v12
	s_cbranch_execz .LBB365_426
; %bb.419:                              ;   in Loop: Header=BB365_10 Depth=1
	v_cmp_ne_u32_sdwa s2, v12, v81 src0_sel:BYTE_3 src1_sel:DWORD
	v_bfrev_b32_e32 v17, 1
	s_and_saveexec_b32 s39, s2
	s_cbranch_execz .LBB365_425
; %bb.420:                              ;   in Loop: Header=BB365_10 Depth=1
	v_bfe_u32 v15, v12, 24, 7
	v_mov_b32_e32 v17, 0x7f800001
	s_mov_b32 s40, exec_lo
	v_cmpx_ne_u32_e32 0x7f, v15
	s_cbranch_execz .LBB365_424
; %bb.421:                              ;   in Loop: Header=BB365_10 Depth=1
	v_and_b32_sdwa v1, v12, v84 dst_sel:DWORD dst_unused:UNUSED_PAD src0_sel:BYTE_3 src1_sel:DWORD
	v_lshrrev_b32_e32 v13, 3, v15
	s_mov_b32 s41, exec_lo
	v_cmpx_gt_u32_e32 8, v15
; %bb.422:                              ;   in Loop: Header=BB365_10 Depth=1
	v_ffbh_u32_e32 v13, v1
	v_min_u32_e32 v13, 32, v13
	v_subrev_nc_u32_e32 v15, 28, v13
	v_sub_nc_u32_e32 v13, 29, v13
	v_lshlrev_b64 v[20:21], v15, v[1:2]
	v_and_b32_e32 v1, 7, v20
; %bb.423:                              ;   in Loop: Header=BB365_10 Depth=1
	s_or_b32 exec_lo, exec_lo, s41
	v_lshlrev_b32_sdwa v12, v85, v12 dst_sel:DWORD dst_unused:UNUSED_PAD src0_sel:DWORD src1_sel:BYTE_3
	v_lshlrev_b32_e32 v1, 20, v1
	v_lshl_add_u32 v13, v13, 23, 0x3c000000
	v_and_b32_e32 v12, 0x80000000, v12
	v_or3_b32 v17, v1, v12, v13
.LBB365_424:                            ;   in Loop: Header=BB365_10 Depth=1
	s_or_b32 exec_lo, exec_lo, s40
.LBB365_425:                            ;   in Loop: Header=BB365_10 Depth=1
	s_or_b32 exec_lo, exec_lo, s39
.LBB365_426:                            ;   in Loop: Header=BB365_10 Depth=1
	s_or_b32 exec_lo, exec_lo, s3
	global_load_dword v20, v[7:8], off offset:1544
	v_mov_b32_e32 v13, 0
	v_mov_b32_e32 v15, 0
	s_waitcnt vmcnt(0)
	v_cmp_ne_u16_sdwa s2, v20, v2 src0_sel:BYTE_0 src1_sel:DWORD
	s_and_saveexec_b32 s3, s2
	s_cbranch_execz .LBB365_434
; %bb.427:                              ;   in Loop: Header=BB365_10 Depth=1
	v_cmp_ne_u16_sdwa s2, v20, v81 src0_sel:BYTE_0 src1_sel:DWORD
	v_bfrev_b32_e32 v15, 1
	s_and_saveexec_b32 s39, s2
	s_cbranch_execz .LBB365_433
; %bb.428:                              ;   in Loop: Header=BB365_10 Depth=1
	v_and_b32_e32 v21, 0x7f, v20
	v_mov_b32_e32 v15, 0x7f800001
	s_mov_b32 s40, exec_lo
	v_cmpx_ne_u32_e32 0x7f, v21
	s_cbranch_execz .LBB365_432
; %bb.429:                              ;   in Loop: Header=BB365_10 Depth=1
	v_and_b32_e32 v1, 7, v20
	v_lshrrev_b32_e32 v12, 3, v21
	s_mov_b32 s41, exec_lo
	v_cmpx_gt_u32_e32 8, v21
; %bb.430:                              ;   in Loop: Header=BB365_10 Depth=1
	v_ffbh_u32_e32 v12, v1
	v_min_u32_e32 v12, 32, v12
	v_subrev_nc_u32_e32 v15, 28, v12
	v_sub_nc_u32_e32 v12, 29, v12
	v_lshlrev_b64 v[25:26], v15, v[1:2]
	v_and_b32_e32 v1, 7, v25
; %bb.431:                              ;   in Loop: Header=BB365_10 Depth=1
	s_or_b32 exec_lo, exec_lo, s41
	v_lshlrev_b32_e32 v15, 24, v20
	v_lshlrev_b32_e32 v1, 20, v1
	v_lshl_add_u32 v12, v12, 23, 0x3c000000
	v_and_b32_e32 v15, 0x80000000, v15
	v_or3_b32 v15, v1, v15, v12
.LBB365_432:                            ;   in Loop: Header=BB365_10 Depth=1
	s_or_b32 exec_lo, exec_lo, s40
.LBB365_433:                            ;   in Loop: Header=BB365_10 Depth=1
	s_or_b32 exec_lo, exec_lo, s39
.LBB365_434:                            ;   in Loop: Header=BB365_10 Depth=1
	s_or_b32 exec_lo, exec_lo, s3
	v_cmp_ne_u16_sdwa s2, v20, v2 src0_sel:BYTE_1 src1_sel:DWORD
	s_and_saveexec_b32 s3, s2
	s_cbranch_execz .LBB365_442
; %bb.435:                              ;   in Loop: Header=BB365_10 Depth=1
	v_cmp_ne_u16_sdwa s2, v20, v81 src0_sel:BYTE_1 src1_sel:DWORD
	v_bfrev_b32_e32 v13, 1
	s_and_saveexec_b32 s39, s2
	s_cbranch_execz .LBB365_441
; %bb.436:                              ;   in Loop: Header=BB365_10 Depth=1
	v_and_b32_sdwa v1, v82, v20 dst_sel:DWORD dst_unused:UNUSED_PAD src0_sel:DWORD src1_sel:BYTE_1
	v_mov_b32_e32 v13, 0x7f800001
	s_mov_b32 s40, exec_lo
	v_and_b32_e32 v21, 0x7f, v1
	v_cmpx_ne_u32_e32 0x7f, v21
	s_cbranch_execz .LBB365_440
; %bb.437:                              ;   in Loop: Header=BB365_10 Depth=1
	v_and_b32_e32 v1, 7, v1
	v_lshrrev_b32_e32 v12, 3, v21
	s_mov_b32 s41, exec_lo
	v_cmpx_gt_u32_e32 8, v21
; %bb.438:                              ;   in Loop: Header=BB365_10 Depth=1
	v_ffbh_u32_e32 v12, v1
	v_min_u32_e32 v12, 32, v12
	v_subrev_nc_u32_e32 v13, 28, v12
	v_sub_nc_u32_e32 v12, 29, v12
	v_lshlrev_b64 v[25:26], v13, v[1:2]
	v_and_b32_e32 v1, 7, v25
; %bb.439:                              ;   in Loop: Header=BB365_10 Depth=1
	s_or_b32 exec_lo, exec_lo, s41
	v_lshlrev_b32_e32 v13, 16, v20
	v_lshlrev_b32_e32 v1, 20, v1
	v_lshl_add_u32 v12, v12, 23, 0x3c000000
	v_and_b32_e32 v13, 0x80000000, v13
	v_or3_b32 v13, v1, v13, v12
.LBB365_440:                            ;   in Loop: Header=BB365_10 Depth=1
	s_or_b32 exec_lo, exec_lo, s40
.LBB365_441:                            ;   in Loop: Header=BB365_10 Depth=1
	s_or_b32 exec_lo, exec_lo, s39
.LBB365_442:                            ;   in Loop: Header=BB365_10 Depth=1
	s_or_b32 exec_lo, exec_lo, s3
	v_and_b32_sdwa v1, v20, v83 dst_sel:DWORD dst_unused:UNUSED_PAD src0_sel:WORD_1 src1_sel:DWORD
	v_mov_b32_e32 v12, 0
	v_mov_b32_e32 v25, 0
	s_mov_b32 s3, exec_lo
	v_cmpx_ne_u16_e32 0, v1
	s_cbranch_execz .LBB365_450
; %bb.443:                              ;   in Loop: Header=BB365_10 Depth=1
	v_bfrev_b32_e32 v25, 1
	s_mov_b32 s39, exec_lo
	v_cmpx_ne_u16_e32 0x80, v1
	s_cbranch_execz .LBB365_449
; %bb.444:                              ;   in Loop: Header=BB365_10 Depth=1
	v_bfe_u32 v26, v20, 16, 7
	v_mov_b32_e32 v25, 0x7f800001
	s_mov_b32 s40, exec_lo
	v_cmpx_ne_u32_e32 0x7f, v26
	s_cbranch_execz .LBB365_448
; %bb.445:                              ;   in Loop: Header=BB365_10 Depth=1
	v_and_b32_sdwa v1, v20, v84 dst_sel:DWORD dst_unused:UNUSED_PAD src0_sel:WORD_1 src1_sel:DWORD
	v_lshrrev_b32_e32 v21, 3, v26
	s_mov_b32 s41, exec_lo
	v_cmpx_gt_u32_e32 8, v26
; %bb.446:                              ;   in Loop: Header=BB365_10 Depth=1
	v_ffbh_u32_e32 v21, v1
	v_min_u32_e32 v21, 32, v21
	v_subrev_nc_u32_e32 v25, 28, v21
	v_sub_nc_u32_e32 v21, 29, v21
	v_lshlrev_b64 v[25:26], v25, v[1:2]
	v_and_b32_e32 v1, 7, v25
; %bb.447:                              ;   in Loop: Header=BB365_10 Depth=1
	s_or_b32 exec_lo, exec_lo, s41
	v_lshlrev_b32_sdwa v25, v85, v20 dst_sel:DWORD dst_unused:UNUSED_PAD src0_sel:DWORD src1_sel:WORD_1
	v_lshlrev_b32_e32 v1, 20, v1
	v_lshl_add_u32 v21, v21, 23, 0x3c000000
	v_and_b32_e32 v25, 0x80000000, v25
	v_or3_b32 v25, v1, v25, v21
.LBB365_448:                            ;   in Loop: Header=BB365_10 Depth=1
	s_or_b32 exec_lo, exec_lo, s40
.LBB365_449:                            ;   in Loop: Header=BB365_10 Depth=1
	s_or_b32 exec_lo, exec_lo, s39
.LBB365_450:                            ;   in Loop: Header=BB365_10 Depth=1
	s_or_b32 exec_lo, exec_lo, s3
	s_mov_b32 s3, exec_lo
	v_cmpx_lt_u32_e32 0xffffff, v20
	s_cbranch_execz .LBB365_458
; %bb.451:                              ;   in Loop: Header=BB365_10 Depth=1
	v_cmp_ne_u32_sdwa s2, v20, v81 src0_sel:BYTE_3 src1_sel:DWORD
	v_bfrev_b32_e32 v12, 1
	s_and_saveexec_b32 s39, s2
	s_cbranch_execz .LBB365_457
; %bb.452:                              ;   in Loop: Header=BB365_10 Depth=1
	v_bfe_u32 v21, v20, 24, 7
	v_mov_b32_e32 v12, 0x7f800001
	s_mov_b32 s40, exec_lo
	v_cmpx_ne_u32_e32 0x7f, v21
	s_cbranch_execz .LBB365_456
; %bb.453:                              ;   in Loop: Header=BB365_10 Depth=1
	v_and_b32_sdwa v1, v20, v84 dst_sel:DWORD dst_unused:UNUSED_PAD src0_sel:BYTE_3 src1_sel:DWORD
	v_lshrrev_b32_e32 v12, 3, v21
	s_mov_b32 s41, exec_lo
	v_cmpx_gt_u32_e32 8, v21
; %bb.454:                              ;   in Loop: Header=BB365_10 Depth=1
	v_ffbh_u32_e32 v12, v1
	v_min_u32_e32 v12, 32, v12
	v_subrev_nc_u32_e32 v21, 28, v12
	v_sub_nc_u32_e32 v12, 29, v12
	v_lshlrev_b64 v[26:27], v21, v[1:2]
	v_and_b32_e32 v1, 7, v26
; %bb.455:                              ;   in Loop: Header=BB365_10 Depth=1
	s_or_b32 exec_lo, exec_lo, s41
	v_lshlrev_b32_sdwa v20, v85, v20 dst_sel:DWORD dst_unused:UNUSED_PAD src0_sel:DWORD src1_sel:BYTE_3
	v_lshlrev_b32_e32 v1, 20, v1
	v_lshl_add_u32 v12, v12, 23, 0x3c000000
	v_and_b32_e32 v20, 0x80000000, v20
	v_or3_b32 v12, v1, v20, v12
.LBB365_456:                            ;   in Loop: Header=BB365_10 Depth=1
	s_or_b32 exec_lo, exec_lo, s40
.LBB365_457:                            ;   in Loop: Header=BB365_10 Depth=1
	s_or_b32 exec_lo, exec_lo, s39
.LBB365_458:                            ;   in Loop: Header=BB365_10 Depth=1
	s_or_b32 exec_lo, exec_lo, s3
	global_load_dword v7, v[7:8], off offset:1792
	v_mov_b32_e32 v26, 0
	v_mov_b32_e32 v8, 0
	s_waitcnt vmcnt(0)
	v_cmp_ne_u16_sdwa s2, v7, v2 src0_sel:BYTE_0 src1_sel:DWORD
	s_and_saveexec_b32 s3, s2
	s_cbranch_execz .LBB365_466
; %bb.459:                              ;   in Loop: Header=BB365_10 Depth=1
	v_cmp_ne_u16_sdwa s2, v7, v81 src0_sel:BYTE_0 src1_sel:DWORD
	v_bfrev_b32_e32 v8, 1
	s_and_saveexec_b32 s39, s2
	s_cbranch_execz .LBB365_465
; %bb.460:                              ;   in Loop: Header=BB365_10 Depth=1
	v_and_b32_e32 v20, 0x7f, v7
	v_mov_b32_e32 v8, 0x7f800001
	s_mov_b32 s40, exec_lo
	v_cmpx_ne_u32_e32 0x7f, v20
	s_cbranch_execz .LBB365_464
; %bb.461:                              ;   in Loop: Header=BB365_10 Depth=1
	v_and_b32_e32 v1, 7, v7
	v_lshrrev_b32_e32 v8, 3, v20
	s_mov_b32 s41, exec_lo
	v_cmpx_gt_u32_e32 8, v20
; %bb.462:                              ;   in Loop: Header=BB365_10 Depth=1
	v_ffbh_u32_e32 v8, v1
	v_min_u32_e32 v8, 32, v8
	v_subrev_nc_u32_e32 v20, 28, v8
	v_sub_nc_u32_e32 v8, 29, v8
	v_lshlrev_b64 v[20:21], v20, v[1:2]
	v_and_b32_e32 v1, 7, v20
; %bb.463:                              ;   in Loop: Header=BB365_10 Depth=1
	s_or_b32 exec_lo, exec_lo, s41
	v_lshlrev_b32_e32 v20, 24, v7
	v_lshlrev_b32_e32 v1, 20, v1
	v_lshl_add_u32 v8, v8, 23, 0x3c000000
	v_and_b32_e32 v20, 0x80000000, v20
	v_or3_b32 v8, v1, v20, v8
.LBB365_464:                            ;   in Loop: Header=BB365_10 Depth=1
	s_or_b32 exec_lo, exec_lo, s40
.LBB365_465:                            ;   in Loop: Header=BB365_10 Depth=1
	s_or_b32 exec_lo, exec_lo, s39
.LBB365_466:                            ;   in Loop: Header=BB365_10 Depth=1
	s_or_b32 exec_lo, exec_lo, s3
	v_cmp_ne_u16_sdwa s2, v7, v2 src0_sel:BYTE_1 src1_sel:DWORD
	s_and_saveexec_b32 s3, s2
	s_cbranch_execz .LBB365_474
; %bb.467:                              ;   in Loop: Header=BB365_10 Depth=1
	v_cmp_ne_u16_sdwa s2, v7, v81 src0_sel:BYTE_1 src1_sel:DWORD
	v_bfrev_b32_e32 v26, 1
	s_and_saveexec_b32 s39, s2
	s_cbranch_execz .LBB365_473
; %bb.468:                              ;   in Loop: Header=BB365_10 Depth=1
	v_and_b32_sdwa v1, v82, v7 dst_sel:DWORD dst_unused:UNUSED_PAD src0_sel:DWORD src1_sel:BYTE_1
	v_mov_b32_e32 v26, 0x7f800001
	s_mov_b32 s40, exec_lo
	v_and_b32_e32 v21, 0x7f, v1
	v_cmpx_ne_u32_e32 0x7f, v21
	s_cbranch_execz .LBB365_472
; %bb.469:                              ;   in Loop: Header=BB365_10 Depth=1
	v_and_b32_e32 v1, 7, v1
	v_lshrrev_b32_e32 v20, 3, v21
	s_mov_b32 s41, exec_lo
	v_cmpx_gt_u32_e32 8, v21
; %bb.470:                              ;   in Loop: Header=BB365_10 Depth=1
	v_ffbh_u32_e32 v20, v1
	v_min_u32_e32 v20, 32, v20
	v_subrev_nc_u32_e32 v21, 28, v20
	v_sub_nc_u32_e32 v20, 29, v20
	v_lshlrev_b64 v[26:27], v21, v[1:2]
	v_and_b32_e32 v1, 7, v26
; %bb.471:                              ;   in Loop: Header=BB365_10 Depth=1
	s_or_b32 exec_lo, exec_lo, s41
	v_lshlrev_b32_e32 v21, 16, v7
	v_lshlrev_b32_e32 v1, 20, v1
	v_lshl_add_u32 v20, v20, 23, 0x3c000000
	v_and_b32_e32 v21, 0x80000000, v21
	v_or3_b32 v26, v1, v21, v20
.LBB365_472:                            ;   in Loop: Header=BB365_10 Depth=1
	s_or_b32 exec_lo, exec_lo, s40
.LBB365_473:                            ;   in Loop: Header=BB365_10 Depth=1
	s_or_b32 exec_lo, exec_lo, s39
.LBB365_474:                            ;   in Loop: Header=BB365_10 Depth=1
	s_or_b32 exec_lo, exec_lo, s3
	v_and_b32_sdwa v1, v7, v83 dst_sel:DWORD dst_unused:UNUSED_PAD src0_sel:WORD_1 src1_sel:DWORD
	v_mov_b32_e32 v20, 0
	v_mov_b32_e32 v21, 0
	s_mov_b32 s3, exec_lo
	v_cmpx_ne_u16_e32 0, v1
	s_cbranch_execz .LBB365_482
; %bb.475:                              ;   in Loop: Header=BB365_10 Depth=1
	v_bfrev_b32_e32 v21, 1
	s_mov_b32 s39, exec_lo
	v_cmpx_ne_u16_e32 0x80, v1
	s_cbranch_execz .LBB365_481
; %bb.476:                              ;   in Loop: Header=BB365_10 Depth=1
	v_bfe_u32 v27, v7, 16, 7
	v_mov_b32_e32 v21, 0x7f800001
	s_mov_b32 s40, exec_lo
	v_cmpx_ne_u32_e32 0x7f, v27
	s_cbranch_execz .LBB365_480
; %bb.477:                              ;   in Loop: Header=BB365_10 Depth=1
	v_and_b32_sdwa v1, v7, v84 dst_sel:DWORD dst_unused:UNUSED_PAD src0_sel:WORD_1 src1_sel:DWORD
	v_lshrrev_b32_e32 v21, 3, v27
	s_mov_b32 s41, exec_lo
	v_cmpx_gt_u32_e32 8, v27
; %bb.478:                              ;   in Loop: Header=BB365_10 Depth=1
	v_ffbh_u32_e32 v21, v1
	v_min_u32_e32 v21, 32, v21
	v_subrev_nc_u32_e32 v27, 28, v21
	v_sub_nc_u32_e32 v21, 29, v21
	v_lshlrev_b64 v[27:28], v27, v[1:2]
	v_and_b32_e32 v1, 7, v27
; %bb.479:                              ;   in Loop: Header=BB365_10 Depth=1
	s_or_b32 exec_lo, exec_lo, s41
	v_lshlrev_b32_sdwa v27, v85, v7 dst_sel:DWORD dst_unused:UNUSED_PAD src0_sel:DWORD src1_sel:WORD_1
	v_lshlrev_b32_e32 v1, 20, v1
	v_lshl_add_u32 v21, v21, 23, 0x3c000000
	v_and_b32_e32 v27, 0x80000000, v27
	v_or3_b32 v21, v1, v27, v21
.LBB365_480:                            ;   in Loop: Header=BB365_10 Depth=1
	s_or_b32 exec_lo, exec_lo, s40
.LBB365_481:                            ;   in Loop: Header=BB365_10 Depth=1
	s_or_b32 exec_lo, exec_lo, s39
.LBB365_482:                            ;   in Loop: Header=BB365_10 Depth=1
	s_or_b32 exec_lo, exec_lo, s3
	s_mov_b32 s3, exec_lo
	v_cmpx_lt_u32_e32 0xffffff, v7
	s_cbranch_execz .LBB365_490
; %bb.483:                              ;   in Loop: Header=BB365_10 Depth=1
	v_cmp_ne_u32_sdwa s2, v7, v81 src0_sel:BYTE_3 src1_sel:DWORD
	v_bfrev_b32_e32 v20, 1
	s_and_saveexec_b32 s39, s2
	s_cbranch_execz .LBB365_489
; %bb.484:                              ;   in Loop: Header=BB365_10 Depth=1
	v_bfe_u32 v27, v7, 24, 7
	v_mov_b32_e32 v20, 0x7f800001
	s_mov_b32 s40, exec_lo
	v_cmpx_ne_u32_e32 0x7f, v27
	s_cbranch_execz .LBB365_488
; %bb.485:                              ;   in Loop: Header=BB365_10 Depth=1
	v_and_b32_sdwa v1, v7, v84 dst_sel:DWORD dst_unused:UNUSED_PAD src0_sel:BYTE_3 src1_sel:DWORD
	v_lshrrev_b32_e32 v20, 3, v27
	s_mov_b32 s41, exec_lo
	v_cmpx_gt_u32_e32 8, v27
; %bb.486:                              ;   in Loop: Header=BB365_10 Depth=1
	v_ffbh_u32_e32 v20, v1
	v_min_u32_e32 v20, 32, v20
	v_subrev_nc_u32_e32 v27, 28, v20
	v_sub_nc_u32_e32 v20, 29, v20
	v_lshlrev_b64 v[27:28], v27, v[1:2]
	v_and_b32_e32 v1, 7, v27
; %bb.487:                              ;   in Loop: Header=BB365_10 Depth=1
	s_or_b32 exec_lo, exec_lo, s41
	v_lshlrev_b32_sdwa v7, v85, v7 dst_sel:DWORD dst_unused:UNUSED_PAD src0_sel:DWORD src1_sel:BYTE_3
	v_lshlrev_b32_e32 v1, 20, v1
	v_lshl_add_u32 v20, v20, 23, 0x3c000000
	v_and_b32_e32 v7, 0x80000000, v7
	v_or3_b32 v20, v1, v7, v20
.LBB365_488:                            ;   in Loop: Header=BB365_10 Depth=1
	s_or_b32 exec_lo, exec_lo, s40
.LBB365_489:                            ;   in Loop: Header=BB365_10 Depth=1
	s_or_b32 exec_lo, exec_lo, s39
.LBB365_490:                            ;   in Loop: Header=BB365_10 Depth=1
	s_or_b32 exec_lo, exec_lo, s3
	s_waitcnt lgkmcnt(0)
	v_mul_f32_e32 v1, s5, v26
	v_mul_f32_e32 v12, s5, v12
	;; [unrolled: 1-line block ×5, first 2 shown]
	v_bfe_u32 v7, v1, 16, 1
	v_or_b32_e32 v26, 0x400000, v1
	v_cmp_u_f32_e64 s2, v1, v1
	v_mul_f32_e32 v17, s5, v17
	v_mul_f32_e32 v18, s5, v18
	v_add3_u32 v7, v7, v1, 0x7fff
	v_mul_f32_e32 v19, s5, v19
	v_mul_f32_e32 v14, s5, v14
	;; [unrolled: 1-line block ×4, first 2 shown]
	v_cndmask_b32_e64 v1, v7, v26, s2
	v_mul_f32_e32 v7, s5, v8
	v_mul_f32_e32 v11, s5, v11
	;; [unrolled: 1-line block ×5, first 2 shown]
	v_bfe_u32 v8, v7, 16, 1
	v_or_b32_e32 v26, 0x400000, v7
	v_cmp_u_f32_e64 s2, v7, v7
	v_mul_f32_e32 v93, s5, v93
	v_mul_f32_e32 v92, s5, v92
	v_add3_u32 v8, v8, v7, 0x7fff
	v_mul_f32_e32 v91, s5, v91
	v_mul_f32_e32 v90, s5, v90
	;; [unrolled: 1-line block ×4, first 2 shown]
	v_cndmask_b32_e64 v7, v8, v26, s2
	v_mul_f32_e32 v8, s5, v25
	v_mul_f32_e32 v87, s5, v87
	;; [unrolled: 1-line block ×4, first 2 shown]
	v_bfe_u32 v25, v8, 16, 1
	v_or_b32_e32 v26, 0x400000, v8
	v_cmp_u_f32_e64 s2, v8, v8
	v_add3_u32 v25, v25, v8, 0x7fff
	v_cndmask_b32_e64 v8, v25, v26, s2
	v_bfe_u32 v25, v12, 16, 1
	v_or_b32_e32 v26, 0x400000, v12
	v_cmp_u_f32_e64 s2, v12, v12
	v_add3_u32 v25, v25, v12, 0x7fff
	v_cndmask_b32_e64 v12, v25, v26, s2
	;; [unrolled: 5-line block ×10, first 2 shown]
	v_mul_f32_e32 v25, s5, v46
	v_and_b32_e32 v0, 0xffff0000, v0
	v_bfe_u32 v26, v25, 16, 1
	v_or_b32_e32 v27, 0x400000, v25
	v_cmp_u_f32_e64 s2, v25, v25
	v_add3_u32 v26, v26, v25, 0x7fff
	v_bfe_u32 v25, v22, 16, 1
	v_cndmask_b32_e64 v46, v26, v27, s2
	v_add3_u32 v25, v25, v22, 0x7fff
	v_or_b32_e32 v26, 0x400000, v22
	v_cmp_u_f32_e64 s2, v22, v22
	v_cndmask_b32_e64 v22, v25, v26, s2
	v_bfe_u32 v25, v11, 16, 1
	v_or_b32_e32 v26, 0x400000, v11
	v_cmp_u_f32_e64 s2, v11, v11
	v_add3_u32 v25, v25, v11, 0x7fff
	v_cndmask_b32_e64 v11, v25, v26, s2
	v_bfe_u32 v25, v24, 16, 1
	v_or_b32_e32 v26, 0x400000, v24
	v_cmp_u_f32_e64 s2, v24, v24
	v_and_b32_e32 v11, 0xffff0000, v11
	v_add3_u32 v25, v25, v24, 0x7fff
	v_cndmask_b32_e64 v24, v25, v26, s2
	v_bfe_u32 v25, v23, 16, 1
	v_or_b32_e32 v26, 0x400000, v23
	v_cmp_u_f32_e64 s2, v23, v23
	v_add3_u32 v25, v25, v23, 0x7fff
	v_cndmask_b32_e64 v23, v25, v26, s2
	v_mul_f32_e32 v25, s5, v127
	v_and_b32_e32 v23, 0xffff0000, v23
	v_bfe_u32 v26, v25, 16, 1
	v_or_b32_e32 v27, 0x400000, v25
	v_cmp_u_f32_e64 s2, v25, v25
	v_add3_u32 v26, v26, v25, 0x7fff
	v_mul_f32_e32 v25, s5, v126
	v_cndmask_b32_e64 v127, v26, v27, s2
	v_bfe_u32 v26, v25, 16, 1
	v_or_b32_e32 v27, 0x400000, v25
	v_cmp_u_f32_e64 s2, v25, v25
	v_add3_u32 v26, v26, v25, 0x7fff
	v_mul_f32_e32 v25, s5, v125
	v_cndmask_b32_e64 v126, v26, v27, s2
	;; [unrolled: 6-line block ×22, first 2 shown]
	v_bfe_u32 v26, v25, 16, 1
	v_or_b32_e32 v27, 0x400000, v25
	v_cmp_u_f32_e64 s2, v25, v25
	v_add3_u32 v26, v26, v25, 0x7fff
	v_cndmask_b32_e64 v25, v26, v27, s2
	v_mul_f32_e32 v26, s5, v104
	v_and_b32_e32 v25, 0xffff0000, v25
	v_bfe_u32 v27, v26, 16, 1
	v_or_b32_e32 v28, 0x400000, v26
	v_cmp_u_f32_e64 s2, v26, v26
	v_add3_u32 v27, v27, v26, 0x7fff
	v_mul_f32_e32 v26, s5, v103
	v_cndmask_b32_e64 v104, v27, v28, s2
	v_bfe_u32 v27, v26, 16, 1
	v_or_b32_e32 v28, 0x400000, v26
	v_cmp_u_f32_e64 s2, v26, v26
	v_add3_u32 v27, v27, v26, 0x7fff
	v_mul_f32_e32 v26, s5, v102
	v_cndmask_b32_e64 v103, v27, v28, s2
	;; [unrolled: 6-line block ×7, first 2 shown]
	v_bfe_u32 v27, v26, 16, 1
	v_or_b32_e32 v28, 0x400000, v26
	v_cmp_u_f32_e64 s2, v26, v26
	v_add3_u32 v27, v27, v26, 0x7fff
	v_cndmask_b32_e64 v26, v27, v28, s2
	v_mul_f32_e32 v27, s5, v96
	v_and_b32_e32 v26, 0xffff0000, v26
	v_bfe_u32 v28, v27, 16, 1
	v_or_b32_e32 v96, 0x400000, v27
	v_cmp_u_f32_e64 s2, v27, v27
	v_add3_u32 v28, v28, v27, 0x7fff
	v_cndmask_b32_e64 v27, v28, v96, s2
	v_mul_f32_e32 v28, s5, v95
	v_and_b32_e32 v27, 0xffff0000, v27
	v_bfe_u32 v95, v28, 16, 1
	v_or_b32_e32 v96, 0x400000, v28
	v_cmp_u_f32_e64 s2, v28, v28
	v_add3_u32 v95, v95, v28, 0x7fff
	v_cndmask_b32_e64 v28, v95, v96, s2
	v_bfe_u32 v95, v94, 16, 1
	v_or_b32_e32 v96, 0x400000, v94
	v_cmp_u_f32_e64 s2, v94, v94
	v_and_b32_e32 v28, 0xffff0000, v28
	v_add3_u32 v95, v95, v94, 0x7fff
	v_cndmask_b32_e64 v94, v95, v96, s2
	v_bfe_u32 v95, v93, 16, 1
	v_or_b32_e32 v96, 0x400000, v93
	v_cmp_u_f32_e64 s2, v93, v93
	v_add3_u32 v95, v95, v93, 0x7fff
	v_cndmask_b32_e64 v93, v95, v96, s2
	v_bfe_u32 v95, v92, 16, 1
	v_or_b32_e32 v96, 0x400000, v92
	v_cmp_u_f32_e64 s2, v92, v92
	;; [unrolled: 5-line block ×5, first 2 shown]
	v_and_b32_e32 v90, 0xffff0000, v90
	v_add3_u32 v95, v95, v89, 0x7fff
	v_bfe_u32 v89, v88, 16, 1
	v_cndmask_b32_e64 v95, v95, v96, s2
	v_add3_u32 v89, v89, v88, 0x7fff
	v_or_b32_e32 v96, 0x400000, v88
	v_cmp_u_f32_e64 s2, v88, v88
	v_cndmask_b32_e64 v88, v89, v96, s2
	v_bfe_u32 v89, v87, 16, 1
	v_or_b32_e32 v96, 0x400000, v87
	v_cmp_u_f32_e64 s2, v87, v87
	v_add3_u32 v89, v89, v87, 0x7fff
	v_cndmask_b32_e64 v87, v89, v96, s2
	v_bfe_u32 v89, v21, 16, 1
	v_or_b32_e32 v96, 0x400000, v21
	v_cmp_u_f32_e64 s2, v21, v21
	v_add3_u32 v89, v89, v21, 0x7fff
	;; [unrolled: 5-line block ×3, first 2 shown]
	v_cndmask_b32_e64 v20, v89, v96, s2
	v_and_b32_e32 v89, 0xffff0000, v91
	v_and_b32_e32 v91, 0xffff0000, v87
	buffer_load_dword v87, off, s[44:47], 0 offset:16 ; 4-byte Folded Reload
	s_waitcnt vmcnt(0)
	v_mul_f32_e32 v87, v87, v89
	buffer_load_dword v89, off, s[44:47], 0 ; 4-byte Folded Reload
	s_waitcnt vmcnt(0)
	v_fmac_f32_e32 v87, v89, v91
	v_and_b32_e32 v91, 0xffff0000, v88
	buffer_load_dword v88, off, s[44:47], 0 offset:20 ; 4-byte Folded Reload
	v_and_b32_e32 v89, 0xffff0000, v92
	buffer_load_dword v92, off, s[44:47], 0 offset:28 ; 4-byte Folded Reload
	s_waitcnt vmcnt(1)
	v_mul_f32_e32 v88, v88, v89
	buffer_load_dword v89, off, s[44:47], 0 offset:4 ; 4-byte Folded Reload
	s_waitcnt vmcnt(0)
	v_fmac_f32_e32 v88, v89, v91
	buffer_load_dword v91, off, s[44:47], 0 offset:24 ; 4-byte Folded Reload
	v_and_b32_e32 v89, 0xffff0000, v94
	s_waitcnt vmcnt(0)
	v_mul_f32_e32 v89, v91, v89
	buffer_load_dword v91, off, s[44:47], 0 offset:8 ; 4-byte Folded Reload
	s_waitcnt vmcnt(0)
	v_fmac_f32_e32 v89, v91, v90
	v_and_b32_e32 v90, 0xffff0000, v93
	v_and_b32_e32 v91, 0xffff0000, v95
	v_mul_f32_e32 v90, v92, v90
	buffer_load_dword v92, off, s[44:47], 0 offset:12 ; 4-byte Folded Reload
	s_waitcnt vmcnt(0)
	v_fmac_f32_e32 v90, v92, v91
	buffer_load_dword v91, off, s[44:47], 0 offset:32 ; 4-byte Folded Reload
	s_waitcnt vmcnt(0)
	v_fmac_f32_e32 v87, v91, v28
	;; [unrolled: 3-line block ×3, first 2 shown]
	buffer_load_dword v28, off, s[44:47], 0 offset:40 ; 4-byte Folded Reload
	v_and_b32_e32 v27, 0xffff0000, v98
	s_waitcnt vmcnt(0)
	v_fmac_f32_e32 v89, v28, v27
	buffer_load_dword v27, off, s[44:47], 0 offset:44 ; 4-byte Folded Reload
	s_waitcnt vmcnt(0)
	v_fmac_f32_e32 v90, v27, v26
	buffer_load_dword v27, off, s[44:47], 0 offset:48 ; 4-byte Folded Reload
	v_and_b32_e32 v26, 0xffff0000, v99
	s_waitcnt vmcnt(0)
	v_fmac_f32_e32 v87, v27, v26
	v_and_b32_e32 v26, 0xffff0000, v100
	v_fmac_f32_e32 v88, v29, v26
	v_and_b32_e32 v26, 0xffff0000, v102
	;; [unrolled: 2-line block ×4, first 2 shown]
	v_fmac_f32_e32 v90, v35, v25
	v_fmac_f32_e32 v87, v32, v26
	v_and_b32_e32 v26, 0xffff0000, v104
	v_and_b32_e32 v25, 0xffff0000, v107
	v_fmac_f32_e32 v88, v33, v26
	v_and_b32_e32 v26, 0xffff0000, v106
	v_fmac_f32_e32 v87, v36, v25
	;; [unrolled: 2-line block ×3, first 2 shown]
	v_fmac_f32_e32 v88, v37, v25
	v_and_b32_e32 v25, 0xffff0000, v110
	v_fmac_f32_e32 v89, v38, v25
	v_and_b32_e32 v25, 0xffff0000, v109
	;; [unrolled: 2-line block ×17, first 2 shown]
	v_fmac_f32_e32 v88, v58, v23
	v_fmac_f32_e32 v89, v55, v25
	v_and_b32_e32 v25, 0xffff0000, v125
	v_fmac_f32_e32 v89, v59, v11
	v_fmac_f32_e32 v90, v56, v25
	v_and_b32_e32 v25, 0xffff0000, v127
	v_and_b32_e32 v11, 0xffff0000, v24
	v_fmac_f32_e32 v87, v57, v25
	v_fmac_f32_e32 v90, v60, v11
	v_and_b32_e32 v11, 0xffff0000, v22
	v_fmac_f32_e32 v90, v64, v0
	v_fmac_f32_e32 v87, v61, v11
	v_and_b32_e32 v11, 0xffff0000, v46
	v_and_b32_e32 v0, 0xffff0000, v19
	v_fmac_f32_e32 v88, v62, v11
	v_and_b32_e32 v11, 0xffff0000, v14
	v_fmac_f32_e32 v87, v65, v0
	;; [unrolled: 2-line block ×3, first 2 shown]
	v_fmac_f32_e32 v88, v66, v0
	v_and_b32_e32 v0, 0xffff0000, v16
	v_fmac_f32_e32 v89, v67, v0
	v_and_b32_e32 v0, 0xffff0000, v17
	;; [unrolled: 2-line block ×8, first 2 shown]
	v_and_b32_e32 v1, 0xffff0000, v20
	v_fmac_f32_e32 v88, v75, v0
	v_and_b32_e32 v0, 0xffff0000, v21
	v_fmac_f32_e32 v90, v77, v1
	v_fmac_f32_e32 v89, v76, v0
	v_add_f32_e32 v0, v87, v88
	v_add_f32_e32 v0, v0, v89
	;; [unrolled: 1-line block ×3, first 2 shown]
	ds_bpermute_b32 v1, v79, v0
	s_and_saveexec_b32 s3, vcc_lo
	s_cbranch_execz .LBB365_9
; %bb.491:                              ;   in Loop: Header=BB365_10 Depth=1
	v_add_nc_u32_e32 v7, s4, v78
	s_waitcnt lgkmcnt(0)
	v_add_f32_e32 v0, v0, v1
	v_cmp_gt_i32_e64 s2, s27, v78
	v_cvt_f32_i32_e32 v7, v7
	v_mul_f32_e32 v7, s36, v7
	v_cndmask_b32_e64 v1, 0, v7, s1
	v_max_f32_e32 v7, v73, v73
	v_fmac_f32_e32 v1, s37, v0
	v_max_f32_e32 v0, v7, v1
	v_cndmask_b32_e64 v1, 0, v1, s2
	v_cndmask_b32_e64 v73, v73, v0, s2
	ds_write_b32 v80, v1
	s_branch .LBB365_9
.LBB365_492:
	s_or_b32 exec_lo, exec_lo, s16
	s_clause 0x4
	buffer_load_dword v23, off, s[44:47], 0 offset:52
	buffer_load_dword v24, off, s[44:47], 0 offset:56
	;; [unrolled: 1-line block ×5, first 2 shown]
	v_mov_b32_e32 v13, 32
	s_waitcnt vmcnt(4)
	v_lshrrev_b32_e32 v99, 1, v23
.LBB365_493:
	s_or_b32 exec_lo, exec_lo, s38
	s_waitcnt vmcnt(0)
	v_xor_b32_e32 v0, 16, v25
	s_waitcnt lgkmcnt(0)
	v_xor_b32_e32 v1, 8, v25
	v_max_f32_e32 v3, v73, v73
	v_lshlrev_b32_e32 v7, 2, v36
	v_cmp_lt_i32_e32 vcc_lo, v0, v13
	v_cndmask_b32_e32 v0, v25, v0, vcc_lo
	v_cmp_lt_i32_e32 vcc_lo, v1, v13
	v_lshlrev_b32_e32 v4, 2, v0
	v_cndmask_b32_e32 v1, v25, v1, vcc_lo
	ds_bpermute_b32 v0, v4, v73
	v_lshlrev_b32_e32 v5, 2, v1
	s_waitcnt lgkmcnt(0)
	v_max_f32_e32 v0, v0, v0
	v_max_f32_e32 v0, v3, v0
	v_xor_b32_e32 v3, 4, v25
	ds_bpermute_b32 v1, v5, v0
	v_cmp_lt_i32_e32 vcc_lo, v3, v13
	v_cndmask_b32_e32 v3, v25, v3, vcc_lo
	v_lshlrev_b32_e32 v6, 2, v3
	v_xor_b32_e32 v3, 2, v25
	v_cmp_lt_i32_e32 vcc_lo, v3, v13
	s_waitcnt lgkmcnt(0)
	v_max_f32_e32 v1, v1, v1
	v_cndmask_b32_e32 v3, v25, v3, vcc_lo
	v_max_f32_e32 v0, v0, v1
	v_lshlrev_b32_e32 v3, 2, v3
	ds_bpermute_b32 v1, v6, v0
	s_waitcnt lgkmcnt(0)
	v_max_f32_e32 v1, v1, v1
	v_max_f32_e32 v1, v0, v1
	v_and_b32_e32 v0, 31, v23
	ds_bpermute_b32 v8, v3, v1
	v_cmp_eq_u32_e32 vcc_lo, 0, v0
	s_and_saveexec_b32 s1, vcc_lo
	s_cbranch_execz .LBB365_495
; %bb.494:
	s_waitcnt lgkmcnt(0)
	v_max_f32_e32 v8, v8, v8
	v_max_f32_e32 v1, v1, v1
	;; [unrolled: 1-line block ×3, first 2 shown]
	ds_write_b32 v7, v1 offset:240
.LBB365_495:
	s_or_b32 exec_lo, exec_lo, s1
	v_cmp_gt_u32_e64 s1, 4, v0
	v_mov_b32_e32 v1, 0xff7fffff
	s_waitcnt lgkmcnt(0)
	v_lshlrev_b32_e32 v8, 2, v0
	s_waitcnt_vscnt null, 0x0
	s_barrier
	buffer_gl0_inv
	s_and_saveexec_b32 s2, s1
; %bb.496:
	ds_read_b32 v1, v8 offset:240
; %bb.497:
	s_or_b32 exec_lo, exec_lo, s2
	s_waitcnt lgkmcnt(0)
	ds_bpermute_b32 v11, v3, v1
	v_xor_b32_e32 v12, 1, v25
	v_max_f32_e32 v1, v1, v1
	v_lshlrev_b32_e32 v2, 2, v2
	v_cmp_lt_i32_e64 s2, v12, v13
	v_cndmask_b32_e64 v12, v25, v12, s2
	s_sub_i32 s2, s12, s15
	s_lshl_b32 s2, s2, 4
	v_lshlrev_b32_e32 v26, 2, v12
	s_add_i32 s2, s2, s33
	s_min_i32 s2, s2, s27
	s_waitcnt lgkmcnt(0)
	v_max_f32_e32 v11, v11, v11
	s_sub_i32 s4, s2, s33
	v_cmp_gt_i32_e64 s2, s4, v23
	v_max_f32_e32 v1, v1, v11
	ds_bpermute_b32 v11, v26, v1
	s_waitcnt lgkmcnt(0)
	v_max_f32_e32 v11, v11, v11
	v_max_f32_e32 v1, v1, v11
	v_mov_b32_e32 v11, 0
	ds_bpermute_b32 v1, v2, v1
	v_lshl_add_u32 v2, v23, 2, 0x110
	s_and_saveexec_b32 s5, s2
	s_cbranch_execz .LBB365_501
; %bb.498:
	v_lshl_add_u32 v12, v23, 2, 0x110
	v_mov_b32_e32 v11, 0
	v_mov_b32_e32 v13, v23
	s_mov_b32 s15, 0
	.p2align	6
.LBB365_499:                            ; =>This Inner Loop Header: Depth=1
	ds_read_b32 v14, v12
	v_add_nc_u32_e32 v13, 0x80, v13
	v_cmp_le_i32_e64 s3, s4, v13
	s_or_b32 s15, s3, s15
	s_waitcnt lgkmcnt(0)
	v_sub_f32_e32 v14, v14, v1
	v_mul_f32_e32 v14, 0x3fb8aa3b, v14
	v_exp_f32_e32 v14, v14
	ds_write_b32 v12, v14
	v_add_f32_e32 v11, v11, v14
	v_add_nc_u32_e32 v12, 0x200, v12
	s_andn2_b32 exec_lo, exec_lo, s15
	s_cbranch_execnz .LBB365_499
; %bb.500:
	s_or_b32 exec_lo, exec_lo, s15
.LBB365_501:
	s_or_b32 exec_lo, exec_lo, s5
	ds_bpermute_b32 v4, v4, v11
	s_waitcnt lgkmcnt(0)
	v_add_f32_e32 v4, v11, v4
	ds_bpermute_b32 v5, v5, v4
	s_waitcnt lgkmcnt(0)
	v_add_f32_e32 v4, v4, v5
	;; [unrolled: 3-line block ×5, first 2 shown]
	s_and_saveexec_b32 s3, vcc_lo
; %bb.502:
	ds_write_b32 v7, v4 offset:256
; %bb.503:
	s_or_b32 exec_lo, exec_lo, s3
	s_waitcnt lgkmcnt(0)
	s_barrier
	buffer_gl0_inv
	s_and_saveexec_b32 s3, s1
; %bb.504:
	ds_read_b32 v4, v8 offset:256
; %bb.505:
	s_or_b32 exec_lo, exec_lo, s3
	s_waitcnt lgkmcnt(0)
	ds_bpermute_b32 v3, v3, v4
	v_lshlrev_b32_e32 v5, 2, v25
	s_waitcnt lgkmcnt(0)
	v_add_f32_e32 v3, v4, v3
	ds_bpermute_b32 v4, v26, v3
	s_waitcnt lgkmcnt(0)
	v_add_f32_e32 v3, v3, v4
	v_and_b32_e32 v4, 0xffffff80, v5
	ds_bpermute_b32 v3, v4, v3
	s_and_saveexec_b32 s1, s2
	s_cbranch_execz .LBB365_508
; %bb.506:
	s_waitcnt lgkmcnt(0)
	v_add_f32_e32 v4, 0x358637bd, v3
	s_mov_b32 s2, 0
	v_div_scale_f32 v5, null, v4, v4, 1.0
	v_div_scale_f32 v8, vcc_lo, 1.0, v4, 1.0
	v_rcp_f32_e32 v6, v5
	v_fma_f32 v7, -v5, v6, 1.0
	v_fmac_f32_e32 v6, v7, v6
	v_mul_f32_e32 v7, v8, v6
	v_fma_f32 v11, -v5, v7, v8
	v_fmac_f32_e32 v7, v11, v6
	v_fma_f32 v5, -v5, v7, v8
	v_div_fmas_f32 v5, v5, v6, v7
	v_div_fixup_f32 v4, v5, v4, 1.0
	v_mov_b32_e32 v5, v23
.LBB365_507:                            ; =>This Inner Loop Header: Depth=1
	ds_read_b32 v6, v2
	v_add_nc_u32_e32 v5, 0x80, v5
	v_cmp_le_i32_e32 vcc_lo, s4, v5
	s_or_b32 s2, vcc_lo, s2
	s_waitcnt lgkmcnt(0)
	v_mul_f32_e32 v6, v4, v6
	ds_write_b32 v2, v6
	v_add_nc_u32_e32 v2, 0x200, v2
	s_andn2_b32 exec_lo, exec_lo, s2
	s_cbranch_execnz .LBB365_507
.LBB365_508:
	s_or_b32 exec_lo, exec_lo, s1
	s_mul_i32 s1, s11, s26
	s_waitcnt lgkmcnt(0)
	s_mul_i32 s2, s1, s9
	s_mov_b32 s1, exec_lo
	s_barrier
	buffer_gl0_inv
	v_cmpx_eq_u32_e32 0, v23
	s_cbranch_execz .LBB365_510
; %bb.509:
	s_ashr_i32 s3, s2, 31
	s_mul_i32 s16, s11, s6
	s_lshl_b64 s[4:5], s[2:3], 2
	v_mov_b32_e32 v2, 0
	s_add_u32 s3, s22, s4
	s_addc_u32 s6, s23, s5
	s_ashr_i32 s17, s16, 31
	s_lshl_b64 s[16:17], s[16:17], 2
	s_add_u32 s3, s3, s16
	s_addc_u32 s6, s6, s17
	s_ashr_i32 s9, s8, 31
	s_lshl_b64 s[22:23], s[8:9], 2
	s_add_u32 s36, s3, s22
	s_addc_u32 s37, s6, s23
	s_add_u32 s3, s20, s4
	s_addc_u32 s4, s21, s5
	;; [unrolled: 2-line block ×4, first 2 shown]
	global_store_dword v2, v1, s[36:37]
	global_store_dword v2, v3, s[4:5]
.LBB365_510:
	s_or_b32 exec_lo, exec_lo, s1
	v_lshrrev_b32_e32 v25, 1, v0
	s_and_saveexec_b32 s1, s0
	s_xor_b32 s0, exec_lo, s1
; %bb.511:
	v_lshrrev_b32_e32 v25, 1, v0
                                        ; implicit-def: $vgpr9
                                        ; implicit-def: $vgpr15
; %bb.512:
	s_or_saveexec_b32 s3, s0
	v_mov_b32_e32 v33, 0
	v_mov_b32_e32 v34, 0
	;; [unrolled: 1-line block ×8, first 2 shown]
	s_xor_b32 exec_lo, exec_lo, s3
	s_cbranch_execz .LBB365_1014
; %bb.513:
	s_ashr_i32 s0, s14, 31
	s_add_u32 s4, s34, s14
	s_load_dword s14, s[18:19], 0x0
	v_and_b32_e32 v0, 8, v15
	v_or_b32_e32 v1, 0x70, v25
	v_lshlrev_b32_e32 v2, 5, v24
	v_lshl_add_u32 v3, v36, 4, s33
	v_mov_b32_e32 v102, v36
	v_lshl_or_b32 v35, v25, 4, v0
	v_cmp_gt_u32_e32 vcc_lo, 0x78, v1
	v_lshl_or_b32 v2, v36, 6, v2
	v_lshl_or_b32 v36, v1, 4, v0
	v_add3_u32 v37, v3, v0, 7
	v_lshlrev_b64 v[0:1], 2, v[9:10]
	s_addc_u32 s5, s35, s0
	s_lshl_b64 s[0:1], s[30:31], 2
	s_mov_b32 s9, s13
	s_add_i32 s13, s7, -1
	s_add_u32 s0, s28, s0
	s_addc_u32 s1, s29, s1
	v_add_co_u32 v12, s0, s0, v0
	v_mov_b32_e32 v100, v23
	v_mov_b32_e32 v101, v24
	;; [unrolled: 1-line block ×3, first 2 shown]
	v_add_nc_u32_e32 v38, 0x110, v2
	v_add_co_ci_u32_e64 v13, null, s1, v1, s0
	v_mov_b32_e32 v39, 0x80
	v_mov_b32_e32 v40, 0xffff
	;; [unrolled: 1-line block ×13, first 2 shown]
	s_mov_b32 s6, -1
	s_mov_b32 s7, 0xffffff
	s_mov_b32 s15, 0
	s_branch .LBB365_516
.LBB365_514:                            ;   in Loop: Header=BB365_516 Depth=1
	s_or_b32 exec_lo, exec_lo, s1
	v_lshlrev_b32_e32 v54, 16, v8
	v_lshlrev_b32_e32 v91, 16, v91
	v_and_b32_e32 v92, 0xffff0000, v8
	v_lshlrev_b32_e32 v15, 16, v15
	v_lshlrev_b32_e32 v93, 16, v7
	;; [unrolled: 1-line block ×3, first 2 shown]
	v_mul_f32_e32 v54, v54, v91
	v_and_b32_e32 v91, 0xffff0000, v7
	v_lshlrev_b32_e32 v10, 16, v10
	v_mul_f32_e32 v15, v92, v15
	v_mul_f32_e32 v14, v93, v14
	v_bfe_u32 v92, v54, 16, 1
	v_or_b32_e32 v93, 0x400000, v54
	v_mul_f32_e32 v10, v91, v10
	v_bfe_u32 v91, v15, 16, 1
	v_cmp_u_f32_e64 s0, v54, v54
	v_add3_u32 v92, v92, v54, 0x7fff
	v_or_b32_e32 v94, 0x400000, v15
	v_bfe_u32 v95, v14, 16, 1
	v_add3_u32 v91, v91, v15, 0x7fff
	v_lshlrev_b32_e32 v2, 16, v2
	v_cndmask_b32_e64 v54, v92, v93, s0
	v_lshlrev_b32_e32 v92, 16, v6
	v_cmp_u_f32_e64 s0, v15, v15
	v_or_b32_e32 v93, 0x400000, v14
	v_lshlrev_b32_e32 v1, 16, v1
	v_lshlrev_b32_e32 v4, 16, v4
	v_mul_f32_e32 v2, v92, v2
	v_cndmask_b32_e64 v15, v91, v94, s0
	v_add3_u32 v91, v95, v14, 0x7fff
	v_bfe_u32 v94, v10, 16, 1
	v_and_b32_e32 v92, 0xffff0000, v6
	v_cmp_u_f32_e64 s0, v14, v14
	v_and_b32_e32 v95, 0xffff0000, v5
	v_lshlrev_b32_e32 v3, 16, v3
	v_and_b32_e32 v15, 0xffff0000, v15
	v_mul_f32_e32 v1, v92, v1
	v_cndmask_b32_e64 v14, v91, v93, s0
	v_add3_u32 v91, v94, v10, 0x7fff
	v_or_b32_e32 v93, 0x400000, v10
	v_bfe_u32 v94, v2, 16, 1
	v_lshlrev_b32_e32 v92, 16, v5
	v_cmp_u_f32_e64 s0, v10, v10
	v_mul_f32_e32 v3, v95, v3
	v_and_b32_e32 v54, 0xffff0000, v54
	v_and_b32_e32 v14, 0xffff0000, v14
	v_mul_f32_e32 v4, v92, v4
	v_cndmask_b32_e64 v10, v91, v93, s0
	v_bfe_u32 v91, v1, 16, 1
	v_add3_u32 v93, v94, v2, 0x7fff
	v_or_b32_e32 v92, 0x400000, v2
	v_cmp_u_f32_e64 s0, v2, v2
	v_or_b32_e32 v94, 0x400000, v1
	v_add3_u32 v91, v91, v1, 0x7fff
	v_bfe_u32 v96, v3, 16, 1
	v_bfe_u32 v95, v4, 16, 1
	v_cndmask_b32_e64 v2, v93, v92, s0
	v_cmp_u_f32_e64 s0, v1, v1
	v_or_b32_e32 v93, 0x400000, v3
	v_add3_u32 v92, v96, v3, 0x7fff
	v_and_b32_e32 v10, 0xffff0000, v10
	v_add_f32_e32 v15, v54, v15
	v_cndmask_b32_e64 v1, v91, v94, s0
	v_cmp_u_f32_e64 s0, v3, v3
	v_add3_u32 v91, v95, v4, 0x7fff
	v_or_b32_e32 v94, 0x400000, v4
	v_add_f32_e32 v10, v14, v10
	v_and_b32_e32 v1, 0xffff0000, v1
	v_cndmask_b32_e64 v3, v92, v93, s0
	v_cmp_u_f32_e64 s0, v4, v4
	v_and_b32_e32 v2, 0xffff0000, v2
	v_add_f32_e32 v10, v10, v15
	v_cndmask_b32_e64 v4, v91, v94, s0
	v_add_f32_e32 v1, v2, v1
	v_and_b32_e32 v2, 0xffff0000, v3
	v_and_b32_e32 v3, 0xffff0000, v4
	v_add_f32_e32 v1, v1, v10
	v_add_f32_e32 v2, v3, v2
	;; [unrolled: 1-line block ×4, first 2 shown]
.LBB365_515:                            ;   in Loop: Header=BB365_516 Depth=1
	s_or_b32 exec_lo, exec_lo, s16
	v_and_b32_e32 v10, 0xffff0000, v8
	v_lshlrev_b32_e32 v1, 16, v24
	v_lshlrev_b32_e32 v3, 16, v8
	;; [unrolled: 1-line block ×3, first 2 shown]
	v_and_b32_e32 v2, 0xffff0000, v7
	v_lshlrev_b32_e32 v14, 16, v19
	v_mul_f32_e32 v8, v10, v1
	v_lshlrev_b32_e32 v1, 16, v7
	v_mul_f32_e32 v15, v3, v4
	v_lshlrev_b32_e32 v7, 16, v22
	v_mul_f32_e32 v14, v2, v14
	v_bfe_u32 v4, v8, 16, 1
	v_or_b32_e32 v22, 0x400000, v8
	v_bfe_u32 v19, v15, 16, 1
	v_cmp_u_f32_e64 s0, v8, v8
	v_mul_f32_e32 v7, v1, v7
	v_add3_u32 v4, v4, v8, 0x7fff
	v_or_b32_e32 v23, 0x400000, v15
	v_bfe_u32 v24, v14, 16, 1
	v_add3_u32 v19, v19, v15, 0x7fff
	v_lshlrev_b32_e32 v16, 16, v16
	v_cndmask_b32_e64 v8, v4, v22, s0
	v_and_b32_e32 v4, 0xffff0000, v6
	v_cmp_u_f32_e64 s0, v15, v15
	v_or_b32_e32 v22, 0x400000, v14
	v_lshlrev_b32_e32 v6, 16, v6
	v_lshlrev_b32_e32 v0, 16, v0
	v_mul_f32_e32 v16, v4, v16
	v_cndmask_b32_e64 v15, v19, v23, s0
	v_add3_u32 v19, v24, v14, 0x7fff
	v_bfe_u32 v23, v7, 16, 1
	v_cmp_u_f32_e64 s0, v14, v14
	v_mul_f32_e32 v24, v6, v0
	v_and_b32_e32 v0, 0xffff0000, v5
	v_lshlrev_b32_e32 v5, 16, v5
	v_lshlrev_b32_e32 v17, 16, v17
	v_cndmask_b32_e64 v14, v19, v22, s0
	v_add3_u32 v19, v23, v7, 0x7fff
	v_or_b32_e32 v22, 0x400000, v7
	v_bfe_u32 v23, v16, 16, 1
	v_cmp_u_f32_e64 s0, v7, v7
	v_lshlrev_b32_e32 v18, 16, v18
	v_mul_f32_e32 v17, v5, v17
	v_or_b32_e32 v54, 0x400000, v24
	v_and_b32_e32 v15, 0xffff0000, v15
	v_cndmask_b32_e64 v7, v19, v22, s0
	v_bfe_u32 v19, v24, 16, 1
	v_add3_u32 v22, v23, v16, 0x7fff
	v_or_b32_e32 v23, 0x400000, v16
	v_cmp_u_f32_e64 s0, v16, v16
	v_mul_f32_e32 v18, v0, v18
	v_add3_u32 v19, v19, v24, 0x7fff
	v_bfe_u32 v92, v17, 16, 1
	v_and_b32_e32 v8, 0xffff0000, v8
	v_cndmask_b32_e64 v16, v22, v23, s0
	v_cmp_u_f32_e64 s0, v24, v24
	v_bfe_u32 v91, v18, 16, 1
	v_add3_u32 v23, v92, v17, 0x7fff
	v_or_b32_e32 v24, 0x400000, v17
	v_and_b32_e32 v7, 0xffff0000, v7
	v_cndmask_b32_e64 v19, v19, v54, s0
	v_cmp_u_f32_e64 s0, v17, v17
	v_add3_u32 v22, v91, v18, 0x7fff
	v_and_b32_e32 v14, 0xffff0000, v14
	v_or_b32_e32 v54, 0x400000, v18
	v_add_f32_e32 v8, v15, v8
	v_cndmask_b32_e64 v17, v23, v24, s0
	v_cmp_u_f32_e64 s0, v18, v18
	v_add_f32_e32 v7, v7, v14
	v_and_b32_e32 v14, 0xffff0000, v19
	v_and_b32_e32 v15, 0xffff0000, v16
	v_lshlrev_b32_e32 v19, 16, v88
	v_cndmask_b32_e64 v16, v22, v54, s0
	v_add_f32_e32 v7, v7, v8
	v_lshlrev_b32_e32 v52, 16, v52
	v_add_f32_e32 v8, v14, v15
	v_and_b32_e32 v14, 0xffff0000, v17
	v_and_b32_e32 v15, 0xffff0000, v16
	v_lshlrev_b32_e32 v16, 16, v90
	v_lshlrev_b32_e32 v17, 16, v89
	v_add_f32_e32 v7, v8, v7
	v_mul_f32_e32 v52, v6, v52
	v_add_f32_e32 v8, v14, v15
	v_mul_f32_e32 v14, v10, v16
	v_mul_f32_e32 v15, v3, v17
	v_lshlrev_b32_e32 v17, 16, v86
	v_lshlrev_b32_e32 v51, 16, v51
	v_add_f32_e32 v7, v8, v7
	v_bfe_u32 v8, v14, 16, 1
	v_bfe_u32 v16, v15, 16, 1
	v_cmp_u_f32_e64 s0, v14, v14
	v_mul_f32_e32 v17, v2, v17
	v_add_f32_e32 v28, v28, v7
	v_add3_u32 v7, v8, v14, 0x7fff
	v_or_b32_e32 v8, 0x400000, v14
	v_add3_u32 v16, v16, v15, 0x7fff
	v_or_b32_e32 v18, 0x400000, v15
	v_add_nc_u32_e32 v9, 4, v9
	v_add_co_u32 v12, s1, v12, 16
	v_cndmask_b32_e64 v7, v7, v8, s0
	v_cmp_u_f32_e64 s0, v15, v15
	v_bfe_u32 v8, v17, 16, 1
	v_mul_f32_e32 v15, v1, v19
	v_lshlrev_b32_e32 v19, 16, v21
	v_lshlrev_b32_e32 v21, 16, v87
	v_cndmask_b32_e64 v14, v16, v18, s0
	v_lshlrev_b32_e32 v16, 16, v20
	v_add3_u32 v8, v8, v17, 0x7fff
	v_or_b32_e32 v18, 0x400000, v17
	v_bfe_u32 v20, v15, 16, 1
	v_cmp_u_f32_e64 s0, v17, v17
	v_mul_f32_e32 v16, v4, v16
	v_mul_f32_e32 v17, v6, v19
	v_or_b32_e32 v19, 0x400000, v15
	v_and_b32_e32 v14, 0xffff0000, v14
	v_cndmask_b32_e64 v8, v8, v18, s0
	v_add3_u32 v18, v20, v15, 0x7fff
	v_bfe_u32 v20, v16, 16, 1
	v_bfe_u32 v22, v17, 16, 1
	v_cmp_u_f32_e64 s0, v15, v15
	v_or_b32_e32 v23, 0x400000, v17
	v_and_b32_e32 v7, 0xffff0000, v7
	v_and_b32_e32 v8, 0xffff0000, v8
	v_add_nc_u32_e32 v37, 64, v37
	v_cndmask_b32_e64 v15, v18, v19, s0
	v_add3_u32 v18, v20, v16, 0x7fff
	v_mul_f32_e32 v19, v0, v21
	v_or_b32_e32 v20, 0x400000, v16
	v_add3_u32 v21, v22, v17, 0x7fff
	v_lshlrev_b32_e32 v22, 16, v85
	v_cmp_u_f32_e64 s0, v16, v16
	v_bfe_u32 v24, v19, 16, 1
	v_and_b32_e32 v15, 0xffff0000, v15
	v_add_f32_e32 v7, v14, v7
	v_add_nc_u32_e32 v38, 0x100, v38
	v_cndmask_b32_e64 v16, v18, v20, s0
	v_mul_f32_e32 v18, v5, v22
	v_cmp_u_f32_e64 s0, v17, v17
	v_add3_u32 v20, v24, v19, 0x7fff
	v_add_f32_e32 v8, v15, v8
	v_and_b32_e32 v15, 0xffff0000, v16
	v_bfe_u32 v22, v18, 16, 1
	v_cndmask_b32_e64 v17, v21, v23, s0
	v_or_b32_e32 v21, 0x400000, v19
	v_cmp_u_f32_e64 s0, v19, v19
	v_lshlrev_b32_e32 v16, 16, v84
	v_add_f32_e32 v7, v8, v7
	v_and_b32_e32 v14, 0xffff0000, v17
	v_lshlrev_b32_e32 v17, 16, v83
	v_cndmask_b32_e64 v19, v20, v21, s0
	v_add3_u32 v20, v22, v18, 0x7fff
	v_or_b32_e32 v21, 0x400000, v18
	v_cmp_u_f32_e64 s0, v18, v18
	v_mul_f32_e32 v8, v10, v16
	v_add_f32_e32 v14, v14, v15
	v_mul_f32_e32 v15, v3, v17
	v_and_b32_e32 v17, 0xffff0000, v19
	v_cndmask_b32_e64 v18, v20, v21, s0
	v_lshlrev_b32_e32 v19, 16, v80
	v_add_f32_e32 v7, v14, v7
	v_bfe_u32 v14, v15, 16, 1
	v_lshlrev_b32_e32 v21, 16, v82
	v_and_b32_e32 v16, 0xffff0000, v18
	v_bfe_u32 v18, v8, 16, 1
	v_mul_f32_e32 v19, v2, v19
	v_cmp_u_f32_e64 s0, v8, v8
	v_add3_u32 v14, v14, v15, 0x7fff
	v_add_f32_e32 v16, v16, v17
	v_add3_u32 v17, v18, v8, 0x7fff
	v_or_b32_e32 v18, 0x400000, v8
	v_or_b32_e32 v20, 0x400000, v15
	v_lshlrev_b32_e32 v23, 16, v81
	v_add_f32_e32 v7, v16, v7
	v_add_co_ci_u32_e64 v13, null, 0, v13, s1
	v_cndmask_b32_e64 v8, v17, v18, s0
	v_bfe_u32 v17, v19, 16, 1
	v_cmp_u_f32_e64 s0, v15, v15
	v_mul_f32_e32 v15, v1, v21
	v_lshlrev_b32_e32 v18, 16, v77
	v_lshlrev_b32_e32 v21, 16, v78
	v_add3_u32 v17, v17, v19, 0x7fff
	v_cndmask_b32_e64 v14, v14, v20, s0
	v_or_b32_e32 v20, 0x400000, v19
	v_bfe_u32 v22, v15, 16, 1
	v_mul_f32_e32 v18, v4, v18
	v_cmp_u_f32_e64 s0, v19, v19
	v_mul_f32_e32 v19, v6, v21
	v_or_b32_e32 v21, 0x400000, v15
	v_and_b32_e32 v14, 0xffff0000, v14
	v_and_b32_e32 v8, 0xffff0000, v8
	v_cndmask_b32_e64 v17, v17, v20, s0
	v_add3_u32 v20, v22, v15, 0x7fff
	v_bfe_u32 v22, v18, 16, 1
	v_bfe_u32 v24, v19, 16, 1
	v_cmp_u_f32_e64 s0, v15, v15
	v_or_b32_e32 v54, 0x400000, v19
	v_and_b32_e32 v17, 0xffff0000, v17
	v_add_f32_e32 v8, v14, v8
	v_add_f32_e32 v29, v29, v7
	v_cndmask_b32_e64 v15, v20, v21, s0
	v_add3_u32 v20, v22, v18, 0x7fff
	v_mul_f32_e32 v21, v0, v23
	v_or_b32_e32 v22, 0x400000, v18
	v_add3_u32 v23, v24, v19, 0x7fff
	v_lshlrev_b32_e32 v24, 16, v79
	v_cmp_u_f32_e64 s0, v18, v18
	v_bfe_u32 v77, v21, 16, 1
	v_and_b32_e32 v15, 0xffff0000, v15
	v_cndmask_b32_e64 v18, v20, v22, s0
	v_mul_f32_e32 v20, v5, v24
	v_cmp_u_f32_e64 s0, v19, v19
	v_add3_u32 v22, v77, v21, 0x7fff
	v_add_f32_e32 v14, v15, v17
	v_and_b32_e32 v17, 0xffff0000, v18
	v_bfe_u32 v24, v20, 16, 1
	v_cndmask_b32_e64 v19, v23, v54, s0
	v_or_b32_e32 v23, 0x400000, v21
	v_cmp_u_f32_e64 s0, v21, v21
	v_add_f32_e32 v8, v14, v8
	v_lshlrev_b32_e32 v14, 16, v76
	v_and_b32_e32 v15, 0xffff0000, v19
	v_cndmask_b32_e64 v21, v22, v23, s0
	v_add3_u32 v22, v24, v20, 0x7fff
	v_or_b32_e32 v23, 0x400000, v20
	v_cmp_u_f32_e64 s0, v20, v20
	v_add_f32_e32 v15, v15, v17
	v_lshlrev_b32_e32 v17, 16, v75
	v_and_b32_e32 v19, 0xffff0000, v21
	v_mul_f32_e32 v14, v10, v14
	v_cndmask_b32_e64 v18, v22, v23, s0
	v_add_f32_e32 v8, v15, v8
	v_mul_f32_e32 v16, v3, v17
	v_lshlrev_b32_e32 v20, 16, v74
	v_bfe_u32 v17, v14, 16, 1
	v_and_b32_e32 v18, 0xffff0000, v18
	v_cmp_u_f32_e64 s0, v14, v14
	v_lshlrev_b32_e32 v22, 16, v73
	v_add_f32_e32 v15, v18, v19
	v_bfe_u32 v18, v16, 16, 1
	v_lshlrev_b32_e32 v19, 16, v72
	v_add_f32_e32 v7, v15, v8
	v_add3_u32 v8, v17, v14, 0x7fff
	v_or_b32_e32 v15, 0x400000, v14
	v_add3_u32 v17, v18, v16, 0x7fff
	v_mul_f32_e32 v18, v2, v19
	v_or_b32_e32 v19, 0x400000, v16
	v_add_f32_e32 v30, v30, v7
	v_cndmask_b32_e64 v8, v8, v15, s0
	v_cmp_u_f32_e64 s0, v16, v16
	v_bfe_u32 v14, v18, 16, 1
	v_mul_f32_e32 v16, v1, v20
	v_lshlrev_b32_e32 v20, 16, v70
	v_and_b32_e32 v8, 0xffff0000, v8
	v_cndmask_b32_e64 v15, v17, v19, s0
	v_lshlrev_b32_e32 v17, 16, v69
	v_add3_u32 v14, v14, v18, 0x7fff
	v_or_b32_e32 v19, 0x400000, v18
	v_bfe_u32 v21, v16, 16, 1
	v_cmp_u_f32_e64 s0, v18, v18
	v_mul_f32_e32 v17, v4, v17
	v_mul_f32_e32 v18, v6, v20
	v_or_b32_e32 v20, 0x400000, v16
	v_and_b32_e32 v15, 0xffff0000, v15
	v_cndmask_b32_e64 v14, v14, v19, s0
	v_add3_u32 v19, v21, v16, 0x7fff
	v_bfe_u32 v21, v17, 16, 1
	v_bfe_u32 v23, v18, 16, 1
	v_cmp_u_f32_e64 s0, v16, v16
	v_or_b32_e32 v24, 0x400000, v18
	v_and_b32_e32 v14, 0xffff0000, v14
	v_add_f32_e32 v8, v15, v8
	v_cndmask_b32_e64 v16, v19, v20, s0
	v_add3_u32 v19, v21, v17, 0x7fff
	v_mul_f32_e32 v20, v0, v22
	v_or_b32_e32 v21, 0x400000, v17
	v_add3_u32 v22, v23, v18, 0x7fff
	v_lshlrev_b32_e32 v23, 16, v71
	v_cmp_u_f32_e64 s0, v17, v17
	v_bfe_u32 v54, v20, 16, 1
	v_and_b32_e32 v16, 0xffff0000, v16
	v_cndmask_b32_e64 v17, v19, v21, s0
	v_mul_f32_e32 v19, v5, v23
	v_cmp_u_f32_e64 s0, v18, v18
	v_add3_u32 v21, v54, v20, 0x7fff
	v_add_f32_e32 v14, v16, v14
	v_and_b32_e32 v16, 0xffff0000, v17
	v_bfe_u32 v23, v19, 16, 1
	v_cndmask_b32_e64 v18, v22, v24, s0
	v_or_b32_e32 v22, 0x400000, v20
	v_cmp_u_f32_e64 s0, v20, v20
	v_lshlrev_b32_e32 v17, 16, v68
	v_add_f32_e32 v8, v14, v8
	v_and_b32_e32 v15, 0xffff0000, v18
	v_cndmask_b32_e64 v20, v21, v22, s0
	v_add3_u32 v21, v23, v19, 0x7fff
	v_or_b32_e32 v22, 0x400000, v19
	v_cmp_u_f32_e64 s0, v19, v19
	v_lshlrev_b32_e32 v19, 16, v67
	v_add_f32_e32 v14, v15, v16
	v_mul_f32_e32 v15, v10, v17
	v_lshlrev_b32_e32 v23, 16, v66
	v_cndmask_b32_e64 v18, v21, v22, s0
	v_mul_f32_e32 v17, v3, v19
	v_lshlrev_b32_e32 v19, 16, v64
	v_add_f32_e32 v8, v14, v8
	v_cmp_u_f32_e64 s0, v15, v15
	v_and_b32_e32 v16, 0xffff0000, v18
	v_and_b32_e32 v18, 0xffff0000, v20
	v_bfe_u32 v20, v15, 16, 1
	v_bfe_u32 v21, v17, 16, 1
	v_add_f32_e32 v14, v16, v18
	v_mul_f32_e32 v16, v2, v19
	v_add3_u32 v18, v20, v15, 0x7fff
	v_or_b32_e32 v19, 0x400000, v15
	v_add3_u32 v20, v21, v17, 0x7fff
	v_or_b32_e32 v21, 0x400000, v17
	v_bfe_u32 v22, v16, 16, 1
	v_cndmask_b32_e64 v15, v18, v19, s0
	v_cmp_u_f32_e64 s0, v17, v17
	v_mul_f32_e32 v18, v1, v23
	v_add3_u32 v19, v22, v16, 0x7fff
	v_lshlrev_b32_e32 v22, 16, v62
	v_and_b32_e32 v15, 0xffff0000, v15
	v_cndmask_b32_e64 v17, v20, v21, s0
	v_or_b32_e32 v20, 0x400000, v16
	v_lshlrev_b32_e32 v21, 16, v61
	v_cmp_u_f32_e64 s0, v16, v16
	v_bfe_u32 v23, v18, 16, 1
	v_and_b32_e32 v17, 0xffff0000, v17
	v_cndmask_b32_e64 v16, v19, v20, s0
	v_mul_f32_e32 v19, v4, v21
	v_mul_f32_e32 v20, v6, v22
	v_add3_u32 v21, v23, v18, 0x7fff
	v_or_b32_e32 v22, 0x400000, v18
	v_lshlrev_b32_e32 v23, 16, v65
	v_bfe_u32 v24, v19, 16, 1
	v_cmp_u_f32_e64 s0, v18, v18
	v_bfe_u32 v54, v20, 16, 1
	v_and_b32_e32 v16, 0xffff0000, v16
	v_add_f32_e32 v15, v17, v15
	v_cndmask_b32_e64 v18, v21, v22, s0
	v_mul_f32_e32 v21, v0, v23
	v_add3_u32 v22, v24, v19, 0x7fff
	v_or_b32_e32 v23, 0x400000, v19
	v_cmp_u_f32_e64 s0, v19, v19
	v_add3_u32 v24, v54, v20, 0x7fff
	v_or_b32_e32 v54, 0x400000, v20
	v_bfe_u32 v61, v21, 16, 1
	v_and_b32_e32 v18, 0xffff0000, v18
	v_cndmask_b32_e64 v19, v22, v23, s0
	v_lshlrev_b32_e32 v22, 16, v63
	v_cmp_u_f32_e64 s0, v20, v20
	v_add3_u32 v23, v61, v21, 0x7fff
	v_add_f32_e32 v16, v18, v16
	v_lshlrev_b32_e32 v18, 16, v60
	v_mul_f32_e32 v22, v5, v22
	v_cndmask_b32_e64 v20, v24, v54, s0
	v_or_b32_e32 v24, 0x400000, v21
	v_cmp_u_f32_e64 s0, v21, v21
	v_and_b32_e32 v19, 0xffff0000, v19
	v_add_f32_e32 v15, v16, v15
	v_and_b32_e32 v17, 0xffff0000, v20
	v_mul_f32_e32 v16, v10, v18
	v_cndmask_b32_e64 v21, v23, v24, s0
	v_bfe_u32 v23, v22, 16, 1
	v_cmp_u_f32_e64 s0, v22, v22
	v_add_f32_e32 v17, v17, v19
	v_lshlrev_b32_e32 v19, 16, v59
	v_lshlrev_b32_e32 v24, 16, v53
	v_add3_u32 v20, v23, v22, 0x7fff
	v_or_b32_e32 v23, 0x400000, v22
	v_add_f32_e32 v15, v17, v15
	v_lshlrev_b32_e32 v17, 16, v56
	v_mul_f32_e32 v19, v3, v19
	v_or_b32_e32 v22, 0x400000, v16
	v_cndmask_b32_e64 v18, v20, v23, s0
	v_bfe_u32 v20, v16, 16, 1
	v_cmp_u_f32_e64 s0, v16, v16
	v_mul_f32_e32 v17, v2, v17
	v_bfe_u32 v23, v19, 16, 1
	v_or_b32_e32 v53, 0x400000, v19
	v_add3_u32 v20, v20, v16, 0x7fff
	v_mul_f32_e32 v24, v4, v24
	v_or_b32_e32 v54, 0x400000, v17
	v_add3_u32 v23, v23, v19, 0x7fff
	v_mul_f32_e32 v10, v10, v51
	v_cndmask_b32_e64 v16, v20, v22, s0
	v_lshlrev_b32_e32 v22, 16, v58
	v_bfe_u32 v20, v17, 16, 1
	v_cmp_u_f32_e64 s0, v19, v19
	v_or_b32_e32 v56, 0x400000, v24
	v_and_b32_e32 v16, 0xffff0000, v16
	v_mul_f32_e32 v22, v1, v22
	v_add3_u32 v20, v20, v17, 0x7fff
	v_cndmask_b32_e64 v19, v23, v53, s0
	v_cmp_u_f32_e64 s0, v17, v17
	v_lshlrev_b32_e32 v53, 16, v57
	v_bfe_u32 v23, v22, 16, 1
	v_and_b32_e32 v18, 0xffff0000, v18
	v_and_b32_e32 v19, 0xffff0000, v19
	v_cndmask_b32_e64 v17, v20, v54, s0
	v_bfe_u32 v20, v24, 16, 1
	v_add3_u32 v23, v23, v22, 0x7fff
	v_or_b32_e32 v54, 0x400000, v22
	v_cmp_u_f32_e64 s0, v22, v22
	v_mul_f32_e32 v53, v0, v53
	v_add3_u32 v20, v20, v24, 0x7fff
	v_and_b32_e32 v17, 0xffff0000, v17
	v_add_f32_e32 v16, v19, v16
	v_cndmask_b32_e64 v22, v23, v54, s0
	v_bfe_u32 v23, v52, 16, 1
	v_cmp_u_f32_e64 s0, v24, v24
	v_lshlrev_b32_e32 v24, 16, v55
	v_bfe_u32 v54, v53, 16, 1
	v_or_b32_e32 v55, 0x400000, v52
	v_add3_u32 v23, v23, v52, 0x7fff
	v_cndmask_b32_e64 v20, v20, v56, s0
	v_mul_f32_e32 v24, v5, v24
	v_cmp_u_f32_e64 s0, v52, v52
	v_add3_u32 v54, v54, v53, 0x7fff
	v_or_b32_e32 v56, 0x400000, v53
	v_and_b32_e32 v22, 0xffff0000, v22
	v_and_b32_e32 v20, 0xffff0000, v20
	v_cndmask_b32_e64 v23, v23, v55, s0
	v_cmp_u_f32_e64 s0, v53, v53
	v_bfe_u32 v53, v24, 16, 1
	v_add_f32_e32 v17, v22, v17
	v_lshlrev_b32_e32 v22, 16, v50
	v_and_b32_e32 v19, 0xffff0000, v23
	v_cndmask_b32_e64 v52, v54, v56, s0
	v_add3_u32 v53, v53, v24, 0x7fff
	v_or_b32_e32 v54, 0x400000, v24
	v_cmp_u_f32_e64 s0, v24, v24
	v_add_f32_e32 v16, v17, v16
	v_bfe_u32 v17, v10, 16, 1
	v_add_f32_e32 v19, v19, v20
	v_mul_f32_e32 v3, v3, v22
	v_cndmask_b32_e64 v23, v53, v54, s0
	v_lshlrev_b32_e32 v20, 16, v47
	v_add3_u32 v17, v17, v10, 0x7fff
	v_cmp_u_f32_e64 s0, v10, v10
	v_bfe_u32 v24, v3, 16, 1
	v_and_b32_e32 v22, 0xffff0000, v23
	v_or_b32_e32 v23, 0x400000, v10
	v_mul_f32_e32 v2, v2, v20
	v_lshlrev_b32_e32 v20, 16, v49
	v_and_b32_e32 v21, 0xffff0000, v21
	v_cndmask_b32_e64 v10, v17, v23, s0
	v_add3_u32 v17, v24, v3, 0x7fff
	v_or_b32_e32 v23, 0x400000, v3
	v_bfe_u32 v24, v2, 16, 1
	v_mul_f32_e32 v1, v1, v20
	v_lshlrev_b32_e32 v20, 16, v44
	v_cmp_u_f32_e64 s0, v3, v3
	v_lshlrev_b32_e32 v44, 16, v46
	v_and_b32_e32 v10, 0xffff0000, v10
	v_mul_f32_e32 v4, v4, v20
	v_cndmask_b32_e64 v3, v17, v23, s0
	v_add3_u32 v17, v24, v2, 0x7fff
	v_or_b32_e32 v23, 0x400000, v2
	v_bfe_u32 v24, v1, 16, 1
	v_lshlrev_b32_e32 v20, 16, v45
	v_cmp_u_f32_e64 s0, v2, v2
	v_mul_f32_e32 v5, v5, v44
	v_and_b32_e32 v3, 0xffff0000, v3
	v_mul_f32_e32 v6, v6, v20
	v_cndmask_b32_e64 v2, v17, v23, s0
	v_add3_u32 v17, v24, v1, 0x7fff
	v_or_b32_e32 v23, 0x400000, v1
	v_bfe_u32 v24, v4, 16, 1
	v_lshlrev_b32_e32 v20, 16, v48
	v_cmp_u_f32_e64 s0, v1, v1
	v_bfe_u32 v45, v5, 16, 1
	v_and_b32_e32 v2, 0xffff0000, v2
	v_add_f32_e32 v3, v3, v10
	v_mul_f32_e32 v0, v0, v20
	v_cndmask_b32_e64 v1, v17, v23, s0
	v_bfe_u32 v17, v6, 16, 1
	v_add3_u32 v23, v24, v4, 0x7fff
	v_or_b32_e32 v20, 0x400000, v4
	v_cmp_u_f32_e64 s0, v4, v4
	v_or_b32_e32 v24, 0x400000, v6
	v_add3_u32 v17, v17, v6, 0x7fff
	v_bfe_u32 v44, v0, 16, 1
	v_and_b32_e32 v1, 0xffff0000, v1
	v_cndmask_b32_e64 v4, v23, v20, s0
	v_cmp_u_f32_e64 s0, v6, v6
	v_add3_u32 v20, v45, v5, 0x7fff
	v_or_b32_e32 v23, 0x400000, v5
	v_add_f32_e32 v1, v1, v2
	v_and_b32_e32 v4, 0xffff0000, v4
	v_cndmask_b32_e64 v6, v17, v24, s0
	v_cmp_u_f32_e64 s0, v5, v5
	v_add3_u32 v17, v44, v0, 0x7fff
	v_or_b32_e32 v24, 0x400000, v0
	v_add_f32_e32 v1, v1, v3
	v_and_b32_e32 v2, 0xffff0000, v6
	v_cndmask_b32_e64 v5, v20, v23, s0
	v_cmp_u_f32_e64 s0, v0, v0
	v_and_b32_e32 v6, 0xffff0000, v52
	v_add_f32_e32 v2, v2, v4
	v_and_b32_e32 v3, 0xffff0000, v5
	v_cndmask_b32_e64 v0, v17, v24, s0
	v_add_f32_e32 v4, v18, v21
	v_add_f32_e32 v5, v19, v16
	;; [unrolled: 1-line block ×4, first 2 shown]
	v_and_b32_e32 v0, 0xffff0000, v0
	v_add_f32_e32 v2, v14, v8
	v_cmp_le_i32_e64 s0, s12, v9
	v_add_f32_e32 v0, v3, v0
	v_add_f32_e32 v3, v4, v15
	;; [unrolled: 1-line block ×4, first 2 shown]
	s_or_b32 s15, s0, s15
	v_add_f32_e32 v0, v0, v1
	v_add_f32_e32 v32, v32, v3
	;; [unrolled: 1-line block ×4, first 2 shown]
	s_andn2_b32 exec_lo, exec_lo, s15
	s_cbranch_execz .LBB365_1013
.LBB365_516:                            ; =>This Inner Loop Header: Depth=1
	global_load_dword v0, v[12:13], off
	s_waitcnt vmcnt(0)
	v_mad_i64_i32 v[14:15], null, v0, s9, s[4:5]
	v_mov_b32_e32 v0, 0
	v_add_co_u32 v16, s0, v14, v35
	v_add_co_ci_u32_e64 v17, null, 0, v15, s0
	global_load_dwordx2 v[18:19], v[16:17], off
	ds_read2_b64 v[5:8], v38 offset1:1
	ds_read2_b64 v[1:4], v38 offset0:2 offset1:3
	s_waitcnt vmcnt(0)
	v_cmp_ne_u16_sdwa s0, v18, v11 src0_sel:BYTE_0 src1_sel:DWORD
	s_and_saveexec_b32 s1, s0
	s_cbranch_execz .LBB365_522
; %bb.517:                              ;   in Loop: Header=BB365_516 Depth=1
	v_cmp_ne_u16_sdwa s0, v18, v39 src0_sel:BYTE_0 src1_sel:DWORD
	v_bfrev_b32_e32 v0, 1
	s_and_saveexec_b32 s16, s0
	s_cbranch_execz .LBB365_521
; %bb.518:                              ;   in Loop: Header=BB365_516 Depth=1
	v_and_b32_e32 v10, 0x7f, v18
	v_mov_b32_e32 v0, 0x7f800001
	s_mov_b32 s17, exec_lo
	v_cmpx_ne_u32_e32 0x7f, v10
	s_cbranch_execz .LBB365_520
; %bb.519:                              ;   in Loop: Header=BB365_516 Depth=1
	v_and_b32_e32 v0, 7, v18
	v_cmp_gt_u32_e64 s0, 8, v10
	v_lshrrev_b32_e32 v20, 3, v10
	v_ffbh_u32_e32 v0, v0
	v_min_u32_e32 v0, 32, v0
	v_subrev_nc_u32_e32 v21, 28, v0
	v_sub_nc_u32_e32 v0, 29, v0
	v_cndmask_b32_e64 v10, 0, v21, s0
	v_cndmask_b32_e64 v0, v20, v0, s0
	v_lshlrev_b64 v[20:21], v10, v[18:19]
	v_lshlrev_b32_e32 v10, 24, v18
	v_lshl_add_u32 v0, v0, 23, 0x3c000000
	v_and_b32_e32 v10, 0x80000000, v10
	v_lshlrev_b32_e32 v20, 20, v20
	v_and_b32_e32 v20, 0x700000, v20
	v_or3_b32 v0, v20, v10, v0
.LBB365_520:                            ;   in Loop: Header=BB365_516 Depth=1
	s_or_b32 exec_lo, exec_lo, s17
.LBB365_521:                            ;   in Loop: Header=BB365_516 Depth=1
	s_or_b32 exec_lo, exec_lo, s16
.LBB365_522:                            ;   in Loop: Header=BB365_516 Depth=1
	s_or_b32 exec_lo, exec_lo, s1
	v_cmp_ne_u16_sdwa s0, v18, v11 src0_sel:BYTE_1 src1_sel:DWORD
	v_mov_b32_e32 v23, 0
	v_mov_b32_e32 v22, 0
	s_and_saveexec_b32 s1, s0
	s_cbranch_execz .LBB365_530
; %bb.523:                              ;   in Loop: Header=BB365_516 Depth=1
	v_cmp_ne_u16_sdwa s0, v18, v39 src0_sel:BYTE_1 src1_sel:DWORD
	v_bfrev_b32_e32 v22, 1
	s_and_saveexec_b32 s16, s0
	s_cbranch_execz .LBB365_529
; %bb.524:                              ;   in Loop: Header=BB365_516 Depth=1
	v_and_b32_sdwa v10, v40, v18 dst_sel:DWORD dst_unused:UNUSED_PAD src0_sel:DWORD src1_sel:BYTE_1
	v_mov_b32_e32 v22, 0x7f800001
	s_mov_b32 s17, exec_lo
	v_and_b32_e32 v21, 0x7f, v10
	v_cmpx_ne_u32_e32 0x7f, v21
	s_cbranch_execz .LBB365_528
; %bb.525:                              ;   in Loop: Header=BB365_516 Depth=1
	v_and_b32_e32 v10, 7, v10
	v_lshrrev_b32_e32 v20, 3, v21
	s_mov_b32 s18, exec_lo
	v_cmpx_gt_u32_e32 8, v21
; %bb.526:                              ;   in Loop: Header=BB365_516 Depth=1
	v_ffbh_u32_e32 v20, v10
	v_min_u32_e32 v20, 32, v20
	v_subrev_nc_u32_e32 v21, 28, v20
	v_sub_nc_u32_e32 v20, 29, v20
	v_lshlrev_b64 v[21:22], v21, v[10:11]
	v_and_b32_e32 v10, 7, v21
; %bb.527:                              ;   in Loop: Header=BB365_516 Depth=1
	s_or_b32 exec_lo, exec_lo, s18
	v_lshlrev_b32_e32 v21, 16, v18
	v_lshlrev_b32_e32 v10, 20, v10
	v_lshl_add_u32 v20, v20, 23, 0x3c000000
	v_and_b32_e32 v21, 0x80000000, v21
	v_or3_b32 v22, v10, v21, v20
.LBB365_528:                            ;   in Loop: Header=BB365_516 Depth=1
	s_or_b32 exec_lo, exec_lo, s17
.LBB365_529:                            ;   in Loop: Header=BB365_516 Depth=1
	s_or_b32 exec_lo, exec_lo, s16
.LBB365_530:                            ;   in Loop: Header=BB365_516 Depth=1
	s_or_b32 exec_lo, exec_lo, s1
	v_and_b32_sdwa v10, v18, v41 dst_sel:DWORD dst_unused:UNUSED_PAD src0_sel:WORD_1 src1_sel:DWORD
	s_mov_b32 s1, exec_lo
	v_cmpx_ne_u16_e32 0, v10
	s_cbranch_execz .LBB365_538
; %bb.531:                              ;   in Loop: Header=BB365_516 Depth=1
	v_bfrev_b32_e32 v23, 1
	s_mov_b32 s16, exec_lo
	v_cmpx_ne_u16_e32 0x80, v10
	s_cbranch_execz .LBB365_537
; %bb.532:                              ;   in Loop: Header=BB365_516 Depth=1
	v_bfe_u32 v21, v18, 16, 7
	v_mov_b32_e32 v23, 0x7f800001
	s_mov_b32 s17, exec_lo
	v_cmpx_ne_u32_e32 0x7f, v21
	s_cbranch_execz .LBB365_536
; %bb.533:                              ;   in Loop: Header=BB365_516 Depth=1
	v_and_b32_sdwa v10, v18, v42 dst_sel:DWORD dst_unused:UNUSED_PAD src0_sel:WORD_1 src1_sel:DWORD
	v_lshrrev_b32_e32 v20, 3, v21
	s_mov_b32 s18, exec_lo
	v_cmpx_gt_u32_e32 8, v21
; %bb.534:                              ;   in Loop: Header=BB365_516 Depth=1
	v_ffbh_u32_e32 v20, v10
	v_min_u32_e32 v20, 32, v20
	v_subrev_nc_u32_e32 v21, 28, v20
	v_sub_nc_u32_e32 v20, 29, v20
	v_lshlrev_b64 v[23:24], v21, v[10:11]
	v_and_b32_e32 v10, 7, v23
; %bb.535:                              ;   in Loop: Header=BB365_516 Depth=1
	s_or_b32 exec_lo, exec_lo, s18
	v_lshlrev_b32_sdwa v21, v43, v18 dst_sel:DWORD dst_unused:UNUSED_PAD src0_sel:DWORD src1_sel:WORD_1
	v_lshlrev_b32_e32 v10, 20, v10
	v_lshl_add_u32 v20, v20, 23, 0x3c000000
	v_and_b32_e32 v21, 0x80000000, v21
	v_or3_b32 v23, v10, v21, v20
.LBB365_536:                            ;   in Loop: Header=BB365_516 Depth=1
	s_or_b32 exec_lo, exec_lo, s17
.LBB365_537:                            ;   in Loop: Header=BB365_516 Depth=1
	s_or_b32 exec_lo, exec_lo, s16
.LBB365_538:                            ;   in Loop: Header=BB365_516 Depth=1
	s_or_b32 exec_lo, exec_lo, s1
	v_mov_b32_e32 v24, 0
	v_mov_b32_e32 v44, 0
	s_mov_b32 s1, exec_lo
	v_cmpx_lt_u32_e32 0xffffff, v18
	s_cbranch_execz .LBB365_546
; %bb.539:                              ;   in Loop: Header=BB365_516 Depth=1
	v_cmp_ne_u32_sdwa s0, v18, v39 src0_sel:BYTE_3 src1_sel:DWORD
	v_bfrev_b32_e32 v44, 1
	s_and_saveexec_b32 s16, s0
	s_cbranch_execz .LBB365_545
; %bb.540:                              ;   in Loop: Header=BB365_516 Depth=1
	v_bfe_u32 v21, v18, 24, 7
	v_mov_b32_e32 v44, 0x7f800001
	s_mov_b32 s17, exec_lo
	v_cmpx_ne_u32_e32 0x7f, v21
	s_cbranch_execz .LBB365_544
; %bb.541:                              ;   in Loop: Header=BB365_516 Depth=1
	v_and_b32_sdwa v10, v18, v42 dst_sel:DWORD dst_unused:UNUSED_PAD src0_sel:BYTE_3 src1_sel:DWORD
	v_lshrrev_b32_e32 v20, 3, v21
	s_mov_b32 s18, exec_lo
	v_cmpx_gt_u32_e32 8, v21
; %bb.542:                              ;   in Loop: Header=BB365_516 Depth=1
	v_ffbh_u32_e32 v20, v10
	v_min_u32_e32 v20, 32, v20
	v_subrev_nc_u32_e32 v21, 28, v20
	v_sub_nc_u32_e32 v20, 29, v20
	v_lshlrev_b64 v[44:45], v21, v[10:11]
	v_and_b32_e32 v10, 7, v44
; %bb.543:                              ;   in Loop: Header=BB365_516 Depth=1
	s_or_b32 exec_lo, exec_lo, s18
	v_lshlrev_b32_sdwa v21, v43, v18 dst_sel:DWORD dst_unused:UNUSED_PAD src0_sel:DWORD src1_sel:BYTE_3
	v_lshlrev_b32_e32 v10, 20, v10
	v_lshl_add_u32 v20, v20, 23, 0x3c000000
	v_and_b32_e32 v21, 0x80000000, v21
	v_or3_b32 v44, v10, v21, v20
.LBB365_544:                            ;   in Loop: Header=BB365_516 Depth=1
	s_or_b32 exec_lo, exec_lo, s17
.LBB365_545:                            ;   in Loop: Header=BB365_516 Depth=1
	s_or_b32 exec_lo, exec_lo, s16
.LBB365_546:                            ;   in Loop: Header=BB365_516 Depth=1
	s_or_b32 exec_lo, exec_lo, s1
	v_mov_b32_e32 v10, v19
	v_cmp_ne_u16_sdwa s0, v19, v11 src0_sel:BYTE_0 src1_sel:DWORD
	s_and_saveexec_b32 s1, s0
	s_cbranch_execz .LBB365_552
; %bb.547:                              ;   in Loop: Header=BB365_516 Depth=1
	v_cmp_ne_u16_sdwa s0, v19, v39 src0_sel:BYTE_0 src1_sel:DWORD
	v_bfrev_b32_e32 v24, 1
	s_and_saveexec_b32 s16, s0
	s_cbranch_execz .LBB365_551
; %bb.548:                              ;   in Loop: Header=BB365_516 Depth=1
	v_and_b32_e32 v20, 0x7f, v19
	v_mov_b32_e32 v24, 0x7f800001
	s_mov_b32 s17, exec_lo
	v_cmpx_ne_u32_e32 0x7f, v20
	s_cbranch_execz .LBB365_550
; %bb.549:                              ;   in Loop: Header=BB365_516 Depth=1
	v_and_b32_e32 v21, 7, v19
	v_cmp_gt_u32_e64 s0, 8, v20
	v_lshrrev_b32_e32 v24, 3, v20
	v_ffbh_u32_e32 v21, v21
	v_min_u32_e32 v21, 32, v21
	v_subrev_nc_u32_e32 v45, 28, v21
	v_sub_nc_u32_e32 v21, 29, v21
	v_cndmask_b32_e64 v20, 0, v45, s0
	v_cndmask_b32_e64 v24, v24, v21, s0
	v_lshlrev_b64 v[20:21], v20, v[10:11]
	v_lshlrev_b32_e32 v21, 24, v10
	v_lshl_add_u32 v24, v24, 23, 0x3c000000
	v_lshlrev_b32_e32 v20, 20, v20
	v_and_b32_e32 v21, 0x80000000, v21
	v_and_b32_e32 v20, 0x700000, v20
	v_or3_b32 v24, v20, v21, v24
.LBB365_550:                            ;   in Loop: Header=BB365_516 Depth=1
	s_or_b32 exec_lo, exec_lo, s17
.LBB365_551:                            ;   in Loop: Header=BB365_516 Depth=1
	s_or_b32 exec_lo, exec_lo, s16
.LBB365_552:                            ;   in Loop: Header=BB365_516 Depth=1
	s_or_b32 exec_lo, exec_lo, s1
	v_cmp_ne_u16_sdwa s0, v10, v11 src0_sel:BYTE_1 src1_sel:DWORD
	v_mov_b32_e32 v46, 0
	v_mov_b32_e32 v20, 0
	s_and_saveexec_b32 s1, s0
	s_cbranch_execz .LBB365_560
; %bb.553:                              ;   in Loop: Header=BB365_516 Depth=1
	v_cmp_ne_u16_sdwa s0, v10, v39 src0_sel:BYTE_1 src1_sel:DWORD
	v_bfrev_b32_e32 v20, 1
	s_and_saveexec_b32 s16, s0
	s_cbranch_execz .LBB365_559
; %bb.554:                              ;   in Loop: Header=BB365_516 Depth=1
	v_and_b32_sdwa v21, v40, v10 dst_sel:DWORD dst_unused:UNUSED_PAD src0_sel:DWORD src1_sel:BYTE_1
	v_mov_b32_e32 v20, 0x7f800001
	s_mov_b32 s17, exec_lo
	v_and_b32_e32 v47, 0x7f, v21
	v_cmpx_ne_u32_e32 0x7f, v47
	s_cbranch_execz .LBB365_558
; %bb.555:                              ;   in Loop: Header=BB365_516 Depth=1
	v_and_b32_e32 v20, 7, v21
	v_mov_b32_e32 v21, v11
	v_lshrrev_b32_e32 v45, 3, v47
	s_mov_b32 s18, exec_lo
	v_cmpx_gt_u32_e32 8, v47
; %bb.556:                              ;   in Loop: Header=BB365_516 Depth=1
	v_ffbh_u32_e32 v45, v20
	v_min_u32_e32 v45, 32, v45
	v_subrev_nc_u32_e32 v47, 28, v45
	v_sub_nc_u32_e32 v45, 29, v45
	v_lshlrev_b64 v[20:21], v47, v[20:21]
	v_and_b32_e32 v20, 7, v20
; %bb.557:                              ;   in Loop: Header=BB365_516 Depth=1
	s_or_b32 exec_lo, exec_lo, s18
	v_lshlrev_b32_e32 v10, 16, v10
	v_lshlrev_b32_e32 v20, 20, v20
	v_lshl_add_u32 v21, v45, 23, 0x3c000000
	v_and_b32_e32 v10, 0x80000000, v10
	v_or3_b32 v20, v20, v10, v21
.LBB365_558:                            ;   in Loop: Header=BB365_516 Depth=1
	s_or_b32 exec_lo, exec_lo, s17
.LBB365_559:                            ;   in Loop: Header=BB365_516 Depth=1
	s_or_b32 exec_lo, exec_lo, s16
.LBB365_560:                            ;   in Loop: Header=BB365_516 Depth=1
	s_or_b32 exec_lo, exec_lo, s1
	v_and_b32_sdwa v10, v19, v41 dst_sel:DWORD dst_unused:UNUSED_PAD src0_sel:WORD_1 src1_sel:DWORD
	s_mov_b32 s1, exec_lo
	v_cmpx_ne_u16_e32 0, v10
	s_cbranch_execz .LBB365_568
; %bb.561:                              ;   in Loop: Header=BB365_516 Depth=1
	v_bfrev_b32_e32 v46, 1
	s_mov_b32 s16, exec_lo
	v_cmpx_ne_u16_e32 0x80, v10
	s_cbranch_execz .LBB365_567
; %bb.562:                              ;   in Loop: Header=BB365_516 Depth=1
	v_bfe_u32 v45, v19, 16, 7
	v_mov_b32_e32 v46, 0x7f800001
	s_mov_b32 s17, exec_lo
	v_cmpx_ne_u32_e32 0x7f, v45
	s_cbranch_execz .LBB365_566
; %bb.563:                              ;   in Loop: Header=BB365_516 Depth=1
	v_and_b32_sdwa v10, v19, v42 dst_sel:DWORD dst_unused:UNUSED_PAD src0_sel:WORD_1 src1_sel:DWORD
	v_lshrrev_b32_e32 v21, 3, v45
	s_mov_b32 s18, exec_lo
	v_cmpx_gt_u32_e32 8, v45
; %bb.564:                              ;   in Loop: Header=BB365_516 Depth=1
	v_ffbh_u32_e32 v21, v10
	v_min_u32_e32 v21, 32, v21
	v_subrev_nc_u32_e32 v45, 28, v21
	v_sub_nc_u32_e32 v21, 29, v21
	v_lshlrev_b64 v[45:46], v45, v[10:11]
	v_and_b32_e32 v10, 7, v45
; %bb.565:                              ;   in Loop: Header=BB365_516 Depth=1
	s_or_b32 exec_lo, exec_lo, s18
	v_lshlrev_b32_sdwa v45, v43, v19 dst_sel:DWORD dst_unused:UNUSED_PAD src0_sel:DWORD src1_sel:WORD_1
	v_lshlrev_b32_e32 v10, 20, v10
	v_lshl_add_u32 v21, v21, 23, 0x3c000000
	v_and_b32_e32 v45, 0x80000000, v45
	v_or3_b32 v46, v10, v45, v21
.LBB365_566:                            ;   in Loop: Header=BB365_516 Depth=1
	s_or_b32 exec_lo, exec_lo, s17
.LBB365_567:                            ;   in Loop: Header=BB365_516 Depth=1
	s_or_b32 exec_lo, exec_lo, s16
.LBB365_568:                            ;   in Loop: Header=BB365_516 Depth=1
	s_or_b32 exec_lo, exec_lo, s1
	v_mov_b32_e32 v10, 0
	s_mov_b32 s1, exec_lo
	v_cmpx_lt_u64_e64 s[6:7], v[18:19]
	s_cbranch_execz .LBB365_576
; %bb.569:                              ;   in Loop: Header=BB365_516 Depth=1
	v_cmp_ne_u32_sdwa s0, v19, v39 src0_sel:BYTE_3 src1_sel:DWORD
	v_bfrev_b32_e32 v10, 1
	s_and_saveexec_b32 s16, s0
	s_cbranch_execz .LBB365_575
; %bb.570:                              ;   in Loop: Header=BB365_516 Depth=1
	v_bfe_u32 v21, v19, 24, 7
	v_mov_b32_e32 v10, 0x7f800001
	s_mov_b32 s17, exec_lo
	v_cmpx_ne_u32_e32 0x7f, v21
	s_cbranch_execz .LBB365_574
; %bb.571:                              ;   in Loop: Header=BB365_516 Depth=1
	v_and_b32_sdwa v10, v19, v42 dst_sel:DWORD dst_unused:UNUSED_PAD src0_sel:BYTE_3 src1_sel:DWORD
	v_lshrrev_b32_e32 v18, 3, v21
	s_mov_b32 s18, exec_lo
	v_cmpx_gt_u32_e32 8, v21
; %bb.572:                              ;   in Loop: Header=BB365_516 Depth=1
	v_ffbh_u32_e32 v18, v10
	v_min_u32_e32 v18, 32, v18
	v_subrev_nc_u32_e32 v21, 28, v18
	v_sub_nc_u32_e32 v18, 29, v18
	v_lshlrev_b64 v[47:48], v21, v[10:11]
	v_and_b32_e32 v10, 7, v47
; %bb.573:                              ;   in Loop: Header=BB365_516 Depth=1
	s_or_b32 exec_lo, exec_lo, s18
	v_lshlrev_b32_sdwa v19, v43, v19 dst_sel:DWORD dst_unused:UNUSED_PAD src0_sel:DWORD src1_sel:BYTE_3
	v_lshlrev_b32_e32 v10, 20, v10
	v_lshl_add_u32 v18, v18, 23, 0x3c000000
	v_and_b32_e32 v19, 0x80000000, v19
	v_or3_b32 v10, v10, v19, v18
.LBB365_574:                            ;   in Loop: Header=BB365_516 Depth=1
	s_or_b32 exec_lo, exec_lo, s17
.LBB365_575:                            ;   in Loop: Header=BB365_516 Depth=1
	s_or_b32 exec_lo, exec_lo, s16
.LBB365_576:                            ;   in Loop: Header=BB365_516 Depth=1
	s_or_b32 exec_lo, exec_lo, s1
	s_waitcnt lgkmcnt(0)
	v_mul_f32_e32 v18, s14, v20
	v_mul_f32_e32 v19, s14, v24
	;; [unrolled: 1-line block ×5, first 2 shown]
	v_bfe_u32 v21, v18, 16, 1
	v_or_b32_e32 v24, 0x400000, v18
	v_bfe_u32 v44, v19, 16, 1
	v_cmp_u_f32_e64 s1, v18, v18
	v_or_b32_e32 v45, 0x400000, v19
	v_add3_u32 v21, v21, v18, 0x7fff
	v_bfe_u32 v47, v20, 16, 1
	v_add3_u32 v44, v44, v19, 0x7fff
	v_or_b32_e32 v48, 0x400000, v20
	v_mul_f32_e32 v10, s14, v10
	v_cndmask_b32_e64 v18, v21, v24, s1
	v_cmp_u_f32_e64 s1, v19, v19
	v_add3_u32 v24, v47, v20, 0x7fff
	v_bfe_u32 v21, v23, 16, 1
	v_add_nc_u32_e32 v54, -7, v37
	v_cmp_eq_u32_e64 s0, s13, v9
	v_cndmask_b32_e64 v19, v44, v45, s1
	v_cmp_u_f32_e64 s1, v20, v20
	v_lshrrev_b32_e32 v44, 16, v18
	v_mul_f32_e32 v20, s14, v22
	v_add3_u32 v21, v21, v23, 0x7fff
	v_or_b32_e32 v22, 0x400000, v23
	v_cndmask_b32_e64 v18, v24, v48, s1
	v_cmp_u_f32_e64 s1, v23, v23
	v_lshrrev_b32_e32 v45, 16, v19
	v_bfe_u32 v23, v0, 16, 1
	v_or_b32_e32 v48, 0x400000, v10
	v_lshrrev_b32_e32 v47, 16, v18
	v_bfe_u32 v18, v20, 16, 1
	v_cndmask_b32_e64 v19, v21, v22, s1
	v_mul_f32_e32 v21, s14, v46
	v_or_b32_e32 v22, 0x400000, v20
	v_cmp_u_f32_e64 s1, v20, v20
	v_add3_u32 v18, v18, v20, 0x7fff
	v_bfe_u32 v20, v10, 16, 1
	v_bfe_u32 v24, v21, 16, 1
	v_or_b32_e32 v46, 0x400000, v21
	v_lshrrev_b32_e32 v49, 16, v19
	v_cndmask_b32_e64 v18, v18, v22, s1
	v_add3_u32 v22, v23, v0, 0x7fff
	v_or_b32_e32 v23, 0x400000, v0
	v_cmp_u_f32_e64 s1, v0, v0
	v_add3_u32 v24, v24, v21, 0x7fff
	v_add3_u32 v20, v20, v10, 0x7fff
	v_lshrrev_b32_e32 v51, 16, v18
	v_cndmask_b32_e64 v0, v22, v23, s1
	v_cmp_u_f32_e64 s1, v21, v21
	v_lshrrev_b32_e32 v50, 16, v0
	v_cndmask_b32_e64 v21, v24, v46, s1
	v_cmp_u_f32_e64 s1, v10, v10
	v_lshrrev_b32_e32 v46, 16, v21
	v_cndmask_b32_e64 v10, v20, v48, s1
	v_lshrrev_b32_e32 v48, 16, v10
	s_and_saveexec_b32 s16, s0
	s_cbranch_execz .LBB365_578
; %bb.577:                              ;   in Loop: Header=BB365_516 Depth=1
	v_add_nc_u32_e32 v0, -6, v37
	v_cmp_gt_i32_e64 s1, s27, v54
	v_add_nc_u32_e32 v10, -5, v37
	v_add_nc_u32_e32 v18, -2, v37
	v_cndmask_b32_e64 v50, 0, v50, s1
	v_cmp_gt_i32_e64 s1, s27, v0
	v_add_nc_u32_e32 v0, -4, v37
	v_cndmask_b32_e64 v51, 0, v51, s1
	v_cmp_gt_i32_e64 s1, s27, v10
	;; [unrolled: 3-line block ×4, first 2 shown]
	v_cndmask_b32_e64 v45, 0, v45, s1
	v_cmp_gt_i32_e64 s1, s27, v18
	v_cndmask_b32_e64 v44, 0, v44, s1
	v_cmp_gt_i32_e64 s1, s27, v0
	;; [unrolled: 2-line block ×3, first 2 shown]
	v_cndmask_b32_e64 v48, 0, v48, s1
.LBB365_578:                            ;   in Loop: Header=BB365_516 Depth=1
	s_or_b32 exec_lo, exec_lo, s16
	global_load_dwordx2 v[18:19], v[16:17], off offset:256
	v_mov_b32_e32 v22, 0
	v_mov_b32_e32 v0, 0
	s_waitcnt vmcnt(0)
	v_cmp_ne_u16_sdwa s1, v18, v11 src0_sel:BYTE_0 src1_sel:DWORD
	s_and_saveexec_b32 s16, s1
	s_cbranch_execz .LBB365_584
; %bb.579:                              ;   in Loop: Header=BB365_516 Depth=1
	v_cmp_ne_u16_sdwa s1, v18, v39 src0_sel:BYTE_0 src1_sel:DWORD
	v_bfrev_b32_e32 v0, 1
	s_and_saveexec_b32 s17, s1
	s_cbranch_execz .LBB365_583
; %bb.580:                              ;   in Loop: Header=BB365_516 Depth=1
	v_and_b32_e32 v10, 0x7f, v18
	v_mov_b32_e32 v0, 0x7f800001
	s_mov_b32 s18, exec_lo
	v_cmpx_ne_u32_e32 0x7f, v10
	s_cbranch_execz .LBB365_582
; %bb.581:                              ;   in Loop: Header=BB365_516 Depth=1
	v_and_b32_e32 v0, 7, v18
	v_cmp_gt_u32_e64 s1, 8, v10
	v_lshrrev_b32_e32 v20, 3, v10
	v_ffbh_u32_e32 v0, v0
	v_min_u32_e32 v0, 32, v0
	v_subrev_nc_u32_e32 v21, 28, v0
	v_sub_nc_u32_e32 v0, 29, v0
	v_cndmask_b32_e64 v10, 0, v21, s1
	v_cndmask_b32_e64 v0, v20, v0, s1
	v_lshlrev_b64 v[20:21], v10, v[18:19]
	v_lshlrev_b32_e32 v10, 24, v18
	v_lshl_add_u32 v0, v0, 23, 0x3c000000
	v_and_b32_e32 v10, 0x80000000, v10
	v_lshlrev_b32_e32 v20, 20, v20
	v_and_b32_e32 v20, 0x700000, v20
	v_or3_b32 v0, v20, v10, v0
.LBB365_582:                            ;   in Loop: Header=BB365_516 Depth=1
	s_or_b32 exec_lo, exec_lo, s18
.LBB365_583:                            ;   in Loop: Header=BB365_516 Depth=1
	s_or_b32 exec_lo, exec_lo, s17
.LBB365_584:                            ;   in Loop: Header=BB365_516 Depth=1
	s_or_b32 exec_lo, exec_lo, s16
	v_cmp_ne_u16_sdwa s1, v18, v11 src0_sel:BYTE_1 src1_sel:DWORD
	s_and_saveexec_b32 s16, s1
	s_cbranch_execz .LBB365_592
; %bb.585:                              ;   in Loop: Header=BB365_516 Depth=1
	v_cmp_ne_u16_sdwa s1, v18, v39 src0_sel:BYTE_1 src1_sel:DWORD
	v_bfrev_b32_e32 v22, 1
	s_and_saveexec_b32 s17, s1
	s_cbranch_execz .LBB365_591
; %bb.586:                              ;   in Loop: Header=BB365_516 Depth=1
	v_and_b32_sdwa v10, v40, v18 dst_sel:DWORD dst_unused:UNUSED_PAD src0_sel:DWORD src1_sel:BYTE_1
	v_mov_b32_e32 v22, 0x7f800001
	s_mov_b32 s18, exec_lo
	v_and_b32_e32 v21, 0x7f, v10
	v_cmpx_ne_u32_e32 0x7f, v21
	s_cbranch_execz .LBB365_590
; %bb.587:                              ;   in Loop: Header=BB365_516 Depth=1
	v_and_b32_e32 v10, 7, v10
	v_lshrrev_b32_e32 v20, 3, v21
	s_mov_b32 s19, exec_lo
	v_cmpx_gt_u32_e32 8, v21
; %bb.588:                              ;   in Loop: Header=BB365_516 Depth=1
	v_ffbh_u32_e32 v20, v10
	v_min_u32_e32 v20, 32, v20
	v_subrev_nc_u32_e32 v21, 28, v20
	v_sub_nc_u32_e32 v20, 29, v20
	v_lshlrev_b64 v[21:22], v21, v[10:11]
	v_and_b32_e32 v10, 7, v21
; %bb.589:                              ;   in Loop: Header=BB365_516 Depth=1
	s_or_b32 exec_lo, exec_lo, s19
	v_lshlrev_b32_e32 v21, 16, v18
	v_lshlrev_b32_e32 v10, 20, v10
	v_lshl_add_u32 v20, v20, 23, 0x3c000000
	v_and_b32_e32 v21, 0x80000000, v21
	v_or3_b32 v22, v10, v21, v20
.LBB365_590:                            ;   in Loop: Header=BB365_516 Depth=1
	s_or_b32 exec_lo, exec_lo, s18
.LBB365_591:                            ;   in Loop: Header=BB365_516 Depth=1
	s_or_b32 exec_lo, exec_lo, s17
.LBB365_592:                            ;   in Loop: Header=BB365_516 Depth=1
	s_or_b32 exec_lo, exec_lo, s16
	v_and_b32_sdwa v10, v18, v41 dst_sel:DWORD dst_unused:UNUSED_PAD src0_sel:WORD_1 src1_sel:DWORD
	v_mov_b32_e32 v24, 0
	v_mov_b32_e32 v23, 0
	s_mov_b32 s16, exec_lo
	v_cmpx_ne_u16_e32 0, v10
	s_cbranch_execz .LBB365_600
; %bb.593:                              ;   in Loop: Header=BB365_516 Depth=1
	v_bfrev_b32_e32 v23, 1
	s_mov_b32 s17, exec_lo
	v_cmpx_ne_u16_e32 0x80, v10
	s_cbranch_execz .LBB365_599
; %bb.594:                              ;   in Loop: Header=BB365_516 Depth=1
	v_bfe_u32 v21, v18, 16, 7
	v_mov_b32_e32 v23, 0x7f800001
	s_mov_b32 s18, exec_lo
	v_cmpx_ne_u32_e32 0x7f, v21
	s_cbranch_execz .LBB365_598
; %bb.595:                              ;   in Loop: Header=BB365_516 Depth=1
	v_and_b32_sdwa v10, v18, v42 dst_sel:DWORD dst_unused:UNUSED_PAD src0_sel:WORD_1 src1_sel:DWORD
	v_lshrrev_b32_e32 v20, 3, v21
	s_mov_b32 s19, exec_lo
	v_cmpx_gt_u32_e32 8, v21
; %bb.596:                              ;   in Loop: Header=BB365_516 Depth=1
	v_ffbh_u32_e32 v20, v10
	v_min_u32_e32 v20, 32, v20
	v_subrev_nc_u32_e32 v21, 28, v20
	v_sub_nc_u32_e32 v20, 29, v20
	v_lshlrev_b64 v[52:53], v21, v[10:11]
	v_and_b32_e32 v10, 7, v52
; %bb.597:                              ;   in Loop: Header=BB365_516 Depth=1
	s_or_b32 exec_lo, exec_lo, s19
	v_lshlrev_b32_sdwa v21, v43, v18 dst_sel:DWORD dst_unused:UNUSED_PAD src0_sel:DWORD src1_sel:WORD_1
	v_lshlrev_b32_e32 v10, 20, v10
	v_lshl_add_u32 v20, v20, 23, 0x3c000000
	v_and_b32_e32 v21, 0x80000000, v21
	v_or3_b32 v23, v10, v21, v20
.LBB365_598:                            ;   in Loop: Header=BB365_516 Depth=1
	s_or_b32 exec_lo, exec_lo, s18
.LBB365_599:                            ;   in Loop: Header=BB365_516 Depth=1
	s_or_b32 exec_lo, exec_lo, s17
.LBB365_600:                            ;   in Loop: Header=BB365_516 Depth=1
	s_or_b32 exec_lo, exec_lo, s16
	s_mov_b32 s16, exec_lo
	v_cmpx_lt_u32_e32 0xffffff, v18
	s_cbranch_execz .LBB365_608
; %bb.601:                              ;   in Loop: Header=BB365_516 Depth=1
	v_cmp_ne_u32_sdwa s1, v18, v39 src0_sel:BYTE_3 src1_sel:DWORD
	v_bfrev_b32_e32 v24, 1
	s_and_saveexec_b32 s17, s1
	s_cbranch_execz .LBB365_607
; %bb.602:                              ;   in Loop: Header=BB365_516 Depth=1
	v_bfe_u32 v21, v18, 24, 7
	v_mov_b32_e32 v24, 0x7f800001
	s_mov_b32 s18, exec_lo
	v_cmpx_ne_u32_e32 0x7f, v21
	s_cbranch_execz .LBB365_606
; %bb.603:                              ;   in Loop: Header=BB365_516 Depth=1
	v_and_b32_sdwa v10, v18, v42 dst_sel:DWORD dst_unused:UNUSED_PAD src0_sel:BYTE_3 src1_sel:DWORD
	v_lshrrev_b32_e32 v20, 3, v21
	s_mov_b32 s19, exec_lo
	v_cmpx_gt_u32_e32 8, v21
; %bb.604:                              ;   in Loop: Header=BB365_516 Depth=1
	v_ffbh_u32_e32 v20, v10
	v_min_u32_e32 v20, 32, v20
	v_subrev_nc_u32_e32 v21, 28, v20
	v_sub_nc_u32_e32 v20, 29, v20
	v_lshlrev_b64 v[52:53], v21, v[10:11]
	v_and_b32_e32 v10, 7, v52
; %bb.605:                              ;   in Loop: Header=BB365_516 Depth=1
	s_or_b32 exec_lo, exec_lo, s19
	v_lshlrev_b32_sdwa v21, v43, v18 dst_sel:DWORD dst_unused:UNUSED_PAD src0_sel:DWORD src1_sel:BYTE_3
	v_lshlrev_b32_e32 v10, 20, v10
	v_lshl_add_u32 v20, v20, 23, 0x3c000000
	v_and_b32_e32 v21, 0x80000000, v21
	v_or3_b32 v24, v10, v21, v20
.LBB365_606:                            ;   in Loop: Header=BB365_516 Depth=1
	s_or_b32 exec_lo, exec_lo, s18
.LBB365_607:                            ;   in Loop: Header=BB365_516 Depth=1
	s_or_b32 exec_lo, exec_lo, s17
.LBB365_608:                            ;   in Loop: Header=BB365_516 Depth=1
	s_or_b32 exec_lo, exec_lo, s16
	v_mov_b32_e32 v10, v19
	v_cmp_ne_u16_sdwa s1, v19, v11 src0_sel:BYTE_0 src1_sel:DWORD
	v_mov_b32_e32 v20, 0
	v_mov_b32_e32 v52, 0
	s_and_saveexec_b32 s16, s1
	s_cbranch_execz .LBB365_614
; %bb.609:                              ;   in Loop: Header=BB365_516 Depth=1
	v_cmp_ne_u16_sdwa s1, v19, v39 src0_sel:BYTE_0 src1_sel:DWORD
	v_bfrev_b32_e32 v52, 1
	s_and_saveexec_b32 s17, s1
	s_cbranch_execz .LBB365_613
; %bb.610:                              ;   in Loop: Header=BB365_516 Depth=1
	v_and_b32_e32 v21, 0x7f, v19
	v_mov_b32_e32 v52, 0x7f800001
	s_mov_b32 s18, exec_lo
	v_cmpx_ne_u32_e32 0x7f, v21
	s_cbranch_execz .LBB365_612
; %bb.611:                              ;   in Loop: Header=BB365_516 Depth=1
	v_and_b32_e32 v52, 7, v19
	v_lshrrev_b32_e32 v53, 3, v21
	v_cmp_gt_u32_e64 s1, 8, v21
	v_ffbh_u32_e32 v52, v52
	v_min_u32_e32 v52, 32, v52
	v_subrev_nc_u32_e32 v55, 28, v52
	v_sub_nc_u32_e32 v52, 29, v52
	v_cndmask_b32_e64 v21, v53, v52, s1
	v_cndmask_b32_e64 v52, 0, v55, s1
	v_lshl_add_u32 v21, v21, 23, 0x3c000000
	v_lshlrev_b64 v[52:53], v52, v[10:11]
	v_lshlrev_b32_e32 v53, 24, v10
	v_lshlrev_b32_e32 v52, 20, v52
	v_and_b32_e32 v53, 0x80000000, v53
	v_and_b32_e32 v52, 0x700000, v52
	v_or3_b32 v52, v52, v53, v21
.LBB365_612:                            ;   in Loop: Header=BB365_516 Depth=1
	s_or_b32 exec_lo, exec_lo, s18
.LBB365_613:                            ;   in Loop: Header=BB365_516 Depth=1
	s_or_b32 exec_lo, exec_lo, s17
.LBB365_614:                            ;   in Loop: Header=BB365_516 Depth=1
	s_or_b32 exec_lo, exec_lo, s16
	v_cmp_ne_u16_sdwa s1, v10, v11 src0_sel:BYTE_1 src1_sel:DWORD
	s_and_saveexec_b32 s16, s1
	s_cbranch_execz .LBB365_622
; %bb.615:                              ;   in Loop: Header=BB365_516 Depth=1
	v_cmp_ne_u16_sdwa s1, v10, v39 src0_sel:BYTE_1 src1_sel:DWORD
	v_bfrev_b32_e32 v20, 1
	s_and_saveexec_b32 s17, s1
	s_cbranch_execz .LBB365_621
; %bb.616:                              ;   in Loop: Header=BB365_516 Depth=1
	v_and_b32_sdwa v21, v40, v10 dst_sel:DWORD dst_unused:UNUSED_PAD src0_sel:DWORD src1_sel:BYTE_1
	v_mov_b32_e32 v20, 0x7f800001
	s_mov_b32 s18, exec_lo
	v_and_b32_e32 v55, 0x7f, v21
	v_cmpx_ne_u32_e32 0x7f, v55
	s_cbranch_execz .LBB365_620
; %bb.617:                              ;   in Loop: Header=BB365_516 Depth=1
	v_and_b32_e32 v20, 7, v21
	v_mov_b32_e32 v21, v11
	v_lshrrev_b32_e32 v53, 3, v55
	s_mov_b32 s19, exec_lo
	v_cmpx_gt_u32_e32 8, v55
; %bb.618:                              ;   in Loop: Header=BB365_516 Depth=1
	v_ffbh_u32_e32 v53, v20
	v_min_u32_e32 v53, 32, v53
	v_subrev_nc_u32_e32 v55, 28, v53
	v_sub_nc_u32_e32 v53, 29, v53
	v_lshlrev_b64 v[20:21], v55, v[20:21]
	v_and_b32_e32 v20, 7, v20
; %bb.619:                              ;   in Loop: Header=BB365_516 Depth=1
	s_or_b32 exec_lo, exec_lo, s19
	v_lshlrev_b32_e32 v10, 16, v10
	v_lshlrev_b32_e32 v20, 20, v20
	v_lshl_add_u32 v21, v53, 23, 0x3c000000
	v_and_b32_e32 v10, 0x80000000, v10
	v_or3_b32 v20, v20, v10, v21
.LBB365_620:                            ;   in Loop: Header=BB365_516 Depth=1
	s_or_b32 exec_lo, exec_lo, s18
.LBB365_621:                            ;   in Loop: Header=BB365_516 Depth=1
	s_or_b32 exec_lo, exec_lo, s17
.LBB365_622:                            ;   in Loop: Header=BB365_516 Depth=1
	s_or_b32 exec_lo, exec_lo, s16
	v_and_b32_sdwa v10, v19, v41 dst_sel:DWORD dst_unused:UNUSED_PAD src0_sel:WORD_1 src1_sel:DWORD
	v_mov_b32_e32 v21, 0
	v_mov_b32_e32 v55, 0
	s_mov_b32 s16, exec_lo
	v_cmpx_ne_u16_e32 0, v10
	s_cbranch_execz .LBB365_630
; %bb.623:                              ;   in Loop: Header=BB365_516 Depth=1
	v_bfrev_b32_e32 v55, 1
	s_mov_b32 s17, exec_lo
	v_cmpx_ne_u16_e32 0x80, v10
	s_cbranch_execz .LBB365_629
; %bb.624:                              ;   in Loop: Header=BB365_516 Depth=1
	v_bfe_u32 v56, v19, 16, 7
	v_mov_b32_e32 v55, 0x7f800001
	s_mov_b32 s18, exec_lo
	v_cmpx_ne_u32_e32 0x7f, v56
	s_cbranch_execz .LBB365_628
; %bb.625:                              ;   in Loop: Header=BB365_516 Depth=1
	v_and_b32_sdwa v10, v19, v42 dst_sel:DWORD dst_unused:UNUSED_PAD src0_sel:WORD_1 src1_sel:DWORD
	v_lshrrev_b32_e32 v53, 3, v56
	s_mov_b32 s19, exec_lo
	v_cmpx_gt_u32_e32 8, v56
; %bb.626:                              ;   in Loop: Header=BB365_516 Depth=1
	v_ffbh_u32_e32 v53, v10
	v_min_u32_e32 v53, 32, v53
	v_subrev_nc_u32_e32 v55, 28, v53
	v_sub_nc_u32_e32 v53, 29, v53
	v_lshlrev_b64 v[55:56], v55, v[10:11]
	v_and_b32_e32 v10, 7, v55
; %bb.627:                              ;   in Loop: Header=BB365_516 Depth=1
	s_or_b32 exec_lo, exec_lo, s19
	v_lshlrev_b32_sdwa v55, v43, v19 dst_sel:DWORD dst_unused:UNUSED_PAD src0_sel:DWORD src1_sel:WORD_1
	v_lshlrev_b32_e32 v10, 20, v10
	v_lshl_add_u32 v53, v53, 23, 0x3c000000
	v_and_b32_e32 v55, 0x80000000, v55
	v_or3_b32 v55, v10, v55, v53
.LBB365_628:                            ;   in Loop: Header=BB365_516 Depth=1
	s_or_b32 exec_lo, exec_lo, s18
.LBB365_629:                            ;   in Loop: Header=BB365_516 Depth=1
	s_or_b32 exec_lo, exec_lo, s17
.LBB365_630:                            ;   in Loop: Header=BB365_516 Depth=1
	s_or_b32 exec_lo, exec_lo, s16
	s_mov_b32 s16, exec_lo
	v_cmpx_lt_u64_e64 s[6:7], v[18:19]
	s_cbranch_execz .LBB365_638
; %bb.631:                              ;   in Loop: Header=BB365_516 Depth=1
	v_cmp_ne_u32_sdwa s1, v19, v39 src0_sel:BYTE_3 src1_sel:DWORD
	v_bfrev_b32_e32 v21, 1
	s_and_saveexec_b32 s17, s1
	s_cbranch_execz .LBB365_637
; %bb.632:                              ;   in Loop: Header=BB365_516 Depth=1
	v_bfe_u32 v53, v19, 24, 7
	v_mov_b32_e32 v21, 0x7f800001
	s_mov_b32 s18, exec_lo
	v_cmpx_ne_u32_e32 0x7f, v53
	s_cbranch_execz .LBB365_636
; %bb.633:                              ;   in Loop: Header=BB365_516 Depth=1
	v_and_b32_sdwa v10, v19, v42 dst_sel:DWORD dst_unused:UNUSED_PAD src0_sel:BYTE_3 src1_sel:DWORD
	v_lshrrev_b32_e32 v18, 3, v53
	s_mov_b32 s19, exec_lo
	v_cmpx_gt_u32_e32 8, v53
; %bb.634:                              ;   in Loop: Header=BB365_516 Depth=1
	v_ffbh_u32_e32 v18, v10
	v_min_u32_e32 v18, 32, v18
	v_subrev_nc_u32_e32 v21, 28, v18
	v_sub_nc_u32_e32 v18, 29, v18
	v_lshlrev_b64 v[56:57], v21, v[10:11]
	v_and_b32_e32 v10, 7, v56
; %bb.635:                              ;   in Loop: Header=BB365_516 Depth=1
	s_or_b32 exec_lo, exec_lo, s19
	v_lshlrev_b32_sdwa v19, v43, v19 dst_sel:DWORD dst_unused:UNUSED_PAD src0_sel:DWORD src1_sel:BYTE_3
	v_lshlrev_b32_e32 v10, 20, v10
	v_lshl_add_u32 v18, v18, 23, 0x3c000000
	v_and_b32_e32 v19, 0x80000000, v19
	v_or3_b32 v21, v10, v19, v18
.LBB365_636:                            ;   in Loop: Header=BB365_516 Depth=1
	s_or_b32 exec_lo, exec_lo, s18
.LBB365_637:                            ;   in Loop: Header=BB365_516 Depth=1
	s_or_b32 exec_lo, exec_lo, s17
.LBB365_638:                            ;   in Loop: Header=BB365_516 Depth=1
	s_or_b32 exec_lo, exec_lo, s16
	v_mul_f32_e32 v10, s14, v20
	v_mul_f32_e32 v18, s14, v52
	;; [unrolled: 1-line block ×5, first 2 shown]
	v_bfe_u32 v23, v10, 16, 1
	v_or_b32_e32 v24, 0x400000, v10
	v_bfe_u32 v52, v18, 16, 1
	v_cmp_u_f32_e64 s1, v10, v10
	v_or_b32_e32 v53, 0x400000, v18
	v_add3_u32 v23, v23, v10, 0x7fff
	v_bfe_u32 v56, v19, 16, 1
	v_add3_u32 v52, v52, v18, 0x7fff
	v_or_b32_e32 v57, 0x400000, v19
	v_bfe_u32 v58, v20, 16, 1
	v_cndmask_b32_e64 v10, v23, v24, s1
	v_cmp_u_f32_e64 s1, v18, v18
	v_add3_u32 v56, v56, v19, 0x7fff
	v_or_b32_e32 v23, 0x400000, v20
	v_mul_f32_e32 v21, s14, v21
	v_cndmask_b32_e64 v18, v52, v53, s1
	v_cmp_u_f32_e64 s1, v19, v19
	v_lshrrev_b32_e32 v53, 16, v10
	v_mul_f32_e32 v10, s14, v22
	v_add3_u32 v22, v58, v20, 0x7fff
	v_lshrrev_b32_e32 v52, 16, v18
	v_cndmask_b32_e64 v19, v56, v57, s1
	v_cmp_u_f32_e64 s1, v20, v20
	v_bfe_u32 v18, v10, 16, 1
	v_mul_f32_e32 v20, s14, v55
	v_or_b32_e32 v57, 0x400000, v21
	v_lshrrev_b32_e32 v56, 16, v19
	v_cndmask_b32_e64 v19, v22, v23, s1
	v_add3_u32 v18, v18, v10, 0x7fff
	v_or_b32_e32 v22, 0x400000, v10
	v_bfe_u32 v23, v0, 16, 1
	v_cmp_u_f32_e64 s1, v10, v10
	v_bfe_u32 v24, v20, 16, 1
	v_or_b32_e32 v55, 0x400000, v20
	v_lshrrev_b32_e32 v58, 16, v19
	v_cndmask_b32_e64 v10, v18, v22, s1
	v_add3_u32 v22, v23, v0, 0x7fff
	v_or_b32_e32 v23, 0x400000, v0
	v_cmp_u_f32_e64 s1, v0, v0
	v_bfe_u32 v18, v21, 16, 1
	v_add3_u32 v24, v24, v20, 0x7fff
	v_lshrrev_b32_e32 v60, 16, v10
	v_cndmask_b32_e64 v0, v22, v23, s1
	v_cmp_u_f32_e64 s1, v20, v20
	v_add3_u32 v18, v18, v21, 0x7fff
	v_lshrrev_b32_e32 v59, 16, v0
	v_cndmask_b32_e64 v20, v24, v55, s1
	v_cmp_u_f32_e64 s1, v21, v21
	v_lshrrev_b32_e32 v55, 16, v20
	v_cndmask_b32_e64 v18, v18, v57, s1
	v_lshrrev_b32_e32 v57, 16, v18
	s_and_saveexec_b32 s16, s0
	s_cbranch_execz .LBB365_640
; %bb.639:                              ;   in Loop: Header=BB365_516 Depth=1
	v_add_nc_u32_e32 v0, -6, v37
	v_cmp_gt_i32_e64 s1, s27, v54
	v_add_nc_u32_e32 v10, -5, v37
	v_add_nc_u32_e32 v18, -2, v37
	v_cndmask_b32_e64 v59, 0, v59, s1
	v_cmp_gt_i32_e64 s1, s27, v0
	v_add_nc_u32_e32 v0, -4, v37
	v_cndmask_b32_e64 v60, 0, v60, s1
	v_cmp_gt_i32_e64 s1, s27, v10
	;; [unrolled: 3-line block ×4, first 2 shown]
	v_cndmask_b32_e64 v52, 0, v52, s1
	v_cmp_gt_i32_e64 s1, s27, v18
	v_cndmask_b32_e64 v53, 0, v53, s1
	v_cmp_gt_i32_e64 s1, s27, v0
	;; [unrolled: 2-line block ×3, first 2 shown]
	v_cndmask_b32_e64 v57, 0, v57, s1
.LBB365_640:                            ;   in Loop: Header=BB365_516 Depth=1
	s_or_b32 exec_lo, exec_lo, s16
	global_load_dwordx2 v[18:19], v[16:17], off offset:512
	v_mov_b32_e32 v22, 0
	v_mov_b32_e32 v0, 0
	s_waitcnt vmcnt(0)
	v_cmp_ne_u16_sdwa s1, v18, v11 src0_sel:BYTE_0 src1_sel:DWORD
	s_and_saveexec_b32 s16, s1
	s_cbranch_execz .LBB365_646
; %bb.641:                              ;   in Loop: Header=BB365_516 Depth=1
	v_cmp_ne_u16_sdwa s1, v18, v39 src0_sel:BYTE_0 src1_sel:DWORD
	v_bfrev_b32_e32 v0, 1
	s_and_saveexec_b32 s17, s1
	s_cbranch_execz .LBB365_645
; %bb.642:                              ;   in Loop: Header=BB365_516 Depth=1
	v_and_b32_e32 v10, 0x7f, v18
	v_mov_b32_e32 v0, 0x7f800001
	s_mov_b32 s18, exec_lo
	v_cmpx_ne_u32_e32 0x7f, v10
	s_cbranch_execz .LBB365_644
; %bb.643:                              ;   in Loop: Header=BB365_516 Depth=1
	v_and_b32_e32 v0, 7, v18
	v_cmp_gt_u32_e64 s1, 8, v10
	v_lshrrev_b32_e32 v20, 3, v10
	v_ffbh_u32_e32 v0, v0
	v_min_u32_e32 v0, 32, v0
	v_subrev_nc_u32_e32 v21, 28, v0
	v_sub_nc_u32_e32 v0, 29, v0
	v_cndmask_b32_e64 v10, 0, v21, s1
	v_cndmask_b32_e64 v0, v20, v0, s1
	v_lshlrev_b64 v[20:21], v10, v[18:19]
	v_lshlrev_b32_e32 v10, 24, v18
	v_lshl_add_u32 v0, v0, 23, 0x3c000000
	v_and_b32_e32 v10, 0x80000000, v10
	v_lshlrev_b32_e32 v20, 20, v20
	v_and_b32_e32 v20, 0x700000, v20
	v_or3_b32 v0, v20, v10, v0
.LBB365_644:                            ;   in Loop: Header=BB365_516 Depth=1
	s_or_b32 exec_lo, exec_lo, s18
.LBB365_645:                            ;   in Loop: Header=BB365_516 Depth=1
	s_or_b32 exec_lo, exec_lo, s17
.LBB365_646:                            ;   in Loop: Header=BB365_516 Depth=1
	s_or_b32 exec_lo, exec_lo, s16
	v_cmp_ne_u16_sdwa s1, v18, v11 src0_sel:BYTE_1 src1_sel:DWORD
	s_and_saveexec_b32 s16, s1
	s_cbranch_execz .LBB365_654
; %bb.647:                              ;   in Loop: Header=BB365_516 Depth=1
	v_cmp_ne_u16_sdwa s1, v18, v39 src0_sel:BYTE_1 src1_sel:DWORD
	v_bfrev_b32_e32 v22, 1
	s_and_saveexec_b32 s17, s1
	s_cbranch_execz .LBB365_653
; %bb.648:                              ;   in Loop: Header=BB365_516 Depth=1
	v_and_b32_sdwa v10, v40, v18 dst_sel:DWORD dst_unused:UNUSED_PAD src0_sel:DWORD src1_sel:BYTE_1
	v_mov_b32_e32 v22, 0x7f800001
	s_mov_b32 s18, exec_lo
	v_and_b32_e32 v21, 0x7f, v10
	v_cmpx_ne_u32_e32 0x7f, v21
	s_cbranch_execz .LBB365_652
; %bb.649:                              ;   in Loop: Header=BB365_516 Depth=1
	v_and_b32_e32 v10, 7, v10
	v_lshrrev_b32_e32 v20, 3, v21
	s_mov_b32 s19, exec_lo
	v_cmpx_gt_u32_e32 8, v21
; %bb.650:                              ;   in Loop: Header=BB365_516 Depth=1
	v_ffbh_u32_e32 v20, v10
	v_min_u32_e32 v20, 32, v20
	v_subrev_nc_u32_e32 v21, 28, v20
	v_sub_nc_u32_e32 v20, 29, v20
	v_lshlrev_b64 v[21:22], v21, v[10:11]
	v_and_b32_e32 v10, 7, v21
; %bb.651:                              ;   in Loop: Header=BB365_516 Depth=1
	s_or_b32 exec_lo, exec_lo, s19
	v_lshlrev_b32_e32 v21, 16, v18
	v_lshlrev_b32_e32 v10, 20, v10
	v_lshl_add_u32 v20, v20, 23, 0x3c000000
	v_and_b32_e32 v21, 0x80000000, v21
	v_or3_b32 v22, v10, v21, v20
.LBB365_652:                            ;   in Loop: Header=BB365_516 Depth=1
	s_or_b32 exec_lo, exec_lo, s18
.LBB365_653:                            ;   in Loop: Header=BB365_516 Depth=1
	s_or_b32 exec_lo, exec_lo, s17
.LBB365_654:                            ;   in Loop: Header=BB365_516 Depth=1
	s_or_b32 exec_lo, exec_lo, s16
	v_and_b32_sdwa v10, v18, v41 dst_sel:DWORD dst_unused:UNUSED_PAD src0_sel:WORD_1 src1_sel:DWORD
	v_mov_b32_e32 v24, 0
	v_mov_b32_e32 v23, 0
	s_mov_b32 s16, exec_lo
	v_cmpx_ne_u16_e32 0, v10
	s_cbranch_execz .LBB365_662
; %bb.655:                              ;   in Loop: Header=BB365_516 Depth=1
	v_bfrev_b32_e32 v23, 1
	s_mov_b32 s17, exec_lo
	v_cmpx_ne_u16_e32 0x80, v10
	s_cbranch_execz .LBB365_661
; %bb.656:                              ;   in Loop: Header=BB365_516 Depth=1
	v_bfe_u32 v21, v18, 16, 7
	v_mov_b32_e32 v23, 0x7f800001
	s_mov_b32 s18, exec_lo
	v_cmpx_ne_u32_e32 0x7f, v21
	s_cbranch_execz .LBB365_660
; %bb.657:                              ;   in Loop: Header=BB365_516 Depth=1
	v_and_b32_sdwa v10, v18, v42 dst_sel:DWORD dst_unused:UNUSED_PAD src0_sel:WORD_1 src1_sel:DWORD
	v_lshrrev_b32_e32 v20, 3, v21
	s_mov_b32 s19, exec_lo
	v_cmpx_gt_u32_e32 8, v21
; %bb.658:                              ;   in Loop: Header=BB365_516 Depth=1
	v_ffbh_u32_e32 v20, v10
	v_min_u32_e32 v20, 32, v20
	v_subrev_nc_u32_e32 v21, 28, v20
	v_sub_nc_u32_e32 v20, 29, v20
	v_lshlrev_b64 v[61:62], v21, v[10:11]
	v_and_b32_e32 v10, 7, v61
; %bb.659:                              ;   in Loop: Header=BB365_516 Depth=1
	s_or_b32 exec_lo, exec_lo, s19
	v_lshlrev_b32_sdwa v21, v43, v18 dst_sel:DWORD dst_unused:UNUSED_PAD src0_sel:DWORD src1_sel:WORD_1
	v_lshlrev_b32_e32 v10, 20, v10
	v_lshl_add_u32 v20, v20, 23, 0x3c000000
	v_and_b32_e32 v21, 0x80000000, v21
	v_or3_b32 v23, v10, v21, v20
.LBB365_660:                            ;   in Loop: Header=BB365_516 Depth=1
	s_or_b32 exec_lo, exec_lo, s18
.LBB365_661:                            ;   in Loop: Header=BB365_516 Depth=1
	s_or_b32 exec_lo, exec_lo, s17
.LBB365_662:                            ;   in Loop: Header=BB365_516 Depth=1
	s_or_b32 exec_lo, exec_lo, s16
	s_mov_b32 s16, exec_lo
	v_cmpx_lt_u32_e32 0xffffff, v18
	s_cbranch_execz .LBB365_670
; %bb.663:                              ;   in Loop: Header=BB365_516 Depth=1
	v_cmp_ne_u32_sdwa s1, v18, v39 src0_sel:BYTE_3 src1_sel:DWORD
	v_bfrev_b32_e32 v24, 1
	s_and_saveexec_b32 s17, s1
	s_cbranch_execz .LBB365_669
; %bb.664:                              ;   in Loop: Header=BB365_516 Depth=1
	v_bfe_u32 v21, v18, 24, 7
	v_mov_b32_e32 v24, 0x7f800001
	s_mov_b32 s18, exec_lo
	v_cmpx_ne_u32_e32 0x7f, v21
	s_cbranch_execz .LBB365_668
; %bb.665:                              ;   in Loop: Header=BB365_516 Depth=1
	v_and_b32_sdwa v10, v18, v42 dst_sel:DWORD dst_unused:UNUSED_PAD src0_sel:BYTE_3 src1_sel:DWORD
	v_lshrrev_b32_e32 v20, 3, v21
	s_mov_b32 s19, exec_lo
	v_cmpx_gt_u32_e32 8, v21
; %bb.666:                              ;   in Loop: Header=BB365_516 Depth=1
	v_ffbh_u32_e32 v20, v10
	v_min_u32_e32 v20, 32, v20
	v_subrev_nc_u32_e32 v21, 28, v20
	v_sub_nc_u32_e32 v20, 29, v20
	v_lshlrev_b64 v[61:62], v21, v[10:11]
	v_and_b32_e32 v10, 7, v61
; %bb.667:                              ;   in Loop: Header=BB365_516 Depth=1
	s_or_b32 exec_lo, exec_lo, s19
	v_lshlrev_b32_sdwa v21, v43, v18 dst_sel:DWORD dst_unused:UNUSED_PAD src0_sel:DWORD src1_sel:BYTE_3
	v_lshlrev_b32_e32 v10, 20, v10
	v_lshl_add_u32 v20, v20, 23, 0x3c000000
	v_and_b32_e32 v21, 0x80000000, v21
	v_or3_b32 v24, v10, v21, v20
.LBB365_668:                            ;   in Loop: Header=BB365_516 Depth=1
	s_or_b32 exec_lo, exec_lo, s18
.LBB365_669:                            ;   in Loop: Header=BB365_516 Depth=1
	s_or_b32 exec_lo, exec_lo, s17
.LBB365_670:                            ;   in Loop: Header=BB365_516 Depth=1
	s_or_b32 exec_lo, exec_lo, s16
	v_mov_b32_e32 v10, v19
	v_cmp_ne_u16_sdwa s1, v19, v11 src0_sel:BYTE_0 src1_sel:DWORD
	v_mov_b32_e32 v20, 0
	v_mov_b32_e32 v61, 0
	s_and_saveexec_b32 s16, s1
	s_cbranch_execz .LBB365_676
; %bb.671:                              ;   in Loop: Header=BB365_516 Depth=1
	v_cmp_ne_u16_sdwa s1, v19, v39 src0_sel:BYTE_0 src1_sel:DWORD
	v_bfrev_b32_e32 v61, 1
	s_and_saveexec_b32 s17, s1
	s_cbranch_execz .LBB365_675
; %bb.672:                              ;   in Loop: Header=BB365_516 Depth=1
	v_and_b32_e32 v21, 0x7f, v19
	v_mov_b32_e32 v61, 0x7f800001
	s_mov_b32 s18, exec_lo
	v_cmpx_ne_u32_e32 0x7f, v21
	s_cbranch_execz .LBB365_674
; %bb.673:                              ;   in Loop: Header=BB365_516 Depth=1
	v_and_b32_e32 v61, 7, v19
	v_lshrrev_b32_e32 v62, 3, v21
	v_cmp_gt_u32_e64 s1, 8, v21
	v_ffbh_u32_e32 v61, v61
	v_min_u32_e32 v61, 32, v61
	v_subrev_nc_u32_e32 v63, 28, v61
	v_sub_nc_u32_e32 v61, 29, v61
	v_cndmask_b32_e64 v21, v62, v61, s1
	v_cndmask_b32_e64 v61, 0, v63, s1
	v_lshl_add_u32 v21, v21, 23, 0x3c000000
	v_lshlrev_b64 v[61:62], v61, v[10:11]
	v_lshlrev_b32_e32 v62, 24, v10
	v_lshlrev_b32_e32 v61, 20, v61
	v_and_b32_e32 v62, 0x80000000, v62
	v_and_b32_e32 v61, 0x700000, v61
	v_or3_b32 v61, v61, v62, v21
.LBB365_674:                            ;   in Loop: Header=BB365_516 Depth=1
	s_or_b32 exec_lo, exec_lo, s18
.LBB365_675:                            ;   in Loop: Header=BB365_516 Depth=1
	s_or_b32 exec_lo, exec_lo, s17
.LBB365_676:                            ;   in Loop: Header=BB365_516 Depth=1
	s_or_b32 exec_lo, exec_lo, s16
	v_cmp_ne_u16_sdwa s1, v10, v11 src0_sel:BYTE_1 src1_sel:DWORD
	s_and_saveexec_b32 s16, s1
	s_cbranch_execz .LBB365_684
; %bb.677:                              ;   in Loop: Header=BB365_516 Depth=1
	v_cmp_ne_u16_sdwa s1, v10, v39 src0_sel:BYTE_1 src1_sel:DWORD
	v_bfrev_b32_e32 v20, 1
	s_and_saveexec_b32 s17, s1
	s_cbranch_execz .LBB365_683
; %bb.678:                              ;   in Loop: Header=BB365_516 Depth=1
	v_and_b32_sdwa v21, v40, v10 dst_sel:DWORD dst_unused:UNUSED_PAD src0_sel:DWORD src1_sel:BYTE_1
	v_mov_b32_e32 v20, 0x7f800001
	s_mov_b32 s18, exec_lo
	v_and_b32_e32 v63, 0x7f, v21
	v_cmpx_ne_u32_e32 0x7f, v63
	s_cbranch_execz .LBB365_682
; %bb.679:                              ;   in Loop: Header=BB365_516 Depth=1
	v_and_b32_e32 v20, 7, v21
	v_mov_b32_e32 v21, v11
	v_lshrrev_b32_e32 v62, 3, v63
	s_mov_b32 s19, exec_lo
	v_cmpx_gt_u32_e32 8, v63
; %bb.680:                              ;   in Loop: Header=BB365_516 Depth=1
	v_ffbh_u32_e32 v62, v20
	v_min_u32_e32 v62, 32, v62
	v_subrev_nc_u32_e32 v63, 28, v62
	v_sub_nc_u32_e32 v62, 29, v62
	v_lshlrev_b64 v[20:21], v63, v[20:21]
	v_and_b32_e32 v20, 7, v20
; %bb.681:                              ;   in Loop: Header=BB365_516 Depth=1
	s_or_b32 exec_lo, exec_lo, s19
	v_lshlrev_b32_e32 v10, 16, v10
	v_lshlrev_b32_e32 v20, 20, v20
	v_lshl_add_u32 v21, v62, 23, 0x3c000000
	v_and_b32_e32 v10, 0x80000000, v10
	v_or3_b32 v20, v20, v10, v21
.LBB365_682:                            ;   in Loop: Header=BB365_516 Depth=1
	s_or_b32 exec_lo, exec_lo, s18
.LBB365_683:                            ;   in Loop: Header=BB365_516 Depth=1
	s_or_b32 exec_lo, exec_lo, s17
.LBB365_684:                            ;   in Loop: Header=BB365_516 Depth=1
	s_or_b32 exec_lo, exec_lo, s16
	v_and_b32_sdwa v10, v19, v41 dst_sel:DWORD dst_unused:UNUSED_PAD src0_sel:WORD_1 src1_sel:DWORD
	v_mov_b32_e32 v21, 0
	v_mov_b32_e32 v63, 0
	s_mov_b32 s16, exec_lo
	v_cmpx_ne_u16_e32 0, v10
	s_cbranch_execz .LBB365_692
; %bb.685:                              ;   in Loop: Header=BB365_516 Depth=1
	v_bfrev_b32_e32 v63, 1
	s_mov_b32 s17, exec_lo
	v_cmpx_ne_u16_e32 0x80, v10
	s_cbranch_execz .LBB365_691
; %bb.686:                              ;   in Loop: Header=BB365_516 Depth=1
	v_bfe_u32 v64, v19, 16, 7
	v_mov_b32_e32 v63, 0x7f800001
	s_mov_b32 s18, exec_lo
	v_cmpx_ne_u32_e32 0x7f, v64
	s_cbranch_execz .LBB365_690
; %bb.687:                              ;   in Loop: Header=BB365_516 Depth=1
	v_and_b32_sdwa v10, v19, v42 dst_sel:DWORD dst_unused:UNUSED_PAD src0_sel:WORD_1 src1_sel:DWORD
	v_lshrrev_b32_e32 v62, 3, v64
	s_mov_b32 s19, exec_lo
	v_cmpx_gt_u32_e32 8, v64
; %bb.688:                              ;   in Loop: Header=BB365_516 Depth=1
	v_ffbh_u32_e32 v62, v10
	v_min_u32_e32 v62, 32, v62
	v_subrev_nc_u32_e32 v63, 28, v62
	v_sub_nc_u32_e32 v62, 29, v62
	v_lshlrev_b64 v[63:64], v63, v[10:11]
	v_and_b32_e32 v10, 7, v63
; %bb.689:                              ;   in Loop: Header=BB365_516 Depth=1
	s_or_b32 exec_lo, exec_lo, s19
	v_lshlrev_b32_sdwa v63, v43, v19 dst_sel:DWORD dst_unused:UNUSED_PAD src0_sel:DWORD src1_sel:WORD_1
	v_lshlrev_b32_e32 v10, 20, v10
	v_lshl_add_u32 v62, v62, 23, 0x3c000000
	v_and_b32_e32 v63, 0x80000000, v63
	v_or3_b32 v63, v10, v63, v62
.LBB365_690:                            ;   in Loop: Header=BB365_516 Depth=1
	s_or_b32 exec_lo, exec_lo, s18
.LBB365_691:                            ;   in Loop: Header=BB365_516 Depth=1
	s_or_b32 exec_lo, exec_lo, s17
.LBB365_692:                            ;   in Loop: Header=BB365_516 Depth=1
	s_or_b32 exec_lo, exec_lo, s16
	s_mov_b32 s16, exec_lo
	v_cmpx_lt_u64_e64 s[6:7], v[18:19]
	s_cbranch_execz .LBB365_700
; %bb.693:                              ;   in Loop: Header=BB365_516 Depth=1
	v_cmp_ne_u32_sdwa s1, v19, v39 src0_sel:BYTE_3 src1_sel:DWORD
	v_bfrev_b32_e32 v21, 1
	s_and_saveexec_b32 s17, s1
	s_cbranch_execz .LBB365_699
; %bb.694:                              ;   in Loop: Header=BB365_516 Depth=1
	v_bfe_u32 v62, v19, 24, 7
	v_mov_b32_e32 v21, 0x7f800001
	s_mov_b32 s18, exec_lo
	v_cmpx_ne_u32_e32 0x7f, v62
	s_cbranch_execz .LBB365_698
; %bb.695:                              ;   in Loop: Header=BB365_516 Depth=1
	v_and_b32_sdwa v10, v19, v42 dst_sel:DWORD dst_unused:UNUSED_PAD src0_sel:BYTE_3 src1_sel:DWORD
	v_lshrrev_b32_e32 v18, 3, v62
	s_mov_b32 s19, exec_lo
	v_cmpx_gt_u32_e32 8, v62
; %bb.696:                              ;   in Loop: Header=BB365_516 Depth=1
	v_ffbh_u32_e32 v18, v10
	v_min_u32_e32 v18, 32, v18
	v_subrev_nc_u32_e32 v21, 28, v18
	v_sub_nc_u32_e32 v18, 29, v18
	v_lshlrev_b64 v[64:65], v21, v[10:11]
	v_and_b32_e32 v10, 7, v64
; %bb.697:                              ;   in Loop: Header=BB365_516 Depth=1
	s_or_b32 exec_lo, exec_lo, s19
	v_lshlrev_b32_sdwa v19, v43, v19 dst_sel:DWORD dst_unused:UNUSED_PAD src0_sel:DWORD src1_sel:BYTE_3
	v_lshlrev_b32_e32 v10, 20, v10
	v_lshl_add_u32 v18, v18, 23, 0x3c000000
	v_and_b32_e32 v19, 0x80000000, v19
	v_or3_b32 v21, v10, v19, v18
.LBB365_698:                            ;   in Loop: Header=BB365_516 Depth=1
	s_or_b32 exec_lo, exec_lo, s18
.LBB365_699:                            ;   in Loop: Header=BB365_516 Depth=1
	s_or_b32 exec_lo, exec_lo, s17
.LBB365_700:                            ;   in Loop: Header=BB365_516 Depth=1
	s_or_b32 exec_lo, exec_lo, s16
	v_mul_f32_e32 v10, s14, v20
	v_mul_f32_e32 v18, s14, v61
	;; [unrolled: 1-line block ×5, first 2 shown]
	v_bfe_u32 v23, v10, 16, 1
	v_or_b32_e32 v24, 0x400000, v10
	v_bfe_u32 v61, v18, 16, 1
	v_cmp_u_f32_e64 s1, v10, v10
	v_or_b32_e32 v62, 0x400000, v18
	v_add3_u32 v23, v23, v10, 0x7fff
	v_bfe_u32 v64, v19, 16, 1
	v_add3_u32 v61, v61, v18, 0x7fff
	v_or_b32_e32 v65, 0x400000, v19
	v_bfe_u32 v66, v20, 16, 1
	v_cndmask_b32_e64 v10, v23, v24, s1
	v_cmp_u_f32_e64 s1, v18, v18
	v_add3_u32 v64, v64, v19, 0x7fff
	v_or_b32_e32 v23, 0x400000, v20
	v_mul_f32_e32 v21, s14, v21
	v_cndmask_b32_e64 v18, v61, v62, s1
	v_cmp_u_f32_e64 s1, v19, v19
	v_lshrrev_b32_e32 v61, 16, v10
	v_mul_f32_e32 v10, s14, v22
	v_add3_u32 v22, v66, v20, 0x7fff
	v_lshrrev_b32_e32 v62, 16, v18
	v_cndmask_b32_e64 v19, v64, v65, s1
	v_cmp_u_f32_e64 s1, v20, v20
	v_bfe_u32 v18, v10, 16, 1
	v_mul_f32_e32 v20, s14, v63
	v_or_b32_e32 v65, 0x400000, v21
	v_lshrrev_b32_e32 v64, 16, v19
	v_cndmask_b32_e64 v19, v22, v23, s1
	v_add3_u32 v18, v18, v10, 0x7fff
	v_or_b32_e32 v22, 0x400000, v10
	v_bfe_u32 v23, v0, 16, 1
	v_cmp_u_f32_e64 s1, v10, v10
	v_bfe_u32 v24, v20, 16, 1
	v_or_b32_e32 v63, 0x400000, v20
	v_lshrrev_b32_e32 v66, 16, v19
	v_cndmask_b32_e64 v10, v18, v22, s1
	v_add3_u32 v22, v23, v0, 0x7fff
	v_or_b32_e32 v23, 0x400000, v0
	v_cmp_u_f32_e64 s1, v0, v0
	v_bfe_u32 v18, v21, 16, 1
	v_add3_u32 v24, v24, v20, 0x7fff
	v_lshrrev_b32_e32 v68, 16, v10
	v_cndmask_b32_e64 v0, v22, v23, s1
	v_cmp_u_f32_e64 s1, v20, v20
	v_add3_u32 v18, v18, v21, 0x7fff
	v_lshrrev_b32_e32 v67, 16, v0
	v_cndmask_b32_e64 v20, v24, v63, s1
	v_cmp_u_f32_e64 s1, v21, v21
	v_lshrrev_b32_e32 v63, 16, v20
	v_cndmask_b32_e64 v18, v18, v65, s1
	v_lshrrev_b32_e32 v65, 16, v18
	s_and_saveexec_b32 s16, s0
	s_cbranch_execz .LBB365_702
; %bb.701:                              ;   in Loop: Header=BB365_516 Depth=1
	v_add_nc_u32_e32 v0, -6, v37
	v_cmp_gt_i32_e64 s1, s27, v54
	v_add_nc_u32_e32 v10, -5, v37
	v_add_nc_u32_e32 v18, -2, v37
	v_cndmask_b32_e64 v67, 0, v67, s1
	v_cmp_gt_i32_e64 s1, s27, v0
	v_add_nc_u32_e32 v0, -4, v37
	v_cndmask_b32_e64 v68, 0, v68, s1
	v_cmp_gt_i32_e64 s1, s27, v10
	;; [unrolled: 3-line block ×4, first 2 shown]
	v_cndmask_b32_e64 v62, 0, v62, s1
	v_cmp_gt_i32_e64 s1, s27, v18
	v_cndmask_b32_e64 v61, 0, v61, s1
	v_cmp_gt_i32_e64 s1, s27, v0
	;; [unrolled: 2-line block ×3, first 2 shown]
	v_cndmask_b32_e64 v65, 0, v65, s1
.LBB365_702:                            ;   in Loop: Header=BB365_516 Depth=1
	s_or_b32 exec_lo, exec_lo, s16
	global_load_dwordx2 v[18:19], v[16:17], off offset:768
	v_mov_b32_e32 v22, 0
	v_mov_b32_e32 v0, 0
	s_waitcnt vmcnt(0)
	v_cmp_ne_u16_sdwa s1, v18, v11 src0_sel:BYTE_0 src1_sel:DWORD
	s_and_saveexec_b32 s16, s1
	s_cbranch_execz .LBB365_708
; %bb.703:                              ;   in Loop: Header=BB365_516 Depth=1
	v_cmp_ne_u16_sdwa s1, v18, v39 src0_sel:BYTE_0 src1_sel:DWORD
	v_bfrev_b32_e32 v0, 1
	s_and_saveexec_b32 s17, s1
	s_cbranch_execz .LBB365_707
; %bb.704:                              ;   in Loop: Header=BB365_516 Depth=1
	v_and_b32_e32 v10, 0x7f, v18
	v_mov_b32_e32 v0, 0x7f800001
	s_mov_b32 s18, exec_lo
	v_cmpx_ne_u32_e32 0x7f, v10
	s_cbranch_execz .LBB365_706
; %bb.705:                              ;   in Loop: Header=BB365_516 Depth=1
	v_and_b32_e32 v0, 7, v18
	v_cmp_gt_u32_e64 s1, 8, v10
	v_lshrrev_b32_e32 v20, 3, v10
	v_ffbh_u32_e32 v0, v0
	v_min_u32_e32 v0, 32, v0
	v_subrev_nc_u32_e32 v21, 28, v0
	v_sub_nc_u32_e32 v0, 29, v0
	v_cndmask_b32_e64 v10, 0, v21, s1
	v_cndmask_b32_e64 v0, v20, v0, s1
	v_lshlrev_b64 v[20:21], v10, v[18:19]
	v_lshlrev_b32_e32 v10, 24, v18
	v_lshl_add_u32 v0, v0, 23, 0x3c000000
	v_and_b32_e32 v10, 0x80000000, v10
	v_lshlrev_b32_e32 v20, 20, v20
	v_and_b32_e32 v20, 0x700000, v20
	v_or3_b32 v0, v20, v10, v0
.LBB365_706:                            ;   in Loop: Header=BB365_516 Depth=1
	s_or_b32 exec_lo, exec_lo, s18
.LBB365_707:                            ;   in Loop: Header=BB365_516 Depth=1
	s_or_b32 exec_lo, exec_lo, s17
.LBB365_708:                            ;   in Loop: Header=BB365_516 Depth=1
	s_or_b32 exec_lo, exec_lo, s16
	v_cmp_ne_u16_sdwa s1, v18, v11 src0_sel:BYTE_1 src1_sel:DWORD
	s_and_saveexec_b32 s16, s1
	s_cbranch_execz .LBB365_716
; %bb.709:                              ;   in Loop: Header=BB365_516 Depth=1
	v_cmp_ne_u16_sdwa s1, v18, v39 src0_sel:BYTE_1 src1_sel:DWORD
	v_bfrev_b32_e32 v22, 1
	s_and_saveexec_b32 s17, s1
	s_cbranch_execz .LBB365_715
; %bb.710:                              ;   in Loop: Header=BB365_516 Depth=1
	v_and_b32_sdwa v10, v40, v18 dst_sel:DWORD dst_unused:UNUSED_PAD src0_sel:DWORD src1_sel:BYTE_1
	v_mov_b32_e32 v22, 0x7f800001
	s_mov_b32 s18, exec_lo
	v_and_b32_e32 v21, 0x7f, v10
	v_cmpx_ne_u32_e32 0x7f, v21
	s_cbranch_execz .LBB365_714
; %bb.711:                              ;   in Loop: Header=BB365_516 Depth=1
	v_and_b32_e32 v10, 7, v10
	v_lshrrev_b32_e32 v20, 3, v21
	s_mov_b32 s19, exec_lo
	v_cmpx_gt_u32_e32 8, v21
; %bb.712:                              ;   in Loop: Header=BB365_516 Depth=1
	v_ffbh_u32_e32 v20, v10
	v_min_u32_e32 v20, 32, v20
	v_subrev_nc_u32_e32 v21, 28, v20
	v_sub_nc_u32_e32 v20, 29, v20
	v_lshlrev_b64 v[21:22], v21, v[10:11]
	v_and_b32_e32 v10, 7, v21
; %bb.713:                              ;   in Loop: Header=BB365_516 Depth=1
	s_or_b32 exec_lo, exec_lo, s19
	v_lshlrev_b32_e32 v21, 16, v18
	v_lshlrev_b32_e32 v10, 20, v10
	v_lshl_add_u32 v20, v20, 23, 0x3c000000
	v_and_b32_e32 v21, 0x80000000, v21
	v_or3_b32 v22, v10, v21, v20
.LBB365_714:                            ;   in Loop: Header=BB365_516 Depth=1
	s_or_b32 exec_lo, exec_lo, s18
.LBB365_715:                            ;   in Loop: Header=BB365_516 Depth=1
	s_or_b32 exec_lo, exec_lo, s17
.LBB365_716:                            ;   in Loop: Header=BB365_516 Depth=1
	s_or_b32 exec_lo, exec_lo, s16
	v_and_b32_sdwa v10, v18, v41 dst_sel:DWORD dst_unused:UNUSED_PAD src0_sel:WORD_1 src1_sel:DWORD
	v_mov_b32_e32 v24, 0
	v_mov_b32_e32 v23, 0
	s_mov_b32 s16, exec_lo
	v_cmpx_ne_u16_e32 0, v10
	s_cbranch_execz .LBB365_724
; %bb.717:                              ;   in Loop: Header=BB365_516 Depth=1
	v_bfrev_b32_e32 v23, 1
	s_mov_b32 s17, exec_lo
	v_cmpx_ne_u16_e32 0x80, v10
	s_cbranch_execz .LBB365_723
; %bb.718:                              ;   in Loop: Header=BB365_516 Depth=1
	v_bfe_u32 v21, v18, 16, 7
	v_mov_b32_e32 v23, 0x7f800001
	s_mov_b32 s18, exec_lo
	v_cmpx_ne_u32_e32 0x7f, v21
	s_cbranch_execz .LBB365_722
; %bb.719:                              ;   in Loop: Header=BB365_516 Depth=1
	v_and_b32_sdwa v10, v18, v42 dst_sel:DWORD dst_unused:UNUSED_PAD src0_sel:WORD_1 src1_sel:DWORD
	v_lshrrev_b32_e32 v20, 3, v21
	s_mov_b32 s19, exec_lo
	v_cmpx_gt_u32_e32 8, v21
; %bb.720:                              ;   in Loop: Header=BB365_516 Depth=1
	v_ffbh_u32_e32 v20, v10
	v_min_u32_e32 v20, 32, v20
	v_subrev_nc_u32_e32 v21, 28, v20
	v_sub_nc_u32_e32 v20, 29, v20
	v_lshlrev_b64 v[69:70], v21, v[10:11]
	v_and_b32_e32 v10, 7, v69
; %bb.721:                              ;   in Loop: Header=BB365_516 Depth=1
	s_or_b32 exec_lo, exec_lo, s19
	v_lshlrev_b32_sdwa v21, v43, v18 dst_sel:DWORD dst_unused:UNUSED_PAD src0_sel:DWORD src1_sel:WORD_1
	v_lshlrev_b32_e32 v10, 20, v10
	v_lshl_add_u32 v20, v20, 23, 0x3c000000
	v_and_b32_e32 v21, 0x80000000, v21
	v_or3_b32 v23, v10, v21, v20
.LBB365_722:                            ;   in Loop: Header=BB365_516 Depth=1
	s_or_b32 exec_lo, exec_lo, s18
.LBB365_723:                            ;   in Loop: Header=BB365_516 Depth=1
	s_or_b32 exec_lo, exec_lo, s17
.LBB365_724:                            ;   in Loop: Header=BB365_516 Depth=1
	s_or_b32 exec_lo, exec_lo, s16
	s_mov_b32 s16, exec_lo
	v_cmpx_lt_u32_e32 0xffffff, v18
	s_cbranch_execz .LBB365_732
; %bb.725:                              ;   in Loop: Header=BB365_516 Depth=1
	v_cmp_ne_u32_sdwa s1, v18, v39 src0_sel:BYTE_3 src1_sel:DWORD
	v_bfrev_b32_e32 v24, 1
	s_and_saveexec_b32 s17, s1
	s_cbranch_execz .LBB365_731
; %bb.726:                              ;   in Loop: Header=BB365_516 Depth=1
	v_bfe_u32 v21, v18, 24, 7
	v_mov_b32_e32 v24, 0x7f800001
	s_mov_b32 s18, exec_lo
	v_cmpx_ne_u32_e32 0x7f, v21
	s_cbranch_execz .LBB365_730
; %bb.727:                              ;   in Loop: Header=BB365_516 Depth=1
	v_and_b32_sdwa v10, v18, v42 dst_sel:DWORD dst_unused:UNUSED_PAD src0_sel:BYTE_3 src1_sel:DWORD
	v_lshrrev_b32_e32 v20, 3, v21
	s_mov_b32 s19, exec_lo
	v_cmpx_gt_u32_e32 8, v21
; %bb.728:                              ;   in Loop: Header=BB365_516 Depth=1
	v_ffbh_u32_e32 v20, v10
	v_min_u32_e32 v20, 32, v20
	v_subrev_nc_u32_e32 v21, 28, v20
	v_sub_nc_u32_e32 v20, 29, v20
	v_lshlrev_b64 v[69:70], v21, v[10:11]
	v_and_b32_e32 v10, 7, v69
; %bb.729:                              ;   in Loop: Header=BB365_516 Depth=1
	s_or_b32 exec_lo, exec_lo, s19
	v_lshlrev_b32_sdwa v21, v43, v18 dst_sel:DWORD dst_unused:UNUSED_PAD src0_sel:DWORD src1_sel:BYTE_3
	v_lshlrev_b32_e32 v10, 20, v10
	v_lshl_add_u32 v20, v20, 23, 0x3c000000
	v_and_b32_e32 v21, 0x80000000, v21
	v_or3_b32 v24, v10, v21, v20
.LBB365_730:                            ;   in Loop: Header=BB365_516 Depth=1
	s_or_b32 exec_lo, exec_lo, s18
.LBB365_731:                            ;   in Loop: Header=BB365_516 Depth=1
	s_or_b32 exec_lo, exec_lo, s17
.LBB365_732:                            ;   in Loop: Header=BB365_516 Depth=1
	s_or_b32 exec_lo, exec_lo, s16
	v_mov_b32_e32 v10, v19
	v_cmp_ne_u16_sdwa s1, v19, v11 src0_sel:BYTE_0 src1_sel:DWORD
	v_mov_b32_e32 v20, 0
	v_mov_b32_e32 v69, 0
	s_and_saveexec_b32 s16, s1
	s_cbranch_execz .LBB365_738
; %bb.733:                              ;   in Loop: Header=BB365_516 Depth=1
	v_cmp_ne_u16_sdwa s1, v19, v39 src0_sel:BYTE_0 src1_sel:DWORD
	v_bfrev_b32_e32 v69, 1
	s_and_saveexec_b32 s17, s1
	s_cbranch_execz .LBB365_737
; %bb.734:                              ;   in Loop: Header=BB365_516 Depth=1
	v_and_b32_e32 v21, 0x7f, v19
	v_mov_b32_e32 v69, 0x7f800001
	s_mov_b32 s18, exec_lo
	v_cmpx_ne_u32_e32 0x7f, v21
	s_cbranch_execz .LBB365_736
; %bb.735:                              ;   in Loop: Header=BB365_516 Depth=1
	v_and_b32_e32 v69, 7, v19
	v_lshrrev_b32_e32 v70, 3, v21
	v_cmp_gt_u32_e64 s1, 8, v21
	v_ffbh_u32_e32 v69, v69
	v_min_u32_e32 v69, 32, v69
	v_subrev_nc_u32_e32 v71, 28, v69
	v_sub_nc_u32_e32 v69, 29, v69
	v_cndmask_b32_e64 v21, v70, v69, s1
	v_cndmask_b32_e64 v69, 0, v71, s1
	v_lshl_add_u32 v21, v21, 23, 0x3c000000
	v_lshlrev_b64 v[69:70], v69, v[10:11]
	v_lshlrev_b32_e32 v70, 24, v10
	v_lshlrev_b32_e32 v69, 20, v69
	v_and_b32_e32 v70, 0x80000000, v70
	v_and_b32_e32 v69, 0x700000, v69
	v_or3_b32 v69, v69, v70, v21
.LBB365_736:                            ;   in Loop: Header=BB365_516 Depth=1
	s_or_b32 exec_lo, exec_lo, s18
.LBB365_737:                            ;   in Loop: Header=BB365_516 Depth=1
	s_or_b32 exec_lo, exec_lo, s17
.LBB365_738:                            ;   in Loop: Header=BB365_516 Depth=1
	s_or_b32 exec_lo, exec_lo, s16
	v_cmp_ne_u16_sdwa s1, v10, v11 src0_sel:BYTE_1 src1_sel:DWORD
	s_and_saveexec_b32 s16, s1
	s_cbranch_execz .LBB365_746
; %bb.739:                              ;   in Loop: Header=BB365_516 Depth=1
	v_cmp_ne_u16_sdwa s1, v10, v39 src0_sel:BYTE_1 src1_sel:DWORD
	v_bfrev_b32_e32 v20, 1
	s_and_saveexec_b32 s17, s1
	s_cbranch_execz .LBB365_745
; %bb.740:                              ;   in Loop: Header=BB365_516 Depth=1
	v_and_b32_sdwa v21, v40, v10 dst_sel:DWORD dst_unused:UNUSED_PAD src0_sel:DWORD src1_sel:BYTE_1
	v_mov_b32_e32 v20, 0x7f800001
	s_mov_b32 s18, exec_lo
	v_and_b32_e32 v71, 0x7f, v21
	v_cmpx_ne_u32_e32 0x7f, v71
	s_cbranch_execz .LBB365_744
; %bb.741:                              ;   in Loop: Header=BB365_516 Depth=1
	v_and_b32_e32 v20, 7, v21
	v_mov_b32_e32 v21, v11
	v_lshrrev_b32_e32 v70, 3, v71
	s_mov_b32 s19, exec_lo
	v_cmpx_gt_u32_e32 8, v71
; %bb.742:                              ;   in Loop: Header=BB365_516 Depth=1
	v_ffbh_u32_e32 v70, v20
	v_min_u32_e32 v70, 32, v70
	v_subrev_nc_u32_e32 v71, 28, v70
	v_sub_nc_u32_e32 v70, 29, v70
	v_lshlrev_b64 v[20:21], v71, v[20:21]
	v_and_b32_e32 v20, 7, v20
; %bb.743:                              ;   in Loop: Header=BB365_516 Depth=1
	s_or_b32 exec_lo, exec_lo, s19
	v_lshlrev_b32_e32 v10, 16, v10
	v_lshlrev_b32_e32 v20, 20, v20
	v_lshl_add_u32 v21, v70, 23, 0x3c000000
	v_and_b32_e32 v10, 0x80000000, v10
	v_or3_b32 v20, v20, v10, v21
.LBB365_744:                            ;   in Loop: Header=BB365_516 Depth=1
	s_or_b32 exec_lo, exec_lo, s18
.LBB365_745:                            ;   in Loop: Header=BB365_516 Depth=1
	s_or_b32 exec_lo, exec_lo, s17
.LBB365_746:                            ;   in Loop: Header=BB365_516 Depth=1
	s_or_b32 exec_lo, exec_lo, s16
	v_and_b32_sdwa v10, v19, v41 dst_sel:DWORD dst_unused:UNUSED_PAD src0_sel:WORD_1 src1_sel:DWORD
	v_mov_b32_e32 v21, 0
	v_mov_b32_e32 v71, 0
	s_mov_b32 s16, exec_lo
	v_cmpx_ne_u16_e32 0, v10
	s_cbranch_execz .LBB365_754
; %bb.747:                              ;   in Loop: Header=BB365_516 Depth=1
	v_bfrev_b32_e32 v71, 1
	s_mov_b32 s17, exec_lo
	v_cmpx_ne_u16_e32 0x80, v10
	s_cbranch_execz .LBB365_753
; %bb.748:                              ;   in Loop: Header=BB365_516 Depth=1
	v_bfe_u32 v72, v19, 16, 7
	v_mov_b32_e32 v71, 0x7f800001
	s_mov_b32 s18, exec_lo
	v_cmpx_ne_u32_e32 0x7f, v72
	s_cbranch_execz .LBB365_752
; %bb.749:                              ;   in Loop: Header=BB365_516 Depth=1
	v_and_b32_sdwa v10, v19, v42 dst_sel:DWORD dst_unused:UNUSED_PAD src0_sel:WORD_1 src1_sel:DWORD
	v_lshrrev_b32_e32 v70, 3, v72
	s_mov_b32 s19, exec_lo
	v_cmpx_gt_u32_e32 8, v72
; %bb.750:                              ;   in Loop: Header=BB365_516 Depth=1
	v_ffbh_u32_e32 v70, v10
	v_min_u32_e32 v70, 32, v70
	v_subrev_nc_u32_e32 v71, 28, v70
	v_sub_nc_u32_e32 v70, 29, v70
	v_lshlrev_b64 v[71:72], v71, v[10:11]
	v_and_b32_e32 v10, 7, v71
; %bb.751:                              ;   in Loop: Header=BB365_516 Depth=1
	s_or_b32 exec_lo, exec_lo, s19
	v_lshlrev_b32_sdwa v71, v43, v19 dst_sel:DWORD dst_unused:UNUSED_PAD src0_sel:DWORD src1_sel:WORD_1
	v_lshlrev_b32_e32 v10, 20, v10
	v_lshl_add_u32 v70, v70, 23, 0x3c000000
	v_and_b32_e32 v71, 0x80000000, v71
	v_or3_b32 v71, v10, v71, v70
.LBB365_752:                            ;   in Loop: Header=BB365_516 Depth=1
	s_or_b32 exec_lo, exec_lo, s18
.LBB365_753:                            ;   in Loop: Header=BB365_516 Depth=1
	s_or_b32 exec_lo, exec_lo, s17
.LBB365_754:                            ;   in Loop: Header=BB365_516 Depth=1
	s_or_b32 exec_lo, exec_lo, s16
	s_mov_b32 s16, exec_lo
	v_cmpx_lt_u64_e64 s[6:7], v[18:19]
	s_cbranch_execz .LBB365_762
; %bb.755:                              ;   in Loop: Header=BB365_516 Depth=1
	v_cmp_ne_u32_sdwa s1, v19, v39 src0_sel:BYTE_3 src1_sel:DWORD
	v_bfrev_b32_e32 v21, 1
	s_and_saveexec_b32 s17, s1
	s_cbranch_execz .LBB365_761
; %bb.756:                              ;   in Loop: Header=BB365_516 Depth=1
	v_bfe_u32 v70, v19, 24, 7
	v_mov_b32_e32 v21, 0x7f800001
	s_mov_b32 s18, exec_lo
	v_cmpx_ne_u32_e32 0x7f, v70
	s_cbranch_execz .LBB365_760
; %bb.757:                              ;   in Loop: Header=BB365_516 Depth=1
	v_and_b32_sdwa v10, v19, v42 dst_sel:DWORD dst_unused:UNUSED_PAD src0_sel:BYTE_3 src1_sel:DWORD
	v_lshrrev_b32_e32 v18, 3, v70
	s_mov_b32 s19, exec_lo
	v_cmpx_gt_u32_e32 8, v70
; %bb.758:                              ;   in Loop: Header=BB365_516 Depth=1
	v_ffbh_u32_e32 v18, v10
	v_min_u32_e32 v18, 32, v18
	v_subrev_nc_u32_e32 v21, 28, v18
	v_sub_nc_u32_e32 v18, 29, v18
	v_lshlrev_b64 v[72:73], v21, v[10:11]
	v_and_b32_e32 v10, 7, v72
; %bb.759:                              ;   in Loop: Header=BB365_516 Depth=1
	s_or_b32 exec_lo, exec_lo, s19
	v_lshlrev_b32_sdwa v19, v43, v19 dst_sel:DWORD dst_unused:UNUSED_PAD src0_sel:DWORD src1_sel:BYTE_3
	v_lshlrev_b32_e32 v10, 20, v10
	v_lshl_add_u32 v18, v18, 23, 0x3c000000
	v_and_b32_e32 v19, 0x80000000, v19
	v_or3_b32 v21, v10, v19, v18
.LBB365_760:                            ;   in Loop: Header=BB365_516 Depth=1
	s_or_b32 exec_lo, exec_lo, s18
.LBB365_761:                            ;   in Loop: Header=BB365_516 Depth=1
	s_or_b32 exec_lo, exec_lo, s17
.LBB365_762:                            ;   in Loop: Header=BB365_516 Depth=1
	s_or_b32 exec_lo, exec_lo, s16
	v_mul_f32_e32 v10, s14, v20
	v_mul_f32_e32 v18, s14, v69
	;; [unrolled: 1-line block ×5, first 2 shown]
	v_bfe_u32 v23, v10, 16, 1
	v_or_b32_e32 v24, 0x400000, v10
	v_bfe_u32 v69, v18, 16, 1
	v_cmp_u_f32_e64 s1, v10, v10
	v_or_b32_e32 v70, 0x400000, v18
	v_add3_u32 v23, v23, v10, 0x7fff
	v_bfe_u32 v72, v19, 16, 1
	v_add3_u32 v69, v69, v18, 0x7fff
	v_or_b32_e32 v73, 0x400000, v19
	v_bfe_u32 v74, v20, 16, 1
	v_cndmask_b32_e64 v10, v23, v24, s1
	v_cmp_u_f32_e64 s1, v18, v18
	v_add3_u32 v72, v72, v19, 0x7fff
	v_or_b32_e32 v23, 0x400000, v20
	v_mul_f32_e32 v21, s14, v21
	v_cndmask_b32_e64 v18, v69, v70, s1
	v_cmp_u_f32_e64 s1, v19, v19
	v_lshrrev_b32_e32 v69, 16, v10
	v_mul_f32_e32 v10, s14, v22
	v_add3_u32 v22, v74, v20, 0x7fff
	v_lshrrev_b32_e32 v70, 16, v18
	v_cndmask_b32_e64 v19, v72, v73, s1
	v_cmp_u_f32_e64 s1, v20, v20
	v_bfe_u32 v18, v10, 16, 1
	v_mul_f32_e32 v20, s14, v71
	v_or_b32_e32 v73, 0x400000, v21
	v_lshrrev_b32_e32 v72, 16, v19
	v_cndmask_b32_e64 v19, v22, v23, s1
	v_add3_u32 v18, v18, v10, 0x7fff
	v_or_b32_e32 v22, 0x400000, v10
	v_bfe_u32 v23, v0, 16, 1
	v_cmp_u_f32_e64 s1, v10, v10
	v_bfe_u32 v24, v20, 16, 1
	v_or_b32_e32 v71, 0x400000, v20
	v_lshrrev_b32_e32 v74, 16, v19
	v_cndmask_b32_e64 v10, v18, v22, s1
	v_add3_u32 v22, v23, v0, 0x7fff
	v_or_b32_e32 v23, 0x400000, v0
	v_cmp_u_f32_e64 s1, v0, v0
	v_bfe_u32 v18, v21, 16, 1
	v_add3_u32 v24, v24, v20, 0x7fff
	v_lshrrev_b32_e32 v76, 16, v10
	v_cndmask_b32_e64 v0, v22, v23, s1
	v_cmp_u_f32_e64 s1, v20, v20
	v_add3_u32 v18, v18, v21, 0x7fff
	v_lshrrev_b32_e32 v75, 16, v0
	v_cndmask_b32_e64 v20, v24, v71, s1
	v_cmp_u_f32_e64 s1, v21, v21
	v_lshrrev_b32_e32 v71, 16, v20
	v_cndmask_b32_e64 v18, v18, v73, s1
	v_lshrrev_b32_e32 v73, 16, v18
	s_and_saveexec_b32 s16, s0
	s_cbranch_execz .LBB365_764
; %bb.763:                              ;   in Loop: Header=BB365_516 Depth=1
	v_add_nc_u32_e32 v0, -6, v37
	v_cmp_gt_i32_e64 s1, s27, v54
	v_add_nc_u32_e32 v10, -5, v37
	v_add_nc_u32_e32 v18, -2, v37
	v_cndmask_b32_e64 v75, 0, v75, s1
	v_cmp_gt_i32_e64 s1, s27, v0
	v_add_nc_u32_e32 v0, -4, v37
	v_cndmask_b32_e64 v76, 0, v76, s1
	v_cmp_gt_i32_e64 s1, s27, v10
	;; [unrolled: 3-line block ×4, first 2 shown]
	v_cndmask_b32_e64 v70, 0, v70, s1
	v_cmp_gt_i32_e64 s1, s27, v18
	v_cndmask_b32_e64 v69, 0, v69, s1
	v_cmp_gt_i32_e64 s1, s27, v0
	;; [unrolled: 2-line block ×3, first 2 shown]
	v_cndmask_b32_e64 v73, 0, v73, s1
.LBB365_764:                            ;   in Loop: Header=BB365_516 Depth=1
	s_or_b32 exec_lo, exec_lo, s16
	global_load_dwordx2 v[18:19], v[16:17], off offset:1024
	v_mov_b32_e32 v22, 0
	v_mov_b32_e32 v0, 0
	s_waitcnt vmcnt(0)
	v_cmp_ne_u16_sdwa s1, v18, v11 src0_sel:BYTE_0 src1_sel:DWORD
	s_and_saveexec_b32 s16, s1
	s_cbranch_execz .LBB365_770
; %bb.765:                              ;   in Loop: Header=BB365_516 Depth=1
	v_cmp_ne_u16_sdwa s1, v18, v39 src0_sel:BYTE_0 src1_sel:DWORD
	v_bfrev_b32_e32 v0, 1
	s_and_saveexec_b32 s17, s1
	s_cbranch_execz .LBB365_769
; %bb.766:                              ;   in Loop: Header=BB365_516 Depth=1
	v_and_b32_e32 v10, 0x7f, v18
	v_mov_b32_e32 v0, 0x7f800001
	s_mov_b32 s18, exec_lo
	v_cmpx_ne_u32_e32 0x7f, v10
	s_cbranch_execz .LBB365_768
; %bb.767:                              ;   in Loop: Header=BB365_516 Depth=1
	v_and_b32_e32 v0, 7, v18
	v_cmp_gt_u32_e64 s1, 8, v10
	v_lshrrev_b32_e32 v20, 3, v10
	v_ffbh_u32_e32 v0, v0
	v_min_u32_e32 v0, 32, v0
	v_subrev_nc_u32_e32 v21, 28, v0
	v_sub_nc_u32_e32 v0, 29, v0
	v_cndmask_b32_e64 v10, 0, v21, s1
	v_cndmask_b32_e64 v0, v20, v0, s1
	v_lshlrev_b64 v[20:21], v10, v[18:19]
	v_lshlrev_b32_e32 v10, 24, v18
	v_lshl_add_u32 v0, v0, 23, 0x3c000000
	v_and_b32_e32 v10, 0x80000000, v10
	v_lshlrev_b32_e32 v20, 20, v20
	v_and_b32_e32 v20, 0x700000, v20
	v_or3_b32 v0, v20, v10, v0
.LBB365_768:                            ;   in Loop: Header=BB365_516 Depth=1
	s_or_b32 exec_lo, exec_lo, s18
.LBB365_769:                            ;   in Loop: Header=BB365_516 Depth=1
	s_or_b32 exec_lo, exec_lo, s17
.LBB365_770:                            ;   in Loop: Header=BB365_516 Depth=1
	s_or_b32 exec_lo, exec_lo, s16
	v_cmp_ne_u16_sdwa s1, v18, v11 src0_sel:BYTE_1 src1_sel:DWORD
	s_and_saveexec_b32 s16, s1
	s_cbranch_execz .LBB365_778
; %bb.771:                              ;   in Loop: Header=BB365_516 Depth=1
	v_cmp_ne_u16_sdwa s1, v18, v39 src0_sel:BYTE_1 src1_sel:DWORD
	v_bfrev_b32_e32 v22, 1
	s_and_saveexec_b32 s17, s1
	s_cbranch_execz .LBB365_777
; %bb.772:                              ;   in Loop: Header=BB365_516 Depth=1
	v_and_b32_sdwa v10, v40, v18 dst_sel:DWORD dst_unused:UNUSED_PAD src0_sel:DWORD src1_sel:BYTE_1
	v_mov_b32_e32 v22, 0x7f800001
	s_mov_b32 s18, exec_lo
	v_and_b32_e32 v21, 0x7f, v10
	v_cmpx_ne_u32_e32 0x7f, v21
	s_cbranch_execz .LBB365_776
; %bb.773:                              ;   in Loop: Header=BB365_516 Depth=1
	v_and_b32_e32 v10, 7, v10
	v_lshrrev_b32_e32 v20, 3, v21
	s_mov_b32 s19, exec_lo
	v_cmpx_gt_u32_e32 8, v21
; %bb.774:                              ;   in Loop: Header=BB365_516 Depth=1
	v_ffbh_u32_e32 v20, v10
	v_min_u32_e32 v20, 32, v20
	v_subrev_nc_u32_e32 v21, 28, v20
	v_sub_nc_u32_e32 v20, 29, v20
	v_lshlrev_b64 v[21:22], v21, v[10:11]
	v_and_b32_e32 v10, 7, v21
; %bb.775:                              ;   in Loop: Header=BB365_516 Depth=1
	s_or_b32 exec_lo, exec_lo, s19
	v_lshlrev_b32_e32 v21, 16, v18
	v_lshlrev_b32_e32 v10, 20, v10
	v_lshl_add_u32 v20, v20, 23, 0x3c000000
	v_and_b32_e32 v21, 0x80000000, v21
	v_or3_b32 v22, v10, v21, v20
.LBB365_776:                            ;   in Loop: Header=BB365_516 Depth=1
	s_or_b32 exec_lo, exec_lo, s18
.LBB365_777:                            ;   in Loop: Header=BB365_516 Depth=1
	s_or_b32 exec_lo, exec_lo, s17
.LBB365_778:                            ;   in Loop: Header=BB365_516 Depth=1
	s_or_b32 exec_lo, exec_lo, s16
	v_and_b32_sdwa v10, v18, v41 dst_sel:DWORD dst_unused:UNUSED_PAD src0_sel:WORD_1 src1_sel:DWORD
	v_mov_b32_e32 v24, 0
	v_mov_b32_e32 v23, 0
	s_mov_b32 s16, exec_lo
	v_cmpx_ne_u16_e32 0, v10
	s_cbranch_execz .LBB365_786
; %bb.779:                              ;   in Loop: Header=BB365_516 Depth=1
	v_bfrev_b32_e32 v23, 1
	s_mov_b32 s17, exec_lo
	v_cmpx_ne_u16_e32 0x80, v10
	s_cbranch_execz .LBB365_785
; %bb.780:                              ;   in Loop: Header=BB365_516 Depth=1
	v_bfe_u32 v21, v18, 16, 7
	v_mov_b32_e32 v23, 0x7f800001
	s_mov_b32 s18, exec_lo
	v_cmpx_ne_u32_e32 0x7f, v21
	s_cbranch_execz .LBB365_784
; %bb.781:                              ;   in Loop: Header=BB365_516 Depth=1
	v_and_b32_sdwa v10, v18, v42 dst_sel:DWORD dst_unused:UNUSED_PAD src0_sel:WORD_1 src1_sel:DWORD
	v_lshrrev_b32_e32 v20, 3, v21
	s_mov_b32 s19, exec_lo
	v_cmpx_gt_u32_e32 8, v21
; %bb.782:                              ;   in Loop: Header=BB365_516 Depth=1
	v_ffbh_u32_e32 v20, v10
	v_min_u32_e32 v20, 32, v20
	v_subrev_nc_u32_e32 v21, 28, v20
	v_sub_nc_u32_e32 v20, 29, v20
	v_lshlrev_b64 v[77:78], v21, v[10:11]
	v_and_b32_e32 v10, 7, v77
; %bb.783:                              ;   in Loop: Header=BB365_516 Depth=1
	s_or_b32 exec_lo, exec_lo, s19
	v_lshlrev_b32_sdwa v21, v43, v18 dst_sel:DWORD dst_unused:UNUSED_PAD src0_sel:DWORD src1_sel:WORD_1
	v_lshlrev_b32_e32 v10, 20, v10
	v_lshl_add_u32 v20, v20, 23, 0x3c000000
	v_and_b32_e32 v21, 0x80000000, v21
	v_or3_b32 v23, v10, v21, v20
.LBB365_784:                            ;   in Loop: Header=BB365_516 Depth=1
	s_or_b32 exec_lo, exec_lo, s18
.LBB365_785:                            ;   in Loop: Header=BB365_516 Depth=1
	s_or_b32 exec_lo, exec_lo, s17
.LBB365_786:                            ;   in Loop: Header=BB365_516 Depth=1
	s_or_b32 exec_lo, exec_lo, s16
	s_mov_b32 s16, exec_lo
	v_cmpx_lt_u32_e32 0xffffff, v18
	s_cbranch_execz .LBB365_794
; %bb.787:                              ;   in Loop: Header=BB365_516 Depth=1
	v_cmp_ne_u32_sdwa s1, v18, v39 src0_sel:BYTE_3 src1_sel:DWORD
	v_bfrev_b32_e32 v24, 1
	s_and_saveexec_b32 s17, s1
	s_cbranch_execz .LBB365_793
; %bb.788:                              ;   in Loop: Header=BB365_516 Depth=1
	v_bfe_u32 v21, v18, 24, 7
	v_mov_b32_e32 v24, 0x7f800001
	s_mov_b32 s18, exec_lo
	v_cmpx_ne_u32_e32 0x7f, v21
	s_cbranch_execz .LBB365_792
; %bb.789:                              ;   in Loop: Header=BB365_516 Depth=1
	v_and_b32_sdwa v10, v18, v42 dst_sel:DWORD dst_unused:UNUSED_PAD src0_sel:BYTE_3 src1_sel:DWORD
	v_lshrrev_b32_e32 v20, 3, v21
	s_mov_b32 s19, exec_lo
	v_cmpx_gt_u32_e32 8, v21
; %bb.790:                              ;   in Loop: Header=BB365_516 Depth=1
	v_ffbh_u32_e32 v20, v10
	v_min_u32_e32 v20, 32, v20
	v_subrev_nc_u32_e32 v21, 28, v20
	v_sub_nc_u32_e32 v20, 29, v20
	v_lshlrev_b64 v[77:78], v21, v[10:11]
	v_and_b32_e32 v10, 7, v77
; %bb.791:                              ;   in Loop: Header=BB365_516 Depth=1
	s_or_b32 exec_lo, exec_lo, s19
	v_lshlrev_b32_sdwa v21, v43, v18 dst_sel:DWORD dst_unused:UNUSED_PAD src0_sel:DWORD src1_sel:BYTE_3
	v_lshlrev_b32_e32 v10, 20, v10
	v_lshl_add_u32 v20, v20, 23, 0x3c000000
	v_and_b32_e32 v21, 0x80000000, v21
	v_or3_b32 v24, v10, v21, v20
.LBB365_792:                            ;   in Loop: Header=BB365_516 Depth=1
	s_or_b32 exec_lo, exec_lo, s18
.LBB365_793:                            ;   in Loop: Header=BB365_516 Depth=1
	s_or_b32 exec_lo, exec_lo, s17
.LBB365_794:                            ;   in Loop: Header=BB365_516 Depth=1
	s_or_b32 exec_lo, exec_lo, s16
	v_mov_b32_e32 v10, v19
	v_cmp_ne_u16_sdwa s1, v19, v11 src0_sel:BYTE_0 src1_sel:DWORD
	v_mov_b32_e32 v20, 0
	v_mov_b32_e32 v77, 0
	s_and_saveexec_b32 s16, s1
	s_cbranch_execz .LBB365_800
; %bb.795:                              ;   in Loop: Header=BB365_516 Depth=1
	v_cmp_ne_u16_sdwa s1, v19, v39 src0_sel:BYTE_0 src1_sel:DWORD
	v_bfrev_b32_e32 v77, 1
	s_and_saveexec_b32 s17, s1
	s_cbranch_execz .LBB365_799
; %bb.796:                              ;   in Loop: Header=BB365_516 Depth=1
	v_and_b32_e32 v21, 0x7f, v19
	v_mov_b32_e32 v77, 0x7f800001
	s_mov_b32 s18, exec_lo
	v_cmpx_ne_u32_e32 0x7f, v21
	s_cbranch_execz .LBB365_798
; %bb.797:                              ;   in Loop: Header=BB365_516 Depth=1
	v_and_b32_e32 v77, 7, v19
	v_lshrrev_b32_e32 v78, 3, v21
	v_cmp_gt_u32_e64 s1, 8, v21
	v_ffbh_u32_e32 v77, v77
	v_min_u32_e32 v77, 32, v77
	v_subrev_nc_u32_e32 v79, 28, v77
	v_sub_nc_u32_e32 v77, 29, v77
	v_cndmask_b32_e64 v21, v78, v77, s1
	v_cndmask_b32_e64 v77, 0, v79, s1
	v_lshl_add_u32 v21, v21, 23, 0x3c000000
	v_lshlrev_b64 v[77:78], v77, v[10:11]
	v_lshlrev_b32_e32 v78, 24, v10
	v_lshlrev_b32_e32 v77, 20, v77
	v_and_b32_e32 v78, 0x80000000, v78
	v_and_b32_e32 v77, 0x700000, v77
	v_or3_b32 v77, v77, v78, v21
.LBB365_798:                            ;   in Loop: Header=BB365_516 Depth=1
	s_or_b32 exec_lo, exec_lo, s18
.LBB365_799:                            ;   in Loop: Header=BB365_516 Depth=1
	s_or_b32 exec_lo, exec_lo, s17
.LBB365_800:                            ;   in Loop: Header=BB365_516 Depth=1
	s_or_b32 exec_lo, exec_lo, s16
	v_cmp_ne_u16_sdwa s1, v10, v11 src0_sel:BYTE_1 src1_sel:DWORD
	s_and_saveexec_b32 s16, s1
	s_cbranch_execz .LBB365_808
; %bb.801:                              ;   in Loop: Header=BB365_516 Depth=1
	v_cmp_ne_u16_sdwa s1, v10, v39 src0_sel:BYTE_1 src1_sel:DWORD
	v_bfrev_b32_e32 v20, 1
	s_and_saveexec_b32 s17, s1
	s_cbranch_execz .LBB365_807
; %bb.802:                              ;   in Loop: Header=BB365_516 Depth=1
	v_and_b32_sdwa v21, v40, v10 dst_sel:DWORD dst_unused:UNUSED_PAD src0_sel:DWORD src1_sel:BYTE_1
	v_mov_b32_e32 v20, 0x7f800001
	s_mov_b32 s18, exec_lo
	v_and_b32_e32 v79, 0x7f, v21
	v_cmpx_ne_u32_e32 0x7f, v79
	s_cbranch_execz .LBB365_806
; %bb.803:                              ;   in Loop: Header=BB365_516 Depth=1
	v_and_b32_e32 v20, 7, v21
	v_mov_b32_e32 v21, v11
	v_lshrrev_b32_e32 v78, 3, v79
	s_mov_b32 s19, exec_lo
	v_cmpx_gt_u32_e32 8, v79
; %bb.804:                              ;   in Loop: Header=BB365_516 Depth=1
	v_ffbh_u32_e32 v78, v20
	v_min_u32_e32 v78, 32, v78
	v_subrev_nc_u32_e32 v79, 28, v78
	v_sub_nc_u32_e32 v78, 29, v78
	v_lshlrev_b64 v[20:21], v79, v[20:21]
	v_and_b32_e32 v20, 7, v20
; %bb.805:                              ;   in Loop: Header=BB365_516 Depth=1
	s_or_b32 exec_lo, exec_lo, s19
	v_lshlrev_b32_e32 v10, 16, v10
	v_lshlrev_b32_e32 v20, 20, v20
	v_lshl_add_u32 v21, v78, 23, 0x3c000000
	v_and_b32_e32 v10, 0x80000000, v10
	v_or3_b32 v20, v20, v10, v21
.LBB365_806:                            ;   in Loop: Header=BB365_516 Depth=1
	s_or_b32 exec_lo, exec_lo, s18
.LBB365_807:                            ;   in Loop: Header=BB365_516 Depth=1
	s_or_b32 exec_lo, exec_lo, s17
.LBB365_808:                            ;   in Loop: Header=BB365_516 Depth=1
	s_or_b32 exec_lo, exec_lo, s16
	v_and_b32_sdwa v10, v19, v41 dst_sel:DWORD dst_unused:UNUSED_PAD src0_sel:WORD_1 src1_sel:DWORD
	v_mov_b32_e32 v21, 0
	v_mov_b32_e32 v79, 0
	s_mov_b32 s16, exec_lo
	v_cmpx_ne_u16_e32 0, v10
	s_cbranch_execz .LBB365_816
; %bb.809:                              ;   in Loop: Header=BB365_516 Depth=1
	v_bfrev_b32_e32 v79, 1
	s_mov_b32 s17, exec_lo
	v_cmpx_ne_u16_e32 0x80, v10
	s_cbranch_execz .LBB365_815
; %bb.810:                              ;   in Loop: Header=BB365_516 Depth=1
	v_bfe_u32 v80, v19, 16, 7
	v_mov_b32_e32 v79, 0x7f800001
	s_mov_b32 s18, exec_lo
	v_cmpx_ne_u32_e32 0x7f, v80
	s_cbranch_execz .LBB365_814
; %bb.811:                              ;   in Loop: Header=BB365_516 Depth=1
	v_and_b32_sdwa v10, v19, v42 dst_sel:DWORD dst_unused:UNUSED_PAD src0_sel:WORD_1 src1_sel:DWORD
	v_lshrrev_b32_e32 v78, 3, v80
	s_mov_b32 s19, exec_lo
	v_cmpx_gt_u32_e32 8, v80
; %bb.812:                              ;   in Loop: Header=BB365_516 Depth=1
	v_ffbh_u32_e32 v78, v10
	v_min_u32_e32 v78, 32, v78
	v_subrev_nc_u32_e32 v79, 28, v78
	v_sub_nc_u32_e32 v78, 29, v78
	v_lshlrev_b64 v[79:80], v79, v[10:11]
	v_and_b32_e32 v10, 7, v79
; %bb.813:                              ;   in Loop: Header=BB365_516 Depth=1
	s_or_b32 exec_lo, exec_lo, s19
	v_lshlrev_b32_sdwa v79, v43, v19 dst_sel:DWORD dst_unused:UNUSED_PAD src0_sel:DWORD src1_sel:WORD_1
	v_lshlrev_b32_e32 v10, 20, v10
	v_lshl_add_u32 v78, v78, 23, 0x3c000000
	v_and_b32_e32 v79, 0x80000000, v79
	v_or3_b32 v79, v10, v79, v78
.LBB365_814:                            ;   in Loop: Header=BB365_516 Depth=1
	s_or_b32 exec_lo, exec_lo, s18
.LBB365_815:                            ;   in Loop: Header=BB365_516 Depth=1
	s_or_b32 exec_lo, exec_lo, s17
.LBB365_816:                            ;   in Loop: Header=BB365_516 Depth=1
	s_or_b32 exec_lo, exec_lo, s16
	s_mov_b32 s16, exec_lo
	v_cmpx_lt_u64_e64 s[6:7], v[18:19]
	s_cbranch_execz .LBB365_824
; %bb.817:                              ;   in Loop: Header=BB365_516 Depth=1
	v_cmp_ne_u32_sdwa s1, v19, v39 src0_sel:BYTE_3 src1_sel:DWORD
	v_bfrev_b32_e32 v21, 1
	s_and_saveexec_b32 s17, s1
	s_cbranch_execz .LBB365_823
; %bb.818:                              ;   in Loop: Header=BB365_516 Depth=1
	v_bfe_u32 v78, v19, 24, 7
	v_mov_b32_e32 v21, 0x7f800001
	s_mov_b32 s18, exec_lo
	v_cmpx_ne_u32_e32 0x7f, v78
	s_cbranch_execz .LBB365_822
; %bb.819:                              ;   in Loop: Header=BB365_516 Depth=1
	v_and_b32_sdwa v10, v19, v42 dst_sel:DWORD dst_unused:UNUSED_PAD src0_sel:BYTE_3 src1_sel:DWORD
	v_lshrrev_b32_e32 v18, 3, v78
	s_mov_b32 s19, exec_lo
	v_cmpx_gt_u32_e32 8, v78
; %bb.820:                              ;   in Loop: Header=BB365_516 Depth=1
	v_ffbh_u32_e32 v18, v10
	v_min_u32_e32 v18, 32, v18
	v_subrev_nc_u32_e32 v21, 28, v18
	v_sub_nc_u32_e32 v18, 29, v18
	v_lshlrev_b64 v[80:81], v21, v[10:11]
	v_and_b32_e32 v10, 7, v80
; %bb.821:                              ;   in Loop: Header=BB365_516 Depth=1
	s_or_b32 exec_lo, exec_lo, s19
	v_lshlrev_b32_sdwa v19, v43, v19 dst_sel:DWORD dst_unused:UNUSED_PAD src0_sel:DWORD src1_sel:BYTE_3
	v_lshlrev_b32_e32 v10, 20, v10
	v_lshl_add_u32 v18, v18, 23, 0x3c000000
	v_and_b32_e32 v19, 0x80000000, v19
	v_or3_b32 v21, v10, v19, v18
.LBB365_822:                            ;   in Loop: Header=BB365_516 Depth=1
	s_or_b32 exec_lo, exec_lo, s18
.LBB365_823:                            ;   in Loop: Header=BB365_516 Depth=1
	s_or_b32 exec_lo, exec_lo, s17
.LBB365_824:                            ;   in Loop: Header=BB365_516 Depth=1
	s_or_b32 exec_lo, exec_lo, s16
	v_mul_f32_e32 v10, s14, v20
	v_mul_f32_e32 v18, s14, v77
	;; [unrolled: 1-line block ×5, first 2 shown]
	v_bfe_u32 v23, v10, 16, 1
	v_or_b32_e32 v24, 0x400000, v10
	v_bfe_u32 v77, v18, 16, 1
	v_cmp_u_f32_e64 s1, v10, v10
	v_or_b32_e32 v78, 0x400000, v18
	v_add3_u32 v23, v23, v10, 0x7fff
	v_bfe_u32 v80, v19, 16, 1
	v_add3_u32 v77, v77, v18, 0x7fff
	v_or_b32_e32 v81, 0x400000, v19
	v_bfe_u32 v82, v20, 16, 1
	v_cndmask_b32_e64 v10, v23, v24, s1
	v_cmp_u_f32_e64 s1, v18, v18
	v_add3_u32 v80, v80, v19, 0x7fff
	v_or_b32_e32 v23, 0x400000, v20
	v_mul_f32_e32 v21, s14, v21
	v_cndmask_b32_e64 v18, v77, v78, s1
	v_cmp_u_f32_e64 s1, v19, v19
	v_lshrrev_b32_e32 v77, 16, v10
	v_mul_f32_e32 v10, s14, v22
	v_add3_u32 v22, v82, v20, 0x7fff
	v_lshrrev_b32_e32 v78, 16, v18
	v_cndmask_b32_e64 v19, v80, v81, s1
	v_cmp_u_f32_e64 s1, v20, v20
	v_bfe_u32 v18, v10, 16, 1
	v_mul_f32_e32 v20, s14, v79
	v_or_b32_e32 v81, 0x400000, v21
	v_lshrrev_b32_e32 v80, 16, v19
	v_cndmask_b32_e64 v19, v22, v23, s1
	v_add3_u32 v18, v18, v10, 0x7fff
	v_or_b32_e32 v22, 0x400000, v10
	v_bfe_u32 v23, v0, 16, 1
	v_cmp_u_f32_e64 s1, v10, v10
	v_bfe_u32 v24, v20, 16, 1
	v_or_b32_e32 v79, 0x400000, v20
	v_lshrrev_b32_e32 v82, 16, v19
	v_cndmask_b32_e64 v10, v18, v22, s1
	v_add3_u32 v22, v23, v0, 0x7fff
	v_or_b32_e32 v23, 0x400000, v0
	v_cmp_u_f32_e64 s1, v0, v0
	v_bfe_u32 v18, v21, 16, 1
	v_add3_u32 v24, v24, v20, 0x7fff
	v_lshrrev_b32_e32 v84, 16, v10
	v_cndmask_b32_e64 v0, v22, v23, s1
	v_cmp_u_f32_e64 s1, v20, v20
	v_add3_u32 v18, v18, v21, 0x7fff
	v_lshrrev_b32_e32 v83, 16, v0
	v_cndmask_b32_e64 v20, v24, v79, s1
	v_cmp_u_f32_e64 s1, v21, v21
	v_lshrrev_b32_e32 v79, 16, v20
	v_cndmask_b32_e64 v18, v18, v81, s1
	v_lshrrev_b32_e32 v81, 16, v18
	s_and_saveexec_b32 s16, s0
	s_cbranch_execz .LBB365_826
; %bb.825:                              ;   in Loop: Header=BB365_516 Depth=1
	v_add_nc_u32_e32 v0, -6, v37
	v_cmp_gt_i32_e64 s1, s27, v54
	v_add_nc_u32_e32 v10, -5, v37
	v_add_nc_u32_e32 v18, -2, v37
	v_cndmask_b32_e64 v83, 0, v83, s1
	v_cmp_gt_i32_e64 s1, s27, v0
	v_add_nc_u32_e32 v0, -4, v37
	v_cndmask_b32_e64 v84, 0, v84, s1
	v_cmp_gt_i32_e64 s1, s27, v10
	;; [unrolled: 3-line block ×4, first 2 shown]
	v_cndmask_b32_e64 v78, 0, v78, s1
	v_cmp_gt_i32_e64 s1, s27, v18
	v_cndmask_b32_e64 v77, 0, v77, s1
	v_cmp_gt_i32_e64 s1, s27, v0
	;; [unrolled: 2-line block ×3, first 2 shown]
	v_cndmask_b32_e64 v81, 0, v81, s1
.LBB365_826:                            ;   in Loop: Header=BB365_516 Depth=1
	s_or_b32 exec_lo, exec_lo, s16
	global_load_dwordx2 v[18:19], v[16:17], off offset:1280
	v_mov_b32_e32 v22, 0
	v_mov_b32_e32 v0, 0
	s_waitcnt vmcnt(0)
	v_cmp_ne_u16_sdwa s1, v18, v11 src0_sel:BYTE_0 src1_sel:DWORD
	s_and_saveexec_b32 s16, s1
	s_cbranch_execz .LBB365_832
; %bb.827:                              ;   in Loop: Header=BB365_516 Depth=1
	v_cmp_ne_u16_sdwa s1, v18, v39 src0_sel:BYTE_0 src1_sel:DWORD
	v_bfrev_b32_e32 v0, 1
	s_and_saveexec_b32 s17, s1
	s_cbranch_execz .LBB365_831
; %bb.828:                              ;   in Loop: Header=BB365_516 Depth=1
	v_and_b32_e32 v10, 0x7f, v18
	v_mov_b32_e32 v0, 0x7f800001
	s_mov_b32 s18, exec_lo
	v_cmpx_ne_u32_e32 0x7f, v10
	s_cbranch_execz .LBB365_830
; %bb.829:                              ;   in Loop: Header=BB365_516 Depth=1
	v_and_b32_e32 v0, 7, v18
	v_cmp_gt_u32_e64 s1, 8, v10
	v_lshrrev_b32_e32 v20, 3, v10
	v_ffbh_u32_e32 v0, v0
	v_min_u32_e32 v0, 32, v0
	v_subrev_nc_u32_e32 v21, 28, v0
	v_sub_nc_u32_e32 v0, 29, v0
	v_cndmask_b32_e64 v10, 0, v21, s1
	v_cndmask_b32_e64 v0, v20, v0, s1
	v_lshlrev_b64 v[20:21], v10, v[18:19]
	v_lshlrev_b32_e32 v10, 24, v18
	v_lshl_add_u32 v0, v0, 23, 0x3c000000
	v_and_b32_e32 v10, 0x80000000, v10
	v_lshlrev_b32_e32 v20, 20, v20
	v_and_b32_e32 v20, 0x700000, v20
	v_or3_b32 v0, v20, v10, v0
.LBB365_830:                            ;   in Loop: Header=BB365_516 Depth=1
	s_or_b32 exec_lo, exec_lo, s18
.LBB365_831:                            ;   in Loop: Header=BB365_516 Depth=1
	s_or_b32 exec_lo, exec_lo, s17
.LBB365_832:                            ;   in Loop: Header=BB365_516 Depth=1
	s_or_b32 exec_lo, exec_lo, s16
	v_cmp_ne_u16_sdwa s1, v18, v11 src0_sel:BYTE_1 src1_sel:DWORD
	s_and_saveexec_b32 s16, s1
	s_cbranch_execz .LBB365_840
; %bb.833:                              ;   in Loop: Header=BB365_516 Depth=1
	v_cmp_ne_u16_sdwa s1, v18, v39 src0_sel:BYTE_1 src1_sel:DWORD
	v_bfrev_b32_e32 v22, 1
	s_and_saveexec_b32 s17, s1
	s_cbranch_execz .LBB365_839
; %bb.834:                              ;   in Loop: Header=BB365_516 Depth=1
	v_and_b32_sdwa v10, v40, v18 dst_sel:DWORD dst_unused:UNUSED_PAD src0_sel:DWORD src1_sel:BYTE_1
	v_mov_b32_e32 v22, 0x7f800001
	s_mov_b32 s18, exec_lo
	v_and_b32_e32 v21, 0x7f, v10
	v_cmpx_ne_u32_e32 0x7f, v21
	s_cbranch_execz .LBB365_838
; %bb.835:                              ;   in Loop: Header=BB365_516 Depth=1
	v_and_b32_e32 v10, 7, v10
	v_lshrrev_b32_e32 v20, 3, v21
	s_mov_b32 s19, exec_lo
	v_cmpx_gt_u32_e32 8, v21
; %bb.836:                              ;   in Loop: Header=BB365_516 Depth=1
	v_ffbh_u32_e32 v20, v10
	v_min_u32_e32 v20, 32, v20
	v_subrev_nc_u32_e32 v21, 28, v20
	v_sub_nc_u32_e32 v20, 29, v20
	v_lshlrev_b64 v[21:22], v21, v[10:11]
	v_and_b32_e32 v10, 7, v21
; %bb.837:                              ;   in Loop: Header=BB365_516 Depth=1
	s_or_b32 exec_lo, exec_lo, s19
	v_lshlrev_b32_e32 v21, 16, v18
	v_lshlrev_b32_e32 v10, 20, v10
	v_lshl_add_u32 v20, v20, 23, 0x3c000000
	v_and_b32_e32 v21, 0x80000000, v21
	v_or3_b32 v22, v10, v21, v20
.LBB365_838:                            ;   in Loop: Header=BB365_516 Depth=1
	s_or_b32 exec_lo, exec_lo, s18
.LBB365_839:                            ;   in Loop: Header=BB365_516 Depth=1
	s_or_b32 exec_lo, exec_lo, s17
.LBB365_840:                            ;   in Loop: Header=BB365_516 Depth=1
	s_or_b32 exec_lo, exec_lo, s16
	v_and_b32_sdwa v10, v18, v41 dst_sel:DWORD dst_unused:UNUSED_PAD src0_sel:WORD_1 src1_sel:DWORD
	v_mov_b32_e32 v24, 0
	v_mov_b32_e32 v23, 0
	s_mov_b32 s16, exec_lo
	v_cmpx_ne_u16_e32 0, v10
	s_cbranch_execz .LBB365_848
; %bb.841:                              ;   in Loop: Header=BB365_516 Depth=1
	v_bfrev_b32_e32 v23, 1
	s_mov_b32 s17, exec_lo
	v_cmpx_ne_u16_e32 0x80, v10
	s_cbranch_execz .LBB365_847
; %bb.842:                              ;   in Loop: Header=BB365_516 Depth=1
	v_bfe_u32 v21, v18, 16, 7
	v_mov_b32_e32 v23, 0x7f800001
	s_mov_b32 s18, exec_lo
	v_cmpx_ne_u32_e32 0x7f, v21
	s_cbranch_execz .LBB365_846
; %bb.843:                              ;   in Loop: Header=BB365_516 Depth=1
	v_and_b32_sdwa v10, v18, v42 dst_sel:DWORD dst_unused:UNUSED_PAD src0_sel:WORD_1 src1_sel:DWORD
	v_lshrrev_b32_e32 v20, 3, v21
	s_mov_b32 s19, exec_lo
	v_cmpx_gt_u32_e32 8, v21
; %bb.844:                              ;   in Loop: Header=BB365_516 Depth=1
	v_ffbh_u32_e32 v20, v10
	v_min_u32_e32 v20, 32, v20
	v_subrev_nc_u32_e32 v21, 28, v20
	v_sub_nc_u32_e32 v20, 29, v20
	v_lshlrev_b64 v[85:86], v21, v[10:11]
	v_and_b32_e32 v10, 7, v85
; %bb.845:                              ;   in Loop: Header=BB365_516 Depth=1
	s_or_b32 exec_lo, exec_lo, s19
	v_lshlrev_b32_sdwa v21, v43, v18 dst_sel:DWORD dst_unused:UNUSED_PAD src0_sel:DWORD src1_sel:WORD_1
	v_lshlrev_b32_e32 v10, 20, v10
	v_lshl_add_u32 v20, v20, 23, 0x3c000000
	v_and_b32_e32 v21, 0x80000000, v21
	v_or3_b32 v23, v10, v21, v20
.LBB365_846:                            ;   in Loop: Header=BB365_516 Depth=1
	s_or_b32 exec_lo, exec_lo, s18
.LBB365_847:                            ;   in Loop: Header=BB365_516 Depth=1
	s_or_b32 exec_lo, exec_lo, s17
.LBB365_848:                            ;   in Loop: Header=BB365_516 Depth=1
	s_or_b32 exec_lo, exec_lo, s16
	s_mov_b32 s16, exec_lo
	v_cmpx_lt_u32_e32 0xffffff, v18
	s_cbranch_execz .LBB365_856
; %bb.849:                              ;   in Loop: Header=BB365_516 Depth=1
	v_cmp_ne_u32_sdwa s1, v18, v39 src0_sel:BYTE_3 src1_sel:DWORD
	v_bfrev_b32_e32 v24, 1
	s_and_saveexec_b32 s17, s1
	s_cbranch_execz .LBB365_855
; %bb.850:                              ;   in Loop: Header=BB365_516 Depth=1
	v_bfe_u32 v21, v18, 24, 7
	v_mov_b32_e32 v24, 0x7f800001
	s_mov_b32 s18, exec_lo
	v_cmpx_ne_u32_e32 0x7f, v21
	s_cbranch_execz .LBB365_854
; %bb.851:                              ;   in Loop: Header=BB365_516 Depth=1
	v_and_b32_sdwa v10, v18, v42 dst_sel:DWORD dst_unused:UNUSED_PAD src0_sel:BYTE_3 src1_sel:DWORD
	v_lshrrev_b32_e32 v20, 3, v21
	s_mov_b32 s19, exec_lo
	v_cmpx_gt_u32_e32 8, v21
; %bb.852:                              ;   in Loop: Header=BB365_516 Depth=1
	v_ffbh_u32_e32 v20, v10
	v_min_u32_e32 v20, 32, v20
	v_subrev_nc_u32_e32 v21, 28, v20
	v_sub_nc_u32_e32 v20, 29, v20
	v_lshlrev_b64 v[85:86], v21, v[10:11]
	v_and_b32_e32 v10, 7, v85
; %bb.853:                              ;   in Loop: Header=BB365_516 Depth=1
	s_or_b32 exec_lo, exec_lo, s19
	v_lshlrev_b32_sdwa v21, v43, v18 dst_sel:DWORD dst_unused:UNUSED_PAD src0_sel:DWORD src1_sel:BYTE_3
	v_lshlrev_b32_e32 v10, 20, v10
	v_lshl_add_u32 v20, v20, 23, 0x3c000000
	v_and_b32_e32 v21, 0x80000000, v21
	v_or3_b32 v24, v10, v21, v20
.LBB365_854:                            ;   in Loop: Header=BB365_516 Depth=1
	s_or_b32 exec_lo, exec_lo, s18
.LBB365_855:                            ;   in Loop: Header=BB365_516 Depth=1
	s_or_b32 exec_lo, exec_lo, s17
.LBB365_856:                            ;   in Loop: Header=BB365_516 Depth=1
	s_or_b32 exec_lo, exec_lo, s16
	v_mov_b32_e32 v10, v19
	v_cmp_ne_u16_sdwa s1, v19, v11 src0_sel:BYTE_0 src1_sel:DWORD
	v_mov_b32_e32 v20, 0
	v_mov_b32_e32 v85, 0
	s_and_saveexec_b32 s16, s1
	s_cbranch_execz .LBB365_862
; %bb.857:                              ;   in Loop: Header=BB365_516 Depth=1
	v_cmp_ne_u16_sdwa s1, v19, v39 src0_sel:BYTE_0 src1_sel:DWORD
	v_bfrev_b32_e32 v85, 1
	s_and_saveexec_b32 s17, s1
	s_cbranch_execz .LBB365_861
; %bb.858:                              ;   in Loop: Header=BB365_516 Depth=1
	v_and_b32_e32 v21, 0x7f, v19
	v_mov_b32_e32 v85, 0x7f800001
	s_mov_b32 s18, exec_lo
	v_cmpx_ne_u32_e32 0x7f, v21
	s_cbranch_execz .LBB365_860
; %bb.859:                              ;   in Loop: Header=BB365_516 Depth=1
	v_and_b32_e32 v85, 7, v19
	v_lshrrev_b32_e32 v86, 3, v21
	v_cmp_gt_u32_e64 s1, 8, v21
	v_ffbh_u32_e32 v85, v85
	v_min_u32_e32 v85, 32, v85
	v_subrev_nc_u32_e32 v87, 28, v85
	v_sub_nc_u32_e32 v85, 29, v85
	v_cndmask_b32_e64 v21, v86, v85, s1
	v_cndmask_b32_e64 v85, 0, v87, s1
	v_lshl_add_u32 v21, v21, 23, 0x3c000000
	v_lshlrev_b64 v[85:86], v85, v[10:11]
	v_lshlrev_b32_e32 v86, 24, v10
	v_lshlrev_b32_e32 v85, 20, v85
	v_and_b32_e32 v86, 0x80000000, v86
	v_and_b32_e32 v85, 0x700000, v85
	v_or3_b32 v85, v85, v86, v21
.LBB365_860:                            ;   in Loop: Header=BB365_516 Depth=1
	s_or_b32 exec_lo, exec_lo, s18
.LBB365_861:                            ;   in Loop: Header=BB365_516 Depth=1
	s_or_b32 exec_lo, exec_lo, s17
.LBB365_862:                            ;   in Loop: Header=BB365_516 Depth=1
	s_or_b32 exec_lo, exec_lo, s16
	v_cmp_ne_u16_sdwa s1, v10, v11 src0_sel:BYTE_1 src1_sel:DWORD
	s_and_saveexec_b32 s16, s1
	s_cbranch_execz .LBB365_870
; %bb.863:                              ;   in Loop: Header=BB365_516 Depth=1
	v_cmp_ne_u16_sdwa s1, v10, v39 src0_sel:BYTE_1 src1_sel:DWORD
	v_bfrev_b32_e32 v20, 1
	s_and_saveexec_b32 s17, s1
	s_cbranch_execz .LBB365_869
; %bb.864:                              ;   in Loop: Header=BB365_516 Depth=1
	v_and_b32_sdwa v21, v40, v10 dst_sel:DWORD dst_unused:UNUSED_PAD src0_sel:DWORD src1_sel:BYTE_1
	v_mov_b32_e32 v20, 0x7f800001
	s_mov_b32 s18, exec_lo
	v_and_b32_e32 v87, 0x7f, v21
	v_cmpx_ne_u32_e32 0x7f, v87
	s_cbranch_execz .LBB365_868
; %bb.865:                              ;   in Loop: Header=BB365_516 Depth=1
	v_and_b32_e32 v20, 7, v21
	v_mov_b32_e32 v21, v11
	v_lshrrev_b32_e32 v86, 3, v87
	s_mov_b32 s19, exec_lo
	v_cmpx_gt_u32_e32 8, v87
; %bb.866:                              ;   in Loop: Header=BB365_516 Depth=1
	v_ffbh_u32_e32 v86, v20
	v_min_u32_e32 v86, 32, v86
	v_subrev_nc_u32_e32 v87, 28, v86
	v_sub_nc_u32_e32 v86, 29, v86
	v_lshlrev_b64 v[20:21], v87, v[20:21]
	v_and_b32_e32 v20, 7, v20
; %bb.867:                              ;   in Loop: Header=BB365_516 Depth=1
	s_or_b32 exec_lo, exec_lo, s19
	v_lshlrev_b32_e32 v10, 16, v10
	v_lshlrev_b32_e32 v20, 20, v20
	v_lshl_add_u32 v21, v86, 23, 0x3c000000
	v_and_b32_e32 v10, 0x80000000, v10
	v_or3_b32 v20, v20, v10, v21
.LBB365_868:                            ;   in Loop: Header=BB365_516 Depth=1
	s_or_b32 exec_lo, exec_lo, s18
.LBB365_869:                            ;   in Loop: Header=BB365_516 Depth=1
	s_or_b32 exec_lo, exec_lo, s17
.LBB365_870:                            ;   in Loop: Header=BB365_516 Depth=1
	s_or_b32 exec_lo, exec_lo, s16
	v_and_b32_sdwa v10, v19, v41 dst_sel:DWORD dst_unused:UNUSED_PAD src0_sel:WORD_1 src1_sel:DWORD
	v_mov_b32_e32 v87, 0
	v_mov_b32_e32 v88, 0
	s_mov_b32 s16, exec_lo
	v_cmpx_ne_u16_e32 0, v10
	s_cbranch_execz .LBB365_878
; %bb.871:                              ;   in Loop: Header=BB365_516 Depth=1
	v_bfrev_b32_e32 v88, 1
	s_mov_b32 s17, exec_lo
	v_cmpx_ne_u16_e32 0x80, v10
	s_cbranch_execz .LBB365_877
; %bb.872:                              ;   in Loop: Header=BB365_516 Depth=1
	v_bfe_u32 v86, v19, 16, 7
	v_mov_b32_e32 v88, 0x7f800001
	s_mov_b32 s18, exec_lo
	v_cmpx_ne_u32_e32 0x7f, v86
	s_cbranch_execz .LBB365_876
; %bb.873:                              ;   in Loop: Header=BB365_516 Depth=1
	v_and_b32_sdwa v10, v19, v42 dst_sel:DWORD dst_unused:UNUSED_PAD src0_sel:WORD_1 src1_sel:DWORD
	v_lshrrev_b32_e32 v21, 3, v86
	s_mov_b32 s19, exec_lo
	v_cmpx_gt_u32_e32 8, v86
; %bb.874:                              ;   in Loop: Header=BB365_516 Depth=1
	v_ffbh_u32_e32 v21, v10
	v_min_u32_e32 v21, 32, v21
	v_subrev_nc_u32_e32 v86, 28, v21
	v_sub_nc_u32_e32 v21, 29, v21
	v_lshlrev_b64 v[88:89], v86, v[10:11]
	v_and_b32_e32 v10, 7, v88
; %bb.875:                              ;   in Loop: Header=BB365_516 Depth=1
	s_or_b32 exec_lo, exec_lo, s19
	v_lshlrev_b32_sdwa v86, v43, v19 dst_sel:DWORD dst_unused:UNUSED_PAD src0_sel:DWORD src1_sel:WORD_1
	v_lshlrev_b32_e32 v10, 20, v10
	v_lshl_add_u32 v21, v21, 23, 0x3c000000
	v_and_b32_e32 v86, 0x80000000, v86
	v_or3_b32 v88, v10, v86, v21
.LBB365_876:                            ;   in Loop: Header=BB365_516 Depth=1
	s_or_b32 exec_lo, exec_lo, s18
.LBB365_877:                            ;   in Loop: Header=BB365_516 Depth=1
	s_or_b32 exec_lo, exec_lo, s17
.LBB365_878:                            ;   in Loop: Header=BB365_516 Depth=1
	s_or_b32 exec_lo, exec_lo, s16
	s_mov_b32 s16, exec_lo
	v_cmpx_lt_u64_e64 s[6:7], v[18:19]
	s_cbranch_execz .LBB365_886
; %bb.879:                              ;   in Loop: Header=BB365_516 Depth=1
	v_cmp_ne_u32_sdwa s1, v19, v39 src0_sel:BYTE_3 src1_sel:DWORD
	v_bfrev_b32_e32 v87, 1
	s_and_saveexec_b32 s17, s1
	s_cbranch_execz .LBB365_885
; %bb.880:                              ;   in Loop: Header=BB365_516 Depth=1
	v_bfe_u32 v21, v19, 24, 7
	v_mov_b32_e32 v87, 0x7f800001
	s_mov_b32 s18, exec_lo
	v_cmpx_ne_u32_e32 0x7f, v21
	s_cbranch_execz .LBB365_884
; %bb.881:                              ;   in Loop: Header=BB365_516 Depth=1
	v_and_b32_sdwa v10, v19, v42 dst_sel:DWORD dst_unused:UNUSED_PAD src0_sel:BYTE_3 src1_sel:DWORD
	v_lshrrev_b32_e32 v18, 3, v21
	s_mov_b32 s19, exec_lo
	v_cmpx_gt_u32_e32 8, v21
; %bb.882:                              ;   in Loop: Header=BB365_516 Depth=1
	v_ffbh_u32_e32 v18, v10
	v_min_u32_e32 v18, 32, v18
	v_subrev_nc_u32_e32 v21, 28, v18
	v_sub_nc_u32_e32 v18, 29, v18
	v_lshlrev_b64 v[86:87], v21, v[10:11]
	v_and_b32_e32 v10, 7, v86
; %bb.883:                              ;   in Loop: Header=BB365_516 Depth=1
	s_or_b32 exec_lo, exec_lo, s19
	v_lshlrev_b32_sdwa v19, v43, v19 dst_sel:DWORD dst_unused:UNUSED_PAD src0_sel:DWORD src1_sel:BYTE_3
	v_lshlrev_b32_e32 v10, 20, v10
	v_lshl_add_u32 v18, v18, 23, 0x3c000000
	v_and_b32_e32 v19, 0x80000000, v19
	v_or3_b32 v87, v10, v19, v18
.LBB365_884:                            ;   in Loop: Header=BB365_516 Depth=1
	s_or_b32 exec_lo, exec_lo, s18
.LBB365_885:                            ;   in Loop: Header=BB365_516 Depth=1
	s_or_b32 exec_lo, exec_lo, s17
.LBB365_886:                            ;   in Loop: Header=BB365_516 Depth=1
	s_or_b32 exec_lo, exec_lo, s16
	v_mul_f32_e32 v10, s14, v20
	v_mul_f32_e32 v18, s14, v85
	;; [unrolled: 1-line block ×5, first 2 shown]
	v_bfe_u32 v20, v10, 16, 1
	v_or_b32_e32 v21, 0x400000, v10
	v_bfe_u32 v24, v18, 16, 1
	v_cmp_u_f32_e64 s1, v10, v10
	v_or_b32_e32 v85, 0x400000, v18
	v_add3_u32 v20, v20, v10, 0x7fff
	v_bfe_u32 v86, v19, 16, 1
	v_add3_u32 v24, v24, v18, 0x7fff
	v_or_b32_e32 v89, 0x400000, v19
	v_bfe_u32 v90, v23, 16, 1
	v_cndmask_b32_e64 v10, v20, v21, s1
	v_cmp_u_f32_e64 s1, v18, v18
	v_add3_u32 v86, v86, v19, 0x7fff
	v_lshrrev_b32_e32 v20, 16, v10
	v_cndmask_b32_e64 v18, v24, v85, s1
	v_cmp_u_f32_e64 s1, v19, v19
	v_mul_f32_e32 v10, s14, v22
	v_add3_u32 v22, v90, v23, 0x7fff
	v_or_b32_e32 v24, 0x400000, v23
	v_lshrrev_b32_e32 v21, 16, v18
	v_cndmask_b32_e64 v19, v86, v89, s1
	v_bfe_u32 v18, v10, 16, 1
	v_cmp_u_f32_e64 s1, v23, v23
	v_or_b32_e32 v23, 0x400000, v10
	v_bfe_u32 v85, v0, 16, 1
	v_lshrrev_b32_e32 v86, 16, v19
	v_add3_u32 v18, v18, v10, 0x7fff
	v_cndmask_b32_e64 v19, v22, v24, s1
	v_mul_f32_e32 v22, s14, v88
	v_cmp_u_f32_e64 s1, v10, v10
	v_mul_f32_e32 v24, s14, v87
	v_bfe_u32 v87, v22, 16, 1
	v_cndmask_b32_e64 v10, v18, v23, s1
	v_add3_u32 v23, v85, v0, 0x7fff
	v_or_b32_e32 v85, 0x400000, v0
	v_cmp_u_f32_e64 s1, v0, v0
	v_bfe_u32 v18, v24, 16, 1
	v_add3_u32 v87, v87, v22, 0x7fff
	v_or_b32_e32 v88, 0x400000, v22
	v_or_b32_e32 v89, 0x400000, v24
	v_cndmask_b32_e64 v0, v23, v85, s1
	v_cmp_u_f32_e64 s1, v22, v22
	v_add3_u32 v18, v18, v24, 0x7fff
	v_lshrrev_b32_e32 v90, 16, v10
	v_cndmask_b32_e64 v22, v87, v88, s1
	v_cmp_u_f32_e64 s1, v24, v24
	v_lshrrev_b32_e32 v88, 16, v19
	v_lshrrev_b32_e32 v85, 16, v22
	v_cndmask_b32_e64 v18, v18, v89, s1
	v_lshrrev_b32_e32 v89, 16, v0
	v_lshrrev_b32_e32 v87, 16, v18
	s_and_saveexec_b32 s16, s0
	s_cbranch_execz .LBB365_888
; %bb.887:                              ;   in Loop: Header=BB365_516 Depth=1
	v_add_nc_u32_e32 v0, -6, v37
	v_cmp_gt_i32_e64 s1, s27, v54
	v_add_nc_u32_e32 v10, -5, v37
	v_add_nc_u32_e32 v18, -2, v37
	v_cndmask_b32_e64 v89, 0, v89, s1
	v_cmp_gt_i32_e64 s1, s27, v0
	v_add_nc_u32_e32 v0, -4, v37
	v_cndmask_b32_e64 v90, 0, v90, s1
	v_cmp_gt_i32_e64 s1, s27, v10
	v_add_nc_u32_e32 v10, -3, v37
	v_cndmask_b32_e64 v88, 0, v88, s1
	v_cmp_gt_i32_e64 s1, s27, v0
	v_add_nc_u32_e32 v0, -1, v37
	v_cndmask_b32_e64 v86, 0, v86, s1
	v_cmp_gt_i32_e64 s1, s27, v10
	v_cndmask_b32_e64 v21, 0, v21, s1
	v_cmp_gt_i32_e64 s1, s27, v18
	v_cndmask_b32_e64 v20, 0, v20, s1
	v_cmp_gt_i32_e64 s1, s27, v0
	v_cndmask_b32_e64 v85, 0, v85, s1
	v_cmp_gt_i32_e64 s1, s27, v37
	v_cndmask_b32_e64 v87, 0, v87, s1
.LBB365_888:                            ;   in Loop: Header=BB365_516 Depth=1
	s_or_b32 exec_lo, exec_lo, s16
	global_load_dwordx2 v[16:17], v[16:17], off offset:1536
	v_mov_b32_e32 v0, 0
	v_mov_b32_e32 v22, 0
	s_waitcnt vmcnt(0)
	v_cmp_ne_u16_sdwa s1, v16, v11 src0_sel:BYTE_0 src1_sel:DWORD
	s_and_saveexec_b32 s16, s1
	s_cbranch_execz .LBB365_894
; %bb.889:                              ;   in Loop: Header=BB365_516 Depth=1
	v_cmp_ne_u16_sdwa s1, v16, v39 src0_sel:BYTE_0 src1_sel:DWORD
	v_bfrev_b32_e32 v22, 1
	s_and_saveexec_b32 s17, s1
	s_cbranch_execz .LBB365_893
; %bb.890:                              ;   in Loop: Header=BB365_516 Depth=1
	v_and_b32_e32 v10, 0x7f, v16
	v_mov_b32_e32 v22, 0x7f800001
	s_mov_b32 s18, exec_lo
	v_cmpx_ne_u32_e32 0x7f, v10
	s_cbranch_execz .LBB365_892
; %bb.891:                              ;   in Loop: Header=BB365_516 Depth=1
	v_and_b32_e32 v18, 7, v16
	v_lshrrev_b32_e32 v19, 3, v10
	v_cmp_gt_u32_e64 s1, 8, v10
	v_ffbh_u32_e32 v18, v18
	v_min_u32_e32 v18, 32, v18
	v_subrev_nc_u32_e32 v22, 28, v18
	v_sub_nc_u32_e32 v18, 29, v18
	v_cndmask_b32_e64 v10, v19, v18, s1
	v_cndmask_b32_e64 v18, 0, v22, s1
	v_lshl_add_u32 v10, v10, 23, 0x3c000000
	v_lshlrev_b64 v[18:19], v18, v[16:17]
	v_lshlrev_b32_e32 v19, 24, v16
	v_lshlrev_b32_e32 v18, 20, v18
	v_and_b32_e32 v19, 0x80000000, v19
	v_and_b32_e32 v18, 0x700000, v18
	v_or3_b32 v22, v18, v19, v10
.LBB365_892:                            ;   in Loop: Header=BB365_516 Depth=1
	s_or_b32 exec_lo, exec_lo, s18
.LBB365_893:                            ;   in Loop: Header=BB365_516 Depth=1
	s_or_b32 exec_lo, exec_lo, s17
.LBB365_894:                            ;   in Loop: Header=BB365_516 Depth=1
	s_or_b32 exec_lo, exec_lo, s16
	v_cmp_ne_u16_sdwa s1, v16, v11 src0_sel:BYTE_1 src1_sel:DWORD
	s_and_saveexec_b32 s16, s1
	s_cbranch_execz .LBB365_902
; %bb.895:                              ;   in Loop: Header=BB365_516 Depth=1
	v_cmp_ne_u16_sdwa s1, v16, v39 src0_sel:BYTE_1 src1_sel:DWORD
	v_bfrev_b32_e32 v0, 1
	s_and_saveexec_b32 s17, s1
	s_cbranch_execz .LBB365_901
; %bb.896:                              ;   in Loop: Header=BB365_516 Depth=1
	v_and_b32_sdwa v10, v40, v16 dst_sel:DWORD dst_unused:UNUSED_PAD src0_sel:DWORD src1_sel:BYTE_1
	v_mov_b32_e32 v0, 0x7f800001
	s_mov_b32 s18, exec_lo
	v_and_b32_e32 v18, 0x7f, v10
	v_cmpx_ne_u32_e32 0x7f, v18
	s_cbranch_execz .LBB365_900
; %bb.897:                              ;   in Loop: Header=BB365_516 Depth=1
	v_and_b32_e32 v10, 7, v10
	v_lshrrev_b32_e32 v0, 3, v18
	s_mov_b32 s19, exec_lo
	v_cmpx_gt_u32_e32 8, v18
; %bb.898:                              ;   in Loop: Header=BB365_516 Depth=1
	v_ffbh_u32_e32 v0, v10
	v_min_u32_e32 v0, 32, v0
	v_subrev_nc_u32_e32 v18, 28, v0
	v_sub_nc_u32_e32 v0, 29, v0
	v_lshlrev_b64 v[18:19], v18, v[10:11]
	v_and_b32_e32 v10, 7, v18
; %bb.899:                              ;   in Loop: Header=BB365_516 Depth=1
	s_or_b32 exec_lo, exec_lo, s19
	v_lshlrev_b32_e32 v18, 16, v16
	v_lshlrev_b32_e32 v10, 20, v10
	v_lshl_add_u32 v0, v0, 23, 0x3c000000
	v_and_b32_e32 v18, 0x80000000, v18
	v_or3_b32 v0, v10, v18, v0
.LBB365_900:                            ;   in Loop: Header=BB365_516 Depth=1
	s_or_b32 exec_lo, exec_lo, s18
.LBB365_901:                            ;   in Loop: Header=BB365_516 Depth=1
	s_or_b32 exec_lo, exec_lo, s17
.LBB365_902:                            ;   in Loop: Header=BB365_516 Depth=1
	s_or_b32 exec_lo, exec_lo, s16
	v_and_b32_sdwa v10, v16, v41 dst_sel:DWORD dst_unused:UNUSED_PAD src0_sel:WORD_1 src1_sel:DWORD
	v_mov_b32_e32 v24, 0
	v_mov_b32_e32 v23, 0
	s_mov_b32 s16, exec_lo
	v_cmpx_ne_u16_e32 0, v10
	s_cbranch_execz .LBB365_910
; %bb.903:                              ;   in Loop: Header=BB365_516 Depth=1
	v_bfrev_b32_e32 v23, 1
	s_mov_b32 s17, exec_lo
	v_cmpx_ne_u16_e32 0x80, v10
	s_cbranch_execz .LBB365_909
; %bb.904:                              ;   in Loop: Header=BB365_516 Depth=1
	v_bfe_u32 v19, v16, 16, 7
	v_mov_b32_e32 v23, 0x7f800001
	s_mov_b32 s18, exec_lo
	v_cmpx_ne_u32_e32 0x7f, v19
	s_cbranch_execz .LBB365_908
; %bb.905:                              ;   in Loop: Header=BB365_516 Depth=1
	v_and_b32_sdwa v10, v16, v42 dst_sel:DWORD dst_unused:UNUSED_PAD src0_sel:WORD_1 src1_sel:DWORD
	v_lshrrev_b32_e32 v18, 3, v19
	s_mov_b32 s19, exec_lo
	v_cmpx_gt_u32_e32 8, v19
; %bb.906:                              ;   in Loop: Header=BB365_516 Depth=1
	v_ffbh_u32_e32 v18, v10
	v_min_u32_e32 v18, 32, v18
	v_subrev_nc_u32_e32 v19, 28, v18
	v_sub_nc_u32_e32 v18, 29, v18
	v_lshlrev_b64 v[91:92], v19, v[10:11]
	v_and_b32_e32 v10, 7, v91
; %bb.907:                              ;   in Loop: Header=BB365_516 Depth=1
	s_or_b32 exec_lo, exec_lo, s19
	v_lshlrev_b32_sdwa v19, v43, v16 dst_sel:DWORD dst_unused:UNUSED_PAD src0_sel:DWORD src1_sel:WORD_1
	v_lshlrev_b32_e32 v10, 20, v10
	v_lshl_add_u32 v18, v18, 23, 0x3c000000
	v_and_b32_e32 v19, 0x80000000, v19
	v_or3_b32 v23, v10, v19, v18
.LBB365_908:                            ;   in Loop: Header=BB365_516 Depth=1
	s_or_b32 exec_lo, exec_lo, s18
.LBB365_909:                            ;   in Loop: Header=BB365_516 Depth=1
	s_or_b32 exec_lo, exec_lo, s17
.LBB365_910:                            ;   in Loop: Header=BB365_516 Depth=1
	s_or_b32 exec_lo, exec_lo, s16
	s_mov_b32 s16, exec_lo
	v_cmpx_lt_u32_e32 0xffffff, v16
	s_cbranch_execz .LBB365_918
; %bb.911:                              ;   in Loop: Header=BB365_516 Depth=1
	v_cmp_ne_u32_sdwa s1, v16, v39 src0_sel:BYTE_3 src1_sel:DWORD
	v_bfrev_b32_e32 v24, 1
	s_and_saveexec_b32 s17, s1
	s_cbranch_execz .LBB365_917
; %bb.912:                              ;   in Loop: Header=BB365_516 Depth=1
	v_bfe_u32 v19, v16, 24, 7
	v_mov_b32_e32 v24, 0x7f800001
	s_mov_b32 s18, exec_lo
	v_cmpx_ne_u32_e32 0x7f, v19
	s_cbranch_execz .LBB365_916
; %bb.913:                              ;   in Loop: Header=BB365_516 Depth=1
	v_and_b32_sdwa v10, v16, v42 dst_sel:DWORD dst_unused:UNUSED_PAD src0_sel:BYTE_3 src1_sel:DWORD
	v_lshrrev_b32_e32 v18, 3, v19
	s_mov_b32 s19, exec_lo
	v_cmpx_gt_u32_e32 8, v19
; %bb.914:                              ;   in Loop: Header=BB365_516 Depth=1
	v_ffbh_u32_e32 v18, v10
	v_min_u32_e32 v18, 32, v18
	v_subrev_nc_u32_e32 v19, 28, v18
	v_sub_nc_u32_e32 v18, 29, v18
	v_lshlrev_b64 v[91:92], v19, v[10:11]
	v_and_b32_e32 v10, 7, v91
; %bb.915:                              ;   in Loop: Header=BB365_516 Depth=1
	s_or_b32 exec_lo, exec_lo, s19
	v_lshlrev_b32_sdwa v19, v43, v16 dst_sel:DWORD dst_unused:UNUSED_PAD src0_sel:DWORD src1_sel:BYTE_3
	v_lshlrev_b32_e32 v10, 20, v10
	v_lshl_add_u32 v18, v18, 23, 0x3c000000
	v_and_b32_e32 v19, 0x80000000, v19
	v_or3_b32 v24, v10, v19, v18
.LBB365_916:                            ;   in Loop: Header=BB365_516 Depth=1
	s_or_b32 exec_lo, exec_lo, s18
.LBB365_917:                            ;   in Loop: Header=BB365_516 Depth=1
	s_or_b32 exec_lo, exec_lo, s17
.LBB365_918:                            ;   in Loop: Header=BB365_516 Depth=1
	s_or_b32 exec_lo, exec_lo, s16
	v_mov_b32_e32 v10, v17
	v_cmp_ne_u16_sdwa s1, v17, v11 src0_sel:BYTE_0 src1_sel:DWORD
	v_mov_b32_e32 v18, 0
	v_mov_b32_e32 v91, 0
	s_and_saveexec_b32 s16, s1
	s_cbranch_execz .LBB365_924
; %bb.919:                              ;   in Loop: Header=BB365_516 Depth=1
	v_cmp_ne_u16_sdwa s1, v17, v39 src0_sel:BYTE_0 src1_sel:DWORD
	v_bfrev_b32_e32 v91, 1
	s_and_saveexec_b32 s17, s1
	s_cbranch_execz .LBB365_923
; %bb.920:                              ;   in Loop: Header=BB365_516 Depth=1
	v_and_b32_e32 v19, 0x7f, v17
	v_mov_b32_e32 v91, 0x7f800001
	s_mov_b32 s18, exec_lo
	v_cmpx_ne_u32_e32 0x7f, v19
	s_cbranch_execz .LBB365_922
; %bb.921:                              ;   in Loop: Header=BB365_516 Depth=1
	v_and_b32_e32 v91, 7, v17
	v_lshrrev_b32_e32 v92, 3, v19
	v_cmp_gt_u32_e64 s1, 8, v19
	v_ffbh_u32_e32 v91, v91
	v_min_u32_e32 v91, 32, v91
	v_subrev_nc_u32_e32 v93, 28, v91
	v_sub_nc_u32_e32 v91, 29, v91
	v_cndmask_b32_e64 v19, v92, v91, s1
	v_cndmask_b32_e64 v91, 0, v93, s1
	v_lshl_add_u32 v19, v19, 23, 0x3c000000
	v_lshlrev_b64 v[91:92], v91, v[10:11]
	v_lshlrev_b32_e32 v92, 24, v10
	v_lshlrev_b32_e32 v91, 20, v91
	v_and_b32_e32 v92, 0x80000000, v92
	v_and_b32_e32 v91, 0x700000, v91
	v_or3_b32 v91, v91, v92, v19
.LBB365_922:                            ;   in Loop: Header=BB365_516 Depth=1
	s_or_b32 exec_lo, exec_lo, s18
.LBB365_923:                            ;   in Loop: Header=BB365_516 Depth=1
	s_or_b32 exec_lo, exec_lo, s17
.LBB365_924:                            ;   in Loop: Header=BB365_516 Depth=1
	s_or_b32 exec_lo, exec_lo, s16
	v_cmp_ne_u16_sdwa s1, v10, v11 src0_sel:BYTE_1 src1_sel:DWORD
	s_and_saveexec_b32 s16, s1
	s_cbranch_execz .LBB365_932
; %bb.925:                              ;   in Loop: Header=BB365_516 Depth=1
	v_cmp_ne_u16_sdwa s1, v10, v39 src0_sel:BYTE_1 src1_sel:DWORD
	v_bfrev_b32_e32 v18, 1
	s_and_saveexec_b32 s17, s1
	s_cbranch_execz .LBB365_931
; %bb.926:                              ;   in Loop: Header=BB365_516 Depth=1
	v_and_b32_sdwa v19, v40, v10 dst_sel:DWORD dst_unused:UNUSED_PAD src0_sel:DWORD src1_sel:BYTE_1
	v_mov_b32_e32 v18, 0x7f800001
	s_mov_b32 s18, exec_lo
	v_and_b32_e32 v93, 0x7f, v19
	v_cmpx_ne_u32_e32 0x7f, v93
	s_cbranch_execz .LBB365_930
; %bb.927:                              ;   in Loop: Header=BB365_516 Depth=1
	v_and_b32_e32 v18, 7, v19
	v_mov_b32_e32 v19, v11
	v_lshrrev_b32_e32 v92, 3, v93
	s_mov_b32 s19, exec_lo
	v_cmpx_gt_u32_e32 8, v93
; %bb.928:                              ;   in Loop: Header=BB365_516 Depth=1
	v_ffbh_u32_e32 v92, v18
	v_min_u32_e32 v92, 32, v92
	v_subrev_nc_u32_e32 v93, 28, v92
	v_sub_nc_u32_e32 v92, 29, v92
	v_lshlrev_b64 v[18:19], v93, v[18:19]
	v_and_b32_e32 v18, 7, v18
; %bb.929:                              ;   in Loop: Header=BB365_516 Depth=1
	s_or_b32 exec_lo, exec_lo, s19
	v_lshlrev_b32_e32 v10, 16, v10
	v_lshlrev_b32_e32 v18, 20, v18
	v_lshl_add_u32 v19, v92, 23, 0x3c000000
	v_and_b32_e32 v10, 0x80000000, v10
	v_or3_b32 v18, v18, v10, v19
.LBB365_930:                            ;   in Loop: Header=BB365_516 Depth=1
	s_or_b32 exec_lo, exec_lo, s18
.LBB365_931:                            ;   in Loop: Header=BB365_516 Depth=1
	s_or_b32 exec_lo, exec_lo, s17
.LBB365_932:                            ;   in Loop: Header=BB365_516 Depth=1
	s_or_b32 exec_lo, exec_lo, s16
	v_and_b32_sdwa v10, v17, v41 dst_sel:DWORD dst_unused:UNUSED_PAD src0_sel:WORD_1 src1_sel:DWORD
	v_mov_b32_e32 v92, 0
	v_mov_b32_e32 v93, 0
	s_mov_b32 s16, exec_lo
	v_cmpx_ne_u16_e32 0, v10
	s_cbranch_execz .LBB365_940
; %bb.933:                              ;   in Loop: Header=BB365_516 Depth=1
	v_bfrev_b32_e32 v93, 1
	s_mov_b32 s17, exec_lo
	v_cmpx_ne_u16_e32 0x80, v10
	s_cbranch_execz .LBB365_939
; %bb.934:                              ;   in Loop: Header=BB365_516 Depth=1
	v_bfe_u32 v94, v17, 16, 7
	v_mov_b32_e32 v93, 0x7f800001
	s_mov_b32 s18, exec_lo
	v_cmpx_ne_u32_e32 0x7f, v94
	s_cbranch_execz .LBB365_938
; %bb.935:                              ;   in Loop: Header=BB365_516 Depth=1
	v_and_b32_sdwa v10, v17, v42 dst_sel:DWORD dst_unused:UNUSED_PAD src0_sel:WORD_1 src1_sel:DWORD
	v_lshrrev_b32_e32 v19, 3, v94
	s_mov_b32 s19, exec_lo
	v_cmpx_gt_u32_e32 8, v94
; %bb.936:                              ;   in Loop: Header=BB365_516 Depth=1
	v_ffbh_u32_e32 v19, v10
	v_min_u32_e32 v19, 32, v19
	v_subrev_nc_u32_e32 v93, 28, v19
	v_sub_nc_u32_e32 v19, 29, v19
	v_lshlrev_b64 v[93:94], v93, v[10:11]
	v_and_b32_e32 v10, 7, v93
; %bb.937:                              ;   in Loop: Header=BB365_516 Depth=1
	s_or_b32 exec_lo, exec_lo, s19
	v_lshlrev_b32_sdwa v93, v43, v17 dst_sel:DWORD dst_unused:UNUSED_PAD src0_sel:DWORD src1_sel:WORD_1
	v_lshlrev_b32_e32 v10, 20, v10
	v_lshl_add_u32 v19, v19, 23, 0x3c000000
	v_and_b32_e32 v93, 0x80000000, v93
	v_or3_b32 v93, v10, v93, v19
.LBB365_938:                            ;   in Loop: Header=BB365_516 Depth=1
	s_or_b32 exec_lo, exec_lo, s18
.LBB365_939:                            ;   in Loop: Header=BB365_516 Depth=1
	s_or_b32 exec_lo, exec_lo, s17
.LBB365_940:                            ;   in Loop: Header=BB365_516 Depth=1
	s_or_b32 exec_lo, exec_lo, s16
	s_mov_b32 s16, exec_lo
	v_cmpx_lt_u64_e64 s[6:7], v[16:17]
	s_cbranch_execz .LBB365_948
; %bb.941:                              ;   in Loop: Header=BB365_516 Depth=1
	v_cmp_ne_u32_sdwa s1, v17, v39 src0_sel:BYTE_3 src1_sel:DWORD
	v_bfrev_b32_e32 v92, 1
	s_and_saveexec_b32 s17, s1
	s_cbranch_execz .LBB365_947
; %bb.942:                              ;   in Loop: Header=BB365_516 Depth=1
	v_bfe_u32 v19, v17, 24, 7
	v_mov_b32_e32 v92, 0x7f800001
	s_mov_b32 s18, exec_lo
	v_cmpx_ne_u32_e32 0x7f, v19
	s_cbranch_execz .LBB365_946
; %bb.943:                              ;   in Loop: Header=BB365_516 Depth=1
	v_and_b32_sdwa v10, v17, v42 dst_sel:DWORD dst_unused:UNUSED_PAD src0_sel:BYTE_3 src1_sel:DWORD
	v_lshrrev_b32_e32 v16, 3, v19
	s_mov_b32 s19, exec_lo
	v_cmpx_gt_u32_e32 8, v19
; %bb.944:                              ;   in Loop: Header=BB365_516 Depth=1
	v_ffbh_u32_e32 v16, v10
	v_min_u32_e32 v16, 32, v16
	v_subrev_nc_u32_e32 v19, 28, v16
	v_sub_nc_u32_e32 v16, 29, v16
	v_lshlrev_b64 v[94:95], v19, v[10:11]
	v_and_b32_e32 v10, 7, v94
; %bb.945:                              ;   in Loop: Header=BB365_516 Depth=1
	s_or_b32 exec_lo, exec_lo, s19
	v_lshlrev_b32_sdwa v17, v43, v17 dst_sel:DWORD dst_unused:UNUSED_PAD src0_sel:DWORD src1_sel:BYTE_3
	v_lshlrev_b32_e32 v10, 20, v10
	v_lshl_add_u32 v16, v16, 23, 0x3c000000
	v_and_b32_e32 v17, 0x80000000, v17
	v_or3_b32 v92, v10, v17, v16
.LBB365_946:                            ;   in Loop: Header=BB365_516 Depth=1
	s_or_b32 exec_lo, exec_lo, s18
.LBB365_947:                            ;   in Loop: Header=BB365_516 Depth=1
	s_or_b32 exec_lo, exec_lo, s17
.LBB365_948:                            ;   in Loop: Header=BB365_516 Depth=1
	s_or_b32 exec_lo, exec_lo, s16
	v_mul_f32_e32 v10, s14, v18
	v_mul_f32_e32 v16, s14, v91
	;; [unrolled: 1-line block ×5, first 2 shown]
	v_bfe_u32 v19, v10, 16, 1
	v_or_b32_e32 v23, 0x400000, v10
	v_bfe_u32 v24, v16, 16, 1
	v_cmp_u_f32_e64 s1, v10, v10
	v_or_b32_e32 v91, 0x400000, v16
	v_add3_u32 v19, v19, v10, 0x7fff
	v_bfe_u32 v94, v17, 16, 1
	v_add3_u32 v24, v24, v16, 0x7fff
	v_or_b32_e32 v95, 0x400000, v17
	v_bfe_u32 v96, v18, 16, 1
	v_cndmask_b32_e64 v10, v19, v23, s1
	v_cmp_u_f32_e64 s1, v16, v16
	v_add3_u32 v94, v94, v17, 0x7fff
	v_add3_u32 v23, v96, v18, 0x7fff
	v_lshrrev_b32_e32 v16, 16, v10
	v_cndmask_b32_e64 v19, v24, v91, s1
	v_cmp_u_f32_e64 s1, v17, v17
	v_mul_f32_e32 v10, s14, v0
	v_or_b32_e32 v24, 0x400000, v18
	v_mul_f32_e32 v91, s14, v92
	v_lshrrev_b32_e32 v0, 16, v19
	v_cndmask_b32_e64 v17, v94, v95, s1
	v_cmp_u_f32_e64 s1, v18, v18
	v_bfe_u32 v92, v22, 16, 1
	v_or_b32_e32 v95, 0x400000, v91
	v_lshrrev_b32_e32 v19, 16, v17
	v_bfe_u32 v17, v10, 16, 1
	v_cndmask_b32_e64 v18, v23, v24, s1
	v_mul_f32_e32 v23, s14, v93
	v_or_b32_e32 v24, 0x400000, v10
	v_cmp_u_f32_e64 s1, v10, v10
	v_add3_u32 v17, v17, v10, 0x7fff
	v_bfe_u32 v93, v23, 16, 1
	v_or_b32_e32 v94, 0x400000, v23
	v_cndmask_b32_e64 v10, v17, v24, s1
	v_add3_u32 v24, v92, v22, 0x7fff
	v_or_b32_e32 v92, 0x400000, v22
	v_cmp_u_f32_e64 s1, v22, v22
	v_bfe_u32 v17, v91, 16, 1
	v_add3_u32 v93, v93, v23, 0x7fff
	v_lshrrev_b32_e32 v22, 16, v18
	v_cndmask_b32_e64 v92, v24, v92, s1
	v_cmp_u_f32_e64 s1, v23, v23
	v_add3_u32 v17, v17, v91, 0x7fff
	v_lshrrev_b32_e32 v24, 16, v10
	v_lshrrev_b32_e32 v23, 16, v92
	v_cndmask_b32_e64 v93, v93, v94, s1
	v_cmp_u_f32_e64 s1, v91, v91
	v_cndmask_b32_e64 v91, v17, v95, s1
	v_lshrrev_b32_e32 v17, 16, v93
	v_lshrrev_b32_e32 v18, 16, v91
	s_and_saveexec_b32 s16, s0
	s_cbranch_execz .LBB365_950
; %bb.949:                              ;   in Loop: Header=BB365_516 Depth=1
	v_add_nc_u32_e32 v10, -6, v37
	v_cmp_gt_i32_e64 s1, s27, v54
	v_add_nc_u32_e32 v91, -5, v37
	v_add_nc_u32_e32 v92, -2, v37
	v_cndmask_b32_e64 v23, 0, v23, s1
	v_cmp_gt_i32_e64 s1, s27, v10
	v_add_nc_u32_e32 v10, -4, v37
	v_cndmask_b32_e64 v24, 0, v24, s1
	v_cmp_gt_i32_e64 s1, s27, v91
	;; [unrolled: 3-line block ×4, first 2 shown]
	v_cndmask_b32_e64 v0, 0, v0, s1
	v_cmp_gt_i32_e64 s1, s27, v92
	v_cndmask_b32_e64 v16, 0, v16, s1
	v_cmp_gt_i32_e64 s1, s27, v10
	;; [unrolled: 2-line block ×3, first 2 shown]
	v_cndmask_b32_e64 v18, 0, v18, s1
.LBB365_950:                            ;   in Loop: Header=BB365_516 Depth=1
	s_or_b32 exec_lo, exec_lo, s16
	v_bfe_u32 v10, v5, 16, 1
	v_bfe_u32 v91, v6, 16, 1
	v_or_b32_e32 v92, 0x400000, v5
	v_cmp_u_f32_e64 s1, v5, v5
	v_or_b32_e32 v93, 0x400000, v6
	v_add3_u32 v10, v10, v5, 0x7fff
	v_bfe_u32 v94, v7, 16, 1
	v_add3_u32 v91, v91, v6, 0x7fff
	v_bfe_u32 v95, v8, 16, 1
	v_cndmask_b32_e64 v5, v10, v92, s1
	v_cmp_u_f32_e64 s1, v6, v6
	v_add3_u32 v10, v94, v7, 0x7fff
	v_bfe_u32 v92, v1, 16, 1
	v_or_b32_e32 v94, 0x400000, v8
	v_cndmask_b32_e64 v6, v91, v93, s1
	v_or_b32_e32 v91, 0x400000, v7
	v_cmp_u_f32_e64 s1, v7, v7
	v_add3_u32 v93, v95, v8, 0x7fff
	v_or_b32_e32 v95, 0x400000, v4
	v_cndmask_b32_e64 v7, v10, v91, s1
	v_cmp_u_f32_e64 s1, v8, v8
	v_add3_u32 v10, v92, v1, 0x7fff
	v_or_b32_e32 v91, 0x400000, v1
	v_bfe_u32 v8, v2, 16, 1
	v_cndmask_b32_e64 v92, v93, v94, s1
	v_cmp_u_f32_e64 s1, v1, v1
	v_bfe_u32 v93, v3, 16, 1
	v_add3_u32 v8, v8, v2, 0x7fff
	v_or_b32_e32 v94, 0x400000, v3
	v_perm_b32 v7, v92, v7, 0x7060302
	v_cndmask_b32_e64 v1, v10, v91, s1
	v_or_b32_e32 v91, 0x400000, v2
	v_cmp_u_f32_e64 s1, v2, v2
	v_bfe_u32 v10, v4, 16, 1
	v_add3_u32 v93, v93, v3, 0x7fff
	v_cndmask_b32_e64 v2, v8, v91, s1
	v_cmp_u_f32_e64 s1, v3, v3
	v_add3_u32 v10, v10, v4, 0x7fff
	v_perm_b32 v8, v6, v5, 0x7060302
	v_perm_b32 v6, v2, v1, 0x7060302
	v_cndmask_b32_e64 v3, v93, v94, s1
	v_cmp_u_f32_e64 s1, v4, v4
	v_cndmask_b32_e64 v4, v10, v95, s1
	v_perm_b32 v5, v4, v3, 0x7060302
	s_and_saveexec_b32 s16, vcc_lo
	s_cbranch_execz .LBB365_515
; %bb.951:                              ;   in Loop: Header=BB365_516 Depth=1
	v_add_co_u32 v1, s1, v14, v36
	v_add_co_ci_u32_e64 v2, null, 0, v15, s1
	v_mov_b32_e32 v15, 0
	v_mov_b32_e32 v14, 0
	global_load_dwordx2 v[1:2], v[1:2], off
	s_waitcnt vmcnt(0)
	v_cmp_ne_u16_sdwa s1, v1, v11 src0_sel:BYTE_0 src1_sel:DWORD
	s_and_saveexec_b32 s17, s1
	s_cbranch_execz .LBB365_957
; %bb.952:                              ;   in Loop: Header=BB365_516 Depth=1
	v_cmp_ne_u16_sdwa s1, v1, v39 src0_sel:BYTE_0 src1_sel:DWORD
	v_bfrev_b32_e32 v14, 1
	s_and_saveexec_b32 s18, s1
	s_cbranch_execz .LBB365_956
; %bb.953:                              ;   in Loop: Header=BB365_516 Depth=1
	v_and_b32_e32 v3, 0x7f, v1
	v_mov_b32_e32 v14, 0x7f800001
	s_mov_b32 s19, exec_lo
	v_cmpx_ne_u32_e32 0x7f, v3
	s_cbranch_execz .LBB365_955
; %bb.954:                              ;   in Loop: Header=BB365_516 Depth=1
	v_and_b32_e32 v4, 7, v1
	v_cmp_gt_u32_e64 s1, 8, v3
	v_lshrrev_b32_e32 v10, 3, v3
	v_ffbh_u32_e32 v4, v4
	v_min_u32_e32 v4, 32, v4
	v_subrev_nc_u32_e32 v14, 28, v4
	v_sub_nc_u32_e32 v4, 29, v4
	v_cndmask_b32_e64 v3, 0, v14, s1
	v_cndmask_b32_e64 v10, v10, v4, s1
	v_lshlrev_b64 v[3:4], v3, v[1:2]
	v_lshlrev_b32_e32 v4, 24, v1
	v_lshl_add_u32 v10, v10, 23, 0x3c000000
	v_lshlrev_b32_e32 v3, 20, v3
	v_and_b32_e32 v4, 0x80000000, v4
	v_and_b32_e32 v3, 0x700000, v3
	v_or3_b32 v14, v3, v4, v10
.LBB365_955:                            ;   in Loop: Header=BB365_516 Depth=1
	s_or_b32 exec_lo, exec_lo, s19
.LBB365_956:                            ;   in Loop: Header=BB365_516 Depth=1
	s_or_b32 exec_lo, exec_lo, s18
.LBB365_957:                            ;   in Loop: Header=BB365_516 Depth=1
	s_or_b32 exec_lo, exec_lo, s17
	v_cmp_ne_u16_sdwa s1, v1, v11 src0_sel:BYTE_1 src1_sel:DWORD
	s_and_saveexec_b32 s17, s1
	s_cbranch_execz .LBB365_965
; %bb.958:                              ;   in Loop: Header=BB365_516 Depth=1
	v_cmp_ne_u16_sdwa s1, v1, v39 src0_sel:BYTE_1 src1_sel:DWORD
	v_bfrev_b32_e32 v15, 1
	s_and_saveexec_b32 s18, s1
	s_cbranch_execz .LBB365_964
; %bb.959:                              ;   in Loop: Header=BB365_516 Depth=1
	v_and_b32_sdwa v3, v40, v1 dst_sel:DWORD dst_unused:UNUSED_PAD src0_sel:DWORD src1_sel:BYTE_1
	v_mov_b32_e32 v15, 0x7f800001
	s_mov_b32 s19, exec_lo
	v_and_b32_e32 v4, 0x7f, v3
	v_cmpx_ne_u32_e32 0x7f, v4
	s_cbranch_execz .LBB365_963
; %bb.960:                              ;   in Loop: Header=BB365_516 Depth=1
	v_and_b32_e32 v10, 7, v3
	v_lshrrev_b32_e32 v3, 3, v4
	s_mov_b32 s20, exec_lo
	v_cmpx_gt_u32_e32 8, v4
; %bb.961:                              ;   in Loop: Header=BB365_516 Depth=1
	v_ffbh_u32_e32 v3, v10
	v_min_u32_e32 v3, 32, v3
	v_subrev_nc_u32_e32 v4, 28, v3
	v_sub_nc_u32_e32 v3, 29, v3
	v_lshlrev_b64 v[91:92], v4, v[10:11]
	v_and_b32_e32 v10, 7, v91
; %bb.962:                              ;   in Loop: Header=BB365_516 Depth=1
	s_or_b32 exec_lo, exec_lo, s20
	v_lshlrev_b32_e32 v4, 16, v1
	v_lshlrev_b32_e32 v10, 20, v10
	v_lshl_add_u32 v3, v3, 23, 0x3c000000
	v_and_b32_e32 v4, 0x80000000, v4
	v_or3_b32 v15, v10, v4, v3
.LBB365_963:                            ;   in Loop: Header=BB365_516 Depth=1
	s_or_b32 exec_lo, exec_lo, s19
.LBB365_964:                            ;   in Loop: Header=BB365_516 Depth=1
	s_or_b32 exec_lo, exec_lo, s18
.LBB365_965:                            ;   in Loop: Header=BB365_516 Depth=1
	s_or_b32 exec_lo, exec_lo, s17
	v_and_b32_sdwa v3, v1, v41 dst_sel:DWORD dst_unused:UNUSED_PAD src0_sel:WORD_1 src1_sel:DWORD
	v_mov_b32_e32 v92, 0
	v_mov_b32_e32 v91, 0
	s_mov_b32 s17, exec_lo
	v_cmpx_ne_u16_e32 0, v3
	s_cbranch_execz .LBB365_973
; %bb.966:                              ;   in Loop: Header=BB365_516 Depth=1
	v_bfrev_b32_e32 v91, 1
	s_mov_b32 s18, exec_lo
	v_cmpx_ne_u16_e32 0x80, v3
	s_cbranch_execz .LBB365_972
; %bb.967:                              ;   in Loop: Header=BB365_516 Depth=1
	v_bfe_u32 v4, v1, 16, 7
	v_mov_b32_e32 v91, 0x7f800001
	s_mov_b32 s19, exec_lo
	v_cmpx_ne_u32_e32 0x7f, v4
	s_cbranch_execz .LBB365_971
; %bb.968:                              ;   in Loop: Header=BB365_516 Depth=1
	v_and_b32_sdwa v10, v1, v42 dst_sel:DWORD dst_unused:UNUSED_PAD src0_sel:WORD_1 src1_sel:DWORD
	v_lshrrev_b32_e32 v3, 3, v4
	s_mov_b32 s20, exec_lo
	v_cmpx_gt_u32_e32 8, v4
; %bb.969:                              ;   in Loop: Header=BB365_516 Depth=1
	v_ffbh_u32_e32 v3, v10
	v_min_u32_e32 v3, 32, v3
	v_subrev_nc_u32_e32 v4, 28, v3
	v_sub_nc_u32_e32 v3, 29, v3
	v_lshlrev_b64 v[93:94], v4, v[10:11]
	v_and_b32_e32 v10, 7, v93
; %bb.970:                              ;   in Loop: Header=BB365_516 Depth=1
	s_or_b32 exec_lo, exec_lo, s20
	v_lshlrev_b32_sdwa v4, v43, v1 dst_sel:DWORD dst_unused:UNUSED_PAD src0_sel:DWORD src1_sel:WORD_1
	v_lshlrev_b32_e32 v10, 20, v10
	v_lshl_add_u32 v3, v3, 23, 0x3c000000
	v_and_b32_e32 v4, 0x80000000, v4
	v_or3_b32 v91, v10, v4, v3
.LBB365_971:                            ;   in Loop: Header=BB365_516 Depth=1
	s_or_b32 exec_lo, exec_lo, s19
.LBB365_972:                            ;   in Loop: Header=BB365_516 Depth=1
	s_or_b32 exec_lo, exec_lo, s18
.LBB365_973:                            ;   in Loop: Header=BB365_516 Depth=1
	s_or_b32 exec_lo, exec_lo, s17
	s_mov_b32 s17, exec_lo
	v_cmpx_lt_u32_e32 0xffffff, v1
	s_cbranch_execz .LBB365_981
; %bb.974:                              ;   in Loop: Header=BB365_516 Depth=1
	v_cmp_ne_u32_sdwa s1, v1, v39 src0_sel:BYTE_3 src1_sel:DWORD
	v_bfrev_b32_e32 v92, 1
	s_and_saveexec_b32 s18, s1
	s_cbranch_execz .LBB365_980
; %bb.975:                              ;   in Loop: Header=BB365_516 Depth=1
	v_bfe_u32 v4, v1, 24, 7
	v_mov_b32_e32 v92, 0x7f800001
	s_mov_b32 s19, exec_lo
	v_cmpx_ne_u32_e32 0x7f, v4
	s_cbranch_execz .LBB365_979
; %bb.976:                              ;   in Loop: Header=BB365_516 Depth=1
	v_and_b32_sdwa v10, v1, v42 dst_sel:DWORD dst_unused:UNUSED_PAD src0_sel:BYTE_3 src1_sel:DWORD
	v_lshrrev_b32_e32 v3, 3, v4
	s_mov_b32 s20, exec_lo
	v_cmpx_gt_u32_e32 8, v4
; %bb.977:                              ;   in Loop: Header=BB365_516 Depth=1
	v_ffbh_u32_e32 v3, v10
	v_min_u32_e32 v3, 32, v3
	v_subrev_nc_u32_e32 v4, 28, v3
	v_sub_nc_u32_e32 v3, 29, v3
	v_lshlrev_b64 v[92:93], v4, v[10:11]
	v_and_b32_e32 v10, 7, v92
; %bb.978:                              ;   in Loop: Header=BB365_516 Depth=1
	s_or_b32 exec_lo, exec_lo, s20
	v_lshlrev_b32_sdwa v4, v43, v1 dst_sel:DWORD dst_unused:UNUSED_PAD src0_sel:DWORD src1_sel:BYTE_3
	v_lshlrev_b32_e32 v10, 20, v10
	v_lshl_add_u32 v3, v3, 23, 0x3c000000
	v_and_b32_e32 v4, 0x80000000, v4
	v_or3_b32 v92, v10, v4, v3
.LBB365_979:                            ;   in Loop: Header=BB365_516 Depth=1
	s_or_b32 exec_lo, exec_lo, s19
.LBB365_980:                            ;   in Loop: Header=BB365_516 Depth=1
	s_or_b32 exec_lo, exec_lo, s18
.LBB365_981:                            ;   in Loop: Header=BB365_516 Depth=1
	s_or_b32 exec_lo, exec_lo, s17
	v_mov_b32_e32 v10, v2
	v_cmp_ne_u16_sdwa s1, v2, v11 src0_sel:BYTE_0 src1_sel:DWORD
	v_mov_b32_e32 v3, 0
	v_mov_b32_e32 v93, 0
	s_and_saveexec_b32 s17, s1
	s_cbranch_execz .LBB365_987
; %bb.982:                              ;   in Loop: Header=BB365_516 Depth=1
	v_cmp_ne_u16_sdwa s1, v2, v39 src0_sel:BYTE_0 src1_sel:DWORD
	v_bfrev_b32_e32 v93, 1
	s_and_saveexec_b32 s18, s1
	s_cbranch_execz .LBB365_986
; %bb.983:                              ;   in Loop: Header=BB365_516 Depth=1
	v_and_b32_e32 v4, 0x7f, v2
	v_mov_b32_e32 v93, 0x7f800001
	s_mov_b32 s19, exec_lo
	v_cmpx_ne_u32_e32 0x7f, v4
	s_cbranch_execz .LBB365_985
; %bb.984:                              ;   in Loop: Header=BB365_516 Depth=1
	v_and_b32_e32 v93, 7, v2
	v_lshrrev_b32_e32 v94, 3, v4
	v_cmp_gt_u32_e64 s1, 8, v4
	v_ffbh_u32_e32 v93, v93
	v_min_u32_e32 v93, 32, v93
	v_subrev_nc_u32_e32 v95, 28, v93
	v_sub_nc_u32_e32 v93, 29, v93
	v_cndmask_b32_e64 v4, v94, v93, s1
	v_cndmask_b32_e64 v93, 0, v95, s1
	v_lshl_add_u32 v4, v4, 23, 0x3c000000
	v_lshlrev_b64 v[93:94], v93, v[10:11]
	v_lshlrev_b32_e32 v94, 24, v10
	v_lshlrev_b32_e32 v93, 20, v93
	v_and_b32_e32 v94, 0x80000000, v94
	v_and_b32_e32 v93, 0x700000, v93
	v_or3_b32 v93, v93, v94, v4
.LBB365_985:                            ;   in Loop: Header=BB365_516 Depth=1
	s_or_b32 exec_lo, exec_lo, s19
.LBB365_986:                            ;   in Loop: Header=BB365_516 Depth=1
	s_or_b32 exec_lo, exec_lo, s18
.LBB365_987:                            ;   in Loop: Header=BB365_516 Depth=1
	s_or_b32 exec_lo, exec_lo, s17
	v_cmp_ne_u16_sdwa s1, v10, v11 src0_sel:BYTE_1 src1_sel:DWORD
	s_and_saveexec_b32 s17, s1
	s_cbranch_execz .LBB365_995
; %bb.988:                              ;   in Loop: Header=BB365_516 Depth=1
	v_cmp_ne_u16_sdwa s1, v10, v39 src0_sel:BYTE_1 src1_sel:DWORD
	v_bfrev_b32_e32 v3, 1
	s_and_saveexec_b32 s18, s1
	s_cbranch_execz .LBB365_994
; %bb.989:                              ;   in Loop: Header=BB365_516 Depth=1
	v_and_b32_sdwa v4, v40, v10 dst_sel:DWORD dst_unused:UNUSED_PAD src0_sel:DWORD src1_sel:BYTE_1
	v_mov_b32_e32 v3, 0x7f800001
	s_mov_b32 s19, exec_lo
	v_and_b32_e32 v95, 0x7f, v4
	v_cmpx_ne_u32_e32 0x7f, v95
	s_cbranch_execz .LBB365_993
; %bb.990:                              ;   in Loop: Header=BB365_516 Depth=1
	v_and_b32_e32 v3, 7, v4
	v_mov_b32_e32 v4, v11
	v_lshrrev_b32_e32 v94, 3, v95
	s_mov_b32 s20, exec_lo
	v_cmpx_gt_u32_e32 8, v95
; %bb.991:                              ;   in Loop: Header=BB365_516 Depth=1
	v_ffbh_u32_e32 v94, v3
	v_min_u32_e32 v94, 32, v94
	v_subrev_nc_u32_e32 v95, 28, v94
	v_sub_nc_u32_e32 v94, 29, v94
	v_lshlrev_b64 v[3:4], v95, v[3:4]
	v_and_b32_e32 v3, 7, v3
; %bb.992:                              ;   in Loop: Header=BB365_516 Depth=1
	s_or_b32 exec_lo, exec_lo, s20
	v_lshlrev_b32_e32 v4, 16, v10
	v_lshlrev_b32_e32 v3, 20, v3
	v_lshl_add_u32 v10, v94, 23, 0x3c000000
	v_and_b32_e32 v4, 0x80000000, v4
	v_or3_b32 v3, v3, v4, v10
.LBB365_993:                            ;   in Loop: Header=BB365_516 Depth=1
	s_or_b32 exec_lo, exec_lo, s19
.LBB365_994:                            ;   in Loop: Header=BB365_516 Depth=1
	s_or_b32 exec_lo, exec_lo, s18
.LBB365_995:                            ;   in Loop: Header=BB365_516 Depth=1
	s_or_b32 exec_lo, exec_lo, s17
	v_and_b32_sdwa v10, v2, v41 dst_sel:DWORD dst_unused:UNUSED_PAD src0_sel:WORD_1 src1_sel:DWORD
	v_mov_b32_e32 v4, 0
	v_mov_b32_e32 v94, 0
	s_mov_b32 s17, exec_lo
	v_cmpx_ne_u16_e32 0, v10
	s_cbranch_execz .LBB365_1003
; %bb.996:                              ;   in Loop: Header=BB365_516 Depth=1
	v_bfrev_b32_e32 v94, 1
	s_mov_b32 s18, exec_lo
	v_cmpx_ne_u16_e32 0x80, v10
	s_cbranch_execz .LBB365_1002
; %bb.997:                              ;   in Loop: Header=BB365_516 Depth=1
	v_bfe_u32 v95, v2, 16, 7
	v_mov_b32_e32 v94, 0x7f800001
	s_mov_b32 s19, exec_lo
	v_cmpx_ne_u32_e32 0x7f, v95
	s_cbranch_execz .LBB365_1001
; %bb.998:                              ;   in Loop: Header=BB365_516 Depth=1
	v_and_b32_sdwa v10, v2, v42 dst_sel:DWORD dst_unused:UNUSED_PAD src0_sel:WORD_1 src1_sel:DWORD
	v_lshrrev_b32_e32 v94, 3, v95
	s_mov_b32 s20, exec_lo
	v_cmpx_gt_u32_e32 8, v95
; %bb.999:                              ;   in Loop: Header=BB365_516 Depth=1
	v_ffbh_u32_e32 v94, v10
	v_min_u32_e32 v94, 32, v94
	v_subrev_nc_u32_e32 v95, 28, v94
	v_sub_nc_u32_e32 v94, 29, v94
	v_lshlrev_b64 v[95:96], v95, v[10:11]
	v_and_b32_e32 v10, 7, v95
; %bb.1000:                             ;   in Loop: Header=BB365_516 Depth=1
	s_or_b32 exec_lo, exec_lo, s20
	v_lshlrev_b32_sdwa v95, v43, v2 dst_sel:DWORD dst_unused:UNUSED_PAD src0_sel:DWORD src1_sel:WORD_1
	v_lshlrev_b32_e32 v10, 20, v10
	v_lshl_add_u32 v94, v94, 23, 0x3c000000
	v_and_b32_e32 v95, 0x80000000, v95
	v_or3_b32 v94, v10, v95, v94
.LBB365_1001:                           ;   in Loop: Header=BB365_516 Depth=1
	s_or_b32 exec_lo, exec_lo, s19
.LBB365_1002:                           ;   in Loop: Header=BB365_516 Depth=1
	s_or_b32 exec_lo, exec_lo, s18
.LBB365_1003:                           ;   in Loop: Header=BB365_516 Depth=1
	s_or_b32 exec_lo, exec_lo, s17
	s_mov_b32 s17, exec_lo
	v_cmpx_lt_u64_e64 s[6:7], v[1:2]
	s_cbranch_execz .LBB365_1011
; %bb.1004:                             ;   in Loop: Header=BB365_516 Depth=1
	v_cmp_ne_u32_sdwa s1, v2, v39 src0_sel:BYTE_3 src1_sel:DWORD
	v_bfrev_b32_e32 v4, 1
	s_and_saveexec_b32 s18, s1
	s_cbranch_execz .LBB365_1010
; %bb.1005:                             ;   in Loop: Header=BB365_516 Depth=1
	v_bfe_u32 v95, v2, 24, 7
	v_mov_b32_e32 v4, 0x7f800001
	s_mov_b32 s19, exec_lo
	v_cmpx_ne_u32_e32 0x7f, v95
	s_cbranch_execz .LBB365_1009
; %bb.1006:                             ;   in Loop: Header=BB365_516 Depth=1
	v_and_b32_sdwa v10, v2, v42 dst_sel:DWORD dst_unused:UNUSED_PAD src0_sel:BYTE_3 src1_sel:DWORD
	v_lshrrev_b32_e32 v1, 3, v95
	s_mov_b32 s20, exec_lo
	v_cmpx_gt_u32_e32 8, v95
; %bb.1007:                             ;   in Loop: Header=BB365_516 Depth=1
	v_ffbh_u32_e32 v1, v10
	v_min_u32_e32 v1, 32, v1
	v_subrev_nc_u32_e32 v4, 28, v1
	v_sub_nc_u32_e32 v1, 29, v1
	v_lshlrev_b64 v[95:96], v4, v[10:11]
	v_and_b32_e32 v10, 7, v95
; %bb.1008:                             ;   in Loop: Header=BB365_516 Depth=1
	s_or_b32 exec_lo, exec_lo, s20
	v_lshlrev_b32_sdwa v2, v43, v2 dst_sel:DWORD dst_unused:UNUSED_PAD src0_sel:DWORD src1_sel:BYTE_3
	v_lshlrev_b32_e32 v4, 20, v10
	v_lshl_add_u32 v1, v1, 23, 0x3c000000
	v_and_b32_e32 v2, 0x80000000, v2
	v_or3_b32 v4, v4, v2, v1
.LBB365_1009:                           ;   in Loop: Header=BB365_516 Depth=1
	s_or_b32 exec_lo, exec_lo, s19
.LBB365_1010:                           ;   in Loop: Header=BB365_516 Depth=1
	s_or_b32 exec_lo, exec_lo, s18
.LBB365_1011:                           ;   in Loop: Header=BB365_516 Depth=1
	s_or_b32 exec_lo, exec_lo, s17
	v_mul_f32_e32 v1, s14, v3
	v_mul_f32_e32 v2, s14, v93
	;; [unrolled: 1-line block ×5, first 2 shown]
	v_bfe_u32 v10, v1, 16, 1
	v_or_b32_e32 v92, 0x400000, v1
	v_bfe_u32 v93, v2, 16, 1
	v_cmp_u_f32_e64 s1, v1, v1
	v_or_b32_e32 v95, 0x400000, v2
	v_add3_u32 v10, v10, v1, 0x7fff
	v_bfe_u32 v96, v3, 16, 1
	v_add3_u32 v93, v93, v2, 0x7fff
	v_or_b32_e32 v97, 0x400000, v3
	v_bfe_u32 v98, v91, 16, 1
	v_cndmask_b32_e64 v1, v10, v92, s1
	v_cmp_u_f32_e64 s1, v2, v2
	v_add3_u32 v96, v96, v3, 0x7fff
	v_mul_f32_e32 v14, s14, v14
	v_add3_u32 v92, v98, v91, 0x7fff
	v_mul_f32_e32 v4, s14, v4
	v_cndmask_b32_e64 v2, v93, v95, s1
	v_cmp_u_f32_e64 s1, v3, v3
	v_or_b32_e32 v93, 0x400000, v91
	v_lshrrev_b32_e32 v1, 16, v1
	v_lshrrev_b32_e32 v2, 16, v2
	v_cndmask_b32_e64 v3, v96, v97, s1
	v_cmp_u_f32_e64 s1, v91, v91
	v_or_b32_e32 v97, 0x400000, v4
	v_lshrrev_b32_e32 v10, 16, v3
	v_bfe_u32 v3, v15, 16, 1
	v_cndmask_b32_e64 v91, v92, v93, s1
	v_mul_f32_e32 v92, s14, v94
	v_or_b32_e32 v93, 0x400000, v15
	v_bfe_u32 v94, v14, 16, 1
	v_add3_u32 v3, v3, v15, 0x7fff
	v_cmp_u_f32_e64 s1, v15, v15
	v_bfe_u32 v95, v92, 16, 1
	v_bfe_u32 v15, v4, 16, 1
	v_or_b32_e32 v96, 0x400000, v92
	v_cndmask_b32_e64 v3, v3, v93, s1
	v_add3_u32 v93, v94, v14, 0x7fff
	v_or_b32_e32 v94, 0x400000, v14
	v_cmp_u_f32_e64 s1, v14, v14
	v_add3_u32 v95, v95, v92, 0x7fff
	v_add3_u32 v15, v15, v4, 0x7fff
	v_lshrrev_b32_e32 v14, 16, v91
	v_cndmask_b32_e64 v93, v93, v94, s1
	v_cmp_u_f32_e64 s1, v92, v92
	v_lshrrev_b32_e32 v91, 16, v93
	v_cndmask_b32_e64 v92, v95, v96, s1
	v_cmp_u_f32_e64 s1, v4, v4
	v_lshrrev_b32_e32 v4, 16, v92
	v_cndmask_b32_e64 v94, v15, v97, s1
	v_lshrrev_b32_e32 v15, 16, v3
	v_lshrrev_b32_e32 v3, 16, v94
	s_and_saveexec_b32 s1, s0
	s_cbranch_execz .LBB365_514
; %bb.1012:                             ;   in Loop: Header=BB365_516 Depth=1
	v_add_nc_u32_e32 v92, -6, v37
	v_cmp_gt_i32_e64 s0, s27, v54
	v_add_nc_u32_e32 v93, -5, v37
	v_add_nc_u32_e32 v54, -4, v37
	v_cndmask_b32_e64 v91, 0, v91, s0
	v_cmp_gt_i32_e64 s0, s27, v92
	v_add_nc_u32_e32 v92, -3, v37
	v_cndmask_b32_e64 v15, 0, v15, s0
	v_cmp_gt_i32_e64 s0, s27, v93
	v_add_nc_u32_e32 v93, -2, v37
	v_cndmask_b32_e64 v14, 0, v14, s0
	v_cmp_gt_i32_e64 s0, s27, v54
	v_add_nc_u32_e32 v54, -1, v37
	v_cndmask_b32_e64 v10, 0, v10, s0
	v_cmp_gt_i32_e64 s0, s27, v92
	v_cndmask_b32_e64 v2, 0, v2, s0
	v_cmp_gt_i32_e64 s0, s27, v93
	v_cndmask_b32_e64 v1, 0, v1, s0
	v_cmp_gt_i32_e64 s0, s27, v54
	;; [unrolled: 2-line block ×3, first 2 shown]
	v_cndmask_b32_e64 v3, 0, v3, s0
	s_branch .LBB365_514
.LBB365_1013:
	s_or_b32 exec_lo, exec_lo, s15
	v_mov_b32_e32 v23, v100
	v_mov_b32_e32 v24, v101
	;; [unrolled: 1-line block ×3, first 2 shown]
.LBB365_1014:
	s_or_b32 exec_lo, exec_lo, s3
	ds_bpermute_b32 v0, v26, v33
	ds_bpermute_b32 v1, v26, v34
	;; [unrolled: 1-line block ×8, first 2 shown]
	s_movk_i32 s0, 0x1e0
	v_and_b32_e32 v13, 0x3c0, v23
	v_mad_u32_u24 v8, v36, s0, 0x110
	s_mov_b32 s1, exec_lo
	v_cmp_eq_u32_e32 vcc_lo, 0, v24
	s_waitcnt lgkmcnt(0)
	s_waitcnt_vscnt null, 0x0
	s_barrier
	buffer_gl0_inv
	v_add_f32_e32 v7, v33, v0
	v_add_f32_e32 v6, v34, v1
	;; [unrolled: 1-line block ×8, first 2 shown]
	v_cmpx_eq_u32_e32 64, v13
	s_cbranch_execz .LBB365_1019
; %bb.1015:
	v_add_nc_u32_e32 v9, 0xfffffc40, v8
	s_and_saveexec_b32 s0, vcc_lo
	s_cbranch_execz .LBB365_1017
; %bb.1016:
	v_lshl_add_u32 v10, v25, 2, v9
	ds_write2_b32 v10, v7, v6 offset1:16
	ds_write2_b32 v10, v5, v4 offset0:32 offset1:48
	ds_write2_b32 v10, v3, v2 offset0:64 offset1:80
	ds_write_b32 v10, v1 offset:384
.LBB365_1017:
	s_or_b32 exec_lo, exec_lo, s0
	v_or_b32_e32 v10, 0x70, v25
	v_cmp_gt_u32_e64 s0, 0x78, v10
	s_and_b32 s0, vcc_lo, s0
	s_and_b32 exec_lo, exec_lo, s0
; %bb.1018:
	v_lshl_add_u32 v9, v10, 2, v9
	ds_write_b32 v9, v0
.LBB365_1019:
	s_or_b32 exec_lo, exec_lo, s1
	s_mov_b32 s1, exec_lo
	s_waitcnt lgkmcnt(0)
	s_barrier
	buffer_gl0_inv
	v_cmpx_gt_u32_e32 64, v23
	s_cbranch_execz .LBB365_1031
; %bb.1020:
	s_and_saveexec_b32 s0, vcc_lo
	s_cbranch_execnz .LBB365_1066
; %bb.1021:
	s_or_b32 exec_lo, exec_lo, s0
	s_and_saveexec_b32 s0, vcc_lo
	s_cbranch_execnz .LBB365_1067
.LBB365_1022:
	s_or_b32 exec_lo, exec_lo, s0
	s_and_saveexec_b32 s0, vcc_lo
	s_cbranch_execnz .LBB365_1068
.LBB365_1023:
	s_or_b32 exec_lo, exec_lo, s0
	s_and_saveexec_b32 s0, vcc_lo
	s_cbranch_execnz .LBB365_1069
.LBB365_1024:
	s_or_b32 exec_lo, exec_lo, s0
	s_and_saveexec_b32 s0, vcc_lo
	s_cbranch_execnz .LBB365_1070
.LBB365_1025:
	s_or_b32 exec_lo, exec_lo, s0
	s_and_saveexec_b32 s0, vcc_lo
	s_cbranch_execnz .LBB365_1071
.LBB365_1026:
	s_or_b32 exec_lo, exec_lo, s0
	s_and_saveexec_b32 s0, vcc_lo
	s_cbranch_execz .LBB365_1028
.LBB365_1027:
	v_lshl_add_u32 v9, v25, 2, v8
	ds_read_b32 v9, v9 offset:384
	s_waitcnt lgkmcnt(0)
	v_add_f32_e32 v1, v1, v9
.LBB365_1028:
	s_or_b32 exec_lo, exec_lo, s0
	v_or_b32_e32 v9, 0x70, v25
	v_cmp_gt_u32_e64 s0, 0x78, v9
	s_and_b32 s3, vcc_lo, s0
	s_and_saveexec_b32 s0, s3
	s_cbranch_execz .LBB365_1030
; %bb.1029:
	v_lshl_add_u32 v9, v25, 2, v8
	ds_read_b32 v9, v9 offset:448
	s_waitcnt lgkmcnt(0)
	v_add_f32_e32 v0, v0, v9
.LBB365_1030:
	s_or_b32 exec_lo, exec_lo, s0
.LBB365_1031:
	s_or_b32 exec_lo, exec_lo, s1
	v_and_b32_e32 v9, 0x3e0, v23
	s_mov_b32 s1, exec_lo
	s_barrier
	buffer_gl0_inv
	v_cmpx_eq_u32_e32 32, v9
	s_cbranch_execz .LBB365_1036
; %bb.1032:
	v_lshl_add_u32 v9, v25, 2, 0x110
	s_and_saveexec_b32 s0, vcc_lo
	s_cbranch_execz .LBB365_1034
; %bb.1033:
	ds_write2_b32 v9, v7, v6 offset1:16
	ds_write2_b32 v9, v5, v4 offset0:32 offset1:48
	ds_write2_b32 v9, v3, v2 offset0:64 offset1:80
	ds_write_b32 v9, v1 offset:384
.LBB365_1034:
	s_or_b32 exec_lo, exec_lo, s0
	v_or_b32_e32 v10, 0x70, v25
	v_cmp_gt_u32_e64 s0, 0x78, v10
	s_and_b32 s0, vcc_lo, s0
	s_and_b32 exec_lo, exec_lo, s0
; %bb.1035:
	ds_write_b32 v9, v0 offset:448
.LBB365_1036:
	s_or_b32 exec_lo, exec_lo, s1
	v_cmp_gt_u32_e64 s0, 32, v23
	s_waitcnt lgkmcnt(0)
	s_barrier
	buffer_gl0_inv
	s_and_saveexec_b32 s3, s0
	s_cbranch_execz .LBB365_1048
; %bb.1037:
	v_lshl_add_u32 v8, v25, 2, v8
	s_and_saveexec_b32 s1, vcc_lo
	s_cbranch_execnz .LBB365_1072
; %bb.1038:
	s_or_b32 exec_lo, exec_lo, s1
	s_and_saveexec_b32 s1, vcc_lo
	s_cbranch_execnz .LBB365_1073
.LBB365_1039:
	s_or_b32 exec_lo, exec_lo, s1
	s_and_saveexec_b32 s1, vcc_lo
	s_cbranch_execnz .LBB365_1074
.LBB365_1040:
	s_or_b32 exec_lo, exec_lo, s1
	s_and_saveexec_b32 s1, vcc_lo
	s_cbranch_execnz .LBB365_1075
.LBB365_1041:
	s_or_b32 exec_lo, exec_lo, s1
	s_and_saveexec_b32 s1, vcc_lo
	s_cbranch_execnz .LBB365_1076
.LBB365_1042:
	s_or_b32 exec_lo, exec_lo, s1
	s_and_saveexec_b32 s1, vcc_lo
	s_cbranch_execnz .LBB365_1077
.LBB365_1043:
	s_or_b32 exec_lo, exec_lo, s1
	s_and_saveexec_b32 s1, vcc_lo
	s_cbranch_execz .LBB365_1045
.LBB365_1044:
	ds_read_b32 v9, v8 offset:384
	s_waitcnt lgkmcnt(0)
	v_add_f32_e32 v1, v1, v9
.LBB365_1045:
	s_or_b32 exec_lo, exec_lo, s1
	v_or_b32_e32 v9, 0x70, v25
	v_cmp_gt_u32_e64 s1, 0x78, v9
	s_and_b32 s4, vcc_lo, s1
	s_and_saveexec_b32 s1, s4
	s_cbranch_execz .LBB365_1047
; %bb.1046:
	ds_read_b32 v8, v8 offset:448
	s_waitcnt lgkmcnt(0)
	v_add_f32_e32 v0, v0, v8
.LBB365_1047:
	s_or_b32 exec_lo, exec_lo, s1
.LBB365_1048:
	s_or_b32 exec_lo, exec_lo, s3
	s_barrier
	buffer_gl0_inv
	s_and_saveexec_b32 s1, s0
	s_cbranch_execz .LBB365_1065
; %bb.1049:
	s_mul_i32 s0, s2, 0x78
	s_mul_i32 s2, s11, s10
	s_ashr_i32 s1, s0, 31
	v_lshlrev_b32_e32 v8, 1, v99
	s_lshl_b64 s[0:1], s[0:1], 1
	s_add_u32 s4, s24, s0
	s_addc_u32 s5, s25, s1
	s_ashr_i32 s3, s2, 31
	s_lshl_b64 s[0:1], s[2:3], 1
	s_mul_i32 s2, s8, 0x78
	s_add_u32 s4, s4, s0
	s_addc_u32 s5, s5, s1
	s_ashr_i32 s3, s2, 31
	s_lshl_b64 s[0:1], s[2:3], 1
	s_add_u32 s2, s4, s0
	s_addc_u32 s3, s5, s1
	s_and_saveexec_b32 s1, vcc_lo
	s_cbranch_execz .LBB365_1051
; %bb.1050:
	v_bfe_u32 v9, v7, 16, 1
	v_or_b32_e32 v10, 0x400000, v7
	v_cmp_u_f32_e64 s0, v7, v7
	v_add3_u32 v9, v9, v7, 0x7fff
	v_cndmask_b32_e64 v7, v9, v10, s0
	global_store_short_d16_hi v8, v7, s[2:3]
.LBB365_1051:
	s_or_b32 exec_lo, exec_lo, s1
	v_or_b32_e32 v7, 16, v99
	v_cmp_gt_u32_e64 s0, 0x78, v7
	s_and_b32 s0, vcc_lo, s0
	s_and_saveexec_b32 s1, s0
	s_cbranch_execz .LBB365_1053
; %bb.1052:
	v_bfe_u32 v7, v6, 16, 1
	v_or_b32_e32 v9, 0x400000, v6
	v_cmp_u_f32_e64 s0, v6, v6
	v_add3_u32 v7, v7, v6, 0x7fff
	v_cndmask_b32_e64 v6, v7, v9, s0
	global_store_short_d16_hi v8, v6, s[2:3] offset:32
.LBB365_1053:
	s_or_b32 exec_lo, exec_lo, s1
	v_or_b32_e32 v6, 32, v99
	v_cmp_gt_u32_e64 s0, 0x78, v6
	s_and_b32 s0, vcc_lo, s0
	s_and_saveexec_b32 s1, s0
	s_cbranch_execz .LBB365_1055
; %bb.1054:
	v_bfe_u32 v6, v5, 16, 1
	v_or_b32_e32 v7, 0x400000, v5
	v_cmp_u_f32_e64 s0, v5, v5
	v_add3_u32 v6, v6, v5, 0x7fff
	v_cndmask_b32_e64 v5, v6, v7, s0
	global_store_short_d16_hi v8, v5, s[2:3] offset:64
.LBB365_1055:
	s_or_b32 exec_lo, exec_lo, s1
	v_or_b32_e32 v5, 48, v99
	v_cmp_gt_u32_e64 s0, 0x78, v5
	s_and_b32 s0, vcc_lo, s0
	s_and_saveexec_b32 s1, s0
	s_cbranch_execz .LBB365_1057
; %bb.1056:
	v_bfe_u32 v5, v4, 16, 1
	v_or_b32_e32 v6, 0x400000, v4
	v_cmp_u_f32_e64 s0, v4, v4
	v_add3_u32 v5, v5, v4, 0x7fff
	v_cndmask_b32_e64 v4, v5, v6, s0
	global_store_short_d16_hi v8, v4, s[2:3] offset:96
.LBB365_1057:
	s_or_b32 exec_lo, exec_lo, s1
	v_or_b32_e32 v4, 64, v99
	v_cmp_gt_u32_e64 s0, 0x78, v4
	s_and_b32 s0, vcc_lo, s0
	s_and_saveexec_b32 s1, s0
	s_cbranch_execz .LBB365_1059
; %bb.1058:
	v_bfe_u32 v4, v3, 16, 1
	v_or_b32_e32 v5, 0x400000, v3
	v_cmp_u_f32_e64 s0, v3, v3
	v_add3_u32 v4, v4, v3, 0x7fff
	v_cndmask_b32_e64 v3, v4, v5, s0
	global_store_short_d16_hi v8, v3, s[2:3] offset:128
.LBB365_1059:
	s_or_b32 exec_lo, exec_lo, s1
	v_or_b32_e32 v3, 0x50, v99
	v_cmp_gt_u32_e64 s0, 0x78, v3
	s_and_b32 s0, vcc_lo, s0
	s_and_saveexec_b32 s1, s0
	s_cbranch_execz .LBB365_1061
; %bb.1060:
	v_bfe_u32 v3, v2, 16, 1
	v_or_b32_e32 v4, 0x400000, v2
	v_cmp_u_f32_e64 s0, v2, v2
	v_add3_u32 v3, v3, v2, 0x7fff
	v_cndmask_b32_e64 v2, v3, v4, s0
	global_store_short_d16_hi v8, v2, s[2:3] offset:160
.LBB365_1061:
	s_or_b32 exec_lo, exec_lo, s1
	v_or_b32_e32 v2, 0x60, v99
	v_cmp_gt_u32_e64 s0, 0x78, v2
	s_and_b32 s0, vcc_lo, s0
	s_and_saveexec_b32 s1, s0
	s_cbranch_execz .LBB365_1063
; %bb.1062:
	v_bfe_u32 v2, v1, 16, 1
	v_or_b32_e32 v3, 0x400000, v1
	v_cmp_u_f32_e64 s0, v1, v1
	v_add3_u32 v2, v2, v1, 0x7fff
	v_cndmask_b32_e64 v1, v2, v3, s0
	global_store_short_d16_hi v8, v1, s[2:3] offset:192
.LBB365_1063:
	s_or_b32 exec_lo, exec_lo, s1
	v_or_b32_e32 v1, 0x70, v99
	v_cmp_gt_u32_e64 s0, 0x78, v1
	s_and_b32 s0, vcc_lo, s0
	s_and_b32 exec_lo, exec_lo, s0
	s_cbranch_execz .LBB365_1065
; %bb.1064:
	v_bfe_u32 v1, v0, 16, 1
	v_or_b32_e32 v2, 0x400000, v0
	v_cmp_u_f32_e32 vcc_lo, v0, v0
	v_add3_u32 v1, v1, v0, 0x7fff
	v_cndmask_b32_e32 v0, v1, v2, vcc_lo
	global_store_short_d16_hi v8, v0, s[2:3] offset:224
.LBB365_1065:
	s_endpgm
.LBB365_1066:
	v_lshl_add_u32 v9, v25, 2, v8
	ds_read_b32 v9, v9
	s_waitcnt lgkmcnt(0)
	v_add_f32_e32 v7, v7, v9
	s_or_b32 exec_lo, exec_lo, s0
	s_and_saveexec_b32 s0, vcc_lo
	s_cbranch_execz .LBB365_1022
.LBB365_1067:
	v_lshl_add_u32 v9, v25, 2, v8
	ds_read_b32 v9, v9 offset:64
	s_waitcnt lgkmcnt(0)
	v_add_f32_e32 v6, v6, v9
	s_or_b32 exec_lo, exec_lo, s0
	s_and_saveexec_b32 s0, vcc_lo
	s_cbranch_execz .LBB365_1023
.LBB365_1068:
	v_lshl_add_u32 v9, v25, 2, v8
	ds_read_b32 v9, v9 offset:128
	s_waitcnt lgkmcnt(0)
	v_add_f32_e32 v5, v5, v9
	s_or_b32 exec_lo, exec_lo, s0
	s_and_saveexec_b32 s0, vcc_lo
	s_cbranch_execz .LBB365_1024
.LBB365_1069:
	v_lshl_add_u32 v9, v25, 2, v8
	ds_read_b32 v9, v9 offset:192
	s_waitcnt lgkmcnt(0)
	v_add_f32_e32 v4, v4, v9
	s_or_b32 exec_lo, exec_lo, s0
	s_and_saveexec_b32 s0, vcc_lo
	s_cbranch_execz .LBB365_1025
.LBB365_1070:
	v_lshl_add_u32 v9, v25, 2, v8
	ds_read_b32 v9, v9 offset:256
	s_waitcnt lgkmcnt(0)
	v_add_f32_e32 v3, v3, v9
	s_or_b32 exec_lo, exec_lo, s0
	s_and_saveexec_b32 s0, vcc_lo
	s_cbranch_execz .LBB365_1026
.LBB365_1071:
	v_lshl_add_u32 v9, v25, 2, v8
	ds_read_b32 v9, v9 offset:320
	s_waitcnt lgkmcnt(0)
	v_add_f32_e32 v2, v2, v9
	s_or_b32 exec_lo, exec_lo, s0
	s_and_saveexec_b32 s0, vcc_lo
	s_cbranch_execnz .LBB365_1027
	s_branch .LBB365_1028
.LBB365_1072:
	ds_read_b32 v9, v8
	s_waitcnt lgkmcnt(0)
	v_add_f32_e32 v7, v7, v9
	s_or_b32 exec_lo, exec_lo, s1
	s_and_saveexec_b32 s1, vcc_lo
	s_cbranch_execz .LBB365_1039
.LBB365_1073:
	ds_read_b32 v9, v8 offset:64
	s_waitcnt lgkmcnt(0)
	v_add_f32_e32 v6, v6, v9
	s_or_b32 exec_lo, exec_lo, s1
	s_and_saveexec_b32 s1, vcc_lo
	s_cbranch_execz .LBB365_1040
.LBB365_1074:
	ds_read_b32 v9, v8 offset:128
	s_waitcnt lgkmcnt(0)
	v_add_f32_e32 v5, v5, v9
	s_or_b32 exec_lo, exec_lo, s1
	s_and_saveexec_b32 s1, vcc_lo
	s_cbranch_execz .LBB365_1041
.LBB365_1075:
	ds_read_b32 v9, v8 offset:192
	s_waitcnt lgkmcnt(0)
	v_add_f32_e32 v4, v4, v9
	s_or_b32 exec_lo, exec_lo, s1
	s_and_saveexec_b32 s1, vcc_lo
	s_cbranch_execz .LBB365_1042
.LBB365_1076:
	ds_read_b32 v9, v8 offset:256
	s_waitcnt lgkmcnt(0)
	v_add_f32_e32 v3, v3, v9
	s_or_b32 exec_lo, exec_lo, s1
	s_and_saveexec_b32 s1, vcc_lo
	s_cbranch_execz .LBB365_1043
.LBB365_1077:
	ds_read_b32 v9, v8 offset:320
	s_waitcnt lgkmcnt(0)
	v_add_f32_e32 v2, v2, v9
	s_or_b32 exec_lo, exec_lo, s1
	s_and_saveexec_b32 s1, vcc_lo
	s_cbranch_execnz .LBB365_1044
	s_branch .LBB365_1045
	.section	.rodata,"a",@progbits
	.p2align	6, 0x0
	.amdhsa_kernel _ZN4vllm25paged_attention_v2_kernelI14__hip_bfloat16hLi120ELi16ELi128ELNS_18Fp8KVCacheDataTypeE1ELb0ELi512EEEvPfS3_PT_PKS4_PKT0_SA_ifPKiSC_iPKfiiiSE_SE_iiiii
		.amdhsa_group_segment_fixed_size 272
		.amdhsa_private_segment_fixed_size 76
		.amdhsa_kernarg_size 400
		.amdhsa_user_sgpr_count 6
		.amdhsa_user_sgpr_private_segment_buffer 1
		.amdhsa_user_sgpr_dispatch_ptr 0
		.amdhsa_user_sgpr_queue_ptr 0
		.amdhsa_user_sgpr_kernarg_segment_ptr 1
		.amdhsa_user_sgpr_dispatch_id 0
		.amdhsa_user_sgpr_flat_scratch_init 0
		.amdhsa_user_sgpr_private_segment_size 0
		.amdhsa_wavefront_size32 1
		.amdhsa_uses_dynamic_stack 0
		.amdhsa_system_sgpr_private_segment_wavefront_offset 1
		.amdhsa_system_sgpr_workgroup_id_x 1
		.amdhsa_system_sgpr_workgroup_id_y 1
		.amdhsa_system_sgpr_workgroup_id_z 1
		.amdhsa_system_sgpr_workgroup_info 0
		.amdhsa_system_vgpr_workitem_id 0
		.amdhsa_next_free_vgpr 128
		.amdhsa_next_free_sgpr 48
		.amdhsa_reserve_vcc 1
		.amdhsa_reserve_flat_scratch 0
		.amdhsa_float_round_mode_32 0
		.amdhsa_float_round_mode_16_64 0
		.amdhsa_float_denorm_mode_32 3
		.amdhsa_float_denorm_mode_16_64 3
		.amdhsa_dx10_clamp 1
		.amdhsa_ieee_mode 1
		.amdhsa_fp16_overflow 0
		.amdhsa_workgroup_processor_mode 1
		.amdhsa_memory_ordered 1
		.amdhsa_forward_progress 1
		.amdhsa_shared_vgpr_count 0
		.amdhsa_exception_fp_ieee_invalid_op 0
		.amdhsa_exception_fp_denorm_src 0
		.amdhsa_exception_fp_ieee_div_zero 0
		.amdhsa_exception_fp_ieee_overflow 0
		.amdhsa_exception_fp_ieee_underflow 0
		.amdhsa_exception_fp_ieee_inexact 0
		.amdhsa_exception_int_div_zero 0
	.end_amdhsa_kernel
	.section	.text._ZN4vllm25paged_attention_v2_kernelI14__hip_bfloat16hLi120ELi16ELi128ELNS_18Fp8KVCacheDataTypeE1ELb0ELi512EEEvPfS3_PT_PKS4_PKT0_SA_ifPKiSC_iPKfiiiSE_SE_iiiii,"axG",@progbits,_ZN4vllm25paged_attention_v2_kernelI14__hip_bfloat16hLi120ELi16ELi128ELNS_18Fp8KVCacheDataTypeE1ELb0ELi512EEEvPfS3_PT_PKS4_PKT0_SA_ifPKiSC_iPKfiiiSE_SE_iiiii,comdat
.Lfunc_end365:
	.size	_ZN4vllm25paged_attention_v2_kernelI14__hip_bfloat16hLi120ELi16ELi128ELNS_18Fp8KVCacheDataTypeE1ELb0ELi512EEEvPfS3_PT_PKS4_PKT0_SA_ifPKiSC_iPKfiiiSE_SE_iiiii, .Lfunc_end365-_ZN4vllm25paged_attention_v2_kernelI14__hip_bfloat16hLi120ELi16ELi128ELNS_18Fp8KVCacheDataTypeE1ELb0ELi512EEEvPfS3_PT_PKS4_PKT0_SA_ifPKiSC_iPKfiiiSE_SE_iiiii
                                        ; -- End function
	.set _ZN4vllm25paged_attention_v2_kernelI14__hip_bfloat16hLi120ELi16ELi128ELNS_18Fp8KVCacheDataTypeE1ELb0ELi512EEEvPfS3_PT_PKS4_PKT0_SA_ifPKiSC_iPKfiiiSE_SE_iiiii.num_vgpr, 128
	.set _ZN4vllm25paged_attention_v2_kernelI14__hip_bfloat16hLi120ELi16ELi128ELNS_18Fp8KVCacheDataTypeE1ELb0ELi512EEEvPfS3_PT_PKS4_PKT0_SA_ifPKiSC_iPKfiiiSE_SE_iiiii.num_agpr, 0
	.set _ZN4vllm25paged_attention_v2_kernelI14__hip_bfloat16hLi120ELi16ELi128ELNS_18Fp8KVCacheDataTypeE1ELb0ELi512EEEvPfS3_PT_PKS4_PKT0_SA_ifPKiSC_iPKfiiiSE_SE_iiiii.numbered_sgpr, 48
	.set _ZN4vllm25paged_attention_v2_kernelI14__hip_bfloat16hLi120ELi16ELi128ELNS_18Fp8KVCacheDataTypeE1ELb0ELi512EEEvPfS3_PT_PKS4_PKT0_SA_ifPKiSC_iPKfiiiSE_SE_iiiii.num_named_barrier, 0
	.set _ZN4vllm25paged_attention_v2_kernelI14__hip_bfloat16hLi120ELi16ELi128ELNS_18Fp8KVCacheDataTypeE1ELb0ELi512EEEvPfS3_PT_PKS4_PKT0_SA_ifPKiSC_iPKfiiiSE_SE_iiiii.private_seg_size, 76
	.set _ZN4vllm25paged_attention_v2_kernelI14__hip_bfloat16hLi120ELi16ELi128ELNS_18Fp8KVCacheDataTypeE1ELb0ELi512EEEvPfS3_PT_PKS4_PKT0_SA_ifPKiSC_iPKfiiiSE_SE_iiiii.uses_vcc, 1
	.set _ZN4vllm25paged_attention_v2_kernelI14__hip_bfloat16hLi120ELi16ELi128ELNS_18Fp8KVCacheDataTypeE1ELb0ELi512EEEvPfS3_PT_PKS4_PKT0_SA_ifPKiSC_iPKfiiiSE_SE_iiiii.uses_flat_scratch, 0
	.set _ZN4vllm25paged_attention_v2_kernelI14__hip_bfloat16hLi120ELi16ELi128ELNS_18Fp8KVCacheDataTypeE1ELb0ELi512EEEvPfS3_PT_PKS4_PKT0_SA_ifPKiSC_iPKfiiiSE_SE_iiiii.has_dyn_sized_stack, 0
	.set _ZN4vllm25paged_attention_v2_kernelI14__hip_bfloat16hLi120ELi16ELi128ELNS_18Fp8KVCacheDataTypeE1ELb0ELi512EEEvPfS3_PT_PKS4_PKT0_SA_ifPKiSC_iPKfiiiSE_SE_iiiii.has_recursion, 0
	.set _ZN4vllm25paged_attention_v2_kernelI14__hip_bfloat16hLi120ELi16ELi128ELNS_18Fp8KVCacheDataTypeE1ELb0ELi512EEEvPfS3_PT_PKS4_PKT0_SA_ifPKiSC_iPKfiiiSE_SE_iiiii.has_indirect_call, 0
	.section	.AMDGPU.csdata,"",@progbits
; Kernel info:
; codeLenInByte = 40448
; TotalNumSgprs: 50
; NumVgprs: 128
; ScratchSize: 76
; MemoryBound: 0
; FloatMode: 240
; IeeeMode: 1
; LDSByteSize: 272 bytes/workgroup (compile time only)
; SGPRBlocks: 0
; VGPRBlocks: 15
; NumSGPRsForWavesPerEU: 50
; NumVGPRsForWavesPerEU: 128
; Occupancy: 8
; WaveLimiterHint : 1
; COMPUTE_PGM_RSRC2:SCRATCH_EN: 1
; COMPUTE_PGM_RSRC2:USER_SGPR: 6
; COMPUTE_PGM_RSRC2:TRAP_HANDLER: 0
; COMPUTE_PGM_RSRC2:TGID_X_EN: 1
; COMPUTE_PGM_RSRC2:TGID_Y_EN: 1
; COMPUTE_PGM_RSRC2:TGID_Z_EN: 1
; COMPUTE_PGM_RSRC2:TIDIG_COMP_CNT: 0
	.section	.text._ZN4vllm25paged_attention_v2_kernelI14__hip_bfloat16hLi128ELi16ELi128ELNS_18Fp8KVCacheDataTypeE1ELb0ELi512EEEvPfS3_PT_PKS4_PKT0_SA_ifPKiSC_iPKfiiiSE_SE_iiiii,"axG",@progbits,_ZN4vllm25paged_attention_v2_kernelI14__hip_bfloat16hLi128ELi16ELi128ELNS_18Fp8KVCacheDataTypeE1ELb0ELi512EEEvPfS3_PT_PKS4_PKT0_SA_ifPKiSC_iPKfiiiSE_SE_iiiii,comdat
	.protected	_ZN4vllm25paged_attention_v2_kernelI14__hip_bfloat16hLi128ELi16ELi128ELNS_18Fp8KVCacheDataTypeE1ELb0ELi512EEEvPfS3_PT_PKS4_PKT0_SA_ifPKiSC_iPKfiiiSE_SE_iiiii ; -- Begin function _ZN4vllm25paged_attention_v2_kernelI14__hip_bfloat16hLi128ELi16ELi128ELNS_18Fp8KVCacheDataTypeE1ELb0ELi512EEEvPfS3_PT_PKS4_PKT0_SA_ifPKiSC_iPKfiiiSE_SE_iiiii
	.globl	_ZN4vllm25paged_attention_v2_kernelI14__hip_bfloat16hLi128ELi16ELi128ELNS_18Fp8KVCacheDataTypeE1ELb0ELi512EEEvPfS3_PT_PKS4_PKT0_SA_ifPKiSC_iPKfiiiSE_SE_iiiii
	.p2align	8
	.type	_ZN4vllm25paged_attention_v2_kernelI14__hip_bfloat16hLi128ELi16ELi128ELNS_18Fp8KVCacheDataTypeE1ELb0ELi512EEEvPfS3_PT_PKS4_PKT0_SA_ifPKiSC_iPKfiiiSE_SE_iiiii,@function
_ZN4vllm25paged_attention_v2_kernelI14__hip_bfloat16hLi128ELi16ELi128ELNS_18Fp8KVCacheDataTypeE1ELb0ELi512EEEvPfS3_PT_PKS4_PKT0_SA_ifPKiSC_iPKfiiiSE_SE_iiiii: ; @_ZN4vllm25paged_attention_v2_kernelI14__hip_bfloat16hLi128ELi16ELi128ELNS_18Fp8KVCacheDataTypeE1ELb0ELi512EEEvPfS3_PT_PKS4_PKT0_SA_ifPKiSC_iPKfiiiSE_SE_iiiii
; %bb.0:
	s_mov_b64 s[46:47], s[2:3]
	s_mov_b64 s[44:45], s[0:1]
	s_load_dwordx2 s[0:1], s[4:5], 0x40
	s_add_u32 s44, s44, s9
	s_addc_u32 s45, s45, 0
	s_mov_b32 s26, s7
	s_ashr_i32 s27, s7, 31
	s_lshl_b64 s[2:3], s[26:27], 2
	s_waitcnt lgkmcnt(0)
	s_add_u32 s0, s0, s2
	s_addc_u32 s1, s1, s3
	s_lshl_b32 s33, s8, 9
	s_load_dword s27, s[0:1], 0x0
	s_waitcnt lgkmcnt(0)
	s_cmp_ge_i32 s33, s27
	s_cbranch_scc1 .LBB366_1070
; %bb.1:
	s_clause 0x1
	s_load_dword s9, s[4:5], 0x90
	s_load_dwordx2 s[36:37], s[4:5], 0x30
	v_mov_b32_e32 v23, v0
	s_waitcnt lgkmcnt(0)
	s_abs_i32 s3, s9
	s_abs_i32 s0, s36
	v_cvt_f32_u32_e32 v0, s0
	s_sub_i32 s2, 0, s0
	v_rcp_iflag_f32_e32 v0, v0
	v_mul_f32_e32 v0, 0x4f7ffffe, v0
	v_cvt_u32_f32_e32 v0, v0
	v_readfirstlane_b32 s1, v0
	s_mul_i32 s2, s2, s1
	s_mul_hi_u32 s2, s1, s2
	s_add_i32 s1, s1, s2
	s_xor_b32 s2, s9, s36
	s_mul_hi_u32 s1, s3, s1
	s_ashr_i32 s2, s2, 31
	s_mul_i32 s7, s1, s0
	s_mov_b32 s36, 0
	s_sub_i32 s3, s3, s7
	s_add_i32 s7, s1, 1
	s_sub_i32 s10, s3, s0
	s_cmp_ge_u32 s3, s0
	s_cselect_b32 s1, s7, s1
	s_cselect_b32 s3, s10, s3
	s_add_i32 s7, s1, 1
	s_cmp_ge_u32 s3, s0
	s_cselect_b32 s0, s7, s1
	s_abs_i32 s16, s6
	s_xor_b32 s0, s0, s2
	s_sub_i32 s10, s0, s2
	s_load_dwordx2 s[0:1], s[4:5], 0x50
	s_abs_i32 s2, s10
	v_cvt_f32_u32_e32 v0, s2
	s_sub_i32 s7, 0, s2
	v_rcp_iflag_f32_e32 v0, v0
	v_mul_f32_e32 v0, 0x4f7ffffe, v0
	v_cvt_u32_f32_e32 v0, v0
	v_readfirstlane_b32 s3, v0
	s_mul_i32 s7, s7, s3
	s_mul_hi_u32 s7, s3, s7
	s_add_i32 s3, s3, s7
	s_waitcnt lgkmcnt(0)
	s_cmp_eq_u64 s[0:1], 0
	s_mul_hi_u32 s3, s16, s3
	s_cbranch_scc1 .LBB366_3
; %bb.2:
	s_ashr_i32 s7, s6, 31
	s_lshl_b64 s[12:13], s[6:7], 2
	s_add_u32 s0, s0, s12
	s_addc_u32 s1, s1, s13
	s_load_dword s36, s[0:1], 0x0
.LBB366_3:
	s_load_dwordx4 s[12:15], s[4:5], 0x58
	v_lshrrev_b32_e32 v3, 1, v23
	v_and_b32_e32 v24, 1, v23
	v_cmp_gt_u32_e64 s0, 32, v23
	v_lshlrev_b32_e32 v14, 3, v23
	s_ashr_i32 s1, s6, 31
	s_ashr_i32 s7, s10, 31
	s_lshl_b32 s10, s6, 7
	s_waitcnt lgkmcnt(0)
	s_and_saveexec_b32 s15, s0
	s_cbranch_execz .LBB366_5
; %bb.4:
	s_load_dwordx2 s[18:19], s[4:5], 0x18
	s_mul_i32 s20, s12, s26
	v_lshlrev_b32_e32 v2, 3, v3
	s_ashr_i32 s21, s20, 31
	s_lshl_b64 s[20:21], s[20:21], 1
	v_lshl_add_u32 v2, v24, 7, v2
	s_waitcnt lgkmcnt(0)
	s_add_u32 s12, s18, s20
	s_addc_u32 s17, s19, s21
	s_ashr_i32 s11, s10, 31
	s_lshl_b64 s[18:19], s[10:11], 1
	s_add_u32 s18, s12, s18
	s_addc_u32 s19, s17, s19
	global_load_dwordx2 v[0:1], v14, s[18:19]
	s_waitcnt vmcnt(0)
	ds_write_b64 v2, v[0:1]
.LBB366_5:
	s_or_b32 exec_lo, exec_lo, s15
	s_add_i32 s11, s27, 15
	s_lshl_b32 s15, s8, 5
	s_ashr_i32 s12, s11, 31
	s_xor_b32 s1, s1, s7
	s_lshr_b32 s12, s12, 28
	s_add_i32 s7, s15, 32
	s_add_i32 s11, s11, s12
	s_mul_i32 s17, s3, s2
	s_ashr_i32 s12, s11, 4
	s_sub_i32 s16, s16, s17
	s_min_i32 s11, s7, s12
	s_clause 0x1
	s_load_dwordx2 s[28:29], s[4:5], 0x38
	s_load_dword s7, s[4:5], 0x48
	s_add_i32 s17, s3, 1
	s_sub_i32 s18, s16, s2
	s_cmp_ge_u32 s16, s2
	v_lshrrev_b32_e32 v35, 5, v23
	s_cselect_b32 s3, s17, s3
	s_cselect_b32 s16, s18, s16
	s_add_i32 s17, s3, 1
	s_cmp_ge_u32 s16, s2
	v_or_b32_e32 v9, s15, v35
	s_cselect_b32 s2, s17, s3
	v_mbcnt_lo_u32_b32 v27, -1, 0
	s_xor_b32 s2, s2, s1
	s_mov_b32 s3, exec_lo
	s_sub_i32 s2, s2, s1
	v_cmp_gt_i32_e64 s1, s11, v9
	s_waitcnt lgkmcnt(0)
	s_barrier
	buffer_gl0_inv
                                        ; implicit-def: $vgpr2
                                        ; implicit-def: $vgpr12
	s_mul_i32 s30, s7, s26
	s_ashr_i32 s31, s30, 31
	v_cmpx_le_i32_e64 s11, v9
	s_xor_b32 s3, exec_lo, s3
; %bb.6:
	v_mov_b32_e32 v2, 0
	v_mbcnt_lo_u32_b32 v27, -1, 0
	v_mov_b32_e32 v12, 32
; %bb.7:
	s_or_saveexec_b32 s38, s3
	buffer_store_dword v3, off, s[44:47], 0 offset:84 ; 4-byte Folded Spill
	s_clause 0x4
	s_load_dwordx4 s[20:23], s[4:5], 0x0
	s_load_dwordx2 s[24:25], s[4:5], 0x10
	s_load_dword s7, s[4:5], 0x98
	s_load_dwordx2 s[34:35], s[4:5], 0x28
	s_load_dwordx4 s[16:19], s[4:5], 0x68
	v_mov_b32_e32 v81, 0xff7fffff
	v_ashrrev_i32_e32 v10, 31, v9
	s_mul_i32 s14, s2, s14
	s_xor_b32 exec_lo, exec_lo, s38
	s_cbranch_execz .LBB366_525
; %bb.8:
	v_lshlrev_b32_e32 v8, 7, v24
	buffer_store_dword v14, off, s[44:47], 0 offset:100 ; 4-byte Folded Spill
	s_load_dwordx2 s[2:3], s[4:5], 0x20
	s_ashr_i32 s4, s14, 31
	v_mov_b32_e32 v81, 0xff7fffff
	ds_read_b128 v[0:3], v8
	ds_read_b128 v[4:7], v8 offset:16
	ds_read_b128 v[11:14], v8 offset:32
	;; [unrolled: 1-line block ×4, first 2 shown]
	s_waitcnt lgkmcnt(0)
	s_load_dword s16, s[16:17], 0x0
	v_mov_b32_e32 v85, 0x80
	v_mov_b32_e32 v86, 0xffff
	;; [unrolled: 1-line block ×6, first 2 shown]
	s_mov_b32 s17, 0
	buffer_store_dword v23, off, s[44:47], 0 offset:88 ; 4-byte Folded Spill
	buffer_store_dword v27, off, s[44:47], 0 offset:104 ; 4-byte Folded Spill
	;; [unrolled: 1-line block ×4, first 2 shown]
	v_lshlrev_b32_e32 v25, 16, v0
	v_and_b32_e32 v0, 0xffff0000, v0
	s_add_u32 s39, s2, s14
	s_addc_u32 s4, s3, s4
	s_lshl_b64 s[2:3], s[30:31], 2
	v_and_b32_e32 v37, 0xffff0000, v13
	buffer_store_dword v0, off, s[44:47], 0 offset:4 ; 4-byte Folded Spill
	v_lshlrev_b32_e32 v0, 16, v1
	v_lshlrev_b32_e32 v38, 16, v14
	v_and_b32_e32 v39, 0xffff0000, v14
	s_sub_i32 s5, 1, s27
	s_add_u32 s2, s28, s2
	buffer_store_dword v0, off, s[44:47], 0 offset:8 ; 4-byte Folded Spill
	v_and_b32_e32 v0, 0xffff0000, v1
	s_addc_u32 s3, s29, s3
	v_lshlrev_b32_e32 v40, 16, v15
	v_and_b32_e32 v41, 0xffff0000, v15
	v_lshlrev_b32_e32 v42, 16, v16
	buffer_store_dword v0, off, s[44:47], 0 offset:12 ; 4-byte Folded Spill
	v_lshlrev_b32_e32 v0, 16, v2
	v_and_b32_e32 v43, 0xffff0000, v16
	v_lshlrev_b32_e32 v44, 16, v17
	v_and_b32_e32 v45, 0xffff0000, v17
	v_lshlrev_b32_e32 v46, 16, v18
	buffer_store_dword v0, off, s[44:47], 0 offset:16 ; 4-byte Folded Spill
	v_and_b32_e32 v0, 0xffff0000, v2
	v_and_b32_e32 v48, 0xffff0000, v18
	v_lshlrev_b32_e32 v49, 16, v19
	v_and_b32_e32 v50, 0xffff0000, v19
	v_lshlrev_b32_e32 v51, 16, v20
	buffer_store_dword v0, off, s[44:47], 0 offset:20 ; 4-byte Folded Spill
	v_lshlrev_b32_e32 v0, 16, v3
	v_and_b32_e32 v52, 0xffff0000, v20
	v_lshlrev_b32_e32 v53, 16, v21
	v_and_b32_e32 v54, 0xffff0000, v21
	v_lshlrev_b32_e32 v55, 16, v22
	buffer_store_dword v0, off, s[44:47], 0 offset:24 ; 4-byte Folded Spill
	v_and_b32_e32 v0, 0xffff0000, v3
	v_and_b32_e32 v56, 0xffff0000, v22
	buffer_store_dword v25, off, s[44:47], 0 ; 4-byte Folded Spill
	buffer_store_dword v0, off, s[44:47], 0 offset:28 ; 4-byte Folded Spill
	v_lshlrev_b32_e32 v0, 16, v4
	buffer_store_dword v0, off, s[44:47], 0 offset:32 ; 4-byte Folded Spill
	v_and_b32_e32 v0, 0xffff0000, v4
	buffer_store_dword v0, off, s[44:47], 0 offset:36 ; 4-byte Folded Spill
	v_lshlrev_b32_e32 v0, 16, v5
	buffer_store_dword v0, off, s[44:47], 0 offset:40 ; 4-byte Folded Spill
	v_and_b32_e32 v0, 0xffff0000, v5
	buffer_store_dword v0, off, s[44:47], 0 offset:44 ; 4-byte Folded Spill
	v_lshlrev_b32_e32 v0, 16, v6
	buffer_store_dword v0, off, s[44:47], 0 offset:48 ; 4-byte Folded Spill
	v_and_b32_e32 v0, 0xffff0000, v6
	buffer_store_dword v0, off, s[44:47], 0 offset:52 ; 4-byte Folded Spill
	v_lshlrev_b32_e32 v0, 16, v7
	buffer_store_dword v0, off, s[44:47], 0 offset:56 ; 4-byte Folded Spill
	v_and_b32_e32 v0, 0xffff0000, v7
	ds_read_b128 v[4:7], v8 offset:96
	buffer_store_dword v0, off, s[44:47], 0 offset:60 ; 4-byte Folded Spill
	v_lshlrev_b32_e32 v0, 16, v11
	buffer_store_dword v0, off, s[44:47], 0 offset:64 ; 4-byte Folded Spill
	v_and_b32_e32 v0, 0xffff0000, v11
	buffer_store_dword v0, off, s[44:47], 0 offset:68 ; 4-byte Folded Spill
	v_lshlrev_b32_e32 v0, 16, v12
	s_waitcnt lgkmcnt(0)
	v_lshlrev_b32_e32 v65, 16, v4
	v_and_b32_e32 v66, 0xffff0000, v4
	buffer_store_dword v0, off, s[44:47], 0 offset:72 ; 4-byte Folded Spill
	v_and_b32_e32 v0, 0xffff0000, v12
	v_lshlrev_b32_e32 v67, 16, v5
	v_and_b32_e32 v68, 0xffff0000, v5
	v_lshlrev_b32_e32 v69, 16, v6
	v_and_b32_e32 v70, 0xffff0000, v6
	buffer_store_dword v0, off, s[44:47], 0 offset:76 ; 4-byte Folded Spill
	v_lshlrev_b32_e32 v0, 16, v13
	ds_read_b128 v[11:14], v8 offset:112
	v_lshlrev_b32_e32 v71, 16, v7
	v_and_b32_e32 v72, 0xffff0000, v7
	v_lshlrev_b32_e32 v7, 4, v35
	buffer_store_dword v0, off, s[44:47], 0 offset:80 ; 4-byte Folded Spill
	ds_read_b128 v[0:3], v8 offset:80
	s_waitcnt lgkmcnt(1)
	v_lshlrev_b32_e32 v73, 16, v11
	v_and_b32_e32 v74, 0xffff0000, v11
	v_lshlrev_b32_e32 v75, 16, v12
	v_and_b32_e32 v76, 0xffff0000, v12
	v_lshlrev_b32_e32 v77, 16, v13
	s_waitcnt lgkmcnt(0)
	v_lshlrev_b32_e32 v57, 16, v0
	v_and_b32_e32 v58, 0xffff0000, v0
	v_lshlrev_b32_e32 v59, 16, v1
	v_and_b32_e32 v60, 0xffff0000, v1
	v_lshlrev_b64 v[0:1], 2, v[9:10]
	v_lshlrev_b32_e32 v61, 16, v2
	v_and_b32_e32 v62, 0xffff0000, v2
	v_bfe_u32 v2, v23, 1, 4
	v_lshlrev_b32_e32 v63, 16, v3
	v_and_b32_e32 v64, 0xffff0000, v3
	v_add_co_u32 v3, vcc_lo, s2, v0
	v_lshlrev_b32_e32 v5, 4, v2
	v_add_co_ci_u32_e64 v4, null, s3, v1, vcc_lo
	v_xor_b32_e32 v1, 1, v27
	v_lshlrev_b32_e32 v0, 2, v24
	v_add_co_u32 v5, s2, s39, v5
	v_lshlrev_b32_e32 v8, 2, v2
	v_cmp_gt_i32_e32 vcc_lo, 32, v1
	v_add_co_ci_u32_e64 v6, null, s4, 0, s2
	v_and_b32_e32 v78, 0xffff0000, v13
	v_lshlrev_b32_e32 v79, 16, v14
	v_cndmask_b32_e32 v1, v27, v1, vcc_lo
	v_add_co_u32 v5, vcc_lo, v5, v0
	v_lshl_or_b32 v0, v35, 6, v8
	v_and_b32_e32 v80, 0xffff0000, v14
	v_add_co_ci_u32_e64 v6, null, 0, v6, vcc_lo
	v_add3_u32 v82, s33, v7, v2
	v_lshlrev_b32_e32 v83, 2, v1
	v_cmp_neq_f32_e64 s2, s36, 0
	v_add_nc_u32_e32 v84, 0x120, v0
	v_mov_b32_e32 v2, 0
	s_mov_b32 s39, s13
	v_cmp_eq_u32_e32 vcc_lo, 0, v24
	s_branch .LBB366_10
.LBB366_9:                              ;   in Loop: Header=BB366_10 Depth=1
	s_or_b32 exec_lo, exec_lo, s4
	v_add_nc_u32_e32 v90, 4, v90
	v_add_co_u32 v3, s4, v3, 16
	v_add_nc_u32_e32 v82, 64, v82
	v_add_nc_u32_e32 v84, 0x100, v84
	v_cmp_le_i32_e64 s3, s11, v90
	v_add_co_ci_u32_e64 v4, null, 0, v4, s4
	s_or_b32 s17, s3, s17
	s_andn2_b32 exec_lo, exec_lo, s17
	s_cbranch_execz .LBB366_524
.LBB366_10:                             ; =>This Inner Loop Header: Depth=1
	global_load_dword v0, v[3:4], off
	v_mov_b32_e32 v91, 0
	s_waitcnt vmcnt(0)
	v_mad_i64_i32 v[7:8], null, v0, s39, v[5:6]
	global_load_dword v0, v[7:8], off
	s_waitcnt vmcnt(0)
	v_cmp_ne_u16_sdwa s3, v0, v2 src0_sel:BYTE_0 src1_sel:DWORD
	s_and_saveexec_b32 s4, s3
	s_cbranch_execz .LBB366_18
; %bb.11:                               ;   in Loop: Header=BB366_10 Depth=1
	v_cmp_ne_u16_sdwa s3, v0, v85 src0_sel:BYTE_0 src1_sel:DWORD
	v_bfrev_b32_e32 v91, 1
	s_and_saveexec_b32 s40, s3
	s_cbranch_execz .LBB366_17
; %bb.12:                               ;   in Loop: Header=BB366_10 Depth=1
	v_and_b32_e32 v12, 0x7f, v0
	v_mov_b32_e32 v91, 0x7f800001
	s_mov_b32 s41, exec_lo
	v_cmpx_ne_u32_e32 0x7f, v12
	s_cbranch_execz .LBB366_16
; %bb.13:                               ;   in Loop: Header=BB366_10 Depth=1
	s_waitcnt lgkmcnt(0)
	v_and_b32_e32 v1, 7, v0
	v_lshrrev_b32_e32 v11, 3, v12
	s_mov_b32 s42, exec_lo
	v_cmpx_gt_u32_e32 8, v12
; %bb.14:                               ;   in Loop: Header=BB366_10 Depth=1
	v_ffbh_u32_e32 v11, v1
	v_min_u32_e32 v11, 32, v11
	v_subrev_nc_u32_e32 v12, 28, v11
	v_sub_nc_u32_e32 v11, 29, v11
	v_lshlrev_b64 v[12:13], v12, v[1:2]
	v_and_b32_e32 v1, 7, v12
; %bb.15:                               ;   in Loop: Header=BB366_10 Depth=1
	s_or_b32 exec_lo, exec_lo, s42
	v_lshlrev_b32_e32 v12, 24, v0
	v_lshlrev_b32_e32 v1, 20, v1
	v_lshl_add_u32 v11, v11, 23, 0x3c000000
	v_and_b32_e32 v12, 0x80000000, v12
	v_or3_b32 v91, v1, v12, v11
.LBB366_16:                             ;   in Loop: Header=BB366_10 Depth=1
	s_or_b32 exec_lo, exec_lo, s41
.LBB366_17:                             ;   in Loop: Header=BB366_10 Depth=1
	s_or_b32 exec_lo, exec_lo, s40
.LBB366_18:                             ;   in Loop: Header=BB366_10 Depth=1
	s_or_b32 exec_lo, exec_lo, s4
	v_cmp_ne_u16_sdwa s3, v0, v2 src0_sel:BYTE_1 src1_sel:DWORD
	v_mov_b32_e32 v92, 0
	s_and_saveexec_b32 s4, s3
	s_cbranch_execz .LBB366_26
; %bb.19:                               ;   in Loop: Header=BB366_10 Depth=1
	v_cmp_ne_u16_sdwa s3, v0, v85 src0_sel:BYTE_1 src1_sel:DWORD
	v_bfrev_b32_e32 v92, 1
	s_and_saveexec_b32 s40, s3
	s_cbranch_execz .LBB366_25
; %bb.20:                               ;   in Loop: Header=BB366_10 Depth=1
	s_waitcnt lgkmcnt(0)
	v_and_b32_sdwa v1, v86, v0 dst_sel:DWORD dst_unused:UNUSED_PAD src0_sel:DWORD src1_sel:BYTE_1
	v_mov_b32_e32 v92, 0x7f800001
	s_mov_b32 s41, exec_lo
	v_and_b32_e32 v12, 0x7f, v1
	v_cmpx_ne_u32_e32 0x7f, v12
	s_cbranch_execz .LBB366_24
; %bb.21:                               ;   in Loop: Header=BB366_10 Depth=1
	v_and_b32_e32 v1, 7, v1
	v_lshrrev_b32_e32 v11, 3, v12
	s_mov_b32 s42, exec_lo
	v_cmpx_gt_u32_e32 8, v12
; %bb.22:                               ;   in Loop: Header=BB366_10 Depth=1
	v_ffbh_u32_e32 v11, v1
	v_min_u32_e32 v11, 32, v11
	v_subrev_nc_u32_e32 v12, 28, v11
	v_sub_nc_u32_e32 v11, 29, v11
	v_lshlrev_b64 v[12:13], v12, v[1:2]
	v_and_b32_e32 v1, 7, v12
; %bb.23:                               ;   in Loop: Header=BB366_10 Depth=1
	s_or_b32 exec_lo, exec_lo, s42
	v_lshlrev_b32_e32 v12, 16, v0
	v_lshlrev_b32_e32 v1, 20, v1
	v_lshl_add_u32 v11, v11, 23, 0x3c000000
	v_and_b32_e32 v12, 0x80000000, v12
	v_or3_b32 v92, v1, v12, v11
.LBB366_24:                             ;   in Loop: Header=BB366_10 Depth=1
	s_or_b32 exec_lo, exec_lo, s41
.LBB366_25:                             ;   in Loop: Header=BB366_10 Depth=1
	s_or_b32 exec_lo, exec_lo, s40
.LBB366_26:                             ;   in Loop: Header=BB366_10 Depth=1
	s_or_b32 exec_lo, exec_lo, s4
	s_waitcnt lgkmcnt(0)
	v_and_b32_sdwa v1, v0, v87 dst_sel:DWORD dst_unused:UNUSED_PAD src0_sel:WORD_1 src1_sel:DWORD
	v_mov_b32_e32 v93, 0
	v_mov_b32_e32 v94, 0
	s_mov_b32 s4, exec_lo
	v_cmpx_ne_u16_e32 0, v1
	s_cbranch_execz .LBB366_34
; %bb.27:                               ;   in Loop: Header=BB366_10 Depth=1
	v_bfrev_b32_e32 v94, 1
	s_mov_b32 s40, exec_lo
	v_cmpx_ne_u16_e32 0x80, v1
	s_cbranch_execz .LBB366_33
; %bb.28:                               ;   in Loop: Header=BB366_10 Depth=1
	v_bfe_u32 v12, v0, 16, 7
	v_mov_b32_e32 v94, 0x7f800001
	s_mov_b32 s41, exec_lo
	v_cmpx_ne_u32_e32 0x7f, v12
	s_cbranch_execz .LBB366_32
; %bb.29:                               ;   in Loop: Header=BB366_10 Depth=1
	v_and_b32_sdwa v1, v0, v88 dst_sel:DWORD dst_unused:UNUSED_PAD src0_sel:WORD_1 src1_sel:DWORD
	v_lshrrev_b32_e32 v11, 3, v12
	s_mov_b32 s42, exec_lo
	v_cmpx_gt_u32_e32 8, v12
; %bb.30:                               ;   in Loop: Header=BB366_10 Depth=1
	v_ffbh_u32_e32 v11, v1
	v_min_u32_e32 v11, 32, v11
	v_subrev_nc_u32_e32 v12, 28, v11
	v_sub_nc_u32_e32 v11, 29, v11
	v_lshlrev_b64 v[12:13], v12, v[1:2]
	v_and_b32_e32 v1, 7, v12
; %bb.31:                               ;   in Loop: Header=BB366_10 Depth=1
	s_or_b32 exec_lo, exec_lo, s42
	v_lshlrev_b32_sdwa v12, v89, v0 dst_sel:DWORD dst_unused:UNUSED_PAD src0_sel:DWORD src1_sel:WORD_1
	v_lshlrev_b32_e32 v1, 20, v1
	v_lshl_add_u32 v11, v11, 23, 0x3c000000
	v_and_b32_e32 v12, 0x80000000, v12
	v_or3_b32 v94, v1, v12, v11
.LBB366_32:                             ;   in Loop: Header=BB366_10 Depth=1
	s_or_b32 exec_lo, exec_lo, s41
.LBB366_33:                             ;   in Loop: Header=BB366_10 Depth=1
	s_or_b32 exec_lo, exec_lo, s40
.LBB366_34:                             ;   in Loop: Header=BB366_10 Depth=1
	s_or_b32 exec_lo, exec_lo, s4
	s_mov_b32 s4, exec_lo
	v_cmpx_lt_u32_e32 0xffffff, v0
	s_cbranch_execz .LBB366_42
; %bb.35:                               ;   in Loop: Header=BB366_10 Depth=1
	v_cmp_ne_u32_sdwa s3, v0, v85 src0_sel:BYTE_3 src1_sel:DWORD
	v_bfrev_b32_e32 v93, 1
	s_and_saveexec_b32 s40, s3
	s_cbranch_execz .LBB366_41
; %bb.36:                               ;   in Loop: Header=BB366_10 Depth=1
	v_bfe_u32 v12, v0, 24, 7
	v_mov_b32_e32 v93, 0x7f800001
	s_mov_b32 s41, exec_lo
	v_cmpx_ne_u32_e32 0x7f, v12
	s_cbranch_execz .LBB366_40
; %bb.37:                               ;   in Loop: Header=BB366_10 Depth=1
	v_and_b32_sdwa v1, v0, v88 dst_sel:DWORD dst_unused:UNUSED_PAD src0_sel:BYTE_3 src1_sel:DWORD
	v_lshrrev_b32_e32 v11, 3, v12
	s_mov_b32 s42, exec_lo
	v_cmpx_gt_u32_e32 8, v12
; %bb.38:                               ;   in Loop: Header=BB366_10 Depth=1
	v_ffbh_u32_e32 v11, v1
	v_min_u32_e32 v11, 32, v11
	v_subrev_nc_u32_e32 v12, 28, v11
	v_sub_nc_u32_e32 v11, 29, v11
	v_lshlrev_b64 v[12:13], v12, v[1:2]
	v_and_b32_e32 v1, 7, v12
; %bb.39:                               ;   in Loop: Header=BB366_10 Depth=1
	s_or_b32 exec_lo, exec_lo, s42
	v_lshlrev_b32_sdwa v0, v89, v0 dst_sel:DWORD dst_unused:UNUSED_PAD src0_sel:DWORD src1_sel:BYTE_3
	v_lshlrev_b32_e32 v1, 20, v1
	v_lshl_add_u32 v11, v11, 23, 0x3c000000
	v_and_b32_e32 v0, 0x80000000, v0
	v_or3_b32 v93, v1, v0, v11
.LBB366_40:                             ;   in Loop: Header=BB366_10 Depth=1
	s_or_b32 exec_lo, exec_lo, s41
.LBB366_41:                             ;   in Loop: Header=BB366_10 Depth=1
	s_or_b32 exec_lo, exec_lo, s40
.LBB366_42:                             ;   in Loop: Header=BB366_10 Depth=1
	s_or_b32 exec_lo, exec_lo, s4
	global_load_dword v0, v[7:8], off offset:8
	v_mov_b32_e32 v96, 0
	v_mov_b32_e32 v95, 0
	s_waitcnt vmcnt(0)
	v_cmp_ne_u16_sdwa s3, v0, v2 src0_sel:BYTE_0 src1_sel:DWORD
	s_and_saveexec_b32 s4, s3
	s_cbranch_execz .LBB366_50
; %bb.43:                               ;   in Loop: Header=BB366_10 Depth=1
	v_cmp_ne_u16_sdwa s3, v0, v85 src0_sel:BYTE_0 src1_sel:DWORD
	v_bfrev_b32_e32 v95, 1
	s_and_saveexec_b32 s40, s3
	s_cbranch_execz .LBB366_49
; %bb.44:                               ;   in Loop: Header=BB366_10 Depth=1
	v_and_b32_e32 v12, 0x7f, v0
	v_mov_b32_e32 v95, 0x7f800001
	s_mov_b32 s41, exec_lo
	v_cmpx_ne_u32_e32 0x7f, v12
	s_cbranch_execz .LBB366_48
; %bb.45:                               ;   in Loop: Header=BB366_10 Depth=1
	v_and_b32_e32 v1, 7, v0
	v_lshrrev_b32_e32 v11, 3, v12
	s_mov_b32 s42, exec_lo
	v_cmpx_gt_u32_e32 8, v12
; %bb.46:                               ;   in Loop: Header=BB366_10 Depth=1
	v_ffbh_u32_e32 v11, v1
	v_min_u32_e32 v11, 32, v11
	v_subrev_nc_u32_e32 v12, 28, v11
	v_sub_nc_u32_e32 v11, 29, v11
	v_lshlrev_b64 v[12:13], v12, v[1:2]
	v_and_b32_e32 v1, 7, v12
; %bb.47:                               ;   in Loop: Header=BB366_10 Depth=1
	s_or_b32 exec_lo, exec_lo, s42
	v_lshlrev_b32_e32 v12, 24, v0
	v_lshlrev_b32_e32 v1, 20, v1
	v_lshl_add_u32 v11, v11, 23, 0x3c000000
	v_and_b32_e32 v12, 0x80000000, v12
	v_or3_b32 v95, v1, v12, v11
.LBB366_48:                             ;   in Loop: Header=BB366_10 Depth=1
	s_or_b32 exec_lo, exec_lo, s41
.LBB366_49:                             ;   in Loop: Header=BB366_10 Depth=1
	s_or_b32 exec_lo, exec_lo, s40
.LBB366_50:                             ;   in Loop: Header=BB366_10 Depth=1
	s_or_b32 exec_lo, exec_lo, s4
	v_cmp_ne_u16_sdwa s3, v0, v2 src0_sel:BYTE_1 src1_sel:DWORD
	s_and_saveexec_b32 s4, s3
	s_cbranch_execz .LBB366_58
; %bb.51:                               ;   in Loop: Header=BB366_10 Depth=1
	v_cmp_ne_u16_sdwa s3, v0, v85 src0_sel:BYTE_1 src1_sel:DWORD
	v_bfrev_b32_e32 v96, 1
	s_and_saveexec_b32 s40, s3
	s_cbranch_execz .LBB366_57
; %bb.52:                               ;   in Loop: Header=BB366_10 Depth=1
	v_and_b32_sdwa v1, v86, v0 dst_sel:DWORD dst_unused:UNUSED_PAD src0_sel:DWORD src1_sel:BYTE_1
	v_mov_b32_e32 v96, 0x7f800001
	s_mov_b32 s41, exec_lo
	v_and_b32_e32 v12, 0x7f, v1
	v_cmpx_ne_u32_e32 0x7f, v12
	s_cbranch_execz .LBB366_56
; %bb.53:                               ;   in Loop: Header=BB366_10 Depth=1
	v_and_b32_e32 v1, 7, v1
	v_lshrrev_b32_e32 v11, 3, v12
	s_mov_b32 s42, exec_lo
	v_cmpx_gt_u32_e32 8, v12
; %bb.54:                               ;   in Loop: Header=BB366_10 Depth=1
	v_ffbh_u32_e32 v11, v1
	v_min_u32_e32 v11, 32, v11
	v_subrev_nc_u32_e32 v12, 28, v11
	v_sub_nc_u32_e32 v11, 29, v11
	v_lshlrev_b64 v[12:13], v12, v[1:2]
	v_and_b32_e32 v1, 7, v12
; %bb.55:                               ;   in Loop: Header=BB366_10 Depth=1
	s_or_b32 exec_lo, exec_lo, s42
	v_lshlrev_b32_e32 v12, 16, v0
	v_lshlrev_b32_e32 v1, 20, v1
	v_lshl_add_u32 v11, v11, 23, 0x3c000000
	v_and_b32_e32 v12, 0x80000000, v12
	v_or3_b32 v96, v1, v12, v11
.LBB366_56:                             ;   in Loop: Header=BB366_10 Depth=1
	s_or_b32 exec_lo, exec_lo, s41
.LBB366_57:                             ;   in Loop: Header=BB366_10 Depth=1
	s_or_b32 exec_lo, exec_lo, s40
.LBB366_58:                             ;   in Loop: Header=BB366_10 Depth=1
	s_or_b32 exec_lo, exec_lo, s4
	v_and_b32_sdwa v1, v0, v87 dst_sel:DWORD dst_unused:UNUSED_PAD src0_sel:WORD_1 src1_sel:DWORD
	v_mov_b32_e32 v97, 0
	v_mov_b32_e32 v98, 0
	s_mov_b32 s4, exec_lo
	v_cmpx_ne_u16_e32 0, v1
	s_cbranch_execz .LBB366_66
; %bb.59:                               ;   in Loop: Header=BB366_10 Depth=1
	v_bfrev_b32_e32 v98, 1
	s_mov_b32 s40, exec_lo
	v_cmpx_ne_u16_e32 0x80, v1
	s_cbranch_execz .LBB366_65
; %bb.60:                               ;   in Loop: Header=BB366_10 Depth=1
	v_bfe_u32 v12, v0, 16, 7
	v_mov_b32_e32 v98, 0x7f800001
	s_mov_b32 s41, exec_lo
	v_cmpx_ne_u32_e32 0x7f, v12
	s_cbranch_execz .LBB366_64
; %bb.61:                               ;   in Loop: Header=BB366_10 Depth=1
	v_and_b32_sdwa v1, v0, v88 dst_sel:DWORD dst_unused:UNUSED_PAD src0_sel:WORD_1 src1_sel:DWORD
	v_lshrrev_b32_e32 v11, 3, v12
	s_mov_b32 s42, exec_lo
	v_cmpx_gt_u32_e32 8, v12
; %bb.62:                               ;   in Loop: Header=BB366_10 Depth=1
	v_ffbh_u32_e32 v11, v1
	v_min_u32_e32 v11, 32, v11
	v_subrev_nc_u32_e32 v12, 28, v11
	v_sub_nc_u32_e32 v11, 29, v11
	v_lshlrev_b64 v[12:13], v12, v[1:2]
	v_and_b32_e32 v1, 7, v12
; %bb.63:                               ;   in Loop: Header=BB366_10 Depth=1
	s_or_b32 exec_lo, exec_lo, s42
	v_lshlrev_b32_sdwa v12, v89, v0 dst_sel:DWORD dst_unused:UNUSED_PAD src0_sel:DWORD src1_sel:WORD_1
	v_lshlrev_b32_e32 v1, 20, v1
	v_lshl_add_u32 v11, v11, 23, 0x3c000000
	v_and_b32_e32 v12, 0x80000000, v12
	v_or3_b32 v98, v1, v12, v11
.LBB366_64:                             ;   in Loop: Header=BB366_10 Depth=1
	s_or_b32 exec_lo, exec_lo, s41
.LBB366_65:                             ;   in Loop: Header=BB366_10 Depth=1
	s_or_b32 exec_lo, exec_lo, s40
.LBB366_66:                             ;   in Loop: Header=BB366_10 Depth=1
	s_or_b32 exec_lo, exec_lo, s4
	s_mov_b32 s4, exec_lo
	v_cmpx_lt_u32_e32 0xffffff, v0
	s_cbranch_execz .LBB366_74
; %bb.67:                               ;   in Loop: Header=BB366_10 Depth=1
	v_cmp_ne_u32_sdwa s3, v0, v85 src0_sel:BYTE_3 src1_sel:DWORD
	v_bfrev_b32_e32 v97, 1
	s_and_saveexec_b32 s40, s3
	s_cbranch_execz .LBB366_73
; %bb.68:                               ;   in Loop: Header=BB366_10 Depth=1
	v_bfe_u32 v12, v0, 24, 7
	v_mov_b32_e32 v97, 0x7f800001
	s_mov_b32 s41, exec_lo
	v_cmpx_ne_u32_e32 0x7f, v12
	s_cbranch_execz .LBB366_72
; %bb.69:                               ;   in Loop: Header=BB366_10 Depth=1
	v_and_b32_sdwa v1, v0, v88 dst_sel:DWORD dst_unused:UNUSED_PAD src0_sel:BYTE_3 src1_sel:DWORD
	v_lshrrev_b32_e32 v11, 3, v12
	s_mov_b32 s42, exec_lo
	v_cmpx_gt_u32_e32 8, v12
; %bb.70:                               ;   in Loop: Header=BB366_10 Depth=1
	v_ffbh_u32_e32 v11, v1
	v_min_u32_e32 v11, 32, v11
	v_subrev_nc_u32_e32 v12, 28, v11
	v_sub_nc_u32_e32 v11, 29, v11
	v_lshlrev_b64 v[12:13], v12, v[1:2]
	v_and_b32_e32 v1, 7, v12
; %bb.71:                               ;   in Loop: Header=BB366_10 Depth=1
	s_or_b32 exec_lo, exec_lo, s42
	v_lshlrev_b32_sdwa v0, v89, v0 dst_sel:DWORD dst_unused:UNUSED_PAD src0_sel:DWORD src1_sel:BYTE_3
	v_lshlrev_b32_e32 v1, 20, v1
	v_lshl_add_u32 v11, v11, 23, 0x3c000000
	v_and_b32_e32 v0, 0x80000000, v0
	v_or3_b32 v97, v1, v0, v11
.LBB366_72:                             ;   in Loop: Header=BB366_10 Depth=1
	s_or_b32 exec_lo, exec_lo, s41
.LBB366_73:                             ;   in Loop: Header=BB366_10 Depth=1
	s_or_b32 exec_lo, exec_lo, s40
.LBB366_74:                             ;   in Loop: Header=BB366_10 Depth=1
	s_or_b32 exec_lo, exec_lo, s4
	global_load_dword v0, v[7:8], off offset:256
	v_mov_b32_e32 v100, 0
	v_mov_b32_e32 v99, 0
	s_waitcnt vmcnt(0)
	v_cmp_ne_u16_sdwa s3, v0, v2 src0_sel:BYTE_0 src1_sel:DWORD
	s_and_saveexec_b32 s4, s3
	s_cbranch_execz .LBB366_82
; %bb.75:                               ;   in Loop: Header=BB366_10 Depth=1
	v_cmp_ne_u16_sdwa s3, v0, v85 src0_sel:BYTE_0 src1_sel:DWORD
	v_bfrev_b32_e32 v99, 1
	s_and_saveexec_b32 s40, s3
	s_cbranch_execz .LBB366_81
; %bb.76:                               ;   in Loop: Header=BB366_10 Depth=1
	v_and_b32_e32 v12, 0x7f, v0
	v_mov_b32_e32 v99, 0x7f800001
	s_mov_b32 s41, exec_lo
	v_cmpx_ne_u32_e32 0x7f, v12
	s_cbranch_execz .LBB366_80
; %bb.77:                               ;   in Loop: Header=BB366_10 Depth=1
	v_and_b32_e32 v1, 7, v0
	v_lshrrev_b32_e32 v11, 3, v12
	s_mov_b32 s42, exec_lo
	v_cmpx_gt_u32_e32 8, v12
; %bb.78:                               ;   in Loop: Header=BB366_10 Depth=1
	v_ffbh_u32_e32 v11, v1
	v_min_u32_e32 v11, 32, v11
	v_subrev_nc_u32_e32 v12, 28, v11
	v_sub_nc_u32_e32 v11, 29, v11
	v_lshlrev_b64 v[12:13], v12, v[1:2]
	v_and_b32_e32 v1, 7, v12
; %bb.79:                               ;   in Loop: Header=BB366_10 Depth=1
	s_or_b32 exec_lo, exec_lo, s42
	v_lshlrev_b32_e32 v12, 24, v0
	v_lshlrev_b32_e32 v1, 20, v1
	v_lshl_add_u32 v11, v11, 23, 0x3c000000
	v_and_b32_e32 v12, 0x80000000, v12
	v_or3_b32 v99, v1, v12, v11
.LBB366_80:                             ;   in Loop: Header=BB366_10 Depth=1
	s_or_b32 exec_lo, exec_lo, s41
.LBB366_81:                             ;   in Loop: Header=BB366_10 Depth=1
	s_or_b32 exec_lo, exec_lo, s40
.LBB366_82:                             ;   in Loop: Header=BB366_10 Depth=1
	s_or_b32 exec_lo, exec_lo, s4
	v_cmp_ne_u16_sdwa s3, v0, v2 src0_sel:BYTE_1 src1_sel:DWORD
	s_and_saveexec_b32 s4, s3
	s_cbranch_execz .LBB366_90
; %bb.83:                               ;   in Loop: Header=BB366_10 Depth=1
	v_cmp_ne_u16_sdwa s3, v0, v85 src0_sel:BYTE_1 src1_sel:DWORD
	v_bfrev_b32_e32 v100, 1
	s_and_saveexec_b32 s40, s3
	s_cbranch_execz .LBB366_89
; %bb.84:                               ;   in Loop: Header=BB366_10 Depth=1
	v_and_b32_sdwa v1, v86, v0 dst_sel:DWORD dst_unused:UNUSED_PAD src0_sel:DWORD src1_sel:BYTE_1
	v_mov_b32_e32 v100, 0x7f800001
	s_mov_b32 s41, exec_lo
	v_and_b32_e32 v12, 0x7f, v1
	v_cmpx_ne_u32_e32 0x7f, v12
	s_cbranch_execz .LBB366_88
; %bb.85:                               ;   in Loop: Header=BB366_10 Depth=1
	v_and_b32_e32 v1, 7, v1
	v_lshrrev_b32_e32 v11, 3, v12
	s_mov_b32 s42, exec_lo
	v_cmpx_gt_u32_e32 8, v12
; %bb.86:                               ;   in Loop: Header=BB366_10 Depth=1
	v_ffbh_u32_e32 v11, v1
	v_min_u32_e32 v11, 32, v11
	v_subrev_nc_u32_e32 v12, 28, v11
	v_sub_nc_u32_e32 v11, 29, v11
	v_lshlrev_b64 v[12:13], v12, v[1:2]
	v_and_b32_e32 v1, 7, v12
; %bb.87:                               ;   in Loop: Header=BB366_10 Depth=1
	s_or_b32 exec_lo, exec_lo, s42
	v_lshlrev_b32_e32 v12, 16, v0
	v_lshlrev_b32_e32 v1, 20, v1
	v_lshl_add_u32 v11, v11, 23, 0x3c000000
	v_and_b32_e32 v12, 0x80000000, v12
	v_or3_b32 v100, v1, v12, v11
.LBB366_88:                             ;   in Loop: Header=BB366_10 Depth=1
	s_or_b32 exec_lo, exec_lo, s41
.LBB366_89:                             ;   in Loop: Header=BB366_10 Depth=1
	s_or_b32 exec_lo, exec_lo, s40
.LBB366_90:                             ;   in Loop: Header=BB366_10 Depth=1
	s_or_b32 exec_lo, exec_lo, s4
	v_and_b32_sdwa v1, v0, v87 dst_sel:DWORD dst_unused:UNUSED_PAD src0_sel:WORD_1 src1_sel:DWORD
	v_mov_b32_e32 v101, 0
	v_mov_b32_e32 v102, 0
	s_mov_b32 s4, exec_lo
	v_cmpx_ne_u16_e32 0, v1
	s_cbranch_execz .LBB366_98
; %bb.91:                               ;   in Loop: Header=BB366_10 Depth=1
	v_bfrev_b32_e32 v102, 1
	s_mov_b32 s40, exec_lo
	v_cmpx_ne_u16_e32 0x80, v1
	s_cbranch_execz .LBB366_97
; %bb.92:                               ;   in Loop: Header=BB366_10 Depth=1
	v_bfe_u32 v12, v0, 16, 7
	v_mov_b32_e32 v102, 0x7f800001
	s_mov_b32 s41, exec_lo
	v_cmpx_ne_u32_e32 0x7f, v12
	s_cbranch_execz .LBB366_96
; %bb.93:                               ;   in Loop: Header=BB366_10 Depth=1
	v_and_b32_sdwa v1, v0, v88 dst_sel:DWORD dst_unused:UNUSED_PAD src0_sel:WORD_1 src1_sel:DWORD
	v_lshrrev_b32_e32 v11, 3, v12
	s_mov_b32 s42, exec_lo
	v_cmpx_gt_u32_e32 8, v12
; %bb.94:                               ;   in Loop: Header=BB366_10 Depth=1
	v_ffbh_u32_e32 v11, v1
	v_min_u32_e32 v11, 32, v11
	v_subrev_nc_u32_e32 v12, 28, v11
	v_sub_nc_u32_e32 v11, 29, v11
	v_lshlrev_b64 v[12:13], v12, v[1:2]
	v_and_b32_e32 v1, 7, v12
; %bb.95:                               ;   in Loop: Header=BB366_10 Depth=1
	s_or_b32 exec_lo, exec_lo, s42
	v_lshlrev_b32_sdwa v12, v89, v0 dst_sel:DWORD dst_unused:UNUSED_PAD src0_sel:DWORD src1_sel:WORD_1
	v_lshlrev_b32_e32 v1, 20, v1
	v_lshl_add_u32 v11, v11, 23, 0x3c000000
	v_and_b32_e32 v12, 0x80000000, v12
	v_or3_b32 v102, v1, v12, v11
.LBB366_96:                             ;   in Loop: Header=BB366_10 Depth=1
	s_or_b32 exec_lo, exec_lo, s41
.LBB366_97:                             ;   in Loop: Header=BB366_10 Depth=1
	s_or_b32 exec_lo, exec_lo, s40
.LBB366_98:                             ;   in Loop: Header=BB366_10 Depth=1
	s_or_b32 exec_lo, exec_lo, s4
	s_mov_b32 s4, exec_lo
	v_cmpx_lt_u32_e32 0xffffff, v0
	s_cbranch_execz .LBB366_106
; %bb.99:                               ;   in Loop: Header=BB366_10 Depth=1
	v_cmp_ne_u32_sdwa s3, v0, v85 src0_sel:BYTE_3 src1_sel:DWORD
	v_bfrev_b32_e32 v101, 1
	s_and_saveexec_b32 s40, s3
	s_cbranch_execz .LBB366_105
; %bb.100:                              ;   in Loop: Header=BB366_10 Depth=1
	v_bfe_u32 v12, v0, 24, 7
	v_mov_b32_e32 v101, 0x7f800001
	s_mov_b32 s41, exec_lo
	v_cmpx_ne_u32_e32 0x7f, v12
	s_cbranch_execz .LBB366_104
; %bb.101:                              ;   in Loop: Header=BB366_10 Depth=1
	v_and_b32_sdwa v1, v0, v88 dst_sel:DWORD dst_unused:UNUSED_PAD src0_sel:BYTE_3 src1_sel:DWORD
	v_lshrrev_b32_e32 v11, 3, v12
	s_mov_b32 s42, exec_lo
	v_cmpx_gt_u32_e32 8, v12
; %bb.102:                              ;   in Loop: Header=BB366_10 Depth=1
	v_ffbh_u32_e32 v11, v1
	v_min_u32_e32 v11, 32, v11
	v_subrev_nc_u32_e32 v12, 28, v11
	v_sub_nc_u32_e32 v11, 29, v11
	v_lshlrev_b64 v[12:13], v12, v[1:2]
	v_and_b32_e32 v1, 7, v12
; %bb.103:                              ;   in Loop: Header=BB366_10 Depth=1
	s_or_b32 exec_lo, exec_lo, s42
	v_lshlrev_b32_sdwa v0, v89, v0 dst_sel:DWORD dst_unused:UNUSED_PAD src0_sel:DWORD src1_sel:BYTE_3
	v_lshlrev_b32_e32 v1, 20, v1
	v_lshl_add_u32 v11, v11, 23, 0x3c000000
	v_and_b32_e32 v0, 0x80000000, v0
	v_or3_b32 v101, v1, v0, v11
.LBB366_104:                            ;   in Loop: Header=BB366_10 Depth=1
	s_or_b32 exec_lo, exec_lo, s41
.LBB366_105:                            ;   in Loop: Header=BB366_10 Depth=1
	s_or_b32 exec_lo, exec_lo, s40
.LBB366_106:                            ;   in Loop: Header=BB366_10 Depth=1
	s_or_b32 exec_lo, exec_lo, s4
	global_load_dword v0, v[7:8], off offset:264
	v_mov_b32_e32 v104, 0
	v_mov_b32_e32 v103, 0
	s_waitcnt vmcnt(0)
	v_cmp_ne_u16_sdwa s3, v0, v2 src0_sel:BYTE_0 src1_sel:DWORD
	s_and_saveexec_b32 s4, s3
	s_cbranch_execz .LBB366_114
; %bb.107:                              ;   in Loop: Header=BB366_10 Depth=1
	v_cmp_ne_u16_sdwa s3, v0, v85 src0_sel:BYTE_0 src1_sel:DWORD
	v_bfrev_b32_e32 v103, 1
	s_and_saveexec_b32 s40, s3
	s_cbranch_execz .LBB366_113
; %bb.108:                              ;   in Loop: Header=BB366_10 Depth=1
	v_and_b32_e32 v12, 0x7f, v0
	v_mov_b32_e32 v103, 0x7f800001
	s_mov_b32 s41, exec_lo
	v_cmpx_ne_u32_e32 0x7f, v12
	s_cbranch_execz .LBB366_112
; %bb.109:                              ;   in Loop: Header=BB366_10 Depth=1
	v_and_b32_e32 v1, 7, v0
	v_lshrrev_b32_e32 v11, 3, v12
	s_mov_b32 s42, exec_lo
	v_cmpx_gt_u32_e32 8, v12
; %bb.110:                              ;   in Loop: Header=BB366_10 Depth=1
	v_ffbh_u32_e32 v11, v1
	v_min_u32_e32 v11, 32, v11
	v_subrev_nc_u32_e32 v12, 28, v11
	v_sub_nc_u32_e32 v11, 29, v11
	v_lshlrev_b64 v[12:13], v12, v[1:2]
	v_and_b32_e32 v1, 7, v12
; %bb.111:                              ;   in Loop: Header=BB366_10 Depth=1
	s_or_b32 exec_lo, exec_lo, s42
	v_lshlrev_b32_e32 v12, 24, v0
	v_lshlrev_b32_e32 v1, 20, v1
	v_lshl_add_u32 v11, v11, 23, 0x3c000000
	v_and_b32_e32 v12, 0x80000000, v12
	v_or3_b32 v103, v1, v12, v11
.LBB366_112:                            ;   in Loop: Header=BB366_10 Depth=1
	s_or_b32 exec_lo, exec_lo, s41
.LBB366_113:                            ;   in Loop: Header=BB366_10 Depth=1
	s_or_b32 exec_lo, exec_lo, s40
.LBB366_114:                            ;   in Loop: Header=BB366_10 Depth=1
	s_or_b32 exec_lo, exec_lo, s4
	v_cmp_ne_u16_sdwa s3, v0, v2 src0_sel:BYTE_1 src1_sel:DWORD
	s_and_saveexec_b32 s4, s3
	s_cbranch_execz .LBB366_122
; %bb.115:                              ;   in Loop: Header=BB366_10 Depth=1
	v_cmp_ne_u16_sdwa s3, v0, v85 src0_sel:BYTE_1 src1_sel:DWORD
	v_bfrev_b32_e32 v104, 1
	s_and_saveexec_b32 s40, s3
	s_cbranch_execz .LBB366_121
; %bb.116:                              ;   in Loop: Header=BB366_10 Depth=1
	v_and_b32_sdwa v1, v86, v0 dst_sel:DWORD dst_unused:UNUSED_PAD src0_sel:DWORD src1_sel:BYTE_1
	v_mov_b32_e32 v104, 0x7f800001
	s_mov_b32 s41, exec_lo
	v_and_b32_e32 v12, 0x7f, v1
	v_cmpx_ne_u32_e32 0x7f, v12
	s_cbranch_execz .LBB366_120
; %bb.117:                              ;   in Loop: Header=BB366_10 Depth=1
	v_and_b32_e32 v1, 7, v1
	v_lshrrev_b32_e32 v11, 3, v12
	s_mov_b32 s42, exec_lo
	v_cmpx_gt_u32_e32 8, v12
; %bb.118:                              ;   in Loop: Header=BB366_10 Depth=1
	v_ffbh_u32_e32 v11, v1
	v_min_u32_e32 v11, 32, v11
	v_subrev_nc_u32_e32 v12, 28, v11
	v_sub_nc_u32_e32 v11, 29, v11
	v_lshlrev_b64 v[12:13], v12, v[1:2]
	v_and_b32_e32 v1, 7, v12
; %bb.119:                              ;   in Loop: Header=BB366_10 Depth=1
	s_or_b32 exec_lo, exec_lo, s42
	v_lshlrev_b32_e32 v12, 16, v0
	v_lshlrev_b32_e32 v1, 20, v1
	v_lshl_add_u32 v11, v11, 23, 0x3c000000
	v_and_b32_e32 v12, 0x80000000, v12
	v_or3_b32 v104, v1, v12, v11
.LBB366_120:                            ;   in Loop: Header=BB366_10 Depth=1
	s_or_b32 exec_lo, exec_lo, s41
.LBB366_121:                            ;   in Loop: Header=BB366_10 Depth=1
	s_or_b32 exec_lo, exec_lo, s40
.LBB366_122:                            ;   in Loop: Header=BB366_10 Depth=1
	s_or_b32 exec_lo, exec_lo, s4
	v_and_b32_sdwa v1, v0, v87 dst_sel:DWORD dst_unused:UNUSED_PAD src0_sel:WORD_1 src1_sel:DWORD
	v_mov_b32_e32 v105, 0
	v_mov_b32_e32 v106, 0
	s_mov_b32 s4, exec_lo
	v_cmpx_ne_u16_e32 0, v1
	s_cbranch_execz .LBB366_130
; %bb.123:                              ;   in Loop: Header=BB366_10 Depth=1
	v_bfrev_b32_e32 v106, 1
	s_mov_b32 s40, exec_lo
	v_cmpx_ne_u16_e32 0x80, v1
	s_cbranch_execz .LBB366_129
; %bb.124:                              ;   in Loop: Header=BB366_10 Depth=1
	v_bfe_u32 v12, v0, 16, 7
	v_mov_b32_e32 v106, 0x7f800001
	s_mov_b32 s41, exec_lo
	v_cmpx_ne_u32_e32 0x7f, v12
	s_cbranch_execz .LBB366_128
; %bb.125:                              ;   in Loop: Header=BB366_10 Depth=1
	v_and_b32_sdwa v1, v0, v88 dst_sel:DWORD dst_unused:UNUSED_PAD src0_sel:WORD_1 src1_sel:DWORD
	v_lshrrev_b32_e32 v11, 3, v12
	s_mov_b32 s42, exec_lo
	v_cmpx_gt_u32_e32 8, v12
; %bb.126:                              ;   in Loop: Header=BB366_10 Depth=1
	v_ffbh_u32_e32 v11, v1
	v_min_u32_e32 v11, 32, v11
	v_subrev_nc_u32_e32 v12, 28, v11
	v_sub_nc_u32_e32 v11, 29, v11
	v_lshlrev_b64 v[12:13], v12, v[1:2]
	v_and_b32_e32 v1, 7, v12
; %bb.127:                              ;   in Loop: Header=BB366_10 Depth=1
	s_or_b32 exec_lo, exec_lo, s42
	v_lshlrev_b32_sdwa v12, v89, v0 dst_sel:DWORD dst_unused:UNUSED_PAD src0_sel:DWORD src1_sel:WORD_1
	v_lshlrev_b32_e32 v1, 20, v1
	v_lshl_add_u32 v11, v11, 23, 0x3c000000
	v_and_b32_e32 v12, 0x80000000, v12
	v_or3_b32 v106, v1, v12, v11
.LBB366_128:                            ;   in Loop: Header=BB366_10 Depth=1
	s_or_b32 exec_lo, exec_lo, s41
.LBB366_129:                            ;   in Loop: Header=BB366_10 Depth=1
	s_or_b32 exec_lo, exec_lo, s40
.LBB366_130:                            ;   in Loop: Header=BB366_10 Depth=1
	s_or_b32 exec_lo, exec_lo, s4
	s_mov_b32 s4, exec_lo
	v_cmpx_lt_u32_e32 0xffffff, v0
	s_cbranch_execz .LBB366_138
; %bb.131:                              ;   in Loop: Header=BB366_10 Depth=1
	v_cmp_ne_u32_sdwa s3, v0, v85 src0_sel:BYTE_3 src1_sel:DWORD
	v_bfrev_b32_e32 v105, 1
	s_and_saveexec_b32 s40, s3
	s_cbranch_execz .LBB366_137
; %bb.132:                              ;   in Loop: Header=BB366_10 Depth=1
	v_bfe_u32 v12, v0, 24, 7
	v_mov_b32_e32 v105, 0x7f800001
	s_mov_b32 s41, exec_lo
	v_cmpx_ne_u32_e32 0x7f, v12
	s_cbranch_execz .LBB366_136
; %bb.133:                              ;   in Loop: Header=BB366_10 Depth=1
	v_and_b32_sdwa v1, v0, v88 dst_sel:DWORD dst_unused:UNUSED_PAD src0_sel:BYTE_3 src1_sel:DWORD
	v_lshrrev_b32_e32 v11, 3, v12
	s_mov_b32 s42, exec_lo
	v_cmpx_gt_u32_e32 8, v12
; %bb.134:                              ;   in Loop: Header=BB366_10 Depth=1
	v_ffbh_u32_e32 v11, v1
	v_min_u32_e32 v11, 32, v11
	v_subrev_nc_u32_e32 v12, 28, v11
	v_sub_nc_u32_e32 v11, 29, v11
	v_lshlrev_b64 v[12:13], v12, v[1:2]
	v_and_b32_e32 v1, 7, v12
; %bb.135:                              ;   in Loop: Header=BB366_10 Depth=1
	s_or_b32 exec_lo, exec_lo, s42
	v_lshlrev_b32_sdwa v0, v89, v0 dst_sel:DWORD dst_unused:UNUSED_PAD src0_sel:DWORD src1_sel:BYTE_3
	v_lshlrev_b32_e32 v1, 20, v1
	v_lshl_add_u32 v11, v11, 23, 0x3c000000
	v_and_b32_e32 v0, 0x80000000, v0
	v_or3_b32 v105, v1, v0, v11
.LBB366_136:                            ;   in Loop: Header=BB366_10 Depth=1
	s_or_b32 exec_lo, exec_lo, s41
.LBB366_137:                            ;   in Loop: Header=BB366_10 Depth=1
	s_or_b32 exec_lo, exec_lo, s40
.LBB366_138:                            ;   in Loop: Header=BB366_10 Depth=1
	s_or_b32 exec_lo, exec_lo, s4
	global_load_dword v0, v[7:8], off offset:512
	v_mov_b32_e32 v108, 0
	v_mov_b32_e32 v107, 0
	s_waitcnt vmcnt(0)
	v_cmp_ne_u16_sdwa s3, v0, v2 src0_sel:BYTE_0 src1_sel:DWORD
	s_and_saveexec_b32 s4, s3
	s_cbranch_execz .LBB366_146
; %bb.139:                              ;   in Loop: Header=BB366_10 Depth=1
	v_cmp_ne_u16_sdwa s3, v0, v85 src0_sel:BYTE_0 src1_sel:DWORD
	v_bfrev_b32_e32 v107, 1
	s_and_saveexec_b32 s40, s3
	s_cbranch_execz .LBB366_145
; %bb.140:                              ;   in Loop: Header=BB366_10 Depth=1
	v_and_b32_e32 v12, 0x7f, v0
	v_mov_b32_e32 v107, 0x7f800001
	s_mov_b32 s41, exec_lo
	v_cmpx_ne_u32_e32 0x7f, v12
	s_cbranch_execz .LBB366_144
; %bb.141:                              ;   in Loop: Header=BB366_10 Depth=1
	v_and_b32_e32 v1, 7, v0
	v_lshrrev_b32_e32 v11, 3, v12
	s_mov_b32 s42, exec_lo
	v_cmpx_gt_u32_e32 8, v12
; %bb.142:                              ;   in Loop: Header=BB366_10 Depth=1
	v_ffbh_u32_e32 v11, v1
	v_min_u32_e32 v11, 32, v11
	v_subrev_nc_u32_e32 v12, 28, v11
	v_sub_nc_u32_e32 v11, 29, v11
	v_lshlrev_b64 v[12:13], v12, v[1:2]
	v_and_b32_e32 v1, 7, v12
; %bb.143:                              ;   in Loop: Header=BB366_10 Depth=1
	s_or_b32 exec_lo, exec_lo, s42
	v_lshlrev_b32_e32 v12, 24, v0
	v_lshlrev_b32_e32 v1, 20, v1
	v_lshl_add_u32 v11, v11, 23, 0x3c000000
	v_and_b32_e32 v12, 0x80000000, v12
	v_or3_b32 v107, v1, v12, v11
.LBB366_144:                            ;   in Loop: Header=BB366_10 Depth=1
	s_or_b32 exec_lo, exec_lo, s41
.LBB366_145:                            ;   in Loop: Header=BB366_10 Depth=1
	s_or_b32 exec_lo, exec_lo, s40
.LBB366_146:                            ;   in Loop: Header=BB366_10 Depth=1
	s_or_b32 exec_lo, exec_lo, s4
	v_cmp_ne_u16_sdwa s3, v0, v2 src0_sel:BYTE_1 src1_sel:DWORD
	s_and_saveexec_b32 s4, s3
	s_cbranch_execz .LBB366_154
; %bb.147:                              ;   in Loop: Header=BB366_10 Depth=1
	v_cmp_ne_u16_sdwa s3, v0, v85 src0_sel:BYTE_1 src1_sel:DWORD
	v_bfrev_b32_e32 v108, 1
	s_and_saveexec_b32 s40, s3
	s_cbranch_execz .LBB366_153
; %bb.148:                              ;   in Loop: Header=BB366_10 Depth=1
	v_and_b32_sdwa v1, v86, v0 dst_sel:DWORD dst_unused:UNUSED_PAD src0_sel:DWORD src1_sel:BYTE_1
	v_mov_b32_e32 v108, 0x7f800001
	s_mov_b32 s41, exec_lo
	v_and_b32_e32 v12, 0x7f, v1
	v_cmpx_ne_u32_e32 0x7f, v12
	s_cbranch_execz .LBB366_152
; %bb.149:                              ;   in Loop: Header=BB366_10 Depth=1
	v_and_b32_e32 v1, 7, v1
	v_lshrrev_b32_e32 v11, 3, v12
	s_mov_b32 s42, exec_lo
	v_cmpx_gt_u32_e32 8, v12
; %bb.150:                              ;   in Loop: Header=BB366_10 Depth=1
	v_ffbh_u32_e32 v11, v1
	v_min_u32_e32 v11, 32, v11
	v_subrev_nc_u32_e32 v12, 28, v11
	v_sub_nc_u32_e32 v11, 29, v11
	v_lshlrev_b64 v[12:13], v12, v[1:2]
	v_and_b32_e32 v1, 7, v12
; %bb.151:                              ;   in Loop: Header=BB366_10 Depth=1
	s_or_b32 exec_lo, exec_lo, s42
	v_lshlrev_b32_e32 v12, 16, v0
	v_lshlrev_b32_e32 v1, 20, v1
	v_lshl_add_u32 v11, v11, 23, 0x3c000000
	v_and_b32_e32 v12, 0x80000000, v12
	v_or3_b32 v108, v1, v12, v11
.LBB366_152:                            ;   in Loop: Header=BB366_10 Depth=1
	s_or_b32 exec_lo, exec_lo, s41
.LBB366_153:                            ;   in Loop: Header=BB366_10 Depth=1
	s_or_b32 exec_lo, exec_lo, s40
.LBB366_154:                            ;   in Loop: Header=BB366_10 Depth=1
	s_or_b32 exec_lo, exec_lo, s4
	v_and_b32_sdwa v1, v0, v87 dst_sel:DWORD dst_unused:UNUSED_PAD src0_sel:WORD_1 src1_sel:DWORD
	v_mov_b32_e32 v109, 0
	v_mov_b32_e32 v110, 0
	s_mov_b32 s4, exec_lo
	v_cmpx_ne_u16_e32 0, v1
	s_cbranch_execz .LBB366_162
; %bb.155:                              ;   in Loop: Header=BB366_10 Depth=1
	v_bfrev_b32_e32 v110, 1
	s_mov_b32 s40, exec_lo
	v_cmpx_ne_u16_e32 0x80, v1
	s_cbranch_execz .LBB366_161
; %bb.156:                              ;   in Loop: Header=BB366_10 Depth=1
	v_bfe_u32 v12, v0, 16, 7
	v_mov_b32_e32 v110, 0x7f800001
	s_mov_b32 s41, exec_lo
	v_cmpx_ne_u32_e32 0x7f, v12
	s_cbranch_execz .LBB366_160
; %bb.157:                              ;   in Loop: Header=BB366_10 Depth=1
	v_and_b32_sdwa v1, v0, v88 dst_sel:DWORD dst_unused:UNUSED_PAD src0_sel:WORD_1 src1_sel:DWORD
	v_lshrrev_b32_e32 v11, 3, v12
	s_mov_b32 s42, exec_lo
	v_cmpx_gt_u32_e32 8, v12
; %bb.158:                              ;   in Loop: Header=BB366_10 Depth=1
	v_ffbh_u32_e32 v11, v1
	v_min_u32_e32 v11, 32, v11
	v_subrev_nc_u32_e32 v12, 28, v11
	v_sub_nc_u32_e32 v11, 29, v11
	v_lshlrev_b64 v[12:13], v12, v[1:2]
	v_and_b32_e32 v1, 7, v12
; %bb.159:                              ;   in Loop: Header=BB366_10 Depth=1
	s_or_b32 exec_lo, exec_lo, s42
	v_lshlrev_b32_sdwa v12, v89, v0 dst_sel:DWORD dst_unused:UNUSED_PAD src0_sel:DWORD src1_sel:WORD_1
	v_lshlrev_b32_e32 v1, 20, v1
	v_lshl_add_u32 v11, v11, 23, 0x3c000000
	v_and_b32_e32 v12, 0x80000000, v12
	v_or3_b32 v110, v1, v12, v11
.LBB366_160:                            ;   in Loop: Header=BB366_10 Depth=1
	s_or_b32 exec_lo, exec_lo, s41
.LBB366_161:                            ;   in Loop: Header=BB366_10 Depth=1
	s_or_b32 exec_lo, exec_lo, s40
.LBB366_162:                            ;   in Loop: Header=BB366_10 Depth=1
	s_or_b32 exec_lo, exec_lo, s4
	s_mov_b32 s4, exec_lo
	v_cmpx_lt_u32_e32 0xffffff, v0
	s_cbranch_execz .LBB366_170
; %bb.163:                              ;   in Loop: Header=BB366_10 Depth=1
	v_cmp_ne_u32_sdwa s3, v0, v85 src0_sel:BYTE_3 src1_sel:DWORD
	v_bfrev_b32_e32 v109, 1
	s_and_saveexec_b32 s40, s3
	s_cbranch_execz .LBB366_169
; %bb.164:                              ;   in Loop: Header=BB366_10 Depth=1
	v_bfe_u32 v12, v0, 24, 7
	v_mov_b32_e32 v109, 0x7f800001
	s_mov_b32 s41, exec_lo
	v_cmpx_ne_u32_e32 0x7f, v12
	s_cbranch_execz .LBB366_168
; %bb.165:                              ;   in Loop: Header=BB366_10 Depth=1
	v_and_b32_sdwa v1, v0, v88 dst_sel:DWORD dst_unused:UNUSED_PAD src0_sel:BYTE_3 src1_sel:DWORD
	v_lshrrev_b32_e32 v11, 3, v12
	s_mov_b32 s42, exec_lo
	v_cmpx_gt_u32_e32 8, v12
; %bb.166:                              ;   in Loop: Header=BB366_10 Depth=1
	v_ffbh_u32_e32 v11, v1
	v_min_u32_e32 v11, 32, v11
	v_subrev_nc_u32_e32 v12, 28, v11
	v_sub_nc_u32_e32 v11, 29, v11
	v_lshlrev_b64 v[12:13], v12, v[1:2]
	v_and_b32_e32 v1, 7, v12
; %bb.167:                              ;   in Loop: Header=BB366_10 Depth=1
	s_or_b32 exec_lo, exec_lo, s42
	v_lshlrev_b32_sdwa v0, v89, v0 dst_sel:DWORD dst_unused:UNUSED_PAD src0_sel:DWORD src1_sel:BYTE_3
	v_lshlrev_b32_e32 v1, 20, v1
	v_lshl_add_u32 v11, v11, 23, 0x3c000000
	v_and_b32_e32 v0, 0x80000000, v0
	v_or3_b32 v109, v1, v0, v11
.LBB366_168:                            ;   in Loop: Header=BB366_10 Depth=1
	s_or_b32 exec_lo, exec_lo, s41
.LBB366_169:                            ;   in Loop: Header=BB366_10 Depth=1
	s_or_b32 exec_lo, exec_lo, s40
.LBB366_170:                            ;   in Loop: Header=BB366_10 Depth=1
	s_or_b32 exec_lo, exec_lo, s4
	global_load_dword v0, v[7:8], off offset:520
	v_mov_b32_e32 v112, 0
	v_mov_b32_e32 v111, 0
	s_waitcnt vmcnt(0)
	v_cmp_ne_u16_sdwa s3, v0, v2 src0_sel:BYTE_0 src1_sel:DWORD
	s_and_saveexec_b32 s4, s3
	s_cbranch_execz .LBB366_178
; %bb.171:                              ;   in Loop: Header=BB366_10 Depth=1
	v_cmp_ne_u16_sdwa s3, v0, v85 src0_sel:BYTE_0 src1_sel:DWORD
	v_bfrev_b32_e32 v111, 1
	s_and_saveexec_b32 s40, s3
	s_cbranch_execz .LBB366_177
; %bb.172:                              ;   in Loop: Header=BB366_10 Depth=1
	v_and_b32_e32 v12, 0x7f, v0
	v_mov_b32_e32 v111, 0x7f800001
	s_mov_b32 s41, exec_lo
	v_cmpx_ne_u32_e32 0x7f, v12
	s_cbranch_execz .LBB366_176
; %bb.173:                              ;   in Loop: Header=BB366_10 Depth=1
	v_and_b32_e32 v1, 7, v0
	v_lshrrev_b32_e32 v11, 3, v12
	s_mov_b32 s42, exec_lo
	v_cmpx_gt_u32_e32 8, v12
; %bb.174:                              ;   in Loop: Header=BB366_10 Depth=1
	v_ffbh_u32_e32 v11, v1
	v_min_u32_e32 v11, 32, v11
	v_subrev_nc_u32_e32 v12, 28, v11
	v_sub_nc_u32_e32 v11, 29, v11
	v_lshlrev_b64 v[12:13], v12, v[1:2]
	v_and_b32_e32 v1, 7, v12
; %bb.175:                              ;   in Loop: Header=BB366_10 Depth=1
	s_or_b32 exec_lo, exec_lo, s42
	v_lshlrev_b32_e32 v12, 24, v0
	v_lshlrev_b32_e32 v1, 20, v1
	v_lshl_add_u32 v11, v11, 23, 0x3c000000
	v_and_b32_e32 v12, 0x80000000, v12
	v_or3_b32 v111, v1, v12, v11
.LBB366_176:                            ;   in Loop: Header=BB366_10 Depth=1
	s_or_b32 exec_lo, exec_lo, s41
.LBB366_177:                            ;   in Loop: Header=BB366_10 Depth=1
	s_or_b32 exec_lo, exec_lo, s40
.LBB366_178:                            ;   in Loop: Header=BB366_10 Depth=1
	s_or_b32 exec_lo, exec_lo, s4
	v_cmp_ne_u16_sdwa s3, v0, v2 src0_sel:BYTE_1 src1_sel:DWORD
	s_and_saveexec_b32 s4, s3
	s_cbranch_execz .LBB366_186
; %bb.179:                              ;   in Loop: Header=BB366_10 Depth=1
	v_cmp_ne_u16_sdwa s3, v0, v85 src0_sel:BYTE_1 src1_sel:DWORD
	v_bfrev_b32_e32 v112, 1
	s_and_saveexec_b32 s40, s3
	s_cbranch_execz .LBB366_185
; %bb.180:                              ;   in Loop: Header=BB366_10 Depth=1
	v_and_b32_sdwa v1, v86, v0 dst_sel:DWORD dst_unused:UNUSED_PAD src0_sel:DWORD src1_sel:BYTE_1
	v_mov_b32_e32 v112, 0x7f800001
	s_mov_b32 s41, exec_lo
	v_and_b32_e32 v12, 0x7f, v1
	v_cmpx_ne_u32_e32 0x7f, v12
	s_cbranch_execz .LBB366_184
; %bb.181:                              ;   in Loop: Header=BB366_10 Depth=1
	v_and_b32_e32 v1, 7, v1
	v_lshrrev_b32_e32 v11, 3, v12
	s_mov_b32 s42, exec_lo
	v_cmpx_gt_u32_e32 8, v12
; %bb.182:                              ;   in Loop: Header=BB366_10 Depth=1
	v_ffbh_u32_e32 v11, v1
	v_min_u32_e32 v11, 32, v11
	v_subrev_nc_u32_e32 v12, 28, v11
	v_sub_nc_u32_e32 v11, 29, v11
	v_lshlrev_b64 v[12:13], v12, v[1:2]
	v_and_b32_e32 v1, 7, v12
; %bb.183:                              ;   in Loop: Header=BB366_10 Depth=1
	s_or_b32 exec_lo, exec_lo, s42
	v_lshlrev_b32_e32 v12, 16, v0
	v_lshlrev_b32_e32 v1, 20, v1
	v_lshl_add_u32 v11, v11, 23, 0x3c000000
	v_and_b32_e32 v12, 0x80000000, v12
	v_or3_b32 v112, v1, v12, v11
.LBB366_184:                            ;   in Loop: Header=BB366_10 Depth=1
	s_or_b32 exec_lo, exec_lo, s41
.LBB366_185:                            ;   in Loop: Header=BB366_10 Depth=1
	s_or_b32 exec_lo, exec_lo, s40
.LBB366_186:                            ;   in Loop: Header=BB366_10 Depth=1
	s_or_b32 exec_lo, exec_lo, s4
	v_and_b32_sdwa v1, v0, v87 dst_sel:DWORD dst_unused:UNUSED_PAD src0_sel:WORD_1 src1_sel:DWORD
	v_mov_b32_e32 v113, 0
	v_mov_b32_e32 v114, 0
	s_mov_b32 s4, exec_lo
	v_cmpx_ne_u16_e32 0, v1
	s_cbranch_execz .LBB366_194
; %bb.187:                              ;   in Loop: Header=BB366_10 Depth=1
	v_bfrev_b32_e32 v114, 1
	s_mov_b32 s40, exec_lo
	v_cmpx_ne_u16_e32 0x80, v1
	s_cbranch_execz .LBB366_193
; %bb.188:                              ;   in Loop: Header=BB366_10 Depth=1
	v_bfe_u32 v12, v0, 16, 7
	v_mov_b32_e32 v114, 0x7f800001
	s_mov_b32 s41, exec_lo
	v_cmpx_ne_u32_e32 0x7f, v12
	s_cbranch_execz .LBB366_192
; %bb.189:                              ;   in Loop: Header=BB366_10 Depth=1
	v_and_b32_sdwa v1, v0, v88 dst_sel:DWORD dst_unused:UNUSED_PAD src0_sel:WORD_1 src1_sel:DWORD
	v_lshrrev_b32_e32 v11, 3, v12
	s_mov_b32 s42, exec_lo
	v_cmpx_gt_u32_e32 8, v12
; %bb.190:                              ;   in Loop: Header=BB366_10 Depth=1
	v_ffbh_u32_e32 v11, v1
	v_min_u32_e32 v11, 32, v11
	v_subrev_nc_u32_e32 v12, 28, v11
	v_sub_nc_u32_e32 v11, 29, v11
	v_lshlrev_b64 v[12:13], v12, v[1:2]
	v_and_b32_e32 v1, 7, v12
; %bb.191:                              ;   in Loop: Header=BB366_10 Depth=1
	s_or_b32 exec_lo, exec_lo, s42
	v_lshlrev_b32_sdwa v12, v89, v0 dst_sel:DWORD dst_unused:UNUSED_PAD src0_sel:DWORD src1_sel:WORD_1
	v_lshlrev_b32_e32 v1, 20, v1
	v_lshl_add_u32 v11, v11, 23, 0x3c000000
	v_and_b32_e32 v12, 0x80000000, v12
	v_or3_b32 v114, v1, v12, v11
.LBB366_192:                            ;   in Loop: Header=BB366_10 Depth=1
	s_or_b32 exec_lo, exec_lo, s41
.LBB366_193:                            ;   in Loop: Header=BB366_10 Depth=1
	s_or_b32 exec_lo, exec_lo, s40
.LBB366_194:                            ;   in Loop: Header=BB366_10 Depth=1
	s_or_b32 exec_lo, exec_lo, s4
	s_mov_b32 s4, exec_lo
	v_cmpx_lt_u32_e32 0xffffff, v0
	s_cbranch_execz .LBB366_202
; %bb.195:                              ;   in Loop: Header=BB366_10 Depth=1
	v_cmp_ne_u32_sdwa s3, v0, v85 src0_sel:BYTE_3 src1_sel:DWORD
	v_bfrev_b32_e32 v113, 1
	s_and_saveexec_b32 s40, s3
	s_cbranch_execz .LBB366_201
; %bb.196:                              ;   in Loop: Header=BB366_10 Depth=1
	v_bfe_u32 v12, v0, 24, 7
	v_mov_b32_e32 v113, 0x7f800001
	s_mov_b32 s41, exec_lo
	v_cmpx_ne_u32_e32 0x7f, v12
	s_cbranch_execz .LBB366_200
; %bb.197:                              ;   in Loop: Header=BB366_10 Depth=1
	v_and_b32_sdwa v1, v0, v88 dst_sel:DWORD dst_unused:UNUSED_PAD src0_sel:BYTE_3 src1_sel:DWORD
	v_lshrrev_b32_e32 v11, 3, v12
	s_mov_b32 s42, exec_lo
	v_cmpx_gt_u32_e32 8, v12
; %bb.198:                              ;   in Loop: Header=BB366_10 Depth=1
	v_ffbh_u32_e32 v11, v1
	v_min_u32_e32 v11, 32, v11
	v_subrev_nc_u32_e32 v12, 28, v11
	v_sub_nc_u32_e32 v11, 29, v11
	v_lshlrev_b64 v[12:13], v12, v[1:2]
	v_and_b32_e32 v1, 7, v12
; %bb.199:                              ;   in Loop: Header=BB366_10 Depth=1
	s_or_b32 exec_lo, exec_lo, s42
	v_lshlrev_b32_sdwa v0, v89, v0 dst_sel:DWORD dst_unused:UNUSED_PAD src0_sel:DWORD src1_sel:BYTE_3
	v_lshlrev_b32_e32 v1, 20, v1
	v_lshl_add_u32 v11, v11, 23, 0x3c000000
	v_and_b32_e32 v0, 0x80000000, v0
	v_or3_b32 v113, v1, v0, v11
.LBB366_200:                            ;   in Loop: Header=BB366_10 Depth=1
	s_or_b32 exec_lo, exec_lo, s41
.LBB366_201:                            ;   in Loop: Header=BB366_10 Depth=1
	s_or_b32 exec_lo, exec_lo, s40
.LBB366_202:                            ;   in Loop: Header=BB366_10 Depth=1
	s_or_b32 exec_lo, exec_lo, s4
	global_load_dword v0, v[7:8], off offset:768
	v_mov_b32_e32 v116, 0
	v_mov_b32_e32 v115, 0
	s_waitcnt vmcnt(0)
	v_cmp_ne_u16_sdwa s3, v0, v2 src0_sel:BYTE_0 src1_sel:DWORD
	s_and_saveexec_b32 s4, s3
	s_cbranch_execz .LBB366_210
; %bb.203:                              ;   in Loop: Header=BB366_10 Depth=1
	v_cmp_ne_u16_sdwa s3, v0, v85 src0_sel:BYTE_0 src1_sel:DWORD
	v_bfrev_b32_e32 v115, 1
	s_and_saveexec_b32 s40, s3
	s_cbranch_execz .LBB366_209
; %bb.204:                              ;   in Loop: Header=BB366_10 Depth=1
	v_and_b32_e32 v12, 0x7f, v0
	v_mov_b32_e32 v115, 0x7f800001
	s_mov_b32 s41, exec_lo
	v_cmpx_ne_u32_e32 0x7f, v12
	s_cbranch_execz .LBB366_208
; %bb.205:                              ;   in Loop: Header=BB366_10 Depth=1
	v_and_b32_e32 v1, 7, v0
	v_lshrrev_b32_e32 v11, 3, v12
	s_mov_b32 s42, exec_lo
	v_cmpx_gt_u32_e32 8, v12
; %bb.206:                              ;   in Loop: Header=BB366_10 Depth=1
	v_ffbh_u32_e32 v11, v1
	v_min_u32_e32 v11, 32, v11
	v_subrev_nc_u32_e32 v12, 28, v11
	v_sub_nc_u32_e32 v11, 29, v11
	v_lshlrev_b64 v[12:13], v12, v[1:2]
	v_and_b32_e32 v1, 7, v12
; %bb.207:                              ;   in Loop: Header=BB366_10 Depth=1
	s_or_b32 exec_lo, exec_lo, s42
	v_lshlrev_b32_e32 v12, 24, v0
	v_lshlrev_b32_e32 v1, 20, v1
	v_lshl_add_u32 v11, v11, 23, 0x3c000000
	v_and_b32_e32 v12, 0x80000000, v12
	v_or3_b32 v115, v1, v12, v11
.LBB366_208:                            ;   in Loop: Header=BB366_10 Depth=1
	s_or_b32 exec_lo, exec_lo, s41
.LBB366_209:                            ;   in Loop: Header=BB366_10 Depth=1
	s_or_b32 exec_lo, exec_lo, s40
.LBB366_210:                            ;   in Loop: Header=BB366_10 Depth=1
	s_or_b32 exec_lo, exec_lo, s4
	v_cmp_ne_u16_sdwa s3, v0, v2 src0_sel:BYTE_1 src1_sel:DWORD
	s_and_saveexec_b32 s4, s3
	s_cbranch_execz .LBB366_218
; %bb.211:                              ;   in Loop: Header=BB366_10 Depth=1
	v_cmp_ne_u16_sdwa s3, v0, v85 src0_sel:BYTE_1 src1_sel:DWORD
	v_bfrev_b32_e32 v116, 1
	s_and_saveexec_b32 s40, s3
	s_cbranch_execz .LBB366_217
; %bb.212:                              ;   in Loop: Header=BB366_10 Depth=1
	v_and_b32_sdwa v1, v86, v0 dst_sel:DWORD dst_unused:UNUSED_PAD src0_sel:DWORD src1_sel:BYTE_1
	v_mov_b32_e32 v116, 0x7f800001
	s_mov_b32 s41, exec_lo
	v_and_b32_e32 v12, 0x7f, v1
	v_cmpx_ne_u32_e32 0x7f, v12
	s_cbranch_execz .LBB366_216
; %bb.213:                              ;   in Loop: Header=BB366_10 Depth=1
	v_and_b32_e32 v1, 7, v1
	v_lshrrev_b32_e32 v11, 3, v12
	s_mov_b32 s42, exec_lo
	v_cmpx_gt_u32_e32 8, v12
; %bb.214:                              ;   in Loop: Header=BB366_10 Depth=1
	v_ffbh_u32_e32 v11, v1
	v_min_u32_e32 v11, 32, v11
	v_subrev_nc_u32_e32 v12, 28, v11
	v_sub_nc_u32_e32 v11, 29, v11
	v_lshlrev_b64 v[12:13], v12, v[1:2]
	v_and_b32_e32 v1, 7, v12
; %bb.215:                              ;   in Loop: Header=BB366_10 Depth=1
	s_or_b32 exec_lo, exec_lo, s42
	v_lshlrev_b32_e32 v12, 16, v0
	v_lshlrev_b32_e32 v1, 20, v1
	v_lshl_add_u32 v11, v11, 23, 0x3c000000
	v_and_b32_e32 v12, 0x80000000, v12
	v_or3_b32 v116, v1, v12, v11
.LBB366_216:                            ;   in Loop: Header=BB366_10 Depth=1
	s_or_b32 exec_lo, exec_lo, s41
.LBB366_217:                            ;   in Loop: Header=BB366_10 Depth=1
	s_or_b32 exec_lo, exec_lo, s40
.LBB366_218:                            ;   in Loop: Header=BB366_10 Depth=1
	s_or_b32 exec_lo, exec_lo, s4
	v_and_b32_sdwa v1, v0, v87 dst_sel:DWORD dst_unused:UNUSED_PAD src0_sel:WORD_1 src1_sel:DWORD
	v_mov_b32_e32 v117, 0
	v_mov_b32_e32 v118, 0
	s_mov_b32 s4, exec_lo
	v_cmpx_ne_u16_e32 0, v1
	s_cbranch_execz .LBB366_226
; %bb.219:                              ;   in Loop: Header=BB366_10 Depth=1
	v_bfrev_b32_e32 v118, 1
	s_mov_b32 s40, exec_lo
	v_cmpx_ne_u16_e32 0x80, v1
	s_cbranch_execz .LBB366_225
; %bb.220:                              ;   in Loop: Header=BB366_10 Depth=1
	v_bfe_u32 v12, v0, 16, 7
	v_mov_b32_e32 v118, 0x7f800001
	s_mov_b32 s41, exec_lo
	v_cmpx_ne_u32_e32 0x7f, v12
	s_cbranch_execz .LBB366_224
; %bb.221:                              ;   in Loop: Header=BB366_10 Depth=1
	v_and_b32_sdwa v1, v0, v88 dst_sel:DWORD dst_unused:UNUSED_PAD src0_sel:WORD_1 src1_sel:DWORD
	v_lshrrev_b32_e32 v11, 3, v12
	s_mov_b32 s42, exec_lo
	v_cmpx_gt_u32_e32 8, v12
; %bb.222:                              ;   in Loop: Header=BB366_10 Depth=1
	v_ffbh_u32_e32 v11, v1
	v_min_u32_e32 v11, 32, v11
	v_subrev_nc_u32_e32 v12, 28, v11
	v_sub_nc_u32_e32 v11, 29, v11
	v_lshlrev_b64 v[12:13], v12, v[1:2]
	v_and_b32_e32 v1, 7, v12
; %bb.223:                              ;   in Loop: Header=BB366_10 Depth=1
	s_or_b32 exec_lo, exec_lo, s42
	v_lshlrev_b32_sdwa v12, v89, v0 dst_sel:DWORD dst_unused:UNUSED_PAD src0_sel:DWORD src1_sel:WORD_1
	v_lshlrev_b32_e32 v1, 20, v1
	v_lshl_add_u32 v11, v11, 23, 0x3c000000
	v_and_b32_e32 v12, 0x80000000, v12
	v_or3_b32 v118, v1, v12, v11
.LBB366_224:                            ;   in Loop: Header=BB366_10 Depth=1
	s_or_b32 exec_lo, exec_lo, s41
.LBB366_225:                            ;   in Loop: Header=BB366_10 Depth=1
	s_or_b32 exec_lo, exec_lo, s40
.LBB366_226:                            ;   in Loop: Header=BB366_10 Depth=1
	s_or_b32 exec_lo, exec_lo, s4
	s_mov_b32 s4, exec_lo
	v_cmpx_lt_u32_e32 0xffffff, v0
	s_cbranch_execz .LBB366_234
; %bb.227:                              ;   in Loop: Header=BB366_10 Depth=1
	v_cmp_ne_u32_sdwa s3, v0, v85 src0_sel:BYTE_3 src1_sel:DWORD
	v_bfrev_b32_e32 v117, 1
	s_and_saveexec_b32 s40, s3
	s_cbranch_execz .LBB366_233
; %bb.228:                              ;   in Loop: Header=BB366_10 Depth=1
	v_bfe_u32 v12, v0, 24, 7
	v_mov_b32_e32 v117, 0x7f800001
	s_mov_b32 s41, exec_lo
	v_cmpx_ne_u32_e32 0x7f, v12
	s_cbranch_execz .LBB366_232
; %bb.229:                              ;   in Loop: Header=BB366_10 Depth=1
	v_and_b32_sdwa v1, v0, v88 dst_sel:DWORD dst_unused:UNUSED_PAD src0_sel:BYTE_3 src1_sel:DWORD
	v_lshrrev_b32_e32 v11, 3, v12
	s_mov_b32 s42, exec_lo
	v_cmpx_gt_u32_e32 8, v12
; %bb.230:                              ;   in Loop: Header=BB366_10 Depth=1
	v_ffbh_u32_e32 v11, v1
	v_min_u32_e32 v11, 32, v11
	v_subrev_nc_u32_e32 v12, 28, v11
	v_sub_nc_u32_e32 v11, 29, v11
	v_lshlrev_b64 v[12:13], v12, v[1:2]
	v_and_b32_e32 v1, 7, v12
; %bb.231:                              ;   in Loop: Header=BB366_10 Depth=1
	s_or_b32 exec_lo, exec_lo, s42
	v_lshlrev_b32_sdwa v0, v89, v0 dst_sel:DWORD dst_unused:UNUSED_PAD src0_sel:DWORD src1_sel:BYTE_3
	v_lshlrev_b32_e32 v1, 20, v1
	v_lshl_add_u32 v11, v11, 23, 0x3c000000
	v_and_b32_e32 v0, 0x80000000, v0
	v_or3_b32 v117, v1, v0, v11
.LBB366_232:                            ;   in Loop: Header=BB366_10 Depth=1
	s_or_b32 exec_lo, exec_lo, s41
.LBB366_233:                            ;   in Loop: Header=BB366_10 Depth=1
	s_or_b32 exec_lo, exec_lo, s40
.LBB366_234:                            ;   in Loop: Header=BB366_10 Depth=1
	s_or_b32 exec_lo, exec_lo, s4
	global_load_dword v0, v[7:8], off offset:776
	v_mov_b32_e32 v120, 0
	v_mov_b32_e32 v119, 0
	s_waitcnt vmcnt(0)
	v_cmp_ne_u16_sdwa s3, v0, v2 src0_sel:BYTE_0 src1_sel:DWORD
	s_and_saveexec_b32 s4, s3
	s_cbranch_execz .LBB366_242
; %bb.235:                              ;   in Loop: Header=BB366_10 Depth=1
	v_cmp_ne_u16_sdwa s3, v0, v85 src0_sel:BYTE_0 src1_sel:DWORD
	v_bfrev_b32_e32 v119, 1
	s_and_saveexec_b32 s40, s3
	s_cbranch_execz .LBB366_241
; %bb.236:                              ;   in Loop: Header=BB366_10 Depth=1
	v_and_b32_e32 v12, 0x7f, v0
	v_mov_b32_e32 v119, 0x7f800001
	s_mov_b32 s41, exec_lo
	v_cmpx_ne_u32_e32 0x7f, v12
	s_cbranch_execz .LBB366_240
; %bb.237:                              ;   in Loop: Header=BB366_10 Depth=1
	v_and_b32_e32 v1, 7, v0
	v_lshrrev_b32_e32 v11, 3, v12
	s_mov_b32 s42, exec_lo
	v_cmpx_gt_u32_e32 8, v12
; %bb.238:                              ;   in Loop: Header=BB366_10 Depth=1
	v_ffbh_u32_e32 v11, v1
	v_min_u32_e32 v11, 32, v11
	v_subrev_nc_u32_e32 v12, 28, v11
	v_sub_nc_u32_e32 v11, 29, v11
	v_lshlrev_b64 v[12:13], v12, v[1:2]
	v_and_b32_e32 v1, 7, v12
; %bb.239:                              ;   in Loop: Header=BB366_10 Depth=1
	s_or_b32 exec_lo, exec_lo, s42
	v_lshlrev_b32_e32 v12, 24, v0
	v_lshlrev_b32_e32 v1, 20, v1
	v_lshl_add_u32 v11, v11, 23, 0x3c000000
	v_and_b32_e32 v12, 0x80000000, v12
	v_or3_b32 v119, v1, v12, v11
.LBB366_240:                            ;   in Loop: Header=BB366_10 Depth=1
	s_or_b32 exec_lo, exec_lo, s41
.LBB366_241:                            ;   in Loop: Header=BB366_10 Depth=1
	s_or_b32 exec_lo, exec_lo, s40
.LBB366_242:                            ;   in Loop: Header=BB366_10 Depth=1
	s_or_b32 exec_lo, exec_lo, s4
	v_cmp_ne_u16_sdwa s3, v0, v2 src0_sel:BYTE_1 src1_sel:DWORD
	s_and_saveexec_b32 s4, s3
	s_cbranch_execz .LBB366_250
; %bb.243:                              ;   in Loop: Header=BB366_10 Depth=1
	v_cmp_ne_u16_sdwa s3, v0, v85 src0_sel:BYTE_1 src1_sel:DWORD
	v_bfrev_b32_e32 v120, 1
	s_and_saveexec_b32 s40, s3
	s_cbranch_execz .LBB366_249
; %bb.244:                              ;   in Loop: Header=BB366_10 Depth=1
	v_and_b32_sdwa v1, v86, v0 dst_sel:DWORD dst_unused:UNUSED_PAD src0_sel:DWORD src1_sel:BYTE_1
	v_mov_b32_e32 v120, 0x7f800001
	s_mov_b32 s41, exec_lo
	v_and_b32_e32 v12, 0x7f, v1
	v_cmpx_ne_u32_e32 0x7f, v12
	s_cbranch_execz .LBB366_248
; %bb.245:                              ;   in Loop: Header=BB366_10 Depth=1
	v_and_b32_e32 v1, 7, v1
	v_lshrrev_b32_e32 v11, 3, v12
	s_mov_b32 s42, exec_lo
	v_cmpx_gt_u32_e32 8, v12
; %bb.246:                              ;   in Loop: Header=BB366_10 Depth=1
	v_ffbh_u32_e32 v11, v1
	v_min_u32_e32 v11, 32, v11
	v_subrev_nc_u32_e32 v12, 28, v11
	v_sub_nc_u32_e32 v11, 29, v11
	v_lshlrev_b64 v[12:13], v12, v[1:2]
	v_and_b32_e32 v1, 7, v12
; %bb.247:                              ;   in Loop: Header=BB366_10 Depth=1
	s_or_b32 exec_lo, exec_lo, s42
	v_lshlrev_b32_e32 v12, 16, v0
	v_lshlrev_b32_e32 v1, 20, v1
	v_lshl_add_u32 v11, v11, 23, 0x3c000000
	v_and_b32_e32 v12, 0x80000000, v12
	v_or3_b32 v120, v1, v12, v11
.LBB366_248:                            ;   in Loop: Header=BB366_10 Depth=1
	s_or_b32 exec_lo, exec_lo, s41
.LBB366_249:                            ;   in Loop: Header=BB366_10 Depth=1
	s_or_b32 exec_lo, exec_lo, s40
.LBB366_250:                            ;   in Loop: Header=BB366_10 Depth=1
	s_or_b32 exec_lo, exec_lo, s4
	v_and_b32_sdwa v1, v0, v87 dst_sel:DWORD dst_unused:UNUSED_PAD src0_sel:WORD_1 src1_sel:DWORD
	v_mov_b32_e32 v121, 0
	v_mov_b32_e32 v122, 0
	s_mov_b32 s4, exec_lo
	v_cmpx_ne_u16_e32 0, v1
	s_cbranch_execz .LBB366_258
; %bb.251:                              ;   in Loop: Header=BB366_10 Depth=1
	v_bfrev_b32_e32 v122, 1
	s_mov_b32 s40, exec_lo
	v_cmpx_ne_u16_e32 0x80, v1
	s_cbranch_execz .LBB366_257
; %bb.252:                              ;   in Loop: Header=BB366_10 Depth=1
	v_bfe_u32 v12, v0, 16, 7
	v_mov_b32_e32 v122, 0x7f800001
	s_mov_b32 s41, exec_lo
	v_cmpx_ne_u32_e32 0x7f, v12
	s_cbranch_execz .LBB366_256
; %bb.253:                              ;   in Loop: Header=BB366_10 Depth=1
	v_and_b32_sdwa v1, v0, v88 dst_sel:DWORD dst_unused:UNUSED_PAD src0_sel:WORD_1 src1_sel:DWORD
	v_lshrrev_b32_e32 v11, 3, v12
	s_mov_b32 s42, exec_lo
	v_cmpx_gt_u32_e32 8, v12
; %bb.254:                              ;   in Loop: Header=BB366_10 Depth=1
	v_ffbh_u32_e32 v11, v1
	v_min_u32_e32 v11, 32, v11
	v_subrev_nc_u32_e32 v12, 28, v11
	v_sub_nc_u32_e32 v11, 29, v11
	v_lshlrev_b64 v[12:13], v12, v[1:2]
	v_and_b32_e32 v1, 7, v12
; %bb.255:                              ;   in Loop: Header=BB366_10 Depth=1
	s_or_b32 exec_lo, exec_lo, s42
	v_lshlrev_b32_sdwa v12, v89, v0 dst_sel:DWORD dst_unused:UNUSED_PAD src0_sel:DWORD src1_sel:WORD_1
	v_lshlrev_b32_e32 v1, 20, v1
	v_lshl_add_u32 v11, v11, 23, 0x3c000000
	v_and_b32_e32 v12, 0x80000000, v12
	v_or3_b32 v122, v1, v12, v11
.LBB366_256:                            ;   in Loop: Header=BB366_10 Depth=1
	s_or_b32 exec_lo, exec_lo, s41
.LBB366_257:                            ;   in Loop: Header=BB366_10 Depth=1
	s_or_b32 exec_lo, exec_lo, s40
.LBB366_258:                            ;   in Loop: Header=BB366_10 Depth=1
	s_or_b32 exec_lo, exec_lo, s4
	s_mov_b32 s4, exec_lo
	v_cmpx_lt_u32_e32 0xffffff, v0
	s_cbranch_execz .LBB366_266
; %bb.259:                              ;   in Loop: Header=BB366_10 Depth=1
	v_cmp_ne_u32_sdwa s3, v0, v85 src0_sel:BYTE_3 src1_sel:DWORD
	v_bfrev_b32_e32 v121, 1
	s_and_saveexec_b32 s40, s3
	s_cbranch_execz .LBB366_265
; %bb.260:                              ;   in Loop: Header=BB366_10 Depth=1
	v_bfe_u32 v12, v0, 24, 7
	v_mov_b32_e32 v121, 0x7f800001
	s_mov_b32 s41, exec_lo
	v_cmpx_ne_u32_e32 0x7f, v12
	s_cbranch_execz .LBB366_264
; %bb.261:                              ;   in Loop: Header=BB366_10 Depth=1
	v_and_b32_sdwa v1, v0, v88 dst_sel:DWORD dst_unused:UNUSED_PAD src0_sel:BYTE_3 src1_sel:DWORD
	v_lshrrev_b32_e32 v11, 3, v12
	s_mov_b32 s42, exec_lo
	v_cmpx_gt_u32_e32 8, v12
; %bb.262:                              ;   in Loop: Header=BB366_10 Depth=1
	v_ffbh_u32_e32 v11, v1
	v_min_u32_e32 v11, 32, v11
	v_subrev_nc_u32_e32 v12, 28, v11
	v_sub_nc_u32_e32 v11, 29, v11
	v_lshlrev_b64 v[12:13], v12, v[1:2]
	v_and_b32_e32 v1, 7, v12
; %bb.263:                              ;   in Loop: Header=BB366_10 Depth=1
	s_or_b32 exec_lo, exec_lo, s42
	v_lshlrev_b32_sdwa v0, v89, v0 dst_sel:DWORD dst_unused:UNUSED_PAD src0_sel:DWORD src1_sel:BYTE_3
	v_lshlrev_b32_e32 v1, 20, v1
	v_lshl_add_u32 v11, v11, 23, 0x3c000000
	v_and_b32_e32 v0, 0x80000000, v0
	v_or3_b32 v121, v1, v0, v11
.LBB366_264:                            ;   in Loop: Header=BB366_10 Depth=1
	s_or_b32 exec_lo, exec_lo, s41
.LBB366_265:                            ;   in Loop: Header=BB366_10 Depth=1
	s_or_b32 exec_lo, exec_lo, s40
.LBB366_266:                            ;   in Loop: Header=BB366_10 Depth=1
	s_or_b32 exec_lo, exec_lo, s4
	global_load_dword v0, v[7:8], off offset:1024
	v_mov_b32_e32 v124, 0
	v_mov_b32_e32 v123, 0
	s_waitcnt vmcnt(0)
	v_cmp_ne_u16_sdwa s3, v0, v2 src0_sel:BYTE_0 src1_sel:DWORD
	s_and_saveexec_b32 s4, s3
	s_cbranch_execz .LBB366_274
; %bb.267:                              ;   in Loop: Header=BB366_10 Depth=1
	v_cmp_ne_u16_sdwa s3, v0, v85 src0_sel:BYTE_0 src1_sel:DWORD
	v_bfrev_b32_e32 v123, 1
	s_and_saveexec_b32 s40, s3
	s_cbranch_execz .LBB366_273
; %bb.268:                              ;   in Loop: Header=BB366_10 Depth=1
	v_and_b32_e32 v12, 0x7f, v0
	v_mov_b32_e32 v123, 0x7f800001
	s_mov_b32 s41, exec_lo
	v_cmpx_ne_u32_e32 0x7f, v12
	s_cbranch_execz .LBB366_272
; %bb.269:                              ;   in Loop: Header=BB366_10 Depth=1
	v_and_b32_e32 v1, 7, v0
	v_lshrrev_b32_e32 v11, 3, v12
	s_mov_b32 s42, exec_lo
	v_cmpx_gt_u32_e32 8, v12
; %bb.270:                              ;   in Loop: Header=BB366_10 Depth=1
	v_ffbh_u32_e32 v11, v1
	v_min_u32_e32 v11, 32, v11
	v_subrev_nc_u32_e32 v12, 28, v11
	v_sub_nc_u32_e32 v11, 29, v11
	v_lshlrev_b64 v[12:13], v12, v[1:2]
	v_and_b32_e32 v1, 7, v12
; %bb.271:                              ;   in Loop: Header=BB366_10 Depth=1
	s_or_b32 exec_lo, exec_lo, s42
	v_lshlrev_b32_e32 v12, 24, v0
	v_lshlrev_b32_e32 v1, 20, v1
	v_lshl_add_u32 v11, v11, 23, 0x3c000000
	v_and_b32_e32 v12, 0x80000000, v12
	v_or3_b32 v123, v1, v12, v11
.LBB366_272:                            ;   in Loop: Header=BB366_10 Depth=1
	s_or_b32 exec_lo, exec_lo, s41
.LBB366_273:                            ;   in Loop: Header=BB366_10 Depth=1
	s_or_b32 exec_lo, exec_lo, s40
.LBB366_274:                            ;   in Loop: Header=BB366_10 Depth=1
	s_or_b32 exec_lo, exec_lo, s4
	v_cmp_ne_u16_sdwa s3, v0, v2 src0_sel:BYTE_1 src1_sel:DWORD
	s_and_saveexec_b32 s4, s3
	s_cbranch_execz .LBB366_282
; %bb.275:                              ;   in Loop: Header=BB366_10 Depth=1
	v_cmp_ne_u16_sdwa s3, v0, v85 src0_sel:BYTE_1 src1_sel:DWORD
	v_bfrev_b32_e32 v124, 1
	s_and_saveexec_b32 s40, s3
	s_cbranch_execz .LBB366_281
; %bb.276:                              ;   in Loop: Header=BB366_10 Depth=1
	v_and_b32_sdwa v1, v86, v0 dst_sel:DWORD dst_unused:UNUSED_PAD src0_sel:DWORD src1_sel:BYTE_1
	v_mov_b32_e32 v124, 0x7f800001
	s_mov_b32 s41, exec_lo
	v_and_b32_e32 v12, 0x7f, v1
	v_cmpx_ne_u32_e32 0x7f, v12
	s_cbranch_execz .LBB366_280
; %bb.277:                              ;   in Loop: Header=BB366_10 Depth=1
	v_and_b32_e32 v1, 7, v1
	v_lshrrev_b32_e32 v11, 3, v12
	s_mov_b32 s42, exec_lo
	v_cmpx_gt_u32_e32 8, v12
; %bb.278:                              ;   in Loop: Header=BB366_10 Depth=1
	v_ffbh_u32_e32 v11, v1
	v_min_u32_e32 v11, 32, v11
	v_subrev_nc_u32_e32 v12, 28, v11
	v_sub_nc_u32_e32 v11, 29, v11
	v_lshlrev_b64 v[12:13], v12, v[1:2]
	v_and_b32_e32 v1, 7, v12
; %bb.279:                              ;   in Loop: Header=BB366_10 Depth=1
	s_or_b32 exec_lo, exec_lo, s42
	v_lshlrev_b32_e32 v12, 16, v0
	v_lshlrev_b32_e32 v1, 20, v1
	v_lshl_add_u32 v11, v11, 23, 0x3c000000
	v_and_b32_e32 v12, 0x80000000, v12
	v_or3_b32 v124, v1, v12, v11
.LBB366_280:                            ;   in Loop: Header=BB366_10 Depth=1
	s_or_b32 exec_lo, exec_lo, s41
.LBB366_281:                            ;   in Loop: Header=BB366_10 Depth=1
	s_or_b32 exec_lo, exec_lo, s40
.LBB366_282:                            ;   in Loop: Header=BB366_10 Depth=1
	s_or_b32 exec_lo, exec_lo, s4
	v_and_b32_sdwa v1, v0, v87 dst_sel:DWORD dst_unused:UNUSED_PAD src0_sel:WORD_1 src1_sel:DWORD
	v_mov_b32_e32 v125, 0
	v_mov_b32_e32 v126, 0
	s_mov_b32 s4, exec_lo
	v_cmpx_ne_u16_e32 0, v1
	s_cbranch_execz .LBB366_290
; %bb.283:                              ;   in Loop: Header=BB366_10 Depth=1
	v_bfrev_b32_e32 v126, 1
	s_mov_b32 s40, exec_lo
	v_cmpx_ne_u16_e32 0x80, v1
	s_cbranch_execz .LBB366_289
; %bb.284:                              ;   in Loop: Header=BB366_10 Depth=1
	v_bfe_u32 v12, v0, 16, 7
	v_mov_b32_e32 v126, 0x7f800001
	s_mov_b32 s41, exec_lo
	v_cmpx_ne_u32_e32 0x7f, v12
	s_cbranch_execz .LBB366_288
; %bb.285:                              ;   in Loop: Header=BB366_10 Depth=1
	v_and_b32_sdwa v1, v0, v88 dst_sel:DWORD dst_unused:UNUSED_PAD src0_sel:WORD_1 src1_sel:DWORD
	v_lshrrev_b32_e32 v11, 3, v12
	s_mov_b32 s42, exec_lo
	v_cmpx_gt_u32_e32 8, v12
; %bb.286:                              ;   in Loop: Header=BB366_10 Depth=1
	v_ffbh_u32_e32 v11, v1
	v_min_u32_e32 v11, 32, v11
	v_subrev_nc_u32_e32 v12, 28, v11
	v_sub_nc_u32_e32 v11, 29, v11
	v_lshlrev_b64 v[12:13], v12, v[1:2]
	v_and_b32_e32 v1, 7, v12
; %bb.287:                              ;   in Loop: Header=BB366_10 Depth=1
	s_or_b32 exec_lo, exec_lo, s42
	v_lshlrev_b32_sdwa v12, v89, v0 dst_sel:DWORD dst_unused:UNUSED_PAD src0_sel:DWORD src1_sel:WORD_1
	v_lshlrev_b32_e32 v1, 20, v1
	v_lshl_add_u32 v11, v11, 23, 0x3c000000
	v_and_b32_e32 v12, 0x80000000, v12
	v_or3_b32 v126, v1, v12, v11
.LBB366_288:                            ;   in Loop: Header=BB366_10 Depth=1
	s_or_b32 exec_lo, exec_lo, s41
.LBB366_289:                            ;   in Loop: Header=BB366_10 Depth=1
	s_or_b32 exec_lo, exec_lo, s40
.LBB366_290:                            ;   in Loop: Header=BB366_10 Depth=1
	s_or_b32 exec_lo, exec_lo, s4
	s_mov_b32 s4, exec_lo
	v_cmpx_lt_u32_e32 0xffffff, v0
	s_cbranch_execz .LBB366_298
; %bb.291:                              ;   in Loop: Header=BB366_10 Depth=1
	v_cmp_ne_u32_sdwa s3, v0, v85 src0_sel:BYTE_3 src1_sel:DWORD
	v_bfrev_b32_e32 v125, 1
	s_and_saveexec_b32 s40, s3
	s_cbranch_execz .LBB366_297
; %bb.292:                              ;   in Loop: Header=BB366_10 Depth=1
	v_bfe_u32 v12, v0, 24, 7
	v_mov_b32_e32 v125, 0x7f800001
	s_mov_b32 s41, exec_lo
	v_cmpx_ne_u32_e32 0x7f, v12
	s_cbranch_execz .LBB366_296
; %bb.293:                              ;   in Loop: Header=BB366_10 Depth=1
	v_and_b32_sdwa v1, v0, v88 dst_sel:DWORD dst_unused:UNUSED_PAD src0_sel:BYTE_3 src1_sel:DWORD
	v_lshrrev_b32_e32 v11, 3, v12
	s_mov_b32 s42, exec_lo
	v_cmpx_gt_u32_e32 8, v12
; %bb.294:                              ;   in Loop: Header=BB366_10 Depth=1
	v_ffbh_u32_e32 v11, v1
	v_min_u32_e32 v11, 32, v11
	v_subrev_nc_u32_e32 v12, 28, v11
	v_sub_nc_u32_e32 v11, 29, v11
	v_lshlrev_b64 v[12:13], v12, v[1:2]
	v_and_b32_e32 v1, 7, v12
; %bb.295:                              ;   in Loop: Header=BB366_10 Depth=1
	s_or_b32 exec_lo, exec_lo, s42
	v_lshlrev_b32_sdwa v0, v89, v0 dst_sel:DWORD dst_unused:UNUSED_PAD src0_sel:DWORD src1_sel:BYTE_3
	v_lshlrev_b32_e32 v1, 20, v1
	v_lshl_add_u32 v11, v11, 23, 0x3c000000
	v_and_b32_e32 v0, 0x80000000, v0
	v_or3_b32 v125, v1, v0, v11
.LBB366_296:                            ;   in Loop: Header=BB366_10 Depth=1
	s_or_b32 exec_lo, exec_lo, s41
.LBB366_297:                            ;   in Loop: Header=BB366_10 Depth=1
	s_or_b32 exec_lo, exec_lo, s40
.LBB366_298:                            ;   in Loop: Header=BB366_10 Depth=1
	s_or_b32 exec_lo, exec_lo, s4
	global_load_dword v0, v[7:8], off offset:1032
	v_mov_b32_e32 v22, 0
	v_mov_b32_e32 v127, 0
	s_waitcnt vmcnt(0)
	v_cmp_ne_u16_sdwa s3, v0, v2 src0_sel:BYTE_0 src1_sel:DWORD
	s_and_saveexec_b32 s4, s3
	s_cbranch_execz .LBB366_306
; %bb.299:                              ;   in Loop: Header=BB366_10 Depth=1
	v_cmp_ne_u16_sdwa s3, v0, v85 src0_sel:BYTE_0 src1_sel:DWORD
	v_bfrev_b32_e32 v127, 1
	s_and_saveexec_b32 s40, s3
	s_cbranch_execz .LBB366_305
; %bb.300:                              ;   in Loop: Header=BB366_10 Depth=1
	v_and_b32_e32 v12, 0x7f, v0
	v_mov_b32_e32 v127, 0x7f800001
	s_mov_b32 s41, exec_lo
	v_cmpx_ne_u32_e32 0x7f, v12
	s_cbranch_execz .LBB366_304
; %bb.301:                              ;   in Loop: Header=BB366_10 Depth=1
	v_and_b32_e32 v1, 7, v0
	v_lshrrev_b32_e32 v11, 3, v12
	s_mov_b32 s42, exec_lo
	v_cmpx_gt_u32_e32 8, v12
; %bb.302:                              ;   in Loop: Header=BB366_10 Depth=1
	v_ffbh_u32_e32 v11, v1
	v_min_u32_e32 v11, 32, v11
	v_subrev_nc_u32_e32 v12, 28, v11
	v_sub_nc_u32_e32 v11, 29, v11
	v_lshlrev_b64 v[12:13], v12, v[1:2]
	v_and_b32_e32 v1, 7, v12
; %bb.303:                              ;   in Loop: Header=BB366_10 Depth=1
	s_or_b32 exec_lo, exec_lo, s42
	v_lshlrev_b32_e32 v12, 24, v0
	v_lshlrev_b32_e32 v1, 20, v1
	v_lshl_add_u32 v11, v11, 23, 0x3c000000
	v_and_b32_e32 v12, 0x80000000, v12
	v_or3_b32 v127, v1, v12, v11
.LBB366_304:                            ;   in Loop: Header=BB366_10 Depth=1
	s_or_b32 exec_lo, exec_lo, s41
.LBB366_305:                            ;   in Loop: Header=BB366_10 Depth=1
	s_or_b32 exec_lo, exec_lo, s40
.LBB366_306:                            ;   in Loop: Header=BB366_10 Depth=1
	s_or_b32 exec_lo, exec_lo, s4
	v_cmp_ne_u16_sdwa s3, v0, v2 src0_sel:BYTE_1 src1_sel:DWORD
	s_and_saveexec_b32 s4, s3
	s_cbranch_execz .LBB366_314
; %bb.307:                              ;   in Loop: Header=BB366_10 Depth=1
	v_cmp_ne_u16_sdwa s3, v0, v85 src0_sel:BYTE_1 src1_sel:DWORD
	v_bfrev_b32_e32 v22, 1
	s_and_saveexec_b32 s40, s3
	s_cbranch_execz .LBB366_313
; %bb.308:                              ;   in Loop: Header=BB366_10 Depth=1
	v_and_b32_sdwa v1, v86, v0 dst_sel:DWORD dst_unused:UNUSED_PAD src0_sel:DWORD src1_sel:BYTE_1
	v_mov_b32_e32 v22, 0x7f800001
	s_mov_b32 s41, exec_lo
	v_and_b32_e32 v12, 0x7f, v1
	v_cmpx_ne_u32_e32 0x7f, v12
	s_cbranch_execz .LBB366_312
; %bb.309:                              ;   in Loop: Header=BB366_10 Depth=1
	v_and_b32_e32 v1, 7, v1
	v_lshrrev_b32_e32 v11, 3, v12
	s_mov_b32 s42, exec_lo
	v_cmpx_gt_u32_e32 8, v12
; %bb.310:                              ;   in Loop: Header=BB366_10 Depth=1
	v_ffbh_u32_e32 v11, v1
	v_min_u32_e32 v11, 32, v11
	v_subrev_nc_u32_e32 v12, 28, v11
	v_sub_nc_u32_e32 v11, 29, v11
	v_lshlrev_b64 v[12:13], v12, v[1:2]
	v_and_b32_e32 v1, 7, v12
; %bb.311:                              ;   in Loop: Header=BB366_10 Depth=1
	s_or_b32 exec_lo, exec_lo, s42
	v_lshlrev_b32_e32 v12, 16, v0
	v_lshlrev_b32_e32 v1, 20, v1
	v_lshl_add_u32 v11, v11, 23, 0x3c000000
	v_and_b32_e32 v12, 0x80000000, v12
	v_or3_b32 v22, v1, v12, v11
.LBB366_312:                            ;   in Loop: Header=BB366_10 Depth=1
	s_or_b32 exec_lo, exec_lo, s41
.LBB366_313:                            ;   in Loop: Header=BB366_10 Depth=1
	s_or_b32 exec_lo, exec_lo, s40
.LBB366_314:                            ;   in Loop: Header=BB366_10 Depth=1
	s_or_b32 exec_lo, exec_lo, s4
	v_and_b32_sdwa v1, v0, v87 dst_sel:DWORD dst_unused:UNUSED_PAD src0_sel:WORD_1 src1_sel:DWORD
	v_mov_b32_e32 v23, 0
	v_mov_b32_e32 v11, 0
	s_mov_b32 s4, exec_lo
	v_cmpx_ne_u16_e32 0, v1
	s_cbranch_execz .LBB366_322
; %bb.315:                              ;   in Loop: Header=BB366_10 Depth=1
	v_bfrev_b32_e32 v11, 1
	s_mov_b32 s40, exec_lo
	v_cmpx_ne_u16_e32 0x80, v1
	s_cbranch_execz .LBB366_321
; %bb.316:                              ;   in Loop: Header=BB366_10 Depth=1
	v_bfe_u32 v12, v0, 16, 7
	v_mov_b32_e32 v11, 0x7f800001
	s_mov_b32 s41, exec_lo
	v_cmpx_ne_u32_e32 0x7f, v12
	s_cbranch_execz .LBB366_320
; %bb.317:                              ;   in Loop: Header=BB366_10 Depth=1
	v_and_b32_sdwa v1, v0, v88 dst_sel:DWORD dst_unused:UNUSED_PAD src0_sel:WORD_1 src1_sel:DWORD
	v_lshrrev_b32_e32 v11, 3, v12
	s_mov_b32 s42, exec_lo
	v_cmpx_gt_u32_e32 8, v12
; %bb.318:                              ;   in Loop: Header=BB366_10 Depth=1
	v_ffbh_u32_e32 v11, v1
	v_min_u32_e32 v11, 32, v11
	v_subrev_nc_u32_e32 v12, 28, v11
	v_sub_nc_u32_e32 v11, 29, v11
	v_lshlrev_b64 v[12:13], v12, v[1:2]
	v_and_b32_e32 v1, 7, v12
; %bb.319:                              ;   in Loop: Header=BB366_10 Depth=1
	s_or_b32 exec_lo, exec_lo, s42
	v_lshlrev_b32_sdwa v12, v89, v0 dst_sel:DWORD dst_unused:UNUSED_PAD src0_sel:DWORD src1_sel:WORD_1
	v_lshlrev_b32_e32 v1, 20, v1
	v_lshl_add_u32 v11, v11, 23, 0x3c000000
	v_and_b32_e32 v12, 0x80000000, v12
	v_or3_b32 v11, v1, v12, v11
.LBB366_320:                            ;   in Loop: Header=BB366_10 Depth=1
	s_or_b32 exec_lo, exec_lo, s41
.LBB366_321:                            ;   in Loop: Header=BB366_10 Depth=1
	s_or_b32 exec_lo, exec_lo, s40
.LBB366_322:                            ;   in Loop: Header=BB366_10 Depth=1
	s_or_b32 exec_lo, exec_lo, s4
	s_mov_b32 s4, exec_lo
	v_cmpx_lt_u32_e32 0xffffff, v0
	s_cbranch_execz .LBB366_330
; %bb.323:                              ;   in Loop: Header=BB366_10 Depth=1
	v_cmp_ne_u32_sdwa s3, v0, v85 src0_sel:BYTE_3 src1_sel:DWORD
	v_bfrev_b32_e32 v23, 1
	s_and_saveexec_b32 s40, s3
	s_cbranch_execz .LBB366_329
; %bb.324:                              ;   in Loop: Header=BB366_10 Depth=1
	v_bfe_u32 v13, v0, 24, 7
	v_mov_b32_e32 v23, 0x7f800001
	s_mov_b32 s41, exec_lo
	v_cmpx_ne_u32_e32 0x7f, v13
	s_cbranch_execz .LBB366_328
; %bb.325:                              ;   in Loop: Header=BB366_10 Depth=1
	v_and_b32_sdwa v1, v0, v88 dst_sel:DWORD dst_unused:UNUSED_PAD src0_sel:BYTE_3 src1_sel:DWORD
	v_lshrrev_b32_e32 v12, 3, v13
	s_mov_b32 s42, exec_lo
	v_cmpx_gt_u32_e32 8, v13
; %bb.326:                              ;   in Loop: Header=BB366_10 Depth=1
	v_ffbh_u32_e32 v12, v1
	v_min_u32_e32 v12, 32, v12
	v_subrev_nc_u32_e32 v13, 28, v12
	v_sub_nc_u32_e32 v12, 29, v12
	v_lshlrev_b64 v[13:14], v13, v[1:2]
	v_and_b32_e32 v1, 7, v13
; %bb.327:                              ;   in Loop: Header=BB366_10 Depth=1
	s_or_b32 exec_lo, exec_lo, s42
	v_lshlrev_b32_sdwa v0, v89, v0 dst_sel:DWORD dst_unused:UNUSED_PAD src0_sel:DWORD src1_sel:BYTE_3
	v_lshlrev_b32_e32 v1, 20, v1
	v_lshl_add_u32 v12, v12, 23, 0x3c000000
	v_and_b32_e32 v0, 0x80000000, v0
	v_or3_b32 v23, v1, v0, v12
.LBB366_328:                            ;   in Loop: Header=BB366_10 Depth=1
	s_or_b32 exec_lo, exec_lo, s41
.LBB366_329:                            ;   in Loop: Header=BB366_10 Depth=1
	s_or_b32 exec_lo, exec_lo, s40
.LBB366_330:                            ;   in Loop: Header=BB366_10 Depth=1
	s_or_b32 exec_lo, exec_lo, s4
	global_load_dword v13, v[7:8], off offset:1280
	v_mov_b32_e32 v47, 0
	v_mov_b32_e32 v24, 0
	s_waitcnt vmcnt(0)
	v_cmp_ne_u16_sdwa s3, v13, v2 src0_sel:BYTE_0 src1_sel:DWORD
	s_and_saveexec_b32 s4, s3
	s_cbranch_execz .LBB366_338
; %bb.331:                              ;   in Loop: Header=BB366_10 Depth=1
	v_cmp_ne_u16_sdwa s3, v13, v85 src0_sel:BYTE_0 src1_sel:DWORD
	v_bfrev_b32_e32 v24, 1
	s_and_saveexec_b32 s40, s3
	s_cbranch_execz .LBB366_337
; %bb.332:                              ;   in Loop: Header=BB366_10 Depth=1
	v_and_b32_e32 v12, 0x7f, v13
	v_mov_b32_e32 v24, 0x7f800001
	s_mov_b32 s41, exec_lo
	v_cmpx_ne_u32_e32 0x7f, v12
	s_cbranch_execz .LBB366_336
; %bb.333:                              ;   in Loop: Header=BB366_10 Depth=1
	v_and_b32_e32 v1, 7, v13
	v_lshrrev_b32_e32 v0, 3, v12
	s_mov_b32 s42, exec_lo
	v_cmpx_gt_u32_e32 8, v12
; %bb.334:                              ;   in Loop: Header=BB366_10 Depth=1
	v_ffbh_u32_e32 v0, v1
	v_min_u32_e32 v0, 32, v0
	v_subrev_nc_u32_e32 v12, 28, v0
	v_sub_nc_u32_e32 v0, 29, v0
	v_lshlrev_b64 v[14:15], v12, v[1:2]
	v_and_b32_e32 v1, 7, v14
; %bb.335:                              ;   in Loop: Header=BB366_10 Depth=1
	s_or_b32 exec_lo, exec_lo, s42
	v_lshlrev_b32_e32 v12, 24, v13
	v_lshlrev_b32_e32 v1, 20, v1
	v_lshl_add_u32 v0, v0, 23, 0x3c000000
	v_and_b32_e32 v12, 0x80000000, v12
	v_or3_b32 v24, v1, v12, v0
.LBB366_336:                            ;   in Loop: Header=BB366_10 Depth=1
	s_or_b32 exec_lo, exec_lo, s41
.LBB366_337:                            ;   in Loop: Header=BB366_10 Depth=1
	s_or_b32 exec_lo, exec_lo, s40
.LBB366_338:                            ;   in Loop: Header=BB366_10 Depth=1
	s_or_b32 exec_lo, exec_lo, s4
	v_cmp_ne_u16_sdwa s3, v13, v2 src0_sel:BYTE_1 src1_sel:DWORD
	s_and_saveexec_b32 s4, s3
	s_cbranch_execz .LBB366_346
; %bb.339:                              ;   in Loop: Header=BB366_10 Depth=1
	v_cmp_ne_u16_sdwa s3, v13, v85 src0_sel:BYTE_1 src1_sel:DWORD
	v_bfrev_b32_e32 v47, 1
	s_and_saveexec_b32 s40, s3
	s_cbranch_execz .LBB366_345
; %bb.340:                              ;   in Loop: Header=BB366_10 Depth=1
	v_and_b32_sdwa v0, v86, v13 dst_sel:DWORD dst_unused:UNUSED_PAD src0_sel:DWORD src1_sel:BYTE_1
	v_mov_b32_e32 v47, 0x7f800001
	s_mov_b32 s41, exec_lo
	v_and_b32_e32 v12, 0x7f, v0
	v_cmpx_ne_u32_e32 0x7f, v12
	s_cbranch_execz .LBB366_344
; %bb.341:                              ;   in Loop: Header=BB366_10 Depth=1
	v_and_b32_e32 v1, 7, v0
	v_lshrrev_b32_e32 v0, 3, v12
	s_mov_b32 s42, exec_lo
	v_cmpx_gt_u32_e32 8, v12
; %bb.342:                              ;   in Loop: Header=BB366_10 Depth=1
	v_ffbh_u32_e32 v0, v1
	v_min_u32_e32 v0, 32, v0
	v_subrev_nc_u32_e32 v12, 28, v0
	v_sub_nc_u32_e32 v0, 29, v0
	v_lshlrev_b64 v[14:15], v12, v[1:2]
	v_and_b32_e32 v1, 7, v14
; %bb.343:                              ;   in Loop: Header=BB366_10 Depth=1
	s_or_b32 exec_lo, exec_lo, s42
	v_lshlrev_b32_e32 v12, 16, v13
	v_lshlrev_b32_e32 v1, 20, v1
	v_lshl_add_u32 v0, v0, 23, 0x3c000000
	v_and_b32_e32 v12, 0x80000000, v12
	v_or3_b32 v47, v1, v12, v0
.LBB366_344:                            ;   in Loop: Header=BB366_10 Depth=1
	s_or_b32 exec_lo, exec_lo, s41
.LBB366_345:                            ;   in Loop: Header=BB366_10 Depth=1
	s_or_b32 exec_lo, exec_lo, s40
.LBB366_346:                            ;   in Loop: Header=BB366_10 Depth=1
	s_or_b32 exec_lo, exec_lo, s4
	v_and_b32_sdwa v1, v13, v87 dst_sel:DWORD dst_unused:UNUSED_PAD src0_sel:WORD_1 src1_sel:DWORD
	v_mov_b32_e32 v12, 0
	v_mov_b32_e32 v0, 0
	s_mov_b32 s4, exec_lo
	v_cmpx_ne_u16_e32 0, v1
	s_cbranch_execz .LBB366_354
; %bb.347:                              ;   in Loop: Header=BB366_10 Depth=1
	v_bfrev_b32_e32 v0, 1
	s_mov_b32 s40, exec_lo
	v_cmpx_ne_u16_e32 0x80, v1
	s_cbranch_execz .LBB366_353
; %bb.348:                              ;   in Loop: Header=BB366_10 Depth=1
	v_bfe_u32 v14, v13, 16, 7
	v_mov_b32_e32 v0, 0x7f800001
	s_mov_b32 s41, exec_lo
	v_cmpx_ne_u32_e32 0x7f, v14
	s_cbranch_execz .LBB366_352
; %bb.349:                              ;   in Loop: Header=BB366_10 Depth=1
	v_and_b32_sdwa v1, v13, v88 dst_sel:DWORD dst_unused:UNUSED_PAD src0_sel:WORD_1 src1_sel:DWORD
	v_lshrrev_b32_e32 v0, 3, v14
	s_mov_b32 s42, exec_lo
	v_cmpx_gt_u32_e32 8, v14
; %bb.350:                              ;   in Loop: Header=BB366_10 Depth=1
	v_ffbh_u32_e32 v0, v1
	v_min_u32_e32 v0, 32, v0
	v_subrev_nc_u32_e32 v14, 28, v0
	v_sub_nc_u32_e32 v0, 29, v0
	v_lshlrev_b64 v[14:15], v14, v[1:2]
	v_and_b32_e32 v1, 7, v14
; %bb.351:                              ;   in Loop: Header=BB366_10 Depth=1
	s_or_b32 exec_lo, exec_lo, s42
	v_lshlrev_b32_sdwa v14, v89, v13 dst_sel:DWORD dst_unused:UNUSED_PAD src0_sel:DWORD src1_sel:WORD_1
	v_lshlrev_b32_e32 v1, 20, v1
	v_lshl_add_u32 v0, v0, 23, 0x3c000000
	v_and_b32_e32 v14, 0x80000000, v14
	v_or3_b32 v0, v1, v14, v0
.LBB366_352:                            ;   in Loop: Header=BB366_10 Depth=1
	s_or_b32 exec_lo, exec_lo, s41
.LBB366_353:                            ;   in Loop: Header=BB366_10 Depth=1
	s_or_b32 exec_lo, exec_lo, s40
.LBB366_354:                            ;   in Loop: Header=BB366_10 Depth=1
	s_or_b32 exec_lo, exec_lo, s4
	s_mov_b32 s4, exec_lo
	v_cmpx_lt_u32_e32 0xffffff, v13
	s_cbranch_execz .LBB366_362
; %bb.355:                              ;   in Loop: Header=BB366_10 Depth=1
	v_cmp_ne_u32_sdwa s3, v13, v85 src0_sel:BYTE_3 src1_sel:DWORD
	v_bfrev_b32_e32 v12, 1
	s_and_saveexec_b32 s40, s3
	s_cbranch_execz .LBB366_361
; %bb.356:                              ;   in Loop: Header=BB366_10 Depth=1
	v_bfe_u32 v14, v13, 24, 7
	v_mov_b32_e32 v12, 0x7f800001
	s_mov_b32 s41, exec_lo
	v_cmpx_ne_u32_e32 0x7f, v14
	s_cbranch_execz .LBB366_360
; %bb.357:                              ;   in Loop: Header=BB366_10 Depth=1
	v_and_b32_sdwa v1, v13, v88 dst_sel:DWORD dst_unused:UNUSED_PAD src0_sel:BYTE_3 src1_sel:DWORD
	v_lshrrev_b32_e32 v12, 3, v14
	s_mov_b32 s42, exec_lo
	v_cmpx_gt_u32_e32 8, v14
; %bb.358:                              ;   in Loop: Header=BB366_10 Depth=1
	v_ffbh_u32_e32 v12, v1
	v_min_u32_e32 v12, 32, v12
	v_subrev_nc_u32_e32 v14, 28, v12
	v_sub_nc_u32_e32 v12, 29, v12
	v_lshlrev_b64 v[14:15], v14, v[1:2]
	v_and_b32_e32 v1, 7, v14
; %bb.359:                              ;   in Loop: Header=BB366_10 Depth=1
	s_or_b32 exec_lo, exec_lo, s42
	v_lshlrev_b32_sdwa v13, v89, v13 dst_sel:DWORD dst_unused:UNUSED_PAD src0_sel:DWORD src1_sel:BYTE_3
	v_lshlrev_b32_e32 v1, 20, v1
	v_lshl_add_u32 v12, v12, 23, 0x3c000000
	v_and_b32_e32 v13, 0x80000000, v13
	v_or3_b32 v12, v1, v13, v12
.LBB366_360:                            ;   in Loop: Header=BB366_10 Depth=1
	s_or_b32 exec_lo, exec_lo, s41
.LBB366_361:                            ;   in Loop: Header=BB366_10 Depth=1
	s_or_b32 exec_lo, exec_lo, s40
.LBB366_362:                            ;   in Loop: Header=BB366_10 Depth=1
	s_or_b32 exec_lo, exec_lo, s4
	global_load_dword v17, v[7:8], off offset:1288
	v_mov_b32_e32 v14, 0
	v_mov_b32_e32 v13, 0
	s_waitcnt vmcnt(0)
	v_cmp_ne_u16_sdwa s3, v17, v2 src0_sel:BYTE_0 src1_sel:DWORD
	s_and_saveexec_b32 s4, s3
	s_cbranch_execz .LBB366_370
; %bb.363:                              ;   in Loop: Header=BB366_10 Depth=1
	v_cmp_ne_u16_sdwa s3, v17, v85 src0_sel:BYTE_0 src1_sel:DWORD
	v_bfrev_b32_e32 v13, 1
	s_and_saveexec_b32 s40, s3
	s_cbranch_execz .LBB366_369
; %bb.364:                              ;   in Loop: Header=BB366_10 Depth=1
	v_and_b32_e32 v15, 0x7f, v17
	v_mov_b32_e32 v13, 0x7f800001
	s_mov_b32 s41, exec_lo
	v_cmpx_ne_u32_e32 0x7f, v15
	s_cbranch_execz .LBB366_368
; %bb.365:                              ;   in Loop: Header=BB366_10 Depth=1
	v_and_b32_e32 v1, 7, v17
	v_lshrrev_b32_e32 v13, 3, v15
	s_mov_b32 s42, exec_lo
	v_cmpx_gt_u32_e32 8, v15
; %bb.366:                              ;   in Loop: Header=BB366_10 Depth=1
	v_ffbh_u32_e32 v13, v1
	v_min_u32_e32 v13, 32, v13
	v_subrev_nc_u32_e32 v15, 28, v13
	v_sub_nc_u32_e32 v13, 29, v13
	v_lshlrev_b64 v[15:16], v15, v[1:2]
	v_and_b32_e32 v1, 7, v15
; %bb.367:                              ;   in Loop: Header=BB366_10 Depth=1
	s_or_b32 exec_lo, exec_lo, s42
	v_lshlrev_b32_e32 v15, 24, v17
	v_lshlrev_b32_e32 v1, 20, v1
	v_lshl_add_u32 v13, v13, 23, 0x3c000000
	v_and_b32_e32 v15, 0x80000000, v15
	v_or3_b32 v13, v1, v15, v13
.LBB366_368:                            ;   in Loop: Header=BB366_10 Depth=1
	s_or_b32 exec_lo, exec_lo, s41
.LBB366_369:                            ;   in Loop: Header=BB366_10 Depth=1
	s_or_b32 exec_lo, exec_lo, s40
.LBB366_370:                            ;   in Loop: Header=BB366_10 Depth=1
	s_or_b32 exec_lo, exec_lo, s4
	v_cmp_ne_u16_sdwa s3, v17, v2 src0_sel:BYTE_1 src1_sel:DWORD
	s_and_saveexec_b32 s4, s3
	s_cbranch_execz .LBB366_378
; %bb.371:                              ;   in Loop: Header=BB366_10 Depth=1
	v_cmp_ne_u16_sdwa s3, v17, v85 src0_sel:BYTE_1 src1_sel:DWORD
	v_bfrev_b32_e32 v14, 1
	s_and_saveexec_b32 s40, s3
	s_cbranch_execz .LBB366_377
; %bb.372:                              ;   in Loop: Header=BB366_10 Depth=1
	v_and_b32_sdwa v1, v86, v17 dst_sel:DWORD dst_unused:UNUSED_PAD src0_sel:DWORD src1_sel:BYTE_1
	v_mov_b32_e32 v14, 0x7f800001
	s_mov_b32 s41, exec_lo
	v_and_b32_e32 v15, 0x7f, v1
	v_cmpx_ne_u32_e32 0x7f, v15
	s_cbranch_execz .LBB366_376
; %bb.373:                              ;   in Loop: Header=BB366_10 Depth=1
	v_and_b32_e32 v1, 7, v1
	v_lshrrev_b32_e32 v14, 3, v15
	s_mov_b32 s42, exec_lo
	v_cmpx_gt_u32_e32 8, v15
; %bb.374:                              ;   in Loop: Header=BB366_10 Depth=1
	v_ffbh_u32_e32 v14, v1
	v_min_u32_e32 v14, 32, v14
	v_subrev_nc_u32_e32 v15, 28, v14
	v_sub_nc_u32_e32 v14, 29, v14
	v_lshlrev_b64 v[15:16], v15, v[1:2]
	v_and_b32_e32 v1, 7, v15
; %bb.375:                              ;   in Loop: Header=BB366_10 Depth=1
	s_or_b32 exec_lo, exec_lo, s42
	v_lshlrev_b32_e32 v15, 16, v17
	v_lshlrev_b32_e32 v1, 20, v1
	v_lshl_add_u32 v14, v14, 23, 0x3c000000
	v_and_b32_e32 v15, 0x80000000, v15
	v_or3_b32 v14, v1, v15, v14
.LBB366_376:                            ;   in Loop: Header=BB366_10 Depth=1
	s_or_b32 exec_lo, exec_lo, s41
.LBB366_377:                            ;   in Loop: Header=BB366_10 Depth=1
	s_or_b32 exec_lo, exec_lo, s40
.LBB366_378:                            ;   in Loop: Header=BB366_10 Depth=1
	s_or_b32 exec_lo, exec_lo, s4
	v_and_b32_sdwa v1, v17, v87 dst_sel:DWORD dst_unused:UNUSED_PAD src0_sel:WORD_1 src1_sel:DWORD
	v_mov_b32_e32 v15, 0
	v_mov_b32_e32 v16, 0
	s_mov_b32 s4, exec_lo
	v_cmpx_ne_u16_e32 0, v1
	s_cbranch_execz .LBB366_386
; %bb.379:                              ;   in Loop: Header=BB366_10 Depth=1
	v_bfrev_b32_e32 v16, 1
	s_mov_b32 s40, exec_lo
	v_cmpx_ne_u16_e32 0x80, v1
	s_cbranch_execz .LBB366_385
; %bb.380:                              ;   in Loop: Header=BB366_10 Depth=1
	v_bfe_u32 v18, v17, 16, 7
	v_mov_b32_e32 v16, 0x7f800001
	s_mov_b32 s41, exec_lo
	v_cmpx_ne_u32_e32 0x7f, v18
	s_cbranch_execz .LBB366_384
; %bb.381:                              ;   in Loop: Header=BB366_10 Depth=1
	v_and_b32_sdwa v1, v17, v88 dst_sel:DWORD dst_unused:UNUSED_PAD src0_sel:WORD_1 src1_sel:DWORD
	v_lshrrev_b32_e32 v16, 3, v18
	s_mov_b32 s42, exec_lo
	v_cmpx_gt_u32_e32 8, v18
; %bb.382:                              ;   in Loop: Header=BB366_10 Depth=1
	v_ffbh_u32_e32 v16, v1
	v_min_u32_e32 v16, 32, v16
	v_subrev_nc_u32_e32 v18, 28, v16
	v_sub_nc_u32_e32 v16, 29, v16
	v_lshlrev_b64 v[18:19], v18, v[1:2]
	v_and_b32_e32 v1, 7, v18
; %bb.383:                              ;   in Loop: Header=BB366_10 Depth=1
	s_or_b32 exec_lo, exec_lo, s42
	v_lshlrev_b32_sdwa v18, v89, v17 dst_sel:DWORD dst_unused:UNUSED_PAD src0_sel:DWORD src1_sel:WORD_1
	v_lshlrev_b32_e32 v1, 20, v1
	v_lshl_add_u32 v16, v16, 23, 0x3c000000
	v_and_b32_e32 v18, 0x80000000, v18
	v_or3_b32 v16, v1, v18, v16
.LBB366_384:                            ;   in Loop: Header=BB366_10 Depth=1
	s_or_b32 exec_lo, exec_lo, s41
.LBB366_385:                            ;   in Loop: Header=BB366_10 Depth=1
	s_or_b32 exec_lo, exec_lo, s40
.LBB366_386:                            ;   in Loop: Header=BB366_10 Depth=1
	s_or_b32 exec_lo, exec_lo, s4
	s_mov_b32 s4, exec_lo
	v_cmpx_lt_u32_e32 0xffffff, v17
	s_cbranch_execz .LBB366_394
; %bb.387:                              ;   in Loop: Header=BB366_10 Depth=1
	v_cmp_ne_u32_sdwa s3, v17, v85 src0_sel:BYTE_3 src1_sel:DWORD
	v_bfrev_b32_e32 v15, 1
	s_and_saveexec_b32 s40, s3
	s_cbranch_execz .LBB366_393
; %bb.388:                              ;   in Loop: Header=BB366_10 Depth=1
	v_bfe_u32 v18, v17, 24, 7
	v_mov_b32_e32 v15, 0x7f800001
	s_mov_b32 s41, exec_lo
	v_cmpx_ne_u32_e32 0x7f, v18
	s_cbranch_execz .LBB366_392
; %bb.389:                              ;   in Loop: Header=BB366_10 Depth=1
	v_and_b32_sdwa v1, v17, v88 dst_sel:DWORD dst_unused:UNUSED_PAD src0_sel:BYTE_3 src1_sel:DWORD
	v_lshrrev_b32_e32 v15, 3, v18
	s_mov_b32 s42, exec_lo
	v_cmpx_gt_u32_e32 8, v18
; %bb.390:                              ;   in Loop: Header=BB366_10 Depth=1
	v_ffbh_u32_e32 v15, v1
	v_min_u32_e32 v15, 32, v15
	v_subrev_nc_u32_e32 v18, 28, v15
	v_sub_nc_u32_e32 v15, 29, v15
	v_lshlrev_b64 v[18:19], v18, v[1:2]
	v_and_b32_e32 v1, 7, v18
; %bb.391:                              ;   in Loop: Header=BB366_10 Depth=1
	s_or_b32 exec_lo, exec_lo, s42
	v_lshlrev_b32_sdwa v17, v89, v17 dst_sel:DWORD dst_unused:UNUSED_PAD src0_sel:DWORD src1_sel:BYTE_3
	v_lshlrev_b32_e32 v1, 20, v1
	v_lshl_add_u32 v15, v15, 23, 0x3c000000
	v_and_b32_e32 v17, 0x80000000, v17
	v_or3_b32 v15, v1, v17, v15
.LBB366_392:                            ;   in Loop: Header=BB366_10 Depth=1
	s_or_b32 exec_lo, exec_lo, s41
.LBB366_393:                            ;   in Loop: Header=BB366_10 Depth=1
	s_or_b32 exec_lo, exec_lo, s40
.LBB366_394:                            ;   in Loop: Header=BB366_10 Depth=1
	s_or_b32 exec_lo, exec_lo, s4
	global_load_dword v21, v[7:8], off offset:1536
	v_mov_b32_e32 v18, 0
	v_mov_b32_e32 v17, 0
	s_waitcnt vmcnt(0)
	v_cmp_ne_u16_sdwa s3, v21, v2 src0_sel:BYTE_0 src1_sel:DWORD
	s_and_saveexec_b32 s4, s3
	s_cbranch_execz .LBB366_402
; %bb.395:                              ;   in Loop: Header=BB366_10 Depth=1
	v_cmp_ne_u16_sdwa s3, v21, v85 src0_sel:BYTE_0 src1_sel:DWORD
	v_bfrev_b32_e32 v17, 1
	s_and_saveexec_b32 s40, s3
	s_cbranch_execz .LBB366_401
; %bb.396:                              ;   in Loop: Header=BB366_10 Depth=1
	v_and_b32_e32 v19, 0x7f, v21
	v_mov_b32_e32 v17, 0x7f800001
	s_mov_b32 s41, exec_lo
	v_cmpx_ne_u32_e32 0x7f, v19
	s_cbranch_execz .LBB366_400
; %bb.397:                              ;   in Loop: Header=BB366_10 Depth=1
	v_and_b32_e32 v1, 7, v21
	v_lshrrev_b32_e32 v17, 3, v19
	s_mov_b32 s42, exec_lo
	v_cmpx_gt_u32_e32 8, v19
; %bb.398:                              ;   in Loop: Header=BB366_10 Depth=1
	v_ffbh_u32_e32 v17, v1
	v_min_u32_e32 v17, 32, v17
	v_subrev_nc_u32_e32 v19, 28, v17
	v_sub_nc_u32_e32 v17, 29, v17
	v_lshlrev_b64 v[19:20], v19, v[1:2]
	v_and_b32_e32 v1, 7, v19
; %bb.399:                              ;   in Loop: Header=BB366_10 Depth=1
	s_or_b32 exec_lo, exec_lo, s42
	v_lshlrev_b32_e32 v19, 24, v21
	v_lshlrev_b32_e32 v1, 20, v1
	v_lshl_add_u32 v17, v17, 23, 0x3c000000
	v_and_b32_e32 v19, 0x80000000, v19
	v_or3_b32 v17, v1, v19, v17
.LBB366_400:                            ;   in Loop: Header=BB366_10 Depth=1
	s_or_b32 exec_lo, exec_lo, s41
.LBB366_401:                            ;   in Loop: Header=BB366_10 Depth=1
	s_or_b32 exec_lo, exec_lo, s40
.LBB366_402:                            ;   in Loop: Header=BB366_10 Depth=1
	s_or_b32 exec_lo, exec_lo, s4
	v_cmp_ne_u16_sdwa s3, v21, v2 src0_sel:BYTE_1 src1_sel:DWORD
	s_and_saveexec_b32 s4, s3
	s_cbranch_execz .LBB366_410
; %bb.403:                              ;   in Loop: Header=BB366_10 Depth=1
	v_cmp_ne_u16_sdwa s3, v21, v85 src0_sel:BYTE_1 src1_sel:DWORD
	v_bfrev_b32_e32 v18, 1
	s_and_saveexec_b32 s40, s3
	s_cbranch_execz .LBB366_409
; %bb.404:                              ;   in Loop: Header=BB366_10 Depth=1
	v_and_b32_sdwa v1, v86, v21 dst_sel:DWORD dst_unused:UNUSED_PAD src0_sel:DWORD src1_sel:BYTE_1
	v_mov_b32_e32 v18, 0x7f800001
	s_mov_b32 s41, exec_lo
	v_and_b32_e32 v19, 0x7f, v1
	v_cmpx_ne_u32_e32 0x7f, v19
	s_cbranch_execz .LBB366_408
; %bb.405:                              ;   in Loop: Header=BB366_10 Depth=1
	v_and_b32_e32 v1, 7, v1
	v_lshrrev_b32_e32 v18, 3, v19
	s_mov_b32 s42, exec_lo
	v_cmpx_gt_u32_e32 8, v19
; %bb.406:                              ;   in Loop: Header=BB366_10 Depth=1
	v_ffbh_u32_e32 v18, v1
	v_min_u32_e32 v18, 32, v18
	v_subrev_nc_u32_e32 v19, 28, v18
	v_sub_nc_u32_e32 v18, 29, v18
	v_lshlrev_b64 v[19:20], v19, v[1:2]
	v_and_b32_e32 v1, 7, v19
; %bb.407:                              ;   in Loop: Header=BB366_10 Depth=1
	s_or_b32 exec_lo, exec_lo, s42
	v_lshlrev_b32_e32 v19, 16, v21
	v_lshlrev_b32_e32 v1, 20, v1
	v_lshl_add_u32 v18, v18, 23, 0x3c000000
	v_and_b32_e32 v19, 0x80000000, v19
	v_or3_b32 v18, v1, v19, v18
.LBB366_408:                            ;   in Loop: Header=BB366_10 Depth=1
	s_or_b32 exec_lo, exec_lo, s41
.LBB366_409:                            ;   in Loop: Header=BB366_10 Depth=1
	s_or_b32 exec_lo, exec_lo, s40
.LBB366_410:                            ;   in Loop: Header=BB366_10 Depth=1
	s_or_b32 exec_lo, exec_lo, s4
	v_and_b32_sdwa v1, v21, v87 dst_sel:DWORD dst_unused:UNUSED_PAD src0_sel:WORD_1 src1_sel:DWORD
	v_mov_b32_e32 v19, 0
	v_mov_b32_e32 v20, 0
	s_mov_b32 s4, exec_lo
	v_cmpx_ne_u16_e32 0, v1
	s_cbranch_execz .LBB366_418
; %bb.411:                              ;   in Loop: Header=BB366_10 Depth=1
	v_bfrev_b32_e32 v20, 1
	s_mov_b32 s40, exec_lo
	v_cmpx_ne_u16_e32 0x80, v1
	s_cbranch_execz .LBB366_417
; %bb.412:                              ;   in Loop: Header=BB366_10 Depth=1
	v_bfe_u32 v25, v21, 16, 7
	v_mov_b32_e32 v20, 0x7f800001
	s_mov_b32 s41, exec_lo
	v_cmpx_ne_u32_e32 0x7f, v25
	s_cbranch_execz .LBB366_416
; %bb.413:                              ;   in Loop: Header=BB366_10 Depth=1
	v_and_b32_sdwa v1, v21, v88 dst_sel:DWORD dst_unused:UNUSED_PAD src0_sel:WORD_1 src1_sel:DWORD
	v_lshrrev_b32_e32 v20, 3, v25
	s_mov_b32 s42, exec_lo
	v_cmpx_gt_u32_e32 8, v25
; %bb.414:                              ;   in Loop: Header=BB366_10 Depth=1
	v_ffbh_u32_e32 v20, v1
	v_min_u32_e32 v20, 32, v20
	v_subrev_nc_u32_e32 v25, 28, v20
	v_sub_nc_u32_e32 v20, 29, v20
	v_lshlrev_b64 v[25:26], v25, v[1:2]
	v_and_b32_e32 v1, 7, v25
; %bb.415:                              ;   in Loop: Header=BB366_10 Depth=1
	s_or_b32 exec_lo, exec_lo, s42
	v_lshlrev_b32_sdwa v25, v89, v21 dst_sel:DWORD dst_unused:UNUSED_PAD src0_sel:DWORD src1_sel:WORD_1
	v_lshlrev_b32_e32 v1, 20, v1
	v_lshl_add_u32 v20, v20, 23, 0x3c000000
	v_and_b32_e32 v25, 0x80000000, v25
	v_or3_b32 v20, v1, v25, v20
.LBB366_416:                            ;   in Loop: Header=BB366_10 Depth=1
	s_or_b32 exec_lo, exec_lo, s41
.LBB366_417:                            ;   in Loop: Header=BB366_10 Depth=1
	s_or_b32 exec_lo, exec_lo, s40
.LBB366_418:                            ;   in Loop: Header=BB366_10 Depth=1
	s_or_b32 exec_lo, exec_lo, s4
	s_mov_b32 s4, exec_lo
	v_cmpx_lt_u32_e32 0xffffff, v21
	s_cbranch_execz .LBB366_426
; %bb.419:                              ;   in Loop: Header=BB366_10 Depth=1
	v_cmp_ne_u32_sdwa s3, v21, v85 src0_sel:BYTE_3 src1_sel:DWORD
	v_bfrev_b32_e32 v19, 1
	s_and_saveexec_b32 s40, s3
	s_cbranch_execz .LBB366_425
; %bb.420:                              ;   in Loop: Header=BB366_10 Depth=1
	v_bfe_u32 v25, v21, 24, 7
	v_mov_b32_e32 v19, 0x7f800001
	s_mov_b32 s41, exec_lo
	v_cmpx_ne_u32_e32 0x7f, v25
	s_cbranch_execz .LBB366_424
; %bb.421:                              ;   in Loop: Header=BB366_10 Depth=1
	v_and_b32_sdwa v1, v21, v88 dst_sel:DWORD dst_unused:UNUSED_PAD src0_sel:BYTE_3 src1_sel:DWORD
	v_lshrrev_b32_e32 v19, 3, v25
	s_mov_b32 s42, exec_lo
	v_cmpx_gt_u32_e32 8, v25
; %bb.422:                              ;   in Loop: Header=BB366_10 Depth=1
	v_ffbh_u32_e32 v19, v1
	v_min_u32_e32 v19, 32, v19
	v_subrev_nc_u32_e32 v25, 28, v19
	v_sub_nc_u32_e32 v19, 29, v19
	v_lshlrev_b64 v[25:26], v25, v[1:2]
	v_and_b32_e32 v1, 7, v25
; %bb.423:                              ;   in Loop: Header=BB366_10 Depth=1
	s_or_b32 exec_lo, exec_lo, s42
	v_lshlrev_b32_sdwa v21, v89, v21 dst_sel:DWORD dst_unused:UNUSED_PAD src0_sel:DWORD src1_sel:BYTE_3
	v_lshlrev_b32_e32 v1, 20, v1
	v_lshl_add_u32 v19, v19, 23, 0x3c000000
	v_and_b32_e32 v21, 0x80000000, v21
	v_or3_b32 v19, v1, v21, v19
.LBB366_424:                            ;   in Loop: Header=BB366_10 Depth=1
	s_or_b32 exec_lo, exec_lo, s41
.LBB366_425:                            ;   in Loop: Header=BB366_10 Depth=1
	s_or_b32 exec_lo, exec_lo, s40
.LBB366_426:                            ;   in Loop: Header=BB366_10 Depth=1
	s_or_b32 exec_lo, exec_lo, s4
	global_load_dword v26, v[7:8], off offset:1544
	v_mov_b32_e32 v25, 0
	v_mov_b32_e32 v21, 0
	s_waitcnt vmcnt(0)
	v_cmp_ne_u16_sdwa s3, v26, v2 src0_sel:BYTE_0 src1_sel:DWORD
	s_and_saveexec_b32 s4, s3
	s_cbranch_execz .LBB366_434
; %bb.427:                              ;   in Loop: Header=BB366_10 Depth=1
	v_cmp_ne_u16_sdwa s3, v26, v85 src0_sel:BYTE_0 src1_sel:DWORD
	v_bfrev_b32_e32 v21, 1
	s_and_saveexec_b32 s40, s3
	s_cbranch_execz .LBB366_433
; %bb.428:                              ;   in Loop: Header=BB366_10 Depth=1
	v_and_b32_e32 v27, 0x7f, v26
	v_mov_b32_e32 v21, 0x7f800001
	s_mov_b32 s41, exec_lo
	v_cmpx_ne_u32_e32 0x7f, v27
	s_cbranch_execz .LBB366_432
; %bb.429:                              ;   in Loop: Header=BB366_10 Depth=1
	v_and_b32_e32 v1, 7, v26
	v_lshrrev_b32_e32 v21, 3, v27
	s_mov_b32 s42, exec_lo
	v_cmpx_gt_u32_e32 8, v27
; %bb.430:                              ;   in Loop: Header=BB366_10 Depth=1
	v_ffbh_u32_e32 v21, v1
	v_min_u32_e32 v21, 32, v21
	v_subrev_nc_u32_e32 v27, 28, v21
	v_sub_nc_u32_e32 v21, 29, v21
	v_lshlrev_b64 v[27:28], v27, v[1:2]
	v_and_b32_e32 v1, 7, v27
; %bb.431:                              ;   in Loop: Header=BB366_10 Depth=1
	s_or_b32 exec_lo, exec_lo, s42
	v_lshlrev_b32_e32 v27, 24, v26
	v_lshlrev_b32_e32 v1, 20, v1
	v_lshl_add_u32 v21, v21, 23, 0x3c000000
	v_and_b32_e32 v27, 0x80000000, v27
	v_or3_b32 v21, v1, v27, v21
.LBB366_432:                            ;   in Loop: Header=BB366_10 Depth=1
	s_or_b32 exec_lo, exec_lo, s41
.LBB366_433:                            ;   in Loop: Header=BB366_10 Depth=1
	s_or_b32 exec_lo, exec_lo, s40
.LBB366_434:                            ;   in Loop: Header=BB366_10 Depth=1
	s_or_b32 exec_lo, exec_lo, s4
	v_cmp_ne_u16_sdwa s3, v26, v2 src0_sel:BYTE_1 src1_sel:DWORD
	s_and_saveexec_b32 s4, s3
	s_cbranch_execz .LBB366_442
; %bb.435:                              ;   in Loop: Header=BB366_10 Depth=1
	v_cmp_ne_u16_sdwa s3, v26, v85 src0_sel:BYTE_1 src1_sel:DWORD
	v_bfrev_b32_e32 v25, 1
	s_and_saveexec_b32 s40, s3
	s_cbranch_execz .LBB366_441
; %bb.436:                              ;   in Loop: Header=BB366_10 Depth=1
	v_and_b32_sdwa v1, v86, v26 dst_sel:DWORD dst_unused:UNUSED_PAD src0_sel:DWORD src1_sel:BYTE_1
	v_mov_b32_e32 v25, 0x7f800001
	s_mov_b32 s41, exec_lo
	v_and_b32_e32 v27, 0x7f, v1
	v_cmpx_ne_u32_e32 0x7f, v27
	s_cbranch_execz .LBB366_440
; %bb.437:                              ;   in Loop: Header=BB366_10 Depth=1
	v_and_b32_e32 v1, 7, v1
	v_lshrrev_b32_e32 v25, 3, v27
	s_mov_b32 s42, exec_lo
	v_cmpx_gt_u32_e32 8, v27
; %bb.438:                              ;   in Loop: Header=BB366_10 Depth=1
	v_ffbh_u32_e32 v25, v1
	v_min_u32_e32 v25, 32, v25
	v_subrev_nc_u32_e32 v27, 28, v25
	v_sub_nc_u32_e32 v25, 29, v25
	v_lshlrev_b64 v[27:28], v27, v[1:2]
	v_and_b32_e32 v1, 7, v27
; %bb.439:                              ;   in Loop: Header=BB366_10 Depth=1
	s_or_b32 exec_lo, exec_lo, s42
	v_lshlrev_b32_e32 v27, 16, v26
	v_lshlrev_b32_e32 v1, 20, v1
	v_lshl_add_u32 v25, v25, 23, 0x3c000000
	v_and_b32_e32 v27, 0x80000000, v27
	v_or3_b32 v25, v1, v27, v25
.LBB366_440:                            ;   in Loop: Header=BB366_10 Depth=1
	s_or_b32 exec_lo, exec_lo, s41
.LBB366_441:                            ;   in Loop: Header=BB366_10 Depth=1
	s_or_b32 exec_lo, exec_lo, s40
.LBB366_442:                            ;   in Loop: Header=BB366_10 Depth=1
	s_or_b32 exec_lo, exec_lo, s4
	v_and_b32_sdwa v1, v26, v87 dst_sel:DWORD dst_unused:UNUSED_PAD src0_sel:WORD_1 src1_sel:DWORD
	v_mov_b32_e32 v30, 0
	v_mov_b32_e32 v29, 0
	s_mov_b32 s4, exec_lo
	v_cmpx_ne_u16_e32 0, v1
	s_cbranch_execz .LBB366_450
; %bb.443:                              ;   in Loop: Header=BB366_10 Depth=1
	v_bfrev_b32_e32 v29, 1
	s_mov_b32 s40, exec_lo
	v_cmpx_ne_u16_e32 0x80, v1
	s_cbranch_execz .LBB366_449
; %bb.444:                              ;   in Loop: Header=BB366_10 Depth=1
	v_bfe_u32 v28, v26, 16, 7
	v_mov_b32_e32 v29, 0x7f800001
	s_mov_b32 s41, exec_lo
	v_cmpx_ne_u32_e32 0x7f, v28
	s_cbranch_execz .LBB366_448
; %bb.445:                              ;   in Loop: Header=BB366_10 Depth=1
	v_and_b32_sdwa v1, v26, v88 dst_sel:DWORD dst_unused:UNUSED_PAD src0_sel:WORD_1 src1_sel:DWORD
	v_lshrrev_b32_e32 v27, 3, v28
	s_mov_b32 s42, exec_lo
	v_cmpx_gt_u32_e32 8, v28
; %bb.446:                              ;   in Loop: Header=BB366_10 Depth=1
	v_ffbh_u32_e32 v27, v1
	v_min_u32_e32 v27, 32, v27
	v_subrev_nc_u32_e32 v28, 28, v27
	v_sub_nc_u32_e32 v27, 29, v27
	v_lshlrev_b64 v[28:29], v28, v[1:2]
	v_and_b32_e32 v1, 7, v28
; %bb.447:                              ;   in Loop: Header=BB366_10 Depth=1
	s_or_b32 exec_lo, exec_lo, s42
	v_lshlrev_b32_sdwa v28, v89, v26 dst_sel:DWORD dst_unused:UNUSED_PAD src0_sel:DWORD src1_sel:WORD_1
	v_lshlrev_b32_e32 v1, 20, v1
	v_lshl_add_u32 v27, v27, 23, 0x3c000000
	v_and_b32_e32 v28, 0x80000000, v28
	v_or3_b32 v29, v1, v28, v27
.LBB366_448:                            ;   in Loop: Header=BB366_10 Depth=1
	s_or_b32 exec_lo, exec_lo, s41
.LBB366_449:                            ;   in Loop: Header=BB366_10 Depth=1
	s_or_b32 exec_lo, exec_lo, s40
.LBB366_450:                            ;   in Loop: Header=BB366_10 Depth=1
	s_or_b32 exec_lo, exec_lo, s4
	s_mov_b32 s4, exec_lo
	v_cmpx_lt_u32_e32 0xffffff, v26
	s_cbranch_execz .LBB366_458
; %bb.451:                              ;   in Loop: Header=BB366_10 Depth=1
	v_cmp_ne_u32_sdwa s3, v26, v85 src0_sel:BYTE_3 src1_sel:DWORD
	v_bfrev_b32_e32 v30, 1
	s_and_saveexec_b32 s40, s3
	s_cbranch_execz .LBB366_457
; %bb.452:                              ;   in Loop: Header=BB366_10 Depth=1
	v_bfe_u32 v28, v26, 24, 7
	v_mov_b32_e32 v30, 0x7f800001
	s_mov_b32 s41, exec_lo
	v_cmpx_ne_u32_e32 0x7f, v28
	s_cbranch_execz .LBB366_456
; %bb.453:                              ;   in Loop: Header=BB366_10 Depth=1
	v_and_b32_sdwa v1, v26, v88 dst_sel:DWORD dst_unused:UNUSED_PAD src0_sel:BYTE_3 src1_sel:DWORD
	v_lshrrev_b32_e32 v27, 3, v28
	s_mov_b32 s42, exec_lo
	v_cmpx_gt_u32_e32 8, v28
; %bb.454:                              ;   in Loop: Header=BB366_10 Depth=1
	v_ffbh_u32_e32 v27, v1
	v_min_u32_e32 v27, 32, v27
	v_subrev_nc_u32_e32 v28, 28, v27
	v_sub_nc_u32_e32 v27, 29, v27
	v_lshlrev_b64 v[30:31], v28, v[1:2]
	v_and_b32_e32 v1, 7, v30
; %bb.455:                              ;   in Loop: Header=BB366_10 Depth=1
	s_or_b32 exec_lo, exec_lo, s42
	v_lshlrev_b32_sdwa v26, v89, v26 dst_sel:DWORD dst_unused:UNUSED_PAD src0_sel:DWORD src1_sel:BYTE_3
	v_lshlrev_b32_e32 v1, 20, v1
	v_lshl_add_u32 v27, v27, 23, 0x3c000000
	v_and_b32_e32 v26, 0x80000000, v26
	v_or3_b32 v30, v1, v26, v27
.LBB366_456:                            ;   in Loop: Header=BB366_10 Depth=1
	s_or_b32 exec_lo, exec_lo, s41
.LBB366_457:                            ;   in Loop: Header=BB366_10 Depth=1
	s_or_b32 exec_lo, exec_lo, s40
.LBB366_458:                            ;   in Loop: Header=BB366_10 Depth=1
	s_or_b32 exec_lo, exec_lo, s4
	global_load_dword v31, v[7:8], off offset:1792
	v_mov_b32_e32 v27, 0
	v_mov_b32_e32 v28, 0
	s_waitcnt vmcnt(0)
	v_cmp_ne_u16_sdwa s3, v31, v2 src0_sel:BYTE_0 src1_sel:DWORD
	s_and_saveexec_b32 s4, s3
	s_cbranch_execz .LBB366_466
; %bb.459:                              ;   in Loop: Header=BB366_10 Depth=1
	v_cmp_ne_u16_sdwa s3, v31, v85 src0_sel:BYTE_0 src1_sel:DWORD
	v_bfrev_b32_e32 v28, 1
	s_and_saveexec_b32 s40, s3
	s_cbranch_execz .LBB366_465
; %bb.460:                              ;   in Loop: Header=BB366_10 Depth=1
	v_and_b32_e32 v32, 0x7f, v31
	v_mov_b32_e32 v28, 0x7f800001
	s_mov_b32 s41, exec_lo
	v_cmpx_ne_u32_e32 0x7f, v32
	s_cbranch_execz .LBB366_464
; %bb.461:                              ;   in Loop: Header=BB366_10 Depth=1
	v_and_b32_e32 v1, 7, v31
	v_lshrrev_b32_e32 v26, 3, v32
	s_mov_b32 s42, exec_lo
	v_cmpx_gt_u32_e32 8, v32
; %bb.462:                              ;   in Loop: Header=BB366_10 Depth=1
	v_ffbh_u32_e32 v26, v1
	v_min_u32_e32 v26, 32, v26
	v_subrev_nc_u32_e32 v28, 28, v26
	v_sub_nc_u32_e32 v26, 29, v26
	v_lshlrev_b64 v[32:33], v28, v[1:2]
	v_and_b32_e32 v1, 7, v32
; %bb.463:                              ;   in Loop: Header=BB366_10 Depth=1
	s_or_b32 exec_lo, exec_lo, s42
	v_lshlrev_b32_e32 v28, 24, v31
	v_lshlrev_b32_e32 v1, 20, v1
	v_lshl_add_u32 v26, v26, 23, 0x3c000000
	v_and_b32_e32 v28, 0x80000000, v28
	v_or3_b32 v28, v1, v28, v26
.LBB366_464:                            ;   in Loop: Header=BB366_10 Depth=1
	s_or_b32 exec_lo, exec_lo, s41
.LBB366_465:                            ;   in Loop: Header=BB366_10 Depth=1
	s_or_b32 exec_lo, exec_lo, s40
.LBB366_466:                            ;   in Loop: Header=BB366_10 Depth=1
	s_or_b32 exec_lo, exec_lo, s4
	v_cmp_ne_u16_sdwa s3, v31, v2 src0_sel:BYTE_1 src1_sel:DWORD
	s_and_saveexec_b32 s4, s3
	s_cbranch_execz .LBB366_474
; %bb.467:                              ;   in Loop: Header=BB366_10 Depth=1
	v_cmp_ne_u16_sdwa s3, v31, v85 src0_sel:BYTE_1 src1_sel:DWORD
	v_bfrev_b32_e32 v27, 1
	s_and_saveexec_b32 s40, s3
	s_cbranch_execz .LBB366_473
; %bb.468:                              ;   in Loop: Header=BB366_10 Depth=1
	v_and_b32_sdwa v1, v86, v31 dst_sel:DWORD dst_unused:UNUSED_PAD src0_sel:DWORD src1_sel:BYTE_1
	v_mov_b32_e32 v27, 0x7f800001
	s_mov_b32 s41, exec_lo
	v_and_b32_e32 v32, 0x7f, v1
	v_cmpx_ne_u32_e32 0x7f, v32
	s_cbranch_execz .LBB366_472
; %bb.469:                              ;   in Loop: Header=BB366_10 Depth=1
	v_and_b32_e32 v1, 7, v1
	v_lshrrev_b32_e32 v26, 3, v32
	s_mov_b32 s42, exec_lo
	v_cmpx_gt_u32_e32 8, v32
; %bb.470:                              ;   in Loop: Header=BB366_10 Depth=1
	v_ffbh_u32_e32 v26, v1
	v_min_u32_e32 v26, 32, v26
	v_subrev_nc_u32_e32 v27, 28, v26
	v_sub_nc_u32_e32 v26, 29, v26
	v_lshlrev_b64 v[32:33], v27, v[1:2]
	v_and_b32_e32 v1, 7, v32
; %bb.471:                              ;   in Loop: Header=BB366_10 Depth=1
	s_or_b32 exec_lo, exec_lo, s42
	v_lshlrev_b32_e32 v27, 16, v31
	v_lshlrev_b32_e32 v1, 20, v1
	v_lshl_add_u32 v26, v26, 23, 0x3c000000
	v_and_b32_e32 v27, 0x80000000, v27
	v_or3_b32 v27, v1, v27, v26
.LBB366_472:                            ;   in Loop: Header=BB366_10 Depth=1
	s_or_b32 exec_lo, exec_lo, s41
.LBB366_473:                            ;   in Loop: Header=BB366_10 Depth=1
	s_or_b32 exec_lo, exec_lo, s40
.LBB366_474:                            ;   in Loop: Header=BB366_10 Depth=1
	s_or_b32 exec_lo, exec_lo, s4
	v_and_b32_sdwa v1, v31, v87 dst_sel:DWORD dst_unused:UNUSED_PAD src0_sel:WORD_1 src1_sel:DWORD
	v_mov_b32_e32 v33, 0
	v_mov_b32_e32 v26, 0
	s_mov_b32 s4, exec_lo
	v_cmpx_ne_u16_e32 0, v1
	s_cbranch_execz .LBB366_482
; %bb.475:                              ;   in Loop: Header=BB366_10 Depth=1
	v_bfrev_b32_e32 v26, 1
	s_mov_b32 s40, exec_lo
	v_cmpx_ne_u16_e32 0x80, v1
	s_cbranch_execz .LBB366_481
; %bb.476:                              ;   in Loop: Header=BB366_10 Depth=1
	v_bfe_u32 v32, v31, 16, 7
	v_mov_b32_e32 v26, 0x7f800001
	s_mov_b32 s41, exec_lo
	v_cmpx_ne_u32_e32 0x7f, v32
	s_cbranch_execz .LBB366_480
; %bb.477:                              ;   in Loop: Header=BB366_10 Depth=1
	v_and_b32_sdwa v1, v31, v88 dst_sel:DWORD dst_unused:UNUSED_PAD src0_sel:WORD_1 src1_sel:DWORD
	v_lshrrev_b32_e32 v26, 3, v32
	s_mov_b32 s42, exec_lo
	v_cmpx_gt_u32_e32 8, v32
; %bb.478:                              ;   in Loop: Header=BB366_10 Depth=1
	v_ffbh_u32_e32 v26, v1
	v_min_u32_e32 v26, 32, v26
	v_subrev_nc_u32_e32 v32, 28, v26
	v_sub_nc_u32_e32 v26, 29, v26
	v_lshlrev_b64 v[34:35], v32, v[1:2]
	v_and_b32_e32 v1, 7, v34
; %bb.479:                              ;   in Loop: Header=BB366_10 Depth=1
	s_or_b32 exec_lo, exec_lo, s42
	v_lshlrev_b32_sdwa v32, v89, v31 dst_sel:DWORD dst_unused:UNUSED_PAD src0_sel:DWORD src1_sel:WORD_1
	v_lshlrev_b32_e32 v1, 20, v1
	v_lshl_add_u32 v26, v26, 23, 0x3c000000
	v_and_b32_e32 v32, 0x80000000, v32
	v_or3_b32 v26, v1, v32, v26
.LBB366_480:                            ;   in Loop: Header=BB366_10 Depth=1
	s_or_b32 exec_lo, exec_lo, s41
.LBB366_481:                            ;   in Loop: Header=BB366_10 Depth=1
	s_or_b32 exec_lo, exec_lo, s40
.LBB366_482:                            ;   in Loop: Header=BB366_10 Depth=1
	s_or_b32 exec_lo, exec_lo, s4
	s_mov_b32 s4, exec_lo
	v_cmpx_lt_u32_e32 0xffffff, v31
	s_cbranch_execz .LBB366_490
; %bb.483:                              ;   in Loop: Header=BB366_10 Depth=1
	v_cmp_ne_u32_sdwa s3, v31, v85 src0_sel:BYTE_3 src1_sel:DWORD
	v_bfrev_b32_e32 v33, 1
	s_and_saveexec_b32 s40, s3
	s_cbranch_execz .LBB366_489
; %bb.484:                              ;   in Loop: Header=BB366_10 Depth=1
	v_bfe_u32 v34, v31, 24, 7
	v_mov_b32_e32 v33, 0x7f800001
	s_mov_b32 s41, exec_lo
	v_cmpx_ne_u32_e32 0x7f, v34
	s_cbranch_execz .LBB366_488
; %bb.485:                              ;   in Loop: Header=BB366_10 Depth=1
	v_and_b32_sdwa v1, v31, v88 dst_sel:DWORD dst_unused:UNUSED_PAD src0_sel:BYTE_3 src1_sel:DWORD
	v_lshrrev_b32_e32 v32, 3, v34
	s_mov_b32 s42, exec_lo
	v_cmpx_gt_u32_e32 8, v34
; %bb.486:                              ;   in Loop: Header=BB366_10 Depth=1
	v_ffbh_u32_e32 v32, v1
	v_min_u32_e32 v32, 32, v32
	v_subrev_nc_u32_e32 v33, 28, v32
	v_sub_nc_u32_e32 v32, 29, v32
	v_lshlrev_b64 v[33:34], v33, v[1:2]
	v_and_b32_e32 v1, 7, v33
; %bb.487:                              ;   in Loop: Header=BB366_10 Depth=1
	s_or_b32 exec_lo, exec_lo, s42
	v_lshlrev_b32_sdwa v31, v89, v31 dst_sel:DWORD dst_unused:UNUSED_PAD src0_sel:DWORD src1_sel:BYTE_3
	v_lshlrev_b32_e32 v1, 20, v1
	v_lshl_add_u32 v32, v32, 23, 0x3c000000
	v_and_b32_e32 v31, 0x80000000, v31
	v_or3_b32 v33, v1, v31, v32
.LBB366_488:                            ;   in Loop: Header=BB366_10 Depth=1
	s_or_b32 exec_lo, exec_lo, s41
.LBB366_489:                            ;   in Loop: Header=BB366_10 Depth=1
	s_or_b32 exec_lo, exec_lo, s40
.LBB366_490:                            ;   in Loop: Header=BB366_10 Depth=1
	s_or_b32 exec_lo, exec_lo, s4
	global_load_dword v34, v[7:8], off offset:1800
	v_mov_b32_e32 v36, 0
	v_mov_b32_e32 v35, 0
	s_waitcnt vmcnt(0)
	v_cmp_ne_u16_sdwa s3, v34, v2 src0_sel:BYTE_0 src1_sel:DWORD
	s_and_saveexec_b32 s4, s3
	s_cbranch_execz .LBB366_498
; %bb.491:                              ;   in Loop: Header=BB366_10 Depth=1
	v_cmp_ne_u16_sdwa s3, v34, v85 src0_sel:BYTE_0 src1_sel:DWORD
	v_bfrev_b32_e32 v35, 1
	s_and_saveexec_b32 s40, s3
	s_cbranch_execz .LBB366_497
; %bb.492:                              ;   in Loop: Header=BB366_10 Depth=1
	v_and_b32_e32 v8, 0x7f, v34
	v_mov_b32_e32 v35, 0x7f800001
	s_mov_b32 s41, exec_lo
	v_cmpx_ne_u32_e32 0x7f, v8
	s_cbranch_execz .LBB366_496
; %bb.493:                              ;   in Loop: Header=BB366_10 Depth=1
	v_and_b32_e32 v1, 7, v34
	v_lshrrev_b32_e32 v7, 3, v8
	s_mov_b32 s42, exec_lo
	v_cmpx_gt_u32_e32 8, v8
; %bb.494:                              ;   in Loop: Header=BB366_10 Depth=1
	v_ffbh_u32_e32 v7, v1
	v_min_u32_e32 v7, 32, v7
	v_subrev_nc_u32_e32 v8, 28, v7
	v_sub_nc_u32_e32 v7, 29, v7
	v_lshlrev_b64 v[31:32], v8, v[1:2]
	v_and_b32_e32 v1, 7, v31
; %bb.495:                              ;   in Loop: Header=BB366_10 Depth=1
	s_or_b32 exec_lo, exec_lo, s42
	v_lshlrev_b32_e32 v8, 24, v34
	v_lshlrev_b32_e32 v1, 20, v1
	v_lshl_add_u32 v7, v7, 23, 0x3c000000
	v_and_b32_e32 v8, 0x80000000, v8
	v_or3_b32 v35, v1, v8, v7
.LBB366_496:                            ;   in Loop: Header=BB366_10 Depth=1
	s_or_b32 exec_lo, exec_lo, s41
.LBB366_497:                            ;   in Loop: Header=BB366_10 Depth=1
	s_or_b32 exec_lo, exec_lo, s40
.LBB366_498:                            ;   in Loop: Header=BB366_10 Depth=1
	s_or_b32 exec_lo, exec_lo, s4
	v_cmp_ne_u16_sdwa s3, v34, v2 src0_sel:BYTE_1 src1_sel:DWORD
	s_and_saveexec_b32 s4, s3
	s_cbranch_execz .LBB366_506
; %bb.499:                              ;   in Loop: Header=BB366_10 Depth=1
	v_cmp_ne_u16_sdwa s3, v34, v85 src0_sel:BYTE_1 src1_sel:DWORD
	v_bfrev_b32_e32 v36, 1
	s_and_saveexec_b32 s40, s3
	s_cbranch_execz .LBB366_505
; %bb.500:                              ;   in Loop: Header=BB366_10 Depth=1
	v_and_b32_sdwa v1, v86, v34 dst_sel:DWORD dst_unused:UNUSED_PAD src0_sel:DWORD src1_sel:BYTE_1
	v_mov_b32_e32 v36, 0x7f800001
	s_mov_b32 s41, exec_lo
	v_and_b32_e32 v7, 0x7f, v1
	v_cmpx_ne_u32_e32 0x7f, v7
	s_cbranch_execz .LBB366_504
; %bb.501:                              ;   in Loop: Header=BB366_10 Depth=1
	v_and_b32_e32 v1, 7, v1
	v_lshrrev_b32_e32 v31, 3, v7
	v_cmp_gt_u32_e64 s3, 8, v7
	v_mov_b32_e32 v8, v2
	v_mov_b32_e32 v7, v1
	s_and_saveexec_b32 s42, s3
; %bb.502:                              ;   in Loop: Header=BB366_10 Depth=1
	v_ffbh_u32_e32 v7, v1
	v_min_u32_e32 v31, 32, v7
	v_subrev_nc_u32_e32 v7, 28, v31
	v_sub_nc_u32_e32 v31, 29, v31
	v_lshlrev_b64 v[7:8], v7, v[1:2]
	v_and_b32_e32 v7, 7, v7
; %bb.503:                              ;   in Loop: Header=BB366_10 Depth=1
	s_or_b32 exec_lo, exec_lo, s42
	v_lshlrev_b32_e32 v1, 16, v34
	v_lshlrev_b32_e32 v7, 20, v7
	v_lshl_add_u32 v8, v31, 23, 0x3c000000
	v_and_b32_e32 v1, 0x80000000, v1
	v_or3_b32 v36, v7, v1, v8
.LBB366_504:                            ;   in Loop: Header=BB366_10 Depth=1
	s_or_b32 exec_lo, exec_lo, s41
.LBB366_505:                            ;   in Loop: Header=BB366_10 Depth=1
	s_or_b32 exec_lo, exec_lo, s40
.LBB366_506:                            ;   in Loop: Header=BB366_10 Depth=1
	s_or_b32 exec_lo, exec_lo, s4
	v_and_b32_sdwa v1, v34, v87 dst_sel:DWORD dst_unused:UNUSED_PAD src0_sel:WORD_1 src1_sel:DWORD
	v_mov_b32_e32 v31, 0
	v_mov_b32_e32 v32, 0
	s_mov_b32 s4, exec_lo
	v_cmpx_ne_u16_e32 0, v1
	s_cbranch_execz .LBB366_514
; %bb.507:                              ;   in Loop: Header=BB366_10 Depth=1
	v_bfrev_b32_e32 v32, 1
	s_mov_b32 s40, exec_lo
	v_cmpx_ne_u16_e32 0x80, v1
	s_cbranch_execz .LBB366_513
; %bb.508:                              ;   in Loop: Header=BB366_10 Depth=1
	v_bfe_u32 v7, v34, 16, 7
	v_mov_b32_e32 v32, 0x7f800001
	s_mov_b32 s41, exec_lo
	v_cmpx_ne_u32_e32 0x7f, v7
	s_cbranch_execz .LBB366_512
; %bb.509:                              ;   in Loop: Header=BB366_10 Depth=1
	v_and_b32_sdwa v1, v34, v88 dst_sel:DWORD dst_unused:UNUSED_PAD src0_sel:WORD_1 src1_sel:DWORD
	v_lshrrev_b32_e32 v32, 3, v7
	v_cmp_gt_u32_e64 s3, 8, v7
	v_mov_b32_e32 v8, v2
	v_mov_b32_e32 v7, v1
	s_and_saveexec_b32 s42, s3
; %bb.510:                              ;   in Loop: Header=BB366_10 Depth=1
	v_ffbh_u32_e32 v7, v1
	v_min_u32_e32 v32, 32, v7
	v_subrev_nc_u32_e32 v7, 28, v32
	v_sub_nc_u32_e32 v32, 29, v32
	v_lshlrev_b64 v[7:8], v7, v[1:2]
	v_and_b32_e32 v7, 7, v7
; %bb.511:                              ;   in Loop: Header=BB366_10 Depth=1
	s_or_b32 exec_lo, exec_lo, s42
	v_lshlrev_b32_sdwa v1, v89, v34 dst_sel:DWORD dst_unused:UNUSED_PAD src0_sel:DWORD src1_sel:WORD_1
	v_lshlrev_b32_e32 v7, 20, v7
	v_lshl_add_u32 v8, v32, 23, 0x3c000000
	v_and_b32_e32 v1, 0x80000000, v1
	v_or3_b32 v32, v7, v1, v8
.LBB366_512:                            ;   in Loop: Header=BB366_10 Depth=1
	s_or_b32 exec_lo, exec_lo, s41
.LBB366_513:                            ;   in Loop: Header=BB366_10 Depth=1
	s_or_b32 exec_lo, exec_lo, s40
.LBB366_514:                            ;   in Loop: Header=BB366_10 Depth=1
	s_or_b32 exec_lo, exec_lo, s4
	s_mov_b32 s4, exec_lo
	v_cmpx_lt_u32_e32 0xffffff, v34
	s_cbranch_execz .LBB366_522
; %bb.515:                              ;   in Loop: Header=BB366_10 Depth=1
	v_cmp_ne_u32_sdwa s3, v34, v85 src0_sel:BYTE_3 src1_sel:DWORD
	v_bfrev_b32_e32 v31, 1
	s_and_saveexec_b32 s40, s3
	s_cbranch_execz .LBB366_521
; %bb.516:                              ;   in Loop: Header=BB366_10 Depth=1
	v_bfe_u32 v7, v34, 24, 7
	v_mov_b32_e32 v31, 0x7f800001
	s_mov_b32 s41, exec_lo
	v_cmpx_ne_u32_e32 0x7f, v7
	s_cbranch_execz .LBB366_520
; %bb.517:                              ;   in Loop: Header=BB366_10 Depth=1
	v_and_b32_sdwa v1, v34, v88 dst_sel:DWORD dst_unused:UNUSED_PAD src0_sel:BYTE_3 src1_sel:DWORD
	v_lshrrev_b32_e32 v31, 3, v7
	v_cmp_gt_u32_e64 s3, 8, v7
	v_mov_b32_e32 v8, v2
	v_mov_b32_e32 v7, v1
	s_and_saveexec_b32 s42, s3
; %bb.518:                              ;   in Loop: Header=BB366_10 Depth=1
	v_ffbh_u32_e32 v7, v1
	v_min_u32_e32 v31, 32, v7
	v_subrev_nc_u32_e32 v7, 28, v31
	v_sub_nc_u32_e32 v31, 29, v31
	v_lshlrev_b64 v[7:8], v7, v[1:2]
	v_and_b32_e32 v7, 7, v7
; %bb.519:                              ;   in Loop: Header=BB366_10 Depth=1
	s_or_b32 exec_lo, exec_lo, s42
	v_lshlrev_b32_sdwa v1, v89, v34 dst_sel:DWORD dst_unused:UNUSED_PAD src0_sel:DWORD src1_sel:BYTE_3
	v_lshlrev_b32_e32 v7, 20, v7
	v_lshl_add_u32 v8, v31, 23, 0x3c000000
	v_and_b32_e32 v1, 0x80000000, v1
	v_or3_b32 v31, v7, v1, v8
.LBB366_520:                            ;   in Loop: Header=BB366_10 Depth=1
	s_or_b32 exec_lo, exec_lo, s41
.LBB366_521:                            ;   in Loop: Header=BB366_10 Depth=1
	s_or_b32 exec_lo, exec_lo, s40
.LBB366_522:                            ;   in Loop: Header=BB366_10 Depth=1
	s_or_b32 exec_lo, exec_lo, s4
	v_mul_f32_e32 v1, s16, v36
	v_mul_f32_e32 v27, s16, v27
	v_mul_f32_e32 v28, s16, v28
	v_mul_f32_e32 v29, s16, v29
	v_mul_f32_e32 v30, s16, v30
	v_bfe_u32 v7, v1, 16, 1
	v_or_b32_e32 v8, 0x400000, v1
	v_cmp_u_f32_e64 s3, v1, v1
	v_mul_f32_e32 v25, s16, v25
	v_mul_f32_e32 v21, s16, v21
	v_add3_u32 v7, v7, v1, 0x7fff
	v_mul_f32_e32 v20, s16, v20
	v_mul_f32_e32 v19, s16, v19
	v_mul_f32_e32 v18, s16, v18
	v_mul_f32_e32 v17, s16, v17
	v_cndmask_b32_e64 v1, v7, v8, s3
	v_mul_f32_e32 v7, s16, v35
	v_mul_f32_e32 v16, s16, v16
	v_mul_f32_e32 v15, s16, v15
	v_mul_f32_e32 v14, s16, v14
	v_mul_f32_e32 v13, s16, v13
	v_bfe_u32 v8, v7, 16, 1
	v_or_b32_e32 v34, 0x400000, v7
	v_cmp_u_f32_e64 s3, v7, v7
	v_mul_f32_e32 v0, s16, v0
	v_mul_f32_e32 v24, s16, v24
	v_add3_u32 v8, v8, v7, 0x7fff
	v_mul_f32_e32 v11, s16, v11
	v_mul_f32_e32 v22, s16, v22
	v_mul_f32_e32 v108, s16, v108
	v_mul_f32_e32 v107, s16, v107
	v_cndmask_b32_e64 v7, v8, v34, s3
	;; [unrolled: 16-line block ×3, first 2 shown]
	v_bfe_u32 v33, v8, 16, 1
	v_or_b32_e32 v34, 0x400000, v8
	v_cmp_u_f32_e64 s3, v8, v8
	v_mul_f32_e32 v97, s16, v97
	v_mul_f32_e32 v96, s16, v96
	v_add3_u32 v33, v33, v8, 0x7fff
	v_mul_f32_e32 v95, s16, v95
	v_mul_f32_e32 v94, s16, v94
	;; [unrolled: 1-line block ×4, first 2 shown]
	v_cndmask_b32_e64 v8, v33, v34, s3
	v_bfe_u32 v33, v27, 16, 1
	v_or_b32_e32 v34, 0x400000, v27
	v_cmp_u_f32_e64 s3, v27, v27
	v_mul_f32_e32 v91, s16, v91
	v_mul_f32_e32 v32, s16, v32
	v_add3_u32 v33, v33, v27, 0x7fff
	v_mul_f32_e32 v31, s16, v31
	v_cndmask_b32_e64 v27, v33, v34, s3
	v_bfe_u32 v33, v28, 16, 1
	v_or_b32_e32 v34, 0x400000, v28
	v_cmp_u_f32_e64 s3, v28, v28
	v_add3_u32 v33, v33, v28, 0x7fff
	v_cndmask_b32_e64 v28, v33, v34, s3
	v_bfe_u32 v33, v29, 16, 1
	v_or_b32_e32 v34, 0x400000, v29
	v_cmp_u_f32_e64 s3, v29, v29
	v_add3_u32 v33, v33, v29, 0x7fff
	;; [unrolled: 5-line block ×14, first 2 shown]
	v_mul_f32_e32 v0, s16, v12
	v_cndmask_b32_e64 v33, v33, v34, s3
	v_bfe_u32 v12, v0, 16, 1
	v_or_b32_e32 v34, 0x400000, v0
	v_cmp_u_f32_e64 s3, v0, v0
	v_add3_u32 v12, v12, v0, 0x7fff
	v_cndmask_b32_e64 v0, v12, v34, s3
	v_mul_f32_e32 v12, s16, v47
	v_and_b32_e32 v0, 0xffff0000, v0
	v_bfe_u32 v34, v12, 16, 1
	v_or_b32_e32 v35, 0x400000, v12
	v_cmp_u_f32_e64 s3, v12, v12
	v_add3_u32 v34, v34, v12, 0x7fff
	v_cndmask_b32_e64 v12, v34, v35, s3
	v_bfe_u32 v34, v24, 16, 1
	v_or_b32_e32 v35, 0x400000, v24
	v_cmp_u_f32_e64 s3, v24, v24
	v_add3_u32 v34, v34, v24, 0x7fff
	v_cndmask_b32_e64 v24, v34, v35, s3
	v_bfe_u32 v34, v11, 16, 1
	v_or_b32_e32 v35, 0x400000, v11
	v_cmp_u_f32_e64 s3, v11, v11
	v_add3_u32 v34, v34, v11, 0x7fff
	v_mul_f32_e32 v11, s16, v23
	v_cndmask_b32_e64 v47, v34, v35, s3
	v_bfe_u32 v23, v11, 16, 1
	v_or_b32_e32 v34, 0x400000, v11
	v_cmp_u_f32_e64 s3, v11, v11
	v_add3_u32 v23, v23, v11, 0x7fff
	v_cndmask_b32_e64 v11, v23, v34, s3
	v_bfe_u32 v23, v22, 16, 1
	v_or_b32_e32 v34, 0x400000, v22
	v_cmp_u_f32_e64 s3, v22, v22
	v_and_b32_e32 v11, 0xffff0000, v11
	v_add3_u32 v23, v23, v22, 0x7fff
	v_cndmask_b32_e64 v22, v23, v34, s3
	v_mul_f32_e32 v23, s16, v127
	v_and_b32_e32 v22, 0xffff0000, v22
	v_bfe_u32 v34, v23, 16, 1
	v_or_b32_e32 v35, 0x400000, v23
	v_cmp_u_f32_e64 s3, v23, v23
	v_add3_u32 v34, v34, v23, 0x7fff
	v_cndmask_b32_e64 v23, v34, v35, s3
	v_mul_f32_e32 v34, s16, v126
	v_and_b32_e32 v23, 0xffff0000, v23
	v_bfe_u32 v35, v34, 16, 1
	v_or_b32_e32 v36, 0x400000, v34
	v_cmp_u_f32_e64 s3, v34, v34
	v_add3_u32 v35, v35, v34, 0x7fff
	v_mul_f32_e32 v34, s16, v125
	v_cndmask_b32_e64 v126, v35, v36, s3
	v_bfe_u32 v35, v34, 16, 1
	v_or_b32_e32 v36, 0x400000, v34
	v_cmp_u_f32_e64 s3, v34, v34
	v_add3_u32 v35, v35, v34, 0x7fff
	v_mul_f32_e32 v34, s16, v124
	v_cndmask_b32_e64 v125, v35, v36, s3
	v_bfe_u32 v35, v34, 16, 1
	v_or_b32_e32 v36, 0x400000, v34
	v_cmp_u_f32_e64 s3, v34, v34
	v_add3_u32 v35, v35, v34, 0x7fff
	v_mul_f32_e32 v34, s16, v123
	v_cndmask_b32_e64 v124, v35, v36, s3
	v_bfe_u32 v35, v34, 16, 1
	v_or_b32_e32 v36, 0x400000, v34
	v_cmp_u_f32_e64 s3, v34, v34
	v_add3_u32 v35, v35, v34, 0x7fff
	v_mul_f32_e32 v34, s16, v122
	v_cndmask_b32_e64 v123, v35, v36, s3
	v_bfe_u32 v35, v34, 16, 1
	v_or_b32_e32 v36, 0x400000, v34
	v_cmp_u_f32_e64 s3, v34, v34
	v_add3_u32 v35, v35, v34, 0x7fff
	v_mul_f32_e32 v34, s16, v121
	v_cndmask_b32_e64 v122, v35, v36, s3
	v_bfe_u32 v35, v34, 16, 1
	v_or_b32_e32 v36, 0x400000, v34
	v_cmp_u_f32_e64 s3, v34, v34
	v_add3_u32 v35, v35, v34, 0x7fff
	v_mul_f32_e32 v34, s16, v120
	v_cndmask_b32_e64 v121, v35, v36, s3
	v_bfe_u32 v35, v34, 16, 1
	v_or_b32_e32 v36, 0x400000, v34
	v_cmp_u_f32_e64 s3, v34, v34
	v_add3_u32 v35, v35, v34, 0x7fff
	v_mul_f32_e32 v34, s16, v119
	v_cndmask_b32_e64 v120, v35, v36, s3
	v_bfe_u32 v35, v34, 16, 1
	v_or_b32_e32 v36, 0x400000, v34
	v_cmp_u_f32_e64 s3, v34, v34
	v_add3_u32 v35, v35, v34, 0x7fff
	v_mul_f32_e32 v34, s16, v118
	v_cndmask_b32_e64 v119, v35, v36, s3
	v_bfe_u32 v35, v34, 16, 1
	v_or_b32_e32 v36, 0x400000, v34
	v_cmp_u_f32_e64 s3, v34, v34
	v_add3_u32 v35, v35, v34, 0x7fff
	v_mul_f32_e32 v34, s16, v117
	v_cndmask_b32_e64 v118, v35, v36, s3
	v_bfe_u32 v35, v34, 16, 1
	v_or_b32_e32 v36, 0x400000, v34
	v_cmp_u_f32_e64 s3, v34, v34
	v_add3_u32 v35, v35, v34, 0x7fff
	v_mul_f32_e32 v34, s16, v116
	v_cndmask_b32_e64 v117, v35, v36, s3
	v_bfe_u32 v35, v34, 16, 1
	v_or_b32_e32 v36, 0x400000, v34
	v_cmp_u_f32_e64 s3, v34, v34
	v_add3_u32 v35, v35, v34, 0x7fff
	v_mul_f32_e32 v34, s16, v115
	v_cndmask_b32_e64 v116, v35, v36, s3
	v_bfe_u32 v35, v34, 16, 1
	v_or_b32_e32 v36, 0x400000, v34
	v_cmp_u_f32_e64 s3, v34, v34
	v_add3_u32 v35, v35, v34, 0x7fff
	v_mul_f32_e32 v34, s16, v114
	v_cndmask_b32_e64 v115, v35, v36, s3
	v_bfe_u32 v35, v34, 16, 1
	v_or_b32_e32 v36, 0x400000, v34
	v_cmp_u_f32_e64 s3, v34, v34
	v_add3_u32 v35, v35, v34, 0x7fff
	v_mul_f32_e32 v34, s16, v113
	v_cndmask_b32_e64 v114, v35, v36, s3
	v_bfe_u32 v35, v34, 16, 1
	v_or_b32_e32 v36, 0x400000, v34
	v_cmp_u_f32_e64 s3, v34, v34
	v_add3_u32 v35, v35, v34, 0x7fff
	v_mul_f32_e32 v34, s16, v112
	v_cndmask_b32_e64 v113, v35, v36, s3
	v_bfe_u32 v35, v34, 16, 1
	v_or_b32_e32 v36, 0x400000, v34
	v_cmp_u_f32_e64 s3, v34, v34
	v_add3_u32 v35, v35, v34, 0x7fff
	v_mul_f32_e32 v34, s16, v111
	v_cndmask_b32_e64 v112, v35, v36, s3
	v_bfe_u32 v35, v34, 16, 1
	v_or_b32_e32 v36, 0x400000, v34
	v_cmp_u_f32_e64 s3, v34, v34
	v_add3_u32 v35, v35, v34, 0x7fff
	v_cndmask_b32_e64 v34, v35, v36, s3
	v_mul_f32_e32 v35, s16, v110
	v_and_b32_e32 v34, 0xffff0000, v34
	v_bfe_u32 v36, v35, 16, 1
	v_or_b32_e32 v110, 0x400000, v35
	v_cmp_u_f32_e64 s3, v35, v35
	v_add3_u32 v36, v36, v35, 0x7fff
	v_mul_f32_e32 v35, s16, v109
	v_cndmask_b32_e64 v36, v36, v110, s3
	v_bfe_u32 v109, v35, 16, 1
	v_or_b32_e32 v110, 0x400000, v35
	v_cmp_u_f32_e64 s3, v35, v35
	v_and_b32_e32 v36, 0xffff0000, v36
	v_add3_u32 v109, v109, v35, 0x7fff
	v_cndmask_b32_e64 v35, v109, v110, s3
	v_bfe_u32 v109, v108, 16, 1
	v_or_b32_e32 v110, 0x400000, v108
	v_cmp_u_f32_e64 s3, v108, v108
	v_and_b32_e32 v35, 0xffff0000, v35
	v_add3_u32 v109, v109, v108, 0x7fff
	v_cndmask_b32_e64 v108, v109, v110, s3
	v_bfe_u32 v109, v107, 16, 1
	v_or_b32_e32 v110, 0x400000, v107
	v_cmp_u_f32_e64 s3, v107, v107
	v_add3_u32 v109, v109, v107, 0x7fff
	v_cndmask_b32_e64 v107, v109, v110, s3
	v_bfe_u32 v109, v106, 16, 1
	v_or_b32_e32 v110, 0x400000, v106
	v_cmp_u_f32_e64 s3, v106, v106
	;; [unrolled: 5-line block ×15, first 2 shown]
	v_and_b32_e32 v94, 0xffff0000, v94
	v_add3_u32 v109, v109, v93, 0x7fff
	v_bfe_u32 v93, v92, 16, 1
	v_cndmask_b32_e64 v109, v109, v110, s3
	v_add3_u32 v93, v93, v92, 0x7fff
	v_or_b32_e32 v110, 0x400000, v92
	v_cmp_u_f32_e64 s3, v92, v92
	v_cndmask_b32_e64 v92, v93, v110, s3
	v_bfe_u32 v93, v91, 16, 1
	v_or_b32_e32 v110, 0x400000, v91
	v_cmp_u_f32_e64 s3, v91, v91
	v_add3_u32 v93, v93, v91, 0x7fff
	v_cndmask_b32_e64 v91, v93, v110, s3
	v_bfe_u32 v93, v32, 16, 1
	v_or_b32_e32 v110, 0x400000, v32
	v_cmp_u_f32_e64 s3, v32, v32
	v_add3_u32 v93, v93, v32, 0x7fff
	;; [unrolled: 5-line block ×3, first 2 shown]
	v_cndmask_b32_e64 v31, v93, v110, s3
	v_and_b32_e32 v93, 0xffff0000, v95
	v_and_b32_e32 v95, 0xffff0000, v91
	buffer_load_dword v91, off, s[44:47], 0 offset:16 ; 4-byte Folded Reload
	s_waitcnt vmcnt(0)
	v_mul_f32_e32 v91, v91, v93
	buffer_load_dword v93, off, s[44:47], 0 ; 4-byte Folded Reload
	s_waitcnt vmcnt(0)
	v_fmac_f32_e32 v91, v93, v95
	v_and_b32_e32 v95, 0xffff0000, v92
	buffer_load_dword v92, off, s[44:47], 0 offset:20 ; 4-byte Folded Reload
	v_and_b32_e32 v93, 0xffff0000, v96
	buffer_load_dword v96, off, s[44:47], 0 offset:28 ; 4-byte Folded Reload
	s_waitcnt vmcnt(1)
	v_mul_f32_e32 v92, v92, v93
	buffer_load_dword v93, off, s[44:47], 0 offset:4 ; 4-byte Folded Reload
	s_waitcnt vmcnt(0)
	v_fmac_f32_e32 v92, v93, v95
	buffer_load_dword v95, off, s[44:47], 0 offset:24 ; 4-byte Folded Reload
	v_and_b32_e32 v93, 0xffff0000, v98
	s_waitcnt vmcnt(0)
	v_mul_f32_e32 v93, v95, v93
	buffer_load_dword v95, off, s[44:47], 0 offset:8 ; 4-byte Folded Reload
	s_waitcnt vmcnt(0)
	v_fmac_f32_e32 v93, v95, v94
	v_and_b32_e32 v94, 0xffff0000, v97
	v_and_b32_e32 v95, 0xffff0000, v109
	v_mul_f32_e32 v94, v96, v94
	buffer_load_dword v96, off, s[44:47], 0 offset:12 ; 4-byte Folded Reload
	s_waitcnt vmcnt(0)
	v_fmac_f32_e32 v94, v96, v95
	buffer_load_dword v96, off, s[44:47], 0 offset:32 ; 4-byte Folded Reload
	v_and_b32_e32 v95, 0xffff0000, v99
	s_waitcnt vmcnt(0)
	v_fmac_f32_e32 v91, v96, v95
	buffer_load_dword v96, off, s[44:47], 0 offset:36 ; 4-byte Folded Reload
	v_and_b32_e32 v95, 0xffff0000, v100
	;; [unrolled: 4-line block ×10, first 2 shown]
	s_waitcnt vmcnt(0)
	v_fmac_f32_e32 v92, v96, v95
	buffer_load_dword v95, off, s[44:47], 0 offset:72 ; 4-byte Folded Reload
	s_waitcnt vmcnt(0)
	v_fmac_f32_e32 v93, v95, v36
	buffer_load_dword v36, off, s[44:47], 0 offset:76 ; 4-byte Folded Reload
	;; [unrolled: 3-line block ×3, first 2 shown]
	s_waitcnt vmcnt(0)
	v_fmac_f32_e32 v91, v35, v34
	v_and_b32_e32 v34, 0xffff0000, v112
	v_fmac_f32_e32 v92, v37, v34
	v_and_b32_e32 v34, 0xffff0000, v114
	v_fmac_f32_e32 v93, v38, v34
	v_and_b32_e32 v34, 0xffff0000, v113
	v_fmac_f32_e32 v94, v39, v34
	v_and_b32_e32 v34, 0xffff0000, v115
	v_fmac_f32_e32 v91, v40, v34
	v_and_b32_e32 v34, 0xffff0000, v116
	v_fmac_f32_e32 v92, v41, v34
	v_and_b32_e32 v34, 0xffff0000, v118
	v_fmac_f32_e32 v93, v42, v34
	v_and_b32_e32 v34, 0xffff0000, v117
	v_fmac_f32_e32 v94, v43, v34
	v_and_b32_e32 v34, 0xffff0000, v119
	v_fmac_f32_e32 v91, v44, v34
	v_and_b32_e32 v34, 0xffff0000, v120
	v_fmac_f32_e32 v92, v45, v34
	v_and_b32_e32 v34, 0xffff0000, v122
	v_fmac_f32_e32 v93, v46, v34
	v_and_b32_e32 v34, 0xffff0000, v121
	v_fmac_f32_e32 v94, v48, v34
	v_and_b32_e32 v34, 0xffff0000, v123
	v_fmac_f32_e32 v91, v49, v34
	v_and_b32_e32 v34, 0xffff0000, v124
	v_fmac_f32_e32 v91, v53, v23
	v_fmac_f32_e32 v92, v50, v34
	v_and_b32_e32 v34, 0xffff0000, v126
	v_fmac_f32_e32 v92, v54, v22
	v_fmac_f32_e32 v93, v51, v34
	v_and_b32_e32 v34, 0xffff0000, v125
	v_and_b32_e32 v22, 0xffff0000, v47
	v_fmac_f32_e32 v94, v52, v34
	v_fmac_f32_e32 v93, v55, v22
	;; [unrolled: 1-line block ×3, first 2 shown]
	v_and_b32_e32 v11, 0xffff0000, v24
	v_fmac_f32_e32 v94, v60, v0
	v_fmac_f32_e32 v91, v57, v11
	v_and_b32_e32 v11, 0xffff0000, v12
	v_and_b32_e32 v0, 0xffff0000, v13
	v_fmac_f32_e32 v92, v58, v11
	v_and_b32_e32 v11, 0xffff0000, v33
	v_fmac_f32_e32 v91, v61, v0
	;; [unrolled: 2-line block ×3, first 2 shown]
	v_fmac_f32_e32 v92, v62, v0
	v_and_b32_e32 v0, 0xffff0000, v16
	v_fmac_f32_e32 v93, v63, v0
	v_and_b32_e32 v0, 0xffff0000, v15
	;; [unrolled: 2-line block ×15, first 2 shown]
	v_and_b32_e32 v1, 0xffff0000, v31
	v_fmac_f32_e32 v92, v78, v0
	v_and_b32_e32 v0, 0xffff0000, v8
	v_fmac_f32_e32 v94, v76, v0
	;; [unrolled: 2-line block ×3, first 2 shown]
	v_fmac_f32_e32 v93, v79, v0
	v_add_f32_e32 v0, v91, v92
	v_add_f32_e32 v0, v0, v93
	;; [unrolled: 1-line block ×3, first 2 shown]
	ds_bpermute_b32 v1, v83, v0
	s_and_saveexec_b32 s4, vcc_lo
	s_cbranch_execz .LBB366_9
; %bb.523:                              ;   in Loop: Header=BB366_10 Depth=1
	v_add_nc_u32_e32 v7, s5, v82
	s_waitcnt lgkmcnt(0)
	v_add_f32_e32 v0, v0, v1
	v_cmp_gt_i32_e64 s3, s27, v82
	v_cvt_f32_i32_e32 v7, v7
	v_mul_f32_e32 v7, s36, v7
	v_cndmask_b32_e64 v1, 0, v7, s2
	v_max_f32_e32 v7, v81, v81
	v_fmac_f32_e32 v1, s37, v0
	v_max_f32_e32 v0, v7, v1
	v_cndmask_b32_e64 v1, 0, v1, s3
	v_cndmask_b32_e64 v81, v81, v0, s3
	ds_write_b32 v84, v1
	s_branch .LBB366_9
.LBB366_524:
	s_or_b32 exec_lo, exec_lo, s17
	s_clause 0x4
	buffer_load_dword v23, off, s[44:47], 0 offset:88
	buffer_load_dword v24, off, s[44:47], 0 offset:92
	buffer_load_dword v35, off, s[44:47], 0 offset:96
	buffer_load_dword v14, off, s[44:47], 0 offset:100
	buffer_load_dword v27, off, s[44:47], 0 offset:104
	v_mov_b32_e32 v12, 32
.LBB366_525:
	s_or_b32 exec_lo, exec_lo, s38
	s_waitcnt vmcnt(0)
	v_xor_b32_e32 v0, 16, v27
	s_waitcnt lgkmcnt(0)
	v_xor_b32_e32 v1, 8, v27
	v_max_f32_e32 v5, v81, v81
	v_xor_b32_e32 v6, 2, v27
	v_and_b32_e32 v25, 31, v23
	v_cmp_lt_i32_e32 vcc_lo, v0, v12
	v_cndmask_b32_e32 v0, v27, v0, vcc_lo
	v_cmp_lt_i32_e32 vcc_lo, v1, v12
	v_lshlrev_b32_e32 v3, 2, v0
	v_cndmask_b32_e32 v1, v27, v1, vcc_lo
	ds_bpermute_b32 v0, v3, v81
	v_lshlrev_b32_e32 v4, 2, v1
	s_waitcnt lgkmcnt(0)
	v_max_f32_e32 v0, v0, v0
	v_max_f32_e32 v0, v5, v0
	v_xor_b32_e32 v5, 4, v27
	ds_bpermute_b32 v1, v4, v0
	v_cmp_lt_i32_e32 vcc_lo, v5, v12
	v_cndmask_b32_e32 v5, v27, v5, vcc_lo
	v_cmp_lt_i32_e32 vcc_lo, v6, v12
	v_lshlrev_b32_e32 v5, 2, v5
	v_cndmask_b32_e32 v6, v27, v6, vcc_lo
	v_cmp_eq_u32_e32 vcc_lo, 0, v25
	s_waitcnt lgkmcnt(0)
	v_max_f32_e32 v1, v1, v1
	v_max_f32_e32 v0, v0, v1
	ds_bpermute_b32 v1, v5, v0
	s_waitcnt lgkmcnt(0)
	v_max_f32_e32 v1, v1, v1
	v_max_f32_e32 v0, v0, v1
	v_lshlrev_b32_e32 v1, 2, v6
	v_lshlrev_b32_e32 v6, 2, v35
	ds_bpermute_b32 v7, v1, v0
	s_and_saveexec_b32 s2, vcc_lo
	s_cbranch_execz .LBB366_527
; %bb.526:
	s_waitcnt lgkmcnt(0)
	v_max_f32_e32 v7, v7, v7
	v_max_f32_e32 v0, v0, v0
	;; [unrolled: 1-line block ×3, first 2 shown]
	ds_write_b32 v6, v0 offset:256
.LBB366_527:
	s_or_b32 exec_lo, exec_lo, s2
	v_cmp_gt_u32_e64 s2, 4, v25
	v_mov_b32_e32 v0, 0xff7fffff
	s_waitcnt lgkmcnt(0)
	v_lshlrev_b32_e32 v7, 2, v25
	s_waitcnt_vscnt null, 0x0
	s_barrier
	buffer_gl0_inv
	s_and_saveexec_b32 s3, s2
; %bb.528:
	ds_read_b32 v0, v7 offset:256
; %bb.529:
	s_or_b32 exec_lo, exec_lo, s3
	s_waitcnt lgkmcnt(0)
	ds_bpermute_b32 v8, v1, v0
	v_xor_b32_e32 v11, 1, v27
	v_max_f32_e32 v0, v0, v0
	v_lshlrev_b32_e32 v2, 2, v2
	v_cmp_lt_i32_e64 s3, v11, v12
	v_cndmask_b32_e64 v11, v27, v11, s3
	s_sub_i32 s3, s11, s15
	s_lshl_b32 s3, s3, 4
	v_lshlrev_b32_e32 v26, 2, v11
	s_add_i32 s3, s3, s33
	s_min_i32 s3, s3, s27
	s_waitcnt lgkmcnt(0)
	v_max_f32_e32 v8, v8, v8
	s_sub_i32 s5, s3, s33
	v_cmp_gt_i32_e64 s3, s5, v23
	v_max_f32_e32 v0, v0, v8
	ds_bpermute_b32 v8, v26, v0
	s_waitcnt lgkmcnt(0)
	v_max_f32_e32 v8, v8, v8
	v_max_f32_e32 v0, v0, v8
	v_mov_b32_e32 v8, 0
	ds_bpermute_b32 v0, v2, v0
	v_lshl_add_u32 v2, v23, 2, 0x120
	s_and_saveexec_b32 s15, s3
	s_cbranch_execz .LBB366_533
; %bb.530:
	v_lshl_add_u32 v11, v23, 2, 0x120
	v_mov_b32_e32 v8, 0
	v_mov_b32_e32 v12, v23
	s_mov_b32 s16, 0
	.p2align	6
.LBB366_531:                            ; =>This Inner Loop Header: Depth=1
	ds_read_b32 v13, v11
	v_add_nc_u32_e32 v12, 0x80, v12
	v_cmp_le_i32_e64 s4, s5, v12
	s_or_b32 s16, s4, s16
	s_waitcnt lgkmcnt(0)
	v_sub_f32_e32 v13, v13, v0
	v_mul_f32_e32 v13, 0x3fb8aa3b, v13
	v_exp_f32_e32 v13, v13
	ds_write_b32 v11, v13
	v_add_f32_e32 v8, v8, v13
	v_add_nc_u32_e32 v11, 0x200, v11
	s_andn2_b32 exec_lo, exec_lo, s16
	s_cbranch_execnz .LBB366_531
; %bb.532:
	s_or_b32 exec_lo, exec_lo, s16
.LBB366_533:
	s_or_b32 exec_lo, exec_lo, s15
	ds_bpermute_b32 v3, v3, v8
	s_waitcnt lgkmcnt(0)
	v_add_f32_e32 v3, v8, v3
	ds_bpermute_b32 v4, v4, v3
	s_waitcnt lgkmcnt(0)
	v_add_f32_e32 v3, v3, v4
	;; [unrolled: 3-line block ×5, first 2 shown]
	s_and_saveexec_b32 s4, vcc_lo
; %bb.534:
	ds_write_b32 v6, v3 offset:272
; %bb.535:
	s_or_b32 exec_lo, exec_lo, s4
	s_waitcnt lgkmcnt(0)
	s_barrier
	buffer_gl0_inv
	s_and_saveexec_b32 s4, s2
; %bb.536:
	ds_read_b32 v3, v7 offset:272
; %bb.537:
	s_or_b32 exec_lo, exec_lo, s4
	s_waitcnt lgkmcnt(0)
	ds_bpermute_b32 v1, v1, v3
	v_lshlrev_b32_e32 v4, 2, v27
	s_waitcnt lgkmcnt(0)
	v_add_f32_e32 v1, v3, v1
	ds_bpermute_b32 v3, v26, v1
	s_waitcnt lgkmcnt(0)
	v_add_f32_e32 v1, v1, v3
	v_and_b32_e32 v3, 0xffffff80, v4
	ds_bpermute_b32 v1, v3, v1
	s_and_saveexec_b32 s2, s3
	s_cbranch_execz .LBB366_540
; %bb.538:
	s_waitcnt lgkmcnt(0)
	v_add_f32_e32 v3, 0x358637bd, v1
	s_mov_b32 s3, 0
	v_div_scale_f32 v4, null, v3, v3, 1.0
	v_div_scale_f32 v7, vcc_lo, 1.0, v3, 1.0
	v_rcp_f32_e32 v5, v4
	v_fma_f32 v6, -v4, v5, 1.0
	v_fmac_f32_e32 v5, v6, v5
	v_mul_f32_e32 v6, v7, v5
	v_fma_f32 v8, -v4, v6, v7
	v_fmac_f32_e32 v6, v8, v5
	v_fma_f32 v4, -v4, v6, v7
	v_div_fmas_f32 v4, v4, v5, v6
	v_div_fixup_f32 v3, v4, v3, 1.0
	v_mov_b32_e32 v4, v23
.LBB366_539:                            ; =>This Inner Loop Header: Depth=1
	ds_read_b32 v5, v2
	v_add_nc_u32_e32 v4, 0x80, v4
	v_cmp_le_i32_e32 vcc_lo, s5, v4
	s_or_b32 s3, vcc_lo, s3
	s_waitcnt lgkmcnt(0)
	v_mul_f32_e32 v5, v3, v5
	ds_write_b32 v2, v5
	v_add_nc_u32_e32 v2, 0x200, v2
	s_andn2_b32 exec_lo, exec_lo, s3
	s_cbranch_execnz .LBB366_539
.LBB366_540:
	s_or_b32 exec_lo, exec_lo, s2
	s_mul_i32 s2, s7, s26
	s_mov_b32 s4, exec_lo
	s_mul_i32 s2, s2, s9
	s_waitcnt lgkmcnt(0)
	s_barrier
	buffer_gl0_inv
	v_cmpx_eq_u32_e32 0, v23
	s_cbranch_execz .LBB366_542
; %bb.541:
	s_ashr_i32 s3, s2, 31
	s_mul_i32 s36, s7, s6
	s_lshl_b64 s[16:17], s[2:3], 2
	v_mov_b32_e32 v2, 0
	s_add_u32 s3, s22, s16
	s_addc_u32 s5, s23, s17
	s_ashr_i32 s37, s36, 31
	s_lshl_b64 s[22:23], s[36:37], 2
	s_add_u32 s3, s3, s22
	s_addc_u32 s5, s5, s23
	s_ashr_i32 s9, s8, 31
	s_lshl_b64 s[36:37], s[8:9], 2
	s_add_u32 s38, s3, s36
	s_addc_u32 s39, s5, s37
	s_add_u32 s3, s20, s16
	s_addc_u32 s5, s21, s17
	;; [unrolled: 2-line block ×4, first 2 shown]
	global_store_dword v2, v0, s[38:39]
	global_store_dword v2, v1, s[16:17]
.LBB366_542:
	s_or_b32 exec_lo, exec_lo, s4
	v_mov_b32_e32 v33, 0
	v_mov_b32_e32 v34, 0
	;; [unrolled: 1-line block ×8, first 2 shown]
	s_and_saveexec_b32 s3, s1
	s_cbranch_execz .LBB366_1042
; %bb.543:
	s_load_dword s9, s[18:19], 0x0
	v_and_b32_e32 v0, 8, v14
	v_and_b32_e32 v1, 0xf8, v14
	v_lshlrev_b32_e32 v2, 5, v24
	v_lshl_add_u32 v3, v35, 4, s33
	s_ashr_i32 s1, s14, 31
	s_add_u32 s4, s34, s14
	s_addc_u32 s1, s35, s1
	v_mov_b32_e32 v111, v35
	v_lshl_or_b32 v2, v35, 6, v2
	v_add_co_u32 v12, s4, s4, v1
	v_add3_u32 v35, v3, v0, 7
	v_lshlrev_b64 v[0:1], 2, v[9:10]
	v_add_co_ci_u32_e64 v13, null, s1, 0, s4
	s_lshl_b64 s[4:5], s[30:31], 2
	s_add_i32 s12, s12, -1
	s_add_u32 s1, s28, s4
	s_addc_u32 s4, s29, s5
	v_add_co_u32 v14, vcc_lo, s1, v0
	v_mov_b32_e32 v109, v23
	v_mov_b32_e32 v110, v24
	;; [unrolled: 1-line block ×3, first 2 shown]
	v_add_nc_u32_e32 v36, 0x120, v2
	v_add_co_ci_u32_e64 v15, null, s4, v1, vcc_lo
	v_mov_b32_e32 v37, 0x80
	v_mov_b32_e32 v38, 0xffff
	;; [unrolled: 1-line block ×13, first 2 shown]
	s_mov_b32 s4, -1
	s_mov_b32 s6, s13
	s_mov_b32 s5, 0xffffff
	;; [unrolled: 1-line block ×3, first 2 shown]
	s_branch .LBB366_545
.LBB366_544:                            ;   in Loop: Header=BB366_545 Depth=1
	s_or_b32 exec_lo, exec_lo, s1
	v_bfe_u32 v50, v5, 16, 1
	v_bfe_u32 v56, v6, 16, 1
	v_or_b32_e32 v57, 0x400000, v5
	v_cmp_u_f32_e32 vcc_lo, v5, v5
	v_or_b32_e32 v58, 0x400000, v6
	v_add3_u32 v50, v50, v5, 0x7fff
	v_bfe_u32 v59, v7, 16, 1
	v_add3_u32 v56, v56, v6, 0x7fff
	v_bfe_u32 v60, v8, 16, 1
	v_lshlrev_b32_e32 v21, 16, v21
	v_cndmask_b32_e32 v5, v50, v57, vcc_lo
	v_cmp_u_f32_e32 vcc_lo, v6, v6
	v_add3_u32 v50, v59, v7, 0x7fff
	v_bfe_u32 v57, v1, 16, 1
	v_or_b32_e32 v59, 0x400000, v8
	v_and_b32_e32 v5, 0xffff0000, v5
	v_cndmask_b32_e32 v6, v56, v58, vcc_lo
	v_or_b32_e32 v56, 0x400000, v7
	v_cmp_u_f32_e32 vcc_lo, v7, v7
	v_add3_u32 v58, v60, v8, 0x7fff
	v_lshlrev_b32_e32 v24, 16, v24
	v_lshlrev_b32_e32 v90, 16, v90
	;; [unrolled: 1-line block ×3, first 2 shown]
	v_cndmask_b32_e32 v7, v50, v56, vcc_lo
	v_cmp_u_f32_e32 vcc_lo, v8, v8
	v_add3_u32 v50, v57, v1, 0x7fff
	v_or_b32_e32 v56, 0x400000, v1
	v_bfe_u32 v57, v2, 16, 1
	v_lshlrev_b32_e32 v0, 16, v0
	v_cndmask_b32_e32 v8, v58, v59, vcc_lo
	v_cmp_u_f32_e32 vcc_lo, v1, v1
	v_and_b32_e32 v1, 0xffff0000, v6
	v_lshlrev_b32_e32 v6, 16, v101
	v_add3_u32 v57, v57, v2, 0x7fff
	v_or_b32_e32 v58, 0x400000, v2
	v_cndmask_b32_e32 v50, v50, v56, vcc_lo
	v_bfe_u32 v56, v3, 16, 1
	v_cmp_u_f32_e32 vcc_lo, v2, v2
	v_or_b32_e32 v59, 0x400000, v3
	v_mul_f32_e32 v6, v1, v6
	v_lshlrev_b32_e32 v23, 16, v23
	v_add3_u32 v56, v56, v3, 0x7fff
	v_cndmask_b32_e32 v2, v57, v58, vcc_lo
	v_bfe_u32 v57, v4, 16, 1
	v_cmp_u_f32_e32 vcc_lo, v3, v3
	v_bfe_u32 v3, v6, 16, 1
	v_lshlrev_b32_e32 v58, 16, v100
	v_or_b32_e32 v61, 0x400000, v6
	v_add3_u32 v57, v57, v4, 0x7fff
	v_cndmask_b32_e32 v56, v56, v59, vcc_lo
	v_or_b32_e32 v59, 0x400000, v4
	v_cmp_u_f32_e32 vcc_lo, v4, v4
	v_add3_u32 v60, v3, v6, 0x7fff
	v_mul_f32_e32 v58, v5, v58
	v_and_b32_e32 v3, 0xffff0000, v8
	v_lshlrev_b32_e32 v8, 16, v98
	v_cndmask_b32_e32 v4, v57, v59, vcc_lo
	v_cmp_u_f32_e32 vcc_lo, v6, v6
	v_bfe_u32 v59, v58, 16, 1
	v_and_b32_e32 v6, 0xffff0000, v7
	v_lshlrev_b32_e32 v7, 16, v99
	v_and_b32_e32 v2, 0xffff0000, v2
	v_cndmask_b32_e32 v57, v60, v61, vcc_lo
	v_mul_f32_e32 v60, v3, v8
	v_lshlrev_b32_e32 v8, 16, v94
	v_add3_u32 v59, v59, v58, 0x7fff
	v_or_b32_e32 v61, 0x400000, v58
	v_mul_f32_e32 v7, v6, v7
	v_bfe_u32 v94, v60, 16, 1
	v_cmp_u_f32_e32 vcc_lo, v58, v58
	v_mul_f32_e32 v98, v2, v8
	v_and_b32_e32 v8, 0xffff0000, v50
	v_and_b32_e32 v4, 0xffff0000, v4
	v_and_b32_e32 v57, 0xffff0000, v57
	v_cndmask_b32_e32 v58, v59, v61, vcc_lo
	v_add3_u32 v59, v94, v60, 0x7fff
	v_or_b32_e32 v61, 0x400000, v60
	v_bfe_u32 v94, v7, 16, 1
	v_cmp_u_f32_e32 vcc_lo, v60, v60
	v_bfe_u32 v99, v98, 16, 1
	v_or_b32_e32 v60, 0x400000, v7
	v_mul_f32_e32 v21, v8, v21
	v_and_b32_e32 v58, 0xffff0000, v58
	v_cndmask_b32_e32 v50, v59, v61, vcc_lo
	v_add3_u32 v59, v94, v7, 0x7fff
	v_cmp_u_f32_e32 vcc_lo, v7, v7
	v_add3_u32 v61, v99, v98, 0x7fff
	v_lshlrev_b32_e32 v94, 16, v97
	v_or_b32_e32 v97, 0x400000, v98
	v_bfe_u32 v99, v21, 16, 1
	v_cndmask_b32_e32 v59, v59, v60, vcc_lo
	v_cmp_u_f32_e32 vcc_lo, v98, v98
	v_mul_f32_e32 v60, v4, v94
	v_and_b32_e32 v7, 0xffff0000, v56
	v_add3_u32 v94, v99, v21, 0x7fff
	v_lshlrev_b32_e32 v56, 16, v96
	v_cndmask_b32_e32 v61, v61, v97, vcc_lo
	v_or_b32_e32 v97, 0x400000, v21
	v_cmp_u_f32_e32 vcc_lo, v21, v21
	v_bfe_u32 v98, v60, 16, 1
	v_and_b32_e32 v59, 0xffff0000, v59
	v_and_b32_e32 v50, 0xffff0000, v50
	v_or_b32_e32 v96, 0x400000, v60
	v_cndmask_b32_e32 v21, v94, v97, vcc_lo
	v_add3_u32 v94, v98, v60, 0x7fff
	v_mul_f32_e32 v56, v7, v56
	v_cmp_u_f32_e32 vcc_lo, v60, v60
	v_add_f32_e32 v57, v58, v57
	v_add_f32_e32 v50, v59, v50
	v_and_b32_e32 v21, 0xffff0000, v21
	v_lshlrev_b32_e32 v58, 16, v92
	v_and_b32_e32 v59, 0xffff0000, v61
	v_cndmask_b32_e32 v60, v94, v96, vcc_lo
	v_bfe_u32 v94, v56, 16, 1
	v_add_f32_e32 v50, v50, v57
	v_mul_f32_e32 v57, v1, v58
	v_add_f32_e32 v21, v21, v59
	v_lshlrev_b32_e32 v58, 16, v91
	v_add3_u32 v61, v94, v56, 0x7fff
	v_or_b32_e32 v92, 0x400000, v56
	v_cmp_u_f32_e32 vcc_lo, v56, v56
	v_bfe_u32 v59, v57, 16, 1
	v_add_f32_e32 v21, v21, v50
	v_mul_f32_e32 v50, v5, v58
	v_mul_f32_e32 v24, v3, v24
	v_cndmask_b32_e32 v56, v61, v92, vcc_lo
	v_add3_u32 v58, v59, v57, 0x7fff
	v_or_b32_e32 v59, 0x400000, v57
	v_bfe_u32 v61, v50, 16, 1
	v_cmp_u_f32_e32 vcc_lo, v57, v57
	v_mul_f32_e32 v90, v6, v90
	v_mul_f32_e32 v22, v2, v22
	;; [unrolled: 1-line block ×3, first 2 shown]
	v_lshlrev_b32_e32 v89, 16, v89
	v_cndmask_b32_e32 v57, v58, v59, vcc_lo
	v_add3_u32 v58, v61, v50, 0x7fff
	v_or_b32_e32 v59, 0x400000, v50
	v_bfe_u32 v61, v24, 16, 1
	v_cmp_u_f32_e32 vcc_lo, v50, v50
	v_mul_f32_e32 v23, v7, v23
	v_mul_f32_e32 v89, v4, v89
	v_or_b32_e32 v91, 0x400000, v0
	v_and_b32_e32 v57, 0xffff0000, v57
	v_cndmask_b32_e32 v50, v58, v59, vcc_lo
	v_add3_u32 v58, v61, v24, 0x7fff
	v_or_b32_e32 v59, 0x400000, v24
	v_bfe_u32 v61, v90, 16, 1
	v_cmp_u_f32_e32 vcc_lo, v24, v24
	v_bfe_u32 v94, v23, 16, 1
	v_bfe_u32 v92, v89, 16, 1
	v_and_b32_e32 v50, 0xffff0000, v50
	v_and_b32_e32 v56, 0xffff0000, v56
	v_cndmask_b32_e32 v24, v58, v59, vcc_lo
	v_add3_u32 v58, v61, v90, 0x7fff
	v_or_b32_e32 v59, 0x400000, v90
	v_bfe_u32 v61, v22, 16, 1
	v_cmp_u_f32_e32 vcc_lo, v90, v90
	v_or_b32_e32 v90, 0x400000, v22
	v_and_b32_e32 v24, 0xffff0000, v24
	v_add_f32_e32 v50, v50, v57
	v_add3_u32 v61, v61, v22, 0x7fff
	v_cndmask_b32_e32 v58, v58, v59, vcc_lo
	v_bfe_u32 v59, v0, 16, 1
	v_cmp_u_f32_e32 vcc_lo, v22, v22
	v_lshlrev_b32_e32 v54, 16, v54
	v_lshlrev_b32_e32 v51, 16, v51
	v_and_b32_e32 v58, 0xffff0000, v58
	v_add3_u32 v59, v59, v0, 0x7fff
	v_cndmask_b32_e32 v22, v61, v90, vcc_lo
	v_cmp_u_f32_e32 vcc_lo, v0, v0
	v_add3_u32 v61, v94, v23, 0x7fff
	v_or_b32_e32 v90, 0x400000, v23
	v_add_f32_e32 v24, v58, v24
	v_and_b32_e32 v22, 0xffff0000, v22
	v_cndmask_b32_e32 v0, v59, v91, vcc_lo
	v_cmp_u_f32_e32 vcc_lo, v23, v23
	v_add3_u32 v59, v92, v89, 0x7fff
	v_or_b32_e32 v91, 0x400000, v89
	v_and_b32_e32 v58, 0xffff0000, v60
	v_and_b32_e32 v0, 0xffff0000, v0
	v_cndmask_b32_e32 v23, v61, v90, vcc_lo
	v_cmp_u_f32_e32 vcc_lo, v89, v89
	v_add_f32_e32 v24, v24, v50
	v_lshlrev_b32_e32 v50, 16, v88
	v_add_f32_e32 v0, v0, v22
	v_and_b32_e32 v22, 0xffff0000, v23
	v_cndmask_b32_e32 v57, v59, v91, vcc_lo
	v_add_f32_e32 v56, v56, v58
	v_lshlrev_b32_e32 v59, 16, v85
	v_add_f32_e32 v0, v0, v24
	v_lshlrev_b32_e32 v52, 16, v52
	v_and_b32_e32 v23, 0xffff0000, v57
	v_lshlrev_b32_e32 v57, 16, v87
	v_add_f32_e32 v21, v56, v21
	v_mul_f32_e32 v51, v2, v51
	v_mul_f32_e32 v52, v8, v52
	v_add_f32_e32 v22, v22, v23
	v_mul_f32_e32 v23, v1, v50
	v_mul_f32_e32 v24, v5, v57
	v_lshlrev_b32_e32 v50, 16, v84
	v_add_f32_e32 v28, v28, v21
	v_add_f32_e32 v0, v22, v0
	v_bfe_u32 v22, v23, 16, 1
	v_bfe_u32 v21, v24, 16, 1
	v_mul_f32_e32 v50, v3, v50
	v_lshlrev_b32_e32 v57, 16, v86
	v_add_f32_e32 v29, v29, v0
	v_add3_u32 v0, v22, v23, 0x7fff
	v_or_b32_e32 v22, 0x400000, v23
	v_cmp_u_f32_e32 vcc_lo, v23, v23
	v_add3_u32 v21, v21, v24, 0x7fff
	v_or_b32_e32 v56, 0x400000, v24
	v_mul_f32_e32 v23, v6, v57
	v_lshlrev_b32_e32 v57, 16, v82
	v_cndmask_b32_e32 v0, v0, v22, vcc_lo
	v_bfe_u32 v22, v50, 16, 1
	v_cmp_u_f32_e32 vcc_lo, v24, v24
	v_lshlrev_b32_e32 v24, 16, v81
	v_bfe_u32 v58, v23, 16, 1
	v_and_b32_e32 v0, 0xffff0000, v0
	v_add3_u32 v22, v22, v50, 0x7fff
	v_cndmask_b32_e32 v21, v21, v56, vcc_lo
	v_or_b32_e32 v56, 0x400000, v50
	v_mul_f32_e32 v24, v2, v24
	v_cmp_u_f32_e32 vcc_lo, v50, v50
	v_mul_f32_e32 v50, v8, v57
	v_or_b32_e32 v57, 0x400000, v23
	v_and_b32_e32 v21, 0xffff0000, v21
	v_lshlrev_b32_e32 v55, 16, v55
	v_cndmask_b32_e32 v22, v22, v56, vcc_lo
	v_add3_u32 v56, v58, v23, 0x7fff
	v_bfe_u32 v58, v24, 16, 1
	v_bfe_u32 v60, v50, 16, 1
	v_cmp_u_f32_e32 vcc_lo, v23, v23
	v_or_b32_e32 v61, 0x400000, v50
	v_and_b32_e32 v22, 0xffff0000, v22
	v_add_f32_e32 v0, v21, v0
	v_mul_f32_e32 v55, v4, v55
	v_cndmask_b32_e32 v23, v56, v57, vcc_lo
	v_add3_u32 v56, v58, v24, 0x7fff
	v_mul_f32_e32 v57, v4, v59
	v_or_b32_e32 v58, 0x400000, v24
	v_add3_u32 v59, v60, v50, 0x7fff
	v_lshlrev_b32_e32 v60, 16, v83
	v_cmp_u_f32_e32 vcc_lo, v24, v24
	v_bfe_u32 v81, v57, 16, 1
	v_and_b32_e32 v23, 0xffff0000, v23
	v_lshlrev_b32_e32 v53, 16, v53
	v_lshlrev_b32_e32 v49, 16, v49
	v_cndmask_b32_e32 v24, v56, v58, vcc_lo
	v_mul_f32_e32 v56, v7, v60
	v_cmp_u_f32_e32 vcc_lo, v50, v50
	v_add3_u32 v58, v81, v57, 0x7fff
	v_add_f32_e32 v21, v23, v22
	v_and_b32_e32 v23, 0xffff0000, v24
	v_bfe_u32 v60, v56, 16, 1
	v_cndmask_b32_e32 v50, v59, v61, vcc_lo
	v_or_b32_e32 v59, 0x400000, v57
	v_cmp_u_f32_e32 vcc_lo, v57, v57
	v_lshlrev_b32_e32 v24, 16, v80
	v_add_f32_e32 v0, v21, v0
	v_and_b32_e32 v22, 0xffff0000, v50
	v_lshlrev_b32_e32 v50, 16, v79
	v_cndmask_b32_e32 v57, v58, v59, vcc_lo
	v_add3_u32 v58, v60, v56, 0x7fff
	v_or_b32_e32 v59, 0x400000, v56
	v_cmp_u_f32_e32 vcc_lo, v56, v56
	v_mul_f32_e32 v21, v1, v24
	v_add_f32_e32 v22, v22, v23
	v_mul_f32_e32 v23, v5, v50
	v_and_b32_e32 v50, 0xffff0000, v57
	v_cndmask_b32_e32 v56, v58, v59, vcc_lo
	v_lshlrev_b32_e32 v57, 16, v76
	v_add_f32_e32 v0, v22, v0
	v_bfe_u32 v22, v23, 16, 1
	v_lshlrev_b32_e32 v59, 16, v78
	v_and_b32_e32 v24, 0xffff0000, v56
	v_bfe_u32 v56, v21, 16, 1
	v_mul_f32_e32 v57, v3, v57
	v_cmp_u_f32_e32 vcc_lo, v21, v21
	v_add3_u32 v22, v22, v23, 0x7fff
	v_add_f32_e32 v24, v24, v50
	v_add3_u32 v50, v56, v21, 0x7fff
	v_or_b32_e32 v56, 0x400000, v21
	v_or_b32_e32 v58, 0x400000, v23
	v_lshlrev_b32_e32 v61, 16, v77
	v_add_f32_e32 v0, v24, v0
	v_mul_f32_e32 v53, v7, v53
	v_cndmask_b32_e32 v21, v50, v56, vcc_lo
	v_bfe_u32 v50, v57, 16, 1
	v_cmp_u_f32_e32 vcc_lo, v23, v23
	v_mul_f32_e32 v23, v6, v59
	v_lshlrev_b32_e32 v56, 16, v73
	v_lshlrev_b32_e32 v59, 16, v74
	v_add3_u32 v50, v50, v57, 0x7fff
	v_cndmask_b32_e32 v22, v22, v58, vcc_lo
	v_or_b32_e32 v58, 0x400000, v57
	v_bfe_u32 v60, v23, 16, 1
	v_mul_f32_e32 v56, v2, v56
	v_cmp_u_f32_e32 vcc_lo, v57, v57
	v_mul_f32_e32 v57, v8, v59
	v_or_b32_e32 v59, 0x400000, v23
	v_and_b32_e32 v22, 0xffff0000, v22
	v_and_b32_e32 v21, 0xffff0000, v21
	v_cndmask_b32_e32 v50, v50, v58, vcc_lo
	v_add3_u32 v58, v60, v23, 0x7fff
	v_bfe_u32 v60, v56, 16, 1
	v_bfe_u32 v73, v57, 16, 1
	v_cmp_u_f32_e32 vcc_lo, v23, v23
	v_or_b32_e32 v74, 0x400000, v57
	v_and_b32_e32 v50, 0xffff0000, v50
	v_add_f32_e32 v21, v22, v21
	v_add_f32_e32 v30, v30, v0
	v_cndmask_b32_e32 v23, v58, v59, vcc_lo
	v_add3_u32 v58, v60, v56, 0x7fff
	v_mul_f32_e32 v59, v4, v61
	v_or_b32_e32 v60, 0x400000, v56
	v_add3_u32 v61, v73, v57, 0x7fff
	v_lshlrev_b32_e32 v73, 16, v75
	v_cmp_u_f32_e32 vcc_lo, v56, v56
	v_bfe_u32 v75, v59, 16, 1
	v_and_b32_e32 v23, 0xffff0000, v23
	v_lshlrev_b32_e32 v48, 16, v48
	v_lshlrev_b32_e32 v45, 16, v45
	v_cndmask_b32_e32 v56, v58, v60, vcc_lo
	v_mul_f32_e32 v58, v7, v73
	v_cmp_u_f32_e32 vcc_lo, v57, v57
	v_add3_u32 v60, v75, v59, 0x7fff
	v_add_f32_e32 v22, v23, v50
	v_and_b32_e32 v50, 0xffff0000, v56
	v_bfe_u32 v73, v58, 16, 1
	v_cndmask_b32_e32 v57, v61, v74, vcc_lo
	v_or_b32_e32 v61, 0x400000, v59
	v_cmp_u_f32_e32 vcc_lo, v59, v59
	v_add_f32_e32 v21, v22, v21
	v_lshlrev_b32_e32 v22, 16, v72
	v_and_b32_e32 v23, 0xffff0000, v57
	v_mul_f32_e32 v48, v5, v48
	v_cndmask_b32_e32 v59, v60, v61, vcc_lo
	v_add3_u32 v60, v73, v58, 0x7fff
	v_or_b32_e32 v61, 0x400000, v58
	v_cmp_u_f32_e32 vcc_lo, v58, v58
	v_add_f32_e32 v23, v23, v50
	v_lshlrev_b32_e32 v50, 16, v71
	v_and_b32_e32 v57, 0xffff0000, v59
	v_mul_f32_e32 v22, v1, v22
	v_cndmask_b32_e32 v56, v60, v61, vcc_lo
	v_add_f32_e32 v21, v23, v21
	v_mul_f32_e32 v24, v5, v50
	v_lshlrev_b32_e32 v58, 16, v70
	v_bfe_u32 v50, v22, 16, 1
	v_and_b32_e32 v56, 0xffff0000, v56
	v_cmp_u_f32_e32 vcc_lo, v22, v22
	v_lshlrev_b32_e32 v60, 16, v69
	v_mul_f32_e32 v45, v3, v45
	v_lshlrev_b32_e32 v47, 16, v47
	v_add_f32_e32 v23, v56, v57
	v_bfe_u32 v56, v24, 16, 1
	v_lshlrev_b32_e32 v57, 16, v68
	v_lshlrev_b32_e32 v43, 16, v43
	v_mul_f32_e32 v47, v6, v47
	v_add_f32_e32 v0, v23, v21
	v_add3_u32 v21, v50, v22, 0x7fff
	v_or_b32_e32 v23, 0x400000, v22
	v_add3_u32 v50, v56, v24, 0x7fff
	v_mul_f32_e32 v56, v3, v57
	v_or_b32_e32 v57, 0x400000, v24
	v_mul_f32_e32 v43, v2, v43
	v_cndmask_b32_e32 v21, v21, v23, vcc_lo
	v_cmp_u_f32_e32 vcc_lo, v24, v24
	v_bfe_u32 v22, v56, 16, 1
	v_mul_f32_e32 v24, v6, v58
	v_lshlrev_b32_e32 v58, 16, v66
	v_and_b32_e32 v21, 0xffff0000, v21
	v_cndmask_b32_e32 v23, v50, v57, vcc_lo
	v_lshlrev_b32_e32 v50, 16, v65
	v_add3_u32 v22, v22, v56, 0x7fff
	v_or_b32_e32 v57, 0x400000, v56
	v_bfe_u32 v59, v24, 16, 1
	v_cmp_u_f32_e32 vcc_lo, v56, v56
	v_mul_f32_e32 v50, v2, v50
	v_mul_f32_e32 v56, v8, v58
	v_or_b32_e32 v58, 0x400000, v24
	v_and_b32_e32 v23, 0xffff0000, v23
	v_cndmask_b32_e32 v22, v22, v57, vcc_lo
	v_add3_u32 v57, v59, v24, 0x7fff
	v_bfe_u32 v59, v50, 16, 1
	v_bfe_u32 v61, v56, 16, 1
	v_cmp_u_f32_e32 vcc_lo, v24, v24
	v_or_b32_e32 v65, 0x400000, v56
	v_and_b32_e32 v22, 0xffff0000, v22
	v_add_f32_e32 v21, v23, v21
	v_lshlrev_b32_e32 v42, 16, v42
	v_cndmask_b32_e32 v24, v57, v58, vcc_lo
	v_add3_u32 v57, v59, v50, 0x7fff
	v_mul_f32_e32 v58, v4, v60
	v_or_b32_e32 v59, 0x400000, v50
	v_add3_u32 v60, v61, v56, 0x7fff
	v_lshlrev_b32_e32 v61, 16, v67
	v_cmp_u_f32_e32 vcc_lo, v50, v50
	v_bfe_u32 v66, v58, 16, 1
	v_and_b32_e32 v24, 0xffff0000, v24
	v_lshlrev_b32_e32 v46, 16, v46
	v_mul_f32_e32 v42, v8, v42
	v_cndmask_b32_e32 v50, v57, v59, vcc_lo
	v_mul_f32_e32 v57, v7, v61
	v_cmp_u_f32_e32 vcc_lo, v56, v56
	v_add3_u32 v59, v66, v58, 0x7fff
	v_add_f32_e32 v22, v24, v22
	v_and_b32_e32 v24, 0xffff0000, v50
	v_bfe_u32 v61, v57, 16, 1
	v_cndmask_b32_e32 v56, v60, v65, vcc_lo
	v_or_b32_e32 v60, 0x400000, v58
	v_cmp_u_f32_e32 vcc_lo, v58, v58
	v_lshlrev_b32_e32 v50, 16, v64
	v_add_f32_e32 v21, v22, v21
	v_and_b32_e32 v23, 0xffff0000, v56
	v_mul_f32_e32 v46, v4, v46
	v_cndmask_b32_e32 v58, v59, v60, vcc_lo
	v_add3_u32 v59, v61, v57, 0x7fff
	v_or_b32_e32 v60, 0x400000, v57
	v_cmp_u_f32_e32 vcc_lo, v57, v57
	v_lshlrev_b32_e32 v57, 16, v63
	v_add_f32_e32 v22, v23, v24
	v_mul_f32_e32 v23, v1, v50
	v_lshlrev_b32_e32 v44, 16, v44
	v_cndmask_b32_e32 v56, v59, v60, vcc_lo
	v_mul_f32_e32 v50, v5, v57
	v_add_f32_e32 v21, v22, v21
	v_bfe_u32 v57, v23, 16, 1
	v_lshlrev_b32_e32 v60, 16, v62
	v_and_b32_e32 v24, 0xffff0000, v56
	v_and_b32_e32 v56, 0xffff0000, v58
	v_bfe_u32 v58, v50, 16, 1
	v_cmp_u_f32_e32 vcc_lo, v23, v23
	v_mul_f32_e32 v44, v7, v44
	v_lshlrev_b32_e32 v20, 16, v20
	v_add_f32_e32 v22, v24, v56
	v_mul_f32_e32 v24, v3, v54
	v_add3_u32 v54, v57, v23, 0x7fff
	v_or_b32_e32 v56, 0x400000, v23
	v_add3_u32 v57, v58, v50, 0x7fff
	v_or_b32_e32 v58, 0x400000, v50
	v_bfe_u32 v59, v24, 16, 1
	v_lshlrev_b32_e32 v17, 16, v17
	v_cndmask_b32_e32 v23, v54, v56, vcc_lo
	v_cmp_u_f32_e32 vcc_lo, v50, v50
	v_mul_f32_e32 v54, v6, v60
	v_add3_u32 v56, v59, v24, 0x7fff
	v_bfe_u32 v59, v52, 16, 1
	v_bfe_u32 v60, v55, 16, 1
	v_cndmask_b32_e32 v50, v57, v58, vcc_lo
	v_or_b32_e32 v57, 0x400000, v24
	v_bfe_u32 v58, v54, 16, 1
	v_cmp_u_f32_e32 vcc_lo, v24, v24
	v_and_b32_e32 v23, 0xffff0000, v23
	v_and_b32_e32 v50, 0xffff0000, v50
	v_mul_f32_e32 v6, v6, v20
	v_mul_f32_e32 v3, v3, v17
	v_cndmask_b32_e32 v24, v56, v57, vcc_lo
	v_add3_u32 v56, v58, v54, 0x7fff
	v_or_b32_e32 v57, 0x400000, v54
	v_bfe_u32 v58, v51, 16, 1
	v_cmp_u_f32_e32 vcc_lo, v54, v54
	v_and_b32_e32 v24, 0xffff0000, v24
	v_add_f32_e32 v23, v50, v23
	v_lshlrev_b32_e32 v16, 16, v16
	v_lshlrev_b32_e32 v10, 16, v10
	v_cndmask_b32_e32 v54, v56, v57, vcc_lo
	v_add3_u32 v56, v58, v51, 0x7fff
	v_or_b32_e32 v57, 0x400000, v51
	v_cmp_u_f32_e32 vcc_lo, v51, v51
	v_add3_u32 v58, v59, v52, 0x7fff
	v_or_b32_e32 v59, 0x400000, v52
	v_and_b32_e32 v54, 0xffff0000, v54
	v_mul_f32_e32 v8, v8, v16
	v_cndmask_b32_e32 v51, v56, v57, vcc_lo
	v_cmp_u_f32_e32 vcc_lo, v52, v52
	v_add3_u32 v56, v60, v55, 0x7fff
	v_or_b32_e32 v57, 0x400000, v55
	v_add_f32_e32 v24, v54, v24
	v_and_b32_e32 v51, 0xffff0000, v51
	v_cndmask_b32_e32 v52, v58, v59, vcc_lo
	v_cmp_u_f32_e32 vcc_lo, v55, v55
	v_or_b32_e32 v54, 0x400000, v53
	v_add_f32_e32 v23, v24, v23
	v_mul_f32_e32 v24, v1, v49
	v_and_b32_e32 v50, 0xffff0000, v52
	v_cndmask_b32_e32 v55, v56, v57, vcc_lo
	v_bfe_u32 v56, v53, 16, 1
	v_cmp_u_f32_e32 vcc_lo, v53, v53
	v_mul_f32_e32 v2, v2, v10
	v_add_f32_e32 v49, v50, v51
	v_bfe_u32 v51, v24, 16, 1
	v_add3_u32 v52, v56, v53, 0x7fff
	v_bfe_u32 v53, v48, 16, 1
	v_lshlrev_b32_e32 v10, 16, v19
	v_add_f32_e32 v23, v49, v23
	v_lshlrev_b32_e32 v18, 16, v18
	v_cndmask_b32_e32 v50, v52, v54, vcc_lo
	v_cmp_u_f32_e32 vcc_lo, v24, v24
	v_or_b32_e32 v54, 0x400000, v45
	v_mul_f32_e32 v7, v7, v10
	v_mul_f32_e32 v4, v4, v18
	v_and_b32_e32 v49, 0xffff0000, v50
	v_add3_u32 v50, v51, v24, 0x7fff
	v_or_b32_e32 v51, 0x400000, v24
	v_or_b32_e32 v10, 0x400000, v8
	;; [unrolled: 1-line block ×3, first 2 shown]
	v_bfe_u32 v19, v7, 16, 1
	v_and_b32_e32 v52, 0xffff0000, v55
	v_cndmask_b32_e32 v24, v50, v51, vcc_lo
	v_bfe_u32 v50, v45, 16, 1
	v_add3_u32 v51, v53, v48, 0x7fff
	v_or_b32_e32 v53, 0x400000, v48
	v_cmp_u_f32_e32 vcc_lo, v48, v48
	v_and_b32_e32 v24, 0xffff0000, v24
	v_add3_u32 v50, v50, v45, 0x7fff
	v_add_nc_u32_e32 v9, 4, v9
	v_add_f32_e32 v31, v31, v0
	v_cndmask_b32_e32 v48, v51, v53, vcc_lo
	v_bfe_u32 v51, v47, 16, 1
	v_cmp_u_f32_e32 vcc_lo, v45, v45
	v_or_b32_e32 v53, 0x400000, v47
	v_add_co_u32 v14, s1, v14, 16
	v_add3_u32 v51, v51, v47, 0x7fff
	v_cndmask_b32_e32 v45, v50, v54, vcc_lo
	v_bfe_u32 v50, v43, 16, 1
	v_cmp_u_f32_e32 vcc_lo, v47, v47
	v_or_b32_e32 v54, 0x400000, v43
	v_and_b32_e32 v48, 0xffff0000, v48
	v_and_b32_e32 v45, 0xffff0000, v45
	v_add3_u32 v50, v50, v43, 0x7fff
	v_cndmask_b32_e32 v47, v51, v53, vcc_lo
	v_bfe_u32 v51, v42, 16, 1
	v_cmp_u_f32_e32 vcc_lo, v43, v43
	v_bfe_u32 v53, v46, 16, 1
	v_add_f32_e32 v24, v48, v24
	v_and_b32_e32 v47, 0xffff0000, v47
	v_add_nc_u32_e32 v35, 64, v35
	v_cndmask_b32_e32 v43, v50, v54, vcc_lo
	v_add3_u32 v50, v51, v42, 0x7fff
	v_or_b32_e32 v51, 0x400000, v42
	v_cmp_u_f32_e32 vcc_lo, v42, v42
	v_add3_u32 v53, v53, v46, 0x7fff
	v_or_b32_e32 v54, 0x400000, v46
	v_add_f32_e32 v45, v47, v45
	v_lshlrev_b32_e32 v47, 16, v93
	v_cndmask_b32_e32 v42, v50, v51, vcc_lo
	v_cmp_u_f32_e32 vcc_lo, v46, v46
	v_bfe_u32 v50, v44, 16, 1
	v_or_b32_e32 v51, 0x400000, v44
	v_and_b32_e32 v43, 0xffff0000, v43
	v_and_b32_e32 v42, 0xffff0000, v42
	v_cndmask_b32_e32 v46, v53, v54, vcc_lo
	v_lshlrev_b32_e32 v53, 16, v95
	v_add3_u32 v50, v50, v44, 0x7fff
	v_cmp_u_f32_e32 vcc_lo, v44, v44
	v_add_f32_e32 v24, v45, v24
	v_mul_f32_e32 v1, v1, v47
	v_mul_f32_e32 v5, v5, v53
	v_add_f32_e32 v42, v42, v43
	v_cndmask_b32_e32 v44, v50, v51, vcc_lo
	v_add_nc_u32_e32 v36, 0x100, v36
	v_bfe_u32 v47, v1, 16, 1
	v_bfe_u32 v45, v5, 16, 1
	v_cmp_u_f32_e32 vcc_lo, v5, v5
	v_and_b32_e32 v43, 0xffff0000, v44
	v_add_co_ci_u32_e64 v15, null, 0, v15, s1
	v_add3_u32 v44, v45, v5, 0x7fff
	v_or_b32_e32 v45, 0x400000, v5
	v_add3_u32 v20, v47, v1, 0x7fff
	v_cndmask_b32_e32 v5, v44, v45, vcc_lo
	v_or_b32_e32 v44, 0x400000, v1
	v_bfe_u32 v45, v6, 16, 1
	v_cmp_u_f32_e32 vcc_lo, v1, v1
	v_and_b32_e32 v5, 0xffff0000, v5
	v_add3_u32 v17, v45, v6, 0x7fff
	v_cndmask_b32_e32 v1, v20, v44, vcc_lo
	v_or_b32_e32 v20, 0x400000, v6
	v_bfe_u32 v44, v3, 16, 1
	v_cmp_u_f32_e32 vcc_lo, v6, v6
	v_and_b32_e32 v1, 0xffff0000, v1
	v_add3_u32 v16, v44, v3, 0x7fff
	v_cndmask_b32_e32 v6, v17, v20, vcc_lo
	v_or_b32_e32 v17, 0x400000, v3
	v_bfe_u32 v20, v8, 16, 1
	v_cmp_u_f32_e32 vcc_lo, v3, v3
	v_add_f32_e32 v1, v5, v1
	v_and_b32_e32 v6, 0xffff0000, v6
	v_cndmask_b32_e32 v3, v16, v17, vcc_lo
	v_bfe_u32 v16, v2, 16, 1
	v_add3_u32 v17, v20, v8, 0x7fff
	v_cmp_u_f32_e32 vcc_lo, v8, v8
	v_bfe_u32 v20, v4, 16, 1
	v_and_b32_e32 v3, 0xffff0000, v3
	v_add3_u32 v16, v16, v2, 0x7fff
	v_cndmask_b32_e32 v8, v17, v10, vcc_lo
	v_cmp_u_f32_e32 vcc_lo, v2, v2
	v_or_b32_e32 v17, 0x400000, v4
	v_add3_u32 v10, v19, v7, 0x7fff
	v_add_f32_e32 v3, v6, v3
	v_and_b32_e32 v5, 0xffff0000, v8
	v_cndmask_b32_e32 v2, v16, v18, vcc_lo
	v_add3_u32 v16, v20, v4, 0x7fff
	v_cmp_u_f32_e32 vcc_lo, v4, v4
	v_or_b32_e32 v18, 0x400000, v7
	v_add_f32_e32 v1, v3, v1
	v_and_b32_e32 v2, 0xffff0000, v2
	v_cndmask_b32_e32 v4, v16, v17, vcc_lo
	v_cmp_u_f32_e32 vcc_lo, v7, v7
	v_and_b32_e32 v7, 0xffff0000, v46
	v_add_f32_e32 v2, v5, v2
	v_add_f32_e32 v5, v49, v52
	v_and_b32_e32 v3, 0xffff0000, v4
	v_cndmask_b32_e32 v6, v10, v18, vcc_lo
	v_add_f32_e32 v7, v43, v7
	v_add_f32_e32 v1, v2, v1
	v_cmp_le_i32_e32 vcc_lo, s11, v9
	v_and_b32_e32 v4, 0xffff0000, v6
	v_add_f32_e32 v6, v42, v24
	s_or_b32 s13, vcc_lo, s13
	v_add_f32_e32 v2, v4, v3
	v_add_f32_e32 v3, v22, v21
	;; [unrolled: 1-line block ×9, first 2 shown]
	s_andn2_b32 exec_lo, exec_lo, s13
	s_cbranch_execz .LBB366_1041
.LBB366_545:                            ; =>This Inner Loop Header: Depth=1
	global_load_dword v0, v[14:15], off
	s_waitcnt vmcnt(0)
	v_mad_i64_i32 v[16:17], null, v0, s6, v[12:13]
	v_mov_b32_e32 v0, 0
	global_load_dwordx2 v[18:19], v[16:17], off
	ds_read2_b64 v[5:8], v36 offset1:1
	ds_read2_b64 v[1:4], v36 offset0:2 offset1:3
	s_waitcnt vmcnt(0)
	v_cmp_ne_u16_sdwa s14, v18, v11 src0_sel:BYTE_0 src1_sel:DWORD
	s_and_saveexec_b32 s1, s14
	s_cbranch_execz .LBB366_551
; %bb.546:                              ;   in Loop: Header=BB366_545 Depth=1
	v_cmp_ne_u16_sdwa s15, v18, v37 src0_sel:BYTE_0 src1_sel:DWORD
	v_bfrev_b32_e32 v0, 1
	s_and_saveexec_b32 s14, s15
	s_cbranch_execz .LBB366_550
; %bb.547:                              ;   in Loop: Header=BB366_545 Depth=1
	v_and_b32_e32 v10, 0x7f, v18
	v_mov_b32_e32 v0, 0x7f800001
	s_mov_b32 s15, exec_lo
	v_cmpx_ne_u32_e32 0x7f, v10
	s_cbranch_execz .LBB366_549
; %bb.548:                              ;   in Loop: Header=BB366_545 Depth=1
	v_and_b32_e32 v0, 7, v18
	v_cmp_gt_u32_e32 vcc_lo, 8, v10
	v_lshrrev_b32_e32 v20, 3, v10
	v_ffbh_u32_e32 v0, v0
	v_min_u32_e32 v0, 32, v0
	v_subrev_nc_u32_e32 v21, 28, v0
	v_sub_nc_u32_e32 v0, 29, v0
	v_cndmask_b32_e32 v10, 0, v21, vcc_lo
	v_cndmask_b32_e32 v0, v20, v0, vcc_lo
	v_lshlrev_b64 v[20:21], v10, v[18:19]
	v_lshlrev_b32_e32 v10, 24, v18
	v_lshl_add_u32 v0, v0, 23, 0x3c000000
	v_and_b32_e32 v10, 0x80000000, v10
	v_lshlrev_b32_e32 v20, 20, v20
	v_and_b32_e32 v20, 0x700000, v20
	v_or3_b32 v0, v20, v10, v0
.LBB366_549:                            ;   in Loop: Header=BB366_545 Depth=1
	s_or_b32 exec_lo, exec_lo, s15
.LBB366_550:                            ;   in Loop: Header=BB366_545 Depth=1
	s_or_b32 exec_lo, exec_lo, s14
.LBB366_551:                            ;   in Loop: Header=BB366_545 Depth=1
	s_or_b32 exec_lo, exec_lo, s1
	v_cmp_ne_u16_sdwa s14, v18, v11 src0_sel:BYTE_1 src1_sel:DWORD
	v_mov_b32_e32 v23, 0
	v_mov_b32_e32 v22, 0
	s_and_saveexec_b32 s1, s14
	s_cbranch_execz .LBB366_559
; %bb.552:                              ;   in Loop: Header=BB366_545 Depth=1
	v_cmp_ne_u16_sdwa s15, v18, v37 src0_sel:BYTE_1 src1_sel:DWORD
	v_bfrev_b32_e32 v22, 1
	s_and_saveexec_b32 s14, s15
	s_cbranch_execz .LBB366_558
; %bb.553:                              ;   in Loop: Header=BB366_545 Depth=1
	v_and_b32_sdwa v10, v38, v18 dst_sel:DWORD dst_unused:UNUSED_PAD src0_sel:DWORD src1_sel:BYTE_1
	v_mov_b32_e32 v22, 0x7f800001
	s_mov_b32 s15, exec_lo
	v_and_b32_e32 v21, 0x7f, v10
	v_cmpx_ne_u32_e32 0x7f, v21
	s_cbranch_execz .LBB366_557
; %bb.554:                              ;   in Loop: Header=BB366_545 Depth=1
	v_and_b32_e32 v10, 7, v10
	v_lshrrev_b32_e32 v20, 3, v21
	s_mov_b32 s16, exec_lo
	v_cmpx_gt_u32_e32 8, v21
; %bb.555:                              ;   in Loop: Header=BB366_545 Depth=1
	v_ffbh_u32_e32 v20, v10
	v_min_u32_e32 v20, 32, v20
	v_subrev_nc_u32_e32 v21, 28, v20
	v_sub_nc_u32_e32 v20, 29, v20
	v_lshlrev_b64 v[21:22], v21, v[10:11]
	v_and_b32_e32 v10, 7, v21
; %bb.556:                              ;   in Loop: Header=BB366_545 Depth=1
	s_or_b32 exec_lo, exec_lo, s16
	v_lshlrev_b32_e32 v21, 16, v18
	v_lshlrev_b32_e32 v10, 20, v10
	v_lshl_add_u32 v20, v20, 23, 0x3c000000
	v_and_b32_e32 v21, 0x80000000, v21
	v_or3_b32 v22, v10, v21, v20
.LBB366_557:                            ;   in Loop: Header=BB366_545 Depth=1
	s_or_b32 exec_lo, exec_lo, s15
.LBB366_558:                            ;   in Loop: Header=BB366_545 Depth=1
	s_or_b32 exec_lo, exec_lo, s14
.LBB366_559:                            ;   in Loop: Header=BB366_545 Depth=1
	s_or_b32 exec_lo, exec_lo, s1
	v_and_b32_sdwa v10, v18, v39 dst_sel:DWORD dst_unused:UNUSED_PAD src0_sel:WORD_1 src1_sel:DWORD
	s_mov_b32 s1, exec_lo
	v_cmpx_ne_u16_e32 0, v10
	s_cbranch_execz .LBB366_567
; %bb.560:                              ;   in Loop: Header=BB366_545 Depth=1
	v_bfrev_b32_e32 v23, 1
	s_mov_b32 s14, exec_lo
	v_cmpx_ne_u16_e32 0x80, v10
	s_cbranch_execz .LBB366_566
; %bb.561:                              ;   in Loop: Header=BB366_545 Depth=1
	v_bfe_u32 v21, v18, 16, 7
	v_mov_b32_e32 v23, 0x7f800001
	s_mov_b32 s15, exec_lo
	v_cmpx_ne_u32_e32 0x7f, v21
	s_cbranch_execz .LBB366_565
; %bb.562:                              ;   in Loop: Header=BB366_545 Depth=1
	v_and_b32_sdwa v10, v18, v40 dst_sel:DWORD dst_unused:UNUSED_PAD src0_sel:WORD_1 src1_sel:DWORD
	v_lshrrev_b32_e32 v20, 3, v21
	s_mov_b32 s16, exec_lo
	v_cmpx_gt_u32_e32 8, v21
; %bb.563:                              ;   in Loop: Header=BB366_545 Depth=1
	v_ffbh_u32_e32 v20, v10
	v_min_u32_e32 v20, 32, v20
	v_subrev_nc_u32_e32 v21, 28, v20
	v_sub_nc_u32_e32 v20, 29, v20
	v_lshlrev_b64 v[23:24], v21, v[10:11]
	v_and_b32_e32 v10, 7, v23
; %bb.564:                              ;   in Loop: Header=BB366_545 Depth=1
	s_or_b32 exec_lo, exec_lo, s16
	v_lshlrev_b32_sdwa v21, v41, v18 dst_sel:DWORD dst_unused:UNUSED_PAD src0_sel:DWORD src1_sel:WORD_1
	v_lshlrev_b32_e32 v10, 20, v10
	v_lshl_add_u32 v20, v20, 23, 0x3c000000
	v_and_b32_e32 v21, 0x80000000, v21
	v_or3_b32 v23, v10, v21, v20
.LBB366_565:                            ;   in Loop: Header=BB366_545 Depth=1
	s_or_b32 exec_lo, exec_lo, s15
.LBB366_566:                            ;   in Loop: Header=BB366_545 Depth=1
	s_or_b32 exec_lo, exec_lo, s14
.LBB366_567:                            ;   in Loop: Header=BB366_545 Depth=1
	s_or_b32 exec_lo, exec_lo, s1
	v_mov_b32_e32 v24, 0
	v_mov_b32_e32 v42, 0
	s_mov_b32 s1, exec_lo
	v_cmpx_lt_u32_e32 0xffffff, v18
	s_cbranch_execz .LBB366_575
; %bb.568:                              ;   in Loop: Header=BB366_545 Depth=1
	v_cmp_ne_u32_sdwa s15, v18, v37 src0_sel:BYTE_3 src1_sel:DWORD
	v_bfrev_b32_e32 v42, 1
	s_and_saveexec_b32 s14, s15
	s_cbranch_execz .LBB366_574
; %bb.569:                              ;   in Loop: Header=BB366_545 Depth=1
	v_bfe_u32 v21, v18, 24, 7
	v_mov_b32_e32 v42, 0x7f800001
	s_mov_b32 s15, exec_lo
	v_cmpx_ne_u32_e32 0x7f, v21
	s_cbranch_execz .LBB366_573
; %bb.570:                              ;   in Loop: Header=BB366_545 Depth=1
	v_and_b32_sdwa v10, v18, v40 dst_sel:DWORD dst_unused:UNUSED_PAD src0_sel:BYTE_3 src1_sel:DWORD
	v_lshrrev_b32_e32 v20, 3, v21
	s_mov_b32 s16, exec_lo
	v_cmpx_gt_u32_e32 8, v21
; %bb.571:                              ;   in Loop: Header=BB366_545 Depth=1
	v_ffbh_u32_e32 v20, v10
	v_min_u32_e32 v20, 32, v20
	v_subrev_nc_u32_e32 v21, 28, v20
	v_sub_nc_u32_e32 v20, 29, v20
	v_lshlrev_b64 v[42:43], v21, v[10:11]
	v_and_b32_e32 v10, 7, v42
; %bb.572:                              ;   in Loop: Header=BB366_545 Depth=1
	s_or_b32 exec_lo, exec_lo, s16
	v_lshlrev_b32_sdwa v21, v41, v18 dst_sel:DWORD dst_unused:UNUSED_PAD src0_sel:DWORD src1_sel:BYTE_3
	v_lshlrev_b32_e32 v10, 20, v10
	v_lshl_add_u32 v20, v20, 23, 0x3c000000
	v_and_b32_e32 v21, 0x80000000, v21
	v_or3_b32 v42, v10, v21, v20
.LBB366_573:                            ;   in Loop: Header=BB366_545 Depth=1
	s_or_b32 exec_lo, exec_lo, s15
.LBB366_574:                            ;   in Loop: Header=BB366_545 Depth=1
	s_or_b32 exec_lo, exec_lo, s14
.LBB366_575:                            ;   in Loop: Header=BB366_545 Depth=1
	s_or_b32 exec_lo, exec_lo, s1
	v_mov_b32_e32 v10, v19
	v_cmp_ne_u16_sdwa s14, v19, v11 src0_sel:BYTE_0 src1_sel:DWORD
	s_and_saveexec_b32 s1, s14
	s_cbranch_execz .LBB366_581
; %bb.576:                              ;   in Loop: Header=BB366_545 Depth=1
	v_cmp_ne_u16_sdwa s15, v19, v37 src0_sel:BYTE_0 src1_sel:DWORD
	v_bfrev_b32_e32 v24, 1
	s_and_saveexec_b32 s14, s15
	s_cbranch_execz .LBB366_580
; %bb.577:                              ;   in Loop: Header=BB366_545 Depth=1
	v_and_b32_e32 v20, 0x7f, v19
	v_mov_b32_e32 v24, 0x7f800001
	s_mov_b32 s15, exec_lo
	v_cmpx_ne_u32_e32 0x7f, v20
	s_cbranch_execz .LBB366_579
; %bb.578:                              ;   in Loop: Header=BB366_545 Depth=1
	v_and_b32_e32 v21, 7, v19
	v_cmp_gt_u32_e32 vcc_lo, 8, v20
	v_lshrrev_b32_e32 v24, 3, v20
	v_ffbh_u32_e32 v21, v21
	v_min_u32_e32 v21, 32, v21
	v_subrev_nc_u32_e32 v43, 28, v21
	v_sub_nc_u32_e32 v21, 29, v21
	v_cndmask_b32_e32 v20, 0, v43, vcc_lo
	v_cndmask_b32_e32 v24, v24, v21, vcc_lo
	v_lshlrev_b64 v[20:21], v20, v[10:11]
	v_lshlrev_b32_e32 v21, 24, v10
	v_lshl_add_u32 v24, v24, 23, 0x3c000000
	v_lshlrev_b32_e32 v20, 20, v20
	v_and_b32_e32 v21, 0x80000000, v21
	v_and_b32_e32 v20, 0x700000, v20
	v_or3_b32 v24, v20, v21, v24
.LBB366_579:                            ;   in Loop: Header=BB366_545 Depth=1
	s_or_b32 exec_lo, exec_lo, s15
.LBB366_580:                            ;   in Loop: Header=BB366_545 Depth=1
	s_or_b32 exec_lo, exec_lo, s14
.LBB366_581:                            ;   in Loop: Header=BB366_545 Depth=1
	s_or_b32 exec_lo, exec_lo, s1
	v_cmp_ne_u16_sdwa s14, v10, v11 src0_sel:BYTE_1 src1_sel:DWORD
	v_mov_b32_e32 v44, 0
	v_mov_b32_e32 v20, 0
	s_and_saveexec_b32 s1, s14
	s_cbranch_execz .LBB366_589
; %bb.582:                              ;   in Loop: Header=BB366_545 Depth=1
	v_cmp_ne_u16_sdwa s15, v10, v37 src0_sel:BYTE_1 src1_sel:DWORD
	v_bfrev_b32_e32 v20, 1
	s_and_saveexec_b32 s14, s15
	s_cbranch_execz .LBB366_588
; %bb.583:                              ;   in Loop: Header=BB366_545 Depth=1
	v_and_b32_sdwa v21, v38, v10 dst_sel:DWORD dst_unused:UNUSED_PAD src0_sel:DWORD src1_sel:BYTE_1
	v_mov_b32_e32 v20, 0x7f800001
	s_mov_b32 s15, exec_lo
	v_and_b32_e32 v45, 0x7f, v21
	v_cmpx_ne_u32_e32 0x7f, v45
	s_cbranch_execz .LBB366_587
; %bb.584:                              ;   in Loop: Header=BB366_545 Depth=1
	v_and_b32_e32 v20, 7, v21
	v_mov_b32_e32 v21, v11
	v_lshrrev_b32_e32 v43, 3, v45
	s_mov_b32 s16, exec_lo
	v_cmpx_gt_u32_e32 8, v45
; %bb.585:                              ;   in Loop: Header=BB366_545 Depth=1
	v_ffbh_u32_e32 v43, v20
	v_min_u32_e32 v43, 32, v43
	v_subrev_nc_u32_e32 v45, 28, v43
	v_sub_nc_u32_e32 v43, 29, v43
	v_lshlrev_b64 v[20:21], v45, v[20:21]
	v_and_b32_e32 v20, 7, v20
; %bb.586:                              ;   in Loop: Header=BB366_545 Depth=1
	s_or_b32 exec_lo, exec_lo, s16
	v_lshlrev_b32_e32 v10, 16, v10
	v_lshlrev_b32_e32 v20, 20, v20
	v_lshl_add_u32 v21, v43, 23, 0x3c000000
	v_and_b32_e32 v10, 0x80000000, v10
	v_or3_b32 v20, v20, v10, v21
.LBB366_587:                            ;   in Loop: Header=BB366_545 Depth=1
	s_or_b32 exec_lo, exec_lo, s15
.LBB366_588:                            ;   in Loop: Header=BB366_545 Depth=1
	s_or_b32 exec_lo, exec_lo, s14
.LBB366_589:                            ;   in Loop: Header=BB366_545 Depth=1
	s_or_b32 exec_lo, exec_lo, s1
	v_and_b32_sdwa v10, v19, v39 dst_sel:DWORD dst_unused:UNUSED_PAD src0_sel:WORD_1 src1_sel:DWORD
	s_mov_b32 s1, exec_lo
	v_cmpx_ne_u16_e32 0, v10
	s_cbranch_execz .LBB366_597
; %bb.590:                              ;   in Loop: Header=BB366_545 Depth=1
	v_bfrev_b32_e32 v44, 1
	s_mov_b32 s14, exec_lo
	v_cmpx_ne_u16_e32 0x80, v10
	s_cbranch_execz .LBB366_596
; %bb.591:                              ;   in Loop: Header=BB366_545 Depth=1
	v_bfe_u32 v43, v19, 16, 7
	v_mov_b32_e32 v44, 0x7f800001
	s_mov_b32 s15, exec_lo
	v_cmpx_ne_u32_e32 0x7f, v43
	s_cbranch_execz .LBB366_595
; %bb.592:                              ;   in Loop: Header=BB366_545 Depth=1
	v_and_b32_sdwa v10, v19, v40 dst_sel:DWORD dst_unused:UNUSED_PAD src0_sel:WORD_1 src1_sel:DWORD
	v_lshrrev_b32_e32 v21, 3, v43
	s_mov_b32 s16, exec_lo
	v_cmpx_gt_u32_e32 8, v43
; %bb.593:                              ;   in Loop: Header=BB366_545 Depth=1
	v_ffbh_u32_e32 v21, v10
	v_min_u32_e32 v21, 32, v21
	v_subrev_nc_u32_e32 v43, 28, v21
	v_sub_nc_u32_e32 v21, 29, v21
	v_lshlrev_b64 v[43:44], v43, v[10:11]
	v_and_b32_e32 v10, 7, v43
; %bb.594:                              ;   in Loop: Header=BB366_545 Depth=1
	s_or_b32 exec_lo, exec_lo, s16
	v_lshlrev_b32_sdwa v43, v41, v19 dst_sel:DWORD dst_unused:UNUSED_PAD src0_sel:DWORD src1_sel:WORD_1
	v_lshlrev_b32_e32 v10, 20, v10
	v_lshl_add_u32 v21, v21, 23, 0x3c000000
	v_and_b32_e32 v43, 0x80000000, v43
	v_or3_b32 v44, v10, v43, v21
.LBB366_595:                            ;   in Loop: Header=BB366_545 Depth=1
	s_or_b32 exec_lo, exec_lo, s15
.LBB366_596:                            ;   in Loop: Header=BB366_545 Depth=1
	s_or_b32 exec_lo, exec_lo, s14
.LBB366_597:                            ;   in Loop: Header=BB366_545 Depth=1
	s_or_b32 exec_lo, exec_lo, s1
	v_mov_b32_e32 v10, 0
	s_mov_b32 s1, exec_lo
	v_cmpx_lt_u64_e64 s[4:5], v[18:19]
	s_cbranch_execz .LBB366_605
; %bb.598:                              ;   in Loop: Header=BB366_545 Depth=1
	v_cmp_ne_u32_sdwa s15, v19, v37 src0_sel:BYTE_3 src1_sel:DWORD
	v_bfrev_b32_e32 v10, 1
	s_and_saveexec_b32 s14, s15
	s_cbranch_execz .LBB366_604
; %bb.599:                              ;   in Loop: Header=BB366_545 Depth=1
	v_bfe_u32 v21, v19, 24, 7
	v_mov_b32_e32 v10, 0x7f800001
	s_mov_b32 s15, exec_lo
	v_cmpx_ne_u32_e32 0x7f, v21
	s_cbranch_execz .LBB366_603
; %bb.600:                              ;   in Loop: Header=BB366_545 Depth=1
	v_and_b32_sdwa v10, v19, v40 dst_sel:DWORD dst_unused:UNUSED_PAD src0_sel:BYTE_3 src1_sel:DWORD
	v_lshrrev_b32_e32 v18, 3, v21
	s_mov_b32 s16, exec_lo
	v_cmpx_gt_u32_e32 8, v21
; %bb.601:                              ;   in Loop: Header=BB366_545 Depth=1
	v_ffbh_u32_e32 v18, v10
	v_min_u32_e32 v18, 32, v18
	v_subrev_nc_u32_e32 v21, 28, v18
	v_sub_nc_u32_e32 v18, 29, v18
	v_lshlrev_b64 v[45:46], v21, v[10:11]
	v_and_b32_e32 v10, 7, v45
; %bb.602:                              ;   in Loop: Header=BB366_545 Depth=1
	s_or_b32 exec_lo, exec_lo, s16
	v_lshlrev_b32_sdwa v19, v41, v19 dst_sel:DWORD dst_unused:UNUSED_PAD src0_sel:DWORD src1_sel:BYTE_3
	v_lshlrev_b32_e32 v10, 20, v10
	v_lshl_add_u32 v18, v18, 23, 0x3c000000
	v_and_b32_e32 v19, 0x80000000, v19
	v_or3_b32 v10, v10, v19, v18
.LBB366_603:                            ;   in Loop: Header=BB366_545 Depth=1
	s_or_b32 exec_lo, exec_lo, s15
.LBB366_604:                            ;   in Loop: Header=BB366_545 Depth=1
	s_or_b32 exec_lo, exec_lo, s14
.LBB366_605:                            ;   in Loop: Header=BB366_545 Depth=1
	s_or_b32 exec_lo, exec_lo, s1
	s_waitcnt lgkmcnt(0)
	v_mul_f32_e32 v18, s9, v20
	v_mul_f32_e32 v19, s9, v24
	;; [unrolled: 1-line block ×5, first 2 shown]
	v_bfe_u32 v21, v18, 16, 1
	v_or_b32_e32 v24, 0x400000, v18
	v_bfe_u32 v42, v19, 16, 1
	v_cmp_u_f32_e64 s1, v18, v18
	v_or_b32_e32 v43, 0x400000, v19
	v_add3_u32 v21, v21, v18, 0x7fff
	v_bfe_u32 v45, v20, 16, 1
	v_add3_u32 v42, v42, v19, 0x7fff
	v_or_b32_e32 v46, 0x400000, v20
	v_mul_f32_e32 v10, s9, v10
	v_cndmask_b32_e64 v18, v21, v24, s1
	v_cmp_u_f32_e64 s1, v19, v19
	v_add3_u32 v24, v45, v20, 0x7fff
	v_bfe_u32 v21, v23, 16, 1
	v_add_nc_u32_e32 v50, -7, v35
	v_cmp_eq_u32_e32 vcc_lo, s12, v9
	v_cndmask_b32_e64 v19, v42, v43, s1
	v_cmp_u_f32_e64 s1, v20, v20
	v_lshrrev_b32_e32 v43, 16, v18
	v_mul_f32_e32 v20, s9, v22
	v_add3_u32 v21, v21, v23, 0x7fff
	v_or_b32_e32 v22, 0x400000, v23
	v_cndmask_b32_e64 v18, v24, v46, s1
	v_cmp_u_f32_e64 s1, v23, v23
	v_lshrrev_b32_e32 v42, 16, v19
	v_bfe_u32 v23, v0, 16, 1
	v_or_b32_e32 v46, 0x400000, v10
	v_lshrrev_b32_e32 v45, 16, v18
	v_bfe_u32 v18, v20, 16, 1
	v_cndmask_b32_e64 v19, v21, v22, s1
	v_mul_f32_e32 v21, s9, v44
	v_or_b32_e32 v22, 0x400000, v20
	v_cmp_u_f32_e64 s1, v20, v20
	v_add3_u32 v18, v18, v20, 0x7fff
	v_bfe_u32 v20, v10, 16, 1
	v_bfe_u32 v24, v21, 16, 1
	v_or_b32_e32 v44, 0x400000, v21
	v_lshrrev_b32_e32 v47, 16, v19
	v_cndmask_b32_e64 v18, v18, v22, s1
	v_add3_u32 v22, v23, v0, 0x7fff
	v_or_b32_e32 v23, 0x400000, v0
	v_cmp_u_f32_e64 s1, v0, v0
	v_add3_u32 v24, v24, v21, 0x7fff
	v_add3_u32 v20, v20, v10, 0x7fff
	v_lshrrev_b32_e32 v49, 16, v18
	v_add_nc_u32_e32 v61, -6, v35
	v_cndmask_b32_e64 v0, v22, v23, s1
	v_cmp_u_f32_e64 s1, v21, v21
	v_add_nc_u32_e32 v60, -5, v35
	v_add_nc_u32_e32 v59, -4, v35
	;; [unrolled: 1-line block ×3, first 2 shown]
	v_lshrrev_b32_e32 v48, 16, v0
	v_cndmask_b32_e64 v21, v24, v44, s1
	v_cmp_u_f32_e64 s1, v10, v10
	v_add_nc_u32_e32 v57, -2, v35
	v_add_nc_u32_e32 v56, -1, v35
	v_lshrrev_b32_e32 v44, 16, v21
	v_cndmask_b32_e64 v10, v20, v46, s1
	v_lshrrev_b32_e32 v46, 16, v10
	s_and_saveexec_b32 s14, vcc_lo
	s_cbranch_execz .LBB366_607
; %bb.606:                              ;   in Loop: Header=BB366_545 Depth=1
	v_cmp_gt_i32_e64 s1, s27, v50
	v_cndmask_b32_e64 v48, 0, v48, s1
	v_cmp_gt_i32_e64 s1, s27, v61
	v_cndmask_b32_e64 v49, 0, v49, s1
	;; [unrolled: 2-line block ×8, first 2 shown]
.LBB366_607:                            ;   in Loop: Header=BB366_545 Depth=1
	s_or_b32 exec_lo, exec_lo, s14
	global_load_dwordx2 v[18:19], v[16:17], off offset:256
	v_mov_b32_e32 v22, 0
	v_mov_b32_e32 v0, 0
	s_waitcnt vmcnt(0)
	v_cmp_ne_u16_sdwa s1, v18, v11 src0_sel:BYTE_0 src1_sel:DWORD
	s_and_saveexec_b32 s14, s1
	s_cbranch_execz .LBB366_613
; %bb.608:                              ;   in Loop: Header=BB366_545 Depth=1
	v_cmp_ne_u16_sdwa s1, v18, v37 src0_sel:BYTE_0 src1_sel:DWORD
	v_bfrev_b32_e32 v0, 1
	s_and_saveexec_b32 s15, s1
	s_cbranch_execz .LBB366_612
; %bb.609:                              ;   in Loop: Header=BB366_545 Depth=1
	v_and_b32_e32 v10, 0x7f, v18
	v_mov_b32_e32 v0, 0x7f800001
	s_mov_b32 s16, exec_lo
	v_cmpx_ne_u32_e32 0x7f, v10
	s_cbranch_execz .LBB366_611
; %bb.610:                              ;   in Loop: Header=BB366_545 Depth=1
	v_and_b32_e32 v0, 7, v18
	v_cmp_gt_u32_e64 s1, 8, v10
	v_lshrrev_b32_e32 v20, 3, v10
	v_ffbh_u32_e32 v0, v0
	v_min_u32_e32 v0, 32, v0
	v_subrev_nc_u32_e32 v21, 28, v0
	v_sub_nc_u32_e32 v0, 29, v0
	v_cndmask_b32_e64 v10, 0, v21, s1
	v_cndmask_b32_e64 v0, v20, v0, s1
	v_lshlrev_b64 v[20:21], v10, v[18:19]
	v_lshlrev_b32_e32 v10, 24, v18
	v_lshl_add_u32 v0, v0, 23, 0x3c000000
	v_and_b32_e32 v10, 0x80000000, v10
	v_lshlrev_b32_e32 v20, 20, v20
	v_and_b32_e32 v20, 0x700000, v20
	v_or3_b32 v0, v20, v10, v0
.LBB366_611:                            ;   in Loop: Header=BB366_545 Depth=1
	s_or_b32 exec_lo, exec_lo, s16
.LBB366_612:                            ;   in Loop: Header=BB366_545 Depth=1
	s_or_b32 exec_lo, exec_lo, s15
.LBB366_613:                            ;   in Loop: Header=BB366_545 Depth=1
	s_or_b32 exec_lo, exec_lo, s14
	v_cmp_ne_u16_sdwa s1, v18, v11 src0_sel:BYTE_1 src1_sel:DWORD
	s_and_saveexec_b32 s14, s1
	s_cbranch_execz .LBB366_621
; %bb.614:                              ;   in Loop: Header=BB366_545 Depth=1
	v_cmp_ne_u16_sdwa s1, v18, v37 src0_sel:BYTE_1 src1_sel:DWORD
	v_bfrev_b32_e32 v22, 1
	s_and_saveexec_b32 s15, s1
	s_cbranch_execz .LBB366_620
; %bb.615:                              ;   in Loop: Header=BB366_545 Depth=1
	v_and_b32_sdwa v10, v38, v18 dst_sel:DWORD dst_unused:UNUSED_PAD src0_sel:DWORD src1_sel:BYTE_1
	v_mov_b32_e32 v22, 0x7f800001
	s_mov_b32 s16, exec_lo
	v_and_b32_e32 v21, 0x7f, v10
	v_cmpx_ne_u32_e32 0x7f, v21
	s_cbranch_execz .LBB366_619
; %bb.616:                              ;   in Loop: Header=BB366_545 Depth=1
	v_and_b32_e32 v10, 7, v10
	v_lshrrev_b32_e32 v20, 3, v21
	s_mov_b32 s17, exec_lo
	v_cmpx_gt_u32_e32 8, v21
; %bb.617:                              ;   in Loop: Header=BB366_545 Depth=1
	v_ffbh_u32_e32 v20, v10
	v_min_u32_e32 v20, 32, v20
	v_subrev_nc_u32_e32 v21, 28, v20
	v_sub_nc_u32_e32 v20, 29, v20
	v_lshlrev_b64 v[21:22], v21, v[10:11]
	v_and_b32_e32 v10, 7, v21
; %bb.618:                              ;   in Loop: Header=BB366_545 Depth=1
	s_or_b32 exec_lo, exec_lo, s17
	v_lshlrev_b32_e32 v21, 16, v18
	v_lshlrev_b32_e32 v10, 20, v10
	v_lshl_add_u32 v20, v20, 23, 0x3c000000
	v_and_b32_e32 v21, 0x80000000, v21
	v_or3_b32 v22, v10, v21, v20
.LBB366_619:                            ;   in Loop: Header=BB366_545 Depth=1
	s_or_b32 exec_lo, exec_lo, s16
.LBB366_620:                            ;   in Loop: Header=BB366_545 Depth=1
	s_or_b32 exec_lo, exec_lo, s15
.LBB366_621:                            ;   in Loop: Header=BB366_545 Depth=1
	s_or_b32 exec_lo, exec_lo, s14
	v_and_b32_sdwa v10, v18, v39 dst_sel:DWORD dst_unused:UNUSED_PAD src0_sel:WORD_1 src1_sel:DWORD
	v_mov_b32_e32 v24, 0
	v_mov_b32_e32 v23, 0
	s_mov_b32 s14, exec_lo
	v_cmpx_ne_u16_e32 0, v10
	s_cbranch_execz .LBB366_629
; %bb.622:                              ;   in Loop: Header=BB366_545 Depth=1
	v_bfrev_b32_e32 v23, 1
	s_mov_b32 s15, exec_lo
	v_cmpx_ne_u16_e32 0x80, v10
	s_cbranch_execz .LBB366_628
; %bb.623:                              ;   in Loop: Header=BB366_545 Depth=1
	v_bfe_u32 v21, v18, 16, 7
	v_mov_b32_e32 v23, 0x7f800001
	s_mov_b32 s16, exec_lo
	v_cmpx_ne_u32_e32 0x7f, v21
	s_cbranch_execz .LBB366_627
; %bb.624:                              ;   in Loop: Header=BB366_545 Depth=1
	v_and_b32_sdwa v10, v18, v40 dst_sel:DWORD dst_unused:UNUSED_PAD src0_sel:WORD_1 src1_sel:DWORD
	v_lshrrev_b32_e32 v20, 3, v21
	s_mov_b32 s17, exec_lo
	v_cmpx_gt_u32_e32 8, v21
; %bb.625:                              ;   in Loop: Header=BB366_545 Depth=1
	v_ffbh_u32_e32 v20, v10
	v_min_u32_e32 v20, 32, v20
	v_subrev_nc_u32_e32 v21, 28, v20
	v_sub_nc_u32_e32 v20, 29, v20
	v_lshlrev_b64 v[51:52], v21, v[10:11]
	v_and_b32_e32 v10, 7, v51
; %bb.626:                              ;   in Loop: Header=BB366_545 Depth=1
	s_or_b32 exec_lo, exec_lo, s17
	v_lshlrev_b32_sdwa v21, v41, v18 dst_sel:DWORD dst_unused:UNUSED_PAD src0_sel:DWORD src1_sel:WORD_1
	v_lshlrev_b32_e32 v10, 20, v10
	v_lshl_add_u32 v20, v20, 23, 0x3c000000
	v_and_b32_e32 v21, 0x80000000, v21
	v_or3_b32 v23, v10, v21, v20
.LBB366_627:                            ;   in Loop: Header=BB366_545 Depth=1
	s_or_b32 exec_lo, exec_lo, s16
.LBB366_628:                            ;   in Loop: Header=BB366_545 Depth=1
	s_or_b32 exec_lo, exec_lo, s15
.LBB366_629:                            ;   in Loop: Header=BB366_545 Depth=1
	s_or_b32 exec_lo, exec_lo, s14
	s_mov_b32 s14, exec_lo
	v_cmpx_lt_u32_e32 0xffffff, v18
	s_cbranch_execz .LBB366_637
; %bb.630:                              ;   in Loop: Header=BB366_545 Depth=1
	v_cmp_ne_u32_sdwa s1, v18, v37 src0_sel:BYTE_3 src1_sel:DWORD
	v_bfrev_b32_e32 v24, 1
	s_and_saveexec_b32 s15, s1
	s_cbranch_execz .LBB366_636
; %bb.631:                              ;   in Loop: Header=BB366_545 Depth=1
	v_bfe_u32 v21, v18, 24, 7
	v_mov_b32_e32 v24, 0x7f800001
	s_mov_b32 s16, exec_lo
	v_cmpx_ne_u32_e32 0x7f, v21
	s_cbranch_execz .LBB366_635
; %bb.632:                              ;   in Loop: Header=BB366_545 Depth=1
	v_and_b32_sdwa v10, v18, v40 dst_sel:DWORD dst_unused:UNUSED_PAD src0_sel:BYTE_3 src1_sel:DWORD
	v_lshrrev_b32_e32 v20, 3, v21
	s_mov_b32 s17, exec_lo
	v_cmpx_gt_u32_e32 8, v21
; %bb.633:                              ;   in Loop: Header=BB366_545 Depth=1
	v_ffbh_u32_e32 v20, v10
	v_min_u32_e32 v20, 32, v20
	v_subrev_nc_u32_e32 v21, 28, v20
	v_sub_nc_u32_e32 v20, 29, v20
	v_lshlrev_b64 v[51:52], v21, v[10:11]
	v_and_b32_e32 v10, 7, v51
; %bb.634:                              ;   in Loop: Header=BB366_545 Depth=1
	s_or_b32 exec_lo, exec_lo, s17
	v_lshlrev_b32_sdwa v21, v41, v18 dst_sel:DWORD dst_unused:UNUSED_PAD src0_sel:DWORD src1_sel:BYTE_3
	v_lshlrev_b32_e32 v10, 20, v10
	v_lshl_add_u32 v20, v20, 23, 0x3c000000
	v_and_b32_e32 v21, 0x80000000, v21
	v_or3_b32 v24, v10, v21, v20
.LBB366_635:                            ;   in Loop: Header=BB366_545 Depth=1
	s_or_b32 exec_lo, exec_lo, s16
.LBB366_636:                            ;   in Loop: Header=BB366_545 Depth=1
	s_or_b32 exec_lo, exec_lo, s15
.LBB366_637:                            ;   in Loop: Header=BB366_545 Depth=1
	s_or_b32 exec_lo, exec_lo, s14
	v_mov_b32_e32 v10, v19
	v_cmp_ne_u16_sdwa s1, v19, v11 src0_sel:BYTE_0 src1_sel:DWORD
	v_mov_b32_e32 v20, 0
	v_mov_b32_e32 v51, 0
	s_and_saveexec_b32 s14, s1
	s_cbranch_execz .LBB366_643
; %bb.638:                              ;   in Loop: Header=BB366_545 Depth=1
	v_cmp_ne_u16_sdwa s1, v19, v37 src0_sel:BYTE_0 src1_sel:DWORD
	v_bfrev_b32_e32 v51, 1
	s_and_saveexec_b32 s15, s1
	s_cbranch_execz .LBB366_642
; %bb.639:                              ;   in Loop: Header=BB366_545 Depth=1
	v_and_b32_e32 v21, 0x7f, v19
	v_mov_b32_e32 v51, 0x7f800001
	s_mov_b32 s16, exec_lo
	v_cmpx_ne_u32_e32 0x7f, v21
	s_cbranch_execz .LBB366_641
; %bb.640:                              ;   in Loop: Header=BB366_545 Depth=1
	v_and_b32_e32 v51, 7, v19
	v_lshrrev_b32_e32 v52, 3, v21
	v_cmp_gt_u32_e64 s1, 8, v21
	v_ffbh_u32_e32 v51, v51
	v_min_u32_e32 v51, 32, v51
	v_subrev_nc_u32_e32 v53, 28, v51
	v_sub_nc_u32_e32 v51, 29, v51
	v_cndmask_b32_e64 v21, v52, v51, s1
	v_cndmask_b32_e64 v51, 0, v53, s1
	v_lshl_add_u32 v21, v21, 23, 0x3c000000
	v_lshlrev_b64 v[51:52], v51, v[10:11]
	v_lshlrev_b32_e32 v52, 24, v10
	v_lshlrev_b32_e32 v51, 20, v51
	v_and_b32_e32 v52, 0x80000000, v52
	v_and_b32_e32 v51, 0x700000, v51
	v_or3_b32 v51, v51, v52, v21
.LBB366_641:                            ;   in Loop: Header=BB366_545 Depth=1
	s_or_b32 exec_lo, exec_lo, s16
.LBB366_642:                            ;   in Loop: Header=BB366_545 Depth=1
	s_or_b32 exec_lo, exec_lo, s15
.LBB366_643:                            ;   in Loop: Header=BB366_545 Depth=1
	s_or_b32 exec_lo, exec_lo, s14
	v_cmp_ne_u16_sdwa s1, v10, v11 src0_sel:BYTE_1 src1_sel:DWORD
	s_and_saveexec_b32 s14, s1
	s_cbranch_execz .LBB366_651
; %bb.644:                              ;   in Loop: Header=BB366_545 Depth=1
	v_cmp_ne_u16_sdwa s1, v10, v37 src0_sel:BYTE_1 src1_sel:DWORD
	v_bfrev_b32_e32 v20, 1
	s_and_saveexec_b32 s15, s1
	s_cbranch_execz .LBB366_650
; %bb.645:                              ;   in Loop: Header=BB366_545 Depth=1
	v_and_b32_sdwa v21, v38, v10 dst_sel:DWORD dst_unused:UNUSED_PAD src0_sel:DWORD src1_sel:BYTE_1
	v_mov_b32_e32 v20, 0x7f800001
	s_mov_b32 s16, exec_lo
	v_and_b32_e32 v53, 0x7f, v21
	v_cmpx_ne_u32_e32 0x7f, v53
	s_cbranch_execz .LBB366_649
; %bb.646:                              ;   in Loop: Header=BB366_545 Depth=1
	v_and_b32_e32 v20, 7, v21
	v_mov_b32_e32 v21, v11
	v_lshrrev_b32_e32 v52, 3, v53
	s_mov_b32 s17, exec_lo
	v_cmpx_gt_u32_e32 8, v53
; %bb.647:                              ;   in Loop: Header=BB366_545 Depth=1
	v_ffbh_u32_e32 v52, v20
	v_min_u32_e32 v52, 32, v52
	v_subrev_nc_u32_e32 v53, 28, v52
	v_sub_nc_u32_e32 v52, 29, v52
	v_lshlrev_b64 v[20:21], v53, v[20:21]
	v_and_b32_e32 v20, 7, v20
; %bb.648:                              ;   in Loop: Header=BB366_545 Depth=1
	s_or_b32 exec_lo, exec_lo, s17
	v_lshlrev_b32_e32 v10, 16, v10
	v_lshlrev_b32_e32 v20, 20, v20
	v_lshl_add_u32 v21, v52, 23, 0x3c000000
	v_and_b32_e32 v10, 0x80000000, v10
	v_or3_b32 v20, v20, v10, v21
.LBB366_649:                            ;   in Loop: Header=BB366_545 Depth=1
	s_or_b32 exec_lo, exec_lo, s16
.LBB366_650:                            ;   in Loop: Header=BB366_545 Depth=1
	s_or_b32 exec_lo, exec_lo, s15
.LBB366_651:                            ;   in Loop: Header=BB366_545 Depth=1
	s_or_b32 exec_lo, exec_lo, s14
	v_and_b32_sdwa v10, v19, v39 dst_sel:DWORD dst_unused:UNUSED_PAD src0_sel:WORD_1 src1_sel:DWORD
	v_mov_b32_e32 v21, 0
	v_mov_b32_e32 v53, 0
	s_mov_b32 s14, exec_lo
	v_cmpx_ne_u16_e32 0, v10
	s_cbranch_execz .LBB366_659
; %bb.652:                              ;   in Loop: Header=BB366_545 Depth=1
	v_bfrev_b32_e32 v53, 1
	s_mov_b32 s15, exec_lo
	v_cmpx_ne_u16_e32 0x80, v10
	s_cbranch_execz .LBB366_658
; %bb.653:                              ;   in Loop: Header=BB366_545 Depth=1
	v_bfe_u32 v54, v19, 16, 7
	v_mov_b32_e32 v53, 0x7f800001
	s_mov_b32 s16, exec_lo
	v_cmpx_ne_u32_e32 0x7f, v54
	s_cbranch_execz .LBB366_657
; %bb.654:                              ;   in Loop: Header=BB366_545 Depth=1
	v_and_b32_sdwa v10, v19, v40 dst_sel:DWORD dst_unused:UNUSED_PAD src0_sel:WORD_1 src1_sel:DWORD
	v_lshrrev_b32_e32 v52, 3, v54
	s_mov_b32 s17, exec_lo
	v_cmpx_gt_u32_e32 8, v54
; %bb.655:                              ;   in Loop: Header=BB366_545 Depth=1
	v_ffbh_u32_e32 v52, v10
	v_min_u32_e32 v52, 32, v52
	v_subrev_nc_u32_e32 v53, 28, v52
	v_sub_nc_u32_e32 v52, 29, v52
	v_lshlrev_b64 v[53:54], v53, v[10:11]
	v_and_b32_e32 v10, 7, v53
; %bb.656:                              ;   in Loop: Header=BB366_545 Depth=1
	s_or_b32 exec_lo, exec_lo, s17
	v_lshlrev_b32_sdwa v53, v41, v19 dst_sel:DWORD dst_unused:UNUSED_PAD src0_sel:DWORD src1_sel:WORD_1
	v_lshlrev_b32_e32 v10, 20, v10
	v_lshl_add_u32 v52, v52, 23, 0x3c000000
	v_and_b32_e32 v53, 0x80000000, v53
	v_or3_b32 v53, v10, v53, v52
.LBB366_657:                            ;   in Loop: Header=BB366_545 Depth=1
	s_or_b32 exec_lo, exec_lo, s16
.LBB366_658:                            ;   in Loop: Header=BB366_545 Depth=1
	s_or_b32 exec_lo, exec_lo, s15
.LBB366_659:                            ;   in Loop: Header=BB366_545 Depth=1
	s_or_b32 exec_lo, exec_lo, s14
	s_mov_b32 s14, exec_lo
	v_cmpx_lt_u64_e64 s[4:5], v[18:19]
	s_cbranch_execz .LBB366_667
; %bb.660:                              ;   in Loop: Header=BB366_545 Depth=1
	v_cmp_ne_u32_sdwa s1, v19, v37 src0_sel:BYTE_3 src1_sel:DWORD
	v_bfrev_b32_e32 v21, 1
	s_and_saveexec_b32 s15, s1
	s_cbranch_execz .LBB366_666
; %bb.661:                              ;   in Loop: Header=BB366_545 Depth=1
	v_bfe_u32 v52, v19, 24, 7
	v_mov_b32_e32 v21, 0x7f800001
	s_mov_b32 s16, exec_lo
	v_cmpx_ne_u32_e32 0x7f, v52
	s_cbranch_execz .LBB366_665
; %bb.662:                              ;   in Loop: Header=BB366_545 Depth=1
	v_and_b32_sdwa v10, v19, v40 dst_sel:DWORD dst_unused:UNUSED_PAD src0_sel:BYTE_3 src1_sel:DWORD
	v_lshrrev_b32_e32 v18, 3, v52
	s_mov_b32 s17, exec_lo
	v_cmpx_gt_u32_e32 8, v52
; %bb.663:                              ;   in Loop: Header=BB366_545 Depth=1
	v_ffbh_u32_e32 v18, v10
	v_min_u32_e32 v18, 32, v18
	v_subrev_nc_u32_e32 v21, 28, v18
	v_sub_nc_u32_e32 v18, 29, v18
	v_lshlrev_b64 v[54:55], v21, v[10:11]
	v_and_b32_e32 v10, 7, v54
; %bb.664:                              ;   in Loop: Header=BB366_545 Depth=1
	s_or_b32 exec_lo, exec_lo, s17
	v_lshlrev_b32_sdwa v19, v41, v19 dst_sel:DWORD dst_unused:UNUSED_PAD src0_sel:DWORD src1_sel:BYTE_3
	v_lshlrev_b32_e32 v10, 20, v10
	v_lshl_add_u32 v18, v18, 23, 0x3c000000
	v_and_b32_e32 v19, 0x80000000, v19
	v_or3_b32 v21, v10, v19, v18
.LBB366_665:                            ;   in Loop: Header=BB366_545 Depth=1
	s_or_b32 exec_lo, exec_lo, s16
.LBB366_666:                            ;   in Loop: Header=BB366_545 Depth=1
	s_or_b32 exec_lo, exec_lo, s15
.LBB366_667:                            ;   in Loop: Header=BB366_545 Depth=1
	s_or_b32 exec_lo, exec_lo, s14
	v_mul_f32_e32 v10, s9, v20
	v_mul_f32_e32 v18, s9, v51
	;; [unrolled: 1-line block ×5, first 2 shown]
	v_bfe_u32 v23, v10, 16, 1
	v_or_b32_e32 v24, 0x400000, v10
	v_bfe_u32 v51, v18, 16, 1
	v_cmp_u_f32_e64 s1, v10, v10
	v_or_b32_e32 v52, 0x400000, v18
	v_add3_u32 v23, v23, v10, 0x7fff
	v_bfe_u32 v54, v19, 16, 1
	v_add3_u32 v51, v51, v18, 0x7fff
	v_or_b32_e32 v55, 0x400000, v19
	v_bfe_u32 v62, v20, 16, 1
	v_cndmask_b32_e64 v10, v23, v24, s1
	v_cmp_u_f32_e64 s1, v18, v18
	v_add3_u32 v54, v54, v19, 0x7fff
	v_or_b32_e32 v23, 0x400000, v20
	v_mul_f32_e32 v21, s9, v21
	v_cndmask_b32_e64 v18, v51, v52, s1
	v_cmp_u_f32_e64 s1, v19, v19
	v_lshrrev_b32_e32 v51, 16, v10
	v_mul_f32_e32 v10, s9, v22
	v_add3_u32 v22, v62, v20, 0x7fff
	v_lshrrev_b32_e32 v52, 16, v18
	v_cndmask_b32_e64 v19, v54, v55, s1
	v_cmp_u_f32_e64 s1, v20, v20
	v_bfe_u32 v18, v10, 16, 1
	v_mul_f32_e32 v20, s9, v53
	v_or_b32_e32 v55, 0x400000, v21
	v_lshrrev_b32_e32 v54, 16, v19
	v_cndmask_b32_e64 v19, v22, v23, s1
	v_add3_u32 v18, v18, v10, 0x7fff
	v_or_b32_e32 v22, 0x400000, v10
	v_bfe_u32 v23, v0, 16, 1
	v_cmp_u_f32_e64 s1, v10, v10
	v_bfe_u32 v24, v20, 16, 1
	v_or_b32_e32 v53, 0x400000, v20
	v_lshrrev_b32_e32 v62, 16, v19
	v_cndmask_b32_e64 v10, v18, v22, s1
	v_add3_u32 v22, v23, v0, 0x7fff
	v_or_b32_e32 v23, 0x400000, v0
	v_cmp_u_f32_e64 s1, v0, v0
	v_bfe_u32 v18, v21, 16, 1
	v_add3_u32 v24, v24, v20, 0x7fff
	v_lshrrev_b32_e32 v64, 16, v10
	v_cndmask_b32_e64 v0, v22, v23, s1
	v_cmp_u_f32_e64 s1, v20, v20
	v_add3_u32 v18, v18, v21, 0x7fff
	v_lshrrev_b32_e32 v63, 16, v0
	v_cndmask_b32_e64 v20, v24, v53, s1
	v_cmp_u_f32_e64 s1, v21, v21
	v_lshrrev_b32_e32 v53, 16, v20
	v_cndmask_b32_e64 v18, v18, v55, s1
	v_lshrrev_b32_e32 v55, 16, v18
	s_and_saveexec_b32 s14, vcc_lo
	s_cbranch_execz .LBB366_669
; %bb.668:                              ;   in Loop: Header=BB366_545 Depth=1
	v_cmp_gt_i32_e64 s1, s27, v50
	v_cndmask_b32_e64 v63, 0, v63, s1
	v_cmp_gt_i32_e64 s1, s27, v61
	v_cndmask_b32_e64 v64, 0, v64, s1
	;; [unrolled: 2-line block ×8, first 2 shown]
.LBB366_669:                            ;   in Loop: Header=BB366_545 Depth=1
	s_or_b32 exec_lo, exec_lo, s14
	global_load_dwordx2 v[18:19], v[16:17], off offset:512
	v_mov_b32_e32 v22, 0
	v_mov_b32_e32 v0, 0
	s_waitcnt vmcnt(0)
	v_cmp_ne_u16_sdwa s1, v18, v11 src0_sel:BYTE_0 src1_sel:DWORD
	s_and_saveexec_b32 s14, s1
	s_cbranch_execz .LBB366_675
; %bb.670:                              ;   in Loop: Header=BB366_545 Depth=1
	v_cmp_ne_u16_sdwa s1, v18, v37 src0_sel:BYTE_0 src1_sel:DWORD
	v_bfrev_b32_e32 v0, 1
	s_and_saveexec_b32 s15, s1
	s_cbranch_execz .LBB366_674
; %bb.671:                              ;   in Loop: Header=BB366_545 Depth=1
	v_and_b32_e32 v10, 0x7f, v18
	v_mov_b32_e32 v0, 0x7f800001
	s_mov_b32 s16, exec_lo
	v_cmpx_ne_u32_e32 0x7f, v10
	s_cbranch_execz .LBB366_673
; %bb.672:                              ;   in Loop: Header=BB366_545 Depth=1
	v_and_b32_e32 v0, 7, v18
	v_cmp_gt_u32_e64 s1, 8, v10
	v_lshrrev_b32_e32 v20, 3, v10
	v_ffbh_u32_e32 v0, v0
	v_min_u32_e32 v0, 32, v0
	v_subrev_nc_u32_e32 v21, 28, v0
	v_sub_nc_u32_e32 v0, 29, v0
	v_cndmask_b32_e64 v10, 0, v21, s1
	v_cndmask_b32_e64 v0, v20, v0, s1
	v_lshlrev_b64 v[20:21], v10, v[18:19]
	v_lshlrev_b32_e32 v10, 24, v18
	v_lshl_add_u32 v0, v0, 23, 0x3c000000
	v_and_b32_e32 v10, 0x80000000, v10
	v_lshlrev_b32_e32 v20, 20, v20
	v_and_b32_e32 v20, 0x700000, v20
	v_or3_b32 v0, v20, v10, v0
.LBB366_673:                            ;   in Loop: Header=BB366_545 Depth=1
	s_or_b32 exec_lo, exec_lo, s16
.LBB366_674:                            ;   in Loop: Header=BB366_545 Depth=1
	s_or_b32 exec_lo, exec_lo, s15
.LBB366_675:                            ;   in Loop: Header=BB366_545 Depth=1
	s_or_b32 exec_lo, exec_lo, s14
	v_cmp_ne_u16_sdwa s1, v18, v11 src0_sel:BYTE_1 src1_sel:DWORD
	s_and_saveexec_b32 s14, s1
	s_cbranch_execz .LBB366_683
; %bb.676:                              ;   in Loop: Header=BB366_545 Depth=1
	v_cmp_ne_u16_sdwa s1, v18, v37 src0_sel:BYTE_1 src1_sel:DWORD
	v_bfrev_b32_e32 v22, 1
	s_and_saveexec_b32 s15, s1
	s_cbranch_execz .LBB366_682
; %bb.677:                              ;   in Loop: Header=BB366_545 Depth=1
	v_and_b32_sdwa v10, v38, v18 dst_sel:DWORD dst_unused:UNUSED_PAD src0_sel:DWORD src1_sel:BYTE_1
	v_mov_b32_e32 v22, 0x7f800001
	s_mov_b32 s16, exec_lo
	v_and_b32_e32 v21, 0x7f, v10
	v_cmpx_ne_u32_e32 0x7f, v21
	s_cbranch_execz .LBB366_681
; %bb.678:                              ;   in Loop: Header=BB366_545 Depth=1
	v_and_b32_e32 v10, 7, v10
	v_lshrrev_b32_e32 v20, 3, v21
	s_mov_b32 s17, exec_lo
	v_cmpx_gt_u32_e32 8, v21
; %bb.679:                              ;   in Loop: Header=BB366_545 Depth=1
	v_ffbh_u32_e32 v20, v10
	v_min_u32_e32 v20, 32, v20
	v_subrev_nc_u32_e32 v21, 28, v20
	v_sub_nc_u32_e32 v20, 29, v20
	v_lshlrev_b64 v[21:22], v21, v[10:11]
	v_and_b32_e32 v10, 7, v21
; %bb.680:                              ;   in Loop: Header=BB366_545 Depth=1
	s_or_b32 exec_lo, exec_lo, s17
	v_lshlrev_b32_e32 v21, 16, v18
	v_lshlrev_b32_e32 v10, 20, v10
	v_lshl_add_u32 v20, v20, 23, 0x3c000000
	v_and_b32_e32 v21, 0x80000000, v21
	v_or3_b32 v22, v10, v21, v20
.LBB366_681:                            ;   in Loop: Header=BB366_545 Depth=1
	s_or_b32 exec_lo, exec_lo, s16
.LBB366_682:                            ;   in Loop: Header=BB366_545 Depth=1
	s_or_b32 exec_lo, exec_lo, s15
.LBB366_683:                            ;   in Loop: Header=BB366_545 Depth=1
	s_or_b32 exec_lo, exec_lo, s14
	v_and_b32_sdwa v10, v18, v39 dst_sel:DWORD dst_unused:UNUSED_PAD src0_sel:WORD_1 src1_sel:DWORD
	v_mov_b32_e32 v24, 0
	v_mov_b32_e32 v23, 0
	s_mov_b32 s14, exec_lo
	v_cmpx_ne_u16_e32 0, v10
	s_cbranch_execz .LBB366_691
; %bb.684:                              ;   in Loop: Header=BB366_545 Depth=1
	v_bfrev_b32_e32 v23, 1
	s_mov_b32 s15, exec_lo
	v_cmpx_ne_u16_e32 0x80, v10
	s_cbranch_execz .LBB366_690
; %bb.685:                              ;   in Loop: Header=BB366_545 Depth=1
	v_bfe_u32 v21, v18, 16, 7
	v_mov_b32_e32 v23, 0x7f800001
	s_mov_b32 s16, exec_lo
	v_cmpx_ne_u32_e32 0x7f, v21
	s_cbranch_execz .LBB366_689
; %bb.686:                              ;   in Loop: Header=BB366_545 Depth=1
	v_and_b32_sdwa v10, v18, v40 dst_sel:DWORD dst_unused:UNUSED_PAD src0_sel:WORD_1 src1_sel:DWORD
	v_lshrrev_b32_e32 v20, 3, v21
	s_mov_b32 s17, exec_lo
	v_cmpx_gt_u32_e32 8, v21
; %bb.687:                              ;   in Loop: Header=BB366_545 Depth=1
	v_ffbh_u32_e32 v20, v10
	v_min_u32_e32 v20, 32, v20
	v_subrev_nc_u32_e32 v21, 28, v20
	v_sub_nc_u32_e32 v20, 29, v20
	v_lshlrev_b64 v[65:66], v21, v[10:11]
	v_and_b32_e32 v10, 7, v65
; %bb.688:                              ;   in Loop: Header=BB366_545 Depth=1
	s_or_b32 exec_lo, exec_lo, s17
	v_lshlrev_b32_sdwa v21, v41, v18 dst_sel:DWORD dst_unused:UNUSED_PAD src0_sel:DWORD src1_sel:WORD_1
	v_lshlrev_b32_e32 v10, 20, v10
	v_lshl_add_u32 v20, v20, 23, 0x3c000000
	v_and_b32_e32 v21, 0x80000000, v21
	v_or3_b32 v23, v10, v21, v20
.LBB366_689:                            ;   in Loop: Header=BB366_545 Depth=1
	s_or_b32 exec_lo, exec_lo, s16
.LBB366_690:                            ;   in Loop: Header=BB366_545 Depth=1
	s_or_b32 exec_lo, exec_lo, s15
.LBB366_691:                            ;   in Loop: Header=BB366_545 Depth=1
	s_or_b32 exec_lo, exec_lo, s14
	s_mov_b32 s14, exec_lo
	v_cmpx_lt_u32_e32 0xffffff, v18
	s_cbranch_execz .LBB366_699
; %bb.692:                              ;   in Loop: Header=BB366_545 Depth=1
	v_cmp_ne_u32_sdwa s1, v18, v37 src0_sel:BYTE_3 src1_sel:DWORD
	v_bfrev_b32_e32 v24, 1
	s_and_saveexec_b32 s15, s1
	s_cbranch_execz .LBB366_698
; %bb.693:                              ;   in Loop: Header=BB366_545 Depth=1
	v_bfe_u32 v21, v18, 24, 7
	v_mov_b32_e32 v24, 0x7f800001
	s_mov_b32 s16, exec_lo
	v_cmpx_ne_u32_e32 0x7f, v21
	s_cbranch_execz .LBB366_697
; %bb.694:                              ;   in Loop: Header=BB366_545 Depth=1
	v_and_b32_sdwa v10, v18, v40 dst_sel:DWORD dst_unused:UNUSED_PAD src0_sel:BYTE_3 src1_sel:DWORD
	v_lshrrev_b32_e32 v20, 3, v21
	s_mov_b32 s17, exec_lo
	v_cmpx_gt_u32_e32 8, v21
; %bb.695:                              ;   in Loop: Header=BB366_545 Depth=1
	v_ffbh_u32_e32 v20, v10
	v_min_u32_e32 v20, 32, v20
	v_subrev_nc_u32_e32 v21, 28, v20
	v_sub_nc_u32_e32 v20, 29, v20
	v_lshlrev_b64 v[65:66], v21, v[10:11]
	v_and_b32_e32 v10, 7, v65
; %bb.696:                              ;   in Loop: Header=BB366_545 Depth=1
	s_or_b32 exec_lo, exec_lo, s17
	v_lshlrev_b32_sdwa v21, v41, v18 dst_sel:DWORD dst_unused:UNUSED_PAD src0_sel:DWORD src1_sel:BYTE_3
	v_lshlrev_b32_e32 v10, 20, v10
	v_lshl_add_u32 v20, v20, 23, 0x3c000000
	v_and_b32_e32 v21, 0x80000000, v21
	v_or3_b32 v24, v10, v21, v20
.LBB366_697:                            ;   in Loop: Header=BB366_545 Depth=1
	s_or_b32 exec_lo, exec_lo, s16
.LBB366_698:                            ;   in Loop: Header=BB366_545 Depth=1
	s_or_b32 exec_lo, exec_lo, s15
.LBB366_699:                            ;   in Loop: Header=BB366_545 Depth=1
	s_or_b32 exec_lo, exec_lo, s14
	v_mov_b32_e32 v10, v19
	v_cmp_ne_u16_sdwa s1, v19, v11 src0_sel:BYTE_0 src1_sel:DWORD
	v_mov_b32_e32 v20, 0
	v_mov_b32_e32 v65, 0
	s_and_saveexec_b32 s14, s1
	s_cbranch_execz .LBB366_705
; %bb.700:                              ;   in Loop: Header=BB366_545 Depth=1
	v_cmp_ne_u16_sdwa s1, v19, v37 src0_sel:BYTE_0 src1_sel:DWORD
	v_bfrev_b32_e32 v65, 1
	s_and_saveexec_b32 s15, s1
	s_cbranch_execz .LBB366_704
; %bb.701:                              ;   in Loop: Header=BB366_545 Depth=1
	v_and_b32_e32 v21, 0x7f, v19
	v_mov_b32_e32 v65, 0x7f800001
	s_mov_b32 s16, exec_lo
	v_cmpx_ne_u32_e32 0x7f, v21
	s_cbranch_execz .LBB366_703
; %bb.702:                              ;   in Loop: Header=BB366_545 Depth=1
	v_and_b32_e32 v65, 7, v19
	v_lshrrev_b32_e32 v66, 3, v21
	v_cmp_gt_u32_e64 s1, 8, v21
	v_ffbh_u32_e32 v65, v65
	v_min_u32_e32 v65, 32, v65
	v_subrev_nc_u32_e32 v67, 28, v65
	v_sub_nc_u32_e32 v65, 29, v65
	v_cndmask_b32_e64 v21, v66, v65, s1
	v_cndmask_b32_e64 v65, 0, v67, s1
	v_lshl_add_u32 v21, v21, 23, 0x3c000000
	v_lshlrev_b64 v[65:66], v65, v[10:11]
	v_lshlrev_b32_e32 v66, 24, v10
	v_lshlrev_b32_e32 v65, 20, v65
	v_and_b32_e32 v66, 0x80000000, v66
	v_and_b32_e32 v65, 0x700000, v65
	v_or3_b32 v65, v65, v66, v21
.LBB366_703:                            ;   in Loop: Header=BB366_545 Depth=1
	s_or_b32 exec_lo, exec_lo, s16
.LBB366_704:                            ;   in Loop: Header=BB366_545 Depth=1
	s_or_b32 exec_lo, exec_lo, s15
.LBB366_705:                            ;   in Loop: Header=BB366_545 Depth=1
	s_or_b32 exec_lo, exec_lo, s14
	v_cmp_ne_u16_sdwa s1, v10, v11 src0_sel:BYTE_1 src1_sel:DWORD
	s_and_saveexec_b32 s14, s1
	s_cbranch_execz .LBB366_713
; %bb.706:                              ;   in Loop: Header=BB366_545 Depth=1
	v_cmp_ne_u16_sdwa s1, v10, v37 src0_sel:BYTE_1 src1_sel:DWORD
	v_bfrev_b32_e32 v20, 1
	s_and_saveexec_b32 s15, s1
	s_cbranch_execz .LBB366_712
; %bb.707:                              ;   in Loop: Header=BB366_545 Depth=1
	v_and_b32_sdwa v21, v38, v10 dst_sel:DWORD dst_unused:UNUSED_PAD src0_sel:DWORD src1_sel:BYTE_1
	v_mov_b32_e32 v20, 0x7f800001
	s_mov_b32 s16, exec_lo
	v_and_b32_e32 v67, 0x7f, v21
	v_cmpx_ne_u32_e32 0x7f, v67
	s_cbranch_execz .LBB366_711
; %bb.708:                              ;   in Loop: Header=BB366_545 Depth=1
	v_and_b32_e32 v20, 7, v21
	v_mov_b32_e32 v21, v11
	v_lshrrev_b32_e32 v66, 3, v67
	s_mov_b32 s17, exec_lo
	v_cmpx_gt_u32_e32 8, v67
; %bb.709:                              ;   in Loop: Header=BB366_545 Depth=1
	v_ffbh_u32_e32 v66, v20
	v_min_u32_e32 v66, 32, v66
	v_subrev_nc_u32_e32 v67, 28, v66
	v_sub_nc_u32_e32 v66, 29, v66
	v_lshlrev_b64 v[20:21], v67, v[20:21]
	v_and_b32_e32 v20, 7, v20
; %bb.710:                              ;   in Loop: Header=BB366_545 Depth=1
	s_or_b32 exec_lo, exec_lo, s17
	v_lshlrev_b32_e32 v10, 16, v10
	v_lshlrev_b32_e32 v20, 20, v20
	v_lshl_add_u32 v21, v66, 23, 0x3c000000
	v_and_b32_e32 v10, 0x80000000, v10
	v_or3_b32 v20, v20, v10, v21
.LBB366_711:                            ;   in Loop: Header=BB366_545 Depth=1
	s_or_b32 exec_lo, exec_lo, s16
.LBB366_712:                            ;   in Loop: Header=BB366_545 Depth=1
	s_or_b32 exec_lo, exec_lo, s15
.LBB366_713:                            ;   in Loop: Header=BB366_545 Depth=1
	s_or_b32 exec_lo, exec_lo, s14
	v_and_b32_sdwa v10, v19, v39 dst_sel:DWORD dst_unused:UNUSED_PAD src0_sel:WORD_1 src1_sel:DWORD
	v_mov_b32_e32 v21, 0
	v_mov_b32_e32 v67, 0
	s_mov_b32 s14, exec_lo
	v_cmpx_ne_u16_e32 0, v10
	s_cbranch_execz .LBB366_721
; %bb.714:                              ;   in Loop: Header=BB366_545 Depth=1
	v_bfrev_b32_e32 v67, 1
	s_mov_b32 s15, exec_lo
	v_cmpx_ne_u16_e32 0x80, v10
	s_cbranch_execz .LBB366_720
; %bb.715:                              ;   in Loop: Header=BB366_545 Depth=1
	v_bfe_u32 v68, v19, 16, 7
	v_mov_b32_e32 v67, 0x7f800001
	s_mov_b32 s16, exec_lo
	v_cmpx_ne_u32_e32 0x7f, v68
	s_cbranch_execz .LBB366_719
; %bb.716:                              ;   in Loop: Header=BB366_545 Depth=1
	v_and_b32_sdwa v10, v19, v40 dst_sel:DWORD dst_unused:UNUSED_PAD src0_sel:WORD_1 src1_sel:DWORD
	v_lshrrev_b32_e32 v66, 3, v68
	s_mov_b32 s17, exec_lo
	v_cmpx_gt_u32_e32 8, v68
; %bb.717:                              ;   in Loop: Header=BB366_545 Depth=1
	v_ffbh_u32_e32 v66, v10
	v_min_u32_e32 v66, 32, v66
	v_subrev_nc_u32_e32 v67, 28, v66
	v_sub_nc_u32_e32 v66, 29, v66
	v_lshlrev_b64 v[67:68], v67, v[10:11]
	v_and_b32_e32 v10, 7, v67
; %bb.718:                              ;   in Loop: Header=BB366_545 Depth=1
	s_or_b32 exec_lo, exec_lo, s17
	v_lshlrev_b32_sdwa v67, v41, v19 dst_sel:DWORD dst_unused:UNUSED_PAD src0_sel:DWORD src1_sel:WORD_1
	v_lshlrev_b32_e32 v10, 20, v10
	v_lshl_add_u32 v66, v66, 23, 0x3c000000
	v_and_b32_e32 v67, 0x80000000, v67
	v_or3_b32 v67, v10, v67, v66
.LBB366_719:                            ;   in Loop: Header=BB366_545 Depth=1
	s_or_b32 exec_lo, exec_lo, s16
.LBB366_720:                            ;   in Loop: Header=BB366_545 Depth=1
	s_or_b32 exec_lo, exec_lo, s15
.LBB366_721:                            ;   in Loop: Header=BB366_545 Depth=1
	s_or_b32 exec_lo, exec_lo, s14
	s_mov_b32 s14, exec_lo
	v_cmpx_lt_u64_e64 s[4:5], v[18:19]
	s_cbranch_execz .LBB366_729
; %bb.722:                              ;   in Loop: Header=BB366_545 Depth=1
	v_cmp_ne_u32_sdwa s1, v19, v37 src0_sel:BYTE_3 src1_sel:DWORD
	v_bfrev_b32_e32 v21, 1
	s_and_saveexec_b32 s15, s1
	s_cbranch_execz .LBB366_728
; %bb.723:                              ;   in Loop: Header=BB366_545 Depth=1
	v_bfe_u32 v66, v19, 24, 7
	v_mov_b32_e32 v21, 0x7f800001
	s_mov_b32 s16, exec_lo
	v_cmpx_ne_u32_e32 0x7f, v66
	s_cbranch_execz .LBB366_727
; %bb.724:                              ;   in Loop: Header=BB366_545 Depth=1
	v_and_b32_sdwa v10, v19, v40 dst_sel:DWORD dst_unused:UNUSED_PAD src0_sel:BYTE_3 src1_sel:DWORD
	v_lshrrev_b32_e32 v18, 3, v66
	s_mov_b32 s17, exec_lo
	v_cmpx_gt_u32_e32 8, v66
; %bb.725:                              ;   in Loop: Header=BB366_545 Depth=1
	v_ffbh_u32_e32 v18, v10
	v_min_u32_e32 v18, 32, v18
	v_subrev_nc_u32_e32 v21, 28, v18
	v_sub_nc_u32_e32 v18, 29, v18
	v_lshlrev_b64 v[68:69], v21, v[10:11]
	v_and_b32_e32 v10, 7, v68
; %bb.726:                              ;   in Loop: Header=BB366_545 Depth=1
	s_or_b32 exec_lo, exec_lo, s17
	v_lshlrev_b32_sdwa v19, v41, v19 dst_sel:DWORD dst_unused:UNUSED_PAD src0_sel:DWORD src1_sel:BYTE_3
	v_lshlrev_b32_e32 v10, 20, v10
	v_lshl_add_u32 v18, v18, 23, 0x3c000000
	v_and_b32_e32 v19, 0x80000000, v19
	v_or3_b32 v21, v10, v19, v18
.LBB366_727:                            ;   in Loop: Header=BB366_545 Depth=1
	s_or_b32 exec_lo, exec_lo, s16
.LBB366_728:                            ;   in Loop: Header=BB366_545 Depth=1
	s_or_b32 exec_lo, exec_lo, s15
.LBB366_729:                            ;   in Loop: Header=BB366_545 Depth=1
	s_or_b32 exec_lo, exec_lo, s14
	v_mul_f32_e32 v10, s9, v20
	v_mul_f32_e32 v18, s9, v65
	;; [unrolled: 1-line block ×5, first 2 shown]
	v_bfe_u32 v23, v10, 16, 1
	v_or_b32_e32 v24, 0x400000, v10
	v_bfe_u32 v65, v18, 16, 1
	v_cmp_u_f32_e64 s1, v10, v10
	v_or_b32_e32 v66, 0x400000, v18
	v_add3_u32 v23, v23, v10, 0x7fff
	v_bfe_u32 v68, v19, 16, 1
	v_add3_u32 v65, v65, v18, 0x7fff
	v_or_b32_e32 v69, 0x400000, v19
	v_bfe_u32 v70, v20, 16, 1
	v_cndmask_b32_e64 v10, v23, v24, s1
	v_cmp_u_f32_e64 s1, v18, v18
	v_add3_u32 v68, v68, v19, 0x7fff
	v_or_b32_e32 v23, 0x400000, v20
	v_mul_f32_e32 v21, s9, v21
	v_cndmask_b32_e64 v18, v65, v66, s1
	v_cmp_u_f32_e64 s1, v19, v19
	v_lshrrev_b32_e32 v65, 16, v10
	v_mul_f32_e32 v10, s9, v22
	v_add3_u32 v22, v70, v20, 0x7fff
	v_lshrrev_b32_e32 v66, 16, v18
	v_cndmask_b32_e64 v19, v68, v69, s1
	v_cmp_u_f32_e64 s1, v20, v20
	v_bfe_u32 v18, v10, 16, 1
	v_mul_f32_e32 v20, s9, v67
	v_or_b32_e32 v69, 0x400000, v21
	v_lshrrev_b32_e32 v68, 16, v19
	v_cndmask_b32_e64 v19, v22, v23, s1
	v_add3_u32 v18, v18, v10, 0x7fff
	v_or_b32_e32 v22, 0x400000, v10
	v_bfe_u32 v23, v0, 16, 1
	v_cmp_u_f32_e64 s1, v10, v10
	v_bfe_u32 v24, v20, 16, 1
	v_or_b32_e32 v67, 0x400000, v20
	v_lshrrev_b32_e32 v70, 16, v19
	v_cndmask_b32_e64 v10, v18, v22, s1
	v_add3_u32 v22, v23, v0, 0x7fff
	v_or_b32_e32 v23, 0x400000, v0
	v_cmp_u_f32_e64 s1, v0, v0
	v_bfe_u32 v18, v21, 16, 1
	v_add3_u32 v24, v24, v20, 0x7fff
	v_lshrrev_b32_e32 v72, 16, v10
	v_cndmask_b32_e64 v0, v22, v23, s1
	v_cmp_u_f32_e64 s1, v20, v20
	v_add3_u32 v18, v18, v21, 0x7fff
	v_lshrrev_b32_e32 v71, 16, v0
	v_cndmask_b32_e64 v20, v24, v67, s1
	v_cmp_u_f32_e64 s1, v21, v21
	v_lshrrev_b32_e32 v67, 16, v20
	v_cndmask_b32_e64 v18, v18, v69, s1
	v_lshrrev_b32_e32 v69, 16, v18
	s_and_saveexec_b32 s14, vcc_lo
	s_cbranch_execz .LBB366_731
; %bb.730:                              ;   in Loop: Header=BB366_545 Depth=1
	v_cmp_gt_i32_e64 s1, s27, v50
	v_cndmask_b32_e64 v71, 0, v71, s1
	v_cmp_gt_i32_e64 s1, s27, v61
	v_cndmask_b32_e64 v72, 0, v72, s1
	;; [unrolled: 2-line block ×8, first 2 shown]
.LBB366_731:                            ;   in Loop: Header=BB366_545 Depth=1
	s_or_b32 exec_lo, exec_lo, s14
	global_load_dwordx2 v[18:19], v[16:17], off offset:768
	v_mov_b32_e32 v22, 0
	v_mov_b32_e32 v0, 0
	s_waitcnt vmcnt(0)
	v_cmp_ne_u16_sdwa s1, v18, v11 src0_sel:BYTE_0 src1_sel:DWORD
	s_and_saveexec_b32 s14, s1
	s_cbranch_execz .LBB366_737
; %bb.732:                              ;   in Loop: Header=BB366_545 Depth=1
	v_cmp_ne_u16_sdwa s1, v18, v37 src0_sel:BYTE_0 src1_sel:DWORD
	v_bfrev_b32_e32 v0, 1
	s_and_saveexec_b32 s15, s1
	s_cbranch_execz .LBB366_736
; %bb.733:                              ;   in Loop: Header=BB366_545 Depth=1
	v_and_b32_e32 v10, 0x7f, v18
	v_mov_b32_e32 v0, 0x7f800001
	s_mov_b32 s16, exec_lo
	v_cmpx_ne_u32_e32 0x7f, v10
	s_cbranch_execz .LBB366_735
; %bb.734:                              ;   in Loop: Header=BB366_545 Depth=1
	v_and_b32_e32 v0, 7, v18
	v_cmp_gt_u32_e64 s1, 8, v10
	v_lshrrev_b32_e32 v20, 3, v10
	v_ffbh_u32_e32 v0, v0
	v_min_u32_e32 v0, 32, v0
	v_subrev_nc_u32_e32 v21, 28, v0
	v_sub_nc_u32_e32 v0, 29, v0
	v_cndmask_b32_e64 v10, 0, v21, s1
	v_cndmask_b32_e64 v0, v20, v0, s1
	v_lshlrev_b64 v[20:21], v10, v[18:19]
	v_lshlrev_b32_e32 v10, 24, v18
	v_lshl_add_u32 v0, v0, 23, 0x3c000000
	v_and_b32_e32 v10, 0x80000000, v10
	v_lshlrev_b32_e32 v20, 20, v20
	v_and_b32_e32 v20, 0x700000, v20
	v_or3_b32 v0, v20, v10, v0
.LBB366_735:                            ;   in Loop: Header=BB366_545 Depth=1
	s_or_b32 exec_lo, exec_lo, s16
.LBB366_736:                            ;   in Loop: Header=BB366_545 Depth=1
	s_or_b32 exec_lo, exec_lo, s15
.LBB366_737:                            ;   in Loop: Header=BB366_545 Depth=1
	s_or_b32 exec_lo, exec_lo, s14
	v_cmp_ne_u16_sdwa s1, v18, v11 src0_sel:BYTE_1 src1_sel:DWORD
	s_and_saveexec_b32 s14, s1
	s_cbranch_execz .LBB366_745
; %bb.738:                              ;   in Loop: Header=BB366_545 Depth=1
	v_cmp_ne_u16_sdwa s1, v18, v37 src0_sel:BYTE_1 src1_sel:DWORD
	v_bfrev_b32_e32 v22, 1
	s_and_saveexec_b32 s15, s1
	s_cbranch_execz .LBB366_744
; %bb.739:                              ;   in Loop: Header=BB366_545 Depth=1
	v_and_b32_sdwa v10, v38, v18 dst_sel:DWORD dst_unused:UNUSED_PAD src0_sel:DWORD src1_sel:BYTE_1
	v_mov_b32_e32 v22, 0x7f800001
	s_mov_b32 s16, exec_lo
	v_and_b32_e32 v21, 0x7f, v10
	v_cmpx_ne_u32_e32 0x7f, v21
	s_cbranch_execz .LBB366_743
; %bb.740:                              ;   in Loop: Header=BB366_545 Depth=1
	v_and_b32_e32 v10, 7, v10
	v_lshrrev_b32_e32 v20, 3, v21
	s_mov_b32 s17, exec_lo
	v_cmpx_gt_u32_e32 8, v21
; %bb.741:                              ;   in Loop: Header=BB366_545 Depth=1
	v_ffbh_u32_e32 v20, v10
	v_min_u32_e32 v20, 32, v20
	v_subrev_nc_u32_e32 v21, 28, v20
	v_sub_nc_u32_e32 v20, 29, v20
	v_lshlrev_b64 v[21:22], v21, v[10:11]
	v_and_b32_e32 v10, 7, v21
; %bb.742:                              ;   in Loop: Header=BB366_545 Depth=1
	s_or_b32 exec_lo, exec_lo, s17
	v_lshlrev_b32_e32 v21, 16, v18
	v_lshlrev_b32_e32 v10, 20, v10
	v_lshl_add_u32 v20, v20, 23, 0x3c000000
	v_and_b32_e32 v21, 0x80000000, v21
	v_or3_b32 v22, v10, v21, v20
.LBB366_743:                            ;   in Loop: Header=BB366_545 Depth=1
	s_or_b32 exec_lo, exec_lo, s16
.LBB366_744:                            ;   in Loop: Header=BB366_545 Depth=1
	s_or_b32 exec_lo, exec_lo, s15
.LBB366_745:                            ;   in Loop: Header=BB366_545 Depth=1
	s_or_b32 exec_lo, exec_lo, s14
	v_and_b32_sdwa v10, v18, v39 dst_sel:DWORD dst_unused:UNUSED_PAD src0_sel:WORD_1 src1_sel:DWORD
	v_mov_b32_e32 v24, 0
	v_mov_b32_e32 v23, 0
	s_mov_b32 s14, exec_lo
	v_cmpx_ne_u16_e32 0, v10
	s_cbranch_execz .LBB366_753
; %bb.746:                              ;   in Loop: Header=BB366_545 Depth=1
	v_bfrev_b32_e32 v23, 1
	s_mov_b32 s15, exec_lo
	v_cmpx_ne_u16_e32 0x80, v10
	s_cbranch_execz .LBB366_752
; %bb.747:                              ;   in Loop: Header=BB366_545 Depth=1
	v_bfe_u32 v21, v18, 16, 7
	v_mov_b32_e32 v23, 0x7f800001
	s_mov_b32 s16, exec_lo
	v_cmpx_ne_u32_e32 0x7f, v21
	s_cbranch_execz .LBB366_751
; %bb.748:                              ;   in Loop: Header=BB366_545 Depth=1
	v_and_b32_sdwa v10, v18, v40 dst_sel:DWORD dst_unused:UNUSED_PAD src0_sel:WORD_1 src1_sel:DWORD
	v_lshrrev_b32_e32 v20, 3, v21
	s_mov_b32 s17, exec_lo
	v_cmpx_gt_u32_e32 8, v21
; %bb.749:                              ;   in Loop: Header=BB366_545 Depth=1
	v_ffbh_u32_e32 v20, v10
	v_min_u32_e32 v20, 32, v20
	v_subrev_nc_u32_e32 v21, 28, v20
	v_sub_nc_u32_e32 v20, 29, v20
	v_lshlrev_b64 v[73:74], v21, v[10:11]
	v_and_b32_e32 v10, 7, v73
; %bb.750:                              ;   in Loop: Header=BB366_545 Depth=1
	s_or_b32 exec_lo, exec_lo, s17
	v_lshlrev_b32_sdwa v21, v41, v18 dst_sel:DWORD dst_unused:UNUSED_PAD src0_sel:DWORD src1_sel:WORD_1
	v_lshlrev_b32_e32 v10, 20, v10
	v_lshl_add_u32 v20, v20, 23, 0x3c000000
	v_and_b32_e32 v21, 0x80000000, v21
	v_or3_b32 v23, v10, v21, v20
.LBB366_751:                            ;   in Loop: Header=BB366_545 Depth=1
	s_or_b32 exec_lo, exec_lo, s16
.LBB366_752:                            ;   in Loop: Header=BB366_545 Depth=1
	s_or_b32 exec_lo, exec_lo, s15
.LBB366_753:                            ;   in Loop: Header=BB366_545 Depth=1
	s_or_b32 exec_lo, exec_lo, s14
	s_mov_b32 s14, exec_lo
	v_cmpx_lt_u32_e32 0xffffff, v18
	s_cbranch_execz .LBB366_761
; %bb.754:                              ;   in Loop: Header=BB366_545 Depth=1
	v_cmp_ne_u32_sdwa s1, v18, v37 src0_sel:BYTE_3 src1_sel:DWORD
	v_bfrev_b32_e32 v24, 1
	s_and_saveexec_b32 s15, s1
	s_cbranch_execz .LBB366_760
; %bb.755:                              ;   in Loop: Header=BB366_545 Depth=1
	v_bfe_u32 v21, v18, 24, 7
	v_mov_b32_e32 v24, 0x7f800001
	s_mov_b32 s16, exec_lo
	v_cmpx_ne_u32_e32 0x7f, v21
	s_cbranch_execz .LBB366_759
; %bb.756:                              ;   in Loop: Header=BB366_545 Depth=1
	v_and_b32_sdwa v10, v18, v40 dst_sel:DWORD dst_unused:UNUSED_PAD src0_sel:BYTE_3 src1_sel:DWORD
	v_lshrrev_b32_e32 v20, 3, v21
	s_mov_b32 s17, exec_lo
	v_cmpx_gt_u32_e32 8, v21
; %bb.757:                              ;   in Loop: Header=BB366_545 Depth=1
	v_ffbh_u32_e32 v20, v10
	v_min_u32_e32 v20, 32, v20
	v_subrev_nc_u32_e32 v21, 28, v20
	v_sub_nc_u32_e32 v20, 29, v20
	v_lshlrev_b64 v[73:74], v21, v[10:11]
	v_and_b32_e32 v10, 7, v73
; %bb.758:                              ;   in Loop: Header=BB366_545 Depth=1
	s_or_b32 exec_lo, exec_lo, s17
	v_lshlrev_b32_sdwa v21, v41, v18 dst_sel:DWORD dst_unused:UNUSED_PAD src0_sel:DWORD src1_sel:BYTE_3
	v_lshlrev_b32_e32 v10, 20, v10
	v_lshl_add_u32 v20, v20, 23, 0x3c000000
	v_and_b32_e32 v21, 0x80000000, v21
	v_or3_b32 v24, v10, v21, v20
.LBB366_759:                            ;   in Loop: Header=BB366_545 Depth=1
	s_or_b32 exec_lo, exec_lo, s16
.LBB366_760:                            ;   in Loop: Header=BB366_545 Depth=1
	s_or_b32 exec_lo, exec_lo, s15
.LBB366_761:                            ;   in Loop: Header=BB366_545 Depth=1
	s_or_b32 exec_lo, exec_lo, s14
	v_mov_b32_e32 v10, v19
	v_cmp_ne_u16_sdwa s1, v19, v11 src0_sel:BYTE_0 src1_sel:DWORD
	v_mov_b32_e32 v20, 0
	v_mov_b32_e32 v73, 0
	s_and_saveexec_b32 s14, s1
	s_cbranch_execz .LBB366_767
; %bb.762:                              ;   in Loop: Header=BB366_545 Depth=1
	v_cmp_ne_u16_sdwa s1, v19, v37 src0_sel:BYTE_0 src1_sel:DWORD
	v_bfrev_b32_e32 v73, 1
	s_and_saveexec_b32 s15, s1
	s_cbranch_execz .LBB366_766
; %bb.763:                              ;   in Loop: Header=BB366_545 Depth=1
	v_and_b32_e32 v21, 0x7f, v19
	v_mov_b32_e32 v73, 0x7f800001
	s_mov_b32 s16, exec_lo
	v_cmpx_ne_u32_e32 0x7f, v21
	s_cbranch_execz .LBB366_765
; %bb.764:                              ;   in Loop: Header=BB366_545 Depth=1
	v_and_b32_e32 v73, 7, v19
	v_lshrrev_b32_e32 v74, 3, v21
	v_cmp_gt_u32_e64 s1, 8, v21
	v_ffbh_u32_e32 v73, v73
	v_min_u32_e32 v73, 32, v73
	v_subrev_nc_u32_e32 v75, 28, v73
	v_sub_nc_u32_e32 v73, 29, v73
	v_cndmask_b32_e64 v21, v74, v73, s1
	v_cndmask_b32_e64 v73, 0, v75, s1
	v_lshl_add_u32 v21, v21, 23, 0x3c000000
	v_lshlrev_b64 v[73:74], v73, v[10:11]
	v_lshlrev_b32_e32 v74, 24, v10
	v_lshlrev_b32_e32 v73, 20, v73
	v_and_b32_e32 v74, 0x80000000, v74
	v_and_b32_e32 v73, 0x700000, v73
	v_or3_b32 v73, v73, v74, v21
.LBB366_765:                            ;   in Loop: Header=BB366_545 Depth=1
	s_or_b32 exec_lo, exec_lo, s16
.LBB366_766:                            ;   in Loop: Header=BB366_545 Depth=1
	s_or_b32 exec_lo, exec_lo, s15
.LBB366_767:                            ;   in Loop: Header=BB366_545 Depth=1
	s_or_b32 exec_lo, exec_lo, s14
	v_cmp_ne_u16_sdwa s1, v10, v11 src0_sel:BYTE_1 src1_sel:DWORD
	s_and_saveexec_b32 s14, s1
	s_cbranch_execz .LBB366_775
; %bb.768:                              ;   in Loop: Header=BB366_545 Depth=1
	v_cmp_ne_u16_sdwa s1, v10, v37 src0_sel:BYTE_1 src1_sel:DWORD
	v_bfrev_b32_e32 v20, 1
	s_and_saveexec_b32 s15, s1
	s_cbranch_execz .LBB366_774
; %bb.769:                              ;   in Loop: Header=BB366_545 Depth=1
	v_and_b32_sdwa v21, v38, v10 dst_sel:DWORD dst_unused:UNUSED_PAD src0_sel:DWORD src1_sel:BYTE_1
	v_mov_b32_e32 v20, 0x7f800001
	s_mov_b32 s16, exec_lo
	v_and_b32_e32 v75, 0x7f, v21
	v_cmpx_ne_u32_e32 0x7f, v75
	s_cbranch_execz .LBB366_773
; %bb.770:                              ;   in Loop: Header=BB366_545 Depth=1
	v_and_b32_e32 v20, 7, v21
	v_mov_b32_e32 v21, v11
	v_lshrrev_b32_e32 v74, 3, v75
	s_mov_b32 s17, exec_lo
	v_cmpx_gt_u32_e32 8, v75
; %bb.771:                              ;   in Loop: Header=BB366_545 Depth=1
	v_ffbh_u32_e32 v74, v20
	v_min_u32_e32 v74, 32, v74
	v_subrev_nc_u32_e32 v75, 28, v74
	v_sub_nc_u32_e32 v74, 29, v74
	v_lshlrev_b64 v[20:21], v75, v[20:21]
	v_and_b32_e32 v20, 7, v20
; %bb.772:                              ;   in Loop: Header=BB366_545 Depth=1
	s_or_b32 exec_lo, exec_lo, s17
	v_lshlrev_b32_e32 v10, 16, v10
	v_lshlrev_b32_e32 v20, 20, v20
	v_lshl_add_u32 v21, v74, 23, 0x3c000000
	v_and_b32_e32 v10, 0x80000000, v10
	v_or3_b32 v20, v20, v10, v21
.LBB366_773:                            ;   in Loop: Header=BB366_545 Depth=1
	s_or_b32 exec_lo, exec_lo, s16
.LBB366_774:                            ;   in Loop: Header=BB366_545 Depth=1
	s_or_b32 exec_lo, exec_lo, s15
.LBB366_775:                            ;   in Loop: Header=BB366_545 Depth=1
	s_or_b32 exec_lo, exec_lo, s14
	v_and_b32_sdwa v10, v19, v39 dst_sel:DWORD dst_unused:UNUSED_PAD src0_sel:WORD_1 src1_sel:DWORD
	v_mov_b32_e32 v21, 0
	v_mov_b32_e32 v75, 0
	s_mov_b32 s14, exec_lo
	v_cmpx_ne_u16_e32 0, v10
	s_cbranch_execz .LBB366_783
; %bb.776:                              ;   in Loop: Header=BB366_545 Depth=1
	v_bfrev_b32_e32 v75, 1
	s_mov_b32 s15, exec_lo
	v_cmpx_ne_u16_e32 0x80, v10
	s_cbranch_execz .LBB366_782
; %bb.777:                              ;   in Loop: Header=BB366_545 Depth=1
	v_bfe_u32 v76, v19, 16, 7
	v_mov_b32_e32 v75, 0x7f800001
	s_mov_b32 s16, exec_lo
	v_cmpx_ne_u32_e32 0x7f, v76
	s_cbranch_execz .LBB366_781
; %bb.778:                              ;   in Loop: Header=BB366_545 Depth=1
	v_and_b32_sdwa v10, v19, v40 dst_sel:DWORD dst_unused:UNUSED_PAD src0_sel:WORD_1 src1_sel:DWORD
	v_lshrrev_b32_e32 v74, 3, v76
	s_mov_b32 s17, exec_lo
	v_cmpx_gt_u32_e32 8, v76
; %bb.779:                              ;   in Loop: Header=BB366_545 Depth=1
	v_ffbh_u32_e32 v74, v10
	v_min_u32_e32 v74, 32, v74
	v_subrev_nc_u32_e32 v75, 28, v74
	v_sub_nc_u32_e32 v74, 29, v74
	v_lshlrev_b64 v[75:76], v75, v[10:11]
	v_and_b32_e32 v10, 7, v75
; %bb.780:                              ;   in Loop: Header=BB366_545 Depth=1
	s_or_b32 exec_lo, exec_lo, s17
	v_lshlrev_b32_sdwa v75, v41, v19 dst_sel:DWORD dst_unused:UNUSED_PAD src0_sel:DWORD src1_sel:WORD_1
	v_lshlrev_b32_e32 v10, 20, v10
	v_lshl_add_u32 v74, v74, 23, 0x3c000000
	v_and_b32_e32 v75, 0x80000000, v75
	v_or3_b32 v75, v10, v75, v74
.LBB366_781:                            ;   in Loop: Header=BB366_545 Depth=1
	s_or_b32 exec_lo, exec_lo, s16
.LBB366_782:                            ;   in Loop: Header=BB366_545 Depth=1
	s_or_b32 exec_lo, exec_lo, s15
.LBB366_783:                            ;   in Loop: Header=BB366_545 Depth=1
	s_or_b32 exec_lo, exec_lo, s14
	s_mov_b32 s14, exec_lo
	v_cmpx_lt_u64_e64 s[4:5], v[18:19]
	s_cbranch_execz .LBB366_791
; %bb.784:                              ;   in Loop: Header=BB366_545 Depth=1
	v_cmp_ne_u32_sdwa s1, v19, v37 src0_sel:BYTE_3 src1_sel:DWORD
	v_bfrev_b32_e32 v21, 1
	s_and_saveexec_b32 s15, s1
	s_cbranch_execz .LBB366_790
; %bb.785:                              ;   in Loop: Header=BB366_545 Depth=1
	v_bfe_u32 v74, v19, 24, 7
	v_mov_b32_e32 v21, 0x7f800001
	s_mov_b32 s16, exec_lo
	v_cmpx_ne_u32_e32 0x7f, v74
	s_cbranch_execz .LBB366_789
; %bb.786:                              ;   in Loop: Header=BB366_545 Depth=1
	v_and_b32_sdwa v10, v19, v40 dst_sel:DWORD dst_unused:UNUSED_PAD src0_sel:BYTE_3 src1_sel:DWORD
	v_lshrrev_b32_e32 v18, 3, v74
	s_mov_b32 s17, exec_lo
	v_cmpx_gt_u32_e32 8, v74
; %bb.787:                              ;   in Loop: Header=BB366_545 Depth=1
	v_ffbh_u32_e32 v18, v10
	v_min_u32_e32 v18, 32, v18
	v_subrev_nc_u32_e32 v21, 28, v18
	v_sub_nc_u32_e32 v18, 29, v18
	v_lshlrev_b64 v[76:77], v21, v[10:11]
	v_and_b32_e32 v10, 7, v76
; %bb.788:                              ;   in Loop: Header=BB366_545 Depth=1
	s_or_b32 exec_lo, exec_lo, s17
	v_lshlrev_b32_sdwa v19, v41, v19 dst_sel:DWORD dst_unused:UNUSED_PAD src0_sel:DWORD src1_sel:BYTE_3
	v_lshlrev_b32_e32 v10, 20, v10
	v_lshl_add_u32 v18, v18, 23, 0x3c000000
	v_and_b32_e32 v19, 0x80000000, v19
	v_or3_b32 v21, v10, v19, v18
.LBB366_789:                            ;   in Loop: Header=BB366_545 Depth=1
	s_or_b32 exec_lo, exec_lo, s16
.LBB366_790:                            ;   in Loop: Header=BB366_545 Depth=1
	s_or_b32 exec_lo, exec_lo, s15
.LBB366_791:                            ;   in Loop: Header=BB366_545 Depth=1
	s_or_b32 exec_lo, exec_lo, s14
	v_mul_f32_e32 v10, s9, v20
	v_mul_f32_e32 v18, s9, v73
	;; [unrolled: 1-line block ×5, first 2 shown]
	v_bfe_u32 v23, v10, 16, 1
	v_or_b32_e32 v24, 0x400000, v10
	v_bfe_u32 v73, v18, 16, 1
	v_cmp_u_f32_e64 s1, v10, v10
	v_or_b32_e32 v74, 0x400000, v18
	v_add3_u32 v23, v23, v10, 0x7fff
	v_bfe_u32 v76, v19, 16, 1
	v_add3_u32 v73, v73, v18, 0x7fff
	v_or_b32_e32 v77, 0x400000, v19
	v_bfe_u32 v78, v20, 16, 1
	v_cndmask_b32_e64 v10, v23, v24, s1
	v_cmp_u_f32_e64 s1, v18, v18
	v_add3_u32 v76, v76, v19, 0x7fff
	v_or_b32_e32 v23, 0x400000, v20
	v_mul_f32_e32 v21, s9, v21
	v_cndmask_b32_e64 v18, v73, v74, s1
	v_cmp_u_f32_e64 s1, v19, v19
	v_lshrrev_b32_e32 v73, 16, v10
	v_mul_f32_e32 v10, s9, v22
	v_add3_u32 v22, v78, v20, 0x7fff
	v_lshrrev_b32_e32 v74, 16, v18
	v_cndmask_b32_e64 v19, v76, v77, s1
	v_cmp_u_f32_e64 s1, v20, v20
	v_bfe_u32 v18, v10, 16, 1
	v_mul_f32_e32 v20, s9, v75
	v_or_b32_e32 v77, 0x400000, v21
	v_lshrrev_b32_e32 v76, 16, v19
	v_cndmask_b32_e64 v19, v22, v23, s1
	v_add3_u32 v18, v18, v10, 0x7fff
	v_or_b32_e32 v22, 0x400000, v10
	v_bfe_u32 v23, v0, 16, 1
	v_cmp_u_f32_e64 s1, v10, v10
	v_bfe_u32 v24, v20, 16, 1
	v_or_b32_e32 v75, 0x400000, v20
	v_lshrrev_b32_e32 v78, 16, v19
	v_cndmask_b32_e64 v10, v18, v22, s1
	v_add3_u32 v22, v23, v0, 0x7fff
	v_or_b32_e32 v23, 0x400000, v0
	v_cmp_u_f32_e64 s1, v0, v0
	v_bfe_u32 v18, v21, 16, 1
	v_add3_u32 v24, v24, v20, 0x7fff
	v_lshrrev_b32_e32 v80, 16, v10
	v_cndmask_b32_e64 v0, v22, v23, s1
	v_cmp_u_f32_e64 s1, v20, v20
	v_add3_u32 v18, v18, v21, 0x7fff
	v_lshrrev_b32_e32 v79, 16, v0
	v_cndmask_b32_e64 v20, v24, v75, s1
	v_cmp_u_f32_e64 s1, v21, v21
	v_lshrrev_b32_e32 v75, 16, v20
	v_cndmask_b32_e64 v18, v18, v77, s1
	v_lshrrev_b32_e32 v77, 16, v18
	s_and_saveexec_b32 s14, vcc_lo
	s_cbranch_execz .LBB366_793
; %bb.792:                              ;   in Loop: Header=BB366_545 Depth=1
	v_cmp_gt_i32_e64 s1, s27, v50
	v_cndmask_b32_e64 v79, 0, v79, s1
	v_cmp_gt_i32_e64 s1, s27, v61
	v_cndmask_b32_e64 v80, 0, v80, s1
	;; [unrolled: 2-line block ×8, first 2 shown]
.LBB366_793:                            ;   in Loop: Header=BB366_545 Depth=1
	s_or_b32 exec_lo, exec_lo, s14
	global_load_dwordx2 v[18:19], v[16:17], off offset:1024
	v_mov_b32_e32 v22, 0
	v_mov_b32_e32 v0, 0
	s_waitcnt vmcnt(0)
	v_cmp_ne_u16_sdwa s1, v18, v11 src0_sel:BYTE_0 src1_sel:DWORD
	s_and_saveexec_b32 s14, s1
	s_cbranch_execz .LBB366_799
; %bb.794:                              ;   in Loop: Header=BB366_545 Depth=1
	v_cmp_ne_u16_sdwa s1, v18, v37 src0_sel:BYTE_0 src1_sel:DWORD
	v_bfrev_b32_e32 v0, 1
	s_and_saveexec_b32 s15, s1
	s_cbranch_execz .LBB366_798
; %bb.795:                              ;   in Loop: Header=BB366_545 Depth=1
	v_and_b32_e32 v10, 0x7f, v18
	v_mov_b32_e32 v0, 0x7f800001
	s_mov_b32 s16, exec_lo
	v_cmpx_ne_u32_e32 0x7f, v10
	s_cbranch_execz .LBB366_797
; %bb.796:                              ;   in Loop: Header=BB366_545 Depth=1
	v_and_b32_e32 v0, 7, v18
	v_cmp_gt_u32_e64 s1, 8, v10
	v_lshrrev_b32_e32 v20, 3, v10
	v_ffbh_u32_e32 v0, v0
	v_min_u32_e32 v0, 32, v0
	v_subrev_nc_u32_e32 v21, 28, v0
	v_sub_nc_u32_e32 v0, 29, v0
	v_cndmask_b32_e64 v10, 0, v21, s1
	v_cndmask_b32_e64 v0, v20, v0, s1
	v_lshlrev_b64 v[20:21], v10, v[18:19]
	v_lshlrev_b32_e32 v10, 24, v18
	v_lshl_add_u32 v0, v0, 23, 0x3c000000
	v_and_b32_e32 v10, 0x80000000, v10
	v_lshlrev_b32_e32 v20, 20, v20
	v_and_b32_e32 v20, 0x700000, v20
	v_or3_b32 v0, v20, v10, v0
.LBB366_797:                            ;   in Loop: Header=BB366_545 Depth=1
	s_or_b32 exec_lo, exec_lo, s16
.LBB366_798:                            ;   in Loop: Header=BB366_545 Depth=1
	s_or_b32 exec_lo, exec_lo, s15
.LBB366_799:                            ;   in Loop: Header=BB366_545 Depth=1
	s_or_b32 exec_lo, exec_lo, s14
	v_cmp_ne_u16_sdwa s1, v18, v11 src0_sel:BYTE_1 src1_sel:DWORD
	s_and_saveexec_b32 s14, s1
	s_cbranch_execz .LBB366_807
; %bb.800:                              ;   in Loop: Header=BB366_545 Depth=1
	v_cmp_ne_u16_sdwa s1, v18, v37 src0_sel:BYTE_1 src1_sel:DWORD
	v_bfrev_b32_e32 v22, 1
	s_and_saveexec_b32 s15, s1
	s_cbranch_execz .LBB366_806
; %bb.801:                              ;   in Loop: Header=BB366_545 Depth=1
	v_and_b32_sdwa v10, v38, v18 dst_sel:DWORD dst_unused:UNUSED_PAD src0_sel:DWORD src1_sel:BYTE_1
	v_mov_b32_e32 v22, 0x7f800001
	s_mov_b32 s16, exec_lo
	v_and_b32_e32 v21, 0x7f, v10
	v_cmpx_ne_u32_e32 0x7f, v21
	s_cbranch_execz .LBB366_805
; %bb.802:                              ;   in Loop: Header=BB366_545 Depth=1
	v_and_b32_e32 v10, 7, v10
	v_lshrrev_b32_e32 v20, 3, v21
	s_mov_b32 s17, exec_lo
	v_cmpx_gt_u32_e32 8, v21
; %bb.803:                              ;   in Loop: Header=BB366_545 Depth=1
	v_ffbh_u32_e32 v20, v10
	v_min_u32_e32 v20, 32, v20
	v_subrev_nc_u32_e32 v21, 28, v20
	v_sub_nc_u32_e32 v20, 29, v20
	v_lshlrev_b64 v[21:22], v21, v[10:11]
	v_and_b32_e32 v10, 7, v21
; %bb.804:                              ;   in Loop: Header=BB366_545 Depth=1
	s_or_b32 exec_lo, exec_lo, s17
	v_lshlrev_b32_e32 v21, 16, v18
	v_lshlrev_b32_e32 v10, 20, v10
	v_lshl_add_u32 v20, v20, 23, 0x3c000000
	v_and_b32_e32 v21, 0x80000000, v21
	v_or3_b32 v22, v10, v21, v20
.LBB366_805:                            ;   in Loop: Header=BB366_545 Depth=1
	s_or_b32 exec_lo, exec_lo, s16
.LBB366_806:                            ;   in Loop: Header=BB366_545 Depth=1
	s_or_b32 exec_lo, exec_lo, s15
.LBB366_807:                            ;   in Loop: Header=BB366_545 Depth=1
	s_or_b32 exec_lo, exec_lo, s14
	v_and_b32_sdwa v10, v18, v39 dst_sel:DWORD dst_unused:UNUSED_PAD src0_sel:WORD_1 src1_sel:DWORD
	v_mov_b32_e32 v24, 0
	v_mov_b32_e32 v23, 0
	s_mov_b32 s14, exec_lo
	v_cmpx_ne_u16_e32 0, v10
	s_cbranch_execz .LBB366_815
; %bb.808:                              ;   in Loop: Header=BB366_545 Depth=1
	v_bfrev_b32_e32 v23, 1
	s_mov_b32 s15, exec_lo
	v_cmpx_ne_u16_e32 0x80, v10
	s_cbranch_execz .LBB366_814
; %bb.809:                              ;   in Loop: Header=BB366_545 Depth=1
	v_bfe_u32 v21, v18, 16, 7
	v_mov_b32_e32 v23, 0x7f800001
	s_mov_b32 s16, exec_lo
	v_cmpx_ne_u32_e32 0x7f, v21
	s_cbranch_execz .LBB366_813
; %bb.810:                              ;   in Loop: Header=BB366_545 Depth=1
	v_and_b32_sdwa v10, v18, v40 dst_sel:DWORD dst_unused:UNUSED_PAD src0_sel:WORD_1 src1_sel:DWORD
	v_lshrrev_b32_e32 v20, 3, v21
	s_mov_b32 s17, exec_lo
	v_cmpx_gt_u32_e32 8, v21
; %bb.811:                              ;   in Loop: Header=BB366_545 Depth=1
	v_ffbh_u32_e32 v20, v10
	v_min_u32_e32 v20, 32, v20
	v_subrev_nc_u32_e32 v21, 28, v20
	v_sub_nc_u32_e32 v20, 29, v20
	v_lshlrev_b64 v[81:82], v21, v[10:11]
	v_and_b32_e32 v10, 7, v81
; %bb.812:                              ;   in Loop: Header=BB366_545 Depth=1
	s_or_b32 exec_lo, exec_lo, s17
	v_lshlrev_b32_sdwa v21, v41, v18 dst_sel:DWORD dst_unused:UNUSED_PAD src0_sel:DWORD src1_sel:WORD_1
	v_lshlrev_b32_e32 v10, 20, v10
	v_lshl_add_u32 v20, v20, 23, 0x3c000000
	v_and_b32_e32 v21, 0x80000000, v21
	v_or3_b32 v23, v10, v21, v20
.LBB366_813:                            ;   in Loop: Header=BB366_545 Depth=1
	s_or_b32 exec_lo, exec_lo, s16
.LBB366_814:                            ;   in Loop: Header=BB366_545 Depth=1
	s_or_b32 exec_lo, exec_lo, s15
.LBB366_815:                            ;   in Loop: Header=BB366_545 Depth=1
	s_or_b32 exec_lo, exec_lo, s14
	s_mov_b32 s14, exec_lo
	v_cmpx_lt_u32_e32 0xffffff, v18
	s_cbranch_execz .LBB366_823
; %bb.816:                              ;   in Loop: Header=BB366_545 Depth=1
	v_cmp_ne_u32_sdwa s1, v18, v37 src0_sel:BYTE_3 src1_sel:DWORD
	v_bfrev_b32_e32 v24, 1
	s_and_saveexec_b32 s15, s1
	s_cbranch_execz .LBB366_822
; %bb.817:                              ;   in Loop: Header=BB366_545 Depth=1
	v_bfe_u32 v21, v18, 24, 7
	v_mov_b32_e32 v24, 0x7f800001
	s_mov_b32 s16, exec_lo
	v_cmpx_ne_u32_e32 0x7f, v21
	s_cbranch_execz .LBB366_821
; %bb.818:                              ;   in Loop: Header=BB366_545 Depth=1
	v_and_b32_sdwa v10, v18, v40 dst_sel:DWORD dst_unused:UNUSED_PAD src0_sel:BYTE_3 src1_sel:DWORD
	v_lshrrev_b32_e32 v20, 3, v21
	s_mov_b32 s17, exec_lo
	v_cmpx_gt_u32_e32 8, v21
; %bb.819:                              ;   in Loop: Header=BB366_545 Depth=1
	v_ffbh_u32_e32 v20, v10
	v_min_u32_e32 v20, 32, v20
	v_subrev_nc_u32_e32 v21, 28, v20
	v_sub_nc_u32_e32 v20, 29, v20
	v_lshlrev_b64 v[81:82], v21, v[10:11]
	v_and_b32_e32 v10, 7, v81
; %bb.820:                              ;   in Loop: Header=BB366_545 Depth=1
	s_or_b32 exec_lo, exec_lo, s17
	v_lshlrev_b32_sdwa v21, v41, v18 dst_sel:DWORD dst_unused:UNUSED_PAD src0_sel:DWORD src1_sel:BYTE_3
	v_lshlrev_b32_e32 v10, 20, v10
	v_lshl_add_u32 v20, v20, 23, 0x3c000000
	v_and_b32_e32 v21, 0x80000000, v21
	v_or3_b32 v24, v10, v21, v20
.LBB366_821:                            ;   in Loop: Header=BB366_545 Depth=1
	s_or_b32 exec_lo, exec_lo, s16
.LBB366_822:                            ;   in Loop: Header=BB366_545 Depth=1
	s_or_b32 exec_lo, exec_lo, s15
.LBB366_823:                            ;   in Loop: Header=BB366_545 Depth=1
	s_or_b32 exec_lo, exec_lo, s14
	v_mov_b32_e32 v10, v19
	v_cmp_ne_u16_sdwa s1, v19, v11 src0_sel:BYTE_0 src1_sel:DWORD
	v_mov_b32_e32 v20, 0
	v_mov_b32_e32 v81, 0
	s_and_saveexec_b32 s14, s1
	s_cbranch_execz .LBB366_829
; %bb.824:                              ;   in Loop: Header=BB366_545 Depth=1
	v_cmp_ne_u16_sdwa s1, v19, v37 src0_sel:BYTE_0 src1_sel:DWORD
	v_bfrev_b32_e32 v81, 1
	s_and_saveexec_b32 s15, s1
	s_cbranch_execz .LBB366_828
; %bb.825:                              ;   in Loop: Header=BB366_545 Depth=1
	v_and_b32_e32 v21, 0x7f, v19
	v_mov_b32_e32 v81, 0x7f800001
	s_mov_b32 s16, exec_lo
	v_cmpx_ne_u32_e32 0x7f, v21
	s_cbranch_execz .LBB366_827
; %bb.826:                              ;   in Loop: Header=BB366_545 Depth=1
	v_and_b32_e32 v81, 7, v19
	v_lshrrev_b32_e32 v82, 3, v21
	v_cmp_gt_u32_e64 s1, 8, v21
	v_ffbh_u32_e32 v81, v81
	v_min_u32_e32 v81, 32, v81
	v_subrev_nc_u32_e32 v83, 28, v81
	v_sub_nc_u32_e32 v81, 29, v81
	v_cndmask_b32_e64 v21, v82, v81, s1
	v_cndmask_b32_e64 v81, 0, v83, s1
	v_lshl_add_u32 v21, v21, 23, 0x3c000000
	v_lshlrev_b64 v[81:82], v81, v[10:11]
	v_lshlrev_b32_e32 v82, 24, v10
	v_lshlrev_b32_e32 v81, 20, v81
	v_and_b32_e32 v82, 0x80000000, v82
	v_and_b32_e32 v81, 0x700000, v81
	v_or3_b32 v81, v81, v82, v21
.LBB366_827:                            ;   in Loop: Header=BB366_545 Depth=1
	s_or_b32 exec_lo, exec_lo, s16
.LBB366_828:                            ;   in Loop: Header=BB366_545 Depth=1
	s_or_b32 exec_lo, exec_lo, s15
.LBB366_829:                            ;   in Loop: Header=BB366_545 Depth=1
	s_or_b32 exec_lo, exec_lo, s14
	v_cmp_ne_u16_sdwa s1, v10, v11 src0_sel:BYTE_1 src1_sel:DWORD
	s_and_saveexec_b32 s14, s1
	s_cbranch_execz .LBB366_837
; %bb.830:                              ;   in Loop: Header=BB366_545 Depth=1
	v_cmp_ne_u16_sdwa s1, v10, v37 src0_sel:BYTE_1 src1_sel:DWORD
	v_bfrev_b32_e32 v20, 1
	s_and_saveexec_b32 s15, s1
	s_cbranch_execz .LBB366_836
; %bb.831:                              ;   in Loop: Header=BB366_545 Depth=1
	v_and_b32_sdwa v21, v38, v10 dst_sel:DWORD dst_unused:UNUSED_PAD src0_sel:DWORD src1_sel:BYTE_1
	v_mov_b32_e32 v20, 0x7f800001
	s_mov_b32 s16, exec_lo
	v_and_b32_e32 v83, 0x7f, v21
	v_cmpx_ne_u32_e32 0x7f, v83
	s_cbranch_execz .LBB366_835
; %bb.832:                              ;   in Loop: Header=BB366_545 Depth=1
	v_and_b32_e32 v20, 7, v21
	v_mov_b32_e32 v21, v11
	v_lshrrev_b32_e32 v82, 3, v83
	s_mov_b32 s17, exec_lo
	v_cmpx_gt_u32_e32 8, v83
; %bb.833:                              ;   in Loop: Header=BB366_545 Depth=1
	v_ffbh_u32_e32 v82, v20
	v_min_u32_e32 v82, 32, v82
	v_subrev_nc_u32_e32 v83, 28, v82
	v_sub_nc_u32_e32 v82, 29, v82
	v_lshlrev_b64 v[20:21], v83, v[20:21]
	v_and_b32_e32 v20, 7, v20
; %bb.834:                              ;   in Loop: Header=BB366_545 Depth=1
	s_or_b32 exec_lo, exec_lo, s17
	v_lshlrev_b32_e32 v10, 16, v10
	v_lshlrev_b32_e32 v20, 20, v20
	v_lshl_add_u32 v21, v82, 23, 0x3c000000
	v_and_b32_e32 v10, 0x80000000, v10
	v_or3_b32 v20, v20, v10, v21
.LBB366_835:                            ;   in Loop: Header=BB366_545 Depth=1
	s_or_b32 exec_lo, exec_lo, s16
.LBB366_836:                            ;   in Loop: Header=BB366_545 Depth=1
	s_or_b32 exec_lo, exec_lo, s15
.LBB366_837:                            ;   in Loop: Header=BB366_545 Depth=1
	s_or_b32 exec_lo, exec_lo, s14
	v_and_b32_sdwa v10, v19, v39 dst_sel:DWORD dst_unused:UNUSED_PAD src0_sel:WORD_1 src1_sel:DWORD
	v_mov_b32_e32 v21, 0
	v_mov_b32_e32 v83, 0
	s_mov_b32 s14, exec_lo
	v_cmpx_ne_u16_e32 0, v10
	s_cbranch_execz .LBB366_845
; %bb.838:                              ;   in Loop: Header=BB366_545 Depth=1
	v_bfrev_b32_e32 v83, 1
	s_mov_b32 s15, exec_lo
	v_cmpx_ne_u16_e32 0x80, v10
	s_cbranch_execz .LBB366_844
; %bb.839:                              ;   in Loop: Header=BB366_545 Depth=1
	v_bfe_u32 v84, v19, 16, 7
	v_mov_b32_e32 v83, 0x7f800001
	s_mov_b32 s16, exec_lo
	v_cmpx_ne_u32_e32 0x7f, v84
	s_cbranch_execz .LBB366_843
; %bb.840:                              ;   in Loop: Header=BB366_545 Depth=1
	v_and_b32_sdwa v10, v19, v40 dst_sel:DWORD dst_unused:UNUSED_PAD src0_sel:WORD_1 src1_sel:DWORD
	v_lshrrev_b32_e32 v82, 3, v84
	s_mov_b32 s17, exec_lo
	v_cmpx_gt_u32_e32 8, v84
; %bb.841:                              ;   in Loop: Header=BB366_545 Depth=1
	v_ffbh_u32_e32 v82, v10
	v_min_u32_e32 v82, 32, v82
	v_subrev_nc_u32_e32 v83, 28, v82
	v_sub_nc_u32_e32 v82, 29, v82
	v_lshlrev_b64 v[83:84], v83, v[10:11]
	v_and_b32_e32 v10, 7, v83
; %bb.842:                              ;   in Loop: Header=BB366_545 Depth=1
	s_or_b32 exec_lo, exec_lo, s17
	v_lshlrev_b32_sdwa v83, v41, v19 dst_sel:DWORD dst_unused:UNUSED_PAD src0_sel:DWORD src1_sel:WORD_1
	v_lshlrev_b32_e32 v10, 20, v10
	v_lshl_add_u32 v82, v82, 23, 0x3c000000
	v_and_b32_e32 v83, 0x80000000, v83
	v_or3_b32 v83, v10, v83, v82
.LBB366_843:                            ;   in Loop: Header=BB366_545 Depth=1
	s_or_b32 exec_lo, exec_lo, s16
.LBB366_844:                            ;   in Loop: Header=BB366_545 Depth=1
	s_or_b32 exec_lo, exec_lo, s15
.LBB366_845:                            ;   in Loop: Header=BB366_545 Depth=1
	s_or_b32 exec_lo, exec_lo, s14
	s_mov_b32 s14, exec_lo
	v_cmpx_lt_u64_e64 s[4:5], v[18:19]
	s_cbranch_execz .LBB366_853
; %bb.846:                              ;   in Loop: Header=BB366_545 Depth=1
	v_cmp_ne_u32_sdwa s1, v19, v37 src0_sel:BYTE_3 src1_sel:DWORD
	v_bfrev_b32_e32 v21, 1
	s_and_saveexec_b32 s15, s1
	s_cbranch_execz .LBB366_852
; %bb.847:                              ;   in Loop: Header=BB366_545 Depth=1
	v_bfe_u32 v82, v19, 24, 7
	v_mov_b32_e32 v21, 0x7f800001
	s_mov_b32 s16, exec_lo
	v_cmpx_ne_u32_e32 0x7f, v82
	s_cbranch_execz .LBB366_851
; %bb.848:                              ;   in Loop: Header=BB366_545 Depth=1
	v_and_b32_sdwa v10, v19, v40 dst_sel:DWORD dst_unused:UNUSED_PAD src0_sel:BYTE_3 src1_sel:DWORD
	v_lshrrev_b32_e32 v18, 3, v82
	s_mov_b32 s17, exec_lo
	v_cmpx_gt_u32_e32 8, v82
; %bb.849:                              ;   in Loop: Header=BB366_545 Depth=1
	v_ffbh_u32_e32 v18, v10
	v_min_u32_e32 v18, 32, v18
	v_subrev_nc_u32_e32 v21, 28, v18
	v_sub_nc_u32_e32 v18, 29, v18
	v_lshlrev_b64 v[84:85], v21, v[10:11]
	v_and_b32_e32 v10, 7, v84
; %bb.850:                              ;   in Loop: Header=BB366_545 Depth=1
	s_or_b32 exec_lo, exec_lo, s17
	v_lshlrev_b32_sdwa v19, v41, v19 dst_sel:DWORD dst_unused:UNUSED_PAD src0_sel:DWORD src1_sel:BYTE_3
	v_lshlrev_b32_e32 v10, 20, v10
	v_lshl_add_u32 v18, v18, 23, 0x3c000000
	v_and_b32_e32 v19, 0x80000000, v19
	v_or3_b32 v21, v10, v19, v18
.LBB366_851:                            ;   in Loop: Header=BB366_545 Depth=1
	s_or_b32 exec_lo, exec_lo, s16
.LBB366_852:                            ;   in Loop: Header=BB366_545 Depth=1
	s_or_b32 exec_lo, exec_lo, s15
.LBB366_853:                            ;   in Loop: Header=BB366_545 Depth=1
	s_or_b32 exec_lo, exec_lo, s14
	v_mul_f32_e32 v10, s9, v20
	v_mul_f32_e32 v18, s9, v81
	;; [unrolled: 1-line block ×5, first 2 shown]
	v_bfe_u32 v23, v10, 16, 1
	v_or_b32_e32 v24, 0x400000, v10
	v_bfe_u32 v81, v18, 16, 1
	v_cmp_u_f32_e64 s1, v10, v10
	v_or_b32_e32 v82, 0x400000, v18
	v_add3_u32 v23, v23, v10, 0x7fff
	v_bfe_u32 v84, v19, 16, 1
	v_add3_u32 v81, v81, v18, 0x7fff
	v_or_b32_e32 v85, 0x400000, v19
	v_bfe_u32 v86, v20, 16, 1
	v_cndmask_b32_e64 v10, v23, v24, s1
	v_cmp_u_f32_e64 s1, v18, v18
	v_add3_u32 v84, v84, v19, 0x7fff
	v_or_b32_e32 v23, 0x400000, v20
	v_mul_f32_e32 v21, s9, v21
	v_cndmask_b32_e64 v18, v81, v82, s1
	v_cmp_u_f32_e64 s1, v19, v19
	v_lshrrev_b32_e32 v81, 16, v10
	v_mul_f32_e32 v10, s9, v22
	v_add3_u32 v22, v86, v20, 0x7fff
	v_lshrrev_b32_e32 v82, 16, v18
	v_cndmask_b32_e64 v19, v84, v85, s1
	v_cmp_u_f32_e64 s1, v20, v20
	v_bfe_u32 v18, v10, 16, 1
	v_mul_f32_e32 v20, s9, v83
	v_or_b32_e32 v85, 0x400000, v21
	v_lshrrev_b32_e32 v84, 16, v19
	v_cndmask_b32_e64 v19, v22, v23, s1
	v_add3_u32 v18, v18, v10, 0x7fff
	v_or_b32_e32 v22, 0x400000, v10
	v_bfe_u32 v23, v0, 16, 1
	v_cmp_u_f32_e64 s1, v10, v10
	v_bfe_u32 v24, v20, 16, 1
	v_or_b32_e32 v83, 0x400000, v20
	v_lshrrev_b32_e32 v86, 16, v19
	v_cndmask_b32_e64 v10, v18, v22, s1
	v_add3_u32 v22, v23, v0, 0x7fff
	v_or_b32_e32 v23, 0x400000, v0
	v_cmp_u_f32_e64 s1, v0, v0
	v_bfe_u32 v18, v21, 16, 1
	v_add3_u32 v24, v24, v20, 0x7fff
	v_lshrrev_b32_e32 v88, 16, v10
	v_cndmask_b32_e64 v0, v22, v23, s1
	v_cmp_u_f32_e64 s1, v20, v20
	v_add3_u32 v18, v18, v21, 0x7fff
	v_lshrrev_b32_e32 v87, 16, v0
	v_cndmask_b32_e64 v20, v24, v83, s1
	v_cmp_u_f32_e64 s1, v21, v21
	v_lshrrev_b32_e32 v83, 16, v20
	v_cndmask_b32_e64 v18, v18, v85, s1
	v_lshrrev_b32_e32 v85, 16, v18
	s_and_saveexec_b32 s14, vcc_lo
	s_cbranch_execz .LBB366_855
; %bb.854:                              ;   in Loop: Header=BB366_545 Depth=1
	v_cmp_gt_i32_e64 s1, s27, v50
	v_cndmask_b32_e64 v87, 0, v87, s1
	v_cmp_gt_i32_e64 s1, s27, v61
	v_cndmask_b32_e64 v88, 0, v88, s1
	;; [unrolled: 2-line block ×8, first 2 shown]
.LBB366_855:                            ;   in Loop: Header=BB366_545 Depth=1
	s_or_b32 exec_lo, exec_lo, s14
	global_load_dwordx2 v[18:19], v[16:17], off offset:1280
	v_mov_b32_e32 v0, 0
	v_mov_b32_e32 v23, 0
	s_waitcnt vmcnt(0)
	v_cmp_ne_u16_sdwa s1, v18, v11 src0_sel:BYTE_0 src1_sel:DWORD
	s_and_saveexec_b32 s14, s1
	s_cbranch_execz .LBB366_861
; %bb.856:                              ;   in Loop: Header=BB366_545 Depth=1
	v_cmp_ne_u16_sdwa s1, v18, v37 src0_sel:BYTE_0 src1_sel:DWORD
	v_bfrev_b32_e32 v23, 1
	s_and_saveexec_b32 s15, s1
	s_cbranch_execz .LBB366_860
; %bb.857:                              ;   in Loop: Header=BB366_545 Depth=1
	v_and_b32_e32 v10, 0x7f, v18
	v_mov_b32_e32 v23, 0x7f800001
	s_mov_b32 s16, exec_lo
	v_cmpx_ne_u32_e32 0x7f, v10
	s_cbranch_execz .LBB366_859
; %bb.858:                              ;   in Loop: Header=BB366_545 Depth=1
	v_and_b32_e32 v20, 7, v18
	v_lshrrev_b32_e32 v21, 3, v10
	v_cmp_gt_u32_e64 s1, 8, v10
	v_ffbh_u32_e32 v20, v20
	v_min_u32_e32 v20, 32, v20
	v_subrev_nc_u32_e32 v22, 28, v20
	v_sub_nc_u32_e32 v20, 29, v20
	v_cndmask_b32_e64 v10, v21, v20, s1
	v_cndmask_b32_e64 v20, 0, v22, s1
	v_lshl_add_u32 v10, v10, 23, 0x3c000000
	v_lshlrev_b64 v[20:21], v20, v[18:19]
	v_lshlrev_b32_e32 v21, 24, v18
	v_lshlrev_b32_e32 v20, 20, v20
	v_and_b32_e32 v21, 0x80000000, v21
	v_and_b32_e32 v20, 0x700000, v20
	v_or3_b32 v23, v20, v21, v10
.LBB366_859:                            ;   in Loop: Header=BB366_545 Depth=1
	s_or_b32 exec_lo, exec_lo, s16
.LBB366_860:                            ;   in Loop: Header=BB366_545 Depth=1
	s_or_b32 exec_lo, exec_lo, s15
.LBB366_861:                            ;   in Loop: Header=BB366_545 Depth=1
	s_or_b32 exec_lo, exec_lo, s14
	v_cmp_ne_u16_sdwa s1, v18, v11 src0_sel:BYTE_1 src1_sel:DWORD
	s_and_saveexec_b32 s14, s1
	s_cbranch_execz .LBB366_869
; %bb.862:                              ;   in Loop: Header=BB366_545 Depth=1
	v_cmp_ne_u16_sdwa s1, v18, v37 src0_sel:BYTE_1 src1_sel:DWORD
	v_bfrev_b32_e32 v0, 1
	s_and_saveexec_b32 s15, s1
	s_cbranch_execz .LBB366_868
; %bb.863:                              ;   in Loop: Header=BB366_545 Depth=1
	v_and_b32_sdwa v10, v38, v18 dst_sel:DWORD dst_unused:UNUSED_PAD src0_sel:DWORD src1_sel:BYTE_1
	v_mov_b32_e32 v0, 0x7f800001
	s_mov_b32 s16, exec_lo
	v_and_b32_e32 v20, 0x7f, v10
	v_cmpx_ne_u32_e32 0x7f, v20
	s_cbranch_execz .LBB366_867
; %bb.864:                              ;   in Loop: Header=BB366_545 Depth=1
	v_and_b32_e32 v10, 7, v10
	v_lshrrev_b32_e32 v0, 3, v20
	s_mov_b32 s17, exec_lo
	v_cmpx_gt_u32_e32 8, v20
; %bb.865:                              ;   in Loop: Header=BB366_545 Depth=1
	v_ffbh_u32_e32 v0, v10
	v_min_u32_e32 v0, 32, v0
	v_subrev_nc_u32_e32 v20, 28, v0
	v_sub_nc_u32_e32 v0, 29, v0
	v_lshlrev_b64 v[20:21], v20, v[10:11]
	v_and_b32_e32 v10, 7, v20
; %bb.866:                              ;   in Loop: Header=BB366_545 Depth=1
	s_or_b32 exec_lo, exec_lo, s17
	v_lshlrev_b32_e32 v20, 16, v18
	v_lshlrev_b32_e32 v10, 20, v10
	v_lshl_add_u32 v0, v0, 23, 0x3c000000
	v_and_b32_e32 v20, 0x80000000, v20
	v_or3_b32 v0, v10, v20, v0
.LBB366_867:                            ;   in Loop: Header=BB366_545 Depth=1
	s_or_b32 exec_lo, exec_lo, s16
.LBB366_868:                            ;   in Loop: Header=BB366_545 Depth=1
	s_or_b32 exec_lo, exec_lo, s15
.LBB366_869:                            ;   in Loop: Header=BB366_545 Depth=1
	s_or_b32 exec_lo, exec_lo, s14
	v_and_b32_sdwa v10, v18, v39 dst_sel:DWORD dst_unused:UNUSED_PAD src0_sel:WORD_1 src1_sel:DWORD
	v_mov_b32_e32 v24, 0
	v_mov_b32_e32 v22, 0
	s_mov_b32 s14, exec_lo
	v_cmpx_ne_u16_e32 0, v10
	s_cbranch_execz .LBB366_877
; %bb.870:                              ;   in Loop: Header=BB366_545 Depth=1
	v_bfrev_b32_e32 v22, 1
	s_mov_b32 s15, exec_lo
	v_cmpx_ne_u16_e32 0x80, v10
	s_cbranch_execz .LBB366_876
; %bb.871:                              ;   in Loop: Header=BB366_545 Depth=1
	v_bfe_u32 v21, v18, 16, 7
	v_mov_b32_e32 v22, 0x7f800001
	s_mov_b32 s16, exec_lo
	v_cmpx_ne_u32_e32 0x7f, v21
	s_cbranch_execz .LBB366_875
; %bb.872:                              ;   in Loop: Header=BB366_545 Depth=1
	v_and_b32_sdwa v10, v18, v40 dst_sel:DWORD dst_unused:UNUSED_PAD src0_sel:WORD_1 src1_sel:DWORD
	v_lshrrev_b32_e32 v20, 3, v21
	s_mov_b32 s17, exec_lo
	v_cmpx_gt_u32_e32 8, v21
; %bb.873:                              ;   in Loop: Header=BB366_545 Depth=1
	v_ffbh_u32_e32 v20, v10
	v_min_u32_e32 v20, 32, v20
	v_subrev_nc_u32_e32 v21, 28, v20
	v_sub_nc_u32_e32 v20, 29, v20
	v_lshlrev_b64 v[21:22], v21, v[10:11]
	v_and_b32_e32 v10, 7, v21
; %bb.874:                              ;   in Loop: Header=BB366_545 Depth=1
	s_or_b32 exec_lo, exec_lo, s17
	v_lshlrev_b32_sdwa v21, v41, v18 dst_sel:DWORD dst_unused:UNUSED_PAD src0_sel:DWORD src1_sel:WORD_1
	v_lshlrev_b32_e32 v10, 20, v10
	v_lshl_add_u32 v20, v20, 23, 0x3c000000
	v_and_b32_e32 v21, 0x80000000, v21
	v_or3_b32 v22, v10, v21, v20
.LBB366_875:                            ;   in Loop: Header=BB366_545 Depth=1
	s_or_b32 exec_lo, exec_lo, s16
.LBB366_876:                            ;   in Loop: Header=BB366_545 Depth=1
	s_or_b32 exec_lo, exec_lo, s15
.LBB366_877:                            ;   in Loop: Header=BB366_545 Depth=1
	s_or_b32 exec_lo, exec_lo, s14
	s_mov_b32 s14, exec_lo
	v_cmpx_lt_u32_e32 0xffffff, v18
	s_cbranch_execz .LBB366_885
; %bb.878:                              ;   in Loop: Header=BB366_545 Depth=1
	v_cmp_ne_u32_sdwa s1, v18, v37 src0_sel:BYTE_3 src1_sel:DWORD
	v_bfrev_b32_e32 v24, 1
	s_and_saveexec_b32 s15, s1
	s_cbranch_execz .LBB366_884
; %bb.879:                              ;   in Loop: Header=BB366_545 Depth=1
	v_bfe_u32 v21, v18, 24, 7
	v_mov_b32_e32 v24, 0x7f800001
	s_mov_b32 s16, exec_lo
	v_cmpx_ne_u32_e32 0x7f, v21
	s_cbranch_execz .LBB366_883
; %bb.880:                              ;   in Loop: Header=BB366_545 Depth=1
	v_and_b32_sdwa v10, v18, v40 dst_sel:DWORD dst_unused:UNUSED_PAD src0_sel:BYTE_3 src1_sel:DWORD
	v_lshrrev_b32_e32 v20, 3, v21
	s_mov_b32 s17, exec_lo
	v_cmpx_gt_u32_e32 8, v21
; %bb.881:                              ;   in Loop: Header=BB366_545 Depth=1
	v_ffbh_u32_e32 v20, v10
	v_min_u32_e32 v20, 32, v20
	v_subrev_nc_u32_e32 v21, 28, v20
	v_sub_nc_u32_e32 v20, 29, v20
	v_lshlrev_b64 v[89:90], v21, v[10:11]
	v_and_b32_e32 v10, 7, v89
; %bb.882:                              ;   in Loop: Header=BB366_545 Depth=1
	s_or_b32 exec_lo, exec_lo, s17
	v_lshlrev_b32_sdwa v21, v41, v18 dst_sel:DWORD dst_unused:UNUSED_PAD src0_sel:DWORD src1_sel:BYTE_3
	v_lshlrev_b32_e32 v10, 20, v10
	v_lshl_add_u32 v20, v20, 23, 0x3c000000
	v_and_b32_e32 v21, 0x80000000, v21
	v_or3_b32 v24, v10, v21, v20
.LBB366_883:                            ;   in Loop: Header=BB366_545 Depth=1
	s_or_b32 exec_lo, exec_lo, s16
.LBB366_884:                            ;   in Loop: Header=BB366_545 Depth=1
	s_or_b32 exec_lo, exec_lo, s15
.LBB366_885:                            ;   in Loop: Header=BB366_545 Depth=1
	s_or_b32 exec_lo, exec_lo, s14
	v_mov_b32_e32 v10, v19
	v_cmp_ne_u16_sdwa s1, v19, v11 src0_sel:BYTE_0 src1_sel:DWORD
	v_mov_b32_e32 v20, 0
	v_mov_b32_e32 v89, 0
	s_and_saveexec_b32 s14, s1
	s_cbranch_execz .LBB366_891
; %bb.886:                              ;   in Loop: Header=BB366_545 Depth=1
	v_cmp_ne_u16_sdwa s1, v19, v37 src0_sel:BYTE_0 src1_sel:DWORD
	v_bfrev_b32_e32 v89, 1
	s_and_saveexec_b32 s15, s1
	s_cbranch_execz .LBB366_890
; %bb.887:                              ;   in Loop: Header=BB366_545 Depth=1
	v_and_b32_e32 v21, 0x7f, v19
	v_mov_b32_e32 v89, 0x7f800001
	s_mov_b32 s16, exec_lo
	v_cmpx_ne_u32_e32 0x7f, v21
	s_cbranch_execz .LBB366_889
; %bb.888:                              ;   in Loop: Header=BB366_545 Depth=1
	v_and_b32_e32 v89, 7, v19
	v_lshrrev_b32_e32 v90, 3, v21
	v_cmp_gt_u32_e64 s1, 8, v21
	v_ffbh_u32_e32 v89, v89
	v_min_u32_e32 v89, 32, v89
	v_subrev_nc_u32_e32 v91, 28, v89
	v_sub_nc_u32_e32 v89, 29, v89
	v_cndmask_b32_e64 v21, v90, v89, s1
	v_cndmask_b32_e64 v89, 0, v91, s1
	v_lshl_add_u32 v21, v21, 23, 0x3c000000
	v_lshlrev_b64 v[89:90], v89, v[10:11]
	v_lshlrev_b32_e32 v90, 24, v10
	v_lshlrev_b32_e32 v89, 20, v89
	v_and_b32_e32 v90, 0x80000000, v90
	v_and_b32_e32 v89, 0x700000, v89
	v_or3_b32 v89, v89, v90, v21
.LBB366_889:                            ;   in Loop: Header=BB366_545 Depth=1
	s_or_b32 exec_lo, exec_lo, s16
.LBB366_890:                            ;   in Loop: Header=BB366_545 Depth=1
	s_or_b32 exec_lo, exec_lo, s15
.LBB366_891:                            ;   in Loop: Header=BB366_545 Depth=1
	s_or_b32 exec_lo, exec_lo, s14
	v_cmp_ne_u16_sdwa s1, v10, v11 src0_sel:BYTE_1 src1_sel:DWORD
	s_and_saveexec_b32 s14, s1
	s_cbranch_execz .LBB366_899
; %bb.892:                              ;   in Loop: Header=BB366_545 Depth=1
	v_cmp_ne_u16_sdwa s1, v10, v37 src0_sel:BYTE_1 src1_sel:DWORD
	v_bfrev_b32_e32 v20, 1
	s_and_saveexec_b32 s15, s1
	s_cbranch_execz .LBB366_898
; %bb.893:                              ;   in Loop: Header=BB366_545 Depth=1
	v_and_b32_sdwa v21, v38, v10 dst_sel:DWORD dst_unused:UNUSED_PAD src0_sel:DWORD src1_sel:BYTE_1
	v_mov_b32_e32 v20, 0x7f800001
	s_mov_b32 s16, exec_lo
	v_and_b32_e32 v91, 0x7f, v21
	v_cmpx_ne_u32_e32 0x7f, v91
	s_cbranch_execz .LBB366_897
; %bb.894:                              ;   in Loop: Header=BB366_545 Depth=1
	v_and_b32_e32 v20, 7, v21
	v_mov_b32_e32 v21, v11
	v_lshrrev_b32_e32 v90, 3, v91
	s_mov_b32 s17, exec_lo
	v_cmpx_gt_u32_e32 8, v91
; %bb.895:                              ;   in Loop: Header=BB366_545 Depth=1
	v_ffbh_u32_e32 v90, v20
	v_min_u32_e32 v90, 32, v90
	v_subrev_nc_u32_e32 v91, 28, v90
	v_sub_nc_u32_e32 v90, 29, v90
	v_lshlrev_b64 v[20:21], v91, v[20:21]
	v_and_b32_e32 v20, 7, v20
; %bb.896:                              ;   in Loop: Header=BB366_545 Depth=1
	s_or_b32 exec_lo, exec_lo, s17
	v_lshlrev_b32_e32 v10, 16, v10
	v_lshlrev_b32_e32 v20, 20, v20
	v_lshl_add_u32 v21, v90, 23, 0x3c000000
	v_and_b32_e32 v10, 0x80000000, v10
	v_or3_b32 v20, v20, v10, v21
.LBB366_897:                            ;   in Loop: Header=BB366_545 Depth=1
	s_or_b32 exec_lo, exec_lo, s16
.LBB366_898:                            ;   in Loop: Header=BB366_545 Depth=1
	s_or_b32 exec_lo, exec_lo, s15
.LBB366_899:                            ;   in Loop: Header=BB366_545 Depth=1
	s_or_b32 exec_lo, exec_lo, s14
	v_and_b32_sdwa v10, v19, v39 dst_sel:DWORD dst_unused:UNUSED_PAD src0_sel:WORD_1 src1_sel:DWORD
	v_mov_b32_e32 v21, 0
	v_mov_b32_e32 v90, 0
	s_mov_b32 s14, exec_lo
	v_cmpx_ne_u16_e32 0, v10
	s_cbranch_execz .LBB366_907
; %bb.900:                              ;   in Loop: Header=BB366_545 Depth=1
	v_bfrev_b32_e32 v90, 1
	s_mov_b32 s15, exec_lo
	v_cmpx_ne_u16_e32 0x80, v10
	s_cbranch_execz .LBB366_906
; %bb.901:                              ;   in Loop: Header=BB366_545 Depth=1
	v_bfe_u32 v91, v19, 16, 7
	v_mov_b32_e32 v90, 0x7f800001
	s_mov_b32 s16, exec_lo
	v_cmpx_ne_u32_e32 0x7f, v91
	s_cbranch_execz .LBB366_905
; %bb.902:                              ;   in Loop: Header=BB366_545 Depth=1
	v_and_b32_sdwa v10, v19, v40 dst_sel:DWORD dst_unused:UNUSED_PAD src0_sel:WORD_1 src1_sel:DWORD
	v_lshrrev_b32_e32 v90, 3, v91
	s_mov_b32 s17, exec_lo
	v_cmpx_gt_u32_e32 8, v91
; %bb.903:                              ;   in Loop: Header=BB366_545 Depth=1
	v_ffbh_u32_e32 v90, v10
	v_min_u32_e32 v90, 32, v90
	v_subrev_nc_u32_e32 v91, 28, v90
	v_sub_nc_u32_e32 v90, 29, v90
	v_lshlrev_b64 v[91:92], v91, v[10:11]
	v_and_b32_e32 v10, 7, v91
; %bb.904:                              ;   in Loop: Header=BB366_545 Depth=1
	s_or_b32 exec_lo, exec_lo, s17
	v_lshlrev_b32_sdwa v91, v41, v19 dst_sel:DWORD dst_unused:UNUSED_PAD src0_sel:DWORD src1_sel:WORD_1
	v_lshlrev_b32_e32 v10, 20, v10
	v_lshl_add_u32 v90, v90, 23, 0x3c000000
	v_and_b32_e32 v91, 0x80000000, v91
	v_or3_b32 v90, v10, v91, v90
.LBB366_905:                            ;   in Loop: Header=BB366_545 Depth=1
	s_or_b32 exec_lo, exec_lo, s16
.LBB366_906:                            ;   in Loop: Header=BB366_545 Depth=1
	s_or_b32 exec_lo, exec_lo, s15
.LBB366_907:                            ;   in Loop: Header=BB366_545 Depth=1
	s_or_b32 exec_lo, exec_lo, s14
	s_mov_b32 s14, exec_lo
	v_cmpx_lt_u64_e64 s[4:5], v[18:19]
	s_cbranch_execz .LBB366_915
; %bb.908:                              ;   in Loop: Header=BB366_545 Depth=1
	v_cmp_ne_u32_sdwa s1, v19, v37 src0_sel:BYTE_3 src1_sel:DWORD
	v_bfrev_b32_e32 v21, 1
	s_and_saveexec_b32 s15, s1
	s_cbranch_execz .LBB366_914
; %bb.909:                              ;   in Loop: Header=BB366_545 Depth=1
	v_bfe_u32 v91, v19, 24, 7
	v_mov_b32_e32 v21, 0x7f800001
	s_mov_b32 s16, exec_lo
	v_cmpx_ne_u32_e32 0x7f, v91
	s_cbranch_execz .LBB366_913
; %bb.910:                              ;   in Loop: Header=BB366_545 Depth=1
	v_and_b32_sdwa v10, v19, v40 dst_sel:DWORD dst_unused:UNUSED_PAD src0_sel:BYTE_3 src1_sel:DWORD
	v_lshrrev_b32_e32 v18, 3, v91
	s_mov_b32 s17, exec_lo
	v_cmpx_gt_u32_e32 8, v91
; %bb.911:                              ;   in Loop: Header=BB366_545 Depth=1
	v_ffbh_u32_e32 v18, v10
	v_min_u32_e32 v18, 32, v18
	v_subrev_nc_u32_e32 v21, 28, v18
	v_sub_nc_u32_e32 v18, 29, v18
	v_lshlrev_b64 v[91:92], v21, v[10:11]
	v_and_b32_e32 v10, 7, v91
; %bb.912:                              ;   in Loop: Header=BB366_545 Depth=1
	s_or_b32 exec_lo, exec_lo, s17
	v_lshlrev_b32_sdwa v19, v41, v19 dst_sel:DWORD dst_unused:UNUSED_PAD src0_sel:DWORD src1_sel:BYTE_3
	v_lshlrev_b32_e32 v10, 20, v10
	v_lshl_add_u32 v18, v18, 23, 0x3c000000
	v_and_b32_e32 v19, 0x80000000, v19
	v_or3_b32 v21, v10, v19, v18
.LBB366_913:                            ;   in Loop: Header=BB366_545 Depth=1
	s_or_b32 exec_lo, exec_lo, s16
.LBB366_914:                            ;   in Loop: Header=BB366_545 Depth=1
	s_or_b32 exec_lo, exec_lo, s15
.LBB366_915:                            ;   in Loop: Header=BB366_545 Depth=1
	s_or_b32 exec_lo, exec_lo, s14
	v_mul_f32_e32 v10, s9, v20
	v_mul_f32_e32 v18, s9, v89
	;; [unrolled: 1-line block ×5, first 2 shown]
	v_bfe_u32 v22, v10, 16, 1
	v_or_b32_e32 v24, 0x400000, v10
	v_bfe_u32 v89, v18, 16, 1
	v_cmp_u_f32_e64 s1, v10, v10
	v_or_b32_e32 v91, 0x400000, v18
	v_add3_u32 v22, v22, v10, 0x7fff
	v_bfe_u32 v92, v19, 16, 1
	v_add3_u32 v89, v89, v18, 0x7fff
	v_or_b32_e32 v93, 0x400000, v19
	v_bfe_u32 v94, v20, 16, 1
	v_cndmask_b32_e64 v10, v22, v24, s1
	v_cmp_u_f32_e64 s1, v18, v18
	v_add3_u32 v92, v92, v19, 0x7fff
	v_lshrrev_b32_e32 v22, 16, v10
	v_cndmask_b32_e64 v18, v89, v91, s1
	v_cmp_u_f32_e64 s1, v19, v19
	v_mul_f32_e32 v10, s9, v0
	v_add3_u32 v89, v94, v20, 0x7fff
	v_or_b32_e32 v91, 0x400000, v20
	v_lshrrev_b32_e32 v0, 16, v18
	v_cndmask_b32_e64 v19, v92, v93, s1
	v_bfe_u32 v18, v10, 16, 1
	v_cmp_u_f32_e64 s1, v20, v20
	v_mul_f32_e32 v20, s9, v23
	v_mul_f32_e32 v23, s9, v90
	v_lshrrev_b32_e32 v24, 16, v19
	v_add3_u32 v18, v18, v10, 0x7fff
	v_cndmask_b32_e64 v19, v89, v91, s1
	v_or_b32_e32 v89, 0x400000, v10
	v_bfe_u32 v90, v20, 16, 1
	v_cmp_u_f32_e64 s1, v10, v10
	v_bfe_u32 v91, v23, 16, 1
	v_or_b32_e32 v92, 0x400000, v23
	v_or_b32_e32 v93, 0x400000, v21
	v_cndmask_b32_e64 v10, v18, v89, s1
	v_add3_u32 v89, v90, v20, 0x7fff
	v_or_b32_e32 v90, 0x400000, v20
	v_cmp_u_f32_e64 s1, v20, v20
	v_bfe_u32 v18, v21, 16, 1
	v_add3_u32 v91, v91, v23, 0x7fff
	v_cndmask_b32_e64 v20, v89, v90, s1
	v_cmp_u_f32_e64 s1, v23, v23
	v_add3_u32 v18, v18, v21, 0x7fff
	v_lshrrev_b32_e32 v90, 16, v19
	v_cndmask_b32_e64 v23, v91, v92, s1
	v_cmp_u_f32_e64 s1, v21, v21
	v_lshrrev_b32_e32 v92, 16, v10
	v_lshrrev_b32_e32 v91, 16, v20
	v_lshrrev_b32_e32 v23, 16, v23
	v_cndmask_b32_e64 v18, v18, v93, s1
	v_lshrrev_b32_e32 v89, 16, v18
	s_and_saveexec_b32 s14, vcc_lo
	s_cbranch_execz .LBB366_917
; %bb.916:                              ;   in Loop: Header=BB366_545 Depth=1
	v_cmp_gt_i32_e64 s1, s27, v50
	v_cndmask_b32_e64 v91, 0, v91, s1
	v_cmp_gt_i32_e64 s1, s27, v61
	v_cndmask_b32_e64 v92, 0, v92, s1
	;; [unrolled: 2-line block ×8, first 2 shown]
.LBB366_917:                            ;   in Loop: Header=BB366_545 Depth=1
	s_or_b32 exec_lo, exec_lo, s14
	global_load_dwordx2 v[18:19], v[16:17], off offset:1536
	v_mov_b32_e32 v95, 0
	v_mov_b32_e32 v93, 0
	s_waitcnt vmcnt(0)
	v_cmp_ne_u16_sdwa s1, v18, v11 src0_sel:BYTE_0 src1_sel:DWORD
	s_and_saveexec_b32 s14, s1
	s_cbranch_execz .LBB366_923
; %bb.918:                              ;   in Loop: Header=BB366_545 Depth=1
	v_cmp_ne_u16_sdwa s1, v18, v37 src0_sel:BYTE_0 src1_sel:DWORD
	v_bfrev_b32_e32 v93, 1
	s_and_saveexec_b32 s15, s1
	s_cbranch_execz .LBB366_922
; %bb.919:                              ;   in Loop: Header=BB366_545 Depth=1
	v_and_b32_e32 v10, 0x7f, v18
	v_mov_b32_e32 v93, 0x7f800001
	s_mov_b32 s16, exec_lo
	v_cmpx_ne_u32_e32 0x7f, v10
	s_cbranch_execz .LBB366_921
; %bb.920:                              ;   in Loop: Header=BB366_545 Depth=1
	v_and_b32_e32 v20, 7, v18
	v_lshrrev_b32_e32 v21, 3, v10
	v_cmp_gt_u32_e64 s1, 8, v10
	v_ffbh_u32_e32 v20, v20
	v_min_u32_e32 v20, 32, v20
	v_subrev_nc_u32_e32 v93, 28, v20
	v_sub_nc_u32_e32 v20, 29, v20
	v_cndmask_b32_e64 v10, v21, v20, s1
	v_cndmask_b32_e64 v20, 0, v93, s1
	v_lshl_add_u32 v10, v10, 23, 0x3c000000
	v_lshlrev_b64 v[20:21], v20, v[18:19]
	v_lshlrev_b32_e32 v21, 24, v18
	v_lshlrev_b32_e32 v20, 20, v20
	v_and_b32_e32 v21, 0x80000000, v21
	v_and_b32_e32 v20, 0x700000, v20
	v_or3_b32 v93, v20, v21, v10
.LBB366_921:                            ;   in Loop: Header=BB366_545 Depth=1
	s_or_b32 exec_lo, exec_lo, s16
.LBB366_922:                            ;   in Loop: Header=BB366_545 Depth=1
	s_or_b32 exec_lo, exec_lo, s15
.LBB366_923:                            ;   in Loop: Header=BB366_545 Depth=1
	s_or_b32 exec_lo, exec_lo, s14
	v_cmp_ne_u16_sdwa s1, v18, v11 src0_sel:BYTE_1 src1_sel:DWORD
	s_and_saveexec_b32 s14, s1
	s_cbranch_execz .LBB366_931
; %bb.924:                              ;   in Loop: Header=BB366_545 Depth=1
	v_cmp_ne_u16_sdwa s1, v18, v37 src0_sel:BYTE_1 src1_sel:DWORD
	v_bfrev_b32_e32 v95, 1
	s_and_saveexec_b32 s15, s1
	s_cbranch_execz .LBB366_930
; %bb.925:                              ;   in Loop: Header=BB366_545 Depth=1
	v_and_b32_sdwa v10, v38, v18 dst_sel:DWORD dst_unused:UNUSED_PAD src0_sel:DWORD src1_sel:BYTE_1
	v_mov_b32_e32 v95, 0x7f800001
	s_mov_b32 s16, exec_lo
	v_and_b32_e32 v21, 0x7f, v10
	v_cmpx_ne_u32_e32 0x7f, v21
	s_cbranch_execz .LBB366_929
; %bb.926:                              ;   in Loop: Header=BB366_545 Depth=1
	v_and_b32_e32 v10, 7, v10
	v_lshrrev_b32_e32 v20, 3, v21
	s_mov_b32 s17, exec_lo
	v_cmpx_gt_u32_e32 8, v21
; %bb.927:                              ;   in Loop: Header=BB366_545 Depth=1
	v_ffbh_u32_e32 v20, v10
	v_min_u32_e32 v20, 32, v20
	v_subrev_nc_u32_e32 v21, 28, v20
	v_sub_nc_u32_e32 v20, 29, v20
	v_lshlrev_b64 v[94:95], v21, v[10:11]
	v_and_b32_e32 v10, 7, v94
; %bb.928:                              ;   in Loop: Header=BB366_545 Depth=1
	s_or_b32 exec_lo, exec_lo, s17
	v_lshlrev_b32_e32 v21, 16, v18
	v_lshlrev_b32_e32 v10, 20, v10
	v_lshl_add_u32 v20, v20, 23, 0x3c000000
	v_and_b32_e32 v21, 0x80000000, v21
	v_or3_b32 v95, v10, v21, v20
.LBB366_929:                            ;   in Loop: Header=BB366_545 Depth=1
	s_or_b32 exec_lo, exec_lo, s16
.LBB366_930:                            ;   in Loop: Header=BB366_545 Depth=1
	s_or_b32 exec_lo, exec_lo, s15
.LBB366_931:                            ;   in Loop: Header=BB366_545 Depth=1
	s_or_b32 exec_lo, exec_lo, s14
	v_and_b32_sdwa v10, v18, v39 dst_sel:DWORD dst_unused:UNUSED_PAD src0_sel:WORD_1 src1_sel:DWORD
	v_mov_b32_e32 v96, 0
	v_mov_b32_e32 v94, 0
	s_mov_b32 s14, exec_lo
	v_cmpx_ne_u16_e32 0, v10
	s_cbranch_execz .LBB366_939
; %bb.932:                              ;   in Loop: Header=BB366_545 Depth=1
	v_bfrev_b32_e32 v94, 1
	s_mov_b32 s15, exec_lo
	v_cmpx_ne_u16_e32 0x80, v10
	s_cbranch_execz .LBB366_938
; %bb.933:                              ;   in Loop: Header=BB366_545 Depth=1
	v_bfe_u32 v21, v18, 16, 7
	v_mov_b32_e32 v94, 0x7f800001
	s_mov_b32 s16, exec_lo
	v_cmpx_ne_u32_e32 0x7f, v21
	s_cbranch_execz .LBB366_937
; %bb.934:                              ;   in Loop: Header=BB366_545 Depth=1
	v_and_b32_sdwa v10, v18, v40 dst_sel:DWORD dst_unused:UNUSED_PAD src0_sel:WORD_1 src1_sel:DWORD
	v_lshrrev_b32_e32 v20, 3, v21
	s_mov_b32 s17, exec_lo
	v_cmpx_gt_u32_e32 8, v21
; %bb.935:                              ;   in Loop: Header=BB366_545 Depth=1
	v_ffbh_u32_e32 v20, v10
	v_min_u32_e32 v20, 32, v20
	v_subrev_nc_u32_e32 v21, 28, v20
	v_sub_nc_u32_e32 v20, 29, v20
	v_lshlrev_b64 v[97:98], v21, v[10:11]
	v_and_b32_e32 v10, 7, v97
; %bb.936:                              ;   in Loop: Header=BB366_545 Depth=1
	s_or_b32 exec_lo, exec_lo, s17
	v_lshlrev_b32_sdwa v21, v41, v18 dst_sel:DWORD dst_unused:UNUSED_PAD src0_sel:DWORD src1_sel:WORD_1
	v_lshlrev_b32_e32 v10, 20, v10
	v_lshl_add_u32 v20, v20, 23, 0x3c000000
	v_and_b32_e32 v21, 0x80000000, v21
	v_or3_b32 v94, v10, v21, v20
.LBB366_937:                            ;   in Loop: Header=BB366_545 Depth=1
	s_or_b32 exec_lo, exec_lo, s16
.LBB366_938:                            ;   in Loop: Header=BB366_545 Depth=1
	s_or_b32 exec_lo, exec_lo, s15
.LBB366_939:                            ;   in Loop: Header=BB366_545 Depth=1
	s_or_b32 exec_lo, exec_lo, s14
	s_mov_b32 s14, exec_lo
	v_cmpx_lt_u32_e32 0xffffff, v18
	s_cbranch_execz .LBB366_947
; %bb.940:                              ;   in Loop: Header=BB366_545 Depth=1
	v_cmp_ne_u32_sdwa s1, v18, v37 src0_sel:BYTE_3 src1_sel:DWORD
	v_bfrev_b32_e32 v96, 1
	s_and_saveexec_b32 s15, s1
	s_cbranch_execz .LBB366_946
; %bb.941:                              ;   in Loop: Header=BB366_545 Depth=1
	v_bfe_u32 v21, v18, 24, 7
	v_mov_b32_e32 v96, 0x7f800001
	s_mov_b32 s16, exec_lo
	v_cmpx_ne_u32_e32 0x7f, v21
	s_cbranch_execz .LBB366_945
; %bb.942:                              ;   in Loop: Header=BB366_545 Depth=1
	v_and_b32_sdwa v10, v18, v40 dst_sel:DWORD dst_unused:UNUSED_PAD src0_sel:BYTE_3 src1_sel:DWORD
	v_lshrrev_b32_e32 v20, 3, v21
	s_mov_b32 s17, exec_lo
	v_cmpx_gt_u32_e32 8, v21
; %bb.943:                              ;   in Loop: Header=BB366_545 Depth=1
	v_ffbh_u32_e32 v20, v10
	v_min_u32_e32 v20, 32, v20
	v_subrev_nc_u32_e32 v21, 28, v20
	v_sub_nc_u32_e32 v20, 29, v20
	v_lshlrev_b64 v[96:97], v21, v[10:11]
	v_and_b32_e32 v10, 7, v96
; %bb.944:                              ;   in Loop: Header=BB366_545 Depth=1
	s_or_b32 exec_lo, exec_lo, s17
	v_lshlrev_b32_sdwa v21, v41, v18 dst_sel:DWORD dst_unused:UNUSED_PAD src0_sel:DWORD src1_sel:BYTE_3
	v_lshlrev_b32_e32 v10, 20, v10
	v_lshl_add_u32 v20, v20, 23, 0x3c000000
	v_and_b32_e32 v21, 0x80000000, v21
	v_or3_b32 v96, v10, v21, v20
.LBB366_945:                            ;   in Loop: Header=BB366_545 Depth=1
	s_or_b32 exec_lo, exec_lo, s16
.LBB366_946:                            ;   in Loop: Header=BB366_545 Depth=1
	s_or_b32 exec_lo, exec_lo, s15
.LBB366_947:                            ;   in Loop: Header=BB366_545 Depth=1
	s_or_b32 exec_lo, exec_lo, s14
	v_mov_b32_e32 v10, v19
	v_cmp_ne_u16_sdwa s1, v19, v11 src0_sel:BYTE_0 src1_sel:DWORD
	v_mov_b32_e32 v20, 0
	v_mov_b32_e32 v97, 0
	s_and_saveexec_b32 s14, s1
	s_cbranch_execz .LBB366_953
; %bb.948:                              ;   in Loop: Header=BB366_545 Depth=1
	v_cmp_ne_u16_sdwa s1, v19, v37 src0_sel:BYTE_0 src1_sel:DWORD
	v_bfrev_b32_e32 v97, 1
	s_and_saveexec_b32 s15, s1
	s_cbranch_execz .LBB366_952
; %bb.949:                              ;   in Loop: Header=BB366_545 Depth=1
	v_and_b32_e32 v21, 0x7f, v19
	v_mov_b32_e32 v97, 0x7f800001
	s_mov_b32 s16, exec_lo
	v_cmpx_ne_u32_e32 0x7f, v21
	s_cbranch_execz .LBB366_951
; %bb.950:                              ;   in Loop: Header=BB366_545 Depth=1
	v_and_b32_e32 v97, 7, v19
	v_lshrrev_b32_e32 v98, 3, v21
	v_cmp_gt_u32_e64 s1, 8, v21
	v_ffbh_u32_e32 v97, v97
	v_min_u32_e32 v97, 32, v97
	v_subrev_nc_u32_e32 v99, 28, v97
	v_sub_nc_u32_e32 v97, 29, v97
	v_cndmask_b32_e64 v21, v98, v97, s1
	v_cndmask_b32_e64 v97, 0, v99, s1
	v_lshl_add_u32 v21, v21, 23, 0x3c000000
	v_lshlrev_b64 v[97:98], v97, v[10:11]
	v_lshlrev_b32_e32 v98, 24, v10
	v_lshlrev_b32_e32 v97, 20, v97
	v_and_b32_e32 v98, 0x80000000, v98
	v_and_b32_e32 v97, 0x700000, v97
	v_or3_b32 v97, v97, v98, v21
.LBB366_951:                            ;   in Loop: Header=BB366_545 Depth=1
	s_or_b32 exec_lo, exec_lo, s16
.LBB366_952:                            ;   in Loop: Header=BB366_545 Depth=1
	s_or_b32 exec_lo, exec_lo, s15
.LBB366_953:                            ;   in Loop: Header=BB366_545 Depth=1
	s_or_b32 exec_lo, exec_lo, s14
	v_cmp_ne_u16_sdwa s1, v10, v11 src0_sel:BYTE_1 src1_sel:DWORD
	s_and_saveexec_b32 s14, s1
	s_cbranch_execz .LBB366_961
; %bb.954:                              ;   in Loop: Header=BB366_545 Depth=1
	v_cmp_ne_u16_sdwa s1, v10, v37 src0_sel:BYTE_1 src1_sel:DWORD
	v_bfrev_b32_e32 v20, 1
	s_and_saveexec_b32 s15, s1
	s_cbranch_execz .LBB366_960
; %bb.955:                              ;   in Loop: Header=BB366_545 Depth=1
	v_and_b32_sdwa v21, v38, v10 dst_sel:DWORD dst_unused:UNUSED_PAD src0_sel:DWORD src1_sel:BYTE_1
	v_mov_b32_e32 v20, 0x7f800001
	s_mov_b32 s16, exec_lo
	v_and_b32_e32 v99, 0x7f, v21
	v_cmpx_ne_u32_e32 0x7f, v99
	s_cbranch_execz .LBB366_959
; %bb.956:                              ;   in Loop: Header=BB366_545 Depth=1
	v_and_b32_e32 v20, 7, v21
	v_mov_b32_e32 v21, v11
	v_lshrrev_b32_e32 v98, 3, v99
	s_mov_b32 s17, exec_lo
	v_cmpx_gt_u32_e32 8, v99
; %bb.957:                              ;   in Loop: Header=BB366_545 Depth=1
	v_ffbh_u32_e32 v98, v20
	v_min_u32_e32 v98, 32, v98
	v_subrev_nc_u32_e32 v99, 28, v98
	v_sub_nc_u32_e32 v98, 29, v98
	v_lshlrev_b64 v[20:21], v99, v[20:21]
	v_and_b32_e32 v20, 7, v20
; %bb.958:                              ;   in Loop: Header=BB366_545 Depth=1
	s_or_b32 exec_lo, exec_lo, s17
	v_lshlrev_b32_e32 v10, 16, v10
	v_lshlrev_b32_e32 v20, 20, v20
	v_lshl_add_u32 v21, v98, 23, 0x3c000000
	v_and_b32_e32 v10, 0x80000000, v10
	v_or3_b32 v20, v20, v10, v21
.LBB366_959:                            ;   in Loop: Header=BB366_545 Depth=1
	s_or_b32 exec_lo, exec_lo, s16
.LBB366_960:                            ;   in Loop: Header=BB366_545 Depth=1
	s_or_b32 exec_lo, exec_lo, s15
.LBB366_961:                            ;   in Loop: Header=BB366_545 Depth=1
	s_or_b32 exec_lo, exec_lo, s14
	v_and_b32_sdwa v10, v19, v39 dst_sel:DWORD dst_unused:UNUSED_PAD src0_sel:WORD_1 src1_sel:DWORD
	v_mov_b32_e32 v99, 0
	v_mov_b32_e32 v100, 0
	s_mov_b32 s14, exec_lo
	v_cmpx_ne_u16_e32 0, v10
	s_cbranch_execz .LBB366_969
; %bb.962:                              ;   in Loop: Header=BB366_545 Depth=1
	v_bfrev_b32_e32 v100, 1
	s_mov_b32 s15, exec_lo
	v_cmpx_ne_u16_e32 0x80, v10
	s_cbranch_execz .LBB366_968
; %bb.963:                              ;   in Loop: Header=BB366_545 Depth=1
	v_bfe_u32 v98, v19, 16, 7
	v_mov_b32_e32 v100, 0x7f800001
	s_mov_b32 s16, exec_lo
	v_cmpx_ne_u32_e32 0x7f, v98
	s_cbranch_execz .LBB366_967
; %bb.964:                              ;   in Loop: Header=BB366_545 Depth=1
	v_and_b32_sdwa v10, v19, v40 dst_sel:DWORD dst_unused:UNUSED_PAD src0_sel:WORD_1 src1_sel:DWORD
	v_lshrrev_b32_e32 v21, 3, v98
	s_mov_b32 s17, exec_lo
	v_cmpx_gt_u32_e32 8, v98
; %bb.965:                              ;   in Loop: Header=BB366_545 Depth=1
	v_ffbh_u32_e32 v21, v10
	v_min_u32_e32 v21, 32, v21
	v_subrev_nc_u32_e32 v98, 28, v21
	v_sub_nc_u32_e32 v21, 29, v21
	v_lshlrev_b64 v[100:101], v98, v[10:11]
	v_and_b32_e32 v10, 7, v100
; %bb.966:                              ;   in Loop: Header=BB366_545 Depth=1
	s_or_b32 exec_lo, exec_lo, s17
	v_lshlrev_b32_sdwa v98, v41, v19 dst_sel:DWORD dst_unused:UNUSED_PAD src0_sel:DWORD src1_sel:WORD_1
	v_lshlrev_b32_e32 v10, 20, v10
	v_lshl_add_u32 v21, v21, 23, 0x3c000000
	v_and_b32_e32 v98, 0x80000000, v98
	v_or3_b32 v100, v10, v98, v21
.LBB366_967:                            ;   in Loop: Header=BB366_545 Depth=1
	s_or_b32 exec_lo, exec_lo, s16
.LBB366_968:                            ;   in Loop: Header=BB366_545 Depth=1
	s_or_b32 exec_lo, exec_lo, s15
.LBB366_969:                            ;   in Loop: Header=BB366_545 Depth=1
	s_or_b32 exec_lo, exec_lo, s14
	s_mov_b32 s14, exec_lo
	v_cmpx_lt_u64_e64 s[4:5], v[18:19]
	s_cbranch_execz .LBB366_977
; %bb.970:                              ;   in Loop: Header=BB366_545 Depth=1
	v_cmp_ne_u32_sdwa s1, v19, v37 src0_sel:BYTE_3 src1_sel:DWORD
	v_bfrev_b32_e32 v99, 1
	s_and_saveexec_b32 s15, s1
	s_cbranch_execz .LBB366_976
; %bb.971:                              ;   in Loop: Header=BB366_545 Depth=1
	v_bfe_u32 v21, v19, 24, 7
	v_mov_b32_e32 v99, 0x7f800001
	s_mov_b32 s16, exec_lo
	v_cmpx_ne_u32_e32 0x7f, v21
	s_cbranch_execz .LBB366_975
; %bb.972:                              ;   in Loop: Header=BB366_545 Depth=1
	v_and_b32_sdwa v10, v19, v40 dst_sel:DWORD dst_unused:UNUSED_PAD src0_sel:BYTE_3 src1_sel:DWORD
	v_lshrrev_b32_e32 v18, 3, v21
	s_mov_b32 s17, exec_lo
	v_cmpx_gt_u32_e32 8, v21
; %bb.973:                              ;   in Loop: Header=BB366_545 Depth=1
	v_ffbh_u32_e32 v18, v10
	v_min_u32_e32 v18, 32, v18
	v_subrev_nc_u32_e32 v21, 28, v18
	v_sub_nc_u32_e32 v18, 29, v18
	v_lshlrev_b64 v[98:99], v21, v[10:11]
	v_and_b32_e32 v10, 7, v98
; %bb.974:                              ;   in Loop: Header=BB366_545 Depth=1
	s_or_b32 exec_lo, exec_lo, s17
	v_lshlrev_b32_sdwa v19, v41, v19 dst_sel:DWORD dst_unused:UNUSED_PAD src0_sel:DWORD src1_sel:BYTE_3
	v_lshlrev_b32_e32 v10, 20, v10
	v_lshl_add_u32 v18, v18, 23, 0x3c000000
	v_and_b32_e32 v19, 0x80000000, v19
	v_or3_b32 v99, v10, v19, v18
.LBB366_975:                            ;   in Loop: Header=BB366_545 Depth=1
	s_or_b32 exec_lo, exec_lo, s16
.LBB366_976:                            ;   in Loop: Header=BB366_545 Depth=1
	s_or_b32 exec_lo, exec_lo, s15
.LBB366_977:                            ;   in Loop: Header=BB366_545 Depth=1
	s_or_b32 exec_lo, exec_lo, s14
	v_mul_f32_e32 v10, s9, v20
	v_mul_f32_e32 v18, s9, v97
	;; [unrolled: 1-line block ×4, first 2 shown]
	v_bfe_u32 v21, v10, 16, 1
	v_or_b32_e32 v94, 0x400000, v10
	v_bfe_u32 v96, v18, 16, 1
	v_cmp_u_f32_e64 s1, v10, v10
	v_or_b32_e32 v97, 0x400000, v18
	v_add3_u32 v21, v21, v10, 0x7fff
	v_bfe_u32 v98, v19, 16, 1
	v_add3_u32 v96, v96, v18, 0x7fff
	v_or_b32_e32 v101, 0x400000, v19
	v_bfe_u32 v102, v20, 16, 1
	v_cndmask_b32_e64 v10, v21, v94, s1
	v_cmp_u_f32_e64 s1, v18, v18
	v_add3_u32 v98, v98, v19, 0x7fff
	v_lshrrev_b32_e32 v94, 16, v10
	v_cndmask_b32_e64 v18, v96, v97, s1
	v_cmp_u_f32_e64 s1, v19, v19
	v_mul_f32_e32 v10, s9, v95
	v_add3_u32 v95, v102, v20, 0x7fff
	v_or_b32_e32 v96, 0x400000, v20
	v_lshrrev_b32_e32 v21, 16, v18
	v_cndmask_b32_e64 v19, v98, v101, s1
	v_bfe_u32 v18, v10, 16, 1
	v_cmp_u_f32_e64 s1, v20, v20
	v_mul_f32_e32 v20, s9, v93
	v_mul_f32_e32 v93, s9, v100
	v_lshrrev_b32_e32 v98, 16, v19
	v_add3_u32 v18, v18, v10, 0x7fff
	v_cndmask_b32_e64 v19, v95, v96, s1
	v_or_b32_e32 v95, 0x400000, v10
	v_bfe_u32 v97, v20, 16, 1
	v_cmp_u_f32_e64 s1, v10, v10
	v_mul_f32_e32 v96, s9, v99
	v_bfe_u32 v99, v93, 16, 1
	v_or_b32_e32 v100, 0x400000, v93
	v_cndmask_b32_e64 v10, v18, v95, s1
	v_add3_u32 v95, v97, v20, 0x7fff
	v_or_b32_e32 v97, 0x400000, v20
	v_cmp_u_f32_e64 s1, v20, v20
	v_bfe_u32 v18, v96, 16, 1
	v_add3_u32 v99, v99, v93, 0x7fff
	v_or_b32_e32 v101, 0x400000, v96
	v_cndmask_b32_e64 v20, v95, v97, s1
	v_cmp_u_f32_e64 s1, v93, v93
	v_add3_u32 v18, v18, v96, 0x7fff
	v_cndmask_b32_e64 v93, v99, v100, s1
	v_cmp_u_f32_e64 s1, v96, v96
	v_lshrrev_b32_e32 v99, 16, v19
	v_lshrrev_b32_e32 v100, 16, v20
	;; [unrolled: 1-line block ×3, first 2 shown]
	v_cndmask_b32_e64 v18, v18, v101, s1
	v_lshrrev_b32_e32 v101, 16, v10
	v_lshrrev_b32_e32 v97, 16, v18
	s_and_saveexec_b32 s14, vcc_lo
	s_cbranch_execz .LBB366_979
; %bb.978:                              ;   in Loop: Header=BB366_545 Depth=1
	v_cmp_gt_i32_e64 s1, s27, v50
	v_cndmask_b32_e64 v100, 0, v100, s1
	v_cmp_gt_i32_e64 s1, s27, v61
	v_cndmask_b32_e64 v101, 0, v101, s1
	;; [unrolled: 2-line block ×8, first 2 shown]
.LBB366_979:                            ;   in Loop: Header=BB366_545 Depth=1
	s_or_b32 exec_lo, exec_lo, s14
	global_load_dwordx2 v[16:17], v[16:17], off offset:1792
	v_mov_b32_e32 v93, 0
	v_mov_b32_e32 v20, 0
	s_waitcnt vmcnt(0)
	v_cmp_ne_u16_sdwa s1, v16, v11 src0_sel:BYTE_0 src1_sel:DWORD
	s_and_saveexec_b32 s14, s1
	s_cbranch_execz .LBB366_985
; %bb.980:                              ;   in Loop: Header=BB366_545 Depth=1
	v_cmp_ne_u16_sdwa s1, v16, v37 src0_sel:BYTE_0 src1_sel:DWORD
	v_bfrev_b32_e32 v20, 1
	s_and_saveexec_b32 s15, s1
	s_cbranch_execz .LBB366_984
; %bb.981:                              ;   in Loop: Header=BB366_545 Depth=1
	v_and_b32_e32 v10, 0x7f, v16
	v_mov_b32_e32 v20, 0x7f800001
	s_mov_b32 s16, exec_lo
	v_cmpx_ne_u32_e32 0x7f, v10
	s_cbranch_execz .LBB366_983
; %bb.982:                              ;   in Loop: Header=BB366_545 Depth=1
	v_and_b32_e32 v18, 7, v16
	v_lshrrev_b32_e32 v19, 3, v10
	v_cmp_gt_u32_e64 s1, 8, v10
	v_ffbh_u32_e32 v18, v18
	v_min_u32_e32 v18, 32, v18
	v_subrev_nc_u32_e32 v20, 28, v18
	v_sub_nc_u32_e32 v18, 29, v18
	v_cndmask_b32_e64 v10, v19, v18, s1
	v_cndmask_b32_e64 v18, 0, v20, s1
	v_lshl_add_u32 v10, v10, 23, 0x3c000000
	v_lshlrev_b64 v[18:19], v18, v[16:17]
	v_lshlrev_b32_e32 v19, 24, v16
	v_lshlrev_b32_e32 v18, 20, v18
	v_and_b32_e32 v19, 0x80000000, v19
	v_and_b32_e32 v18, 0x700000, v18
	v_or3_b32 v20, v18, v19, v10
.LBB366_983:                            ;   in Loop: Header=BB366_545 Depth=1
	s_or_b32 exec_lo, exec_lo, s16
.LBB366_984:                            ;   in Loop: Header=BB366_545 Depth=1
	s_or_b32 exec_lo, exec_lo, s15
.LBB366_985:                            ;   in Loop: Header=BB366_545 Depth=1
	s_or_b32 exec_lo, exec_lo, s14
	v_cmp_ne_u16_sdwa s1, v16, v11 src0_sel:BYTE_1 src1_sel:DWORD
	s_and_saveexec_b32 s14, s1
	s_cbranch_execz .LBB366_993
; %bb.986:                              ;   in Loop: Header=BB366_545 Depth=1
	v_cmp_ne_u16_sdwa s1, v16, v37 src0_sel:BYTE_1 src1_sel:DWORD
	v_bfrev_b32_e32 v93, 1
	s_and_saveexec_b32 s15, s1
	s_cbranch_execz .LBB366_992
; %bb.987:                              ;   in Loop: Header=BB366_545 Depth=1
	v_and_b32_sdwa v10, v38, v16 dst_sel:DWORD dst_unused:UNUSED_PAD src0_sel:DWORD src1_sel:BYTE_1
	v_mov_b32_e32 v93, 0x7f800001
	s_mov_b32 s16, exec_lo
	v_and_b32_e32 v19, 0x7f, v10
	v_cmpx_ne_u32_e32 0x7f, v19
	s_cbranch_execz .LBB366_991
; %bb.988:                              ;   in Loop: Header=BB366_545 Depth=1
	v_and_b32_e32 v10, 7, v10
	v_lshrrev_b32_e32 v18, 3, v19
	s_mov_b32 s17, exec_lo
	v_cmpx_gt_u32_e32 8, v19
; %bb.989:                              ;   in Loop: Header=BB366_545 Depth=1
	v_ffbh_u32_e32 v18, v10
	v_min_u32_e32 v18, 32, v18
	v_subrev_nc_u32_e32 v19, 28, v18
	v_sub_nc_u32_e32 v18, 29, v18
	v_lshlrev_b64 v[102:103], v19, v[10:11]
	v_and_b32_e32 v10, 7, v102
; %bb.990:                              ;   in Loop: Header=BB366_545 Depth=1
	s_or_b32 exec_lo, exec_lo, s17
	v_lshlrev_b32_e32 v19, 16, v16
	v_lshlrev_b32_e32 v10, 20, v10
	v_lshl_add_u32 v18, v18, 23, 0x3c000000
	v_and_b32_e32 v19, 0x80000000, v19
	v_or3_b32 v93, v10, v19, v18
.LBB366_991:                            ;   in Loop: Header=BB366_545 Depth=1
	s_or_b32 exec_lo, exec_lo, s16
.LBB366_992:                            ;   in Loop: Header=BB366_545 Depth=1
	s_or_b32 exec_lo, exec_lo, s15
.LBB366_993:                            ;   in Loop: Header=BB366_545 Depth=1
	s_or_b32 exec_lo, exec_lo, s14
	v_and_b32_sdwa v10, v16, v39 dst_sel:DWORD dst_unused:UNUSED_PAD src0_sel:WORD_1 src1_sel:DWORD
	v_mov_b32_e32 v102, 0
	v_mov_b32_e32 v95, 0
	s_mov_b32 s14, exec_lo
	v_cmpx_ne_u16_e32 0, v10
	s_cbranch_execz .LBB366_1001
; %bb.994:                              ;   in Loop: Header=BB366_545 Depth=1
	v_bfrev_b32_e32 v95, 1
	s_mov_b32 s15, exec_lo
	v_cmpx_ne_u16_e32 0x80, v10
	s_cbranch_execz .LBB366_1000
; %bb.995:                              ;   in Loop: Header=BB366_545 Depth=1
	v_bfe_u32 v19, v16, 16, 7
	v_mov_b32_e32 v95, 0x7f800001
	s_mov_b32 s16, exec_lo
	v_cmpx_ne_u32_e32 0x7f, v19
	s_cbranch_execz .LBB366_999
; %bb.996:                              ;   in Loop: Header=BB366_545 Depth=1
	v_and_b32_sdwa v10, v16, v40 dst_sel:DWORD dst_unused:UNUSED_PAD src0_sel:WORD_1 src1_sel:DWORD
	v_lshrrev_b32_e32 v18, 3, v19
	s_mov_b32 s17, exec_lo
	v_cmpx_gt_u32_e32 8, v19
; %bb.997:                              ;   in Loop: Header=BB366_545 Depth=1
	v_ffbh_u32_e32 v18, v10
	v_min_u32_e32 v18, 32, v18
	v_subrev_nc_u32_e32 v19, 28, v18
	v_sub_nc_u32_e32 v18, 29, v18
	v_lshlrev_b64 v[103:104], v19, v[10:11]
	v_and_b32_e32 v10, 7, v103
; %bb.998:                              ;   in Loop: Header=BB366_545 Depth=1
	s_or_b32 exec_lo, exec_lo, s17
	v_lshlrev_b32_sdwa v19, v41, v16 dst_sel:DWORD dst_unused:UNUSED_PAD src0_sel:DWORD src1_sel:WORD_1
	v_lshlrev_b32_e32 v10, 20, v10
	v_lshl_add_u32 v18, v18, 23, 0x3c000000
	v_and_b32_e32 v19, 0x80000000, v19
	v_or3_b32 v95, v10, v19, v18
.LBB366_999:                            ;   in Loop: Header=BB366_545 Depth=1
	s_or_b32 exec_lo, exec_lo, s16
.LBB366_1000:                           ;   in Loop: Header=BB366_545 Depth=1
	s_or_b32 exec_lo, exec_lo, s15
.LBB366_1001:                           ;   in Loop: Header=BB366_545 Depth=1
	s_or_b32 exec_lo, exec_lo, s14
	s_mov_b32 s14, exec_lo
	v_cmpx_lt_u32_e32 0xffffff, v16
	s_cbranch_execz .LBB366_1009
; %bb.1002:                             ;   in Loop: Header=BB366_545 Depth=1
	v_cmp_ne_u32_sdwa s1, v16, v37 src0_sel:BYTE_3 src1_sel:DWORD
	v_bfrev_b32_e32 v102, 1
	s_and_saveexec_b32 s15, s1
	s_cbranch_execz .LBB366_1008
; %bb.1003:                             ;   in Loop: Header=BB366_545 Depth=1
	v_bfe_u32 v19, v16, 24, 7
	v_mov_b32_e32 v102, 0x7f800001
	s_mov_b32 s16, exec_lo
	v_cmpx_ne_u32_e32 0x7f, v19
	s_cbranch_execz .LBB366_1007
; %bb.1004:                             ;   in Loop: Header=BB366_545 Depth=1
	v_and_b32_sdwa v10, v16, v40 dst_sel:DWORD dst_unused:UNUSED_PAD src0_sel:BYTE_3 src1_sel:DWORD
	v_lshrrev_b32_e32 v18, 3, v19
	s_mov_b32 s17, exec_lo
	v_cmpx_gt_u32_e32 8, v19
; %bb.1005:                             ;   in Loop: Header=BB366_545 Depth=1
	v_ffbh_u32_e32 v18, v10
	v_min_u32_e32 v18, 32, v18
	v_subrev_nc_u32_e32 v19, 28, v18
	v_sub_nc_u32_e32 v18, 29, v18
	v_lshlrev_b64 v[102:103], v19, v[10:11]
	v_and_b32_e32 v10, 7, v102
; %bb.1006:                             ;   in Loop: Header=BB366_545 Depth=1
	s_or_b32 exec_lo, exec_lo, s17
	v_lshlrev_b32_sdwa v19, v41, v16 dst_sel:DWORD dst_unused:UNUSED_PAD src0_sel:DWORD src1_sel:BYTE_3
	v_lshlrev_b32_e32 v10, 20, v10
	v_lshl_add_u32 v18, v18, 23, 0x3c000000
	v_and_b32_e32 v19, 0x80000000, v19
	v_or3_b32 v102, v10, v19, v18
.LBB366_1007:                           ;   in Loop: Header=BB366_545 Depth=1
	s_or_b32 exec_lo, exec_lo, s16
.LBB366_1008:                           ;   in Loop: Header=BB366_545 Depth=1
	s_or_b32 exec_lo, exec_lo, s15
.LBB366_1009:                           ;   in Loop: Header=BB366_545 Depth=1
	s_or_b32 exec_lo, exec_lo, s14
	v_mov_b32_e32 v10, v17
	v_cmp_ne_u16_sdwa s1, v17, v11 src0_sel:BYTE_0 src1_sel:DWORD
	v_mov_b32_e32 v18, 0
	v_mov_b32_e32 v103, 0
	s_and_saveexec_b32 s14, s1
	s_cbranch_execz .LBB366_1015
; %bb.1010:                             ;   in Loop: Header=BB366_545 Depth=1
	v_cmp_ne_u16_sdwa s1, v17, v37 src0_sel:BYTE_0 src1_sel:DWORD
	v_bfrev_b32_e32 v103, 1
	s_and_saveexec_b32 s15, s1
	s_cbranch_execz .LBB366_1014
; %bb.1011:                             ;   in Loop: Header=BB366_545 Depth=1
	v_and_b32_e32 v19, 0x7f, v17
	v_mov_b32_e32 v103, 0x7f800001
	s_mov_b32 s16, exec_lo
	v_cmpx_ne_u32_e32 0x7f, v19
	s_cbranch_execz .LBB366_1013
; %bb.1012:                             ;   in Loop: Header=BB366_545 Depth=1
	v_and_b32_e32 v103, 7, v17
	v_lshrrev_b32_e32 v104, 3, v19
	v_cmp_gt_u32_e64 s1, 8, v19
	v_ffbh_u32_e32 v103, v103
	v_min_u32_e32 v103, 32, v103
	v_subrev_nc_u32_e32 v105, 28, v103
	v_sub_nc_u32_e32 v103, 29, v103
	v_cndmask_b32_e64 v19, v104, v103, s1
	v_cndmask_b32_e64 v103, 0, v105, s1
	v_lshl_add_u32 v19, v19, 23, 0x3c000000
	v_lshlrev_b64 v[103:104], v103, v[10:11]
	v_lshlrev_b32_e32 v104, 24, v10
	v_lshlrev_b32_e32 v103, 20, v103
	v_and_b32_e32 v104, 0x80000000, v104
	v_and_b32_e32 v103, 0x700000, v103
	v_or3_b32 v103, v103, v104, v19
.LBB366_1013:                           ;   in Loop: Header=BB366_545 Depth=1
	s_or_b32 exec_lo, exec_lo, s16
.LBB366_1014:                           ;   in Loop: Header=BB366_545 Depth=1
	s_or_b32 exec_lo, exec_lo, s15
.LBB366_1015:                           ;   in Loop: Header=BB366_545 Depth=1
	s_or_b32 exec_lo, exec_lo, s14
	v_cmp_ne_u16_sdwa s1, v10, v11 src0_sel:BYTE_1 src1_sel:DWORD
	s_and_saveexec_b32 s14, s1
	s_cbranch_execz .LBB366_1023
; %bb.1016:                             ;   in Loop: Header=BB366_545 Depth=1
	v_cmp_ne_u16_sdwa s1, v10, v37 src0_sel:BYTE_1 src1_sel:DWORD
	v_bfrev_b32_e32 v18, 1
	s_and_saveexec_b32 s15, s1
	s_cbranch_execz .LBB366_1022
; %bb.1017:                             ;   in Loop: Header=BB366_545 Depth=1
	v_and_b32_sdwa v19, v38, v10 dst_sel:DWORD dst_unused:UNUSED_PAD src0_sel:DWORD src1_sel:BYTE_1
	v_mov_b32_e32 v18, 0x7f800001
	s_mov_b32 s16, exec_lo
	v_and_b32_e32 v105, 0x7f, v19
	v_cmpx_ne_u32_e32 0x7f, v105
	s_cbranch_execz .LBB366_1021
; %bb.1018:                             ;   in Loop: Header=BB366_545 Depth=1
	v_and_b32_e32 v18, 7, v19
	v_mov_b32_e32 v19, v11
	v_lshrrev_b32_e32 v104, 3, v105
	s_mov_b32 s17, exec_lo
	v_cmpx_gt_u32_e32 8, v105
; %bb.1019:                             ;   in Loop: Header=BB366_545 Depth=1
	v_ffbh_u32_e32 v104, v18
	v_min_u32_e32 v104, 32, v104
	v_subrev_nc_u32_e32 v105, 28, v104
	v_sub_nc_u32_e32 v104, 29, v104
	v_lshlrev_b64 v[18:19], v105, v[18:19]
	v_and_b32_e32 v18, 7, v18
; %bb.1020:                             ;   in Loop: Header=BB366_545 Depth=1
	s_or_b32 exec_lo, exec_lo, s17
	v_lshlrev_b32_e32 v10, 16, v10
	v_lshlrev_b32_e32 v18, 20, v18
	v_lshl_add_u32 v19, v104, 23, 0x3c000000
	v_and_b32_e32 v10, 0x80000000, v10
	v_or3_b32 v18, v18, v10, v19
.LBB366_1021:                           ;   in Loop: Header=BB366_545 Depth=1
	s_or_b32 exec_lo, exec_lo, s16
.LBB366_1022:                           ;   in Loop: Header=BB366_545 Depth=1
	s_or_b32 exec_lo, exec_lo, s15
.LBB366_1023:                           ;   in Loop: Header=BB366_545 Depth=1
	s_or_b32 exec_lo, exec_lo, s14
	v_and_b32_sdwa v10, v17, v39 dst_sel:DWORD dst_unused:UNUSED_PAD src0_sel:WORD_1 src1_sel:DWORD
	v_mov_b32_e32 v19, 0
	v_mov_b32_e32 v104, 0
	s_mov_b32 s14, exec_lo
	v_cmpx_ne_u16_e32 0, v10
	s_cbranch_execz .LBB366_1031
; %bb.1024:                             ;   in Loop: Header=BB366_545 Depth=1
	v_bfrev_b32_e32 v104, 1
	s_mov_b32 s15, exec_lo
	v_cmpx_ne_u16_e32 0x80, v10
	s_cbranch_execz .LBB366_1030
; %bb.1025:                             ;   in Loop: Header=BB366_545 Depth=1
	v_bfe_u32 v105, v17, 16, 7
	v_mov_b32_e32 v104, 0x7f800001
	s_mov_b32 s16, exec_lo
	v_cmpx_ne_u32_e32 0x7f, v105
	s_cbranch_execz .LBB366_1029
; %bb.1026:                             ;   in Loop: Header=BB366_545 Depth=1
	v_and_b32_sdwa v10, v17, v40 dst_sel:DWORD dst_unused:UNUSED_PAD src0_sel:WORD_1 src1_sel:DWORD
	v_lshrrev_b32_e32 v104, 3, v105
	s_mov_b32 s17, exec_lo
	v_cmpx_gt_u32_e32 8, v105
; %bb.1027:                             ;   in Loop: Header=BB366_545 Depth=1
	v_ffbh_u32_e32 v104, v10
	v_min_u32_e32 v104, 32, v104
	v_subrev_nc_u32_e32 v105, 28, v104
	v_sub_nc_u32_e32 v104, 29, v104
	v_lshlrev_b64 v[105:106], v105, v[10:11]
	v_and_b32_e32 v10, 7, v105
; %bb.1028:                             ;   in Loop: Header=BB366_545 Depth=1
	s_or_b32 exec_lo, exec_lo, s17
	v_lshlrev_b32_sdwa v105, v41, v17 dst_sel:DWORD dst_unused:UNUSED_PAD src0_sel:DWORD src1_sel:WORD_1
	v_lshlrev_b32_e32 v10, 20, v10
	v_lshl_add_u32 v104, v104, 23, 0x3c000000
	v_and_b32_e32 v105, 0x80000000, v105
	v_or3_b32 v104, v10, v105, v104
.LBB366_1029:                           ;   in Loop: Header=BB366_545 Depth=1
	s_or_b32 exec_lo, exec_lo, s16
.LBB366_1030:                           ;   in Loop: Header=BB366_545 Depth=1
	s_or_b32 exec_lo, exec_lo, s15
.LBB366_1031:                           ;   in Loop: Header=BB366_545 Depth=1
	s_or_b32 exec_lo, exec_lo, s14
	s_mov_b32 s14, exec_lo
	v_cmpx_lt_u64_e64 s[4:5], v[16:17]
	s_cbranch_execz .LBB366_1039
; %bb.1032:                             ;   in Loop: Header=BB366_545 Depth=1
	v_cmp_ne_u32_sdwa s1, v17, v37 src0_sel:BYTE_3 src1_sel:DWORD
	v_bfrev_b32_e32 v19, 1
	s_and_saveexec_b32 s15, s1
	s_cbranch_execz .LBB366_1038
; %bb.1033:                             ;   in Loop: Header=BB366_545 Depth=1
	v_bfe_u32 v105, v17, 24, 7
	v_mov_b32_e32 v19, 0x7f800001
	s_mov_b32 s16, exec_lo
	v_cmpx_ne_u32_e32 0x7f, v105
	s_cbranch_execz .LBB366_1037
; %bb.1034:                             ;   in Loop: Header=BB366_545 Depth=1
	v_and_b32_sdwa v10, v17, v40 dst_sel:DWORD dst_unused:UNUSED_PAD src0_sel:BYTE_3 src1_sel:DWORD
	v_lshrrev_b32_e32 v16, 3, v105
	s_mov_b32 s17, exec_lo
	v_cmpx_gt_u32_e32 8, v105
; %bb.1035:                             ;   in Loop: Header=BB366_545 Depth=1
	v_ffbh_u32_e32 v16, v10
	v_min_u32_e32 v16, 32, v16
	v_subrev_nc_u32_e32 v19, 28, v16
	v_sub_nc_u32_e32 v16, 29, v16
	v_lshlrev_b64 v[105:106], v19, v[10:11]
	v_and_b32_e32 v10, 7, v105
; %bb.1036:                             ;   in Loop: Header=BB366_545 Depth=1
	s_or_b32 exec_lo, exec_lo, s17
	v_lshlrev_b32_sdwa v17, v41, v17 dst_sel:DWORD dst_unused:UNUSED_PAD src0_sel:DWORD src1_sel:BYTE_3
	v_lshlrev_b32_e32 v10, 20, v10
	v_lshl_add_u32 v16, v16, 23, 0x3c000000
	v_and_b32_e32 v17, 0x80000000, v17
	v_or3_b32 v19, v10, v17, v16
.LBB366_1037:                           ;   in Loop: Header=BB366_545 Depth=1
	s_or_b32 exec_lo, exec_lo, s16
.LBB366_1038:                           ;   in Loop: Header=BB366_545 Depth=1
	s_or_b32 exec_lo, exec_lo, s15
.LBB366_1039:                           ;   in Loop: Header=BB366_545 Depth=1
	s_or_b32 exec_lo, exec_lo, s14
	v_mul_f32_e32 v10, s9, v18
	v_mul_f32_e32 v16, s9, v103
	;; [unrolled: 1-line block ×5, first 2 shown]
	v_bfe_u32 v95, v10, 16, 1
	v_or_b32_e32 v102, 0x400000, v10
	v_bfe_u32 v103, v16, 16, 1
	v_cmp_u_f32_e64 s1, v10, v10
	v_or_b32_e32 v105, 0x400000, v16
	v_add3_u32 v95, v95, v10, 0x7fff
	v_bfe_u32 v106, v17, 16, 1
	v_add3_u32 v103, v103, v16, 0x7fff
	v_or_b32_e32 v107, 0x400000, v17
	v_bfe_u32 v108, v18, 16, 1
	v_cndmask_b32_e64 v10, v95, v102, s1
	v_cmp_u_f32_e64 s1, v16, v16
	v_add3_u32 v106, v106, v17, 0x7fff
	v_or_b32_e32 v102, 0x400000, v18
	v_add3_u32 v95, v108, v18, 0x7fff
	v_mul_f32_e32 v20, s9, v20
	v_cndmask_b32_e64 v16, v103, v105, s1
	v_cmp_u_f32_e64 s1, v17, v17
	v_bfe_u32 v103, v93, 16, 1
	v_mul_f32_e32 v19, s9, v19
	v_lshrrev_b32_e32 v10, 16, v10
	v_lshrrev_b32_e32 v16, 16, v16
	v_cndmask_b32_e64 v17, v106, v107, s1
	v_cmp_u_f32_e64 s1, v18, v18
	v_or_b32_e32 v107, 0x400000, v19
	v_lshrrev_b32_e32 v17, 16, v17
	v_cndmask_b32_e64 v18, v95, v102, s1
	v_mul_f32_e32 v95, s9, v104
	v_add3_u32 v102, v103, v93, 0x7fff
	v_or_b32_e32 v103, 0x400000, v93
	v_bfe_u32 v104, v20, 16, 1
	v_cmp_u_f32_e64 s1, v93, v93
	v_bfe_u32 v105, v95, 16, 1
	v_or_b32_e32 v106, 0x400000, v95
	v_cndmask_b32_e64 v93, v102, v103, s1
	v_add3_u32 v103, v104, v20, 0x7fff
	v_or_b32_e32 v104, 0x400000, v20
	v_cmp_u_f32_e64 s1, v20, v20
	v_bfe_u32 v102, v19, 16, 1
	v_add3_u32 v105, v105, v95, 0x7fff
	v_lshrrev_b32_e32 v20, 16, v18
	v_lshrrev_b32_e32 v93, 16, v93
	v_cndmask_b32_e64 v103, v103, v104, s1
	v_cmp_u_f32_e64 s1, v95, v95
	v_add3_u32 v102, v102, v19, 0x7fff
	v_lshrrev_b32_e32 v95, 16, v103
	v_cndmask_b32_e64 v104, v105, v106, s1
	v_cmp_u_f32_e64 s1, v19, v19
	v_lshrrev_b32_e32 v19, 16, v104
	v_cndmask_b32_e64 v102, v102, v107, s1
	v_lshrrev_b32_e32 v18, 16, v102
	s_and_saveexec_b32 s1, vcc_lo
	s_cbranch_execz .LBB366_544
; %bb.1040:                             ;   in Loop: Header=BB366_545 Depth=1
	v_cmp_gt_i32_e32 vcc_lo, s27, v50
	v_cndmask_b32_e32 v95, 0, v95, vcc_lo
	v_cmp_gt_i32_e32 vcc_lo, s27, v61
	v_cndmask_b32_e32 v93, 0, v93, vcc_lo
	;; [unrolled: 2-line block ×8, first 2 shown]
	s_branch .LBB366_544
.LBB366_1041:
	s_or_b32 exec_lo, exec_lo, s13
	v_mov_b32_e32 v23, v109
	v_mov_b32_e32 v24, v110
	;; [unrolled: 1-line block ×3, first 2 shown]
.LBB366_1042:
	s_or_b32 exec_lo, exec_lo, s3
	ds_bpermute_b32 v0, v26, v33
	ds_bpermute_b32 v1, v26, v34
	;; [unrolled: 1-line block ×8, first 2 shown]
	v_lshrrev_b32_e32 v8, 1, v25
	v_lshlrev_b32_e32 v10, 9, v35
	v_and_b32_e32 v15, 0x3c1, v23
	s_mov_b32 s1, exec_lo
	s_waitcnt lgkmcnt(0)
	s_waitcnt_vscnt null, 0x0
	v_lshl_add_u32 v9, v8, 2, 0x120
	s_barrier
	buffer_gl0_inv
	v_add_f32_e32 v7, v33, v0
	v_add_f32_e32 v6, v34, v1
	;; [unrolled: 1-line block ×8, first 2 shown]
	v_cmpx_eq_u32_e32 64, v15
	s_cbranch_execz .LBB366_1044
; %bb.1043:
	v_add_nc_u32_e32 v11, v9, v10
	v_add_nc_u32_e32 v12, 0xfffffc00, v11
	;; [unrolled: 1-line block ×9, first 2 shown]
	ds_write_b32 v12, v7
	ds_write_b32 v13, v6
	;; [unrolled: 1-line block ×8, first 2 shown]
.LBB366_1044:
	s_or_b32 exec_lo, exec_lo, s1
	v_lshlrev_b32_e32 v8, 2, v8
	s_mov_b32 s3, exec_lo
	v_cmp_eq_u32_e32 vcc_lo, 0, v24
	s_waitcnt lgkmcnt(0)
	s_barrier
	v_add3_u32 v8, 0x120, v10, v8
	buffer_gl0_inv
	v_cmpx_gt_u32_e32 64, v23
	s_cbranch_execz .LBB366_1055
; %bb.1045:
	s_and_saveexec_b32 s1, vcc_lo
	s_cbranch_execnz .LBB366_1071
; %bb.1046:
	s_or_b32 exec_lo, exec_lo, s1
	s_and_saveexec_b32 s1, vcc_lo
	s_cbranch_execnz .LBB366_1072
.LBB366_1047:
	s_or_b32 exec_lo, exec_lo, s1
	s_and_saveexec_b32 s1, vcc_lo
	s_cbranch_execnz .LBB366_1073
.LBB366_1048:
	s_or_b32 exec_lo, exec_lo, s1
	s_and_saveexec_b32 s1, vcc_lo
	s_cbranch_execnz .LBB366_1074
.LBB366_1049:
	s_or_b32 exec_lo, exec_lo, s1
	s_and_saveexec_b32 s1, vcc_lo
	s_cbranch_execnz .LBB366_1075
.LBB366_1050:
	s_or_b32 exec_lo, exec_lo, s1
	s_and_saveexec_b32 s1, vcc_lo
	s_cbranch_execnz .LBB366_1076
.LBB366_1051:
	s_or_b32 exec_lo, exec_lo, s1
	s_and_saveexec_b32 s1, vcc_lo
	s_cbranch_execnz .LBB366_1077
.LBB366_1052:
	s_or_b32 exec_lo, exec_lo, s1
	s_and_saveexec_b32 s1, vcc_lo
	s_cbranch_execz .LBB366_1054
.LBB366_1053:
	ds_read_b32 v10, v8 offset:448
	s_waitcnt lgkmcnt(0)
	v_add_f32_e32 v0, v0, v10
.LBB366_1054:
	s_or_b32 exec_lo, exec_lo, s1
.LBB366_1055:
	s_or_b32 exec_lo, exec_lo, s3
	v_and_b32_e32 v10, 0x3e1, v23
	s_mov_b32 s3, exec_lo
	s_barrier
	buffer_gl0_inv
	v_cmpx_eq_u32_e32 32, v10
	s_cbranch_execz .LBB366_1057
; %bb.1056:
	ds_write2_b32 v9, v7, v6 offset1:16
	ds_write2_b32 v9, v5, v4 offset0:32 offset1:48
	ds_write2_b32 v9, v3, v2 offset0:64 offset1:80
	;; [unrolled: 1-line block ×3, first 2 shown]
.LBB366_1057:
	s_or_b32 exec_lo, exec_lo, s3
	s_waitcnt lgkmcnt(0)
	s_barrier
	buffer_gl0_inv
	s_and_saveexec_b32 s1, s0
	s_cbranch_execz .LBB366_1068
; %bb.1058:
	s_and_saveexec_b32 s0, vcc_lo
	s_cbranch_execnz .LBB366_1078
; %bb.1059:
	s_or_b32 exec_lo, exec_lo, s0
	s_and_saveexec_b32 s0, vcc_lo
	s_cbranch_execnz .LBB366_1079
.LBB366_1060:
	s_or_b32 exec_lo, exec_lo, s0
	s_and_saveexec_b32 s0, vcc_lo
	s_cbranch_execnz .LBB366_1080
.LBB366_1061:
	s_or_b32 exec_lo, exec_lo, s0
	s_and_saveexec_b32 s0, vcc_lo
	s_cbranch_execnz .LBB366_1081
.LBB366_1062:
	s_or_b32 exec_lo, exec_lo, s0
	s_and_saveexec_b32 s0, vcc_lo
	s_cbranch_execnz .LBB366_1082
.LBB366_1063:
	s_or_b32 exec_lo, exec_lo, s0
	s_and_saveexec_b32 s0, vcc_lo
	s_cbranch_execnz .LBB366_1083
.LBB366_1064:
	s_or_b32 exec_lo, exec_lo, s0
	s_and_saveexec_b32 s0, vcc_lo
	s_cbranch_execnz .LBB366_1084
.LBB366_1065:
	s_or_b32 exec_lo, exec_lo, s0
	s_and_saveexec_b32 s0, vcc_lo
	s_cbranch_execz .LBB366_1067
.LBB366_1066:
	ds_read_b32 v8, v8 offset:448
	s_waitcnt lgkmcnt(0)
	v_add_f32_e32 v0, v0, v8
.LBB366_1067:
	s_or_b32 exec_lo, exec_lo, s0
.LBB366_1068:
	s_or_b32 exec_lo, exec_lo, s1
	s_barrier
	buffer_gl0_inv
	s_mov_b32 s0, exec_lo
	v_cmpx_eq_u32_e32 0, v10
	s_cbranch_execz .LBB366_1070
; %bb.1069:
	buffer_load_dword v8, off, s[44:47], 0 offset:84 ; 4-byte Folded Reload
	s_lshl_b32 s0, s2, 7
	s_mul_i32 s2, s7, s10
	s_ashr_i32 s1, s0, 31
	v_bfe_u32 v9, v7, 16, 1
	s_lshl_b64 s[0:1], s[0:1], 1
	v_or_b32_e32 v10, 0x400000, v7
	s_add_u32 s4, s24, s0
	s_addc_u32 s5, s25, s1
	s_ashr_i32 s3, s2, 31
	v_add3_u32 v9, v9, v7, 0x7fff
	s_lshl_b64 s[0:1], s[2:3], 1
	v_bfe_u32 v11, v6, 16, 1
	s_add_u32 s2, s4, s0
	v_cmp_u_f32_e32 vcc_lo, v7, v7
	s_addc_u32 s3, s5, s1
	s_lshl_b32 s0, s8, 7
	s_ashr_i32 s1, s0, 31
	v_cndmask_b32_e32 v7, v9, v10, vcc_lo
	s_lshl_b64 s[0:1], s[0:1], 1
	v_bfe_u32 v9, v5, 16, 1
	v_add3_u32 v10, v11, v6, 0x7fff
	v_or_b32_e32 v11, 0x400000, v6
	v_cmp_u_f32_e32 vcc_lo, v6, v6
	s_add_u32 s0, s2, s0
	s_addc_u32 s1, s3, s1
	v_cndmask_b32_e32 v6, v10, v11, vcc_lo
	v_bfe_u32 v10, v4, 16, 1
	v_cmp_u_f32_e32 vcc_lo, v5, v5
	v_or_b32_e32 v11, 0x400000, v0
	s_waitcnt vmcnt(0)
	v_lshlrev_b32_e32 v8, 1, v8
	global_store_short_d16_hi v8, v7, s[0:1]
	v_add3_u32 v7, v9, v5, 0x7fff
	v_or_b32_e32 v9, 0x400000, v5
	global_store_short_d16_hi v8, v6, s[0:1] offset:32
	v_add3_u32 v6, v10, v4, 0x7fff
	v_or_b32_e32 v10, 0x400000, v1
	v_cndmask_b32_e32 v5, v7, v9, vcc_lo
	v_bfe_u32 v7, v3, 16, 1
	v_or_b32_e32 v9, 0x400000, v4
	v_cmp_u_f32_e32 vcc_lo, v4, v4
	global_store_short_d16_hi v8, v5, s[0:1] offset:64
	v_add3_u32 v5, v7, v3, 0x7fff
	v_or_b32_e32 v7, 0x400000, v3
	v_cndmask_b32_e32 v4, v6, v9, vcc_lo
	v_bfe_u32 v6, v2, 16, 1
	v_cmp_u_f32_e32 vcc_lo, v3, v3
	v_bfe_u32 v9, v1, 16, 1
	v_add3_u32 v6, v6, v2, 0x7fff
	v_cndmask_b32_e32 v3, v5, v7, vcc_lo
	v_or_b32_e32 v7, 0x400000, v2
	v_cmp_u_f32_e32 vcc_lo, v2, v2
	v_bfe_u32 v5, v0, 16, 1
	v_add3_u32 v9, v9, v1, 0x7fff
	v_cndmask_b32_e32 v2, v6, v7, vcc_lo
	v_cmp_u_f32_e32 vcc_lo, v1, v1
	v_add3_u32 v5, v5, v0, 0x7fff
	v_cndmask_b32_e32 v1, v9, v10, vcc_lo
	v_cmp_u_f32_e32 vcc_lo, v0, v0
	v_cndmask_b32_e32 v0, v5, v11, vcc_lo
	global_store_short_d16_hi v8, v4, s[0:1] offset:96
	global_store_short_d16_hi v8, v3, s[0:1] offset:128
	global_store_short_d16_hi v8, v2, s[0:1] offset:160
	global_store_short_d16_hi v8, v1, s[0:1] offset:192
	global_store_short_d16_hi v8, v0, s[0:1] offset:224
.LBB366_1070:
	s_endpgm
.LBB366_1071:
	ds_read_b32 v10, v8
	s_waitcnt lgkmcnt(0)
	v_add_f32_e32 v7, v7, v10
	s_or_b32 exec_lo, exec_lo, s1
	s_and_saveexec_b32 s1, vcc_lo
	s_cbranch_execz .LBB366_1047
.LBB366_1072:
	ds_read_b32 v10, v8 offset:64
	s_waitcnt lgkmcnt(0)
	v_add_f32_e32 v6, v6, v10
	s_or_b32 exec_lo, exec_lo, s1
	s_and_saveexec_b32 s1, vcc_lo
	s_cbranch_execz .LBB366_1048
.LBB366_1073:
	ds_read_b32 v10, v8 offset:128
	s_waitcnt lgkmcnt(0)
	v_add_f32_e32 v5, v5, v10
	s_or_b32 exec_lo, exec_lo, s1
	s_and_saveexec_b32 s1, vcc_lo
	s_cbranch_execz .LBB366_1049
.LBB366_1074:
	ds_read_b32 v10, v8 offset:192
	s_waitcnt lgkmcnt(0)
	v_add_f32_e32 v4, v4, v10
	s_or_b32 exec_lo, exec_lo, s1
	s_and_saveexec_b32 s1, vcc_lo
	s_cbranch_execz .LBB366_1050
.LBB366_1075:
	ds_read_b32 v10, v8 offset:256
	s_waitcnt lgkmcnt(0)
	v_add_f32_e32 v3, v3, v10
	s_or_b32 exec_lo, exec_lo, s1
	s_and_saveexec_b32 s1, vcc_lo
	s_cbranch_execz .LBB366_1051
.LBB366_1076:
	ds_read_b32 v10, v8 offset:320
	s_waitcnt lgkmcnt(0)
	v_add_f32_e32 v2, v2, v10
	s_or_b32 exec_lo, exec_lo, s1
	s_and_saveexec_b32 s1, vcc_lo
	s_cbranch_execz .LBB366_1052
.LBB366_1077:
	ds_read_b32 v10, v8 offset:384
	s_waitcnt lgkmcnt(0)
	v_add_f32_e32 v1, v1, v10
	s_or_b32 exec_lo, exec_lo, s1
	s_and_saveexec_b32 s1, vcc_lo
	s_cbranch_execnz .LBB366_1053
	s_branch .LBB366_1054
.LBB366_1078:
	ds_read_b32 v9, v8
	s_waitcnt lgkmcnt(0)
	v_add_f32_e32 v7, v7, v9
	s_or_b32 exec_lo, exec_lo, s0
	s_and_saveexec_b32 s0, vcc_lo
	s_cbranch_execz .LBB366_1060
.LBB366_1079:
	ds_read_b32 v9, v8 offset:64
	s_waitcnt lgkmcnt(0)
	v_add_f32_e32 v6, v6, v9
	s_or_b32 exec_lo, exec_lo, s0
	s_and_saveexec_b32 s0, vcc_lo
	s_cbranch_execz .LBB366_1061
.LBB366_1080:
	ds_read_b32 v9, v8 offset:128
	s_waitcnt lgkmcnt(0)
	v_add_f32_e32 v5, v5, v9
	s_or_b32 exec_lo, exec_lo, s0
	s_and_saveexec_b32 s0, vcc_lo
	s_cbranch_execz .LBB366_1062
.LBB366_1081:
	ds_read_b32 v9, v8 offset:192
	s_waitcnt lgkmcnt(0)
	v_add_f32_e32 v4, v4, v9
	s_or_b32 exec_lo, exec_lo, s0
	s_and_saveexec_b32 s0, vcc_lo
	s_cbranch_execz .LBB366_1063
.LBB366_1082:
	ds_read_b32 v9, v8 offset:256
	s_waitcnt lgkmcnt(0)
	v_add_f32_e32 v3, v3, v9
	s_or_b32 exec_lo, exec_lo, s0
	s_and_saveexec_b32 s0, vcc_lo
	s_cbranch_execz .LBB366_1064
.LBB366_1083:
	ds_read_b32 v9, v8 offset:320
	s_waitcnt lgkmcnt(0)
	v_add_f32_e32 v2, v2, v9
	s_or_b32 exec_lo, exec_lo, s0
	s_and_saveexec_b32 s0, vcc_lo
	s_cbranch_execz .LBB366_1065
.LBB366_1084:
	ds_read_b32 v9, v8 offset:384
	s_waitcnt lgkmcnt(0)
	v_add_f32_e32 v1, v1, v9
	s_or_b32 exec_lo, exec_lo, s0
	s_and_saveexec_b32 s0, vcc_lo
	s_cbranch_execnz .LBB366_1066
	s_branch .LBB366_1067
	.section	.rodata,"a",@progbits
	.p2align	6, 0x0
	.amdhsa_kernel _ZN4vllm25paged_attention_v2_kernelI14__hip_bfloat16hLi128ELi16ELi128ELNS_18Fp8KVCacheDataTypeE1ELb0ELi512EEEvPfS3_PT_PKS4_PKT0_SA_ifPKiSC_iPKfiiiSE_SE_iiiii
		.amdhsa_group_segment_fixed_size 288
		.amdhsa_private_segment_fixed_size 112
		.amdhsa_kernarg_size 400
		.amdhsa_user_sgpr_count 6
		.amdhsa_user_sgpr_private_segment_buffer 1
		.amdhsa_user_sgpr_dispatch_ptr 0
		.amdhsa_user_sgpr_queue_ptr 0
		.amdhsa_user_sgpr_kernarg_segment_ptr 1
		.amdhsa_user_sgpr_dispatch_id 0
		.amdhsa_user_sgpr_flat_scratch_init 0
		.amdhsa_user_sgpr_private_segment_size 0
		.amdhsa_wavefront_size32 1
		.amdhsa_uses_dynamic_stack 0
		.amdhsa_system_sgpr_private_segment_wavefront_offset 1
		.amdhsa_system_sgpr_workgroup_id_x 1
		.amdhsa_system_sgpr_workgroup_id_y 1
		.amdhsa_system_sgpr_workgroup_id_z 1
		.amdhsa_system_sgpr_workgroup_info 0
		.amdhsa_system_vgpr_workitem_id 0
		.amdhsa_next_free_vgpr 128
		.amdhsa_next_free_sgpr 48
		.amdhsa_reserve_vcc 1
		.amdhsa_reserve_flat_scratch 0
		.amdhsa_float_round_mode_32 0
		.amdhsa_float_round_mode_16_64 0
		.amdhsa_float_denorm_mode_32 3
		.amdhsa_float_denorm_mode_16_64 3
		.amdhsa_dx10_clamp 1
		.amdhsa_ieee_mode 1
		.amdhsa_fp16_overflow 0
		.amdhsa_workgroup_processor_mode 1
		.amdhsa_memory_ordered 1
		.amdhsa_forward_progress 1
		.amdhsa_shared_vgpr_count 0
		.amdhsa_exception_fp_ieee_invalid_op 0
		.amdhsa_exception_fp_denorm_src 0
		.amdhsa_exception_fp_ieee_div_zero 0
		.amdhsa_exception_fp_ieee_overflow 0
		.amdhsa_exception_fp_ieee_underflow 0
		.amdhsa_exception_fp_ieee_inexact 0
		.amdhsa_exception_int_div_zero 0
	.end_amdhsa_kernel
	.section	.text._ZN4vllm25paged_attention_v2_kernelI14__hip_bfloat16hLi128ELi16ELi128ELNS_18Fp8KVCacheDataTypeE1ELb0ELi512EEEvPfS3_PT_PKS4_PKT0_SA_ifPKiSC_iPKfiiiSE_SE_iiiii,"axG",@progbits,_ZN4vllm25paged_attention_v2_kernelI14__hip_bfloat16hLi128ELi16ELi128ELNS_18Fp8KVCacheDataTypeE1ELb0ELi512EEEvPfS3_PT_PKS4_PKT0_SA_ifPKiSC_iPKfiiiSE_SE_iiiii,comdat
.Lfunc_end366:
	.size	_ZN4vllm25paged_attention_v2_kernelI14__hip_bfloat16hLi128ELi16ELi128ELNS_18Fp8KVCacheDataTypeE1ELb0ELi512EEEvPfS3_PT_PKS4_PKT0_SA_ifPKiSC_iPKfiiiSE_SE_iiiii, .Lfunc_end366-_ZN4vllm25paged_attention_v2_kernelI14__hip_bfloat16hLi128ELi16ELi128ELNS_18Fp8KVCacheDataTypeE1ELb0ELi512EEEvPfS3_PT_PKS4_PKT0_SA_ifPKiSC_iPKfiiiSE_SE_iiiii
                                        ; -- End function
	.set _ZN4vllm25paged_attention_v2_kernelI14__hip_bfloat16hLi128ELi16ELi128ELNS_18Fp8KVCacheDataTypeE1ELb0ELi512EEEvPfS3_PT_PKS4_PKT0_SA_ifPKiSC_iPKfiiiSE_SE_iiiii.num_vgpr, 128
	.set _ZN4vllm25paged_attention_v2_kernelI14__hip_bfloat16hLi128ELi16ELi128ELNS_18Fp8KVCacheDataTypeE1ELb0ELi512EEEvPfS3_PT_PKS4_PKT0_SA_ifPKiSC_iPKfiiiSE_SE_iiiii.num_agpr, 0
	.set _ZN4vllm25paged_attention_v2_kernelI14__hip_bfloat16hLi128ELi16ELi128ELNS_18Fp8KVCacheDataTypeE1ELb0ELi512EEEvPfS3_PT_PKS4_PKT0_SA_ifPKiSC_iPKfiiiSE_SE_iiiii.numbered_sgpr, 48
	.set _ZN4vllm25paged_attention_v2_kernelI14__hip_bfloat16hLi128ELi16ELi128ELNS_18Fp8KVCacheDataTypeE1ELb0ELi512EEEvPfS3_PT_PKS4_PKT0_SA_ifPKiSC_iPKfiiiSE_SE_iiiii.num_named_barrier, 0
	.set _ZN4vllm25paged_attention_v2_kernelI14__hip_bfloat16hLi128ELi16ELi128ELNS_18Fp8KVCacheDataTypeE1ELb0ELi512EEEvPfS3_PT_PKS4_PKT0_SA_ifPKiSC_iPKfiiiSE_SE_iiiii.private_seg_size, 112
	.set _ZN4vllm25paged_attention_v2_kernelI14__hip_bfloat16hLi128ELi16ELi128ELNS_18Fp8KVCacheDataTypeE1ELb0ELi512EEEvPfS3_PT_PKS4_PKT0_SA_ifPKiSC_iPKfiiiSE_SE_iiiii.uses_vcc, 1
	.set _ZN4vllm25paged_attention_v2_kernelI14__hip_bfloat16hLi128ELi16ELi128ELNS_18Fp8KVCacheDataTypeE1ELb0ELi512EEEvPfS3_PT_PKS4_PKT0_SA_ifPKiSC_iPKfiiiSE_SE_iiiii.uses_flat_scratch, 0
	.set _ZN4vllm25paged_attention_v2_kernelI14__hip_bfloat16hLi128ELi16ELi128ELNS_18Fp8KVCacheDataTypeE1ELb0ELi512EEEvPfS3_PT_PKS4_PKT0_SA_ifPKiSC_iPKfiiiSE_SE_iiiii.has_dyn_sized_stack, 0
	.set _ZN4vllm25paged_attention_v2_kernelI14__hip_bfloat16hLi128ELi16ELi128ELNS_18Fp8KVCacheDataTypeE1ELb0ELi512EEEvPfS3_PT_PKS4_PKT0_SA_ifPKiSC_iPKfiiiSE_SE_iiiii.has_recursion, 0
	.set _ZN4vllm25paged_attention_v2_kernelI14__hip_bfloat16hLi128ELi16ELi128ELNS_18Fp8KVCacheDataTypeE1ELb0ELi512EEEvPfS3_PT_PKS4_PKT0_SA_ifPKiSC_iPKfiiiSE_SE_iiiii.has_indirect_call, 0
	.section	.AMDGPU.csdata,"",@progbits
; Kernel info:
; codeLenInByte = 40200
; TotalNumSgprs: 50
; NumVgprs: 128
; ScratchSize: 112
; MemoryBound: 0
; FloatMode: 240
; IeeeMode: 1
; LDSByteSize: 288 bytes/workgroup (compile time only)
; SGPRBlocks: 0
; VGPRBlocks: 15
; NumSGPRsForWavesPerEU: 50
; NumVGPRsForWavesPerEU: 128
; Occupancy: 8
; WaveLimiterHint : 1
; COMPUTE_PGM_RSRC2:SCRATCH_EN: 1
; COMPUTE_PGM_RSRC2:USER_SGPR: 6
; COMPUTE_PGM_RSRC2:TRAP_HANDLER: 0
; COMPUTE_PGM_RSRC2:TGID_X_EN: 1
; COMPUTE_PGM_RSRC2:TGID_Y_EN: 1
; COMPUTE_PGM_RSRC2:TGID_Z_EN: 1
; COMPUTE_PGM_RSRC2:TIDIG_COMP_CNT: 0
	.text
	.p2align	2                               ; -- Begin function _ZN4vllm22paged_attention_kernelI14__hip_bfloat16hLi192ELi16ELi128ELNS_18Fp8KVCacheDataTypeE1ELb0ELi512EEEvPfS3_PT_PKS4_PKT0_SA_ifPKiSC_iPKfiiiSE_SE_iiiii
	.type	_ZN4vllm22paged_attention_kernelI14__hip_bfloat16hLi192ELi16ELi128ELNS_18Fp8KVCacheDataTypeE1ELb0ELi512EEEvPfS3_PT_PKS4_PKT0_SA_ifPKiSC_iPKfiiiSE_SE_iiiii,@function
_ZN4vllm22paged_attention_kernelI14__hip_bfloat16hLi192ELi16ELi128ELNS_18Fp8KVCacheDataTypeE1ELb0ELi512EEEvPfS3_PT_PKS4_PKT0_SA_ifPKiSC_iPKfiiiSE_SE_iiiii: ; @_ZN4vllm22paged_attention_kernelI14__hip_bfloat16hLi192ELi16ELi128ELNS_18Fp8KVCacheDataTypeE1ELb0ELi512EEEvPfS3_PT_PKS4_PKT0_SA_ifPKiSC_iPKfiiiSE_SE_iiiii
; %bb.0:
	s_waitcnt vmcnt(0) expcnt(0) lgkmcnt(0)
	buffer_store_dword v40, off, s[0:3], s32 offset:188 ; 4-byte Folded Spill
	buffer_store_dword v41, off, s[0:3], s32 offset:184 ; 4-byte Folded Spill
	;; [unrolled: 1-line block ×47, first 2 shown]
	buffer_store_dword v127, off, s[0:3], s32 ; 4-byte Folded Spill
	s_mov_b32 s18, s13
	s_ashr_i32 s19, s13, 31
	v_mov_b32_e32 v29, v0
	s_lshl_b64 s[4:5], s[18:19], 2
	v_mov_b32_e32 v28, v1
	v_add_co_u32 v0, vcc_lo, v16, s4
	v_add_co_ci_u32_e64 v1, null, s5, v17, vcc_lo
	buffer_store_dword v22, off, s[0:3], s32 offset:232 ; 4-byte Folded Spill
	buffer_store_dword v13, off, s[0:3], s32 offset:572 ; 4-byte Folded Spill
	v_mov_b32_e32 v36, v5
	v_mov_b32_e32 v38, v4
	flat_load_dword v37, v[0:1]
	v_mov_b32_e32 v30, v3
	v_mov_b32_e32 v32, v2
	s_lshl_b32 s20, s14, 9
	s_mov_b32 s19, exec_lo
	s_waitcnt vmcnt(0) lgkmcnt(0)
	v_cmpx_lt_i32_e64 s20, v37
	s_cbranch_execz .LBB367_1632
; %bb.1:
	v_sub_nc_u32_e32 v0, 0, v12
	s_clause 0x1
	s_load_dword s4, s[8:9], 0x10
	s_load_dword s5, s[8:9], 0x0
	s_mov_b32 s16, s15
	v_max_i32_e32 v0, v12, v0
	v_cvt_f32_u32_e32 v1, v0
	v_sub_nc_u32_e32 v2, 0, v0
	v_rcp_iflag_f32_e32 v1, v1
	s_waitcnt lgkmcnt(0)
	s_lshr_b32 s4, s4, 16
	s_cmp_lg_u32 s4, 0
	s_cselect_b32 s4, -1, 0
	v_mul_f32_e32 v1, 0x4f7ffffe, v1
	s_cmp_lg_u32 s4, 0
	s_addc_u32 s15, s5, 0
	s_mov_b32 s5, exec_lo
	v_cvt_u32_f32_e32 v1, v1
	s_abs_i32 s4, s15
	v_mul_lo_u32 v2, v2, v1
	v_mul_hi_u32 v2, v1, v2
	v_add_nc_u32_e32 v1, v1, v2
	v_mul_hi_u32 v1, s4, v1
	v_mul_lo_u32 v2, v1, v0
	v_add_nc_u32_e32 v3, 1, v1
	v_sub_nc_u32_e32 v2, s4, v2
	s_abs_i32 s4, s12
	v_sub_nc_u32_e32 v4, v2, v0
	v_cmp_ge_u32_e32 vcc_lo, v2, v0
	v_cndmask_b32_e32 v1, v1, v3, vcc_lo
	v_cndmask_b32_e32 v2, v2, v4, vcc_lo
	v_xor_b32_e32 v3, s15, v12
	v_add_nc_u32_e32 v4, 1, v1
	v_cmp_ge_u32_e32 vcc_lo, v2, v0
	v_ashrrev_i32_e32 v3, 31, v3
	v_cndmask_b32_e32 v0, v1, v4, vcc_lo
	v_xor_b32_e32 v0, v0, v3
	v_sub_nc_u32_e32 v1, v0, v3
	v_sub_nc_u32_e32 v0, 0, v1
	v_max_i32_e32 v0, v1, v0
	v_cvt_f32_u32_e32 v2, v0
	v_sub_nc_u32_e32 v3, 0, v0
	v_rcp_iflag_f32_e32 v2, v2
	v_mul_f32_e32 v2, 0x4f7ffffe, v2
	v_cvt_u32_f32_e32 v2, v2
	v_mul_lo_u32 v3, v3, v2
	v_mul_hi_u32 v3, v2, v3
	v_add_nc_u32_e32 v2, v2, v3
	v_mad_u64_u32 v[16:17], null, s4, v2, 0
	v_mov_b32_e32 v2, 0
	buffer_store_dword v2, off, s[0:3], s32 offset:576 ; 4-byte Folded Spill
	v_cmpx_ne_u64_e32 0, v[19:20]
	s_cbranch_execz .LBB367_3
; %bb.2:
	s_ashr_i32 s13, s12, 31
	s_lshl_b64 s[6:7], s[12:13], 2
	v_add_co_u32 v2, vcc_lo, v19, s6
	v_add_co_ci_u32_e64 v3, null, s7, v20, vcc_lo
	flat_load_dword v2, v[2:3]
	s_waitcnt vmcnt(0) lgkmcnt(0)
	buffer_store_dword v2, off, s[0:3], s32 offset:576 ; 4-byte Folded Spill
.LBB367_3:
	s_or_b32 exec_lo, exec_lo, s5
	v_and_b32_e32 v34, 0x3ff, v31
	v_ashrrev_i32_e32 v1, 31, v1
	v_bfe_u32 v2, v31, 1, 9
	v_and_b32_e32 v35, 1, v31
	s_ashr_i32 s5, s12, 31
	v_lshlrev_b32_e32 v19, 3, v34
	s_mul_i32 s10, s12, 0xc0
	s_mov_b32 s6, exec_lo
	buffer_store_dword v2, off, s[0:3], s32 offset:588 ; 4-byte Folded Spill
	v_cmpx_gt_u32_e32 48, v34
	s_cbranch_execz .LBB367_5
; %bb.4:
	v_mul_lo_u32 v2, v21, s18
	s_ashr_i32 s11, s10, 31
	buffer_load_dword v4, off, s[0:3], s32 offset:588 ; 4-byte Folded Reload
	s_lshl_b64 s[22:23], s[10:11], 1
	v_ashrrev_i32_e32 v3, 31, v2
	v_lshlrev_b64 v[2:3], 1, v[2:3]
	v_add_co_u32 v2, vcc_lo, v6, v2
	v_add_co_ci_u32_e64 v3, null, v7, v3, vcc_lo
	v_add_co_u32 v2, vcc_lo, v2, s22
	v_add_co_ci_u32_e64 v3, null, s23, v3, vcc_lo
	;; [unrolled: 2-line block ×3, first 2 shown]
	flat_load_dwordx2 v[2:3], v[2:3]
	s_waitcnt vmcnt(1)
	v_lshlrev_b32_e32 v4, 3, v4
	v_mad_u32_u24 v4, 0xc0, v35, v4
	s_waitcnt vmcnt(0) lgkmcnt(0)
	ds_write_b64 v4, v[2:3]
.LBB367_5:
	s_or_b32 exec_lo, exec_lo, s6
	v_mul_lo_u32 v2, v17, v0
	v_add_nc_u32_e32 v3, 15, v37
	v_add_nc_u32_e32 v5, 1, v17
	v_lshrrev_b32_e32 v21, 5, v34
	v_xor_b32_e32 v1, s5, v1
	s_lshl_b32 s7, s14, 5
	v_ashrrev_i32_e32 v4, 31, v3
	v_mbcnt_lo_u32_b32 v31, -1, 0
	v_sub_nc_u32_e32 v2, s4, v2
	s_add_i32 s4, s7, 32
	v_or_b32_e32 v16, s7, v21
	v_lshrrev_b32_e32 v4, 28, v4
                                        ; implicit-def: $vgpr12
	v_sub_nc_u32_e32 v6, v2, v0
	v_cmp_ge_u32_e32 vcc_lo, v2, v0
	v_add_nc_u32_e32 v3, v3, v4
	v_cndmask_b32_e32 v5, v17, v5, vcc_lo
	v_cndmask_b32_e32 v2, v2, v6, vcc_lo
	v_mul_lo_u32 v6, v18, s18
	v_ashrrev_i32_e32 v18, 4, v3
	v_add_nc_u32_e32 v4, 1, v5
	v_cmp_ge_u32_e32 vcc_lo, v2, v0
	v_min_i32_e32 v2, s4, v18
	v_ashrrev_i32_e32 v7, 31, v6
	v_cndmask_b32_e32 v0, v5, v4, vcc_lo
	v_cmp_ge_i32_e64 s4, v16, v2
	buffer_store_dword v2, off, s[0:3], s32 offset:236 ; 4-byte Folded Spill
	s_waitcnt lgkmcnt(0)
	s_waitcnt_vscnt null, 0x0
	v_xor_b32_e32 v0, v0, v1
	s_barrier
	buffer_gl0_inv
	v_sub_nc_u32_e32 v1, v0, v1
                                        ; implicit-def: $vgpr0
	s_and_saveexec_b32 s5, s4
	s_xor_b32 s5, exec_lo, s5
; %bb.6:
	v_mov_b32_e32 v0, 0
	v_mbcnt_lo_u32_b32 v31, -1, 0
	v_mov_b32_e32 v12, 32
                                        ; implicit-def: $vgpr2
                                        ; kill: killed $vgpr2
                                        ; implicit-def: $vgpr2
                                        ; kill: killed $vgpr2
                                        ; implicit-def: $vgpr24
                                        ; implicit-def: $vgpr8
                                        ; implicit-def: $vgpr9
; %bb.7:
	s_or_saveexec_b32 s13, s5
	s_clause 0x1
	s_load_dword s21, s[8:9], 0x14
	s_load_dword s11, s[8:9], 0x8
	v_mul_lo_u32 v23, v1, v23
	v_lshlrev_b64 v[64:65], 2, v[6:7]
	v_mov_b32_e32 v3, 0xff7fffff
	v_ashrrev_i32_e32 v17, 31, v16
	buffer_store_dword v36, off, s[0:3], s32 offset:580 ; 4-byte Folded Spill
	buffer_store_dword v38, off, s[0:3], s32 offset:584 ; 4-byte Folded Spill
	;; [unrolled: 1-line block ×5, first 2 shown]
	v_ashrrev_i32_e32 v39, 31, v23
	s_xor_b32 exec_lo, exec_lo, s13
	s_cbranch_execz .LBB367_781
; %bb.8:
	v_mul_u32_u24_e32 v0, 0xc0, v35
	buffer_store_dword v18, off, s[0:3], s32 offset:648 ; 4-byte Folded Spill
	buffer_store_dword v19, off, s[0:3], s32 offset:644 ; 4-byte Folded Spill
	;; [unrolled: 1-line block ×10, first 2 shown]
	s_ashr_i32 s17, s16, 31
	s_getpc_b64 s[8:9]
	s_add_u32 s8, s8, llvm.amdgcn.dynlds.offset.table@rel32@lo+4
	s_addc_u32 s9, s9, llvm.amdgcn.dynlds.offset.table@rel32@hi+12
	s_lshl_b64 s[24:25], s[16:17], 2
	ds_read_b128 v[1:4], v0
	ds_read_b128 v[10:13], v0 offset:16
	v_mov_b32_e32 v27, 0xff
	v_mov_b32_e32 v26, 7
	v_mov_b32_e32 v49, 24
	s_add_u32 s8, s8, s24
	s_mov_b32 s22, 0
	s_addc_u32 s9, s9, s25
	s_waitcnt lgkmcnt(0)
	v_lshlrev_b32_e32 v5, 16, v1
	v_and_b32_e32 v1, 0xffff0000, v1
	buffer_store_dword v5, off, s[0:3], s32 offset:192 ; 4-byte Folded Spill
	buffer_store_dword v1, off, s[0:3], s32 offset:196 ; 4-byte Folded Spill
	v_lshlrev_b32_e32 v1, 16, v2
	buffer_store_dword v1, off, s[0:3], s32 offset:200 ; 4-byte Folded Spill
	v_and_b32_e32 v1, 0xffff0000, v2
	buffer_store_dword v1, off, s[0:3], s32 offset:204 ; 4-byte Folded Spill
	v_lshlrev_b32_e32 v1, 16, v3
	buffer_store_dword v1, off, s[0:3], s32 offset:208 ; 4-byte Folded Spill
	v_and_b32_e32 v1, 0xffff0000, v3
	;; [unrolled: 4-line block ×7, first 2 shown]
	v_mov_b32_e32 v13, v16
	buffer_store_dword v1, off, s[0:3], s32 offset:264 ; 4-byte Folded Spill
	ds_read_b128 v[1:4], v0 offset:32
	s_waitcnt lgkmcnt(0)
	v_lshlrev_b32_e32 v5, 16, v1
	v_and_b32_e32 v1, 0xffff0000, v1
	buffer_store_dword v5, off, s[0:3], s32 offset:268 ; 4-byte Folded Spill
	buffer_store_dword v1, off, s[0:3], s32 offset:272 ; 4-byte Folded Spill
	v_lshlrev_b32_e32 v1, 16, v2
	buffer_store_dword v1, off, s[0:3], s32 offset:276 ; 4-byte Folded Spill
	v_and_b32_e32 v1, 0xffff0000, v2
	buffer_store_dword v1, off, s[0:3], s32 offset:280 ; 4-byte Folded Spill
	v_lshlrev_b32_e32 v1, 16, v3
	buffer_store_dword v1, off, s[0:3], s32 offset:284 ; 4-byte Folded Spill
	v_and_b32_e32 v1, 0xffff0000, v3
	buffer_store_dword v1, off, s[0:3], s32 offset:288 ; 4-byte Folded Spill
	v_lshlrev_b32_e32 v1, 16, v4
	buffer_store_dword v1, off, s[0:3], s32 offset:292 ; 4-byte Folded Spill
	v_and_b32_e32 v1, 0xffff0000, v4
	buffer_store_dword v1, off, s[0:3], s32 offset:296 ; 4-byte Folded Spill
	ds_read_b128 v[1:4], v0 offset:48
	s_waitcnt lgkmcnt(0)
	v_lshlrev_b32_e32 v5, 16, v1
	v_and_b32_e32 v1, 0xffff0000, v1
	buffer_store_dword v5, off, s[0:3], s32 offset:300 ; 4-byte Folded Spill
	buffer_store_dword v1, off, s[0:3], s32 offset:304 ; 4-byte Folded Spill
	v_lshlrev_b32_e32 v1, 16, v2
	buffer_store_dword v1, off, s[0:3], s32 offset:308 ; 4-byte Folded Spill
	v_and_b32_e32 v1, 0xffff0000, v2
	buffer_store_dword v1, off, s[0:3], s32 offset:312 ; 4-byte Folded Spill
	v_lshlrev_b32_e32 v1, 16, v3
	buffer_store_dword v1, off, s[0:3], s32 offset:316 ; 4-byte Folded Spill
	v_and_b32_e32 v1, 0xffff0000, v3
	buffer_store_dword v1, off, s[0:3], s32 offset:320 ; 4-byte Folded Spill
	v_lshlrev_b32_e32 v1, 16, v4
	buffer_store_dword v1, off, s[0:3], s32 offset:324 ; 4-byte Folded Spill
	v_and_b32_e32 v1, 0xffff0000, v4
	;; [unrolled: 18-line block ×8, first 2 shown]
	buffer_store_dword v1, off, s[0:3], s32 offset:520 ; 4-byte Folded Spill
	ds_read_b128 v[1:4], v0 offset:160
	s_waitcnt lgkmcnt(0)
	v_lshlrev_b32_e32 v5, 16, v1
	v_and_b32_e32 v1, 0xffff0000, v1
	buffer_store_dword v5, off, s[0:3], s32 offset:524 ; 4-byte Folded Spill
	buffer_store_dword v1, off, s[0:3], s32 offset:528 ; 4-byte Folded Spill
	v_lshlrev_b32_e32 v1, 16, v2
	v_bfe_u32 v5, v34, 1, 4
	buffer_store_dword v1, off, s[0:3], s32 offset:532 ; 4-byte Folded Spill
	v_and_b32_e32 v1, 0xffff0000, v2
	buffer_store_dword v1, off, s[0:3], s32 offset:536 ; 4-byte Folded Spill
	v_lshlrev_b32_e32 v1, 16, v3
	buffer_store_dword v1, off, s[0:3], s32 offset:540 ; 4-byte Folded Spill
	v_and_b32_e32 v1, 0xffff0000, v3
	buffer_store_dword v1, off, s[0:3], s32 offset:544 ; 4-byte Folded Spill
	v_lshlrev_b32_e32 v1, 16, v4
	buffer_store_dword v1, off, s[0:3], s32 offset:548 ; 4-byte Folded Spill
	v_and_b32_e32 v1, 0xffff0000, v4
	buffer_store_dword v1, off, s[0:3], s32 offset:552 ; 4-byte Folded Spill
	ds_read_b128 v[0:3], v0 offset:176
	s_waitcnt lgkmcnt(0)
	v_lshlrev_b32_e32 v4, 16, v0
	v_and_b32_e32 v0, 0xffff0000, v0
	v_lshlrev_b32_e32 v54, 16, v2
	v_and_b32_e32 v6, 0xffff0000, v2
	v_lshlrev_b32_e32 v7, 16, v3
	buffer_store_dword v4, off, s[0:3], s32 offset:556 ; 4-byte Folded Spill
	buffer_store_dword v0, off, s[0:3], s32 offset:560 ; 4-byte Folded Spill
	v_lshlrev_b32_e32 v0, 16, v1
	v_and_b32_e32 v2, 0xffff0000, v3
	buffer_store_dword v0, off, s[0:3], s32 offset:564 ; 4-byte Folded Spill
	v_and_b32_e32 v0, 0xffff0000, v1
	buffer_store_dword v0, off, s[0:3], s32 offset:568 ; 4-byte Folded Spill
	v_lshlrev_b64 v[0:1], 2, v[16:17]
	v_add_co_u32 v0, vcc_lo, v64, v0
	buffer_store_dword v64, off, s[0:3], s32 offset:652 ; 4-byte Folded Spill
	buffer_store_dword v65, off, s[0:3], s32 offset:656 ; 4-byte Folded Spill
	;; [unrolled: 1-line block ×7, first 2 shown]
	v_add_co_ci_u32_e64 v1, null, v65, v1, vcc_lo
	v_add_co_u32 v3, vcc_lo, v8, v23
	v_lshlrev_b32_e32 v8, 4, v5
	v_add_co_ci_u32_e64 v4, null, v9, v39, vcc_lo
	v_add_co_u32 v8, vcc_lo, v3, v8
	buffer_load_dword v3, off, s[0:3], s32 offset:576 ; 4-byte Folded Reload
	v_add_co_ci_u32_e64 v9, null, 0, v4, vcc_lo
	v_add_co_u32 v18, vcc_lo, v14, v0
	v_xor_b32_e32 v0, 1, v31
	v_add_co_ci_u32_e64 v19, null, v15, v1, vcc_lo
	v_mov_b32_e32 v1, v21
	v_cmp_gt_i32_e32 vcc_lo, 32, v0
	v_cndmask_b32_e32 v0, v31, v0, vcc_lo
	v_cmp_eq_u32_e32 vcc_lo, 0, v35
	v_lshlrev_b32_e32 v35, 2, v35
	v_lshlrev_b32_e32 v14, 2, v0
	;; [unrolled: 1-line block ×3, first 2 shown]
	v_or_b32_e32 v104, 8, v35
	v_mov_b32_e32 v21, 0
	v_add3_u32 v15, s20, v0, v5
	v_lshlrev_b32_e32 v0, 2, v5
	v_lshl_or_b32 v23, v1, 6, v0
	v_mov_b32_e32 v1, 0x80
	v_mov_b32_e32 v0, 0xffff
	s_waitcnt vmcnt(0)
	v_cmp_neq_f32_e64 s5, 0, v3
	v_mov_b32_e32 v3, 0xff7fffff
	s_branch .LBB367_10
.LBB367_9:                              ;   in Loop: Header=BB367_10 Depth=1
	s_or_b32 exec_lo, exec_lo, s17
	buffer_load_dword v4, off, s[0:3], s32 offset:236 ; 4-byte Folded Reload
	v_add_nc_u32_e32 v13, 4, v13
	v_add_co_u32 v18, s6, v18, 16
	v_add_co_ci_u32_e64 v19, null, 0, v19, s6
	v_add_nc_u32_e32 v15, 64, v15
	v_add_nc_u32_e32 v23, 0x100, v23
	s_waitcnt vmcnt(0)
	v_cmp_ge_i32_e64 s6, v13, v4
	s_or_b32 s22, s6, s22
	s_andn2_b32 exec_lo, exec_lo, s22
	s_cbranch_execz .LBB367_780
.LBB367_10:                             ; =>This Inner Loop Header: Depth=1
	flat_load_dword v4, v[18:19]
	s_waitcnt lgkmcnt(1)
	buffer_load_dword v5, off, s[0:3], s32 offset:232 ; 4-byte Folded Reload
	v_mov_b32_e32 v39, 0
	s_waitcnt vmcnt(0) lgkmcnt(0)
	v_mad_i64_i32 v[28:29], null, v4, v5, v[8:9]
	v_add_co_u32 v30, s6, v28, v35
	v_add_co_ci_u32_e64 v31, null, 0, v29, s6
	flat_load_dword v4, v[30:31]
	flat_load_dword v48, v[24:25]
	s_waitcnt vmcnt(1) lgkmcnt(1)
	v_cmp_ne_u16_sdwa s6, v4, v21 src0_sel:BYTE_0 src1_sel:DWORD
	s_and_saveexec_b32 s17, s6
	s_cbranch_execz .LBB367_18
; %bb.11:                               ;   in Loop: Header=BB367_10 Depth=1
	v_cmp_ne_u16_sdwa s6, v4, v1 src0_sel:BYTE_0 src1_sel:DWORD
	v_bfrev_b32_e32 v39, 1
	s_and_saveexec_b32 s23, s6
	s_cbranch_execz .LBB367_17
; %bb.12:                               ;   in Loop: Header=BB367_10 Depth=1
	v_and_b32_e32 v10, 0x7f, v4
	v_mov_b32_e32 v39, 0x7f800001
	s_mov_b32 s24, exec_lo
	v_cmpx_ne_u32_e32 0x7f, v10
	s_cbranch_execz .LBB367_16
; %bb.13:                               ;   in Loop: Header=BB367_10 Depth=1
	v_and_b32_e32 v20, 7, v4
	v_mov_b32_e32 v33, v21
	v_lshrrev_b32_e32 v5, 3, v10
	s_mov_b32 s25, exec_lo
	v_mov_b32_e32 v32, v20
	v_cmpx_gt_u32_e32 8, v10
; %bb.14:                               ;   in Loop: Header=BB367_10 Depth=1
	v_ffbh_u32_e32 v5, v20
	v_min_u32_e32 v5, 32, v5
	v_subrev_nc_u32_e32 v10, 28, v5
	v_sub_nc_u32_e32 v5, 29, v5
	v_lshlrev_b64 v[10:11], v10, v[20:21]
	v_and_b32_e32 v32, 7, v10
; %bb.15:                               ;   in Loop: Header=BB367_10 Depth=1
	s_or_b32 exec_lo, exec_lo, s25
	v_lshlrev_b32_e32 v10, 24, v4
	v_lshlrev_b32_e32 v11, 20, v32
	v_lshl_add_u32 v5, v5, 23, 0x3c000000
	v_and_b32_e32 v10, 0x80000000, v10
	v_or3_b32 v39, v11, v10, v5
.LBB367_16:                             ;   in Loop: Header=BB367_10 Depth=1
	s_or_b32 exec_lo, exec_lo, s24
.LBB367_17:                             ;   in Loop: Header=BB367_10 Depth=1
	s_or_b32 exec_lo, exec_lo, s23
.LBB367_18:                             ;   in Loop: Header=BB367_10 Depth=1
	s_or_b32 exec_lo, exec_lo, s17
	v_cmp_ne_u16_sdwa s6, v4, v21 src0_sel:BYTE_1 src1_sel:DWORD
	v_mov_b32_e32 v22, 0
	s_and_saveexec_b32 s17, s6
	s_cbranch_execz .LBB367_26
; %bb.19:                               ;   in Loop: Header=BB367_10 Depth=1
	v_cmp_ne_u16_sdwa s6, v4, v1 src0_sel:BYTE_1 src1_sel:DWORD
	v_bfrev_b32_e32 v22, 1
	s_and_saveexec_b32 s23, s6
	s_cbranch_execz .LBB367_25
; %bb.20:                               ;   in Loop: Header=BB367_10 Depth=1
	v_and_b32_sdwa v5, v0, v4 dst_sel:DWORD dst_unused:UNUSED_PAD src0_sel:DWORD src1_sel:BYTE_1
	v_mov_b32_e32 v22, 0x7f800001
	s_mov_b32 s24, exec_lo
	v_and_b32_e32 v10, 0x7f, v5
	v_cmpx_ne_u32_e32 0x7f, v10
	s_cbranch_execz .LBB367_24
; %bb.21:                               ;   in Loop: Header=BB367_10 Depth=1
	v_and_b32_e32 v20, 7, v5
	v_mov_b32_e32 v33, v21
	v_lshrrev_b32_e32 v5, 3, v10
	s_mov_b32 s25, exec_lo
	v_mov_b32_e32 v32, v20
	v_cmpx_gt_u32_e32 8, v10
; %bb.22:                               ;   in Loop: Header=BB367_10 Depth=1
	v_ffbh_u32_e32 v5, v20
	v_min_u32_e32 v5, 32, v5
	v_subrev_nc_u32_e32 v10, 28, v5
	v_sub_nc_u32_e32 v5, 29, v5
	v_lshlrev_b64 v[10:11], v10, v[20:21]
	v_and_b32_e32 v32, 7, v10
; %bb.23:                               ;   in Loop: Header=BB367_10 Depth=1
	s_or_b32 exec_lo, exec_lo, s25
	v_lshlrev_b32_e32 v10, 16, v4
	v_lshlrev_b32_e32 v11, 20, v32
	v_lshl_add_u32 v5, v5, 23, 0x3c000000
	v_and_b32_e32 v10, 0x80000000, v10
	v_or3_b32 v22, v11, v10, v5
.LBB367_24:                             ;   in Loop: Header=BB367_10 Depth=1
	s_or_b32 exec_lo, exec_lo, s24
.LBB367_25:                             ;   in Loop: Header=BB367_10 Depth=1
	s_or_b32 exec_lo, exec_lo, s23
.LBB367_26:                             ;   in Loop: Header=BB367_10 Depth=1
	s_or_b32 exec_lo, exec_lo, s17
	v_and_b32_sdwa v5, v4, v27 dst_sel:DWORD dst_unused:UNUSED_PAD src0_sel:WORD_1 src1_sel:DWORD
	v_mov_b32_e32 v50, 0
	v_mov_b32_e32 v51, 0
	s_mov_b32 s17, exec_lo
	v_cmpx_ne_u16_e32 0, v5
	s_cbranch_execz .LBB367_34
; %bb.27:                               ;   in Loop: Header=BB367_10 Depth=1
	v_bfrev_b32_e32 v51, 1
	s_mov_b32 s23, exec_lo
	v_cmpx_ne_u16_e32 0x80, v5
	s_cbranch_execz .LBB367_33
; %bb.28:                               ;   in Loop: Header=BB367_10 Depth=1
	v_bfe_u32 v10, v4, 16, 7
	v_mov_b32_e32 v51, 0x7f800001
	s_mov_b32 s24, exec_lo
	v_cmpx_ne_u32_e32 0x7f, v10
	s_cbranch_execz .LBB367_32
; %bb.29:                               ;   in Loop: Header=BB367_10 Depth=1
	v_and_b32_sdwa v20, v4, v26 dst_sel:DWORD dst_unused:UNUSED_PAD src0_sel:WORD_1 src1_sel:DWORD
	v_mov_b32_e32 v33, v21
	v_lshrrev_b32_e32 v5, 3, v10
	s_mov_b32 s25, exec_lo
	v_mov_b32_e32 v32, v20
	v_cmpx_gt_u32_e32 8, v10
; %bb.30:                               ;   in Loop: Header=BB367_10 Depth=1
	v_ffbh_u32_e32 v5, v20
	v_min_u32_e32 v5, 32, v5
	v_subrev_nc_u32_e32 v10, 28, v5
	v_sub_nc_u32_e32 v5, 29, v5
	v_lshlrev_b64 v[10:11], v10, v[20:21]
	v_and_b32_e32 v32, 7, v10
; %bb.31:                               ;   in Loop: Header=BB367_10 Depth=1
	s_or_b32 exec_lo, exec_lo, s25
	v_lshlrev_b32_sdwa v10, v49, v4 dst_sel:DWORD dst_unused:UNUSED_PAD src0_sel:DWORD src1_sel:WORD_1
	v_lshlrev_b32_e32 v11, 20, v32
	v_lshl_add_u32 v5, v5, 23, 0x3c000000
	v_and_b32_e32 v10, 0x80000000, v10
	v_or3_b32 v51, v11, v10, v5
.LBB367_32:                             ;   in Loop: Header=BB367_10 Depth=1
	s_or_b32 exec_lo, exec_lo, s24
.LBB367_33:                             ;   in Loop: Header=BB367_10 Depth=1
	s_or_b32 exec_lo, exec_lo, s23
.LBB367_34:                             ;   in Loop: Header=BB367_10 Depth=1
	s_or_b32 exec_lo, exec_lo, s17
	s_mov_b32 s17, exec_lo
	v_cmpx_lt_u32_e32 0xffffff, v4
	s_cbranch_execz .LBB367_42
; %bb.35:                               ;   in Loop: Header=BB367_10 Depth=1
	v_cmp_ne_u32_sdwa s6, v4, v1 src0_sel:BYTE_3 src1_sel:DWORD
	v_bfrev_b32_e32 v50, 1
	s_and_saveexec_b32 s23, s6
	s_cbranch_execz .LBB367_41
; %bb.36:                               ;   in Loop: Header=BB367_10 Depth=1
	v_bfe_u32 v10, v4, 24, 7
	v_mov_b32_e32 v50, 0x7f800001
	s_mov_b32 s24, exec_lo
	v_cmpx_ne_u32_e32 0x7f, v10
	s_cbranch_execz .LBB367_40
; %bb.37:                               ;   in Loop: Header=BB367_10 Depth=1
	v_and_b32_sdwa v20, v4, v26 dst_sel:DWORD dst_unused:UNUSED_PAD src0_sel:BYTE_3 src1_sel:DWORD
	v_mov_b32_e32 v33, v21
	v_lshrrev_b32_e32 v5, 3, v10
	s_mov_b32 s25, exec_lo
	v_mov_b32_e32 v32, v20
	v_cmpx_gt_u32_e32 8, v10
; %bb.38:                               ;   in Loop: Header=BB367_10 Depth=1
	v_ffbh_u32_e32 v5, v20
	v_min_u32_e32 v5, 32, v5
	v_subrev_nc_u32_e32 v10, 28, v5
	v_sub_nc_u32_e32 v5, 29, v5
	v_lshlrev_b64 v[10:11], v10, v[20:21]
	v_and_b32_e32 v32, 7, v10
; %bb.39:                               ;   in Loop: Header=BB367_10 Depth=1
	s_or_b32 exec_lo, exec_lo, s25
	v_lshlrev_b32_sdwa v4, v49, v4 dst_sel:DWORD dst_unused:UNUSED_PAD src0_sel:DWORD src1_sel:BYTE_3
	v_lshlrev_b32_e32 v10, 20, v32
	v_lshl_add_u32 v5, v5, 23, 0x3c000000
	v_and_b32_e32 v4, 0x80000000, v4
	v_or3_b32 v50, v10, v4, v5
.LBB367_40:                             ;   in Loop: Header=BB367_10 Depth=1
	s_or_b32 exec_lo, exec_lo, s24
.LBB367_41:                             ;   in Loop: Header=BB367_10 Depth=1
	s_or_b32 exec_lo, exec_lo, s23
.LBB367_42:                             ;   in Loop: Header=BB367_10 Depth=1
	s_or_b32 exec_lo, exec_lo, s17
	flat_load_dword v4, v[30:31] offset:8
	v_mov_b32_e32 v53, 0
	v_mov_b32_e32 v52, 0
	s_waitcnt vmcnt(0) lgkmcnt(0)
	v_cmp_ne_u16_sdwa s6, v4, v21 src0_sel:BYTE_0 src1_sel:DWORD
	s_and_saveexec_b32 s17, s6
	s_cbranch_execz .LBB367_50
; %bb.43:                               ;   in Loop: Header=BB367_10 Depth=1
	v_cmp_ne_u16_sdwa s6, v4, v1 src0_sel:BYTE_0 src1_sel:DWORD
	v_bfrev_b32_e32 v52, 1
	s_and_saveexec_b32 s23, s6
	s_cbranch_execz .LBB367_49
; %bb.44:                               ;   in Loop: Header=BB367_10 Depth=1
	v_and_b32_e32 v10, 0x7f, v4
	v_mov_b32_e32 v52, 0x7f800001
	s_mov_b32 s24, exec_lo
	v_cmpx_ne_u32_e32 0x7f, v10
	s_cbranch_execz .LBB367_48
; %bb.45:                               ;   in Loop: Header=BB367_10 Depth=1
	v_and_b32_e32 v20, 7, v4
	v_mov_b32_e32 v33, v21
	v_lshrrev_b32_e32 v5, 3, v10
	s_mov_b32 s25, exec_lo
	v_mov_b32_e32 v32, v20
	v_cmpx_gt_u32_e32 8, v10
; %bb.46:                               ;   in Loop: Header=BB367_10 Depth=1
	v_ffbh_u32_e32 v5, v20
	v_min_u32_e32 v5, 32, v5
	v_subrev_nc_u32_e32 v10, 28, v5
	v_sub_nc_u32_e32 v5, 29, v5
	v_lshlrev_b64 v[10:11], v10, v[20:21]
	v_and_b32_e32 v32, 7, v10
; %bb.47:                               ;   in Loop: Header=BB367_10 Depth=1
	s_or_b32 exec_lo, exec_lo, s25
	v_lshlrev_b32_e32 v10, 24, v4
	v_lshlrev_b32_e32 v11, 20, v32
	v_lshl_add_u32 v5, v5, 23, 0x3c000000
	v_and_b32_e32 v10, 0x80000000, v10
	v_or3_b32 v52, v11, v10, v5
.LBB367_48:                             ;   in Loop: Header=BB367_10 Depth=1
	s_or_b32 exec_lo, exec_lo, s24
.LBB367_49:                             ;   in Loop: Header=BB367_10 Depth=1
	s_or_b32 exec_lo, exec_lo, s23
.LBB367_50:                             ;   in Loop: Header=BB367_10 Depth=1
	s_or_b32 exec_lo, exec_lo, s17
	v_cmp_ne_u16_sdwa s6, v4, v21 src0_sel:BYTE_1 src1_sel:DWORD
	s_and_saveexec_b32 s17, s6
	s_cbranch_execz .LBB367_58
; %bb.51:                               ;   in Loop: Header=BB367_10 Depth=1
	v_cmp_ne_u16_sdwa s6, v4, v1 src0_sel:BYTE_1 src1_sel:DWORD
	v_bfrev_b32_e32 v53, 1
	s_and_saveexec_b32 s23, s6
	s_cbranch_execz .LBB367_57
; %bb.52:                               ;   in Loop: Header=BB367_10 Depth=1
	v_and_b32_sdwa v5, v0, v4 dst_sel:DWORD dst_unused:UNUSED_PAD src0_sel:DWORD src1_sel:BYTE_1
	v_mov_b32_e32 v53, 0x7f800001
	s_mov_b32 s24, exec_lo
	v_and_b32_e32 v10, 0x7f, v5
	v_cmpx_ne_u32_e32 0x7f, v10
	s_cbranch_execz .LBB367_56
; %bb.53:                               ;   in Loop: Header=BB367_10 Depth=1
	v_and_b32_e32 v20, 7, v5
	v_mov_b32_e32 v33, v21
	v_lshrrev_b32_e32 v5, 3, v10
	s_mov_b32 s25, exec_lo
	v_mov_b32_e32 v32, v20
	v_cmpx_gt_u32_e32 8, v10
; %bb.54:                               ;   in Loop: Header=BB367_10 Depth=1
	v_ffbh_u32_e32 v5, v20
	v_min_u32_e32 v5, 32, v5
	v_subrev_nc_u32_e32 v10, 28, v5
	v_sub_nc_u32_e32 v5, 29, v5
	v_lshlrev_b64 v[10:11], v10, v[20:21]
	v_and_b32_e32 v32, 7, v10
; %bb.55:                               ;   in Loop: Header=BB367_10 Depth=1
	s_or_b32 exec_lo, exec_lo, s25
	v_lshlrev_b32_e32 v10, 16, v4
	v_lshlrev_b32_e32 v11, 20, v32
	v_lshl_add_u32 v5, v5, 23, 0x3c000000
	v_and_b32_e32 v10, 0x80000000, v10
	v_or3_b32 v53, v11, v10, v5
.LBB367_56:                             ;   in Loop: Header=BB367_10 Depth=1
	s_or_b32 exec_lo, exec_lo, s24
.LBB367_57:                             ;   in Loop: Header=BB367_10 Depth=1
	s_or_b32 exec_lo, exec_lo, s23
.LBB367_58:                             ;   in Loop: Header=BB367_10 Depth=1
	s_or_b32 exec_lo, exec_lo, s17
	v_and_b32_sdwa v5, v4, v27 dst_sel:DWORD dst_unused:UNUSED_PAD src0_sel:WORD_1 src1_sel:DWORD
	v_mov_b32_e32 v64, 0
	v_mov_b32_e32 v65, 0
	s_mov_b32 s17, exec_lo
	v_cmpx_ne_u16_e32 0, v5
	s_cbranch_execz .LBB367_66
; %bb.59:                               ;   in Loop: Header=BB367_10 Depth=1
	v_bfrev_b32_e32 v65, 1
	s_mov_b32 s23, exec_lo
	v_cmpx_ne_u16_e32 0x80, v5
	s_cbranch_execz .LBB367_65
; %bb.60:                               ;   in Loop: Header=BB367_10 Depth=1
	v_bfe_u32 v10, v4, 16, 7
	v_mov_b32_e32 v65, 0x7f800001
	s_mov_b32 s24, exec_lo
	v_cmpx_ne_u32_e32 0x7f, v10
	s_cbranch_execz .LBB367_64
; %bb.61:                               ;   in Loop: Header=BB367_10 Depth=1
	v_and_b32_sdwa v20, v4, v26 dst_sel:DWORD dst_unused:UNUSED_PAD src0_sel:WORD_1 src1_sel:DWORD
	v_mov_b32_e32 v33, v21
	v_lshrrev_b32_e32 v5, 3, v10
	s_mov_b32 s25, exec_lo
	v_mov_b32_e32 v32, v20
	v_cmpx_gt_u32_e32 8, v10
; %bb.62:                               ;   in Loop: Header=BB367_10 Depth=1
	v_ffbh_u32_e32 v5, v20
	v_min_u32_e32 v5, 32, v5
	v_subrev_nc_u32_e32 v10, 28, v5
	v_sub_nc_u32_e32 v5, 29, v5
	v_lshlrev_b64 v[10:11], v10, v[20:21]
	v_and_b32_e32 v32, 7, v10
; %bb.63:                               ;   in Loop: Header=BB367_10 Depth=1
	s_or_b32 exec_lo, exec_lo, s25
	v_lshlrev_b32_sdwa v10, v49, v4 dst_sel:DWORD dst_unused:UNUSED_PAD src0_sel:DWORD src1_sel:WORD_1
	v_lshlrev_b32_e32 v11, 20, v32
	v_lshl_add_u32 v5, v5, 23, 0x3c000000
	v_and_b32_e32 v10, 0x80000000, v10
	v_or3_b32 v65, v11, v10, v5
.LBB367_64:                             ;   in Loop: Header=BB367_10 Depth=1
	s_or_b32 exec_lo, exec_lo, s24
.LBB367_65:                             ;   in Loop: Header=BB367_10 Depth=1
	s_or_b32 exec_lo, exec_lo, s23
.LBB367_66:                             ;   in Loop: Header=BB367_10 Depth=1
	s_or_b32 exec_lo, exec_lo, s17
	s_mov_b32 s17, exec_lo
	v_cmpx_lt_u32_e32 0xffffff, v4
	s_cbranch_execz .LBB367_74
; %bb.67:                               ;   in Loop: Header=BB367_10 Depth=1
	v_cmp_ne_u32_sdwa s6, v4, v1 src0_sel:BYTE_3 src1_sel:DWORD
	v_bfrev_b32_e32 v64, 1
	s_and_saveexec_b32 s23, s6
	s_cbranch_execz .LBB367_73
; %bb.68:                               ;   in Loop: Header=BB367_10 Depth=1
	v_bfe_u32 v10, v4, 24, 7
	v_mov_b32_e32 v64, 0x7f800001
	s_mov_b32 s24, exec_lo
	v_cmpx_ne_u32_e32 0x7f, v10
	s_cbranch_execz .LBB367_72
; %bb.69:                               ;   in Loop: Header=BB367_10 Depth=1
	v_and_b32_sdwa v20, v4, v26 dst_sel:DWORD dst_unused:UNUSED_PAD src0_sel:BYTE_3 src1_sel:DWORD
	v_mov_b32_e32 v33, v21
	v_lshrrev_b32_e32 v5, 3, v10
	s_mov_b32 s25, exec_lo
	v_mov_b32_e32 v32, v20
	v_cmpx_gt_u32_e32 8, v10
; %bb.70:                               ;   in Loop: Header=BB367_10 Depth=1
	v_ffbh_u32_e32 v5, v20
	v_min_u32_e32 v5, 32, v5
	v_subrev_nc_u32_e32 v10, 28, v5
	v_sub_nc_u32_e32 v5, 29, v5
	v_lshlrev_b64 v[10:11], v10, v[20:21]
	v_and_b32_e32 v32, 7, v10
; %bb.71:                               ;   in Loop: Header=BB367_10 Depth=1
	s_or_b32 exec_lo, exec_lo, s25
	v_lshlrev_b32_sdwa v4, v49, v4 dst_sel:DWORD dst_unused:UNUSED_PAD src0_sel:DWORD src1_sel:BYTE_3
	v_lshlrev_b32_e32 v10, 20, v32
	v_lshl_add_u32 v5, v5, 23, 0x3c000000
	v_and_b32_e32 v4, 0x80000000, v4
	v_or3_b32 v64, v10, v4, v5
.LBB367_72:                             ;   in Loop: Header=BB367_10 Depth=1
	s_or_b32 exec_lo, exec_lo, s24
.LBB367_73:                             ;   in Loop: Header=BB367_10 Depth=1
	s_or_b32 exec_lo, exec_lo, s23
.LBB367_74:                             ;   in Loop: Header=BB367_10 Depth=1
	s_or_b32 exec_lo, exec_lo, s17
	flat_load_dword v4, v[30:31] offset:256
	v_mov_b32_e32 v67, 0
	v_mov_b32_e32 v66, 0
	s_waitcnt vmcnt(0) lgkmcnt(0)
	v_cmp_ne_u16_sdwa s6, v4, v21 src0_sel:BYTE_0 src1_sel:DWORD
	s_and_saveexec_b32 s17, s6
	s_cbranch_execz .LBB367_82
; %bb.75:                               ;   in Loop: Header=BB367_10 Depth=1
	v_cmp_ne_u16_sdwa s6, v4, v1 src0_sel:BYTE_0 src1_sel:DWORD
	v_bfrev_b32_e32 v66, 1
	s_and_saveexec_b32 s23, s6
	s_cbranch_execz .LBB367_81
; %bb.76:                               ;   in Loop: Header=BB367_10 Depth=1
	v_and_b32_e32 v10, 0x7f, v4
	v_mov_b32_e32 v66, 0x7f800001
	s_mov_b32 s24, exec_lo
	v_cmpx_ne_u32_e32 0x7f, v10
	s_cbranch_execz .LBB367_80
; %bb.77:                               ;   in Loop: Header=BB367_10 Depth=1
	v_and_b32_e32 v20, 7, v4
	v_mov_b32_e32 v33, v21
	v_lshrrev_b32_e32 v5, 3, v10
	s_mov_b32 s25, exec_lo
	v_mov_b32_e32 v32, v20
	v_cmpx_gt_u32_e32 8, v10
; %bb.78:                               ;   in Loop: Header=BB367_10 Depth=1
	v_ffbh_u32_e32 v5, v20
	v_min_u32_e32 v5, 32, v5
	v_subrev_nc_u32_e32 v10, 28, v5
	v_sub_nc_u32_e32 v5, 29, v5
	v_lshlrev_b64 v[10:11], v10, v[20:21]
	v_and_b32_e32 v32, 7, v10
; %bb.79:                               ;   in Loop: Header=BB367_10 Depth=1
	s_or_b32 exec_lo, exec_lo, s25
	v_lshlrev_b32_e32 v10, 24, v4
	v_lshlrev_b32_e32 v11, 20, v32
	v_lshl_add_u32 v5, v5, 23, 0x3c000000
	v_and_b32_e32 v10, 0x80000000, v10
	v_or3_b32 v66, v11, v10, v5
.LBB367_80:                             ;   in Loop: Header=BB367_10 Depth=1
	s_or_b32 exec_lo, exec_lo, s24
.LBB367_81:                             ;   in Loop: Header=BB367_10 Depth=1
	s_or_b32 exec_lo, exec_lo, s23
.LBB367_82:                             ;   in Loop: Header=BB367_10 Depth=1
	s_or_b32 exec_lo, exec_lo, s17
	v_cmp_ne_u16_sdwa s6, v4, v21 src0_sel:BYTE_1 src1_sel:DWORD
	s_and_saveexec_b32 s17, s6
	s_cbranch_execz .LBB367_90
; %bb.83:                               ;   in Loop: Header=BB367_10 Depth=1
	v_cmp_ne_u16_sdwa s6, v4, v1 src0_sel:BYTE_1 src1_sel:DWORD
	v_bfrev_b32_e32 v67, 1
	s_and_saveexec_b32 s23, s6
	s_cbranch_execz .LBB367_89
; %bb.84:                               ;   in Loop: Header=BB367_10 Depth=1
	v_and_b32_sdwa v5, v0, v4 dst_sel:DWORD dst_unused:UNUSED_PAD src0_sel:DWORD src1_sel:BYTE_1
	v_mov_b32_e32 v67, 0x7f800001
	s_mov_b32 s24, exec_lo
	v_and_b32_e32 v10, 0x7f, v5
	v_cmpx_ne_u32_e32 0x7f, v10
	s_cbranch_execz .LBB367_88
; %bb.85:                               ;   in Loop: Header=BB367_10 Depth=1
	v_and_b32_e32 v20, 7, v5
	v_mov_b32_e32 v33, v21
	v_lshrrev_b32_e32 v5, 3, v10
	s_mov_b32 s25, exec_lo
	v_mov_b32_e32 v32, v20
	v_cmpx_gt_u32_e32 8, v10
; %bb.86:                               ;   in Loop: Header=BB367_10 Depth=1
	v_ffbh_u32_e32 v5, v20
	v_min_u32_e32 v5, 32, v5
	v_subrev_nc_u32_e32 v10, 28, v5
	v_sub_nc_u32_e32 v5, 29, v5
	v_lshlrev_b64 v[10:11], v10, v[20:21]
	v_and_b32_e32 v32, 7, v10
; %bb.87:                               ;   in Loop: Header=BB367_10 Depth=1
	s_or_b32 exec_lo, exec_lo, s25
	v_lshlrev_b32_e32 v10, 16, v4
	v_lshlrev_b32_e32 v11, 20, v32
	v_lshl_add_u32 v5, v5, 23, 0x3c000000
	v_and_b32_e32 v10, 0x80000000, v10
	v_or3_b32 v67, v11, v10, v5
.LBB367_88:                             ;   in Loop: Header=BB367_10 Depth=1
	s_or_b32 exec_lo, exec_lo, s24
.LBB367_89:                             ;   in Loop: Header=BB367_10 Depth=1
	s_or_b32 exec_lo, exec_lo, s23
.LBB367_90:                             ;   in Loop: Header=BB367_10 Depth=1
	s_or_b32 exec_lo, exec_lo, s17
	v_and_b32_sdwa v5, v4, v27 dst_sel:DWORD dst_unused:UNUSED_PAD src0_sel:WORD_1 src1_sel:DWORD
	v_mov_b32_e32 v68, 0
	v_mov_b32_e32 v69, 0
	s_mov_b32 s17, exec_lo
	v_cmpx_ne_u16_e32 0, v5
	s_cbranch_execz .LBB367_98
; %bb.91:                               ;   in Loop: Header=BB367_10 Depth=1
	v_bfrev_b32_e32 v69, 1
	s_mov_b32 s23, exec_lo
	v_cmpx_ne_u16_e32 0x80, v5
	s_cbranch_execz .LBB367_97
; %bb.92:                               ;   in Loop: Header=BB367_10 Depth=1
	v_bfe_u32 v10, v4, 16, 7
	v_mov_b32_e32 v69, 0x7f800001
	s_mov_b32 s24, exec_lo
	v_cmpx_ne_u32_e32 0x7f, v10
	s_cbranch_execz .LBB367_96
; %bb.93:                               ;   in Loop: Header=BB367_10 Depth=1
	v_and_b32_sdwa v20, v4, v26 dst_sel:DWORD dst_unused:UNUSED_PAD src0_sel:WORD_1 src1_sel:DWORD
	v_mov_b32_e32 v33, v21
	v_lshrrev_b32_e32 v5, 3, v10
	s_mov_b32 s25, exec_lo
	v_mov_b32_e32 v32, v20
	v_cmpx_gt_u32_e32 8, v10
; %bb.94:                               ;   in Loop: Header=BB367_10 Depth=1
	v_ffbh_u32_e32 v5, v20
	v_min_u32_e32 v5, 32, v5
	v_subrev_nc_u32_e32 v10, 28, v5
	v_sub_nc_u32_e32 v5, 29, v5
	v_lshlrev_b64 v[10:11], v10, v[20:21]
	v_and_b32_e32 v32, 7, v10
; %bb.95:                               ;   in Loop: Header=BB367_10 Depth=1
	s_or_b32 exec_lo, exec_lo, s25
	v_lshlrev_b32_sdwa v10, v49, v4 dst_sel:DWORD dst_unused:UNUSED_PAD src0_sel:DWORD src1_sel:WORD_1
	v_lshlrev_b32_e32 v11, 20, v32
	v_lshl_add_u32 v5, v5, 23, 0x3c000000
	v_and_b32_e32 v10, 0x80000000, v10
	v_or3_b32 v69, v11, v10, v5
.LBB367_96:                             ;   in Loop: Header=BB367_10 Depth=1
	s_or_b32 exec_lo, exec_lo, s24
.LBB367_97:                             ;   in Loop: Header=BB367_10 Depth=1
	s_or_b32 exec_lo, exec_lo, s23
.LBB367_98:                             ;   in Loop: Header=BB367_10 Depth=1
	s_or_b32 exec_lo, exec_lo, s17
	s_mov_b32 s17, exec_lo
	v_cmpx_lt_u32_e32 0xffffff, v4
	s_cbranch_execz .LBB367_106
; %bb.99:                               ;   in Loop: Header=BB367_10 Depth=1
	v_cmp_ne_u32_sdwa s6, v4, v1 src0_sel:BYTE_3 src1_sel:DWORD
	v_bfrev_b32_e32 v68, 1
	s_and_saveexec_b32 s23, s6
	s_cbranch_execz .LBB367_105
; %bb.100:                              ;   in Loop: Header=BB367_10 Depth=1
	v_bfe_u32 v10, v4, 24, 7
	v_mov_b32_e32 v68, 0x7f800001
	s_mov_b32 s24, exec_lo
	v_cmpx_ne_u32_e32 0x7f, v10
	s_cbranch_execz .LBB367_104
; %bb.101:                              ;   in Loop: Header=BB367_10 Depth=1
	v_and_b32_sdwa v20, v4, v26 dst_sel:DWORD dst_unused:UNUSED_PAD src0_sel:BYTE_3 src1_sel:DWORD
	v_mov_b32_e32 v33, v21
	v_lshrrev_b32_e32 v5, 3, v10
	s_mov_b32 s25, exec_lo
	v_mov_b32_e32 v32, v20
	v_cmpx_gt_u32_e32 8, v10
; %bb.102:                              ;   in Loop: Header=BB367_10 Depth=1
	v_ffbh_u32_e32 v5, v20
	v_min_u32_e32 v5, 32, v5
	v_subrev_nc_u32_e32 v10, 28, v5
	v_sub_nc_u32_e32 v5, 29, v5
	v_lshlrev_b64 v[10:11], v10, v[20:21]
	v_and_b32_e32 v32, 7, v10
; %bb.103:                              ;   in Loop: Header=BB367_10 Depth=1
	s_or_b32 exec_lo, exec_lo, s25
	v_lshlrev_b32_sdwa v4, v49, v4 dst_sel:DWORD dst_unused:UNUSED_PAD src0_sel:DWORD src1_sel:BYTE_3
	v_lshlrev_b32_e32 v10, 20, v32
	v_lshl_add_u32 v5, v5, 23, 0x3c000000
	v_and_b32_e32 v4, 0x80000000, v4
	v_or3_b32 v68, v10, v4, v5
.LBB367_104:                            ;   in Loop: Header=BB367_10 Depth=1
	s_or_b32 exec_lo, exec_lo, s24
.LBB367_105:                            ;   in Loop: Header=BB367_10 Depth=1
	s_or_b32 exec_lo, exec_lo, s23
.LBB367_106:                            ;   in Loop: Header=BB367_10 Depth=1
	s_or_b32 exec_lo, exec_lo, s17
	flat_load_dword v4, v[30:31] offset:264
	v_mov_b32_e32 v71, 0
	v_mov_b32_e32 v70, 0
	s_waitcnt vmcnt(0) lgkmcnt(0)
	v_cmp_ne_u16_sdwa s6, v4, v21 src0_sel:BYTE_0 src1_sel:DWORD
	s_and_saveexec_b32 s17, s6
	s_cbranch_execz .LBB367_114
; %bb.107:                              ;   in Loop: Header=BB367_10 Depth=1
	v_cmp_ne_u16_sdwa s6, v4, v1 src0_sel:BYTE_0 src1_sel:DWORD
	v_bfrev_b32_e32 v70, 1
	s_and_saveexec_b32 s23, s6
	s_cbranch_execz .LBB367_113
; %bb.108:                              ;   in Loop: Header=BB367_10 Depth=1
	v_and_b32_e32 v10, 0x7f, v4
	v_mov_b32_e32 v70, 0x7f800001
	s_mov_b32 s24, exec_lo
	v_cmpx_ne_u32_e32 0x7f, v10
	s_cbranch_execz .LBB367_112
; %bb.109:                              ;   in Loop: Header=BB367_10 Depth=1
	v_and_b32_e32 v20, 7, v4
	v_mov_b32_e32 v33, v21
	v_lshrrev_b32_e32 v5, 3, v10
	s_mov_b32 s25, exec_lo
	v_mov_b32_e32 v32, v20
	v_cmpx_gt_u32_e32 8, v10
; %bb.110:                              ;   in Loop: Header=BB367_10 Depth=1
	v_ffbh_u32_e32 v5, v20
	v_min_u32_e32 v5, 32, v5
	v_subrev_nc_u32_e32 v10, 28, v5
	v_sub_nc_u32_e32 v5, 29, v5
	v_lshlrev_b64 v[10:11], v10, v[20:21]
	v_and_b32_e32 v32, 7, v10
; %bb.111:                              ;   in Loop: Header=BB367_10 Depth=1
	s_or_b32 exec_lo, exec_lo, s25
	v_lshlrev_b32_e32 v10, 24, v4
	v_lshlrev_b32_e32 v11, 20, v32
	v_lshl_add_u32 v5, v5, 23, 0x3c000000
	v_and_b32_e32 v10, 0x80000000, v10
	v_or3_b32 v70, v11, v10, v5
.LBB367_112:                            ;   in Loop: Header=BB367_10 Depth=1
	s_or_b32 exec_lo, exec_lo, s24
.LBB367_113:                            ;   in Loop: Header=BB367_10 Depth=1
	s_or_b32 exec_lo, exec_lo, s23
.LBB367_114:                            ;   in Loop: Header=BB367_10 Depth=1
	s_or_b32 exec_lo, exec_lo, s17
	v_cmp_ne_u16_sdwa s6, v4, v21 src0_sel:BYTE_1 src1_sel:DWORD
	s_and_saveexec_b32 s17, s6
	s_cbranch_execz .LBB367_122
; %bb.115:                              ;   in Loop: Header=BB367_10 Depth=1
	v_cmp_ne_u16_sdwa s6, v4, v1 src0_sel:BYTE_1 src1_sel:DWORD
	v_bfrev_b32_e32 v71, 1
	s_and_saveexec_b32 s23, s6
	s_cbranch_execz .LBB367_121
; %bb.116:                              ;   in Loop: Header=BB367_10 Depth=1
	v_and_b32_sdwa v5, v0, v4 dst_sel:DWORD dst_unused:UNUSED_PAD src0_sel:DWORD src1_sel:BYTE_1
	v_mov_b32_e32 v71, 0x7f800001
	s_mov_b32 s24, exec_lo
	v_and_b32_e32 v10, 0x7f, v5
	v_cmpx_ne_u32_e32 0x7f, v10
	s_cbranch_execz .LBB367_120
; %bb.117:                              ;   in Loop: Header=BB367_10 Depth=1
	v_and_b32_e32 v20, 7, v5
	v_mov_b32_e32 v33, v21
	v_lshrrev_b32_e32 v5, 3, v10
	s_mov_b32 s25, exec_lo
	v_mov_b32_e32 v32, v20
	v_cmpx_gt_u32_e32 8, v10
; %bb.118:                              ;   in Loop: Header=BB367_10 Depth=1
	v_ffbh_u32_e32 v5, v20
	v_min_u32_e32 v5, 32, v5
	v_subrev_nc_u32_e32 v10, 28, v5
	v_sub_nc_u32_e32 v5, 29, v5
	v_lshlrev_b64 v[10:11], v10, v[20:21]
	v_and_b32_e32 v32, 7, v10
; %bb.119:                              ;   in Loop: Header=BB367_10 Depth=1
	s_or_b32 exec_lo, exec_lo, s25
	v_lshlrev_b32_e32 v10, 16, v4
	v_lshlrev_b32_e32 v11, 20, v32
	v_lshl_add_u32 v5, v5, 23, 0x3c000000
	v_and_b32_e32 v10, 0x80000000, v10
	v_or3_b32 v71, v11, v10, v5
.LBB367_120:                            ;   in Loop: Header=BB367_10 Depth=1
	s_or_b32 exec_lo, exec_lo, s24
.LBB367_121:                            ;   in Loop: Header=BB367_10 Depth=1
	s_or_b32 exec_lo, exec_lo, s23
.LBB367_122:                            ;   in Loop: Header=BB367_10 Depth=1
	s_or_b32 exec_lo, exec_lo, s17
	v_and_b32_sdwa v5, v4, v27 dst_sel:DWORD dst_unused:UNUSED_PAD src0_sel:WORD_1 src1_sel:DWORD
	v_mov_b32_e32 v80, 0
	v_mov_b32_e32 v81, 0
	s_mov_b32 s17, exec_lo
	v_cmpx_ne_u16_e32 0, v5
	s_cbranch_execz .LBB367_130
; %bb.123:                              ;   in Loop: Header=BB367_10 Depth=1
	v_bfrev_b32_e32 v81, 1
	s_mov_b32 s23, exec_lo
	v_cmpx_ne_u16_e32 0x80, v5
	s_cbranch_execz .LBB367_129
; %bb.124:                              ;   in Loop: Header=BB367_10 Depth=1
	v_bfe_u32 v10, v4, 16, 7
	v_mov_b32_e32 v81, 0x7f800001
	s_mov_b32 s24, exec_lo
	v_cmpx_ne_u32_e32 0x7f, v10
	s_cbranch_execz .LBB367_128
; %bb.125:                              ;   in Loop: Header=BB367_10 Depth=1
	v_and_b32_sdwa v20, v4, v26 dst_sel:DWORD dst_unused:UNUSED_PAD src0_sel:WORD_1 src1_sel:DWORD
	v_mov_b32_e32 v33, v21
	v_lshrrev_b32_e32 v5, 3, v10
	s_mov_b32 s25, exec_lo
	v_mov_b32_e32 v32, v20
	v_cmpx_gt_u32_e32 8, v10
; %bb.126:                              ;   in Loop: Header=BB367_10 Depth=1
	v_ffbh_u32_e32 v5, v20
	v_min_u32_e32 v5, 32, v5
	v_subrev_nc_u32_e32 v10, 28, v5
	v_sub_nc_u32_e32 v5, 29, v5
	v_lshlrev_b64 v[10:11], v10, v[20:21]
	v_and_b32_e32 v32, 7, v10
; %bb.127:                              ;   in Loop: Header=BB367_10 Depth=1
	s_or_b32 exec_lo, exec_lo, s25
	v_lshlrev_b32_sdwa v10, v49, v4 dst_sel:DWORD dst_unused:UNUSED_PAD src0_sel:DWORD src1_sel:WORD_1
	v_lshlrev_b32_e32 v11, 20, v32
	v_lshl_add_u32 v5, v5, 23, 0x3c000000
	v_and_b32_e32 v10, 0x80000000, v10
	v_or3_b32 v81, v11, v10, v5
.LBB367_128:                            ;   in Loop: Header=BB367_10 Depth=1
	s_or_b32 exec_lo, exec_lo, s24
.LBB367_129:                            ;   in Loop: Header=BB367_10 Depth=1
	s_or_b32 exec_lo, exec_lo, s23
.LBB367_130:                            ;   in Loop: Header=BB367_10 Depth=1
	s_or_b32 exec_lo, exec_lo, s17
	s_mov_b32 s17, exec_lo
	v_cmpx_lt_u32_e32 0xffffff, v4
	s_cbranch_execz .LBB367_138
; %bb.131:                              ;   in Loop: Header=BB367_10 Depth=1
	v_cmp_ne_u32_sdwa s6, v4, v1 src0_sel:BYTE_3 src1_sel:DWORD
	v_bfrev_b32_e32 v80, 1
	s_and_saveexec_b32 s23, s6
	s_cbranch_execz .LBB367_137
; %bb.132:                              ;   in Loop: Header=BB367_10 Depth=1
	v_bfe_u32 v10, v4, 24, 7
	v_mov_b32_e32 v80, 0x7f800001
	s_mov_b32 s24, exec_lo
	v_cmpx_ne_u32_e32 0x7f, v10
	s_cbranch_execz .LBB367_136
; %bb.133:                              ;   in Loop: Header=BB367_10 Depth=1
	v_and_b32_sdwa v20, v4, v26 dst_sel:DWORD dst_unused:UNUSED_PAD src0_sel:BYTE_3 src1_sel:DWORD
	v_mov_b32_e32 v33, v21
	v_lshrrev_b32_e32 v5, 3, v10
	s_mov_b32 s25, exec_lo
	v_mov_b32_e32 v32, v20
	v_cmpx_gt_u32_e32 8, v10
; %bb.134:                              ;   in Loop: Header=BB367_10 Depth=1
	v_ffbh_u32_e32 v5, v20
	v_min_u32_e32 v5, 32, v5
	v_subrev_nc_u32_e32 v10, 28, v5
	v_sub_nc_u32_e32 v5, 29, v5
	v_lshlrev_b64 v[10:11], v10, v[20:21]
	v_and_b32_e32 v32, 7, v10
; %bb.135:                              ;   in Loop: Header=BB367_10 Depth=1
	s_or_b32 exec_lo, exec_lo, s25
	v_lshlrev_b32_sdwa v4, v49, v4 dst_sel:DWORD dst_unused:UNUSED_PAD src0_sel:DWORD src1_sel:BYTE_3
	v_lshlrev_b32_e32 v10, 20, v32
	v_lshl_add_u32 v5, v5, 23, 0x3c000000
	v_and_b32_e32 v4, 0x80000000, v4
	v_or3_b32 v80, v10, v4, v5
.LBB367_136:                            ;   in Loop: Header=BB367_10 Depth=1
	s_or_b32 exec_lo, exec_lo, s24
.LBB367_137:                            ;   in Loop: Header=BB367_10 Depth=1
	s_or_b32 exec_lo, exec_lo, s23
.LBB367_138:                            ;   in Loop: Header=BB367_10 Depth=1
	s_or_b32 exec_lo, exec_lo, s17
	flat_load_dword v4, v[30:31] offset:512
	v_mov_b32_e32 v83, 0
	v_mov_b32_e32 v82, 0
	s_waitcnt vmcnt(0) lgkmcnt(0)
	v_cmp_ne_u16_sdwa s6, v4, v21 src0_sel:BYTE_0 src1_sel:DWORD
	s_and_saveexec_b32 s17, s6
	s_cbranch_execz .LBB367_146
; %bb.139:                              ;   in Loop: Header=BB367_10 Depth=1
	v_cmp_ne_u16_sdwa s6, v4, v1 src0_sel:BYTE_0 src1_sel:DWORD
	v_bfrev_b32_e32 v82, 1
	s_and_saveexec_b32 s23, s6
	s_cbranch_execz .LBB367_145
; %bb.140:                              ;   in Loop: Header=BB367_10 Depth=1
	v_and_b32_e32 v10, 0x7f, v4
	v_mov_b32_e32 v82, 0x7f800001
	s_mov_b32 s24, exec_lo
	v_cmpx_ne_u32_e32 0x7f, v10
	s_cbranch_execz .LBB367_144
; %bb.141:                              ;   in Loop: Header=BB367_10 Depth=1
	v_and_b32_e32 v20, 7, v4
	v_mov_b32_e32 v33, v21
	v_lshrrev_b32_e32 v5, 3, v10
	s_mov_b32 s25, exec_lo
	v_mov_b32_e32 v32, v20
	v_cmpx_gt_u32_e32 8, v10
; %bb.142:                              ;   in Loop: Header=BB367_10 Depth=1
	v_ffbh_u32_e32 v5, v20
	v_min_u32_e32 v5, 32, v5
	v_subrev_nc_u32_e32 v10, 28, v5
	v_sub_nc_u32_e32 v5, 29, v5
	v_lshlrev_b64 v[10:11], v10, v[20:21]
	v_and_b32_e32 v32, 7, v10
; %bb.143:                              ;   in Loop: Header=BB367_10 Depth=1
	s_or_b32 exec_lo, exec_lo, s25
	v_lshlrev_b32_e32 v10, 24, v4
	v_lshlrev_b32_e32 v11, 20, v32
	v_lshl_add_u32 v5, v5, 23, 0x3c000000
	v_and_b32_e32 v10, 0x80000000, v10
	v_or3_b32 v82, v11, v10, v5
.LBB367_144:                            ;   in Loop: Header=BB367_10 Depth=1
	s_or_b32 exec_lo, exec_lo, s24
.LBB367_145:                            ;   in Loop: Header=BB367_10 Depth=1
	s_or_b32 exec_lo, exec_lo, s23
.LBB367_146:                            ;   in Loop: Header=BB367_10 Depth=1
	s_or_b32 exec_lo, exec_lo, s17
	v_cmp_ne_u16_sdwa s6, v4, v21 src0_sel:BYTE_1 src1_sel:DWORD
	s_and_saveexec_b32 s17, s6
	s_cbranch_execz .LBB367_154
; %bb.147:                              ;   in Loop: Header=BB367_10 Depth=1
	v_cmp_ne_u16_sdwa s6, v4, v1 src0_sel:BYTE_1 src1_sel:DWORD
	v_bfrev_b32_e32 v83, 1
	s_and_saveexec_b32 s23, s6
	s_cbranch_execz .LBB367_153
; %bb.148:                              ;   in Loop: Header=BB367_10 Depth=1
	v_and_b32_sdwa v5, v0, v4 dst_sel:DWORD dst_unused:UNUSED_PAD src0_sel:DWORD src1_sel:BYTE_1
	v_mov_b32_e32 v83, 0x7f800001
	s_mov_b32 s24, exec_lo
	v_and_b32_e32 v10, 0x7f, v5
	v_cmpx_ne_u32_e32 0x7f, v10
	s_cbranch_execz .LBB367_152
; %bb.149:                              ;   in Loop: Header=BB367_10 Depth=1
	v_and_b32_e32 v20, 7, v5
	v_mov_b32_e32 v33, v21
	v_lshrrev_b32_e32 v5, 3, v10
	s_mov_b32 s25, exec_lo
	v_mov_b32_e32 v32, v20
	v_cmpx_gt_u32_e32 8, v10
; %bb.150:                              ;   in Loop: Header=BB367_10 Depth=1
	v_ffbh_u32_e32 v5, v20
	v_min_u32_e32 v5, 32, v5
	v_subrev_nc_u32_e32 v10, 28, v5
	v_sub_nc_u32_e32 v5, 29, v5
	v_lshlrev_b64 v[10:11], v10, v[20:21]
	v_and_b32_e32 v32, 7, v10
; %bb.151:                              ;   in Loop: Header=BB367_10 Depth=1
	s_or_b32 exec_lo, exec_lo, s25
	v_lshlrev_b32_e32 v10, 16, v4
	v_lshlrev_b32_e32 v11, 20, v32
	v_lshl_add_u32 v5, v5, 23, 0x3c000000
	v_and_b32_e32 v10, 0x80000000, v10
	v_or3_b32 v83, v11, v10, v5
.LBB367_152:                            ;   in Loop: Header=BB367_10 Depth=1
	s_or_b32 exec_lo, exec_lo, s24
.LBB367_153:                            ;   in Loop: Header=BB367_10 Depth=1
	s_or_b32 exec_lo, exec_lo, s23
.LBB367_154:                            ;   in Loop: Header=BB367_10 Depth=1
	s_or_b32 exec_lo, exec_lo, s17
	v_and_b32_sdwa v5, v4, v27 dst_sel:DWORD dst_unused:UNUSED_PAD src0_sel:WORD_1 src1_sel:DWORD
	v_mov_b32_e32 v84, 0
	v_mov_b32_e32 v85, 0
	s_mov_b32 s17, exec_lo
	v_cmpx_ne_u16_e32 0, v5
	s_cbranch_execz .LBB367_162
; %bb.155:                              ;   in Loop: Header=BB367_10 Depth=1
	v_bfrev_b32_e32 v85, 1
	s_mov_b32 s23, exec_lo
	v_cmpx_ne_u16_e32 0x80, v5
	s_cbranch_execz .LBB367_161
; %bb.156:                              ;   in Loop: Header=BB367_10 Depth=1
	v_bfe_u32 v10, v4, 16, 7
	v_mov_b32_e32 v85, 0x7f800001
	s_mov_b32 s24, exec_lo
	v_cmpx_ne_u32_e32 0x7f, v10
	s_cbranch_execz .LBB367_160
; %bb.157:                              ;   in Loop: Header=BB367_10 Depth=1
	v_and_b32_sdwa v20, v4, v26 dst_sel:DWORD dst_unused:UNUSED_PAD src0_sel:WORD_1 src1_sel:DWORD
	v_mov_b32_e32 v33, v21
	v_lshrrev_b32_e32 v5, 3, v10
	s_mov_b32 s25, exec_lo
	v_mov_b32_e32 v32, v20
	v_cmpx_gt_u32_e32 8, v10
; %bb.158:                              ;   in Loop: Header=BB367_10 Depth=1
	v_ffbh_u32_e32 v5, v20
	v_min_u32_e32 v5, 32, v5
	v_subrev_nc_u32_e32 v10, 28, v5
	v_sub_nc_u32_e32 v5, 29, v5
	v_lshlrev_b64 v[10:11], v10, v[20:21]
	v_and_b32_e32 v32, 7, v10
; %bb.159:                              ;   in Loop: Header=BB367_10 Depth=1
	s_or_b32 exec_lo, exec_lo, s25
	v_lshlrev_b32_sdwa v10, v49, v4 dst_sel:DWORD dst_unused:UNUSED_PAD src0_sel:DWORD src1_sel:WORD_1
	v_lshlrev_b32_e32 v11, 20, v32
	v_lshl_add_u32 v5, v5, 23, 0x3c000000
	v_and_b32_e32 v10, 0x80000000, v10
	v_or3_b32 v85, v11, v10, v5
.LBB367_160:                            ;   in Loop: Header=BB367_10 Depth=1
	s_or_b32 exec_lo, exec_lo, s24
.LBB367_161:                            ;   in Loop: Header=BB367_10 Depth=1
	s_or_b32 exec_lo, exec_lo, s23
.LBB367_162:                            ;   in Loop: Header=BB367_10 Depth=1
	s_or_b32 exec_lo, exec_lo, s17
	s_mov_b32 s17, exec_lo
	v_cmpx_lt_u32_e32 0xffffff, v4
	s_cbranch_execz .LBB367_170
; %bb.163:                              ;   in Loop: Header=BB367_10 Depth=1
	v_cmp_ne_u32_sdwa s6, v4, v1 src0_sel:BYTE_3 src1_sel:DWORD
	v_bfrev_b32_e32 v84, 1
	s_and_saveexec_b32 s23, s6
	s_cbranch_execz .LBB367_169
; %bb.164:                              ;   in Loop: Header=BB367_10 Depth=1
	v_bfe_u32 v10, v4, 24, 7
	v_mov_b32_e32 v84, 0x7f800001
	s_mov_b32 s24, exec_lo
	v_cmpx_ne_u32_e32 0x7f, v10
	s_cbranch_execz .LBB367_168
; %bb.165:                              ;   in Loop: Header=BB367_10 Depth=1
	v_and_b32_sdwa v20, v4, v26 dst_sel:DWORD dst_unused:UNUSED_PAD src0_sel:BYTE_3 src1_sel:DWORD
	v_mov_b32_e32 v33, v21
	v_lshrrev_b32_e32 v5, 3, v10
	s_mov_b32 s25, exec_lo
	v_mov_b32_e32 v32, v20
	v_cmpx_gt_u32_e32 8, v10
; %bb.166:                              ;   in Loop: Header=BB367_10 Depth=1
	v_ffbh_u32_e32 v5, v20
	v_min_u32_e32 v5, 32, v5
	v_subrev_nc_u32_e32 v10, 28, v5
	v_sub_nc_u32_e32 v5, 29, v5
	v_lshlrev_b64 v[10:11], v10, v[20:21]
	v_and_b32_e32 v32, 7, v10
; %bb.167:                              ;   in Loop: Header=BB367_10 Depth=1
	s_or_b32 exec_lo, exec_lo, s25
	v_lshlrev_b32_sdwa v4, v49, v4 dst_sel:DWORD dst_unused:UNUSED_PAD src0_sel:DWORD src1_sel:BYTE_3
	v_lshlrev_b32_e32 v10, 20, v32
	v_lshl_add_u32 v5, v5, 23, 0x3c000000
	v_and_b32_e32 v4, 0x80000000, v4
	v_or3_b32 v84, v10, v4, v5
.LBB367_168:                            ;   in Loop: Header=BB367_10 Depth=1
	s_or_b32 exec_lo, exec_lo, s24
.LBB367_169:                            ;   in Loop: Header=BB367_10 Depth=1
	s_or_b32 exec_lo, exec_lo, s23
.LBB367_170:                            ;   in Loop: Header=BB367_10 Depth=1
	s_or_b32 exec_lo, exec_lo, s17
	flat_load_dword v4, v[30:31] offset:520
	v_mov_b32_e32 v87, 0
	v_mov_b32_e32 v86, 0
	s_waitcnt vmcnt(0) lgkmcnt(0)
	v_cmp_ne_u16_sdwa s6, v4, v21 src0_sel:BYTE_0 src1_sel:DWORD
	s_and_saveexec_b32 s17, s6
	s_cbranch_execz .LBB367_178
; %bb.171:                              ;   in Loop: Header=BB367_10 Depth=1
	v_cmp_ne_u16_sdwa s6, v4, v1 src0_sel:BYTE_0 src1_sel:DWORD
	v_bfrev_b32_e32 v86, 1
	s_and_saveexec_b32 s23, s6
	s_cbranch_execz .LBB367_177
; %bb.172:                              ;   in Loop: Header=BB367_10 Depth=1
	v_and_b32_e32 v10, 0x7f, v4
	v_mov_b32_e32 v86, 0x7f800001
	s_mov_b32 s24, exec_lo
	v_cmpx_ne_u32_e32 0x7f, v10
	s_cbranch_execz .LBB367_176
; %bb.173:                              ;   in Loop: Header=BB367_10 Depth=1
	v_and_b32_e32 v20, 7, v4
	v_mov_b32_e32 v33, v21
	v_lshrrev_b32_e32 v5, 3, v10
	s_mov_b32 s25, exec_lo
	v_mov_b32_e32 v32, v20
	v_cmpx_gt_u32_e32 8, v10
; %bb.174:                              ;   in Loop: Header=BB367_10 Depth=1
	v_ffbh_u32_e32 v5, v20
	v_min_u32_e32 v5, 32, v5
	v_subrev_nc_u32_e32 v10, 28, v5
	v_sub_nc_u32_e32 v5, 29, v5
	v_lshlrev_b64 v[10:11], v10, v[20:21]
	v_and_b32_e32 v32, 7, v10
; %bb.175:                              ;   in Loop: Header=BB367_10 Depth=1
	s_or_b32 exec_lo, exec_lo, s25
	v_lshlrev_b32_e32 v10, 24, v4
	v_lshlrev_b32_e32 v11, 20, v32
	v_lshl_add_u32 v5, v5, 23, 0x3c000000
	v_and_b32_e32 v10, 0x80000000, v10
	v_or3_b32 v86, v11, v10, v5
.LBB367_176:                            ;   in Loop: Header=BB367_10 Depth=1
	s_or_b32 exec_lo, exec_lo, s24
.LBB367_177:                            ;   in Loop: Header=BB367_10 Depth=1
	s_or_b32 exec_lo, exec_lo, s23
.LBB367_178:                            ;   in Loop: Header=BB367_10 Depth=1
	s_or_b32 exec_lo, exec_lo, s17
	v_cmp_ne_u16_sdwa s6, v4, v21 src0_sel:BYTE_1 src1_sel:DWORD
	s_and_saveexec_b32 s17, s6
	s_cbranch_execz .LBB367_186
; %bb.179:                              ;   in Loop: Header=BB367_10 Depth=1
	v_cmp_ne_u16_sdwa s6, v4, v1 src0_sel:BYTE_1 src1_sel:DWORD
	v_bfrev_b32_e32 v87, 1
	s_and_saveexec_b32 s23, s6
	s_cbranch_execz .LBB367_185
; %bb.180:                              ;   in Loop: Header=BB367_10 Depth=1
	v_and_b32_sdwa v5, v0, v4 dst_sel:DWORD dst_unused:UNUSED_PAD src0_sel:DWORD src1_sel:BYTE_1
	v_mov_b32_e32 v87, 0x7f800001
	s_mov_b32 s24, exec_lo
	v_and_b32_e32 v10, 0x7f, v5
	v_cmpx_ne_u32_e32 0x7f, v10
	s_cbranch_execz .LBB367_184
; %bb.181:                              ;   in Loop: Header=BB367_10 Depth=1
	v_and_b32_e32 v20, 7, v5
	v_mov_b32_e32 v33, v21
	v_lshrrev_b32_e32 v5, 3, v10
	s_mov_b32 s25, exec_lo
	v_mov_b32_e32 v32, v20
	v_cmpx_gt_u32_e32 8, v10
; %bb.182:                              ;   in Loop: Header=BB367_10 Depth=1
	v_ffbh_u32_e32 v5, v20
	v_min_u32_e32 v5, 32, v5
	v_subrev_nc_u32_e32 v10, 28, v5
	v_sub_nc_u32_e32 v5, 29, v5
	v_lshlrev_b64 v[10:11], v10, v[20:21]
	v_and_b32_e32 v32, 7, v10
; %bb.183:                              ;   in Loop: Header=BB367_10 Depth=1
	s_or_b32 exec_lo, exec_lo, s25
	v_lshlrev_b32_e32 v10, 16, v4
	v_lshlrev_b32_e32 v11, 20, v32
	v_lshl_add_u32 v5, v5, 23, 0x3c000000
	v_and_b32_e32 v10, 0x80000000, v10
	v_or3_b32 v87, v11, v10, v5
.LBB367_184:                            ;   in Loop: Header=BB367_10 Depth=1
	s_or_b32 exec_lo, exec_lo, s24
.LBB367_185:                            ;   in Loop: Header=BB367_10 Depth=1
	s_or_b32 exec_lo, exec_lo, s23
.LBB367_186:                            ;   in Loop: Header=BB367_10 Depth=1
	s_or_b32 exec_lo, exec_lo, s17
	v_and_b32_sdwa v5, v4, v27 dst_sel:DWORD dst_unused:UNUSED_PAD src0_sel:WORD_1 src1_sel:DWORD
	v_mov_b32_e32 v96, 0
	v_mov_b32_e32 v97, 0
	s_mov_b32 s17, exec_lo
	v_cmpx_ne_u16_e32 0, v5
	s_cbranch_execz .LBB367_194
; %bb.187:                              ;   in Loop: Header=BB367_10 Depth=1
	v_bfrev_b32_e32 v97, 1
	s_mov_b32 s23, exec_lo
	v_cmpx_ne_u16_e32 0x80, v5
	s_cbranch_execz .LBB367_193
; %bb.188:                              ;   in Loop: Header=BB367_10 Depth=1
	v_bfe_u32 v10, v4, 16, 7
	v_mov_b32_e32 v97, 0x7f800001
	s_mov_b32 s24, exec_lo
	v_cmpx_ne_u32_e32 0x7f, v10
	s_cbranch_execz .LBB367_192
; %bb.189:                              ;   in Loop: Header=BB367_10 Depth=1
	v_and_b32_sdwa v20, v4, v26 dst_sel:DWORD dst_unused:UNUSED_PAD src0_sel:WORD_1 src1_sel:DWORD
	v_mov_b32_e32 v33, v21
	v_lshrrev_b32_e32 v5, 3, v10
	s_mov_b32 s25, exec_lo
	v_mov_b32_e32 v32, v20
	v_cmpx_gt_u32_e32 8, v10
; %bb.190:                              ;   in Loop: Header=BB367_10 Depth=1
	v_ffbh_u32_e32 v5, v20
	v_min_u32_e32 v5, 32, v5
	v_subrev_nc_u32_e32 v10, 28, v5
	v_sub_nc_u32_e32 v5, 29, v5
	v_lshlrev_b64 v[10:11], v10, v[20:21]
	v_and_b32_e32 v32, 7, v10
; %bb.191:                              ;   in Loop: Header=BB367_10 Depth=1
	s_or_b32 exec_lo, exec_lo, s25
	v_lshlrev_b32_sdwa v10, v49, v4 dst_sel:DWORD dst_unused:UNUSED_PAD src0_sel:DWORD src1_sel:WORD_1
	v_lshlrev_b32_e32 v11, 20, v32
	v_lshl_add_u32 v5, v5, 23, 0x3c000000
	v_and_b32_e32 v10, 0x80000000, v10
	v_or3_b32 v97, v11, v10, v5
.LBB367_192:                            ;   in Loop: Header=BB367_10 Depth=1
	s_or_b32 exec_lo, exec_lo, s24
.LBB367_193:                            ;   in Loop: Header=BB367_10 Depth=1
	s_or_b32 exec_lo, exec_lo, s23
.LBB367_194:                            ;   in Loop: Header=BB367_10 Depth=1
	s_or_b32 exec_lo, exec_lo, s17
	s_mov_b32 s17, exec_lo
	v_cmpx_lt_u32_e32 0xffffff, v4
	s_cbranch_execz .LBB367_202
; %bb.195:                              ;   in Loop: Header=BB367_10 Depth=1
	v_cmp_ne_u32_sdwa s6, v4, v1 src0_sel:BYTE_3 src1_sel:DWORD
	v_bfrev_b32_e32 v96, 1
	s_and_saveexec_b32 s23, s6
	s_cbranch_execz .LBB367_201
; %bb.196:                              ;   in Loop: Header=BB367_10 Depth=1
	v_bfe_u32 v10, v4, 24, 7
	v_mov_b32_e32 v96, 0x7f800001
	s_mov_b32 s24, exec_lo
	v_cmpx_ne_u32_e32 0x7f, v10
	s_cbranch_execz .LBB367_200
; %bb.197:                              ;   in Loop: Header=BB367_10 Depth=1
	v_and_b32_sdwa v20, v4, v26 dst_sel:DWORD dst_unused:UNUSED_PAD src0_sel:BYTE_3 src1_sel:DWORD
	v_mov_b32_e32 v33, v21
	v_lshrrev_b32_e32 v5, 3, v10
	s_mov_b32 s25, exec_lo
	v_mov_b32_e32 v32, v20
	v_cmpx_gt_u32_e32 8, v10
; %bb.198:                              ;   in Loop: Header=BB367_10 Depth=1
	v_ffbh_u32_e32 v5, v20
	v_min_u32_e32 v5, 32, v5
	v_subrev_nc_u32_e32 v10, 28, v5
	v_sub_nc_u32_e32 v5, 29, v5
	v_lshlrev_b64 v[10:11], v10, v[20:21]
	v_and_b32_e32 v32, 7, v10
; %bb.199:                              ;   in Loop: Header=BB367_10 Depth=1
	s_or_b32 exec_lo, exec_lo, s25
	v_lshlrev_b32_sdwa v4, v49, v4 dst_sel:DWORD dst_unused:UNUSED_PAD src0_sel:DWORD src1_sel:BYTE_3
	v_lshlrev_b32_e32 v10, 20, v32
	v_lshl_add_u32 v5, v5, 23, 0x3c000000
	v_and_b32_e32 v4, 0x80000000, v4
	v_or3_b32 v96, v10, v4, v5
.LBB367_200:                            ;   in Loop: Header=BB367_10 Depth=1
	s_or_b32 exec_lo, exec_lo, s24
.LBB367_201:                            ;   in Loop: Header=BB367_10 Depth=1
	s_or_b32 exec_lo, exec_lo, s23
.LBB367_202:                            ;   in Loop: Header=BB367_10 Depth=1
	s_or_b32 exec_lo, exec_lo, s17
	flat_load_dword v4, v[30:31] offset:768
	v_mov_b32_e32 v99, 0
	v_mov_b32_e32 v98, 0
	s_waitcnt vmcnt(0) lgkmcnt(0)
	v_cmp_ne_u16_sdwa s6, v4, v21 src0_sel:BYTE_0 src1_sel:DWORD
	s_and_saveexec_b32 s17, s6
	s_cbranch_execz .LBB367_210
; %bb.203:                              ;   in Loop: Header=BB367_10 Depth=1
	v_cmp_ne_u16_sdwa s6, v4, v1 src0_sel:BYTE_0 src1_sel:DWORD
	v_bfrev_b32_e32 v98, 1
	s_and_saveexec_b32 s23, s6
	s_cbranch_execz .LBB367_209
; %bb.204:                              ;   in Loop: Header=BB367_10 Depth=1
	v_and_b32_e32 v10, 0x7f, v4
	v_mov_b32_e32 v98, 0x7f800001
	s_mov_b32 s24, exec_lo
	v_cmpx_ne_u32_e32 0x7f, v10
	s_cbranch_execz .LBB367_208
; %bb.205:                              ;   in Loop: Header=BB367_10 Depth=1
	v_and_b32_e32 v20, 7, v4
	v_mov_b32_e32 v33, v21
	v_lshrrev_b32_e32 v5, 3, v10
	s_mov_b32 s25, exec_lo
	v_mov_b32_e32 v32, v20
	v_cmpx_gt_u32_e32 8, v10
; %bb.206:                              ;   in Loop: Header=BB367_10 Depth=1
	v_ffbh_u32_e32 v5, v20
	v_min_u32_e32 v5, 32, v5
	v_subrev_nc_u32_e32 v10, 28, v5
	v_sub_nc_u32_e32 v5, 29, v5
	v_lshlrev_b64 v[10:11], v10, v[20:21]
	v_and_b32_e32 v32, 7, v10
; %bb.207:                              ;   in Loop: Header=BB367_10 Depth=1
	s_or_b32 exec_lo, exec_lo, s25
	v_lshlrev_b32_e32 v10, 24, v4
	v_lshlrev_b32_e32 v11, 20, v32
	v_lshl_add_u32 v5, v5, 23, 0x3c000000
	v_and_b32_e32 v10, 0x80000000, v10
	v_or3_b32 v98, v11, v10, v5
.LBB367_208:                            ;   in Loop: Header=BB367_10 Depth=1
	s_or_b32 exec_lo, exec_lo, s24
.LBB367_209:                            ;   in Loop: Header=BB367_10 Depth=1
	s_or_b32 exec_lo, exec_lo, s23
.LBB367_210:                            ;   in Loop: Header=BB367_10 Depth=1
	s_or_b32 exec_lo, exec_lo, s17
	v_cmp_ne_u16_sdwa s6, v4, v21 src0_sel:BYTE_1 src1_sel:DWORD
	s_and_saveexec_b32 s17, s6
	s_cbranch_execz .LBB367_218
; %bb.211:                              ;   in Loop: Header=BB367_10 Depth=1
	v_cmp_ne_u16_sdwa s6, v4, v1 src0_sel:BYTE_1 src1_sel:DWORD
	v_bfrev_b32_e32 v99, 1
	s_and_saveexec_b32 s23, s6
	s_cbranch_execz .LBB367_217
; %bb.212:                              ;   in Loop: Header=BB367_10 Depth=1
	v_and_b32_sdwa v5, v0, v4 dst_sel:DWORD dst_unused:UNUSED_PAD src0_sel:DWORD src1_sel:BYTE_1
	v_mov_b32_e32 v99, 0x7f800001
	s_mov_b32 s24, exec_lo
	v_and_b32_e32 v10, 0x7f, v5
	v_cmpx_ne_u32_e32 0x7f, v10
	s_cbranch_execz .LBB367_216
; %bb.213:                              ;   in Loop: Header=BB367_10 Depth=1
	v_and_b32_e32 v20, 7, v5
	v_mov_b32_e32 v33, v21
	v_lshrrev_b32_e32 v5, 3, v10
	s_mov_b32 s25, exec_lo
	v_mov_b32_e32 v32, v20
	v_cmpx_gt_u32_e32 8, v10
; %bb.214:                              ;   in Loop: Header=BB367_10 Depth=1
	v_ffbh_u32_e32 v5, v20
	v_min_u32_e32 v5, 32, v5
	v_subrev_nc_u32_e32 v10, 28, v5
	v_sub_nc_u32_e32 v5, 29, v5
	v_lshlrev_b64 v[10:11], v10, v[20:21]
	v_and_b32_e32 v32, 7, v10
; %bb.215:                              ;   in Loop: Header=BB367_10 Depth=1
	s_or_b32 exec_lo, exec_lo, s25
	v_lshlrev_b32_e32 v10, 16, v4
	v_lshlrev_b32_e32 v11, 20, v32
	v_lshl_add_u32 v5, v5, 23, 0x3c000000
	v_and_b32_e32 v10, 0x80000000, v10
	v_or3_b32 v99, v11, v10, v5
.LBB367_216:                            ;   in Loop: Header=BB367_10 Depth=1
	s_or_b32 exec_lo, exec_lo, s24
.LBB367_217:                            ;   in Loop: Header=BB367_10 Depth=1
	s_or_b32 exec_lo, exec_lo, s23
.LBB367_218:                            ;   in Loop: Header=BB367_10 Depth=1
	s_or_b32 exec_lo, exec_lo, s17
	v_and_b32_sdwa v5, v4, v27 dst_sel:DWORD dst_unused:UNUSED_PAD src0_sel:WORD_1 src1_sel:DWORD
	v_mov_b32_e32 v100, 0
	v_mov_b32_e32 v101, 0
	s_mov_b32 s17, exec_lo
	v_cmpx_ne_u16_e32 0, v5
	s_cbranch_execz .LBB367_226
; %bb.219:                              ;   in Loop: Header=BB367_10 Depth=1
	v_bfrev_b32_e32 v101, 1
	s_mov_b32 s23, exec_lo
	v_cmpx_ne_u16_e32 0x80, v5
	s_cbranch_execz .LBB367_225
; %bb.220:                              ;   in Loop: Header=BB367_10 Depth=1
	v_bfe_u32 v10, v4, 16, 7
	v_mov_b32_e32 v101, 0x7f800001
	s_mov_b32 s24, exec_lo
	v_cmpx_ne_u32_e32 0x7f, v10
	s_cbranch_execz .LBB367_224
; %bb.221:                              ;   in Loop: Header=BB367_10 Depth=1
	v_and_b32_sdwa v20, v4, v26 dst_sel:DWORD dst_unused:UNUSED_PAD src0_sel:WORD_1 src1_sel:DWORD
	v_mov_b32_e32 v33, v21
	v_lshrrev_b32_e32 v5, 3, v10
	s_mov_b32 s25, exec_lo
	v_mov_b32_e32 v32, v20
	v_cmpx_gt_u32_e32 8, v10
; %bb.222:                              ;   in Loop: Header=BB367_10 Depth=1
	v_ffbh_u32_e32 v5, v20
	v_min_u32_e32 v5, 32, v5
	v_subrev_nc_u32_e32 v10, 28, v5
	v_sub_nc_u32_e32 v5, 29, v5
	v_lshlrev_b64 v[10:11], v10, v[20:21]
	v_and_b32_e32 v32, 7, v10
; %bb.223:                              ;   in Loop: Header=BB367_10 Depth=1
	s_or_b32 exec_lo, exec_lo, s25
	v_lshlrev_b32_sdwa v10, v49, v4 dst_sel:DWORD dst_unused:UNUSED_PAD src0_sel:DWORD src1_sel:WORD_1
	v_lshlrev_b32_e32 v11, 20, v32
	v_lshl_add_u32 v5, v5, 23, 0x3c000000
	v_and_b32_e32 v10, 0x80000000, v10
	v_or3_b32 v101, v11, v10, v5
.LBB367_224:                            ;   in Loop: Header=BB367_10 Depth=1
	s_or_b32 exec_lo, exec_lo, s24
.LBB367_225:                            ;   in Loop: Header=BB367_10 Depth=1
	s_or_b32 exec_lo, exec_lo, s23
.LBB367_226:                            ;   in Loop: Header=BB367_10 Depth=1
	s_or_b32 exec_lo, exec_lo, s17
	s_mov_b32 s17, exec_lo
	v_cmpx_lt_u32_e32 0xffffff, v4
	s_cbranch_execz .LBB367_234
; %bb.227:                              ;   in Loop: Header=BB367_10 Depth=1
	v_cmp_ne_u32_sdwa s6, v4, v1 src0_sel:BYTE_3 src1_sel:DWORD
	v_bfrev_b32_e32 v100, 1
	s_and_saveexec_b32 s23, s6
	s_cbranch_execz .LBB367_233
; %bb.228:                              ;   in Loop: Header=BB367_10 Depth=1
	v_bfe_u32 v10, v4, 24, 7
	v_mov_b32_e32 v100, 0x7f800001
	s_mov_b32 s24, exec_lo
	v_cmpx_ne_u32_e32 0x7f, v10
	s_cbranch_execz .LBB367_232
; %bb.229:                              ;   in Loop: Header=BB367_10 Depth=1
	v_and_b32_sdwa v20, v4, v26 dst_sel:DWORD dst_unused:UNUSED_PAD src0_sel:BYTE_3 src1_sel:DWORD
	v_mov_b32_e32 v33, v21
	v_lshrrev_b32_e32 v5, 3, v10
	s_mov_b32 s25, exec_lo
	v_mov_b32_e32 v32, v20
	v_cmpx_gt_u32_e32 8, v10
; %bb.230:                              ;   in Loop: Header=BB367_10 Depth=1
	v_ffbh_u32_e32 v5, v20
	v_min_u32_e32 v5, 32, v5
	v_subrev_nc_u32_e32 v10, 28, v5
	v_sub_nc_u32_e32 v5, 29, v5
	v_lshlrev_b64 v[10:11], v10, v[20:21]
	v_and_b32_e32 v32, 7, v10
; %bb.231:                              ;   in Loop: Header=BB367_10 Depth=1
	s_or_b32 exec_lo, exec_lo, s25
	v_lshlrev_b32_sdwa v4, v49, v4 dst_sel:DWORD dst_unused:UNUSED_PAD src0_sel:DWORD src1_sel:BYTE_3
	v_lshlrev_b32_e32 v10, 20, v32
	v_lshl_add_u32 v5, v5, 23, 0x3c000000
	v_and_b32_e32 v4, 0x80000000, v4
	v_or3_b32 v100, v10, v4, v5
.LBB367_232:                            ;   in Loop: Header=BB367_10 Depth=1
	s_or_b32 exec_lo, exec_lo, s24
.LBB367_233:                            ;   in Loop: Header=BB367_10 Depth=1
	s_or_b32 exec_lo, exec_lo, s23
.LBB367_234:                            ;   in Loop: Header=BB367_10 Depth=1
	s_or_b32 exec_lo, exec_lo, s17
	flat_load_dword v4, v[30:31] offset:776
	v_mov_b32_e32 v103, 0
	v_mov_b32_e32 v102, 0
	s_waitcnt vmcnt(0) lgkmcnt(0)
	v_cmp_ne_u16_sdwa s6, v4, v21 src0_sel:BYTE_0 src1_sel:DWORD
	s_and_saveexec_b32 s17, s6
	s_cbranch_execz .LBB367_242
; %bb.235:                              ;   in Loop: Header=BB367_10 Depth=1
	v_cmp_ne_u16_sdwa s6, v4, v1 src0_sel:BYTE_0 src1_sel:DWORD
	v_bfrev_b32_e32 v102, 1
	s_and_saveexec_b32 s23, s6
	s_cbranch_execz .LBB367_241
; %bb.236:                              ;   in Loop: Header=BB367_10 Depth=1
	v_and_b32_e32 v10, 0x7f, v4
	v_mov_b32_e32 v102, 0x7f800001
	s_mov_b32 s24, exec_lo
	v_cmpx_ne_u32_e32 0x7f, v10
	s_cbranch_execz .LBB367_240
; %bb.237:                              ;   in Loop: Header=BB367_10 Depth=1
	v_and_b32_e32 v20, 7, v4
	v_mov_b32_e32 v33, v21
	v_lshrrev_b32_e32 v5, 3, v10
	s_mov_b32 s25, exec_lo
	v_mov_b32_e32 v32, v20
	v_cmpx_gt_u32_e32 8, v10
; %bb.238:                              ;   in Loop: Header=BB367_10 Depth=1
	v_ffbh_u32_e32 v5, v20
	v_min_u32_e32 v5, 32, v5
	v_subrev_nc_u32_e32 v10, 28, v5
	v_sub_nc_u32_e32 v5, 29, v5
	v_lshlrev_b64 v[10:11], v10, v[20:21]
	v_and_b32_e32 v32, 7, v10
; %bb.239:                              ;   in Loop: Header=BB367_10 Depth=1
	s_or_b32 exec_lo, exec_lo, s25
	v_lshlrev_b32_e32 v10, 24, v4
	v_lshlrev_b32_e32 v11, 20, v32
	v_lshl_add_u32 v5, v5, 23, 0x3c000000
	v_and_b32_e32 v10, 0x80000000, v10
	v_or3_b32 v102, v11, v10, v5
.LBB367_240:                            ;   in Loop: Header=BB367_10 Depth=1
	s_or_b32 exec_lo, exec_lo, s24
.LBB367_241:                            ;   in Loop: Header=BB367_10 Depth=1
	s_or_b32 exec_lo, exec_lo, s23
.LBB367_242:                            ;   in Loop: Header=BB367_10 Depth=1
	s_or_b32 exec_lo, exec_lo, s17
	v_cmp_ne_u16_sdwa s6, v4, v21 src0_sel:BYTE_1 src1_sel:DWORD
	s_and_saveexec_b32 s17, s6
	s_cbranch_execz .LBB367_250
; %bb.243:                              ;   in Loop: Header=BB367_10 Depth=1
	v_cmp_ne_u16_sdwa s6, v4, v1 src0_sel:BYTE_1 src1_sel:DWORD
	v_bfrev_b32_e32 v103, 1
	s_and_saveexec_b32 s23, s6
	s_cbranch_execz .LBB367_249
; %bb.244:                              ;   in Loop: Header=BB367_10 Depth=1
	v_and_b32_sdwa v5, v0, v4 dst_sel:DWORD dst_unused:UNUSED_PAD src0_sel:DWORD src1_sel:BYTE_1
	v_mov_b32_e32 v103, 0x7f800001
	s_mov_b32 s24, exec_lo
	v_and_b32_e32 v10, 0x7f, v5
	v_cmpx_ne_u32_e32 0x7f, v10
	s_cbranch_execz .LBB367_248
; %bb.245:                              ;   in Loop: Header=BB367_10 Depth=1
	v_and_b32_e32 v20, 7, v5
	v_mov_b32_e32 v33, v21
	v_lshrrev_b32_e32 v5, 3, v10
	s_mov_b32 s25, exec_lo
	v_mov_b32_e32 v32, v20
	v_cmpx_gt_u32_e32 8, v10
; %bb.246:                              ;   in Loop: Header=BB367_10 Depth=1
	v_ffbh_u32_e32 v5, v20
	v_min_u32_e32 v5, 32, v5
	v_subrev_nc_u32_e32 v10, 28, v5
	v_sub_nc_u32_e32 v5, 29, v5
	v_lshlrev_b64 v[10:11], v10, v[20:21]
	v_and_b32_e32 v32, 7, v10
; %bb.247:                              ;   in Loop: Header=BB367_10 Depth=1
	s_or_b32 exec_lo, exec_lo, s25
	v_lshlrev_b32_e32 v10, 16, v4
	v_lshlrev_b32_e32 v11, 20, v32
	v_lshl_add_u32 v5, v5, 23, 0x3c000000
	v_and_b32_e32 v10, 0x80000000, v10
	v_or3_b32 v103, v11, v10, v5
.LBB367_248:                            ;   in Loop: Header=BB367_10 Depth=1
	s_or_b32 exec_lo, exec_lo, s24
.LBB367_249:                            ;   in Loop: Header=BB367_10 Depth=1
	s_or_b32 exec_lo, exec_lo, s23
.LBB367_250:                            ;   in Loop: Header=BB367_10 Depth=1
	s_or_b32 exec_lo, exec_lo, s17
	v_and_b32_sdwa v5, v4, v27 dst_sel:DWORD dst_unused:UNUSED_PAD src0_sel:WORD_1 src1_sel:DWORD
	v_mov_b32_e32 v112, 0
	v_mov_b32_e32 v113, 0
	s_mov_b32 s17, exec_lo
	v_cmpx_ne_u16_e32 0, v5
	s_cbranch_execz .LBB367_258
; %bb.251:                              ;   in Loop: Header=BB367_10 Depth=1
	v_bfrev_b32_e32 v113, 1
	s_mov_b32 s23, exec_lo
	v_cmpx_ne_u16_e32 0x80, v5
	s_cbranch_execz .LBB367_257
; %bb.252:                              ;   in Loop: Header=BB367_10 Depth=1
	v_bfe_u32 v10, v4, 16, 7
	v_mov_b32_e32 v113, 0x7f800001
	s_mov_b32 s24, exec_lo
	v_cmpx_ne_u32_e32 0x7f, v10
	s_cbranch_execz .LBB367_256
; %bb.253:                              ;   in Loop: Header=BB367_10 Depth=1
	v_and_b32_sdwa v20, v4, v26 dst_sel:DWORD dst_unused:UNUSED_PAD src0_sel:WORD_1 src1_sel:DWORD
	v_mov_b32_e32 v33, v21
	v_lshrrev_b32_e32 v5, 3, v10
	s_mov_b32 s25, exec_lo
	v_mov_b32_e32 v32, v20
	v_cmpx_gt_u32_e32 8, v10
; %bb.254:                              ;   in Loop: Header=BB367_10 Depth=1
	v_ffbh_u32_e32 v5, v20
	v_min_u32_e32 v5, 32, v5
	v_subrev_nc_u32_e32 v10, 28, v5
	v_sub_nc_u32_e32 v5, 29, v5
	v_lshlrev_b64 v[10:11], v10, v[20:21]
	v_and_b32_e32 v32, 7, v10
; %bb.255:                              ;   in Loop: Header=BB367_10 Depth=1
	s_or_b32 exec_lo, exec_lo, s25
	v_lshlrev_b32_sdwa v10, v49, v4 dst_sel:DWORD dst_unused:UNUSED_PAD src0_sel:DWORD src1_sel:WORD_1
	v_lshlrev_b32_e32 v11, 20, v32
	v_lshl_add_u32 v5, v5, 23, 0x3c000000
	v_and_b32_e32 v10, 0x80000000, v10
	v_or3_b32 v113, v11, v10, v5
.LBB367_256:                            ;   in Loop: Header=BB367_10 Depth=1
	s_or_b32 exec_lo, exec_lo, s24
.LBB367_257:                            ;   in Loop: Header=BB367_10 Depth=1
	s_or_b32 exec_lo, exec_lo, s23
.LBB367_258:                            ;   in Loop: Header=BB367_10 Depth=1
	s_or_b32 exec_lo, exec_lo, s17
	s_mov_b32 s17, exec_lo
	v_cmpx_lt_u32_e32 0xffffff, v4
	s_cbranch_execz .LBB367_266
; %bb.259:                              ;   in Loop: Header=BB367_10 Depth=1
	v_cmp_ne_u32_sdwa s6, v4, v1 src0_sel:BYTE_3 src1_sel:DWORD
	v_bfrev_b32_e32 v112, 1
	s_and_saveexec_b32 s23, s6
	s_cbranch_execz .LBB367_265
; %bb.260:                              ;   in Loop: Header=BB367_10 Depth=1
	v_bfe_u32 v10, v4, 24, 7
	v_mov_b32_e32 v112, 0x7f800001
	s_mov_b32 s24, exec_lo
	v_cmpx_ne_u32_e32 0x7f, v10
	s_cbranch_execz .LBB367_264
; %bb.261:                              ;   in Loop: Header=BB367_10 Depth=1
	v_and_b32_sdwa v20, v4, v26 dst_sel:DWORD dst_unused:UNUSED_PAD src0_sel:BYTE_3 src1_sel:DWORD
	v_mov_b32_e32 v33, v21
	v_lshrrev_b32_e32 v5, 3, v10
	s_mov_b32 s25, exec_lo
	v_mov_b32_e32 v32, v20
	v_cmpx_gt_u32_e32 8, v10
; %bb.262:                              ;   in Loop: Header=BB367_10 Depth=1
	v_ffbh_u32_e32 v5, v20
	v_min_u32_e32 v5, 32, v5
	v_subrev_nc_u32_e32 v10, 28, v5
	v_sub_nc_u32_e32 v5, 29, v5
	v_lshlrev_b64 v[10:11], v10, v[20:21]
	v_and_b32_e32 v32, 7, v10
; %bb.263:                              ;   in Loop: Header=BB367_10 Depth=1
	s_or_b32 exec_lo, exec_lo, s25
	v_lshlrev_b32_sdwa v4, v49, v4 dst_sel:DWORD dst_unused:UNUSED_PAD src0_sel:DWORD src1_sel:BYTE_3
	v_lshlrev_b32_e32 v10, 20, v32
	v_lshl_add_u32 v5, v5, 23, 0x3c000000
	v_and_b32_e32 v4, 0x80000000, v4
	v_or3_b32 v112, v10, v4, v5
.LBB367_264:                            ;   in Loop: Header=BB367_10 Depth=1
	s_or_b32 exec_lo, exec_lo, s24
.LBB367_265:                            ;   in Loop: Header=BB367_10 Depth=1
	s_or_b32 exec_lo, exec_lo, s23
.LBB367_266:                            ;   in Loop: Header=BB367_10 Depth=1
	s_or_b32 exec_lo, exec_lo, s17
	flat_load_dword v4, v[30:31] offset:1024
	v_mov_b32_e32 v115, 0
	v_mov_b32_e32 v114, 0
	s_waitcnt vmcnt(0) lgkmcnt(0)
	v_cmp_ne_u16_sdwa s6, v4, v21 src0_sel:BYTE_0 src1_sel:DWORD
	s_and_saveexec_b32 s17, s6
	s_cbranch_execz .LBB367_274
; %bb.267:                              ;   in Loop: Header=BB367_10 Depth=1
	v_cmp_ne_u16_sdwa s6, v4, v1 src0_sel:BYTE_0 src1_sel:DWORD
	v_bfrev_b32_e32 v114, 1
	s_and_saveexec_b32 s23, s6
	s_cbranch_execz .LBB367_273
; %bb.268:                              ;   in Loop: Header=BB367_10 Depth=1
	v_and_b32_e32 v10, 0x7f, v4
	v_mov_b32_e32 v114, 0x7f800001
	s_mov_b32 s24, exec_lo
	v_cmpx_ne_u32_e32 0x7f, v10
	s_cbranch_execz .LBB367_272
; %bb.269:                              ;   in Loop: Header=BB367_10 Depth=1
	v_and_b32_e32 v20, 7, v4
	v_mov_b32_e32 v33, v21
	v_lshrrev_b32_e32 v5, 3, v10
	s_mov_b32 s25, exec_lo
	v_mov_b32_e32 v32, v20
	v_cmpx_gt_u32_e32 8, v10
; %bb.270:                              ;   in Loop: Header=BB367_10 Depth=1
	v_ffbh_u32_e32 v5, v20
	v_min_u32_e32 v5, 32, v5
	v_subrev_nc_u32_e32 v10, 28, v5
	v_sub_nc_u32_e32 v5, 29, v5
	v_lshlrev_b64 v[10:11], v10, v[20:21]
	v_and_b32_e32 v32, 7, v10
; %bb.271:                              ;   in Loop: Header=BB367_10 Depth=1
	s_or_b32 exec_lo, exec_lo, s25
	v_lshlrev_b32_e32 v10, 24, v4
	v_lshlrev_b32_e32 v11, 20, v32
	v_lshl_add_u32 v5, v5, 23, 0x3c000000
	v_and_b32_e32 v10, 0x80000000, v10
	v_or3_b32 v114, v11, v10, v5
.LBB367_272:                            ;   in Loop: Header=BB367_10 Depth=1
	s_or_b32 exec_lo, exec_lo, s24
.LBB367_273:                            ;   in Loop: Header=BB367_10 Depth=1
	s_or_b32 exec_lo, exec_lo, s23
.LBB367_274:                            ;   in Loop: Header=BB367_10 Depth=1
	s_or_b32 exec_lo, exec_lo, s17
	v_cmp_ne_u16_sdwa s6, v4, v21 src0_sel:BYTE_1 src1_sel:DWORD
	s_and_saveexec_b32 s17, s6
	s_cbranch_execz .LBB367_282
; %bb.275:                              ;   in Loop: Header=BB367_10 Depth=1
	v_cmp_ne_u16_sdwa s6, v4, v1 src0_sel:BYTE_1 src1_sel:DWORD
	v_bfrev_b32_e32 v115, 1
	s_and_saveexec_b32 s23, s6
	s_cbranch_execz .LBB367_281
; %bb.276:                              ;   in Loop: Header=BB367_10 Depth=1
	v_and_b32_sdwa v5, v0, v4 dst_sel:DWORD dst_unused:UNUSED_PAD src0_sel:DWORD src1_sel:BYTE_1
	v_mov_b32_e32 v115, 0x7f800001
	s_mov_b32 s24, exec_lo
	v_and_b32_e32 v10, 0x7f, v5
	v_cmpx_ne_u32_e32 0x7f, v10
	s_cbranch_execz .LBB367_280
; %bb.277:                              ;   in Loop: Header=BB367_10 Depth=1
	v_and_b32_e32 v20, 7, v5
	v_mov_b32_e32 v33, v21
	v_lshrrev_b32_e32 v5, 3, v10
	s_mov_b32 s25, exec_lo
	v_mov_b32_e32 v32, v20
	v_cmpx_gt_u32_e32 8, v10
; %bb.278:                              ;   in Loop: Header=BB367_10 Depth=1
	v_ffbh_u32_e32 v5, v20
	v_min_u32_e32 v5, 32, v5
	v_subrev_nc_u32_e32 v10, 28, v5
	v_sub_nc_u32_e32 v5, 29, v5
	v_lshlrev_b64 v[10:11], v10, v[20:21]
	v_and_b32_e32 v32, 7, v10
; %bb.279:                              ;   in Loop: Header=BB367_10 Depth=1
	s_or_b32 exec_lo, exec_lo, s25
	v_lshlrev_b32_e32 v10, 16, v4
	v_lshlrev_b32_e32 v11, 20, v32
	v_lshl_add_u32 v5, v5, 23, 0x3c000000
	v_and_b32_e32 v10, 0x80000000, v10
	v_or3_b32 v115, v11, v10, v5
.LBB367_280:                            ;   in Loop: Header=BB367_10 Depth=1
	s_or_b32 exec_lo, exec_lo, s24
.LBB367_281:                            ;   in Loop: Header=BB367_10 Depth=1
	s_or_b32 exec_lo, exec_lo, s23
.LBB367_282:                            ;   in Loop: Header=BB367_10 Depth=1
	s_or_b32 exec_lo, exec_lo, s17
	v_and_b32_sdwa v5, v4, v27 dst_sel:DWORD dst_unused:UNUSED_PAD src0_sel:WORD_1 src1_sel:DWORD
	v_mov_b32_e32 v116, 0
	v_mov_b32_e32 v117, 0
	s_mov_b32 s17, exec_lo
	v_cmpx_ne_u16_e32 0, v5
	s_cbranch_execz .LBB367_290
; %bb.283:                              ;   in Loop: Header=BB367_10 Depth=1
	v_bfrev_b32_e32 v117, 1
	s_mov_b32 s23, exec_lo
	v_cmpx_ne_u16_e32 0x80, v5
	s_cbranch_execz .LBB367_289
; %bb.284:                              ;   in Loop: Header=BB367_10 Depth=1
	v_bfe_u32 v10, v4, 16, 7
	v_mov_b32_e32 v117, 0x7f800001
	s_mov_b32 s24, exec_lo
	v_cmpx_ne_u32_e32 0x7f, v10
	s_cbranch_execz .LBB367_288
; %bb.285:                              ;   in Loop: Header=BB367_10 Depth=1
	v_and_b32_sdwa v20, v4, v26 dst_sel:DWORD dst_unused:UNUSED_PAD src0_sel:WORD_1 src1_sel:DWORD
	v_mov_b32_e32 v33, v21
	v_lshrrev_b32_e32 v5, 3, v10
	s_mov_b32 s25, exec_lo
	v_mov_b32_e32 v32, v20
	v_cmpx_gt_u32_e32 8, v10
; %bb.286:                              ;   in Loop: Header=BB367_10 Depth=1
	v_ffbh_u32_e32 v5, v20
	v_min_u32_e32 v5, 32, v5
	v_subrev_nc_u32_e32 v10, 28, v5
	v_sub_nc_u32_e32 v5, 29, v5
	v_lshlrev_b64 v[10:11], v10, v[20:21]
	v_and_b32_e32 v32, 7, v10
; %bb.287:                              ;   in Loop: Header=BB367_10 Depth=1
	s_or_b32 exec_lo, exec_lo, s25
	v_lshlrev_b32_sdwa v10, v49, v4 dst_sel:DWORD dst_unused:UNUSED_PAD src0_sel:DWORD src1_sel:WORD_1
	v_lshlrev_b32_e32 v11, 20, v32
	v_lshl_add_u32 v5, v5, 23, 0x3c000000
	v_and_b32_e32 v10, 0x80000000, v10
	v_or3_b32 v117, v11, v10, v5
.LBB367_288:                            ;   in Loop: Header=BB367_10 Depth=1
	s_or_b32 exec_lo, exec_lo, s24
.LBB367_289:                            ;   in Loop: Header=BB367_10 Depth=1
	s_or_b32 exec_lo, exec_lo, s23
.LBB367_290:                            ;   in Loop: Header=BB367_10 Depth=1
	s_or_b32 exec_lo, exec_lo, s17
	s_mov_b32 s17, exec_lo
	v_cmpx_lt_u32_e32 0xffffff, v4
	s_cbranch_execz .LBB367_298
; %bb.291:                              ;   in Loop: Header=BB367_10 Depth=1
	v_cmp_ne_u32_sdwa s6, v4, v1 src0_sel:BYTE_3 src1_sel:DWORD
	v_bfrev_b32_e32 v116, 1
	s_and_saveexec_b32 s23, s6
	s_cbranch_execz .LBB367_297
; %bb.292:                              ;   in Loop: Header=BB367_10 Depth=1
	v_bfe_u32 v10, v4, 24, 7
	v_mov_b32_e32 v116, 0x7f800001
	s_mov_b32 s24, exec_lo
	v_cmpx_ne_u32_e32 0x7f, v10
	s_cbranch_execz .LBB367_296
; %bb.293:                              ;   in Loop: Header=BB367_10 Depth=1
	v_and_b32_sdwa v20, v4, v26 dst_sel:DWORD dst_unused:UNUSED_PAD src0_sel:BYTE_3 src1_sel:DWORD
	v_mov_b32_e32 v33, v21
	v_lshrrev_b32_e32 v5, 3, v10
	s_mov_b32 s25, exec_lo
	v_mov_b32_e32 v32, v20
	v_cmpx_gt_u32_e32 8, v10
; %bb.294:                              ;   in Loop: Header=BB367_10 Depth=1
	v_ffbh_u32_e32 v5, v20
	v_min_u32_e32 v5, 32, v5
	v_subrev_nc_u32_e32 v10, 28, v5
	v_sub_nc_u32_e32 v5, 29, v5
	v_lshlrev_b64 v[10:11], v10, v[20:21]
	v_and_b32_e32 v32, 7, v10
; %bb.295:                              ;   in Loop: Header=BB367_10 Depth=1
	s_or_b32 exec_lo, exec_lo, s25
	v_lshlrev_b32_sdwa v4, v49, v4 dst_sel:DWORD dst_unused:UNUSED_PAD src0_sel:DWORD src1_sel:BYTE_3
	v_lshlrev_b32_e32 v10, 20, v32
	v_lshl_add_u32 v5, v5, 23, 0x3c000000
	v_and_b32_e32 v4, 0x80000000, v4
	v_or3_b32 v116, v10, v4, v5
.LBB367_296:                            ;   in Loop: Header=BB367_10 Depth=1
	s_or_b32 exec_lo, exec_lo, s24
.LBB367_297:                            ;   in Loop: Header=BB367_10 Depth=1
	s_or_b32 exec_lo, exec_lo, s23
.LBB367_298:                            ;   in Loop: Header=BB367_10 Depth=1
	s_or_b32 exec_lo, exec_lo, s17
	flat_load_dword v4, v[30:31] offset:1032
	v_mov_b32_e32 v119, 0
	v_mov_b32_e32 v118, 0
	s_waitcnt vmcnt(0) lgkmcnt(0)
	v_cmp_ne_u16_sdwa s6, v4, v21 src0_sel:BYTE_0 src1_sel:DWORD
	s_and_saveexec_b32 s17, s6
	s_cbranch_execz .LBB367_306
; %bb.299:                              ;   in Loop: Header=BB367_10 Depth=1
	v_cmp_ne_u16_sdwa s6, v4, v1 src0_sel:BYTE_0 src1_sel:DWORD
	v_bfrev_b32_e32 v118, 1
	s_and_saveexec_b32 s23, s6
	s_cbranch_execz .LBB367_305
; %bb.300:                              ;   in Loop: Header=BB367_10 Depth=1
	v_and_b32_e32 v10, 0x7f, v4
	v_mov_b32_e32 v118, 0x7f800001
	s_mov_b32 s24, exec_lo
	v_cmpx_ne_u32_e32 0x7f, v10
	s_cbranch_execz .LBB367_304
; %bb.301:                              ;   in Loop: Header=BB367_10 Depth=1
	v_and_b32_e32 v20, 7, v4
	v_mov_b32_e32 v33, v21
	v_lshrrev_b32_e32 v5, 3, v10
	s_mov_b32 s25, exec_lo
	v_mov_b32_e32 v32, v20
	v_cmpx_gt_u32_e32 8, v10
; %bb.302:                              ;   in Loop: Header=BB367_10 Depth=1
	v_ffbh_u32_e32 v5, v20
	v_min_u32_e32 v5, 32, v5
	v_subrev_nc_u32_e32 v10, 28, v5
	v_sub_nc_u32_e32 v5, 29, v5
	v_lshlrev_b64 v[10:11], v10, v[20:21]
	v_and_b32_e32 v32, 7, v10
; %bb.303:                              ;   in Loop: Header=BB367_10 Depth=1
	s_or_b32 exec_lo, exec_lo, s25
	v_lshlrev_b32_e32 v10, 24, v4
	v_lshlrev_b32_e32 v11, 20, v32
	v_lshl_add_u32 v5, v5, 23, 0x3c000000
	v_and_b32_e32 v10, 0x80000000, v10
	v_or3_b32 v118, v11, v10, v5
.LBB367_304:                            ;   in Loop: Header=BB367_10 Depth=1
	s_or_b32 exec_lo, exec_lo, s24
.LBB367_305:                            ;   in Loop: Header=BB367_10 Depth=1
	s_or_b32 exec_lo, exec_lo, s23
.LBB367_306:                            ;   in Loop: Header=BB367_10 Depth=1
	s_or_b32 exec_lo, exec_lo, s17
	v_cmp_ne_u16_sdwa s6, v4, v21 src0_sel:BYTE_1 src1_sel:DWORD
	s_and_saveexec_b32 s17, s6
	s_cbranch_execz .LBB367_314
; %bb.307:                              ;   in Loop: Header=BB367_10 Depth=1
	v_cmp_ne_u16_sdwa s6, v4, v1 src0_sel:BYTE_1 src1_sel:DWORD
	v_bfrev_b32_e32 v119, 1
	s_and_saveexec_b32 s23, s6
	s_cbranch_execz .LBB367_313
; %bb.308:                              ;   in Loop: Header=BB367_10 Depth=1
	v_and_b32_sdwa v5, v0, v4 dst_sel:DWORD dst_unused:UNUSED_PAD src0_sel:DWORD src1_sel:BYTE_1
	v_mov_b32_e32 v119, 0x7f800001
	s_mov_b32 s24, exec_lo
	v_and_b32_e32 v10, 0x7f, v5
	v_cmpx_ne_u32_e32 0x7f, v10
	s_cbranch_execz .LBB367_312
; %bb.309:                              ;   in Loop: Header=BB367_10 Depth=1
	v_and_b32_e32 v20, 7, v5
	v_mov_b32_e32 v33, v21
	v_lshrrev_b32_e32 v5, 3, v10
	s_mov_b32 s25, exec_lo
	v_mov_b32_e32 v32, v20
	v_cmpx_gt_u32_e32 8, v10
; %bb.310:                              ;   in Loop: Header=BB367_10 Depth=1
	v_ffbh_u32_e32 v5, v20
	v_min_u32_e32 v5, 32, v5
	v_subrev_nc_u32_e32 v10, 28, v5
	v_sub_nc_u32_e32 v5, 29, v5
	v_lshlrev_b64 v[10:11], v10, v[20:21]
	v_and_b32_e32 v32, 7, v10
; %bb.311:                              ;   in Loop: Header=BB367_10 Depth=1
	s_or_b32 exec_lo, exec_lo, s25
	v_lshlrev_b32_e32 v10, 16, v4
	v_lshlrev_b32_e32 v11, 20, v32
	v_lshl_add_u32 v5, v5, 23, 0x3c000000
	v_and_b32_e32 v10, 0x80000000, v10
	v_or3_b32 v119, v11, v10, v5
.LBB367_312:                            ;   in Loop: Header=BB367_10 Depth=1
	s_or_b32 exec_lo, exec_lo, s24
.LBB367_313:                            ;   in Loop: Header=BB367_10 Depth=1
	s_or_b32 exec_lo, exec_lo, s23
.LBB367_314:                            ;   in Loop: Header=BB367_10 Depth=1
	s_or_b32 exec_lo, exec_lo, s17
	v_and_b32_sdwa v5, v4, v27 dst_sel:DWORD dst_unused:UNUSED_PAD src0_sel:WORD_1 src1_sel:DWORD
	v_mov_b32_e32 v40, 0
	v_mov_b32_e32 v41, 0
	s_mov_b32 s17, exec_lo
	v_cmpx_ne_u16_e32 0, v5
	s_cbranch_execz .LBB367_322
; %bb.315:                              ;   in Loop: Header=BB367_10 Depth=1
	v_bfrev_b32_e32 v41, 1
	s_mov_b32 s23, exec_lo
	v_cmpx_ne_u16_e32 0x80, v5
	s_cbranch_execz .LBB367_321
; %bb.316:                              ;   in Loop: Header=BB367_10 Depth=1
	v_bfe_u32 v10, v4, 16, 7
	v_mov_b32_e32 v41, 0x7f800001
	s_mov_b32 s24, exec_lo
	v_cmpx_ne_u32_e32 0x7f, v10
	s_cbranch_execz .LBB367_320
; %bb.317:                              ;   in Loop: Header=BB367_10 Depth=1
	v_and_b32_sdwa v20, v4, v26 dst_sel:DWORD dst_unused:UNUSED_PAD src0_sel:WORD_1 src1_sel:DWORD
	v_mov_b32_e32 v33, v21
	v_lshrrev_b32_e32 v5, 3, v10
	s_mov_b32 s25, exec_lo
	v_mov_b32_e32 v32, v20
	v_cmpx_gt_u32_e32 8, v10
; %bb.318:                              ;   in Loop: Header=BB367_10 Depth=1
	v_ffbh_u32_e32 v5, v20
	v_min_u32_e32 v5, 32, v5
	v_subrev_nc_u32_e32 v10, 28, v5
	v_sub_nc_u32_e32 v5, 29, v5
	v_lshlrev_b64 v[10:11], v10, v[20:21]
	v_and_b32_e32 v32, 7, v10
; %bb.319:                              ;   in Loop: Header=BB367_10 Depth=1
	s_or_b32 exec_lo, exec_lo, s25
	v_lshlrev_b32_sdwa v10, v49, v4 dst_sel:DWORD dst_unused:UNUSED_PAD src0_sel:DWORD src1_sel:WORD_1
	v_lshlrev_b32_e32 v11, 20, v32
	v_lshl_add_u32 v5, v5, 23, 0x3c000000
	v_and_b32_e32 v10, 0x80000000, v10
	v_or3_b32 v41, v11, v10, v5
.LBB367_320:                            ;   in Loop: Header=BB367_10 Depth=1
	s_or_b32 exec_lo, exec_lo, s24
.LBB367_321:                            ;   in Loop: Header=BB367_10 Depth=1
	s_or_b32 exec_lo, exec_lo, s23
.LBB367_322:                            ;   in Loop: Header=BB367_10 Depth=1
	s_or_b32 exec_lo, exec_lo, s17
	s_mov_b32 s17, exec_lo
	v_cmpx_lt_u32_e32 0xffffff, v4
	s_cbranch_execz .LBB367_330
; %bb.323:                              ;   in Loop: Header=BB367_10 Depth=1
	v_cmp_ne_u32_sdwa s6, v4, v1 src0_sel:BYTE_3 src1_sel:DWORD
	v_bfrev_b32_e32 v40, 1
	s_and_saveexec_b32 s23, s6
	s_cbranch_execz .LBB367_329
; %bb.324:                              ;   in Loop: Header=BB367_10 Depth=1
	v_bfe_u32 v10, v4, 24, 7
	v_mov_b32_e32 v40, 0x7f800001
	s_mov_b32 s24, exec_lo
	v_cmpx_ne_u32_e32 0x7f, v10
	s_cbranch_execz .LBB367_328
; %bb.325:                              ;   in Loop: Header=BB367_10 Depth=1
	v_and_b32_sdwa v20, v4, v26 dst_sel:DWORD dst_unused:UNUSED_PAD src0_sel:BYTE_3 src1_sel:DWORD
	v_mov_b32_e32 v33, v21
	v_lshrrev_b32_e32 v5, 3, v10
	s_mov_b32 s25, exec_lo
	v_mov_b32_e32 v32, v20
	v_cmpx_gt_u32_e32 8, v10
; %bb.326:                              ;   in Loop: Header=BB367_10 Depth=1
	v_ffbh_u32_e32 v5, v20
	v_min_u32_e32 v5, 32, v5
	v_subrev_nc_u32_e32 v10, 28, v5
	v_sub_nc_u32_e32 v5, 29, v5
	v_lshlrev_b64 v[10:11], v10, v[20:21]
	v_and_b32_e32 v32, 7, v10
; %bb.327:                              ;   in Loop: Header=BB367_10 Depth=1
	s_or_b32 exec_lo, exec_lo, s25
	v_lshlrev_b32_sdwa v4, v49, v4 dst_sel:DWORD dst_unused:UNUSED_PAD src0_sel:DWORD src1_sel:BYTE_3
	v_lshlrev_b32_e32 v10, 20, v32
	v_lshl_add_u32 v5, v5, 23, 0x3c000000
	v_and_b32_e32 v4, 0x80000000, v4
	v_or3_b32 v40, v10, v4, v5
.LBB367_328:                            ;   in Loop: Header=BB367_10 Depth=1
	s_or_b32 exec_lo, exec_lo, s24
.LBB367_329:                            ;   in Loop: Header=BB367_10 Depth=1
	s_or_b32 exec_lo, exec_lo, s23
.LBB367_330:                            ;   in Loop: Header=BB367_10 Depth=1
	s_or_b32 exec_lo, exec_lo, s17
	flat_load_dword v4, v[30:31] offset:1280
	v_mov_b32_e32 v43, 0
	v_mov_b32_e32 v42, 0
	s_waitcnt vmcnt(0) lgkmcnt(0)
	v_cmp_ne_u16_sdwa s6, v4, v21 src0_sel:BYTE_0 src1_sel:DWORD
	s_and_saveexec_b32 s17, s6
	s_cbranch_execz .LBB367_338
; %bb.331:                              ;   in Loop: Header=BB367_10 Depth=1
	v_cmp_ne_u16_sdwa s6, v4, v1 src0_sel:BYTE_0 src1_sel:DWORD
	v_bfrev_b32_e32 v42, 1
	s_and_saveexec_b32 s23, s6
	s_cbranch_execz .LBB367_337
; %bb.332:                              ;   in Loop: Header=BB367_10 Depth=1
	v_and_b32_e32 v10, 0x7f, v4
	v_mov_b32_e32 v42, 0x7f800001
	s_mov_b32 s24, exec_lo
	v_cmpx_ne_u32_e32 0x7f, v10
	s_cbranch_execz .LBB367_336
; %bb.333:                              ;   in Loop: Header=BB367_10 Depth=1
	v_and_b32_e32 v20, 7, v4
	v_mov_b32_e32 v33, v21
	v_lshrrev_b32_e32 v5, 3, v10
	s_mov_b32 s25, exec_lo
	v_mov_b32_e32 v32, v20
	v_cmpx_gt_u32_e32 8, v10
; %bb.334:                              ;   in Loop: Header=BB367_10 Depth=1
	v_ffbh_u32_e32 v5, v20
	v_min_u32_e32 v5, 32, v5
	v_subrev_nc_u32_e32 v10, 28, v5
	v_sub_nc_u32_e32 v5, 29, v5
	v_lshlrev_b64 v[10:11], v10, v[20:21]
	v_and_b32_e32 v32, 7, v10
; %bb.335:                              ;   in Loop: Header=BB367_10 Depth=1
	s_or_b32 exec_lo, exec_lo, s25
	v_lshlrev_b32_e32 v10, 24, v4
	v_lshlrev_b32_e32 v11, 20, v32
	v_lshl_add_u32 v5, v5, 23, 0x3c000000
	v_and_b32_e32 v10, 0x80000000, v10
	v_or3_b32 v42, v11, v10, v5
.LBB367_336:                            ;   in Loop: Header=BB367_10 Depth=1
	s_or_b32 exec_lo, exec_lo, s24
.LBB367_337:                            ;   in Loop: Header=BB367_10 Depth=1
	s_or_b32 exec_lo, exec_lo, s23
.LBB367_338:                            ;   in Loop: Header=BB367_10 Depth=1
	s_or_b32 exec_lo, exec_lo, s17
	v_cmp_ne_u16_sdwa s6, v4, v21 src0_sel:BYTE_1 src1_sel:DWORD
	s_and_saveexec_b32 s17, s6
	s_cbranch_execz .LBB367_346
; %bb.339:                              ;   in Loop: Header=BB367_10 Depth=1
	v_cmp_ne_u16_sdwa s6, v4, v1 src0_sel:BYTE_1 src1_sel:DWORD
	v_bfrev_b32_e32 v43, 1
	s_and_saveexec_b32 s23, s6
	s_cbranch_execz .LBB367_345
; %bb.340:                              ;   in Loop: Header=BB367_10 Depth=1
	v_and_b32_sdwa v5, v0, v4 dst_sel:DWORD dst_unused:UNUSED_PAD src0_sel:DWORD src1_sel:BYTE_1
	v_mov_b32_e32 v43, 0x7f800001
	s_mov_b32 s24, exec_lo
	v_and_b32_e32 v10, 0x7f, v5
	v_cmpx_ne_u32_e32 0x7f, v10
	s_cbranch_execz .LBB367_344
; %bb.341:                              ;   in Loop: Header=BB367_10 Depth=1
	v_and_b32_e32 v20, 7, v5
	v_mov_b32_e32 v33, v21
	v_lshrrev_b32_e32 v5, 3, v10
	s_mov_b32 s25, exec_lo
	v_mov_b32_e32 v32, v20
	v_cmpx_gt_u32_e32 8, v10
; %bb.342:                              ;   in Loop: Header=BB367_10 Depth=1
	v_ffbh_u32_e32 v5, v20
	v_min_u32_e32 v5, 32, v5
	v_subrev_nc_u32_e32 v10, 28, v5
	v_sub_nc_u32_e32 v5, 29, v5
	v_lshlrev_b64 v[10:11], v10, v[20:21]
	v_and_b32_e32 v32, 7, v10
; %bb.343:                              ;   in Loop: Header=BB367_10 Depth=1
	s_or_b32 exec_lo, exec_lo, s25
	v_lshlrev_b32_e32 v10, 16, v4
	v_lshlrev_b32_e32 v11, 20, v32
	v_lshl_add_u32 v5, v5, 23, 0x3c000000
	v_and_b32_e32 v10, 0x80000000, v10
	v_or3_b32 v43, v11, v10, v5
.LBB367_344:                            ;   in Loop: Header=BB367_10 Depth=1
	s_or_b32 exec_lo, exec_lo, s24
.LBB367_345:                            ;   in Loop: Header=BB367_10 Depth=1
	s_or_b32 exec_lo, exec_lo, s23
.LBB367_346:                            ;   in Loop: Header=BB367_10 Depth=1
	s_or_b32 exec_lo, exec_lo, s17
	v_and_b32_sdwa v5, v4, v27 dst_sel:DWORD dst_unused:UNUSED_PAD src0_sel:WORD_1 src1_sel:DWORD
	v_mov_b32_e32 v44, 0
	v_mov_b32_e32 v45, 0
	s_mov_b32 s17, exec_lo
	v_cmpx_ne_u16_e32 0, v5
	s_cbranch_execz .LBB367_354
; %bb.347:                              ;   in Loop: Header=BB367_10 Depth=1
	v_bfrev_b32_e32 v45, 1
	s_mov_b32 s23, exec_lo
	v_cmpx_ne_u16_e32 0x80, v5
	s_cbranch_execz .LBB367_353
; %bb.348:                              ;   in Loop: Header=BB367_10 Depth=1
	v_bfe_u32 v10, v4, 16, 7
	v_mov_b32_e32 v45, 0x7f800001
	s_mov_b32 s24, exec_lo
	v_cmpx_ne_u32_e32 0x7f, v10
	s_cbranch_execz .LBB367_352
; %bb.349:                              ;   in Loop: Header=BB367_10 Depth=1
	v_and_b32_sdwa v20, v4, v26 dst_sel:DWORD dst_unused:UNUSED_PAD src0_sel:WORD_1 src1_sel:DWORD
	v_mov_b32_e32 v33, v21
	v_lshrrev_b32_e32 v5, 3, v10
	s_mov_b32 s25, exec_lo
	v_mov_b32_e32 v32, v20
	v_cmpx_gt_u32_e32 8, v10
; %bb.350:                              ;   in Loop: Header=BB367_10 Depth=1
	v_ffbh_u32_e32 v5, v20
	v_min_u32_e32 v5, 32, v5
	v_subrev_nc_u32_e32 v10, 28, v5
	v_sub_nc_u32_e32 v5, 29, v5
	v_lshlrev_b64 v[10:11], v10, v[20:21]
	v_and_b32_e32 v32, 7, v10
; %bb.351:                              ;   in Loop: Header=BB367_10 Depth=1
	s_or_b32 exec_lo, exec_lo, s25
	v_lshlrev_b32_sdwa v10, v49, v4 dst_sel:DWORD dst_unused:UNUSED_PAD src0_sel:DWORD src1_sel:WORD_1
	v_lshlrev_b32_e32 v11, 20, v32
	v_lshl_add_u32 v5, v5, 23, 0x3c000000
	v_and_b32_e32 v10, 0x80000000, v10
	v_or3_b32 v45, v11, v10, v5
.LBB367_352:                            ;   in Loop: Header=BB367_10 Depth=1
	s_or_b32 exec_lo, exec_lo, s24
.LBB367_353:                            ;   in Loop: Header=BB367_10 Depth=1
	s_or_b32 exec_lo, exec_lo, s23
.LBB367_354:                            ;   in Loop: Header=BB367_10 Depth=1
	s_or_b32 exec_lo, exec_lo, s17
	s_mov_b32 s17, exec_lo
	v_cmpx_lt_u32_e32 0xffffff, v4
	s_cbranch_execz .LBB367_362
; %bb.355:                              ;   in Loop: Header=BB367_10 Depth=1
	v_cmp_ne_u32_sdwa s6, v4, v1 src0_sel:BYTE_3 src1_sel:DWORD
	v_bfrev_b32_e32 v44, 1
	s_and_saveexec_b32 s23, s6
	s_cbranch_execz .LBB367_361
; %bb.356:                              ;   in Loop: Header=BB367_10 Depth=1
	v_bfe_u32 v10, v4, 24, 7
	v_mov_b32_e32 v44, 0x7f800001
	s_mov_b32 s24, exec_lo
	v_cmpx_ne_u32_e32 0x7f, v10
	s_cbranch_execz .LBB367_360
; %bb.357:                              ;   in Loop: Header=BB367_10 Depth=1
	v_and_b32_sdwa v20, v4, v26 dst_sel:DWORD dst_unused:UNUSED_PAD src0_sel:BYTE_3 src1_sel:DWORD
	v_mov_b32_e32 v33, v21
	v_lshrrev_b32_e32 v5, 3, v10
	s_mov_b32 s25, exec_lo
	v_mov_b32_e32 v32, v20
	v_cmpx_gt_u32_e32 8, v10
; %bb.358:                              ;   in Loop: Header=BB367_10 Depth=1
	v_ffbh_u32_e32 v5, v20
	v_min_u32_e32 v5, 32, v5
	v_subrev_nc_u32_e32 v10, 28, v5
	v_sub_nc_u32_e32 v5, 29, v5
	v_lshlrev_b64 v[10:11], v10, v[20:21]
	v_and_b32_e32 v32, 7, v10
; %bb.359:                              ;   in Loop: Header=BB367_10 Depth=1
	s_or_b32 exec_lo, exec_lo, s25
	v_lshlrev_b32_sdwa v4, v49, v4 dst_sel:DWORD dst_unused:UNUSED_PAD src0_sel:DWORD src1_sel:BYTE_3
	v_lshlrev_b32_e32 v10, 20, v32
	v_lshl_add_u32 v5, v5, 23, 0x3c000000
	v_and_b32_e32 v4, 0x80000000, v4
	v_or3_b32 v44, v10, v4, v5
.LBB367_360:                            ;   in Loop: Header=BB367_10 Depth=1
	s_or_b32 exec_lo, exec_lo, s24
.LBB367_361:                            ;   in Loop: Header=BB367_10 Depth=1
	s_or_b32 exec_lo, exec_lo, s23
.LBB367_362:                            ;   in Loop: Header=BB367_10 Depth=1
	s_or_b32 exec_lo, exec_lo, s17
	flat_load_dword v4, v[30:31] offset:1288
	v_mov_b32_e32 v47, 0
	v_mov_b32_e32 v46, 0
	s_waitcnt vmcnt(0) lgkmcnt(0)
	v_cmp_ne_u16_sdwa s6, v4, v21 src0_sel:BYTE_0 src1_sel:DWORD
	s_and_saveexec_b32 s17, s6
	s_cbranch_execz .LBB367_370
; %bb.363:                              ;   in Loop: Header=BB367_10 Depth=1
	v_cmp_ne_u16_sdwa s6, v4, v1 src0_sel:BYTE_0 src1_sel:DWORD
	v_bfrev_b32_e32 v46, 1
	s_and_saveexec_b32 s23, s6
	s_cbranch_execz .LBB367_369
; %bb.364:                              ;   in Loop: Header=BB367_10 Depth=1
	v_and_b32_e32 v10, 0x7f, v4
	v_mov_b32_e32 v46, 0x7f800001
	s_mov_b32 s24, exec_lo
	v_cmpx_ne_u32_e32 0x7f, v10
	s_cbranch_execz .LBB367_368
; %bb.365:                              ;   in Loop: Header=BB367_10 Depth=1
	v_and_b32_e32 v20, 7, v4
	v_mov_b32_e32 v33, v21
	v_lshrrev_b32_e32 v5, 3, v10
	s_mov_b32 s25, exec_lo
	v_mov_b32_e32 v32, v20
	v_cmpx_gt_u32_e32 8, v10
; %bb.366:                              ;   in Loop: Header=BB367_10 Depth=1
	v_ffbh_u32_e32 v5, v20
	v_min_u32_e32 v5, 32, v5
	v_subrev_nc_u32_e32 v10, 28, v5
	v_sub_nc_u32_e32 v5, 29, v5
	v_lshlrev_b64 v[10:11], v10, v[20:21]
	v_and_b32_e32 v32, 7, v10
; %bb.367:                              ;   in Loop: Header=BB367_10 Depth=1
	s_or_b32 exec_lo, exec_lo, s25
	v_lshlrev_b32_e32 v10, 24, v4
	v_lshlrev_b32_e32 v11, 20, v32
	v_lshl_add_u32 v5, v5, 23, 0x3c000000
	v_and_b32_e32 v10, 0x80000000, v10
	v_or3_b32 v46, v11, v10, v5
.LBB367_368:                            ;   in Loop: Header=BB367_10 Depth=1
	s_or_b32 exec_lo, exec_lo, s24
.LBB367_369:                            ;   in Loop: Header=BB367_10 Depth=1
	s_or_b32 exec_lo, exec_lo, s23
.LBB367_370:                            ;   in Loop: Header=BB367_10 Depth=1
	s_or_b32 exec_lo, exec_lo, s17
	v_cmp_ne_u16_sdwa s6, v4, v21 src0_sel:BYTE_1 src1_sel:DWORD
	s_and_saveexec_b32 s17, s6
	s_cbranch_execz .LBB367_378
; %bb.371:                              ;   in Loop: Header=BB367_10 Depth=1
	v_cmp_ne_u16_sdwa s6, v4, v1 src0_sel:BYTE_1 src1_sel:DWORD
	v_bfrev_b32_e32 v47, 1
	s_and_saveexec_b32 s23, s6
	s_cbranch_execz .LBB367_377
; %bb.372:                              ;   in Loop: Header=BB367_10 Depth=1
	v_and_b32_sdwa v5, v0, v4 dst_sel:DWORD dst_unused:UNUSED_PAD src0_sel:DWORD src1_sel:BYTE_1
	v_mov_b32_e32 v47, 0x7f800001
	s_mov_b32 s24, exec_lo
	v_and_b32_e32 v10, 0x7f, v5
	v_cmpx_ne_u32_e32 0x7f, v10
	s_cbranch_execz .LBB367_376
; %bb.373:                              ;   in Loop: Header=BB367_10 Depth=1
	v_and_b32_e32 v20, 7, v5
	v_mov_b32_e32 v33, v21
	v_lshrrev_b32_e32 v5, 3, v10
	s_mov_b32 s25, exec_lo
	v_mov_b32_e32 v32, v20
	v_cmpx_gt_u32_e32 8, v10
; %bb.374:                              ;   in Loop: Header=BB367_10 Depth=1
	v_ffbh_u32_e32 v5, v20
	v_min_u32_e32 v5, 32, v5
	v_subrev_nc_u32_e32 v10, 28, v5
	v_sub_nc_u32_e32 v5, 29, v5
	v_lshlrev_b64 v[10:11], v10, v[20:21]
	v_and_b32_e32 v32, 7, v10
; %bb.375:                              ;   in Loop: Header=BB367_10 Depth=1
	s_or_b32 exec_lo, exec_lo, s25
	v_lshlrev_b32_e32 v10, 16, v4
	v_lshlrev_b32_e32 v11, 20, v32
	v_lshl_add_u32 v5, v5, 23, 0x3c000000
	v_and_b32_e32 v10, 0x80000000, v10
	v_or3_b32 v47, v11, v10, v5
.LBB367_376:                            ;   in Loop: Header=BB367_10 Depth=1
	s_or_b32 exec_lo, exec_lo, s24
.LBB367_377:                            ;   in Loop: Header=BB367_10 Depth=1
	s_or_b32 exec_lo, exec_lo, s23
.LBB367_378:                            ;   in Loop: Header=BB367_10 Depth=1
	s_or_b32 exec_lo, exec_lo, s17
	v_and_b32_sdwa v5, v4, v27 dst_sel:DWORD dst_unused:UNUSED_PAD src0_sel:WORD_1 src1_sel:DWORD
	v_mov_b32_e32 v56, 0
	v_mov_b32_e32 v57, 0
	s_mov_b32 s17, exec_lo
	v_cmpx_ne_u16_e32 0, v5
	s_cbranch_execz .LBB367_386
; %bb.379:                              ;   in Loop: Header=BB367_10 Depth=1
	v_bfrev_b32_e32 v57, 1
	s_mov_b32 s23, exec_lo
	v_cmpx_ne_u16_e32 0x80, v5
	s_cbranch_execz .LBB367_385
; %bb.380:                              ;   in Loop: Header=BB367_10 Depth=1
	v_bfe_u32 v10, v4, 16, 7
	v_mov_b32_e32 v57, 0x7f800001
	s_mov_b32 s24, exec_lo
	v_cmpx_ne_u32_e32 0x7f, v10
	s_cbranch_execz .LBB367_384
; %bb.381:                              ;   in Loop: Header=BB367_10 Depth=1
	v_and_b32_sdwa v20, v4, v26 dst_sel:DWORD dst_unused:UNUSED_PAD src0_sel:WORD_1 src1_sel:DWORD
	v_mov_b32_e32 v33, v21
	v_lshrrev_b32_e32 v5, 3, v10
	s_mov_b32 s25, exec_lo
	v_mov_b32_e32 v32, v20
	v_cmpx_gt_u32_e32 8, v10
; %bb.382:                              ;   in Loop: Header=BB367_10 Depth=1
	v_ffbh_u32_e32 v5, v20
	v_min_u32_e32 v5, 32, v5
	v_subrev_nc_u32_e32 v10, 28, v5
	v_sub_nc_u32_e32 v5, 29, v5
	v_lshlrev_b64 v[10:11], v10, v[20:21]
	v_and_b32_e32 v32, 7, v10
; %bb.383:                              ;   in Loop: Header=BB367_10 Depth=1
	s_or_b32 exec_lo, exec_lo, s25
	v_lshlrev_b32_sdwa v10, v49, v4 dst_sel:DWORD dst_unused:UNUSED_PAD src0_sel:DWORD src1_sel:WORD_1
	v_lshlrev_b32_e32 v11, 20, v32
	v_lshl_add_u32 v5, v5, 23, 0x3c000000
	v_and_b32_e32 v10, 0x80000000, v10
	v_or3_b32 v57, v11, v10, v5
.LBB367_384:                            ;   in Loop: Header=BB367_10 Depth=1
	s_or_b32 exec_lo, exec_lo, s24
.LBB367_385:                            ;   in Loop: Header=BB367_10 Depth=1
	s_or_b32 exec_lo, exec_lo, s23
.LBB367_386:                            ;   in Loop: Header=BB367_10 Depth=1
	s_or_b32 exec_lo, exec_lo, s17
	s_mov_b32 s17, exec_lo
	v_cmpx_lt_u32_e32 0xffffff, v4
	s_cbranch_execz .LBB367_394
; %bb.387:                              ;   in Loop: Header=BB367_10 Depth=1
	v_cmp_ne_u32_sdwa s6, v4, v1 src0_sel:BYTE_3 src1_sel:DWORD
	v_bfrev_b32_e32 v56, 1
	s_and_saveexec_b32 s23, s6
	s_cbranch_execz .LBB367_393
; %bb.388:                              ;   in Loop: Header=BB367_10 Depth=1
	v_bfe_u32 v10, v4, 24, 7
	v_mov_b32_e32 v56, 0x7f800001
	s_mov_b32 s24, exec_lo
	v_cmpx_ne_u32_e32 0x7f, v10
	s_cbranch_execz .LBB367_392
; %bb.389:                              ;   in Loop: Header=BB367_10 Depth=1
	v_and_b32_sdwa v20, v4, v26 dst_sel:DWORD dst_unused:UNUSED_PAD src0_sel:BYTE_3 src1_sel:DWORD
	v_mov_b32_e32 v33, v21
	v_lshrrev_b32_e32 v5, 3, v10
	s_mov_b32 s25, exec_lo
	v_mov_b32_e32 v32, v20
	v_cmpx_gt_u32_e32 8, v10
; %bb.390:                              ;   in Loop: Header=BB367_10 Depth=1
	v_ffbh_u32_e32 v5, v20
	v_min_u32_e32 v5, 32, v5
	v_subrev_nc_u32_e32 v10, 28, v5
	v_sub_nc_u32_e32 v5, 29, v5
	v_lshlrev_b64 v[10:11], v10, v[20:21]
	v_and_b32_e32 v32, 7, v10
; %bb.391:                              ;   in Loop: Header=BB367_10 Depth=1
	s_or_b32 exec_lo, exec_lo, s25
	v_lshlrev_b32_sdwa v4, v49, v4 dst_sel:DWORD dst_unused:UNUSED_PAD src0_sel:DWORD src1_sel:BYTE_3
	v_lshlrev_b32_e32 v10, 20, v32
	v_lshl_add_u32 v5, v5, 23, 0x3c000000
	v_and_b32_e32 v4, 0x80000000, v4
	v_or3_b32 v56, v10, v4, v5
.LBB367_392:                            ;   in Loop: Header=BB367_10 Depth=1
	s_or_b32 exec_lo, exec_lo, s24
.LBB367_393:                            ;   in Loop: Header=BB367_10 Depth=1
	s_or_b32 exec_lo, exec_lo, s23
.LBB367_394:                            ;   in Loop: Header=BB367_10 Depth=1
	s_or_b32 exec_lo, exec_lo, s17
	flat_load_dword v4, v[30:31] offset:1536
	v_mov_b32_e32 v59, 0
	v_mov_b32_e32 v58, 0
	s_waitcnt vmcnt(0) lgkmcnt(0)
	v_cmp_ne_u16_sdwa s6, v4, v21 src0_sel:BYTE_0 src1_sel:DWORD
	s_and_saveexec_b32 s17, s6
	s_cbranch_execz .LBB367_402
; %bb.395:                              ;   in Loop: Header=BB367_10 Depth=1
	v_cmp_ne_u16_sdwa s6, v4, v1 src0_sel:BYTE_0 src1_sel:DWORD
	v_bfrev_b32_e32 v58, 1
	s_and_saveexec_b32 s23, s6
	s_cbranch_execz .LBB367_401
; %bb.396:                              ;   in Loop: Header=BB367_10 Depth=1
	v_and_b32_e32 v10, 0x7f, v4
	v_mov_b32_e32 v58, 0x7f800001
	s_mov_b32 s24, exec_lo
	v_cmpx_ne_u32_e32 0x7f, v10
	s_cbranch_execz .LBB367_400
; %bb.397:                              ;   in Loop: Header=BB367_10 Depth=1
	v_and_b32_e32 v20, 7, v4
	v_mov_b32_e32 v33, v21
	v_lshrrev_b32_e32 v5, 3, v10
	s_mov_b32 s25, exec_lo
	v_mov_b32_e32 v32, v20
	v_cmpx_gt_u32_e32 8, v10
; %bb.398:                              ;   in Loop: Header=BB367_10 Depth=1
	v_ffbh_u32_e32 v5, v20
	v_min_u32_e32 v5, 32, v5
	v_subrev_nc_u32_e32 v10, 28, v5
	v_sub_nc_u32_e32 v5, 29, v5
	v_lshlrev_b64 v[10:11], v10, v[20:21]
	v_and_b32_e32 v32, 7, v10
; %bb.399:                              ;   in Loop: Header=BB367_10 Depth=1
	s_or_b32 exec_lo, exec_lo, s25
	v_lshlrev_b32_e32 v10, 24, v4
	v_lshlrev_b32_e32 v11, 20, v32
	v_lshl_add_u32 v5, v5, 23, 0x3c000000
	v_and_b32_e32 v10, 0x80000000, v10
	v_or3_b32 v58, v11, v10, v5
.LBB367_400:                            ;   in Loop: Header=BB367_10 Depth=1
	s_or_b32 exec_lo, exec_lo, s24
.LBB367_401:                            ;   in Loop: Header=BB367_10 Depth=1
	s_or_b32 exec_lo, exec_lo, s23
.LBB367_402:                            ;   in Loop: Header=BB367_10 Depth=1
	s_or_b32 exec_lo, exec_lo, s17
	v_cmp_ne_u16_sdwa s6, v4, v21 src0_sel:BYTE_1 src1_sel:DWORD
	s_and_saveexec_b32 s17, s6
	s_cbranch_execz .LBB367_410
; %bb.403:                              ;   in Loop: Header=BB367_10 Depth=1
	v_cmp_ne_u16_sdwa s6, v4, v1 src0_sel:BYTE_1 src1_sel:DWORD
	v_bfrev_b32_e32 v59, 1
	s_and_saveexec_b32 s23, s6
	s_cbranch_execz .LBB367_409
; %bb.404:                              ;   in Loop: Header=BB367_10 Depth=1
	v_and_b32_sdwa v5, v0, v4 dst_sel:DWORD dst_unused:UNUSED_PAD src0_sel:DWORD src1_sel:BYTE_1
	v_mov_b32_e32 v59, 0x7f800001
	s_mov_b32 s24, exec_lo
	v_and_b32_e32 v10, 0x7f, v5
	v_cmpx_ne_u32_e32 0x7f, v10
	s_cbranch_execz .LBB367_408
; %bb.405:                              ;   in Loop: Header=BB367_10 Depth=1
	v_and_b32_e32 v20, 7, v5
	v_mov_b32_e32 v33, v21
	v_lshrrev_b32_e32 v5, 3, v10
	s_mov_b32 s25, exec_lo
	v_mov_b32_e32 v32, v20
	v_cmpx_gt_u32_e32 8, v10
; %bb.406:                              ;   in Loop: Header=BB367_10 Depth=1
	v_ffbh_u32_e32 v5, v20
	v_min_u32_e32 v5, 32, v5
	v_subrev_nc_u32_e32 v10, 28, v5
	v_sub_nc_u32_e32 v5, 29, v5
	v_lshlrev_b64 v[10:11], v10, v[20:21]
	v_and_b32_e32 v32, 7, v10
; %bb.407:                              ;   in Loop: Header=BB367_10 Depth=1
	s_or_b32 exec_lo, exec_lo, s25
	v_lshlrev_b32_e32 v10, 16, v4
	v_lshlrev_b32_e32 v11, 20, v32
	v_lshl_add_u32 v5, v5, 23, 0x3c000000
	v_and_b32_e32 v10, 0x80000000, v10
	v_or3_b32 v59, v11, v10, v5
.LBB367_408:                            ;   in Loop: Header=BB367_10 Depth=1
	s_or_b32 exec_lo, exec_lo, s24
.LBB367_409:                            ;   in Loop: Header=BB367_10 Depth=1
	s_or_b32 exec_lo, exec_lo, s23
.LBB367_410:                            ;   in Loop: Header=BB367_10 Depth=1
	s_or_b32 exec_lo, exec_lo, s17
	v_and_b32_sdwa v5, v4, v27 dst_sel:DWORD dst_unused:UNUSED_PAD src0_sel:WORD_1 src1_sel:DWORD
	v_mov_b32_e32 v60, 0
	v_mov_b32_e32 v61, 0
	s_mov_b32 s17, exec_lo
	v_cmpx_ne_u16_e32 0, v5
	s_cbranch_execz .LBB367_418
; %bb.411:                              ;   in Loop: Header=BB367_10 Depth=1
	v_bfrev_b32_e32 v61, 1
	s_mov_b32 s23, exec_lo
	v_cmpx_ne_u16_e32 0x80, v5
	s_cbranch_execz .LBB367_417
; %bb.412:                              ;   in Loop: Header=BB367_10 Depth=1
	v_bfe_u32 v10, v4, 16, 7
	v_mov_b32_e32 v61, 0x7f800001
	s_mov_b32 s24, exec_lo
	v_cmpx_ne_u32_e32 0x7f, v10
	s_cbranch_execz .LBB367_416
; %bb.413:                              ;   in Loop: Header=BB367_10 Depth=1
	v_and_b32_sdwa v20, v4, v26 dst_sel:DWORD dst_unused:UNUSED_PAD src0_sel:WORD_1 src1_sel:DWORD
	v_mov_b32_e32 v33, v21
	v_lshrrev_b32_e32 v5, 3, v10
	s_mov_b32 s25, exec_lo
	v_mov_b32_e32 v32, v20
	v_cmpx_gt_u32_e32 8, v10
; %bb.414:                              ;   in Loop: Header=BB367_10 Depth=1
	v_ffbh_u32_e32 v5, v20
	v_min_u32_e32 v5, 32, v5
	v_subrev_nc_u32_e32 v10, 28, v5
	v_sub_nc_u32_e32 v5, 29, v5
	v_lshlrev_b64 v[10:11], v10, v[20:21]
	v_and_b32_e32 v32, 7, v10
; %bb.415:                              ;   in Loop: Header=BB367_10 Depth=1
	s_or_b32 exec_lo, exec_lo, s25
	v_lshlrev_b32_sdwa v10, v49, v4 dst_sel:DWORD dst_unused:UNUSED_PAD src0_sel:DWORD src1_sel:WORD_1
	v_lshlrev_b32_e32 v11, 20, v32
	v_lshl_add_u32 v5, v5, 23, 0x3c000000
	v_and_b32_e32 v10, 0x80000000, v10
	v_or3_b32 v61, v11, v10, v5
.LBB367_416:                            ;   in Loop: Header=BB367_10 Depth=1
	s_or_b32 exec_lo, exec_lo, s24
.LBB367_417:                            ;   in Loop: Header=BB367_10 Depth=1
	s_or_b32 exec_lo, exec_lo, s23
.LBB367_418:                            ;   in Loop: Header=BB367_10 Depth=1
	s_or_b32 exec_lo, exec_lo, s17
	s_mov_b32 s17, exec_lo
	v_cmpx_lt_u32_e32 0xffffff, v4
	s_cbranch_execz .LBB367_426
; %bb.419:                              ;   in Loop: Header=BB367_10 Depth=1
	v_cmp_ne_u32_sdwa s6, v4, v1 src0_sel:BYTE_3 src1_sel:DWORD
	v_bfrev_b32_e32 v60, 1
	s_and_saveexec_b32 s23, s6
	s_cbranch_execz .LBB367_425
; %bb.420:                              ;   in Loop: Header=BB367_10 Depth=1
	v_bfe_u32 v10, v4, 24, 7
	v_mov_b32_e32 v60, 0x7f800001
	s_mov_b32 s24, exec_lo
	v_cmpx_ne_u32_e32 0x7f, v10
	s_cbranch_execz .LBB367_424
; %bb.421:                              ;   in Loop: Header=BB367_10 Depth=1
	v_and_b32_sdwa v20, v4, v26 dst_sel:DWORD dst_unused:UNUSED_PAD src0_sel:BYTE_3 src1_sel:DWORD
	v_mov_b32_e32 v33, v21
	v_lshrrev_b32_e32 v5, 3, v10
	s_mov_b32 s25, exec_lo
	v_mov_b32_e32 v32, v20
	v_cmpx_gt_u32_e32 8, v10
; %bb.422:                              ;   in Loop: Header=BB367_10 Depth=1
	v_ffbh_u32_e32 v5, v20
	v_min_u32_e32 v5, 32, v5
	v_subrev_nc_u32_e32 v10, 28, v5
	v_sub_nc_u32_e32 v5, 29, v5
	v_lshlrev_b64 v[10:11], v10, v[20:21]
	v_and_b32_e32 v32, 7, v10
; %bb.423:                              ;   in Loop: Header=BB367_10 Depth=1
	s_or_b32 exec_lo, exec_lo, s25
	v_lshlrev_b32_sdwa v4, v49, v4 dst_sel:DWORD dst_unused:UNUSED_PAD src0_sel:DWORD src1_sel:BYTE_3
	v_lshlrev_b32_e32 v10, 20, v32
	v_lshl_add_u32 v5, v5, 23, 0x3c000000
	v_and_b32_e32 v4, 0x80000000, v4
	v_or3_b32 v60, v10, v4, v5
.LBB367_424:                            ;   in Loop: Header=BB367_10 Depth=1
	s_or_b32 exec_lo, exec_lo, s24
.LBB367_425:                            ;   in Loop: Header=BB367_10 Depth=1
	s_or_b32 exec_lo, exec_lo, s23
.LBB367_426:                            ;   in Loop: Header=BB367_10 Depth=1
	s_or_b32 exec_lo, exec_lo, s17
	flat_load_dword v4, v[30:31] offset:1544
	v_mov_b32_e32 v63, 0
	v_mov_b32_e32 v62, 0
	s_waitcnt vmcnt(0) lgkmcnt(0)
	v_cmp_ne_u16_sdwa s6, v4, v21 src0_sel:BYTE_0 src1_sel:DWORD
	s_and_saveexec_b32 s17, s6
	s_cbranch_execz .LBB367_434
; %bb.427:                              ;   in Loop: Header=BB367_10 Depth=1
	v_cmp_ne_u16_sdwa s6, v4, v1 src0_sel:BYTE_0 src1_sel:DWORD
	v_bfrev_b32_e32 v62, 1
	s_and_saveexec_b32 s23, s6
	s_cbranch_execz .LBB367_433
; %bb.428:                              ;   in Loop: Header=BB367_10 Depth=1
	v_and_b32_e32 v10, 0x7f, v4
	v_mov_b32_e32 v62, 0x7f800001
	s_mov_b32 s24, exec_lo
	v_cmpx_ne_u32_e32 0x7f, v10
	s_cbranch_execz .LBB367_432
; %bb.429:                              ;   in Loop: Header=BB367_10 Depth=1
	v_and_b32_e32 v20, 7, v4
	v_mov_b32_e32 v33, v21
	v_lshrrev_b32_e32 v5, 3, v10
	s_mov_b32 s25, exec_lo
	v_mov_b32_e32 v32, v20
	v_cmpx_gt_u32_e32 8, v10
; %bb.430:                              ;   in Loop: Header=BB367_10 Depth=1
	v_ffbh_u32_e32 v5, v20
	v_min_u32_e32 v5, 32, v5
	v_subrev_nc_u32_e32 v10, 28, v5
	v_sub_nc_u32_e32 v5, 29, v5
	v_lshlrev_b64 v[10:11], v10, v[20:21]
	v_and_b32_e32 v32, 7, v10
; %bb.431:                              ;   in Loop: Header=BB367_10 Depth=1
	s_or_b32 exec_lo, exec_lo, s25
	v_lshlrev_b32_e32 v10, 24, v4
	v_lshlrev_b32_e32 v11, 20, v32
	v_lshl_add_u32 v5, v5, 23, 0x3c000000
	v_and_b32_e32 v10, 0x80000000, v10
	v_or3_b32 v62, v11, v10, v5
.LBB367_432:                            ;   in Loop: Header=BB367_10 Depth=1
	s_or_b32 exec_lo, exec_lo, s24
.LBB367_433:                            ;   in Loop: Header=BB367_10 Depth=1
	s_or_b32 exec_lo, exec_lo, s23
.LBB367_434:                            ;   in Loop: Header=BB367_10 Depth=1
	s_or_b32 exec_lo, exec_lo, s17
	v_cmp_ne_u16_sdwa s6, v4, v21 src0_sel:BYTE_1 src1_sel:DWORD
	s_and_saveexec_b32 s17, s6
	s_cbranch_execz .LBB367_442
; %bb.435:                              ;   in Loop: Header=BB367_10 Depth=1
	v_cmp_ne_u16_sdwa s6, v4, v1 src0_sel:BYTE_1 src1_sel:DWORD
	v_bfrev_b32_e32 v63, 1
	s_and_saveexec_b32 s23, s6
	s_cbranch_execz .LBB367_441
; %bb.436:                              ;   in Loop: Header=BB367_10 Depth=1
	v_and_b32_sdwa v5, v0, v4 dst_sel:DWORD dst_unused:UNUSED_PAD src0_sel:DWORD src1_sel:BYTE_1
	v_mov_b32_e32 v63, 0x7f800001
	s_mov_b32 s24, exec_lo
	v_and_b32_e32 v10, 0x7f, v5
	v_cmpx_ne_u32_e32 0x7f, v10
	s_cbranch_execz .LBB367_440
; %bb.437:                              ;   in Loop: Header=BB367_10 Depth=1
	v_and_b32_e32 v20, 7, v5
	v_mov_b32_e32 v33, v21
	v_lshrrev_b32_e32 v5, 3, v10
	s_mov_b32 s25, exec_lo
	v_mov_b32_e32 v32, v20
	v_cmpx_gt_u32_e32 8, v10
; %bb.438:                              ;   in Loop: Header=BB367_10 Depth=1
	v_ffbh_u32_e32 v5, v20
	v_min_u32_e32 v5, 32, v5
	v_subrev_nc_u32_e32 v10, 28, v5
	v_sub_nc_u32_e32 v5, 29, v5
	v_lshlrev_b64 v[10:11], v10, v[20:21]
	v_and_b32_e32 v32, 7, v10
; %bb.439:                              ;   in Loop: Header=BB367_10 Depth=1
	s_or_b32 exec_lo, exec_lo, s25
	v_lshlrev_b32_e32 v10, 16, v4
	v_lshlrev_b32_e32 v11, 20, v32
	v_lshl_add_u32 v5, v5, 23, 0x3c000000
	v_and_b32_e32 v10, 0x80000000, v10
	v_or3_b32 v63, v11, v10, v5
.LBB367_440:                            ;   in Loop: Header=BB367_10 Depth=1
	s_or_b32 exec_lo, exec_lo, s24
.LBB367_441:                            ;   in Loop: Header=BB367_10 Depth=1
	s_or_b32 exec_lo, exec_lo, s23
.LBB367_442:                            ;   in Loop: Header=BB367_10 Depth=1
	s_or_b32 exec_lo, exec_lo, s17
	v_and_b32_sdwa v5, v4, v27 dst_sel:DWORD dst_unused:UNUSED_PAD src0_sel:WORD_1 src1_sel:DWORD
	v_mov_b32_e32 v72, 0
	v_mov_b32_e32 v73, 0
	s_mov_b32 s17, exec_lo
	v_cmpx_ne_u16_e32 0, v5
	s_cbranch_execz .LBB367_450
; %bb.443:                              ;   in Loop: Header=BB367_10 Depth=1
	v_bfrev_b32_e32 v73, 1
	s_mov_b32 s23, exec_lo
	v_cmpx_ne_u16_e32 0x80, v5
	s_cbranch_execz .LBB367_449
; %bb.444:                              ;   in Loop: Header=BB367_10 Depth=1
	v_bfe_u32 v10, v4, 16, 7
	v_mov_b32_e32 v73, 0x7f800001
	s_mov_b32 s24, exec_lo
	v_cmpx_ne_u32_e32 0x7f, v10
	s_cbranch_execz .LBB367_448
; %bb.445:                              ;   in Loop: Header=BB367_10 Depth=1
	v_and_b32_sdwa v20, v4, v26 dst_sel:DWORD dst_unused:UNUSED_PAD src0_sel:WORD_1 src1_sel:DWORD
	v_mov_b32_e32 v33, v21
	v_lshrrev_b32_e32 v5, 3, v10
	s_mov_b32 s25, exec_lo
	v_mov_b32_e32 v32, v20
	v_cmpx_gt_u32_e32 8, v10
; %bb.446:                              ;   in Loop: Header=BB367_10 Depth=1
	v_ffbh_u32_e32 v5, v20
	v_min_u32_e32 v5, 32, v5
	v_subrev_nc_u32_e32 v10, 28, v5
	v_sub_nc_u32_e32 v5, 29, v5
	v_lshlrev_b64 v[10:11], v10, v[20:21]
	v_and_b32_e32 v32, 7, v10
; %bb.447:                              ;   in Loop: Header=BB367_10 Depth=1
	s_or_b32 exec_lo, exec_lo, s25
	v_lshlrev_b32_sdwa v10, v49, v4 dst_sel:DWORD dst_unused:UNUSED_PAD src0_sel:DWORD src1_sel:WORD_1
	v_lshlrev_b32_e32 v11, 20, v32
	v_lshl_add_u32 v5, v5, 23, 0x3c000000
	v_and_b32_e32 v10, 0x80000000, v10
	v_or3_b32 v73, v11, v10, v5
.LBB367_448:                            ;   in Loop: Header=BB367_10 Depth=1
	s_or_b32 exec_lo, exec_lo, s24
.LBB367_449:                            ;   in Loop: Header=BB367_10 Depth=1
	s_or_b32 exec_lo, exec_lo, s23
.LBB367_450:                            ;   in Loop: Header=BB367_10 Depth=1
	s_or_b32 exec_lo, exec_lo, s17
	s_mov_b32 s17, exec_lo
	v_cmpx_lt_u32_e32 0xffffff, v4
	s_cbranch_execz .LBB367_458
; %bb.451:                              ;   in Loop: Header=BB367_10 Depth=1
	v_cmp_ne_u32_sdwa s6, v4, v1 src0_sel:BYTE_3 src1_sel:DWORD
	v_bfrev_b32_e32 v72, 1
	s_and_saveexec_b32 s23, s6
	s_cbranch_execz .LBB367_457
; %bb.452:                              ;   in Loop: Header=BB367_10 Depth=1
	v_bfe_u32 v10, v4, 24, 7
	v_mov_b32_e32 v72, 0x7f800001
	s_mov_b32 s24, exec_lo
	v_cmpx_ne_u32_e32 0x7f, v10
	s_cbranch_execz .LBB367_456
; %bb.453:                              ;   in Loop: Header=BB367_10 Depth=1
	v_and_b32_sdwa v20, v4, v26 dst_sel:DWORD dst_unused:UNUSED_PAD src0_sel:BYTE_3 src1_sel:DWORD
	v_mov_b32_e32 v33, v21
	v_lshrrev_b32_e32 v5, 3, v10
	s_mov_b32 s25, exec_lo
	v_mov_b32_e32 v32, v20
	v_cmpx_gt_u32_e32 8, v10
; %bb.454:                              ;   in Loop: Header=BB367_10 Depth=1
	v_ffbh_u32_e32 v5, v20
	v_min_u32_e32 v5, 32, v5
	v_subrev_nc_u32_e32 v10, 28, v5
	v_sub_nc_u32_e32 v5, 29, v5
	v_lshlrev_b64 v[10:11], v10, v[20:21]
	v_and_b32_e32 v32, 7, v10
; %bb.455:                              ;   in Loop: Header=BB367_10 Depth=1
	s_or_b32 exec_lo, exec_lo, s25
	v_lshlrev_b32_sdwa v4, v49, v4 dst_sel:DWORD dst_unused:UNUSED_PAD src0_sel:DWORD src1_sel:BYTE_3
	v_lshlrev_b32_e32 v10, 20, v32
	v_lshl_add_u32 v5, v5, 23, 0x3c000000
	v_and_b32_e32 v4, 0x80000000, v4
	v_or3_b32 v72, v10, v4, v5
.LBB367_456:                            ;   in Loop: Header=BB367_10 Depth=1
	s_or_b32 exec_lo, exec_lo, s24
.LBB367_457:                            ;   in Loop: Header=BB367_10 Depth=1
	s_or_b32 exec_lo, exec_lo, s23
.LBB367_458:                            ;   in Loop: Header=BB367_10 Depth=1
	s_or_b32 exec_lo, exec_lo, s17
	flat_load_dword v4, v[30:31] offset:1792
	v_mov_b32_e32 v75, 0
	v_mov_b32_e32 v74, 0
	s_waitcnt vmcnt(0) lgkmcnt(0)
	v_cmp_ne_u16_sdwa s6, v4, v21 src0_sel:BYTE_0 src1_sel:DWORD
	s_and_saveexec_b32 s17, s6
	s_cbranch_execz .LBB367_466
; %bb.459:                              ;   in Loop: Header=BB367_10 Depth=1
	v_cmp_ne_u16_sdwa s6, v4, v1 src0_sel:BYTE_0 src1_sel:DWORD
	v_bfrev_b32_e32 v74, 1
	s_and_saveexec_b32 s23, s6
	s_cbranch_execz .LBB367_465
; %bb.460:                              ;   in Loop: Header=BB367_10 Depth=1
	v_and_b32_e32 v10, 0x7f, v4
	v_mov_b32_e32 v74, 0x7f800001
	s_mov_b32 s24, exec_lo
	v_cmpx_ne_u32_e32 0x7f, v10
	s_cbranch_execz .LBB367_464
; %bb.461:                              ;   in Loop: Header=BB367_10 Depth=1
	v_and_b32_e32 v20, 7, v4
	v_mov_b32_e32 v33, v21
	v_lshrrev_b32_e32 v5, 3, v10
	s_mov_b32 s25, exec_lo
	v_mov_b32_e32 v32, v20
	v_cmpx_gt_u32_e32 8, v10
; %bb.462:                              ;   in Loop: Header=BB367_10 Depth=1
	v_ffbh_u32_e32 v5, v20
	v_min_u32_e32 v5, 32, v5
	v_subrev_nc_u32_e32 v10, 28, v5
	v_sub_nc_u32_e32 v5, 29, v5
	v_lshlrev_b64 v[10:11], v10, v[20:21]
	v_and_b32_e32 v32, 7, v10
; %bb.463:                              ;   in Loop: Header=BB367_10 Depth=1
	s_or_b32 exec_lo, exec_lo, s25
	v_lshlrev_b32_e32 v10, 24, v4
	v_lshlrev_b32_e32 v11, 20, v32
	v_lshl_add_u32 v5, v5, 23, 0x3c000000
	v_and_b32_e32 v10, 0x80000000, v10
	v_or3_b32 v74, v11, v10, v5
.LBB367_464:                            ;   in Loop: Header=BB367_10 Depth=1
	s_or_b32 exec_lo, exec_lo, s24
.LBB367_465:                            ;   in Loop: Header=BB367_10 Depth=1
	s_or_b32 exec_lo, exec_lo, s23
.LBB367_466:                            ;   in Loop: Header=BB367_10 Depth=1
	s_or_b32 exec_lo, exec_lo, s17
	v_cmp_ne_u16_sdwa s6, v4, v21 src0_sel:BYTE_1 src1_sel:DWORD
	s_and_saveexec_b32 s17, s6
	s_cbranch_execz .LBB367_474
; %bb.467:                              ;   in Loop: Header=BB367_10 Depth=1
	v_cmp_ne_u16_sdwa s6, v4, v1 src0_sel:BYTE_1 src1_sel:DWORD
	v_bfrev_b32_e32 v75, 1
	s_and_saveexec_b32 s23, s6
	s_cbranch_execz .LBB367_473
; %bb.468:                              ;   in Loop: Header=BB367_10 Depth=1
	v_and_b32_sdwa v5, v0, v4 dst_sel:DWORD dst_unused:UNUSED_PAD src0_sel:DWORD src1_sel:BYTE_1
	v_mov_b32_e32 v75, 0x7f800001
	s_mov_b32 s24, exec_lo
	v_and_b32_e32 v10, 0x7f, v5
	v_cmpx_ne_u32_e32 0x7f, v10
	s_cbranch_execz .LBB367_472
; %bb.469:                              ;   in Loop: Header=BB367_10 Depth=1
	v_and_b32_e32 v20, 7, v5
	v_mov_b32_e32 v33, v21
	v_lshrrev_b32_e32 v5, 3, v10
	s_mov_b32 s25, exec_lo
	v_mov_b32_e32 v32, v20
	v_cmpx_gt_u32_e32 8, v10
; %bb.470:                              ;   in Loop: Header=BB367_10 Depth=1
	v_ffbh_u32_e32 v5, v20
	v_min_u32_e32 v5, 32, v5
	v_subrev_nc_u32_e32 v10, 28, v5
	v_sub_nc_u32_e32 v5, 29, v5
	v_lshlrev_b64 v[10:11], v10, v[20:21]
	v_and_b32_e32 v32, 7, v10
; %bb.471:                              ;   in Loop: Header=BB367_10 Depth=1
	s_or_b32 exec_lo, exec_lo, s25
	v_lshlrev_b32_e32 v10, 16, v4
	v_lshlrev_b32_e32 v11, 20, v32
	v_lshl_add_u32 v5, v5, 23, 0x3c000000
	v_and_b32_e32 v10, 0x80000000, v10
	v_or3_b32 v75, v11, v10, v5
.LBB367_472:                            ;   in Loop: Header=BB367_10 Depth=1
	s_or_b32 exec_lo, exec_lo, s24
.LBB367_473:                            ;   in Loop: Header=BB367_10 Depth=1
	s_or_b32 exec_lo, exec_lo, s23
.LBB367_474:                            ;   in Loop: Header=BB367_10 Depth=1
	s_or_b32 exec_lo, exec_lo, s17
	v_and_b32_sdwa v5, v4, v27 dst_sel:DWORD dst_unused:UNUSED_PAD src0_sel:WORD_1 src1_sel:DWORD
	v_mov_b32_e32 v76, 0
	v_mov_b32_e32 v77, 0
	s_mov_b32 s17, exec_lo
	v_cmpx_ne_u16_e32 0, v5
	s_cbranch_execz .LBB367_482
; %bb.475:                              ;   in Loop: Header=BB367_10 Depth=1
	v_bfrev_b32_e32 v77, 1
	s_mov_b32 s23, exec_lo
	v_cmpx_ne_u16_e32 0x80, v5
	s_cbranch_execz .LBB367_481
; %bb.476:                              ;   in Loop: Header=BB367_10 Depth=1
	v_bfe_u32 v10, v4, 16, 7
	v_mov_b32_e32 v77, 0x7f800001
	s_mov_b32 s24, exec_lo
	v_cmpx_ne_u32_e32 0x7f, v10
	s_cbranch_execz .LBB367_480
; %bb.477:                              ;   in Loop: Header=BB367_10 Depth=1
	v_and_b32_sdwa v20, v4, v26 dst_sel:DWORD dst_unused:UNUSED_PAD src0_sel:WORD_1 src1_sel:DWORD
	v_mov_b32_e32 v33, v21
	v_lshrrev_b32_e32 v5, 3, v10
	s_mov_b32 s25, exec_lo
	v_mov_b32_e32 v32, v20
	v_cmpx_gt_u32_e32 8, v10
; %bb.478:                              ;   in Loop: Header=BB367_10 Depth=1
	v_ffbh_u32_e32 v5, v20
	v_min_u32_e32 v5, 32, v5
	v_subrev_nc_u32_e32 v10, 28, v5
	v_sub_nc_u32_e32 v5, 29, v5
	v_lshlrev_b64 v[10:11], v10, v[20:21]
	v_and_b32_e32 v32, 7, v10
; %bb.479:                              ;   in Loop: Header=BB367_10 Depth=1
	s_or_b32 exec_lo, exec_lo, s25
	v_lshlrev_b32_sdwa v10, v49, v4 dst_sel:DWORD dst_unused:UNUSED_PAD src0_sel:DWORD src1_sel:WORD_1
	v_lshlrev_b32_e32 v11, 20, v32
	v_lshl_add_u32 v5, v5, 23, 0x3c000000
	v_and_b32_e32 v10, 0x80000000, v10
	v_or3_b32 v77, v11, v10, v5
.LBB367_480:                            ;   in Loop: Header=BB367_10 Depth=1
	s_or_b32 exec_lo, exec_lo, s24
.LBB367_481:                            ;   in Loop: Header=BB367_10 Depth=1
	s_or_b32 exec_lo, exec_lo, s23
.LBB367_482:                            ;   in Loop: Header=BB367_10 Depth=1
	s_or_b32 exec_lo, exec_lo, s17
	s_mov_b32 s17, exec_lo
	v_cmpx_lt_u32_e32 0xffffff, v4
	s_cbranch_execz .LBB367_490
; %bb.483:                              ;   in Loop: Header=BB367_10 Depth=1
	v_cmp_ne_u32_sdwa s6, v4, v1 src0_sel:BYTE_3 src1_sel:DWORD
	v_bfrev_b32_e32 v76, 1
	s_and_saveexec_b32 s23, s6
	s_cbranch_execz .LBB367_489
; %bb.484:                              ;   in Loop: Header=BB367_10 Depth=1
	v_bfe_u32 v10, v4, 24, 7
	v_mov_b32_e32 v76, 0x7f800001
	s_mov_b32 s24, exec_lo
	v_cmpx_ne_u32_e32 0x7f, v10
	s_cbranch_execz .LBB367_488
; %bb.485:                              ;   in Loop: Header=BB367_10 Depth=1
	v_and_b32_sdwa v20, v4, v26 dst_sel:DWORD dst_unused:UNUSED_PAD src0_sel:BYTE_3 src1_sel:DWORD
	v_mov_b32_e32 v33, v21
	v_lshrrev_b32_e32 v5, 3, v10
	s_mov_b32 s25, exec_lo
	v_mov_b32_e32 v32, v20
	v_cmpx_gt_u32_e32 8, v10
; %bb.486:                              ;   in Loop: Header=BB367_10 Depth=1
	v_ffbh_u32_e32 v5, v20
	v_min_u32_e32 v5, 32, v5
	v_subrev_nc_u32_e32 v10, 28, v5
	v_sub_nc_u32_e32 v5, 29, v5
	v_lshlrev_b64 v[10:11], v10, v[20:21]
	v_and_b32_e32 v32, 7, v10
; %bb.487:                              ;   in Loop: Header=BB367_10 Depth=1
	s_or_b32 exec_lo, exec_lo, s25
	v_lshlrev_b32_sdwa v4, v49, v4 dst_sel:DWORD dst_unused:UNUSED_PAD src0_sel:DWORD src1_sel:BYTE_3
	v_lshlrev_b32_e32 v10, 20, v32
	v_lshl_add_u32 v5, v5, 23, 0x3c000000
	v_and_b32_e32 v4, 0x80000000, v4
	v_or3_b32 v76, v10, v4, v5
.LBB367_488:                            ;   in Loop: Header=BB367_10 Depth=1
	s_or_b32 exec_lo, exec_lo, s24
.LBB367_489:                            ;   in Loop: Header=BB367_10 Depth=1
	s_or_b32 exec_lo, exec_lo, s23
.LBB367_490:                            ;   in Loop: Header=BB367_10 Depth=1
	s_or_b32 exec_lo, exec_lo, s17
	flat_load_dword v4, v[30:31] offset:1800
	v_mov_b32_e32 v33, 0
	v_mov_b32_e32 v32, 0
	s_waitcnt vmcnt(0) lgkmcnt(0)
	v_cmp_ne_u16_sdwa s6, v4, v21 src0_sel:BYTE_0 src1_sel:DWORD
	s_and_saveexec_b32 s17, s6
	s_cbranch_execz .LBB367_498
; %bb.491:                              ;   in Loop: Header=BB367_10 Depth=1
	v_cmp_ne_u16_sdwa s6, v4, v1 src0_sel:BYTE_0 src1_sel:DWORD
	v_bfrev_b32_e32 v32, 1
	s_and_saveexec_b32 s23, s6
	s_cbranch_execz .LBB367_497
; %bb.492:                              ;   in Loop: Header=BB367_10 Depth=1
	v_and_b32_e32 v10, 0x7f, v4
	v_mov_b32_e32 v32, 0x7f800001
	s_mov_b32 s24, exec_lo
	v_cmpx_ne_u32_e32 0x7f, v10
	s_cbranch_execz .LBB367_496
; %bb.493:                              ;   in Loop: Header=BB367_10 Depth=1
	v_and_b32_e32 v20, 7, v4
	v_mov_b32_e32 v31, v21
	v_lshrrev_b32_e32 v5, 3, v10
	s_mov_b32 s25, exec_lo
	v_mov_b32_e32 v30, v20
	v_cmpx_gt_u32_e32 8, v10
; %bb.494:                              ;   in Loop: Header=BB367_10 Depth=1
	v_ffbh_u32_e32 v5, v20
	v_min_u32_e32 v5, 32, v5
	v_subrev_nc_u32_e32 v10, 28, v5
	v_sub_nc_u32_e32 v5, 29, v5
	v_lshlrev_b64 v[10:11], v10, v[20:21]
	v_and_b32_e32 v30, 7, v10
; %bb.495:                              ;   in Loop: Header=BB367_10 Depth=1
	s_or_b32 exec_lo, exec_lo, s25
	v_lshlrev_b32_e32 v10, 24, v4
	v_lshlrev_b32_e32 v11, 20, v30
	v_lshl_add_u32 v5, v5, 23, 0x3c000000
	v_and_b32_e32 v10, 0x80000000, v10
	v_or3_b32 v32, v11, v10, v5
.LBB367_496:                            ;   in Loop: Header=BB367_10 Depth=1
	s_or_b32 exec_lo, exec_lo, s24
.LBB367_497:                            ;   in Loop: Header=BB367_10 Depth=1
	s_or_b32 exec_lo, exec_lo, s23
.LBB367_498:                            ;   in Loop: Header=BB367_10 Depth=1
	s_or_b32 exec_lo, exec_lo, s17
	v_cmp_ne_u16_sdwa s6, v4, v21 src0_sel:BYTE_1 src1_sel:DWORD
	s_and_saveexec_b32 s17, s6
	s_cbranch_execz .LBB367_506
; %bb.499:                              ;   in Loop: Header=BB367_10 Depth=1
	v_cmp_ne_u16_sdwa s6, v4, v1 src0_sel:BYTE_1 src1_sel:DWORD
	v_bfrev_b32_e32 v33, 1
	s_and_saveexec_b32 s23, s6
	s_cbranch_execz .LBB367_505
; %bb.500:                              ;   in Loop: Header=BB367_10 Depth=1
	v_and_b32_sdwa v5, v0, v4 dst_sel:DWORD dst_unused:UNUSED_PAD src0_sel:DWORD src1_sel:BYTE_1
	v_mov_b32_e32 v33, 0x7f800001
	s_mov_b32 s24, exec_lo
	v_and_b32_e32 v10, 0x7f, v5
	v_cmpx_ne_u32_e32 0x7f, v10
	s_cbranch_execz .LBB367_504
; %bb.501:                              ;   in Loop: Header=BB367_10 Depth=1
	v_and_b32_e32 v20, 7, v5
	v_mov_b32_e32 v31, v21
	v_lshrrev_b32_e32 v5, 3, v10
	s_mov_b32 s25, exec_lo
	v_mov_b32_e32 v30, v20
	v_cmpx_gt_u32_e32 8, v10
; %bb.502:                              ;   in Loop: Header=BB367_10 Depth=1
	v_ffbh_u32_e32 v5, v20
	v_min_u32_e32 v5, 32, v5
	v_subrev_nc_u32_e32 v10, 28, v5
	v_sub_nc_u32_e32 v5, 29, v5
	v_lshlrev_b64 v[10:11], v10, v[20:21]
	v_and_b32_e32 v30, 7, v10
; %bb.503:                              ;   in Loop: Header=BB367_10 Depth=1
	s_or_b32 exec_lo, exec_lo, s25
	v_lshlrev_b32_e32 v10, 16, v4
	v_lshlrev_b32_e32 v11, 20, v30
	v_lshl_add_u32 v5, v5, 23, 0x3c000000
	v_and_b32_e32 v10, 0x80000000, v10
	v_or3_b32 v33, v11, v10, v5
.LBB367_504:                            ;   in Loop: Header=BB367_10 Depth=1
	s_or_b32 exec_lo, exec_lo, s24
.LBB367_505:                            ;   in Loop: Header=BB367_10 Depth=1
	s_or_b32 exec_lo, exec_lo, s23
.LBB367_506:                            ;   in Loop: Header=BB367_10 Depth=1
	s_or_b32 exec_lo, exec_lo, s17
	v_and_b32_sdwa v5, v4, v27 dst_sel:DWORD dst_unused:UNUSED_PAD src0_sel:WORD_1 src1_sel:DWORD
	v_mov_b32_e32 v78, 0
	v_mov_b32_e32 v79, 0
	s_mov_b32 s17, exec_lo
	v_cmpx_ne_u16_e32 0, v5
	s_cbranch_execz .LBB367_514
; %bb.507:                              ;   in Loop: Header=BB367_10 Depth=1
	v_bfrev_b32_e32 v79, 1
	s_mov_b32 s23, exec_lo
	v_cmpx_ne_u16_e32 0x80, v5
	s_cbranch_execz .LBB367_513
; %bb.508:                              ;   in Loop: Header=BB367_10 Depth=1
	v_bfe_u32 v10, v4, 16, 7
	v_mov_b32_e32 v79, 0x7f800001
	s_mov_b32 s24, exec_lo
	v_cmpx_ne_u32_e32 0x7f, v10
	s_cbranch_execz .LBB367_512
; %bb.509:                              ;   in Loop: Header=BB367_10 Depth=1
	v_and_b32_sdwa v20, v4, v26 dst_sel:DWORD dst_unused:UNUSED_PAD src0_sel:WORD_1 src1_sel:DWORD
	v_mov_b32_e32 v31, v21
	v_lshrrev_b32_e32 v5, 3, v10
	s_mov_b32 s25, exec_lo
	v_mov_b32_e32 v30, v20
	v_cmpx_gt_u32_e32 8, v10
; %bb.510:                              ;   in Loop: Header=BB367_10 Depth=1
	v_ffbh_u32_e32 v5, v20
	v_min_u32_e32 v5, 32, v5
	v_subrev_nc_u32_e32 v10, 28, v5
	v_sub_nc_u32_e32 v5, 29, v5
	v_lshlrev_b64 v[10:11], v10, v[20:21]
	v_and_b32_e32 v30, 7, v10
; %bb.511:                              ;   in Loop: Header=BB367_10 Depth=1
	s_or_b32 exec_lo, exec_lo, s25
	v_lshlrev_b32_sdwa v10, v49, v4 dst_sel:DWORD dst_unused:UNUSED_PAD src0_sel:DWORD src1_sel:WORD_1
	v_lshlrev_b32_e32 v11, 20, v30
	v_lshl_add_u32 v5, v5, 23, 0x3c000000
	v_and_b32_e32 v10, 0x80000000, v10
	v_or3_b32 v79, v11, v10, v5
.LBB367_512:                            ;   in Loop: Header=BB367_10 Depth=1
	s_or_b32 exec_lo, exec_lo, s24
.LBB367_513:                            ;   in Loop: Header=BB367_10 Depth=1
	s_or_b32 exec_lo, exec_lo, s23
.LBB367_514:                            ;   in Loop: Header=BB367_10 Depth=1
	s_or_b32 exec_lo, exec_lo, s17
	s_mov_b32 s17, exec_lo
	v_cmpx_lt_u32_e32 0xffffff, v4
	s_cbranch_execz .LBB367_522
; %bb.515:                              ;   in Loop: Header=BB367_10 Depth=1
	v_cmp_ne_u32_sdwa s6, v4, v1 src0_sel:BYTE_3 src1_sel:DWORD
	v_bfrev_b32_e32 v78, 1
	s_and_saveexec_b32 s23, s6
	s_cbranch_execz .LBB367_521
; %bb.516:                              ;   in Loop: Header=BB367_10 Depth=1
	v_bfe_u32 v10, v4, 24, 7
	v_mov_b32_e32 v78, 0x7f800001
	s_mov_b32 s24, exec_lo
	v_cmpx_ne_u32_e32 0x7f, v10
	s_cbranch_execz .LBB367_520
; %bb.517:                              ;   in Loop: Header=BB367_10 Depth=1
	v_and_b32_sdwa v20, v4, v26 dst_sel:DWORD dst_unused:UNUSED_PAD src0_sel:BYTE_3 src1_sel:DWORD
	v_mov_b32_e32 v31, v21
	v_lshrrev_b32_e32 v5, 3, v10
	s_mov_b32 s25, exec_lo
	v_mov_b32_e32 v30, v20
	v_cmpx_gt_u32_e32 8, v10
; %bb.518:                              ;   in Loop: Header=BB367_10 Depth=1
	v_ffbh_u32_e32 v5, v20
	v_min_u32_e32 v5, 32, v5
	v_subrev_nc_u32_e32 v10, 28, v5
	v_sub_nc_u32_e32 v5, 29, v5
	v_lshlrev_b64 v[10:11], v10, v[20:21]
	v_and_b32_e32 v30, 7, v10
; %bb.519:                              ;   in Loop: Header=BB367_10 Depth=1
	s_or_b32 exec_lo, exec_lo, s25
	v_lshlrev_b32_sdwa v4, v49, v4 dst_sel:DWORD dst_unused:UNUSED_PAD src0_sel:DWORD src1_sel:BYTE_3
	v_lshlrev_b32_e32 v10, 20, v30
	v_lshl_add_u32 v5, v5, 23, 0x3c000000
	v_and_b32_e32 v4, 0x80000000, v4
	v_or3_b32 v78, v10, v4, v5
.LBB367_520:                            ;   in Loop: Header=BB367_10 Depth=1
	s_or_b32 exec_lo, exec_lo, s24
.LBB367_521:                            ;   in Loop: Header=BB367_10 Depth=1
	s_or_b32 exec_lo, exec_lo, s23
.LBB367_522:                            ;   in Loop: Header=BB367_10 Depth=1
	s_or_b32 exec_lo, exec_lo, s17
	v_add_co_u32 v4, s6, 0x800, v28
	v_add_co_ci_u32_e64 v5, null, 0, v29, s6
	v_mov_b32_e32 v89, 0
	v_add_co_u32 v10, s6, v4, v35
	v_add_co_ci_u32_e64 v11, null, 0, v5, s6
	v_mov_b32_e32 v88, 0
	flat_load_dword v12, v[10:11]
	s_waitcnt vmcnt(0) lgkmcnt(0)
	v_cmp_ne_u16_sdwa s6, v12, v21 src0_sel:BYTE_0 src1_sel:DWORD
	s_and_saveexec_b32 s17, s6
	s_cbranch_execz .LBB367_530
; %bb.523:                              ;   in Loop: Header=BB367_10 Depth=1
	v_cmp_ne_u16_sdwa s6, v12, v1 src0_sel:BYTE_0 src1_sel:DWORD
	v_bfrev_b32_e32 v88, 1
	s_and_saveexec_b32 s23, s6
	s_cbranch_execz .LBB367_529
; %bb.524:                              ;   in Loop: Header=BB367_10 Depth=1
	v_and_b32_e32 v10, 0x7f, v12
	v_mov_b32_e32 v88, 0x7f800001
	s_mov_b32 s24, exec_lo
	v_cmpx_ne_u32_e32 0x7f, v10
	s_cbranch_execz .LBB367_528
; %bb.525:                              ;   in Loop: Header=BB367_10 Depth=1
	v_and_b32_e32 v20, 7, v12
	v_mov_b32_e32 v31, v21
	v_lshrrev_b32_e32 v11, 3, v10
	s_mov_b32 s25, exec_lo
	v_mov_b32_e32 v30, v20
	v_cmpx_gt_u32_e32 8, v10
; %bb.526:                              ;   in Loop: Header=BB367_10 Depth=1
	v_ffbh_u32_e32 v10, v20
	v_min_u32_e32 v30, 32, v10
	v_subrev_nc_u32_e32 v10, 28, v30
	v_lshlrev_b64 v[10:11], v10, v[20:21]
	v_sub_nc_u32_e32 v11, 29, v30
	v_and_b32_e32 v30, 7, v10
; %bb.527:                              ;   in Loop: Header=BB367_10 Depth=1
	s_or_b32 exec_lo, exec_lo, s25
	v_lshlrev_b32_e32 v10, 24, v12
	v_lshlrev_b32_e32 v20, 20, v30
	v_lshl_add_u32 v11, v11, 23, 0x3c000000
	v_and_b32_e32 v10, 0x80000000, v10
	v_or3_b32 v88, v20, v10, v11
.LBB367_528:                            ;   in Loop: Header=BB367_10 Depth=1
	s_or_b32 exec_lo, exec_lo, s24
.LBB367_529:                            ;   in Loop: Header=BB367_10 Depth=1
	s_or_b32 exec_lo, exec_lo, s23
.LBB367_530:                            ;   in Loop: Header=BB367_10 Depth=1
	s_or_b32 exec_lo, exec_lo, s17
	v_cmp_ne_u16_sdwa s6, v12, v21 src0_sel:BYTE_1 src1_sel:DWORD
	s_and_saveexec_b32 s17, s6
	s_cbranch_execz .LBB367_538
; %bb.531:                              ;   in Loop: Header=BB367_10 Depth=1
	v_cmp_ne_u16_sdwa s6, v12, v1 src0_sel:BYTE_1 src1_sel:DWORD
	v_bfrev_b32_e32 v89, 1
	s_and_saveexec_b32 s23, s6
	s_cbranch_execz .LBB367_537
; %bb.532:                              ;   in Loop: Header=BB367_10 Depth=1
	v_and_b32_sdwa v11, v0, v12 dst_sel:DWORD dst_unused:UNUSED_PAD src0_sel:DWORD src1_sel:BYTE_1
	v_mov_b32_e32 v89, 0x7f800001
	s_mov_b32 s24, exec_lo
	v_and_b32_e32 v10, 0x7f, v11
	v_cmpx_ne_u32_e32 0x7f, v10
	s_cbranch_execz .LBB367_536
; %bb.533:                              ;   in Loop: Header=BB367_10 Depth=1
	v_and_b32_e32 v20, 7, v11
	v_mov_b32_e32 v31, v21
	v_lshrrev_b32_e32 v11, 3, v10
	s_mov_b32 s25, exec_lo
	v_mov_b32_e32 v30, v20
	v_cmpx_gt_u32_e32 8, v10
; %bb.534:                              ;   in Loop: Header=BB367_10 Depth=1
	v_ffbh_u32_e32 v10, v20
	v_min_u32_e32 v30, 32, v10
	v_subrev_nc_u32_e32 v10, 28, v30
	v_lshlrev_b64 v[10:11], v10, v[20:21]
	v_sub_nc_u32_e32 v11, 29, v30
	v_and_b32_e32 v30, 7, v10
; %bb.535:                              ;   in Loop: Header=BB367_10 Depth=1
	s_or_b32 exec_lo, exec_lo, s25
	v_lshlrev_b32_e32 v10, 16, v12
	v_lshlrev_b32_e32 v20, 20, v30
	v_lshl_add_u32 v11, v11, 23, 0x3c000000
	v_and_b32_e32 v10, 0x80000000, v10
	v_or3_b32 v89, v20, v10, v11
.LBB367_536:                            ;   in Loop: Header=BB367_10 Depth=1
	s_or_b32 exec_lo, exec_lo, s24
.LBB367_537:                            ;   in Loop: Header=BB367_10 Depth=1
	s_or_b32 exec_lo, exec_lo, s23
.LBB367_538:                            ;   in Loop: Header=BB367_10 Depth=1
	s_or_b32 exec_lo, exec_lo, s17
	v_and_b32_sdwa v10, v12, v27 dst_sel:DWORD dst_unused:UNUSED_PAD src0_sel:WORD_1 src1_sel:DWORD
	v_mov_b32_e32 v90, 0
	v_mov_b32_e32 v91, 0
	s_mov_b32 s17, exec_lo
	v_cmpx_ne_u16_e32 0, v10
	s_cbranch_execz .LBB367_546
; %bb.539:                              ;   in Loop: Header=BB367_10 Depth=1
	v_bfrev_b32_e32 v91, 1
	s_mov_b32 s23, exec_lo
	v_cmpx_ne_u16_e32 0x80, v10
	s_cbranch_execz .LBB367_545
; %bb.540:                              ;   in Loop: Header=BB367_10 Depth=1
	v_bfe_u32 v10, v12, 16, 7
	v_mov_b32_e32 v91, 0x7f800001
	s_mov_b32 s24, exec_lo
	v_cmpx_ne_u32_e32 0x7f, v10
	s_cbranch_execz .LBB367_544
; %bb.541:                              ;   in Loop: Header=BB367_10 Depth=1
	v_and_b32_sdwa v20, v12, v26 dst_sel:DWORD dst_unused:UNUSED_PAD src0_sel:WORD_1 src1_sel:DWORD
	v_mov_b32_e32 v31, v21
	v_lshrrev_b32_e32 v11, 3, v10
	s_mov_b32 s25, exec_lo
	v_mov_b32_e32 v30, v20
	v_cmpx_gt_u32_e32 8, v10
; %bb.542:                              ;   in Loop: Header=BB367_10 Depth=1
	v_ffbh_u32_e32 v10, v20
	v_min_u32_e32 v30, 32, v10
	v_subrev_nc_u32_e32 v10, 28, v30
	v_lshlrev_b64 v[10:11], v10, v[20:21]
	v_sub_nc_u32_e32 v11, 29, v30
	v_and_b32_e32 v30, 7, v10
; %bb.543:                              ;   in Loop: Header=BB367_10 Depth=1
	s_or_b32 exec_lo, exec_lo, s25
	v_lshlrev_b32_sdwa v10, v49, v12 dst_sel:DWORD dst_unused:UNUSED_PAD src0_sel:DWORD src1_sel:WORD_1
	v_lshlrev_b32_e32 v20, 20, v30
	v_lshl_add_u32 v11, v11, 23, 0x3c000000
	v_and_b32_e32 v10, 0x80000000, v10
	v_or3_b32 v91, v20, v10, v11
.LBB367_544:                            ;   in Loop: Header=BB367_10 Depth=1
	s_or_b32 exec_lo, exec_lo, s24
.LBB367_545:                            ;   in Loop: Header=BB367_10 Depth=1
	s_or_b32 exec_lo, exec_lo, s23
.LBB367_546:                            ;   in Loop: Header=BB367_10 Depth=1
	s_or_b32 exec_lo, exec_lo, s17
	s_mov_b32 s17, exec_lo
	v_cmpx_lt_u32_e32 0xffffff, v12
	s_cbranch_execz .LBB367_554
; %bb.547:                              ;   in Loop: Header=BB367_10 Depth=1
	v_cmp_ne_u32_sdwa s6, v12, v1 src0_sel:BYTE_3 src1_sel:DWORD
	v_bfrev_b32_e32 v90, 1
	s_and_saveexec_b32 s23, s6
	s_cbranch_execz .LBB367_553
; %bb.548:                              ;   in Loop: Header=BB367_10 Depth=1
	v_bfe_u32 v10, v12, 24, 7
	v_mov_b32_e32 v90, 0x7f800001
	s_mov_b32 s24, exec_lo
	v_cmpx_ne_u32_e32 0x7f, v10
	s_cbranch_execz .LBB367_552
; %bb.549:                              ;   in Loop: Header=BB367_10 Depth=1
	v_and_b32_sdwa v20, v12, v26 dst_sel:DWORD dst_unused:UNUSED_PAD src0_sel:BYTE_3 src1_sel:DWORD
	v_mov_b32_e32 v31, v21
	v_lshrrev_b32_e32 v11, 3, v10
	s_mov_b32 s25, exec_lo
	v_mov_b32_e32 v30, v20
	v_cmpx_gt_u32_e32 8, v10
; %bb.550:                              ;   in Loop: Header=BB367_10 Depth=1
	v_ffbh_u32_e32 v10, v20
	v_min_u32_e32 v30, 32, v10
	v_subrev_nc_u32_e32 v10, 28, v30
	v_lshlrev_b64 v[10:11], v10, v[20:21]
	v_sub_nc_u32_e32 v11, 29, v30
	v_and_b32_e32 v30, 7, v10
; %bb.551:                              ;   in Loop: Header=BB367_10 Depth=1
	s_or_b32 exec_lo, exec_lo, s25
	v_lshlrev_b32_sdwa v10, v49, v12 dst_sel:DWORD dst_unused:UNUSED_PAD src0_sel:DWORD src1_sel:BYTE_3
	v_lshlrev_b32_e32 v12, 20, v30
	v_lshl_add_u32 v11, v11, 23, 0x3c000000
	v_and_b32_e32 v10, 0x80000000, v10
	v_or3_b32 v90, v12, v10, v11
.LBB367_552:                            ;   in Loop: Header=BB367_10 Depth=1
	s_or_b32 exec_lo, exec_lo, s24
.LBB367_553:                            ;   in Loop: Header=BB367_10 Depth=1
	s_or_b32 exec_lo, exec_lo, s23
.LBB367_554:                            ;   in Loop: Header=BB367_10 Depth=1
	s_or_b32 exec_lo, exec_lo, s17
	v_add_co_u32 v4, s6, v4, v104
	v_add_co_ci_u32_e64 v5, null, 0, v5, s6
	v_mov_b32_e32 v93, 0
	v_mov_b32_e32 v92, 0
	flat_load_dword v4, v[4:5]
	s_waitcnt vmcnt(0) lgkmcnt(0)
	v_cmp_ne_u16_sdwa s6, v4, v21 src0_sel:BYTE_0 src1_sel:DWORD
	s_and_saveexec_b32 s17, s6
	s_cbranch_execz .LBB367_562
; %bb.555:                              ;   in Loop: Header=BB367_10 Depth=1
	v_cmp_ne_u16_sdwa s6, v4, v1 src0_sel:BYTE_0 src1_sel:DWORD
	v_bfrev_b32_e32 v92, 1
	s_and_saveexec_b32 s23, s6
	s_cbranch_execz .LBB367_561
; %bb.556:                              ;   in Loop: Header=BB367_10 Depth=1
	v_and_b32_e32 v10, 0x7f, v4
	v_mov_b32_e32 v92, 0x7f800001
	s_mov_b32 s24, exec_lo
	v_cmpx_ne_u32_e32 0x7f, v10
	s_cbranch_execz .LBB367_560
; %bb.557:                              ;   in Loop: Header=BB367_10 Depth=1
	v_and_b32_e32 v20, 7, v4
	v_mov_b32_e32 v31, v21
	v_lshrrev_b32_e32 v5, 3, v10
	s_mov_b32 s25, exec_lo
	v_mov_b32_e32 v30, v20
	v_cmpx_gt_u32_e32 8, v10
; %bb.558:                              ;   in Loop: Header=BB367_10 Depth=1
	v_ffbh_u32_e32 v5, v20
	v_min_u32_e32 v5, 32, v5
	v_subrev_nc_u32_e32 v10, 28, v5
	v_sub_nc_u32_e32 v5, 29, v5
	v_lshlrev_b64 v[10:11], v10, v[20:21]
	v_and_b32_e32 v30, 7, v10
; %bb.559:                              ;   in Loop: Header=BB367_10 Depth=1
	s_or_b32 exec_lo, exec_lo, s25
	v_lshlrev_b32_e32 v10, 24, v4
	v_lshlrev_b32_e32 v11, 20, v30
	v_lshl_add_u32 v5, v5, 23, 0x3c000000
	v_and_b32_e32 v10, 0x80000000, v10
	v_or3_b32 v92, v11, v10, v5
.LBB367_560:                            ;   in Loop: Header=BB367_10 Depth=1
	s_or_b32 exec_lo, exec_lo, s24
.LBB367_561:                            ;   in Loop: Header=BB367_10 Depth=1
	s_or_b32 exec_lo, exec_lo, s23
.LBB367_562:                            ;   in Loop: Header=BB367_10 Depth=1
	s_or_b32 exec_lo, exec_lo, s17
	v_cmp_ne_u16_sdwa s6, v4, v21 src0_sel:BYTE_1 src1_sel:DWORD
	s_and_saveexec_b32 s17, s6
	s_cbranch_execz .LBB367_570
; %bb.563:                              ;   in Loop: Header=BB367_10 Depth=1
	v_cmp_ne_u16_sdwa s6, v4, v1 src0_sel:BYTE_1 src1_sel:DWORD
	v_bfrev_b32_e32 v93, 1
	s_and_saveexec_b32 s23, s6
	s_cbranch_execz .LBB367_569
; %bb.564:                              ;   in Loop: Header=BB367_10 Depth=1
	v_and_b32_sdwa v5, v0, v4 dst_sel:DWORD dst_unused:UNUSED_PAD src0_sel:DWORD src1_sel:BYTE_1
	v_mov_b32_e32 v93, 0x7f800001
	s_mov_b32 s24, exec_lo
	v_and_b32_e32 v10, 0x7f, v5
	v_cmpx_ne_u32_e32 0x7f, v10
	s_cbranch_execz .LBB367_568
; %bb.565:                              ;   in Loop: Header=BB367_10 Depth=1
	v_and_b32_e32 v20, 7, v5
	v_mov_b32_e32 v31, v21
	v_lshrrev_b32_e32 v5, 3, v10
	s_mov_b32 s25, exec_lo
	v_mov_b32_e32 v30, v20
	v_cmpx_gt_u32_e32 8, v10
; %bb.566:                              ;   in Loop: Header=BB367_10 Depth=1
	v_ffbh_u32_e32 v5, v20
	v_min_u32_e32 v5, 32, v5
	v_subrev_nc_u32_e32 v10, 28, v5
	v_sub_nc_u32_e32 v5, 29, v5
	v_lshlrev_b64 v[10:11], v10, v[20:21]
	v_and_b32_e32 v30, 7, v10
; %bb.567:                              ;   in Loop: Header=BB367_10 Depth=1
	s_or_b32 exec_lo, exec_lo, s25
	v_lshlrev_b32_e32 v10, 16, v4
	v_lshlrev_b32_e32 v11, 20, v30
	v_lshl_add_u32 v5, v5, 23, 0x3c000000
	v_and_b32_e32 v10, 0x80000000, v10
	v_or3_b32 v93, v11, v10, v5
.LBB367_568:                            ;   in Loop: Header=BB367_10 Depth=1
	s_or_b32 exec_lo, exec_lo, s24
.LBB367_569:                            ;   in Loop: Header=BB367_10 Depth=1
	s_or_b32 exec_lo, exec_lo, s23
.LBB367_570:                            ;   in Loop: Header=BB367_10 Depth=1
	s_or_b32 exec_lo, exec_lo, s17
	v_and_b32_sdwa v5, v4, v27 dst_sel:DWORD dst_unused:UNUSED_PAD src0_sel:WORD_1 src1_sel:DWORD
	v_mov_b32_e32 v94, 0
	v_mov_b32_e32 v95, 0
	s_mov_b32 s17, exec_lo
	v_cmpx_ne_u16_e32 0, v5
	s_cbranch_execz .LBB367_578
; %bb.571:                              ;   in Loop: Header=BB367_10 Depth=1
	v_bfrev_b32_e32 v95, 1
	s_mov_b32 s23, exec_lo
	v_cmpx_ne_u16_e32 0x80, v5
	s_cbranch_execz .LBB367_577
; %bb.572:                              ;   in Loop: Header=BB367_10 Depth=1
	v_bfe_u32 v10, v4, 16, 7
	v_mov_b32_e32 v95, 0x7f800001
	s_mov_b32 s24, exec_lo
	v_cmpx_ne_u32_e32 0x7f, v10
	s_cbranch_execz .LBB367_576
; %bb.573:                              ;   in Loop: Header=BB367_10 Depth=1
	v_and_b32_sdwa v20, v4, v26 dst_sel:DWORD dst_unused:UNUSED_PAD src0_sel:WORD_1 src1_sel:DWORD
	v_mov_b32_e32 v31, v21
	v_lshrrev_b32_e32 v5, 3, v10
	s_mov_b32 s25, exec_lo
	v_mov_b32_e32 v30, v20
	v_cmpx_gt_u32_e32 8, v10
; %bb.574:                              ;   in Loop: Header=BB367_10 Depth=1
	v_ffbh_u32_e32 v5, v20
	v_min_u32_e32 v5, 32, v5
	v_subrev_nc_u32_e32 v10, 28, v5
	v_sub_nc_u32_e32 v5, 29, v5
	v_lshlrev_b64 v[10:11], v10, v[20:21]
	v_and_b32_e32 v30, 7, v10
; %bb.575:                              ;   in Loop: Header=BB367_10 Depth=1
	s_or_b32 exec_lo, exec_lo, s25
	v_lshlrev_b32_sdwa v10, v49, v4 dst_sel:DWORD dst_unused:UNUSED_PAD src0_sel:DWORD src1_sel:WORD_1
	v_lshlrev_b32_e32 v11, 20, v30
	v_lshl_add_u32 v5, v5, 23, 0x3c000000
	v_and_b32_e32 v10, 0x80000000, v10
	v_or3_b32 v95, v11, v10, v5
.LBB367_576:                            ;   in Loop: Header=BB367_10 Depth=1
	s_or_b32 exec_lo, exec_lo, s24
.LBB367_577:                            ;   in Loop: Header=BB367_10 Depth=1
	s_or_b32 exec_lo, exec_lo, s23
.LBB367_578:                            ;   in Loop: Header=BB367_10 Depth=1
	s_or_b32 exec_lo, exec_lo, s17
	s_mov_b32 s17, exec_lo
	v_cmpx_lt_u32_e32 0xffffff, v4
	s_cbranch_execz .LBB367_586
; %bb.579:                              ;   in Loop: Header=BB367_10 Depth=1
	v_cmp_ne_u32_sdwa s6, v4, v1 src0_sel:BYTE_3 src1_sel:DWORD
	v_bfrev_b32_e32 v94, 1
	s_and_saveexec_b32 s23, s6
	s_cbranch_execz .LBB367_585
; %bb.580:                              ;   in Loop: Header=BB367_10 Depth=1
	v_bfe_u32 v10, v4, 24, 7
	v_mov_b32_e32 v94, 0x7f800001
	s_mov_b32 s24, exec_lo
	v_cmpx_ne_u32_e32 0x7f, v10
	s_cbranch_execz .LBB367_584
; %bb.581:                              ;   in Loop: Header=BB367_10 Depth=1
	v_and_b32_sdwa v20, v4, v26 dst_sel:DWORD dst_unused:UNUSED_PAD src0_sel:BYTE_3 src1_sel:DWORD
	v_mov_b32_e32 v31, v21
	v_lshrrev_b32_e32 v5, 3, v10
	s_mov_b32 s25, exec_lo
	v_mov_b32_e32 v30, v20
	v_cmpx_gt_u32_e32 8, v10
; %bb.582:                              ;   in Loop: Header=BB367_10 Depth=1
	v_ffbh_u32_e32 v5, v20
	v_min_u32_e32 v5, 32, v5
	v_subrev_nc_u32_e32 v10, 28, v5
	v_sub_nc_u32_e32 v5, 29, v5
	v_lshlrev_b64 v[10:11], v10, v[20:21]
	v_and_b32_e32 v30, 7, v10
; %bb.583:                              ;   in Loop: Header=BB367_10 Depth=1
	s_or_b32 exec_lo, exec_lo, s25
	v_lshlrev_b32_sdwa v4, v49, v4 dst_sel:DWORD dst_unused:UNUSED_PAD src0_sel:DWORD src1_sel:BYTE_3
	v_lshlrev_b32_e32 v10, 20, v30
	v_lshl_add_u32 v5, v5, 23, 0x3c000000
	v_and_b32_e32 v4, 0x80000000, v4
	v_or3_b32 v94, v10, v4, v5
.LBB367_584:                            ;   in Loop: Header=BB367_10 Depth=1
	s_or_b32 exec_lo, exec_lo, s24
.LBB367_585:                            ;   in Loop: Header=BB367_10 Depth=1
	s_or_b32 exec_lo, exec_lo, s23
.LBB367_586:                            ;   in Loop: Header=BB367_10 Depth=1
	s_or_b32 exec_lo, exec_lo, s17
	v_add_co_u32 v4, s6, 0x900, v28
	v_add_co_ci_u32_e64 v5, null, 0, v29, s6
	v_mov_b32_e32 v106, 0
	v_add_co_u32 v10, s6, v4, v35
	v_add_co_ci_u32_e64 v11, null, 0, v5, s6
	v_mov_b32_e32 v105, 0
	flat_load_dword v12, v[10:11]
	s_waitcnt vmcnt(0) lgkmcnt(0)
	v_cmp_ne_u16_sdwa s6, v12, v21 src0_sel:BYTE_0 src1_sel:DWORD
	s_and_saveexec_b32 s17, s6
	s_cbranch_execz .LBB367_594
; %bb.587:                              ;   in Loop: Header=BB367_10 Depth=1
	v_cmp_ne_u16_sdwa s6, v12, v1 src0_sel:BYTE_0 src1_sel:DWORD
	v_bfrev_b32_e32 v105, 1
	s_and_saveexec_b32 s23, s6
	s_cbranch_execz .LBB367_593
; %bb.588:                              ;   in Loop: Header=BB367_10 Depth=1
	v_and_b32_e32 v10, 0x7f, v12
	v_mov_b32_e32 v105, 0x7f800001
	s_mov_b32 s24, exec_lo
	v_cmpx_ne_u32_e32 0x7f, v10
	s_cbranch_execz .LBB367_592
; %bb.589:                              ;   in Loop: Header=BB367_10 Depth=1
	v_and_b32_e32 v20, 7, v12
	v_mov_b32_e32 v31, v21
	v_lshrrev_b32_e32 v11, 3, v10
	s_mov_b32 s25, exec_lo
	v_mov_b32_e32 v30, v20
	v_cmpx_gt_u32_e32 8, v10
; %bb.590:                              ;   in Loop: Header=BB367_10 Depth=1
	v_ffbh_u32_e32 v10, v20
	v_min_u32_e32 v30, 32, v10
	v_subrev_nc_u32_e32 v10, 28, v30
	v_lshlrev_b64 v[10:11], v10, v[20:21]
	v_sub_nc_u32_e32 v11, 29, v30
	v_and_b32_e32 v30, 7, v10
; %bb.591:                              ;   in Loop: Header=BB367_10 Depth=1
	s_or_b32 exec_lo, exec_lo, s25
	v_lshlrev_b32_e32 v10, 24, v12
	v_lshlrev_b32_e32 v20, 20, v30
	v_lshl_add_u32 v11, v11, 23, 0x3c000000
	v_and_b32_e32 v10, 0x80000000, v10
	v_or3_b32 v105, v20, v10, v11
.LBB367_592:                            ;   in Loop: Header=BB367_10 Depth=1
	s_or_b32 exec_lo, exec_lo, s24
.LBB367_593:                            ;   in Loop: Header=BB367_10 Depth=1
	s_or_b32 exec_lo, exec_lo, s23
.LBB367_594:                            ;   in Loop: Header=BB367_10 Depth=1
	s_or_b32 exec_lo, exec_lo, s17
	v_cmp_ne_u16_sdwa s6, v12, v21 src0_sel:BYTE_1 src1_sel:DWORD
	s_and_saveexec_b32 s17, s6
	s_cbranch_execz .LBB367_602
; %bb.595:                              ;   in Loop: Header=BB367_10 Depth=1
	v_cmp_ne_u16_sdwa s6, v12, v1 src0_sel:BYTE_1 src1_sel:DWORD
	v_bfrev_b32_e32 v106, 1
	s_and_saveexec_b32 s23, s6
	s_cbranch_execz .LBB367_601
; %bb.596:                              ;   in Loop: Header=BB367_10 Depth=1
	v_and_b32_sdwa v11, v0, v12 dst_sel:DWORD dst_unused:UNUSED_PAD src0_sel:DWORD src1_sel:BYTE_1
	v_mov_b32_e32 v106, 0x7f800001
	s_mov_b32 s24, exec_lo
	v_and_b32_e32 v10, 0x7f, v11
	v_cmpx_ne_u32_e32 0x7f, v10
	s_cbranch_execz .LBB367_600
; %bb.597:                              ;   in Loop: Header=BB367_10 Depth=1
	v_and_b32_e32 v20, 7, v11
	v_mov_b32_e32 v31, v21
	v_lshrrev_b32_e32 v11, 3, v10
	s_mov_b32 s25, exec_lo
	v_mov_b32_e32 v30, v20
	v_cmpx_gt_u32_e32 8, v10
; %bb.598:                              ;   in Loop: Header=BB367_10 Depth=1
	v_ffbh_u32_e32 v10, v20
	v_min_u32_e32 v30, 32, v10
	v_subrev_nc_u32_e32 v10, 28, v30
	v_lshlrev_b64 v[10:11], v10, v[20:21]
	v_sub_nc_u32_e32 v11, 29, v30
	v_and_b32_e32 v30, 7, v10
; %bb.599:                              ;   in Loop: Header=BB367_10 Depth=1
	s_or_b32 exec_lo, exec_lo, s25
	v_lshlrev_b32_e32 v10, 16, v12
	v_lshlrev_b32_e32 v20, 20, v30
	v_lshl_add_u32 v11, v11, 23, 0x3c000000
	v_and_b32_e32 v10, 0x80000000, v10
	v_or3_b32 v106, v20, v10, v11
.LBB367_600:                            ;   in Loop: Header=BB367_10 Depth=1
	s_or_b32 exec_lo, exec_lo, s24
.LBB367_601:                            ;   in Loop: Header=BB367_10 Depth=1
	s_or_b32 exec_lo, exec_lo, s23
.LBB367_602:                            ;   in Loop: Header=BB367_10 Depth=1
	s_or_b32 exec_lo, exec_lo, s17
	v_and_b32_sdwa v10, v12, v27 dst_sel:DWORD dst_unused:UNUSED_PAD src0_sel:WORD_1 src1_sel:DWORD
	v_mov_b32_e32 v107, 0
	v_mov_b32_e32 v108, 0
	s_mov_b32 s17, exec_lo
	v_cmpx_ne_u16_e32 0, v10
	s_cbranch_execz .LBB367_610
; %bb.603:                              ;   in Loop: Header=BB367_10 Depth=1
	v_bfrev_b32_e32 v108, 1
	s_mov_b32 s23, exec_lo
	v_cmpx_ne_u16_e32 0x80, v10
	s_cbranch_execz .LBB367_609
; %bb.604:                              ;   in Loop: Header=BB367_10 Depth=1
	v_bfe_u32 v10, v12, 16, 7
	v_mov_b32_e32 v108, 0x7f800001
	s_mov_b32 s24, exec_lo
	v_cmpx_ne_u32_e32 0x7f, v10
	s_cbranch_execz .LBB367_608
; %bb.605:                              ;   in Loop: Header=BB367_10 Depth=1
	v_and_b32_sdwa v20, v12, v26 dst_sel:DWORD dst_unused:UNUSED_PAD src0_sel:WORD_1 src1_sel:DWORD
	v_mov_b32_e32 v31, v21
	v_lshrrev_b32_e32 v11, 3, v10
	s_mov_b32 s25, exec_lo
	v_mov_b32_e32 v30, v20
	v_cmpx_gt_u32_e32 8, v10
; %bb.606:                              ;   in Loop: Header=BB367_10 Depth=1
	v_ffbh_u32_e32 v10, v20
	v_min_u32_e32 v30, 32, v10
	v_subrev_nc_u32_e32 v10, 28, v30
	v_lshlrev_b64 v[10:11], v10, v[20:21]
	v_sub_nc_u32_e32 v11, 29, v30
	v_and_b32_e32 v30, 7, v10
; %bb.607:                              ;   in Loop: Header=BB367_10 Depth=1
	s_or_b32 exec_lo, exec_lo, s25
	v_lshlrev_b32_sdwa v10, v49, v12 dst_sel:DWORD dst_unused:UNUSED_PAD src0_sel:DWORD src1_sel:WORD_1
	v_lshlrev_b32_e32 v20, 20, v30
	v_lshl_add_u32 v11, v11, 23, 0x3c000000
	v_and_b32_e32 v10, 0x80000000, v10
	v_or3_b32 v108, v20, v10, v11
.LBB367_608:                            ;   in Loop: Header=BB367_10 Depth=1
	s_or_b32 exec_lo, exec_lo, s24
.LBB367_609:                            ;   in Loop: Header=BB367_10 Depth=1
	s_or_b32 exec_lo, exec_lo, s23
.LBB367_610:                            ;   in Loop: Header=BB367_10 Depth=1
	s_or_b32 exec_lo, exec_lo, s17
	s_mov_b32 s17, exec_lo
	v_cmpx_lt_u32_e32 0xffffff, v12
	s_cbranch_execz .LBB367_618
; %bb.611:                              ;   in Loop: Header=BB367_10 Depth=1
	v_cmp_ne_u32_sdwa s6, v12, v1 src0_sel:BYTE_3 src1_sel:DWORD
	v_bfrev_b32_e32 v107, 1
	s_and_saveexec_b32 s23, s6
	s_cbranch_execz .LBB367_617
; %bb.612:                              ;   in Loop: Header=BB367_10 Depth=1
	v_bfe_u32 v10, v12, 24, 7
	v_mov_b32_e32 v107, 0x7f800001
	s_mov_b32 s24, exec_lo
	v_cmpx_ne_u32_e32 0x7f, v10
	s_cbranch_execz .LBB367_616
; %bb.613:                              ;   in Loop: Header=BB367_10 Depth=1
	v_and_b32_sdwa v20, v12, v26 dst_sel:DWORD dst_unused:UNUSED_PAD src0_sel:BYTE_3 src1_sel:DWORD
	v_mov_b32_e32 v31, v21
	v_lshrrev_b32_e32 v11, 3, v10
	s_mov_b32 s25, exec_lo
	v_mov_b32_e32 v30, v20
	v_cmpx_gt_u32_e32 8, v10
; %bb.614:                              ;   in Loop: Header=BB367_10 Depth=1
	v_ffbh_u32_e32 v10, v20
	v_min_u32_e32 v30, 32, v10
	v_subrev_nc_u32_e32 v10, 28, v30
	v_lshlrev_b64 v[10:11], v10, v[20:21]
	v_sub_nc_u32_e32 v11, 29, v30
	v_and_b32_e32 v30, 7, v10
; %bb.615:                              ;   in Loop: Header=BB367_10 Depth=1
	s_or_b32 exec_lo, exec_lo, s25
	v_lshlrev_b32_sdwa v10, v49, v12 dst_sel:DWORD dst_unused:UNUSED_PAD src0_sel:DWORD src1_sel:BYTE_3
	v_lshlrev_b32_e32 v12, 20, v30
	v_lshl_add_u32 v11, v11, 23, 0x3c000000
	v_and_b32_e32 v10, 0x80000000, v10
	v_or3_b32 v107, v12, v10, v11
.LBB367_616:                            ;   in Loop: Header=BB367_10 Depth=1
	s_or_b32 exec_lo, exec_lo, s24
.LBB367_617:                            ;   in Loop: Header=BB367_10 Depth=1
	s_or_b32 exec_lo, exec_lo, s23
.LBB367_618:                            ;   in Loop: Header=BB367_10 Depth=1
	s_or_b32 exec_lo, exec_lo, s17
	v_add_co_u32 v4, s6, v4, v104
	v_add_co_ci_u32_e64 v5, null, 0, v5, s6
	v_mov_b32_e32 v110, 0
	v_mov_b32_e32 v109, 0
	flat_load_dword v4, v[4:5]
	s_waitcnt vmcnt(0) lgkmcnt(0)
	v_cmp_ne_u16_sdwa s6, v4, v21 src0_sel:BYTE_0 src1_sel:DWORD
	s_and_saveexec_b32 s17, s6
	s_cbranch_execz .LBB367_626
; %bb.619:                              ;   in Loop: Header=BB367_10 Depth=1
	v_cmp_ne_u16_sdwa s6, v4, v1 src0_sel:BYTE_0 src1_sel:DWORD
	v_bfrev_b32_e32 v109, 1
	s_and_saveexec_b32 s23, s6
	s_cbranch_execz .LBB367_625
; %bb.620:                              ;   in Loop: Header=BB367_10 Depth=1
	v_and_b32_e32 v10, 0x7f, v4
	v_mov_b32_e32 v109, 0x7f800001
	s_mov_b32 s24, exec_lo
	v_cmpx_ne_u32_e32 0x7f, v10
	s_cbranch_execz .LBB367_624
; %bb.621:                              ;   in Loop: Header=BB367_10 Depth=1
	v_and_b32_e32 v20, 7, v4
	v_mov_b32_e32 v31, v21
	v_lshrrev_b32_e32 v5, 3, v10
	s_mov_b32 s25, exec_lo
	v_mov_b32_e32 v30, v20
	v_cmpx_gt_u32_e32 8, v10
; %bb.622:                              ;   in Loop: Header=BB367_10 Depth=1
	v_ffbh_u32_e32 v5, v20
	v_min_u32_e32 v5, 32, v5
	v_subrev_nc_u32_e32 v10, 28, v5
	v_sub_nc_u32_e32 v5, 29, v5
	v_lshlrev_b64 v[10:11], v10, v[20:21]
	v_and_b32_e32 v30, 7, v10
; %bb.623:                              ;   in Loop: Header=BB367_10 Depth=1
	s_or_b32 exec_lo, exec_lo, s25
	v_lshlrev_b32_e32 v10, 24, v4
	v_lshlrev_b32_e32 v11, 20, v30
	v_lshl_add_u32 v5, v5, 23, 0x3c000000
	v_and_b32_e32 v10, 0x80000000, v10
	v_or3_b32 v109, v11, v10, v5
.LBB367_624:                            ;   in Loop: Header=BB367_10 Depth=1
	s_or_b32 exec_lo, exec_lo, s24
.LBB367_625:                            ;   in Loop: Header=BB367_10 Depth=1
	s_or_b32 exec_lo, exec_lo, s23
.LBB367_626:                            ;   in Loop: Header=BB367_10 Depth=1
	s_or_b32 exec_lo, exec_lo, s17
	v_cmp_ne_u16_sdwa s6, v4, v21 src0_sel:BYTE_1 src1_sel:DWORD
	s_and_saveexec_b32 s17, s6
	s_cbranch_execz .LBB367_634
; %bb.627:                              ;   in Loop: Header=BB367_10 Depth=1
	v_cmp_ne_u16_sdwa s6, v4, v1 src0_sel:BYTE_1 src1_sel:DWORD
	v_bfrev_b32_e32 v110, 1
	s_and_saveexec_b32 s23, s6
	s_cbranch_execz .LBB367_633
; %bb.628:                              ;   in Loop: Header=BB367_10 Depth=1
	v_and_b32_sdwa v5, v0, v4 dst_sel:DWORD dst_unused:UNUSED_PAD src0_sel:DWORD src1_sel:BYTE_1
	v_mov_b32_e32 v110, 0x7f800001
	s_mov_b32 s24, exec_lo
	v_and_b32_e32 v10, 0x7f, v5
	v_cmpx_ne_u32_e32 0x7f, v10
	s_cbranch_execz .LBB367_632
; %bb.629:                              ;   in Loop: Header=BB367_10 Depth=1
	v_and_b32_e32 v20, 7, v5
	v_mov_b32_e32 v31, v21
	v_lshrrev_b32_e32 v5, 3, v10
	s_mov_b32 s25, exec_lo
	v_mov_b32_e32 v30, v20
	v_cmpx_gt_u32_e32 8, v10
; %bb.630:                              ;   in Loop: Header=BB367_10 Depth=1
	v_ffbh_u32_e32 v5, v20
	v_min_u32_e32 v5, 32, v5
	v_subrev_nc_u32_e32 v10, 28, v5
	v_sub_nc_u32_e32 v5, 29, v5
	v_lshlrev_b64 v[10:11], v10, v[20:21]
	v_and_b32_e32 v30, 7, v10
; %bb.631:                              ;   in Loop: Header=BB367_10 Depth=1
	s_or_b32 exec_lo, exec_lo, s25
	v_lshlrev_b32_e32 v10, 16, v4
	v_lshlrev_b32_e32 v11, 20, v30
	v_lshl_add_u32 v5, v5, 23, 0x3c000000
	v_and_b32_e32 v10, 0x80000000, v10
	v_or3_b32 v110, v11, v10, v5
.LBB367_632:                            ;   in Loop: Header=BB367_10 Depth=1
	s_or_b32 exec_lo, exec_lo, s24
.LBB367_633:                            ;   in Loop: Header=BB367_10 Depth=1
	s_or_b32 exec_lo, exec_lo, s23
.LBB367_634:                            ;   in Loop: Header=BB367_10 Depth=1
	s_or_b32 exec_lo, exec_lo, s17
	v_and_b32_sdwa v5, v4, v27 dst_sel:DWORD dst_unused:UNUSED_PAD src0_sel:WORD_1 src1_sel:DWORD
	v_mov_b32_e32 v111, 0
	v_mov_b32_e32 v120, 0
	s_mov_b32 s17, exec_lo
	v_cmpx_ne_u16_e32 0, v5
	s_cbranch_execz .LBB367_642
; %bb.635:                              ;   in Loop: Header=BB367_10 Depth=1
	v_bfrev_b32_e32 v120, 1
	s_mov_b32 s23, exec_lo
	v_cmpx_ne_u16_e32 0x80, v5
	s_cbranch_execz .LBB367_641
; %bb.636:                              ;   in Loop: Header=BB367_10 Depth=1
	v_bfe_u32 v10, v4, 16, 7
	v_mov_b32_e32 v120, 0x7f800001
	s_mov_b32 s24, exec_lo
	v_cmpx_ne_u32_e32 0x7f, v10
	s_cbranch_execz .LBB367_640
; %bb.637:                              ;   in Loop: Header=BB367_10 Depth=1
	v_and_b32_sdwa v20, v4, v26 dst_sel:DWORD dst_unused:UNUSED_PAD src0_sel:WORD_1 src1_sel:DWORD
	v_mov_b32_e32 v31, v21
	v_lshrrev_b32_e32 v5, 3, v10
	s_mov_b32 s25, exec_lo
	v_mov_b32_e32 v30, v20
	v_cmpx_gt_u32_e32 8, v10
; %bb.638:                              ;   in Loop: Header=BB367_10 Depth=1
	v_ffbh_u32_e32 v5, v20
	v_min_u32_e32 v5, 32, v5
	v_subrev_nc_u32_e32 v10, 28, v5
	v_sub_nc_u32_e32 v5, 29, v5
	v_lshlrev_b64 v[10:11], v10, v[20:21]
	v_and_b32_e32 v30, 7, v10
; %bb.639:                              ;   in Loop: Header=BB367_10 Depth=1
	s_or_b32 exec_lo, exec_lo, s25
	v_lshlrev_b32_sdwa v10, v49, v4 dst_sel:DWORD dst_unused:UNUSED_PAD src0_sel:DWORD src1_sel:WORD_1
	v_lshlrev_b32_e32 v11, 20, v30
	v_lshl_add_u32 v5, v5, 23, 0x3c000000
	v_and_b32_e32 v10, 0x80000000, v10
	v_or3_b32 v120, v11, v10, v5
.LBB367_640:                            ;   in Loop: Header=BB367_10 Depth=1
	s_or_b32 exec_lo, exec_lo, s24
.LBB367_641:                            ;   in Loop: Header=BB367_10 Depth=1
	s_or_b32 exec_lo, exec_lo, s23
.LBB367_642:                            ;   in Loop: Header=BB367_10 Depth=1
	s_or_b32 exec_lo, exec_lo, s17
	s_mov_b32 s17, exec_lo
	v_cmpx_lt_u32_e32 0xffffff, v4
	s_cbranch_execz .LBB367_650
; %bb.643:                              ;   in Loop: Header=BB367_10 Depth=1
	v_cmp_ne_u32_sdwa s6, v4, v1 src0_sel:BYTE_3 src1_sel:DWORD
	v_bfrev_b32_e32 v111, 1
	s_and_saveexec_b32 s23, s6
	s_cbranch_execz .LBB367_649
; %bb.644:                              ;   in Loop: Header=BB367_10 Depth=1
	v_bfe_u32 v10, v4, 24, 7
	v_mov_b32_e32 v111, 0x7f800001
	s_mov_b32 s24, exec_lo
	v_cmpx_ne_u32_e32 0x7f, v10
	s_cbranch_execz .LBB367_648
; %bb.645:                              ;   in Loop: Header=BB367_10 Depth=1
	v_and_b32_sdwa v20, v4, v26 dst_sel:DWORD dst_unused:UNUSED_PAD src0_sel:BYTE_3 src1_sel:DWORD
	v_mov_b32_e32 v31, v21
	v_lshrrev_b32_e32 v5, 3, v10
	s_mov_b32 s25, exec_lo
	v_mov_b32_e32 v30, v20
	v_cmpx_gt_u32_e32 8, v10
; %bb.646:                              ;   in Loop: Header=BB367_10 Depth=1
	v_ffbh_u32_e32 v5, v20
	v_min_u32_e32 v5, 32, v5
	v_subrev_nc_u32_e32 v10, 28, v5
	v_sub_nc_u32_e32 v5, 29, v5
	v_lshlrev_b64 v[10:11], v10, v[20:21]
	v_and_b32_e32 v30, 7, v10
; %bb.647:                              ;   in Loop: Header=BB367_10 Depth=1
	s_or_b32 exec_lo, exec_lo, s25
	v_lshlrev_b32_sdwa v4, v49, v4 dst_sel:DWORD dst_unused:UNUSED_PAD src0_sel:DWORD src1_sel:BYTE_3
	v_lshlrev_b32_e32 v10, 20, v30
	v_lshl_add_u32 v5, v5, 23, 0x3c000000
	v_and_b32_e32 v4, 0x80000000, v4
	v_or3_b32 v111, v10, v4, v5
.LBB367_648:                            ;   in Loop: Header=BB367_10 Depth=1
	s_or_b32 exec_lo, exec_lo, s24
.LBB367_649:                            ;   in Loop: Header=BB367_10 Depth=1
	s_or_b32 exec_lo, exec_lo, s23
.LBB367_650:                            ;   in Loop: Header=BB367_10 Depth=1
	s_or_b32 exec_lo, exec_lo, s17
	v_add_co_u32 v4, s6, 0xa00, v28
	v_add_co_ci_u32_e64 v5, null, 0, v29, s6
	v_mov_b32_e32 v122, 0
	v_add_co_u32 v10, s6, v4, v35
	v_add_co_ci_u32_e64 v11, null, 0, v5, s6
	v_mov_b32_e32 v121, 0
	flat_load_dword v12, v[10:11]
	s_waitcnt vmcnt(0) lgkmcnt(0)
	v_cmp_ne_u16_sdwa s6, v12, v21 src0_sel:BYTE_0 src1_sel:DWORD
	s_and_saveexec_b32 s17, s6
	s_cbranch_execz .LBB367_658
; %bb.651:                              ;   in Loop: Header=BB367_10 Depth=1
	v_cmp_ne_u16_sdwa s6, v12, v1 src0_sel:BYTE_0 src1_sel:DWORD
	v_bfrev_b32_e32 v121, 1
	s_and_saveexec_b32 s23, s6
	s_cbranch_execz .LBB367_657
; %bb.652:                              ;   in Loop: Header=BB367_10 Depth=1
	v_and_b32_e32 v10, 0x7f, v12
	v_mov_b32_e32 v121, 0x7f800001
	s_mov_b32 s24, exec_lo
	v_cmpx_ne_u32_e32 0x7f, v10
	s_cbranch_execz .LBB367_656
; %bb.653:                              ;   in Loop: Header=BB367_10 Depth=1
	v_and_b32_e32 v20, 7, v12
	v_mov_b32_e32 v31, v21
	v_lshrrev_b32_e32 v11, 3, v10
	s_mov_b32 s25, exec_lo
	v_mov_b32_e32 v30, v20
	v_cmpx_gt_u32_e32 8, v10
; %bb.654:                              ;   in Loop: Header=BB367_10 Depth=1
	v_ffbh_u32_e32 v10, v20
	v_min_u32_e32 v30, 32, v10
	v_subrev_nc_u32_e32 v10, 28, v30
	v_lshlrev_b64 v[10:11], v10, v[20:21]
	v_sub_nc_u32_e32 v11, 29, v30
	v_and_b32_e32 v30, 7, v10
; %bb.655:                              ;   in Loop: Header=BB367_10 Depth=1
	s_or_b32 exec_lo, exec_lo, s25
	v_lshlrev_b32_e32 v10, 24, v12
	v_lshlrev_b32_e32 v20, 20, v30
	v_lshl_add_u32 v11, v11, 23, 0x3c000000
	v_and_b32_e32 v10, 0x80000000, v10
	v_or3_b32 v121, v20, v10, v11
.LBB367_656:                            ;   in Loop: Header=BB367_10 Depth=1
	s_or_b32 exec_lo, exec_lo, s24
.LBB367_657:                            ;   in Loop: Header=BB367_10 Depth=1
	s_or_b32 exec_lo, exec_lo, s23
.LBB367_658:                            ;   in Loop: Header=BB367_10 Depth=1
	s_or_b32 exec_lo, exec_lo, s17
	v_cmp_ne_u16_sdwa s6, v12, v21 src0_sel:BYTE_1 src1_sel:DWORD
	s_and_saveexec_b32 s17, s6
	s_cbranch_execz .LBB367_666
; %bb.659:                              ;   in Loop: Header=BB367_10 Depth=1
	v_cmp_ne_u16_sdwa s6, v12, v1 src0_sel:BYTE_1 src1_sel:DWORD
	v_bfrev_b32_e32 v122, 1
	s_and_saveexec_b32 s23, s6
	s_cbranch_execz .LBB367_665
; %bb.660:                              ;   in Loop: Header=BB367_10 Depth=1
	v_and_b32_sdwa v11, v0, v12 dst_sel:DWORD dst_unused:UNUSED_PAD src0_sel:DWORD src1_sel:BYTE_1
	v_mov_b32_e32 v122, 0x7f800001
	s_mov_b32 s24, exec_lo
	v_and_b32_e32 v10, 0x7f, v11
	v_cmpx_ne_u32_e32 0x7f, v10
	s_cbranch_execz .LBB367_664
; %bb.661:                              ;   in Loop: Header=BB367_10 Depth=1
	v_and_b32_e32 v20, 7, v11
	v_mov_b32_e32 v31, v21
	v_lshrrev_b32_e32 v11, 3, v10
	s_mov_b32 s25, exec_lo
	v_mov_b32_e32 v30, v20
	v_cmpx_gt_u32_e32 8, v10
; %bb.662:                              ;   in Loop: Header=BB367_10 Depth=1
	v_ffbh_u32_e32 v10, v20
	v_min_u32_e32 v30, 32, v10
	v_subrev_nc_u32_e32 v10, 28, v30
	v_lshlrev_b64 v[10:11], v10, v[20:21]
	v_sub_nc_u32_e32 v11, 29, v30
	v_and_b32_e32 v30, 7, v10
; %bb.663:                              ;   in Loop: Header=BB367_10 Depth=1
	s_or_b32 exec_lo, exec_lo, s25
	v_lshlrev_b32_e32 v10, 16, v12
	v_lshlrev_b32_e32 v20, 20, v30
	v_lshl_add_u32 v11, v11, 23, 0x3c000000
	v_and_b32_e32 v10, 0x80000000, v10
	v_or3_b32 v122, v20, v10, v11
.LBB367_664:                            ;   in Loop: Header=BB367_10 Depth=1
	s_or_b32 exec_lo, exec_lo, s24
.LBB367_665:                            ;   in Loop: Header=BB367_10 Depth=1
	s_or_b32 exec_lo, exec_lo, s23
.LBB367_666:                            ;   in Loop: Header=BB367_10 Depth=1
	s_or_b32 exec_lo, exec_lo, s17
	v_and_b32_sdwa v10, v12, v27 dst_sel:DWORD dst_unused:UNUSED_PAD src0_sel:WORD_1 src1_sel:DWORD
	v_mov_b32_e32 v123, 0
	v_mov_b32_e32 v124, 0
	s_mov_b32 s17, exec_lo
	v_cmpx_ne_u16_e32 0, v10
	s_cbranch_execz .LBB367_674
; %bb.667:                              ;   in Loop: Header=BB367_10 Depth=1
	v_bfrev_b32_e32 v124, 1
	s_mov_b32 s23, exec_lo
	v_cmpx_ne_u16_e32 0x80, v10
	s_cbranch_execz .LBB367_673
; %bb.668:                              ;   in Loop: Header=BB367_10 Depth=1
	v_bfe_u32 v10, v12, 16, 7
	v_mov_b32_e32 v124, 0x7f800001
	s_mov_b32 s24, exec_lo
	v_cmpx_ne_u32_e32 0x7f, v10
	s_cbranch_execz .LBB367_672
; %bb.669:                              ;   in Loop: Header=BB367_10 Depth=1
	v_and_b32_sdwa v20, v12, v26 dst_sel:DWORD dst_unused:UNUSED_PAD src0_sel:WORD_1 src1_sel:DWORD
	v_mov_b32_e32 v31, v21
	v_lshrrev_b32_e32 v11, 3, v10
	s_mov_b32 s25, exec_lo
	v_mov_b32_e32 v30, v20
	v_cmpx_gt_u32_e32 8, v10
; %bb.670:                              ;   in Loop: Header=BB367_10 Depth=1
	v_ffbh_u32_e32 v10, v20
	v_min_u32_e32 v30, 32, v10
	v_subrev_nc_u32_e32 v10, 28, v30
	v_lshlrev_b64 v[10:11], v10, v[20:21]
	v_sub_nc_u32_e32 v11, 29, v30
	v_and_b32_e32 v30, 7, v10
; %bb.671:                              ;   in Loop: Header=BB367_10 Depth=1
	s_or_b32 exec_lo, exec_lo, s25
	v_lshlrev_b32_sdwa v10, v49, v12 dst_sel:DWORD dst_unused:UNUSED_PAD src0_sel:DWORD src1_sel:WORD_1
	v_lshlrev_b32_e32 v20, 20, v30
	v_lshl_add_u32 v11, v11, 23, 0x3c000000
	v_and_b32_e32 v10, 0x80000000, v10
	v_or3_b32 v124, v20, v10, v11
.LBB367_672:                            ;   in Loop: Header=BB367_10 Depth=1
	s_or_b32 exec_lo, exec_lo, s24
.LBB367_673:                            ;   in Loop: Header=BB367_10 Depth=1
	s_or_b32 exec_lo, exec_lo, s23
.LBB367_674:                            ;   in Loop: Header=BB367_10 Depth=1
	s_or_b32 exec_lo, exec_lo, s17
	s_mov_b32 s17, exec_lo
	v_cmpx_lt_u32_e32 0xffffff, v12
	s_cbranch_execz .LBB367_682
; %bb.675:                              ;   in Loop: Header=BB367_10 Depth=1
	v_cmp_ne_u32_sdwa s6, v12, v1 src0_sel:BYTE_3 src1_sel:DWORD
	v_bfrev_b32_e32 v123, 1
	s_and_saveexec_b32 s23, s6
	s_cbranch_execz .LBB367_681
; %bb.676:                              ;   in Loop: Header=BB367_10 Depth=1
	v_bfe_u32 v10, v12, 24, 7
	v_mov_b32_e32 v123, 0x7f800001
	s_mov_b32 s24, exec_lo
	v_cmpx_ne_u32_e32 0x7f, v10
	s_cbranch_execz .LBB367_680
; %bb.677:                              ;   in Loop: Header=BB367_10 Depth=1
	v_and_b32_sdwa v20, v12, v26 dst_sel:DWORD dst_unused:UNUSED_PAD src0_sel:BYTE_3 src1_sel:DWORD
	v_mov_b32_e32 v31, v21
	v_lshrrev_b32_e32 v11, 3, v10
	s_mov_b32 s25, exec_lo
	v_mov_b32_e32 v30, v20
	v_cmpx_gt_u32_e32 8, v10
; %bb.678:                              ;   in Loop: Header=BB367_10 Depth=1
	v_ffbh_u32_e32 v10, v20
	v_min_u32_e32 v30, 32, v10
	v_subrev_nc_u32_e32 v10, 28, v30
	v_lshlrev_b64 v[10:11], v10, v[20:21]
	v_sub_nc_u32_e32 v11, 29, v30
	v_and_b32_e32 v30, 7, v10
; %bb.679:                              ;   in Loop: Header=BB367_10 Depth=1
	s_or_b32 exec_lo, exec_lo, s25
	v_lshlrev_b32_sdwa v10, v49, v12 dst_sel:DWORD dst_unused:UNUSED_PAD src0_sel:DWORD src1_sel:BYTE_3
	v_lshlrev_b32_e32 v12, 20, v30
	v_lshl_add_u32 v11, v11, 23, 0x3c000000
	v_and_b32_e32 v10, 0x80000000, v10
	v_or3_b32 v123, v12, v10, v11
.LBB367_680:                            ;   in Loop: Header=BB367_10 Depth=1
	s_or_b32 exec_lo, exec_lo, s24
.LBB367_681:                            ;   in Loop: Header=BB367_10 Depth=1
	s_or_b32 exec_lo, exec_lo, s23
.LBB367_682:                            ;   in Loop: Header=BB367_10 Depth=1
	s_or_b32 exec_lo, exec_lo, s17
	v_add_co_u32 v4, s6, v4, v104
	v_add_co_ci_u32_e64 v5, null, 0, v5, s6
	v_mov_b32_e32 v38, 0
	v_mov_b32_e32 v126, 0
	flat_load_dword v4, v[4:5]
	s_waitcnt vmcnt(0) lgkmcnt(0)
	v_cmp_ne_u16_sdwa s6, v4, v21 src0_sel:BYTE_0 src1_sel:DWORD
	s_and_saveexec_b32 s17, s6
	s_cbranch_execz .LBB367_690
; %bb.683:                              ;   in Loop: Header=BB367_10 Depth=1
	v_cmp_ne_u16_sdwa s6, v4, v1 src0_sel:BYTE_0 src1_sel:DWORD
	v_bfrev_b32_e32 v126, 1
	s_and_saveexec_b32 s23, s6
	s_cbranch_execz .LBB367_689
; %bb.684:                              ;   in Loop: Header=BB367_10 Depth=1
	v_and_b32_e32 v10, 0x7f, v4
	v_mov_b32_e32 v126, 0x7f800001
	s_mov_b32 s24, exec_lo
	v_cmpx_ne_u32_e32 0x7f, v10
	s_cbranch_execz .LBB367_688
; %bb.685:                              ;   in Loop: Header=BB367_10 Depth=1
	v_and_b32_e32 v20, 7, v4
	v_mov_b32_e32 v31, v21
	v_lshrrev_b32_e32 v5, 3, v10
	s_mov_b32 s25, exec_lo
	v_mov_b32_e32 v30, v20
	v_cmpx_gt_u32_e32 8, v10
; %bb.686:                              ;   in Loop: Header=BB367_10 Depth=1
	v_ffbh_u32_e32 v5, v20
	v_min_u32_e32 v5, 32, v5
	v_subrev_nc_u32_e32 v10, 28, v5
	v_sub_nc_u32_e32 v5, 29, v5
	v_lshlrev_b64 v[10:11], v10, v[20:21]
	v_and_b32_e32 v30, 7, v10
; %bb.687:                              ;   in Loop: Header=BB367_10 Depth=1
	s_or_b32 exec_lo, exec_lo, s25
	v_lshlrev_b32_e32 v10, 24, v4
	v_lshlrev_b32_e32 v11, 20, v30
	v_lshl_add_u32 v5, v5, 23, 0x3c000000
	v_and_b32_e32 v10, 0x80000000, v10
	v_or3_b32 v126, v11, v10, v5
.LBB367_688:                            ;   in Loop: Header=BB367_10 Depth=1
	s_or_b32 exec_lo, exec_lo, s24
.LBB367_689:                            ;   in Loop: Header=BB367_10 Depth=1
	s_or_b32 exec_lo, exec_lo, s23
.LBB367_690:                            ;   in Loop: Header=BB367_10 Depth=1
	s_or_b32 exec_lo, exec_lo, s17
	v_cmp_ne_u16_sdwa s6, v4, v21 src0_sel:BYTE_1 src1_sel:DWORD
	s_and_saveexec_b32 s17, s6
	s_cbranch_execz .LBB367_698
; %bb.691:                              ;   in Loop: Header=BB367_10 Depth=1
	v_cmp_ne_u16_sdwa s6, v4, v1 src0_sel:BYTE_1 src1_sel:DWORD
	v_bfrev_b32_e32 v38, 1
	s_and_saveexec_b32 s23, s6
	s_cbranch_execz .LBB367_697
; %bb.692:                              ;   in Loop: Header=BB367_10 Depth=1
	v_and_b32_sdwa v5, v0, v4 dst_sel:DWORD dst_unused:UNUSED_PAD src0_sel:DWORD src1_sel:BYTE_1
	v_mov_b32_e32 v38, 0x7f800001
	s_mov_b32 s24, exec_lo
	v_and_b32_e32 v11, 0x7f, v5
	v_cmpx_ne_u32_e32 0x7f, v11
	s_cbranch_execz .LBB367_696
; %bb.693:                              ;   in Loop: Header=BB367_10 Depth=1
	v_and_b32_e32 v20, 7, v5
	v_mov_b32_e32 v31, v21
	v_lshrrev_b32_e32 v5, 3, v11
	s_mov_b32 s25, exec_lo
	v_mov_b32_e32 v30, v20
	v_cmpx_gt_u32_e32 8, v11
; %bb.694:                              ;   in Loop: Header=BB367_10 Depth=1
	v_ffbh_u32_e32 v5, v20
	v_min_u32_e32 v5, 32, v5
	v_subrev_nc_u32_e32 v10, 28, v5
	v_sub_nc_u32_e32 v5, 29, v5
	v_lshlrev_b64 v[10:11], v10, v[20:21]
	v_and_b32_e32 v30, 7, v10
; %bb.695:                              ;   in Loop: Header=BB367_10 Depth=1
	s_or_b32 exec_lo, exec_lo, s25
	v_lshlrev_b32_e32 v10, 16, v4
	v_lshlrev_b32_e32 v11, 20, v30
	v_lshl_add_u32 v5, v5, 23, 0x3c000000
	v_and_b32_e32 v10, 0x80000000, v10
	v_or3_b32 v38, v11, v10, v5
.LBB367_696:                            ;   in Loop: Header=BB367_10 Depth=1
	s_or_b32 exec_lo, exec_lo, s24
.LBB367_697:                            ;   in Loop: Header=BB367_10 Depth=1
	s_or_b32 exec_lo, exec_lo, s23
.LBB367_698:                            ;   in Loop: Header=BB367_10 Depth=1
	s_or_b32 exec_lo, exec_lo, s17
	v_and_b32_sdwa v5, v4, v27 dst_sel:DWORD dst_unused:UNUSED_PAD src0_sel:WORD_1 src1_sel:DWORD
	v_mov_b32_e32 v34, 0
	v_mov_b32_e32 v127, 0
	s_mov_b32 s17, exec_lo
	v_cmpx_ne_u16_e32 0, v5
	s_cbranch_execz .LBB367_706
; %bb.699:                              ;   in Loop: Header=BB367_10 Depth=1
	v_bfrev_b32_e32 v127, 1
	s_mov_b32 s23, exec_lo
	v_cmpx_ne_u16_e32 0x80, v5
	s_cbranch_execz .LBB367_705
; %bb.700:                              ;   in Loop: Header=BB367_10 Depth=1
	v_bfe_u32 v11, v4, 16, 7
	v_mov_b32_e32 v127, 0x7f800001
	s_mov_b32 s24, exec_lo
	v_cmpx_ne_u32_e32 0x7f, v11
	s_cbranch_execz .LBB367_704
; %bb.701:                              ;   in Loop: Header=BB367_10 Depth=1
	v_and_b32_sdwa v20, v4, v26 dst_sel:DWORD dst_unused:UNUSED_PAD src0_sel:WORD_1 src1_sel:DWORD
	v_mov_b32_e32 v31, v21
	v_lshrrev_b32_e32 v5, 3, v11
	s_mov_b32 s25, exec_lo
	v_mov_b32_e32 v30, v20
	v_cmpx_gt_u32_e32 8, v11
; %bb.702:                              ;   in Loop: Header=BB367_10 Depth=1
	v_ffbh_u32_e32 v5, v20
	v_min_u32_e32 v5, 32, v5
	v_subrev_nc_u32_e32 v10, 28, v5
	v_sub_nc_u32_e32 v5, 29, v5
	v_lshlrev_b64 v[10:11], v10, v[20:21]
	v_and_b32_e32 v30, 7, v10
; %bb.703:                              ;   in Loop: Header=BB367_10 Depth=1
	s_or_b32 exec_lo, exec_lo, s25
	v_lshlrev_b32_sdwa v10, v49, v4 dst_sel:DWORD dst_unused:UNUSED_PAD src0_sel:DWORD src1_sel:WORD_1
	v_lshlrev_b32_e32 v11, 20, v30
	v_lshl_add_u32 v5, v5, 23, 0x3c000000
	v_and_b32_e32 v10, 0x80000000, v10
	v_or3_b32 v127, v11, v10, v5
.LBB367_704:                            ;   in Loop: Header=BB367_10 Depth=1
	s_or_b32 exec_lo, exec_lo, s24
.LBB367_705:                            ;   in Loop: Header=BB367_10 Depth=1
	s_or_b32 exec_lo, exec_lo, s23
.LBB367_706:                            ;   in Loop: Header=BB367_10 Depth=1
	s_or_b32 exec_lo, exec_lo, s17
	s_mov_b32 s17, exec_lo
	v_cmpx_lt_u32_e32 0xffffff, v4
	s_cbranch_execz .LBB367_714
; %bb.707:                              ;   in Loop: Header=BB367_10 Depth=1
	v_cmp_ne_u32_sdwa s6, v4, v1 src0_sel:BYTE_3 src1_sel:DWORD
	v_bfrev_b32_e32 v34, 1
	s_and_saveexec_b32 s23, s6
	s_cbranch_execz .LBB367_713
; %bb.708:                              ;   in Loop: Header=BB367_10 Depth=1
	v_bfe_u32 v11, v4, 24, 7
	v_mov_b32_e32 v34, 0x7f800001
	s_mov_b32 s24, exec_lo
	v_cmpx_ne_u32_e32 0x7f, v11
	s_cbranch_execz .LBB367_712
; %bb.709:                              ;   in Loop: Header=BB367_10 Depth=1
	v_and_b32_sdwa v20, v4, v26 dst_sel:DWORD dst_unused:UNUSED_PAD src0_sel:BYTE_3 src1_sel:DWORD
	v_mov_b32_e32 v31, v21
	v_lshrrev_b32_e32 v5, 3, v11
	s_mov_b32 s25, exec_lo
	v_mov_b32_e32 v30, v20
	v_cmpx_gt_u32_e32 8, v11
; %bb.710:                              ;   in Loop: Header=BB367_10 Depth=1
	v_ffbh_u32_e32 v5, v20
	v_min_u32_e32 v5, 32, v5
	v_subrev_nc_u32_e32 v10, 28, v5
	v_sub_nc_u32_e32 v5, 29, v5
	v_lshlrev_b64 v[10:11], v10, v[20:21]
	v_and_b32_e32 v30, 7, v10
; %bb.711:                              ;   in Loop: Header=BB367_10 Depth=1
	s_or_b32 exec_lo, exec_lo, s25
	v_lshlrev_b32_sdwa v4, v49, v4 dst_sel:DWORD dst_unused:UNUSED_PAD src0_sel:DWORD src1_sel:BYTE_3
	v_lshlrev_b32_e32 v10, 20, v30
	v_lshl_add_u32 v5, v5, 23, 0x3c000000
	v_and_b32_e32 v4, 0x80000000, v4
	v_or3_b32 v34, v10, v4, v5
.LBB367_712:                            ;   in Loop: Header=BB367_10 Depth=1
	s_or_b32 exec_lo, exec_lo, s24
.LBB367_713:                            ;   in Loop: Header=BB367_10 Depth=1
	s_or_b32 exec_lo, exec_lo, s23
.LBB367_714:                            ;   in Loop: Header=BB367_10 Depth=1
	s_or_b32 exec_lo, exec_lo, s17
	v_add_co_u32 v4, s6, 0xb00, v28
	v_add_co_ci_u32_e64 v5, null, 0, v29, s6
	v_mov_b32_e32 v31, 0
	v_add_co_u32 v10, s6, v4, v35
	v_add_co_ci_u32_e64 v11, null, 0, v5, s6
	v_mov_b32_e32 v125, 0
	flat_load_dword v55, v[10:11]
	s_waitcnt vmcnt(0) lgkmcnt(0)
	v_cmp_ne_u16_sdwa s6, v55, v21 src0_sel:BYTE_0 src1_sel:DWORD
	s_and_saveexec_b32 s17, s6
	s_cbranch_execz .LBB367_722
; %bb.715:                              ;   in Loop: Header=BB367_10 Depth=1
	v_cmp_ne_u16_sdwa s6, v55, v1 src0_sel:BYTE_0 src1_sel:DWORD
	v_bfrev_b32_e32 v125, 1
	s_and_saveexec_b32 s23, s6
	s_cbranch_execz .LBB367_721
; %bb.716:                              ;   in Loop: Header=BB367_10 Depth=1
	v_and_b32_e32 v12, 0x7f, v55
	v_mov_b32_e32 v125, 0x7f800001
	s_mov_b32 s24, exec_lo
	v_cmpx_ne_u32_e32 0x7f, v12
	s_cbranch_execz .LBB367_720
; %bb.717:                              ;   in Loop: Header=BB367_10 Depth=1
	v_and_b32_e32 v20, 7, v55
	v_mov_b32_e32 v29, v21
	v_lshrrev_b32_e32 v11, 3, v12
	s_mov_b32 s25, exec_lo
	v_mov_b32_e32 v28, v20
	v_cmpx_gt_u32_e32 8, v12
; %bb.718:                              ;   in Loop: Header=BB367_10 Depth=1
	v_ffbh_u32_e32 v10, v20
	v_min_u32_e32 v12, 32, v10
	v_subrev_nc_u32_e32 v10, 28, v12
	v_lshlrev_b64 v[10:11], v10, v[20:21]
	v_sub_nc_u32_e32 v11, 29, v12
	v_and_b32_e32 v28, 7, v10
; %bb.719:                              ;   in Loop: Header=BB367_10 Depth=1
	s_or_b32 exec_lo, exec_lo, s25
	v_lshlrev_b32_e32 v10, 24, v55
	v_lshlrev_b32_e32 v12, 20, v28
	v_lshl_add_u32 v11, v11, 23, 0x3c000000
	v_and_b32_e32 v10, 0x80000000, v10
	v_or3_b32 v125, v12, v10, v11
.LBB367_720:                            ;   in Loop: Header=BB367_10 Depth=1
	s_or_b32 exec_lo, exec_lo, s24
.LBB367_721:                            ;   in Loop: Header=BB367_10 Depth=1
	s_or_b32 exec_lo, exec_lo, s23
.LBB367_722:                            ;   in Loop: Header=BB367_10 Depth=1
	s_or_b32 exec_lo, exec_lo, s17
	v_cmp_ne_u16_sdwa s6, v55, v21 src0_sel:BYTE_1 src1_sel:DWORD
	s_and_saveexec_b32 s17, s6
	s_cbranch_execz .LBB367_730
; %bb.723:                              ;   in Loop: Header=BB367_10 Depth=1
	v_cmp_ne_u16_sdwa s6, v55, v1 src0_sel:BYTE_1 src1_sel:DWORD
	v_bfrev_b32_e32 v31, 1
	s_and_saveexec_b32 s23, s6
	s_cbranch_execz .LBB367_729
; %bb.724:                              ;   in Loop: Header=BB367_10 Depth=1
	v_and_b32_sdwa v10, v0, v55 dst_sel:DWORD dst_unused:UNUSED_PAD src0_sel:DWORD src1_sel:BYTE_1
	v_mov_b32_e32 v31, 0x7f800001
	s_mov_b32 s24, exec_lo
	v_and_b32_e32 v12, 0x7f, v10
	v_cmpx_ne_u32_e32 0x7f, v12
	s_cbranch_execz .LBB367_728
; %bb.725:                              ;   in Loop: Header=BB367_10 Depth=1
	v_and_b32_e32 v20, 7, v10
	v_mov_b32_e32 v29, v21
	v_lshrrev_b32_e32 v11, 3, v12
	s_mov_b32 s25, exec_lo
	v_mov_b32_e32 v28, v20
	v_cmpx_gt_u32_e32 8, v12
; %bb.726:                              ;   in Loop: Header=BB367_10 Depth=1
	v_ffbh_u32_e32 v10, v20
	v_min_u32_e32 v12, 32, v10
	v_subrev_nc_u32_e32 v10, 28, v12
	v_lshlrev_b64 v[10:11], v10, v[20:21]
	v_sub_nc_u32_e32 v11, 29, v12
	v_and_b32_e32 v28, 7, v10
; %bb.727:                              ;   in Loop: Header=BB367_10 Depth=1
	s_or_b32 exec_lo, exec_lo, s25
	v_lshlrev_b32_e32 v10, 16, v55
	v_lshlrev_b32_e32 v12, 20, v28
	v_lshl_add_u32 v11, v11, 23, 0x3c000000
	v_and_b32_e32 v10, 0x80000000, v10
	v_or3_b32 v31, v12, v10, v11
.LBB367_728:                            ;   in Loop: Header=BB367_10 Depth=1
	s_or_b32 exec_lo, exec_lo, s24
.LBB367_729:                            ;   in Loop: Header=BB367_10 Depth=1
	s_or_b32 exec_lo, exec_lo, s23
.LBB367_730:                            ;   in Loop: Header=BB367_10 Depth=1
	s_or_b32 exec_lo, exec_lo, s17
	v_and_b32_sdwa v10, v55, v27 dst_sel:DWORD dst_unused:UNUSED_PAD src0_sel:WORD_1 src1_sel:DWORD
	v_mov_b32_e32 v36, 0
	v_mov_b32_e32 v30, 0
	s_mov_b32 s17, exec_lo
	v_cmpx_ne_u16_e32 0, v10
	s_cbranch_execz .LBB367_738
; %bb.731:                              ;   in Loop: Header=BB367_10 Depth=1
	v_bfrev_b32_e32 v30, 1
	s_mov_b32 s23, exec_lo
	v_cmpx_ne_u16_e32 0x80, v10
	s_cbranch_execz .LBB367_737
; %bb.732:                              ;   in Loop: Header=BB367_10 Depth=1
	v_bfe_u32 v12, v55, 16, 7
	v_mov_b32_e32 v30, 0x7f800001
	s_mov_b32 s24, exec_lo
	v_cmpx_ne_u32_e32 0x7f, v12
	s_cbranch_execz .LBB367_736
; %bb.733:                              ;   in Loop: Header=BB367_10 Depth=1
	v_and_b32_sdwa v20, v55, v26 dst_sel:DWORD dst_unused:UNUSED_PAD src0_sel:WORD_1 src1_sel:DWORD
	v_mov_b32_e32 v29, v21
	v_lshrrev_b32_e32 v11, 3, v12
	s_mov_b32 s25, exec_lo
	v_mov_b32_e32 v28, v20
	v_cmpx_gt_u32_e32 8, v12
; %bb.734:                              ;   in Loop: Header=BB367_10 Depth=1
	v_ffbh_u32_e32 v10, v20
	v_min_u32_e32 v12, 32, v10
	v_subrev_nc_u32_e32 v10, 28, v12
	v_lshlrev_b64 v[10:11], v10, v[20:21]
	v_sub_nc_u32_e32 v11, 29, v12
	v_and_b32_e32 v28, 7, v10
; %bb.735:                              ;   in Loop: Header=BB367_10 Depth=1
	s_or_b32 exec_lo, exec_lo, s25
	v_lshlrev_b32_sdwa v10, v49, v55 dst_sel:DWORD dst_unused:UNUSED_PAD src0_sel:DWORD src1_sel:WORD_1
	v_lshlrev_b32_e32 v12, 20, v28
	v_lshl_add_u32 v11, v11, 23, 0x3c000000
	v_and_b32_e32 v10, 0x80000000, v10
	v_or3_b32 v30, v12, v10, v11
.LBB367_736:                            ;   in Loop: Header=BB367_10 Depth=1
	s_or_b32 exec_lo, exec_lo, s24
.LBB367_737:                            ;   in Loop: Header=BB367_10 Depth=1
	s_or_b32 exec_lo, exec_lo, s23
.LBB367_738:                            ;   in Loop: Header=BB367_10 Depth=1
	s_or_b32 exec_lo, exec_lo, s17
	s_mov_b32 s17, exec_lo
	v_cmpx_lt_u32_e32 0xffffff, v55
	s_cbranch_execz .LBB367_746
; %bb.739:                              ;   in Loop: Header=BB367_10 Depth=1
	v_cmp_ne_u32_sdwa s6, v55, v1 src0_sel:BYTE_3 src1_sel:DWORD
	v_bfrev_b32_e32 v36, 1
	s_and_saveexec_b32 s23, s6
	s_cbranch_execz .LBB367_745
; %bb.740:                              ;   in Loop: Header=BB367_10 Depth=1
	v_bfe_u32 v12, v55, 24, 7
	v_mov_b32_e32 v36, 0x7f800001
	s_mov_b32 s24, exec_lo
	v_cmpx_ne_u32_e32 0x7f, v12
	s_cbranch_execz .LBB367_744
; %bb.741:                              ;   in Loop: Header=BB367_10 Depth=1
	v_and_b32_sdwa v20, v55, v26 dst_sel:DWORD dst_unused:UNUSED_PAD src0_sel:BYTE_3 src1_sel:DWORD
	v_mov_b32_e32 v29, v21
	v_lshrrev_b32_e32 v11, 3, v12
	s_mov_b32 s25, exec_lo
	v_mov_b32_e32 v28, v20
	v_cmpx_gt_u32_e32 8, v12
; %bb.742:                              ;   in Loop: Header=BB367_10 Depth=1
	v_ffbh_u32_e32 v10, v20
	v_min_u32_e32 v12, 32, v10
	v_subrev_nc_u32_e32 v10, 28, v12
	v_lshlrev_b64 v[10:11], v10, v[20:21]
	v_sub_nc_u32_e32 v11, 29, v12
	v_and_b32_e32 v28, 7, v10
; %bb.743:                              ;   in Loop: Header=BB367_10 Depth=1
	s_or_b32 exec_lo, exec_lo, s25
	v_lshlrev_b32_sdwa v10, v49, v55 dst_sel:DWORD dst_unused:UNUSED_PAD src0_sel:DWORD src1_sel:BYTE_3
	v_lshlrev_b32_e32 v12, 20, v28
	v_lshl_add_u32 v11, v11, 23, 0x3c000000
	v_and_b32_e32 v10, 0x80000000, v10
	v_or3_b32 v36, v12, v10, v11
.LBB367_744:                            ;   in Loop: Header=BB367_10 Depth=1
	s_or_b32 exec_lo, exec_lo, s24
.LBB367_745:                            ;   in Loop: Header=BB367_10 Depth=1
	s_or_b32 exec_lo, exec_lo, s23
.LBB367_746:                            ;   in Loop: Header=BB367_10 Depth=1
	s_or_b32 exec_lo, exec_lo, s17
	v_add_co_u32 v4, s6, v4, v104
	v_add_co_ci_u32_e64 v5, null, 0, v5, s6
	v_mov_b32_e32 v11, 0
	v_mov_b32_e32 v12, 0
	flat_load_dword v55, v[4:5]
	s_waitcnt vmcnt(0) lgkmcnt(0)
	v_cmp_ne_u16_sdwa s6, v55, v21 src0_sel:BYTE_0 src1_sel:DWORD
	s_and_saveexec_b32 s17, s6
	s_cbranch_execz .LBB367_754
; %bb.747:                              ;   in Loop: Header=BB367_10 Depth=1
	v_cmp_ne_u16_sdwa s6, v55, v1 src0_sel:BYTE_0 src1_sel:DWORD
	v_bfrev_b32_e32 v12, 1
	s_and_saveexec_b32 s23, s6
	s_cbranch_execz .LBB367_753
; %bb.748:                              ;   in Loop: Header=BB367_10 Depth=1
	v_and_b32_e32 v5, 0x7f, v55
	v_mov_b32_e32 v12, 0x7f800001
	s_mov_b32 s24, exec_lo
	v_cmpx_ne_u32_e32 0x7f, v5
	s_cbranch_execz .LBB367_752
; %bb.749:                              ;   in Loop: Header=BB367_10 Depth=1
	v_and_b32_e32 v20, 7, v55
	v_mov_b32_e32 v29, v21
	v_lshrrev_b32_e32 v4, 3, v5
	s_mov_b32 s25, exec_lo
	v_mov_b32_e32 v28, v20
	v_cmpx_gt_u32_e32 8, v5
; %bb.750:                              ;   in Loop: Header=BB367_10 Depth=1
	v_ffbh_u32_e32 v4, v20
	v_min_u32_e32 v4, 32, v4
	v_subrev_nc_u32_e32 v5, 28, v4
	v_sub_nc_u32_e32 v4, 29, v4
	v_lshlrev_b64 v[28:29], v5, v[20:21]
	v_and_b32_e32 v28, 7, v28
; %bb.751:                              ;   in Loop: Header=BB367_10 Depth=1
	s_or_b32 exec_lo, exec_lo, s25
	v_lshlrev_b32_e32 v5, 24, v55
	v_lshlrev_b32_e32 v10, 20, v28
	v_lshl_add_u32 v4, v4, 23, 0x3c000000
	v_and_b32_e32 v5, 0x80000000, v5
	v_or3_b32 v12, v10, v5, v4
.LBB367_752:                            ;   in Loop: Header=BB367_10 Depth=1
	s_or_b32 exec_lo, exec_lo, s24
.LBB367_753:                            ;   in Loop: Header=BB367_10 Depth=1
	s_or_b32 exec_lo, exec_lo, s23
.LBB367_754:                            ;   in Loop: Header=BB367_10 Depth=1
	s_or_b32 exec_lo, exec_lo, s17
	v_cmp_ne_u16_sdwa s6, v55, v21 src0_sel:BYTE_1 src1_sel:DWORD
	s_and_saveexec_b32 s17, s6
	s_cbranch_execz .LBB367_762
; %bb.755:                              ;   in Loop: Header=BB367_10 Depth=1
	v_cmp_ne_u16_sdwa s6, v55, v1 src0_sel:BYTE_1 src1_sel:DWORD
	v_bfrev_b32_e32 v11, 1
	s_and_saveexec_b32 s23, s6
	s_cbranch_execz .LBB367_761
; %bb.756:                              ;   in Loop: Header=BB367_10 Depth=1
	v_and_b32_sdwa v4, v0, v55 dst_sel:DWORD dst_unused:UNUSED_PAD src0_sel:DWORD src1_sel:BYTE_1
	v_mov_b32_e32 v11, 0x7f800001
	s_mov_b32 s24, exec_lo
	v_and_b32_e32 v5, 0x7f, v4
	v_cmpx_ne_u32_e32 0x7f, v5
	s_cbranch_execz .LBB367_760
; %bb.757:                              ;   in Loop: Header=BB367_10 Depth=1
	v_and_b32_e32 v20, 7, v4
	v_mov_b32_e32 v29, v21
	v_lshrrev_b32_e32 v4, 3, v5
	s_mov_b32 s25, exec_lo
	v_mov_b32_e32 v28, v20
	v_cmpx_gt_u32_e32 8, v5
; %bb.758:                              ;   in Loop: Header=BB367_10 Depth=1
	v_ffbh_u32_e32 v4, v20
	v_min_u32_e32 v4, 32, v4
	v_subrev_nc_u32_e32 v5, 28, v4
	v_sub_nc_u32_e32 v4, 29, v4
	v_lshlrev_b64 v[10:11], v5, v[20:21]
	v_and_b32_e32 v28, 7, v10
; %bb.759:                              ;   in Loop: Header=BB367_10 Depth=1
	s_or_b32 exec_lo, exec_lo, s25
	v_lshlrev_b32_e32 v5, 16, v55
	v_lshlrev_b32_e32 v10, 20, v28
	v_lshl_add_u32 v4, v4, 23, 0x3c000000
	v_and_b32_e32 v5, 0x80000000, v5
	v_or3_b32 v11, v10, v5, v4
.LBB367_760:                            ;   in Loop: Header=BB367_10 Depth=1
	s_or_b32 exec_lo, exec_lo, s24
.LBB367_761:                            ;   in Loop: Header=BB367_10 Depth=1
	s_or_b32 exec_lo, exec_lo, s23
.LBB367_762:                            ;   in Loop: Header=BB367_10 Depth=1
	s_or_b32 exec_lo, exec_lo, s17
	v_and_b32_sdwa v10, v55, v27 dst_sel:DWORD dst_unused:UNUSED_PAD src0_sel:WORD_1 src1_sel:DWORD
	v_mov_b32_e32 v5, 0
	v_mov_b32_e32 v4, 0
	s_mov_b32 s17, exec_lo
	v_cmpx_ne_u16_e32 0, v10
	s_cbranch_execz .LBB367_770
; %bb.763:                              ;   in Loop: Header=BB367_10 Depth=1
	v_bfrev_b32_e32 v4, 1
	s_mov_b32 s23, exec_lo
	v_cmpx_ne_u16_e32 0x80, v10
	s_cbranch_execz .LBB367_769
; %bb.764:                              ;   in Loop: Header=BB367_10 Depth=1
	v_bfe_u32 v10, v55, 16, 7
	v_mov_b32_e32 v4, 0x7f800001
	s_mov_b32 s24, exec_lo
	v_cmpx_ne_u32_e32 0x7f, v10
	s_cbranch_execz .LBB367_768
; %bb.765:                              ;   in Loop: Header=BB367_10 Depth=1
	v_and_b32_sdwa v20, v55, v26 dst_sel:DWORD dst_unused:UNUSED_PAD src0_sel:WORD_1 src1_sel:DWORD
	v_mov_b32_e32 v29, v21
	v_lshrrev_b32_e32 v4, 3, v10
	s_mov_b32 s25, exec_lo
	v_mov_b32_e32 v28, v20
	v_cmpx_gt_u32_e32 8, v10
; %bb.766:                              ;   in Loop: Header=BB367_10 Depth=1
	v_ffbh_u32_e32 v4, v20
	v_min_u32_e32 v4, 32, v4
	v_subrev_nc_u32_e32 v10, 28, v4
	v_sub_nc_u32_e32 v4, 29, v4
	v_lshlrev_b64 v[28:29], v10, v[20:21]
	v_and_b32_e32 v28, 7, v28
; %bb.767:                              ;   in Loop: Header=BB367_10 Depth=1
	s_or_b32 exec_lo, exec_lo, s25
	v_lshlrev_b32_sdwa v10, v49, v55 dst_sel:DWORD dst_unused:UNUSED_PAD src0_sel:DWORD src1_sel:WORD_1
	v_lshlrev_b32_e32 v20, 20, v28
	v_lshl_add_u32 v4, v4, 23, 0x3c000000
	v_and_b32_e32 v10, 0x80000000, v10
	v_or3_b32 v4, v20, v10, v4
.LBB367_768:                            ;   in Loop: Header=BB367_10 Depth=1
	s_or_b32 exec_lo, exec_lo, s24
.LBB367_769:                            ;   in Loop: Header=BB367_10 Depth=1
	s_or_b32 exec_lo, exec_lo, s23
.LBB367_770:                            ;   in Loop: Header=BB367_10 Depth=1
	s_or_b32 exec_lo, exec_lo, s17
	s_mov_b32 s17, exec_lo
	v_cmpx_lt_u32_e32 0xffffff, v55
	s_cbranch_execz .LBB367_778
; %bb.771:                              ;   in Loop: Header=BB367_10 Depth=1
	v_cmp_ne_u32_sdwa s6, v55, v1 src0_sel:BYTE_3 src1_sel:DWORD
	v_bfrev_b32_e32 v5, 1
	s_and_saveexec_b32 s23, s6
	s_cbranch_execz .LBB367_777
; %bb.772:                              ;   in Loop: Header=BB367_10 Depth=1
	v_bfe_u32 v10, v55, 24, 7
	v_mov_b32_e32 v5, 0x7f800001
	s_mov_b32 s24, exec_lo
	v_cmpx_ne_u32_e32 0x7f, v10
	s_cbranch_execz .LBB367_776
; %bb.773:                              ;   in Loop: Header=BB367_10 Depth=1
	v_and_b32_sdwa v20, v55, v26 dst_sel:DWORD dst_unused:UNUSED_PAD src0_sel:BYTE_3 src1_sel:DWORD
	v_mov_b32_e32 v29, v21
	v_lshrrev_b32_e32 v5, 3, v10
	s_mov_b32 s25, exec_lo
	v_mov_b32_e32 v28, v20
	v_cmpx_gt_u32_e32 8, v10
; %bb.774:                              ;   in Loop: Header=BB367_10 Depth=1
	v_ffbh_u32_e32 v5, v20
	v_min_u32_e32 v5, 32, v5
	v_subrev_nc_u32_e32 v10, 28, v5
	v_sub_nc_u32_e32 v5, 29, v5
	v_lshlrev_b64 v[28:29], v10, v[20:21]
	v_and_b32_e32 v28, 7, v28
; %bb.775:                              ;   in Loop: Header=BB367_10 Depth=1
	s_or_b32 exec_lo, exec_lo, s25
	v_lshlrev_b32_sdwa v10, v49, v55 dst_sel:DWORD dst_unused:UNUSED_PAD src0_sel:DWORD src1_sel:BYTE_3
	v_lshlrev_b32_e32 v20, 20, v28
	v_lshl_add_u32 v5, v5, 23, 0x3c000000
	v_and_b32_e32 v10, 0x80000000, v10
	v_or3_b32 v5, v20, v10, v5
.LBB367_776:                            ;   in Loop: Header=BB367_10 Depth=1
	s_or_b32 exec_lo, exec_lo, s24
.LBB367_777:                            ;   in Loop: Header=BB367_10 Depth=1
	s_or_b32 exec_lo, exec_lo, s23
.LBB367_778:                            ;   in Loop: Header=BB367_10 Depth=1
	s_or_b32 exec_lo, exec_lo, s17
	v_mul_f32_e32 v10, v48, v11
	v_mul_f32_e32 v85, v48, v85
	;; [unrolled: 1-line block ×5, first 2 shown]
	v_bfe_u32 v11, v10, 16, 1
	v_or_b32_e32 v20, 0x400000, v10
	v_cmp_u_f32_e64 s6, v10, v10
	v_mul_f32_e32 v81, v48, v81
	v_mul_f32_e32 v80, v48, v80
	v_add3_u32 v11, v11, v10, 0x7fff
	v_mul_f32_e32 v10, v48, v12
	v_mul_f32_e32 v71, v48, v71
	v_mul_f32_e32 v70, v48, v70
	v_mul_f32_e32 v69, v48, v69
	v_cndmask_b32_e64 v20, v11, v20, s6
	v_bfe_u32 v11, v10, 16, 1
	v_or_b32_e32 v12, 0x400000, v10
	v_cmp_u_f32_e64 s6, v10, v10
	v_mul_f32_e32 v68, v48, v68
	v_mul_f32_e32 v67, v48, v67
	v_add3_u32 v11, v11, v10, 0x7fff
	v_mul_f32_e32 v10, v48, v30
	v_mul_f32_e32 v66, v48, v66
	v_mul_f32_e32 v65, v48, v65
	v_mul_f32_e32 v64, v48, v64
	v_cndmask_b32_e64 v28, v11, v12, s6
	;; [unrolled: 11-line block ×3, first 2 shown]
	v_bfe_u32 v11, v10, 16, 1
	v_or_b32_e32 v12, 0x400000, v10
	v_cmp_u_f32_e64 s6, v10, v10
	v_mul_f32_e32 v4, v48, v4
	v_add3_u32 v11, v11, v10, 0x7fff
	v_mul_f32_e32 v10, v48, v31
	v_cndmask_b32_e64 v29, v11, v12, s6
	v_bfe_u32 v11, v10, 16, 1
	v_or_b32_e32 v12, 0x400000, v10
	v_cmp_u_f32_e64 s6, v10, v10
	v_add3_u32 v11, v11, v10, 0x7fff
	v_mul_f32_e32 v10, v48, v125
	v_cndmask_b32_e64 v31, v11, v12, s6
	v_bfe_u32 v11, v10, 16, 1
	v_or_b32_e32 v12, 0x400000, v10
	v_cmp_u_f32_e64 s6, v10, v10
	;; [unrolled: 6-line block ×70, first 2 shown]
	v_add3_u32 v86, v86, v10, 0x7fff
	v_cndmask_b32_e64 v10, v86, v97, s6
	v_bfe_u32 v86, v85, 16, 1
	v_or_b32_e32 v97, 0x400000, v85
	v_cmp_u_f32_e64 s6, v85, v85
	v_and_b32_e32 v10, 0xffff0000, v10
	v_add3_u32 v86, v86, v85, 0x7fff
	v_cndmask_b32_e64 v85, v86, v97, s6
	v_bfe_u32 v86, v84, 16, 1
	v_or_b32_e32 v97, 0x400000, v84
	v_cmp_u_f32_e64 s6, v84, v84
	v_add3_u32 v86, v86, v84, 0x7fff
	v_cndmask_b32_e64 v84, v86, v97, s6
	v_bfe_u32 v86, v83, 16, 1
	v_or_b32_e32 v97, 0x400000, v83
	v_cmp_u_f32_e64 s6, v83, v83
	;; [unrolled: 5-line block ×17, first 2 shown]
	v_and_b32_e32 v51, 0xffff0000, v51
	v_add3_u32 v86, v86, v50, 0x7fff
	v_cndmask_b32_e64 v50, v86, v97, s6
	v_bfe_u32 v86, v22, 16, 1
	v_or_b32_e32 v97, 0x400000, v22
	v_cmp_u_f32_e64 s6, v22, v22
	v_add3_u32 v86, v86, v22, 0x7fff
	v_mul_f32_e32 v22, v48, v39
	v_cndmask_b32_e64 v86, v86, v97, s6
	v_bfe_u32 v39, v22, 16, 1
	v_or_b32_e32 v97, 0x400000, v22
	v_cmp_u_f32_e64 s6, v22, v22
	v_add3_u32 v39, v39, v22, 0x7fff
	v_cndmask_b32_e64 v22, v39, v97, s6
	v_mul_f32_e32 v39, v48, v5
	v_bfe_u32 v5, v4, 16, 1
	v_or_b32_e32 v48, 0x400000, v4
	v_cmp_u_f32_e64 s6, v4, v4
	v_add3_u32 v5, v5, v4, 0x7fff
	v_bfe_u32 v4, v39, 16, 1
	v_cndmask_b32_e64 v5, v5, v48, s6
	v_add3_u32 v4, v4, v39, 0x7fff
	v_or_b32_e32 v48, 0x400000, v39
	v_cmp_u_f32_e64 s6, v39, v39
	v_and_b32_e32 v39, 0xffff0000, v52
	v_and_b32_e32 v5, 0xffff0000, v5
	buffer_load_dword v52, off, s[0:3], s32 offset:212 ; 4-byte Folded Reload
	v_cndmask_b32_e64 v4, v4, v48, s6
	v_and_b32_e32 v48, 0xffff0000, v22
	buffer_load_dword v22, off, s[0:3], s32 offset:208 ; 4-byte Folded Reload
	v_and_b32_e32 v4, 0xffff0000, v4
	s_waitcnt vmcnt(0)
	v_mul_f32_e32 v22, v22, v39
	buffer_load_dword v39, off, s[0:3], s32 offset:192 ; 4-byte Folded Reload
	s_waitcnt vmcnt(0)
	v_fmac_f32_e32 v22, v39, v48
	v_and_b32_e32 v39, 0xffff0000, v53
	v_and_b32_e32 v48, 0xffff0000, v86
	v_mul_f32_e32 v39, v52, v39
	buffer_load_dword v52, off, s[0:3], s32 offset:196 ; 4-byte Folded Reload
	s_waitcnt vmcnt(0)
	v_fmac_f32_e32 v39, v52, v48
	buffer_load_dword v52, off, s[0:3], s32 offset:216 ; 4-byte Folded Reload
	v_and_b32_e32 v48, 0xffff0000, v65
	s_waitcnt vmcnt(0)
	v_mul_f32_e32 v48, v52, v48
	buffer_load_dword v52, off, s[0:3], s32 offset:200 ; 4-byte Folded Reload
	s_waitcnt vmcnt(0)
	v_fmac_f32_e32 v48, v52, v51
	v_and_b32_e32 v52, 0xffff0000, v50
	buffer_load_dword v50, off, s[0:3], s32 offset:220 ; 4-byte Folded Reload
	v_and_b32_e32 v51, 0xffff0000, v64
	s_waitcnt vmcnt(0)
	v_mul_f32_e32 v50, v50, v51
	buffer_load_dword v51, off, s[0:3], s32 offset:204 ; 4-byte Folded Reload
	s_waitcnt vmcnt(0)
	v_fmac_f32_e32 v50, v51, v52
	buffer_load_dword v52, off, s[0:3], s32 offset:224 ; 4-byte Folded Reload
	v_and_b32_e32 v51, 0xffff0000, v66
	s_waitcnt vmcnt(0)
	v_fmac_f32_e32 v22, v52, v51
	buffer_load_dword v52, off, s[0:3], s32 offset:228 ; 4-byte Folded Reload
	v_and_b32_e32 v51, 0xffff0000, v67
	;; [unrolled: 4-line block ×12, first 2 shown]
	s_waitcnt vmcnt(0)
	v_fmac_f32_e32 v50, v52, v51
	buffer_load_dword v51, off, s[0:3], s32 offset:284 ; 4-byte Folded Reload
	s_waitcnt vmcnt(0)
	v_fmac_f32_e32 v22, v51, v10
	buffer_load_dword v51, off, s[0:3], s32 offset:288 ; 4-byte Folded Reload
	v_and_b32_e32 v10, 0xffff0000, v87
	s_waitcnt vmcnt(0)
	v_fmac_f32_e32 v39, v51, v10
	v_and_b32_e32 v10, 0xffff0000, v11
	buffer_load_dword v11, off, s[0:3], s32 offset:292 ; 4-byte Folded Reload
	s_waitcnt vmcnt(0)
	v_fmac_f32_e32 v48, v11, v10
	buffer_load_dword v11, off, s[0:3], s32 offset:296 ; 4-byte Folded Reload
	v_and_b32_e32 v10, 0xffff0000, v96
	s_waitcnt vmcnt(0)
	v_fmac_f32_e32 v50, v11, v10
	buffer_load_dword v11, off, s[0:3], s32 offset:300 ; 4-byte Folded Reload
	v_and_b32_e32 v10, 0xffff0000, v12
	;; [unrolled: 4-line block ×69, first 2 shown]
	v_fmac_f32_e32 v48, v7, v5
	v_fmac_f32_e32 v22, v54, v10
	v_and_b32_e32 v10, 0xffff0000, v20
	v_fmac_f32_e32 v39, v6, v10
	v_and_b32_e32 v10, 0xffff0000, v29
	v_add_f32_e32 v5, v22, v39
	s_waitcnt vmcnt(0)
	v_fmac_f32_e32 v50, v11, v10
	v_fmac_f32_e32 v50, v2, v4
	v_add_f32_e32 v4, v5, v48
	v_add_f32_e32 v4, v50, v4
	ds_bpermute_b32 v5, v14, v4
	s_and_saveexec_b32 s17, vcc_lo
	s_cbranch_execz .LBB367_9
; %bb.779:                              ;   in Loop: Header=BB367_10 Depth=1
	buffer_load_dword v11, off, s[0:3], s32 offset:576 ; 4-byte Folded Reload
	v_sub_nc_u32_e32 v10, 1, v37
	s_waitcnt lgkmcnt(0)
	v_add_f32_e32 v4, v4, v5
	s_load_dword s23, s[8:9], 0x0
	v_cmp_lt_i32_e64 s6, v15, v37
	v_add_nc_u32_e32 v10, v10, v15
	v_cvt_f32_i32_e32 v10, v10
	s_waitcnt vmcnt(0)
	v_mul_f32_e32 v10, v11, v10
	v_cndmask_b32_e64 v5, 0, v10, s5
	buffer_load_dword v10, off, s[0:3], s32 offset:572 ; 4-byte Folded Reload
	s_waitcnt vmcnt(0)
	v_fmac_f32_e32 v5, v10, v4
	v_max_f32_e32 v4, v3, v3
	s_waitcnt lgkmcnt(0)
	v_add_nc_u32_e32 v10, s23, v23
	v_max_f32_e32 v4, v4, v5
	v_cndmask_b32_e64 v5, 0, v5, s6
	v_cndmask_b32_e64 v3, v3, v4, s6
	ds_write_b32 v10, v5
	s_branch .LBB367_9
.LBB367_780:
	s_or_b32 exec_lo, exec_lo, s22
	v_mov_b32_e32 v0, v21
	s_clause 0x15
	buffer_load_dword v36, off, s[0:3], s32 offset:580
	buffer_load_dword v38, off, s[0:3], s32 offset:584
	;; [unrolled: 1-line block ×22, first 2 shown]
	v_mov_b32_e32 v12, 32
.LBB367_781:
	s_or_b32 exec_lo, exec_lo, s13
	s_waitcnt vmcnt(0)
	v_xor_b32_e32 v1, 16, v31
	v_xor_b32_e32 v2, 8, v31
	s_waitcnt lgkmcnt(0)
	v_max_f32_e32 v5, v3, v3
	v_xor_b32_e32 v6, 2, v31
	v_and_b32_e32 v22, 31, v34
	v_cmp_lt_i32_e32 vcc_lo, v1, v12
	s_lshr_b32 s8, s21, 16
	v_cndmask_b32_e32 v1, v31, v1, vcc_lo
	v_cmp_lt_i32_e32 vcc_lo, v2, v12
	v_lshlrev_b32_e32 v4, 2, v1
	v_cndmask_b32_e32 v2, v31, v2, vcc_lo
	ds_bpermute_b32 v1, v4, v3
	v_lshlrev_b32_e32 v3, 2, v2
	s_waitcnt lgkmcnt(0)
	v_max_f32_e32 v1, v1, v1
	v_max_f32_e32 v1, v5, v1
	v_xor_b32_e32 v5, 4, v31
	ds_bpermute_b32 v2, v3, v1
	v_cmp_lt_i32_e32 vcc_lo, v5, v12
	v_cndmask_b32_e32 v5, v31, v5, vcc_lo
	v_cmp_lt_i32_e32 vcc_lo, v6, v12
	v_lshlrev_b32_e32 v5, 2, v5
	v_cndmask_b32_e32 v6, v31, v6, vcc_lo
	v_cmp_eq_u32_e32 vcc_lo, 0, v22
	s_waitcnt lgkmcnt(0)
	v_max_f32_e32 v2, v2, v2
	v_max_f32_e32 v1, v1, v2
	ds_bpermute_b32 v2, v5, v1
	s_waitcnt lgkmcnt(0)
	v_max_f32_e32 v2, v2, v2
	v_max_f32_e32 v1, v1, v2
	v_lshlrev_b32_e32 v2, 2, v6
	v_lshlrev_b32_e32 v6, 2, v21
	ds_bpermute_b32 v7, v2, v1
	s_and_saveexec_b32 s5, vcc_lo
	s_cbranch_execz .LBB367_783
; %bb.782:
	s_waitcnt lgkmcnt(0)
	v_max_f32_e32 v7, v7, v7
	v_max_f32_e32 v1, v1, v1
	;; [unrolled: 1-line block ×3, first 2 shown]
	ds_write_b32 v6, v1 offset:384
.LBB367_783:
	s_or_b32 exec_lo, exec_lo, s5
	v_cmp_gt_u32_e64 s5, 4, v22
	v_mov_b32_e32 v1, 0xff7fffff
	s_waitcnt lgkmcnt(0)
	v_lshlrev_b32_e32 v7, 2, v22
	s_waitcnt_vscnt null, 0x0
	s_barrier
	buffer_gl0_inv
	s_and_saveexec_b32 s6, s5
; %bb.784:
	ds_read_b32 v1, v7 offset:384
; %bb.785:
	s_or_b32 exec_lo, exec_lo, s6
	v_xor_b32_e32 v9, 1, v31
	s_waitcnt lgkmcnt(0)
	ds_bpermute_b32 v8, v2, v1
	v_max_f32_e32 v1, v1, v1
	v_lshlrev_b32_e32 v0, 2, v0
	v_cmp_lt_i32_e64 s6, v9, v12
	v_cndmask_b32_e64 v9, v31, v9, s6
	v_lshlrev_b32_e32 v20, 2, v9
	buffer_load_dword v9, off, s[0:3], s32 offset:236 ; 4-byte Folded Reload
	s_waitcnt lgkmcnt(0)
	v_max_f32_e32 v8, v8, v8
	v_max_f32_e32 v1, v1, v8
	ds_bpermute_b32 v8, v20, v1
	s_waitcnt lgkmcnt(0)
	v_max_f32_e32 v8, v8, v8
	v_max_f32_e32 v1, v1, v8
	ds_bpermute_b32 v0, v0, v1
	s_waitcnt vmcnt(0)
	v_subrev_nc_u32_e32 v9, s7, v9
	v_lshl_add_u32 v8, v9, 4, s20
	v_min_i32_e32 v1, v8, v37
	v_mov_b32_e32 v8, 0
	v_subrev_nc_u32_e32 v1, s20, v1
	v_cmp_lt_i32_e64 s6, v34, v1
	s_and_saveexec_b32 s9, s6
	s_cbranch_execz .LBB367_789
; %bb.786:
	s_getpc_b64 s[22:23]
	s_add_u32 s22, s22, llvm.amdgcn.dynlds.offset.table@rel32@lo+4
	s_addc_u32 s23, s23, llvm.amdgcn.dynlds.offset.table@rel32@hi+12
	s_ashr_i32 s17, s16, 31
	v_mov_b32_e32 v8, 0
	s_lshl_b64 s[24:25], s[16:17], 2
	v_mov_b32_e32 v13, v34
	s_add_u32 s22, s22, s24
	s_addc_u32 s23, s23, s25
	s_mov_b32 s13, 0
	s_load_dword s7, s[22:23], 0x0
	s_waitcnt lgkmcnt(0)
	v_lshl_add_u32 v9, v34, 2, s7
	.p2align	6
.LBB367_787:                            ; =>This Inner Loop Header: Depth=1
	ds_read_b32 v12, v9
	v_add_nc_u32_e32 v13, 0x80, v13
	v_cmp_ge_i32_e64 s7, v13, v1
	s_or_b32 s13, s7, s13
	s_waitcnt lgkmcnt(0)
	v_sub_f32_e32 v12, v12, v0
	v_mul_f32_e32 v12, 0x3fb8aa3b, v12
	v_exp_f32_e32 v12, v12
	ds_write_b32 v9, v12
	v_add_f32_e32 v8, v8, v12
	v_add_nc_u32_e32 v9, 0x200, v9
	s_andn2_b32 exec_lo, exec_lo, s13
	s_cbranch_execnz .LBB367_787
; %bb.788:
	s_or_b32 exec_lo, exec_lo, s13
.LBB367_789:
	s_or_b32 exec_lo, exec_lo, s9
	ds_bpermute_b32 v4, v4, v8
	s_waitcnt lgkmcnt(0)
	v_add_f32_e32 v4, v8, v4
	ds_bpermute_b32 v3, v3, v4
	s_waitcnt lgkmcnt(0)
	v_add_f32_e32 v3, v4, v3
	;; [unrolled: 3-line block ×5, first 2 shown]
	s_and_saveexec_b32 s7, vcc_lo
; %bb.790:
	ds_write_b32 v6, v3 offset:400
; %bb.791:
	s_or_b32 exec_lo, exec_lo, s7
	s_waitcnt lgkmcnt(0)
	s_barrier
	buffer_gl0_inv
	s_and_saveexec_b32 s7, s5
; %bb.792:
	ds_read_b32 v3, v7 offset:400
; %bb.793:
	s_or_b32 exec_lo, exec_lo, s7
	s_waitcnt lgkmcnt(0)
	ds_bpermute_b32 v2, v2, v3
	v_lshlrev_b32_e32 v4, 2, v31
	s_waitcnt lgkmcnt(0)
	v_add_f32_e32 v2, v3, v2
	ds_bpermute_b32 v3, v20, v2
	s_waitcnt lgkmcnt(0)
	v_add_f32_e32 v2, v2, v3
	v_and_b32_e32 v3, 0xffffff80, v4
	ds_bpermute_b32 v2, v3, v2
	s_and_saveexec_b32 s5, s6
	s_cbranch_execz .LBB367_796
; %bb.794:
	s_waitcnt lgkmcnt(0)
	v_add_f32_e32 v4, 0x358637bd, v2
	s_getpc_b64 s[6:7]
	s_add_u32 s6, s6, llvm.amdgcn.dynlds.offset.table@rel32@lo+4
	s_addc_u32 s7, s7, llvm.amdgcn.dynlds.offset.table@rel32@hi+12
	s_ashr_i32 s17, s16, 31
	s_lshl_b64 s[22:23], s[16:17], 2
	v_div_scale_f32 v3, null, v4, v4, 1.0
	v_div_scale_f32 v7, vcc_lo, 1.0, v4, 1.0
	s_add_u32 s6, s6, s22
	v_rcp_f32_e32 v5, v3
	s_addc_u32 s7, s7, s23
	s_load_dword s6, s[6:7], 0x0
	v_fma_f32 v6, -v3, v5, 1.0
	v_fmac_f32_e32 v5, v6, v5
	v_mul_f32_e32 v6, v7, v5
	v_fma_f32 v8, -v3, v6, v7
	v_fmac_f32_e32 v6, v8, v5
	v_fma_f32 v3, -v3, v6, v7
	v_div_fmas_f32 v5, v3, v5, v6
	s_waitcnt lgkmcnt(0)
	v_lshl_add_u32 v3, v34, 2, s6
	s_mov_b32 s6, 0
	v_div_fixup_f32 v4, v5, v4, 1.0
	v_mov_b32_e32 v5, v34
.LBB367_795:                            ; =>This Inner Loop Header: Depth=1
	ds_read_b32 v6, v3
	v_add_nc_u32_e32 v5, 0x80, v5
	v_cmp_ge_i32_e32 vcc_lo, v5, v1
	s_or_b32 s6, vcc_lo, s6
	s_waitcnt lgkmcnt(0)
	v_mul_f32_e32 v6, v4, v6
	ds_write_b32 v3, v6
	v_add_nc_u32_e32 v3, 0x200, v3
	s_andn2_b32 exec_lo, exec_lo, s6
	s_cbranch_execnz .LBB367_795
.LBB367_796:
	s_or_b32 exec_lo, exec_lo, s5
	s_and_b32 s5, 0xffff, s8
	s_mov_b32 s8, exec_lo
	s_cmp_lg_u32 s5, 0
	s_waitcnt lgkmcnt(0)
	s_cselect_b32 s5, -1, 0
	s_barrier
	s_cmp_lg_u32 s5, 0
	buffer_gl0_inv
	s_addc_u32 s5, s11, 0
	s_mul_i32 s6, s5, s18
	s_mul_i32 s6, s6, s15
	v_cmpx_eq_u32_e32 0, v34
	s_cbranch_execz .LBB367_798
; %bb.797:
	s_ashr_i32 s7, s6, 31
	s_mul_i32 s12, s5, s12
	s_lshl_b64 s[22:23], s[6:7], 2
	s_ashr_i32 s13, s12, 31
	v_add_co_u32 v1, vcc_lo, v32, s22
	v_add_co_ci_u32_e64 v3, null, s23, v30, vcc_lo
	s_lshl_b64 s[12:13], s[12:13], 2
	s_ashr_i32 s15, s14, 31
	v_add_co_u32 v1, vcc_lo, v1, s12
	v_add_co_ci_u32_e64 v4, null, s13, v3, vcc_lo
	v_add_co_u32 v3, vcc_lo, v29, s22
	v_add_co_ci_u32_e64 v5, null, s23, v28, vcc_lo
	s_lshl_b64 s[22:23], s[14:15], 2
	v_add_co_u32 v6, vcc_lo, v3, s12
	v_add_co_ci_u32_e64 v7, null, s13, v5, vcc_lo
	v_add_co_u32 v3, vcc_lo, v1, s22
	v_add_co_ci_u32_e64 v4, null, s23, v4, vcc_lo
	v_add_co_u32 v5, vcc_lo, v6, s22
	v_add_co_ci_u32_e64 v6, null, s23, v7, vcc_lo
	flat_store_dword v[3:4], v0
	flat_store_dword v[5:6], v2
.LBB367_798:
	s_or_b32 exec_lo, exec_lo, s8
	s_and_saveexec_b32 s7, s4
	s_xor_b32 s4, exec_lo, s7
; %bb.799:
	s_ashr_i32 s17, s16, 31
                                        ; implicit-def: $vgpr0
                                        ; implicit-def: $vgpr37
                                        ; implicit-def: $vgpr18
                                        ; kill: killed $vgpr0
                                        ; implicit-def: $vgpr16
                                        ; implicit-def: $vgpr10
                                        ; implicit-def: $vgpr11
                                        ; implicit-def: $vgpr14
                                        ; implicit-def: $vgpr15
                                        ; implicit-def: $vgpr0
                                        ; kill: killed $vgpr0
                                        ; implicit-def: $vgpr26_vgpr27
                                        ; implicit-def: $vgpr23
                                        ; implicit-def: $vgpr39
                                        ; implicit-def: $vgpr64_vgpr65
                                        ; implicit-def: $vgpr19
; %bb.800:
	s_or_saveexec_b32 s7, s4
	v_mov_b32_e32 v0, s16
	v_mov_b32_e32 v51, 0
	;; [unrolled: 1-line block ×14, first 2 shown]
	s_xor_b32 exec_lo, exec_lo, s7
	s_cbranch_execz .LBB367_1596
; %bb.801:
	buffer_store_dword v20, off, s[0:3], s32 offset:256 ; 4-byte Folded Spill
	buffer_store_dword v22, off, s[0:3], s32 offset:252 ; 4-byte Folded Spill
	flat_load_dword v26, v[26:27]
	s_getpc_b64 s[8:9]
	s_add_u32 s8, s8, llvm.amdgcn.dynlds.offset.table@rel32@lo+4
	s_addc_u32 s9, s9, llvm.amdgcn.dynlds.offset.table@rel32@hi+12
	s_ashr_i32 s17, s16, 31
	v_add_co_u32 v3, vcc_lo, v10, v23
	s_lshl_b64 s[12:13], s[16:17], 2
	v_and_b32_e32 v5, 0xf8, v19
	s_add_u32 s8, s8, s12
	s_addc_u32 s9, s9, s13
	v_add_co_ci_u32_e64 v4, null, v11, v39, vcc_lo
	s_load_dword s4, s[8:9], 0x0
	v_add_nc_u32_e32 v0, -1, v18
	v_add_co_u32 v3, vcc_lo, v3, v5
	v_add_co_ci_u32_e64 v4, null, 0, v4, vcc_lo
	v_and_b32_e32 v6, 1, v34
	buffer_store_dword v0, off, s[0:3], s32 offset:240 ; 4-byte Folded Spill
	v_lshlrev_b64 v[0:1], 2, v[16:17]
	buffer_store_dword v3, off, s[0:3], s32 offset:244 ; 4-byte Folded Spill
	buffer_store_dword v4, off, s[0:3], s32 offset:248 ; 4-byte Folded Spill
	v_and_b32_e32 v2, 8, v19
	v_lshlrev_b32_e32 v3, 5, v6
	v_lshl_add_u32 v4, v21, 4, s20
	v_mov_b32_e32 v11, 0
	v_add_co_u32 v0, vcc_lo, v64, v0
	v_add_co_ci_u32_e64 v1, null, v65, v1, vcc_lo
	v_lshl_or_b32 v3, v21, 6, v3
	v_add_co_u32 v14, vcc_lo, v14, v0
	v_add_co_ci_u32_e64 v15, null, v15, v1, vcc_lo
	v_add3_u32 v54, v4, v2, 7
	s_waitcnt lgkmcnt(0)
	v_add_nc_u32_e32 v55, s4, v3
	v_mov_b32_e32 v64, 0x80
	v_mov_b32_e32 v66, 0xff
	;; [unrolled: 1-line block ×14, first 2 shown]
	s_mov_b32 s8, -1
	s_mov_b32 s9, 0xffffff
	s_mov_b32 s11, 0
	s_branch .LBB367_803
.LBB367_802:                            ;   in Loop: Header=BB367_803 Depth=1
	s_or_b32 exec_lo, exec_lo, s4
	v_bfe_u32 v82, v6, 16, 1
	v_or_b32_e32 v83, 0x400000, v6
	v_cmp_u_f32_e32 vcc_lo, v6, v6
	v_lshlrev_b32_e32 v81, 16, v81
	v_lshlrev_b32_e32 v70, 16, v70
	v_add3_u32 v82, v82, v6, 0x7fff
	v_lshlrev_b32_e32 v27, 16, v27
	v_lshlrev_b32_e32 v12, 16, v12
	;; [unrolled: 1-line block ×4, first 2 shown]
	v_cndmask_b32_e32 v6, v82, v83, vcc_lo
	v_bfe_u32 v82, v7, 16, 1
	v_or_b32_e32 v83, 0x400000, v7
	v_cmp_u_f32_e32 vcc_lo, v7, v7
	v_lshlrev_b32_e32 v25, 16, v25
	v_lshlrev_b32_e32 v22, 16, v22
	v_add3_u32 v82, v82, v7, 0x7fff
	v_lshlrev_b32_e32 v5, 16, v5
	v_lshlrev_b32_e32 v4, 16, v4
	v_add_nc_u32_e32 v16, 4, v16
	v_add_nc_u32_e32 v54, 64, v54
	v_cndmask_b32_e32 v7, v82, v83, vcc_lo
	v_bfe_u32 v82, v8, 16, 1
	v_or_b32_e32 v83, 0x400000, v8
	v_cmp_u_f32_e32 vcc_lo, v8, v8
	v_add_nc_u32_e32 v55, 0x100, v55
	v_add3_u32 v82, v82, v8, 0x7fff
	v_bfe_u32 v8, v9, 16, 1
	v_cndmask_b32_e32 v82, v82, v83, vcc_lo
	v_add3_u32 v8, v8, v9, 0x7fff
	v_or_b32_e32 v83, 0x400000, v9
	v_cmp_u_f32_e32 vcc_lo, v9, v9
	v_or_b32_e32 v9, 0x400000, v0
	v_cndmask_b32_e32 v83, v8, v83, vcc_lo
	v_bfe_u32 v8, v0, 16, 1
	v_cmp_u_f32_e32 vcc_lo, v0, v0
	v_add3_u32 v8, v8, v0, 0x7fff
	v_cndmask_b32_e32 v0, v8, v9, vcc_lo
	v_bfe_u32 v8, v1, 16, 1
	v_or_b32_e32 v9, 0x400000, v1
	v_cmp_u_f32_e32 vcc_lo, v1, v1
	v_add3_u32 v8, v8, v1, 0x7fff
	v_cndmask_b32_e32 v1, v8, v9, vcc_lo
	v_bfe_u32 v8, v2, 16, 1
	v_or_b32_e32 v9, 0x400000, v2
	v_cmp_u_f32_e32 vcc_lo, v2, v2
	v_and_b32_e32 v1, 0xffff0000, v1
	v_add3_u32 v8, v8, v2, 0x7fff
	v_mul_f32_e32 v5, v1, v5
	v_cndmask_b32_e32 v2, v8, v9, vcc_lo
	v_bfe_u32 v8, v3, 16, 1
	v_or_b32_e32 v9, 0x400000, v3
	v_cmp_u_f32_e32 vcc_lo, v3, v3
	v_and_b32_e32 v2, 0xffff0000, v2
	v_add3_u32 v8, v8, v3, 0x7fff
	v_lshlrev_b32_e32 v3, 16, v71
	v_mul_f32_e32 v70, v2, v70
	v_cndmask_b32_e32 v84, v8, v9, vcc_lo
	v_and_b32_e32 v8, 0xffff0000, v7
	v_mul_f32_e32 v25, v2, v25
	v_mul_f32_e32 v3, v8, v3
	;; [unrolled: 1-line block ×3, first 2 shown]
	v_bfe_u32 v7, v3, 16, 1
	v_or_b32_e32 v9, 0x400000, v3
	v_cmp_u_f32_e32 vcc_lo, v3, v3
	v_add3_u32 v7, v7, v3, 0x7fff
	v_lshlrev_b32_e32 v3, 16, v80
	v_cndmask_b32_e32 v71, v7, v9, vcc_lo
	v_and_b32_e32 v9, 0xffff0000, v6
	v_and_b32_e32 v71, 0xffff0000, v71
	v_mul_f32_e32 v3, v9, v3
	v_mul_f32_e32 v12, v9, v12
	v_bfe_u32 v6, v3, 16, 1
	v_or_b32_e32 v7, 0x400000, v3
	v_cmp_u_f32_e32 vcc_lo, v3, v3
	v_add3_u32 v6, v6, v3, 0x7fff
	v_and_b32_e32 v3, 0xffff0000, v83
	v_cndmask_b32_e32 v80, v6, v7, vcc_lo
	v_lshlrev_b32_e32 v6, 16, v68
	v_and_b32_e32 v80, 0xffff0000, v80
	v_mul_f32_e32 v6, v3, v6
	v_add_f32_e32 v71, v80, v71
	v_bfe_u32 v7, v6, 16, 1
	v_or_b32_e32 v68, 0x400000, v6
	v_cmp_u_f32_e32 vcc_lo, v6, v6
	v_add3_u32 v7, v7, v6, 0x7fff
	v_lshlrev_b32_e32 v6, 16, v69
	v_cndmask_b32_e32 v68, v7, v68, vcc_lo
	v_and_b32_e32 v7, 0xffff0000, v82
	v_and_b32_e32 v68, 0xffff0000, v68
	v_mul_f32_e32 v6, v7, v6
	v_mul_f32_e32 v21, v7, v21
	v_bfe_u32 v69, v6, 16, 1
	v_or_b32_e32 v82, 0x400000, v6
	v_cmp_u_f32_e32 vcc_lo, v6, v6
	v_add3_u32 v69, v69, v6, 0x7fff
	v_lshlrev_b32_e32 v6, 16, v65
	v_cndmask_b32_e32 v69, v69, v82, vcc_lo
	v_mul_f32_e32 v6, v1, v6
	v_and_b32_e32 v69, 0xffff0000, v69
	v_bfe_u32 v65, v6, 16, 1
	v_or_b32_e32 v82, 0x400000, v6
	v_cmp_u_f32_e32 vcc_lo, v6, v6
	v_add_f32_e32 v68, v69, v68
	v_add3_u32 v65, v65, v6, 0x7fff
	v_and_b32_e32 v6, 0xffff0000, v0
	v_lshlrev_b32_e32 v0, 16, v67
	v_add_f32_e32 v68, v71, v68
	v_cndmask_b32_e32 v65, v65, v82, vcc_lo
	v_mul_f32_e32 v22, v6, v22
	v_mul_f32_e32 v0, v6, v0
	;; [unrolled: 1-line block ×3, first 2 shown]
	v_and_b32_e32 v65, 0xffff0000, v65
	v_bfe_u32 v67, v0, 16, 1
	v_or_b32_e32 v82, 0x400000, v0
	v_cmp_u_f32_e32 vcc_lo, v0, v0
	v_add3_u32 v67, v67, v0, 0x7fff
	v_and_b32_e32 v0, 0xffff0000, v84
	v_cndmask_b32_e32 v67, v67, v82, vcc_lo
	v_mul_f32_e32 v81, v0, v81
	v_mul_f32_e32 v13, v0, v13
	v_and_b32_e32 v67, 0xffff0000, v67
	v_bfe_u32 v82, v81, 16, 1
	v_or_b32_e32 v83, 0x400000, v81
	v_cmp_u_f32_e32 vcc_lo, v81, v81
	v_add_f32_e32 v65, v67, v65
	v_add3_u32 v82, v82, v81, 0x7fff
	v_add_f32_e32 v65, v68, v65
	v_cndmask_b32_e32 v81, v82, v83, vcc_lo
	v_bfe_u32 v82, v70, 16, 1
	v_or_b32_e32 v83, 0x400000, v70
	v_cmp_u_f32_e32 vcc_lo, v70, v70
	v_and_b32_e32 v68, 0xffff0000, v81
	v_add3_u32 v82, v82, v70, 0x7fff
	v_cndmask_b32_e32 v70, v82, v83, vcc_lo
	v_cmp_u_f32_e32 vcc_lo, v27, v27
	v_and_b32_e32 v67, 0xffff0000, v70
	v_add_f32_e32 v67, v67, v68
	v_add_f32_e32 v65, v65, v67
	v_or_b32_e32 v67, 0x400000, v27
	v_add_f32_e32 v29, v29, v65
	v_bfe_u32 v65, v27, 16, 1
	v_add3_u32 v65, v65, v27, 0x7fff
	v_cndmask_b32_e32 v27, v65, v67, vcc_lo
	v_bfe_u32 v65, v12, 16, 1
	v_or_b32_e32 v67, 0x400000, v12
	v_cmp_u_f32_e32 vcc_lo, v12, v12
	v_and_b32_e32 v27, 0xffff0000, v27
	v_add3_u32 v65, v65, v12, 0x7fff
	v_cndmask_b32_e32 v12, v65, v67, vcc_lo
	v_lshlrev_b32_e32 v65, 16, v127
	v_and_b32_e32 v12, 0xffff0000, v12
	v_mul_f32_e32 v65, v3, v65
	v_add_f32_e32 v12, v12, v27
	v_bfe_u32 v67, v65, 16, 1
	v_or_b32_e32 v68, 0x400000, v65
	v_cmp_u_f32_e32 vcc_lo, v65, v65
	v_add3_u32 v67, v67, v65, 0x7fff
	v_cndmask_b32_e32 v65, v67, v68, vcc_lo
	v_bfe_u32 v67, v21, 16, 1
	v_or_b32_e32 v68, 0x400000, v21
	v_cmp_u_f32_e32 vcc_lo, v21, v21
	v_and_b32_e32 v27, 0xffff0000, v65
	v_add3_u32 v67, v67, v21, 0x7fff
	v_cndmask_b32_e32 v21, v67, v68, vcc_lo
	v_lshlrev_b32_e32 v67, 16, v125
	v_and_b32_e32 v21, 0xffff0000, v21
	v_mul_f32_e32 v67, v1, v67
	v_add_f32_e32 v21, v21, v27
	v_bfe_u32 v68, v67, 16, 1
	v_or_b32_e32 v69, 0x400000, v67
	v_cmp_u_f32_e32 vcc_lo, v67, v67
	v_add_f32_e32 v12, v12, v21
	v_add3_u32 v68, v68, v67, 0x7fff
	v_cndmask_b32_e32 v67, v68, v69, vcc_lo
	v_lshlrev_b32_e32 v68, 16, v126
	v_and_b32_e32 v27, 0xffff0000, v67
	v_mul_f32_e32 v68, v6, v68
	v_bfe_u32 v69, v68, 16, 1
	v_or_b32_e32 v70, 0x400000, v68
	v_cmp_u_f32_e32 vcc_lo, v68, v68
	v_add3_u32 v69, v69, v68, 0x7fff
	v_cndmask_b32_e32 v68, v69, v70, vcc_lo
	v_bfe_u32 v69, v13, 16, 1
	v_or_b32_e32 v70, 0x400000, v13
	v_cmp_u_f32_e32 vcc_lo, v13, v13
	v_and_b32_e32 v21, 0xffff0000, v68
	v_add3_u32 v69, v69, v13, 0x7fff
	v_add_f32_e32 v21, v21, v27
	v_cndmask_b32_e32 v13, v69, v70, vcc_lo
	v_bfe_u32 v69, v25, 16, 1
	v_or_b32_e32 v70, 0x400000, v25
	v_cmp_u_f32_e32 vcc_lo, v25, v25
	v_add_f32_e32 v12, v12, v21
	v_and_b32_e32 v13, 0xffff0000, v13
	v_add3_u32 v69, v69, v25, 0x7fff
	v_cndmask_b32_e32 v25, v69, v70, vcc_lo
	v_and_b32_e32 v21, 0xffff0000, v25
	v_add_f32_e32 v13, v21, v13
	v_add_f32_e32 v12, v12, v13
	;; [unrolled: 1-line block ×3, first 2 shown]
	v_lshlrev_b32_e32 v12, 16, v121
	v_mul_f32_e32 v12, v8, v12
	v_bfe_u32 v13, v12, 16, 1
	v_or_b32_e32 v21, 0x400000, v12
	v_cmp_u_f32_e32 vcc_lo, v12, v12
	v_add3_u32 v13, v13, v12, 0x7fff
	v_cndmask_b32_e32 v12, v13, v21, vcc_lo
	v_lshlrev_b32_e32 v13, 16, v122
	v_and_b32_e32 v12, 0xffff0000, v12
	v_mul_f32_e32 v13, v9, v13
	v_bfe_u32 v21, v13, 16, 1
	v_or_b32_e32 v25, 0x400000, v13
	v_cmp_u_f32_e32 vcc_lo, v13, v13
	v_add3_u32 v21, v21, v13, 0x7fff
	v_cndmask_b32_e32 v13, v21, v25, vcc_lo
	v_lshlrev_b32_e32 v21, 16, v110
	v_and_b32_e32 v13, 0xffff0000, v13
	v_mul_f32_e32 v21, v3, v21
	v_add_f32_e32 v12, v13, v12
	v_bfe_u32 v25, v21, 16, 1
	v_or_b32_e32 v27, 0x400000, v21
	v_cmp_u_f32_e32 vcc_lo, v21, v21
	v_add3_u32 v25, v25, v21, 0x7fff
	v_cndmask_b32_e32 v21, v25, v27, vcc_lo
	v_lshlrev_b32_e32 v25, 16, v111
	v_and_b32_e32 v21, 0xffff0000, v21
	v_mul_f32_e32 v25, v7, v25
	v_bfe_u32 v27, v25, 16, 1
	v_or_b32_e32 v65, 0x400000, v25
	v_cmp_u_f32_e32 vcc_lo, v25, v25
	v_add3_u32 v27, v27, v25, 0x7fff
	v_cndmask_b32_e32 v25, v27, v65, vcc_lo
	v_lshlrev_b32_e32 v27, 16, v108
	v_and_b32_e32 v13, 0xffff0000, v25
	v_mul_f32_e32 v27, v1, v27
	v_add_f32_e32 v13, v13, v21
	v_bfe_u32 v65, v27, 16, 1
	v_or_b32_e32 v67, 0x400000, v27
	v_cmp_u_f32_e32 vcc_lo, v27, v27
	v_add_f32_e32 v12, v12, v13
	v_add3_u32 v65, v65, v27, 0x7fff
	v_cndmask_b32_e32 v27, v65, v67, vcc_lo
	v_lshlrev_b32_e32 v65, 16, v109
	v_and_b32_e32 v21, 0xffff0000, v27
	v_mul_f32_e32 v65, v6, v65
	v_bfe_u32 v67, v65, 16, 1
	v_or_b32_e32 v68, 0x400000, v65
	v_cmp_u_f32_e32 vcc_lo, v65, v65
	v_add3_u32 v67, v67, v65, 0x7fff
	v_cndmask_b32_e32 v65, v67, v68, vcc_lo
	v_lshlrev_b32_e32 v67, 16, v123
	v_and_b32_e32 v13, 0xffff0000, v65
	v_mul_f32_e32 v67, v0, v67
	v_add_f32_e32 v13, v13, v21
	v_bfe_u32 v68, v67, 16, 1
	v_or_b32_e32 v69, 0x400000, v67
	v_cmp_u_f32_e32 vcc_lo, v67, v67
	v_add_f32_e32 v12, v12, v13
	v_add3_u32 v68, v68, v67, 0x7fff
	v_cndmask_b32_e32 v67, v68, v69, vcc_lo
	v_lshlrev_b32_e32 v68, 16, v120
	v_and_b32_e32 v21, 0xffff0000, v67
	v_mul_f32_e32 v68, v2, v68
	v_bfe_u32 v69, v68, 16, 1
	v_or_b32_e32 v70, 0x400000, v68
	v_cmp_u_f32_e32 vcc_lo, v68, v68
	v_add3_u32 v69, v69, v68, 0x7fff
	v_cndmask_b32_e32 v68, v69, v70, vcc_lo
	v_and_b32_e32 v13, 0xffff0000, v68
	v_add_f32_e32 v13, v13, v21
	v_add_f32_e32 v12, v12, v13
	;; [unrolled: 1-line block ×3, first 2 shown]
	v_lshlrev_b32_e32 v12, 16, v107
	v_mul_f32_e32 v12, v8, v12
	v_bfe_u32 v13, v12, 16, 1
	v_or_b32_e32 v21, 0x400000, v12
	v_cmp_u_f32_e32 vcc_lo, v12, v12
	v_add3_u32 v13, v13, v12, 0x7fff
	v_cndmask_b32_e32 v12, v13, v21, vcc_lo
	v_lshlrev_b32_e32 v13, 16, v106
	v_and_b32_e32 v12, 0xffff0000, v12
	v_mul_f32_e32 v13, v9, v13
	v_bfe_u32 v21, v13, 16, 1
	v_or_b32_e32 v25, 0x400000, v13
	v_cmp_u_f32_e32 vcc_lo, v13, v13
	v_add3_u32 v21, v21, v13, 0x7fff
	v_cndmask_b32_e32 v13, v21, v25, vcc_lo
	v_lshlrev_b32_e32 v21, 16, v104
	v_and_b32_e32 v13, 0xffff0000, v13
	v_mul_f32_e32 v21, v3, v21
	v_add_f32_e32 v12, v13, v12
	v_bfe_u32 v25, v21, 16, 1
	v_or_b32_e32 v27, 0x400000, v21
	v_cmp_u_f32_e32 vcc_lo, v21, v21
	v_add3_u32 v25, v25, v21, 0x7fff
	v_cndmask_b32_e32 v21, v25, v27, vcc_lo
	v_lshlrev_b32_e32 v25, 16, v105
	v_and_b32_e32 v21, 0xffff0000, v21
	v_mul_f32_e32 v25, v7, v25
	v_bfe_u32 v27, v25, 16, 1
	v_or_b32_e32 v65, 0x400000, v25
	v_cmp_u_f32_e32 vcc_lo, v25, v25
	v_add3_u32 v27, v27, v25, 0x7fff
	v_cndmask_b32_e32 v25, v27, v65, vcc_lo
	v_lshlrev_b32_e32 v27, 16, v93
	v_and_b32_e32 v13, 0xffff0000, v25
	v_mul_f32_e32 v27, v1, v27
	v_add_f32_e32 v13, v13, v21
	v_bfe_u32 v65, v27, 16, 1
	v_or_b32_e32 v67, 0x400000, v27
	v_cmp_u_f32_e32 vcc_lo, v27, v27
	v_add_f32_e32 v12, v12, v13
	v_add3_u32 v65, v65, v27, 0x7fff
	v_cndmask_b32_e32 v27, v65, v67, vcc_lo
	v_lshlrev_b32_e32 v65, 16, v92
	v_and_b32_e32 v21, 0xffff0000, v27
	v_mul_f32_e32 v65, v6, v65
	v_bfe_u32 v67, v65, 16, 1
	v_or_b32_e32 v68, 0x400000, v65
	v_cmp_u_f32_e32 vcc_lo, v65, v65
	v_add3_u32 v67, v67, v65, 0x7fff
	v_cndmask_b32_e32 v65, v67, v68, vcc_lo
	v_lshlrev_b32_e32 v67, 16, v95
	v_and_b32_e32 v13, 0xffff0000, v65
	v_mul_f32_e32 v67, v0, v67
	v_add_f32_e32 v13, v13, v21
	v_bfe_u32 v68, v67, 16, 1
	v_or_b32_e32 v69, 0x400000, v67
	v_cmp_u_f32_e32 vcc_lo, v67, v67
	v_add_f32_e32 v12, v12, v13
	v_add3_u32 v68, v68, v67, 0x7fff
	v_cndmask_b32_e32 v67, v68, v69, vcc_lo
	v_lshlrev_b32_e32 v68, 16, v94
	v_and_b32_e32 v21, 0xffff0000, v67
	v_mul_f32_e32 v68, v2, v68
	v_bfe_u32 v69, v68, 16, 1
	v_or_b32_e32 v70, 0x400000, v68
	v_cmp_u_f32_e32 vcc_lo, v68, v68
	v_add3_u32 v69, v69, v68, 0x7fff
	v_cndmask_b32_e32 v68, v69, v70, vcc_lo
	v_and_b32_e32 v13, 0xffff0000, v68
	v_add_f32_e32 v13, v13, v21
	v_add_f32_e32 v12, v12, v13
	;; [unrolled: 1-line block ×3, first 2 shown]
	v_lshlrev_b32_e32 v12, 16, v91
	v_mul_f32_e32 v12, v8, v12
	v_bfe_u32 v13, v12, 16, 1
	v_or_b32_e32 v21, 0x400000, v12
	v_cmp_u_f32_e32 vcc_lo, v12, v12
	v_add3_u32 v13, v13, v12, 0x7fff
	v_cndmask_b32_e32 v12, v13, v21, vcc_lo
	v_lshlrev_b32_e32 v13, 16, v90
	v_and_b32_e32 v12, 0xffff0000, v12
	v_mul_f32_e32 v13, v9, v13
	v_bfe_u32 v21, v13, 16, 1
	v_or_b32_e32 v25, 0x400000, v13
	v_cmp_u_f32_e32 vcc_lo, v13, v13
	v_add3_u32 v21, v21, v13, 0x7fff
	v_cndmask_b32_e32 v13, v21, v25, vcc_lo
	v_lshlrev_b32_e32 v21, 16, v88
	v_and_b32_e32 v13, 0xffff0000, v13
	v_mul_f32_e32 v21, v3, v21
	v_add_f32_e32 v12, v13, v12
	v_bfe_u32 v25, v21, 16, 1
	v_or_b32_e32 v27, 0x400000, v21
	v_cmp_u_f32_e32 vcc_lo, v21, v21
	v_add3_u32 v25, v25, v21, 0x7fff
	v_cndmask_b32_e32 v21, v25, v27, vcc_lo
	v_lshlrev_b32_e32 v25, 16, v89
	v_and_b32_e32 v21, 0xffff0000, v21
	v_mul_f32_e32 v25, v7, v25
	v_bfe_u32 v27, v25, 16, 1
	v_or_b32_e32 v65, 0x400000, v25
	v_cmp_u_f32_e32 vcc_lo, v25, v25
	v_add3_u32 v27, v27, v25, 0x7fff
	v_cndmask_b32_e32 v25, v27, v65, vcc_lo
	v_lshlrev_b32_e32 v27, 16, v77
	v_and_b32_e32 v13, 0xffff0000, v25
	v_mul_f32_e32 v27, v1, v27
	v_add_f32_e32 v13, v13, v21
	v_bfe_u32 v65, v27, 16, 1
	v_or_b32_e32 v67, 0x400000, v27
	v_cmp_u_f32_e32 vcc_lo, v27, v27
	v_add_f32_e32 v12, v12, v13
	v_add3_u32 v65, v65, v27, 0x7fff
	v_cndmask_b32_e32 v27, v65, v67, vcc_lo
	v_lshlrev_b32_e32 v65, 16, v76
	v_and_b32_e32 v21, 0xffff0000, v27
	v_mul_f32_e32 v65, v6, v65
	v_bfe_u32 v67, v65, 16, 1
	v_or_b32_e32 v68, 0x400000, v65
	v_cmp_u_f32_e32 vcc_lo, v65, v65
	v_add3_u32 v67, v67, v65, 0x7fff
	v_cndmask_b32_e32 v65, v67, v68, vcc_lo
	v_lshlrev_b32_e32 v67, 16, v79
	v_and_b32_e32 v13, 0xffff0000, v65
	v_mul_f32_e32 v67, v0, v67
	v_add_f32_e32 v13, v13, v21
	v_bfe_u32 v68, v67, 16, 1
	v_or_b32_e32 v69, 0x400000, v67
	v_cmp_u_f32_e32 vcc_lo, v67, v67
	v_add_f32_e32 v12, v12, v13
	v_add3_u32 v68, v68, v67, 0x7fff
	v_cndmask_b32_e32 v67, v68, v69, vcc_lo
	v_lshlrev_b32_e32 v68, 16, v78
	v_and_b32_e32 v21, 0xffff0000, v67
	v_mul_f32_e32 v68, v2, v68
	v_bfe_u32 v69, v68, 16, 1
	v_or_b32_e32 v70, 0x400000, v68
	v_cmp_u_f32_e32 vcc_lo, v68, v68
	v_add3_u32 v69, v69, v68, 0x7fff
	v_cndmask_b32_e32 v68, v69, v70, vcc_lo
	v_and_b32_e32 v13, 0xffff0000, v68
	v_add_f32_e32 v13, v13, v21
	v_add_f32_e32 v12, v12, v13
	;; [unrolled: 1-line block ×3, first 2 shown]
	v_lshlrev_b32_e32 v12, 16, v75
	v_mul_f32_e32 v12, v8, v12
	v_bfe_u32 v13, v12, 16, 1
	v_or_b32_e32 v21, 0x400000, v12
	v_cmp_u_f32_e32 vcc_lo, v12, v12
	v_add3_u32 v13, v13, v12, 0x7fff
	v_cndmask_b32_e32 v12, v13, v21, vcc_lo
	v_lshlrev_b32_e32 v13, 16, v74
	v_and_b32_e32 v12, 0xffff0000, v12
	v_mul_f32_e32 v13, v9, v13
	v_bfe_u32 v21, v13, 16, 1
	v_or_b32_e32 v25, 0x400000, v13
	v_cmp_u_f32_e32 vcc_lo, v13, v13
	v_add3_u32 v21, v21, v13, 0x7fff
	v_cndmask_b32_e32 v13, v21, v25, vcc_lo
	v_lshlrev_b32_e32 v21, 16, v72
	v_and_b32_e32 v13, 0xffff0000, v13
	v_mul_f32_e32 v21, v3, v21
	v_add_f32_e32 v12, v13, v12
	v_bfe_u32 v25, v21, 16, 1
	v_or_b32_e32 v27, 0x400000, v21
	v_cmp_u_f32_e32 vcc_lo, v21, v21
	v_add3_u32 v25, v25, v21, 0x7fff
	v_cndmask_b32_e32 v21, v25, v27, vcc_lo
	v_lshlrev_b32_e32 v25, 16, v73
	v_and_b32_e32 v21, 0xffff0000, v21
	v_mul_f32_e32 v25, v7, v25
	v_bfe_u32 v27, v25, 16, 1
	v_or_b32_e32 v65, 0x400000, v25
	v_cmp_u_f32_e32 vcc_lo, v25, v25
	v_add3_u32 v27, v27, v25, 0x7fff
	v_cndmask_b32_e32 v25, v27, v65, vcc_lo
	v_lshlrev_b32_e32 v27, 16, v61
	v_and_b32_e32 v13, 0xffff0000, v25
	v_mul_f32_e32 v27, v1, v27
	v_add_f32_e32 v13, v13, v21
	v_bfe_u32 v65, v27, 16, 1
	v_or_b32_e32 v67, 0x400000, v27
	v_cmp_u_f32_e32 vcc_lo, v27, v27
	v_add_f32_e32 v12, v12, v13
	v_add3_u32 v65, v65, v27, 0x7fff
	v_cndmask_b32_e32 v27, v65, v67, vcc_lo
	v_lshlrev_b32_e32 v65, 16, v60
	v_and_b32_e32 v21, 0xffff0000, v27
	v_mul_f32_e32 v65, v6, v65
	v_bfe_u32 v67, v65, 16, 1
	v_or_b32_e32 v68, 0x400000, v65
	v_cmp_u_f32_e32 vcc_lo, v65, v65
	v_add3_u32 v67, v67, v65, 0x7fff
	v_cndmask_b32_e32 v65, v67, v68, vcc_lo
	v_lshlrev_b32_e32 v67, 16, v63
	v_and_b32_e32 v13, 0xffff0000, v65
	v_mul_f32_e32 v67, v0, v67
	v_add_f32_e32 v13, v13, v21
	v_bfe_u32 v68, v67, 16, 1
	v_or_b32_e32 v69, 0x400000, v67
	v_cmp_u_f32_e32 vcc_lo, v67, v67
	v_add_f32_e32 v12, v12, v13
	v_add3_u32 v68, v68, v67, 0x7fff
	v_cndmask_b32_e32 v67, v68, v69, vcc_lo
	v_lshlrev_b32_e32 v68, 16, v62
	v_and_b32_e32 v21, 0xffff0000, v67
	v_mul_f32_e32 v68, v2, v68
	v_bfe_u32 v69, v68, 16, 1
	v_or_b32_e32 v70, 0x400000, v68
	v_cmp_u_f32_e32 vcc_lo, v68, v68
	v_add3_u32 v69, v69, v68, 0x7fff
	v_cndmask_b32_e32 v68, v69, v70, vcc_lo
	v_and_b32_e32 v13, 0xffff0000, v68
	v_add_f32_e32 v13, v13, v21
	v_add_f32_e32 v12, v12, v13
	;; [unrolled: 1-line block ×3, first 2 shown]
	v_lshlrev_b32_e32 v12, 16, v59
	v_mul_f32_e32 v12, v8, v12
	v_bfe_u32 v13, v12, 16, 1
	v_or_b32_e32 v21, 0x400000, v12
	v_cmp_u_f32_e32 vcc_lo, v12, v12
	v_add3_u32 v13, v13, v12, 0x7fff
	v_cndmask_b32_e32 v12, v13, v21, vcc_lo
	v_lshlrev_b32_e32 v13, 16, v58
	v_and_b32_e32 v12, 0xffff0000, v12
	v_mul_f32_e32 v13, v9, v13
	v_bfe_u32 v21, v13, 16, 1
	v_or_b32_e32 v25, 0x400000, v13
	v_cmp_u_f32_e32 vcc_lo, v13, v13
	v_add3_u32 v21, v21, v13, 0x7fff
	v_cndmask_b32_e32 v13, v21, v25, vcc_lo
	v_lshlrev_b32_e32 v21, 16, v56
	v_and_b32_e32 v13, 0xffff0000, v13
	v_mul_f32_e32 v21, v3, v21
	v_add_f32_e32 v12, v13, v12
	v_bfe_u32 v25, v21, 16, 1
	v_or_b32_e32 v27, 0x400000, v21
	v_cmp_u_f32_e32 vcc_lo, v21, v21
	v_add3_u32 v25, v25, v21, 0x7fff
	v_cndmask_b32_e32 v21, v25, v27, vcc_lo
	v_lshlrev_b32_e32 v25, 16, v57
	v_and_b32_e32 v21, 0xffff0000, v21
	v_mul_f32_e32 v25, v7, v25
	v_bfe_u32 v27, v25, 16, 1
	v_or_b32_e32 v65, 0x400000, v25
	v_cmp_u_f32_e32 vcc_lo, v25, v25
	v_add3_u32 v27, v27, v25, 0x7fff
	v_cndmask_b32_e32 v25, v27, v65, vcc_lo
	v_lshlrev_b32_e32 v27, 16, v39
	v_and_b32_e32 v13, 0xffff0000, v25
	v_mul_f32_e32 v27, v1, v27
	v_add_f32_e32 v13, v13, v21
	v_bfe_u32 v39, v27, 16, 1
	v_or_b32_e32 v65, 0x400000, v27
	v_cmp_u_f32_e32 vcc_lo, v27, v27
	v_add_f32_e32 v12, v12, v13
	v_add3_u32 v39, v39, v27, 0x7fff
	v_cndmask_b32_e32 v27, v39, v65, vcc_lo
	v_bfe_u32 v39, v22, 16, 1
	v_or_b32_e32 v65, 0x400000, v22
	v_cmp_u_f32_e32 vcc_lo, v22, v22
	v_and_b32_e32 v21, 0xffff0000, v27
	v_add3_u32 v39, v39, v22, 0x7fff
	v_cndmask_b32_e32 v22, v39, v65, vcc_lo
	v_lshlrev_b32_e32 v39, 16, v47
	v_and_b32_e32 v13, 0xffff0000, v22
	v_mul_f32_e32 v39, v0, v39
	v_add_f32_e32 v13, v13, v21
	v_bfe_u32 v65, v39, 16, 1
	v_or_b32_e32 v67, 0x400000, v39
	v_cmp_u_f32_e32 vcc_lo, v39, v39
	v_add_f32_e32 v12, v12, v13
	v_add3_u32 v65, v65, v39, 0x7fff
	v_cndmask_b32_e32 v39, v65, v67, vcc_lo
	v_lshlrev_b32_e32 v65, 16, v46
	v_and_b32_e32 v21, 0xffff0000, v39
	v_mul_f32_e32 v65, v2, v65
	v_bfe_u32 v67, v65, 16, 1
	v_or_b32_e32 v68, 0x400000, v65
	v_cmp_u_f32_e32 vcc_lo, v65, v65
	v_add3_u32 v67, v67, v65, 0x7fff
	v_cndmask_b32_e32 v65, v67, v68, vcc_lo
	v_and_b32_e32 v13, 0xffff0000, v65
	v_add_f32_e32 v13, v13, v21
	v_add_f32_e32 v12, v12, v13
	;; [unrolled: 1-line block ×3, first 2 shown]
	v_lshlrev_b32_e32 v12, 16, v45
	v_mul_f32_e32 v12, v8, v12
	v_bfe_u32 v13, v12, 16, 1
	v_or_b32_e32 v21, 0x400000, v12
	v_cmp_u_f32_e32 vcc_lo, v12, v12
	v_add3_u32 v13, v13, v12, 0x7fff
	v_cndmask_b32_e32 v12, v13, v21, vcc_lo
	v_lshlrev_b32_e32 v13, 16, v44
	v_and_b32_e32 v12, 0xffff0000, v12
	v_mul_f32_e32 v13, v9, v13
	v_bfe_u32 v21, v13, 16, 1
	v_or_b32_e32 v22, 0x400000, v13
	v_cmp_u_f32_e32 vcc_lo, v13, v13
	v_add3_u32 v21, v21, v13, 0x7fff
	v_cndmask_b32_e32 v13, v21, v22, vcc_lo
	v_lshlrev_b32_e32 v21, 16, v36
	v_and_b32_e32 v13, 0xffff0000, v13
	v_mul_f32_e32 v21, v3, v21
	v_add_f32_e32 v12, v13, v12
	v_bfe_u32 v22, v21, 16, 1
	v_or_b32_e32 v25, 0x400000, v21
	v_cmp_u_f32_e32 vcc_lo, v21, v21
	v_add3_u32 v22, v22, v21, 0x7fff
	v_cndmask_b32_e32 v21, v22, v25, vcc_lo
	v_lshlrev_b32_e32 v22, 16, v38
	v_and_b32_e32 v21, 0xffff0000, v21
	v_mul_f32_e32 v22, v7, v22
	v_bfe_u32 v25, v22, 16, 1
	v_or_b32_e32 v27, 0x400000, v22
	v_cmp_u_f32_e32 vcc_lo, v22, v22
	v_add3_u32 v25, v25, v22, 0x7fff
	v_cndmask_b32_e32 v22, v25, v27, vcc_lo
	v_bfe_u32 v25, v5, 16, 1
	v_or_b32_e32 v27, 0x400000, v5
	v_cmp_u_f32_e32 vcc_lo, v5, v5
	v_and_b32_e32 v13, 0xffff0000, v22
	v_add3_u32 v25, v25, v5, 0x7fff
	v_add_f32_e32 v13, v13, v21
	v_cndmask_b32_e32 v5, v25, v27, vcc_lo
	v_bfe_u32 v25, v4, 16, 1
	v_or_b32_e32 v27, 0x400000, v4
	v_cmp_u_f32_e32 vcc_lo, v4, v4
	v_add_f32_e32 v12, v12, v13
	v_and_b32_e32 v5, 0xffff0000, v5
	v_add3_u32 v25, v25, v4, 0x7fff
	v_cndmask_b32_e32 v4, v25, v27, vcc_lo
	v_lshlrev_b32_e32 v25, 16, v35
	v_and_b32_e32 v4, 0xffff0000, v4
	v_mul_f32_e32 v25, v0, v25
	v_add_f32_e32 v4, v4, v5
	v_bfe_u32 v27, v25, 16, 1
	v_or_b32_e32 v35, 0x400000, v25
	v_cmp_u_f32_e32 vcc_lo, v25, v25
	v_add_f32_e32 v4, v12, v4
	v_add3_u32 v27, v27, v25, 0x7fff
	v_cndmask_b32_e32 v25, v27, v35, vcc_lo
	v_lshlrev_b32_e32 v27, 16, v34
	v_and_b32_e32 v12, 0xffff0000, v25
	v_mul_f32_e32 v27, v2, v27
	v_bfe_u32 v34, v27, 16, 1
	v_or_b32_e32 v35, 0x400000, v27
	v_cmp_u_f32_e32 vcc_lo, v27, v27
	v_add3_u32 v34, v34, v27, 0x7fff
	v_cndmask_b32_e32 v27, v34, v35, vcc_lo
	v_and_b32_e32 v5, 0xffff0000, v27
	v_add_f32_e32 v5, v5, v12
	v_add_f32_e32 v4, v4, v5
	;; [unrolled: 1-line block ×3, first 2 shown]
	v_lshlrev_b32_e32 v4, 16, v116
	v_mul_f32_e32 v4, v8, v4
	v_bfe_u32 v5, v4, 16, 1
	v_or_b32_e32 v12, 0x400000, v4
	v_cmp_u_f32_e32 vcc_lo, v4, v4
	v_add3_u32 v5, v5, v4, 0x7fff
	v_cndmask_b32_e32 v4, v5, v12, vcc_lo
	v_lshlrev_b32_e32 v5, 16, v115
	v_and_b32_e32 v4, 0xffff0000, v4
	v_mul_f32_e32 v5, v9, v5
	v_bfe_u32 v12, v5, 16, 1
	v_or_b32_e32 v13, 0x400000, v5
	v_cmp_u_f32_e32 vcc_lo, v5, v5
	v_add3_u32 v12, v12, v5, 0x7fff
	v_cndmask_b32_e32 v5, v12, v13, vcc_lo
	v_lshlrev_b32_e32 v12, 16, v113
	v_and_b32_e32 v5, 0xffff0000, v5
	v_mul_f32_e32 v12, v3, v12
	v_add_f32_e32 v4, v5, v4
	v_bfe_u32 v13, v12, 16, 1
	v_or_b32_e32 v21, 0x400000, v12
	v_cmp_u_f32_e32 vcc_lo, v12, v12
	v_add3_u32 v13, v13, v12, 0x7fff
	v_cndmask_b32_e32 v12, v13, v21, vcc_lo
	v_lshlrev_b32_e32 v13, 16, v114
	v_and_b32_e32 v12, 0xffff0000, v12
	v_mul_f32_e32 v13, v7, v13
	v_bfe_u32 v21, v13, 16, 1
	v_or_b32_e32 v22, 0x400000, v13
	v_cmp_u_f32_e32 vcc_lo, v13, v13
	v_add3_u32 v21, v21, v13, 0x7fff
	v_cndmask_b32_e32 v13, v21, v22, vcc_lo
	v_lshlrev_b32_e32 v21, 16, v102
	v_and_b32_e32 v5, 0xffff0000, v13
	v_mul_f32_e32 v21, v1, v21
	v_add_f32_e32 v5, v5, v12
	v_bfe_u32 v22, v21, 16, 1
	v_or_b32_e32 v25, 0x400000, v21
	v_cmp_u_f32_e32 vcc_lo, v21, v21
	v_add_f32_e32 v4, v4, v5
	v_add3_u32 v22, v22, v21, 0x7fff
	v_cndmask_b32_e32 v21, v22, v25, vcc_lo
	v_lshlrev_b32_e32 v22, 16, v101
	v_and_b32_e32 v12, 0xffff0000, v21
	v_mul_f32_e32 v22, v6, v22
	v_bfe_u32 v25, v22, 16, 1
	v_or_b32_e32 v27, 0x400000, v22
	v_cmp_u_f32_e32 vcc_lo, v22, v22
	v_add3_u32 v25, v25, v22, 0x7fff
	v_cndmask_b32_e32 v22, v25, v27, vcc_lo
	v_lshlrev_b32_e32 v25, 16, v112
	v_and_b32_e32 v5, 0xffff0000, v22
	v_mul_f32_e32 v25, v0, v25
	v_add_f32_e32 v5, v5, v12
	v_bfe_u32 v27, v25, 16, 1
	v_or_b32_e32 v34, 0x400000, v25
	v_cmp_u_f32_e32 vcc_lo, v25, v25
	v_add_f32_e32 v4, v4, v5
	v_add3_u32 v27, v27, v25, 0x7fff
	v_cndmask_b32_e32 v25, v27, v34, vcc_lo
	v_lshlrev_b32_e32 v27, 16, v103
	v_and_b32_e32 v12, 0xffff0000, v25
	v_mul_f32_e32 v27, v2, v27
	v_bfe_u32 v34, v27, 16, 1
	v_or_b32_e32 v35, 0x400000, v27
	v_cmp_u_f32_e32 vcc_lo, v27, v27
	v_add3_u32 v34, v34, v27, 0x7fff
	v_cndmask_b32_e32 v27, v34, v35, vcc_lo
	v_and_b32_e32 v5, 0xffff0000, v27
	v_add_f32_e32 v5, v5, v12
	v_add_f32_e32 v4, v4, v5
	;; [unrolled: 1-line block ×3, first 2 shown]
	v_lshlrev_b32_e32 v4, 16, v100
	v_mul_f32_e32 v4, v8, v4
	v_bfe_u32 v5, v4, 16, 1
	v_or_b32_e32 v12, 0x400000, v4
	v_cmp_u_f32_e32 vcc_lo, v4, v4
	v_add3_u32 v5, v5, v4, 0x7fff
	v_cndmask_b32_e32 v4, v5, v12, vcc_lo
	v_lshlrev_b32_e32 v5, 16, v99
	v_and_b32_e32 v4, 0xffff0000, v4
	v_mul_f32_e32 v5, v9, v5
	v_bfe_u32 v12, v5, 16, 1
	v_or_b32_e32 v13, 0x400000, v5
	v_cmp_u_f32_e32 vcc_lo, v5, v5
	v_add3_u32 v12, v12, v5, 0x7fff
	v_cndmask_b32_e32 v5, v12, v13, vcc_lo
	v_lshlrev_b32_e32 v12, 16, v97
	v_and_b32_e32 v5, 0xffff0000, v5
	v_mul_f32_e32 v12, v3, v12
	v_add_f32_e32 v4, v5, v4
	v_bfe_u32 v13, v12, 16, 1
	v_or_b32_e32 v21, 0x400000, v12
	v_cmp_u_f32_e32 vcc_lo, v12, v12
	v_add3_u32 v13, v13, v12, 0x7fff
	v_cndmask_b32_e32 v12, v13, v21, vcc_lo
	v_lshlrev_b32_e32 v13, 16, v98
	v_and_b32_e32 v12, 0xffff0000, v12
	v_mul_f32_e32 v13, v7, v13
	v_bfe_u32 v21, v13, 16, 1
	v_or_b32_e32 v22, 0x400000, v13
	v_cmp_u_f32_e32 vcc_lo, v13, v13
	v_add3_u32 v21, v21, v13, 0x7fff
	v_cndmask_b32_e32 v13, v21, v22, vcc_lo
	v_lshlrev_b32_e32 v21, 16, v87
	v_and_b32_e32 v5, 0xffff0000, v13
	v_mul_f32_e32 v21, v1, v21
	v_add_f32_e32 v5, v5, v12
	v_bfe_u32 v22, v21, 16, 1
	v_or_b32_e32 v25, 0x400000, v21
	v_cmp_u_f32_e32 vcc_lo, v21, v21
	v_add_f32_e32 v4, v4, v5
	v_add3_u32 v22, v22, v21, 0x7fff
	v_cndmask_b32_e32 v21, v22, v25, vcc_lo
	buffer_load_dword v22, off, s[0:3], s32 offset:224 ; 4-byte Folded Reload
	v_and_b32_e32 v12, 0xffff0000, v21
	s_waitcnt vmcnt(0)
	v_lshlrev_b32_e32 v22, 16, v22
	v_mul_f32_e32 v22, v6, v22
	v_bfe_u32 v25, v22, 16, 1
	v_or_b32_e32 v27, 0x400000, v22
	v_cmp_u_f32_e32 vcc_lo, v22, v22
	v_add3_u32 v25, v25, v22, 0x7fff
	v_cndmask_b32_e32 v22, v25, v27, vcc_lo
	v_lshlrev_b32_e32 v25, 16, v96
	v_and_b32_e32 v5, 0xffff0000, v22
	v_mul_f32_e32 v25, v0, v25
	v_add_f32_e32 v5, v5, v12
	v_bfe_u32 v27, v25, 16, 1
	v_or_b32_e32 v34, 0x400000, v25
	v_cmp_u_f32_e32 vcc_lo, v25, v25
	v_add_f32_e32 v4, v4, v5
	v_add3_u32 v27, v27, v25, 0x7fff
	v_cndmask_b32_e32 v25, v27, v34, vcc_lo
	buffer_load_dword v27, off, s[0:3], s32 offset:228 ; 4-byte Folded Reload
	v_and_b32_e32 v12, 0xffff0000, v25
	s_waitcnt vmcnt(0)
	v_lshlrev_b32_e32 v27, 16, v27
	v_mul_f32_e32 v27, v2, v27
	v_bfe_u32 v34, v27, 16, 1
	v_or_b32_e32 v35, 0x400000, v27
	v_cmp_u_f32_e32 vcc_lo, v27, v27
	v_add3_u32 v34, v34, v27, 0x7fff
	v_cndmask_b32_e32 v27, v34, v35, vcc_lo
	v_and_b32_e32 v5, 0xffff0000, v27
	v_add_f32_e32 v5, v5, v12
	v_add_f32_e32 v4, v4, v5
	;; [unrolled: 1-line block ×3, first 2 shown]
	buffer_load_dword v4, off, s[0:3], s32 offset:220 ; 4-byte Folded Reload
	s_waitcnt vmcnt(0)
	v_lshlrev_b32_e32 v4, 16, v4
	v_mul_f32_e32 v4, v8, v4
	v_bfe_u32 v5, v4, 16, 1
	v_or_b32_e32 v12, 0x400000, v4
	v_cmp_u_f32_e32 vcc_lo, v4, v4
	v_add3_u32 v5, v5, v4, 0x7fff
	v_cndmask_b32_e32 v4, v5, v12, vcc_lo
	buffer_load_dword v5, off, s[0:3], s32 offset:216 ; 4-byte Folded Reload
	v_and_b32_e32 v4, 0xffff0000, v4
	s_waitcnt vmcnt(0)
	v_lshlrev_b32_e32 v5, 16, v5
	v_mul_f32_e32 v5, v9, v5
	v_bfe_u32 v12, v5, 16, 1
	v_or_b32_e32 v13, 0x400000, v5
	v_cmp_u_f32_e32 vcc_lo, v5, v5
	v_add3_u32 v12, v12, v5, 0x7fff
	v_cndmask_b32_e32 v5, v12, v13, vcc_lo
	buffer_load_dword v12, off, s[0:3], s32 offset:208 ; 4-byte Folded Reload
	v_and_b32_e32 v5, 0xffff0000, v5
	v_add_f32_e32 v4, v5, v4
	s_waitcnt vmcnt(0)
	v_lshlrev_b32_e32 v12, 16, v12
	v_mul_f32_e32 v12, v3, v12
	v_bfe_u32 v13, v12, 16, 1
	v_or_b32_e32 v21, 0x400000, v12
	v_cmp_u_f32_e32 vcc_lo, v12, v12
	v_add3_u32 v13, v13, v12, 0x7fff
	v_cndmask_b32_e32 v12, v13, v21, vcc_lo
	buffer_load_dword v13, off, s[0:3], s32 offset:212 ; 4-byte Folded Reload
	v_and_b32_e32 v12, 0xffff0000, v12
	s_waitcnt vmcnt(0)
	v_lshlrev_b32_e32 v13, 16, v13
	v_mul_f32_e32 v13, v7, v13
	v_bfe_u32 v21, v13, 16, 1
	v_or_b32_e32 v22, 0x400000, v13
	v_cmp_u_f32_e32 vcc_lo, v13, v13
	v_add3_u32 v21, v21, v13, 0x7fff
	v_cndmask_b32_e32 v13, v21, v22, vcc_lo
	buffer_load_dword v21, off, s[0:3], s32 offset:204 ; 4-byte Folded Reload
	v_and_b32_e32 v5, 0xffff0000, v13
	v_add_f32_e32 v5, v5, v12
	v_add_f32_e32 v4, v4, v5
	s_waitcnt vmcnt(0)
	v_lshlrev_b32_e32 v21, 16, v21
	v_mul_f32_e32 v21, v1, v21
	v_bfe_u32 v22, v21, 16, 1
	v_or_b32_e32 v25, 0x400000, v21
	v_cmp_u_f32_e32 vcc_lo, v21, v21
	v_add3_u32 v22, v22, v21, 0x7fff
	v_cndmask_b32_e32 v21, v22, v25, vcc_lo
	buffer_load_dword v22, off, s[0:3], s32 offset:196 ; 4-byte Folded Reload
	v_and_b32_e32 v12, 0xffff0000, v21
	s_waitcnt vmcnt(0)
	v_lshlrev_b32_e32 v22, 16, v22
	v_mul_f32_e32 v22, v6, v22
	v_bfe_u32 v25, v22, 16, 1
	v_or_b32_e32 v27, 0x400000, v22
	v_cmp_u_f32_e32 vcc_lo, v22, v22
	v_add3_u32 v25, v25, v22, 0x7fff
	v_cndmask_b32_e32 v22, v25, v27, vcc_lo
	buffer_load_dword v25, off, s[0:3], s32 offset:200 ; 4-byte Folded Reload
	v_and_b32_e32 v5, 0xffff0000, v22
	v_add_f32_e32 v5, v5, v12
	v_add_f32_e32 v4, v4, v5
	s_waitcnt vmcnt(0)
	v_lshlrev_b32_e32 v25, 16, v25
	v_mul_f32_e32 v25, v0, v25
	v_bfe_u32 v27, v25, 16, 1
	v_or_b32_e32 v34, 0x400000, v25
	v_cmp_u_f32_e32 vcc_lo, v25, v25
	v_add3_u32 v27, v27, v25, 0x7fff
	v_cndmask_b32_e32 v25, v27, v34, vcc_lo
	buffer_load_dword v27, off, s[0:3], s32 offset:192 ; 4-byte Folded Reload
	v_and_b32_e32 v12, 0xffff0000, v25
	s_waitcnt vmcnt(0)
	v_lshlrev_b32_e32 v27, 16, v27
	v_mul_f32_e32 v27, v2, v27
	v_bfe_u32 v34, v27, 16, 1
	v_or_b32_e32 v35, 0x400000, v27
	v_cmp_u_f32_e32 vcc_lo, v27, v27
	v_add3_u32 v34, v34, v27, 0x7fff
	v_cndmask_b32_e32 v27, v34, v35, vcc_lo
	v_and_b32_e32 v5, 0xffff0000, v27
	v_add_f32_e32 v5, v5, v12
	v_add_f32_e32 v4, v4, v5
	;; [unrolled: 1-line block ×3, first 2 shown]
	v_lshlrev_b32_e32 v4, 16, v124
	v_mul_f32_e32 v4, v9, v4
	v_bfe_u32 v5, v4, 16, 1
	v_or_b32_e32 v9, 0x400000, v4
	v_cmp_u_f32_e32 vcc_lo, v4, v4
	v_add3_u32 v5, v5, v4, 0x7fff
	v_cndmask_b32_e32 v4, v5, v9, vcc_lo
	v_lshlrev_b32_e32 v5, 16, v24
	v_and_b32_e32 v4, 0xffff0000, v4
	v_mul_f32_e32 v5, v8, v5
	v_bfe_u32 v8, v5, 16, 1
	v_or_b32_e32 v9, 0x400000, v5
	v_cmp_u_f32_e32 vcc_lo, v5, v5
	v_add3_u32 v8, v8, v5, 0x7fff
	v_cndmask_b32_e32 v5, v8, v9, vcc_lo
	v_lshlrev_b32_e32 v8, 16, v20
	v_and_b32_e32 v5, 0xffff0000, v5
	v_mul_f32_e32 v7, v7, v8
	v_add_f32_e32 v4, v4, v5
	v_bfe_u32 v8, v7, 16, 1
	v_or_b32_e32 v9, 0x400000, v7
	v_cmp_u_f32_e32 vcc_lo, v7, v7
	v_add3_u32 v8, v8, v7, 0x7fff
	v_cndmask_b32_e32 v7, v8, v9, vcc_lo
	v_lshlrev_b32_e32 v8, 16, v18
	v_and_b32_e32 v5, 0xffff0000, v7
	v_mul_f32_e32 v3, v3, v8
	v_bfe_u32 v8, v3, 16, 1
	v_or_b32_e32 v9, 0x400000, v3
	v_cmp_u_f32_e32 vcc_lo, v3, v3
	v_add3_u32 v8, v8, v3, 0x7fff
	v_cndmask_b32_e32 v3, v8, v9, vcc_lo
	v_lshlrev_b32_e32 v8, 16, v17
	v_and_b32_e32 v3, 0xffff0000, v3
	v_mul_f32_e32 v6, v6, v8
	v_add_f32_e32 v3, v5, v3
	v_bfe_u32 v8, v6, 16, 1
	v_or_b32_e32 v9, 0x400000, v6
	v_cmp_u_f32_e32 vcc_lo, v6, v6
	v_add_f32_e32 v3, v4, v3
	v_add3_u32 v8, v8, v6, 0x7fff
	v_cndmask_b32_e32 v6, v8, v9, vcc_lo
	v_lshlrev_b32_e32 v8, 16, v10
	v_and_b32_e32 v4, 0xffff0000, v6
	v_mul_f32_e32 v1, v1, v8
	v_bfe_u32 v8, v1, 16, 1
	v_or_b32_e32 v9, 0x400000, v1
	v_cmp_u_f32_e32 vcc_lo, v1, v1
	v_add3_u32 v8, v8, v1, 0x7fff
	v_cndmask_b32_e32 v1, v8, v9, vcc_lo
	v_lshlrev_b32_e32 v8, 16, v19
	v_and_b32_e32 v1, 0xffff0000, v1
	v_mul_f32_e32 v2, v2, v8
	v_add_f32_e32 v1, v4, v1
	v_bfe_u32 v8, v2, 16, 1
	v_or_b32_e32 v9, 0x400000, v2
	v_cmp_u_f32_e32 vcc_lo, v2, v2
	v_add_f32_e32 v1, v3, v1
	v_add3_u32 v8, v8, v2, 0x7fff
	v_cndmask_b32_e32 v2, v8, v9, vcc_lo
	v_lshlrev_b32_e32 v8, 16, v23
	v_and_b32_e32 v2, 0xffff0000, v2
	v_mul_f32_e32 v0, v0, v8
	v_bfe_u32 v8, v0, 16, 1
	v_or_b32_e32 v9, 0x400000, v0
	v_cmp_u_f32_e32 vcc_lo, v0, v0
	v_add3_u32 v8, v8, v0, 0x7fff
	v_cndmask_b32_e32 v0, v8, v9, vcc_lo
	v_add_co_u32 v14, vcc_lo, v14, 16
	v_add_co_ci_u32_e64 v15, null, 0, v15, vcc_lo
	v_and_b32_e32 v0, 0xffff0000, v0
	v_add_f32_e32 v0, v2, v0
	v_add_f32_e32 v0, v1, v0
	;; [unrolled: 1-line block ×3, first 2 shown]
	buffer_load_dword v0, off, s[0:3], s32 offset:236 ; 4-byte Folded Reload
	s_waitcnt vmcnt(0)
	v_cmp_ge_i32_e32 vcc_lo, v16, v0
	s_or_b32 s11, vcc_lo, s11
	s_andn2_b32 exec_lo, exec_lo, s11
	s_cbranch_execz .LBB367_1595
.LBB367_803:                            ; =>This Inner Loop Header: Depth=1
	flat_load_dword v0, v[14:15]
	s_clause 0x2
	buffer_load_dword v1, off, s[0:3], s32 offset:232
	buffer_load_dword v2, off, s[0:3], s32 offset:244
	;; [unrolled: 1-line block ×3, first 2 shown]
	v_mov_b32_e32 v4, 0
	s_waitcnt vmcnt(0) lgkmcnt(0)
	v_mad_i64_i32 v[17:18], null, v0, v1, v[2:3]
	flat_load_dwordx2 v[19:20], v[17:18]
	ds_read2_b64 v[6:9], v55 offset1:1
	ds_read2_b64 v[0:3], v55 offset0:2 offset1:3
	s_waitcnt vmcnt(0) lgkmcnt(2)
	v_cmp_ne_u16_sdwa s12, v19, v11 src0_sel:BYTE_0 src1_sel:DWORD
	s_and_saveexec_b32 s4, s12
	s_cbranch_execz .LBB367_811
; %bb.804:                              ;   in Loop: Header=BB367_803 Depth=1
	v_cmp_ne_u16_sdwa s13, v19, v64 src0_sel:BYTE_0 src1_sel:DWORD
	v_bfrev_b32_e32 v4, 1
	s_and_saveexec_b32 s12, s13
	s_cbranch_execz .LBB367_810
; %bb.805:                              ;   in Loop: Header=BB367_803 Depth=1
	v_and_b32_e32 v5, 0x7f, v19
	v_mov_b32_e32 v4, 0x7f800001
	s_mov_b32 s13, exec_lo
	v_cmpx_ne_u32_e32 0x7f, v5
	s_cbranch_execz .LBB367_809
; %bb.806:                              ;   in Loop: Header=BB367_803 Depth=1
	v_mov_b32_e32 v24, v20
	v_lshrrev_b32_e32 v4, 3, v5
	v_mov_b32_e32 v23, v19
	s_mov_b32 s15, exec_lo
	v_cmpx_gt_u32_e32 8, v5
; %bb.807:                              ;   in Loop: Header=BB367_803 Depth=1
	v_and_b32_e32 v4, 7, v19
	v_ffbh_u32_e32 v4, v4
	v_min_u32_e32 v4, 32, v4
	v_subrev_nc_u32_e32 v5, 28, v4
	v_sub_nc_u32_e32 v4, 29, v4
	v_lshlrev_b64 v[23:24], v5, v[19:20]
; %bb.808:                              ;   in Loop: Header=BB367_803 Depth=1
	s_or_b32 exec_lo, exec_lo, s15
	v_lshlrev_b32_e32 v5, 20, v23
	v_lshlrev_b32_e32 v10, 24, v19
	v_lshl_add_u32 v4, v4, 23, 0x3c000000
	v_and_b32_e32 v5, 0x700000, v5
	v_and_b32_e32 v10, 0x80000000, v10
	v_or3_b32 v4, v5, v10, v4
.LBB367_809:                            ;   in Loop: Header=BB367_803 Depth=1
	s_or_b32 exec_lo, exec_lo, s13
.LBB367_810:                            ;   in Loop: Header=BB367_803 Depth=1
	s_or_b32 exec_lo, exec_lo, s12
.LBB367_811:                            ;   in Loop: Header=BB367_803 Depth=1
	s_or_b32 exec_lo, exec_lo, s4
	v_cmp_ne_u16_sdwa s12, v19, v11 src0_sel:BYTE_1 src1_sel:DWORD
	v_mov_b32_e32 v12, 0
	v_mov_b32_e32 v5, 0
	s_and_saveexec_b32 s4, s12
	s_cbranch_execz .LBB367_819
; %bb.812:                              ;   in Loop: Header=BB367_803 Depth=1
	v_cmp_ne_u16_sdwa s13, v19, v64 src0_sel:BYTE_1 src1_sel:DWORD
	v_bfrev_b32_e32 v5, 1
	s_and_saveexec_b32 s12, s13
	s_cbranch_execz .LBB367_818
; %bb.813:                              ;   in Loop: Header=BB367_803 Depth=1
	v_mov_b32_e32 v5, 0xffff
	s_mov_b32 s13, exec_lo
	v_and_b32_sdwa v10, v5, v19 dst_sel:DWORD dst_unused:UNUSED_PAD src0_sel:DWORD src1_sel:BYTE_1
	v_mov_b32_e32 v5, 0x7f800001
	v_and_b32_e32 v13, 0x7f, v10
	v_cmpx_ne_u32_e32 0x7f, v13
	s_cbranch_execz .LBB367_817
; %bb.814:                              ;   in Loop: Header=BB367_803 Depth=1
	v_and_b32_e32 v10, 7, v10
	v_lshrrev_b32_e32 v5, 3, v13
	s_mov_b32 s15, exec_lo
	v_cmpx_gt_u32_e32 8, v13
; %bb.815:                              ;   in Loop: Header=BB367_803 Depth=1
	v_ffbh_u32_e32 v5, v10
	v_min_u32_e32 v5, 32, v5
	v_subrev_nc_u32_e32 v13, 28, v5
	v_sub_nc_u32_e32 v5, 29, v5
	v_lshlrev_b64 v[21:22], v13, v[10:11]
	v_and_b32_e32 v10, 7, v21
; %bb.816:                              ;   in Loop: Header=BB367_803 Depth=1
	s_or_b32 exec_lo, exec_lo, s15
	v_lshlrev_b32_e32 v13, 16, v19
	v_lshlrev_b32_e32 v10, 20, v10
	v_lshl_add_u32 v5, v5, 23, 0x3c000000
	v_and_b32_e32 v13, 0x80000000, v13
	v_or3_b32 v5, v10, v13, v5
.LBB367_817:                            ;   in Loop: Header=BB367_803 Depth=1
	s_or_b32 exec_lo, exec_lo, s13
.LBB367_818:                            ;   in Loop: Header=BB367_803 Depth=1
	s_or_b32 exec_lo, exec_lo, s12
.LBB367_819:                            ;   in Loop: Header=BB367_803 Depth=1
	s_or_b32 exec_lo, exec_lo, s4
	v_and_b32_sdwa v10, v19, v66 dst_sel:DWORD dst_unused:UNUSED_PAD src0_sel:WORD_1 src1_sel:DWORD
	s_mov_b32 s4, exec_lo
	v_cmpx_ne_u16_e32 0, v10
	s_cbranch_execz .LBB367_827
; %bb.820:                              ;   in Loop: Header=BB367_803 Depth=1
	v_bfrev_b32_e32 v12, 1
	s_mov_b32 s12, exec_lo
	v_cmpx_ne_u16_e32 0x80, v10
	s_cbranch_execz .LBB367_826
; %bb.821:                              ;   in Loop: Header=BB367_803 Depth=1
	v_bfe_u32 v13, v19, 16, 7
	v_mov_b32_e32 v12, 0x7f800001
	s_mov_b32 s13, exec_lo
	v_cmpx_ne_u32_e32 0x7f, v13
	s_cbranch_execz .LBB367_825
; %bb.822:                              ;   in Loop: Header=BB367_803 Depth=1
	v_mov_b32_e32 v10, 7
	v_lshrrev_b32_e32 v12, 3, v13
	s_mov_b32 s15, exec_lo
	v_and_b32_sdwa v10, v19, v10 dst_sel:DWORD dst_unused:UNUSED_PAD src0_sel:WORD_1 src1_sel:DWORD
	v_cmpx_gt_u32_e32 8, v13
; %bb.823:                              ;   in Loop: Header=BB367_803 Depth=1
	v_ffbh_u32_e32 v12, v10
	v_min_u32_e32 v12, 32, v12
	v_subrev_nc_u32_e32 v13, 28, v12
	v_sub_nc_u32_e32 v12, 29, v12
	v_lshlrev_b64 v[21:22], v13, v[10:11]
	v_and_b32_e32 v10, 7, v21
; %bb.824:                              ;   in Loop: Header=BB367_803 Depth=1
	s_or_b32 exec_lo, exec_lo, s15
	v_mov_b32_e32 v13, 24
	v_lshlrev_b32_e32 v10, 20, v10
	v_lshl_add_u32 v12, v12, 23, 0x3c000000
	v_lshlrev_b32_sdwa v13, v13, v19 dst_sel:DWORD dst_unused:UNUSED_PAD src0_sel:DWORD src1_sel:WORD_1
	v_and_b32_e32 v13, 0x80000000, v13
	v_or3_b32 v12, v10, v13, v12
.LBB367_825:                            ;   in Loop: Header=BB367_803 Depth=1
	s_or_b32 exec_lo, exec_lo, s13
.LBB367_826:                            ;   in Loop: Header=BB367_803 Depth=1
	s_or_b32 exec_lo, exec_lo, s12
.LBB367_827:                            ;   in Loop: Header=BB367_803 Depth=1
	s_or_b32 exec_lo, exec_lo, s4
	v_mov_b32_e32 v21, 0
	v_mov_b32_e32 v13, 0
	s_mov_b32 s4, exec_lo
	v_cmpx_lt_u32_e32 0xffffff, v19
	s_cbranch_execz .LBB367_835
; %bb.828:                              ;   in Loop: Header=BB367_803 Depth=1
	v_cmp_ne_u32_sdwa s13, v19, v64 src0_sel:BYTE_3 src1_sel:DWORD
	v_bfrev_b32_e32 v13, 1
	s_and_saveexec_b32 s12, s13
	s_cbranch_execz .LBB367_834
; %bb.829:                              ;   in Loop: Header=BB367_803 Depth=1
	v_bfe_u32 v22, v19, 24, 7
	v_mov_b32_e32 v13, 0x7f800001
	s_mov_b32 s13, exec_lo
	v_cmpx_ne_u32_e32 0x7f, v22
	s_cbranch_execz .LBB367_833
; %bb.830:                              ;   in Loop: Header=BB367_803 Depth=1
	v_mov_b32_e32 v10, 7
	v_lshrrev_b32_e32 v13, 3, v22
	s_mov_b32 s15, exec_lo
	v_and_b32_sdwa v10, v19, v10 dst_sel:DWORD dst_unused:UNUSED_PAD src0_sel:BYTE_3 src1_sel:DWORD
	v_cmpx_gt_u32_e32 8, v22
; %bb.831:                              ;   in Loop: Header=BB367_803 Depth=1
	v_ffbh_u32_e32 v13, v10
	v_min_u32_e32 v13, 32, v13
	v_subrev_nc_u32_e32 v22, 28, v13
	v_sub_nc_u32_e32 v13, 29, v13
	v_lshlrev_b64 v[22:23], v22, v[10:11]
	v_and_b32_e32 v10, 7, v22
; %bb.832:                              ;   in Loop: Header=BB367_803 Depth=1
	s_or_b32 exec_lo, exec_lo, s15
	v_mov_b32_e32 v22, 24
	v_lshlrev_b32_e32 v10, 20, v10
	v_lshl_add_u32 v13, v13, 23, 0x3c000000
	v_lshlrev_b32_sdwa v22, v22, v19 dst_sel:DWORD dst_unused:UNUSED_PAD src0_sel:DWORD src1_sel:BYTE_3
	v_and_b32_e32 v22, 0x80000000, v22
	v_or3_b32 v13, v10, v22, v13
.LBB367_833:                            ;   in Loop: Header=BB367_803 Depth=1
	s_or_b32 exec_lo, exec_lo, s13
.LBB367_834:                            ;   in Loop: Header=BB367_803 Depth=1
	s_or_b32 exec_lo, exec_lo, s12
.LBB367_835:                            ;   in Loop: Header=BB367_803 Depth=1
	s_or_b32 exec_lo, exec_lo, s4
	v_mov_b32_e32 v10, v20
	v_cmp_ne_u16_sdwa s12, v20, v11 src0_sel:BYTE_0 src1_sel:DWORD
	s_and_saveexec_b32 s4, s12
	s_cbranch_execz .LBB367_843
; %bb.836:                              ;   in Loop: Header=BB367_803 Depth=1
	v_cmp_ne_u16_sdwa s13, v20, v64 src0_sel:BYTE_0 src1_sel:DWORD
	v_bfrev_b32_e32 v21, 1
	s_and_saveexec_b32 s12, s13
	s_cbranch_execz .LBB367_842
; %bb.837:                              ;   in Loop: Header=BB367_803 Depth=1
	v_and_b32_e32 v22, 0x7f, v20
	v_mov_b32_e32 v21, 0x7f800001
	s_mov_b32 s13, exec_lo
	v_cmpx_ne_u32_e32 0x7f, v22
	s_cbranch_execz .LBB367_841
; %bb.838:                              ;   in Loop: Header=BB367_803 Depth=1
	v_mov_b32_e32 v24, v11
	v_lshrrev_b32_e32 v21, 3, v22
	v_mov_b32_e32 v23, v10
	s_mov_b32 s15, exec_lo
	v_cmpx_gt_u32_e32 8, v22
; %bb.839:                              ;   in Loop: Header=BB367_803 Depth=1
	v_and_b32_e32 v21, 7, v20
	v_ffbh_u32_e32 v21, v21
	v_min_u32_e32 v21, 32, v21
	v_subrev_nc_u32_e32 v22, 28, v21
	v_sub_nc_u32_e32 v21, 29, v21
	v_lshlrev_b64 v[23:24], v22, v[10:11]
; %bb.840:                              ;   in Loop: Header=BB367_803 Depth=1
	s_or_b32 exec_lo, exec_lo, s15
	v_lshlrev_b32_e32 v22, 20, v23
	v_lshlrev_b32_e32 v23, 24, v10
	v_lshl_add_u32 v21, v21, 23, 0x3c000000
	v_and_b32_e32 v22, 0x700000, v22
	v_and_b32_e32 v23, 0x80000000, v23
	v_or3_b32 v21, v22, v23, v21
.LBB367_841:                            ;   in Loop: Header=BB367_803 Depth=1
	s_or_b32 exec_lo, exec_lo, s13
.LBB367_842:                            ;   in Loop: Header=BB367_803 Depth=1
	s_or_b32 exec_lo, exec_lo, s12
.LBB367_843:                            ;   in Loop: Header=BB367_803 Depth=1
	s_or_b32 exec_lo, exec_lo, s4
	v_cmp_ne_u16_sdwa s12, v10, v11 src0_sel:BYTE_1 src1_sel:DWORD
	v_mov_b32_e32 v22, 0
	v_mov_b32_e32 v23, 0
	s_and_saveexec_b32 s4, s12
	s_cbranch_execz .LBB367_851
; %bb.844:                              ;   in Loop: Header=BB367_803 Depth=1
	v_cmp_ne_u16_sdwa s13, v10, v64 src0_sel:BYTE_1 src1_sel:DWORD
	v_bfrev_b32_e32 v23, 1
	s_and_saveexec_b32 s12, s13
	s_cbranch_execz .LBB367_850
; %bb.845:                              ;   in Loop: Header=BB367_803 Depth=1
	v_mov_b32_e32 v23, 0xffff
	s_mov_b32 s13, exec_lo
	v_and_b32_sdwa v24, v23, v10 dst_sel:DWORD dst_unused:UNUSED_PAD src0_sel:DWORD src1_sel:BYTE_1
	v_mov_b32_e32 v23, 0x7f800001
	v_and_b32_e32 v27, 0x7f, v24
	v_cmpx_ne_u32_e32 0x7f, v27
	s_cbranch_execz .LBB367_849
; %bb.846:                              ;   in Loop: Header=BB367_803 Depth=1
	v_and_b32_e32 v23, 7, v24
	v_mov_b32_e32 v24, v11
	v_lshrrev_b32_e32 v25, 3, v27
	s_mov_b32 s15, exec_lo
	v_cmpx_gt_u32_e32 8, v27
; %bb.847:                              ;   in Loop: Header=BB367_803 Depth=1
	v_ffbh_u32_e32 v25, v23
	v_min_u32_e32 v25, 32, v25
	v_subrev_nc_u32_e32 v27, 28, v25
	v_sub_nc_u32_e32 v25, 29, v25
	v_lshlrev_b64 v[23:24], v27, v[23:24]
	v_and_b32_e32 v23, 7, v23
; %bb.848:                              ;   in Loop: Header=BB367_803 Depth=1
	s_or_b32 exec_lo, exec_lo, s15
	v_lshlrev_b32_e32 v10, 16, v10
	v_lshlrev_b32_e32 v23, 20, v23
	v_lshl_add_u32 v24, v25, 23, 0x3c000000
	v_and_b32_e32 v10, 0x80000000, v10
	v_or3_b32 v23, v23, v10, v24
.LBB367_849:                            ;   in Loop: Header=BB367_803 Depth=1
	s_or_b32 exec_lo, exec_lo, s13
.LBB367_850:                            ;   in Loop: Header=BB367_803 Depth=1
	s_or_b32 exec_lo, exec_lo, s12
.LBB367_851:                            ;   in Loop: Header=BB367_803 Depth=1
	s_or_b32 exec_lo, exec_lo, s4
	v_and_b32_sdwa v10, v20, v66 dst_sel:DWORD dst_unused:UNUSED_PAD src0_sel:WORD_1 src1_sel:DWORD
	s_mov_b32 s4, exec_lo
	v_cmpx_ne_u16_e32 0, v10
	s_cbranch_execz .LBB367_859
; %bb.852:                              ;   in Loop: Header=BB367_803 Depth=1
	v_bfrev_b32_e32 v22, 1
	s_mov_b32 s12, exec_lo
	v_cmpx_ne_u16_e32 0x80, v10
	s_cbranch_execz .LBB367_858
; %bb.853:                              ;   in Loop: Header=BB367_803 Depth=1
	v_bfe_u32 v24, v20, 16, 7
	v_mov_b32_e32 v22, 0x7f800001
	s_mov_b32 s13, exec_lo
	v_cmpx_ne_u32_e32 0x7f, v24
	s_cbranch_execz .LBB367_857
; %bb.854:                              ;   in Loop: Header=BB367_803 Depth=1
	v_mov_b32_e32 v10, 7
	v_lshrrev_b32_e32 v22, 3, v24
	s_mov_b32 s15, exec_lo
	v_and_b32_sdwa v10, v20, v10 dst_sel:DWORD dst_unused:UNUSED_PAD src0_sel:WORD_1 src1_sel:DWORD
	v_cmpx_gt_u32_e32 8, v24
; %bb.855:                              ;   in Loop: Header=BB367_803 Depth=1
	v_ffbh_u32_e32 v22, v10
	v_min_u32_e32 v22, 32, v22
	v_subrev_nc_u32_e32 v24, 28, v22
	v_sub_nc_u32_e32 v22, 29, v22
	v_lshlrev_b64 v[24:25], v24, v[10:11]
	v_and_b32_e32 v10, 7, v24
; %bb.856:                              ;   in Loop: Header=BB367_803 Depth=1
	s_or_b32 exec_lo, exec_lo, s15
	v_mov_b32_e32 v24, 24
	v_lshlrev_b32_e32 v10, 20, v10
	v_lshl_add_u32 v22, v22, 23, 0x3c000000
	v_lshlrev_b32_sdwa v24, v24, v20 dst_sel:DWORD dst_unused:UNUSED_PAD src0_sel:DWORD src1_sel:WORD_1
	v_and_b32_e32 v24, 0x80000000, v24
	v_or3_b32 v22, v10, v24, v22
.LBB367_857:                            ;   in Loop: Header=BB367_803 Depth=1
	s_or_b32 exec_lo, exec_lo, s13
.LBB367_858:                            ;   in Loop: Header=BB367_803 Depth=1
	s_or_b32 exec_lo, exec_lo, s12
.LBB367_859:                            ;   in Loop: Header=BB367_803 Depth=1
	s_or_b32 exec_lo, exec_lo, s4
	v_mov_b32_e32 v10, 0
	s_mov_b32 s4, exec_lo
	v_cmpx_lt_u64_e64 s[8:9], v[19:20]
	s_cbranch_execz .LBB367_867
; %bb.860:                              ;   in Loop: Header=BB367_803 Depth=1
	v_cmp_ne_u32_sdwa s13, v20, v64 src0_sel:BYTE_3 src1_sel:DWORD
	v_bfrev_b32_e32 v10, 1
	s_and_saveexec_b32 s12, s13
	s_cbranch_execz .LBB367_866
; %bb.861:                              ;   in Loop: Header=BB367_803 Depth=1
	v_bfe_u32 v24, v20, 24, 7
	v_mov_b32_e32 v10, 0x7f800001
	s_mov_b32 s13, exec_lo
	v_cmpx_ne_u32_e32 0x7f, v24
	s_cbranch_execz .LBB367_865
; %bb.862:                              ;   in Loop: Header=BB367_803 Depth=1
	v_mov_b32_e32 v10, 7
	v_lshrrev_b32_e32 v19, 3, v24
	s_mov_b32 s15, exec_lo
	v_and_b32_sdwa v10, v20, v10 dst_sel:DWORD dst_unused:UNUSED_PAD src0_sel:BYTE_3 src1_sel:DWORD
	v_cmpx_gt_u32_e32 8, v24
; %bb.863:                              ;   in Loop: Header=BB367_803 Depth=1
	v_ffbh_u32_e32 v19, v10
	v_min_u32_e32 v19, 32, v19
	v_subrev_nc_u32_e32 v24, 28, v19
	v_sub_nc_u32_e32 v19, 29, v19
	v_lshlrev_b64 v[24:25], v24, v[10:11]
	v_and_b32_e32 v10, 7, v24
; %bb.864:                              ;   in Loop: Header=BB367_803 Depth=1
	s_or_b32 exec_lo, exec_lo, s15
	v_mov_b32_e32 v24, 24
	v_lshlrev_b32_e32 v10, 20, v10
	v_lshl_add_u32 v19, v19, 23, 0x3c000000
	v_lshlrev_b32_sdwa v20, v24, v20 dst_sel:DWORD dst_unused:UNUSED_PAD src0_sel:DWORD src1_sel:BYTE_3
	v_and_b32_e32 v20, 0x80000000, v20
	v_or3_b32 v10, v10, v20, v19
.LBB367_865:                            ;   in Loop: Header=BB367_803 Depth=1
	s_or_b32 exec_lo, exec_lo, s13
.LBB367_866:                            ;   in Loop: Header=BB367_803 Depth=1
	s_or_b32 exec_lo, exec_lo, s12
.LBB367_867:                            ;   in Loop: Header=BB367_803 Depth=1
	s_or_b32 exec_lo, exec_lo, s4
	buffer_load_dword v20, off, s[0:3], s32 offset:240 ; 4-byte Folded Reload
	v_mul_f32_e32 v19, v26, v23
	v_mul_f32_e32 v13, v26, v13
	;; [unrolled: 1-line block ×5, first 2 shown]
	v_or_b32_e32 v23, 0x400000, v19
	v_cmp_u_f32_e64 s4, v19, v19
	v_bfe_u32 v27, v13, 16, 1
	v_or_b32_e32 v34, 0x400000, v13
	v_mul_f32_e32 v10, v26, v10
	v_add_nc_u32_e32 v117, -7, v54
	v_add_nc_u32_e32 v43, -6, v54
	;; [unrolled: 1-line block ×7, first 2 shown]
	s_waitcnt vmcnt(0)
	v_cmp_eq_u32_e32 vcc_lo, v20, v16
	v_mul_f32_e32 v20, v26, v21
	v_bfe_u32 v21, v19, 16, 1
	v_bfe_u32 v24, v20, 16, 1
	v_add3_u32 v21, v21, v19, 0x7fff
	v_or_b32_e32 v25, 0x400000, v20
	v_add3_u32 v24, v24, v20, 0x7fff
	v_cndmask_b32_e64 v19, v21, v23, s4
	v_cmp_u_f32_e64 s4, v20, v20
	v_add3_u32 v23, v27, v13, 0x7fff
	v_bfe_u32 v21, v12, 16, 1
	v_lshrrev_b32_e32 v19, 16, v19
	v_cndmask_b32_e64 v20, v24, v25, s4
	v_cmp_u_f32_e64 s4, v13, v13
	v_or_b32_e32 v24, 0x400000, v10
	buffer_store_dword v19, off, s[0:3], s32 offset:204 ; 4-byte Folded Spill
	v_add3_u32 v19, v21, v12, 0x7fff
	v_cndmask_b32_e64 v13, v23, v34, s4
	v_or_b32_e32 v21, 0x400000, v12
	v_lshrrev_b32_e32 v20, 16, v20
	v_cmp_u_f32_e64 s4, v12, v12
	v_lshrrev_b32_e32 v13, 16, v13
	buffer_store_dword v20, off, s[0:3], s32 offset:196 ; 4-byte Folded Spill
	v_cndmask_b32_e64 v12, v19, v21, s4
	v_mul_f32_e32 v19, v26, v22
	buffer_store_dword v13, off, s[0:3], s32 offset:208 ; 4-byte Folded Spill
	v_bfe_u32 v13, v5, 16, 1
	v_or_b32_e32 v20, 0x400000, v5
	v_bfe_u32 v21, v4, 16, 1
	v_cmp_u_f32_e64 s4, v5, v5
	v_bfe_u32 v22, v19, 16, 1
	v_add3_u32 v13, v13, v5, 0x7fff
	v_or_b32_e32 v23, 0x400000, v19
	v_lshrrev_b32_e32 v12, 16, v12
	v_add3_u32 v22, v22, v19, 0x7fff
	v_cndmask_b32_e64 v5, v13, v20, s4
	v_add3_u32 v20, v21, v4, 0x7fff
	v_or_b32_e32 v21, 0x400000, v4
	v_cmp_u_f32_e64 s4, v4, v4
	v_bfe_u32 v13, v10, 16, 1
	v_lshrrev_b32_e32 v5, 16, v5
	buffer_store_dword v12, off, s[0:3], s32 offset:212 ; 4-byte Folded Spill
	v_cndmask_b32_e64 v4, v20, v21, s4
	v_cmp_u_f32_e64 s4, v19, v19
	v_add3_u32 v13, v13, v10, 0x7fff
	buffer_store_dword v5, off, s[0:3], s32 offset:220 ; 4-byte Folded Spill
	v_lshrrev_b32_e32 v4, 16, v4
	v_cndmask_b32_e64 v19, v22, v23, s4
	v_cmp_u_f32_e64 s4, v10, v10
	buffer_store_dword v4, off, s[0:3], s32 offset:216 ; 4-byte Folded Spill
	v_lshrrev_b32_e32 v4, 16, v19
	v_cndmask_b32_e64 v10, v13, v24, s4
	buffer_store_dword v4, off, s[0:3], s32 offset:192 ; 4-byte Folded Spill
	v_lshrrev_b32_e32 v4, 16, v10
	buffer_store_dword v4, off, s[0:3], s32 offset:200 ; 4-byte Folded Spill
	s_and_saveexec_b32 s12, vcc_lo
	s_cbranch_execz .LBB367_869
; %bb.868:                              ;   in Loop: Header=BB367_803 Depth=1
	buffer_load_dword v4, off, s[0:3], s32 offset:216 ; 4-byte Folded Reload
	v_cmp_lt_i32_e64 s4, v117, v37
	s_waitcnt vmcnt(0)
	v_cndmask_b32_e64 v4, 0, v4, s4
	v_cmp_lt_i32_e64 s4, v43, v37
	buffer_store_dword v4, off, s[0:3], s32 offset:216 ; 4-byte Folded Spill
	buffer_load_dword v4, off, s[0:3], s32 offset:220 ; 4-byte Folded Reload
	s_waitcnt vmcnt(0)
	v_cndmask_b32_e64 v4, 0, v4, s4
	v_cmp_lt_i32_e64 s4, v42, v37
	buffer_store_dword v4, off, s[0:3], s32 offset:220 ; 4-byte Folded Spill
	buffer_load_dword v4, off, s[0:3], s32 offset:212 ; 4-byte Folded Reload
	;; [unrolled: 5-line block ×7, first 2 shown]
	s_waitcnt vmcnt(0)
	v_cndmask_b32_e64 v4, 0, v4, s4
	buffer_store_dword v4, off, s[0:3], s32 offset:200 ; 4-byte Folded Spill
.LBB367_869:                            ;   in Loop: Header=BB367_803 Depth=1
	s_or_b32 exec_lo, exec_lo, s12
	flat_load_dwordx2 v[19:20], v[17:18] offset:256
	v_mov_b32_e32 v5, 0
	v_mov_b32_e32 v4, 0
	s_waitcnt vmcnt(0) lgkmcnt(0)
	v_cmp_ne_u16_sdwa s4, v19, v11 src0_sel:BYTE_0 src1_sel:DWORD
	s_and_saveexec_b32 s12, s4
	s_cbranch_execz .LBB367_877
; %bb.870:                              ;   in Loop: Header=BB367_803 Depth=1
	v_cmp_ne_u16_sdwa s4, v19, v64 src0_sel:BYTE_0 src1_sel:DWORD
	v_bfrev_b32_e32 v4, 1
	s_and_saveexec_b32 s13, s4
	s_cbranch_execz .LBB367_876
; %bb.871:                              ;   in Loop: Header=BB367_803 Depth=1
	v_and_b32_e32 v10, 0x7f, v19
	v_mov_b32_e32 v4, 0x7f800001
	s_mov_b32 s15, exec_lo
	v_cmpx_ne_u32_e32 0x7f, v10
	s_cbranch_execz .LBB367_875
; %bb.872:                              ;   in Loop: Header=BB367_803 Depth=1
	v_mov_b32_e32 v24, v20
	v_lshrrev_b32_e32 v4, 3, v10
	v_mov_b32_e32 v23, v19
	s_mov_b32 s18, exec_lo
	v_cmpx_gt_u32_e32 8, v10
; %bb.873:                              ;   in Loop: Header=BB367_803 Depth=1
	v_and_b32_e32 v4, 7, v19
	v_ffbh_u32_e32 v4, v4
	v_min_u32_e32 v4, 32, v4
	v_subrev_nc_u32_e32 v10, 28, v4
	v_sub_nc_u32_e32 v4, 29, v4
	v_lshlrev_b64 v[23:24], v10, v[19:20]
; %bb.874:                              ;   in Loop: Header=BB367_803 Depth=1
	s_or_b32 exec_lo, exec_lo, s18
	v_lshlrev_b32_e32 v10, 20, v23
	v_lshlrev_b32_e32 v12, 24, v19
	v_lshl_add_u32 v4, v4, 23, 0x3c000000
	v_and_b32_e32 v10, 0x700000, v10
	v_and_b32_e32 v12, 0x80000000, v12
	v_or3_b32 v4, v10, v12, v4
.LBB367_875:                            ;   in Loop: Header=BB367_803 Depth=1
	s_or_b32 exec_lo, exec_lo, s15
.LBB367_876:                            ;   in Loop: Header=BB367_803 Depth=1
	s_or_b32 exec_lo, exec_lo, s13
.LBB367_877:                            ;   in Loop: Header=BB367_803 Depth=1
	s_or_b32 exec_lo, exec_lo, s12
	v_cmp_ne_u16_sdwa s4, v19, v11 src0_sel:BYTE_1 src1_sel:DWORD
	s_and_saveexec_b32 s12, s4
	s_cbranch_execz .LBB367_885
; %bb.878:                              ;   in Loop: Header=BB367_803 Depth=1
	v_cmp_ne_u16_sdwa s4, v19, v64 src0_sel:BYTE_1 src1_sel:DWORD
	v_bfrev_b32_e32 v5, 1
	s_and_saveexec_b32 s13, s4
	s_cbranch_execz .LBB367_884
; %bb.879:                              ;   in Loop: Header=BB367_803 Depth=1
	v_mov_b32_e32 v5, 0xffff
	s_mov_b32 s15, exec_lo
	v_and_b32_sdwa v10, v5, v19 dst_sel:DWORD dst_unused:UNUSED_PAD src0_sel:DWORD src1_sel:BYTE_1
	v_mov_b32_e32 v5, 0x7f800001
	v_and_b32_e32 v12, 0x7f, v10
	v_cmpx_ne_u32_e32 0x7f, v12
	s_cbranch_execz .LBB367_883
; %bb.880:                              ;   in Loop: Header=BB367_803 Depth=1
	v_and_b32_e32 v10, 7, v10
	v_lshrrev_b32_e32 v5, 3, v12
	s_mov_b32 s18, exec_lo
	v_cmpx_gt_u32_e32 8, v12
; %bb.881:                              ;   in Loop: Header=BB367_803 Depth=1
	v_ffbh_u32_e32 v5, v10
	v_min_u32_e32 v5, 32, v5
	v_subrev_nc_u32_e32 v12, 28, v5
	v_sub_nc_u32_e32 v5, 29, v5
	v_lshlrev_b64 v[12:13], v12, v[10:11]
	v_and_b32_e32 v10, 7, v12
; %bb.882:                              ;   in Loop: Header=BB367_803 Depth=1
	s_or_b32 exec_lo, exec_lo, s18
	v_lshlrev_b32_e32 v12, 16, v19
	v_lshlrev_b32_e32 v10, 20, v10
	v_lshl_add_u32 v5, v5, 23, 0x3c000000
	v_and_b32_e32 v12, 0x80000000, v12
	v_or3_b32 v5, v10, v12, v5
.LBB367_883:                            ;   in Loop: Header=BB367_803 Depth=1
	s_or_b32 exec_lo, exec_lo, s15
.LBB367_884:                            ;   in Loop: Header=BB367_803 Depth=1
	s_or_b32 exec_lo, exec_lo, s13
.LBB367_885:                            ;   in Loop: Header=BB367_803 Depth=1
	s_or_b32 exec_lo, exec_lo, s12
	v_and_b32_sdwa v10, v19, v66 dst_sel:DWORD dst_unused:UNUSED_PAD src0_sel:WORD_1 src1_sel:DWORD
	v_mov_b32_e32 v13, 0
	v_mov_b32_e32 v12, 0
	s_mov_b32 s12, exec_lo
	v_cmpx_ne_u16_e32 0, v10
	s_cbranch_execz .LBB367_893
; %bb.886:                              ;   in Loop: Header=BB367_803 Depth=1
	v_bfrev_b32_e32 v12, 1
	s_mov_b32 s13, exec_lo
	v_cmpx_ne_u16_e32 0x80, v10
	s_cbranch_execz .LBB367_892
; %bb.887:                              ;   in Loop: Header=BB367_803 Depth=1
	v_bfe_u32 v21, v19, 16, 7
	v_mov_b32_e32 v12, 0x7f800001
	s_mov_b32 s15, exec_lo
	v_cmpx_ne_u32_e32 0x7f, v21
	s_cbranch_execz .LBB367_891
; %bb.888:                              ;   in Loop: Header=BB367_803 Depth=1
	v_mov_b32_e32 v10, 7
	v_lshrrev_b32_e32 v12, 3, v21
	s_mov_b32 s18, exec_lo
	v_and_b32_sdwa v10, v19, v10 dst_sel:DWORD dst_unused:UNUSED_PAD src0_sel:WORD_1 src1_sel:DWORD
	v_cmpx_gt_u32_e32 8, v21
; %bb.889:                              ;   in Loop: Header=BB367_803 Depth=1
	v_ffbh_u32_e32 v12, v10
	v_min_u32_e32 v12, 32, v12
	v_subrev_nc_u32_e32 v21, 28, v12
	v_sub_nc_u32_e32 v12, 29, v12
	v_lshlrev_b64 v[21:22], v21, v[10:11]
	v_and_b32_e32 v10, 7, v21
; %bb.890:                              ;   in Loop: Header=BB367_803 Depth=1
	s_or_b32 exec_lo, exec_lo, s18
	v_mov_b32_e32 v21, 24
	v_lshlrev_b32_e32 v10, 20, v10
	v_lshl_add_u32 v12, v12, 23, 0x3c000000
	v_lshlrev_b32_sdwa v21, v21, v19 dst_sel:DWORD dst_unused:UNUSED_PAD src0_sel:DWORD src1_sel:WORD_1
	v_and_b32_e32 v21, 0x80000000, v21
	v_or3_b32 v12, v10, v21, v12
.LBB367_891:                            ;   in Loop: Header=BB367_803 Depth=1
	s_or_b32 exec_lo, exec_lo, s15
.LBB367_892:                            ;   in Loop: Header=BB367_803 Depth=1
	s_or_b32 exec_lo, exec_lo, s13
.LBB367_893:                            ;   in Loop: Header=BB367_803 Depth=1
	s_or_b32 exec_lo, exec_lo, s12
	s_mov_b32 s12, exec_lo
	v_cmpx_lt_u32_e32 0xffffff, v19
	s_cbranch_execz .LBB367_901
; %bb.894:                              ;   in Loop: Header=BB367_803 Depth=1
	v_cmp_ne_u32_sdwa s4, v19, v64 src0_sel:BYTE_3 src1_sel:DWORD
	v_bfrev_b32_e32 v13, 1
	s_and_saveexec_b32 s13, s4
	s_cbranch_execz .LBB367_900
; %bb.895:                              ;   in Loop: Header=BB367_803 Depth=1
	v_bfe_u32 v21, v19, 24, 7
	v_mov_b32_e32 v13, 0x7f800001
	s_mov_b32 s15, exec_lo
	v_cmpx_ne_u32_e32 0x7f, v21
	s_cbranch_execz .LBB367_899
; %bb.896:                              ;   in Loop: Header=BB367_803 Depth=1
	v_mov_b32_e32 v10, 7
	v_lshrrev_b32_e32 v13, 3, v21
	s_mov_b32 s18, exec_lo
	v_and_b32_sdwa v10, v19, v10 dst_sel:DWORD dst_unused:UNUSED_PAD src0_sel:BYTE_3 src1_sel:DWORD
	v_cmpx_gt_u32_e32 8, v21
; %bb.897:                              ;   in Loop: Header=BB367_803 Depth=1
	v_ffbh_u32_e32 v13, v10
	v_min_u32_e32 v13, 32, v13
	v_subrev_nc_u32_e32 v21, 28, v13
	v_sub_nc_u32_e32 v13, 29, v13
	v_lshlrev_b64 v[21:22], v21, v[10:11]
	v_and_b32_e32 v10, 7, v21
; %bb.898:                              ;   in Loop: Header=BB367_803 Depth=1
	s_or_b32 exec_lo, exec_lo, s18
	v_mov_b32_e32 v21, 24
	v_lshlrev_b32_e32 v10, 20, v10
	v_lshl_add_u32 v13, v13, 23, 0x3c000000
	v_lshlrev_b32_sdwa v21, v21, v19 dst_sel:DWORD dst_unused:UNUSED_PAD src0_sel:DWORD src1_sel:BYTE_3
	v_and_b32_e32 v21, 0x80000000, v21
	v_or3_b32 v13, v10, v21, v13
.LBB367_899:                            ;   in Loop: Header=BB367_803 Depth=1
	s_or_b32 exec_lo, exec_lo, s15
.LBB367_900:                            ;   in Loop: Header=BB367_803 Depth=1
	s_or_b32 exec_lo, exec_lo, s13
.LBB367_901:                            ;   in Loop: Header=BB367_803 Depth=1
	s_or_b32 exec_lo, exec_lo, s12
	v_mov_b32_e32 v10, v20
	v_cmp_ne_u16_sdwa s4, v20, v11 src0_sel:BYTE_0 src1_sel:DWORD
	v_mov_b32_e32 v22, 0
	v_mov_b32_e32 v21, 0
	s_and_saveexec_b32 s12, s4
	s_cbranch_execz .LBB367_909
; %bb.902:                              ;   in Loop: Header=BB367_803 Depth=1
	v_cmp_ne_u16_sdwa s4, v20, v64 src0_sel:BYTE_0 src1_sel:DWORD
	v_bfrev_b32_e32 v21, 1
	s_and_saveexec_b32 s13, s4
	s_cbranch_execz .LBB367_908
; %bb.903:                              ;   in Loop: Header=BB367_803 Depth=1
	v_and_b32_e32 v23, 0x7f, v20
	v_mov_b32_e32 v21, 0x7f800001
	s_mov_b32 s15, exec_lo
	v_cmpx_ne_u32_e32 0x7f, v23
	s_cbranch_execz .LBB367_907
; %bb.904:                              ;   in Loop: Header=BB367_803 Depth=1
	v_lshrrev_b32_e32 v21, 3, v23
	v_cmp_gt_u32_e64 s4, 8, v23
	v_mov_b32_e32 v24, v11
	v_mov_b32_e32 v23, v10
	s_and_saveexec_b32 s18, s4
; %bb.905:                              ;   in Loop: Header=BB367_803 Depth=1
	v_and_b32_e32 v21, 7, v20
	v_ffbh_u32_e32 v21, v21
	v_min_u32_e32 v21, 32, v21
	v_subrev_nc_u32_e32 v23, 28, v21
	v_sub_nc_u32_e32 v21, 29, v21
	v_lshlrev_b64 v[23:24], v23, v[10:11]
; %bb.906:                              ;   in Loop: Header=BB367_803 Depth=1
	s_or_b32 exec_lo, exec_lo, s18
	v_lshlrev_b32_e32 v23, 20, v23
	v_lshlrev_b32_e32 v24, 24, v10
	v_lshl_add_u32 v21, v21, 23, 0x3c000000
	v_and_b32_e32 v23, 0x700000, v23
	v_and_b32_e32 v24, 0x80000000, v24
	v_or3_b32 v21, v23, v24, v21
.LBB367_907:                            ;   in Loop: Header=BB367_803 Depth=1
	s_or_b32 exec_lo, exec_lo, s15
.LBB367_908:                            ;   in Loop: Header=BB367_803 Depth=1
	s_or_b32 exec_lo, exec_lo, s13
.LBB367_909:                            ;   in Loop: Header=BB367_803 Depth=1
	s_or_b32 exec_lo, exec_lo, s12
	v_cmp_ne_u16_sdwa s4, v10, v11 src0_sel:BYTE_1 src1_sel:DWORD
	s_and_saveexec_b32 s12, s4
	s_cbranch_execz .LBB367_917
; %bb.910:                              ;   in Loop: Header=BB367_803 Depth=1
	v_cmp_ne_u16_sdwa s4, v10, v64 src0_sel:BYTE_1 src1_sel:DWORD
	v_bfrev_b32_e32 v22, 1
	s_and_saveexec_b32 s13, s4
	s_cbranch_execz .LBB367_916
; %bb.911:                              ;   in Loop: Header=BB367_803 Depth=1
	v_mov_b32_e32 v22, 0xffff
	s_mov_b32 s15, exec_lo
	v_and_b32_sdwa v23, v22, v10 dst_sel:DWORD dst_unused:UNUSED_PAD src0_sel:DWORD src1_sel:BYTE_1
	v_mov_b32_e32 v22, 0x7f800001
	v_and_b32_e32 v25, 0x7f, v23
	v_cmpx_ne_u32_e32 0x7f, v25
	s_cbranch_execz .LBB367_915
; %bb.912:                              ;   in Loop: Header=BB367_803 Depth=1
	v_and_b32_e32 v23, 7, v23
	v_mov_b32_e32 v24, v11
	v_lshrrev_b32_e32 v22, 3, v25
	s_mov_b32 s18, exec_lo
	v_cmpx_gt_u32_e32 8, v25
; %bb.913:                              ;   in Loop: Header=BB367_803 Depth=1
	v_ffbh_u32_e32 v22, v23
	v_min_u32_e32 v22, 32, v22
	v_subrev_nc_u32_e32 v25, 28, v22
	v_sub_nc_u32_e32 v22, 29, v22
	v_lshlrev_b64 v[23:24], v25, v[23:24]
	v_and_b32_e32 v23, 7, v23
; %bb.914:                              ;   in Loop: Header=BB367_803 Depth=1
	s_or_b32 exec_lo, exec_lo, s18
	v_lshlrev_b32_e32 v10, 16, v10
	v_lshlrev_b32_e32 v23, 20, v23
	v_lshl_add_u32 v22, v22, 23, 0x3c000000
	v_and_b32_e32 v10, 0x80000000, v10
	v_or3_b32 v22, v23, v10, v22
.LBB367_915:                            ;   in Loop: Header=BB367_803 Depth=1
	s_or_b32 exec_lo, exec_lo, s15
.LBB367_916:                            ;   in Loop: Header=BB367_803 Depth=1
	s_or_b32 exec_lo, exec_lo, s13
.LBB367_917:                            ;   in Loop: Header=BB367_803 Depth=1
	s_or_b32 exec_lo, exec_lo, s12
	v_and_b32_sdwa v10, v20, v66 dst_sel:DWORD dst_unused:UNUSED_PAD src0_sel:WORD_1 src1_sel:DWORD
	v_mov_b32_e32 v23, 0
	v_mov_b32_e32 v24, 0
	s_mov_b32 s12, exec_lo
	v_cmpx_ne_u16_e32 0, v10
	s_cbranch_execz .LBB367_925
; %bb.918:                              ;   in Loop: Header=BB367_803 Depth=1
	v_bfrev_b32_e32 v24, 1
	s_mov_b32 s13, exec_lo
	v_cmpx_ne_u16_e32 0x80, v10
	s_cbranch_execz .LBB367_924
; %bb.919:                              ;   in Loop: Header=BB367_803 Depth=1
	v_bfe_u32 v25, v20, 16, 7
	v_mov_b32_e32 v24, 0x7f800001
	s_mov_b32 s15, exec_lo
	v_cmpx_ne_u32_e32 0x7f, v25
	s_cbranch_execz .LBB367_923
; %bb.920:                              ;   in Loop: Header=BB367_803 Depth=1
	v_mov_b32_e32 v10, 7
	v_lshrrev_b32_e32 v24, 3, v25
	s_mov_b32 s18, exec_lo
	v_and_b32_sdwa v10, v20, v10 dst_sel:DWORD dst_unused:UNUSED_PAD src0_sel:WORD_1 src1_sel:DWORD
	v_cmpx_gt_u32_e32 8, v25
; %bb.921:                              ;   in Loop: Header=BB367_803 Depth=1
	v_ffbh_u32_e32 v24, v10
	v_min_u32_e32 v24, 32, v24
	v_subrev_nc_u32_e32 v25, 28, v24
	v_sub_nc_u32_e32 v24, 29, v24
	v_lshlrev_b64 v[34:35], v25, v[10:11]
	v_and_b32_e32 v10, 7, v34
; %bb.922:                              ;   in Loop: Header=BB367_803 Depth=1
	s_or_b32 exec_lo, exec_lo, s18
	v_mov_b32_e32 v25, 24
	v_lshlrev_b32_e32 v10, 20, v10
	v_lshl_add_u32 v24, v24, 23, 0x3c000000
	v_lshlrev_b32_sdwa v25, v25, v20 dst_sel:DWORD dst_unused:UNUSED_PAD src0_sel:DWORD src1_sel:WORD_1
	v_and_b32_e32 v25, 0x80000000, v25
	v_or3_b32 v24, v10, v25, v24
.LBB367_923:                            ;   in Loop: Header=BB367_803 Depth=1
	s_or_b32 exec_lo, exec_lo, s15
.LBB367_924:                            ;   in Loop: Header=BB367_803 Depth=1
	s_or_b32 exec_lo, exec_lo, s13
.LBB367_925:                            ;   in Loop: Header=BB367_803 Depth=1
	s_or_b32 exec_lo, exec_lo, s12
	s_mov_b32 s12, exec_lo
	v_cmpx_lt_u64_e64 s[8:9], v[19:20]
	s_cbranch_execz .LBB367_933
; %bb.926:                              ;   in Loop: Header=BB367_803 Depth=1
	v_cmp_ne_u32_sdwa s4, v20, v64 src0_sel:BYTE_3 src1_sel:DWORD
	v_bfrev_b32_e32 v23, 1
	s_and_saveexec_b32 s13, s4
	s_cbranch_execz .LBB367_932
; %bb.927:                              ;   in Loop: Header=BB367_803 Depth=1
	v_bfe_u32 v25, v20, 24, 7
	v_mov_b32_e32 v23, 0x7f800001
	s_mov_b32 s15, exec_lo
	v_cmpx_ne_u32_e32 0x7f, v25
	s_cbranch_execz .LBB367_931
; %bb.928:                              ;   in Loop: Header=BB367_803 Depth=1
	v_mov_b32_e32 v10, 7
	v_lshrrev_b32_e32 v19, 3, v25
	s_mov_b32 s18, exec_lo
	v_and_b32_sdwa v10, v20, v10 dst_sel:DWORD dst_unused:UNUSED_PAD src0_sel:BYTE_3 src1_sel:DWORD
	v_cmpx_gt_u32_e32 8, v25
; %bb.929:                              ;   in Loop: Header=BB367_803 Depth=1
	v_ffbh_u32_e32 v19, v10
	v_min_u32_e32 v19, 32, v19
	v_subrev_nc_u32_e32 v23, 28, v19
	v_sub_nc_u32_e32 v19, 29, v19
	v_lshlrev_b64 v[34:35], v23, v[10:11]
	v_and_b32_e32 v10, 7, v34
; %bb.930:                              ;   in Loop: Header=BB367_803 Depth=1
	s_or_b32 exec_lo, exec_lo, s18
	v_mov_b32_e32 v23, 24
	v_lshlrev_b32_e32 v10, 20, v10
	v_lshl_add_u32 v19, v19, 23, 0x3c000000
	v_lshlrev_b32_sdwa v20, v23, v20 dst_sel:DWORD dst_unused:UNUSED_PAD src0_sel:DWORD src1_sel:BYTE_3
	v_and_b32_e32 v20, 0x80000000, v20
	v_or3_b32 v23, v10, v20, v19
.LBB367_931:                            ;   in Loop: Header=BB367_803 Depth=1
	s_or_b32 exec_lo, exec_lo, s15
.LBB367_932:                            ;   in Loop: Header=BB367_803 Depth=1
	s_or_b32 exec_lo, exec_lo, s13
.LBB367_933:                            ;   in Loop: Header=BB367_803 Depth=1
	s_or_b32 exec_lo, exec_lo, s12
	v_mul_f32_e32 v10, v26, v22
	v_mul_f32_e32 v19, v26, v21
	;; [unrolled: 1-line block ×5, first 2 shown]
	v_bfe_u32 v20, v10, 16, 1
	v_or_b32_e32 v21, 0x400000, v10
	v_bfe_u32 v22, v19, 16, 1
	v_cmp_u_f32_e64 s4, v10, v10
	v_or_b32_e32 v25, 0x400000, v19
	v_add3_u32 v20, v20, v10, 0x7fff
	v_bfe_u32 v27, v13, 16, 1
	v_add3_u32 v22, v22, v19, 0x7fff
	v_or_b32_e32 v34, 0x400000, v13
	v_bfe_u32 v35, v12, 16, 1
	v_cndmask_b32_e64 v10, v20, v21, s4
	v_cmp_u_f32_e64 s4, v19, v19
	v_add3_u32 v27, v27, v13, 0x7fff
	v_or_b32_e32 v20, 0x400000, v12
	v_mul_f32_e32 v4, v26, v4
	v_lshrrev_b32_e32 v87, 16, v10
	v_cndmask_b32_e64 v19, v22, v25, s4
	v_cmp_u_f32_e64 s4, v13, v13
	v_add3_u32 v10, v35, v12, 0x7fff
	v_bfe_u32 v21, v4, 16, 1
	v_lshrrev_b32_e32 v19, 16, v19
	v_cndmask_b32_e64 v13, v27, v34, s4
	v_cmp_u_f32_e64 s4, v12, v12
	v_mul_f32_e32 v12, v26, v24
	buffer_store_dword v19, off, s[0:3], s32 offset:224 ; 4-byte Folded Spill
	v_lshrrev_b32_e32 v97, 16, v13
	v_bfe_u32 v13, v5, 16, 1
	v_cndmask_b32_e64 v10, v10, v20, s4
	v_or_b32_e32 v19, 0x400000, v5
	v_cmp_u_f32_e64 s4, v5, v5
	v_mul_f32_e32 v20, v26, v23
	v_add3_u32 v13, v13, v5, 0x7fff
	v_bfe_u32 v22, v12, 16, 1
	v_or_b32_e32 v23, 0x400000, v12
	v_lshrrev_b32_e32 v98, 16, v10
	v_or_b32_e32 v24, 0x400000, v20
	v_cndmask_b32_e64 v5, v13, v19, s4
	v_add3_u32 v19, v21, v4, 0x7fff
	v_or_b32_e32 v21, 0x400000, v4
	v_cmp_u_f32_e64 s4, v4, v4
	v_bfe_u32 v13, v20, 16, 1
	v_add3_u32 v22, v22, v12, 0x7fff
	v_lshrrev_b32_e32 v100, 16, v5
	v_cndmask_b32_e64 v4, v19, v21, s4
	v_cmp_u_f32_e64 s4, v12, v12
	v_add3_u32 v13, v13, v20, 0x7fff
	v_lshrrev_b32_e32 v99, 16, v4
	v_cndmask_b32_e64 v12, v22, v23, s4
	v_cmp_u_f32_e64 s4, v20, v20
	v_lshrrev_b32_e32 v4, 16, v12
	v_cndmask_b32_e64 v13, v13, v24, s4
	buffer_store_dword v4, off, s[0:3], s32 offset:228 ; 4-byte Folded Spill
	v_lshrrev_b32_e32 v96, 16, v13
	s_and_saveexec_b32 s12, vcc_lo
	s_cbranch_execz .LBB367_935
; %bb.934:                              ;   in Loop: Header=BB367_803 Depth=1
	buffer_load_dword v4, off, s[0:3], s32 offset:224 ; 4-byte Folded Reload
	v_cmp_lt_i32_e64 s4, v117, v37
	v_cndmask_b32_e64 v99, 0, v99, s4
	v_cmp_lt_i32_e64 s4, v43, v37
	v_cndmask_b32_e64 v100, 0, v100, s4
	;; [unrolled: 2-line block ×4, first 2 shown]
	v_cmp_lt_i32_e64 s4, v40, v37
	s_waitcnt vmcnt(0)
	v_cndmask_b32_e64 v4, 0, v4, s4
	v_cmp_lt_i32_e64 s4, v119, v37
	buffer_store_dword v4, off, s[0:3], s32 offset:224 ; 4-byte Folded Spill
	buffer_load_dword v4, off, s[0:3], s32 offset:228 ; 4-byte Folded Reload
	v_cndmask_b32_e64 v87, 0, v87, s4
	v_cmp_lt_i32_e64 s4, v118, v37
	s_waitcnt vmcnt(0)
	v_cndmask_b32_e64 v4, 0, v4, s4
	v_cmp_lt_i32_e64 s4, v54, v37
	buffer_store_dword v4, off, s[0:3], s32 offset:228 ; 4-byte Folded Spill
	v_cndmask_b32_e64 v96, 0, v96, s4
.LBB367_935:                            ;   in Loop: Header=BB367_803 Depth=1
	s_or_b32 exec_lo, exec_lo, s12
	flat_load_dwordx2 v[19:20], v[17:18] offset:512
	v_mov_b32_e32 v5, 0
	v_mov_b32_e32 v4, 0
	s_waitcnt vmcnt(0) lgkmcnt(0)
	v_cmp_ne_u16_sdwa s4, v19, v11 src0_sel:BYTE_0 src1_sel:DWORD
	s_and_saveexec_b32 s12, s4
	s_cbranch_execz .LBB367_943
; %bb.936:                              ;   in Loop: Header=BB367_803 Depth=1
	v_cmp_ne_u16_sdwa s4, v19, v64 src0_sel:BYTE_0 src1_sel:DWORD
	v_bfrev_b32_e32 v4, 1
	s_and_saveexec_b32 s13, s4
	s_cbranch_execz .LBB367_942
; %bb.937:                              ;   in Loop: Header=BB367_803 Depth=1
	v_and_b32_e32 v10, 0x7f, v19
	v_mov_b32_e32 v4, 0x7f800001
	s_mov_b32 s15, exec_lo
	v_cmpx_ne_u32_e32 0x7f, v10
	s_cbranch_execz .LBB367_941
; %bb.938:                              ;   in Loop: Header=BB367_803 Depth=1
	v_mov_b32_e32 v24, v20
	v_lshrrev_b32_e32 v4, 3, v10
	v_mov_b32_e32 v23, v19
	s_mov_b32 s18, exec_lo
	v_cmpx_gt_u32_e32 8, v10
; %bb.939:                              ;   in Loop: Header=BB367_803 Depth=1
	v_and_b32_e32 v4, 7, v19
	v_ffbh_u32_e32 v4, v4
	v_min_u32_e32 v4, 32, v4
	v_subrev_nc_u32_e32 v10, 28, v4
	v_sub_nc_u32_e32 v4, 29, v4
	v_lshlrev_b64 v[23:24], v10, v[19:20]
; %bb.940:                              ;   in Loop: Header=BB367_803 Depth=1
	s_or_b32 exec_lo, exec_lo, s18
	v_lshlrev_b32_e32 v10, 20, v23
	v_lshlrev_b32_e32 v12, 24, v19
	v_lshl_add_u32 v4, v4, 23, 0x3c000000
	v_and_b32_e32 v10, 0x700000, v10
	v_and_b32_e32 v12, 0x80000000, v12
	v_or3_b32 v4, v10, v12, v4
.LBB367_941:                            ;   in Loop: Header=BB367_803 Depth=1
	s_or_b32 exec_lo, exec_lo, s15
.LBB367_942:                            ;   in Loop: Header=BB367_803 Depth=1
	s_or_b32 exec_lo, exec_lo, s13
.LBB367_943:                            ;   in Loop: Header=BB367_803 Depth=1
	s_or_b32 exec_lo, exec_lo, s12
	v_cmp_ne_u16_sdwa s4, v19, v11 src0_sel:BYTE_1 src1_sel:DWORD
	s_and_saveexec_b32 s12, s4
	s_cbranch_execz .LBB367_951
; %bb.944:                              ;   in Loop: Header=BB367_803 Depth=1
	v_cmp_ne_u16_sdwa s4, v19, v64 src0_sel:BYTE_1 src1_sel:DWORD
	v_bfrev_b32_e32 v5, 1
	s_and_saveexec_b32 s13, s4
	s_cbranch_execz .LBB367_950
; %bb.945:                              ;   in Loop: Header=BB367_803 Depth=1
	v_mov_b32_e32 v5, 0xffff
	s_mov_b32 s15, exec_lo
	v_and_b32_sdwa v10, v5, v19 dst_sel:DWORD dst_unused:UNUSED_PAD src0_sel:DWORD src1_sel:BYTE_1
	v_mov_b32_e32 v5, 0x7f800001
	v_and_b32_e32 v12, 0x7f, v10
	v_cmpx_ne_u32_e32 0x7f, v12
	s_cbranch_execz .LBB367_949
; %bb.946:                              ;   in Loop: Header=BB367_803 Depth=1
	v_and_b32_e32 v10, 7, v10
	v_lshrrev_b32_e32 v5, 3, v12
	s_mov_b32 s18, exec_lo
	v_cmpx_gt_u32_e32 8, v12
; %bb.947:                              ;   in Loop: Header=BB367_803 Depth=1
	v_ffbh_u32_e32 v5, v10
	v_min_u32_e32 v5, 32, v5
	v_subrev_nc_u32_e32 v12, 28, v5
	v_sub_nc_u32_e32 v5, 29, v5
	v_lshlrev_b64 v[12:13], v12, v[10:11]
	v_and_b32_e32 v10, 7, v12
; %bb.948:                              ;   in Loop: Header=BB367_803 Depth=1
	s_or_b32 exec_lo, exec_lo, s18
	v_lshlrev_b32_e32 v12, 16, v19
	v_lshlrev_b32_e32 v10, 20, v10
	v_lshl_add_u32 v5, v5, 23, 0x3c000000
	v_and_b32_e32 v12, 0x80000000, v12
	v_or3_b32 v5, v10, v12, v5
.LBB367_949:                            ;   in Loop: Header=BB367_803 Depth=1
	s_or_b32 exec_lo, exec_lo, s15
.LBB367_950:                            ;   in Loop: Header=BB367_803 Depth=1
	s_or_b32 exec_lo, exec_lo, s13
.LBB367_951:                            ;   in Loop: Header=BB367_803 Depth=1
	s_or_b32 exec_lo, exec_lo, s12
	v_and_b32_sdwa v10, v19, v66 dst_sel:DWORD dst_unused:UNUSED_PAD src0_sel:WORD_1 src1_sel:DWORD
	v_mov_b32_e32 v13, 0
	v_mov_b32_e32 v12, 0
	s_mov_b32 s12, exec_lo
	v_cmpx_ne_u16_e32 0, v10
	s_cbranch_execz .LBB367_959
; %bb.952:                              ;   in Loop: Header=BB367_803 Depth=1
	v_bfrev_b32_e32 v12, 1
	s_mov_b32 s13, exec_lo
	v_cmpx_ne_u16_e32 0x80, v10
	s_cbranch_execz .LBB367_958
; %bb.953:                              ;   in Loop: Header=BB367_803 Depth=1
	v_bfe_u32 v21, v19, 16, 7
	v_mov_b32_e32 v12, 0x7f800001
	s_mov_b32 s15, exec_lo
	v_cmpx_ne_u32_e32 0x7f, v21
	s_cbranch_execz .LBB367_957
; %bb.954:                              ;   in Loop: Header=BB367_803 Depth=1
	v_mov_b32_e32 v10, 7
	v_lshrrev_b32_e32 v12, 3, v21
	s_mov_b32 s18, exec_lo
	v_and_b32_sdwa v10, v19, v10 dst_sel:DWORD dst_unused:UNUSED_PAD src0_sel:WORD_1 src1_sel:DWORD
	v_cmpx_gt_u32_e32 8, v21
; %bb.955:                              ;   in Loop: Header=BB367_803 Depth=1
	v_ffbh_u32_e32 v12, v10
	v_min_u32_e32 v12, 32, v12
	v_subrev_nc_u32_e32 v21, 28, v12
	v_sub_nc_u32_e32 v12, 29, v12
	v_lshlrev_b64 v[21:22], v21, v[10:11]
	v_and_b32_e32 v10, 7, v21
; %bb.956:                              ;   in Loop: Header=BB367_803 Depth=1
	s_or_b32 exec_lo, exec_lo, s18
	v_mov_b32_e32 v21, 24
	v_lshlrev_b32_e32 v10, 20, v10
	v_lshl_add_u32 v12, v12, 23, 0x3c000000
	v_lshlrev_b32_sdwa v21, v21, v19 dst_sel:DWORD dst_unused:UNUSED_PAD src0_sel:DWORD src1_sel:WORD_1
	v_and_b32_e32 v21, 0x80000000, v21
	v_or3_b32 v12, v10, v21, v12
.LBB367_957:                            ;   in Loop: Header=BB367_803 Depth=1
	s_or_b32 exec_lo, exec_lo, s15
.LBB367_958:                            ;   in Loop: Header=BB367_803 Depth=1
	s_or_b32 exec_lo, exec_lo, s13
.LBB367_959:                            ;   in Loop: Header=BB367_803 Depth=1
	s_or_b32 exec_lo, exec_lo, s12
	s_mov_b32 s12, exec_lo
	v_cmpx_lt_u32_e32 0xffffff, v19
	s_cbranch_execz .LBB367_967
; %bb.960:                              ;   in Loop: Header=BB367_803 Depth=1
	v_cmp_ne_u32_sdwa s4, v19, v64 src0_sel:BYTE_3 src1_sel:DWORD
	v_bfrev_b32_e32 v13, 1
	s_and_saveexec_b32 s13, s4
	s_cbranch_execz .LBB367_966
; %bb.961:                              ;   in Loop: Header=BB367_803 Depth=1
	v_bfe_u32 v21, v19, 24, 7
	v_mov_b32_e32 v13, 0x7f800001
	s_mov_b32 s15, exec_lo
	v_cmpx_ne_u32_e32 0x7f, v21
	s_cbranch_execz .LBB367_965
; %bb.962:                              ;   in Loop: Header=BB367_803 Depth=1
	v_mov_b32_e32 v10, 7
	v_lshrrev_b32_e32 v13, 3, v21
	s_mov_b32 s18, exec_lo
	v_and_b32_sdwa v10, v19, v10 dst_sel:DWORD dst_unused:UNUSED_PAD src0_sel:BYTE_3 src1_sel:DWORD
	v_cmpx_gt_u32_e32 8, v21
; %bb.963:                              ;   in Loop: Header=BB367_803 Depth=1
	v_ffbh_u32_e32 v13, v10
	v_min_u32_e32 v13, 32, v13
	v_subrev_nc_u32_e32 v21, 28, v13
	v_sub_nc_u32_e32 v13, 29, v13
	v_lshlrev_b64 v[21:22], v21, v[10:11]
	v_and_b32_e32 v10, 7, v21
; %bb.964:                              ;   in Loop: Header=BB367_803 Depth=1
	s_or_b32 exec_lo, exec_lo, s18
	v_mov_b32_e32 v21, 24
	v_lshlrev_b32_e32 v10, 20, v10
	v_lshl_add_u32 v13, v13, 23, 0x3c000000
	v_lshlrev_b32_sdwa v21, v21, v19 dst_sel:DWORD dst_unused:UNUSED_PAD src0_sel:DWORD src1_sel:BYTE_3
	v_and_b32_e32 v21, 0x80000000, v21
	v_or3_b32 v13, v10, v21, v13
.LBB367_965:                            ;   in Loop: Header=BB367_803 Depth=1
	s_or_b32 exec_lo, exec_lo, s15
.LBB367_966:                            ;   in Loop: Header=BB367_803 Depth=1
	s_or_b32 exec_lo, exec_lo, s13
.LBB367_967:                            ;   in Loop: Header=BB367_803 Depth=1
	s_or_b32 exec_lo, exec_lo, s12
	v_mov_b32_e32 v10, v20
	v_cmp_ne_u16_sdwa s4, v20, v11 src0_sel:BYTE_0 src1_sel:DWORD
	v_mov_b32_e32 v22, 0
	v_mov_b32_e32 v21, 0
	s_and_saveexec_b32 s12, s4
	s_cbranch_execz .LBB367_975
; %bb.968:                              ;   in Loop: Header=BB367_803 Depth=1
	v_cmp_ne_u16_sdwa s4, v20, v64 src0_sel:BYTE_0 src1_sel:DWORD
	v_bfrev_b32_e32 v21, 1
	s_and_saveexec_b32 s13, s4
	s_cbranch_execz .LBB367_974
; %bb.969:                              ;   in Loop: Header=BB367_803 Depth=1
	v_and_b32_e32 v23, 0x7f, v20
	v_mov_b32_e32 v21, 0x7f800001
	s_mov_b32 s15, exec_lo
	v_cmpx_ne_u32_e32 0x7f, v23
	s_cbranch_execz .LBB367_973
; %bb.970:                              ;   in Loop: Header=BB367_803 Depth=1
	v_lshrrev_b32_e32 v21, 3, v23
	v_cmp_gt_u32_e64 s4, 8, v23
	v_mov_b32_e32 v24, v11
	v_mov_b32_e32 v23, v10
	s_and_saveexec_b32 s18, s4
; %bb.971:                              ;   in Loop: Header=BB367_803 Depth=1
	v_and_b32_e32 v21, 7, v20
	v_ffbh_u32_e32 v21, v21
	v_min_u32_e32 v21, 32, v21
	v_subrev_nc_u32_e32 v23, 28, v21
	v_sub_nc_u32_e32 v21, 29, v21
	v_lshlrev_b64 v[23:24], v23, v[10:11]
; %bb.972:                              ;   in Loop: Header=BB367_803 Depth=1
	s_or_b32 exec_lo, exec_lo, s18
	v_lshlrev_b32_e32 v23, 20, v23
	v_lshlrev_b32_e32 v24, 24, v10
	v_lshl_add_u32 v21, v21, 23, 0x3c000000
	v_and_b32_e32 v23, 0x700000, v23
	v_and_b32_e32 v24, 0x80000000, v24
	v_or3_b32 v21, v23, v24, v21
.LBB367_973:                            ;   in Loop: Header=BB367_803 Depth=1
	s_or_b32 exec_lo, exec_lo, s15
.LBB367_974:                            ;   in Loop: Header=BB367_803 Depth=1
	s_or_b32 exec_lo, exec_lo, s13
.LBB367_975:                            ;   in Loop: Header=BB367_803 Depth=1
	s_or_b32 exec_lo, exec_lo, s12
	v_cmp_ne_u16_sdwa s4, v10, v11 src0_sel:BYTE_1 src1_sel:DWORD
	s_and_saveexec_b32 s12, s4
	s_cbranch_execz .LBB367_983
; %bb.976:                              ;   in Loop: Header=BB367_803 Depth=1
	v_cmp_ne_u16_sdwa s4, v10, v64 src0_sel:BYTE_1 src1_sel:DWORD
	v_bfrev_b32_e32 v22, 1
	s_and_saveexec_b32 s13, s4
	s_cbranch_execz .LBB367_982
; %bb.977:                              ;   in Loop: Header=BB367_803 Depth=1
	v_mov_b32_e32 v22, 0xffff
	s_mov_b32 s15, exec_lo
	v_and_b32_sdwa v23, v22, v10 dst_sel:DWORD dst_unused:UNUSED_PAD src0_sel:DWORD src1_sel:BYTE_1
	v_mov_b32_e32 v22, 0x7f800001
	v_and_b32_e32 v25, 0x7f, v23
	v_cmpx_ne_u32_e32 0x7f, v25
	s_cbranch_execz .LBB367_981
; %bb.978:                              ;   in Loop: Header=BB367_803 Depth=1
	v_and_b32_e32 v23, 7, v23
	v_mov_b32_e32 v24, v11
	v_lshrrev_b32_e32 v22, 3, v25
	s_mov_b32 s18, exec_lo
	v_cmpx_gt_u32_e32 8, v25
; %bb.979:                              ;   in Loop: Header=BB367_803 Depth=1
	v_ffbh_u32_e32 v22, v23
	v_min_u32_e32 v22, 32, v22
	v_subrev_nc_u32_e32 v25, 28, v22
	v_sub_nc_u32_e32 v22, 29, v22
	v_lshlrev_b64 v[23:24], v25, v[23:24]
	v_and_b32_e32 v23, 7, v23
; %bb.980:                              ;   in Loop: Header=BB367_803 Depth=1
	s_or_b32 exec_lo, exec_lo, s18
	v_lshlrev_b32_e32 v10, 16, v10
	v_lshlrev_b32_e32 v23, 20, v23
	v_lshl_add_u32 v22, v22, 23, 0x3c000000
	v_and_b32_e32 v10, 0x80000000, v10
	v_or3_b32 v22, v23, v10, v22
.LBB367_981:                            ;   in Loop: Header=BB367_803 Depth=1
	s_or_b32 exec_lo, exec_lo, s15
.LBB367_982:                            ;   in Loop: Header=BB367_803 Depth=1
	s_or_b32 exec_lo, exec_lo, s13
.LBB367_983:                            ;   in Loop: Header=BB367_803 Depth=1
	s_or_b32 exec_lo, exec_lo, s12
	v_and_b32_sdwa v10, v20, v66 dst_sel:DWORD dst_unused:UNUSED_PAD src0_sel:WORD_1 src1_sel:DWORD
	v_mov_b32_e32 v23, 0
	v_mov_b32_e32 v24, 0
	s_mov_b32 s12, exec_lo
	v_cmpx_ne_u16_e32 0, v10
	s_cbranch_execz .LBB367_991
; %bb.984:                              ;   in Loop: Header=BB367_803 Depth=1
	v_bfrev_b32_e32 v24, 1
	s_mov_b32 s13, exec_lo
	v_cmpx_ne_u16_e32 0x80, v10
	s_cbranch_execz .LBB367_990
; %bb.985:                              ;   in Loop: Header=BB367_803 Depth=1
	v_bfe_u32 v25, v20, 16, 7
	v_mov_b32_e32 v24, 0x7f800001
	s_mov_b32 s15, exec_lo
	v_cmpx_ne_u32_e32 0x7f, v25
	s_cbranch_execz .LBB367_989
; %bb.986:                              ;   in Loop: Header=BB367_803 Depth=1
	v_mov_b32_e32 v10, 7
	v_lshrrev_b32_e32 v24, 3, v25
	s_mov_b32 s18, exec_lo
	v_and_b32_sdwa v10, v20, v10 dst_sel:DWORD dst_unused:UNUSED_PAD src0_sel:WORD_1 src1_sel:DWORD
	v_cmpx_gt_u32_e32 8, v25
; %bb.987:                              ;   in Loop: Header=BB367_803 Depth=1
	v_ffbh_u32_e32 v24, v10
	v_min_u32_e32 v24, 32, v24
	v_subrev_nc_u32_e32 v25, 28, v24
	v_sub_nc_u32_e32 v24, 29, v24
	v_lshlrev_b64 v[34:35], v25, v[10:11]
	v_and_b32_e32 v10, 7, v34
; %bb.988:                              ;   in Loop: Header=BB367_803 Depth=1
	s_or_b32 exec_lo, exec_lo, s18
	v_mov_b32_e32 v25, 24
	v_lshlrev_b32_e32 v10, 20, v10
	v_lshl_add_u32 v24, v24, 23, 0x3c000000
	v_lshlrev_b32_sdwa v25, v25, v20 dst_sel:DWORD dst_unused:UNUSED_PAD src0_sel:DWORD src1_sel:WORD_1
	v_and_b32_e32 v25, 0x80000000, v25
	v_or3_b32 v24, v10, v25, v24
.LBB367_989:                            ;   in Loop: Header=BB367_803 Depth=1
	s_or_b32 exec_lo, exec_lo, s15
.LBB367_990:                            ;   in Loop: Header=BB367_803 Depth=1
	s_or_b32 exec_lo, exec_lo, s13
.LBB367_991:                            ;   in Loop: Header=BB367_803 Depth=1
	s_or_b32 exec_lo, exec_lo, s12
	s_mov_b32 s12, exec_lo
	v_cmpx_lt_u64_e64 s[8:9], v[19:20]
	s_cbranch_execz .LBB367_999
; %bb.992:                              ;   in Loop: Header=BB367_803 Depth=1
	v_cmp_ne_u32_sdwa s4, v20, v64 src0_sel:BYTE_3 src1_sel:DWORD
	v_bfrev_b32_e32 v23, 1
	s_and_saveexec_b32 s13, s4
	s_cbranch_execz .LBB367_998
; %bb.993:                              ;   in Loop: Header=BB367_803 Depth=1
	v_bfe_u32 v25, v20, 24, 7
	v_mov_b32_e32 v23, 0x7f800001
	s_mov_b32 s15, exec_lo
	v_cmpx_ne_u32_e32 0x7f, v25
	s_cbranch_execz .LBB367_997
; %bb.994:                              ;   in Loop: Header=BB367_803 Depth=1
	v_mov_b32_e32 v10, 7
	v_lshrrev_b32_e32 v19, 3, v25
	s_mov_b32 s18, exec_lo
	v_and_b32_sdwa v10, v20, v10 dst_sel:DWORD dst_unused:UNUSED_PAD src0_sel:BYTE_3 src1_sel:DWORD
	v_cmpx_gt_u32_e32 8, v25
; %bb.995:                              ;   in Loop: Header=BB367_803 Depth=1
	v_ffbh_u32_e32 v19, v10
	v_min_u32_e32 v19, 32, v19
	v_subrev_nc_u32_e32 v23, 28, v19
	v_sub_nc_u32_e32 v19, 29, v19
	v_lshlrev_b64 v[34:35], v23, v[10:11]
	v_and_b32_e32 v10, 7, v34
; %bb.996:                              ;   in Loop: Header=BB367_803 Depth=1
	s_or_b32 exec_lo, exec_lo, s18
	v_mov_b32_e32 v23, 24
	v_lshlrev_b32_e32 v10, 20, v10
	v_lshl_add_u32 v19, v19, 23, 0x3c000000
	v_lshlrev_b32_sdwa v20, v23, v20 dst_sel:DWORD dst_unused:UNUSED_PAD src0_sel:DWORD src1_sel:BYTE_3
	v_and_b32_e32 v20, 0x80000000, v20
	v_or3_b32 v23, v10, v20, v19
.LBB367_997:                            ;   in Loop: Header=BB367_803 Depth=1
	s_or_b32 exec_lo, exec_lo, s15
.LBB367_998:                            ;   in Loop: Header=BB367_803 Depth=1
	s_or_b32 exec_lo, exec_lo, s13
.LBB367_999:                            ;   in Loop: Header=BB367_803 Depth=1
	s_or_b32 exec_lo, exec_lo, s12
	v_mul_f32_e32 v10, v26, v22
	v_mul_f32_e32 v19, v26, v21
	v_mul_f32_e32 v13, v26, v13
	v_mul_f32_e32 v12, v26, v12
	v_mul_f32_e32 v5, v26, v5
	v_bfe_u32 v20, v10, 16, 1
	v_or_b32_e32 v21, 0x400000, v10
	v_bfe_u32 v22, v19, 16, 1
	v_cmp_u_f32_e64 s4, v10, v10
	v_or_b32_e32 v25, 0x400000, v19
	v_add3_u32 v20, v20, v10, 0x7fff
	v_bfe_u32 v27, v13, 16, 1
	v_add3_u32 v22, v22, v19, 0x7fff
	v_or_b32_e32 v34, 0x400000, v13
	v_bfe_u32 v35, v12, 16, 1
	v_cndmask_b32_e64 v10, v20, v21, s4
	v_cmp_u_f32_e64 s4, v19, v19
	v_add3_u32 v27, v27, v13, 0x7fff
	v_or_b32_e32 v20, 0x400000, v12
	v_mul_f32_e32 v4, v26, v4
	v_lshrrev_b32_e32 v102, 16, v10
	v_cndmask_b32_e64 v19, v22, v25, s4
	v_cmp_u_f32_e64 s4, v13, v13
	v_add3_u32 v10, v35, v12, 0x7fff
	v_bfe_u32 v21, v4, 16, 1
	v_lshrrev_b32_e32 v101, 16, v19
	v_cndmask_b32_e64 v13, v27, v34, s4
	v_cmp_u_f32_e64 s4, v12, v12
	v_mul_f32_e32 v12, v26, v24
	v_or_b32_e32 v19, 0x400000, v5
	v_lshrrev_b32_e32 v113, 16, v13
	v_bfe_u32 v13, v5, 16, 1
	v_cndmask_b32_e64 v10, v10, v20, s4
	v_cmp_u_f32_e64 s4, v5, v5
	v_mul_f32_e32 v20, v26, v23
	v_bfe_u32 v22, v12, 16, 1
	v_add3_u32 v13, v13, v5, 0x7fff
	v_or_b32_e32 v23, 0x400000, v12
	v_lshrrev_b32_e32 v114, 16, v10
	v_or_b32_e32 v24, 0x400000, v20
	v_add3_u32 v22, v22, v12, 0x7fff
	v_cndmask_b32_e64 v5, v13, v19, s4
	v_add3_u32 v19, v21, v4, 0x7fff
	v_or_b32_e32 v21, 0x400000, v4
	v_cmp_u_f32_e64 s4, v4, v4
	v_bfe_u32 v13, v20, 16, 1
	v_lshrrev_b32_e32 v116, 16, v5
	v_cndmask_b32_e64 v4, v19, v21, s4
	v_cmp_u_f32_e64 s4, v12, v12
	v_add3_u32 v13, v13, v20, 0x7fff
	v_lshrrev_b32_e32 v115, 16, v4
	v_cndmask_b32_e64 v12, v22, v23, s4
	v_cmp_u_f32_e64 s4, v20, v20
	v_lshrrev_b32_e32 v103, 16, v12
	v_cndmask_b32_e64 v13, v13, v24, s4
	v_lshrrev_b32_e32 v112, 16, v13
	s_and_saveexec_b32 s12, vcc_lo
	s_cbranch_execz .LBB367_1001
; %bb.1000:                             ;   in Loop: Header=BB367_803 Depth=1
	v_cmp_lt_i32_e64 s4, v117, v37
	v_cndmask_b32_e64 v115, 0, v115, s4
	v_cmp_lt_i32_e64 s4, v43, v37
	v_cndmask_b32_e64 v116, 0, v116, s4
	;; [unrolled: 2-line block ×8, first 2 shown]
.LBB367_1001:                           ;   in Loop: Header=BB367_803 Depth=1
	s_or_b32 exec_lo, exec_lo, s12
	flat_load_dwordx2 v[19:20], v[17:18] offset:768
	v_mov_b32_e32 v4, 0
	v_mov_b32_e32 v12, 0
	s_waitcnt vmcnt(0) lgkmcnt(0)
	v_cmp_ne_u16_sdwa s4, v19, v11 src0_sel:BYTE_0 src1_sel:DWORD
	s_and_saveexec_b32 s12, s4
	s_cbranch_execz .LBB367_1009
; %bb.1002:                             ;   in Loop: Header=BB367_803 Depth=1
	v_cmp_ne_u16_sdwa s4, v19, v64 src0_sel:BYTE_0 src1_sel:DWORD
	v_bfrev_b32_e32 v12, 1
	s_and_saveexec_b32 s13, s4
	s_cbranch_execz .LBB367_1008
; %bb.1003:                             ;   in Loop: Header=BB367_803 Depth=1
	v_and_b32_e32 v10, 0x7f, v19
	v_mov_b32_e32 v12, 0x7f800001
	s_mov_b32 s15, exec_lo
	v_cmpx_ne_u32_e32 0x7f, v10
	s_cbranch_execz .LBB367_1007
; %bb.1004:                             ;   in Loop: Header=BB367_803 Depth=1
	v_mov_b32_e32 v24, v20
	v_lshrrev_b32_e32 v5, 3, v10
	v_mov_b32_e32 v23, v19
	s_mov_b32 s18, exec_lo
	v_cmpx_gt_u32_e32 8, v10
; %bb.1005:                             ;   in Loop: Header=BB367_803 Depth=1
	v_and_b32_e32 v5, 7, v19
	v_ffbh_u32_e32 v5, v5
	v_min_u32_e32 v5, 32, v5
	v_subrev_nc_u32_e32 v10, 28, v5
	v_sub_nc_u32_e32 v5, 29, v5
	v_lshlrev_b64 v[23:24], v10, v[19:20]
; %bb.1006:                             ;   in Loop: Header=BB367_803 Depth=1
	s_or_b32 exec_lo, exec_lo, s18
	v_lshlrev_b32_e32 v10, 20, v23
	v_lshlrev_b32_e32 v12, 24, v19
	v_lshl_add_u32 v5, v5, 23, 0x3c000000
	v_and_b32_e32 v10, 0x700000, v10
	v_and_b32_e32 v12, 0x80000000, v12
	v_or3_b32 v12, v10, v12, v5
.LBB367_1007:                           ;   in Loop: Header=BB367_803 Depth=1
	s_or_b32 exec_lo, exec_lo, s15
.LBB367_1008:                           ;   in Loop: Header=BB367_803 Depth=1
	s_or_b32 exec_lo, exec_lo, s13
.LBB367_1009:                           ;   in Loop: Header=BB367_803 Depth=1
	s_or_b32 exec_lo, exec_lo, s12
	v_cmp_ne_u16_sdwa s4, v19, v11 src0_sel:BYTE_1 src1_sel:DWORD
	s_and_saveexec_b32 s12, s4
	s_cbranch_execz .LBB367_1017
; %bb.1010:                             ;   in Loop: Header=BB367_803 Depth=1
	v_cmp_ne_u16_sdwa s4, v19, v64 src0_sel:BYTE_1 src1_sel:DWORD
	v_bfrev_b32_e32 v4, 1
	s_and_saveexec_b32 s13, s4
	s_cbranch_execz .LBB367_1016
; %bb.1011:                             ;   in Loop: Header=BB367_803 Depth=1
	v_mov_b32_e32 v4, 0xffff
	s_mov_b32 s15, exec_lo
	v_and_b32_sdwa v10, v4, v19 dst_sel:DWORD dst_unused:UNUSED_PAD src0_sel:DWORD src1_sel:BYTE_1
	v_mov_b32_e32 v4, 0x7f800001
	v_and_b32_e32 v5, 0x7f, v10
	v_cmpx_ne_u32_e32 0x7f, v5
	s_cbranch_execz .LBB367_1015
; %bb.1012:                             ;   in Loop: Header=BB367_803 Depth=1
	v_and_b32_e32 v10, 7, v10
	v_lshrrev_b32_e32 v4, 3, v5
	s_mov_b32 s18, exec_lo
	v_cmpx_gt_u32_e32 8, v5
; %bb.1013:                             ;   in Loop: Header=BB367_803 Depth=1
	v_ffbh_u32_e32 v4, v10
	v_min_u32_e32 v4, 32, v4
	v_subrev_nc_u32_e32 v5, 28, v4
	v_sub_nc_u32_e32 v4, 29, v4
	v_lshlrev_b64 v[21:22], v5, v[10:11]
	v_and_b32_e32 v10, 7, v21
; %bb.1014:                             ;   in Loop: Header=BB367_803 Depth=1
	s_or_b32 exec_lo, exec_lo, s18
	v_lshlrev_b32_e32 v5, 16, v19
	v_lshlrev_b32_e32 v10, 20, v10
	v_lshl_add_u32 v4, v4, 23, 0x3c000000
	v_and_b32_e32 v5, 0x80000000, v5
	v_or3_b32 v4, v10, v5, v4
.LBB367_1015:                           ;   in Loop: Header=BB367_803 Depth=1
	s_or_b32 exec_lo, exec_lo, s15
.LBB367_1016:                           ;   in Loop: Header=BB367_803 Depth=1
	s_or_b32 exec_lo, exec_lo, s13
.LBB367_1017:                           ;   in Loop: Header=BB367_803 Depth=1
	s_or_b32 exec_lo, exec_lo, s12
	v_and_b32_sdwa v10, v19, v66 dst_sel:DWORD dst_unused:UNUSED_PAD src0_sel:WORD_1 src1_sel:DWORD
	v_mov_b32_e32 v13, 0
	v_mov_b32_e32 v5, 0
	s_mov_b32 s12, exec_lo
	v_cmpx_ne_u16_e32 0, v10
	s_cbranch_execz .LBB367_1025
; %bb.1018:                             ;   in Loop: Header=BB367_803 Depth=1
	v_bfrev_b32_e32 v5, 1
	s_mov_b32 s13, exec_lo
	v_cmpx_ne_u16_e32 0x80, v10
	s_cbranch_execz .LBB367_1024
; %bb.1019:                             ;   in Loop: Header=BB367_803 Depth=1
	v_bfe_u32 v21, v19, 16, 7
	v_mov_b32_e32 v5, 0x7f800001
	s_mov_b32 s15, exec_lo
	v_cmpx_ne_u32_e32 0x7f, v21
	s_cbranch_execz .LBB367_1023
; %bb.1020:                             ;   in Loop: Header=BB367_803 Depth=1
	v_mov_b32_e32 v5, 7
	s_mov_b32 s18, exec_lo
	v_and_b32_sdwa v10, v19, v5 dst_sel:DWORD dst_unused:UNUSED_PAD src0_sel:WORD_1 src1_sel:DWORD
	v_lshrrev_b32_e32 v5, 3, v21
	v_cmpx_gt_u32_e32 8, v21
; %bb.1021:                             ;   in Loop: Header=BB367_803 Depth=1
	v_ffbh_u32_e32 v5, v10
	v_min_u32_e32 v5, 32, v5
	v_subrev_nc_u32_e32 v21, 28, v5
	v_sub_nc_u32_e32 v5, 29, v5
	v_lshlrev_b64 v[21:22], v21, v[10:11]
	v_and_b32_e32 v10, 7, v21
; %bb.1022:                             ;   in Loop: Header=BB367_803 Depth=1
	s_or_b32 exec_lo, exec_lo, s18
	v_mov_b32_e32 v21, 24
	v_lshlrev_b32_e32 v10, 20, v10
	v_lshl_add_u32 v5, v5, 23, 0x3c000000
	v_lshlrev_b32_sdwa v21, v21, v19 dst_sel:DWORD dst_unused:UNUSED_PAD src0_sel:DWORD src1_sel:WORD_1
	v_and_b32_e32 v21, 0x80000000, v21
	v_or3_b32 v5, v10, v21, v5
.LBB367_1023:                           ;   in Loop: Header=BB367_803 Depth=1
	s_or_b32 exec_lo, exec_lo, s15
.LBB367_1024:                           ;   in Loop: Header=BB367_803 Depth=1
	s_or_b32 exec_lo, exec_lo, s13
.LBB367_1025:                           ;   in Loop: Header=BB367_803 Depth=1
	s_or_b32 exec_lo, exec_lo, s12
	s_mov_b32 s12, exec_lo
	v_cmpx_lt_u32_e32 0xffffff, v19
	s_cbranch_execz .LBB367_1033
; %bb.1026:                             ;   in Loop: Header=BB367_803 Depth=1
	v_cmp_ne_u32_sdwa s4, v19, v64 src0_sel:BYTE_3 src1_sel:DWORD
	v_bfrev_b32_e32 v13, 1
	s_and_saveexec_b32 s13, s4
	s_cbranch_execz .LBB367_1032
; %bb.1027:                             ;   in Loop: Header=BB367_803 Depth=1
	v_bfe_u32 v21, v19, 24, 7
	v_mov_b32_e32 v13, 0x7f800001
	s_mov_b32 s15, exec_lo
	v_cmpx_ne_u32_e32 0x7f, v21
	s_cbranch_execz .LBB367_1031
; %bb.1028:                             ;   in Loop: Header=BB367_803 Depth=1
	v_mov_b32_e32 v10, 7
	v_lshrrev_b32_e32 v13, 3, v21
	s_mov_b32 s18, exec_lo
	v_and_b32_sdwa v10, v19, v10 dst_sel:DWORD dst_unused:UNUSED_PAD src0_sel:BYTE_3 src1_sel:DWORD
	v_cmpx_gt_u32_e32 8, v21
; %bb.1029:                             ;   in Loop: Header=BB367_803 Depth=1
	v_ffbh_u32_e32 v13, v10
	v_min_u32_e32 v13, 32, v13
	v_subrev_nc_u32_e32 v21, 28, v13
	v_sub_nc_u32_e32 v13, 29, v13
	v_lshlrev_b64 v[21:22], v21, v[10:11]
	v_and_b32_e32 v10, 7, v21
; %bb.1030:                             ;   in Loop: Header=BB367_803 Depth=1
	s_or_b32 exec_lo, exec_lo, s18
	v_mov_b32_e32 v21, 24
	v_lshlrev_b32_e32 v10, 20, v10
	v_lshl_add_u32 v13, v13, 23, 0x3c000000
	v_lshlrev_b32_sdwa v21, v21, v19 dst_sel:DWORD dst_unused:UNUSED_PAD src0_sel:DWORD src1_sel:BYTE_3
	v_and_b32_e32 v21, 0x80000000, v21
	v_or3_b32 v13, v10, v21, v13
.LBB367_1031:                           ;   in Loop: Header=BB367_803 Depth=1
	s_or_b32 exec_lo, exec_lo, s15
.LBB367_1032:                           ;   in Loop: Header=BB367_803 Depth=1
	s_or_b32 exec_lo, exec_lo, s13
.LBB367_1033:                           ;   in Loop: Header=BB367_803 Depth=1
	s_or_b32 exec_lo, exec_lo, s12
	v_mov_b32_e32 v10, v20
	v_cmp_ne_u16_sdwa s4, v20, v11 src0_sel:BYTE_0 src1_sel:DWORD
	v_mov_b32_e32 v22, 0
	v_mov_b32_e32 v21, 0
	s_and_saveexec_b32 s12, s4
	s_cbranch_execz .LBB367_1041
; %bb.1034:                             ;   in Loop: Header=BB367_803 Depth=1
	v_cmp_ne_u16_sdwa s4, v20, v64 src0_sel:BYTE_0 src1_sel:DWORD
	v_bfrev_b32_e32 v21, 1
	s_and_saveexec_b32 s13, s4
	s_cbranch_execz .LBB367_1040
; %bb.1035:                             ;   in Loop: Header=BB367_803 Depth=1
	v_and_b32_e32 v23, 0x7f, v20
	v_mov_b32_e32 v21, 0x7f800001
	s_mov_b32 s15, exec_lo
	v_cmpx_ne_u32_e32 0x7f, v23
	s_cbranch_execz .LBB367_1039
; %bb.1036:                             ;   in Loop: Header=BB367_803 Depth=1
	v_lshrrev_b32_e32 v21, 3, v23
	v_cmp_gt_u32_e64 s4, 8, v23
	v_mov_b32_e32 v24, v11
	v_mov_b32_e32 v23, v10
	s_and_saveexec_b32 s18, s4
; %bb.1037:                             ;   in Loop: Header=BB367_803 Depth=1
	v_and_b32_e32 v21, 7, v20
	v_ffbh_u32_e32 v21, v21
	v_min_u32_e32 v21, 32, v21
	v_subrev_nc_u32_e32 v23, 28, v21
	v_sub_nc_u32_e32 v21, 29, v21
	v_lshlrev_b64 v[23:24], v23, v[10:11]
; %bb.1038:                             ;   in Loop: Header=BB367_803 Depth=1
	s_or_b32 exec_lo, exec_lo, s18
	v_lshlrev_b32_e32 v23, 20, v23
	v_lshlrev_b32_e32 v24, 24, v10
	v_lshl_add_u32 v21, v21, 23, 0x3c000000
	v_and_b32_e32 v23, 0x700000, v23
	v_and_b32_e32 v24, 0x80000000, v24
	v_or3_b32 v21, v23, v24, v21
.LBB367_1039:                           ;   in Loop: Header=BB367_803 Depth=1
	s_or_b32 exec_lo, exec_lo, s15
.LBB367_1040:                           ;   in Loop: Header=BB367_803 Depth=1
	s_or_b32 exec_lo, exec_lo, s13
.LBB367_1041:                           ;   in Loop: Header=BB367_803 Depth=1
	s_or_b32 exec_lo, exec_lo, s12
	v_cmp_ne_u16_sdwa s4, v10, v11 src0_sel:BYTE_1 src1_sel:DWORD
	s_and_saveexec_b32 s12, s4
	s_cbranch_execz .LBB367_1049
; %bb.1042:                             ;   in Loop: Header=BB367_803 Depth=1
	v_cmp_ne_u16_sdwa s4, v10, v64 src0_sel:BYTE_1 src1_sel:DWORD
	v_bfrev_b32_e32 v22, 1
	s_and_saveexec_b32 s13, s4
	s_cbranch_execz .LBB367_1048
; %bb.1043:                             ;   in Loop: Header=BB367_803 Depth=1
	v_mov_b32_e32 v22, 0xffff
	s_mov_b32 s15, exec_lo
	v_and_b32_sdwa v23, v22, v10 dst_sel:DWORD dst_unused:UNUSED_PAD src0_sel:DWORD src1_sel:BYTE_1
	v_mov_b32_e32 v22, 0x7f800001
	v_and_b32_e32 v25, 0x7f, v23
	v_cmpx_ne_u32_e32 0x7f, v25
	s_cbranch_execz .LBB367_1047
; %bb.1044:                             ;   in Loop: Header=BB367_803 Depth=1
	v_and_b32_e32 v23, 7, v23
	v_mov_b32_e32 v24, v11
	v_lshrrev_b32_e32 v22, 3, v25
	s_mov_b32 s18, exec_lo
	v_cmpx_gt_u32_e32 8, v25
; %bb.1045:                             ;   in Loop: Header=BB367_803 Depth=1
	v_ffbh_u32_e32 v22, v23
	v_min_u32_e32 v22, 32, v22
	v_subrev_nc_u32_e32 v25, 28, v22
	v_sub_nc_u32_e32 v22, 29, v22
	v_lshlrev_b64 v[23:24], v25, v[23:24]
	v_and_b32_e32 v23, 7, v23
; %bb.1046:                             ;   in Loop: Header=BB367_803 Depth=1
	s_or_b32 exec_lo, exec_lo, s18
	v_lshlrev_b32_e32 v10, 16, v10
	v_lshlrev_b32_e32 v23, 20, v23
	v_lshl_add_u32 v22, v22, 23, 0x3c000000
	v_and_b32_e32 v10, 0x80000000, v10
	v_or3_b32 v22, v23, v10, v22
.LBB367_1047:                           ;   in Loop: Header=BB367_803 Depth=1
	s_or_b32 exec_lo, exec_lo, s15
.LBB367_1048:                           ;   in Loop: Header=BB367_803 Depth=1
	s_or_b32 exec_lo, exec_lo, s13
.LBB367_1049:                           ;   in Loop: Header=BB367_803 Depth=1
	s_or_b32 exec_lo, exec_lo, s12
	v_and_b32_sdwa v10, v20, v66 dst_sel:DWORD dst_unused:UNUSED_PAD src0_sel:WORD_1 src1_sel:DWORD
	v_mov_b32_e32 v23, 0
	v_mov_b32_e32 v24, 0
	s_mov_b32 s12, exec_lo
	v_cmpx_ne_u16_e32 0, v10
	s_cbranch_execz .LBB367_1057
; %bb.1050:                             ;   in Loop: Header=BB367_803 Depth=1
	v_bfrev_b32_e32 v24, 1
	s_mov_b32 s13, exec_lo
	v_cmpx_ne_u16_e32 0x80, v10
	s_cbranch_execz .LBB367_1056
; %bb.1051:                             ;   in Loop: Header=BB367_803 Depth=1
	v_bfe_u32 v25, v20, 16, 7
	v_mov_b32_e32 v24, 0x7f800001
	s_mov_b32 s15, exec_lo
	v_cmpx_ne_u32_e32 0x7f, v25
	s_cbranch_execz .LBB367_1055
; %bb.1052:                             ;   in Loop: Header=BB367_803 Depth=1
	v_mov_b32_e32 v10, 7
	v_lshrrev_b32_e32 v24, 3, v25
	s_mov_b32 s18, exec_lo
	v_and_b32_sdwa v10, v20, v10 dst_sel:DWORD dst_unused:UNUSED_PAD src0_sel:WORD_1 src1_sel:DWORD
	v_cmpx_gt_u32_e32 8, v25
; %bb.1053:                             ;   in Loop: Header=BB367_803 Depth=1
	v_ffbh_u32_e32 v24, v10
	v_min_u32_e32 v24, 32, v24
	v_subrev_nc_u32_e32 v25, 28, v24
	v_sub_nc_u32_e32 v24, 29, v24
	v_lshlrev_b64 v[34:35], v25, v[10:11]
	v_and_b32_e32 v10, 7, v34
; %bb.1054:                             ;   in Loop: Header=BB367_803 Depth=1
	s_or_b32 exec_lo, exec_lo, s18
	v_mov_b32_e32 v25, 24
	v_lshlrev_b32_e32 v10, 20, v10
	v_lshl_add_u32 v24, v24, 23, 0x3c000000
	v_lshlrev_b32_sdwa v25, v25, v20 dst_sel:DWORD dst_unused:UNUSED_PAD src0_sel:DWORD src1_sel:WORD_1
	v_and_b32_e32 v25, 0x80000000, v25
	v_or3_b32 v24, v10, v25, v24
.LBB367_1055:                           ;   in Loop: Header=BB367_803 Depth=1
	s_or_b32 exec_lo, exec_lo, s15
.LBB367_1056:                           ;   in Loop: Header=BB367_803 Depth=1
	s_or_b32 exec_lo, exec_lo, s13
.LBB367_1057:                           ;   in Loop: Header=BB367_803 Depth=1
	s_or_b32 exec_lo, exec_lo, s12
	s_mov_b32 s12, exec_lo
	v_cmpx_lt_u64_e64 s[8:9], v[19:20]
	s_cbranch_execz .LBB367_1065
; %bb.1058:                             ;   in Loop: Header=BB367_803 Depth=1
	v_cmp_ne_u32_sdwa s4, v20, v64 src0_sel:BYTE_3 src1_sel:DWORD
	v_bfrev_b32_e32 v23, 1
	s_and_saveexec_b32 s13, s4
	s_cbranch_execz .LBB367_1064
; %bb.1059:                             ;   in Loop: Header=BB367_803 Depth=1
	v_bfe_u32 v25, v20, 24, 7
	v_mov_b32_e32 v23, 0x7f800001
	s_mov_b32 s15, exec_lo
	v_cmpx_ne_u32_e32 0x7f, v25
	s_cbranch_execz .LBB367_1063
; %bb.1060:                             ;   in Loop: Header=BB367_803 Depth=1
	v_mov_b32_e32 v10, 7
	v_lshrrev_b32_e32 v19, 3, v25
	s_mov_b32 s18, exec_lo
	v_and_b32_sdwa v10, v20, v10 dst_sel:DWORD dst_unused:UNUSED_PAD src0_sel:BYTE_3 src1_sel:DWORD
	v_cmpx_gt_u32_e32 8, v25
; %bb.1061:                             ;   in Loop: Header=BB367_803 Depth=1
	v_ffbh_u32_e32 v19, v10
	v_min_u32_e32 v19, 32, v19
	v_subrev_nc_u32_e32 v23, 28, v19
	v_sub_nc_u32_e32 v19, 29, v19
	v_lshlrev_b64 v[34:35], v23, v[10:11]
	v_and_b32_e32 v10, 7, v34
; %bb.1062:                             ;   in Loop: Header=BB367_803 Depth=1
	s_or_b32 exec_lo, exec_lo, s18
	v_mov_b32_e32 v23, 24
	v_lshlrev_b32_e32 v10, 20, v10
	v_lshl_add_u32 v19, v19, 23, 0x3c000000
	v_lshlrev_b32_sdwa v20, v23, v20 dst_sel:DWORD dst_unused:UNUSED_PAD src0_sel:DWORD src1_sel:BYTE_3
	v_and_b32_e32 v20, 0x80000000, v20
	v_or3_b32 v23, v10, v20, v19
.LBB367_1063:                           ;   in Loop: Header=BB367_803 Depth=1
	s_or_b32 exec_lo, exec_lo, s15
.LBB367_1064:                           ;   in Loop: Header=BB367_803 Depth=1
	s_or_b32 exec_lo, exec_lo, s13
.LBB367_1065:                           ;   in Loop: Header=BB367_803 Depth=1
	s_or_b32 exec_lo, exec_lo, s12
	v_mul_f32_e32 v10, v26, v22
	v_mul_f32_e32 v19, v26, v21
	;; [unrolled: 1-line block ×5, first 2 shown]
	v_bfe_u32 v5, v10, 16, 1
	v_or_b32_e32 v21, 0x400000, v10
	v_bfe_u32 v22, v19, 16, 1
	v_cmp_u_f32_e64 s4, v10, v10
	v_or_b32_e32 v25, 0x400000, v19
	v_add3_u32 v5, v5, v10, 0x7fff
	v_bfe_u32 v27, v13, 16, 1
	v_add3_u32 v22, v22, v19, 0x7fff
	v_or_b32_e32 v34, 0x400000, v13
	v_bfe_u32 v35, v20, 16, 1
	v_cndmask_b32_e64 v5, v5, v21, s4
	v_cmp_u_f32_e64 s4, v19, v19
	v_add3_u32 v27, v27, v13, 0x7fff
	v_mul_f32_e32 v19, v26, v4
	v_add3_u32 v21, v35, v20, 0x7fff
	v_lshrrev_b32_e32 v5, 16, v5
	v_cndmask_b32_e64 v10, v22, v25, s4
	v_cmp_u_f32_e64 s4, v13, v13
	v_or_b32_e32 v22, 0x400000, v20
	v_lshrrev_b32_e32 v4, 16, v10
	v_cndmask_b32_e64 v13, v27, v34, s4
	v_bfe_u32 v10, v19, 16, 1
	v_cmp_u_f32_e64 s4, v20, v20
	v_mul_f32_e32 v20, v26, v24
	v_lshrrev_b32_e32 v36, 16, v13
	v_add3_u32 v10, v10, v19, 0x7fff
	v_cndmask_b32_e64 v13, v21, v22, s4
	v_or_b32_e32 v21, 0x400000, v19
	v_mul_f32_e32 v22, v26, v23
	v_bfe_u32 v23, v12, 16, 1
	v_cmp_u_f32_e64 s4, v19, v19
	v_bfe_u32 v24, v20, 16, 1
	v_or_b32_e32 v25, 0x400000, v20
	v_bfe_u32 v19, v22, 16, 1
	v_or_b32_e32 v27, 0x400000, v22
	v_cndmask_b32_e64 v10, v10, v21, s4
	v_add3_u32 v21, v23, v12, 0x7fff
	v_or_b32_e32 v23, 0x400000, v12
	v_cmp_u_f32_e64 s4, v12, v12
	v_add3_u32 v24, v24, v20, 0x7fff
	v_add3_u32 v19, v19, v22, 0x7fff
	v_lshrrev_b32_e32 v38, 16, v13
	v_lshrrev_b32_e32 v45, 16, v10
	v_cndmask_b32_e64 v12, v21, v23, s4
	v_cmp_u_f32_e64 s4, v20, v20
	v_lshrrev_b32_e32 v44, 16, v12
	v_cndmask_b32_e64 v20, v24, v25, s4
	v_cmp_u_f32_e64 s4, v22, v22
	v_lshrrev_b32_e32 v34, 16, v20
	v_cndmask_b32_e64 v19, v19, v27, s4
	v_lshrrev_b32_e32 v35, 16, v19
	s_and_saveexec_b32 s12, vcc_lo
	s_cbranch_execz .LBB367_1067
; %bb.1066:                             ;   in Loop: Header=BB367_803 Depth=1
	v_cmp_lt_i32_e64 s4, v117, v37
	v_cndmask_b32_e64 v44, 0, v44, s4
	v_cmp_lt_i32_e64 s4, v43, v37
	v_cndmask_b32_e64 v45, 0, v45, s4
	;; [unrolled: 2-line block ×8, first 2 shown]
.LBB367_1067:                           ;   in Loop: Header=BB367_803 Depth=1
	s_or_b32 exec_lo, exec_lo, s12
	flat_load_dwordx2 v[19:20], v[17:18] offset:1024
	v_mov_b32_e32 v13, 0
	v_mov_b32_e32 v12, 0
	s_waitcnt vmcnt(0) lgkmcnt(0)
	v_cmp_ne_u16_sdwa s4, v19, v11 src0_sel:BYTE_0 src1_sel:DWORD
	s_and_saveexec_b32 s12, s4
	s_cbranch_execz .LBB367_1075
; %bb.1068:                             ;   in Loop: Header=BB367_803 Depth=1
	v_cmp_ne_u16_sdwa s4, v19, v64 src0_sel:BYTE_0 src1_sel:DWORD
	v_bfrev_b32_e32 v12, 1
	s_and_saveexec_b32 s13, s4
	s_cbranch_execz .LBB367_1074
; %bb.1069:                             ;   in Loop: Header=BB367_803 Depth=1
	v_and_b32_e32 v21, 0x7f, v19
	v_mov_b32_e32 v12, 0x7f800001
	s_mov_b32 s15, exec_lo
	v_cmpx_ne_u32_e32 0x7f, v21
	s_cbranch_execz .LBB367_1073
; %bb.1070:                             ;   in Loop: Header=BB367_803 Depth=1
	v_mov_b32_e32 v24, v20
	v_lshrrev_b32_e32 v10, 3, v21
	v_mov_b32_e32 v23, v19
	s_mov_b32 s18, exec_lo
	v_cmpx_gt_u32_e32 8, v21
; %bb.1071:                             ;   in Loop: Header=BB367_803 Depth=1
	v_and_b32_e32 v10, 7, v19
	v_ffbh_u32_e32 v10, v10
	v_min_u32_e32 v10, 32, v10
	v_subrev_nc_u32_e32 v12, 28, v10
	v_sub_nc_u32_e32 v10, 29, v10
	v_lshlrev_b64 v[23:24], v12, v[19:20]
; %bb.1072:                             ;   in Loop: Header=BB367_803 Depth=1
	s_or_b32 exec_lo, exec_lo, s18
	v_lshlrev_b32_e32 v12, 20, v23
	v_lshlrev_b32_e32 v21, 24, v19
	v_lshl_add_u32 v10, v10, 23, 0x3c000000
	v_and_b32_e32 v12, 0x700000, v12
	v_and_b32_e32 v21, 0x80000000, v21
	v_or3_b32 v12, v12, v21, v10
.LBB367_1073:                           ;   in Loop: Header=BB367_803 Depth=1
	s_or_b32 exec_lo, exec_lo, s15
.LBB367_1074:                           ;   in Loop: Header=BB367_803 Depth=1
	s_or_b32 exec_lo, exec_lo, s13
.LBB367_1075:                           ;   in Loop: Header=BB367_803 Depth=1
	s_or_b32 exec_lo, exec_lo, s12
	v_cmp_ne_u16_sdwa s4, v19, v11 src0_sel:BYTE_1 src1_sel:DWORD
	s_and_saveexec_b32 s12, s4
	s_cbranch_execz .LBB367_1083
; %bb.1076:                             ;   in Loop: Header=BB367_803 Depth=1
	v_cmp_ne_u16_sdwa s4, v19, v64 src0_sel:BYTE_1 src1_sel:DWORD
	v_bfrev_b32_e32 v13, 1
	s_and_saveexec_b32 s13, s4
	s_cbranch_execz .LBB367_1082
; %bb.1077:                             ;   in Loop: Header=BB367_803 Depth=1
	v_mov_b32_e32 v10, 0xffff
	v_mov_b32_e32 v13, 0x7f800001
	s_mov_b32 s15, exec_lo
	v_and_b32_sdwa v10, v10, v19 dst_sel:DWORD dst_unused:UNUSED_PAD src0_sel:DWORD src1_sel:BYTE_1
	v_and_b32_e32 v21, 0x7f, v10
	v_cmpx_ne_u32_e32 0x7f, v21
	s_cbranch_execz .LBB367_1081
; %bb.1078:                             ;   in Loop: Header=BB367_803 Depth=1
	v_and_b32_e32 v10, 7, v10
	v_lshrrev_b32_e32 v13, 3, v21
	s_mov_b32 s18, exec_lo
	v_cmpx_gt_u32_e32 8, v21
; %bb.1079:                             ;   in Loop: Header=BB367_803 Depth=1
	v_ffbh_u32_e32 v13, v10
	v_min_u32_e32 v13, 32, v13
	v_subrev_nc_u32_e32 v21, 28, v13
	v_sub_nc_u32_e32 v13, 29, v13
	v_lshlrev_b64 v[21:22], v21, v[10:11]
	v_and_b32_e32 v10, 7, v21
; %bb.1080:                             ;   in Loop: Header=BB367_803 Depth=1
	s_or_b32 exec_lo, exec_lo, s18
	v_lshlrev_b32_e32 v21, 16, v19
	v_lshlrev_b32_e32 v10, 20, v10
	v_lshl_add_u32 v13, v13, 23, 0x3c000000
	v_and_b32_e32 v21, 0x80000000, v21
	v_or3_b32 v13, v10, v21, v13
.LBB367_1081:                           ;   in Loop: Header=BB367_803 Depth=1
	s_or_b32 exec_lo, exec_lo, s15
.LBB367_1082:                           ;   in Loop: Header=BB367_803 Depth=1
	s_or_b32 exec_lo, exec_lo, s13
.LBB367_1083:                           ;   in Loop: Header=BB367_803 Depth=1
	s_or_b32 exec_lo, exec_lo, s12
	v_and_b32_sdwa v10, v19, v66 dst_sel:DWORD dst_unused:UNUSED_PAD src0_sel:WORD_1 src1_sel:DWORD
	v_mov_b32_e32 v22, 0
	v_mov_b32_e32 v21, 0
	s_mov_b32 s12, exec_lo
	v_cmpx_ne_u16_e32 0, v10
	s_cbranch_execz .LBB367_1091
; %bb.1084:                             ;   in Loop: Header=BB367_803 Depth=1
	v_bfrev_b32_e32 v21, 1
	s_mov_b32 s13, exec_lo
	v_cmpx_ne_u16_e32 0x80, v10
	s_cbranch_execz .LBB367_1090
; %bb.1085:                             ;   in Loop: Header=BB367_803 Depth=1
	v_bfe_u32 v23, v19, 16, 7
	v_mov_b32_e32 v21, 0x7f800001
	s_mov_b32 s15, exec_lo
	v_cmpx_ne_u32_e32 0x7f, v23
	s_cbranch_execz .LBB367_1089
; %bb.1086:                             ;   in Loop: Header=BB367_803 Depth=1
	v_mov_b32_e32 v10, 7
	v_lshrrev_b32_e32 v21, 3, v23
	s_mov_b32 s18, exec_lo
	v_and_b32_sdwa v10, v19, v10 dst_sel:DWORD dst_unused:UNUSED_PAD src0_sel:WORD_1 src1_sel:DWORD
	v_cmpx_gt_u32_e32 8, v23
; %bb.1087:                             ;   in Loop: Header=BB367_803 Depth=1
	v_ffbh_u32_e32 v21, v10
	v_min_u32_e32 v21, 32, v21
	v_subrev_nc_u32_e32 v23, 28, v21
	v_sub_nc_u32_e32 v21, 29, v21
	v_lshlrev_b64 v[23:24], v23, v[10:11]
	v_and_b32_e32 v10, 7, v23
; %bb.1088:                             ;   in Loop: Header=BB367_803 Depth=1
	s_or_b32 exec_lo, exec_lo, s18
	v_mov_b32_e32 v23, 24
	v_lshlrev_b32_e32 v10, 20, v10
	v_lshl_add_u32 v21, v21, 23, 0x3c000000
	v_lshlrev_b32_sdwa v23, v23, v19 dst_sel:DWORD dst_unused:UNUSED_PAD src0_sel:DWORD src1_sel:WORD_1
	v_and_b32_e32 v23, 0x80000000, v23
	v_or3_b32 v21, v10, v23, v21
.LBB367_1089:                           ;   in Loop: Header=BB367_803 Depth=1
	s_or_b32 exec_lo, exec_lo, s15
.LBB367_1090:                           ;   in Loop: Header=BB367_803 Depth=1
	s_or_b32 exec_lo, exec_lo, s13
.LBB367_1091:                           ;   in Loop: Header=BB367_803 Depth=1
	s_or_b32 exec_lo, exec_lo, s12
	s_mov_b32 s12, exec_lo
	v_cmpx_lt_u32_e32 0xffffff, v19
	s_cbranch_execz .LBB367_1099
; %bb.1092:                             ;   in Loop: Header=BB367_803 Depth=1
	v_cmp_ne_u32_sdwa s4, v19, v64 src0_sel:BYTE_3 src1_sel:DWORD
	v_bfrev_b32_e32 v22, 1
	s_and_saveexec_b32 s13, s4
	s_cbranch_execz .LBB367_1098
; %bb.1093:                             ;   in Loop: Header=BB367_803 Depth=1
	v_bfe_u32 v23, v19, 24, 7
	v_mov_b32_e32 v22, 0x7f800001
	s_mov_b32 s15, exec_lo
	v_cmpx_ne_u32_e32 0x7f, v23
	s_cbranch_execz .LBB367_1097
; %bb.1094:                             ;   in Loop: Header=BB367_803 Depth=1
	v_mov_b32_e32 v10, 7
	v_lshrrev_b32_e32 v22, 3, v23
	s_mov_b32 s18, exec_lo
	v_and_b32_sdwa v10, v19, v10 dst_sel:DWORD dst_unused:UNUSED_PAD src0_sel:BYTE_3 src1_sel:DWORD
	v_cmpx_gt_u32_e32 8, v23
; %bb.1095:                             ;   in Loop: Header=BB367_803 Depth=1
	v_ffbh_u32_e32 v22, v10
	v_min_u32_e32 v22, 32, v22
	v_subrev_nc_u32_e32 v23, 28, v22
	v_sub_nc_u32_e32 v22, 29, v22
	v_lshlrev_b64 v[23:24], v23, v[10:11]
	v_and_b32_e32 v10, 7, v23
; %bb.1096:                             ;   in Loop: Header=BB367_803 Depth=1
	s_or_b32 exec_lo, exec_lo, s18
	v_mov_b32_e32 v23, 24
	v_lshlrev_b32_e32 v10, 20, v10
	v_lshl_add_u32 v22, v22, 23, 0x3c000000
	v_lshlrev_b32_sdwa v23, v23, v19 dst_sel:DWORD dst_unused:UNUSED_PAD src0_sel:DWORD src1_sel:BYTE_3
	v_and_b32_e32 v23, 0x80000000, v23
	v_or3_b32 v22, v10, v23, v22
.LBB367_1097:                           ;   in Loop: Header=BB367_803 Depth=1
	s_or_b32 exec_lo, exec_lo, s15
.LBB367_1098:                           ;   in Loop: Header=BB367_803 Depth=1
	s_or_b32 exec_lo, exec_lo, s13
.LBB367_1099:                           ;   in Loop: Header=BB367_803 Depth=1
	s_or_b32 exec_lo, exec_lo, s12
	v_mov_b32_e32 v10, v20
	v_cmp_ne_u16_sdwa s4, v20, v11 src0_sel:BYTE_0 src1_sel:DWORD
	v_mov_b32_e32 v27, 0
	v_mov_b32_e32 v25, 0
	s_and_saveexec_b32 s12, s4
	s_cbranch_execz .LBB367_1107
; %bb.1100:                             ;   in Loop: Header=BB367_803 Depth=1
	v_cmp_ne_u16_sdwa s4, v20, v64 src0_sel:BYTE_0 src1_sel:DWORD
	v_bfrev_b32_e32 v25, 1
	s_and_saveexec_b32 s13, s4
	s_cbranch_execz .LBB367_1106
; %bb.1101:                             ;   in Loop: Header=BB367_803 Depth=1
	v_and_b32_e32 v23, 0x7f, v20
	v_mov_b32_e32 v25, 0x7f800001
	s_mov_b32 s15, exec_lo
	v_cmpx_ne_u32_e32 0x7f, v23
	s_cbranch_execz .LBB367_1105
; %bb.1102:                             ;   in Loop: Header=BB367_803 Depth=1
	v_lshrrev_b32_e32 v25, 3, v23
	v_cmp_gt_u32_e64 s4, 8, v23
	v_mov_b32_e32 v24, v11
	v_mov_b32_e32 v23, v10
	s_and_saveexec_b32 s18, s4
; %bb.1103:                             ;   in Loop: Header=BB367_803 Depth=1
	v_and_b32_e32 v23, 7, v20
	v_ffbh_u32_e32 v23, v23
	v_min_u32_e32 v25, 32, v23
	v_subrev_nc_u32_e32 v23, 28, v25
	v_sub_nc_u32_e32 v25, 29, v25
	v_lshlrev_b64 v[23:24], v23, v[10:11]
; %bb.1104:                             ;   in Loop: Header=BB367_803 Depth=1
	s_or_b32 exec_lo, exec_lo, s18
	v_lshlrev_b32_e32 v23, 20, v23
	v_lshlrev_b32_e32 v24, 24, v10
	v_lshl_add_u32 v25, v25, 23, 0x3c000000
	v_and_b32_e32 v23, 0x700000, v23
	v_and_b32_e32 v24, 0x80000000, v24
	v_or3_b32 v25, v23, v24, v25
.LBB367_1105:                           ;   in Loop: Header=BB367_803 Depth=1
	s_or_b32 exec_lo, exec_lo, s15
.LBB367_1106:                           ;   in Loop: Header=BB367_803 Depth=1
	s_or_b32 exec_lo, exec_lo, s13
.LBB367_1107:                           ;   in Loop: Header=BB367_803 Depth=1
	s_or_b32 exec_lo, exec_lo, s12
	v_cmp_ne_u16_sdwa s4, v10, v11 src0_sel:BYTE_1 src1_sel:DWORD
	s_and_saveexec_b32 s12, s4
	s_cbranch_execz .LBB367_1115
; %bb.1108:                             ;   in Loop: Header=BB367_803 Depth=1
	v_cmp_ne_u16_sdwa s4, v10, v64 src0_sel:BYTE_1 src1_sel:DWORD
	v_bfrev_b32_e32 v27, 1
	s_and_saveexec_b32 s13, s4
	s_cbranch_execz .LBB367_1114
; %bb.1109:                             ;   in Loop: Header=BB367_803 Depth=1
	v_mov_b32_e32 v23, 0xffff
	v_mov_b32_e32 v27, 0x7f800001
	s_mov_b32 s15, exec_lo
	v_and_b32_sdwa v23, v23, v10 dst_sel:DWORD dst_unused:UNUSED_PAD src0_sel:DWORD src1_sel:BYTE_1
	v_and_b32_e32 v39, 0x7f, v23
	v_cmpx_ne_u32_e32 0x7f, v39
	s_cbranch_execz .LBB367_1113
; %bb.1110:                             ;   in Loop: Header=BB367_803 Depth=1
	v_and_b32_e32 v23, 7, v23
	v_mov_b32_e32 v24, v11
	v_lshrrev_b32_e32 v27, 3, v39
	s_mov_b32 s18, exec_lo
	v_cmpx_gt_u32_e32 8, v39
; %bb.1111:                             ;   in Loop: Header=BB367_803 Depth=1
	v_ffbh_u32_e32 v27, v23
	v_min_u32_e32 v27, 32, v27
	v_subrev_nc_u32_e32 v39, 28, v27
	v_sub_nc_u32_e32 v27, 29, v27
	v_lshlrev_b64 v[23:24], v39, v[23:24]
	v_and_b32_e32 v23, 7, v23
; %bb.1112:                             ;   in Loop: Header=BB367_803 Depth=1
	s_or_b32 exec_lo, exec_lo, s18
	v_lshlrev_b32_e32 v10, 16, v10
	v_lshlrev_b32_e32 v23, 20, v23
	v_lshl_add_u32 v24, v27, 23, 0x3c000000
	v_and_b32_e32 v10, 0x80000000, v10
	v_or3_b32 v27, v23, v10, v24
.LBB367_1113:                           ;   in Loop: Header=BB367_803 Depth=1
	s_or_b32 exec_lo, exec_lo, s15
.LBB367_1114:                           ;   in Loop: Header=BB367_803 Depth=1
	s_or_b32 exec_lo, exec_lo, s13
.LBB367_1115:                           ;   in Loop: Header=BB367_803 Depth=1
	s_or_b32 exec_lo, exec_lo, s12
	v_and_b32_sdwa v10, v20, v66 dst_sel:DWORD dst_unused:UNUSED_PAD src0_sel:WORD_1 src1_sel:DWORD
	v_mov_b32_e32 v65, 0
	v_mov_b32_e32 v67, 0
	s_mov_b32 s12, exec_lo
	v_cmpx_ne_u16_e32 0, v10
	s_cbranch_execz .LBB367_1123
; %bb.1116:                             ;   in Loop: Header=BB367_803 Depth=1
	v_bfrev_b32_e32 v67, 1
	s_mov_b32 s13, exec_lo
	v_cmpx_ne_u16_e32 0x80, v10
	s_cbranch_execz .LBB367_1122
; %bb.1117:                             ;   in Loop: Header=BB367_803 Depth=1
	v_bfe_u32 v23, v20, 16, 7
	v_mov_b32_e32 v67, 0x7f800001
	s_mov_b32 s15, exec_lo
	v_cmpx_ne_u32_e32 0x7f, v23
	s_cbranch_execz .LBB367_1121
; %bb.1118:                             ;   in Loop: Header=BB367_803 Depth=1
	v_mov_b32_e32 v10, 7
	v_lshrrev_b32_e32 v39, 3, v23
	v_cmp_gt_u32_e64 s4, 8, v23
	v_and_b32_sdwa v10, v20, v10 dst_sel:DWORD dst_unused:UNUSED_PAD src0_sel:WORD_1 src1_sel:DWORD
	v_mov_b32_e32 v24, v11
	v_mov_b32_e32 v23, v10
	s_and_saveexec_b32 s18, s4
; %bb.1119:                             ;   in Loop: Header=BB367_803 Depth=1
	v_ffbh_u32_e32 v23, v10
	v_min_u32_e32 v39, 32, v23
	v_subrev_nc_u32_e32 v23, 28, v39
	v_sub_nc_u32_e32 v39, 29, v39
	v_lshlrev_b64 v[23:24], v23, v[10:11]
	v_and_b32_e32 v23, 7, v23
; %bb.1120:                             ;   in Loop: Header=BB367_803 Depth=1
	s_or_b32 exec_lo, exec_lo, s18
	v_mov_b32_e32 v10, 24
	v_lshlrev_b32_e32 v23, 20, v23
	v_lshl_add_u32 v24, v39, 23, 0x3c000000
	v_lshlrev_b32_sdwa v10, v10, v20 dst_sel:DWORD dst_unused:UNUSED_PAD src0_sel:DWORD src1_sel:WORD_1
	v_and_b32_e32 v10, 0x80000000, v10
	v_or3_b32 v67, v23, v10, v24
.LBB367_1121:                           ;   in Loop: Header=BB367_803 Depth=1
	s_or_b32 exec_lo, exec_lo, s15
.LBB367_1122:                           ;   in Loop: Header=BB367_803 Depth=1
	s_or_b32 exec_lo, exec_lo, s13
.LBB367_1123:                           ;   in Loop: Header=BB367_803 Depth=1
	s_or_b32 exec_lo, exec_lo, s12
	s_mov_b32 s12, exec_lo
	v_cmpx_lt_u64_e64 s[8:9], v[19:20]
	s_cbranch_execz .LBB367_1131
; %bb.1124:                             ;   in Loop: Header=BB367_803 Depth=1
	v_cmp_ne_u32_sdwa s4, v20, v64 src0_sel:BYTE_3 src1_sel:DWORD
	v_bfrev_b32_e32 v65, 1
	s_and_saveexec_b32 s13, s4
	s_cbranch_execz .LBB367_1130
; %bb.1125:                             ;   in Loop: Header=BB367_803 Depth=1
	v_bfe_u32 v23, v20, 24, 7
	v_mov_b32_e32 v65, 0x7f800001
	s_mov_b32 s15, exec_lo
	v_cmpx_ne_u32_e32 0x7f, v23
	s_cbranch_execz .LBB367_1129
; %bb.1126:                             ;   in Loop: Header=BB367_803 Depth=1
	v_mov_b32_e32 v10, 7
	v_lshrrev_b32_e32 v19, 3, v23
	v_cmp_gt_u32_e64 s4, 8, v23
	v_and_b32_sdwa v10, v20, v10 dst_sel:DWORD dst_unused:UNUSED_PAD src0_sel:BYTE_3 src1_sel:DWORD
	v_mov_b32_e32 v24, v11
	v_mov_b32_e32 v23, v10
	s_and_saveexec_b32 s18, s4
; %bb.1127:                             ;   in Loop: Header=BB367_803 Depth=1
	v_ffbh_u32_e32 v19, v10
	v_min_u32_e32 v19, 32, v19
	v_subrev_nc_u32_e32 v23, 28, v19
	v_sub_nc_u32_e32 v19, 29, v19
	v_lshlrev_b64 v[23:24], v23, v[10:11]
	v_and_b32_e32 v23, 7, v23
; %bb.1128:                             ;   in Loop: Header=BB367_803 Depth=1
	s_or_b32 exec_lo, exec_lo, s18
	v_mov_b32_e32 v10, 24
	v_lshl_add_u32 v19, v19, 23, 0x3c000000
	v_lshlrev_b32_sdwa v10, v10, v20 dst_sel:DWORD dst_unused:UNUSED_PAD src0_sel:DWORD src1_sel:BYTE_3
	v_lshlrev_b32_e32 v20, 20, v23
	v_and_b32_e32 v10, 0x80000000, v10
	v_or3_b32 v65, v20, v10, v19
.LBB367_1129:                           ;   in Loop: Header=BB367_803 Depth=1
	s_or_b32 exec_lo, exec_lo, s15
.LBB367_1130:                           ;   in Loop: Header=BB367_803 Depth=1
	s_or_b32 exec_lo, exec_lo, s13
.LBB367_1131:                           ;   in Loop: Header=BB367_803 Depth=1
	s_or_b32 exec_lo, exec_lo, s12
	v_mul_f32_e32 v10, v26, v27
	v_mul_f32_e32 v19, v26, v25
	v_mul_f32_e32 v20, v26, v22
	v_mul_f32_e32 v21, v26, v21
	v_mul_f32_e32 v12, v26, v12
	v_bfe_u32 v22, v10, 16, 1
	v_or_b32_e32 v23, 0x400000, v10
	v_bfe_u32 v24, v19, 16, 1
	v_cmp_u_f32_e64 s4, v10, v10
	v_or_b32_e32 v25, 0x400000, v19
	v_add3_u32 v22, v22, v10, 0x7fff
	v_bfe_u32 v27, v20, 16, 1
	v_add3_u32 v24, v24, v19, 0x7fff
	v_or_b32_e32 v39, 0x400000, v20
	v_bfe_u32 v68, v21, 16, 1
	v_cndmask_b32_e64 v10, v22, v23, s4
	v_cmp_u_f32_e64 s4, v19, v19
	v_add3_u32 v27, v27, v20, 0x7fff
	v_or_b32_e32 v23, 0x400000, v21
	v_cndmask_b32_e64 v19, v24, v25, s4
	v_cmp_u_f32_e64 s4, v20, v20
	v_bfe_u32 v24, v12, 16, 1
	v_lshrrev_b32_e32 v22, 16, v19
	v_cndmask_b32_e64 v20, v27, v39, s4
	v_lshrrev_b32_e32 v39, 16, v10
	v_mul_f32_e32 v10, v26, v13
	v_add3_u32 v13, v68, v21, 0x7fff
	v_cmp_u_f32_e64 s4, v21, v21
	v_lshrrev_b32_e32 v56, 16, v20
	v_mul_f32_e32 v20, v26, v67
	v_bfe_u32 v19, v10, 16, 1
	v_or_b32_e32 v21, 0x400000, v10
	v_cndmask_b32_e64 v13, v13, v23, s4
	v_cmp_u_f32_e64 s4, v10, v10
	v_mul_f32_e32 v23, v26, v65
	v_add3_u32 v19, v19, v10, 0x7fff
	v_bfe_u32 v25, v20, 16, 1
	v_or_b32_e32 v27, 0x400000, v20
	v_lshrrev_b32_e32 v57, 16, v13
	v_or_b32_e32 v65, 0x400000, v23
	v_cndmask_b32_e64 v10, v19, v21, s4
	v_add3_u32 v21, v24, v12, 0x7fff
	v_or_b32_e32 v24, 0x400000, v12
	v_cmp_u_f32_e64 s4, v12, v12
	v_bfe_u32 v19, v23, 16, 1
	v_add3_u32 v25, v25, v20, 0x7fff
	v_lshrrev_b32_e32 v59, 16, v10
	v_cndmask_b32_e64 v12, v21, v24, s4
	v_cmp_u_f32_e64 s4, v20, v20
	v_add3_u32 v19, v19, v23, 0x7fff
	v_lshrrev_b32_e32 v58, 16, v12
	v_cndmask_b32_e64 v20, v25, v27, s4
	v_cmp_u_f32_e64 s4, v23, v23
	v_lshrrev_b32_e32 v46, 16, v20
	v_cndmask_b32_e64 v19, v19, v65, s4
	v_lshrrev_b32_e32 v47, 16, v19
	s_and_saveexec_b32 s12, vcc_lo
	s_cbranch_execz .LBB367_1133
; %bb.1132:                             ;   in Loop: Header=BB367_803 Depth=1
	v_cmp_lt_i32_e64 s4, v117, v37
	v_cndmask_b32_e64 v58, 0, v58, s4
	v_cmp_lt_i32_e64 s4, v43, v37
	v_cndmask_b32_e64 v59, 0, v59, s4
	;; [unrolled: 2-line block ×8, first 2 shown]
.LBB367_1133:                           ;   in Loop: Header=BB367_803 Depth=1
	s_or_b32 exec_lo, exec_lo, s12
	flat_load_dwordx2 v[19:20], v[17:18] offset:1280
	v_mov_b32_e32 v13, 0
	v_mov_b32_e32 v12, 0
	s_waitcnt vmcnt(0) lgkmcnt(0)
	v_cmp_ne_u16_sdwa s4, v19, v11 src0_sel:BYTE_0 src1_sel:DWORD
	s_and_saveexec_b32 s12, s4
	s_cbranch_execz .LBB367_1141
; %bb.1134:                             ;   in Loop: Header=BB367_803 Depth=1
	v_cmp_ne_u16_sdwa s4, v19, v64 src0_sel:BYTE_0 src1_sel:DWORD
	v_bfrev_b32_e32 v12, 1
	s_and_saveexec_b32 s13, s4
	s_cbranch_execz .LBB367_1140
; %bb.1135:                             ;   in Loop: Header=BB367_803 Depth=1
	v_and_b32_e32 v21, 0x7f, v19
	v_mov_b32_e32 v12, 0x7f800001
	s_mov_b32 s15, exec_lo
	v_cmpx_ne_u32_e32 0x7f, v21
	s_cbranch_execz .LBB367_1139
; %bb.1136:                             ;   in Loop: Header=BB367_803 Depth=1
	v_mov_b32_e32 v24, v20
	v_lshrrev_b32_e32 v10, 3, v21
	v_mov_b32_e32 v23, v19
	s_mov_b32 s18, exec_lo
	v_cmpx_gt_u32_e32 8, v21
; %bb.1137:                             ;   in Loop: Header=BB367_803 Depth=1
	v_and_b32_e32 v10, 7, v19
	v_ffbh_u32_e32 v10, v10
	v_min_u32_e32 v10, 32, v10
	v_subrev_nc_u32_e32 v12, 28, v10
	v_sub_nc_u32_e32 v10, 29, v10
	v_lshlrev_b64 v[23:24], v12, v[19:20]
; %bb.1138:                             ;   in Loop: Header=BB367_803 Depth=1
	s_or_b32 exec_lo, exec_lo, s18
	v_lshlrev_b32_e32 v12, 20, v23
	v_lshlrev_b32_e32 v21, 24, v19
	v_lshl_add_u32 v10, v10, 23, 0x3c000000
	v_and_b32_e32 v12, 0x700000, v12
	v_and_b32_e32 v21, 0x80000000, v21
	v_or3_b32 v12, v12, v21, v10
.LBB367_1139:                           ;   in Loop: Header=BB367_803 Depth=1
	s_or_b32 exec_lo, exec_lo, s15
.LBB367_1140:                           ;   in Loop: Header=BB367_803 Depth=1
	s_or_b32 exec_lo, exec_lo, s13
.LBB367_1141:                           ;   in Loop: Header=BB367_803 Depth=1
	s_or_b32 exec_lo, exec_lo, s12
	v_cmp_ne_u16_sdwa s4, v19, v11 src0_sel:BYTE_1 src1_sel:DWORD
	s_and_saveexec_b32 s12, s4
	s_cbranch_execz .LBB367_1149
; %bb.1142:                             ;   in Loop: Header=BB367_803 Depth=1
	v_cmp_ne_u16_sdwa s4, v19, v64 src0_sel:BYTE_1 src1_sel:DWORD
	v_bfrev_b32_e32 v13, 1
	s_and_saveexec_b32 s13, s4
	s_cbranch_execz .LBB367_1148
; %bb.1143:                             ;   in Loop: Header=BB367_803 Depth=1
	v_mov_b32_e32 v10, 0xffff
	v_mov_b32_e32 v13, 0x7f800001
	s_mov_b32 s15, exec_lo
	v_and_b32_sdwa v10, v10, v19 dst_sel:DWORD dst_unused:UNUSED_PAD src0_sel:DWORD src1_sel:BYTE_1
	v_and_b32_e32 v21, 0x7f, v10
	v_cmpx_ne_u32_e32 0x7f, v21
	s_cbranch_execz .LBB367_1147
; %bb.1144:                             ;   in Loop: Header=BB367_803 Depth=1
	v_and_b32_e32 v10, 7, v10
	v_mov_b32_e32 v24, v11
	v_lshrrev_b32_e32 v13, 3, v21
	s_mov_b32 s18, exec_lo
	v_mov_b32_e32 v23, v10
	v_cmpx_gt_u32_e32 8, v21
; %bb.1145:                             ;   in Loop: Header=BB367_803 Depth=1
	v_ffbh_u32_e32 v13, v10
	v_min_u32_e32 v13, 32, v13
	v_subrev_nc_u32_e32 v21, 28, v13
	v_sub_nc_u32_e32 v13, 29, v13
	v_lshlrev_b64 v[23:24], v21, v[10:11]
	v_and_b32_e32 v23, 7, v23
; %bb.1146:                             ;   in Loop: Header=BB367_803 Depth=1
	s_or_b32 exec_lo, exec_lo, s18
	v_lshlrev_b32_e32 v10, 16, v19
	v_lshlrev_b32_e32 v21, 20, v23
	v_lshl_add_u32 v13, v13, 23, 0x3c000000
	v_and_b32_e32 v10, 0x80000000, v10
	v_or3_b32 v13, v21, v10, v13
.LBB367_1147:                           ;   in Loop: Header=BB367_803 Depth=1
	s_or_b32 exec_lo, exec_lo, s15
.LBB367_1148:                           ;   in Loop: Header=BB367_803 Depth=1
	s_or_b32 exec_lo, exec_lo, s13
.LBB367_1149:                           ;   in Loop: Header=BB367_803 Depth=1
	s_or_b32 exec_lo, exec_lo, s12
	v_and_b32_sdwa v10, v19, v66 dst_sel:DWORD dst_unused:UNUSED_PAD src0_sel:WORD_1 src1_sel:DWORD
	v_mov_b32_e32 v25, 0
	v_mov_b32_e32 v21, 0
	s_mov_b32 s12, exec_lo
	v_cmpx_ne_u16_e32 0, v10
	s_cbranch_execz .LBB367_1157
; %bb.1150:                             ;   in Loop: Header=BB367_803 Depth=1
	v_bfrev_b32_e32 v21, 1
	s_mov_b32 s13, exec_lo
	v_cmpx_ne_u16_e32 0x80, v10
	s_cbranch_execz .LBB367_1156
; %bb.1151:                             ;   in Loop: Header=BB367_803 Depth=1
	v_bfe_u32 v23, v19, 16, 7
	v_mov_b32_e32 v21, 0x7f800001
	s_mov_b32 s15, exec_lo
	v_cmpx_ne_u32_e32 0x7f, v23
	s_cbranch_execz .LBB367_1155
; %bb.1152:                             ;   in Loop: Header=BB367_803 Depth=1
	v_mov_b32_e32 v10, 7
	v_lshrrev_b32_e32 v21, 3, v23
	v_cmp_gt_u32_e64 s4, 8, v23
	v_and_b32_sdwa v10, v19, v10 dst_sel:DWORD dst_unused:UNUSED_PAD src0_sel:WORD_1 src1_sel:DWORD
	v_mov_b32_e32 v24, v11
	v_mov_b32_e32 v23, v10
	s_and_saveexec_b32 s18, s4
; %bb.1153:                             ;   in Loop: Header=BB367_803 Depth=1
	v_ffbh_u32_e32 v21, v10
	v_min_u32_e32 v21, 32, v21
	v_subrev_nc_u32_e32 v23, 28, v21
	v_sub_nc_u32_e32 v21, 29, v21
	v_lshlrev_b64 v[23:24], v23, v[10:11]
	v_and_b32_e32 v23, 7, v23
; %bb.1154:                             ;   in Loop: Header=BB367_803 Depth=1
	s_or_b32 exec_lo, exec_lo, s18
	v_mov_b32_e32 v10, 24
	v_lshlrev_b32_e32 v23, 20, v23
	v_lshl_add_u32 v21, v21, 23, 0x3c000000
	v_lshlrev_b32_sdwa v10, v10, v19 dst_sel:DWORD dst_unused:UNUSED_PAD src0_sel:DWORD src1_sel:WORD_1
	v_and_b32_e32 v10, 0x80000000, v10
	v_or3_b32 v21, v23, v10, v21
.LBB367_1155:                           ;   in Loop: Header=BB367_803 Depth=1
	s_or_b32 exec_lo, exec_lo, s15
.LBB367_1156:                           ;   in Loop: Header=BB367_803 Depth=1
	s_or_b32 exec_lo, exec_lo, s13
.LBB367_1157:                           ;   in Loop: Header=BB367_803 Depth=1
	s_or_b32 exec_lo, exec_lo, s12
	s_mov_b32 s12, exec_lo
	v_cmpx_lt_u32_e32 0xffffff, v19
	s_cbranch_execz .LBB367_1165
; %bb.1158:                             ;   in Loop: Header=BB367_803 Depth=1
	v_cmp_ne_u32_sdwa s4, v19, v64 src0_sel:BYTE_3 src1_sel:DWORD
	v_bfrev_b32_e32 v25, 1
	s_and_saveexec_b32 s13, s4
	s_cbranch_execz .LBB367_1164
; %bb.1159:                             ;   in Loop: Header=BB367_803 Depth=1
	v_bfe_u32 v23, v19, 24, 7
	v_mov_b32_e32 v25, 0x7f800001
	s_mov_b32 s15, exec_lo
	v_cmpx_ne_u32_e32 0x7f, v23
	s_cbranch_execz .LBB367_1163
; %bb.1160:                             ;   in Loop: Header=BB367_803 Depth=1
	v_mov_b32_e32 v10, 7
	v_lshrrev_b32_e32 v25, 3, v23
	v_cmp_gt_u32_e64 s4, 8, v23
	v_and_b32_sdwa v10, v19, v10 dst_sel:DWORD dst_unused:UNUSED_PAD src0_sel:BYTE_3 src1_sel:DWORD
	v_mov_b32_e32 v24, v11
	v_mov_b32_e32 v23, v10
	s_and_saveexec_b32 s18, s4
; %bb.1161:                             ;   in Loop: Header=BB367_803 Depth=1
	v_ffbh_u32_e32 v23, v10
	v_min_u32_e32 v25, 32, v23
	v_subrev_nc_u32_e32 v23, 28, v25
	v_sub_nc_u32_e32 v25, 29, v25
	v_lshlrev_b64 v[23:24], v23, v[10:11]
	v_and_b32_e32 v23, 7, v23
; %bb.1162:                             ;   in Loop: Header=BB367_803 Depth=1
	s_or_b32 exec_lo, exec_lo, s18
	v_mov_b32_e32 v10, 24
	v_lshlrev_b32_e32 v23, 20, v23
	v_lshl_add_u32 v24, v25, 23, 0x3c000000
	v_lshlrev_b32_sdwa v10, v10, v19 dst_sel:DWORD dst_unused:UNUSED_PAD src0_sel:DWORD src1_sel:BYTE_3
	v_and_b32_e32 v10, 0x80000000, v10
	v_or3_b32 v25, v23, v10, v24
.LBB367_1163:                           ;   in Loop: Header=BB367_803 Depth=1
	s_or_b32 exec_lo, exec_lo, s15
.LBB367_1164:                           ;   in Loop: Header=BB367_803 Depth=1
	s_or_b32 exec_lo, exec_lo, s13
.LBB367_1165:                           ;   in Loop: Header=BB367_803 Depth=1
	s_or_b32 exec_lo, exec_lo, s12
	v_mov_b32_e32 v10, v20
	v_cmp_ne_u16_sdwa s4, v20, v11 src0_sel:BYTE_0 src1_sel:DWORD
	v_mov_b32_e32 v65, 0
	v_mov_b32_e32 v27, 0
	s_and_saveexec_b32 s12, s4
	s_cbranch_execz .LBB367_1173
; %bb.1166:                             ;   in Loop: Header=BB367_803 Depth=1
	v_cmp_ne_u16_sdwa s4, v20, v64 src0_sel:BYTE_0 src1_sel:DWORD
	v_bfrev_b32_e32 v27, 1
	s_and_saveexec_b32 s13, s4
	s_cbranch_execz .LBB367_1172
; %bb.1167:                             ;   in Loop: Header=BB367_803 Depth=1
	v_and_b32_e32 v23, 0x7f, v20
	v_mov_b32_e32 v27, 0x7f800001
	s_mov_b32 s15, exec_lo
	v_cmpx_ne_u32_e32 0x7f, v23
	s_cbranch_execz .LBB367_1171
; %bb.1168:                             ;   in Loop: Header=BB367_803 Depth=1
	v_lshrrev_b32_e32 v27, 3, v23
	v_cmp_gt_u32_e64 s4, 8, v23
	v_mov_b32_e32 v24, v11
	v_mov_b32_e32 v23, v10
	s_and_saveexec_b32 s18, s4
; %bb.1169:                             ;   in Loop: Header=BB367_803 Depth=1
	v_and_b32_e32 v23, 7, v20
	v_ffbh_u32_e32 v23, v23
	v_min_u32_e32 v27, 32, v23
	v_subrev_nc_u32_e32 v23, 28, v27
	v_sub_nc_u32_e32 v27, 29, v27
	v_lshlrev_b64 v[23:24], v23, v[10:11]
; %bb.1170:                             ;   in Loop: Header=BB367_803 Depth=1
	s_or_b32 exec_lo, exec_lo, s18
	v_lshlrev_b32_e32 v23, 20, v23
	v_lshlrev_b32_e32 v24, 24, v10
	v_lshl_add_u32 v27, v27, 23, 0x3c000000
	v_and_b32_e32 v23, 0x700000, v23
	v_and_b32_e32 v24, 0x80000000, v24
	v_or3_b32 v27, v23, v24, v27
.LBB367_1171:                           ;   in Loop: Header=BB367_803 Depth=1
	s_or_b32 exec_lo, exec_lo, s15
.LBB367_1172:                           ;   in Loop: Header=BB367_803 Depth=1
	s_or_b32 exec_lo, exec_lo, s13
.LBB367_1173:                           ;   in Loop: Header=BB367_803 Depth=1
	s_or_b32 exec_lo, exec_lo, s12
	v_cmp_ne_u16_sdwa s4, v10, v11 src0_sel:BYTE_1 src1_sel:DWORD
	s_and_saveexec_b32 s12, s4
	s_cbranch_execz .LBB367_1181
; %bb.1174:                             ;   in Loop: Header=BB367_803 Depth=1
	v_cmp_ne_u16_sdwa s4, v10, v64 src0_sel:BYTE_1 src1_sel:DWORD
	v_bfrev_b32_e32 v65, 1
	s_and_saveexec_b32 s13, s4
	s_cbranch_execz .LBB367_1180
; %bb.1175:                             ;   in Loop: Header=BB367_803 Depth=1
	v_mov_b32_e32 v23, 0xffff
	v_mov_b32_e32 v65, 0x7f800001
	s_mov_b32 s15, exec_lo
	v_and_b32_sdwa v23, v23, v10 dst_sel:DWORD dst_unused:UNUSED_PAD src0_sel:DWORD src1_sel:BYTE_1
	v_and_b32_e32 v67, 0x7f, v23
	v_cmpx_ne_u32_e32 0x7f, v67
	s_cbranch_execz .LBB367_1179
; %bb.1176:                             ;   in Loop: Header=BB367_803 Depth=1
	v_and_b32_e32 v23, 7, v23
	v_mov_b32_e32 v24, v11
	v_lshrrev_b32_e32 v65, 3, v67
	s_mov_b32 s18, exec_lo
	v_cmpx_gt_u32_e32 8, v67
; %bb.1177:                             ;   in Loop: Header=BB367_803 Depth=1
	v_ffbh_u32_e32 v65, v23
	v_min_u32_e32 v65, 32, v65
	v_subrev_nc_u32_e32 v67, 28, v65
	v_sub_nc_u32_e32 v65, 29, v65
	v_lshlrev_b64 v[23:24], v67, v[23:24]
	v_and_b32_e32 v23, 7, v23
; %bb.1178:                             ;   in Loop: Header=BB367_803 Depth=1
	s_or_b32 exec_lo, exec_lo, s18
	v_lshlrev_b32_e32 v10, 16, v10
	v_lshlrev_b32_e32 v23, 20, v23
	v_lshl_add_u32 v24, v65, 23, 0x3c000000
	v_and_b32_e32 v10, 0x80000000, v10
	v_or3_b32 v65, v23, v10, v24
.LBB367_1179:                           ;   in Loop: Header=BB367_803 Depth=1
	s_or_b32 exec_lo, exec_lo, s15
.LBB367_1180:                           ;   in Loop: Header=BB367_803 Depth=1
	s_or_b32 exec_lo, exec_lo, s13
.LBB367_1181:                           ;   in Loop: Header=BB367_803 Depth=1
	s_or_b32 exec_lo, exec_lo, s12
	v_and_b32_sdwa v10, v20, v66 dst_sel:DWORD dst_unused:UNUSED_PAD src0_sel:WORD_1 src1_sel:DWORD
	v_mov_b32_e32 v67, 0
	v_mov_b32_e32 v68, 0
	s_mov_b32 s12, exec_lo
	v_cmpx_ne_u16_e32 0, v10
	s_cbranch_execz .LBB367_1189
; %bb.1182:                             ;   in Loop: Header=BB367_803 Depth=1
	v_bfrev_b32_e32 v68, 1
	s_mov_b32 s13, exec_lo
	v_cmpx_ne_u16_e32 0x80, v10
	s_cbranch_execz .LBB367_1188
; %bb.1183:                             ;   in Loop: Header=BB367_803 Depth=1
	v_bfe_u32 v23, v20, 16, 7
	v_mov_b32_e32 v68, 0x7f800001
	s_mov_b32 s15, exec_lo
	v_cmpx_ne_u32_e32 0x7f, v23
	s_cbranch_execz .LBB367_1187
; %bb.1184:                             ;   in Loop: Header=BB367_803 Depth=1
	v_mov_b32_e32 v10, 7
	v_lshrrev_b32_e32 v68, 3, v23
	v_cmp_gt_u32_e64 s4, 8, v23
	v_and_b32_sdwa v10, v20, v10 dst_sel:DWORD dst_unused:UNUSED_PAD src0_sel:WORD_1 src1_sel:DWORD
	v_mov_b32_e32 v24, v11
	v_mov_b32_e32 v23, v10
	s_and_saveexec_b32 s18, s4
; %bb.1185:                             ;   in Loop: Header=BB367_803 Depth=1
	v_ffbh_u32_e32 v23, v10
	v_min_u32_e32 v68, 32, v23
	v_subrev_nc_u32_e32 v23, 28, v68
	v_sub_nc_u32_e32 v68, 29, v68
	v_lshlrev_b64 v[23:24], v23, v[10:11]
	v_and_b32_e32 v23, 7, v23
; %bb.1186:                             ;   in Loop: Header=BB367_803 Depth=1
	s_or_b32 exec_lo, exec_lo, s18
	v_mov_b32_e32 v10, 24
	v_lshlrev_b32_e32 v23, 20, v23
	v_lshl_add_u32 v24, v68, 23, 0x3c000000
	v_lshlrev_b32_sdwa v10, v10, v20 dst_sel:DWORD dst_unused:UNUSED_PAD src0_sel:DWORD src1_sel:WORD_1
	v_and_b32_e32 v10, 0x80000000, v10
	v_or3_b32 v68, v23, v10, v24
.LBB367_1187:                           ;   in Loop: Header=BB367_803 Depth=1
	s_or_b32 exec_lo, exec_lo, s15
.LBB367_1188:                           ;   in Loop: Header=BB367_803 Depth=1
	s_or_b32 exec_lo, exec_lo, s13
.LBB367_1189:                           ;   in Loop: Header=BB367_803 Depth=1
	s_or_b32 exec_lo, exec_lo, s12
	s_mov_b32 s12, exec_lo
	v_cmpx_lt_u64_e64 s[8:9], v[19:20]
	s_cbranch_execz .LBB367_1197
; %bb.1190:                             ;   in Loop: Header=BB367_803 Depth=1
	v_cmp_ne_u32_sdwa s4, v20, v64 src0_sel:BYTE_3 src1_sel:DWORD
	v_bfrev_b32_e32 v67, 1
	s_and_saveexec_b32 s13, s4
	s_cbranch_execz .LBB367_1196
; %bb.1191:                             ;   in Loop: Header=BB367_803 Depth=1
	v_bfe_u32 v23, v20, 24, 7
	v_mov_b32_e32 v67, 0x7f800001
	s_mov_b32 s15, exec_lo
	v_cmpx_ne_u32_e32 0x7f, v23
	s_cbranch_execz .LBB367_1195
; %bb.1192:                             ;   in Loop: Header=BB367_803 Depth=1
	v_mov_b32_e32 v10, 7
	v_lshrrev_b32_e32 v19, 3, v23
	v_cmp_gt_u32_e64 s4, 8, v23
	v_and_b32_sdwa v10, v20, v10 dst_sel:DWORD dst_unused:UNUSED_PAD src0_sel:BYTE_3 src1_sel:DWORD
	v_mov_b32_e32 v24, v11
	v_mov_b32_e32 v23, v10
	s_and_saveexec_b32 s18, s4
; %bb.1193:                             ;   in Loop: Header=BB367_803 Depth=1
	v_ffbh_u32_e32 v19, v10
	v_min_u32_e32 v19, 32, v19
	v_subrev_nc_u32_e32 v23, 28, v19
	v_sub_nc_u32_e32 v19, 29, v19
	v_lshlrev_b64 v[23:24], v23, v[10:11]
	v_and_b32_e32 v23, 7, v23
; %bb.1194:                             ;   in Loop: Header=BB367_803 Depth=1
	s_or_b32 exec_lo, exec_lo, s18
	v_mov_b32_e32 v10, 24
	v_lshl_add_u32 v19, v19, 23, 0x3c000000
	v_lshlrev_b32_sdwa v10, v10, v20 dst_sel:DWORD dst_unused:UNUSED_PAD src0_sel:DWORD src1_sel:BYTE_3
	v_lshlrev_b32_e32 v20, 20, v23
	v_and_b32_e32 v10, 0x80000000, v10
	v_or3_b32 v67, v20, v10, v19
.LBB367_1195:                           ;   in Loop: Header=BB367_803 Depth=1
	s_or_b32 exec_lo, exec_lo, s15
.LBB367_1196:                           ;   in Loop: Header=BB367_803 Depth=1
	s_or_b32 exec_lo, exec_lo, s13
.LBB367_1197:                           ;   in Loop: Header=BB367_803 Depth=1
	s_or_b32 exec_lo, exec_lo, s12
	v_mul_f32_e32 v10, v26, v65
	v_mul_f32_e32 v19, v26, v27
	;; [unrolled: 1-line block ×5, first 2 shown]
	v_bfe_u32 v23, v10, 16, 1
	v_or_b32_e32 v24, 0x400000, v10
	v_bfe_u32 v25, v19, 16, 1
	v_cmp_u_f32_e64 s4, v10, v10
	v_or_b32_e32 v27, 0x400000, v19
	v_add3_u32 v23, v23, v10, 0x7fff
	v_bfe_u32 v65, v20, 16, 1
	v_add3_u32 v25, v25, v19, 0x7fff
	v_or_b32_e32 v69, 0x400000, v20
	v_bfe_u32 v70, v21, 16, 1
	v_cndmask_b32_e64 v10, v23, v24, s4
	v_cmp_u_f32_e64 s4, v19, v19
	v_add3_u32 v65, v65, v20, 0x7fff
	v_or_b32_e32 v23, 0x400000, v21
	v_bfe_u32 v24, v12, 16, 1
	v_lshrrev_b32_e32 v61, 16, v10
	v_cndmask_b32_e64 v19, v25, v27, s4
	v_cmp_u_f32_e64 s4, v20, v20
	v_mul_f32_e32 v10, v26, v13
	v_add3_u32 v13, v70, v21, 0x7fff
	v_lshrrev_b32_e32 v60, 16, v19
	v_cndmask_b32_e64 v20, v65, v69, s4
	v_bfe_u32 v19, v10, 16, 1
	v_cmp_u_f32_e64 s4, v21, v21
	v_or_b32_e32 v21, 0x400000, v10
	v_lshrrev_b32_e32 v72, 16, v20
	v_mul_f32_e32 v20, v26, v68
	v_cndmask_b32_e64 v13, v13, v23, s4
	v_add3_u32 v19, v19, v10, 0x7fff
	v_cmp_u_f32_e64 s4, v10, v10
	v_mul_f32_e32 v23, v26, v67
	v_bfe_u32 v25, v20, 16, 1
	v_or_b32_e32 v27, 0x400000, v20
	v_lshrrev_b32_e32 v73, 16, v13
	v_cndmask_b32_e64 v10, v19, v21, s4
	v_add3_u32 v21, v24, v12, 0x7fff
	v_or_b32_e32 v24, 0x400000, v12
	v_cmp_u_f32_e64 s4, v12, v12
	v_bfe_u32 v19, v23, 16, 1
	v_add3_u32 v25, v25, v20, 0x7fff
	v_or_b32_e32 v65, 0x400000, v23
	v_lshrrev_b32_e32 v75, 16, v10
	v_cndmask_b32_e64 v12, v21, v24, s4
	v_cmp_u_f32_e64 s4, v20, v20
	v_add3_u32 v19, v19, v23, 0x7fff
	v_lshrrev_b32_e32 v74, 16, v12
	v_cndmask_b32_e64 v20, v25, v27, s4
	v_cmp_u_f32_e64 s4, v23, v23
	v_lshrrev_b32_e32 v62, 16, v20
	v_cndmask_b32_e64 v19, v19, v65, s4
	v_lshrrev_b32_e32 v63, 16, v19
	s_and_saveexec_b32 s12, vcc_lo
	s_cbranch_execz .LBB367_1199
; %bb.1198:                             ;   in Loop: Header=BB367_803 Depth=1
	v_cmp_lt_i32_e64 s4, v117, v37
	v_cndmask_b32_e64 v74, 0, v74, s4
	v_cmp_lt_i32_e64 s4, v43, v37
	v_cndmask_b32_e64 v75, 0, v75, s4
	;; [unrolled: 2-line block ×8, first 2 shown]
.LBB367_1199:                           ;   in Loop: Header=BB367_803 Depth=1
	s_or_b32 exec_lo, exec_lo, s12
	flat_load_dwordx2 v[19:20], v[17:18] offset:1536
	v_mov_b32_e32 v13, 0
	v_mov_b32_e32 v12, 0
	s_waitcnt vmcnt(0) lgkmcnt(0)
	v_cmp_ne_u16_sdwa s4, v19, v11 src0_sel:BYTE_0 src1_sel:DWORD
	s_and_saveexec_b32 s12, s4
	s_cbranch_execz .LBB367_1207
; %bb.1200:                             ;   in Loop: Header=BB367_803 Depth=1
	v_cmp_ne_u16_sdwa s4, v19, v64 src0_sel:BYTE_0 src1_sel:DWORD
	v_bfrev_b32_e32 v12, 1
	s_and_saveexec_b32 s13, s4
	s_cbranch_execz .LBB367_1206
; %bb.1201:                             ;   in Loop: Header=BB367_803 Depth=1
	v_and_b32_e32 v21, 0x7f, v19
	v_mov_b32_e32 v12, 0x7f800001
	s_mov_b32 s15, exec_lo
	v_cmpx_ne_u32_e32 0x7f, v21
	s_cbranch_execz .LBB367_1205
; %bb.1202:                             ;   in Loop: Header=BB367_803 Depth=1
	v_mov_b32_e32 v24, v20
	v_lshrrev_b32_e32 v10, 3, v21
	v_mov_b32_e32 v23, v19
	s_mov_b32 s18, exec_lo
	v_cmpx_gt_u32_e32 8, v21
; %bb.1203:                             ;   in Loop: Header=BB367_803 Depth=1
	v_and_b32_e32 v10, 7, v19
	v_ffbh_u32_e32 v10, v10
	v_min_u32_e32 v10, 32, v10
	v_subrev_nc_u32_e32 v12, 28, v10
	v_sub_nc_u32_e32 v10, 29, v10
	v_lshlrev_b64 v[23:24], v12, v[19:20]
; %bb.1204:                             ;   in Loop: Header=BB367_803 Depth=1
	s_or_b32 exec_lo, exec_lo, s18
	v_lshlrev_b32_e32 v12, 20, v23
	v_lshlrev_b32_e32 v21, 24, v19
	v_lshl_add_u32 v10, v10, 23, 0x3c000000
	v_and_b32_e32 v12, 0x700000, v12
	v_and_b32_e32 v21, 0x80000000, v21
	v_or3_b32 v12, v12, v21, v10
.LBB367_1205:                           ;   in Loop: Header=BB367_803 Depth=1
	s_or_b32 exec_lo, exec_lo, s15
.LBB367_1206:                           ;   in Loop: Header=BB367_803 Depth=1
	s_or_b32 exec_lo, exec_lo, s13
.LBB367_1207:                           ;   in Loop: Header=BB367_803 Depth=1
	s_or_b32 exec_lo, exec_lo, s12
	v_cmp_ne_u16_sdwa s4, v19, v11 src0_sel:BYTE_1 src1_sel:DWORD
	s_and_saveexec_b32 s12, s4
	s_cbranch_execz .LBB367_1215
; %bb.1208:                             ;   in Loop: Header=BB367_803 Depth=1
	v_cmp_ne_u16_sdwa s4, v19, v64 src0_sel:BYTE_1 src1_sel:DWORD
	v_bfrev_b32_e32 v13, 1
	s_and_saveexec_b32 s13, s4
	s_cbranch_execz .LBB367_1214
; %bb.1209:                             ;   in Loop: Header=BB367_803 Depth=1
	v_mov_b32_e32 v10, 0xffff
	v_mov_b32_e32 v13, 0x7f800001
	s_mov_b32 s15, exec_lo
	v_and_b32_sdwa v10, v10, v19 dst_sel:DWORD dst_unused:UNUSED_PAD src0_sel:DWORD src1_sel:BYTE_1
	v_and_b32_e32 v21, 0x7f, v10
	v_cmpx_ne_u32_e32 0x7f, v21
	s_cbranch_execz .LBB367_1213
; %bb.1210:                             ;   in Loop: Header=BB367_803 Depth=1
	v_and_b32_e32 v10, 7, v10
	v_mov_b32_e32 v24, v11
	v_lshrrev_b32_e32 v13, 3, v21
	s_mov_b32 s18, exec_lo
	v_mov_b32_e32 v23, v10
	v_cmpx_gt_u32_e32 8, v21
; %bb.1211:                             ;   in Loop: Header=BB367_803 Depth=1
	v_ffbh_u32_e32 v13, v10
	v_min_u32_e32 v13, 32, v13
	v_subrev_nc_u32_e32 v21, 28, v13
	v_sub_nc_u32_e32 v13, 29, v13
	v_lshlrev_b64 v[23:24], v21, v[10:11]
	v_and_b32_e32 v23, 7, v23
; %bb.1212:                             ;   in Loop: Header=BB367_803 Depth=1
	s_or_b32 exec_lo, exec_lo, s18
	v_lshlrev_b32_e32 v10, 16, v19
	v_lshlrev_b32_e32 v21, 20, v23
	v_lshl_add_u32 v13, v13, 23, 0x3c000000
	v_and_b32_e32 v10, 0x80000000, v10
	v_or3_b32 v13, v21, v10, v13
.LBB367_1213:                           ;   in Loop: Header=BB367_803 Depth=1
	s_or_b32 exec_lo, exec_lo, s15
.LBB367_1214:                           ;   in Loop: Header=BB367_803 Depth=1
	s_or_b32 exec_lo, exec_lo, s13
.LBB367_1215:                           ;   in Loop: Header=BB367_803 Depth=1
	s_or_b32 exec_lo, exec_lo, s12
	v_and_b32_sdwa v10, v19, v66 dst_sel:DWORD dst_unused:UNUSED_PAD src0_sel:WORD_1 src1_sel:DWORD
	v_mov_b32_e32 v25, 0
	v_mov_b32_e32 v21, 0
	s_mov_b32 s12, exec_lo
	v_cmpx_ne_u16_e32 0, v10
	s_cbranch_execz .LBB367_1223
; %bb.1216:                             ;   in Loop: Header=BB367_803 Depth=1
	v_bfrev_b32_e32 v21, 1
	s_mov_b32 s13, exec_lo
	v_cmpx_ne_u16_e32 0x80, v10
	s_cbranch_execz .LBB367_1222
; %bb.1217:                             ;   in Loop: Header=BB367_803 Depth=1
	v_bfe_u32 v23, v19, 16, 7
	v_mov_b32_e32 v21, 0x7f800001
	s_mov_b32 s15, exec_lo
	v_cmpx_ne_u32_e32 0x7f, v23
	s_cbranch_execz .LBB367_1221
; %bb.1218:                             ;   in Loop: Header=BB367_803 Depth=1
	v_mov_b32_e32 v10, 7
	v_lshrrev_b32_e32 v21, 3, v23
	v_cmp_gt_u32_e64 s4, 8, v23
	v_and_b32_sdwa v10, v19, v10 dst_sel:DWORD dst_unused:UNUSED_PAD src0_sel:WORD_1 src1_sel:DWORD
	v_mov_b32_e32 v24, v11
	v_mov_b32_e32 v23, v10
	s_and_saveexec_b32 s18, s4
; %bb.1219:                             ;   in Loop: Header=BB367_803 Depth=1
	v_ffbh_u32_e32 v21, v10
	v_min_u32_e32 v21, 32, v21
	v_subrev_nc_u32_e32 v23, 28, v21
	v_sub_nc_u32_e32 v21, 29, v21
	v_lshlrev_b64 v[23:24], v23, v[10:11]
	v_and_b32_e32 v23, 7, v23
; %bb.1220:                             ;   in Loop: Header=BB367_803 Depth=1
	s_or_b32 exec_lo, exec_lo, s18
	v_mov_b32_e32 v10, 24
	v_lshlrev_b32_e32 v23, 20, v23
	v_lshl_add_u32 v21, v21, 23, 0x3c000000
	v_lshlrev_b32_sdwa v10, v10, v19 dst_sel:DWORD dst_unused:UNUSED_PAD src0_sel:DWORD src1_sel:WORD_1
	v_and_b32_e32 v10, 0x80000000, v10
	v_or3_b32 v21, v23, v10, v21
.LBB367_1221:                           ;   in Loop: Header=BB367_803 Depth=1
	s_or_b32 exec_lo, exec_lo, s15
.LBB367_1222:                           ;   in Loop: Header=BB367_803 Depth=1
	s_or_b32 exec_lo, exec_lo, s13
.LBB367_1223:                           ;   in Loop: Header=BB367_803 Depth=1
	s_or_b32 exec_lo, exec_lo, s12
	s_mov_b32 s12, exec_lo
	v_cmpx_lt_u32_e32 0xffffff, v19
	s_cbranch_execz .LBB367_1231
; %bb.1224:                             ;   in Loop: Header=BB367_803 Depth=1
	v_cmp_ne_u32_sdwa s4, v19, v64 src0_sel:BYTE_3 src1_sel:DWORD
	v_bfrev_b32_e32 v25, 1
	s_and_saveexec_b32 s13, s4
	s_cbranch_execz .LBB367_1230
; %bb.1225:                             ;   in Loop: Header=BB367_803 Depth=1
	v_bfe_u32 v23, v19, 24, 7
	v_mov_b32_e32 v25, 0x7f800001
	s_mov_b32 s15, exec_lo
	v_cmpx_ne_u32_e32 0x7f, v23
	s_cbranch_execz .LBB367_1229
; %bb.1226:                             ;   in Loop: Header=BB367_803 Depth=1
	v_mov_b32_e32 v10, 7
	v_lshrrev_b32_e32 v25, 3, v23
	v_cmp_gt_u32_e64 s4, 8, v23
	v_and_b32_sdwa v10, v19, v10 dst_sel:DWORD dst_unused:UNUSED_PAD src0_sel:BYTE_3 src1_sel:DWORD
	v_mov_b32_e32 v24, v11
	v_mov_b32_e32 v23, v10
	s_and_saveexec_b32 s18, s4
; %bb.1227:                             ;   in Loop: Header=BB367_803 Depth=1
	v_ffbh_u32_e32 v23, v10
	v_min_u32_e32 v25, 32, v23
	v_subrev_nc_u32_e32 v23, 28, v25
	v_sub_nc_u32_e32 v25, 29, v25
	v_lshlrev_b64 v[23:24], v23, v[10:11]
	v_and_b32_e32 v23, 7, v23
; %bb.1228:                             ;   in Loop: Header=BB367_803 Depth=1
	s_or_b32 exec_lo, exec_lo, s18
	v_mov_b32_e32 v10, 24
	v_lshlrev_b32_e32 v23, 20, v23
	v_lshl_add_u32 v24, v25, 23, 0x3c000000
	v_lshlrev_b32_sdwa v10, v10, v19 dst_sel:DWORD dst_unused:UNUSED_PAD src0_sel:DWORD src1_sel:BYTE_3
	v_and_b32_e32 v10, 0x80000000, v10
	v_or3_b32 v25, v23, v10, v24
.LBB367_1229:                           ;   in Loop: Header=BB367_803 Depth=1
	s_or_b32 exec_lo, exec_lo, s15
.LBB367_1230:                           ;   in Loop: Header=BB367_803 Depth=1
	s_or_b32 exec_lo, exec_lo, s13
.LBB367_1231:                           ;   in Loop: Header=BB367_803 Depth=1
	s_or_b32 exec_lo, exec_lo, s12
	v_mov_b32_e32 v10, v20
	v_cmp_ne_u16_sdwa s4, v20, v11 src0_sel:BYTE_0 src1_sel:DWORD
	v_mov_b32_e32 v65, 0
	v_mov_b32_e32 v27, 0
	s_and_saveexec_b32 s12, s4
	s_cbranch_execz .LBB367_1239
; %bb.1232:                             ;   in Loop: Header=BB367_803 Depth=1
	v_cmp_ne_u16_sdwa s4, v20, v64 src0_sel:BYTE_0 src1_sel:DWORD
	v_bfrev_b32_e32 v27, 1
	s_and_saveexec_b32 s13, s4
	s_cbranch_execz .LBB367_1238
; %bb.1233:                             ;   in Loop: Header=BB367_803 Depth=1
	v_and_b32_e32 v23, 0x7f, v20
	v_mov_b32_e32 v27, 0x7f800001
	s_mov_b32 s15, exec_lo
	v_cmpx_ne_u32_e32 0x7f, v23
	s_cbranch_execz .LBB367_1237
; %bb.1234:                             ;   in Loop: Header=BB367_803 Depth=1
	v_lshrrev_b32_e32 v27, 3, v23
	v_cmp_gt_u32_e64 s4, 8, v23
	v_mov_b32_e32 v24, v11
	v_mov_b32_e32 v23, v10
	s_and_saveexec_b32 s18, s4
; %bb.1235:                             ;   in Loop: Header=BB367_803 Depth=1
	v_and_b32_e32 v23, 7, v20
	v_ffbh_u32_e32 v23, v23
	v_min_u32_e32 v27, 32, v23
	v_subrev_nc_u32_e32 v23, 28, v27
	v_sub_nc_u32_e32 v27, 29, v27
	v_lshlrev_b64 v[23:24], v23, v[10:11]
; %bb.1236:                             ;   in Loop: Header=BB367_803 Depth=1
	s_or_b32 exec_lo, exec_lo, s18
	v_lshlrev_b32_e32 v23, 20, v23
	v_lshlrev_b32_e32 v24, 24, v10
	v_lshl_add_u32 v27, v27, 23, 0x3c000000
	v_and_b32_e32 v23, 0x700000, v23
	v_and_b32_e32 v24, 0x80000000, v24
	v_or3_b32 v27, v23, v24, v27
.LBB367_1237:                           ;   in Loop: Header=BB367_803 Depth=1
	s_or_b32 exec_lo, exec_lo, s15
.LBB367_1238:                           ;   in Loop: Header=BB367_803 Depth=1
	s_or_b32 exec_lo, exec_lo, s13
.LBB367_1239:                           ;   in Loop: Header=BB367_803 Depth=1
	s_or_b32 exec_lo, exec_lo, s12
	v_cmp_ne_u16_sdwa s4, v10, v11 src0_sel:BYTE_1 src1_sel:DWORD
	s_and_saveexec_b32 s12, s4
	s_cbranch_execz .LBB367_1247
; %bb.1240:                             ;   in Loop: Header=BB367_803 Depth=1
	v_cmp_ne_u16_sdwa s4, v10, v64 src0_sel:BYTE_1 src1_sel:DWORD
	v_bfrev_b32_e32 v65, 1
	s_and_saveexec_b32 s13, s4
	s_cbranch_execz .LBB367_1246
; %bb.1241:                             ;   in Loop: Header=BB367_803 Depth=1
	v_mov_b32_e32 v23, 0xffff
	v_mov_b32_e32 v65, 0x7f800001
	s_mov_b32 s15, exec_lo
	v_and_b32_sdwa v23, v23, v10 dst_sel:DWORD dst_unused:UNUSED_PAD src0_sel:DWORD src1_sel:BYTE_1
	v_and_b32_e32 v67, 0x7f, v23
	v_cmpx_ne_u32_e32 0x7f, v67
	s_cbranch_execz .LBB367_1245
; %bb.1242:                             ;   in Loop: Header=BB367_803 Depth=1
	v_and_b32_e32 v23, 7, v23
	v_mov_b32_e32 v24, v11
	v_lshrrev_b32_e32 v65, 3, v67
	s_mov_b32 s18, exec_lo
	v_cmpx_gt_u32_e32 8, v67
; %bb.1243:                             ;   in Loop: Header=BB367_803 Depth=1
	v_ffbh_u32_e32 v65, v23
	v_min_u32_e32 v65, 32, v65
	v_subrev_nc_u32_e32 v67, 28, v65
	v_sub_nc_u32_e32 v65, 29, v65
	v_lshlrev_b64 v[23:24], v67, v[23:24]
	v_and_b32_e32 v23, 7, v23
; %bb.1244:                             ;   in Loop: Header=BB367_803 Depth=1
	s_or_b32 exec_lo, exec_lo, s18
	v_lshlrev_b32_e32 v10, 16, v10
	v_lshlrev_b32_e32 v23, 20, v23
	v_lshl_add_u32 v24, v65, 23, 0x3c000000
	v_and_b32_e32 v10, 0x80000000, v10
	v_or3_b32 v65, v23, v10, v24
.LBB367_1245:                           ;   in Loop: Header=BB367_803 Depth=1
	s_or_b32 exec_lo, exec_lo, s15
.LBB367_1246:                           ;   in Loop: Header=BB367_803 Depth=1
	s_or_b32 exec_lo, exec_lo, s13
.LBB367_1247:                           ;   in Loop: Header=BB367_803 Depth=1
	s_or_b32 exec_lo, exec_lo, s12
	v_and_b32_sdwa v10, v20, v66 dst_sel:DWORD dst_unused:UNUSED_PAD src0_sel:WORD_1 src1_sel:DWORD
	v_mov_b32_e32 v67, 0
	v_mov_b32_e32 v68, 0
	s_mov_b32 s12, exec_lo
	v_cmpx_ne_u16_e32 0, v10
	s_cbranch_execz .LBB367_1255
; %bb.1248:                             ;   in Loop: Header=BB367_803 Depth=1
	v_bfrev_b32_e32 v68, 1
	s_mov_b32 s13, exec_lo
	v_cmpx_ne_u16_e32 0x80, v10
	s_cbranch_execz .LBB367_1254
; %bb.1249:                             ;   in Loop: Header=BB367_803 Depth=1
	v_bfe_u32 v23, v20, 16, 7
	v_mov_b32_e32 v68, 0x7f800001
	s_mov_b32 s15, exec_lo
	v_cmpx_ne_u32_e32 0x7f, v23
	s_cbranch_execz .LBB367_1253
; %bb.1250:                             ;   in Loop: Header=BB367_803 Depth=1
	v_mov_b32_e32 v10, 7
	v_lshrrev_b32_e32 v68, 3, v23
	v_cmp_gt_u32_e64 s4, 8, v23
	v_and_b32_sdwa v10, v20, v10 dst_sel:DWORD dst_unused:UNUSED_PAD src0_sel:WORD_1 src1_sel:DWORD
	v_mov_b32_e32 v24, v11
	v_mov_b32_e32 v23, v10
	s_and_saveexec_b32 s18, s4
; %bb.1251:                             ;   in Loop: Header=BB367_803 Depth=1
	v_ffbh_u32_e32 v23, v10
	v_min_u32_e32 v68, 32, v23
	v_subrev_nc_u32_e32 v23, 28, v68
	v_sub_nc_u32_e32 v68, 29, v68
	v_lshlrev_b64 v[23:24], v23, v[10:11]
	v_and_b32_e32 v23, 7, v23
; %bb.1252:                             ;   in Loop: Header=BB367_803 Depth=1
	s_or_b32 exec_lo, exec_lo, s18
	v_mov_b32_e32 v10, 24
	v_lshlrev_b32_e32 v23, 20, v23
	v_lshl_add_u32 v24, v68, 23, 0x3c000000
	v_lshlrev_b32_sdwa v10, v10, v20 dst_sel:DWORD dst_unused:UNUSED_PAD src0_sel:DWORD src1_sel:WORD_1
	v_and_b32_e32 v10, 0x80000000, v10
	v_or3_b32 v68, v23, v10, v24
.LBB367_1253:                           ;   in Loop: Header=BB367_803 Depth=1
	s_or_b32 exec_lo, exec_lo, s15
.LBB367_1254:                           ;   in Loop: Header=BB367_803 Depth=1
	s_or_b32 exec_lo, exec_lo, s13
.LBB367_1255:                           ;   in Loop: Header=BB367_803 Depth=1
	s_or_b32 exec_lo, exec_lo, s12
	s_mov_b32 s12, exec_lo
	v_cmpx_lt_u64_e64 s[8:9], v[19:20]
	s_cbranch_execz .LBB367_1263
; %bb.1256:                             ;   in Loop: Header=BB367_803 Depth=1
	v_cmp_ne_u32_sdwa s4, v20, v64 src0_sel:BYTE_3 src1_sel:DWORD
	v_bfrev_b32_e32 v67, 1
	s_and_saveexec_b32 s13, s4
	s_cbranch_execz .LBB367_1262
; %bb.1257:                             ;   in Loop: Header=BB367_803 Depth=1
	v_bfe_u32 v23, v20, 24, 7
	v_mov_b32_e32 v67, 0x7f800001
	s_mov_b32 s15, exec_lo
	v_cmpx_ne_u32_e32 0x7f, v23
	s_cbranch_execz .LBB367_1261
; %bb.1258:                             ;   in Loop: Header=BB367_803 Depth=1
	v_mov_b32_e32 v10, 7
	v_lshrrev_b32_e32 v19, 3, v23
	v_cmp_gt_u32_e64 s4, 8, v23
	v_and_b32_sdwa v10, v20, v10 dst_sel:DWORD dst_unused:UNUSED_PAD src0_sel:BYTE_3 src1_sel:DWORD
	v_mov_b32_e32 v24, v11
	v_mov_b32_e32 v23, v10
	s_and_saveexec_b32 s18, s4
; %bb.1259:                             ;   in Loop: Header=BB367_803 Depth=1
	v_ffbh_u32_e32 v19, v10
	v_min_u32_e32 v19, 32, v19
	v_subrev_nc_u32_e32 v23, 28, v19
	v_sub_nc_u32_e32 v19, 29, v19
	v_lshlrev_b64 v[23:24], v23, v[10:11]
	v_and_b32_e32 v23, 7, v23
; %bb.1260:                             ;   in Loop: Header=BB367_803 Depth=1
	s_or_b32 exec_lo, exec_lo, s18
	v_mov_b32_e32 v10, 24
	v_lshl_add_u32 v19, v19, 23, 0x3c000000
	v_lshlrev_b32_sdwa v10, v10, v20 dst_sel:DWORD dst_unused:UNUSED_PAD src0_sel:DWORD src1_sel:BYTE_3
	v_lshlrev_b32_e32 v20, 20, v23
	v_and_b32_e32 v10, 0x80000000, v10
	v_or3_b32 v67, v20, v10, v19
.LBB367_1261:                           ;   in Loop: Header=BB367_803 Depth=1
	s_or_b32 exec_lo, exec_lo, s15
.LBB367_1262:                           ;   in Loop: Header=BB367_803 Depth=1
	s_or_b32 exec_lo, exec_lo, s13
.LBB367_1263:                           ;   in Loop: Header=BB367_803 Depth=1
	s_or_b32 exec_lo, exec_lo, s12
	v_mul_f32_e32 v10, v26, v65
	v_mul_f32_e32 v19, v26, v27
	;; [unrolled: 1-line block ×5, first 2 shown]
	v_bfe_u32 v23, v10, 16, 1
	v_or_b32_e32 v24, 0x400000, v10
	v_bfe_u32 v25, v19, 16, 1
	v_cmp_u_f32_e64 s4, v10, v10
	v_or_b32_e32 v27, 0x400000, v19
	v_add3_u32 v23, v23, v10, 0x7fff
	v_bfe_u32 v65, v20, 16, 1
	v_add3_u32 v25, v25, v19, 0x7fff
	v_or_b32_e32 v69, 0x400000, v20
	v_bfe_u32 v70, v21, 16, 1
	v_cndmask_b32_e64 v10, v23, v24, s4
	v_cmp_u_f32_e64 s4, v19, v19
	v_add3_u32 v65, v65, v20, 0x7fff
	v_or_b32_e32 v23, 0x400000, v21
	v_bfe_u32 v24, v12, 16, 1
	v_lshrrev_b32_e32 v77, 16, v10
	v_cndmask_b32_e64 v19, v25, v27, s4
	v_cmp_u_f32_e64 s4, v20, v20
	v_mul_f32_e32 v10, v26, v13
	v_add3_u32 v13, v70, v21, 0x7fff
	v_lshrrev_b32_e32 v76, 16, v19
	v_cndmask_b32_e64 v20, v65, v69, s4
	v_bfe_u32 v19, v10, 16, 1
	v_cmp_u_f32_e64 s4, v21, v21
	v_or_b32_e32 v21, 0x400000, v10
	v_lshrrev_b32_e32 v88, 16, v20
	v_mul_f32_e32 v20, v26, v68
	v_cndmask_b32_e64 v13, v13, v23, s4
	v_add3_u32 v19, v19, v10, 0x7fff
	v_cmp_u_f32_e64 s4, v10, v10
	v_mul_f32_e32 v23, v26, v67
	v_bfe_u32 v25, v20, 16, 1
	v_or_b32_e32 v27, 0x400000, v20
	v_lshrrev_b32_e32 v89, 16, v13
	v_cndmask_b32_e64 v10, v19, v21, s4
	v_add3_u32 v21, v24, v12, 0x7fff
	v_or_b32_e32 v24, 0x400000, v12
	v_cmp_u_f32_e64 s4, v12, v12
	v_bfe_u32 v19, v23, 16, 1
	v_add3_u32 v25, v25, v20, 0x7fff
	v_or_b32_e32 v65, 0x400000, v23
	v_lshrrev_b32_e32 v91, 16, v10
	v_cndmask_b32_e64 v12, v21, v24, s4
	v_cmp_u_f32_e64 s4, v20, v20
	v_add3_u32 v19, v19, v23, 0x7fff
	v_lshrrev_b32_e32 v90, 16, v12
	v_cndmask_b32_e64 v20, v25, v27, s4
	v_cmp_u_f32_e64 s4, v23, v23
	v_lshrrev_b32_e32 v78, 16, v20
	v_cndmask_b32_e64 v19, v19, v65, s4
	v_lshrrev_b32_e32 v79, 16, v19
	s_and_saveexec_b32 s12, vcc_lo
	s_cbranch_execz .LBB367_1265
; %bb.1264:                             ;   in Loop: Header=BB367_803 Depth=1
	v_cmp_lt_i32_e64 s4, v117, v37
	v_cndmask_b32_e64 v90, 0, v90, s4
	v_cmp_lt_i32_e64 s4, v43, v37
	v_cndmask_b32_e64 v91, 0, v91, s4
	;; [unrolled: 2-line block ×8, first 2 shown]
.LBB367_1265:                           ;   in Loop: Header=BB367_803 Depth=1
	s_or_b32 exec_lo, exec_lo, s12
	flat_load_dwordx2 v[19:20], v[17:18] offset:1792
	v_mov_b32_e32 v13, 0
	v_mov_b32_e32 v12, 0
	s_waitcnt vmcnt(0) lgkmcnt(0)
	v_cmp_ne_u16_sdwa s4, v19, v11 src0_sel:BYTE_0 src1_sel:DWORD
	s_and_saveexec_b32 s12, s4
	s_cbranch_execz .LBB367_1273
; %bb.1266:                             ;   in Loop: Header=BB367_803 Depth=1
	v_cmp_ne_u16_sdwa s4, v19, v64 src0_sel:BYTE_0 src1_sel:DWORD
	v_bfrev_b32_e32 v12, 1
	s_and_saveexec_b32 s13, s4
	s_cbranch_execz .LBB367_1272
; %bb.1267:                             ;   in Loop: Header=BB367_803 Depth=1
	v_and_b32_e32 v21, 0x7f, v19
	v_mov_b32_e32 v12, 0x7f800001
	s_mov_b32 s15, exec_lo
	v_cmpx_ne_u32_e32 0x7f, v21
	s_cbranch_execz .LBB367_1271
; %bb.1268:                             ;   in Loop: Header=BB367_803 Depth=1
	v_mov_b32_e32 v24, v20
	v_lshrrev_b32_e32 v10, 3, v21
	v_mov_b32_e32 v23, v19
	s_mov_b32 s18, exec_lo
	v_cmpx_gt_u32_e32 8, v21
; %bb.1269:                             ;   in Loop: Header=BB367_803 Depth=1
	v_and_b32_e32 v10, 7, v19
	v_ffbh_u32_e32 v10, v10
	v_min_u32_e32 v10, 32, v10
	v_subrev_nc_u32_e32 v12, 28, v10
	v_sub_nc_u32_e32 v10, 29, v10
	v_lshlrev_b64 v[23:24], v12, v[19:20]
; %bb.1270:                             ;   in Loop: Header=BB367_803 Depth=1
	s_or_b32 exec_lo, exec_lo, s18
	v_lshlrev_b32_e32 v12, 20, v23
	v_lshlrev_b32_e32 v21, 24, v19
	v_lshl_add_u32 v10, v10, 23, 0x3c000000
	v_and_b32_e32 v12, 0x700000, v12
	v_and_b32_e32 v21, 0x80000000, v21
	v_or3_b32 v12, v12, v21, v10
.LBB367_1271:                           ;   in Loop: Header=BB367_803 Depth=1
	s_or_b32 exec_lo, exec_lo, s15
.LBB367_1272:                           ;   in Loop: Header=BB367_803 Depth=1
	s_or_b32 exec_lo, exec_lo, s13
.LBB367_1273:                           ;   in Loop: Header=BB367_803 Depth=1
	s_or_b32 exec_lo, exec_lo, s12
	v_cmp_ne_u16_sdwa s4, v19, v11 src0_sel:BYTE_1 src1_sel:DWORD
	s_and_saveexec_b32 s12, s4
	s_cbranch_execz .LBB367_1281
; %bb.1274:                             ;   in Loop: Header=BB367_803 Depth=1
	v_cmp_ne_u16_sdwa s4, v19, v64 src0_sel:BYTE_1 src1_sel:DWORD
	v_bfrev_b32_e32 v13, 1
	s_and_saveexec_b32 s13, s4
	s_cbranch_execz .LBB367_1280
; %bb.1275:                             ;   in Loop: Header=BB367_803 Depth=1
	v_mov_b32_e32 v10, 0xffff
	v_mov_b32_e32 v13, 0x7f800001
	s_mov_b32 s15, exec_lo
	v_and_b32_sdwa v10, v10, v19 dst_sel:DWORD dst_unused:UNUSED_PAD src0_sel:DWORD src1_sel:BYTE_1
	v_and_b32_e32 v21, 0x7f, v10
	v_cmpx_ne_u32_e32 0x7f, v21
	s_cbranch_execz .LBB367_1279
; %bb.1276:                             ;   in Loop: Header=BB367_803 Depth=1
	v_and_b32_e32 v10, 7, v10
	v_mov_b32_e32 v24, v11
	v_lshrrev_b32_e32 v13, 3, v21
	s_mov_b32 s18, exec_lo
	v_mov_b32_e32 v23, v10
	v_cmpx_gt_u32_e32 8, v21
; %bb.1277:                             ;   in Loop: Header=BB367_803 Depth=1
	v_ffbh_u32_e32 v13, v10
	v_min_u32_e32 v13, 32, v13
	v_subrev_nc_u32_e32 v21, 28, v13
	v_sub_nc_u32_e32 v13, 29, v13
	v_lshlrev_b64 v[23:24], v21, v[10:11]
	v_and_b32_e32 v23, 7, v23
; %bb.1278:                             ;   in Loop: Header=BB367_803 Depth=1
	s_or_b32 exec_lo, exec_lo, s18
	v_lshlrev_b32_e32 v10, 16, v19
	v_lshlrev_b32_e32 v21, 20, v23
	v_lshl_add_u32 v13, v13, 23, 0x3c000000
	v_and_b32_e32 v10, 0x80000000, v10
	v_or3_b32 v13, v21, v10, v13
.LBB367_1279:                           ;   in Loop: Header=BB367_803 Depth=1
	s_or_b32 exec_lo, exec_lo, s15
.LBB367_1280:                           ;   in Loop: Header=BB367_803 Depth=1
	s_or_b32 exec_lo, exec_lo, s13
.LBB367_1281:                           ;   in Loop: Header=BB367_803 Depth=1
	s_or_b32 exec_lo, exec_lo, s12
	v_and_b32_sdwa v10, v19, v66 dst_sel:DWORD dst_unused:UNUSED_PAD src0_sel:WORD_1 src1_sel:DWORD
	v_mov_b32_e32 v25, 0
	v_mov_b32_e32 v21, 0
	s_mov_b32 s12, exec_lo
	v_cmpx_ne_u16_e32 0, v10
	s_cbranch_execz .LBB367_1289
; %bb.1282:                             ;   in Loop: Header=BB367_803 Depth=1
	v_bfrev_b32_e32 v21, 1
	s_mov_b32 s13, exec_lo
	v_cmpx_ne_u16_e32 0x80, v10
	s_cbranch_execz .LBB367_1288
; %bb.1283:                             ;   in Loop: Header=BB367_803 Depth=1
	v_bfe_u32 v23, v19, 16, 7
	v_mov_b32_e32 v21, 0x7f800001
	s_mov_b32 s15, exec_lo
	v_cmpx_ne_u32_e32 0x7f, v23
	s_cbranch_execz .LBB367_1287
; %bb.1284:                             ;   in Loop: Header=BB367_803 Depth=1
	v_mov_b32_e32 v10, 7
	v_lshrrev_b32_e32 v21, 3, v23
	v_cmp_gt_u32_e64 s4, 8, v23
	v_and_b32_sdwa v10, v19, v10 dst_sel:DWORD dst_unused:UNUSED_PAD src0_sel:WORD_1 src1_sel:DWORD
	v_mov_b32_e32 v24, v11
	v_mov_b32_e32 v23, v10
	s_and_saveexec_b32 s18, s4
; %bb.1285:                             ;   in Loop: Header=BB367_803 Depth=1
	v_ffbh_u32_e32 v21, v10
	v_min_u32_e32 v21, 32, v21
	v_subrev_nc_u32_e32 v23, 28, v21
	v_sub_nc_u32_e32 v21, 29, v21
	v_lshlrev_b64 v[23:24], v23, v[10:11]
	v_and_b32_e32 v23, 7, v23
; %bb.1286:                             ;   in Loop: Header=BB367_803 Depth=1
	s_or_b32 exec_lo, exec_lo, s18
	v_mov_b32_e32 v10, 24
	v_lshlrev_b32_e32 v23, 20, v23
	v_lshl_add_u32 v21, v21, 23, 0x3c000000
	v_lshlrev_b32_sdwa v10, v10, v19 dst_sel:DWORD dst_unused:UNUSED_PAD src0_sel:DWORD src1_sel:WORD_1
	v_and_b32_e32 v10, 0x80000000, v10
	v_or3_b32 v21, v23, v10, v21
.LBB367_1287:                           ;   in Loop: Header=BB367_803 Depth=1
	s_or_b32 exec_lo, exec_lo, s15
.LBB367_1288:                           ;   in Loop: Header=BB367_803 Depth=1
	s_or_b32 exec_lo, exec_lo, s13
.LBB367_1289:                           ;   in Loop: Header=BB367_803 Depth=1
	s_or_b32 exec_lo, exec_lo, s12
	s_mov_b32 s12, exec_lo
	v_cmpx_lt_u32_e32 0xffffff, v19
	s_cbranch_execz .LBB367_1297
; %bb.1290:                             ;   in Loop: Header=BB367_803 Depth=1
	v_cmp_ne_u32_sdwa s4, v19, v64 src0_sel:BYTE_3 src1_sel:DWORD
	v_bfrev_b32_e32 v25, 1
	s_and_saveexec_b32 s13, s4
	s_cbranch_execz .LBB367_1296
; %bb.1291:                             ;   in Loop: Header=BB367_803 Depth=1
	v_bfe_u32 v23, v19, 24, 7
	v_mov_b32_e32 v25, 0x7f800001
	s_mov_b32 s15, exec_lo
	v_cmpx_ne_u32_e32 0x7f, v23
	s_cbranch_execz .LBB367_1295
; %bb.1292:                             ;   in Loop: Header=BB367_803 Depth=1
	v_mov_b32_e32 v10, 7
	v_lshrrev_b32_e32 v25, 3, v23
	v_cmp_gt_u32_e64 s4, 8, v23
	v_and_b32_sdwa v10, v19, v10 dst_sel:DWORD dst_unused:UNUSED_PAD src0_sel:BYTE_3 src1_sel:DWORD
	v_mov_b32_e32 v24, v11
	v_mov_b32_e32 v23, v10
	s_and_saveexec_b32 s18, s4
; %bb.1293:                             ;   in Loop: Header=BB367_803 Depth=1
	v_ffbh_u32_e32 v23, v10
	v_min_u32_e32 v25, 32, v23
	v_subrev_nc_u32_e32 v23, 28, v25
	v_sub_nc_u32_e32 v25, 29, v25
	v_lshlrev_b64 v[23:24], v23, v[10:11]
	v_and_b32_e32 v23, 7, v23
; %bb.1294:                             ;   in Loop: Header=BB367_803 Depth=1
	s_or_b32 exec_lo, exec_lo, s18
	v_mov_b32_e32 v10, 24
	v_lshlrev_b32_e32 v23, 20, v23
	v_lshl_add_u32 v24, v25, 23, 0x3c000000
	v_lshlrev_b32_sdwa v10, v10, v19 dst_sel:DWORD dst_unused:UNUSED_PAD src0_sel:DWORD src1_sel:BYTE_3
	v_and_b32_e32 v10, 0x80000000, v10
	v_or3_b32 v25, v23, v10, v24
.LBB367_1295:                           ;   in Loop: Header=BB367_803 Depth=1
	s_or_b32 exec_lo, exec_lo, s15
.LBB367_1296:                           ;   in Loop: Header=BB367_803 Depth=1
	s_or_b32 exec_lo, exec_lo, s13
.LBB367_1297:                           ;   in Loop: Header=BB367_803 Depth=1
	s_or_b32 exec_lo, exec_lo, s12
	v_mov_b32_e32 v10, v20
	v_cmp_ne_u16_sdwa s4, v20, v11 src0_sel:BYTE_0 src1_sel:DWORD
	v_mov_b32_e32 v65, 0
	v_mov_b32_e32 v27, 0
	s_and_saveexec_b32 s12, s4
	s_cbranch_execz .LBB367_1305
; %bb.1298:                             ;   in Loop: Header=BB367_803 Depth=1
	v_cmp_ne_u16_sdwa s4, v20, v64 src0_sel:BYTE_0 src1_sel:DWORD
	v_bfrev_b32_e32 v27, 1
	s_and_saveexec_b32 s13, s4
	s_cbranch_execz .LBB367_1304
; %bb.1299:                             ;   in Loop: Header=BB367_803 Depth=1
	v_and_b32_e32 v23, 0x7f, v20
	v_mov_b32_e32 v27, 0x7f800001
	s_mov_b32 s15, exec_lo
	v_cmpx_ne_u32_e32 0x7f, v23
	s_cbranch_execz .LBB367_1303
; %bb.1300:                             ;   in Loop: Header=BB367_803 Depth=1
	v_lshrrev_b32_e32 v27, 3, v23
	v_cmp_gt_u32_e64 s4, 8, v23
	v_mov_b32_e32 v24, v11
	v_mov_b32_e32 v23, v10
	s_and_saveexec_b32 s18, s4
; %bb.1301:                             ;   in Loop: Header=BB367_803 Depth=1
	v_and_b32_e32 v23, 7, v20
	v_ffbh_u32_e32 v23, v23
	v_min_u32_e32 v27, 32, v23
	v_subrev_nc_u32_e32 v23, 28, v27
	v_sub_nc_u32_e32 v27, 29, v27
	v_lshlrev_b64 v[23:24], v23, v[10:11]
; %bb.1302:                             ;   in Loop: Header=BB367_803 Depth=1
	s_or_b32 exec_lo, exec_lo, s18
	v_lshlrev_b32_e32 v23, 20, v23
	v_lshlrev_b32_e32 v24, 24, v10
	v_lshl_add_u32 v27, v27, 23, 0x3c000000
	v_and_b32_e32 v23, 0x700000, v23
	v_and_b32_e32 v24, 0x80000000, v24
	v_or3_b32 v27, v23, v24, v27
.LBB367_1303:                           ;   in Loop: Header=BB367_803 Depth=1
	s_or_b32 exec_lo, exec_lo, s15
.LBB367_1304:                           ;   in Loop: Header=BB367_803 Depth=1
	s_or_b32 exec_lo, exec_lo, s13
.LBB367_1305:                           ;   in Loop: Header=BB367_803 Depth=1
	s_or_b32 exec_lo, exec_lo, s12
	v_cmp_ne_u16_sdwa s4, v10, v11 src0_sel:BYTE_1 src1_sel:DWORD
	s_and_saveexec_b32 s12, s4
	s_cbranch_execz .LBB367_1313
; %bb.1306:                             ;   in Loop: Header=BB367_803 Depth=1
	v_cmp_ne_u16_sdwa s4, v10, v64 src0_sel:BYTE_1 src1_sel:DWORD
	v_bfrev_b32_e32 v65, 1
	s_and_saveexec_b32 s13, s4
	s_cbranch_execz .LBB367_1312
; %bb.1307:                             ;   in Loop: Header=BB367_803 Depth=1
	v_mov_b32_e32 v23, 0xffff
	v_mov_b32_e32 v65, 0x7f800001
	s_mov_b32 s15, exec_lo
	v_and_b32_sdwa v23, v23, v10 dst_sel:DWORD dst_unused:UNUSED_PAD src0_sel:DWORD src1_sel:BYTE_1
	v_and_b32_e32 v67, 0x7f, v23
	v_cmpx_ne_u32_e32 0x7f, v67
	s_cbranch_execz .LBB367_1311
; %bb.1308:                             ;   in Loop: Header=BB367_803 Depth=1
	v_and_b32_e32 v23, 7, v23
	v_mov_b32_e32 v24, v11
	v_lshrrev_b32_e32 v65, 3, v67
	s_mov_b32 s18, exec_lo
	v_cmpx_gt_u32_e32 8, v67
; %bb.1309:                             ;   in Loop: Header=BB367_803 Depth=1
	v_ffbh_u32_e32 v65, v23
	v_min_u32_e32 v65, 32, v65
	v_subrev_nc_u32_e32 v67, 28, v65
	v_sub_nc_u32_e32 v65, 29, v65
	v_lshlrev_b64 v[23:24], v67, v[23:24]
	v_and_b32_e32 v23, 7, v23
; %bb.1310:                             ;   in Loop: Header=BB367_803 Depth=1
	s_or_b32 exec_lo, exec_lo, s18
	v_lshlrev_b32_e32 v10, 16, v10
	v_lshlrev_b32_e32 v23, 20, v23
	v_lshl_add_u32 v24, v65, 23, 0x3c000000
	v_and_b32_e32 v10, 0x80000000, v10
	v_or3_b32 v65, v23, v10, v24
.LBB367_1311:                           ;   in Loop: Header=BB367_803 Depth=1
	s_or_b32 exec_lo, exec_lo, s15
.LBB367_1312:                           ;   in Loop: Header=BB367_803 Depth=1
	s_or_b32 exec_lo, exec_lo, s13
.LBB367_1313:                           ;   in Loop: Header=BB367_803 Depth=1
	s_or_b32 exec_lo, exec_lo, s12
	v_and_b32_sdwa v10, v20, v66 dst_sel:DWORD dst_unused:UNUSED_PAD src0_sel:WORD_1 src1_sel:DWORD
	v_mov_b32_e32 v67, 0
	v_mov_b32_e32 v68, 0
	s_mov_b32 s12, exec_lo
	v_cmpx_ne_u16_e32 0, v10
	s_cbranch_execz .LBB367_1321
; %bb.1314:                             ;   in Loop: Header=BB367_803 Depth=1
	v_bfrev_b32_e32 v68, 1
	s_mov_b32 s13, exec_lo
	v_cmpx_ne_u16_e32 0x80, v10
	s_cbranch_execz .LBB367_1320
; %bb.1315:                             ;   in Loop: Header=BB367_803 Depth=1
	v_bfe_u32 v23, v20, 16, 7
	v_mov_b32_e32 v68, 0x7f800001
	s_mov_b32 s15, exec_lo
	v_cmpx_ne_u32_e32 0x7f, v23
	s_cbranch_execz .LBB367_1319
; %bb.1316:                             ;   in Loop: Header=BB367_803 Depth=1
	v_mov_b32_e32 v10, 7
	v_lshrrev_b32_e32 v68, 3, v23
	v_cmp_gt_u32_e64 s4, 8, v23
	v_and_b32_sdwa v10, v20, v10 dst_sel:DWORD dst_unused:UNUSED_PAD src0_sel:WORD_1 src1_sel:DWORD
	v_mov_b32_e32 v24, v11
	v_mov_b32_e32 v23, v10
	s_and_saveexec_b32 s18, s4
; %bb.1317:                             ;   in Loop: Header=BB367_803 Depth=1
	v_ffbh_u32_e32 v23, v10
	v_min_u32_e32 v68, 32, v23
	v_subrev_nc_u32_e32 v23, 28, v68
	v_sub_nc_u32_e32 v68, 29, v68
	v_lshlrev_b64 v[23:24], v23, v[10:11]
	v_and_b32_e32 v23, 7, v23
; %bb.1318:                             ;   in Loop: Header=BB367_803 Depth=1
	s_or_b32 exec_lo, exec_lo, s18
	v_mov_b32_e32 v10, 24
	v_lshlrev_b32_e32 v23, 20, v23
	v_lshl_add_u32 v24, v68, 23, 0x3c000000
	v_lshlrev_b32_sdwa v10, v10, v20 dst_sel:DWORD dst_unused:UNUSED_PAD src0_sel:DWORD src1_sel:WORD_1
	v_and_b32_e32 v10, 0x80000000, v10
	v_or3_b32 v68, v23, v10, v24
.LBB367_1319:                           ;   in Loop: Header=BB367_803 Depth=1
	s_or_b32 exec_lo, exec_lo, s15
.LBB367_1320:                           ;   in Loop: Header=BB367_803 Depth=1
	s_or_b32 exec_lo, exec_lo, s13
.LBB367_1321:                           ;   in Loop: Header=BB367_803 Depth=1
	s_or_b32 exec_lo, exec_lo, s12
	s_mov_b32 s12, exec_lo
	v_cmpx_lt_u64_e64 s[8:9], v[19:20]
	s_cbranch_execz .LBB367_1329
; %bb.1322:                             ;   in Loop: Header=BB367_803 Depth=1
	v_cmp_ne_u32_sdwa s4, v20, v64 src0_sel:BYTE_3 src1_sel:DWORD
	v_bfrev_b32_e32 v67, 1
	s_and_saveexec_b32 s13, s4
	s_cbranch_execz .LBB367_1328
; %bb.1323:                             ;   in Loop: Header=BB367_803 Depth=1
	v_bfe_u32 v23, v20, 24, 7
	v_mov_b32_e32 v67, 0x7f800001
	s_mov_b32 s15, exec_lo
	v_cmpx_ne_u32_e32 0x7f, v23
	s_cbranch_execz .LBB367_1327
; %bb.1324:                             ;   in Loop: Header=BB367_803 Depth=1
	v_mov_b32_e32 v10, 7
	v_lshrrev_b32_e32 v19, 3, v23
	v_cmp_gt_u32_e64 s4, 8, v23
	v_and_b32_sdwa v10, v20, v10 dst_sel:DWORD dst_unused:UNUSED_PAD src0_sel:BYTE_3 src1_sel:DWORD
	v_mov_b32_e32 v24, v11
	v_mov_b32_e32 v23, v10
	s_and_saveexec_b32 s18, s4
; %bb.1325:                             ;   in Loop: Header=BB367_803 Depth=1
	v_ffbh_u32_e32 v19, v10
	v_min_u32_e32 v19, 32, v19
	v_subrev_nc_u32_e32 v23, 28, v19
	v_sub_nc_u32_e32 v19, 29, v19
	v_lshlrev_b64 v[23:24], v23, v[10:11]
	v_and_b32_e32 v23, 7, v23
; %bb.1326:                             ;   in Loop: Header=BB367_803 Depth=1
	s_or_b32 exec_lo, exec_lo, s18
	v_mov_b32_e32 v10, 24
	v_lshl_add_u32 v19, v19, 23, 0x3c000000
	v_lshlrev_b32_sdwa v10, v10, v20 dst_sel:DWORD dst_unused:UNUSED_PAD src0_sel:DWORD src1_sel:BYTE_3
	v_lshlrev_b32_e32 v20, 20, v23
	v_and_b32_e32 v10, 0x80000000, v10
	v_or3_b32 v67, v20, v10, v19
.LBB367_1327:                           ;   in Loop: Header=BB367_803 Depth=1
	s_or_b32 exec_lo, exec_lo, s15
.LBB367_1328:                           ;   in Loop: Header=BB367_803 Depth=1
	s_or_b32 exec_lo, exec_lo, s13
.LBB367_1329:                           ;   in Loop: Header=BB367_803 Depth=1
	s_or_b32 exec_lo, exec_lo, s12
	v_mul_f32_e32 v10, v26, v65
	v_mul_f32_e32 v19, v26, v27
	;; [unrolled: 1-line block ×5, first 2 shown]
	v_bfe_u32 v23, v10, 16, 1
	v_or_b32_e32 v24, 0x400000, v10
	v_bfe_u32 v25, v19, 16, 1
	v_cmp_u_f32_e64 s4, v10, v10
	v_or_b32_e32 v27, 0x400000, v19
	v_add3_u32 v23, v23, v10, 0x7fff
	v_bfe_u32 v65, v20, 16, 1
	v_add3_u32 v25, v25, v19, 0x7fff
	v_or_b32_e32 v69, 0x400000, v20
	v_bfe_u32 v70, v21, 16, 1
	v_cndmask_b32_e64 v10, v23, v24, s4
	v_cmp_u_f32_e64 s4, v19, v19
	v_add3_u32 v65, v65, v20, 0x7fff
	v_or_b32_e32 v23, 0x400000, v21
	v_bfe_u32 v24, v12, 16, 1
	v_lshrrev_b32_e32 v93, 16, v10
	v_cndmask_b32_e64 v19, v25, v27, s4
	v_cmp_u_f32_e64 s4, v20, v20
	v_mul_f32_e32 v10, v26, v13
	v_add3_u32 v13, v70, v21, 0x7fff
	v_lshrrev_b32_e32 v92, 16, v19
	v_cndmask_b32_e64 v20, v65, v69, s4
	v_bfe_u32 v19, v10, 16, 1
	v_cmp_u_f32_e64 s4, v21, v21
	v_or_b32_e32 v21, 0x400000, v10
	v_lshrrev_b32_e32 v104, 16, v20
	v_mul_f32_e32 v20, v26, v68
	v_cndmask_b32_e64 v13, v13, v23, s4
	v_add3_u32 v19, v19, v10, 0x7fff
	v_cmp_u_f32_e64 s4, v10, v10
	v_mul_f32_e32 v23, v26, v67
	v_bfe_u32 v25, v20, 16, 1
	v_or_b32_e32 v27, 0x400000, v20
	v_lshrrev_b32_e32 v105, 16, v13
	v_cndmask_b32_e64 v10, v19, v21, s4
	v_add3_u32 v21, v24, v12, 0x7fff
	v_or_b32_e32 v24, 0x400000, v12
	v_cmp_u_f32_e64 s4, v12, v12
	v_bfe_u32 v19, v23, 16, 1
	v_add3_u32 v25, v25, v20, 0x7fff
	v_or_b32_e32 v65, 0x400000, v23
	v_lshrrev_b32_e32 v107, 16, v10
	v_cndmask_b32_e64 v12, v21, v24, s4
	v_cmp_u_f32_e64 s4, v20, v20
	v_add3_u32 v19, v19, v23, 0x7fff
	v_lshrrev_b32_e32 v106, 16, v12
	v_cndmask_b32_e64 v20, v25, v27, s4
	v_cmp_u_f32_e64 s4, v23, v23
	v_lshrrev_b32_e32 v94, 16, v20
	v_cndmask_b32_e64 v19, v19, v65, s4
	v_lshrrev_b32_e32 v95, 16, v19
	s_and_saveexec_b32 s12, vcc_lo
	s_cbranch_execz .LBB367_1331
; %bb.1330:                             ;   in Loop: Header=BB367_803 Depth=1
	v_cmp_lt_i32_e64 s4, v117, v37
	v_cndmask_b32_e64 v106, 0, v106, s4
	v_cmp_lt_i32_e64 s4, v43, v37
	v_cndmask_b32_e64 v107, 0, v107, s4
	;; [unrolled: 2-line block ×8, first 2 shown]
.LBB367_1331:                           ;   in Loop: Header=BB367_803 Depth=1
	s_or_b32 exec_lo, exec_lo, s12
	v_add_co_u32 v17, s4, 0x800, v17
	v_add_co_ci_u32_e64 v18, null, 0, v18, s4
	v_mov_b32_e32 v13, 0
	v_mov_b32_e32 v12, 0
	flat_load_dwordx2 v[19:20], v[17:18]
	s_waitcnt vmcnt(0) lgkmcnt(0)
	v_cmp_ne_u16_sdwa s4, v19, v11 src0_sel:BYTE_0 src1_sel:DWORD
	s_and_saveexec_b32 s12, s4
	s_cbranch_execz .LBB367_1339
; %bb.1332:                             ;   in Loop: Header=BB367_803 Depth=1
	v_cmp_ne_u16_sdwa s4, v19, v64 src0_sel:BYTE_0 src1_sel:DWORD
	v_bfrev_b32_e32 v12, 1
	s_and_saveexec_b32 s13, s4
	s_cbranch_execz .LBB367_1338
; %bb.1333:                             ;   in Loop: Header=BB367_803 Depth=1
	v_and_b32_e32 v21, 0x7f, v19
	v_mov_b32_e32 v12, 0x7f800001
	s_mov_b32 s15, exec_lo
	v_cmpx_ne_u32_e32 0x7f, v21
	s_cbranch_execz .LBB367_1337
; %bb.1334:                             ;   in Loop: Header=BB367_803 Depth=1
	v_mov_b32_e32 v24, v20
	v_lshrrev_b32_e32 v10, 3, v21
	v_mov_b32_e32 v23, v19
	s_mov_b32 s18, exec_lo
	v_cmpx_gt_u32_e32 8, v21
; %bb.1335:                             ;   in Loop: Header=BB367_803 Depth=1
	v_and_b32_e32 v10, 7, v19
	v_ffbh_u32_e32 v10, v10
	v_min_u32_e32 v10, 32, v10
	v_subrev_nc_u32_e32 v12, 28, v10
	v_sub_nc_u32_e32 v10, 29, v10
	v_lshlrev_b64 v[23:24], v12, v[19:20]
; %bb.1336:                             ;   in Loop: Header=BB367_803 Depth=1
	s_or_b32 exec_lo, exec_lo, s18
	v_lshlrev_b32_e32 v12, 20, v23
	v_lshlrev_b32_e32 v21, 24, v19
	v_lshl_add_u32 v10, v10, 23, 0x3c000000
	v_and_b32_e32 v12, 0x700000, v12
	v_and_b32_e32 v21, 0x80000000, v21
	v_or3_b32 v12, v12, v21, v10
.LBB367_1337:                           ;   in Loop: Header=BB367_803 Depth=1
	s_or_b32 exec_lo, exec_lo, s15
.LBB367_1338:                           ;   in Loop: Header=BB367_803 Depth=1
	s_or_b32 exec_lo, exec_lo, s13
.LBB367_1339:                           ;   in Loop: Header=BB367_803 Depth=1
	s_or_b32 exec_lo, exec_lo, s12
	v_cmp_ne_u16_sdwa s4, v19, v11 src0_sel:BYTE_1 src1_sel:DWORD
	s_and_saveexec_b32 s12, s4
	s_cbranch_execz .LBB367_1347
; %bb.1340:                             ;   in Loop: Header=BB367_803 Depth=1
	v_cmp_ne_u16_sdwa s4, v19, v64 src0_sel:BYTE_1 src1_sel:DWORD
	v_bfrev_b32_e32 v13, 1
	s_and_saveexec_b32 s13, s4
	s_cbranch_execz .LBB367_1346
; %bb.1341:                             ;   in Loop: Header=BB367_803 Depth=1
	v_mov_b32_e32 v10, 0xffff
	v_mov_b32_e32 v13, 0x7f800001
	s_mov_b32 s15, exec_lo
	v_and_b32_sdwa v10, v10, v19 dst_sel:DWORD dst_unused:UNUSED_PAD src0_sel:DWORD src1_sel:BYTE_1
	v_and_b32_e32 v21, 0x7f, v10
	v_cmpx_ne_u32_e32 0x7f, v21
	s_cbranch_execz .LBB367_1345
; %bb.1342:                             ;   in Loop: Header=BB367_803 Depth=1
	v_and_b32_e32 v10, 7, v10
	v_mov_b32_e32 v24, v11
	v_lshrrev_b32_e32 v13, 3, v21
	s_mov_b32 s18, exec_lo
	v_mov_b32_e32 v23, v10
	v_cmpx_gt_u32_e32 8, v21
; %bb.1343:                             ;   in Loop: Header=BB367_803 Depth=1
	v_ffbh_u32_e32 v13, v10
	v_min_u32_e32 v13, 32, v13
	v_subrev_nc_u32_e32 v21, 28, v13
	v_sub_nc_u32_e32 v13, 29, v13
	v_lshlrev_b64 v[23:24], v21, v[10:11]
	v_and_b32_e32 v23, 7, v23
; %bb.1344:                             ;   in Loop: Header=BB367_803 Depth=1
	s_or_b32 exec_lo, exec_lo, s18
	v_lshlrev_b32_e32 v10, 16, v19
	v_lshlrev_b32_e32 v21, 20, v23
	v_lshl_add_u32 v13, v13, 23, 0x3c000000
	v_and_b32_e32 v10, 0x80000000, v10
	v_or3_b32 v13, v21, v10, v13
.LBB367_1345:                           ;   in Loop: Header=BB367_803 Depth=1
	s_or_b32 exec_lo, exec_lo, s15
.LBB367_1346:                           ;   in Loop: Header=BB367_803 Depth=1
	s_or_b32 exec_lo, exec_lo, s13
.LBB367_1347:                           ;   in Loop: Header=BB367_803 Depth=1
	s_or_b32 exec_lo, exec_lo, s12
	v_and_b32_sdwa v10, v19, v66 dst_sel:DWORD dst_unused:UNUSED_PAD src0_sel:WORD_1 src1_sel:DWORD
	v_mov_b32_e32 v25, 0
	v_mov_b32_e32 v21, 0
	s_mov_b32 s12, exec_lo
	v_cmpx_ne_u16_e32 0, v10
	s_cbranch_execz .LBB367_1355
; %bb.1348:                             ;   in Loop: Header=BB367_803 Depth=1
	v_bfrev_b32_e32 v21, 1
	s_mov_b32 s13, exec_lo
	v_cmpx_ne_u16_e32 0x80, v10
	s_cbranch_execz .LBB367_1354
; %bb.1349:                             ;   in Loop: Header=BB367_803 Depth=1
	v_bfe_u32 v23, v19, 16, 7
	v_mov_b32_e32 v21, 0x7f800001
	s_mov_b32 s15, exec_lo
	v_cmpx_ne_u32_e32 0x7f, v23
	s_cbranch_execz .LBB367_1353
; %bb.1350:                             ;   in Loop: Header=BB367_803 Depth=1
	v_mov_b32_e32 v10, 7
	v_lshrrev_b32_e32 v21, 3, v23
	v_cmp_gt_u32_e64 s4, 8, v23
	v_and_b32_sdwa v10, v19, v10 dst_sel:DWORD dst_unused:UNUSED_PAD src0_sel:WORD_1 src1_sel:DWORD
	v_mov_b32_e32 v24, v11
	v_mov_b32_e32 v23, v10
	s_and_saveexec_b32 s18, s4
; %bb.1351:                             ;   in Loop: Header=BB367_803 Depth=1
	v_ffbh_u32_e32 v21, v10
	v_min_u32_e32 v21, 32, v21
	v_subrev_nc_u32_e32 v23, 28, v21
	v_sub_nc_u32_e32 v21, 29, v21
	v_lshlrev_b64 v[23:24], v23, v[10:11]
	v_and_b32_e32 v23, 7, v23
; %bb.1352:                             ;   in Loop: Header=BB367_803 Depth=1
	s_or_b32 exec_lo, exec_lo, s18
	v_mov_b32_e32 v10, 24
	v_lshlrev_b32_e32 v23, 20, v23
	v_lshl_add_u32 v21, v21, 23, 0x3c000000
	v_lshlrev_b32_sdwa v10, v10, v19 dst_sel:DWORD dst_unused:UNUSED_PAD src0_sel:DWORD src1_sel:WORD_1
	v_and_b32_e32 v10, 0x80000000, v10
	v_or3_b32 v21, v23, v10, v21
.LBB367_1353:                           ;   in Loop: Header=BB367_803 Depth=1
	s_or_b32 exec_lo, exec_lo, s15
.LBB367_1354:                           ;   in Loop: Header=BB367_803 Depth=1
	s_or_b32 exec_lo, exec_lo, s13
.LBB367_1355:                           ;   in Loop: Header=BB367_803 Depth=1
	s_or_b32 exec_lo, exec_lo, s12
	s_mov_b32 s12, exec_lo
	v_cmpx_lt_u32_e32 0xffffff, v19
	s_cbranch_execz .LBB367_1363
; %bb.1356:                             ;   in Loop: Header=BB367_803 Depth=1
	v_cmp_ne_u32_sdwa s4, v19, v64 src0_sel:BYTE_3 src1_sel:DWORD
	v_bfrev_b32_e32 v25, 1
	s_and_saveexec_b32 s13, s4
	s_cbranch_execz .LBB367_1362
; %bb.1357:                             ;   in Loop: Header=BB367_803 Depth=1
	v_bfe_u32 v23, v19, 24, 7
	v_mov_b32_e32 v25, 0x7f800001
	s_mov_b32 s15, exec_lo
	v_cmpx_ne_u32_e32 0x7f, v23
	s_cbranch_execz .LBB367_1361
; %bb.1358:                             ;   in Loop: Header=BB367_803 Depth=1
	v_mov_b32_e32 v10, 7
	v_lshrrev_b32_e32 v25, 3, v23
	v_cmp_gt_u32_e64 s4, 8, v23
	v_and_b32_sdwa v10, v19, v10 dst_sel:DWORD dst_unused:UNUSED_PAD src0_sel:BYTE_3 src1_sel:DWORD
	v_mov_b32_e32 v24, v11
	v_mov_b32_e32 v23, v10
	s_and_saveexec_b32 s18, s4
; %bb.1359:                             ;   in Loop: Header=BB367_803 Depth=1
	v_ffbh_u32_e32 v23, v10
	v_min_u32_e32 v25, 32, v23
	v_subrev_nc_u32_e32 v23, 28, v25
	v_sub_nc_u32_e32 v25, 29, v25
	v_lshlrev_b64 v[23:24], v23, v[10:11]
	v_and_b32_e32 v23, 7, v23
; %bb.1360:                             ;   in Loop: Header=BB367_803 Depth=1
	s_or_b32 exec_lo, exec_lo, s18
	v_mov_b32_e32 v10, 24
	v_lshlrev_b32_e32 v23, 20, v23
	v_lshl_add_u32 v24, v25, 23, 0x3c000000
	v_lshlrev_b32_sdwa v10, v10, v19 dst_sel:DWORD dst_unused:UNUSED_PAD src0_sel:DWORD src1_sel:BYTE_3
	v_and_b32_e32 v10, 0x80000000, v10
	v_or3_b32 v25, v23, v10, v24
.LBB367_1361:                           ;   in Loop: Header=BB367_803 Depth=1
	s_or_b32 exec_lo, exec_lo, s15
.LBB367_1362:                           ;   in Loop: Header=BB367_803 Depth=1
	s_or_b32 exec_lo, exec_lo, s13
.LBB367_1363:                           ;   in Loop: Header=BB367_803 Depth=1
	s_or_b32 exec_lo, exec_lo, s12
	v_mov_b32_e32 v10, v20
	v_cmp_ne_u16_sdwa s4, v20, v11 src0_sel:BYTE_0 src1_sel:DWORD
	v_mov_b32_e32 v68, 0
	v_mov_b32_e32 v67, 0
	s_and_saveexec_b32 s12, s4
	s_cbranch_execz .LBB367_1371
; %bb.1364:                             ;   in Loop: Header=BB367_803 Depth=1
	v_cmp_ne_u16_sdwa s4, v20, v64 src0_sel:BYTE_0 src1_sel:DWORD
	v_bfrev_b32_e32 v67, 1
	s_and_saveexec_b32 s13, s4
	s_cbranch_execz .LBB367_1370
; %bb.1365:                             ;   in Loop: Header=BB367_803 Depth=1
	v_and_b32_e32 v23, 0x7f, v20
	v_mov_b32_e32 v67, 0x7f800001
	s_mov_b32 s15, exec_lo
	v_cmpx_ne_u32_e32 0x7f, v23
	s_cbranch_execz .LBB367_1369
; %bb.1366:                             ;   in Loop: Header=BB367_803 Depth=1
	v_lshrrev_b32_e32 v27, 3, v23
	v_cmp_gt_u32_e64 s4, 8, v23
	v_mov_b32_e32 v24, v11
	v_mov_b32_e32 v23, v10
	s_and_saveexec_b32 s18, s4
; %bb.1367:                             ;   in Loop: Header=BB367_803 Depth=1
	v_and_b32_e32 v23, 7, v20
	v_ffbh_u32_e32 v23, v23
	v_min_u32_e32 v27, 32, v23
	v_subrev_nc_u32_e32 v23, 28, v27
	v_sub_nc_u32_e32 v27, 29, v27
	v_lshlrev_b64 v[23:24], v23, v[10:11]
; %bb.1368:                             ;   in Loop: Header=BB367_803 Depth=1
	s_or_b32 exec_lo, exec_lo, s18
	v_lshlrev_b32_e32 v23, 20, v23
	v_lshlrev_b32_e32 v24, 24, v10
	v_lshl_add_u32 v27, v27, 23, 0x3c000000
	v_and_b32_e32 v23, 0x700000, v23
	v_and_b32_e32 v24, 0x80000000, v24
	v_or3_b32 v67, v23, v24, v27
.LBB367_1369:                           ;   in Loop: Header=BB367_803 Depth=1
	s_or_b32 exec_lo, exec_lo, s15
.LBB367_1370:                           ;   in Loop: Header=BB367_803 Depth=1
	s_or_b32 exec_lo, exec_lo, s13
.LBB367_1371:                           ;   in Loop: Header=BB367_803 Depth=1
	s_or_b32 exec_lo, exec_lo, s12
	v_cmp_ne_u16_sdwa s4, v10, v11 src0_sel:BYTE_1 src1_sel:DWORD
	s_and_saveexec_b32 s12, s4
	s_cbranch_execz .LBB367_1379
; %bb.1372:                             ;   in Loop: Header=BB367_803 Depth=1
	v_cmp_ne_u16_sdwa s4, v10, v64 src0_sel:BYTE_1 src1_sel:DWORD
	v_bfrev_b32_e32 v68, 1
	s_and_saveexec_b32 s13, s4
	s_cbranch_execz .LBB367_1378
; %bb.1373:                             ;   in Loop: Header=BB367_803 Depth=1
	v_mov_b32_e32 v23, 0xffff
	v_mov_b32_e32 v68, 0x7f800001
	s_mov_b32 s15, exec_lo
	v_and_b32_sdwa v23, v23, v10 dst_sel:DWORD dst_unused:UNUSED_PAD src0_sel:DWORD src1_sel:BYTE_1
	v_and_b32_e32 v65, 0x7f, v23
	v_cmpx_ne_u32_e32 0x7f, v65
	s_cbranch_execz .LBB367_1377
; %bb.1374:                             ;   in Loop: Header=BB367_803 Depth=1
	v_and_b32_e32 v23, 7, v23
	v_mov_b32_e32 v24, v11
	v_lshrrev_b32_e32 v27, 3, v65
	s_mov_b32 s18, exec_lo
	v_cmpx_gt_u32_e32 8, v65
; %bb.1375:                             ;   in Loop: Header=BB367_803 Depth=1
	v_ffbh_u32_e32 v27, v23
	v_min_u32_e32 v27, 32, v27
	v_subrev_nc_u32_e32 v65, 28, v27
	v_sub_nc_u32_e32 v27, 29, v27
	v_lshlrev_b64 v[23:24], v65, v[23:24]
	v_and_b32_e32 v23, 7, v23
; %bb.1376:                             ;   in Loop: Header=BB367_803 Depth=1
	s_or_b32 exec_lo, exec_lo, s18
	v_lshlrev_b32_e32 v10, 16, v10
	v_lshlrev_b32_e32 v23, 20, v23
	v_lshl_add_u32 v24, v27, 23, 0x3c000000
	v_and_b32_e32 v10, 0x80000000, v10
	v_or3_b32 v68, v23, v10, v24
.LBB367_1377:                           ;   in Loop: Header=BB367_803 Depth=1
	s_or_b32 exec_lo, exec_lo, s15
.LBB367_1378:                           ;   in Loop: Header=BB367_803 Depth=1
	s_or_b32 exec_lo, exec_lo, s13
.LBB367_1379:                           ;   in Loop: Header=BB367_803 Depth=1
	s_or_b32 exec_lo, exec_lo, s12
	v_and_b32_sdwa v10, v20, v66 dst_sel:DWORD dst_unused:UNUSED_PAD src0_sel:WORD_1 src1_sel:DWORD
	v_mov_b32_e32 v27, 0
	v_mov_b32_e32 v65, 0
	s_mov_b32 s12, exec_lo
	v_cmpx_ne_u16_e32 0, v10
	s_cbranch_execz .LBB367_1387
; %bb.1380:                             ;   in Loop: Header=BB367_803 Depth=1
	v_bfrev_b32_e32 v65, 1
	s_mov_b32 s13, exec_lo
	v_cmpx_ne_u16_e32 0x80, v10
	s_cbranch_execz .LBB367_1386
; %bb.1381:                             ;   in Loop: Header=BB367_803 Depth=1
	v_bfe_u32 v23, v20, 16, 7
	v_mov_b32_e32 v65, 0x7f800001
	s_mov_b32 s15, exec_lo
	v_cmpx_ne_u32_e32 0x7f, v23
	s_cbranch_execz .LBB367_1385
; %bb.1382:                             ;   in Loop: Header=BB367_803 Depth=1
	v_mov_b32_e32 v10, 7
	v_lshrrev_b32_e32 v65, 3, v23
	v_cmp_gt_u32_e64 s4, 8, v23
	v_and_b32_sdwa v10, v20, v10 dst_sel:DWORD dst_unused:UNUSED_PAD src0_sel:WORD_1 src1_sel:DWORD
	v_mov_b32_e32 v24, v11
	v_mov_b32_e32 v23, v10
	s_and_saveexec_b32 s18, s4
; %bb.1383:                             ;   in Loop: Header=BB367_803 Depth=1
	v_ffbh_u32_e32 v23, v10
	v_min_u32_e32 v65, 32, v23
	v_subrev_nc_u32_e32 v23, 28, v65
	v_sub_nc_u32_e32 v65, 29, v65
	v_lshlrev_b64 v[23:24], v23, v[10:11]
	v_and_b32_e32 v23, 7, v23
; %bb.1384:                             ;   in Loop: Header=BB367_803 Depth=1
	s_or_b32 exec_lo, exec_lo, s18
	v_mov_b32_e32 v10, 24
	v_lshlrev_b32_e32 v23, 20, v23
	v_lshl_add_u32 v24, v65, 23, 0x3c000000
	v_lshlrev_b32_sdwa v10, v10, v20 dst_sel:DWORD dst_unused:UNUSED_PAD src0_sel:DWORD src1_sel:WORD_1
	v_and_b32_e32 v10, 0x80000000, v10
	v_or3_b32 v65, v23, v10, v24
.LBB367_1385:                           ;   in Loop: Header=BB367_803 Depth=1
	s_or_b32 exec_lo, exec_lo, s15
.LBB367_1386:                           ;   in Loop: Header=BB367_803 Depth=1
	s_or_b32 exec_lo, exec_lo, s13
.LBB367_1387:                           ;   in Loop: Header=BB367_803 Depth=1
	s_or_b32 exec_lo, exec_lo, s12
	s_mov_b32 s12, exec_lo
	v_cmpx_lt_u64_e64 s[8:9], v[19:20]
	s_cbranch_execz .LBB367_1395
; %bb.1388:                             ;   in Loop: Header=BB367_803 Depth=1
	v_cmp_ne_u32_sdwa s4, v20, v64 src0_sel:BYTE_3 src1_sel:DWORD
	v_bfrev_b32_e32 v27, 1
	s_and_saveexec_b32 s13, s4
	s_cbranch_execz .LBB367_1394
; %bb.1389:                             ;   in Loop: Header=BB367_803 Depth=1
	v_bfe_u32 v23, v20, 24, 7
	v_mov_b32_e32 v27, 0x7f800001
	s_mov_b32 s15, exec_lo
	v_cmpx_ne_u32_e32 0x7f, v23
	s_cbranch_execz .LBB367_1393
; %bb.1390:                             ;   in Loop: Header=BB367_803 Depth=1
	v_mov_b32_e32 v10, 7
	v_lshrrev_b32_e32 v19, 3, v23
	v_cmp_gt_u32_e64 s4, 8, v23
	v_and_b32_sdwa v10, v20, v10 dst_sel:DWORD dst_unused:UNUSED_PAD src0_sel:BYTE_3 src1_sel:DWORD
	v_mov_b32_e32 v24, v11
	v_mov_b32_e32 v23, v10
	s_and_saveexec_b32 s18, s4
; %bb.1391:                             ;   in Loop: Header=BB367_803 Depth=1
	v_ffbh_u32_e32 v19, v10
	v_min_u32_e32 v19, 32, v19
	v_subrev_nc_u32_e32 v23, 28, v19
	v_sub_nc_u32_e32 v19, 29, v19
	v_lshlrev_b64 v[23:24], v23, v[10:11]
	v_and_b32_e32 v23, 7, v23
; %bb.1392:                             ;   in Loop: Header=BB367_803 Depth=1
	s_or_b32 exec_lo, exec_lo, s18
	v_mov_b32_e32 v10, 24
	v_lshl_add_u32 v19, v19, 23, 0x3c000000
	v_lshlrev_b32_sdwa v10, v10, v20 dst_sel:DWORD dst_unused:UNUSED_PAD src0_sel:DWORD src1_sel:BYTE_3
	v_lshlrev_b32_e32 v20, 20, v23
	v_and_b32_e32 v10, 0x80000000, v10
	v_or3_b32 v27, v20, v10, v19
.LBB367_1393:                           ;   in Loop: Header=BB367_803 Depth=1
	s_or_b32 exec_lo, exec_lo, s15
.LBB367_1394:                           ;   in Loop: Header=BB367_803 Depth=1
	s_or_b32 exec_lo, exec_lo, s13
.LBB367_1395:                           ;   in Loop: Header=BB367_803 Depth=1
	s_or_b32 exec_lo, exec_lo, s12
	v_mul_f32_e32 v10, v26, v68
	v_bfe_u32 v19, v10, 16, 1
	v_or_b32_e32 v20, 0x400000, v10
	v_cmp_u_f32_e64 s4, v10, v10
	v_add3_u32 v19, v19, v10, 0x7fff
	v_cndmask_b32_e64 v10, v19, v20, s4
	v_lshrrev_b32_e32 v108, 16, v10
	v_mul_f32_e32 v10, v26, v67
	v_bfe_u32 v19, v10, 16, 1
	v_or_b32_e32 v20, 0x400000, v10
	v_cmp_u_f32_e64 s4, v10, v10
	v_add3_u32 v19, v19, v10, 0x7fff
	v_cndmask_b32_e64 v10, v19, v20, s4
	v_lshrrev_b32_e32 v109, 16, v10
	;; [unrolled: 7-line block ×8, first 2 shown]
	s_and_saveexec_b32 s12, vcc_lo
	s_cbranch_execz .LBB367_1397
; %bb.1396:                             ;   in Loop: Header=BB367_803 Depth=1
	v_cmp_lt_i32_e64 s4, v117, v37
	v_cndmask_b32_e64 v122, 0, v122, s4
	v_cmp_lt_i32_e64 s4, v43, v37
	v_cndmask_b32_e64 v121, 0, v121, s4
	;; [unrolled: 2-line block ×8, first 2 shown]
.LBB367_1397:                           ;   in Loop: Header=BB367_803 Depth=1
	s_or_b32 exec_lo, exec_lo, s12
	flat_load_dwordx2 v[19:20], v[17:18] offset:256
	v_mov_b32_e32 v13, 0
	v_mov_b32_e32 v12, 0
	s_waitcnt vmcnt(0) lgkmcnt(0)
	v_cmp_ne_u16_sdwa s4, v19, v11 src0_sel:BYTE_0 src1_sel:DWORD
	s_and_saveexec_b32 s12, s4
	s_cbranch_execz .LBB367_1405
; %bb.1398:                             ;   in Loop: Header=BB367_803 Depth=1
	v_cmp_ne_u16_sdwa s4, v19, v64 src0_sel:BYTE_0 src1_sel:DWORD
	v_bfrev_b32_e32 v12, 1
	s_and_saveexec_b32 s13, s4
	s_cbranch_execz .LBB367_1404
; %bb.1399:                             ;   in Loop: Header=BB367_803 Depth=1
	v_and_b32_e32 v21, 0x7f, v19
	v_mov_b32_e32 v12, 0x7f800001
	s_mov_b32 s15, exec_lo
	v_cmpx_ne_u32_e32 0x7f, v21
	s_cbranch_execz .LBB367_1403
; %bb.1400:                             ;   in Loop: Header=BB367_803 Depth=1
	v_mov_b32_e32 v24, v20
	v_lshrrev_b32_e32 v10, 3, v21
	v_mov_b32_e32 v23, v19
	s_mov_b32 s18, exec_lo
	v_cmpx_gt_u32_e32 8, v21
; %bb.1401:                             ;   in Loop: Header=BB367_803 Depth=1
	v_and_b32_e32 v10, 7, v19
	v_ffbh_u32_e32 v10, v10
	v_min_u32_e32 v10, 32, v10
	v_subrev_nc_u32_e32 v12, 28, v10
	v_sub_nc_u32_e32 v10, 29, v10
	v_lshlrev_b64 v[23:24], v12, v[19:20]
; %bb.1402:                             ;   in Loop: Header=BB367_803 Depth=1
	s_or_b32 exec_lo, exec_lo, s18
	v_lshlrev_b32_e32 v12, 20, v23
	v_lshlrev_b32_e32 v21, 24, v19
	v_lshl_add_u32 v10, v10, 23, 0x3c000000
	v_and_b32_e32 v12, 0x700000, v12
	v_and_b32_e32 v21, 0x80000000, v21
	v_or3_b32 v12, v12, v21, v10
.LBB367_1403:                           ;   in Loop: Header=BB367_803 Depth=1
	s_or_b32 exec_lo, exec_lo, s15
.LBB367_1404:                           ;   in Loop: Header=BB367_803 Depth=1
	s_or_b32 exec_lo, exec_lo, s13
.LBB367_1405:                           ;   in Loop: Header=BB367_803 Depth=1
	s_or_b32 exec_lo, exec_lo, s12
	v_cmp_ne_u16_sdwa s4, v19, v11 src0_sel:BYTE_1 src1_sel:DWORD
	s_and_saveexec_b32 s12, s4
	s_cbranch_execz .LBB367_1413
; %bb.1406:                             ;   in Loop: Header=BB367_803 Depth=1
	v_cmp_ne_u16_sdwa s4, v19, v64 src0_sel:BYTE_1 src1_sel:DWORD
	v_bfrev_b32_e32 v13, 1
	s_and_saveexec_b32 s13, s4
	s_cbranch_execz .LBB367_1412
; %bb.1407:                             ;   in Loop: Header=BB367_803 Depth=1
	v_mov_b32_e32 v10, 0xffff
	v_mov_b32_e32 v13, 0x7f800001
	s_mov_b32 s15, exec_lo
	v_and_b32_sdwa v10, v10, v19 dst_sel:DWORD dst_unused:UNUSED_PAD src0_sel:DWORD src1_sel:BYTE_1
	v_and_b32_e32 v21, 0x7f, v10
	v_cmpx_ne_u32_e32 0x7f, v21
	s_cbranch_execz .LBB367_1411
; %bb.1408:                             ;   in Loop: Header=BB367_803 Depth=1
	v_and_b32_e32 v10, 7, v10
	v_mov_b32_e32 v24, v11
	v_lshrrev_b32_e32 v13, 3, v21
	s_mov_b32 s18, exec_lo
	v_mov_b32_e32 v23, v10
	v_cmpx_gt_u32_e32 8, v21
; %bb.1409:                             ;   in Loop: Header=BB367_803 Depth=1
	v_ffbh_u32_e32 v13, v10
	v_min_u32_e32 v13, 32, v13
	v_subrev_nc_u32_e32 v21, 28, v13
	v_sub_nc_u32_e32 v13, 29, v13
	v_lshlrev_b64 v[23:24], v21, v[10:11]
	v_and_b32_e32 v23, 7, v23
; %bb.1410:                             ;   in Loop: Header=BB367_803 Depth=1
	s_or_b32 exec_lo, exec_lo, s18
	v_lshlrev_b32_e32 v10, 16, v19
	v_lshlrev_b32_e32 v21, 20, v23
	v_lshl_add_u32 v13, v13, 23, 0x3c000000
	v_and_b32_e32 v10, 0x80000000, v10
	v_or3_b32 v13, v21, v10, v13
.LBB367_1411:                           ;   in Loop: Header=BB367_803 Depth=1
	s_or_b32 exec_lo, exec_lo, s15
.LBB367_1412:                           ;   in Loop: Header=BB367_803 Depth=1
	s_or_b32 exec_lo, exec_lo, s13
.LBB367_1413:                           ;   in Loop: Header=BB367_803 Depth=1
	s_or_b32 exec_lo, exec_lo, s12
	v_and_b32_sdwa v10, v19, v66 dst_sel:DWORD dst_unused:UNUSED_PAD src0_sel:WORD_1 src1_sel:DWORD
	v_mov_b32_e32 v25, 0
	v_mov_b32_e32 v21, 0
	s_mov_b32 s12, exec_lo
	v_cmpx_ne_u16_e32 0, v10
	s_cbranch_execz .LBB367_1421
; %bb.1414:                             ;   in Loop: Header=BB367_803 Depth=1
	v_bfrev_b32_e32 v21, 1
	s_mov_b32 s13, exec_lo
	v_cmpx_ne_u16_e32 0x80, v10
	s_cbranch_execz .LBB367_1420
; %bb.1415:                             ;   in Loop: Header=BB367_803 Depth=1
	v_bfe_u32 v23, v19, 16, 7
	v_mov_b32_e32 v21, 0x7f800001
	s_mov_b32 s15, exec_lo
	v_cmpx_ne_u32_e32 0x7f, v23
	s_cbranch_execz .LBB367_1419
; %bb.1416:                             ;   in Loop: Header=BB367_803 Depth=1
	v_mov_b32_e32 v10, 7
	v_lshrrev_b32_e32 v21, 3, v23
	v_cmp_gt_u32_e64 s4, 8, v23
	v_and_b32_sdwa v10, v19, v10 dst_sel:DWORD dst_unused:UNUSED_PAD src0_sel:WORD_1 src1_sel:DWORD
	v_mov_b32_e32 v24, v11
	v_mov_b32_e32 v23, v10
	s_and_saveexec_b32 s18, s4
; %bb.1417:                             ;   in Loop: Header=BB367_803 Depth=1
	v_ffbh_u32_e32 v21, v10
	v_min_u32_e32 v21, 32, v21
	v_subrev_nc_u32_e32 v23, 28, v21
	v_sub_nc_u32_e32 v21, 29, v21
	v_lshlrev_b64 v[23:24], v23, v[10:11]
	v_and_b32_e32 v23, 7, v23
; %bb.1418:                             ;   in Loop: Header=BB367_803 Depth=1
	s_or_b32 exec_lo, exec_lo, s18
	v_mov_b32_e32 v10, 24
	v_lshlrev_b32_e32 v23, 20, v23
	v_lshl_add_u32 v21, v21, 23, 0x3c000000
	v_lshlrev_b32_sdwa v10, v10, v19 dst_sel:DWORD dst_unused:UNUSED_PAD src0_sel:DWORD src1_sel:WORD_1
	v_and_b32_e32 v10, 0x80000000, v10
	v_or3_b32 v21, v23, v10, v21
.LBB367_1419:                           ;   in Loop: Header=BB367_803 Depth=1
	s_or_b32 exec_lo, exec_lo, s15
.LBB367_1420:                           ;   in Loop: Header=BB367_803 Depth=1
	s_or_b32 exec_lo, exec_lo, s13
.LBB367_1421:                           ;   in Loop: Header=BB367_803 Depth=1
	s_or_b32 exec_lo, exec_lo, s12
	s_mov_b32 s12, exec_lo
	v_cmpx_lt_u32_e32 0xffffff, v19
	s_cbranch_execz .LBB367_1429
; %bb.1422:                             ;   in Loop: Header=BB367_803 Depth=1
	v_cmp_ne_u32_sdwa s4, v19, v64 src0_sel:BYTE_3 src1_sel:DWORD
	v_bfrev_b32_e32 v25, 1
	s_and_saveexec_b32 s13, s4
	s_cbranch_execz .LBB367_1428
; %bb.1423:                             ;   in Loop: Header=BB367_803 Depth=1
	v_bfe_u32 v23, v19, 24, 7
	v_mov_b32_e32 v25, 0x7f800001
	s_mov_b32 s15, exec_lo
	v_cmpx_ne_u32_e32 0x7f, v23
	s_cbranch_execz .LBB367_1427
; %bb.1424:                             ;   in Loop: Header=BB367_803 Depth=1
	v_mov_b32_e32 v10, 7
	v_lshrrev_b32_e32 v25, 3, v23
	v_cmp_gt_u32_e64 s4, 8, v23
	v_and_b32_sdwa v10, v19, v10 dst_sel:DWORD dst_unused:UNUSED_PAD src0_sel:BYTE_3 src1_sel:DWORD
	v_mov_b32_e32 v24, v11
	v_mov_b32_e32 v23, v10
	s_and_saveexec_b32 s18, s4
; %bb.1425:                             ;   in Loop: Header=BB367_803 Depth=1
	v_ffbh_u32_e32 v23, v10
	v_min_u32_e32 v25, 32, v23
	v_subrev_nc_u32_e32 v23, 28, v25
	v_sub_nc_u32_e32 v25, 29, v25
	v_lshlrev_b64 v[23:24], v23, v[10:11]
	v_and_b32_e32 v23, 7, v23
; %bb.1426:                             ;   in Loop: Header=BB367_803 Depth=1
	s_or_b32 exec_lo, exec_lo, s18
	v_mov_b32_e32 v10, 24
	v_lshlrev_b32_e32 v23, 20, v23
	v_lshl_add_u32 v24, v25, 23, 0x3c000000
	v_lshlrev_b32_sdwa v10, v10, v19 dst_sel:DWORD dst_unused:UNUSED_PAD src0_sel:DWORD src1_sel:BYTE_3
	v_and_b32_e32 v10, 0x80000000, v10
	v_or3_b32 v25, v23, v10, v24
.LBB367_1427:                           ;   in Loop: Header=BB367_803 Depth=1
	s_or_b32 exec_lo, exec_lo, s15
.LBB367_1428:                           ;   in Loop: Header=BB367_803 Depth=1
	s_or_b32 exec_lo, exec_lo, s13
.LBB367_1429:                           ;   in Loop: Header=BB367_803 Depth=1
	s_or_b32 exec_lo, exec_lo, s12
	v_mov_b32_e32 v10, v20
	v_cmp_ne_u16_sdwa s4, v20, v11 src0_sel:BYTE_0 src1_sel:DWORD
	v_mov_b32_e32 v68, 0
	v_mov_b32_e32 v27, 0
	s_and_saveexec_b32 s12, s4
	s_cbranch_execz .LBB367_1437
; %bb.1430:                             ;   in Loop: Header=BB367_803 Depth=1
	v_cmp_ne_u16_sdwa s4, v20, v64 src0_sel:BYTE_0 src1_sel:DWORD
	v_bfrev_b32_e32 v27, 1
	s_and_saveexec_b32 s13, s4
	s_cbranch_execz .LBB367_1436
; %bb.1431:                             ;   in Loop: Header=BB367_803 Depth=1
	v_and_b32_e32 v23, 0x7f, v20
	v_mov_b32_e32 v27, 0x7f800001
	s_mov_b32 s15, exec_lo
	v_cmpx_ne_u32_e32 0x7f, v23
	s_cbranch_execz .LBB367_1435
; %bb.1432:                             ;   in Loop: Header=BB367_803 Depth=1
	v_lshrrev_b32_e32 v27, 3, v23
	v_cmp_gt_u32_e64 s4, 8, v23
	v_mov_b32_e32 v24, v11
	v_mov_b32_e32 v23, v10
	s_and_saveexec_b32 s18, s4
; %bb.1433:                             ;   in Loop: Header=BB367_803 Depth=1
	v_and_b32_e32 v23, 7, v20
	v_ffbh_u32_e32 v23, v23
	v_min_u32_e32 v27, 32, v23
	v_subrev_nc_u32_e32 v23, 28, v27
	v_sub_nc_u32_e32 v27, 29, v27
	v_lshlrev_b64 v[23:24], v23, v[10:11]
; %bb.1434:                             ;   in Loop: Header=BB367_803 Depth=1
	s_or_b32 exec_lo, exec_lo, s18
	v_lshlrev_b32_e32 v23, 20, v23
	v_lshlrev_b32_e32 v24, 24, v10
	v_lshl_add_u32 v27, v27, 23, 0x3c000000
	v_and_b32_e32 v23, 0x700000, v23
	v_and_b32_e32 v24, 0x80000000, v24
	v_or3_b32 v27, v23, v24, v27
.LBB367_1435:                           ;   in Loop: Header=BB367_803 Depth=1
	s_or_b32 exec_lo, exec_lo, s15
.LBB367_1436:                           ;   in Loop: Header=BB367_803 Depth=1
	s_or_b32 exec_lo, exec_lo, s13
.LBB367_1437:                           ;   in Loop: Header=BB367_803 Depth=1
	s_or_b32 exec_lo, exec_lo, s12
	v_cmp_ne_u16_sdwa s4, v10, v11 src0_sel:BYTE_1 src1_sel:DWORD
	s_and_saveexec_b32 s12, s4
	s_cbranch_execz .LBB367_1445
; %bb.1438:                             ;   in Loop: Header=BB367_803 Depth=1
	v_cmp_ne_u16_sdwa s4, v10, v64 src0_sel:BYTE_1 src1_sel:DWORD
	v_bfrev_b32_e32 v68, 1
	s_and_saveexec_b32 s13, s4
	s_cbranch_execz .LBB367_1444
; %bb.1439:                             ;   in Loop: Header=BB367_803 Depth=1
	v_mov_b32_e32 v23, 0xffff
	v_mov_b32_e32 v68, 0x7f800001
	s_mov_b32 s15, exec_lo
	v_and_b32_sdwa v23, v23, v10 dst_sel:DWORD dst_unused:UNUSED_PAD src0_sel:DWORD src1_sel:BYTE_1
	v_and_b32_e32 v67, 0x7f, v23
	v_cmpx_ne_u32_e32 0x7f, v67
	s_cbranch_execz .LBB367_1443
; %bb.1440:                             ;   in Loop: Header=BB367_803 Depth=1
	v_and_b32_e32 v23, 7, v23
	v_mov_b32_e32 v24, v11
	v_lshrrev_b32_e32 v65, 3, v67
	s_mov_b32 s18, exec_lo
	v_cmpx_gt_u32_e32 8, v67
; %bb.1441:                             ;   in Loop: Header=BB367_803 Depth=1
	v_ffbh_u32_e32 v65, v23
	v_min_u32_e32 v65, 32, v65
	v_subrev_nc_u32_e32 v67, 28, v65
	v_sub_nc_u32_e32 v65, 29, v65
	v_lshlrev_b64 v[23:24], v67, v[23:24]
	v_and_b32_e32 v23, 7, v23
; %bb.1442:                             ;   in Loop: Header=BB367_803 Depth=1
	s_or_b32 exec_lo, exec_lo, s18
	v_lshlrev_b32_e32 v10, 16, v10
	v_lshlrev_b32_e32 v23, 20, v23
	v_lshl_add_u32 v24, v65, 23, 0x3c000000
	v_and_b32_e32 v10, 0x80000000, v10
	v_or3_b32 v68, v23, v10, v24
.LBB367_1443:                           ;   in Loop: Header=BB367_803 Depth=1
	s_or_b32 exec_lo, exec_lo, s15
.LBB367_1444:                           ;   in Loop: Header=BB367_803 Depth=1
	s_or_b32 exec_lo, exec_lo, s13
.LBB367_1445:                           ;   in Loop: Header=BB367_803 Depth=1
	s_or_b32 exec_lo, exec_lo, s12
	v_and_b32_sdwa v10, v20, v66 dst_sel:DWORD dst_unused:UNUSED_PAD src0_sel:WORD_1 src1_sel:DWORD
	v_mov_b32_e32 v65, 0
	v_mov_b32_e32 v67, 0
	s_mov_b32 s12, exec_lo
	v_cmpx_ne_u16_e32 0, v10
	s_cbranch_execz .LBB367_1453
; %bb.1446:                             ;   in Loop: Header=BB367_803 Depth=1
	v_bfrev_b32_e32 v67, 1
	s_mov_b32 s13, exec_lo
	v_cmpx_ne_u16_e32 0x80, v10
	s_cbranch_execz .LBB367_1452
; %bb.1447:                             ;   in Loop: Header=BB367_803 Depth=1
	v_bfe_u32 v23, v20, 16, 7
	v_mov_b32_e32 v67, 0x7f800001
	s_mov_b32 s15, exec_lo
	v_cmpx_ne_u32_e32 0x7f, v23
	s_cbranch_execz .LBB367_1451
; %bb.1448:                             ;   in Loop: Header=BB367_803 Depth=1
	v_mov_b32_e32 v10, 7
	v_lshrrev_b32_e32 v67, 3, v23
	v_cmp_gt_u32_e64 s4, 8, v23
	v_and_b32_sdwa v10, v20, v10 dst_sel:DWORD dst_unused:UNUSED_PAD src0_sel:WORD_1 src1_sel:DWORD
	v_mov_b32_e32 v24, v11
	v_mov_b32_e32 v23, v10
	s_and_saveexec_b32 s18, s4
; %bb.1449:                             ;   in Loop: Header=BB367_803 Depth=1
	v_ffbh_u32_e32 v23, v10
	v_min_u32_e32 v67, 32, v23
	v_subrev_nc_u32_e32 v23, 28, v67
	v_sub_nc_u32_e32 v67, 29, v67
	v_lshlrev_b64 v[23:24], v23, v[10:11]
	v_and_b32_e32 v23, 7, v23
; %bb.1450:                             ;   in Loop: Header=BB367_803 Depth=1
	s_or_b32 exec_lo, exec_lo, s18
	v_mov_b32_e32 v10, 24
	v_lshlrev_b32_e32 v23, 20, v23
	v_lshl_add_u32 v24, v67, 23, 0x3c000000
	v_lshlrev_b32_sdwa v10, v10, v20 dst_sel:DWORD dst_unused:UNUSED_PAD src0_sel:DWORD src1_sel:WORD_1
	v_and_b32_e32 v10, 0x80000000, v10
	v_or3_b32 v67, v23, v10, v24
.LBB367_1451:                           ;   in Loop: Header=BB367_803 Depth=1
	s_or_b32 exec_lo, exec_lo, s15
.LBB367_1452:                           ;   in Loop: Header=BB367_803 Depth=1
	s_or_b32 exec_lo, exec_lo, s13
.LBB367_1453:                           ;   in Loop: Header=BB367_803 Depth=1
	s_or_b32 exec_lo, exec_lo, s12
	s_mov_b32 s12, exec_lo
	v_cmpx_lt_u64_e64 s[8:9], v[19:20]
	s_cbranch_execz .LBB367_1461
; %bb.1454:                             ;   in Loop: Header=BB367_803 Depth=1
	v_cmp_ne_u32_sdwa s4, v20, v64 src0_sel:BYTE_3 src1_sel:DWORD
	v_bfrev_b32_e32 v65, 1
	s_and_saveexec_b32 s13, s4
	s_cbranch_execz .LBB367_1460
; %bb.1455:                             ;   in Loop: Header=BB367_803 Depth=1
	v_bfe_u32 v23, v20, 24, 7
	v_mov_b32_e32 v65, 0x7f800001
	s_mov_b32 s15, exec_lo
	v_cmpx_ne_u32_e32 0x7f, v23
	s_cbranch_execz .LBB367_1459
; %bb.1456:                             ;   in Loop: Header=BB367_803 Depth=1
	v_mov_b32_e32 v10, 7
	v_lshrrev_b32_e32 v19, 3, v23
	v_cmp_gt_u32_e64 s4, 8, v23
	v_and_b32_sdwa v10, v20, v10 dst_sel:DWORD dst_unused:UNUSED_PAD src0_sel:BYTE_3 src1_sel:DWORD
	v_mov_b32_e32 v24, v11
	v_mov_b32_e32 v23, v10
	s_and_saveexec_b32 s18, s4
; %bb.1457:                             ;   in Loop: Header=BB367_803 Depth=1
	v_ffbh_u32_e32 v19, v10
	v_min_u32_e32 v19, 32, v19
	v_subrev_nc_u32_e32 v23, 28, v19
	v_sub_nc_u32_e32 v19, 29, v19
	v_lshlrev_b64 v[23:24], v23, v[10:11]
	v_and_b32_e32 v23, 7, v23
; %bb.1458:                             ;   in Loop: Header=BB367_803 Depth=1
	s_or_b32 exec_lo, exec_lo, s18
	v_mov_b32_e32 v10, 24
	v_lshl_add_u32 v19, v19, 23, 0x3c000000
	v_lshlrev_b32_sdwa v10, v10, v20 dst_sel:DWORD dst_unused:UNUSED_PAD src0_sel:DWORD src1_sel:BYTE_3
	v_lshlrev_b32_e32 v20, 20, v23
	v_and_b32_e32 v10, 0x80000000, v10
	v_or3_b32 v65, v20, v10, v19
.LBB367_1459:                           ;   in Loop: Header=BB367_803 Depth=1
	s_or_b32 exec_lo, exec_lo, s15
.LBB367_1460:                           ;   in Loop: Header=BB367_803 Depth=1
	s_or_b32 exec_lo, exec_lo, s13
.LBB367_1461:                           ;   in Loop: Header=BB367_803 Depth=1
	s_or_b32 exec_lo, exec_lo, s12
	v_mul_f32_e32 v10, v26, v68
	v_bfe_u32 v19, v10, 16, 1
	v_or_b32_e32 v20, 0x400000, v10
	v_cmp_u_f32_e64 s4, v10, v10
	v_add3_u32 v19, v19, v10, 0x7fff
	v_cndmask_b32_e64 v10, v19, v20, s4
	v_lshrrev_b32_e32 v125, 16, v10
	v_mul_f32_e32 v10, v26, v27
	v_bfe_u32 v19, v10, 16, 1
	v_or_b32_e32 v20, 0x400000, v10
	v_cmp_u_f32_e64 s4, v10, v10
	v_add3_u32 v19, v19, v10, 0x7fff
	v_cndmask_b32_e64 v10, v19, v20, s4
	v_lshrrev_b32_e32 v126, 16, v10
	;; [unrolled: 7-line block ×8, first 2 shown]
	s_and_saveexec_b32 s12, vcc_lo
	s_cbranch_execz .LBB367_1463
; %bb.1462:                             ;   in Loop: Header=BB367_803 Depth=1
	v_cmp_lt_i32_e64 s4, v117, v37
	v_cndmask_b32_e64 v12, 0, v12, s4
	v_cmp_lt_i32_e64 s4, v43, v37
	v_cndmask_b32_e64 v27, 0, v27, s4
	;; [unrolled: 2-line block ×8, first 2 shown]
.LBB367_1463:                           ;   in Loop: Header=BB367_803 Depth=1
	s_or_b32 exec_lo, exec_lo, s12
	flat_load_dwordx2 v[19:20], v[17:18] offset:512
	v_mov_b32_e32 v71, 0
	v_mov_b32_e32 v70, 0
	s_waitcnt vmcnt(0) lgkmcnt(0)
	v_cmp_ne_u16_sdwa s4, v19, v11 src0_sel:BYTE_0 src1_sel:DWORD
	s_and_saveexec_b32 s12, s4
	s_cbranch_execz .LBB367_1471
; %bb.1464:                             ;   in Loop: Header=BB367_803 Depth=1
	v_cmp_ne_u16_sdwa s4, v19, v64 src0_sel:BYTE_0 src1_sel:DWORD
	v_bfrev_b32_e32 v70, 1
	s_and_saveexec_b32 s13, s4
	s_cbranch_execz .LBB367_1470
; %bb.1465:                             ;   in Loop: Header=BB367_803 Depth=1
	v_and_b32_e32 v23, 0x7f, v19
	v_mov_b32_e32 v70, 0x7f800001
	s_mov_b32 s15, exec_lo
	v_cmpx_ne_u32_e32 0x7f, v23
	s_cbranch_execz .LBB367_1469
; %bb.1466:                             ;   in Loop: Header=BB367_803 Depth=1
	v_lshrrev_b32_e32 v10, 3, v23
	v_cmp_gt_u32_e64 s4, 8, v23
	v_mov_b32_e32 v24, v20
	v_mov_b32_e32 v23, v19
	s_and_saveexec_b32 s18, s4
; %bb.1467:                             ;   in Loop: Header=BB367_803 Depth=1
	v_and_b32_e32 v10, 7, v19
	v_ffbh_u32_e32 v10, v10
	v_min_u32_e32 v10, 32, v10
	v_subrev_nc_u32_e32 v23, 28, v10
	v_sub_nc_u32_e32 v10, 29, v10
	v_lshlrev_b64 v[23:24], v23, v[19:20]
; %bb.1468:                             ;   in Loop: Header=BB367_803 Depth=1
	s_or_b32 exec_lo, exec_lo, s18
	v_lshlrev_b32_e32 v23, 20, v23
	v_lshlrev_b32_e32 v24, 24, v19
	v_lshl_add_u32 v10, v10, 23, 0x3c000000
	v_and_b32_e32 v23, 0x700000, v23
	v_and_b32_e32 v24, 0x80000000, v24
	v_or3_b32 v70, v23, v24, v10
.LBB367_1469:                           ;   in Loop: Header=BB367_803 Depth=1
	s_or_b32 exec_lo, exec_lo, s15
.LBB367_1470:                           ;   in Loop: Header=BB367_803 Depth=1
	s_or_b32 exec_lo, exec_lo, s13
.LBB367_1471:                           ;   in Loop: Header=BB367_803 Depth=1
	s_or_b32 exec_lo, exec_lo, s12
	v_cmp_ne_u16_sdwa s4, v19, v11 src0_sel:BYTE_1 src1_sel:DWORD
	s_and_saveexec_b32 s12, s4
	s_cbranch_execz .LBB367_1479
; %bb.1472:                             ;   in Loop: Header=BB367_803 Depth=1
	v_cmp_ne_u16_sdwa s4, v19, v64 src0_sel:BYTE_1 src1_sel:DWORD
	v_bfrev_b32_e32 v71, 1
	s_and_saveexec_b32 s13, s4
	s_cbranch_execz .LBB367_1478
; %bb.1473:                             ;   in Loop: Header=BB367_803 Depth=1
	v_mov_b32_e32 v10, 0xffff
	v_mov_b32_e32 v71, 0x7f800001
	s_mov_b32 s15, exec_lo
	v_and_b32_sdwa v10, v10, v19 dst_sel:DWORD dst_unused:UNUSED_PAD src0_sel:DWORD src1_sel:BYTE_1
	v_and_b32_e32 v23, 0x7f, v10
	v_cmpx_ne_u32_e32 0x7f, v23
	s_cbranch_execz .LBB367_1477
; %bb.1474:                             ;   in Loop: Header=BB367_803 Depth=1
	v_and_b32_e32 v10, 7, v10
	v_lshrrev_b32_e32 v65, 3, v23
	v_cmp_gt_u32_e64 s4, 8, v23
	v_mov_b32_e32 v24, v11
	v_mov_b32_e32 v23, v10
	s_and_saveexec_b32 s18, s4
; %bb.1475:                             ;   in Loop: Header=BB367_803 Depth=1
	v_ffbh_u32_e32 v23, v10
	v_min_u32_e32 v65, 32, v23
	v_subrev_nc_u32_e32 v23, 28, v65
	v_sub_nc_u32_e32 v65, 29, v65
	v_lshlrev_b64 v[23:24], v23, v[10:11]
	v_and_b32_e32 v23, 7, v23
; %bb.1476:                             ;   in Loop: Header=BB367_803 Depth=1
	s_or_b32 exec_lo, exec_lo, s18
	v_lshlrev_b32_e32 v10, 16, v19
	v_lshlrev_b32_e32 v23, 20, v23
	v_lshl_add_u32 v24, v65, 23, 0x3c000000
	v_and_b32_e32 v10, 0x80000000, v10
	v_or3_b32 v71, v23, v10, v24
.LBB367_1477:                           ;   in Loop: Header=BB367_803 Depth=1
	s_or_b32 exec_lo, exec_lo, s15
.LBB367_1478:                           ;   in Loop: Header=BB367_803 Depth=1
	s_or_b32 exec_lo, exec_lo, s13
.LBB367_1479:                           ;   in Loop: Header=BB367_803 Depth=1
	s_or_b32 exec_lo, exec_lo, s12
	v_and_b32_sdwa v10, v19, v66 dst_sel:DWORD dst_unused:UNUSED_PAD src0_sel:WORD_1 src1_sel:DWORD
	v_mov_b32_e32 v68, 0
	v_mov_b32_e32 v69, 0
	s_mov_b32 s12, exec_lo
	v_cmpx_ne_u16_e32 0, v10
	s_cbranch_execz .LBB367_1487
; %bb.1480:                             ;   in Loop: Header=BB367_803 Depth=1
	v_bfrev_b32_e32 v69, 1
	s_mov_b32 s13, exec_lo
	v_cmpx_ne_u16_e32 0x80, v10
	s_cbranch_execz .LBB367_1486
; %bb.1481:                             ;   in Loop: Header=BB367_803 Depth=1
	v_bfe_u32 v23, v19, 16, 7
	v_mov_b32_e32 v69, 0x7f800001
	s_mov_b32 s15, exec_lo
	v_cmpx_ne_u32_e32 0x7f, v23
	s_cbranch_execz .LBB367_1485
; %bb.1482:                             ;   in Loop: Header=BB367_803 Depth=1
	v_mov_b32_e32 v10, 7
	v_lshrrev_b32_e32 v65, 3, v23
	v_cmp_gt_u32_e64 s4, 8, v23
	v_and_b32_sdwa v10, v19, v10 dst_sel:DWORD dst_unused:UNUSED_PAD src0_sel:WORD_1 src1_sel:DWORD
	v_mov_b32_e32 v24, v11
	v_mov_b32_e32 v23, v10
	s_and_saveexec_b32 s18, s4
; %bb.1483:                             ;   in Loop: Header=BB367_803 Depth=1
	v_ffbh_u32_e32 v23, v10
	v_min_u32_e32 v65, 32, v23
	v_subrev_nc_u32_e32 v23, 28, v65
	v_sub_nc_u32_e32 v65, 29, v65
	v_lshlrev_b64 v[23:24], v23, v[10:11]
	v_and_b32_e32 v23, 7, v23
; %bb.1484:                             ;   in Loop: Header=BB367_803 Depth=1
	s_or_b32 exec_lo, exec_lo, s18
	v_mov_b32_e32 v10, 24
	v_lshlrev_b32_e32 v23, 20, v23
	v_lshl_add_u32 v24, v65, 23, 0x3c000000
	v_lshlrev_b32_sdwa v10, v10, v19 dst_sel:DWORD dst_unused:UNUSED_PAD src0_sel:DWORD src1_sel:WORD_1
	v_and_b32_e32 v10, 0x80000000, v10
	v_or3_b32 v69, v23, v10, v24
.LBB367_1485:                           ;   in Loop: Header=BB367_803 Depth=1
	s_or_b32 exec_lo, exec_lo, s15
.LBB367_1486:                           ;   in Loop: Header=BB367_803 Depth=1
	s_or_b32 exec_lo, exec_lo, s13
.LBB367_1487:                           ;   in Loop: Header=BB367_803 Depth=1
	s_or_b32 exec_lo, exec_lo, s12
	s_mov_b32 s12, exec_lo
	v_cmpx_lt_u32_e32 0xffffff, v19
	s_cbranch_execz .LBB367_1495
; %bb.1488:                             ;   in Loop: Header=BB367_803 Depth=1
	v_cmp_ne_u32_sdwa s4, v19, v64 src0_sel:BYTE_3 src1_sel:DWORD
	v_bfrev_b32_e32 v68, 1
	s_and_saveexec_b32 s13, s4
	s_cbranch_execz .LBB367_1494
; %bb.1489:                             ;   in Loop: Header=BB367_803 Depth=1
	v_bfe_u32 v23, v19, 24, 7
	v_mov_b32_e32 v68, 0x7f800001
	s_mov_b32 s15, exec_lo
	v_cmpx_ne_u32_e32 0x7f, v23
	s_cbranch_execz .LBB367_1493
; %bb.1490:                             ;   in Loop: Header=BB367_803 Depth=1
	v_mov_b32_e32 v10, 7
	v_lshrrev_b32_e32 v65, 3, v23
	v_cmp_gt_u32_e64 s4, 8, v23
	v_and_b32_sdwa v10, v19, v10 dst_sel:DWORD dst_unused:UNUSED_PAD src0_sel:BYTE_3 src1_sel:DWORD
	v_mov_b32_e32 v24, v11
	v_mov_b32_e32 v23, v10
	s_and_saveexec_b32 s18, s4
; %bb.1491:                             ;   in Loop: Header=BB367_803 Depth=1
	v_ffbh_u32_e32 v23, v10
	v_min_u32_e32 v65, 32, v23
	v_subrev_nc_u32_e32 v23, 28, v65
	v_sub_nc_u32_e32 v65, 29, v65
	v_lshlrev_b64 v[23:24], v23, v[10:11]
	v_and_b32_e32 v23, 7, v23
; %bb.1492:                             ;   in Loop: Header=BB367_803 Depth=1
	s_or_b32 exec_lo, exec_lo, s18
	v_mov_b32_e32 v10, 24
	v_lshlrev_b32_e32 v23, 20, v23
	v_lshl_add_u32 v24, v65, 23, 0x3c000000
	v_lshlrev_b32_sdwa v10, v10, v19 dst_sel:DWORD dst_unused:UNUSED_PAD src0_sel:DWORD src1_sel:BYTE_3
	v_and_b32_e32 v10, 0x80000000, v10
	v_or3_b32 v68, v23, v10, v24
.LBB367_1493:                           ;   in Loop: Header=BB367_803 Depth=1
	s_or_b32 exec_lo, exec_lo, s15
.LBB367_1494:                           ;   in Loop: Header=BB367_803 Depth=1
	s_or_b32 exec_lo, exec_lo, s13
.LBB367_1495:                           ;   in Loop: Header=BB367_803 Depth=1
	s_or_b32 exec_lo, exec_lo, s12
	v_mov_b32_e32 v10, v20
	v_cmp_ne_u16_sdwa s4, v20, v11 src0_sel:BYTE_0 src1_sel:DWORD
	v_mov_b32_e32 v65, 0
	v_mov_b32_e32 v67, 0
	s_and_saveexec_b32 s12, s4
	s_cbranch_execz .LBB367_1503
; %bb.1496:                             ;   in Loop: Header=BB367_803 Depth=1
	v_cmp_ne_u16_sdwa s4, v20, v64 src0_sel:BYTE_0 src1_sel:DWORD
	v_bfrev_b32_e32 v67, 1
	s_and_saveexec_b32 s13, s4
	s_cbranch_execz .LBB367_1502
; %bb.1497:                             ;   in Loop: Header=BB367_803 Depth=1
	v_and_b32_e32 v23, 0x7f, v20
	v_mov_b32_e32 v67, 0x7f800001
	s_mov_b32 s15, exec_lo
	v_cmpx_ne_u32_e32 0x7f, v23
	s_cbranch_execz .LBB367_1501
; %bb.1498:                             ;   in Loop: Header=BB367_803 Depth=1
	v_lshrrev_b32_e32 v67, 3, v23
	v_cmp_gt_u32_e64 s4, 8, v23
	v_mov_b32_e32 v24, v11
	v_mov_b32_e32 v23, v10
	s_and_saveexec_b32 s18, s4
; %bb.1499:                             ;   in Loop: Header=BB367_803 Depth=1
	v_and_b32_e32 v23, 7, v20
	v_ffbh_u32_e32 v23, v23
	v_min_u32_e32 v67, 32, v23
	v_subrev_nc_u32_e32 v23, 28, v67
	v_sub_nc_u32_e32 v67, 29, v67
	v_lshlrev_b64 v[23:24], v23, v[10:11]
; %bb.1500:                             ;   in Loop: Header=BB367_803 Depth=1
	s_or_b32 exec_lo, exec_lo, s18
	v_lshlrev_b32_e32 v23, 20, v23
	v_lshlrev_b32_e32 v24, 24, v10
	v_lshl_add_u32 v67, v67, 23, 0x3c000000
	v_and_b32_e32 v23, 0x700000, v23
	v_and_b32_e32 v24, 0x80000000, v24
	v_or3_b32 v67, v23, v24, v67
.LBB367_1501:                           ;   in Loop: Header=BB367_803 Depth=1
	s_or_b32 exec_lo, exec_lo, s15
.LBB367_1502:                           ;   in Loop: Header=BB367_803 Depth=1
	s_or_b32 exec_lo, exec_lo, s13
.LBB367_1503:                           ;   in Loop: Header=BB367_803 Depth=1
	s_or_b32 exec_lo, exec_lo, s12
	v_cmp_ne_u16_sdwa s4, v10, v11 src0_sel:BYTE_1 src1_sel:DWORD
	s_and_saveexec_b32 s12, s4
	s_cbranch_execz .LBB367_1511
; %bb.1504:                             ;   in Loop: Header=BB367_803 Depth=1
	v_cmp_ne_u16_sdwa s4, v10, v64 src0_sel:BYTE_1 src1_sel:DWORD
	v_bfrev_b32_e32 v65, 1
	s_and_saveexec_b32 s13, s4
	s_cbranch_execz .LBB367_1510
; %bb.1505:                             ;   in Loop: Header=BB367_803 Depth=1
	v_mov_b32_e32 v23, 0xffff
	v_mov_b32_e32 v65, 0x7f800001
	s_mov_b32 s15, exec_lo
	v_and_b32_sdwa v23, v23, v10 dst_sel:DWORD dst_unused:UNUSED_PAD src0_sel:DWORD src1_sel:BYTE_1
	v_and_b32_e32 v80, 0x7f, v23
	v_cmpx_ne_u32_e32 0x7f, v80
	s_cbranch_execz .LBB367_1509
; %bb.1506:                             ;   in Loop: Header=BB367_803 Depth=1
	v_and_b32_e32 v23, 7, v23
	v_mov_b32_e32 v24, v11
	v_lshrrev_b32_e32 v65, 3, v80
	s_mov_b32 s18, exec_lo
	v_cmpx_gt_u32_e32 8, v80
; %bb.1507:                             ;   in Loop: Header=BB367_803 Depth=1
	v_ffbh_u32_e32 v65, v23
	v_min_u32_e32 v65, 32, v65
	v_subrev_nc_u32_e32 v80, 28, v65
	v_sub_nc_u32_e32 v65, 29, v65
	v_lshlrev_b64 v[23:24], v80, v[23:24]
	v_and_b32_e32 v23, 7, v23
; %bb.1508:                             ;   in Loop: Header=BB367_803 Depth=1
	s_or_b32 exec_lo, exec_lo, s18
	v_lshlrev_b32_e32 v10, 16, v10
	v_lshlrev_b32_e32 v23, 20, v23
	v_lshl_add_u32 v24, v65, 23, 0x3c000000
	v_and_b32_e32 v10, 0x80000000, v10
	v_or3_b32 v65, v23, v10, v24
.LBB367_1509:                           ;   in Loop: Header=BB367_803 Depth=1
	s_or_b32 exec_lo, exec_lo, s15
.LBB367_1510:                           ;   in Loop: Header=BB367_803 Depth=1
	s_or_b32 exec_lo, exec_lo, s13
.LBB367_1511:                           ;   in Loop: Header=BB367_803 Depth=1
	s_or_b32 exec_lo, exec_lo, s12
	v_and_b32_sdwa v10, v20, v66 dst_sel:DWORD dst_unused:UNUSED_PAD src0_sel:WORD_1 src1_sel:DWORD
	v_mov_b32_e32 v81, 0
	v_mov_b32_e32 v82, 0
	s_mov_b32 s12, exec_lo
	v_cmpx_ne_u16_e32 0, v10
	s_cbranch_execz .LBB367_1519
; %bb.1512:                             ;   in Loop: Header=BB367_803 Depth=1
	v_bfrev_b32_e32 v82, 1
	s_mov_b32 s13, exec_lo
	v_cmpx_ne_u16_e32 0x80, v10
	s_cbranch_execz .LBB367_1518
; %bb.1513:                             ;   in Loop: Header=BB367_803 Depth=1
	v_bfe_u32 v23, v20, 16, 7
	v_mov_b32_e32 v82, 0x7f800001
	s_mov_b32 s15, exec_lo
	v_cmpx_ne_u32_e32 0x7f, v23
	s_cbranch_execz .LBB367_1517
; %bb.1514:                             ;   in Loop: Header=BB367_803 Depth=1
	v_mov_b32_e32 v10, 7
	v_lshrrev_b32_e32 v80, 3, v23
	v_cmp_gt_u32_e64 s4, 8, v23
	v_and_b32_sdwa v10, v20, v10 dst_sel:DWORD dst_unused:UNUSED_PAD src0_sel:WORD_1 src1_sel:DWORD
	v_mov_b32_e32 v24, v11
	v_mov_b32_e32 v23, v10
	s_and_saveexec_b32 s18, s4
; %bb.1515:                             ;   in Loop: Header=BB367_803 Depth=1
	v_ffbh_u32_e32 v23, v10
	v_min_u32_e32 v80, 32, v23
	v_subrev_nc_u32_e32 v23, 28, v80
	v_sub_nc_u32_e32 v80, 29, v80
	v_lshlrev_b64 v[23:24], v23, v[10:11]
	v_and_b32_e32 v23, 7, v23
; %bb.1516:                             ;   in Loop: Header=BB367_803 Depth=1
	s_or_b32 exec_lo, exec_lo, s18
	v_mov_b32_e32 v10, 24
	v_lshlrev_b32_e32 v23, 20, v23
	v_lshl_add_u32 v24, v80, 23, 0x3c000000
	v_lshlrev_b32_sdwa v10, v10, v20 dst_sel:DWORD dst_unused:UNUSED_PAD src0_sel:DWORD src1_sel:WORD_1
	v_and_b32_e32 v10, 0x80000000, v10
	v_or3_b32 v82, v23, v10, v24
.LBB367_1517:                           ;   in Loop: Header=BB367_803 Depth=1
	s_or_b32 exec_lo, exec_lo, s15
.LBB367_1518:                           ;   in Loop: Header=BB367_803 Depth=1
	s_or_b32 exec_lo, exec_lo, s13
.LBB367_1519:                           ;   in Loop: Header=BB367_803 Depth=1
	s_or_b32 exec_lo, exec_lo, s12
	s_mov_b32 s12, exec_lo
	v_cmpx_lt_u64_e64 s[8:9], v[19:20]
	s_cbranch_execz .LBB367_1527
; %bb.1520:                             ;   in Loop: Header=BB367_803 Depth=1
	v_cmp_ne_u32_sdwa s4, v20, v64 src0_sel:BYTE_3 src1_sel:DWORD
	v_bfrev_b32_e32 v81, 1
	s_and_saveexec_b32 s13, s4
	s_cbranch_execz .LBB367_1526
; %bb.1521:                             ;   in Loop: Header=BB367_803 Depth=1
	v_bfe_u32 v23, v20, 24, 7
	v_mov_b32_e32 v81, 0x7f800001
	s_mov_b32 s15, exec_lo
	v_cmpx_ne_u32_e32 0x7f, v23
	s_cbranch_execz .LBB367_1525
; %bb.1522:                             ;   in Loop: Header=BB367_803 Depth=1
	v_mov_b32_e32 v10, 7
	v_lshrrev_b32_e32 v19, 3, v23
	v_cmp_gt_u32_e64 s4, 8, v23
	v_and_b32_sdwa v10, v20, v10 dst_sel:DWORD dst_unused:UNUSED_PAD src0_sel:BYTE_3 src1_sel:DWORD
	v_mov_b32_e32 v24, v11
	v_mov_b32_e32 v23, v10
	s_and_saveexec_b32 s18, s4
; %bb.1523:                             ;   in Loop: Header=BB367_803 Depth=1
	v_ffbh_u32_e32 v19, v10
	v_min_u32_e32 v19, 32, v19
	v_subrev_nc_u32_e32 v23, 28, v19
	v_sub_nc_u32_e32 v19, 29, v19
	v_lshlrev_b64 v[23:24], v23, v[10:11]
	v_and_b32_e32 v23, 7, v23
; %bb.1524:                             ;   in Loop: Header=BB367_803 Depth=1
	s_or_b32 exec_lo, exec_lo, s18
	v_mov_b32_e32 v10, 24
	v_lshl_add_u32 v19, v19, 23, 0x3c000000
	v_lshlrev_b32_sdwa v10, v10, v20 dst_sel:DWORD dst_unused:UNUSED_PAD src0_sel:DWORD src1_sel:BYTE_3
	v_lshlrev_b32_e32 v20, 20, v23
	v_and_b32_e32 v10, 0x80000000, v10
	v_or3_b32 v81, v20, v10, v19
.LBB367_1525:                           ;   in Loop: Header=BB367_803 Depth=1
	s_or_b32 exec_lo, exec_lo, s15
.LBB367_1526:                           ;   in Loop: Header=BB367_803 Depth=1
	s_or_b32 exec_lo, exec_lo, s13
.LBB367_1527:                           ;   in Loop: Header=BB367_803 Depth=1
	s_or_b32 exec_lo, exec_lo, s12
	v_mul_f32_e32 v10, v26, v65
	v_bfe_u32 v19, v10, 16, 1
	v_or_b32_e32 v20, 0x400000, v10
	v_cmp_u_f32_e64 s4, v10, v10
	v_add3_u32 v19, v19, v10, 0x7fff
	v_cndmask_b32_e64 v10, v19, v20, s4
	v_lshrrev_b32_e32 v65, 16, v10
	v_mul_f32_e32 v10, v26, v67
	v_bfe_u32 v19, v10, 16, 1
	v_or_b32_e32 v20, 0x400000, v10
	v_cmp_u_f32_e64 s4, v10, v10
	v_add3_u32 v19, v19, v10, 0x7fff
	v_cndmask_b32_e64 v10, v19, v20, s4
	v_lshrrev_b32_e32 v67, 16, v10
	;; [unrolled: 7-line block ×8, first 2 shown]
	s_and_saveexec_b32 s12, vcc_lo
	s_cbranch_execz .LBB367_1529
; %bb.1528:                             ;   in Loop: Header=BB367_803 Depth=1
	v_cmp_lt_i32_e64 s4, v117, v37
	v_cndmask_b32_e64 v80, 0, v80, s4
	v_cmp_lt_i32_e64 s4, v43, v37
	v_cndmask_b32_e64 v71, 0, v71, s4
	;; [unrolled: 2-line block ×8, first 2 shown]
.LBB367_1529:                           ;   in Loop: Header=BB367_803 Depth=1
	s_or_b32 exec_lo, exec_lo, s12
	flat_load_dwordx2 v[17:18], v[17:18] offset:768
	v_mov_b32_e32 v24, 0
	v_mov_b32_e32 v23, 0
	s_waitcnt vmcnt(0) lgkmcnt(0)
	v_cmp_ne_u16_sdwa s4, v17, v11 src0_sel:BYTE_0 src1_sel:DWORD
	s_and_saveexec_b32 s12, s4
	s_cbranch_execz .LBB367_1537
; %bb.1530:                             ;   in Loop: Header=BB367_803 Depth=1
	v_cmp_ne_u16_sdwa s4, v17, v64 src0_sel:BYTE_0 src1_sel:DWORD
	v_bfrev_b32_e32 v23, 1
	s_and_saveexec_b32 s13, s4
	s_cbranch_execz .LBB367_1536
; %bb.1531:                             ;   in Loop: Header=BB367_803 Depth=1
	v_and_b32_e32 v19, 0x7f, v17
	v_mov_b32_e32 v23, 0x7f800001
	s_mov_b32 s15, exec_lo
	v_cmpx_ne_u32_e32 0x7f, v19
	s_cbranch_execz .LBB367_1535
; %bb.1532:                             ;   in Loop: Header=BB367_803 Depth=1
	v_lshrrev_b32_e32 v10, 3, v19
	v_cmp_gt_u32_e64 s4, 8, v19
	v_mov_b32_e32 v20, v18
	v_mov_b32_e32 v19, v17
	s_and_saveexec_b32 s18, s4
; %bb.1533:                             ;   in Loop: Header=BB367_803 Depth=1
	v_and_b32_e32 v10, 7, v17
	v_ffbh_u32_e32 v10, v10
	v_min_u32_e32 v10, 32, v10
	v_subrev_nc_u32_e32 v19, 28, v10
	v_sub_nc_u32_e32 v10, 29, v10
	v_lshlrev_b64 v[19:20], v19, v[17:18]
; %bb.1534:                             ;   in Loop: Header=BB367_803 Depth=1
	s_or_b32 exec_lo, exec_lo, s18
	v_lshlrev_b32_e32 v19, 20, v19
	v_lshlrev_b32_e32 v20, 24, v17
	v_lshl_add_u32 v10, v10, 23, 0x3c000000
	v_and_b32_e32 v19, 0x700000, v19
	v_and_b32_e32 v20, 0x80000000, v20
	v_or3_b32 v23, v19, v20, v10
.LBB367_1535:                           ;   in Loop: Header=BB367_803 Depth=1
	s_or_b32 exec_lo, exec_lo, s15
.LBB367_1536:                           ;   in Loop: Header=BB367_803 Depth=1
	s_or_b32 exec_lo, exec_lo, s13
.LBB367_1537:                           ;   in Loop: Header=BB367_803 Depth=1
	s_or_b32 exec_lo, exec_lo, s12
	v_cmp_ne_u16_sdwa s4, v17, v11 src0_sel:BYTE_1 src1_sel:DWORD
	s_and_saveexec_b32 s12, s4
	s_cbranch_execz .LBB367_1545
; %bb.1538:                             ;   in Loop: Header=BB367_803 Depth=1
	v_cmp_ne_u16_sdwa s4, v17, v64 src0_sel:BYTE_1 src1_sel:DWORD
	v_bfrev_b32_e32 v24, 1
	s_and_saveexec_b32 s13, s4
	s_cbranch_execz .LBB367_1544
; %bb.1539:                             ;   in Loop: Header=BB367_803 Depth=1
	v_mov_b32_e32 v10, 0xffff
	v_mov_b32_e32 v24, 0x7f800001
	s_mov_b32 s15, exec_lo
	v_and_b32_sdwa v10, v10, v17 dst_sel:DWORD dst_unused:UNUSED_PAD src0_sel:DWORD src1_sel:BYTE_1
	v_and_b32_e32 v19, 0x7f, v10
	v_cmpx_ne_u32_e32 0x7f, v19
	s_cbranch_execz .LBB367_1543
; %bb.1540:                             ;   in Loop: Header=BB367_803 Depth=1
	v_and_b32_e32 v10, 7, v10
	v_lshrrev_b32_e32 v24, 3, v19
	v_cmp_gt_u32_e64 s4, 8, v19
	v_mov_b32_e32 v20, v11
	v_mov_b32_e32 v19, v10
	s_and_saveexec_b32 s18, s4
; %bb.1541:                             ;   in Loop: Header=BB367_803 Depth=1
	v_ffbh_u32_e32 v19, v10
	v_min_u32_e32 v24, 32, v19
	v_subrev_nc_u32_e32 v19, 28, v24
	v_sub_nc_u32_e32 v24, 29, v24
	v_lshlrev_b64 v[19:20], v19, v[10:11]
	v_and_b32_e32 v19, 7, v19
; %bb.1542:                             ;   in Loop: Header=BB367_803 Depth=1
	s_or_b32 exec_lo, exec_lo, s18
	v_lshlrev_b32_e32 v10, 16, v17
	v_lshlrev_b32_e32 v19, 20, v19
	v_lshl_add_u32 v20, v24, 23, 0x3c000000
	v_and_b32_e32 v10, 0x80000000, v10
	v_or3_b32 v24, v19, v10, v20
.LBB367_1543:                           ;   in Loop: Header=BB367_803 Depth=1
	s_or_b32 exec_lo, exec_lo, s15
.LBB367_1544:                           ;   in Loop: Header=BB367_803 Depth=1
	s_or_b32 exec_lo, exec_lo, s13
.LBB367_1545:                           ;   in Loop: Header=BB367_803 Depth=1
	s_or_b32 exec_lo, exec_lo, s12
	v_and_b32_sdwa v10, v17, v66 dst_sel:DWORD dst_unused:UNUSED_PAD src0_sel:WORD_1 src1_sel:DWORD
	v_mov_b32_e32 v82, 0
	v_mov_b32_e32 v124, 0
	s_mov_b32 s12, exec_lo
	v_cmpx_ne_u16_e32 0, v10
	s_cbranch_execz .LBB367_1553
; %bb.1546:                             ;   in Loop: Header=BB367_803 Depth=1
	v_bfrev_b32_e32 v124, 1
	s_mov_b32 s13, exec_lo
	v_cmpx_ne_u16_e32 0x80, v10
	s_cbranch_execz .LBB367_1552
; %bb.1547:                             ;   in Loop: Header=BB367_803 Depth=1
	v_bfe_u32 v19, v17, 16, 7
	v_mov_b32_e32 v124, 0x7f800001
	s_mov_b32 s15, exec_lo
	v_cmpx_ne_u32_e32 0x7f, v19
	s_cbranch_execz .LBB367_1551
; %bb.1548:                             ;   in Loop: Header=BB367_803 Depth=1
	v_mov_b32_e32 v10, 7
	v_lshrrev_b32_e32 v83, 3, v19
	v_cmp_gt_u32_e64 s4, 8, v19
	v_and_b32_sdwa v10, v17, v10 dst_sel:DWORD dst_unused:UNUSED_PAD src0_sel:WORD_1 src1_sel:DWORD
	v_mov_b32_e32 v20, v11
	v_mov_b32_e32 v19, v10
	s_and_saveexec_b32 s18, s4
; %bb.1549:                             ;   in Loop: Header=BB367_803 Depth=1
	v_ffbh_u32_e32 v19, v10
	v_min_u32_e32 v83, 32, v19
	v_subrev_nc_u32_e32 v19, 28, v83
	v_sub_nc_u32_e32 v83, 29, v83
	v_lshlrev_b64 v[19:20], v19, v[10:11]
	v_and_b32_e32 v19, 7, v19
; %bb.1550:                             ;   in Loop: Header=BB367_803 Depth=1
	s_or_b32 exec_lo, exec_lo, s18
	v_mov_b32_e32 v10, 24
	v_lshlrev_b32_e32 v19, 20, v19
	v_lshl_add_u32 v20, v83, 23, 0x3c000000
	v_lshlrev_b32_sdwa v10, v10, v17 dst_sel:DWORD dst_unused:UNUSED_PAD src0_sel:DWORD src1_sel:WORD_1
	v_and_b32_e32 v10, 0x80000000, v10
	v_or3_b32 v124, v19, v10, v20
.LBB367_1551:                           ;   in Loop: Header=BB367_803 Depth=1
	s_or_b32 exec_lo, exec_lo, s15
.LBB367_1552:                           ;   in Loop: Header=BB367_803 Depth=1
	s_or_b32 exec_lo, exec_lo, s13
.LBB367_1553:                           ;   in Loop: Header=BB367_803 Depth=1
	s_or_b32 exec_lo, exec_lo, s12
	s_mov_b32 s12, exec_lo
	v_cmpx_lt_u32_e32 0xffffff, v17
	s_cbranch_execz .LBB367_1561
; %bb.1554:                             ;   in Loop: Header=BB367_803 Depth=1
	v_cmp_ne_u32_sdwa s4, v17, v64 src0_sel:BYTE_3 src1_sel:DWORD
	v_bfrev_b32_e32 v82, 1
	s_and_saveexec_b32 s13, s4
	s_cbranch_execz .LBB367_1560
; %bb.1555:                             ;   in Loop: Header=BB367_803 Depth=1
	v_bfe_u32 v19, v17, 24, 7
	v_mov_b32_e32 v82, 0x7f800001
	s_mov_b32 s15, exec_lo
	v_cmpx_ne_u32_e32 0x7f, v19
	s_cbranch_execz .LBB367_1559
; %bb.1556:                             ;   in Loop: Header=BB367_803 Depth=1
	v_mov_b32_e32 v10, 7
	v_lshrrev_b32_e32 v82, 3, v19
	v_cmp_gt_u32_e64 s4, 8, v19
	v_and_b32_sdwa v10, v17, v10 dst_sel:DWORD dst_unused:UNUSED_PAD src0_sel:BYTE_3 src1_sel:DWORD
	v_mov_b32_e32 v20, v11
	v_mov_b32_e32 v19, v10
	s_and_saveexec_b32 s18, s4
; %bb.1557:                             ;   in Loop: Header=BB367_803 Depth=1
	v_ffbh_u32_e32 v19, v10
	v_min_u32_e32 v82, 32, v19
	v_subrev_nc_u32_e32 v19, 28, v82
	v_sub_nc_u32_e32 v82, 29, v82
	v_lshlrev_b64 v[19:20], v19, v[10:11]
	v_and_b32_e32 v19, 7, v19
; %bb.1558:                             ;   in Loop: Header=BB367_803 Depth=1
	s_or_b32 exec_lo, exec_lo, s18
	v_mov_b32_e32 v10, 24
	v_lshlrev_b32_e32 v19, 20, v19
	v_lshl_add_u32 v20, v82, 23, 0x3c000000
	v_lshlrev_b32_sdwa v10, v10, v17 dst_sel:DWORD dst_unused:UNUSED_PAD src0_sel:DWORD src1_sel:BYTE_3
	v_and_b32_e32 v10, 0x80000000, v10
	v_or3_b32 v82, v19, v10, v20
.LBB367_1559:                           ;   in Loop: Header=BB367_803 Depth=1
	s_or_b32 exec_lo, exec_lo, s15
.LBB367_1560:                           ;   in Loop: Header=BB367_803 Depth=1
	s_or_b32 exec_lo, exec_lo, s13
.LBB367_1561:                           ;   in Loop: Header=BB367_803 Depth=1
	s_or_b32 exec_lo, exec_lo, s12
	v_mov_b32_e32 v10, v18
	v_cmp_ne_u16_sdwa s4, v18, v11 src0_sel:BYTE_0 src1_sel:DWORD
	v_mov_b32_e32 v86, 0
	v_mov_b32_e32 v85, 0
	s_and_saveexec_b32 s12, s4
	s_cbranch_execz .LBB367_1569
; %bb.1562:                             ;   in Loop: Header=BB367_803 Depth=1
	v_cmp_ne_u16_sdwa s4, v18, v64 src0_sel:BYTE_0 src1_sel:DWORD
	v_bfrev_b32_e32 v85, 1
	s_and_saveexec_b32 s13, s4
	s_cbranch_execz .LBB367_1568
; %bb.1563:                             ;   in Loop: Header=BB367_803 Depth=1
	v_and_b32_e32 v19, 0x7f, v18
	v_mov_b32_e32 v85, 0x7f800001
	s_mov_b32 s15, exec_lo
	v_cmpx_ne_u32_e32 0x7f, v19
	s_cbranch_execz .LBB367_1567
; %bb.1564:                             ;   in Loop: Header=BB367_803 Depth=1
	v_lshrrev_b32_e32 v83, 3, v19
	v_cmp_gt_u32_e64 s4, 8, v19
	v_mov_b32_e32 v20, v11
	v_mov_b32_e32 v19, v10
	s_and_saveexec_b32 s18, s4
; %bb.1565:                             ;   in Loop: Header=BB367_803 Depth=1
	v_and_b32_e32 v19, 7, v18
	v_ffbh_u32_e32 v19, v19
	v_min_u32_e32 v83, 32, v19
	v_subrev_nc_u32_e32 v19, 28, v83
	v_sub_nc_u32_e32 v83, 29, v83
	v_lshlrev_b64 v[19:20], v19, v[10:11]
; %bb.1566:                             ;   in Loop: Header=BB367_803 Depth=1
	s_or_b32 exec_lo, exec_lo, s18
	v_lshlrev_b32_e32 v19, 20, v19
	v_lshlrev_b32_e32 v20, 24, v10
	v_lshl_add_u32 v83, v83, 23, 0x3c000000
	v_and_b32_e32 v19, 0x700000, v19
	v_and_b32_e32 v20, 0x80000000, v20
	v_or3_b32 v85, v19, v20, v83
.LBB367_1567:                           ;   in Loop: Header=BB367_803 Depth=1
	s_or_b32 exec_lo, exec_lo, s15
.LBB367_1568:                           ;   in Loop: Header=BB367_803 Depth=1
	s_or_b32 exec_lo, exec_lo, s13
.LBB367_1569:                           ;   in Loop: Header=BB367_803 Depth=1
	s_or_b32 exec_lo, exec_lo, s12
	v_cmp_ne_u16_sdwa s4, v10, v11 src0_sel:BYTE_1 src1_sel:DWORD
	s_and_saveexec_b32 s12, s4
	s_cbranch_execz .LBB367_1577
; %bb.1570:                             ;   in Loop: Header=BB367_803 Depth=1
	v_cmp_ne_u16_sdwa s4, v10, v64 src0_sel:BYTE_1 src1_sel:DWORD
	v_bfrev_b32_e32 v86, 1
	s_and_saveexec_b32 s13, s4
	s_cbranch_execz .LBB367_1576
; %bb.1571:                             ;   in Loop: Header=BB367_803 Depth=1
	v_mov_b32_e32 v19, 0xffff
	v_mov_b32_e32 v86, 0x7f800001
	s_mov_b32 s15, exec_lo
	v_and_b32_sdwa v19, v19, v10 dst_sel:DWORD dst_unused:UNUSED_PAD src0_sel:DWORD src1_sel:BYTE_1
	v_and_b32_e32 v84, 0x7f, v19
	v_cmpx_ne_u32_e32 0x7f, v84
	s_cbranch_execz .LBB367_1575
; %bb.1572:                             ;   in Loop: Header=BB367_803 Depth=1
	v_and_b32_e32 v19, 7, v19
	v_mov_b32_e32 v20, v11
	v_lshrrev_b32_e32 v83, 3, v84
	s_mov_b32 s18, exec_lo
	v_cmpx_gt_u32_e32 8, v84
; %bb.1573:                             ;   in Loop: Header=BB367_803 Depth=1
	v_ffbh_u32_e32 v83, v19
	v_min_u32_e32 v83, 32, v83
	v_subrev_nc_u32_e32 v84, 28, v83
	v_sub_nc_u32_e32 v83, 29, v83
	v_lshlrev_b64 v[19:20], v84, v[19:20]
	v_and_b32_e32 v19, 7, v19
; %bb.1574:                             ;   in Loop: Header=BB367_803 Depth=1
	s_or_b32 exec_lo, exec_lo, s18
	v_lshlrev_b32_e32 v10, 16, v10
	v_lshlrev_b32_e32 v19, 20, v19
	v_lshl_add_u32 v20, v83, 23, 0x3c000000
	v_and_b32_e32 v10, 0x80000000, v10
	v_or3_b32 v86, v19, v10, v20
.LBB367_1575:                           ;   in Loop: Header=BB367_803 Depth=1
	s_or_b32 exec_lo, exec_lo, s15
.LBB367_1576:                           ;   in Loop: Header=BB367_803 Depth=1
	s_or_b32 exec_lo, exec_lo, s13
.LBB367_1577:                           ;   in Loop: Header=BB367_803 Depth=1
	s_or_b32 exec_lo, exec_lo, s12
	v_and_b32_sdwa v10, v18, v66 dst_sel:DWORD dst_unused:UNUSED_PAD src0_sel:WORD_1 src1_sel:DWORD
	v_mov_b32_e32 v83, 0
	v_mov_b32_e32 v84, 0
	s_mov_b32 s12, exec_lo
	v_cmpx_ne_u16_e32 0, v10
	s_cbranch_execz .LBB367_1585
; %bb.1578:                             ;   in Loop: Header=BB367_803 Depth=1
	v_bfrev_b32_e32 v84, 1
	s_mov_b32 s13, exec_lo
	v_cmpx_ne_u16_e32 0x80, v10
	s_cbranch_execz .LBB367_1584
; %bb.1579:                             ;   in Loop: Header=BB367_803 Depth=1
	v_bfe_u32 v19, v18, 16, 7
	v_mov_b32_e32 v84, 0x7f800001
	s_mov_b32 s15, exec_lo
	v_cmpx_ne_u32_e32 0x7f, v19
	s_cbranch_execz .LBB367_1583
; %bb.1580:                             ;   in Loop: Header=BB367_803 Depth=1
	v_mov_b32_e32 v10, 7
	v_lshrrev_b32_e32 v84, 3, v19
	v_cmp_gt_u32_e64 s4, 8, v19
	v_and_b32_sdwa v10, v18, v10 dst_sel:DWORD dst_unused:UNUSED_PAD src0_sel:WORD_1 src1_sel:DWORD
	v_mov_b32_e32 v20, v11
	v_mov_b32_e32 v19, v10
	s_and_saveexec_b32 s18, s4
; %bb.1581:                             ;   in Loop: Header=BB367_803 Depth=1
	v_ffbh_u32_e32 v19, v10
	v_min_u32_e32 v84, 32, v19
	v_subrev_nc_u32_e32 v19, 28, v84
	v_sub_nc_u32_e32 v84, 29, v84
	v_lshlrev_b64 v[19:20], v19, v[10:11]
	v_and_b32_e32 v19, 7, v19
; %bb.1582:                             ;   in Loop: Header=BB367_803 Depth=1
	s_or_b32 exec_lo, exec_lo, s18
	v_mov_b32_e32 v10, 24
	v_lshlrev_b32_e32 v19, 20, v19
	v_lshl_add_u32 v20, v84, 23, 0x3c000000
	v_lshlrev_b32_sdwa v10, v10, v18 dst_sel:DWORD dst_unused:UNUSED_PAD src0_sel:DWORD src1_sel:WORD_1
	v_and_b32_e32 v10, 0x80000000, v10
	v_or3_b32 v84, v19, v10, v20
.LBB367_1583:                           ;   in Loop: Header=BB367_803 Depth=1
	s_or_b32 exec_lo, exec_lo, s15
.LBB367_1584:                           ;   in Loop: Header=BB367_803 Depth=1
	s_or_b32 exec_lo, exec_lo, s13
.LBB367_1585:                           ;   in Loop: Header=BB367_803 Depth=1
	s_or_b32 exec_lo, exec_lo, s12
	s_mov_b32 s12, exec_lo
	v_cmpx_lt_u64_e64 s[8:9], v[17:18]
	s_cbranch_execz .LBB367_1593
; %bb.1586:                             ;   in Loop: Header=BB367_803 Depth=1
	v_cmp_ne_u32_sdwa s4, v18, v64 src0_sel:BYTE_3 src1_sel:DWORD
	v_bfrev_b32_e32 v83, 1
	s_and_saveexec_b32 s13, s4
	s_cbranch_execz .LBB367_1592
; %bb.1587:                             ;   in Loop: Header=BB367_803 Depth=1
	v_bfe_u32 v19, v18, 24, 7
	v_mov_b32_e32 v83, 0x7f800001
	s_mov_b32 s15, exec_lo
	v_cmpx_ne_u32_e32 0x7f, v19
	s_cbranch_execz .LBB367_1591
; %bb.1588:                             ;   in Loop: Header=BB367_803 Depth=1
	v_mov_b32_e32 v10, 7
	v_lshrrev_b32_e32 v17, 3, v19
	v_cmp_gt_u32_e64 s4, 8, v19
	v_and_b32_sdwa v10, v18, v10 dst_sel:DWORD dst_unused:UNUSED_PAD src0_sel:BYTE_3 src1_sel:DWORD
	v_mov_b32_e32 v20, v11
	v_mov_b32_e32 v19, v10
	s_and_saveexec_b32 s18, s4
; %bb.1589:                             ;   in Loop: Header=BB367_803 Depth=1
	v_ffbh_u32_e32 v17, v10
	v_min_u32_e32 v17, 32, v17
	v_subrev_nc_u32_e32 v19, 28, v17
	v_sub_nc_u32_e32 v17, 29, v17
	v_lshlrev_b64 v[19:20], v19, v[10:11]
	v_and_b32_e32 v19, 7, v19
; %bb.1590:                             ;   in Loop: Header=BB367_803 Depth=1
	s_or_b32 exec_lo, exec_lo, s18
	v_mov_b32_e32 v10, 24
	v_lshl_add_u32 v17, v17, 23, 0x3c000000
	v_lshlrev_b32_sdwa v10, v10, v18 dst_sel:DWORD dst_unused:UNUSED_PAD src0_sel:DWORD src1_sel:BYTE_3
	v_lshlrev_b32_e32 v18, 20, v19
	v_and_b32_e32 v10, 0x80000000, v10
	v_or3_b32 v83, v18, v10, v17
.LBB367_1591:                           ;   in Loop: Header=BB367_803 Depth=1
	s_or_b32 exec_lo, exec_lo, s15
.LBB367_1592:                           ;   in Loop: Header=BB367_803 Depth=1
	s_or_b32 exec_lo, exec_lo, s13
.LBB367_1593:                           ;   in Loop: Header=BB367_803 Depth=1
	s_or_b32 exec_lo, exec_lo, s12
	v_mul_f32_e32 v10, v26, v86
	v_bfe_u32 v17, v10, 16, 1
	v_or_b32_e32 v18, 0x400000, v10
	v_cmp_u_f32_e64 s4, v10, v10
	v_add3_u32 v17, v17, v10, 0x7fff
	v_cndmask_b32_e64 v10, v17, v18, s4
	v_mul_f32_e32 v17, v26, v85
	v_lshrrev_b32_e32 v10, 16, v10
	v_bfe_u32 v18, v17, 16, 1
	v_or_b32_e32 v19, 0x400000, v17
	v_cmp_u_f32_e64 s4, v17, v17
	v_add3_u32 v18, v18, v17, 0x7fff
	v_cndmask_b32_e64 v17, v18, v19, s4
	v_mul_f32_e32 v18, v26, v82
	v_lshrrev_b32_e32 v17, 16, v17
	;; [unrolled: 7-line block ×3, first 2 shown]
	v_bfe_u32 v20, v19, 16, 1
	v_or_b32_e32 v82, 0x400000, v19
	v_cmp_u_f32_e64 s4, v19, v19
	v_add3_u32 v20, v20, v19, 0x7fff
	v_cndmask_b32_e64 v19, v20, v82, s4
	v_lshrrev_b32_e32 v20, 16, v19
	v_mul_f32_e32 v19, v26, v24
	v_bfe_u32 v24, v19, 16, 1
	v_or_b32_e32 v82, 0x400000, v19
	v_cmp_u_f32_e64 s4, v19, v19
	v_add3_u32 v24, v24, v19, 0x7fff
	v_cndmask_b32_e64 v19, v24, v82, s4
	v_lshrrev_b32_e32 v24, 16, v19
	v_mul_f32_e32 v19, v26, v23
	;; [unrolled: 7-line block ×3, first 2 shown]
	v_bfe_u32 v23, v19, 16, 1
	v_or_b32_e32 v82, 0x400000, v19
	v_cmp_u_f32_e64 s4, v19, v19
	v_add3_u32 v23, v23, v19, 0x7fff
	v_cndmask_b32_e64 v19, v23, v82, s4
	v_mul_f32_e32 v23, v26, v83
	v_lshrrev_b32_e32 v19, 16, v19
	v_bfe_u32 v82, v23, 16, 1
	v_or_b32_e32 v83, 0x400000, v23
	v_cmp_u_f32_e64 s4, v23, v23
	v_add3_u32 v82, v82, v23, 0x7fff
	v_cndmask_b32_e64 v23, v82, v83, s4
	v_lshrrev_b32_e32 v23, 16, v23
	s_and_saveexec_b32 s4, vcc_lo
	s_cbranch_execz .LBB367_802
; %bb.1594:                             ;   in Loop: Header=BB367_803 Depth=1
	v_cmp_lt_i32_e32 vcc_lo, v117, v37
	v_cndmask_b32_e32 v124, 0, v124, vcc_lo
	v_cmp_lt_i32_e32 vcc_lo, v43, v37
	v_cndmask_b32_e32 v24, 0, v24, vcc_lo
	;; [unrolled: 2-line block ×8, first 2 shown]
	s_branch .LBB367_802
.LBB367_1595:
	s_or_b32 exec_lo, exec_lo, s11
	s_clause 0x6
	buffer_load_dword v36, off, s[0:3], s32 offset:580
	buffer_load_dword v38, off, s[0:3], s32 offset:584
	;; [unrolled: 1-line block ×7, first 2 shown]
	v_mov_b32_e32 v0, s16
	v_mov_b32_e32 v1, s17
.LBB367_1596:
	s_or_b32 exec_lo, exec_lo, s7
	v_lshlrev_b64 v[0:1], 2, v[0:1]
	s_getpc_b64 s[8:9]
	s_add_u32 s8, s8, llvm.amdgcn.dynlds.offset.table@rel32@lo+4
	s_addc_u32 s9, s9, llvm.amdgcn.dynlds.offset.table@rel32@hi+12
	s_waitcnt vmcnt(0) lgkmcnt(0)
	s_waitcnt_vscnt null, 0x0
	s_barrier
	buffer_gl0_inv
	ds_bpermute_b32 v2, v20, v52
	v_add_co_u32 v0, vcc_lo, s8, v0
	v_add_co_ci_u32_e64 v1, null, s9, v1, vcc_lo
	ds_bpermute_b32 v3, v20, v50
	ds_bpermute_b32 v4, v20, v49
	;; [unrolled: 1-line block ×3, first 2 shown]
	global_load_dword v12, v[0:1], off
	ds_bpermute_b32 v0, v20, v51
	ds_bpermute_b32 v1, v20, v53
	;; [unrolled: 1-line block ×8, first 2 shown]
	v_lshrrev_b32_e32 v14, 1, v22
	v_mul_u32_u24_e32 v15, 0x300, v21
	v_and_b32_e32 v21, 0x3c1, v34
	s_waitcnt lgkmcnt(11)
	v_add_f32_e32 v9, v52, v2
	s_mov_b32 s4, exec_lo
	s_waitcnt lgkmcnt(10)
	v_add_f32_e32 v8, v50, v3
	s_waitcnt lgkmcnt(9)
	v_add_f32_e32 v7, v49, v4
	;; [unrolled: 2-line block ×11, first 2 shown]
	s_waitcnt vmcnt(0)
	v_lshl_add_u32 v13, v14, 2, v12
	v_cmpx_eq_u32_e32 64, v21
	s_cbranch_execz .LBB367_1598
; %bb.1597:
	v_add_nc_u32_e32 v16, v13, v15
	v_add_nc_u32_e32 v17, 0xfffffa00, v16
	;; [unrolled: 1-line block ×8, first 2 shown]
	ds_write_b32 v17, v11
	ds_write_b32 v18, v10
	;; [unrolled: 1-line block ×7, first 2 shown]
	v_add_nc_u32_e32 v17, 0xfffffbc0, v16
	v_add_nc_u32_e32 v18, 0xfffffc00, v16
	;; [unrolled: 1-line block ×5, first 2 shown]
	ds_write_b32 v17, v4
	ds_write_b32 v18, v3
	;; [unrolled: 1-line block ×5, first 2 shown]
.LBB367_1598:
	s_or_b32 exec_lo, exec_lo, s4
	v_lshlrev_b32_e32 v14, 2, v14
	s_mov_b32 s7, exec_lo
	v_cmp_eq_u32_e32 vcc_lo, 0, v35
	s_waitcnt lgkmcnt(0)
	s_barrier
	v_add3_u32 v12, v12, v15, v14
	buffer_gl0_inv
	v_cmpx_gt_u32_e32 64, v34
	s_cbranch_execz .LBB367_1613
; %bb.1599:
	s_and_saveexec_b32 s4, vcc_lo
	s_cbranch_execnz .LBB367_1633
; %bb.1600:
	s_or_b32 exec_lo, exec_lo, s4
	s_and_saveexec_b32 s4, vcc_lo
	s_cbranch_execnz .LBB367_1634
.LBB367_1601:
	s_or_b32 exec_lo, exec_lo, s4
	s_and_saveexec_b32 s4, vcc_lo
	s_cbranch_execnz .LBB367_1635
.LBB367_1602:
	s_or_b32 exec_lo, exec_lo, s4
	s_and_saveexec_b32 s4, vcc_lo
	s_cbranch_execnz .LBB367_1636
.LBB367_1603:
	s_or_b32 exec_lo, exec_lo, s4
	s_and_saveexec_b32 s4, vcc_lo
	s_cbranch_execnz .LBB367_1637
.LBB367_1604:
	s_or_b32 exec_lo, exec_lo, s4
	s_and_saveexec_b32 s4, vcc_lo
	s_cbranch_execnz .LBB367_1638
.LBB367_1605:
	s_or_b32 exec_lo, exec_lo, s4
	s_and_saveexec_b32 s4, vcc_lo
	s_cbranch_execnz .LBB367_1639
.LBB367_1606:
	s_or_b32 exec_lo, exec_lo, s4
	s_and_saveexec_b32 s4, vcc_lo
	s_cbranch_execnz .LBB367_1640
.LBB367_1607:
	s_or_b32 exec_lo, exec_lo, s4
	s_and_saveexec_b32 s4, vcc_lo
	s_cbranch_execnz .LBB367_1641
.LBB367_1608:
	s_or_b32 exec_lo, exec_lo, s4
	s_and_saveexec_b32 s4, vcc_lo
	s_cbranch_execnz .LBB367_1642
.LBB367_1609:
	s_or_b32 exec_lo, exec_lo, s4
	s_and_saveexec_b32 s4, vcc_lo
	s_cbranch_execnz .LBB367_1643
.LBB367_1610:
	s_or_b32 exec_lo, exec_lo, s4
	s_and_saveexec_b32 s4, vcc_lo
	s_cbranch_execz .LBB367_1612
.LBB367_1611:
	ds_read_b32 v14, v12 offset:704
	s_waitcnt lgkmcnt(0)
	v_add_f32_e32 v0, v14, v0
.LBB367_1612:
	s_or_b32 exec_lo, exec_lo, s4
.LBB367_1613:
	s_or_b32 exec_lo, exec_lo, s7
	v_and_b32_e32 v14, 0x3e1, v34
	s_mov_b32 s7, exec_lo
	s_barrier
	buffer_gl0_inv
	v_cmpx_eq_u32_e32 32, v14
	s_cbranch_execz .LBB367_1615
; %bb.1614:
	ds_write2_b32 v13, v11, v10 offset1:16
	ds_write2_b32 v13, v9, v8 offset0:32 offset1:48
	ds_write2_b32 v13, v7, v6 offset0:64 offset1:80
	;; [unrolled: 1-line block ×5, first 2 shown]
.LBB367_1615:
	s_or_b32 exec_lo, exec_lo, s7
	s_mov_b32 s7, exec_lo
	s_waitcnt lgkmcnt(0)
	s_barrier
	buffer_gl0_inv
	v_cmpx_gt_u32_e32 32, v34
	s_cbranch_execz .LBB367_1630
; %bb.1616:
	s_and_saveexec_b32 s4, vcc_lo
	s_cbranch_execnz .LBB367_1644
; %bb.1617:
	s_or_b32 exec_lo, exec_lo, s4
	s_and_saveexec_b32 s4, vcc_lo
	s_cbranch_execnz .LBB367_1645
.LBB367_1618:
	s_or_b32 exec_lo, exec_lo, s4
	s_and_saveexec_b32 s4, vcc_lo
	s_cbranch_execnz .LBB367_1646
.LBB367_1619:
	s_or_b32 exec_lo, exec_lo, s4
	s_and_saveexec_b32 s4, vcc_lo
	s_cbranch_execnz .LBB367_1647
.LBB367_1620:
	s_or_b32 exec_lo, exec_lo, s4
	s_and_saveexec_b32 s4, vcc_lo
	s_cbranch_execnz .LBB367_1648
.LBB367_1621:
	s_or_b32 exec_lo, exec_lo, s4
	s_and_saveexec_b32 s4, vcc_lo
	s_cbranch_execnz .LBB367_1649
.LBB367_1622:
	s_or_b32 exec_lo, exec_lo, s4
	s_and_saveexec_b32 s4, vcc_lo
	s_cbranch_execnz .LBB367_1650
.LBB367_1623:
	s_or_b32 exec_lo, exec_lo, s4
	s_and_saveexec_b32 s4, vcc_lo
	s_cbranch_execnz .LBB367_1651
.LBB367_1624:
	s_or_b32 exec_lo, exec_lo, s4
	s_and_saveexec_b32 s4, vcc_lo
	s_cbranch_execnz .LBB367_1652
.LBB367_1625:
	s_or_b32 exec_lo, exec_lo, s4
	s_and_saveexec_b32 s4, vcc_lo
	s_cbranch_execnz .LBB367_1653
.LBB367_1626:
	s_or_b32 exec_lo, exec_lo, s4
	s_and_saveexec_b32 s4, vcc_lo
	s_cbranch_execnz .LBB367_1654
.LBB367_1627:
	s_or_b32 exec_lo, exec_lo, s4
	s_and_saveexec_b32 s4, vcc_lo
	s_cbranch_execz .LBB367_1629
.LBB367_1628:
	ds_read_b32 v12, v12 offset:704
	s_waitcnt lgkmcnt(0)
	v_add_f32_e32 v0, v12, v0
.LBB367_1629:
	s_or_b32 exec_lo, exec_lo, s4
.LBB367_1630:
	s_or_b32 exec_lo, exec_lo, s7
	v_cmp_eq_u32_e32 vcc_lo, 0, v14
	s_barrier
	buffer_gl0_inv
	s_and_b32 exec_lo, exec_lo, vcc_lo
	s_cbranch_execz .LBB367_1632
; %bb.1631:
	buffer_load_dword v14, off, s[0:3], s32 offset:588 ; 4-byte Folded Reload
	s_mulk_i32 s6, 0xc0
	s_mul_i32 s4, s10, s5
	s_ashr_i32 s7, s6, 31
	s_ashr_i32 s5, s4, 31
	s_lshl_b64 s[6:7], s[6:7], 1
	s_lshl_b64 s[4:5], s[4:5], 1
	v_add_co_u32 v12, vcc_lo, v38, s6
	v_add_co_ci_u32_e64 v13, null, s7, v36, vcc_lo
	s_mul_i32 s6, s14, 0xc0
	v_add_co_u32 v12, vcc_lo, v12, s4
	s_ashr_i32 s7, s6, 31
	v_add_co_ci_u32_e64 v13, null, s5, v13, vcc_lo
	s_lshl_b64 s[4:5], s[6:7], 1
	v_bfe_u32 v15, v11, 16, 1
	v_add_co_u32 v12, vcc_lo, v12, s4
	v_add_co_ci_u32_e64 v13, null, s5, v13, vcc_lo
	v_add3_u32 v15, v15, v11, 0x7fff
	v_or_b32_e32 v16, 0x400000, v11
	s_waitcnt vmcnt(0)
	v_lshlrev_b32_e32 v14, 1, v14
	v_add_co_u32 v12, vcc_lo, v12, v14
	v_add_co_ci_u32_e64 v13, null, 0, v13, vcc_lo
	v_bfe_u32 v14, v10, 16, 1
	v_cmp_u_f32_e32 vcc_lo, v11, v11
	v_add3_u32 v14, v14, v10, 0x7fff
	v_cndmask_b32_e32 v11, v15, v16, vcc_lo
	v_bfe_u32 v15, v9, 16, 1
	v_or_b32_e32 v16, 0x400000, v10
	v_cmp_u_f32_e32 vcc_lo, v10, v10
	flat_store_short_d16_hi v[12:13], v11
	v_add3_u32 v11, v15, v9, 0x7fff
	v_or_b32_e32 v15, 0x400000, v9
	v_cndmask_b32_e32 v10, v14, v16, vcc_lo
	v_bfe_u32 v14, v8, 16, 1
	v_cmp_u_f32_e32 vcc_lo, v9, v9
	flat_store_short_d16_hi v[12:13], v10 offset:32
	v_add3_u32 v10, v14, v8, 0x7fff
	v_cndmask_b32_e32 v9, v11, v15, vcc_lo
	v_bfe_u32 v11, v7, 16, 1
	v_or_b32_e32 v14, 0x400000, v8
	v_cmp_u_f32_e32 vcc_lo, v8, v8
	flat_store_short_d16_hi v[12:13], v9 offset:64
	v_add3_u32 v9, v11, v7, 0x7fff
	v_or_b32_e32 v11, 0x400000, v7
	v_cndmask_b32_e32 v8, v10, v14, vcc_lo
	v_bfe_u32 v10, v6, 16, 1
	v_cmp_u_f32_e32 vcc_lo, v7, v7
	flat_store_short_d16_hi v[12:13], v8 offset:96
	v_add3_u32 v8, v10, v6, 0x7fff
	v_cndmask_b32_e32 v7, v9, v11, vcc_lo
	v_bfe_u32 v9, v5, 16, 1
	v_or_b32_e32 v10, 0x400000, v6
	v_cmp_u_f32_e32 vcc_lo, v6, v6
	flat_store_short_d16_hi v[12:13], v7 offset:128
	v_add3_u32 v7, v9, v5, 0x7fff
	v_or_b32_e32 v9, 0x400000, v5
	v_cndmask_b32_e32 v6, v8, v10, vcc_lo
	v_bfe_u32 v8, v4, 16, 1
	v_cmp_u_f32_e32 vcc_lo, v5, v5
	v_or_b32_e32 v10, 0x400000, v0
	flat_store_short_d16_hi v[12:13], v6 offset:160
	v_add3_u32 v6, v8, v4, 0x7fff
	v_cndmask_b32_e32 v5, v7, v9, vcc_lo
	v_bfe_u32 v7, v3, 16, 1
	v_or_b32_e32 v8, 0x400000, v4
	v_cmp_u_f32_e32 vcc_lo, v4, v4
	v_or_b32_e32 v9, 0x400000, v1
	flat_store_short_d16_hi v[12:13], v5 offset:192
	v_add3_u32 v5, v7, v3, 0x7fff
	v_or_b32_e32 v7, 0x400000, v3
	v_cndmask_b32_e32 v4, v6, v8, vcc_lo
	v_bfe_u32 v6, v2, 16, 1
	v_cmp_u_f32_e32 vcc_lo, v3, v3
	v_bfe_u32 v8, v1, 16, 1
	v_add3_u32 v6, v6, v2, 0x7fff
	v_cndmask_b32_e32 v3, v5, v7, vcc_lo
	v_or_b32_e32 v7, 0x400000, v2
	v_cmp_u_f32_e32 vcc_lo, v2, v2
	v_bfe_u32 v5, v0, 16, 1
	v_add3_u32 v8, v8, v1, 0x7fff
	v_cndmask_b32_e32 v2, v6, v7, vcc_lo
	v_cmp_u_f32_e32 vcc_lo, v1, v1
	v_add3_u32 v5, v5, v0, 0x7fff
	v_cndmask_b32_e32 v1, v8, v9, vcc_lo
	v_cmp_u_f32_e32 vcc_lo, v0, v0
	v_cndmask_b32_e32 v0, v5, v10, vcc_lo
	flat_store_short_d16_hi v[12:13], v4 offset:224
	flat_store_short_d16_hi v[12:13], v3 offset:256
	;; [unrolled: 1-line block ×5, first 2 shown]
.LBB367_1632:
	s_or_b32 exec_lo, exec_lo, s19
	s_clause 0x2f
	buffer_load_dword v127, off, s[0:3], s32
	buffer_load_dword v126, off, s[0:3], s32 offset:4
	buffer_load_dword v125, off, s[0:3], s32 offset:8
	;; [unrolled: 1-line block ×47, first 2 shown]
	s_waitcnt vmcnt(0) lgkmcnt(0)
	s_setpc_b64 s[30:31]
.LBB367_1633:
	ds_read_b32 v14, v12
	s_waitcnt lgkmcnt(0)
	v_add_f32_e32 v11, v14, v11
	s_or_b32 exec_lo, exec_lo, s4
	s_and_saveexec_b32 s4, vcc_lo
	s_cbranch_execz .LBB367_1601
.LBB367_1634:
	ds_read_b32 v14, v12 offset:64
	s_waitcnt lgkmcnt(0)
	v_add_f32_e32 v10, v14, v10
	s_or_b32 exec_lo, exec_lo, s4
	s_and_saveexec_b32 s4, vcc_lo
	s_cbranch_execz .LBB367_1602
.LBB367_1635:
	ds_read_b32 v14, v12 offset:128
	s_waitcnt lgkmcnt(0)
	v_add_f32_e32 v9, v14, v9
	s_or_b32 exec_lo, exec_lo, s4
	s_and_saveexec_b32 s4, vcc_lo
	s_cbranch_execz .LBB367_1603
.LBB367_1636:
	ds_read_b32 v14, v12 offset:192
	s_waitcnt lgkmcnt(0)
	v_add_f32_e32 v8, v14, v8
	s_or_b32 exec_lo, exec_lo, s4
	s_and_saveexec_b32 s4, vcc_lo
	s_cbranch_execz .LBB367_1604
.LBB367_1637:
	ds_read_b32 v14, v12 offset:256
	s_waitcnt lgkmcnt(0)
	v_add_f32_e32 v7, v14, v7
	s_or_b32 exec_lo, exec_lo, s4
	s_and_saveexec_b32 s4, vcc_lo
	s_cbranch_execz .LBB367_1605
.LBB367_1638:
	ds_read_b32 v14, v12 offset:320
	s_waitcnt lgkmcnt(0)
	v_add_f32_e32 v6, v14, v6
	s_or_b32 exec_lo, exec_lo, s4
	s_and_saveexec_b32 s4, vcc_lo
	s_cbranch_execz .LBB367_1606
.LBB367_1639:
	ds_read_b32 v14, v12 offset:384
	s_waitcnt lgkmcnt(0)
	v_add_f32_e32 v5, v14, v5
	s_or_b32 exec_lo, exec_lo, s4
	s_and_saveexec_b32 s4, vcc_lo
	s_cbranch_execz .LBB367_1607
.LBB367_1640:
	ds_read_b32 v14, v12 offset:448
	s_waitcnt lgkmcnt(0)
	v_add_f32_e32 v4, v14, v4
	s_or_b32 exec_lo, exec_lo, s4
	s_and_saveexec_b32 s4, vcc_lo
	s_cbranch_execz .LBB367_1608
.LBB367_1641:
	ds_read_b32 v14, v12 offset:512
	s_waitcnt lgkmcnt(0)
	v_add_f32_e32 v3, v14, v3
	s_or_b32 exec_lo, exec_lo, s4
	s_and_saveexec_b32 s4, vcc_lo
	s_cbranch_execz .LBB367_1609
.LBB367_1642:
	ds_read_b32 v14, v12 offset:576
	s_waitcnt lgkmcnt(0)
	v_add_f32_e32 v2, v14, v2
	s_or_b32 exec_lo, exec_lo, s4
	s_and_saveexec_b32 s4, vcc_lo
	s_cbranch_execz .LBB367_1610
.LBB367_1643:
	ds_read_b32 v14, v12 offset:640
	s_waitcnt lgkmcnt(0)
	v_add_f32_e32 v1, v14, v1
	s_or_b32 exec_lo, exec_lo, s4
	s_and_saveexec_b32 s4, vcc_lo
	s_cbranch_execnz .LBB367_1611
	s_branch .LBB367_1612
.LBB367_1644:
	ds_read_b32 v13, v12
	s_waitcnt lgkmcnt(0)
	v_add_f32_e32 v11, v13, v11
	s_or_b32 exec_lo, exec_lo, s4
	s_and_saveexec_b32 s4, vcc_lo
	s_cbranch_execz .LBB367_1618
.LBB367_1645:
	ds_read_b32 v13, v12 offset:64
	s_waitcnt lgkmcnt(0)
	v_add_f32_e32 v10, v13, v10
	s_or_b32 exec_lo, exec_lo, s4
	s_and_saveexec_b32 s4, vcc_lo
	s_cbranch_execz .LBB367_1619
.LBB367_1646:
	ds_read_b32 v13, v12 offset:128
	s_waitcnt lgkmcnt(0)
	v_add_f32_e32 v9, v13, v9
	s_or_b32 exec_lo, exec_lo, s4
	s_and_saveexec_b32 s4, vcc_lo
	s_cbranch_execz .LBB367_1620
.LBB367_1647:
	ds_read_b32 v13, v12 offset:192
	s_waitcnt lgkmcnt(0)
	v_add_f32_e32 v8, v13, v8
	s_or_b32 exec_lo, exec_lo, s4
	s_and_saveexec_b32 s4, vcc_lo
	s_cbranch_execz .LBB367_1621
.LBB367_1648:
	ds_read_b32 v13, v12 offset:256
	s_waitcnt lgkmcnt(0)
	v_add_f32_e32 v7, v13, v7
	s_or_b32 exec_lo, exec_lo, s4
	s_and_saveexec_b32 s4, vcc_lo
	s_cbranch_execz .LBB367_1622
.LBB367_1649:
	ds_read_b32 v13, v12 offset:320
	s_waitcnt lgkmcnt(0)
	v_add_f32_e32 v6, v13, v6
	s_or_b32 exec_lo, exec_lo, s4
	s_and_saveexec_b32 s4, vcc_lo
	s_cbranch_execz .LBB367_1623
.LBB367_1650:
	ds_read_b32 v13, v12 offset:384
	s_waitcnt lgkmcnt(0)
	v_add_f32_e32 v5, v13, v5
	s_or_b32 exec_lo, exec_lo, s4
	s_and_saveexec_b32 s4, vcc_lo
	s_cbranch_execz .LBB367_1624
.LBB367_1651:
	ds_read_b32 v13, v12 offset:448
	s_waitcnt lgkmcnt(0)
	v_add_f32_e32 v4, v13, v4
	s_or_b32 exec_lo, exec_lo, s4
	s_and_saveexec_b32 s4, vcc_lo
	s_cbranch_execz .LBB367_1625
.LBB367_1652:
	ds_read_b32 v13, v12 offset:512
	s_waitcnt lgkmcnt(0)
	v_add_f32_e32 v3, v13, v3
	s_or_b32 exec_lo, exec_lo, s4
	s_and_saveexec_b32 s4, vcc_lo
	s_cbranch_execz .LBB367_1626
.LBB367_1653:
	ds_read_b32 v13, v12 offset:576
	s_waitcnt lgkmcnt(0)
	v_add_f32_e32 v2, v13, v2
	s_or_b32 exec_lo, exec_lo, s4
	s_and_saveexec_b32 s4, vcc_lo
	s_cbranch_execz .LBB367_1627
.LBB367_1654:
	ds_read_b32 v13, v12 offset:640
	s_waitcnt lgkmcnt(0)
	v_add_f32_e32 v1, v13, v1
	s_or_b32 exec_lo, exec_lo, s4
	s_and_saveexec_b32 s4, vcc_lo
	s_cbranch_execnz .LBB367_1628
	s_branch .LBB367_1629
.Lfunc_end367:
	.size	_ZN4vllm22paged_attention_kernelI14__hip_bfloat16hLi192ELi16ELi128ELNS_18Fp8KVCacheDataTypeE1ELb0ELi512EEEvPfS3_PT_PKS4_PKT0_SA_ifPKiSC_iPKfiiiSE_SE_iiiii, .Lfunc_end367-_ZN4vllm22paged_attention_kernelI14__hip_bfloat16hLi192ELi16ELi128ELNS_18Fp8KVCacheDataTypeE1ELb0ELi512EEEvPfS3_PT_PKS4_PKT0_SA_ifPKiSC_iPKfiiiSE_SE_iiiii
                                        ; -- End function
	.set .L_ZN4vllm22paged_attention_kernelI14__hip_bfloat16hLi192ELi16ELi128ELNS_18Fp8KVCacheDataTypeE1ELb0ELi512EEEvPfS3_PT_PKS4_PKT0_SA_ifPKiSC_iPKfiiiSE_SE_iiiii.num_vgpr, 128
	.set .L_ZN4vllm22paged_attention_kernelI14__hip_bfloat16hLi192ELi16ELi128ELNS_18Fp8KVCacheDataTypeE1ELb0ELi512EEEvPfS3_PT_PKS4_PKT0_SA_ifPKiSC_iPKfiiiSE_SE_iiiii.num_agpr, 0
	.set .L_ZN4vllm22paged_attention_kernelI14__hip_bfloat16hLi192ELi16ELi128ELNS_18Fp8KVCacheDataTypeE1ELb0ELi512EEEvPfS3_PT_PKS4_PKT0_SA_ifPKiSC_iPKfiiiSE_SE_iiiii.numbered_sgpr, 33
	.set .L_ZN4vllm22paged_attention_kernelI14__hip_bfloat16hLi192ELi16ELi128ELNS_18Fp8KVCacheDataTypeE1ELb0ELi512EEEvPfS3_PT_PKS4_PKT0_SA_ifPKiSC_iPKfiiiSE_SE_iiiii.num_named_barrier, 0
	.set .L_ZN4vllm22paged_attention_kernelI14__hip_bfloat16hLi192ELi16ELi128ELNS_18Fp8KVCacheDataTypeE1ELb0ELi512EEEvPfS3_PT_PKS4_PKT0_SA_ifPKiSC_iPKfiiiSE_SE_iiiii.private_seg_size, 676
	.set .L_ZN4vllm22paged_attention_kernelI14__hip_bfloat16hLi192ELi16ELi128ELNS_18Fp8KVCacheDataTypeE1ELb0ELi512EEEvPfS3_PT_PKS4_PKT0_SA_ifPKiSC_iPKfiiiSE_SE_iiiii.uses_vcc, 1
	.set .L_ZN4vllm22paged_attention_kernelI14__hip_bfloat16hLi192ELi16ELi128ELNS_18Fp8KVCacheDataTypeE1ELb0ELi512EEEvPfS3_PT_PKS4_PKT0_SA_ifPKiSC_iPKfiiiSE_SE_iiiii.uses_flat_scratch, 0
	.set .L_ZN4vllm22paged_attention_kernelI14__hip_bfloat16hLi192ELi16ELi128ELNS_18Fp8KVCacheDataTypeE1ELb0ELi512EEEvPfS3_PT_PKS4_PKT0_SA_ifPKiSC_iPKfiiiSE_SE_iiiii.has_dyn_sized_stack, 0
	.set .L_ZN4vllm22paged_attention_kernelI14__hip_bfloat16hLi192ELi16ELi128ELNS_18Fp8KVCacheDataTypeE1ELb0ELi512EEEvPfS3_PT_PKS4_PKT0_SA_ifPKiSC_iPKfiiiSE_SE_iiiii.has_recursion, 0
	.set .L_ZN4vllm22paged_attention_kernelI14__hip_bfloat16hLi192ELi16ELi128ELNS_18Fp8KVCacheDataTypeE1ELb0ELi512EEEvPfS3_PT_PKS4_PKT0_SA_ifPKiSC_iPKfiiiSE_SE_iiiii.has_indirect_call, 0
	.section	.AMDGPU.csdata,"",@progbits
; Function info:
; codeLenInByte = 64140
; TotalNumSgprs: 35
; NumVgprs: 128
; ScratchSize: 676
; MemoryBound: 0
	.section	.text._ZN4vllm25paged_attention_v2_kernelI14__hip_bfloat16hLi192ELi16ELi128ELNS_18Fp8KVCacheDataTypeE1ELb0ELi512EEEvPfS3_PT_PKS4_PKT0_SA_ifPKiSC_iPKfiiiSE_SE_iiiii,"axG",@progbits,_ZN4vllm25paged_attention_v2_kernelI14__hip_bfloat16hLi192ELi16ELi128ELNS_18Fp8KVCacheDataTypeE1ELb0ELi512EEEvPfS3_PT_PKS4_PKT0_SA_ifPKiSC_iPKfiiiSE_SE_iiiii,comdat
	.protected	_ZN4vllm25paged_attention_v2_kernelI14__hip_bfloat16hLi192ELi16ELi128ELNS_18Fp8KVCacheDataTypeE1ELb0ELi512EEEvPfS3_PT_PKS4_PKT0_SA_ifPKiSC_iPKfiiiSE_SE_iiiii ; -- Begin function _ZN4vllm25paged_attention_v2_kernelI14__hip_bfloat16hLi192ELi16ELi128ELNS_18Fp8KVCacheDataTypeE1ELb0ELi512EEEvPfS3_PT_PKS4_PKT0_SA_ifPKiSC_iPKfiiiSE_SE_iiiii
	.globl	_ZN4vllm25paged_attention_v2_kernelI14__hip_bfloat16hLi192ELi16ELi128ELNS_18Fp8KVCacheDataTypeE1ELb0ELi512EEEvPfS3_PT_PKS4_PKT0_SA_ifPKiSC_iPKfiiiSE_SE_iiiii
	.p2align	8
	.type	_ZN4vllm25paged_attention_v2_kernelI14__hip_bfloat16hLi192ELi16ELi128ELNS_18Fp8KVCacheDataTypeE1ELb0ELi512EEEvPfS3_PT_PKS4_PKT0_SA_ifPKiSC_iPKfiiiSE_SE_iiiii,@function
_ZN4vllm25paged_attention_v2_kernelI14__hip_bfloat16hLi192ELi16ELi128ELNS_18Fp8KVCacheDataTypeE1ELb0ELi512EEEvPfS3_PT_PKS4_PKT0_SA_ifPKiSC_iPKfiiiSE_SE_iiiii: ; @_ZN4vllm25paged_attention_v2_kernelI14__hip_bfloat16hLi192ELi16ELi128ELNS_18Fp8KVCacheDataTypeE1ELb0ELi512EEEvPfS3_PT_PKS4_PKT0_SA_ifPKiSC_iPKfiiiSE_SE_iiiii
; %bb.0:
	s_clause 0x5
	s_load_dwordx8 s[24:31], s[4:5], 0x0
	s_load_dwordx8 s[16:23], s[4:5], 0x20
	s_load_dwordx2 s[10:11], s[4:5], 0x40
	s_load_dwordx2 s[34:35], s[4:5], 0x50
	s_load_dword s13, s[4:5], 0x48
	s_load_dwordx8 s[36:43], s[4:5], 0x58
	s_add_u32 s0, s0, s9
	s_addc_u32 s1, s1, 0
	v_mov_b32_e32 v31, v0
	s_mov_b32 s14, s8
	s_add_u32 s8, s4, 0x90
	s_addc_u32 s9, s5, 0
	s_getpc_b64 s[4:5]
	s_add_u32 s4, s4, _ZN4vllm22paged_attention_kernelI14__hip_bfloat16hLi192ELi16ELi128ELNS_18Fp8KVCacheDataTypeE1ELb0ELi512EEEvPfS3_PT_PKS4_PKT0_SA_ifPKiSC_iPKfiiiSE_SE_iiiii@rel32@lo+4
	s_addc_u32 s5, s5, _ZN4vllm22paged_attention_kernelI14__hip_bfloat16hLi192ELi16ELi128ELNS_18Fp8KVCacheDataTypeE1ELb0ELi512EEEvPfS3_PT_PKS4_PKT0_SA_ifPKiSC_iPKfiiiSE_SE_iiiii@rel32@hi+12
	s_mov_b32 s12, s6
	s_mov_b32 s15, 6
	;; [unrolled: 1-line block ×3, first 2 shown]
	s_waitcnt lgkmcnt(0)
	v_mov_b32_e32 v0, s24
	v_mov_b32_e32 v1, s25
	;; [unrolled: 1-line block ×28, first 2 shown]
	s_mov_b32 s13, s7
	s_swappc_b64 s[30:31], s[4:5]
	s_endpgm
	.section	.rodata,"a",@progbits
	.p2align	6, 0x0
	.amdhsa_kernel _ZN4vllm25paged_attention_v2_kernelI14__hip_bfloat16hLi192ELi16ELi128ELNS_18Fp8KVCacheDataTypeE1ELb0ELi512EEEvPfS3_PT_PKS4_PKT0_SA_ifPKiSC_iPKfiiiSE_SE_iiiii
		.amdhsa_group_segment_fixed_size 416
		.amdhsa_private_segment_fixed_size 676
		.amdhsa_kernarg_size 400
		.amdhsa_user_sgpr_count 6
		.amdhsa_user_sgpr_private_segment_buffer 1
		.amdhsa_user_sgpr_dispatch_ptr 0
		.amdhsa_user_sgpr_queue_ptr 0
		.amdhsa_user_sgpr_kernarg_segment_ptr 1
		.amdhsa_user_sgpr_dispatch_id 0
		.amdhsa_user_sgpr_flat_scratch_init 0
		.amdhsa_user_sgpr_private_segment_size 0
		.amdhsa_wavefront_size32 1
		.amdhsa_uses_dynamic_stack 0
		.amdhsa_system_sgpr_private_segment_wavefront_offset 1
		.amdhsa_system_sgpr_workgroup_id_x 1
		.amdhsa_system_sgpr_workgroup_id_y 1
		.amdhsa_system_sgpr_workgroup_id_z 1
		.amdhsa_system_sgpr_workgroup_info 0
		.amdhsa_system_vgpr_workitem_id 0
		.amdhsa_next_free_vgpr 128
		.amdhsa_next_free_sgpr 44
		.amdhsa_reserve_vcc 1
		.amdhsa_reserve_flat_scratch 0
		.amdhsa_float_round_mode_32 0
		.amdhsa_float_round_mode_16_64 0
		.amdhsa_float_denorm_mode_32 3
		.amdhsa_float_denorm_mode_16_64 3
		.amdhsa_dx10_clamp 1
		.amdhsa_ieee_mode 1
		.amdhsa_fp16_overflow 0
		.amdhsa_workgroup_processor_mode 1
		.amdhsa_memory_ordered 1
		.amdhsa_forward_progress 1
		.amdhsa_shared_vgpr_count 0
		.amdhsa_exception_fp_ieee_invalid_op 0
		.amdhsa_exception_fp_denorm_src 0
		.amdhsa_exception_fp_ieee_div_zero 0
		.amdhsa_exception_fp_ieee_overflow 0
		.amdhsa_exception_fp_ieee_underflow 0
		.amdhsa_exception_fp_ieee_inexact 0
		.amdhsa_exception_int_div_zero 0
	.end_amdhsa_kernel
	.section	.text._ZN4vllm25paged_attention_v2_kernelI14__hip_bfloat16hLi192ELi16ELi128ELNS_18Fp8KVCacheDataTypeE1ELb0ELi512EEEvPfS3_PT_PKS4_PKT0_SA_ifPKiSC_iPKfiiiSE_SE_iiiii,"axG",@progbits,_ZN4vllm25paged_attention_v2_kernelI14__hip_bfloat16hLi192ELi16ELi128ELNS_18Fp8KVCacheDataTypeE1ELb0ELi512EEEvPfS3_PT_PKS4_PKT0_SA_ifPKiSC_iPKfiiiSE_SE_iiiii,comdat
.Lfunc_end368:
	.size	_ZN4vllm25paged_attention_v2_kernelI14__hip_bfloat16hLi192ELi16ELi128ELNS_18Fp8KVCacheDataTypeE1ELb0ELi512EEEvPfS3_PT_PKS4_PKT0_SA_ifPKiSC_iPKfiiiSE_SE_iiiii, .Lfunc_end368-_ZN4vllm25paged_attention_v2_kernelI14__hip_bfloat16hLi192ELi16ELi128ELNS_18Fp8KVCacheDataTypeE1ELb0ELi512EEEvPfS3_PT_PKS4_PKT0_SA_ifPKiSC_iPKfiiiSE_SE_iiiii
                                        ; -- End function
	.set _ZN4vllm25paged_attention_v2_kernelI14__hip_bfloat16hLi192ELi16ELi128ELNS_18Fp8KVCacheDataTypeE1ELb0ELi512EEEvPfS3_PT_PKS4_PKT0_SA_ifPKiSC_iPKfiiiSE_SE_iiiii.num_vgpr, max(32, .L_ZN4vllm22paged_attention_kernelI14__hip_bfloat16hLi192ELi16ELi128ELNS_18Fp8KVCacheDataTypeE1ELb0ELi512EEEvPfS3_PT_PKS4_PKT0_SA_ifPKiSC_iPKfiiiSE_SE_iiiii.num_vgpr)
	.set _ZN4vllm25paged_attention_v2_kernelI14__hip_bfloat16hLi192ELi16ELi128ELNS_18Fp8KVCacheDataTypeE1ELb0ELi512EEEvPfS3_PT_PKS4_PKT0_SA_ifPKiSC_iPKfiiiSE_SE_iiiii.num_agpr, max(0, .L_ZN4vllm22paged_attention_kernelI14__hip_bfloat16hLi192ELi16ELi128ELNS_18Fp8KVCacheDataTypeE1ELb0ELi512EEEvPfS3_PT_PKS4_PKT0_SA_ifPKiSC_iPKfiiiSE_SE_iiiii.num_agpr)
	.set _ZN4vllm25paged_attention_v2_kernelI14__hip_bfloat16hLi192ELi16ELi128ELNS_18Fp8KVCacheDataTypeE1ELb0ELi512EEEvPfS3_PT_PKS4_PKT0_SA_ifPKiSC_iPKfiiiSE_SE_iiiii.numbered_sgpr, max(44, .L_ZN4vllm22paged_attention_kernelI14__hip_bfloat16hLi192ELi16ELi128ELNS_18Fp8KVCacheDataTypeE1ELb0ELi512EEEvPfS3_PT_PKS4_PKT0_SA_ifPKiSC_iPKfiiiSE_SE_iiiii.numbered_sgpr)
	.set _ZN4vllm25paged_attention_v2_kernelI14__hip_bfloat16hLi192ELi16ELi128ELNS_18Fp8KVCacheDataTypeE1ELb0ELi512EEEvPfS3_PT_PKS4_PKT0_SA_ifPKiSC_iPKfiiiSE_SE_iiiii.num_named_barrier, max(0, .L_ZN4vllm22paged_attention_kernelI14__hip_bfloat16hLi192ELi16ELi128ELNS_18Fp8KVCacheDataTypeE1ELb0ELi512EEEvPfS3_PT_PKS4_PKT0_SA_ifPKiSC_iPKfiiiSE_SE_iiiii.num_named_barrier)
	.set _ZN4vllm25paged_attention_v2_kernelI14__hip_bfloat16hLi192ELi16ELi128ELNS_18Fp8KVCacheDataTypeE1ELb0ELi512EEEvPfS3_PT_PKS4_PKT0_SA_ifPKiSC_iPKfiiiSE_SE_iiiii.private_seg_size, 0+max(.L_ZN4vllm22paged_attention_kernelI14__hip_bfloat16hLi192ELi16ELi128ELNS_18Fp8KVCacheDataTypeE1ELb0ELi512EEEvPfS3_PT_PKS4_PKT0_SA_ifPKiSC_iPKfiiiSE_SE_iiiii.private_seg_size)
	.set _ZN4vllm25paged_attention_v2_kernelI14__hip_bfloat16hLi192ELi16ELi128ELNS_18Fp8KVCacheDataTypeE1ELb0ELi512EEEvPfS3_PT_PKS4_PKT0_SA_ifPKiSC_iPKfiiiSE_SE_iiiii.uses_vcc, or(1, .L_ZN4vllm22paged_attention_kernelI14__hip_bfloat16hLi192ELi16ELi128ELNS_18Fp8KVCacheDataTypeE1ELb0ELi512EEEvPfS3_PT_PKS4_PKT0_SA_ifPKiSC_iPKfiiiSE_SE_iiiii.uses_vcc)
	.set _ZN4vllm25paged_attention_v2_kernelI14__hip_bfloat16hLi192ELi16ELi128ELNS_18Fp8KVCacheDataTypeE1ELb0ELi512EEEvPfS3_PT_PKS4_PKT0_SA_ifPKiSC_iPKfiiiSE_SE_iiiii.uses_flat_scratch, or(0, .L_ZN4vllm22paged_attention_kernelI14__hip_bfloat16hLi192ELi16ELi128ELNS_18Fp8KVCacheDataTypeE1ELb0ELi512EEEvPfS3_PT_PKS4_PKT0_SA_ifPKiSC_iPKfiiiSE_SE_iiiii.uses_flat_scratch)
	.set _ZN4vllm25paged_attention_v2_kernelI14__hip_bfloat16hLi192ELi16ELi128ELNS_18Fp8KVCacheDataTypeE1ELb0ELi512EEEvPfS3_PT_PKS4_PKT0_SA_ifPKiSC_iPKfiiiSE_SE_iiiii.has_dyn_sized_stack, or(0, .L_ZN4vllm22paged_attention_kernelI14__hip_bfloat16hLi192ELi16ELi128ELNS_18Fp8KVCacheDataTypeE1ELb0ELi512EEEvPfS3_PT_PKS4_PKT0_SA_ifPKiSC_iPKfiiiSE_SE_iiiii.has_dyn_sized_stack)
	.set _ZN4vllm25paged_attention_v2_kernelI14__hip_bfloat16hLi192ELi16ELi128ELNS_18Fp8KVCacheDataTypeE1ELb0ELi512EEEvPfS3_PT_PKS4_PKT0_SA_ifPKiSC_iPKfiiiSE_SE_iiiii.has_recursion, or(0, .L_ZN4vllm22paged_attention_kernelI14__hip_bfloat16hLi192ELi16ELi128ELNS_18Fp8KVCacheDataTypeE1ELb0ELi512EEEvPfS3_PT_PKS4_PKT0_SA_ifPKiSC_iPKfiiiSE_SE_iiiii.has_recursion)
	.set _ZN4vllm25paged_attention_v2_kernelI14__hip_bfloat16hLi192ELi16ELi128ELNS_18Fp8KVCacheDataTypeE1ELb0ELi512EEEvPfS3_PT_PKS4_PKT0_SA_ifPKiSC_iPKfiiiSE_SE_iiiii.has_indirect_call, or(0, .L_ZN4vllm22paged_attention_kernelI14__hip_bfloat16hLi192ELi16ELi128ELNS_18Fp8KVCacheDataTypeE1ELb0ELi512EEEvPfS3_PT_PKS4_PKT0_SA_ifPKiSC_iPKfiiiSE_SE_iiiii.has_indirect_call)
	.section	.AMDGPU.csdata,"",@progbits
; Kernel info:
; codeLenInByte = 240
; TotalNumSgprs: 46
; NumVgprs: 128
; ScratchSize: 676
; MemoryBound: 0
; FloatMode: 240
; IeeeMode: 1
; LDSByteSize: 416 bytes/workgroup (compile time only)
; SGPRBlocks: 0
; VGPRBlocks: 15
; NumSGPRsForWavesPerEU: 46
; NumVGPRsForWavesPerEU: 128
; Occupancy: 8
; WaveLimiterHint : 1
; COMPUTE_PGM_RSRC2:SCRATCH_EN: 1
; COMPUTE_PGM_RSRC2:USER_SGPR: 6
; COMPUTE_PGM_RSRC2:TRAP_HANDLER: 0
; COMPUTE_PGM_RSRC2:TGID_X_EN: 1
; COMPUTE_PGM_RSRC2:TGID_Y_EN: 1
; COMPUTE_PGM_RSRC2:TGID_Z_EN: 1
; COMPUTE_PGM_RSRC2:TIDIG_COMP_CNT: 0
	.text
	.p2align	2                               ; -- Begin function _ZN4vllm22paged_attention_kernelI14__hip_bfloat16hLi256ELi16ELi128ELNS_18Fp8KVCacheDataTypeE1ELb0ELi512EEEvPfS3_PT_PKS4_PKT0_SA_ifPKiSC_iPKfiiiSE_SE_iiiii
	.type	_ZN4vllm22paged_attention_kernelI14__hip_bfloat16hLi256ELi16ELi128ELNS_18Fp8KVCacheDataTypeE1ELb0ELi512EEEvPfS3_PT_PKS4_PKT0_SA_ifPKiSC_iPKfiiiSE_SE_iiiii,@function
_ZN4vllm22paged_attention_kernelI14__hip_bfloat16hLi256ELi16ELi128ELNS_18Fp8KVCacheDataTypeE1ELb0ELi512EEEvPfS3_PT_PKS4_PKT0_SA_ifPKiSC_iPKfiiiSE_SE_iiiii: ; @_ZN4vllm22paged_attention_kernelI14__hip_bfloat16hLi256ELi16ELi128ELNS_18Fp8KVCacheDataTypeE1ELb0ELi512EEEvPfS3_PT_PKS4_PKT0_SA_ifPKiSC_iPKfiiiSE_SE_iiiii
; %bb.0:
	s_waitcnt vmcnt(0) expcnt(0) lgkmcnt(0)
	buffer_store_dword v40, off, s[0:3], s32 offset:188 ; 4-byte Folded Spill
	buffer_store_dword v41, off, s[0:3], s32 offset:184 ; 4-byte Folded Spill
	;; [unrolled: 1-line block ×47, first 2 shown]
	buffer_store_dword v127, off, s[0:3], s32 ; 4-byte Folded Spill
	s_mov_b32 s18, s13
	s_ashr_i32 s19, s13, 31
	buffer_store_dword v26, off, s[0:3], s32 offset:896 ; 4-byte Folded Spill
	buffer_store_dword v27, off, s[0:3], s32 offset:900 ; 4-byte Folded Spill
	buffer_store_dword v24, off, s[0:3], s32 offset:304 ; 4-byte Folded Spill
	buffer_store_dword v25, off, s[0:3], s32 offset:308 ; 4-byte Folded Spill
	buffer_store_dword v22, off, s[0:3], s32 offset:396 ; 4-byte Folded Spill
	buffer_store_dword v15, off, s[0:3], s32 offset:876 ; 4-byte Folded Spill
	buffer_store_dword v14, off, s[0:3], s32 offset:880 ; 4-byte Folded Spill
	buffer_store_dword v13, off, s[0:3], s32 offset:856 ; 4-byte Folded Spill
	s_lshl_b64 s[4:5], s[18:19], 2
	v_mov_b32_e32 v14, v2
	v_add_co_u32 v2, vcc_lo, v16, s4
	v_mov_b32_e32 v15, v10
	v_mov_b32_e32 v10, v3
	v_add_co_ci_u32_e64 v3, null, s5, v17, vcc_lo
	buffer_store_dword v5, off, s[0:3], s32 offset:888 ; 4-byte Folded Spill
	buffer_store_dword v4, off, s[0:3], s32 offset:892 ; 4-byte Folded Spill
	s_lshl_b32 s20, s14, 9
	s_mov_b32 s19, exec_lo
	flat_load_dword v2, v[2:3]
	s_waitcnt vmcnt(0) lgkmcnt(0)
	buffer_store_dword v2, off, s[0:3], s32 offset:196 ; 4-byte Folded Spill
	v_cmpx_lt_i32_e64 s20, v2
	s_cbranch_execz .LBB369_2160
; %bb.1:
	buffer_store_dword v0, off, s[0:3], s32 offset:928 ; 4-byte Folded Spill
	buffer_store_dword v1, off, s[0:3], s32 offset:924 ; 4-byte Folded Spill
	v_sub_nc_u32_e32 v0, 0, v12
	s_clause 0x1
	s_load_dword s4, s[8:9], 0x10
	s_load_dword s5, s[8:9], 0x0
	s_mov_b32 s16, s15
	v_max_i32_e32 v0, v12, v0
	v_cvt_f32_u32_e32 v1, v0
	v_sub_nc_u32_e32 v2, 0, v0
	v_rcp_iflag_f32_e32 v1, v1
	s_waitcnt lgkmcnt(0)
	s_lshr_b32 s4, s4, 16
	s_cmp_lg_u32 s4, 0
	v_mul_f32_e32 v1, 0x4f7ffffe, v1
	s_cselect_b32 s4, -1, 0
	s_cmp_lg_u32 s4, 0
	v_cvt_u32_f32_e32 v1, v1
	s_addc_u32 s15, s5, 0
	s_abs_i32 s5, s12
	s_abs_i32 s4, s15
	v_mul_lo_u32 v2, v2, v1
	v_mul_hi_u32 v2, v1, v2
	v_add_nc_u32_e32 v1, v1, v2
	v_mul_hi_u32 v1, s4, v1
	v_mul_lo_u32 v2, v1, v0
	v_add_nc_u32_e32 v3, 1, v1
	v_sub_nc_u32_e32 v2, s4, v2
	s_mov_b32 s4, exec_lo
	v_sub_nc_u32_e32 v4, v2, v0
	v_cmp_ge_u32_e32 vcc_lo, v2, v0
	v_cndmask_b32_e32 v1, v1, v3, vcc_lo
	v_cndmask_b32_e32 v2, v2, v4, vcc_lo
	v_xor_b32_e32 v3, s15, v12
	v_add_nc_u32_e32 v4, 1, v1
	v_cmp_ge_u32_e32 vcc_lo, v2, v0
	v_ashrrev_i32_e32 v3, 31, v3
	v_cndmask_b32_e32 v0, v1, v4, vcc_lo
	v_xor_b32_e32 v0, v0, v3
	v_sub_nc_u32_e32 v1, v0, v3
	v_sub_nc_u32_e32 v0, 0, v1
	v_max_i32_e32 v0, v1, v0
	v_cvt_f32_u32_e32 v2, v0
	v_sub_nc_u32_e32 v3, 0, v0
	v_rcp_iflag_f32_e32 v2, v2
	v_mul_f32_e32 v2, 0x4f7ffffe, v2
	v_cvt_u32_f32_e32 v2, v2
	v_mul_lo_u32 v3, v3, v2
	v_mul_hi_u32 v3, v2, v3
	v_add_nc_u32_e32 v2, v2, v3
	v_mad_u64_u32 v[16:17], null, s5, v2, 0
	v_mov_b32_e32 v2, 0
	buffer_store_dword v2, off, s[0:3], s32 offset:860 ; 4-byte Folded Spill
	v_cmpx_ne_u64_e32 0, v[19:20]
	s_cbranch_execz .LBB369_3
; %bb.2:
	s_ashr_i32 s13, s12, 31
	s_lshl_b64 s[6:7], s[12:13], 2
	v_add_co_u32 v2, vcc_lo, v19, s6
	v_add_co_ci_u32_e64 v3, null, s7, v20, vcc_lo
	flat_load_dword v2, v[2:3]
	s_waitcnt vmcnt(0) lgkmcnt(0)
	buffer_store_dword v2, off, s[0:3], s32 offset:860 ; 4-byte Folded Spill
.LBB369_3:
	s_or_b32 exec_lo, exec_lo, s4
	v_and_b32_e32 v3, 0x3ff, v31
	v_bfe_u32 v2, v31, 1, 9
	v_ashrrev_i32_e32 v1, 31, v1
	s_ashr_i32 s6, s12, 31
	s_lshl_b32 s10, s12, 8
	v_cmp_gt_u32_e64 s4, 64, v3
	buffer_store_dword v2, off, s[0:3], s32 offset:904 ; 4-byte Folded Spill
	v_and_b32_e32 v2, 1, v31
	v_lshlrev_b32_e32 v16, 3, v3
	buffer_store_dword v3, off, s[0:3], s32 offset:852 ; 4-byte Folded Spill
	buffer_store_dword v2, off, s[0:3], s32 offset:872 ; 4-byte Folded Spill
	s_and_saveexec_b32 s7, s4
	s_cbranch_execz .LBB369_5
; %bb.4:
	v_mul_lo_u32 v2, v21, s18
	s_ashr_i32 s11, s10, 31
	s_clause 0x1
	buffer_load_dword v4, off, s[0:3], s32 offset:904
	buffer_load_dword v5, off, s[0:3], s32 offset:872
	s_lshl_b64 s[22:23], s[10:11], 1
	v_ashrrev_i32_e32 v3, 31, v2
	v_lshlrev_b64 v[2:3], 1, v[2:3]
	v_add_co_u32 v2, vcc_lo, v6, v2
	v_add_co_ci_u32_e64 v3, null, v7, v3, vcc_lo
	v_add_co_u32 v2, vcc_lo, v2, s22
	v_add_co_ci_u32_e64 v3, null, s23, v3, vcc_lo
	;; [unrolled: 2-line block ×3, first 2 shown]
	flat_load_dwordx2 v[2:3], v[2:3]
	s_waitcnt vmcnt(2)
	v_lshlrev_b32_e32 v4, 3, v4
	s_waitcnt vmcnt(1)
	v_lshl_add_u32 v4, v5, 8, v4
	s_waitcnt vmcnt(0) lgkmcnt(0)
	ds_write_b64 v4, v[2:3]
.LBB369_5:
	s_or_b32 exec_lo, exec_lo, s7
	s_clause 0x1
	buffer_load_dword v3, off, s[0:3], s32 offset:196
	buffer_load_dword v7, off, s[0:3], s32 offset:852
	v_mul_lo_u32 v2, v17, v0
	v_add_nc_u32_e32 v5, 1, v17
	s_lshl_b32 s13, s14, 5
	v_xor_b32_e32 v1, s6, v1
	v_sub_nc_u32_e32 v2, s5, v2
	s_add_i32 s5, s13, 32
	v_sub_nc_u32_e32 v6, v2, v0
	v_cmp_ge_u32_e32 vcc_lo, v2, v0
	v_cndmask_b32_e32 v5, v17, v5, vcc_lo
	v_cndmask_b32_e32 v2, v2, v6, vcc_lo
	v_mul_lo_u32 v6, v18, s18
	v_cmp_ge_u32_e32 vcc_lo, v2, v0
	s_waitcnt vmcnt(1)
	v_add_nc_u32_e32 v3, 15, v3
	s_waitcnt vmcnt(0)
	v_lshrrev_b32_e32 v7, 5, v7
	v_ashrrev_i32_e32 v4, 31, v3
	buffer_store_dword v7, off, s[0:3], s32 offset:868 ; 4-byte Folded Spill
	v_lshrrev_b32_e32 v4, 28, v4
	v_add_nc_u32_e32 v3, v3, v4
	v_add_nc_u32_e32 v4, 1, v5
	v_ashrrev_i32_e32 v19, 4, v3
	v_or_b32_e32 v3, s13, v7
	v_cndmask_b32_e32 v0, v5, v4, vcc_lo
	v_ashrrev_i32_e32 v7, 31, v6
	v_min_i32_e32 v4, s5, v19
	v_mov_b32_e32 v2, v3
	v_xor_b32_e32 v0, v0, v1
	buffer_store_dword v2, off, s[0:3], s32 offset:204 ; 4-byte Folded Spill
	buffer_store_dword v3, off, s[0:3], s32 offset:208 ; 4-byte Folded Spill
	;; [unrolled: 1-line block ×3, first 2 shown]
	v_sub_nc_u32_e32 v1, v0, v1
	v_mbcnt_lo_u32_b32 v0, -1, 0
                                        ; implicit-def: $vgpr2
                                        ; kill: killed $vgpr2
	buffer_store_dword v0, off, s[0:3], s32 offset:864 ; 4-byte Folded Spill
	s_waitcnt lgkmcnt(0)
	s_waitcnt_vscnt null, 0x0
	s_barrier
	buffer_gl0_inv
                                        ; implicit-def: $vgpr0
	v_cmp_ge_i32_e64 s5, v3, v4
	s_and_saveexec_b32 s6, s5
	s_xor_b32 s6, exec_lo, s6
	s_cbranch_execz .LBB369_7
; %bb.6:
	v_mbcnt_lo_u32_b32 v2, -1, 0
	v_mov_b32_e32 v0, 0
                                        ; implicit-def: $vgpr8
                                        ; implicit-def: $vgpr9
	buffer_store_dword v2, off, s[0:3], s32 offset:864 ; 4-byte Folded Spill
	v_mov_b32_e32 v2, 32
	buffer_store_dword v2, off, s[0:3], s32 offset:884 ; 4-byte Folded Spill
                                        ; implicit-def: $vgpr2
                                        ; kill: killed $vgpr2
                                        ; implicit-def: $vgpr2
                                        ; kill: killed $vgpr2
                                        ; implicit-def: $vgpr2
	buffer_store_dword v2, off, s[0:3], s32 offset:304 ; 4-byte Folded Spill
	buffer_store_dword v3, off, s[0:3], s32 offset:308 ; 4-byte Folded Spill
.LBB369_7:
	s_or_saveexec_b32 s21, s6
	v_mul_lo_u32 v3, v1, v23
	v_mov_b32_e32 v1, 0xff7fffff
	s_clause 0x1
	s_load_dword s22, s[8:9], 0x14
	s_load_dword s11, s[8:9], 0x8
	buffer_store_dword v1, off, s[0:3], s32 offset:312 ; 4-byte Folded Spill
	s_clause 0x1
	buffer_load_dword v1, off, s[0:3], s32 offset:204
	buffer_load_dword v2, off, s[0:3], s32 offset:208
	s_waitcnt vmcnt(0)
	v_ashrrev_i32_e32 v2, 31, v1
	buffer_store_dword v1, off, s[0:3], s32 offset:204 ; 4-byte Folded Spill
	buffer_store_dword v2, off, s[0:3], s32 offset:208 ; 4-byte Folded Spill
	v_lshlrev_b64 v[1:2], 2, v[6:7]
	buffer_store_dword v1, off, s[0:3], s32 offset:908 ; 4-byte Folded Spill
	buffer_store_dword v2, off, s[0:3], s32 offset:912 ; 4-byte Folded Spill
	;; [unrolled: 1-line block ×3, first 2 shown]
	v_ashrrev_i32_e32 v1, 31, v3
	buffer_store_dword v1, off, s[0:3], s32 offset:920 ; 4-byte Folded Spill
	s_xor_b32 exec_lo, exec_lo, s21
	s_cbranch_execz .LBB369_1037
; %bb.8:
	buffer_store_dword v19, off, s[0:3], s32 offset:952 ; 4-byte Folded Spill
	buffer_store_dword v14, off, s[0:3], s32 offset:948 ; 4-byte Folded Spill
	;; [unrolled: 1-line block ×6, first 2 shown]
	buffer_load_dword v6, off, s[0:3], s32 offset:872 ; 4-byte Folded Reload
	s_ashr_i32 s17, s16, 31
	s_getpc_b64 s[8:9]
	s_add_u32 s8, s8, llvm.amdgcn.dynlds.offset.table@rel32@lo+4
	s_addc_u32 s9, s9, llvm.amdgcn.dynlds.offset.table@rel32@hi+12
	s_lshl_b64 s[24:25], s[16:17], 2
	v_mov_b32_e32 v126, 0
	s_add_u32 s8, s8, s24
	s_mov_b32 s23, 0
	s_addc_u32 s9, s9, s25
	s_waitcnt vmcnt(0)
	v_lshlrev_b32_e32 v0, 8, v6
	ds_read_b128 v[1:4], v0
	ds_read_b128 v[10:13], v0 offset:16
	ds_read_b128 v[14:17], v0 offset:32
	ds_read_b128 v[18:21], v0 offset:48
	s_waitcnt lgkmcnt(0)
	v_lshlrev_b32_e32 v5, 16, v1
	v_and_b32_e32 v1, 0xffff0000, v1
	buffer_store_dword v5, off, s[0:3], s32 offset:316 ; 4-byte Folded Spill
	buffer_store_dword v1, off, s[0:3], s32 offset:320 ; 4-byte Folded Spill
	v_lshlrev_b32_e32 v1, 16, v2
	buffer_store_dword v1, off, s[0:3], s32 offset:324 ; 4-byte Folded Spill
	v_and_b32_e32 v1, 0xffff0000, v2
	buffer_store_dword v1, off, s[0:3], s32 offset:328 ; 4-byte Folded Spill
	v_lshlrev_b32_e32 v1, 16, v3
	buffer_store_dword v1, off, s[0:3], s32 offset:332 ; 4-byte Folded Spill
	v_and_b32_e32 v1, 0xffff0000, v3
	;; [unrolled: 4-line block ×15, first 2 shown]
	buffer_store_dword v1, off, s[0:3], s32 offset:452 ; 4-byte Folded Spill
	ds_read_b128 v[1:4], v0 offset:64
	s_waitcnt lgkmcnt(0)
	v_lshlrev_b32_e32 v5, 16, v1
	v_and_b32_e32 v1, 0xffff0000, v1
	buffer_store_dword v5, off, s[0:3], s32 offset:456 ; 4-byte Folded Spill
	buffer_store_dword v1, off, s[0:3], s32 offset:460 ; 4-byte Folded Spill
	v_lshlrev_b32_e32 v1, 16, v2
	buffer_store_dword v1, off, s[0:3], s32 offset:464 ; 4-byte Folded Spill
	v_and_b32_e32 v1, 0xffff0000, v2
	buffer_store_dword v1, off, s[0:3], s32 offset:468 ; 4-byte Folded Spill
	v_lshlrev_b32_e32 v1, 16, v3
	buffer_store_dword v1, off, s[0:3], s32 offset:472 ; 4-byte Folded Spill
	v_and_b32_e32 v1, 0xffff0000, v3
	buffer_store_dword v1, off, s[0:3], s32 offset:476 ; 4-byte Folded Spill
	v_lshlrev_b32_e32 v1, 16, v4
	buffer_store_dword v1, off, s[0:3], s32 offset:480 ; 4-byte Folded Spill
	v_and_b32_e32 v1, 0xffff0000, v4
	buffer_store_dword v1, off, s[0:3], s32 offset:484 ; 4-byte Folded Spill
	ds_read_b128 v[1:4], v0 offset:80
	s_waitcnt lgkmcnt(0)
	v_lshlrev_b32_e32 v5, 16, v1
	v_and_b32_e32 v1, 0xffff0000, v1
	buffer_store_dword v5, off, s[0:3], s32 offset:488 ; 4-byte Folded Spill
	buffer_store_dword v1, off, s[0:3], s32 offset:492 ; 4-byte Folded Spill
	v_lshlrev_b32_e32 v1, 16, v2
	buffer_store_dword v1, off, s[0:3], s32 offset:496 ; 4-byte Folded Spill
	v_and_b32_e32 v1, 0xffff0000, v2
	buffer_store_dword v1, off, s[0:3], s32 offset:500 ; 4-byte Folded Spill
	v_lshlrev_b32_e32 v1, 16, v3
	buffer_store_dword v1, off, s[0:3], s32 offset:504 ; 4-byte Folded Spill
	v_and_b32_e32 v1, 0xffff0000, v3
	buffer_store_dword v1, off, s[0:3], s32 offset:508 ; 4-byte Folded Spill
	v_lshlrev_b32_e32 v1, 16, v4
	buffer_store_dword v1, off, s[0:3], s32 offset:512 ; 4-byte Folded Spill
	v_and_b32_e32 v1, 0xffff0000, v4
	;; [unrolled: 18-line block ×12, first 2 shown]
	buffer_store_dword v0, off, s[0:3], s32 offset:836 ; 4-byte Folded Spill
	s_clause 0x3
	buffer_load_dword v10, off, s[0:3], s32 offset:204
	buffer_load_dword v11, off, s[0:3], s32 offset:208
	;; [unrolled: 1-line block ×4, first 2 shown]
	s_waitcnt vmcnt(2)
	v_lshlrev_b64 v[0:1], 2, v[10:11]
	s_waitcnt vmcnt(1)
	v_add_co_u32 v0, vcc_lo, v2, v0
	s_waitcnt vmcnt(0)
	v_add_co_ci_u32_e64 v1, null, v3, v1, vcc_lo
	s_clause 0x2
	buffer_load_dword v2, off, s[0:3], s32 offset:916
	buffer_load_dword v3, off, s[0:3], s32 offset:920
	;; [unrolled: 1-line block ×3, first 2 shown]
	s_waitcnt vmcnt(2)
	v_add_co_u32 v2, vcc_lo, v8, v2
	s_waitcnt vmcnt(0)
	v_bfe_u32 v4, v4, 1, 4
	v_add_co_ci_u32_e64 v3, null, v9, v3, vcc_lo
	v_lshlrev_b32_e32 v5, 4, v4
	v_add_co_u32 v2, vcc_lo, v2, v5
	v_add_co_ci_u32_e64 v3, null, 0, v3, vcc_lo
	buffer_store_dword v2, off, s[0:3], s32 offset:840 ; 4-byte Folded Spill
	buffer_store_dword v3, off, s[0:3], s32 offset:844 ; 4-byte Folded Spill
	buffer_load_dword v2, off, s[0:3], s32 offset:880 ; 4-byte Folded Reload
	s_waitcnt vmcnt(0)
	v_add_co_u32 v7, vcc_lo, v2, v0
	s_clause 0x1
	buffer_load_dword v0, off, s[0:3], s32 offset:876
	buffer_load_dword v2, off, s[0:3], s32 offset:860
	s_waitcnt vmcnt(1)
	v_add_co_ci_u32_e64 v8, null, v0, v1, vcc_lo
	buffer_load_dword v1, off, s[0:3], s32 offset:864 ; 4-byte Folded Reload
	s_waitcnt vmcnt(1)
	v_cmp_neq_f32_e64 s6, 0, v2
	s_waitcnt vmcnt(0)
	v_xor_b32_e32 v0, 1, v1
	v_cmp_gt_i32_e32 vcc_lo, 32, v0
	v_cndmask_b32_e32 v0, v1, v0, vcc_lo
	buffer_load_dword v1, off, s[0:3], s32 offset:868 ; 4-byte Folded Reload
	v_cmp_eq_u32_e32 vcc_lo, 0, v6
	v_lshlrev_b32_e32 v0, 2, v0
	buffer_store_dword v0, off, s[0:3], s32 offset:848 ; 4-byte Folded Spill
	s_waitcnt vmcnt(0)
	v_lshlrev_b32_e32 v0, 4, v1
	v_add3_u32 v0, s20, v0, v4
	buffer_store_dword v0, off, s[0:3], s32 offset:228 ; 4-byte Folded Spill
	v_lshlrev_b32_e32 v0, 2, v4
	v_lshl_or_b32 v0, v1, 6, v0
	v_lshlrev_b32_e32 v1, 2, v6
	v_mov_b32_e32 v6, v10
	buffer_store_dword v0, off, s[0:3], s32 offset:232 ; 4-byte Folded Spill
	v_mov_b32_e32 v0, 32
	buffer_store_dword v0, off, s[0:3], s32 offset:884 ; 4-byte Folded Spill
	buffer_store_dword v1, off, s[0:3], s32 offset:192 ; 4-byte Folded Spill
	v_or_b32_e32 v0, 8, v1
	buffer_store_dword v0, off, s[0:3], s32 offset:200 ; 4-byte Folded Spill
	v_mov_b32_e32 v0, 0xff7fffff
	buffer_store_dword v0, off, s[0:3], s32 offset:312 ; 4-byte Folded Spill
	s_branch .LBB369_10
.LBB369_9:                              ;   in Loop: Header=BB369_10 Depth=1
	s_or_b32 exec_lo, exec_lo, s17
	s_clause 0x2
	buffer_load_dword v7, off, s[0:3], s32 offset:248
	buffer_load_dword v8, off, s[0:3], s32 offset:252
	;; [unrolled: 1-line block ×3, first 2 shown]
	s_waitcnt vmcnt(3)
	v_add_nc_u32_e32 v6, 4, v6
	s_waitcnt vmcnt(2)
	v_add_co_u32 v7, s7, v7, 16
	s_waitcnt vmcnt(0)
	v_add_nc_u32_e32 v0, 64, v0
	v_add_co_ci_u32_e64 v8, null, 0, v8, s7
	buffer_store_dword v0, off, s[0:3], s32 offset:228 ; 4-byte Folded Spill
	buffer_load_dword v0, off, s[0:3], s32 offset:232 ; 4-byte Folded Reload
	s_waitcnt vmcnt(0)
	v_add_nc_u32_e32 v0, 0x100, v0
	buffer_store_dword v0, off, s[0:3], s32 offset:232 ; 4-byte Folded Spill
	buffer_load_dword v0, off, s[0:3], s32 offset:400 ; 4-byte Folded Reload
	s_waitcnt vmcnt(0)
	v_cmp_ge_i32_e64 s7, v6, v0
	s_or_b32 s23, s7, s23
	s_andn2_b32 exec_lo, exec_lo, s23
	s_cbranch_execz .LBB369_1036
.LBB369_10:                             ; =>This Inner Loop Header: Depth=1
	buffer_store_dword v6, off, s[0:3], s32 offset:256 ; 4-byte Folded Spill
	buffer_store_dword v7, off, s[0:3], s32 offset:248 ; 4-byte Folded Spill
	;; [unrolled: 1-line block ×3, first 2 shown]
	v_mov_b32_e32 v61, 0
	flat_load_dword v0, v[7:8]
	s_waitcnt lgkmcnt(1)
	s_clause 0x2
	buffer_load_dword v1, off, s[0:3], s32 offset:396
	buffer_load_dword v2, off, s[0:3], s32 offset:840
	;; [unrolled: 1-line block ×3, first 2 shown]
	s_waitcnt vmcnt(0) lgkmcnt(0)
	v_mad_i64_i32 v[28:29], null, v0, v1, v[2:3]
	buffer_load_dword v0, off, s[0:3], s32 offset:192 ; 4-byte Folded Reload
	s_waitcnt vmcnt(0)
	v_add_co_u32 v30, s7, v28, v0
	v_add_co_ci_u32_e64 v31, null, 0, v29, s7
	flat_load_dword v0, v[30:31]
	s_clause 0x1
	buffer_load_dword v1, off, s[0:3], s32 offset:304
	buffer_load_dword v2, off, s[0:3], s32 offset:308
	s_waitcnt vmcnt(2) lgkmcnt(0)
	v_cmp_ne_u16_sdwa s7, v0, v126 src0_sel:BYTE_0 src1_sel:DWORD
	s_waitcnt vmcnt(0)
	flat_load_dword v113, v[1:2]
	s_and_saveexec_b32 s17, s7
	s_cbranch_execz .LBB369_18
; %bb.11:                               ;   in Loop: Header=BB369_10 Depth=1
	v_mov_b32_e32 v1, 0x80
	v_bfrev_b32_e32 v61, 1
	v_cmp_ne_u16_sdwa s7, v0, v1 src0_sel:BYTE_0 src1_sel:DWORD
	s_and_saveexec_b32 s24, s7
	s_cbranch_execz .LBB369_17
; %bb.12:                               ;   in Loop: Header=BB369_10 Depth=1
	v_and_b32_e32 v2, 0x7f, v0
	v_mov_b32_e32 v61, 0x7f800001
	s_mov_b32 s25, exec_lo
	v_cmpx_ne_u32_e32 0x7f, v2
	s_cbranch_execz .LBB369_16
; %bb.13:                               ;   in Loop: Header=BB369_10 Depth=1
	v_and_b32_e32 v125, 7, v0
	v_lshrrev_b32_e32 v1, 3, v2
	s_mov_b32 s26, exec_lo
	v_mov_b32_e32 v32, v125
	v_mov_b32_e32 v33, v126
	v_cmpx_gt_u32_e32 8, v2
; %bb.14:                               ;   in Loop: Header=BB369_10 Depth=1
	v_ffbh_u32_e32 v1, v125
	v_min_u32_e32 v1, 32, v1
	v_subrev_nc_u32_e32 v2, 28, v1
	v_sub_nc_u32_e32 v1, 29, v1
	v_lshlrev_b64 v[2:3], v2, v[125:126]
	v_and_b32_e32 v32, 7, v2
; %bb.15:                               ;   in Loop: Header=BB369_10 Depth=1
	s_or_b32 exec_lo, exec_lo, s26
	v_lshlrev_b32_e32 v2, 24, v0
	v_lshlrev_b32_e32 v3, 20, v32
	v_lshl_add_u32 v1, v1, 23, 0x3c000000
	v_and_b32_e32 v2, 0x80000000, v2
	v_or3_b32 v61, v3, v2, v1
.LBB369_16:                             ;   in Loop: Header=BB369_10 Depth=1
	s_or_b32 exec_lo, exec_lo, s25
.LBB369_17:                             ;   in Loop: Header=BB369_10 Depth=1
	s_or_b32 exec_lo, exec_lo, s24
.LBB369_18:                             ;   in Loop: Header=BB369_10 Depth=1
	s_or_b32 exec_lo, exec_lo, s17
	v_cmp_ne_u16_sdwa s7, v0, v126 src0_sel:BYTE_1 src1_sel:DWORD
	v_mov_b32_e32 v127, 0
	s_and_saveexec_b32 s17, s7
	s_cbranch_execz .LBB369_26
; %bb.19:                               ;   in Loop: Header=BB369_10 Depth=1
	v_mov_b32_e32 v1, 0x80
	v_bfrev_b32_e32 v127, 1
	v_cmp_ne_u16_sdwa s7, v0, v1 src0_sel:BYTE_1 src1_sel:DWORD
	s_and_saveexec_b32 s24, s7
	s_cbranch_execz .LBB369_25
; %bb.20:                               ;   in Loop: Header=BB369_10 Depth=1
	v_mov_b32_e32 v1, 0xffff
	v_mov_b32_e32 v127, 0x7f800001
	s_mov_b32 s25, exec_lo
	v_and_b32_sdwa v1, v1, v0 dst_sel:DWORD dst_unused:UNUSED_PAD src0_sel:DWORD src1_sel:BYTE_1
	v_and_b32_e32 v2, 0x7f, v1
	v_cmpx_ne_u32_e32 0x7f, v2
	s_cbranch_execz .LBB369_24
; %bb.21:                               ;   in Loop: Header=BB369_10 Depth=1
	v_and_b32_e32 v125, 7, v1
	v_lshrrev_b32_e32 v1, 3, v2
	s_mov_b32 s26, exec_lo
	v_mov_b32_e32 v32, v125
	v_mov_b32_e32 v33, v126
	v_cmpx_gt_u32_e32 8, v2
; %bb.22:                               ;   in Loop: Header=BB369_10 Depth=1
	v_ffbh_u32_e32 v1, v125
	v_min_u32_e32 v1, 32, v1
	v_subrev_nc_u32_e32 v2, 28, v1
	v_sub_nc_u32_e32 v1, 29, v1
	v_lshlrev_b64 v[2:3], v2, v[125:126]
	v_and_b32_e32 v32, 7, v2
; %bb.23:                               ;   in Loop: Header=BB369_10 Depth=1
	s_or_b32 exec_lo, exec_lo, s26
	v_lshlrev_b32_e32 v2, 16, v0
	v_lshlrev_b32_e32 v3, 20, v32
	v_lshl_add_u32 v1, v1, 23, 0x3c000000
	v_and_b32_e32 v2, 0x80000000, v2
	v_or3_b32 v127, v3, v2, v1
.LBB369_24:                             ;   in Loop: Header=BB369_10 Depth=1
	s_or_b32 exec_lo, exec_lo, s25
.LBB369_25:                             ;   in Loop: Header=BB369_10 Depth=1
	s_or_b32 exec_lo, exec_lo, s24
.LBB369_26:                             ;   in Loop: Header=BB369_10 Depth=1
	s_or_b32 exec_lo, exec_lo, s17
	v_mov_b32_e32 v1, 0xff
	v_mov_b32_e32 v37, 0
	;; [unrolled: 1-line block ×3, first 2 shown]
	s_mov_b32 s17, exec_lo
	v_and_b32_sdwa v1, v0, v1 dst_sel:DWORD dst_unused:UNUSED_PAD src0_sel:WORD_1 src1_sel:DWORD
	v_cmpx_ne_u16_e32 0, v1
	s_cbranch_execz .LBB369_34
; %bb.27:                               ;   in Loop: Header=BB369_10 Depth=1
	v_bfrev_b32_e32 v102, 1
	s_mov_b32 s24, exec_lo
	v_cmpx_ne_u16_e32 0x80, v1
	s_cbranch_execz .LBB369_33
; %bb.28:                               ;   in Loop: Header=BB369_10 Depth=1
	v_bfe_u32 v2, v0, 16, 7
	v_mov_b32_e32 v102, 0x7f800001
	s_mov_b32 s25, exec_lo
	v_cmpx_ne_u32_e32 0x7f, v2
	s_cbranch_execz .LBB369_32
; %bb.29:                               ;   in Loop: Header=BB369_10 Depth=1
	v_mov_b32_e32 v1, 7
	s_mov_b32 s26, exec_lo
	v_and_b32_sdwa v125, v0, v1 dst_sel:DWORD dst_unused:UNUSED_PAD src0_sel:WORD_1 src1_sel:DWORD
	v_lshrrev_b32_e32 v1, 3, v2
	v_mov_b32_e32 v32, v125
	v_mov_b32_e32 v33, v126
	v_cmpx_gt_u32_e32 8, v2
; %bb.30:                               ;   in Loop: Header=BB369_10 Depth=1
	v_ffbh_u32_e32 v1, v125
	v_min_u32_e32 v1, 32, v1
	v_subrev_nc_u32_e32 v2, 28, v1
	v_sub_nc_u32_e32 v1, 29, v1
	v_lshlrev_b64 v[2:3], v2, v[125:126]
	v_and_b32_e32 v32, 7, v2
; %bb.31:                               ;   in Loop: Header=BB369_10 Depth=1
	s_or_b32 exec_lo, exec_lo, s26
	v_mov_b32_e32 v2, 24
	v_lshlrev_b32_e32 v3, 20, v32
	v_lshl_add_u32 v1, v1, 23, 0x3c000000
	v_lshlrev_b32_sdwa v2, v2, v0 dst_sel:DWORD dst_unused:UNUSED_PAD src0_sel:DWORD src1_sel:WORD_1
	v_and_b32_e32 v2, 0x80000000, v2
	v_or3_b32 v102, v3, v2, v1
.LBB369_32:                             ;   in Loop: Header=BB369_10 Depth=1
	s_or_b32 exec_lo, exec_lo, s25
.LBB369_33:                             ;   in Loop: Header=BB369_10 Depth=1
	s_or_b32 exec_lo, exec_lo, s24
.LBB369_34:                             ;   in Loop: Header=BB369_10 Depth=1
	s_or_b32 exec_lo, exec_lo, s17
	s_mov_b32 s17, exec_lo
	v_cmpx_lt_u32_e32 0xffffff, v0
	s_cbranch_execz .LBB369_42
; %bb.35:                               ;   in Loop: Header=BB369_10 Depth=1
	v_mov_b32_e32 v1, 0x80
	v_bfrev_b32_e32 v37, 1
	v_cmp_ne_u32_sdwa s7, v0, v1 src0_sel:BYTE_3 src1_sel:DWORD
	s_and_saveexec_b32 s24, s7
	s_cbranch_execz .LBB369_41
; %bb.36:                               ;   in Loop: Header=BB369_10 Depth=1
	v_bfe_u32 v2, v0, 24, 7
	v_mov_b32_e32 v37, 0x7f800001
	s_mov_b32 s25, exec_lo
	v_cmpx_ne_u32_e32 0x7f, v2
	s_cbranch_execz .LBB369_40
; %bb.37:                               ;   in Loop: Header=BB369_10 Depth=1
	v_mov_b32_e32 v1, 7
	s_mov_b32 s26, exec_lo
	v_and_b32_sdwa v125, v0, v1 dst_sel:DWORD dst_unused:UNUSED_PAD src0_sel:BYTE_3 src1_sel:DWORD
	v_lshrrev_b32_e32 v1, 3, v2
	v_mov_b32_e32 v32, v125
	v_mov_b32_e32 v33, v126
	v_cmpx_gt_u32_e32 8, v2
; %bb.38:                               ;   in Loop: Header=BB369_10 Depth=1
	v_ffbh_u32_e32 v1, v125
	v_min_u32_e32 v1, 32, v1
	v_subrev_nc_u32_e32 v2, 28, v1
	v_sub_nc_u32_e32 v1, 29, v1
	v_lshlrev_b64 v[2:3], v2, v[125:126]
	v_and_b32_e32 v32, 7, v2
; %bb.39:                               ;   in Loop: Header=BB369_10 Depth=1
	s_or_b32 exec_lo, exec_lo, s26
	v_mov_b32_e32 v2, 24
	v_lshl_add_u32 v1, v1, 23, 0x3c000000
	v_lshlrev_b32_sdwa v0, v2, v0 dst_sel:DWORD dst_unused:UNUSED_PAD src0_sel:DWORD src1_sel:BYTE_3
	v_lshlrev_b32_e32 v2, 20, v32
	v_and_b32_e32 v0, 0x80000000, v0
	v_or3_b32 v37, v2, v0, v1
.LBB369_40:                             ;   in Loop: Header=BB369_10 Depth=1
	s_or_b32 exec_lo, exec_lo, s25
.LBB369_41:                             ;   in Loop: Header=BB369_10 Depth=1
	s_or_b32 exec_lo, exec_lo, s24
.LBB369_42:                             ;   in Loop: Header=BB369_10 Depth=1
	s_or_b32 exec_lo, exec_lo, s17
	flat_load_dword v0, v[30:31] offset:8
	v_mov_b32_e32 v87, 0
	v_mov_b32_e32 v98, 0
	s_waitcnt vmcnt(0) lgkmcnt(0)
	v_cmp_ne_u16_sdwa s7, v0, v126 src0_sel:BYTE_0 src1_sel:DWORD
	s_and_saveexec_b32 s17, s7
	s_cbranch_execz .LBB369_50
; %bb.43:                               ;   in Loop: Header=BB369_10 Depth=1
	v_mov_b32_e32 v1, 0x80
	v_bfrev_b32_e32 v98, 1
	v_cmp_ne_u16_sdwa s7, v0, v1 src0_sel:BYTE_0 src1_sel:DWORD
	s_and_saveexec_b32 s24, s7
	s_cbranch_execz .LBB369_49
; %bb.44:                               ;   in Loop: Header=BB369_10 Depth=1
	v_and_b32_e32 v2, 0x7f, v0
	v_mov_b32_e32 v98, 0x7f800001
	s_mov_b32 s25, exec_lo
	v_cmpx_ne_u32_e32 0x7f, v2
	s_cbranch_execz .LBB369_48
; %bb.45:                               ;   in Loop: Header=BB369_10 Depth=1
	v_and_b32_e32 v125, 7, v0
	v_lshrrev_b32_e32 v1, 3, v2
	s_mov_b32 s26, exec_lo
	v_mov_b32_e32 v32, v125
	v_mov_b32_e32 v33, v126
	v_cmpx_gt_u32_e32 8, v2
; %bb.46:                               ;   in Loop: Header=BB369_10 Depth=1
	v_ffbh_u32_e32 v1, v125
	v_min_u32_e32 v1, 32, v1
	v_subrev_nc_u32_e32 v2, 28, v1
	v_sub_nc_u32_e32 v1, 29, v1
	v_lshlrev_b64 v[2:3], v2, v[125:126]
	v_and_b32_e32 v32, 7, v2
; %bb.47:                               ;   in Loop: Header=BB369_10 Depth=1
	s_or_b32 exec_lo, exec_lo, s26
	v_lshlrev_b32_e32 v2, 24, v0
	v_lshlrev_b32_e32 v3, 20, v32
	v_lshl_add_u32 v1, v1, 23, 0x3c000000
	v_and_b32_e32 v2, 0x80000000, v2
	v_or3_b32 v98, v3, v2, v1
.LBB369_48:                             ;   in Loop: Header=BB369_10 Depth=1
	s_or_b32 exec_lo, exec_lo, s25
.LBB369_49:                             ;   in Loop: Header=BB369_10 Depth=1
	s_or_b32 exec_lo, exec_lo, s24
.LBB369_50:                             ;   in Loop: Header=BB369_10 Depth=1
	s_or_b32 exec_lo, exec_lo, s17
	v_cmp_ne_u16_sdwa s7, v0, v126 src0_sel:BYTE_1 src1_sel:DWORD
	s_and_saveexec_b32 s17, s7
	s_cbranch_execz .LBB369_58
; %bb.51:                               ;   in Loop: Header=BB369_10 Depth=1
	v_mov_b32_e32 v1, 0x80
	v_bfrev_b32_e32 v87, 1
	v_cmp_ne_u16_sdwa s7, v0, v1 src0_sel:BYTE_1 src1_sel:DWORD
	s_and_saveexec_b32 s24, s7
	s_cbranch_execz .LBB369_57
; %bb.52:                               ;   in Loop: Header=BB369_10 Depth=1
	v_mov_b32_e32 v1, 0xffff
	v_mov_b32_e32 v87, 0x7f800001
	s_mov_b32 s25, exec_lo
	v_and_b32_sdwa v1, v1, v0 dst_sel:DWORD dst_unused:UNUSED_PAD src0_sel:DWORD src1_sel:BYTE_1
	v_and_b32_e32 v2, 0x7f, v1
	v_cmpx_ne_u32_e32 0x7f, v2
	s_cbranch_execz .LBB369_56
; %bb.53:                               ;   in Loop: Header=BB369_10 Depth=1
	v_and_b32_e32 v125, 7, v1
	v_lshrrev_b32_e32 v1, 3, v2
	s_mov_b32 s26, exec_lo
	v_mov_b32_e32 v32, v125
	v_mov_b32_e32 v33, v126
	v_cmpx_gt_u32_e32 8, v2
; %bb.54:                               ;   in Loop: Header=BB369_10 Depth=1
	v_ffbh_u32_e32 v1, v125
	v_min_u32_e32 v1, 32, v1
	v_subrev_nc_u32_e32 v2, 28, v1
	v_sub_nc_u32_e32 v1, 29, v1
	v_lshlrev_b64 v[2:3], v2, v[125:126]
	v_and_b32_e32 v32, 7, v2
; %bb.55:                               ;   in Loop: Header=BB369_10 Depth=1
	s_or_b32 exec_lo, exec_lo, s26
	v_lshlrev_b32_e32 v2, 16, v0
	v_lshlrev_b32_e32 v3, 20, v32
	v_lshl_add_u32 v1, v1, 23, 0x3c000000
	v_and_b32_e32 v2, 0x80000000, v2
	v_or3_b32 v87, v3, v2, v1
.LBB369_56:                             ;   in Loop: Header=BB369_10 Depth=1
	s_or_b32 exec_lo, exec_lo, s25
.LBB369_57:                             ;   in Loop: Header=BB369_10 Depth=1
	s_or_b32 exec_lo, exec_lo, s24
.LBB369_58:                             ;   in Loop: Header=BB369_10 Depth=1
	s_or_b32 exec_lo, exec_lo, s17
	v_mov_b32_e32 v1, 0xff
	v_mov_b32_e32 v101, 0
	;; [unrolled: 1-line block ×3, first 2 shown]
	s_mov_b32 s17, exec_lo
	v_and_b32_sdwa v1, v0, v1 dst_sel:DWORD dst_unused:UNUSED_PAD src0_sel:WORD_1 src1_sel:DWORD
	v_cmpx_ne_u16_e32 0, v1
	s_cbranch_execz .LBB369_66
; %bb.59:                               ;   in Loop: Header=BB369_10 Depth=1
	v_bfrev_b32_e32 v100, 1
	s_mov_b32 s24, exec_lo
	v_cmpx_ne_u16_e32 0x80, v1
	s_cbranch_execz .LBB369_65
; %bb.60:                               ;   in Loop: Header=BB369_10 Depth=1
	v_bfe_u32 v2, v0, 16, 7
	v_mov_b32_e32 v100, 0x7f800001
	s_mov_b32 s25, exec_lo
	v_cmpx_ne_u32_e32 0x7f, v2
	s_cbranch_execz .LBB369_64
; %bb.61:                               ;   in Loop: Header=BB369_10 Depth=1
	v_mov_b32_e32 v1, 7
	s_mov_b32 s26, exec_lo
	v_and_b32_sdwa v125, v0, v1 dst_sel:DWORD dst_unused:UNUSED_PAD src0_sel:WORD_1 src1_sel:DWORD
	v_lshrrev_b32_e32 v1, 3, v2
	v_mov_b32_e32 v32, v125
	v_mov_b32_e32 v33, v126
	v_cmpx_gt_u32_e32 8, v2
; %bb.62:                               ;   in Loop: Header=BB369_10 Depth=1
	v_ffbh_u32_e32 v1, v125
	v_min_u32_e32 v1, 32, v1
	v_subrev_nc_u32_e32 v2, 28, v1
	v_sub_nc_u32_e32 v1, 29, v1
	v_lshlrev_b64 v[2:3], v2, v[125:126]
	v_and_b32_e32 v32, 7, v2
; %bb.63:                               ;   in Loop: Header=BB369_10 Depth=1
	s_or_b32 exec_lo, exec_lo, s26
	v_mov_b32_e32 v2, 24
	v_lshlrev_b32_e32 v3, 20, v32
	v_lshl_add_u32 v1, v1, 23, 0x3c000000
	v_lshlrev_b32_sdwa v2, v2, v0 dst_sel:DWORD dst_unused:UNUSED_PAD src0_sel:DWORD src1_sel:WORD_1
	v_and_b32_e32 v2, 0x80000000, v2
	v_or3_b32 v100, v3, v2, v1
.LBB369_64:                             ;   in Loop: Header=BB369_10 Depth=1
	s_or_b32 exec_lo, exec_lo, s25
.LBB369_65:                             ;   in Loop: Header=BB369_10 Depth=1
	s_or_b32 exec_lo, exec_lo, s24
.LBB369_66:                             ;   in Loop: Header=BB369_10 Depth=1
	s_or_b32 exec_lo, exec_lo, s17
	s_mov_b32 s17, exec_lo
	v_cmpx_lt_u32_e32 0xffffff, v0
	s_cbranch_execz .LBB369_74
; %bb.67:                               ;   in Loop: Header=BB369_10 Depth=1
	v_mov_b32_e32 v1, 0x80
	v_bfrev_b32_e32 v101, 1
	v_cmp_ne_u32_sdwa s7, v0, v1 src0_sel:BYTE_3 src1_sel:DWORD
	s_and_saveexec_b32 s24, s7
	s_cbranch_execz .LBB369_73
; %bb.68:                               ;   in Loop: Header=BB369_10 Depth=1
	v_bfe_u32 v2, v0, 24, 7
	v_mov_b32_e32 v101, 0x7f800001
	s_mov_b32 s25, exec_lo
	v_cmpx_ne_u32_e32 0x7f, v2
	s_cbranch_execz .LBB369_72
; %bb.69:                               ;   in Loop: Header=BB369_10 Depth=1
	v_mov_b32_e32 v1, 7
	s_mov_b32 s26, exec_lo
	v_and_b32_sdwa v125, v0, v1 dst_sel:DWORD dst_unused:UNUSED_PAD src0_sel:BYTE_3 src1_sel:DWORD
	v_lshrrev_b32_e32 v1, 3, v2
	v_mov_b32_e32 v32, v125
	v_mov_b32_e32 v33, v126
	v_cmpx_gt_u32_e32 8, v2
; %bb.70:                               ;   in Loop: Header=BB369_10 Depth=1
	v_ffbh_u32_e32 v1, v125
	v_min_u32_e32 v1, 32, v1
	v_subrev_nc_u32_e32 v2, 28, v1
	v_sub_nc_u32_e32 v1, 29, v1
	v_lshlrev_b64 v[2:3], v2, v[125:126]
	v_and_b32_e32 v32, 7, v2
; %bb.71:                               ;   in Loop: Header=BB369_10 Depth=1
	s_or_b32 exec_lo, exec_lo, s26
	v_mov_b32_e32 v2, 24
	v_lshl_add_u32 v1, v1, 23, 0x3c000000
	v_lshlrev_b32_sdwa v0, v2, v0 dst_sel:DWORD dst_unused:UNUSED_PAD src0_sel:DWORD src1_sel:BYTE_3
	v_lshlrev_b32_e32 v2, 20, v32
	v_and_b32_e32 v0, 0x80000000, v0
	v_or3_b32 v101, v2, v0, v1
.LBB369_72:                             ;   in Loop: Header=BB369_10 Depth=1
	s_or_b32 exec_lo, exec_lo, s25
.LBB369_73:                             ;   in Loop: Header=BB369_10 Depth=1
	s_or_b32 exec_lo, exec_lo, s24
.LBB369_74:                             ;   in Loop: Header=BB369_10 Depth=1
	s_or_b32 exec_lo, exec_lo, s17
	flat_load_dword v0, v[30:31] offset:256
	v_mov_b32_e32 v103, 0
	v_mov_b32_e32 v99, 0
	s_waitcnt vmcnt(0) lgkmcnt(0)
	v_cmp_ne_u16_sdwa s7, v0, v126 src0_sel:BYTE_0 src1_sel:DWORD
	s_and_saveexec_b32 s17, s7
	s_cbranch_execz .LBB369_82
; %bb.75:                               ;   in Loop: Header=BB369_10 Depth=1
	v_mov_b32_e32 v1, 0x80
	v_bfrev_b32_e32 v99, 1
	v_cmp_ne_u16_sdwa s7, v0, v1 src0_sel:BYTE_0 src1_sel:DWORD
	s_and_saveexec_b32 s24, s7
	s_cbranch_execz .LBB369_81
; %bb.76:                               ;   in Loop: Header=BB369_10 Depth=1
	v_and_b32_e32 v2, 0x7f, v0
	v_mov_b32_e32 v99, 0x7f800001
	s_mov_b32 s25, exec_lo
	v_cmpx_ne_u32_e32 0x7f, v2
	s_cbranch_execz .LBB369_80
; %bb.77:                               ;   in Loop: Header=BB369_10 Depth=1
	v_and_b32_e32 v125, 7, v0
	v_lshrrev_b32_e32 v1, 3, v2
	s_mov_b32 s26, exec_lo
	v_mov_b32_e32 v32, v125
	v_mov_b32_e32 v33, v126
	v_cmpx_gt_u32_e32 8, v2
; %bb.78:                               ;   in Loop: Header=BB369_10 Depth=1
	v_ffbh_u32_e32 v1, v125
	v_min_u32_e32 v1, 32, v1
	v_subrev_nc_u32_e32 v2, 28, v1
	v_sub_nc_u32_e32 v1, 29, v1
	v_lshlrev_b64 v[2:3], v2, v[125:126]
	v_and_b32_e32 v32, 7, v2
; %bb.79:                               ;   in Loop: Header=BB369_10 Depth=1
	s_or_b32 exec_lo, exec_lo, s26
	v_lshlrev_b32_e32 v2, 24, v0
	v_lshlrev_b32_e32 v3, 20, v32
	v_lshl_add_u32 v1, v1, 23, 0x3c000000
	v_and_b32_e32 v2, 0x80000000, v2
	v_or3_b32 v99, v3, v2, v1
.LBB369_80:                             ;   in Loop: Header=BB369_10 Depth=1
	s_or_b32 exec_lo, exec_lo, s25
.LBB369_81:                             ;   in Loop: Header=BB369_10 Depth=1
	s_or_b32 exec_lo, exec_lo, s24
.LBB369_82:                             ;   in Loop: Header=BB369_10 Depth=1
	s_or_b32 exec_lo, exec_lo, s17
	v_cmp_ne_u16_sdwa s7, v0, v126 src0_sel:BYTE_1 src1_sel:DWORD
	s_and_saveexec_b32 s17, s7
	s_cbranch_execz .LBB369_90
; %bb.83:                               ;   in Loop: Header=BB369_10 Depth=1
	v_mov_b32_e32 v1, 0x80
	v_bfrev_b32_e32 v103, 1
	v_cmp_ne_u16_sdwa s7, v0, v1 src0_sel:BYTE_1 src1_sel:DWORD
	s_and_saveexec_b32 s24, s7
	s_cbranch_execz .LBB369_89
; %bb.84:                               ;   in Loop: Header=BB369_10 Depth=1
	v_mov_b32_e32 v1, 0xffff
	v_mov_b32_e32 v103, 0x7f800001
	s_mov_b32 s25, exec_lo
	v_and_b32_sdwa v1, v1, v0 dst_sel:DWORD dst_unused:UNUSED_PAD src0_sel:DWORD src1_sel:BYTE_1
	v_and_b32_e32 v2, 0x7f, v1
	v_cmpx_ne_u32_e32 0x7f, v2
	s_cbranch_execz .LBB369_88
; %bb.85:                               ;   in Loop: Header=BB369_10 Depth=1
	v_and_b32_e32 v125, 7, v1
	v_lshrrev_b32_e32 v1, 3, v2
	s_mov_b32 s26, exec_lo
	v_mov_b32_e32 v32, v125
	v_mov_b32_e32 v33, v126
	v_cmpx_gt_u32_e32 8, v2
; %bb.86:                               ;   in Loop: Header=BB369_10 Depth=1
	v_ffbh_u32_e32 v1, v125
	v_min_u32_e32 v1, 32, v1
	v_subrev_nc_u32_e32 v2, 28, v1
	v_sub_nc_u32_e32 v1, 29, v1
	v_lshlrev_b64 v[2:3], v2, v[125:126]
	v_and_b32_e32 v32, 7, v2
; %bb.87:                               ;   in Loop: Header=BB369_10 Depth=1
	s_or_b32 exec_lo, exec_lo, s26
	v_lshlrev_b32_e32 v2, 16, v0
	v_lshlrev_b32_e32 v3, 20, v32
	v_lshl_add_u32 v1, v1, 23, 0x3c000000
	v_and_b32_e32 v2, 0x80000000, v2
	v_or3_b32 v103, v3, v2, v1
.LBB369_88:                             ;   in Loop: Header=BB369_10 Depth=1
	s_or_b32 exec_lo, exec_lo, s25
.LBB369_89:                             ;   in Loop: Header=BB369_10 Depth=1
	s_or_b32 exec_lo, exec_lo, s24
.LBB369_90:                             ;   in Loop: Header=BB369_10 Depth=1
	s_or_b32 exec_lo, exec_lo, s17
	v_mov_b32_e32 v1, 0xff
	v_mov_b32_e32 v18, 0
	;; [unrolled: 1-line block ×3, first 2 shown]
	s_mov_b32 s17, exec_lo
	v_and_b32_sdwa v1, v0, v1 dst_sel:DWORD dst_unused:UNUSED_PAD src0_sel:WORD_1 src1_sel:DWORD
	buffer_store_dword v2, off, s[0:3], s32 offset:236 ; 4-byte Folded Spill
	v_cmpx_ne_u16_e32 0, v1
	s_cbranch_execz .LBB369_98
; %bb.91:                               ;   in Loop: Header=BB369_10 Depth=1
	v_cmp_ne_u16_e64 s7, 0x80, v1
	v_bfrev_b32_e32 v1, 1
	s_and_saveexec_b32 s24, s7
	s_cbranch_execz .LBB369_97
; %bb.92:                               ;   in Loop: Header=BB369_10 Depth=1
	v_bfe_u32 v2, v0, 16, 7
	v_mov_b32_e32 v1, 0x7f800001
	s_mov_b32 s25, exec_lo
	v_cmpx_ne_u32_e32 0x7f, v2
	s_cbranch_execz .LBB369_96
; %bb.93:                               ;   in Loop: Header=BB369_10 Depth=1
	v_mov_b32_e32 v1, 7
	s_mov_b32 s26, exec_lo
	v_and_b32_sdwa v125, v0, v1 dst_sel:DWORD dst_unused:UNUSED_PAD src0_sel:WORD_1 src1_sel:DWORD
	v_lshrrev_b32_e32 v1, 3, v2
	v_mov_b32_e32 v32, v125
	v_mov_b32_e32 v33, v126
	v_cmpx_gt_u32_e32 8, v2
; %bb.94:                               ;   in Loop: Header=BB369_10 Depth=1
	v_ffbh_u32_e32 v1, v125
	v_min_u32_e32 v1, 32, v1
	v_subrev_nc_u32_e32 v2, 28, v1
	v_sub_nc_u32_e32 v1, 29, v1
	v_lshlrev_b64 v[2:3], v2, v[125:126]
	v_and_b32_e32 v32, 7, v2
; %bb.95:                               ;   in Loop: Header=BB369_10 Depth=1
	s_or_b32 exec_lo, exec_lo, s26
	v_mov_b32_e32 v2, 24
	v_lshlrev_b32_e32 v3, 20, v32
	v_lshl_add_u32 v1, v1, 23, 0x3c000000
	v_lshlrev_b32_sdwa v2, v2, v0 dst_sel:DWORD dst_unused:UNUSED_PAD src0_sel:DWORD src1_sel:WORD_1
	v_and_b32_e32 v2, 0x80000000, v2
	v_or3_b32 v1, v3, v2, v1
.LBB369_96:                             ;   in Loop: Header=BB369_10 Depth=1
	s_or_b32 exec_lo, exec_lo, s25
.LBB369_97:                             ;   in Loop: Header=BB369_10 Depth=1
	s_or_b32 exec_lo, exec_lo, s24
	buffer_store_dword v1, off, s[0:3], s32 offset:236 ; 4-byte Folded Spill
.LBB369_98:                             ;   in Loop: Header=BB369_10 Depth=1
	s_or_b32 exec_lo, exec_lo, s17
	s_mov_b32 s17, exec_lo
	v_cmpx_lt_u32_e32 0xffffff, v0
	s_cbranch_execz .LBB369_106
; %bb.99:                               ;   in Loop: Header=BB369_10 Depth=1
	v_mov_b32_e32 v1, 0x80
	v_bfrev_b32_e32 v18, 1
	v_cmp_ne_u32_sdwa s7, v0, v1 src0_sel:BYTE_3 src1_sel:DWORD
	s_and_saveexec_b32 s24, s7
	s_cbranch_execz .LBB369_105
; %bb.100:                              ;   in Loop: Header=BB369_10 Depth=1
	v_bfe_u32 v2, v0, 24, 7
	v_mov_b32_e32 v18, 0x7f800001
	s_mov_b32 s25, exec_lo
	v_cmpx_ne_u32_e32 0x7f, v2
	s_cbranch_execz .LBB369_104
; %bb.101:                              ;   in Loop: Header=BB369_10 Depth=1
	v_mov_b32_e32 v1, 7
	s_mov_b32 s26, exec_lo
	v_and_b32_sdwa v125, v0, v1 dst_sel:DWORD dst_unused:UNUSED_PAD src0_sel:BYTE_3 src1_sel:DWORD
	v_lshrrev_b32_e32 v1, 3, v2
	v_mov_b32_e32 v32, v125
	v_mov_b32_e32 v33, v126
	v_cmpx_gt_u32_e32 8, v2
; %bb.102:                              ;   in Loop: Header=BB369_10 Depth=1
	v_ffbh_u32_e32 v1, v125
	v_min_u32_e32 v1, 32, v1
	v_subrev_nc_u32_e32 v2, 28, v1
	v_sub_nc_u32_e32 v1, 29, v1
	v_lshlrev_b64 v[2:3], v2, v[125:126]
	v_and_b32_e32 v32, 7, v2
; %bb.103:                              ;   in Loop: Header=BB369_10 Depth=1
	s_or_b32 exec_lo, exec_lo, s26
	v_mov_b32_e32 v2, 24
	v_lshl_add_u32 v1, v1, 23, 0x3c000000
	v_lshlrev_b32_sdwa v0, v2, v0 dst_sel:DWORD dst_unused:UNUSED_PAD src0_sel:DWORD src1_sel:BYTE_3
	v_lshlrev_b32_e32 v2, 20, v32
	v_and_b32_e32 v0, 0x80000000, v0
	v_or3_b32 v18, v2, v0, v1
.LBB369_104:                            ;   in Loop: Header=BB369_10 Depth=1
	s_or_b32 exec_lo, exec_lo, s25
.LBB369_105:                            ;   in Loop: Header=BB369_10 Depth=1
	s_or_b32 exec_lo, exec_lo, s24
.LBB369_106:                            ;   in Loop: Header=BB369_10 Depth=1
	s_or_b32 exec_lo, exec_lo, s17
	flat_load_dword v0, v[30:31] offset:264
	v_mov_b32_e32 v21, 0
	v_mov_b32_e32 v19, 0
	s_waitcnt vmcnt(0) lgkmcnt(0)
	v_cmp_ne_u16_sdwa s7, v0, v126 src0_sel:BYTE_0 src1_sel:DWORD
	s_and_saveexec_b32 s17, s7
	s_cbranch_execz .LBB369_114
; %bb.107:                              ;   in Loop: Header=BB369_10 Depth=1
	v_mov_b32_e32 v1, 0x80
	v_bfrev_b32_e32 v19, 1
	v_cmp_ne_u16_sdwa s7, v0, v1 src0_sel:BYTE_0 src1_sel:DWORD
	s_and_saveexec_b32 s24, s7
	s_cbranch_execz .LBB369_113
; %bb.108:                              ;   in Loop: Header=BB369_10 Depth=1
	v_and_b32_e32 v2, 0x7f, v0
	v_mov_b32_e32 v19, 0x7f800001
	s_mov_b32 s25, exec_lo
	v_cmpx_ne_u32_e32 0x7f, v2
	s_cbranch_execz .LBB369_112
; %bb.109:                              ;   in Loop: Header=BB369_10 Depth=1
	v_and_b32_e32 v125, 7, v0
	v_lshrrev_b32_e32 v1, 3, v2
	s_mov_b32 s26, exec_lo
	v_mov_b32_e32 v32, v125
	v_mov_b32_e32 v33, v126
	v_cmpx_gt_u32_e32 8, v2
; %bb.110:                              ;   in Loop: Header=BB369_10 Depth=1
	v_ffbh_u32_e32 v1, v125
	v_min_u32_e32 v1, 32, v1
	v_subrev_nc_u32_e32 v2, 28, v1
	v_sub_nc_u32_e32 v1, 29, v1
	v_lshlrev_b64 v[2:3], v2, v[125:126]
	v_and_b32_e32 v32, 7, v2
; %bb.111:                              ;   in Loop: Header=BB369_10 Depth=1
	s_or_b32 exec_lo, exec_lo, s26
	v_lshlrev_b32_e32 v2, 24, v0
	v_lshlrev_b32_e32 v3, 20, v32
	v_lshl_add_u32 v1, v1, 23, 0x3c000000
	v_and_b32_e32 v2, 0x80000000, v2
	v_or3_b32 v19, v3, v2, v1
.LBB369_112:                            ;   in Loop: Header=BB369_10 Depth=1
	s_or_b32 exec_lo, exec_lo, s25
.LBB369_113:                            ;   in Loop: Header=BB369_10 Depth=1
	s_or_b32 exec_lo, exec_lo, s24
.LBB369_114:                            ;   in Loop: Header=BB369_10 Depth=1
	s_or_b32 exec_lo, exec_lo, s17
	v_cmp_ne_u16_sdwa s7, v0, v126 src0_sel:BYTE_1 src1_sel:DWORD
	s_and_saveexec_b32 s17, s7
	s_cbranch_execz .LBB369_122
; %bb.115:                              ;   in Loop: Header=BB369_10 Depth=1
	v_mov_b32_e32 v1, 0x80
	v_bfrev_b32_e32 v21, 1
	v_cmp_ne_u16_sdwa s7, v0, v1 src0_sel:BYTE_1 src1_sel:DWORD
	s_and_saveexec_b32 s24, s7
	s_cbranch_execz .LBB369_121
; %bb.116:                              ;   in Loop: Header=BB369_10 Depth=1
	v_mov_b32_e32 v1, 0xffff
	v_mov_b32_e32 v21, 0x7f800001
	s_mov_b32 s25, exec_lo
	v_and_b32_sdwa v1, v1, v0 dst_sel:DWORD dst_unused:UNUSED_PAD src0_sel:DWORD src1_sel:BYTE_1
	v_and_b32_e32 v2, 0x7f, v1
	v_cmpx_ne_u32_e32 0x7f, v2
	s_cbranch_execz .LBB369_120
; %bb.117:                              ;   in Loop: Header=BB369_10 Depth=1
	v_and_b32_e32 v125, 7, v1
	v_lshrrev_b32_e32 v1, 3, v2
	s_mov_b32 s26, exec_lo
	v_mov_b32_e32 v32, v125
	v_mov_b32_e32 v33, v126
	v_cmpx_gt_u32_e32 8, v2
; %bb.118:                              ;   in Loop: Header=BB369_10 Depth=1
	v_ffbh_u32_e32 v1, v125
	v_min_u32_e32 v1, 32, v1
	v_subrev_nc_u32_e32 v2, 28, v1
	v_sub_nc_u32_e32 v1, 29, v1
	v_lshlrev_b64 v[2:3], v2, v[125:126]
	v_and_b32_e32 v32, 7, v2
; %bb.119:                              ;   in Loop: Header=BB369_10 Depth=1
	s_or_b32 exec_lo, exec_lo, s26
	v_lshlrev_b32_e32 v2, 16, v0
	v_lshlrev_b32_e32 v3, 20, v32
	v_lshl_add_u32 v1, v1, 23, 0x3c000000
	v_and_b32_e32 v2, 0x80000000, v2
	v_or3_b32 v21, v3, v2, v1
.LBB369_120:                            ;   in Loop: Header=BB369_10 Depth=1
	s_or_b32 exec_lo, exec_lo, s25
.LBB369_121:                            ;   in Loop: Header=BB369_10 Depth=1
	s_or_b32 exec_lo, exec_lo, s24
.LBB369_122:                            ;   in Loop: Header=BB369_10 Depth=1
	s_or_b32 exec_lo, exec_lo, s17
	v_mov_b32_e32 v1, 0xff
	v_mov_b32_e32 v2, 0
	s_mov_b32 s17, exec_lo
	v_and_b32_sdwa v1, v0, v1 dst_sel:DWORD dst_unused:UNUSED_PAD src0_sel:WORD_1 src1_sel:DWORD
	buffer_store_dword v2, off, s[0:3], s32 offset:212 ; 4-byte Folded Spill
	v_mov_b32_e32 v2, 0
	buffer_store_dword v2, off, s[0:3], s32 offset:240 ; 4-byte Folded Spill
	v_cmpx_ne_u16_e32 0, v1
	s_cbranch_execz .LBB369_130
; %bb.123:                              ;   in Loop: Header=BB369_10 Depth=1
	v_cmp_ne_u16_e64 s7, 0x80, v1
	v_bfrev_b32_e32 v1, 1
	s_and_saveexec_b32 s24, s7
	s_cbranch_execz .LBB369_129
; %bb.124:                              ;   in Loop: Header=BB369_10 Depth=1
	v_bfe_u32 v2, v0, 16, 7
	v_mov_b32_e32 v1, 0x7f800001
	s_mov_b32 s25, exec_lo
	v_cmpx_ne_u32_e32 0x7f, v2
	s_cbranch_execz .LBB369_128
; %bb.125:                              ;   in Loop: Header=BB369_10 Depth=1
	v_mov_b32_e32 v1, 7
	s_mov_b32 s26, exec_lo
	v_and_b32_sdwa v125, v0, v1 dst_sel:DWORD dst_unused:UNUSED_PAD src0_sel:WORD_1 src1_sel:DWORD
	v_lshrrev_b32_e32 v1, 3, v2
	v_mov_b32_e32 v32, v125
	v_mov_b32_e32 v33, v126
	v_cmpx_gt_u32_e32 8, v2
; %bb.126:                              ;   in Loop: Header=BB369_10 Depth=1
	v_ffbh_u32_e32 v1, v125
	v_min_u32_e32 v1, 32, v1
	v_subrev_nc_u32_e32 v2, 28, v1
	v_sub_nc_u32_e32 v1, 29, v1
	v_lshlrev_b64 v[2:3], v2, v[125:126]
	v_and_b32_e32 v32, 7, v2
; %bb.127:                              ;   in Loop: Header=BB369_10 Depth=1
	s_or_b32 exec_lo, exec_lo, s26
	v_mov_b32_e32 v2, 24
	v_lshlrev_b32_e32 v3, 20, v32
	v_lshl_add_u32 v1, v1, 23, 0x3c000000
	v_lshlrev_b32_sdwa v2, v2, v0 dst_sel:DWORD dst_unused:UNUSED_PAD src0_sel:DWORD src1_sel:WORD_1
	v_and_b32_e32 v2, 0x80000000, v2
	v_or3_b32 v1, v3, v2, v1
.LBB369_128:                            ;   in Loop: Header=BB369_10 Depth=1
	s_or_b32 exec_lo, exec_lo, s25
.LBB369_129:                            ;   in Loop: Header=BB369_10 Depth=1
	s_or_b32 exec_lo, exec_lo, s24
	buffer_store_dword v1, off, s[0:3], s32 offset:240 ; 4-byte Folded Spill
.LBB369_130:                            ;   in Loop: Header=BB369_10 Depth=1
	s_or_b32 exec_lo, exec_lo, s17
	s_mov_b32 s17, exec_lo
	v_cmpx_lt_u32_e32 0xffffff, v0
	s_cbranch_execz .LBB369_138
; %bb.131:                              ;   in Loop: Header=BB369_10 Depth=1
	v_mov_b32_e32 v1, 0x80
	v_cmp_ne_u32_sdwa s7, v0, v1 src0_sel:BYTE_3 src1_sel:DWORD
	v_bfrev_b32_e32 v1, 1
	buffer_store_dword v1, off, s[0:3], s32 offset:212 ; 4-byte Folded Spill
	s_and_saveexec_b32 s24, s7
	s_cbranch_execz .LBB369_137
; %bb.132:                              ;   in Loop: Header=BB369_10 Depth=1
	v_bfe_u32 v2, v0, 24, 7
	v_mov_b32_e32 v1, 0x7f800001
	s_mov_b32 s25, exec_lo
	buffer_store_dword v1, off, s[0:3], s32 offset:212 ; 4-byte Folded Spill
	v_cmpx_ne_u32_e32 0x7f, v2
	s_cbranch_execz .LBB369_136
; %bb.133:                              ;   in Loop: Header=BB369_10 Depth=1
	v_mov_b32_e32 v1, 7
	s_mov_b32 s26, exec_lo
	v_and_b32_sdwa v125, v0, v1 dst_sel:DWORD dst_unused:UNUSED_PAD src0_sel:BYTE_3 src1_sel:DWORD
	v_lshrrev_b32_e32 v1, 3, v2
	v_mov_b32_e32 v32, v125
	v_mov_b32_e32 v33, v126
	v_cmpx_gt_u32_e32 8, v2
; %bb.134:                              ;   in Loop: Header=BB369_10 Depth=1
	v_ffbh_u32_e32 v1, v125
	v_min_u32_e32 v1, 32, v1
	v_subrev_nc_u32_e32 v2, 28, v1
	v_sub_nc_u32_e32 v1, 29, v1
	v_lshlrev_b64 v[2:3], v2, v[125:126]
	v_and_b32_e32 v32, 7, v2
; %bb.135:                              ;   in Loop: Header=BB369_10 Depth=1
	s_or_b32 exec_lo, exec_lo, s26
	v_mov_b32_e32 v2, 24
	v_lshl_add_u32 v1, v1, 23, 0x3c000000
	v_lshlrev_b32_sdwa v0, v2, v0 dst_sel:DWORD dst_unused:UNUSED_PAD src0_sel:DWORD src1_sel:BYTE_3
	v_lshlrev_b32_e32 v2, 20, v32
	v_and_b32_e32 v0, 0x80000000, v0
	v_or3_b32 v0, v2, v0, v1
	buffer_store_dword v0, off, s[0:3], s32 offset:212 ; 4-byte Folded Spill
.LBB369_136:                            ;   in Loop: Header=BB369_10 Depth=1
	s_or_b32 exec_lo, exec_lo, s25
.LBB369_137:                            ;   in Loop: Header=BB369_10 Depth=1
	s_or_b32 exec_lo, exec_lo, s24
.LBB369_138:                            ;   in Loop: Header=BB369_10 Depth=1
	s_or_b32 exec_lo, exec_lo, s17
	flat_load_dword v0, v[30:31] offset:512
	v_mov_b32_e32 v1, 0
	buffer_store_dword v1, off, s[0:3], s32 offset:220 ; 4-byte Folded Spill
	v_mov_b32_e32 v1, 0
	buffer_store_dword v1, off, s[0:3], s32 offset:216 ; 4-byte Folded Spill
	s_waitcnt vmcnt(0) lgkmcnt(0)
	v_cmp_ne_u16_sdwa s7, v0, v126 src0_sel:BYTE_0 src1_sel:DWORD
	s_and_saveexec_b32 s17, s7
	s_cbranch_execz .LBB369_146
; %bb.139:                              ;   in Loop: Header=BB369_10 Depth=1
	v_mov_b32_e32 v1, 0x80
	v_cmp_ne_u16_sdwa s7, v0, v1 src0_sel:BYTE_0 src1_sel:DWORD
	v_bfrev_b32_e32 v1, 1
	buffer_store_dword v1, off, s[0:3], s32 offset:216 ; 4-byte Folded Spill
	s_and_saveexec_b32 s24, s7
	s_cbranch_execz .LBB369_145
; %bb.140:                              ;   in Loop: Header=BB369_10 Depth=1
	v_and_b32_e32 v2, 0x7f, v0
	v_mov_b32_e32 v1, 0x7f800001
	s_mov_b32 s25, exec_lo
	buffer_store_dword v1, off, s[0:3], s32 offset:216 ; 4-byte Folded Spill
	v_cmpx_ne_u32_e32 0x7f, v2
	s_cbranch_execz .LBB369_144
; %bb.141:                              ;   in Loop: Header=BB369_10 Depth=1
	v_and_b32_e32 v125, 7, v0
	v_lshrrev_b32_e32 v1, 3, v2
	s_mov_b32 s26, exec_lo
	v_mov_b32_e32 v32, v125
	v_mov_b32_e32 v33, v126
	v_cmpx_gt_u32_e32 8, v2
; %bb.142:                              ;   in Loop: Header=BB369_10 Depth=1
	v_ffbh_u32_e32 v1, v125
	v_min_u32_e32 v1, 32, v1
	v_subrev_nc_u32_e32 v2, 28, v1
	v_sub_nc_u32_e32 v1, 29, v1
	v_lshlrev_b64 v[2:3], v2, v[125:126]
	v_and_b32_e32 v32, 7, v2
; %bb.143:                              ;   in Loop: Header=BB369_10 Depth=1
	s_or_b32 exec_lo, exec_lo, s26
	v_lshlrev_b32_e32 v2, 24, v0
	v_lshlrev_b32_e32 v3, 20, v32
	v_lshl_add_u32 v1, v1, 23, 0x3c000000
	v_and_b32_e32 v2, 0x80000000, v2
	v_or3_b32 v1, v3, v2, v1
	buffer_store_dword v1, off, s[0:3], s32 offset:216 ; 4-byte Folded Spill
.LBB369_144:                            ;   in Loop: Header=BB369_10 Depth=1
	s_or_b32 exec_lo, exec_lo, s25
.LBB369_145:                            ;   in Loop: Header=BB369_10 Depth=1
	s_or_b32 exec_lo, exec_lo, s24
.LBB369_146:                            ;   in Loop: Header=BB369_10 Depth=1
	s_or_b32 exec_lo, exec_lo, s17
	v_cmp_ne_u16_sdwa s7, v0, v126 src0_sel:BYTE_1 src1_sel:DWORD
	s_and_saveexec_b32 s17, s7
	s_cbranch_execz .LBB369_154
; %bb.147:                              ;   in Loop: Header=BB369_10 Depth=1
	v_mov_b32_e32 v1, 0x80
	v_cmp_ne_u16_sdwa s7, v0, v1 src0_sel:BYTE_1 src1_sel:DWORD
	v_bfrev_b32_e32 v1, 1
	buffer_store_dword v1, off, s[0:3], s32 offset:220 ; 4-byte Folded Spill
	s_and_saveexec_b32 s24, s7
	s_cbranch_execz .LBB369_153
; %bb.148:                              ;   in Loop: Header=BB369_10 Depth=1
	v_mov_b32_e32 v1, 0xffff
	v_mov_b32_e32 v3, 0x7f800001
	s_mov_b32 s25, exec_lo
	v_and_b32_sdwa v1, v1, v0 dst_sel:DWORD dst_unused:UNUSED_PAD src0_sel:DWORD src1_sel:BYTE_1
	buffer_store_dword v3, off, s[0:3], s32 offset:220 ; 4-byte Folded Spill
	v_and_b32_e32 v2, 0x7f, v1
	v_cmpx_ne_u32_e32 0x7f, v2
	s_cbranch_execz .LBB369_152
; %bb.149:                              ;   in Loop: Header=BB369_10 Depth=1
	v_and_b32_e32 v125, 7, v1
	v_lshrrev_b32_e32 v1, 3, v2
	s_mov_b32 s26, exec_lo
	v_mov_b32_e32 v32, v125
	v_mov_b32_e32 v33, v126
	v_cmpx_gt_u32_e32 8, v2
; %bb.150:                              ;   in Loop: Header=BB369_10 Depth=1
	v_ffbh_u32_e32 v1, v125
	v_min_u32_e32 v1, 32, v1
	v_subrev_nc_u32_e32 v2, 28, v1
	v_sub_nc_u32_e32 v1, 29, v1
	v_lshlrev_b64 v[2:3], v2, v[125:126]
	v_and_b32_e32 v32, 7, v2
; %bb.151:                              ;   in Loop: Header=BB369_10 Depth=1
	s_or_b32 exec_lo, exec_lo, s26
	v_lshlrev_b32_e32 v2, 16, v0
	v_lshlrev_b32_e32 v3, 20, v32
	v_lshl_add_u32 v1, v1, 23, 0x3c000000
	v_and_b32_e32 v2, 0x80000000, v2
	v_or3_b32 v1, v3, v2, v1
	buffer_store_dword v1, off, s[0:3], s32 offset:220 ; 4-byte Folded Spill
.LBB369_152:                            ;   in Loop: Header=BB369_10 Depth=1
	s_or_b32 exec_lo, exec_lo, s25
.LBB369_153:                            ;   in Loop: Header=BB369_10 Depth=1
	s_or_b32 exec_lo, exec_lo, s24
.LBB369_154:                            ;   in Loop: Header=BB369_10 Depth=1
	s_or_b32 exec_lo, exec_lo, s17
	v_mov_b32_e32 v1, 0xff
	v_mov_b32_e32 v2, 0
	s_mov_b32 s17, exec_lo
	v_and_b32_sdwa v1, v0, v1 dst_sel:DWORD dst_unused:UNUSED_PAD src0_sel:WORD_1 src1_sel:DWORD
	buffer_store_dword v2, off, s[0:3], s32 offset:224 ; 4-byte Folded Spill
	v_mov_b32_e32 v2, 0
	buffer_store_dword v2, off, s[0:3], s32 offset:244 ; 4-byte Folded Spill
	v_cmpx_ne_u16_e32 0, v1
	s_cbranch_execz .LBB369_162
; %bb.155:                              ;   in Loop: Header=BB369_10 Depth=1
	v_cmp_ne_u16_e64 s7, 0x80, v1
	v_bfrev_b32_e32 v1, 1
	s_and_saveexec_b32 s24, s7
	s_cbranch_execz .LBB369_161
; %bb.156:                              ;   in Loop: Header=BB369_10 Depth=1
	v_bfe_u32 v2, v0, 16, 7
	v_mov_b32_e32 v1, 0x7f800001
	s_mov_b32 s25, exec_lo
	v_cmpx_ne_u32_e32 0x7f, v2
	s_cbranch_execz .LBB369_160
; %bb.157:                              ;   in Loop: Header=BB369_10 Depth=1
	v_mov_b32_e32 v1, 7
	s_mov_b32 s26, exec_lo
	v_and_b32_sdwa v125, v0, v1 dst_sel:DWORD dst_unused:UNUSED_PAD src0_sel:WORD_1 src1_sel:DWORD
	v_lshrrev_b32_e32 v1, 3, v2
	v_mov_b32_e32 v32, v125
	v_mov_b32_e32 v33, v126
	v_cmpx_gt_u32_e32 8, v2
; %bb.158:                              ;   in Loop: Header=BB369_10 Depth=1
	v_ffbh_u32_e32 v1, v125
	v_min_u32_e32 v1, 32, v1
	v_subrev_nc_u32_e32 v2, 28, v1
	v_sub_nc_u32_e32 v1, 29, v1
	v_lshlrev_b64 v[2:3], v2, v[125:126]
	v_and_b32_e32 v32, 7, v2
; %bb.159:                              ;   in Loop: Header=BB369_10 Depth=1
	s_or_b32 exec_lo, exec_lo, s26
	v_mov_b32_e32 v2, 24
	v_lshlrev_b32_e32 v3, 20, v32
	v_lshl_add_u32 v1, v1, 23, 0x3c000000
	v_lshlrev_b32_sdwa v2, v2, v0 dst_sel:DWORD dst_unused:UNUSED_PAD src0_sel:DWORD src1_sel:WORD_1
	v_and_b32_e32 v2, 0x80000000, v2
	v_or3_b32 v1, v3, v2, v1
.LBB369_160:                            ;   in Loop: Header=BB369_10 Depth=1
	s_or_b32 exec_lo, exec_lo, s25
.LBB369_161:                            ;   in Loop: Header=BB369_10 Depth=1
	s_or_b32 exec_lo, exec_lo, s24
	buffer_store_dword v1, off, s[0:3], s32 offset:244 ; 4-byte Folded Spill
.LBB369_162:                            ;   in Loop: Header=BB369_10 Depth=1
	s_or_b32 exec_lo, exec_lo, s17
	s_mov_b32 s17, exec_lo
	v_cmpx_lt_u32_e32 0xffffff, v0
	s_cbranch_execz .LBB369_170
; %bb.163:                              ;   in Loop: Header=BB369_10 Depth=1
	v_mov_b32_e32 v1, 0x80
	v_cmp_ne_u32_sdwa s7, v0, v1 src0_sel:BYTE_3 src1_sel:DWORD
	v_bfrev_b32_e32 v1, 1
	buffer_store_dword v1, off, s[0:3], s32 offset:224 ; 4-byte Folded Spill
	s_and_saveexec_b32 s24, s7
	s_cbranch_execz .LBB369_169
; %bb.164:                              ;   in Loop: Header=BB369_10 Depth=1
	v_bfe_u32 v2, v0, 24, 7
	v_mov_b32_e32 v1, 0x7f800001
	s_mov_b32 s25, exec_lo
	buffer_store_dword v1, off, s[0:3], s32 offset:224 ; 4-byte Folded Spill
	v_cmpx_ne_u32_e32 0x7f, v2
	s_cbranch_execz .LBB369_168
; %bb.165:                              ;   in Loop: Header=BB369_10 Depth=1
	v_mov_b32_e32 v1, 7
	s_mov_b32 s26, exec_lo
	v_and_b32_sdwa v125, v0, v1 dst_sel:DWORD dst_unused:UNUSED_PAD src0_sel:BYTE_3 src1_sel:DWORD
	v_lshrrev_b32_e32 v1, 3, v2
	v_mov_b32_e32 v32, v125
	v_mov_b32_e32 v33, v126
	v_cmpx_gt_u32_e32 8, v2
; %bb.166:                              ;   in Loop: Header=BB369_10 Depth=1
	v_ffbh_u32_e32 v1, v125
	v_min_u32_e32 v1, 32, v1
	v_subrev_nc_u32_e32 v2, 28, v1
	v_sub_nc_u32_e32 v1, 29, v1
	v_lshlrev_b64 v[2:3], v2, v[125:126]
	v_and_b32_e32 v32, 7, v2
; %bb.167:                              ;   in Loop: Header=BB369_10 Depth=1
	s_or_b32 exec_lo, exec_lo, s26
	v_mov_b32_e32 v2, 24
	v_lshl_add_u32 v1, v1, 23, 0x3c000000
	v_lshlrev_b32_sdwa v0, v2, v0 dst_sel:DWORD dst_unused:UNUSED_PAD src0_sel:DWORD src1_sel:BYTE_3
	v_lshlrev_b32_e32 v2, 20, v32
	v_and_b32_e32 v0, 0x80000000, v0
	v_or3_b32 v0, v2, v0, v1
	buffer_store_dword v0, off, s[0:3], s32 offset:224 ; 4-byte Folded Spill
.LBB369_168:                            ;   in Loop: Header=BB369_10 Depth=1
	s_or_b32 exec_lo, exec_lo, s25
.LBB369_169:                            ;   in Loop: Header=BB369_10 Depth=1
	s_or_b32 exec_lo, exec_lo, s24
.LBB369_170:                            ;   in Loop: Header=BB369_10 Depth=1
	s_or_b32 exec_lo, exec_lo, s17
	flat_load_dword v0, v[30:31] offset:520
	v_mov_b32_e32 v63, 0
	v_mov_b32_e32 v62, 0
	s_waitcnt vmcnt(0) lgkmcnt(0)
	v_cmp_ne_u16_sdwa s7, v0, v126 src0_sel:BYTE_0 src1_sel:DWORD
	s_and_saveexec_b32 s17, s7
	s_cbranch_execz .LBB369_178
; %bb.171:                              ;   in Loop: Header=BB369_10 Depth=1
	v_mov_b32_e32 v1, 0x80
	v_bfrev_b32_e32 v62, 1
	v_cmp_ne_u16_sdwa s7, v0, v1 src0_sel:BYTE_0 src1_sel:DWORD
	s_and_saveexec_b32 s24, s7
	s_cbranch_execz .LBB369_177
; %bb.172:                              ;   in Loop: Header=BB369_10 Depth=1
	v_and_b32_e32 v2, 0x7f, v0
	v_mov_b32_e32 v62, 0x7f800001
	s_mov_b32 s25, exec_lo
	v_cmpx_ne_u32_e32 0x7f, v2
	s_cbranch_execz .LBB369_176
; %bb.173:                              ;   in Loop: Header=BB369_10 Depth=1
	v_and_b32_e32 v125, 7, v0
	v_lshrrev_b32_e32 v1, 3, v2
	s_mov_b32 s26, exec_lo
	v_mov_b32_e32 v32, v125
	v_mov_b32_e32 v33, v126
	v_cmpx_gt_u32_e32 8, v2
; %bb.174:                              ;   in Loop: Header=BB369_10 Depth=1
	v_ffbh_u32_e32 v1, v125
	v_min_u32_e32 v1, 32, v1
	v_subrev_nc_u32_e32 v2, 28, v1
	v_sub_nc_u32_e32 v1, 29, v1
	v_lshlrev_b64 v[2:3], v2, v[125:126]
	v_and_b32_e32 v32, 7, v2
; %bb.175:                              ;   in Loop: Header=BB369_10 Depth=1
	s_or_b32 exec_lo, exec_lo, s26
	v_lshlrev_b32_e32 v2, 24, v0
	v_lshlrev_b32_e32 v3, 20, v32
	v_lshl_add_u32 v1, v1, 23, 0x3c000000
	v_and_b32_e32 v2, 0x80000000, v2
	v_or3_b32 v62, v3, v2, v1
.LBB369_176:                            ;   in Loop: Header=BB369_10 Depth=1
	s_or_b32 exec_lo, exec_lo, s25
.LBB369_177:                            ;   in Loop: Header=BB369_10 Depth=1
	s_or_b32 exec_lo, exec_lo, s24
.LBB369_178:                            ;   in Loop: Header=BB369_10 Depth=1
	s_or_b32 exec_lo, exec_lo, s17
	v_cmp_ne_u16_sdwa s7, v0, v126 src0_sel:BYTE_1 src1_sel:DWORD
	s_and_saveexec_b32 s17, s7
	s_cbranch_execz .LBB369_186
; %bb.179:                              ;   in Loop: Header=BB369_10 Depth=1
	v_mov_b32_e32 v1, 0x80
	v_bfrev_b32_e32 v63, 1
	v_cmp_ne_u16_sdwa s7, v0, v1 src0_sel:BYTE_1 src1_sel:DWORD
	s_and_saveexec_b32 s24, s7
	s_cbranch_execz .LBB369_185
; %bb.180:                              ;   in Loop: Header=BB369_10 Depth=1
	v_mov_b32_e32 v1, 0xffff
	v_mov_b32_e32 v63, 0x7f800001
	s_mov_b32 s25, exec_lo
	v_and_b32_sdwa v1, v1, v0 dst_sel:DWORD dst_unused:UNUSED_PAD src0_sel:DWORD src1_sel:BYTE_1
	v_and_b32_e32 v2, 0x7f, v1
	v_cmpx_ne_u32_e32 0x7f, v2
	s_cbranch_execz .LBB369_184
; %bb.181:                              ;   in Loop: Header=BB369_10 Depth=1
	v_and_b32_e32 v125, 7, v1
	v_lshrrev_b32_e32 v1, 3, v2
	s_mov_b32 s26, exec_lo
	v_mov_b32_e32 v32, v125
	v_mov_b32_e32 v33, v126
	v_cmpx_gt_u32_e32 8, v2
; %bb.182:                              ;   in Loop: Header=BB369_10 Depth=1
	v_ffbh_u32_e32 v1, v125
	v_min_u32_e32 v1, 32, v1
	v_subrev_nc_u32_e32 v2, 28, v1
	v_sub_nc_u32_e32 v1, 29, v1
	v_lshlrev_b64 v[2:3], v2, v[125:126]
	v_and_b32_e32 v32, 7, v2
; %bb.183:                              ;   in Loop: Header=BB369_10 Depth=1
	s_or_b32 exec_lo, exec_lo, s26
	v_lshlrev_b32_e32 v2, 16, v0
	v_lshlrev_b32_e32 v3, 20, v32
	v_lshl_add_u32 v1, v1, 23, 0x3c000000
	v_and_b32_e32 v2, 0x80000000, v2
	v_or3_b32 v63, v3, v2, v1
.LBB369_184:                            ;   in Loop: Header=BB369_10 Depth=1
	s_or_b32 exec_lo, exec_lo, s25
.LBB369_185:                            ;   in Loop: Header=BB369_10 Depth=1
	s_or_b32 exec_lo, exec_lo, s24
.LBB369_186:                            ;   in Loop: Header=BB369_10 Depth=1
	s_or_b32 exec_lo, exec_lo, s17
	v_mov_b32_e32 v1, 0xff
	v_mov_b32_e32 v72, 0
	;; [unrolled: 1-line block ×3, first 2 shown]
	s_mov_b32 s17, exec_lo
	v_and_b32_sdwa v1, v0, v1 dst_sel:DWORD dst_unused:UNUSED_PAD src0_sel:WORD_1 src1_sel:DWORD
	v_cmpx_ne_u16_e32 0, v1
	s_cbranch_execz .LBB369_194
; %bb.187:                              ;   in Loop: Header=BB369_10 Depth=1
	v_bfrev_b32_e32 v73, 1
	s_mov_b32 s24, exec_lo
	v_cmpx_ne_u16_e32 0x80, v1
	s_cbranch_execz .LBB369_193
; %bb.188:                              ;   in Loop: Header=BB369_10 Depth=1
	v_bfe_u32 v2, v0, 16, 7
	v_mov_b32_e32 v73, 0x7f800001
	s_mov_b32 s25, exec_lo
	v_cmpx_ne_u32_e32 0x7f, v2
	s_cbranch_execz .LBB369_192
; %bb.189:                              ;   in Loop: Header=BB369_10 Depth=1
	v_mov_b32_e32 v1, 7
	s_mov_b32 s26, exec_lo
	v_and_b32_sdwa v125, v0, v1 dst_sel:DWORD dst_unused:UNUSED_PAD src0_sel:WORD_1 src1_sel:DWORD
	v_lshrrev_b32_e32 v1, 3, v2
	v_mov_b32_e32 v32, v125
	v_mov_b32_e32 v33, v126
	v_cmpx_gt_u32_e32 8, v2
; %bb.190:                              ;   in Loop: Header=BB369_10 Depth=1
	v_ffbh_u32_e32 v1, v125
	v_min_u32_e32 v1, 32, v1
	v_subrev_nc_u32_e32 v2, 28, v1
	v_sub_nc_u32_e32 v1, 29, v1
	v_lshlrev_b64 v[2:3], v2, v[125:126]
	v_and_b32_e32 v32, 7, v2
; %bb.191:                              ;   in Loop: Header=BB369_10 Depth=1
	s_or_b32 exec_lo, exec_lo, s26
	v_mov_b32_e32 v2, 24
	v_lshlrev_b32_e32 v3, 20, v32
	v_lshl_add_u32 v1, v1, 23, 0x3c000000
	v_lshlrev_b32_sdwa v2, v2, v0 dst_sel:DWORD dst_unused:UNUSED_PAD src0_sel:DWORD src1_sel:WORD_1
	v_and_b32_e32 v2, 0x80000000, v2
	v_or3_b32 v73, v3, v2, v1
.LBB369_192:                            ;   in Loop: Header=BB369_10 Depth=1
	s_or_b32 exec_lo, exec_lo, s25
.LBB369_193:                            ;   in Loop: Header=BB369_10 Depth=1
	s_or_b32 exec_lo, exec_lo, s24
.LBB369_194:                            ;   in Loop: Header=BB369_10 Depth=1
	s_or_b32 exec_lo, exec_lo, s17
	s_mov_b32 s17, exec_lo
	v_cmpx_lt_u32_e32 0xffffff, v0
	s_cbranch_execz .LBB369_202
; %bb.195:                              ;   in Loop: Header=BB369_10 Depth=1
	v_mov_b32_e32 v1, 0x80
	v_bfrev_b32_e32 v72, 1
	v_cmp_ne_u32_sdwa s7, v0, v1 src0_sel:BYTE_3 src1_sel:DWORD
	s_and_saveexec_b32 s24, s7
	s_cbranch_execz .LBB369_201
; %bb.196:                              ;   in Loop: Header=BB369_10 Depth=1
	v_bfe_u32 v2, v0, 24, 7
	v_mov_b32_e32 v72, 0x7f800001
	s_mov_b32 s25, exec_lo
	v_cmpx_ne_u32_e32 0x7f, v2
	s_cbranch_execz .LBB369_200
; %bb.197:                              ;   in Loop: Header=BB369_10 Depth=1
	v_mov_b32_e32 v1, 7
	s_mov_b32 s26, exec_lo
	v_and_b32_sdwa v125, v0, v1 dst_sel:DWORD dst_unused:UNUSED_PAD src0_sel:BYTE_3 src1_sel:DWORD
	v_lshrrev_b32_e32 v1, 3, v2
	v_mov_b32_e32 v32, v125
	v_mov_b32_e32 v33, v126
	v_cmpx_gt_u32_e32 8, v2
; %bb.198:                              ;   in Loop: Header=BB369_10 Depth=1
	v_ffbh_u32_e32 v1, v125
	v_min_u32_e32 v1, 32, v1
	v_subrev_nc_u32_e32 v2, 28, v1
	v_sub_nc_u32_e32 v1, 29, v1
	v_lshlrev_b64 v[2:3], v2, v[125:126]
	v_and_b32_e32 v32, 7, v2
; %bb.199:                              ;   in Loop: Header=BB369_10 Depth=1
	s_or_b32 exec_lo, exec_lo, s26
	v_mov_b32_e32 v2, 24
	v_lshl_add_u32 v1, v1, 23, 0x3c000000
	v_lshlrev_b32_sdwa v0, v2, v0 dst_sel:DWORD dst_unused:UNUSED_PAD src0_sel:DWORD src1_sel:BYTE_3
	v_lshlrev_b32_e32 v2, 20, v32
	v_and_b32_e32 v0, 0x80000000, v0
	v_or3_b32 v72, v2, v0, v1
.LBB369_200:                            ;   in Loop: Header=BB369_10 Depth=1
	s_or_b32 exec_lo, exec_lo, s25
.LBB369_201:                            ;   in Loop: Header=BB369_10 Depth=1
	s_or_b32 exec_lo, exec_lo, s24
.LBB369_202:                            ;   in Loop: Header=BB369_10 Depth=1
	s_or_b32 exec_lo, exec_lo, s17
	flat_load_dword v0, v[30:31] offset:768
	v_mov_b32_e32 v75, 0
	v_mov_b32_e32 v74, 0
	s_waitcnt vmcnt(0) lgkmcnt(0)
	v_cmp_ne_u16_sdwa s7, v0, v126 src0_sel:BYTE_0 src1_sel:DWORD
	s_and_saveexec_b32 s17, s7
	s_cbranch_execz .LBB369_210
; %bb.203:                              ;   in Loop: Header=BB369_10 Depth=1
	v_mov_b32_e32 v1, 0x80
	v_bfrev_b32_e32 v74, 1
	v_cmp_ne_u16_sdwa s7, v0, v1 src0_sel:BYTE_0 src1_sel:DWORD
	s_and_saveexec_b32 s24, s7
	s_cbranch_execz .LBB369_209
; %bb.204:                              ;   in Loop: Header=BB369_10 Depth=1
	v_and_b32_e32 v2, 0x7f, v0
	v_mov_b32_e32 v74, 0x7f800001
	s_mov_b32 s25, exec_lo
	v_cmpx_ne_u32_e32 0x7f, v2
	s_cbranch_execz .LBB369_208
; %bb.205:                              ;   in Loop: Header=BB369_10 Depth=1
	v_and_b32_e32 v125, 7, v0
	v_lshrrev_b32_e32 v1, 3, v2
	s_mov_b32 s26, exec_lo
	v_mov_b32_e32 v32, v125
	v_mov_b32_e32 v33, v126
	v_cmpx_gt_u32_e32 8, v2
; %bb.206:                              ;   in Loop: Header=BB369_10 Depth=1
	v_ffbh_u32_e32 v1, v125
	v_min_u32_e32 v1, 32, v1
	v_subrev_nc_u32_e32 v2, 28, v1
	v_sub_nc_u32_e32 v1, 29, v1
	v_lshlrev_b64 v[2:3], v2, v[125:126]
	v_and_b32_e32 v32, 7, v2
; %bb.207:                              ;   in Loop: Header=BB369_10 Depth=1
	s_or_b32 exec_lo, exec_lo, s26
	v_lshlrev_b32_e32 v2, 24, v0
	v_lshlrev_b32_e32 v3, 20, v32
	v_lshl_add_u32 v1, v1, 23, 0x3c000000
	v_and_b32_e32 v2, 0x80000000, v2
	v_or3_b32 v74, v3, v2, v1
.LBB369_208:                            ;   in Loop: Header=BB369_10 Depth=1
	s_or_b32 exec_lo, exec_lo, s25
.LBB369_209:                            ;   in Loop: Header=BB369_10 Depth=1
	s_or_b32 exec_lo, exec_lo, s24
.LBB369_210:                            ;   in Loop: Header=BB369_10 Depth=1
	s_or_b32 exec_lo, exec_lo, s17
	v_cmp_ne_u16_sdwa s7, v0, v126 src0_sel:BYTE_1 src1_sel:DWORD
	s_and_saveexec_b32 s17, s7
	s_cbranch_execz .LBB369_218
; %bb.211:                              ;   in Loop: Header=BB369_10 Depth=1
	v_mov_b32_e32 v1, 0x80
	v_bfrev_b32_e32 v75, 1
	v_cmp_ne_u16_sdwa s7, v0, v1 src0_sel:BYTE_1 src1_sel:DWORD
	s_and_saveexec_b32 s24, s7
	s_cbranch_execz .LBB369_217
; %bb.212:                              ;   in Loop: Header=BB369_10 Depth=1
	v_mov_b32_e32 v1, 0xffff
	v_mov_b32_e32 v75, 0x7f800001
	s_mov_b32 s25, exec_lo
	v_and_b32_sdwa v1, v1, v0 dst_sel:DWORD dst_unused:UNUSED_PAD src0_sel:DWORD src1_sel:BYTE_1
	v_and_b32_e32 v2, 0x7f, v1
	v_cmpx_ne_u32_e32 0x7f, v2
	s_cbranch_execz .LBB369_216
; %bb.213:                              ;   in Loop: Header=BB369_10 Depth=1
	v_and_b32_e32 v125, 7, v1
	v_lshrrev_b32_e32 v1, 3, v2
	s_mov_b32 s26, exec_lo
	v_mov_b32_e32 v32, v125
	v_mov_b32_e32 v33, v126
	v_cmpx_gt_u32_e32 8, v2
; %bb.214:                              ;   in Loop: Header=BB369_10 Depth=1
	v_ffbh_u32_e32 v1, v125
	v_min_u32_e32 v1, 32, v1
	v_subrev_nc_u32_e32 v2, 28, v1
	v_sub_nc_u32_e32 v1, 29, v1
	v_lshlrev_b64 v[2:3], v2, v[125:126]
	v_and_b32_e32 v32, 7, v2
; %bb.215:                              ;   in Loop: Header=BB369_10 Depth=1
	s_or_b32 exec_lo, exec_lo, s26
	v_lshlrev_b32_e32 v2, 16, v0
	v_lshlrev_b32_e32 v3, 20, v32
	v_lshl_add_u32 v1, v1, 23, 0x3c000000
	v_and_b32_e32 v2, 0x80000000, v2
	v_or3_b32 v75, v3, v2, v1
.LBB369_216:                            ;   in Loop: Header=BB369_10 Depth=1
	s_or_b32 exec_lo, exec_lo, s25
.LBB369_217:                            ;   in Loop: Header=BB369_10 Depth=1
	s_or_b32 exec_lo, exec_lo, s24
.LBB369_218:                            ;   in Loop: Header=BB369_10 Depth=1
	s_or_b32 exec_lo, exec_lo, s17
	v_mov_b32_e32 v1, 0xff
	v_mov_b32_e32 v76, 0
	v_mov_b32_e32 v77, 0
	s_mov_b32 s17, exec_lo
	v_and_b32_sdwa v1, v0, v1 dst_sel:DWORD dst_unused:UNUSED_PAD src0_sel:WORD_1 src1_sel:DWORD
	v_cmpx_ne_u16_e32 0, v1
	s_cbranch_execz .LBB369_226
; %bb.219:                              ;   in Loop: Header=BB369_10 Depth=1
	v_bfrev_b32_e32 v77, 1
	s_mov_b32 s24, exec_lo
	v_cmpx_ne_u16_e32 0x80, v1
	s_cbranch_execz .LBB369_225
; %bb.220:                              ;   in Loop: Header=BB369_10 Depth=1
	v_bfe_u32 v2, v0, 16, 7
	v_mov_b32_e32 v77, 0x7f800001
	s_mov_b32 s25, exec_lo
	v_cmpx_ne_u32_e32 0x7f, v2
	s_cbranch_execz .LBB369_224
; %bb.221:                              ;   in Loop: Header=BB369_10 Depth=1
	v_mov_b32_e32 v1, 7
	s_mov_b32 s26, exec_lo
	v_and_b32_sdwa v125, v0, v1 dst_sel:DWORD dst_unused:UNUSED_PAD src0_sel:WORD_1 src1_sel:DWORD
	v_lshrrev_b32_e32 v1, 3, v2
	v_mov_b32_e32 v32, v125
	v_mov_b32_e32 v33, v126
	v_cmpx_gt_u32_e32 8, v2
; %bb.222:                              ;   in Loop: Header=BB369_10 Depth=1
	v_ffbh_u32_e32 v1, v125
	v_min_u32_e32 v1, 32, v1
	v_subrev_nc_u32_e32 v2, 28, v1
	v_sub_nc_u32_e32 v1, 29, v1
	v_lshlrev_b64 v[2:3], v2, v[125:126]
	v_and_b32_e32 v32, 7, v2
; %bb.223:                              ;   in Loop: Header=BB369_10 Depth=1
	s_or_b32 exec_lo, exec_lo, s26
	v_mov_b32_e32 v2, 24
	v_lshlrev_b32_e32 v3, 20, v32
	v_lshl_add_u32 v1, v1, 23, 0x3c000000
	v_lshlrev_b32_sdwa v2, v2, v0 dst_sel:DWORD dst_unused:UNUSED_PAD src0_sel:DWORD src1_sel:WORD_1
	v_and_b32_e32 v2, 0x80000000, v2
	v_or3_b32 v77, v3, v2, v1
.LBB369_224:                            ;   in Loop: Header=BB369_10 Depth=1
	s_or_b32 exec_lo, exec_lo, s25
.LBB369_225:                            ;   in Loop: Header=BB369_10 Depth=1
	s_or_b32 exec_lo, exec_lo, s24
.LBB369_226:                            ;   in Loop: Header=BB369_10 Depth=1
	s_or_b32 exec_lo, exec_lo, s17
	s_mov_b32 s17, exec_lo
	v_cmpx_lt_u32_e32 0xffffff, v0
	s_cbranch_execz .LBB369_234
; %bb.227:                              ;   in Loop: Header=BB369_10 Depth=1
	v_mov_b32_e32 v1, 0x80
	v_bfrev_b32_e32 v76, 1
	v_cmp_ne_u32_sdwa s7, v0, v1 src0_sel:BYTE_3 src1_sel:DWORD
	s_and_saveexec_b32 s24, s7
	s_cbranch_execz .LBB369_233
; %bb.228:                              ;   in Loop: Header=BB369_10 Depth=1
	v_bfe_u32 v2, v0, 24, 7
	v_mov_b32_e32 v76, 0x7f800001
	s_mov_b32 s25, exec_lo
	v_cmpx_ne_u32_e32 0x7f, v2
	s_cbranch_execz .LBB369_232
; %bb.229:                              ;   in Loop: Header=BB369_10 Depth=1
	v_mov_b32_e32 v1, 7
	s_mov_b32 s26, exec_lo
	v_and_b32_sdwa v125, v0, v1 dst_sel:DWORD dst_unused:UNUSED_PAD src0_sel:BYTE_3 src1_sel:DWORD
	v_lshrrev_b32_e32 v1, 3, v2
	v_mov_b32_e32 v32, v125
	v_mov_b32_e32 v33, v126
	v_cmpx_gt_u32_e32 8, v2
; %bb.230:                              ;   in Loop: Header=BB369_10 Depth=1
	v_ffbh_u32_e32 v1, v125
	v_min_u32_e32 v1, 32, v1
	v_subrev_nc_u32_e32 v2, 28, v1
	v_sub_nc_u32_e32 v1, 29, v1
	v_lshlrev_b64 v[2:3], v2, v[125:126]
	v_and_b32_e32 v32, 7, v2
; %bb.231:                              ;   in Loop: Header=BB369_10 Depth=1
	s_or_b32 exec_lo, exec_lo, s26
	v_mov_b32_e32 v2, 24
	v_lshl_add_u32 v1, v1, 23, 0x3c000000
	v_lshlrev_b32_sdwa v0, v2, v0 dst_sel:DWORD dst_unused:UNUSED_PAD src0_sel:DWORD src1_sel:BYTE_3
	v_lshlrev_b32_e32 v2, 20, v32
	v_and_b32_e32 v0, 0x80000000, v0
	v_or3_b32 v76, v2, v0, v1
.LBB369_232:                            ;   in Loop: Header=BB369_10 Depth=1
	s_or_b32 exec_lo, exec_lo, s25
.LBB369_233:                            ;   in Loop: Header=BB369_10 Depth=1
	s_or_b32 exec_lo, exec_lo, s24
.LBB369_234:                            ;   in Loop: Header=BB369_10 Depth=1
	s_or_b32 exec_lo, exec_lo, s17
	flat_load_dword v0, v[30:31] offset:776
	v_mov_b32_e32 v79, 0
	v_mov_b32_e32 v78, 0
	s_waitcnt vmcnt(0) lgkmcnt(0)
	v_cmp_ne_u16_sdwa s7, v0, v126 src0_sel:BYTE_0 src1_sel:DWORD
	s_and_saveexec_b32 s17, s7
	s_cbranch_execz .LBB369_242
; %bb.235:                              ;   in Loop: Header=BB369_10 Depth=1
	v_mov_b32_e32 v1, 0x80
	v_bfrev_b32_e32 v78, 1
	v_cmp_ne_u16_sdwa s7, v0, v1 src0_sel:BYTE_0 src1_sel:DWORD
	s_and_saveexec_b32 s24, s7
	s_cbranch_execz .LBB369_241
; %bb.236:                              ;   in Loop: Header=BB369_10 Depth=1
	v_and_b32_e32 v2, 0x7f, v0
	v_mov_b32_e32 v78, 0x7f800001
	s_mov_b32 s25, exec_lo
	v_cmpx_ne_u32_e32 0x7f, v2
	s_cbranch_execz .LBB369_240
; %bb.237:                              ;   in Loop: Header=BB369_10 Depth=1
	v_and_b32_e32 v125, 7, v0
	v_lshrrev_b32_e32 v1, 3, v2
	s_mov_b32 s26, exec_lo
	v_mov_b32_e32 v32, v125
	v_mov_b32_e32 v33, v126
	v_cmpx_gt_u32_e32 8, v2
; %bb.238:                              ;   in Loop: Header=BB369_10 Depth=1
	v_ffbh_u32_e32 v1, v125
	v_min_u32_e32 v1, 32, v1
	v_subrev_nc_u32_e32 v2, 28, v1
	v_sub_nc_u32_e32 v1, 29, v1
	v_lshlrev_b64 v[2:3], v2, v[125:126]
	v_and_b32_e32 v32, 7, v2
; %bb.239:                              ;   in Loop: Header=BB369_10 Depth=1
	s_or_b32 exec_lo, exec_lo, s26
	v_lshlrev_b32_e32 v2, 24, v0
	v_lshlrev_b32_e32 v3, 20, v32
	v_lshl_add_u32 v1, v1, 23, 0x3c000000
	v_and_b32_e32 v2, 0x80000000, v2
	v_or3_b32 v78, v3, v2, v1
.LBB369_240:                            ;   in Loop: Header=BB369_10 Depth=1
	s_or_b32 exec_lo, exec_lo, s25
.LBB369_241:                            ;   in Loop: Header=BB369_10 Depth=1
	s_or_b32 exec_lo, exec_lo, s24
.LBB369_242:                            ;   in Loop: Header=BB369_10 Depth=1
	s_or_b32 exec_lo, exec_lo, s17
	v_cmp_ne_u16_sdwa s7, v0, v126 src0_sel:BYTE_1 src1_sel:DWORD
	s_and_saveexec_b32 s17, s7
	s_cbranch_execz .LBB369_250
; %bb.243:                              ;   in Loop: Header=BB369_10 Depth=1
	v_mov_b32_e32 v1, 0x80
	v_bfrev_b32_e32 v79, 1
	v_cmp_ne_u16_sdwa s7, v0, v1 src0_sel:BYTE_1 src1_sel:DWORD
	s_and_saveexec_b32 s24, s7
	s_cbranch_execz .LBB369_249
; %bb.244:                              ;   in Loop: Header=BB369_10 Depth=1
	v_mov_b32_e32 v1, 0xffff
	v_mov_b32_e32 v79, 0x7f800001
	s_mov_b32 s25, exec_lo
	v_and_b32_sdwa v1, v1, v0 dst_sel:DWORD dst_unused:UNUSED_PAD src0_sel:DWORD src1_sel:BYTE_1
	v_and_b32_e32 v2, 0x7f, v1
	v_cmpx_ne_u32_e32 0x7f, v2
	s_cbranch_execz .LBB369_248
; %bb.245:                              ;   in Loop: Header=BB369_10 Depth=1
	v_and_b32_e32 v125, 7, v1
	v_lshrrev_b32_e32 v1, 3, v2
	s_mov_b32 s26, exec_lo
	v_mov_b32_e32 v32, v125
	v_mov_b32_e32 v33, v126
	v_cmpx_gt_u32_e32 8, v2
; %bb.246:                              ;   in Loop: Header=BB369_10 Depth=1
	v_ffbh_u32_e32 v1, v125
	v_min_u32_e32 v1, 32, v1
	v_subrev_nc_u32_e32 v2, 28, v1
	v_sub_nc_u32_e32 v1, 29, v1
	v_lshlrev_b64 v[2:3], v2, v[125:126]
	v_and_b32_e32 v32, 7, v2
; %bb.247:                              ;   in Loop: Header=BB369_10 Depth=1
	s_or_b32 exec_lo, exec_lo, s26
	v_lshlrev_b32_e32 v2, 16, v0
	v_lshlrev_b32_e32 v3, 20, v32
	v_lshl_add_u32 v1, v1, 23, 0x3c000000
	v_and_b32_e32 v2, 0x80000000, v2
	v_or3_b32 v79, v3, v2, v1
.LBB369_248:                            ;   in Loop: Header=BB369_10 Depth=1
	s_or_b32 exec_lo, exec_lo, s25
.LBB369_249:                            ;   in Loop: Header=BB369_10 Depth=1
	s_or_b32 exec_lo, exec_lo, s24
.LBB369_250:                            ;   in Loop: Header=BB369_10 Depth=1
	s_or_b32 exec_lo, exec_lo, s17
	v_mov_b32_e32 v1, 0xff
	v_mov_b32_e32 v88, 0
	;; [unrolled: 1-line block ×3, first 2 shown]
	s_mov_b32 s17, exec_lo
	v_and_b32_sdwa v1, v0, v1 dst_sel:DWORD dst_unused:UNUSED_PAD src0_sel:WORD_1 src1_sel:DWORD
	v_cmpx_ne_u16_e32 0, v1
	s_cbranch_execz .LBB369_258
; %bb.251:                              ;   in Loop: Header=BB369_10 Depth=1
	v_bfrev_b32_e32 v89, 1
	s_mov_b32 s24, exec_lo
	v_cmpx_ne_u16_e32 0x80, v1
	s_cbranch_execz .LBB369_257
; %bb.252:                              ;   in Loop: Header=BB369_10 Depth=1
	v_bfe_u32 v2, v0, 16, 7
	v_mov_b32_e32 v89, 0x7f800001
	s_mov_b32 s25, exec_lo
	v_cmpx_ne_u32_e32 0x7f, v2
	s_cbranch_execz .LBB369_256
; %bb.253:                              ;   in Loop: Header=BB369_10 Depth=1
	v_mov_b32_e32 v1, 7
	s_mov_b32 s26, exec_lo
	v_and_b32_sdwa v125, v0, v1 dst_sel:DWORD dst_unused:UNUSED_PAD src0_sel:WORD_1 src1_sel:DWORD
	v_lshrrev_b32_e32 v1, 3, v2
	v_mov_b32_e32 v32, v125
	v_mov_b32_e32 v33, v126
	v_cmpx_gt_u32_e32 8, v2
; %bb.254:                              ;   in Loop: Header=BB369_10 Depth=1
	v_ffbh_u32_e32 v1, v125
	v_min_u32_e32 v1, 32, v1
	v_subrev_nc_u32_e32 v2, 28, v1
	v_sub_nc_u32_e32 v1, 29, v1
	v_lshlrev_b64 v[2:3], v2, v[125:126]
	v_and_b32_e32 v32, 7, v2
; %bb.255:                              ;   in Loop: Header=BB369_10 Depth=1
	s_or_b32 exec_lo, exec_lo, s26
	v_mov_b32_e32 v2, 24
	v_lshlrev_b32_e32 v3, 20, v32
	v_lshl_add_u32 v1, v1, 23, 0x3c000000
	v_lshlrev_b32_sdwa v2, v2, v0 dst_sel:DWORD dst_unused:UNUSED_PAD src0_sel:DWORD src1_sel:WORD_1
	v_and_b32_e32 v2, 0x80000000, v2
	v_or3_b32 v89, v3, v2, v1
.LBB369_256:                            ;   in Loop: Header=BB369_10 Depth=1
	s_or_b32 exec_lo, exec_lo, s25
.LBB369_257:                            ;   in Loop: Header=BB369_10 Depth=1
	s_or_b32 exec_lo, exec_lo, s24
.LBB369_258:                            ;   in Loop: Header=BB369_10 Depth=1
	s_or_b32 exec_lo, exec_lo, s17
	s_mov_b32 s17, exec_lo
	v_cmpx_lt_u32_e32 0xffffff, v0
	s_cbranch_execz .LBB369_266
; %bb.259:                              ;   in Loop: Header=BB369_10 Depth=1
	v_mov_b32_e32 v1, 0x80
	v_bfrev_b32_e32 v88, 1
	v_cmp_ne_u32_sdwa s7, v0, v1 src0_sel:BYTE_3 src1_sel:DWORD
	s_and_saveexec_b32 s24, s7
	s_cbranch_execz .LBB369_265
; %bb.260:                              ;   in Loop: Header=BB369_10 Depth=1
	v_bfe_u32 v2, v0, 24, 7
	v_mov_b32_e32 v88, 0x7f800001
	s_mov_b32 s25, exec_lo
	v_cmpx_ne_u32_e32 0x7f, v2
	s_cbranch_execz .LBB369_264
; %bb.261:                              ;   in Loop: Header=BB369_10 Depth=1
	v_mov_b32_e32 v1, 7
	s_mov_b32 s26, exec_lo
	v_and_b32_sdwa v125, v0, v1 dst_sel:DWORD dst_unused:UNUSED_PAD src0_sel:BYTE_3 src1_sel:DWORD
	v_lshrrev_b32_e32 v1, 3, v2
	v_mov_b32_e32 v32, v125
	v_mov_b32_e32 v33, v126
	v_cmpx_gt_u32_e32 8, v2
; %bb.262:                              ;   in Loop: Header=BB369_10 Depth=1
	v_ffbh_u32_e32 v1, v125
	v_min_u32_e32 v1, 32, v1
	v_subrev_nc_u32_e32 v2, 28, v1
	v_sub_nc_u32_e32 v1, 29, v1
	v_lshlrev_b64 v[2:3], v2, v[125:126]
	v_and_b32_e32 v32, 7, v2
; %bb.263:                              ;   in Loop: Header=BB369_10 Depth=1
	s_or_b32 exec_lo, exec_lo, s26
	v_mov_b32_e32 v2, 24
	v_lshl_add_u32 v1, v1, 23, 0x3c000000
	v_lshlrev_b32_sdwa v0, v2, v0 dst_sel:DWORD dst_unused:UNUSED_PAD src0_sel:DWORD src1_sel:BYTE_3
	v_lshlrev_b32_e32 v2, 20, v32
	v_and_b32_e32 v0, 0x80000000, v0
	v_or3_b32 v88, v2, v0, v1
.LBB369_264:                            ;   in Loop: Header=BB369_10 Depth=1
	s_or_b32 exec_lo, exec_lo, s25
.LBB369_265:                            ;   in Loop: Header=BB369_10 Depth=1
	s_or_b32 exec_lo, exec_lo, s24
.LBB369_266:                            ;   in Loop: Header=BB369_10 Depth=1
	s_or_b32 exec_lo, exec_lo, s17
	flat_load_dword v0, v[30:31] offset:1024
	v_mov_b32_e32 v91, 0
	v_mov_b32_e32 v90, 0
	s_waitcnt vmcnt(0) lgkmcnt(0)
	v_cmp_ne_u16_sdwa s7, v0, v126 src0_sel:BYTE_0 src1_sel:DWORD
	s_and_saveexec_b32 s17, s7
	s_cbranch_execz .LBB369_274
; %bb.267:                              ;   in Loop: Header=BB369_10 Depth=1
	v_mov_b32_e32 v1, 0x80
	v_bfrev_b32_e32 v90, 1
	v_cmp_ne_u16_sdwa s7, v0, v1 src0_sel:BYTE_0 src1_sel:DWORD
	s_and_saveexec_b32 s24, s7
	s_cbranch_execz .LBB369_273
; %bb.268:                              ;   in Loop: Header=BB369_10 Depth=1
	v_and_b32_e32 v2, 0x7f, v0
	v_mov_b32_e32 v90, 0x7f800001
	s_mov_b32 s25, exec_lo
	v_cmpx_ne_u32_e32 0x7f, v2
	s_cbranch_execz .LBB369_272
; %bb.269:                              ;   in Loop: Header=BB369_10 Depth=1
	v_and_b32_e32 v125, 7, v0
	v_lshrrev_b32_e32 v1, 3, v2
	s_mov_b32 s26, exec_lo
	v_mov_b32_e32 v32, v125
	v_mov_b32_e32 v33, v126
	v_cmpx_gt_u32_e32 8, v2
; %bb.270:                              ;   in Loop: Header=BB369_10 Depth=1
	v_ffbh_u32_e32 v1, v125
	v_min_u32_e32 v1, 32, v1
	v_subrev_nc_u32_e32 v2, 28, v1
	v_sub_nc_u32_e32 v1, 29, v1
	v_lshlrev_b64 v[2:3], v2, v[125:126]
	v_and_b32_e32 v32, 7, v2
; %bb.271:                              ;   in Loop: Header=BB369_10 Depth=1
	s_or_b32 exec_lo, exec_lo, s26
	v_lshlrev_b32_e32 v2, 24, v0
	v_lshlrev_b32_e32 v3, 20, v32
	v_lshl_add_u32 v1, v1, 23, 0x3c000000
	v_and_b32_e32 v2, 0x80000000, v2
	v_or3_b32 v90, v3, v2, v1
.LBB369_272:                            ;   in Loop: Header=BB369_10 Depth=1
	s_or_b32 exec_lo, exec_lo, s25
.LBB369_273:                            ;   in Loop: Header=BB369_10 Depth=1
	s_or_b32 exec_lo, exec_lo, s24
.LBB369_274:                            ;   in Loop: Header=BB369_10 Depth=1
	s_or_b32 exec_lo, exec_lo, s17
	v_cmp_ne_u16_sdwa s7, v0, v126 src0_sel:BYTE_1 src1_sel:DWORD
	s_and_saveexec_b32 s17, s7
	s_cbranch_execz .LBB369_282
; %bb.275:                              ;   in Loop: Header=BB369_10 Depth=1
	v_mov_b32_e32 v1, 0x80
	v_bfrev_b32_e32 v91, 1
	v_cmp_ne_u16_sdwa s7, v0, v1 src0_sel:BYTE_1 src1_sel:DWORD
	s_and_saveexec_b32 s24, s7
	s_cbranch_execz .LBB369_281
; %bb.276:                              ;   in Loop: Header=BB369_10 Depth=1
	v_mov_b32_e32 v1, 0xffff
	v_mov_b32_e32 v91, 0x7f800001
	s_mov_b32 s25, exec_lo
	v_and_b32_sdwa v1, v1, v0 dst_sel:DWORD dst_unused:UNUSED_PAD src0_sel:DWORD src1_sel:BYTE_1
	v_and_b32_e32 v2, 0x7f, v1
	v_cmpx_ne_u32_e32 0x7f, v2
	s_cbranch_execz .LBB369_280
; %bb.277:                              ;   in Loop: Header=BB369_10 Depth=1
	v_and_b32_e32 v125, 7, v1
	v_lshrrev_b32_e32 v1, 3, v2
	s_mov_b32 s26, exec_lo
	v_mov_b32_e32 v32, v125
	v_mov_b32_e32 v33, v126
	v_cmpx_gt_u32_e32 8, v2
; %bb.278:                              ;   in Loop: Header=BB369_10 Depth=1
	v_ffbh_u32_e32 v1, v125
	v_min_u32_e32 v1, 32, v1
	v_subrev_nc_u32_e32 v2, 28, v1
	v_sub_nc_u32_e32 v1, 29, v1
	v_lshlrev_b64 v[2:3], v2, v[125:126]
	v_and_b32_e32 v32, 7, v2
; %bb.279:                              ;   in Loop: Header=BB369_10 Depth=1
	s_or_b32 exec_lo, exec_lo, s26
	v_lshlrev_b32_e32 v2, 16, v0
	v_lshlrev_b32_e32 v3, 20, v32
	v_lshl_add_u32 v1, v1, 23, 0x3c000000
	v_and_b32_e32 v2, 0x80000000, v2
	v_or3_b32 v91, v3, v2, v1
.LBB369_280:                            ;   in Loop: Header=BB369_10 Depth=1
	s_or_b32 exec_lo, exec_lo, s25
.LBB369_281:                            ;   in Loop: Header=BB369_10 Depth=1
	s_or_b32 exec_lo, exec_lo, s24
.LBB369_282:                            ;   in Loop: Header=BB369_10 Depth=1
	s_or_b32 exec_lo, exec_lo, s17
	v_mov_b32_e32 v1, 0xff
	v_mov_b32_e32 v92, 0
	v_mov_b32_e32 v93, 0
	s_mov_b32 s17, exec_lo
	v_and_b32_sdwa v1, v0, v1 dst_sel:DWORD dst_unused:UNUSED_PAD src0_sel:WORD_1 src1_sel:DWORD
	v_cmpx_ne_u16_e32 0, v1
	s_cbranch_execz .LBB369_290
; %bb.283:                              ;   in Loop: Header=BB369_10 Depth=1
	v_bfrev_b32_e32 v93, 1
	s_mov_b32 s24, exec_lo
	v_cmpx_ne_u16_e32 0x80, v1
	s_cbranch_execz .LBB369_289
; %bb.284:                              ;   in Loop: Header=BB369_10 Depth=1
	v_bfe_u32 v2, v0, 16, 7
	v_mov_b32_e32 v93, 0x7f800001
	s_mov_b32 s25, exec_lo
	v_cmpx_ne_u32_e32 0x7f, v2
	s_cbranch_execz .LBB369_288
; %bb.285:                              ;   in Loop: Header=BB369_10 Depth=1
	v_mov_b32_e32 v1, 7
	s_mov_b32 s26, exec_lo
	v_and_b32_sdwa v125, v0, v1 dst_sel:DWORD dst_unused:UNUSED_PAD src0_sel:WORD_1 src1_sel:DWORD
	v_lshrrev_b32_e32 v1, 3, v2
	v_mov_b32_e32 v32, v125
	v_mov_b32_e32 v33, v126
	v_cmpx_gt_u32_e32 8, v2
; %bb.286:                              ;   in Loop: Header=BB369_10 Depth=1
	v_ffbh_u32_e32 v1, v125
	v_min_u32_e32 v1, 32, v1
	v_subrev_nc_u32_e32 v2, 28, v1
	v_sub_nc_u32_e32 v1, 29, v1
	v_lshlrev_b64 v[2:3], v2, v[125:126]
	v_and_b32_e32 v32, 7, v2
; %bb.287:                              ;   in Loop: Header=BB369_10 Depth=1
	s_or_b32 exec_lo, exec_lo, s26
	v_mov_b32_e32 v2, 24
	v_lshlrev_b32_e32 v3, 20, v32
	v_lshl_add_u32 v1, v1, 23, 0x3c000000
	v_lshlrev_b32_sdwa v2, v2, v0 dst_sel:DWORD dst_unused:UNUSED_PAD src0_sel:DWORD src1_sel:WORD_1
	v_and_b32_e32 v2, 0x80000000, v2
	v_or3_b32 v93, v3, v2, v1
.LBB369_288:                            ;   in Loop: Header=BB369_10 Depth=1
	s_or_b32 exec_lo, exec_lo, s25
.LBB369_289:                            ;   in Loop: Header=BB369_10 Depth=1
	s_or_b32 exec_lo, exec_lo, s24
.LBB369_290:                            ;   in Loop: Header=BB369_10 Depth=1
	s_or_b32 exec_lo, exec_lo, s17
	s_mov_b32 s17, exec_lo
	v_cmpx_lt_u32_e32 0xffffff, v0
	s_cbranch_execz .LBB369_298
; %bb.291:                              ;   in Loop: Header=BB369_10 Depth=1
	v_mov_b32_e32 v1, 0x80
	v_bfrev_b32_e32 v92, 1
	v_cmp_ne_u32_sdwa s7, v0, v1 src0_sel:BYTE_3 src1_sel:DWORD
	s_and_saveexec_b32 s24, s7
	s_cbranch_execz .LBB369_297
; %bb.292:                              ;   in Loop: Header=BB369_10 Depth=1
	v_bfe_u32 v2, v0, 24, 7
	v_mov_b32_e32 v92, 0x7f800001
	s_mov_b32 s25, exec_lo
	v_cmpx_ne_u32_e32 0x7f, v2
	s_cbranch_execz .LBB369_296
; %bb.293:                              ;   in Loop: Header=BB369_10 Depth=1
	v_mov_b32_e32 v1, 7
	s_mov_b32 s26, exec_lo
	v_and_b32_sdwa v125, v0, v1 dst_sel:DWORD dst_unused:UNUSED_PAD src0_sel:BYTE_3 src1_sel:DWORD
	v_lshrrev_b32_e32 v1, 3, v2
	v_mov_b32_e32 v32, v125
	v_mov_b32_e32 v33, v126
	v_cmpx_gt_u32_e32 8, v2
; %bb.294:                              ;   in Loop: Header=BB369_10 Depth=1
	v_ffbh_u32_e32 v1, v125
	v_min_u32_e32 v1, 32, v1
	v_subrev_nc_u32_e32 v2, 28, v1
	v_sub_nc_u32_e32 v1, 29, v1
	v_lshlrev_b64 v[2:3], v2, v[125:126]
	v_and_b32_e32 v32, 7, v2
; %bb.295:                              ;   in Loop: Header=BB369_10 Depth=1
	s_or_b32 exec_lo, exec_lo, s26
	v_mov_b32_e32 v2, 24
	v_lshl_add_u32 v1, v1, 23, 0x3c000000
	v_lshlrev_b32_sdwa v0, v2, v0 dst_sel:DWORD dst_unused:UNUSED_PAD src0_sel:DWORD src1_sel:BYTE_3
	v_lshlrev_b32_e32 v2, 20, v32
	v_and_b32_e32 v0, 0x80000000, v0
	v_or3_b32 v92, v2, v0, v1
.LBB369_296:                            ;   in Loop: Header=BB369_10 Depth=1
	s_or_b32 exec_lo, exec_lo, s25
.LBB369_297:                            ;   in Loop: Header=BB369_10 Depth=1
	s_or_b32 exec_lo, exec_lo, s24
.LBB369_298:                            ;   in Loop: Header=BB369_10 Depth=1
	s_or_b32 exec_lo, exec_lo, s17
	flat_load_dword v0, v[30:31] offset:1032
	v_mov_b32_e32 v95, 0
	v_mov_b32_e32 v94, 0
	s_waitcnt vmcnt(0) lgkmcnt(0)
	v_cmp_ne_u16_sdwa s7, v0, v126 src0_sel:BYTE_0 src1_sel:DWORD
	s_and_saveexec_b32 s17, s7
	s_cbranch_execz .LBB369_306
; %bb.299:                              ;   in Loop: Header=BB369_10 Depth=1
	v_mov_b32_e32 v1, 0x80
	v_bfrev_b32_e32 v94, 1
	v_cmp_ne_u16_sdwa s7, v0, v1 src0_sel:BYTE_0 src1_sel:DWORD
	s_and_saveexec_b32 s24, s7
	s_cbranch_execz .LBB369_305
; %bb.300:                              ;   in Loop: Header=BB369_10 Depth=1
	v_and_b32_e32 v2, 0x7f, v0
	v_mov_b32_e32 v94, 0x7f800001
	s_mov_b32 s25, exec_lo
	v_cmpx_ne_u32_e32 0x7f, v2
	s_cbranch_execz .LBB369_304
; %bb.301:                              ;   in Loop: Header=BB369_10 Depth=1
	v_and_b32_e32 v125, 7, v0
	v_lshrrev_b32_e32 v1, 3, v2
	s_mov_b32 s26, exec_lo
	v_mov_b32_e32 v32, v125
	v_mov_b32_e32 v33, v126
	v_cmpx_gt_u32_e32 8, v2
; %bb.302:                              ;   in Loop: Header=BB369_10 Depth=1
	v_ffbh_u32_e32 v1, v125
	v_min_u32_e32 v1, 32, v1
	v_subrev_nc_u32_e32 v2, 28, v1
	v_sub_nc_u32_e32 v1, 29, v1
	v_lshlrev_b64 v[2:3], v2, v[125:126]
	v_and_b32_e32 v32, 7, v2
; %bb.303:                              ;   in Loop: Header=BB369_10 Depth=1
	s_or_b32 exec_lo, exec_lo, s26
	v_lshlrev_b32_e32 v2, 24, v0
	v_lshlrev_b32_e32 v3, 20, v32
	v_lshl_add_u32 v1, v1, 23, 0x3c000000
	v_and_b32_e32 v2, 0x80000000, v2
	v_or3_b32 v94, v3, v2, v1
.LBB369_304:                            ;   in Loop: Header=BB369_10 Depth=1
	s_or_b32 exec_lo, exec_lo, s25
.LBB369_305:                            ;   in Loop: Header=BB369_10 Depth=1
	s_or_b32 exec_lo, exec_lo, s24
.LBB369_306:                            ;   in Loop: Header=BB369_10 Depth=1
	s_or_b32 exec_lo, exec_lo, s17
	v_cmp_ne_u16_sdwa s7, v0, v126 src0_sel:BYTE_1 src1_sel:DWORD
	s_and_saveexec_b32 s17, s7
	s_cbranch_execz .LBB369_314
; %bb.307:                              ;   in Loop: Header=BB369_10 Depth=1
	v_mov_b32_e32 v1, 0x80
	v_bfrev_b32_e32 v95, 1
	v_cmp_ne_u16_sdwa s7, v0, v1 src0_sel:BYTE_1 src1_sel:DWORD
	s_and_saveexec_b32 s24, s7
	s_cbranch_execz .LBB369_313
; %bb.308:                              ;   in Loop: Header=BB369_10 Depth=1
	v_mov_b32_e32 v1, 0xffff
	v_mov_b32_e32 v95, 0x7f800001
	s_mov_b32 s25, exec_lo
	v_and_b32_sdwa v1, v1, v0 dst_sel:DWORD dst_unused:UNUSED_PAD src0_sel:DWORD src1_sel:BYTE_1
	v_and_b32_e32 v2, 0x7f, v1
	v_cmpx_ne_u32_e32 0x7f, v2
	s_cbranch_execz .LBB369_312
; %bb.309:                              ;   in Loop: Header=BB369_10 Depth=1
	v_and_b32_e32 v125, 7, v1
	v_lshrrev_b32_e32 v1, 3, v2
	s_mov_b32 s26, exec_lo
	v_mov_b32_e32 v32, v125
	v_mov_b32_e32 v33, v126
	v_cmpx_gt_u32_e32 8, v2
; %bb.310:                              ;   in Loop: Header=BB369_10 Depth=1
	v_ffbh_u32_e32 v1, v125
	v_min_u32_e32 v1, 32, v1
	v_subrev_nc_u32_e32 v2, 28, v1
	v_sub_nc_u32_e32 v1, 29, v1
	v_lshlrev_b64 v[2:3], v2, v[125:126]
	v_and_b32_e32 v32, 7, v2
; %bb.311:                              ;   in Loop: Header=BB369_10 Depth=1
	s_or_b32 exec_lo, exec_lo, s26
	v_lshlrev_b32_e32 v2, 16, v0
	v_lshlrev_b32_e32 v3, 20, v32
	v_lshl_add_u32 v1, v1, 23, 0x3c000000
	v_and_b32_e32 v2, 0x80000000, v2
	v_or3_b32 v95, v3, v2, v1
.LBB369_312:                            ;   in Loop: Header=BB369_10 Depth=1
	s_or_b32 exec_lo, exec_lo, s25
.LBB369_313:                            ;   in Loop: Header=BB369_10 Depth=1
	s_or_b32 exec_lo, exec_lo, s24
.LBB369_314:                            ;   in Loop: Header=BB369_10 Depth=1
	s_or_b32 exec_lo, exec_lo, s17
	v_mov_b32_e32 v1, 0xff
	v_mov_b32_e32 v104, 0
	;; [unrolled: 1-line block ×3, first 2 shown]
	s_mov_b32 s17, exec_lo
	v_and_b32_sdwa v1, v0, v1 dst_sel:DWORD dst_unused:UNUSED_PAD src0_sel:WORD_1 src1_sel:DWORD
	v_cmpx_ne_u16_e32 0, v1
	s_cbranch_execz .LBB369_322
; %bb.315:                              ;   in Loop: Header=BB369_10 Depth=1
	v_bfrev_b32_e32 v105, 1
	s_mov_b32 s24, exec_lo
	v_cmpx_ne_u16_e32 0x80, v1
	s_cbranch_execz .LBB369_321
; %bb.316:                              ;   in Loop: Header=BB369_10 Depth=1
	v_bfe_u32 v2, v0, 16, 7
	v_mov_b32_e32 v105, 0x7f800001
	s_mov_b32 s25, exec_lo
	v_cmpx_ne_u32_e32 0x7f, v2
	s_cbranch_execz .LBB369_320
; %bb.317:                              ;   in Loop: Header=BB369_10 Depth=1
	v_mov_b32_e32 v1, 7
	s_mov_b32 s26, exec_lo
	v_and_b32_sdwa v125, v0, v1 dst_sel:DWORD dst_unused:UNUSED_PAD src0_sel:WORD_1 src1_sel:DWORD
	v_lshrrev_b32_e32 v1, 3, v2
	v_mov_b32_e32 v32, v125
	v_mov_b32_e32 v33, v126
	v_cmpx_gt_u32_e32 8, v2
; %bb.318:                              ;   in Loop: Header=BB369_10 Depth=1
	v_ffbh_u32_e32 v1, v125
	v_min_u32_e32 v1, 32, v1
	v_subrev_nc_u32_e32 v2, 28, v1
	v_sub_nc_u32_e32 v1, 29, v1
	v_lshlrev_b64 v[2:3], v2, v[125:126]
	v_and_b32_e32 v32, 7, v2
; %bb.319:                              ;   in Loop: Header=BB369_10 Depth=1
	s_or_b32 exec_lo, exec_lo, s26
	v_mov_b32_e32 v2, 24
	v_lshlrev_b32_e32 v3, 20, v32
	v_lshl_add_u32 v1, v1, 23, 0x3c000000
	v_lshlrev_b32_sdwa v2, v2, v0 dst_sel:DWORD dst_unused:UNUSED_PAD src0_sel:DWORD src1_sel:WORD_1
	v_and_b32_e32 v2, 0x80000000, v2
	v_or3_b32 v105, v3, v2, v1
.LBB369_320:                            ;   in Loop: Header=BB369_10 Depth=1
	s_or_b32 exec_lo, exec_lo, s25
.LBB369_321:                            ;   in Loop: Header=BB369_10 Depth=1
	s_or_b32 exec_lo, exec_lo, s24
.LBB369_322:                            ;   in Loop: Header=BB369_10 Depth=1
	s_or_b32 exec_lo, exec_lo, s17
	s_mov_b32 s17, exec_lo
	v_cmpx_lt_u32_e32 0xffffff, v0
	s_cbranch_execz .LBB369_330
; %bb.323:                              ;   in Loop: Header=BB369_10 Depth=1
	v_mov_b32_e32 v1, 0x80
	v_bfrev_b32_e32 v104, 1
	v_cmp_ne_u32_sdwa s7, v0, v1 src0_sel:BYTE_3 src1_sel:DWORD
	s_and_saveexec_b32 s24, s7
	s_cbranch_execz .LBB369_329
; %bb.324:                              ;   in Loop: Header=BB369_10 Depth=1
	v_bfe_u32 v2, v0, 24, 7
	v_mov_b32_e32 v104, 0x7f800001
	s_mov_b32 s25, exec_lo
	v_cmpx_ne_u32_e32 0x7f, v2
	s_cbranch_execz .LBB369_328
; %bb.325:                              ;   in Loop: Header=BB369_10 Depth=1
	v_mov_b32_e32 v1, 7
	s_mov_b32 s26, exec_lo
	v_and_b32_sdwa v125, v0, v1 dst_sel:DWORD dst_unused:UNUSED_PAD src0_sel:BYTE_3 src1_sel:DWORD
	v_lshrrev_b32_e32 v1, 3, v2
	v_mov_b32_e32 v32, v125
	v_mov_b32_e32 v33, v126
	v_cmpx_gt_u32_e32 8, v2
; %bb.326:                              ;   in Loop: Header=BB369_10 Depth=1
	v_ffbh_u32_e32 v1, v125
	v_min_u32_e32 v1, 32, v1
	v_subrev_nc_u32_e32 v2, 28, v1
	v_sub_nc_u32_e32 v1, 29, v1
	v_lshlrev_b64 v[2:3], v2, v[125:126]
	v_and_b32_e32 v32, 7, v2
; %bb.327:                              ;   in Loop: Header=BB369_10 Depth=1
	s_or_b32 exec_lo, exec_lo, s26
	v_mov_b32_e32 v2, 24
	v_lshl_add_u32 v1, v1, 23, 0x3c000000
	v_lshlrev_b32_sdwa v0, v2, v0 dst_sel:DWORD dst_unused:UNUSED_PAD src0_sel:DWORD src1_sel:BYTE_3
	v_lshlrev_b32_e32 v2, 20, v32
	v_and_b32_e32 v0, 0x80000000, v0
	v_or3_b32 v104, v2, v0, v1
.LBB369_328:                            ;   in Loop: Header=BB369_10 Depth=1
	s_or_b32 exec_lo, exec_lo, s25
.LBB369_329:                            ;   in Loop: Header=BB369_10 Depth=1
	s_or_b32 exec_lo, exec_lo, s24
.LBB369_330:                            ;   in Loop: Header=BB369_10 Depth=1
	s_or_b32 exec_lo, exec_lo, s17
	flat_load_dword v0, v[30:31] offset:1280
	v_mov_b32_e32 v107, 0
	v_mov_b32_e32 v106, 0
	s_waitcnt vmcnt(0) lgkmcnt(0)
	v_cmp_ne_u16_sdwa s7, v0, v126 src0_sel:BYTE_0 src1_sel:DWORD
	s_and_saveexec_b32 s17, s7
	s_cbranch_execz .LBB369_338
; %bb.331:                              ;   in Loop: Header=BB369_10 Depth=1
	v_mov_b32_e32 v1, 0x80
	v_bfrev_b32_e32 v106, 1
	v_cmp_ne_u16_sdwa s7, v0, v1 src0_sel:BYTE_0 src1_sel:DWORD
	s_and_saveexec_b32 s24, s7
	s_cbranch_execz .LBB369_337
; %bb.332:                              ;   in Loop: Header=BB369_10 Depth=1
	v_and_b32_e32 v2, 0x7f, v0
	v_mov_b32_e32 v106, 0x7f800001
	s_mov_b32 s25, exec_lo
	v_cmpx_ne_u32_e32 0x7f, v2
	s_cbranch_execz .LBB369_336
; %bb.333:                              ;   in Loop: Header=BB369_10 Depth=1
	v_and_b32_e32 v125, 7, v0
	v_lshrrev_b32_e32 v1, 3, v2
	s_mov_b32 s26, exec_lo
	v_mov_b32_e32 v32, v125
	v_mov_b32_e32 v33, v126
	v_cmpx_gt_u32_e32 8, v2
; %bb.334:                              ;   in Loop: Header=BB369_10 Depth=1
	v_ffbh_u32_e32 v1, v125
	v_min_u32_e32 v1, 32, v1
	v_subrev_nc_u32_e32 v2, 28, v1
	v_sub_nc_u32_e32 v1, 29, v1
	v_lshlrev_b64 v[2:3], v2, v[125:126]
	v_and_b32_e32 v32, 7, v2
; %bb.335:                              ;   in Loop: Header=BB369_10 Depth=1
	s_or_b32 exec_lo, exec_lo, s26
	v_lshlrev_b32_e32 v2, 24, v0
	v_lshlrev_b32_e32 v3, 20, v32
	v_lshl_add_u32 v1, v1, 23, 0x3c000000
	v_and_b32_e32 v2, 0x80000000, v2
	v_or3_b32 v106, v3, v2, v1
.LBB369_336:                            ;   in Loop: Header=BB369_10 Depth=1
	s_or_b32 exec_lo, exec_lo, s25
.LBB369_337:                            ;   in Loop: Header=BB369_10 Depth=1
	s_or_b32 exec_lo, exec_lo, s24
.LBB369_338:                            ;   in Loop: Header=BB369_10 Depth=1
	s_or_b32 exec_lo, exec_lo, s17
	v_cmp_ne_u16_sdwa s7, v0, v126 src0_sel:BYTE_1 src1_sel:DWORD
	s_and_saveexec_b32 s17, s7
	s_cbranch_execz .LBB369_346
; %bb.339:                              ;   in Loop: Header=BB369_10 Depth=1
	v_mov_b32_e32 v1, 0x80
	v_bfrev_b32_e32 v107, 1
	v_cmp_ne_u16_sdwa s7, v0, v1 src0_sel:BYTE_1 src1_sel:DWORD
	s_and_saveexec_b32 s24, s7
	s_cbranch_execz .LBB369_345
; %bb.340:                              ;   in Loop: Header=BB369_10 Depth=1
	v_mov_b32_e32 v1, 0xffff
	v_mov_b32_e32 v107, 0x7f800001
	s_mov_b32 s25, exec_lo
	v_and_b32_sdwa v1, v1, v0 dst_sel:DWORD dst_unused:UNUSED_PAD src0_sel:DWORD src1_sel:BYTE_1
	v_and_b32_e32 v2, 0x7f, v1
	v_cmpx_ne_u32_e32 0x7f, v2
	s_cbranch_execz .LBB369_344
; %bb.341:                              ;   in Loop: Header=BB369_10 Depth=1
	v_and_b32_e32 v125, 7, v1
	v_lshrrev_b32_e32 v1, 3, v2
	s_mov_b32 s26, exec_lo
	v_mov_b32_e32 v32, v125
	v_mov_b32_e32 v33, v126
	v_cmpx_gt_u32_e32 8, v2
; %bb.342:                              ;   in Loop: Header=BB369_10 Depth=1
	v_ffbh_u32_e32 v1, v125
	v_min_u32_e32 v1, 32, v1
	v_subrev_nc_u32_e32 v2, 28, v1
	v_sub_nc_u32_e32 v1, 29, v1
	v_lshlrev_b64 v[2:3], v2, v[125:126]
	v_and_b32_e32 v32, 7, v2
; %bb.343:                              ;   in Loop: Header=BB369_10 Depth=1
	s_or_b32 exec_lo, exec_lo, s26
	v_lshlrev_b32_e32 v2, 16, v0
	v_lshlrev_b32_e32 v3, 20, v32
	v_lshl_add_u32 v1, v1, 23, 0x3c000000
	v_and_b32_e32 v2, 0x80000000, v2
	v_or3_b32 v107, v3, v2, v1
.LBB369_344:                            ;   in Loop: Header=BB369_10 Depth=1
	s_or_b32 exec_lo, exec_lo, s25
.LBB369_345:                            ;   in Loop: Header=BB369_10 Depth=1
	s_or_b32 exec_lo, exec_lo, s24
.LBB369_346:                            ;   in Loop: Header=BB369_10 Depth=1
	s_or_b32 exec_lo, exec_lo, s17
	v_mov_b32_e32 v1, 0xff
	v_mov_b32_e32 v108, 0
	;; [unrolled: 1-line block ×3, first 2 shown]
	s_mov_b32 s17, exec_lo
	v_and_b32_sdwa v1, v0, v1 dst_sel:DWORD dst_unused:UNUSED_PAD src0_sel:WORD_1 src1_sel:DWORD
	v_cmpx_ne_u16_e32 0, v1
	s_cbranch_execz .LBB369_354
; %bb.347:                              ;   in Loop: Header=BB369_10 Depth=1
	v_bfrev_b32_e32 v109, 1
	s_mov_b32 s24, exec_lo
	v_cmpx_ne_u16_e32 0x80, v1
	s_cbranch_execz .LBB369_353
; %bb.348:                              ;   in Loop: Header=BB369_10 Depth=1
	v_bfe_u32 v2, v0, 16, 7
	v_mov_b32_e32 v109, 0x7f800001
	s_mov_b32 s25, exec_lo
	v_cmpx_ne_u32_e32 0x7f, v2
	s_cbranch_execz .LBB369_352
; %bb.349:                              ;   in Loop: Header=BB369_10 Depth=1
	v_mov_b32_e32 v1, 7
	s_mov_b32 s26, exec_lo
	v_and_b32_sdwa v125, v0, v1 dst_sel:DWORD dst_unused:UNUSED_PAD src0_sel:WORD_1 src1_sel:DWORD
	v_lshrrev_b32_e32 v1, 3, v2
	v_mov_b32_e32 v32, v125
	v_mov_b32_e32 v33, v126
	v_cmpx_gt_u32_e32 8, v2
; %bb.350:                              ;   in Loop: Header=BB369_10 Depth=1
	v_ffbh_u32_e32 v1, v125
	v_min_u32_e32 v1, 32, v1
	v_subrev_nc_u32_e32 v2, 28, v1
	v_sub_nc_u32_e32 v1, 29, v1
	v_lshlrev_b64 v[2:3], v2, v[125:126]
	v_and_b32_e32 v32, 7, v2
; %bb.351:                              ;   in Loop: Header=BB369_10 Depth=1
	s_or_b32 exec_lo, exec_lo, s26
	v_mov_b32_e32 v2, 24
	v_lshlrev_b32_e32 v3, 20, v32
	v_lshl_add_u32 v1, v1, 23, 0x3c000000
	v_lshlrev_b32_sdwa v2, v2, v0 dst_sel:DWORD dst_unused:UNUSED_PAD src0_sel:DWORD src1_sel:WORD_1
	v_and_b32_e32 v2, 0x80000000, v2
	v_or3_b32 v109, v3, v2, v1
.LBB369_352:                            ;   in Loop: Header=BB369_10 Depth=1
	s_or_b32 exec_lo, exec_lo, s25
.LBB369_353:                            ;   in Loop: Header=BB369_10 Depth=1
	s_or_b32 exec_lo, exec_lo, s24
.LBB369_354:                            ;   in Loop: Header=BB369_10 Depth=1
	s_or_b32 exec_lo, exec_lo, s17
	s_mov_b32 s17, exec_lo
	v_cmpx_lt_u32_e32 0xffffff, v0
	s_cbranch_execz .LBB369_362
; %bb.355:                              ;   in Loop: Header=BB369_10 Depth=1
	v_mov_b32_e32 v1, 0x80
	v_bfrev_b32_e32 v108, 1
	v_cmp_ne_u32_sdwa s7, v0, v1 src0_sel:BYTE_3 src1_sel:DWORD
	s_and_saveexec_b32 s24, s7
	s_cbranch_execz .LBB369_361
; %bb.356:                              ;   in Loop: Header=BB369_10 Depth=1
	v_bfe_u32 v2, v0, 24, 7
	v_mov_b32_e32 v108, 0x7f800001
	s_mov_b32 s25, exec_lo
	v_cmpx_ne_u32_e32 0x7f, v2
	s_cbranch_execz .LBB369_360
; %bb.357:                              ;   in Loop: Header=BB369_10 Depth=1
	v_mov_b32_e32 v1, 7
	s_mov_b32 s26, exec_lo
	v_and_b32_sdwa v125, v0, v1 dst_sel:DWORD dst_unused:UNUSED_PAD src0_sel:BYTE_3 src1_sel:DWORD
	v_lshrrev_b32_e32 v1, 3, v2
	v_mov_b32_e32 v32, v125
	v_mov_b32_e32 v33, v126
	v_cmpx_gt_u32_e32 8, v2
; %bb.358:                              ;   in Loop: Header=BB369_10 Depth=1
	v_ffbh_u32_e32 v1, v125
	v_min_u32_e32 v1, 32, v1
	v_subrev_nc_u32_e32 v2, 28, v1
	v_sub_nc_u32_e32 v1, 29, v1
	v_lshlrev_b64 v[2:3], v2, v[125:126]
	v_and_b32_e32 v32, 7, v2
; %bb.359:                              ;   in Loop: Header=BB369_10 Depth=1
	s_or_b32 exec_lo, exec_lo, s26
	v_mov_b32_e32 v2, 24
	v_lshl_add_u32 v1, v1, 23, 0x3c000000
	v_lshlrev_b32_sdwa v0, v2, v0 dst_sel:DWORD dst_unused:UNUSED_PAD src0_sel:DWORD src1_sel:BYTE_3
	v_lshlrev_b32_e32 v2, 20, v32
	v_and_b32_e32 v0, 0x80000000, v0
	v_or3_b32 v108, v2, v0, v1
.LBB369_360:                            ;   in Loop: Header=BB369_10 Depth=1
	s_or_b32 exec_lo, exec_lo, s25
.LBB369_361:                            ;   in Loop: Header=BB369_10 Depth=1
	s_or_b32 exec_lo, exec_lo, s24
.LBB369_362:                            ;   in Loop: Header=BB369_10 Depth=1
	s_or_b32 exec_lo, exec_lo, s17
	flat_load_dword v0, v[30:31] offset:1288
	v_mov_b32_e32 v111, 0
	v_mov_b32_e32 v110, 0
	s_waitcnt vmcnt(0) lgkmcnt(0)
	v_cmp_ne_u16_sdwa s7, v0, v126 src0_sel:BYTE_0 src1_sel:DWORD
	s_and_saveexec_b32 s17, s7
	s_cbranch_execz .LBB369_370
; %bb.363:                              ;   in Loop: Header=BB369_10 Depth=1
	v_mov_b32_e32 v1, 0x80
	v_bfrev_b32_e32 v110, 1
	v_cmp_ne_u16_sdwa s7, v0, v1 src0_sel:BYTE_0 src1_sel:DWORD
	s_and_saveexec_b32 s24, s7
	s_cbranch_execz .LBB369_369
; %bb.364:                              ;   in Loop: Header=BB369_10 Depth=1
	v_and_b32_e32 v2, 0x7f, v0
	v_mov_b32_e32 v110, 0x7f800001
	s_mov_b32 s25, exec_lo
	v_cmpx_ne_u32_e32 0x7f, v2
	s_cbranch_execz .LBB369_368
; %bb.365:                              ;   in Loop: Header=BB369_10 Depth=1
	v_and_b32_e32 v125, 7, v0
	v_lshrrev_b32_e32 v1, 3, v2
	s_mov_b32 s26, exec_lo
	v_mov_b32_e32 v32, v125
	v_mov_b32_e32 v33, v126
	v_cmpx_gt_u32_e32 8, v2
; %bb.366:                              ;   in Loop: Header=BB369_10 Depth=1
	v_ffbh_u32_e32 v1, v125
	v_min_u32_e32 v1, 32, v1
	v_subrev_nc_u32_e32 v2, 28, v1
	v_sub_nc_u32_e32 v1, 29, v1
	v_lshlrev_b64 v[2:3], v2, v[125:126]
	v_and_b32_e32 v32, 7, v2
; %bb.367:                              ;   in Loop: Header=BB369_10 Depth=1
	s_or_b32 exec_lo, exec_lo, s26
	v_lshlrev_b32_e32 v2, 24, v0
	v_lshlrev_b32_e32 v3, 20, v32
	v_lshl_add_u32 v1, v1, 23, 0x3c000000
	v_and_b32_e32 v2, 0x80000000, v2
	v_or3_b32 v110, v3, v2, v1
.LBB369_368:                            ;   in Loop: Header=BB369_10 Depth=1
	s_or_b32 exec_lo, exec_lo, s25
.LBB369_369:                            ;   in Loop: Header=BB369_10 Depth=1
	s_or_b32 exec_lo, exec_lo, s24
.LBB369_370:                            ;   in Loop: Header=BB369_10 Depth=1
	s_or_b32 exec_lo, exec_lo, s17
	v_cmp_ne_u16_sdwa s7, v0, v126 src0_sel:BYTE_1 src1_sel:DWORD
	s_and_saveexec_b32 s17, s7
	s_cbranch_execz .LBB369_378
; %bb.371:                              ;   in Loop: Header=BB369_10 Depth=1
	v_mov_b32_e32 v1, 0x80
	v_bfrev_b32_e32 v111, 1
	v_cmp_ne_u16_sdwa s7, v0, v1 src0_sel:BYTE_1 src1_sel:DWORD
	s_and_saveexec_b32 s24, s7
	s_cbranch_execz .LBB369_377
; %bb.372:                              ;   in Loop: Header=BB369_10 Depth=1
	v_mov_b32_e32 v1, 0xffff
	v_mov_b32_e32 v111, 0x7f800001
	s_mov_b32 s25, exec_lo
	v_and_b32_sdwa v1, v1, v0 dst_sel:DWORD dst_unused:UNUSED_PAD src0_sel:DWORD src1_sel:BYTE_1
	v_and_b32_e32 v2, 0x7f, v1
	v_cmpx_ne_u32_e32 0x7f, v2
	s_cbranch_execz .LBB369_376
; %bb.373:                              ;   in Loop: Header=BB369_10 Depth=1
	v_and_b32_e32 v125, 7, v1
	v_lshrrev_b32_e32 v1, 3, v2
	s_mov_b32 s26, exec_lo
	v_mov_b32_e32 v32, v125
	v_mov_b32_e32 v33, v126
	v_cmpx_gt_u32_e32 8, v2
; %bb.374:                              ;   in Loop: Header=BB369_10 Depth=1
	v_ffbh_u32_e32 v1, v125
	v_min_u32_e32 v1, 32, v1
	v_subrev_nc_u32_e32 v2, 28, v1
	v_sub_nc_u32_e32 v1, 29, v1
	v_lshlrev_b64 v[2:3], v2, v[125:126]
	v_and_b32_e32 v32, 7, v2
; %bb.375:                              ;   in Loop: Header=BB369_10 Depth=1
	s_or_b32 exec_lo, exec_lo, s26
	v_lshlrev_b32_e32 v2, 16, v0
	v_lshlrev_b32_e32 v3, 20, v32
	v_lshl_add_u32 v1, v1, 23, 0x3c000000
	v_and_b32_e32 v2, 0x80000000, v2
	v_or3_b32 v111, v3, v2, v1
.LBB369_376:                            ;   in Loop: Header=BB369_10 Depth=1
	s_or_b32 exec_lo, exec_lo, s25
.LBB369_377:                            ;   in Loop: Header=BB369_10 Depth=1
	s_or_b32 exec_lo, exec_lo, s24
.LBB369_378:                            ;   in Loop: Header=BB369_10 Depth=1
	s_or_b32 exec_lo, exec_lo, s17
	v_mov_b32_e32 v1, 0xff
	v_mov_b32_e32 v120, 0
	;; [unrolled: 1-line block ×3, first 2 shown]
	s_mov_b32 s17, exec_lo
	v_and_b32_sdwa v1, v0, v1 dst_sel:DWORD dst_unused:UNUSED_PAD src0_sel:WORD_1 src1_sel:DWORD
	v_cmpx_ne_u16_e32 0, v1
	s_cbranch_execz .LBB369_386
; %bb.379:                              ;   in Loop: Header=BB369_10 Depth=1
	v_bfrev_b32_e32 v121, 1
	s_mov_b32 s24, exec_lo
	v_cmpx_ne_u16_e32 0x80, v1
	s_cbranch_execz .LBB369_385
; %bb.380:                              ;   in Loop: Header=BB369_10 Depth=1
	v_bfe_u32 v2, v0, 16, 7
	v_mov_b32_e32 v121, 0x7f800001
	s_mov_b32 s25, exec_lo
	v_cmpx_ne_u32_e32 0x7f, v2
	s_cbranch_execz .LBB369_384
; %bb.381:                              ;   in Loop: Header=BB369_10 Depth=1
	v_mov_b32_e32 v1, 7
	s_mov_b32 s26, exec_lo
	v_and_b32_sdwa v125, v0, v1 dst_sel:DWORD dst_unused:UNUSED_PAD src0_sel:WORD_1 src1_sel:DWORD
	v_lshrrev_b32_e32 v1, 3, v2
	v_mov_b32_e32 v32, v125
	v_mov_b32_e32 v33, v126
	v_cmpx_gt_u32_e32 8, v2
; %bb.382:                              ;   in Loop: Header=BB369_10 Depth=1
	v_ffbh_u32_e32 v1, v125
	v_min_u32_e32 v1, 32, v1
	v_subrev_nc_u32_e32 v2, 28, v1
	v_sub_nc_u32_e32 v1, 29, v1
	v_lshlrev_b64 v[2:3], v2, v[125:126]
	v_and_b32_e32 v32, 7, v2
; %bb.383:                              ;   in Loop: Header=BB369_10 Depth=1
	s_or_b32 exec_lo, exec_lo, s26
	v_mov_b32_e32 v2, 24
	v_lshlrev_b32_e32 v3, 20, v32
	v_lshl_add_u32 v1, v1, 23, 0x3c000000
	v_lshlrev_b32_sdwa v2, v2, v0 dst_sel:DWORD dst_unused:UNUSED_PAD src0_sel:DWORD src1_sel:WORD_1
	v_and_b32_e32 v2, 0x80000000, v2
	v_or3_b32 v121, v3, v2, v1
.LBB369_384:                            ;   in Loop: Header=BB369_10 Depth=1
	s_or_b32 exec_lo, exec_lo, s25
.LBB369_385:                            ;   in Loop: Header=BB369_10 Depth=1
	s_or_b32 exec_lo, exec_lo, s24
.LBB369_386:                            ;   in Loop: Header=BB369_10 Depth=1
	s_or_b32 exec_lo, exec_lo, s17
	s_mov_b32 s17, exec_lo
	v_cmpx_lt_u32_e32 0xffffff, v0
	s_cbranch_execz .LBB369_394
; %bb.387:                              ;   in Loop: Header=BB369_10 Depth=1
	v_mov_b32_e32 v1, 0x80
	v_bfrev_b32_e32 v120, 1
	v_cmp_ne_u32_sdwa s7, v0, v1 src0_sel:BYTE_3 src1_sel:DWORD
	s_and_saveexec_b32 s24, s7
	s_cbranch_execz .LBB369_393
; %bb.388:                              ;   in Loop: Header=BB369_10 Depth=1
	v_bfe_u32 v2, v0, 24, 7
	v_mov_b32_e32 v120, 0x7f800001
	s_mov_b32 s25, exec_lo
	v_cmpx_ne_u32_e32 0x7f, v2
	s_cbranch_execz .LBB369_392
; %bb.389:                              ;   in Loop: Header=BB369_10 Depth=1
	v_mov_b32_e32 v1, 7
	s_mov_b32 s26, exec_lo
	v_and_b32_sdwa v125, v0, v1 dst_sel:DWORD dst_unused:UNUSED_PAD src0_sel:BYTE_3 src1_sel:DWORD
	v_lshrrev_b32_e32 v1, 3, v2
	v_mov_b32_e32 v32, v125
	v_mov_b32_e32 v33, v126
	v_cmpx_gt_u32_e32 8, v2
; %bb.390:                              ;   in Loop: Header=BB369_10 Depth=1
	v_ffbh_u32_e32 v1, v125
	v_min_u32_e32 v1, 32, v1
	v_subrev_nc_u32_e32 v2, 28, v1
	v_sub_nc_u32_e32 v1, 29, v1
	v_lshlrev_b64 v[2:3], v2, v[125:126]
	v_and_b32_e32 v32, 7, v2
; %bb.391:                              ;   in Loop: Header=BB369_10 Depth=1
	s_or_b32 exec_lo, exec_lo, s26
	v_mov_b32_e32 v2, 24
	v_lshl_add_u32 v1, v1, 23, 0x3c000000
	v_lshlrev_b32_sdwa v0, v2, v0 dst_sel:DWORD dst_unused:UNUSED_PAD src0_sel:DWORD src1_sel:BYTE_3
	v_lshlrev_b32_e32 v2, 20, v32
	v_and_b32_e32 v0, 0x80000000, v0
	v_or3_b32 v120, v2, v0, v1
.LBB369_392:                            ;   in Loop: Header=BB369_10 Depth=1
	s_or_b32 exec_lo, exec_lo, s25
.LBB369_393:                            ;   in Loop: Header=BB369_10 Depth=1
	s_or_b32 exec_lo, exec_lo, s24
.LBB369_394:                            ;   in Loop: Header=BB369_10 Depth=1
	s_or_b32 exec_lo, exec_lo, s17
	flat_load_dword v0, v[30:31] offset:1536
	v_mov_b32_e32 v123, 0
	v_mov_b32_e32 v122, 0
	s_waitcnt vmcnt(0) lgkmcnt(0)
	v_cmp_ne_u16_sdwa s7, v0, v126 src0_sel:BYTE_0 src1_sel:DWORD
	s_and_saveexec_b32 s17, s7
	s_cbranch_execz .LBB369_402
; %bb.395:                              ;   in Loop: Header=BB369_10 Depth=1
	v_mov_b32_e32 v1, 0x80
	v_bfrev_b32_e32 v122, 1
	v_cmp_ne_u16_sdwa s7, v0, v1 src0_sel:BYTE_0 src1_sel:DWORD
	s_and_saveexec_b32 s24, s7
	s_cbranch_execz .LBB369_401
; %bb.396:                              ;   in Loop: Header=BB369_10 Depth=1
	v_and_b32_e32 v2, 0x7f, v0
	v_mov_b32_e32 v122, 0x7f800001
	s_mov_b32 s25, exec_lo
	v_cmpx_ne_u32_e32 0x7f, v2
	s_cbranch_execz .LBB369_400
; %bb.397:                              ;   in Loop: Header=BB369_10 Depth=1
	v_and_b32_e32 v125, 7, v0
	v_lshrrev_b32_e32 v1, 3, v2
	s_mov_b32 s26, exec_lo
	v_mov_b32_e32 v32, v125
	v_mov_b32_e32 v33, v126
	v_cmpx_gt_u32_e32 8, v2
; %bb.398:                              ;   in Loop: Header=BB369_10 Depth=1
	v_ffbh_u32_e32 v1, v125
	v_min_u32_e32 v1, 32, v1
	v_subrev_nc_u32_e32 v2, 28, v1
	v_sub_nc_u32_e32 v1, 29, v1
	v_lshlrev_b64 v[2:3], v2, v[125:126]
	v_and_b32_e32 v32, 7, v2
; %bb.399:                              ;   in Loop: Header=BB369_10 Depth=1
	s_or_b32 exec_lo, exec_lo, s26
	v_lshlrev_b32_e32 v2, 24, v0
	v_lshlrev_b32_e32 v3, 20, v32
	v_lshl_add_u32 v1, v1, 23, 0x3c000000
	v_and_b32_e32 v2, 0x80000000, v2
	v_or3_b32 v122, v3, v2, v1
.LBB369_400:                            ;   in Loop: Header=BB369_10 Depth=1
	s_or_b32 exec_lo, exec_lo, s25
.LBB369_401:                            ;   in Loop: Header=BB369_10 Depth=1
	s_or_b32 exec_lo, exec_lo, s24
.LBB369_402:                            ;   in Loop: Header=BB369_10 Depth=1
	s_or_b32 exec_lo, exec_lo, s17
	v_cmp_ne_u16_sdwa s7, v0, v126 src0_sel:BYTE_1 src1_sel:DWORD
	s_and_saveexec_b32 s17, s7
	s_cbranch_execz .LBB369_410
; %bb.403:                              ;   in Loop: Header=BB369_10 Depth=1
	v_mov_b32_e32 v1, 0x80
	v_bfrev_b32_e32 v123, 1
	v_cmp_ne_u16_sdwa s7, v0, v1 src0_sel:BYTE_1 src1_sel:DWORD
	s_and_saveexec_b32 s24, s7
	s_cbranch_execz .LBB369_409
; %bb.404:                              ;   in Loop: Header=BB369_10 Depth=1
	v_mov_b32_e32 v1, 0xffff
	v_mov_b32_e32 v123, 0x7f800001
	s_mov_b32 s25, exec_lo
	v_and_b32_sdwa v1, v1, v0 dst_sel:DWORD dst_unused:UNUSED_PAD src0_sel:DWORD src1_sel:BYTE_1
	v_and_b32_e32 v2, 0x7f, v1
	v_cmpx_ne_u32_e32 0x7f, v2
	s_cbranch_execz .LBB369_408
; %bb.405:                              ;   in Loop: Header=BB369_10 Depth=1
	v_and_b32_e32 v125, 7, v1
	v_lshrrev_b32_e32 v1, 3, v2
	s_mov_b32 s26, exec_lo
	v_mov_b32_e32 v32, v125
	v_mov_b32_e32 v33, v126
	v_cmpx_gt_u32_e32 8, v2
; %bb.406:                              ;   in Loop: Header=BB369_10 Depth=1
	v_ffbh_u32_e32 v1, v125
	v_min_u32_e32 v1, 32, v1
	v_subrev_nc_u32_e32 v2, 28, v1
	v_sub_nc_u32_e32 v1, 29, v1
	v_lshlrev_b64 v[2:3], v2, v[125:126]
	v_and_b32_e32 v32, 7, v2
; %bb.407:                              ;   in Loop: Header=BB369_10 Depth=1
	s_or_b32 exec_lo, exec_lo, s26
	v_lshlrev_b32_e32 v2, 16, v0
	v_lshlrev_b32_e32 v3, 20, v32
	v_lshl_add_u32 v1, v1, 23, 0x3c000000
	v_and_b32_e32 v2, 0x80000000, v2
	v_or3_b32 v123, v3, v2, v1
.LBB369_408:                            ;   in Loop: Header=BB369_10 Depth=1
	s_or_b32 exec_lo, exec_lo, s25
.LBB369_409:                            ;   in Loop: Header=BB369_10 Depth=1
	s_or_b32 exec_lo, exec_lo, s24
.LBB369_410:                            ;   in Loop: Header=BB369_10 Depth=1
	s_or_b32 exec_lo, exec_lo, s17
	v_mov_b32_e32 v1, 0xff
	v_mov_b32_e32 v124, 0
	v_mov_b32_e32 v97, 0
	s_mov_b32 s17, exec_lo
	v_and_b32_sdwa v1, v0, v1 dst_sel:DWORD dst_unused:UNUSED_PAD src0_sel:WORD_1 src1_sel:DWORD
	v_cmpx_ne_u16_e32 0, v1
	s_cbranch_execz .LBB369_418
; %bb.411:                              ;   in Loop: Header=BB369_10 Depth=1
	v_bfrev_b32_e32 v97, 1
	s_mov_b32 s24, exec_lo
	v_cmpx_ne_u16_e32 0x80, v1
	s_cbranch_execz .LBB369_417
; %bb.412:                              ;   in Loop: Header=BB369_10 Depth=1
	v_bfe_u32 v2, v0, 16, 7
	v_mov_b32_e32 v97, 0x7f800001
	s_mov_b32 s25, exec_lo
	v_cmpx_ne_u32_e32 0x7f, v2
	s_cbranch_execz .LBB369_416
; %bb.413:                              ;   in Loop: Header=BB369_10 Depth=1
	v_mov_b32_e32 v1, 7
	s_mov_b32 s26, exec_lo
	v_and_b32_sdwa v125, v0, v1 dst_sel:DWORD dst_unused:UNUSED_PAD src0_sel:WORD_1 src1_sel:DWORD
	v_lshrrev_b32_e32 v1, 3, v2
	v_mov_b32_e32 v32, v125
	v_mov_b32_e32 v33, v126
	v_cmpx_gt_u32_e32 8, v2
; %bb.414:                              ;   in Loop: Header=BB369_10 Depth=1
	v_ffbh_u32_e32 v1, v125
	v_min_u32_e32 v1, 32, v1
	v_subrev_nc_u32_e32 v2, 28, v1
	v_sub_nc_u32_e32 v1, 29, v1
	v_lshlrev_b64 v[2:3], v2, v[125:126]
	v_and_b32_e32 v32, 7, v2
; %bb.415:                              ;   in Loop: Header=BB369_10 Depth=1
	s_or_b32 exec_lo, exec_lo, s26
	v_mov_b32_e32 v2, 24
	v_lshlrev_b32_e32 v3, 20, v32
	v_lshl_add_u32 v1, v1, 23, 0x3c000000
	v_lshlrev_b32_sdwa v2, v2, v0 dst_sel:DWORD dst_unused:UNUSED_PAD src0_sel:DWORD src1_sel:WORD_1
	v_and_b32_e32 v2, 0x80000000, v2
	v_or3_b32 v97, v3, v2, v1
.LBB369_416:                            ;   in Loop: Header=BB369_10 Depth=1
	s_or_b32 exec_lo, exec_lo, s25
.LBB369_417:                            ;   in Loop: Header=BB369_10 Depth=1
	s_or_b32 exec_lo, exec_lo, s24
.LBB369_418:                            ;   in Loop: Header=BB369_10 Depth=1
	s_or_b32 exec_lo, exec_lo, s17
	s_mov_b32 s17, exec_lo
	v_cmpx_lt_u32_e32 0xffffff, v0
	s_cbranch_execz .LBB369_426
; %bb.419:                              ;   in Loop: Header=BB369_10 Depth=1
	v_mov_b32_e32 v1, 0x80
	v_bfrev_b32_e32 v124, 1
	v_cmp_ne_u32_sdwa s7, v0, v1 src0_sel:BYTE_3 src1_sel:DWORD
	s_and_saveexec_b32 s24, s7
	s_cbranch_execz .LBB369_425
; %bb.420:                              ;   in Loop: Header=BB369_10 Depth=1
	v_bfe_u32 v2, v0, 24, 7
	v_mov_b32_e32 v124, 0x7f800001
	s_mov_b32 s25, exec_lo
	v_cmpx_ne_u32_e32 0x7f, v2
	s_cbranch_execz .LBB369_424
; %bb.421:                              ;   in Loop: Header=BB369_10 Depth=1
	v_mov_b32_e32 v1, 7
	s_mov_b32 s26, exec_lo
	v_and_b32_sdwa v125, v0, v1 dst_sel:DWORD dst_unused:UNUSED_PAD src0_sel:BYTE_3 src1_sel:DWORD
	v_lshrrev_b32_e32 v1, 3, v2
	v_mov_b32_e32 v32, v125
	v_mov_b32_e32 v33, v126
	v_cmpx_gt_u32_e32 8, v2
; %bb.422:                              ;   in Loop: Header=BB369_10 Depth=1
	v_ffbh_u32_e32 v1, v125
	v_min_u32_e32 v1, 32, v1
	v_subrev_nc_u32_e32 v2, 28, v1
	v_sub_nc_u32_e32 v1, 29, v1
	v_lshlrev_b64 v[2:3], v2, v[125:126]
	v_and_b32_e32 v32, 7, v2
; %bb.423:                              ;   in Loop: Header=BB369_10 Depth=1
	s_or_b32 exec_lo, exec_lo, s26
	v_mov_b32_e32 v2, 24
	v_lshl_add_u32 v1, v1, 23, 0x3c000000
	v_lshlrev_b32_sdwa v0, v2, v0 dst_sel:DWORD dst_unused:UNUSED_PAD src0_sel:DWORD src1_sel:BYTE_3
	v_lshlrev_b32_e32 v2, 20, v32
	v_and_b32_e32 v0, 0x80000000, v0
	v_or3_b32 v124, v2, v0, v1
.LBB369_424:                            ;   in Loop: Header=BB369_10 Depth=1
	s_or_b32 exec_lo, exec_lo, s25
.LBB369_425:                            ;   in Loop: Header=BB369_10 Depth=1
	s_or_b32 exec_lo, exec_lo, s24
.LBB369_426:                            ;   in Loop: Header=BB369_10 Depth=1
	s_or_b32 exec_lo, exec_lo, s17
	flat_load_dword v0, v[30:31] offset:1544
	v_mov_b32_e32 v96, 0
	v_mov_b32_e32 v112, 0
	s_waitcnt vmcnt(0) lgkmcnt(0)
	v_cmp_ne_u16_sdwa s7, v0, v126 src0_sel:BYTE_0 src1_sel:DWORD
	s_and_saveexec_b32 s17, s7
	s_cbranch_execz .LBB369_434
; %bb.427:                              ;   in Loop: Header=BB369_10 Depth=1
	v_mov_b32_e32 v1, 0x80
	v_bfrev_b32_e32 v112, 1
	v_cmp_ne_u16_sdwa s7, v0, v1 src0_sel:BYTE_0 src1_sel:DWORD
	s_and_saveexec_b32 s24, s7
	s_cbranch_execz .LBB369_433
; %bb.428:                              ;   in Loop: Header=BB369_10 Depth=1
	v_and_b32_e32 v2, 0x7f, v0
	v_mov_b32_e32 v112, 0x7f800001
	s_mov_b32 s25, exec_lo
	v_cmpx_ne_u32_e32 0x7f, v2
	s_cbranch_execz .LBB369_432
; %bb.429:                              ;   in Loop: Header=BB369_10 Depth=1
	v_and_b32_e32 v125, 7, v0
	v_lshrrev_b32_e32 v1, 3, v2
	s_mov_b32 s26, exec_lo
	v_mov_b32_e32 v32, v125
	v_mov_b32_e32 v33, v126
	v_cmpx_gt_u32_e32 8, v2
; %bb.430:                              ;   in Loop: Header=BB369_10 Depth=1
	v_ffbh_u32_e32 v1, v125
	v_min_u32_e32 v1, 32, v1
	v_subrev_nc_u32_e32 v2, 28, v1
	v_sub_nc_u32_e32 v1, 29, v1
	v_lshlrev_b64 v[2:3], v2, v[125:126]
	v_and_b32_e32 v32, 7, v2
; %bb.431:                              ;   in Loop: Header=BB369_10 Depth=1
	s_or_b32 exec_lo, exec_lo, s26
	v_lshlrev_b32_e32 v2, 24, v0
	v_lshlrev_b32_e32 v3, 20, v32
	v_lshl_add_u32 v1, v1, 23, 0x3c000000
	v_and_b32_e32 v2, 0x80000000, v2
	v_or3_b32 v112, v3, v2, v1
.LBB369_432:                            ;   in Loop: Header=BB369_10 Depth=1
	s_or_b32 exec_lo, exec_lo, s25
.LBB369_433:                            ;   in Loop: Header=BB369_10 Depth=1
	s_or_b32 exec_lo, exec_lo, s24
.LBB369_434:                            ;   in Loop: Header=BB369_10 Depth=1
	s_or_b32 exec_lo, exec_lo, s17
	v_cmp_ne_u16_sdwa s7, v0, v126 src0_sel:BYTE_1 src1_sel:DWORD
	s_and_saveexec_b32 s17, s7
	s_cbranch_execz .LBB369_442
; %bb.435:                              ;   in Loop: Header=BB369_10 Depth=1
	v_mov_b32_e32 v1, 0x80
	v_bfrev_b32_e32 v96, 1
	v_cmp_ne_u16_sdwa s7, v0, v1 src0_sel:BYTE_1 src1_sel:DWORD
	s_and_saveexec_b32 s24, s7
	s_cbranch_execz .LBB369_441
; %bb.436:                              ;   in Loop: Header=BB369_10 Depth=1
	v_mov_b32_e32 v1, 0xffff
	v_mov_b32_e32 v96, 0x7f800001
	s_mov_b32 s25, exec_lo
	v_and_b32_sdwa v1, v1, v0 dst_sel:DWORD dst_unused:UNUSED_PAD src0_sel:DWORD src1_sel:BYTE_1
	v_and_b32_e32 v2, 0x7f, v1
	v_cmpx_ne_u32_e32 0x7f, v2
	s_cbranch_execz .LBB369_440
; %bb.437:                              ;   in Loop: Header=BB369_10 Depth=1
	v_and_b32_e32 v125, 7, v1
	v_lshrrev_b32_e32 v1, 3, v2
	s_mov_b32 s26, exec_lo
	v_mov_b32_e32 v32, v125
	v_mov_b32_e32 v33, v126
	v_cmpx_gt_u32_e32 8, v2
; %bb.438:                              ;   in Loop: Header=BB369_10 Depth=1
	v_ffbh_u32_e32 v1, v125
	v_min_u32_e32 v1, 32, v1
	v_subrev_nc_u32_e32 v2, 28, v1
	v_sub_nc_u32_e32 v1, 29, v1
	v_lshlrev_b64 v[2:3], v2, v[125:126]
	v_and_b32_e32 v32, 7, v2
; %bb.439:                              ;   in Loop: Header=BB369_10 Depth=1
	s_or_b32 exec_lo, exec_lo, s26
	v_lshlrev_b32_e32 v2, 16, v0
	v_lshlrev_b32_e32 v3, 20, v32
	v_lshl_add_u32 v1, v1, 23, 0x3c000000
	v_and_b32_e32 v2, 0x80000000, v2
	v_or3_b32 v96, v3, v2, v1
.LBB369_440:                            ;   in Loop: Header=BB369_10 Depth=1
	s_or_b32 exec_lo, exec_lo, s25
.LBB369_441:                            ;   in Loop: Header=BB369_10 Depth=1
	s_or_b32 exec_lo, exec_lo, s24
.LBB369_442:                            ;   in Loop: Header=BB369_10 Depth=1
	s_or_b32 exec_lo, exec_lo, s17
	v_mov_b32_e32 v1, 0xff
	v_mov_b32_e32 v34, 0
	;; [unrolled: 1-line block ×3, first 2 shown]
	s_mov_b32 s17, exec_lo
	v_and_b32_sdwa v1, v0, v1 dst_sel:DWORD dst_unused:UNUSED_PAD src0_sel:WORD_1 src1_sel:DWORD
	v_cmpx_ne_u16_e32 0, v1
	s_cbranch_execz .LBB369_450
; %bb.443:                              ;   in Loop: Header=BB369_10 Depth=1
	v_bfrev_b32_e32 v38, 1
	s_mov_b32 s24, exec_lo
	v_cmpx_ne_u16_e32 0x80, v1
	s_cbranch_execz .LBB369_449
; %bb.444:                              ;   in Loop: Header=BB369_10 Depth=1
	v_bfe_u32 v2, v0, 16, 7
	v_mov_b32_e32 v38, 0x7f800001
	s_mov_b32 s25, exec_lo
	v_cmpx_ne_u32_e32 0x7f, v2
	s_cbranch_execz .LBB369_448
; %bb.445:                              ;   in Loop: Header=BB369_10 Depth=1
	v_mov_b32_e32 v1, 7
	s_mov_b32 s26, exec_lo
	v_and_b32_sdwa v125, v0, v1 dst_sel:DWORD dst_unused:UNUSED_PAD src0_sel:WORD_1 src1_sel:DWORD
	v_lshrrev_b32_e32 v1, 3, v2
	v_mov_b32_e32 v32, v125
	v_mov_b32_e32 v33, v126
	v_cmpx_gt_u32_e32 8, v2
; %bb.446:                              ;   in Loop: Header=BB369_10 Depth=1
	v_ffbh_u32_e32 v1, v125
	v_min_u32_e32 v1, 32, v1
	v_subrev_nc_u32_e32 v2, 28, v1
	v_sub_nc_u32_e32 v1, 29, v1
	v_lshlrev_b64 v[2:3], v2, v[125:126]
	v_and_b32_e32 v32, 7, v2
; %bb.447:                              ;   in Loop: Header=BB369_10 Depth=1
	s_or_b32 exec_lo, exec_lo, s26
	v_mov_b32_e32 v2, 24
	v_lshlrev_b32_e32 v3, 20, v32
	v_lshl_add_u32 v1, v1, 23, 0x3c000000
	v_lshlrev_b32_sdwa v2, v2, v0 dst_sel:DWORD dst_unused:UNUSED_PAD src0_sel:DWORD src1_sel:WORD_1
	v_and_b32_e32 v2, 0x80000000, v2
	v_or3_b32 v38, v3, v2, v1
.LBB369_448:                            ;   in Loop: Header=BB369_10 Depth=1
	s_or_b32 exec_lo, exec_lo, s25
.LBB369_449:                            ;   in Loop: Header=BB369_10 Depth=1
	s_or_b32 exec_lo, exec_lo, s24
.LBB369_450:                            ;   in Loop: Header=BB369_10 Depth=1
	s_or_b32 exec_lo, exec_lo, s17
	s_mov_b32 s17, exec_lo
	v_cmpx_lt_u32_e32 0xffffff, v0
	s_cbranch_execz .LBB369_458
; %bb.451:                              ;   in Loop: Header=BB369_10 Depth=1
	v_mov_b32_e32 v1, 0x80
	v_bfrev_b32_e32 v34, 1
	v_cmp_ne_u32_sdwa s7, v0, v1 src0_sel:BYTE_3 src1_sel:DWORD
	s_and_saveexec_b32 s24, s7
	s_cbranch_execz .LBB369_457
; %bb.452:                              ;   in Loop: Header=BB369_10 Depth=1
	v_bfe_u32 v2, v0, 24, 7
	v_mov_b32_e32 v34, 0x7f800001
	s_mov_b32 s25, exec_lo
	v_cmpx_ne_u32_e32 0x7f, v2
	s_cbranch_execz .LBB369_456
; %bb.453:                              ;   in Loop: Header=BB369_10 Depth=1
	v_mov_b32_e32 v1, 7
	s_mov_b32 s26, exec_lo
	v_and_b32_sdwa v125, v0, v1 dst_sel:DWORD dst_unused:UNUSED_PAD src0_sel:BYTE_3 src1_sel:DWORD
	v_lshrrev_b32_e32 v1, 3, v2
	v_mov_b32_e32 v32, v125
	v_mov_b32_e32 v33, v126
	v_cmpx_gt_u32_e32 8, v2
; %bb.454:                              ;   in Loop: Header=BB369_10 Depth=1
	v_ffbh_u32_e32 v1, v125
	v_min_u32_e32 v1, 32, v1
	v_subrev_nc_u32_e32 v2, 28, v1
	v_sub_nc_u32_e32 v1, 29, v1
	v_lshlrev_b64 v[2:3], v2, v[125:126]
	v_and_b32_e32 v32, 7, v2
; %bb.455:                              ;   in Loop: Header=BB369_10 Depth=1
	s_or_b32 exec_lo, exec_lo, s26
	v_mov_b32_e32 v2, 24
	v_lshl_add_u32 v1, v1, 23, 0x3c000000
	v_lshlrev_b32_sdwa v0, v2, v0 dst_sel:DWORD dst_unused:UNUSED_PAD src0_sel:DWORD src1_sel:BYTE_3
	v_lshlrev_b32_e32 v2, 20, v32
	v_and_b32_e32 v0, 0x80000000, v0
	v_or3_b32 v34, v2, v0, v1
.LBB369_456:                            ;   in Loop: Header=BB369_10 Depth=1
	s_or_b32 exec_lo, exec_lo, s25
.LBB369_457:                            ;   in Loop: Header=BB369_10 Depth=1
	s_or_b32 exec_lo, exec_lo, s24
.LBB369_458:                            ;   in Loop: Header=BB369_10 Depth=1
	s_or_b32 exec_lo, exec_lo, s17
	flat_load_dword v0, v[30:31] offset:1792
	v_mov_b32_e32 v4, 0
	v_mov_b32_e32 v5, 0
	s_waitcnt vmcnt(0) lgkmcnt(0)
	v_cmp_ne_u16_sdwa s7, v0, v126 src0_sel:BYTE_0 src1_sel:DWORD
	s_and_saveexec_b32 s17, s7
	s_cbranch_execz .LBB369_466
; %bb.459:                              ;   in Loop: Header=BB369_10 Depth=1
	v_mov_b32_e32 v1, 0x80
	v_bfrev_b32_e32 v5, 1
	v_cmp_ne_u16_sdwa s7, v0, v1 src0_sel:BYTE_0 src1_sel:DWORD
	s_and_saveexec_b32 s24, s7
	s_cbranch_execz .LBB369_465
; %bb.460:                              ;   in Loop: Header=BB369_10 Depth=1
	v_and_b32_e32 v2, 0x7f, v0
	v_mov_b32_e32 v5, 0x7f800001
	s_mov_b32 s25, exec_lo
	v_cmpx_ne_u32_e32 0x7f, v2
	s_cbranch_execz .LBB369_464
; %bb.461:                              ;   in Loop: Header=BB369_10 Depth=1
	v_and_b32_e32 v125, 7, v0
	v_lshrrev_b32_e32 v1, 3, v2
	s_mov_b32 s26, exec_lo
	v_mov_b32_e32 v32, v125
	v_mov_b32_e32 v33, v126
	v_cmpx_gt_u32_e32 8, v2
; %bb.462:                              ;   in Loop: Header=BB369_10 Depth=1
	v_ffbh_u32_e32 v1, v125
	v_min_u32_e32 v1, 32, v1
	v_subrev_nc_u32_e32 v2, 28, v1
	v_sub_nc_u32_e32 v1, 29, v1
	v_lshlrev_b64 v[2:3], v2, v[125:126]
	v_and_b32_e32 v32, 7, v2
; %bb.463:                              ;   in Loop: Header=BB369_10 Depth=1
	s_or_b32 exec_lo, exec_lo, s26
	v_lshlrev_b32_e32 v2, 24, v0
	v_lshlrev_b32_e32 v3, 20, v32
	v_lshl_add_u32 v1, v1, 23, 0x3c000000
	v_and_b32_e32 v2, 0x80000000, v2
	v_or3_b32 v5, v3, v2, v1
.LBB369_464:                            ;   in Loop: Header=BB369_10 Depth=1
	s_or_b32 exec_lo, exec_lo, s25
.LBB369_465:                            ;   in Loop: Header=BB369_10 Depth=1
	s_or_b32 exec_lo, exec_lo, s24
.LBB369_466:                            ;   in Loop: Header=BB369_10 Depth=1
	s_or_b32 exec_lo, exec_lo, s17
	v_cmp_ne_u16_sdwa s7, v0, v126 src0_sel:BYTE_1 src1_sel:DWORD
	s_and_saveexec_b32 s17, s7
	s_cbranch_execz .LBB369_474
; %bb.467:                              ;   in Loop: Header=BB369_10 Depth=1
	v_mov_b32_e32 v1, 0x80
	v_bfrev_b32_e32 v4, 1
	v_cmp_ne_u16_sdwa s7, v0, v1 src0_sel:BYTE_1 src1_sel:DWORD
	s_and_saveexec_b32 s24, s7
	s_cbranch_execz .LBB369_473
; %bb.468:                              ;   in Loop: Header=BB369_10 Depth=1
	v_mov_b32_e32 v1, 0xffff
	v_mov_b32_e32 v4, 0x7f800001
	s_mov_b32 s25, exec_lo
	v_and_b32_sdwa v1, v1, v0 dst_sel:DWORD dst_unused:UNUSED_PAD src0_sel:DWORD src1_sel:BYTE_1
	v_and_b32_e32 v2, 0x7f, v1
	v_cmpx_ne_u32_e32 0x7f, v2
	s_cbranch_execz .LBB369_472
; %bb.469:                              ;   in Loop: Header=BB369_10 Depth=1
	v_and_b32_e32 v125, 7, v1
	v_lshrrev_b32_e32 v1, 3, v2
	s_mov_b32 s26, exec_lo
	v_mov_b32_e32 v32, v125
	v_mov_b32_e32 v33, v126
	v_cmpx_gt_u32_e32 8, v2
; %bb.470:                              ;   in Loop: Header=BB369_10 Depth=1
	v_ffbh_u32_e32 v1, v125
	v_min_u32_e32 v1, 32, v1
	v_subrev_nc_u32_e32 v2, 28, v1
	v_sub_nc_u32_e32 v1, 29, v1
	v_lshlrev_b64 v[2:3], v2, v[125:126]
	v_and_b32_e32 v32, 7, v2
; %bb.471:                              ;   in Loop: Header=BB369_10 Depth=1
	s_or_b32 exec_lo, exec_lo, s26
	v_lshlrev_b32_e32 v2, 16, v0
	v_lshlrev_b32_e32 v3, 20, v32
	v_lshl_add_u32 v1, v1, 23, 0x3c000000
	v_and_b32_e32 v2, 0x80000000, v2
	v_or3_b32 v4, v3, v2, v1
.LBB369_472:                            ;   in Loop: Header=BB369_10 Depth=1
	s_or_b32 exec_lo, exec_lo, s25
.LBB369_473:                            ;   in Loop: Header=BB369_10 Depth=1
	s_or_b32 exec_lo, exec_lo, s24
.LBB369_474:                            ;   in Loop: Header=BB369_10 Depth=1
	s_or_b32 exec_lo, exec_lo, s17
	v_mov_b32_e32 v1, 0xff
	v_mov_b32_e32 v36, 0
	;; [unrolled: 1-line block ×3, first 2 shown]
	s_mov_b32 s17, exec_lo
	v_and_b32_sdwa v1, v0, v1 dst_sel:DWORD dst_unused:UNUSED_PAD src0_sel:WORD_1 src1_sel:DWORD
	v_cmpx_ne_u16_e32 0, v1
	s_cbranch_execz .LBB369_482
; %bb.475:                              ;   in Loop: Header=BB369_10 Depth=1
	v_bfrev_b32_e32 v67, 1
	s_mov_b32 s24, exec_lo
	v_cmpx_ne_u16_e32 0x80, v1
	s_cbranch_execz .LBB369_481
; %bb.476:                              ;   in Loop: Header=BB369_10 Depth=1
	v_bfe_u32 v2, v0, 16, 7
	v_mov_b32_e32 v67, 0x7f800001
	s_mov_b32 s25, exec_lo
	v_cmpx_ne_u32_e32 0x7f, v2
	s_cbranch_execz .LBB369_480
; %bb.477:                              ;   in Loop: Header=BB369_10 Depth=1
	v_mov_b32_e32 v1, 7
	s_mov_b32 s26, exec_lo
	v_and_b32_sdwa v125, v0, v1 dst_sel:DWORD dst_unused:UNUSED_PAD src0_sel:WORD_1 src1_sel:DWORD
	v_lshrrev_b32_e32 v1, 3, v2
	v_mov_b32_e32 v32, v125
	v_mov_b32_e32 v33, v126
	v_cmpx_gt_u32_e32 8, v2
; %bb.478:                              ;   in Loop: Header=BB369_10 Depth=1
	v_ffbh_u32_e32 v1, v125
	v_min_u32_e32 v1, 32, v1
	v_subrev_nc_u32_e32 v2, 28, v1
	v_sub_nc_u32_e32 v1, 29, v1
	v_lshlrev_b64 v[2:3], v2, v[125:126]
	v_and_b32_e32 v32, 7, v2
; %bb.479:                              ;   in Loop: Header=BB369_10 Depth=1
	s_or_b32 exec_lo, exec_lo, s26
	v_mov_b32_e32 v2, 24
	v_lshlrev_b32_e32 v3, 20, v32
	v_lshl_add_u32 v1, v1, 23, 0x3c000000
	v_lshlrev_b32_sdwa v2, v2, v0 dst_sel:DWORD dst_unused:UNUSED_PAD src0_sel:DWORD src1_sel:WORD_1
	v_and_b32_e32 v2, 0x80000000, v2
	v_or3_b32 v67, v3, v2, v1
.LBB369_480:                            ;   in Loop: Header=BB369_10 Depth=1
	s_or_b32 exec_lo, exec_lo, s25
.LBB369_481:                            ;   in Loop: Header=BB369_10 Depth=1
	s_or_b32 exec_lo, exec_lo, s24
.LBB369_482:                            ;   in Loop: Header=BB369_10 Depth=1
	s_or_b32 exec_lo, exec_lo, s17
	s_mov_b32 s17, exec_lo
	v_cmpx_lt_u32_e32 0xffffff, v0
	s_cbranch_execz .LBB369_490
; %bb.483:                              ;   in Loop: Header=BB369_10 Depth=1
	v_mov_b32_e32 v1, 0x80
	v_bfrev_b32_e32 v36, 1
	v_cmp_ne_u32_sdwa s7, v0, v1 src0_sel:BYTE_3 src1_sel:DWORD
	s_and_saveexec_b32 s24, s7
	s_cbranch_execz .LBB369_489
; %bb.484:                              ;   in Loop: Header=BB369_10 Depth=1
	v_bfe_u32 v2, v0, 24, 7
	v_mov_b32_e32 v36, 0x7f800001
	s_mov_b32 s25, exec_lo
	v_cmpx_ne_u32_e32 0x7f, v2
	s_cbranch_execz .LBB369_488
; %bb.485:                              ;   in Loop: Header=BB369_10 Depth=1
	v_mov_b32_e32 v1, 7
	s_mov_b32 s26, exec_lo
	v_and_b32_sdwa v125, v0, v1 dst_sel:DWORD dst_unused:UNUSED_PAD src0_sel:BYTE_3 src1_sel:DWORD
	v_lshrrev_b32_e32 v1, 3, v2
	v_mov_b32_e32 v32, v125
	v_mov_b32_e32 v33, v126
	v_cmpx_gt_u32_e32 8, v2
; %bb.486:                              ;   in Loop: Header=BB369_10 Depth=1
	v_ffbh_u32_e32 v1, v125
	v_min_u32_e32 v1, 32, v1
	v_subrev_nc_u32_e32 v2, 28, v1
	v_sub_nc_u32_e32 v1, 29, v1
	v_lshlrev_b64 v[2:3], v2, v[125:126]
	v_and_b32_e32 v32, 7, v2
; %bb.487:                              ;   in Loop: Header=BB369_10 Depth=1
	s_or_b32 exec_lo, exec_lo, s26
	v_mov_b32_e32 v2, 24
	v_lshl_add_u32 v1, v1, 23, 0x3c000000
	v_lshlrev_b32_sdwa v0, v2, v0 dst_sel:DWORD dst_unused:UNUSED_PAD src0_sel:DWORD src1_sel:BYTE_3
	v_lshlrev_b32_e32 v2, 20, v32
	v_and_b32_e32 v0, 0x80000000, v0
	v_or3_b32 v36, v2, v0, v1
.LBB369_488:                            ;   in Loop: Header=BB369_10 Depth=1
	s_or_b32 exec_lo, exec_lo, s25
.LBB369_489:                            ;   in Loop: Header=BB369_10 Depth=1
	s_or_b32 exec_lo, exec_lo, s24
.LBB369_490:                            ;   in Loop: Header=BB369_10 Depth=1
	s_or_b32 exec_lo, exec_lo, s17
	flat_load_dword v0, v[30:31] offset:1800
	v_mov_b32_e32 v33, 0
	v_mov_b32_e32 v32, 0
	s_waitcnt vmcnt(0) lgkmcnt(0)
	v_cmp_ne_u16_sdwa s7, v0, v126 src0_sel:BYTE_0 src1_sel:DWORD
	s_and_saveexec_b32 s17, s7
	s_cbranch_execz .LBB369_498
; %bb.491:                              ;   in Loop: Header=BB369_10 Depth=1
	v_mov_b32_e32 v1, 0x80
	v_bfrev_b32_e32 v32, 1
	v_cmp_ne_u16_sdwa s7, v0, v1 src0_sel:BYTE_0 src1_sel:DWORD
	s_and_saveexec_b32 s24, s7
	s_cbranch_execz .LBB369_497
; %bb.492:                              ;   in Loop: Header=BB369_10 Depth=1
	v_and_b32_e32 v2, 0x7f, v0
	v_mov_b32_e32 v32, 0x7f800001
	s_mov_b32 s25, exec_lo
	v_cmpx_ne_u32_e32 0x7f, v2
	s_cbranch_execz .LBB369_496
; %bb.493:                              ;   in Loop: Header=BB369_10 Depth=1
	v_and_b32_e32 v125, 7, v0
	v_lshrrev_b32_e32 v1, 3, v2
	s_mov_b32 s26, exec_lo
	v_mov_b32_e32 v30, v125
	v_mov_b32_e32 v31, v126
	v_cmpx_gt_u32_e32 8, v2
; %bb.494:                              ;   in Loop: Header=BB369_10 Depth=1
	v_ffbh_u32_e32 v1, v125
	v_min_u32_e32 v1, 32, v1
	v_subrev_nc_u32_e32 v2, 28, v1
	v_sub_nc_u32_e32 v1, 29, v1
	v_lshlrev_b64 v[2:3], v2, v[125:126]
	v_and_b32_e32 v30, 7, v2
; %bb.495:                              ;   in Loop: Header=BB369_10 Depth=1
	s_or_b32 exec_lo, exec_lo, s26
	v_lshlrev_b32_e32 v2, 24, v0
	v_lshlrev_b32_e32 v3, 20, v30
	v_lshl_add_u32 v1, v1, 23, 0x3c000000
	v_and_b32_e32 v2, 0x80000000, v2
	v_or3_b32 v32, v3, v2, v1
.LBB369_496:                            ;   in Loop: Header=BB369_10 Depth=1
	s_or_b32 exec_lo, exec_lo, s25
.LBB369_497:                            ;   in Loop: Header=BB369_10 Depth=1
	s_or_b32 exec_lo, exec_lo, s24
.LBB369_498:                            ;   in Loop: Header=BB369_10 Depth=1
	s_or_b32 exec_lo, exec_lo, s17
	v_cmp_ne_u16_sdwa s7, v0, v126 src0_sel:BYTE_1 src1_sel:DWORD
	s_and_saveexec_b32 s17, s7
	s_cbranch_execz .LBB369_506
; %bb.499:                              ;   in Loop: Header=BB369_10 Depth=1
	v_mov_b32_e32 v1, 0x80
	v_bfrev_b32_e32 v33, 1
	v_cmp_ne_u16_sdwa s7, v0, v1 src0_sel:BYTE_1 src1_sel:DWORD
	s_and_saveexec_b32 s24, s7
	s_cbranch_execz .LBB369_505
; %bb.500:                              ;   in Loop: Header=BB369_10 Depth=1
	v_mov_b32_e32 v1, 0xffff
	v_mov_b32_e32 v33, 0x7f800001
	s_mov_b32 s25, exec_lo
	v_and_b32_sdwa v1, v1, v0 dst_sel:DWORD dst_unused:UNUSED_PAD src0_sel:DWORD src1_sel:BYTE_1
	v_and_b32_e32 v2, 0x7f, v1
	v_cmpx_ne_u32_e32 0x7f, v2
	s_cbranch_execz .LBB369_504
; %bb.501:                              ;   in Loop: Header=BB369_10 Depth=1
	v_and_b32_e32 v125, 7, v1
	v_lshrrev_b32_e32 v1, 3, v2
	s_mov_b32 s26, exec_lo
	v_mov_b32_e32 v30, v125
	v_mov_b32_e32 v31, v126
	v_cmpx_gt_u32_e32 8, v2
; %bb.502:                              ;   in Loop: Header=BB369_10 Depth=1
	v_ffbh_u32_e32 v1, v125
	v_min_u32_e32 v1, 32, v1
	v_subrev_nc_u32_e32 v2, 28, v1
	v_sub_nc_u32_e32 v1, 29, v1
	v_lshlrev_b64 v[2:3], v2, v[125:126]
	v_and_b32_e32 v30, 7, v2
; %bb.503:                              ;   in Loop: Header=BB369_10 Depth=1
	s_or_b32 exec_lo, exec_lo, s26
	v_lshlrev_b32_e32 v2, 16, v0
	v_lshlrev_b32_e32 v3, 20, v30
	v_lshl_add_u32 v1, v1, 23, 0x3c000000
	v_and_b32_e32 v2, 0x80000000, v2
	v_or3_b32 v33, v3, v2, v1
.LBB369_504:                            ;   in Loop: Header=BB369_10 Depth=1
	s_or_b32 exec_lo, exec_lo, s25
.LBB369_505:                            ;   in Loop: Header=BB369_10 Depth=1
	s_or_b32 exec_lo, exec_lo, s24
.LBB369_506:                            ;   in Loop: Header=BB369_10 Depth=1
	s_or_b32 exec_lo, exec_lo, s17
	v_mov_b32_e32 v1, 0xff
	v_mov_b32_e32 v12, 0
	;; [unrolled: 1-line block ×3, first 2 shown]
	s_mov_b32 s17, exec_lo
	v_and_b32_sdwa v1, v0, v1 dst_sel:DWORD dst_unused:UNUSED_PAD src0_sel:WORD_1 src1_sel:DWORD
	v_cmpx_ne_u16_e32 0, v1
	s_cbranch_execz .LBB369_514
; %bb.507:                              ;   in Loop: Header=BB369_10 Depth=1
	v_bfrev_b32_e32 v11, 1
	s_mov_b32 s24, exec_lo
	v_cmpx_ne_u16_e32 0x80, v1
	s_cbranch_execz .LBB369_513
; %bb.508:                              ;   in Loop: Header=BB369_10 Depth=1
	v_bfe_u32 v2, v0, 16, 7
	v_mov_b32_e32 v11, 0x7f800001
	s_mov_b32 s25, exec_lo
	v_cmpx_ne_u32_e32 0x7f, v2
	s_cbranch_execz .LBB369_512
; %bb.509:                              ;   in Loop: Header=BB369_10 Depth=1
	v_mov_b32_e32 v1, 7
	s_mov_b32 s26, exec_lo
	v_and_b32_sdwa v125, v0, v1 dst_sel:DWORD dst_unused:UNUSED_PAD src0_sel:WORD_1 src1_sel:DWORD
	v_lshrrev_b32_e32 v1, 3, v2
	v_mov_b32_e32 v30, v125
	v_mov_b32_e32 v31, v126
	v_cmpx_gt_u32_e32 8, v2
; %bb.510:                              ;   in Loop: Header=BB369_10 Depth=1
	v_ffbh_u32_e32 v1, v125
	v_min_u32_e32 v1, 32, v1
	v_subrev_nc_u32_e32 v2, 28, v1
	v_sub_nc_u32_e32 v1, 29, v1
	v_lshlrev_b64 v[2:3], v2, v[125:126]
	v_and_b32_e32 v30, 7, v2
; %bb.511:                              ;   in Loop: Header=BB369_10 Depth=1
	s_or_b32 exec_lo, exec_lo, s26
	v_mov_b32_e32 v2, 24
	v_lshlrev_b32_e32 v3, 20, v30
	v_lshl_add_u32 v1, v1, 23, 0x3c000000
	v_lshlrev_b32_sdwa v2, v2, v0 dst_sel:DWORD dst_unused:UNUSED_PAD src0_sel:DWORD src1_sel:WORD_1
	v_and_b32_e32 v2, 0x80000000, v2
	v_or3_b32 v11, v3, v2, v1
.LBB369_512:                            ;   in Loop: Header=BB369_10 Depth=1
	s_or_b32 exec_lo, exec_lo, s25
.LBB369_513:                            ;   in Loop: Header=BB369_10 Depth=1
	s_or_b32 exec_lo, exec_lo, s24
.LBB369_514:                            ;   in Loop: Header=BB369_10 Depth=1
	s_or_b32 exec_lo, exec_lo, s17
	s_mov_b32 s17, exec_lo
	v_cmpx_lt_u32_e32 0xffffff, v0
	s_cbranch_execz .LBB369_522
; %bb.515:                              ;   in Loop: Header=BB369_10 Depth=1
	v_mov_b32_e32 v1, 0x80
	v_bfrev_b32_e32 v12, 1
	v_cmp_ne_u32_sdwa s7, v0, v1 src0_sel:BYTE_3 src1_sel:DWORD
	s_and_saveexec_b32 s24, s7
	s_cbranch_execz .LBB369_521
; %bb.516:                              ;   in Loop: Header=BB369_10 Depth=1
	v_bfe_u32 v2, v0, 24, 7
	v_mov_b32_e32 v12, 0x7f800001
	s_mov_b32 s25, exec_lo
	v_cmpx_ne_u32_e32 0x7f, v2
	s_cbranch_execz .LBB369_520
; %bb.517:                              ;   in Loop: Header=BB369_10 Depth=1
	v_mov_b32_e32 v1, 7
	s_mov_b32 s26, exec_lo
	v_and_b32_sdwa v125, v0, v1 dst_sel:DWORD dst_unused:UNUSED_PAD src0_sel:BYTE_3 src1_sel:DWORD
	v_lshrrev_b32_e32 v1, 3, v2
	v_mov_b32_e32 v30, v125
	v_mov_b32_e32 v31, v126
	v_cmpx_gt_u32_e32 8, v2
; %bb.518:                              ;   in Loop: Header=BB369_10 Depth=1
	v_ffbh_u32_e32 v1, v125
	v_min_u32_e32 v1, 32, v1
	v_subrev_nc_u32_e32 v2, 28, v1
	v_sub_nc_u32_e32 v1, 29, v1
	v_lshlrev_b64 v[2:3], v2, v[125:126]
	v_and_b32_e32 v30, 7, v2
; %bb.519:                              ;   in Loop: Header=BB369_10 Depth=1
	s_or_b32 exec_lo, exec_lo, s26
	v_mov_b32_e32 v2, 24
	v_lshl_add_u32 v1, v1, 23, 0x3c000000
	v_lshlrev_b32_sdwa v0, v2, v0 dst_sel:DWORD dst_unused:UNUSED_PAD src0_sel:DWORD src1_sel:BYTE_3
	v_lshlrev_b32_e32 v2, 20, v30
	v_and_b32_e32 v0, 0x80000000, v0
	v_or3_b32 v12, v2, v0, v1
.LBB369_520:                            ;   in Loop: Header=BB369_10 Depth=1
	s_or_b32 exec_lo, exec_lo, s25
.LBB369_521:                            ;   in Loop: Header=BB369_10 Depth=1
	s_or_b32 exec_lo, exec_lo, s24
.LBB369_522:                            ;   in Loop: Header=BB369_10 Depth=1
	s_or_b32 exec_lo, exec_lo, s17
	buffer_load_dword v2, off, s[0:3], s32 offset:192 ; 4-byte Folded Reload
	v_add_co_u32 v0, s7, 0x800, v28
	v_add_co_ci_u32_e64 v1, null, 0, v29, s7
	v_mov_b32_e32 v66, 0
	v_mov_b32_e32 v10, 0
	s_waitcnt vmcnt(0)
	v_add_co_u32 v2, s7, v0, v2
	v_add_co_ci_u32_e64 v3, null, 0, v1, s7
	flat_load_dword v2, v[2:3]
	s_waitcnt vmcnt(0) lgkmcnt(0)
	v_cmp_ne_u16_sdwa s7, v2, v126 src0_sel:BYTE_0 src1_sel:DWORD
	s_and_saveexec_b32 s17, s7
	s_cbranch_execz .LBB369_530
; %bb.523:                              ;   in Loop: Header=BB369_10 Depth=1
	v_mov_b32_e32 v3, 0x80
	v_bfrev_b32_e32 v10, 1
	v_cmp_ne_u16_sdwa s7, v2, v3 src0_sel:BYTE_0 src1_sel:DWORD
	s_and_saveexec_b32 s24, s7
	s_cbranch_execz .LBB369_529
; %bb.524:                              ;   in Loop: Header=BB369_10 Depth=1
	v_and_b32_e32 v6, 0x7f, v2
	v_mov_b32_e32 v10, 0x7f800001
	s_mov_b32 s25, exec_lo
	v_cmpx_ne_u32_e32 0x7f, v6
	s_cbranch_execz .LBB369_528
; %bb.525:                              ;   in Loop: Header=BB369_10 Depth=1
	v_and_b32_e32 v125, 7, v2
	v_lshrrev_b32_e32 v3, 3, v6
	s_mov_b32 s26, exec_lo
	v_mov_b32_e32 v30, v125
	v_mov_b32_e32 v31, v126
	v_cmpx_gt_u32_e32 8, v6
; %bb.526:                              ;   in Loop: Header=BB369_10 Depth=1
	v_ffbh_u32_e32 v3, v125
	v_min_u32_e32 v3, 32, v3
	v_subrev_nc_u32_e32 v6, 28, v3
	v_sub_nc_u32_e32 v3, 29, v3
	v_lshlrev_b64 v[6:7], v6, v[125:126]
	v_and_b32_e32 v30, 7, v6
; %bb.527:                              ;   in Loop: Header=BB369_10 Depth=1
	s_or_b32 exec_lo, exec_lo, s26
	v_lshlrev_b32_e32 v6, 24, v2
	v_lshlrev_b32_e32 v7, 20, v30
	v_lshl_add_u32 v3, v3, 23, 0x3c000000
	v_and_b32_e32 v6, 0x80000000, v6
	v_or3_b32 v10, v7, v6, v3
.LBB369_528:                            ;   in Loop: Header=BB369_10 Depth=1
	s_or_b32 exec_lo, exec_lo, s25
.LBB369_529:                            ;   in Loop: Header=BB369_10 Depth=1
	s_or_b32 exec_lo, exec_lo, s24
.LBB369_530:                            ;   in Loop: Header=BB369_10 Depth=1
	s_or_b32 exec_lo, exec_lo, s17
	v_cmp_ne_u16_sdwa s7, v2, v126 src0_sel:BYTE_1 src1_sel:DWORD
	s_and_saveexec_b32 s17, s7
	s_cbranch_execz .LBB369_538
; %bb.531:                              ;   in Loop: Header=BB369_10 Depth=1
	v_mov_b32_e32 v3, 0x80
	v_bfrev_b32_e32 v66, 1
	v_cmp_ne_u16_sdwa s7, v2, v3 src0_sel:BYTE_1 src1_sel:DWORD
	s_and_saveexec_b32 s24, s7
	s_cbranch_execz .LBB369_537
; %bb.532:                              ;   in Loop: Header=BB369_10 Depth=1
	v_mov_b32_e32 v3, 0xffff
	v_mov_b32_e32 v66, 0x7f800001
	s_mov_b32 s25, exec_lo
	v_and_b32_sdwa v3, v3, v2 dst_sel:DWORD dst_unused:UNUSED_PAD src0_sel:DWORD src1_sel:BYTE_1
	v_and_b32_e32 v6, 0x7f, v3
	v_cmpx_ne_u32_e32 0x7f, v6
	s_cbranch_execz .LBB369_536
; %bb.533:                              ;   in Loop: Header=BB369_10 Depth=1
	v_and_b32_e32 v125, 7, v3
	v_lshrrev_b32_e32 v3, 3, v6
	s_mov_b32 s26, exec_lo
	v_mov_b32_e32 v30, v125
	v_mov_b32_e32 v31, v126
	v_cmpx_gt_u32_e32 8, v6
; %bb.534:                              ;   in Loop: Header=BB369_10 Depth=1
	v_ffbh_u32_e32 v3, v125
	v_min_u32_e32 v3, 32, v3
	v_subrev_nc_u32_e32 v6, 28, v3
	v_sub_nc_u32_e32 v3, 29, v3
	v_lshlrev_b64 v[6:7], v6, v[125:126]
	v_and_b32_e32 v30, 7, v6
; %bb.535:                              ;   in Loop: Header=BB369_10 Depth=1
	s_or_b32 exec_lo, exec_lo, s26
	v_lshlrev_b32_e32 v6, 16, v2
	v_lshlrev_b32_e32 v7, 20, v30
	v_lshl_add_u32 v3, v3, 23, 0x3c000000
	v_and_b32_e32 v6, 0x80000000, v6
	v_or3_b32 v66, v7, v6, v3
.LBB369_536:                            ;   in Loop: Header=BB369_10 Depth=1
	s_or_b32 exec_lo, exec_lo, s25
.LBB369_537:                            ;   in Loop: Header=BB369_10 Depth=1
	s_or_b32 exec_lo, exec_lo, s24
.LBB369_538:                            ;   in Loop: Header=BB369_10 Depth=1
	s_or_b32 exec_lo, exec_lo, s17
	v_mov_b32_e32 v3, 0xff
	v_mov_b32_e32 v6, 0
	;; [unrolled: 1-line block ×3, first 2 shown]
	s_mov_b32 s17, exec_lo
	v_and_b32_sdwa v3, v2, v3 dst_sel:DWORD dst_unused:UNUSED_PAD src0_sel:WORD_1 src1_sel:DWORD
	v_cmpx_ne_u16_e32 0, v3
	s_cbranch_execz .LBB369_546
; %bb.539:                              ;   in Loop: Header=BB369_10 Depth=1
	v_bfrev_b32_e32 v7, 1
	s_mov_b32 s24, exec_lo
	v_cmpx_ne_u16_e32 0x80, v3
	s_cbranch_execz .LBB369_545
; %bb.540:                              ;   in Loop: Header=BB369_10 Depth=1
	v_bfe_u32 v8, v2, 16, 7
	v_mov_b32_e32 v7, 0x7f800001
	s_mov_b32 s25, exec_lo
	v_cmpx_ne_u32_e32 0x7f, v8
	s_cbranch_execz .LBB369_544
; %bb.541:                              ;   in Loop: Header=BB369_10 Depth=1
	v_mov_b32_e32 v3, 7
	s_mov_b32 s26, exec_lo
	v_and_b32_sdwa v125, v2, v3 dst_sel:DWORD dst_unused:UNUSED_PAD src0_sel:WORD_1 src1_sel:DWORD
	v_lshrrev_b32_e32 v3, 3, v8
	v_mov_b32_e32 v30, v125
	v_mov_b32_e32 v31, v126
	v_cmpx_gt_u32_e32 8, v8
; %bb.542:                              ;   in Loop: Header=BB369_10 Depth=1
	v_ffbh_u32_e32 v3, v125
	v_min_u32_e32 v3, 32, v3
	v_subrev_nc_u32_e32 v7, 28, v3
	v_sub_nc_u32_e32 v3, 29, v3
	v_lshlrev_b64 v[7:8], v7, v[125:126]
	v_and_b32_e32 v30, 7, v7
; %bb.543:                              ;   in Loop: Header=BB369_10 Depth=1
	s_or_b32 exec_lo, exec_lo, s26
	v_mov_b32_e32 v7, 24
	v_lshlrev_b32_e32 v8, 20, v30
	v_lshl_add_u32 v3, v3, 23, 0x3c000000
	v_lshlrev_b32_sdwa v7, v7, v2 dst_sel:DWORD dst_unused:UNUSED_PAD src0_sel:DWORD src1_sel:WORD_1
	v_and_b32_e32 v7, 0x80000000, v7
	v_or3_b32 v7, v8, v7, v3
.LBB369_544:                            ;   in Loop: Header=BB369_10 Depth=1
	s_or_b32 exec_lo, exec_lo, s25
.LBB369_545:                            ;   in Loop: Header=BB369_10 Depth=1
	s_or_b32 exec_lo, exec_lo, s24
.LBB369_546:                            ;   in Loop: Header=BB369_10 Depth=1
	s_or_b32 exec_lo, exec_lo, s17
	s_mov_b32 s17, exec_lo
	v_cmpx_lt_u32_e32 0xffffff, v2
	s_cbranch_execz .LBB369_554
; %bb.547:                              ;   in Loop: Header=BB369_10 Depth=1
	v_mov_b32_e32 v3, 0x80
	v_bfrev_b32_e32 v6, 1
	v_cmp_ne_u32_sdwa s7, v2, v3 src0_sel:BYTE_3 src1_sel:DWORD
	s_and_saveexec_b32 s24, s7
	s_cbranch_execz .LBB369_553
; %bb.548:                              ;   in Loop: Header=BB369_10 Depth=1
	v_bfe_u32 v8, v2, 24, 7
	v_mov_b32_e32 v6, 0x7f800001
	s_mov_b32 s25, exec_lo
	v_cmpx_ne_u32_e32 0x7f, v8
	s_cbranch_execz .LBB369_552
; %bb.549:                              ;   in Loop: Header=BB369_10 Depth=1
	v_mov_b32_e32 v3, 7
	s_mov_b32 s26, exec_lo
	v_and_b32_sdwa v125, v2, v3 dst_sel:DWORD dst_unused:UNUSED_PAD src0_sel:BYTE_3 src1_sel:DWORD
	v_lshrrev_b32_e32 v3, 3, v8
	v_mov_b32_e32 v30, v125
	v_mov_b32_e32 v31, v126
	v_cmpx_gt_u32_e32 8, v8
; %bb.550:                              ;   in Loop: Header=BB369_10 Depth=1
	v_ffbh_u32_e32 v3, v125
	v_min_u32_e32 v3, 32, v3
	v_subrev_nc_u32_e32 v6, 28, v3
	v_sub_nc_u32_e32 v3, 29, v3
	v_lshlrev_b64 v[8:9], v6, v[125:126]
	v_and_b32_e32 v30, 7, v8
; %bb.551:                              ;   in Loop: Header=BB369_10 Depth=1
	s_or_b32 exec_lo, exec_lo, s26
	v_mov_b32_e32 v6, 24
	v_lshl_add_u32 v3, v3, 23, 0x3c000000
	v_lshlrev_b32_sdwa v2, v6, v2 dst_sel:DWORD dst_unused:UNUSED_PAD src0_sel:DWORD src1_sel:BYTE_3
	v_lshlrev_b32_e32 v6, 20, v30
	v_and_b32_e32 v2, 0x80000000, v2
	v_or3_b32 v6, v6, v2, v3
.LBB369_552:                            ;   in Loop: Header=BB369_10 Depth=1
	s_or_b32 exec_lo, exec_lo, s25
.LBB369_553:                            ;   in Loop: Header=BB369_10 Depth=1
	s_or_b32 exec_lo, exec_lo, s24
.LBB369_554:                            ;   in Loop: Header=BB369_10 Depth=1
	s_or_b32 exec_lo, exec_lo, s17
	buffer_load_dword v2, off, s[0:3], s32 offset:200 ; 4-byte Folded Reload
	v_mov_b32_e32 v3, 0
	s_waitcnt vmcnt(0)
	v_add_co_u32 v0, s7, v0, v2
	v_add_co_ci_u32_e64 v1, null, 0, v1, s7
	v_mov_b32_e32 v2, 0
	flat_load_dword v0, v[0:1]
	s_waitcnt vmcnt(0) lgkmcnt(0)
	v_cmp_ne_u16_sdwa s7, v0, v126 src0_sel:BYTE_0 src1_sel:DWORD
	s_and_saveexec_b32 s17, s7
	s_cbranch_execz .LBB369_562
; %bb.555:                              ;   in Loop: Header=BB369_10 Depth=1
	v_mov_b32_e32 v1, 0x80
	v_bfrev_b32_e32 v2, 1
	v_cmp_ne_u16_sdwa s7, v0, v1 src0_sel:BYTE_0 src1_sel:DWORD
	s_and_saveexec_b32 s24, s7
	s_cbranch_execz .LBB369_561
; %bb.556:                              ;   in Loop: Header=BB369_10 Depth=1
	v_and_b32_e32 v8, 0x7f, v0
	v_mov_b32_e32 v2, 0x7f800001
	s_mov_b32 s25, exec_lo
	v_cmpx_ne_u32_e32 0x7f, v8
	s_cbranch_execz .LBB369_560
; %bb.557:                              ;   in Loop: Header=BB369_10 Depth=1
	v_and_b32_e32 v125, 7, v0
	v_lshrrev_b32_e32 v1, 3, v8
	s_mov_b32 s26, exec_lo
	v_mov_b32_e32 v30, v125
	v_mov_b32_e32 v31, v126
	v_cmpx_gt_u32_e32 8, v8
; %bb.558:                              ;   in Loop: Header=BB369_10 Depth=1
	v_ffbh_u32_e32 v1, v125
	v_min_u32_e32 v1, 32, v1
	v_subrev_nc_u32_e32 v2, 28, v1
	v_sub_nc_u32_e32 v1, 29, v1
	v_lshlrev_b64 v[8:9], v2, v[125:126]
	v_and_b32_e32 v30, 7, v8
; %bb.559:                              ;   in Loop: Header=BB369_10 Depth=1
	s_or_b32 exec_lo, exec_lo, s26
	v_lshlrev_b32_e32 v2, 24, v0
	v_lshlrev_b32_e32 v8, 20, v30
	v_lshl_add_u32 v1, v1, 23, 0x3c000000
	v_and_b32_e32 v2, 0x80000000, v2
	v_or3_b32 v2, v8, v2, v1
.LBB369_560:                            ;   in Loop: Header=BB369_10 Depth=1
	s_or_b32 exec_lo, exec_lo, s25
.LBB369_561:                            ;   in Loop: Header=BB369_10 Depth=1
	s_or_b32 exec_lo, exec_lo, s24
.LBB369_562:                            ;   in Loop: Header=BB369_10 Depth=1
	s_or_b32 exec_lo, exec_lo, s17
	v_cmp_ne_u16_sdwa s7, v0, v126 src0_sel:BYTE_1 src1_sel:DWORD
	s_and_saveexec_b32 s17, s7
	s_cbranch_execz .LBB369_570
; %bb.563:                              ;   in Loop: Header=BB369_10 Depth=1
	v_mov_b32_e32 v1, 0x80
	v_bfrev_b32_e32 v3, 1
	v_cmp_ne_u16_sdwa s7, v0, v1 src0_sel:BYTE_1 src1_sel:DWORD
	s_and_saveexec_b32 s24, s7
	s_cbranch_execz .LBB369_569
; %bb.564:                              ;   in Loop: Header=BB369_10 Depth=1
	v_mov_b32_e32 v1, 0xffff
	v_mov_b32_e32 v3, 0x7f800001
	s_mov_b32 s25, exec_lo
	v_and_b32_sdwa v1, v1, v0 dst_sel:DWORD dst_unused:UNUSED_PAD src0_sel:DWORD src1_sel:BYTE_1
	v_and_b32_e32 v8, 0x7f, v1
	v_cmpx_ne_u32_e32 0x7f, v8
	s_cbranch_execz .LBB369_568
; %bb.565:                              ;   in Loop: Header=BB369_10 Depth=1
	v_and_b32_e32 v125, 7, v1
	v_lshrrev_b32_e32 v1, 3, v8
	s_mov_b32 s26, exec_lo
	v_mov_b32_e32 v30, v125
	v_mov_b32_e32 v31, v126
	v_cmpx_gt_u32_e32 8, v8
; %bb.566:                              ;   in Loop: Header=BB369_10 Depth=1
	v_ffbh_u32_e32 v1, v125
	v_min_u32_e32 v1, 32, v1
	v_subrev_nc_u32_e32 v3, 28, v1
	v_sub_nc_u32_e32 v1, 29, v1
	v_lshlrev_b64 v[8:9], v3, v[125:126]
	v_and_b32_e32 v30, 7, v8
; %bb.567:                              ;   in Loop: Header=BB369_10 Depth=1
	s_or_b32 exec_lo, exec_lo, s26
	v_lshlrev_b32_e32 v3, 16, v0
	v_lshlrev_b32_e32 v8, 20, v30
	v_lshl_add_u32 v1, v1, 23, 0x3c000000
	v_and_b32_e32 v3, 0x80000000, v3
	v_or3_b32 v3, v8, v3, v1
.LBB369_568:                            ;   in Loop: Header=BB369_10 Depth=1
	s_or_b32 exec_lo, exec_lo, s25
.LBB369_569:                            ;   in Loop: Header=BB369_10 Depth=1
	s_or_b32 exec_lo, exec_lo, s24
.LBB369_570:                            ;   in Loop: Header=BB369_10 Depth=1
	s_or_b32 exec_lo, exec_lo, s17
	v_mov_b32_e32 v1, 0xff
	v_mov_b32_e32 v14, 0
	;; [unrolled: 1-line block ×3, first 2 shown]
	s_mov_b32 s17, exec_lo
	v_and_b32_sdwa v1, v0, v1 dst_sel:DWORD dst_unused:UNUSED_PAD src0_sel:WORD_1 src1_sel:DWORD
	v_cmpx_ne_u16_e32 0, v1
	s_cbranch_execz .LBB369_578
; %bb.571:                              ;   in Loop: Header=BB369_10 Depth=1
	v_bfrev_b32_e32 v15, 1
	s_mov_b32 s24, exec_lo
	v_cmpx_ne_u16_e32 0x80, v1
	s_cbranch_execz .LBB369_577
; %bb.572:                              ;   in Loop: Header=BB369_10 Depth=1
	v_bfe_u32 v8, v0, 16, 7
	v_mov_b32_e32 v15, 0x7f800001
	s_mov_b32 s25, exec_lo
	v_cmpx_ne_u32_e32 0x7f, v8
	s_cbranch_execz .LBB369_576
; %bb.573:                              ;   in Loop: Header=BB369_10 Depth=1
	v_mov_b32_e32 v1, 7
	s_mov_b32 s26, exec_lo
	v_and_b32_sdwa v125, v0, v1 dst_sel:DWORD dst_unused:UNUSED_PAD src0_sel:WORD_1 src1_sel:DWORD
	v_lshrrev_b32_e32 v1, 3, v8
	v_mov_b32_e32 v30, v125
	v_mov_b32_e32 v31, v126
	v_cmpx_gt_u32_e32 8, v8
; %bb.574:                              ;   in Loop: Header=BB369_10 Depth=1
	v_ffbh_u32_e32 v1, v125
	v_min_u32_e32 v1, 32, v1
	v_subrev_nc_u32_e32 v8, 28, v1
	v_sub_nc_u32_e32 v1, 29, v1
	v_lshlrev_b64 v[8:9], v8, v[125:126]
	v_and_b32_e32 v30, 7, v8
; %bb.575:                              ;   in Loop: Header=BB369_10 Depth=1
	s_or_b32 exec_lo, exec_lo, s26
	v_mov_b32_e32 v8, 24
	v_lshlrev_b32_e32 v9, 20, v30
	v_lshl_add_u32 v1, v1, 23, 0x3c000000
	v_lshlrev_b32_sdwa v8, v8, v0 dst_sel:DWORD dst_unused:UNUSED_PAD src0_sel:DWORD src1_sel:WORD_1
	v_and_b32_e32 v8, 0x80000000, v8
	v_or3_b32 v15, v9, v8, v1
.LBB369_576:                            ;   in Loop: Header=BB369_10 Depth=1
	s_or_b32 exec_lo, exec_lo, s25
.LBB369_577:                            ;   in Loop: Header=BB369_10 Depth=1
	s_or_b32 exec_lo, exec_lo, s24
.LBB369_578:                            ;   in Loop: Header=BB369_10 Depth=1
	s_or_b32 exec_lo, exec_lo, s17
	s_mov_b32 s17, exec_lo
	v_cmpx_lt_u32_e32 0xffffff, v0
	s_cbranch_execz .LBB369_586
; %bb.579:                              ;   in Loop: Header=BB369_10 Depth=1
	v_mov_b32_e32 v1, 0x80
	v_bfrev_b32_e32 v14, 1
	v_cmp_ne_u32_sdwa s7, v0, v1 src0_sel:BYTE_3 src1_sel:DWORD
	s_and_saveexec_b32 s24, s7
	s_cbranch_execz .LBB369_585
; %bb.580:                              ;   in Loop: Header=BB369_10 Depth=1
	v_bfe_u32 v8, v0, 24, 7
	v_mov_b32_e32 v14, 0x7f800001
	s_mov_b32 s25, exec_lo
	v_cmpx_ne_u32_e32 0x7f, v8
	s_cbranch_execz .LBB369_584
; %bb.581:                              ;   in Loop: Header=BB369_10 Depth=1
	v_mov_b32_e32 v1, 7
	s_mov_b32 s26, exec_lo
	v_and_b32_sdwa v125, v0, v1 dst_sel:DWORD dst_unused:UNUSED_PAD src0_sel:BYTE_3 src1_sel:DWORD
	v_lshrrev_b32_e32 v1, 3, v8
	v_mov_b32_e32 v30, v125
	v_mov_b32_e32 v31, v126
	v_cmpx_gt_u32_e32 8, v8
; %bb.582:                              ;   in Loop: Header=BB369_10 Depth=1
	v_ffbh_u32_e32 v1, v125
	v_min_u32_e32 v1, 32, v1
	v_subrev_nc_u32_e32 v8, 28, v1
	v_sub_nc_u32_e32 v1, 29, v1
	v_lshlrev_b64 v[8:9], v8, v[125:126]
	v_and_b32_e32 v30, 7, v8
; %bb.583:                              ;   in Loop: Header=BB369_10 Depth=1
	s_or_b32 exec_lo, exec_lo, s26
	v_mov_b32_e32 v8, 24
	v_lshl_add_u32 v1, v1, 23, 0x3c000000
	v_lshlrev_b32_sdwa v0, v8, v0 dst_sel:DWORD dst_unused:UNUSED_PAD src0_sel:DWORD src1_sel:BYTE_3
	v_lshlrev_b32_e32 v8, 20, v30
	v_and_b32_e32 v0, 0x80000000, v0
	v_or3_b32 v14, v8, v0, v1
.LBB369_584:                            ;   in Loop: Header=BB369_10 Depth=1
	s_or_b32 exec_lo, exec_lo, s25
.LBB369_585:                            ;   in Loop: Header=BB369_10 Depth=1
	s_or_b32 exec_lo, exec_lo, s24
.LBB369_586:                            ;   in Loop: Header=BB369_10 Depth=1
	s_or_b32 exec_lo, exec_lo, s17
	buffer_load_dword v0, off, s[0:3], s32 offset:192 ; 4-byte Folded Reload
	v_add_co_u32 v8, s7, 0x900, v28
	v_add_co_ci_u32_e64 v9, null, 0, v29, s7
	v_mov_b32_e32 v35, 0
	v_mov_b32_e32 v23, 0
	s_waitcnt vmcnt(0)
	v_add_co_u32 v0, s7, v8, v0
	v_add_co_ci_u32_e64 v1, null, 0, v9, s7
	flat_load_dword v13, v[0:1]
	s_waitcnt vmcnt(0) lgkmcnt(0)
	v_cmp_ne_u16_sdwa s7, v13, v126 src0_sel:BYTE_0 src1_sel:DWORD
	s_and_saveexec_b32 s17, s7
	s_cbranch_execz .LBB369_594
; %bb.587:                              ;   in Loop: Header=BB369_10 Depth=1
	v_mov_b32_e32 v0, 0x80
	v_bfrev_b32_e32 v23, 1
	v_cmp_ne_u16_sdwa s7, v13, v0 src0_sel:BYTE_0 src1_sel:DWORD
	s_and_saveexec_b32 s24, s7
	s_cbranch_execz .LBB369_593
; %bb.588:                              ;   in Loop: Header=BB369_10 Depth=1
	v_and_b32_e32 v1, 0x7f, v13
	v_mov_b32_e32 v23, 0x7f800001
	s_mov_b32 s25, exec_lo
	v_cmpx_ne_u32_e32 0x7f, v1
	s_cbranch_execz .LBB369_592
; %bb.589:                              ;   in Loop: Header=BB369_10 Depth=1
	v_and_b32_e32 v125, 7, v13
	v_lshrrev_b32_e32 v0, 3, v1
	s_mov_b32 s26, exec_lo
	v_mov_b32_e32 v30, v125
	v_mov_b32_e32 v31, v126
	v_cmpx_gt_u32_e32 8, v1
; %bb.590:                              ;   in Loop: Header=BB369_10 Depth=1
	v_ffbh_u32_e32 v0, v125
	v_min_u32_e32 v0, 32, v0
	v_subrev_nc_u32_e32 v1, 28, v0
	v_sub_nc_u32_e32 v0, 29, v0
	v_lshlrev_b64 v[16:17], v1, v[125:126]
	v_and_b32_e32 v30, 7, v16
; %bb.591:                              ;   in Loop: Header=BB369_10 Depth=1
	s_or_b32 exec_lo, exec_lo, s26
	v_lshlrev_b32_e32 v1, 24, v13
	v_lshlrev_b32_e32 v16, 20, v30
	v_lshl_add_u32 v0, v0, 23, 0x3c000000
	v_and_b32_e32 v1, 0x80000000, v1
	v_or3_b32 v23, v16, v1, v0
.LBB369_592:                            ;   in Loop: Header=BB369_10 Depth=1
	s_or_b32 exec_lo, exec_lo, s25
.LBB369_593:                            ;   in Loop: Header=BB369_10 Depth=1
	s_or_b32 exec_lo, exec_lo, s24
.LBB369_594:                            ;   in Loop: Header=BB369_10 Depth=1
	s_or_b32 exec_lo, exec_lo, s17
	v_cmp_ne_u16_sdwa s7, v13, v126 src0_sel:BYTE_1 src1_sel:DWORD
	s_and_saveexec_b32 s17, s7
	s_cbranch_execz .LBB369_602
; %bb.595:                              ;   in Loop: Header=BB369_10 Depth=1
	v_mov_b32_e32 v0, 0x80
	v_bfrev_b32_e32 v35, 1
	v_cmp_ne_u16_sdwa s7, v13, v0 src0_sel:BYTE_1 src1_sel:DWORD
	s_and_saveexec_b32 s24, s7
	s_cbranch_execz .LBB369_601
; %bb.596:                              ;   in Loop: Header=BB369_10 Depth=1
	v_mov_b32_e32 v0, 0xffff
	v_mov_b32_e32 v35, 0x7f800001
	s_mov_b32 s25, exec_lo
	v_and_b32_sdwa v0, v0, v13 dst_sel:DWORD dst_unused:UNUSED_PAD src0_sel:DWORD src1_sel:BYTE_1
	v_and_b32_e32 v1, 0x7f, v0
	v_cmpx_ne_u32_e32 0x7f, v1
	s_cbranch_execz .LBB369_600
; %bb.597:                              ;   in Loop: Header=BB369_10 Depth=1
	v_and_b32_e32 v125, 7, v0
	v_lshrrev_b32_e32 v0, 3, v1
	s_mov_b32 s26, exec_lo
	v_mov_b32_e32 v30, v125
	v_mov_b32_e32 v31, v126
	v_cmpx_gt_u32_e32 8, v1
; %bb.598:                              ;   in Loop: Header=BB369_10 Depth=1
	v_ffbh_u32_e32 v0, v125
	v_min_u32_e32 v0, 32, v0
	v_subrev_nc_u32_e32 v1, 28, v0
	v_sub_nc_u32_e32 v0, 29, v0
	v_lshlrev_b64 v[16:17], v1, v[125:126]
	v_and_b32_e32 v30, 7, v16
; %bb.599:                              ;   in Loop: Header=BB369_10 Depth=1
	s_or_b32 exec_lo, exec_lo, s26
	v_lshlrev_b32_e32 v1, 16, v13
	v_lshlrev_b32_e32 v16, 20, v30
	v_lshl_add_u32 v0, v0, 23, 0x3c000000
	v_and_b32_e32 v1, 0x80000000, v1
	v_or3_b32 v35, v16, v1, v0
.LBB369_600:                            ;   in Loop: Header=BB369_10 Depth=1
	s_or_b32 exec_lo, exec_lo, s25
.LBB369_601:                            ;   in Loop: Header=BB369_10 Depth=1
	s_or_b32 exec_lo, exec_lo, s24
.LBB369_602:                            ;   in Loop: Header=BB369_10 Depth=1
	s_or_b32 exec_lo, exec_lo, s17
	v_mov_b32_e32 v0, 0xff
	v_mov_b32_e32 v1, 0
	s_mov_b32 s17, exec_lo
	v_and_b32_sdwa v16, v13, v0 dst_sel:DWORD dst_unused:UNUSED_PAD src0_sel:WORD_1 src1_sel:DWORD
	v_mov_b32_e32 v0, 0
	v_cmpx_ne_u16_e32 0, v16
	s_cbranch_execz .LBB369_610
; %bb.603:                              ;   in Loop: Header=BB369_10 Depth=1
	v_bfrev_b32_e32 v0, 1
	s_mov_b32 s24, exec_lo
	v_cmpx_ne_u16_e32 0x80, v16
	s_cbranch_execz .LBB369_609
; %bb.604:                              ;   in Loop: Header=BB369_10 Depth=1
	v_bfe_u32 v16, v13, 16, 7
	v_mov_b32_e32 v0, 0x7f800001
	s_mov_b32 s25, exec_lo
	v_cmpx_ne_u32_e32 0x7f, v16
	s_cbranch_execz .LBB369_608
; %bb.605:                              ;   in Loop: Header=BB369_10 Depth=1
	v_mov_b32_e32 v0, 7
	s_mov_b32 s26, exec_lo
	v_and_b32_sdwa v125, v13, v0 dst_sel:DWORD dst_unused:UNUSED_PAD src0_sel:WORD_1 src1_sel:DWORD
	v_lshrrev_b32_e32 v0, 3, v16
	v_mov_b32_e32 v30, v125
	v_mov_b32_e32 v31, v126
	v_cmpx_gt_u32_e32 8, v16
; %bb.606:                              ;   in Loop: Header=BB369_10 Depth=1
	v_ffbh_u32_e32 v0, v125
	v_min_u32_e32 v0, 32, v0
	v_subrev_nc_u32_e32 v16, 28, v0
	v_sub_nc_u32_e32 v0, 29, v0
	v_lshlrev_b64 v[16:17], v16, v[125:126]
	v_and_b32_e32 v30, 7, v16
; %bb.607:                              ;   in Loop: Header=BB369_10 Depth=1
	s_or_b32 exec_lo, exec_lo, s26
	v_mov_b32_e32 v16, 24
	v_lshlrev_b32_e32 v17, 20, v30
	v_lshl_add_u32 v0, v0, 23, 0x3c000000
	v_lshlrev_b32_sdwa v16, v16, v13 dst_sel:DWORD dst_unused:UNUSED_PAD src0_sel:DWORD src1_sel:WORD_1
	v_and_b32_e32 v16, 0x80000000, v16
	v_or3_b32 v0, v17, v16, v0
.LBB369_608:                            ;   in Loop: Header=BB369_10 Depth=1
	s_or_b32 exec_lo, exec_lo, s25
.LBB369_609:                            ;   in Loop: Header=BB369_10 Depth=1
	s_or_b32 exec_lo, exec_lo, s24
.LBB369_610:                            ;   in Loop: Header=BB369_10 Depth=1
	s_or_b32 exec_lo, exec_lo, s17
	s_mov_b32 s17, exec_lo
	v_cmpx_lt_u32_e32 0xffffff, v13
	s_cbranch_execz .LBB369_618
; %bb.611:                              ;   in Loop: Header=BB369_10 Depth=1
	v_mov_b32_e32 v1, 0x80
	v_cmp_ne_u32_sdwa s7, v13, v1 src0_sel:BYTE_3 src1_sel:DWORD
	v_bfrev_b32_e32 v1, 1
	s_and_saveexec_b32 s24, s7
	s_cbranch_execz .LBB369_617
; %bb.612:                              ;   in Loop: Header=BB369_10 Depth=1
	v_bfe_u32 v16, v13, 24, 7
	v_mov_b32_e32 v1, 0x7f800001
	s_mov_b32 s25, exec_lo
	v_cmpx_ne_u32_e32 0x7f, v16
	s_cbranch_execz .LBB369_616
; %bb.613:                              ;   in Loop: Header=BB369_10 Depth=1
	v_mov_b32_e32 v1, 7
	s_mov_b32 s26, exec_lo
	v_and_b32_sdwa v125, v13, v1 dst_sel:DWORD dst_unused:UNUSED_PAD src0_sel:BYTE_3 src1_sel:DWORD
	v_lshrrev_b32_e32 v1, 3, v16
	v_mov_b32_e32 v30, v125
	v_mov_b32_e32 v31, v126
	v_cmpx_gt_u32_e32 8, v16
; %bb.614:                              ;   in Loop: Header=BB369_10 Depth=1
	v_ffbh_u32_e32 v1, v125
	v_min_u32_e32 v1, 32, v1
	v_subrev_nc_u32_e32 v16, 28, v1
	v_sub_nc_u32_e32 v1, 29, v1
	v_lshlrev_b64 v[16:17], v16, v[125:126]
	v_and_b32_e32 v30, 7, v16
; %bb.615:                              ;   in Loop: Header=BB369_10 Depth=1
	s_or_b32 exec_lo, exec_lo, s26
	v_mov_b32_e32 v16, 24
	v_lshl_add_u32 v1, v1, 23, 0x3c000000
	v_lshlrev_b32_sdwa v13, v16, v13 dst_sel:DWORD dst_unused:UNUSED_PAD src0_sel:DWORD src1_sel:BYTE_3
	v_lshlrev_b32_e32 v16, 20, v30
	v_and_b32_e32 v13, 0x80000000, v13
	v_or3_b32 v1, v16, v13, v1
.LBB369_616:                            ;   in Loop: Header=BB369_10 Depth=1
	s_or_b32 exec_lo, exec_lo, s25
.LBB369_617:                            ;   in Loop: Header=BB369_10 Depth=1
	s_or_b32 exec_lo, exec_lo, s24
.LBB369_618:                            ;   in Loop: Header=BB369_10 Depth=1
	s_or_b32 exec_lo, exec_lo, s17
	buffer_load_dword v13, off, s[0:3], s32 offset:200 ; 4-byte Folded Reload
	v_mov_b32_e32 v27, 0
	v_mov_b32_e32 v49, 0
	s_waitcnt vmcnt(0)
	v_add_co_u32 v8, s7, v8, v13
	v_add_co_ci_u32_e64 v9, null, 0, v9, s7
	flat_load_dword v8, v[8:9]
	s_waitcnt vmcnt(0) lgkmcnt(0)
	v_cmp_ne_u16_sdwa s7, v8, v126 src0_sel:BYTE_0 src1_sel:DWORD
	s_and_saveexec_b32 s17, s7
	s_cbranch_execz .LBB369_626
; %bb.619:                              ;   in Loop: Header=BB369_10 Depth=1
	v_mov_b32_e32 v9, 0x80
	v_bfrev_b32_e32 v49, 1
	v_cmp_ne_u16_sdwa s7, v8, v9 src0_sel:BYTE_0 src1_sel:DWORD
	s_and_saveexec_b32 s24, s7
	s_cbranch_execz .LBB369_625
; %bb.620:                              ;   in Loop: Header=BB369_10 Depth=1
	v_and_b32_e32 v13, 0x7f, v8
	v_mov_b32_e32 v49, 0x7f800001
	s_mov_b32 s25, exec_lo
	v_cmpx_ne_u32_e32 0x7f, v13
	s_cbranch_execz .LBB369_624
; %bb.621:                              ;   in Loop: Header=BB369_10 Depth=1
	v_and_b32_e32 v125, 7, v8
	v_lshrrev_b32_e32 v9, 3, v13
	s_mov_b32 s26, exec_lo
	v_mov_b32_e32 v30, v125
	v_mov_b32_e32 v31, v126
	v_cmpx_gt_u32_e32 8, v13
; %bb.622:                              ;   in Loop: Header=BB369_10 Depth=1
	v_ffbh_u32_e32 v9, v125
	v_min_u32_e32 v9, 32, v9
	v_subrev_nc_u32_e32 v13, 28, v9
	v_sub_nc_u32_e32 v9, 29, v9
	v_lshlrev_b64 v[16:17], v13, v[125:126]
	v_and_b32_e32 v30, 7, v16
; %bb.623:                              ;   in Loop: Header=BB369_10 Depth=1
	s_or_b32 exec_lo, exec_lo, s26
	v_lshlrev_b32_e32 v13, 24, v8
	v_lshlrev_b32_e32 v16, 20, v30
	v_lshl_add_u32 v9, v9, 23, 0x3c000000
	v_and_b32_e32 v13, 0x80000000, v13
	v_or3_b32 v49, v16, v13, v9
.LBB369_624:                            ;   in Loop: Header=BB369_10 Depth=1
	s_or_b32 exec_lo, exec_lo, s25
.LBB369_625:                            ;   in Loop: Header=BB369_10 Depth=1
	s_or_b32 exec_lo, exec_lo, s24
.LBB369_626:                            ;   in Loop: Header=BB369_10 Depth=1
	s_or_b32 exec_lo, exec_lo, s17
	v_cmp_ne_u16_sdwa s7, v8, v126 src0_sel:BYTE_1 src1_sel:DWORD
	s_and_saveexec_b32 s17, s7
	s_cbranch_execz .LBB369_634
; %bb.627:                              ;   in Loop: Header=BB369_10 Depth=1
	v_mov_b32_e32 v9, 0x80
	v_bfrev_b32_e32 v27, 1
	v_cmp_ne_u16_sdwa s7, v8, v9 src0_sel:BYTE_1 src1_sel:DWORD
	s_and_saveexec_b32 s24, s7
	s_cbranch_execz .LBB369_633
; %bb.628:                              ;   in Loop: Header=BB369_10 Depth=1
	v_mov_b32_e32 v9, 0xffff
	v_mov_b32_e32 v27, 0x7f800001
	s_mov_b32 s25, exec_lo
	v_and_b32_sdwa v9, v9, v8 dst_sel:DWORD dst_unused:UNUSED_PAD src0_sel:DWORD src1_sel:BYTE_1
	v_and_b32_e32 v13, 0x7f, v9
	v_cmpx_ne_u32_e32 0x7f, v13
	s_cbranch_execz .LBB369_632
; %bb.629:                              ;   in Loop: Header=BB369_10 Depth=1
	v_and_b32_e32 v125, 7, v9
	v_lshrrev_b32_e32 v9, 3, v13
	s_mov_b32 s26, exec_lo
	v_mov_b32_e32 v30, v125
	v_mov_b32_e32 v31, v126
	v_cmpx_gt_u32_e32 8, v13
; %bb.630:                              ;   in Loop: Header=BB369_10 Depth=1
	v_ffbh_u32_e32 v9, v125
	v_min_u32_e32 v9, 32, v9
	v_subrev_nc_u32_e32 v13, 28, v9
	v_sub_nc_u32_e32 v9, 29, v9
	v_lshlrev_b64 v[16:17], v13, v[125:126]
	v_and_b32_e32 v30, 7, v16
; %bb.631:                              ;   in Loop: Header=BB369_10 Depth=1
	s_or_b32 exec_lo, exec_lo, s26
	v_lshlrev_b32_e32 v13, 16, v8
	v_lshlrev_b32_e32 v16, 20, v30
	v_lshl_add_u32 v9, v9, 23, 0x3c000000
	v_and_b32_e32 v13, 0x80000000, v13
	v_or3_b32 v27, v16, v13, v9
.LBB369_632:                            ;   in Loop: Header=BB369_10 Depth=1
	s_or_b32 exec_lo, exec_lo, s25
.LBB369_633:                            ;   in Loop: Header=BB369_10 Depth=1
	s_or_b32 exec_lo, exec_lo, s24
.LBB369_634:                            ;   in Loop: Header=BB369_10 Depth=1
	s_or_b32 exec_lo, exec_lo, s17
	v_mov_b32_e32 v9, 0xff
	v_mov_b32_e32 v26, 0
	;; [unrolled: 1-line block ×3, first 2 shown]
	s_mov_b32 s17, exec_lo
	v_and_b32_sdwa v9, v8, v9 dst_sel:DWORD dst_unused:UNUSED_PAD src0_sel:WORD_1 src1_sel:DWORD
	v_cmpx_ne_u16_e32 0, v9
	s_cbranch_execz .LBB369_642
; %bb.635:                              ;   in Loop: Header=BB369_10 Depth=1
	v_bfrev_b32_e32 v48, 1
	s_mov_b32 s24, exec_lo
	v_cmpx_ne_u16_e32 0x80, v9
	s_cbranch_execz .LBB369_641
; %bb.636:                              ;   in Loop: Header=BB369_10 Depth=1
	v_bfe_u32 v13, v8, 16, 7
	v_mov_b32_e32 v48, 0x7f800001
	s_mov_b32 s25, exec_lo
	v_cmpx_ne_u32_e32 0x7f, v13
	s_cbranch_execz .LBB369_640
; %bb.637:                              ;   in Loop: Header=BB369_10 Depth=1
	v_mov_b32_e32 v9, 7
	s_mov_b32 s26, exec_lo
	v_and_b32_sdwa v125, v8, v9 dst_sel:DWORD dst_unused:UNUSED_PAD src0_sel:WORD_1 src1_sel:DWORD
	v_lshrrev_b32_e32 v9, 3, v13
	v_mov_b32_e32 v30, v125
	v_mov_b32_e32 v31, v126
	v_cmpx_gt_u32_e32 8, v13
; %bb.638:                              ;   in Loop: Header=BB369_10 Depth=1
	v_ffbh_u32_e32 v9, v125
	v_min_u32_e32 v9, 32, v9
	v_subrev_nc_u32_e32 v13, 28, v9
	v_sub_nc_u32_e32 v9, 29, v9
	v_lshlrev_b64 v[16:17], v13, v[125:126]
	v_and_b32_e32 v30, 7, v16
; %bb.639:                              ;   in Loop: Header=BB369_10 Depth=1
	s_or_b32 exec_lo, exec_lo, s26
	v_mov_b32_e32 v13, 24
	v_lshlrev_b32_e32 v16, 20, v30
	v_lshl_add_u32 v9, v9, 23, 0x3c000000
	v_lshlrev_b32_sdwa v13, v13, v8 dst_sel:DWORD dst_unused:UNUSED_PAD src0_sel:DWORD src1_sel:WORD_1
	v_and_b32_e32 v13, 0x80000000, v13
	v_or3_b32 v48, v16, v13, v9
.LBB369_640:                            ;   in Loop: Header=BB369_10 Depth=1
	s_or_b32 exec_lo, exec_lo, s25
.LBB369_641:                            ;   in Loop: Header=BB369_10 Depth=1
	s_or_b32 exec_lo, exec_lo, s24
.LBB369_642:                            ;   in Loop: Header=BB369_10 Depth=1
	s_or_b32 exec_lo, exec_lo, s17
	s_mov_b32 s17, exec_lo
	v_cmpx_lt_u32_e32 0xffffff, v8
	s_cbranch_execz .LBB369_650
; %bb.643:                              ;   in Loop: Header=BB369_10 Depth=1
	v_mov_b32_e32 v9, 0x80
	v_bfrev_b32_e32 v26, 1
	v_cmp_ne_u32_sdwa s7, v8, v9 src0_sel:BYTE_3 src1_sel:DWORD
	s_and_saveexec_b32 s24, s7
	s_cbranch_execz .LBB369_649
; %bb.644:                              ;   in Loop: Header=BB369_10 Depth=1
	v_bfe_u32 v13, v8, 24, 7
	v_mov_b32_e32 v26, 0x7f800001
	s_mov_b32 s25, exec_lo
	v_cmpx_ne_u32_e32 0x7f, v13
	s_cbranch_execz .LBB369_648
; %bb.645:                              ;   in Loop: Header=BB369_10 Depth=1
	v_mov_b32_e32 v9, 7
	s_mov_b32 s26, exec_lo
	v_and_b32_sdwa v125, v8, v9 dst_sel:DWORD dst_unused:UNUSED_PAD src0_sel:BYTE_3 src1_sel:DWORD
	v_lshrrev_b32_e32 v9, 3, v13
	v_mov_b32_e32 v30, v125
	v_mov_b32_e32 v31, v126
	v_cmpx_gt_u32_e32 8, v13
; %bb.646:                              ;   in Loop: Header=BB369_10 Depth=1
	v_ffbh_u32_e32 v9, v125
	v_min_u32_e32 v9, 32, v9
	v_subrev_nc_u32_e32 v13, 28, v9
	v_sub_nc_u32_e32 v9, 29, v9
	v_lshlrev_b64 v[16:17], v13, v[125:126]
	v_and_b32_e32 v30, 7, v16
; %bb.647:                              ;   in Loop: Header=BB369_10 Depth=1
	s_or_b32 exec_lo, exec_lo, s26
	v_mov_b32_e32 v13, 24
	v_lshl_add_u32 v9, v9, 23, 0x3c000000
	v_lshlrev_b32_sdwa v8, v13, v8 dst_sel:DWORD dst_unused:UNUSED_PAD src0_sel:DWORD src1_sel:BYTE_3
	v_lshlrev_b32_e32 v13, 20, v30
	v_and_b32_e32 v8, 0x80000000, v8
	v_or3_b32 v26, v13, v8, v9
.LBB369_648:                            ;   in Loop: Header=BB369_10 Depth=1
	s_or_b32 exec_lo, exec_lo, s25
.LBB369_649:                            ;   in Loop: Header=BB369_10 Depth=1
	s_or_b32 exec_lo, exec_lo, s24
.LBB369_650:                            ;   in Loop: Header=BB369_10 Depth=1
	s_or_b32 exec_lo, exec_lo, s17
	buffer_load_dword v13, off, s[0:3], s32 offset:192 ; 4-byte Folded Reload
	v_add_co_u32 v8, s7, 0xa00, v28
	v_add_co_ci_u32_e64 v9, null, 0, v29, s7
	v_mov_b32_e32 v39, 0
	s_waitcnt vmcnt(0)
	v_add_co_u32 v16, s7, v8, v13
	v_add_co_ci_u32_e64 v17, null, 0, v9, s7
	v_mov_b32_e32 v13, 0
	flat_load_dword v16, v[16:17]
	s_waitcnt vmcnt(0) lgkmcnt(0)
	v_cmp_ne_u16_sdwa s7, v16, v126 src0_sel:BYTE_0 src1_sel:DWORD
	s_and_saveexec_b32 s17, s7
	s_cbranch_execz .LBB369_658
; %bb.651:                              ;   in Loop: Header=BB369_10 Depth=1
	v_mov_b32_e32 v13, 0x80
	v_cmp_ne_u16_sdwa s7, v16, v13 src0_sel:BYTE_0 src1_sel:DWORD
	v_bfrev_b32_e32 v13, 1
	s_and_saveexec_b32 s24, s7
	s_cbranch_execz .LBB369_657
; %bb.652:                              ;   in Loop: Header=BB369_10 Depth=1
	v_and_b32_e32 v17, 0x7f, v16
	v_mov_b32_e32 v13, 0x7f800001
	s_mov_b32 s25, exec_lo
	v_cmpx_ne_u32_e32 0x7f, v17
	s_cbranch_execz .LBB369_656
; %bb.653:                              ;   in Loop: Header=BB369_10 Depth=1
	v_and_b32_e32 v125, 7, v16
	v_lshrrev_b32_e32 v13, 3, v17
	s_mov_b32 s26, exec_lo
	v_mov_b32_e32 v30, v125
	v_mov_b32_e32 v31, v126
	v_cmpx_gt_u32_e32 8, v17
; %bb.654:                              ;   in Loop: Header=BB369_10 Depth=1
	v_ffbh_u32_e32 v13, v125
	v_min_u32_e32 v13, 32, v13
	v_subrev_nc_u32_e32 v17, 28, v13
	v_sub_nc_u32_e32 v13, 29, v13
	v_lshlrev_b64 v[24:25], v17, v[125:126]
	v_and_b32_e32 v30, 7, v24
; %bb.655:                              ;   in Loop: Header=BB369_10 Depth=1
	s_or_b32 exec_lo, exec_lo, s26
	v_lshlrev_b32_e32 v17, 24, v16
	v_lshlrev_b32_e32 v20, 20, v30
	v_lshl_add_u32 v13, v13, 23, 0x3c000000
	v_and_b32_e32 v17, 0x80000000, v17
	v_or3_b32 v13, v20, v17, v13
.LBB369_656:                            ;   in Loop: Header=BB369_10 Depth=1
	s_or_b32 exec_lo, exec_lo, s25
.LBB369_657:                            ;   in Loop: Header=BB369_10 Depth=1
	s_or_b32 exec_lo, exec_lo, s24
.LBB369_658:                            ;   in Loop: Header=BB369_10 Depth=1
	s_or_b32 exec_lo, exec_lo, s17
	v_cmp_ne_u16_sdwa s7, v16, v126 src0_sel:BYTE_1 src1_sel:DWORD
	s_and_saveexec_b32 s17, s7
	s_cbranch_execz .LBB369_666
; %bb.659:                              ;   in Loop: Header=BB369_10 Depth=1
	v_mov_b32_e32 v17, 0x80
	v_bfrev_b32_e32 v39, 1
	v_cmp_ne_u16_sdwa s7, v16, v17 src0_sel:BYTE_1 src1_sel:DWORD
	s_and_saveexec_b32 s24, s7
	s_cbranch_execz .LBB369_665
; %bb.660:                              ;   in Loop: Header=BB369_10 Depth=1
	v_mov_b32_e32 v17, 0xffff
	v_mov_b32_e32 v39, 0x7f800001
	s_mov_b32 s25, exec_lo
	v_and_b32_sdwa v17, v17, v16 dst_sel:DWORD dst_unused:UNUSED_PAD src0_sel:DWORD src1_sel:BYTE_1
	v_and_b32_e32 v22, 0x7f, v17
	v_cmpx_ne_u32_e32 0x7f, v22
	s_cbranch_execz .LBB369_664
; %bb.661:                              ;   in Loop: Header=BB369_10 Depth=1
	v_and_b32_e32 v125, 7, v17
	v_lshrrev_b32_e32 v17, 3, v22
	s_mov_b32 s26, exec_lo
	v_mov_b32_e32 v30, v125
	v_mov_b32_e32 v31, v126
	v_cmpx_gt_u32_e32 8, v22
; %bb.662:                              ;   in Loop: Header=BB369_10 Depth=1
	v_ffbh_u32_e32 v17, v125
	v_min_u32_e32 v17, 32, v17
	v_subrev_nc_u32_e32 v22, 28, v17
	v_sub_nc_u32_e32 v17, 29, v17
	v_lshlrev_b64 v[24:25], v22, v[125:126]
	v_and_b32_e32 v30, 7, v24
; %bb.663:                              ;   in Loop: Header=BB369_10 Depth=1
	s_or_b32 exec_lo, exec_lo, s26
	v_lshlrev_b32_e32 v20, 16, v16
	v_lshlrev_b32_e32 v22, 20, v30
	v_lshl_add_u32 v17, v17, 23, 0x3c000000
	v_and_b32_e32 v20, 0x80000000, v20
	v_or3_b32 v39, v22, v20, v17
.LBB369_664:                            ;   in Loop: Header=BB369_10 Depth=1
	s_or_b32 exec_lo, exec_lo, s25
.LBB369_665:                            ;   in Loop: Header=BB369_10 Depth=1
	s_or_b32 exec_lo, exec_lo, s24
.LBB369_666:                            ;   in Loop: Header=BB369_10 Depth=1
	s_or_b32 exec_lo, exec_lo, s17
	v_mov_b32_e32 v17, 0xff
	v_mov_b32_e32 v22, 0
	;; [unrolled: 1-line block ×3, first 2 shown]
	s_mov_b32 s17, exec_lo
	v_and_b32_sdwa v17, v16, v17 dst_sel:DWORD dst_unused:UNUSED_PAD src0_sel:WORD_1 src1_sel:DWORD
	v_cmpx_ne_u16_e32 0, v17
	s_cbranch_execz .LBB369_674
; %bb.667:                              ;   in Loop: Header=BB369_10 Depth=1
	v_bfrev_b32_e32 v50, 1
	s_mov_b32 s24, exec_lo
	v_cmpx_ne_u16_e32 0x80, v17
	s_cbranch_execz .LBB369_673
; %bb.668:                              ;   in Loop: Header=BB369_10 Depth=1
	v_bfe_u32 v24, v16, 16, 7
	v_mov_b32_e32 v50, 0x7f800001
	s_mov_b32 s25, exec_lo
	v_cmpx_ne_u32_e32 0x7f, v24
	s_cbranch_execz .LBB369_672
; %bb.669:                              ;   in Loop: Header=BB369_10 Depth=1
	v_mov_b32_e32 v17, 7
	s_mov_b32 s26, exec_lo
	v_and_b32_sdwa v125, v16, v17 dst_sel:DWORD dst_unused:UNUSED_PAD src0_sel:WORD_1 src1_sel:DWORD
	v_lshrrev_b32_e32 v17, 3, v24
	v_mov_b32_e32 v30, v125
	v_mov_b32_e32 v31, v126
	v_cmpx_gt_u32_e32 8, v24
; %bb.670:                              ;   in Loop: Header=BB369_10 Depth=1
	v_ffbh_u32_e32 v17, v125
	v_min_u32_e32 v17, 32, v17
	v_subrev_nc_u32_e32 v24, 28, v17
	v_sub_nc_u32_e32 v17, 29, v17
	v_lshlrev_b64 v[24:25], v24, v[125:126]
	v_and_b32_e32 v30, 7, v24
; %bb.671:                              ;   in Loop: Header=BB369_10 Depth=1
	s_or_b32 exec_lo, exec_lo, s26
	v_mov_b32_e32 v20, 24
	v_lshlrev_b32_e32 v24, 20, v30
	v_lshl_add_u32 v17, v17, 23, 0x3c000000
	v_lshlrev_b32_sdwa v20, v20, v16 dst_sel:DWORD dst_unused:UNUSED_PAD src0_sel:DWORD src1_sel:WORD_1
	v_and_b32_e32 v20, 0x80000000, v20
	v_or3_b32 v50, v24, v20, v17
.LBB369_672:                            ;   in Loop: Header=BB369_10 Depth=1
	s_or_b32 exec_lo, exec_lo, s25
.LBB369_673:                            ;   in Loop: Header=BB369_10 Depth=1
	s_or_b32 exec_lo, exec_lo, s24
.LBB369_674:                            ;   in Loop: Header=BB369_10 Depth=1
	s_or_b32 exec_lo, exec_lo, s17
	s_mov_b32 s17, exec_lo
	v_cmpx_lt_u32_e32 0xffffff, v16
	s_cbranch_execz .LBB369_682
; %bb.675:                              ;   in Loop: Header=BB369_10 Depth=1
	v_mov_b32_e32 v17, 0x80
	v_bfrev_b32_e32 v22, 1
	v_cmp_ne_u32_sdwa s7, v16, v17 src0_sel:BYTE_3 src1_sel:DWORD
	s_and_saveexec_b32 s24, s7
	s_cbranch_execz .LBB369_681
; %bb.676:                              ;   in Loop: Header=BB369_10 Depth=1
	v_bfe_u32 v24, v16, 24, 7
	v_mov_b32_e32 v22, 0x7f800001
	s_mov_b32 s25, exec_lo
	v_cmpx_ne_u32_e32 0x7f, v24
	s_cbranch_execz .LBB369_680
; %bb.677:                              ;   in Loop: Header=BB369_10 Depth=1
	v_mov_b32_e32 v17, 7
	s_mov_b32 s26, exec_lo
	v_and_b32_sdwa v125, v16, v17 dst_sel:DWORD dst_unused:UNUSED_PAD src0_sel:BYTE_3 src1_sel:DWORD
	v_lshrrev_b32_e32 v17, 3, v24
	v_mov_b32_e32 v30, v125
	v_mov_b32_e32 v31, v126
	v_cmpx_gt_u32_e32 8, v24
; %bb.678:                              ;   in Loop: Header=BB369_10 Depth=1
	v_ffbh_u32_e32 v17, v125
	v_min_u32_e32 v17, 32, v17
	v_subrev_nc_u32_e32 v22, 28, v17
	v_sub_nc_u32_e32 v17, 29, v17
	v_lshlrev_b64 v[24:25], v22, v[125:126]
	v_and_b32_e32 v30, 7, v24
; %bb.679:                              ;   in Loop: Header=BB369_10 Depth=1
	s_or_b32 exec_lo, exec_lo, s26
	v_mov_b32_e32 v20, 24
	v_lshl_add_u32 v17, v17, 23, 0x3c000000
	v_lshlrev_b32_sdwa v16, v20, v16 dst_sel:DWORD dst_unused:UNUSED_PAD src0_sel:DWORD src1_sel:BYTE_3
	v_lshlrev_b32_e32 v20, 20, v30
	v_and_b32_e32 v16, 0x80000000, v16
	v_or3_b32 v22, v20, v16, v17
.LBB369_680:                            ;   in Loop: Header=BB369_10 Depth=1
	s_or_b32 exec_lo, exec_lo, s25
.LBB369_681:                            ;   in Loop: Header=BB369_10 Depth=1
	s_or_b32 exec_lo, exec_lo, s24
.LBB369_682:                            ;   in Loop: Header=BB369_10 Depth=1
	s_or_b32 exec_lo, exec_lo, s17
	buffer_load_dword v16, off, s[0:3], s32 offset:200 ; 4-byte Folded Reload
	v_mov_b32_e32 v52, 0
	v_mov_b32_e32 v51, 0
	s_waitcnt vmcnt(0)
	v_add_co_u32 v8, s7, v8, v16
	v_add_co_ci_u32_e64 v9, null, 0, v9, s7
	flat_load_dword v8, v[8:9]
	s_waitcnt vmcnt(0) lgkmcnt(0)
	v_cmp_ne_u16_sdwa s7, v8, v126 src0_sel:BYTE_0 src1_sel:DWORD
	s_and_saveexec_b32 s17, s7
	s_cbranch_execz .LBB369_690
; %bb.683:                              ;   in Loop: Header=BB369_10 Depth=1
	v_mov_b32_e32 v9, 0x80
	v_bfrev_b32_e32 v51, 1
	v_cmp_ne_u16_sdwa s7, v8, v9 src0_sel:BYTE_0 src1_sel:DWORD
	s_and_saveexec_b32 s24, s7
	s_cbranch_execz .LBB369_689
; %bb.684:                              ;   in Loop: Header=BB369_10 Depth=1
	v_and_b32_e32 v16, 0x7f, v8
	v_mov_b32_e32 v51, 0x7f800001
	s_mov_b32 s25, exec_lo
	v_cmpx_ne_u32_e32 0x7f, v16
	s_cbranch_execz .LBB369_688
; %bb.685:                              ;   in Loop: Header=BB369_10 Depth=1
	v_and_b32_e32 v125, 7, v8
	v_lshrrev_b32_e32 v9, 3, v16
	s_mov_b32 s26, exec_lo
	v_mov_b32_e32 v30, v125
	v_mov_b32_e32 v31, v126
	v_cmpx_gt_u32_e32 8, v16
; %bb.686:                              ;   in Loop: Header=BB369_10 Depth=1
	v_ffbh_u32_e32 v9, v125
	v_min_u32_e32 v9, 32, v9
	v_subrev_nc_u32_e32 v16, 28, v9
	v_sub_nc_u32_e32 v9, 29, v9
	v_lshlrev_b64 v[16:17], v16, v[125:126]
	v_and_b32_e32 v30, 7, v16
; %bb.687:                              ;   in Loop: Header=BB369_10 Depth=1
	s_or_b32 exec_lo, exec_lo, s26
	v_lshlrev_b32_e32 v16, 24, v8
	v_lshlrev_b32_e32 v17, 20, v30
	v_lshl_add_u32 v9, v9, 23, 0x3c000000
	v_and_b32_e32 v16, 0x80000000, v16
	v_or3_b32 v51, v17, v16, v9
.LBB369_688:                            ;   in Loop: Header=BB369_10 Depth=1
	s_or_b32 exec_lo, exec_lo, s25
.LBB369_689:                            ;   in Loop: Header=BB369_10 Depth=1
	s_or_b32 exec_lo, exec_lo, s24
.LBB369_690:                            ;   in Loop: Header=BB369_10 Depth=1
	s_or_b32 exec_lo, exec_lo, s17
	v_cmp_ne_u16_sdwa s7, v8, v126 src0_sel:BYTE_1 src1_sel:DWORD
	s_and_saveexec_b32 s17, s7
	s_cbranch_execz .LBB369_698
; %bb.691:                              ;   in Loop: Header=BB369_10 Depth=1
	v_mov_b32_e32 v9, 0x80
	v_bfrev_b32_e32 v52, 1
	v_cmp_ne_u16_sdwa s7, v8, v9 src0_sel:BYTE_1 src1_sel:DWORD
	s_and_saveexec_b32 s24, s7
	s_cbranch_execz .LBB369_697
; %bb.692:                              ;   in Loop: Header=BB369_10 Depth=1
	v_mov_b32_e32 v9, 0xffff
	v_mov_b32_e32 v52, 0x7f800001
	s_mov_b32 s25, exec_lo
	v_and_b32_sdwa v9, v9, v8 dst_sel:DWORD dst_unused:UNUSED_PAD src0_sel:DWORD src1_sel:BYTE_1
	v_and_b32_e32 v16, 0x7f, v9
	v_cmpx_ne_u32_e32 0x7f, v16
	s_cbranch_execz .LBB369_696
; %bb.693:                              ;   in Loop: Header=BB369_10 Depth=1
	v_and_b32_e32 v125, 7, v9
	v_lshrrev_b32_e32 v9, 3, v16
	s_mov_b32 s26, exec_lo
	v_mov_b32_e32 v30, v125
	v_mov_b32_e32 v31, v126
	v_cmpx_gt_u32_e32 8, v16
; %bb.694:                              ;   in Loop: Header=BB369_10 Depth=1
	v_ffbh_u32_e32 v9, v125
	v_min_u32_e32 v9, 32, v9
	v_subrev_nc_u32_e32 v16, 28, v9
	v_sub_nc_u32_e32 v9, 29, v9
	v_lshlrev_b64 v[16:17], v16, v[125:126]
	v_and_b32_e32 v30, 7, v16
; %bb.695:                              ;   in Loop: Header=BB369_10 Depth=1
	s_or_b32 exec_lo, exec_lo, s26
	v_lshlrev_b32_e32 v16, 16, v8
	v_lshlrev_b32_e32 v17, 20, v30
	v_lshl_add_u32 v9, v9, 23, 0x3c000000
	v_and_b32_e32 v16, 0x80000000, v16
	v_or3_b32 v52, v17, v16, v9
.LBB369_696:                            ;   in Loop: Header=BB369_10 Depth=1
	s_or_b32 exec_lo, exec_lo, s25
.LBB369_697:                            ;   in Loop: Header=BB369_10 Depth=1
	s_or_b32 exec_lo, exec_lo, s24
.LBB369_698:                            ;   in Loop: Header=BB369_10 Depth=1
	s_or_b32 exec_lo, exec_lo, s17
	v_mov_b32_e32 v9, 0xff
	v_mov_b32_e32 v53, 0
	;; [unrolled: 1-line block ×3, first 2 shown]
	s_mov_b32 s17, exec_lo
	v_and_b32_sdwa v9, v8, v9 dst_sel:DWORD dst_unused:UNUSED_PAD src0_sel:WORD_1 src1_sel:DWORD
	v_cmpx_ne_u16_e32 0, v9
	s_cbranch_execz .LBB369_706
; %bb.699:                              ;   in Loop: Header=BB369_10 Depth=1
	v_bfrev_b32_e32 v54, 1
	s_mov_b32 s24, exec_lo
	v_cmpx_ne_u16_e32 0x80, v9
	s_cbranch_execz .LBB369_705
; %bb.700:                              ;   in Loop: Header=BB369_10 Depth=1
	v_bfe_u32 v16, v8, 16, 7
	v_mov_b32_e32 v54, 0x7f800001
	s_mov_b32 s25, exec_lo
	v_cmpx_ne_u32_e32 0x7f, v16
	s_cbranch_execz .LBB369_704
; %bb.701:                              ;   in Loop: Header=BB369_10 Depth=1
	v_mov_b32_e32 v9, 7
	s_mov_b32 s26, exec_lo
	v_and_b32_sdwa v125, v8, v9 dst_sel:DWORD dst_unused:UNUSED_PAD src0_sel:WORD_1 src1_sel:DWORD
	v_lshrrev_b32_e32 v9, 3, v16
	v_mov_b32_e32 v30, v125
	v_mov_b32_e32 v31, v126
	v_cmpx_gt_u32_e32 8, v16
; %bb.702:                              ;   in Loop: Header=BB369_10 Depth=1
	v_ffbh_u32_e32 v9, v125
	v_min_u32_e32 v9, 32, v9
	v_subrev_nc_u32_e32 v16, 28, v9
	v_sub_nc_u32_e32 v9, 29, v9
	v_lshlrev_b64 v[16:17], v16, v[125:126]
	v_and_b32_e32 v30, 7, v16
; %bb.703:                              ;   in Loop: Header=BB369_10 Depth=1
	s_or_b32 exec_lo, exec_lo, s26
	v_mov_b32_e32 v16, 24
	v_lshlrev_b32_e32 v17, 20, v30
	v_lshl_add_u32 v9, v9, 23, 0x3c000000
	v_lshlrev_b32_sdwa v16, v16, v8 dst_sel:DWORD dst_unused:UNUSED_PAD src0_sel:DWORD src1_sel:WORD_1
	v_and_b32_e32 v16, 0x80000000, v16
	v_or3_b32 v54, v17, v16, v9
.LBB369_704:                            ;   in Loop: Header=BB369_10 Depth=1
	s_or_b32 exec_lo, exec_lo, s25
.LBB369_705:                            ;   in Loop: Header=BB369_10 Depth=1
	s_or_b32 exec_lo, exec_lo, s24
.LBB369_706:                            ;   in Loop: Header=BB369_10 Depth=1
	s_or_b32 exec_lo, exec_lo, s17
	s_mov_b32 s17, exec_lo
	v_cmpx_lt_u32_e32 0xffffff, v8
	s_cbranch_execz .LBB369_714
; %bb.707:                              ;   in Loop: Header=BB369_10 Depth=1
	v_mov_b32_e32 v9, 0x80
	v_bfrev_b32_e32 v53, 1
	v_cmp_ne_u32_sdwa s7, v8, v9 src0_sel:BYTE_3 src1_sel:DWORD
	s_and_saveexec_b32 s24, s7
	s_cbranch_execz .LBB369_713
; %bb.708:                              ;   in Loop: Header=BB369_10 Depth=1
	v_bfe_u32 v16, v8, 24, 7
	v_mov_b32_e32 v53, 0x7f800001
	s_mov_b32 s25, exec_lo
	v_cmpx_ne_u32_e32 0x7f, v16
	s_cbranch_execz .LBB369_712
; %bb.709:                              ;   in Loop: Header=BB369_10 Depth=1
	v_mov_b32_e32 v9, 7
	s_mov_b32 s26, exec_lo
	v_and_b32_sdwa v125, v8, v9 dst_sel:DWORD dst_unused:UNUSED_PAD src0_sel:BYTE_3 src1_sel:DWORD
	v_lshrrev_b32_e32 v9, 3, v16
	v_mov_b32_e32 v30, v125
	v_mov_b32_e32 v31, v126
	v_cmpx_gt_u32_e32 8, v16
; %bb.710:                              ;   in Loop: Header=BB369_10 Depth=1
	v_ffbh_u32_e32 v9, v125
	v_min_u32_e32 v9, 32, v9
	v_subrev_nc_u32_e32 v16, 28, v9
	v_sub_nc_u32_e32 v9, 29, v9
	v_lshlrev_b64 v[16:17], v16, v[125:126]
	v_and_b32_e32 v30, 7, v16
; %bb.711:                              ;   in Loop: Header=BB369_10 Depth=1
	s_or_b32 exec_lo, exec_lo, s26
	v_mov_b32_e32 v16, 24
	v_lshl_add_u32 v9, v9, 23, 0x3c000000
	v_lshlrev_b32_sdwa v8, v16, v8 dst_sel:DWORD dst_unused:UNUSED_PAD src0_sel:DWORD src1_sel:BYTE_3
	v_lshlrev_b32_e32 v16, 20, v30
	v_and_b32_e32 v8, 0x80000000, v8
	v_or3_b32 v53, v16, v8, v9
.LBB369_712:                            ;   in Loop: Header=BB369_10 Depth=1
	s_or_b32 exec_lo, exec_lo, s25
.LBB369_713:                            ;   in Loop: Header=BB369_10 Depth=1
	s_or_b32 exec_lo, exec_lo, s24
.LBB369_714:                            ;   in Loop: Header=BB369_10 Depth=1
	s_or_b32 exec_lo, exec_lo, s17
	buffer_load_dword v16, off, s[0:3], s32 offset:192 ; 4-byte Folded Reload
	v_add_co_u32 v8, s7, 0xb00, v28
	v_add_co_ci_u32_e64 v9, null, 0, v29, s7
	v_mov_b32_e32 v64, 0
	v_mov_b32_e32 v55, 0
	s_waitcnt vmcnt(0)
	v_add_co_u32 v16, s7, v8, v16
	v_add_co_ci_u32_e64 v17, null, 0, v9, s7
	flat_load_dword v16, v[16:17]
	s_waitcnt vmcnt(0) lgkmcnt(0)
	v_cmp_ne_u16_sdwa s7, v16, v126 src0_sel:BYTE_0 src1_sel:DWORD
	s_and_saveexec_b32 s17, s7
	s_cbranch_execz .LBB369_722
; %bb.715:                              ;   in Loop: Header=BB369_10 Depth=1
	v_mov_b32_e32 v17, 0x80
	v_bfrev_b32_e32 v55, 1
	v_cmp_ne_u16_sdwa s7, v16, v17 src0_sel:BYTE_0 src1_sel:DWORD
	s_and_saveexec_b32 s24, s7
	s_cbranch_execz .LBB369_721
; %bb.716:                              ;   in Loop: Header=BB369_10 Depth=1
	v_and_b32_e32 v24, 0x7f, v16
	v_mov_b32_e32 v55, 0x7f800001
	s_mov_b32 s25, exec_lo
	v_cmpx_ne_u32_e32 0x7f, v24
	s_cbranch_execz .LBB369_720
; %bb.717:                              ;   in Loop: Header=BB369_10 Depth=1
	v_and_b32_e32 v125, 7, v16
	v_lshrrev_b32_e32 v17, 3, v24
	s_mov_b32 s26, exec_lo
	v_mov_b32_e32 v30, v125
	v_mov_b32_e32 v31, v126
	v_cmpx_gt_u32_e32 8, v24
; %bb.718:                              ;   in Loop: Header=BB369_10 Depth=1
	v_ffbh_u32_e32 v17, v125
	v_min_u32_e32 v17, 32, v17
	v_subrev_nc_u32_e32 v24, 28, v17
	v_sub_nc_u32_e32 v17, 29, v17
	v_lshlrev_b64 v[24:25], v24, v[125:126]
	v_and_b32_e32 v30, 7, v24
; %bb.719:                              ;   in Loop: Header=BB369_10 Depth=1
	s_or_b32 exec_lo, exec_lo, s26
	v_lshlrev_b32_e32 v20, 24, v16
	v_lshlrev_b32_e32 v24, 20, v30
	v_lshl_add_u32 v17, v17, 23, 0x3c000000
	v_and_b32_e32 v20, 0x80000000, v20
	v_or3_b32 v55, v24, v20, v17
.LBB369_720:                            ;   in Loop: Header=BB369_10 Depth=1
	s_or_b32 exec_lo, exec_lo, s25
.LBB369_721:                            ;   in Loop: Header=BB369_10 Depth=1
	s_or_b32 exec_lo, exec_lo, s24
.LBB369_722:                            ;   in Loop: Header=BB369_10 Depth=1
	s_or_b32 exec_lo, exec_lo, s17
	v_cmp_ne_u16_sdwa s7, v16, v126 src0_sel:BYTE_1 src1_sel:DWORD
	s_and_saveexec_b32 s17, s7
	s_cbranch_execz .LBB369_730
; %bb.723:                              ;   in Loop: Header=BB369_10 Depth=1
	v_mov_b32_e32 v17, 0x80
	v_bfrev_b32_e32 v64, 1
	v_cmp_ne_u16_sdwa s7, v16, v17 src0_sel:BYTE_1 src1_sel:DWORD
	s_and_saveexec_b32 s24, s7
	s_cbranch_execz .LBB369_729
; %bb.724:                              ;   in Loop: Header=BB369_10 Depth=1
	v_mov_b32_e32 v17, 0xffff
	v_mov_b32_e32 v64, 0x7f800001
	s_mov_b32 s25, exec_lo
	v_and_b32_sdwa v17, v17, v16 dst_sel:DWORD dst_unused:UNUSED_PAD src0_sel:DWORD src1_sel:BYTE_1
	v_and_b32_e32 v24, 0x7f, v17
	v_cmpx_ne_u32_e32 0x7f, v24
	s_cbranch_execz .LBB369_728
; %bb.725:                              ;   in Loop: Header=BB369_10 Depth=1
	v_and_b32_e32 v125, 7, v17
	v_lshrrev_b32_e32 v17, 3, v24
	s_mov_b32 s26, exec_lo
	v_mov_b32_e32 v30, v125
	v_mov_b32_e32 v31, v126
	v_cmpx_gt_u32_e32 8, v24
; %bb.726:                              ;   in Loop: Header=BB369_10 Depth=1
	v_ffbh_u32_e32 v17, v125
	v_min_u32_e32 v17, 32, v17
	v_subrev_nc_u32_e32 v24, 28, v17
	v_sub_nc_u32_e32 v17, 29, v17
	v_lshlrev_b64 v[24:25], v24, v[125:126]
	v_and_b32_e32 v30, 7, v24
; %bb.727:                              ;   in Loop: Header=BB369_10 Depth=1
	s_or_b32 exec_lo, exec_lo, s26
	v_lshlrev_b32_e32 v20, 16, v16
	v_lshlrev_b32_e32 v24, 20, v30
	v_lshl_add_u32 v17, v17, 23, 0x3c000000
	v_and_b32_e32 v20, 0x80000000, v20
	v_or3_b32 v64, v24, v20, v17
.LBB369_728:                            ;   in Loop: Header=BB369_10 Depth=1
	s_or_b32 exec_lo, exec_lo, s25
.LBB369_729:                            ;   in Loop: Header=BB369_10 Depth=1
	s_or_b32 exec_lo, exec_lo, s24
.LBB369_730:                            ;   in Loop: Header=BB369_10 Depth=1
	s_or_b32 exec_lo, exec_lo, s17
	v_mov_b32_e32 v17, 0xff
	v_mov_b32_e32 v65, 0
	;; [unrolled: 1-line block ×3, first 2 shown]
	s_mov_b32 s17, exec_lo
	v_and_b32_sdwa v17, v16, v17 dst_sel:DWORD dst_unused:UNUSED_PAD src0_sel:WORD_1 src1_sel:DWORD
	v_cmpx_ne_u16_e32 0, v17
	s_cbranch_execz .LBB369_738
; %bb.731:                              ;   in Loop: Header=BB369_10 Depth=1
	v_bfrev_b32_e32 v68, 1
	s_mov_b32 s24, exec_lo
	v_cmpx_ne_u16_e32 0x80, v17
	s_cbranch_execz .LBB369_737
; %bb.732:                              ;   in Loop: Header=BB369_10 Depth=1
	v_bfe_u32 v24, v16, 16, 7
	v_mov_b32_e32 v68, 0x7f800001
	s_mov_b32 s25, exec_lo
	v_cmpx_ne_u32_e32 0x7f, v24
	s_cbranch_execz .LBB369_736
; %bb.733:                              ;   in Loop: Header=BB369_10 Depth=1
	v_mov_b32_e32 v17, 7
	s_mov_b32 s26, exec_lo
	v_and_b32_sdwa v125, v16, v17 dst_sel:DWORD dst_unused:UNUSED_PAD src0_sel:WORD_1 src1_sel:DWORD
	v_lshrrev_b32_e32 v17, 3, v24
	v_mov_b32_e32 v30, v125
	v_mov_b32_e32 v31, v126
	v_cmpx_gt_u32_e32 8, v24
; %bb.734:                              ;   in Loop: Header=BB369_10 Depth=1
	v_ffbh_u32_e32 v17, v125
	v_min_u32_e32 v17, 32, v17
	v_subrev_nc_u32_e32 v24, 28, v17
	v_sub_nc_u32_e32 v17, 29, v17
	v_lshlrev_b64 v[24:25], v24, v[125:126]
	v_and_b32_e32 v30, 7, v24
; %bb.735:                              ;   in Loop: Header=BB369_10 Depth=1
	s_or_b32 exec_lo, exec_lo, s26
	v_mov_b32_e32 v20, 24
	v_lshlrev_b32_e32 v24, 20, v30
	v_lshl_add_u32 v17, v17, 23, 0x3c000000
	v_lshlrev_b32_sdwa v20, v20, v16 dst_sel:DWORD dst_unused:UNUSED_PAD src0_sel:DWORD src1_sel:WORD_1
	v_and_b32_e32 v20, 0x80000000, v20
	v_or3_b32 v68, v24, v20, v17
.LBB369_736:                            ;   in Loop: Header=BB369_10 Depth=1
	s_or_b32 exec_lo, exec_lo, s25
.LBB369_737:                            ;   in Loop: Header=BB369_10 Depth=1
	s_or_b32 exec_lo, exec_lo, s24
.LBB369_738:                            ;   in Loop: Header=BB369_10 Depth=1
	s_or_b32 exec_lo, exec_lo, s17
	s_mov_b32 s17, exec_lo
	v_cmpx_lt_u32_e32 0xffffff, v16
	s_cbranch_execz .LBB369_746
; %bb.739:                              ;   in Loop: Header=BB369_10 Depth=1
	v_mov_b32_e32 v17, 0x80
	v_bfrev_b32_e32 v65, 1
	v_cmp_ne_u32_sdwa s7, v16, v17 src0_sel:BYTE_3 src1_sel:DWORD
	s_and_saveexec_b32 s24, s7
	s_cbranch_execz .LBB369_745
; %bb.740:                              ;   in Loop: Header=BB369_10 Depth=1
	v_bfe_u32 v24, v16, 24, 7
	v_mov_b32_e32 v65, 0x7f800001
	s_mov_b32 s25, exec_lo
	v_cmpx_ne_u32_e32 0x7f, v24
	s_cbranch_execz .LBB369_744
; %bb.741:                              ;   in Loop: Header=BB369_10 Depth=1
	v_mov_b32_e32 v17, 7
	s_mov_b32 s26, exec_lo
	v_and_b32_sdwa v125, v16, v17 dst_sel:DWORD dst_unused:UNUSED_PAD src0_sel:BYTE_3 src1_sel:DWORD
	v_lshrrev_b32_e32 v17, 3, v24
	v_mov_b32_e32 v30, v125
	v_mov_b32_e32 v31, v126
	v_cmpx_gt_u32_e32 8, v24
; %bb.742:                              ;   in Loop: Header=BB369_10 Depth=1
	v_ffbh_u32_e32 v17, v125
	v_min_u32_e32 v17, 32, v17
	v_subrev_nc_u32_e32 v24, 28, v17
	v_sub_nc_u32_e32 v17, 29, v17
	v_lshlrev_b64 v[24:25], v24, v[125:126]
	v_and_b32_e32 v30, 7, v24
; %bb.743:                              ;   in Loop: Header=BB369_10 Depth=1
	s_or_b32 exec_lo, exec_lo, s26
	v_mov_b32_e32 v20, 24
	v_lshl_add_u32 v17, v17, 23, 0x3c000000
	v_lshlrev_b32_sdwa v16, v20, v16 dst_sel:DWORD dst_unused:UNUSED_PAD src0_sel:DWORD src1_sel:BYTE_3
	v_lshlrev_b32_e32 v20, 20, v30
	v_and_b32_e32 v16, 0x80000000, v16
	v_or3_b32 v65, v20, v16, v17
.LBB369_744:                            ;   in Loop: Header=BB369_10 Depth=1
	s_or_b32 exec_lo, exec_lo, s25
.LBB369_745:                            ;   in Loop: Header=BB369_10 Depth=1
	s_or_b32 exec_lo, exec_lo, s24
.LBB369_746:                            ;   in Loop: Header=BB369_10 Depth=1
	s_or_b32 exec_lo, exec_lo, s17
	buffer_load_dword v16, off, s[0:3], s32 offset:200 ; 4-byte Folded Reload
	v_mov_b32_e32 v70, 0
	v_mov_b32_e32 v69, 0
	s_waitcnt vmcnt(0)
	v_add_co_u32 v8, s7, v8, v16
	v_add_co_ci_u32_e64 v9, null, 0, v9, s7
	flat_load_dword v8, v[8:9]
	s_waitcnt vmcnt(0) lgkmcnt(0)
	v_cmp_ne_u16_sdwa s7, v8, v126 src0_sel:BYTE_0 src1_sel:DWORD
	s_and_saveexec_b32 s17, s7
	s_cbranch_execz .LBB369_754
; %bb.747:                              ;   in Loop: Header=BB369_10 Depth=1
	v_mov_b32_e32 v9, 0x80
	v_bfrev_b32_e32 v69, 1
	v_cmp_ne_u16_sdwa s7, v8, v9 src0_sel:BYTE_0 src1_sel:DWORD
	s_and_saveexec_b32 s24, s7
	s_cbranch_execz .LBB369_753
; %bb.748:                              ;   in Loop: Header=BB369_10 Depth=1
	v_and_b32_e32 v16, 0x7f, v8
	v_mov_b32_e32 v69, 0x7f800001
	s_mov_b32 s25, exec_lo
	v_cmpx_ne_u32_e32 0x7f, v16
	s_cbranch_execz .LBB369_752
; %bb.749:                              ;   in Loop: Header=BB369_10 Depth=1
	v_and_b32_e32 v125, 7, v8
	v_lshrrev_b32_e32 v9, 3, v16
	s_mov_b32 s26, exec_lo
	v_mov_b32_e32 v30, v125
	v_mov_b32_e32 v31, v126
	v_cmpx_gt_u32_e32 8, v16
; %bb.750:                              ;   in Loop: Header=BB369_10 Depth=1
	v_ffbh_u32_e32 v9, v125
	v_min_u32_e32 v9, 32, v9
	v_subrev_nc_u32_e32 v16, 28, v9
	v_sub_nc_u32_e32 v9, 29, v9
	v_lshlrev_b64 v[16:17], v16, v[125:126]
	v_and_b32_e32 v30, 7, v16
; %bb.751:                              ;   in Loop: Header=BB369_10 Depth=1
	s_or_b32 exec_lo, exec_lo, s26
	v_lshlrev_b32_e32 v16, 24, v8
	v_lshlrev_b32_e32 v17, 20, v30
	v_lshl_add_u32 v9, v9, 23, 0x3c000000
	v_and_b32_e32 v16, 0x80000000, v16
	v_or3_b32 v69, v17, v16, v9
.LBB369_752:                            ;   in Loop: Header=BB369_10 Depth=1
	s_or_b32 exec_lo, exec_lo, s25
.LBB369_753:                            ;   in Loop: Header=BB369_10 Depth=1
	s_or_b32 exec_lo, exec_lo, s24
.LBB369_754:                            ;   in Loop: Header=BB369_10 Depth=1
	s_or_b32 exec_lo, exec_lo, s17
	v_cmp_ne_u16_sdwa s7, v8, v126 src0_sel:BYTE_1 src1_sel:DWORD
	s_and_saveexec_b32 s17, s7
	s_cbranch_execz .LBB369_762
; %bb.755:                              ;   in Loop: Header=BB369_10 Depth=1
	v_mov_b32_e32 v9, 0x80
	v_bfrev_b32_e32 v70, 1
	v_cmp_ne_u16_sdwa s7, v8, v9 src0_sel:BYTE_1 src1_sel:DWORD
	s_and_saveexec_b32 s24, s7
	s_cbranch_execz .LBB369_761
; %bb.756:                              ;   in Loop: Header=BB369_10 Depth=1
	v_mov_b32_e32 v9, 0xffff
	v_mov_b32_e32 v70, 0x7f800001
	s_mov_b32 s25, exec_lo
	v_and_b32_sdwa v9, v9, v8 dst_sel:DWORD dst_unused:UNUSED_PAD src0_sel:DWORD src1_sel:BYTE_1
	v_and_b32_e32 v16, 0x7f, v9
	v_cmpx_ne_u32_e32 0x7f, v16
	s_cbranch_execz .LBB369_760
; %bb.757:                              ;   in Loop: Header=BB369_10 Depth=1
	v_and_b32_e32 v125, 7, v9
	v_lshrrev_b32_e32 v9, 3, v16
	s_mov_b32 s26, exec_lo
	v_mov_b32_e32 v30, v125
	v_mov_b32_e32 v31, v126
	v_cmpx_gt_u32_e32 8, v16
; %bb.758:                              ;   in Loop: Header=BB369_10 Depth=1
	v_ffbh_u32_e32 v9, v125
	v_min_u32_e32 v9, 32, v9
	v_subrev_nc_u32_e32 v16, 28, v9
	v_sub_nc_u32_e32 v9, 29, v9
	v_lshlrev_b64 v[16:17], v16, v[125:126]
	v_and_b32_e32 v30, 7, v16
; %bb.759:                              ;   in Loop: Header=BB369_10 Depth=1
	s_or_b32 exec_lo, exec_lo, s26
	v_lshlrev_b32_e32 v16, 16, v8
	v_lshlrev_b32_e32 v17, 20, v30
	v_lshl_add_u32 v9, v9, 23, 0x3c000000
	v_and_b32_e32 v16, 0x80000000, v16
	v_or3_b32 v70, v17, v16, v9
.LBB369_760:                            ;   in Loop: Header=BB369_10 Depth=1
	s_or_b32 exec_lo, exec_lo, s25
.LBB369_761:                            ;   in Loop: Header=BB369_10 Depth=1
	s_or_b32 exec_lo, exec_lo, s24
.LBB369_762:                            ;   in Loop: Header=BB369_10 Depth=1
	s_or_b32 exec_lo, exec_lo, s17
	v_mov_b32_e32 v9, 0xff
	v_mov_b32_e32 v71, 0
	;; [unrolled: 1-line block ×3, first 2 shown]
	s_mov_b32 s17, exec_lo
	v_and_b32_sdwa v9, v8, v9 dst_sel:DWORD dst_unused:UNUSED_PAD src0_sel:WORD_1 src1_sel:DWORD
	v_cmpx_ne_u16_e32 0, v9
	s_cbranch_execz .LBB369_770
; %bb.763:                              ;   in Loop: Header=BB369_10 Depth=1
	v_bfrev_b32_e32 v80, 1
	s_mov_b32 s24, exec_lo
	v_cmpx_ne_u16_e32 0x80, v9
	s_cbranch_execz .LBB369_769
; %bb.764:                              ;   in Loop: Header=BB369_10 Depth=1
	v_bfe_u32 v16, v8, 16, 7
	v_mov_b32_e32 v80, 0x7f800001
	s_mov_b32 s25, exec_lo
	v_cmpx_ne_u32_e32 0x7f, v16
	s_cbranch_execz .LBB369_768
; %bb.765:                              ;   in Loop: Header=BB369_10 Depth=1
	v_mov_b32_e32 v9, 7
	s_mov_b32 s26, exec_lo
	v_and_b32_sdwa v125, v8, v9 dst_sel:DWORD dst_unused:UNUSED_PAD src0_sel:WORD_1 src1_sel:DWORD
	v_lshrrev_b32_e32 v9, 3, v16
	v_mov_b32_e32 v30, v125
	v_mov_b32_e32 v31, v126
	v_cmpx_gt_u32_e32 8, v16
; %bb.766:                              ;   in Loop: Header=BB369_10 Depth=1
	v_ffbh_u32_e32 v9, v125
	v_min_u32_e32 v9, 32, v9
	v_subrev_nc_u32_e32 v16, 28, v9
	v_sub_nc_u32_e32 v9, 29, v9
	v_lshlrev_b64 v[16:17], v16, v[125:126]
	v_and_b32_e32 v30, 7, v16
; %bb.767:                              ;   in Loop: Header=BB369_10 Depth=1
	s_or_b32 exec_lo, exec_lo, s26
	v_mov_b32_e32 v16, 24
	v_lshlrev_b32_e32 v17, 20, v30
	v_lshl_add_u32 v9, v9, 23, 0x3c000000
	v_lshlrev_b32_sdwa v16, v16, v8 dst_sel:DWORD dst_unused:UNUSED_PAD src0_sel:DWORD src1_sel:WORD_1
	v_and_b32_e32 v16, 0x80000000, v16
	v_or3_b32 v80, v17, v16, v9
.LBB369_768:                            ;   in Loop: Header=BB369_10 Depth=1
	s_or_b32 exec_lo, exec_lo, s25
.LBB369_769:                            ;   in Loop: Header=BB369_10 Depth=1
	s_or_b32 exec_lo, exec_lo, s24
.LBB369_770:                            ;   in Loop: Header=BB369_10 Depth=1
	s_or_b32 exec_lo, exec_lo, s17
	s_mov_b32 s17, exec_lo
	v_cmpx_lt_u32_e32 0xffffff, v8
	s_cbranch_execz .LBB369_778
; %bb.771:                              ;   in Loop: Header=BB369_10 Depth=1
	v_mov_b32_e32 v9, 0x80
	v_bfrev_b32_e32 v71, 1
	v_cmp_ne_u32_sdwa s7, v8, v9 src0_sel:BYTE_3 src1_sel:DWORD
	s_and_saveexec_b32 s24, s7
	s_cbranch_execz .LBB369_777
; %bb.772:                              ;   in Loop: Header=BB369_10 Depth=1
	v_bfe_u32 v16, v8, 24, 7
	v_mov_b32_e32 v71, 0x7f800001
	s_mov_b32 s25, exec_lo
	v_cmpx_ne_u32_e32 0x7f, v16
	s_cbranch_execz .LBB369_776
; %bb.773:                              ;   in Loop: Header=BB369_10 Depth=1
	v_mov_b32_e32 v9, 7
	s_mov_b32 s26, exec_lo
	v_and_b32_sdwa v125, v8, v9 dst_sel:DWORD dst_unused:UNUSED_PAD src0_sel:BYTE_3 src1_sel:DWORD
	v_lshrrev_b32_e32 v9, 3, v16
	v_mov_b32_e32 v30, v125
	v_mov_b32_e32 v31, v126
	v_cmpx_gt_u32_e32 8, v16
; %bb.774:                              ;   in Loop: Header=BB369_10 Depth=1
	v_ffbh_u32_e32 v9, v125
	v_min_u32_e32 v9, 32, v9
	v_subrev_nc_u32_e32 v16, 28, v9
	v_sub_nc_u32_e32 v9, 29, v9
	v_lshlrev_b64 v[16:17], v16, v[125:126]
	v_and_b32_e32 v30, 7, v16
; %bb.775:                              ;   in Loop: Header=BB369_10 Depth=1
	s_or_b32 exec_lo, exec_lo, s26
	v_mov_b32_e32 v16, 24
	v_lshl_add_u32 v9, v9, 23, 0x3c000000
	v_lshlrev_b32_sdwa v8, v16, v8 dst_sel:DWORD dst_unused:UNUSED_PAD src0_sel:DWORD src1_sel:BYTE_3
	v_lshlrev_b32_e32 v16, 20, v30
	v_and_b32_e32 v8, 0x80000000, v8
	v_or3_b32 v71, v16, v8, v9
.LBB369_776:                            ;   in Loop: Header=BB369_10 Depth=1
	s_or_b32 exec_lo, exec_lo, s25
.LBB369_777:                            ;   in Loop: Header=BB369_10 Depth=1
	s_or_b32 exec_lo, exec_lo, s24
.LBB369_778:                            ;   in Loop: Header=BB369_10 Depth=1
	s_or_b32 exec_lo, exec_lo, s17
	buffer_load_dword v16, off, s[0:3], s32 offset:192 ; 4-byte Folded Reload
	v_add_co_u32 v8, s7, 0xc00, v28
	v_add_co_ci_u32_e64 v9, null, 0, v29, s7
	v_mov_b32_e32 v82, 0
	v_mov_b32_e32 v81, 0
	s_waitcnt vmcnt(0)
	v_add_co_u32 v16, s7, v8, v16
	v_add_co_ci_u32_e64 v17, null, 0, v9, s7
	flat_load_dword v16, v[16:17]
	s_waitcnt vmcnt(0) lgkmcnt(0)
	v_cmp_ne_u16_sdwa s7, v16, v126 src0_sel:BYTE_0 src1_sel:DWORD
	s_and_saveexec_b32 s17, s7
	s_cbranch_execz .LBB369_786
; %bb.779:                              ;   in Loop: Header=BB369_10 Depth=1
	v_mov_b32_e32 v17, 0x80
	v_bfrev_b32_e32 v81, 1
	v_cmp_ne_u16_sdwa s7, v16, v17 src0_sel:BYTE_0 src1_sel:DWORD
	s_and_saveexec_b32 s24, s7
	s_cbranch_execz .LBB369_785
; %bb.780:                              ;   in Loop: Header=BB369_10 Depth=1
	v_and_b32_e32 v24, 0x7f, v16
	v_mov_b32_e32 v81, 0x7f800001
	s_mov_b32 s25, exec_lo
	v_cmpx_ne_u32_e32 0x7f, v24
	s_cbranch_execz .LBB369_784
; %bb.781:                              ;   in Loop: Header=BB369_10 Depth=1
	v_and_b32_e32 v125, 7, v16
	v_lshrrev_b32_e32 v17, 3, v24
	s_mov_b32 s26, exec_lo
	v_mov_b32_e32 v30, v125
	v_mov_b32_e32 v31, v126
	v_cmpx_gt_u32_e32 8, v24
; %bb.782:                              ;   in Loop: Header=BB369_10 Depth=1
	v_ffbh_u32_e32 v17, v125
	v_min_u32_e32 v17, 32, v17
	v_subrev_nc_u32_e32 v24, 28, v17
	v_sub_nc_u32_e32 v17, 29, v17
	v_lshlrev_b64 v[24:25], v24, v[125:126]
	v_and_b32_e32 v30, 7, v24
; %bb.783:                              ;   in Loop: Header=BB369_10 Depth=1
	s_or_b32 exec_lo, exec_lo, s26
	v_lshlrev_b32_e32 v20, 24, v16
	v_lshlrev_b32_e32 v24, 20, v30
	v_lshl_add_u32 v17, v17, 23, 0x3c000000
	v_and_b32_e32 v20, 0x80000000, v20
	v_or3_b32 v81, v24, v20, v17
.LBB369_784:                            ;   in Loop: Header=BB369_10 Depth=1
	s_or_b32 exec_lo, exec_lo, s25
.LBB369_785:                            ;   in Loop: Header=BB369_10 Depth=1
	s_or_b32 exec_lo, exec_lo, s24
.LBB369_786:                            ;   in Loop: Header=BB369_10 Depth=1
	s_or_b32 exec_lo, exec_lo, s17
	v_cmp_ne_u16_sdwa s7, v16, v126 src0_sel:BYTE_1 src1_sel:DWORD
	s_and_saveexec_b32 s17, s7
	s_cbranch_execz .LBB369_794
; %bb.787:                              ;   in Loop: Header=BB369_10 Depth=1
	v_mov_b32_e32 v17, 0x80
	v_bfrev_b32_e32 v82, 1
	v_cmp_ne_u16_sdwa s7, v16, v17 src0_sel:BYTE_1 src1_sel:DWORD
	s_and_saveexec_b32 s24, s7
	s_cbranch_execz .LBB369_793
; %bb.788:                              ;   in Loop: Header=BB369_10 Depth=1
	v_mov_b32_e32 v17, 0xffff
	v_mov_b32_e32 v82, 0x7f800001
	s_mov_b32 s25, exec_lo
	v_and_b32_sdwa v17, v17, v16 dst_sel:DWORD dst_unused:UNUSED_PAD src0_sel:DWORD src1_sel:BYTE_1
	v_and_b32_e32 v24, 0x7f, v17
	v_cmpx_ne_u32_e32 0x7f, v24
	s_cbranch_execz .LBB369_792
; %bb.789:                              ;   in Loop: Header=BB369_10 Depth=1
	v_and_b32_e32 v125, 7, v17
	v_lshrrev_b32_e32 v17, 3, v24
	s_mov_b32 s26, exec_lo
	v_mov_b32_e32 v30, v125
	v_mov_b32_e32 v31, v126
	v_cmpx_gt_u32_e32 8, v24
; %bb.790:                              ;   in Loop: Header=BB369_10 Depth=1
	v_ffbh_u32_e32 v17, v125
	v_min_u32_e32 v17, 32, v17
	v_subrev_nc_u32_e32 v24, 28, v17
	v_sub_nc_u32_e32 v17, 29, v17
	v_lshlrev_b64 v[24:25], v24, v[125:126]
	v_and_b32_e32 v30, 7, v24
; %bb.791:                              ;   in Loop: Header=BB369_10 Depth=1
	s_or_b32 exec_lo, exec_lo, s26
	v_lshlrev_b32_e32 v20, 16, v16
	v_lshlrev_b32_e32 v24, 20, v30
	v_lshl_add_u32 v17, v17, 23, 0x3c000000
	v_and_b32_e32 v20, 0x80000000, v20
	v_or3_b32 v82, v24, v20, v17
.LBB369_792:                            ;   in Loop: Header=BB369_10 Depth=1
	s_or_b32 exec_lo, exec_lo, s25
.LBB369_793:                            ;   in Loop: Header=BB369_10 Depth=1
	s_or_b32 exec_lo, exec_lo, s24
.LBB369_794:                            ;   in Loop: Header=BB369_10 Depth=1
	s_or_b32 exec_lo, exec_lo, s17
	v_mov_b32_e32 v17, 0xff
	v_mov_b32_e32 v83, 0
	;; [unrolled: 1-line block ×3, first 2 shown]
	s_mov_b32 s17, exec_lo
	v_and_b32_sdwa v17, v16, v17 dst_sel:DWORD dst_unused:UNUSED_PAD src0_sel:WORD_1 src1_sel:DWORD
	v_cmpx_ne_u16_e32 0, v17
	s_cbranch_execz .LBB369_802
; %bb.795:                              ;   in Loop: Header=BB369_10 Depth=1
	v_bfrev_b32_e32 v84, 1
	s_mov_b32 s24, exec_lo
	v_cmpx_ne_u16_e32 0x80, v17
	s_cbranch_execz .LBB369_801
; %bb.796:                              ;   in Loop: Header=BB369_10 Depth=1
	v_bfe_u32 v24, v16, 16, 7
	v_mov_b32_e32 v84, 0x7f800001
	s_mov_b32 s25, exec_lo
	v_cmpx_ne_u32_e32 0x7f, v24
	s_cbranch_execz .LBB369_800
; %bb.797:                              ;   in Loop: Header=BB369_10 Depth=1
	v_mov_b32_e32 v17, 7
	s_mov_b32 s26, exec_lo
	v_and_b32_sdwa v125, v16, v17 dst_sel:DWORD dst_unused:UNUSED_PAD src0_sel:WORD_1 src1_sel:DWORD
	v_lshrrev_b32_e32 v17, 3, v24
	v_mov_b32_e32 v30, v125
	v_mov_b32_e32 v31, v126
	v_cmpx_gt_u32_e32 8, v24
; %bb.798:                              ;   in Loop: Header=BB369_10 Depth=1
	v_ffbh_u32_e32 v17, v125
	v_min_u32_e32 v17, 32, v17
	v_subrev_nc_u32_e32 v24, 28, v17
	v_sub_nc_u32_e32 v17, 29, v17
	v_lshlrev_b64 v[24:25], v24, v[125:126]
	v_and_b32_e32 v30, 7, v24
; %bb.799:                              ;   in Loop: Header=BB369_10 Depth=1
	s_or_b32 exec_lo, exec_lo, s26
	v_mov_b32_e32 v20, 24
	v_lshlrev_b32_e32 v24, 20, v30
	v_lshl_add_u32 v17, v17, 23, 0x3c000000
	v_lshlrev_b32_sdwa v20, v20, v16 dst_sel:DWORD dst_unused:UNUSED_PAD src0_sel:DWORD src1_sel:WORD_1
	v_and_b32_e32 v20, 0x80000000, v20
	v_or3_b32 v84, v24, v20, v17
.LBB369_800:                            ;   in Loop: Header=BB369_10 Depth=1
	s_or_b32 exec_lo, exec_lo, s25
.LBB369_801:                            ;   in Loop: Header=BB369_10 Depth=1
	s_or_b32 exec_lo, exec_lo, s24
.LBB369_802:                            ;   in Loop: Header=BB369_10 Depth=1
	s_or_b32 exec_lo, exec_lo, s17
	s_mov_b32 s17, exec_lo
	v_cmpx_lt_u32_e32 0xffffff, v16
	s_cbranch_execz .LBB369_810
; %bb.803:                              ;   in Loop: Header=BB369_10 Depth=1
	v_mov_b32_e32 v17, 0x80
	v_bfrev_b32_e32 v83, 1
	v_cmp_ne_u32_sdwa s7, v16, v17 src0_sel:BYTE_3 src1_sel:DWORD
	s_and_saveexec_b32 s24, s7
	s_cbranch_execz .LBB369_809
; %bb.804:                              ;   in Loop: Header=BB369_10 Depth=1
	v_bfe_u32 v24, v16, 24, 7
	v_mov_b32_e32 v83, 0x7f800001
	s_mov_b32 s25, exec_lo
	v_cmpx_ne_u32_e32 0x7f, v24
	s_cbranch_execz .LBB369_808
; %bb.805:                              ;   in Loop: Header=BB369_10 Depth=1
	v_mov_b32_e32 v17, 7
	s_mov_b32 s26, exec_lo
	v_and_b32_sdwa v125, v16, v17 dst_sel:DWORD dst_unused:UNUSED_PAD src0_sel:BYTE_3 src1_sel:DWORD
	v_lshrrev_b32_e32 v17, 3, v24
	v_mov_b32_e32 v30, v125
	v_mov_b32_e32 v31, v126
	v_cmpx_gt_u32_e32 8, v24
; %bb.806:                              ;   in Loop: Header=BB369_10 Depth=1
	v_ffbh_u32_e32 v17, v125
	v_min_u32_e32 v17, 32, v17
	v_subrev_nc_u32_e32 v24, 28, v17
	v_sub_nc_u32_e32 v17, 29, v17
	v_lshlrev_b64 v[24:25], v24, v[125:126]
	v_and_b32_e32 v30, 7, v24
; %bb.807:                              ;   in Loop: Header=BB369_10 Depth=1
	s_or_b32 exec_lo, exec_lo, s26
	v_mov_b32_e32 v20, 24
	v_lshl_add_u32 v17, v17, 23, 0x3c000000
	v_lshlrev_b32_sdwa v16, v20, v16 dst_sel:DWORD dst_unused:UNUSED_PAD src0_sel:DWORD src1_sel:BYTE_3
	v_lshlrev_b32_e32 v20, 20, v30
	v_and_b32_e32 v16, 0x80000000, v16
	v_or3_b32 v83, v20, v16, v17
.LBB369_808:                            ;   in Loop: Header=BB369_10 Depth=1
	s_or_b32 exec_lo, exec_lo, s25
.LBB369_809:                            ;   in Loop: Header=BB369_10 Depth=1
	s_or_b32 exec_lo, exec_lo, s24
.LBB369_810:                            ;   in Loop: Header=BB369_10 Depth=1
	s_or_b32 exec_lo, exec_lo, s17
	buffer_load_dword v16, off, s[0:3], s32 offset:200 ; 4-byte Folded Reload
	v_mov_b32_e32 v86, 0
	s_waitcnt vmcnt(0)
	v_add_co_u32 v8, s7, v8, v16
	v_add_co_ci_u32_e64 v9, null, 0, v9, s7
	flat_load_dword v16, v[8:9]
	v_mov_b32_e32 v8, 0
	s_waitcnt vmcnt(0) lgkmcnt(0)
	v_cmp_ne_u16_sdwa s7, v16, v126 src0_sel:BYTE_0 src1_sel:DWORD
	s_and_saveexec_b32 s17, s7
	s_cbranch_execz .LBB369_818
; %bb.811:                              ;   in Loop: Header=BB369_10 Depth=1
	v_mov_b32_e32 v9, 0x80
	v_bfrev_b32_e32 v86, 1
	v_cmp_ne_u16_sdwa s7, v16, v9 src0_sel:BYTE_0 src1_sel:DWORD
	s_and_saveexec_b32 s24, s7
	s_cbranch_execz .LBB369_817
; %bb.812:                              ;   in Loop: Header=BB369_10 Depth=1
	v_and_b32_e32 v17, 0x7f, v16
	v_mov_b32_e32 v86, 0x7f800001
	s_mov_b32 s25, exec_lo
	v_cmpx_ne_u32_e32 0x7f, v17
	s_cbranch_execz .LBB369_816
; %bb.813:                              ;   in Loop: Header=BB369_10 Depth=1
	v_and_b32_e32 v125, 7, v16
	v_lshrrev_b32_e32 v9, 3, v17
	s_mov_b32 s26, exec_lo
	v_mov_b32_e32 v30, v125
	v_mov_b32_e32 v31, v126
	v_cmpx_gt_u32_e32 8, v17
; %bb.814:                              ;   in Loop: Header=BB369_10 Depth=1
	v_ffbh_u32_e32 v9, v125
	v_min_u32_e32 v9, 32, v9
	v_subrev_nc_u32_e32 v17, 28, v9
	v_sub_nc_u32_e32 v9, 29, v9
	v_lshlrev_b64 v[24:25], v17, v[125:126]
	v_and_b32_e32 v30, 7, v24
; %bb.815:                              ;   in Loop: Header=BB369_10 Depth=1
	s_or_b32 exec_lo, exec_lo, s26
	v_lshlrev_b32_e32 v17, 24, v16
	v_lshlrev_b32_e32 v20, 20, v30
	v_lshl_add_u32 v9, v9, 23, 0x3c000000
	v_and_b32_e32 v17, 0x80000000, v17
	v_or3_b32 v86, v20, v17, v9
.LBB369_816:                            ;   in Loop: Header=BB369_10 Depth=1
	s_or_b32 exec_lo, exec_lo, s25
.LBB369_817:                            ;   in Loop: Header=BB369_10 Depth=1
	s_or_b32 exec_lo, exec_lo, s24
.LBB369_818:                            ;   in Loop: Header=BB369_10 Depth=1
	s_or_b32 exec_lo, exec_lo, s17
	v_cmp_ne_u16_sdwa s7, v16, v126 src0_sel:BYTE_1 src1_sel:DWORD
	s_and_saveexec_b32 s17, s7
	s_cbranch_execz .LBB369_826
; %bb.819:                              ;   in Loop: Header=BB369_10 Depth=1
	v_mov_b32_e32 v8, 0x80
	v_cmp_ne_u16_sdwa s7, v16, v8 src0_sel:BYTE_1 src1_sel:DWORD
	v_bfrev_b32_e32 v8, 1
	s_and_saveexec_b32 s24, s7
	s_cbranch_execz .LBB369_825
; %bb.820:                              ;   in Loop: Header=BB369_10 Depth=1
	v_mov_b32_e32 v8, 0xffff
	s_mov_b32 s25, exec_lo
	v_and_b32_sdwa v17, v8, v16 dst_sel:DWORD dst_unused:UNUSED_PAD src0_sel:DWORD src1_sel:BYTE_1
	v_mov_b32_e32 v8, 0x7f800001
	v_and_b32_e32 v9, 0x7f, v17
	v_cmpx_ne_u32_e32 0x7f, v9
	s_cbranch_execz .LBB369_824
; %bb.821:                              ;   in Loop: Header=BB369_10 Depth=1
	v_and_b32_e32 v125, 7, v17
	v_lshrrev_b32_e32 v8, 3, v9
	s_mov_b32 s26, exec_lo
	v_mov_b32_e32 v30, v125
	v_mov_b32_e32 v31, v126
	v_cmpx_gt_u32_e32 8, v9
; %bb.822:                              ;   in Loop: Header=BB369_10 Depth=1
	v_ffbh_u32_e32 v8, v125
	v_min_u32_e32 v8, 32, v8
	v_subrev_nc_u32_e32 v9, 28, v8
	v_sub_nc_u32_e32 v8, 29, v8
	v_lshlrev_b64 v[24:25], v9, v[125:126]
	v_and_b32_e32 v30, 7, v24
; %bb.823:                              ;   in Loop: Header=BB369_10 Depth=1
	s_or_b32 exec_lo, exec_lo, s26
	v_lshlrev_b32_e32 v9, 16, v16
	v_lshlrev_b32_e32 v17, 20, v30
	v_lshl_add_u32 v8, v8, 23, 0x3c000000
	v_and_b32_e32 v9, 0x80000000, v9
	v_or3_b32 v8, v17, v9, v8
.LBB369_824:                            ;   in Loop: Header=BB369_10 Depth=1
	s_or_b32 exec_lo, exec_lo, s25
.LBB369_825:                            ;   in Loop: Header=BB369_10 Depth=1
	s_or_b32 exec_lo, exec_lo, s24
.LBB369_826:                            ;   in Loop: Header=BB369_10 Depth=1
	s_or_b32 exec_lo, exec_lo, s17
	v_mov_b32_e32 v9, 0xff
	v_mov_b32_e32 v85, 0
	s_mov_b32 s17, exec_lo
	v_and_b32_sdwa v17, v16, v9 dst_sel:DWORD dst_unused:UNUSED_PAD src0_sel:WORD_1 src1_sel:DWORD
	v_mov_b32_e32 v9, 0
	v_cmpx_ne_u16_e32 0, v17
	s_cbranch_execz .LBB369_834
; %bb.827:                              ;   in Loop: Header=BB369_10 Depth=1
	v_bfrev_b32_e32 v85, 1
	s_mov_b32 s24, exec_lo
	v_cmpx_ne_u16_e32 0x80, v17
	s_cbranch_execz .LBB369_833
; %bb.828:                              ;   in Loop: Header=BB369_10 Depth=1
	v_bfe_u32 v24, v16, 16, 7
	v_mov_b32_e32 v85, 0x7f800001
	s_mov_b32 s25, exec_lo
	v_cmpx_ne_u32_e32 0x7f, v24
	s_cbranch_execz .LBB369_832
; %bb.829:                              ;   in Loop: Header=BB369_10 Depth=1
	v_mov_b32_e32 v17, 7
	s_mov_b32 s26, exec_lo
	v_and_b32_sdwa v125, v16, v17 dst_sel:DWORD dst_unused:UNUSED_PAD src0_sel:WORD_1 src1_sel:DWORD
	v_lshrrev_b32_e32 v17, 3, v24
	v_mov_b32_e32 v30, v125
	v_mov_b32_e32 v31, v126
	v_cmpx_gt_u32_e32 8, v24
; %bb.830:                              ;   in Loop: Header=BB369_10 Depth=1
	v_ffbh_u32_e32 v17, v125
	v_min_u32_e32 v17, 32, v17
	v_subrev_nc_u32_e32 v24, 28, v17
	v_sub_nc_u32_e32 v17, 29, v17
	v_lshlrev_b64 v[24:25], v24, v[125:126]
	v_and_b32_e32 v30, 7, v24
; %bb.831:                              ;   in Loop: Header=BB369_10 Depth=1
	s_or_b32 exec_lo, exec_lo, s26
	v_mov_b32_e32 v20, 24
	v_lshlrev_b32_e32 v24, 20, v30
	v_lshl_add_u32 v17, v17, 23, 0x3c000000
	v_lshlrev_b32_sdwa v20, v20, v16 dst_sel:DWORD dst_unused:UNUSED_PAD src0_sel:DWORD src1_sel:WORD_1
	v_and_b32_e32 v20, 0x80000000, v20
	v_or3_b32 v85, v24, v20, v17
.LBB369_832:                            ;   in Loop: Header=BB369_10 Depth=1
	s_or_b32 exec_lo, exec_lo, s25
.LBB369_833:                            ;   in Loop: Header=BB369_10 Depth=1
	s_or_b32 exec_lo, exec_lo, s24
.LBB369_834:                            ;   in Loop: Header=BB369_10 Depth=1
	s_or_b32 exec_lo, exec_lo, s17
	s_mov_b32 s17, exec_lo
	v_cmpx_lt_u32_e32 0xffffff, v16
	s_cbranch_execz .LBB369_842
; %bb.835:                              ;   in Loop: Header=BB369_10 Depth=1
	v_mov_b32_e32 v9, 0x80
	v_cmp_ne_u32_sdwa s7, v16, v9 src0_sel:BYTE_3 src1_sel:DWORD
	v_bfrev_b32_e32 v9, 1
	s_and_saveexec_b32 s24, s7
	s_cbranch_execz .LBB369_841
; %bb.836:                              ;   in Loop: Header=BB369_10 Depth=1
	v_bfe_u32 v17, v16, 24, 7
	v_mov_b32_e32 v9, 0x7f800001
	s_mov_b32 s25, exec_lo
	v_cmpx_ne_u32_e32 0x7f, v17
	s_cbranch_execz .LBB369_840
; %bb.837:                              ;   in Loop: Header=BB369_10 Depth=1
	v_mov_b32_e32 v9, 7
	s_mov_b32 s26, exec_lo
	v_and_b32_sdwa v125, v16, v9 dst_sel:DWORD dst_unused:UNUSED_PAD src0_sel:BYTE_3 src1_sel:DWORD
	v_lshrrev_b32_e32 v9, 3, v17
	v_mov_b32_e32 v30, v125
	v_mov_b32_e32 v31, v126
	v_cmpx_gt_u32_e32 8, v17
; %bb.838:                              ;   in Loop: Header=BB369_10 Depth=1
	v_ffbh_u32_e32 v9, v125
	v_min_u32_e32 v9, 32, v9
	v_subrev_nc_u32_e32 v17, 28, v9
	v_sub_nc_u32_e32 v9, 29, v9
	v_lshlrev_b64 v[24:25], v17, v[125:126]
	v_and_b32_e32 v30, 7, v24
; %bb.839:                              ;   in Loop: Header=BB369_10 Depth=1
	s_or_b32 exec_lo, exec_lo, s26
	v_mov_b32_e32 v17, 24
	v_lshl_add_u32 v9, v9, 23, 0x3c000000
	v_lshlrev_b32_sdwa v16, v17, v16 dst_sel:DWORD dst_unused:UNUSED_PAD src0_sel:DWORD src1_sel:BYTE_3
	v_lshlrev_b32_e32 v17, 20, v30
	v_and_b32_e32 v16, 0x80000000, v16
	v_or3_b32 v9, v17, v16, v9
.LBB369_840:                            ;   in Loop: Header=BB369_10 Depth=1
	s_or_b32 exec_lo, exec_lo, s25
.LBB369_841:                            ;   in Loop: Header=BB369_10 Depth=1
	s_or_b32 exec_lo, exec_lo, s24
.LBB369_842:                            ;   in Loop: Header=BB369_10 Depth=1
	s_or_b32 exec_lo, exec_lo, s17
	buffer_load_dword v20, off, s[0:3], s32 offset:192 ; 4-byte Folded Reload
	v_add_co_u32 v16, s7, 0xd00, v28
	v_add_co_ci_u32_e64 v17, null, 0, v29, s7
	s_waitcnt vmcnt(0)
	v_add_co_u32 v24, s7, v16, v20
	v_add_co_ci_u32_e64 v25, null, 0, v17, s7
	flat_load_dword v116, v[24:25]
	v_mov_b32_e32 v24, 0
	v_mov_b32_e32 v25, 0
	s_waitcnt vmcnt(0) lgkmcnt(0)
	v_cmp_ne_u16_sdwa s7, v116, v126 src0_sel:BYTE_0 src1_sel:DWORD
	s_and_saveexec_b32 s17, s7
	s_cbranch_execz .LBB369_850
; %bb.843:                              ;   in Loop: Header=BB369_10 Depth=1
	v_mov_b32_e32 v20, 0x80
	v_bfrev_b32_e32 v25, 1
	v_cmp_ne_u16_sdwa s7, v116, v20 src0_sel:BYTE_0 src1_sel:DWORD
	s_and_saveexec_b32 s24, s7
	s_cbranch_execz .LBB369_849
; %bb.844:                              ;   in Loop: Header=BB369_10 Depth=1
	v_and_b32_e32 v114, 0x7f, v116
	v_mov_b32_e32 v25, 0x7f800001
	s_mov_b32 s25, exec_lo
	v_cmpx_ne_u32_e32 0x7f, v114
	s_cbranch_execz .LBB369_848
; %bb.845:                              ;   in Loop: Header=BB369_10 Depth=1
	v_and_b32_e32 v125, 7, v116
	v_lshrrev_b32_e32 v25, 3, v114
	s_mov_b32 s26, exec_lo
	v_mov_b32_e32 v30, v125
	v_mov_b32_e32 v31, v126
	v_cmpx_gt_u32_e32 8, v114
; %bb.846:                              ;   in Loop: Header=BB369_10 Depth=1
	v_ffbh_u32_e32 v25, v125
	v_min_u32_e32 v25, 32, v25
	v_subrev_nc_u32_e32 v30, 28, v25
	v_sub_nc_u32_e32 v25, 29, v25
	v_lshlrev_b64 v[30:31], v30, v[125:126]
	v_and_b32_e32 v30, 7, v30
; %bb.847:                              ;   in Loop: Header=BB369_10 Depth=1
	s_or_b32 exec_lo, exec_lo, s26
	v_lshlrev_b32_e32 v20, 24, v116
	v_lshlrev_b32_e32 v30, 20, v30
	v_lshl_add_u32 v25, v25, 23, 0x3c000000
	v_and_b32_e32 v20, 0x80000000, v20
	v_or3_b32 v25, v30, v20, v25
.LBB369_848:                            ;   in Loop: Header=BB369_10 Depth=1
	s_or_b32 exec_lo, exec_lo, s25
.LBB369_849:                            ;   in Loop: Header=BB369_10 Depth=1
	s_or_b32 exec_lo, exec_lo, s24
.LBB369_850:                            ;   in Loop: Header=BB369_10 Depth=1
	s_or_b32 exec_lo, exec_lo, s17
	v_cmp_ne_u16_sdwa s7, v116, v126 src0_sel:BYTE_1 src1_sel:DWORD
	s_and_saveexec_b32 s17, s7
	s_cbranch_execz .LBB369_858
; %bb.851:                              ;   in Loop: Header=BB369_10 Depth=1
	v_mov_b32_e32 v20, 0x80
	v_bfrev_b32_e32 v24, 1
	v_cmp_ne_u16_sdwa s7, v116, v20 src0_sel:BYTE_1 src1_sel:DWORD
	s_and_saveexec_b32 s24, s7
	s_cbranch_execz .LBB369_857
; %bb.852:                              ;   in Loop: Header=BB369_10 Depth=1
	v_mov_b32_e32 v20, 0xffff
	v_mov_b32_e32 v24, 0x7f800001
	s_mov_b32 s25, exec_lo
	v_and_b32_sdwa v20, v20, v116 dst_sel:DWORD dst_unused:UNUSED_PAD src0_sel:DWORD src1_sel:BYTE_1
	v_and_b32_e32 v114, 0x7f, v20
	v_cmpx_ne_u32_e32 0x7f, v114
	s_cbranch_execz .LBB369_856
; %bb.853:                              ;   in Loop: Header=BB369_10 Depth=1
	v_and_b32_e32 v125, 7, v20
	v_lshrrev_b32_e32 v24, 3, v114
	s_mov_b32 s26, exec_lo
	v_mov_b32_e32 v30, v125
	v_mov_b32_e32 v31, v126
	v_cmpx_gt_u32_e32 8, v114
; %bb.854:                              ;   in Loop: Header=BB369_10 Depth=1
	v_ffbh_u32_e32 v24, v125
	v_min_u32_e32 v24, 32, v24
	v_subrev_nc_u32_e32 v30, 28, v24
	v_sub_nc_u32_e32 v24, 29, v24
	v_lshlrev_b64 v[30:31], v30, v[125:126]
	v_and_b32_e32 v30, 7, v30
; %bb.855:                              ;   in Loop: Header=BB369_10 Depth=1
	s_or_b32 exec_lo, exec_lo, s26
	v_lshlrev_b32_e32 v20, 16, v116
	v_lshlrev_b32_e32 v30, 20, v30
	v_lshl_add_u32 v24, v24, 23, 0x3c000000
	v_and_b32_e32 v20, 0x80000000, v20
	v_or3_b32 v24, v30, v20, v24
.LBB369_856:                            ;   in Loop: Header=BB369_10 Depth=1
	s_or_b32 exec_lo, exec_lo, s25
.LBB369_857:                            ;   in Loop: Header=BB369_10 Depth=1
	s_or_b32 exec_lo, exec_lo, s24
.LBB369_858:                            ;   in Loop: Header=BB369_10 Depth=1
	s_or_b32 exec_lo, exec_lo, s17
	v_mov_b32_e32 v20, 0xff
	v_mov_b32_e32 v114, 0
	;; [unrolled: 1-line block ×3, first 2 shown]
	s_mov_b32 s17, exec_lo
	v_and_b32_sdwa v20, v116, v20 dst_sel:DWORD dst_unused:UNUSED_PAD src0_sel:WORD_1 src1_sel:DWORD
	v_cmpx_ne_u16_e32 0, v20
	s_cbranch_execz .LBB369_866
; %bb.859:                              ;   in Loop: Header=BB369_10 Depth=1
	v_bfrev_b32_e32 v115, 1
	s_mov_b32 s24, exec_lo
	v_cmpx_ne_u16_e32 0x80, v20
	s_cbranch_execz .LBB369_865
; %bb.860:                              ;   in Loop: Header=BB369_10 Depth=1
	v_bfe_u32 v117, v116, 16, 7
	v_mov_b32_e32 v115, 0x7f800001
	s_mov_b32 s25, exec_lo
	v_cmpx_ne_u32_e32 0x7f, v117
	s_cbranch_execz .LBB369_864
; %bb.861:                              ;   in Loop: Header=BB369_10 Depth=1
	v_mov_b32_e32 v20, 7
	s_mov_b32 s26, exec_lo
	v_and_b32_sdwa v125, v116, v20 dst_sel:DWORD dst_unused:UNUSED_PAD src0_sel:WORD_1 src1_sel:DWORD
	v_mov_b32_e32 v30, v125
	v_mov_b32_e32 v31, v126
	v_lshrrev_b32_e32 v31, 3, v117
	v_cmpx_gt_u32_e32 8, v117
; %bb.862:                              ;   in Loop: Header=BB369_10 Depth=1
	v_ffbh_u32_e32 v30, v125
	v_min_u32_e32 v115, 32, v30
	v_subrev_nc_u32_e32 v30, 28, v115
	v_lshlrev_b64 v[30:31], v30, v[125:126]
	v_sub_nc_u32_e32 v31, 29, v115
	v_and_b32_e32 v30, 7, v30
; %bb.863:                              ;   in Loop: Header=BB369_10 Depth=1
	s_or_b32 exec_lo, exec_lo, s26
	v_mov_b32_e32 v20, 24
	v_lshlrev_b32_e32 v30, 20, v30
	v_lshl_add_u32 v31, v31, 23, 0x3c000000
	v_lshlrev_b32_sdwa v20, v20, v116 dst_sel:DWORD dst_unused:UNUSED_PAD src0_sel:DWORD src1_sel:WORD_1
	v_and_b32_e32 v20, 0x80000000, v20
	v_or3_b32 v115, v30, v20, v31
.LBB369_864:                            ;   in Loop: Header=BB369_10 Depth=1
	s_or_b32 exec_lo, exec_lo, s25
.LBB369_865:                            ;   in Loop: Header=BB369_10 Depth=1
	s_or_b32 exec_lo, exec_lo, s24
.LBB369_866:                            ;   in Loop: Header=BB369_10 Depth=1
	s_or_b32 exec_lo, exec_lo, s17
	s_mov_b32 s17, exec_lo
	v_cmpx_lt_u32_e32 0xffffff, v116
	s_cbranch_execz .LBB369_874
; %bb.867:                              ;   in Loop: Header=BB369_10 Depth=1
	v_mov_b32_e32 v20, 0x80
	v_bfrev_b32_e32 v114, 1
	v_cmp_ne_u32_sdwa s7, v116, v20 src0_sel:BYTE_3 src1_sel:DWORD
	s_and_saveexec_b32 s24, s7
	s_cbranch_execz .LBB369_873
; %bb.868:                              ;   in Loop: Header=BB369_10 Depth=1
	v_bfe_u32 v117, v116, 24, 7
	v_mov_b32_e32 v114, 0x7f800001
	s_mov_b32 s25, exec_lo
	v_cmpx_ne_u32_e32 0x7f, v117
	s_cbranch_execz .LBB369_872
; %bb.869:                              ;   in Loop: Header=BB369_10 Depth=1
	v_mov_b32_e32 v20, 7
	s_mov_b32 s26, exec_lo
	v_and_b32_sdwa v125, v116, v20 dst_sel:DWORD dst_unused:UNUSED_PAD src0_sel:BYTE_3 src1_sel:DWORD
	v_mov_b32_e32 v30, v125
	v_mov_b32_e32 v31, v126
	v_lshrrev_b32_e32 v31, 3, v117
	v_cmpx_gt_u32_e32 8, v117
; %bb.870:                              ;   in Loop: Header=BB369_10 Depth=1
	v_ffbh_u32_e32 v30, v125
	v_min_u32_e32 v114, 32, v30
	v_subrev_nc_u32_e32 v30, 28, v114
	v_lshlrev_b64 v[30:31], v30, v[125:126]
	v_sub_nc_u32_e32 v31, 29, v114
	v_and_b32_e32 v30, 7, v30
; %bb.871:                              ;   in Loop: Header=BB369_10 Depth=1
	s_or_b32 exec_lo, exec_lo, s26
	v_mov_b32_e32 v20, 24
	v_lshlrev_b32_e32 v30, 20, v30
	v_lshl_add_u32 v31, v31, 23, 0x3c000000
	v_lshlrev_b32_sdwa v20, v20, v116 dst_sel:DWORD dst_unused:UNUSED_PAD src0_sel:DWORD src1_sel:BYTE_3
	v_and_b32_e32 v20, 0x80000000, v20
	v_or3_b32 v114, v30, v20, v31
.LBB369_872:                            ;   in Loop: Header=BB369_10 Depth=1
	s_or_b32 exec_lo, exec_lo, s25
.LBB369_873:                            ;   in Loop: Header=BB369_10 Depth=1
	s_or_b32 exec_lo, exec_lo, s24
.LBB369_874:                            ;   in Loop: Header=BB369_10 Depth=1
	s_or_b32 exec_lo, exec_lo, s17
	buffer_load_dword v20, off, s[0:3], s32 offset:200 ; 4-byte Folded Reload
	v_mov_b32_e32 v117, 0
	v_mov_b32_e32 v116, 0
	s_waitcnt vmcnt(0)
	v_add_co_u32 v16, s7, v16, v20
	v_add_co_ci_u32_e64 v17, null, 0, v17, s7
	flat_load_dword v16, v[16:17]
	s_waitcnt vmcnt(0) lgkmcnt(0)
	v_cmp_ne_u16_sdwa s7, v16, v126 src0_sel:BYTE_0 src1_sel:DWORD
	s_and_saveexec_b32 s17, s7
	s_cbranch_execz .LBB369_882
; %bb.875:                              ;   in Loop: Header=BB369_10 Depth=1
	v_mov_b32_e32 v17, 0x80
	v_bfrev_b32_e32 v116, 1
	v_cmp_ne_u16_sdwa s7, v16, v17 src0_sel:BYTE_0 src1_sel:DWORD
	s_and_saveexec_b32 s24, s7
	s_cbranch_execz .LBB369_881
; %bb.876:                              ;   in Loop: Header=BB369_10 Depth=1
	v_and_b32_e32 v118, 0x7f, v16
	v_mov_b32_e32 v116, 0x7f800001
	s_mov_b32 s25, exec_lo
	v_cmpx_ne_u32_e32 0x7f, v118
	s_cbranch_execz .LBB369_880
; %bb.877:                              ;   in Loop: Header=BB369_10 Depth=1
	v_and_b32_e32 v125, 7, v16
	v_lshrrev_b32_e32 v17, 3, v118
	s_mov_b32 s26, exec_lo
	v_mov_b32_e32 v30, v125
	v_mov_b32_e32 v31, v126
	v_cmpx_gt_u32_e32 8, v118
; %bb.878:                              ;   in Loop: Header=BB369_10 Depth=1
	v_ffbh_u32_e32 v17, v125
	v_min_u32_e32 v17, 32, v17
	v_subrev_nc_u32_e32 v30, 28, v17
	v_sub_nc_u32_e32 v17, 29, v17
	v_lshlrev_b64 v[30:31], v30, v[125:126]
	v_and_b32_e32 v30, 7, v30
; %bb.879:                              ;   in Loop: Header=BB369_10 Depth=1
	s_or_b32 exec_lo, exec_lo, s26
	v_lshlrev_b32_e32 v20, 24, v16
	v_lshlrev_b32_e32 v30, 20, v30
	v_lshl_add_u32 v17, v17, 23, 0x3c000000
	v_and_b32_e32 v20, 0x80000000, v20
	v_or3_b32 v116, v30, v20, v17
.LBB369_880:                            ;   in Loop: Header=BB369_10 Depth=1
	s_or_b32 exec_lo, exec_lo, s25
.LBB369_881:                            ;   in Loop: Header=BB369_10 Depth=1
	s_or_b32 exec_lo, exec_lo, s24
.LBB369_882:                            ;   in Loop: Header=BB369_10 Depth=1
	s_or_b32 exec_lo, exec_lo, s17
	v_cmp_ne_u16_sdwa s7, v16, v126 src0_sel:BYTE_1 src1_sel:DWORD
	s_and_saveexec_b32 s17, s7
	s_cbranch_execz .LBB369_890
; %bb.883:                              ;   in Loop: Header=BB369_10 Depth=1
	v_mov_b32_e32 v17, 0x80
	v_bfrev_b32_e32 v117, 1
	v_cmp_ne_u16_sdwa s7, v16, v17 src0_sel:BYTE_1 src1_sel:DWORD
	s_and_saveexec_b32 s24, s7
	s_cbranch_execz .LBB369_889
; %bb.884:                              ;   in Loop: Header=BB369_10 Depth=1
	v_mov_b32_e32 v17, 0xffff
	v_mov_b32_e32 v117, 0x7f800001
	s_mov_b32 s25, exec_lo
	v_and_b32_sdwa v17, v17, v16 dst_sel:DWORD dst_unused:UNUSED_PAD src0_sel:DWORD src1_sel:BYTE_1
	v_and_b32_e32 v118, 0x7f, v17
	v_cmpx_ne_u32_e32 0x7f, v118
	s_cbranch_execz .LBB369_888
; %bb.885:                              ;   in Loop: Header=BB369_10 Depth=1
	v_and_b32_e32 v125, 7, v17
	v_lshrrev_b32_e32 v17, 3, v118
	s_mov_b32 s26, exec_lo
	v_mov_b32_e32 v30, v125
	v_mov_b32_e32 v31, v126
	v_cmpx_gt_u32_e32 8, v118
; %bb.886:                              ;   in Loop: Header=BB369_10 Depth=1
	v_ffbh_u32_e32 v17, v125
	v_min_u32_e32 v17, 32, v17
	v_subrev_nc_u32_e32 v30, 28, v17
	v_sub_nc_u32_e32 v17, 29, v17
	v_lshlrev_b64 v[30:31], v30, v[125:126]
	v_and_b32_e32 v30, 7, v30
; %bb.887:                              ;   in Loop: Header=BB369_10 Depth=1
	s_or_b32 exec_lo, exec_lo, s26
	v_lshlrev_b32_e32 v20, 16, v16
	v_lshlrev_b32_e32 v30, 20, v30
	v_lshl_add_u32 v17, v17, 23, 0x3c000000
	v_and_b32_e32 v20, 0x80000000, v20
	v_or3_b32 v117, v30, v20, v17
.LBB369_888:                            ;   in Loop: Header=BB369_10 Depth=1
	s_or_b32 exec_lo, exec_lo, s25
.LBB369_889:                            ;   in Loop: Header=BB369_10 Depth=1
	s_or_b32 exec_lo, exec_lo, s24
.LBB369_890:                            ;   in Loop: Header=BB369_10 Depth=1
	s_or_b32 exec_lo, exec_lo, s17
	v_mov_b32_e32 v17, 0xff
	v_mov_b32_e32 v118, 0
	v_mov_b32_e32 v119, 0
	s_mov_b32 s17, exec_lo
	v_and_b32_sdwa v17, v16, v17 dst_sel:DWORD dst_unused:UNUSED_PAD src0_sel:WORD_1 src1_sel:DWORD
	v_cmpx_ne_u16_e32 0, v17
	s_cbranch_execz .LBB369_898
; %bb.891:                              ;   in Loop: Header=BB369_10 Depth=1
	v_bfrev_b32_e32 v119, 1
	s_mov_b32 s24, exec_lo
	v_cmpx_ne_u16_e32 0x80, v17
	s_cbranch_execz .LBB369_897
; %bb.892:                              ;   in Loop: Header=BB369_10 Depth=1
	v_bfe_u32 v40, v16, 16, 7
	v_mov_b32_e32 v119, 0x7f800001
	s_mov_b32 s25, exec_lo
	v_cmpx_ne_u32_e32 0x7f, v40
	s_cbranch_execz .LBB369_896
; %bb.893:                              ;   in Loop: Header=BB369_10 Depth=1
	v_mov_b32_e32 v17, 7
	s_mov_b32 s26, exec_lo
	v_and_b32_sdwa v125, v16, v17 dst_sel:DWORD dst_unused:UNUSED_PAD src0_sel:WORD_1 src1_sel:DWORD
	v_lshrrev_b32_e32 v17, 3, v40
	v_mov_b32_e32 v30, v125
	v_mov_b32_e32 v31, v126
	v_cmpx_gt_u32_e32 8, v40
; %bb.894:                              ;   in Loop: Header=BB369_10 Depth=1
	v_ffbh_u32_e32 v17, v125
	v_min_u32_e32 v17, 32, v17
	v_subrev_nc_u32_e32 v30, 28, v17
	v_sub_nc_u32_e32 v17, 29, v17
	v_lshlrev_b64 v[30:31], v30, v[125:126]
	v_and_b32_e32 v30, 7, v30
; %bb.895:                              ;   in Loop: Header=BB369_10 Depth=1
	s_or_b32 exec_lo, exec_lo, s26
	v_mov_b32_e32 v20, 24
	v_lshlrev_b32_e32 v30, 20, v30
	v_lshl_add_u32 v17, v17, 23, 0x3c000000
	v_lshlrev_b32_sdwa v20, v20, v16 dst_sel:DWORD dst_unused:UNUSED_PAD src0_sel:DWORD src1_sel:WORD_1
	v_and_b32_e32 v20, 0x80000000, v20
	v_or3_b32 v119, v30, v20, v17
.LBB369_896:                            ;   in Loop: Header=BB369_10 Depth=1
	s_or_b32 exec_lo, exec_lo, s25
.LBB369_897:                            ;   in Loop: Header=BB369_10 Depth=1
	s_or_b32 exec_lo, exec_lo, s24
.LBB369_898:                            ;   in Loop: Header=BB369_10 Depth=1
	s_or_b32 exec_lo, exec_lo, s17
	s_mov_b32 s17, exec_lo
	v_cmpx_lt_u32_e32 0xffffff, v16
	s_cbranch_execz .LBB369_906
; %bb.899:                              ;   in Loop: Header=BB369_10 Depth=1
	v_mov_b32_e32 v17, 0x80
	v_bfrev_b32_e32 v118, 1
	v_cmp_ne_u32_sdwa s7, v16, v17 src0_sel:BYTE_3 src1_sel:DWORD
	s_and_saveexec_b32 s24, s7
	s_cbranch_execz .LBB369_905
; %bb.900:                              ;   in Loop: Header=BB369_10 Depth=1
	v_bfe_u32 v40, v16, 24, 7
	v_mov_b32_e32 v118, 0x7f800001
	s_mov_b32 s25, exec_lo
	v_cmpx_ne_u32_e32 0x7f, v40
	s_cbranch_execz .LBB369_904
; %bb.901:                              ;   in Loop: Header=BB369_10 Depth=1
	v_mov_b32_e32 v17, 7
	s_mov_b32 s26, exec_lo
	v_and_b32_sdwa v125, v16, v17 dst_sel:DWORD dst_unused:UNUSED_PAD src0_sel:BYTE_3 src1_sel:DWORD
	v_lshrrev_b32_e32 v17, 3, v40
	v_mov_b32_e32 v30, v125
	v_mov_b32_e32 v31, v126
	v_cmpx_gt_u32_e32 8, v40
; %bb.902:                              ;   in Loop: Header=BB369_10 Depth=1
	v_ffbh_u32_e32 v17, v125
	v_min_u32_e32 v17, 32, v17
	v_subrev_nc_u32_e32 v30, 28, v17
	v_sub_nc_u32_e32 v17, 29, v17
	v_lshlrev_b64 v[30:31], v30, v[125:126]
	v_and_b32_e32 v30, 7, v30
; %bb.903:                              ;   in Loop: Header=BB369_10 Depth=1
	s_or_b32 exec_lo, exec_lo, s26
	v_mov_b32_e32 v20, 24
	v_lshl_add_u32 v17, v17, 23, 0x3c000000
	v_lshlrev_b32_sdwa v16, v20, v16 dst_sel:DWORD dst_unused:UNUSED_PAD src0_sel:DWORD src1_sel:BYTE_3
	v_lshlrev_b32_e32 v20, 20, v30
	v_and_b32_e32 v16, 0x80000000, v16
	v_or3_b32 v118, v20, v16, v17
.LBB369_904:                            ;   in Loop: Header=BB369_10 Depth=1
	s_or_b32 exec_lo, exec_lo, s25
.LBB369_905:                            ;   in Loop: Header=BB369_10 Depth=1
	s_or_b32 exec_lo, exec_lo, s24
.LBB369_906:                            ;   in Loop: Header=BB369_10 Depth=1
	s_or_b32 exec_lo, exec_lo, s17
	buffer_load_dword v16, off, s[0:3], s32 offset:192 ; 4-byte Folded Reload
	v_add_co_u32 v40, s7, 0xe00, v28
	v_add_co_ci_u32_e64 v41, null, 0, v29, s7
	s_waitcnt vmcnt(0)
	v_add_co_u32 v16, s7, v40, v16
	v_add_co_ci_u32_e64 v17, null, 0, v41, s7
	flat_load_dword v42, v[16:17]
	v_mov_b32_e32 v17, 0
	v_mov_b32_e32 v16, 0
	s_waitcnt vmcnt(0) lgkmcnt(0)
	v_cmp_ne_u16_sdwa s7, v42, v126 src0_sel:BYTE_0 src1_sel:DWORD
	s_and_saveexec_b32 s17, s7
	s_cbranch_execz .LBB369_914
; %bb.907:                              ;   in Loop: Header=BB369_10 Depth=1
	v_mov_b32_e32 v16, 0x80
	v_cmp_ne_u16_sdwa s7, v42, v16 src0_sel:BYTE_0 src1_sel:DWORD
	v_bfrev_b32_e32 v16, 1
	s_and_saveexec_b32 s24, s7
	s_cbranch_execz .LBB369_913
; %bb.908:                              ;   in Loop: Header=BB369_10 Depth=1
	v_and_b32_e32 v43, 0x7f, v42
	v_mov_b32_e32 v16, 0x7f800001
	s_mov_b32 s25, exec_lo
	v_cmpx_ne_u32_e32 0x7f, v43
	s_cbranch_execz .LBB369_912
; %bb.909:                              ;   in Loop: Header=BB369_10 Depth=1
	v_and_b32_e32 v125, 7, v42
	v_lshrrev_b32_e32 v16, 3, v43
	s_mov_b32 s26, exec_lo
	v_mov_b32_e32 v30, v125
	v_mov_b32_e32 v31, v126
	v_cmpx_gt_u32_e32 8, v43
; %bb.910:                              ;   in Loop: Header=BB369_10 Depth=1
	v_ffbh_u32_e32 v16, v125
	v_min_u32_e32 v16, 32, v16
	v_subrev_nc_u32_e32 v30, 28, v16
	v_sub_nc_u32_e32 v16, 29, v16
	v_lshlrev_b64 v[30:31], v30, v[125:126]
	v_and_b32_e32 v30, 7, v30
; %bb.911:                              ;   in Loop: Header=BB369_10 Depth=1
	s_or_b32 exec_lo, exec_lo, s26
	v_lshlrev_b32_e32 v20, 24, v42
	v_lshlrev_b32_e32 v30, 20, v30
	v_lshl_add_u32 v16, v16, 23, 0x3c000000
	v_and_b32_e32 v20, 0x80000000, v20
	v_or3_b32 v16, v30, v20, v16
.LBB369_912:                            ;   in Loop: Header=BB369_10 Depth=1
	s_or_b32 exec_lo, exec_lo, s25
.LBB369_913:                            ;   in Loop: Header=BB369_10 Depth=1
	s_or_b32 exec_lo, exec_lo, s24
.LBB369_914:                            ;   in Loop: Header=BB369_10 Depth=1
	s_or_b32 exec_lo, exec_lo, s17
	v_cmp_ne_u16_sdwa s7, v42, v126 src0_sel:BYTE_1 src1_sel:DWORD
	s_and_saveexec_b32 s17, s7
	s_cbranch_execz .LBB369_922
; %bb.915:                              ;   in Loop: Header=BB369_10 Depth=1
	v_mov_b32_e32 v17, 0x80
	v_cmp_ne_u16_sdwa s7, v42, v17 src0_sel:BYTE_1 src1_sel:DWORD
	v_bfrev_b32_e32 v17, 1
	s_and_saveexec_b32 s24, s7
	s_cbranch_execz .LBB369_921
; %bb.916:                              ;   in Loop: Header=BB369_10 Depth=1
	v_mov_b32_e32 v17, 0xffff
	s_mov_b32 s25, exec_lo
	v_and_b32_sdwa v20, v17, v42 dst_sel:DWORD dst_unused:UNUSED_PAD src0_sel:DWORD src1_sel:BYTE_1
	v_mov_b32_e32 v17, 0x7f800001
	v_and_b32_e32 v43, 0x7f, v20
	v_cmpx_ne_u32_e32 0x7f, v43
	s_cbranch_execz .LBB369_920
; %bb.917:                              ;   in Loop: Header=BB369_10 Depth=1
	v_and_b32_e32 v125, 7, v20
	v_lshrrev_b32_e32 v17, 3, v43
	s_mov_b32 s26, exec_lo
	v_mov_b32_e32 v30, v125
	v_mov_b32_e32 v31, v126
	v_cmpx_gt_u32_e32 8, v43
; %bb.918:                              ;   in Loop: Header=BB369_10 Depth=1
	v_ffbh_u32_e32 v17, v125
	v_min_u32_e32 v17, 32, v17
	v_subrev_nc_u32_e32 v30, 28, v17
	v_sub_nc_u32_e32 v17, 29, v17
	v_lshlrev_b64 v[30:31], v30, v[125:126]
	v_and_b32_e32 v30, 7, v30
; %bb.919:                              ;   in Loop: Header=BB369_10 Depth=1
	s_or_b32 exec_lo, exec_lo, s26
	v_lshlrev_b32_e32 v20, 16, v42
	v_lshlrev_b32_e32 v30, 20, v30
	v_lshl_add_u32 v17, v17, 23, 0x3c000000
	v_and_b32_e32 v20, 0x80000000, v20
	v_or3_b32 v17, v30, v20, v17
.LBB369_920:                            ;   in Loop: Header=BB369_10 Depth=1
	s_or_b32 exec_lo, exec_lo, s25
.LBB369_921:                            ;   in Loop: Header=BB369_10 Depth=1
	s_or_b32 exec_lo, exec_lo, s24
.LBB369_922:                            ;   in Loop: Header=BB369_10 Depth=1
	s_or_b32 exec_lo, exec_lo, s17
	v_mov_b32_e32 v20, 0xff
	v_mov_b32_e32 v46, 0
	;; [unrolled: 1-line block ×3, first 2 shown]
	s_mov_b32 s17, exec_lo
	v_and_b32_sdwa v20, v42, v20 dst_sel:DWORD dst_unused:UNUSED_PAD src0_sel:WORD_1 src1_sel:DWORD
	v_cmpx_ne_u16_e32 0, v20
	s_cbranch_execz .LBB369_930
; %bb.923:                              ;   in Loop: Header=BB369_10 Depth=1
	v_bfrev_b32_e32 v45, 1
	s_mov_b32 s24, exec_lo
	v_cmpx_ne_u16_e32 0x80, v20
	s_cbranch_execz .LBB369_929
; %bb.924:                              ;   in Loop: Header=BB369_10 Depth=1
	v_bfe_u32 v43, v42, 16, 7
	v_mov_b32_e32 v45, 0x7f800001
	s_mov_b32 s25, exec_lo
	v_cmpx_ne_u32_e32 0x7f, v43
	s_cbranch_execz .LBB369_928
; %bb.925:                              ;   in Loop: Header=BB369_10 Depth=1
	v_mov_b32_e32 v20, 7
	s_mov_b32 s26, exec_lo
	v_and_b32_sdwa v125, v42, v20 dst_sel:DWORD dst_unused:UNUSED_PAD src0_sel:WORD_1 src1_sel:DWORD
	v_mov_b32_e32 v30, v125
	v_mov_b32_e32 v31, v126
	v_lshrrev_b32_e32 v31, 3, v43
	v_cmpx_gt_u32_e32 8, v43
; %bb.926:                              ;   in Loop: Header=BB369_10 Depth=1
	v_ffbh_u32_e32 v30, v125
	v_min_u32_e32 v43, 32, v30
	v_subrev_nc_u32_e32 v30, 28, v43
	v_lshlrev_b64 v[30:31], v30, v[125:126]
	v_sub_nc_u32_e32 v31, 29, v43
	v_and_b32_e32 v30, 7, v30
; %bb.927:                              ;   in Loop: Header=BB369_10 Depth=1
	s_or_b32 exec_lo, exec_lo, s26
	v_mov_b32_e32 v20, 24
	v_lshlrev_b32_e32 v30, 20, v30
	v_lshl_add_u32 v31, v31, 23, 0x3c000000
	v_lshlrev_b32_sdwa v20, v20, v42 dst_sel:DWORD dst_unused:UNUSED_PAD src0_sel:DWORD src1_sel:WORD_1
	v_and_b32_e32 v20, 0x80000000, v20
	v_or3_b32 v45, v30, v20, v31
.LBB369_928:                            ;   in Loop: Header=BB369_10 Depth=1
	s_or_b32 exec_lo, exec_lo, s25
.LBB369_929:                            ;   in Loop: Header=BB369_10 Depth=1
	s_or_b32 exec_lo, exec_lo, s24
.LBB369_930:                            ;   in Loop: Header=BB369_10 Depth=1
	s_or_b32 exec_lo, exec_lo, s17
	s_mov_b32 s17, exec_lo
	v_cmpx_lt_u32_e32 0xffffff, v42
	s_cbranch_execz .LBB369_938
; %bb.931:                              ;   in Loop: Header=BB369_10 Depth=1
	v_mov_b32_e32 v20, 0x80
	v_bfrev_b32_e32 v46, 1
	v_cmp_ne_u32_sdwa s7, v42, v20 src0_sel:BYTE_3 src1_sel:DWORD
	s_and_saveexec_b32 s24, s7
	s_cbranch_execz .LBB369_937
; %bb.932:                              ;   in Loop: Header=BB369_10 Depth=1
	v_bfe_u32 v43, v42, 24, 7
	v_mov_b32_e32 v46, 0x7f800001
	s_mov_b32 s25, exec_lo
	v_cmpx_ne_u32_e32 0x7f, v43
	s_cbranch_execz .LBB369_936
; %bb.933:                              ;   in Loop: Header=BB369_10 Depth=1
	v_mov_b32_e32 v20, 7
	s_mov_b32 s26, exec_lo
	v_and_b32_sdwa v125, v42, v20 dst_sel:DWORD dst_unused:UNUSED_PAD src0_sel:BYTE_3 src1_sel:DWORD
	v_mov_b32_e32 v30, v125
	v_mov_b32_e32 v31, v126
	v_lshrrev_b32_e32 v31, 3, v43
	v_cmpx_gt_u32_e32 8, v43
; %bb.934:                              ;   in Loop: Header=BB369_10 Depth=1
	v_ffbh_u32_e32 v30, v125
	v_min_u32_e32 v43, 32, v30
	v_subrev_nc_u32_e32 v30, 28, v43
	v_lshlrev_b64 v[30:31], v30, v[125:126]
	v_sub_nc_u32_e32 v31, 29, v43
	v_and_b32_e32 v30, 7, v30
; %bb.935:                              ;   in Loop: Header=BB369_10 Depth=1
	s_or_b32 exec_lo, exec_lo, s26
	v_mov_b32_e32 v20, 24
	v_lshlrev_b32_e32 v30, 20, v30
	v_lshl_add_u32 v31, v31, 23, 0x3c000000
	v_lshlrev_b32_sdwa v20, v20, v42 dst_sel:DWORD dst_unused:UNUSED_PAD src0_sel:DWORD src1_sel:BYTE_3
	v_and_b32_e32 v20, 0x80000000, v20
	v_or3_b32 v46, v30, v20, v31
.LBB369_936:                            ;   in Loop: Header=BB369_10 Depth=1
	s_or_b32 exec_lo, exec_lo, s25
.LBB369_937:                            ;   in Loop: Header=BB369_10 Depth=1
	s_or_b32 exec_lo, exec_lo, s24
.LBB369_938:                            ;   in Loop: Header=BB369_10 Depth=1
	s_or_b32 exec_lo, exec_lo, s17
	buffer_load_dword v20, off, s[0:3], s32 offset:200 ; 4-byte Folded Reload
	v_mov_b32_e32 v43, 0
	v_mov_b32_e32 v44, 0
	s_waitcnt vmcnt(0)
	v_add_co_u32 v30, s7, v40, v20
	v_add_co_ci_u32_e64 v31, null, 0, v41, s7
	flat_load_dword v40, v[30:31]
	s_waitcnt vmcnt(0) lgkmcnt(0)
	v_cmp_ne_u16_sdwa s7, v40, v126 src0_sel:BYTE_0 src1_sel:DWORD
	s_and_saveexec_b32 s17, s7
	s_cbranch_execz .LBB369_946
; %bb.939:                              ;   in Loop: Header=BB369_10 Depth=1
	v_mov_b32_e32 v20, 0x80
	v_bfrev_b32_e32 v44, 1
	v_cmp_ne_u16_sdwa s7, v40, v20 src0_sel:BYTE_0 src1_sel:DWORD
	s_and_saveexec_b32 s24, s7
	s_cbranch_execz .LBB369_945
; %bb.940:                              ;   in Loop: Header=BB369_10 Depth=1
	v_and_b32_e32 v41, 0x7f, v40
	v_mov_b32_e32 v44, 0x7f800001
	s_mov_b32 s25, exec_lo
	v_cmpx_ne_u32_e32 0x7f, v41
	s_cbranch_execz .LBB369_944
; %bb.941:                              ;   in Loop: Header=BB369_10 Depth=1
	v_and_b32_e32 v125, 7, v40
	s_mov_b32 s26, exec_lo
	v_mov_b32_e32 v30, v125
	v_mov_b32_e32 v31, v126
	v_lshrrev_b32_e32 v31, 3, v41
	v_cmpx_gt_u32_e32 8, v41
; %bb.942:                              ;   in Loop: Header=BB369_10 Depth=1
	v_ffbh_u32_e32 v30, v125
	v_min_u32_e32 v41, 32, v30
	v_subrev_nc_u32_e32 v30, 28, v41
	v_lshlrev_b64 v[30:31], v30, v[125:126]
	v_sub_nc_u32_e32 v31, 29, v41
	v_and_b32_e32 v30, 7, v30
; %bb.943:                              ;   in Loop: Header=BB369_10 Depth=1
	s_or_b32 exec_lo, exec_lo, s26
	v_lshlrev_b32_e32 v20, 24, v40
	v_lshlrev_b32_e32 v30, 20, v30
	v_lshl_add_u32 v31, v31, 23, 0x3c000000
	v_and_b32_e32 v20, 0x80000000, v20
	v_or3_b32 v44, v30, v20, v31
.LBB369_944:                            ;   in Loop: Header=BB369_10 Depth=1
	s_or_b32 exec_lo, exec_lo, s25
.LBB369_945:                            ;   in Loop: Header=BB369_10 Depth=1
	s_or_b32 exec_lo, exec_lo, s24
.LBB369_946:                            ;   in Loop: Header=BB369_10 Depth=1
	s_or_b32 exec_lo, exec_lo, s17
	v_cmp_ne_u16_sdwa s7, v40, v126 src0_sel:BYTE_1 src1_sel:DWORD
	s_and_saveexec_b32 s17, s7
	s_cbranch_execz .LBB369_954
; %bb.947:                              ;   in Loop: Header=BB369_10 Depth=1
	v_mov_b32_e32 v20, 0x80
	v_bfrev_b32_e32 v43, 1
	v_cmp_ne_u16_sdwa s7, v40, v20 src0_sel:BYTE_1 src1_sel:DWORD
	s_and_saveexec_b32 s24, s7
	s_cbranch_execz .LBB369_953
; %bb.948:                              ;   in Loop: Header=BB369_10 Depth=1
	v_mov_b32_e32 v20, 0xffff
	v_mov_b32_e32 v43, 0x7f800001
	s_mov_b32 s25, exec_lo
	v_and_b32_sdwa v20, v20, v40 dst_sel:DWORD dst_unused:UNUSED_PAD src0_sel:DWORD src1_sel:BYTE_1
	v_and_b32_e32 v41, 0x7f, v20
	v_cmpx_ne_u32_e32 0x7f, v41
	s_cbranch_execz .LBB369_952
; %bb.949:                              ;   in Loop: Header=BB369_10 Depth=1
	v_and_b32_e32 v125, 7, v20
	s_mov_b32 s26, exec_lo
	v_mov_b32_e32 v30, v125
	v_mov_b32_e32 v31, v126
	v_lshrrev_b32_e32 v31, 3, v41
	v_cmpx_gt_u32_e32 8, v41
; %bb.950:                              ;   in Loop: Header=BB369_10 Depth=1
	v_ffbh_u32_e32 v30, v125
	v_min_u32_e32 v41, 32, v30
	v_subrev_nc_u32_e32 v30, 28, v41
	v_lshlrev_b64 v[30:31], v30, v[125:126]
	v_sub_nc_u32_e32 v31, 29, v41
	v_and_b32_e32 v30, 7, v30
; %bb.951:                              ;   in Loop: Header=BB369_10 Depth=1
	s_or_b32 exec_lo, exec_lo, s26
	v_lshlrev_b32_e32 v20, 16, v40
	v_lshlrev_b32_e32 v30, 20, v30
	v_lshl_add_u32 v31, v31, 23, 0x3c000000
	v_and_b32_e32 v20, 0x80000000, v20
	v_or3_b32 v43, v30, v20, v31
.LBB369_952:                            ;   in Loop: Header=BB369_10 Depth=1
	s_or_b32 exec_lo, exec_lo, s25
.LBB369_953:                            ;   in Loop: Header=BB369_10 Depth=1
	s_or_b32 exec_lo, exec_lo, s24
.LBB369_954:                            ;   in Loop: Header=BB369_10 Depth=1
	s_or_b32 exec_lo, exec_lo, s17
	v_mov_b32_e32 v20, 0xff
	v_mov_b32_e32 v42, 0
	;; [unrolled: 1-line block ×3, first 2 shown]
	s_mov_b32 s17, exec_lo
	v_and_b32_sdwa v20, v40, v20 dst_sel:DWORD dst_unused:UNUSED_PAD src0_sel:WORD_1 src1_sel:DWORD
	v_cmpx_ne_u16_e32 0, v20
	s_cbranch_execz .LBB369_962
; %bb.955:                              ;   in Loop: Header=BB369_10 Depth=1
	v_bfrev_b32_e32 v41, 1
	s_mov_b32 s24, exec_lo
	v_cmpx_ne_u16_e32 0x80, v20
	s_cbranch_execz .LBB369_961
; %bb.956:                              ;   in Loop: Header=BB369_10 Depth=1
	v_bfe_u32 v47, v40, 16, 7
	v_mov_b32_e32 v41, 0x7f800001
	s_mov_b32 s25, exec_lo
	v_cmpx_ne_u32_e32 0x7f, v47
	s_cbranch_execz .LBB369_960
; %bb.957:                              ;   in Loop: Header=BB369_10 Depth=1
	v_mov_b32_e32 v20, 7
	s_mov_b32 s26, exec_lo
	v_and_b32_sdwa v125, v40, v20 dst_sel:DWORD dst_unused:UNUSED_PAD src0_sel:WORD_1 src1_sel:DWORD
	v_mov_b32_e32 v30, v125
	v_mov_b32_e32 v31, v126
	v_lshrrev_b32_e32 v31, 3, v47
	v_cmpx_gt_u32_e32 8, v47
; %bb.958:                              ;   in Loop: Header=BB369_10 Depth=1
	v_ffbh_u32_e32 v30, v125
	v_min_u32_e32 v41, 32, v30
	v_subrev_nc_u32_e32 v30, 28, v41
	v_lshlrev_b64 v[30:31], v30, v[125:126]
	v_sub_nc_u32_e32 v31, 29, v41
	v_and_b32_e32 v30, 7, v30
; %bb.959:                              ;   in Loop: Header=BB369_10 Depth=1
	s_or_b32 exec_lo, exec_lo, s26
	v_mov_b32_e32 v20, 24
	v_lshlrev_b32_e32 v30, 20, v30
	v_lshl_add_u32 v31, v31, 23, 0x3c000000
	v_lshlrev_b32_sdwa v20, v20, v40 dst_sel:DWORD dst_unused:UNUSED_PAD src0_sel:DWORD src1_sel:WORD_1
	v_and_b32_e32 v20, 0x80000000, v20
	v_or3_b32 v41, v30, v20, v31
.LBB369_960:                            ;   in Loop: Header=BB369_10 Depth=1
	s_or_b32 exec_lo, exec_lo, s25
.LBB369_961:                            ;   in Loop: Header=BB369_10 Depth=1
	s_or_b32 exec_lo, exec_lo, s24
.LBB369_962:                            ;   in Loop: Header=BB369_10 Depth=1
	s_or_b32 exec_lo, exec_lo, s17
	s_mov_b32 s17, exec_lo
	v_cmpx_lt_u32_e32 0xffffff, v40
	s_cbranch_execz .LBB369_970
; %bb.963:                              ;   in Loop: Header=BB369_10 Depth=1
	v_mov_b32_e32 v20, 0x80
	v_bfrev_b32_e32 v42, 1
	v_cmp_ne_u32_sdwa s7, v40, v20 src0_sel:BYTE_3 src1_sel:DWORD
	s_and_saveexec_b32 s24, s7
	s_cbranch_execz .LBB369_969
; %bb.964:                              ;   in Loop: Header=BB369_10 Depth=1
	v_bfe_u32 v47, v40, 24, 7
	v_mov_b32_e32 v42, 0x7f800001
	s_mov_b32 s25, exec_lo
	v_cmpx_ne_u32_e32 0x7f, v47
	s_cbranch_execz .LBB369_968
; %bb.965:                              ;   in Loop: Header=BB369_10 Depth=1
	v_mov_b32_e32 v20, 7
	s_mov_b32 s26, exec_lo
	v_and_b32_sdwa v125, v40, v20 dst_sel:DWORD dst_unused:UNUSED_PAD src0_sel:BYTE_3 src1_sel:DWORD
	v_mov_b32_e32 v30, v125
	v_mov_b32_e32 v31, v126
	v_lshrrev_b32_e32 v31, 3, v47
	v_cmpx_gt_u32_e32 8, v47
; %bb.966:                              ;   in Loop: Header=BB369_10 Depth=1
	v_ffbh_u32_e32 v30, v125
	v_min_u32_e32 v42, 32, v30
	v_subrev_nc_u32_e32 v30, 28, v42
	v_lshlrev_b64 v[30:31], v30, v[125:126]
	v_sub_nc_u32_e32 v31, 29, v42
	v_and_b32_e32 v30, 7, v30
; %bb.967:                              ;   in Loop: Header=BB369_10 Depth=1
	s_or_b32 exec_lo, exec_lo, s26
	v_mov_b32_e32 v20, 24
	v_lshlrev_b32_e32 v30, 20, v30
	v_lshl_add_u32 v31, v31, 23, 0x3c000000
	v_lshlrev_b32_sdwa v20, v20, v40 dst_sel:DWORD dst_unused:UNUSED_PAD src0_sel:DWORD src1_sel:BYTE_3
	v_and_b32_e32 v20, 0x80000000, v20
	v_or3_b32 v42, v30, v20, v31
.LBB369_968:                            ;   in Loop: Header=BB369_10 Depth=1
	s_or_b32 exec_lo, exec_lo, s25
.LBB369_969:                            ;   in Loop: Header=BB369_10 Depth=1
	s_or_b32 exec_lo, exec_lo, s24
.LBB369_970:                            ;   in Loop: Header=BB369_10 Depth=1
	s_or_b32 exec_lo, exec_lo, s17
	buffer_load_dword v20, off, s[0:3], s32 offset:192 ; 4-byte Folded Reload
	v_add_co_u32 v47, s7, 0xf00, v28
	v_add_co_ci_u32_e64 v56, null, 0, v29, s7
	v_mov_b32_e32 v31, 0
	v_mov_b32_e32 v40, 0
	s_waitcnt vmcnt(0)
	v_add_co_u32 v28, s7, v47, v20
	v_add_co_ci_u32_e64 v29, null, 0, v56, s7
	flat_load_dword v58, v[28:29]
	s_waitcnt vmcnt(0) lgkmcnt(0)
	v_cmp_ne_u16_sdwa s7, v58, v126 src0_sel:BYTE_0 src1_sel:DWORD
	s_and_saveexec_b32 s17, s7
	s_cbranch_execz .LBB369_978
; %bb.971:                              ;   in Loop: Header=BB369_10 Depth=1
	v_mov_b32_e32 v20, 0x80
	v_bfrev_b32_e32 v40, 1
	v_cmp_ne_u16_sdwa s7, v58, v20 src0_sel:BYTE_0 src1_sel:DWORD
	s_and_saveexec_b32 s24, s7
	s_cbranch_execz .LBB369_977
; %bb.972:                              ;   in Loop: Header=BB369_10 Depth=1
	v_and_b32_e32 v30, 0x7f, v58
	v_mov_b32_e32 v40, 0x7f800001
	s_mov_b32 s25, exec_lo
	v_cmpx_ne_u32_e32 0x7f, v30
	s_cbranch_execz .LBB369_976
; %bb.973:                              ;   in Loop: Header=BB369_10 Depth=1
	v_and_b32_e32 v125, 7, v58
	s_mov_b32 s26, exec_lo
	v_mov_b32_e32 v28, v125
	v_mov_b32_e32 v29, v126
	v_lshrrev_b32_e32 v29, 3, v30
	v_cmpx_gt_u32_e32 8, v30
; %bb.974:                              ;   in Loop: Header=BB369_10 Depth=1
	v_ffbh_u32_e32 v28, v125
	v_min_u32_e32 v30, 32, v28
	v_subrev_nc_u32_e32 v28, 28, v30
	v_lshlrev_b64 v[28:29], v28, v[125:126]
	v_sub_nc_u32_e32 v29, 29, v30
	v_and_b32_e32 v28, 7, v28
; %bb.975:                              ;   in Loop: Header=BB369_10 Depth=1
	s_or_b32 exec_lo, exec_lo, s26
	v_lshlrev_b32_e32 v20, 24, v58
	v_lshlrev_b32_e32 v28, 20, v28
	v_lshl_add_u32 v29, v29, 23, 0x3c000000
	v_and_b32_e32 v20, 0x80000000, v20
	v_or3_b32 v40, v28, v20, v29
.LBB369_976:                            ;   in Loop: Header=BB369_10 Depth=1
	s_or_b32 exec_lo, exec_lo, s25
.LBB369_977:                            ;   in Loop: Header=BB369_10 Depth=1
	s_or_b32 exec_lo, exec_lo, s24
.LBB369_978:                            ;   in Loop: Header=BB369_10 Depth=1
	s_or_b32 exec_lo, exec_lo, s17
	v_cmp_ne_u16_sdwa s7, v58, v126 src0_sel:BYTE_1 src1_sel:DWORD
	s_and_saveexec_b32 s17, s7
	s_cbranch_execz .LBB369_986
; %bb.979:                              ;   in Loop: Header=BB369_10 Depth=1
	v_mov_b32_e32 v20, 0x80
	v_bfrev_b32_e32 v31, 1
	v_cmp_ne_u16_sdwa s7, v58, v20 src0_sel:BYTE_1 src1_sel:DWORD
	s_and_saveexec_b32 s24, s7
	s_cbranch_execz .LBB369_985
; %bb.980:                              ;   in Loop: Header=BB369_10 Depth=1
	v_mov_b32_e32 v20, 0xffff
	v_mov_b32_e32 v31, 0x7f800001
	s_mov_b32 s25, exec_lo
	v_and_b32_sdwa v20, v20, v58 dst_sel:DWORD dst_unused:UNUSED_PAD src0_sel:DWORD src1_sel:BYTE_1
	v_and_b32_e32 v30, 0x7f, v20
	v_cmpx_ne_u32_e32 0x7f, v30
	s_cbranch_execz .LBB369_984
; %bb.981:                              ;   in Loop: Header=BB369_10 Depth=1
	v_and_b32_e32 v125, 7, v20
	s_mov_b32 s26, exec_lo
	v_mov_b32_e32 v28, v125
	v_mov_b32_e32 v29, v126
	v_lshrrev_b32_e32 v29, 3, v30
	v_cmpx_gt_u32_e32 8, v30
; %bb.982:                              ;   in Loop: Header=BB369_10 Depth=1
	v_ffbh_u32_e32 v28, v125
	v_min_u32_e32 v30, 32, v28
	v_subrev_nc_u32_e32 v28, 28, v30
	v_lshlrev_b64 v[28:29], v28, v[125:126]
	v_sub_nc_u32_e32 v29, 29, v30
	v_and_b32_e32 v28, 7, v28
; %bb.983:                              ;   in Loop: Header=BB369_10 Depth=1
	s_or_b32 exec_lo, exec_lo, s26
	v_lshlrev_b32_e32 v20, 16, v58
	v_lshlrev_b32_e32 v28, 20, v28
	v_lshl_add_u32 v29, v29, 23, 0x3c000000
	v_and_b32_e32 v20, 0x80000000, v20
	v_or3_b32 v31, v28, v20, v29
.LBB369_984:                            ;   in Loop: Header=BB369_10 Depth=1
	s_or_b32 exec_lo, exec_lo, s25
.LBB369_985:                            ;   in Loop: Header=BB369_10 Depth=1
	s_or_b32 exec_lo, exec_lo, s24
.LBB369_986:                            ;   in Loop: Header=BB369_10 Depth=1
	s_or_b32 exec_lo, exec_lo, s17
	v_mov_b32_e32 v20, 0xff
	v_mov_b32_e32 v30, 0
	;; [unrolled: 1-line block ×3, first 2 shown]
	s_mov_b32 s17, exec_lo
	v_and_b32_sdwa v20, v58, v20 dst_sel:DWORD dst_unused:UNUSED_PAD src0_sel:WORD_1 src1_sel:DWORD
	v_cmpx_ne_u16_e32 0, v20
	s_cbranch_execz .LBB369_994
; %bb.987:                              ;   in Loop: Header=BB369_10 Depth=1
	v_bfrev_b32_e32 v57, 1
	s_mov_b32 s24, exec_lo
	v_cmpx_ne_u16_e32 0x80, v20
	s_cbranch_execz .LBB369_993
; %bb.988:                              ;   in Loop: Header=BB369_10 Depth=1
	v_bfe_u32 v59, v58, 16, 7
	v_mov_b32_e32 v57, 0x7f800001
	s_mov_b32 s25, exec_lo
	v_cmpx_ne_u32_e32 0x7f, v59
	s_cbranch_execz .LBB369_992
; %bb.989:                              ;   in Loop: Header=BB369_10 Depth=1
	v_mov_b32_e32 v20, 7
	s_mov_b32 s26, exec_lo
	v_and_b32_sdwa v125, v58, v20 dst_sel:DWORD dst_unused:UNUSED_PAD src0_sel:WORD_1 src1_sel:DWORD
	v_mov_b32_e32 v28, v125
	v_mov_b32_e32 v29, v126
	v_lshrrev_b32_e32 v29, 3, v59
	v_cmpx_gt_u32_e32 8, v59
; %bb.990:                              ;   in Loop: Header=BB369_10 Depth=1
	v_ffbh_u32_e32 v28, v125
	v_min_u32_e32 v57, 32, v28
	v_subrev_nc_u32_e32 v28, 28, v57
	v_lshlrev_b64 v[28:29], v28, v[125:126]
	v_sub_nc_u32_e32 v29, 29, v57
	v_and_b32_e32 v28, 7, v28
; %bb.991:                              ;   in Loop: Header=BB369_10 Depth=1
	s_or_b32 exec_lo, exec_lo, s26
	v_mov_b32_e32 v20, 24
	v_lshlrev_b32_e32 v28, 20, v28
	v_lshl_add_u32 v29, v29, 23, 0x3c000000
	v_lshlrev_b32_sdwa v20, v20, v58 dst_sel:DWORD dst_unused:UNUSED_PAD src0_sel:DWORD src1_sel:WORD_1
	v_and_b32_e32 v20, 0x80000000, v20
	v_or3_b32 v57, v28, v20, v29
.LBB369_992:                            ;   in Loop: Header=BB369_10 Depth=1
	s_or_b32 exec_lo, exec_lo, s25
.LBB369_993:                            ;   in Loop: Header=BB369_10 Depth=1
	s_or_b32 exec_lo, exec_lo, s24
.LBB369_994:                            ;   in Loop: Header=BB369_10 Depth=1
	s_or_b32 exec_lo, exec_lo, s17
	s_mov_b32 s17, exec_lo
	v_cmpx_lt_u32_e32 0xffffff, v58
	s_cbranch_execz .LBB369_1002
; %bb.995:                              ;   in Loop: Header=BB369_10 Depth=1
	v_mov_b32_e32 v20, 0x80
	v_bfrev_b32_e32 v30, 1
	v_cmp_ne_u32_sdwa s7, v58, v20 src0_sel:BYTE_3 src1_sel:DWORD
	s_and_saveexec_b32 s24, s7
	s_cbranch_execz .LBB369_1001
; %bb.996:                              ;   in Loop: Header=BB369_10 Depth=1
	v_bfe_u32 v59, v58, 24, 7
	v_mov_b32_e32 v30, 0x7f800001
	s_mov_b32 s25, exec_lo
	v_cmpx_ne_u32_e32 0x7f, v59
	s_cbranch_execz .LBB369_1000
; %bb.997:                              ;   in Loop: Header=BB369_10 Depth=1
	v_mov_b32_e32 v20, 7
	s_mov_b32 s26, exec_lo
	v_and_b32_sdwa v125, v58, v20 dst_sel:DWORD dst_unused:UNUSED_PAD src0_sel:BYTE_3 src1_sel:DWORD
	v_mov_b32_e32 v28, v125
	v_mov_b32_e32 v29, v126
	v_lshrrev_b32_e32 v29, 3, v59
	v_cmpx_gt_u32_e32 8, v59
; %bb.998:                              ;   in Loop: Header=BB369_10 Depth=1
	v_ffbh_u32_e32 v28, v125
	v_min_u32_e32 v30, 32, v28
	v_subrev_nc_u32_e32 v28, 28, v30
	v_lshlrev_b64 v[28:29], v28, v[125:126]
	v_sub_nc_u32_e32 v29, 29, v30
	v_and_b32_e32 v28, 7, v28
; %bb.999:                              ;   in Loop: Header=BB369_10 Depth=1
	s_or_b32 exec_lo, exec_lo, s26
	v_mov_b32_e32 v20, 24
	v_lshlrev_b32_e32 v28, 20, v28
	v_lshl_add_u32 v29, v29, 23, 0x3c000000
	v_lshlrev_b32_sdwa v20, v20, v58 dst_sel:DWORD dst_unused:UNUSED_PAD src0_sel:DWORD src1_sel:BYTE_3
	v_and_b32_e32 v20, 0x80000000, v20
	v_or3_b32 v30, v28, v20, v29
.LBB369_1000:                           ;   in Loop: Header=BB369_10 Depth=1
	s_or_b32 exec_lo, exec_lo, s25
.LBB369_1001:                           ;   in Loop: Header=BB369_10 Depth=1
	s_or_b32 exec_lo, exec_lo, s24
.LBB369_1002:                           ;   in Loop: Header=BB369_10 Depth=1
	s_or_b32 exec_lo, exec_lo, s17
	buffer_load_dword v20, off, s[0:3], s32 offset:200 ; 4-byte Folded Reload
	v_mov_b32_e32 v60, 0
	v_mov_b32_e32 v59, 0
	s_waitcnt vmcnt(0)
	v_add_co_u32 v28, s7, v47, v20
	v_add_co_ci_u32_e64 v29, null, 0, v56, s7
	flat_load_dword v58, v[28:29]
	s_waitcnt vmcnt(0) lgkmcnt(0)
	v_cmp_ne_u16_sdwa s7, v58, v126 src0_sel:BYTE_0 src1_sel:DWORD
	s_and_saveexec_b32 s17, s7
	s_cbranch_execz .LBB369_1010
; %bb.1003:                             ;   in Loop: Header=BB369_10 Depth=1
	v_mov_b32_e32 v20, 0x80
	v_bfrev_b32_e32 v59, 1
	v_cmp_ne_u16_sdwa s7, v58, v20 src0_sel:BYTE_0 src1_sel:DWORD
	s_and_saveexec_b32 s24, s7
	s_cbranch_execz .LBB369_1009
; %bb.1004:                             ;   in Loop: Header=BB369_10 Depth=1
	v_and_b32_e32 v47, 0x7f, v58
	v_mov_b32_e32 v59, 0x7f800001
	s_mov_b32 s25, exec_lo
	v_cmpx_ne_u32_e32 0x7f, v47
	s_cbranch_execz .LBB369_1008
; %bb.1005:                             ;   in Loop: Header=BB369_10 Depth=1
	v_and_b32_e32 v125, 7, v58
	s_mov_b32 s26, exec_lo
	v_mov_b32_e32 v28, v125
	v_mov_b32_e32 v29, v126
	v_lshrrev_b32_e32 v29, 3, v47
	v_cmpx_gt_u32_e32 8, v47
; %bb.1006:                             ;   in Loop: Header=BB369_10 Depth=1
	v_ffbh_u32_e32 v28, v125
	v_min_u32_e32 v47, 32, v28
	v_subrev_nc_u32_e32 v28, 28, v47
	v_lshlrev_b64 v[28:29], v28, v[125:126]
	v_sub_nc_u32_e32 v29, 29, v47
	v_and_b32_e32 v28, 7, v28
; %bb.1007:                             ;   in Loop: Header=BB369_10 Depth=1
	s_or_b32 exec_lo, exec_lo, s26
	v_lshlrev_b32_e32 v20, 24, v58
	v_lshlrev_b32_e32 v28, 20, v28
	v_lshl_add_u32 v29, v29, 23, 0x3c000000
	v_and_b32_e32 v20, 0x80000000, v20
	v_or3_b32 v59, v28, v20, v29
.LBB369_1008:                           ;   in Loop: Header=BB369_10 Depth=1
	s_or_b32 exec_lo, exec_lo, s25
.LBB369_1009:                           ;   in Loop: Header=BB369_10 Depth=1
	s_or_b32 exec_lo, exec_lo, s24
.LBB369_1010:                           ;   in Loop: Header=BB369_10 Depth=1
	s_or_b32 exec_lo, exec_lo, s17
	v_cmp_ne_u16_sdwa s7, v58, v126 src0_sel:BYTE_1 src1_sel:DWORD
	s_and_saveexec_b32 s17, s7
	s_cbranch_execz .LBB369_1018
; %bb.1011:                             ;   in Loop: Header=BB369_10 Depth=1
	v_mov_b32_e32 v20, 0x80
	v_bfrev_b32_e32 v60, 1
	v_cmp_ne_u16_sdwa s7, v58, v20 src0_sel:BYTE_1 src1_sel:DWORD
	s_and_saveexec_b32 s24, s7
	s_cbranch_execz .LBB369_1017
; %bb.1012:                             ;   in Loop: Header=BB369_10 Depth=1
	v_mov_b32_e32 v20, 0xffff
	v_mov_b32_e32 v60, 0x7f800001
	s_mov_b32 s25, exec_lo
	v_and_b32_sdwa v20, v20, v58 dst_sel:DWORD dst_unused:UNUSED_PAD src0_sel:DWORD src1_sel:BYTE_1
	v_and_b32_e32 v47, 0x7f, v20
	v_cmpx_ne_u32_e32 0x7f, v47
	s_cbranch_execz .LBB369_1016
; %bb.1013:                             ;   in Loop: Header=BB369_10 Depth=1
	v_and_b32_e32 v125, 7, v20
	s_mov_b32 s26, exec_lo
	v_mov_b32_e32 v28, v125
	v_mov_b32_e32 v29, v126
	v_lshrrev_b32_e32 v29, 3, v47
	v_cmpx_gt_u32_e32 8, v47
; %bb.1014:                             ;   in Loop: Header=BB369_10 Depth=1
	v_ffbh_u32_e32 v28, v125
	v_min_u32_e32 v47, 32, v28
	v_subrev_nc_u32_e32 v28, 28, v47
	v_lshlrev_b64 v[28:29], v28, v[125:126]
	v_sub_nc_u32_e32 v29, 29, v47
	v_and_b32_e32 v28, 7, v28
; %bb.1015:                             ;   in Loop: Header=BB369_10 Depth=1
	s_or_b32 exec_lo, exec_lo, s26
	v_lshlrev_b32_e32 v20, 16, v58
	v_lshlrev_b32_e32 v28, 20, v28
	v_lshl_add_u32 v29, v29, 23, 0x3c000000
	v_and_b32_e32 v20, 0x80000000, v20
	v_or3_b32 v60, v28, v20, v29
.LBB369_1016:                           ;   in Loop: Header=BB369_10 Depth=1
	s_or_b32 exec_lo, exec_lo, s25
.LBB369_1017:                           ;   in Loop: Header=BB369_10 Depth=1
	s_or_b32 exec_lo, exec_lo, s24
.LBB369_1018:                           ;   in Loop: Header=BB369_10 Depth=1
	s_or_b32 exec_lo, exec_lo, s17
	v_mov_b32_e32 v20, 0xff
	v_mov_b32_e32 v125, 0
	;; [unrolled: 1-line block ×3, first 2 shown]
	s_mov_b32 s17, exec_lo
	v_and_b32_sdwa v20, v58, v20 dst_sel:DWORD dst_unused:UNUSED_PAD src0_sel:WORD_1 src1_sel:DWORD
	v_cmpx_ne_u16_e32 0, v20
	s_cbranch_execz .LBB369_1026
; %bb.1019:                             ;   in Loop: Header=BB369_10 Depth=1
	v_bfrev_b32_e32 v28, 1
	s_mov_b32 s24, exec_lo
	v_cmpx_ne_u16_e32 0x80, v20
	s_cbranch_execz .LBB369_1025
; %bb.1020:                             ;   in Loop: Header=BB369_10 Depth=1
	v_mov_b32_e32 v47, v61
	v_bfe_u32 v61, v58, 16, 7
	v_mov_b32_e32 v28, 0x7f800001
	s_mov_b32 s25, exec_lo
	v_cmpx_ne_u32_e32 0x7f, v61
	s_cbranch_execz .LBB369_1024
; %bb.1021:                             ;   in Loop: Header=BB369_10 Depth=1
	v_mov_b32_e32 v20, 7
	s_mov_b32 s26, exec_lo
	v_and_b32_sdwa v125, v58, v20 dst_sel:DWORD dst_unused:UNUSED_PAD src0_sel:WORD_1 src1_sel:DWORD
	v_mov_b32_e32 v28, v125
	v_mov_b32_e32 v29, v126
	v_lshrrev_b32_e32 v29, 3, v61
	v_cmpx_gt_u32_e32 8, v61
; %bb.1022:                             ;   in Loop: Header=BB369_10 Depth=1
	v_ffbh_u32_e32 v28, v125
	v_min_u32_e32 v56, 32, v28
	v_subrev_nc_u32_e32 v28, 28, v56
	v_lshlrev_b64 v[28:29], v28, v[125:126]
	v_sub_nc_u32_e32 v29, 29, v56
	v_and_b32_e32 v28, 7, v28
; %bb.1023:                             ;   in Loop: Header=BB369_10 Depth=1
	s_or_b32 exec_lo, exec_lo, s26
	v_mov_b32_e32 v20, 24
	v_lshlrev_b32_e32 v28, 20, v28
	v_lshl_add_u32 v29, v29, 23, 0x3c000000
	v_mov_b32_e32 v125, 0
	v_lshlrev_b32_sdwa v20, v20, v58 dst_sel:DWORD dst_unused:UNUSED_PAD src0_sel:DWORD src1_sel:WORD_1
	v_and_b32_e32 v20, 0x80000000, v20
	v_or3_b32 v28, v28, v20, v29
.LBB369_1024:                           ;   in Loop: Header=BB369_10 Depth=1
	s_or_b32 exec_lo, exec_lo, s25
	v_mov_b32_e32 v61, v47
.LBB369_1025:                           ;   in Loop: Header=BB369_10 Depth=1
	s_or_b32 exec_lo, exec_lo, s24
.LBB369_1026:                           ;   in Loop: Header=BB369_10 Depth=1
	s_or_b32 exec_lo, exec_lo, s17
	v_mov_b32_e32 v56, v103
	buffer_store_dword v101, off, s[0:3], s32 offset:284 ; 4-byte Folded Spill
	v_mov_b32_e32 v101, v100
	s_mov_b32 s17, exec_lo
	buffer_store_dword v28, off, s[0:3], s32 offset:300 ; 4-byte Folded Spill
	buffer_store_dword v87, off, s[0:3], s32 offset:280 ; 4-byte Folded Spill
	;; [unrolled: 1-line block ×7, first 2 shown]
	v_cmpx_lt_u32_e32 0xffffff, v58
	s_cbranch_execz .LBB369_1034
; %bb.1027:                             ;   in Loop: Header=BB369_10 Depth=1
	v_mov_b32_e32 v20, 0x80
	v_bfrev_b32_e32 v125, 1
	v_cmp_ne_u32_sdwa s7, v58, v20 src0_sel:BYTE_3 src1_sel:DWORD
	s_and_saveexec_b32 s24, s7
	s_cbranch_execz .LBB369_1033
; %bb.1028:                             ;   in Loop: Header=BB369_10 Depth=1
	v_bfe_u32 v61, v58, 24, 7
	v_mov_b32_e32 v125, 0x7f800001
	s_mov_b32 s25, exec_lo
	v_cmpx_ne_u32_e32 0x7f, v61
	s_cbranch_execz .LBB369_1032
; %bb.1029:                             ;   in Loop: Header=BB369_10 Depth=1
	v_mov_b32_e32 v20, 7
	s_mov_b32 s26, exec_lo
	v_and_b32_sdwa v125, v58, v20 dst_sel:DWORD dst_unused:UNUSED_PAD src0_sel:BYTE_3 src1_sel:DWORD
	v_mov_b32_e32 v28, v125
	v_mov_b32_e32 v29, v126
	v_lshrrev_b32_e32 v29, 3, v61
	v_cmpx_gt_u32_e32 8, v61
; %bb.1030:                             ;   in Loop: Header=BB369_10 Depth=1
	v_ffbh_u32_e32 v28, v125
	v_min_u32_e32 v47, 32, v28
	v_subrev_nc_u32_e32 v28, 28, v47
	v_lshlrev_b64 v[28:29], v28, v[125:126]
	v_sub_nc_u32_e32 v29, 29, v47
	v_and_b32_e32 v28, 7, v28
; %bb.1031:                             ;   in Loop: Header=BB369_10 Depth=1
	s_or_b32 exec_lo, exec_lo, s26
	v_mov_b32_e32 v20, 24
	v_lshlrev_b32_e32 v28, 20, v28
	v_lshl_add_u32 v29, v29, 23, 0x3c000000
	v_lshlrev_b32_sdwa v20, v20, v58 dst_sel:DWORD dst_unused:UNUSED_PAD src0_sel:DWORD src1_sel:BYTE_3
	v_and_b32_e32 v20, 0x80000000, v20
	v_or3_b32 v125, v28, v20, v29
.LBB369_1032:                           ;   in Loop: Header=BB369_10 Depth=1
	s_or_b32 exec_lo, exec_lo, s25
.LBB369_1033:                           ;   in Loop: Header=BB369_10 Depth=1
	s_or_b32 exec_lo, exec_lo, s24
.LBB369_1034:                           ;   in Loop: Header=BB369_10 Depth=1
	s_or_b32 exec_lo, exec_lo, s17
	v_mul_f32_e32 v20, v113, v60
	v_mul_f32_e32 v30, v113, v30
	;; [unrolled: 1-line block ×5, first 2 shown]
	v_bfe_u32 v28, v20, 16, 1
	v_or_b32_e32 v29, 0x400000, v20
	v_cmp_u_f32_e64 s7, v20, v20
	v_mul_f32_e32 v42, v113, v42
	v_mul_f32_e32 v43, v113, v43
	v_add3_u32 v28, v28, v20, 0x7fff
	v_mul_f32_e32 v44, v113, v44
	v_mul_f32_e32 v45, v113, v45
	;; [unrolled: 1-line block ×4, first 2 shown]
	v_cndmask_b32_e64 v20, v28, v29, s7
	v_mul_f32_e32 v28, v113, v59
	v_mul_f32_e32 v16, v113, v16
	;; [unrolled: 1-line block ×4, first 2 shown]
	buffer_store_dword v20, off, s[0:3], s32 offset:288 ; 4-byte Folded Spill
	v_bfe_u32 v29, v28, 16, 1
	v_or_b32_e32 v58, 0x400000, v28
	v_cmp_u_f32_e64 s7, v28, v28
	v_mul_f32_e32 v117, v113, v117
	v_mul_f32_e32 v116, v113, v116
	v_add3_u32 v29, v29, v28, 0x7fff
	v_mul_f32_e32 v115, v113, v115
	v_mul_f32_e32 v114, v113, v114
	;; [unrolled: 1-line block ×4, first 2 shown]
	v_cndmask_b32_e64 v20, v29, v58, s7
	v_mul_f32_e32 v29, v113, v57
	v_mul_f32_e32 v85, v113, v85
	;; [unrolled: 1-line block ×4, first 2 shown]
	buffer_store_dword v20, off, s[0:3], s32 offset:292 ; 4-byte Folded Spill
	v_bfe_u32 v57, v29, 16, 1
	v_or_b32_e32 v58, 0x400000, v29
	v_cmp_u_f32_e64 s7, v29, v29
	v_mul_f32_e32 v86, v113, v86
	v_mul_f32_e32 v84, v113, v84
	v_add3_u32 v57, v57, v29, 0x7fff
	v_mul_f32_e32 v83, v113, v83
	v_mul_f32_e32 v82, v113, v82
	;; [unrolled: 1-line block ×4, first 2 shown]
	v_cndmask_b32_e64 v20, v57, v58, s7
	v_bfe_u32 v57, v30, 16, 1
	v_or_b32_e32 v58, 0x400000, v30
	v_cmp_u_f32_e64 s7, v30, v30
	v_mul_f32_e32 v71, v113, v71
	buffer_store_dword v20, off, s[0:3], s32 offset:296 ; 4-byte Folded Spill
	v_add3_u32 v57, v57, v30, 0x7fff
	v_mul_f32_e32 v70, v113, v70
	v_mul_f32_e32 v69, v113, v69
	v_mul_f32_e32 v68, v113, v68
	v_mul_f32_e32 v65, v113, v65
	v_cndmask_b32_e64 v30, v57, v58, s7
	v_bfe_u32 v57, v31, 16, 1
	v_or_b32_e32 v58, 0x400000, v31
	v_cmp_u_f32_e64 s7, v31, v31
	v_mul_f32_e32 v64, v113, v64
	v_mul_f32_e32 v55, v113, v55
	v_add3_u32 v57, v57, v31, 0x7fff
	v_mul_f32_e32 v54, v113, v54
	v_mul_f32_e32 v53, v113, v53
	v_mul_f32_e32 v52, v113, v52
	v_mul_f32_e32 v51, v113, v51
	v_cndmask_b32_e64 v31, v57, v58, s7
	v_bfe_u32 v57, v40, 16, 1
	v_or_b32_e32 v58, 0x400000, v40
	v_cmp_u_f32_e64 s7, v40, v40
	v_mul_f32_e32 v50, v113, v50
	v_mul_f32_e32 v22, v113, v22
	;; [unrolled: 11-line block ×6, first 2 shown]
	v_add3_u32 v57, v57, v44, 0x7fff
	v_mul_f32_e32 v4, v113, v4
	v_mul_f32_e32 v5, v113, v5
	;; [unrolled: 1-line block ×4, first 2 shown]
	v_cndmask_b32_e64 v44, v57, v58, s7
	v_bfe_u32 v57, v45, 16, 1
	v_or_b32_e32 v58, 0x400000, v45
	v_cmp_u_f32_e64 s7, v45, v45
	v_mov_b32_e32 v127, v125
	v_add3_u32 v57, v57, v45, 0x7fff
	v_cndmask_b32_e64 v45, v57, v58, s7
	v_bfe_u32 v57, v46, 16, 1
	v_or_b32_e32 v58, 0x400000, v46
	v_cmp_u_f32_e64 s7, v46, v46
	v_add3_u32 v57, v57, v46, 0x7fff
	v_cndmask_b32_e64 v46, v57, v58, s7
	v_bfe_u32 v57, v17, 16, 1
	v_or_b32_e32 v58, 0x400000, v17
	v_cmp_u_f32_e64 s7, v17, v17
	;; [unrolled: 5-line block ×40, first 2 shown]
	v_add3_u32 v57, v57, v0, 0x7fff
	buffer_load_dword v0, off, s[0:3], s32 offset:244 ; 4-byte Folded Reload
	v_cndmask_b32_e64 v13, v57, v58, s7
	v_bfe_u32 v57, v1, 16, 1
	v_or_b32_e32 v58, 0x400000, v1
	v_cmp_u_f32_e64 s7, v1, v1
	v_add3_u32 v57, v57, v1, 0x7fff
	v_cndmask_b32_e64 v9, v57, v58, s7
	v_bfe_u32 v57, v35, 16, 1
	v_or_b32_e32 v58, 0x400000, v35
	v_cmp_u_f32_e64 s7, v35, v35
	v_add3_u32 v57, v57, v35, 0x7fff
	;; [unrolled: 5-line block ×21, first 2 shown]
	v_cndmask_b32_e64 v34, v57, v58, s7
	v_mul_f32_e32 v57, v113, v96
	v_bfe_u32 v58, v57, 16, 1
	v_or_b32_e32 v59, 0x400000, v57
	v_cmp_u_f32_e64 s7, v57, v57
	v_add3_u32 v58, v58, v57, 0x7fff
	v_mul_f32_e32 v57, v113, v112
	v_cndmask_b32_e64 v125, v58, v59, s7
	v_bfe_u32 v58, v57, 16, 1
	v_or_b32_e32 v59, 0x400000, v57
	v_cmp_u_f32_e64 s7, v57, v57
	v_add3_u32 v58, v58, v57, 0x7fff
	v_mul_f32_e32 v57, v113, v97
	v_cndmask_b32_e64 v2, v58, v59, s7
	;; [unrolled: 6-line block ×13, first 2 shown]
	v_bfe_u32 v58, v57, 16, 1
	v_or_b32_e32 v59, 0x400000, v57
	v_cmp_u_f32_e64 s7, v57, v57
	v_add3_u32 v58, v58, v57, 0x7fff
	v_cndmask_b32_e64 v57, v58, v59, s7
	v_mul_f32_e32 v58, v113, v105
	v_bfe_u32 v59, v58, 16, 1
	v_or_b32_e32 v60, 0x400000, v58
	v_cmp_u_f32_e64 s7, v58, v58
	v_add3_u32 v59, v59, v58, 0x7fff
	v_mul_f32_e32 v58, v113, v104
	v_cndmask_b32_e64 v105, v59, v60, s7
	v_bfe_u32 v59, v58, 16, 1
	v_or_b32_e32 v60, 0x400000, v58
	v_cmp_u_f32_e64 s7, v58, v58
	v_add3_u32 v59, v59, v58, 0x7fff
	v_mul_f32_e32 v58, v113, v95
	v_cndmask_b32_e64 v104, v59, v60, s7
	;; [unrolled: 6-line block ×19, first 2 shown]
	v_bfe_u32 v59, v58, 16, 1
	v_or_b32_e32 v60, 0x400000, v58
	v_cmp_u_f32_e64 s7, v58, v58
	v_add3_u32 v59, v59, v58, 0x7fff
	s_waitcnt vmcnt(0)
	v_mul_f32_e32 v58, v113, v0
	buffer_load_dword v0, off, s[0:3], s32 offset:224 ; 4-byte Folded Reload
	v_cndmask_b32_e64 v61, v59, v60, s7
	v_bfe_u32 v59, v58, 16, 1
	v_or_b32_e32 v60, 0x400000, v58
	v_cmp_u_f32_e64 s7, v58, v58
	v_add3_u32 v59, v59, v58, 0x7fff
	v_cndmask_b32_e64 v62, v59, v60, s7
	s_waitcnt vmcnt(0)
	v_mul_f32_e32 v58, v113, v0
	buffer_load_dword v0, off, s[0:3], s32 offset:220 ; 4-byte Folded Reload
	v_bfe_u32 v59, v58, 16, 1
	v_or_b32_e32 v60, 0x400000, v58
	v_cmp_u_f32_e64 s7, v58, v58
	v_add3_u32 v59, v59, v58, 0x7fff
	v_cndmask_b32_e64 v106, v59, v60, s7
	s_waitcnt vmcnt(0)
	v_mul_f32_e32 v58, v113, v0
	buffer_load_dword v0, off, s[0:3], s32 offset:216 ; 4-byte Folded Reload
	;; [unrolled: 8-line block ×5, first 2 shown]
	v_bfe_u32 v59, v58, 16, 1
	v_or_b32_e32 v60, 0x400000, v58
	v_cmp_u_f32_e64 s7, v58, v58
	v_add3_u32 v59, v59, v58, 0x7fff
	v_mul_f32_e32 v58, v113, v21
	buffer_load_dword v21, off, s[0:3], s32 offset:268 ; 4-byte Folded Reload
	v_cndmask_b32_e64 v103, v59, v60, s7
	v_bfe_u32 v59, v58, 16, 1
	v_or_b32_e32 v60, 0x400000, v58
	v_cmp_u_f32_e64 s7, v58, v58
	v_add3_u32 v59, v59, v58, 0x7fff
	v_mul_f32_e32 v58, v113, v19
	v_mul_f32_e32 v19, v113, v99
	v_cndmask_b32_e64 v97, v59, v60, s7
	v_bfe_u32 v59, v58, 16, 1
	v_or_b32_e32 v60, 0x400000, v58
	v_cmp_u_f32_e64 s7, v58, v58
	v_add3_u32 v59, v59, v58, 0x7fff
	v_cndmask_b32_e64 v96, v59, v60, s7
	s_waitcnt vmcnt(1)
	v_mul_f32_e32 v58, v113, v0
	buffer_load_dword v0, off, s[0:3], s32 offset:284 ; 4-byte Folded Reload
	v_bfe_u32 v59, v58, 16, 1
	v_or_b32_e32 v60, 0x400000, v58
	v_cmp_u_f32_e64 s7, v58, v58
	v_add3_u32 v59, v59, v58, 0x7fff
	v_mul_f32_e32 v58, v113, v18
	v_cndmask_b32_e64 v87, v59, v60, s7
	v_bfe_u32 v59, v58, 16, 1
	v_or_b32_e32 v60, 0x400000, v58
	v_cmp_u_f32_e64 s7, v58, v58
	v_add3_u32 v59, v59, v58, 0x7fff
	v_mul_f32_e32 v58, v113, v56
	v_cndmask_b32_e64 v112, v59, v60, s7
	v_bfe_u32 v59, v58, 16, 1
	v_or_b32_e32 v60, 0x400000, v58
	v_cmp_u_f32_e64 s7, v58, v58
	v_add3_u32 v59, v59, v58, 0x7fff
	v_bfe_u32 v58, v19, 16, 1
	v_cndmask_b32_e64 v18, v59, v60, s7
	v_add3_u32 v58, v58, v19, 0x7fff
	v_or_b32_e32 v59, 0x400000, v19
	v_cmp_u_f32_e64 s7, v19, v19
	v_cndmask_b32_e64 v19, v58, v59, s7
	v_mul_f32_e32 v58, v113, v101
	v_bfe_u32 v59, v58, 16, 1
	v_or_b32_e32 v60, 0x400000, v58
	v_cmp_u_f32_e64 s7, v58, v58
	v_add3_u32 v59, v59, v58, 0x7fff
	v_cndmask_b32_e64 v59, v59, v60, s7
	s_waitcnt vmcnt(0)
	v_mul_f32_e32 v58, v113, v0
	buffer_load_dword v0, off, s[0:3], s32 offset:280 ; 4-byte Folded Reload
	v_bfe_u32 v60, v58, 16, 1
	v_or_b32_e32 v101, 0x400000, v58
	v_cmp_u_f32_e64 s7, v58, v58
	v_add3_u32 v60, v60, v58, 0x7fff
	v_cndmask_b32_e64 v101, v60, v101, s7
	s_waitcnt vmcnt(0)
	v_mul_f32_e32 v58, v113, v0
	buffer_load_dword v0, off, s[0:3], s32 offset:276 ; 4-byte Folded Reload
	;; [unrolled: 8-line block ×3, first 2 shown]
	v_bfe_u32 v60, v58, 16, 1
	v_or_b32_e32 v37, 0x400000, v58
	v_cmp_u_f32_e64 s7, v58, v58
	v_add3_u32 v60, v60, v58, 0x7fff
	v_cndmask_b32_e64 v37, v60, v37, s7
	v_and_b32_e32 v37, 0xffff0000, v37
	s_waitcnt vmcnt(0)
	v_mul_f32_e32 v58, v113, v0
	v_bfe_u32 v60, v58, 16, 1
	v_or_b32_e32 v0, 0x400000, v58
	v_cmp_u_f32_e64 s7, v58, v58
	v_add3_u32 v60, v60, v58, 0x7fff
	v_mul_f32_e32 v58, v113, v21
	buffer_load_dword v21, off, s[0:3], s32 offset:264 ; 4-byte Folded Reload
	v_cndmask_b32_e64 v0, v60, v0, s7
	v_bfe_u32 v60, v58, 16, 1
	v_or_b32_e32 v47, 0x400000, v58
	v_cmp_u_f32_e64 s7, v58, v58
	v_and_b32_e32 v0, 0xffff0000, v0
	v_add3_u32 v60, v60, v58, 0x7fff
	v_cndmask_b32_e64 v60, v60, v47, s7
	s_waitcnt vmcnt(0)
	v_mul_f32_e32 v47, v113, v21
	buffer_load_dword v21, off, s[0:3], s32 offset:260 ; 4-byte Folded Reload
	v_bfe_u32 v58, v47, 16, 1
	v_or_b32_e32 v56, 0x400000, v47
	v_cmp_u_f32_e64 s7, v47, v47
	v_add3_u32 v58, v58, v47, 0x7fff
	v_cndmask_b32_e64 v58, v58, v56, s7
	s_waitcnt vmcnt(0)
	v_mul_f32_e32 v47, v113, v21
	v_bfe_u32 v56, v47, 16, 1
	v_or_b32_e32 v21, 0x400000, v47
	v_cmp_u_f32_e64 s7, v47, v47
	v_add3_u32 v56, v56, v47, 0x7fff
	buffer_load_dword v47, off, s[0:3], s32 offset:300 ; 4-byte Folded Reload
	v_cndmask_b32_e64 v21, v56, v21, s7
	v_mul_f32_e32 v56, v113, v127
	v_and_b32_e32 v21, 0xffff0000, v21
	s_waitcnt vmcnt(0)
	v_mul_f32_e32 v47, v113, v47
	v_bfe_u32 v113, v47, 16, 1
	v_or_b32_e32 v127, 0x400000, v47
	v_cmp_u_f32_e64 s7, v47, v47
	v_add3_u32 v113, v113, v47, 0x7fff
	v_bfe_u32 v47, v56, 16, 1
	v_cndmask_b32_e64 v113, v113, v127, s7
	v_add3_u32 v47, v47, v56, 0x7fff
	v_or_b32_e32 v127, 0x400000, v56
	v_cmp_u_f32_e64 s7, v56, v56
	buffer_load_dword v56, off, s[0:3], s32 offset:332 ; 4-byte Folded Reload
	v_cndmask_b32_e64 v47, v47, v127, s7
	s_waitcnt vmcnt(0)
	v_mul_f32_e32 v56, v56, v37
	buffer_load_dword v37, off, s[0:3], s32 offset:316 ; 4-byte Folded Reload
	s_waitcnt vmcnt(0)
	v_fmac_f32_e32 v56, v37, v21
	v_and_b32_e32 v21, 0xffff0000, v99
	buffer_load_dword v99, off, s[0:3], s32 offset:336 ; 4-byte Folded Reload
	v_and_b32_e32 v37, 0xffff0000, v58
	s_waitcnt vmcnt(0)
	v_mul_f32_e32 v58, v99, v21
	buffer_load_dword v21, off, s[0:3], s32 offset:320 ; 4-byte Folded Reload
	s_waitcnt vmcnt(0)
	v_fmac_f32_e32 v58, v21, v37
	buffer_load_dword v37, off, s[0:3], s32 offset:340 ; 4-byte Folded Reload
	v_and_b32_e32 v21, 0xffff0000, v59
	s_waitcnt vmcnt(0)
	v_mul_f32_e32 v59, v37, v21
	s_clause 0x1
	buffer_load_dword v21, off, s[0:3], s32 offset:324
	buffer_load_dword v37, off, s[0:3], s32 offset:344
	s_waitcnt vmcnt(1)
	v_fmac_f32_e32 v59, v21, v0
	v_and_b32_e32 v0, 0xffff0000, v101
	v_and_b32_e32 v21, 0xffff0000, v60
	s_waitcnt vmcnt(0)
	v_mul_f32_e32 v60, v37, v0
	buffer_load_dword v0, off, s[0:3], s32 offset:328 ; 4-byte Folded Reload
	s_waitcnt vmcnt(0)
	v_fmac_f32_e32 v60, v0, v21
	v_and_b32_e32 v0, 0xffff0000, v19
	buffer_load_dword v19, off, s[0:3], s32 offset:348 ; 4-byte Folded Reload
	s_waitcnt vmcnt(0)
	v_fmac_f32_e32 v56, v19, v0
	v_and_b32_e32 v0, 0xffff0000, v18
	buffer_load_dword v18, off, s[0:3], s32 offset:352 ; 4-byte Folded Reload
	s_waitcnt vmcnt(0)
	v_fmac_f32_e32 v58, v18, v0
	buffer_load_dword v18, off, s[0:3], s32 offset:356 ; 4-byte Folded Reload
	v_and_b32_e32 v0, 0xffff0000, v87
	s_waitcnt vmcnt(0)
	v_fmac_f32_e32 v59, v18, v0
	buffer_load_dword v18, off, s[0:3], s32 offset:360 ; 4-byte Folded Reload
	v_and_b32_e32 v0, 0xffff0000, v112
	;; [unrolled: 4-line block ×40, first 2 shown]
	s_waitcnt vmcnt(0)
	v_fmac_f32_e32 v58, v18, v0
	v_and_b32_e32 v0, 0xffff0000, v1
	buffer_load_dword v1, off, s[0:3], s32 offset:528 ; 4-byte Folded Reload
	s_waitcnt vmcnt(0)
	v_fmac_f32_e32 v59, v1, v0
	buffer_load_dword v1, off, s[0:3], s32 offset:532 ; 4-byte Folded Reload
	v_and_b32_e32 v0, 0xffff0000, v124
	s_waitcnt vmcnt(0)
	v_fmac_f32_e32 v60, v1, v0
	buffer_load_dword v1, off, s[0:3], s32 offset:536 ; 4-byte Folded Reload
	v_and_b32_e32 v0, 0xffff0000, v2
	buffer_load_dword v2, off, s[0:3], s32 offset:836 ; 4-byte Folded Reload
	s_waitcnt vmcnt(1)
	v_fmac_f32_e32 v56, v1, v0
	buffer_load_dword v1, off, s[0:3], s32 offset:540 ; 4-byte Folded Reload
	v_and_b32_e32 v0, 0xffff0000, v125
	s_waitcnt vmcnt(0)
	v_fmac_f32_e32 v58, v1, v0
	buffer_load_dword v1, off, s[0:3], s32 offset:544 ; 4-byte Folded Reload
	v_and_b32_e32 v0, 0xffff0000, v38
	;; [unrolled: 4-line block ×69, first 2 shown]
	s_waitcnt vmcnt(0)
	v_fmac_f32_e32 v58, v1, v0
	s_clause 0x1
	buffer_load_dword v0, off, s[0:3], s32 offset:296
	buffer_load_dword v1, off, s[0:3], s32 offset:816
	s_waitcnt vmcnt(1)
	v_and_b32_e32 v0, 0xffff0000, v0
	s_waitcnt vmcnt(0)
	v_fmac_f32_e32 v59, v1, v0
	buffer_load_dword v1, off, s[0:3], s32 offset:820 ; 4-byte Folded Reload
	v_and_b32_e32 v0, 0xffff0000, v30
	s_waitcnt vmcnt(0)
	v_fmac_f32_e32 v60, v1, v0
	s_clause 0x1
	buffer_load_dword v0, off, s[0:3], s32 offset:292
	buffer_load_dword v1, off, s[0:3], s32 offset:824
	s_waitcnt vmcnt(1)
	v_and_b32_e32 v0, 0xffff0000, v0
	s_waitcnt vmcnt(0)
	v_fmac_f32_e32 v56, v1, v0
	s_clause 0x1
	buffer_load_dword v0, off, s[0:3], s32 offset:288
	buffer_load_dword v1, off, s[0:3], s32 offset:828
	s_waitcnt vmcnt(1)
	v_and_b32_e32 v0, 0xffff0000, v0
	s_waitcnt vmcnt(0)
	v_fmac_f32_e32 v58, v1, v0
	buffer_load_dword v1, off, s[0:3], s32 offset:832 ; 4-byte Folded Reload
	v_and_b32_e32 v0, 0xffff0000, v113
	s_waitcnt vmcnt(0)
	v_fmac_f32_e32 v59, v1, v0
	v_and_b32_e32 v1, 0xffff0000, v47
	v_add_f32_e32 v0, v56, v58
	v_fmac_f32_e32 v60, v2, v1
	buffer_load_dword v1, off, s[0:3], s32 offset:848 ; 4-byte Folded Reload
	v_add_f32_e32 v0, v0, v59
	v_add_f32_e32 v0, v60, v0
	s_waitcnt vmcnt(0)
	ds_bpermute_b32 v1, v1, v0
	s_mov_b32 s17, exec_lo
	buffer_load_dword v6, off, s[0:3], s32 offset:256 ; 4-byte Folded Reload
	s_and_b32 s7, s17, vcc_lo
	s_mov_b32 exec_lo, s7
	s_cbranch_execz .LBB369_9
; %bb.1035:                             ;   in Loop: Header=BB369_10 Depth=1
	s_clause 0x2
	buffer_load_dword v3, off, s[0:3], s32 offset:196
	buffer_load_dword v5, off, s[0:3], s32 offset:228
	;; [unrolled: 1-line block ×3, first 2 shown]
	s_waitcnt lgkmcnt(0)
	v_add_f32_e32 v0, v0, v1
	s_load_dword s24, s[8:9], 0x0
	s_waitcnt vmcnt(2)
	v_sub_nc_u32_e32 v2, 1, v3
	s_waitcnt vmcnt(1)
	v_cmp_lt_i32_e64 s7, v5, v3
	v_add_nc_u32_e32 v2, v2, v5
	v_cvt_f32_i32_e32 v2, v2
	s_waitcnt vmcnt(0)
	v_mul_f32_e32 v2, v4, v2
	buffer_load_dword v4, off, s[0:3], s32 offset:312 ; 4-byte Folded Reload
	v_cndmask_b32_e64 v1, 0, v2, s6
	buffer_load_dword v2, off, s[0:3], s32 offset:856 ; 4-byte Folded Reload
	s_waitcnt vmcnt(0)
	v_fmac_f32_e32 v1, v2, v0
	buffer_load_dword v2, off, s[0:3], s32 offset:232 ; 4-byte Folded Reload
	v_max_f32_e32 v0, v4, v4
	v_max_f32_e32 v0, v0, v1
	v_cndmask_b32_e64 v1, 0, v1, s7
	v_cndmask_b32_e64 v4, v4, v0, s7
	buffer_store_dword v4, off, s[0:3], s32 offset:312 ; 4-byte Folded Spill
	s_waitcnt vmcnt(0) lgkmcnt(0)
	v_add_nc_u32_e32 v2, s24, v2
	ds_write_b32 v2, v1
	s_branch .LBB369_9
.LBB369_1036:
	s_or_b32 exec_lo, exec_lo, s23
	s_clause 0x5
	buffer_load_dword v11, off, s[0:3], s32 offset:932
	buffer_load_dword v15, off, s[0:3], s32 offset:936
	;; [unrolled: 1-line block ×6, first 2 shown]
	v_mov_b32_e32 v0, v126
.LBB369_1037:
	s_or_b32 exec_lo, exec_lo, s21
	s_clause 0x2
	buffer_load_dword v7, off, s[0:3], s32 offset:864
	buffer_load_dword v8, off, s[0:3], s32 offset:884
	buffer_load_dword v4, off, s[0:3], s32 offset:312
	s_waitcnt lgkmcnt(0)
	s_lshr_b32 s9, s22, 16
	s_waitcnt vmcnt(2)
	v_xor_b32_e32 v1, 16, v7
	v_xor_b32_e32 v2, 8, v7
	s_waitcnt vmcnt(0)
	v_max_f32_e32 v5, v4, v4
	v_xor_b32_e32 v6, 2, v7
	v_cmp_lt_i32_e32 vcc_lo, v1, v8
	v_cndmask_b32_e32 v1, v7, v1, vcc_lo
	v_cmp_lt_i32_e32 vcc_lo, v2, v8
	v_lshlrev_b32_e32 v3, 2, v1
	v_cndmask_b32_e32 v2, v7, v2, vcc_lo
	ds_bpermute_b32 v1, v3, v4
	v_lshlrev_b32_e32 v4, 2, v2
	s_waitcnt lgkmcnt(0)
	v_max_f32_e32 v1, v1, v1
	v_max_f32_e32 v1, v5, v1
	v_xor_b32_e32 v5, 4, v7
	ds_bpermute_b32 v2, v4, v1
	v_cmp_lt_i32_e32 vcc_lo, v5, v8
	v_cndmask_b32_e32 v5, v7, v5, vcc_lo
	v_cmp_lt_i32_e32 vcc_lo, v6, v8
	v_lshlrev_b32_e32 v5, 2, v5
	v_cndmask_b32_e32 v6, v7, v6, vcc_lo
	s_waitcnt lgkmcnt(0)
	v_max_f32_e32 v2, v2, v2
	v_max_f32_e32 v1, v1, v2
	ds_bpermute_b32 v2, v5, v1
	s_waitcnt lgkmcnt(0)
	v_max_f32_e32 v2, v2, v2
	v_max_f32_e32 v1, v1, v2
	v_lshlrev_b32_e32 v2, 2, v6
	buffer_load_dword v6, off, s[0:3], s32 offset:852 ; 4-byte Folded Reload
	ds_bpermute_b32 v7, v2, v1
	s_waitcnt vmcnt(0)
	v_and_b32_e32 v12, 31, v6
	buffer_load_dword v6, off, s[0:3], s32 offset:868 ; 4-byte Folded Reload
	v_cmp_eq_u32_e32 vcc_lo, 0, v12
	s_waitcnt vmcnt(0)
	v_lshlrev_b32_e32 v6, 2, v6
	s_and_saveexec_b32 s6, vcc_lo
	s_cbranch_execz .LBB369_1039
; %bb.1038:
	s_waitcnt lgkmcnt(0)
	v_max_f32_e32 v7, v7, v7
	v_max_f32_e32 v1, v1, v1
	;; [unrolled: 1-line block ×3, first 2 shown]
	ds_write_b32 v6, v1 offset:512
.LBB369_1039:
	s_or_b32 exec_lo, exec_lo, s6
	v_cmp_gt_u32_e64 s6, 4, v12
	v_mov_b32_e32 v1, 0xff7fffff
	s_waitcnt lgkmcnt(0)
	v_lshlrev_b32_e32 v7, 2, v12
	s_waitcnt_vscnt null, 0x0
	s_barrier
	buffer_gl0_inv
	s_and_saveexec_b32 s7, s6
; %bb.1040:
	ds_read_b32 v1, v7 offset:512
; %bb.1041:
	s_or_b32 exec_lo, exec_lo, s7
	s_clause 0x1
	buffer_load_dword v13, off, s[0:3], s32 offset:864
	buffer_load_dword v17, off, s[0:3], s32 offset:884
	s_waitcnt lgkmcnt(0)
	ds_bpermute_b32 v8, v2, v1
	v_max_f32_e32 v1, v1, v1
	v_lshlrev_b32_e32 v0, 2, v0
	s_waitcnt lgkmcnt(0)
	v_max_f32_e32 v8, v8, v8
	v_max_f32_e32 v1, v1, v8
	s_waitcnt vmcnt(1)
	v_xor_b32_e32 v9, 1, v13
	s_waitcnt vmcnt(0)
	v_cmp_lt_i32_e64 s7, v9, v17
	v_cndmask_b32_e64 v9, v13, v9, s7
	v_lshlrev_b32_e32 v13, 2, v9
	buffer_load_dword v9, off, s[0:3], s32 offset:400 ; 4-byte Folded Reload
	ds_bpermute_b32 v8, v13, v1
	s_waitcnt lgkmcnt(0)
	v_max_f32_e32 v8, v8, v8
	v_max_f32_e32 v1, v1, v8
	ds_bpermute_b32 v0, v0, v1
	buffer_load_dword v1, off, s[0:3], s32 offset:196 ; 4-byte Folded Reload
	s_waitcnt vmcnt(1)
	v_subrev_nc_u32_e32 v9, s13, v9
	v_lshl_add_u32 v8, v9, 4, s20
	s_waitcnt vmcnt(0)
	v_min_i32_e32 v1, v8, v1
	buffer_load_dword v8, off, s[0:3], s32 offset:852 ; 4-byte Folded Reload
	v_subrev_nc_u32_e32 v1, s20, v1
	s_waitcnt vmcnt(0)
	v_cmp_lt_i32_e64 s7, v8, v1
	v_mov_b32_e32 v8, 0
	s_and_saveexec_b32 s13, s7
	s_cbranch_execz .LBB369_1045
; %bb.1042:
	v_mov_b32_e32 v17, v10
	buffer_load_dword v10, off, s[0:3], s32 offset:852 ; 4-byte Folded Reload
	s_getpc_b64 s[22:23]
	s_add_u32 s22, s22, llvm.amdgcn.dynlds.offset.table@rel32@lo+4
	s_addc_u32 s23, s23, llvm.amdgcn.dynlds.offset.table@rel32@hi+12
	s_ashr_i32 s17, s16, 31
	v_mov_b32_e32 v18, v14
	s_lshl_b64 s[24:25], s[16:17], 2
	v_mov_b32_e32 v8, 0
	s_add_u32 s22, s22, s24
	s_addc_u32 s23, s23, s25
	s_mov_b32 s17, 0
	s_load_dword s8, s[22:23], 0x0
	s_waitcnt vmcnt(0) lgkmcnt(0)
	v_lshl_add_u32 v9, v10, 2, s8
	.p2align	6
.LBB369_1043:                           ; =>This Inner Loop Header: Depth=1
	ds_read_b32 v14, v9
	v_add_nc_u32_e32 v10, 0x80, v10
	v_cmp_ge_i32_e64 s8, v10, v1
	s_or_b32 s17, s8, s17
	s_waitcnt lgkmcnt(0)
	v_sub_f32_e32 v14, v14, v0
	v_mul_f32_e32 v14, 0x3fb8aa3b, v14
	v_exp_f32_e32 v14, v14
	ds_write_b32 v9, v14
	v_add_f32_e32 v8, v8, v14
	v_add_nc_u32_e32 v9, 0x200, v9
	s_andn2_b32 exec_lo, exec_lo, s17
	s_cbranch_execnz .LBB369_1043
; %bb.1044:
	s_or_b32 exec_lo, exec_lo, s17
	v_mov_b32_e32 v10, v17
	v_mov_b32_e32 v14, v18
.LBB369_1045:
	s_or_b32 exec_lo, exec_lo, s13
	ds_bpermute_b32 v3, v3, v8
	s_waitcnt lgkmcnt(0)
	v_add_f32_e32 v3, v8, v3
	ds_bpermute_b32 v4, v4, v3
	s_waitcnt lgkmcnt(0)
	v_add_f32_e32 v3, v3, v4
	;; [unrolled: 3-line block ×5, first 2 shown]
	s_and_saveexec_b32 s8, vcc_lo
; %bb.1046:
	ds_write_b32 v6, v3 offset:528
; %bb.1047:
	s_or_b32 exec_lo, exec_lo, s8
	s_waitcnt lgkmcnt(0)
	s_barrier
	buffer_gl0_inv
	s_and_saveexec_b32 s8, s6
; %bb.1048:
	ds_read_b32 v3, v7 offset:528
; %bb.1049:
	s_or_b32 exec_lo, exec_lo, s8
	buffer_load_dword v4, off, s[0:3], s32 offset:864 ; 4-byte Folded Reload
	s_waitcnt lgkmcnt(0)
	ds_bpermute_b32 v2, v2, v3
	s_waitcnt lgkmcnt(0)
	v_add_f32_e32 v2, v3, v2
	ds_bpermute_b32 v3, v13, v2
	s_waitcnt lgkmcnt(0)
	v_add_f32_e32 v2, v2, v3
	s_waitcnt vmcnt(0)
	v_lshlrev_b32_e32 v4, 2, v4
	v_and_b32_e32 v3, 0xffffff80, v4
	ds_bpermute_b32 v2, v3, v2
	s_and_saveexec_b32 s6, s7
	s_cbranch_execz .LBB369_1052
; %bb.1050:
	s_waitcnt lgkmcnt(0)
	v_add_f32_e32 v4, 0x358637bd, v2
	s_getpc_b64 s[22:23]
	s_add_u32 s22, s22, llvm.amdgcn.dynlds.offset.table@rel32@lo+4
	s_addc_u32 s23, s23, llvm.amdgcn.dynlds.offset.table@rel32@hi+12
	s_ashr_i32 s17, s16, 31
	s_lshl_b64 s[24:25], s[16:17], 2
	v_div_scale_f32 v3, null, v4, v4, 1.0
	v_div_scale_f32 v7, vcc_lo, 1.0, v4, 1.0
	s_add_u32 s22, s22, s24
	v_rcp_f32_e32 v5, v3
	s_addc_u32 s23, s23, s25
	s_load_dword s7, s[22:23], 0x0
	v_fma_f32 v6, -v3, v5, 1.0
	v_fmac_f32_e32 v5, v6, v5
	v_mul_f32_e32 v6, v7, v5
	v_fma_f32 v8, -v3, v6, v7
	v_fmac_f32_e32 v6, v8, v5
	v_fma_f32 v3, -v3, v6, v7
	v_div_fmas_f32 v5, v3, v5, v6
	buffer_load_dword v6, off, s[0:3], s32 offset:852 ; 4-byte Folded Reload
	v_div_fixup_f32 v4, v5, v4, 1.0
	s_waitcnt vmcnt(0) lgkmcnt(0)
	v_lshl_add_u32 v3, v6, 2, s7
	v_mov_b32_e32 v5, v6
	s_mov_b32 s7, 0
.LBB369_1051:                           ; =>This Inner Loop Header: Depth=1
	ds_read_b32 v6, v3
	v_add_nc_u32_e32 v5, 0x80, v5
	v_cmp_ge_i32_e32 vcc_lo, v5, v1
	s_or_b32 s7, vcc_lo, s7
	s_waitcnt lgkmcnt(0)
	v_mul_f32_e32 v6, v4, v6
	ds_write_b32 v3, v6
	v_add_nc_u32_e32 v3, 0x200, v3
	s_andn2_b32 exec_lo, exec_lo, s7
	s_cbranch_execnz .LBB369_1051
.LBB369_1052:
	s_or_b32 exec_lo, exec_lo, s6
	s_waitcnt lgkmcnt(0)
	buffer_load_dword v1, off, s[0:3], s32 offset:852 ; 4-byte Folded Reload
	s_and_b32 s6, 0xffff, s9
	s_mov_b32 s8, exec_lo
	s_cmp_lg_u32 s6, 0
	s_barrier
	s_cselect_b32 s6, -1, 0
	s_waitcnt vmcnt(0)
	buffer_gl0_inv
	s_cmp_lg_u32 s6, 0
	s_addc_u32 s11, s11, 0
	s_mul_i32 s6, s11, s18
	s_mul_i32 s6, s6, s15
	v_cmpx_eq_u32_e32 0, v1
	s_cbranch_execz .LBB369_1054
; %bb.1053:
	s_ashr_i32 s7, s6, 31
	s_mul_i32 s12, s11, s12
	s_lshl_b64 s[22:23], s[6:7], 2
	s_ashr_i32 s13, s12, 31
	v_add_co_u32 v1, vcc_lo, v14, s22
	v_add_co_ci_u32_e64 v3, null, s23, v10, vcc_lo
	s_lshl_b64 s[12:13], s[12:13], 2
	s_ashr_i32 s15, s14, 31
	v_add_co_u32 v1, vcc_lo, v1, s12
	v_add_co_ci_u32_e64 v4, null, s13, v3, vcc_lo
	s_clause 0x1
	buffer_load_dword v3, off, s[0:3], s32 offset:928
	buffer_load_dword v5, off, s[0:3], s32 offset:924
	s_waitcnt vmcnt(1)
	v_add_co_u32 v3, vcc_lo, v3, s22
	s_waitcnt vmcnt(0)
	v_add_co_ci_u32_e64 v5, null, s23, v5, vcc_lo
	s_lshl_b64 s[22:23], s[14:15], 2
	v_add_co_u32 v6, vcc_lo, v3, s12
	v_add_co_ci_u32_e64 v7, null, s13, v5, vcc_lo
	v_add_co_u32 v3, vcc_lo, v1, s22
	v_add_co_ci_u32_e64 v4, null, s23, v4, vcc_lo
	;; [unrolled: 2-line block ×3, first 2 shown]
	flat_store_dword v[3:4], v0
	flat_store_dword v[5:6], v2
.LBB369_1054:
	s_or_b32 exec_lo, exec_lo, s8
	s_and_saveexec_b32 s7, s5
	s_xor_b32 s5, exec_lo, s7
	s_cbranch_execz .LBB369_1056
; %bb.1055:
                                        ; implicit-def: $vgpr0
                                        ; kill: killed $vgpr0
	s_ashr_i32 s17, s16, 31
                                        ; implicit-def: $vgpr0
                                        ; kill: killed $vgpr0
                                        ; implicit-def: $vgpr19
                                        ; implicit-def: $vgpr15
                                        ; implicit-def: $vgpr11
                                        ; implicit-def: $vgpr16
                                        ; implicit-def: $vgpr0
	buffer_store_dword v0, off, s[0:3], s32 offset:204 ; 4-byte Folded Spill
	buffer_store_dword v1, off, s[0:3], s32 offset:208 ; 4-byte Folded Spill
                                        ; implicit-def: $vgpr0
                                        ; kill: killed $vgpr0
                                        ; implicit-def: $vgpr0
                                        ; kill: killed $vgpr0
	;; [unrolled: 2-line block ×3, first 2 shown]
                                        ; implicit-def: $vgpr0_vgpr1
                                        ; kill: killed $vgpr0_vgpr1
                                        ; implicit-def: $vgpr0
                                        ; kill: killed $vgpr0
                                        ; implicit-def: $vgpr0
                                        ; kill: killed $vgpr0
                                        ; implicit-def: $vgpr0_vgpr1
                                        ; kill: killed $vgpr0_vgpr1
.LBB369_1056:
	s_or_saveexec_b32 s7, s5
	v_mov_b32_e32 v0, s16
	v_mov_b32_e32 v55, 0
	v_mov_b32_e32 v1, s17
	v_mov_b32_e32 v65, 0
	v_mov_b32_e32 v64, 0
	v_mov_b32_e32 v54, 0
	v_mov_b32_e32 v53, 0
	v_mov_b32_e32 v52, 0
	v_mov_b32_e32 v51, 0
	v_mov_b32_e32 v50, 0
	v_mov_b32_e32 v49, 0
	v_mov_b32_e32 v48, 0
	v_mov_b32_e32 v33, 0
	v_mov_b32_e32 v32, 0
	v_mov_b32_e32 v31, 0
	v_mov_b32_e32 v30, 0
	v_mov_b32_e32 v29, 0
	v_mov_b32_e32 v28, 0
	s_xor_b32 exec_lo, exec_lo, s7
	s_cbranch_execz .LBB369_2116
; %bb.1057:
	buffer_store_dword v13, off, s[0:3], s32 offset:420 ; 4-byte Folded Spill
	buffer_store_dword v12, off, s[0:3], s32 offset:416 ; 4-byte Folded Spill
	s_clause 0x1
	buffer_load_dword v0, off, s[0:3], s32 offset:896
	buffer_load_dword v1, off, s[0:3], s32 offset:900
	s_getpc_b64 s[8:9]
	s_add_u32 s8, s8, llvm.amdgcn.dynlds.offset.table@rel32@lo+4
	s_addc_u32 s9, s9, llvm.amdgcn.dynlds.offset.table@rel32@hi+12
	s_ashr_i32 s17, s16, 31
	v_and_b32_e32 v5, 0xf8, v16
	s_lshl_b64 s[12:13], s[16:17], 2
	v_and_b32_e32 v2, 8, v16
	s_add_u32 s8, s8, s12
	s_addc_u32 s9, s9, s13
	v_mov_b32_e32 v68, 0x80
	s_load_dword s5, s[8:9], 0x0
	v_mov_b32_e32 v70, 0xff
	v_mov_b32_e32 v28, 0
	;; [unrolled: 1-line block ×17, first 2 shown]
	s_mov_b32 s8, -1
	s_mov_b32 s9, 0xffffff
	s_mov_b32 s12, 0
	s_waitcnt vmcnt(0)
	flat_load_dword v26, v[0:1]
	buffer_load_dword v0, off, s[0:3], s32 offset:916 ; 4-byte Folded Reload
	s_waitcnt vmcnt(0)
	v_add_co_u32 v3, vcc_lo, v15, v0
	buffer_load_dword v0, off, s[0:3], s32 offset:920 ; 4-byte Folded Reload
	s_waitcnt vmcnt(0)
	v_add_co_ci_u32_e64 v4, null, v11, v0, vcc_lo
	v_add_nc_u32_e32 v0, -1, v19
	v_add_co_u32 v3, vcc_lo, v3, v5
	v_add_co_ci_u32_e64 v4, null, 0, v4, vcc_lo
	buffer_store_dword v0, off, s[0:3], s32 offset:404 ; 4-byte Folded Spill
	s_clause 0x2
	buffer_load_dword v0, off, s[0:3], s32 offset:204
	buffer_load_dword v1, off, s[0:3], s32 offset:208
	buffer_load_dword v6, off, s[0:3], s32 offset:852
	buffer_store_dword v3, off, s[0:3], s32 offset:408 ; 4-byte Folded Spill
	buffer_store_dword v4, off, s[0:3], s32 offset:412 ; 4-byte Folded Spill
	s_clause 0x1
	buffer_load_dword v4, off, s[0:3], s32 offset:908
	buffer_load_dword v5, off, s[0:3], s32 offset:912
	v_mov_b32_e32 v11, 0
	s_waitcnt vmcnt(3)
	v_lshlrev_b64 v[0:1], 2, v[0:1]
	s_waitcnt vmcnt(2)
	v_and_b32_e32 v6, 1, v6
	s_waitcnt vmcnt(1)
	v_add_co_u32 v0, vcc_lo, v4, v0
	s_waitcnt vmcnt(0)
	v_add_co_ci_u32_e64 v1, null, v5, v1, vcc_lo
	buffer_load_dword v5, off, s[0:3], s32 offset:868 ; 4-byte Folded Reload
	v_lshlrev_b32_e32 v3, 5, v6
	s_waitcnt vmcnt(0)
	v_lshl_add_u32 v4, v5, 4, s20
	v_lshl_or_b32 v3, v5, 6, v3
	buffer_load_dword v5, off, s[0:3], s32 offset:880 ; 4-byte Folded Reload
	v_add3_u32 v66, v4, v2, 7
	s_waitcnt lgkmcnt(0)
	v_add_nc_u32_e32 v67, s5, v3
	s_waitcnt vmcnt(0)
	v_add_co_u32 v14, vcc_lo, v5, v0
	buffer_load_dword v0, off, s[0:3], s32 offset:876 ; 4-byte Folded Reload
	s_waitcnt vmcnt(0)
	v_add_co_ci_u32_e64 v15, null, v0, v1, vcc_lo
	s_branch .LBB369_1059
.LBB369_1058:                           ;   in Loop: Header=BB369_1059 Depth=1
	s_or_b32 exec_lo, exec_lo, s5
	v_bfe_u32 v4, v6, 16, 1
	v_or_b32_e32 v5, 0x400000, v6
	v_cmp_u_f32_e32 vcc_lo, v6, v6
	v_lshlrev_b32_e32 v16, 16, v16
	v_lshlrev_b32_e32 v12, 16, v12
	v_add3_u32 v4, v4, v6, 0x7fff
	v_or_b32_e32 v6, 0x400000, v7
	v_lshlrev_b32_e32 v13, 16, v13
	v_lshlrev_b32_e32 v25, 16, v25
	v_add_nc_u32_e32 v66, 64, v66
	v_cndmask_b32_e32 v4, v4, v5, vcc_lo
	v_bfe_u32 v5, v7, 16, 1
	v_cmp_u_f32_e32 vcc_lo, v7, v7
	v_add_nc_u32_e32 v67, 0x100, v67
	v_add3_u32 v5, v5, v7, 0x7fff
	v_or_b32_e32 v7, 0x400000, v8
	v_cndmask_b32_e32 v5, v5, v6, vcc_lo
	v_bfe_u32 v6, v8, 16, 1
	v_cmp_u_f32_e32 vcc_lo, v8, v8
	v_add3_u32 v6, v6, v8, 0x7fff
	v_or_b32_e32 v8, 0x400000, v9
	v_cndmask_b32_e32 v6, v6, v7, vcc_lo
	v_bfe_u32 v7, v9, 16, 1
	v_cmp_u_f32_e32 vcc_lo, v9, v9
	;; [unrolled: 5-line block ×3, first 2 shown]
	v_add3_u32 v8, v8, v0, 0x7fff
	v_cndmask_b32_e32 v0, v8, v9, vcc_lo
	v_bfe_u32 v8, v1, 16, 1
	v_or_b32_e32 v9, 0x400000, v1
	v_cmp_u_f32_e32 vcc_lo, v1, v1
	v_add3_u32 v8, v8, v1, 0x7fff
	v_cndmask_b32_e32 v1, v8, v9, vcc_lo
	v_bfe_u32 v8, v2, 16, 1
	v_or_b32_e32 v9, 0x400000, v2
	v_cmp_u_f32_e32 vcc_lo, v2, v2
	v_and_b32_e32 v1, 0xffff0000, v1
	v_add3_u32 v8, v8, v2, 0x7fff
	v_cndmask_b32_e32 v2, v8, v9, vcc_lo
	v_bfe_u32 v8, v3, 16, 1
	v_or_b32_e32 v9, 0x400000, v3
	v_cmp_u_f32_e32 vcc_lo, v3, v3
	v_and_b32_e32 v2, 0xffff0000, v2
	v_add3_u32 v8, v8, v3, 0x7fff
	v_lshlrev_b32_e32 v3, 16, v77
	v_mul_f32_e32 v16, v2, v16
	v_cndmask_b32_e32 v22, v8, v9, vcc_lo
	v_and_b32_e32 v8, 0xffff0000, v5
	v_mul_f32_e32 v25, v2, v25
	v_mul_f32_e32 v3, v8, v3
	v_bfe_u32 v5, v3, 16, 1
	v_or_b32_e32 v9, 0x400000, v3
	v_cmp_u_f32_e32 vcc_lo, v3, v3
	v_add3_u32 v5, v5, v3, 0x7fff
	v_lshlrev_b32_e32 v3, 16, v78
	v_cndmask_b32_e32 v5, v5, v9, vcc_lo
	v_and_b32_e32 v9, 0xffff0000, v4
	v_and_b32_e32 v5, 0xffff0000, v5
	v_mul_f32_e32 v3, v9, v3
	v_bfe_u32 v4, v3, 16, 1
	v_or_b32_e32 v34, 0x400000, v3
	v_cmp_u_f32_e32 vcc_lo, v3, v3
	v_add3_u32 v4, v4, v3, 0x7fff
	v_and_b32_e32 v3, 0xffff0000, v7
	v_lshlrev_b32_e32 v7, 16, v75
	v_cndmask_b32_e32 v4, v4, v34, vcc_lo
	v_mul_f32_e32 v12, v3, v12
	v_mul_f32_e32 v7, v3, v7
	v_and_b32_e32 v4, 0xffff0000, v4
	v_bfe_u32 v34, v7, 16, 1
	v_or_b32_e32 v35, 0x400000, v7
	v_cmp_u_f32_e32 vcc_lo, v7, v7
	v_add_f32_e32 v4, v4, v5
	v_add3_u32 v34, v34, v7, 0x7fff
	v_and_b32_e32 v7, 0xffff0000, v6
	v_lshlrev_b32_e32 v6, 16, v76
	v_cndmask_b32_e32 v34, v34, v35, vcc_lo
	v_mul_f32_e32 v13, v7, v13
	v_mul_f32_e32 v6, v7, v6
	v_and_b32_e32 v34, 0xffff0000, v34
	v_bfe_u32 v35, v6, 16, 1
	v_or_b32_e32 v36, 0x400000, v6
	v_cmp_u_f32_e32 vcc_lo, v6, v6
	v_add3_u32 v35, v35, v6, 0x7fff
	v_lshlrev_b32_e32 v6, 16, v73
	v_cndmask_b32_e32 v35, v35, v36, vcc_lo
	v_mul_f32_e32 v6, v1, v6
	v_and_b32_e32 v5, 0xffff0000, v35
	v_bfe_u32 v36, v6, 16, 1
	v_or_b32_e32 v37, 0x400000, v6
	v_cmp_u_f32_e32 vcc_lo, v6, v6
	v_add_f32_e32 v5, v5, v34
	v_add3_u32 v36, v36, v6, 0x7fff
	v_and_b32_e32 v6, 0xffff0000, v0
	v_lshlrev_b32_e32 v0, 16, v74
	v_add_f32_e32 v4, v4, v5
	v_cndmask_b32_e32 v36, v36, v37, vcc_lo
	v_mul_f32_e32 v0, v6, v0
	v_and_b32_e32 v34, 0xffff0000, v36
	v_bfe_u32 v37, v0, 16, 1
	v_or_b32_e32 v57, 0x400000, v0
	v_cmp_u_f32_e32 vcc_lo, v0, v0
	v_add3_u32 v37, v37, v0, 0x7fff
	v_and_b32_e32 v0, 0xffff0000, v22
	v_lshlrev_b32_e32 v22, 16, v79
	v_cndmask_b32_e32 v37, v37, v57, vcc_lo
	v_mul_f32_e32 v22, v0, v22
	v_and_b32_e32 v5, 0xffff0000, v37
	v_bfe_u32 v57, v22, 16, 1
	v_or_b32_e32 v58, 0x400000, v22
	v_cmp_u_f32_e32 vcc_lo, v22, v22
	v_add_f32_e32 v5, v5, v34
	v_add3_u32 v57, v57, v22, 0x7fff
	v_add_f32_e32 v4, v4, v5
	v_cndmask_b32_e32 v22, v57, v58, vcc_lo
	v_bfe_u32 v57, v16, 16, 1
	v_or_b32_e32 v58, 0x400000, v16
	v_cmp_u_f32_e32 vcc_lo, v16, v16
	v_add3_u32 v57, v57, v16, 0x7fff
	v_cndmask_b32_e32 v16, v57, v58, vcc_lo
	v_and_b32_e32 v5, 0xffff0000, v16
	v_and_b32_e32 v16, 0xffff0000, v22
	v_add_f32_e32 v5, v5, v16
	v_add_f32_e32 v4, v4, v5
	;; [unrolled: 1-line block ×3, first 2 shown]
	v_lshlrev_b32_e32 v4, 16, v47
	v_mul_f32_e32 v4, v8, v4
	v_bfe_u32 v5, v4, 16, 1
	v_or_b32_e32 v16, 0x400000, v4
	v_cmp_u_f32_e32 vcc_lo, v4, v4
	v_add3_u32 v5, v5, v4, 0x7fff
	v_cndmask_b32_e32 v4, v5, v16, vcc_lo
	v_lshlrev_b32_e32 v5, 16, v56
	v_and_b32_e32 v4, 0xffff0000, v4
	v_mul_f32_e32 v5, v9, v5
	v_bfe_u32 v16, v5, 16, 1
	v_or_b32_e32 v22, 0x400000, v5
	v_cmp_u_f32_e32 vcc_lo, v5, v5
	v_add3_u32 v16, v16, v5, 0x7fff
	v_cndmask_b32_e32 v5, v16, v22, vcc_lo
	v_lshlrev_b32_e32 v16, 16, v44
	v_and_b32_e32 v5, 0xffff0000, v5
	v_mul_f32_e32 v16, v3, v16
	v_add_f32_e32 v4, v5, v4
	v_bfe_u32 v22, v16, 16, 1
	v_or_b32_e32 v34, 0x400000, v16
	v_cmp_u_f32_e32 vcc_lo, v16, v16
	v_add3_u32 v22, v22, v16, 0x7fff
	v_cndmask_b32_e32 v16, v22, v34, vcc_lo
	v_lshlrev_b32_e32 v22, 16, v45
	v_and_b32_e32 v16, 0xffff0000, v16
	v_mul_f32_e32 v22, v7, v22
	v_bfe_u32 v34, v22, 16, 1
	v_or_b32_e32 v35, 0x400000, v22
	v_cmp_u_f32_e32 vcc_lo, v22, v22
	v_add3_u32 v34, v34, v22, 0x7fff
	v_cndmask_b32_e32 v22, v34, v35, vcc_lo
	v_lshlrev_b32_e32 v34, 16, v42
	v_and_b32_e32 v5, 0xffff0000, v22
	v_mul_f32_e32 v34, v1, v34
	v_add_f32_e32 v5, v5, v16
	v_bfe_u32 v35, v34, 16, 1
	v_or_b32_e32 v36, 0x400000, v34
	v_cmp_u_f32_e32 vcc_lo, v34, v34
	v_add_f32_e32 v4, v4, v5
	v_add3_u32 v35, v35, v34, 0x7fff
	v_cndmask_b32_e32 v34, v35, v36, vcc_lo
	v_lshlrev_b32_e32 v35, 16, v43
	v_and_b32_e32 v16, 0xffff0000, v34
	v_mul_f32_e32 v35, v6, v35
	v_bfe_u32 v36, v35, 16, 1
	v_or_b32_e32 v37, 0x400000, v35
	v_cmp_u_f32_e32 vcc_lo, v35, v35
	v_add3_u32 v36, v36, v35, 0x7fff
	v_cndmask_b32_e32 v35, v36, v37, vcc_lo
	v_lshlrev_b32_e32 v36, 16, v72
	v_and_b32_e32 v5, 0xffff0000, v35
	v_mul_f32_e32 v36, v0, v36
	v_add_f32_e32 v5, v5, v16
	v_bfe_u32 v37, v36, 16, 1
	v_or_b32_e32 v42, 0x400000, v36
	v_cmp_u_f32_e32 vcc_lo, v36, v36
	v_add_f32_e32 v4, v4, v5
	v_add3_u32 v37, v37, v36, 0x7fff
	v_cndmask_b32_e32 v36, v37, v42, vcc_lo
	v_lshlrev_b32_e32 v37, 16, v46
	v_and_b32_e32 v16, 0xffff0000, v36
	v_mul_f32_e32 v37, v2, v37
	v_bfe_u32 v42, v37, 16, 1
	v_or_b32_e32 v43, 0x400000, v37
	v_cmp_u_f32_e32 vcc_lo, v37, v37
	v_add3_u32 v42, v42, v37, 0x7fff
	v_cndmask_b32_e32 v37, v42, v43, vcc_lo
	v_and_b32_e32 v5, 0xffff0000, v37
	v_add_f32_e32 v5, v5, v16
	v_add_f32_e32 v4, v4, v5
	;; [unrolled: 1-line block ×3, first 2 shown]
	v_lshlrev_b32_e32 v4, 16, v71
	v_mul_f32_e32 v4, v8, v4
	v_bfe_u32 v5, v4, 16, 1
	v_or_b32_e32 v16, 0x400000, v4
	v_cmp_u_f32_e32 vcc_lo, v4, v4
	v_add3_u32 v5, v5, v4, 0x7fff
	v_cndmask_b32_e32 v4, v5, v16, vcc_lo
	v_lshlrev_b32_e32 v5, 16, v80
	v_and_b32_e32 v4, 0xffff0000, v4
	v_mul_f32_e32 v5, v9, v5
	v_bfe_u32 v16, v5, 16, 1
	v_or_b32_e32 v22, 0x400000, v5
	v_cmp_u_f32_e32 vcc_lo, v5, v5
	v_add3_u32 v16, v16, v5, 0x7fff
	v_cndmask_b32_e32 v5, v16, v22, vcc_lo
	v_lshlrev_b32_e32 v16, 16, v119
	v_and_b32_e32 v5, 0xffff0000, v5
	v_mul_f32_e32 v16, v3, v16
	v_add_f32_e32 v4, v5, v4
	v_bfe_u32 v22, v16, 16, 1
	v_or_b32_e32 v34, 0x400000, v16
	v_cmp_u_f32_e32 vcc_lo, v16, v16
	v_add3_u32 v22, v22, v16, 0x7fff
	v_cndmask_b32_e32 v16, v22, v34, vcc_lo
	v_lshlrev_b32_e32 v22, 16, v40
	v_and_b32_e32 v16, 0xffff0000, v16
	v_mul_f32_e32 v22, v7, v22
	v_bfe_u32 v34, v22, 16, 1
	v_or_b32_e32 v35, 0x400000, v22
	v_cmp_u_f32_e32 vcc_lo, v22, v22
	v_add3_u32 v34, v34, v22, 0x7fff
	v_cndmask_b32_e32 v22, v34, v35, vcc_lo
	v_lshlrev_b32_e32 v34, 16, v117
	v_and_b32_e32 v5, 0xffff0000, v22
	v_mul_f32_e32 v34, v1, v34
	v_add_f32_e32 v5, v5, v16
	v_bfe_u32 v35, v34, 16, 1
	v_or_b32_e32 v36, 0x400000, v34
	v_cmp_u_f32_e32 vcc_lo, v34, v34
	v_add_f32_e32 v4, v4, v5
	v_add3_u32 v35, v35, v34, 0x7fff
	v_cndmask_b32_e32 v34, v35, v36, vcc_lo
	v_lshlrev_b32_e32 v35, 16, v118
	v_and_b32_e32 v16, 0xffff0000, v34
	v_mul_f32_e32 v35, v6, v35
	v_bfe_u32 v36, v35, 16, 1
	v_or_b32_e32 v37, 0x400000, v35
	v_cmp_u_f32_e32 vcc_lo, v35, v35
	v_add3_u32 v36, v36, v35, 0x7fff
	v_cndmask_b32_e32 v35, v36, v37, vcc_lo
	v_lshlrev_b32_e32 v36, 16, v41
	v_and_b32_e32 v5, 0xffff0000, v35
	v_mul_f32_e32 v36, v0, v36
	v_add_f32_e32 v5, v5, v16
	v_bfe_u32 v37, v36, 16, 1
	v_or_b32_e32 v71, 0x400000, v36
	v_cmp_u_f32_e32 vcc_lo, v36, v36
	v_add_f32_e32 v4, v4, v5
	v_add3_u32 v37, v37, v36, 0x7fff
	v_cndmask_b32_e32 v36, v37, v71, vcc_lo
	v_lshlrev_b32_e32 v37, 16, v69
	v_and_b32_e32 v16, 0xffff0000, v36
	v_mul_f32_e32 v37, v2, v37
	v_bfe_u32 v69, v37, 16, 1
	v_or_b32_e32 v71, 0x400000, v37
	v_cmp_u_f32_e32 vcc_lo, v37, v37
	v_add3_u32 v69, v69, v37, 0x7fff
	v_cndmask_b32_e32 v37, v69, v71, vcc_lo
	v_and_b32_e32 v5, 0xffff0000, v37
	v_add_f32_e32 v5, v5, v16
	v_add_f32_e32 v4, v4, v5
	;; [unrolled: 1-line block ×3, first 2 shown]
	v_lshlrev_b32_e32 v4, 16, v113
	v_mul_f32_e32 v4, v8, v4
	v_bfe_u32 v5, v4, 16, 1
	v_or_b32_e32 v16, 0x400000, v4
	v_cmp_u_f32_e32 vcc_lo, v4, v4
	v_add3_u32 v5, v5, v4, 0x7fff
	v_cndmask_b32_e32 v4, v5, v16, vcc_lo
	v_lshlrev_b32_e32 v5, 16, v114
	v_and_b32_e32 v4, 0xffff0000, v4
	v_mul_f32_e32 v5, v9, v5
	v_bfe_u32 v16, v5, 16, 1
	v_or_b32_e32 v22, 0x400000, v5
	v_cmp_u_f32_e32 vcc_lo, v5, v5
	v_add3_u32 v16, v16, v5, 0x7fff
	v_cndmask_b32_e32 v5, v16, v22, vcc_lo
	v_lshlrev_b32_e32 v16, 16, v102
	v_and_b32_e32 v5, 0xffff0000, v5
	v_mul_f32_e32 v16, v3, v16
	v_add_f32_e32 v4, v5, v4
	v_bfe_u32 v22, v16, 16, 1
	v_or_b32_e32 v34, 0x400000, v16
	v_cmp_u_f32_e32 vcc_lo, v16, v16
	v_add3_u32 v22, v22, v16, 0x7fff
	v_cndmask_b32_e32 v16, v22, v34, vcc_lo
	v_lshlrev_b32_e32 v22, 16, v103
	v_and_b32_e32 v16, 0xffff0000, v16
	v_mul_f32_e32 v22, v7, v22
	v_bfe_u32 v34, v22, 16, 1
	v_or_b32_e32 v35, 0x400000, v22
	v_cmp_u_f32_e32 vcc_lo, v22, v22
	v_add3_u32 v34, v34, v22, 0x7fff
	v_cndmask_b32_e32 v22, v34, v35, vcc_lo
	v_lshlrev_b32_e32 v34, 16, v100
	v_and_b32_e32 v5, 0xffff0000, v22
	v_mul_f32_e32 v34, v1, v34
	v_add_f32_e32 v5, v5, v16
	v_bfe_u32 v35, v34, 16, 1
	v_or_b32_e32 v36, 0x400000, v34
	v_cmp_u_f32_e32 vcc_lo, v34, v34
	v_add_f32_e32 v4, v4, v5
	v_add3_u32 v35, v35, v34, 0x7fff
	v_cndmask_b32_e32 v34, v35, v36, vcc_lo
	v_lshlrev_b32_e32 v35, 16, v101
	v_and_b32_e32 v16, 0xffff0000, v34
	v_mul_f32_e32 v35, v6, v35
	v_bfe_u32 v36, v35, 16, 1
	v_or_b32_e32 v37, 0x400000, v35
	v_cmp_u_f32_e32 vcc_lo, v35, v35
	v_add3_u32 v36, v36, v35, 0x7fff
	v_cndmask_b32_e32 v35, v36, v37, vcc_lo
	v_lshlrev_b32_e32 v36, 16, v115
	v_and_b32_e32 v5, 0xffff0000, v35
	v_mul_f32_e32 v36, v0, v36
	v_add_f32_e32 v5, v5, v16
	v_bfe_u32 v37, v36, 16, 1
	v_or_b32_e32 v69, 0x400000, v36
	v_cmp_u_f32_e32 vcc_lo, v36, v36
	v_add_f32_e32 v4, v4, v5
	v_add3_u32 v37, v37, v36, 0x7fff
	v_cndmask_b32_e32 v36, v37, v69, vcc_lo
	v_lshlrev_b32_e32 v37, 16, v112
	v_and_b32_e32 v16, 0xffff0000, v36
	v_mul_f32_e32 v37, v2, v37
	v_bfe_u32 v69, v37, 16, 1
	v_or_b32_e32 v71, 0x400000, v37
	v_cmp_u_f32_e32 vcc_lo, v37, v37
	v_add3_u32 v69, v69, v37, 0x7fff
	v_cndmask_b32_e32 v37, v69, v71, vcc_lo
	v_and_b32_e32 v5, 0xffff0000, v37
	v_add_f32_e32 v5, v5, v16
	v_add_f32_e32 v4, v4, v5
	;; [unrolled: 1-line block ×3, first 2 shown]
	v_lshlrev_b32_e32 v4, 16, v97
	v_mul_f32_e32 v4, v8, v4
	v_bfe_u32 v5, v4, 16, 1
	v_or_b32_e32 v16, 0x400000, v4
	v_cmp_u_f32_e32 vcc_lo, v4, v4
	v_add3_u32 v5, v5, v4, 0x7fff
	v_cndmask_b32_e32 v4, v5, v16, vcc_lo
	v_lshlrev_b32_e32 v5, 16, v98
	v_and_b32_e32 v4, 0xffff0000, v4
	v_mul_f32_e32 v5, v9, v5
	v_bfe_u32 v16, v5, 16, 1
	v_or_b32_e32 v22, 0x400000, v5
	v_cmp_u_f32_e32 vcc_lo, v5, v5
	v_add3_u32 v16, v16, v5, 0x7fff
	v_cndmask_b32_e32 v5, v16, v22, vcc_lo
	v_lshlrev_b32_e32 v16, 16, v86
	v_and_b32_e32 v5, 0xffff0000, v5
	v_mul_f32_e32 v16, v3, v16
	v_add_f32_e32 v4, v5, v4
	v_bfe_u32 v22, v16, 16, 1
	v_or_b32_e32 v34, 0x400000, v16
	v_cmp_u_f32_e32 vcc_lo, v16, v16
	v_add3_u32 v22, v22, v16, 0x7fff
	v_cndmask_b32_e32 v16, v22, v34, vcc_lo
	v_lshlrev_b32_e32 v22, 16, v87
	v_and_b32_e32 v16, 0xffff0000, v16
	v_mul_f32_e32 v22, v7, v22
	v_bfe_u32 v34, v22, 16, 1
	v_or_b32_e32 v35, 0x400000, v22
	v_cmp_u_f32_e32 vcc_lo, v22, v22
	v_add3_u32 v34, v34, v22, 0x7fff
	v_cndmask_b32_e32 v22, v34, v35, vcc_lo
	v_lshlrev_b32_e32 v34, 16, v84
	v_and_b32_e32 v5, 0xffff0000, v22
	v_mul_f32_e32 v34, v1, v34
	v_add_f32_e32 v5, v5, v16
	v_bfe_u32 v35, v34, 16, 1
	v_or_b32_e32 v36, 0x400000, v34
	v_cmp_u_f32_e32 vcc_lo, v34, v34
	v_add_f32_e32 v4, v4, v5
	v_add3_u32 v35, v35, v34, 0x7fff
	v_cndmask_b32_e32 v34, v35, v36, vcc_lo
	v_lshlrev_b32_e32 v35, 16, v85
	v_and_b32_e32 v16, 0xffff0000, v34
	v_mul_f32_e32 v35, v6, v35
	v_bfe_u32 v36, v35, 16, 1
	v_or_b32_e32 v37, 0x400000, v35
	v_cmp_u_f32_e32 vcc_lo, v35, v35
	v_add3_u32 v36, v36, v35, 0x7fff
	v_cndmask_b32_e32 v35, v36, v37, vcc_lo
	v_lshlrev_b32_e32 v36, 16, v99
	v_and_b32_e32 v5, 0xffff0000, v35
	v_mul_f32_e32 v36, v0, v36
	v_add_f32_e32 v5, v5, v16
	v_bfe_u32 v37, v36, 16, 1
	v_or_b32_e32 v69, 0x400000, v36
	v_cmp_u_f32_e32 vcc_lo, v36, v36
	v_add_f32_e32 v4, v4, v5
	v_add3_u32 v37, v37, v36, 0x7fff
	v_cndmask_b32_e32 v36, v37, v69, vcc_lo
	v_lshlrev_b32_e32 v37, 16, v96
	v_and_b32_e32 v16, 0xffff0000, v36
	v_mul_f32_e32 v37, v2, v37
	v_bfe_u32 v69, v37, 16, 1
	v_or_b32_e32 v71, 0x400000, v37
	v_cmp_u_f32_e32 vcc_lo, v37, v37
	v_add3_u32 v69, v69, v37, 0x7fff
	v_cndmask_b32_e32 v37, v69, v71, vcc_lo
	v_and_b32_e32 v5, 0xffff0000, v37
	v_add_f32_e32 v5, v5, v16
	v_add_f32_e32 v4, v4, v5
	;; [unrolled: 1-line block ×3, first 2 shown]
	v_lshlrev_b32_e32 v4, 16, v81
	v_mul_f32_e32 v4, v8, v4
	v_bfe_u32 v5, v4, 16, 1
	v_or_b32_e32 v16, 0x400000, v4
	v_cmp_u_f32_e32 vcc_lo, v4, v4
	v_add3_u32 v5, v5, v4, 0x7fff
	v_cndmask_b32_e32 v4, v5, v16, vcc_lo
	v_lshlrev_b32_e32 v5, 16, v82
	v_and_b32_e32 v4, 0xffff0000, v4
	v_mul_f32_e32 v5, v9, v5
	v_bfe_u32 v16, v5, 16, 1
	v_or_b32_e32 v22, 0x400000, v5
	v_cmp_u_f32_e32 vcc_lo, v5, v5
	v_add3_u32 v16, v16, v5, 0x7fff
	v_cndmask_b32_e32 v5, v16, v22, vcc_lo
	v_bfe_u32 v16, v12, 16, 1
	v_or_b32_e32 v22, 0x400000, v12
	v_cmp_u_f32_e32 vcc_lo, v12, v12
	v_and_b32_e32 v5, 0xffff0000, v5
	v_add3_u32 v16, v16, v12, 0x7fff
	v_add_f32_e32 v4, v5, v4
	v_cndmask_b32_e32 v12, v16, v22, vcc_lo
	v_bfe_u32 v16, v13, 16, 1
	v_or_b32_e32 v22, 0x400000, v13
	v_cmp_u_f32_e32 vcc_lo, v13, v13
	v_and_b32_e32 v12, 0xffff0000, v12
	v_add3_u32 v16, v16, v13, 0x7fff
	v_cndmask_b32_e32 v13, v16, v22, vcc_lo
	v_lshlrev_b32_e32 v16, 16, v21
	v_and_b32_e32 v5, 0xffff0000, v13
	v_mul_f32_e32 v16, v1, v16
	v_add_f32_e32 v5, v5, v12
	v_bfe_u32 v21, v16, 16, 1
	v_or_b32_e32 v22, 0x400000, v16
	v_cmp_u_f32_e32 vcc_lo, v16, v16
	v_add_f32_e32 v4, v4, v5
	v_add3_u32 v21, v21, v16, 0x7fff
	v_cndmask_b32_e32 v16, v21, v22, vcc_lo
	v_lshlrev_b32_e32 v21, 16, v27
	v_and_b32_e32 v12, 0xffff0000, v16
	v_mul_f32_e32 v21, v6, v21
	v_bfe_u32 v22, v21, 16, 1
	v_or_b32_e32 v27, 0x400000, v21
	v_cmp_u_f32_e32 vcc_lo, v21, v21
	v_add3_u32 v22, v22, v21, 0x7fff
	v_cndmask_b32_e32 v21, v22, v27, vcc_lo
	v_lshlrev_b32_e32 v22, 16, v83
	v_and_b32_e32 v5, 0xffff0000, v21
	v_mul_f32_e32 v22, v0, v22
	v_add_f32_e32 v5, v5, v12
	v_bfe_u32 v27, v22, 16, 1
	v_or_b32_e32 v34, 0x400000, v22
	v_cmp_u_f32_e32 vcc_lo, v22, v22
	v_add_f32_e32 v4, v4, v5
	v_add3_u32 v27, v27, v22, 0x7fff
	v_cndmask_b32_e32 v22, v27, v34, vcc_lo
	v_bfe_u32 v27, v25, 16, 1
	v_or_b32_e32 v34, 0x400000, v25
	v_cmp_u_f32_e32 vcc_lo, v25, v25
	v_and_b32_e32 v12, 0xffff0000, v22
	v_add3_u32 v27, v27, v25, 0x7fff
	v_cndmask_b32_e32 v25, v27, v34, vcc_lo
	v_and_b32_e32 v5, 0xffff0000, v25
	v_add_f32_e32 v5, v5, v12
	v_add_f32_e32 v4, v4, v5
	v_add_f32_e32 v48, v48, v4
	v_lshlrev_b32_e32 v4, 16, v125
	v_mul_f32_e32 v4, v8, v4
	v_bfe_u32 v5, v4, 16, 1
	v_or_b32_e32 v12, 0x400000, v4
	v_cmp_u_f32_e32 vcc_lo, v4, v4
	v_add3_u32 v5, v5, v4, 0x7fff
	v_cndmask_b32_e32 v4, v5, v12, vcc_lo
	v_lshlrev_b32_e32 v5, 16, v126
	v_and_b32_e32 v4, 0xffff0000, v4
	v_mul_f32_e32 v5, v9, v5
	v_bfe_u32 v12, v5, 16, 1
	v_or_b32_e32 v13, 0x400000, v5
	v_cmp_u_f32_e32 vcc_lo, v5, v5
	v_add3_u32 v12, v12, v5, 0x7fff
	v_cndmask_b32_e32 v5, v12, v13, vcc_lo
	v_lshlrev_b32_e32 v12, 16, v122
	v_and_b32_e32 v5, 0xffff0000, v5
	v_mul_f32_e32 v12, v3, v12
	v_add_f32_e32 v4, v5, v4
	v_bfe_u32 v13, v12, 16, 1
	v_or_b32_e32 v16, 0x400000, v12
	v_cmp_u_f32_e32 vcc_lo, v12, v12
	v_add3_u32 v13, v13, v12, 0x7fff
	v_cndmask_b32_e32 v12, v13, v16, vcc_lo
	v_lshlrev_b32_e32 v13, 16, v123
	v_and_b32_e32 v12, 0xffff0000, v12
	v_mul_f32_e32 v13, v7, v13
	v_bfe_u32 v16, v13, 16, 1
	v_or_b32_e32 v21, 0x400000, v13
	v_cmp_u_f32_e32 vcc_lo, v13, v13
	v_add3_u32 v16, v16, v13, 0x7fff
	v_cndmask_b32_e32 v13, v16, v21, vcc_lo
	v_lshlrev_b32_e32 v16, 16, v120
	v_and_b32_e32 v5, 0xffff0000, v13
	v_mul_f32_e32 v16, v1, v16
	v_add_f32_e32 v5, v5, v12
	v_bfe_u32 v21, v16, 16, 1
	v_or_b32_e32 v22, 0x400000, v16
	v_cmp_u_f32_e32 vcc_lo, v16, v16
	v_add_f32_e32 v4, v4, v5
	v_add3_u32 v21, v21, v16, 0x7fff
	v_cndmask_b32_e32 v16, v21, v22, vcc_lo
	v_lshlrev_b32_e32 v21, 16, v121
	v_and_b32_e32 v12, 0xffff0000, v16
	v_mul_f32_e32 v21, v6, v21
	v_bfe_u32 v22, v21, 16, 1
	v_or_b32_e32 v25, 0x400000, v21
	v_cmp_u_f32_e32 vcc_lo, v21, v21
	v_add3_u32 v22, v22, v21, 0x7fff
	v_cndmask_b32_e32 v21, v22, v25, vcc_lo
	v_lshlrev_b32_e32 v22, 16, v127
	v_and_b32_e32 v5, 0xffff0000, v21
	v_mul_f32_e32 v22, v0, v22
	v_add_f32_e32 v5, v5, v12
	v_bfe_u32 v25, v22, 16, 1
	v_or_b32_e32 v27, 0x400000, v22
	v_cmp_u_f32_e32 vcc_lo, v22, v22
	v_add_f32_e32 v4, v4, v5
	v_add3_u32 v25, v25, v22, 0x7fff
	v_cndmask_b32_e32 v22, v25, v27, vcc_lo
	v_lshlrev_b32_e32 v25, 16, v124
	v_and_b32_e32 v12, 0xffff0000, v22
	v_mul_f32_e32 v25, v2, v25
	v_bfe_u32 v27, v25, 16, 1
	v_or_b32_e32 v34, 0x400000, v25
	v_cmp_u_f32_e32 vcc_lo, v25, v25
	v_add3_u32 v27, v27, v25, 0x7fff
	v_cndmask_b32_e32 v25, v27, v34, vcc_lo
	v_and_b32_e32 v5, 0xffff0000, v25
	v_add_f32_e32 v5, v5, v12
	v_add_f32_e32 v4, v4, v5
	;; [unrolled: 1-line block ×3, first 2 shown]
	v_lshlrev_b32_e32 v4, 16, v109
	v_mul_f32_e32 v4, v8, v4
	v_bfe_u32 v5, v4, 16, 1
	v_or_b32_e32 v12, 0x400000, v4
	v_cmp_u_f32_e32 vcc_lo, v4, v4
	v_add3_u32 v5, v5, v4, 0x7fff
	v_cndmask_b32_e32 v4, v5, v12, vcc_lo
	v_lshlrev_b32_e32 v5, 16, v110
	v_and_b32_e32 v4, 0xffff0000, v4
	v_mul_f32_e32 v5, v9, v5
	v_bfe_u32 v12, v5, 16, 1
	v_or_b32_e32 v13, 0x400000, v5
	v_cmp_u_f32_e32 vcc_lo, v5, v5
	v_add3_u32 v12, v12, v5, 0x7fff
	v_cndmask_b32_e32 v5, v12, v13, vcc_lo
	v_lshlrev_b32_e32 v12, 16, v106
	v_and_b32_e32 v5, 0xffff0000, v5
	v_mul_f32_e32 v12, v3, v12
	v_add_f32_e32 v4, v5, v4
	v_bfe_u32 v13, v12, 16, 1
	v_or_b32_e32 v16, 0x400000, v12
	v_cmp_u_f32_e32 vcc_lo, v12, v12
	v_add3_u32 v13, v13, v12, 0x7fff
	v_cndmask_b32_e32 v12, v13, v16, vcc_lo
	v_lshlrev_b32_e32 v13, 16, v107
	v_and_b32_e32 v12, 0xffff0000, v12
	v_mul_f32_e32 v13, v7, v13
	v_bfe_u32 v16, v13, 16, 1
	v_or_b32_e32 v21, 0x400000, v13
	v_cmp_u_f32_e32 vcc_lo, v13, v13
	v_add3_u32 v16, v16, v13, 0x7fff
	v_cndmask_b32_e32 v13, v16, v21, vcc_lo
	v_lshlrev_b32_e32 v16, 16, v104
	v_and_b32_e32 v5, 0xffff0000, v13
	v_mul_f32_e32 v16, v1, v16
	v_add_f32_e32 v5, v5, v12
	v_bfe_u32 v21, v16, 16, 1
	v_or_b32_e32 v22, 0x400000, v16
	v_cmp_u_f32_e32 vcc_lo, v16, v16
	v_add_f32_e32 v4, v4, v5
	v_add3_u32 v21, v21, v16, 0x7fff
	v_cndmask_b32_e32 v16, v21, v22, vcc_lo
	v_lshlrev_b32_e32 v21, 16, v105
	v_and_b32_e32 v12, 0xffff0000, v16
	v_mul_f32_e32 v21, v6, v21
	v_bfe_u32 v22, v21, 16, 1
	v_or_b32_e32 v25, 0x400000, v21
	v_cmp_u_f32_e32 vcc_lo, v21, v21
	v_add3_u32 v22, v22, v21, 0x7fff
	v_cndmask_b32_e32 v21, v22, v25, vcc_lo
	v_lshlrev_b32_e32 v22, 16, v111
	v_and_b32_e32 v5, 0xffff0000, v21
	v_mul_f32_e32 v22, v0, v22
	v_add_f32_e32 v5, v5, v12
	v_bfe_u32 v25, v22, 16, 1
	v_or_b32_e32 v27, 0x400000, v22
	v_cmp_u_f32_e32 vcc_lo, v22, v22
	v_add_f32_e32 v4, v4, v5
	v_add3_u32 v25, v25, v22, 0x7fff
	v_cndmask_b32_e32 v22, v25, v27, vcc_lo
	v_lshlrev_b32_e32 v25, 16, v108
	v_and_b32_e32 v12, 0xffff0000, v22
	v_mul_f32_e32 v25, v2, v25
	v_bfe_u32 v27, v25, 16, 1
	v_or_b32_e32 v34, 0x400000, v25
	v_cmp_u_f32_e32 vcc_lo, v25, v25
	v_add3_u32 v27, v27, v25, 0x7fff
	v_cndmask_b32_e32 v25, v27, v34, vcc_lo
	v_and_b32_e32 v5, 0xffff0000, v25
	v_add_f32_e32 v5, v5, v12
	v_add_f32_e32 v4, v4, v5
	;; [unrolled: 1-line block ×3, first 2 shown]
	v_lshlrev_b32_e32 v4, 16, v95
	v_mul_f32_e32 v4, v8, v4
	v_bfe_u32 v5, v4, 16, 1
	v_or_b32_e32 v12, 0x400000, v4
	v_cmp_u_f32_e32 vcc_lo, v4, v4
	v_add3_u32 v5, v5, v4, 0x7fff
	v_cndmask_b32_e32 v4, v5, v12, vcc_lo
	v_lshlrev_b32_e32 v5, 16, v94
	v_and_b32_e32 v4, 0xffff0000, v4
	v_mul_f32_e32 v5, v9, v5
	v_bfe_u32 v12, v5, 16, 1
	v_or_b32_e32 v13, 0x400000, v5
	v_cmp_u_f32_e32 vcc_lo, v5, v5
	v_add3_u32 v12, v12, v5, 0x7fff
	v_cndmask_b32_e32 v5, v12, v13, vcc_lo
	v_lshlrev_b32_e32 v12, 16, v92
	v_and_b32_e32 v5, 0xffff0000, v5
	v_mul_f32_e32 v12, v3, v12
	v_add_f32_e32 v4, v5, v4
	v_bfe_u32 v13, v12, 16, 1
	v_or_b32_e32 v16, 0x400000, v12
	v_cmp_u_f32_e32 vcc_lo, v12, v12
	v_add3_u32 v13, v13, v12, 0x7fff
	v_cndmask_b32_e32 v12, v13, v16, vcc_lo
	v_lshlrev_b32_e32 v13, 16, v93
	v_and_b32_e32 v12, 0xffff0000, v12
	v_mul_f32_e32 v13, v7, v13
	v_bfe_u32 v16, v13, 16, 1
	v_or_b32_e32 v21, 0x400000, v13
	v_cmp_u_f32_e32 vcc_lo, v13, v13
	v_add3_u32 v16, v16, v13, 0x7fff
	v_cndmask_b32_e32 v13, v16, v21, vcc_lo
	v_lshlrev_b32_e32 v16, 16, v89
	v_and_b32_e32 v5, 0xffff0000, v13
	v_mul_f32_e32 v16, v1, v16
	v_add_f32_e32 v5, v5, v12
	v_bfe_u32 v21, v16, 16, 1
	v_or_b32_e32 v22, 0x400000, v16
	v_cmp_u_f32_e32 vcc_lo, v16, v16
	v_add_f32_e32 v4, v4, v5
	v_add3_u32 v21, v21, v16, 0x7fff
	v_cndmask_b32_e32 v16, v21, v22, vcc_lo
	v_lshlrev_b32_e32 v21, 16, v88
	v_and_b32_e32 v12, 0xffff0000, v16
	v_mul_f32_e32 v21, v6, v21
	v_bfe_u32 v22, v21, 16, 1
	v_or_b32_e32 v25, 0x400000, v21
	v_cmp_u_f32_e32 vcc_lo, v21, v21
	v_add3_u32 v22, v22, v21, 0x7fff
	v_cndmask_b32_e32 v21, v22, v25, vcc_lo
	v_lshlrev_b32_e32 v22, 16, v91
	v_and_b32_e32 v5, 0xffff0000, v21
	v_mul_f32_e32 v22, v0, v22
	v_add_f32_e32 v5, v5, v12
	v_bfe_u32 v25, v22, 16, 1
	v_or_b32_e32 v27, 0x400000, v22
	v_cmp_u_f32_e32 vcc_lo, v22, v22
	v_add_f32_e32 v4, v4, v5
	v_add3_u32 v25, v25, v22, 0x7fff
	v_cndmask_b32_e32 v22, v25, v27, vcc_lo
	v_lshlrev_b32_e32 v25, 16, v90
	v_and_b32_e32 v12, 0xffff0000, v22
	v_mul_f32_e32 v25, v2, v25
	v_bfe_u32 v27, v25, 16, 1
	v_or_b32_e32 v34, 0x400000, v25
	v_cmp_u_f32_e32 vcc_lo, v25, v25
	v_add3_u32 v27, v27, v25, 0x7fff
	v_cndmask_b32_e32 v25, v27, v34, vcc_lo
	v_and_b32_e32 v5, 0xffff0000, v25
	v_add_f32_e32 v5, v5, v12
	v_add_f32_e32 v4, v4, v5
	;; [unrolled: 1-line block ×3, first 2 shown]
	buffer_load_dword v4, off, s[0:3], s32 offset:392 ; 4-byte Folded Reload
	s_waitcnt vmcnt(0)
	v_lshlrev_b32_e32 v4, 16, v4
	v_mul_f32_e32 v4, v8, v4
	v_bfe_u32 v5, v4, 16, 1
	v_or_b32_e32 v12, 0x400000, v4
	v_cmp_u_f32_e32 vcc_lo, v4, v4
	v_add3_u32 v5, v5, v4, 0x7fff
	v_cndmask_b32_e32 v4, v5, v12, vcc_lo
	buffer_load_dword v5, off, s[0:3], s32 offset:388 ; 4-byte Folded Reload
	v_and_b32_e32 v4, 0xffff0000, v4
	s_waitcnt vmcnt(0)
	v_lshlrev_b32_e32 v5, 16, v5
	v_mul_f32_e32 v5, v9, v5
	v_bfe_u32 v12, v5, 16, 1
	v_or_b32_e32 v13, 0x400000, v5
	v_cmp_u_f32_e32 vcc_lo, v5, v5
	v_add3_u32 v12, v12, v5, 0x7fff
	v_cndmask_b32_e32 v5, v12, v13, vcc_lo
	buffer_load_dword v12, off, s[0:3], s32 offset:380 ; 4-byte Folded Reload
	v_and_b32_e32 v5, 0xffff0000, v5
	v_add_f32_e32 v4, v5, v4
	s_waitcnt vmcnt(0)
	v_lshlrev_b32_e32 v12, 16, v12
	v_mul_f32_e32 v12, v3, v12
	v_bfe_u32 v13, v12, 16, 1
	v_or_b32_e32 v16, 0x400000, v12
	v_cmp_u_f32_e32 vcc_lo, v12, v12
	v_add3_u32 v13, v13, v12, 0x7fff
	v_cndmask_b32_e32 v12, v13, v16, vcc_lo
	buffer_load_dword v13, off, s[0:3], s32 offset:384 ; 4-byte Folded Reload
	v_and_b32_e32 v12, 0xffff0000, v12
	s_waitcnt vmcnt(0)
	v_lshlrev_b32_e32 v13, 16, v13
	v_mul_f32_e32 v13, v7, v13
	v_bfe_u32 v16, v13, 16, 1
	v_or_b32_e32 v21, 0x400000, v13
	v_cmp_u_f32_e32 vcc_lo, v13, v13
	v_add3_u32 v16, v16, v13, 0x7fff
	v_cndmask_b32_e32 v13, v16, v21, vcc_lo
	buffer_load_dword v16, off, s[0:3], s32 offset:368 ; 4-byte Folded Reload
	v_and_b32_e32 v5, 0xffff0000, v13
	v_add_f32_e32 v5, v5, v12
	v_add_f32_e32 v4, v4, v5
	s_waitcnt vmcnt(0)
	v_lshlrev_b32_e32 v16, 16, v16
	v_mul_f32_e32 v16, v1, v16
	v_bfe_u32 v21, v16, 16, 1
	v_or_b32_e32 v22, 0x400000, v16
	v_cmp_u_f32_e32 vcc_lo, v16, v16
	v_add3_u32 v21, v21, v16, 0x7fff
	v_cndmask_b32_e32 v16, v21, v22, vcc_lo
	buffer_load_dword v21, off, s[0:3], s32 offset:364 ; 4-byte Folded Reload
	v_and_b32_e32 v12, 0xffff0000, v16
	s_waitcnt vmcnt(0)
	v_lshlrev_b32_e32 v21, 16, v21
	v_mul_f32_e32 v21, v6, v21
	v_bfe_u32 v22, v21, 16, 1
	v_or_b32_e32 v25, 0x400000, v21
	v_cmp_u_f32_e32 vcc_lo, v21, v21
	v_add3_u32 v22, v22, v21, 0x7fff
	v_cndmask_b32_e32 v21, v22, v25, vcc_lo
	buffer_load_dword v22, off, s[0:3], s32 offset:376 ; 4-byte Folded Reload
	v_and_b32_e32 v5, 0xffff0000, v21
	v_add_f32_e32 v5, v5, v12
	v_add_f32_e32 v4, v4, v5
	s_waitcnt vmcnt(0)
	v_lshlrev_b32_e32 v22, 16, v22
	v_mul_f32_e32 v22, v0, v22
	v_bfe_u32 v25, v22, 16, 1
	v_or_b32_e32 v27, 0x400000, v22
	v_cmp_u_f32_e32 vcc_lo, v22, v22
	v_add3_u32 v25, v25, v22, 0x7fff
	v_cndmask_b32_e32 v22, v25, v27, vcc_lo
	buffer_load_dword v25, off, s[0:3], s32 offset:372 ; 4-byte Folded Reload
	v_and_b32_e32 v12, 0xffff0000, v22
	s_waitcnt vmcnt(0)
	v_lshlrev_b32_e32 v25, 16, v25
	v_mul_f32_e32 v25, v2, v25
	v_bfe_u32 v27, v25, 16, 1
	v_or_b32_e32 v34, 0x400000, v25
	v_cmp_u_f32_e32 vcc_lo, v25, v25
	v_add3_u32 v27, v27, v25, 0x7fff
	v_cndmask_b32_e32 v25, v27, v34, vcc_lo
	v_and_b32_e32 v5, 0xffff0000, v25
	v_add_f32_e32 v5, v5, v12
	v_add_f32_e32 v4, v4, v5
	;; [unrolled: 1-line block ×3, first 2 shown]
	buffer_load_dword v4, off, s[0:3], s32 offset:360 ; 4-byte Folded Reload
	s_waitcnt vmcnt(0)
	v_lshlrev_b32_e32 v4, 16, v4
	v_mul_f32_e32 v4, v8, v4
	v_bfe_u32 v5, v4, 16, 1
	v_or_b32_e32 v12, 0x400000, v4
	v_cmp_u_f32_e32 vcc_lo, v4, v4
	v_add3_u32 v5, v5, v4, 0x7fff
	v_cndmask_b32_e32 v4, v5, v12, vcc_lo
	buffer_load_dword v5, off, s[0:3], s32 offset:356 ; 4-byte Folded Reload
	v_and_b32_e32 v4, 0xffff0000, v4
	s_waitcnt vmcnt(0)
	v_lshlrev_b32_e32 v5, 16, v5
	v_mul_f32_e32 v5, v9, v5
	v_bfe_u32 v12, v5, 16, 1
	v_or_b32_e32 v13, 0x400000, v5
	v_cmp_u_f32_e32 vcc_lo, v5, v5
	v_add3_u32 v12, v12, v5, 0x7fff
	v_cndmask_b32_e32 v5, v12, v13, vcc_lo
	buffer_load_dword v12, off, s[0:3], s32 offset:348 ; 4-byte Folded Reload
	v_and_b32_e32 v5, 0xffff0000, v5
	v_add_f32_e32 v4, v5, v4
	s_waitcnt vmcnt(0)
	v_lshlrev_b32_e32 v12, 16, v12
	v_mul_f32_e32 v12, v3, v12
	v_bfe_u32 v13, v12, 16, 1
	v_or_b32_e32 v16, 0x400000, v12
	v_cmp_u_f32_e32 vcc_lo, v12, v12
	v_add3_u32 v13, v13, v12, 0x7fff
	v_cndmask_b32_e32 v12, v13, v16, vcc_lo
	buffer_load_dword v13, off, s[0:3], s32 offset:352 ; 4-byte Folded Reload
	v_and_b32_e32 v12, 0xffff0000, v12
	s_waitcnt vmcnt(0)
	v_lshlrev_b32_e32 v13, 16, v13
	v_mul_f32_e32 v13, v7, v13
	v_bfe_u32 v16, v13, 16, 1
	v_or_b32_e32 v21, 0x400000, v13
	v_cmp_u_f32_e32 vcc_lo, v13, v13
	v_add3_u32 v16, v16, v13, 0x7fff
	v_cndmask_b32_e32 v13, v16, v21, vcc_lo
	buffer_load_dword v16, off, s[0:3], s32 offset:336 ; 4-byte Folded Reload
	v_and_b32_e32 v5, 0xffff0000, v13
	v_add_f32_e32 v5, v5, v12
	v_add_f32_e32 v4, v4, v5
	s_waitcnt vmcnt(0)
	v_lshlrev_b32_e32 v16, 16, v16
	v_mul_f32_e32 v16, v1, v16
	v_bfe_u32 v21, v16, 16, 1
	v_or_b32_e32 v22, 0x400000, v16
	v_cmp_u_f32_e32 vcc_lo, v16, v16
	v_add3_u32 v21, v21, v16, 0x7fff
	v_cndmask_b32_e32 v16, v21, v22, vcc_lo
	buffer_load_dword v21, off, s[0:3], s32 offset:332 ; 4-byte Folded Reload
	v_and_b32_e32 v12, 0xffff0000, v16
	s_waitcnt vmcnt(0)
	v_lshlrev_b32_e32 v21, 16, v21
	v_mul_f32_e32 v21, v6, v21
	v_bfe_u32 v22, v21, 16, 1
	v_or_b32_e32 v25, 0x400000, v21
	v_cmp_u_f32_e32 vcc_lo, v21, v21
	v_add3_u32 v22, v22, v21, 0x7fff
	v_cndmask_b32_e32 v21, v22, v25, vcc_lo
	buffer_load_dword v22, off, s[0:3], s32 offset:344 ; 4-byte Folded Reload
	v_and_b32_e32 v5, 0xffff0000, v21
	v_add_f32_e32 v5, v5, v12
	v_add_f32_e32 v4, v4, v5
	s_waitcnt vmcnt(0)
	v_lshlrev_b32_e32 v22, 16, v22
	v_mul_f32_e32 v22, v0, v22
	v_bfe_u32 v25, v22, 16, 1
	v_or_b32_e32 v27, 0x400000, v22
	v_cmp_u_f32_e32 vcc_lo, v22, v22
	v_add3_u32 v25, v25, v22, 0x7fff
	v_cndmask_b32_e32 v22, v25, v27, vcc_lo
	buffer_load_dword v25, off, s[0:3], s32 offset:340 ; 4-byte Folded Reload
	v_and_b32_e32 v12, 0xffff0000, v22
	s_waitcnt vmcnt(0)
	v_lshlrev_b32_e32 v25, 16, v25
	v_mul_f32_e32 v25, v2, v25
	v_bfe_u32 v27, v25, 16, 1
	v_or_b32_e32 v34, 0x400000, v25
	v_cmp_u_f32_e32 vcc_lo, v25, v25
	v_add3_u32 v27, v27, v25, 0x7fff
	v_cndmask_b32_e32 v25, v27, v34, vcc_lo
	v_and_b32_e32 v5, 0xffff0000, v25
	v_add_f32_e32 v5, v5, v12
	v_add_f32_e32 v4, v4, v5
	;; [unrolled: 1-line block ×3, first 2 shown]
	buffer_load_dword v4, off, s[0:3], s32 offset:328 ; 4-byte Folded Reload
	s_waitcnt vmcnt(0)
	v_lshlrev_b32_e32 v4, 16, v4
	v_mul_f32_e32 v4, v8, v4
	v_bfe_u32 v5, v4, 16, 1
	v_or_b32_e32 v12, 0x400000, v4
	v_cmp_u_f32_e32 vcc_lo, v4, v4
	v_add3_u32 v5, v5, v4, 0x7fff
	v_cndmask_b32_e32 v4, v5, v12, vcc_lo
	buffer_load_dword v5, off, s[0:3], s32 offset:324 ; 4-byte Folded Reload
	v_and_b32_e32 v4, 0xffff0000, v4
	s_waitcnt vmcnt(0)
	v_lshlrev_b32_e32 v5, 16, v5
	v_mul_f32_e32 v5, v9, v5
	v_bfe_u32 v12, v5, 16, 1
	v_or_b32_e32 v13, 0x400000, v5
	v_cmp_u_f32_e32 vcc_lo, v5, v5
	v_add3_u32 v12, v12, v5, 0x7fff
	v_cndmask_b32_e32 v5, v12, v13, vcc_lo
	buffer_load_dword v12, off, s[0:3], s32 offset:316 ; 4-byte Folded Reload
	v_and_b32_e32 v5, 0xffff0000, v5
	v_add_f32_e32 v4, v5, v4
	s_waitcnt vmcnt(0)
	v_lshlrev_b32_e32 v12, 16, v12
	v_mul_f32_e32 v12, v3, v12
	v_bfe_u32 v13, v12, 16, 1
	v_or_b32_e32 v16, 0x400000, v12
	v_cmp_u_f32_e32 vcc_lo, v12, v12
	v_add3_u32 v13, v13, v12, 0x7fff
	v_cndmask_b32_e32 v12, v13, v16, vcc_lo
	buffer_load_dword v13, off, s[0:3], s32 offset:320 ; 4-byte Folded Reload
	v_and_b32_e32 v12, 0xffff0000, v12
	s_waitcnt vmcnt(0)
	v_lshlrev_b32_e32 v13, 16, v13
	v_mul_f32_e32 v13, v7, v13
	v_bfe_u32 v16, v13, 16, 1
	v_or_b32_e32 v21, 0x400000, v13
	v_cmp_u_f32_e32 vcc_lo, v13, v13
	v_add3_u32 v16, v16, v13, 0x7fff
	v_cndmask_b32_e32 v13, v16, v21, vcc_lo
	buffer_load_dword v16, off, s[0:3], s32 offset:304 ; 4-byte Folded Reload
	v_and_b32_e32 v5, 0xffff0000, v13
	v_add_f32_e32 v5, v5, v12
	v_add_f32_e32 v4, v4, v5
	s_waitcnt vmcnt(0)
	v_lshlrev_b32_e32 v16, 16, v16
	v_mul_f32_e32 v16, v1, v16
	v_bfe_u32 v21, v16, 16, 1
	v_or_b32_e32 v22, 0x400000, v16
	v_cmp_u_f32_e32 vcc_lo, v16, v16
	v_add3_u32 v21, v21, v16, 0x7fff
	v_cndmask_b32_e32 v16, v21, v22, vcc_lo
	buffer_load_dword v21, off, s[0:3], s32 offset:300 ; 4-byte Folded Reload
	v_and_b32_e32 v12, 0xffff0000, v16
	s_waitcnt vmcnt(0)
	v_lshlrev_b32_e32 v21, 16, v21
	v_mul_f32_e32 v21, v6, v21
	v_bfe_u32 v22, v21, 16, 1
	v_or_b32_e32 v25, 0x400000, v21
	v_cmp_u_f32_e32 vcc_lo, v21, v21
	v_add3_u32 v22, v22, v21, 0x7fff
	v_cndmask_b32_e32 v21, v22, v25, vcc_lo
	buffer_load_dword v22, off, s[0:3], s32 offset:312 ; 4-byte Folded Reload
	v_and_b32_e32 v5, 0xffff0000, v21
	v_add_f32_e32 v5, v5, v12
	v_add_f32_e32 v4, v4, v5
	s_waitcnt vmcnt(0)
	v_lshlrev_b32_e32 v22, 16, v22
	v_mul_f32_e32 v22, v0, v22
	v_bfe_u32 v25, v22, 16, 1
	v_or_b32_e32 v27, 0x400000, v22
	v_cmp_u_f32_e32 vcc_lo, v22, v22
	v_add3_u32 v25, v25, v22, 0x7fff
	v_cndmask_b32_e32 v22, v25, v27, vcc_lo
	buffer_load_dword v25, off, s[0:3], s32 offset:296 ; 4-byte Folded Reload
	v_and_b32_e32 v12, 0xffff0000, v22
	s_waitcnt vmcnt(0)
	v_lshlrev_b32_e32 v25, 16, v25
	v_mul_f32_e32 v25, v2, v25
	v_bfe_u32 v27, v25, 16, 1
	v_or_b32_e32 v34, 0x400000, v25
	v_cmp_u_f32_e32 vcc_lo, v25, v25
	v_add3_u32 v27, v27, v25, 0x7fff
	v_cndmask_b32_e32 v25, v27, v34, vcc_lo
	v_and_b32_e32 v5, 0xffff0000, v25
	v_add_f32_e32 v5, v5, v12
	v_add_f32_e32 v4, v4, v5
	v_add_f32_e32 v54, v54, v4
	buffer_load_dword v4, off, s[0:3], s32 offset:292 ; 4-byte Folded Reload
	s_waitcnt vmcnt(0)
	v_lshlrev_b32_e32 v4, 16, v4
	v_mul_f32_e32 v4, v8, v4
	v_bfe_u32 v5, v4, 16, 1
	v_or_b32_e32 v12, 0x400000, v4
	v_cmp_u_f32_e32 vcc_lo, v4, v4
	v_add3_u32 v5, v5, v4, 0x7fff
	v_cndmask_b32_e32 v4, v5, v12, vcc_lo
	buffer_load_dword v5, off, s[0:3], s32 offset:288 ; 4-byte Folded Reload
	v_and_b32_e32 v4, 0xffff0000, v4
	s_waitcnt vmcnt(0)
	v_lshlrev_b32_e32 v5, 16, v5
	v_mul_f32_e32 v5, v9, v5
	v_bfe_u32 v12, v5, 16, 1
	v_or_b32_e32 v13, 0x400000, v5
	v_cmp_u_f32_e32 vcc_lo, v5, v5
	v_add3_u32 v12, v12, v5, 0x7fff
	v_cndmask_b32_e32 v5, v12, v13, vcc_lo
	buffer_load_dword v12, off, s[0:3], s32 offset:280 ; 4-byte Folded Reload
	v_and_b32_e32 v5, 0xffff0000, v5
	v_add_f32_e32 v4, v5, v4
	s_waitcnt vmcnt(0)
	v_lshlrev_b32_e32 v12, 16, v12
	v_mul_f32_e32 v12, v3, v12
	v_bfe_u32 v13, v12, 16, 1
	v_or_b32_e32 v16, 0x400000, v12
	v_cmp_u_f32_e32 vcc_lo, v12, v12
	v_add3_u32 v13, v13, v12, 0x7fff
	v_cndmask_b32_e32 v12, v13, v16, vcc_lo
	buffer_load_dword v13, off, s[0:3], s32 offset:284 ; 4-byte Folded Reload
	v_and_b32_e32 v12, 0xffff0000, v12
	s_waitcnt vmcnt(0)
	v_lshlrev_b32_e32 v13, 16, v13
	v_mul_f32_e32 v13, v7, v13
	v_bfe_u32 v16, v13, 16, 1
	v_or_b32_e32 v21, 0x400000, v13
	v_cmp_u_f32_e32 vcc_lo, v13, v13
	v_add3_u32 v16, v16, v13, 0x7fff
	v_cndmask_b32_e32 v13, v16, v21, vcc_lo
	buffer_load_dword v16, off, s[0:3], s32 offset:276 ; 4-byte Folded Reload
	v_and_b32_e32 v5, 0xffff0000, v13
	v_add_f32_e32 v5, v5, v12
	v_add_f32_e32 v4, v4, v5
	s_waitcnt vmcnt(0)
	v_lshlrev_b32_e32 v16, 16, v16
	v_mul_f32_e32 v16, v1, v16
	v_bfe_u32 v21, v16, 16, 1
	v_or_b32_e32 v22, 0x400000, v16
	v_cmp_u_f32_e32 vcc_lo, v16, v16
	v_add3_u32 v21, v21, v16, 0x7fff
	v_cndmask_b32_e32 v16, v21, v22, vcc_lo
	buffer_load_dword v21, off, s[0:3], s32 offset:268 ; 4-byte Folded Reload
	v_and_b32_e32 v12, 0xffff0000, v16
	s_waitcnt vmcnt(0)
	v_lshlrev_b32_e32 v21, 16, v21
	v_mul_f32_e32 v21, v6, v21
	v_bfe_u32 v22, v21, 16, 1
	v_or_b32_e32 v25, 0x400000, v21
	v_cmp_u_f32_e32 vcc_lo, v21, v21
	v_add3_u32 v22, v22, v21, 0x7fff
	v_cndmask_b32_e32 v21, v22, v25, vcc_lo
	buffer_load_dword v22, off, s[0:3], s32 offset:272 ; 4-byte Folded Reload
	v_and_b32_e32 v5, 0xffff0000, v21
	v_add_f32_e32 v5, v5, v12
	v_add_f32_e32 v4, v4, v5
	s_waitcnt vmcnt(0)
	v_lshlrev_b32_e32 v22, 16, v22
	v_mul_f32_e32 v22, v0, v22
	v_bfe_u32 v25, v22, 16, 1
	v_or_b32_e32 v27, 0x400000, v22
	v_cmp_u_f32_e32 vcc_lo, v22, v22
	v_add3_u32 v25, v25, v22, 0x7fff
	v_cndmask_b32_e32 v22, v25, v27, vcc_lo
	buffer_load_dword v25, off, s[0:3], s32 offset:264 ; 4-byte Folded Reload
	v_and_b32_e32 v12, 0xffff0000, v22
	s_waitcnt vmcnt(0)
	v_lshlrev_b32_e32 v25, 16, v25
	v_mul_f32_e32 v25, v2, v25
	v_bfe_u32 v27, v25, 16, 1
	v_or_b32_e32 v34, 0x400000, v25
	v_cmp_u_f32_e32 vcc_lo, v25, v25
	v_add3_u32 v27, v27, v25, 0x7fff
	v_cndmask_b32_e32 v25, v27, v34, vcc_lo
	v_and_b32_e32 v5, 0xffff0000, v25
	v_add_f32_e32 v5, v5, v12
	v_add_f32_e32 v4, v4, v5
	;; [unrolled: 1-line block ×3, first 2 shown]
	buffer_load_dword v4, off, s[0:3], s32 offset:260 ; 4-byte Folded Reload
	s_waitcnt vmcnt(0)
	v_lshlrev_b32_e32 v4, 16, v4
	v_mul_f32_e32 v4, v8, v4
	v_bfe_u32 v5, v4, 16, 1
	v_or_b32_e32 v12, 0x400000, v4
	v_cmp_u_f32_e32 vcc_lo, v4, v4
	v_add3_u32 v5, v5, v4, 0x7fff
	v_cndmask_b32_e32 v4, v5, v12, vcc_lo
	buffer_load_dword v5, off, s[0:3], s32 offset:256 ; 4-byte Folded Reload
	v_and_b32_e32 v4, 0xffff0000, v4
	s_waitcnt vmcnt(0)
	v_lshlrev_b32_e32 v5, 16, v5
	v_mul_f32_e32 v5, v9, v5
	v_bfe_u32 v12, v5, 16, 1
	v_or_b32_e32 v13, 0x400000, v5
	v_cmp_u_f32_e32 vcc_lo, v5, v5
	v_add3_u32 v12, v12, v5, 0x7fff
	v_cndmask_b32_e32 v5, v12, v13, vcc_lo
	buffer_load_dword v12, off, s[0:3], s32 offset:244 ; 4-byte Folded Reload
	v_and_b32_e32 v5, 0xffff0000, v5
	v_add_f32_e32 v4, v5, v4
	s_waitcnt vmcnt(0)
	v_lshlrev_b32_e32 v12, 16, v12
	v_mul_f32_e32 v12, v3, v12
	v_bfe_u32 v13, v12, 16, 1
	v_or_b32_e32 v16, 0x400000, v12
	v_cmp_u_f32_e32 vcc_lo, v12, v12
	v_add3_u32 v13, v13, v12, 0x7fff
	v_cndmask_b32_e32 v12, v13, v16, vcc_lo
	buffer_load_dword v13, off, s[0:3], s32 offset:248 ; 4-byte Folded Reload
	v_and_b32_e32 v12, 0xffff0000, v12
	s_waitcnt vmcnt(0)
	v_lshlrev_b32_e32 v13, 16, v13
	v_mul_f32_e32 v13, v7, v13
	v_bfe_u32 v16, v13, 16, 1
	v_or_b32_e32 v21, 0x400000, v13
	v_cmp_u_f32_e32 vcc_lo, v13, v13
	v_add3_u32 v16, v16, v13, 0x7fff
	v_cndmask_b32_e32 v13, v16, v21, vcc_lo
	buffer_load_dword v16, off, s[0:3], s32 offset:240 ; 4-byte Folded Reload
	v_and_b32_e32 v5, 0xffff0000, v13
	v_add_f32_e32 v5, v5, v12
	v_add_f32_e32 v4, v4, v5
	s_waitcnt vmcnt(0)
	v_lshlrev_b32_e32 v16, 16, v16
	v_mul_f32_e32 v16, v1, v16
	v_bfe_u32 v21, v16, 16, 1
	v_or_b32_e32 v22, 0x400000, v16
	v_cmp_u_f32_e32 vcc_lo, v16, v16
	v_add3_u32 v21, v21, v16, 0x7fff
	v_cndmask_b32_e32 v16, v21, v22, vcc_lo
	buffer_load_dword v21, off, s[0:3], s32 offset:232 ; 4-byte Folded Reload
	v_and_b32_e32 v12, 0xffff0000, v16
	s_waitcnt vmcnt(0)
	v_lshlrev_b32_e32 v21, 16, v21
	v_mul_f32_e32 v21, v6, v21
	v_bfe_u32 v22, v21, 16, 1
	v_or_b32_e32 v25, 0x400000, v21
	v_cmp_u_f32_e32 vcc_lo, v21, v21
	v_add3_u32 v22, v22, v21, 0x7fff
	v_cndmask_b32_e32 v21, v22, v25, vcc_lo
	buffer_load_dword v22, off, s[0:3], s32 offset:236 ; 4-byte Folded Reload
	v_and_b32_e32 v5, 0xffff0000, v21
	v_add_f32_e32 v5, v5, v12
	v_add_f32_e32 v4, v4, v5
	s_waitcnt vmcnt(0)
	v_lshlrev_b32_e32 v22, 16, v22
	v_mul_f32_e32 v22, v0, v22
	v_bfe_u32 v25, v22, 16, 1
	v_or_b32_e32 v27, 0x400000, v22
	v_cmp_u_f32_e32 vcc_lo, v22, v22
	v_add3_u32 v25, v25, v22, 0x7fff
	v_cndmask_b32_e32 v22, v25, v27, vcc_lo
	buffer_load_dword v25, off, s[0:3], s32 offset:228 ; 4-byte Folded Reload
	v_and_b32_e32 v12, 0xffff0000, v22
	s_waitcnt vmcnt(0)
	v_lshlrev_b32_e32 v25, 16, v25
	v_mul_f32_e32 v25, v2, v25
	v_bfe_u32 v27, v25, 16, 1
	v_or_b32_e32 v34, 0x400000, v25
	v_cmp_u_f32_e32 vcc_lo, v25, v25
	v_add3_u32 v27, v27, v25, 0x7fff
	v_cndmask_b32_e32 v25, v27, v34, vcc_lo
	v_and_b32_e32 v5, 0xffff0000, v25
	v_add_f32_e32 v5, v5, v12
	v_add_f32_e32 v4, v4, v5
	;; [unrolled: 1-line block ×3, first 2 shown]
	buffer_load_dword v4, off, s[0:3], s32 offset:224 ; 4-byte Folded Reload
	s_waitcnt vmcnt(0)
	v_lshlrev_b32_e32 v4, 16, v4
	v_mul_f32_e32 v4, v8, v4
	v_bfe_u32 v5, v4, 16, 1
	v_or_b32_e32 v12, 0x400000, v4
	v_cmp_u_f32_e32 vcc_lo, v4, v4
	v_add3_u32 v5, v5, v4, 0x7fff
	v_cndmask_b32_e32 v4, v5, v12, vcc_lo
	buffer_load_dword v5, off, s[0:3], s32 offset:220 ; 4-byte Folded Reload
	v_and_b32_e32 v4, 0xffff0000, v4
	s_waitcnt vmcnt(0)
	v_lshlrev_b32_e32 v5, 16, v5
	v_mul_f32_e32 v5, v9, v5
	v_bfe_u32 v12, v5, 16, 1
	v_or_b32_e32 v13, 0x400000, v5
	v_cmp_u_f32_e32 vcc_lo, v5, v5
	v_add3_u32 v12, v12, v5, 0x7fff
	v_cndmask_b32_e32 v5, v12, v13, vcc_lo
	buffer_load_dword v12, off, s[0:3], s32 offset:212 ; 4-byte Folded Reload
	v_and_b32_e32 v5, 0xffff0000, v5
	v_add_f32_e32 v4, v5, v4
	s_waitcnt vmcnt(0)
	v_lshlrev_b32_e32 v12, 16, v12
	v_mul_f32_e32 v12, v3, v12
	v_bfe_u32 v13, v12, 16, 1
	v_or_b32_e32 v16, 0x400000, v12
	v_cmp_u_f32_e32 vcc_lo, v12, v12
	v_add3_u32 v13, v13, v12, 0x7fff
	v_cndmask_b32_e32 v12, v13, v16, vcc_lo
	buffer_load_dword v13, off, s[0:3], s32 offset:216 ; 4-byte Folded Reload
	v_and_b32_e32 v12, 0xffff0000, v12
	s_waitcnt vmcnt(0)
	v_lshlrev_b32_e32 v13, 16, v13
	v_mul_f32_e32 v13, v7, v13
	v_bfe_u32 v16, v13, 16, 1
	v_or_b32_e32 v21, 0x400000, v13
	v_cmp_u_f32_e32 vcc_lo, v13, v13
	v_add3_u32 v16, v16, v13, 0x7fff
	v_cndmask_b32_e32 v13, v16, v21, vcc_lo
	buffer_load_dword v16, off, s[0:3], s32 offset:200 ; 4-byte Folded Reload
	v_and_b32_e32 v5, 0xffff0000, v13
	v_add_f32_e32 v5, v5, v12
	v_add_f32_e32 v4, v4, v5
	s_waitcnt vmcnt(0)
	v_lshlrev_b32_e32 v16, 16, v16
	v_mul_f32_e32 v16, v1, v16
	v_bfe_u32 v21, v16, 16, 1
	v_or_b32_e32 v22, 0x400000, v16
	v_cmp_u_f32_e32 vcc_lo, v16, v16
	v_add3_u32 v21, v21, v16, 0x7fff
	v_cndmask_b32_e32 v16, v21, v22, vcc_lo
	v_lshlrev_b32_e32 v21, 16, v39
	v_and_b32_e32 v12, 0xffff0000, v16
	v_mul_f32_e32 v21, v6, v21
	v_bfe_u32 v22, v21, 16, 1
	v_or_b32_e32 v25, 0x400000, v21
	v_cmp_u_f32_e32 vcc_lo, v21, v21
	v_add3_u32 v22, v22, v21, 0x7fff
	v_cndmask_b32_e32 v21, v22, v25, vcc_lo
	buffer_load_dword v22, off, s[0:3], s32 offset:192 ; 4-byte Folded Reload
	v_and_b32_e32 v5, 0xffff0000, v21
	v_add_f32_e32 v5, v5, v12
	v_add_f32_e32 v4, v4, v5
	s_waitcnt vmcnt(0)
	v_lshlrev_b32_e32 v22, 16, v22
	v_mul_f32_e32 v22, v0, v22
	v_bfe_u32 v25, v22, 16, 1
	v_or_b32_e32 v27, 0x400000, v22
	v_cmp_u_f32_e32 vcc_lo, v22, v22
	v_add3_u32 v25, v25, v22, 0x7fff
	v_cndmask_b32_e32 v22, v25, v27, vcc_lo
	v_lshlrev_b32_e32 v25, 16, v38
	v_and_b32_e32 v12, 0xffff0000, v22
	v_mul_f32_e32 v25, v2, v25
	v_bfe_u32 v27, v25, 16, 1
	v_or_b32_e32 v34, 0x400000, v25
	v_cmp_u_f32_e32 vcc_lo, v25, v25
	v_add3_u32 v27, v27, v25, 0x7fff
	v_cndmask_b32_e32 v25, v27, v34, vcc_lo
	v_and_b32_e32 v5, 0xffff0000, v25
	v_add_f32_e32 v5, v5, v12
	v_add_f32_e32 v4, v4, v5
	v_add_f32_e32 v55, v55, v4
	v_lshlrev_b32_e32 v4, 16, v116
	v_mul_f32_e32 v4, v9, v4
	v_bfe_u32 v5, v4, 16, 1
	v_or_b32_e32 v9, 0x400000, v4
	v_cmp_u_f32_e32 vcc_lo, v4, v4
	v_add3_u32 v5, v5, v4, 0x7fff
	v_cndmask_b32_e32 v4, v5, v9, vcc_lo
	v_lshlrev_b32_e32 v5, 16, v24
	v_and_b32_e32 v4, 0xffff0000, v4
	v_mul_f32_e32 v5, v8, v5
	v_bfe_u32 v8, v5, 16, 1
	v_or_b32_e32 v9, 0x400000, v5
	v_cmp_u_f32_e32 vcc_lo, v5, v5
	v_add3_u32 v8, v8, v5, 0x7fff
	v_cndmask_b32_e32 v5, v8, v9, vcc_lo
	v_lshlrev_b32_e32 v8, 16, v20
	v_and_b32_e32 v5, 0xffff0000, v5
	v_mul_f32_e32 v7, v7, v8
	v_add_f32_e32 v4, v4, v5
	v_bfe_u32 v8, v7, 16, 1
	v_or_b32_e32 v9, 0x400000, v7
	v_cmp_u_f32_e32 vcc_lo, v7, v7
	v_add3_u32 v8, v8, v7, 0x7fff
	v_cndmask_b32_e32 v7, v8, v9, vcc_lo
	v_lshlrev_b32_e32 v8, 16, v18
	v_and_b32_e32 v5, 0xffff0000, v7
	v_mul_f32_e32 v3, v3, v8
	v_bfe_u32 v8, v3, 16, 1
	v_or_b32_e32 v9, 0x400000, v3
	v_cmp_u_f32_e32 vcc_lo, v3, v3
	v_add3_u32 v8, v8, v3, 0x7fff
	v_cndmask_b32_e32 v3, v8, v9, vcc_lo
	v_lshlrev_b32_e32 v8, 16, v17
	v_and_b32_e32 v3, 0xffff0000, v3
	v_mul_f32_e32 v6, v6, v8
	v_add_f32_e32 v3, v5, v3
	v_bfe_u32 v8, v6, 16, 1
	v_or_b32_e32 v9, 0x400000, v6
	v_cmp_u_f32_e32 vcc_lo, v6, v6
	v_add_f32_e32 v3, v4, v3
	v_add3_u32 v8, v8, v6, 0x7fff
	v_cndmask_b32_e32 v6, v8, v9, vcc_lo
	v_lshlrev_b32_e32 v8, 16, v10
	v_and_b32_e32 v4, 0xffff0000, v6
	v_mul_f32_e32 v1, v1, v8
	v_bfe_u32 v8, v1, 16, 1
	v_or_b32_e32 v9, 0x400000, v1
	v_cmp_u_f32_e32 vcc_lo, v1, v1
	v_add3_u32 v8, v8, v1, 0x7fff
	v_cndmask_b32_e32 v1, v8, v9, vcc_lo
	v_lshlrev_b32_e32 v8, 16, v19
	v_and_b32_e32 v1, 0xffff0000, v1
	v_mul_f32_e32 v2, v2, v8
	v_add_f32_e32 v1, v4, v1
	v_bfe_u32 v8, v2, 16, 1
	v_or_b32_e32 v9, 0x400000, v2
	v_cmp_u_f32_e32 vcc_lo, v2, v2
	v_add_f32_e32 v1, v3, v1
	v_add3_u32 v8, v8, v2, 0x7fff
	v_cndmask_b32_e32 v2, v8, v9, vcc_lo
	v_lshlrev_b32_e32 v8, 16, v23
	v_and_b32_e32 v2, 0xffff0000, v2
	v_mul_f32_e32 v0, v0, v8
	v_bfe_u32 v8, v0, 16, 1
	v_or_b32_e32 v9, 0x400000, v0
	v_cmp_u_f32_e32 vcc_lo, v0, v0
	v_add3_u32 v8, v8, v0, 0x7fff
	v_cndmask_b32_e32 v0, v8, v9, vcc_lo
	v_add_co_u32 v14, vcc_lo, v14, 16
	v_add_co_ci_u32_e64 v15, null, 0, v15, vcc_lo
	v_and_b32_e32 v0, 0xffff0000, v0
	v_add_f32_e32 v0, v2, v0
	v_add_f32_e32 v0, v1, v0
	;; [unrolled: 1-line block ×3, first 2 shown]
	s_clause 0x1
	buffer_load_dword v0, off, s[0:3], s32 offset:204
	buffer_load_dword v1, off, s[0:3], s32 offset:208
	s_waitcnt vmcnt(0)
	v_mov_b32_e32 v1, v0
	v_add_nc_u32_e32 v1, 4, v1
	v_mov_b32_e32 v0, v1
	buffer_store_dword v0, off, s[0:3], s32 offset:204 ; 4-byte Folded Spill
	buffer_store_dword v1, off, s[0:3], s32 offset:208 ; 4-byte Folded Spill
	buffer_load_dword v0, off, s[0:3], s32 offset:400 ; 4-byte Folded Reload
	s_waitcnt vmcnt(0)
	v_cmp_ge_i32_e32 vcc_lo, v1, v0
	s_or_b32 s12, vcc_lo, s12
	s_andn2_b32 exec_lo, exec_lo, s12
	s_cbranch_execz .LBB369_2115
.LBB369_1059:                           ; =>This Inner Loop Header: Depth=1
	flat_load_dword v0, v[14:15]
	s_clause 0x2
	buffer_load_dword v1, off, s[0:3], s32 offset:396
	buffer_load_dword v2, off, s[0:3], s32 offset:408
	;; [unrolled: 1-line block ×3, first 2 shown]
	v_mov_b32_e32 v4, 0
	s_waitcnt vmcnt(0) lgkmcnt(0)
	v_mad_i64_i32 v[17:18], null, v0, v1, v[2:3]
	flat_load_dwordx2 v[19:20], v[17:18]
	ds_read2_b64 v[6:9], v67 offset1:1
	ds_read2_b64 v[0:3], v67 offset0:2 offset1:3
	s_waitcnt vmcnt(0) lgkmcnt(2)
	v_cmp_ne_u16_sdwa s13, v19, v11 src0_sel:BYTE_0 src1_sel:DWORD
	s_and_saveexec_b32 s5, s13
	s_cbranch_execz .LBB369_1067
; %bb.1060:                             ;   in Loop: Header=BB369_1059 Depth=1
	v_cmp_ne_u16_sdwa s15, v19, v68 src0_sel:BYTE_0 src1_sel:DWORD
	v_bfrev_b32_e32 v4, 1
	s_and_saveexec_b32 s13, s15
	s_cbranch_execz .LBB369_1066
; %bb.1061:                             ;   in Loop: Header=BB369_1059 Depth=1
	v_and_b32_e32 v5, 0x7f, v19
	v_mov_b32_e32 v4, 0x7f800001
	s_mov_b32 s15, exec_lo
	v_cmpx_ne_u32_e32 0x7f, v5
	s_cbranch_execz .LBB369_1065
; %bb.1062:                             ;   in Loop: Header=BB369_1059 Depth=1
	v_mov_b32_e32 v24, v20
	v_lshrrev_b32_e32 v4, 3, v5
	v_mov_b32_e32 v23, v19
	s_mov_b32 s18, exec_lo
	v_cmpx_gt_u32_e32 8, v5
; %bb.1063:                             ;   in Loop: Header=BB369_1059 Depth=1
	v_and_b32_e32 v4, 7, v19
	v_ffbh_u32_e32 v4, v4
	v_min_u32_e32 v4, 32, v4
	v_subrev_nc_u32_e32 v5, 28, v4
	v_sub_nc_u32_e32 v4, 29, v4
	v_lshlrev_b64 v[23:24], v5, v[19:20]
; %bb.1064:                             ;   in Loop: Header=BB369_1059 Depth=1
	s_or_b32 exec_lo, exec_lo, s18
	v_lshlrev_b32_e32 v5, 20, v23
	v_lshlrev_b32_e32 v10, 24, v19
	v_lshl_add_u32 v4, v4, 23, 0x3c000000
	v_and_b32_e32 v5, 0x700000, v5
	v_and_b32_e32 v10, 0x80000000, v10
	v_or3_b32 v4, v5, v10, v4
.LBB369_1065:                           ;   in Loop: Header=BB369_1059 Depth=1
	s_or_b32 exec_lo, exec_lo, s15
.LBB369_1066:                           ;   in Loop: Header=BB369_1059 Depth=1
	s_or_b32 exec_lo, exec_lo, s13
.LBB369_1067:                           ;   in Loop: Header=BB369_1059 Depth=1
	s_or_b32 exec_lo, exec_lo, s5
	v_cmp_ne_u16_sdwa s13, v19, v11 src0_sel:BYTE_1 src1_sel:DWORD
	v_mov_b32_e32 v12, 0
	v_mov_b32_e32 v5, 0
	s_and_saveexec_b32 s5, s13
	s_cbranch_execz .LBB369_1075
; %bb.1068:                             ;   in Loop: Header=BB369_1059 Depth=1
	v_cmp_ne_u16_sdwa s15, v19, v68 src0_sel:BYTE_1 src1_sel:DWORD
	v_bfrev_b32_e32 v5, 1
	s_and_saveexec_b32 s13, s15
	s_cbranch_execz .LBB369_1074
; %bb.1069:                             ;   in Loop: Header=BB369_1059 Depth=1
	v_mov_b32_e32 v5, 0xffff
	s_mov_b32 s15, exec_lo
	v_and_b32_sdwa v10, v5, v19 dst_sel:DWORD dst_unused:UNUSED_PAD src0_sel:DWORD src1_sel:BYTE_1
	v_mov_b32_e32 v5, 0x7f800001
	v_and_b32_e32 v13, 0x7f, v10
	v_cmpx_ne_u32_e32 0x7f, v13
	s_cbranch_execz .LBB369_1073
; %bb.1070:                             ;   in Loop: Header=BB369_1059 Depth=1
	v_and_b32_e32 v10, 7, v10
	v_mov_b32_e32 v24, v11
	v_lshrrev_b32_e32 v5, 3, v13
	s_mov_b32 s18, exec_lo
	v_mov_b32_e32 v23, v10
	v_cmpx_gt_u32_e32 8, v13
; %bb.1071:                             ;   in Loop: Header=BB369_1059 Depth=1
	v_ffbh_u32_e32 v5, v10
	v_min_u32_e32 v5, 32, v5
	v_subrev_nc_u32_e32 v13, 28, v5
	v_sub_nc_u32_e32 v5, 29, v5
	v_lshlrev_b64 v[21:22], v13, v[10:11]
	v_and_b32_e32 v23, 7, v21
; %bb.1072:                             ;   in Loop: Header=BB369_1059 Depth=1
	s_or_b32 exec_lo, exec_lo, s18
	v_lshlrev_b32_e32 v10, 16, v19
	v_lshlrev_b32_e32 v13, 20, v23
	v_lshl_add_u32 v5, v5, 23, 0x3c000000
	v_and_b32_e32 v10, 0x80000000, v10
	v_or3_b32 v5, v13, v10, v5
.LBB369_1073:                           ;   in Loop: Header=BB369_1059 Depth=1
	s_or_b32 exec_lo, exec_lo, s15
.LBB369_1074:                           ;   in Loop: Header=BB369_1059 Depth=1
	s_or_b32 exec_lo, exec_lo, s13
.LBB369_1075:                           ;   in Loop: Header=BB369_1059 Depth=1
	s_or_b32 exec_lo, exec_lo, s5
	v_and_b32_sdwa v10, v19, v70 dst_sel:DWORD dst_unused:UNUSED_PAD src0_sel:WORD_1 src1_sel:DWORD
	s_mov_b32 s5, exec_lo
	v_cmpx_ne_u16_e32 0, v10
	s_cbranch_execz .LBB369_1083
; %bb.1076:                             ;   in Loop: Header=BB369_1059 Depth=1
	v_bfrev_b32_e32 v12, 1
	s_mov_b32 s13, exec_lo
	v_cmpx_ne_u16_e32 0x80, v10
	s_cbranch_execz .LBB369_1082
; %bb.1077:                             ;   in Loop: Header=BB369_1059 Depth=1
	v_bfe_u32 v13, v19, 16, 7
	v_mov_b32_e32 v12, 0x7f800001
	s_mov_b32 s15, exec_lo
	v_cmpx_ne_u32_e32 0x7f, v13
	s_cbranch_execz .LBB369_1081
; %bb.1078:                             ;   in Loop: Header=BB369_1059 Depth=1
	v_mov_b32_e32 v10, 7
	v_lshrrev_b32_e32 v12, 3, v13
	s_mov_b32 s18, exec_lo
	v_and_b32_sdwa v10, v19, v10 dst_sel:DWORD dst_unused:UNUSED_PAD src0_sel:WORD_1 src1_sel:DWORD
	v_mov_b32_e32 v24, v11
	v_mov_b32_e32 v23, v10
	v_cmpx_gt_u32_e32 8, v13
; %bb.1079:                             ;   in Loop: Header=BB369_1059 Depth=1
	v_ffbh_u32_e32 v12, v10
	v_min_u32_e32 v12, 32, v12
	v_subrev_nc_u32_e32 v13, 28, v12
	v_sub_nc_u32_e32 v12, 29, v12
	v_lshlrev_b64 v[21:22], v13, v[10:11]
	v_and_b32_e32 v23, 7, v21
; %bb.1080:                             ;   in Loop: Header=BB369_1059 Depth=1
	s_or_b32 exec_lo, exec_lo, s18
	v_mov_b32_e32 v10, 24
	v_lshlrev_b32_e32 v13, 20, v23
	v_lshl_add_u32 v12, v12, 23, 0x3c000000
	v_lshlrev_b32_sdwa v10, v10, v19 dst_sel:DWORD dst_unused:UNUSED_PAD src0_sel:DWORD src1_sel:WORD_1
	v_and_b32_e32 v10, 0x80000000, v10
	v_or3_b32 v12, v13, v10, v12
.LBB369_1081:                           ;   in Loop: Header=BB369_1059 Depth=1
	s_or_b32 exec_lo, exec_lo, s15
.LBB369_1082:                           ;   in Loop: Header=BB369_1059 Depth=1
	s_or_b32 exec_lo, exec_lo, s13
.LBB369_1083:                           ;   in Loop: Header=BB369_1059 Depth=1
	s_or_b32 exec_lo, exec_lo, s5
	v_mov_b32_e32 v16, 0
	v_mov_b32_e32 v13, 0
	s_mov_b32 s5, exec_lo
	v_cmpx_lt_u32_e32 0xffffff, v19
	s_cbranch_execz .LBB369_1091
; %bb.1084:                             ;   in Loop: Header=BB369_1059 Depth=1
	v_cmp_ne_u32_sdwa s15, v19, v68 src0_sel:BYTE_3 src1_sel:DWORD
	v_bfrev_b32_e32 v13, 1
	s_and_saveexec_b32 s13, s15
	s_cbranch_execz .LBB369_1090
; %bb.1085:                             ;   in Loop: Header=BB369_1059 Depth=1
	v_bfe_u32 v21, v19, 24, 7
	v_mov_b32_e32 v13, 0x7f800001
	s_mov_b32 s15, exec_lo
	v_cmpx_ne_u32_e32 0x7f, v21
	s_cbranch_execz .LBB369_1089
; %bb.1086:                             ;   in Loop: Header=BB369_1059 Depth=1
	v_mov_b32_e32 v10, 7
	v_lshrrev_b32_e32 v13, 3, v21
	s_mov_b32 s18, exec_lo
	v_and_b32_sdwa v10, v19, v10 dst_sel:DWORD dst_unused:UNUSED_PAD src0_sel:BYTE_3 src1_sel:DWORD
	v_mov_b32_e32 v24, v11
	v_mov_b32_e32 v23, v10
	v_cmpx_gt_u32_e32 8, v21
; %bb.1087:                             ;   in Loop: Header=BB369_1059 Depth=1
	v_ffbh_u32_e32 v13, v10
	v_min_u32_e32 v13, 32, v13
	v_subrev_nc_u32_e32 v21, 28, v13
	v_sub_nc_u32_e32 v13, 29, v13
	v_lshlrev_b64 v[21:22], v21, v[10:11]
	v_and_b32_e32 v23, 7, v21
; %bb.1088:                             ;   in Loop: Header=BB369_1059 Depth=1
	s_or_b32 exec_lo, exec_lo, s18
	v_mov_b32_e32 v10, 24
	v_lshlrev_b32_e32 v21, 20, v23
	v_lshl_add_u32 v13, v13, 23, 0x3c000000
	v_lshlrev_b32_sdwa v10, v10, v19 dst_sel:DWORD dst_unused:UNUSED_PAD src0_sel:DWORD src1_sel:BYTE_3
	v_and_b32_e32 v10, 0x80000000, v10
	v_or3_b32 v13, v21, v10, v13
.LBB369_1089:                           ;   in Loop: Header=BB369_1059 Depth=1
	s_or_b32 exec_lo, exec_lo, s15
.LBB369_1090:                           ;   in Loop: Header=BB369_1059 Depth=1
	s_or_b32 exec_lo, exec_lo, s13
.LBB369_1091:                           ;   in Loop: Header=BB369_1059 Depth=1
	s_or_b32 exec_lo, exec_lo, s5
	v_mov_b32_e32 v10, v20
	v_cmp_ne_u16_sdwa s13, v20, v11 src0_sel:BYTE_0 src1_sel:DWORD
	s_and_saveexec_b32 s5, s13
	s_cbranch_execz .LBB369_1099
; %bb.1092:                             ;   in Loop: Header=BB369_1059 Depth=1
	v_cmp_ne_u16_sdwa s15, v20, v68 src0_sel:BYTE_0 src1_sel:DWORD
	v_bfrev_b32_e32 v16, 1
	s_and_saveexec_b32 s13, s15
	s_cbranch_execz .LBB369_1098
; %bb.1093:                             ;   in Loop: Header=BB369_1059 Depth=1
	v_and_b32_e32 v21, 0x7f, v20
	v_mov_b32_e32 v16, 0x7f800001
	s_mov_b32 s15, exec_lo
	v_cmpx_ne_u32_e32 0x7f, v21
	s_cbranch_execz .LBB369_1097
; %bb.1094:                             ;   in Loop: Header=BB369_1059 Depth=1
	v_mov_b32_e32 v24, v11
	v_lshrrev_b32_e32 v16, 3, v21
	v_mov_b32_e32 v23, v10
	s_mov_b32 s18, exec_lo
	v_cmpx_gt_u32_e32 8, v21
; %bb.1095:                             ;   in Loop: Header=BB369_1059 Depth=1
	v_and_b32_e32 v16, 7, v20
	v_ffbh_u32_e32 v16, v16
	v_min_u32_e32 v16, 32, v16
	v_subrev_nc_u32_e32 v21, 28, v16
	v_sub_nc_u32_e32 v16, 29, v16
	v_lshlrev_b64 v[23:24], v21, v[10:11]
; %bb.1096:                             ;   in Loop: Header=BB369_1059 Depth=1
	s_or_b32 exec_lo, exec_lo, s18
	v_lshlrev_b32_e32 v21, 20, v23
	v_lshlrev_b32_e32 v22, 24, v10
	v_lshl_add_u32 v16, v16, 23, 0x3c000000
	v_and_b32_e32 v21, 0x700000, v21
	v_and_b32_e32 v22, 0x80000000, v22
	v_or3_b32 v16, v21, v22, v16
.LBB369_1097:                           ;   in Loop: Header=BB369_1059 Depth=1
	s_or_b32 exec_lo, exec_lo, s15
.LBB369_1098:                           ;   in Loop: Header=BB369_1059 Depth=1
	s_or_b32 exec_lo, exec_lo, s13
.LBB369_1099:                           ;   in Loop: Header=BB369_1059 Depth=1
	s_or_b32 exec_lo, exec_lo, s5
	v_cmp_ne_u16_sdwa s13, v10, v11 src0_sel:BYTE_1 src1_sel:DWORD
	v_mov_b32_e32 v21, 0
	v_mov_b32_e32 v22, 0
	s_and_saveexec_b32 s5, s13
	s_cbranch_execz .LBB369_1107
; %bb.1100:                             ;   in Loop: Header=BB369_1059 Depth=1
	v_cmp_ne_u16_sdwa s15, v10, v68 src0_sel:BYTE_1 src1_sel:DWORD
	v_bfrev_b32_e32 v22, 1
	s_and_saveexec_b32 s13, s15
	s_cbranch_execz .LBB369_1106
; %bb.1101:                             ;   in Loop: Header=BB369_1059 Depth=1
	v_mov_b32_e32 v22, 0xffff
	s_mov_b32 s15, exec_lo
	v_and_b32_sdwa v23, v22, v10 dst_sel:DWORD dst_unused:UNUSED_PAD src0_sel:DWORD src1_sel:BYTE_1
	v_mov_b32_e32 v22, 0x7f800001
	v_and_b32_e32 v25, 0x7f, v23
	v_cmpx_ne_u32_e32 0x7f, v25
	s_cbranch_execz .LBB369_1105
; %bb.1102:                             ;   in Loop: Header=BB369_1059 Depth=1
	v_and_b32_e32 v23, 7, v23
	v_mov_b32_e32 v24, v11
	v_lshrrev_b32_e32 v22, 3, v25
	s_mov_b32 s18, exec_lo
	v_cmpx_gt_u32_e32 8, v25
; %bb.1103:                             ;   in Loop: Header=BB369_1059 Depth=1
	v_ffbh_u32_e32 v22, v23
	v_min_u32_e32 v22, 32, v22
	v_subrev_nc_u32_e32 v25, 28, v22
	v_sub_nc_u32_e32 v22, 29, v22
	v_lshlrev_b64 v[23:24], v25, v[23:24]
	v_and_b32_e32 v23, 7, v23
; %bb.1104:                             ;   in Loop: Header=BB369_1059 Depth=1
	s_or_b32 exec_lo, exec_lo, s18
	v_lshlrev_b32_e32 v10, 16, v10
	v_lshlrev_b32_e32 v23, 20, v23
	v_lshl_add_u32 v22, v22, 23, 0x3c000000
	v_and_b32_e32 v10, 0x80000000, v10
	v_or3_b32 v22, v23, v10, v22
.LBB369_1105:                           ;   in Loop: Header=BB369_1059 Depth=1
	s_or_b32 exec_lo, exec_lo, s15
.LBB369_1106:                           ;   in Loop: Header=BB369_1059 Depth=1
	s_or_b32 exec_lo, exec_lo, s13
.LBB369_1107:                           ;   in Loop: Header=BB369_1059 Depth=1
	s_or_b32 exec_lo, exec_lo, s5
	v_and_b32_sdwa v10, v20, v70 dst_sel:DWORD dst_unused:UNUSED_PAD src0_sel:WORD_1 src1_sel:DWORD
	s_mov_b32 s5, exec_lo
	v_cmpx_ne_u16_e32 0, v10
	s_cbranch_execz .LBB369_1115
; %bb.1108:                             ;   in Loop: Header=BB369_1059 Depth=1
	v_bfrev_b32_e32 v21, 1
	s_mov_b32 s13, exec_lo
	v_cmpx_ne_u16_e32 0x80, v10
	s_cbranch_execz .LBB369_1114
; %bb.1109:                             ;   in Loop: Header=BB369_1059 Depth=1
	v_bfe_u32 v23, v20, 16, 7
	v_mov_b32_e32 v21, 0x7f800001
	s_mov_b32 s15, exec_lo
	v_cmpx_ne_u32_e32 0x7f, v23
	s_cbranch_execz .LBB369_1113
; %bb.1110:                             ;   in Loop: Header=BB369_1059 Depth=1
	v_mov_b32_e32 v10, 7
	v_lshrrev_b32_e32 v21, 3, v23
	v_cmp_gt_u32_e32 vcc_lo, 8, v23
	v_and_b32_sdwa v10, v20, v10 dst_sel:DWORD dst_unused:UNUSED_PAD src0_sel:WORD_1 src1_sel:DWORD
	v_mov_b32_e32 v24, v11
	v_mov_b32_e32 v23, v10
	s_and_saveexec_b32 s18, vcc_lo
; %bb.1111:                             ;   in Loop: Header=BB369_1059 Depth=1
	v_ffbh_u32_e32 v21, v10
	v_min_u32_e32 v21, 32, v21
	v_subrev_nc_u32_e32 v23, 28, v21
	v_sub_nc_u32_e32 v21, 29, v21
	v_lshlrev_b64 v[23:24], v23, v[10:11]
	v_and_b32_e32 v23, 7, v23
; %bb.1112:                             ;   in Loop: Header=BB369_1059 Depth=1
	s_or_b32 exec_lo, exec_lo, s18
	v_mov_b32_e32 v10, 24
	v_lshlrev_b32_e32 v23, 20, v23
	v_lshl_add_u32 v21, v21, 23, 0x3c000000
	v_lshlrev_b32_sdwa v10, v10, v20 dst_sel:DWORD dst_unused:UNUSED_PAD src0_sel:DWORD src1_sel:WORD_1
	v_and_b32_e32 v10, 0x80000000, v10
	v_or3_b32 v21, v23, v10, v21
.LBB369_1113:                           ;   in Loop: Header=BB369_1059 Depth=1
	s_or_b32 exec_lo, exec_lo, s15
.LBB369_1114:                           ;   in Loop: Header=BB369_1059 Depth=1
	s_or_b32 exec_lo, exec_lo, s13
.LBB369_1115:                           ;   in Loop: Header=BB369_1059 Depth=1
	s_or_b32 exec_lo, exec_lo, s5
	v_mov_b32_e32 v10, 0
	s_mov_b32 s5, exec_lo
	v_cmpx_lt_u64_e64 s[8:9], v[19:20]
	s_cbranch_execz .LBB369_1123
; %bb.1116:                             ;   in Loop: Header=BB369_1059 Depth=1
	v_cmp_ne_u32_sdwa s15, v20, v68 src0_sel:BYTE_3 src1_sel:DWORD
	v_bfrev_b32_e32 v10, 1
	s_and_saveexec_b32 s13, s15
	s_cbranch_execz .LBB369_1122
; %bb.1117:                             ;   in Loop: Header=BB369_1059 Depth=1
	v_bfe_u32 v23, v20, 24, 7
	v_mov_b32_e32 v10, 0x7f800001
	s_mov_b32 s15, exec_lo
	v_cmpx_ne_u32_e32 0x7f, v23
	s_cbranch_execz .LBB369_1121
; %bb.1118:                             ;   in Loop: Header=BB369_1059 Depth=1
	v_mov_b32_e32 v10, 7
	v_lshrrev_b32_e32 v19, 3, v23
	v_cmp_gt_u32_e32 vcc_lo, 8, v23
	v_and_b32_sdwa v10, v20, v10 dst_sel:DWORD dst_unused:UNUSED_PAD src0_sel:BYTE_3 src1_sel:DWORD
	v_mov_b32_e32 v24, v11
	v_mov_b32_e32 v23, v10
	s_and_saveexec_b32 s18, vcc_lo
; %bb.1119:                             ;   in Loop: Header=BB369_1059 Depth=1
	v_ffbh_u32_e32 v19, v10
	v_min_u32_e32 v19, 32, v19
	v_subrev_nc_u32_e32 v23, 28, v19
	v_sub_nc_u32_e32 v19, 29, v19
	v_lshlrev_b64 v[23:24], v23, v[10:11]
	v_and_b32_e32 v23, 7, v23
; %bb.1120:                             ;   in Loop: Header=BB369_1059 Depth=1
	s_or_b32 exec_lo, exec_lo, s18
	v_mov_b32_e32 v10, 24
	v_lshl_add_u32 v19, v19, 23, 0x3c000000
	v_lshlrev_b32_sdwa v10, v10, v20 dst_sel:DWORD dst_unused:UNUSED_PAD src0_sel:DWORD src1_sel:BYTE_3
	v_lshlrev_b32_e32 v20, 20, v23
	v_and_b32_e32 v10, 0x80000000, v10
	v_or3_b32 v10, v20, v10, v19
.LBB369_1121:                           ;   in Loop: Header=BB369_1059 Depth=1
	s_or_b32 exec_lo, exec_lo, s15
.LBB369_1122:                           ;   in Loop: Header=BB369_1059 Depth=1
	s_or_b32 exec_lo, exec_lo, s13
.LBB369_1123:                           ;   in Loop: Header=BB369_1059 Depth=1
	s_or_b32 exec_lo, exec_lo, s5
	v_mul_f32_e32 v19, v26, v22
	s_clause 0x2
	buffer_load_dword v22, off, s[0:3], s32 offset:204
	buffer_load_dword v23, off, s[0:3], s32 offset:208
	;; [unrolled: 1-line block ×3, first 2 shown]
	v_mul_f32_e32 v16, v26, v16
	v_mul_f32_e32 v13, v26, v13
	;; [unrolled: 1-line block ×3, first 2 shown]
	v_cmp_u_f32_e64 s5, v19, v19
	v_mul_f32_e32 v5, v26, v5
	s_waitcnt vmcnt(1)
	v_bfe_u32 v23, v16, 16, 1
	v_or_b32_e32 v24, 0x400000, v16
	v_bfe_u32 v25, v13, 16, 1
	v_or_b32_e32 v27, 0x400000, v13
	v_mul_f32_e32 v4, v26, v4
	v_add3_u32 v23, v23, v16, 0x7fff
	v_mul_f32_e32 v10, v26, v10
	v_add_nc_u32_e32 v57, -7, v66
	v_add_nc_u32_e32 v63, -6, v66
	v_add_nc_u32_e32 v62, -5, v66
	v_add_nc_u32_e32 v61, -4, v66
	v_add_nc_u32_e32 v60, -3, v66
	v_add_nc_u32_e32 v59, -2, v66
	v_add_nc_u32_e32 v58, -1, v66
	s_waitcnt vmcnt(0)
	v_cmp_eq_u32_e32 vcc_lo, v20, v22
	v_bfe_u32 v20, v19, 16, 1
	v_or_b32_e32 v22, 0x400000, v19
	v_add3_u32 v20, v20, v19, 0x7fff
	v_cndmask_b32_e64 v19, v20, v22, s5
	v_cmp_u_f32_e64 s5, v16, v16
	v_add3_u32 v22, v25, v13, 0x7fff
	v_bfe_u32 v20, v12, 16, 1
	v_lshrrev_b32_e32 v19, 16, v19
	v_cndmask_b32_e64 v16, v23, v24, s5
	v_cmp_u_f32_e64 s5, v13, v13
	v_or_b32_e32 v23, 0x400000, v10
	buffer_store_dword v19, off, s[0:3], s32 offset:200 ; 4-byte Folded Spill
	v_add3_u32 v19, v20, v12, 0x7fff
	v_cndmask_b32_e64 v13, v22, v27, s5
	v_or_b32_e32 v20, 0x400000, v12
	v_cmp_u_f32_e64 s5, v12, v12
	v_lshrrev_b32_e32 v39, 16, v16
	v_mul_f32_e32 v16, v26, v21
	v_lshrrev_b32_e32 v13, 16, v13
	v_cndmask_b32_e64 v12, v19, v20, s5
	v_or_b32_e32 v19, 0x400000, v5
	v_bfe_u32 v20, v4, 16, 1
	buffer_store_dword v13, off, s[0:3], s32 offset:212 ; 4-byte Folded Spill
	v_bfe_u32 v13, v5, 16, 1
	v_cmp_u_f32_e64 s5, v5, v5
	v_bfe_u32 v21, v16, 16, 1
	v_or_b32_e32 v22, 0x400000, v16
	v_lshrrev_b32_e32 v12, 16, v12
	v_add3_u32 v13, v13, v5, 0x7fff
	v_add3_u32 v21, v21, v16, 0x7fff
	buffer_store_dword v12, off, s[0:3], s32 offset:216 ; 4-byte Folded Spill
	v_cndmask_b32_e64 v5, v13, v19, s5
	v_add3_u32 v19, v20, v4, 0x7fff
	v_or_b32_e32 v20, 0x400000, v4
	v_cmp_u_f32_e64 s5, v4, v4
	v_bfe_u32 v13, v10, 16, 1
	v_lshrrev_b32_e32 v5, 16, v5
	v_cndmask_b32_e64 v4, v19, v20, s5
	v_cmp_u_f32_e64 s5, v16, v16
	v_add3_u32 v13, v13, v10, 0x7fff
	buffer_store_dword v5, off, s[0:3], s32 offset:224 ; 4-byte Folded Spill
	v_lshrrev_b32_e32 v4, 16, v4
	v_cndmask_b32_e64 v16, v21, v22, s5
	v_cmp_u_f32_e64 s5, v10, v10
	buffer_store_dword v4, off, s[0:3], s32 offset:220 ; 4-byte Folded Spill
	v_lshrrev_b32_e32 v37, 16, v16
	v_cndmask_b32_e64 v10, v13, v23, s5
	v_lshrrev_b32_e32 v4, 16, v10
	buffer_store_dword v4, off, s[0:3], s32 offset:192 ; 4-byte Folded Spill
	s_and_saveexec_b32 s13, vcc_lo
	s_cbranch_execz .LBB369_1125
; %bb.1124:                             ;   in Loop: Header=BB369_1059 Depth=1
	s_clause 0x1
	buffer_load_dword v4, off, s[0:3], s32 offset:196
	buffer_load_dword v5, off, s[0:3], s32 offset:220
	s_waitcnt vmcnt(1)
	v_cmp_lt_i32_e64 s5, v57, v4
	s_waitcnt vmcnt(0)
	v_cndmask_b32_e64 v5, 0, v5, s5
	v_cmp_lt_i32_e64 s5, v63, v4
	buffer_store_dword v5, off, s[0:3], s32 offset:220 ; 4-byte Folded Spill
	buffer_load_dword v5, off, s[0:3], s32 offset:224 ; 4-byte Folded Reload
	s_waitcnt vmcnt(0)
	v_cndmask_b32_e64 v5, 0, v5, s5
	v_cmp_lt_i32_e64 s5, v62, v4
	buffer_store_dword v5, off, s[0:3], s32 offset:224 ; 4-byte Folded Spill
	buffer_load_dword v5, off, s[0:3], s32 offset:216 ; 4-byte Folded Reload
	;; [unrolled: 5-line block ×4, first 2 shown]
	v_cndmask_b32_e64 v39, 0, v39, s5
	v_cmp_lt_i32_e64 s5, v59, v4
	s_waitcnt vmcnt(0)
	v_cndmask_b32_e64 v5, 0, v5, s5
	v_cmp_lt_i32_e64 s5, v58, v4
	buffer_store_dword v5, off, s[0:3], s32 offset:200 ; 4-byte Folded Spill
	v_cndmask_b32_e64 v37, 0, v37, s5
	v_cmp_lt_i32_e64 s5, v66, v4
	buffer_load_dword v4, off, s[0:3], s32 offset:192 ; 4-byte Folded Reload
	s_waitcnt vmcnt(0)
	v_cndmask_b32_e64 v4, 0, v4, s5
	buffer_store_dword v4, off, s[0:3], s32 offset:192 ; 4-byte Folded Spill
.LBB369_1125:                           ;   in Loop: Header=BB369_1059 Depth=1
	s_or_b32 exec_lo, exec_lo, s13
	flat_load_dwordx2 v[19:20], v[17:18] offset:256
	v_mov_b32_e32 v5, 0
	v_mov_b32_e32 v4, 0
	s_waitcnt vmcnt(0) lgkmcnt(0)
	v_cmp_ne_u16_sdwa s5, v19, v11 src0_sel:BYTE_0 src1_sel:DWORD
	s_and_saveexec_b32 s13, s5
	s_cbranch_execz .LBB369_1133
; %bb.1126:                             ;   in Loop: Header=BB369_1059 Depth=1
	v_cmp_ne_u16_sdwa s5, v19, v68 src0_sel:BYTE_0 src1_sel:DWORD
	v_bfrev_b32_e32 v4, 1
	s_and_saveexec_b32 s15, s5
	s_cbranch_execz .LBB369_1132
; %bb.1127:                             ;   in Loop: Header=BB369_1059 Depth=1
	v_and_b32_e32 v10, 0x7f, v19
	v_mov_b32_e32 v4, 0x7f800001
	s_mov_b32 s18, exec_lo
	v_cmpx_ne_u32_e32 0x7f, v10
	s_cbranch_execz .LBB369_1131
; %bb.1128:                             ;   in Loop: Header=BB369_1059 Depth=1
	v_mov_b32_e32 v24, v20
	v_lshrrev_b32_e32 v4, 3, v10
	v_mov_b32_e32 v23, v19
	s_mov_b32 s20, exec_lo
	v_cmpx_gt_u32_e32 8, v10
; %bb.1129:                             ;   in Loop: Header=BB369_1059 Depth=1
	v_and_b32_e32 v4, 7, v19
	v_ffbh_u32_e32 v4, v4
	v_min_u32_e32 v4, 32, v4
	v_subrev_nc_u32_e32 v10, 28, v4
	v_sub_nc_u32_e32 v4, 29, v4
	v_lshlrev_b64 v[23:24], v10, v[19:20]
; %bb.1130:                             ;   in Loop: Header=BB369_1059 Depth=1
	s_or_b32 exec_lo, exec_lo, s20
	v_lshlrev_b32_e32 v10, 20, v23
	v_lshlrev_b32_e32 v12, 24, v19
	v_lshl_add_u32 v4, v4, 23, 0x3c000000
	v_and_b32_e32 v10, 0x700000, v10
	v_and_b32_e32 v12, 0x80000000, v12
	v_or3_b32 v4, v10, v12, v4
.LBB369_1131:                           ;   in Loop: Header=BB369_1059 Depth=1
	s_or_b32 exec_lo, exec_lo, s18
.LBB369_1132:                           ;   in Loop: Header=BB369_1059 Depth=1
	s_or_b32 exec_lo, exec_lo, s15
.LBB369_1133:                           ;   in Loop: Header=BB369_1059 Depth=1
	s_or_b32 exec_lo, exec_lo, s13
	v_cmp_ne_u16_sdwa s5, v19, v11 src0_sel:BYTE_1 src1_sel:DWORD
	s_and_saveexec_b32 s13, s5
	s_cbranch_execz .LBB369_1141
; %bb.1134:                             ;   in Loop: Header=BB369_1059 Depth=1
	v_cmp_ne_u16_sdwa s5, v19, v68 src0_sel:BYTE_1 src1_sel:DWORD
	v_bfrev_b32_e32 v5, 1
	s_and_saveexec_b32 s15, s5
	s_cbranch_execz .LBB369_1140
; %bb.1135:                             ;   in Loop: Header=BB369_1059 Depth=1
	v_mov_b32_e32 v5, 0xffff
	s_mov_b32 s18, exec_lo
	v_and_b32_sdwa v10, v5, v19 dst_sel:DWORD dst_unused:UNUSED_PAD src0_sel:DWORD src1_sel:BYTE_1
	v_mov_b32_e32 v5, 0x7f800001
	v_and_b32_e32 v12, 0x7f, v10
	v_cmpx_ne_u32_e32 0x7f, v12
	s_cbranch_execz .LBB369_1139
; %bb.1136:                             ;   in Loop: Header=BB369_1059 Depth=1
	v_and_b32_e32 v10, 7, v10
	v_mov_b32_e32 v24, v11
	v_lshrrev_b32_e32 v5, 3, v12
	s_mov_b32 s20, exec_lo
	v_mov_b32_e32 v23, v10
	v_cmpx_gt_u32_e32 8, v12
; %bb.1137:                             ;   in Loop: Header=BB369_1059 Depth=1
	v_ffbh_u32_e32 v5, v10
	v_min_u32_e32 v5, 32, v5
	v_subrev_nc_u32_e32 v12, 28, v5
	v_sub_nc_u32_e32 v5, 29, v5
	v_lshlrev_b64 v[12:13], v12, v[10:11]
	v_and_b32_e32 v23, 7, v12
; %bb.1138:                             ;   in Loop: Header=BB369_1059 Depth=1
	s_or_b32 exec_lo, exec_lo, s20
	v_lshlrev_b32_e32 v10, 16, v19
	v_lshlrev_b32_e32 v12, 20, v23
	v_lshl_add_u32 v5, v5, 23, 0x3c000000
	v_and_b32_e32 v10, 0x80000000, v10
	v_or3_b32 v5, v12, v10, v5
.LBB369_1139:                           ;   in Loop: Header=BB369_1059 Depth=1
	s_or_b32 exec_lo, exec_lo, s18
.LBB369_1140:                           ;   in Loop: Header=BB369_1059 Depth=1
	s_or_b32 exec_lo, exec_lo, s15
.LBB369_1141:                           ;   in Loop: Header=BB369_1059 Depth=1
	s_or_b32 exec_lo, exec_lo, s13
	v_and_b32_sdwa v10, v19, v70 dst_sel:DWORD dst_unused:UNUSED_PAD src0_sel:WORD_1 src1_sel:DWORD
	v_mov_b32_e32 v13, 0
	v_mov_b32_e32 v12, 0
	s_mov_b32 s13, exec_lo
	v_cmpx_ne_u16_e32 0, v10
	s_cbranch_execz .LBB369_1149
; %bb.1142:                             ;   in Loop: Header=BB369_1059 Depth=1
	v_bfrev_b32_e32 v12, 1
	s_mov_b32 s15, exec_lo
	v_cmpx_ne_u16_e32 0x80, v10
	s_cbranch_execz .LBB369_1148
; %bb.1143:                             ;   in Loop: Header=BB369_1059 Depth=1
	v_bfe_u32 v16, v19, 16, 7
	v_mov_b32_e32 v12, 0x7f800001
	s_mov_b32 s18, exec_lo
	v_cmpx_ne_u32_e32 0x7f, v16
	s_cbranch_execz .LBB369_1147
; %bb.1144:                             ;   in Loop: Header=BB369_1059 Depth=1
	v_mov_b32_e32 v10, 7
	v_lshrrev_b32_e32 v12, 3, v16
	s_mov_b32 s20, exec_lo
	v_and_b32_sdwa v10, v19, v10 dst_sel:DWORD dst_unused:UNUSED_PAD src0_sel:WORD_1 src1_sel:DWORD
	v_mov_b32_e32 v24, v11
	v_mov_b32_e32 v23, v10
	v_cmpx_gt_u32_e32 8, v16
; %bb.1145:                             ;   in Loop: Header=BB369_1059 Depth=1
	v_ffbh_u32_e32 v12, v10
	v_min_u32_e32 v12, 32, v12
	v_subrev_nc_u32_e32 v16, 28, v12
	v_sub_nc_u32_e32 v12, 29, v12
	v_lshlrev_b64 v[21:22], v16, v[10:11]
	v_and_b32_e32 v23, 7, v21
; %bb.1146:                             ;   in Loop: Header=BB369_1059 Depth=1
	s_or_b32 exec_lo, exec_lo, s20
	v_mov_b32_e32 v10, 24
	v_lshlrev_b32_e32 v16, 20, v23
	v_lshl_add_u32 v12, v12, 23, 0x3c000000
	v_lshlrev_b32_sdwa v10, v10, v19 dst_sel:DWORD dst_unused:UNUSED_PAD src0_sel:DWORD src1_sel:WORD_1
	v_and_b32_e32 v10, 0x80000000, v10
	v_or3_b32 v12, v16, v10, v12
.LBB369_1147:                           ;   in Loop: Header=BB369_1059 Depth=1
	s_or_b32 exec_lo, exec_lo, s18
.LBB369_1148:                           ;   in Loop: Header=BB369_1059 Depth=1
	s_or_b32 exec_lo, exec_lo, s15
.LBB369_1149:                           ;   in Loop: Header=BB369_1059 Depth=1
	s_or_b32 exec_lo, exec_lo, s13
	s_mov_b32 s13, exec_lo
	v_cmpx_lt_u32_e32 0xffffff, v19
	s_cbranch_execz .LBB369_1157
; %bb.1150:                             ;   in Loop: Header=BB369_1059 Depth=1
	v_cmp_ne_u32_sdwa s5, v19, v68 src0_sel:BYTE_3 src1_sel:DWORD
	v_bfrev_b32_e32 v13, 1
	s_and_saveexec_b32 s15, s5
	s_cbranch_execz .LBB369_1156
; %bb.1151:                             ;   in Loop: Header=BB369_1059 Depth=1
	v_bfe_u32 v16, v19, 24, 7
	v_mov_b32_e32 v13, 0x7f800001
	s_mov_b32 s18, exec_lo
	v_cmpx_ne_u32_e32 0x7f, v16
	s_cbranch_execz .LBB369_1155
; %bb.1152:                             ;   in Loop: Header=BB369_1059 Depth=1
	v_mov_b32_e32 v10, 7
	v_lshrrev_b32_e32 v13, 3, v16
	s_mov_b32 s20, exec_lo
	v_and_b32_sdwa v10, v19, v10 dst_sel:DWORD dst_unused:UNUSED_PAD src0_sel:BYTE_3 src1_sel:DWORD
	v_mov_b32_e32 v24, v11
	v_mov_b32_e32 v23, v10
	v_cmpx_gt_u32_e32 8, v16
; %bb.1153:                             ;   in Loop: Header=BB369_1059 Depth=1
	v_ffbh_u32_e32 v13, v10
	v_min_u32_e32 v13, 32, v13
	v_subrev_nc_u32_e32 v16, 28, v13
	v_sub_nc_u32_e32 v13, 29, v13
	v_lshlrev_b64 v[21:22], v16, v[10:11]
	v_and_b32_e32 v23, 7, v21
; %bb.1154:                             ;   in Loop: Header=BB369_1059 Depth=1
	s_or_b32 exec_lo, exec_lo, s20
	v_mov_b32_e32 v10, 24
	v_lshlrev_b32_e32 v16, 20, v23
	v_lshl_add_u32 v13, v13, 23, 0x3c000000
	v_lshlrev_b32_sdwa v10, v10, v19 dst_sel:DWORD dst_unused:UNUSED_PAD src0_sel:DWORD src1_sel:BYTE_3
	v_and_b32_e32 v10, 0x80000000, v10
	v_or3_b32 v13, v16, v10, v13
.LBB369_1155:                           ;   in Loop: Header=BB369_1059 Depth=1
	s_or_b32 exec_lo, exec_lo, s18
.LBB369_1156:                           ;   in Loop: Header=BB369_1059 Depth=1
	s_or_b32 exec_lo, exec_lo, s15
.LBB369_1157:                           ;   in Loop: Header=BB369_1059 Depth=1
	s_or_b32 exec_lo, exec_lo, s13
	v_mov_b32_e32 v10, v20
	v_cmp_ne_u16_sdwa s5, v20, v11 src0_sel:BYTE_0 src1_sel:DWORD
	v_mov_b32_e32 v21, 0
	v_mov_b32_e32 v16, 0
	s_and_saveexec_b32 s13, s5
	s_cbranch_execz .LBB369_1165
; %bb.1158:                             ;   in Loop: Header=BB369_1059 Depth=1
	v_cmp_ne_u16_sdwa s5, v20, v68 src0_sel:BYTE_0 src1_sel:DWORD
	v_bfrev_b32_e32 v16, 1
	s_and_saveexec_b32 s15, s5
	s_cbranch_execz .LBB369_1164
; %bb.1159:                             ;   in Loop: Header=BB369_1059 Depth=1
	v_and_b32_e32 v22, 0x7f, v20
	v_mov_b32_e32 v16, 0x7f800001
	s_mov_b32 s18, exec_lo
	v_cmpx_ne_u32_e32 0x7f, v22
	s_cbranch_execz .LBB369_1163
; %bb.1160:                             ;   in Loop: Header=BB369_1059 Depth=1
	v_mov_b32_e32 v24, v11
	v_lshrrev_b32_e32 v16, 3, v22
	v_mov_b32_e32 v23, v10
	s_mov_b32 s20, exec_lo
	v_cmpx_gt_u32_e32 8, v22
; %bb.1161:                             ;   in Loop: Header=BB369_1059 Depth=1
	v_and_b32_e32 v16, 7, v20
	v_ffbh_u32_e32 v16, v16
	v_min_u32_e32 v16, 32, v16
	v_subrev_nc_u32_e32 v22, 28, v16
	v_sub_nc_u32_e32 v16, 29, v16
	v_lshlrev_b64 v[23:24], v22, v[10:11]
; %bb.1162:                             ;   in Loop: Header=BB369_1059 Depth=1
	s_or_b32 exec_lo, exec_lo, s20
	v_lshlrev_b32_e32 v22, 20, v23
	v_lshlrev_b32_e32 v23, 24, v10
	v_lshl_add_u32 v16, v16, 23, 0x3c000000
	v_and_b32_e32 v22, 0x700000, v22
	v_and_b32_e32 v23, 0x80000000, v23
	v_or3_b32 v16, v22, v23, v16
.LBB369_1163:                           ;   in Loop: Header=BB369_1059 Depth=1
	s_or_b32 exec_lo, exec_lo, s18
.LBB369_1164:                           ;   in Loop: Header=BB369_1059 Depth=1
	s_or_b32 exec_lo, exec_lo, s15
.LBB369_1165:                           ;   in Loop: Header=BB369_1059 Depth=1
	s_or_b32 exec_lo, exec_lo, s13
	v_cmp_ne_u16_sdwa s5, v10, v11 src0_sel:BYTE_1 src1_sel:DWORD
	s_and_saveexec_b32 s13, s5
	s_cbranch_execz .LBB369_1173
; %bb.1166:                             ;   in Loop: Header=BB369_1059 Depth=1
	v_cmp_ne_u16_sdwa s5, v10, v68 src0_sel:BYTE_1 src1_sel:DWORD
	v_bfrev_b32_e32 v21, 1
	s_and_saveexec_b32 s15, s5
	s_cbranch_execz .LBB369_1172
; %bb.1167:                             ;   in Loop: Header=BB369_1059 Depth=1
	v_mov_b32_e32 v21, 0xffff
	s_mov_b32 s18, exec_lo
	v_and_b32_sdwa v23, v21, v10 dst_sel:DWORD dst_unused:UNUSED_PAD src0_sel:DWORD src1_sel:BYTE_1
	v_mov_b32_e32 v21, 0x7f800001
	v_and_b32_e32 v22, 0x7f, v23
	v_cmpx_ne_u32_e32 0x7f, v22
	s_cbranch_execz .LBB369_1171
; %bb.1168:                             ;   in Loop: Header=BB369_1059 Depth=1
	v_and_b32_e32 v23, 7, v23
	v_mov_b32_e32 v24, v11
	v_lshrrev_b32_e32 v21, 3, v22
	s_mov_b32 s20, exec_lo
	v_cmpx_gt_u32_e32 8, v22
; %bb.1169:                             ;   in Loop: Header=BB369_1059 Depth=1
	v_ffbh_u32_e32 v21, v23
	v_min_u32_e32 v21, 32, v21
	v_subrev_nc_u32_e32 v22, 28, v21
	v_sub_nc_u32_e32 v21, 29, v21
	v_lshlrev_b64 v[22:23], v22, v[23:24]
	v_and_b32_e32 v23, 7, v22
; %bb.1170:                             ;   in Loop: Header=BB369_1059 Depth=1
	s_or_b32 exec_lo, exec_lo, s20
	v_lshlrev_b32_e32 v10, 16, v10
	v_lshlrev_b32_e32 v22, 20, v23
	v_lshl_add_u32 v21, v21, 23, 0x3c000000
	v_and_b32_e32 v10, 0x80000000, v10
	v_or3_b32 v21, v22, v10, v21
.LBB369_1171:                           ;   in Loop: Header=BB369_1059 Depth=1
	s_or_b32 exec_lo, exec_lo, s18
.LBB369_1172:                           ;   in Loop: Header=BB369_1059 Depth=1
	s_or_b32 exec_lo, exec_lo, s15
.LBB369_1173:                           ;   in Loop: Header=BB369_1059 Depth=1
	s_or_b32 exec_lo, exec_lo, s13
	v_and_b32_sdwa v10, v20, v70 dst_sel:DWORD dst_unused:UNUSED_PAD src0_sel:WORD_1 src1_sel:DWORD
	v_mov_b32_e32 v22, 0
	v_mov_b32_e32 v25, 0
	s_mov_b32 s13, exec_lo
	v_cmpx_ne_u16_e32 0, v10
	s_cbranch_execz .LBB369_1181
; %bb.1174:                             ;   in Loop: Header=BB369_1059 Depth=1
	v_bfrev_b32_e32 v25, 1
	s_mov_b32 s15, exec_lo
	v_cmpx_ne_u16_e32 0x80, v10
	s_cbranch_execz .LBB369_1180
; %bb.1175:                             ;   in Loop: Header=BB369_1059 Depth=1
	v_bfe_u32 v23, v20, 16, 7
	v_mov_b32_e32 v25, 0x7f800001
	s_mov_b32 s18, exec_lo
	v_cmpx_ne_u32_e32 0x7f, v23
	s_cbranch_execz .LBB369_1179
; %bb.1176:                             ;   in Loop: Header=BB369_1059 Depth=1
	v_mov_b32_e32 v10, 7
	v_lshrrev_b32_e32 v25, 3, v23
	v_cmp_gt_u32_e64 s5, 8, v23
	v_and_b32_sdwa v10, v20, v10 dst_sel:DWORD dst_unused:UNUSED_PAD src0_sel:WORD_1 src1_sel:DWORD
	v_mov_b32_e32 v24, v11
	v_mov_b32_e32 v23, v10
	s_and_saveexec_b32 s20, s5
; %bb.1177:                             ;   in Loop: Header=BB369_1059 Depth=1
	v_ffbh_u32_e32 v23, v10
	v_min_u32_e32 v25, 32, v23
	v_subrev_nc_u32_e32 v23, 28, v25
	v_sub_nc_u32_e32 v25, 29, v25
	v_lshlrev_b64 v[23:24], v23, v[10:11]
	v_and_b32_e32 v23, 7, v23
; %bb.1178:                             ;   in Loop: Header=BB369_1059 Depth=1
	s_or_b32 exec_lo, exec_lo, s20
	v_mov_b32_e32 v10, 24
	v_lshlrev_b32_e32 v23, 20, v23
	v_lshl_add_u32 v24, v25, 23, 0x3c000000
	v_lshlrev_b32_sdwa v10, v10, v20 dst_sel:DWORD dst_unused:UNUSED_PAD src0_sel:DWORD src1_sel:WORD_1
	v_and_b32_e32 v10, 0x80000000, v10
	v_or3_b32 v25, v23, v10, v24
.LBB369_1179:                           ;   in Loop: Header=BB369_1059 Depth=1
	s_or_b32 exec_lo, exec_lo, s18
.LBB369_1180:                           ;   in Loop: Header=BB369_1059 Depth=1
	s_or_b32 exec_lo, exec_lo, s15
.LBB369_1181:                           ;   in Loop: Header=BB369_1059 Depth=1
	s_or_b32 exec_lo, exec_lo, s13
	s_mov_b32 s13, exec_lo
	v_cmpx_lt_u64_e64 s[8:9], v[19:20]
	s_cbranch_execz .LBB369_1189
; %bb.1182:                             ;   in Loop: Header=BB369_1059 Depth=1
	v_cmp_ne_u32_sdwa s5, v20, v68 src0_sel:BYTE_3 src1_sel:DWORD
	v_bfrev_b32_e32 v22, 1
	s_and_saveexec_b32 s15, s5
	s_cbranch_execz .LBB369_1188
; %bb.1183:                             ;   in Loop: Header=BB369_1059 Depth=1
	v_bfe_u32 v23, v20, 24, 7
	v_mov_b32_e32 v22, 0x7f800001
	s_mov_b32 s18, exec_lo
	v_cmpx_ne_u32_e32 0x7f, v23
	s_cbranch_execz .LBB369_1187
; %bb.1184:                             ;   in Loop: Header=BB369_1059 Depth=1
	v_mov_b32_e32 v10, 7
	v_lshrrev_b32_e32 v19, 3, v23
	v_cmp_gt_u32_e64 s5, 8, v23
	v_and_b32_sdwa v10, v20, v10 dst_sel:DWORD dst_unused:UNUSED_PAD src0_sel:BYTE_3 src1_sel:DWORD
	v_mov_b32_e32 v24, v11
	v_mov_b32_e32 v23, v10
	s_and_saveexec_b32 s20, s5
; %bb.1185:                             ;   in Loop: Header=BB369_1059 Depth=1
	v_ffbh_u32_e32 v19, v10
	v_min_u32_e32 v19, 32, v19
	v_subrev_nc_u32_e32 v22, 28, v19
	v_sub_nc_u32_e32 v19, 29, v19
	v_lshlrev_b64 v[22:23], v22, v[10:11]
	v_and_b32_e32 v23, 7, v22
; %bb.1186:                             ;   in Loop: Header=BB369_1059 Depth=1
	s_or_b32 exec_lo, exec_lo, s20
	v_mov_b32_e32 v10, 24
	v_lshl_add_u32 v19, v19, 23, 0x3c000000
	v_lshlrev_b32_sdwa v10, v10, v20 dst_sel:DWORD dst_unused:UNUSED_PAD src0_sel:DWORD src1_sel:BYTE_3
	v_lshlrev_b32_e32 v20, 20, v23
	v_and_b32_e32 v10, 0x80000000, v10
	v_or3_b32 v22, v20, v10, v19
.LBB369_1187:                           ;   in Loop: Header=BB369_1059 Depth=1
	s_or_b32 exec_lo, exec_lo, s18
.LBB369_1188:                           ;   in Loop: Header=BB369_1059 Depth=1
	s_or_b32 exec_lo, exec_lo, s15
.LBB369_1189:                           ;   in Loop: Header=BB369_1059 Depth=1
	s_or_b32 exec_lo, exec_lo, s13
	v_mul_f32_e32 v10, v26, v21
	v_mul_f32_e32 v16, v26, v16
	;; [unrolled: 1-line block ×5, first 2 shown]
	v_bfe_u32 v19, v10, 16, 1
	v_or_b32_e32 v20, 0x400000, v10
	v_bfe_u32 v21, v16, 16, 1
	v_cmp_u_f32_e64 s5, v10, v10
	v_or_b32_e32 v23, 0x400000, v16
	v_add3_u32 v19, v19, v10, 0x7fff
	v_bfe_u32 v24, v13, 16, 1
	v_add3_u32 v21, v21, v16, 0x7fff
	v_or_b32_e32 v27, 0x400000, v13
	v_bfe_u32 v34, v12, 16, 1
	v_cndmask_b32_e64 v10, v19, v20, s5
	v_cmp_u_f32_e64 s5, v16, v16
	v_add3_u32 v24, v24, v13, 0x7fff
	v_or_b32_e32 v19, 0x400000, v12
	v_mul_f32_e32 v4, v26, v4
	v_lshrrev_b32_e32 v10, 16, v10
	v_cndmask_b32_e64 v16, v21, v23, s5
	v_cmp_u_f32_e64 s5, v13, v13
	v_bfe_u32 v20, v4, 16, 1
	buffer_store_dword v10, off, s[0:3], s32 offset:240 ; 4-byte Folded Spill
	v_add3_u32 v10, v34, v12, 0x7fff
	v_cndmask_b32_e64 v13, v24, v27, s5
	v_lshrrev_b32_e32 v16, 16, v16
	v_cmp_u_f32_e64 s5, v12, v12
	v_mul_f32_e32 v12, v26, v25
	v_lshrrev_b32_e32 v13, 16, v13
	buffer_store_dword v16, off, s[0:3], s32 offset:232 ; 4-byte Folded Spill
	v_cndmask_b32_e64 v10, v10, v19, s5
	v_or_b32_e32 v16, 0x400000, v5
	v_cmp_u_f32_e64 s5, v5, v5
	buffer_store_dword v13, off, s[0:3], s32 offset:244 ; 4-byte Folded Spill
	v_bfe_u32 v13, v5, 16, 1
	v_mul_f32_e32 v19, v26, v22
	v_bfe_u32 v21, v12, 16, 1
	v_or_b32_e32 v22, 0x400000, v12
	v_lshrrev_b32_e32 v10, 16, v10
	v_add3_u32 v13, v13, v5, 0x7fff
	v_or_b32_e32 v23, 0x400000, v19
	v_add3_u32 v21, v21, v12, 0x7fff
	buffer_store_dword v10, off, s[0:3], s32 offset:248 ; 4-byte Folded Spill
	v_cndmask_b32_e64 v5, v13, v16, s5
	v_add3_u32 v16, v20, v4, 0x7fff
	v_or_b32_e32 v20, 0x400000, v4
	v_cmp_u_f32_e64 s5, v4, v4
	v_bfe_u32 v13, v19, 16, 1
	v_lshrrev_b32_e32 v5, 16, v5
	v_cndmask_b32_e64 v4, v16, v20, s5
	v_cmp_u_f32_e64 s5, v12, v12
	v_add3_u32 v13, v13, v19, 0x7fff
	buffer_store_dword v5, off, s[0:3], s32 offset:260 ; 4-byte Folded Spill
	v_lshrrev_b32_e32 v4, 16, v4
	v_cndmask_b32_e64 v12, v21, v22, s5
	v_cmp_u_f32_e64 s5, v19, v19
	buffer_store_dword v4, off, s[0:3], s32 offset:256 ; 4-byte Folded Spill
	v_lshrrev_b32_e32 v4, 16, v12
	v_cndmask_b32_e64 v13, v13, v23, s5
	buffer_store_dword v4, off, s[0:3], s32 offset:228 ; 4-byte Folded Spill
	v_lshrrev_b32_e32 v4, 16, v13
	buffer_store_dword v4, off, s[0:3], s32 offset:236 ; 4-byte Folded Spill
	s_and_saveexec_b32 s13, vcc_lo
	s_cbranch_execz .LBB369_1191
; %bb.1190:                             ;   in Loop: Header=BB369_1059 Depth=1
	s_clause 0x1
	buffer_load_dword v4, off, s[0:3], s32 offset:196
	buffer_load_dword v5, off, s[0:3], s32 offset:256
	s_waitcnt vmcnt(1)
	v_cmp_lt_i32_e64 s5, v57, v4
	s_waitcnt vmcnt(0)
	v_cndmask_b32_e64 v5, 0, v5, s5
	v_cmp_lt_i32_e64 s5, v63, v4
	buffer_store_dword v5, off, s[0:3], s32 offset:256 ; 4-byte Folded Spill
	buffer_load_dword v5, off, s[0:3], s32 offset:260 ; 4-byte Folded Reload
	s_waitcnt vmcnt(0)
	v_cndmask_b32_e64 v5, 0, v5, s5
	v_cmp_lt_i32_e64 s5, v62, v4
	buffer_store_dword v5, off, s[0:3], s32 offset:260 ; 4-byte Folded Spill
	buffer_load_dword v5, off, s[0:3], s32 offset:248 ; 4-byte Folded Reload
	;; [unrolled: 5-line block ×6, first 2 shown]
	s_waitcnt vmcnt(0)
	v_cndmask_b32_e64 v5, 0, v5, s5
	v_cmp_lt_i32_e64 s5, v66, v4
	buffer_load_dword v4, off, s[0:3], s32 offset:236 ; 4-byte Folded Reload
	buffer_store_dword v5, off, s[0:3], s32 offset:228 ; 4-byte Folded Spill
	s_waitcnt vmcnt(0)
	v_cndmask_b32_e64 v4, 0, v4, s5
	buffer_store_dword v4, off, s[0:3], s32 offset:236 ; 4-byte Folded Spill
.LBB369_1191:                           ;   in Loop: Header=BB369_1059 Depth=1
	s_or_b32 exec_lo, exec_lo, s13
	flat_load_dwordx2 v[19:20], v[17:18] offset:512
	v_mov_b32_e32 v5, 0
	v_mov_b32_e32 v4, 0
	s_waitcnt vmcnt(0) lgkmcnt(0)
	v_cmp_ne_u16_sdwa s5, v19, v11 src0_sel:BYTE_0 src1_sel:DWORD
	s_and_saveexec_b32 s13, s5
	s_cbranch_execz .LBB369_1199
; %bb.1192:                             ;   in Loop: Header=BB369_1059 Depth=1
	v_cmp_ne_u16_sdwa s5, v19, v68 src0_sel:BYTE_0 src1_sel:DWORD
	v_bfrev_b32_e32 v4, 1
	s_and_saveexec_b32 s15, s5
	s_cbranch_execz .LBB369_1198
; %bb.1193:                             ;   in Loop: Header=BB369_1059 Depth=1
	v_and_b32_e32 v10, 0x7f, v19
	v_mov_b32_e32 v4, 0x7f800001
	s_mov_b32 s18, exec_lo
	v_cmpx_ne_u32_e32 0x7f, v10
	s_cbranch_execz .LBB369_1197
; %bb.1194:                             ;   in Loop: Header=BB369_1059 Depth=1
	v_mov_b32_e32 v24, v20
	v_lshrrev_b32_e32 v4, 3, v10
	v_mov_b32_e32 v23, v19
	s_mov_b32 s20, exec_lo
	v_cmpx_gt_u32_e32 8, v10
; %bb.1195:                             ;   in Loop: Header=BB369_1059 Depth=1
	v_and_b32_e32 v4, 7, v19
	v_ffbh_u32_e32 v4, v4
	v_min_u32_e32 v4, 32, v4
	v_subrev_nc_u32_e32 v10, 28, v4
	v_sub_nc_u32_e32 v4, 29, v4
	v_lshlrev_b64 v[23:24], v10, v[19:20]
; %bb.1196:                             ;   in Loop: Header=BB369_1059 Depth=1
	s_or_b32 exec_lo, exec_lo, s20
	v_lshlrev_b32_e32 v10, 20, v23
	v_lshlrev_b32_e32 v12, 24, v19
	v_lshl_add_u32 v4, v4, 23, 0x3c000000
	v_and_b32_e32 v10, 0x700000, v10
	v_and_b32_e32 v12, 0x80000000, v12
	v_or3_b32 v4, v10, v12, v4
.LBB369_1197:                           ;   in Loop: Header=BB369_1059 Depth=1
	s_or_b32 exec_lo, exec_lo, s18
.LBB369_1198:                           ;   in Loop: Header=BB369_1059 Depth=1
	s_or_b32 exec_lo, exec_lo, s15
.LBB369_1199:                           ;   in Loop: Header=BB369_1059 Depth=1
	s_or_b32 exec_lo, exec_lo, s13
	v_cmp_ne_u16_sdwa s5, v19, v11 src0_sel:BYTE_1 src1_sel:DWORD
	s_and_saveexec_b32 s13, s5
	s_cbranch_execz .LBB369_1207
; %bb.1200:                             ;   in Loop: Header=BB369_1059 Depth=1
	v_cmp_ne_u16_sdwa s5, v19, v68 src0_sel:BYTE_1 src1_sel:DWORD
	v_bfrev_b32_e32 v5, 1
	s_and_saveexec_b32 s15, s5
	s_cbranch_execz .LBB369_1206
; %bb.1201:                             ;   in Loop: Header=BB369_1059 Depth=1
	v_mov_b32_e32 v5, 0xffff
	s_mov_b32 s18, exec_lo
	v_and_b32_sdwa v10, v5, v19 dst_sel:DWORD dst_unused:UNUSED_PAD src0_sel:DWORD src1_sel:BYTE_1
	v_mov_b32_e32 v5, 0x7f800001
	v_and_b32_e32 v12, 0x7f, v10
	v_cmpx_ne_u32_e32 0x7f, v12
	s_cbranch_execz .LBB369_1205
; %bb.1202:                             ;   in Loop: Header=BB369_1059 Depth=1
	v_and_b32_e32 v10, 7, v10
	v_mov_b32_e32 v24, v11
	v_lshrrev_b32_e32 v5, 3, v12
	s_mov_b32 s20, exec_lo
	v_mov_b32_e32 v23, v10
	v_cmpx_gt_u32_e32 8, v12
; %bb.1203:                             ;   in Loop: Header=BB369_1059 Depth=1
	v_ffbh_u32_e32 v5, v10
	v_min_u32_e32 v5, 32, v5
	v_subrev_nc_u32_e32 v12, 28, v5
	v_sub_nc_u32_e32 v5, 29, v5
	v_lshlrev_b64 v[12:13], v12, v[10:11]
	v_and_b32_e32 v23, 7, v12
; %bb.1204:                             ;   in Loop: Header=BB369_1059 Depth=1
	s_or_b32 exec_lo, exec_lo, s20
	v_lshlrev_b32_e32 v10, 16, v19
	v_lshlrev_b32_e32 v12, 20, v23
	v_lshl_add_u32 v5, v5, 23, 0x3c000000
	v_and_b32_e32 v10, 0x80000000, v10
	v_or3_b32 v5, v12, v10, v5
.LBB369_1205:                           ;   in Loop: Header=BB369_1059 Depth=1
	s_or_b32 exec_lo, exec_lo, s18
.LBB369_1206:                           ;   in Loop: Header=BB369_1059 Depth=1
	s_or_b32 exec_lo, exec_lo, s15
.LBB369_1207:                           ;   in Loop: Header=BB369_1059 Depth=1
	s_or_b32 exec_lo, exec_lo, s13
	v_and_b32_sdwa v10, v19, v70 dst_sel:DWORD dst_unused:UNUSED_PAD src0_sel:WORD_1 src1_sel:DWORD
	v_mov_b32_e32 v13, 0
	v_mov_b32_e32 v12, 0
	s_mov_b32 s13, exec_lo
	v_cmpx_ne_u16_e32 0, v10
	s_cbranch_execz .LBB369_1215
; %bb.1208:                             ;   in Loop: Header=BB369_1059 Depth=1
	v_bfrev_b32_e32 v12, 1
	s_mov_b32 s15, exec_lo
	v_cmpx_ne_u16_e32 0x80, v10
	s_cbranch_execz .LBB369_1214
; %bb.1209:                             ;   in Loop: Header=BB369_1059 Depth=1
	v_bfe_u32 v16, v19, 16, 7
	v_mov_b32_e32 v12, 0x7f800001
	s_mov_b32 s18, exec_lo
	v_cmpx_ne_u32_e32 0x7f, v16
	s_cbranch_execz .LBB369_1213
; %bb.1210:                             ;   in Loop: Header=BB369_1059 Depth=1
	v_mov_b32_e32 v10, 7
	v_lshrrev_b32_e32 v12, 3, v16
	s_mov_b32 s20, exec_lo
	v_and_b32_sdwa v10, v19, v10 dst_sel:DWORD dst_unused:UNUSED_PAD src0_sel:WORD_1 src1_sel:DWORD
	v_mov_b32_e32 v24, v11
	v_mov_b32_e32 v23, v10
	v_cmpx_gt_u32_e32 8, v16
; %bb.1211:                             ;   in Loop: Header=BB369_1059 Depth=1
	v_ffbh_u32_e32 v12, v10
	v_min_u32_e32 v12, 32, v12
	v_subrev_nc_u32_e32 v16, 28, v12
	v_sub_nc_u32_e32 v12, 29, v12
	v_lshlrev_b64 v[21:22], v16, v[10:11]
	v_and_b32_e32 v23, 7, v21
; %bb.1212:                             ;   in Loop: Header=BB369_1059 Depth=1
	s_or_b32 exec_lo, exec_lo, s20
	v_mov_b32_e32 v10, 24
	v_lshlrev_b32_e32 v16, 20, v23
	v_lshl_add_u32 v12, v12, 23, 0x3c000000
	v_lshlrev_b32_sdwa v10, v10, v19 dst_sel:DWORD dst_unused:UNUSED_PAD src0_sel:DWORD src1_sel:WORD_1
	v_and_b32_e32 v10, 0x80000000, v10
	v_or3_b32 v12, v16, v10, v12
.LBB369_1213:                           ;   in Loop: Header=BB369_1059 Depth=1
	s_or_b32 exec_lo, exec_lo, s18
.LBB369_1214:                           ;   in Loop: Header=BB369_1059 Depth=1
	s_or_b32 exec_lo, exec_lo, s15
.LBB369_1215:                           ;   in Loop: Header=BB369_1059 Depth=1
	s_or_b32 exec_lo, exec_lo, s13
	s_mov_b32 s13, exec_lo
	v_cmpx_lt_u32_e32 0xffffff, v19
	s_cbranch_execz .LBB369_1223
; %bb.1216:                             ;   in Loop: Header=BB369_1059 Depth=1
	v_cmp_ne_u32_sdwa s5, v19, v68 src0_sel:BYTE_3 src1_sel:DWORD
	v_bfrev_b32_e32 v13, 1
	s_and_saveexec_b32 s15, s5
	s_cbranch_execz .LBB369_1222
; %bb.1217:                             ;   in Loop: Header=BB369_1059 Depth=1
	v_bfe_u32 v16, v19, 24, 7
	v_mov_b32_e32 v13, 0x7f800001
	s_mov_b32 s18, exec_lo
	v_cmpx_ne_u32_e32 0x7f, v16
	s_cbranch_execz .LBB369_1221
; %bb.1218:                             ;   in Loop: Header=BB369_1059 Depth=1
	v_mov_b32_e32 v10, 7
	v_lshrrev_b32_e32 v13, 3, v16
	s_mov_b32 s20, exec_lo
	v_and_b32_sdwa v10, v19, v10 dst_sel:DWORD dst_unused:UNUSED_PAD src0_sel:BYTE_3 src1_sel:DWORD
	v_mov_b32_e32 v24, v11
	v_mov_b32_e32 v23, v10
	v_cmpx_gt_u32_e32 8, v16
; %bb.1219:                             ;   in Loop: Header=BB369_1059 Depth=1
	v_ffbh_u32_e32 v13, v10
	v_min_u32_e32 v13, 32, v13
	v_subrev_nc_u32_e32 v16, 28, v13
	v_sub_nc_u32_e32 v13, 29, v13
	v_lshlrev_b64 v[21:22], v16, v[10:11]
	v_and_b32_e32 v23, 7, v21
; %bb.1220:                             ;   in Loop: Header=BB369_1059 Depth=1
	s_or_b32 exec_lo, exec_lo, s20
	v_mov_b32_e32 v10, 24
	v_lshlrev_b32_e32 v16, 20, v23
	v_lshl_add_u32 v13, v13, 23, 0x3c000000
	v_lshlrev_b32_sdwa v10, v10, v19 dst_sel:DWORD dst_unused:UNUSED_PAD src0_sel:DWORD src1_sel:BYTE_3
	v_and_b32_e32 v10, 0x80000000, v10
	v_or3_b32 v13, v16, v10, v13
.LBB369_1221:                           ;   in Loop: Header=BB369_1059 Depth=1
	s_or_b32 exec_lo, exec_lo, s18
.LBB369_1222:                           ;   in Loop: Header=BB369_1059 Depth=1
	s_or_b32 exec_lo, exec_lo, s15
.LBB369_1223:                           ;   in Loop: Header=BB369_1059 Depth=1
	s_or_b32 exec_lo, exec_lo, s13
	v_mov_b32_e32 v10, v20
	v_cmp_ne_u16_sdwa s5, v20, v11 src0_sel:BYTE_0 src1_sel:DWORD
	v_mov_b32_e32 v21, 0
	v_mov_b32_e32 v16, 0
	s_and_saveexec_b32 s13, s5
	s_cbranch_execz .LBB369_1231
; %bb.1224:                             ;   in Loop: Header=BB369_1059 Depth=1
	v_cmp_ne_u16_sdwa s5, v20, v68 src0_sel:BYTE_0 src1_sel:DWORD
	v_bfrev_b32_e32 v16, 1
	s_and_saveexec_b32 s15, s5
	s_cbranch_execz .LBB369_1230
; %bb.1225:                             ;   in Loop: Header=BB369_1059 Depth=1
	v_and_b32_e32 v22, 0x7f, v20
	v_mov_b32_e32 v16, 0x7f800001
	s_mov_b32 s18, exec_lo
	v_cmpx_ne_u32_e32 0x7f, v22
	s_cbranch_execz .LBB369_1229
; %bb.1226:                             ;   in Loop: Header=BB369_1059 Depth=1
	v_mov_b32_e32 v24, v11
	v_lshrrev_b32_e32 v16, 3, v22
	v_mov_b32_e32 v23, v10
	s_mov_b32 s20, exec_lo
	v_cmpx_gt_u32_e32 8, v22
; %bb.1227:                             ;   in Loop: Header=BB369_1059 Depth=1
	v_and_b32_e32 v16, 7, v20
	v_ffbh_u32_e32 v16, v16
	v_min_u32_e32 v16, 32, v16
	v_subrev_nc_u32_e32 v22, 28, v16
	v_sub_nc_u32_e32 v16, 29, v16
	v_lshlrev_b64 v[23:24], v22, v[10:11]
; %bb.1228:                             ;   in Loop: Header=BB369_1059 Depth=1
	s_or_b32 exec_lo, exec_lo, s20
	v_lshlrev_b32_e32 v22, 20, v23
	v_lshlrev_b32_e32 v23, 24, v10
	v_lshl_add_u32 v16, v16, 23, 0x3c000000
	v_and_b32_e32 v22, 0x700000, v22
	v_and_b32_e32 v23, 0x80000000, v23
	v_or3_b32 v16, v22, v23, v16
.LBB369_1229:                           ;   in Loop: Header=BB369_1059 Depth=1
	s_or_b32 exec_lo, exec_lo, s18
.LBB369_1230:                           ;   in Loop: Header=BB369_1059 Depth=1
	s_or_b32 exec_lo, exec_lo, s15
.LBB369_1231:                           ;   in Loop: Header=BB369_1059 Depth=1
	s_or_b32 exec_lo, exec_lo, s13
	v_cmp_ne_u16_sdwa s5, v10, v11 src0_sel:BYTE_1 src1_sel:DWORD
	s_and_saveexec_b32 s13, s5
	s_cbranch_execz .LBB369_1239
; %bb.1232:                             ;   in Loop: Header=BB369_1059 Depth=1
	v_cmp_ne_u16_sdwa s5, v10, v68 src0_sel:BYTE_1 src1_sel:DWORD
	v_bfrev_b32_e32 v21, 1
	s_and_saveexec_b32 s15, s5
	s_cbranch_execz .LBB369_1238
; %bb.1233:                             ;   in Loop: Header=BB369_1059 Depth=1
	v_mov_b32_e32 v21, 0xffff
	s_mov_b32 s18, exec_lo
	v_and_b32_sdwa v23, v21, v10 dst_sel:DWORD dst_unused:UNUSED_PAD src0_sel:DWORD src1_sel:BYTE_1
	v_mov_b32_e32 v21, 0x7f800001
	v_and_b32_e32 v22, 0x7f, v23
	v_cmpx_ne_u32_e32 0x7f, v22
	s_cbranch_execz .LBB369_1237
; %bb.1234:                             ;   in Loop: Header=BB369_1059 Depth=1
	v_and_b32_e32 v23, 7, v23
	v_mov_b32_e32 v24, v11
	v_lshrrev_b32_e32 v21, 3, v22
	s_mov_b32 s20, exec_lo
	v_cmpx_gt_u32_e32 8, v22
; %bb.1235:                             ;   in Loop: Header=BB369_1059 Depth=1
	v_ffbh_u32_e32 v21, v23
	v_min_u32_e32 v21, 32, v21
	v_subrev_nc_u32_e32 v22, 28, v21
	v_sub_nc_u32_e32 v21, 29, v21
	v_lshlrev_b64 v[22:23], v22, v[23:24]
	v_and_b32_e32 v23, 7, v22
; %bb.1236:                             ;   in Loop: Header=BB369_1059 Depth=1
	s_or_b32 exec_lo, exec_lo, s20
	v_lshlrev_b32_e32 v10, 16, v10
	v_lshlrev_b32_e32 v22, 20, v23
	v_lshl_add_u32 v21, v21, 23, 0x3c000000
	v_and_b32_e32 v10, 0x80000000, v10
	v_or3_b32 v21, v22, v10, v21
.LBB369_1237:                           ;   in Loop: Header=BB369_1059 Depth=1
	s_or_b32 exec_lo, exec_lo, s18
.LBB369_1238:                           ;   in Loop: Header=BB369_1059 Depth=1
	s_or_b32 exec_lo, exec_lo, s15
.LBB369_1239:                           ;   in Loop: Header=BB369_1059 Depth=1
	s_or_b32 exec_lo, exec_lo, s13
	v_and_b32_sdwa v10, v20, v70 dst_sel:DWORD dst_unused:UNUSED_PAD src0_sel:WORD_1 src1_sel:DWORD
	v_mov_b32_e32 v22, 0
	v_mov_b32_e32 v25, 0
	s_mov_b32 s13, exec_lo
	v_cmpx_ne_u16_e32 0, v10
	s_cbranch_execz .LBB369_1247
; %bb.1240:                             ;   in Loop: Header=BB369_1059 Depth=1
	v_bfrev_b32_e32 v25, 1
	s_mov_b32 s15, exec_lo
	v_cmpx_ne_u16_e32 0x80, v10
	s_cbranch_execz .LBB369_1246
; %bb.1241:                             ;   in Loop: Header=BB369_1059 Depth=1
	v_bfe_u32 v23, v20, 16, 7
	v_mov_b32_e32 v25, 0x7f800001
	s_mov_b32 s18, exec_lo
	v_cmpx_ne_u32_e32 0x7f, v23
	s_cbranch_execz .LBB369_1245
; %bb.1242:                             ;   in Loop: Header=BB369_1059 Depth=1
	v_mov_b32_e32 v10, 7
	v_lshrrev_b32_e32 v25, 3, v23
	v_cmp_gt_u32_e64 s5, 8, v23
	v_and_b32_sdwa v10, v20, v10 dst_sel:DWORD dst_unused:UNUSED_PAD src0_sel:WORD_1 src1_sel:DWORD
	v_mov_b32_e32 v24, v11
	v_mov_b32_e32 v23, v10
	s_and_saveexec_b32 s20, s5
; %bb.1243:                             ;   in Loop: Header=BB369_1059 Depth=1
	v_ffbh_u32_e32 v23, v10
	v_min_u32_e32 v25, 32, v23
	v_subrev_nc_u32_e32 v23, 28, v25
	v_sub_nc_u32_e32 v25, 29, v25
	v_lshlrev_b64 v[23:24], v23, v[10:11]
	v_and_b32_e32 v23, 7, v23
; %bb.1244:                             ;   in Loop: Header=BB369_1059 Depth=1
	s_or_b32 exec_lo, exec_lo, s20
	v_mov_b32_e32 v10, 24
	v_lshlrev_b32_e32 v23, 20, v23
	v_lshl_add_u32 v24, v25, 23, 0x3c000000
	v_lshlrev_b32_sdwa v10, v10, v20 dst_sel:DWORD dst_unused:UNUSED_PAD src0_sel:DWORD src1_sel:WORD_1
	v_and_b32_e32 v10, 0x80000000, v10
	v_or3_b32 v25, v23, v10, v24
.LBB369_1245:                           ;   in Loop: Header=BB369_1059 Depth=1
	s_or_b32 exec_lo, exec_lo, s18
.LBB369_1246:                           ;   in Loop: Header=BB369_1059 Depth=1
	s_or_b32 exec_lo, exec_lo, s15
.LBB369_1247:                           ;   in Loop: Header=BB369_1059 Depth=1
	s_or_b32 exec_lo, exec_lo, s13
	s_mov_b32 s13, exec_lo
	v_cmpx_lt_u64_e64 s[8:9], v[19:20]
	s_cbranch_execz .LBB369_1255
; %bb.1248:                             ;   in Loop: Header=BB369_1059 Depth=1
	v_cmp_ne_u32_sdwa s5, v20, v68 src0_sel:BYTE_3 src1_sel:DWORD
	v_bfrev_b32_e32 v22, 1
	s_and_saveexec_b32 s15, s5
	s_cbranch_execz .LBB369_1254
; %bb.1249:                             ;   in Loop: Header=BB369_1059 Depth=1
	v_bfe_u32 v23, v20, 24, 7
	v_mov_b32_e32 v22, 0x7f800001
	s_mov_b32 s18, exec_lo
	v_cmpx_ne_u32_e32 0x7f, v23
	s_cbranch_execz .LBB369_1253
; %bb.1250:                             ;   in Loop: Header=BB369_1059 Depth=1
	v_mov_b32_e32 v10, 7
	v_lshrrev_b32_e32 v19, 3, v23
	v_cmp_gt_u32_e64 s5, 8, v23
	v_and_b32_sdwa v10, v20, v10 dst_sel:DWORD dst_unused:UNUSED_PAD src0_sel:BYTE_3 src1_sel:DWORD
	v_mov_b32_e32 v24, v11
	v_mov_b32_e32 v23, v10
	s_and_saveexec_b32 s20, s5
; %bb.1251:                             ;   in Loop: Header=BB369_1059 Depth=1
	v_ffbh_u32_e32 v19, v10
	v_min_u32_e32 v19, 32, v19
	v_subrev_nc_u32_e32 v22, 28, v19
	v_sub_nc_u32_e32 v19, 29, v19
	v_lshlrev_b64 v[22:23], v22, v[10:11]
	v_and_b32_e32 v23, 7, v22
; %bb.1252:                             ;   in Loop: Header=BB369_1059 Depth=1
	s_or_b32 exec_lo, exec_lo, s20
	v_mov_b32_e32 v10, 24
	v_lshl_add_u32 v19, v19, 23, 0x3c000000
	v_lshlrev_b32_sdwa v10, v10, v20 dst_sel:DWORD dst_unused:UNUSED_PAD src0_sel:DWORD src1_sel:BYTE_3
	v_lshlrev_b32_e32 v20, 20, v23
	v_and_b32_e32 v10, 0x80000000, v10
	v_or3_b32 v22, v20, v10, v19
.LBB369_1253:                           ;   in Loop: Header=BB369_1059 Depth=1
	s_or_b32 exec_lo, exec_lo, s18
.LBB369_1254:                           ;   in Loop: Header=BB369_1059 Depth=1
	s_or_b32 exec_lo, exec_lo, s15
.LBB369_1255:                           ;   in Loop: Header=BB369_1059 Depth=1
	s_or_b32 exec_lo, exec_lo, s13
	v_mul_f32_e32 v10, v26, v21
	v_mul_f32_e32 v16, v26, v16
	v_mul_f32_e32 v13, v26, v13
	v_mul_f32_e32 v12, v26, v12
	v_mul_f32_e32 v5, v26, v5
	v_bfe_u32 v19, v10, 16, 1
	v_or_b32_e32 v20, 0x400000, v10
	v_bfe_u32 v21, v16, 16, 1
	v_cmp_u_f32_e64 s5, v10, v10
	v_or_b32_e32 v23, 0x400000, v16
	v_add3_u32 v19, v19, v10, 0x7fff
	v_bfe_u32 v24, v13, 16, 1
	v_add3_u32 v21, v21, v16, 0x7fff
	v_or_b32_e32 v27, 0x400000, v13
	v_bfe_u32 v34, v12, 16, 1
	v_cndmask_b32_e64 v10, v19, v20, s5
	v_cmp_u_f32_e64 s5, v16, v16
	v_add3_u32 v24, v24, v13, 0x7fff
	v_or_b32_e32 v19, 0x400000, v12
	v_mul_f32_e32 v4, v26, v4
	v_lshrrev_b32_e32 v10, 16, v10
	v_cndmask_b32_e64 v16, v21, v23, s5
	v_cmp_u_f32_e64 s5, v13, v13
	v_bfe_u32 v20, v4, 16, 1
	buffer_store_dword v10, off, s[0:3], s32 offset:276 ; 4-byte Folded Spill
	v_add3_u32 v10, v34, v12, 0x7fff
	v_cndmask_b32_e64 v13, v24, v27, s5
	v_lshrrev_b32_e32 v16, 16, v16
	v_cmp_u_f32_e64 s5, v12, v12
	v_mul_f32_e32 v12, v26, v25
	v_lshrrev_b32_e32 v13, 16, v13
	buffer_store_dword v16, off, s[0:3], s32 offset:268 ; 4-byte Folded Spill
	v_cndmask_b32_e64 v10, v10, v19, s5
	v_or_b32_e32 v16, 0x400000, v5
	v_cmp_u_f32_e64 s5, v5, v5
	buffer_store_dword v13, off, s[0:3], s32 offset:280 ; 4-byte Folded Spill
	v_bfe_u32 v13, v5, 16, 1
	v_mul_f32_e32 v19, v26, v22
	v_bfe_u32 v21, v12, 16, 1
	v_or_b32_e32 v22, 0x400000, v12
	v_lshrrev_b32_e32 v10, 16, v10
	v_add3_u32 v13, v13, v5, 0x7fff
	v_or_b32_e32 v23, 0x400000, v19
	v_add3_u32 v21, v21, v12, 0x7fff
	buffer_store_dword v10, off, s[0:3], s32 offset:284 ; 4-byte Folded Spill
	v_cndmask_b32_e64 v5, v13, v16, s5
	v_add3_u32 v16, v20, v4, 0x7fff
	v_or_b32_e32 v20, 0x400000, v4
	v_cmp_u_f32_e64 s5, v4, v4
	v_bfe_u32 v13, v19, 16, 1
	v_lshrrev_b32_e32 v5, 16, v5
	v_cndmask_b32_e64 v4, v16, v20, s5
	v_cmp_u_f32_e64 s5, v12, v12
	v_add3_u32 v13, v13, v19, 0x7fff
	buffer_store_dword v5, off, s[0:3], s32 offset:292 ; 4-byte Folded Spill
	v_lshrrev_b32_e32 v4, 16, v4
	v_cndmask_b32_e64 v12, v21, v22, s5
	v_cmp_u_f32_e64 s5, v19, v19
	buffer_store_dword v4, off, s[0:3], s32 offset:288 ; 4-byte Folded Spill
	v_lshrrev_b32_e32 v4, 16, v12
	v_cndmask_b32_e64 v13, v13, v23, s5
	buffer_store_dword v4, off, s[0:3], s32 offset:264 ; 4-byte Folded Spill
	v_lshrrev_b32_e32 v4, 16, v13
	buffer_store_dword v4, off, s[0:3], s32 offset:272 ; 4-byte Folded Spill
	s_and_saveexec_b32 s13, vcc_lo
	s_cbranch_execz .LBB369_1257
; %bb.1256:                             ;   in Loop: Header=BB369_1059 Depth=1
	s_clause 0x1
	buffer_load_dword v4, off, s[0:3], s32 offset:196
	buffer_load_dword v5, off, s[0:3], s32 offset:288
	s_waitcnt vmcnt(1)
	v_cmp_lt_i32_e64 s5, v57, v4
	s_waitcnt vmcnt(0)
	v_cndmask_b32_e64 v5, 0, v5, s5
	v_cmp_lt_i32_e64 s5, v63, v4
	buffer_store_dword v5, off, s[0:3], s32 offset:288 ; 4-byte Folded Spill
	buffer_load_dword v5, off, s[0:3], s32 offset:292 ; 4-byte Folded Reload
	s_waitcnt vmcnt(0)
	v_cndmask_b32_e64 v5, 0, v5, s5
	v_cmp_lt_i32_e64 s5, v62, v4
	buffer_store_dword v5, off, s[0:3], s32 offset:292 ; 4-byte Folded Spill
	buffer_load_dword v5, off, s[0:3], s32 offset:284 ; 4-byte Folded Reload
	;; [unrolled: 5-line block ×6, first 2 shown]
	s_waitcnt vmcnt(0)
	v_cndmask_b32_e64 v5, 0, v5, s5
	v_cmp_lt_i32_e64 s5, v66, v4
	buffer_load_dword v4, off, s[0:3], s32 offset:272 ; 4-byte Folded Reload
	buffer_store_dword v5, off, s[0:3], s32 offset:264 ; 4-byte Folded Spill
	s_waitcnt vmcnt(0)
	v_cndmask_b32_e64 v4, 0, v4, s5
	buffer_store_dword v4, off, s[0:3], s32 offset:272 ; 4-byte Folded Spill
.LBB369_1257:                           ;   in Loop: Header=BB369_1059 Depth=1
	s_or_b32 exec_lo, exec_lo, s13
	flat_load_dwordx2 v[19:20], v[17:18] offset:768
	v_mov_b32_e32 v5, 0
	v_mov_b32_e32 v4, 0
	s_waitcnt vmcnt(0) lgkmcnt(0)
	v_cmp_ne_u16_sdwa s5, v19, v11 src0_sel:BYTE_0 src1_sel:DWORD
	s_and_saveexec_b32 s13, s5
	s_cbranch_execz .LBB369_1265
; %bb.1258:                             ;   in Loop: Header=BB369_1059 Depth=1
	v_cmp_ne_u16_sdwa s5, v19, v68 src0_sel:BYTE_0 src1_sel:DWORD
	v_bfrev_b32_e32 v4, 1
	s_and_saveexec_b32 s15, s5
	s_cbranch_execz .LBB369_1264
; %bb.1259:                             ;   in Loop: Header=BB369_1059 Depth=1
	v_and_b32_e32 v10, 0x7f, v19
	v_mov_b32_e32 v4, 0x7f800001
	s_mov_b32 s18, exec_lo
	v_cmpx_ne_u32_e32 0x7f, v10
	s_cbranch_execz .LBB369_1263
; %bb.1260:                             ;   in Loop: Header=BB369_1059 Depth=1
	v_mov_b32_e32 v24, v20
	v_lshrrev_b32_e32 v4, 3, v10
	v_mov_b32_e32 v23, v19
	s_mov_b32 s20, exec_lo
	v_cmpx_gt_u32_e32 8, v10
; %bb.1261:                             ;   in Loop: Header=BB369_1059 Depth=1
	v_and_b32_e32 v4, 7, v19
	v_ffbh_u32_e32 v4, v4
	v_min_u32_e32 v4, 32, v4
	v_subrev_nc_u32_e32 v10, 28, v4
	v_sub_nc_u32_e32 v4, 29, v4
	v_lshlrev_b64 v[23:24], v10, v[19:20]
; %bb.1262:                             ;   in Loop: Header=BB369_1059 Depth=1
	s_or_b32 exec_lo, exec_lo, s20
	v_lshlrev_b32_e32 v10, 20, v23
	v_lshlrev_b32_e32 v12, 24, v19
	v_lshl_add_u32 v4, v4, 23, 0x3c000000
	v_and_b32_e32 v10, 0x700000, v10
	v_and_b32_e32 v12, 0x80000000, v12
	v_or3_b32 v4, v10, v12, v4
.LBB369_1263:                           ;   in Loop: Header=BB369_1059 Depth=1
	s_or_b32 exec_lo, exec_lo, s18
.LBB369_1264:                           ;   in Loop: Header=BB369_1059 Depth=1
	s_or_b32 exec_lo, exec_lo, s15
.LBB369_1265:                           ;   in Loop: Header=BB369_1059 Depth=1
	s_or_b32 exec_lo, exec_lo, s13
	v_cmp_ne_u16_sdwa s5, v19, v11 src0_sel:BYTE_1 src1_sel:DWORD
	s_and_saveexec_b32 s13, s5
	s_cbranch_execz .LBB369_1273
; %bb.1266:                             ;   in Loop: Header=BB369_1059 Depth=1
	v_cmp_ne_u16_sdwa s5, v19, v68 src0_sel:BYTE_1 src1_sel:DWORD
	v_bfrev_b32_e32 v5, 1
	s_and_saveexec_b32 s15, s5
	s_cbranch_execz .LBB369_1272
; %bb.1267:                             ;   in Loop: Header=BB369_1059 Depth=1
	v_mov_b32_e32 v5, 0xffff
	s_mov_b32 s18, exec_lo
	v_and_b32_sdwa v10, v5, v19 dst_sel:DWORD dst_unused:UNUSED_PAD src0_sel:DWORD src1_sel:BYTE_1
	v_mov_b32_e32 v5, 0x7f800001
	v_and_b32_e32 v12, 0x7f, v10
	v_cmpx_ne_u32_e32 0x7f, v12
	s_cbranch_execz .LBB369_1271
; %bb.1268:                             ;   in Loop: Header=BB369_1059 Depth=1
	v_and_b32_e32 v10, 7, v10
	v_mov_b32_e32 v24, v11
	v_lshrrev_b32_e32 v5, 3, v12
	s_mov_b32 s20, exec_lo
	v_mov_b32_e32 v23, v10
	v_cmpx_gt_u32_e32 8, v12
; %bb.1269:                             ;   in Loop: Header=BB369_1059 Depth=1
	v_ffbh_u32_e32 v5, v10
	v_min_u32_e32 v5, 32, v5
	v_subrev_nc_u32_e32 v12, 28, v5
	v_sub_nc_u32_e32 v5, 29, v5
	v_lshlrev_b64 v[12:13], v12, v[10:11]
	v_and_b32_e32 v23, 7, v12
; %bb.1270:                             ;   in Loop: Header=BB369_1059 Depth=1
	s_or_b32 exec_lo, exec_lo, s20
	v_lshlrev_b32_e32 v10, 16, v19
	v_lshlrev_b32_e32 v12, 20, v23
	v_lshl_add_u32 v5, v5, 23, 0x3c000000
	v_and_b32_e32 v10, 0x80000000, v10
	v_or3_b32 v5, v12, v10, v5
.LBB369_1271:                           ;   in Loop: Header=BB369_1059 Depth=1
	s_or_b32 exec_lo, exec_lo, s18
.LBB369_1272:                           ;   in Loop: Header=BB369_1059 Depth=1
	s_or_b32 exec_lo, exec_lo, s15
.LBB369_1273:                           ;   in Loop: Header=BB369_1059 Depth=1
	s_or_b32 exec_lo, exec_lo, s13
	v_and_b32_sdwa v10, v19, v70 dst_sel:DWORD dst_unused:UNUSED_PAD src0_sel:WORD_1 src1_sel:DWORD
	v_mov_b32_e32 v13, 0
	v_mov_b32_e32 v12, 0
	s_mov_b32 s13, exec_lo
	v_cmpx_ne_u16_e32 0, v10
	s_cbranch_execz .LBB369_1281
; %bb.1274:                             ;   in Loop: Header=BB369_1059 Depth=1
	v_bfrev_b32_e32 v12, 1
	s_mov_b32 s15, exec_lo
	v_cmpx_ne_u16_e32 0x80, v10
	s_cbranch_execz .LBB369_1280
; %bb.1275:                             ;   in Loop: Header=BB369_1059 Depth=1
	v_bfe_u32 v16, v19, 16, 7
	v_mov_b32_e32 v12, 0x7f800001
	s_mov_b32 s18, exec_lo
	v_cmpx_ne_u32_e32 0x7f, v16
	s_cbranch_execz .LBB369_1279
; %bb.1276:                             ;   in Loop: Header=BB369_1059 Depth=1
	v_mov_b32_e32 v10, 7
	v_lshrrev_b32_e32 v12, 3, v16
	s_mov_b32 s20, exec_lo
	v_and_b32_sdwa v10, v19, v10 dst_sel:DWORD dst_unused:UNUSED_PAD src0_sel:WORD_1 src1_sel:DWORD
	v_mov_b32_e32 v24, v11
	v_mov_b32_e32 v23, v10
	v_cmpx_gt_u32_e32 8, v16
; %bb.1277:                             ;   in Loop: Header=BB369_1059 Depth=1
	v_ffbh_u32_e32 v12, v10
	v_min_u32_e32 v12, 32, v12
	v_subrev_nc_u32_e32 v16, 28, v12
	v_sub_nc_u32_e32 v12, 29, v12
	v_lshlrev_b64 v[21:22], v16, v[10:11]
	v_and_b32_e32 v23, 7, v21
; %bb.1278:                             ;   in Loop: Header=BB369_1059 Depth=1
	s_or_b32 exec_lo, exec_lo, s20
	v_mov_b32_e32 v10, 24
	v_lshlrev_b32_e32 v16, 20, v23
	v_lshl_add_u32 v12, v12, 23, 0x3c000000
	v_lshlrev_b32_sdwa v10, v10, v19 dst_sel:DWORD dst_unused:UNUSED_PAD src0_sel:DWORD src1_sel:WORD_1
	v_and_b32_e32 v10, 0x80000000, v10
	v_or3_b32 v12, v16, v10, v12
.LBB369_1279:                           ;   in Loop: Header=BB369_1059 Depth=1
	s_or_b32 exec_lo, exec_lo, s18
.LBB369_1280:                           ;   in Loop: Header=BB369_1059 Depth=1
	s_or_b32 exec_lo, exec_lo, s15
.LBB369_1281:                           ;   in Loop: Header=BB369_1059 Depth=1
	s_or_b32 exec_lo, exec_lo, s13
	s_mov_b32 s13, exec_lo
	v_cmpx_lt_u32_e32 0xffffff, v19
	s_cbranch_execz .LBB369_1289
; %bb.1282:                             ;   in Loop: Header=BB369_1059 Depth=1
	v_cmp_ne_u32_sdwa s5, v19, v68 src0_sel:BYTE_3 src1_sel:DWORD
	v_bfrev_b32_e32 v13, 1
	s_and_saveexec_b32 s15, s5
	s_cbranch_execz .LBB369_1288
; %bb.1283:                             ;   in Loop: Header=BB369_1059 Depth=1
	v_bfe_u32 v16, v19, 24, 7
	v_mov_b32_e32 v13, 0x7f800001
	s_mov_b32 s18, exec_lo
	v_cmpx_ne_u32_e32 0x7f, v16
	s_cbranch_execz .LBB369_1287
; %bb.1284:                             ;   in Loop: Header=BB369_1059 Depth=1
	v_mov_b32_e32 v10, 7
	v_lshrrev_b32_e32 v13, 3, v16
	s_mov_b32 s20, exec_lo
	v_and_b32_sdwa v10, v19, v10 dst_sel:DWORD dst_unused:UNUSED_PAD src0_sel:BYTE_3 src1_sel:DWORD
	v_mov_b32_e32 v24, v11
	v_mov_b32_e32 v23, v10
	v_cmpx_gt_u32_e32 8, v16
; %bb.1285:                             ;   in Loop: Header=BB369_1059 Depth=1
	v_ffbh_u32_e32 v13, v10
	v_min_u32_e32 v13, 32, v13
	v_subrev_nc_u32_e32 v16, 28, v13
	v_sub_nc_u32_e32 v13, 29, v13
	v_lshlrev_b64 v[21:22], v16, v[10:11]
	v_and_b32_e32 v23, 7, v21
; %bb.1286:                             ;   in Loop: Header=BB369_1059 Depth=1
	s_or_b32 exec_lo, exec_lo, s20
	v_mov_b32_e32 v10, 24
	v_lshlrev_b32_e32 v16, 20, v23
	v_lshl_add_u32 v13, v13, 23, 0x3c000000
	v_lshlrev_b32_sdwa v10, v10, v19 dst_sel:DWORD dst_unused:UNUSED_PAD src0_sel:DWORD src1_sel:BYTE_3
	v_and_b32_e32 v10, 0x80000000, v10
	v_or3_b32 v13, v16, v10, v13
.LBB369_1287:                           ;   in Loop: Header=BB369_1059 Depth=1
	s_or_b32 exec_lo, exec_lo, s18
.LBB369_1288:                           ;   in Loop: Header=BB369_1059 Depth=1
	s_or_b32 exec_lo, exec_lo, s15
.LBB369_1289:                           ;   in Loop: Header=BB369_1059 Depth=1
	s_or_b32 exec_lo, exec_lo, s13
	v_mov_b32_e32 v10, v20
	v_cmp_ne_u16_sdwa s5, v20, v11 src0_sel:BYTE_0 src1_sel:DWORD
	v_mov_b32_e32 v21, 0
	v_mov_b32_e32 v16, 0
	s_and_saveexec_b32 s13, s5
	s_cbranch_execz .LBB369_1297
; %bb.1290:                             ;   in Loop: Header=BB369_1059 Depth=1
	v_cmp_ne_u16_sdwa s5, v20, v68 src0_sel:BYTE_0 src1_sel:DWORD
	v_bfrev_b32_e32 v16, 1
	s_and_saveexec_b32 s15, s5
	s_cbranch_execz .LBB369_1296
; %bb.1291:                             ;   in Loop: Header=BB369_1059 Depth=1
	v_and_b32_e32 v22, 0x7f, v20
	v_mov_b32_e32 v16, 0x7f800001
	s_mov_b32 s18, exec_lo
	v_cmpx_ne_u32_e32 0x7f, v22
	s_cbranch_execz .LBB369_1295
; %bb.1292:                             ;   in Loop: Header=BB369_1059 Depth=1
	v_mov_b32_e32 v24, v11
	v_lshrrev_b32_e32 v16, 3, v22
	v_mov_b32_e32 v23, v10
	s_mov_b32 s20, exec_lo
	v_cmpx_gt_u32_e32 8, v22
; %bb.1293:                             ;   in Loop: Header=BB369_1059 Depth=1
	v_and_b32_e32 v16, 7, v20
	v_ffbh_u32_e32 v16, v16
	v_min_u32_e32 v16, 32, v16
	v_subrev_nc_u32_e32 v22, 28, v16
	v_sub_nc_u32_e32 v16, 29, v16
	v_lshlrev_b64 v[23:24], v22, v[10:11]
; %bb.1294:                             ;   in Loop: Header=BB369_1059 Depth=1
	s_or_b32 exec_lo, exec_lo, s20
	v_lshlrev_b32_e32 v22, 20, v23
	v_lshlrev_b32_e32 v23, 24, v10
	v_lshl_add_u32 v16, v16, 23, 0x3c000000
	v_and_b32_e32 v22, 0x700000, v22
	v_and_b32_e32 v23, 0x80000000, v23
	v_or3_b32 v16, v22, v23, v16
.LBB369_1295:                           ;   in Loop: Header=BB369_1059 Depth=1
	s_or_b32 exec_lo, exec_lo, s18
.LBB369_1296:                           ;   in Loop: Header=BB369_1059 Depth=1
	s_or_b32 exec_lo, exec_lo, s15
.LBB369_1297:                           ;   in Loop: Header=BB369_1059 Depth=1
	s_or_b32 exec_lo, exec_lo, s13
	v_cmp_ne_u16_sdwa s5, v10, v11 src0_sel:BYTE_1 src1_sel:DWORD
	s_and_saveexec_b32 s13, s5
	s_cbranch_execz .LBB369_1305
; %bb.1298:                             ;   in Loop: Header=BB369_1059 Depth=1
	v_cmp_ne_u16_sdwa s5, v10, v68 src0_sel:BYTE_1 src1_sel:DWORD
	v_bfrev_b32_e32 v21, 1
	s_and_saveexec_b32 s15, s5
	s_cbranch_execz .LBB369_1304
; %bb.1299:                             ;   in Loop: Header=BB369_1059 Depth=1
	v_mov_b32_e32 v21, 0xffff
	s_mov_b32 s18, exec_lo
	v_and_b32_sdwa v23, v21, v10 dst_sel:DWORD dst_unused:UNUSED_PAD src0_sel:DWORD src1_sel:BYTE_1
	v_mov_b32_e32 v21, 0x7f800001
	v_and_b32_e32 v22, 0x7f, v23
	v_cmpx_ne_u32_e32 0x7f, v22
	s_cbranch_execz .LBB369_1303
; %bb.1300:                             ;   in Loop: Header=BB369_1059 Depth=1
	v_and_b32_e32 v23, 7, v23
	v_mov_b32_e32 v24, v11
	v_lshrrev_b32_e32 v21, 3, v22
	s_mov_b32 s20, exec_lo
	v_cmpx_gt_u32_e32 8, v22
; %bb.1301:                             ;   in Loop: Header=BB369_1059 Depth=1
	v_ffbh_u32_e32 v21, v23
	v_min_u32_e32 v21, 32, v21
	v_subrev_nc_u32_e32 v22, 28, v21
	v_sub_nc_u32_e32 v21, 29, v21
	v_lshlrev_b64 v[22:23], v22, v[23:24]
	v_and_b32_e32 v23, 7, v22
; %bb.1302:                             ;   in Loop: Header=BB369_1059 Depth=1
	s_or_b32 exec_lo, exec_lo, s20
	v_lshlrev_b32_e32 v10, 16, v10
	v_lshlrev_b32_e32 v22, 20, v23
	v_lshl_add_u32 v21, v21, 23, 0x3c000000
	v_and_b32_e32 v10, 0x80000000, v10
	v_or3_b32 v21, v22, v10, v21
.LBB369_1303:                           ;   in Loop: Header=BB369_1059 Depth=1
	s_or_b32 exec_lo, exec_lo, s18
.LBB369_1304:                           ;   in Loop: Header=BB369_1059 Depth=1
	s_or_b32 exec_lo, exec_lo, s15
.LBB369_1305:                           ;   in Loop: Header=BB369_1059 Depth=1
	s_or_b32 exec_lo, exec_lo, s13
	v_and_b32_sdwa v10, v20, v70 dst_sel:DWORD dst_unused:UNUSED_PAD src0_sel:WORD_1 src1_sel:DWORD
	v_mov_b32_e32 v22, 0
	v_mov_b32_e32 v25, 0
	s_mov_b32 s13, exec_lo
	v_cmpx_ne_u16_e32 0, v10
	s_cbranch_execz .LBB369_1313
; %bb.1306:                             ;   in Loop: Header=BB369_1059 Depth=1
	v_bfrev_b32_e32 v25, 1
	s_mov_b32 s15, exec_lo
	v_cmpx_ne_u16_e32 0x80, v10
	s_cbranch_execz .LBB369_1312
; %bb.1307:                             ;   in Loop: Header=BB369_1059 Depth=1
	v_bfe_u32 v23, v20, 16, 7
	v_mov_b32_e32 v25, 0x7f800001
	s_mov_b32 s18, exec_lo
	v_cmpx_ne_u32_e32 0x7f, v23
	s_cbranch_execz .LBB369_1311
; %bb.1308:                             ;   in Loop: Header=BB369_1059 Depth=1
	v_mov_b32_e32 v10, 7
	v_lshrrev_b32_e32 v25, 3, v23
	v_cmp_gt_u32_e64 s5, 8, v23
	v_and_b32_sdwa v10, v20, v10 dst_sel:DWORD dst_unused:UNUSED_PAD src0_sel:WORD_1 src1_sel:DWORD
	v_mov_b32_e32 v24, v11
	v_mov_b32_e32 v23, v10
	s_and_saveexec_b32 s20, s5
; %bb.1309:                             ;   in Loop: Header=BB369_1059 Depth=1
	v_ffbh_u32_e32 v23, v10
	v_min_u32_e32 v25, 32, v23
	v_subrev_nc_u32_e32 v23, 28, v25
	v_sub_nc_u32_e32 v25, 29, v25
	v_lshlrev_b64 v[23:24], v23, v[10:11]
	v_and_b32_e32 v23, 7, v23
; %bb.1310:                             ;   in Loop: Header=BB369_1059 Depth=1
	s_or_b32 exec_lo, exec_lo, s20
	v_mov_b32_e32 v10, 24
	v_lshlrev_b32_e32 v23, 20, v23
	v_lshl_add_u32 v24, v25, 23, 0x3c000000
	v_lshlrev_b32_sdwa v10, v10, v20 dst_sel:DWORD dst_unused:UNUSED_PAD src0_sel:DWORD src1_sel:WORD_1
	v_and_b32_e32 v10, 0x80000000, v10
	v_or3_b32 v25, v23, v10, v24
.LBB369_1311:                           ;   in Loop: Header=BB369_1059 Depth=1
	s_or_b32 exec_lo, exec_lo, s18
.LBB369_1312:                           ;   in Loop: Header=BB369_1059 Depth=1
	s_or_b32 exec_lo, exec_lo, s15
.LBB369_1313:                           ;   in Loop: Header=BB369_1059 Depth=1
	s_or_b32 exec_lo, exec_lo, s13
	s_mov_b32 s13, exec_lo
	v_cmpx_lt_u64_e64 s[8:9], v[19:20]
	s_cbranch_execz .LBB369_1321
; %bb.1314:                             ;   in Loop: Header=BB369_1059 Depth=1
	v_cmp_ne_u32_sdwa s5, v20, v68 src0_sel:BYTE_3 src1_sel:DWORD
	v_bfrev_b32_e32 v22, 1
	s_and_saveexec_b32 s15, s5
	s_cbranch_execz .LBB369_1320
; %bb.1315:                             ;   in Loop: Header=BB369_1059 Depth=1
	v_bfe_u32 v23, v20, 24, 7
	v_mov_b32_e32 v22, 0x7f800001
	s_mov_b32 s18, exec_lo
	v_cmpx_ne_u32_e32 0x7f, v23
	s_cbranch_execz .LBB369_1319
; %bb.1316:                             ;   in Loop: Header=BB369_1059 Depth=1
	v_mov_b32_e32 v10, 7
	v_lshrrev_b32_e32 v19, 3, v23
	v_cmp_gt_u32_e64 s5, 8, v23
	v_and_b32_sdwa v10, v20, v10 dst_sel:DWORD dst_unused:UNUSED_PAD src0_sel:BYTE_3 src1_sel:DWORD
	v_mov_b32_e32 v24, v11
	v_mov_b32_e32 v23, v10
	s_and_saveexec_b32 s20, s5
; %bb.1317:                             ;   in Loop: Header=BB369_1059 Depth=1
	v_ffbh_u32_e32 v19, v10
	v_min_u32_e32 v19, 32, v19
	v_subrev_nc_u32_e32 v22, 28, v19
	v_sub_nc_u32_e32 v19, 29, v19
	v_lshlrev_b64 v[22:23], v22, v[10:11]
	v_and_b32_e32 v23, 7, v22
; %bb.1318:                             ;   in Loop: Header=BB369_1059 Depth=1
	s_or_b32 exec_lo, exec_lo, s20
	v_mov_b32_e32 v10, 24
	v_lshl_add_u32 v19, v19, 23, 0x3c000000
	v_lshlrev_b32_sdwa v10, v10, v20 dst_sel:DWORD dst_unused:UNUSED_PAD src0_sel:DWORD src1_sel:BYTE_3
	v_lshlrev_b32_e32 v20, 20, v23
	v_and_b32_e32 v10, 0x80000000, v10
	v_or3_b32 v22, v20, v10, v19
.LBB369_1319:                           ;   in Loop: Header=BB369_1059 Depth=1
	s_or_b32 exec_lo, exec_lo, s18
.LBB369_1320:                           ;   in Loop: Header=BB369_1059 Depth=1
	s_or_b32 exec_lo, exec_lo, s15
.LBB369_1321:                           ;   in Loop: Header=BB369_1059 Depth=1
	s_or_b32 exec_lo, exec_lo, s13
	v_mul_f32_e32 v10, v26, v21
	v_mul_f32_e32 v16, v26, v16
	;; [unrolled: 1-line block ×5, first 2 shown]
	v_bfe_u32 v19, v10, 16, 1
	v_or_b32_e32 v20, 0x400000, v10
	v_bfe_u32 v21, v16, 16, 1
	v_cmp_u_f32_e64 s5, v10, v10
	v_or_b32_e32 v23, 0x400000, v16
	v_add3_u32 v19, v19, v10, 0x7fff
	v_bfe_u32 v24, v13, 16, 1
	v_add3_u32 v21, v21, v16, 0x7fff
	v_or_b32_e32 v27, 0x400000, v13
	v_bfe_u32 v34, v12, 16, 1
	v_cndmask_b32_e64 v10, v19, v20, s5
	v_cmp_u_f32_e64 s5, v16, v16
	v_add3_u32 v24, v24, v13, 0x7fff
	v_or_b32_e32 v19, 0x400000, v12
	v_mul_f32_e32 v4, v26, v4
	v_lshrrev_b32_e32 v10, 16, v10
	v_cndmask_b32_e64 v16, v21, v23, s5
	v_cmp_u_f32_e64 s5, v13, v13
	v_bfe_u32 v20, v4, 16, 1
	buffer_store_dword v10, off, s[0:3], s32 offset:304 ; 4-byte Folded Spill
	v_add3_u32 v10, v34, v12, 0x7fff
	v_cndmask_b32_e64 v13, v24, v27, s5
	v_lshrrev_b32_e32 v16, 16, v16
	v_cmp_u_f32_e64 s5, v12, v12
	v_mul_f32_e32 v12, v26, v25
	v_lshrrev_b32_e32 v13, 16, v13
	buffer_store_dword v16, off, s[0:3], s32 offset:300 ; 4-byte Folded Spill
	v_cndmask_b32_e64 v10, v10, v19, s5
	v_or_b32_e32 v16, 0x400000, v5
	v_cmp_u_f32_e64 s5, v5, v5
	buffer_store_dword v13, off, s[0:3], s32 offset:316 ; 4-byte Folded Spill
	v_bfe_u32 v13, v5, 16, 1
	v_mul_f32_e32 v19, v26, v22
	v_bfe_u32 v21, v12, 16, 1
	v_or_b32_e32 v22, 0x400000, v12
	v_lshrrev_b32_e32 v10, 16, v10
	v_add3_u32 v13, v13, v5, 0x7fff
	v_or_b32_e32 v23, 0x400000, v19
	v_add3_u32 v21, v21, v12, 0x7fff
	buffer_store_dword v10, off, s[0:3], s32 offset:320 ; 4-byte Folded Spill
	v_cndmask_b32_e64 v5, v13, v16, s5
	v_add3_u32 v16, v20, v4, 0x7fff
	v_or_b32_e32 v20, 0x400000, v4
	v_cmp_u_f32_e64 s5, v4, v4
	v_bfe_u32 v13, v19, 16, 1
	v_lshrrev_b32_e32 v5, 16, v5
	v_cndmask_b32_e64 v4, v16, v20, s5
	v_cmp_u_f32_e64 s5, v12, v12
	v_add3_u32 v13, v13, v19, 0x7fff
	buffer_store_dword v5, off, s[0:3], s32 offset:328 ; 4-byte Folded Spill
	v_lshrrev_b32_e32 v4, 16, v4
	v_cndmask_b32_e64 v12, v21, v22, s5
	v_cmp_u_f32_e64 s5, v19, v19
	buffer_store_dword v4, off, s[0:3], s32 offset:324 ; 4-byte Folded Spill
	v_lshrrev_b32_e32 v4, 16, v12
	v_cndmask_b32_e64 v13, v13, v23, s5
	buffer_store_dword v4, off, s[0:3], s32 offset:296 ; 4-byte Folded Spill
	v_lshrrev_b32_e32 v4, 16, v13
	buffer_store_dword v4, off, s[0:3], s32 offset:312 ; 4-byte Folded Spill
	s_and_saveexec_b32 s13, vcc_lo
	s_cbranch_execz .LBB369_1323
; %bb.1322:                             ;   in Loop: Header=BB369_1059 Depth=1
	s_clause 0x1
	buffer_load_dword v4, off, s[0:3], s32 offset:196
	buffer_load_dword v5, off, s[0:3], s32 offset:324
	s_waitcnt vmcnt(1)
	v_cmp_lt_i32_e64 s5, v57, v4
	s_waitcnt vmcnt(0)
	v_cndmask_b32_e64 v5, 0, v5, s5
	v_cmp_lt_i32_e64 s5, v63, v4
	buffer_store_dword v5, off, s[0:3], s32 offset:324 ; 4-byte Folded Spill
	buffer_load_dword v5, off, s[0:3], s32 offset:328 ; 4-byte Folded Reload
	s_waitcnt vmcnt(0)
	v_cndmask_b32_e64 v5, 0, v5, s5
	v_cmp_lt_i32_e64 s5, v62, v4
	buffer_store_dword v5, off, s[0:3], s32 offset:328 ; 4-byte Folded Spill
	buffer_load_dword v5, off, s[0:3], s32 offset:320 ; 4-byte Folded Reload
	;; [unrolled: 5-line block ×6, first 2 shown]
	s_waitcnt vmcnt(0)
	v_cndmask_b32_e64 v5, 0, v5, s5
	v_cmp_lt_i32_e64 s5, v66, v4
	buffer_load_dword v4, off, s[0:3], s32 offset:312 ; 4-byte Folded Reload
	buffer_store_dword v5, off, s[0:3], s32 offset:296 ; 4-byte Folded Spill
	s_waitcnt vmcnt(0)
	v_cndmask_b32_e64 v4, 0, v4, s5
	buffer_store_dword v4, off, s[0:3], s32 offset:312 ; 4-byte Folded Spill
.LBB369_1323:                           ;   in Loop: Header=BB369_1059 Depth=1
	s_or_b32 exec_lo, exec_lo, s13
	flat_load_dwordx2 v[19:20], v[17:18] offset:1024
	v_mov_b32_e32 v5, 0
	v_mov_b32_e32 v4, 0
	s_waitcnt vmcnt(0) lgkmcnt(0)
	v_cmp_ne_u16_sdwa s5, v19, v11 src0_sel:BYTE_0 src1_sel:DWORD
	s_and_saveexec_b32 s13, s5
	s_cbranch_execz .LBB369_1331
; %bb.1324:                             ;   in Loop: Header=BB369_1059 Depth=1
	v_cmp_ne_u16_sdwa s5, v19, v68 src0_sel:BYTE_0 src1_sel:DWORD
	v_bfrev_b32_e32 v4, 1
	s_and_saveexec_b32 s15, s5
	s_cbranch_execz .LBB369_1330
; %bb.1325:                             ;   in Loop: Header=BB369_1059 Depth=1
	v_and_b32_e32 v10, 0x7f, v19
	v_mov_b32_e32 v4, 0x7f800001
	s_mov_b32 s18, exec_lo
	v_cmpx_ne_u32_e32 0x7f, v10
	s_cbranch_execz .LBB369_1329
; %bb.1326:                             ;   in Loop: Header=BB369_1059 Depth=1
	v_mov_b32_e32 v24, v20
	v_lshrrev_b32_e32 v4, 3, v10
	v_mov_b32_e32 v23, v19
	s_mov_b32 s20, exec_lo
	v_cmpx_gt_u32_e32 8, v10
; %bb.1327:                             ;   in Loop: Header=BB369_1059 Depth=1
	v_and_b32_e32 v4, 7, v19
	v_ffbh_u32_e32 v4, v4
	v_min_u32_e32 v4, 32, v4
	v_subrev_nc_u32_e32 v10, 28, v4
	v_sub_nc_u32_e32 v4, 29, v4
	v_lshlrev_b64 v[23:24], v10, v[19:20]
; %bb.1328:                             ;   in Loop: Header=BB369_1059 Depth=1
	s_or_b32 exec_lo, exec_lo, s20
	v_lshlrev_b32_e32 v10, 20, v23
	v_lshlrev_b32_e32 v12, 24, v19
	v_lshl_add_u32 v4, v4, 23, 0x3c000000
	v_and_b32_e32 v10, 0x700000, v10
	v_and_b32_e32 v12, 0x80000000, v12
	v_or3_b32 v4, v10, v12, v4
.LBB369_1329:                           ;   in Loop: Header=BB369_1059 Depth=1
	s_or_b32 exec_lo, exec_lo, s18
.LBB369_1330:                           ;   in Loop: Header=BB369_1059 Depth=1
	s_or_b32 exec_lo, exec_lo, s15
.LBB369_1331:                           ;   in Loop: Header=BB369_1059 Depth=1
	s_or_b32 exec_lo, exec_lo, s13
	v_cmp_ne_u16_sdwa s5, v19, v11 src0_sel:BYTE_1 src1_sel:DWORD
	s_and_saveexec_b32 s13, s5
	s_cbranch_execz .LBB369_1339
; %bb.1332:                             ;   in Loop: Header=BB369_1059 Depth=1
	v_cmp_ne_u16_sdwa s5, v19, v68 src0_sel:BYTE_1 src1_sel:DWORD
	v_bfrev_b32_e32 v5, 1
	s_and_saveexec_b32 s15, s5
	s_cbranch_execz .LBB369_1338
; %bb.1333:                             ;   in Loop: Header=BB369_1059 Depth=1
	v_mov_b32_e32 v5, 0xffff
	s_mov_b32 s18, exec_lo
	v_and_b32_sdwa v10, v5, v19 dst_sel:DWORD dst_unused:UNUSED_PAD src0_sel:DWORD src1_sel:BYTE_1
	v_mov_b32_e32 v5, 0x7f800001
	v_and_b32_e32 v12, 0x7f, v10
	v_cmpx_ne_u32_e32 0x7f, v12
	s_cbranch_execz .LBB369_1337
; %bb.1334:                             ;   in Loop: Header=BB369_1059 Depth=1
	v_and_b32_e32 v10, 7, v10
	v_mov_b32_e32 v24, v11
	v_lshrrev_b32_e32 v5, 3, v12
	s_mov_b32 s20, exec_lo
	v_mov_b32_e32 v23, v10
	v_cmpx_gt_u32_e32 8, v12
; %bb.1335:                             ;   in Loop: Header=BB369_1059 Depth=1
	v_ffbh_u32_e32 v5, v10
	v_min_u32_e32 v5, 32, v5
	v_subrev_nc_u32_e32 v12, 28, v5
	v_sub_nc_u32_e32 v5, 29, v5
	v_lshlrev_b64 v[12:13], v12, v[10:11]
	v_and_b32_e32 v23, 7, v12
; %bb.1336:                             ;   in Loop: Header=BB369_1059 Depth=1
	s_or_b32 exec_lo, exec_lo, s20
	v_lshlrev_b32_e32 v10, 16, v19
	v_lshlrev_b32_e32 v12, 20, v23
	v_lshl_add_u32 v5, v5, 23, 0x3c000000
	v_and_b32_e32 v10, 0x80000000, v10
	v_or3_b32 v5, v12, v10, v5
.LBB369_1337:                           ;   in Loop: Header=BB369_1059 Depth=1
	s_or_b32 exec_lo, exec_lo, s18
.LBB369_1338:                           ;   in Loop: Header=BB369_1059 Depth=1
	s_or_b32 exec_lo, exec_lo, s15
.LBB369_1339:                           ;   in Loop: Header=BB369_1059 Depth=1
	s_or_b32 exec_lo, exec_lo, s13
	v_and_b32_sdwa v10, v19, v70 dst_sel:DWORD dst_unused:UNUSED_PAD src0_sel:WORD_1 src1_sel:DWORD
	v_mov_b32_e32 v13, 0
	v_mov_b32_e32 v12, 0
	s_mov_b32 s13, exec_lo
	v_cmpx_ne_u16_e32 0, v10
	s_cbranch_execz .LBB369_1347
; %bb.1340:                             ;   in Loop: Header=BB369_1059 Depth=1
	v_bfrev_b32_e32 v12, 1
	s_mov_b32 s15, exec_lo
	v_cmpx_ne_u16_e32 0x80, v10
	s_cbranch_execz .LBB369_1346
; %bb.1341:                             ;   in Loop: Header=BB369_1059 Depth=1
	v_bfe_u32 v16, v19, 16, 7
	v_mov_b32_e32 v12, 0x7f800001
	s_mov_b32 s18, exec_lo
	v_cmpx_ne_u32_e32 0x7f, v16
	s_cbranch_execz .LBB369_1345
; %bb.1342:                             ;   in Loop: Header=BB369_1059 Depth=1
	v_mov_b32_e32 v10, 7
	v_lshrrev_b32_e32 v12, 3, v16
	s_mov_b32 s20, exec_lo
	v_and_b32_sdwa v10, v19, v10 dst_sel:DWORD dst_unused:UNUSED_PAD src0_sel:WORD_1 src1_sel:DWORD
	v_mov_b32_e32 v24, v11
	v_mov_b32_e32 v23, v10
	v_cmpx_gt_u32_e32 8, v16
; %bb.1343:                             ;   in Loop: Header=BB369_1059 Depth=1
	v_ffbh_u32_e32 v12, v10
	v_min_u32_e32 v12, 32, v12
	v_subrev_nc_u32_e32 v16, 28, v12
	v_sub_nc_u32_e32 v12, 29, v12
	v_lshlrev_b64 v[21:22], v16, v[10:11]
	v_and_b32_e32 v23, 7, v21
; %bb.1344:                             ;   in Loop: Header=BB369_1059 Depth=1
	s_or_b32 exec_lo, exec_lo, s20
	v_mov_b32_e32 v10, 24
	v_lshlrev_b32_e32 v16, 20, v23
	v_lshl_add_u32 v12, v12, 23, 0x3c000000
	v_lshlrev_b32_sdwa v10, v10, v19 dst_sel:DWORD dst_unused:UNUSED_PAD src0_sel:DWORD src1_sel:WORD_1
	v_and_b32_e32 v10, 0x80000000, v10
	v_or3_b32 v12, v16, v10, v12
.LBB369_1345:                           ;   in Loop: Header=BB369_1059 Depth=1
	s_or_b32 exec_lo, exec_lo, s18
.LBB369_1346:                           ;   in Loop: Header=BB369_1059 Depth=1
	s_or_b32 exec_lo, exec_lo, s15
.LBB369_1347:                           ;   in Loop: Header=BB369_1059 Depth=1
	s_or_b32 exec_lo, exec_lo, s13
	s_mov_b32 s13, exec_lo
	v_cmpx_lt_u32_e32 0xffffff, v19
	s_cbranch_execz .LBB369_1355
; %bb.1348:                             ;   in Loop: Header=BB369_1059 Depth=1
	v_cmp_ne_u32_sdwa s5, v19, v68 src0_sel:BYTE_3 src1_sel:DWORD
	v_bfrev_b32_e32 v13, 1
	s_and_saveexec_b32 s15, s5
	s_cbranch_execz .LBB369_1354
; %bb.1349:                             ;   in Loop: Header=BB369_1059 Depth=1
	v_bfe_u32 v16, v19, 24, 7
	v_mov_b32_e32 v13, 0x7f800001
	s_mov_b32 s18, exec_lo
	v_cmpx_ne_u32_e32 0x7f, v16
	s_cbranch_execz .LBB369_1353
; %bb.1350:                             ;   in Loop: Header=BB369_1059 Depth=1
	v_mov_b32_e32 v10, 7
	v_lshrrev_b32_e32 v13, 3, v16
	s_mov_b32 s20, exec_lo
	v_and_b32_sdwa v10, v19, v10 dst_sel:DWORD dst_unused:UNUSED_PAD src0_sel:BYTE_3 src1_sel:DWORD
	v_mov_b32_e32 v24, v11
	v_mov_b32_e32 v23, v10
	v_cmpx_gt_u32_e32 8, v16
; %bb.1351:                             ;   in Loop: Header=BB369_1059 Depth=1
	v_ffbh_u32_e32 v13, v10
	v_min_u32_e32 v13, 32, v13
	v_subrev_nc_u32_e32 v16, 28, v13
	v_sub_nc_u32_e32 v13, 29, v13
	v_lshlrev_b64 v[21:22], v16, v[10:11]
	v_and_b32_e32 v23, 7, v21
; %bb.1352:                             ;   in Loop: Header=BB369_1059 Depth=1
	s_or_b32 exec_lo, exec_lo, s20
	v_mov_b32_e32 v10, 24
	v_lshlrev_b32_e32 v16, 20, v23
	v_lshl_add_u32 v13, v13, 23, 0x3c000000
	v_lshlrev_b32_sdwa v10, v10, v19 dst_sel:DWORD dst_unused:UNUSED_PAD src0_sel:DWORD src1_sel:BYTE_3
	v_and_b32_e32 v10, 0x80000000, v10
	v_or3_b32 v13, v16, v10, v13
.LBB369_1353:                           ;   in Loop: Header=BB369_1059 Depth=1
	s_or_b32 exec_lo, exec_lo, s18
.LBB369_1354:                           ;   in Loop: Header=BB369_1059 Depth=1
	s_or_b32 exec_lo, exec_lo, s15
.LBB369_1355:                           ;   in Loop: Header=BB369_1059 Depth=1
	s_or_b32 exec_lo, exec_lo, s13
	v_mov_b32_e32 v10, v20
	v_cmp_ne_u16_sdwa s5, v20, v11 src0_sel:BYTE_0 src1_sel:DWORD
	v_mov_b32_e32 v21, 0
	v_mov_b32_e32 v16, 0
	s_and_saveexec_b32 s13, s5
	s_cbranch_execz .LBB369_1363
; %bb.1356:                             ;   in Loop: Header=BB369_1059 Depth=1
	v_cmp_ne_u16_sdwa s5, v20, v68 src0_sel:BYTE_0 src1_sel:DWORD
	v_bfrev_b32_e32 v16, 1
	s_and_saveexec_b32 s15, s5
	s_cbranch_execz .LBB369_1362
; %bb.1357:                             ;   in Loop: Header=BB369_1059 Depth=1
	v_and_b32_e32 v22, 0x7f, v20
	v_mov_b32_e32 v16, 0x7f800001
	s_mov_b32 s18, exec_lo
	v_cmpx_ne_u32_e32 0x7f, v22
	s_cbranch_execz .LBB369_1361
; %bb.1358:                             ;   in Loop: Header=BB369_1059 Depth=1
	v_mov_b32_e32 v24, v11
	v_lshrrev_b32_e32 v16, 3, v22
	v_mov_b32_e32 v23, v10
	s_mov_b32 s20, exec_lo
	v_cmpx_gt_u32_e32 8, v22
; %bb.1359:                             ;   in Loop: Header=BB369_1059 Depth=1
	v_and_b32_e32 v16, 7, v20
	v_ffbh_u32_e32 v16, v16
	v_min_u32_e32 v16, 32, v16
	v_subrev_nc_u32_e32 v22, 28, v16
	v_sub_nc_u32_e32 v16, 29, v16
	v_lshlrev_b64 v[23:24], v22, v[10:11]
; %bb.1360:                             ;   in Loop: Header=BB369_1059 Depth=1
	s_or_b32 exec_lo, exec_lo, s20
	v_lshlrev_b32_e32 v22, 20, v23
	v_lshlrev_b32_e32 v23, 24, v10
	v_lshl_add_u32 v16, v16, 23, 0x3c000000
	v_and_b32_e32 v22, 0x700000, v22
	v_and_b32_e32 v23, 0x80000000, v23
	v_or3_b32 v16, v22, v23, v16
.LBB369_1361:                           ;   in Loop: Header=BB369_1059 Depth=1
	s_or_b32 exec_lo, exec_lo, s18
.LBB369_1362:                           ;   in Loop: Header=BB369_1059 Depth=1
	s_or_b32 exec_lo, exec_lo, s15
.LBB369_1363:                           ;   in Loop: Header=BB369_1059 Depth=1
	s_or_b32 exec_lo, exec_lo, s13
	v_cmp_ne_u16_sdwa s5, v10, v11 src0_sel:BYTE_1 src1_sel:DWORD
	s_and_saveexec_b32 s13, s5
	s_cbranch_execz .LBB369_1371
; %bb.1364:                             ;   in Loop: Header=BB369_1059 Depth=1
	v_cmp_ne_u16_sdwa s5, v10, v68 src0_sel:BYTE_1 src1_sel:DWORD
	v_bfrev_b32_e32 v21, 1
	s_and_saveexec_b32 s15, s5
	s_cbranch_execz .LBB369_1370
; %bb.1365:                             ;   in Loop: Header=BB369_1059 Depth=1
	v_mov_b32_e32 v21, 0xffff
	s_mov_b32 s18, exec_lo
	v_and_b32_sdwa v23, v21, v10 dst_sel:DWORD dst_unused:UNUSED_PAD src0_sel:DWORD src1_sel:BYTE_1
	v_mov_b32_e32 v21, 0x7f800001
	v_and_b32_e32 v22, 0x7f, v23
	v_cmpx_ne_u32_e32 0x7f, v22
	s_cbranch_execz .LBB369_1369
; %bb.1366:                             ;   in Loop: Header=BB369_1059 Depth=1
	v_and_b32_e32 v23, 7, v23
	v_mov_b32_e32 v24, v11
	v_lshrrev_b32_e32 v21, 3, v22
	s_mov_b32 s20, exec_lo
	v_cmpx_gt_u32_e32 8, v22
; %bb.1367:                             ;   in Loop: Header=BB369_1059 Depth=1
	v_ffbh_u32_e32 v21, v23
	v_min_u32_e32 v21, 32, v21
	v_subrev_nc_u32_e32 v22, 28, v21
	v_sub_nc_u32_e32 v21, 29, v21
	v_lshlrev_b64 v[22:23], v22, v[23:24]
	v_and_b32_e32 v23, 7, v22
; %bb.1368:                             ;   in Loop: Header=BB369_1059 Depth=1
	s_or_b32 exec_lo, exec_lo, s20
	v_lshlrev_b32_e32 v10, 16, v10
	v_lshlrev_b32_e32 v22, 20, v23
	v_lshl_add_u32 v21, v21, 23, 0x3c000000
	v_and_b32_e32 v10, 0x80000000, v10
	v_or3_b32 v21, v22, v10, v21
.LBB369_1369:                           ;   in Loop: Header=BB369_1059 Depth=1
	s_or_b32 exec_lo, exec_lo, s18
.LBB369_1370:                           ;   in Loop: Header=BB369_1059 Depth=1
	s_or_b32 exec_lo, exec_lo, s15
.LBB369_1371:                           ;   in Loop: Header=BB369_1059 Depth=1
	s_or_b32 exec_lo, exec_lo, s13
	v_and_b32_sdwa v10, v20, v70 dst_sel:DWORD dst_unused:UNUSED_PAD src0_sel:WORD_1 src1_sel:DWORD
	v_mov_b32_e32 v22, 0
	v_mov_b32_e32 v25, 0
	s_mov_b32 s13, exec_lo
	v_cmpx_ne_u16_e32 0, v10
	s_cbranch_execz .LBB369_1379
; %bb.1372:                             ;   in Loop: Header=BB369_1059 Depth=1
	v_bfrev_b32_e32 v25, 1
	s_mov_b32 s15, exec_lo
	v_cmpx_ne_u16_e32 0x80, v10
	s_cbranch_execz .LBB369_1378
; %bb.1373:                             ;   in Loop: Header=BB369_1059 Depth=1
	v_bfe_u32 v23, v20, 16, 7
	v_mov_b32_e32 v25, 0x7f800001
	s_mov_b32 s18, exec_lo
	v_cmpx_ne_u32_e32 0x7f, v23
	s_cbranch_execz .LBB369_1377
; %bb.1374:                             ;   in Loop: Header=BB369_1059 Depth=1
	v_mov_b32_e32 v10, 7
	v_lshrrev_b32_e32 v25, 3, v23
	v_cmp_gt_u32_e64 s5, 8, v23
	v_and_b32_sdwa v10, v20, v10 dst_sel:DWORD dst_unused:UNUSED_PAD src0_sel:WORD_1 src1_sel:DWORD
	v_mov_b32_e32 v24, v11
	v_mov_b32_e32 v23, v10
	s_and_saveexec_b32 s20, s5
; %bb.1375:                             ;   in Loop: Header=BB369_1059 Depth=1
	v_ffbh_u32_e32 v23, v10
	v_min_u32_e32 v25, 32, v23
	v_subrev_nc_u32_e32 v23, 28, v25
	v_sub_nc_u32_e32 v25, 29, v25
	v_lshlrev_b64 v[23:24], v23, v[10:11]
	v_and_b32_e32 v23, 7, v23
; %bb.1376:                             ;   in Loop: Header=BB369_1059 Depth=1
	s_or_b32 exec_lo, exec_lo, s20
	v_mov_b32_e32 v10, 24
	v_lshlrev_b32_e32 v23, 20, v23
	v_lshl_add_u32 v24, v25, 23, 0x3c000000
	v_lshlrev_b32_sdwa v10, v10, v20 dst_sel:DWORD dst_unused:UNUSED_PAD src0_sel:DWORD src1_sel:WORD_1
	v_and_b32_e32 v10, 0x80000000, v10
	v_or3_b32 v25, v23, v10, v24
.LBB369_1377:                           ;   in Loop: Header=BB369_1059 Depth=1
	s_or_b32 exec_lo, exec_lo, s18
.LBB369_1378:                           ;   in Loop: Header=BB369_1059 Depth=1
	s_or_b32 exec_lo, exec_lo, s15
.LBB369_1379:                           ;   in Loop: Header=BB369_1059 Depth=1
	s_or_b32 exec_lo, exec_lo, s13
	s_mov_b32 s13, exec_lo
	v_cmpx_lt_u64_e64 s[8:9], v[19:20]
	s_cbranch_execz .LBB369_1387
; %bb.1380:                             ;   in Loop: Header=BB369_1059 Depth=1
	v_cmp_ne_u32_sdwa s5, v20, v68 src0_sel:BYTE_3 src1_sel:DWORD
	v_bfrev_b32_e32 v22, 1
	s_and_saveexec_b32 s15, s5
	s_cbranch_execz .LBB369_1386
; %bb.1381:                             ;   in Loop: Header=BB369_1059 Depth=1
	v_bfe_u32 v23, v20, 24, 7
	v_mov_b32_e32 v22, 0x7f800001
	s_mov_b32 s18, exec_lo
	v_cmpx_ne_u32_e32 0x7f, v23
	s_cbranch_execz .LBB369_1385
; %bb.1382:                             ;   in Loop: Header=BB369_1059 Depth=1
	v_mov_b32_e32 v10, 7
	v_lshrrev_b32_e32 v19, 3, v23
	v_cmp_gt_u32_e64 s5, 8, v23
	v_and_b32_sdwa v10, v20, v10 dst_sel:DWORD dst_unused:UNUSED_PAD src0_sel:BYTE_3 src1_sel:DWORD
	v_mov_b32_e32 v24, v11
	v_mov_b32_e32 v23, v10
	s_and_saveexec_b32 s20, s5
; %bb.1383:                             ;   in Loop: Header=BB369_1059 Depth=1
	v_ffbh_u32_e32 v19, v10
	v_min_u32_e32 v19, 32, v19
	v_subrev_nc_u32_e32 v22, 28, v19
	v_sub_nc_u32_e32 v19, 29, v19
	v_lshlrev_b64 v[22:23], v22, v[10:11]
	v_and_b32_e32 v23, 7, v22
; %bb.1384:                             ;   in Loop: Header=BB369_1059 Depth=1
	s_or_b32 exec_lo, exec_lo, s20
	v_mov_b32_e32 v10, 24
	v_lshl_add_u32 v19, v19, 23, 0x3c000000
	v_lshlrev_b32_sdwa v10, v10, v20 dst_sel:DWORD dst_unused:UNUSED_PAD src0_sel:DWORD src1_sel:BYTE_3
	v_lshlrev_b32_e32 v20, 20, v23
	v_and_b32_e32 v10, 0x80000000, v10
	v_or3_b32 v22, v20, v10, v19
.LBB369_1385:                           ;   in Loop: Header=BB369_1059 Depth=1
	s_or_b32 exec_lo, exec_lo, s18
.LBB369_1386:                           ;   in Loop: Header=BB369_1059 Depth=1
	s_or_b32 exec_lo, exec_lo, s15
.LBB369_1387:                           ;   in Loop: Header=BB369_1059 Depth=1
	s_or_b32 exec_lo, exec_lo, s13
	v_mul_f32_e32 v10, v26, v21
	v_mul_f32_e32 v16, v26, v16
	;; [unrolled: 1-line block ×5, first 2 shown]
	v_bfe_u32 v19, v10, 16, 1
	v_or_b32_e32 v20, 0x400000, v10
	v_bfe_u32 v21, v16, 16, 1
	v_cmp_u_f32_e64 s5, v10, v10
	v_or_b32_e32 v23, 0x400000, v16
	v_add3_u32 v19, v19, v10, 0x7fff
	v_bfe_u32 v24, v13, 16, 1
	v_add3_u32 v21, v21, v16, 0x7fff
	v_or_b32_e32 v27, 0x400000, v13
	v_bfe_u32 v34, v12, 16, 1
	v_cndmask_b32_e64 v10, v19, v20, s5
	v_cmp_u_f32_e64 s5, v16, v16
	v_add3_u32 v24, v24, v13, 0x7fff
	v_or_b32_e32 v19, 0x400000, v12
	v_mul_f32_e32 v4, v26, v4
	v_lshrrev_b32_e32 v10, 16, v10
	v_cndmask_b32_e64 v16, v21, v23, s5
	v_cmp_u_f32_e64 s5, v13, v13
	v_bfe_u32 v20, v4, 16, 1
	buffer_store_dword v10, off, s[0:3], s32 offset:336 ; 4-byte Folded Spill
	v_add3_u32 v10, v34, v12, 0x7fff
	v_cndmask_b32_e64 v13, v24, v27, s5
	v_lshrrev_b32_e32 v16, 16, v16
	v_cmp_u_f32_e64 s5, v12, v12
	v_mul_f32_e32 v12, v26, v25
	v_lshrrev_b32_e32 v13, 16, v13
	buffer_store_dword v16, off, s[0:3], s32 offset:332 ; 4-byte Folded Spill
	v_cndmask_b32_e64 v10, v10, v19, s5
	v_or_b32_e32 v16, 0x400000, v5
	v_cmp_u_f32_e64 s5, v5, v5
	buffer_store_dword v13, off, s[0:3], s32 offset:348 ; 4-byte Folded Spill
	v_bfe_u32 v13, v5, 16, 1
	v_mul_f32_e32 v19, v26, v22
	v_bfe_u32 v21, v12, 16, 1
	v_or_b32_e32 v22, 0x400000, v12
	v_lshrrev_b32_e32 v10, 16, v10
	v_add3_u32 v13, v13, v5, 0x7fff
	v_or_b32_e32 v23, 0x400000, v19
	v_add3_u32 v21, v21, v12, 0x7fff
	buffer_store_dword v10, off, s[0:3], s32 offset:352 ; 4-byte Folded Spill
	v_cndmask_b32_e64 v5, v13, v16, s5
	v_add3_u32 v16, v20, v4, 0x7fff
	v_or_b32_e32 v20, 0x400000, v4
	v_cmp_u_f32_e64 s5, v4, v4
	v_bfe_u32 v13, v19, 16, 1
	v_lshrrev_b32_e32 v5, 16, v5
	v_cndmask_b32_e64 v4, v16, v20, s5
	v_cmp_u_f32_e64 s5, v12, v12
	v_add3_u32 v13, v13, v19, 0x7fff
	buffer_store_dword v5, off, s[0:3], s32 offset:360 ; 4-byte Folded Spill
	v_lshrrev_b32_e32 v4, 16, v4
	v_cndmask_b32_e64 v12, v21, v22, s5
	v_cmp_u_f32_e64 s5, v19, v19
	buffer_store_dword v4, off, s[0:3], s32 offset:356 ; 4-byte Folded Spill
	v_lshrrev_b32_e32 v4, 16, v12
	v_cndmask_b32_e64 v13, v13, v23, s5
	buffer_store_dword v4, off, s[0:3], s32 offset:340 ; 4-byte Folded Spill
	v_lshrrev_b32_e32 v4, 16, v13
	buffer_store_dword v4, off, s[0:3], s32 offset:344 ; 4-byte Folded Spill
	s_and_saveexec_b32 s13, vcc_lo
	s_cbranch_execz .LBB369_1389
; %bb.1388:                             ;   in Loop: Header=BB369_1059 Depth=1
	s_clause 0x1
	buffer_load_dword v4, off, s[0:3], s32 offset:196
	buffer_load_dword v5, off, s[0:3], s32 offset:356
	s_waitcnt vmcnt(1)
	v_cmp_lt_i32_e64 s5, v57, v4
	s_waitcnt vmcnt(0)
	v_cndmask_b32_e64 v5, 0, v5, s5
	v_cmp_lt_i32_e64 s5, v63, v4
	buffer_store_dword v5, off, s[0:3], s32 offset:356 ; 4-byte Folded Spill
	buffer_load_dword v5, off, s[0:3], s32 offset:360 ; 4-byte Folded Reload
	s_waitcnt vmcnt(0)
	v_cndmask_b32_e64 v5, 0, v5, s5
	v_cmp_lt_i32_e64 s5, v62, v4
	buffer_store_dword v5, off, s[0:3], s32 offset:360 ; 4-byte Folded Spill
	buffer_load_dword v5, off, s[0:3], s32 offset:352 ; 4-byte Folded Reload
	;; [unrolled: 5-line block ×6, first 2 shown]
	s_waitcnt vmcnt(0)
	v_cndmask_b32_e64 v5, 0, v5, s5
	v_cmp_lt_i32_e64 s5, v66, v4
	buffer_load_dword v4, off, s[0:3], s32 offset:344 ; 4-byte Folded Reload
	buffer_store_dword v5, off, s[0:3], s32 offset:340 ; 4-byte Folded Spill
	s_waitcnt vmcnt(0)
	v_cndmask_b32_e64 v4, 0, v4, s5
	buffer_store_dword v4, off, s[0:3], s32 offset:344 ; 4-byte Folded Spill
.LBB369_1389:                           ;   in Loop: Header=BB369_1059 Depth=1
	s_or_b32 exec_lo, exec_lo, s13
	flat_load_dwordx2 v[19:20], v[17:18] offset:1280
	v_mov_b32_e32 v4, 0
	v_mov_b32_e32 v12, 0
	s_waitcnt vmcnt(0) lgkmcnt(0)
	v_cmp_ne_u16_sdwa s5, v19, v11 src0_sel:BYTE_0 src1_sel:DWORD
	s_and_saveexec_b32 s13, s5
	s_cbranch_execz .LBB369_1397
; %bb.1390:                             ;   in Loop: Header=BB369_1059 Depth=1
	v_cmp_ne_u16_sdwa s5, v19, v68 src0_sel:BYTE_0 src1_sel:DWORD
	v_bfrev_b32_e32 v12, 1
	s_and_saveexec_b32 s15, s5
	s_cbranch_execz .LBB369_1396
; %bb.1391:                             ;   in Loop: Header=BB369_1059 Depth=1
	v_and_b32_e32 v10, 0x7f, v19
	v_mov_b32_e32 v12, 0x7f800001
	s_mov_b32 s18, exec_lo
	v_cmpx_ne_u32_e32 0x7f, v10
	s_cbranch_execz .LBB369_1395
; %bb.1392:                             ;   in Loop: Header=BB369_1059 Depth=1
	v_mov_b32_e32 v24, v20
	v_lshrrev_b32_e32 v5, 3, v10
	v_mov_b32_e32 v23, v19
	s_mov_b32 s20, exec_lo
	v_cmpx_gt_u32_e32 8, v10
; %bb.1393:                             ;   in Loop: Header=BB369_1059 Depth=1
	v_and_b32_e32 v5, 7, v19
	v_ffbh_u32_e32 v5, v5
	v_min_u32_e32 v5, 32, v5
	v_subrev_nc_u32_e32 v10, 28, v5
	v_sub_nc_u32_e32 v5, 29, v5
	v_lshlrev_b64 v[23:24], v10, v[19:20]
; %bb.1394:                             ;   in Loop: Header=BB369_1059 Depth=1
	s_or_b32 exec_lo, exec_lo, s20
	v_lshlrev_b32_e32 v10, 20, v23
	v_lshlrev_b32_e32 v12, 24, v19
	v_lshl_add_u32 v5, v5, 23, 0x3c000000
	v_and_b32_e32 v10, 0x700000, v10
	v_and_b32_e32 v12, 0x80000000, v12
	v_or3_b32 v12, v10, v12, v5
.LBB369_1395:                           ;   in Loop: Header=BB369_1059 Depth=1
	s_or_b32 exec_lo, exec_lo, s18
.LBB369_1396:                           ;   in Loop: Header=BB369_1059 Depth=1
	s_or_b32 exec_lo, exec_lo, s15
.LBB369_1397:                           ;   in Loop: Header=BB369_1059 Depth=1
	s_or_b32 exec_lo, exec_lo, s13
	v_cmp_ne_u16_sdwa s5, v19, v11 src0_sel:BYTE_1 src1_sel:DWORD
	s_and_saveexec_b32 s13, s5
	s_cbranch_execz .LBB369_1405
; %bb.1398:                             ;   in Loop: Header=BB369_1059 Depth=1
	v_cmp_ne_u16_sdwa s5, v19, v68 src0_sel:BYTE_1 src1_sel:DWORD
	v_bfrev_b32_e32 v4, 1
	s_and_saveexec_b32 s15, s5
	s_cbranch_execz .LBB369_1404
; %bb.1399:                             ;   in Loop: Header=BB369_1059 Depth=1
	v_mov_b32_e32 v4, 0xffff
	s_mov_b32 s18, exec_lo
	v_and_b32_sdwa v10, v4, v19 dst_sel:DWORD dst_unused:UNUSED_PAD src0_sel:DWORD src1_sel:BYTE_1
	v_mov_b32_e32 v4, 0x7f800001
	v_and_b32_e32 v5, 0x7f, v10
	v_cmpx_ne_u32_e32 0x7f, v5
	s_cbranch_execz .LBB369_1403
; %bb.1400:                             ;   in Loop: Header=BB369_1059 Depth=1
	v_and_b32_e32 v10, 7, v10
	v_mov_b32_e32 v24, v11
	v_lshrrev_b32_e32 v4, 3, v5
	s_mov_b32 s20, exec_lo
	v_mov_b32_e32 v23, v10
	v_cmpx_gt_u32_e32 8, v5
; %bb.1401:                             ;   in Loop: Header=BB369_1059 Depth=1
	v_ffbh_u32_e32 v4, v10
	v_min_u32_e32 v4, 32, v4
	v_subrev_nc_u32_e32 v5, 28, v4
	v_sub_nc_u32_e32 v4, 29, v4
	v_lshlrev_b64 v[21:22], v5, v[10:11]
	v_and_b32_e32 v23, 7, v21
; %bb.1402:                             ;   in Loop: Header=BB369_1059 Depth=1
	s_or_b32 exec_lo, exec_lo, s20
	v_lshlrev_b32_e32 v5, 16, v19
	v_lshlrev_b32_e32 v10, 20, v23
	v_lshl_add_u32 v4, v4, 23, 0x3c000000
	v_and_b32_e32 v5, 0x80000000, v5
	v_or3_b32 v4, v10, v5, v4
.LBB369_1403:                           ;   in Loop: Header=BB369_1059 Depth=1
	s_or_b32 exec_lo, exec_lo, s18
.LBB369_1404:                           ;   in Loop: Header=BB369_1059 Depth=1
	s_or_b32 exec_lo, exec_lo, s15
.LBB369_1405:                           ;   in Loop: Header=BB369_1059 Depth=1
	s_or_b32 exec_lo, exec_lo, s13
	v_and_b32_sdwa v10, v19, v70 dst_sel:DWORD dst_unused:UNUSED_PAD src0_sel:WORD_1 src1_sel:DWORD
	v_mov_b32_e32 v13, 0
	v_mov_b32_e32 v5, 0
	s_mov_b32 s13, exec_lo
	v_cmpx_ne_u16_e32 0, v10
	s_cbranch_execz .LBB369_1413
; %bb.1406:                             ;   in Loop: Header=BB369_1059 Depth=1
	v_bfrev_b32_e32 v5, 1
	s_mov_b32 s15, exec_lo
	v_cmpx_ne_u16_e32 0x80, v10
	s_cbranch_execz .LBB369_1412
; %bb.1407:                             ;   in Loop: Header=BB369_1059 Depth=1
	v_bfe_u32 v16, v19, 16, 7
	v_mov_b32_e32 v5, 0x7f800001
	s_mov_b32 s18, exec_lo
	v_cmpx_ne_u32_e32 0x7f, v16
	s_cbranch_execz .LBB369_1411
; %bb.1408:                             ;   in Loop: Header=BB369_1059 Depth=1
	v_mov_b32_e32 v5, 7
	s_mov_b32 s20, exec_lo
	v_and_b32_sdwa v10, v19, v5 dst_sel:DWORD dst_unused:UNUSED_PAD src0_sel:WORD_1 src1_sel:DWORD
	v_mov_b32_e32 v24, v11
	v_lshrrev_b32_e32 v5, 3, v16
	v_mov_b32_e32 v23, v10
	v_cmpx_gt_u32_e32 8, v16
; %bb.1409:                             ;   in Loop: Header=BB369_1059 Depth=1
	v_ffbh_u32_e32 v5, v10
	v_min_u32_e32 v5, 32, v5
	v_subrev_nc_u32_e32 v16, 28, v5
	v_sub_nc_u32_e32 v5, 29, v5
	v_lshlrev_b64 v[21:22], v16, v[10:11]
	v_and_b32_e32 v23, 7, v21
; %bb.1410:                             ;   in Loop: Header=BB369_1059 Depth=1
	s_or_b32 exec_lo, exec_lo, s20
	v_mov_b32_e32 v10, 24
	v_lshlrev_b32_e32 v16, 20, v23
	v_lshl_add_u32 v5, v5, 23, 0x3c000000
	v_lshlrev_b32_sdwa v10, v10, v19 dst_sel:DWORD dst_unused:UNUSED_PAD src0_sel:DWORD src1_sel:WORD_1
	v_and_b32_e32 v10, 0x80000000, v10
	v_or3_b32 v5, v16, v10, v5
.LBB369_1411:                           ;   in Loop: Header=BB369_1059 Depth=1
	s_or_b32 exec_lo, exec_lo, s18
.LBB369_1412:                           ;   in Loop: Header=BB369_1059 Depth=1
	s_or_b32 exec_lo, exec_lo, s15
.LBB369_1413:                           ;   in Loop: Header=BB369_1059 Depth=1
	s_or_b32 exec_lo, exec_lo, s13
	s_mov_b32 s13, exec_lo
	v_cmpx_lt_u32_e32 0xffffff, v19
	s_cbranch_execz .LBB369_1421
; %bb.1414:                             ;   in Loop: Header=BB369_1059 Depth=1
	v_cmp_ne_u32_sdwa s5, v19, v68 src0_sel:BYTE_3 src1_sel:DWORD
	v_bfrev_b32_e32 v13, 1
	s_and_saveexec_b32 s15, s5
	s_cbranch_execz .LBB369_1420
; %bb.1415:                             ;   in Loop: Header=BB369_1059 Depth=1
	v_bfe_u32 v16, v19, 24, 7
	v_mov_b32_e32 v13, 0x7f800001
	s_mov_b32 s18, exec_lo
	v_cmpx_ne_u32_e32 0x7f, v16
	s_cbranch_execz .LBB369_1419
; %bb.1416:                             ;   in Loop: Header=BB369_1059 Depth=1
	v_mov_b32_e32 v10, 7
	v_lshrrev_b32_e32 v13, 3, v16
	s_mov_b32 s20, exec_lo
	v_and_b32_sdwa v10, v19, v10 dst_sel:DWORD dst_unused:UNUSED_PAD src0_sel:BYTE_3 src1_sel:DWORD
	v_mov_b32_e32 v24, v11
	v_mov_b32_e32 v23, v10
	v_cmpx_gt_u32_e32 8, v16
; %bb.1417:                             ;   in Loop: Header=BB369_1059 Depth=1
	v_ffbh_u32_e32 v13, v10
	v_min_u32_e32 v13, 32, v13
	v_subrev_nc_u32_e32 v16, 28, v13
	v_sub_nc_u32_e32 v13, 29, v13
	v_lshlrev_b64 v[21:22], v16, v[10:11]
	v_and_b32_e32 v23, 7, v21
; %bb.1418:                             ;   in Loop: Header=BB369_1059 Depth=1
	s_or_b32 exec_lo, exec_lo, s20
	v_mov_b32_e32 v10, 24
	v_lshlrev_b32_e32 v16, 20, v23
	v_lshl_add_u32 v13, v13, 23, 0x3c000000
	v_lshlrev_b32_sdwa v10, v10, v19 dst_sel:DWORD dst_unused:UNUSED_PAD src0_sel:DWORD src1_sel:BYTE_3
	v_and_b32_e32 v10, 0x80000000, v10
	v_or3_b32 v13, v16, v10, v13
.LBB369_1419:                           ;   in Loop: Header=BB369_1059 Depth=1
	s_or_b32 exec_lo, exec_lo, s18
.LBB369_1420:                           ;   in Loop: Header=BB369_1059 Depth=1
	s_or_b32 exec_lo, exec_lo, s15
.LBB369_1421:                           ;   in Loop: Header=BB369_1059 Depth=1
	s_or_b32 exec_lo, exec_lo, s13
	v_mov_b32_e32 v10, v20
	v_cmp_ne_u16_sdwa s5, v20, v11 src0_sel:BYTE_0 src1_sel:DWORD
	v_mov_b32_e32 v21, 0
	v_mov_b32_e32 v16, 0
	s_and_saveexec_b32 s13, s5
	s_cbranch_execz .LBB369_1429
; %bb.1422:                             ;   in Loop: Header=BB369_1059 Depth=1
	v_cmp_ne_u16_sdwa s5, v20, v68 src0_sel:BYTE_0 src1_sel:DWORD
	v_bfrev_b32_e32 v16, 1
	s_and_saveexec_b32 s15, s5
	s_cbranch_execz .LBB369_1428
; %bb.1423:                             ;   in Loop: Header=BB369_1059 Depth=1
	v_and_b32_e32 v22, 0x7f, v20
	v_mov_b32_e32 v16, 0x7f800001
	s_mov_b32 s18, exec_lo
	v_cmpx_ne_u32_e32 0x7f, v22
	s_cbranch_execz .LBB369_1427
; %bb.1424:                             ;   in Loop: Header=BB369_1059 Depth=1
	v_mov_b32_e32 v24, v11
	v_lshrrev_b32_e32 v16, 3, v22
	v_mov_b32_e32 v23, v10
	s_mov_b32 s20, exec_lo
	v_cmpx_gt_u32_e32 8, v22
; %bb.1425:                             ;   in Loop: Header=BB369_1059 Depth=1
	v_and_b32_e32 v16, 7, v20
	v_ffbh_u32_e32 v16, v16
	v_min_u32_e32 v16, 32, v16
	v_subrev_nc_u32_e32 v22, 28, v16
	v_sub_nc_u32_e32 v16, 29, v16
	v_lshlrev_b64 v[23:24], v22, v[10:11]
; %bb.1426:                             ;   in Loop: Header=BB369_1059 Depth=1
	s_or_b32 exec_lo, exec_lo, s20
	v_lshlrev_b32_e32 v22, 20, v23
	v_lshlrev_b32_e32 v23, 24, v10
	v_lshl_add_u32 v16, v16, 23, 0x3c000000
	v_and_b32_e32 v22, 0x700000, v22
	v_and_b32_e32 v23, 0x80000000, v23
	v_or3_b32 v16, v22, v23, v16
.LBB369_1427:                           ;   in Loop: Header=BB369_1059 Depth=1
	s_or_b32 exec_lo, exec_lo, s18
.LBB369_1428:                           ;   in Loop: Header=BB369_1059 Depth=1
	s_or_b32 exec_lo, exec_lo, s15
.LBB369_1429:                           ;   in Loop: Header=BB369_1059 Depth=1
	s_or_b32 exec_lo, exec_lo, s13
	v_cmp_ne_u16_sdwa s5, v10, v11 src0_sel:BYTE_1 src1_sel:DWORD
	s_and_saveexec_b32 s13, s5
	s_cbranch_execz .LBB369_1437
; %bb.1430:                             ;   in Loop: Header=BB369_1059 Depth=1
	v_cmp_ne_u16_sdwa s5, v10, v68 src0_sel:BYTE_1 src1_sel:DWORD
	v_bfrev_b32_e32 v21, 1
	s_and_saveexec_b32 s15, s5
	s_cbranch_execz .LBB369_1436
; %bb.1431:                             ;   in Loop: Header=BB369_1059 Depth=1
	v_mov_b32_e32 v21, 0xffff
	s_mov_b32 s18, exec_lo
	v_and_b32_sdwa v23, v21, v10 dst_sel:DWORD dst_unused:UNUSED_PAD src0_sel:DWORD src1_sel:BYTE_1
	v_mov_b32_e32 v21, 0x7f800001
	v_and_b32_e32 v22, 0x7f, v23
	v_cmpx_ne_u32_e32 0x7f, v22
	s_cbranch_execz .LBB369_1435
; %bb.1432:                             ;   in Loop: Header=BB369_1059 Depth=1
	v_and_b32_e32 v23, 7, v23
	v_mov_b32_e32 v24, v11
	v_lshrrev_b32_e32 v21, 3, v22
	s_mov_b32 s20, exec_lo
	v_cmpx_gt_u32_e32 8, v22
; %bb.1433:                             ;   in Loop: Header=BB369_1059 Depth=1
	v_ffbh_u32_e32 v21, v23
	v_min_u32_e32 v21, 32, v21
	v_subrev_nc_u32_e32 v22, 28, v21
	v_sub_nc_u32_e32 v21, 29, v21
	v_lshlrev_b64 v[22:23], v22, v[23:24]
	v_and_b32_e32 v23, 7, v22
; %bb.1434:                             ;   in Loop: Header=BB369_1059 Depth=1
	s_or_b32 exec_lo, exec_lo, s20
	v_lshlrev_b32_e32 v10, 16, v10
	v_lshlrev_b32_e32 v22, 20, v23
	v_lshl_add_u32 v21, v21, 23, 0x3c000000
	v_and_b32_e32 v10, 0x80000000, v10
	v_or3_b32 v21, v22, v10, v21
.LBB369_1435:                           ;   in Loop: Header=BB369_1059 Depth=1
	s_or_b32 exec_lo, exec_lo, s18
.LBB369_1436:                           ;   in Loop: Header=BB369_1059 Depth=1
	s_or_b32 exec_lo, exec_lo, s15
.LBB369_1437:                           ;   in Loop: Header=BB369_1059 Depth=1
	s_or_b32 exec_lo, exec_lo, s13
	v_and_b32_sdwa v10, v20, v70 dst_sel:DWORD dst_unused:UNUSED_PAD src0_sel:WORD_1 src1_sel:DWORD
	v_mov_b32_e32 v22, 0
	v_mov_b32_e32 v25, 0
	s_mov_b32 s13, exec_lo
	v_cmpx_ne_u16_e32 0, v10
	s_cbranch_execz .LBB369_1445
; %bb.1438:                             ;   in Loop: Header=BB369_1059 Depth=1
	v_bfrev_b32_e32 v25, 1
	s_mov_b32 s15, exec_lo
	v_cmpx_ne_u16_e32 0x80, v10
	s_cbranch_execz .LBB369_1444
; %bb.1439:                             ;   in Loop: Header=BB369_1059 Depth=1
	v_bfe_u32 v23, v20, 16, 7
	v_mov_b32_e32 v25, 0x7f800001
	s_mov_b32 s18, exec_lo
	v_cmpx_ne_u32_e32 0x7f, v23
	s_cbranch_execz .LBB369_1443
; %bb.1440:                             ;   in Loop: Header=BB369_1059 Depth=1
	v_mov_b32_e32 v10, 7
	v_lshrrev_b32_e32 v25, 3, v23
	v_cmp_gt_u32_e64 s5, 8, v23
	v_and_b32_sdwa v10, v20, v10 dst_sel:DWORD dst_unused:UNUSED_PAD src0_sel:WORD_1 src1_sel:DWORD
	v_mov_b32_e32 v24, v11
	v_mov_b32_e32 v23, v10
	s_and_saveexec_b32 s20, s5
; %bb.1441:                             ;   in Loop: Header=BB369_1059 Depth=1
	v_ffbh_u32_e32 v23, v10
	v_min_u32_e32 v25, 32, v23
	v_subrev_nc_u32_e32 v23, 28, v25
	v_sub_nc_u32_e32 v25, 29, v25
	v_lshlrev_b64 v[23:24], v23, v[10:11]
	v_and_b32_e32 v23, 7, v23
; %bb.1442:                             ;   in Loop: Header=BB369_1059 Depth=1
	s_or_b32 exec_lo, exec_lo, s20
	v_mov_b32_e32 v10, 24
	v_lshlrev_b32_e32 v23, 20, v23
	v_lshl_add_u32 v24, v25, 23, 0x3c000000
	v_lshlrev_b32_sdwa v10, v10, v20 dst_sel:DWORD dst_unused:UNUSED_PAD src0_sel:DWORD src1_sel:WORD_1
	v_and_b32_e32 v10, 0x80000000, v10
	v_or3_b32 v25, v23, v10, v24
.LBB369_1443:                           ;   in Loop: Header=BB369_1059 Depth=1
	s_or_b32 exec_lo, exec_lo, s18
.LBB369_1444:                           ;   in Loop: Header=BB369_1059 Depth=1
	s_or_b32 exec_lo, exec_lo, s15
.LBB369_1445:                           ;   in Loop: Header=BB369_1059 Depth=1
	s_or_b32 exec_lo, exec_lo, s13
	s_mov_b32 s13, exec_lo
	v_cmpx_lt_u64_e64 s[8:9], v[19:20]
	s_cbranch_execz .LBB369_1453
; %bb.1446:                             ;   in Loop: Header=BB369_1059 Depth=1
	v_cmp_ne_u32_sdwa s5, v20, v68 src0_sel:BYTE_3 src1_sel:DWORD
	v_bfrev_b32_e32 v22, 1
	s_and_saveexec_b32 s15, s5
	s_cbranch_execz .LBB369_1452
; %bb.1447:                             ;   in Loop: Header=BB369_1059 Depth=1
	v_bfe_u32 v23, v20, 24, 7
	v_mov_b32_e32 v22, 0x7f800001
	s_mov_b32 s18, exec_lo
	v_cmpx_ne_u32_e32 0x7f, v23
	s_cbranch_execz .LBB369_1451
; %bb.1448:                             ;   in Loop: Header=BB369_1059 Depth=1
	v_mov_b32_e32 v10, 7
	v_lshrrev_b32_e32 v19, 3, v23
	v_cmp_gt_u32_e64 s5, 8, v23
	v_and_b32_sdwa v10, v20, v10 dst_sel:DWORD dst_unused:UNUSED_PAD src0_sel:BYTE_3 src1_sel:DWORD
	v_mov_b32_e32 v24, v11
	v_mov_b32_e32 v23, v10
	s_and_saveexec_b32 s20, s5
; %bb.1449:                             ;   in Loop: Header=BB369_1059 Depth=1
	v_ffbh_u32_e32 v19, v10
	v_min_u32_e32 v19, 32, v19
	v_subrev_nc_u32_e32 v22, 28, v19
	v_sub_nc_u32_e32 v19, 29, v19
	v_lshlrev_b64 v[22:23], v22, v[10:11]
	v_and_b32_e32 v23, 7, v22
; %bb.1450:                             ;   in Loop: Header=BB369_1059 Depth=1
	s_or_b32 exec_lo, exec_lo, s20
	v_mov_b32_e32 v10, 24
	v_lshl_add_u32 v19, v19, 23, 0x3c000000
	v_lshlrev_b32_sdwa v10, v10, v20 dst_sel:DWORD dst_unused:UNUSED_PAD src0_sel:DWORD src1_sel:BYTE_3
	v_lshlrev_b32_e32 v20, 20, v23
	v_and_b32_e32 v10, 0x80000000, v10
	v_or3_b32 v22, v20, v10, v19
.LBB369_1451:                           ;   in Loop: Header=BB369_1059 Depth=1
	s_or_b32 exec_lo, exec_lo, s18
.LBB369_1452:                           ;   in Loop: Header=BB369_1059 Depth=1
	s_or_b32 exec_lo, exec_lo, s15
.LBB369_1453:                           ;   in Loop: Header=BB369_1059 Depth=1
	s_or_b32 exec_lo, exec_lo, s13
	v_mul_f32_e32 v10, v26, v21
	v_mul_f32_e32 v16, v26, v16
	;; [unrolled: 1-line block ×5, first 2 shown]
	v_bfe_u32 v19, v10, 16, 1
	v_or_b32_e32 v20, 0x400000, v10
	v_bfe_u32 v21, v16, 16, 1
	v_cmp_u_f32_e64 s5, v10, v10
	v_or_b32_e32 v23, 0x400000, v16
	v_add3_u32 v19, v19, v10, 0x7fff
	v_bfe_u32 v24, v13, 16, 1
	v_add3_u32 v21, v21, v16, 0x7fff
	v_or_b32_e32 v27, 0x400000, v13
	v_bfe_u32 v34, v5, 16, 1
	v_cndmask_b32_e64 v10, v19, v20, s5
	v_cmp_u_f32_e64 s5, v16, v16
	v_add3_u32 v24, v24, v13, 0x7fff
	v_or_b32_e32 v19, 0x400000, v5
	v_lshrrev_b32_e32 v10, 16, v10
	v_cndmask_b32_e64 v16, v21, v23, s5
	v_cmp_u_f32_e64 s5, v13, v13
	buffer_store_dword v10, off, s[0:3], s32 offset:368 ; 4-byte Folded Spill
	v_add3_u32 v10, v34, v5, 0x7fff
	v_cndmask_b32_e64 v13, v24, v27, s5
	v_cmp_u_f32_e64 s5, v5, v5
	v_lshrrev_b32_e32 v16, 16, v16
	v_lshrrev_b32_e32 v13, 16, v13
	v_cndmask_b32_e64 v5, v10, v19, s5
	v_mul_f32_e32 v10, v26, v12
	buffer_store_dword v16, off, s[0:3], s32 offset:364 ; 4-byte Folded Spill
	v_mul_f32_e32 v12, v26, v25
	buffer_store_dword v13, off, s[0:3], s32 offset:380 ; 4-byte Folded Spill
	v_bfe_u32 v13, v4, 16, 1
	v_or_b32_e32 v16, 0x400000, v4
	v_bfe_u32 v20, v10, 16, 1
	v_cmp_u_f32_e64 s5, v4, v4
	v_mul_f32_e32 v19, v26, v22
	v_add3_u32 v13, v13, v4, 0x7fff
	v_bfe_u32 v21, v12, 16, 1
	v_or_b32_e32 v22, 0x400000, v12
	v_lshrrev_b32_e32 v5, 16, v5
	v_or_b32_e32 v23, 0x400000, v19
	v_cndmask_b32_e64 v4, v13, v16, s5
	v_add3_u32 v16, v20, v10, 0x7fff
	v_or_b32_e32 v20, 0x400000, v10
	v_cmp_u_f32_e64 s5, v10, v10
	v_bfe_u32 v13, v19, 16, 1
	v_add3_u32 v21, v21, v12, 0x7fff
	v_lshrrev_b32_e32 v4, 16, v4
	buffer_store_dword v5, off, s[0:3], s32 offset:384 ; 4-byte Folded Spill
	v_cndmask_b32_e64 v10, v16, v20, s5
	v_cmp_u_f32_e64 s5, v12, v12
	v_add3_u32 v13, v13, v19, 0x7fff
	buffer_store_dword v4, off, s[0:3], s32 offset:392 ; 4-byte Folded Spill
	v_lshrrev_b32_e32 v4, 16, v10
	v_cndmask_b32_e64 v12, v21, v22, s5
	v_cmp_u_f32_e64 s5, v19, v19
	buffer_store_dword v4, off, s[0:3], s32 offset:388 ; 4-byte Folded Spill
	v_lshrrev_b32_e32 v4, 16, v12
	v_cndmask_b32_e64 v13, v13, v23, s5
	buffer_store_dword v4, off, s[0:3], s32 offset:372 ; 4-byte Folded Spill
	v_lshrrev_b32_e32 v4, 16, v13
	buffer_store_dword v4, off, s[0:3], s32 offset:376 ; 4-byte Folded Spill
	s_and_saveexec_b32 s13, vcc_lo
	s_cbranch_execz .LBB369_1455
; %bb.1454:                             ;   in Loop: Header=BB369_1059 Depth=1
	s_clause 0x1
	buffer_load_dword v4, off, s[0:3], s32 offset:196
	buffer_load_dword v5, off, s[0:3], s32 offset:388
	s_waitcnt vmcnt(1)
	v_cmp_lt_i32_e64 s5, v57, v4
	s_waitcnt vmcnt(0)
	v_cndmask_b32_e64 v5, 0, v5, s5
	v_cmp_lt_i32_e64 s5, v63, v4
	buffer_store_dword v5, off, s[0:3], s32 offset:388 ; 4-byte Folded Spill
	buffer_load_dword v5, off, s[0:3], s32 offset:392 ; 4-byte Folded Reload
	s_waitcnt vmcnt(0)
	v_cndmask_b32_e64 v5, 0, v5, s5
	v_cmp_lt_i32_e64 s5, v62, v4
	buffer_store_dword v5, off, s[0:3], s32 offset:392 ; 4-byte Folded Spill
	buffer_load_dword v5, off, s[0:3], s32 offset:384 ; 4-byte Folded Reload
	;; [unrolled: 5-line block ×6, first 2 shown]
	s_waitcnt vmcnt(0)
	v_cndmask_b32_e64 v5, 0, v5, s5
	v_cmp_lt_i32_e64 s5, v66, v4
	buffer_load_dword v4, off, s[0:3], s32 offset:376 ; 4-byte Folded Reload
	buffer_store_dword v5, off, s[0:3], s32 offset:372 ; 4-byte Folded Spill
	s_waitcnt vmcnt(0)
	v_cndmask_b32_e64 v4, 0, v4, s5
	buffer_store_dword v4, off, s[0:3], s32 offset:376 ; 4-byte Folded Spill
.LBB369_1455:                           ;   in Loop: Header=BB369_1059 Depth=1
	s_or_b32 exec_lo, exec_lo, s13
	flat_load_dwordx2 v[19:20], v[17:18] offset:1536
	v_mov_b32_e32 v13, 0
	v_mov_b32_e32 v12, 0
	s_waitcnt vmcnt(0) lgkmcnt(0)
	v_cmp_ne_u16_sdwa s5, v19, v11 src0_sel:BYTE_0 src1_sel:DWORD
	s_and_saveexec_b32 s13, s5
	s_cbranch_execz .LBB369_1463
; %bb.1456:                             ;   in Loop: Header=BB369_1059 Depth=1
	v_cmp_ne_u16_sdwa s5, v19, v68 src0_sel:BYTE_0 src1_sel:DWORD
	v_bfrev_b32_e32 v12, 1
	s_and_saveexec_b32 s15, s5
	s_cbranch_execz .LBB369_1462
; %bb.1457:                             ;   in Loop: Header=BB369_1059 Depth=1
	v_and_b32_e32 v5, 0x7f, v19
	v_mov_b32_e32 v12, 0x7f800001
	s_mov_b32 s18, exec_lo
	v_cmpx_ne_u32_e32 0x7f, v5
	s_cbranch_execz .LBB369_1461
; %bb.1458:                             ;   in Loop: Header=BB369_1059 Depth=1
	v_mov_b32_e32 v24, v20
	v_lshrrev_b32_e32 v4, 3, v5
	v_mov_b32_e32 v23, v19
	s_mov_b32 s20, exec_lo
	v_cmpx_gt_u32_e32 8, v5
; %bb.1459:                             ;   in Loop: Header=BB369_1059 Depth=1
	v_and_b32_e32 v4, 7, v19
	v_ffbh_u32_e32 v4, v4
	v_min_u32_e32 v4, 32, v4
	v_subrev_nc_u32_e32 v5, 28, v4
	v_sub_nc_u32_e32 v4, 29, v4
	v_lshlrev_b64 v[23:24], v5, v[19:20]
; %bb.1460:                             ;   in Loop: Header=BB369_1059 Depth=1
	s_or_b32 exec_lo, exec_lo, s20
	v_lshlrev_b32_e32 v5, 20, v23
	v_lshlrev_b32_e32 v10, 24, v19
	v_lshl_add_u32 v4, v4, 23, 0x3c000000
	v_and_b32_e32 v5, 0x700000, v5
	v_and_b32_e32 v10, 0x80000000, v10
	v_or3_b32 v12, v5, v10, v4
.LBB369_1461:                           ;   in Loop: Header=BB369_1059 Depth=1
	s_or_b32 exec_lo, exec_lo, s18
.LBB369_1462:                           ;   in Loop: Header=BB369_1059 Depth=1
	s_or_b32 exec_lo, exec_lo, s15
.LBB369_1463:                           ;   in Loop: Header=BB369_1059 Depth=1
	s_or_b32 exec_lo, exec_lo, s13
	v_cmp_ne_u16_sdwa s5, v19, v11 src0_sel:BYTE_1 src1_sel:DWORD
	s_and_saveexec_b32 s13, s5
	s_cbranch_execz .LBB369_1471
; %bb.1464:                             ;   in Loop: Header=BB369_1059 Depth=1
	v_cmp_ne_u16_sdwa s5, v19, v68 src0_sel:BYTE_1 src1_sel:DWORD
	v_bfrev_b32_e32 v13, 1
	s_and_saveexec_b32 s15, s5
	s_cbranch_execz .LBB369_1470
; %bb.1465:                             ;   in Loop: Header=BB369_1059 Depth=1
	v_mov_b32_e32 v4, 0xffff
	v_mov_b32_e32 v13, 0x7f800001
	s_mov_b32 s18, exec_lo
	v_and_b32_sdwa v4, v4, v19 dst_sel:DWORD dst_unused:UNUSED_PAD src0_sel:DWORD src1_sel:BYTE_1
	v_and_b32_e32 v5, 0x7f, v4
	v_cmpx_ne_u32_e32 0x7f, v5
	s_cbranch_execz .LBB369_1469
; %bb.1466:                             ;   in Loop: Header=BB369_1059 Depth=1
	v_and_b32_e32 v10, 7, v4
	v_mov_b32_e32 v24, v11
	v_lshrrev_b32_e32 v4, 3, v5
	s_mov_b32 s20, exec_lo
	v_mov_b32_e32 v23, v10
	v_cmpx_gt_u32_e32 8, v5
; %bb.1467:                             ;   in Loop: Header=BB369_1059 Depth=1
	v_ffbh_u32_e32 v4, v10
	v_min_u32_e32 v4, 32, v4
	v_subrev_nc_u32_e32 v5, 28, v4
	v_sub_nc_u32_e32 v4, 29, v4
	v_lshlrev_b64 v[21:22], v5, v[10:11]
	v_and_b32_e32 v23, 7, v21
; %bb.1468:                             ;   in Loop: Header=BB369_1059 Depth=1
	s_or_b32 exec_lo, exec_lo, s20
	v_lshlrev_b32_e32 v5, 16, v19
	v_lshlrev_b32_e32 v10, 20, v23
	v_lshl_add_u32 v4, v4, 23, 0x3c000000
	v_and_b32_e32 v5, 0x80000000, v5
	v_or3_b32 v13, v10, v5, v4
.LBB369_1469:                           ;   in Loop: Header=BB369_1059 Depth=1
	s_or_b32 exec_lo, exec_lo, s18
.LBB369_1470:                           ;   in Loop: Header=BB369_1059 Depth=1
	s_or_b32 exec_lo, exec_lo, s15
.LBB369_1471:                           ;   in Loop: Header=BB369_1059 Depth=1
	s_or_b32 exec_lo, exec_lo, s13
	v_and_b32_sdwa v5, v19, v70 dst_sel:DWORD dst_unused:UNUSED_PAD src0_sel:WORD_1 src1_sel:DWORD
	v_mov_b32_e32 v16, 0
	v_mov_b32_e32 v4, 0
	s_mov_b32 s13, exec_lo
	v_cmpx_ne_u16_e32 0, v5
	s_cbranch_execz .LBB369_1479
; %bb.1472:                             ;   in Loop: Header=BB369_1059 Depth=1
	v_bfrev_b32_e32 v4, 1
	s_mov_b32 s15, exec_lo
	v_cmpx_ne_u16_e32 0x80, v5
	s_cbranch_execz .LBB369_1478
; %bb.1473:                             ;   in Loop: Header=BB369_1059 Depth=1
	v_bfe_u32 v5, v19, 16, 7
	v_mov_b32_e32 v4, 0x7f800001
	s_mov_b32 s18, exec_lo
	v_cmpx_ne_u32_e32 0x7f, v5
	s_cbranch_execz .LBB369_1477
; %bb.1474:                             ;   in Loop: Header=BB369_1059 Depth=1
	v_mov_b32_e32 v4, 7
	s_mov_b32 s20, exec_lo
	v_and_b32_sdwa v10, v19, v4 dst_sel:DWORD dst_unused:UNUSED_PAD src0_sel:WORD_1 src1_sel:DWORD
	v_mov_b32_e32 v24, v11
	v_lshrrev_b32_e32 v4, 3, v5
	v_mov_b32_e32 v23, v10
	v_cmpx_gt_u32_e32 8, v5
; %bb.1475:                             ;   in Loop: Header=BB369_1059 Depth=1
	v_ffbh_u32_e32 v4, v10
	v_min_u32_e32 v4, 32, v4
	v_subrev_nc_u32_e32 v5, 28, v4
	v_sub_nc_u32_e32 v4, 29, v4
	v_lshlrev_b64 v[21:22], v5, v[10:11]
	v_and_b32_e32 v23, 7, v21
; %bb.1476:                             ;   in Loop: Header=BB369_1059 Depth=1
	s_or_b32 exec_lo, exec_lo, s20
	v_mov_b32_e32 v5, 24
	v_lshlrev_b32_e32 v10, 20, v23
	v_lshl_add_u32 v4, v4, 23, 0x3c000000
	v_lshlrev_b32_sdwa v5, v5, v19 dst_sel:DWORD dst_unused:UNUSED_PAD src0_sel:DWORD src1_sel:WORD_1
	v_and_b32_e32 v5, 0x80000000, v5
	v_or3_b32 v4, v10, v5, v4
.LBB369_1477:                           ;   in Loop: Header=BB369_1059 Depth=1
	s_or_b32 exec_lo, exec_lo, s18
.LBB369_1478:                           ;   in Loop: Header=BB369_1059 Depth=1
	s_or_b32 exec_lo, exec_lo, s15
.LBB369_1479:                           ;   in Loop: Header=BB369_1059 Depth=1
	s_or_b32 exec_lo, exec_lo, s13
	s_mov_b32 s13, exec_lo
	v_cmpx_lt_u32_e32 0xffffff, v19
	s_cbranch_execz .LBB369_1487
; %bb.1480:                             ;   in Loop: Header=BB369_1059 Depth=1
	v_cmp_ne_u32_sdwa s5, v19, v68 src0_sel:BYTE_3 src1_sel:DWORD
	v_bfrev_b32_e32 v16, 1
	s_and_saveexec_b32 s15, s5
	s_cbranch_execz .LBB369_1486
; %bb.1481:                             ;   in Loop: Header=BB369_1059 Depth=1
	v_bfe_u32 v21, v19, 24, 7
	v_mov_b32_e32 v16, 0x7f800001
	s_mov_b32 s18, exec_lo
	v_cmpx_ne_u32_e32 0x7f, v21
	s_cbranch_execz .LBB369_1485
; %bb.1482:                             ;   in Loop: Header=BB369_1059 Depth=1
	v_mov_b32_e32 v5, 7
	s_mov_b32 s20, exec_lo
	v_and_b32_sdwa v10, v19, v5 dst_sel:DWORD dst_unused:UNUSED_PAD src0_sel:BYTE_3 src1_sel:DWORD
	v_mov_b32_e32 v24, v11
	v_lshrrev_b32_e32 v5, 3, v21
	v_mov_b32_e32 v23, v10
	v_cmpx_gt_u32_e32 8, v21
; %bb.1483:                             ;   in Loop: Header=BB369_1059 Depth=1
	v_ffbh_u32_e32 v5, v10
	v_min_u32_e32 v5, 32, v5
	v_subrev_nc_u32_e32 v16, 28, v5
	v_sub_nc_u32_e32 v5, 29, v5
	v_lshlrev_b64 v[21:22], v16, v[10:11]
	v_and_b32_e32 v23, 7, v21
; %bb.1484:                             ;   in Loop: Header=BB369_1059 Depth=1
	s_or_b32 exec_lo, exec_lo, s20
	v_mov_b32_e32 v10, 24
	v_lshlrev_b32_e32 v16, 20, v23
	v_lshl_add_u32 v5, v5, 23, 0x3c000000
	v_lshlrev_b32_sdwa v10, v10, v19 dst_sel:DWORD dst_unused:UNUSED_PAD src0_sel:DWORD src1_sel:BYTE_3
	v_and_b32_e32 v10, 0x80000000, v10
	v_or3_b32 v16, v16, v10, v5
.LBB369_1485:                           ;   in Loop: Header=BB369_1059 Depth=1
	s_or_b32 exec_lo, exec_lo, s18
.LBB369_1486:                           ;   in Loop: Header=BB369_1059 Depth=1
	s_or_b32 exec_lo, exec_lo, s15
.LBB369_1487:                           ;   in Loop: Header=BB369_1059 Depth=1
	s_or_b32 exec_lo, exec_lo, s13
	v_mov_b32_e32 v10, v20
	v_cmp_ne_u16_sdwa s5, v20, v11 src0_sel:BYTE_0 src1_sel:DWORD
	v_mov_b32_e32 v21, 0
	v_mov_b32_e32 v5, 0
	s_and_saveexec_b32 s13, s5
	s_cbranch_execz .LBB369_1495
; %bb.1488:                             ;   in Loop: Header=BB369_1059 Depth=1
	v_cmp_ne_u16_sdwa s5, v20, v68 src0_sel:BYTE_0 src1_sel:DWORD
	v_bfrev_b32_e32 v5, 1
	s_and_saveexec_b32 s15, s5
	s_cbranch_execz .LBB369_1494
; %bb.1489:                             ;   in Loop: Header=BB369_1059 Depth=1
	v_and_b32_e32 v22, 0x7f, v20
	v_mov_b32_e32 v5, 0x7f800001
	s_mov_b32 s18, exec_lo
	v_cmpx_ne_u32_e32 0x7f, v22
	s_cbranch_execz .LBB369_1493
; %bb.1490:                             ;   in Loop: Header=BB369_1059 Depth=1
	v_mov_b32_e32 v24, v11
	v_lshrrev_b32_e32 v5, 3, v22
	v_mov_b32_e32 v23, v10
	s_mov_b32 s20, exec_lo
	v_cmpx_gt_u32_e32 8, v22
; %bb.1491:                             ;   in Loop: Header=BB369_1059 Depth=1
	v_and_b32_e32 v5, 7, v20
	v_ffbh_u32_e32 v5, v5
	v_min_u32_e32 v5, 32, v5
	v_subrev_nc_u32_e32 v22, 28, v5
	v_sub_nc_u32_e32 v5, 29, v5
	v_lshlrev_b64 v[23:24], v22, v[10:11]
; %bb.1492:                             ;   in Loop: Header=BB369_1059 Depth=1
	s_or_b32 exec_lo, exec_lo, s20
	v_lshlrev_b32_e32 v22, 20, v23
	v_lshlrev_b32_e32 v23, 24, v10
	v_lshl_add_u32 v5, v5, 23, 0x3c000000
	v_and_b32_e32 v22, 0x700000, v22
	v_and_b32_e32 v23, 0x80000000, v23
	v_or3_b32 v5, v22, v23, v5
.LBB369_1493:                           ;   in Loop: Header=BB369_1059 Depth=1
	s_or_b32 exec_lo, exec_lo, s18
.LBB369_1494:                           ;   in Loop: Header=BB369_1059 Depth=1
	s_or_b32 exec_lo, exec_lo, s15
.LBB369_1495:                           ;   in Loop: Header=BB369_1059 Depth=1
	s_or_b32 exec_lo, exec_lo, s13
	v_cmp_ne_u16_sdwa s5, v10, v11 src0_sel:BYTE_1 src1_sel:DWORD
	s_and_saveexec_b32 s13, s5
	s_cbranch_execz .LBB369_1503
; %bb.1496:                             ;   in Loop: Header=BB369_1059 Depth=1
	v_cmp_ne_u16_sdwa s5, v10, v68 src0_sel:BYTE_1 src1_sel:DWORD
	v_bfrev_b32_e32 v21, 1
	s_and_saveexec_b32 s15, s5
	s_cbranch_execz .LBB369_1502
; %bb.1497:                             ;   in Loop: Header=BB369_1059 Depth=1
	v_mov_b32_e32 v21, 0xffff
	s_mov_b32 s18, exec_lo
	v_and_b32_sdwa v23, v21, v10 dst_sel:DWORD dst_unused:UNUSED_PAD src0_sel:DWORD src1_sel:BYTE_1
	v_mov_b32_e32 v21, 0x7f800001
	v_and_b32_e32 v22, 0x7f, v23
	v_cmpx_ne_u32_e32 0x7f, v22
	s_cbranch_execz .LBB369_1501
; %bb.1498:                             ;   in Loop: Header=BB369_1059 Depth=1
	v_and_b32_e32 v23, 7, v23
	v_mov_b32_e32 v24, v11
	v_lshrrev_b32_e32 v21, 3, v22
	s_mov_b32 s20, exec_lo
	v_cmpx_gt_u32_e32 8, v22
; %bb.1499:                             ;   in Loop: Header=BB369_1059 Depth=1
	v_ffbh_u32_e32 v21, v23
	v_min_u32_e32 v21, 32, v21
	v_subrev_nc_u32_e32 v22, 28, v21
	v_sub_nc_u32_e32 v21, 29, v21
	v_lshlrev_b64 v[22:23], v22, v[23:24]
	v_and_b32_e32 v23, 7, v22
; %bb.1500:                             ;   in Loop: Header=BB369_1059 Depth=1
	s_or_b32 exec_lo, exec_lo, s20
	v_lshlrev_b32_e32 v10, 16, v10
	v_lshlrev_b32_e32 v22, 20, v23
	v_lshl_add_u32 v21, v21, 23, 0x3c000000
	v_and_b32_e32 v10, 0x80000000, v10
	v_or3_b32 v21, v22, v10, v21
.LBB369_1501:                           ;   in Loop: Header=BB369_1059 Depth=1
	s_or_b32 exec_lo, exec_lo, s18
.LBB369_1502:                           ;   in Loop: Header=BB369_1059 Depth=1
	s_or_b32 exec_lo, exec_lo, s15
.LBB369_1503:                           ;   in Loop: Header=BB369_1059 Depth=1
	s_or_b32 exec_lo, exec_lo, s13
	v_and_b32_sdwa v10, v20, v70 dst_sel:DWORD dst_unused:UNUSED_PAD src0_sel:WORD_1 src1_sel:DWORD
	v_mov_b32_e32 v22, 0
	v_mov_b32_e32 v25, 0
	s_mov_b32 s13, exec_lo
	v_cmpx_ne_u16_e32 0, v10
	s_cbranch_execz .LBB369_1511
; %bb.1504:                             ;   in Loop: Header=BB369_1059 Depth=1
	v_bfrev_b32_e32 v25, 1
	s_mov_b32 s15, exec_lo
	v_cmpx_ne_u16_e32 0x80, v10
	s_cbranch_execz .LBB369_1510
; %bb.1505:                             ;   in Loop: Header=BB369_1059 Depth=1
	v_bfe_u32 v23, v20, 16, 7
	v_mov_b32_e32 v25, 0x7f800001
	s_mov_b32 s18, exec_lo
	v_cmpx_ne_u32_e32 0x7f, v23
	s_cbranch_execz .LBB369_1509
; %bb.1506:                             ;   in Loop: Header=BB369_1059 Depth=1
	v_mov_b32_e32 v10, 7
	v_lshrrev_b32_e32 v25, 3, v23
	v_cmp_gt_u32_e64 s5, 8, v23
	v_and_b32_sdwa v10, v20, v10 dst_sel:DWORD dst_unused:UNUSED_PAD src0_sel:WORD_1 src1_sel:DWORD
	v_mov_b32_e32 v24, v11
	v_mov_b32_e32 v23, v10
	s_and_saveexec_b32 s20, s5
; %bb.1507:                             ;   in Loop: Header=BB369_1059 Depth=1
	v_ffbh_u32_e32 v23, v10
	v_min_u32_e32 v25, 32, v23
	v_subrev_nc_u32_e32 v23, 28, v25
	v_sub_nc_u32_e32 v25, 29, v25
	v_lshlrev_b64 v[23:24], v23, v[10:11]
	v_and_b32_e32 v23, 7, v23
; %bb.1508:                             ;   in Loop: Header=BB369_1059 Depth=1
	s_or_b32 exec_lo, exec_lo, s20
	v_mov_b32_e32 v10, 24
	v_lshlrev_b32_e32 v23, 20, v23
	v_lshl_add_u32 v24, v25, 23, 0x3c000000
	v_lshlrev_b32_sdwa v10, v10, v20 dst_sel:DWORD dst_unused:UNUSED_PAD src0_sel:DWORD src1_sel:WORD_1
	v_and_b32_e32 v10, 0x80000000, v10
	v_or3_b32 v25, v23, v10, v24
.LBB369_1509:                           ;   in Loop: Header=BB369_1059 Depth=1
	s_or_b32 exec_lo, exec_lo, s18
.LBB369_1510:                           ;   in Loop: Header=BB369_1059 Depth=1
	s_or_b32 exec_lo, exec_lo, s15
.LBB369_1511:                           ;   in Loop: Header=BB369_1059 Depth=1
	s_or_b32 exec_lo, exec_lo, s13
	s_mov_b32 s13, exec_lo
	v_cmpx_lt_u64_e64 s[8:9], v[19:20]
	s_cbranch_execz .LBB369_1519
; %bb.1512:                             ;   in Loop: Header=BB369_1059 Depth=1
	v_cmp_ne_u32_sdwa s5, v20, v68 src0_sel:BYTE_3 src1_sel:DWORD
	v_bfrev_b32_e32 v22, 1
	s_and_saveexec_b32 s15, s5
	s_cbranch_execz .LBB369_1518
; %bb.1513:                             ;   in Loop: Header=BB369_1059 Depth=1
	v_bfe_u32 v23, v20, 24, 7
	v_mov_b32_e32 v22, 0x7f800001
	s_mov_b32 s18, exec_lo
	v_cmpx_ne_u32_e32 0x7f, v23
	s_cbranch_execz .LBB369_1517
; %bb.1514:                             ;   in Loop: Header=BB369_1059 Depth=1
	v_mov_b32_e32 v10, 7
	v_lshrrev_b32_e32 v19, 3, v23
	v_cmp_gt_u32_e64 s5, 8, v23
	v_and_b32_sdwa v10, v20, v10 dst_sel:DWORD dst_unused:UNUSED_PAD src0_sel:BYTE_3 src1_sel:DWORD
	v_mov_b32_e32 v24, v11
	v_mov_b32_e32 v23, v10
	s_and_saveexec_b32 s20, s5
; %bb.1515:                             ;   in Loop: Header=BB369_1059 Depth=1
	v_ffbh_u32_e32 v19, v10
	v_min_u32_e32 v19, 32, v19
	v_subrev_nc_u32_e32 v22, 28, v19
	v_sub_nc_u32_e32 v19, 29, v19
	v_lshlrev_b64 v[22:23], v22, v[10:11]
	v_and_b32_e32 v23, 7, v22
; %bb.1516:                             ;   in Loop: Header=BB369_1059 Depth=1
	s_or_b32 exec_lo, exec_lo, s20
	v_mov_b32_e32 v10, 24
	v_lshl_add_u32 v19, v19, 23, 0x3c000000
	v_lshlrev_b32_sdwa v10, v10, v20 dst_sel:DWORD dst_unused:UNUSED_PAD src0_sel:DWORD src1_sel:BYTE_3
	v_lshlrev_b32_e32 v20, 20, v23
	v_and_b32_e32 v10, 0x80000000, v10
	v_or3_b32 v22, v20, v10, v19
.LBB369_1517:                           ;   in Loop: Header=BB369_1059 Depth=1
	s_or_b32 exec_lo, exec_lo, s18
.LBB369_1518:                           ;   in Loop: Header=BB369_1059 Depth=1
	s_or_b32 exec_lo, exec_lo, s15
.LBB369_1519:                           ;   in Loop: Header=BB369_1059 Depth=1
	s_or_b32 exec_lo, exec_lo, s13
	v_mul_f32_e32 v10, v26, v21
	v_mul_f32_e32 v5, v26, v5
	;; [unrolled: 1-line block ×5, first 2 shown]
	v_bfe_u32 v19, v10, 16, 1
	v_or_b32_e32 v20, 0x400000, v10
	v_bfe_u32 v21, v5, 16, 1
	v_cmp_u_f32_e64 s5, v10, v10
	v_or_b32_e32 v23, 0x400000, v5
	v_add3_u32 v19, v19, v10, 0x7fff
	v_bfe_u32 v24, v16, 16, 1
	v_add3_u32 v21, v21, v5, 0x7fff
	v_or_b32_e32 v27, 0x400000, v16
	v_bfe_u32 v34, v4, 16, 1
	v_cndmask_b32_e64 v10, v19, v20, s5
	v_cmp_u_f32_e64 s5, v5, v5
	v_add3_u32 v24, v24, v16, 0x7fff
	v_or_b32_e32 v19, 0x400000, v4
	v_bfe_u32 v20, v12, 16, 1
	v_lshrrev_b32_e32 v89, 16, v10
	v_cndmask_b32_e64 v5, v21, v23, s5
	v_cmp_u_f32_e64 s5, v16, v16
	v_mul_f32_e32 v10, v26, v13
	v_add3_u32 v13, v34, v4, 0x7fff
	v_lshrrev_b32_e32 v88, 16, v5
	v_cndmask_b32_e64 v16, v24, v27, s5
	v_bfe_u32 v5, v10, 16, 1
	v_cmp_u_f32_e64 s5, v4, v4
	v_lshrrev_b32_e32 v92, 16, v16
	v_add3_u32 v5, v5, v10, 0x7fff
	v_cndmask_b32_e64 v4, v13, v19, s5
	v_mul_f32_e32 v13, v26, v25
	v_or_b32_e32 v16, 0x400000, v10
	v_cmp_u_f32_e64 s5, v10, v10
	v_mul_f32_e32 v19, v26, v22
	v_lshrrev_b32_e32 v93, 16, v4
	v_bfe_u32 v21, v13, 16, 1
	v_or_b32_e32 v22, 0x400000, v13
	v_cndmask_b32_e64 v5, v5, v16, s5
	v_add3_u32 v16, v20, v12, 0x7fff
	v_or_b32_e32 v20, 0x400000, v12
	v_cmp_u_f32_e64 s5, v12, v12
	v_bfe_u32 v10, v19, 16, 1
	v_add3_u32 v21, v21, v13, 0x7fff
	v_or_b32_e32 v23, 0x400000, v19
	v_lshrrev_b32_e32 v95, 16, v5
	v_cndmask_b32_e64 v12, v16, v20, s5
	v_cmp_u_f32_e64 s5, v13, v13
	v_add3_u32 v10, v10, v19, 0x7fff
	v_lshrrev_b32_e32 v94, 16, v12
	v_cndmask_b32_e64 v13, v21, v22, s5
	v_cmp_u_f32_e64 s5, v19, v19
	v_lshrrev_b32_e32 v90, 16, v13
	v_cndmask_b32_e64 v10, v10, v23, s5
	v_lshrrev_b32_e32 v91, 16, v10
	s_and_saveexec_b32 s13, vcc_lo
	s_cbranch_execz .LBB369_1521
; %bb.1520:                             ;   in Loop: Header=BB369_1059 Depth=1
	buffer_load_dword v4, off, s[0:3], s32 offset:196 ; 4-byte Folded Reload
	s_waitcnt vmcnt(0)
	v_cmp_lt_i32_e64 s5, v57, v4
	v_cndmask_b32_e64 v94, 0, v94, s5
	v_cmp_lt_i32_e64 s5, v63, v4
	v_cndmask_b32_e64 v95, 0, v95, s5
	;; [unrolled: 2-line block ×8, first 2 shown]
.LBB369_1521:                           ;   in Loop: Header=BB369_1059 Depth=1
	s_or_b32 exec_lo, exec_lo, s13
	flat_load_dwordx2 v[19:20], v[17:18] offset:1792
	v_mov_b32_e32 v13, 0
	v_mov_b32_e32 v12, 0
	s_waitcnt vmcnt(0) lgkmcnt(0)
	v_cmp_ne_u16_sdwa s5, v19, v11 src0_sel:BYTE_0 src1_sel:DWORD
	s_and_saveexec_b32 s13, s5
	s_cbranch_execz .LBB369_1529
; %bb.1522:                             ;   in Loop: Header=BB369_1059 Depth=1
	v_cmp_ne_u16_sdwa s5, v19, v68 src0_sel:BYTE_0 src1_sel:DWORD
	v_bfrev_b32_e32 v12, 1
	s_and_saveexec_b32 s15, s5
	s_cbranch_execz .LBB369_1528
; %bb.1523:                             ;   in Loop: Header=BB369_1059 Depth=1
	v_and_b32_e32 v5, 0x7f, v19
	v_mov_b32_e32 v12, 0x7f800001
	s_mov_b32 s18, exec_lo
	v_cmpx_ne_u32_e32 0x7f, v5
	s_cbranch_execz .LBB369_1527
; %bb.1524:                             ;   in Loop: Header=BB369_1059 Depth=1
	v_mov_b32_e32 v24, v20
	v_lshrrev_b32_e32 v4, 3, v5
	v_mov_b32_e32 v23, v19
	s_mov_b32 s20, exec_lo
	v_cmpx_gt_u32_e32 8, v5
; %bb.1525:                             ;   in Loop: Header=BB369_1059 Depth=1
	v_and_b32_e32 v4, 7, v19
	v_ffbh_u32_e32 v4, v4
	v_min_u32_e32 v4, 32, v4
	v_subrev_nc_u32_e32 v5, 28, v4
	v_sub_nc_u32_e32 v4, 29, v4
	v_lshlrev_b64 v[23:24], v5, v[19:20]
; %bb.1526:                             ;   in Loop: Header=BB369_1059 Depth=1
	s_or_b32 exec_lo, exec_lo, s20
	v_lshlrev_b32_e32 v5, 20, v23
	v_lshlrev_b32_e32 v10, 24, v19
	v_lshl_add_u32 v4, v4, 23, 0x3c000000
	v_and_b32_e32 v5, 0x700000, v5
	v_and_b32_e32 v10, 0x80000000, v10
	v_or3_b32 v12, v5, v10, v4
.LBB369_1527:                           ;   in Loop: Header=BB369_1059 Depth=1
	s_or_b32 exec_lo, exec_lo, s18
.LBB369_1528:                           ;   in Loop: Header=BB369_1059 Depth=1
	s_or_b32 exec_lo, exec_lo, s15
.LBB369_1529:                           ;   in Loop: Header=BB369_1059 Depth=1
	s_or_b32 exec_lo, exec_lo, s13
	v_cmp_ne_u16_sdwa s5, v19, v11 src0_sel:BYTE_1 src1_sel:DWORD
	s_and_saveexec_b32 s13, s5
	s_cbranch_execz .LBB369_1537
; %bb.1530:                             ;   in Loop: Header=BB369_1059 Depth=1
	v_cmp_ne_u16_sdwa s5, v19, v68 src0_sel:BYTE_1 src1_sel:DWORD
	v_bfrev_b32_e32 v13, 1
	s_and_saveexec_b32 s15, s5
	s_cbranch_execz .LBB369_1536
; %bb.1531:                             ;   in Loop: Header=BB369_1059 Depth=1
	v_mov_b32_e32 v4, 0xffff
	v_mov_b32_e32 v13, 0x7f800001
	s_mov_b32 s18, exec_lo
	v_and_b32_sdwa v4, v4, v19 dst_sel:DWORD dst_unused:UNUSED_PAD src0_sel:DWORD src1_sel:BYTE_1
	v_and_b32_e32 v5, 0x7f, v4
	v_cmpx_ne_u32_e32 0x7f, v5
	s_cbranch_execz .LBB369_1535
; %bb.1532:                             ;   in Loop: Header=BB369_1059 Depth=1
	v_and_b32_e32 v10, 7, v4
	v_mov_b32_e32 v24, v11
	v_lshrrev_b32_e32 v4, 3, v5
	s_mov_b32 s20, exec_lo
	v_mov_b32_e32 v23, v10
	v_cmpx_gt_u32_e32 8, v5
; %bb.1533:                             ;   in Loop: Header=BB369_1059 Depth=1
	v_ffbh_u32_e32 v4, v10
	v_min_u32_e32 v4, 32, v4
	v_subrev_nc_u32_e32 v5, 28, v4
	v_sub_nc_u32_e32 v4, 29, v4
	v_lshlrev_b64 v[21:22], v5, v[10:11]
	v_and_b32_e32 v23, 7, v21
; %bb.1534:                             ;   in Loop: Header=BB369_1059 Depth=1
	s_or_b32 exec_lo, exec_lo, s20
	v_lshlrev_b32_e32 v5, 16, v19
	v_lshlrev_b32_e32 v10, 20, v23
	v_lshl_add_u32 v4, v4, 23, 0x3c000000
	v_and_b32_e32 v5, 0x80000000, v5
	v_or3_b32 v13, v10, v5, v4
.LBB369_1535:                           ;   in Loop: Header=BB369_1059 Depth=1
	s_or_b32 exec_lo, exec_lo, s18
.LBB369_1536:                           ;   in Loop: Header=BB369_1059 Depth=1
	s_or_b32 exec_lo, exec_lo, s15
.LBB369_1537:                           ;   in Loop: Header=BB369_1059 Depth=1
	s_or_b32 exec_lo, exec_lo, s13
	v_and_b32_sdwa v5, v19, v70 dst_sel:DWORD dst_unused:UNUSED_PAD src0_sel:WORD_1 src1_sel:DWORD
	v_mov_b32_e32 v4, 0
	v_mov_b32_e32 v16, 0
	s_mov_b32 s13, exec_lo
	v_cmpx_ne_u16_e32 0, v5
	s_cbranch_execz .LBB369_1545
; %bb.1538:                             ;   in Loop: Header=BB369_1059 Depth=1
	v_bfrev_b32_e32 v16, 1
	s_mov_b32 s15, exec_lo
	v_cmpx_ne_u16_e32 0x80, v5
	s_cbranch_execz .LBB369_1544
; %bb.1539:                             ;   in Loop: Header=BB369_1059 Depth=1
	v_bfe_u32 v21, v19, 16, 7
	v_mov_b32_e32 v16, 0x7f800001
	s_mov_b32 s18, exec_lo
	v_cmpx_ne_u32_e32 0x7f, v21
	s_cbranch_execz .LBB369_1543
; %bb.1540:                             ;   in Loop: Header=BB369_1059 Depth=1
	v_mov_b32_e32 v5, 7
	s_mov_b32 s20, exec_lo
	v_and_b32_sdwa v10, v19, v5 dst_sel:DWORD dst_unused:UNUSED_PAD src0_sel:WORD_1 src1_sel:DWORD
	v_mov_b32_e32 v24, v11
	v_lshrrev_b32_e32 v5, 3, v21
	v_mov_b32_e32 v23, v10
	v_cmpx_gt_u32_e32 8, v21
; %bb.1541:                             ;   in Loop: Header=BB369_1059 Depth=1
	v_ffbh_u32_e32 v5, v10
	v_min_u32_e32 v5, 32, v5
	v_subrev_nc_u32_e32 v16, 28, v5
	v_sub_nc_u32_e32 v5, 29, v5
	v_lshlrev_b64 v[21:22], v16, v[10:11]
	v_and_b32_e32 v23, 7, v21
; %bb.1542:                             ;   in Loop: Header=BB369_1059 Depth=1
	s_or_b32 exec_lo, exec_lo, s20
	v_mov_b32_e32 v10, 24
	v_lshlrev_b32_e32 v16, 20, v23
	v_lshl_add_u32 v5, v5, 23, 0x3c000000
	v_lshlrev_b32_sdwa v10, v10, v19 dst_sel:DWORD dst_unused:UNUSED_PAD src0_sel:DWORD src1_sel:WORD_1
	v_and_b32_e32 v10, 0x80000000, v10
	v_or3_b32 v16, v16, v10, v5
.LBB369_1543:                           ;   in Loop: Header=BB369_1059 Depth=1
	s_or_b32 exec_lo, exec_lo, s18
.LBB369_1544:                           ;   in Loop: Header=BB369_1059 Depth=1
	s_or_b32 exec_lo, exec_lo, s15
.LBB369_1545:                           ;   in Loop: Header=BB369_1059 Depth=1
	s_or_b32 exec_lo, exec_lo, s13
	s_mov_b32 s13, exec_lo
	v_cmpx_lt_u32_e32 0xffffff, v19
	s_cbranch_execz .LBB369_1553
; %bb.1546:                             ;   in Loop: Header=BB369_1059 Depth=1
	v_cmp_ne_u32_sdwa s5, v19, v68 src0_sel:BYTE_3 src1_sel:DWORD
	v_bfrev_b32_e32 v4, 1
	s_and_saveexec_b32 s15, s5
	s_cbranch_execz .LBB369_1552
; %bb.1547:                             ;   in Loop: Header=BB369_1059 Depth=1
	v_bfe_u32 v5, v19, 24, 7
	v_mov_b32_e32 v4, 0x7f800001
	s_mov_b32 s18, exec_lo
	v_cmpx_ne_u32_e32 0x7f, v5
	s_cbranch_execz .LBB369_1551
; %bb.1548:                             ;   in Loop: Header=BB369_1059 Depth=1
	v_mov_b32_e32 v4, 7
	s_mov_b32 s20, exec_lo
	v_and_b32_sdwa v10, v19, v4 dst_sel:DWORD dst_unused:UNUSED_PAD src0_sel:BYTE_3 src1_sel:DWORD
	v_mov_b32_e32 v24, v11
	v_lshrrev_b32_e32 v4, 3, v5
	v_mov_b32_e32 v23, v10
	v_cmpx_gt_u32_e32 8, v5
; %bb.1549:                             ;   in Loop: Header=BB369_1059 Depth=1
	v_ffbh_u32_e32 v4, v10
	v_min_u32_e32 v4, 32, v4
	v_subrev_nc_u32_e32 v5, 28, v4
	v_sub_nc_u32_e32 v4, 29, v4
	v_lshlrev_b64 v[21:22], v5, v[10:11]
	v_and_b32_e32 v23, 7, v21
; %bb.1550:                             ;   in Loop: Header=BB369_1059 Depth=1
	s_or_b32 exec_lo, exec_lo, s20
	v_mov_b32_e32 v5, 24
	v_lshlrev_b32_e32 v10, 20, v23
	v_lshl_add_u32 v4, v4, 23, 0x3c000000
	v_lshlrev_b32_sdwa v5, v5, v19 dst_sel:DWORD dst_unused:UNUSED_PAD src0_sel:DWORD src1_sel:BYTE_3
	v_and_b32_e32 v5, 0x80000000, v5
	v_or3_b32 v4, v10, v5, v4
.LBB369_1551:                           ;   in Loop: Header=BB369_1059 Depth=1
	s_or_b32 exec_lo, exec_lo, s18
.LBB369_1552:                           ;   in Loop: Header=BB369_1059 Depth=1
	s_or_b32 exec_lo, exec_lo, s15
.LBB369_1553:                           ;   in Loop: Header=BB369_1059 Depth=1
	s_or_b32 exec_lo, exec_lo, s13
	v_mov_b32_e32 v10, v20
	v_cmp_ne_u16_sdwa s5, v20, v11 src0_sel:BYTE_0 src1_sel:DWORD
	v_mov_b32_e32 v25, 0
	v_mov_b32_e32 v22, 0
	s_and_saveexec_b32 s13, s5
	s_cbranch_execz .LBB369_1561
; %bb.1554:                             ;   in Loop: Header=BB369_1059 Depth=1
	v_cmp_ne_u16_sdwa s5, v20, v68 src0_sel:BYTE_0 src1_sel:DWORD
	v_bfrev_b32_e32 v22, 1
	s_and_saveexec_b32 s15, s5
	s_cbranch_execz .LBB369_1560
; %bb.1555:                             ;   in Loop: Header=BB369_1059 Depth=1
	v_and_b32_e32 v21, 0x7f, v20
	v_mov_b32_e32 v22, 0x7f800001
	s_mov_b32 s18, exec_lo
	v_cmpx_ne_u32_e32 0x7f, v21
	s_cbranch_execz .LBB369_1559
; %bb.1556:                             ;   in Loop: Header=BB369_1059 Depth=1
	v_mov_b32_e32 v24, v11
	v_lshrrev_b32_e32 v5, 3, v21
	v_mov_b32_e32 v23, v10
	s_mov_b32 s20, exec_lo
	v_cmpx_gt_u32_e32 8, v21
; %bb.1557:                             ;   in Loop: Header=BB369_1059 Depth=1
	v_and_b32_e32 v5, 7, v20
	v_ffbh_u32_e32 v5, v5
	v_min_u32_e32 v5, 32, v5
	v_subrev_nc_u32_e32 v21, 28, v5
	v_sub_nc_u32_e32 v5, 29, v5
	v_lshlrev_b64 v[23:24], v21, v[10:11]
; %bb.1558:                             ;   in Loop: Header=BB369_1059 Depth=1
	s_or_b32 exec_lo, exec_lo, s20
	v_lshlrev_b32_e32 v21, 20, v23
	v_lshlrev_b32_e32 v22, 24, v10
	v_lshl_add_u32 v5, v5, 23, 0x3c000000
	v_and_b32_e32 v21, 0x700000, v21
	v_and_b32_e32 v22, 0x80000000, v22
	v_or3_b32 v22, v21, v22, v5
.LBB369_1559:                           ;   in Loop: Header=BB369_1059 Depth=1
	s_or_b32 exec_lo, exec_lo, s18
.LBB369_1560:                           ;   in Loop: Header=BB369_1059 Depth=1
	s_or_b32 exec_lo, exec_lo, s15
.LBB369_1561:                           ;   in Loop: Header=BB369_1059 Depth=1
	s_or_b32 exec_lo, exec_lo, s13
	v_cmp_ne_u16_sdwa s5, v10, v11 src0_sel:BYTE_1 src1_sel:DWORD
	s_and_saveexec_b32 s13, s5
	s_cbranch_execz .LBB369_1569
; %bb.1562:                             ;   in Loop: Header=BB369_1059 Depth=1
	v_cmp_ne_u16_sdwa s5, v10, v68 src0_sel:BYTE_1 src1_sel:DWORD
	v_bfrev_b32_e32 v25, 1
	s_and_saveexec_b32 s15, s5
	s_cbranch_execz .LBB369_1568
; %bb.1563:                             ;   in Loop: Header=BB369_1059 Depth=1
	v_mov_b32_e32 v5, 0xffff
	v_mov_b32_e32 v25, 0x7f800001
	s_mov_b32 s18, exec_lo
	v_and_b32_sdwa v5, v5, v10 dst_sel:DWORD dst_unused:UNUSED_PAD src0_sel:DWORD src1_sel:BYTE_1
	v_and_b32_e32 v21, 0x7f, v5
	v_cmpx_ne_u32_e32 0x7f, v21
	s_cbranch_execz .LBB369_1567
; %bb.1564:                             ;   in Loop: Header=BB369_1059 Depth=1
	v_and_b32_e32 v23, 7, v5
	v_mov_b32_e32 v24, v11
	v_lshrrev_b32_e32 v5, 3, v21
	s_mov_b32 s20, exec_lo
	v_cmpx_gt_u32_e32 8, v21
; %bb.1565:                             ;   in Loop: Header=BB369_1059 Depth=1
	v_ffbh_u32_e32 v5, v23
	v_min_u32_e32 v5, 32, v5
	v_subrev_nc_u32_e32 v21, 28, v5
	v_sub_nc_u32_e32 v5, 29, v5
	v_lshlrev_b64 v[23:24], v21, v[23:24]
	v_and_b32_e32 v23, 7, v23
; %bb.1566:                             ;   in Loop: Header=BB369_1059 Depth=1
	s_or_b32 exec_lo, exec_lo, s20
	v_lshlrev_b32_e32 v10, 16, v10
	v_lshlrev_b32_e32 v21, 20, v23
	v_lshl_add_u32 v5, v5, 23, 0x3c000000
	v_and_b32_e32 v10, 0x80000000, v10
	v_or3_b32 v25, v21, v10, v5
.LBB369_1567:                           ;   in Loop: Header=BB369_1059 Depth=1
	s_or_b32 exec_lo, exec_lo, s18
.LBB369_1568:                           ;   in Loop: Header=BB369_1059 Depth=1
	s_or_b32 exec_lo, exec_lo, s15
.LBB369_1569:                           ;   in Loop: Header=BB369_1059 Depth=1
	s_or_b32 exec_lo, exec_lo, s13
	v_and_b32_sdwa v10, v20, v70 dst_sel:DWORD dst_unused:UNUSED_PAD src0_sel:WORD_1 src1_sel:DWORD
	v_mov_b32_e32 v5, 0
	v_mov_b32_e32 v21, 0
	s_mov_b32 s13, exec_lo
	v_cmpx_ne_u16_e32 0, v10
	s_cbranch_execz .LBB369_1577
; %bb.1570:                             ;   in Loop: Header=BB369_1059 Depth=1
	v_bfrev_b32_e32 v21, 1
	s_mov_b32 s15, exec_lo
	v_cmpx_ne_u16_e32 0x80, v10
	s_cbranch_execz .LBB369_1576
; %bb.1571:                             ;   in Loop: Header=BB369_1059 Depth=1
	v_bfe_u32 v23, v20, 16, 7
	v_mov_b32_e32 v21, 0x7f800001
	s_mov_b32 s18, exec_lo
	v_cmpx_ne_u32_e32 0x7f, v23
	s_cbranch_execz .LBB369_1575
; %bb.1572:                             ;   in Loop: Header=BB369_1059 Depth=1
	v_mov_b32_e32 v10, 7
	v_lshrrev_b32_e32 v21, 3, v23
	v_cmp_gt_u32_e64 s5, 8, v23
	v_and_b32_sdwa v10, v20, v10 dst_sel:DWORD dst_unused:UNUSED_PAD src0_sel:WORD_1 src1_sel:DWORD
	v_mov_b32_e32 v24, v11
	v_mov_b32_e32 v23, v10
	s_and_saveexec_b32 s20, s5
; %bb.1573:                             ;   in Loop: Header=BB369_1059 Depth=1
	v_ffbh_u32_e32 v21, v10
	v_min_u32_e32 v21, 32, v21
	v_subrev_nc_u32_e32 v23, 28, v21
	v_sub_nc_u32_e32 v21, 29, v21
	v_lshlrev_b64 v[23:24], v23, v[10:11]
	v_and_b32_e32 v23, 7, v23
; %bb.1574:                             ;   in Loop: Header=BB369_1059 Depth=1
	s_or_b32 exec_lo, exec_lo, s20
	v_mov_b32_e32 v10, 24
	v_lshlrev_b32_e32 v23, 20, v23
	v_lshl_add_u32 v21, v21, 23, 0x3c000000
	v_lshlrev_b32_sdwa v10, v10, v20 dst_sel:DWORD dst_unused:UNUSED_PAD src0_sel:DWORD src1_sel:WORD_1
	v_and_b32_e32 v10, 0x80000000, v10
	v_or3_b32 v21, v23, v10, v21
.LBB369_1575:                           ;   in Loop: Header=BB369_1059 Depth=1
	s_or_b32 exec_lo, exec_lo, s18
.LBB369_1576:                           ;   in Loop: Header=BB369_1059 Depth=1
	s_or_b32 exec_lo, exec_lo, s15
.LBB369_1577:                           ;   in Loop: Header=BB369_1059 Depth=1
	s_or_b32 exec_lo, exec_lo, s13
	s_mov_b32 s13, exec_lo
	v_cmpx_lt_u64_e64 s[8:9], v[19:20]
	s_cbranch_execz .LBB369_1585
; %bb.1578:                             ;   in Loop: Header=BB369_1059 Depth=1
	v_cmp_ne_u32_sdwa s5, v20, v68 src0_sel:BYTE_3 src1_sel:DWORD
	v_bfrev_b32_e32 v5, 1
	s_and_saveexec_b32 s15, s5
	s_cbranch_execz .LBB369_1584
; %bb.1579:                             ;   in Loop: Header=BB369_1059 Depth=1
	v_bfe_u32 v19, v20, 24, 7
	v_mov_b32_e32 v5, 0x7f800001
	s_mov_b32 s18, exec_lo
	v_cmpx_ne_u32_e32 0x7f, v19
	s_cbranch_execz .LBB369_1583
; %bb.1580:                             ;   in Loop: Header=BB369_1059 Depth=1
	v_mov_b32_e32 v5, 7
	s_mov_b32 s20, exec_lo
	v_and_b32_sdwa v10, v20, v5 dst_sel:DWORD dst_unused:UNUSED_PAD src0_sel:BYTE_3 src1_sel:DWORD
	v_mov_b32_e32 v24, v11
	v_lshrrev_b32_e32 v5, 3, v19
	v_mov_b32_e32 v23, v10
	v_cmpx_gt_u32_e32 8, v19
; %bb.1581:                             ;   in Loop: Header=BB369_1059 Depth=1
	v_ffbh_u32_e32 v5, v10
	v_min_u32_e32 v5, 32, v5
	v_subrev_nc_u32_e32 v19, 28, v5
	v_sub_nc_u32_e32 v5, 29, v5
	v_lshlrev_b64 v[23:24], v19, v[10:11]
	v_and_b32_e32 v23, 7, v23
; %bb.1582:                             ;   in Loop: Header=BB369_1059 Depth=1
	s_or_b32 exec_lo, exec_lo, s20
	v_mov_b32_e32 v10, 24
	v_lshlrev_b32_e32 v19, 20, v23
	v_lshl_add_u32 v5, v5, 23, 0x3c000000
	v_lshlrev_b32_sdwa v10, v10, v20 dst_sel:DWORD dst_unused:UNUSED_PAD src0_sel:DWORD src1_sel:BYTE_3
	v_and_b32_e32 v10, 0x80000000, v10
	v_or3_b32 v5, v19, v10, v5
.LBB369_1583:                           ;   in Loop: Header=BB369_1059 Depth=1
	s_or_b32 exec_lo, exec_lo, s18
.LBB369_1584:                           ;   in Loop: Header=BB369_1059 Depth=1
	s_or_b32 exec_lo, exec_lo, s15
.LBB369_1585:                           ;   in Loop: Header=BB369_1059 Depth=1
	s_or_b32 exec_lo, exec_lo, s13
	v_mul_f32_e32 v10, v26, v25
	v_mul_f32_e32 v4, v26, v4
	v_bfe_u32 v19, v10, 16, 1
	v_or_b32_e32 v20, 0x400000, v10
	v_cmp_u_f32_e64 s5, v10, v10
	v_add3_u32 v19, v19, v10, 0x7fff
	v_cndmask_b32_e64 v10, v19, v20, s5
	v_lshrrev_b32_e32 v104, 16, v10
	v_mul_f32_e32 v10, v26, v22
	v_bfe_u32 v19, v10, 16, 1
	v_or_b32_e32 v20, 0x400000, v10
	v_cmp_u_f32_e64 s5, v10, v10
	v_add3_u32 v19, v19, v10, 0x7fff
	v_cndmask_b32_e64 v10, v19, v20, s5
	v_or_b32_e32 v19, 0x400000, v4
	v_cmp_u_f32_e64 s5, v4, v4
	v_lshrrev_b32_e32 v105, 16, v10
	v_bfe_u32 v10, v4, 16, 1
	v_add3_u32 v10, v10, v4, 0x7fff
	v_cndmask_b32_e64 v4, v10, v19, s5
	v_lshrrev_b32_e32 v106, 16, v4
	v_mul_f32_e32 v4, v26, v16
	v_bfe_u32 v10, v4, 16, 1
	v_or_b32_e32 v16, 0x400000, v4
	v_cmp_u_f32_e64 s5, v4, v4
	v_add3_u32 v10, v10, v4, 0x7fff
	v_cndmask_b32_e64 v4, v10, v16, s5
	v_lshrrev_b32_e32 v107, 16, v4
	v_mul_f32_e32 v4, v26, v13
	v_bfe_u32 v10, v4, 16, 1
	v_or_b32_e32 v13, 0x400000, v4
	v_cmp_u_f32_e64 s5, v4, v4
	;; [unrolled: 7-line block ×5, first 2 shown]
	v_add3_u32 v5, v5, v4, 0x7fff
	v_cndmask_b32_e64 v4, v5, v10, s5
	v_lshrrev_b32_e32 v111, 16, v4
	s_and_saveexec_b32 s13, vcc_lo
	s_cbranch_execz .LBB369_1587
; %bb.1586:                             ;   in Loop: Header=BB369_1059 Depth=1
	buffer_load_dword v4, off, s[0:3], s32 offset:196 ; 4-byte Folded Reload
	s_waitcnt vmcnt(0)
	v_cmp_lt_i32_e64 s5, v57, v4
	v_cndmask_b32_e64 v110, 0, v110, s5
	v_cmp_lt_i32_e64 s5, v63, v4
	v_cndmask_b32_e64 v109, 0, v109, s5
	;; [unrolled: 2-line block ×8, first 2 shown]
.LBB369_1587:                           ;   in Loop: Header=BB369_1059 Depth=1
	s_or_b32 exec_lo, exec_lo, s13
	v_add_co_u32 v17, s5, 0x800, v17
	v_add_co_ci_u32_e64 v18, null, 0, v18, s5
	v_mov_b32_e32 v13, 0
	v_mov_b32_e32 v12, 0
	flat_load_dwordx2 v[19:20], v[17:18]
	s_waitcnt vmcnt(0) lgkmcnt(0)
	v_cmp_ne_u16_sdwa s5, v19, v11 src0_sel:BYTE_0 src1_sel:DWORD
	s_and_saveexec_b32 s13, s5
	s_cbranch_execz .LBB369_1595
; %bb.1588:                             ;   in Loop: Header=BB369_1059 Depth=1
	v_cmp_ne_u16_sdwa s5, v19, v68 src0_sel:BYTE_0 src1_sel:DWORD
	v_bfrev_b32_e32 v12, 1
	s_and_saveexec_b32 s15, s5
	s_cbranch_execz .LBB369_1594
; %bb.1589:                             ;   in Loop: Header=BB369_1059 Depth=1
	v_and_b32_e32 v5, 0x7f, v19
	v_mov_b32_e32 v12, 0x7f800001
	s_mov_b32 s18, exec_lo
	v_cmpx_ne_u32_e32 0x7f, v5
	s_cbranch_execz .LBB369_1593
; %bb.1590:                             ;   in Loop: Header=BB369_1059 Depth=1
	v_mov_b32_e32 v24, v20
	v_lshrrev_b32_e32 v4, 3, v5
	v_mov_b32_e32 v23, v19
	s_mov_b32 s20, exec_lo
	v_cmpx_gt_u32_e32 8, v5
; %bb.1591:                             ;   in Loop: Header=BB369_1059 Depth=1
	v_and_b32_e32 v4, 7, v19
	v_ffbh_u32_e32 v4, v4
	v_min_u32_e32 v4, 32, v4
	v_subrev_nc_u32_e32 v5, 28, v4
	v_sub_nc_u32_e32 v4, 29, v4
	v_lshlrev_b64 v[23:24], v5, v[19:20]
; %bb.1592:                             ;   in Loop: Header=BB369_1059 Depth=1
	s_or_b32 exec_lo, exec_lo, s20
	v_lshlrev_b32_e32 v5, 20, v23
	v_lshlrev_b32_e32 v10, 24, v19
	v_lshl_add_u32 v4, v4, 23, 0x3c000000
	v_and_b32_e32 v5, 0x700000, v5
	v_and_b32_e32 v10, 0x80000000, v10
	v_or3_b32 v12, v5, v10, v4
.LBB369_1593:                           ;   in Loop: Header=BB369_1059 Depth=1
	s_or_b32 exec_lo, exec_lo, s18
.LBB369_1594:                           ;   in Loop: Header=BB369_1059 Depth=1
	s_or_b32 exec_lo, exec_lo, s15
.LBB369_1595:                           ;   in Loop: Header=BB369_1059 Depth=1
	s_or_b32 exec_lo, exec_lo, s13
	v_cmp_ne_u16_sdwa s5, v19, v11 src0_sel:BYTE_1 src1_sel:DWORD
	s_and_saveexec_b32 s13, s5
	s_cbranch_execz .LBB369_1603
; %bb.1596:                             ;   in Loop: Header=BB369_1059 Depth=1
	v_cmp_ne_u16_sdwa s5, v19, v68 src0_sel:BYTE_1 src1_sel:DWORD
	v_bfrev_b32_e32 v13, 1
	s_and_saveexec_b32 s15, s5
	s_cbranch_execz .LBB369_1602
; %bb.1597:                             ;   in Loop: Header=BB369_1059 Depth=1
	v_mov_b32_e32 v4, 0xffff
	v_mov_b32_e32 v13, 0x7f800001
	s_mov_b32 s18, exec_lo
	v_and_b32_sdwa v4, v4, v19 dst_sel:DWORD dst_unused:UNUSED_PAD src0_sel:DWORD src1_sel:BYTE_1
	v_and_b32_e32 v5, 0x7f, v4
	v_cmpx_ne_u32_e32 0x7f, v5
	s_cbranch_execz .LBB369_1601
; %bb.1598:                             ;   in Loop: Header=BB369_1059 Depth=1
	v_and_b32_e32 v10, 7, v4
	v_mov_b32_e32 v24, v11
	v_lshrrev_b32_e32 v4, 3, v5
	s_mov_b32 s20, exec_lo
	v_mov_b32_e32 v23, v10
	v_cmpx_gt_u32_e32 8, v5
; %bb.1599:                             ;   in Loop: Header=BB369_1059 Depth=1
	v_ffbh_u32_e32 v4, v10
	v_min_u32_e32 v4, 32, v4
	v_subrev_nc_u32_e32 v5, 28, v4
	v_sub_nc_u32_e32 v4, 29, v4
	v_lshlrev_b64 v[21:22], v5, v[10:11]
	v_and_b32_e32 v23, 7, v21
; %bb.1600:                             ;   in Loop: Header=BB369_1059 Depth=1
	s_or_b32 exec_lo, exec_lo, s20
	v_lshlrev_b32_e32 v5, 16, v19
	v_lshlrev_b32_e32 v10, 20, v23
	v_lshl_add_u32 v4, v4, 23, 0x3c000000
	v_and_b32_e32 v5, 0x80000000, v5
	v_or3_b32 v13, v10, v5, v4
.LBB369_1601:                           ;   in Loop: Header=BB369_1059 Depth=1
	s_or_b32 exec_lo, exec_lo, s18
.LBB369_1602:                           ;   in Loop: Header=BB369_1059 Depth=1
	s_or_b32 exec_lo, exec_lo, s15
.LBB369_1603:                           ;   in Loop: Header=BB369_1059 Depth=1
	s_or_b32 exec_lo, exec_lo, s13
	v_and_b32_sdwa v5, v19, v70 dst_sel:DWORD dst_unused:UNUSED_PAD src0_sel:WORD_1 src1_sel:DWORD
	v_mov_b32_e32 v4, 0
	v_mov_b32_e32 v16, 0
	s_mov_b32 s13, exec_lo
	v_cmpx_ne_u16_e32 0, v5
	s_cbranch_execz .LBB369_1611
; %bb.1604:                             ;   in Loop: Header=BB369_1059 Depth=1
	v_bfrev_b32_e32 v16, 1
	s_mov_b32 s15, exec_lo
	v_cmpx_ne_u16_e32 0x80, v5
	s_cbranch_execz .LBB369_1610
; %bb.1605:                             ;   in Loop: Header=BB369_1059 Depth=1
	v_bfe_u32 v21, v19, 16, 7
	v_mov_b32_e32 v16, 0x7f800001
	s_mov_b32 s18, exec_lo
	v_cmpx_ne_u32_e32 0x7f, v21
	s_cbranch_execz .LBB369_1609
; %bb.1606:                             ;   in Loop: Header=BB369_1059 Depth=1
	v_mov_b32_e32 v5, 7
	s_mov_b32 s20, exec_lo
	v_and_b32_sdwa v10, v19, v5 dst_sel:DWORD dst_unused:UNUSED_PAD src0_sel:WORD_1 src1_sel:DWORD
	v_mov_b32_e32 v24, v11
	v_lshrrev_b32_e32 v5, 3, v21
	v_mov_b32_e32 v23, v10
	v_cmpx_gt_u32_e32 8, v21
; %bb.1607:                             ;   in Loop: Header=BB369_1059 Depth=1
	v_ffbh_u32_e32 v5, v10
	v_min_u32_e32 v5, 32, v5
	v_subrev_nc_u32_e32 v16, 28, v5
	v_sub_nc_u32_e32 v5, 29, v5
	v_lshlrev_b64 v[21:22], v16, v[10:11]
	v_and_b32_e32 v23, 7, v21
; %bb.1608:                             ;   in Loop: Header=BB369_1059 Depth=1
	s_or_b32 exec_lo, exec_lo, s20
	v_mov_b32_e32 v10, 24
	v_lshlrev_b32_e32 v16, 20, v23
	v_lshl_add_u32 v5, v5, 23, 0x3c000000
	v_lshlrev_b32_sdwa v10, v10, v19 dst_sel:DWORD dst_unused:UNUSED_PAD src0_sel:DWORD src1_sel:WORD_1
	v_and_b32_e32 v10, 0x80000000, v10
	v_or3_b32 v16, v16, v10, v5
.LBB369_1609:                           ;   in Loop: Header=BB369_1059 Depth=1
	s_or_b32 exec_lo, exec_lo, s18
.LBB369_1610:                           ;   in Loop: Header=BB369_1059 Depth=1
	s_or_b32 exec_lo, exec_lo, s15
.LBB369_1611:                           ;   in Loop: Header=BB369_1059 Depth=1
	s_or_b32 exec_lo, exec_lo, s13
	s_mov_b32 s13, exec_lo
	v_cmpx_lt_u32_e32 0xffffff, v19
	s_cbranch_execz .LBB369_1619
; %bb.1612:                             ;   in Loop: Header=BB369_1059 Depth=1
	v_cmp_ne_u32_sdwa s5, v19, v68 src0_sel:BYTE_3 src1_sel:DWORD
	v_bfrev_b32_e32 v4, 1
	s_and_saveexec_b32 s15, s5
	s_cbranch_execz .LBB369_1618
; %bb.1613:                             ;   in Loop: Header=BB369_1059 Depth=1
	v_bfe_u32 v5, v19, 24, 7
	v_mov_b32_e32 v4, 0x7f800001
	s_mov_b32 s18, exec_lo
	v_cmpx_ne_u32_e32 0x7f, v5
	s_cbranch_execz .LBB369_1617
; %bb.1614:                             ;   in Loop: Header=BB369_1059 Depth=1
	v_mov_b32_e32 v4, 7
	s_mov_b32 s20, exec_lo
	v_and_b32_sdwa v10, v19, v4 dst_sel:DWORD dst_unused:UNUSED_PAD src0_sel:BYTE_3 src1_sel:DWORD
	v_mov_b32_e32 v24, v11
	v_lshrrev_b32_e32 v4, 3, v5
	v_mov_b32_e32 v23, v10
	v_cmpx_gt_u32_e32 8, v5
; %bb.1615:                             ;   in Loop: Header=BB369_1059 Depth=1
	v_ffbh_u32_e32 v4, v10
	v_min_u32_e32 v4, 32, v4
	v_subrev_nc_u32_e32 v5, 28, v4
	v_sub_nc_u32_e32 v4, 29, v4
	v_lshlrev_b64 v[21:22], v5, v[10:11]
	v_and_b32_e32 v23, 7, v21
; %bb.1616:                             ;   in Loop: Header=BB369_1059 Depth=1
	s_or_b32 exec_lo, exec_lo, s20
	v_mov_b32_e32 v5, 24
	v_lshlrev_b32_e32 v10, 20, v23
	v_lshl_add_u32 v4, v4, 23, 0x3c000000
	v_lshlrev_b32_sdwa v5, v5, v19 dst_sel:DWORD dst_unused:UNUSED_PAD src0_sel:DWORD src1_sel:BYTE_3
	v_and_b32_e32 v5, 0x80000000, v5
	v_or3_b32 v4, v10, v5, v4
.LBB369_1617:                           ;   in Loop: Header=BB369_1059 Depth=1
	s_or_b32 exec_lo, exec_lo, s18
.LBB369_1618:                           ;   in Loop: Header=BB369_1059 Depth=1
	s_or_b32 exec_lo, exec_lo, s15
.LBB369_1619:                           ;   in Loop: Header=BB369_1059 Depth=1
	s_or_b32 exec_lo, exec_lo, s13
	v_mov_b32_e32 v10, v20
	v_cmp_ne_u16_sdwa s5, v20, v11 src0_sel:BYTE_0 src1_sel:DWORD
	v_mov_b32_e32 v25, 0
	v_mov_b32_e32 v22, 0
	s_and_saveexec_b32 s13, s5
	s_cbranch_execz .LBB369_1627
; %bb.1620:                             ;   in Loop: Header=BB369_1059 Depth=1
	v_cmp_ne_u16_sdwa s5, v20, v68 src0_sel:BYTE_0 src1_sel:DWORD
	v_bfrev_b32_e32 v22, 1
	s_and_saveexec_b32 s15, s5
	s_cbranch_execz .LBB369_1626
; %bb.1621:                             ;   in Loop: Header=BB369_1059 Depth=1
	v_and_b32_e32 v21, 0x7f, v20
	v_mov_b32_e32 v22, 0x7f800001
	s_mov_b32 s18, exec_lo
	v_cmpx_ne_u32_e32 0x7f, v21
	s_cbranch_execz .LBB369_1625
; %bb.1622:                             ;   in Loop: Header=BB369_1059 Depth=1
	v_mov_b32_e32 v24, v11
	v_lshrrev_b32_e32 v5, 3, v21
	v_mov_b32_e32 v23, v10
	s_mov_b32 s20, exec_lo
	v_cmpx_gt_u32_e32 8, v21
; %bb.1623:                             ;   in Loop: Header=BB369_1059 Depth=1
	v_and_b32_e32 v5, 7, v20
	v_ffbh_u32_e32 v5, v5
	v_min_u32_e32 v5, 32, v5
	v_subrev_nc_u32_e32 v21, 28, v5
	v_sub_nc_u32_e32 v5, 29, v5
	v_lshlrev_b64 v[23:24], v21, v[10:11]
; %bb.1624:                             ;   in Loop: Header=BB369_1059 Depth=1
	s_or_b32 exec_lo, exec_lo, s20
	v_lshlrev_b32_e32 v21, 20, v23
	v_lshlrev_b32_e32 v22, 24, v10
	v_lshl_add_u32 v5, v5, 23, 0x3c000000
	v_and_b32_e32 v21, 0x700000, v21
	v_and_b32_e32 v22, 0x80000000, v22
	v_or3_b32 v22, v21, v22, v5
.LBB369_1625:                           ;   in Loop: Header=BB369_1059 Depth=1
	s_or_b32 exec_lo, exec_lo, s18
.LBB369_1626:                           ;   in Loop: Header=BB369_1059 Depth=1
	s_or_b32 exec_lo, exec_lo, s15
.LBB369_1627:                           ;   in Loop: Header=BB369_1059 Depth=1
	s_or_b32 exec_lo, exec_lo, s13
	v_cmp_ne_u16_sdwa s5, v10, v11 src0_sel:BYTE_1 src1_sel:DWORD
	s_and_saveexec_b32 s13, s5
	s_cbranch_execz .LBB369_1635
; %bb.1628:                             ;   in Loop: Header=BB369_1059 Depth=1
	v_cmp_ne_u16_sdwa s5, v10, v68 src0_sel:BYTE_1 src1_sel:DWORD
	v_bfrev_b32_e32 v25, 1
	s_and_saveexec_b32 s15, s5
	s_cbranch_execz .LBB369_1634
; %bb.1629:                             ;   in Loop: Header=BB369_1059 Depth=1
	v_mov_b32_e32 v5, 0xffff
	v_mov_b32_e32 v25, 0x7f800001
	s_mov_b32 s18, exec_lo
	v_and_b32_sdwa v5, v5, v10 dst_sel:DWORD dst_unused:UNUSED_PAD src0_sel:DWORD src1_sel:BYTE_1
	v_and_b32_e32 v21, 0x7f, v5
	v_cmpx_ne_u32_e32 0x7f, v21
	s_cbranch_execz .LBB369_1633
; %bb.1630:                             ;   in Loop: Header=BB369_1059 Depth=1
	v_and_b32_e32 v23, 7, v5
	v_mov_b32_e32 v24, v11
	v_lshrrev_b32_e32 v5, 3, v21
	s_mov_b32 s20, exec_lo
	v_cmpx_gt_u32_e32 8, v21
; %bb.1631:                             ;   in Loop: Header=BB369_1059 Depth=1
	v_ffbh_u32_e32 v5, v23
	v_min_u32_e32 v5, 32, v5
	v_subrev_nc_u32_e32 v21, 28, v5
	v_sub_nc_u32_e32 v5, 29, v5
	v_lshlrev_b64 v[23:24], v21, v[23:24]
	v_and_b32_e32 v23, 7, v23
; %bb.1632:                             ;   in Loop: Header=BB369_1059 Depth=1
	s_or_b32 exec_lo, exec_lo, s20
	v_lshlrev_b32_e32 v10, 16, v10
	v_lshlrev_b32_e32 v21, 20, v23
	v_lshl_add_u32 v5, v5, 23, 0x3c000000
	v_and_b32_e32 v10, 0x80000000, v10
	v_or3_b32 v25, v21, v10, v5
.LBB369_1633:                           ;   in Loop: Header=BB369_1059 Depth=1
	s_or_b32 exec_lo, exec_lo, s18
.LBB369_1634:                           ;   in Loop: Header=BB369_1059 Depth=1
	s_or_b32 exec_lo, exec_lo, s15
.LBB369_1635:                           ;   in Loop: Header=BB369_1059 Depth=1
	s_or_b32 exec_lo, exec_lo, s13
	v_and_b32_sdwa v10, v20, v70 dst_sel:DWORD dst_unused:UNUSED_PAD src0_sel:WORD_1 src1_sel:DWORD
	v_mov_b32_e32 v5, 0
	v_mov_b32_e32 v21, 0
	s_mov_b32 s13, exec_lo
	v_cmpx_ne_u16_e32 0, v10
	s_cbranch_execz .LBB369_1643
; %bb.1636:                             ;   in Loop: Header=BB369_1059 Depth=1
	v_bfrev_b32_e32 v21, 1
	s_mov_b32 s15, exec_lo
	v_cmpx_ne_u16_e32 0x80, v10
	s_cbranch_execz .LBB369_1642
; %bb.1637:                             ;   in Loop: Header=BB369_1059 Depth=1
	v_bfe_u32 v23, v20, 16, 7
	v_mov_b32_e32 v21, 0x7f800001
	s_mov_b32 s18, exec_lo
	v_cmpx_ne_u32_e32 0x7f, v23
	s_cbranch_execz .LBB369_1641
; %bb.1638:                             ;   in Loop: Header=BB369_1059 Depth=1
	v_mov_b32_e32 v10, 7
	v_lshrrev_b32_e32 v21, 3, v23
	v_cmp_gt_u32_e64 s5, 8, v23
	v_and_b32_sdwa v10, v20, v10 dst_sel:DWORD dst_unused:UNUSED_PAD src0_sel:WORD_1 src1_sel:DWORD
	v_mov_b32_e32 v24, v11
	v_mov_b32_e32 v23, v10
	s_and_saveexec_b32 s20, s5
; %bb.1639:                             ;   in Loop: Header=BB369_1059 Depth=1
	v_ffbh_u32_e32 v21, v10
	v_min_u32_e32 v21, 32, v21
	v_subrev_nc_u32_e32 v23, 28, v21
	v_sub_nc_u32_e32 v21, 29, v21
	v_lshlrev_b64 v[23:24], v23, v[10:11]
	v_and_b32_e32 v23, 7, v23
; %bb.1640:                             ;   in Loop: Header=BB369_1059 Depth=1
	s_or_b32 exec_lo, exec_lo, s20
	v_mov_b32_e32 v10, 24
	v_lshlrev_b32_e32 v23, 20, v23
	v_lshl_add_u32 v21, v21, 23, 0x3c000000
	v_lshlrev_b32_sdwa v10, v10, v20 dst_sel:DWORD dst_unused:UNUSED_PAD src0_sel:DWORD src1_sel:WORD_1
	v_and_b32_e32 v10, 0x80000000, v10
	v_or3_b32 v21, v23, v10, v21
.LBB369_1641:                           ;   in Loop: Header=BB369_1059 Depth=1
	s_or_b32 exec_lo, exec_lo, s18
.LBB369_1642:                           ;   in Loop: Header=BB369_1059 Depth=1
	s_or_b32 exec_lo, exec_lo, s15
.LBB369_1643:                           ;   in Loop: Header=BB369_1059 Depth=1
	s_or_b32 exec_lo, exec_lo, s13
	s_mov_b32 s13, exec_lo
	v_cmpx_lt_u64_e64 s[8:9], v[19:20]
	s_cbranch_execz .LBB369_1651
; %bb.1644:                             ;   in Loop: Header=BB369_1059 Depth=1
	v_cmp_ne_u32_sdwa s5, v20, v68 src0_sel:BYTE_3 src1_sel:DWORD
	v_bfrev_b32_e32 v5, 1
	s_and_saveexec_b32 s15, s5
	s_cbranch_execz .LBB369_1650
; %bb.1645:                             ;   in Loop: Header=BB369_1059 Depth=1
	v_bfe_u32 v19, v20, 24, 7
	v_mov_b32_e32 v5, 0x7f800001
	s_mov_b32 s18, exec_lo
	v_cmpx_ne_u32_e32 0x7f, v19
	s_cbranch_execz .LBB369_1649
; %bb.1646:                             ;   in Loop: Header=BB369_1059 Depth=1
	v_mov_b32_e32 v5, 7
	s_mov_b32 s20, exec_lo
	v_and_b32_sdwa v10, v20, v5 dst_sel:DWORD dst_unused:UNUSED_PAD src0_sel:BYTE_3 src1_sel:DWORD
	v_mov_b32_e32 v24, v11
	v_lshrrev_b32_e32 v5, 3, v19
	v_mov_b32_e32 v23, v10
	v_cmpx_gt_u32_e32 8, v19
; %bb.1647:                             ;   in Loop: Header=BB369_1059 Depth=1
	v_ffbh_u32_e32 v5, v10
	v_min_u32_e32 v5, 32, v5
	v_subrev_nc_u32_e32 v19, 28, v5
	v_sub_nc_u32_e32 v5, 29, v5
	v_lshlrev_b64 v[23:24], v19, v[10:11]
	v_and_b32_e32 v23, 7, v23
; %bb.1648:                             ;   in Loop: Header=BB369_1059 Depth=1
	s_or_b32 exec_lo, exec_lo, s20
	v_mov_b32_e32 v10, 24
	v_lshlrev_b32_e32 v19, 20, v23
	v_lshl_add_u32 v5, v5, 23, 0x3c000000
	v_lshlrev_b32_sdwa v10, v10, v20 dst_sel:DWORD dst_unused:UNUSED_PAD src0_sel:DWORD src1_sel:BYTE_3
	v_and_b32_e32 v10, 0x80000000, v10
	v_or3_b32 v5, v19, v10, v5
.LBB369_1649:                           ;   in Loop: Header=BB369_1059 Depth=1
	s_or_b32 exec_lo, exec_lo, s18
.LBB369_1650:                           ;   in Loop: Header=BB369_1059 Depth=1
	s_or_b32 exec_lo, exec_lo, s15
.LBB369_1651:                           ;   in Loop: Header=BB369_1059 Depth=1
	s_or_b32 exec_lo, exec_lo, s13
	v_mul_f32_e32 v10, v26, v25
	v_mul_f32_e32 v4, v26, v4
	v_bfe_u32 v19, v10, 16, 1
	v_or_b32_e32 v20, 0x400000, v10
	v_cmp_u_f32_e64 s5, v10, v10
	v_add3_u32 v19, v19, v10, 0x7fff
	v_cndmask_b32_e64 v10, v19, v20, s5
	v_lshrrev_b32_e32 v120, 16, v10
	v_mul_f32_e32 v10, v26, v22
	v_bfe_u32 v19, v10, 16, 1
	v_or_b32_e32 v20, 0x400000, v10
	v_cmp_u_f32_e64 s5, v10, v10
	v_add3_u32 v19, v19, v10, 0x7fff
	v_cndmask_b32_e64 v10, v19, v20, s5
	v_or_b32_e32 v19, 0x400000, v4
	v_cmp_u_f32_e64 s5, v4, v4
	v_lshrrev_b32_e32 v121, 16, v10
	v_bfe_u32 v10, v4, 16, 1
	v_add3_u32 v10, v10, v4, 0x7fff
	v_cndmask_b32_e64 v4, v10, v19, s5
	v_lshrrev_b32_e32 v122, 16, v4
	v_mul_f32_e32 v4, v26, v16
	v_bfe_u32 v10, v4, 16, 1
	v_or_b32_e32 v16, 0x400000, v4
	v_cmp_u_f32_e64 s5, v4, v4
	v_add3_u32 v10, v10, v4, 0x7fff
	v_cndmask_b32_e64 v4, v10, v16, s5
	v_lshrrev_b32_e32 v123, 16, v4
	v_mul_f32_e32 v4, v26, v13
	v_bfe_u32 v10, v4, 16, 1
	v_or_b32_e32 v13, 0x400000, v4
	v_cmp_u_f32_e64 s5, v4, v4
	v_add3_u32 v10, v10, v4, 0x7fff
	v_cndmask_b32_e64 v4, v10, v13, s5
	v_lshrrev_b32_e32 v125, 16, v4
	v_mul_f32_e32 v4, v26, v12
	v_bfe_u32 v10, v4, 16, 1
	v_or_b32_e32 v12, 0x400000, v4
	v_cmp_u_f32_e64 s5, v4, v4
	v_add3_u32 v10, v10, v4, 0x7fff
	v_cndmask_b32_e64 v4, v10, v12, s5
	v_lshrrev_b32_e32 v126, 16, v4
	v_mul_f32_e32 v4, v26, v21
	v_bfe_u32 v10, v4, 16, 1
	v_or_b32_e32 v12, 0x400000, v4
	v_cmp_u_f32_e64 s5, v4, v4
	v_add3_u32 v10, v10, v4, 0x7fff
	v_cndmask_b32_e64 v4, v10, v12, s5
	v_lshrrev_b32_e32 v124, 16, v4
	v_mul_f32_e32 v4, v26, v5
	v_bfe_u32 v5, v4, 16, 1
	v_or_b32_e32 v10, 0x400000, v4
	v_cmp_u_f32_e64 s5, v4, v4
	v_add3_u32 v5, v5, v4, 0x7fff
	v_cndmask_b32_e64 v4, v5, v10, s5
	v_lshrrev_b32_e32 v127, 16, v4
	s_and_saveexec_b32 s13, vcc_lo
	s_cbranch_execz .LBB369_1653
; %bb.1652:                             ;   in Loop: Header=BB369_1059 Depth=1
	buffer_load_dword v4, off, s[0:3], s32 offset:196 ; 4-byte Folded Reload
	s_waitcnt vmcnt(0)
	v_cmp_lt_i32_e64 s5, v57, v4
	v_cndmask_b32_e64 v126, 0, v126, s5
	v_cmp_lt_i32_e64 s5, v63, v4
	v_cndmask_b32_e64 v125, 0, v125, s5
	;; [unrolled: 2-line block ×8, first 2 shown]
.LBB369_1653:                           ;   in Loop: Header=BB369_1059 Depth=1
	s_or_b32 exec_lo, exec_lo, s13
	flat_load_dwordx2 v[19:20], v[17:18] offset:256
	v_mov_b32_e32 v25, 0
	v_mov_b32_e32 v16, 0
	s_waitcnt vmcnt(0) lgkmcnt(0)
	v_cmp_ne_u16_sdwa s5, v19, v11 src0_sel:BYTE_0 src1_sel:DWORD
	s_and_saveexec_b32 s13, s5
	s_cbranch_execz .LBB369_1661
; %bb.1654:                             ;   in Loop: Header=BB369_1059 Depth=1
	v_cmp_ne_u16_sdwa s5, v19, v68 src0_sel:BYTE_0 src1_sel:DWORD
	v_bfrev_b32_e32 v16, 1
	s_and_saveexec_b32 s15, s5
	s_cbranch_execz .LBB369_1660
; %bb.1655:                             ;   in Loop: Header=BB369_1059 Depth=1
	v_and_b32_e32 v5, 0x7f, v19
	v_mov_b32_e32 v16, 0x7f800001
	s_mov_b32 s18, exec_lo
	v_cmpx_ne_u32_e32 0x7f, v5
	s_cbranch_execz .LBB369_1659
; %bb.1656:                             ;   in Loop: Header=BB369_1059 Depth=1
	v_mov_b32_e32 v24, v20
	v_lshrrev_b32_e32 v4, 3, v5
	v_mov_b32_e32 v23, v19
	s_mov_b32 s20, exec_lo
	v_cmpx_gt_u32_e32 8, v5
; %bb.1657:                             ;   in Loop: Header=BB369_1059 Depth=1
	v_and_b32_e32 v4, 7, v19
	v_ffbh_u32_e32 v4, v4
	v_min_u32_e32 v4, 32, v4
	v_subrev_nc_u32_e32 v5, 28, v4
	v_sub_nc_u32_e32 v4, 29, v4
	v_lshlrev_b64 v[23:24], v5, v[19:20]
; %bb.1658:                             ;   in Loop: Header=BB369_1059 Depth=1
	s_or_b32 exec_lo, exec_lo, s20
	v_lshlrev_b32_e32 v5, 20, v23
	v_lshlrev_b32_e32 v10, 24, v19
	v_lshl_add_u32 v4, v4, 23, 0x3c000000
	v_and_b32_e32 v5, 0x700000, v5
	v_and_b32_e32 v10, 0x80000000, v10
	v_or3_b32 v16, v5, v10, v4
.LBB369_1659:                           ;   in Loop: Header=BB369_1059 Depth=1
	s_or_b32 exec_lo, exec_lo, s18
.LBB369_1660:                           ;   in Loop: Header=BB369_1059 Depth=1
	s_or_b32 exec_lo, exec_lo, s15
.LBB369_1661:                           ;   in Loop: Header=BB369_1059 Depth=1
	s_or_b32 exec_lo, exec_lo, s13
	v_cmp_ne_u16_sdwa s5, v19, v11 src0_sel:BYTE_1 src1_sel:DWORD
	s_and_saveexec_b32 s13, s5
	s_cbranch_execz .LBB369_1669
; %bb.1662:                             ;   in Loop: Header=BB369_1059 Depth=1
	v_cmp_ne_u16_sdwa s5, v19, v68 src0_sel:BYTE_1 src1_sel:DWORD
	v_bfrev_b32_e32 v25, 1
	s_and_saveexec_b32 s15, s5
	s_cbranch_execz .LBB369_1668
; %bb.1663:                             ;   in Loop: Header=BB369_1059 Depth=1
	v_mov_b32_e32 v4, 0xffff
	v_mov_b32_e32 v25, 0x7f800001
	s_mov_b32 s18, exec_lo
	v_and_b32_sdwa v4, v4, v19 dst_sel:DWORD dst_unused:UNUSED_PAD src0_sel:DWORD src1_sel:BYTE_1
	v_and_b32_e32 v5, 0x7f, v4
	v_cmpx_ne_u32_e32 0x7f, v5
	s_cbranch_execz .LBB369_1667
; %bb.1664:                             ;   in Loop: Header=BB369_1059 Depth=1
	v_and_b32_e32 v10, 7, v4
	v_mov_b32_e32 v24, v11
	v_lshrrev_b32_e32 v4, 3, v5
	s_mov_b32 s20, exec_lo
	v_mov_b32_e32 v23, v10
	v_cmpx_gt_u32_e32 8, v5
; %bb.1665:                             ;   in Loop: Header=BB369_1059 Depth=1
	v_ffbh_u32_e32 v4, v10
	v_min_u32_e32 v4, 32, v4
	v_subrev_nc_u32_e32 v5, 28, v4
	v_sub_nc_u32_e32 v4, 29, v4
	v_lshlrev_b64 v[12:13], v5, v[10:11]
	v_and_b32_e32 v23, 7, v12
; %bb.1666:                             ;   in Loop: Header=BB369_1059 Depth=1
	s_or_b32 exec_lo, exec_lo, s20
	v_lshlrev_b32_e32 v5, 16, v19
	v_lshlrev_b32_e32 v10, 20, v23
	v_lshl_add_u32 v4, v4, 23, 0x3c000000
	v_and_b32_e32 v5, 0x80000000, v5
	v_or3_b32 v25, v10, v5, v4
.LBB369_1667:                           ;   in Loop: Header=BB369_1059 Depth=1
	s_or_b32 exec_lo, exec_lo, s18
.LBB369_1668:                           ;   in Loop: Header=BB369_1059 Depth=1
	s_or_b32 exec_lo, exec_lo, s15
.LBB369_1669:                           ;   in Loop: Header=BB369_1059 Depth=1
	s_or_b32 exec_lo, exec_lo, s13
	v_and_b32_sdwa v5, v19, v70 dst_sel:DWORD dst_unused:UNUSED_PAD src0_sel:WORD_1 src1_sel:DWORD
	v_mov_b32_e32 v4, 0
	v_mov_b32_e32 v13, 0
	s_mov_b32 s13, exec_lo
	v_cmpx_ne_u16_e32 0, v5
	s_cbranch_execz .LBB369_1677
; %bb.1670:                             ;   in Loop: Header=BB369_1059 Depth=1
	v_bfrev_b32_e32 v13, 1
	s_mov_b32 s15, exec_lo
	v_cmpx_ne_u16_e32 0x80, v5
	s_cbranch_execz .LBB369_1676
; %bb.1671:                             ;   in Loop: Header=BB369_1059 Depth=1
	v_bfe_u32 v12, v19, 16, 7
	v_mov_b32_e32 v13, 0x7f800001
	s_mov_b32 s18, exec_lo
	v_cmpx_ne_u32_e32 0x7f, v12
	s_cbranch_execz .LBB369_1675
; %bb.1672:                             ;   in Loop: Header=BB369_1059 Depth=1
	v_mov_b32_e32 v5, 7
	s_mov_b32 s20, exec_lo
	v_and_b32_sdwa v10, v19, v5 dst_sel:DWORD dst_unused:UNUSED_PAD src0_sel:WORD_1 src1_sel:DWORD
	v_mov_b32_e32 v24, v11
	v_lshrrev_b32_e32 v5, 3, v12
	v_mov_b32_e32 v23, v10
	v_cmpx_gt_u32_e32 8, v12
; %bb.1673:                             ;   in Loop: Header=BB369_1059 Depth=1
	v_ffbh_u32_e32 v5, v10
	v_min_u32_e32 v5, 32, v5
	v_subrev_nc_u32_e32 v12, 28, v5
	v_sub_nc_u32_e32 v5, 29, v5
	v_lshlrev_b64 v[12:13], v12, v[10:11]
	v_and_b32_e32 v23, 7, v12
; %bb.1674:                             ;   in Loop: Header=BB369_1059 Depth=1
	s_or_b32 exec_lo, exec_lo, s20
	v_mov_b32_e32 v10, 24
	v_lshlrev_b32_e32 v12, 20, v23
	v_lshl_add_u32 v5, v5, 23, 0x3c000000
	v_lshlrev_b32_sdwa v10, v10, v19 dst_sel:DWORD dst_unused:UNUSED_PAD src0_sel:DWORD src1_sel:WORD_1
	v_and_b32_e32 v10, 0x80000000, v10
	v_or3_b32 v13, v12, v10, v5
.LBB369_1675:                           ;   in Loop: Header=BB369_1059 Depth=1
	s_or_b32 exec_lo, exec_lo, s18
.LBB369_1676:                           ;   in Loop: Header=BB369_1059 Depth=1
	s_or_b32 exec_lo, exec_lo, s15
.LBB369_1677:                           ;   in Loop: Header=BB369_1059 Depth=1
	s_or_b32 exec_lo, exec_lo, s13
	s_mov_b32 s13, exec_lo
	v_cmpx_lt_u32_e32 0xffffff, v19
	s_cbranch_execz .LBB369_1685
; %bb.1678:                             ;   in Loop: Header=BB369_1059 Depth=1
	v_cmp_ne_u32_sdwa s5, v19, v68 src0_sel:BYTE_3 src1_sel:DWORD
	v_bfrev_b32_e32 v4, 1
	s_and_saveexec_b32 s15, s5
	s_cbranch_execz .LBB369_1684
; %bb.1679:                             ;   in Loop: Header=BB369_1059 Depth=1
	v_bfe_u32 v5, v19, 24, 7
	v_mov_b32_e32 v4, 0x7f800001
	s_mov_b32 s18, exec_lo
	v_cmpx_ne_u32_e32 0x7f, v5
	s_cbranch_execz .LBB369_1683
; %bb.1680:                             ;   in Loop: Header=BB369_1059 Depth=1
	v_mov_b32_e32 v4, 7
	s_mov_b32 s20, exec_lo
	v_and_b32_sdwa v10, v19, v4 dst_sel:DWORD dst_unused:UNUSED_PAD src0_sel:BYTE_3 src1_sel:DWORD
	v_mov_b32_e32 v24, v11
	v_lshrrev_b32_e32 v4, 3, v5
	v_mov_b32_e32 v23, v10
	v_cmpx_gt_u32_e32 8, v5
; %bb.1681:                             ;   in Loop: Header=BB369_1059 Depth=1
	v_ffbh_u32_e32 v4, v10
	v_min_u32_e32 v4, 32, v4
	v_subrev_nc_u32_e32 v5, 28, v4
	v_sub_nc_u32_e32 v4, 29, v4
	v_lshlrev_b64 v[21:22], v5, v[10:11]
	v_and_b32_e32 v23, 7, v21
; %bb.1682:                             ;   in Loop: Header=BB369_1059 Depth=1
	s_or_b32 exec_lo, exec_lo, s20
	v_mov_b32_e32 v5, 24
	v_lshlrev_b32_e32 v10, 20, v23
	v_lshl_add_u32 v4, v4, 23, 0x3c000000
	v_lshlrev_b32_sdwa v5, v5, v19 dst_sel:DWORD dst_unused:UNUSED_PAD src0_sel:DWORD src1_sel:BYTE_3
	v_and_b32_e32 v5, 0x80000000, v5
	v_or3_b32 v4, v10, v5, v4
.LBB369_1683:                           ;   in Loop: Header=BB369_1059 Depth=1
	s_or_b32 exec_lo, exec_lo, s18
.LBB369_1684:                           ;   in Loop: Header=BB369_1059 Depth=1
	s_or_b32 exec_lo, exec_lo, s15
.LBB369_1685:                           ;   in Loop: Header=BB369_1059 Depth=1
	s_or_b32 exec_lo, exec_lo, s13
	v_mov_b32_e32 v10, v20
	v_cmp_ne_u16_sdwa s5, v20, v11 src0_sel:BYTE_0 src1_sel:DWORD
	v_mov_b32_e32 v21, 0
	v_mov_b32_e32 v12, 0
	s_and_saveexec_b32 s13, s5
	s_cbranch_execz .LBB369_1693
; %bb.1686:                             ;   in Loop: Header=BB369_1059 Depth=1
	v_cmp_ne_u16_sdwa s5, v20, v68 src0_sel:BYTE_0 src1_sel:DWORD
	v_bfrev_b32_e32 v12, 1
	s_and_saveexec_b32 s15, s5
	s_cbranch_execz .LBB369_1692
; %bb.1687:                             ;   in Loop: Header=BB369_1059 Depth=1
	v_and_b32_e32 v22, 0x7f, v20
	v_mov_b32_e32 v12, 0x7f800001
	s_mov_b32 s18, exec_lo
	v_cmpx_ne_u32_e32 0x7f, v22
	s_cbranch_execz .LBB369_1691
; %bb.1688:                             ;   in Loop: Header=BB369_1059 Depth=1
	v_mov_b32_e32 v24, v11
	v_lshrrev_b32_e32 v5, 3, v22
	v_mov_b32_e32 v23, v10
	s_mov_b32 s20, exec_lo
	v_cmpx_gt_u32_e32 8, v22
; %bb.1689:                             ;   in Loop: Header=BB369_1059 Depth=1
	v_and_b32_e32 v5, 7, v20
	v_ffbh_u32_e32 v5, v5
	v_min_u32_e32 v5, 32, v5
	v_subrev_nc_u32_e32 v12, 28, v5
	v_sub_nc_u32_e32 v5, 29, v5
	v_lshlrev_b64 v[23:24], v12, v[10:11]
; %bb.1690:                             ;   in Loop: Header=BB369_1059 Depth=1
	s_or_b32 exec_lo, exec_lo, s20
	v_lshlrev_b32_e32 v12, 20, v23
	v_lshlrev_b32_e32 v22, 24, v10
	v_lshl_add_u32 v5, v5, 23, 0x3c000000
	v_and_b32_e32 v12, 0x700000, v12
	v_and_b32_e32 v22, 0x80000000, v22
	v_or3_b32 v12, v12, v22, v5
.LBB369_1691:                           ;   in Loop: Header=BB369_1059 Depth=1
	s_or_b32 exec_lo, exec_lo, s18
.LBB369_1692:                           ;   in Loop: Header=BB369_1059 Depth=1
	s_or_b32 exec_lo, exec_lo, s15
.LBB369_1693:                           ;   in Loop: Header=BB369_1059 Depth=1
	s_or_b32 exec_lo, exec_lo, s13
	v_cmp_ne_u16_sdwa s5, v10, v11 src0_sel:BYTE_1 src1_sel:DWORD
	s_and_saveexec_b32 s13, s5
	s_cbranch_execz .LBB369_1701
; %bb.1694:                             ;   in Loop: Header=BB369_1059 Depth=1
	v_cmp_ne_u16_sdwa s5, v10, v68 src0_sel:BYTE_1 src1_sel:DWORD
	v_bfrev_b32_e32 v21, 1
	s_and_saveexec_b32 s15, s5
	s_cbranch_execz .LBB369_1700
; %bb.1695:                             ;   in Loop: Header=BB369_1059 Depth=1
	v_mov_b32_e32 v5, 0xffff
	v_mov_b32_e32 v21, 0x7f800001
	s_mov_b32 s18, exec_lo
	v_and_b32_sdwa v5, v5, v10 dst_sel:DWORD dst_unused:UNUSED_PAD src0_sel:DWORD src1_sel:BYTE_1
	v_and_b32_e32 v22, 0x7f, v5
	v_cmpx_ne_u32_e32 0x7f, v22
	s_cbranch_execz .LBB369_1699
; %bb.1696:                             ;   in Loop: Header=BB369_1059 Depth=1
	v_and_b32_e32 v23, 7, v5
	v_mov_b32_e32 v24, v11
	v_lshrrev_b32_e32 v5, 3, v22
	s_mov_b32 s20, exec_lo
	v_cmpx_gt_u32_e32 8, v22
; %bb.1697:                             ;   in Loop: Header=BB369_1059 Depth=1
	v_ffbh_u32_e32 v5, v23
	v_min_u32_e32 v5, 32, v5
	v_subrev_nc_u32_e32 v21, 28, v5
	v_sub_nc_u32_e32 v5, 29, v5
	v_lshlrev_b64 v[21:22], v21, v[23:24]
	v_and_b32_e32 v23, 7, v21
; %bb.1698:                             ;   in Loop: Header=BB369_1059 Depth=1
	s_or_b32 exec_lo, exec_lo, s20
	v_lshlrev_b32_e32 v10, 16, v10
	v_lshlrev_b32_e32 v21, 20, v23
	v_lshl_add_u32 v5, v5, 23, 0x3c000000
	v_and_b32_e32 v10, 0x80000000, v10
	v_or3_b32 v21, v21, v10, v5
.LBB369_1699:                           ;   in Loop: Header=BB369_1059 Depth=1
	s_or_b32 exec_lo, exec_lo, s18
.LBB369_1700:                           ;   in Loop: Header=BB369_1059 Depth=1
	s_or_b32 exec_lo, exec_lo, s15
.LBB369_1701:                           ;   in Loop: Header=BB369_1059 Depth=1
	s_or_b32 exec_lo, exec_lo, s13
	v_and_b32_sdwa v10, v20, v70 dst_sel:DWORD dst_unused:UNUSED_PAD src0_sel:WORD_1 src1_sel:DWORD
	v_mov_b32_e32 v5, 0
	v_mov_b32_e32 v22, 0
	s_mov_b32 s13, exec_lo
	v_cmpx_ne_u16_e32 0, v10
	s_cbranch_execz .LBB369_1709
; %bb.1702:                             ;   in Loop: Header=BB369_1059 Depth=1
	v_bfrev_b32_e32 v22, 1
	s_mov_b32 s15, exec_lo
	v_cmpx_ne_u16_e32 0x80, v10
	s_cbranch_execz .LBB369_1708
; %bb.1703:                             ;   in Loop: Header=BB369_1059 Depth=1
	v_bfe_u32 v23, v20, 16, 7
	v_mov_b32_e32 v22, 0x7f800001
	s_mov_b32 s18, exec_lo
	v_cmpx_ne_u32_e32 0x7f, v23
	s_cbranch_execz .LBB369_1707
; %bb.1704:                             ;   in Loop: Header=BB369_1059 Depth=1
	v_mov_b32_e32 v10, 7
	v_lshrrev_b32_e32 v22, 3, v23
	v_cmp_gt_u32_e64 s5, 8, v23
	v_and_b32_sdwa v10, v20, v10 dst_sel:DWORD dst_unused:UNUSED_PAD src0_sel:WORD_1 src1_sel:DWORD
	v_mov_b32_e32 v24, v11
	v_mov_b32_e32 v23, v10
	s_and_saveexec_b32 s20, s5
; %bb.1705:                             ;   in Loop: Header=BB369_1059 Depth=1
	v_ffbh_u32_e32 v22, v10
	v_min_u32_e32 v22, 32, v22
	v_subrev_nc_u32_e32 v23, 28, v22
	v_sub_nc_u32_e32 v22, 29, v22
	v_lshlrev_b64 v[23:24], v23, v[10:11]
	v_and_b32_e32 v23, 7, v23
; %bb.1706:                             ;   in Loop: Header=BB369_1059 Depth=1
	s_or_b32 exec_lo, exec_lo, s20
	v_mov_b32_e32 v10, 24
	v_lshlrev_b32_e32 v23, 20, v23
	v_lshl_add_u32 v22, v22, 23, 0x3c000000
	v_lshlrev_b32_sdwa v10, v10, v20 dst_sel:DWORD dst_unused:UNUSED_PAD src0_sel:DWORD src1_sel:WORD_1
	v_and_b32_e32 v10, 0x80000000, v10
	v_or3_b32 v22, v23, v10, v22
.LBB369_1707:                           ;   in Loop: Header=BB369_1059 Depth=1
	s_or_b32 exec_lo, exec_lo, s18
.LBB369_1708:                           ;   in Loop: Header=BB369_1059 Depth=1
	s_or_b32 exec_lo, exec_lo, s15
.LBB369_1709:                           ;   in Loop: Header=BB369_1059 Depth=1
	s_or_b32 exec_lo, exec_lo, s13
	s_mov_b32 s13, exec_lo
	v_cmpx_lt_u64_e64 s[8:9], v[19:20]
	s_cbranch_execz .LBB369_1717
; %bb.1710:                             ;   in Loop: Header=BB369_1059 Depth=1
	v_cmp_ne_u32_sdwa s5, v20, v68 src0_sel:BYTE_3 src1_sel:DWORD
	v_bfrev_b32_e32 v5, 1
	s_and_saveexec_b32 s15, s5
	s_cbranch_execz .LBB369_1716
; %bb.1711:                             ;   in Loop: Header=BB369_1059 Depth=1
	v_bfe_u32 v19, v20, 24, 7
	v_mov_b32_e32 v5, 0x7f800001
	s_mov_b32 s18, exec_lo
	v_cmpx_ne_u32_e32 0x7f, v19
	s_cbranch_execz .LBB369_1715
; %bb.1712:                             ;   in Loop: Header=BB369_1059 Depth=1
	v_mov_b32_e32 v5, 7
	s_mov_b32 s20, exec_lo
	v_and_b32_sdwa v10, v20, v5 dst_sel:DWORD dst_unused:UNUSED_PAD src0_sel:BYTE_3 src1_sel:DWORD
	v_mov_b32_e32 v24, v11
	v_lshrrev_b32_e32 v5, 3, v19
	v_mov_b32_e32 v23, v10
	v_cmpx_gt_u32_e32 8, v19
; %bb.1713:                             ;   in Loop: Header=BB369_1059 Depth=1
	v_ffbh_u32_e32 v5, v10
	v_min_u32_e32 v5, 32, v5
	v_subrev_nc_u32_e32 v19, 28, v5
	v_sub_nc_u32_e32 v5, 29, v5
	v_lshlrev_b64 v[23:24], v19, v[10:11]
	v_and_b32_e32 v23, 7, v23
; %bb.1714:                             ;   in Loop: Header=BB369_1059 Depth=1
	s_or_b32 exec_lo, exec_lo, s20
	v_mov_b32_e32 v10, 24
	v_lshlrev_b32_e32 v19, 20, v23
	v_lshl_add_u32 v5, v5, 23, 0x3c000000
	v_lshlrev_b32_sdwa v10, v10, v20 dst_sel:DWORD dst_unused:UNUSED_PAD src0_sel:DWORD src1_sel:BYTE_3
	v_and_b32_e32 v10, 0x80000000, v10
	v_or3_b32 v5, v19, v10, v5
.LBB369_1715:                           ;   in Loop: Header=BB369_1059 Depth=1
	s_or_b32 exec_lo, exec_lo, s18
.LBB369_1716:                           ;   in Loop: Header=BB369_1059 Depth=1
	s_or_b32 exec_lo, exec_lo, s15
.LBB369_1717:                           ;   in Loop: Header=BB369_1059 Depth=1
	s_or_b32 exec_lo, exec_lo, s13
	v_mul_f32_e32 v10, v26, v21
	v_mul_f32_e32 v4, v26, v4
	v_bfe_u32 v19, v10, 16, 1
	v_or_b32_e32 v20, 0x400000, v10
	v_cmp_u_f32_e64 s5, v10, v10
	v_add3_u32 v19, v19, v10, 0x7fff
	v_cndmask_b32_e64 v10, v19, v20, s5
	v_lshrrev_b32_e32 v21, 16, v10
	v_mul_f32_e32 v10, v26, v12
	v_bfe_u32 v12, v10, 16, 1
	v_or_b32_e32 v19, 0x400000, v10
	v_cmp_u_f32_e64 s5, v10, v10
	v_add3_u32 v12, v12, v10, 0x7fff
	v_cndmask_b32_e64 v10, v12, v19, s5
	v_or_b32_e32 v12, 0x400000, v4
	v_cmp_u_f32_e64 s5, v4, v4
	v_lshrrev_b32_e32 v27, 16, v10
	v_bfe_u32 v10, v4, 16, 1
	v_add3_u32 v10, v10, v4, 0x7fff
	v_cndmask_b32_e64 v4, v10, v12, s5
	v_lshrrev_b32_e32 v12, 16, v4
	v_mul_f32_e32 v4, v26, v13
	v_bfe_u32 v10, v4, 16, 1
	v_or_b32_e32 v13, 0x400000, v4
	v_cmp_u_f32_e64 s5, v4, v4
	v_add3_u32 v10, v10, v4, 0x7fff
	v_cndmask_b32_e64 v4, v10, v13, s5
	v_lshrrev_b32_e32 v13, 16, v4
	v_mul_f32_e32 v4, v26, v25
	v_bfe_u32 v10, v4, 16, 1
	v_or_b32_e32 v19, 0x400000, v4
	v_cmp_u_f32_e64 s5, v4, v4
	;; [unrolled: 7-line block ×5, first 2 shown]
	v_add3_u32 v5, v5, v4, 0x7fff
	v_cndmask_b32_e64 v4, v5, v10, s5
	v_lshrrev_b32_e32 v83, 16, v4
	s_and_saveexec_b32 s13, vcc_lo
	s_cbranch_execz .LBB369_1719
; %bb.1718:                             ;   in Loop: Header=BB369_1059 Depth=1
	buffer_load_dword v4, off, s[0:3], s32 offset:196 ; 4-byte Folded Reload
	s_waitcnt vmcnt(0)
	v_cmp_lt_i32_e64 s5, v57, v4
	v_cndmask_b32_e64 v82, 0, v82, s5
	v_cmp_lt_i32_e64 s5, v63, v4
	v_cndmask_b32_e64 v81, 0, v81, s5
	;; [unrolled: 2-line block ×8, first 2 shown]
.LBB369_1719:                           ;   in Loop: Header=BB369_1059 Depth=1
	s_or_b32 exec_lo, exec_lo, s13
	flat_load_dwordx2 v[19:20], v[17:18] offset:512
	v_mov_b32_e32 v69, 0
	v_mov_b32_e32 v16, 0
	s_waitcnt vmcnt(0) lgkmcnt(0)
	v_cmp_ne_u16_sdwa s5, v19, v11 src0_sel:BYTE_0 src1_sel:DWORD
	s_and_saveexec_b32 s13, s5
	s_cbranch_execz .LBB369_1727
; %bb.1720:                             ;   in Loop: Header=BB369_1059 Depth=1
	v_cmp_ne_u16_sdwa s5, v19, v68 src0_sel:BYTE_0 src1_sel:DWORD
	v_bfrev_b32_e32 v16, 1
	s_and_saveexec_b32 s15, s5
	s_cbranch_execz .LBB369_1726
; %bb.1721:                             ;   in Loop: Header=BB369_1059 Depth=1
	v_and_b32_e32 v5, 0x7f, v19
	v_mov_b32_e32 v16, 0x7f800001
	s_mov_b32 s18, exec_lo
	v_cmpx_ne_u32_e32 0x7f, v5
	s_cbranch_execz .LBB369_1725
; %bb.1722:                             ;   in Loop: Header=BB369_1059 Depth=1
	v_mov_b32_e32 v24, v20
	v_lshrrev_b32_e32 v4, 3, v5
	v_mov_b32_e32 v23, v19
	s_mov_b32 s20, exec_lo
	v_cmpx_gt_u32_e32 8, v5
; %bb.1723:                             ;   in Loop: Header=BB369_1059 Depth=1
	v_and_b32_e32 v4, 7, v19
	v_ffbh_u32_e32 v4, v4
	v_min_u32_e32 v4, 32, v4
	v_subrev_nc_u32_e32 v5, 28, v4
	v_sub_nc_u32_e32 v4, 29, v4
	v_lshlrev_b64 v[23:24], v5, v[19:20]
; %bb.1724:                             ;   in Loop: Header=BB369_1059 Depth=1
	s_or_b32 exec_lo, exec_lo, s20
	v_lshlrev_b32_e32 v5, 20, v23
	v_lshlrev_b32_e32 v10, 24, v19
	v_lshl_add_u32 v4, v4, 23, 0x3c000000
	v_and_b32_e32 v5, 0x700000, v5
	v_and_b32_e32 v10, 0x80000000, v10
	v_or3_b32 v16, v5, v10, v4
.LBB369_1725:                           ;   in Loop: Header=BB369_1059 Depth=1
	s_or_b32 exec_lo, exec_lo, s18
.LBB369_1726:                           ;   in Loop: Header=BB369_1059 Depth=1
	s_or_b32 exec_lo, exec_lo, s15
.LBB369_1727:                           ;   in Loop: Header=BB369_1059 Depth=1
	s_or_b32 exec_lo, exec_lo, s13
	v_cmp_ne_u16_sdwa s5, v19, v11 src0_sel:BYTE_1 src1_sel:DWORD
	s_and_saveexec_b32 s13, s5
	s_cbranch_execz .LBB369_1735
; %bb.1728:                             ;   in Loop: Header=BB369_1059 Depth=1
	v_cmp_ne_u16_sdwa s5, v19, v68 src0_sel:BYTE_1 src1_sel:DWORD
	v_bfrev_b32_e32 v69, 1
	s_and_saveexec_b32 s15, s5
	s_cbranch_execz .LBB369_1734
; %bb.1729:                             ;   in Loop: Header=BB369_1059 Depth=1
	v_mov_b32_e32 v4, 0xffff
	v_mov_b32_e32 v69, 0x7f800001
	s_mov_b32 s18, exec_lo
	v_and_b32_sdwa v4, v4, v19 dst_sel:DWORD dst_unused:UNUSED_PAD src0_sel:DWORD src1_sel:BYTE_1
	v_and_b32_e32 v5, 0x7f, v4
	v_cmpx_ne_u32_e32 0x7f, v5
	s_cbranch_execz .LBB369_1733
; %bb.1730:                             ;   in Loop: Header=BB369_1059 Depth=1
	v_and_b32_e32 v10, 7, v4
	v_mov_b32_e32 v24, v11
	v_lshrrev_b32_e32 v4, 3, v5
	s_mov_b32 s20, exec_lo
	v_mov_b32_e32 v23, v10
	v_cmpx_gt_u32_e32 8, v5
; %bb.1731:                             ;   in Loop: Header=BB369_1059 Depth=1
	v_ffbh_u32_e32 v4, v10
	v_min_u32_e32 v4, 32, v4
	v_subrev_nc_u32_e32 v5, 28, v4
	v_sub_nc_u32_e32 v4, 29, v4
	v_lshlrev_b64 v[22:23], v5, v[10:11]
	v_and_b32_e32 v23, 7, v22
; %bb.1732:                             ;   in Loop: Header=BB369_1059 Depth=1
	s_or_b32 exec_lo, exec_lo, s20
	v_lshlrev_b32_e32 v5, 16, v19
	v_lshlrev_b32_e32 v10, 20, v23
	v_lshl_add_u32 v4, v4, 23, 0x3c000000
	v_and_b32_e32 v5, 0x80000000, v5
	v_or3_b32 v69, v10, v5, v4
.LBB369_1733:                           ;   in Loop: Header=BB369_1059 Depth=1
	s_or_b32 exec_lo, exec_lo, s18
.LBB369_1734:                           ;   in Loop: Header=BB369_1059 Depth=1
	s_or_b32 exec_lo, exec_lo, s15
.LBB369_1735:                           ;   in Loop: Header=BB369_1059 Depth=1
	s_or_b32 exec_lo, exec_lo, s13
	v_and_b32_sdwa v5, v19, v70 dst_sel:DWORD dst_unused:UNUSED_PAD src0_sel:WORD_1 src1_sel:DWORD
	v_mov_b32_e32 v4, 0
	v_mov_b32_e32 v71, 0
	s_mov_b32 s13, exec_lo
	v_cmpx_ne_u16_e32 0, v5
	s_cbranch_execz .LBB369_1743
; %bb.1736:                             ;   in Loop: Header=BB369_1059 Depth=1
	v_bfrev_b32_e32 v71, 1
	s_mov_b32 s15, exec_lo
	v_cmpx_ne_u16_e32 0x80, v5
	s_cbranch_execz .LBB369_1742
; %bb.1737:                             ;   in Loop: Header=BB369_1059 Depth=1
	v_bfe_u32 v22, v19, 16, 7
	v_mov_b32_e32 v71, 0x7f800001
	s_mov_b32 s18, exec_lo
	v_cmpx_ne_u32_e32 0x7f, v22
	s_cbranch_execz .LBB369_1741
; %bb.1738:                             ;   in Loop: Header=BB369_1059 Depth=1
	v_mov_b32_e32 v5, 7
	s_mov_b32 s20, exec_lo
	v_and_b32_sdwa v10, v19, v5 dst_sel:DWORD dst_unused:UNUSED_PAD src0_sel:WORD_1 src1_sel:DWORD
	v_mov_b32_e32 v24, v11
	v_lshrrev_b32_e32 v5, 3, v22
	v_mov_b32_e32 v23, v10
	v_cmpx_gt_u32_e32 8, v22
; %bb.1739:                             ;   in Loop: Header=BB369_1059 Depth=1
	v_ffbh_u32_e32 v5, v10
	v_min_u32_e32 v5, 32, v5
	v_subrev_nc_u32_e32 v22, 28, v5
	v_sub_nc_u32_e32 v5, 29, v5
	v_lshlrev_b64 v[22:23], v22, v[10:11]
	v_and_b32_e32 v23, 7, v22
; %bb.1740:                             ;   in Loop: Header=BB369_1059 Depth=1
	s_or_b32 exec_lo, exec_lo, s20
	v_mov_b32_e32 v10, 24
	v_lshlrev_b32_e32 v22, 20, v23
	v_lshl_add_u32 v5, v5, 23, 0x3c000000
	v_lshlrev_b32_sdwa v10, v10, v19 dst_sel:DWORD dst_unused:UNUSED_PAD src0_sel:DWORD src1_sel:WORD_1
	v_and_b32_e32 v10, 0x80000000, v10
	v_or3_b32 v71, v22, v10, v5
.LBB369_1741:                           ;   in Loop: Header=BB369_1059 Depth=1
	s_or_b32 exec_lo, exec_lo, s18
.LBB369_1742:                           ;   in Loop: Header=BB369_1059 Depth=1
	s_or_b32 exec_lo, exec_lo, s15
.LBB369_1743:                           ;   in Loop: Header=BB369_1059 Depth=1
	s_or_b32 exec_lo, exec_lo, s13
	s_mov_b32 s13, exec_lo
	v_cmpx_lt_u32_e32 0xffffff, v19
	s_cbranch_execz .LBB369_1751
; %bb.1744:                             ;   in Loop: Header=BB369_1059 Depth=1
	v_cmp_ne_u32_sdwa s5, v19, v68 src0_sel:BYTE_3 src1_sel:DWORD
	v_bfrev_b32_e32 v4, 1
	s_and_saveexec_b32 s15, s5
	s_cbranch_execz .LBB369_1750
; %bb.1745:                             ;   in Loop: Header=BB369_1059 Depth=1
	v_bfe_u32 v5, v19, 24, 7
	v_mov_b32_e32 v4, 0x7f800001
	s_mov_b32 s18, exec_lo
	v_cmpx_ne_u32_e32 0x7f, v5
	s_cbranch_execz .LBB369_1749
; %bb.1746:                             ;   in Loop: Header=BB369_1059 Depth=1
	v_mov_b32_e32 v4, 7
	s_mov_b32 s20, exec_lo
	v_and_b32_sdwa v10, v19, v4 dst_sel:DWORD dst_unused:UNUSED_PAD src0_sel:BYTE_3 src1_sel:DWORD
	v_mov_b32_e32 v24, v11
	v_lshrrev_b32_e32 v4, 3, v5
	v_mov_b32_e32 v23, v10
	v_cmpx_gt_u32_e32 8, v5
; %bb.1747:                             ;   in Loop: Header=BB369_1059 Depth=1
	v_ffbh_u32_e32 v4, v10
	v_min_u32_e32 v4, 32, v4
	v_subrev_nc_u32_e32 v5, 28, v4
	v_sub_nc_u32_e32 v4, 29, v4
	v_lshlrev_b64 v[22:23], v5, v[10:11]
	v_and_b32_e32 v23, 7, v22
; %bb.1748:                             ;   in Loop: Header=BB369_1059 Depth=1
	s_or_b32 exec_lo, exec_lo, s20
	v_mov_b32_e32 v5, 24
	v_lshlrev_b32_e32 v10, 20, v23
	v_lshl_add_u32 v4, v4, 23, 0x3c000000
	v_lshlrev_b32_sdwa v5, v5, v19 dst_sel:DWORD dst_unused:UNUSED_PAD src0_sel:DWORD src1_sel:BYTE_3
	v_and_b32_e32 v5, 0x80000000, v5
	v_or3_b32 v4, v10, v5, v4
.LBB369_1749:                           ;   in Loop: Header=BB369_1059 Depth=1
	s_or_b32 exec_lo, exec_lo, s18
.LBB369_1750:                           ;   in Loop: Header=BB369_1059 Depth=1
	s_or_b32 exec_lo, exec_lo, s15
.LBB369_1751:                           ;   in Loop: Header=BB369_1059 Depth=1
	s_or_b32 exec_lo, exec_lo, s13
	v_mov_b32_e32 v10, v20
	v_cmp_ne_u16_sdwa s5, v20, v11 src0_sel:BYTE_0 src1_sel:DWORD
	v_mov_b32_e32 v35, 0
	v_mov_b32_e32 v34, 0
	s_and_saveexec_b32 s13, s5
	s_cbranch_execz .LBB369_1759
; %bb.1752:                             ;   in Loop: Header=BB369_1059 Depth=1
	v_cmp_ne_u16_sdwa s5, v20, v68 src0_sel:BYTE_0 src1_sel:DWORD
	v_bfrev_b32_e32 v34, 1
	s_and_saveexec_b32 s15, s5
	s_cbranch_execz .LBB369_1758
; %bb.1753:                             ;   in Loop: Header=BB369_1059 Depth=1
	v_and_b32_e32 v22, 0x7f, v20
	v_mov_b32_e32 v34, 0x7f800001
	s_mov_b32 s18, exec_lo
	v_cmpx_ne_u32_e32 0x7f, v22
	s_cbranch_execz .LBB369_1757
; %bb.1754:                             ;   in Loop: Header=BB369_1059 Depth=1
	v_mov_b32_e32 v24, v11
	v_lshrrev_b32_e32 v5, 3, v22
	v_mov_b32_e32 v23, v10
	s_mov_b32 s20, exec_lo
	v_cmpx_gt_u32_e32 8, v22
; %bb.1755:                             ;   in Loop: Header=BB369_1059 Depth=1
	v_and_b32_e32 v5, 7, v20
	v_ffbh_u32_e32 v5, v5
	v_min_u32_e32 v5, 32, v5
	v_subrev_nc_u32_e32 v22, 28, v5
	v_sub_nc_u32_e32 v5, 29, v5
	v_lshlrev_b64 v[23:24], v22, v[10:11]
; %bb.1756:                             ;   in Loop: Header=BB369_1059 Depth=1
	s_or_b32 exec_lo, exec_lo, s20
	v_lshlrev_b32_e32 v22, 20, v23
	v_lshlrev_b32_e32 v23, 24, v10
	v_lshl_add_u32 v5, v5, 23, 0x3c000000
	v_and_b32_e32 v22, 0x700000, v22
	v_and_b32_e32 v23, 0x80000000, v23
	v_or3_b32 v34, v22, v23, v5
.LBB369_1757:                           ;   in Loop: Header=BB369_1059 Depth=1
	s_or_b32 exec_lo, exec_lo, s18
.LBB369_1758:                           ;   in Loop: Header=BB369_1059 Depth=1
	s_or_b32 exec_lo, exec_lo, s15
.LBB369_1759:                           ;   in Loop: Header=BB369_1059 Depth=1
	s_or_b32 exec_lo, exec_lo, s13
	v_cmp_ne_u16_sdwa s5, v10, v11 src0_sel:BYTE_1 src1_sel:DWORD
	s_and_saveexec_b32 s13, s5
	s_cbranch_execz .LBB369_1767
; %bb.1760:                             ;   in Loop: Header=BB369_1059 Depth=1
	v_cmp_ne_u16_sdwa s5, v10, v68 src0_sel:BYTE_1 src1_sel:DWORD
	v_bfrev_b32_e32 v35, 1
	s_and_saveexec_b32 s15, s5
	s_cbranch_execz .LBB369_1766
; %bb.1761:                             ;   in Loop: Header=BB369_1059 Depth=1
	v_mov_b32_e32 v5, 0xffff
	v_mov_b32_e32 v35, 0x7f800001
	s_mov_b32 s18, exec_lo
	v_and_b32_sdwa v5, v5, v10 dst_sel:DWORD dst_unused:UNUSED_PAD src0_sel:DWORD src1_sel:BYTE_1
	v_and_b32_e32 v22, 0x7f, v5
	v_cmpx_ne_u32_e32 0x7f, v22
	s_cbranch_execz .LBB369_1765
; %bb.1762:                             ;   in Loop: Header=BB369_1059 Depth=1
	v_and_b32_e32 v23, 7, v5
	v_mov_b32_e32 v24, v11
	v_lshrrev_b32_e32 v5, 3, v22
	s_mov_b32 s20, exec_lo
	v_cmpx_gt_u32_e32 8, v22
; %bb.1763:                             ;   in Loop: Header=BB369_1059 Depth=1
	v_ffbh_u32_e32 v5, v23
	v_min_u32_e32 v5, 32, v5
	v_subrev_nc_u32_e32 v22, 28, v5
	v_sub_nc_u32_e32 v5, 29, v5
	v_lshlrev_b64 v[22:23], v22, v[23:24]
	v_and_b32_e32 v23, 7, v22
; %bb.1764:                             ;   in Loop: Header=BB369_1059 Depth=1
	s_or_b32 exec_lo, exec_lo, s20
	v_lshlrev_b32_e32 v10, 16, v10
	v_lshlrev_b32_e32 v22, 20, v23
	v_lshl_add_u32 v5, v5, 23, 0x3c000000
	v_and_b32_e32 v10, 0x80000000, v10
	v_or3_b32 v35, v22, v10, v5
.LBB369_1765:                           ;   in Loop: Header=BB369_1059 Depth=1
	s_or_b32 exec_lo, exec_lo, s18
.LBB369_1766:                           ;   in Loop: Header=BB369_1059 Depth=1
	s_or_b32 exec_lo, exec_lo, s15
.LBB369_1767:                           ;   in Loop: Header=BB369_1059 Depth=1
	s_or_b32 exec_lo, exec_lo, s13
	v_and_b32_sdwa v10, v20, v70 dst_sel:DWORD dst_unused:UNUSED_PAD src0_sel:WORD_1 src1_sel:DWORD
	v_mov_b32_e32 v5, 0
	v_mov_b32_e32 v22, 0
	s_mov_b32 s13, exec_lo
	v_cmpx_ne_u16_e32 0, v10
	s_cbranch_execz .LBB369_1775
; %bb.1768:                             ;   in Loop: Header=BB369_1059 Depth=1
	v_bfrev_b32_e32 v22, 1
	s_mov_b32 s15, exec_lo
	v_cmpx_ne_u16_e32 0x80, v10
	s_cbranch_execz .LBB369_1774
; %bb.1769:                             ;   in Loop: Header=BB369_1059 Depth=1
	v_bfe_u32 v23, v20, 16, 7
	v_mov_b32_e32 v22, 0x7f800001
	s_mov_b32 s18, exec_lo
	v_cmpx_ne_u32_e32 0x7f, v23
	s_cbranch_execz .LBB369_1773
; %bb.1770:                             ;   in Loop: Header=BB369_1059 Depth=1
	v_mov_b32_e32 v10, 7
	v_lshrrev_b32_e32 v22, 3, v23
	v_cmp_gt_u32_e64 s5, 8, v23
	v_and_b32_sdwa v10, v20, v10 dst_sel:DWORD dst_unused:UNUSED_PAD src0_sel:WORD_1 src1_sel:DWORD
	v_mov_b32_e32 v24, v11
	v_mov_b32_e32 v23, v10
	s_and_saveexec_b32 s20, s5
; %bb.1771:                             ;   in Loop: Header=BB369_1059 Depth=1
	v_ffbh_u32_e32 v22, v10
	v_min_u32_e32 v22, 32, v22
	v_subrev_nc_u32_e32 v23, 28, v22
	v_sub_nc_u32_e32 v22, 29, v22
	v_lshlrev_b64 v[23:24], v23, v[10:11]
	v_and_b32_e32 v23, 7, v23
; %bb.1772:                             ;   in Loop: Header=BB369_1059 Depth=1
	s_or_b32 exec_lo, exec_lo, s20
	v_mov_b32_e32 v10, 24
	v_lshlrev_b32_e32 v23, 20, v23
	v_lshl_add_u32 v22, v22, 23, 0x3c000000
	v_lshlrev_b32_sdwa v10, v10, v20 dst_sel:DWORD dst_unused:UNUSED_PAD src0_sel:DWORD src1_sel:WORD_1
	v_and_b32_e32 v10, 0x80000000, v10
	v_or3_b32 v22, v23, v10, v22
.LBB369_1773:                           ;   in Loop: Header=BB369_1059 Depth=1
	s_or_b32 exec_lo, exec_lo, s18
.LBB369_1774:                           ;   in Loop: Header=BB369_1059 Depth=1
	s_or_b32 exec_lo, exec_lo, s15
.LBB369_1775:                           ;   in Loop: Header=BB369_1059 Depth=1
	s_or_b32 exec_lo, exec_lo, s13
	s_mov_b32 s13, exec_lo
	v_cmpx_lt_u64_e64 s[8:9], v[19:20]
	s_cbranch_execz .LBB369_1783
; %bb.1776:                             ;   in Loop: Header=BB369_1059 Depth=1
	v_cmp_ne_u32_sdwa s5, v20, v68 src0_sel:BYTE_3 src1_sel:DWORD
	v_bfrev_b32_e32 v5, 1
	s_and_saveexec_b32 s15, s5
	s_cbranch_execz .LBB369_1782
; %bb.1777:                             ;   in Loop: Header=BB369_1059 Depth=1
	v_bfe_u32 v19, v20, 24, 7
	v_mov_b32_e32 v5, 0x7f800001
	s_mov_b32 s18, exec_lo
	v_cmpx_ne_u32_e32 0x7f, v19
	s_cbranch_execz .LBB369_1781
; %bb.1778:                             ;   in Loop: Header=BB369_1059 Depth=1
	v_mov_b32_e32 v5, 7
	s_mov_b32 s20, exec_lo
	v_and_b32_sdwa v10, v20, v5 dst_sel:DWORD dst_unused:UNUSED_PAD src0_sel:BYTE_3 src1_sel:DWORD
	v_mov_b32_e32 v24, v11
	v_lshrrev_b32_e32 v5, 3, v19
	v_mov_b32_e32 v23, v10
	v_cmpx_gt_u32_e32 8, v19
; %bb.1779:                             ;   in Loop: Header=BB369_1059 Depth=1
	v_ffbh_u32_e32 v5, v10
	v_min_u32_e32 v5, 32, v5
	v_subrev_nc_u32_e32 v19, 28, v5
	v_sub_nc_u32_e32 v5, 29, v5
	v_lshlrev_b64 v[23:24], v19, v[10:11]
	v_and_b32_e32 v23, 7, v23
; %bb.1780:                             ;   in Loop: Header=BB369_1059 Depth=1
	s_or_b32 exec_lo, exec_lo, s20
	v_mov_b32_e32 v10, 24
	v_lshlrev_b32_e32 v19, 20, v23
	v_lshl_add_u32 v5, v5, 23, 0x3c000000
	v_lshlrev_b32_sdwa v10, v10, v20 dst_sel:DWORD dst_unused:UNUSED_PAD src0_sel:DWORD src1_sel:BYTE_3
	v_and_b32_e32 v10, 0x80000000, v10
	v_or3_b32 v5, v19, v10, v5
.LBB369_1781:                           ;   in Loop: Header=BB369_1059 Depth=1
	s_or_b32 exec_lo, exec_lo, s18
.LBB369_1782:                           ;   in Loop: Header=BB369_1059 Depth=1
	s_or_b32 exec_lo, exec_lo, s15
.LBB369_1783:                           ;   in Loop: Header=BB369_1059 Depth=1
	s_or_b32 exec_lo, exec_lo, s13
	v_mul_f32_e32 v10, v26, v35
	v_mul_f32_e32 v4, v26, v4
	v_bfe_u32 v19, v10, 16, 1
	v_or_b32_e32 v20, 0x400000, v10
	v_cmp_u_f32_e64 s5, v10, v10
	v_add3_u32 v19, v19, v10, 0x7fff
	v_cndmask_b32_e64 v10, v19, v20, s5
	v_lshrrev_b32_e32 v84, 16, v10
	v_mul_f32_e32 v10, v26, v34
	v_bfe_u32 v19, v10, 16, 1
	v_or_b32_e32 v20, 0x400000, v10
	v_cmp_u_f32_e64 s5, v10, v10
	v_add3_u32 v19, v19, v10, 0x7fff
	v_cndmask_b32_e64 v10, v19, v20, s5
	v_or_b32_e32 v19, 0x400000, v4
	v_cmp_u_f32_e64 s5, v4, v4
	v_lshrrev_b32_e32 v85, 16, v10
	v_bfe_u32 v10, v4, 16, 1
	v_add3_u32 v10, v10, v4, 0x7fff
	v_cndmask_b32_e64 v4, v10, v19, s5
	v_lshrrev_b32_e32 v86, 16, v4
	v_mul_f32_e32 v4, v26, v71
	v_bfe_u32 v10, v4, 16, 1
	v_or_b32_e32 v19, 0x400000, v4
	v_cmp_u_f32_e64 s5, v4, v4
	v_add3_u32 v10, v10, v4, 0x7fff
	v_cndmask_b32_e64 v4, v10, v19, s5
	v_lshrrev_b32_e32 v87, 16, v4
	v_mul_f32_e32 v4, v26, v69
	v_bfe_u32 v10, v4, 16, 1
	v_or_b32_e32 v19, 0x400000, v4
	v_cmp_u_f32_e64 s5, v4, v4
	;; [unrolled: 7-line block ×5, first 2 shown]
	v_add3_u32 v5, v5, v4, 0x7fff
	v_cndmask_b32_e64 v4, v5, v10, s5
	v_lshrrev_b32_e32 v99, 16, v4
	s_and_saveexec_b32 s13, vcc_lo
	s_cbranch_execz .LBB369_1785
; %bb.1784:                             ;   in Loop: Header=BB369_1059 Depth=1
	buffer_load_dword v4, off, s[0:3], s32 offset:196 ; 4-byte Folded Reload
	s_waitcnt vmcnt(0)
	v_cmp_lt_i32_e64 s5, v57, v4
	v_cndmask_b32_e64 v98, 0, v98, s5
	v_cmp_lt_i32_e64 s5, v63, v4
	v_cndmask_b32_e64 v97, 0, v97, s5
	;; [unrolled: 2-line block ×8, first 2 shown]
.LBB369_1785:                           ;   in Loop: Header=BB369_1059 Depth=1
	s_or_b32 exec_lo, exec_lo, s13
	flat_load_dwordx2 v[19:20], v[17:18] offset:768
	v_mov_b32_e32 v69, 0
	v_mov_b32_e32 v16, 0
	s_waitcnt vmcnt(0) lgkmcnt(0)
	v_cmp_ne_u16_sdwa s5, v19, v11 src0_sel:BYTE_0 src1_sel:DWORD
	s_and_saveexec_b32 s13, s5
	s_cbranch_execz .LBB369_1793
; %bb.1786:                             ;   in Loop: Header=BB369_1059 Depth=1
	v_cmp_ne_u16_sdwa s5, v19, v68 src0_sel:BYTE_0 src1_sel:DWORD
	v_bfrev_b32_e32 v16, 1
	s_and_saveexec_b32 s15, s5
	s_cbranch_execz .LBB369_1792
; %bb.1787:                             ;   in Loop: Header=BB369_1059 Depth=1
	v_and_b32_e32 v5, 0x7f, v19
	v_mov_b32_e32 v16, 0x7f800001
	s_mov_b32 s18, exec_lo
	v_cmpx_ne_u32_e32 0x7f, v5
	s_cbranch_execz .LBB369_1791
; %bb.1788:                             ;   in Loop: Header=BB369_1059 Depth=1
	v_mov_b32_e32 v24, v20
	v_lshrrev_b32_e32 v4, 3, v5
	v_mov_b32_e32 v23, v19
	s_mov_b32 s20, exec_lo
	v_cmpx_gt_u32_e32 8, v5
; %bb.1789:                             ;   in Loop: Header=BB369_1059 Depth=1
	v_and_b32_e32 v4, 7, v19
	v_ffbh_u32_e32 v4, v4
	v_min_u32_e32 v4, 32, v4
	v_subrev_nc_u32_e32 v5, 28, v4
	v_sub_nc_u32_e32 v4, 29, v4
	v_lshlrev_b64 v[23:24], v5, v[19:20]
; %bb.1790:                             ;   in Loop: Header=BB369_1059 Depth=1
	s_or_b32 exec_lo, exec_lo, s20
	v_lshlrev_b32_e32 v5, 20, v23
	v_lshlrev_b32_e32 v10, 24, v19
	v_lshl_add_u32 v4, v4, 23, 0x3c000000
	v_and_b32_e32 v5, 0x700000, v5
	v_and_b32_e32 v10, 0x80000000, v10
	v_or3_b32 v16, v5, v10, v4
.LBB369_1791:                           ;   in Loop: Header=BB369_1059 Depth=1
	s_or_b32 exec_lo, exec_lo, s18
.LBB369_1792:                           ;   in Loop: Header=BB369_1059 Depth=1
	s_or_b32 exec_lo, exec_lo, s15
.LBB369_1793:                           ;   in Loop: Header=BB369_1059 Depth=1
	s_or_b32 exec_lo, exec_lo, s13
	v_cmp_ne_u16_sdwa s5, v19, v11 src0_sel:BYTE_1 src1_sel:DWORD
	s_and_saveexec_b32 s13, s5
	s_cbranch_execz .LBB369_1801
; %bb.1794:                             ;   in Loop: Header=BB369_1059 Depth=1
	v_cmp_ne_u16_sdwa s5, v19, v68 src0_sel:BYTE_1 src1_sel:DWORD
	v_bfrev_b32_e32 v69, 1
	s_and_saveexec_b32 s15, s5
	s_cbranch_execz .LBB369_1800
; %bb.1795:                             ;   in Loop: Header=BB369_1059 Depth=1
	v_mov_b32_e32 v4, 0xffff
	v_mov_b32_e32 v69, 0x7f800001
	s_mov_b32 s18, exec_lo
	v_and_b32_sdwa v4, v4, v19 dst_sel:DWORD dst_unused:UNUSED_PAD src0_sel:DWORD src1_sel:BYTE_1
	v_and_b32_e32 v5, 0x7f, v4
	v_cmpx_ne_u32_e32 0x7f, v5
	s_cbranch_execz .LBB369_1799
; %bb.1796:                             ;   in Loop: Header=BB369_1059 Depth=1
	v_and_b32_e32 v10, 7, v4
	v_mov_b32_e32 v24, v11
	v_lshrrev_b32_e32 v4, 3, v5
	s_mov_b32 s20, exec_lo
	v_mov_b32_e32 v23, v10
	v_cmpx_gt_u32_e32 8, v5
; %bb.1797:                             ;   in Loop: Header=BB369_1059 Depth=1
	v_ffbh_u32_e32 v4, v10
	v_min_u32_e32 v4, 32, v4
	v_subrev_nc_u32_e32 v5, 28, v4
	v_sub_nc_u32_e32 v4, 29, v4
	v_lshlrev_b64 v[22:23], v5, v[10:11]
	v_and_b32_e32 v23, 7, v22
; %bb.1798:                             ;   in Loop: Header=BB369_1059 Depth=1
	s_or_b32 exec_lo, exec_lo, s20
	v_lshlrev_b32_e32 v5, 16, v19
	v_lshlrev_b32_e32 v10, 20, v23
	v_lshl_add_u32 v4, v4, 23, 0x3c000000
	v_and_b32_e32 v5, 0x80000000, v5
	v_or3_b32 v69, v10, v5, v4
.LBB369_1799:                           ;   in Loop: Header=BB369_1059 Depth=1
	s_or_b32 exec_lo, exec_lo, s18
.LBB369_1800:                           ;   in Loop: Header=BB369_1059 Depth=1
	s_or_b32 exec_lo, exec_lo, s15
.LBB369_1801:                           ;   in Loop: Header=BB369_1059 Depth=1
	s_or_b32 exec_lo, exec_lo, s13
	v_and_b32_sdwa v5, v19, v70 dst_sel:DWORD dst_unused:UNUSED_PAD src0_sel:WORD_1 src1_sel:DWORD
	v_mov_b32_e32 v4, 0
	v_mov_b32_e32 v71, 0
	s_mov_b32 s13, exec_lo
	v_cmpx_ne_u16_e32 0, v5
	s_cbranch_execz .LBB369_1809
; %bb.1802:                             ;   in Loop: Header=BB369_1059 Depth=1
	v_bfrev_b32_e32 v71, 1
	s_mov_b32 s15, exec_lo
	v_cmpx_ne_u16_e32 0x80, v5
	s_cbranch_execz .LBB369_1808
; %bb.1803:                             ;   in Loop: Header=BB369_1059 Depth=1
	v_bfe_u32 v22, v19, 16, 7
	v_mov_b32_e32 v71, 0x7f800001
	s_mov_b32 s18, exec_lo
	v_cmpx_ne_u32_e32 0x7f, v22
	s_cbranch_execz .LBB369_1807
; %bb.1804:                             ;   in Loop: Header=BB369_1059 Depth=1
	v_mov_b32_e32 v5, 7
	s_mov_b32 s20, exec_lo
	v_and_b32_sdwa v10, v19, v5 dst_sel:DWORD dst_unused:UNUSED_PAD src0_sel:WORD_1 src1_sel:DWORD
	v_mov_b32_e32 v24, v11
	v_lshrrev_b32_e32 v5, 3, v22
	v_mov_b32_e32 v23, v10
	v_cmpx_gt_u32_e32 8, v22
; %bb.1805:                             ;   in Loop: Header=BB369_1059 Depth=1
	v_ffbh_u32_e32 v5, v10
	v_min_u32_e32 v5, 32, v5
	v_subrev_nc_u32_e32 v22, 28, v5
	v_sub_nc_u32_e32 v5, 29, v5
	v_lshlrev_b64 v[22:23], v22, v[10:11]
	v_and_b32_e32 v23, 7, v22
; %bb.1806:                             ;   in Loop: Header=BB369_1059 Depth=1
	s_or_b32 exec_lo, exec_lo, s20
	v_mov_b32_e32 v10, 24
	v_lshlrev_b32_e32 v22, 20, v23
	v_lshl_add_u32 v5, v5, 23, 0x3c000000
	v_lshlrev_b32_sdwa v10, v10, v19 dst_sel:DWORD dst_unused:UNUSED_PAD src0_sel:DWORD src1_sel:WORD_1
	v_and_b32_e32 v10, 0x80000000, v10
	v_or3_b32 v71, v22, v10, v5
.LBB369_1807:                           ;   in Loop: Header=BB369_1059 Depth=1
	s_or_b32 exec_lo, exec_lo, s18
.LBB369_1808:                           ;   in Loop: Header=BB369_1059 Depth=1
	s_or_b32 exec_lo, exec_lo, s15
.LBB369_1809:                           ;   in Loop: Header=BB369_1059 Depth=1
	s_or_b32 exec_lo, exec_lo, s13
	s_mov_b32 s13, exec_lo
	v_cmpx_lt_u32_e32 0xffffff, v19
	s_cbranch_execz .LBB369_1817
; %bb.1810:                             ;   in Loop: Header=BB369_1059 Depth=1
	v_cmp_ne_u32_sdwa s5, v19, v68 src0_sel:BYTE_3 src1_sel:DWORD
	v_bfrev_b32_e32 v4, 1
	s_and_saveexec_b32 s15, s5
	s_cbranch_execz .LBB369_1816
; %bb.1811:                             ;   in Loop: Header=BB369_1059 Depth=1
	v_bfe_u32 v5, v19, 24, 7
	v_mov_b32_e32 v4, 0x7f800001
	s_mov_b32 s18, exec_lo
	v_cmpx_ne_u32_e32 0x7f, v5
	s_cbranch_execz .LBB369_1815
; %bb.1812:                             ;   in Loop: Header=BB369_1059 Depth=1
	v_mov_b32_e32 v4, 7
	s_mov_b32 s20, exec_lo
	v_and_b32_sdwa v10, v19, v4 dst_sel:DWORD dst_unused:UNUSED_PAD src0_sel:BYTE_3 src1_sel:DWORD
	v_mov_b32_e32 v24, v11
	v_lshrrev_b32_e32 v4, 3, v5
	v_mov_b32_e32 v23, v10
	v_cmpx_gt_u32_e32 8, v5
; %bb.1813:                             ;   in Loop: Header=BB369_1059 Depth=1
	v_ffbh_u32_e32 v4, v10
	v_min_u32_e32 v4, 32, v4
	v_subrev_nc_u32_e32 v5, 28, v4
	v_sub_nc_u32_e32 v4, 29, v4
	v_lshlrev_b64 v[22:23], v5, v[10:11]
	v_and_b32_e32 v23, 7, v22
; %bb.1814:                             ;   in Loop: Header=BB369_1059 Depth=1
	s_or_b32 exec_lo, exec_lo, s20
	v_mov_b32_e32 v5, 24
	v_lshlrev_b32_e32 v10, 20, v23
	v_lshl_add_u32 v4, v4, 23, 0x3c000000
	v_lshlrev_b32_sdwa v5, v5, v19 dst_sel:DWORD dst_unused:UNUSED_PAD src0_sel:DWORD src1_sel:BYTE_3
	v_and_b32_e32 v5, 0x80000000, v5
	v_or3_b32 v4, v10, v5, v4
.LBB369_1815:                           ;   in Loop: Header=BB369_1059 Depth=1
	s_or_b32 exec_lo, exec_lo, s18
.LBB369_1816:                           ;   in Loop: Header=BB369_1059 Depth=1
	s_or_b32 exec_lo, exec_lo, s15
.LBB369_1817:                           ;   in Loop: Header=BB369_1059 Depth=1
	s_or_b32 exec_lo, exec_lo, s13
	v_mov_b32_e32 v10, v20
	v_cmp_ne_u16_sdwa s5, v20, v11 src0_sel:BYTE_0 src1_sel:DWORD
	v_mov_b32_e32 v35, 0
	v_mov_b32_e32 v34, 0
	s_and_saveexec_b32 s13, s5
	s_cbranch_execz .LBB369_1825
; %bb.1818:                             ;   in Loop: Header=BB369_1059 Depth=1
	v_cmp_ne_u16_sdwa s5, v20, v68 src0_sel:BYTE_0 src1_sel:DWORD
	v_bfrev_b32_e32 v34, 1
	s_and_saveexec_b32 s15, s5
	s_cbranch_execz .LBB369_1824
; %bb.1819:                             ;   in Loop: Header=BB369_1059 Depth=1
	v_and_b32_e32 v22, 0x7f, v20
	v_mov_b32_e32 v34, 0x7f800001
	s_mov_b32 s18, exec_lo
	v_cmpx_ne_u32_e32 0x7f, v22
	s_cbranch_execz .LBB369_1823
; %bb.1820:                             ;   in Loop: Header=BB369_1059 Depth=1
	v_mov_b32_e32 v24, v11
	v_lshrrev_b32_e32 v5, 3, v22
	v_mov_b32_e32 v23, v10
	s_mov_b32 s20, exec_lo
	v_cmpx_gt_u32_e32 8, v22
; %bb.1821:                             ;   in Loop: Header=BB369_1059 Depth=1
	v_and_b32_e32 v5, 7, v20
	v_ffbh_u32_e32 v5, v5
	v_min_u32_e32 v5, 32, v5
	v_subrev_nc_u32_e32 v22, 28, v5
	v_sub_nc_u32_e32 v5, 29, v5
	v_lshlrev_b64 v[23:24], v22, v[10:11]
; %bb.1822:                             ;   in Loop: Header=BB369_1059 Depth=1
	s_or_b32 exec_lo, exec_lo, s20
	v_lshlrev_b32_e32 v22, 20, v23
	v_lshlrev_b32_e32 v23, 24, v10
	v_lshl_add_u32 v5, v5, 23, 0x3c000000
	v_and_b32_e32 v22, 0x700000, v22
	v_and_b32_e32 v23, 0x80000000, v23
	v_or3_b32 v34, v22, v23, v5
.LBB369_1823:                           ;   in Loop: Header=BB369_1059 Depth=1
	s_or_b32 exec_lo, exec_lo, s18
.LBB369_1824:                           ;   in Loop: Header=BB369_1059 Depth=1
	s_or_b32 exec_lo, exec_lo, s15
.LBB369_1825:                           ;   in Loop: Header=BB369_1059 Depth=1
	s_or_b32 exec_lo, exec_lo, s13
	v_cmp_ne_u16_sdwa s5, v10, v11 src0_sel:BYTE_1 src1_sel:DWORD
	s_and_saveexec_b32 s13, s5
	s_cbranch_execz .LBB369_1833
; %bb.1826:                             ;   in Loop: Header=BB369_1059 Depth=1
	v_cmp_ne_u16_sdwa s5, v10, v68 src0_sel:BYTE_1 src1_sel:DWORD
	v_bfrev_b32_e32 v35, 1
	s_and_saveexec_b32 s15, s5
	s_cbranch_execz .LBB369_1832
; %bb.1827:                             ;   in Loop: Header=BB369_1059 Depth=1
	v_mov_b32_e32 v5, 0xffff
	v_mov_b32_e32 v35, 0x7f800001
	s_mov_b32 s18, exec_lo
	v_and_b32_sdwa v5, v5, v10 dst_sel:DWORD dst_unused:UNUSED_PAD src0_sel:DWORD src1_sel:BYTE_1
	v_and_b32_e32 v22, 0x7f, v5
	v_cmpx_ne_u32_e32 0x7f, v22
	s_cbranch_execz .LBB369_1831
; %bb.1828:                             ;   in Loop: Header=BB369_1059 Depth=1
	v_and_b32_e32 v23, 7, v5
	v_mov_b32_e32 v24, v11
	v_lshrrev_b32_e32 v5, 3, v22
	s_mov_b32 s20, exec_lo
	v_cmpx_gt_u32_e32 8, v22
; %bb.1829:                             ;   in Loop: Header=BB369_1059 Depth=1
	v_ffbh_u32_e32 v5, v23
	v_min_u32_e32 v5, 32, v5
	v_subrev_nc_u32_e32 v22, 28, v5
	v_sub_nc_u32_e32 v5, 29, v5
	v_lshlrev_b64 v[22:23], v22, v[23:24]
	v_and_b32_e32 v23, 7, v22
; %bb.1830:                             ;   in Loop: Header=BB369_1059 Depth=1
	s_or_b32 exec_lo, exec_lo, s20
	v_lshlrev_b32_e32 v10, 16, v10
	v_lshlrev_b32_e32 v22, 20, v23
	v_lshl_add_u32 v5, v5, 23, 0x3c000000
	v_and_b32_e32 v10, 0x80000000, v10
	v_or3_b32 v35, v22, v10, v5
.LBB369_1831:                           ;   in Loop: Header=BB369_1059 Depth=1
	s_or_b32 exec_lo, exec_lo, s18
.LBB369_1832:                           ;   in Loop: Header=BB369_1059 Depth=1
	s_or_b32 exec_lo, exec_lo, s15
.LBB369_1833:                           ;   in Loop: Header=BB369_1059 Depth=1
	s_or_b32 exec_lo, exec_lo, s13
	v_and_b32_sdwa v10, v20, v70 dst_sel:DWORD dst_unused:UNUSED_PAD src0_sel:WORD_1 src1_sel:DWORD
	v_mov_b32_e32 v5, 0
	v_mov_b32_e32 v22, 0
	s_mov_b32 s13, exec_lo
	v_cmpx_ne_u16_e32 0, v10
	s_cbranch_execz .LBB369_1841
; %bb.1834:                             ;   in Loop: Header=BB369_1059 Depth=1
	v_bfrev_b32_e32 v22, 1
	s_mov_b32 s15, exec_lo
	v_cmpx_ne_u16_e32 0x80, v10
	s_cbranch_execz .LBB369_1840
; %bb.1835:                             ;   in Loop: Header=BB369_1059 Depth=1
	v_bfe_u32 v23, v20, 16, 7
	v_mov_b32_e32 v22, 0x7f800001
	s_mov_b32 s18, exec_lo
	v_cmpx_ne_u32_e32 0x7f, v23
	s_cbranch_execz .LBB369_1839
; %bb.1836:                             ;   in Loop: Header=BB369_1059 Depth=1
	v_mov_b32_e32 v10, 7
	v_lshrrev_b32_e32 v22, 3, v23
	v_cmp_gt_u32_e64 s5, 8, v23
	v_and_b32_sdwa v10, v20, v10 dst_sel:DWORD dst_unused:UNUSED_PAD src0_sel:WORD_1 src1_sel:DWORD
	v_mov_b32_e32 v24, v11
	v_mov_b32_e32 v23, v10
	s_and_saveexec_b32 s20, s5
; %bb.1837:                             ;   in Loop: Header=BB369_1059 Depth=1
	v_ffbh_u32_e32 v22, v10
	v_min_u32_e32 v22, 32, v22
	v_subrev_nc_u32_e32 v23, 28, v22
	v_sub_nc_u32_e32 v22, 29, v22
	v_lshlrev_b64 v[23:24], v23, v[10:11]
	v_and_b32_e32 v23, 7, v23
; %bb.1838:                             ;   in Loop: Header=BB369_1059 Depth=1
	s_or_b32 exec_lo, exec_lo, s20
	v_mov_b32_e32 v10, 24
	v_lshlrev_b32_e32 v23, 20, v23
	v_lshl_add_u32 v22, v22, 23, 0x3c000000
	v_lshlrev_b32_sdwa v10, v10, v20 dst_sel:DWORD dst_unused:UNUSED_PAD src0_sel:DWORD src1_sel:WORD_1
	v_and_b32_e32 v10, 0x80000000, v10
	v_or3_b32 v22, v23, v10, v22
.LBB369_1839:                           ;   in Loop: Header=BB369_1059 Depth=1
	s_or_b32 exec_lo, exec_lo, s18
.LBB369_1840:                           ;   in Loop: Header=BB369_1059 Depth=1
	s_or_b32 exec_lo, exec_lo, s15
.LBB369_1841:                           ;   in Loop: Header=BB369_1059 Depth=1
	s_or_b32 exec_lo, exec_lo, s13
	s_mov_b32 s13, exec_lo
	v_cmpx_lt_u64_e64 s[8:9], v[19:20]
	s_cbranch_execz .LBB369_1849
; %bb.1842:                             ;   in Loop: Header=BB369_1059 Depth=1
	v_cmp_ne_u32_sdwa s5, v20, v68 src0_sel:BYTE_3 src1_sel:DWORD
	v_bfrev_b32_e32 v5, 1
	s_and_saveexec_b32 s15, s5
	s_cbranch_execz .LBB369_1848
; %bb.1843:                             ;   in Loop: Header=BB369_1059 Depth=1
	v_bfe_u32 v19, v20, 24, 7
	v_mov_b32_e32 v5, 0x7f800001
	s_mov_b32 s18, exec_lo
	v_cmpx_ne_u32_e32 0x7f, v19
	s_cbranch_execz .LBB369_1847
; %bb.1844:                             ;   in Loop: Header=BB369_1059 Depth=1
	v_mov_b32_e32 v5, 7
	s_mov_b32 s20, exec_lo
	v_and_b32_sdwa v10, v20, v5 dst_sel:DWORD dst_unused:UNUSED_PAD src0_sel:BYTE_3 src1_sel:DWORD
	v_mov_b32_e32 v24, v11
	v_lshrrev_b32_e32 v5, 3, v19
	v_mov_b32_e32 v23, v10
	v_cmpx_gt_u32_e32 8, v19
; %bb.1845:                             ;   in Loop: Header=BB369_1059 Depth=1
	v_ffbh_u32_e32 v5, v10
	v_min_u32_e32 v5, 32, v5
	v_subrev_nc_u32_e32 v19, 28, v5
	v_sub_nc_u32_e32 v5, 29, v5
	v_lshlrev_b64 v[23:24], v19, v[10:11]
	v_and_b32_e32 v23, 7, v23
; %bb.1846:                             ;   in Loop: Header=BB369_1059 Depth=1
	s_or_b32 exec_lo, exec_lo, s20
	v_mov_b32_e32 v10, 24
	v_lshlrev_b32_e32 v19, 20, v23
	v_lshl_add_u32 v5, v5, 23, 0x3c000000
	v_lshlrev_b32_sdwa v10, v10, v20 dst_sel:DWORD dst_unused:UNUSED_PAD src0_sel:DWORD src1_sel:BYTE_3
	v_and_b32_e32 v10, 0x80000000, v10
	v_or3_b32 v5, v19, v10, v5
.LBB369_1847:                           ;   in Loop: Header=BB369_1059 Depth=1
	s_or_b32 exec_lo, exec_lo, s18
.LBB369_1848:                           ;   in Loop: Header=BB369_1059 Depth=1
	s_or_b32 exec_lo, exec_lo, s15
.LBB369_1849:                           ;   in Loop: Header=BB369_1059 Depth=1
	s_or_b32 exec_lo, exec_lo, s13
	v_mul_f32_e32 v10, v26, v35
	v_mul_f32_e32 v4, v26, v4
	v_bfe_u32 v19, v10, 16, 1
	v_or_b32_e32 v20, 0x400000, v10
	v_cmp_u_f32_e64 s5, v10, v10
	v_add3_u32 v19, v19, v10, 0x7fff
	v_cndmask_b32_e64 v10, v19, v20, s5
	v_lshrrev_b32_e32 v100, 16, v10
	v_mul_f32_e32 v10, v26, v34
	v_bfe_u32 v19, v10, 16, 1
	v_or_b32_e32 v20, 0x400000, v10
	v_cmp_u_f32_e64 s5, v10, v10
	v_add3_u32 v19, v19, v10, 0x7fff
	v_cndmask_b32_e64 v10, v19, v20, s5
	v_or_b32_e32 v19, 0x400000, v4
	v_cmp_u_f32_e64 s5, v4, v4
	v_lshrrev_b32_e32 v101, 16, v10
	v_bfe_u32 v10, v4, 16, 1
	v_add3_u32 v10, v10, v4, 0x7fff
	v_cndmask_b32_e64 v4, v10, v19, s5
	v_lshrrev_b32_e32 v102, 16, v4
	v_mul_f32_e32 v4, v26, v71
	v_bfe_u32 v10, v4, 16, 1
	v_or_b32_e32 v19, 0x400000, v4
	v_cmp_u_f32_e64 s5, v4, v4
	v_add3_u32 v10, v10, v4, 0x7fff
	v_cndmask_b32_e64 v4, v10, v19, s5
	v_lshrrev_b32_e32 v103, 16, v4
	v_mul_f32_e32 v4, v26, v69
	v_bfe_u32 v10, v4, 16, 1
	v_or_b32_e32 v19, 0x400000, v4
	v_cmp_u_f32_e64 s5, v4, v4
	;; [unrolled: 7-line block ×5, first 2 shown]
	v_add3_u32 v5, v5, v4, 0x7fff
	v_cndmask_b32_e64 v4, v5, v10, s5
	v_lshrrev_b32_e32 v115, 16, v4
	s_and_saveexec_b32 s13, vcc_lo
	s_cbranch_execz .LBB369_1851
; %bb.1850:                             ;   in Loop: Header=BB369_1059 Depth=1
	buffer_load_dword v4, off, s[0:3], s32 offset:196 ; 4-byte Folded Reload
	s_waitcnt vmcnt(0)
	v_cmp_lt_i32_e64 s5, v57, v4
	v_cndmask_b32_e64 v114, 0, v114, s5
	v_cmp_lt_i32_e64 s5, v63, v4
	v_cndmask_b32_e64 v113, 0, v113, s5
	;; [unrolled: 2-line block ×8, first 2 shown]
.LBB369_1851:                           ;   in Loop: Header=BB369_1059 Depth=1
	s_or_b32 exec_lo, exec_lo, s13
	flat_load_dwordx2 v[19:20], v[17:18] offset:1024
	v_mov_b32_e32 v69, 0
	v_mov_b32_e32 v16, 0
	s_waitcnt vmcnt(0) lgkmcnt(0)
	v_cmp_ne_u16_sdwa s5, v19, v11 src0_sel:BYTE_0 src1_sel:DWORD
	s_and_saveexec_b32 s13, s5
	s_cbranch_execz .LBB369_1859
; %bb.1852:                             ;   in Loop: Header=BB369_1059 Depth=1
	v_cmp_ne_u16_sdwa s5, v19, v68 src0_sel:BYTE_0 src1_sel:DWORD
	v_bfrev_b32_e32 v16, 1
	s_and_saveexec_b32 s15, s5
	s_cbranch_execz .LBB369_1858
; %bb.1853:                             ;   in Loop: Header=BB369_1059 Depth=1
	v_and_b32_e32 v5, 0x7f, v19
	v_mov_b32_e32 v16, 0x7f800001
	s_mov_b32 s18, exec_lo
	v_cmpx_ne_u32_e32 0x7f, v5
	s_cbranch_execz .LBB369_1857
; %bb.1854:                             ;   in Loop: Header=BB369_1059 Depth=1
	v_mov_b32_e32 v24, v20
	v_lshrrev_b32_e32 v4, 3, v5
	v_mov_b32_e32 v23, v19
	s_mov_b32 s20, exec_lo
	v_cmpx_gt_u32_e32 8, v5
; %bb.1855:                             ;   in Loop: Header=BB369_1059 Depth=1
	v_and_b32_e32 v4, 7, v19
	v_ffbh_u32_e32 v4, v4
	v_min_u32_e32 v4, 32, v4
	v_subrev_nc_u32_e32 v5, 28, v4
	v_sub_nc_u32_e32 v4, 29, v4
	v_lshlrev_b64 v[23:24], v5, v[19:20]
; %bb.1856:                             ;   in Loop: Header=BB369_1059 Depth=1
	s_or_b32 exec_lo, exec_lo, s20
	v_lshlrev_b32_e32 v5, 20, v23
	v_lshlrev_b32_e32 v10, 24, v19
	v_lshl_add_u32 v4, v4, 23, 0x3c000000
	v_and_b32_e32 v5, 0x700000, v5
	v_and_b32_e32 v10, 0x80000000, v10
	v_or3_b32 v16, v5, v10, v4
.LBB369_1857:                           ;   in Loop: Header=BB369_1059 Depth=1
	s_or_b32 exec_lo, exec_lo, s18
.LBB369_1858:                           ;   in Loop: Header=BB369_1059 Depth=1
	s_or_b32 exec_lo, exec_lo, s15
.LBB369_1859:                           ;   in Loop: Header=BB369_1059 Depth=1
	s_or_b32 exec_lo, exec_lo, s13
	v_cmp_ne_u16_sdwa s5, v19, v11 src0_sel:BYTE_1 src1_sel:DWORD
	s_and_saveexec_b32 s13, s5
	s_cbranch_execz .LBB369_1867
; %bb.1860:                             ;   in Loop: Header=BB369_1059 Depth=1
	v_cmp_ne_u16_sdwa s5, v19, v68 src0_sel:BYTE_1 src1_sel:DWORD
	v_bfrev_b32_e32 v69, 1
	s_and_saveexec_b32 s15, s5
	s_cbranch_execz .LBB369_1866
; %bb.1861:                             ;   in Loop: Header=BB369_1059 Depth=1
	v_mov_b32_e32 v4, 0xffff
	v_mov_b32_e32 v69, 0x7f800001
	s_mov_b32 s18, exec_lo
	v_and_b32_sdwa v4, v4, v19 dst_sel:DWORD dst_unused:UNUSED_PAD src0_sel:DWORD src1_sel:BYTE_1
	v_and_b32_e32 v5, 0x7f, v4
	v_cmpx_ne_u32_e32 0x7f, v5
	s_cbranch_execz .LBB369_1865
; %bb.1862:                             ;   in Loop: Header=BB369_1059 Depth=1
	v_and_b32_e32 v10, 7, v4
	v_mov_b32_e32 v24, v11
	v_lshrrev_b32_e32 v4, 3, v5
	s_mov_b32 s20, exec_lo
	v_mov_b32_e32 v23, v10
	v_cmpx_gt_u32_e32 8, v5
; %bb.1863:                             ;   in Loop: Header=BB369_1059 Depth=1
	v_ffbh_u32_e32 v4, v10
	v_min_u32_e32 v4, 32, v4
	v_subrev_nc_u32_e32 v5, 28, v4
	v_sub_nc_u32_e32 v4, 29, v4
	v_lshlrev_b64 v[22:23], v5, v[10:11]
	v_and_b32_e32 v23, 7, v22
; %bb.1864:                             ;   in Loop: Header=BB369_1059 Depth=1
	s_or_b32 exec_lo, exec_lo, s20
	v_lshlrev_b32_e32 v5, 16, v19
	v_lshlrev_b32_e32 v10, 20, v23
	v_lshl_add_u32 v4, v4, 23, 0x3c000000
	v_and_b32_e32 v5, 0x80000000, v5
	v_or3_b32 v69, v10, v5, v4
.LBB369_1865:                           ;   in Loop: Header=BB369_1059 Depth=1
	s_or_b32 exec_lo, exec_lo, s18
.LBB369_1866:                           ;   in Loop: Header=BB369_1059 Depth=1
	s_or_b32 exec_lo, exec_lo, s15
.LBB369_1867:                           ;   in Loop: Header=BB369_1059 Depth=1
	s_or_b32 exec_lo, exec_lo, s13
	v_and_b32_sdwa v5, v19, v70 dst_sel:DWORD dst_unused:UNUSED_PAD src0_sel:WORD_1 src1_sel:DWORD
	v_mov_b32_e32 v4, 0
	v_mov_b32_e32 v71, 0
	s_mov_b32 s13, exec_lo
	v_cmpx_ne_u16_e32 0, v5
	s_cbranch_execz .LBB369_1875
; %bb.1868:                             ;   in Loop: Header=BB369_1059 Depth=1
	v_bfrev_b32_e32 v71, 1
	s_mov_b32 s15, exec_lo
	v_cmpx_ne_u16_e32 0x80, v5
	s_cbranch_execz .LBB369_1874
; %bb.1869:                             ;   in Loop: Header=BB369_1059 Depth=1
	v_bfe_u32 v22, v19, 16, 7
	v_mov_b32_e32 v71, 0x7f800001
	s_mov_b32 s18, exec_lo
	v_cmpx_ne_u32_e32 0x7f, v22
	s_cbranch_execz .LBB369_1873
; %bb.1870:                             ;   in Loop: Header=BB369_1059 Depth=1
	v_mov_b32_e32 v5, 7
	s_mov_b32 s20, exec_lo
	v_and_b32_sdwa v10, v19, v5 dst_sel:DWORD dst_unused:UNUSED_PAD src0_sel:WORD_1 src1_sel:DWORD
	v_mov_b32_e32 v24, v11
	v_lshrrev_b32_e32 v5, 3, v22
	v_mov_b32_e32 v23, v10
	v_cmpx_gt_u32_e32 8, v22
; %bb.1871:                             ;   in Loop: Header=BB369_1059 Depth=1
	v_ffbh_u32_e32 v5, v10
	v_min_u32_e32 v5, 32, v5
	v_subrev_nc_u32_e32 v22, 28, v5
	v_sub_nc_u32_e32 v5, 29, v5
	v_lshlrev_b64 v[22:23], v22, v[10:11]
	v_and_b32_e32 v23, 7, v22
; %bb.1872:                             ;   in Loop: Header=BB369_1059 Depth=1
	s_or_b32 exec_lo, exec_lo, s20
	v_mov_b32_e32 v10, 24
	v_lshlrev_b32_e32 v22, 20, v23
	v_lshl_add_u32 v5, v5, 23, 0x3c000000
	v_lshlrev_b32_sdwa v10, v10, v19 dst_sel:DWORD dst_unused:UNUSED_PAD src0_sel:DWORD src1_sel:WORD_1
	v_and_b32_e32 v10, 0x80000000, v10
	v_or3_b32 v71, v22, v10, v5
.LBB369_1873:                           ;   in Loop: Header=BB369_1059 Depth=1
	s_or_b32 exec_lo, exec_lo, s18
.LBB369_1874:                           ;   in Loop: Header=BB369_1059 Depth=1
	s_or_b32 exec_lo, exec_lo, s15
.LBB369_1875:                           ;   in Loop: Header=BB369_1059 Depth=1
	s_or_b32 exec_lo, exec_lo, s13
	s_mov_b32 s13, exec_lo
	v_cmpx_lt_u32_e32 0xffffff, v19
	s_cbranch_execz .LBB369_1883
; %bb.1876:                             ;   in Loop: Header=BB369_1059 Depth=1
	v_cmp_ne_u32_sdwa s5, v19, v68 src0_sel:BYTE_3 src1_sel:DWORD
	v_bfrev_b32_e32 v4, 1
	s_and_saveexec_b32 s15, s5
	s_cbranch_execz .LBB369_1882
; %bb.1877:                             ;   in Loop: Header=BB369_1059 Depth=1
	v_bfe_u32 v5, v19, 24, 7
	v_mov_b32_e32 v4, 0x7f800001
	s_mov_b32 s18, exec_lo
	v_cmpx_ne_u32_e32 0x7f, v5
	s_cbranch_execz .LBB369_1881
; %bb.1878:                             ;   in Loop: Header=BB369_1059 Depth=1
	v_mov_b32_e32 v4, 7
	s_mov_b32 s20, exec_lo
	v_and_b32_sdwa v10, v19, v4 dst_sel:DWORD dst_unused:UNUSED_PAD src0_sel:BYTE_3 src1_sel:DWORD
	v_mov_b32_e32 v24, v11
	v_lshrrev_b32_e32 v4, 3, v5
	v_mov_b32_e32 v23, v10
	v_cmpx_gt_u32_e32 8, v5
; %bb.1879:                             ;   in Loop: Header=BB369_1059 Depth=1
	v_ffbh_u32_e32 v4, v10
	v_min_u32_e32 v4, 32, v4
	v_subrev_nc_u32_e32 v5, 28, v4
	v_sub_nc_u32_e32 v4, 29, v4
	v_lshlrev_b64 v[22:23], v5, v[10:11]
	v_and_b32_e32 v23, 7, v22
; %bb.1880:                             ;   in Loop: Header=BB369_1059 Depth=1
	s_or_b32 exec_lo, exec_lo, s20
	v_mov_b32_e32 v5, 24
	v_lshlrev_b32_e32 v10, 20, v23
	v_lshl_add_u32 v4, v4, 23, 0x3c000000
	v_lshlrev_b32_sdwa v5, v5, v19 dst_sel:DWORD dst_unused:UNUSED_PAD src0_sel:DWORD src1_sel:BYTE_3
	v_and_b32_e32 v5, 0x80000000, v5
	v_or3_b32 v4, v10, v5, v4
.LBB369_1881:                           ;   in Loop: Header=BB369_1059 Depth=1
	s_or_b32 exec_lo, exec_lo, s18
.LBB369_1882:                           ;   in Loop: Header=BB369_1059 Depth=1
	s_or_b32 exec_lo, exec_lo, s15
.LBB369_1883:                           ;   in Loop: Header=BB369_1059 Depth=1
	s_or_b32 exec_lo, exec_lo, s13
	v_mov_b32_e32 v10, v20
	v_cmp_ne_u16_sdwa s5, v20, v11 src0_sel:BYTE_0 src1_sel:DWORD
	v_mov_b32_e32 v35, 0
	v_mov_b32_e32 v34, 0
	s_and_saveexec_b32 s13, s5
	s_cbranch_execz .LBB369_1891
; %bb.1884:                             ;   in Loop: Header=BB369_1059 Depth=1
	v_cmp_ne_u16_sdwa s5, v20, v68 src0_sel:BYTE_0 src1_sel:DWORD
	v_bfrev_b32_e32 v34, 1
	s_and_saveexec_b32 s15, s5
	s_cbranch_execz .LBB369_1890
; %bb.1885:                             ;   in Loop: Header=BB369_1059 Depth=1
	v_and_b32_e32 v22, 0x7f, v20
	v_mov_b32_e32 v34, 0x7f800001
	s_mov_b32 s18, exec_lo
	v_cmpx_ne_u32_e32 0x7f, v22
	s_cbranch_execz .LBB369_1889
; %bb.1886:                             ;   in Loop: Header=BB369_1059 Depth=1
	v_mov_b32_e32 v24, v11
	v_lshrrev_b32_e32 v5, 3, v22
	v_mov_b32_e32 v23, v10
	s_mov_b32 s20, exec_lo
	v_cmpx_gt_u32_e32 8, v22
; %bb.1887:                             ;   in Loop: Header=BB369_1059 Depth=1
	v_and_b32_e32 v5, 7, v20
	v_ffbh_u32_e32 v5, v5
	v_min_u32_e32 v5, 32, v5
	v_subrev_nc_u32_e32 v22, 28, v5
	v_sub_nc_u32_e32 v5, 29, v5
	v_lshlrev_b64 v[23:24], v22, v[10:11]
; %bb.1888:                             ;   in Loop: Header=BB369_1059 Depth=1
	s_or_b32 exec_lo, exec_lo, s20
	v_lshlrev_b32_e32 v22, 20, v23
	v_lshlrev_b32_e32 v23, 24, v10
	v_lshl_add_u32 v5, v5, 23, 0x3c000000
	v_and_b32_e32 v22, 0x700000, v22
	v_and_b32_e32 v23, 0x80000000, v23
	v_or3_b32 v34, v22, v23, v5
.LBB369_1889:                           ;   in Loop: Header=BB369_1059 Depth=1
	s_or_b32 exec_lo, exec_lo, s18
.LBB369_1890:                           ;   in Loop: Header=BB369_1059 Depth=1
	s_or_b32 exec_lo, exec_lo, s15
.LBB369_1891:                           ;   in Loop: Header=BB369_1059 Depth=1
	s_or_b32 exec_lo, exec_lo, s13
	v_cmp_ne_u16_sdwa s5, v10, v11 src0_sel:BYTE_1 src1_sel:DWORD
	s_and_saveexec_b32 s13, s5
	s_cbranch_execz .LBB369_1899
; %bb.1892:                             ;   in Loop: Header=BB369_1059 Depth=1
	v_cmp_ne_u16_sdwa s5, v10, v68 src0_sel:BYTE_1 src1_sel:DWORD
	v_bfrev_b32_e32 v35, 1
	s_and_saveexec_b32 s15, s5
	s_cbranch_execz .LBB369_1898
; %bb.1893:                             ;   in Loop: Header=BB369_1059 Depth=1
	v_mov_b32_e32 v5, 0xffff
	v_mov_b32_e32 v35, 0x7f800001
	s_mov_b32 s18, exec_lo
	v_and_b32_sdwa v5, v5, v10 dst_sel:DWORD dst_unused:UNUSED_PAD src0_sel:DWORD src1_sel:BYTE_1
	v_and_b32_e32 v22, 0x7f, v5
	v_cmpx_ne_u32_e32 0x7f, v22
	s_cbranch_execz .LBB369_1897
; %bb.1894:                             ;   in Loop: Header=BB369_1059 Depth=1
	v_and_b32_e32 v23, 7, v5
	v_mov_b32_e32 v24, v11
	v_lshrrev_b32_e32 v5, 3, v22
	s_mov_b32 s20, exec_lo
	v_cmpx_gt_u32_e32 8, v22
; %bb.1895:                             ;   in Loop: Header=BB369_1059 Depth=1
	v_ffbh_u32_e32 v5, v23
	v_min_u32_e32 v5, 32, v5
	v_subrev_nc_u32_e32 v22, 28, v5
	v_sub_nc_u32_e32 v5, 29, v5
	v_lshlrev_b64 v[22:23], v22, v[23:24]
	v_and_b32_e32 v23, 7, v22
; %bb.1896:                             ;   in Loop: Header=BB369_1059 Depth=1
	s_or_b32 exec_lo, exec_lo, s20
	v_lshlrev_b32_e32 v10, 16, v10
	v_lshlrev_b32_e32 v22, 20, v23
	v_lshl_add_u32 v5, v5, 23, 0x3c000000
	v_and_b32_e32 v10, 0x80000000, v10
	v_or3_b32 v35, v22, v10, v5
.LBB369_1897:                           ;   in Loop: Header=BB369_1059 Depth=1
	s_or_b32 exec_lo, exec_lo, s18
.LBB369_1898:                           ;   in Loop: Header=BB369_1059 Depth=1
	s_or_b32 exec_lo, exec_lo, s15
.LBB369_1899:                           ;   in Loop: Header=BB369_1059 Depth=1
	s_or_b32 exec_lo, exec_lo, s13
	v_and_b32_sdwa v10, v20, v70 dst_sel:DWORD dst_unused:UNUSED_PAD src0_sel:WORD_1 src1_sel:DWORD
	v_mov_b32_e32 v5, 0
	v_mov_b32_e32 v22, 0
	s_mov_b32 s13, exec_lo
	v_cmpx_ne_u16_e32 0, v10
	s_cbranch_execz .LBB369_1907
; %bb.1900:                             ;   in Loop: Header=BB369_1059 Depth=1
	v_bfrev_b32_e32 v22, 1
	s_mov_b32 s15, exec_lo
	v_cmpx_ne_u16_e32 0x80, v10
	s_cbranch_execz .LBB369_1906
; %bb.1901:                             ;   in Loop: Header=BB369_1059 Depth=1
	v_bfe_u32 v23, v20, 16, 7
	v_mov_b32_e32 v22, 0x7f800001
	s_mov_b32 s18, exec_lo
	v_cmpx_ne_u32_e32 0x7f, v23
	s_cbranch_execz .LBB369_1905
; %bb.1902:                             ;   in Loop: Header=BB369_1059 Depth=1
	v_mov_b32_e32 v10, 7
	v_lshrrev_b32_e32 v22, 3, v23
	v_cmp_gt_u32_e64 s5, 8, v23
	v_and_b32_sdwa v10, v20, v10 dst_sel:DWORD dst_unused:UNUSED_PAD src0_sel:WORD_1 src1_sel:DWORD
	v_mov_b32_e32 v24, v11
	v_mov_b32_e32 v23, v10
	s_and_saveexec_b32 s20, s5
; %bb.1903:                             ;   in Loop: Header=BB369_1059 Depth=1
	v_ffbh_u32_e32 v22, v10
	v_min_u32_e32 v22, 32, v22
	v_subrev_nc_u32_e32 v23, 28, v22
	v_sub_nc_u32_e32 v22, 29, v22
	v_lshlrev_b64 v[23:24], v23, v[10:11]
	v_and_b32_e32 v23, 7, v23
; %bb.1904:                             ;   in Loop: Header=BB369_1059 Depth=1
	s_or_b32 exec_lo, exec_lo, s20
	v_mov_b32_e32 v10, 24
	v_lshlrev_b32_e32 v23, 20, v23
	v_lshl_add_u32 v22, v22, 23, 0x3c000000
	v_lshlrev_b32_sdwa v10, v10, v20 dst_sel:DWORD dst_unused:UNUSED_PAD src0_sel:DWORD src1_sel:WORD_1
	v_and_b32_e32 v10, 0x80000000, v10
	v_or3_b32 v22, v23, v10, v22
.LBB369_1905:                           ;   in Loop: Header=BB369_1059 Depth=1
	s_or_b32 exec_lo, exec_lo, s18
.LBB369_1906:                           ;   in Loop: Header=BB369_1059 Depth=1
	s_or_b32 exec_lo, exec_lo, s15
.LBB369_1907:                           ;   in Loop: Header=BB369_1059 Depth=1
	s_or_b32 exec_lo, exec_lo, s13
	s_mov_b32 s13, exec_lo
	v_cmpx_lt_u64_e64 s[8:9], v[19:20]
	s_cbranch_execz .LBB369_1915
; %bb.1908:                             ;   in Loop: Header=BB369_1059 Depth=1
	v_cmp_ne_u32_sdwa s5, v20, v68 src0_sel:BYTE_3 src1_sel:DWORD
	v_bfrev_b32_e32 v5, 1
	s_and_saveexec_b32 s15, s5
	s_cbranch_execz .LBB369_1914
; %bb.1909:                             ;   in Loop: Header=BB369_1059 Depth=1
	v_bfe_u32 v19, v20, 24, 7
	v_mov_b32_e32 v5, 0x7f800001
	s_mov_b32 s18, exec_lo
	v_cmpx_ne_u32_e32 0x7f, v19
	s_cbranch_execz .LBB369_1913
; %bb.1910:                             ;   in Loop: Header=BB369_1059 Depth=1
	v_mov_b32_e32 v5, 7
	s_mov_b32 s20, exec_lo
	v_and_b32_sdwa v10, v20, v5 dst_sel:DWORD dst_unused:UNUSED_PAD src0_sel:BYTE_3 src1_sel:DWORD
	v_mov_b32_e32 v24, v11
	v_lshrrev_b32_e32 v5, 3, v19
	v_mov_b32_e32 v23, v10
	v_cmpx_gt_u32_e32 8, v19
; %bb.1911:                             ;   in Loop: Header=BB369_1059 Depth=1
	v_ffbh_u32_e32 v5, v10
	v_min_u32_e32 v5, 32, v5
	v_subrev_nc_u32_e32 v19, 28, v5
	v_sub_nc_u32_e32 v5, 29, v5
	v_lshlrev_b64 v[23:24], v19, v[10:11]
	v_and_b32_e32 v23, 7, v23
; %bb.1912:                             ;   in Loop: Header=BB369_1059 Depth=1
	s_or_b32 exec_lo, exec_lo, s20
	v_mov_b32_e32 v10, 24
	v_lshlrev_b32_e32 v19, 20, v23
	v_lshl_add_u32 v5, v5, 23, 0x3c000000
	v_lshlrev_b32_sdwa v10, v10, v20 dst_sel:DWORD dst_unused:UNUSED_PAD src0_sel:DWORD src1_sel:BYTE_3
	v_and_b32_e32 v10, 0x80000000, v10
	v_or3_b32 v5, v19, v10, v5
.LBB369_1913:                           ;   in Loop: Header=BB369_1059 Depth=1
	s_or_b32 exec_lo, exec_lo, s18
.LBB369_1914:                           ;   in Loop: Header=BB369_1059 Depth=1
	s_or_b32 exec_lo, exec_lo, s15
.LBB369_1915:                           ;   in Loop: Header=BB369_1059 Depth=1
	s_or_b32 exec_lo, exec_lo, s13
	v_mul_f32_e32 v10, v26, v35
	v_mul_f32_e32 v4, v26, v4
	v_bfe_u32 v19, v10, 16, 1
	v_or_b32_e32 v20, 0x400000, v10
	v_cmp_u_f32_e64 s5, v10, v10
	v_add3_u32 v19, v19, v10, 0x7fff
	v_cndmask_b32_e64 v10, v19, v20, s5
	v_lshrrev_b32_e32 v117, 16, v10
	v_mul_f32_e32 v10, v26, v34
	v_bfe_u32 v19, v10, 16, 1
	v_or_b32_e32 v20, 0x400000, v10
	v_cmp_u_f32_e64 s5, v10, v10
	v_add3_u32 v19, v19, v10, 0x7fff
	v_cndmask_b32_e64 v10, v19, v20, s5
	v_or_b32_e32 v19, 0x400000, v4
	v_cmp_u_f32_e64 s5, v4, v4
	v_lshrrev_b32_e32 v118, 16, v10
	v_bfe_u32 v10, v4, 16, 1
	v_add3_u32 v10, v10, v4, 0x7fff
	v_cndmask_b32_e64 v4, v10, v19, s5
	v_lshrrev_b32_e32 v119, 16, v4
	v_mul_f32_e32 v4, v26, v71
	v_bfe_u32 v10, v4, 16, 1
	v_or_b32_e32 v19, 0x400000, v4
	v_cmp_u_f32_e64 s5, v4, v4
	v_add3_u32 v10, v10, v4, 0x7fff
	v_cndmask_b32_e64 v4, v10, v19, s5
	v_lshrrev_b32_e32 v40, 16, v4
	v_mul_f32_e32 v4, v26, v69
	v_bfe_u32 v10, v4, 16, 1
	v_or_b32_e32 v19, 0x400000, v4
	v_cmp_u_f32_e64 s5, v4, v4
	;; [unrolled: 7-line block ×5, first 2 shown]
	v_add3_u32 v5, v5, v4, 0x7fff
	v_cndmask_b32_e64 v4, v5, v10, s5
	v_lshrrev_b32_e32 v41, 16, v4
	s_and_saveexec_b32 s13, vcc_lo
	s_cbranch_execz .LBB369_1917
; %bb.1916:                             ;   in Loop: Header=BB369_1059 Depth=1
	buffer_load_dword v4, off, s[0:3], s32 offset:196 ; 4-byte Folded Reload
	s_waitcnt vmcnt(0)
	v_cmp_lt_i32_e64 s5, v57, v4
	v_cndmask_b32_e64 v80, 0, v80, s5
	v_cmp_lt_i32_e64 s5, v63, v4
	v_cndmask_b32_e64 v71, 0, v71, s5
	;; [unrolled: 2-line block ×8, first 2 shown]
.LBB369_1917:                           ;   in Loop: Header=BB369_1059 Depth=1
	s_or_b32 exec_lo, exec_lo, s13
	flat_load_dwordx2 v[19:20], v[17:18] offset:1280
	v_mov_b32_e32 v116, 0
	v_mov_b32_e32 v16, 0
	s_waitcnt vmcnt(0) lgkmcnt(0)
	v_cmp_ne_u16_sdwa s5, v19, v11 src0_sel:BYTE_0 src1_sel:DWORD
	s_and_saveexec_b32 s13, s5
	s_cbranch_execz .LBB369_1925
; %bb.1918:                             ;   in Loop: Header=BB369_1059 Depth=1
	v_cmp_ne_u16_sdwa s5, v19, v68 src0_sel:BYTE_0 src1_sel:DWORD
	v_bfrev_b32_e32 v16, 1
	s_and_saveexec_b32 s15, s5
	s_cbranch_execz .LBB369_1924
; %bb.1919:                             ;   in Loop: Header=BB369_1059 Depth=1
	v_and_b32_e32 v5, 0x7f, v19
	v_mov_b32_e32 v16, 0x7f800001
	s_mov_b32 s18, exec_lo
	v_cmpx_ne_u32_e32 0x7f, v5
	s_cbranch_execz .LBB369_1923
; %bb.1920:                             ;   in Loop: Header=BB369_1059 Depth=1
	v_mov_b32_e32 v24, v20
	v_lshrrev_b32_e32 v4, 3, v5
	v_mov_b32_e32 v23, v19
	s_mov_b32 s20, exec_lo
	v_cmpx_gt_u32_e32 8, v5
; %bb.1921:                             ;   in Loop: Header=BB369_1059 Depth=1
	v_and_b32_e32 v4, 7, v19
	v_ffbh_u32_e32 v4, v4
	v_min_u32_e32 v4, 32, v4
	v_subrev_nc_u32_e32 v5, 28, v4
	v_sub_nc_u32_e32 v4, 29, v4
	v_lshlrev_b64 v[23:24], v5, v[19:20]
; %bb.1922:                             ;   in Loop: Header=BB369_1059 Depth=1
	s_or_b32 exec_lo, exec_lo, s20
	v_lshlrev_b32_e32 v5, 20, v23
	v_lshlrev_b32_e32 v10, 24, v19
	v_lshl_add_u32 v4, v4, 23, 0x3c000000
	v_and_b32_e32 v5, 0x700000, v5
	v_and_b32_e32 v10, 0x80000000, v10
	v_or3_b32 v16, v5, v10, v4
.LBB369_1923:                           ;   in Loop: Header=BB369_1059 Depth=1
	s_or_b32 exec_lo, exec_lo, s18
.LBB369_1924:                           ;   in Loop: Header=BB369_1059 Depth=1
	s_or_b32 exec_lo, exec_lo, s15
.LBB369_1925:                           ;   in Loop: Header=BB369_1059 Depth=1
	s_or_b32 exec_lo, exec_lo, s13
	v_cmp_ne_u16_sdwa s5, v19, v11 src0_sel:BYTE_1 src1_sel:DWORD
	s_and_saveexec_b32 s13, s5
	s_cbranch_execz .LBB369_1933
; %bb.1926:                             ;   in Loop: Header=BB369_1059 Depth=1
	v_cmp_ne_u16_sdwa s5, v19, v68 src0_sel:BYTE_1 src1_sel:DWORD
	v_bfrev_b32_e32 v116, 1
	s_and_saveexec_b32 s15, s5
	s_cbranch_execz .LBB369_1932
; %bb.1927:                             ;   in Loop: Header=BB369_1059 Depth=1
	v_mov_b32_e32 v4, 0xffff
	v_mov_b32_e32 v116, 0x7f800001
	s_mov_b32 s18, exec_lo
	v_and_b32_sdwa v4, v4, v19 dst_sel:DWORD dst_unused:UNUSED_PAD src0_sel:DWORD src1_sel:BYTE_1
	v_and_b32_e32 v5, 0x7f, v4
	v_cmpx_ne_u32_e32 0x7f, v5
	s_cbranch_execz .LBB369_1931
; %bb.1928:                             ;   in Loop: Header=BB369_1059 Depth=1
	v_and_b32_e32 v10, 7, v4
	v_mov_b32_e32 v24, v11
	v_lshrrev_b32_e32 v4, 3, v5
	s_mov_b32 s20, exec_lo
	v_mov_b32_e32 v23, v10
	v_cmpx_gt_u32_e32 8, v5
; %bb.1929:                             ;   in Loop: Header=BB369_1059 Depth=1
	v_ffbh_u32_e32 v4, v10
	v_min_u32_e32 v4, 32, v4
	v_subrev_nc_u32_e32 v5, 28, v4
	v_sub_nc_u32_e32 v4, 29, v4
	v_lshlrev_b64 v[22:23], v5, v[10:11]
	v_and_b32_e32 v23, 7, v22
; %bb.1930:                             ;   in Loop: Header=BB369_1059 Depth=1
	s_or_b32 exec_lo, exec_lo, s20
	v_lshlrev_b32_e32 v5, 16, v19
	v_lshlrev_b32_e32 v10, 20, v23
	v_lshl_add_u32 v4, v4, 23, 0x3c000000
	v_and_b32_e32 v5, 0x80000000, v5
	v_or3_b32 v116, v10, v5, v4
.LBB369_1931:                           ;   in Loop: Header=BB369_1059 Depth=1
	s_or_b32 exec_lo, exec_lo, s18
.LBB369_1932:                           ;   in Loop: Header=BB369_1059 Depth=1
	s_or_b32 exec_lo, exec_lo, s15
.LBB369_1933:                           ;   in Loop: Header=BB369_1059 Depth=1
	s_or_b32 exec_lo, exec_lo, s13
	v_and_b32_sdwa v5, v19, v70 dst_sel:DWORD dst_unused:UNUSED_PAD src0_sel:WORD_1 src1_sel:DWORD
	v_mov_b32_e32 v4, 0
	v_mov_b32_e32 v45, 0
	s_mov_b32 s13, exec_lo
	v_cmpx_ne_u16_e32 0, v5
	s_cbranch_execz .LBB369_1941
; %bb.1934:                             ;   in Loop: Header=BB369_1059 Depth=1
	v_bfrev_b32_e32 v45, 1
	s_mov_b32 s15, exec_lo
	v_cmpx_ne_u16_e32 0x80, v5
	s_cbranch_execz .LBB369_1940
; %bb.1935:                             ;   in Loop: Header=BB369_1059 Depth=1
	v_bfe_u32 v22, v19, 16, 7
	v_mov_b32_e32 v45, 0x7f800001
	s_mov_b32 s18, exec_lo
	v_cmpx_ne_u32_e32 0x7f, v22
	s_cbranch_execz .LBB369_1939
; %bb.1936:                             ;   in Loop: Header=BB369_1059 Depth=1
	v_mov_b32_e32 v5, 7
	s_mov_b32 s20, exec_lo
	v_and_b32_sdwa v10, v19, v5 dst_sel:DWORD dst_unused:UNUSED_PAD src0_sel:WORD_1 src1_sel:DWORD
	v_mov_b32_e32 v24, v11
	v_lshrrev_b32_e32 v5, 3, v22
	v_mov_b32_e32 v23, v10
	v_cmpx_gt_u32_e32 8, v22
; %bb.1937:                             ;   in Loop: Header=BB369_1059 Depth=1
	v_ffbh_u32_e32 v5, v10
	v_min_u32_e32 v5, 32, v5
	v_subrev_nc_u32_e32 v22, 28, v5
	v_sub_nc_u32_e32 v5, 29, v5
	v_lshlrev_b64 v[22:23], v22, v[10:11]
	v_and_b32_e32 v23, 7, v22
; %bb.1938:                             ;   in Loop: Header=BB369_1059 Depth=1
	s_or_b32 exec_lo, exec_lo, s20
	v_mov_b32_e32 v10, 24
	v_lshlrev_b32_e32 v22, 20, v23
	v_lshl_add_u32 v5, v5, 23, 0x3c000000
	v_lshlrev_b32_sdwa v10, v10, v19 dst_sel:DWORD dst_unused:UNUSED_PAD src0_sel:DWORD src1_sel:WORD_1
	v_and_b32_e32 v10, 0x80000000, v10
	v_or3_b32 v45, v22, v10, v5
.LBB369_1939:                           ;   in Loop: Header=BB369_1059 Depth=1
	s_or_b32 exec_lo, exec_lo, s18
.LBB369_1940:                           ;   in Loop: Header=BB369_1059 Depth=1
	s_or_b32 exec_lo, exec_lo, s15
.LBB369_1941:                           ;   in Loop: Header=BB369_1059 Depth=1
	s_or_b32 exec_lo, exec_lo, s13
	s_mov_b32 s13, exec_lo
	v_cmpx_lt_u32_e32 0xffffff, v19
	s_cbranch_execz .LBB369_1949
; %bb.1942:                             ;   in Loop: Header=BB369_1059 Depth=1
	v_cmp_ne_u32_sdwa s5, v19, v68 src0_sel:BYTE_3 src1_sel:DWORD
	v_bfrev_b32_e32 v4, 1
	s_and_saveexec_b32 s15, s5
	s_cbranch_execz .LBB369_1948
; %bb.1943:                             ;   in Loop: Header=BB369_1059 Depth=1
	v_bfe_u32 v5, v19, 24, 7
	v_mov_b32_e32 v4, 0x7f800001
	s_mov_b32 s18, exec_lo
	v_cmpx_ne_u32_e32 0x7f, v5
	s_cbranch_execz .LBB369_1947
; %bb.1944:                             ;   in Loop: Header=BB369_1059 Depth=1
	v_mov_b32_e32 v4, 7
	s_mov_b32 s20, exec_lo
	v_and_b32_sdwa v10, v19, v4 dst_sel:DWORD dst_unused:UNUSED_PAD src0_sel:BYTE_3 src1_sel:DWORD
	v_mov_b32_e32 v24, v11
	v_lshrrev_b32_e32 v4, 3, v5
	v_mov_b32_e32 v23, v10
	v_cmpx_gt_u32_e32 8, v5
; %bb.1945:                             ;   in Loop: Header=BB369_1059 Depth=1
	v_ffbh_u32_e32 v4, v10
	v_min_u32_e32 v4, 32, v4
	v_subrev_nc_u32_e32 v5, 28, v4
	v_sub_nc_u32_e32 v4, 29, v4
	v_lshlrev_b64 v[22:23], v5, v[10:11]
	v_and_b32_e32 v23, 7, v22
; %bb.1946:                             ;   in Loop: Header=BB369_1059 Depth=1
	s_or_b32 exec_lo, exec_lo, s20
	v_mov_b32_e32 v5, 24
	v_lshlrev_b32_e32 v10, 20, v23
	v_lshl_add_u32 v4, v4, 23, 0x3c000000
	v_lshlrev_b32_sdwa v5, v5, v19 dst_sel:DWORD dst_unused:UNUSED_PAD src0_sel:DWORD src1_sel:BYTE_3
	v_and_b32_e32 v5, 0x80000000, v5
	v_or3_b32 v4, v10, v5, v4
.LBB369_1947:                           ;   in Loop: Header=BB369_1059 Depth=1
	s_or_b32 exec_lo, exec_lo, s18
.LBB369_1948:                           ;   in Loop: Header=BB369_1059 Depth=1
	s_or_b32 exec_lo, exec_lo, s15
.LBB369_1949:                           ;   in Loop: Header=BB369_1059 Depth=1
	s_or_b32 exec_lo, exec_lo, s13
	v_mov_b32_e32 v10, v20
	v_cmp_ne_u16_sdwa s5, v20, v11 src0_sel:BYTE_0 src1_sel:DWORD
	v_mov_b32_e32 v35, 0
	v_mov_b32_e32 v34, 0
	s_and_saveexec_b32 s13, s5
	s_cbranch_execz .LBB369_1957
; %bb.1950:                             ;   in Loop: Header=BB369_1059 Depth=1
	v_cmp_ne_u16_sdwa s5, v20, v68 src0_sel:BYTE_0 src1_sel:DWORD
	v_bfrev_b32_e32 v34, 1
	s_and_saveexec_b32 s15, s5
	s_cbranch_execz .LBB369_1956
; %bb.1951:                             ;   in Loop: Header=BB369_1059 Depth=1
	v_and_b32_e32 v22, 0x7f, v20
	v_mov_b32_e32 v34, 0x7f800001
	s_mov_b32 s18, exec_lo
	v_cmpx_ne_u32_e32 0x7f, v22
	s_cbranch_execz .LBB369_1955
; %bb.1952:                             ;   in Loop: Header=BB369_1059 Depth=1
	v_mov_b32_e32 v24, v11
	v_lshrrev_b32_e32 v5, 3, v22
	v_mov_b32_e32 v23, v10
	s_mov_b32 s20, exec_lo
	v_cmpx_gt_u32_e32 8, v22
; %bb.1953:                             ;   in Loop: Header=BB369_1059 Depth=1
	v_and_b32_e32 v5, 7, v20
	v_ffbh_u32_e32 v5, v5
	v_min_u32_e32 v5, 32, v5
	v_subrev_nc_u32_e32 v22, 28, v5
	v_sub_nc_u32_e32 v5, 29, v5
	v_lshlrev_b64 v[23:24], v22, v[10:11]
; %bb.1954:                             ;   in Loop: Header=BB369_1059 Depth=1
	s_or_b32 exec_lo, exec_lo, s20
	v_lshlrev_b32_e32 v22, 20, v23
	v_lshlrev_b32_e32 v23, 24, v10
	v_lshl_add_u32 v5, v5, 23, 0x3c000000
	v_and_b32_e32 v22, 0x700000, v22
	v_and_b32_e32 v23, 0x80000000, v23
	v_or3_b32 v34, v22, v23, v5
.LBB369_1955:                           ;   in Loop: Header=BB369_1059 Depth=1
	s_or_b32 exec_lo, exec_lo, s18
.LBB369_1956:                           ;   in Loop: Header=BB369_1059 Depth=1
	s_or_b32 exec_lo, exec_lo, s15
.LBB369_1957:                           ;   in Loop: Header=BB369_1059 Depth=1
	s_or_b32 exec_lo, exec_lo, s13
	v_cmp_ne_u16_sdwa s5, v10, v11 src0_sel:BYTE_1 src1_sel:DWORD
	s_and_saveexec_b32 s13, s5
	s_cbranch_execz .LBB369_1965
; %bb.1958:                             ;   in Loop: Header=BB369_1059 Depth=1
	v_cmp_ne_u16_sdwa s5, v10, v68 src0_sel:BYTE_1 src1_sel:DWORD
	v_bfrev_b32_e32 v35, 1
	s_and_saveexec_b32 s15, s5
	s_cbranch_execz .LBB369_1964
; %bb.1959:                             ;   in Loop: Header=BB369_1059 Depth=1
	v_mov_b32_e32 v5, 0xffff
	v_mov_b32_e32 v35, 0x7f800001
	s_mov_b32 s18, exec_lo
	v_and_b32_sdwa v5, v5, v10 dst_sel:DWORD dst_unused:UNUSED_PAD src0_sel:DWORD src1_sel:BYTE_1
	v_and_b32_e32 v22, 0x7f, v5
	v_cmpx_ne_u32_e32 0x7f, v22
	s_cbranch_execz .LBB369_1963
; %bb.1960:                             ;   in Loop: Header=BB369_1059 Depth=1
	v_and_b32_e32 v23, 7, v5
	v_mov_b32_e32 v24, v11
	v_lshrrev_b32_e32 v5, 3, v22
	s_mov_b32 s20, exec_lo
	v_cmpx_gt_u32_e32 8, v22
; %bb.1961:                             ;   in Loop: Header=BB369_1059 Depth=1
	v_ffbh_u32_e32 v5, v23
	v_min_u32_e32 v5, 32, v5
	v_subrev_nc_u32_e32 v22, 28, v5
	v_sub_nc_u32_e32 v5, 29, v5
	v_lshlrev_b64 v[22:23], v22, v[23:24]
	v_and_b32_e32 v23, 7, v22
; %bb.1962:                             ;   in Loop: Header=BB369_1059 Depth=1
	s_or_b32 exec_lo, exec_lo, s20
	v_lshlrev_b32_e32 v10, 16, v10
	v_lshlrev_b32_e32 v22, 20, v23
	v_lshl_add_u32 v5, v5, 23, 0x3c000000
	v_and_b32_e32 v10, 0x80000000, v10
	v_or3_b32 v35, v22, v10, v5
.LBB369_1963:                           ;   in Loop: Header=BB369_1059 Depth=1
	s_or_b32 exec_lo, exec_lo, s18
.LBB369_1964:                           ;   in Loop: Header=BB369_1059 Depth=1
	s_or_b32 exec_lo, exec_lo, s15
.LBB369_1965:                           ;   in Loop: Header=BB369_1059 Depth=1
	s_or_b32 exec_lo, exec_lo, s13
	v_and_b32_sdwa v10, v20, v70 dst_sel:DWORD dst_unused:UNUSED_PAD src0_sel:WORD_1 src1_sel:DWORD
	v_mov_b32_e32 v5, 0
	v_mov_b32_e32 v22, 0
	s_mov_b32 s13, exec_lo
	v_cmpx_ne_u16_e32 0, v10
	s_cbranch_execz .LBB369_1973
; %bb.1966:                             ;   in Loop: Header=BB369_1059 Depth=1
	v_bfrev_b32_e32 v22, 1
	s_mov_b32 s15, exec_lo
	v_cmpx_ne_u16_e32 0x80, v10
	s_cbranch_execz .LBB369_1972
; %bb.1967:                             ;   in Loop: Header=BB369_1059 Depth=1
	v_bfe_u32 v23, v20, 16, 7
	v_mov_b32_e32 v22, 0x7f800001
	s_mov_b32 s18, exec_lo
	v_cmpx_ne_u32_e32 0x7f, v23
	s_cbranch_execz .LBB369_1971
; %bb.1968:                             ;   in Loop: Header=BB369_1059 Depth=1
	v_mov_b32_e32 v10, 7
	v_lshrrev_b32_e32 v22, 3, v23
	v_cmp_gt_u32_e64 s5, 8, v23
	v_and_b32_sdwa v10, v20, v10 dst_sel:DWORD dst_unused:UNUSED_PAD src0_sel:WORD_1 src1_sel:DWORD
	v_mov_b32_e32 v24, v11
	v_mov_b32_e32 v23, v10
	s_and_saveexec_b32 s20, s5
; %bb.1969:                             ;   in Loop: Header=BB369_1059 Depth=1
	v_ffbh_u32_e32 v22, v10
	v_min_u32_e32 v22, 32, v22
	v_subrev_nc_u32_e32 v23, 28, v22
	v_sub_nc_u32_e32 v22, 29, v22
	v_lshlrev_b64 v[23:24], v23, v[10:11]
	v_and_b32_e32 v23, 7, v23
; %bb.1970:                             ;   in Loop: Header=BB369_1059 Depth=1
	s_or_b32 exec_lo, exec_lo, s20
	v_mov_b32_e32 v10, 24
	v_lshlrev_b32_e32 v23, 20, v23
	v_lshl_add_u32 v22, v22, 23, 0x3c000000
	v_lshlrev_b32_sdwa v10, v10, v20 dst_sel:DWORD dst_unused:UNUSED_PAD src0_sel:DWORD src1_sel:WORD_1
	v_and_b32_e32 v10, 0x80000000, v10
	v_or3_b32 v22, v23, v10, v22
.LBB369_1971:                           ;   in Loop: Header=BB369_1059 Depth=1
	s_or_b32 exec_lo, exec_lo, s18
.LBB369_1972:                           ;   in Loop: Header=BB369_1059 Depth=1
	s_or_b32 exec_lo, exec_lo, s15
.LBB369_1973:                           ;   in Loop: Header=BB369_1059 Depth=1
	s_or_b32 exec_lo, exec_lo, s13
	s_mov_b32 s13, exec_lo
	v_cmpx_lt_u64_e64 s[8:9], v[19:20]
	s_cbranch_execz .LBB369_1981
; %bb.1974:                             ;   in Loop: Header=BB369_1059 Depth=1
	v_cmp_ne_u32_sdwa s5, v20, v68 src0_sel:BYTE_3 src1_sel:DWORD
	v_bfrev_b32_e32 v5, 1
	s_and_saveexec_b32 s15, s5
	s_cbranch_execz .LBB369_1980
; %bb.1975:                             ;   in Loop: Header=BB369_1059 Depth=1
	v_bfe_u32 v19, v20, 24, 7
	v_mov_b32_e32 v5, 0x7f800001
	s_mov_b32 s18, exec_lo
	v_cmpx_ne_u32_e32 0x7f, v19
	s_cbranch_execz .LBB369_1979
; %bb.1976:                             ;   in Loop: Header=BB369_1059 Depth=1
	v_mov_b32_e32 v5, 7
	s_mov_b32 s20, exec_lo
	v_and_b32_sdwa v10, v20, v5 dst_sel:DWORD dst_unused:UNUSED_PAD src0_sel:BYTE_3 src1_sel:DWORD
	v_mov_b32_e32 v24, v11
	v_lshrrev_b32_e32 v5, 3, v19
	v_mov_b32_e32 v23, v10
	v_cmpx_gt_u32_e32 8, v19
; %bb.1977:                             ;   in Loop: Header=BB369_1059 Depth=1
	v_ffbh_u32_e32 v5, v10
	v_min_u32_e32 v5, 32, v5
	v_subrev_nc_u32_e32 v19, 28, v5
	v_sub_nc_u32_e32 v5, 29, v5
	v_lshlrev_b64 v[23:24], v19, v[10:11]
	v_and_b32_e32 v23, 7, v23
; %bb.1978:                             ;   in Loop: Header=BB369_1059 Depth=1
	s_or_b32 exec_lo, exec_lo, s20
	v_mov_b32_e32 v10, 24
	v_lshlrev_b32_e32 v19, 20, v23
	v_lshl_add_u32 v5, v5, 23, 0x3c000000
	v_lshlrev_b32_sdwa v10, v10, v20 dst_sel:DWORD dst_unused:UNUSED_PAD src0_sel:DWORD src1_sel:BYTE_3
	v_and_b32_e32 v10, 0x80000000, v10
	v_or3_b32 v5, v19, v10, v5
.LBB369_1979:                           ;   in Loop: Header=BB369_1059 Depth=1
	s_or_b32 exec_lo, exec_lo, s18
.LBB369_1980:                           ;   in Loop: Header=BB369_1059 Depth=1
	s_or_b32 exec_lo, exec_lo, s15
.LBB369_1981:                           ;   in Loop: Header=BB369_1059 Depth=1
	s_or_b32 exec_lo, exec_lo, s13
	v_mul_f32_e32 v10, v26, v35
	v_mul_f32_e32 v4, v26, v4
	v_bfe_u32 v19, v10, 16, 1
	v_or_b32_e32 v20, 0x400000, v10
	v_cmp_u_f32_e64 s5, v10, v10
	v_add3_u32 v19, v19, v10, 0x7fff
	v_cndmask_b32_e64 v10, v19, v20, s5
	v_lshrrev_b32_e32 v42, 16, v10
	v_mul_f32_e32 v10, v26, v34
	v_bfe_u32 v19, v10, 16, 1
	v_or_b32_e32 v20, 0x400000, v10
	v_cmp_u_f32_e64 s5, v10, v10
	v_add3_u32 v19, v19, v10, 0x7fff
	v_cndmask_b32_e64 v10, v19, v20, s5
	v_or_b32_e32 v19, 0x400000, v4
	v_cmp_u_f32_e64 s5, v4, v4
	v_lshrrev_b32_e32 v43, 16, v10
	v_bfe_u32 v10, v4, 16, 1
	v_add3_u32 v10, v10, v4, 0x7fff
	v_cndmask_b32_e64 v4, v10, v19, s5
	v_lshrrev_b32_e32 v44, 16, v4
	v_mul_f32_e32 v4, v26, v45
	v_bfe_u32 v10, v4, 16, 1
	v_or_b32_e32 v19, 0x400000, v4
	v_cmp_u_f32_e64 s5, v4, v4
	v_add3_u32 v10, v10, v4, 0x7fff
	v_cndmask_b32_e64 v4, v10, v19, s5
	v_lshrrev_b32_e32 v45, 16, v4
	v_mul_f32_e32 v4, v26, v116
	v_bfe_u32 v10, v4, 16, 1
	v_or_b32_e32 v19, 0x400000, v4
	v_cmp_u_f32_e64 s5, v4, v4
	;; [unrolled: 7-line block ×5, first 2 shown]
	v_add3_u32 v5, v5, v4, 0x7fff
	v_cndmask_b32_e64 v4, v5, v10, s5
	v_lshrrev_b32_e32 v72, 16, v4
	s_and_saveexec_b32 s13, vcc_lo
	s_cbranch_execz .LBB369_1983
; %bb.1982:                             ;   in Loop: Header=BB369_1059 Depth=1
	buffer_load_dword v4, off, s[0:3], s32 offset:196 ; 4-byte Folded Reload
	s_waitcnt vmcnt(0)
	v_cmp_lt_i32_e64 s5, v57, v4
	v_cndmask_b32_e64 v56, 0, v56, s5
	v_cmp_lt_i32_e64 s5, v63, v4
	v_cndmask_b32_e64 v47, 0, v47, s5
	;; [unrolled: 2-line block ×8, first 2 shown]
.LBB369_1983:                           ;   in Loop: Header=BB369_1059 Depth=1
	s_or_b32 exec_lo, exec_lo, s13
	flat_load_dwordx2 v[19:20], v[17:18] offset:1536
	v_mov_b32_e32 v116, 0
	v_mov_b32_e32 v16, 0
	s_waitcnt vmcnt(0) lgkmcnt(0)
	v_cmp_ne_u16_sdwa s5, v19, v11 src0_sel:BYTE_0 src1_sel:DWORD
	s_and_saveexec_b32 s13, s5
	s_cbranch_execz .LBB369_1991
; %bb.1984:                             ;   in Loop: Header=BB369_1059 Depth=1
	v_cmp_ne_u16_sdwa s5, v19, v68 src0_sel:BYTE_0 src1_sel:DWORD
	v_bfrev_b32_e32 v16, 1
	s_and_saveexec_b32 s15, s5
	s_cbranch_execz .LBB369_1990
; %bb.1985:                             ;   in Loop: Header=BB369_1059 Depth=1
	v_and_b32_e32 v5, 0x7f, v19
	v_mov_b32_e32 v16, 0x7f800001
	s_mov_b32 s18, exec_lo
	v_cmpx_ne_u32_e32 0x7f, v5
	s_cbranch_execz .LBB369_1989
; %bb.1986:                             ;   in Loop: Header=BB369_1059 Depth=1
	v_mov_b32_e32 v24, v20
	v_lshrrev_b32_e32 v4, 3, v5
	v_mov_b32_e32 v23, v19
	s_mov_b32 s20, exec_lo
	v_cmpx_gt_u32_e32 8, v5
; %bb.1987:                             ;   in Loop: Header=BB369_1059 Depth=1
	v_and_b32_e32 v4, 7, v19
	v_ffbh_u32_e32 v4, v4
	v_min_u32_e32 v4, 32, v4
	v_subrev_nc_u32_e32 v5, 28, v4
	v_sub_nc_u32_e32 v4, 29, v4
	v_lshlrev_b64 v[23:24], v5, v[19:20]
; %bb.1988:                             ;   in Loop: Header=BB369_1059 Depth=1
	s_or_b32 exec_lo, exec_lo, s20
	v_lshlrev_b32_e32 v5, 20, v23
	v_lshlrev_b32_e32 v10, 24, v19
	v_lshl_add_u32 v4, v4, 23, 0x3c000000
	v_and_b32_e32 v5, 0x700000, v5
	v_and_b32_e32 v10, 0x80000000, v10
	v_or3_b32 v16, v5, v10, v4
.LBB369_1989:                           ;   in Loop: Header=BB369_1059 Depth=1
	s_or_b32 exec_lo, exec_lo, s18
.LBB369_1990:                           ;   in Loop: Header=BB369_1059 Depth=1
	s_or_b32 exec_lo, exec_lo, s15
.LBB369_1991:                           ;   in Loop: Header=BB369_1059 Depth=1
	s_or_b32 exec_lo, exec_lo, s13
	v_cmp_ne_u16_sdwa s5, v19, v11 src0_sel:BYTE_1 src1_sel:DWORD
	s_and_saveexec_b32 s13, s5
	s_cbranch_execz .LBB369_1999
; %bb.1992:                             ;   in Loop: Header=BB369_1059 Depth=1
	v_cmp_ne_u16_sdwa s5, v19, v68 src0_sel:BYTE_1 src1_sel:DWORD
	v_bfrev_b32_e32 v116, 1
	s_and_saveexec_b32 s15, s5
	s_cbranch_execz .LBB369_1998
; %bb.1993:                             ;   in Loop: Header=BB369_1059 Depth=1
	v_mov_b32_e32 v4, 0xffff
	v_mov_b32_e32 v116, 0x7f800001
	s_mov_b32 s18, exec_lo
	v_and_b32_sdwa v4, v4, v19 dst_sel:DWORD dst_unused:UNUSED_PAD src0_sel:DWORD src1_sel:BYTE_1
	v_and_b32_e32 v5, 0x7f, v4
	v_cmpx_ne_u32_e32 0x7f, v5
	s_cbranch_execz .LBB369_1997
; %bb.1994:                             ;   in Loop: Header=BB369_1059 Depth=1
	v_and_b32_e32 v10, 7, v4
	v_mov_b32_e32 v24, v11
	v_lshrrev_b32_e32 v4, 3, v5
	s_mov_b32 s20, exec_lo
	v_mov_b32_e32 v23, v10
	v_cmpx_gt_u32_e32 8, v5
; %bb.1995:                             ;   in Loop: Header=BB369_1059 Depth=1
	v_ffbh_u32_e32 v4, v10
	v_min_u32_e32 v4, 32, v4
	v_subrev_nc_u32_e32 v5, 28, v4
	v_sub_nc_u32_e32 v4, 29, v4
	v_lshlrev_b64 v[22:23], v5, v[10:11]
	v_and_b32_e32 v23, 7, v22
; %bb.1996:                             ;   in Loop: Header=BB369_1059 Depth=1
	s_or_b32 exec_lo, exec_lo, s20
	v_lshlrev_b32_e32 v5, 16, v19
	v_lshlrev_b32_e32 v10, 20, v23
	v_lshl_add_u32 v4, v4, 23, 0x3c000000
	v_and_b32_e32 v5, 0x80000000, v5
	v_or3_b32 v116, v10, v5, v4
.LBB369_1997:                           ;   in Loop: Header=BB369_1059 Depth=1
	s_or_b32 exec_lo, exec_lo, s18
.LBB369_1998:                           ;   in Loop: Header=BB369_1059 Depth=1
	s_or_b32 exec_lo, exec_lo, s15
.LBB369_1999:                           ;   in Loop: Header=BB369_1059 Depth=1
	s_or_b32 exec_lo, exec_lo, s13
	v_and_b32_sdwa v5, v19, v70 dst_sel:DWORD dst_unused:UNUSED_PAD src0_sel:WORD_1 src1_sel:DWORD
	v_mov_b32_e32 v4, 0
	v_mov_b32_e32 v76, 0
	s_mov_b32 s13, exec_lo
	v_cmpx_ne_u16_e32 0, v5
	s_cbranch_execz .LBB369_2007
; %bb.2000:                             ;   in Loop: Header=BB369_1059 Depth=1
	v_bfrev_b32_e32 v76, 1
	s_mov_b32 s15, exec_lo
	v_cmpx_ne_u16_e32 0x80, v5
	s_cbranch_execz .LBB369_2006
; %bb.2001:                             ;   in Loop: Header=BB369_1059 Depth=1
	v_bfe_u32 v22, v19, 16, 7
	v_mov_b32_e32 v76, 0x7f800001
	s_mov_b32 s18, exec_lo
	v_cmpx_ne_u32_e32 0x7f, v22
	s_cbranch_execz .LBB369_2005
; %bb.2002:                             ;   in Loop: Header=BB369_1059 Depth=1
	v_mov_b32_e32 v5, 7
	s_mov_b32 s20, exec_lo
	v_and_b32_sdwa v10, v19, v5 dst_sel:DWORD dst_unused:UNUSED_PAD src0_sel:WORD_1 src1_sel:DWORD
	v_mov_b32_e32 v24, v11
	v_lshrrev_b32_e32 v5, 3, v22
	v_mov_b32_e32 v23, v10
	v_cmpx_gt_u32_e32 8, v22
; %bb.2003:                             ;   in Loop: Header=BB369_1059 Depth=1
	v_ffbh_u32_e32 v5, v10
	v_min_u32_e32 v5, 32, v5
	v_subrev_nc_u32_e32 v22, 28, v5
	v_sub_nc_u32_e32 v5, 29, v5
	v_lshlrev_b64 v[22:23], v22, v[10:11]
	v_and_b32_e32 v23, 7, v22
; %bb.2004:                             ;   in Loop: Header=BB369_1059 Depth=1
	s_or_b32 exec_lo, exec_lo, s20
	v_mov_b32_e32 v10, 24
	v_lshlrev_b32_e32 v22, 20, v23
	v_lshl_add_u32 v5, v5, 23, 0x3c000000
	v_lshlrev_b32_sdwa v10, v10, v19 dst_sel:DWORD dst_unused:UNUSED_PAD src0_sel:DWORD src1_sel:WORD_1
	v_and_b32_e32 v10, 0x80000000, v10
	v_or3_b32 v76, v22, v10, v5
.LBB369_2005:                           ;   in Loop: Header=BB369_1059 Depth=1
	s_or_b32 exec_lo, exec_lo, s18
.LBB369_2006:                           ;   in Loop: Header=BB369_1059 Depth=1
	s_or_b32 exec_lo, exec_lo, s15
.LBB369_2007:                           ;   in Loop: Header=BB369_1059 Depth=1
	s_or_b32 exec_lo, exec_lo, s13
	s_mov_b32 s13, exec_lo
	v_cmpx_lt_u32_e32 0xffffff, v19
	s_cbranch_execz .LBB369_2015
; %bb.2008:                             ;   in Loop: Header=BB369_1059 Depth=1
	v_cmp_ne_u32_sdwa s5, v19, v68 src0_sel:BYTE_3 src1_sel:DWORD
	v_bfrev_b32_e32 v4, 1
	s_and_saveexec_b32 s15, s5
	s_cbranch_execz .LBB369_2014
; %bb.2009:                             ;   in Loop: Header=BB369_1059 Depth=1
	v_bfe_u32 v5, v19, 24, 7
	v_mov_b32_e32 v4, 0x7f800001
	s_mov_b32 s18, exec_lo
	v_cmpx_ne_u32_e32 0x7f, v5
	s_cbranch_execz .LBB369_2013
; %bb.2010:                             ;   in Loop: Header=BB369_1059 Depth=1
	v_mov_b32_e32 v4, 7
	s_mov_b32 s20, exec_lo
	v_and_b32_sdwa v10, v19, v4 dst_sel:DWORD dst_unused:UNUSED_PAD src0_sel:BYTE_3 src1_sel:DWORD
	v_mov_b32_e32 v24, v11
	v_lshrrev_b32_e32 v4, 3, v5
	v_mov_b32_e32 v23, v10
	v_cmpx_gt_u32_e32 8, v5
; %bb.2011:                             ;   in Loop: Header=BB369_1059 Depth=1
	v_ffbh_u32_e32 v4, v10
	v_min_u32_e32 v4, 32, v4
	v_subrev_nc_u32_e32 v5, 28, v4
	v_sub_nc_u32_e32 v4, 29, v4
	v_lshlrev_b64 v[22:23], v5, v[10:11]
	v_and_b32_e32 v23, 7, v22
; %bb.2012:                             ;   in Loop: Header=BB369_1059 Depth=1
	s_or_b32 exec_lo, exec_lo, s20
	v_mov_b32_e32 v5, 24
	v_lshlrev_b32_e32 v10, 20, v23
	v_lshl_add_u32 v4, v4, 23, 0x3c000000
	v_lshlrev_b32_sdwa v5, v5, v19 dst_sel:DWORD dst_unused:UNUSED_PAD src0_sel:DWORD src1_sel:BYTE_3
	v_and_b32_e32 v5, 0x80000000, v5
	v_or3_b32 v4, v10, v5, v4
.LBB369_2013:                           ;   in Loop: Header=BB369_1059 Depth=1
	s_or_b32 exec_lo, exec_lo, s18
.LBB369_2014:                           ;   in Loop: Header=BB369_1059 Depth=1
	s_or_b32 exec_lo, exec_lo, s15
.LBB369_2015:                           ;   in Loop: Header=BB369_1059 Depth=1
	s_or_b32 exec_lo, exec_lo, s13
	v_mov_b32_e32 v10, v20
	v_cmp_ne_u16_sdwa s5, v20, v11 src0_sel:BYTE_0 src1_sel:DWORD
	v_mov_b32_e32 v35, 0
	v_mov_b32_e32 v34, 0
	s_and_saveexec_b32 s13, s5
	s_cbranch_execz .LBB369_2023
; %bb.2016:                             ;   in Loop: Header=BB369_1059 Depth=1
	v_cmp_ne_u16_sdwa s5, v20, v68 src0_sel:BYTE_0 src1_sel:DWORD
	v_bfrev_b32_e32 v34, 1
	s_and_saveexec_b32 s15, s5
	s_cbranch_execz .LBB369_2022
; %bb.2017:                             ;   in Loop: Header=BB369_1059 Depth=1
	v_and_b32_e32 v22, 0x7f, v20
	v_mov_b32_e32 v34, 0x7f800001
	s_mov_b32 s18, exec_lo
	v_cmpx_ne_u32_e32 0x7f, v22
	s_cbranch_execz .LBB369_2021
; %bb.2018:                             ;   in Loop: Header=BB369_1059 Depth=1
	v_mov_b32_e32 v24, v11
	v_lshrrev_b32_e32 v5, 3, v22
	v_mov_b32_e32 v23, v10
	s_mov_b32 s20, exec_lo
	v_cmpx_gt_u32_e32 8, v22
; %bb.2019:                             ;   in Loop: Header=BB369_1059 Depth=1
	v_and_b32_e32 v5, 7, v20
	v_ffbh_u32_e32 v5, v5
	v_min_u32_e32 v5, 32, v5
	v_subrev_nc_u32_e32 v22, 28, v5
	v_sub_nc_u32_e32 v5, 29, v5
	v_lshlrev_b64 v[23:24], v22, v[10:11]
; %bb.2020:                             ;   in Loop: Header=BB369_1059 Depth=1
	s_or_b32 exec_lo, exec_lo, s20
	v_lshlrev_b32_e32 v22, 20, v23
	v_lshlrev_b32_e32 v23, 24, v10
	v_lshl_add_u32 v5, v5, 23, 0x3c000000
	v_and_b32_e32 v22, 0x700000, v22
	v_and_b32_e32 v23, 0x80000000, v23
	v_or3_b32 v34, v22, v23, v5
.LBB369_2021:                           ;   in Loop: Header=BB369_1059 Depth=1
	s_or_b32 exec_lo, exec_lo, s18
.LBB369_2022:                           ;   in Loop: Header=BB369_1059 Depth=1
	s_or_b32 exec_lo, exec_lo, s15
.LBB369_2023:                           ;   in Loop: Header=BB369_1059 Depth=1
	s_or_b32 exec_lo, exec_lo, s13
	v_cmp_ne_u16_sdwa s5, v10, v11 src0_sel:BYTE_1 src1_sel:DWORD
	s_and_saveexec_b32 s13, s5
	s_cbranch_execz .LBB369_2031
; %bb.2024:                             ;   in Loop: Header=BB369_1059 Depth=1
	v_cmp_ne_u16_sdwa s5, v10, v68 src0_sel:BYTE_1 src1_sel:DWORD
	v_bfrev_b32_e32 v35, 1
	s_and_saveexec_b32 s15, s5
	s_cbranch_execz .LBB369_2030
; %bb.2025:                             ;   in Loop: Header=BB369_1059 Depth=1
	v_mov_b32_e32 v5, 0xffff
	v_mov_b32_e32 v35, 0x7f800001
	s_mov_b32 s18, exec_lo
	v_and_b32_sdwa v5, v5, v10 dst_sel:DWORD dst_unused:UNUSED_PAD src0_sel:DWORD src1_sel:BYTE_1
	v_and_b32_e32 v22, 0x7f, v5
	v_cmpx_ne_u32_e32 0x7f, v22
	s_cbranch_execz .LBB369_2029
; %bb.2026:                             ;   in Loop: Header=BB369_1059 Depth=1
	v_and_b32_e32 v23, 7, v5
	v_mov_b32_e32 v24, v11
	v_lshrrev_b32_e32 v5, 3, v22
	s_mov_b32 s20, exec_lo
	v_cmpx_gt_u32_e32 8, v22
; %bb.2027:                             ;   in Loop: Header=BB369_1059 Depth=1
	v_ffbh_u32_e32 v5, v23
	v_min_u32_e32 v5, 32, v5
	v_subrev_nc_u32_e32 v22, 28, v5
	v_sub_nc_u32_e32 v5, 29, v5
	v_lshlrev_b64 v[22:23], v22, v[23:24]
	v_and_b32_e32 v23, 7, v22
; %bb.2028:                             ;   in Loop: Header=BB369_1059 Depth=1
	s_or_b32 exec_lo, exec_lo, s20
	v_lshlrev_b32_e32 v10, 16, v10
	v_lshlrev_b32_e32 v22, 20, v23
	v_lshl_add_u32 v5, v5, 23, 0x3c000000
	v_and_b32_e32 v10, 0x80000000, v10
	v_or3_b32 v35, v22, v10, v5
.LBB369_2029:                           ;   in Loop: Header=BB369_1059 Depth=1
	s_or_b32 exec_lo, exec_lo, s18
.LBB369_2030:                           ;   in Loop: Header=BB369_1059 Depth=1
	s_or_b32 exec_lo, exec_lo, s15
.LBB369_2031:                           ;   in Loop: Header=BB369_1059 Depth=1
	s_or_b32 exec_lo, exec_lo, s13
	v_and_b32_sdwa v10, v20, v70 dst_sel:DWORD dst_unused:UNUSED_PAD src0_sel:WORD_1 src1_sel:DWORD
	v_mov_b32_e32 v5, 0
	v_mov_b32_e32 v22, 0
	s_mov_b32 s13, exec_lo
	v_cmpx_ne_u16_e32 0, v10
	s_cbranch_execz .LBB369_2039
; %bb.2032:                             ;   in Loop: Header=BB369_1059 Depth=1
	v_bfrev_b32_e32 v22, 1
	s_mov_b32 s15, exec_lo
	v_cmpx_ne_u16_e32 0x80, v10
	s_cbranch_execz .LBB369_2038
; %bb.2033:                             ;   in Loop: Header=BB369_1059 Depth=1
	v_bfe_u32 v23, v20, 16, 7
	v_mov_b32_e32 v22, 0x7f800001
	s_mov_b32 s18, exec_lo
	v_cmpx_ne_u32_e32 0x7f, v23
	s_cbranch_execz .LBB369_2037
; %bb.2034:                             ;   in Loop: Header=BB369_1059 Depth=1
	v_mov_b32_e32 v10, 7
	v_lshrrev_b32_e32 v22, 3, v23
	v_cmp_gt_u32_e64 s5, 8, v23
	v_and_b32_sdwa v10, v20, v10 dst_sel:DWORD dst_unused:UNUSED_PAD src0_sel:WORD_1 src1_sel:DWORD
	v_mov_b32_e32 v24, v11
	v_mov_b32_e32 v23, v10
	s_and_saveexec_b32 s20, s5
; %bb.2035:                             ;   in Loop: Header=BB369_1059 Depth=1
	v_ffbh_u32_e32 v22, v10
	v_min_u32_e32 v22, 32, v22
	v_subrev_nc_u32_e32 v23, 28, v22
	v_sub_nc_u32_e32 v22, 29, v22
	v_lshlrev_b64 v[23:24], v23, v[10:11]
	v_and_b32_e32 v23, 7, v23
; %bb.2036:                             ;   in Loop: Header=BB369_1059 Depth=1
	s_or_b32 exec_lo, exec_lo, s20
	v_mov_b32_e32 v10, 24
	v_lshlrev_b32_e32 v23, 20, v23
	v_lshl_add_u32 v22, v22, 23, 0x3c000000
	v_lshlrev_b32_sdwa v10, v10, v20 dst_sel:DWORD dst_unused:UNUSED_PAD src0_sel:DWORD src1_sel:WORD_1
	v_and_b32_e32 v10, 0x80000000, v10
	v_or3_b32 v22, v23, v10, v22
.LBB369_2037:                           ;   in Loop: Header=BB369_1059 Depth=1
	s_or_b32 exec_lo, exec_lo, s18
.LBB369_2038:                           ;   in Loop: Header=BB369_1059 Depth=1
	s_or_b32 exec_lo, exec_lo, s15
.LBB369_2039:                           ;   in Loop: Header=BB369_1059 Depth=1
	s_or_b32 exec_lo, exec_lo, s13
	s_mov_b32 s13, exec_lo
	v_cmpx_lt_u64_e64 s[8:9], v[19:20]
	s_cbranch_execz .LBB369_2047
; %bb.2040:                             ;   in Loop: Header=BB369_1059 Depth=1
	v_cmp_ne_u32_sdwa s5, v20, v68 src0_sel:BYTE_3 src1_sel:DWORD
	v_bfrev_b32_e32 v5, 1
	s_and_saveexec_b32 s15, s5
	s_cbranch_execz .LBB369_2046
; %bb.2041:                             ;   in Loop: Header=BB369_1059 Depth=1
	v_bfe_u32 v19, v20, 24, 7
	v_mov_b32_e32 v5, 0x7f800001
	s_mov_b32 s18, exec_lo
	v_cmpx_ne_u32_e32 0x7f, v19
	s_cbranch_execz .LBB369_2045
; %bb.2042:                             ;   in Loop: Header=BB369_1059 Depth=1
	v_mov_b32_e32 v5, 7
	s_mov_b32 s20, exec_lo
	v_and_b32_sdwa v10, v20, v5 dst_sel:DWORD dst_unused:UNUSED_PAD src0_sel:BYTE_3 src1_sel:DWORD
	v_mov_b32_e32 v24, v11
	v_lshrrev_b32_e32 v5, 3, v19
	v_mov_b32_e32 v23, v10
	v_cmpx_gt_u32_e32 8, v19
; %bb.2043:                             ;   in Loop: Header=BB369_1059 Depth=1
	v_ffbh_u32_e32 v5, v10
	v_min_u32_e32 v5, 32, v5
	v_subrev_nc_u32_e32 v19, 28, v5
	v_sub_nc_u32_e32 v5, 29, v5
	v_lshlrev_b64 v[23:24], v19, v[10:11]
	v_and_b32_e32 v23, 7, v23
; %bb.2044:                             ;   in Loop: Header=BB369_1059 Depth=1
	s_or_b32 exec_lo, exec_lo, s20
	v_mov_b32_e32 v10, 24
	v_lshlrev_b32_e32 v19, 20, v23
	v_lshl_add_u32 v5, v5, 23, 0x3c000000
	v_lshlrev_b32_sdwa v10, v10, v20 dst_sel:DWORD dst_unused:UNUSED_PAD src0_sel:DWORD src1_sel:BYTE_3
	v_and_b32_e32 v10, 0x80000000, v10
	v_or3_b32 v5, v19, v10, v5
.LBB369_2045:                           ;   in Loop: Header=BB369_1059 Depth=1
	s_or_b32 exec_lo, exec_lo, s18
.LBB369_2046:                           ;   in Loop: Header=BB369_1059 Depth=1
	s_or_b32 exec_lo, exec_lo, s15
.LBB369_2047:                           ;   in Loop: Header=BB369_1059 Depth=1
	s_or_b32 exec_lo, exec_lo, s13
	v_mul_f32_e32 v10, v26, v35
	v_mul_f32_e32 v4, v26, v4
	v_bfe_u32 v19, v10, 16, 1
	v_or_b32_e32 v20, 0x400000, v10
	v_cmp_u_f32_e64 s5, v10, v10
	v_add3_u32 v19, v19, v10, 0x7fff
	v_cndmask_b32_e64 v10, v19, v20, s5
	v_lshrrev_b32_e32 v73, 16, v10
	v_mul_f32_e32 v10, v26, v34
	v_bfe_u32 v19, v10, 16, 1
	v_or_b32_e32 v20, 0x400000, v10
	v_cmp_u_f32_e64 s5, v10, v10
	v_add3_u32 v19, v19, v10, 0x7fff
	v_cndmask_b32_e64 v10, v19, v20, s5
	v_or_b32_e32 v19, 0x400000, v4
	v_cmp_u_f32_e64 s5, v4, v4
	v_lshrrev_b32_e32 v74, 16, v10
	v_bfe_u32 v10, v4, 16, 1
	v_add3_u32 v10, v10, v4, 0x7fff
	v_cndmask_b32_e64 v4, v10, v19, s5
	v_lshrrev_b32_e32 v75, 16, v4
	v_mul_f32_e32 v4, v26, v76
	v_bfe_u32 v10, v4, 16, 1
	v_or_b32_e32 v19, 0x400000, v4
	v_cmp_u_f32_e64 s5, v4, v4
	v_add3_u32 v10, v10, v4, 0x7fff
	v_cndmask_b32_e64 v4, v10, v19, s5
	v_lshrrev_b32_e32 v76, 16, v4
	v_mul_f32_e32 v4, v26, v116
	v_bfe_u32 v10, v4, 16, 1
	v_or_b32_e32 v19, 0x400000, v4
	v_cmp_u_f32_e64 s5, v4, v4
	;; [unrolled: 7-line block ×5, first 2 shown]
	v_add3_u32 v5, v5, v4, 0x7fff
	v_cndmask_b32_e64 v4, v5, v10, s5
	v_lshrrev_b32_e32 v79, 16, v4
	s_and_saveexec_b32 s13, vcc_lo
	s_cbranch_execz .LBB369_2049
; %bb.2048:                             ;   in Loop: Header=BB369_1059 Depth=1
	buffer_load_dword v4, off, s[0:3], s32 offset:196 ; 4-byte Folded Reload
	s_waitcnt vmcnt(0)
	v_cmp_lt_i32_e64 s5, v57, v4
	v_cndmask_b32_e64 v78, 0, v78, s5
	v_cmp_lt_i32_e64 s5, v63, v4
	v_cndmask_b32_e64 v77, 0, v77, s5
	;; [unrolled: 2-line block ×8, first 2 shown]
.LBB369_2049:                           ;   in Loop: Header=BB369_1059 Depth=1
	s_or_b32 exec_lo, exec_lo, s13
	flat_load_dwordx2 v[17:18], v[17:18] offset:1792
	v_mov_b32_e32 v24, 0
	v_mov_b32_e32 v23, 0
	s_waitcnt vmcnt(0) lgkmcnt(0)
	v_cmp_ne_u16_sdwa s5, v17, v11 src0_sel:BYTE_0 src1_sel:DWORD
	s_and_saveexec_b32 s13, s5
	s_cbranch_execz .LBB369_2057
; %bb.2050:                             ;   in Loop: Header=BB369_1059 Depth=1
	v_cmp_ne_u16_sdwa s5, v17, v68 src0_sel:BYTE_0 src1_sel:DWORD
	v_bfrev_b32_e32 v23, 1
	s_and_saveexec_b32 s15, s5
	s_cbranch_execz .LBB369_2056
; %bb.2051:                             ;   in Loop: Header=BB369_1059 Depth=1
	v_and_b32_e32 v5, 0x7f, v17
	v_mov_b32_e32 v23, 0x7f800001
	s_mov_b32 s18, exec_lo
	v_cmpx_ne_u32_e32 0x7f, v5
	s_cbranch_execz .LBB369_2055
; %bb.2052:                             ;   in Loop: Header=BB369_1059 Depth=1
	v_mov_b32_e32 v20, v18
	v_lshrrev_b32_e32 v4, 3, v5
	v_mov_b32_e32 v19, v17
	s_mov_b32 s20, exec_lo
	v_cmpx_gt_u32_e32 8, v5
; %bb.2053:                             ;   in Loop: Header=BB369_1059 Depth=1
	v_and_b32_e32 v4, 7, v17
	v_ffbh_u32_e32 v4, v4
	v_min_u32_e32 v4, 32, v4
	v_subrev_nc_u32_e32 v5, 28, v4
	v_sub_nc_u32_e32 v4, 29, v4
	v_lshlrev_b64 v[19:20], v5, v[17:18]
; %bb.2054:                             ;   in Loop: Header=BB369_1059 Depth=1
	s_or_b32 exec_lo, exec_lo, s20
	v_lshlrev_b32_e32 v5, 20, v19
	v_lshlrev_b32_e32 v10, 24, v17
	v_lshl_add_u32 v4, v4, 23, 0x3c000000
	v_and_b32_e32 v5, 0x700000, v5
	v_and_b32_e32 v10, 0x80000000, v10
	v_or3_b32 v23, v5, v10, v4
.LBB369_2055:                           ;   in Loop: Header=BB369_1059 Depth=1
	s_or_b32 exec_lo, exec_lo, s18
.LBB369_2056:                           ;   in Loop: Header=BB369_1059 Depth=1
	s_or_b32 exec_lo, exec_lo, s15
.LBB369_2057:                           ;   in Loop: Header=BB369_1059 Depth=1
	s_or_b32 exec_lo, exec_lo, s13
	v_cmp_ne_u16_sdwa s5, v17, v11 src0_sel:BYTE_1 src1_sel:DWORD
	s_and_saveexec_b32 s13, s5
	s_cbranch_execz .LBB369_2065
; %bb.2058:                             ;   in Loop: Header=BB369_1059 Depth=1
	v_cmp_ne_u16_sdwa s5, v17, v68 src0_sel:BYTE_1 src1_sel:DWORD
	v_bfrev_b32_e32 v24, 1
	s_and_saveexec_b32 s15, s5
	s_cbranch_execz .LBB369_2064
; %bb.2059:                             ;   in Loop: Header=BB369_1059 Depth=1
	v_mov_b32_e32 v4, 0xffff
	v_mov_b32_e32 v24, 0x7f800001
	s_mov_b32 s18, exec_lo
	v_and_b32_sdwa v4, v4, v17 dst_sel:DWORD dst_unused:UNUSED_PAD src0_sel:DWORD src1_sel:BYTE_1
	v_and_b32_e32 v5, 0x7f, v4
	v_cmpx_ne_u32_e32 0x7f, v5
	s_cbranch_execz .LBB369_2063
; %bb.2060:                             ;   in Loop: Header=BB369_1059 Depth=1
	v_and_b32_e32 v10, 7, v4
	v_mov_b32_e32 v20, v11
	v_lshrrev_b32_e32 v4, 3, v5
	s_mov_b32 s20, exec_lo
	v_mov_b32_e32 v19, v10
	v_cmpx_gt_u32_e32 8, v5
; %bb.2061:                             ;   in Loop: Header=BB369_1059 Depth=1
	v_ffbh_u32_e32 v4, v10
	v_min_u32_e32 v4, 32, v4
	v_subrev_nc_u32_e32 v5, 28, v4
	v_sub_nc_u32_e32 v4, 29, v4
	v_lshlrev_b64 v[19:20], v5, v[10:11]
	v_and_b32_e32 v19, 7, v19
; %bb.2062:                             ;   in Loop: Header=BB369_1059 Depth=1
	s_or_b32 exec_lo, exec_lo, s20
	v_lshlrev_b32_e32 v5, 16, v17
	v_lshlrev_b32_e32 v10, 20, v19
	v_lshl_add_u32 v4, v4, 23, 0x3c000000
	v_and_b32_e32 v5, 0x80000000, v5
	v_or3_b32 v24, v10, v5, v4
.LBB369_2063:                           ;   in Loop: Header=BB369_1059 Depth=1
	s_or_b32 exec_lo, exec_lo, s18
.LBB369_2064:                           ;   in Loop: Header=BB369_1059 Depth=1
	s_or_b32 exec_lo, exec_lo, s15
.LBB369_2065:                           ;   in Loop: Header=BB369_1059 Depth=1
	s_or_b32 exec_lo, exec_lo, s13
	v_and_b32_sdwa v5, v17, v70 dst_sel:DWORD dst_unused:UNUSED_PAD src0_sel:WORD_1 src1_sel:DWORD
	v_mov_b32_e32 v4, 0
	v_mov_b32_e32 v116, 0
	s_mov_b32 s13, exec_lo
	v_cmpx_ne_u16_e32 0, v5
	s_cbranch_execz .LBB369_2073
; %bb.2066:                             ;   in Loop: Header=BB369_1059 Depth=1
	v_bfrev_b32_e32 v116, 1
	s_mov_b32 s15, exec_lo
	v_cmpx_ne_u16_e32 0x80, v5
	s_cbranch_execz .LBB369_2072
; %bb.2067:                             ;   in Loop: Header=BB369_1059 Depth=1
	v_bfe_u32 v22, v17, 16, 7
	v_mov_b32_e32 v116, 0x7f800001
	s_mov_b32 s18, exec_lo
	v_cmpx_ne_u32_e32 0x7f, v22
	s_cbranch_execz .LBB369_2071
; %bb.2068:                             ;   in Loop: Header=BB369_1059 Depth=1
	v_mov_b32_e32 v5, 7
	s_mov_b32 s20, exec_lo
	v_and_b32_sdwa v10, v17, v5 dst_sel:DWORD dst_unused:UNUSED_PAD src0_sel:WORD_1 src1_sel:DWORD
	v_mov_b32_e32 v20, v11
	v_lshrrev_b32_e32 v5, 3, v22
	v_mov_b32_e32 v19, v10
	v_cmpx_gt_u32_e32 8, v22
; %bb.2069:                             ;   in Loop: Header=BB369_1059 Depth=1
	v_ffbh_u32_e32 v5, v10
	v_min_u32_e32 v5, 32, v5
	v_subrev_nc_u32_e32 v19, 28, v5
	v_sub_nc_u32_e32 v5, 29, v5
	v_lshlrev_b64 v[19:20], v19, v[10:11]
	v_and_b32_e32 v19, 7, v19
; %bb.2070:                             ;   in Loop: Header=BB369_1059 Depth=1
	s_or_b32 exec_lo, exec_lo, s20
	v_mov_b32_e32 v10, 24
	v_lshlrev_b32_e32 v19, 20, v19
	v_lshl_add_u32 v5, v5, 23, 0x3c000000
	v_lshlrev_b32_sdwa v10, v10, v17 dst_sel:DWORD dst_unused:UNUSED_PAD src0_sel:DWORD src1_sel:WORD_1
	v_and_b32_e32 v10, 0x80000000, v10
	v_or3_b32 v116, v19, v10, v5
.LBB369_2071:                           ;   in Loop: Header=BB369_1059 Depth=1
	s_or_b32 exec_lo, exec_lo, s18
.LBB369_2072:                           ;   in Loop: Header=BB369_1059 Depth=1
	s_or_b32 exec_lo, exec_lo, s15
.LBB369_2073:                           ;   in Loop: Header=BB369_1059 Depth=1
	s_or_b32 exec_lo, exec_lo, s13
	s_mov_b32 s13, exec_lo
	v_cmpx_lt_u32_e32 0xffffff, v17
	s_cbranch_execz .LBB369_2081
; %bb.2074:                             ;   in Loop: Header=BB369_1059 Depth=1
	v_cmp_ne_u32_sdwa s5, v17, v68 src0_sel:BYTE_3 src1_sel:DWORD
	v_bfrev_b32_e32 v4, 1
	s_and_saveexec_b32 s15, s5
	s_cbranch_execz .LBB369_2080
; %bb.2075:                             ;   in Loop: Header=BB369_1059 Depth=1
	v_bfe_u32 v5, v17, 24, 7
	v_mov_b32_e32 v4, 0x7f800001
	s_mov_b32 s18, exec_lo
	v_cmpx_ne_u32_e32 0x7f, v5
	s_cbranch_execz .LBB369_2079
; %bb.2076:                             ;   in Loop: Header=BB369_1059 Depth=1
	v_mov_b32_e32 v4, 7
	s_mov_b32 s20, exec_lo
	v_and_b32_sdwa v10, v17, v4 dst_sel:DWORD dst_unused:UNUSED_PAD src0_sel:BYTE_3 src1_sel:DWORD
	v_mov_b32_e32 v20, v11
	v_lshrrev_b32_e32 v4, 3, v5
	v_mov_b32_e32 v19, v10
	v_cmpx_gt_u32_e32 8, v5
; %bb.2077:                             ;   in Loop: Header=BB369_1059 Depth=1
	v_ffbh_u32_e32 v4, v10
	v_min_u32_e32 v4, 32, v4
	v_subrev_nc_u32_e32 v5, 28, v4
	v_sub_nc_u32_e32 v4, 29, v4
	v_lshlrev_b64 v[19:20], v5, v[10:11]
	v_and_b32_e32 v19, 7, v19
; %bb.2078:                             ;   in Loop: Header=BB369_1059 Depth=1
	s_or_b32 exec_lo, exec_lo, s20
	v_mov_b32_e32 v5, 24
	v_lshlrev_b32_e32 v10, 20, v19
	v_lshl_add_u32 v4, v4, 23, 0x3c000000
	v_lshlrev_b32_sdwa v5, v5, v17 dst_sel:DWORD dst_unused:UNUSED_PAD src0_sel:DWORD src1_sel:BYTE_3
	v_and_b32_e32 v5, 0x80000000, v5
	v_or3_b32 v4, v10, v5, v4
.LBB369_2079:                           ;   in Loop: Header=BB369_1059 Depth=1
	s_or_b32 exec_lo, exec_lo, s18
.LBB369_2080:                           ;   in Loop: Header=BB369_1059 Depth=1
	s_or_b32 exec_lo, exec_lo, s15
.LBB369_2081:                           ;   in Loop: Header=BB369_1059 Depth=1
	s_or_b32 exec_lo, exec_lo, s13
	v_mov_b32_e32 v10, v18
	v_cmp_ne_u16_sdwa s5, v18, v11 src0_sel:BYTE_0 src1_sel:DWORD
	v_mov_b32_e32 v35, 0
	v_mov_b32_e32 v34, 0
	s_and_saveexec_b32 s13, s5
	s_cbranch_execz .LBB369_2089
; %bb.2082:                             ;   in Loop: Header=BB369_1059 Depth=1
	v_cmp_ne_u16_sdwa s5, v18, v68 src0_sel:BYTE_0 src1_sel:DWORD
	v_bfrev_b32_e32 v34, 1
	s_and_saveexec_b32 s15, s5
	s_cbranch_execz .LBB369_2088
; %bb.2083:                             ;   in Loop: Header=BB369_1059 Depth=1
	v_and_b32_e32 v22, 0x7f, v18
	v_mov_b32_e32 v34, 0x7f800001
	s_mov_b32 s18, exec_lo
	v_cmpx_ne_u32_e32 0x7f, v22
	s_cbranch_execz .LBB369_2087
; %bb.2084:                             ;   in Loop: Header=BB369_1059 Depth=1
	v_mov_b32_e32 v20, v11
	v_mov_b32_e32 v19, v10
	v_lshrrev_b32_e32 v5, 3, v22
	s_mov_b32 s20, exec_lo
	v_cmpx_gt_u32_e32 8, v22
; %bb.2085:                             ;   in Loop: Header=BB369_1059 Depth=1
	v_and_b32_e32 v5, 7, v18
	v_ffbh_u32_e32 v5, v5
	v_min_u32_e32 v5, 32, v5
	v_subrev_nc_u32_e32 v19, 28, v5
	v_sub_nc_u32_e32 v5, 29, v5
	v_lshlrev_b64 v[19:20], v19, v[10:11]
; %bb.2086:                             ;   in Loop: Header=BB369_1059 Depth=1
	s_or_b32 exec_lo, exec_lo, s20
	v_lshlrev_b32_e32 v19, 20, v19
	v_lshlrev_b32_e32 v20, 24, v10
	v_lshl_add_u32 v5, v5, 23, 0x3c000000
	v_and_b32_e32 v19, 0x700000, v19
	v_and_b32_e32 v20, 0x80000000, v20
	v_or3_b32 v34, v19, v20, v5
.LBB369_2087:                           ;   in Loop: Header=BB369_1059 Depth=1
	s_or_b32 exec_lo, exec_lo, s18
.LBB369_2088:                           ;   in Loop: Header=BB369_1059 Depth=1
	s_or_b32 exec_lo, exec_lo, s15
.LBB369_2089:                           ;   in Loop: Header=BB369_1059 Depth=1
	s_or_b32 exec_lo, exec_lo, s13
	v_cmp_ne_u16_sdwa s5, v10, v11 src0_sel:BYTE_1 src1_sel:DWORD
	s_and_saveexec_b32 s13, s5
	s_cbranch_execz .LBB369_2097
; %bb.2090:                             ;   in Loop: Header=BB369_1059 Depth=1
	v_cmp_ne_u16_sdwa s5, v10, v68 src0_sel:BYTE_1 src1_sel:DWORD
	v_bfrev_b32_e32 v35, 1
	s_and_saveexec_b32 s15, s5
	s_cbranch_execz .LBB369_2096
; %bb.2091:                             ;   in Loop: Header=BB369_1059 Depth=1
	v_mov_b32_e32 v5, 0xffff
	v_mov_b32_e32 v35, 0x7f800001
	s_mov_b32 s18, exec_lo
	v_and_b32_sdwa v5, v5, v10 dst_sel:DWORD dst_unused:UNUSED_PAD src0_sel:DWORD src1_sel:BYTE_1
	v_and_b32_e32 v22, 0x7f, v5
	v_cmpx_ne_u32_e32 0x7f, v22
	s_cbranch_execz .LBB369_2095
; %bb.2092:                             ;   in Loop: Header=BB369_1059 Depth=1
	v_and_b32_e32 v19, 7, v5
	v_mov_b32_e32 v20, v11
	v_lshrrev_b32_e32 v5, 3, v22
	s_mov_b32 s20, exec_lo
	v_cmpx_gt_u32_e32 8, v22
; %bb.2093:                             ;   in Loop: Header=BB369_1059 Depth=1
	v_ffbh_u32_e32 v5, v19
	v_min_u32_e32 v5, 32, v5
	v_subrev_nc_u32_e32 v22, 28, v5
	v_sub_nc_u32_e32 v5, 29, v5
	v_lshlrev_b64 v[19:20], v22, v[19:20]
	v_and_b32_e32 v19, 7, v19
; %bb.2094:                             ;   in Loop: Header=BB369_1059 Depth=1
	s_or_b32 exec_lo, exec_lo, s20
	v_lshlrev_b32_e32 v10, 16, v10
	v_lshlrev_b32_e32 v19, 20, v19
	v_lshl_add_u32 v5, v5, 23, 0x3c000000
	v_and_b32_e32 v10, 0x80000000, v10
	v_or3_b32 v35, v19, v10, v5
.LBB369_2095:                           ;   in Loop: Header=BB369_1059 Depth=1
	s_or_b32 exec_lo, exec_lo, s18
.LBB369_2096:                           ;   in Loop: Header=BB369_1059 Depth=1
	s_or_b32 exec_lo, exec_lo, s15
.LBB369_2097:                           ;   in Loop: Header=BB369_1059 Depth=1
	s_or_b32 exec_lo, exec_lo, s13
	v_and_b32_sdwa v10, v18, v70 dst_sel:DWORD dst_unused:UNUSED_PAD src0_sel:WORD_1 src1_sel:DWORD
	v_mov_b32_e32 v5, 0
	v_mov_b32_e32 v22, 0
	s_mov_b32 s13, exec_lo
	v_cmpx_ne_u16_e32 0, v10
	s_cbranch_execz .LBB369_2105
; %bb.2098:                             ;   in Loop: Header=BB369_1059 Depth=1
	v_bfrev_b32_e32 v22, 1
	s_mov_b32 s15, exec_lo
	v_cmpx_ne_u16_e32 0x80, v10
	s_cbranch_execz .LBB369_2104
; %bb.2099:                             ;   in Loop: Header=BB369_1059 Depth=1
	v_bfe_u32 v36, v18, 16, 7
	v_mov_b32_e32 v22, 0x7f800001
	s_mov_b32 s18, exec_lo
	v_cmpx_ne_u32_e32 0x7f, v36
	s_cbranch_execz .LBB369_2103
; %bb.2100:                             ;   in Loop: Header=BB369_1059 Depth=1
	v_mov_b32_e32 v10, 7
	s_mov_b32 s20, exec_lo
	v_and_b32_sdwa v10, v18, v10 dst_sel:DWORD dst_unused:UNUSED_PAD src0_sel:WORD_1 src1_sel:DWORD
	v_mov_b32_e32 v20, v11
	v_lshrrev_b32_e32 v20, 3, v36
	v_mov_b32_e32 v19, v10
	v_cmpx_gt_u32_e32 8, v36
; %bb.2101:                             ;   in Loop: Header=BB369_1059 Depth=1
	v_ffbh_u32_e32 v19, v10
	v_min_u32_e32 v22, 32, v19
	v_subrev_nc_u32_e32 v19, 28, v22
	v_lshlrev_b64 v[19:20], v19, v[10:11]
	v_sub_nc_u32_e32 v20, 29, v22
	v_and_b32_e32 v19, 7, v19
; %bb.2102:                             ;   in Loop: Header=BB369_1059 Depth=1
	s_or_b32 exec_lo, exec_lo, s20
	v_mov_b32_e32 v10, 24
	v_lshlrev_b32_e32 v19, 20, v19
	v_lshl_add_u32 v20, v20, 23, 0x3c000000
	v_lshlrev_b32_sdwa v10, v10, v18 dst_sel:DWORD dst_unused:UNUSED_PAD src0_sel:DWORD src1_sel:WORD_1
	v_and_b32_e32 v10, 0x80000000, v10
	v_or3_b32 v22, v19, v10, v20
.LBB369_2103:                           ;   in Loop: Header=BB369_1059 Depth=1
	s_or_b32 exec_lo, exec_lo, s18
.LBB369_2104:                           ;   in Loop: Header=BB369_1059 Depth=1
	s_or_b32 exec_lo, exec_lo, s15
.LBB369_2105:                           ;   in Loop: Header=BB369_1059 Depth=1
	s_or_b32 exec_lo, exec_lo, s13
	s_mov_b32 s13, exec_lo
	v_cmpx_lt_u64_e64 s[8:9], v[17:18]
	s_cbranch_execz .LBB369_2113
; %bb.2106:                             ;   in Loop: Header=BB369_1059 Depth=1
	v_cmp_ne_u32_sdwa s5, v18, v68 src0_sel:BYTE_3 src1_sel:DWORD
	v_bfrev_b32_e32 v5, 1
	s_and_saveexec_b32 s15, s5
	s_cbranch_execz .LBB369_2112
; %bb.2107:                             ;   in Loop: Header=BB369_1059 Depth=1
	v_bfe_u32 v17, v18, 24, 7
	v_mov_b32_e32 v5, 0x7f800001
	s_mov_b32 s18, exec_lo
	v_cmpx_ne_u32_e32 0x7f, v17
	s_cbranch_execz .LBB369_2111
; %bb.2108:                             ;   in Loop: Header=BB369_1059 Depth=1
	v_mov_b32_e32 v5, 7
	s_mov_b32 s20, exec_lo
	v_and_b32_sdwa v10, v18, v5 dst_sel:DWORD dst_unused:UNUSED_PAD src0_sel:BYTE_3 src1_sel:DWORD
	v_mov_b32_e32 v20, v11
	v_lshrrev_b32_e32 v5, 3, v17
	v_mov_b32_e32 v19, v10
	v_cmpx_gt_u32_e32 8, v17
; %bb.2109:                             ;   in Loop: Header=BB369_1059 Depth=1
	v_ffbh_u32_e32 v5, v10
	v_min_u32_e32 v5, 32, v5
	v_subrev_nc_u32_e32 v17, 28, v5
	v_sub_nc_u32_e32 v5, 29, v5
	v_lshlrev_b64 v[19:20], v17, v[10:11]
	v_and_b32_e32 v19, 7, v19
; %bb.2110:                             ;   in Loop: Header=BB369_1059 Depth=1
	s_or_b32 exec_lo, exec_lo, s20
	v_mov_b32_e32 v10, 24
	v_lshlrev_b32_e32 v17, 20, v19
	v_lshl_add_u32 v5, v5, 23, 0x3c000000
	v_lshlrev_b32_sdwa v10, v10, v18 dst_sel:DWORD dst_unused:UNUSED_PAD src0_sel:DWORD src1_sel:BYTE_3
	v_and_b32_e32 v10, 0x80000000, v10
	v_or3_b32 v5, v17, v10, v5
.LBB369_2111:                           ;   in Loop: Header=BB369_1059 Depth=1
	s_or_b32 exec_lo, exec_lo, s18
.LBB369_2112:                           ;   in Loop: Header=BB369_1059 Depth=1
	s_or_b32 exec_lo, exec_lo, s15
.LBB369_2113:                           ;   in Loop: Header=BB369_1059 Depth=1
	s_or_b32 exec_lo, exec_lo, s13
	v_mul_f32_e32 v10, v26, v35
	v_mul_f32_e32 v4, v26, v4
	v_mov_b32_e32 v38, v37
	v_bfe_u32 v17, v10, 16, 1
	v_or_b32_e32 v18, 0x400000, v10
	v_cmp_u_f32_e64 s5, v10, v10
	v_add3_u32 v17, v17, v10, 0x7fff
	v_cndmask_b32_e64 v10, v17, v18, s5
	v_mul_f32_e32 v17, v26, v34
	v_lshrrev_b32_e32 v10, 16, v10
	v_bfe_u32 v18, v17, 16, 1
	v_or_b32_e32 v19, 0x400000, v17
	v_cmp_u_f32_e64 s5, v17, v17
	v_add3_u32 v18, v18, v17, 0x7fff
	v_cndmask_b32_e64 v17, v18, v19, s5
	v_bfe_u32 v18, v4, 16, 1
	v_or_b32_e32 v19, 0x400000, v4
	v_cmp_u_f32_e64 s5, v4, v4
	v_lshrrev_b32_e32 v17, 16, v17
	v_add3_u32 v18, v18, v4, 0x7fff
	v_cndmask_b32_e64 v4, v18, v19, s5
	v_lshrrev_b32_e32 v18, 16, v4
	v_mul_f32_e32 v4, v26, v116
	v_bfe_u32 v19, v4, 16, 1
	v_or_b32_e32 v20, 0x400000, v4
	v_cmp_u_f32_e64 s5, v4, v4
	v_add3_u32 v19, v19, v4, 0x7fff
	v_cndmask_b32_e64 v4, v19, v20, s5
	v_lshrrev_b32_e32 v20, 16, v4
	v_mul_f32_e32 v4, v26, v24
	v_bfe_u32 v19, v4, 16, 1
	v_or_b32_e32 v24, 0x400000, v4
	v_cmp_u_f32_e64 s5, v4, v4
	;; [unrolled: 7-line block ×5, first 2 shown]
	v_add3_u32 v5, v5, v4, 0x7fff
	v_cndmask_b32_e64 v4, v5, v22, s5
	v_lshrrev_b32_e32 v23, 16, v4
	s_and_saveexec_b32 s5, vcc_lo
	s_cbranch_execz .LBB369_1058
; %bb.2114:                             ;   in Loop: Header=BB369_1059 Depth=1
	buffer_load_dword v4, off, s[0:3], s32 offset:196 ; 4-byte Folded Reload
	s_waitcnt vmcnt(0)
	v_cmp_lt_i32_e32 vcc_lo, v57, v4
	v_cndmask_b32_e32 v116, 0, v116, vcc_lo
	v_cmp_lt_i32_e32 vcc_lo, v63, v4
	v_cndmask_b32_e32 v24, 0, v24, vcc_lo
	;; [unrolled: 2-line block ×8, first 2 shown]
	s_branch .LBB369_1058
.LBB369_2115:
	s_or_b32 exec_lo, exec_lo, s12
	s_clause 0x1
	buffer_load_dword v12, off, s[0:3], s32 offset:416
	buffer_load_dword v13, off, s[0:3], s32 offset:420
	v_mov_b32_e32 v0, s16
	v_mov_b32_e32 v1, s17
.LBB369_2116:
	s_or_b32 exec_lo, exec_lo, s7
	s_waitcnt vmcnt(0) lgkmcnt(0)
	s_waitcnt_vscnt null, 0x0
	s_barrier
	buffer_gl0_inv
	buffer_load_dword v8, off, s[0:3], s32 offset:868 ; 4-byte Folded Reload
	v_lshlrev_b64 v[0:1], 2, v[0:1]
	s_getpc_b64 s[8:9]
	s_add_u32 s8, s8, llvm.amdgcn.dynlds.offset.table@rel32@lo+4
	s_addc_u32 s9, s9, llvm.amdgcn.dynlds.offset.table@rel32@hi+12
	ds_bpermute_b32 v2, v13, v64
	ds_bpermute_b32 v3, v13, v54
	ds_bpermute_b32 v4, v13, v53
	ds_bpermute_b32 v5, v13, v52
	v_add_co_u32 v0, vcc_lo, s8, v0
	v_add_co_ci_u32_e64 v1, null, s9, v1, vcc_lo
	ds_bpermute_b32 v6, v13, v51
	ds_bpermute_b32 v7, v13, v50
	;; [unrolled: 1-line block ×3, first 2 shown]
	global_load_dword v16, v[0:1], off
	ds_bpermute_b32 v0, v13, v55
	ds_bpermute_b32 v1, v13, v65
	;; [unrolled: 1-line block ×9, first 2 shown]
	v_lshrrev_b32_e32 v18, 1, v12
	s_waitcnt lgkmcnt(15)
	v_add_f32_e32 v13, v64, v2
	s_waitcnt lgkmcnt(14)
	v_add_f32_e32 v12, v54, v3
	;; [unrolled: 2-line block ×4, first 2 shown]
	s_mov_b32 s5, exec_lo
	s_waitcnt lgkmcnt(11)
	v_add_f32_e32 v9, v51, v6
	s_waitcnt lgkmcnt(8)
	v_add_f32_e32 v15, v55, v0
	;; [unrolled: 2-line block ×10, first 2 shown]
	s_waitcnt vmcnt(1)
	v_lshlrev_b32_e32 v19, 10, v8
	buffer_load_dword v8, off, s[0:3], s32 offset:852 ; 4-byte Folded Reload
	s_waitcnt vmcnt(0)
	v_and_b32_e32 v27, 0x3c1, v8
	v_add_f32_e32 v8, v50, v7
	v_add_f32_e32 v7, v49, v17
	v_lshl_add_u32 v17, v18, 2, v16
	v_cmpx_eq_u32_e32 64, v27
	s_cbranch_execz .LBB369_2118
; %bb.2117:
	v_add_nc_u32_e32 v20, v17, v19
	v_add_nc_u32_e32 v21, 0xfffff800, v20
	;; [unrolled: 1-line block ×7, first 2 shown]
	ds_write_b32 v21, v15
	ds_write_b32 v22, v14
	;; [unrolled: 1-line block ×6, first 2 shown]
	v_add_nc_u32_e32 v21, 0xfffff980, v20
	v_add_nc_u32_e32 v22, 0xfffff9c0, v20
	;; [unrolled: 1-line block ×5, first 2 shown]
	ds_write_b32 v21, v9
	ds_write_b32 v22, v8
	;; [unrolled: 1-line block ×5, first 2 shown]
	v_add_nc_u32_e32 v21, 0xfffffac0, v20
	v_add_nc_u32_e32 v22, 0xfffffb00, v20
	;; [unrolled: 1-line block ×5, first 2 shown]
	ds_write_b32 v21, v4
	ds_write_b32 v22, v3
	;; [unrolled: 1-line block ×5, first 2 shown]
.LBB369_2118:
	s_or_b32 exec_lo, exec_lo, s5
	buffer_load_dword v20, off, s[0:3], s32 offset:872 ; 4-byte Folded Reload
	v_lshlrev_b32_e32 v18, 2, v18
	s_waitcnt vmcnt(0) lgkmcnt(0)
	s_barrier
	buffer_gl0_inv
	v_add3_u32 v16, v16, v19, v18
	v_cmp_eq_u32_e32 vcc_lo, 0, v20
	s_and_saveexec_b32 s5, s4
	s_cbranch_execz .LBB369_2137
; %bb.2119:
	s_and_saveexec_b32 s4, vcc_lo
	s_cbranch_execnz .LBB369_2161
; %bb.2120:
	s_or_b32 exec_lo, exec_lo, s4
	s_and_saveexec_b32 s4, vcc_lo
	s_cbranch_execnz .LBB369_2162
.LBB369_2121:
	s_or_b32 exec_lo, exec_lo, s4
	s_and_saveexec_b32 s4, vcc_lo
	s_cbranch_execnz .LBB369_2163
.LBB369_2122:
	s_or_b32 exec_lo, exec_lo, s4
	s_and_saveexec_b32 s4, vcc_lo
	s_cbranch_execnz .LBB369_2164
.LBB369_2123:
	s_or_b32 exec_lo, exec_lo, s4
	s_and_saveexec_b32 s4, vcc_lo
	s_cbranch_execnz .LBB369_2165
.LBB369_2124:
	s_or_b32 exec_lo, exec_lo, s4
	s_and_saveexec_b32 s4, vcc_lo
	s_cbranch_execnz .LBB369_2166
.LBB369_2125:
	s_or_b32 exec_lo, exec_lo, s4
	s_and_saveexec_b32 s4, vcc_lo
	s_cbranch_execnz .LBB369_2167
.LBB369_2126:
	s_or_b32 exec_lo, exec_lo, s4
	s_and_saveexec_b32 s4, vcc_lo
	s_cbranch_execnz .LBB369_2168
.LBB369_2127:
	s_or_b32 exec_lo, exec_lo, s4
	s_and_saveexec_b32 s4, vcc_lo
	s_cbranch_execnz .LBB369_2169
.LBB369_2128:
	s_or_b32 exec_lo, exec_lo, s4
	s_and_saveexec_b32 s4, vcc_lo
	s_cbranch_execnz .LBB369_2170
.LBB369_2129:
	s_or_b32 exec_lo, exec_lo, s4
	s_and_saveexec_b32 s4, vcc_lo
	s_cbranch_execnz .LBB369_2171
.LBB369_2130:
	s_or_b32 exec_lo, exec_lo, s4
	s_and_saveexec_b32 s4, vcc_lo
	s_cbranch_execnz .LBB369_2172
.LBB369_2131:
	s_or_b32 exec_lo, exec_lo, s4
	s_and_saveexec_b32 s4, vcc_lo
	s_cbranch_execnz .LBB369_2173
.LBB369_2132:
	s_or_b32 exec_lo, exec_lo, s4
	s_and_saveexec_b32 s4, vcc_lo
	s_cbranch_execnz .LBB369_2174
.LBB369_2133:
	s_or_b32 exec_lo, exec_lo, s4
	s_and_saveexec_b32 s4, vcc_lo
	s_cbranch_execnz .LBB369_2175
.LBB369_2134:
	s_or_b32 exec_lo, exec_lo, s4
	s_and_saveexec_b32 s4, vcc_lo
	s_cbranch_execz .LBB369_2136
.LBB369_2135:
	ds_read_b32 v18, v16 offset:960
	s_waitcnt lgkmcnt(0)
	v_add_f32_e32 v0, v18, v0
.LBB369_2136:
	s_or_b32 exec_lo, exec_lo, s4
.LBB369_2137:
	s_or_b32 exec_lo, exec_lo, s5
	buffer_load_dword v18, off, s[0:3], s32 offset:852 ; 4-byte Folded Reload
	s_mov_b32 s5, exec_lo
	s_waitcnt vmcnt(0)
	s_barrier
	buffer_gl0_inv
	v_and_b32_e32 v18, 0x3e1, v18
	v_cmpx_eq_u32_e32 32, v18
	s_cbranch_execz .LBB369_2139
; %bb.2138:
	ds_write2_b32 v17, v15, v14 offset1:16
	ds_write2_b32 v17, v13, v12 offset0:32 offset1:48
	ds_write2_b32 v17, v11, v10 offset0:64 offset1:80
	;; [unrolled: 1-line block ×7, first 2 shown]
.LBB369_2139:
	s_or_b32 exec_lo, exec_lo, s5
	buffer_load_dword v17, off, s[0:3], s32 offset:852 ; 4-byte Folded Reload
	s_mov_b32 s5, exec_lo
	s_waitcnt vmcnt(0) lgkmcnt(0)
	s_barrier
	buffer_gl0_inv
	v_cmpx_gt_u32_e32 32, v17
	s_cbranch_execz .LBB369_2158
; %bb.2140:
	s_and_saveexec_b32 s4, vcc_lo
	s_cbranch_execnz .LBB369_2176
; %bb.2141:
	s_or_b32 exec_lo, exec_lo, s4
	s_and_saveexec_b32 s4, vcc_lo
	s_cbranch_execnz .LBB369_2177
.LBB369_2142:
	s_or_b32 exec_lo, exec_lo, s4
	s_and_saveexec_b32 s4, vcc_lo
	s_cbranch_execnz .LBB369_2178
.LBB369_2143:
	s_or_b32 exec_lo, exec_lo, s4
	s_and_saveexec_b32 s4, vcc_lo
	s_cbranch_execnz .LBB369_2179
.LBB369_2144:
	s_or_b32 exec_lo, exec_lo, s4
	s_and_saveexec_b32 s4, vcc_lo
	s_cbranch_execnz .LBB369_2180
.LBB369_2145:
	s_or_b32 exec_lo, exec_lo, s4
	s_and_saveexec_b32 s4, vcc_lo
	s_cbranch_execnz .LBB369_2181
.LBB369_2146:
	s_or_b32 exec_lo, exec_lo, s4
	s_and_saveexec_b32 s4, vcc_lo
	s_cbranch_execnz .LBB369_2182
.LBB369_2147:
	s_or_b32 exec_lo, exec_lo, s4
	s_and_saveexec_b32 s4, vcc_lo
	s_cbranch_execnz .LBB369_2183
.LBB369_2148:
	s_or_b32 exec_lo, exec_lo, s4
	s_and_saveexec_b32 s4, vcc_lo
	s_cbranch_execnz .LBB369_2184
.LBB369_2149:
	s_or_b32 exec_lo, exec_lo, s4
	s_and_saveexec_b32 s4, vcc_lo
	s_cbranch_execnz .LBB369_2185
.LBB369_2150:
	s_or_b32 exec_lo, exec_lo, s4
	s_and_saveexec_b32 s4, vcc_lo
	s_cbranch_execnz .LBB369_2186
.LBB369_2151:
	s_or_b32 exec_lo, exec_lo, s4
	s_and_saveexec_b32 s4, vcc_lo
	s_cbranch_execnz .LBB369_2187
.LBB369_2152:
	s_or_b32 exec_lo, exec_lo, s4
	s_and_saveexec_b32 s4, vcc_lo
	s_cbranch_execnz .LBB369_2188
.LBB369_2153:
	s_or_b32 exec_lo, exec_lo, s4
	s_and_saveexec_b32 s4, vcc_lo
	s_cbranch_execnz .LBB369_2189
.LBB369_2154:
	s_or_b32 exec_lo, exec_lo, s4
	s_and_saveexec_b32 s4, vcc_lo
	s_cbranch_execnz .LBB369_2190
.LBB369_2155:
	s_or_b32 exec_lo, exec_lo, s4
	s_and_saveexec_b32 s4, vcc_lo
	s_cbranch_execz .LBB369_2157
.LBB369_2156:
	ds_read_b32 v16, v16 offset:960
	s_waitcnt lgkmcnt(0)
	v_add_f32_e32 v0, v16, v0
.LBB369_2157:
	s_or_b32 exec_lo, exec_lo, s4
.LBB369_2158:
	s_or_b32 exec_lo, exec_lo, s5
	v_cmp_eq_u32_e32 vcc_lo, 0, v18
	s_barrier
	buffer_gl0_inv
	s_and_b32 exec_lo, exec_lo, vcc_lo
	s_cbranch_execz .LBB369_2160
; %bb.2159:
	s_clause 0x2
	buffer_load_dword v16, off, s[0:3], s32 offset:892
	buffer_load_dword v18, off, s[0:3], s32 offset:904
	;; [unrolled: 1-line block ×3, first 2 shown]
	s_lshl_b32 s4, s6, 8
	s_mul_i32 s6, s10, s11
	s_ashr_i32 s5, s4, 31
	s_ashr_i32 s7, s6, 31
	s_lshl_b64 s[4:5], s[4:5], 1
	s_lshl_b64 s[6:7], s[6:7], 1
	v_bfe_u32 v19, v15, 16, 1
	v_or_b32_e32 v20, 0x400000, v15
	v_add3_u32 v19, v19, v15, 0x7fff
	s_waitcnt vmcnt(2)
	v_add_co_u32 v16, vcc_lo, v16, s4
	s_waitcnt vmcnt(0)
	v_add_co_ci_u32_e64 v17, null, s5, v17, vcc_lo
	s_lshl_b32 s4, s14, 8
	v_add_co_u32 v16, vcc_lo, v16, s6
	s_ashr_i32 s5, s4, 31
	v_add_co_ci_u32_e64 v17, null, s7, v17, vcc_lo
	s_lshl_b64 s[4:5], s[4:5], 1
	v_lshlrev_b32_e32 v18, 1, v18
	v_add_co_u32 v16, vcc_lo, v16, s4
	v_add_co_ci_u32_e64 v17, null, s5, v17, vcc_lo
	v_add_co_u32 v16, vcc_lo, v16, v18
	v_add_co_ci_u32_e64 v17, null, 0, v17, vcc_lo
	v_bfe_u32 v18, v14, 16, 1
	v_cmp_u_f32_e32 vcc_lo, v15, v15
	v_add3_u32 v18, v18, v14, 0x7fff
	v_cndmask_b32_e32 v15, v19, v20, vcc_lo
	v_bfe_u32 v19, v13, 16, 1
	v_or_b32_e32 v20, 0x400000, v14
	v_cmp_u_f32_e32 vcc_lo, v14, v14
	flat_store_short_d16_hi v[16:17], v15
	v_add3_u32 v15, v19, v13, 0x7fff
	v_or_b32_e32 v19, 0x400000, v13
	v_cndmask_b32_e32 v14, v18, v20, vcc_lo
	v_bfe_u32 v18, v12, 16, 1
	v_cmp_u_f32_e32 vcc_lo, v13, v13
	flat_store_short_d16_hi v[16:17], v14 offset:32
	v_add3_u32 v14, v18, v12, 0x7fff
	v_cndmask_b32_e32 v13, v15, v19, vcc_lo
	v_bfe_u32 v15, v11, 16, 1
	v_or_b32_e32 v18, 0x400000, v12
	v_cmp_u_f32_e32 vcc_lo, v12, v12
	flat_store_short_d16_hi v[16:17], v13 offset:64
	v_add3_u32 v13, v15, v11, 0x7fff
	v_or_b32_e32 v15, 0x400000, v11
	v_cndmask_b32_e32 v12, v14, v18, vcc_lo
	v_bfe_u32 v14, v10, 16, 1
	v_cmp_u_f32_e32 vcc_lo, v11, v11
	flat_store_short_d16_hi v[16:17], v12 offset:96
	v_add3_u32 v12, v14, v10, 0x7fff
	v_cndmask_b32_e32 v11, v13, v15, vcc_lo
	v_bfe_u32 v13, v9, 16, 1
	v_or_b32_e32 v14, 0x400000, v10
	v_cmp_u_f32_e32 vcc_lo, v10, v10
	flat_store_short_d16_hi v[16:17], v11 offset:128
	;; [unrolled: 12-line block ×4, first 2 shown]
	v_add3_u32 v7, v9, v5, 0x7fff
	v_or_b32_e32 v9, 0x400000, v5
	v_cndmask_b32_e32 v6, v8, v10, vcc_lo
	v_bfe_u32 v8, v4, 16, 1
	v_cmp_u_f32_e32 vcc_lo, v5, v5
	v_or_b32_e32 v10, 0x400000, v0
	flat_store_short_d16_hi v[16:17], v6 offset:288
	v_add3_u32 v6, v8, v4, 0x7fff
	v_cndmask_b32_e32 v5, v7, v9, vcc_lo
	v_bfe_u32 v7, v3, 16, 1
	v_or_b32_e32 v8, 0x400000, v4
	v_cmp_u_f32_e32 vcc_lo, v4, v4
	v_or_b32_e32 v9, 0x400000, v1
	flat_store_short_d16_hi v[16:17], v5 offset:320
	v_add3_u32 v5, v7, v3, 0x7fff
	v_or_b32_e32 v7, 0x400000, v3
	v_cndmask_b32_e32 v4, v6, v8, vcc_lo
	v_bfe_u32 v6, v2, 16, 1
	v_cmp_u_f32_e32 vcc_lo, v3, v3
	v_bfe_u32 v8, v1, 16, 1
	v_add3_u32 v6, v6, v2, 0x7fff
	v_cndmask_b32_e32 v3, v5, v7, vcc_lo
	v_or_b32_e32 v7, 0x400000, v2
	v_cmp_u_f32_e32 vcc_lo, v2, v2
	v_bfe_u32 v5, v0, 16, 1
	v_add3_u32 v8, v8, v1, 0x7fff
	v_cndmask_b32_e32 v2, v6, v7, vcc_lo
	v_cmp_u_f32_e32 vcc_lo, v1, v1
	v_add3_u32 v5, v5, v0, 0x7fff
	v_cndmask_b32_e32 v1, v8, v9, vcc_lo
	v_cmp_u_f32_e32 vcc_lo, v0, v0
	v_cndmask_b32_e32 v0, v5, v10, vcc_lo
	flat_store_short_d16_hi v[16:17], v4 offset:352
	flat_store_short_d16_hi v[16:17], v3 offset:384
	;; [unrolled: 1-line block ×5, first 2 shown]
.LBB369_2160:
	s_or_b32 exec_lo, exec_lo, s19
	s_clause 0x2f
	buffer_load_dword v127, off, s[0:3], s32
	buffer_load_dword v126, off, s[0:3], s32 offset:4
	buffer_load_dword v125, off, s[0:3], s32 offset:8
	;; [unrolled: 1-line block ×47, first 2 shown]
	s_waitcnt vmcnt(0) lgkmcnt(0)
	s_setpc_b64 s[30:31]
.LBB369_2161:
	ds_read_b32 v18, v16
	s_waitcnt lgkmcnt(0)
	v_add_f32_e32 v15, v18, v15
	s_or_b32 exec_lo, exec_lo, s4
	s_and_saveexec_b32 s4, vcc_lo
	s_cbranch_execz .LBB369_2121
.LBB369_2162:
	ds_read_b32 v18, v16 offset:64
	s_waitcnt lgkmcnt(0)
	v_add_f32_e32 v14, v18, v14
	s_or_b32 exec_lo, exec_lo, s4
	s_and_saveexec_b32 s4, vcc_lo
	s_cbranch_execz .LBB369_2122
.LBB369_2163:
	ds_read_b32 v18, v16 offset:128
	s_waitcnt lgkmcnt(0)
	v_add_f32_e32 v13, v18, v13
	s_or_b32 exec_lo, exec_lo, s4
	s_and_saveexec_b32 s4, vcc_lo
	s_cbranch_execz .LBB369_2123
.LBB369_2164:
	ds_read_b32 v18, v16 offset:192
	s_waitcnt lgkmcnt(0)
	v_add_f32_e32 v12, v18, v12
	s_or_b32 exec_lo, exec_lo, s4
	s_and_saveexec_b32 s4, vcc_lo
	s_cbranch_execz .LBB369_2124
.LBB369_2165:
	ds_read_b32 v18, v16 offset:256
	s_waitcnt lgkmcnt(0)
	v_add_f32_e32 v11, v18, v11
	s_or_b32 exec_lo, exec_lo, s4
	s_and_saveexec_b32 s4, vcc_lo
	s_cbranch_execz .LBB369_2125
.LBB369_2166:
	ds_read_b32 v18, v16 offset:320
	s_waitcnt lgkmcnt(0)
	v_add_f32_e32 v10, v18, v10
	s_or_b32 exec_lo, exec_lo, s4
	s_and_saveexec_b32 s4, vcc_lo
	s_cbranch_execz .LBB369_2126
.LBB369_2167:
	ds_read_b32 v18, v16 offset:384
	s_waitcnt lgkmcnt(0)
	v_add_f32_e32 v9, v18, v9
	s_or_b32 exec_lo, exec_lo, s4
	s_and_saveexec_b32 s4, vcc_lo
	s_cbranch_execz .LBB369_2127
.LBB369_2168:
	ds_read_b32 v18, v16 offset:448
	s_waitcnt lgkmcnt(0)
	v_add_f32_e32 v8, v18, v8
	s_or_b32 exec_lo, exec_lo, s4
	s_and_saveexec_b32 s4, vcc_lo
	s_cbranch_execz .LBB369_2128
.LBB369_2169:
	ds_read_b32 v18, v16 offset:512
	s_waitcnt lgkmcnt(0)
	v_add_f32_e32 v7, v18, v7
	s_or_b32 exec_lo, exec_lo, s4
	s_and_saveexec_b32 s4, vcc_lo
	s_cbranch_execz .LBB369_2129
.LBB369_2170:
	ds_read_b32 v18, v16 offset:576
	s_waitcnt lgkmcnt(0)
	v_add_f32_e32 v6, v18, v6
	s_or_b32 exec_lo, exec_lo, s4
	s_and_saveexec_b32 s4, vcc_lo
	s_cbranch_execz .LBB369_2130
.LBB369_2171:
	ds_read_b32 v18, v16 offset:640
	s_waitcnt lgkmcnt(0)
	v_add_f32_e32 v5, v18, v5
	s_or_b32 exec_lo, exec_lo, s4
	s_and_saveexec_b32 s4, vcc_lo
	s_cbranch_execz .LBB369_2131
.LBB369_2172:
	ds_read_b32 v18, v16 offset:704
	s_waitcnt lgkmcnt(0)
	v_add_f32_e32 v4, v18, v4
	s_or_b32 exec_lo, exec_lo, s4
	s_and_saveexec_b32 s4, vcc_lo
	s_cbranch_execz .LBB369_2132
.LBB369_2173:
	ds_read_b32 v18, v16 offset:768
	s_waitcnt lgkmcnt(0)
	v_add_f32_e32 v3, v18, v3
	s_or_b32 exec_lo, exec_lo, s4
	s_and_saveexec_b32 s4, vcc_lo
	s_cbranch_execz .LBB369_2133
.LBB369_2174:
	ds_read_b32 v18, v16 offset:832
	s_waitcnt lgkmcnt(0)
	v_add_f32_e32 v2, v18, v2
	s_or_b32 exec_lo, exec_lo, s4
	s_and_saveexec_b32 s4, vcc_lo
	s_cbranch_execz .LBB369_2134
.LBB369_2175:
	ds_read_b32 v18, v16 offset:896
	s_waitcnt lgkmcnt(0)
	v_add_f32_e32 v1, v18, v1
	s_or_b32 exec_lo, exec_lo, s4
	s_and_saveexec_b32 s4, vcc_lo
	s_cbranch_execnz .LBB369_2135
	s_branch .LBB369_2136
.LBB369_2176:
	ds_read_b32 v17, v16
	s_waitcnt lgkmcnt(0)
	v_add_f32_e32 v15, v17, v15
	s_or_b32 exec_lo, exec_lo, s4
	s_and_saveexec_b32 s4, vcc_lo
	s_cbranch_execz .LBB369_2142
.LBB369_2177:
	ds_read_b32 v17, v16 offset:64
	s_waitcnt lgkmcnt(0)
	v_add_f32_e32 v14, v17, v14
	s_or_b32 exec_lo, exec_lo, s4
	s_and_saveexec_b32 s4, vcc_lo
	s_cbranch_execz .LBB369_2143
.LBB369_2178:
	ds_read_b32 v17, v16 offset:128
	s_waitcnt lgkmcnt(0)
	v_add_f32_e32 v13, v17, v13
	s_or_b32 exec_lo, exec_lo, s4
	s_and_saveexec_b32 s4, vcc_lo
	s_cbranch_execz .LBB369_2144
.LBB369_2179:
	ds_read_b32 v17, v16 offset:192
	s_waitcnt lgkmcnt(0)
	v_add_f32_e32 v12, v17, v12
	s_or_b32 exec_lo, exec_lo, s4
	s_and_saveexec_b32 s4, vcc_lo
	s_cbranch_execz .LBB369_2145
.LBB369_2180:
	ds_read_b32 v17, v16 offset:256
	s_waitcnt lgkmcnt(0)
	v_add_f32_e32 v11, v17, v11
	s_or_b32 exec_lo, exec_lo, s4
	s_and_saveexec_b32 s4, vcc_lo
	s_cbranch_execz .LBB369_2146
.LBB369_2181:
	ds_read_b32 v17, v16 offset:320
	s_waitcnt lgkmcnt(0)
	v_add_f32_e32 v10, v17, v10
	s_or_b32 exec_lo, exec_lo, s4
	s_and_saveexec_b32 s4, vcc_lo
	s_cbranch_execz .LBB369_2147
.LBB369_2182:
	ds_read_b32 v17, v16 offset:384
	s_waitcnt lgkmcnt(0)
	v_add_f32_e32 v9, v17, v9
	s_or_b32 exec_lo, exec_lo, s4
	s_and_saveexec_b32 s4, vcc_lo
	s_cbranch_execz .LBB369_2148
.LBB369_2183:
	ds_read_b32 v17, v16 offset:448
	s_waitcnt lgkmcnt(0)
	v_add_f32_e32 v8, v17, v8
	s_or_b32 exec_lo, exec_lo, s4
	s_and_saveexec_b32 s4, vcc_lo
	s_cbranch_execz .LBB369_2149
.LBB369_2184:
	ds_read_b32 v17, v16 offset:512
	s_waitcnt lgkmcnt(0)
	v_add_f32_e32 v7, v17, v7
	s_or_b32 exec_lo, exec_lo, s4
	s_and_saveexec_b32 s4, vcc_lo
	s_cbranch_execz .LBB369_2150
.LBB369_2185:
	ds_read_b32 v17, v16 offset:576
	s_waitcnt lgkmcnt(0)
	v_add_f32_e32 v6, v17, v6
	s_or_b32 exec_lo, exec_lo, s4
	s_and_saveexec_b32 s4, vcc_lo
	s_cbranch_execz .LBB369_2151
.LBB369_2186:
	ds_read_b32 v17, v16 offset:640
	s_waitcnt lgkmcnt(0)
	v_add_f32_e32 v5, v17, v5
	s_or_b32 exec_lo, exec_lo, s4
	s_and_saveexec_b32 s4, vcc_lo
	s_cbranch_execz .LBB369_2152
.LBB369_2187:
	ds_read_b32 v17, v16 offset:704
	s_waitcnt lgkmcnt(0)
	v_add_f32_e32 v4, v17, v4
	s_or_b32 exec_lo, exec_lo, s4
	s_and_saveexec_b32 s4, vcc_lo
	s_cbranch_execz .LBB369_2153
.LBB369_2188:
	ds_read_b32 v17, v16 offset:768
	s_waitcnt lgkmcnt(0)
	v_add_f32_e32 v3, v17, v3
	s_or_b32 exec_lo, exec_lo, s4
	s_and_saveexec_b32 s4, vcc_lo
	s_cbranch_execz .LBB369_2154
.LBB369_2189:
	ds_read_b32 v17, v16 offset:832
	s_waitcnt lgkmcnt(0)
	v_add_f32_e32 v2, v17, v2
	s_or_b32 exec_lo, exec_lo, s4
	s_and_saveexec_b32 s4, vcc_lo
	s_cbranch_execz .LBB369_2155
.LBB369_2190:
	ds_read_b32 v17, v16 offset:896
	s_waitcnt lgkmcnt(0)
	v_add_f32_e32 v1, v17, v1
	s_or_b32 exec_lo, exec_lo, s4
	s_and_saveexec_b32 s4, vcc_lo
	s_cbranch_execnz .LBB369_2156
	s_branch .LBB369_2157
.Lfunc_end369:
	.size	_ZN4vllm22paged_attention_kernelI14__hip_bfloat16hLi256ELi16ELi128ELNS_18Fp8KVCacheDataTypeE1ELb0ELi512EEEvPfS3_PT_PKS4_PKT0_SA_ifPKiSC_iPKfiiiSE_SE_iiiii, .Lfunc_end369-_ZN4vllm22paged_attention_kernelI14__hip_bfloat16hLi256ELi16ELi128ELNS_18Fp8KVCacheDataTypeE1ELb0ELi512EEEvPfS3_PT_PKS4_PKT0_SA_ifPKiSC_iPKfiiiSE_SE_iiiii
                                        ; -- End function
	.set .L_ZN4vllm22paged_attention_kernelI14__hip_bfloat16hLi256ELi16ELi128ELNS_18Fp8KVCacheDataTypeE1ELb0ELi512EEEvPfS3_PT_PKS4_PKT0_SA_ifPKiSC_iPKfiiiSE_SE_iiiii.num_vgpr, 128
	.set .L_ZN4vllm22paged_attention_kernelI14__hip_bfloat16hLi256ELi16ELi128ELNS_18Fp8KVCacheDataTypeE1ELb0ELi512EEEvPfS3_PT_PKS4_PKT0_SA_ifPKiSC_iPKfiiiSE_SE_iiiii.num_agpr, 0
	.set .L_ZN4vllm22paged_attention_kernelI14__hip_bfloat16hLi256ELi16ELi128ELNS_18Fp8KVCacheDataTypeE1ELb0ELi512EEEvPfS3_PT_PKS4_PKT0_SA_ifPKiSC_iPKfiiiSE_SE_iiiii.numbered_sgpr, 33
	.set .L_ZN4vllm22paged_attention_kernelI14__hip_bfloat16hLi256ELi16ELi128ELNS_18Fp8KVCacheDataTypeE1ELb0ELi512EEEvPfS3_PT_PKS4_PKT0_SA_ifPKiSC_iPKfiiiSE_SE_iiiii.num_named_barrier, 0
	.set .L_ZN4vllm22paged_attention_kernelI14__hip_bfloat16hLi256ELi16ELi128ELNS_18Fp8KVCacheDataTypeE1ELb0ELi512EEEvPfS3_PT_PKS4_PKT0_SA_ifPKiSC_iPKfiiiSE_SE_iiiii.private_seg_size, 960
	.set .L_ZN4vllm22paged_attention_kernelI14__hip_bfloat16hLi256ELi16ELi128ELNS_18Fp8KVCacheDataTypeE1ELb0ELi512EEEvPfS3_PT_PKS4_PKT0_SA_ifPKiSC_iPKfiiiSE_SE_iiiii.uses_vcc, 1
	.set .L_ZN4vllm22paged_attention_kernelI14__hip_bfloat16hLi256ELi16ELi128ELNS_18Fp8KVCacheDataTypeE1ELb0ELi512EEEvPfS3_PT_PKS4_PKT0_SA_ifPKiSC_iPKfiiiSE_SE_iiiii.uses_flat_scratch, 0
	.set .L_ZN4vllm22paged_attention_kernelI14__hip_bfloat16hLi256ELi16ELi128ELNS_18Fp8KVCacheDataTypeE1ELb0ELi512EEEvPfS3_PT_PKS4_PKT0_SA_ifPKiSC_iPKfiiiSE_SE_iiiii.has_dyn_sized_stack, 0
	.set .L_ZN4vllm22paged_attention_kernelI14__hip_bfloat16hLi256ELi16ELi128ELNS_18Fp8KVCacheDataTypeE1ELb0ELi512EEEvPfS3_PT_PKS4_PKT0_SA_ifPKiSC_iPKfiiiSE_SE_iiiii.has_recursion, 0
	.set .L_ZN4vllm22paged_attention_kernelI14__hip_bfloat16hLi256ELi16ELi128ELNS_18Fp8KVCacheDataTypeE1ELb0ELi512EEEvPfS3_PT_PKS4_PKT0_SA_ifPKiSC_iPKfiiiSE_SE_iiiii.has_indirect_call, 0
	.section	.AMDGPU.csdata,"",@progbits
; Function info:
; codeLenInByte = 89116
; TotalNumSgprs: 35
; NumVgprs: 128
; ScratchSize: 960
; MemoryBound: 0
	.section	.text._ZN4vllm25paged_attention_v2_kernelI14__hip_bfloat16hLi256ELi16ELi128ELNS_18Fp8KVCacheDataTypeE1ELb0ELi512EEEvPfS3_PT_PKS4_PKT0_SA_ifPKiSC_iPKfiiiSE_SE_iiiii,"axG",@progbits,_ZN4vllm25paged_attention_v2_kernelI14__hip_bfloat16hLi256ELi16ELi128ELNS_18Fp8KVCacheDataTypeE1ELb0ELi512EEEvPfS3_PT_PKS4_PKT0_SA_ifPKiSC_iPKfiiiSE_SE_iiiii,comdat
	.protected	_ZN4vllm25paged_attention_v2_kernelI14__hip_bfloat16hLi256ELi16ELi128ELNS_18Fp8KVCacheDataTypeE1ELb0ELi512EEEvPfS3_PT_PKS4_PKT0_SA_ifPKiSC_iPKfiiiSE_SE_iiiii ; -- Begin function _ZN4vllm25paged_attention_v2_kernelI14__hip_bfloat16hLi256ELi16ELi128ELNS_18Fp8KVCacheDataTypeE1ELb0ELi512EEEvPfS3_PT_PKS4_PKT0_SA_ifPKiSC_iPKfiiiSE_SE_iiiii
	.globl	_ZN4vllm25paged_attention_v2_kernelI14__hip_bfloat16hLi256ELi16ELi128ELNS_18Fp8KVCacheDataTypeE1ELb0ELi512EEEvPfS3_PT_PKS4_PKT0_SA_ifPKiSC_iPKfiiiSE_SE_iiiii
	.p2align	8
	.type	_ZN4vllm25paged_attention_v2_kernelI14__hip_bfloat16hLi256ELi16ELi128ELNS_18Fp8KVCacheDataTypeE1ELb0ELi512EEEvPfS3_PT_PKS4_PKT0_SA_ifPKiSC_iPKfiiiSE_SE_iiiii,@function
_ZN4vllm25paged_attention_v2_kernelI14__hip_bfloat16hLi256ELi16ELi128ELNS_18Fp8KVCacheDataTypeE1ELb0ELi512EEEvPfS3_PT_PKS4_PKT0_SA_ifPKiSC_iPKfiiiSE_SE_iiiii: ; @_ZN4vllm25paged_attention_v2_kernelI14__hip_bfloat16hLi256ELi16ELi128ELNS_18Fp8KVCacheDataTypeE1ELb0ELi512EEEvPfS3_PT_PKS4_PKT0_SA_ifPKiSC_iPKfiiiSE_SE_iiiii
; %bb.0:
	s_clause 0x5
	s_load_dwordx8 s[24:31], s[4:5], 0x0
	s_load_dwordx8 s[16:23], s[4:5], 0x20
	s_load_dwordx2 s[10:11], s[4:5], 0x40
	s_load_dwordx2 s[34:35], s[4:5], 0x50
	s_load_dword s13, s[4:5], 0x48
	s_load_dwordx8 s[36:43], s[4:5], 0x58
	s_add_u32 s0, s0, s9
	s_addc_u32 s1, s1, 0
	v_mov_b32_e32 v31, v0
	s_mov_b32 s14, s8
	s_add_u32 s8, s4, 0x90
	s_addc_u32 s9, s5, 0
	s_getpc_b64 s[4:5]
	s_add_u32 s4, s4, _ZN4vllm22paged_attention_kernelI14__hip_bfloat16hLi256ELi16ELi128ELNS_18Fp8KVCacheDataTypeE1ELb0ELi512EEEvPfS3_PT_PKS4_PKT0_SA_ifPKiSC_iPKfiiiSE_SE_iiiii@rel32@lo+4
	s_addc_u32 s5, s5, _ZN4vllm22paged_attention_kernelI14__hip_bfloat16hLi256ELi16ELi128ELNS_18Fp8KVCacheDataTypeE1ELb0ELi512EEEvPfS3_PT_PKS4_PKT0_SA_ifPKiSC_iPKfiiiSE_SE_iiiii@rel32@hi+12
	s_mov_b32 s12, s6
	s_mov_b32 s15, 10
	;; [unrolled: 1-line block ×3, first 2 shown]
	s_waitcnt lgkmcnt(0)
	v_mov_b32_e32 v0, s24
	v_mov_b32_e32 v1, s25
	v_mov_b32_e32 v2, s26
	v_mov_b32_e32 v3, s27
	v_mov_b32_e32 v4, s28
	v_mov_b32_e32 v5, s29
	v_mov_b32_e32 v6, s30
	v_mov_b32_e32 v7, s31
	v_mov_b32_e32 v8, s16
	v_mov_b32_e32 v9, s17
	v_mov_b32_e32 v10, s18
	v_mov_b32_e32 v11, s19
	v_mov_b32_e32 v12, s20
	v_mov_b32_e32 v13, s21
	v_mov_b32_e32 v14, s22
	v_mov_b32_e32 v15, s23
	v_mov_b32_e32 v16, s10
	v_mov_b32_e32 v17, s11
	v_mov_b32_e32 v18, s13
	v_mov_b32_e32 v19, s34
	v_mov_b32_e32 v20, s35
	v_mov_b32_e32 v21, s36
	v_mov_b32_e32 v22, s37
	v_mov_b32_e32 v23, s38
	v_mov_b32_e32 v24, s40
	v_mov_b32_e32 v25, s41
	v_mov_b32_e32 v26, s42
	v_mov_b32_e32 v27, s43
	s_mov_b32 s13, s7
	s_swappc_b64 s[30:31], s[4:5]
	s_endpgm
	.section	.rodata,"a",@progbits
	.p2align	6, 0x0
	.amdhsa_kernel _ZN4vllm25paged_attention_v2_kernelI14__hip_bfloat16hLi256ELi16ELi128ELNS_18Fp8KVCacheDataTypeE1ELb0ELi512EEEvPfS3_PT_PKS4_PKT0_SA_ifPKiSC_iPKfiiiSE_SE_iiiii
		.amdhsa_group_segment_fixed_size 544
		.amdhsa_private_segment_fixed_size 960
		.amdhsa_kernarg_size 400
		.amdhsa_user_sgpr_count 6
		.amdhsa_user_sgpr_private_segment_buffer 1
		.amdhsa_user_sgpr_dispatch_ptr 0
		.amdhsa_user_sgpr_queue_ptr 0
		.amdhsa_user_sgpr_kernarg_segment_ptr 1
		.amdhsa_user_sgpr_dispatch_id 0
		.amdhsa_user_sgpr_flat_scratch_init 0
		.amdhsa_user_sgpr_private_segment_size 0
		.amdhsa_wavefront_size32 1
		.amdhsa_uses_dynamic_stack 0
		.amdhsa_system_sgpr_private_segment_wavefront_offset 1
		.amdhsa_system_sgpr_workgroup_id_x 1
		.amdhsa_system_sgpr_workgroup_id_y 1
		.amdhsa_system_sgpr_workgroup_id_z 1
		.amdhsa_system_sgpr_workgroup_info 0
		.amdhsa_system_vgpr_workitem_id 0
		.amdhsa_next_free_vgpr 128
		.amdhsa_next_free_sgpr 44
		.amdhsa_reserve_vcc 1
		.amdhsa_reserve_flat_scratch 0
		.amdhsa_float_round_mode_32 0
		.amdhsa_float_round_mode_16_64 0
		.amdhsa_float_denorm_mode_32 3
		.amdhsa_float_denorm_mode_16_64 3
		.amdhsa_dx10_clamp 1
		.amdhsa_ieee_mode 1
		.amdhsa_fp16_overflow 0
		.amdhsa_workgroup_processor_mode 1
		.amdhsa_memory_ordered 1
		.amdhsa_forward_progress 1
		.amdhsa_shared_vgpr_count 0
		.amdhsa_exception_fp_ieee_invalid_op 0
		.amdhsa_exception_fp_denorm_src 0
		.amdhsa_exception_fp_ieee_div_zero 0
		.amdhsa_exception_fp_ieee_overflow 0
		.amdhsa_exception_fp_ieee_underflow 0
		.amdhsa_exception_fp_ieee_inexact 0
		.amdhsa_exception_int_div_zero 0
	.end_amdhsa_kernel
	.section	.text._ZN4vllm25paged_attention_v2_kernelI14__hip_bfloat16hLi256ELi16ELi128ELNS_18Fp8KVCacheDataTypeE1ELb0ELi512EEEvPfS3_PT_PKS4_PKT0_SA_ifPKiSC_iPKfiiiSE_SE_iiiii,"axG",@progbits,_ZN4vllm25paged_attention_v2_kernelI14__hip_bfloat16hLi256ELi16ELi128ELNS_18Fp8KVCacheDataTypeE1ELb0ELi512EEEvPfS3_PT_PKS4_PKT0_SA_ifPKiSC_iPKfiiiSE_SE_iiiii,comdat
.Lfunc_end370:
	.size	_ZN4vllm25paged_attention_v2_kernelI14__hip_bfloat16hLi256ELi16ELi128ELNS_18Fp8KVCacheDataTypeE1ELb0ELi512EEEvPfS3_PT_PKS4_PKT0_SA_ifPKiSC_iPKfiiiSE_SE_iiiii, .Lfunc_end370-_ZN4vllm25paged_attention_v2_kernelI14__hip_bfloat16hLi256ELi16ELi128ELNS_18Fp8KVCacheDataTypeE1ELb0ELi512EEEvPfS3_PT_PKS4_PKT0_SA_ifPKiSC_iPKfiiiSE_SE_iiiii
                                        ; -- End function
	.set _ZN4vllm25paged_attention_v2_kernelI14__hip_bfloat16hLi256ELi16ELi128ELNS_18Fp8KVCacheDataTypeE1ELb0ELi512EEEvPfS3_PT_PKS4_PKT0_SA_ifPKiSC_iPKfiiiSE_SE_iiiii.num_vgpr, max(32, .L_ZN4vllm22paged_attention_kernelI14__hip_bfloat16hLi256ELi16ELi128ELNS_18Fp8KVCacheDataTypeE1ELb0ELi512EEEvPfS3_PT_PKS4_PKT0_SA_ifPKiSC_iPKfiiiSE_SE_iiiii.num_vgpr)
	.set _ZN4vllm25paged_attention_v2_kernelI14__hip_bfloat16hLi256ELi16ELi128ELNS_18Fp8KVCacheDataTypeE1ELb0ELi512EEEvPfS3_PT_PKS4_PKT0_SA_ifPKiSC_iPKfiiiSE_SE_iiiii.num_agpr, max(0, .L_ZN4vllm22paged_attention_kernelI14__hip_bfloat16hLi256ELi16ELi128ELNS_18Fp8KVCacheDataTypeE1ELb0ELi512EEEvPfS3_PT_PKS4_PKT0_SA_ifPKiSC_iPKfiiiSE_SE_iiiii.num_agpr)
	.set _ZN4vllm25paged_attention_v2_kernelI14__hip_bfloat16hLi256ELi16ELi128ELNS_18Fp8KVCacheDataTypeE1ELb0ELi512EEEvPfS3_PT_PKS4_PKT0_SA_ifPKiSC_iPKfiiiSE_SE_iiiii.numbered_sgpr, max(44, .L_ZN4vllm22paged_attention_kernelI14__hip_bfloat16hLi256ELi16ELi128ELNS_18Fp8KVCacheDataTypeE1ELb0ELi512EEEvPfS3_PT_PKS4_PKT0_SA_ifPKiSC_iPKfiiiSE_SE_iiiii.numbered_sgpr)
	.set _ZN4vllm25paged_attention_v2_kernelI14__hip_bfloat16hLi256ELi16ELi128ELNS_18Fp8KVCacheDataTypeE1ELb0ELi512EEEvPfS3_PT_PKS4_PKT0_SA_ifPKiSC_iPKfiiiSE_SE_iiiii.num_named_barrier, max(0, .L_ZN4vllm22paged_attention_kernelI14__hip_bfloat16hLi256ELi16ELi128ELNS_18Fp8KVCacheDataTypeE1ELb0ELi512EEEvPfS3_PT_PKS4_PKT0_SA_ifPKiSC_iPKfiiiSE_SE_iiiii.num_named_barrier)
	.set _ZN4vllm25paged_attention_v2_kernelI14__hip_bfloat16hLi256ELi16ELi128ELNS_18Fp8KVCacheDataTypeE1ELb0ELi512EEEvPfS3_PT_PKS4_PKT0_SA_ifPKiSC_iPKfiiiSE_SE_iiiii.private_seg_size, 0+max(.L_ZN4vllm22paged_attention_kernelI14__hip_bfloat16hLi256ELi16ELi128ELNS_18Fp8KVCacheDataTypeE1ELb0ELi512EEEvPfS3_PT_PKS4_PKT0_SA_ifPKiSC_iPKfiiiSE_SE_iiiii.private_seg_size)
	.set _ZN4vllm25paged_attention_v2_kernelI14__hip_bfloat16hLi256ELi16ELi128ELNS_18Fp8KVCacheDataTypeE1ELb0ELi512EEEvPfS3_PT_PKS4_PKT0_SA_ifPKiSC_iPKfiiiSE_SE_iiiii.uses_vcc, or(1, .L_ZN4vllm22paged_attention_kernelI14__hip_bfloat16hLi256ELi16ELi128ELNS_18Fp8KVCacheDataTypeE1ELb0ELi512EEEvPfS3_PT_PKS4_PKT0_SA_ifPKiSC_iPKfiiiSE_SE_iiiii.uses_vcc)
	.set _ZN4vllm25paged_attention_v2_kernelI14__hip_bfloat16hLi256ELi16ELi128ELNS_18Fp8KVCacheDataTypeE1ELb0ELi512EEEvPfS3_PT_PKS4_PKT0_SA_ifPKiSC_iPKfiiiSE_SE_iiiii.uses_flat_scratch, or(0, .L_ZN4vllm22paged_attention_kernelI14__hip_bfloat16hLi256ELi16ELi128ELNS_18Fp8KVCacheDataTypeE1ELb0ELi512EEEvPfS3_PT_PKS4_PKT0_SA_ifPKiSC_iPKfiiiSE_SE_iiiii.uses_flat_scratch)
	.set _ZN4vllm25paged_attention_v2_kernelI14__hip_bfloat16hLi256ELi16ELi128ELNS_18Fp8KVCacheDataTypeE1ELb0ELi512EEEvPfS3_PT_PKS4_PKT0_SA_ifPKiSC_iPKfiiiSE_SE_iiiii.has_dyn_sized_stack, or(0, .L_ZN4vllm22paged_attention_kernelI14__hip_bfloat16hLi256ELi16ELi128ELNS_18Fp8KVCacheDataTypeE1ELb0ELi512EEEvPfS3_PT_PKS4_PKT0_SA_ifPKiSC_iPKfiiiSE_SE_iiiii.has_dyn_sized_stack)
	.set _ZN4vllm25paged_attention_v2_kernelI14__hip_bfloat16hLi256ELi16ELi128ELNS_18Fp8KVCacheDataTypeE1ELb0ELi512EEEvPfS3_PT_PKS4_PKT0_SA_ifPKiSC_iPKfiiiSE_SE_iiiii.has_recursion, or(0, .L_ZN4vllm22paged_attention_kernelI14__hip_bfloat16hLi256ELi16ELi128ELNS_18Fp8KVCacheDataTypeE1ELb0ELi512EEEvPfS3_PT_PKS4_PKT0_SA_ifPKiSC_iPKfiiiSE_SE_iiiii.has_recursion)
	.set _ZN4vllm25paged_attention_v2_kernelI14__hip_bfloat16hLi256ELi16ELi128ELNS_18Fp8KVCacheDataTypeE1ELb0ELi512EEEvPfS3_PT_PKS4_PKT0_SA_ifPKiSC_iPKfiiiSE_SE_iiiii.has_indirect_call, or(0, .L_ZN4vllm22paged_attention_kernelI14__hip_bfloat16hLi256ELi16ELi128ELNS_18Fp8KVCacheDataTypeE1ELb0ELi512EEEvPfS3_PT_PKS4_PKT0_SA_ifPKiSC_iPKfiiiSE_SE_iiiii.has_indirect_call)
	.section	.AMDGPU.csdata,"",@progbits
; Kernel info:
; codeLenInByte = 240
; TotalNumSgprs: 46
; NumVgprs: 128
; ScratchSize: 960
; MemoryBound: 0
; FloatMode: 240
; IeeeMode: 1
; LDSByteSize: 544 bytes/workgroup (compile time only)
; SGPRBlocks: 0
; VGPRBlocks: 15
; NumSGPRsForWavesPerEU: 46
; NumVGPRsForWavesPerEU: 128
; Occupancy: 8
; WaveLimiterHint : 1
; COMPUTE_PGM_RSRC2:SCRATCH_EN: 1
; COMPUTE_PGM_RSRC2:USER_SGPR: 6
; COMPUTE_PGM_RSRC2:TRAP_HANDLER: 0
; COMPUTE_PGM_RSRC2:TGID_X_EN: 1
; COMPUTE_PGM_RSRC2:TGID_Y_EN: 1
; COMPUTE_PGM_RSRC2:TGID_Z_EN: 1
; COMPUTE_PGM_RSRC2:TIDIG_COMP_CNT: 0
	.section	.text._ZN4vllm25paged_attention_v2_kernelI14__hip_bfloat16hLi32ELi32ELi128ELNS_18Fp8KVCacheDataTypeE1ELb1ELi512EEEvPfS3_PT_PKS4_PKT0_SA_ifPKiSC_iPKfiiiSE_SE_iiiii,"axG",@progbits,_ZN4vllm25paged_attention_v2_kernelI14__hip_bfloat16hLi32ELi32ELi128ELNS_18Fp8KVCacheDataTypeE1ELb1ELi512EEEvPfS3_PT_PKS4_PKT0_SA_ifPKiSC_iPKfiiiSE_SE_iiiii,comdat
	.protected	_ZN4vllm25paged_attention_v2_kernelI14__hip_bfloat16hLi32ELi32ELi128ELNS_18Fp8KVCacheDataTypeE1ELb1ELi512EEEvPfS3_PT_PKS4_PKT0_SA_ifPKiSC_iPKfiiiSE_SE_iiiii ; -- Begin function _ZN4vllm25paged_attention_v2_kernelI14__hip_bfloat16hLi32ELi32ELi128ELNS_18Fp8KVCacheDataTypeE1ELb1ELi512EEEvPfS3_PT_PKS4_PKT0_SA_ifPKiSC_iPKfiiiSE_SE_iiiii
	.globl	_ZN4vllm25paged_attention_v2_kernelI14__hip_bfloat16hLi32ELi32ELi128ELNS_18Fp8KVCacheDataTypeE1ELb1ELi512EEEvPfS3_PT_PKS4_PKT0_SA_ifPKiSC_iPKfiiiSE_SE_iiiii
	.p2align	8
	.type	_ZN4vllm25paged_attention_v2_kernelI14__hip_bfloat16hLi32ELi32ELi128ELNS_18Fp8KVCacheDataTypeE1ELb1ELi512EEEvPfS3_PT_PKS4_PKT0_SA_ifPKiSC_iPKfiiiSE_SE_iiiii,@function
_ZN4vllm25paged_attention_v2_kernelI14__hip_bfloat16hLi32ELi32ELi128ELNS_18Fp8KVCacheDataTypeE1ELb1ELi512EEEvPfS3_PT_PKS4_PKT0_SA_ifPKiSC_iPKfiiiSE_SE_iiiii: ; @_ZN4vllm25paged_attention_v2_kernelI14__hip_bfloat16hLi32ELi32ELi128ELNS_18Fp8KVCacheDataTypeE1ELb1ELi512EEEvPfS3_PT_PKS4_PKT0_SA_ifPKiSC_iPKfiiiSE_SE_iiiii
; %bb.0:
	s_load_dwordx2 s[0:1], s[4:5], 0x40
	s_mov_b32 s30, s7
	s_ashr_i32 s31, s7, 31
	s_lshl_b64 s[2:3], s[30:31], 2
	s_waitcnt lgkmcnt(0)
	s_add_u32 s0, s0, s2
	s_addc_u32 s1, s1, s3
	s_lshl_b32 s40, s8, 9
	s_load_dword s31, s[0:1], 0x0
	s_waitcnt lgkmcnt(0)
	s_cmp_ge_i32 s40, s31
	s_cbranch_scc1 .LBB371_548
; %bb.1:
	s_clause 0x1
	s_load_dword s9, s[4:5], 0x90
	s_load_dwordx2 s[2:3], s[4:5], 0x30
	s_mov_b32 s42, 0
	s_waitcnt lgkmcnt(0)
	s_abs_i32 s10, s9
	s_abs_i32 s0, s2
	v_cvt_f32_u32_e32 v1, s0
	s_sub_i32 s7, 0, s0
	v_rcp_iflag_f32_e32 v1, v1
	v_mul_f32_e32 v1, 0x4f7ffffe, v1
	v_cvt_u32_f32_e32 v1, v1
	v_readfirstlane_b32 s1, v1
	s_mul_i32 s7, s7, s1
	s_mul_hi_u32 s7, s1, s7
	s_add_i32 s1, s1, s7
	s_xor_b32 s7, s9, s2
	s_mul_hi_u32 s1, s10, s1
	s_ashr_i32 s7, s7, 31
	s_mul_i32 s11, s1, s0
	s_sub_i32 s10, s10, s11
	s_add_i32 s11, s1, 1
	s_sub_i32 s12, s10, s0
	s_cmp_ge_u32 s10, s0
	s_cselect_b32 s1, s11, s1
	s_cselect_b32 s10, s12, s10
	s_add_i32 s11, s1, 1
	s_cmp_ge_u32 s10, s0
	s_cselect_b32 s0, s11, s1
	s_abs_i32 s13, s6
	s_xor_b32 s0, s0, s7
	s_sub_i32 s10, s0, s7
	s_load_dwordx2 s[0:1], s[4:5], 0x50
	s_abs_i32 s12, s10
	v_cvt_f32_u32_e32 v1, s12
	s_sub_i32 s11, 0, s12
	v_rcp_iflag_f32_e32 v1, v1
	v_mul_f32_e32 v1, 0x4f7ffffe, v1
	v_cvt_u32_f32_e32 v1, v1
	v_readfirstlane_b32 s7, v1
	s_mul_i32 s11, s11, s7
	s_mul_hi_u32 s11, s7, s11
	s_add_i32 s7, s7, s11
	s_waitcnt lgkmcnt(0)
	s_cmp_eq_u64 s[0:1], 0
	s_mul_hi_u32 s14, s13, s7
	s_cbranch_scc1 .LBB371_3
; %bb.2:
	s_ashr_i32 s7, s6, 31
	s_lshl_b64 s[16:17], s[6:7], 2
	s_add_u32 s0, s0, s16
	s_addc_u32 s1, s1, s17
	s_load_dword s42, s[0:1], 0x0
.LBB371_3:
	s_load_dwordx4 s[16:19], s[4:5], 0x58
	s_ashr_i32 s0, s6, 31
	s_ashr_i32 s1, s10, 31
	s_lshl_b32 s10, s6, 5
	s_mov_b32 s7, exec_lo
	v_cmpx_gt_u32_e32 4, v0
	s_cbranch_execz .LBB371_5
; %bb.4:
	s_load_dwordx2 s[20:21], s[4:5], 0x18
	s_waitcnt lgkmcnt(0)
	s_mul_i32 s22, s16, s30
	v_lshlrev_b32_e32 v5, 4, v0
	s_ashr_i32 s23, s22, 31
	s_lshl_b64 s[22:23], s[22:23], 1
	s_add_u32 s15, s20, s22
	s_addc_u32 s16, s21, s23
	s_ashr_i32 s11, s10, 31
	s_lshl_b64 s[20:21], s[10:11], 1
	s_add_u32 s20, s15, s20
	s_addc_u32 s21, s16, s21
	global_load_dwordx4 v[1:4], v5, s[20:21]
	s_waitcnt vmcnt(0)
	ds_write_b128 v5, v[1:4]
.LBB371_5:
	s_or_b32 exec_lo, exec_lo, s7
	s_load_dwordx4 s[20:23], s[4:5], 0x78
	s_mul_i32 s7, s14, s12
	s_xor_b32 s0, s0, s1
	s_sub_i32 s1, s13, s7
	s_add_i32 s7, s14, 1
	s_sub_i32 s11, s1, s12
	s_cmp_ge_u32 s1, s12
	s_mov_b32 s13, -1
	s_cselect_b32 s7, s7, s14
	s_cselect_b32 s1, s11, s1
	s_add_i32 s11, s7, 1
	s_cmp_ge_u32 s1, s12
                                        ; implicit-def: $sgpr19
	s_cselect_b32 s1, s11, s7
	s_load_dword s7, s[4:5], 0x88
	s_xor_b32 s1, s1, s0
	s_add_i32 s12, s31, -1
	s_sub_i32 s1, s1, s0
	s_abs_i32 s33, s12
	s_waitcnt lgkmcnt(0)
	s_abs_i32 s11, s23
	s_barrier
	v_cvt_f32_u32_e32 v1, s11
	s_sub_i32 s0, 0, s11
	buffer_gl0_inv
	v_rcp_iflag_f32_e32 v1, v1
	v_mul_f32_e32 v1, 0x4f7ffffe, v1
	v_cvt_u32_f32_e32 v1, v1
	v_readfirstlane_b32 s16, v1
	s_mul_i32 s0, s0, s16
	s_mul_hi_u32 s0, s16, s0
	s_add_i32 s16, s16, s0
	s_cmp_lt_i32 s7, 0
	s_mul_hi_u32 s0, s33, s16
	s_cbranch_scc0 .LBB371_7
; %bb.6:
	s_mul_i32 s2, s20, s2
	s_mov_b32 s13, 0
	s_add_i32 s2, s1, s2
	s_mul_i32 s2, s2, s7
	s_sub_i32 s19, 1, s2
.LBB371_7:
	s_load_dwordx2 s[34:35], s[4:5], 0x38
	s_ashr_i32 s2, s12, 31
	s_andn2_b32 vcc_lo, exec_lo, s13
	s_ashr_i32 s23, s23, 31
	s_cbranch_vccnz .LBB371_9
; %bb.8:
	s_mul_i32 s12, s9, s20
	s_add_i32 s12, s12, s6
	s_mul_i32 s7, s12, s7
	s_add_i32 s19, s7, 1
.LBB371_9:
	s_clause 0x5
	s_load_dword s20, s[4:5], 0x48
	s_load_dwordx2 s[38:39], s[4:5], 0x28
	s_load_dwordx4 s[24:27], s[4:5], 0x0
	s_load_dwordx2 s[28:29], s[4:5], 0x10
	s_load_dword s7, s[4:5], 0x98
	s_load_dwordx4 s[12:15], s[4:5], 0x68
	s_mul_i32 s36, s0, s11
	s_xor_b32 s2, s2, s23
	s_sub_i32 s33, s33, s36
	s_add_i32 s41, s0, 1
	v_lshrrev_b32_e32 v22, 5, v0
	v_and_b32_e32 v23, 31, v0
	v_mov_b32_e32 v29, 0xff7fffff
	s_mul_i32 s18, s1, s18
	v_lshl_add_u32 v24, v22, 5, s40
	v_lshlrev_b32_e32 v15, 2, v23
	s_waitcnt lgkmcnt(0)
	s_mul_i32 s36, s20, s30
	s_sub_i32 s20, s33, s11
	s_ashr_i32 s37, s36, 31
	s_cmp_ge_u32 s33, s11
	s_cselect_b32 s0, s41, s0
	s_cselect_b32 s20, s20, s33
	s_add_i32 s33, s0, 1
	s_cmp_ge_u32 s20, s11
	s_cselect_b32 s0, s33, s0
	s_add_i32 s20, s31, 31
	s_lshl_b32 s43, s8, 4
	s_ashr_i32 s33, s20, 31
	v_add_nc_u32_e32 v9, s43, v22
	s_lshr_b32 s33, s33, 27
	s_add_i32 s41, s43, 16
	s_add_i32 s20, s20, s33
	s_xor_b32 s44, s0, s2
	s_ashr_i32 s33, s20, 5
	v_ashrrev_i32_e32 v10, 31, v9
	s_min_i32 s20, s41, s33
	s_sub_i32 s41, s44, s2
	v_cmp_gt_i32_e64 s0, s20, v9
	s_and_saveexec_b32 s44, s0
	s_cbranch_execz .LBB371_257
; %bb.10:
	s_load_dwordx2 s[4:5], s[4:5], 0x20
	v_lshlrev_b32_e32 v1, 4, v23
	s_sub_i32 s45, s41, s21
	s_ashr_i32 s1, s18, 31
	v_mov_b32_e32 v2, 0
	v_lshlrev_b64 v[53:54], 2, v[9:10]
	v_subrev_nc_u32_e32 v29, s31, v23
	v_lshl_or_b32 v55, v22, 7, v15
	v_cmp_neq_f32_e64 vcc_lo, s42, 0
	ds_read_b128 v[5:8], v2
	ds_read_b128 v[11:14], v2 offset:16
	ds_read_b128 v[40:43], v2 offset:32
	;; [unrolled: 1-line block ×3, first 2 shown]
	v_mov_b32_e32 v56, 0xff7fffff
	v_add_nc_u32_e32 v55, 0x60, v55
	v_mov_b32_e32 v57, 0x80
	v_mov_b32_e32 v58, 0xffff
	;; [unrolled: 1-line block ×6, first 2 shown]
	s_mov_b32 s46, s17
	s_waitcnt lgkmcnt(0)
	s_add_u32 s2, s4, s18
	s_addc_u32 s1, s5, s1
	s_abs_i32 s47, s22
	v_add_co_u32 v3, s2, s2, v1
	v_cvt_f32_u32_e32 v1, s47
	v_add_co_ci_u32_e64 v4, null, s1, 0, s2
	s_sub_i32 s1, 0, s47
	v_lshlrev_b32_e32 v16, 16, v5
	v_rcp_iflag_f32_e32 v1, v1
	v_and_b32_e32 v17, 0xffff0000, v5
	s_lshl_b64 s[4:5], s[36:37], 2
	v_lshlrev_b32_e32 v18, 16, v6
	s_add_u32 s2, s34, s4
	s_addc_u32 s4, s35, s5
	v_and_b32_e32 v19, 0xffff0000, v6
	v_lshlrev_b32_e32 v20, 16, v7
	v_and_b32_e32 v21, 0xffff0000, v7
	v_lshlrev_b32_e32 v25, 16, v8
	v_mul_f32_e32 v1, 0x4f7ffffe, v1
	v_and_b32_e32 v26, 0xffff0000, v8
	v_lshlrev_b32_e32 v27, 16, v11
	v_and_b32_e32 v28, 0xffff0000, v11
	v_lshlrev_b32_e32 v30, 16, v12
	v_cvt_u32_f32_e32 v1, v1
	v_and_b32_e32 v31, 0xffff0000, v12
	v_lshlrev_b32_e32 v32, 16, v13
	v_and_b32_e32 v33, 0xffff0000, v13
	v_lshlrev_b32_e32 v34, 16, v14
	v_mul_lo_u32 v5, s1, v1
	v_and_b32_e32 v35, 0xffff0000, v14
	v_lshlrev_b32_e32 v36, 16, v40
	v_and_b32_e32 v37, 0xffff0000, v40
	v_lshlrev_b32_e32 v38, 16, v41
	;; [unrolled: 2-line block ×3, first 2 shown]
	v_and_b32_e32 v41, 0xffff0000, v42
	v_mul_hi_u32 v5, v1, v5
	v_lshlrev_b32_e32 v42, 16, v43
	v_and_b32_e32 v43, 0xffff0000, v43
	v_lshlrev_b32_e32 v44, 16, v48
	v_and_b32_e32 v45, 0xffff0000, v48
	;; [unrolled: 2-line block ×3, first 2 shown]
	v_lshlrev_b32_e32 v48, 16, v50
	v_add_nc_u32_e32 v52, v1, v5
	v_add_co_u32 v5, s1, s2, v53
	v_and_b32_e32 v49, 0xffff0000, v50
	v_lshlrev_b32_e32 v50, 16, v51
	v_and_b32_e32 v51, 0xffff0000, v51
	v_add_co_ci_u32_e64 v6, null, s4, v54, s1
	v_lshl_add_u32 v53, v22, 5, s40
	v_add_nc_u32_e32 v54, 1, v29
	v_mov_b32_e32 v29, 0xff7fffff
	s_mov_b32 s4, -1
	s_mov_b32 s48, 0
	s_mov_b32 s5, 0xffffff
	s_branch .LBB371_16
.LBB371_11:                             ;   in Loop: Header=BB371_16 Depth=1
	s_or_b32 exec_lo, exec_lo, s53
	v_lshlrev_b32_sdwa v8, v61, v8 dst_sel:DWORD dst_unused:UNUSED_PAD src0_sel:DWORD src1_sel:BYTE_3
	v_lshlrev_b32_e32 v1, 20, v1
	v_lshl_add_u32 v7, v7, 23, 0x3c000000
	v_and_b32_e32 v8, 0x80000000, v8
	v_or3_b32 v12, v1, v8, v7
.LBB371_12:                             ;   in Loop: Header=BB371_16 Depth=1
	s_or_b32 exec_lo, exec_lo, s52
.LBB371_13:                             ;   in Loop: Header=BB371_16 Depth=1
	s_or_b32 exec_lo, exec_lo, s51
.LBB371_14:                             ;   in Loop: Header=BB371_16 Depth=1
	s_or_b32 exec_lo, exec_lo, s50
	s_waitcnt lgkmcnt(0)
	v_mul_f32_e32 v1, s49, v14
	v_mul_f32_e32 v7, s49, v83
	;; [unrolled: 1-line block ×5, first 2 shown]
	v_bfe_u32 v14, v1, 16, 1
	v_bfe_u32 v82, v7, 16, 1
	v_or_b32_e32 v83, 0x400000, v1
	v_cmp_u_f32_e64 s1, v1, v1
	v_or_b32_e32 v91, 0x400000, v7
	v_add3_u32 v14, v14, v1, 0x7fff
	v_bfe_u32 v92, v8, 16, 1
	v_add3_u32 v82, v82, v7, 0x7fff
	v_bfe_u32 v93, v81, 16, 1
	v_mul_f32_e32 v85, s49, v85
	v_cndmask_b32_e64 v1, v14, v83, s1
	v_cmp_u_f32_e64 s1, v7, v7
	v_add3_u32 v14, v92, v8, 0x7fff
	v_add3_u32 v83, v93, v81, 0x7fff
	v_bfe_u32 v92, v80, 16, 1
	v_mul_f32_e32 v76, s49, v76
	v_cndmask_b32_e64 v7, v82, v91, s1
	v_or_b32_e32 v82, 0x400000, v8
	v_cmp_u_f32_e64 s1, v8, v8
	v_mul_f32_e32 v91, s49, v79
	v_or_b32_e32 v79, 0x400000, v81
	v_bfe_u32 v93, v76, 16, 1
	v_mul_f32_e32 v72, s49, v72
	v_cndmask_b32_e64 v8, v14, v82, s1
	v_cmp_u_f32_e64 s1, v81, v81
	v_bfe_u32 v14, v91, 16, 1
	v_add3_u32 v81, v92, v80, 0x7fff
	v_mul_f32_e32 v82, s49, v86
	v_or_b32_e32 v86, 0x400000, v91
	v_cndmask_b32_e64 v79, v83, v79, s1
	v_or_b32_e32 v83, 0x400000, v80
	v_cmp_u_f32_e64 s1, v80, v80
	v_add3_u32 v14, v14, v91, 0x7fff
	v_bfe_u32 v92, v82, 16, 1
	v_mul_f32_e32 v71, s49, v71
	v_mul_f32_e32 v78, s49, v78
	v_cndmask_b32_e64 v80, v81, v83, s1
	v_cmp_u_f32_e64 s1, v91, v91
	v_bfe_u32 v83, v85, 16, 1
	v_mul_f32_e32 v91, s49, v75
	v_mul_f32_e32 v77, s49, v77
	;; [unrolled: 1-line block ×3, first 2 shown]
	v_cndmask_b32_e64 v81, v14, v86, s1
	v_add3_u32 v14, v92, v82, 0x7fff
	v_or_b32_e32 v86, 0x400000, v82
	v_cmp_u_f32_e64 s1, v82, v82
	v_add3_u32 v83, v83, v85, 0x7fff
	v_or_b32_e32 v92, 0x400000, v85
	v_bfe_u32 v82, v91, 16, 1
	v_mul_f32_e32 v67, s49, v67
	v_cndmask_b32_e64 v75, v14, v86, s1
	v_cmp_u_f32_e64 s1, v85, v85
	v_mul_f32_e32 v85, s49, v74
	v_or_b32_e32 v74, 0x400000, v76
	v_add3_u32 v82, v82, v91, 0x7fff
	v_mul_f32_e32 v86, s49, v73
	v_cndmask_b32_e64 v14, v83, v92, s1
	v_add3_u32 v83, v93, v76, 0x7fff
	v_cmp_u_f32_e64 s1, v76, v76
	v_or_b32_e32 v92, 0x400000, v91
	v_bfe_u32 v93, v85, 16, 1
	v_bfe_u32 v76, v86, 16, 1
	v_mul_f32_e32 v66, s49, v66
	v_cndmask_b32_e64 v73, v83, v74, s1
	v_cmp_u_f32_e64 s1, v91, v91
	v_or_b32_e32 v83, 0x400000, v85
	v_add3_u32 v76, v76, v86, 0x7fff
	v_or_b32_e32 v91, 0x400000, v86
	v_mul_f32_e32 v65, s49, v65
	v_cndmask_b32_e64 v74, v82, v92, s1
	v_add3_u32 v82, v93, v85, 0x7fff
	v_cmp_u_f32_e64 s1, v85, v85
	v_bfe_u32 v92, v72, 16, 1
	v_mul_f32_e32 v64, s49, v64
	v_mul_f32_e32 v63, s49, v63
	v_mul_f32_e32 v70, s49, v70
	v_cndmask_b32_e64 v82, v82, v83, s1
	v_cmp_u_f32_e64 s1, v86, v86
	v_bfe_u32 v83, v71, 16, 1
	v_add3_u32 v85, v92, v72, 0x7fff
	v_or_b32_e32 v86, 0x400000, v72
	v_bfe_u32 v92, v78, 16, 1
	v_cndmask_b32_e64 v76, v76, v91, s1
	v_cmp_u_f32_e64 s1, v72, v72
	v_add3_u32 v83, v83, v71, 0x7fff
	v_or_b32_e32 v91, 0x400000, v71
	v_mul_f32_e32 v69, s49, v69
	v_mul_f32_e32 v11, s49, v11
	v_cndmask_b32_e64 v72, v85, v86, s1
	v_cmp_u_f32_e64 s1, v71, v71
	v_bfe_u32 v85, v77, 16, 1
	v_or_b32_e32 v86, 0x400000, v78
	v_mul_f32_e32 v89, s49, v89
	v_mul_f32_e32 v88, s49, v88
	v_cndmask_b32_e64 v71, v83, v91, s1
	v_add3_u32 v83, v92, v78, 0x7fff
	v_cmp_u_f32_e64 s1, v78, v78
	v_add3_u32 v85, v85, v77, 0x7fff
	v_or_b32_e32 v91, 0x400000, v77
	v_bfe_u32 v92, v68, 16, 1
	v_mul_f32_e32 v87, s49, v87
	v_cndmask_b32_e64 v78, v83, v86, s1
	v_cmp_u_f32_e64 s1, v77, v77
	v_bfe_u32 v83, v67, 16, 1
	v_or_b32_e32 v86, 0x400000, v68
	v_bfe_u32 v93, v88, 16, 1
	v_mul_f32_e32 v84, s49, v84
	v_cndmask_b32_e64 v77, v85, v91, s1
	v_add3_u32 v85, v92, v68, 0x7fff
	v_cmp_u_f32_e64 s1, v68, v68
	v_add3_u32 v83, v83, v67, 0x7fff
	v_or_b32_e32 v91, 0x400000, v67
	v_bfe_u32 v92, v66, 16, 1
	v_and_b32_e32 v71, 0xffff0000, v71
	v_cndmask_b32_e64 v68, v85, v86, s1
	v_cmp_u_f32_e64 s1, v67, v67
	v_bfe_u32 v85, v65, 16, 1
	v_or_b32_e32 v86, 0x400000, v66
	v_and_b32_e32 v76, 0xffff0000, v76
	v_mul_f32_e32 v13, s49, v13
	v_cndmask_b32_e64 v67, v83, v91, s1
	v_add3_u32 v83, v92, v66, 0x7fff
	v_cmp_u_f32_e64 s1, v66, v66
	v_add3_u32 v85, v85, v65, 0x7fff
	v_or_b32_e32 v91, 0x400000, v65
	v_bfe_u32 v92, v64, 16, 1
	v_and_b32_e32 v72, 0xffff0000, v72
	v_cndmask_b32_e64 v66, v83, v86, s1
	v_cmp_u_f32_e64 s1, v65, v65
	v_bfe_u32 v83, v63, 16, 1
	v_or_b32_e32 v86, 0x400000, v64
	v_mul_f32_e32 v71, v27, v71
	v_mul_f32_e32 v76, v30, v76
	v_cndmask_b32_e64 v65, v85, v91, s1
	v_add3_u32 v85, v92, v64, 0x7fff
	v_cmp_u_f32_e64 s1, v64, v64
	v_add3_u32 v83, v83, v63, 0x7fff
	v_or_b32_e32 v91, 0x400000, v63
	v_bfe_u32 v92, v70, 16, 1
	v_and_b32_e32 v65, 0xffff0000, v65
	v_cndmask_b32_e64 v64, v85, v86, s1
	v_cmp_u_f32_e64 s1, v63, v63
	v_bfe_u32 v85, v69, 16, 1
	v_or_b32_e32 v86, 0x400000, v70
	v_mul_f32_e32 v72, v28, v72
	v_and_b32_e32 v64, 0xffff0000, v64
	v_cndmask_b32_e64 v63, v83, v91, s1
	v_add3_u32 v83, v92, v70, 0x7fff
	v_cmp_u_f32_e64 s1, v70, v70
	v_add3_u32 v85, v85, v69, 0x7fff
	v_or_b32_e32 v91, 0x400000, v69
	v_or_b32_e32 v92, 0x400000, v89
	v_and_b32_e32 v63, 0xffff0000, v63
	v_cndmask_b32_e64 v70, v83, v86, s1
	v_bfe_u32 v83, v11, 16, 1
	v_cmp_u_f32_e64 s1, v69, v69
	v_and_b32_e32 v82, 0xffff0000, v82
	v_fmac_f32_e32 v71, v16, v63
	v_and_b32_e32 v63, 0xffff0000, v74
	v_add3_u32 v83, v83, v11, 0x7fff
	v_cndmask_b32_e64 v69, v85, v91, s1
	v_bfe_u32 v85, v89, 16, 1
	v_or_b32_e32 v91, 0x400000, v11
	v_cmp_u_f32_e64 s1, v11, v11
	v_fmac_f32_e32 v76, v18, v65
	v_and_b32_e32 v65, 0xffff0000, v73
	v_add3_u32 v85, v85, v89, 0x7fff
	v_and_b32_e32 v66, 0xffff0000, v66
	v_cndmask_b32_e64 v11, v83, v91, s1
	v_cmp_u_f32_e64 s1, v89, v89
	v_bfe_u32 v83, v87, 16, 1
	v_add3_u32 v89, v93, v88, 0x7fff
	v_or_b32_e32 v91, 0x400000, v88
	v_and_b32_e32 v67, 0xffff0000, v67
	v_cndmask_b32_e64 v85, v85, v92, s1
	v_cmp_u_f32_e64 s1, v88, v88
	v_add3_u32 v83, v83, v87, 0x7fff
	v_or_b32_e32 v92, 0x400000, v87
	v_and_b32_e32 v68, 0xffff0000, v68
	v_fmac_f32_e32 v72, v17, v64
	v_cndmask_b32_e64 v88, v89, v91, s1
	v_bfe_u32 v89, v84, 16, 1
	v_cmp_u_f32_e64 s1, v87, v87
	v_mul_f32_e32 v87, s49, v90
	v_or_b32_e32 v90, 0x400000, v84
	v_bfe_u32 v91, v13, 16, 1
	v_add3_u32 v89, v89, v84, 0x7fff
	v_cndmask_b32_e64 v83, v83, v92, s1
	v_cmp_u_f32_e64 s1, v84, v84
	v_mul_f32_e32 v64, v31, v82
	v_and_b32_e32 v73, 0xffff0000, v78
	v_mul_f32_e32 v63, v32, v63
	v_and_b32_e32 v74, 0xffff0000, v77
	v_cndmask_b32_e64 v84, v89, v90, s1
	v_add3_u32 v90, v91, v13, 0x7fff
	v_or_b32_e32 v91, 0x400000, v13
	v_cmp_u_f32_e64 s1, v13, v13
	v_mul_f32_e32 v65, v33, v65
	v_and_b32_e32 v69, 0xffff0000, v69
	v_fmac_f32_e32 v64, v19, v66
	v_mul_f32_e32 v66, v34, v73
	v_cndmask_b32_e64 v13, v90, v91, s1
	v_fmac_f32_e32 v63, v20, v67
	v_mul_f32_e32 v67, v35, v74
	v_and_b32_e32 v73, 0xffff0000, v81
	v_fmac_f32_e32 v65, v21, v68
	v_and_b32_e32 v68, 0xffff0000, v80
	v_and_b32_e32 v13, 0xffff0000, v13
	v_fmac_f32_e32 v67, v26, v69
	v_fmac_f32_e32 v71, v36, v73
	v_and_b32_e32 v69, 0xffff0000, v79
	v_fmac_f32_e32 v72, v37, v68
	v_and_b32_e32 v68, 0xffff0000, v84
	v_and_b32_e32 v8, 0xffff0000, v8
	v_fmac_f32_e32 v71, v44, v13
	v_fmac_f32_e32 v76, v38, v69
	v_and_b32_e32 v13, 0xffff0000, v83
	v_fmac_f32_e32 v72, v45, v68
	v_mul_f32_e32 v12, s49, v12
	v_bfe_u32 v92, v87, 16, 1
	v_fmac_f32_e32 v64, v39, v8
	v_and_b32_e32 v7, 0xffff0000, v7
	v_and_b32_e32 v8, 0xffff0000, v88
	v_fmac_f32_e32 v76, v46, v13
	v_add_f32_e32 v13, v71, v72
	v_bfe_u32 v89, v12, 16, 1
	v_add3_u32 v92, v92, v87, 0x7fff
	v_or_b32_e32 v93, 0x400000, v87
	v_cmp_u_f32_e64 s1, v87, v87
	v_and_b32_e32 v70, 0xffff0000, v70
	v_and_b32_e32 v1, 0xffff0000, v1
	v_fmac_f32_e32 v63, v40, v7
	v_fmac_f32_e32 v64, v47, v8
	v_and_b32_e32 v7, 0xffff0000, v85
	v_add_f32_e32 v8, v13, v76
	v_add3_u32 v89, v89, v12, 0x7fff
	v_or_b32_e32 v94, 0x400000, v12
	v_cndmask_b32_e64 v87, v92, v93, s1
	v_cmp_u_f32_e64 s1, v12, v12
	v_fmac_f32_e32 v66, v25, v70
	v_fmac_f32_e32 v65, v41, v1
	v_and_b32_e32 v1, 0xffff0000, v75
	v_and_b32_e32 v11, 0xffff0000, v11
	v_fmac_f32_e32 v63, v48, v7
	v_add_f32_e32 v7, v8, v64
	v_add_nc_u32_e32 v86, v54, v53
	v_cndmask_b32_e64 v12, v89, v94, s1
	v_and_b32_e32 v8, 0xffff0000, v14
	v_fmac_f32_e32 v66, v42, v1
	v_fmac_f32_e32 v65, v49, v11
	v_and_b32_e32 v1, 0xffff0000, v87
	v_add_f32_e32 v7, v7, v63
	v_cvt_f32_i32_e32 v11, v86
	v_fmac_f32_e32 v67, v43, v8
	v_and_b32_e32 v8, 0xffff0000, v12
	v_fmac_f32_e32 v66, v50, v1
	v_add_f32_e32 v1, v7, v65
	v_mul_f32_e32 v7, s42, v11
	v_fmac_f32_e32 v67, v51, v8
	v_add_nc_u32_e32 v8, v23, v53
	v_add_f32_e32 v1, v1, v66
	v_cndmask_b32_e32 v7, 0, v7, vcc_lo
	v_cmp_gt_i32_e64 s1, s31, v8
	v_add_f32_e32 v1, v1, v67
	v_fmac_f32_e32 v7, s3, v1
	v_max_f32_e32 v1, v29, v29
	v_max_f32_e32 v1, v1, v7
	v_cndmask_b32_e64 v7, 0, v7, s1
	v_cndmask_b32_e64 v29, v29, v1, s1
	ds_write_b32 v55, v7
.LBB371_15:                             ;   in Loop: Header=BB371_16 Depth=1
	s_or_b32 exec_lo, exec_lo, s2
	v_add_nc_u32_e32 v62, 4, v62
	v_add_co_u32 v5, s2, v5, 16
	v_add_co_ci_u32_e64 v6, null, 0, v6, s2
	v_cmp_le_i32_e64 s1, s20, v62
	v_add_nc_u32_e32 v53, 0x80, v53
	v_add_nc_u32_e32 v55, 0x200, v55
	s_or_b32 s48, s1, s48
	s_andn2_b32 exec_lo, exec_lo, s48
	s_cbranch_execz .LBB371_256
.LBB371_16:                             ; =>This Inner Loop Header: Depth=1
	v_sub_nc_u32_e32 v1, 0, v53
	v_max_i32_e32 v1, v53, v1
	v_mul_hi_u32 v7, v1, s16
	v_mul_lo_u32 v8, v7, s11
	v_sub_nc_u32_e32 v1, v1, v8
	v_add_nc_u32_e32 v8, 1, v7
	v_subrev_nc_u32_e32 v11, s11, v1
	v_cmp_le_u32_e64 s1, s11, v1
	v_cndmask_b32_e64 v7, v7, v8, s1
	v_cndmask_b32_e64 v1, v1, v11, s1
	v_ashrrev_i32_e32 v8, 31, v53
	v_add_nc_u32_e32 v11, 1, v7
	v_cmp_le_u32_e64 s1, s11, v1
	v_xor_b32_e32 v8, s23, v8
	v_cndmask_b32_e64 v1, v7, v11, s1
	v_xor_b32_e32 v1, v1, v8
	v_sub_nc_u32_e32 v1, v1, v8
	v_add_nc_u32_e32 v7, s19, v1
	v_cmp_ge_i32_e64 s2, s45, v1
	v_sub_nc_u32_e32 v8, 0, v7
	v_max_i32_e32 v8, v7, v8
	v_ashrrev_i32_e32 v7, 31, v7
	v_mul_hi_u32 v11, v8, v52
	v_mul_lo_u32 v11, v11, s47
	v_sub_nc_u32_e32 v8, v8, v11
	v_subrev_nc_u32_e32 v11, s47, v8
	v_cmp_le_u32_e64 s1, s47, v8
	v_cndmask_b32_e64 v8, v8, v11, s1
	v_subrev_nc_u32_e32 v11, s47, v8
	v_cmp_le_u32_e64 s1, s47, v8
	v_cndmask_b32_e64 v8, v8, v11, s1
	v_xor_b32_e32 v8, v8, v7
	v_sub_nc_u32_e32 v7, v8, v7
	v_cmp_ne_u32_e64 s1, 0, v7
	s_and_b32 s1, s1, s2
	s_and_saveexec_b32 s2, s1
	s_xor_b32 s1, exec_lo, s2
; %bb.17:                               ;   in Loop: Header=BB371_16 Depth=1
	ds_write_b32 v55, v56
; %bb.18:                               ;   in Loop: Header=BB371_16 Depth=1
	s_andn2_saveexec_b32 s2, s1
	s_cbranch_execz .LBB371_15
; %bb.19:                               ;   in Loop: Header=BB371_16 Depth=1
	global_load_dword v1, v[5:6], off
	s_load_dword s49, s[12:13], 0x0
	v_mov_b32_e32 v64, 0
	v_mov_b32_e32 v63, 0
	s_waitcnt vmcnt(0)
	v_mad_i64_i32 v[7:8], null, v1, s46, v[3:4]
	global_load_dwordx2 v[11:12], v[7:8], off
	s_waitcnt vmcnt(0)
	v_cmp_ne_u16_sdwa s1, v11, v2 src0_sel:BYTE_0 src1_sel:DWORD
	s_and_saveexec_b32 s50, s1
	s_cbranch_execz .LBB371_25
; %bb.20:                               ;   in Loop: Header=BB371_16 Depth=1
	v_cmp_ne_u16_sdwa s1, v11, v57 src0_sel:BYTE_0 src1_sel:DWORD
	v_bfrev_b32_e32 v63, 1
	s_and_saveexec_b32 s51, s1
	s_cbranch_execz .LBB371_24
; %bb.21:                               ;   in Loop: Header=BB371_16 Depth=1
	v_and_b32_e32 v1, 0x7f, v11
	v_mov_b32_e32 v63, 0x7f800001
	s_mov_b32 s52, exec_lo
	v_cmpx_ne_u32_e32 0x7f, v1
	s_cbranch_execz .LBB371_23
; %bb.22:                               ;   in Loop: Header=BB371_16 Depth=1
	v_and_b32_e32 v13, 7, v11
	v_lshrrev_b32_e32 v14, 3, v1
	v_cmp_gt_u32_e64 s1, 8, v1
	v_ffbh_u32_e32 v13, v13
	v_min_u32_e32 v13, 32, v13
	v_subrev_nc_u32_e32 v63, 28, v13
	v_sub_nc_u32_e32 v13, 29, v13
	v_cndmask_b32_e64 v1, v14, v13, s1
	v_cndmask_b32_e64 v13, 0, v63, s1
	v_lshl_add_u32 v1, v1, 23, 0x3c000000
	v_lshlrev_b64 v[13:14], v13, v[11:12]
	v_lshlrev_b32_e32 v14, 24, v11
	v_lshlrev_b32_e32 v13, 20, v13
	v_and_b32_e32 v14, 0x80000000, v14
	v_and_b32_e32 v13, 0x700000, v13
	v_or3_b32 v63, v13, v14, v1
.LBB371_23:                             ;   in Loop: Header=BB371_16 Depth=1
	s_or_b32 exec_lo, exec_lo, s52
.LBB371_24:                             ;   in Loop: Header=BB371_16 Depth=1
	s_or_b32 exec_lo, exec_lo, s51
.LBB371_25:                             ;   in Loop: Header=BB371_16 Depth=1
	s_or_b32 exec_lo, exec_lo, s50
	v_cmp_ne_u16_sdwa s1, v11, v2 src0_sel:BYTE_1 src1_sel:DWORD
	s_and_saveexec_b32 s50, s1
	s_cbranch_execz .LBB371_33
; %bb.26:                               ;   in Loop: Header=BB371_16 Depth=1
	v_cmp_ne_u16_sdwa s1, v11, v57 src0_sel:BYTE_1 src1_sel:DWORD
	v_bfrev_b32_e32 v64, 1
	s_and_saveexec_b32 s51, s1
	s_cbranch_execz .LBB371_32
; %bb.27:                               ;   in Loop: Header=BB371_16 Depth=1
	v_and_b32_sdwa v1, v58, v11 dst_sel:DWORD dst_unused:UNUSED_PAD src0_sel:DWORD src1_sel:BYTE_1
	v_mov_b32_e32 v64, 0x7f800001
	s_mov_b32 s52, exec_lo
	v_and_b32_e32 v14, 0x7f, v1
	v_cmpx_ne_u32_e32 0x7f, v14
	s_cbranch_execz .LBB371_31
; %bb.28:                               ;   in Loop: Header=BB371_16 Depth=1
	v_and_b32_e32 v1, 7, v1
	v_lshrrev_b32_e32 v13, 3, v14
	s_mov_b32 s53, exec_lo
	v_cmpx_gt_u32_e32 8, v14
; %bb.29:                               ;   in Loop: Header=BB371_16 Depth=1
	v_ffbh_u32_e32 v13, v1
	v_min_u32_e32 v13, 32, v13
	v_subrev_nc_u32_e32 v14, 28, v13
	v_sub_nc_u32_e32 v13, 29, v13
	v_lshlrev_b64 v[64:65], v14, v[1:2]
	v_and_b32_e32 v1, 7, v64
; %bb.30:                               ;   in Loop: Header=BB371_16 Depth=1
	s_or_b32 exec_lo, exec_lo, s53
	v_lshlrev_b32_e32 v14, 16, v11
	v_lshlrev_b32_e32 v1, 20, v1
	v_lshl_add_u32 v13, v13, 23, 0x3c000000
	v_and_b32_e32 v14, 0x80000000, v14
	v_or3_b32 v64, v1, v14, v13
.LBB371_31:                             ;   in Loop: Header=BB371_16 Depth=1
	s_or_b32 exec_lo, exec_lo, s52
.LBB371_32:                             ;   in Loop: Header=BB371_16 Depth=1
	s_or_b32 exec_lo, exec_lo, s51
.LBB371_33:                             ;   in Loop: Header=BB371_16 Depth=1
	s_or_b32 exec_lo, exec_lo, s50
	v_and_b32_sdwa v1, v11, v59 dst_sel:DWORD dst_unused:UNUSED_PAD src0_sel:WORD_1 src1_sel:DWORD
	v_mov_b32_e32 v66, 0
	v_mov_b32_e32 v65, 0
	s_mov_b32 s50, exec_lo
	v_cmpx_ne_u16_e32 0, v1
	s_cbranch_execz .LBB371_41
; %bb.34:                               ;   in Loop: Header=BB371_16 Depth=1
	v_bfrev_b32_e32 v65, 1
	s_mov_b32 s51, exec_lo
	v_cmpx_ne_u16_e32 0x80, v1
	s_cbranch_execz .LBB371_40
; %bb.35:                               ;   in Loop: Header=BB371_16 Depth=1
	v_bfe_u32 v14, v11, 16, 7
	v_mov_b32_e32 v65, 0x7f800001
	s_mov_b32 s52, exec_lo
	v_cmpx_ne_u32_e32 0x7f, v14
	s_cbranch_execz .LBB371_39
; %bb.36:                               ;   in Loop: Header=BB371_16 Depth=1
	v_and_b32_sdwa v1, v11, v60 dst_sel:DWORD dst_unused:UNUSED_PAD src0_sel:WORD_1 src1_sel:DWORD
	v_lshrrev_b32_e32 v13, 3, v14
	s_mov_b32 s53, exec_lo
	v_cmpx_gt_u32_e32 8, v14
; %bb.37:                               ;   in Loop: Header=BB371_16 Depth=1
	v_ffbh_u32_e32 v13, v1
	v_min_u32_e32 v13, 32, v13
	v_subrev_nc_u32_e32 v14, 28, v13
	v_sub_nc_u32_e32 v13, 29, v13
	v_lshlrev_b64 v[67:68], v14, v[1:2]
	v_and_b32_e32 v1, 7, v67
; %bb.38:                               ;   in Loop: Header=BB371_16 Depth=1
	s_or_b32 exec_lo, exec_lo, s53
	v_lshlrev_b32_sdwa v14, v61, v11 dst_sel:DWORD dst_unused:UNUSED_PAD src0_sel:DWORD src1_sel:WORD_1
	v_lshlrev_b32_e32 v1, 20, v1
	v_lshl_add_u32 v13, v13, 23, 0x3c000000
	v_and_b32_e32 v14, 0x80000000, v14
	v_or3_b32 v65, v1, v14, v13
.LBB371_39:                             ;   in Loop: Header=BB371_16 Depth=1
	s_or_b32 exec_lo, exec_lo, s52
.LBB371_40:                             ;   in Loop: Header=BB371_16 Depth=1
	s_or_b32 exec_lo, exec_lo, s51
.LBB371_41:                             ;   in Loop: Header=BB371_16 Depth=1
	s_or_b32 exec_lo, exec_lo, s50
	s_mov_b32 s50, exec_lo
	v_cmpx_lt_u32_e32 0xffffff, v11
	s_cbranch_execz .LBB371_49
; %bb.42:                               ;   in Loop: Header=BB371_16 Depth=1
	v_cmp_ne_u32_sdwa s1, v11, v57 src0_sel:BYTE_3 src1_sel:DWORD
	v_bfrev_b32_e32 v66, 1
	s_and_saveexec_b32 s51, s1
	s_cbranch_execz .LBB371_48
; %bb.43:                               ;   in Loop: Header=BB371_16 Depth=1
	v_bfe_u32 v14, v11, 24, 7
	v_mov_b32_e32 v66, 0x7f800001
	s_mov_b32 s52, exec_lo
	v_cmpx_ne_u32_e32 0x7f, v14
	s_cbranch_execz .LBB371_47
; %bb.44:                               ;   in Loop: Header=BB371_16 Depth=1
	v_and_b32_sdwa v1, v11, v60 dst_sel:DWORD dst_unused:UNUSED_PAD src0_sel:BYTE_3 src1_sel:DWORD
	v_lshrrev_b32_e32 v13, 3, v14
	s_mov_b32 s53, exec_lo
	v_cmpx_gt_u32_e32 8, v14
; %bb.45:                               ;   in Loop: Header=BB371_16 Depth=1
	v_ffbh_u32_e32 v13, v1
	v_min_u32_e32 v13, 32, v13
	v_subrev_nc_u32_e32 v14, 28, v13
	v_sub_nc_u32_e32 v13, 29, v13
	v_lshlrev_b64 v[66:67], v14, v[1:2]
	v_and_b32_e32 v1, 7, v66
; %bb.46:                               ;   in Loop: Header=BB371_16 Depth=1
	s_or_b32 exec_lo, exec_lo, s53
	v_lshlrev_b32_sdwa v14, v61, v11 dst_sel:DWORD dst_unused:UNUSED_PAD src0_sel:DWORD src1_sel:BYTE_3
	v_lshlrev_b32_e32 v1, 20, v1
	v_lshl_add_u32 v13, v13, 23, 0x3c000000
	v_and_b32_e32 v14, 0x80000000, v14
	v_or3_b32 v66, v1, v14, v13
.LBB371_47:                             ;   in Loop: Header=BB371_16 Depth=1
	s_or_b32 exec_lo, exec_lo, s52
.LBB371_48:                             ;   in Loop: Header=BB371_16 Depth=1
	s_or_b32 exec_lo, exec_lo, s51
.LBB371_49:                             ;   in Loop: Header=BB371_16 Depth=1
	s_or_b32 exec_lo, exec_lo, s50
	v_mov_b32_e32 v1, v12
	v_cmp_ne_u16_sdwa s1, v12, v2 src0_sel:BYTE_0 src1_sel:DWORD
	v_mov_b32_e32 v68, 0
	v_mov_b32_e32 v67, 0
	s_and_saveexec_b32 s50, s1
	s_cbranch_execz .LBB371_55
; %bb.50:                               ;   in Loop: Header=BB371_16 Depth=1
	v_cmp_ne_u16_sdwa s1, v12, v57 src0_sel:BYTE_0 src1_sel:DWORD
	v_bfrev_b32_e32 v67, 1
	s_and_saveexec_b32 s51, s1
	s_cbranch_execz .LBB371_54
; %bb.51:                               ;   in Loop: Header=BB371_16 Depth=1
	v_and_b32_e32 v13, 0x7f, v12
	v_mov_b32_e32 v67, 0x7f800001
	s_mov_b32 s52, exec_lo
	v_cmpx_ne_u32_e32 0x7f, v13
	s_cbranch_execz .LBB371_53
; %bb.52:                               ;   in Loop: Header=BB371_16 Depth=1
	v_and_b32_e32 v14, 7, v12
	v_cmp_gt_u32_e64 s1, 8, v13
	v_lshrrev_b32_e32 v67, 3, v13
	v_ffbh_u32_e32 v14, v14
	v_min_u32_e32 v14, 32, v14
	v_subrev_nc_u32_e32 v69, 28, v14
	v_sub_nc_u32_e32 v14, 29, v14
	v_cndmask_b32_e64 v13, 0, v69, s1
	v_cndmask_b32_e64 v67, v67, v14, s1
	v_lshlrev_b64 v[13:14], v13, v[1:2]
	v_lshlrev_b32_e32 v14, 24, v1
	v_lshl_add_u32 v67, v67, 23, 0x3c000000
	v_lshlrev_b32_e32 v13, 20, v13
	v_and_b32_e32 v14, 0x80000000, v14
	v_and_b32_e32 v13, 0x700000, v13
	v_or3_b32 v67, v13, v14, v67
.LBB371_53:                             ;   in Loop: Header=BB371_16 Depth=1
	s_or_b32 exec_lo, exec_lo, s52
.LBB371_54:                             ;   in Loop: Header=BB371_16 Depth=1
	s_or_b32 exec_lo, exec_lo, s51
.LBB371_55:                             ;   in Loop: Header=BB371_16 Depth=1
	s_or_b32 exec_lo, exec_lo, s50
	v_cmp_ne_u16_sdwa s1, v1, v2 src0_sel:BYTE_1 src1_sel:DWORD
	s_and_saveexec_b32 s50, s1
	s_cbranch_execz .LBB371_63
; %bb.56:                               ;   in Loop: Header=BB371_16 Depth=1
	v_cmp_ne_u16_sdwa s1, v1, v57 src0_sel:BYTE_1 src1_sel:DWORD
	v_bfrev_b32_e32 v68, 1
	s_and_saveexec_b32 s51, s1
	s_cbranch_execz .LBB371_62
; %bb.57:                               ;   in Loop: Header=BB371_16 Depth=1
	v_and_b32_sdwa v13, v58, v1 dst_sel:DWORD dst_unused:UNUSED_PAD src0_sel:DWORD src1_sel:BYTE_1
	v_mov_b32_e32 v68, 0x7f800001
	s_mov_b32 s52, exec_lo
	v_and_b32_e32 v69, 0x7f, v13
	v_cmpx_ne_u32_e32 0x7f, v69
	s_cbranch_execz .LBB371_61
; %bb.58:                               ;   in Loop: Header=BB371_16 Depth=1
	v_and_b32_e32 v13, 7, v13
	v_mov_b32_e32 v14, v2
	v_lshrrev_b32_e32 v68, 3, v69
	s_mov_b32 s53, exec_lo
	v_cmpx_gt_u32_e32 8, v69
; %bb.59:                               ;   in Loop: Header=BB371_16 Depth=1
	v_ffbh_u32_e32 v68, v13
	v_min_u32_e32 v68, 32, v68
	v_subrev_nc_u32_e32 v69, 28, v68
	v_sub_nc_u32_e32 v68, 29, v68
	v_lshlrev_b64 v[13:14], v69, v[13:14]
	v_and_b32_e32 v13, 7, v13
; %bb.60:                               ;   in Loop: Header=BB371_16 Depth=1
	s_or_b32 exec_lo, exec_lo, s53
	v_lshlrev_b32_e32 v1, 16, v1
	v_lshlrev_b32_e32 v13, 20, v13
	v_lshl_add_u32 v14, v68, 23, 0x3c000000
	v_and_b32_e32 v1, 0x80000000, v1
	v_or3_b32 v68, v13, v1, v14
.LBB371_61:                             ;   in Loop: Header=BB371_16 Depth=1
	s_or_b32 exec_lo, exec_lo, s52
.LBB371_62:                             ;   in Loop: Header=BB371_16 Depth=1
	s_or_b32 exec_lo, exec_lo, s51
.LBB371_63:                             ;   in Loop: Header=BB371_16 Depth=1
	s_or_b32 exec_lo, exec_lo, s50
	v_and_b32_sdwa v1, v12, v59 dst_sel:DWORD dst_unused:UNUSED_PAD src0_sel:WORD_1 src1_sel:DWORD
	v_mov_b32_e32 v69, 0
	v_mov_b32_e32 v70, 0
	s_mov_b32 s50, exec_lo
	v_cmpx_ne_u16_e32 0, v1
	s_cbranch_execz .LBB371_71
; %bb.64:                               ;   in Loop: Header=BB371_16 Depth=1
	v_bfrev_b32_e32 v70, 1
	s_mov_b32 s51, exec_lo
	v_cmpx_ne_u16_e32 0x80, v1
	s_cbranch_execz .LBB371_70
; %bb.65:                               ;   in Loop: Header=BB371_16 Depth=1
	v_bfe_u32 v14, v12, 16, 7
	v_mov_b32_e32 v70, 0x7f800001
	s_mov_b32 s52, exec_lo
	v_cmpx_ne_u32_e32 0x7f, v14
	s_cbranch_execz .LBB371_69
; %bb.66:                               ;   in Loop: Header=BB371_16 Depth=1
	v_and_b32_sdwa v1, v12, v60 dst_sel:DWORD dst_unused:UNUSED_PAD src0_sel:WORD_1 src1_sel:DWORD
	v_lshrrev_b32_e32 v13, 3, v14
	s_mov_b32 s53, exec_lo
	v_cmpx_gt_u32_e32 8, v14
; %bb.67:                               ;   in Loop: Header=BB371_16 Depth=1
	v_ffbh_u32_e32 v13, v1
	v_min_u32_e32 v13, 32, v13
	v_subrev_nc_u32_e32 v14, 28, v13
	v_sub_nc_u32_e32 v13, 29, v13
	v_lshlrev_b64 v[70:71], v14, v[1:2]
	v_and_b32_e32 v1, 7, v70
; %bb.68:                               ;   in Loop: Header=BB371_16 Depth=1
	s_or_b32 exec_lo, exec_lo, s53
	v_lshlrev_b32_sdwa v14, v61, v12 dst_sel:DWORD dst_unused:UNUSED_PAD src0_sel:DWORD src1_sel:WORD_1
	v_lshlrev_b32_e32 v1, 20, v1
	v_lshl_add_u32 v13, v13, 23, 0x3c000000
	v_and_b32_e32 v14, 0x80000000, v14
	v_or3_b32 v70, v1, v14, v13
.LBB371_69:                             ;   in Loop: Header=BB371_16 Depth=1
	s_or_b32 exec_lo, exec_lo, s52
.LBB371_70:                             ;   in Loop: Header=BB371_16 Depth=1
	s_or_b32 exec_lo, exec_lo, s51
.LBB371_71:                             ;   in Loop: Header=BB371_16 Depth=1
	s_or_b32 exec_lo, exec_lo, s50
	s_mov_b32 s50, exec_lo
	v_cmpx_lt_u64_e64 s[4:5], v[11:12]
	s_cbranch_execz .LBB371_79
; %bb.72:                               ;   in Loop: Header=BB371_16 Depth=1
	v_cmp_ne_u32_sdwa s1, v12, v57 src0_sel:BYTE_3 src1_sel:DWORD
	v_bfrev_b32_e32 v69, 1
	s_and_saveexec_b32 s51, s1
	s_cbranch_execz .LBB371_78
; %bb.73:                               ;   in Loop: Header=BB371_16 Depth=1
	v_bfe_u32 v13, v12, 24, 7
	v_mov_b32_e32 v69, 0x7f800001
	s_mov_b32 s52, exec_lo
	v_cmpx_ne_u32_e32 0x7f, v13
	s_cbranch_execz .LBB371_77
; %bb.74:                               ;   in Loop: Header=BB371_16 Depth=1
	v_and_b32_sdwa v1, v12, v60 dst_sel:DWORD dst_unused:UNUSED_PAD src0_sel:BYTE_3 src1_sel:DWORD
	v_lshrrev_b32_e32 v11, 3, v13
	s_mov_b32 s53, exec_lo
	v_cmpx_gt_u32_e32 8, v13
; %bb.75:                               ;   in Loop: Header=BB371_16 Depth=1
	v_ffbh_u32_e32 v11, v1
	v_min_u32_e32 v11, 32, v11
	v_subrev_nc_u32_e32 v13, 28, v11
	v_sub_nc_u32_e32 v11, 29, v11
	v_lshlrev_b64 v[13:14], v13, v[1:2]
	v_and_b32_e32 v1, 7, v13
; %bb.76:                               ;   in Loop: Header=BB371_16 Depth=1
	s_or_b32 exec_lo, exec_lo, s53
	v_lshlrev_b32_sdwa v12, v61, v12 dst_sel:DWORD dst_unused:UNUSED_PAD src0_sel:DWORD src1_sel:BYTE_3
	v_lshlrev_b32_e32 v1, 20, v1
	v_lshl_add_u32 v11, v11, 23, 0x3c000000
	v_and_b32_e32 v12, 0x80000000, v12
	v_or3_b32 v69, v1, v12, v11
.LBB371_77:                             ;   in Loop: Header=BB371_16 Depth=1
	s_or_b32 exec_lo, exec_lo, s52
.LBB371_78:                             ;   in Loop: Header=BB371_16 Depth=1
	s_or_b32 exec_lo, exec_lo, s51
.LBB371_79:                             ;   in Loop: Header=BB371_16 Depth=1
	s_or_b32 exec_lo, exec_lo, s50
	global_load_dwordx2 v[11:12], v[7:8], off offset:8
	v_mov_b32_e32 v72, 0
	v_mov_b32_e32 v71, 0
	s_waitcnt vmcnt(0)
	v_cmp_ne_u16_sdwa s1, v11, v2 src0_sel:BYTE_0 src1_sel:DWORD
	s_and_saveexec_b32 s50, s1
	s_cbranch_execz .LBB371_85
; %bb.80:                               ;   in Loop: Header=BB371_16 Depth=1
	v_cmp_ne_u16_sdwa s1, v11, v57 src0_sel:BYTE_0 src1_sel:DWORD
	v_bfrev_b32_e32 v71, 1
	s_and_saveexec_b32 s51, s1
	s_cbranch_execz .LBB371_84
; %bb.81:                               ;   in Loop: Header=BB371_16 Depth=1
	v_and_b32_e32 v1, 0x7f, v11
	v_mov_b32_e32 v71, 0x7f800001
	s_mov_b32 s52, exec_lo
	v_cmpx_ne_u32_e32 0x7f, v1
	s_cbranch_execz .LBB371_83
; %bb.82:                               ;   in Loop: Header=BB371_16 Depth=1
	v_and_b32_e32 v13, 7, v11
	v_lshrrev_b32_e32 v14, 3, v1
	v_cmp_gt_u32_e64 s1, 8, v1
	v_ffbh_u32_e32 v13, v13
	v_min_u32_e32 v13, 32, v13
	v_subrev_nc_u32_e32 v71, 28, v13
	v_sub_nc_u32_e32 v13, 29, v13
	v_cndmask_b32_e64 v1, v14, v13, s1
	v_cndmask_b32_e64 v13, 0, v71, s1
	v_lshl_add_u32 v1, v1, 23, 0x3c000000
	v_lshlrev_b64 v[13:14], v13, v[11:12]
	v_lshlrev_b32_e32 v14, 24, v11
	v_lshlrev_b32_e32 v13, 20, v13
	v_and_b32_e32 v14, 0x80000000, v14
	v_and_b32_e32 v13, 0x700000, v13
	v_or3_b32 v71, v13, v14, v1
.LBB371_83:                             ;   in Loop: Header=BB371_16 Depth=1
	s_or_b32 exec_lo, exec_lo, s52
.LBB371_84:                             ;   in Loop: Header=BB371_16 Depth=1
	s_or_b32 exec_lo, exec_lo, s51
.LBB371_85:                             ;   in Loop: Header=BB371_16 Depth=1
	s_or_b32 exec_lo, exec_lo, s50
	v_cmp_ne_u16_sdwa s1, v11, v2 src0_sel:BYTE_1 src1_sel:DWORD
	s_and_saveexec_b32 s50, s1
	s_cbranch_execz .LBB371_93
; %bb.86:                               ;   in Loop: Header=BB371_16 Depth=1
	v_cmp_ne_u16_sdwa s1, v11, v57 src0_sel:BYTE_1 src1_sel:DWORD
	v_bfrev_b32_e32 v72, 1
	s_and_saveexec_b32 s51, s1
	s_cbranch_execz .LBB371_92
; %bb.87:                               ;   in Loop: Header=BB371_16 Depth=1
	v_and_b32_sdwa v1, v58, v11 dst_sel:DWORD dst_unused:UNUSED_PAD src0_sel:DWORD src1_sel:BYTE_1
	v_mov_b32_e32 v72, 0x7f800001
	s_mov_b32 s52, exec_lo
	v_and_b32_e32 v14, 0x7f, v1
	v_cmpx_ne_u32_e32 0x7f, v14
	s_cbranch_execz .LBB371_91
; %bb.88:                               ;   in Loop: Header=BB371_16 Depth=1
	v_and_b32_e32 v1, 7, v1
	v_lshrrev_b32_e32 v13, 3, v14
	s_mov_b32 s53, exec_lo
	v_cmpx_gt_u32_e32 8, v14
; %bb.89:                               ;   in Loop: Header=BB371_16 Depth=1
	v_ffbh_u32_e32 v13, v1
	v_min_u32_e32 v13, 32, v13
	v_subrev_nc_u32_e32 v14, 28, v13
	v_sub_nc_u32_e32 v13, 29, v13
	v_lshlrev_b64 v[72:73], v14, v[1:2]
	v_and_b32_e32 v1, 7, v72
; %bb.90:                               ;   in Loop: Header=BB371_16 Depth=1
	s_or_b32 exec_lo, exec_lo, s53
	v_lshlrev_b32_e32 v14, 16, v11
	v_lshlrev_b32_e32 v1, 20, v1
	v_lshl_add_u32 v13, v13, 23, 0x3c000000
	v_and_b32_e32 v14, 0x80000000, v14
	v_or3_b32 v72, v1, v14, v13
.LBB371_91:                             ;   in Loop: Header=BB371_16 Depth=1
	s_or_b32 exec_lo, exec_lo, s52
.LBB371_92:                             ;   in Loop: Header=BB371_16 Depth=1
	s_or_b32 exec_lo, exec_lo, s51
.LBB371_93:                             ;   in Loop: Header=BB371_16 Depth=1
	s_or_b32 exec_lo, exec_lo, s50
	v_and_b32_sdwa v1, v11, v59 dst_sel:DWORD dst_unused:UNUSED_PAD src0_sel:WORD_1 src1_sel:DWORD
	v_mov_b32_e32 v74, 0
	v_mov_b32_e32 v73, 0
	s_mov_b32 s50, exec_lo
	v_cmpx_ne_u16_e32 0, v1
	s_cbranch_execz .LBB371_101
; %bb.94:                               ;   in Loop: Header=BB371_16 Depth=1
	v_bfrev_b32_e32 v73, 1
	s_mov_b32 s51, exec_lo
	v_cmpx_ne_u16_e32 0x80, v1
	s_cbranch_execz .LBB371_100
; %bb.95:                               ;   in Loop: Header=BB371_16 Depth=1
	v_bfe_u32 v14, v11, 16, 7
	v_mov_b32_e32 v73, 0x7f800001
	s_mov_b32 s52, exec_lo
	v_cmpx_ne_u32_e32 0x7f, v14
	s_cbranch_execz .LBB371_99
; %bb.96:                               ;   in Loop: Header=BB371_16 Depth=1
	v_and_b32_sdwa v1, v11, v60 dst_sel:DWORD dst_unused:UNUSED_PAD src0_sel:WORD_1 src1_sel:DWORD
	v_lshrrev_b32_e32 v13, 3, v14
	s_mov_b32 s53, exec_lo
	v_cmpx_gt_u32_e32 8, v14
; %bb.97:                               ;   in Loop: Header=BB371_16 Depth=1
	v_ffbh_u32_e32 v13, v1
	v_min_u32_e32 v13, 32, v13
	v_subrev_nc_u32_e32 v14, 28, v13
	v_sub_nc_u32_e32 v13, 29, v13
	v_lshlrev_b64 v[75:76], v14, v[1:2]
	v_and_b32_e32 v1, 7, v75
; %bb.98:                               ;   in Loop: Header=BB371_16 Depth=1
	s_or_b32 exec_lo, exec_lo, s53
	v_lshlrev_b32_sdwa v14, v61, v11 dst_sel:DWORD dst_unused:UNUSED_PAD src0_sel:DWORD src1_sel:WORD_1
	v_lshlrev_b32_e32 v1, 20, v1
	v_lshl_add_u32 v13, v13, 23, 0x3c000000
	v_and_b32_e32 v14, 0x80000000, v14
	v_or3_b32 v73, v1, v14, v13
.LBB371_99:                             ;   in Loop: Header=BB371_16 Depth=1
	s_or_b32 exec_lo, exec_lo, s52
.LBB371_100:                            ;   in Loop: Header=BB371_16 Depth=1
	s_or_b32 exec_lo, exec_lo, s51
.LBB371_101:                            ;   in Loop: Header=BB371_16 Depth=1
	s_or_b32 exec_lo, exec_lo, s50
	s_mov_b32 s50, exec_lo
	v_cmpx_lt_u32_e32 0xffffff, v11
	s_cbranch_execz .LBB371_109
; %bb.102:                              ;   in Loop: Header=BB371_16 Depth=1
	v_cmp_ne_u32_sdwa s1, v11, v57 src0_sel:BYTE_3 src1_sel:DWORD
	v_bfrev_b32_e32 v74, 1
	s_and_saveexec_b32 s51, s1
	s_cbranch_execz .LBB371_108
; %bb.103:                              ;   in Loop: Header=BB371_16 Depth=1
	v_bfe_u32 v14, v11, 24, 7
	v_mov_b32_e32 v74, 0x7f800001
	s_mov_b32 s52, exec_lo
	v_cmpx_ne_u32_e32 0x7f, v14
	s_cbranch_execz .LBB371_107
; %bb.104:                              ;   in Loop: Header=BB371_16 Depth=1
	v_and_b32_sdwa v1, v11, v60 dst_sel:DWORD dst_unused:UNUSED_PAD src0_sel:BYTE_3 src1_sel:DWORD
	v_lshrrev_b32_e32 v13, 3, v14
	s_mov_b32 s53, exec_lo
	v_cmpx_gt_u32_e32 8, v14
; %bb.105:                              ;   in Loop: Header=BB371_16 Depth=1
	v_ffbh_u32_e32 v13, v1
	v_min_u32_e32 v13, 32, v13
	v_subrev_nc_u32_e32 v14, 28, v13
	v_sub_nc_u32_e32 v13, 29, v13
	v_lshlrev_b64 v[74:75], v14, v[1:2]
	v_and_b32_e32 v1, 7, v74
; %bb.106:                              ;   in Loop: Header=BB371_16 Depth=1
	s_or_b32 exec_lo, exec_lo, s53
	v_lshlrev_b32_sdwa v14, v61, v11 dst_sel:DWORD dst_unused:UNUSED_PAD src0_sel:DWORD src1_sel:BYTE_3
	v_lshlrev_b32_e32 v1, 20, v1
	v_lshl_add_u32 v13, v13, 23, 0x3c000000
	v_and_b32_e32 v14, 0x80000000, v14
	v_or3_b32 v74, v1, v14, v13
.LBB371_107:                            ;   in Loop: Header=BB371_16 Depth=1
	s_or_b32 exec_lo, exec_lo, s52
.LBB371_108:                            ;   in Loop: Header=BB371_16 Depth=1
	s_or_b32 exec_lo, exec_lo, s51
.LBB371_109:                            ;   in Loop: Header=BB371_16 Depth=1
	s_or_b32 exec_lo, exec_lo, s50
	v_mov_b32_e32 v1, v12
	v_cmp_ne_u16_sdwa s1, v12, v2 src0_sel:BYTE_0 src1_sel:DWORD
	v_mov_b32_e32 v76, 0
	v_mov_b32_e32 v75, 0
	s_and_saveexec_b32 s50, s1
	s_cbranch_execz .LBB371_115
; %bb.110:                              ;   in Loop: Header=BB371_16 Depth=1
	v_cmp_ne_u16_sdwa s1, v12, v57 src0_sel:BYTE_0 src1_sel:DWORD
	v_bfrev_b32_e32 v75, 1
	s_and_saveexec_b32 s51, s1
	s_cbranch_execz .LBB371_114
; %bb.111:                              ;   in Loop: Header=BB371_16 Depth=1
	v_and_b32_e32 v13, 0x7f, v12
	v_mov_b32_e32 v75, 0x7f800001
	s_mov_b32 s52, exec_lo
	v_cmpx_ne_u32_e32 0x7f, v13
	s_cbranch_execz .LBB371_113
; %bb.112:                              ;   in Loop: Header=BB371_16 Depth=1
	v_and_b32_e32 v14, 7, v12
	v_cmp_gt_u32_e64 s1, 8, v13
	v_lshrrev_b32_e32 v75, 3, v13
	v_ffbh_u32_e32 v14, v14
	v_min_u32_e32 v14, 32, v14
	v_subrev_nc_u32_e32 v77, 28, v14
	v_sub_nc_u32_e32 v14, 29, v14
	v_cndmask_b32_e64 v13, 0, v77, s1
	v_cndmask_b32_e64 v75, v75, v14, s1
	v_lshlrev_b64 v[13:14], v13, v[1:2]
	v_lshlrev_b32_e32 v14, 24, v1
	v_lshl_add_u32 v75, v75, 23, 0x3c000000
	v_lshlrev_b32_e32 v13, 20, v13
	v_and_b32_e32 v14, 0x80000000, v14
	v_and_b32_e32 v13, 0x700000, v13
	v_or3_b32 v75, v13, v14, v75
.LBB371_113:                            ;   in Loop: Header=BB371_16 Depth=1
	s_or_b32 exec_lo, exec_lo, s52
.LBB371_114:                            ;   in Loop: Header=BB371_16 Depth=1
	s_or_b32 exec_lo, exec_lo, s51
.LBB371_115:                            ;   in Loop: Header=BB371_16 Depth=1
	s_or_b32 exec_lo, exec_lo, s50
	v_cmp_ne_u16_sdwa s1, v1, v2 src0_sel:BYTE_1 src1_sel:DWORD
	s_and_saveexec_b32 s50, s1
	s_cbranch_execz .LBB371_123
; %bb.116:                              ;   in Loop: Header=BB371_16 Depth=1
	v_cmp_ne_u16_sdwa s1, v1, v57 src0_sel:BYTE_1 src1_sel:DWORD
	v_bfrev_b32_e32 v76, 1
	s_and_saveexec_b32 s51, s1
	s_cbranch_execz .LBB371_122
; %bb.117:                              ;   in Loop: Header=BB371_16 Depth=1
	v_and_b32_sdwa v13, v58, v1 dst_sel:DWORD dst_unused:UNUSED_PAD src0_sel:DWORD src1_sel:BYTE_1
	v_mov_b32_e32 v76, 0x7f800001
	s_mov_b32 s52, exec_lo
	v_and_b32_e32 v77, 0x7f, v13
	v_cmpx_ne_u32_e32 0x7f, v77
	s_cbranch_execz .LBB371_121
; %bb.118:                              ;   in Loop: Header=BB371_16 Depth=1
	v_and_b32_e32 v13, 7, v13
	v_mov_b32_e32 v14, v2
	v_lshrrev_b32_e32 v76, 3, v77
	s_mov_b32 s53, exec_lo
	v_cmpx_gt_u32_e32 8, v77
; %bb.119:                              ;   in Loop: Header=BB371_16 Depth=1
	v_ffbh_u32_e32 v76, v13
	v_min_u32_e32 v76, 32, v76
	v_subrev_nc_u32_e32 v77, 28, v76
	v_sub_nc_u32_e32 v76, 29, v76
	v_lshlrev_b64 v[13:14], v77, v[13:14]
	v_and_b32_e32 v13, 7, v13
; %bb.120:                              ;   in Loop: Header=BB371_16 Depth=1
	s_or_b32 exec_lo, exec_lo, s53
	v_lshlrev_b32_e32 v1, 16, v1
	v_lshlrev_b32_e32 v13, 20, v13
	v_lshl_add_u32 v14, v76, 23, 0x3c000000
	v_and_b32_e32 v1, 0x80000000, v1
	v_or3_b32 v76, v13, v1, v14
.LBB371_121:                            ;   in Loop: Header=BB371_16 Depth=1
	s_or_b32 exec_lo, exec_lo, s52
.LBB371_122:                            ;   in Loop: Header=BB371_16 Depth=1
	s_or_b32 exec_lo, exec_lo, s51
.LBB371_123:                            ;   in Loop: Header=BB371_16 Depth=1
	s_or_b32 exec_lo, exec_lo, s50
	v_and_b32_sdwa v1, v12, v59 dst_sel:DWORD dst_unused:UNUSED_PAD src0_sel:WORD_1 src1_sel:DWORD
	v_mov_b32_e32 v77, 0
	v_mov_b32_e32 v78, 0
	s_mov_b32 s50, exec_lo
	v_cmpx_ne_u16_e32 0, v1
	s_cbranch_execz .LBB371_131
; %bb.124:                              ;   in Loop: Header=BB371_16 Depth=1
	v_bfrev_b32_e32 v78, 1
	s_mov_b32 s51, exec_lo
	v_cmpx_ne_u16_e32 0x80, v1
	s_cbranch_execz .LBB371_130
; %bb.125:                              ;   in Loop: Header=BB371_16 Depth=1
	v_bfe_u32 v14, v12, 16, 7
	v_mov_b32_e32 v78, 0x7f800001
	s_mov_b32 s52, exec_lo
	v_cmpx_ne_u32_e32 0x7f, v14
	s_cbranch_execz .LBB371_129
; %bb.126:                              ;   in Loop: Header=BB371_16 Depth=1
	v_and_b32_sdwa v1, v12, v60 dst_sel:DWORD dst_unused:UNUSED_PAD src0_sel:WORD_1 src1_sel:DWORD
	v_lshrrev_b32_e32 v13, 3, v14
	s_mov_b32 s53, exec_lo
	v_cmpx_gt_u32_e32 8, v14
; %bb.127:                              ;   in Loop: Header=BB371_16 Depth=1
	v_ffbh_u32_e32 v13, v1
	v_min_u32_e32 v13, 32, v13
	v_subrev_nc_u32_e32 v14, 28, v13
	v_sub_nc_u32_e32 v13, 29, v13
	v_lshlrev_b64 v[78:79], v14, v[1:2]
	v_and_b32_e32 v1, 7, v78
; %bb.128:                              ;   in Loop: Header=BB371_16 Depth=1
	s_or_b32 exec_lo, exec_lo, s53
	v_lshlrev_b32_sdwa v14, v61, v12 dst_sel:DWORD dst_unused:UNUSED_PAD src0_sel:DWORD src1_sel:WORD_1
	v_lshlrev_b32_e32 v1, 20, v1
	v_lshl_add_u32 v13, v13, 23, 0x3c000000
	v_and_b32_e32 v14, 0x80000000, v14
	v_or3_b32 v78, v1, v14, v13
.LBB371_129:                            ;   in Loop: Header=BB371_16 Depth=1
	s_or_b32 exec_lo, exec_lo, s52
.LBB371_130:                            ;   in Loop: Header=BB371_16 Depth=1
	s_or_b32 exec_lo, exec_lo, s51
.LBB371_131:                            ;   in Loop: Header=BB371_16 Depth=1
	s_or_b32 exec_lo, exec_lo, s50
	s_mov_b32 s50, exec_lo
	v_cmpx_lt_u64_e64 s[4:5], v[11:12]
	s_cbranch_execz .LBB371_139
; %bb.132:                              ;   in Loop: Header=BB371_16 Depth=1
	v_cmp_ne_u32_sdwa s1, v12, v57 src0_sel:BYTE_3 src1_sel:DWORD
	v_bfrev_b32_e32 v77, 1
	s_and_saveexec_b32 s51, s1
	s_cbranch_execz .LBB371_138
; %bb.133:                              ;   in Loop: Header=BB371_16 Depth=1
	v_bfe_u32 v13, v12, 24, 7
	v_mov_b32_e32 v77, 0x7f800001
	s_mov_b32 s52, exec_lo
	v_cmpx_ne_u32_e32 0x7f, v13
	s_cbranch_execz .LBB371_137
; %bb.134:                              ;   in Loop: Header=BB371_16 Depth=1
	v_and_b32_sdwa v1, v12, v60 dst_sel:DWORD dst_unused:UNUSED_PAD src0_sel:BYTE_3 src1_sel:DWORD
	v_lshrrev_b32_e32 v11, 3, v13
	s_mov_b32 s53, exec_lo
	v_cmpx_gt_u32_e32 8, v13
; %bb.135:                              ;   in Loop: Header=BB371_16 Depth=1
	v_ffbh_u32_e32 v11, v1
	v_min_u32_e32 v11, 32, v11
	v_subrev_nc_u32_e32 v13, 28, v11
	v_sub_nc_u32_e32 v11, 29, v11
	v_lshlrev_b64 v[13:14], v13, v[1:2]
	v_and_b32_e32 v1, 7, v13
; %bb.136:                              ;   in Loop: Header=BB371_16 Depth=1
	s_or_b32 exec_lo, exec_lo, s53
	v_lshlrev_b32_sdwa v12, v61, v12 dst_sel:DWORD dst_unused:UNUSED_PAD src0_sel:DWORD src1_sel:BYTE_3
	v_lshlrev_b32_e32 v1, 20, v1
	v_lshl_add_u32 v11, v11, 23, 0x3c000000
	v_and_b32_e32 v12, 0x80000000, v12
	v_or3_b32 v77, v1, v12, v11
.LBB371_137:                            ;   in Loop: Header=BB371_16 Depth=1
	s_or_b32 exec_lo, exec_lo, s52
.LBB371_138:                            ;   in Loop: Header=BB371_16 Depth=1
	s_or_b32 exec_lo, exec_lo, s51
.LBB371_139:                            ;   in Loop: Header=BB371_16 Depth=1
	s_or_b32 exec_lo, exec_lo, s50
	global_load_dwordx2 v[11:12], v[7:8], off offset:512
	v_mov_b32_e32 v80, 0
	v_mov_b32_e32 v79, 0
	s_waitcnt vmcnt(0)
	v_cmp_ne_u16_sdwa s1, v11, v2 src0_sel:BYTE_0 src1_sel:DWORD
	s_and_saveexec_b32 s50, s1
	s_cbranch_execz .LBB371_145
; %bb.140:                              ;   in Loop: Header=BB371_16 Depth=1
	v_cmp_ne_u16_sdwa s1, v11, v57 src0_sel:BYTE_0 src1_sel:DWORD
	v_bfrev_b32_e32 v79, 1
	s_and_saveexec_b32 s51, s1
	s_cbranch_execz .LBB371_144
; %bb.141:                              ;   in Loop: Header=BB371_16 Depth=1
	v_and_b32_e32 v1, 0x7f, v11
	v_mov_b32_e32 v79, 0x7f800001
	s_mov_b32 s52, exec_lo
	v_cmpx_ne_u32_e32 0x7f, v1
	s_cbranch_execz .LBB371_143
; %bb.142:                              ;   in Loop: Header=BB371_16 Depth=1
	v_and_b32_e32 v13, 7, v11
	v_lshrrev_b32_e32 v14, 3, v1
	v_cmp_gt_u32_e64 s1, 8, v1
	v_ffbh_u32_e32 v13, v13
	v_min_u32_e32 v13, 32, v13
	v_subrev_nc_u32_e32 v79, 28, v13
	v_sub_nc_u32_e32 v13, 29, v13
	v_cndmask_b32_e64 v1, v14, v13, s1
	v_cndmask_b32_e64 v13, 0, v79, s1
	v_lshl_add_u32 v1, v1, 23, 0x3c000000
	v_lshlrev_b64 v[13:14], v13, v[11:12]
	v_lshlrev_b32_e32 v14, 24, v11
	v_lshlrev_b32_e32 v13, 20, v13
	v_and_b32_e32 v14, 0x80000000, v14
	v_and_b32_e32 v13, 0x700000, v13
	v_or3_b32 v79, v13, v14, v1
.LBB371_143:                            ;   in Loop: Header=BB371_16 Depth=1
	s_or_b32 exec_lo, exec_lo, s52
.LBB371_144:                            ;   in Loop: Header=BB371_16 Depth=1
	s_or_b32 exec_lo, exec_lo, s51
.LBB371_145:                            ;   in Loop: Header=BB371_16 Depth=1
	s_or_b32 exec_lo, exec_lo, s50
	v_cmp_ne_u16_sdwa s1, v11, v2 src0_sel:BYTE_1 src1_sel:DWORD
	s_and_saveexec_b32 s50, s1
	s_cbranch_execz .LBB371_153
; %bb.146:                              ;   in Loop: Header=BB371_16 Depth=1
	v_cmp_ne_u16_sdwa s1, v11, v57 src0_sel:BYTE_1 src1_sel:DWORD
	v_bfrev_b32_e32 v80, 1
	s_and_saveexec_b32 s51, s1
	s_cbranch_execz .LBB371_152
; %bb.147:                              ;   in Loop: Header=BB371_16 Depth=1
	v_and_b32_sdwa v1, v58, v11 dst_sel:DWORD dst_unused:UNUSED_PAD src0_sel:DWORD src1_sel:BYTE_1
	v_mov_b32_e32 v80, 0x7f800001
	s_mov_b32 s52, exec_lo
	v_and_b32_e32 v14, 0x7f, v1
	v_cmpx_ne_u32_e32 0x7f, v14
	s_cbranch_execz .LBB371_151
; %bb.148:                              ;   in Loop: Header=BB371_16 Depth=1
	v_and_b32_e32 v1, 7, v1
	v_lshrrev_b32_e32 v13, 3, v14
	s_mov_b32 s53, exec_lo
	v_cmpx_gt_u32_e32 8, v14
; %bb.149:                              ;   in Loop: Header=BB371_16 Depth=1
	v_ffbh_u32_e32 v13, v1
	v_min_u32_e32 v13, 32, v13
	v_subrev_nc_u32_e32 v14, 28, v13
	v_sub_nc_u32_e32 v13, 29, v13
	v_lshlrev_b64 v[80:81], v14, v[1:2]
	v_and_b32_e32 v1, 7, v80
; %bb.150:                              ;   in Loop: Header=BB371_16 Depth=1
	s_or_b32 exec_lo, exec_lo, s53
	v_lshlrev_b32_e32 v14, 16, v11
	v_lshlrev_b32_e32 v1, 20, v1
	v_lshl_add_u32 v13, v13, 23, 0x3c000000
	v_and_b32_e32 v14, 0x80000000, v14
	v_or3_b32 v80, v1, v14, v13
.LBB371_151:                            ;   in Loop: Header=BB371_16 Depth=1
	s_or_b32 exec_lo, exec_lo, s52
.LBB371_152:                            ;   in Loop: Header=BB371_16 Depth=1
	s_or_b32 exec_lo, exec_lo, s51
.LBB371_153:                            ;   in Loop: Header=BB371_16 Depth=1
	s_or_b32 exec_lo, exec_lo, s50
	v_and_b32_sdwa v1, v11, v59 dst_sel:DWORD dst_unused:UNUSED_PAD src0_sel:WORD_1 src1_sel:DWORD
	v_mov_b32_e32 v82, 0
	v_mov_b32_e32 v81, 0
	s_mov_b32 s50, exec_lo
	v_cmpx_ne_u16_e32 0, v1
	s_cbranch_execz .LBB371_161
; %bb.154:                              ;   in Loop: Header=BB371_16 Depth=1
	v_bfrev_b32_e32 v81, 1
	s_mov_b32 s51, exec_lo
	v_cmpx_ne_u16_e32 0x80, v1
	s_cbranch_execz .LBB371_160
; %bb.155:                              ;   in Loop: Header=BB371_16 Depth=1
	v_bfe_u32 v14, v11, 16, 7
	v_mov_b32_e32 v81, 0x7f800001
	s_mov_b32 s52, exec_lo
	v_cmpx_ne_u32_e32 0x7f, v14
	s_cbranch_execz .LBB371_159
; %bb.156:                              ;   in Loop: Header=BB371_16 Depth=1
	v_and_b32_sdwa v1, v11, v60 dst_sel:DWORD dst_unused:UNUSED_PAD src0_sel:WORD_1 src1_sel:DWORD
	v_lshrrev_b32_e32 v13, 3, v14
	s_mov_b32 s53, exec_lo
	v_cmpx_gt_u32_e32 8, v14
; %bb.157:                              ;   in Loop: Header=BB371_16 Depth=1
	v_ffbh_u32_e32 v13, v1
	v_min_u32_e32 v13, 32, v13
	v_subrev_nc_u32_e32 v14, 28, v13
	v_sub_nc_u32_e32 v13, 29, v13
	v_lshlrev_b64 v[83:84], v14, v[1:2]
	v_and_b32_e32 v1, 7, v83
; %bb.158:                              ;   in Loop: Header=BB371_16 Depth=1
	s_or_b32 exec_lo, exec_lo, s53
	v_lshlrev_b32_sdwa v14, v61, v11 dst_sel:DWORD dst_unused:UNUSED_PAD src0_sel:DWORD src1_sel:WORD_1
	v_lshlrev_b32_e32 v1, 20, v1
	v_lshl_add_u32 v13, v13, 23, 0x3c000000
	v_and_b32_e32 v14, 0x80000000, v14
	v_or3_b32 v81, v1, v14, v13
.LBB371_159:                            ;   in Loop: Header=BB371_16 Depth=1
	s_or_b32 exec_lo, exec_lo, s52
.LBB371_160:                            ;   in Loop: Header=BB371_16 Depth=1
	s_or_b32 exec_lo, exec_lo, s51
.LBB371_161:                            ;   in Loop: Header=BB371_16 Depth=1
	s_or_b32 exec_lo, exec_lo, s50
	s_mov_b32 s50, exec_lo
	v_cmpx_lt_u32_e32 0xffffff, v11
	s_cbranch_execz .LBB371_169
; %bb.162:                              ;   in Loop: Header=BB371_16 Depth=1
	v_cmp_ne_u32_sdwa s1, v11, v57 src0_sel:BYTE_3 src1_sel:DWORD
	v_bfrev_b32_e32 v82, 1
	s_and_saveexec_b32 s51, s1
	s_cbranch_execz .LBB371_168
; %bb.163:                              ;   in Loop: Header=BB371_16 Depth=1
	v_bfe_u32 v14, v11, 24, 7
	v_mov_b32_e32 v82, 0x7f800001
	s_mov_b32 s52, exec_lo
	v_cmpx_ne_u32_e32 0x7f, v14
	s_cbranch_execz .LBB371_167
; %bb.164:                              ;   in Loop: Header=BB371_16 Depth=1
	v_and_b32_sdwa v1, v11, v60 dst_sel:DWORD dst_unused:UNUSED_PAD src0_sel:BYTE_3 src1_sel:DWORD
	v_lshrrev_b32_e32 v13, 3, v14
	s_mov_b32 s53, exec_lo
	v_cmpx_gt_u32_e32 8, v14
; %bb.165:                              ;   in Loop: Header=BB371_16 Depth=1
	v_ffbh_u32_e32 v13, v1
	v_min_u32_e32 v13, 32, v13
	v_subrev_nc_u32_e32 v14, 28, v13
	v_sub_nc_u32_e32 v13, 29, v13
	v_lshlrev_b64 v[82:83], v14, v[1:2]
	v_and_b32_e32 v1, 7, v82
; %bb.166:                              ;   in Loop: Header=BB371_16 Depth=1
	s_or_b32 exec_lo, exec_lo, s53
	v_lshlrev_b32_sdwa v14, v61, v11 dst_sel:DWORD dst_unused:UNUSED_PAD src0_sel:DWORD src1_sel:BYTE_3
	v_lshlrev_b32_e32 v1, 20, v1
	v_lshl_add_u32 v13, v13, 23, 0x3c000000
	v_and_b32_e32 v14, 0x80000000, v14
	v_or3_b32 v82, v1, v14, v13
.LBB371_167:                            ;   in Loop: Header=BB371_16 Depth=1
	s_or_b32 exec_lo, exec_lo, s52
.LBB371_168:                            ;   in Loop: Header=BB371_16 Depth=1
	s_or_b32 exec_lo, exec_lo, s51
.LBB371_169:                            ;   in Loop: Header=BB371_16 Depth=1
	s_or_b32 exec_lo, exec_lo, s50
	v_mov_b32_e32 v1, v12
	v_cmp_ne_u16_sdwa s1, v12, v2 src0_sel:BYTE_0 src1_sel:DWORD
	v_mov_b32_e32 v14, 0
	v_mov_b32_e32 v83, 0
	s_and_saveexec_b32 s50, s1
	s_cbranch_execz .LBB371_175
; %bb.170:                              ;   in Loop: Header=BB371_16 Depth=1
	v_cmp_ne_u16_sdwa s1, v12, v57 src0_sel:BYTE_0 src1_sel:DWORD
	v_bfrev_b32_e32 v83, 1
	s_and_saveexec_b32 s51, s1
	s_cbranch_execz .LBB371_174
; %bb.171:                              ;   in Loop: Header=BB371_16 Depth=1
	v_and_b32_e32 v13, 0x7f, v12
	v_mov_b32_e32 v83, 0x7f800001
	s_mov_b32 s52, exec_lo
	v_cmpx_ne_u32_e32 0x7f, v13
	s_cbranch_execz .LBB371_173
; %bb.172:                              ;   in Loop: Header=BB371_16 Depth=1
	v_and_b32_e32 v83, 7, v12
	v_lshrrev_b32_e32 v84, 3, v13
	v_cmp_gt_u32_e64 s1, 8, v13
	v_ffbh_u32_e32 v83, v83
	v_min_u32_e32 v83, 32, v83
	v_subrev_nc_u32_e32 v85, 28, v83
	v_sub_nc_u32_e32 v83, 29, v83
	v_cndmask_b32_e64 v13, v84, v83, s1
	v_cndmask_b32_e64 v83, 0, v85, s1
	v_lshl_add_u32 v13, v13, 23, 0x3c000000
	v_lshlrev_b64 v[83:84], v83, v[1:2]
	v_lshlrev_b32_e32 v84, 24, v1
	v_lshlrev_b32_e32 v83, 20, v83
	v_and_b32_e32 v84, 0x80000000, v84
	v_and_b32_e32 v83, 0x700000, v83
	v_or3_b32 v83, v83, v84, v13
.LBB371_173:                            ;   in Loop: Header=BB371_16 Depth=1
	s_or_b32 exec_lo, exec_lo, s52
.LBB371_174:                            ;   in Loop: Header=BB371_16 Depth=1
	s_or_b32 exec_lo, exec_lo, s51
.LBB371_175:                            ;   in Loop: Header=BB371_16 Depth=1
	s_or_b32 exec_lo, exec_lo, s50
	v_cmp_ne_u16_sdwa s1, v1, v2 src0_sel:BYTE_1 src1_sel:DWORD
	s_and_saveexec_b32 s50, s1
	s_cbranch_execz .LBB371_183
; %bb.176:                              ;   in Loop: Header=BB371_16 Depth=1
	v_cmp_ne_u16_sdwa s1, v1, v57 src0_sel:BYTE_1 src1_sel:DWORD
	v_bfrev_b32_e32 v14, 1
	s_and_saveexec_b32 s51, s1
	s_cbranch_execz .LBB371_182
; %bb.177:                              ;   in Loop: Header=BB371_16 Depth=1
	v_and_b32_sdwa v13, v58, v1 dst_sel:DWORD dst_unused:UNUSED_PAD src0_sel:DWORD src1_sel:BYTE_1
	v_mov_b32_e32 v14, 0x7f800001
	s_mov_b32 s52, exec_lo
	v_and_b32_e32 v85, 0x7f, v13
	v_cmpx_ne_u32_e32 0x7f, v85
	s_cbranch_execz .LBB371_181
; %bb.178:                              ;   in Loop: Header=BB371_16 Depth=1
	v_and_b32_e32 v13, 7, v13
	v_mov_b32_e32 v14, v2
	v_lshrrev_b32_e32 v84, 3, v85
	s_mov_b32 s53, exec_lo
	v_cmpx_gt_u32_e32 8, v85
; %bb.179:                              ;   in Loop: Header=BB371_16 Depth=1
	v_ffbh_u32_e32 v84, v13
	v_min_u32_e32 v84, 32, v84
	v_subrev_nc_u32_e32 v85, 28, v84
	v_sub_nc_u32_e32 v84, 29, v84
	v_lshlrev_b64 v[13:14], v85, v[13:14]
	v_and_b32_e32 v13, 7, v13
; %bb.180:                              ;   in Loop: Header=BB371_16 Depth=1
	s_or_b32 exec_lo, exec_lo, s53
	v_lshlrev_b32_e32 v1, 16, v1
	v_lshlrev_b32_e32 v13, 20, v13
	v_lshl_add_u32 v14, v84, 23, 0x3c000000
	v_and_b32_e32 v1, 0x80000000, v1
	v_or3_b32 v14, v13, v1, v14
.LBB371_181:                            ;   in Loop: Header=BB371_16 Depth=1
	s_or_b32 exec_lo, exec_lo, s52
.LBB371_182:                            ;   in Loop: Header=BB371_16 Depth=1
	s_or_b32 exec_lo, exec_lo, s51
.LBB371_183:                            ;   in Loop: Header=BB371_16 Depth=1
	s_or_b32 exec_lo, exec_lo, s50
	v_and_b32_sdwa v1, v12, v59 dst_sel:DWORD dst_unused:UNUSED_PAD src0_sel:WORD_1 src1_sel:DWORD
	v_mov_b32_e32 v85, 0
	v_mov_b32_e32 v86, 0
	s_mov_b32 s50, exec_lo
	v_cmpx_ne_u16_e32 0, v1
	s_cbranch_execz .LBB371_191
; %bb.184:                              ;   in Loop: Header=BB371_16 Depth=1
	v_bfrev_b32_e32 v86, 1
	s_mov_b32 s51, exec_lo
	v_cmpx_ne_u16_e32 0x80, v1
	s_cbranch_execz .LBB371_190
; %bb.185:                              ;   in Loop: Header=BB371_16 Depth=1
	v_bfe_u32 v84, v12, 16, 7
	v_mov_b32_e32 v86, 0x7f800001
	s_mov_b32 s52, exec_lo
	v_cmpx_ne_u32_e32 0x7f, v84
	s_cbranch_execz .LBB371_189
; %bb.186:                              ;   in Loop: Header=BB371_16 Depth=1
	v_and_b32_sdwa v1, v12, v60 dst_sel:DWORD dst_unused:UNUSED_PAD src0_sel:WORD_1 src1_sel:DWORD
	v_lshrrev_b32_e32 v13, 3, v84
	s_mov_b32 s53, exec_lo
	v_cmpx_gt_u32_e32 8, v84
; %bb.187:                              ;   in Loop: Header=BB371_16 Depth=1
	v_ffbh_u32_e32 v13, v1
	v_min_u32_e32 v13, 32, v13
	v_subrev_nc_u32_e32 v84, 28, v13
	v_sub_nc_u32_e32 v13, 29, v13
	v_lshlrev_b64 v[86:87], v84, v[1:2]
	v_and_b32_e32 v1, 7, v86
; %bb.188:                              ;   in Loop: Header=BB371_16 Depth=1
	s_or_b32 exec_lo, exec_lo, s53
	v_lshlrev_b32_sdwa v84, v61, v12 dst_sel:DWORD dst_unused:UNUSED_PAD src0_sel:DWORD src1_sel:WORD_1
	v_lshlrev_b32_e32 v1, 20, v1
	v_lshl_add_u32 v13, v13, 23, 0x3c000000
	v_and_b32_e32 v84, 0x80000000, v84
	v_or3_b32 v86, v1, v84, v13
.LBB371_189:                            ;   in Loop: Header=BB371_16 Depth=1
	s_or_b32 exec_lo, exec_lo, s52
.LBB371_190:                            ;   in Loop: Header=BB371_16 Depth=1
	s_or_b32 exec_lo, exec_lo, s51
.LBB371_191:                            ;   in Loop: Header=BB371_16 Depth=1
	s_or_b32 exec_lo, exec_lo, s50
	s_mov_b32 s50, exec_lo
	v_cmpx_lt_u64_e64 s[4:5], v[11:12]
	s_cbranch_execz .LBB371_199
; %bb.192:                              ;   in Loop: Header=BB371_16 Depth=1
	v_cmp_ne_u32_sdwa s1, v12, v57 src0_sel:BYTE_3 src1_sel:DWORD
	v_bfrev_b32_e32 v85, 1
	s_and_saveexec_b32 s51, s1
	s_cbranch_execz .LBB371_198
; %bb.193:                              ;   in Loop: Header=BB371_16 Depth=1
	v_bfe_u32 v13, v12, 24, 7
	v_mov_b32_e32 v85, 0x7f800001
	s_mov_b32 s52, exec_lo
	v_cmpx_ne_u32_e32 0x7f, v13
	s_cbranch_execz .LBB371_197
; %bb.194:                              ;   in Loop: Header=BB371_16 Depth=1
	v_and_b32_sdwa v1, v12, v60 dst_sel:DWORD dst_unused:UNUSED_PAD src0_sel:BYTE_3 src1_sel:DWORD
	v_lshrrev_b32_e32 v11, 3, v13
	s_mov_b32 s53, exec_lo
	v_cmpx_gt_u32_e32 8, v13
; %bb.195:                              ;   in Loop: Header=BB371_16 Depth=1
	v_ffbh_u32_e32 v11, v1
	v_min_u32_e32 v11, 32, v11
	v_subrev_nc_u32_e32 v13, 28, v11
	v_sub_nc_u32_e32 v11, 29, v11
	v_lshlrev_b64 v[84:85], v13, v[1:2]
	v_and_b32_e32 v1, 7, v84
; %bb.196:                              ;   in Loop: Header=BB371_16 Depth=1
	s_or_b32 exec_lo, exec_lo, s53
	v_lshlrev_b32_sdwa v12, v61, v12 dst_sel:DWORD dst_unused:UNUSED_PAD src0_sel:DWORD src1_sel:BYTE_3
	v_lshlrev_b32_e32 v1, 20, v1
	v_lshl_add_u32 v11, v11, 23, 0x3c000000
	v_and_b32_e32 v12, 0x80000000, v12
	v_or3_b32 v85, v1, v12, v11
.LBB371_197:                            ;   in Loop: Header=BB371_16 Depth=1
	s_or_b32 exec_lo, exec_lo, s52
.LBB371_198:                            ;   in Loop: Header=BB371_16 Depth=1
	s_or_b32 exec_lo, exec_lo, s51
.LBB371_199:                            ;   in Loop: Header=BB371_16 Depth=1
	s_or_b32 exec_lo, exec_lo, s50
	global_load_dwordx2 v[7:8], v[7:8], off offset:520
	v_mov_b32_e32 v84, 0
	v_mov_b32_e32 v13, 0
	s_waitcnt vmcnt(0)
	v_cmp_ne_u16_sdwa s1, v7, v2 src0_sel:BYTE_0 src1_sel:DWORD
	s_and_saveexec_b32 s50, s1
	s_cbranch_execz .LBB371_205
; %bb.200:                              ;   in Loop: Header=BB371_16 Depth=1
	v_cmp_ne_u16_sdwa s1, v7, v57 src0_sel:BYTE_0 src1_sel:DWORD
	v_bfrev_b32_e32 v13, 1
	s_and_saveexec_b32 s51, s1
	s_cbranch_execz .LBB371_204
; %bb.201:                              ;   in Loop: Header=BB371_16 Depth=1
	v_and_b32_e32 v1, 0x7f, v7
	v_mov_b32_e32 v13, 0x7f800001
	s_mov_b32 s52, exec_lo
	v_cmpx_ne_u32_e32 0x7f, v1
	s_cbranch_execz .LBB371_203
; %bb.202:                              ;   in Loop: Header=BB371_16 Depth=1
	v_and_b32_e32 v11, 7, v7
	v_lshrrev_b32_e32 v12, 3, v1
	v_cmp_gt_u32_e64 s1, 8, v1
	v_ffbh_u32_e32 v11, v11
	v_min_u32_e32 v11, 32, v11
	v_subrev_nc_u32_e32 v13, 28, v11
	v_sub_nc_u32_e32 v11, 29, v11
	v_cndmask_b32_e64 v1, v12, v11, s1
	v_cndmask_b32_e64 v11, 0, v13, s1
	v_lshl_add_u32 v1, v1, 23, 0x3c000000
	v_lshlrev_b64 v[11:12], v11, v[7:8]
	v_lshlrev_b32_e32 v12, 24, v7
	v_lshlrev_b32_e32 v11, 20, v11
	v_and_b32_e32 v12, 0x80000000, v12
	v_and_b32_e32 v11, 0x700000, v11
	v_or3_b32 v13, v11, v12, v1
.LBB371_203:                            ;   in Loop: Header=BB371_16 Depth=1
	s_or_b32 exec_lo, exec_lo, s52
.LBB371_204:                            ;   in Loop: Header=BB371_16 Depth=1
	s_or_b32 exec_lo, exec_lo, s51
.LBB371_205:                            ;   in Loop: Header=BB371_16 Depth=1
	s_or_b32 exec_lo, exec_lo, s50
	v_cmp_ne_u16_sdwa s1, v7, v2 src0_sel:BYTE_1 src1_sel:DWORD
	s_and_saveexec_b32 s50, s1
	s_cbranch_execz .LBB371_213
; %bb.206:                              ;   in Loop: Header=BB371_16 Depth=1
	v_cmp_ne_u16_sdwa s1, v7, v57 src0_sel:BYTE_1 src1_sel:DWORD
	v_bfrev_b32_e32 v84, 1
	s_and_saveexec_b32 s51, s1
	s_cbranch_execz .LBB371_212
; %bb.207:                              ;   in Loop: Header=BB371_16 Depth=1
	v_and_b32_sdwa v1, v58, v7 dst_sel:DWORD dst_unused:UNUSED_PAD src0_sel:DWORD src1_sel:BYTE_1
	v_mov_b32_e32 v84, 0x7f800001
	s_mov_b32 s52, exec_lo
	v_and_b32_e32 v12, 0x7f, v1
	v_cmpx_ne_u32_e32 0x7f, v12
	s_cbranch_execz .LBB371_211
; %bb.208:                              ;   in Loop: Header=BB371_16 Depth=1
	v_and_b32_e32 v1, 7, v1
	v_lshrrev_b32_e32 v11, 3, v12
	s_mov_b32 s53, exec_lo
	v_cmpx_gt_u32_e32 8, v12
; %bb.209:                              ;   in Loop: Header=BB371_16 Depth=1
	v_ffbh_u32_e32 v11, v1
	v_min_u32_e32 v11, 32, v11
	v_subrev_nc_u32_e32 v12, 28, v11
	v_sub_nc_u32_e32 v11, 29, v11
	v_lshlrev_b64 v[87:88], v12, v[1:2]
	v_and_b32_e32 v1, 7, v87
; %bb.210:                              ;   in Loop: Header=BB371_16 Depth=1
	s_or_b32 exec_lo, exec_lo, s53
	v_lshlrev_b32_e32 v12, 16, v7
	v_lshlrev_b32_e32 v1, 20, v1
	v_lshl_add_u32 v11, v11, 23, 0x3c000000
	v_and_b32_e32 v12, 0x80000000, v12
	v_or3_b32 v84, v1, v12, v11
.LBB371_211:                            ;   in Loop: Header=BB371_16 Depth=1
	s_or_b32 exec_lo, exec_lo, s52
.LBB371_212:                            ;   in Loop: Header=BB371_16 Depth=1
	s_or_b32 exec_lo, exec_lo, s51
.LBB371_213:                            ;   in Loop: Header=BB371_16 Depth=1
	s_or_b32 exec_lo, exec_lo, s50
	v_and_b32_sdwa v1, v7, v59 dst_sel:DWORD dst_unused:UNUSED_PAD src0_sel:WORD_1 src1_sel:DWORD
	v_mov_b32_e32 v88, 0
	v_mov_b32_e32 v87, 0
	s_mov_b32 s50, exec_lo
	v_cmpx_ne_u16_e32 0, v1
	s_cbranch_execz .LBB371_221
; %bb.214:                              ;   in Loop: Header=BB371_16 Depth=1
	v_bfrev_b32_e32 v87, 1
	s_mov_b32 s51, exec_lo
	v_cmpx_ne_u16_e32 0x80, v1
	s_cbranch_execz .LBB371_220
; %bb.215:                              ;   in Loop: Header=BB371_16 Depth=1
	v_bfe_u32 v12, v7, 16, 7
	v_mov_b32_e32 v87, 0x7f800001
	s_mov_b32 s52, exec_lo
	v_cmpx_ne_u32_e32 0x7f, v12
	s_cbranch_execz .LBB371_219
; %bb.216:                              ;   in Loop: Header=BB371_16 Depth=1
	v_and_b32_sdwa v1, v7, v60 dst_sel:DWORD dst_unused:UNUSED_PAD src0_sel:WORD_1 src1_sel:DWORD
	v_lshrrev_b32_e32 v11, 3, v12
	s_mov_b32 s53, exec_lo
	v_cmpx_gt_u32_e32 8, v12
; %bb.217:                              ;   in Loop: Header=BB371_16 Depth=1
	v_ffbh_u32_e32 v11, v1
	v_min_u32_e32 v11, 32, v11
	v_subrev_nc_u32_e32 v12, 28, v11
	v_sub_nc_u32_e32 v11, 29, v11
	v_lshlrev_b64 v[89:90], v12, v[1:2]
	v_and_b32_e32 v1, 7, v89
; %bb.218:                              ;   in Loop: Header=BB371_16 Depth=1
	s_or_b32 exec_lo, exec_lo, s53
	v_lshlrev_b32_sdwa v12, v61, v7 dst_sel:DWORD dst_unused:UNUSED_PAD src0_sel:DWORD src1_sel:WORD_1
	v_lshlrev_b32_e32 v1, 20, v1
	v_lshl_add_u32 v11, v11, 23, 0x3c000000
	v_and_b32_e32 v12, 0x80000000, v12
	v_or3_b32 v87, v1, v12, v11
.LBB371_219:                            ;   in Loop: Header=BB371_16 Depth=1
	s_or_b32 exec_lo, exec_lo, s52
.LBB371_220:                            ;   in Loop: Header=BB371_16 Depth=1
	s_or_b32 exec_lo, exec_lo, s51
.LBB371_221:                            ;   in Loop: Header=BB371_16 Depth=1
	s_or_b32 exec_lo, exec_lo, s50
	s_mov_b32 s50, exec_lo
	v_cmpx_lt_u32_e32 0xffffff, v7
	s_cbranch_execz .LBB371_229
; %bb.222:                              ;   in Loop: Header=BB371_16 Depth=1
	v_cmp_ne_u32_sdwa s1, v7, v57 src0_sel:BYTE_3 src1_sel:DWORD
	v_bfrev_b32_e32 v88, 1
	s_and_saveexec_b32 s51, s1
	s_cbranch_execz .LBB371_228
; %bb.223:                              ;   in Loop: Header=BB371_16 Depth=1
	v_bfe_u32 v12, v7, 24, 7
	v_mov_b32_e32 v88, 0x7f800001
	s_mov_b32 s52, exec_lo
	v_cmpx_ne_u32_e32 0x7f, v12
	s_cbranch_execz .LBB371_227
; %bb.224:                              ;   in Loop: Header=BB371_16 Depth=1
	v_and_b32_sdwa v1, v7, v60 dst_sel:DWORD dst_unused:UNUSED_PAD src0_sel:BYTE_3 src1_sel:DWORD
	v_lshrrev_b32_e32 v11, 3, v12
	s_mov_b32 s53, exec_lo
	v_cmpx_gt_u32_e32 8, v12
; %bb.225:                              ;   in Loop: Header=BB371_16 Depth=1
	v_ffbh_u32_e32 v11, v1
	v_min_u32_e32 v11, 32, v11
	v_subrev_nc_u32_e32 v12, 28, v11
	v_sub_nc_u32_e32 v11, 29, v11
	v_lshlrev_b64 v[88:89], v12, v[1:2]
	v_and_b32_e32 v1, 7, v88
; %bb.226:                              ;   in Loop: Header=BB371_16 Depth=1
	s_or_b32 exec_lo, exec_lo, s53
	v_lshlrev_b32_sdwa v12, v61, v7 dst_sel:DWORD dst_unused:UNUSED_PAD src0_sel:DWORD src1_sel:BYTE_3
	v_lshlrev_b32_e32 v1, 20, v1
	v_lshl_add_u32 v11, v11, 23, 0x3c000000
	v_and_b32_e32 v12, 0x80000000, v12
	v_or3_b32 v88, v1, v12, v11
.LBB371_227:                            ;   in Loop: Header=BB371_16 Depth=1
	s_or_b32 exec_lo, exec_lo, s52
.LBB371_228:                            ;   in Loop: Header=BB371_16 Depth=1
	s_or_b32 exec_lo, exec_lo, s51
.LBB371_229:                            ;   in Loop: Header=BB371_16 Depth=1
	s_or_b32 exec_lo, exec_lo, s50
	v_mov_b32_e32 v1, v8
	v_cmp_ne_u16_sdwa s1, v8, v2 src0_sel:BYTE_0 src1_sel:DWORD
	v_mov_b32_e32 v11, 0
	v_mov_b32_e32 v89, 0
	s_and_saveexec_b32 s50, s1
	s_cbranch_execz .LBB371_235
; %bb.230:                              ;   in Loop: Header=BB371_16 Depth=1
	v_cmp_ne_u16_sdwa s1, v8, v57 src0_sel:BYTE_0 src1_sel:DWORD
	v_bfrev_b32_e32 v89, 1
	s_and_saveexec_b32 s51, s1
	s_cbranch_execz .LBB371_234
; %bb.231:                              ;   in Loop: Header=BB371_16 Depth=1
	v_and_b32_e32 v12, 0x7f, v8
	v_mov_b32_e32 v89, 0x7f800001
	s_mov_b32 s52, exec_lo
	v_cmpx_ne_u32_e32 0x7f, v12
	s_cbranch_execz .LBB371_233
; %bb.232:                              ;   in Loop: Header=BB371_16 Depth=1
	v_and_b32_e32 v89, 7, v8
	v_lshrrev_b32_e32 v90, 3, v12
	v_cmp_gt_u32_e64 s1, 8, v12
	v_ffbh_u32_e32 v89, v89
	v_min_u32_e32 v89, 32, v89
	v_subrev_nc_u32_e32 v91, 28, v89
	v_sub_nc_u32_e32 v89, 29, v89
	v_cndmask_b32_e64 v12, v90, v89, s1
	v_cndmask_b32_e64 v89, 0, v91, s1
	v_lshl_add_u32 v12, v12, 23, 0x3c000000
	v_lshlrev_b64 v[89:90], v89, v[1:2]
	v_lshlrev_b32_e32 v90, 24, v1
	v_lshlrev_b32_e32 v89, 20, v89
	v_and_b32_e32 v90, 0x80000000, v90
	v_and_b32_e32 v89, 0x700000, v89
	v_or3_b32 v89, v89, v90, v12
.LBB371_233:                            ;   in Loop: Header=BB371_16 Depth=1
	s_or_b32 exec_lo, exec_lo, s52
.LBB371_234:                            ;   in Loop: Header=BB371_16 Depth=1
	s_or_b32 exec_lo, exec_lo, s51
.LBB371_235:                            ;   in Loop: Header=BB371_16 Depth=1
	s_or_b32 exec_lo, exec_lo, s50
	v_cmp_ne_u16_sdwa s1, v1, v2 src0_sel:BYTE_1 src1_sel:DWORD
	s_and_saveexec_b32 s50, s1
	s_cbranch_execz .LBB371_243
; %bb.236:                              ;   in Loop: Header=BB371_16 Depth=1
	v_cmp_ne_u16_sdwa s1, v1, v57 src0_sel:BYTE_1 src1_sel:DWORD
	v_bfrev_b32_e32 v11, 1
	s_and_saveexec_b32 s51, s1
	s_cbranch_execz .LBB371_242
; %bb.237:                              ;   in Loop: Header=BB371_16 Depth=1
	v_and_b32_sdwa v12, v58, v1 dst_sel:DWORD dst_unused:UNUSED_PAD src0_sel:DWORD src1_sel:BYTE_1
	v_mov_b32_e32 v11, 0x7f800001
	s_mov_b32 s52, exec_lo
	v_and_b32_e32 v91, 0x7f, v12
	v_cmpx_ne_u32_e32 0x7f, v91
	s_cbranch_execz .LBB371_241
; %bb.238:                              ;   in Loop: Header=BB371_16 Depth=1
	v_and_b32_e32 v11, 7, v12
	v_mov_b32_e32 v12, v2
	v_lshrrev_b32_e32 v90, 3, v91
	s_mov_b32 s53, exec_lo
	v_cmpx_gt_u32_e32 8, v91
; %bb.239:                              ;   in Loop: Header=BB371_16 Depth=1
	v_ffbh_u32_e32 v90, v11
	v_min_u32_e32 v90, 32, v90
	v_subrev_nc_u32_e32 v91, 28, v90
	v_sub_nc_u32_e32 v90, 29, v90
	v_lshlrev_b64 v[11:12], v91, v[11:12]
	v_and_b32_e32 v11, 7, v11
; %bb.240:                              ;   in Loop: Header=BB371_16 Depth=1
	s_or_b32 exec_lo, exec_lo, s53
	v_lshlrev_b32_e32 v1, 16, v1
	v_lshlrev_b32_e32 v11, 20, v11
	v_lshl_add_u32 v12, v90, 23, 0x3c000000
	v_and_b32_e32 v1, 0x80000000, v1
	v_or3_b32 v11, v11, v1, v12
.LBB371_241:                            ;   in Loop: Header=BB371_16 Depth=1
	s_or_b32 exec_lo, exec_lo, s52
.LBB371_242:                            ;   in Loop: Header=BB371_16 Depth=1
	s_or_b32 exec_lo, exec_lo, s51
.LBB371_243:                            ;   in Loop: Header=BB371_16 Depth=1
	s_or_b32 exec_lo, exec_lo, s50
	v_and_b32_sdwa v1, v8, v59 dst_sel:DWORD dst_unused:UNUSED_PAD src0_sel:WORD_1 src1_sel:DWORD
	v_mov_b32_e32 v12, 0
	v_mov_b32_e32 v90, 0
	s_mov_b32 s50, exec_lo
	v_cmpx_ne_u16_e32 0, v1
	s_cbranch_execz .LBB371_251
; %bb.244:                              ;   in Loop: Header=BB371_16 Depth=1
	v_bfrev_b32_e32 v90, 1
	s_mov_b32 s51, exec_lo
	v_cmpx_ne_u16_e32 0x80, v1
	s_cbranch_execz .LBB371_250
; %bb.245:                              ;   in Loop: Header=BB371_16 Depth=1
	v_bfe_u32 v91, v8, 16, 7
	v_mov_b32_e32 v90, 0x7f800001
	s_mov_b32 s52, exec_lo
	v_cmpx_ne_u32_e32 0x7f, v91
	s_cbranch_execz .LBB371_249
; %bb.246:                              ;   in Loop: Header=BB371_16 Depth=1
	v_and_b32_sdwa v1, v8, v60 dst_sel:DWORD dst_unused:UNUSED_PAD src0_sel:WORD_1 src1_sel:DWORD
	v_lshrrev_b32_e32 v90, 3, v91
	s_mov_b32 s53, exec_lo
	v_cmpx_gt_u32_e32 8, v91
; %bb.247:                              ;   in Loop: Header=BB371_16 Depth=1
	v_ffbh_u32_e32 v90, v1
	v_min_u32_e32 v90, 32, v90
	v_subrev_nc_u32_e32 v91, 28, v90
	v_sub_nc_u32_e32 v90, 29, v90
	v_lshlrev_b64 v[91:92], v91, v[1:2]
	v_and_b32_e32 v1, 7, v91
; %bb.248:                              ;   in Loop: Header=BB371_16 Depth=1
	s_or_b32 exec_lo, exec_lo, s53
	v_lshlrev_b32_sdwa v91, v61, v8 dst_sel:DWORD dst_unused:UNUSED_PAD src0_sel:DWORD src1_sel:WORD_1
	v_lshlrev_b32_e32 v1, 20, v1
	v_lshl_add_u32 v90, v90, 23, 0x3c000000
	v_and_b32_e32 v91, 0x80000000, v91
	v_or3_b32 v90, v1, v91, v90
.LBB371_249:                            ;   in Loop: Header=BB371_16 Depth=1
	s_or_b32 exec_lo, exec_lo, s52
.LBB371_250:                            ;   in Loop: Header=BB371_16 Depth=1
	s_or_b32 exec_lo, exec_lo, s51
.LBB371_251:                            ;   in Loop: Header=BB371_16 Depth=1
	s_or_b32 exec_lo, exec_lo, s50
	s_mov_b32 s50, exec_lo
	v_cmpx_lt_u64_e64 s[4:5], v[7:8]
	s_cbranch_execz .LBB371_14
; %bb.252:                              ;   in Loop: Header=BB371_16 Depth=1
	v_cmp_ne_u32_sdwa s1, v8, v57 src0_sel:BYTE_3 src1_sel:DWORD
	v_bfrev_b32_e32 v12, 1
	s_and_saveexec_b32 s51, s1
	s_cbranch_execz .LBB371_13
; %bb.253:                              ;   in Loop: Header=BB371_16 Depth=1
	v_bfe_u32 v91, v8, 24, 7
	v_mov_b32_e32 v12, 0x7f800001
	s_mov_b32 s52, exec_lo
	v_cmpx_ne_u32_e32 0x7f, v91
	s_cbranch_execz .LBB371_12
; %bb.254:                              ;   in Loop: Header=BB371_16 Depth=1
	v_and_b32_sdwa v1, v8, v60 dst_sel:DWORD dst_unused:UNUSED_PAD src0_sel:BYTE_3 src1_sel:DWORD
	v_lshrrev_b32_e32 v7, 3, v91
	s_mov_b32 s53, exec_lo
	v_cmpx_gt_u32_e32 8, v91
	s_cbranch_execz .LBB371_11
; %bb.255:                              ;   in Loop: Header=BB371_16 Depth=1
	v_ffbh_u32_e32 v7, v1
	v_min_u32_e32 v7, 32, v7
	v_subrev_nc_u32_e32 v12, 28, v7
	v_sub_nc_u32_e32 v7, 29, v7
	v_lshlrev_b64 v[91:92], v12, v[1:2]
	v_and_b32_e32 v1, 7, v91
	s_branch .LBB371_11
.LBB371_256:
	s_or_b32 exec_lo, exec_lo, s48
.LBB371_257:
	s_or_b32 exec_lo, exec_lo, s44
	v_mbcnt_lo_u32_b32 v1, -1, 0
	v_max_f32_e32 v5, v29, v29
	v_xor_b32_e32 v2, 16, v1
	v_xor_b32_e32 v4, 8, v1
	v_cmp_gt_i32_e32 vcc_lo, 32, v2
	v_cndmask_b32_e32 v2, v1, v2, vcc_lo
	v_cmp_gt_i32_e32 vcc_lo, 32, v4
	v_lshlrev_b32_e32 v2, 2, v2
	v_cndmask_b32_e32 v4, v1, v4, vcc_lo
	ds_bpermute_b32 v3, v2, v29
	s_waitcnt lgkmcnt(0)
	v_max_f32_e32 v6, v3, v3
	v_lshlrev_b32_e32 v3, 2, v4
	v_max_f32_e32 v4, v5, v6
	v_xor_b32_e32 v6, 4, v1
	ds_bpermute_b32 v5, v3, v4
	v_cmp_gt_i32_e32 vcc_lo, 32, v6
	v_cndmask_b32_e32 v6, v1, v6, vcc_lo
	s_waitcnt lgkmcnt(0)
	v_max_f32_e32 v7, v5, v5
	v_lshlrev_b32_e32 v5, 2, v6
	v_max_f32_e32 v4, v4, v7
	v_xor_b32_e32 v7, 2, v1
	ds_bpermute_b32 v6, v5, v4
	v_cmp_gt_i32_e32 vcc_lo, 32, v7
	v_cndmask_b32_e32 v7, v1, v7, vcc_lo
	v_lshlrev_b32_e32 v25, 2, v7
	v_xor_b32_e32 v7, 1, v1
	v_cmp_gt_i32_e32 vcc_lo, 32, v7
	s_waitcnt lgkmcnt(0)
	v_max_f32_e32 v6, v6, v6
	v_cndmask_b32_e32 v7, v1, v7, vcc_lo
	v_cmp_eq_u32_e32 vcc_lo, 0, v23
	v_max_f32_e32 v4, v4, v6
	v_lshlrev_b32_e32 v26, 2, v7
	ds_bpermute_b32 v6, v25, v4
	s_waitcnt lgkmcnt(0)
	v_max_f32_e32 v6, v6, v6
	v_max_f32_e32 v1, v4, v6
	v_lshlrev_b32_e32 v6, 2, v22
	ds_bpermute_b32 v4, v26, v1
	s_and_saveexec_b32 s1, vcc_lo
	s_cbranch_execz .LBB371_259
; %bb.258:
	s_waitcnt lgkmcnt(0)
	v_max_f32_e32 v4, v4, v4
	v_max_f32_e32 v1, v1, v1
	;; [unrolled: 1-line block ×3, first 2 shown]
	ds_write_b32 v6, v1 offset:64
.LBB371_259:
	s_or_b32 exec_lo, exec_lo, s1
	v_cmp_gt_u32_e64 s1, 4, v23
	v_mov_b32_e32 v1, 0xff7fffff
	s_waitcnt lgkmcnt(0)
	s_barrier
	buffer_gl0_inv
	s_and_saveexec_b32 s2, s1
; %bb.260:
	ds_read_b32 v1, v15 offset:64
; %bb.261:
	s_or_b32 exec_lo, exec_lo, s2
	s_waitcnt lgkmcnt(0)
	ds_bpermute_b32 v4, v25, v1
	v_max_f32_e32 v1, v1, v1
	v_mov_b32_e32 v7, 0
	s_sub_i32 s2, s20, s43
	s_lshl_b32 s2, s2, 5
	s_add_i32 s2, s2, s40
	s_min_i32 s2, s2, s31
	s_sub_i32 s4, s2, s40
	v_cmp_gt_i32_e64 s2, s4, v0
	s_waitcnt lgkmcnt(0)
	v_max_f32_e32 v4, v4, v4
	v_max_f32_e32 v1, v1, v4
	ds_bpermute_b32 v4, v26, v1
	s_waitcnt lgkmcnt(0)
	v_max_f32_e32 v4, v4, v4
	v_max_f32_e32 v1, v1, v4
	v_lshl_add_u32 v4, v0, 2, 0x60
	ds_bpermute_b32 v1, v7, v1
	s_and_saveexec_b32 s5, s2
	s_cbranch_execz .LBB371_265
; %bb.262:
	v_lshl_add_u32 v8, v0, 2, 0x60
	v_mov_b32_e32 v7, 0
	v_mov_b32_e32 v11, v0
	s_mov_b32 s12, 0
	.p2align	6
.LBB371_263:                            ; =>This Inner Loop Header: Depth=1
	ds_read_b32 v12, v8
	v_add_nc_u32_e32 v11, 0x80, v11
	v_cmp_le_i32_e64 s3, s4, v11
	s_or_b32 s12, s3, s12
	s_waitcnt lgkmcnt(0)
	v_sub_f32_e32 v12, v12, v1
	v_mul_f32_e32 v12, 0x3fb8aa3b, v12
	v_exp_f32_e32 v12, v12
	ds_write_b32 v8, v12
	v_add_f32_e32 v7, v7, v12
	v_add_nc_u32_e32 v8, 0x200, v8
	s_andn2_b32 exec_lo, exec_lo, s12
	s_cbranch_execnz .LBB371_263
; %bb.264:
	s_or_b32 exec_lo, exec_lo, s12
.LBB371_265:
	s_or_b32 exec_lo, exec_lo, s5
	ds_bpermute_b32 v2, v2, v7
	s_waitcnt lgkmcnt(0)
	v_add_f32_e32 v2, v7, v2
	ds_bpermute_b32 v3, v3, v2
	s_waitcnt lgkmcnt(0)
	v_add_f32_e32 v2, v2, v3
	;; [unrolled: 3-line block ×5, first 2 shown]
	s_and_saveexec_b32 s3, vcc_lo
; %bb.266:
	ds_write_b32 v6, v2 offset:80
; %bb.267:
	s_or_b32 exec_lo, exec_lo, s3
	s_waitcnt lgkmcnt(0)
	s_barrier
	buffer_gl0_inv
	s_and_saveexec_b32 s3, s1
; %bb.268:
	ds_read_b32 v2, v15 offset:80
; %bb.269:
	s_or_b32 exec_lo, exec_lo, s3
	s_waitcnt lgkmcnt(0)
	ds_bpermute_b32 v3, v25, v2
	s_waitcnt lgkmcnt(0)
	v_add_f32_e32 v2, v2, v3
	ds_bpermute_b32 v3, v26, v2
	s_waitcnt lgkmcnt(0)
	v_add_f32_e32 v2, v2, v3
	v_mov_b32_e32 v3, 0
	ds_bpermute_b32 v2, v3, v2
	s_and_saveexec_b32 s1, s2
	s_cbranch_execz .LBB371_272
; %bb.270:
	s_waitcnt lgkmcnt(0)
	v_add_f32_e32 v3, 0x358637bd, v2
	s_mov_b32 s2, 0
	v_div_scale_f32 v5, null, v3, v3, 1.0
	v_div_scale_f32 v8, vcc_lo, 1.0, v3, 1.0
	v_rcp_f32_e32 v6, v5
	v_fma_f32 v7, -v5, v6, 1.0
	v_fmac_f32_e32 v6, v7, v6
	v_mul_f32_e32 v7, v8, v6
	v_fma_f32 v11, -v5, v7, v8
	v_fmac_f32_e32 v7, v11, v6
	v_fma_f32 v5, -v5, v7, v8
	v_div_fmas_f32 v5, v5, v6, v7
	v_div_fixup_f32 v3, v5, v3, 1.0
	v_mov_b32_e32 v5, v0
.LBB371_271:                            ; =>This Inner Loop Header: Depth=1
	ds_read_b32 v6, v4
	v_add_nc_u32_e32 v5, 0x80, v5
	v_cmp_le_i32_e32 vcc_lo, s4, v5
	s_or_b32 s2, vcc_lo, s2
	s_waitcnt lgkmcnt(0)
	v_mul_f32_e32 v6, v3, v6
	ds_write_b32 v4, v6
	v_add_nc_u32_e32 v4, 0x200, v4
	s_andn2_b32 exec_lo, exec_lo, s2
	s_cbranch_execnz .LBB371_271
.LBB371_272:
	s_or_b32 exec_lo, exec_lo, s1
	s_mul_i32 s1, s7, s30
	s_waitcnt lgkmcnt(0)
	s_mul_i32 s2, s1, s9
	s_mov_b32 s1, exec_lo
	s_barrier
	buffer_gl0_inv
	v_cmpx_eq_u32_e32 0, v0
	s_cbranch_execz .LBB371_274
; %bb.273:
	s_ashr_i32 s3, s2, 31
	s_mul_i32 s12, s7, s6
	s_lshl_b64 s[4:5], s[2:3], 2
	v_mov_b32_e32 v3, 0
	s_add_u32 s3, s26, s4
	s_addc_u32 s6, s27, s5
	s_ashr_i32 s13, s12, 31
	s_lshl_b64 s[12:13], s[12:13], 2
	s_add_u32 s3, s3, s12
	s_addc_u32 s6, s6, s13
	s_ashr_i32 s9, s8, 31
	s_lshl_b64 s[26:27], s[8:9], 2
	s_add_u32 s42, s3, s26
	s_addc_u32 s43, s6, s27
	s_add_u32 s3, s24, s4
	s_addc_u32 s4, s25, s5
	;; [unrolled: 2-line block ×4, first 2 shown]
	global_store_dword v3, v1, s[42:43]
	global_store_dword v3, v2, s[4:5]
.LBB371_274:
	s_or_b32 exec_lo, exec_lo, s1
	v_mov_b32_e32 v31, 0
	v_and_b32_e32 v27, 3, v0
	v_mov_b32_e32 v30, 0
	v_mov_b32_e32 v29, 0
	;; [unrolled: 1-line block ×3, first 2 shown]
	s_and_saveexec_b32 s1, s0
	s_cbranch_execz .LBB371_528
; %bb.275:
	s_sub_i32 s3, s41, s21
	s_ashr_i32 s0, s18, 31
	s_add_u32 s13, s38, s18
	s_addc_u32 s0, s39, s0
	s_abs_i32 s6, s22
	v_lshlrev_b32_e32 v4, 3, v0
	v_cvt_f32_u32_e32 v1, s6
	s_sub_i32 s4, 0, s6
	v_lshlrev_b32_e32 v5, 5, v27
	s_add_i32 s12, s33, -1
	v_and_b32_e32 v37, 24, v4
	v_rcp_iflag_f32_e32 v3, v1
	v_lshlrev_b64 v[1:2], 2, v[9:10]
	v_and_b32_e32 v4, 0xf8, v4
	v_lshl_or_b32 v5, v22, 7, v5
	v_mov_b32_e32 v11, 0
	v_mov_b32_e32 v32, 0x80
	;; [unrolled: 1-line block ×6, first 2 shown]
	v_mul_f32_e32 v3, 0x4f7ffffe, v3
	v_mov_b32_e32 v28, 0
	v_mov_b32_e32 v29, 0
	;; [unrolled: 1-line block ×3, first 2 shown]
	v_add_nc_u32_e32 v38, 0x60, v5
	v_cvt_u32_f32_e32 v3, v3
	v_mov_b32_e32 v31, 0
	s_mov_b32 s9, s17
	v_mul_lo_u32 v6, s4, v3
	s_lshl_b64 s[4:5], s[36:37], 2
	s_add_u32 s4, s34, s4
	s_addc_u32 s5, s35, s5
	v_add_co_u32 v12, vcc_lo, s4, v1
	v_add_co_u32 v14, s4, s13, v4
	v_mul_hi_u32 v6, v3, v6
	v_add_co_ci_u32_e64 v13, null, s5, v2, vcc_lo
	v_add_co_ci_u32_e64 v15, null, s0, 0, s4
	s_mov_b32 s4, -1
	s_mov_b32 s5, 0xffffff
	s_mov_b32 s13, 0
	v_add_nc_u32_e32 v39, v3, v6
	s_branch .LBB371_278
.LBB371_276:                            ;   in Loop: Header=BB371_278 Depth=1
	s_or_b32 exec_lo, exec_lo, s0
	v_bfe_u32 v48, v5, 16, 1
	v_bfe_u32 v49, v6, 16, 1
	v_or_b32_e32 v50, 0x400000, v5
	v_cmp_u_f32_e32 vcc_lo, v5, v5
	v_or_b32_e32 v51, 0x400000, v6
	v_add3_u32 v48, v48, v5, 0x7fff
	v_bfe_u32 v52, v7, 16, 1
	v_add3_u32 v49, v49, v6, 0x7fff
	v_bfe_u32 v53, v8, 16, 1
	v_lshlrev_b32_e32 v20, 16, v20
	v_cndmask_b32_e32 v5, v48, v50, vcc_lo
	v_cmp_u_f32_e32 vcc_lo, v6, v6
	v_add3_u32 v48, v52, v7, 0x7fff
	v_add3_u32 v50, v53, v8, 0x7fff
	v_bfe_u32 v52, v1, 16, 1
	v_and_b32_e32 v5, 0xffff0000, v5
	v_cndmask_b32_e32 v6, v49, v51, vcc_lo
	v_or_b32_e32 v49, 0x400000, v7
	v_cmp_u_f32_e32 vcc_lo, v7, v7
	v_or_b32_e32 v51, 0x400000, v8
	v_or_b32_e32 v53, 0x400000, v4
	v_lshlrev_b32_e32 v21, 16, v21
	v_lshlrev_b32_e32 v65, 16, v65
	v_cndmask_b32_e32 v7, v48, v49, vcc_lo
	v_cmp_u_f32_e32 vcc_lo, v8, v8
	v_bfe_u32 v48, v2, 16, 1
	v_add3_u32 v49, v52, v1, 0x7fff
	v_bfe_u32 v52, v3, 16, 1
	v_lshlrev_b32_e32 v47, 16, v47
	v_cndmask_b32_e32 v8, v50, v51, vcc_lo
	v_or_b32_e32 v50, 0x400000, v1
	v_cmp_u_f32_e32 vcc_lo, v1, v1
	v_add3_u32 v48, v48, v2, 0x7fff
	v_or_b32_e32 v51, 0x400000, v2
	v_and_b32_e32 v1, 0xffff0000, v6
	v_lshlrev_b32_e32 v6, 16, v69
	v_cndmask_b32_e32 v49, v49, v50, vcc_lo
	v_cmp_u_f32_e32 vcc_lo, v2, v2
	v_add3_u32 v2, v52, v3, 0x7fff
	v_bfe_u32 v50, v4, 16, 1
	v_or_b32_e32 v52, 0x400000, v3
	v_mul_f32_e32 v6, v1, v6
	v_cndmask_b32_e32 v48, v48, v51, vcc_lo
	v_lshlrev_b32_e32 v51, 16, v68
	v_cmp_u_f32_e32 vcc_lo, v3, v3
	v_add3_u32 v50, v50, v4, 0x7fff
	v_bfe_u32 v3, v6, 16, 1
	v_mul_f32_e32 v47, v1, v47
	v_mul_f32_e32 v51, v5, v51
	v_cndmask_b32_e32 v52, v2, v52, vcc_lo
	v_cmp_u_f32_e32 vcc_lo, v4, v4
	v_and_b32_e32 v2, 0xffff0000, v8
	v_lshlrev_b32_e32 v8, 16, v66
	v_add3_u32 v3, v3, v6, 0x7fff
	v_or_b32_e32 v54, 0x400000, v51
	v_cndmask_b32_e32 v4, v50, v53, vcc_lo
	v_bfe_u32 v50, v51, 16, 1
	v_or_b32_e32 v53, 0x400000, v6
	v_mul_f32_e32 v55, v2, v8
	v_and_b32_e32 v8, 0xffff0000, v7
	v_lshlrev_b32_e32 v7, 16, v67
	v_cmp_u_f32_e32 vcc_lo, v6, v6
	v_add3_u32 v50, v50, v51, 0x7fff
	v_and_b32_e32 v6, 0xffff0000, v49
	v_or_b32_e32 v49, 0x400000, v55
	v_mul_f32_e32 v7, v8, v7
	v_cndmask_b32_e32 v53, v3, v53, vcc_lo
	v_cmp_u_f32_e32 vcc_lo, v51, v51
	v_bfe_u32 v51, v55, 16, 1
	v_and_b32_e32 v3, 0xffff0000, v48
	v_mul_f32_e32 v21, v6, v21
	v_and_b32_e32 v4, 0xffff0000, v4
	v_cndmask_b32_e32 v50, v50, v54, vcc_lo
	v_add3_u32 v48, v51, v55, 0x7fff
	v_bfe_u32 v51, v7, 16, 1
	v_mul_f32_e32 v20, v3, v20
	v_cmp_u_f32_e32 vcc_lo, v55, v55
	v_bfe_u32 v55, v21, 16, 1
	v_mul_f32_e32 v65, v4, v65
	v_and_b32_e32 v50, 0xffff0000, v50
	v_bfe_u32 v54, v20, 16, 1
	v_cndmask_b32_e32 v48, v48, v49, vcc_lo
	v_add3_u32 v49, v51, v7, 0x7fff
	v_or_b32_e32 v51, 0x400000, v7
	v_cmp_u_f32_e32 vcc_lo, v7, v7
	v_and_b32_e32 v7, 0xffff0000, v52
	v_lshlrev_b32_e32 v52, 16, v64
	v_add3_u32 v55, v55, v21, 0x7fff
	v_or_b32_e32 v64, 0x400000, v21
	v_cndmask_b32_e32 v49, v49, v51, vcc_lo
	v_add3_u32 v51, v54, v20, 0x7fff
	v_or_b32_e32 v54, 0x400000, v20
	v_cmp_u_f32_e32 vcc_lo, v20, v20
	v_bfe_u32 v66, v65, 16, 1
	v_and_b32_e32 v49, 0xffff0000, v49
	v_and_b32_e32 v48, 0xffff0000, v48
	;; [unrolled: 1-line block ×3, first 2 shown]
	v_cndmask_b32_e32 v20, v51, v54, vcc_lo
	v_mul_f32_e32 v51, v7, v52
	v_cmp_u_f32_e32 vcc_lo, v21, v21
	v_add3_u32 v52, v66, v65, 0x7fff
	v_or_b32_e32 v54, 0x400000, v65
	v_add_f32_e32 v48, v49, v48
	v_lshlrev_b32_e32 v49, 16, v63
	v_cndmask_b32_e32 v21, v55, v64, vcc_lo
	v_bfe_u32 v55, v51, 16, 1
	v_cmp_u_f32_e32 vcc_lo, v65, v65
	v_add_f32_e32 v50, v50, v53
	v_and_b32_e32 v20, 0xffff0000, v20
	v_and_b32_e32 v21, 0xffff0000, v21
	v_lshlrev_b32_e32 v53, 16, v62
	v_cndmask_b32_e32 v52, v52, v54, vcc_lo
	v_add3_u32 v54, v55, v51, 0x7fff
	v_or_b32_e32 v55, 0x400000, v51
	v_cmp_u_f32_e32 vcc_lo, v51, v51
	v_mul_f32_e32 v49, v1, v49
	v_add_f32_e32 v48, v48, v50
	v_add_f32_e32 v20, v21, v20
	v_mul_f32_e32 v50, v5, v53
	v_cndmask_b32_e32 v51, v54, v55, vcc_lo
	v_bfe_u32 v53, v49, 16, 1
	v_cmp_u_f32_e32 vcc_lo, v49, v49
	v_add_f32_e32 v20, v20, v48
	v_bfe_u32 v48, v50, 16, 1
	v_and_b32_e32 v21, 0xffff0000, v51
	v_and_b32_e32 v51, 0xffff0000, v52
	v_lshlrev_b32_e32 v52, 16, v59
	v_or_b32_e32 v54, 0x400000, v50
	v_add3_u32 v48, v48, v50, 0x7fff
	v_lshlrev_b32_e32 v59, 16, v61
	v_add_f32_e32 v21, v21, v51
	v_mul_f32_e32 v51, v2, v52
	v_add3_u32 v52, v53, v49, 0x7fff
	v_or_b32_e32 v53, 0x400000, v49
	v_lshlrev_b32_e32 v46, 16, v46
	v_lshlrev_b32_e32 v43, 16, v43
	v_bfe_u32 v55, v51, 16, 1
	v_lshlrev_b32_e32 v45, 16, v45
	v_cndmask_b32_e32 v49, v52, v53, vcc_lo
	v_cmp_u_f32_e32 vcc_lo, v50, v50
	v_mul_f32_e32 v50, v8, v59
	v_add3_u32 v52, v55, v51, 0x7fff
	v_or_b32_e32 v53, 0x400000, v51
	v_lshlrev_b32_e32 v55, 16, v57
	v_cndmask_b32_e32 v48, v48, v54, vcc_lo
	v_lshlrev_b32_e32 v54, 16, v56
	v_cmp_u_f32_e32 vcc_lo, v51, v51
	v_bfe_u32 v56, v50, 16, 1
	v_and_b32_e32 v49, 0xffff0000, v49
	v_and_b32_e32 v48, 0xffff0000, v48
	v_mul_f32_e32 v46, v5, v46
	v_cndmask_b32_e32 v51, v52, v53, vcc_lo
	v_mul_f32_e32 v52, v3, v54
	v_mul_f32_e32 v53, v6, v55
	v_add3_u32 v54, v56, v50, 0x7fff
	v_or_b32_e32 v55, 0x400000, v50
	v_lshlrev_b32_e32 v56, 16, v60
	v_bfe_u32 v57, v52, 16, 1
	v_cmp_u_f32_e32 vcc_lo, v50, v50
	v_bfe_u32 v59, v53, 16, 1
	v_and_b32_e32 v51, 0xffff0000, v51
	v_add_f32_e32 v48, v48, v49
	v_mul_f32_e32 v43, v2, v43
	v_cndmask_b32_e32 v50, v54, v55, vcc_lo
	v_mul_f32_e32 v54, v4, v56
	v_add3_u32 v55, v57, v52, 0x7fff
	v_or_b32_e32 v56, 0x400000, v52
	v_cmp_u_f32_e32 vcc_lo, v52, v52
	v_add3_u32 v57, v59, v53, 0x7fff
	v_or_b32_e32 v59, 0x400000, v53
	v_bfe_u32 v60, v54, 16, 1
	v_and_b32_e32 v50, 0xffff0000, v50
	v_cndmask_b32_e32 v52, v55, v56, vcc_lo
	v_lshlrev_b32_e32 v55, 16, v58
	v_cmp_u_f32_e32 vcc_lo, v53, v53
	v_add3_u32 v56, v60, v54, 0x7fff
	v_add_f32_e32 v49, v50, v51
	v_and_b32_e32 v51, 0xffff0000, v52
	v_mul_f32_e32 v55, v7, v55
	v_cndmask_b32_e32 v53, v57, v59, vcc_lo
	v_or_b32_e32 v57, 0x400000, v54
	v_cmp_u_f32_e32 vcc_lo, v54, v54
	v_add_f32_e32 v48, v49, v48
	v_lshlrev_b32_e32 v41, 16, v41
	v_and_b32_e32 v50, 0xffff0000, v53
	v_or_b32_e32 v53, 0x400000, v55
	v_cndmask_b32_e32 v54, v56, v57, vcc_lo
	v_bfe_u32 v56, v55, 16, 1
	v_cmp_u_f32_e32 vcc_lo, v55, v55
	v_add_f32_e32 v49, v50, v51
	v_bfe_u32 v51, v47, 16, 1
	v_mul_f32_e32 v45, v8, v45
	v_add3_u32 v52, v56, v55, 0x7fff
	v_mul_f32_e32 v41, v3, v41
	v_add_f32_e32 v48, v49, v48
	v_lshlrev_b32_e32 v40, 16, v40
	v_lshlrev_b32_e32 v44, 16, v44
	v_cndmask_b32_e32 v50, v52, v53, vcc_lo
	v_bfe_u32 v53, v46, 16, 1
	v_cmp_u_f32_e32 vcc_lo, v47, v47
	v_and_b32_e32 v52, 0xffff0000, v54
	v_or_b32_e32 v54, 0x400000, v43
	v_and_b32_e32 v49, 0xffff0000, v50
	v_add3_u32 v50, v51, v47, 0x7fff
	v_or_b32_e32 v51, 0x400000, v47
	v_mul_f32_e32 v40, v6, v40
	v_mul_f32_e32 v44, v4, v44
	v_lshlrev_b32_e32 v42, 16, v42
	v_lshlrev_b32_e32 v17, 16, v17
	v_cndmask_b32_e32 v47, v50, v51, vcc_lo
	v_bfe_u32 v50, v43, 16, 1
	v_add3_u32 v51, v53, v46, 0x7fff
	v_or_b32_e32 v53, 0x400000, v46
	v_cmp_u_f32_e32 vcc_lo, v46, v46
	v_mul_f32_e32 v42, v7, v42
	v_add3_u32 v50, v50, v43, 0x7fff
	v_and_b32_e32 v47, 0xffff0000, v47
	v_mul_f32_e32 v2, v2, v17
	v_cndmask_b32_e32 v46, v51, v53, vcc_lo
	v_bfe_u32 v51, v45, 16, 1
	v_cmp_u_f32_e32 vcc_lo, v43, v43
	v_or_b32_e32 v53, 0x400000, v45
	v_lshlrev_b32_e32 v16, 16, v16
	v_and_b32_e32 v46, 0xffff0000, v46
	v_add3_u32 v51, v51, v45, 0x7fff
	v_cndmask_b32_e32 v43, v50, v54, vcc_lo
	v_bfe_u32 v50, v41, 16, 1
	v_cmp_u_f32_e32 vcc_lo, v45, v45
	v_or_b32_e32 v54, 0x400000, v41
	v_add_f32_e32 v46, v46, v47
	v_and_b32_e32 v43, 0xffff0000, v43
	v_add3_u32 v50, v50, v41, 0x7fff
	v_cndmask_b32_e32 v45, v51, v53, vcc_lo
	v_bfe_u32 v51, v40, 16, 1
	v_cmp_u_f32_e32 vcc_lo, v41, v41
	v_bfe_u32 v53, v44, 16, 1
	v_mul_f32_e32 v6, v6, v16
	v_and_b32_e32 v45, 0xffff0000, v45
	v_lshlrev_b32_e32 v10, 16, v10
	v_cndmask_b32_e32 v41, v50, v54, vcc_lo
	v_add3_u32 v50, v51, v40, 0x7fff
	v_or_b32_e32 v51, 0x400000, v40
	v_cmp_u_f32_e32 vcc_lo, v40, v40
	v_add3_u32 v53, v53, v44, 0x7fff
	v_or_b32_e32 v54, 0x400000, v44
	v_add_f32_e32 v43, v45, v43
	v_and_b32_e32 v41, 0xffff0000, v41
	v_cndmask_b32_e32 v40, v50, v51, vcc_lo
	v_cmp_u_f32_e32 vcc_lo, v44, v44
	v_bfe_u32 v50, v42, 16, 1
	v_lshlrev_b32_e32 v45, 16, v71
	v_or_b32_e32 v51, 0x400000, v42
	v_and_b32_e32 v40, 0xffff0000, v40
	v_cndmask_b32_e32 v44, v53, v54, vcc_lo
	v_lshlrev_b32_e32 v53, 16, v72
	v_add3_u32 v50, v50, v42, 0x7fff
	v_cmp_u_f32_e32 vcc_lo, v42, v42
	v_add_f32_e32 v43, v43, v46
	v_add_f32_e32 v40, v40, v41
	v_mul_f32_e32 v5, v5, v53
	v_mul_f32_e32 v1, v1, v45
	v_lshlrev_b32_e32 v41, 16, v70
	v_cndmask_b32_e32 v42, v50, v51, vcc_lo
	v_mul_f32_e32 v3, v3, v10
	v_bfe_u32 v46, v5, 16, 1
	v_bfe_u32 v47, v1, 16, 1
	v_mul_f32_e32 v8, v8, v41
	v_cmp_u_f32_e32 vcc_lo, v5, v5
	v_lshlrev_b32_e32 v10, 16, v19
	v_add3_u32 v45, v46, v5, 0x7fff
	v_or_b32_e32 v46, 0x400000, v5
	v_add3_u32 v41, v47, v1, 0x7fff
	v_lshlrev_b32_e32 v18, 16, v18
	v_mul_f32_e32 v7, v7, v10
	v_or_b32_e32 v10, 0x400000, v6
	v_cndmask_b32_e32 v5, v45, v46, vcc_lo
	v_or_b32_e32 v45, 0x400000, v1
	v_bfe_u32 v46, v8, 16, 1
	v_cmp_u_f32_e32 vcc_lo, v1, v1
	v_mul_f32_e32 v4, v4, v18
	v_or_b32_e32 v18, 0x400000, v3
	v_bfe_u32 v19, v7, 16, 1
	v_add3_u32 v17, v46, v8, 0x7fff
	v_cndmask_b32_e32 v1, v41, v45, vcc_lo
	v_or_b32_e32 v41, 0x400000, v8
	v_bfe_u32 v45, v2, 16, 1
	v_cmp_u_f32_e32 vcc_lo, v8, v8
	v_and_b32_e32 v5, 0xffff0000, v5
	v_and_b32_e32 v1, 0xffff0000, v1
	;; [unrolled: 1-line block ×3, first 2 shown]
	v_add3_u32 v16, v45, v2, 0x7fff
	v_cndmask_b32_e32 v8, v17, v41, vcc_lo
	v_or_b32_e32 v17, 0x400000, v2
	v_bfe_u32 v41, v6, 16, 1
	v_cmp_u_f32_e32 vcc_lo, v2, v2
	v_add_f32_e32 v1, v5, v1
	v_and_b32_e32 v8, 0xffff0000, v8
	v_cndmask_b32_e32 v2, v16, v17, vcc_lo
	v_bfe_u32 v16, v3, 16, 1
	v_add3_u32 v17, v41, v6, 0x7fff
	v_cmp_u_f32_e32 vcc_lo, v6, v6
	v_bfe_u32 v41, v4, 16, 1
	v_and_b32_e32 v2, 0xffff0000, v2
	v_add3_u32 v16, v16, v3, 0x7fff
	v_cndmask_b32_e32 v6, v17, v10, vcc_lo
	v_cmp_u_f32_e32 vcc_lo, v3, v3
	v_or_b32_e32 v17, 0x400000, v4
	v_add3_u32 v10, v19, v7, 0x7fff
	v_add_f32_e32 v2, v8, v2
	v_and_b32_e32 v5, 0xffff0000, v6
	v_cndmask_b32_e32 v3, v16, v18, vcc_lo
	v_add3_u32 v16, v41, v4, 0x7fff
	v_cmp_u_f32_e32 vcc_lo, v4, v4
	v_or_b32_e32 v18, 0x400000, v7
	v_add_f32_e32 v1, v2, v1
	v_and_b32_e32 v3, 0xffff0000, v3
	v_cndmask_b32_e32 v4, v16, v17, vcc_lo
	v_cmp_u_f32_e32 vcc_lo, v7, v7
	v_and_b32_e32 v7, 0xffff0000, v44
	v_add_f32_e32 v2, v5, v3
	v_add_f32_e32 v5, v49, v52
	v_and_b32_e32 v3, 0xffff0000, v4
	v_cndmask_b32_e32 v6, v10, v18, vcc_lo
	v_add_f32_e32 v7, v42, v7
	v_add_f32_e32 v1, v2, v1
	v_and_b32_e32 v4, 0xffff0000, v6
	v_add_f32_e32 v6, v40, v43
	v_add_f32_e32 v2, v4, v3
	v_add_f32_e32 v3, v21, v20
	v_add_f32_e32 v4, v5, v48
	v_add_f32_e32 v5, v7, v6
	v_add_f32_e32 v1, v2, v1
	v_add_f32_e32 v29, v29, v3
	v_add_f32_e32 v30, v30, v4
	v_add_f32_e32 v31, v31, v5
	v_add_f32_e32 v28, v28, v1
.LBB371_277:                            ;   in Loop: Header=BB371_278 Depth=1
	s_or_b32 exec_lo, exec_lo, s17
	v_add_nc_u32_e32 v9, 4, v9
	v_add_co_u32 v12, s0, v12, 16
	v_add_co_ci_u32_e64 v13, null, 0, v13, s0
	v_cmp_le_i32_e32 vcc_lo, s20, v9
	v_add_nc_u32_e32 v24, 0x80, v24
	v_add_nc_u32_e32 v38, 0x200, v38
	s_or_b32 s13, vcc_lo, s13
	s_andn2_b32 exec_lo, exec_lo, s13
	s_cbranch_execz .LBB371_527
.LBB371_278:                            ; =>This Inner Loop Header: Depth=1
	v_sub_nc_u32_e32 v1, 0, v24
	v_max_i32_e32 v1, v24, v1
	v_mul_hi_u32 v2, v1, s16
	v_mul_lo_u32 v3, v2, s11
	v_sub_nc_u32_e32 v1, v1, v3
	v_add_nc_u32_e32 v3, 1, v2
	v_subrev_nc_u32_e32 v4, s11, v1
	v_cmp_le_u32_e32 vcc_lo, s11, v1
	v_cndmask_b32_e32 v2, v2, v3, vcc_lo
	v_cndmask_b32_e32 v1, v1, v4, vcc_lo
	v_ashrrev_i32_e32 v3, 31, v24
	v_add_nc_u32_e32 v4, 1, v2
	v_cmp_le_u32_e32 vcc_lo, s11, v1
	v_xor_b32_e32 v3, s23, v3
	v_cndmask_b32_e32 v1, v2, v4, vcc_lo
	v_xor_b32_e32 v1, v1, v3
	v_sub_nc_u32_e32 v1, v1, v3
	v_add_nc_u32_e32 v2, s19, v1
	v_cmp_lt_i32_e64 s0, s3, v1
	v_sub_nc_u32_e32 v3, 0, v2
	v_max_i32_e32 v3, v2, v3
	v_ashrrev_i32_e32 v2, 31, v2
	v_mul_hi_u32 v4, v3, v39
	v_mul_lo_u32 v4, v4, s6
	v_sub_nc_u32_e32 v3, v3, v4
	v_subrev_nc_u32_e32 v4, s6, v3
	v_cmp_le_u32_e32 vcc_lo, s6, v3
	v_cndmask_b32_e32 v3, v3, v4, vcc_lo
	v_subrev_nc_u32_e32 v4, s6, v3
	v_cmp_le_u32_e32 vcc_lo, s6, v3
	v_cndmask_b32_e32 v3, v3, v4, vcc_lo
	v_xor_b32_e32 v3, v3, v2
	v_sub_nc_u32_e32 v2, v3, v2
	v_cmp_eq_u32_e32 vcc_lo, 0, v2
	s_or_b32 s0, vcc_lo, s0
	s_and_saveexec_b32 s17, s0
	s_cbranch_execz .LBB371_277
; %bb.279:                              ;   in Loop: Header=BB371_278 Depth=1
	global_load_dword v1, v[12:13], off
	v_mov_b32_e32 v40, 0
	v_mov_b32_e32 v42, 0
	s_waitcnt vmcnt(0)
	v_mad_i64_i32 v[16:17], null, v1, s9, v[14:15]
	global_load_dwordx2 v[18:19], v[16:17], off
	ds_read2_b64 v[5:8], v38 offset1:1
	ds_read2_b64 v[1:4], v38 offset0:2 offset1:3
	s_load_dword s18, s[14:15], 0x0
	s_waitcnt vmcnt(0)
	v_cmp_ne_u16_sdwa s21, v18, v11 src0_sel:BYTE_0 src1_sel:DWORD
	s_and_saveexec_b32 s0, s21
	s_cbranch_execz .LBB371_285
; %bb.280:                              ;   in Loop: Header=BB371_278 Depth=1
	v_cmp_ne_u16_sdwa s22, v18, v32 src0_sel:BYTE_0 src1_sel:DWORD
	v_bfrev_b32_e32 v42, 1
	s_and_saveexec_b32 s21, s22
	s_cbranch_execz .LBB371_284
; %bb.281:                              ;   in Loop: Header=BB371_278 Depth=1
	v_and_b32_e32 v10, 0x7f, v18
	v_mov_b32_e32 v42, 0x7f800001
	s_mov_b32 s22, exec_lo
	v_cmpx_ne_u32_e32 0x7f, v10
	s_cbranch_execz .LBB371_283
; %bb.282:                              ;   in Loop: Header=BB371_278 Depth=1
	v_and_b32_e32 v20, 7, v18
	v_lshrrev_b32_e32 v21, 3, v10
	v_cmp_gt_u32_e32 vcc_lo, 8, v10
	v_ffbh_u32_e32 v20, v20
	v_min_u32_e32 v20, 32, v20
	v_subrev_nc_u32_e32 v41, 28, v20
	v_sub_nc_u32_e32 v20, 29, v20
	v_cndmask_b32_e32 v10, v21, v20, vcc_lo
	v_cndmask_b32_e32 v20, 0, v41, vcc_lo
	v_lshl_add_u32 v10, v10, 23, 0x3c000000
	v_lshlrev_b64 v[20:21], v20, v[18:19]
	v_lshlrev_b32_e32 v21, 24, v18
	v_lshlrev_b32_e32 v20, 20, v20
	v_and_b32_e32 v21, 0x80000000, v21
	v_and_b32_e32 v20, 0x700000, v20
	v_or3_b32 v42, v20, v21, v10
.LBB371_283:                            ;   in Loop: Header=BB371_278 Depth=1
	s_or_b32 exec_lo, exec_lo, s22
.LBB371_284:                            ;   in Loop: Header=BB371_278 Depth=1
	s_or_b32 exec_lo, exec_lo, s21
.LBB371_285:                            ;   in Loop: Header=BB371_278 Depth=1
	s_or_b32 exec_lo, exec_lo, s0
	v_cmp_ne_u16_sdwa s21, v18, v11 src0_sel:BYTE_1 src1_sel:DWORD
	s_and_saveexec_b32 s0, s21
	s_cbranch_execz .LBB371_293
; %bb.286:                              ;   in Loop: Header=BB371_278 Depth=1
	v_cmp_ne_u16_sdwa s22, v18, v32 src0_sel:BYTE_1 src1_sel:DWORD
	v_bfrev_b32_e32 v40, 1
	s_and_saveexec_b32 s21, s22
	s_cbranch_execz .LBB371_292
; %bb.287:                              ;   in Loop: Header=BB371_278 Depth=1
	v_and_b32_sdwa v10, v33, v18 dst_sel:DWORD dst_unused:UNUSED_PAD src0_sel:DWORD src1_sel:BYTE_1
	v_mov_b32_e32 v40, 0x7f800001
	s_mov_b32 s22, exec_lo
	v_and_b32_e32 v21, 0x7f, v10
	v_cmpx_ne_u32_e32 0x7f, v21
	s_cbranch_execz .LBB371_291
; %bb.288:                              ;   in Loop: Header=BB371_278 Depth=1
	v_and_b32_e32 v10, 7, v10
	v_lshrrev_b32_e32 v20, 3, v21
	s_mov_b32 s24, exec_lo
	v_cmpx_gt_u32_e32 8, v21
; %bb.289:                              ;   in Loop: Header=BB371_278 Depth=1
	v_ffbh_u32_e32 v20, v10
	v_min_u32_e32 v20, 32, v20
	v_subrev_nc_u32_e32 v21, 28, v20
	v_sub_nc_u32_e32 v20, 29, v20
	v_lshlrev_b64 v[40:41], v21, v[10:11]
	v_and_b32_e32 v10, 7, v40
; %bb.290:                              ;   in Loop: Header=BB371_278 Depth=1
	s_or_b32 exec_lo, exec_lo, s24
	v_lshlrev_b32_e32 v21, 16, v18
	v_lshlrev_b32_e32 v10, 20, v10
	v_lshl_add_u32 v20, v20, 23, 0x3c000000
	v_and_b32_e32 v21, 0x80000000, v21
	v_or3_b32 v40, v10, v21, v20
.LBB371_291:                            ;   in Loop: Header=BB371_278 Depth=1
	s_or_b32 exec_lo, exec_lo, s22
.LBB371_292:                            ;   in Loop: Header=BB371_278 Depth=1
	s_or_b32 exec_lo, exec_lo, s21
.LBB371_293:                            ;   in Loop: Header=BB371_278 Depth=1
	s_or_b32 exec_lo, exec_lo, s0
	v_and_b32_sdwa v10, v18, v34 dst_sel:DWORD dst_unused:UNUSED_PAD src0_sel:WORD_1 src1_sel:DWORD
	v_mov_b32_e32 v43, 0
	v_mov_b32_e32 v41, 0
	s_mov_b32 s0, exec_lo
	v_cmpx_ne_u16_e32 0, v10
	s_cbranch_execz .LBB371_301
; %bb.294:                              ;   in Loop: Header=BB371_278 Depth=1
	v_bfrev_b32_e32 v41, 1
	s_mov_b32 s21, exec_lo
	v_cmpx_ne_u16_e32 0x80, v10
	s_cbranch_execz .LBB371_300
; %bb.295:                              ;   in Loop: Header=BB371_278 Depth=1
	v_bfe_u32 v21, v18, 16, 7
	v_mov_b32_e32 v41, 0x7f800001
	s_mov_b32 s22, exec_lo
	v_cmpx_ne_u32_e32 0x7f, v21
	s_cbranch_execz .LBB371_299
; %bb.296:                              ;   in Loop: Header=BB371_278 Depth=1
	v_and_b32_sdwa v10, v18, v35 dst_sel:DWORD dst_unused:UNUSED_PAD src0_sel:WORD_1 src1_sel:DWORD
	v_lshrrev_b32_e32 v20, 3, v21
	s_mov_b32 s24, exec_lo
	v_cmpx_gt_u32_e32 8, v21
; %bb.297:                              ;   in Loop: Header=BB371_278 Depth=1
	v_ffbh_u32_e32 v20, v10
	v_min_u32_e32 v20, 32, v20
	v_subrev_nc_u32_e32 v21, 28, v20
	v_sub_nc_u32_e32 v20, 29, v20
	v_lshlrev_b64 v[44:45], v21, v[10:11]
	v_and_b32_e32 v10, 7, v44
; %bb.298:                              ;   in Loop: Header=BB371_278 Depth=1
	s_or_b32 exec_lo, exec_lo, s24
	v_lshlrev_b32_sdwa v21, v36, v18 dst_sel:DWORD dst_unused:UNUSED_PAD src0_sel:DWORD src1_sel:WORD_1
	v_lshlrev_b32_e32 v10, 20, v10
	v_lshl_add_u32 v20, v20, 23, 0x3c000000
	v_and_b32_e32 v21, 0x80000000, v21
	v_or3_b32 v41, v10, v21, v20
.LBB371_299:                            ;   in Loop: Header=BB371_278 Depth=1
	s_or_b32 exec_lo, exec_lo, s22
.LBB371_300:                            ;   in Loop: Header=BB371_278 Depth=1
	s_or_b32 exec_lo, exec_lo, s21
.LBB371_301:                            ;   in Loop: Header=BB371_278 Depth=1
	s_or_b32 exec_lo, exec_lo, s0
	s_mov_b32 s0, exec_lo
	v_cmpx_lt_u32_e32 0xffffff, v18
	s_cbranch_execz .LBB371_309
; %bb.302:                              ;   in Loop: Header=BB371_278 Depth=1
	v_cmp_ne_u32_sdwa s22, v18, v32 src0_sel:BYTE_3 src1_sel:DWORD
	v_bfrev_b32_e32 v43, 1
	s_and_saveexec_b32 s21, s22
	s_cbranch_execz .LBB371_308
; %bb.303:                              ;   in Loop: Header=BB371_278 Depth=1
	v_bfe_u32 v21, v18, 24, 7
	v_mov_b32_e32 v43, 0x7f800001
	s_mov_b32 s22, exec_lo
	v_cmpx_ne_u32_e32 0x7f, v21
	s_cbranch_execz .LBB371_307
; %bb.304:                              ;   in Loop: Header=BB371_278 Depth=1
	v_and_b32_sdwa v10, v18, v35 dst_sel:DWORD dst_unused:UNUSED_PAD src0_sel:BYTE_3 src1_sel:DWORD
	v_lshrrev_b32_e32 v20, 3, v21
	s_mov_b32 s24, exec_lo
	v_cmpx_gt_u32_e32 8, v21
; %bb.305:                              ;   in Loop: Header=BB371_278 Depth=1
	v_ffbh_u32_e32 v20, v10
	v_min_u32_e32 v20, 32, v20
	v_subrev_nc_u32_e32 v21, 28, v20
	v_sub_nc_u32_e32 v20, 29, v20
	v_lshlrev_b64 v[43:44], v21, v[10:11]
	v_and_b32_e32 v10, 7, v43
; %bb.306:                              ;   in Loop: Header=BB371_278 Depth=1
	s_or_b32 exec_lo, exec_lo, s24
	v_lshlrev_b32_sdwa v21, v36, v18 dst_sel:DWORD dst_unused:UNUSED_PAD src0_sel:DWORD src1_sel:BYTE_3
	v_lshlrev_b32_e32 v10, 20, v10
	v_lshl_add_u32 v20, v20, 23, 0x3c000000
	v_and_b32_e32 v21, 0x80000000, v21
	v_or3_b32 v43, v10, v21, v20
.LBB371_307:                            ;   in Loop: Header=BB371_278 Depth=1
	s_or_b32 exec_lo, exec_lo, s22
.LBB371_308:                            ;   in Loop: Header=BB371_278 Depth=1
	s_or_b32 exec_lo, exec_lo, s21
.LBB371_309:                            ;   in Loop: Header=BB371_278 Depth=1
	s_or_b32 exec_lo, exec_lo, s0
	v_mov_b32_e32 v10, v19
	v_cmp_ne_u16_sdwa s21, v19, v11 src0_sel:BYTE_0 src1_sel:DWORD
	v_mov_b32_e32 v20, 0
	v_mov_b32_e32 v44, 0
	s_and_saveexec_b32 s0, s21
	s_cbranch_execz .LBB371_315
; %bb.310:                              ;   in Loop: Header=BB371_278 Depth=1
	v_cmp_ne_u16_sdwa s22, v19, v32 src0_sel:BYTE_0 src1_sel:DWORD
	v_bfrev_b32_e32 v44, 1
	s_and_saveexec_b32 s21, s22
	s_cbranch_execz .LBB371_314
; %bb.311:                              ;   in Loop: Header=BB371_278 Depth=1
	v_and_b32_e32 v21, 0x7f, v19
	v_mov_b32_e32 v44, 0x7f800001
	s_mov_b32 s22, exec_lo
	v_cmpx_ne_u32_e32 0x7f, v21
	s_cbranch_execz .LBB371_313
; %bb.312:                              ;   in Loop: Header=BB371_278 Depth=1
	v_and_b32_e32 v44, 7, v19
	v_lshrrev_b32_e32 v45, 3, v21
	v_cmp_gt_u32_e32 vcc_lo, 8, v21
	v_ffbh_u32_e32 v44, v44
	v_min_u32_e32 v44, 32, v44
	v_subrev_nc_u32_e32 v46, 28, v44
	v_sub_nc_u32_e32 v44, 29, v44
	v_cndmask_b32_e32 v21, v45, v44, vcc_lo
	v_cndmask_b32_e32 v44, 0, v46, vcc_lo
	v_lshl_add_u32 v21, v21, 23, 0x3c000000
	v_lshlrev_b64 v[44:45], v44, v[10:11]
	v_lshlrev_b32_e32 v45, 24, v10
	v_lshlrev_b32_e32 v44, 20, v44
	v_and_b32_e32 v45, 0x80000000, v45
	v_and_b32_e32 v44, 0x700000, v44
	v_or3_b32 v44, v44, v45, v21
.LBB371_313:                            ;   in Loop: Header=BB371_278 Depth=1
	s_or_b32 exec_lo, exec_lo, s22
.LBB371_314:                            ;   in Loop: Header=BB371_278 Depth=1
	s_or_b32 exec_lo, exec_lo, s21
.LBB371_315:                            ;   in Loop: Header=BB371_278 Depth=1
	s_or_b32 exec_lo, exec_lo, s0
	v_cmp_ne_u16_sdwa s21, v10, v11 src0_sel:BYTE_1 src1_sel:DWORD
	s_and_saveexec_b32 s0, s21
	s_cbranch_execz .LBB371_323
; %bb.316:                              ;   in Loop: Header=BB371_278 Depth=1
	v_cmp_ne_u16_sdwa s22, v10, v32 src0_sel:BYTE_1 src1_sel:DWORD
	v_bfrev_b32_e32 v20, 1
	s_and_saveexec_b32 s21, s22
	s_cbranch_execz .LBB371_322
; %bb.317:                              ;   in Loop: Header=BB371_278 Depth=1
	v_and_b32_sdwa v21, v33, v10 dst_sel:DWORD dst_unused:UNUSED_PAD src0_sel:DWORD src1_sel:BYTE_1
	v_mov_b32_e32 v20, 0x7f800001
	s_mov_b32 s22, exec_lo
	v_and_b32_e32 v46, 0x7f, v21
	v_cmpx_ne_u32_e32 0x7f, v46
	s_cbranch_execz .LBB371_321
; %bb.318:                              ;   in Loop: Header=BB371_278 Depth=1
	v_and_b32_e32 v20, 7, v21
	v_mov_b32_e32 v21, v11
	v_lshrrev_b32_e32 v45, 3, v46
	s_mov_b32 s24, exec_lo
	v_cmpx_gt_u32_e32 8, v46
; %bb.319:                              ;   in Loop: Header=BB371_278 Depth=1
	v_ffbh_u32_e32 v45, v20
	v_min_u32_e32 v45, 32, v45
	v_subrev_nc_u32_e32 v46, 28, v45
	v_sub_nc_u32_e32 v45, 29, v45
	v_lshlrev_b64 v[20:21], v46, v[20:21]
	v_and_b32_e32 v20, 7, v20
; %bb.320:                              ;   in Loop: Header=BB371_278 Depth=1
	s_or_b32 exec_lo, exec_lo, s24
	v_lshlrev_b32_e32 v10, 16, v10
	v_lshlrev_b32_e32 v20, 20, v20
	v_lshl_add_u32 v21, v45, 23, 0x3c000000
	v_and_b32_e32 v10, 0x80000000, v10
	v_or3_b32 v20, v20, v10, v21
.LBB371_321:                            ;   in Loop: Header=BB371_278 Depth=1
	s_or_b32 exec_lo, exec_lo, s22
.LBB371_322:                            ;   in Loop: Header=BB371_278 Depth=1
	s_or_b32 exec_lo, exec_lo, s21
.LBB371_323:                            ;   in Loop: Header=BB371_278 Depth=1
	s_or_b32 exec_lo, exec_lo, s0
	v_and_b32_sdwa v10, v19, v34 dst_sel:DWORD dst_unused:UNUSED_PAD src0_sel:WORD_1 src1_sel:DWORD
	v_mov_b32_e32 v21, 0
	v_mov_b32_e32 v45, 0
	s_mov_b32 s0, exec_lo
	v_cmpx_ne_u16_e32 0, v10
	s_cbranch_execz .LBB371_331
; %bb.324:                              ;   in Loop: Header=BB371_278 Depth=1
	v_bfrev_b32_e32 v45, 1
	s_mov_b32 s21, exec_lo
	v_cmpx_ne_u16_e32 0x80, v10
	s_cbranch_execz .LBB371_330
; %bb.325:                              ;   in Loop: Header=BB371_278 Depth=1
	v_bfe_u32 v46, v19, 16, 7
	v_mov_b32_e32 v45, 0x7f800001
	s_mov_b32 s22, exec_lo
	v_cmpx_ne_u32_e32 0x7f, v46
	s_cbranch_execz .LBB371_329
; %bb.326:                              ;   in Loop: Header=BB371_278 Depth=1
	v_and_b32_sdwa v10, v19, v35 dst_sel:DWORD dst_unused:UNUSED_PAD src0_sel:WORD_1 src1_sel:DWORD
	v_lshrrev_b32_e32 v45, 3, v46
	s_mov_b32 s24, exec_lo
	v_cmpx_gt_u32_e32 8, v46
; %bb.327:                              ;   in Loop: Header=BB371_278 Depth=1
	v_ffbh_u32_e32 v45, v10
	v_min_u32_e32 v45, 32, v45
	v_subrev_nc_u32_e32 v46, 28, v45
	v_sub_nc_u32_e32 v45, 29, v45
	v_lshlrev_b64 v[46:47], v46, v[10:11]
	v_and_b32_e32 v10, 7, v46
; %bb.328:                              ;   in Loop: Header=BB371_278 Depth=1
	s_or_b32 exec_lo, exec_lo, s24
	v_lshlrev_b32_sdwa v46, v36, v19 dst_sel:DWORD dst_unused:UNUSED_PAD src0_sel:DWORD src1_sel:WORD_1
	v_lshlrev_b32_e32 v10, 20, v10
	v_lshl_add_u32 v45, v45, 23, 0x3c000000
	v_and_b32_e32 v46, 0x80000000, v46
	v_or3_b32 v45, v10, v46, v45
.LBB371_329:                            ;   in Loop: Header=BB371_278 Depth=1
	s_or_b32 exec_lo, exec_lo, s22
.LBB371_330:                            ;   in Loop: Header=BB371_278 Depth=1
	s_or_b32 exec_lo, exec_lo, s21
.LBB371_331:                            ;   in Loop: Header=BB371_278 Depth=1
	s_or_b32 exec_lo, exec_lo, s0
	s_mov_b32 s0, exec_lo
	v_cmpx_lt_u64_e64 s[4:5], v[18:19]
	s_cbranch_execz .LBB371_339
; %bb.332:                              ;   in Loop: Header=BB371_278 Depth=1
	v_cmp_ne_u32_sdwa s22, v19, v32 src0_sel:BYTE_3 src1_sel:DWORD
	v_bfrev_b32_e32 v21, 1
	s_and_saveexec_b32 s21, s22
	s_cbranch_execz .LBB371_338
; %bb.333:                              ;   in Loop: Header=BB371_278 Depth=1
	v_bfe_u32 v46, v19, 24, 7
	v_mov_b32_e32 v21, 0x7f800001
	s_mov_b32 s22, exec_lo
	v_cmpx_ne_u32_e32 0x7f, v46
	s_cbranch_execz .LBB371_337
; %bb.334:                              ;   in Loop: Header=BB371_278 Depth=1
	v_and_b32_sdwa v10, v19, v35 dst_sel:DWORD dst_unused:UNUSED_PAD src0_sel:BYTE_3 src1_sel:DWORD
	v_lshrrev_b32_e32 v18, 3, v46
	s_mov_b32 s24, exec_lo
	v_cmpx_gt_u32_e32 8, v46
; %bb.335:                              ;   in Loop: Header=BB371_278 Depth=1
	v_ffbh_u32_e32 v18, v10
	v_min_u32_e32 v18, 32, v18
	v_subrev_nc_u32_e32 v21, 28, v18
	v_sub_nc_u32_e32 v18, 29, v18
	v_lshlrev_b64 v[46:47], v21, v[10:11]
	v_and_b32_e32 v10, 7, v46
; %bb.336:                              ;   in Loop: Header=BB371_278 Depth=1
	s_or_b32 exec_lo, exec_lo, s24
	v_lshlrev_b32_sdwa v19, v36, v19 dst_sel:DWORD dst_unused:UNUSED_PAD src0_sel:DWORD src1_sel:BYTE_3
	v_lshlrev_b32_e32 v10, 20, v10
	v_lshl_add_u32 v18, v18, 23, 0x3c000000
	v_and_b32_e32 v19, 0x80000000, v19
	v_or3_b32 v21, v10, v19, v18
.LBB371_337:                            ;   in Loop: Header=BB371_278 Depth=1
	s_or_b32 exec_lo, exec_lo, s22
.LBB371_338:                            ;   in Loop: Header=BB371_278 Depth=1
	s_or_b32 exec_lo, exec_lo, s21
.LBB371_339:                            ;   in Loop: Header=BB371_278 Depth=1
	s_or_b32 exec_lo, exec_lo, s0
	s_waitcnt lgkmcnt(0)
	v_mul_f32_e32 v10, s18, v20
	v_mul_f32_e32 v18, s18, v44
	;; [unrolled: 1-line block ×5, first 2 shown]
	v_bfe_u32 v20, v10, 16, 1
	v_or_b32_e32 v41, 0x400000, v10
	v_bfe_u32 v43, v18, 16, 1
	v_cmp_u_f32_e64 s0, v10, v10
	v_or_b32_e32 v46, 0x400000, v18
	v_add3_u32 v20, v20, v10, 0x7fff
	v_bfe_u32 v47, v19, 16, 1
	v_add3_u32 v43, v43, v18, 0x7fff
	v_or_b32_e32 v49, 0x400000, v19
	v_add_nc_u32_e32 v48, v37, v24
	v_cndmask_b32_e64 v10, v20, v41, s0
	v_cmp_u_f32_e64 s0, v18, v18
	v_bfe_u32 v20, v44, 16, 1
	v_add3_u32 v47, v47, v19, 0x7fff
	v_cmp_eq_u32_e32 vcc_lo, s12, v9
	v_lshrrev_b32_e32 v41, 16, v10
	v_cndmask_b32_e64 v18, v43, v46, s0
	v_cmp_u_f32_e64 s0, v19, v19
	v_mul_f32_e32 v19, s18, v40
	v_add3_u32 v20, v20, v44, 0x7fff
	v_or_b32_e32 v46, 0x400000, v44
	v_lshrrev_b32_e32 v40, 16, v18
	v_cndmask_b32_e64 v10, v47, v49, s0
	v_cmp_u_f32_e64 s0, v44, v44
	v_or_b32_e32 v44, 0x400000, v19
	v_or_b32_e32 v49, 0x400000, v21
	v_add_nc_u32_e32 v55, 1, v48
	v_lshrrev_b32_e32 v43, 16, v10
	v_bfe_u32 v10, v19, 16, 1
	v_cndmask_b32_e64 v18, v20, v46, s0
	v_mul_f32_e32 v20, s18, v42
	v_mul_f32_e32 v42, s18, v45
	v_cmp_u_f32_e64 s0, v19, v19
	v_add3_u32 v10, v10, v19, 0x7fff
	v_bfe_u32 v19, v21, 16, 1
	v_bfe_u32 v45, v20, 16, 1
	;; [unrolled: 1-line block ×3, first 2 shown]
	v_or_b32_e32 v47, 0x400000, v42
	v_cndmask_b32_e64 v10, v10, v44, s0
	v_cmp_u_f32_e64 s0, v20, v20
	v_add3_u32 v44, v45, v20, 0x7fff
	v_or_b32_e32 v45, 0x400000, v20
	v_add3_u32 v46, v46, v42, 0x7fff
	v_add3_u32 v19, v19, v21, 0x7fff
	v_add_nc_u32_e32 v54, 2, v48
	v_add_nc_u32_e32 v53, 3, v48
	v_cndmask_b32_e64 v20, v44, v45, s0
	v_cmp_u_f32_e64 s0, v42, v42
	v_lshrrev_b32_e32 v45, 16, v18
	v_add_nc_u32_e32 v52, 4, v48
	v_add_nc_u32_e32 v51, 5, v48
	;; [unrolled: 1-line block ×3, first 2 shown]
	v_cndmask_b32_e64 v42, v46, v47, s0
	v_cmp_u_f32_e64 s0, v21, v21
	v_lshrrev_b32_e32 v47, 16, v10
	v_lshrrev_b32_e32 v46, 16, v20
	;; [unrolled: 1-line block ×3, first 2 shown]
	v_cndmask_b32_e64 v19, v19, v49, s0
	v_add_nc_u32_e32 v49, 7, v48
	v_lshrrev_b32_e32 v44, 16, v19
	s_and_saveexec_b32 s21, vcc_lo
	s_cbranch_execz .LBB371_341
; %bb.340:                              ;   in Loop: Header=BB371_278 Depth=1
	v_cmp_gt_i32_e64 s0, s31, v48
	v_cndmask_b32_e64 v46, 0, v46, s0
	v_cmp_gt_i32_e64 s0, s31, v55
	v_cndmask_b32_e64 v47, 0, v47, s0
	;; [unrolled: 2-line block ×8, first 2 shown]
.LBB371_341:                            ;   in Loop: Header=BB371_278 Depth=1
	s_or_b32 exec_lo, exec_lo, s21
	global_load_dwordx2 v[18:19], v[16:17], off offset:256
	v_mov_b32_e32 v57, 0
	v_mov_b32_e32 v58, 0
	s_waitcnt vmcnt(0)
	v_cmp_ne_u16_sdwa s0, v18, v11 src0_sel:BYTE_0 src1_sel:DWORD
	s_and_saveexec_b32 s21, s0
	s_cbranch_execz .LBB371_347
; %bb.342:                              ;   in Loop: Header=BB371_278 Depth=1
	v_cmp_ne_u16_sdwa s0, v18, v32 src0_sel:BYTE_0 src1_sel:DWORD
	v_bfrev_b32_e32 v58, 1
	s_and_saveexec_b32 s22, s0
	s_cbranch_execz .LBB371_346
; %bb.343:                              ;   in Loop: Header=BB371_278 Depth=1
	v_and_b32_e32 v10, 0x7f, v18
	v_mov_b32_e32 v58, 0x7f800001
	s_mov_b32 s24, exec_lo
	v_cmpx_ne_u32_e32 0x7f, v10
	s_cbranch_execz .LBB371_345
; %bb.344:                              ;   in Loop: Header=BB371_278 Depth=1
	v_and_b32_e32 v20, 7, v18
	v_lshrrev_b32_e32 v21, 3, v10
	v_cmp_gt_u32_e64 s0, 8, v10
	v_ffbh_u32_e32 v20, v20
	v_min_u32_e32 v20, 32, v20
	v_subrev_nc_u32_e32 v56, 28, v20
	v_sub_nc_u32_e32 v20, 29, v20
	v_cndmask_b32_e64 v10, v21, v20, s0
	v_cndmask_b32_e64 v20, 0, v56, s0
	v_lshl_add_u32 v10, v10, 23, 0x3c000000
	v_lshlrev_b64 v[20:21], v20, v[18:19]
	v_lshlrev_b32_e32 v21, 24, v18
	v_lshlrev_b32_e32 v20, 20, v20
	v_and_b32_e32 v21, 0x80000000, v21
	v_and_b32_e32 v20, 0x700000, v20
	v_or3_b32 v58, v20, v21, v10
.LBB371_345:                            ;   in Loop: Header=BB371_278 Depth=1
	s_or_b32 exec_lo, exec_lo, s24
.LBB371_346:                            ;   in Loop: Header=BB371_278 Depth=1
	s_or_b32 exec_lo, exec_lo, s22
.LBB371_347:                            ;   in Loop: Header=BB371_278 Depth=1
	s_or_b32 exec_lo, exec_lo, s21
	v_cmp_ne_u16_sdwa s0, v18, v11 src0_sel:BYTE_1 src1_sel:DWORD
	s_and_saveexec_b32 s21, s0
	s_cbranch_execz .LBB371_355
; %bb.348:                              ;   in Loop: Header=BB371_278 Depth=1
	v_cmp_ne_u16_sdwa s0, v18, v32 src0_sel:BYTE_1 src1_sel:DWORD
	v_bfrev_b32_e32 v57, 1
	s_and_saveexec_b32 s22, s0
	s_cbranch_execz .LBB371_354
; %bb.349:                              ;   in Loop: Header=BB371_278 Depth=1
	v_and_b32_sdwa v10, v33, v18 dst_sel:DWORD dst_unused:UNUSED_PAD src0_sel:DWORD src1_sel:BYTE_1
	v_mov_b32_e32 v57, 0x7f800001
	s_mov_b32 s24, exec_lo
	v_and_b32_e32 v21, 0x7f, v10
	v_cmpx_ne_u32_e32 0x7f, v21
	s_cbranch_execz .LBB371_353
; %bb.350:                              ;   in Loop: Header=BB371_278 Depth=1
	v_and_b32_e32 v10, 7, v10
	v_lshrrev_b32_e32 v20, 3, v21
	s_mov_b32 s25, exec_lo
	v_cmpx_gt_u32_e32 8, v21
; %bb.351:                              ;   in Loop: Header=BB371_278 Depth=1
	v_ffbh_u32_e32 v20, v10
	v_min_u32_e32 v20, 32, v20
	v_subrev_nc_u32_e32 v21, 28, v20
	v_sub_nc_u32_e32 v20, 29, v20
	v_lshlrev_b64 v[56:57], v21, v[10:11]
	v_and_b32_e32 v10, 7, v56
; %bb.352:                              ;   in Loop: Header=BB371_278 Depth=1
	s_or_b32 exec_lo, exec_lo, s25
	v_lshlrev_b32_e32 v21, 16, v18
	v_lshlrev_b32_e32 v10, 20, v10
	v_lshl_add_u32 v20, v20, 23, 0x3c000000
	v_and_b32_e32 v21, 0x80000000, v21
	v_or3_b32 v57, v10, v21, v20
.LBB371_353:                            ;   in Loop: Header=BB371_278 Depth=1
	s_or_b32 exec_lo, exec_lo, s24
.LBB371_354:                            ;   in Loop: Header=BB371_278 Depth=1
	s_or_b32 exec_lo, exec_lo, s22
.LBB371_355:                            ;   in Loop: Header=BB371_278 Depth=1
	s_or_b32 exec_lo, exec_lo, s21
	v_and_b32_sdwa v10, v18, v34 dst_sel:DWORD dst_unused:UNUSED_PAD src0_sel:WORD_1 src1_sel:DWORD
	v_mov_b32_e32 v59, 0
	v_mov_b32_e32 v56, 0
	s_mov_b32 s21, exec_lo
	v_cmpx_ne_u16_e32 0, v10
	s_cbranch_execz .LBB371_363
; %bb.356:                              ;   in Loop: Header=BB371_278 Depth=1
	v_bfrev_b32_e32 v56, 1
	s_mov_b32 s22, exec_lo
	v_cmpx_ne_u16_e32 0x80, v10
	s_cbranch_execz .LBB371_362
; %bb.357:                              ;   in Loop: Header=BB371_278 Depth=1
	v_bfe_u32 v21, v18, 16, 7
	v_mov_b32_e32 v56, 0x7f800001
	s_mov_b32 s24, exec_lo
	v_cmpx_ne_u32_e32 0x7f, v21
	s_cbranch_execz .LBB371_361
; %bb.358:                              ;   in Loop: Header=BB371_278 Depth=1
	v_and_b32_sdwa v10, v18, v35 dst_sel:DWORD dst_unused:UNUSED_PAD src0_sel:WORD_1 src1_sel:DWORD
	v_lshrrev_b32_e32 v20, 3, v21
	s_mov_b32 s25, exec_lo
	v_cmpx_gt_u32_e32 8, v21
; %bb.359:                              ;   in Loop: Header=BB371_278 Depth=1
	v_ffbh_u32_e32 v20, v10
	v_min_u32_e32 v20, 32, v20
	v_subrev_nc_u32_e32 v21, 28, v20
	v_sub_nc_u32_e32 v20, 29, v20
	v_lshlrev_b64 v[60:61], v21, v[10:11]
	v_and_b32_e32 v10, 7, v60
; %bb.360:                              ;   in Loop: Header=BB371_278 Depth=1
	s_or_b32 exec_lo, exec_lo, s25
	v_lshlrev_b32_sdwa v21, v36, v18 dst_sel:DWORD dst_unused:UNUSED_PAD src0_sel:DWORD src1_sel:WORD_1
	v_lshlrev_b32_e32 v10, 20, v10
	v_lshl_add_u32 v20, v20, 23, 0x3c000000
	v_and_b32_e32 v21, 0x80000000, v21
	v_or3_b32 v56, v10, v21, v20
.LBB371_361:                            ;   in Loop: Header=BB371_278 Depth=1
	s_or_b32 exec_lo, exec_lo, s24
.LBB371_362:                            ;   in Loop: Header=BB371_278 Depth=1
	s_or_b32 exec_lo, exec_lo, s22
.LBB371_363:                            ;   in Loop: Header=BB371_278 Depth=1
	s_or_b32 exec_lo, exec_lo, s21
	s_mov_b32 s21, exec_lo
	v_cmpx_lt_u32_e32 0xffffff, v18
	s_cbranch_execz .LBB371_371
; %bb.364:                              ;   in Loop: Header=BB371_278 Depth=1
	v_cmp_ne_u32_sdwa s0, v18, v32 src0_sel:BYTE_3 src1_sel:DWORD
	v_bfrev_b32_e32 v59, 1
	s_and_saveexec_b32 s22, s0
	s_cbranch_execz .LBB371_370
; %bb.365:                              ;   in Loop: Header=BB371_278 Depth=1
	v_bfe_u32 v21, v18, 24, 7
	v_mov_b32_e32 v59, 0x7f800001
	s_mov_b32 s24, exec_lo
	v_cmpx_ne_u32_e32 0x7f, v21
	s_cbranch_execz .LBB371_369
; %bb.366:                              ;   in Loop: Header=BB371_278 Depth=1
	v_and_b32_sdwa v10, v18, v35 dst_sel:DWORD dst_unused:UNUSED_PAD src0_sel:BYTE_3 src1_sel:DWORD
	v_lshrrev_b32_e32 v20, 3, v21
	s_mov_b32 s25, exec_lo
	v_cmpx_gt_u32_e32 8, v21
; %bb.367:                              ;   in Loop: Header=BB371_278 Depth=1
	v_ffbh_u32_e32 v20, v10
	v_min_u32_e32 v20, 32, v20
	v_subrev_nc_u32_e32 v21, 28, v20
	v_sub_nc_u32_e32 v20, 29, v20
	v_lshlrev_b64 v[59:60], v21, v[10:11]
	v_and_b32_e32 v10, 7, v59
; %bb.368:                              ;   in Loop: Header=BB371_278 Depth=1
	s_or_b32 exec_lo, exec_lo, s25
	v_lshlrev_b32_sdwa v21, v36, v18 dst_sel:DWORD dst_unused:UNUSED_PAD src0_sel:DWORD src1_sel:BYTE_3
	v_lshlrev_b32_e32 v10, 20, v10
	v_lshl_add_u32 v20, v20, 23, 0x3c000000
	v_and_b32_e32 v21, 0x80000000, v21
	v_or3_b32 v59, v10, v21, v20
.LBB371_369:                            ;   in Loop: Header=BB371_278 Depth=1
	s_or_b32 exec_lo, exec_lo, s24
.LBB371_370:                            ;   in Loop: Header=BB371_278 Depth=1
	s_or_b32 exec_lo, exec_lo, s22
.LBB371_371:                            ;   in Loop: Header=BB371_278 Depth=1
	s_or_b32 exec_lo, exec_lo, s21
	v_mov_b32_e32 v10, v19
	v_cmp_ne_u16_sdwa s0, v19, v11 src0_sel:BYTE_0 src1_sel:DWORD
	v_mov_b32_e32 v20, 0
	v_mov_b32_e32 v60, 0
	s_and_saveexec_b32 s21, s0
	s_cbranch_execz .LBB371_377
; %bb.372:                              ;   in Loop: Header=BB371_278 Depth=1
	v_cmp_ne_u16_sdwa s0, v19, v32 src0_sel:BYTE_0 src1_sel:DWORD
	v_bfrev_b32_e32 v60, 1
	s_and_saveexec_b32 s22, s0
	s_cbranch_execz .LBB371_376
; %bb.373:                              ;   in Loop: Header=BB371_278 Depth=1
	v_and_b32_e32 v21, 0x7f, v19
	v_mov_b32_e32 v60, 0x7f800001
	s_mov_b32 s24, exec_lo
	v_cmpx_ne_u32_e32 0x7f, v21
	s_cbranch_execz .LBB371_375
; %bb.374:                              ;   in Loop: Header=BB371_278 Depth=1
	v_and_b32_e32 v60, 7, v19
	v_lshrrev_b32_e32 v61, 3, v21
	v_cmp_gt_u32_e64 s0, 8, v21
	v_ffbh_u32_e32 v60, v60
	v_min_u32_e32 v60, 32, v60
	v_subrev_nc_u32_e32 v62, 28, v60
	v_sub_nc_u32_e32 v60, 29, v60
	v_cndmask_b32_e64 v21, v61, v60, s0
	v_cndmask_b32_e64 v60, 0, v62, s0
	v_lshl_add_u32 v21, v21, 23, 0x3c000000
	v_lshlrev_b64 v[60:61], v60, v[10:11]
	v_lshlrev_b32_e32 v61, 24, v10
	v_lshlrev_b32_e32 v60, 20, v60
	v_and_b32_e32 v61, 0x80000000, v61
	v_and_b32_e32 v60, 0x700000, v60
	v_or3_b32 v60, v60, v61, v21
.LBB371_375:                            ;   in Loop: Header=BB371_278 Depth=1
	s_or_b32 exec_lo, exec_lo, s24
.LBB371_376:                            ;   in Loop: Header=BB371_278 Depth=1
	s_or_b32 exec_lo, exec_lo, s22
.LBB371_377:                            ;   in Loop: Header=BB371_278 Depth=1
	s_or_b32 exec_lo, exec_lo, s21
	v_cmp_ne_u16_sdwa s0, v10, v11 src0_sel:BYTE_1 src1_sel:DWORD
	s_and_saveexec_b32 s21, s0
	s_cbranch_execz .LBB371_385
; %bb.378:                              ;   in Loop: Header=BB371_278 Depth=1
	v_cmp_ne_u16_sdwa s0, v10, v32 src0_sel:BYTE_1 src1_sel:DWORD
	v_bfrev_b32_e32 v20, 1
	s_and_saveexec_b32 s22, s0
	s_cbranch_execz .LBB371_384
; %bb.379:                              ;   in Loop: Header=BB371_278 Depth=1
	v_and_b32_sdwa v21, v33, v10 dst_sel:DWORD dst_unused:UNUSED_PAD src0_sel:DWORD src1_sel:BYTE_1
	v_mov_b32_e32 v20, 0x7f800001
	s_mov_b32 s24, exec_lo
	v_and_b32_e32 v62, 0x7f, v21
	v_cmpx_ne_u32_e32 0x7f, v62
	s_cbranch_execz .LBB371_383
; %bb.380:                              ;   in Loop: Header=BB371_278 Depth=1
	v_and_b32_e32 v20, 7, v21
	v_mov_b32_e32 v21, v11
	v_lshrrev_b32_e32 v61, 3, v62
	s_mov_b32 s25, exec_lo
	v_cmpx_gt_u32_e32 8, v62
; %bb.381:                              ;   in Loop: Header=BB371_278 Depth=1
	v_ffbh_u32_e32 v61, v20
	v_min_u32_e32 v61, 32, v61
	v_subrev_nc_u32_e32 v62, 28, v61
	v_sub_nc_u32_e32 v61, 29, v61
	v_lshlrev_b64 v[20:21], v62, v[20:21]
	v_and_b32_e32 v20, 7, v20
; %bb.382:                              ;   in Loop: Header=BB371_278 Depth=1
	s_or_b32 exec_lo, exec_lo, s25
	v_lshlrev_b32_e32 v10, 16, v10
	v_lshlrev_b32_e32 v20, 20, v20
	v_lshl_add_u32 v21, v61, 23, 0x3c000000
	v_and_b32_e32 v10, 0x80000000, v10
	v_or3_b32 v20, v20, v10, v21
.LBB371_383:                            ;   in Loop: Header=BB371_278 Depth=1
	s_or_b32 exec_lo, exec_lo, s24
.LBB371_384:                            ;   in Loop: Header=BB371_278 Depth=1
	s_or_b32 exec_lo, exec_lo, s22
.LBB371_385:                            ;   in Loop: Header=BB371_278 Depth=1
	s_or_b32 exec_lo, exec_lo, s21
	v_and_b32_sdwa v10, v19, v34 dst_sel:DWORD dst_unused:UNUSED_PAD src0_sel:WORD_1 src1_sel:DWORD
	v_mov_b32_e32 v21, 0
	v_mov_b32_e32 v61, 0
	s_mov_b32 s21, exec_lo
	v_cmpx_ne_u16_e32 0, v10
	s_cbranch_execz .LBB371_393
; %bb.386:                              ;   in Loop: Header=BB371_278 Depth=1
	v_bfrev_b32_e32 v61, 1
	s_mov_b32 s22, exec_lo
	v_cmpx_ne_u16_e32 0x80, v10
	s_cbranch_execz .LBB371_392
; %bb.387:                              ;   in Loop: Header=BB371_278 Depth=1
	v_bfe_u32 v62, v19, 16, 7
	v_mov_b32_e32 v61, 0x7f800001
	s_mov_b32 s24, exec_lo
	v_cmpx_ne_u32_e32 0x7f, v62
	s_cbranch_execz .LBB371_391
; %bb.388:                              ;   in Loop: Header=BB371_278 Depth=1
	v_and_b32_sdwa v10, v19, v35 dst_sel:DWORD dst_unused:UNUSED_PAD src0_sel:WORD_1 src1_sel:DWORD
	v_lshrrev_b32_e32 v61, 3, v62
	s_mov_b32 s25, exec_lo
	v_cmpx_gt_u32_e32 8, v62
; %bb.389:                              ;   in Loop: Header=BB371_278 Depth=1
	v_ffbh_u32_e32 v61, v10
	v_min_u32_e32 v61, 32, v61
	v_subrev_nc_u32_e32 v62, 28, v61
	v_sub_nc_u32_e32 v61, 29, v61
	v_lshlrev_b64 v[62:63], v62, v[10:11]
	v_and_b32_e32 v10, 7, v62
; %bb.390:                              ;   in Loop: Header=BB371_278 Depth=1
	s_or_b32 exec_lo, exec_lo, s25
	v_lshlrev_b32_sdwa v62, v36, v19 dst_sel:DWORD dst_unused:UNUSED_PAD src0_sel:DWORD src1_sel:WORD_1
	v_lshlrev_b32_e32 v10, 20, v10
	v_lshl_add_u32 v61, v61, 23, 0x3c000000
	v_and_b32_e32 v62, 0x80000000, v62
	v_or3_b32 v61, v10, v62, v61
.LBB371_391:                            ;   in Loop: Header=BB371_278 Depth=1
	s_or_b32 exec_lo, exec_lo, s24
.LBB371_392:                            ;   in Loop: Header=BB371_278 Depth=1
	s_or_b32 exec_lo, exec_lo, s22
.LBB371_393:                            ;   in Loop: Header=BB371_278 Depth=1
	s_or_b32 exec_lo, exec_lo, s21
	s_mov_b32 s21, exec_lo
	v_cmpx_lt_u64_e64 s[4:5], v[18:19]
	s_cbranch_execz .LBB371_401
; %bb.394:                              ;   in Loop: Header=BB371_278 Depth=1
	v_cmp_ne_u32_sdwa s0, v19, v32 src0_sel:BYTE_3 src1_sel:DWORD
	v_bfrev_b32_e32 v21, 1
	s_and_saveexec_b32 s22, s0
	s_cbranch_execz .LBB371_400
; %bb.395:                              ;   in Loop: Header=BB371_278 Depth=1
	v_bfe_u32 v62, v19, 24, 7
	v_mov_b32_e32 v21, 0x7f800001
	s_mov_b32 s24, exec_lo
	v_cmpx_ne_u32_e32 0x7f, v62
	s_cbranch_execz .LBB371_399
; %bb.396:                              ;   in Loop: Header=BB371_278 Depth=1
	v_and_b32_sdwa v10, v19, v35 dst_sel:DWORD dst_unused:UNUSED_PAD src0_sel:BYTE_3 src1_sel:DWORD
	v_lshrrev_b32_e32 v18, 3, v62
	s_mov_b32 s25, exec_lo
	v_cmpx_gt_u32_e32 8, v62
; %bb.397:                              ;   in Loop: Header=BB371_278 Depth=1
	v_ffbh_u32_e32 v18, v10
	v_min_u32_e32 v18, 32, v18
	v_subrev_nc_u32_e32 v21, 28, v18
	v_sub_nc_u32_e32 v18, 29, v18
	v_lshlrev_b64 v[62:63], v21, v[10:11]
	v_and_b32_e32 v10, 7, v62
; %bb.398:                              ;   in Loop: Header=BB371_278 Depth=1
	s_or_b32 exec_lo, exec_lo, s25
	v_lshlrev_b32_sdwa v19, v36, v19 dst_sel:DWORD dst_unused:UNUSED_PAD src0_sel:DWORD src1_sel:BYTE_3
	v_lshlrev_b32_e32 v10, 20, v10
	v_lshl_add_u32 v18, v18, 23, 0x3c000000
	v_and_b32_e32 v19, 0x80000000, v19
	v_or3_b32 v21, v10, v19, v18
.LBB371_399:                            ;   in Loop: Header=BB371_278 Depth=1
	s_or_b32 exec_lo, exec_lo, s24
.LBB371_400:                            ;   in Loop: Header=BB371_278 Depth=1
	s_or_b32 exec_lo, exec_lo, s22
.LBB371_401:                            ;   in Loop: Header=BB371_278 Depth=1
	s_or_b32 exec_lo, exec_lo, s21
	v_mul_f32_e32 v10, s18, v20
	v_mul_f32_e32 v18, s18, v60
	;; [unrolled: 1-line block ×5, first 2 shown]
	v_bfe_u32 v56, v10, 16, 1
	v_or_b32_e32 v59, 0x400000, v10
	v_bfe_u32 v60, v18, 16, 1
	v_cmp_u_f32_e64 s0, v10, v10
	v_or_b32_e32 v62, 0x400000, v18
	v_add3_u32 v56, v56, v10, 0x7fff
	v_bfe_u32 v63, v19, 16, 1
	v_add3_u32 v60, v60, v18, 0x7fff
	v_or_b32_e32 v64, 0x400000, v19
	v_bfe_u32 v65, v20, 16, 1
	v_cndmask_b32_e64 v10, v56, v59, s0
	v_cmp_u_f32_e64 s0, v18, v18
	v_add3_u32 v63, v63, v19, 0x7fff
	v_lshrrev_b32_e32 v56, 16, v10
	v_cndmask_b32_e64 v18, v60, v62, s0
	v_cmp_u_f32_e64 s0, v19, v19
	v_mul_f32_e32 v10, s18, v57
	v_add3_u32 v60, v65, v20, 0x7fff
	v_or_b32_e32 v62, 0x400000, v20
	v_lshrrev_b32_e32 v57, 16, v18
	v_cndmask_b32_e64 v19, v63, v64, s0
	v_bfe_u32 v18, v10, 16, 1
	v_cmp_u_f32_e64 s0, v20, v20
	v_mul_f32_e32 v20, s18, v58
	v_mul_f32_e32 v58, s18, v61
	v_lshrrev_b32_e32 v59, 16, v19
	v_add3_u32 v18, v18, v10, 0x7fff
	v_cndmask_b32_e64 v19, v60, v62, s0
	v_or_b32_e32 v60, 0x400000, v10
	v_bfe_u32 v61, v20, 16, 1
	v_cmp_u_f32_e64 s0, v10, v10
	v_bfe_u32 v62, v58, 16, 1
	v_or_b32_e32 v63, 0x400000, v58
	v_or_b32_e32 v64, 0x400000, v21
	v_cndmask_b32_e64 v10, v18, v60, s0
	v_add3_u32 v60, v61, v20, 0x7fff
	v_or_b32_e32 v61, 0x400000, v20
	v_cmp_u_f32_e64 s0, v20, v20
	v_bfe_u32 v18, v21, 16, 1
	v_add3_u32 v62, v62, v58, 0x7fff
	v_cndmask_b32_e64 v20, v60, v61, s0
	v_cmp_u_f32_e64 s0, v58, v58
	v_add3_u32 v18, v18, v21, 0x7fff
	v_lshrrev_b32_e32 v61, 16, v19
	v_cndmask_b32_e64 v58, v62, v63, s0
	v_cmp_u_f32_e64 s0, v21, v21
	v_lshrrev_b32_e32 v63, 16, v10
	v_lshrrev_b32_e32 v62, 16, v20
	v_lshrrev_b32_e32 v58, 16, v58
	v_cndmask_b32_e64 v18, v18, v64, s0
	v_lshrrev_b32_e32 v60, 16, v18
	s_and_saveexec_b32 s21, vcc_lo
	s_cbranch_execz .LBB371_403
; %bb.402:                              ;   in Loop: Header=BB371_278 Depth=1
	v_cmp_gt_i32_e64 s0, s31, v48
	v_cndmask_b32_e64 v62, 0, v62, s0
	v_cmp_gt_i32_e64 s0, s31, v55
	v_cndmask_b32_e64 v63, 0, v63, s0
	v_cmp_gt_i32_e64 s0, s31, v54
	v_cndmask_b32_e64 v61, 0, v61, s0
	v_cmp_gt_i32_e64 s0, s31, v53
	v_cndmask_b32_e64 v59, 0, v59, s0
	v_cmp_gt_i32_e64 s0, s31, v52
	v_cndmask_b32_e64 v57, 0, v57, s0
	v_cmp_gt_i32_e64 s0, s31, v51
	v_cndmask_b32_e64 v56, 0, v56, s0
	v_cmp_gt_i32_e64 s0, s31, v50
	v_cndmask_b32_e64 v58, 0, v58, s0
	v_cmp_gt_i32_e64 s0, s31, v49
	v_cndmask_b32_e64 v60, 0, v60, s0
.LBB371_403:                            ;   in Loop: Header=BB371_278 Depth=1
	s_or_b32 exec_lo, exec_lo, s21
	global_load_dwordx2 v[18:19], v[16:17], off offset:512
	v_mov_b32_e32 v65, 0
	v_mov_b32_e32 v64, 0
	s_waitcnt vmcnt(0)
	v_cmp_ne_u16_sdwa s0, v18, v11 src0_sel:BYTE_0 src1_sel:DWORD
	s_and_saveexec_b32 s21, s0
	s_cbranch_execz .LBB371_409
; %bb.404:                              ;   in Loop: Header=BB371_278 Depth=1
	v_cmp_ne_u16_sdwa s0, v18, v32 src0_sel:BYTE_0 src1_sel:DWORD
	v_bfrev_b32_e32 v64, 1
	s_and_saveexec_b32 s22, s0
	s_cbranch_execz .LBB371_408
; %bb.405:                              ;   in Loop: Header=BB371_278 Depth=1
	v_and_b32_e32 v10, 0x7f, v18
	v_mov_b32_e32 v64, 0x7f800001
	s_mov_b32 s24, exec_lo
	v_cmpx_ne_u32_e32 0x7f, v10
	s_cbranch_execz .LBB371_407
; %bb.406:                              ;   in Loop: Header=BB371_278 Depth=1
	v_and_b32_e32 v20, 7, v18
	v_lshrrev_b32_e32 v21, 3, v10
	v_cmp_gt_u32_e64 s0, 8, v10
	v_ffbh_u32_e32 v20, v20
	v_min_u32_e32 v20, 32, v20
	v_subrev_nc_u32_e32 v64, 28, v20
	v_sub_nc_u32_e32 v20, 29, v20
	v_cndmask_b32_e64 v10, v21, v20, s0
	v_cndmask_b32_e64 v20, 0, v64, s0
	v_lshl_add_u32 v10, v10, 23, 0x3c000000
	v_lshlrev_b64 v[20:21], v20, v[18:19]
	v_lshlrev_b32_e32 v21, 24, v18
	v_lshlrev_b32_e32 v20, 20, v20
	v_and_b32_e32 v21, 0x80000000, v21
	v_and_b32_e32 v20, 0x700000, v20
	v_or3_b32 v64, v20, v21, v10
.LBB371_407:                            ;   in Loop: Header=BB371_278 Depth=1
	s_or_b32 exec_lo, exec_lo, s24
.LBB371_408:                            ;   in Loop: Header=BB371_278 Depth=1
	s_or_b32 exec_lo, exec_lo, s22
.LBB371_409:                            ;   in Loop: Header=BB371_278 Depth=1
	s_or_b32 exec_lo, exec_lo, s21
	v_cmp_ne_u16_sdwa s0, v18, v11 src0_sel:BYTE_1 src1_sel:DWORD
	s_and_saveexec_b32 s21, s0
	s_cbranch_execz .LBB371_417
; %bb.410:                              ;   in Loop: Header=BB371_278 Depth=1
	v_cmp_ne_u16_sdwa s0, v18, v32 src0_sel:BYTE_1 src1_sel:DWORD
	v_bfrev_b32_e32 v65, 1
	s_and_saveexec_b32 s22, s0
	s_cbranch_execz .LBB371_416
; %bb.411:                              ;   in Loop: Header=BB371_278 Depth=1
	v_and_b32_sdwa v10, v33, v18 dst_sel:DWORD dst_unused:UNUSED_PAD src0_sel:DWORD src1_sel:BYTE_1
	v_mov_b32_e32 v65, 0x7f800001
	s_mov_b32 s24, exec_lo
	v_and_b32_e32 v21, 0x7f, v10
	v_cmpx_ne_u32_e32 0x7f, v21
	s_cbranch_execz .LBB371_415
; %bb.412:                              ;   in Loop: Header=BB371_278 Depth=1
	v_and_b32_e32 v10, 7, v10
	v_lshrrev_b32_e32 v20, 3, v21
	s_mov_b32 s25, exec_lo
	v_cmpx_gt_u32_e32 8, v21
; %bb.413:                              ;   in Loop: Header=BB371_278 Depth=1
	v_ffbh_u32_e32 v20, v10
	v_min_u32_e32 v20, 32, v20
	v_subrev_nc_u32_e32 v21, 28, v20
	v_sub_nc_u32_e32 v20, 29, v20
	v_lshlrev_b64 v[65:66], v21, v[10:11]
	v_and_b32_e32 v10, 7, v65
; %bb.414:                              ;   in Loop: Header=BB371_278 Depth=1
	s_or_b32 exec_lo, exec_lo, s25
	v_lshlrev_b32_e32 v21, 16, v18
	v_lshlrev_b32_e32 v10, 20, v10
	v_lshl_add_u32 v20, v20, 23, 0x3c000000
	v_and_b32_e32 v21, 0x80000000, v21
	v_or3_b32 v65, v10, v21, v20
.LBB371_415:                            ;   in Loop: Header=BB371_278 Depth=1
	s_or_b32 exec_lo, exec_lo, s24
.LBB371_416:                            ;   in Loop: Header=BB371_278 Depth=1
	s_or_b32 exec_lo, exec_lo, s22
.LBB371_417:                            ;   in Loop: Header=BB371_278 Depth=1
	s_or_b32 exec_lo, exec_lo, s21
	v_and_b32_sdwa v10, v18, v34 dst_sel:DWORD dst_unused:UNUSED_PAD src0_sel:WORD_1 src1_sel:DWORD
	v_mov_b32_e32 v67, 0
	v_mov_b32_e32 v66, 0
	s_mov_b32 s21, exec_lo
	v_cmpx_ne_u16_e32 0, v10
	s_cbranch_execz .LBB371_425
; %bb.418:                              ;   in Loop: Header=BB371_278 Depth=1
	v_bfrev_b32_e32 v66, 1
	s_mov_b32 s22, exec_lo
	v_cmpx_ne_u16_e32 0x80, v10
	s_cbranch_execz .LBB371_424
; %bb.419:                              ;   in Loop: Header=BB371_278 Depth=1
	v_bfe_u32 v21, v18, 16, 7
	v_mov_b32_e32 v66, 0x7f800001
	s_mov_b32 s24, exec_lo
	v_cmpx_ne_u32_e32 0x7f, v21
	s_cbranch_execz .LBB371_423
; %bb.420:                              ;   in Loop: Header=BB371_278 Depth=1
	v_and_b32_sdwa v10, v18, v35 dst_sel:DWORD dst_unused:UNUSED_PAD src0_sel:WORD_1 src1_sel:DWORD
	v_lshrrev_b32_e32 v20, 3, v21
	s_mov_b32 s25, exec_lo
	v_cmpx_gt_u32_e32 8, v21
; %bb.421:                              ;   in Loop: Header=BB371_278 Depth=1
	v_ffbh_u32_e32 v20, v10
	v_min_u32_e32 v20, 32, v20
	v_subrev_nc_u32_e32 v21, 28, v20
	v_sub_nc_u32_e32 v20, 29, v20
	v_lshlrev_b64 v[68:69], v21, v[10:11]
	v_and_b32_e32 v10, 7, v68
; %bb.422:                              ;   in Loop: Header=BB371_278 Depth=1
	s_or_b32 exec_lo, exec_lo, s25
	v_lshlrev_b32_sdwa v21, v36, v18 dst_sel:DWORD dst_unused:UNUSED_PAD src0_sel:DWORD src1_sel:WORD_1
	v_lshlrev_b32_e32 v10, 20, v10
	v_lshl_add_u32 v20, v20, 23, 0x3c000000
	v_and_b32_e32 v21, 0x80000000, v21
	v_or3_b32 v66, v10, v21, v20
.LBB371_423:                            ;   in Loop: Header=BB371_278 Depth=1
	s_or_b32 exec_lo, exec_lo, s24
.LBB371_424:                            ;   in Loop: Header=BB371_278 Depth=1
	s_or_b32 exec_lo, exec_lo, s22
.LBB371_425:                            ;   in Loop: Header=BB371_278 Depth=1
	s_or_b32 exec_lo, exec_lo, s21
	s_mov_b32 s21, exec_lo
	v_cmpx_lt_u32_e32 0xffffff, v18
	s_cbranch_execz .LBB371_433
; %bb.426:                              ;   in Loop: Header=BB371_278 Depth=1
	v_cmp_ne_u32_sdwa s0, v18, v32 src0_sel:BYTE_3 src1_sel:DWORD
	v_bfrev_b32_e32 v67, 1
	s_and_saveexec_b32 s22, s0
	s_cbranch_execz .LBB371_432
; %bb.427:                              ;   in Loop: Header=BB371_278 Depth=1
	v_bfe_u32 v21, v18, 24, 7
	v_mov_b32_e32 v67, 0x7f800001
	s_mov_b32 s24, exec_lo
	v_cmpx_ne_u32_e32 0x7f, v21
	s_cbranch_execz .LBB371_431
; %bb.428:                              ;   in Loop: Header=BB371_278 Depth=1
	v_and_b32_sdwa v10, v18, v35 dst_sel:DWORD dst_unused:UNUSED_PAD src0_sel:BYTE_3 src1_sel:DWORD
	v_lshrrev_b32_e32 v20, 3, v21
	s_mov_b32 s25, exec_lo
	v_cmpx_gt_u32_e32 8, v21
; %bb.429:                              ;   in Loop: Header=BB371_278 Depth=1
	v_ffbh_u32_e32 v20, v10
	v_min_u32_e32 v20, 32, v20
	v_subrev_nc_u32_e32 v21, 28, v20
	v_sub_nc_u32_e32 v20, 29, v20
	v_lshlrev_b64 v[67:68], v21, v[10:11]
	v_and_b32_e32 v10, 7, v67
; %bb.430:                              ;   in Loop: Header=BB371_278 Depth=1
	s_or_b32 exec_lo, exec_lo, s25
	v_lshlrev_b32_sdwa v21, v36, v18 dst_sel:DWORD dst_unused:UNUSED_PAD src0_sel:DWORD src1_sel:BYTE_3
	v_lshlrev_b32_e32 v10, 20, v10
	v_lshl_add_u32 v20, v20, 23, 0x3c000000
	v_and_b32_e32 v21, 0x80000000, v21
	v_or3_b32 v67, v10, v21, v20
.LBB371_431:                            ;   in Loop: Header=BB371_278 Depth=1
	s_or_b32 exec_lo, exec_lo, s24
.LBB371_432:                            ;   in Loop: Header=BB371_278 Depth=1
	s_or_b32 exec_lo, exec_lo, s22
.LBB371_433:                            ;   in Loop: Header=BB371_278 Depth=1
	s_or_b32 exec_lo, exec_lo, s21
	v_mov_b32_e32 v10, v19
	v_cmp_ne_u16_sdwa s0, v19, v11 src0_sel:BYTE_0 src1_sel:DWORD
	v_mov_b32_e32 v20, 0
	v_mov_b32_e32 v68, 0
	s_and_saveexec_b32 s21, s0
	s_cbranch_execz .LBB371_439
; %bb.434:                              ;   in Loop: Header=BB371_278 Depth=1
	v_cmp_ne_u16_sdwa s0, v19, v32 src0_sel:BYTE_0 src1_sel:DWORD
	v_bfrev_b32_e32 v68, 1
	s_and_saveexec_b32 s22, s0
	s_cbranch_execz .LBB371_438
; %bb.435:                              ;   in Loop: Header=BB371_278 Depth=1
	v_and_b32_e32 v21, 0x7f, v19
	v_mov_b32_e32 v68, 0x7f800001
	s_mov_b32 s24, exec_lo
	v_cmpx_ne_u32_e32 0x7f, v21
	s_cbranch_execz .LBB371_437
; %bb.436:                              ;   in Loop: Header=BB371_278 Depth=1
	v_and_b32_e32 v68, 7, v19
	v_lshrrev_b32_e32 v69, 3, v21
	v_cmp_gt_u32_e64 s0, 8, v21
	v_ffbh_u32_e32 v68, v68
	v_min_u32_e32 v68, 32, v68
	v_subrev_nc_u32_e32 v70, 28, v68
	v_sub_nc_u32_e32 v68, 29, v68
	v_cndmask_b32_e64 v21, v69, v68, s0
	v_cndmask_b32_e64 v68, 0, v70, s0
	v_lshl_add_u32 v21, v21, 23, 0x3c000000
	v_lshlrev_b64 v[68:69], v68, v[10:11]
	v_lshlrev_b32_e32 v69, 24, v10
	v_lshlrev_b32_e32 v68, 20, v68
	v_and_b32_e32 v69, 0x80000000, v69
	v_and_b32_e32 v68, 0x700000, v68
	v_or3_b32 v68, v68, v69, v21
.LBB371_437:                            ;   in Loop: Header=BB371_278 Depth=1
	s_or_b32 exec_lo, exec_lo, s24
.LBB371_438:                            ;   in Loop: Header=BB371_278 Depth=1
	s_or_b32 exec_lo, exec_lo, s22
.LBB371_439:                            ;   in Loop: Header=BB371_278 Depth=1
	s_or_b32 exec_lo, exec_lo, s21
	v_cmp_ne_u16_sdwa s0, v10, v11 src0_sel:BYTE_1 src1_sel:DWORD
	s_and_saveexec_b32 s21, s0
	s_cbranch_execz .LBB371_447
; %bb.440:                              ;   in Loop: Header=BB371_278 Depth=1
	v_cmp_ne_u16_sdwa s0, v10, v32 src0_sel:BYTE_1 src1_sel:DWORD
	v_bfrev_b32_e32 v20, 1
	s_and_saveexec_b32 s22, s0
	s_cbranch_execz .LBB371_446
; %bb.441:                              ;   in Loop: Header=BB371_278 Depth=1
	v_and_b32_sdwa v21, v33, v10 dst_sel:DWORD dst_unused:UNUSED_PAD src0_sel:DWORD src1_sel:BYTE_1
	v_mov_b32_e32 v20, 0x7f800001
	s_mov_b32 s24, exec_lo
	v_and_b32_e32 v70, 0x7f, v21
	v_cmpx_ne_u32_e32 0x7f, v70
	s_cbranch_execz .LBB371_445
; %bb.442:                              ;   in Loop: Header=BB371_278 Depth=1
	v_and_b32_e32 v20, 7, v21
	v_mov_b32_e32 v21, v11
	v_lshrrev_b32_e32 v69, 3, v70
	s_mov_b32 s25, exec_lo
	v_cmpx_gt_u32_e32 8, v70
; %bb.443:                              ;   in Loop: Header=BB371_278 Depth=1
	v_ffbh_u32_e32 v69, v20
	v_min_u32_e32 v69, 32, v69
	v_subrev_nc_u32_e32 v70, 28, v69
	v_sub_nc_u32_e32 v69, 29, v69
	v_lshlrev_b64 v[20:21], v70, v[20:21]
	v_and_b32_e32 v20, 7, v20
; %bb.444:                              ;   in Loop: Header=BB371_278 Depth=1
	s_or_b32 exec_lo, exec_lo, s25
	v_lshlrev_b32_e32 v10, 16, v10
	v_lshlrev_b32_e32 v20, 20, v20
	v_lshl_add_u32 v21, v69, 23, 0x3c000000
	v_and_b32_e32 v10, 0x80000000, v10
	v_or3_b32 v20, v20, v10, v21
.LBB371_445:                            ;   in Loop: Header=BB371_278 Depth=1
	s_or_b32 exec_lo, exec_lo, s24
.LBB371_446:                            ;   in Loop: Header=BB371_278 Depth=1
	s_or_b32 exec_lo, exec_lo, s22
.LBB371_447:                            ;   in Loop: Header=BB371_278 Depth=1
	s_or_b32 exec_lo, exec_lo, s21
	v_and_b32_sdwa v10, v19, v34 dst_sel:DWORD dst_unused:UNUSED_PAD src0_sel:WORD_1 src1_sel:DWORD
	v_mov_b32_e32 v69, 0
	v_mov_b32_e32 v70, 0
	s_mov_b32 s21, exec_lo
	v_cmpx_ne_u16_e32 0, v10
	s_cbranch_execz .LBB371_455
; %bb.448:                              ;   in Loop: Header=BB371_278 Depth=1
	v_bfrev_b32_e32 v70, 1
	s_mov_b32 s22, exec_lo
	v_cmpx_ne_u16_e32 0x80, v10
	s_cbranch_execz .LBB371_454
; %bb.449:                              ;   in Loop: Header=BB371_278 Depth=1
	v_bfe_u32 v71, v19, 16, 7
	v_mov_b32_e32 v70, 0x7f800001
	s_mov_b32 s24, exec_lo
	v_cmpx_ne_u32_e32 0x7f, v71
	s_cbranch_execz .LBB371_453
; %bb.450:                              ;   in Loop: Header=BB371_278 Depth=1
	v_and_b32_sdwa v10, v19, v35 dst_sel:DWORD dst_unused:UNUSED_PAD src0_sel:WORD_1 src1_sel:DWORD
	v_lshrrev_b32_e32 v21, 3, v71
	s_mov_b32 s25, exec_lo
	v_cmpx_gt_u32_e32 8, v71
; %bb.451:                              ;   in Loop: Header=BB371_278 Depth=1
	v_ffbh_u32_e32 v21, v10
	v_min_u32_e32 v21, 32, v21
	v_subrev_nc_u32_e32 v70, 28, v21
	v_sub_nc_u32_e32 v21, 29, v21
	v_lshlrev_b64 v[70:71], v70, v[10:11]
	v_and_b32_e32 v10, 7, v70
; %bb.452:                              ;   in Loop: Header=BB371_278 Depth=1
	s_or_b32 exec_lo, exec_lo, s25
	v_lshlrev_b32_sdwa v70, v36, v19 dst_sel:DWORD dst_unused:UNUSED_PAD src0_sel:DWORD src1_sel:WORD_1
	v_lshlrev_b32_e32 v10, 20, v10
	v_lshl_add_u32 v21, v21, 23, 0x3c000000
	v_and_b32_e32 v70, 0x80000000, v70
	v_or3_b32 v70, v10, v70, v21
.LBB371_453:                            ;   in Loop: Header=BB371_278 Depth=1
	s_or_b32 exec_lo, exec_lo, s24
.LBB371_454:                            ;   in Loop: Header=BB371_278 Depth=1
	s_or_b32 exec_lo, exec_lo, s22
.LBB371_455:                            ;   in Loop: Header=BB371_278 Depth=1
	s_or_b32 exec_lo, exec_lo, s21
	s_mov_b32 s21, exec_lo
	v_cmpx_lt_u64_e64 s[4:5], v[18:19]
	s_cbranch_execz .LBB371_463
; %bb.456:                              ;   in Loop: Header=BB371_278 Depth=1
	v_cmp_ne_u32_sdwa s0, v19, v32 src0_sel:BYTE_3 src1_sel:DWORD
	v_bfrev_b32_e32 v69, 1
	s_and_saveexec_b32 s22, s0
	s_cbranch_execz .LBB371_462
; %bb.457:                              ;   in Loop: Header=BB371_278 Depth=1
	v_bfe_u32 v21, v19, 24, 7
	v_mov_b32_e32 v69, 0x7f800001
	s_mov_b32 s24, exec_lo
	v_cmpx_ne_u32_e32 0x7f, v21
	s_cbranch_execz .LBB371_461
; %bb.458:                              ;   in Loop: Header=BB371_278 Depth=1
	v_and_b32_sdwa v10, v19, v35 dst_sel:DWORD dst_unused:UNUSED_PAD src0_sel:BYTE_3 src1_sel:DWORD
	v_lshrrev_b32_e32 v18, 3, v21
	s_mov_b32 s25, exec_lo
	v_cmpx_gt_u32_e32 8, v21
; %bb.459:                              ;   in Loop: Header=BB371_278 Depth=1
	v_ffbh_u32_e32 v18, v10
	v_min_u32_e32 v18, 32, v18
	v_subrev_nc_u32_e32 v21, 28, v18
	v_sub_nc_u32_e32 v18, 29, v18
	v_lshlrev_b64 v[71:72], v21, v[10:11]
	v_and_b32_e32 v10, 7, v71
; %bb.460:                              ;   in Loop: Header=BB371_278 Depth=1
	s_or_b32 exec_lo, exec_lo, s25
	v_lshlrev_b32_sdwa v19, v36, v19 dst_sel:DWORD dst_unused:UNUSED_PAD src0_sel:DWORD src1_sel:BYTE_3
	v_lshlrev_b32_e32 v10, 20, v10
	v_lshl_add_u32 v18, v18, 23, 0x3c000000
	v_and_b32_e32 v19, 0x80000000, v19
	v_or3_b32 v69, v10, v19, v18
.LBB371_461:                            ;   in Loop: Header=BB371_278 Depth=1
	s_or_b32 exec_lo, exec_lo, s24
.LBB371_462:                            ;   in Loop: Header=BB371_278 Depth=1
	s_or_b32 exec_lo, exec_lo, s22
.LBB371_463:                            ;   in Loop: Header=BB371_278 Depth=1
	s_or_b32 exec_lo, exec_lo, s21
	v_mul_f32_e32 v10, s18, v20
	v_mul_f32_e32 v18, s18, v68
	;; [unrolled: 1-line block ×5, first 2 shown]
	v_bfe_u32 v20, v10, 16, 1
	v_or_b32_e32 v21, 0x400000, v10
	v_bfe_u32 v66, v18, 16, 1
	v_cmp_u_f32_e64 s0, v10, v10
	v_or_b32_e32 v68, 0x400000, v18
	v_add3_u32 v20, v20, v10, 0x7fff
	v_bfe_u32 v71, v19, 16, 1
	v_add3_u32 v66, v66, v18, 0x7fff
	v_or_b32_e32 v72, 0x400000, v19
	v_bfe_u32 v73, v67, 16, 1
	v_cndmask_b32_e64 v10, v20, v21, s0
	v_cmp_u_f32_e64 s0, v18, v18
	v_add3_u32 v71, v71, v19, 0x7fff
	v_lshrrev_b32_e32 v20, 16, v10
	v_cndmask_b32_e64 v18, v66, v68, s0
	v_cmp_u_f32_e64 s0, v19, v19
	v_mul_f32_e32 v10, s18, v65
	v_add3_u32 v65, v73, v67, 0x7fff
	v_or_b32_e32 v68, 0x400000, v67
	v_lshrrev_b32_e32 v21, 16, v18
	v_cndmask_b32_e64 v19, v71, v72, s0
	v_bfe_u32 v18, v10, 16, 1
	v_cmp_u_f32_e64 s0, v67, v67
	v_or_b32_e32 v67, 0x400000, v10
	v_lshrrev_b32_e32 v66, 16, v19
	v_add3_u32 v18, v18, v10, 0x7fff
	v_cndmask_b32_e64 v19, v65, v68, s0
	v_mul_f32_e32 v65, s18, v70
	v_mul_f32_e32 v68, s18, v69
	v_bfe_u32 v69, v64, 16, 1
	v_cmp_u_f32_e64 s0, v10, v10
	v_bfe_u32 v70, v65, 16, 1
	v_or_b32_e32 v71, 0x400000, v65
	v_or_b32_e32 v72, 0x400000, v68
	v_cndmask_b32_e64 v10, v18, v67, s0
	v_add3_u32 v67, v69, v64, 0x7fff
	v_or_b32_e32 v69, 0x400000, v64
	v_cmp_u_f32_e64 s0, v64, v64
	v_bfe_u32 v18, v68, 16, 1
	v_add3_u32 v70, v70, v65, 0x7fff
	v_cndmask_b32_e64 v64, v67, v69, s0
	v_cmp_u_f32_e64 s0, v65, v65
	v_add3_u32 v18, v18, v68, 0x7fff
	v_lshrrev_b32_e32 v67, 16, v19
	v_lshrrev_b32_e32 v69, 16, v10
	v_cndmask_b32_e64 v65, v70, v71, s0
	v_cmp_u_f32_e64 s0, v68, v68
	v_lshrrev_b32_e32 v68, 16, v64
	v_lshrrev_b32_e32 v64, 16, v65
	v_cndmask_b32_e64 v18, v18, v72, s0
	v_lshrrev_b32_e32 v65, 16, v18
	s_and_saveexec_b32 s21, vcc_lo
	s_cbranch_execz .LBB371_465
; %bb.464:                              ;   in Loop: Header=BB371_278 Depth=1
	v_cmp_gt_i32_e64 s0, s31, v48
	v_cndmask_b32_e64 v68, 0, v68, s0
	v_cmp_gt_i32_e64 s0, s31, v55
	v_cndmask_b32_e64 v69, 0, v69, s0
	;; [unrolled: 2-line block ×8, first 2 shown]
.LBB371_465:                            ;   in Loop: Header=BB371_278 Depth=1
	s_or_b32 exec_lo, exec_lo, s21
	global_load_dwordx2 v[16:17], v[16:17], off offset:768
	v_mov_b32_e32 v71, 0
	v_mov_b32_e32 v70, 0
	s_waitcnt vmcnt(0)
	v_cmp_ne_u16_sdwa s0, v16, v11 src0_sel:BYTE_0 src1_sel:DWORD
	s_and_saveexec_b32 s21, s0
	s_cbranch_execz .LBB371_471
; %bb.466:                              ;   in Loop: Header=BB371_278 Depth=1
	v_cmp_ne_u16_sdwa s0, v16, v32 src0_sel:BYTE_0 src1_sel:DWORD
	v_bfrev_b32_e32 v70, 1
	s_and_saveexec_b32 s22, s0
	s_cbranch_execz .LBB371_470
; %bb.467:                              ;   in Loop: Header=BB371_278 Depth=1
	v_and_b32_e32 v10, 0x7f, v16
	v_mov_b32_e32 v70, 0x7f800001
	s_mov_b32 s24, exec_lo
	v_cmpx_ne_u32_e32 0x7f, v10
	s_cbranch_execz .LBB371_469
; %bb.468:                              ;   in Loop: Header=BB371_278 Depth=1
	v_and_b32_e32 v18, 7, v16
	v_lshrrev_b32_e32 v19, 3, v10
	v_cmp_gt_u32_e64 s0, 8, v10
	v_ffbh_u32_e32 v18, v18
	v_min_u32_e32 v18, 32, v18
	v_subrev_nc_u32_e32 v70, 28, v18
	v_sub_nc_u32_e32 v18, 29, v18
	v_cndmask_b32_e64 v10, v19, v18, s0
	v_cndmask_b32_e64 v18, 0, v70, s0
	v_lshl_add_u32 v10, v10, 23, 0x3c000000
	v_lshlrev_b64 v[18:19], v18, v[16:17]
	v_lshlrev_b32_e32 v19, 24, v16
	v_lshlrev_b32_e32 v18, 20, v18
	v_and_b32_e32 v19, 0x80000000, v19
	v_and_b32_e32 v18, 0x700000, v18
	v_or3_b32 v70, v18, v19, v10
.LBB371_469:                            ;   in Loop: Header=BB371_278 Depth=1
	s_or_b32 exec_lo, exec_lo, s24
.LBB371_470:                            ;   in Loop: Header=BB371_278 Depth=1
	s_or_b32 exec_lo, exec_lo, s22
.LBB371_471:                            ;   in Loop: Header=BB371_278 Depth=1
	s_or_b32 exec_lo, exec_lo, s21
	v_cmp_ne_u16_sdwa s0, v16, v11 src0_sel:BYTE_1 src1_sel:DWORD
	s_and_saveexec_b32 s21, s0
	s_cbranch_execz .LBB371_479
; %bb.472:                              ;   in Loop: Header=BB371_278 Depth=1
	v_cmp_ne_u16_sdwa s0, v16, v32 src0_sel:BYTE_1 src1_sel:DWORD
	v_bfrev_b32_e32 v71, 1
	s_and_saveexec_b32 s22, s0
	s_cbranch_execz .LBB371_478
; %bb.473:                              ;   in Loop: Header=BB371_278 Depth=1
	v_and_b32_sdwa v10, v33, v16 dst_sel:DWORD dst_unused:UNUSED_PAD src0_sel:DWORD src1_sel:BYTE_1
	v_mov_b32_e32 v71, 0x7f800001
	s_mov_b32 s24, exec_lo
	v_and_b32_e32 v19, 0x7f, v10
	v_cmpx_ne_u32_e32 0x7f, v19
	s_cbranch_execz .LBB371_477
; %bb.474:                              ;   in Loop: Header=BB371_278 Depth=1
	v_and_b32_e32 v10, 7, v10
	v_lshrrev_b32_e32 v18, 3, v19
	s_mov_b32 s25, exec_lo
	v_cmpx_gt_u32_e32 8, v19
; %bb.475:                              ;   in Loop: Header=BB371_278 Depth=1
	v_ffbh_u32_e32 v18, v10
	v_min_u32_e32 v18, 32, v18
	v_subrev_nc_u32_e32 v19, 28, v18
	v_sub_nc_u32_e32 v18, 29, v18
	v_lshlrev_b64 v[71:72], v19, v[10:11]
	v_and_b32_e32 v10, 7, v71
; %bb.476:                              ;   in Loop: Header=BB371_278 Depth=1
	s_or_b32 exec_lo, exec_lo, s25
	v_lshlrev_b32_e32 v19, 16, v16
	v_lshlrev_b32_e32 v10, 20, v10
	v_lshl_add_u32 v18, v18, 23, 0x3c000000
	v_and_b32_e32 v19, 0x80000000, v19
	v_or3_b32 v71, v10, v19, v18
.LBB371_477:                            ;   in Loop: Header=BB371_278 Depth=1
	s_or_b32 exec_lo, exec_lo, s24
.LBB371_478:                            ;   in Loop: Header=BB371_278 Depth=1
	s_or_b32 exec_lo, exec_lo, s22
.LBB371_479:                            ;   in Loop: Header=BB371_278 Depth=1
	s_or_b32 exec_lo, exec_lo, s21
	v_and_b32_sdwa v10, v16, v34 dst_sel:DWORD dst_unused:UNUSED_PAD src0_sel:WORD_1 src1_sel:DWORD
	v_mov_b32_e32 v73, 0
	v_mov_b32_e32 v72, 0
	s_mov_b32 s21, exec_lo
	v_cmpx_ne_u16_e32 0, v10
	s_cbranch_execz .LBB371_487
; %bb.480:                              ;   in Loop: Header=BB371_278 Depth=1
	v_bfrev_b32_e32 v72, 1
	s_mov_b32 s22, exec_lo
	v_cmpx_ne_u16_e32 0x80, v10
	s_cbranch_execz .LBB371_486
; %bb.481:                              ;   in Loop: Header=BB371_278 Depth=1
	v_bfe_u32 v19, v16, 16, 7
	v_mov_b32_e32 v72, 0x7f800001
	s_mov_b32 s24, exec_lo
	v_cmpx_ne_u32_e32 0x7f, v19
	s_cbranch_execz .LBB371_485
; %bb.482:                              ;   in Loop: Header=BB371_278 Depth=1
	v_and_b32_sdwa v10, v16, v35 dst_sel:DWORD dst_unused:UNUSED_PAD src0_sel:WORD_1 src1_sel:DWORD
	v_lshrrev_b32_e32 v18, 3, v19
	s_mov_b32 s25, exec_lo
	v_cmpx_gt_u32_e32 8, v19
; %bb.483:                              ;   in Loop: Header=BB371_278 Depth=1
	v_ffbh_u32_e32 v18, v10
	v_min_u32_e32 v18, 32, v18
	v_subrev_nc_u32_e32 v19, 28, v18
	v_sub_nc_u32_e32 v18, 29, v18
	v_lshlrev_b64 v[74:75], v19, v[10:11]
	v_and_b32_e32 v10, 7, v74
; %bb.484:                              ;   in Loop: Header=BB371_278 Depth=1
	s_or_b32 exec_lo, exec_lo, s25
	v_lshlrev_b32_sdwa v19, v36, v16 dst_sel:DWORD dst_unused:UNUSED_PAD src0_sel:DWORD src1_sel:WORD_1
	v_lshlrev_b32_e32 v10, 20, v10
	v_lshl_add_u32 v18, v18, 23, 0x3c000000
	v_and_b32_e32 v19, 0x80000000, v19
	v_or3_b32 v72, v10, v19, v18
.LBB371_485:                            ;   in Loop: Header=BB371_278 Depth=1
	s_or_b32 exec_lo, exec_lo, s24
.LBB371_486:                            ;   in Loop: Header=BB371_278 Depth=1
	s_or_b32 exec_lo, exec_lo, s22
.LBB371_487:                            ;   in Loop: Header=BB371_278 Depth=1
	s_or_b32 exec_lo, exec_lo, s21
	s_mov_b32 s21, exec_lo
	v_cmpx_lt_u32_e32 0xffffff, v16
	s_cbranch_execz .LBB371_495
; %bb.488:                              ;   in Loop: Header=BB371_278 Depth=1
	v_cmp_ne_u32_sdwa s0, v16, v32 src0_sel:BYTE_3 src1_sel:DWORD
	v_bfrev_b32_e32 v73, 1
	s_and_saveexec_b32 s22, s0
	s_cbranch_execz .LBB371_494
; %bb.489:                              ;   in Loop: Header=BB371_278 Depth=1
	v_bfe_u32 v19, v16, 24, 7
	v_mov_b32_e32 v73, 0x7f800001
	s_mov_b32 s24, exec_lo
	v_cmpx_ne_u32_e32 0x7f, v19
	s_cbranch_execz .LBB371_493
; %bb.490:                              ;   in Loop: Header=BB371_278 Depth=1
	v_and_b32_sdwa v10, v16, v35 dst_sel:DWORD dst_unused:UNUSED_PAD src0_sel:BYTE_3 src1_sel:DWORD
	v_lshrrev_b32_e32 v18, 3, v19
	s_mov_b32 s25, exec_lo
	v_cmpx_gt_u32_e32 8, v19
; %bb.491:                              ;   in Loop: Header=BB371_278 Depth=1
	v_ffbh_u32_e32 v18, v10
	v_min_u32_e32 v18, 32, v18
	v_subrev_nc_u32_e32 v19, 28, v18
	v_sub_nc_u32_e32 v18, 29, v18
	v_lshlrev_b64 v[73:74], v19, v[10:11]
	v_and_b32_e32 v10, 7, v73
; %bb.492:                              ;   in Loop: Header=BB371_278 Depth=1
	s_or_b32 exec_lo, exec_lo, s25
	v_lshlrev_b32_sdwa v19, v36, v16 dst_sel:DWORD dst_unused:UNUSED_PAD src0_sel:DWORD src1_sel:BYTE_3
	v_lshlrev_b32_e32 v10, 20, v10
	v_lshl_add_u32 v18, v18, 23, 0x3c000000
	v_and_b32_e32 v19, 0x80000000, v19
	v_or3_b32 v73, v10, v19, v18
.LBB371_493:                            ;   in Loop: Header=BB371_278 Depth=1
	s_or_b32 exec_lo, exec_lo, s24
.LBB371_494:                            ;   in Loop: Header=BB371_278 Depth=1
	s_or_b32 exec_lo, exec_lo, s22
.LBB371_495:                            ;   in Loop: Header=BB371_278 Depth=1
	s_or_b32 exec_lo, exec_lo, s21
	v_mov_b32_e32 v10, v17
	v_cmp_ne_u16_sdwa s0, v17, v11 src0_sel:BYTE_0 src1_sel:DWORD
	v_mov_b32_e32 v18, 0
	v_mov_b32_e32 v74, 0
	s_and_saveexec_b32 s21, s0
	s_cbranch_execz .LBB371_501
; %bb.496:                              ;   in Loop: Header=BB371_278 Depth=1
	v_cmp_ne_u16_sdwa s0, v17, v32 src0_sel:BYTE_0 src1_sel:DWORD
	v_bfrev_b32_e32 v74, 1
	s_and_saveexec_b32 s22, s0
	s_cbranch_execz .LBB371_500
; %bb.497:                              ;   in Loop: Header=BB371_278 Depth=1
	v_and_b32_e32 v19, 0x7f, v17
	v_mov_b32_e32 v74, 0x7f800001
	s_mov_b32 s24, exec_lo
	v_cmpx_ne_u32_e32 0x7f, v19
	s_cbranch_execz .LBB371_499
; %bb.498:                              ;   in Loop: Header=BB371_278 Depth=1
	v_and_b32_e32 v74, 7, v17
	v_lshrrev_b32_e32 v75, 3, v19
	v_cmp_gt_u32_e64 s0, 8, v19
	v_ffbh_u32_e32 v74, v74
	v_min_u32_e32 v74, 32, v74
	v_subrev_nc_u32_e32 v76, 28, v74
	v_sub_nc_u32_e32 v74, 29, v74
	v_cndmask_b32_e64 v19, v75, v74, s0
	v_cndmask_b32_e64 v74, 0, v76, s0
	v_lshl_add_u32 v19, v19, 23, 0x3c000000
	v_lshlrev_b64 v[74:75], v74, v[10:11]
	v_lshlrev_b32_e32 v75, 24, v10
	v_lshlrev_b32_e32 v74, 20, v74
	v_and_b32_e32 v75, 0x80000000, v75
	v_and_b32_e32 v74, 0x700000, v74
	v_or3_b32 v74, v74, v75, v19
.LBB371_499:                            ;   in Loop: Header=BB371_278 Depth=1
	s_or_b32 exec_lo, exec_lo, s24
.LBB371_500:                            ;   in Loop: Header=BB371_278 Depth=1
	s_or_b32 exec_lo, exec_lo, s22
.LBB371_501:                            ;   in Loop: Header=BB371_278 Depth=1
	s_or_b32 exec_lo, exec_lo, s21
	v_cmp_ne_u16_sdwa s0, v10, v11 src0_sel:BYTE_1 src1_sel:DWORD
	s_and_saveexec_b32 s21, s0
	s_cbranch_execz .LBB371_509
; %bb.502:                              ;   in Loop: Header=BB371_278 Depth=1
	v_cmp_ne_u16_sdwa s0, v10, v32 src0_sel:BYTE_1 src1_sel:DWORD
	v_bfrev_b32_e32 v18, 1
	s_and_saveexec_b32 s22, s0
	s_cbranch_execz .LBB371_508
; %bb.503:                              ;   in Loop: Header=BB371_278 Depth=1
	v_and_b32_sdwa v19, v33, v10 dst_sel:DWORD dst_unused:UNUSED_PAD src0_sel:DWORD src1_sel:BYTE_1
	v_mov_b32_e32 v18, 0x7f800001
	s_mov_b32 s24, exec_lo
	v_and_b32_e32 v76, 0x7f, v19
	v_cmpx_ne_u32_e32 0x7f, v76
	s_cbranch_execz .LBB371_507
; %bb.504:                              ;   in Loop: Header=BB371_278 Depth=1
	v_and_b32_e32 v18, 7, v19
	v_mov_b32_e32 v19, v11
	v_lshrrev_b32_e32 v75, 3, v76
	s_mov_b32 s25, exec_lo
	v_cmpx_gt_u32_e32 8, v76
; %bb.505:                              ;   in Loop: Header=BB371_278 Depth=1
	v_ffbh_u32_e32 v75, v18
	v_min_u32_e32 v75, 32, v75
	v_subrev_nc_u32_e32 v76, 28, v75
	v_sub_nc_u32_e32 v75, 29, v75
	v_lshlrev_b64 v[18:19], v76, v[18:19]
	v_and_b32_e32 v18, 7, v18
; %bb.506:                              ;   in Loop: Header=BB371_278 Depth=1
	s_or_b32 exec_lo, exec_lo, s25
	v_lshlrev_b32_e32 v10, 16, v10
	v_lshlrev_b32_e32 v18, 20, v18
	v_lshl_add_u32 v19, v75, 23, 0x3c000000
	v_and_b32_e32 v10, 0x80000000, v10
	v_or3_b32 v18, v18, v10, v19
.LBB371_507:                            ;   in Loop: Header=BB371_278 Depth=1
	s_or_b32 exec_lo, exec_lo, s24
.LBB371_508:                            ;   in Loop: Header=BB371_278 Depth=1
	s_or_b32 exec_lo, exec_lo, s22
.LBB371_509:                            ;   in Loop: Header=BB371_278 Depth=1
	s_or_b32 exec_lo, exec_lo, s21
	v_and_b32_sdwa v10, v17, v34 dst_sel:DWORD dst_unused:UNUSED_PAD src0_sel:WORD_1 src1_sel:DWORD
	v_mov_b32_e32 v19, 0
	v_mov_b32_e32 v75, 0
	s_mov_b32 s21, exec_lo
	v_cmpx_ne_u16_e32 0, v10
	s_cbranch_execz .LBB371_517
; %bb.510:                              ;   in Loop: Header=BB371_278 Depth=1
	v_bfrev_b32_e32 v75, 1
	s_mov_b32 s22, exec_lo
	v_cmpx_ne_u16_e32 0x80, v10
	s_cbranch_execz .LBB371_516
; %bb.511:                              ;   in Loop: Header=BB371_278 Depth=1
	v_bfe_u32 v76, v17, 16, 7
	v_mov_b32_e32 v75, 0x7f800001
	s_mov_b32 s24, exec_lo
	v_cmpx_ne_u32_e32 0x7f, v76
	s_cbranch_execz .LBB371_515
; %bb.512:                              ;   in Loop: Header=BB371_278 Depth=1
	v_and_b32_sdwa v10, v17, v35 dst_sel:DWORD dst_unused:UNUSED_PAD src0_sel:WORD_1 src1_sel:DWORD
	v_lshrrev_b32_e32 v75, 3, v76
	s_mov_b32 s25, exec_lo
	v_cmpx_gt_u32_e32 8, v76
; %bb.513:                              ;   in Loop: Header=BB371_278 Depth=1
	v_ffbh_u32_e32 v75, v10
	v_min_u32_e32 v75, 32, v75
	v_subrev_nc_u32_e32 v76, 28, v75
	v_sub_nc_u32_e32 v75, 29, v75
	v_lshlrev_b64 v[76:77], v76, v[10:11]
	v_and_b32_e32 v10, 7, v76
; %bb.514:                              ;   in Loop: Header=BB371_278 Depth=1
	s_or_b32 exec_lo, exec_lo, s25
	v_lshlrev_b32_sdwa v76, v36, v17 dst_sel:DWORD dst_unused:UNUSED_PAD src0_sel:DWORD src1_sel:WORD_1
	v_lshlrev_b32_e32 v10, 20, v10
	v_lshl_add_u32 v75, v75, 23, 0x3c000000
	v_and_b32_e32 v76, 0x80000000, v76
	v_or3_b32 v75, v10, v76, v75
.LBB371_515:                            ;   in Loop: Header=BB371_278 Depth=1
	s_or_b32 exec_lo, exec_lo, s24
.LBB371_516:                            ;   in Loop: Header=BB371_278 Depth=1
	s_or_b32 exec_lo, exec_lo, s22
.LBB371_517:                            ;   in Loop: Header=BB371_278 Depth=1
	s_or_b32 exec_lo, exec_lo, s21
	s_mov_b32 s21, exec_lo
	v_cmpx_lt_u64_e64 s[4:5], v[16:17]
	s_cbranch_execz .LBB371_525
; %bb.518:                              ;   in Loop: Header=BB371_278 Depth=1
	v_cmp_ne_u32_sdwa s0, v17, v32 src0_sel:BYTE_3 src1_sel:DWORD
	v_bfrev_b32_e32 v19, 1
	s_and_saveexec_b32 s22, s0
	s_cbranch_execz .LBB371_524
; %bb.519:                              ;   in Loop: Header=BB371_278 Depth=1
	v_bfe_u32 v76, v17, 24, 7
	v_mov_b32_e32 v19, 0x7f800001
	s_mov_b32 s24, exec_lo
	v_cmpx_ne_u32_e32 0x7f, v76
	s_cbranch_execz .LBB371_523
; %bb.520:                              ;   in Loop: Header=BB371_278 Depth=1
	v_and_b32_sdwa v10, v17, v35 dst_sel:DWORD dst_unused:UNUSED_PAD src0_sel:BYTE_3 src1_sel:DWORD
	v_lshrrev_b32_e32 v16, 3, v76
	s_mov_b32 s25, exec_lo
	v_cmpx_gt_u32_e32 8, v76
; %bb.521:                              ;   in Loop: Header=BB371_278 Depth=1
	v_ffbh_u32_e32 v16, v10
	v_min_u32_e32 v16, 32, v16
	v_subrev_nc_u32_e32 v19, 28, v16
	v_sub_nc_u32_e32 v16, 29, v16
	v_lshlrev_b64 v[76:77], v19, v[10:11]
	v_and_b32_e32 v10, 7, v76
; %bb.522:                              ;   in Loop: Header=BB371_278 Depth=1
	s_or_b32 exec_lo, exec_lo, s25
	v_lshlrev_b32_sdwa v17, v36, v17 dst_sel:DWORD dst_unused:UNUSED_PAD src0_sel:DWORD src1_sel:BYTE_3
	v_lshlrev_b32_e32 v10, 20, v10
	v_lshl_add_u32 v16, v16, 23, 0x3c000000
	v_and_b32_e32 v17, 0x80000000, v17
	v_or3_b32 v19, v10, v17, v16
.LBB371_523:                            ;   in Loop: Header=BB371_278 Depth=1
	s_or_b32 exec_lo, exec_lo, s24
.LBB371_524:                            ;   in Loop: Header=BB371_278 Depth=1
	s_or_b32 exec_lo, exec_lo, s22
.LBB371_525:                            ;   in Loop: Header=BB371_278 Depth=1
	s_or_b32 exec_lo, exec_lo, s21
	v_mul_f32_e32 v10, s18, v18
	v_mul_f32_e32 v16, s18, v74
	;; [unrolled: 1-line block ×5, first 2 shown]
	v_bfe_u32 v72, v10, 16, 1
	v_or_b32_e32 v73, 0x400000, v10
	v_bfe_u32 v74, v16, 16, 1
	v_cmp_u_f32_e64 s0, v10, v10
	v_or_b32_e32 v76, 0x400000, v16
	v_add3_u32 v72, v72, v10, 0x7fff
	v_bfe_u32 v77, v17, 16, 1
	v_add3_u32 v74, v74, v16, 0x7fff
	v_or_b32_e32 v78, 0x400000, v17
	v_bfe_u32 v79, v18, 16, 1
	v_cndmask_b32_e64 v10, v72, v73, s0
	v_cmp_u_f32_e64 s0, v16, v16
	v_add3_u32 v77, v77, v17, 0x7fff
	v_or_b32_e32 v73, 0x400000, v18
	v_add3_u32 v72, v79, v18, 0x7fff
	v_mul_f32_e32 v70, s18, v70
	v_cndmask_b32_e64 v16, v74, v76, s0
	v_cmp_u_f32_e64 s0, v17, v17
	v_bfe_u32 v74, v71, 16, 1
	v_mul_f32_e32 v19, s18, v19
	v_lshrrev_b32_e32 v10, 16, v10
	v_lshrrev_b32_e32 v16, 16, v16
	v_cndmask_b32_e64 v17, v77, v78, s0
	v_cmp_u_f32_e64 s0, v18, v18
	v_or_b32_e32 v78, 0x400000, v19
	v_lshrrev_b32_e32 v17, 16, v17
	v_cndmask_b32_e64 v18, v72, v73, s0
	v_mul_f32_e32 v72, s18, v75
	v_add3_u32 v73, v74, v71, 0x7fff
	v_or_b32_e32 v74, 0x400000, v71
	v_bfe_u32 v75, v70, 16, 1
	v_cmp_u_f32_e64 s0, v71, v71
	v_bfe_u32 v76, v72, 16, 1
	v_or_b32_e32 v77, 0x400000, v72
	v_cndmask_b32_e64 v71, v73, v74, s0
	v_add3_u32 v74, v75, v70, 0x7fff
	v_or_b32_e32 v75, 0x400000, v70
	v_cmp_u_f32_e64 s0, v70, v70
	v_bfe_u32 v73, v19, 16, 1
	v_add3_u32 v76, v76, v72, 0x7fff
	v_lshrrev_b32_e32 v70, 16, v18
	v_lshrrev_b32_e32 v71, 16, v71
	v_cndmask_b32_e64 v74, v74, v75, s0
	v_cmp_u_f32_e64 s0, v72, v72
	v_add3_u32 v73, v73, v19, 0x7fff
	v_lshrrev_b32_e32 v72, 16, v74
	v_cndmask_b32_e64 v75, v76, v77, s0
	v_cmp_u_f32_e64 s0, v19, v19
	v_lshrrev_b32_e32 v19, 16, v75
	v_cndmask_b32_e64 v73, v73, v78, s0
	v_lshrrev_b32_e32 v18, 16, v73
	s_and_saveexec_b32 s0, vcc_lo
	s_cbranch_execz .LBB371_276
; %bb.526:                              ;   in Loop: Header=BB371_278 Depth=1
	v_cmp_gt_i32_e32 vcc_lo, s31, v48
	v_cndmask_b32_e32 v72, 0, v72, vcc_lo
	v_cmp_gt_i32_e32 vcc_lo, s31, v55
	v_cndmask_b32_e32 v71, 0, v71, vcc_lo
	;; [unrolled: 2-line block ×8, first 2 shown]
	s_branch .LBB371_276
.LBB371_527:
	s_or_b32 exec_lo, exec_lo, s13
.LBB371_528:
	s_or_b32 exec_lo, exec_lo, s1
	ds_bpermute_b32 v1, v25, v31
	ds_bpermute_b32 v2, v25, v30
	ds_bpermute_b32 v3, v25, v29
	ds_bpermute_b32 v4, v25, v28
	v_lshrrev_b32_e32 v5, 2, v23
	v_and_b32_e32 v12, 0x3c3, v0
	s_mov_b32 s0, exec_lo
	s_waitcnt lgkmcnt(0)
	s_waitcnt_vscnt null, 0x0
	s_barrier
	buffer_gl0_inv
	v_add_f32_e32 v1, v31, v1
	v_add_f32_e32 v2, v30, v2
	v_add_f32_e32 v7, v29, v3
	v_add_f32_e32 v8, v28, v4
	v_and_b32_e32 v4, 28, v23
	ds_bpermute_b32 v3, v26, v1
	ds_bpermute_b32 v9, v26, v2
	;; [unrolled: 1-line block ×4, first 2 shown]
	v_add_nc_u32_e32 v6, 0x60, v4
	s_waitcnt lgkmcnt(3)
	v_add_f32_e32 v4, v1, v3
	s_waitcnt lgkmcnt(2)
	v_add_f32_e32 v3, v2, v9
	;; [unrolled: 2-line block ×4, first 2 shown]
	v_cmpx_eq_u32_e32 64, v12
	s_cbranch_execz .LBB371_530
; %bb.529:
	v_lshl_add_u32 v7, v22, 7, v6
	v_add_nc_u32_e32 v8, 0xffffff00, v7
	v_add_nc_u32_e32 v9, 0xffffff20, v7
	;; [unrolled: 1-line block ×4, first 2 shown]
	ds_write_b32 v8, v4
	ds_write_b32 v9, v3
	;; [unrolled: 1-line block ×4, first 2 shown]
.LBB371_530:
	s_or_b32 exec_lo, exec_lo, s0
	v_and_b32_e32 v7, 0x3e0, v0
	v_lshlrev_b32_e32 v5, 2, v5
	s_mov_b32 s1, exec_lo
	v_cmp_eq_u32_e32 vcc_lo, 0, v27
	s_waitcnt lgkmcnt(0)
	v_lshlrev_b32_e32 v7, 2, v7
	s_barrier
	buffer_gl0_inv
	v_add3_u32 v5, 0x60, v7, v5
	v_cmpx_gt_u32_e32 64, v0
	s_cbranch_execz .LBB371_537
; %bb.531:
	s_and_saveexec_b32 s0, vcc_lo
	s_cbranch_execnz .LBB371_549
; %bb.532:
	s_or_b32 exec_lo, exec_lo, s0
	s_and_saveexec_b32 s0, vcc_lo
	s_cbranch_execnz .LBB371_550
.LBB371_533:
	s_or_b32 exec_lo, exec_lo, s0
	s_and_saveexec_b32 s0, vcc_lo
	s_cbranch_execnz .LBB371_551
.LBB371_534:
	s_or_b32 exec_lo, exec_lo, s0
	s_and_saveexec_b32 s0, vcc_lo
	s_cbranch_execz .LBB371_536
.LBB371_535:
	ds_read_b32 v7, v5 offset:96
	s_waitcnt lgkmcnt(0)
	v_add_f32_e32 v1, v1, v7
.LBB371_536:
	s_or_b32 exec_lo, exec_lo, s0
.LBB371_537:
	s_or_b32 exec_lo, exec_lo, s1
	v_and_b32_e32 v7, 0x3e3, v0
	s_mov_b32 s1, exec_lo
	s_barrier
	buffer_gl0_inv
	v_cmpx_eq_u32_e32 32, v7
	s_cbranch_execz .LBB371_539
; %bb.538:
	ds_write2_b32 v6, v4, v3 offset1:8
	ds_write2_b32 v6, v2, v1 offset0:16 offset1:24
.LBB371_539:
	s_or_b32 exec_lo, exec_lo, s1
	s_mov_b32 s1, exec_lo
	s_waitcnt lgkmcnt(0)
	s_barrier
	buffer_gl0_inv
	v_cmpx_gt_u32_e32 32, v0
	s_cbranch_execz .LBB371_546
; %bb.540:
	s_and_saveexec_b32 s0, vcc_lo
	s_cbranch_execnz .LBB371_552
; %bb.541:
	s_or_b32 exec_lo, exec_lo, s0
	s_and_saveexec_b32 s0, vcc_lo
	s_cbranch_execnz .LBB371_553
.LBB371_542:
	s_or_b32 exec_lo, exec_lo, s0
	s_and_saveexec_b32 s0, vcc_lo
	s_cbranch_execnz .LBB371_554
.LBB371_543:
	s_or_b32 exec_lo, exec_lo, s0
	s_and_saveexec_b32 s0, vcc_lo
	s_cbranch_execz .LBB371_545
.LBB371_544:
	ds_read_b32 v5, v5 offset:96
	s_waitcnt lgkmcnt(0)
	v_add_f32_e32 v1, v1, v5
.LBB371_545:
	s_or_b32 exec_lo, exec_lo, s0
.LBB371_546:
	s_or_b32 exec_lo, exec_lo, s1
	s_barrier
	buffer_gl0_inv
	s_mov_b32 s0, exec_lo
	v_cmpx_eq_u32_e32 0, v7
	s_cbranch_execz .LBB371_548
; %bb.547:
	v_bfe_u32 v5, v4, 16, 1
	v_or_b32_e32 v6, 0x400000, v4
	v_bfe_u32 v7, v3, 16, 1
	v_cmp_u_f32_e32 vcc_lo, v4, v4
	s_lshl_b32 s0, s2, 5
	v_add3_u32 v5, v5, v4, 0x7fff
	s_ashr_i32 s1, s0, 31
	v_bfe_u32 v8, v2, 16, 1
	s_lshl_b64 s[0:1], s[0:1], 1
	s_mul_i32 s2, s7, s10
	v_cndmask_b32_e32 v4, v5, v6, vcc_lo
	v_add3_u32 v6, v7, v3, 0x7fff
	v_or_b32_e32 v7, 0x400000, v3
	v_cmp_u_f32_e32 vcc_lo, v3, v3
	s_add_u32 s4, s28, s0
	s_addc_u32 s5, s29, s1
	s_ashr_i32 s3, s2, 31
	v_bfe_u32 v5, v1, 16, 1
	s_lshl_b64 s[0:1], s[2:3], 1
	v_add3_u32 v8, v8, v2, 0x7fff
	v_or_b32_e32 v9, 0x400000, v2
	v_cndmask_b32_e32 v3, v6, v7, vcc_lo
	v_cmp_u_f32_e32 vcc_lo, v2, v2
	s_add_u32 s2, s4, s0
	s_addc_u32 s3, s5, s1
	s_lshl_b32 s0, s8, 5
	v_add3_u32 v5, v5, v1, 0x7fff
	s_ashr_i32 s1, s0, 31
	v_or_b32_e32 v10, 0x400000, v1
	v_cndmask_b32_e32 v2, v8, v9, vcc_lo
	v_cmp_u_f32_e32 vcc_lo, v1, v1
	v_lshrrev_b32_e32 v0, 1, v0
	s_lshl_b64 s[0:1], s[0:1], 1
	s_add_u32 s0, s2, s0
	s_addc_u32 s1, s3, s1
	v_cndmask_b32_e32 v1, v5, v10, vcc_lo
	global_store_short_d16_hi v0, v4, s[0:1]
	global_store_short_d16_hi v0, v3, s[0:1] offset:16
	global_store_short_d16_hi v0, v2, s[0:1] offset:32
	;; [unrolled: 1-line block ×3, first 2 shown]
.LBB371_548:
	s_endpgm
.LBB371_549:
	ds_read_b32 v7, v5
	s_waitcnt lgkmcnt(0)
	v_add_f32_e32 v4, v4, v7
	s_or_b32 exec_lo, exec_lo, s0
	s_and_saveexec_b32 s0, vcc_lo
	s_cbranch_execz .LBB371_533
.LBB371_550:
	ds_read_b32 v7, v5 offset:32
	s_waitcnt lgkmcnt(0)
	v_add_f32_e32 v3, v3, v7
	s_or_b32 exec_lo, exec_lo, s0
	s_and_saveexec_b32 s0, vcc_lo
	s_cbranch_execz .LBB371_534
.LBB371_551:
	ds_read_b32 v7, v5 offset:64
	s_waitcnt lgkmcnt(0)
	v_add_f32_e32 v2, v2, v7
	s_or_b32 exec_lo, exec_lo, s0
	s_and_saveexec_b32 s0, vcc_lo
	s_cbranch_execnz .LBB371_535
	s_branch .LBB371_536
.LBB371_552:
	ds_read_b32 v6, v5
	s_waitcnt lgkmcnt(0)
	v_add_f32_e32 v4, v4, v6
	s_or_b32 exec_lo, exec_lo, s0
	s_and_saveexec_b32 s0, vcc_lo
	s_cbranch_execz .LBB371_542
.LBB371_553:
	ds_read_b32 v6, v5 offset:32
	s_waitcnt lgkmcnt(0)
	v_add_f32_e32 v3, v3, v6
	s_or_b32 exec_lo, exec_lo, s0
	s_and_saveexec_b32 s0, vcc_lo
	s_cbranch_execz .LBB371_543
.LBB371_554:
	ds_read_b32 v6, v5 offset:64
	s_waitcnt lgkmcnt(0)
	v_add_f32_e32 v2, v2, v6
	s_or_b32 exec_lo, exec_lo, s0
	s_and_saveexec_b32 s0, vcc_lo
	s_cbranch_execnz .LBB371_544
	s_branch .LBB371_545
	.section	.rodata,"a",@progbits
	.p2align	6, 0x0
	.amdhsa_kernel _ZN4vllm25paged_attention_v2_kernelI14__hip_bfloat16hLi32ELi32ELi128ELNS_18Fp8KVCacheDataTypeE1ELb1ELi512EEEvPfS3_PT_PKS4_PKT0_SA_ifPKiSC_iPKfiiiSE_SE_iiiii
		.amdhsa_group_segment_fixed_size 96
		.amdhsa_private_segment_fixed_size 0
		.amdhsa_kernarg_size 400
		.amdhsa_user_sgpr_count 6
		.amdhsa_user_sgpr_private_segment_buffer 1
		.amdhsa_user_sgpr_dispatch_ptr 0
		.amdhsa_user_sgpr_queue_ptr 0
		.amdhsa_user_sgpr_kernarg_segment_ptr 1
		.amdhsa_user_sgpr_dispatch_id 0
		.amdhsa_user_sgpr_flat_scratch_init 0
		.amdhsa_user_sgpr_private_segment_size 0
		.amdhsa_wavefront_size32 1
		.amdhsa_uses_dynamic_stack 0
		.amdhsa_system_sgpr_private_segment_wavefront_offset 0
		.amdhsa_system_sgpr_workgroup_id_x 1
		.amdhsa_system_sgpr_workgroup_id_y 1
		.amdhsa_system_sgpr_workgroup_id_z 1
		.amdhsa_system_sgpr_workgroup_info 0
		.amdhsa_system_vgpr_workitem_id 0
		.amdhsa_next_free_vgpr 95
		.amdhsa_next_free_sgpr 54
		.amdhsa_reserve_vcc 1
		.amdhsa_reserve_flat_scratch 0
		.amdhsa_float_round_mode_32 0
		.amdhsa_float_round_mode_16_64 0
		.amdhsa_float_denorm_mode_32 3
		.amdhsa_float_denorm_mode_16_64 3
		.amdhsa_dx10_clamp 1
		.amdhsa_ieee_mode 1
		.amdhsa_fp16_overflow 0
		.amdhsa_workgroup_processor_mode 1
		.amdhsa_memory_ordered 1
		.amdhsa_forward_progress 1
		.amdhsa_shared_vgpr_count 0
		.amdhsa_exception_fp_ieee_invalid_op 0
		.amdhsa_exception_fp_denorm_src 0
		.amdhsa_exception_fp_ieee_div_zero 0
		.amdhsa_exception_fp_ieee_overflow 0
		.amdhsa_exception_fp_ieee_underflow 0
		.amdhsa_exception_fp_ieee_inexact 0
		.amdhsa_exception_int_div_zero 0
	.end_amdhsa_kernel
	.section	.text._ZN4vllm25paged_attention_v2_kernelI14__hip_bfloat16hLi32ELi32ELi128ELNS_18Fp8KVCacheDataTypeE1ELb1ELi512EEEvPfS3_PT_PKS4_PKT0_SA_ifPKiSC_iPKfiiiSE_SE_iiiii,"axG",@progbits,_ZN4vllm25paged_attention_v2_kernelI14__hip_bfloat16hLi32ELi32ELi128ELNS_18Fp8KVCacheDataTypeE1ELb1ELi512EEEvPfS3_PT_PKS4_PKT0_SA_ifPKiSC_iPKfiiiSE_SE_iiiii,comdat
.Lfunc_end371:
	.size	_ZN4vllm25paged_attention_v2_kernelI14__hip_bfloat16hLi32ELi32ELi128ELNS_18Fp8KVCacheDataTypeE1ELb1ELi512EEEvPfS3_PT_PKS4_PKT0_SA_ifPKiSC_iPKfiiiSE_SE_iiiii, .Lfunc_end371-_ZN4vllm25paged_attention_v2_kernelI14__hip_bfloat16hLi32ELi32ELi128ELNS_18Fp8KVCacheDataTypeE1ELb1ELi512EEEvPfS3_PT_PKS4_PKT0_SA_ifPKiSC_iPKfiiiSE_SE_iiiii
                                        ; -- End function
	.set _ZN4vllm25paged_attention_v2_kernelI14__hip_bfloat16hLi32ELi32ELi128ELNS_18Fp8KVCacheDataTypeE1ELb1ELi512EEEvPfS3_PT_PKS4_PKT0_SA_ifPKiSC_iPKfiiiSE_SE_iiiii.num_vgpr, 95
	.set _ZN4vllm25paged_attention_v2_kernelI14__hip_bfloat16hLi32ELi32ELi128ELNS_18Fp8KVCacheDataTypeE1ELb1ELi512EEEvPfS3_PT_PKS4_PKT0_SA_ifPKiSC_iPKfiiiSE_SE_iiiii.num_agpr, 0
	.set _ZN4vllm25paged_attention_v2_kernelI14__hip_bfloat16hLi32ELi32ELi128ELNS_18Fp8KVCacheDataTypeE1ELb1ELi512EEEvPfS3_PT_PKS4_PKT0_SA_ifPKiSC_iPKfiiiSE_SE_iiiii.numbered_sgpr, 54
	.set _ZN4vllm25paged_attention_v2_kernelI14__hip_bfloat16hLi32ELi32ELi128ELNS_18Fp8KVCacheDataTypeE1ELb1ELi512EEEvPfS3_PT_PKS4_PKT0_SA_ifPKiSC_iPKfiiiSE_SE_iiiii.num_named_barrier, 0
	.set _ZN4vllm25paged_attention_v2_kernelI14__hip_bfloat16hLi32ELi32ELi128ELNS_18Fp8KVCacheDataTypeE1ELb1ELi512EEEvPfS3_PT_PKS4_PKT0_SA_ifPKiSC_iPKfiiiSE_SE_iiiii.private_seg_size, 0
	.set _ZN4vllm25paged_attention_v2_kernelI14__hip_bfloat16hLi32ELi32ELi128ELNS_18Fp8KVCacheDataTypeE1ELb1ELi512EEEvPfS3_PT_PKS4_PKT0_SA_ifPKiSC_iPKfiiiSE_SE_iiiii.uses_vcc, 1
	.set _ZN4vllm25paged_attention_v2_kernelI14__hip_bfloat16hLi32ELi32ELi128ELNS_18Fp8KVCacheDataTypeE1ELb1ELi512EEEvPfS3_PT_PKS4_PKT0_SA_ifPKiSC_iPKfiiiSE_SE_iiiii.uses_flat_scratch, 0
	.set _ZN4vllm25paged_attention_v2_kernelI14__hip_bfloat16hLi32ELi32ELi128ELNS_18Fp8KVCacheDataTypeE1ELb1ELi512EEEvPfS3_PT_PKS4_PKT0_SA_ifPKiSC_iPKfiiiSE_SE_iiiii.has_dyn_sized_stack, 0
	.set _ZN4vllm25paged_attention_v2_kernelI14__hip_bfloat16hLi32ELi32ELi128ELNS_18Fp8KVCacheDataTypeE1ELb1ELi512EEEvPfS3_PT_PKS4_PKT0_SA_ifPKiSC_iPKfiiiSE_SE_iiiii.has_recursion, 0
	.set _ZN4vllm25paged_attention_v2_kernelI14__hip_bfloat16hLi32ELi32ELi128ELNS_18Fp8KVCacheDataTypeE1ELb1ELi512EEEvPfS3_PT_PKS4_PKT0_SA_ifPKiSC_iPKfiiiSE_SE_iiiii.has_indirect_call, 0
	.section	.AMDGPU.csdata,"",@progbits
; Kernel info:
; codeLenInByte = 22044
; TotalNumSgprs: 56
; NumVgprs: 95
; ScratchSize: 0
; MemoryBound: 0
; FloatMode: 240
; IeeeMode: 1
; LDSByteSize: 96 bytes/workgroup (compile time only)
; SGPRBlocks: 0
; VGPRBlocks: 11
; NumSGPRsForWavesPerEU: 56
; NumVGPRsForWavesPerEU: 95
; Occupancy: 10
; WaveLimiterHint : 1
; COMPUTE_PGM_RSRC2:SCRATCH_EN: 0
; COMPUTE_PGM_RSRC2:USER_SGPR: 6
; COMPUTE_PGM_RSRC2:TRAP_HANDLER: 0
; COMPUTE_PGM_RSRC2:TGID_X_EN: 1
; COMPUTE_PGM_RSRC2:TGID_Y_EN: 1
; COMPUTE_PGM_RSRC2:TGID_Z_EN: 1
; COMPUTE_PGM_RSRC2:TIDIG_COMP_CNT: 0
	.section	.text._ZN4vllm25paged_attention_v2_kernelI14__hip_bfloat16hLi64ELi32ELi128ELNS_18Fp8KVCacheDataTypeE1ELb1ELi512EEEvPfS3_PT_PKS4_PKT0_SA_ifPKiSC_iPKfiiiSE_SE_iiiii,"axG",@progbits,_ZN4vllm25paged_attention_v2_kernelI14__hip_bfloat16hLi64ELi32ELi128ELNS_18Fp8KVCacheDataTypeE1ELb1ELi512EEEvPfS3_PT_PKS4_PKT0_SA_ifPKiSC_iPKfiiiSE_SE_iiiii,comdat
	.protected	_ZN4vllm25paged_attention_v2_kernelI14__hip_bfloat16hLi64ELi32ELi128ELNS_18Fp8KVCacheDataTypeE1ELb1ELi512EEEvPfS3_PT_PKS4_PKT0_SA_ifPKiSC_iPKfiiiSE_SE_iiiii ; -- Begin function _ZN4vllm25paged_attention_v2_kernelI14__hip_bfloat16hLi64ELi32ELi128ELNS_18Fp8KVCacheDataTypeE1ELb1ELi512EEEvPfS3_PT_PKS4_PKT0_SA_ifPKiSC_iPKfiiiSE_SE_iiiii
	.globl	_ZN4vllm25paged_attention_v2_kernelI14__hip_bfloat16hLi64ELi32ELi128ELNS_18Fp8KVCacheDataTypeE1ELb1ELi512EEEvPfS3_PT_PKS4_PKT0_SA_ifPKiSC_iPKfiiiSE_SE_iiiii
	.p2align	8
	.type	_ZN4vllm25paged_attention_v2_kernelI14__hip_bfloat16hLi64ELi32ELi128ELNS_18Fp8KVCacheDataTypeE1ELb1ELi512EEEvPfS3_PT_PKS4_PKT0_SA_ifPKiSC_iPKfiiiSE_SE_iiiii,@function
_ZN4vllm25paged_attention_v2_kernelI14__hip_bfloat16hLi64ELi32ELi128ELNS_18Fp8KVCacheDataTypeE1ELb1ELi512EEEvPfS3_PT_PKS4_PKT0_SA_ifPKiSC_iPKfiiiSE_SE_iiiii: ; @_ZN4vllm25paged_attention_v2_kernelI14__hip_bfloat16hLi64ELi32ELi128ELNS_18Fp8KVCacheDataTypeE1ELb1ELi512EEEvPfS3_PT_PKS4_PKT0_SA_ifPKiSC_iPKfiiiSE_SE_iiiii
; %bb.0:
	s_mov_b64 s[58:59], s[2:3]
	s_mov_b64 s[56:57], s[0:1]
	s_load_dwordx2 s[0:1], s[4:5], 0x40
	s_add_u32 s56, s56, s9
	s_addc_u32 s57, s57, 0
	s_mov_b32 s30, s7
	s_ashr_i32 s31, s7, 31
	s_lshl_b64 s[2:3], s[30:31], 2
	s_waitcnt lgkmcnt(0)
	s_add_u32 s0, s0, s2
	s_addc_u32 s1, s1, s3
	s_lshl_b32 s40, s8, 9
	s_load_dword s31, s[0:1], 0x0
	s_waitcnt lgkmcnt(0)
	s_cmp_ge_i32 s40, s31
	s_cbranch_scc1 .LBB372_1044
; %bb.1:
	s_clause 0x1
	s_load_dword s9, s[4:5], 0x90
	s_load_dwordx2 s[2:3], s[4:5], 0x30
	v_mov_b32_e32 v12, v0
	s_mov_b32 s42, 0
	s_waitcnt lgkmcnt(0)
	s_abs_i32 s10, s9
	s_abs_i32 s0, s2
	v_cvt_f32_u32_e32 v0, s0
	s_sub_i32 s7, 0, s0
	v_rcp_iflag_f32_e32 v0, v0
	v_mul_f32_e32 v0, 0x4f7ffffe, v0
	v_cvt_u32_f32_e32 v0, v0
	v_readfirstlane_b32 s1, v0
	s_mul_i32 s7, s7, s1
	s_mul_hi_u32 s7, s1, s7
	s_add_i32 s1, s1, s7
	s_xor_b32 s7, s9, s2
	s_mul_hi_u32 s1, s10, s1
	s_ashr_i32 s7, s7, 31
	s_mul_i32 s11, s1, s0
	s_sub_i32 s10, s10, s11
	s_add_i32 s11, s1, 1
	s_sub_i32 s12, s10, s0
	s_cmp_ge_u32 s10, s0
	s_cselect_b32 s1, s11, s1
	s_cselect_b32 s10, s12, s10
	s_add_i32 s11, s1, 1
	s_cmp_ge_u32 s10, s0
	s_cselect_b32 s0, s11, s1
	s_abs_i32 s13, s6
	s_xor_b32 s0, s0, s7
	s_sub_i32 s10, s0, s7
	s_load_dwordx2 s[0:1], s[4:5], 0x50
	s_abs_i32 s12, s10
	v_cvt_f32_u32_e32 v0, s12
	s_sub_i32 s11, 0, s12
	v_rcp_iflag_f32_e32 v0, v0
	v_mul_f32_e32 v0, 0x4f7ffffe, v0
	v_cvt_u32_f32_e32 v0, v0
	v_readfirstlane_b32 s7, v0
	s_mul_i32 s11, s11, s7
	s_mul_hi_u32 s11, s7, s11
	s_add_i32 s7, s7, s11
	s_waitcnt lgkmcnt(0)
	s_cmp_eq_u64 s[0:1], 0
	s_mul_hi_u32 s14, s13, s7
	s_cbranch_scc1 .LBB372_3
; %bb.2:
	s_ashr_i32 s7, s6, 31
	s_lshl_b64 s[16:17], s[6:7], 2
	s_add_u32 s0, s0, s16
	s_addc_u32 s1, s1, s17
	s_load_dword s42, s[0:1], 0x0
.LBB372_3:
	s_load_dwordx4 s[16:19], s[4:5], 0x58
	s_ashr_i32 s0, s6, 31
	s_ashr_i32 s1, s10, 31
	s_lshl_b32 s10, s6, 6
	s_mov_b32 s7, exec_lo
	v_cmpx_gt_u32_e32 8, v12
	s_cbranch_execz .LBB372_5
; %bb.4:
	s_load_dwordx2 s[20:21], s[4:5], 0x18
	s_waitcnt lgkmcnt(0)
	s_mul_i32 s22, s16, s30
	v_lshlrev_b32_e32 v4, 4, v12
	s_ashr_i32 s23, s22, 31
	s_lshl_b64 s[22:23], s[22:23], 1
	s_add_u32 s15, s20, s22
	s_addc_u32 s16, s21, s23
	s_ashr_i32 s11, s10, 31
	s_lshl_b64 s[20:21], s[10:11], 1
	s_add_u32 s20, s15, s20
	s_addc_u32 s21, s16, s21
	global_load_dwordx4 v[0:3], v4, s[20:21]
	s_waitcnt vmcnt(0)
	ds_write_b128 v4, v[0:3]
.LBB372_5:
	s_or_b32 exec_lo, exec_lo, s7
	s_load_dwordx4 s[20:23], s[4:5], 0x78
	s_mul_i32 s7, s14, s12
	s_xor_b32 s0, s0, s1
	s_sub_i32 s1, s13, s7
	s_add_i32 s7, s14, 1
	s_sub_i32 s11, s1, s12
	s_cmp_ge_u32 s1, s12
	s_mov_b32 s13, -1
	s_cselect_b32 s7, s7, s14
	s_cselect_b32 s1, s11, s1
	s_add_i32 s11, s7, 1
	s_cmp_ge_u32 s1, s12
                                        ; implicit-def: $sgpr19
	s_cselect_b32 s1, s11, s7
	s_load_dword s7, s[4:5], 0x88
	s_xor_b32 s1, s1, s0
	s_add_i32 s12, s31, -1
	s_sub_i32 s1, s1, s0
	s_abs_i32 s33, s12
	s_waitcnt lgkmcnt(0)
	s_abs_i32 s11, s23
	s_barrier
	v_cvt_f32_u32_e32 v0, s11
	s_sub_i32 s0, 0, s11
	buffer_gl0_inv
	v_rcp_iflag_f32_e32 v0, v0
	v_mul_f32_e32 v0, 0x4f7ffffe, v0
	v_cvt_u32_f32_e32 v0, v0
	v_readfirstlane_b32 s16, v0
	s_mul_i32 s0, s0, s16
	s_mul_hi_u32 s0, s16, s0
	s_add_i32 s16, s16, s0
	s_cmp_lt_i32 s7, 0
	s_mul_hi_u32 s0, s33, s16
	s_cbranch_scc0 .LBB372_7
; %bb.6:
	s_mul_i32 s2, s20, s2
	s_mov_b32 s13, 0
	s_add_i32 s2, s1, s2
	s_mul_i32 s2, s2, s7
	s_sub_i32 s19, 1, s2
.LBB372_7:
	s_load_dwordx2 s[34:35], s[4:5], 0x38
	s_ashr_i32 s2, s12, 31
	s_andn2_b32 vcc_lo, exec_lo, s13
	s_ashr_i32 s23, s23, 31
	s_cbranch_vccnz .LBB372_9
; %bb.8:
	s_mul_i32 s12, s9, s20
	s_add_i32 s12, s12, s6
	s_mul_i32 s7, s12, s7
	s_add_i32 s19, s7, 1
.LBB372_9:
	s_clause 0x5
	s_load_dword s20, s[4:5], 0x48
	s_load_dwordx2 s[38:39], s[4:5], 0x28
	s_load_dwordx4 s[24:27], s[4:5], 0x0
	s_load_dwordx2 s[28:29], s[4:5], 0x10
	s_load_dword s7, s[4:5], 0x98
	s_load_dwordx4 s[12:15], s[4:5], 0x68
	s_mul_i32 s36, s0, s11
	s_xor_b32 s2, s2, s23
	s_sub_i32 s33, s33, s36
	s_add_i32 s41, s0, 1
	v_lshrrev_b32_e32 v0, 5, v12
	v_and_b32_e32 v1, 31, v12
	v_mov_b32_e32 v78, 0xff7fffff
	s_mul_i32 s18, s1, s18
	v_lshl_add_u32 v24, v0, 5, s40
	v_lshlrev_b32_e32 v23, 2, v1
	buffer_store_dword v0, off, s[56:59], 0 offset:104 ; 4-byte Folded Spill
	buffer_store_dword v1, off, s[56:59], 0 ; 4-byte Folded Spill
	s_waitcnt lgkmcnt(0)
	s_mul_i32 s36, s20, s30
	s_sub_i32 s20, s33, s11
	s_ashr_i32 s37, s36, 31
	s_cmp_ge_u32 s33, s11
	s_cselect_b32 s0, s41, s0
	s_cselect_b32 s20, s20, s33
	s_add_i32 s33, s0, 1
	s_cmp_ge_u32 s20, s11
	s_cselect_b32 s0, s33, s0
	s_add_i32 s20, s31, 31
	s_lshl_b32 s43, s8, 4
	s_ashr_i32 s33, s20, 31
	v_add_nc_u32_e32 v9, s43, v0
	s_lshr_b32 s33, s33, 27
	s_add_i32 s41, s43, 16
	s_add_i32 s20, s20, s33
	s_xor_b32 s44, s0, s2
	s_ashr_i32 s33, s20, 5
	v_ashrrev_i32_e32 v10, 31, v9
	s_min_i32 s20, s41, s33
	s_sub_i32 s41, s44, s2
	v_cmp_gt_i32_e64 s0, s20, v9
	s_and_saveexec_b32 s44, s0
	s_cbranch_execz .LBB372_497
; %bb.10:
	v_mov_b32_e32 v2, 0
	buffer_store_dword v12, off, s[56:59], 0 offset:108 ; 4-byte Folded Spill
	s_load_dwordx2 s[4:5], s[4:5], 0x20
	s_sub_i32 s45, s41, s21
	s_ashr_i32 s1, s18, 31
	ds_read_b128 v[3:6], v2
	ds_read_b128 v[11:14], v2 offset:16
	ds_read_b128 v[15:18], v2 offset:32
	;; [unrolled: 1-line block ×4, first 2 shown]
	v_mov_b32_e32 v88, 0x80
	v_mov_b32_e32 v89, 0xffff
	;; [unrolled: 1-line block ×7, first 2 shown]
	s_mov_b32 s47, s17
	s_mov_b32 s48, 0
	buffer_store_dword v23, off, s[56:59], 0 offset:112 ; 4-byte Folded Spill
	buffer_load_dword v8, off, s[56:59], 0 offset:104 ; 4-byte Folded Reload
	s_waitcnt lgkmcnt(0)
	v_lshlrev_b32_e32 v0, 16, v3
	s_add_u32 s2, s4, s18
	s_addc_u32 s1, s5, s1
	s_abs_i32 s46, s22
	v_and_b32_e32 v44, 0xffff0000, v19
	buffer_store_dword v0, off, s[56:59], 0 offset:4 ; 4-byte Folded Spill
	v_and_b32_e32 v0, 0xffff0000, v3
	s_sub_i32 s4, 0, s46
	v_lshlrev_b32_e32 v45, 16, v20
	v_and_b32_e32 v46, 0xffff0000, v20
	v_lshlrev_b32_e32 v47, 16, v21
	buffer_store_dword v0, off, s[56:59], 0 offset:8 ; 4-byte Folded Spill
	v_lshlrev_b32_e32 v0, 16, v4
	v_and_b32_e32 v48, 0xffff0000, v21
	v_lshlrev_b32_e32 v49, 16, v22
	v_and_b32_e32 v50, 0xffff0000, v22
	v_lshlrev_b32_e32 v51, 16, v25
	buffer_store_dword v0, off, s[56:59], 0 offset:12 ; 4-byte Folded Spill
	v_and_b32_e32 v0, 0xffff0000, v4
	v_and_b32_e32 v52, 0xffff0000, v25
	v_lshlrev_b32_e32 v53, 16, v26
	v_and_b32_e32 v54, 0xffff0000, v26
	v_lshlrev_b32_e32 v55, 16, v27
	buffer_store_dword v0, off, s[56:59], 0 offset:16 ; 4-byte Folded Spill
	v_lshlrev_b32_e32 v0, 16, v5
	v_and_b32_e32 v56, 0xffff0000, v27
	v_lshlrev_b32_e32 v57, 16, v28
	v_and_b32_e32 v58, 0xffff0000, v28
	buffer_store_dword v0, off, s[56:59], 0 offset:20 ; 4-byte Folded Spill
	v_and_b32_e32 v0, 0xffff0000, v5
	buffer_store_dword v0, off, s[56:59], 0 offset:24 ; 4-byte Folded Spill
	v_lshlrev_b32_e32 v0, 16, v6
	buffer_store_dword v0, off, s[56:59], 0 offset:28 ; 4-byte Folded Spill
	v_and_b32_e32 v0, 0xffff0000, v6
	ds_read_b128 v[3:6], v2 offset:80
	buffer_store_dword v0, off, s[56:59], 0 offset:32 ; 4-byte Folded Spill
	v_lshlrev_b32_e32 v0, 16, v11
	buffer_store_dword v0, off, s[56:59], 0 offset:36 ; 4-byte Folded Spill
	v_and_b32_e32 v0, 0xffff0000, v11
	buffer_store_dword v0, off, s[56:59], 0 offset:40 ; 4-byte Folded Spill
	v_lshlrev_b32_e32 v0, 16, v12
	buffer_store_dword v0, off, s[56:59], 0 offset:44 ; 4-byte Folded Spill
	v_and_b32_e32 v0, 0xffff0000, v12
	;; [unrolled: 4-line block ×4, first 2 shown]
	ds_read_b128 v[11:14], v2 offset:96
	s_waitcnt lgkmcnt(1)
	v_lshlrev_b32_e32 v63, 16, v5
	v_and_b32_e32 v64, 0xffff0000, v5
	v_lshlrev_b32_e32 v59, 16, v3
	buffer_store_dword v0, off, s[56:59], 0 offset:64 ; 4-byte Folded Spill
	v_lshlrev_b32_e32 v0, 16, v15
	v_and_b32_e32 v60, 0xffff0000, v3
	v_lshlrev_b32_e32 v65, 16, v6
	v_and_b32_e32 v66, 0xffff0000, v6
	v_lshlrev_b32_e32 v61, 16, v4
	buffer_store_dword v0, off, s[56:59], 0 offset:68 ; 4-byte Folded Spill
	v_and_b32_e32 v0, 0xffff0000, v15
	v_and_b32_e32 v62, 0xffff0000, v4
	buffer_store_dword v0, off, s[56:59], 0 offset:72 ; 4-byte Folded Spill
	v_lshlrev_b32_e32 v0, 16, v16
	s_waitcnt lgkmcnt(0)
	v_lshlrev_b32_e32 v67, 16, v11
	v_and_b32_e32 v68, 0xffff0000, v11
	buffer_store_dword v0, off, s[56:59], 0 offset:76 ; 4-byte Folded Spill
	v_and_b32_e32 v0, 0xffff0000, v16
	v_lshlrev_b32_e32 v69, 16, v12
	v_and_b32_e32 v70, 0xffff0000, v12
	v_lshlrev_b32_e32 v71, 16, v13
	v_and_b32_e32 v72, 0xffff0000, v13
	buffer_store_dword v0, off, s[56:59], 0 offset:80 ; 4-byte Folded Spill
	v_lshlrev_b32_e32 v0, 16, v17
	v_lshlrev_b32_e32 v73, 16, v14
	v_and_b32_e32 v74, 0xffff0000, v14
	buffer_store_dword v0, off, s[56:59], 0 offset:84 ; 4-byte Folded Spill
	v_and_b32_e32 v0, 0xffff0000, v17
	buffer_store_dword v0, off, s[56:59], 0 offset:88 ; 4-byte Folded Spill
	v_lshlrev_b32_e32 v0, 16, v18
	buffer_store_dword v0, off, s[56:59], 0 offset:92 ; 4-byte Folded Spill
	v_and_b32_e32 v0, 0xffff0000, v18
	ds_read_b128 v[15:18], v2 offset:112
	buffer_store_dword v0, off, s[56:59], 0 offset:96 ; 4-byte Folded Spill
	v_lshlrev_b32_e32 v0, 16, v19
	buffer_store_dword v0, off, s[56:59], 0 offset:100 ; 4-byte Folded Spill
	v_cvt_f32_u32_e32 v0, s46
	v_rcp_iflag_f32_e32 v0, v0
	s_waitcnt lgkmcnt(0)
	v_lshlrev_b32_e32 v75, 16, v15
	v_and_b32_e32 v76, 0xffff0000, v15
	v_lshlrev_b32_e32 v77, 16, v16
	v_and_b32_e32 v79, 0xffff0000, v16
	;; [unrolled: 2-line block ×3, first 2 shown]
	v_mul_f32_e32 v0, 0x4f7ffffe, v0
	v_lshlrev_b32_e32 v82, 16, v18
	v_and_b32_e32 v83, 0xffff0000, v18
	v_cvt_u32_f32_e32 v5, v0
	v_lshlrev_b64 v[0:1], 2, v[9:10]
	v_mul_lo_u32 v3, s4, v5
	s_lshl_b64 s[4:5], s[36:37], 2
	s_add_u32 s4, s34, s4
	s_addc_u32 s5, s35, s5
	v_mul_hi_u32 v6, v5, v3
	v_add_co_u32 v3, vcc_lo, s4, v0
	v_add_co_ci_u32_e64 v4, null, s5, v1, vcc_lo
	buffer_load_dword v1, off, s[56:59], 0  ; 4-byte Folded Reload
	v_cmp_neq_f32_e64 vcc_lo, s42, 0
	s_mov_b32 s4, -1
	v_add_nc_u32_e32 v84, v5, v6
	s_mov_b32 s5, 0xffffff
	s_waitcnt vmcnt(1)
	v_lshl_or_b32 v7, v8, 7, v23
	v_lshl_add_u32 v87, v8, 5, s40
	v_add_nc_u32_e32 v86, 0xa0, v7
	s_waitcnt vmcnt(0)
	v_lshlrev_b32_e32 v0, 4, v1
	v_subrev_nc_u32_e32 v1, s31, v1
	v_add_co_u32 v5, s2, s2, v0
	v_add_co_ci_u32_e64 v6, null, s1, 0, s2
	v_add_nc_u32_e32 v85, 1, v1
	s_branch .LBB372_16
.LBB372_11:                             ;   in Loop: Header=BB372_16 Depth=1
	s_or_b32 exec_lo, exec_lo, s53
	v_lshlrev_b32_sdwa v8, v92, v8 dst_sel:DWORD dst_unused:UNUSED_PAD src0_sel:DWORD src1_sel:BYTE_3
	v_lshlrev_b32_e32 v1, 20, v1
	v_lshl_add_u32 v7, v7, 23, 0x3c000000
	v_and_b32_e32 v8, 0x80000000, v8
	v_or3_b32 v41, v1, v8, v7
.LBB372_12:                             ;   in Loop: Header=BB372_16 Depth=1
	s_or_b32 exec_lo, exec_lo, s52
.LBB372_13:                             ;   in Loop: Header=BB372_16 Depth=1
	s_or_b32 exec_lo, exec_lo, s51
.LBB372_14:                             ;   in Loop: Header=BB372_16 Depth=1
	s_or_b32 exec_lo, exec_lo, s50
	s_waitcnt lgkmcnt(0)
	v_mul_f32_e32 v1, s49, v33
	v_mul_f32_e32 v25, s49, v25
	;; [unrolled: 1-line block ×5, first 2 shown]
	v_bfe_u32 v7, v1, 16, 1
	v_or_b32_e32 v8, 0x400000, v1
	v_cmp_u_f32_e64 s1, v1, v1
	v_mul_f32_e32 v18, s49, v18
	v_mul_f32_e32 v23, s49, v23
	v_add3_u32 v7, v7, v1, 0x7fff
	v_mul_f32_e32 v16, s49, v16
	v_mul_f32_e32 v22, s49, v22
	;; [unrolled: 1-line block ×4, first 2 shown]
	v_cndmask_b32_e64 v1, v7, v8, s1
	v_mul_f32_e32 v7, s49, v34
	v_mul_f32_e32 v106, s49, v106
	;; [unrolled: 1-line block ×5, first 2 shown]
	v_bfe_u32 v8, v7, 16, 1
	v_or_b32_e32 v11, 0x400000, v7
	v_cmp_u_f32_e64 s1, v7, v7
	v_mul_f32_e32 v102, s49, v102
	v_mul_f32_e32 v108, s49, v108
	v_add3_u32 v8, v8, v7, 0x7fff
	v_mul_f32_e32 v99, s49, v99
	v_mul_f32_e32 v98, s49, v98
	;; [unrolled: 1-line block ×4, first 2 shown]
	v_cndmask_b32_e64 v7, v8, v11, s1
	v_mul_f32_e32 v8, s49, v32
	v_mul_f32_e32 v95, s49, v95
	;; [unrolled: 1-line block ×5, first 2 shown]
	v_bfe_u32 v11, v8, 16, 1
	v_or_b32_e32 v12, 0x400000, v8
	v_cmp_u_f32_e64 s1, v8, v8
	v_mul_f32_e32 v36, s49, v36
	v_mul_f32_e32 v35, s49, v35
	v_add3_u32 v11, v11, v8, 0x7fff
	v_mul_f32_e32 v8, s49, v31
	v_mul_f32_e32 v13, s49, v13
	v_and_b32_e32 v7, 0xffff0000, v7
	v_and_b32_e32 v1, 0xffff0000, v1
	v_cndmask_b32_e64 v12, v11, v12, s1
	v_bfe_u32 v11, v8, 16, 1
	v_or_b32_e32 v31, 0x400000, v8
	v_cmp_u_f32_e64 s1, v8, v8
	v_add3_u32 v11, v11, v8, 0x7fff
	v_mul_f32_e32 v8, s49, v29
	v_cndmask_b32_e64 v31, v11, v31, s1
	v_bfe_u32 v11, v8, 16, 1
	v_or_b32_e32 v29, 0x400000, v8
	v_cmp_u_f32_e64 s1, v8, v8
	v_add3_u32 v11, v11, v8, 0x7fff
	v_mul_f32_e32 v8, s49, v30
	;; [unrolled: 6-line block ×4, first 2 shown]
	v_cndmask_b32_e64 v11, v11, v32, s1
	v_bfe_u32 v32, v8, 16, 1
	v_or_b32_e32 v33, 0x400000, v8
	v_cmp_u_f32_e64 s1, v8, v8
	v_add3_u32 v32, v32, v8, 0x7fff
	v_cndmask_b32_e64 v8, v32, v33, s1
	v_bfe_u32 v32, v25, 16, 1
	v_or_b32_e32 v33, 0x400000, v25
	v_cmp_u_f32_e64 s1, v25, v25
	v_add3_u32 v32, v32, v25, 0x7fff
	;; [unrolled: 5-line block ×6, first 2 shown]
	v_mul_f32_e32 v18, s49, v19
	v_cndmask_b32_e64 v32, v32, v33, s1
	v_bfe_u32 v19, v18, 16, 1
	v_or_b32_e32 v33, 0x400000, v18
	v_cmp_u_f32_e64 s1, v18, v18
	v_add3_u32 v19, v19, v18, 0x7fff
	v_mul_f32_e32 v18, s49, v28
	v_cndmask_b32_e64 v33, v19, v33, s1
	v_bfe_u32 v19, v18, 16, 1
	v_or_b32_e32 v28, 0x400000, v18
	v_cmp_u_f32_e64 s1, v18, v18
	v_add3_u32 v19, v19, v18, 0x7fff
	v_cndmask_b32_e64 v18, v19, v28, s1
	v_mul_f32_e32 v19, s49, v27
	v_bfe_u32 v27, v19, 16, 1
	v_or_b32_e32 v28, 0x400000, v19
	v_cmp_u_f32_e64 s1, v19, v19
	v_add3_u32 v27, v27, v19, 0x7fff
	v_cndmask_b32_e64 v19, v27, v28, s1
	v_bfe_u32 v27, v23, 16, 1
	v_or_b32_e32 v28, 0x400000, v23
	v_cmp_u_f32_e64 s1, v23, v23
	v_add3_u32 v27, v27, v23, 0x7fff
	v_cndmask_b32_e64 v23, v27, v28, s1
	;; [unrolled: 5-line block ×3, first 2 shown]
	v_bfe_u32 v27, v22, 16, 1
	v_or_b32_e32 v28, 0x400000, v22
	v_cmp_u_f32_e64 s1, v22, v22
	v_and_b32_e32 v16, 0xffff0000, v16
	v_add3_u32 v27, v27, v22, 0x7fff
	v_cndmask_b32_e64 v22, v27, v28, s1
	v_bfe_u32 v27, v15, 16, 1
	v_or_b32_e32 v28, 0x400000, v15
	v_cmp_u_f32_e64 s1, v15, v15
	v_add3_u32 v27, v27, v15, 0x7fff
	v_mul_f32_e32 v15, s49, v126
	v_cndmask_b32_e64 v27, v27, v28, s1
	v_bfe_u32 v28, v15, 16, 1
	v_or_b32_e32 v34, 0x400000, v15
	v_cmp_u_f32_e64 s1, v15, v15
	v_add3_u32 v28, v28, v15, 0x7fff
	v_mul_f32_e32 v15, s49, v127
	;; [unrolled: 6-line block ×3, first 2 shown]
	v_cndmask_b32_e64 v34, v34, v37, s1
	v_bfe_u32 v17, v15, 16, 1
	v_or_b32_e32 v37, 0x400000, v15
	v_cmp_u_f32_e64 s1, v15, v15
	v_add3_u32 v17, v17, v15, 0x7fff
	v_cndmask_b32_e64 v15, v17, v37, s1
	v_bfe_u32 v17, v0, 16, 1
	v_or_b32_e32 v37, 0x400000, v0
	v_cmp_u_f32_e64 s1, v0, v0
	v_and_b32_e32 v15, 0xffff0000, v15
	v_add3_u32 v17, v17, v0, 0x7fff
	v_cndmask_b32_e64 v0, v17, v37, s1
	v_mul_f32_e32 v17, s49, v123
	v_and_b32_e32 v0, 0xffff0000, v0
	v_bfe_u32 v37, v17, 16, 1
	v_or_b32_e32 v38, 0x400000, v17
	v_cmp_u_f32_e64 s1, v17, v17
	v_add3_u32 v37, v37, v17, 0x7fff
	v_cndmask_b32_e64 v17, v37, v38, s1
	v_mul_f32_e32 v37, s49, v122
	v_and_b32_e32 v17, 0xffff0000, v17
	v_bfe_u32 v38, v37, 16, 1
	v_or_b32_e32 v43, 0x400000, v37
	v_cmp_u_f32_e64 s1, v37, v37
	;; [unrolled: 7-line block ×4, first 2 shown]
	v_add3_u32 v120, v120, v43, 0x7fff
	v_mul_f32_e32 v43, s49, v119
	v_cndmask_b32_e64 v120, v120, v121, s1
	v_bfe_u32 v119, v43, 16, 1
	v_or_b32_e32 v121, 0x400000, v43
	v_cmp_u_f32_e64 s1, v43, v43
	v_add3_u32 v119, v119, v43, 0x7fff
	v_mul_f32_e32 v43, s49, v118
	v_cndmask_b32_e64 v121, v119, v121, s1
	v_bfe_u32 v118, v43, 16, 1
	v_or_b32_e32 v119, 0x400000, v43
	v_cmp_u_f32_e64 s1, v43, v43
	;; [unrolled: 6-line block ×13, first 2 shown]
	v_add3_u32 v107, v107, v43, 0x7fff
	v_cndmask_b32_e64 v43, v107, v116, s1
	v_bfe_u32 v107, v106, 16, 1
	v_or_b32_e32 v116, 0x400000, v106
	v_cmp_u_f32_e64 s1, v106, v106
	v_add3_u32 v107, v107, v106, 0x7fff
	v_cndmask_b32_e64 v106, v107, v116, s1
	v_bfe_u32 v107, v105, 16, 1
	v_or_b32_e32 v116, 0x400000, v105
	v_cmp_u_f32_e64 s1, v105, v105
	;; [unrolled: 5-line block ×5, first 2 shown]
	v_add3_u32 v107, v107, v102, 0x7fff
	v_cndmask_b32_e64 v102, v107, v116, s1
	v_mul_f32_e32 v107, s49, v109
	v_bfe_u32 v109, v107, 16, 1
	v_or_b32_e32 v116, 0x400000, v107
	v_cmp_u_f32_e64 s1, v107, v107
	v_add3_u32 v109, v109, v107, 0x7fff
	v_cndmask_b32_e64 v107, v109, v116, s1
	v_bfe_u32 v109, v108, 16, 1
	v_or_b32_e32 v116, 0x400000, v108
	v_cmp_u_f32_e64 s1, v108, v108
	v_add3_u32 v109, v109, v108, 0x7fff
	v_cndmask_b32_e64 v108, v109, v116, s1
	v_bfe_u32 v109, v99, 16, 1
	v_or_b32_e32 v116, 0x400000, v99
	v_cmp_u_f32_e64 s1, v99, v99
	v_add3_u32 v109, v109, v99, 0x7fff
	v_bfe_u32 v99, v98, 16, 1
	v_cndmask_b32_e64 v109, v109, v116, s1
	v_add3_u32 v99, v99, v98, 0x7fff
	v_or_b32_e32 v116, 0x400000, v98
	v_cmp_u_f32_e64 s1, v98, v98
	v_bfe_u32 v98, v97, 16, 1
	v_cndmask_b32_e64 v116, v99, v116, s1
	v_add3_u32 v98, v98, v97, 0x7fff
	v_or_b32_e32 v99, 0x400000, v97
	v_cmp_u_f32_e64 s1, v97, v97
	;; [unrolled: 5-line block ×3, first 2 shown]
	v_cndmask_b32_e64 v96, v97, v98, s1
	v_bfe_u32 v97, v95, 16, 1
	v_or_b32_e32 v98, 0x400000, v95
	v_cmp_u_f32_e64 s1, v95, v95
	v_add3_u32 v97, v97, v95, 0x7fff
	v_cndmask_b32_e64 v95, v97, v98, s1
	v_bfe_u32 v97, v94, 16, 1
	v_or_b32_e32 v98, 0x400000, v94
	v_cmp_u_f32_e64 s1, v94, v94
	v_add3_u32 v97, v97, v94, 0x7fff
	v_cndmask_b32_e64 v94, v97, v98, s1
	v_mul_f32_e32 v97, s49, v101
	v_bfe_u32 v98, v97, 16, 1
	v_or_b32_e32 v99, 0x400000, v97
	v_cmp_u_f32_e64 s1, v97, v97
	v_add3_u32 v98, v98, v97, 0x7fff
	v_mul_f32_e32 v97, s49, v100
	v_cndmask_b32_e64 v125, v98, v99, s1
	v_bfe_u32 v98, v97, 16, 1
	v_or_b32_e32 v99, 0x400000, v97
	v_cmp_u_f32_e64 s1, v97, v97
	v_add3_u32 v98, v98, v97, 0x7fff
	v_bfe_u32 v97, v39, 16, 1
	v_cndmask_b32_e64 v126, v98, v99, s1
	v_add3_u32 v97, v97, v39, 0x7fff
	v_or_b32_e32 v98, 0x400000, v39
	v_cmp_u_f32_e64 s1, v39, v39
	v_cndmask_b32_e64 v39, v97, v98, s1
	v_bfe_u32 v97, v40, 16, 1
	v_or_b32_e32 v98, 0x400000, v40
	v_cmp_u_f32_e64 s1, v40, v40
	v_add3_u32 v97, v97, v40, 0x7fff
	v_cndmask_b32_e64 v40, v97, v98, s1
	v_bfe_u32 v97, v36, 16, 1
	v_or_b32_e32 v98, 0x400000, v36
	v_cmp_u_f32_e64 s1, v36, v36
	v_add3_u32 v97, v97, v36, 0x7fff
	;; [unrolled: 5-line block ×4, first 2 shown]
	v_mul_f32_e32 v13, s49, v14
	v_cndmask_b32_e64 v97, v97, v98, s1
	v_bfe_u32 v14, v13, 16, 1
	v_or_b32_e32 v98, 0x400000, v13
	v_cmp_u_f32_e64 s1, v13, v13
	v_add3_u32 v14, v14, v13, 0x7fff
	v_mul_f32_e32 v13, s49, v42
	v_cndmask_b32_e64 v101, v14, v98, s1
	v_bfe_u32 v14, v13, 16, 1
	v_or_b32_e32 v42, 0x400000, v13
	v_cmp_u_f32_e64 s1, v13, v13
	v_add3_u32 v14, v14, v13, 0x7fff
	v_cndmask_b32_e64 v13, v14, v42, s1
	v_mul_f32_e32 v14, s49, v41
	v_bfe_u32 v41, v14, 16, 1
	v_or_b32_e32 v42, 0x400000, v14
	v_cmp_u_f32_e64 s1, v14, v14
	v_add3_u32 v41, v41, v14, 0x7fff
	v_cndmask_b32_e64 v14, v41, v42, s1
	v_and_b32_e32 v42, 0xffff0000, v94
	buffer_load_dword v94, off, s[56:59], 0 offset:36 ; 4-byte Folded Reload
	v_and_b32_e32 v41, 0xffff0000, v102
	v_and_b32_e32 v102, 0xffff0000, v126
	s_waitcnt vmcnt(0)
	v_mul_f32_e32 v98, v94, v41
	s_clause 0x1
	buffer_load_dword v41, off, s[56:59], 0 offset:4
	buffer_load_dword v94, off, s[56:59], 0 offset:40
	s_waitcnt vmcnt(1)
	v_fmac_f32_e32 v98, v41, v42
	v_and_b32_e32 v41, 0xffff0000, v103
	v_and_b32_e32 v42, 0xffff0000, v95
	s_waitcnt vmcnt(0)
	v_mul_f32_e32 v100, v94, v41
	s_clause 0x1
	buffer_load_dword v41, off, s[56:59], 0 offset:8
	buffer_load_dword v94, off, s[56:59], 0 offset:44
	s_waitcnt vmcnt(1)
	v_fmac_f32_e32 v100, v41, v42
	;; [unrolled: 9-line block ×5, first 2 shown]
	v_and_b32_e32 v41, 0xffff0000, v43
	buffer_load_dword v43, off, s[56:59], 0 offset:56 ; 4-byte Folded Reload
	v_and_b32_e32 v42, 0xffff0000, v109
	s_waitcnt vmcnt(0)
	v_mul_f32_e32 v41, v43, v41
	buffer_load_dword v43, off, s[56:59], 0 offset:24 ; 4-byte Folded Reload
	s_waitcnt vmcnt(0)
	v_fmac_f32_e32 v41, v43, v42
	v_and_b32_e32 v42, 0xffff0000, v107
	v_and_b32_e32 v43, 0xffff0000, v125
	v_mul_f32_e32 v42, v94, v42
	buffer_load_dword v94, off, s[56:59], 0 offset:28 ; 4-byte Folded Reload
	s_waitcnt vmcnt(0)
	v_fmac_f32_e32 v42, v94, v43
	buffer_load_dword v94, off, s[56:59], 0 offset:64 ; 4-byte Folded Reload
	v_and_b32_e32 v43, 0xffff0000, v108
	s_waitcnt vmcnt(0)
	v_mul_f32_e32 v94, v94, v43
	buffer_load_dword v43, off, s[56:59], 0 offset:32 ; 4-byte Folded Reload
	s_waitcnt vmcnt(0)
	v_fmac_f32_e32 v94, v43, v102
	buffer_load_dword v102, off, s[56:59], 0 offset:68 ; 4-byte Folded Reload
	v_and_b32_e32 v43, 0xffff0000, v124
	s_waitcnt vmcnt(0)
	v_fmac_f32_e32 v98, v102, v43
	buffer_load_dword v102, off, s[56:59], 0 offset:72 ; 4-byte Folded Reload
	v_and_b32_e32 v43, 0xffff0000, v123
	s_waitcnt vmcnt(0)
	v_fmac_f32_e32 v100, v102, v43
	buffer_load_dword v102, off, s[56:59], 0 offset:76 ; 4-byte Folded Reload
	v_and_b32_e32 v43, 0xffff0000, v112
	s_waitcnt vmcnt(0)
	v_fmac_f32_e32 v99, v102, v43
	buffer_load_dword v102, off, s[56:59], 0 offset:80 ; 4-byte Folded Reload
	v_and_b32_e32 v43, 0xffff0000, v113
	s_waitcnt vmcnt(0)
	v_fmac_f32_e32 v96, v102, v43
	buffer_load_dword v102, off, s[56:59], 0 offset:84 ; 4-byte Folded Reload
	v_and_b32_e32 v43, 0xffff0000, v114
	v_fmac_f32_e32 v96, v46, v38
	s_waitcnt vmcnt(0)
	v_fmac_f32_e32 v95, v102, v43
	buffer_load_dword v102, off, s[56:59], 0 offset:88 ; 4-byte Folded Reload
	v_and_b32_e32 v43, 0xffff0000, v115
	v_fmac_f32_e32 v95, v47, v37
	v_fmac_f32_e32 v95, v55, v16
	v_and_b32_e32 v16, 0xffff0000, v23
	s_waitcnt vmcnt(0)
	v_fmac_f32_e32 v41, v102, v43
	buffer_load_dword v102, off, s[56:59], 0 offset:92 ; 4-byte Folded Reload
	v_and_b32_e32 v43, 0xffff0000, v111
	v_fmac_f32_e32 v41, v48, v17
	v_and_b32_e32 v17, 0xffff0000, v119
	v_fmac_f32_e32 v41, v56, v16
	s_waitcnt vmcnt(0)
	v_fmac_f32_e32 v42, v102, v43
	buffer_load_dword v102, off, s[56:59], 0 offset:96 ; 4-byte Folded Reload
	v_and_b32_e32 v43, 0xffff0000, v110
	v_fmac_f32_e32 v42, v49, v17
	v_and_b32_e32 v17, 0xffff0000, v118
	v_fmac_f32_e32 v42, v57, v15
	;; [unrolled: 7-line block ×3, first 2 shown]
	v_and_b32_e32 v0, 0xffff0000, v33
	s_waitcnt vmcnt(0)
	v_fmac_f32_e32 v98, v102, v43
	v_and_b32_e32 v43, 0xffff0000, v121
	v_fmac_f32_e32 v98, v51, v17
	v_fmac_f32_e32 v100, v44, v43
	v_and_b32_e32 v43, 0xffff0000, v120
	v_and_b32_e32 v17, 0xffff0000, v28
	v_fmac_f32_e32 v98, v59, v0
	v_and_b32_e32 v0, 0xffff0000, v32
	v_fmac_f32_e32 v99, v45, v43
	v_fmac_f32_e32 v100, v52, v17
	v_and_b32_e32 v17, 0xffff0000, v27
	v_fmac_f32_e32 v100, v60, v0
	v_fmac_f32_e32 v99, v53, v17
	v_and_b32_e32 v17, 0xffff0000, v22
	v_and_b32_e32 v0, 0xffff0000, v20
	v_fmac_f32_e32 v96, v54, v17
	v_fmac_f32_e32 v99, v61, v0
	v_and_b32_e32 v0, 0xffff0000, v21
	v_fmac_f32_e32 v96, v62, v0
	v_and_b32_e32 v0, 0xffff0000, v26
	;; [unrolled: 2-line block ×3, first 2 shown]
	v_fmac_f32_e32 v95, v71, v7
	v_fmac_f32_e32 v41, v64, v0
	v_and_b32_e32 v0, 0xffff0000, v18
	v_and_b32_e32 v7, 0xffff0000, v36
	v_fmac_f32_e32 v41, v72, v1
	v_fmac_f32_e32 v42, v65, v0
	v_and_b32_e32 v0, 0xffff0000, v19
	v_and_b32_e32 v1, 0xffff0000, v40
	v_fmac_f32_e32 v94, v66, v0
	v_and_b32_e32 v0, 0xffff0000, v30
	v_fmac_f32_e32 v95, v80, v1
	;; [unrolled: 2-line block ×12, first 2 shown]
	v_add_nc_u32_e32 v1, v85, v87
	v_fmac_f32_e32 v96, v70, v0
	v_and_b32_e32 v0, 0xffff0000, v35
	v_cvt_f32_i32_e32 v1, v1
	v_fmac_f32_e32 v96, v79, v7
	v_fmac_f32_e32 v99, v77, v0
	v_add_f32_e32 v0, v98, v100
	v_mul_f32_e32 v1, s42, v1
	v_add_f32_e32 v0, v0, v99
	v_cndmask_b32_e32 v1, 0, v1, vcc_lo
	v_add_f32_e32 v0, v0, v96
	v_add_f32_e32 v0, v0, v95
	;; [unrolled: 1-line block ×5, first 2 shown]
	v_fmac_f32_e32 v1, s3, v0
	buffer_load_dword v0, off, s[56:59], 0  ; 4-byte Folded Reload
	s_waitcnt vmcnt(0)
	v_add_nc_u32_e32 v0, v0, v87
	v_cmp_gt_i32_e64 s1, s31, v0
	v_max_f32_e32 v0, v78, v78
	v_max_f32_e32 v0, v0, v1
	v_cndmask_b32_e64 v1, 0, v1, s1
	v_cndmask_b32_e64 v78, v78, v0, s1
	ds_write_b32 v86, v1
.LBB372_15:                             ;   in Loop: Header=BB372_16 Depth=1
	s_or_b32 exec_lo, exec_lo, s2
	v_add_nc_u32_e32 v93, 4, v93
	v_add_co_u32 v3, s2, v3, 16
	v_add_co_ci_u32_e64 v4, null, 0, v4, s2
	v_cmp_le_i32_e64 s1, s20, v93
	v_add_nc_u32_e32 v87, 0x80, v87
	v_add_nc_u32_e32 v86, 0x200, v86
	s_or_b32 s48, s1, s48
	s_andn2_b32 exec_lo, exec_lo, s48
	s_cbranch_execz .LBB372_496
.LBB372_16:                             ; =>This Inner Loop Header: Depth=1
	v_sub_nc_u32_e32 v0, 0, v87
	v_max_i32_e32 v0, v87, v0
	v_mul_hi_u32 v1, v0, s16
	v_mul_lo_u32 v7, v1, s11
	v_sub_nc_u32_e32 v0, v0, v7
	v_add_nc_u32_e32 v7, 1, v1
	v_subrev_nc_u32_e32 v8, s11, v0
	v_cmp_le_u32_e64 s1, s11, v0
	v_cndmask_b32_e64 v1, v1, v7, s1
	v_cndmask_b32_e64 v0, v0, v8, s1
	v_ashrrev_i32_e32 v7, 31, v87
	v_add_nc_u32_e32 v8, 1, v1
	v_cmp_le_u32_e64 s1, s11, v0
	v_xor_b32_e32 v7, s23, v7
	v_cndmask_b32_e64 v0, v1, v8, s1
	v_xor_b32_e32 v0, v0, v7
	v_sub_nc_u32_e32 v0, v0, v7
	v_add_nc_u32_e32 v1, s19, v0
	v_cmp_ge_i32_e64 s2, s45, v0
	v_sub_nc_u32_e32 v7, 0, v1
	v_max_i32_e32 v7, v1, v7
	v_ashrrev_i32_e32 v1, 31, v1
	v_mul_hi_u32 v8, v7, v84
	v_mul_lo_u32 v8, v8, s46
	v_sub_nc_u32_e32 v7, v7, v8
	v_subrev_nc_u32_e32 v8, s46, v7
	v_cmp_le_u32_e64 s1, s46, v7
	v_cndmask_b32_e64 v7, v7, v8, s1
	v_subrev_nc_u32_e32 v8, s46, v7
	v_cmp_le_u32_e64 s1, s46, v7
	v_cndmask_b32_e64 v7, v7, v8, s1
	v_xor_b32_e32 v7, v7, v1
	v_sub_nc_u32_e32 v1, v7, v1
	v_cmp_ne_u32_e64 s1, 0, v1
	s_and_b32 s1, s1, s2
	s_and_saveexec_b32 s2, s1
	s_xor_b32 s1, exec_lo, s2
; %bb.17:                               ;   in Loop: Header=BB372_16 Depth=1
	v_mov_b32_e32 v0, 0xff7fffff
	ds_write_b32 v86, v0
; %bb.18:                               ;   in Loop: Header=BB372_16 Depth=1
	s_andn2_saveexec_b32 s2, s1
	s_cbranch_execz .LBB372_15
; %bb.19:                               ;   in Loop: Header=BB372_16 Depth=1
	global_load_dword v0, v[3:4], off
	s_load_dword s49, s[12:13], 0x0
	v_mov_b32_e32 v95, 0
	v_mov_b32_e32 v94, 0
	s_waitcnt vmcnt(0)
	v_mad_i64_i32 v[7:8], null, v0, s47, v[5:6]
	global_load_dwordx2 v[11:12], v[7:8], off
	s_waitcnt vmcnt(0)
	v_cmp_ne_u16_sdwa s1, v11, v2 src0_sel:BYTE_0 src1_sel:DWORD
	s_and_saveexec_b32 s50, s1
	s_cbranch_execz .LBB372_25
; %bb.20:                               ;   in Loop: Header=BB372_16 Depth=1
	v_cmp_ne_u16_sdwa s1, v11, v88 src0_sel:BYTE_0 src1_sel:DWORD
	v_bfrev_b32_e32 v94, 1
	s_and_saveexec_b32 s51, s1
	s_cbranch_execz .LBB372_24
; %bb.21:                               ;   in Loop: Header=BB372_16 Depth=1
	v_and_b32_e32 v0, 0x7f, v11
	v_mov_b32_e32 v94, 0x7f800001
	s_mov_b32 s52, exec_lo
	v_cmpx_ne_u32_e32 0x7f, v0
	s_cbranch_execz .LBB372_23
; %bb.22:                               ;   in Loop: Header=BB372_16 Depth=1
	v_and_b32_e32 v1, 7, v11
	v_cmp_gt_u32_e64 s1, 8, v0
	v_lshrrev_b32_e32 v13, 3, v0
	v_ffbh_u32_e32 v1, v1
	v_min_u32_e32 v1, 32, v1
	v_subrev_nc_u32_e32 v14, 28, v1
	v_sub_nc_u32_e32 v1, 29, v1
	v_cndmask_b32_e64 v0, 0, v14, s1
	v_cndmask_b32_e64 v13, v13, v1, s1
	v_lshlrev_b64 v[0:1], v0, v[11:12]
	v_lshlrev_b32_e32 v1, 24, v11
	v_lshl_add_u32 v13, v13, 23, 0x3c000000
	v_lshlrev_b32_e32 v0, 20, v0
	v_and_b32_e32 v1, 0x80000000, v1
	v_and_b32_e32 v0, 0x700000, v0
	v_or3_b32 v94, v0, v1, v13
.LBB372_23:                             ;   in Loop: Header=BB372_16 Depth=1
	s_or_b32 exec_lo, exec_lo, s52
.LBB372_24:                             ;   in Loop: Header=BB372_16 Depth=1
	s_or_b32 exec_lo, exec_lo, s51
.LBB372_25:                             ;   in Loop: Header=BB372_16 Depth=1
	s_or_b32 exec_lo, exec_lo, s50
	v_cmp_ne_u16_sdwa s1, v11, v2 src0_sel:BYTE_1 src1_sel:DWORD
	s_and_saveexec_b32 s50, s1
	s_cbranch_execz .LBB372_33
; %bb.26:                               ;   in Loop: Header=BB372_16 Depth=1
	v_cmp_ne_u16_sdwa s1, v11, v88 src0_sel:BYTE_1 src1_sel:DWORD
	v_bfrev_b32_e32 v95, 1
	s_and_saveexec_b32 s51, s1
	s_cbranch_execz .LBB372_32
; %bb.27:                               ;   in Loop: Header=BB372_16 Depth=1
	v_and_b32_sdwa v0, v89, v11 dst_sel:DWORD dst_unused:UNUSED_PAD src0_sel:DWORD src1_sel:BYTE_1
	v_mov_b32_e32 v95, 0x7f800001
	s_mov_b32 s52, exec_lo
	v_and_b32_e32 v13, 0x7f, v0
	v_cmpx_ne_u32_e32 0x7f, v13
	s_cbranch_execz .LBB372_31
; %bb.28:                               ;   in Loop: Header=BB372_16 Depth=1
	v_and_b32_e32 v1, 7, v0
	v_lshrrev_b32_e32 v0, 3, v13
	s_mov_b32 s53, exec_lo
	v_cmpx_gt_u32_e32 8, v13
; %bb.29:                               ;   in Loop: Header=BB372_16 Depth=1
	v_ffbh_u32_e32 v0, v1
	v_min_u32_e32 v0, 32, v0
	v_subrev_nc_u32_e32 v13, 28, v0
	v_sub_nc_u32_e32 v0, 29, v0
	v_lshlrev_b64 v[13:14], v13, v[1:2]
	v_and_b32_e32 v1, 7, v13
; %bb.30:                               ;   in Loop: Header=BB372_16 Depth=1
	s_or_b32 exec_lo, exec_lo, s53
	v_lshlrev_b32_e32 v13, 16, v11
	v_lshlrev_b32_e32 v1, 20, v1
	v_lshl_add_u32 v0, v0, 23, 0x3c000000
	v_and_b32_e32 v13, 0x80000000, v13
	v_or3_b32 v95, v1, v13, v0
.LBB372_31:                             ;   in Loop: Header=BB372_16 Depth=1
	s_or_b32 exec_lo, exec_lo, s52
.LBB372_32:                             ;   in Loop: Header=BB372_16 Depth=1
	s_or_b32 exec_lo, exec_lo, s51
.LBB372_33:                             ;   in Loop: Header=BB372_16 Depth=1
	s_or_b32 exec_lo, exec_lo, s50
	v_and_b32_sdwa v0, v11, v90 dst_sel:DWORD dst_unused:UNUSED_PAD src0_sel:WORD_1 src1_sel:DWORD
	v_mov_b32_e32 v97, 0
	v_mov_b32_e32 v96, 0
	s_mov_b32 s50, exec_lo
	v_cmpx_ne_u16_e32 0, v0
	s_cbranch_execz .LBB372_41
; %bb.34:                               ;   in Loop: Header=BB372_16 Depth=1
	v_bfrev_b32_e32 v96, 1
	s_mov_b32 s51, exec_lo
	v_cmpx_ne_u16_e32 0x80, v0
	s_cbranch_execz .LBB372_40
; %bb.35:                               ;   in Loop: Header=BB372_16 Depth=1
	v_bfe_u32 v13, v11, 16, 7
	v_mov_b32_e32 v96, 0x7f800001
	s_mov_b32 s52, exec_lo
	v_cmpx_ne_u32_e32 0x7f, v13
	s_cbranch_execz .LBB372_39
; %bb.36:                               ;   in Loop: Header=BB372_16 Depth=1
	v_and_b32_sdwa v1, v11, v91 dst_sel:DWORD dst_unused:UNUSED_PAD src0_sel:WORD_1 src1_sel:DWORD
	v_lshrrev_b32_e32 v0, 3, v13
	s_mov_b32 s53, exec_lo
	v_cmpx_gt_u32_e32 8, v13
; %bb.37:                               ;   in Loop: Header=BB372_16 Depth=1
	v_ffbh_u32_e32 v0, v1
	v_min_u32_e32 v0, 32, v0
	v_subrev_nc_u32_e32 v13, 28, v0
	v_sub_nc_u32_e32 v0, 29, v0
	v_lshlrev_b64 v[13:14], v13, v[1:2]
	v_and_b32_e32 v1, 7, v13
; %bb.38:                               ;   in Loop: Header=BB372_16 Depth=1
	s_or_b32 exec_lo, exec_lo, s53
	v_lshlrev_b32_sdwa v13, v92, v11 dst_sel:DWORD dst_unused:UNUSED_PAD src0_sel:DWORD src1_sel:WORD_1
	v_lshlrev_b32_e32 v1, 20, v1
	v_lshl_add_u32 v0, v0, 23, 0x3c000000
	v_and_b32_e32 v13, 0x80000000, v13
	v_or3_b32 v96, v1, v13, v0
.LBB372_39:                             ;   in Loop: Header=BB372_16 Depth=1
	s_or_b32 exec_lo, exec_lo, s52
.LBB372_40:                             ;   in Loop: Header=BB372_16 Depth=1
	s_or_b32 exec_lo, exec_lo, s51
.LBB372_41:                             ;   in Loop: Header=BB372_16 Depth=1
	s_or_b32 exec_lo, exec_lo, s50
	s_mov_b32 s50, exec_lo
	v_cmpx_lt_u32_e32 0xffffff, v11
	s_cbranch_execz .LBB372_49
; %bb.42:                               ;   in Loop: Header=BB372_16 Depth=1
	v_cmp_ne_u32_sdwa s1, v11, v88 src0_sel:BYTE_3 src1_sel:DWORD
	v_bfrev_b32_e32 v97, 1
	s_and_saveexec_b32 s51, s1
	s_cbranch_execz .LBB372_48
; %bb.43:                               ;   in Loop: Header=BB372_16 Depth=1
	v_bfe_u32 v13, v11, 24, 7
	v_mov_b32_e32 v97, 0x7f800001
	s_mov_b32 s52, exec_lo
	v_cmpx_ne_u32_e32 0x7f, v13
	s_cbranch_execz .LBB372_47
; %bb.44:                               ;   in Loop: Header=BB372_16 Depth=1
	v_and_b32_sdwa v1, v11, v91 dst_sel:DWORD dst_unused:UNUSED_PAD src0_sel:BYTE_3 src1_sel:DWORD
	v_lshrrev_b32_e32 v0, 3, v13
	s_mov_b32 s53, exec_lo
	v_cmpx_gt_u32_e32 8, v13
; %bb.45:                               ;   in Loop: Header=BB372_16 Depth=1
	v_ffbh_u32_e32 v0, v1
	v_min_u32_e32 v0, 32, v0
	v_subrev_nc_u32_e32 v13, 28, v0
	v_sub_nc_u32_e32 v0, 29, v0
	v_lshlrev_b64 v[13:14], v13, v[1:2]
	v_and_b32_e32 v1, 7, v13
; %bb.46:                               ;   in Loop: Header=BB372_16 Depth=1
	s_or_b32 exec_lo, exec_lo, s53
	v_lshlrev_b32_sdwa v13, v92, v11 dst_sel:DWORD dst_unused:UNUSED_PAD src0_sel:DWORD src1_sel:BYTE_3
	v_lshlrev_b32_e32 v1, 20, v1
	v_lshl_add_u32 v0, v0, 23, 0x3c000000
	v_and_b32_e32 v13, 0x80000000, v13
	v_or3_b32 v97, v1, v13, v0
.LBB372_47:                             ;   in Loop: Header=BB372_16 Depth=1
	s_or_b32 exec_lo, exec_lo, s52
.LBB372_48:                             ;   in Loop: Header=BB372_16 Depth=1
	s_or_b32 exec_lo, exec_lo, s51
.LBB372_49:                             ;   in Loop: Header=BB372_16 Depth=1
	s_or_b32 exec_lo, exec_lo, s50
	v_mov_b32_e32 v1, v12
	v_cmp_ne_u16_sdwa s1, v12, v2 src0_sel:BYTE_0 src1_sel:DWORD
	v_mov_b32_e32 v99, 0
	v_mov_b32_e32 v98, 0
	s_and_saveexec_b32 s50, s1
	s_cbranch_execz .LBB372_55
; %bb.50:                               ;   in Loop: Header=BB372_16 Depth=1
	v_cmp_ne_u16_sdwa s1, v12, v88 src0_sel:BYTE_0 src1_sel:DWORD
	v_bfrev_b32_e32 v98, 1
	s_and_saveexec_b32 s51, s1
	s_cbranch_execz .LBB372_54
; %bb.51:                               ;   in Loop: Header=BB372_16 Depth=1
	v_and_b32_e32 v0, 0x7f, v12
	v_mov_b32_e32 v98, 0x7f800001
	s_mov_b32 s52, exec_lo
	v_cmpx_ne_u32_e32 0x7f, v0
	s_cbranch_execz .LBB372_53
; %bb.52:                               ;   in Loop: Header=BB372_16 Depth=1
	v_and_b32_e32 v13, 7, v12
	v_lshrrev_b32_e32 v14, 3, v0
	v_cmp_gt_u32_e64 s1, 8, v0
	v_ffbh_u32_e32 v13, v13
	v_min_u32_e32 v13, 32, v13
	v_subrev_nc_u32_e32 v15, 28, v13
	v_sub_nc_u32_e32 v13, 29, v13
	v_cndmask_b32_e64 v0, v14, v13, s1
	v_cndmask_b32_e64 v13, 0, v15, s1
	v_lshl_add_u32 v0, v0, 23, 0x3c000000
	v_lshlrev_b64 v[13:14], v13, v[1:2]
	v_lshlrev_b32_e32 v14, 24, v1
	v_lshlrev_b32_e32 v13, 20, v13
	v_and_b32_e32 v14, 0x80000000, v14
	v_and_b32_e32 v13, 0x700000, v13
	v_or3_b32 v98, v13, v14, v0
.LBB372_53:                             ;   in Loop: Header=BB372_16 Depth=1
	s_or_b32 exec_lo, exec_lo, s52
.LBB372_54:                             ;   in Loop: Header=BB372_16 Depth=1
	s_or_b32 exec_lo, exec_lo, s51
.LBB372_55:                             ;   in Loop: Header=BB372_16 Depth=1
	s_or_b32 exec_lo, exec_lo, s50
	v_cmp_ne_u16_sdwa s1, v1, v2 src0_sel:BYTE_1 src1_sel:DWORD
	s_and_saveexec_b32 s50, s1
	s_cbranch_execz .LBB372_63
; %bb.56:                               ;   in Loop: Header=BB372_16 Depth=1
	v_cmp_ne_u16_sdwa s1, v1, v88 src0_sel:BYTE_1 src1_sel:DWORD
	v_bfrev_b32_e32 v99, 1
	s_and_saveexec_b32 s51, s1
	s_cbranch_execz .LBB372_62
; %bb.57:                               ;   in Loop: Header=BB372_16 Depth=1
	v_and_b32_sdwa v0, v89, v1 dst_sel:DWORD dst_unused:UNUSED_PAD src0_sel:DWORD src1_sel:BYTE_1
	v_mov_b32_e32 v99, 0x7f800001
	s_mov_b32 s52, exec_lo
	v_and_b32_e32 v15, 0x7f, v0
	v_cmpx_ne_u32_e32 0x7f, v15
	s_cbranch_execz .LBB372_61
; %bb.58:                               ;   in Loop: Header=BB372_16 Depth=1
	v_and_b32_e32 v13, 7, v0
	v_mov_b32_e32 v14, v2
	v_lshrrev_b32_e32 v0, 3, v15
	s_mov_b32 s53, exec_lo
	v_cmpx_gt_u32_e32 8, v15
; %bb.59:                               ;   in Loop: Header=BB372_16 Depth=1
	v_ffbh_u32_e32 v0, v13
	v_min_u32_e32 v0, 32, v0
	v_subrev_nc_u32_e32 v15, 28, v0
	v_sub_nc_u32_e32 v0, 29, v0
	v_lshlrev_b64 v[13:14], v15, v[13:14]
	v_and_b32_e32 v13, 7, v13
; %bb.60:                               ;   in Loop: Header=BB372_16 Depth=1
	s_or_b32 exec_lo, exec_lo, s53
	v_lshlrev_b32_e32 v1, 16, v1
	v_lshlrev_b32_e32 v13, 20, v13
	v_lshl_add_u32 v0, v0, 23, 0x3c000000
	v_and_b32_e32 v1, 0x80000000, v1
	v_or3_b32 v99, v13, v1, v0
.LBB372_61:                             ;   in Loop: Header=BB372_16 Depth=1
	s_or_b32 exec_lo, exec_lo, s52
.LBB372_62:                             ;   in Loop: Header=BB372_16 Depth=1
	s_or_b32 exec_lo, exec_lo, s51
.LBB372_63:                             ;   in Loop: Header=BB372_16 Depth=1
	s_or_b32 exec_lo, exec_lo, s50
	v_and_b32_sdwa v0, v12, v90 dst_sel:DWORD dst_unused:UNUSED_PAD src0_sel:WORD_1 src1_sel:DWORD
	v_mov_b32_e32 v100, 0
	v_mov_b32_e32 v101, 0
	s_mov_b32 s50, exec_lo
	v_cmpx_ne_u16_e32 0, v0
	s_cbranch_execz .LBB372_71
; %bb.64:                               ;   in Loop: Header=BB372_16 Depth=1
	v_bfrev_b32_e32 v101, 1
	s_mov_b32 s51, exec_lo
	v_cmpx_ne_u16_e32 0x80, v0
	s_cbranch_execz .LBB372_70
; %bb.65:                               ;   in Loop: Header=BB372_16 Depth=1
	v_bfe_u32 v13, v12, 16, 7
	v_mov_b32_e32 v101, 0x7f800001
	s_mov_b32 s52, exec_lo
	v_cmpx_ne_u32_e32 0x7f, v13
	s_cbranch_execz .LBB372_69
; %bb.66:                               ;   in Loop: Header=BB372_16 Depth=1
	v_and_b32_sdwa v1, v12, v91 dst_sel:DWORD dst_unused:UNUSED_PAD src0_sel:WORD_1 src1_sel:DWORD
	v_lshrrev_b32_e32 v0, 3, v13
	s_mov_b32 s53, exec_lo
	v_cmpx_gt_u32_e32 8, v13
; %bb.67:                               ;   in Loop: Header=BB372_16 Depth=1
	v_ffbh_u32_e32 v0, v1
	v_min_u32_e32 v0, 32, v0
	v_subrev_nc_u32_e32 v13, 28, v0
	v_sub_nc_u32_e32 v0, 29, v0
	v_lshlrev_b64 v[13:14], v13, v[1:2]
	v_and_b32_e32 v1, 7, v13
; %bb.68:                               ;   in Loop: Header=BB372_16 Depth=1
	s_or_b32 exec_lo, exec_lo, s53
	v_lshlrev_b32_sdwa v13, v92, v12 dst_sel:DWORD dst_unused:UNUSED_PAD src0_sel:DWORD src1_sel:WORD_1
	v_lshlrev_b32_e32 v1, 20, v1
	v_lshl_add_u32 v0, v0, 23, 0x3c000000
	v_and_b32_e32 v13, 0x80000000, v13
	v_or3_b32 v101, v1, v13, v0
.LBB372_69:                             ;   in Loop: Header=BB372_16 Depth=1
	s_or_b32 exec_lo, exec_lo, s52
.LBB372_70:                             ;   in Loop: Header=BB372_16 Depth=1
	s_or_b32 exec_lo, exec_lo, s51
.LBB372_71:                             ;   in Loop: Header=BB372_16 Depth=1
	s_or_b32 exec_lo, exec_lo, s50
	s_mov_b32 s50, exec_lo
	v_cmpx_lt_u64_e64 s[4:5], v[11:12]
	s_cbranch_execz .LBB372_79
; %bb.72:                               ;   in Loop: Header=BB372_16 Depth=1
	v_cmp_ne_u32_sdwa s1, v12, v88 src0_sel:BYTE_3 src1_sel:DWORD
	v_bfrev_b32_e32 v100, 1
	s_and_saveexec_b32 s51, s1
	s_cbranch_execz .LBB372_78
; %bb.73:                               ;   in Loop: Header=BB372_16 Depth=1
	v_bfe_u32 v11, v12, 24, 7
	v_mov_b32_e32 v100, 0x7f800001
	s_mov_b32 s52, exec_lo
	v_cmpx_ne_u32_e32 0x7f, v11
	s_cbranch_execz .LBB372_77
; %bb.74:                               ;   in Loop: Header=BB372_16 Depth=1
	v_and_b32_sdwa v1, v12, v91 dst_sel:DWORD dst_unused:UNUSED_PAD src0_sel:BYTE_3 src1_sel:DWORD
	v_lshrrev_b32_e32 v0, 3, v11
	s_mov_b32 s53, exec_lo
	v_cmpx_gt_u32_e32 8, v11
; %bb.75:                               ;   in Loop: Header=BB372_16 Depth=1
	v_ffbh_u32_e32 v0, v1
	v_min_u32_e32 v0, 32, v0
	v_subrev_nc_u32_e32 v11, 28, v0
	v_sub_nc_u32_e32 v0, 29, v0
	v_lshlrev_b64 v[13:14], v11, v[1:2]
	v_and_b32_e32 v1, 7, v13
; %bb.76:                               ;   in Loop: Header=BB372_16 Depth=1
	s_or_b32 exec_lo, exec_lo, s53
	v_lshlrev_b32_sdwa v11, v92, v12 dst_sel:DWORD dst_unused:UNUSED_PAD src0_sel:DWORD src1_sel:BYTE_3
	v_lshlrev_b32_e32 v1, 20, v1
	v_lshl_add_u32 v0, v0, 23, 0x3c000000
	v_and_b32_e32 v11, 0x80000000, v11
	v_or3_b32 v100, v1, v11, v0
.LBB372_77:                             ;   in Loop: Header=BB372_16 Depth=1
	s_or_b32 exec_lo, exec_lo, s52
.LBB372_78:                             ;   in Loop: Header=BB372_16 Depth=1
	s_or_b32 exec_lo, exec_lo, s51
.LBB372_79:                             ;   in Loop: Header=BB372_16 Depth=1
	s_or_b32 exec_lo, exec_lo, s50
	global_load_dwordx2 v[11:12], v[7:8], off offset:8
	v_mov_b32_e32 v103, 0
	v_mov_b32_e32 v102, 0
	s_waitcnt vmcnt(0)
	v_cmp_ne_u16_sdwa s1, v11, v2 src0_sel:BYTE_0 src1_sel:DWORD
	s_and_saveexec_b32 s50, s1
	s_cbranch_execz .LBB372_85
; %bb.80:                               ;   in Loop: Header=BB372_16 Depth=1
	v_cmp_ne_u16_sdwa s1, v11, v88 src0_sel:BYTE_0 src1_sel:DWORD
	v_bfrev_b32_e32 v102, 1
	s_and_saveexec_b32 s51, s1
	s_cbranch_execz .LBB372_84
; %bb.81:                               ;   in Loop: Header=BB372_16 Depth=1
	v_and_b32_e32 v0, 0x7f, v11
	v_mov_b32_e32 v102, 0x7f800001
	s_mov_b32 s52, exec_lo
	v_cmpx_ne_u32_e32 0x7f, v0
	s_cbranch_execz .LBB372_83
; %bb.82:                               ;   in Loop: Header=BB372_16 Depth=1
	v_and_b32_e32 v1, 7, v11
	v_cmp_gt_u32_e64 s1, 8, v0
	v_lshrrev_b32_e32 v13, 3, v0
	v_ffbh_u32_e32 v1, v1
	v_min_u32_e32 v1, 32, v1
	v_subrev_nc_u32_e32 v14, 28, v1
	v_sub_nc_u32_e32 v1, 29, v1
	v_cndmask_b32_e64 v0, 0, v14, s1
	v_cndmask_b32_e64 v13, v13, v1, s1
	v_lshlrev_b64 v[0:1], v0, v[11:12]
	v_lshlrev_b32_e32 v1, 24, v11
	v_lshl_add_u32 v13, v13, 23, 0x3c000000
	v_lshlrev_b32_e32 v0, 20, v0
	v_and_b32_e32 v1, 0x80000000, v1
	v_and_b32_e32 v0, 0x700000, v0
	v_or3_b32 v102, v0, v1, v13
.LBB372_83:                             ;   in Loop: Header=BB372_16 Depth=1
	s_or_b32 exec_lo, exec_lo, s52
.LBB372_84:                             ;   in Loop: Header=BB372_16 Depth=1
	s_or_b32 exec_lo, exec_lo, s51
.LBB372_85:                             ;   in Loop: Header=BB372_16 Depth=1
	s_or_b32 exec_lo, exec_lo, s50
	v_cmp_ne_u16_sdwa s1, v11, v2 src0_sel:BYTE_1 src1_sel:DWORD
	s_and_saveexec_b32 s50, s1
	s_cbranch_execz .LBB372_93
; %bb.86:                               ;   in Loop: Header=BB372_16 Depth=1
	v_cmp_ne_u16_sdwa s1, v11, v88 src0_sel:BYTE_1 src1_sel:DWORD
	v_bfrev_b32_e32 v103, 1
	s_and_saveexec_b32 s51, s1
	s_cbranch_execz .LBB372_92
; %bb.87:                               ;   in Loop: Header=BB372_16 Depth=1
	v_and_b32_sdwa v0, v89, v11 dst_sel:DWORD dst_unused:UNUSED_PAD src0_sel:DWORD src1_sel:BYTE_1
	v_mov_b32_e32 v103, 0x7f800001
	s_mov_b32 s52, exec_lo
	v_and_b32_e32 v13, 0x7f, v0
	v_cmpx_ne_u32_e32 0x7f, v13
	s_cbranch_execz .LBB372_91
; %bb.88:                               ;   in Loop: Header=BB372_16 Depth=1
	v_and_b32_e32 v1, 7, v0
	v_lshrrev_b32_e32 v0, 3, v13
	s_mov_b32 s53, exec_lo
	v_cmpx_gt_u32_e32 8, v13
; %bb.89:                               ;   in Loop: Header=BB372_16 Depth=1
	v_ffbh_u32_e32 v0, v1
	v_min_u32_e32 v0, 32, v0
	v_subrev_nc_u32_e32 v13, 28, v0
	v_sub_nc_u32_e32 v0, 29, v0
	v_lshlrev_b64 v[13:14], v13, v[1:2]
	v_and_b32_e32 v1, 7, v13
; %bb.90:                               ;   in Loop: Header=BB372_16 Depth=1
	s_or_b32 exec_lo, exec_lo, s53
	v_lshlrev_b32_e32 v13, 16, v11
	v_lshlrev_b32_e32 v1, 20, v1
	v_lshl_add_u32 v0, v0, 23, 0x3c000000
	v_and_b32_e32 v13, 0x80000000, v13
	v_or3_b32 v103, v1, v13, v0
.LBB372_91:                             ;   in Loop: Header=BB372_16 Depth=1
	s_or_b32 exec_lo, exec_lo, s52
.LBB372_92:                             ;   in Loop: Header=BB372_16 Depth=1
	s_or_b32 exec_lo, exec_lo, s51
.LBB372_93:                             ;   in Loop: Header=BB372_16 Depth=1
	s_or_b32 exec_lo, exec_lo, s50
	v_and_b32_sdwa v0, v11, v90 dst_sel:DWORD dst_unused:UNUSED_PAD src0_sel:WORD_1 src1_sel:DWORD
	v_mov_b32_e32 v105, 0
	v_mov_b32_e32 v104, 0
	s_mov_b32 s50, exec_lo
	v_cmpx_ne_u16_e32 0, v0
	s_cbranch_execz .LBB372_101
; %bb.94:                               ;   in Loop: Header=BB372_16 Depth=1
	v_bfrev_b32_e32 v104, 1
	s_mov_b32 s51, exec_lo
	v_cmpx_ne_u16_e32 0x80, v0
	s_cbranch_execz .LBB372_100
; %bb.95:                               ;   in Loop: Header=BB372_16 Depth=1
	v_bfe_u32 v13, v11, 16, 7
	v_mov_b32_e32 v104, 0x7f800001
	s_mov_b32 s52, exec_lo
	v_cmpx_ne_u32_e32 0x7f, v13
	s_cbranch_execz .LBB372_99
; %bb.96:                               ;   in Loop: Header=BB372_16 Depth=1
	v_and_b32_sdwa v1, v11, v91 dst_sel:DWORD dst_unused:UNUSED_PAD src0_sel:WORD_1 src1_sel:DWORD
	v_lshrrev_b32_e32 v0, 3, v13
	s_mov_b32 s53, exec_lo
	v_cmpx_gt_u32_e32 8, v13
; %bb.97:                               ;   in Loop: Header=BB372_16 Depth=1
	v_ffbh_u32_e32 v0, v1
	v_min_u32_e32 v0, 32, v0
	v_subrev_nc_u32_e32 v13, 28, v0
	v_sub_nc_u32_e32 v0, 29, v0
	v_lshlrev_b64 v[13:14], v13, v[1:2]
	v_and_b32_e32 v1, 7, v13
; %bb.98:                               ;   in Loop: Header=BB372_16 Depth=1
	s_or_b32 exec_lo, exec_lo, s53
	v_lshlrev_b32_sdwa v13, v92, v11 dst_sel:DWORD dst_unused:UNUSED_PAD src0_sel:DWORD src1_sel:WORD_1
	v_lshlrev_b32_e32 v1, 20, v1
	v_lshl_add_u32 v0, v0, 23, 0x3c000000
	v_and_b32_e32 v13, 0x80000000, v13
	v_or3_b32 v104, v1, v13, v0
.LBB372_99:                             ;   in Loop: Header=BB372_16 Depth=1
	s_or_b32 exec_lo, exec_lo, s52
.LBB372_100:                            ;   in Loop: Header=BB372_16 Depth=1
	s_or_b32 exec_lo, exec_lo, s51
.LBB372_101:                            ;   in Loop: Header=BB372_16 Depth=1
	s_or_b32 exec_lo, exec_lo, s50
	s_mov_b32 s50, exec_lo
	v_cmpx_lt_u32_e32 0xffffff, v11
	s_cbranch_execz .LBB372_109
; %bb.102:                              ;   in Loop: Header=BB372_16 Depth=1
	v_cmp_ne_u32_sdwa s1, v11, v88 src0_sel:BYTE_3 src1_sel:DWORD
	v_bfrev_b32_e32 v105, 1
	s_and_saveexec_b32 s51, s1
	s_cbranch_execz .LBB372_108
; %bb.103:                              ;   in Loop: Header=BB372_16 Depth=1
	v_bfe_u32 v13, v11, 24, 7
	v_mov_b32_e32 v105, 0x7f800001
	s_mov_b32 s52, exec_lo
	v_cmpx_ne_u32_e32 0x7f, v13
	s_cbranch_execz .LBB372_107
; %bb.104:                              ;   in Loop: Header=BB372_16 Depth=1
	v_and_b32_sdwa v1, v11, v91 dst_sel:DWORD dst_unused:UNUSED_PAD src0_sel:BYTE_3 src1_sel:DWORD
	v_lshrrev_b32_e32 v0, 3, v13
	s_mov_b32 s53, exec_lo
	v_cmpx_gt_u32_e32 8, v13
; %bb.105:                              ;   in Loop: Header=BB372_16 Depth=1
	v_ffbh_u32_e32 v0, v1
	v_min_u32_e32 v0, 32, v0
	v_subrev_nc_u32_e32 v13, 28, v0
	v_sub_nc_u32_e32 v0, 29, v0
	v_lshlrev_b64 v[13:14], v13, v[1:2]
	v_and_b32_e32 v1, 7, v13
; %bb.106:                              ;   in Loop: Header=BB372_16 Depth=1
	s_or_b32 exec_lo, exec_lo, s53
	v_lshlrev_b32_sdwa v13, v92, v11 dst_sel:DWORD dst_unused:UNUSED_PAD src0_sel:DWORD src1_sel:BYTE_3
	v_lshlrev_b32_e32 v1, 20, v1
	v_lshl_add_u32 v0, v0, 23, 0x3c000000
	v_and_b32_e32 v13, 0x80000000, v13
	v_or3_b32 v105, v1, v13, v0
.LBB372_107:                            ;   in Loop: Header=BB372_16 Depth=1
	s_or_b32 exec_lo, exec_lo, s52
.LBB372_108:                            ;   in Loop: Header=BB372_16 Depth=1
	s_or_b32 exec_lo, exec_lo, s51
.LBB372_109:                            ;   in Loop: Header=BB372_16 Depth=1
	s_or_b32 exec_lo, exec_lo, s50
	v_mov_b32_e32 v1, v12
	v_cmp_ne_u16_sdwa s1, v12, v2 src0_sel:BYTE_0 src1_sel:DWORD
	v_mov_b32_e32 v107, 0
	v_mov_b32_e32 v106, 0
	s_and_saveexec_b32 s50, s1
	s_cbranch_execz .LBB372_115
; %bb.110:                              ;   in Loop: Header=BB372_16 Depth=1
	v_cmp_ne_u16_sdwa s1, v12, v88 src0_sel:BYTE_0 src1_sel:DWORD
	v_bfrev_b32_e32 v106, 1
	s_and_saveexec_b32 s51, s1
	s_cbranch_execz .LBB372_114
; %bb.111:                              ;   in Loop: Header=BB372_16 Depth=1
	v_and_b32_e32 v0, 0x7f, v12
	v_mov_b32_e32 v106, 0x7f800001
	s_mov_b32 s52, exec_lo
	v_cmpx_ne_u32_e32 0x7f, v0
	s_cbranch_execz .LBB372_113
; %bb.112:                              ;   in Loop: Header=BB372_16 Depth=1
	v_and_b32_e32 v13, 7, v12
	v_lshrrev_b32_e32 v14, 3, v0
	v_cmp_gt_u32_e64 s1, 8, v0
	v_ffbh_u32_e32 v13, v13
	v_min_u32_e32 v13, 32, v13
	v_subrev_nc_u32_e32 v15, 28, v13
	v_sub_nc_u32_e32 v13, 29, v13
	v_cndmask_b32_e64 v0, v14, v13, s1
	v_cndmask_b32_e64 v13, 0, v15, s1
	v_lshl_add_u32 v0, v0, 23, 0x3c000000
	v_lshlrev_b64 v[13:14], v13, v[1:2]
	v_lshlrev_b32_e32 v14, 24, v1
	v_lshlrev_b32_e32 v13, 20, v13
	v_and_b32_e32 v14, 0x80000000, v14
	v_and_b32_e32 v13, 0x700000, v13
	v_or3_b32 v106, v13, v14, v0
.LBB372_113:                            ;   in Loop: Header=BB372_16 Depth=1
	s_or_b32 exec_lo, exec_lo, s52
.LBB372_114:                            ;   in Loop: Header=BB372_16 Depth=1
	s_or_b32 exec_lo, exec_lo, s51
.LBB372_115:                            ;   in Loop: Header=BB372_16 Depth=1
	s_or_b32 exec_lo, exec_lo, s50
	v_cmp_ne_u16_sdwa s1, v1, v2 src0_sel:BYTE_1 src1_sel:DWORD
	s_and_saveexec_b32 s50, s1
	s_cbranch_execz .LBB372_123
; %bb.116:                              ;   in Loop: Header=BB372_16 Depth=1
	v_cmp_ne_u16_sdwa s1, v1, v88 src0_sel:BYTE_1 src1_sel:DWORD
	v_bfrev_b32_e32 v107, 1
	s_and_saveexec_b32 s51, s1
	s_cbranch_execz .LBB372_122
; %bb.117:                              ;   in Loop: Header=BB372_16 Depth=1
	v_and_b32_sdwa v0, v89, v1 dst_sel:DWORD dst_unused:UNUSED_PAD src0_sel:DWORD src1_sel:BYTE_1
	v_mov_b32_e32 v107, 0x7f800001
	s_mov_b32 s52, exec_lo
	v_and_b32_e32 v15, 0x7f, v0
	v_cmpx_ne_u32_e32 0x7f, v15
	s_cbranch_execz .LBB372_121
; %bb.118:                              ;   in Loop: Header=BB372_16 Depth=1
	v_and_b32_e32 v13, 7, v0
	v_mov_b32_e32 v14, v2
	v_lshrrev_b32_e32 v0, 3, v15
	s_mov_b32 s53, exec_lo
	v_cmpx_gt_u32_e32 8, v15
; %bb.119:                              ;   in Loop: Header=BB372_16 Depth=1
	v_ffbh_u32_e32 v0, v13
	v_min_u32_e32 v0, 32, v0
	v_subrev_nc_u32_e32 v15, 28, v0
	v_sub_nc_u32_e32 v0, 29, v0
	v_lshlrev_b64 v[13:14], v15, v[13:14]
	v_and_b32_e32 v13, 7, v13
; %bb.120:                              ;   in Loop: Header=BB372_16 Depth=1
	s_or_b32 exec_lo, exec_lo, s53
	v_lshlrev_b32_e32 v1, 16, v1
	v_lshlrev_b32_e32 v13, 20, v13
	v_lshl_add_u32 v0, v0, 23, 0x3c000000
	v_and_b32_e32 v1, 0x80000000, v1
	v_or3_b32 v107, v13, v1, v0
.LBB372_121:                            ;   in Loop: Header=BB372_16 Depth=1
	s_or_b32 exec_lo, exec_lo, s52
.LBB372_122:                            ;   in Loop: Header=BB372_16 Depth=1
	s_or_b32 exec_lo, exec_lo, s51
.LBB372_123:                            ;   in Loop: Header=BB372_16 Depth=1
	s_or_b32 exec_lo, exec_lo, s50
	v_and_b32_sdwa v0, v12, v90 dst_sel:DWORD dst_unused:UNUSED_PAD src0_sel:WORD_1 src1_sel:DWORD
	v_mov_b32_e32 v108, 0
	v_mov_b32_e32 v109, 0
	s_mov_b32 s50, exec_lo
	v_cmpx_ne_u16_e32 0, v0
	s_cbranch_execz .LBB372_131
; %bb.124:                              ;   in Loop: Header=BB372_16 Depth=1
	v_bfrev_b32_e32 v109, 1
	s_mov_b32 s51, exec_lo
	v_cmpx_ne_u16_e32 0x80, v0
	s_cbranch_execz .LBB372_130
; %bb.125:                              ;   in Loop: Header=BB372_16 Depth=1
	v_bfe_u32 v13, v12, 16, 7
	v_mov_b32_e32 v109, 0x7f800001
	s_mov_b32 s52, exec_lo
	v_cmpx_ne_u32_e32 0x7f, v13
	s_cbranch_execz .LBB372_129
; %bb.126:                              ;   in Loop: Header=BB372_16 Depth=1
	v_and_b32_sdwa v1, v12, v91 dst_sel:DWORD dst_unused:UNUSED_PAD src0_sel:WORD_1 src1_sel:DWORD
	v_lshrrev_b32_e32 v0, 3, v13
	s_mov_b32 s53, exec_lo
	v_cmpx_gt_u32_e32 8, v13
; %bb.127:                              ;   in Loop: Header=BB372_16 Depth=1
	v_ffbh_u32_e32 v0, v1
	v_min_u32_e32 v0, 32, v0
	v_subrev_nc_u32_e32 v13, 28, v0
	v_sub_nc_u32_e32 v0, 29, v0
	v_lshlrev_b64 v[13:14], v13, v[1:2]
	v_and_b32_e32 v1, 7, v13
; %bb.128:                              ;   in Loop: Header=BB372_16 Depth=1
	s_or_b32 exec_lo, exec_lo, s53
	v_lshlrev_b32_sdwa v13, v92, v12 dst_sel:DWORD dst_unused:UNUSED_PAD src0_sel:DWORD src1_sel:WORD_1
	v_lshlrev_b32_e32 v1, 20, v1
	v_lshl_add_u32 v0, v0, 23, 0x3c000000
	v_and_b32_e32 v13, 0x80000000, v13
	v_or3_b32 v109, v1, v13, v0
.LBB372_129:                            ;   in Loop: Header=BB372_16 Depth=1
	s_or_b32 exec_lo, exec_lo, s52
.LBB372_130:                            ;   in Loop: Header=BB372_16 Depth=1
	s_or_b32 exec_lo, exec_lo, s51
.LBB372_131:                            ;   in Loop: Header=BB372_16 Depth=1
	s_or_b32 exec_lo, exec_lo, s50
	s_mov_b32 s50, exec_lo
	v_cmpx_lt_u64_e64 s[4:5], v[11:12]
	s_cbranch_execz .LBB372_139
; %bb.132:                              ;   in Loop: Header=BB372_16 Depth=1
	v_cmp_ne_u32_sdwa s1, v12, v88 src0_sel:BYTE_3 src1_sel:DWORD
	v_bfrev_b32_e32 v108, 1
	s_and_saveexec_b32 s51, s1
	s_cbranch_execz .LBB372_138
; %bb.133:                              ;   in Loop: Header=BB372_16 Depth=1
	v_bfe_u32 v11, v12, 24, 7
	v_mov_b32_e32 v108, 0x7f800001
	s_mov_b32 s52, exec_lo
	v_cmpx_ne_u32_e32 0x7f, v11
	s_cbranch_execz .LBB372_137
; %bb.134:                              ;   in Loop: Header=BB372_16 Depth=1
	v_and_b32_sdwa v1, v12, v91 dst_sel:DWORD dst_unused:UNUSED_PAD src0_sel:BYTE_3 src1_sel:DWORD
	v_lshrrev_b32_e32 v0, 3, v11
	s_mov_b32 s53, exec_lo
	v_cmpx_gt_u32_e32 8, v11
; %bb.135:                              ;   in Loop: Header=BB372_16 Depth=1
	v_ffbh_u32_e32 v0, v1
	v_min_u32_e32 v0, 32, v0
	v_subrev_nc_u32_e32 v11, 28, v0
	v_sub_nc_u32_e32 v0, 29, v0
	v_lshlrev_b64 v[13:14], v11, v[1:2]
	v_and_b32_e32 v1, 7, v13
; %bb.136:                              ;   in Loop: Header=BB372_16 Depth=1
	s_or_b32 exec_lo, exec_lo, s53
	v_lshlrev_b32_sdwa v11, v92, v12 dst_sel:DWORD dst_unused:UNUSED_PAD src0_sel:DWORD src1_sel:BYTE_3
	v_lshlrev_b32_e32 v1, 20, v1
	v_lshl_add_u32 v0, v0, 23, 0x3c000000
	v_and_b32_e32 v11, 0x80000000, v11
	v_or3_b32 v108, v1, v11, v0
.LBB372_137:                            ;   in Loop: Header=BB372_16 Depth=1
	s_or_b32 exec_lo, exec_lo, s52
.LBB372_138:                            ;   in Loop: Header=BB372_16 Depth=1
	s_or_b32 exec_lo, exec_lo, s51
.LBB372_139:                            ;   in Loop: Header=BB372_16 Depth=1
	s_or_b32 exec_lo, exec_lo, s50
	global_load_dwordx2 v[11:12], v[7:8], off offset:512
	v_mov_b32_e32 v111, 0
	v_mov_b32_e32 v110, 0
	s_waitcnt vmcnt(0)
	v_cmp_ne_u16_sdwa s1, v11, v2 src0_sel:BYTE_0 src1_sel:DWORD
	s_and_saveexec_b32 s50, s1
	s_cbranch_execz .LBB372_145
; %bb.140:                              ;   in Loop: Header=BB372_16 Depth=1
	v_cmp_ne_u16_sdwa s1, v11, v88 src0_sel:BYTE_0 src1_sel:DWORD
	v_bfrev_b32_e32 v110, 1
	s_and_saveexec_b32 s51, s1
	s_cbranch_execz .LBB372_144
; %bb.141:                              ;   in Loop: Header=BB372_16 Depth=1
	v_and_b32_e32 v0, 0x7f, v11
	v_mov_b32_e32 v110, 0x7f800001
	s_mov_b32 s52, exec_lo
	v_cmpx_ne_u32_e32 0x7f, v0
	s_cbranch_execz .LBB372_143
; %bb.142:                              ;   in Loop: Header=BB372_16 Depth=1
	v_and_b32_e32 v1, 7, v11
	v_cmp_gt_u32_e64 s1, 8, v0
	v_lshrrev_b32_e32 v13, 3, v0
	v_ffbh_u32_e32 v1, v1
	v_min_u32_e32 v1, 32, v1
	v_subrev_nc_u32_e32 v14, 28, v1
	v_sub_nc_u32_e32 v1, 29, v1
	v_cndmask_b32_e64 v0, 0, v14, s1
	v_cndmask_b32_e64 v13, v13, v1, s1
	v_lshlrev_b64 v[0:1], v0, v[11:12]
	v_lshlrev_b32_e32 v1, 24, v11
	v_lshl_add_u32 v13, v13, 23, 0x3c000000
	v_lshlrev_b32_e32 v0, 20, v0
	v_and_b32_e32 v1, 0x80000000, v1
	v_and_b32_e32 v0, 0x700000, v0
	v_or3_b32 v110, v0, v1, v13
.LBB372_143:                            ;   in Loop: Header=BB372_16 Depth=1
	s_or_b32 exec_lo, exec_lo, s52
.LBB372_144:                            ;   in Loop: Header=BB372_16 Depth=1
	s_or_b32 exec_lo, exec_lo, s51
.LBB372_145:                            ;   in Loop: Header=BB372_16 Depth=1
	s_or_b32 exec_lo, exec_lo, s50
	v_cmp_ne_u16_sdwa s1, v11, v2 src0_sel:BYTE_1 src1_sel:DWORD
	s_and_saveexec_b32 s50, s1
	s_cbranch_execz .LBB372_153
; %bb.146:                              ;   in Loop: Header=BB372_16 Depth=1
	v_cmp_ne_u16_sdwa s1, v11, v88 src0_sel:BYTE_1 src1_sel:DWORD
	v_bfrev_b32_e32 v111, 1
	s_and_saveexec_b32 s51, s1
	s_cbranch_execz .LBB372_152
; %bb.147:                              ;   in Loop: Header=BB372_16 Depth=1
	v_and_b32_sdwa v0, v89, v11 dst_sel:DWORD dst_unused:UNUSED_PAD src0_sel:DWORD src1_sel:BYTE_1
	v_mov_b32_e32 v111, 0x7f800001
	s_mov_b32 s52, exec_lo
	v_and_b32_e32 v13, 0x7f, v0
	v_cmpx_ne_u32_e32 0x7f, v13
	s_cbranch_execz .LBB372_151
; %bb.148:                              ;   in Loop: Header=BB372_16 Depth=1
	v_and_b32_e32 v1, 7, v0
	v_lshrrev_b32_e32 v0, 3, v13
	s_mov_b32 s53, exec_lo
	v_cmpx_gt_u32_e32 8, v13
; %bb.149:                              ;   in Loop: Header=BB372_16 Depth=1
	v_ffbh_u32_e32 v0, v1
	v_min_u32_e32 v0, 32, v0
	v_subrev_nc_u32_e32 v13, 28, v0
	v_sub_nc_u32_e32 v0, 29, v0
	v_lshlrev_b64 v[13:14], v13, v[1:2]
	v_and_b32_e32 v1, 7, v13
; %bb.150:                              ;   in Loop: Header=BB372_16 Depth=1
	s_or_b32 exec_lo, exec_lo, s53
	v_lshlrev_b32_e32 v13, 16, v11
	v_lshlrev_b32_e32 v1, 20, v1
	v_lshl_add_u32 v0, v0, 23, 0x3c000000
	v_and_b32_e32 v13, 0x80000000, v13
	v_or3_b32 v111, v1, v13, v0
.LBB372_151:                            ;   in Loop: Header=BB372_16 Depth=1
	s_or_b32 exec_lo, exec_lo, s52
.LBB372_152:                            ;   in Loop: Header=BB372_16 Depth=1
	s_or_b32 exec_lo, exec_lo, s51
.LBB372_153:                            ;   in Loop: Header=BB372_16 Depth=1
	s_or_b32 exec_lo, exec_lo, s50
	v_and_b32_sdwa v0, v11, v90 dst_sel:DWORD dst_unused:UNUSED_PAD src0_sel:WORD_1 src1_sel:DWORD
	v_mov_b32_e32 v113, 0
	v_mov_b32_e32 v112, 0
	s_mov_b32 s50, exec_lo
	v_cmpx_ne_u16_e32 0, v0
	s_cbranch_execz .LBB372_161
; %bb.154:                              ;   in Loop: Header=BB372_16 Depth=1
	v_bfrev_b32_e32 v112, 1
	s_mov_b32 s51, exec_lo
	v_cmpx_ne_u16_e32 0x80, v0
	s_cbranch_execz .LBB372_160
; %bb.155:                              ;   in Loop: Header=BB372_16 Depth=1
	v_bfe_u32 v13, v11, 16, 7
	v_mov_b32_e32 v112, 0x7f800001
	s_mov_b32 s52, exec_lo
	v_cmpx_ne_u32_e32 0x7f, v13
	s_cbranch_execz .LBB372_159
; %bb.156:                              ;   in Loop: Header=BB372_16 Depth=1
	v_and_b32_sdwa v1, v11, v91 dst_sel:DWORD dst_unused:UNUSED_PAD src0_sel:WORD_1 src1_sel:DWORD
	v_lshrrev_b32_e32 v0, 3, v13
	s_mov_b32 s53, exec_lo
	v_cmpx_gt_u32_e32 8, v13
; %bb.157:                              ;   in Loop: Header=BB372_16 Depth=1
	v_ffbh_u32_e32 v0, v1
	v_min_u32_e32 v0, 32, v0
	v_subrev_nc_u32_e32 v13, 28, v0
	v_sub_nc_u32_e32 v0, 29, v0
	v_lshlrev_b64 v[13:14], v13, v[1:2]
	v_and_b32_e32 v1, 7, v13
; %bb.158:                              ;   in Loop: Header=BB372_16 Depth=1
	s_or_b32 exec_lo, exec_lo, s53
	v_lshlrev_b32_sdwa v13, v92, v11 dst_sel:DWORD dst_unused:UNUSED_PAD src0_sel:DWORD src1_sel:WORD_1
	v_lshlrev_b32_e32 v1, 20, v1
	v_lshl_add_u32 v0, v0, 23, 0x3c000000
	v_and_b32_e32 v13, 0x80000000, v13
	v_or3_b32 v112, v1, v13, v0
.LBB372_159:                            ;   in Loop: Header=BB372_16 Depth=1
	s_or_b32 exec_lo, exec_lo, s52
.LBB372_160:                            ;   in Loop: Header=BB372_16 Depth=1
	s_or_b32 exec_lo, exec_lo, s51
.LBB372_161:                            ;   in Loop: Header=BB372_16 Depth=1
	s_or_b32 exec_lo, exec_lo, s50
	s_mov_b32 s50, exec_lo
	v_cmpx_lt_u32_e32 0xffffff, v11
	s_cbranch_execz .LBB372_169
; %bb.162:                              ;   in Loop: Header=BB372_16 Depth=1
	v_cmp_ne_u32_sdwa s1, v11, v88 src0_sel:BYTE_3 src1_sel:DWORD
	v_bfrev_b32_e32 v113, 1
	s_and_saveexec_b32 s51, s1
	s_cbranch_execz .LBB372_168
; %bb.163:                              ;   in Loop: Header=BB372_16 Depth=1
	v_bfe_u32 v13, v11, 24, 7
	v_mov_b32_e32 v113, 0x7f800001
	s_mov_b32 s52, exec_lo
	v_cmpx_ne_u32_e32 0x7f, v13
	s_cbranch_execz .LBB372_167
; %bb.164:                              ;   in Loop: Header=BB372_16 Depth=1
	v_and_b32_sdwa v1, v11, v91 dst_sel:DWORD dst_unused:UNUSED_PAD src0_sel:BYTE_3 src1_sel:DWORD
	v_lshrrev_b32_e32 v0, 3, v13
	s_mov_b32 s53, exec_lo
	v_cmpx_gt_u32_e32 8, v13
; %bb.165:                              ;   in Loop: Header=BB372_16 Depth=1
	v_ffbh_u32_e32 v0, v1
	v_min_u32_e32 v0, 32, v0
	v_subrev_nc_u32_e32 v13, 28, v0
	v_sub_nc_u32_e32 v0, 29, v0
	v_lshlrev_b64 v[13:14], v13, v[1:2]
	v_and_b32_e32 v1, 7, v13
; %bb.166:                              ;   in Loop: Header=BB372_16 Depth=1
	s_or_b32 exec_lo, exec_lo, s53
	v_lshlrev_b32_sdwa v13, v92, v11 dst_sel:DWORD dst_unused:UNUSED_PAD src0_sel:DWORD src1_sel:BYTE_3
	v_lshlrev_b32_e32 v1, 20, v1
	v_lshl_add_u32 v0, v0, 23, 0x3c000000
	v_and_b32_e32 v13, 0x80000000, v13
	v_or3_b32 v113, v1, v13, v0
.LBB372_167:                            ;   in Loop: Header=BB372_16 Depth=1
	s_or_b32 exec_lo, exec_lo, s52
.LBB372_168:                            ;   in Loop: Header=BB372_16 Depth=1
	s_or_b32 exec_lo, exec_lo, s51
.LBB372_169:                            ;   in Loop: Header=BB372_16 Depth=1
	s_or_b32 exec_lo, exec_lo, s50
	v_mov_b32_e32 v1, v12
	v_cmp_ne_u16_sdwa s1, v12, v2 src0_sel:BYTE_0 src1_sel:DWORD
	v_mov_b32_e32 v115, 0
	v_mov_b32_e32 v114, 0
	s_and_saveexec_b32 s50, s1
	s_cbranch_execz .LBB372_175
; %bb.170:                              ;   in Loop: Header=BB372_16 Depth=1
	v_cmp_ne_u16_sdwa s1, v12, v88 src0_sel:BYTE_0 src1_sel:DWORD
	v_bfrev_b32_e32 v114, 1
	s_and_saveexec_b32 s51, s1
	s_cbranch_execz .LBB372_174
; %bb.171:                              ;   in Loop: Header=BB372_16 Depth=1
	v_and_b32_e32 v0, 0x7f, v12
	v_mov_b32_e32 v114, 0x7f800001
	s_mov_b32 s52, exec_lo
	v_cmpx_ne_u32_e32 0x7f, v0
	s_cbranch_execz .LBB372_173
; %bb.172:                              ;   in Loop: Header=BB372_16 Depth=1
	v_and_b32_e32 v13, 7, v12
	v_lshrrev_b32_e32 v14, 3, v0
	v_cmp_gt_u32_e64 s1, 8, v0
	v_ffbh_u32_e32 v13, v13
	v_min_u32_e32 v13, 32, v13
	v_subrev_nc_u32_e32 v15, 28, v13
	v_sub_nc_u32_e32 v13, 29, v13
	v_cndmask_b32_e64 v0, v14, v13, s1
	v_cndmask_b32_e64 v13, 0, v15, s1
	v_lshl_add_u32 v0, v0, 23, 0x3c000000
	v_lshlrev_b64 v[13:14], v13, v[1:2]
	v_lshlrev_b32_e32 v14, 24, v1
	v_lshlrev_b32_e32 v13, 20, v13
	v_and_b32_e32 v14, 0x80000000, v14
	v_and_b32_e32 v13, 0x700000, v13
	v_or3_b32 v114, v13, v14, v0
.LBB372_173:                            ;   in Loop: Header=BB372_16 Depth=1
	s_or_b32 exec_lo, exec_lo, s52
.LBB372_174:                            ;   in Loop: Header=BB372_16 Depth=1
	s_or_b32 exec_lo, exec_lo, s51
.LBB372_175:                            ;   in Loop: Header=BB372_16 Depth=1
	s_or_b32 exec_lo, exec_lo, s50
	v_cmp_ne_u16_sdwa s1, v1, v2 src0_sel:BYTE_1 src1_sel:DWORD
	s_and_saveexec_b32 s50, s1
	s_cbranch_execz .LBB372_183
; %bb.176:                              ;   in Loop: Header=BB372_16 Depth=1
	v_cmp_ne_u16_sdwa s1, v1, v88 src0_sel:BYTE_1 src1_sel:DWORD
	v_bfrev_b32_e32 v115, 1
	s_and_saveexec_b32 s51, s1
	s_cbranch_execz .LBB372_182
; %bb.177:                              ;   in Loop: Header=BB372_16 Depth=1
	v_and_b32_sdwa v0, v89, v1 dst_sel:DWORD dst_unused:UNUSED_PAD src0_sel:DWORD src1_sel:BYTE_1
	v_mov_b32_e32 v115, 0x7f800001
	s_mov_b32 s52, exec_lo
	v_and_b32_e32 v15, 0x7f, v0
	v_cmpx_ne_u32_e32 0x7f, v15
	s_cbranch_execz .LBB372_181
; %bb.178:                              ;   in Loop: Header=BB372_16 Depth=1
	v_and_b32_e32 v13, 7, v0
	v_mov_b32_e32 v14, v2
	v_lshrrev_b32_e32 v0, 3, v15
	s_mov_b32 s53, exec_lo
	v_cmpx_gt_u32_e32 8, v15
; %bb.179:                              ;   in Loop: Header=BB372_16 Depth=1
	v_ffbh_u32_e32 v0, v13
	v_min_u32_e32 v0, 32, v0
	v_subrev_nc_u32_e32 v15, 28, v0
	v_sub_nc_u32_e32 v0, 29, v0
	v_lshlrev_b64 v[13:14], v15, v[13:14]
	v_and_b32_e32 v13, 7, v13
; %bb.180:                              ;   in Loop: Header=BB372_16 Depth=1
	s_or_b32 exec_lo, exec_lo, s53
	v_lshlrev_b32_e32 v1, 16, v1
	v_lshlrev_b32_e32 v13, 20, v13
	v_lshl_add_u32 v0, v0, 23, 0x3c000000
	v_and_b32_e32 v1, 0x80000000, v1
	v_or3_b32 v115, v13, v1, v0
.LBB372_181:                            ;   in Loop: Header=BB372_16 Depth=1
	s_or_b32 exec_lo, exec_lo, s52
.LBB372_182:                            ;   in Loop: Header=BB372_16 Depth=1
	s_or_b32 exec_lo, exec_lo, s51
.LBB372_183:                            ;   in Loop: Header=BB372_16 Depth=1
	s_or_b32 exec_lo, exec_lo, s50
	v_and_b32_sdwa v0, v12, v90 dst_sel:DWORD dst_unused:UNUSED_PAD src0_sel:WORD_1 src1_sel:DWORD
	v_mov_b32_e32 v116, 0
	v_mov_b32_e32 v117, 0
	s_mov_b32 s50, exec_lo
	v_cmpx_ne_u16_e32 0, v0
	s_cbranch_execz .LBB372_191
; %bb.184:                              ;   in Loop: Header=BB372_16 Depth=1
	v_bfrev_b32_e32 v117, 1
	s_mov_b32 s51, exec_lo
	v_cmpx_ne_u16_e32 0x80, v0
	s_cbranch_execz .LBB372_190
; %bb.185:                              ;   in Loop: Header=BB372_16 Depth=1
	v_bfe_u32 v13, v12, 16, 7
	v_mov_b32_e32 v117, 0x7f800001
	s_mov_b32 s52, exec_lo
	v_cmpx_ne_u32_e32 0x7f, v13
	s_cbranch_execz .LBB372_189
; %bb.186:                              ;   in Loop: Header=BB372_16 Depth=1
	v_and_b32_sdwa v1, v12, v91 dst_sel:DWORD dst_unused:UNUSED_PAD src0_sel:WORD_1 src1_sel:DWORD
	v_lshrrev_b32_e32 v0, 3, v13
	s_mov_b32 s53, exec_lo
	v_cmpx_gt_u32_e32 8, v13
; %bb.187:                              ;   in Loop: Header=BB372_16 Depth=1
	v_ffbh_u32_e32 v0, v1
	v_min_u32_e32 v0, 32, v0
	v_subrev_nc_u32_e32 v13, 28, v0
	v_sub_nc_u32_e32 v0, 29, v0
	v_lshlrev_b64 v[13:14], v13, v[1:2]
	v_and_b32_e32 v1, 7, v13
; %bb.188:                              ;   in Loop: Header=BB372_16 Depth=1
	s_or_b32 exec_lo, exec_lo, s53
	v_lshlrev_b32_sdwa v13, v92, v12 dst_sel:DWORD dst_unused:UNUSED_PAD src0_sel:DWORD src1_sel:WORD_1
	v_lshlrev_b32_e32 v1, 20, v1
	v_lshl_add_u32 v0, v0, 23, 0x3c000000
	v_and_b32_e32 v13, 0x80000000, v13
	v_or3_b32 v117, v1, v13, v0
.LBB372_189:                            ;   in Loop: Header=BB372_16 Depth=1
	s_or_b32 exec_lo, exec_lo, s52
.LBB372_190:                            ;   in Loop: Header=BB372_16 Depth=1
	s_or_b32 exec_lo, exec_lo, s51
.LBB372_191:                            ;   in Loop: Header=BB372_16 Depth=1
	s_or_b32 exec_lo, exec_lo, s50
	s_mov_b32 s50, exec_lo
	v_cmpx_lt_u64_e64 s[4:5], v[11:12]
	s_cbranch_execz .LBB372_199
; %bb.192:                              ;   in Loop: Header=BB372_16 Depth=1
	v_cmp_ne_u32_sdwa s1, v12, v88 src0_sel:BYTE_3 src1_sel:DWORD
	v_bfrev_b32_e32 v116, 1
	s_and_saveexec_b32 s51, s1
	s_cbranch_execz .LBB372_198
; %bb.193:                              ;   in Loop: Header=BB372_16 Depth=1
	v_bfe_u32 v11, v12, 24, 7
	v_mov_b32_e32 v116, 0x7f800001
	s_mov_b32 s52, exec_lo
	v_cmpx_ne_u32_e32 0x7f, v11
	s_cbranch_execz .LBB372_197
; %bb.194:                              ;   in Loop: Header=BB372_16 Depth=1
	v_and_b32_sdwa v1, v12, v91 dst_sel:DWORD dst_unused:UNUSED_PAD src0_sel:BYTE_3 src1_sel:DWORD
	v_lshrrev_b32_e32 v0, 3, v11
	s_mov_b32 s53, exec_lo
	v_cmpx_gt_u32_e32 8, v11
; %bb.195:                              ;   in Loop: Header=BB372_16 Depth=1
	v_ffbh_u32_e32 v0, v1
	v_min_u32_e32 v0, 32, v0
	v_subrev_nc_u32_e32 v11, 28, v0
	v_sub_nc_u32_e32 v0, 29, v0
	v_lshlrev_b64 v[13:14], v11, v[1:2]
	v_and_b32_e32 v1, 7, v13
; %bb.196:                              ;   in Loop: Header=BB372_16 Depth=1
	s_or_b32 exec_lo, exec_lo, s53
	v_lshlrev_b32_sdwa v11, v92, v12 dst_sel:DWORD dst_unused:UNUSED_PAD src0_sel:DWORD src1_sel:BYTE_3
	v_lshlrev_b32_e32 v1, 20, v1
	v_lshl_add_u32 v0, v0, 23, 0x3c000000
	v_and_b32_e32 v11, 0x80000000, v11
	v_or3_b32 v116, v1, v11, v0
.LBB372_197:                            ;   in Loop: Header=BB372_16 Depth=1
	s_or_b32 exec_lo, exec_lo, s52
.LBB372_198:                            ;   in Loop: Header=BB372_16 Depth=1
	s_or_b32 exec_lo, exec_lo, s51
.LBB372_199:                            ;   in Loop: Header=BB372_16 Depth=1
	s_or_b32 exec_lo, exec_lo, s50
	global_load_dwordx2 v[11:12], v[7:8], off offset:520
	v_mov_b32_e32 v119, 0
	v_mov_b32_e32 v118, 0
	s_waitcnt vmcnt(0)
	v_cmp_ne_u16_sdwa s1, v11, v2 src0_sel:BYTE_0 src1_sel:DWORD
	s_and_saveexec_b32 s50, s1
	s_cbranch_execz .LBB372_205
; %bb.200:                              ;   in Loop: Header=BB372_16 Depth=1
	v_cmp_ne_u16_sdwa s1, v11, v88 src0_sel:BYTE_0 src1_sel:DWORD
	v_bfrev_b32_e32 v118, 1
	s_and_saveexec_b32 s51, s1
	s_cbranch_execz .LBB372_204
; %bb.201:                              ;   in Loop: Header=BB372_16 Depth=1
	v_and_b32_e32 v0, 0x7f, v11
	v_mov_b32_e32 v118, 0x7f800001
	s_mov_b32 s52, exec_lo
	v_cmpx_ne_u32_e32 0x7f, v0
	s_cbranch_execz .LBB372_203
; %bb.202:                              ;   in Loop: Header=BB372_16 Depth=1
	v_and_b32_e32 v1, 7, v11
	v_cmp_gt_u32_e64 s1, 8, v0
	v_lshrrev_b32_e32 v13, 3, v0
	v_ffbh_u32_e32 v1, v1
	v_min_u32_e32 v1, 32, v1
	v_subrev_nc_u32_e32 v14, 28, v1
	v_sub_nc_u32_e32 v1, 29, v1
	v_cndmask_b32_e64 v0, 0, v14, s1
	v_cndmask_b32_e64 v13, v13, v1, s1
	v_lshlrev_b64 v[0:1], v0, v[11:12]
	v_lshlrev_b32_e32 v1, 24, v11
	v_lshl_add_u32 v13, v13, 23, 0x3c000000
	v_lshlrev_b32_e32 v0, 20, v0
	v_and_b32_e32 v1, 0x80000000, v1
	v_and_b32_e32 v0, 0x700000, v0
	v_or3_b32 v118, v0, v1, v13
.LBB372_203:                            ;   in Loop: Header=BB372_16 Depth=1
	s_or_b32 exec_lo, exec_lo, s52
.LBB372_204:                            ;   in Loop: Header=BB372_16 Depth=1
	s_or_b32 exec_lo, exec_lo, s51
.LBB372_205:                            ;   in Loop: Header=BB372_16 Depth=1
	s_or_b32 exec_lo, exec_lo, s50
	v_cmp_ne_u16_sdwa s1, v11, v2 src0_sel:BYTE_1 src1_sel:DWORD
	s_and_saveexec_b32 s50, s1
	s_cbranch_execz .LBB372_213
; %bb.206:                              ;   in Loop: Header=BB372_16 Depth=1
	v_cmp_ne_u16_sdwa s1, v11, v88 src0_sel:BYTE_1 src1_sel:DWORD
	v_bfrev_b32_e32 v119, 1
	s_and_saveexec_b32 s51, s1
	s_cbranch_execz .LBB372_212
; %bb.207:                              ;   in Loop: Header=BB372_16 Depth=1
	v_and_b32_sdwa v0, v89, v11 dst_sel:DWORD dst_unused:UNUSED_PAD src0_sel:DWORD src1_sel:BYTE_1
	v_mov_b32_e32 v119, 0x7f800001
	s_mov_b32 s52, exec_lo
	v_and_b32_e32 v13, 0x7f, v0
	v_cmpx_ne_u32_e32 0x7f, v13
	s_cbranch_execz .LBB372_211
; %bb.208:                              ;   in Loop: Header=BB372_16 Depth=1
	v_and_b32_e32 v1, 7, v0
	v_lshrrev_b32_e32 v0, 3, v13
	s_mov_b32 s53, exec_lo
	v_cmpx_gt_u32_e32 8, v13
; %bb.209:                              ;   in Loop: Header=BB372_16 Depth=1
	v_ffbh_u32_e32 v0, v1
	v_min_u32_e32 v0, 32, v0
	v_subrev_nc_u32_e32 v13, 28, v0
	v_sub_nc_u32_e32 v0, 29, v0
	v_lshlrev_b64 v[13:14], v13, v[1:2]
	v_and_b32_e32 v1, 7, v13
; %bb.210:                              ;   in Loop: Header=BB372_16 Depth=1
	s_or_b32 exec_lo, exec_lo, s53
	v_lshlrev_b32_e32 v13, 16, v11
	v_lshlrev_b32_e32 v1, 20, v1
	v_lshl_add_u32 v0, v0, 23, 0x3c000000
	v_and_b32_e32 v13, 0x80000000, v13
	v_or3_b32 v119, v1, v13, v0
.LBB372_211:                            ;   in Loop: Header=BB372_16 Depth=1
	s_or_b32 exec_lo, exec_lo, s52
.LBB372_212:                            ;   in Loop: Header=BB372_16 Depth=1
	s_or_b32 exec_lo, exec_lo, s51
.LBB372_213:                            ;   in Loop: Header=BB372_16 Depth=1
	s_or_b32 exec_lo, exec_lo, s50
	v_and_b32_sdwa v0, v11, v90 dst_sel:DWORD dst_unused:UNUSED_PAD src0_sel:WORD_1 src1_sel:DWORD
	v_mov_b32_e32 v121, 0
	v_mov_b32_e32 v120, 0
	s_mov_b32 s50, exec_lo
	v_cmpx_ne_u16_e32 0, v0
	s_cbranch_execz .LBB372_221
; %bb.214:                              ;   in Loop: Header=BB372_16 Depth=1
	v_bfrev_b32_e32 v120, 1
	s_mov_b32 s51, exec_lo
	v_cmpx_ne_u16_e32 0x80, v0
	s_cbranch_execz .LBB372_220
; %bb.215:                              ;   in Loop: Header=BB372_16 Depth=1
	v_bfe_u32 v13, v11, 16, 7
	v_mov_b32_e32 v120, 0x7f800001
	s_mov_b32 s52, exec_lo
	v_cmpx_ne_u32_e32 0x7f, v13
	s_cbranch_execz .LBB372_219
; %bb.216:                              ;   in Loop: Header=BB372_16 Depth=1
	v_and_b32_sdwa v1, v11, v91 dst_sel:DWORD dst_unused:UNUSED_PAD src0_sel:WORD_1 src1_sel:DWORD
	v_lshrrev_b32_e32 v0, 3, v13
	s_mov_b32 s53, exec_lo
	v_cmpx_gt_u32_e32 8, v13
; %bb.217:                              ;   in Loop: Header=BB372_16 Depth=1
	v_ffbh_u32_e32 v0, v1
	v_min_u32_e32 v0, 32, v0
	v_subrev_nc_u32_e32 v13, 28, v0
	v_sub_nc_u32_e32 v0, 29, v0
	v_lshlrev_b64 v[13:14], v13, v[1:2]
	v_and_b32_e32 v1, 7, v13
; %bb.218:                              ;   in Loop: Header=BB372_16 Depth=1
	s_or_b32 exec_lo, exec_lo, s53
	v_lshlrev_b32_sdwa v13, v92, v11 dst_sel:DWORD dst_unused:UNUSED_PAD src0_sel:DWORD src1_sel:WORD_1
	v_lshlrev_b32_e32 v1, 20, v1
	v_lshl_add_u32 v0, v0, 23, 0x3c000000
	v_and_b32_e32 v13, 0x80000000, v13
	v_or3_b32 v120, v1, v13, v0
.LBB372_219:                            ;   in Loop: Header=BB372_16 Depth=1
	s_or_b32 exec_lo, exec_lo, s52
.LBB372_220:                            ;   in Loop: Header=BB372_16 Depth=1
	s_or_b32 exec_lo, exec_lo, s51
.LBB372_221:                            ;   in Loop: Header=BB372_16 Depth=1
	s_or_b32 exec_lo, exec_lo, s50
	s_mov_b32 s50, exec_lo
	v_cmpx_lt_u32_e32 0xffffff, v11
	s_cbranch_execz .LBB372_229
; %bb.222:                              ;   in Loop: Header=BB372_16 Depth=1
	v_cmp_ne_u32_sdwa s1, v11, v88 src0_sel:BYTE_3 src1_sel:DWORD
	v_bfrev_b32_e32 v121, 1
	s_and_saveexec_b32 s51, s1
	s_cbranch_execz .LBB372_228
; %bb.223:                              ;   in Loop: Header=BB372_16 Depth=1
	v_bfe_u32 v13, v11, 24, 7
	v_mov_b32_e32 v121, 0x7f800001
	s_mov_b32 s52, exec_lo
	v_cmpx_ne_u32_e32 0x7f, v13
	s_cbranch_execz .LBB372_227
; %bb.224:                              ;   in Loop: Header=BB372_16 Depth=1
	v_and_b32_sdwa v1, v11, v91 dst_sel:DWORD dst_unused:UNUSED_PAD src0_sel:BYTE_3 src1_sel:DWORD
	v_lshrrev_b32_e32 v0, 3, v13
	s_mov_b32 s53, exec_lo
	v_cmpx_gt_u32_e32 8, v13
; %bb.225:                              ;   in Loop: Header=BB372_16 Depth=1
	v_ffbh_u32_e32 v0, v1
	v_min_u32_e32 v0, 32, v0
	v_subrev_nc_u32_e32 v13, 28, v0
	v_sub_nc_u32_e32 v0, 29, v0
	v_lshlrev_b64 v[13:14], v13, v[1:2]
	v_and_b32_e32 v1, 7, v13
; %bb.226:                              ;   in Loop: Header=BB372_16 Depth=1
	s_or_b32 exec_lo, exec_lo, s53
	v_lshlrev_b32_sdwa v13, v92, v11 dst_sel:DWORD dst_unused:UNUSED_PAD src0_sel:DWORD src1_sel:BYTE_3
	v_lshlrev_b32_e32 v1, 20, v1
	v_lshl_add_u32 v0, v0, 23, 0x3c000000
	v_and_b32_e32 v13, 0x80000000, v13
	v_or3_b32 v121, v1, v13, v0
.LBB372_227:                            ;   in Loop: Header=BB372_16 Depth=1
	s_or_b32 exec_lo, exec_lo, s52
.LBB372_228:                            ;   in Loop: Header=BB372_16 Depth=1
	s_or_b32 exec_lo, exec_lo, s51
.LBB372_229:                            ;   in Loop: Header=BB372_16 Depth=1
	s_or_b32 exec_lo, exec_lo, s50
	v_mov_b32_e32 v1, v12
	v_cmp_ne_u16_sdwa s1, v12, v2 src0_sel:BYTE_0 src1_sel:DWORD
	v_mov_b32_e32 v123, 0
	v_mov_b32_e32 v122, 0
	s_and_saveexec_b32 s50, s1
	s_cbranch_execz .LBB372_235
; %bb.230:                              ;   in Loop: Header=BB372_16 Depth=1
	v_cmp_ne_u16_sdwa s1, v12, v88 src0_sel:BYTE_0 src1_sel:DWORD
	v_bfrev_b32_e32 v122, 1
	s_and_saveexec_b32 s51, s1
	s_cbranch_execz .LBB372_234
; %bb.231:                              ;   in Loop: Header=BB372_16 Depth=1
	v_and_b32_e32 v0, 0x7f, v12
	v_mov_b32_e32 v122, 0x7f800001
	s_mov_b32 s52, exec_lo
	v_cmpx_ne_u32_e32 0x7f, v0
	s_cbranch_execz .LBB372_233
; %bb.232:                              ;   in Loop: Header=BB372_16 Depth=1
	v_and_b32_e32 v13, 7, v12
	v_lshrrev_b32_e32 v14, 3, v0
	v_cmp_gt_u32_e64 s1, 8, v0
	v_ffbh_u32_e32 v13, v13
	v_min_u32_e32 v13, 32, v13
	v_subrev_nc_u32_e32 v15, 28, v13
	v_sub_nc_u32_e32 v13, 29, v13
	v_cndmask_b32_e64 v0, v14, v13, s1
	v_cndmask_b32_e64 v13, 0, v15, s1
	v_lshl_add_u32 v0, v0, 23, 0x3c000000
	v_lshlrev_b64 v[13:14], v13, v[1:2]
	v_lshlrev_b32_e32 v14, 24, v1
	v_lshlrev_b32_e32 v13, 20, v13
	v_and_b32_e32 v14, 0x80000000, v14
	v_and_b32_e32 v13, 0x700000, v13
	v_or3_b32 v122, v13, v14, v0
.LBB372_233:                            ;   in Loop: Header=BB372_16 Depth=1
	s_or_b32 exec_lo, exec_lo, s52
.LBB372_234:                            ;   in Loop: Header=BB372_16 Depth=1
	s_or_b32 exec_lo, exec_lo, s51
.LBB372_235:                            ;   in Loop: Header=BB372_16 Depth=1
	s_or_b32 exec_lo, exec_lo, s50
	v_cmp_ne_u16_sdwa s1, v1, v2 src0_sel:BYTE_1 src1_sel:DWORD
	s_and_saveexec_b32 s50, s1
	s_cbranch_execz .LBB372_243
; %bb.236:                              ;   in Loop: Header=BB372_16 Depth=1
	v_cmp_ne_u16_sdwa s1, v1, v88 src0_sel:BYTE_1 src1_sel:DWORD
	v_bfrev_b32_e32 v123, 1
	s_and_saveexec_b32 s51, s1
	s_cbranch_execz .LBB372_242
; %bb.237:                              ;   in Loop: Header=BB372_16 Depth=1
	v_and_b32_sdwa v0, v89, v1 dst_sel:DWORD dst_unused:UNUSED_PAD src0_sel:DWORD src1_sel:BYTE_1
	v_mov_b32_e32 v123, 0x7f800001
	s_mov_b32 s52, exec_lo
	v_and_b32_e32 v15, 0x7f, v0
	v_cmpx_ne_u32_e32 0x7f, v15
	s_cbranch_execz .LBB372_241
; %bb.238:                              ;   in Loop: Header=BB372_16 Depth=1
	v_and_b32_e32 v13, 7, v0
	v_mov_b32_e32 v14, v2
	v_lshrrev_b32_e32 v0, 3, v15
	s_mov_b32 s53, exec_lo
	v_cmpx_gt_u32_e32 8, v15
; %bb.239:                              ;   in Loop: Header=BB372_16 Depth=1
	v_ffbh_u32_e32 v0, v13
	v_min_u32_e32 v0, 32, v0
	v_subrev_nc_u32_e32 v15, 28, v0
	v_sub_nc_u32_e32 v0, 29, v0
	v_lshlrev_b64 v[13:14], v15, v[13:14]
	v_and_b32_e32 v13, 7, v13
; %bb.240:                              ;   in Loop: Header=BB372_16 Depth=1
	s_or_b32 exec_lo, exec_lo, s53
	v_lshlrev_b32_e32 v1, 16, v1
	v_lshlrev_b32_e32 v13, 20, v13
	v_lshl_add_u32 v0, v0, 23, 0x3c000000
	v_and_b32_e32 v1, 0x80000000, v1
	v_or3_b32 v123, v13, v1, v0
.LBB372_241:                            ;   in Loop: Header=BB372_16 Depth=1
	s_or_b32 exec_lo, exec_lo, s52
.LBB372_242:                            ;   in Loop: Header=BB372_16 Depth=1
	s_or_b32 exec_lo, exec_lo, s51
.LBB372_243:                            ;   in Loop: Header=BB372_16 Depth=1
	s_or_b32 exec_lo, exec_lo, s50
	v_and_b32_sdwa v0, v12, v90 dst_sel:DWORD dst_unused:UNUSED_PAD src0_sel:WORD_1 src1_sel:DWORD
	v_mov_b32_e32 v124, 0
	v_mov_b32_e32 v125, 0
	s_mov_b32 s50, exec_lo
	v_cmpx_ne_u16_e32 0, v0
	s_cbranch_execz .LBB372_251
; %bb.244:                              ;   in Loop: Header=BB372_16 Depth=1
	v_bfrev_b32_e32 v125, 1
	s_mov_b32 s51, exec_lo
	v_cmpx_ne_u16_e32 0x80, v0
	s_cbranch_execz .LBB372_250
; %bb.245:                              ;   in Loop: Header=BB372_16 Depth=1
	v_bfe_u32 v13, v12, 16, 7
	v_mov_b32_e32 v125, 0x7f800001
	s_mov_b32 s52, exec_lo
	v_cmpx_ne_u32_e32 0x7f, v13
	s_cbranch_execz .LBB372_249
; %bb.246:                              ;   in Loop: Header=BB372_16 Depth=1
	v_and_b32_sdwa v1, v12, v91 dst_sel:DWORD dst_unused:UNUSED_PAD src0_sel:WORD_1 src1_sel:DWORD
	v_lshrrev_b32_e32 v0, 3, v13
	s_mov_b32 s53, exec_lo
	v_cmpx_gt_u32_e32 8, v13
; %bb.247:                              ;   in Loop: Header=BB372_16 Depth=1
	v_ffbh_u32_e32 v0, v1
	v_min_u32_e32 v0, 32, v0
	v_subrev_nc_u32_e32 v13, 28, v0
	v_sub_nc_u32_e32 v0, 29, v0
	v_lshlrev_b64 v[13:14], v13, v[1:2]
	v_and_b32_e32 v1, 7, v13
; %bb.248:                              ;   in Loop: Header=BB372_16 Depth=1
	s_or_b32 exec_lo, exec_lo, s53
	v_lshlrev_b32_sdwa v13, v92, v12 dst_sel:DWORD dst_unused:UNUSED_PAD src0_sel:DWORD src1_sel:WORD_1
	v_lshlrev_b32_e32 v1, 20, v1
	v_lshl_add_u32 v0, v0, 23, 0x3c000000
	v_and_b32_e32 v13, 0x80000000, v13
	v_or3_b32 v125, v1, v13, v0
.LBB372_249:                            ;   in Loop: Header=BB372_16 Depth=1
	s_or_b32 exec_lo, exec_lo, s52
.LBB372_250:                            ;   in Loop: Header=BB372_16 Depth=1
	s_or_b32 exec_lo, exec_lo, s51
.LBB372_251:                            ;   in Loop: Header=BB372_16 Depth=1
	s_or_b32 exec_lo, exec_lo, s50
	s_mov_b32 s50, exec_lo
	v_cmpx_lt_u64_e64 s[4:5], v[11:12]
	s_cbranch_execz .LBB372_259
; %bb.252:                              ;   in Loop: Header=BB372_16 Depth=1
	v_cmp_ne_u32_sdwa s1, v12, v88 src0_sel:BYTE_3 src1_sel:DWORD
	v_bfrev_b32_e32 v124, 1
	s_and_saveexec_b32 s51, s1
	s_cbranch_execz .LBB372_258
; %bb.253:                              ;   in Loop: Header=BB372_16 Depth=1
	v_bfe_u32 v11, v12, 24, 7
	v_mov_b32_e32 v124, 0x7f800001
	s_mov_b32 s52, exec_lo
	v_cmpx_ne_u32_e32 0x7f, v11
	s_cbranch_execz .LBB372_257
; %bb.254:                              ;   in Loop: Header=BB372_16 Depth=1
	v_and_b32_sdwa v1, v12, v91 dst_sel:DWORD dst_unused:UNUSED_PAD src0_sel:BYTE_3 src1_sel:DWORD
	v_lshrrev_b32_e32 v0, 3, v11
	s_mov_b32 s53, exec_lo
	v_cmpx_gt_u32_e32 8, v11
; %bb.255:                              ;   in Loop: Header=BB372_16 Depth=1
	v_ffbh_u32_e32 v0, v1
	v_min_u32_e32 v0, 32, v0
	v_subrev_nc_u32_e32 v11, 28, v0
	v_sub_nc_u32_e32 v0, 29, v0
	v_lshlrev_b64 v[13:14], v11, v[1:2]
	v_and_b32_e32 v1, 7, v13
; %bb.256:                              ;   in Loop: Header=BB372_16 Depth=1
	s_or_b32 exec_lo, exec_lo, s53
	v_lshlrev_b32_sdwa v11, v92, v12 dst_sel:DWORD dst_unused:UNUSED_PAD src0_sel:DWORD src1_sel:BYTE_3
	v_lshlrev_b32_e32 v1, 20, v1
	v_lshl_add_u32 v0, v0, 23, 0x3c000000
	v_and_b32_e32 v11, 0x80000000, v11
	v_or3_b32 v124, v1, v11, v0
.LBB372_257:                            ;   in Loop: Header=BB372_16 Depth=1
	s_or_b32 exec_lo, exec_lo, s52
.LBB372_258:                            ;   in Loop: Header=BB372_16 Depth=1
	s_or_b32 exec_lo, exec_lo, s51
.LBB372_259:                            ;   in Loop: Header=BB372_16 Depth=1
	s_or_b32 exec_lo, exec_lo, s50
	global_load_dwordx2 v[11:12], v[7:8], off offset:1024
	v_mov_b32_e32 v126, 0
	v_mov_b32_e32 v127, 0
	s_waitcnt vmcnt(0)
	v_cmp_ne_u16_sdwa s1, v11, v2 src0_sel:BYTE_0 src1_sel:DWORD
	s_and_saveexec_b32 s50, s1
	s_cbranch_execz .LBB372_265
; %bb.260:                              ;   in Loop: Header=BB372_16 Depth=1
	v_cmp_ne_u16_sdwa s1, v11, v88 src0_sel:BYTE_0 src1_sel:DWORD
	v_bfrev_b32_e32 v127, 1
	s_and_saveexec_b32 s51, s1
	s_cbranch_execz .LBB372_264
; %bb.261:                              ;   in Loop: Header=BB372_16 Depth=1
	v_and_b32_e32 v0, 0x7f, v11
	v_mov_b32_e32 v127, 0x7f800001
	s_mov_b32 s52, exec_lo
	v_cmpx_ne_u32_e32 0x7f, v0
	s_cbranch_execz .LBB372_263
; %bb.262:                              ;   in Loop: Header=BB372_16 Depth=1
	v_and_b32_e32 v1, 7, v11
	v_lshrrev_b32_e32 v13, 3, v0
	v_cmp_gt_u32_e64 s1, 8, v0
	v_ffbh_u32_e32 v0, v1
	v_min_u32_e32 v0, 32, v0
	v_subrev_nc_u32_e32 v1, 28, v0
	v_sub_nc_u32_e32 v0, 29, v0
	v_cndmask_b32_e64 v13, v13, v0, s1
	v_cndmask_b32_e64 v0, 0, v1, s1
	v_lshl_add_u32 v13, v13, 23, 0x3c000000
	v_lshlrev_b64 v[0:1], v0, v[11:12]
	v_lshlrev_b32_e32 v1, 24, v11
	v_lshlrev_b32_e32 v0, 20, v0
	v_and_b32_e32 v1, 0x80000000, v1
	v_and_b32_e32 v0, 0x700000, v0
	v_or3_b32 v127, v0, v1, v13
.LBB372_263:                            ;   in Loop: Header=BB372_16 Depth=1
	s_or_b32 exec_lo, exec_lo, s52
.LBB372_264:                            ;   in Loop: Header=BB372_16 Depth=1
	s_or_b32 exec_lo, exec_lo, s51
.LBB372_265:                            ;   in Loop: Header=BB372_16 Depth=1
	s_or_b32 exec_lo, exec_lo, s50
	v_cmp_ne_u16_sdwa s1, v11, v2 src0_sel:BYTE_1 src1_sel:DWORD
	s_and_saveexec_b32 s50, s1
	s_cbranch_execz .LBB372_273
; %bb.266:                              ;   in Loop: Header=BB372_16 Depth=1
	v_cmp_ne_u16_sdwa s1, v11, v88 src0_sel:BYTE_1 src1_sel:DWORD
	v_bfrev_b32_e32 v126, 1
	s_and_saveexec_b32 s51, s1
	s_cbranch_execz .LBB372_272
; %bb.267:                              ;   in Loop: Header=BB372_16 Depth=1
	v_and_b32_sdwa v0, v89, v11 dst_sel:DWORD dst_unused:UNUSED_PAD src0_sel:DWORD src1_sel:BYTE_1
	v_mov_b32_e32 v126, 0x7f800001
	s_mov_b32 s52, exec_lo
	v_and_b32_e32 v13, 0x7f, v0
	v_cmpx_ne_u32_e32 0x7f, v13
	s_cbranch_execz .LBB372_271
; %bb.268:                              ;   in Loop: Header=BB372_16 Depth=1
	v_and_b32_e32 v1, 7, v0
	v_lshrrev_b32_e32 v0, 3, v13
	s_mov_b32 s53, exec_lo
	v_cmpx_gt_u32_e32 8, v13
; %bb.269:                              ;   in Loop: Header=BB372_16 Depth=1
	v_ffbh_u32_e32 v0, v1
	v_min_u32_e32 v0, 32, v0
	v_subrev_nc_u32_e32 v13, 28, v0
	v_sub_nc_u32_e32 v0, 29, v0
	v_lshlrev_b64 v[13:14], v13, v[1:2]
	v_and_b32_e32 v1, 7, v13
; %bb.270:                              ;   in Loop: Header=BB372_16 Depth=1
	s_or_b32 exec_lo, exec_lo, s53
	v_lshlrev_b32_e32 v13, 16, v11
	v_lshlrev_b32_e32 v1, 20, v1
	v_lshl_add_u32 v0, v0, 23, 0x3c000000
	v_and_b32_e32 v13, 0x80000000, v13
	v_or3_b32 v126, v1, v13, v0
.LBB372_271:                            ;   in Loop: Header=BB372_16 Depth=1
	s_or_b32 exec_lo, exec_lo, s52
.LBB372_272:                            ;   in Loop: Header=BB372_16 Depth=1
	s_or_b32 exec_lo, exec_lo, s51
.LBB372_273:                            ;   in Loop: Header=BB372_16 Depth=1
	s_or_b32 exec_lo, exec_lo, s50
	v_and_b32_sdwa v0, v11, v90 dst_sel:DWORD dst_unused:UNUSED_PAD src0_sel:WORD_1 src1_sel:DWORD
	v_mov_b32_e32 v22, 0
	v_mov_b32_e32 v15, 0
	s_mov_b32 s50, exec_lo
	v_cmpx_ne_u16_e32 0, v0
	s_cbranch_execz .LBB372_281
; %bb.274:                              ;   in Loop: Header=BB372_16 Depth=1
	v_bfrev_b32_e32 v15, 1
	s_mov_b32 s51, exec_lo
	v_cmpx_ne_u16_e32 0x80, v0
	s_cbranch_execz .LBB372_280
; %bb.275:                              ;   in Loop: Header=BB372_16 Depth=1
	v_bfe_u32 v13, v11, 16, 7
	v_mov_b32_e32 v15, 0x7f800001
	s_mov_b32 s52, exec_lo
	v_cmpx_ne_u32_e32 0x7f, v13
	s_cbranch_execz .LBB372_279
; %bb.276:                              ;   in Loop: Header=BB372_16 Depth=1
	v_and_b32_sdwa v1, v11, v91 dst_sel:DWORD dst_unused:UNUSED_PAD src0_sel:WORD_1 src1_sel:DWORD
	v_lshrrev_b32_e32 v0, 3, v13
	s_mov_b32 s53, exec_lo
	v_cmpx_gt_u32_e32 8, v13
; %bb.277:                              ;   in Loop: Header=BB372_16 Depth=1
	v_ffbh_u32_e32 v0, v1
	v_min_u32_e32 v0, 32, v0
	v_subrev_nc_u32_e32 v13, 28, v0
	v_sub_nc_u32_e32 v0, 29, v0
	v_lshlrev_b64 v[13:14], v13, v[1:2]
	v_and_b32_e32 v1, 7, v13
; %bb.278:                              ;   in Loop: Header=BB372_16 Depth=1
	s_or_b32 exec_lo, exec_lo, s53
	v_lshlrev_b32_sdwa v13, v92, v11 dst_sel:DWORD dst_unused:UNUSED_PAD src0_sel:DWORD src1_sel:WORD_1
	v_lshlrev_b32_e32 v1, 20, v1
	v_lshl_add_u32 v0, v0, 23, 0x3c000000
	v_and_b32_e32 v13, 0x80000000, v13
	v_or3_b32 v15, v1, v13, v0
.LBB372_279:                            ;   in Loop: Header=BB372_16 Depth=1
	s_or_b32 exec_lo, exec_lo, s52
.LBB372_280:                            ;   in Loop: Header=BB372_16 Depth=1
	s_or_b32 exec_lo, exec_lo, s51
.LBB372_281:                            ;   in Loop: Header=BB372_16 Depth=1
	s_or_b32 exec_lo, exec_lo, s50
	s_mov_b32 s50, exec_lo
	v_cmpx_lt_u32_e32 0xffffff, v11
	s_cbranch_execz .LBB372_289
; %bb.282:                              ;   in Loop: Header=BB372_16 Depth=1
	v_cmp_ne_u32_sdwa s1, v11, v88 src0_sel:BYTE_3 src1_sel:DWORD
	v_bfrev_b32_e32 v22, 1
	s_and_saveexec_b32 s51, s1
	s_cbranch_execz .LBB372_288
; %bb.283:                              ;   in Loop: Header=BB372_16 Depth=1
	v_bfe_u32 v13, v11, 24, 7
	v_mov_b32_e32 v22, 0x7f800001
	s_mov_b32 s52, exec_lo
	v_cmpx_ne_u32_e32 0x7f, v13
	s_cbranch_execz .LBB372_287
; %bb.284:                              ;   in Loop: Header=BB372_16 Depth=1
	v_and_b32_sdwa v1, v11, v91 dst_sel:DWORD dst_unused:UNUSED_PAD src0_sel:BYTE_3 src1_sel:DWORD
	v_lshrrev_b32_e32 v0, 3, v13
	s_mov_b32 s53, exec_lo
	v_cmpx_gt_u32_e32 8, v13
; %bb.285:                              ;   in Loop: Header=BB372_16 Depth=1
	v_ffbh_u32_e32 v0, v1
	v_min_u32_e32 v0, 32, v0
	v_subrev_nc_u32_e32 v13, 28, v0
	v_sub_nc_u32_e32 v0, 29, v0
	v_lshlrev_b64 v[13:14], v13, v[1:2]
	v_and_b32_e32 v1, 7, v13
; %bb.286:                              ;   in Loop: Header=BB372_16 Depth=1
	s_or_b32 exec_lo, exec_lo, s53
	v_lshlrev_b32_sdwa v13, v92, v11 dst_sel:DWORD dst_unused:UNUSED_PAD src0_sel:DWORD src1_sel:BYTE_3
	v_lshlrev_b32_e32 v1, 20, v1
	v_lshl_add_u32 v0, v0, 23, 0x3c000000
	v_and_b32_e32 v13, 0x80000000, v13
	v_or3_b32 v22, v1, v13, v0
.LBB372_287:                            ;   in Loop: Header=BB372_16 Depth=1
	s_or_b32 exec_lo, exec_lo, s52
.LBB372_288:                            ;   in Loop: Header=BB372_16 Depth=1
	s_or_b32 exec_lo, exec_lo, s51
.LBB372_289:                            ;   in Loop: Header=BB372_16 Depth=1
	s_or_b32 exec_lo, exec_lo, s50
	v_mov_b32_e32 v1, v12
	v_cmp_ne_u16_sdwa s1, v12, v2 src0_sel:BYTE_0 src1_sel:DWORD
	v_mov_b32_e32 v23, 0
	v_mov_b32_e32 v16, 0
	s_and_saveexec_b32 s50, s1
	s_cbranch_execz .LBB372_295
; %bb.290:                              ;   in Loop: Header=BB372_16 Depth=1
	v_cmp_ne_u16_sdwa s1, v12, v88 src0_sel:BYTE_0 src1_sel:DWORD
	v_bfrev_b32_e32 v16, 1
	s_and_saveexec_b32 s51, s1
	s_cbranch_execz .LBB372_294
; %bb.291:                              ;   in Loop: Header=BB372_16 Depth=1
	v_and_b32_e32 v0, 0x7f, v12
	v_mov_b32_e32 v16, 0x7f800001
	s_mov_b32 s52, exec_lo
	v_cmpx_ne_u32_e32 0x7f, v0
	s_cbranch_execz .LBB372_293
; %bb.292:                              ;   in Loop: Header=BB372_16 Depth=1
	v_and_b32_e32 v13, 7, v12
	v_lshrrev_b32_e32 v14, 3, v0
	v_cmp_gt_u32_e64 s1, 8, v0
	v_ffbh_u32_e32 v0, v13
	v_min_u32_e32 v0, 32, v0
	v_subrev_nc_u32_e32 v13, 28, v0
	v_sub_nc_u32_e32 v0, 29, v0
	v_cndmask_b32_e64 v13, 0, v13, s1
	v_cndmask_b32_e64 v0, v14, v0, s1
	v_lshlrev_b64 v[13:14], v13, v[1:2]
	v_lshlrev_b32_e32 v14, 24, v1
	v_lshl_add_u32 v0, v0, 23, 0x3c000000
	v_lshlrev_b32_e32 v13, 20, v13
	v_and_b32_e32 v14, 0x80000000, v14
	v_and_b32_e32 v13, 0x700000, v13
	v_or3_b32 v16, v13, v14, v0
.LBB372_293:                            ;   in Loop: Header=BB372_16 Depth=1
	s_or_b32 exec_lo, exec_lo, s52
.LBB372_294:                            ;   in Loop: Header=BB372_16 Depth=1
	s_or_b32 exec_lo, exec_lo, s51
.LBB372_295:                            ;   in Loop: Header=BB372_16 Depth=1
	s_or_b32 exec_lo, exec_lo, s50
	v_cmp_ne_u16_sdwa s1, v1, v2 src0_sel:BYTE_1 src1_sel:DWORD
	s_and_saveexec_b32 s50, s1
	s_cbranch_execz .LBB372_303
; %bb.296:                              ;   in Loop: Header=BB372_16 Depth=1
	v_cmp_ne_u16_sdwa s1, v1, v88 src0_sel:BYTE_1 src1_sel:DWORD
	v_bfrev_b32_e32 v23, 1
	s_and_saveexec_b32 s51, s1
	s_cbranch_execz .LBB372_302
; %bb.297:                              ;   in Loop: Header=BB372_16 Depth=1
	v_and_b32_sdwa v0, v89, v1 dst_sel:DWORD dst_unused:UNUSED_PAD src0_sel:DWORD src1_sel:BYTE_1
	v_mov_b32_e32 v23, 0x7f800001
	s_mov_b32 s52, exec_lo
	v_and_b32_e32 v17, 0x7f, v0
	v_cmpx_ne_u32_e32 0x7f, v17
	s_cbranch_execz .LBB372_301
; %bb.298:                              ;   in Loop: Header=BB372_16 Depth=1
	v_and_b32_e32 v13, 7, v0
	v_mov_b32_e32 v14, v2
	v_lshrrev_b32_e32 v0, 3, v17
	s_mov_b32 s53, exec_lo
	v_cmpx_gt_u32_e32 8, v17
; %bb.299:                              ;   in Loop: Header=BB372_16 Depth=1
	v_ffbh_u32_e32 v0, v13
	v_min_u32_e32 v0, 32, v0
	v_subrev_nc_u32_e32 v17, 28, v0
	v_sub_nc_u32_e32 v0, 29, v0
	v_lshlrev_b64 v[13:14], v17, v[13:14]
	v_and_b32_e32 v13, 7, v13
; %bb.300:                              ;   in Loop: Header=BB372_16 Depth=1
	s_or_b32 exec_lo, exec_lo, s53
	v_lshlrev_b32_e32 v1, 16, v1
	v_lshlrev_b32_e32 v13, 20, v13
	v_lshl_add_u32 v0, v0, 23, 0x3c000000
	v_and_b32_e32 v1, 0x80000000, v1
	v_or3_b32 v23, v13, v1, v0
.LBB372_301:                            ;   in Loop: Header=BB372_16 Depth=1
	s_or_b32 exec_lo, exec_lo, s52
.LBB372_302:                            ;   in Loop: Header=BB372_16 Depth=1
	s_or_b32 exec_lo, exec_lo, s51
.LBB372_303:                            ;   in Loop: Header=BB372_16 Depth=1
	s_or_b32 exec_lo, exec_lo, s50
	v_and_b32_sdwa v1, v12, v90 dst_sel:DWORD dst_unused:UNUSED_PAD src0_sel:WORD_1 src1_sel:DWORD
	v_mov_b32_e32 v0, 0
	v_mov_b32_e32 v17, 0
	s_mov_b32 s50, exec_lo
	v_cmpx_ne_u16_e32 0, v1
	s_cbranch_execz .LBB372_311
; %bb.304:                              ;   in Loop: Header=BB372_16 Depth=1
	v_bfrev_b32_e32 v17, 1
	s_mov_b32 s51, exec_lo
	v_cmpx_ne_u16_e32 0x80, v1
	s_cbranch_execz .LBB372_310
; %bb.305:                              ;   in Loop: Header=BB372_16 Depth=1
	v_bfe_u32 v14, v12, 16, 7
	v_mov_b32_e32 v17, 0x7f800001
	s_mov_b32 s52, exec_lo
	v_cmpx_ne_u32_e32 0x7f, v14
	s_cbranch_execz .LBB372_309
; %bb.306:                              ;   in Loop: Header=BB372_16 Depth=1
	v_and_b32_sdwa v1, v12, v91 dst_sel:DWORD dst_unused:UNUSED_PAD src0_sel:WORD_1 src1_sel:DWORD
	v_lshrrev_b32_e32 v13, 3, v14
	s_mov_b32 s53, exec_lo
	v_cmpx_gt_u32_e32 8, v14
; %bb.307:                              ;   in Loop: Header=BB372_16 Depth=1
	v_ffbh_u32_e32 v13, v1
	v_min_u32_e32 v13, 32, v13
	v_subrev_nc_u32_e32 v14, 28, v13
	v_sub_nc_u32_e32 v13, 29, v13
	v_lshlrev_b64 v[17:18], v14, v[1:2]
	v_and_b32_e32 v1, 7, v17
; %bb.308:                              ;   in Loop: Header=BB372_16 Depth=1
	s_or_b32 exec_lo, exec_lo, s53
	v_lshlrev_b32_sdwa v14, v92, v12 dst_sel:DWORD dst_unused:UNUSED_PAD src0_sel:DWORD src1_sel:WORD_1
	v_lshlrev_b32_e32 v1, 20, v1
	v_lshl_add_u32 v13, v13, 23, 0x3c000000
	v_and_b32_e32 v14, 0x80000000, v14
	v_or3_b32 v17, v1, v14, v13
.LBB372_309:                            ;   in Loop: Header=BB372_16 Depth=1
	s_or_b32 exec_lo, exec_lo, s52
.LBB372_310:                            ;   in Loop: Header=BB372_16 Depth=1
	s_or_b32 exec_lo, exec_lo, s51
.LBB372_311:                            ;   in Loop: Header=BB372_16 Depth=1
	s_or_b32 exec_lo, exec_lo, s50
	s_mov_b32 s50, exec_lo
	v_cmpx_lt_u64_e64 s[4:5], v[11:12]
	s_cbranch_execz .LBB372_319
; %bb.312:                              ;   in Loop: Header=BB372_16 Depth=1
	v_cmp_ne_u32_sdwa s1, v12, v88 src0_sel:BYTE_3 src1_sel:DWORD
	v_bfrev_b32_e32 v0, 1
	s_and_saveexec_b32 s51, s1
	s_cbranch_execz .LBB372_318
; %bb.313:                              ;   in Loop: Header=BB372_16 Depth=1
	v_bfe_u32 v11, v12, 24, 7
	v_mov_b32_e32 v0, 0x7f800001
	s_mov_b32 s52, exec_lo
	v_cmpx_ne_u32_e32 0x7f, v11
	s_cbranch_execz .LBB372_317
; %bb.314:                              ;   in Loop: Header=BB372_16 Depth=1
	v_and_b32_sdwa v1, v12, v91 dst_sel:DWORD dst_unused:UNUSED_PAD src0_sel:BYTE_3 src1_sel:DWORD
	v_lshrrev_b32_e32 v0, 3, v11
	s_mov_b32 s53, exec_lo
	v_cmpx_gt_u32_e32 8, v11
; %bb.315:                              ;   in Loop: Header=BB372_16 Depth=1
	v_ffbh_u32_e32 v0, v1
	v_min_u32_e32 v0, 32, v0
	v_subrev_nc_u32_e32 v11, 28, v0
	v_sub_nc_u32_e32 v0, 29, v0
	v_lshlrev_b64 v[13:14], v11, v[1:2]
	v_and_b32_e32 v1, 7, v13
; %bb.316:                              ;   in Loop: Header=BB372_16 Depth=1
	s_or_b32 exec_lo, exec_lo, s53
	v_lshlrev_b32_sdwa v11, v92, v12 dst_sel:DWORD dst_unused:UNUSED_PAD src0_sel:DWORD src1_sel:BYTE_3
	v_lshlrev_b32_e32 v1, 20, v1
	v_lshl_add_u32 v0, v0, 23, 0x3c000000
	v_and_b32_e32 v11, 0x80000000, v11
	v_or3_b32 v0, v1, v11, v0
.LBB372_317:                            ;   in Loop: Header=BB372_16 Depth=1
	s_or_b32 exec_lo, exec_lo, s52
.LBB372_318:                            ;   in Loop: Header=BB372_16 Depth=1
	s_or_b32 exec_lo, exec_lo, s51
.LBB372_319:                            ;   in Loop: Header=BB372_16 Depth=1
	s_or_b32 exec_lo, exec_lo, s50
	global_load_dwordx2 v[11:12], v[7:8], off offset:1032
	v_mov_b32_e32 v18, 0
	v_mov_b32_e32 v19, 0
	s_waitcnt vmcnt(0)
	v_cmp_ne_u16_sdwa s1, v11, v2 src0_sel:BYTE_0 src1_sel:DWORD
	s_and_saveexec_b32 s50, s1
	s_cbranch_execz .LBB372_325
; %bb.320:                              ;   in Loop: Header=BB372_16 Depth=1
	v_cmp_ne_u16_sdwa s1, v11, v88 src0_sel:BYTE_0 src1_sel:DWORD
	v_bfrev_b32_e32 v19, 1
	s_and_saveexec_b32 s51, s1
	s_cbranch_execz .LBB372_324
; %bb.321:                              ;   in Loop: Header=BB372_16 Depth=1
	v_and_b32_e32 v1, 0x7f, v11
	v_mov_b32_e32 v19, 0x7f800001
	s_mov_b32 s52, exec_lo
	v_cmpx_ne_u32_e32 0x7f, v1
	s_cbranch_execz .LBB372_323
; %bb.322:                              ;   in Loop: Header=BB372_16 Depth=1
	v_and_b32_e32 v13, 7, v11
	v_lshrrev_b32_e32 v14, 3, v1
	v_cmp_gt_u32_e64 s1, 8, v1
	v_ffbh_u32_e32 v1, v13
	v_min_u32_e32 v1, 32, v1
	v_subrev_nc_u32_e32 v13, 28, v1
	v_sub_nc_u32_e32 v1, 29, v1
	v_cndmask_b32_e64 v13, 0, v13, s1
	v_cndmask_b32_e64 v1, v14, v1, s1
	v_lshlrev_b64 v[13:14], v13, v[11:12]
	v_lshlrev_b32_e32 v14, 24, v11
	v_lshl_add_u32 v1, v1, 23, 0x3c000000
	v_lshlrev_b32_e32 v13, 20, v13
	v_and_b32_e32 v14, 0x80000000, v14
	v_and_b32_e32 v13, 0x700000, v13
	v_or3_b32 v19, v13, v14, v1
.LBB372_323:                            ;   in Loop: Header=BB372_16 Depth=1
	s_or_b32 exec_lo, exec_lo, s52
.LBB372_324:                            ;   in Loop: Header=BB372_16 Depth=1
	s_or_b32 exec_lo, exec_lo, s51
.LBB372_325:                            ;   in Loop: Header=BB372_16 Depth=1
	s_or_b32 exec_lo, exec_lo, s50
	v_cmp_ne_u16_sdwa s1, v11, v2 src0_sel:BYTE_1 src1_sel:DWORD
	s_and_saveexec_b32 s50, s1
	s_cbranch_execz .LBB372_333
; %bb.326:                              ;   in Loop: Header=BB372_16 Depth=1
	v_cmp_ne_u16_sdwa s1, v11, v88 src0_sel:BYTE_1 src1_sel:DWORD
	v_bfrev_b32_e32 v18, 1
	s_and_saveexec_b32 s51, s1
	s_cbranch_execz .LBB372_332
; %bb.327:                              ;   in Loop: Header=BB372_16 Depth=1
	v_and_b32_sdwa v1, v89, v11 dst_sel:DWORD dst_unused:UNUSED_PAD src0_sel:DWORD src1_sel:BYTE_1
	v_mov_b32_e32 v18, 0x7f800001
	s_mov_b32 s52, exec_lo
	v_and_b32_e32 v14, 0x7f, v1
	v_cmpx_ne_u32_e32 0x7f, v14
	s_cbranch_execz .LBB372_331
; %bb.328:                              ;   in Loop: Header=BB372_16 Depth=1
	v_and_b32_e32 v1, 7, v1
	v_lshrrev_b32_e32 v13, 3, v14
	s_mov_b32 s53, exec_lo
	v_cmpx_gt_u32_e32 8, v14
; %bb.329:                              ;   in Loop: Header=BB372_16 Depth=1
	v_ffbh_u32_e32 v13, v1
	v_min_u32_e32 v13, 32, v13
	v_subrev_nc_u32_e32 v14, 28, v13
	v_sub_nc_u32_e32 v13, 29, v13
	v_lshlrev_b64 v[20:21], v14, v[1:2]
	v_and_b32_e32 v1, 7, v20
; %bb.330:                              ;   in Loop: Header=BB372_16 Depth=1
	s_or_b32 exec_lo, exec_lo, s53
	v_lshlrev_b32_e32 v14, 16, v11
	v_lshlrev_b32_e32 v1, 20, v1
	v_lshl_add_u32 v13, v13, 23, 0x3c000000
	v_and_b32_e32 v14, 0x80000000, v14
	v_or3_b32 v18, v1, v14, v13
.LBB372_331:                            ;   in Loop: Header=BB372_16 Depth=1
	s_or_b32 exec_lo, exec_lo, s52
.LBB372_332:                            ;   in Loop: Header=BB372_16 Depth=1
	s_or_b32 exec_lo, exec_lo, s51
.LBB372_333:                            ;   in Loop: Header=BB372_16 Depth=1
	s_or_b32 exec_lo, exec_lo, s50
	v_and_b32_sdwa v1, v11, v90 dst_sel:DWORD dst_unused:UNUSED_PAD src0_sel:WORD_1 src1_sel:DWORD
	v_mov_b32_e32 v21, 0
	v_mov_b32_e32 v20, 0
	s_mov_b32 s50, exec_lo
	v_cmpx_ne_u16_e32 0, v1
	s_cbranch_execz .LBB372_341
; %bb.334:                              ;   in Loop: Header=BB372_16 Depth=1
	v_bfrev_b32_e32 v20, 1
	s_mov_b32 s51, exec_lo
	v_cmpx_ne_u16_e32 0x80, v1
	s_cbranch_execz .LBB372_340
; %bb.335:                              ;   in Loop: Header=BB372_16 Depth=1
	v_bfe_u32 v14, v11, 16, 7
	v_mov_b32_e32 v20, 0x7f800001
	s_mov_b32 s52, exec_lo
	v_cmpx_ne_u32_e32 0x7f, v14
	s_cbranch_execz .LBB372_339
; %bb.336:                              ;   in Loop: Header=BB372_16 Depth=1
	v_and_b32_sdwa v1, v11, v91 dst_sel:DWORD dst_unused:UNUSED_PAD src0_sel:WORD_1 src1_sel:DWORD
	v_lshrrev_b32_e32 v13, 3, v14
	s_mov_b32 s53, exec_lo
	v_cmpx_gt_u32_e32 8, v14
; %bb.337:                              ;   in Loop: Header=BB372_16 Depth=1
	v_ffbh_u32_e32 v13, v1
	v_min_u32_e32 v13, 32, v13
	v_subrev_nc_u32_e32 v14, 28, v13
	v_sub_nc_u32_e32 v13, 29, v13
	v_lshlrev_b64 v[25:26], v14, v[1:2]
	v_and_b32_e32 v1, 7, v25
; %bb.338:                              ;   in Loop: Header=BB372_16 Depth=1
	s_or_b32 exec_lo, exec_lo, s53
	v_lshlrev_b32_sdwa v14, v92, v11 dst_sel:DWORD dst_unused:UNUSED_PAD src0_sel:DWORD src1_sel:WORD_1
	v_lshlrev_b32_e32 v1, 20, v1
	v_lshl_add_u32 v13, v13, 23, 0x3c000000
	v_and_b32_e32 v14, 0x80000000, v14
	v_or3_b32 v20, v1, v14, v13
.LBB372_339:                            ;   in Loop: Header=BB372_16 Depth=1
	s_or_b32 exec_lo, exec_lo, s52
.LBB372_340:                            ;   in Loop: Header=BB372_16 Depth=1
	s_or_b32 exec_lo, exec_lo, s51
.LBB372_341:                            ;   in Loop: Header=BB372_16 Depth=1
	s_or_b32 exec_lo, exec_lo, s50
	s_mov_b32 s50, exec_lo
	v_cmpx_lt_u32_e32 0xffffff, v11
	s_cbranch_execz .LBB372_349
; %bb.342:                              ;   in Loop: Header=BB372_16 Depth=1
	v_cmp_ne_u32_sdwa s1, v11, v88 src0_sel:BYTE_3 src1_sel:DWORD
	v_bfrev_b32_e32 v21, 1
	s_and_saveexec_b32 s51, s1
	s_cbranch_execz .LBB372_348
; %bb.343:                              ;   in Loop: Header=BB372_16 Depth=1
	v_bfe_u32 v14, v11, 24, 7
	v_mov_b32_e32 v21, 0x7f800001
	s_mov_b32 s52, exec_lo
	v_cmpx_ne_u32_e32 0x7f, v14
	s_cbranch_execz .LBB372_347
; %bb.344:                              ;   in Loop: Header=BB372_16 Depth=1
	v_and_b32_sdwa v1, v11, v91 dst_sel:DWORD dst_unused:UNUSED_PAD src0_sel:BYTE_3 src1_sel:DWORD
	v_lshrrev_b32_e32 v13, 3, v14
	s_mov_b32 s53, exec_lo
	v_cmpx_gt_u32_e32 8, v14
; %bb.345:                              ;   in Loop: Header=BB372_16 Depth=1
	v_ffbh_u32_e32 v13, v1
	v_min_u32_e32 v13, 32, v13
	v_subrev_nc_u32_e32 v14, 28, v13
	v_sub_nc_u32_e32 v13, 29, v13
	v_lshlrev_b64 v[25:26], v14, v[1:2]
	v_and_b32_e32 v1, 7, v25
; %bb.346:                              ;   in Loop: Header=BB372_16 Depth=1
	s_or_b32 exec_lo, exec_lo, s53
	v_lshlrev_b32_sdwa v14, v92, v11 dst_sel:DWORD dst_unused:UNUSED_PAD src0_sel:DWORD src1_sel:BYTE_3
	v_lshlrev_b32_e32 v1, 20, v1
	v_lshl_add_u32 v13, v13, 23, 0x3c000000
	v_and_b32_e32 v14, 0x80000000, v14
	v_or3_b32 v21, v1, v14, v13
.LBB372_347:                            ;   in Loop: Header=BB372_16 Depth=1
	s_or_b32 exec_lo, exec_lo, s52
.LBB372_348:                            ;   in Loop: Header=BB372_16 Depth=1
	s_or_b32 exec_lo, exec_lo, s51
.LBB372_349:                            ;   in Loop: Header=BB372_16 Depth=1
	s_or_b32 exec_lo, exec_lo, s50
	v_mov_b32_e32 v1, v12
	v_cmp_ne_u16_sdwa s1, v12, v2 src0_sel:BYTE_0 src1_sel:DWORD
	v_mov_b32_e32 v25, 0
	v_mov_b32_e32 v26, 0
	s_and_saveexec_b32 s50, s1
	s_cbranch_execz .LBB372_355
; %bb.350:                              ;   in Loop: Header=BB372_16 Depth=1
	v_cmp_ne_u16_sdwa s1, v12, v88 src0_sel:BYTE_0 src1_sel:DWORD
	v_bfrev_b32_e32 v26, 1
	s_and_saveexec_b32 s51, s1
	s_cbranch_execz .LBB372_354
; %bb.351:                              ;   in Loop: Header=BB372_16 Depth=1
	v_and_b32_e32 v13, 0x7f, v12
	v_mov_b32_e32 v26, 0x7f800001
	s_mov_b32 s52, exec_lo
	v_cmpx_ne_u32_e32 0x7f, v13
	s_cbranch_execz .LBB372_353
; %bb.352:                              ;   in Loop: Header=BB372_16 Depth=1
	v_and_b32_e32 v14, 7, v12
	v_lshrrev_b32_e32 v26, 3, v13
	v_cmp_gt_u32_e64 s1, 8, v13
	v_ffbh_u32_e32 v13, v14
	v_min_u32_e32 v13, 32, v13
	v_subrev_nc_u32_e32 v14, 28, v13
	v_sub_nc_u32_e32 v13, 29, v13
	v_cndmask_b32_e64 v26, v26, v13, s1
	v_cndmask_b32_e64 v13, 0, v14, s1
	v_lshl_add_u32 v26, v26, 23, 0x3c000000
	v_lshlrev_b64 v[13:14], v13, v[1:2]
	v_lshlrev_b32_e32 v14, 24, v1
	v_lshlrev_b32_e32 v13, 20, v13
	v_and_b32_e32 v14, 0x80000000, v14
	v_and_b32_e32 v13, 0x700000, v13
	v_or3_b32 v26, v13, v14, v26
.LBB372_353:                            ;   in Loop: Header=BB372_16 Depth=1
	s_or_b32 exec_lo, exec_lo, s52
.LBB372_354:                            ;   in Loop: Header=BB372_16 Depth=1
	s_or_b32 exec_lo, exec_lo, s51
.LBB372_355:                            ;   in Loop: Header=BB372_16 Depth=1
	s_or_b32 exec_lo, exec_lo, s50
	v_cmp_ne_u16_sdwa s1, v1, v2 src0_sel:BYTE_1 src1_sel:DWORD
	s_and_saveexec_b32 s50, s1
	s_cbranch_execz .LBB372_363
; %bb.356:                              ;   in Loop: Header=BB372_16 Depth=1
	v_cmp_ne_u16_sdwa s1, v1, v88 src0_sel:BYTE_1 src1_sel:DWORD
	v_bfrev_b32_e32 v25, 1
	s_and_saveexec_b32 s51, s1
	s_cbranch_execz .LBB372_362
; %bb.357:                              ;   in Loop: Header=BB372_16 Depth=1
	v_and_b32_sdwa v13, v89, v1 dst_sel:DWORD dst_unused:UNUSED_PAD src0_sel:DWORD src1_sel:BYTE_1
	v_mov_b32_e32 v25, 0x7f800001
	s_mov_b32 s52, exec_lo
	v_and_b32_e32 v27, 0x7f, v13
	v_cmpx_ne_u32_e32 0x7f, v27
	s_cbranch_execz .LBB372_361
; %bb.358:                              ;   in Loop: Header=BB372_16 Depth=1
	v_and_b32_e32 v13, 7, v13
	v_mov_b32_e32 v14, v2
	v_lshrrev_b32_e32 v25, 3, v27
	s_mov_b32 s53, exec_lo
	v_cmpx_gt_u32_e32 8, v27
; %bb.359:                              ;   in Loop: Header=BB372_16 Depth=1
	v_ffbh_u32_e32 v25, v13
	v_min_u32_e32 v25, 32, v25
	v_subrev_nc_u32_e32 v27, 28, v25
	v_sub_nc_u32_e32 v25, 29, v25
	v_lshlrev_b64 v[13:14], v27, v[13:14]
	v_and_b32_e32 v13, 7, v13
; %bb.360:                              ;   in Loop: Header=BB372_16 Depth=1
	s_or_b32 exec_lo, exec_lo, s53
	v_lshlrev_b32_e32 v1, 16, v1
	v_lshlrev_b32_e32 v13, 20, v13
	v_lshl_add_u32 v14, v25, 23, 0x3c000000
	v_and_b32_e32 v1, 0x80000000, v1
	v_or3_b32 v25, v13, v1, v14
.LBB372_361:                            ;   in Loop: Header=BB372_16 Depth=1
	s_or_b32 exec_lo, exec_lo, s52
.LBB372_362:                            ;   in Loop: Header=BB372_16 Depth=1
	s_or_b32 exec_lo, exec_lo, s51
.LBB372_363:                            ;   in Loop: Header=BB372_16 Depth=1
	s_or_b32 exec_lo, exec_lo, s50
	v_and_b32_sdwa v1, v12, v90 dst_sel:DWORD dst_unused:UNUSED_PAD src0_sel:WORD_1 src1_sel:DWORD
	v_mov_b32_e32 v27, 0
	v_mov_b32_e32 v28, 0
	s_mov_b32 s50, exec_lo
	v_cmpx_ne_u16_e32 0, v1
	s_cbranch_execz .LBB372_371
; %bb.364:                              ;   in Loop: Header=BB372_16 Depth=1
	v_bfrev_b32_e32 v28, 1
	s_mov_b32 s51, exec_lo
	v_cmpx_ne_u16_e32 0x80, v1
	s_cbranch_execz .LBB372_370
; %bb.365:                              ;   in Loop: Header=BB372_16 Depth=1
	v_bfe_u32 v14, v12, 16, 7
	v_mov_b32_e32 v28, 0x7f800001
	s_mov_b32 s52, exec_lo
	v_cmpx_ne_u32_e32 0x7f, v14
	s_cbranch_execz .LBB372_369
; %bb.366:                              ;   in Loop: Header=BB372_16 Depth=1
	v_and_b32_sdwa v1, v12, v91 dst_sel:DWORD dst_unused:UNUSED_PAD src0_sel:WORD_1 src1_sel:DWORD
	v_lshrrev_b32_e32 v13, 3, v14
	s_mov_b32 s53, exec_lo
	v_cmpx_gt_u32_e32 8, v14
; %bb.367:                              ;   in Loop: Header=BB372_16 Depth=1
	v_ffbh_u32_e32 v13, v1
	v_min_u32_e32 v13, 32, v13
	v_subrev_nc_u32_e32 v14, 28, v13
	v_sub_nc_u32_e32 v13, 29, v13
	v_lshlrev_b64 v[28:29], v14, v[1:2]
	v_and_b32_e32 v1, 7, v28
; %bb.368:                              ;   in Loop: Header=BB372_16 Depth=1
	s_or_b32 exec_lo, exec_lo, s53
	v_lshlrev_b32_sdwa v14, v92, v12 dst_sel:DWORD dst_unused:UNUSED_PAD src0_sel:DWORD src1_sel:WORD_1
	v_lshlrev_b32_e32 v1, 20, v1
	v_lshl_add_u32 v13, v13, 23, 0x3c000000
	v_and_b32_e32 v14, 0x80000000, v14
	v_or3_b32 v28, v1, v14, v13
.LBB372_369:                            ;   in Loop: Header=BB372_16 Depth=1
	s_or_b32 exec_lo, exec_lo, s52
.LBB372_370:                            ;   in Loop: Header=BB372_16 Depth=1
	s_or_b32 exec_lo, exec_lo, s51
.LBB372_371:                            ;   in Loop: Header=BB372_16 Depth=1
	s_or_b32 exec_lo, exec_lo, s50
	s_mov_b32 s50, exec_lo
	v_cmpx_lt_u64_e64 s[4:5], v[11:12]
	s_cbranch_execz .LBB372_379
; %bb.372:                              ;   in Loop: Header=BB372_16 Depth=1
	v_cmp_ne_u32_sdwa s1, v12, v88 src0_sel:BYTE_3 src1_sel:DWORD
	v_bfrev_b32_e32 v27, 1
	s_and_saveexec_b32 s51, s1
	s_cbranch_execz .LBB372_378
; %bb.373:                              ;   in Loop: Header=BB372_16 Depth=1
	v_bfe_u32 v13, v12, 24, 7
	v_mov_b32_e32 v27, 0x7f800001
	s_mov_b32 s52, exec_lo
	v_cmpx_ne_u32_e32 0x7f, v13
	s_cbranch_execz .LBB372_377
; %bb.374:                              ;   in Loop: Header=BB372_16 Depth=1
	v_and_b32_sdwa v1, v12, v91 dst_sel:DWORD dst_unused:UNUSED_PAD src0_sel:BYTE_3 src1_sel:DWORD
	v_lshrrev_b32_e32 v11, 3, v13
	s_mov_b32 s53, exec_lo
	v_cmpx_gt_u32_e32 8, v13
; %bb.375:                              ;   in Loop: Header=BB372_16 Depth=1
	v_ffbh_u32_e32 v11, v1
	v_min_u32_e32 v11, 32, v11
	v_subrev_nc_u32_e32 v13, 28, v11
	v_sub_nc_u32_e32 v11, 29, v11
	v_lshlrev_b64 v[13:14], v13, v[1:2]
	v_and_b32_e32 v1, 7, v13
; %bb.376:                              ;   in Loop: Header=BB372_16 Depth=1
	s_or_b32 exec_lo, exec_lo, s53
	v_lshlrev_b32_sdwa v12, v92, v12 dst_sel:DWORD dst_unused:UNUSED_PAD src0_sel:DWORD src1_sel:BYTE_3
	v_lshlrev_b32_e32 v1, 20, v1
	v_lshl_add_u32 v11, v11, 23, 0x3c000000
	v_and_b32_e32 v12, 0x80000000, v12
	v_or3_b32 v27, v1, v12, v11
.LBB372_377:                            ;   in Loop: Header=BB372_16 Depth=1
	s_or_b32 exec_lo, exec_lo, s52
.LBB372_378:                            ;   in Loop: Header=BB372_16 Depth=1
	s_or_b32 exec_lo, exec_lo, s51
.LBB372_379:                            ;   in Loop: Header=BB372_16 Depth=1
	s_or_b32 exec_lo, exec_lo, s50
	global_load_dwordx2 v[11:12], v[7:8], off offset:1536
	v_mov_b32_e32 v29, 0
	v_mov_b32_e32 v30, 0
	s_waitcnt vmcnt(0)
	v_cmp_ne_u16_sdwa s1, v11, v2 src0_sel:BYTE_0 src1_sel:DWORD
	s_and_saveexec_b32 s50, s1
	s_cbranch_execz .LBB372_385
; %bb.380:                              ;   in Loop: Header=BB372_16 Depth=1
	v_cmp_ne_u16_sdwa s1, v11, v88 src0_sel:BYTE_0 src1_sel:DWORD
	v_bfrev_b32_e32 v30, 1
	s_and_saveexec_b32 s51, s1
	s_cbranch_execz .LBB372_384
; %bb.381:                              ;   in Loop: Header=BB372_16 Depth=1
	v_and_b32_e32 v1, 0x7f, v11
	v_mov_b32_e32 v30, 0x7f800001
	s_mov_b32 s52, exec_lo
	v_cmpx_ne_u32_e32 0x7f, v1
	s_cbranch_execz .LBB372_383
; %bb.382:                              ;   in Loop: Header=BB372_16 Depth=1
	v_and_b32_e32 v13, 7, v11
	v_lshrrev_b32_e32 v14, 3, v1
	v_cmp_gt_u32_e64 s1, 8, v1
	v_ffbh_u32_e32 v1, v13
	v_min_u32_e32 v1, 32, v1
	v_subrev_nc_u32_e32 v13, 28, v1
	v_sub_nc_u32_e32 v1, 29, v1
	v_cndmask_b32_e64 v13, 0, v13, s1
	v_cndmask_b32_e64 v1, v14, v1, s1
	v_lshlrev_b64 v[13:14], v13, v[11:12]
	v_lshlrev_b32_e32 v14, 24, v11
	v_lshl_add_u32 v1, v1, 23, 0x3c000000
	v_lshlrev_b32_e32 v13, 20, v13
	v_and_b32_e32 v14, 0x80000000, v14
	v_and_b32_e32 v13, 0x700000, v13
	v_or3_b32 v30, v13, v14, v1
.LBB372_383:                            ;   in Loop: Header=BB372_16 Depth=1
	s_or_b32 exec_lo, exec_lo, s52
.LBB372_384:                            ;   in Loop: Header=BB372_16 Depth=1
	s_or_b32 exec_lo, exec_lo, s51
.LBB372_385:                            ;   in Loop: Header=BB372_16 Depth=1
	s_or_b32 exec_lo, exec_lo, s50
	v_cmp_ne_u16_sdwa s1, v11, v2 src0_sel:BYTE_1 src1_sel:DWORD
	s_and_saveexec_b32 s50, s1
	s_cbranch_execz .LBB372_393
; %bb.386:                              ;   in Loop: Header=BB372_16 Depth=1
	v_cmp_ne_u16_sdwa s1, v11, v88 src0_sel:BYTE_1 src1_sel:DWORD
	v_bfrev_b32_e32 v29, 1
	s_and_saveexec_b32 s51, s1
	s_cbranch_execz .LBB372_392
; %bb.387:                              ;   in Loop: Header=BB372_16 Depth=1
	v_and_b32_sdwa v1, v89, v11 dst_sel:DWORD dst_unused:UNUSED_PAD src0_sel:DWORD src1_sel:BYTE_1
	v_mov_b32_e32 v29, 0x7f800001
	s_mov_b32 s52, exec_lo
	v_and_b32_e32 v14, 0x7f, v1
	v_cmpx_ne_u32_e32 0x7f, v14
	s_cbranch_execz .LBB372_391
; %bb.388:                              ;   in Loop: Header=BB372_16 Depth=1
	v_and_b32_e32 v1, 7, v1
	v_lshrrev_b32_e32 v13, 3, v14
	s_mov_b32 s53, exec_lo
	v_cmpx_gt_u32_e32 8, v14
; %bb.389:                              ;   in Loop: Header=BB372_16 Depth=1
	v_ffbh_u32_e32 v13, v1
	v_min_u32_e32 v13, 32, v13
	v_subrev_nc_u32_e32 v14, 28, v13
	v_sub_nc_u32_e32 v13, 29, v13
	v_lshlrev_b64 v[31:32], v14, v[1:2]
	v_and_b32_e32 v1, 7, v31
; %bb.390:                              ;   in Loop: Header=BB372_16 Depth=1
	s_or_b32 exec_lo, exec_lo, s53
	v_lshlrev_b32_e32 v14, 16, v11
	v_lshlrev_b32_e32 v1, 20, v1
	v_lshl_add_u32 v13, v13, 23, 0x3c000000
	v_and_b32_e32 v14, 0x80000000, v14
	v_or3_b32 v29, v1, v14, v13
.LBB372_391:                            ;   in Loop: Header=BB372_16 Depth=1
	s_or_b32 exec_lo, exec_lo, s52
.LBB372_392:                            ;   in Loop: Header=BB372_16 Depth=1
	s_or_b32 exec_lo, exec_lo, s51
.LBB372_393:                            ;   in Loop: Header=BB372_16 Depth=1
	s_or_b32 exec_lo, exec_lo, s50
	v_and_b32_sdwa v1, v11, v90 dst_sel:DWORD dst_unused:UNUSED_PAD src0_sel:WORD_1 src1_sel:DWORD
	v_mov_b32_e32 v32, 0
	v_mov_b32_e32 v31, 0
	s_mov_b32 s50, exec_lo
	v_cmpx_ne_u16_e32 0, v1
	s_cbranch_execz .LBB372_401
; %bb.394:                              ;   in Loop: Header=BB372_16 Depth=1
	v_bfrev_b32_e32 v31, 1
	s_mov_b32 s51, exec_lo
	v_cmpx_ne_u16_e32 0x80, v1
	s_cbranch_execz .LBB372_400
; %bb.395:                              ;   in Loop: Header=BB372_16 Depth=1
	v_bfe_u32 v14, v11, 16, 7
	v_mov_b32_e32 v31, 0x7f800001
	s_mov_b32 s52, exec_lo
	v_cmpx_ne_u32_e32 0x7f, v14
	s_cbranch_execz .LBB372_399
; %bb.396:                              ;   in Loop: Header=BB372_16 Depth=1
	v_and_b32_sdwa v1, v11, v91 dst_sel:DWORD dst_unused:UNUSED_PAD src0_sel:WORD_1 src1_sel:DWORD
	v_lshrrev_b32_e32 v13, 3, v14
	s_mov_b32 s53, exec_lo
	v_cmpx_gt_u32_e32 8, v14
; %bb.397:                              ;   in Loop: Header=BB372_16 Depth=1
	v_ffbh_u32_e32 v13, v1
	v_min_u32_e32 v13, 32, v13
	v_subrev_nc_u32_e32 v14, 28, v13
	v_sub_nc_u32_e32 v13, 29, v13
	v_lshlrev_b64 v[33:34], v14, v[1:2]
	v_and_b32_e32 v1, 7, v33
; %bb.398:                              ;   in Loop: Header=BB372_16 Depth=1
	s_or_b32 exec_lo, exec_lo, s53
	v_lshlrev_b32_sdwa v14, v92, v11 dst_sel:DWORD dst_unused:UNUSED_PAD src0_sel:DWORD src1_sel:WORD_1
	v_lshlrev_b32_e32 v1, 20, v1
	v_lshl_add_u32 v13, v13, 23, 0x3c000000
	v_and_b32_e32 v14, 0x80000000, v14
	v_or3_b32 v31, v1, v14, v13
.LBB372_399:                            ;   in Loop: Header=BB372_16 Depth=1
	s_or_b32 exec_lo, exec_lo, s52
.LBB372_400:                            ;   in Loop: Header=BB372_16 Depth=1
	s_or_b32 exec_lo, exec_lo, s51
.LBB372_401:                            ;   in Loop: Header=BB372_16 Depth=1
	s_or_b32 exec_lo, exec_lo, s50
	s_mov_b32 s50, exec_lo
	v_cmpx_lt_u32_e32 0xffffff, v11
	s_cbranch_execz .LBB372_409
; %bb.402:                              ;   in Loop: Header=BB372_16 Depth=1
	v_cmp_ne_u32_sdwa s1, v11, v88 src0_sel:BYTE_3 src1_sel:DWORD
	v_bfrev_b32_e32 v32, 1
	s_and_saveexec_b32 s51, s1
	s_cbranch_execz .LBB372_408
; %bb.403:                              ;   in Loop: Header=BB372_16 Depth=1
	v_bfe_u32 v14, v11, 24, 7
	v_mov_b32_e32 v32, 0x7f800001
	s_mov_b32 s52, exec_lo
	v_cmpx_ne_u32_e32 0x7f, v14
	s_cbranch_execz .LBB372_407
; %bb.404:                              ;   in Loop: Header=BB372_16 Depth=1
	v_and_b32_sdwa v1, v11, v91 dst_sel:DWORD dst_unused:UNUSED_PAD src0_sel:BYTE_3 src1_sel:DWORD
	v_lshrrev_b32_e32 v13, 3, v14
	s_mov_b32 s53, exec_lo
	v_cmpx_gt_u32_e32 8, v14
; %bb.405:                              ;   in Loop: Header=BB372_16 Depth=1
	v_ffbh_u32_e32 v13, v1
	v_min_u32_e32 v13, 32, v13
	v_subrev_nc_u32_e32 v14, 28, v13
	v_sub_nc_u32_e32 v13, 29, v13
	v_lshlrev_b64 v[32:33], v14, v[1:2]
	v_and_b32_e32 v1, 7, v32
; %bb.406:                              ;   in Loop: Header=BB372_16 Depth=1
	s_or_b32 exec_lo, exec_lo, s53
	v_lshlrev_b32_sdwa v14, v92, v11 dst_sel:DWORD dst_unused:UNUSED_PAD src0_sel:DWORD src1_sel:BYTE_3
	v_lshlrev_b32_e32 v1, 20, v1
	v_lshl_add_u32 v13, v13, 23, 0x3c000000
	v_and_b32_e32 v14, 0x80000000, v14
	v_or3_b32 v32, v1, v14, v13
.LBB372_407:                            ;   in Loop: Header=BB372_16 Depth=1
	s_or_b32 exec_lo, exec_lo, s52
.LBB372_408:                            ;   in Loop: Header=BB372_16 Depth=1
	s_or_b32 exec_lo, exec_lo, s51
.LBB372_409:                            ;   in Loop: Header=BB372_16 Depth=1
	s_or_b32 exec_lo, exec_lo, s50
	v_mov_b32_e32 v1, v12
	v_cmp_ne_u16_sdwa s1, v12, v2 src0_sel:BYTE_0 src1_sel:DWORD
	v_mov_b32_e32 v33, 0
	v_mov_b32_e32 v34, 0
	s_and_saveexec_b32 s50, s1
	s_cbranch_execz .LBB372_415
; %bb.410:                              ;   in Loop: Header=BB372_16 Depth=1
	v_cmp_ne_u16_sdwa s1, v12, v88 src0_sel:BYTE_0 src1_sel:DWORD
	v_bfrev_b32_e32 v34, 1
	s_and_saveexec_b32 s51, s1
	s_cbranch_execz .LBB372_414
; %bb.411:                              ;   in Loop: Header=BB372_16 Depth=1
	v_and_b32_e32 v13, 0x7f, v12
	v_mov_b32_e32 v34, 0x7f800001
	s_mov_b32 s52, exec_lo
	v_cmpx_ne_u32_e32 0x7f, v13
	s_cbranch_execz .LBB372_413
; %bb.412:                              ;   in Loop: Header=BB372_16 Depth=1
	v_and_b32_e32 v14, 7, v12
	v_lshrrev_b32_e32 v34, 3, v13
	v_cmp_gt_u32_e64 s1, 8, v13
	v_ffbh_u32_e32 v13, v14
	v_min_u32_e32 v13, 32, v13
	v_subrev_nc_u32_e32 v14, 28, v13
	v_sub_nc_u32_e32 v13, 29, v13
	v_cndmask_b32_e64 v34, v34, v13, s1
	v_cndmask_b32_e64 v13, 0, v14, s1
	v_lshl_add_u32 v34, v34, 23, 0x3c000000
	v_lshlrev_b64 v[13:14], v13, v[1:2]
	v_lshlrev_b32_e32 v14, 24, v1
	v_lshlrev_b32_e32 v13, 20, v13
	v_and_b32_e32 v14, 0x80000000, v14
	v_and_b32_e32 v13, 0x700000, v13
	v_or3_b32 v34, v13, v14, v34
.LBB372_413:                            ;   in Loop: Header=BB372_16 Depth=1
	s_or_b32 exec_lo, exec_lo, s52
.LBB372_414:                            ;   in Loop: Header=BB372_16 Depth=1
	s_or_b32 exec_lo, exec_lo, s51
.LBB372_415:                            ;   in Loop: Header=BB372_16 Depth=1
	s_or_b32 exec_lo, exec_lo, s50
	v_cmp_ne_u16_sdwa s1, v1, v2 src0_sel:BYTE_1 src1_sel:DWORD
	s_and_saveexec_b32 s50, s1
	s_cbranch_execz .LBB372_423
; %bb.416:                              ;   in Loop: Header=BB372_16 Depth=1
	v_cmp_ne_u16_sdwa s1, v1, v88 src0_sel:BYTE_1 src1_sel:DWORD
	v_bfrev_b32_e32 v33, 1
	s_and_saveexec_b32 s51, s1
	s_cbranch_execz .LBB372_422
; %bb.417:                              ;   in Loop: Header=BB372_16 Depth=1
	v_and_b32_sdwa v13, v89, v1 dst_sel:DWORD dst_unused:UNUSED_PAD src0_sel:DWORD src1_sel:BYTE_1
	v_mov_b32_e32 v33, 0x7f800001
	s_mov_b32 s52, exec_lo
	v_and_b32_e32 v35, 0x7f, v13
	v_cmpx_ne_u32_e32 0x7f, v35
	s_cbranch_execz .LBB372_421
; %bb.418:                              ;   in Loop: Header=BB372_16 Depth=1
	v_and_b32_e32 v13, 7, v13
	v_mov_b32_e32 v14, v2
	v_lshrrev_b32_e32 v33, 3, v35
	s_mov_b32 s53, exec_lo
	v_cmpx_gt_u32_e32 8, v35
; %bb.419:                              ;   in Loop: Header=BB372_16 Depth=1
	v_ffbh_u32_e32 v33, v13
	v_min_u32_e32 v33, 32, v33
	v_subrev_nc_u32_e32 v35, 28, v33
	v_sub_nc_u32_e32 v33, 29, v33
	v_lshlrev_b64 v[13:14], v35, v[13:14]
	v_and_b32_e32 v13, 7, v13
; %bb.420:                              ;   in Loop: Header=BB372_16 Depth=1
	s_or_b32 exec_lo, exec_lo, s53
	v_lshlrev_b32_e32 v1, 16, v1
	v_lshlrev_b32_e32 v13, 20, v13
	v_lshl_add_u32 v14, v33, 23, 0x3c000000
	v_and_b32_e32 v1, 0x80000000, v1
	v_or3_b32 v33, v13, v1, v14
.LBB372_421:                            ;   in Loop: Header=BB372_16 Depth=1
	s_or_b32 exec_lo, exec_lo, s52
.LBB372_422:                            ;   in Loop: Header=BB372_16 Depth=1
	s_or_b32 exec_lo, exec_lo, s51
.LBB372_423:                            ;   in Loop: Header=BB372_16 Depth=1
	s_or_b32 exec_lo, exec_lo, s50
	v_and_b32_sdwa v1, v12, v90 dst_sel:DWORD dst_unused:UNUSED_PAD src0_sel:WORD_1 src1_sel:DWORD
	v_mov_b32_e32 v37, 0
	v_mov_b32_e32 v38, 0
	s_mov_b32 s50, exec_lo
	v_cmpx_ne_u16_e32 0, v1
	s_cbranch_execz .LBB372_431
; %bb.424:                              ;   in Loop: Header=BB372_16 Depth=1
	v_bfrev_b32_e32 v38, 1
	s_mov_b32 s51, exec_lo
	v_cmpx_ne_u16_e32 0x80, v1
	s_cbranch_execz .LBB372_430
; %bb.425:                              ;   in Loop: Header=BB372_16 Depth=1
	v_bfe_u32 v14, v12, 16, 7
	v_mov_b32_e32 v38, 0x7f800001
	s_mov_b32 s52, exec_lo
	v_cmpx_ne_u32_e32 0x7f, v14
	s_cbranch_execz .LBB372_429
; %bb.426:                              ;   in Loop: Header=BB372_16 Depth=1
	v_and_b32_sdwa v1, v12, v91 dst_sel:DWORD dst_unused:UNUSED_PAD src0_sel:WORD_1 src1_sel:DWORD
	v_lshrrev_b32_e32 v13, 3, v14
	s_mov_b32 s53, exec_lo
	v_cmpx_gt_u32_e32 8, v14
; %bb.427:                              ;   in Loop: Header=BB372_16 Depth=1
	v_ffbh_u32_e32 v13, v1
	v_min_u32_e32 v13, 32, v13
	v_subrev_nc_u32_e32 v14, 28, v13
	v_sub_nc_u32_e32 v13, 29, v13
	v_lshlrev_b64 v[35:36], v14, v[1:2]
	v_and_b32_e32 v1, 7, v35
; %bb.428:                              ;   in Loop: Header=BB372_16 Depth=1
	s_or_b32 exec_lo, exec_lo, s53
	v_lshlrev_b32_sdwa v14, v92, v12 dst_sel:DWORD dst_unused:UNUSED_PAD src0_sel:DWORD src1_sel:WORD_1
	v_lshlrev_b32_e32 v1, 20, v1
	v_lshl_add_u32 v13, v13, 23, 0x3c000000
	v_and_b32_e32 v14, 0x80000000, v14
	v_or3_b32 v38, v1, v14, v13
.LBB372_429:                            ;   in Loop: Header=BB372_16 Depth=1
	s_or_b32 exec_lo, exec_lo, s52
.LBB372_430:                            ;   in Loop: Header=BB372_16 Depth=1
	s_or_b32 exec_lo, exec_lo, s51
.LBB372_431:                            ;   in Loop: Header=BB372_16 Depth=1
	s_or_b32 exec_lo, exec_lo, s50
	s_mov_b32 s50, exec_lo
	v_cmpx_lt_u64_e64 s[4:5], v[11:12]
	s_cbranch_execz .LBB372_439
; %bb.432:                              ;   in Loop: Header=BB372_16 Depth=1
	v_cmp_ne_u32_sdwa s1, v12, v88 src0_sel:BYTE_3 src1_sel:DWORD
	v_bfrev_b32_e32 v37, 1
	s_and_saveexec_b32 s51, s1
	s_cbranch_execz .LBB372_438
; %bb.433:                              ;   in Loop: Header=BB372_16 Depth=1
	v_bfe_u32 v13, v12, 24, 7
	v_mov_b32_e32 v37, 0x7f800001
	s_mov_b32 s52, exec_lo
	v_cmpx_ne_u32_e32 0x7f, v13
	s_cbranch_execz .LBB372_437
; %bb.434:                              ;   in Loop: Header=BB372_16 Depth=1
	v_and_b32_sdwa v1, v12, v91 dst_sel:DWORD dst_unused:UNUSED_PAD src0_sel:BYTE_3 src1_sel:DWORD
	v_lshrrev_b32_e32 v11, 3, v13
	s_mov_b32 s53, exec_lo
	v_cmpx_gt_u32_e32 8, v13
; %bb.435:                              ;   in Loop: Header=BB372_16 Depth=1
	v_ffbh_u32_e32 v11, v1
	v_min_u32_e32 v11, 32, v11
	v_subrev_nc_u32_e32 v13, 28, v11
	v_sub_nc_u32_e32 v11, 29, v11
	v_lshlrev_b64 v[13:14], v13, v[1:2]
	v_and_b32_e32 v1, 7, v13
; %bb.436:                              ;   in Loop: Header=BB372_16 Depth=1
	s_or_b32 exec_lo, exec_lo, s53
	v_lshlrev_b32_sdwa v12, v92, v12 dst_sel:DWORD dst_unused:UNUSED_PAD src0_sel:DWORD src1_sel:BYTE_3
	v_lshlrev_b32_e32 v1, 20, v1
	v_lshl_add_u32 v11, v11, 23, 0x3c000000
	v_and_b32_e32 v12, 0x80000000, v12
	v_or3_b32 v37, v1, v12, v11
.LBB372_437:                            ;   in Loop: Header=BB372_16 Depth=1
	s_or_b32 exec_lo, exec_lo, s52
.LBB372_438:                            ;   in Loop: Header=BB372_16 Depth=1
	s_or_b32 exec_lo, exec_lo, s51
.LBB372_439:                            ;   in Loop: Header=BB372_16 Depth=1
	s_or_b32 exec_lo, exec_lo, s50
	global_load_dwordx2 v[7:8], v[7:8], off offset:1544
	v_mov_b32_e32 v13, 0
	v_mov_b32_e32 v14, 0
	s_waitcnt vmcnt(0)
	v_cmp_ne_u16_sdwa s1, v7, v2 src0_sel:BYTE_0 src1_sel:DWORD
	s_and_saveexec_b32 s50, s1
	s_cbranch_execz .LBB372_445
; %bb.440:                              ;   in Loop: Header=BB372_16 Depth=1
	v_cmp_ne_u16_sdwa s1, v7, v88 src0_sel:BYTE_0 src1_sel:DWORD
	v_bfrev_b32_e32 v14, 1
	s_and_saveexec_b32 s51, s1
	s_cbranch_execz .LBB372_444
; %bb.441:                              ;   in Loop: Header=BB372_16 Depth=1
	v_and_b32_e32 v1, 0x7f, v7
	v_mov_b32_e32 v14, 0x7f800001
	s_mov_b32 s52, exec_lo
	v_cmpx_ne_u32_e32 0x7f, v1
	s_cbranch_execz .LBB372_443
; %bb.442:                              ;   in Loop: Header=BB372_16 Depth=1
	v_and_b32_e32 v11, 7, v7
	v_lshrrev_b32_e32 v12, 3, v1
	v_cmp_gt_u32_e64 s1, 8, v1
	v_ffbh_u32_e32 v1, v11
	v_min_u32_e32 v1, 32, v1
	v_subrev_nc_u32_e32 v11, 28, v1
	v_sub_nc_u32_e32 v1, 29, v1
	v_cndmask_b32_e64 v11, 0, v11, s1
	v_cndmask_b32_e64 v1, v12, v1, s1
	v_lshlrev_b64 v[11:12], v11, v[7:8]
	v_lshlrev_b32_e32 v12, 24, v7
	v_lshl_add_u32 v1, v1, 23, 0x3c000000
	v_lshlrev_b32_e32 v11, 20, v11
	v_and_b32_e32 v12, 0x80000000, v12
	v_and_b32_e32 v11, 0x700000, v11
	v_or3_b32 v14, v11, v12, v1
.LBB372_443:                            ;   in Loop: Header=BB372_16 Depth=1
	s_or_b32 exec_lo, exec_lo, s52
.LBB372_444:                            ;   in Loop: Header=BB372_16 Depth=1
	s_or_b32 exec_lo, exec_lo, s51
.LBB372_445:                            ;   in Loop: Header=BB372_16 Depth=1
	s_or_b32 exec_lo, exec_lo, s50
	v_cmp_ne_u16_sdwa s1, v7, v2 src0_sel:BYTE_1 src1_sel:DWORD
	s_and_saveexec_b32 s50, s1
	s_cbranch_execz .LBB372_453
; %bb.446:                              ;   in Loop: Header=BB372_16 Depth=1
	v_cmp_ne_u16_sdwa s1, v7, v88 src0_sel:BYTE_1 src1_sel:DWORD
	v_bfrev_b32_e32 v13, 1
	s_and_saveexec_b32 s51, s1
	s_cbranch_execz .LBB372_452
; %bb.447:                              ;   in Loop: Header=BB372_16 Depth=1
	v_and_b32_sdwa v1, v89, v7 dst_sel:DWORD dst_unused:UNUSED_PAD src0_sel:DWORD src1_sel:BYTE_1
	v_mov_b32_e32 v13, 0x7f800001
	s_mov_b32 s52, exec_lo
	v_and_b32_e32 v12, 0x7f, v1
	v_cmpx_ne_u32_e32 0x7f, v12
	s_cbranch_execz .LBB372_451
; %bb.448:                              ;   in Loop: Header=BB372_16 Depth=1
	v_and_b32_e32 v1, 7, v1
	v_lshrrev_b32_e32 v11, 3, v12
	s_mov_b32 s53, exec_lo
	v_cmpx_gt_u32_e32 8, v12
; %bb.449:                              ;   in Loop: Header=BB372_16 Depth=1
	v_ffbh_u32_e32 v11, v1
	v_min_u32_e32 v11, 32, v11
	v_subrev_nc_u32_e32 v12, 28, v11
	v_sub_nc_u32_e32 v11, 29, v11
	v_lshlrev_b64 v[12:13], v12, v[1:2]
	v_and_b32_e32 v1, 7, v12
; %bb.450:                              ;   in Loop: Header=BB372_16 Depth=1
	s_or_b32 exec_lo, exec_lo, s53
	v_lshlrev_b32_e32 v12, 16, v7
	v_lshlrev_b32_e32 v1, 20, v1
	v_lshl_add_u32 v11, v11, 23, 0x3c000000
	v_and_b32_e32 v12, 0x80000000, v12
	v_or3_b32 v13, v1, v12, v11
.LBB372_451:                            ;   in Loop: Header=BB372_16 Depth=1
	s_or_b32 exec_lo, exec_lo, s52
.LBB372_452:                            ;   in Loop: Header=BB372_16 Depth=1
	s_or_b32 exec_lo, exec_lo, s51
.LBB372_453:                            ;   in Loop: Header=BB372_16 Depth=1
	s_or_b32 exec_lo, exec_lo, s50
	v_and_b32_sdwa v1, v7, v90 dst_sel:DWORD dst_unused:UNUSED_PAD src0_sel:WORD_1 src1_sel:DWORD
	v_mov_b32_e32 v36, 0
	v_mov_b32_e32 v35, 0
	s_mov_b32 s50, exec_lo
	v_cmpx_ne_u16_e32 0, v1
	s_cbranch_execz .LBB372_461
; %bb.454:                              ;   in Loop: Header=BB372_16 Depth=1
	v_bfrev_b32_e32 v35, 1
	s_mov_b32 s51, exec_lo
	v_cmpx_ne_u16_e32 0x80, v1
	s_cbranch_execz .LBB372_460
; %bb.455:                              ;   in Loop: Header=BB372_16 Depth=1
	v_bfe_u32 v12, v7, 16, 7
	v_mov_b32_e32 v35, 0x7f800001
	s_mov_b32 s52, exec_lo
	v_cmpx_ne_u32_e32 0x7f, v12
	s_cbranch_execz .LBB372_459
; %bb.456:                              ;   in Loop: Header=BB372_16 Depth=1
	v_and_b32_sdwa v1, v7, v91 dst_sel:DWORD dst_unused:UNUSED_PAD src0_sel:WORD_1 src1_sel:DWORD
	v_lshrrev_b32_e32 v11, 3, v12
	s_mov_b32 s53, exec_lo
	v_cmpx_gt_u32_e32 8, v12
; %bb.457:                              ;   in Loop: Header=BB372_16 Depth=1
	v_ffbh_u32_e32 v11, v1
	v_min_u32_e32 v11, 32, v11
	v_subrev_nc_u32_e32 v12, 28, v11
	v_sub_nc_u32_e32 v11, 29, v11
	v_lshlrev_b64 v[39:40], v12, v[1:2]
	v_and_b32_e32 v1, 7, v39
; %bb.458:                              ;   in Loop: Header=BB372_16 Depth=1
	s_or_b32 exec_lo, exec_lo, s53
	v_lshlrev_b32_sdwa v12, v92, v7 dst_sel:DWORD dst_unused:UNUSED_PAD src0_sel:DWORD src1_sel:WORD_1
	v_lshlrev_b32_e32 v1, 20, v1
	v_lshl_add_u32 v11, v11, 23, 0x3c000000
	v_and_b32_e32 v12, 0x80000000, v12
	v_or3_b32 v35, v1, v12, v11
.LBB372_459:                            ;   in Loop: Header=BB372_16 Depth=1
	s_or_b32 exec_lo, exec_lo, s52
.LBB372_460:                            ;   in Loop: Header=BB372_16 Depth=1
	s_or_b32 exec_lo, exec_lo, s51
.LBB372_461:                            ;   in Loop: Header=BB372_16 Depth=1
	s_or_b32 exec_lo, exec_lo, s50
	s_mov_b32 s50, exec_lo
	v_cmpx_lt_u32_e32 0xffffff, v7
	s_cbranch_execz .LBB372_469
; %bb.462:                              ;   in Loop: Header=BB372_16 Depth=1
	v_cmp_ne_u32_sdwa s1, v7, v88 src0_sel:BYTE_3 src1_sel:DWORD
	v_bfrev_b32_e32 v36, 1
	s_and_saveexec_b32 s51, s1
	s_cbranch_execz .LBB372_468
; %bb.463:                              ;   in Loop: Header=BB372_16 Depth=1
	v_bfe_u32 v12, v7, 24, 7
	v_mov_b32_e32 v36, 0x7f800001
	s_mov_b32 s52, exec_lo
	v_cmpx_ne_u32_e32 0x7f, v12
	s_cbranch_execz .LBB372_467
; %bb.464:                              ;   in Loop: Header=BB372_16 Depth=1
	v_and_b32_sdwa v1, v7, v91 dst_sel:DWORD dst_unused:UNUSED_PAD src0_sel:BYTE_3 src1_sel:DWORD
	v_lshrrev_b32_e32 v11, 3, v12
	s_mov_b32 s53, exec_lo
	v_cmpx_gt_u32_e32 8, v12
; %bb.465:                              ;   in Loop: Header=BB372_16 Depth=1
	v_ffbh_u32_e32 v11, v1
	v_min_u32_e32 v11, 32, v11
	v_subrev_nc_u32_e32 v12, 28, v11
	v_sub_nc_u32_e32 v11, 29, v11
	v_lshlrev_b64 v[39:40], v12, v[1:2]
	v_and_b32_e32 v1, 7, v39
; %bb.466:                              ;   in Loop: Header=BB372_16 Depth=1
	s_or_b32 exec_lo, exec_lo, s53
	v_lshlrev_b32_sdwa v12, v92, v7 dst_sel:DWORD dst_unused:UNUSED_PAD src0_sel:DWORD src1_sel:BYTE_3
	v_lshlrev_b32_e32 v1, 20, v1
	v_lshl_add_u32 v11, v11, 23, 0x3c000000
	v_and_b32_e32 v12, 0x80000000, v12
	v_or3_b32 v36, v1, v12, v11
.LBB372_467:                            ;   in Loop: Header=BB372_16 Depth=1
	s_or_b32 exec_lo, exec_lo, s52
.LBB372_468:                            ;   in Loop: Header=BB372_16 Depth=1
	s_or_b32 exec_lo, exec_lo, s51
.LBB372_469:                            ;   in Loop: Header=BB372_16 Depth=1
	s_or_b32 exec_lo, exec_lo, s50
	v_mov_b32_e32 v1, v8
	v_cmp_ne_u16_sdwa s1, v8, v2 src0_sel:BYTE_0 src1_sel:DWORD
	v_mov_b32_e32 v39, 0
	v_mov_b32_e32 v40, 0
	s_and_saveexec_b32 s50, s1
	s_cbranch_execz .LBB372_475
; %bb.470:                              ;   in Loop: Header=BB372_16 Depth=1
	v_cmp_ne_u16_sdwa s1, v8, v88 src0_sel:BYTE_0 src1_sel:DWORD
	v_bfrev_b32_e32 v40, 1
	s_and_saveexec_b32 s51, s1
	s_cbranch_execz .LBB372_474
; %bb.471:                              ;   in Loop: Header=BB372_16 Depth=1
	v_and_b32_e32 v11, 0x7f, v8
	v_mov_b32_e32 v40, 0x7f800001
	s_mov_b32 s52, exec_lo
	v_cmpx_ne_u32_e32 0x7f, v11
	s_cbranch_execz .LBB372_473
; %bb.472:                              ;   in Loop: Header=BB372_16 Depth=1
	v_and_b32_e32 v12, 7, v8
	v_lshrrev_b32_e32 v40, 3, v11
	v_cmp_gt_u32_e64 s1, 8, v11
	v_ffbh_u32_e32 v11, v12
	v_min_u32_e32 v11, 32, v11
	v_subrev_nc_u32_e32 v12, 28, v11
	v_sub_nc_u32_e32 v11, 29, v11
	v_cndmask_b32_e64 v40, v40, v11, s1
	v_cndmask_b32_e64 v11, 0, v12, s1
	v_lshl_add_u32 v40, v40, 23, 0x3c000000
	v_lshlrev_b64 v[11:12], v11, v[1:2]
	v_lshlrev_b32_e32 v12, 24, v1
	v_lshlrev_b32_e32 v11, 20, v11
	v_and_b32_e32 v12, 0x80000000, v12
	v_and_b32_e32 v11, 0x700000, v11
	v_or3_b32 v40, v11, v12, v40
.LBB372_473:                            ;   in Loop: Header=BB372_16 Depth=1
	s_or_b32 exec_lo, exec_lo, s52
.LBB372_474:                            ;   in Loop: Header=BB372_16 Depth=1
	s_or_b32 exec_lo, exec_lo, s51
.LBB372_475:                            ;   in Loop: Header=BB372_16 Depth=1
	s_or_b32 exec_lo, exec_lo, s50
	v_cmp_ne_u16_sdwa s1, v1, v2 src0_sel:BYTE_1 src1_sel:DWORD
	s_and_saveexec_b32 s50, s1
	s_cbranch_execz .LBB372_483
; %bb.476:                              ;   in Loop: Header=BB372_16 Depth=1
	v_cmp_ne_u16_sdwa s1, v1, v88 src0_sel:BYTE_1 src1_sel:DWORD
	v_bfrev_b32_e32 v39, 1
	s_and_saveexec_b32 s51, s1
	s_cbranch_execz .LBB372_482
; %bb.477:                              ;   in Loop: Header=BB372_16 Depth=1
	v_and_b32_sdwa v11, v89, v1 dst_sel:DWORD dst_unused:UNUSED_PAD src0_sel:DWORD src1_sel:BYTE_1
	v_mov_b32_e32 v39, 0x7f800001
	s_mov_b32 s52, exec_lo
	v_and_b32_e32 v41, 0x7f, v11
	v_cmpx_ne_u32_e32 0x7f, v41
	s_cbranch_execz .LBB372_481
; %bb.478:                              ;   in Loop: Header=BB372_16 Depth=1
	v_and_b32_e32 v11, 7, v11
	v_mov_b32_e32 v12, v2
	v_lshrrev_b32_e32 v39, 3, v41
	s_mov_b32 s53, exec_lo
	v_cmpx_gt_u32_e32 8, v41
; %bb.479:                              ;   in Loop: Header=BB372_16 Depth=1
	v_ffbh_u32_e32 v39, v11
	v_min_u32_e32 v39, 32, v39
	v_subrev_nc_u32_e32 v41, 28, v39
	v_sub_nc_u32_e32 v39, 29, v39
	v_lshlrev_b64 v[11:12], v41, v[11:12]
	v_and_b32_e32 v11, 7, v11
; %bb.480:                              ;   in Loop: Header=BB372_16 Depth=1
	s_or_b32 exec_lo, exec_lo, s53
	v_lshlrev_b32_e32 v1, 16, v1
	v_lshlrev_b32_e32 v11, 20, v11
	v_lshl_add_u32 v12, v39, 23, 0x3c000000
	v_and_b32_e32 v1, 0x80000000, v1
	v_or3_b32 v39, v11, v1, v12
.LBB372_481:                            ;   in Loop: Header=BB372_16 Depth=1
	s_or_b32 exec_lo, exec_lo, s52
.LBB372_482:                            ;   in Loop: Header=BB372_16 Depth=1
	s_or_b32 exec_lo, exec_lo, s51
.LBB372_483:                            ;   in Loop: Header=BB372_16 Depth=1
	s_or_b32 exec_lo, exec_lo, s50
	v_and_b32_sdwa v1, v8, v90 dst_sel:DWORD dst_unused:UNUSED_PAD src0_sel:WORD_1 src1_sel:DWORD
	v_mov_b32_e32 v41, 0
	v_mov_b32_e32 v42, 0
	s_mov_b32 s50, exec_lo
	v_cmpx_ne_u16_e32 0, v1
	s_cbranch_execz .LBB372_491
; %bb.484:                              ;   in Loop: Header=BB372_16 Depth=1
	v_bfrev_b32_e32 v42, 1
	s_mov_b32 s51, exec_lo
	v_cmpx_ne_u16_e32 0x80, v1
	s_cbranch_execz .LBB372_490
; %bb.485:                              ;   in Loop: Header=BB372_16 Depth=1
	v_bfe_u32 v12, v8, 16, 7
	v_mov_b32_e32 v42, 0x7f800001
	s_mov_b32 s52, exec_lo
	v_cmpx_ne_u32_e32 0x7f, v12
	s_cbranch_execz .LBB372_489
; %bb.486:                              ;   in Loop: Header=BB372_16 Depth=1
	v_and_b32_sdwa v1, v8, v91 dst_sel:DWORD dst_unused:UNUSED_PAD src0_sel:WORD_1 src1_sel:DWORD
	v_lshrrev_b32_e32 v11, 3, v12
	s_mov_b32 s53, exec_lo
	v_cmpx_gt_u32_e32 8, v12
; %bb.487:                              ;   in Loop: Header=BB372_16 Depth=1
	v_ffbh_u32_e32 v11, v1
	v_min_u32_e32 v11, 32, v11
	v_subrev_nc_u32_e32 v12, 28, v11
	v_sub_nc_u32_e32 v11, 29, v11
	v_lshlrev_b64 v[42:43], v12, v[1:2]
	v_and_b32_e32 v1, 7, v42
; %bb.488:                              ;   in Loop: Header=BB372_16 Depth=1
	s_or_b32 exec_lo, exec_lo, s53
	v_lshlrev_b32_sdwa v12, v92, v8 dst_sel:DWORD dst_unused:UNUSED_PAD src0_sel:DWORD src1_sel:WORD_1
	v_lshlrev_b32_e32 v1, 20, v1
	v_lshl_add_u32 v11, v11, 23, 0x3c000000
	v_and_b32_e32 v12, 0x80000000, v12
	v_or3_b32 v42, v1, v12, v11
.LBB372_489:                            ;   in Loop: Header=BB372_16 Depth=1
	s_or_b32 exec_lo, exec_lo, s52
.LBB372_490:                            ;   in Loop: Header=BB372_16 Depth=1
	s_or_b32 exec_lo, exec_lo, s51
.LBB372_491:                            ;   in Loop: Header=BB372_16 Depth=1
	s_or_b32 exec_lo, exec_lo, s50
	s_mov_b32 s50, exec_lo
	v_cmpx_lt_u64_e64 s[4:5], v[7:8]
	s_cbranch_execz .LBB372_14
; %bb.492:                              ;   in Loop: Header=BB372_16 Depth=1
	v_cmp_ne_u32_sdwa s1, v8, v88 src0_sel:BYTE_3 src1_sel:DWORD
	v_bfrev_b32_e32 v41, 1
	s_and_saveexec_b32 s51, s1
	s_cbranch_execz .LBB372_13
; %bb.493:                              ;   in Loop: Header=BB372_16 Depth=1
	v_bfe_u32 v11, v8, 24, 7
	v_mov_b32_e32 v41, 0x7f800001
	s_mov_b32 s52, exec_lo
	v_cmpx_ne_u32_e32 0x7f, v11
	s_cbranch_execz .LBB372_12
; %bb.494:                              ;   in Loop: Header=BB372_16 Depth=1
	v_and_b32_sdwa v1, v8, v91 dst_sel:DWORD dst_unused:UNUSED_PAD src0_sel:BYTE_3 src1_sel:DWORD
	v_lshrrev_b32_e32 v7, 3, v11
	s_mov_b32 s53, exec_lo
	v_cmpx_gt_u32_e32 8, v11
	s_cbranch_execz .LBB372_11
; %bb.495:                              ;   in Loop: Header=BB372_16 Depth=1
	v_ffbh_u32_e32 v7, v1
	v_min_u32_e32 v7, 32, v7
	v_subrev_nc_u32_e32 v11, 28, v7
	v_sub_nc_u32_e32 v7, 29, v7
	v_lshlrev_b64 v[11:12], v11, v[1:2]
	v_and_b32_e32 v1, 7, v11
	s_branch .LBB372_11
.LBB372_496:
	s_or_b32 exec_lo, exec_lo, s48
	s_clause 0x1
	buffer_load_dword v12, off, s[56:59], 0 offset:108
	buffer_load_dword v23, off, s[56:59], 0 offset:112
.LBB372_497:
	s_or_b32 exec_lo, exec_lo, s44
	v_mbcnt_lo_u32_b32 v0, -1, 0
	v_max_f32_e32 v4, v78, v78
	v_xor_b32_e32 v1, 16, v0
	v_xor_b32_e32 v3, 8, v0
	v_cmp_gt_i32_e32 vcc_lo, 32, v1
	v_cndmask_b32_e32 v1, v0, v1, vcc_lo
	v_cmp_gt_i32_e32 vcc_lo, 32, v3
	v_lshlrev_b32_e32 v1, 2, v1
	v_cndmask_b32_e32 v3, v0, v3, vcc_lo
	ds_bpermute_b32 v2, v1, v78
	s_waitcnt lgkmcnt(0)
	v_max_f32_e32 v5, v2, v2
	v_lshlrev_b32_e32 v2, 2, v3
	v_max_f32_e32 v3, v4, v5
	v_xor_b32_e32 v5, 4, v0
	ds_bpermute_b32 v4, v2, v3
	v_cmp_gt_i32_e32 vcc_lo, 32, v5
	v_cndmask_b32_e32 v5, v0, v5, vcc_lo
	s_waitcnt lgkmcnt(0)
	v_max_f32_e32 v6, v4, v4
	v_lshlrev_b32_e32 v4, 2, v5
	v_max_f32_e32 v3, v3, v6
	v_xor_b32_e32 v6, 2, v0
	ds_bpermute_b32 v5, v4, v3
	v_cmp_gt_i32_e32 vcc_lo, 32, v6
	v_cndmask_b32_e32 v6, v0, v6, vcc_lo
	v_lshlrev_b32_e32 v26, 2, v6
	v_xor_b32_e32 v6, 1, v0
	v_cmp_gt_i32_e32 vcc_lo, 32, v6
	s_waitcnt lgkmcnt(0)
	v_max_f32_e32 v5, v5, v5
	v_cndmask_b32_e32 v6, v0, v6, vcc_lo
	v_max_f32_e32 v3, v3, v5
	v_lshlrev_b32_e32 v25, 2, v6
	ds_bpermute_b32 v5, v26, v3
	s_waitcnt lgkmcnt(0)
	v_max_f32_e32 v5, v5, v5
	v_max_f32_e32 v0, v3, v5
	buffer_load_dword v5, off, s[56:59], 0  ; 4-byte Folded Reload
	ds_bpermute_b32 v3, v25, v0
	s_waitcnt vmcnt(0)
	v_cmp_eq_u32_e32 vcc_lo, 0, v5
	buffer_load_dword v5, off, s[56:59], 0 offset:104 ; 4-byte Folded Reload
	s_waitcnt vmcnt(0)
	v_lshlrev_b32_e32 v5, 2, v5
	s_and_saveexec_b32 s1, vcc_lo
	s_cbranch_execz .LBB372_499
; %bb.498:
	s_waitcnt lgkmcnt(0)
	v_max_f32_e32 v3, v3, v3
	v_max_f32_e32 v0, v0, v0
	;; [unrolled: 1-line block ×3, first 2 shown]
	ds_write_b32 v5, v0 offset:128
.LBB372_499:
	s_or_b32 exec_lo, exec_lo, s1
	buffer_load_dword v0, off, s[56:59], 0  ; 4-byte Folded Reload
	s_waitcnt vmcnt(0) lgkmcnt(0)
	s_waitcnt_vscnt null, 0x0
	s_barrier
	buffer_gl0_inv
	v_cmp_gt_u32_e64 s1, 4, v0
	v_mov_b32_e32 v0, 0xff7fffff
	s_and_saveexec_b32 s2, s1
; %bb.500:
	ds_read_b32 v0, v23 offset:128
; %bb.501:
	s_or_b32 exec_lo, exec_lo, s2
	s_waitcnt lgkmcnt(0)
	ds_bpermute_b32 v3, v26, v0
	v_max_f32_e32 v0, v0, v0
	v_mov_b32_e32 v6, 0
	s_sub_i32 s2, s20, s43
	s_lshl_b32 s2, s2, 5
	s_add_i32 s2, s2, s40
	s_min_i32 s2, s2, s31
	s_sub_i32 s4, s2, s40
	v_cmp_gt_i32_e64 s2, s4, v12
	s_waitcnt lgkmcnt(0)
	v_max_f32_e32 v3, v3, v3
	v_max_f32_e32 v0, v0, v3
	ds_bpermute_b32 v3, v25, v0
	s_waitcnt lgkmcnt(0)
	v_max_f32_e32 v3, v3, v3
	v_max_f32_e32 v0, v0, v3
	v_lshl_add_u32 v3, v12, 2, 0xa0
	ds_bpermute_b32 v0, v6, v0
	s_and_saveexec_b32 s5, s2
	s_cbranch_execz .LBB372_505
; %bb.502:
	v_lshl_add_u32 v7, v12, 2, 0xa0
	v_mov_b32_e32 v6, 0
	v_mov_b32_e32 v8, v12
	s_mov_b32 s12, 0
	.p2align	6
.LBB372_503:                            ; =>This Inner Loop Header: Depth=1
	ds_read_b32 v11, v7
	v_add_nc_u32_e32 v8, 0x80, v8
	v_cmp_le_i32_e64 s3, s4, v8
	s_or_b32 s12, s3, s12
	s_waitcnt lgkmcnt(0)
	v_sub_f32_e32 v11, v11, v0
	v_mul_f32_e32 v11, 0x3fb8aa3b, v11
	v_exp_f32_e32 v11, v11
	ds_write_b32 v7, v11
	v_add_f32_e32 v6, v6, v11
	v_add_nc_u32_e32 v7, 0x200, v7
	s_andn2_b32 exec_lo, exec_lo, s12
	s_cbranch_execnz .LBB372_503
; %bb.504:
	s_or_b32 exec_lo, exec_lo, s12
.LBB372_505:
	s_or_b32 exec_lo, exec_lo, s5
	ds_bpermute_b32 v1, v1, v6
	s_waitcnt lgkmcnt(0)
	v_add_f32_e32 v1, v6, v1
	ds_bpermute_b32 v2, v2, v1
	s_waitcnt lgkmcnt(0)
	v_add_f32_e32 v1, v1, v2
	;; [unrolled: 3-line block ×5, first 2 shown]
	s_and_saveexec_b32 s3, vcc_lo
; %bb.506:
	ds_write_b32 v5, v1 offset:144
; %bb.507:
	s_or_b32 exec_lo, exec_lo, s3
	s_waitcnt lgkmcnt(0)
	s_barrier
	buffer_gl0_inv
	s_and_saveexec_b32 s3, s1
; %bb.508:
	ds_read_b32 v1, v23 offset:144
; %bb.509:
	s_or_b32 exec_lo, exec_lo, s3
	s_waitcnt lgkmcnt(0)
	ds_bpermute_b32 v2, v26, v1
	s_waitcnt lgkmcnt(0)
	v_add_f32_e32 v1, v1, v2
	ds_bpermute_b32 v2, v25, v1
	s_waitcnt lgkmcnt(0)
	v_add_f32_e32 v1, v1, v2
	v_mov_b32_e32 v2, 0
	ds_bpermute_b32 v1, v2, v1
	s_and_saveexec_b32 s1, s2
	s_cbranch_execz .LBB372_512
; %bb.510:
	s_waitcnt lgkmcnt(0)
	v_add_f32_e32 v2, 0x358637bd, v1
	s_mov_b32 s2, 0
	v_div_scale_f32 v4, null, v2, v2, 1.0
	v_div_scale_f32 v7, vcc_lo, 1.0, v2, 1.0
	v_rcp_f32_e32 v5, v4
	v_fma_f32 v6, -v4, v5, 1.0
	v_fmac_f32_e32 v5, v6, v5
	v_mul_f32_e32 v6, v7, v5
	v_fma_f32 v8, -v4, v6, v7
	v_fmac_f32_e32 v6, v8, v5
	v_fma_f32 v4, -v4, v6, v7
	v_div_fmas_f32 v4, v4, v5, v6
	v_div_fixup_f32 v2, v4, v2, 1.0
	v_mov_b32_e32 v4, v12
.LBB372_511:                            ; =>This Inner Loop Header: Depth=1
	ds_read_b32 v5, v3
	v_add_nc_u32_e32 v4, 0x80, v4
	v_cmp_le_i32_e32 vcc_lo, s4, v4
	s_or_b32 s2, vcc_lo, s2
	s_waitcnt lgkmcnt(0)
	v_mul_f32_e32 v5, v2, v5
	ds_write_b32 v3, v5
	v_add_nc_u32_e32 v3, 0x200, v3
	s_andn2_b32 exec_lo, exec_lo, s2
	s_cbranch_execnz .LBB372_511
.LBB372_512:
	s_or_b32 exec_lo, exec_lo, s1
	s_mul_i32 s1, s7, s30
	s_waitcnt lgkmcnt(0)
	s_mul_i32 s2, s1, s9
	s_mov_b32 s1, exec_lo
	s_barrier
	buffer_gl0_inv
	v_cmpx_eq_u32_e32 0, v12
	s_cbranch_execz .LBB372_514
; %bb.513:
	s_ashr_i32 s3, s2, 31
	s_mul_i32 s12, s7, s6
	s_lshl_b64 s[4:5], s[2:3], 2
	v_mov_b32_e32 v2, 0
	s_add_u32 s3, s26, s4
	s_addc_u32 s6, s27, s5
	s_ashr_i32 s13, s12, 31
	s_lshl_b64 s[12:13], s[12:13], 2
	s_add_u32 s3, s3, s12
	s_addc_u32 s6, s6, s13
	s_ashr_i32 s9, s8, 31
	s_lshl_b64 s[26:27], s[8:9], 2
	s_add_u32 s42, s3, s26
	s_addc_u32 s43, s6, s27
	s_add_u32 s3, s24, s4
	s_addc_u32 s4, s25, s5
	;; [unrolled: 2-line block ×4, first 2 shown]
	global_store_dword v2, v0, s[42:43]
	global_store_dword v2, v1, s[4:5]
.LBB372_514:
	s_or_b32 exec_lo, exec_lo, s1
	v_mov_b32_e32 v35, 0
	v_mov_b32_e32 v113, v12
	v_and_b32_e32 v27, 3, v12
	v_mov_b32_e32 v34, 0
	v_mov_b32_e32 v33, 0
	;; [unrolled: 1-line block ×7, first 2 shown]
	s_and_saveexec_b32 s1, s0
	s_cbranch_execz .LBB372_1016
; %bb.515:
	buffer_load_dword v6, off, s[56:59], 0 offset:104 ; 4-byte Folded Reload
	s_sub_i32 s3, s41, s21
	s_ashr_i32 s0, s18, 31
	s_add_u32 s13, s38, s18
	s_addc_u32 s0, s39, s0
	s_abs_i32 s6, s22
	v_lshlrev_b32_e32 v2, 3, v113
	v_cvt_f32_u32_e32 v0, s6
	s_sub_i32 s4, 0, s6
	v_lshlrev_b32_e32 v4, 5, v27
	s_add_i32 s12, s33, -1
	v_and_b32_e32 v41, 24, v2
	v_rcp_iflag_f32_e32 v3, v0
	v_lshlrev_b64 v[0:1], 2, v[9:10]
	v_and_b32_e32 v2, 0xf8, v2
	v_mov_b32_e32 v11, 0
	v_mov_b32_e32 v36, 0x80
	;; [unrolled: 1-line block ×7, first 2 shown]
	v_mul_f32_e32 v3, 0x4f7ffffe, v3
	v_mov_b32_e32 v29, 0
	v_mov_b32_e32 v30, 0
	;; [unrolled: 1-line block ×4, first 2 shown]
	v_cvt_u32_f32_e32 v3, v3
	v_mov_b32_e32 v33, 0
	v_mov_b32_e32 v34, 0
	;; [unrolled: 1-line block ×3, first 2 shown]
	s_mov_b32 s9, s17
	v_mul_lo_u32 v5, s4, v3
	s_lshl_b64 s[4:5], s[36:37], 2
	s_add_u32 s4, s34, s4
	s_addc_u32 s5, s35, s5
	v_add_co_u32 v12, vcc_lo, s4, v0
	v_add_co_u32 v14, s4, s13, v2
	v_mul_hi_u32 v5, v3, v5
	v_add_co_ci_u32_e64 v13, null, s5, v1, vcc_lo
	v_add_co_ci_u32_e64 v15, null, s0, 0, s4
	s_mov_b32 s4, -1
	s_mov_b32 s5, 0xffffff
	s_mov_b32 s13, 0
	v_add_nc_u32_e32 v43, v3, v5
	s_waitcnt vmcnt(0)
	v_lshl_or_b32 v4, v6, 7, v4
	v_add_nc_u32_e32 v42, 0xa0, v4
	s_branch .LBB372_518
.LBB372_516:                            ;   in Loop: Header=BB372_518 Depth=1
	s_or_b32 exec_lo, exec_lo, s0
	v_bfe_u32 v52, v5, 16, 1
	v_or_b32_e32 v58, 0x400000, v5
	v_bfe_u32 v59, v6, 16, 1
	v_cmp_u_f32_e32 vcc_lo, v5, v5
	v_bfe_u32 v60, v7, 16, 1
	v_add3_u32 v52, v52, v5, 0x7fff
	v_or_b32_e32 v61, 0x400000, v6
	v_add3_u32 v59, v59, v6, 0x7fff
	v_or_b32_e32 v62, 0x400000, v7
	v_add3_u32 v60, v60, v7, 0x7fff
	v_cndmask_b32_e32 v5, v52, v58, vcc_lo
	v_cmp_u_f32_e32 vcc_lo, v6, v6
	v_bfe_u32 v52, v8, 16, 1
	v_bfe_u32 v58, v1, 16, 1
	v_lshlrev_b32_e32 v21, 16, v21
	v_and_b32_e32 v5, 0xffff0000, v5
	v_cndmask_b32_e32 v6, v59, v61, vcc_lo
	v_cmp_u_f32_e32 vcc_lo, v7, v7
	v_add3_u32 v52, v52, v8, 0x7fff
	v_or_b32_e32 v59, 0x400000, v8
	v_add3_u32 v58, v58, v1, 0x7fff
	v_bfe_u32 v61, v2, 16, 1
	v_cndmask_b32_e32 v7, v60, v62, vcc_lo
	v_cmp_u_f32_e32 vcc_lo, v8, v8
	v_or_b32_e32 v60, 0x400000, v1
	v_lshlrev_b32_e32 v0, 16, v0
	v_lshlrev_b32_e32 v22, 16, v22
	v_and_b32_e32 v7, 0xffff0000, v7
	v_cndmask_b32_e32 v8, v52, v59, vcc_lo
	v_cmp_u_f32_e32 vcc_lo, v1, v1
	v_or_b32_e32 v59, 0x400000, v2
	v_and_b32_e32 v1, 0xffff0000, v6
	v_lshlrev_b32_e32 v6, 16, v105
	v_lshlrev_b32_e32 v23, 16, v23
	v_cndmask_b32_e32 v52, v58, v60, vcc_lo
	v_add3_u32 v58, v61, v2, 0x7fff
	v_bfe_u32 v60, v3, 16, 1
	v_cmp_u_f32_e32 vcc_lo, v2, v2
	v_mul_f32_e32 v6, v1, v6
	v_lshlrev_b32_e32 v61, 16, v104
	v_lshlrev_b32_e32 v84, 16, v84
	v_add3_u32 v2, v60, v3, 0x7fff
	v_cndmask_b32_e32 v58, v58, v59, vcc_lo
	v_or_b32_e32 v59, 0x400000, v3
	v_bfe_u32 v60, v4, 16, 1
	v_cmp_u_f32_e32 vcc_lo, v3, v3
	v_bfe_u32 v62, v6, 16, 1
	v_mul_f32_e32 v61, v5, v61
	v_lshlrev_b32_e32 v86, 16, v86
	v_add3_u32 v3, v60, v4, 0x7fff
	v_cndmask_b32_e32 v59, v2, v59, vcc_lo
	v_or_b32_e32 v60, 0x400000, v4
	v_and_b32_e32 v2, 0xffff0000, v8
	v_lshlrev_b32_e32 v8, 16, v102
	v_cmp_u_f32_e32 vcc_lo, v4, v4
	v_lshlrev_b32_e32 v56, 16, v56
	v_lshlrev_b32_e32 v53, 16, v53
	;; [unrolled: 1-line block ×3, first 2 shown]
	v_mul_f32_e32 v63, v2, v8
	v_cndmask_b32_e32 v4, v3, v60, vcc_lo
	v_add3_u32 v3, v62, v6, 0x7fff
	v_or_b32_e32 v60, 0x400000, v6
	v_bfe_u32 v62, v61, 16, 1
	v_lshlrev_b32_e32 v8, 16, v103
	v_cmp_u_f32_e32 vcc_lo, v6, v6
	v_bfe_u32 v64, v63, 16, 1
	v_and_b32_e32 v4, 0xffff0000, v4
	v_add3_u32 v6, v62, v61, 0x7fff
	v_or_b32_e32 v62, 0x400000, v61
	v_cndmask_b32_e32 v60, v3, v60, vcc_lo
	v_mul_f32_e32 v102, v7, v8
	v_and_b32_e32 v3, 0xffff0000, v58
	v_lshlrev_b32_e32 v8, 16, v97
	v_cmp_u_f32_e32 vcc_lo, v61, v61
	v_or_b32_e32 v61, 0x400000, v63
	v_and_b32_e32 v60, 0xffff0000, v60
	v_mul_f32_e32 v0, v3, v0
	v_mul_f32_e32 v56, v2, v56
	v_cndmask_b32_e32 v58, v6, v62, vcc_lo
	v_add3_u32 v6, v64, v63, 0x7fff
	v_bfe_u32 v62, v102, 16, 1
	v_mul_f32_e32 v64, v3, v8
	v_and_b32_e32 v8, 0xffff0000, v52
	v_cmp_u_f32_e32 vcc_lo, v63, v63
	v_lshlrev_b32_e32 v63, 16, v101
	v_and_b32_e32 v58, 0xffff0000, v58
	v_mul_f32_e32 v53, v3, v53
	v_mul_f32_e32 v21, v8, v21
	v_cndmask_b32_e32 v52, v6, v61, vcc_lo
	v_add3_u32 v6, v62, v102, 0x7fff
	v_or_b32_e32 v61, 0x400000, v102
	v_bfe_u32 v62, v64, 16, 1
	v_cmp_u_f32_e32 vcc_lo, v102, v102
	v_bfe_u32 v97, v21, 16, 1
	v_or_b32_e32 v101, 0x400000, v21
	v_mul_f32_e32 v63, v4, v63
	v_add3_u32 v62, v62, v64, 0x7fff
	v_cndmask_b32_e32 v61, v6, v61, vcc_lo
	v_and_b32_e32 v6, 0xffff0000, v59
	v_lshlrev_b32_e32 v59, 16, v100
	v_or_b32_e32 v100, 0x400000, v64
	v_cmp_u_f32_e32 vcc_lo, v64, v64
	v_add3_u32 v97, v97, v21, 0x7fff
	v_bfe_u32 v102, v63, 16, 1
	v_mul_f32_e32 v59, v6, v59
	v_and_b32_e32 v61, 0xffff0000, v61
	v_cndmask_b32_e32 v62, v62, v100, vcc_lo
	v_cmp_u_f32_e32 vcc_lo, v21, v21
	v_and_b32_e32 v52, 0xffff0000, v52
	v_add3_u32 v64, v102, v63, 0x7fff
	v_or_b32_e32 v100, 0x400000, v63
	v_add_f32_e32 v58, v58, v60
	v_cndmask_b32_e32 v21, v97, v101, vcc_lo
	v_bfe_u32 v97, v59, 16, 1
	v_or_b32_e32 v101, 0x400000, v59
	v_cmp_u_f32_e32 vcc_lo, v59, v59
	v_add_f32_e32 v52, v61, v52
	v_and_b32_e32 v21, 0xffff0000, v21
	v_add3_u32 v97, v97, v59, 0x7fff
	v_and_b32_e32 v60, 0xffff0000, v62
	v_mul_f32_e32 v22, v8, v22
	v_add_f32_e32 v52, v52, v58
	v_lshlrev_b32_e32 v58, 16, v96
	v_cndmask_b32_e32 v59, v97, v101, vcc_lo
	v_cmp_u_f32_e32 vcc_lo, v63, v63
	v_add_f32_e32 v21, v21, v60
	v_lshlrev_b32_e32 v60, 16, v95
	v_mul_f32_e32 v58, v1, v58
	v_and_b32_e32 v59, 0xffff0000, v59
	v_cndmask_b32_e32 v61, v64, v100, vcc_lo
	v_add_f32_e32 v21, v21, v52
	v_mul_f32_e32 v52, v5, v60
	v_lshlrev_b32_e32 v60, 16, v92
	v_lshlrev_b32_e32 v92, 16, v94
	v_and_b32_e32 v61, 0xffff0000, v61
	v_cmp_u_f32_e32 vcc_lo, v58, v58
	v_bfe_u32 v62, v52, 16, 1
	v_or_b32_e32 v63, 0x400000, v52
	v_mul_f32_e32 v23, v6, v23
	v_add_f32_e32 v59, v59, v61
	v_bfe_u32 v61, v58, 16, 1
	v_add3_u32 v62, v62, v52, 0x7fff
	v_mul_f32_e32 v84, v8, v84
	v_mul_f32_e32 v54, v8, v54
	v_add_f32_e32 v21, v59, v21
	v_mul_f32_e32 v59, v2, v60
	v_add3_u32 v60, v61, v58, 0x7fff
	v_or_b32_e32 v61, 0x400000, v58
	v_lshlrev_b32_e32 v57, 16, v57
	v_add_f32_e32 v29, v29, v21
	v_bfe_u32 v64, v59, 16, 1
	v_lshlrev_b32_e32 v55, 16, v55
	v_cndmask_b32_e32 v58, v60, v61, vcc_lo
	v_cmp_u_f32_e32 vcc_lo, v52, v52
	v_mul_f32_e32 v60, v7, v92
	v_add3_u32 v61, v64, v59, 0x7fff
	v_bfe_u32 v64, v0, 16, 1
	v_bfe_u32 v92, v22, 16, 1
	v_cndmask_b32_e32 v52, v62, v63, vcc_lo
	v_or_b32_e32 v62, 0x400000, v59
	v_bfe_u32 v63, v60, 16, 1
	v_cmp_u_f32_e32 vcc_lo, v59, v59
	v_and_b32_e32 v58, 0xffff0000, v58
	v_and_b32_e32 v52, 0xffff0000, v52
	v_mul_f32_e32 v57, v4, v57
	v_mul_f32_e32 v55, v6, v55
	v_cndmask_b32_e32 v59, v61, v62, vcc_lo
	v_add3_u32 v61, v63, v60, 0x7fff
	v_or_b32_e32 v62, 0x400000, v60
	v_lshlrev_b32_e32 v63, 16, v93
	v_cmp_u_f32_e32 vcc_lo, v60, v60
	v_and_b32_e32 v59, 0xffff0000, v59
	v_add_f32_e32 v52, v52, v58
	v_lshlrev_b32_e32 v51, 16, v51
	v_lshlrev_b32_e32 v50, 16, v50
	v_cndmask_b32_e32 v60, v61, v62, vcc_lo
	v_mul_f32_e32 v61, v4, v63
	v_add3_u32 v62, v64, v0, 0x7fff
	v_or_b32_e32 v63, 0x400000, v0
	v_cmp_u_f32_e32 vcc_lo, v0, v0
	v_add3_u32 v64, v92, v22, 0x7fff
	v_or_b32_e32 v92, 0x400000, v22
	v_bfe_u32 v93, v61, 16, 1
	v_and_b32_e32 v60, 0xffff0000, v60
	v_cndmask_b32_e32 v0, v62, v63, vcc_lo
	v_cmp_u_f32_e32 vcc_lo, v22, v22
	v_or_b32_e32 v63, 0x400000, v61
	v_add3_u32 v62, v93, v61, 0x7fff
	v_add_f32_e32 v58, v60, v59
	v_lshlrev_b32_e32 v59, 16, v91
	v_cndmask_b32_e32 v22, v64, v92, vcc_lo
	v_cmp_u_f32_e32 vcc_lo, v61, v61
	v_and_b32_e32 v0, 0xffff0000, v0
	v_add_f32_e32 v52, v58, v52
	v_mul_f32_e32 v58, v1, v59
	v_and_b32_e32 v22, 0xffff0000, v22
	v_cndmask_b32_e32 v61, v62, v63, vcc_lo
	v_bfe_u32 v62, v23, 16, 1
	v_cmp_u_f32_e32 vcc_lo, v23, v23
	v_bfe_u32 v59, v58, 16, 1
	v_add_f32_e32 v0, v22, v0
	v_lshlrev_b32_e32 v22, 16, v90
	v_add3_u32 v60, v62, v23, 0x7fff
	v_or_b32_e32 v62, 0x400000, v23
	v_add3_u32 v59, v59, v58, 0x7fff
	v_add_f32_e32 v0, v0, v52
	v_mul_f32_e32 v22, v5, v22
	v_lshlrev_b32_e32 v52, 16, v87
	v_cndmask_b32_e32 v23, v60, v62, vcc_lo
	v_or_b32_e32 v60, 0x400000, v58
	v_lshlrev_b32_e32 v63, 16, v89
	v_bfe_u32 v62, v22, 16, 1
	v_mul_f32_e32 v52, v2, v52
	v_cmp_u_f32_e32 vcc_lo, v58, v58
	v_lshlrev_b32_e32 v64, 16, v85
	v_mul_f32_e32 v63, v7, v63
	v_lshlrev_b32_e32 v85, 16, v88
	v_or_b32_e32 v87, 0x400000, v84
	v_cndmask_b32_e32 v58, v59, v60, vcc_lo
	v_add3_u32 v59, v62, v22, 0x7fff
	v_or_b32_e32 v60, 0x400000, v22
	v_bfe_u32 v62, v52, 16, 1
	v_cmp_u_f32_e32 vcc_lo, v22, v22
	v_mul_f32_e32 v64, v3, v64
	v_and_b32_e32 v58, 0xffff0000, v58
	v_and_b32_e32 v23, 0xffff0000, v23
	;; [unrolled: 1-line block ×3, first 2 shown]
	v_cndmask_b32_e32 v22, v59, v60, vcc_lo
	v_add3_u32 v59, v62, v52, 0x7fff
	v_or_b32_e32 v60, 0x400000, v52
	v_bfe_u32 v62, v63, 16, 1
	v_cmp_u_f32_e32 vcc_lo, v52, v52
	v_and_b32_e32 v22, 0xffff0000, v22
	v_add_f32_e32 v23, v23, v61
	v_lshlrev_b32_e32 v61, 16, v82
	v_mul_f32_e32 v51, v1, v51
	v_cndmask_b32_e32 v52, v59, v60, vcc_lo
	v_add3_u32 v59, v62, v63, 0x7fff
	v_or_b32_e32 v60, 0x400000, v63
	v_bfe_u32 v62, v64, 16, 1
	v_cmp_u_f32_e32 vcc_lo, v63, v63
	v_mul_f32_e32 v63, v4, v85
	v_mul_f32_e32 v85, v6, v86
	v_or_b32_e32 v86, 0x400000, v64
	v_add3_u32 v62, v62, v64, 0x7fff
	v_cndmask_b32_e32 v59, v59, v60, vcc_lo
	v_bfe_u32 v60, v84, 16, 1
	v_cmp_u_f32_e32 vcc_lo, v64, v64
	v_bfe_u32 v89, v85, 16, 1
	v_bfe_u32 v88, v63, 16, 1
	v_and_b32_e32 v59, 0xffff0000, v59
	v_add3_u32 v60, v60, v84, 0x7fff
	v_cndmask_b32_e32 v62, v62, v86, vcc_lo
	v_cmp_u_f32_e32 vcc_lo, v84, v84
	v_add3_u32 v84, v89, v85, 0x7fff
	v_or_b32_e32 v86, 0x400000, v85
	v_add3_u32 v64, v88, v63, 0x7fff
	v_and_b32_e32 v52, 0xffff0000, v52
	v_cndmask_b32_e32 v60, v60, v87, vcc_lo
	v_cmp_u_f32_e32 vcc_lo, v85, v85
	v_or_b32_e32 v87, 0x400000, v63
	v_add_f32_e32 v22, v22, v58
	v_add_f32_e32 v52, v59, v52
	v_and_b32_e32 v58, 0xffff0000, v60
	v_cndmask_b32_e32 v84, v84, v86, vcc_lo
	v_cmp_u_f32_e32 vcc_lo, v63, v63
	v_and_b32_e32 v59, 0xffff0000, v62
	v_add_f32_e32 v22, v52, v22
	v_add_f32_e32 v0, v23, v0
	v_mul_f32_e32 v23, v5, v61
	v_cndmask_b32_e32 v60, v64, v87, vcc_lo
	v_add_f32_e32 v52, v58, v59
	v_and_b32_e32 v58, 0xffff0000, v84
	v_add_f32_e32 v30, v30, v0
	v_bfe_u32 v0, v23, 16, 1
	v_and_b32_e32 v59, 0xffff0000, v60
	v_lshlrev_b32_e32 v60, 16, v83
	v_add_f32_e32 v22, v52, v22
	v_lshlrev_b32_e32 v62, 16, v80
	v_add3_u32 v0, v0, v23, 0x7fff
	v_add_f32_e32 v52, v58, v59
	v_mul_f32_e32 v58, v1, v60
	v_lshlrev_b32_e32 v60, 16, v81
	v_or_b32_e32 v59, 0x400000, v23
	v_lshlrev_b32_e32 v47, 16, v47
	v_add_f32_e32 v21, v52, v22
	v_bfe_u32 v22, v58, 16, 1
	v_lshlrev_b32_e32 v52, 16, v79
	v_cmp_u_f32_e32 vcc_lo, v58, v58
	v_mul_f32_e32 v50, v5, v50
	v_add_f32_e32 v31, v31, v21
	v_add3_u32 v21, v22, v58, 0x7fff
	v_or_b32_e32 v22, 0x400000, v58
	v_mul_f32_e32 v52, v2, v52
	v_lshlrev_b32_e32 v58, 16, v76
	v_mul_f32_e32 v47, v2, v47
	v_lshlrev_b32_e32 v49, 16, v49
	v_cndmask_b32_e32 v21, v21, v22, vcc_lo
	v_bfe_u32 v22, v52, 16, 1
	v_cmp_u_f32_e32 vcc_lo, v23, v23
	v_mul_f32_e32 v23, v7, v60
	v_lshlrev_b32_e32 v60, 16, v77
	v_mul_f32_e32 v58, v3, v58
	v_add3_u32 v22, v22, v52, 0x7fff
	v_cndmask_b32_e32 v0, v0, v59, vcc_lo
	v_or_b32_e32 v59, 0x400000, v52
	v_bfe_u32 v61, v23, 16, 1
	v_cmp_u_f32_e32 vcc_lo, v52, v52
	v_mul_f32_e32 v52, v8, v60
	v_or_b32_e32 v60, 0x400000, v23
	v_and_b32_e32 v0, 0xffff0000, v0
	v_and_b32_e32 v21, 0xffff0000, v21
	v_cndmask_b32_e32 v22, v22, v59, vcc_lo
	v_add3_u32 v59, v61, v23, 0x7fff
	v_bfe_u32 v61, v58, 16, 1
	v_bfe_u32 v63, v52, 16, 1
	v_cmp_u_f32_e32 vcc_lo, v23, v23
	v_or_b32_e32 v64, 0x400000, v52
	v_and_b32_e32 v22, 0xffff0000, v22
	v_add_f32_e32 v0, v0, v21
	v_lshlrev_b32_e32 v45, 16, v45
	v_cndmask_b32_e32 v23, v59, v60, vcc_lo
	v_add3_u32 v59, v61, v58, 0x7fff
	v_mul_f32_e32 v60, v4, v62
	v_or_b32_e32 v61, 0x400000, v58
	v_add3_u32 v62, v63, v52, 0x7fff
	v_lshlrev_b32_e32 v63, 16, v78
	v_cmp_u_f32_e32 vcc_lo, v58, v58
	v_bfe_u32 v76, v60, 16, 1
	v_and_b32_e32 v23, 0xffff0000, v23
	v_mul_f32_e32 v49, v7, v49
	v_mul_f32_e32 v45, v3, v45
	v_cndmask_b32_e32 v58, v59, v61, vcc_lo
	v_mul_f32_e32 v59, v6, v63
	v_cmp_u_f32_e32 vcc_lo, v52, v52
	v_add3_u32 v61, v76, v60, 0x7fff
	v_add_f32_e32 v21, v23, v22
	v_and_b32_e32 v23, 0xffff0000, v58
	v_bfe_u32 v63, v59, 16, 1
	v_cndmask_b32_e32 v52, v62, v64, vcc_lo
	v_or_b32_e32 v62, 0x400000, v60
	v_cmp_u_f32_e32 vcc_lo, v60, v60
	v_lshlrev_b32_e32 v58, 16, v74
	v_add_f32_e32 v0, v21, v0
	v_and_b32_e32 v22, 0xffff0000, v52
	v_lshlrev_b32_e32 v52, 16, v75
	v_cndmask_b32_e32 v60, v61, v62, vcc_lo
	v_add3_u32 v61, v63, v59, 0x7fff
	v_or_b32_e32 v62, 0x400000, v59
	v_cmp_u_f32_e32 vcc_lo, v59, v59
	v_mul_f32_e32 v52, v1, v52
	v_add_f32_e32 v21, v22, v23
	v_mul_f32_e32 v22, v5, v58
	v_and_b32_e32 v58, 0xffff0000, v60
	v_cndmask_b32_e32 v59, v61, v62, vcc_lo
	v_lshlrev_b32_e32 v61, 16, v71
	v_add_f32_e32 v0, v21, v0
	v_bfe_u32 v60, v22, 16, 1
	v_cmp_u_f32_e32 vcc_lo, v52, v52
	v_and_b32_e32 v23, 0xffff0000, v59
	v_bfe_u32 v59, v52, 16, 1
	v_lshlrev_b32_e32 v62, 16, v73
	v_lshlrev_b32_e32 v64, 16, v72
	;; [unrolled: 1-line block ×3, first 2 shown]
	v_add_f32_e32 v21, v23, v58
	v_add3_u32 v23, v59, v52, 0x7fff
	v_or_b32_e32 v58, 0x400000, v52
	v_add3_u32 v59, v60, v22, 0x7fff
	v_mul_f32_e32 v60, v2, v61
	v_or_b32_e32 v61, 0x400000, v22
	v_lshlrev_b32_e32 v48, 16, v48
	v_cndmask_b32_e32 v23, v23, v58, vcc_lo
	v_cmp_u_f32_e32 vcc_lo, v22, v22
	v_bfe_u32 v52, v60, 16, 1
	v_mul_f32_e32 v58, v7, v62
	v_lshlrev_b32_e32 v62, 16, v69
	v_and_b32_e32 v23, 0xffff0000, v23
	v_cndmask_b32_e32 v22, v59, v61, vcc_lo
	v_lshlrev_b32_e32 v59, 16, v68
	v_add3_u32 v52, v52, v60, 0x7fff
	v_or_b32_e32 v61, 0x400000, v60
	v_bfe_u32 v63, v58, 16, 1
	v_cmp_u_f32_e32 vcc_lo, v60, v60
	v_mul_f32_e32 v59, v3, v59
	v_mul_f32_e32 v60, v8, v62
	v_or_b32_e32 v62, 0x400000, v58
	v_and_b32_e32 v22, 0xffff0000, v22
	v_cndmask_b32_e32 v52, v52, v61, vcc_lo
	v_add3_u32 v61, v63, v58, 0x7fff
	v_bfe_u32 v63, v59, 16, 1
	v_bfe_u32 v68, v60, 16, 1
	v_cmp_u_f32_e32 vcc_lo, v58, v58
	v_or_b32_e32 v69, 0x400000, v60
	v_and_b32_e32 v52, 0xffff0000, v52
	v_add_f32_e32 v22, v22, v23
	v_mul_f32_e32 v44, v8, v44
	v_cndmask_b32_e32 v58, v61, v62, vcc_lo
	v_add3_u32 v61, v63, v59, 0x7fff
	v_mul_f32_e32 v62, v4, v64
	v_or_b32_e32 v63, 0x400000, v59
	v_add3_u32 v64, v68, v60, 0x7fff
	v_lshlrev_b32_e32 v68, 16, v70
	v_cmp_u_f32_e32 vcc_lo, v59, v59
	v_bfe_u32 v70, v62, 16, 1
	v_and_b32_e32 v58, 0xffff0000, v58
	v_mul_f32_e32 v48, v4, v48
	v_lshlrev_b32_e32 v46, 16, v46
	v_cndmask_b32_e32 v59, v61, v63, vcc_lo
	v_mul_f32_e32 v61, v6, v68
	v_cmp_u_f32_e32 vcc_lo, v60, v60
	v_add3_u32 v63, v70, v62, 0x7fff
	v_add_f32_e32 v23, v58, v52
	v_and_b32_e32 v58, 0xffff0000, v59
	v_bfe_u32 v68, v61, 16, 1
	v_cndmask_b32_e32 v60, v64, v69, vcc_lo
	v_or_b32_e32 v64, 0x400000, v62
	v_cmp_u_f32_e32 vcc_lo, v62, v62
	v_lshlrev_b32_e32 v59, 16, v67
	v_add_f32_e32 v22, v23, v22
	v_and_b32_e32 v52, 0xffff0000, v60
	v_mul_f32_e32 v46, v6, v46
	v_cndmask_b32_e32 v62, v63, v64, vcc_lo
	v_add3_u32 v63, v68, v61, 0x7fff
	v_or_b32_e32 v64, 0x400000, v61
	v_cmp_u_f32_e32 vcc_lo, v61, v61
	v_lshlrev_b32_e32 v61, 16, v66
	v_add_f32_e32 v23, v52, v58
	v_mul_f32_e32 v52, v1, v59
	v_lshlrev_b32_e32 v20, 16, v20
	v_cndmask_b32_e32 v60, v63, v64, vcc_lo
	v_mul_f32_e32 v59, v5, v61
	v_add_f32_e32 v22, v23, v22
	v_bfe_u32 v61, v52, 16, 1
	v_lshlrev_b32_e32 v64, 16, v65
	v_and_b32_e32 v58, 0xffff0000, v60
	v_and_b32_e32 v60, 0xffff0000, v62
	v_bfe_u32 v62, v59, 16, 1
	v_cmp_u_f32_e32 vcc_lo, v52, v52
	v_bfe_u32 v63, v56, 16, 1
	v_lshlrev_b32_e32 v17, 16, v17
	v_add_f32_e32 v23, v58, v60
	v_add3_u32 v58, v61, v52, 0x7fff
	v_or_b32_e32 v60, 0x400000, v52
	v_add3_u32 v61, v62, v59, 0x7fff
	v_or_b32_e32 v62, 0x400000, v59
	v_mul_f32_e32 v2, v2, v17
	v_lshlrev_b32_e32 v16, 16, v16
	v_cndmask_b32_e32 v52, v58, v60, vcc_lo
	v_cmp_u_f32_e32 vcc_lo, v59, v59
	v_mul_f32_e32 v59, v7, v64
	v_add3_u32 v60, v63, v56, 0x7fff
	v_bfe_u32 v63, v54, 16, 1
	v_bfe_u32 v64, v57, 16, 1
	v_cndmask_b32_e32 v58, v61, v62, vcc_lo
	v_or_b32_e32 v61, 0x400000, v56
	v_bfe_u32 v62, v59, 16, 1
	v_cmp_u_f32_e32 vcc_lo, v56, v56
	v_and_b32_e32 v52, 0xffff0000, v52
	v_and_b32_e32 v58, 0xffff0000, v58
	v_mul_f32_e32 v7, v7, v20
	v_mul_f32_e32 v8, v8, v16
	v_cndmask_b32_e32 v56, v60, v61, vcc_lo
	v_add3_u32 v60, v62, v59, 0x7fff
	v_or_b32_e32 v61, 0x400000, v59
	v_bfe_u32 v62, v53, 16, 1
	v_cmp_u_f32_e32 vcc_lo, v59, v59
	v_and_b32_e32 v56, 0xffff0000, v56
	v_add_f32_e32 v52, v58, v52
	v_lshlrev_b32_e32 v10, 16, v10
	v_lshlrev_b32_e32 v18, 16, v18
	v_cndmask_b32_e32 v59, v60, v61, vcc_lo
	v_add3_u32 v60, v62, v53, 0x7fff
	v_or_b32_e32 v61, 0x400000, v53
	v_cmp_u_f32_e32 vcc_lo, v53, v53
	v_add3_u32 v62, v63, v54, 0x7fff
	v_or_b32_e32 v63, 0x400000, v54
	v_and_b32_e32 v59, 0xffff0000, v59
	v_mul_f32_e32 v3, v3, v10
	v_cndmask_b32_e32 v53, v60, v61, vcc_lo
	v_cmp_u_f32_e32 vcc_lo, v54, v54
	v_add3_u32 v60, v64, v57, 0x7fff
	v_or_b32_e32 v61, 0x400000, v57
	v_add_f32_e32 v56, v59, v56
	v_and_b32_e32 v53, 0xffff0000, v53
	v_cndmask_b32_e32 v54, v62, v63, vcc_lo
	v_cmp_u_f32_e32 vcc_lo, v57, v57
	v_or_b32_e32 v59, 0x400000, v55
	v_add_f32_e32 v52, v56, v52
	v_lshlrev_b32_e32 v10, 16, v19
	v_and_b32_e32 v54, 0xffff0000, v54
	v_cndmask_b32_e32 v57, v60, v61, vcc_lo
	v_bfe_u32 v60, v55, 16, 1
	v_cmp_u_f32_e32 vcc_lo, v55, v55
	v_mul_f32_e32 v6, v6, v10
	v_add_f32_e32 v53, v54, v53
	v_and_b32_e32 v56, 0xffff0000, v57
	v_add3_u32 v58, v60, v55, 0x7fff
	v_bfe_u32 v55, v51, 16, 1
	v_bfe_u32 v57, v50, 16, 1
	v_add_f32_e32 v52, v53, v52
	v_mul_f32_e32 v4, v4, v18
	v_cndmask_b32_e32 v54, v58, v59, vcc_lo
	v_cmp_u_f32_e32 vcc_lo, v51, v51
	v_or_b32_e32 v58, 0x400000, v47
	v_or_b32_e32 v10, 0x400000, v8
	;; [unrolled: 1-line block ×3, first 2 shown]
	v_and_b32_e32 v53, 0xffff0000, v54
	v_add3_u32 v54, v55, v51, 0x7fff
	v_or_b32_e32 v55, 0x400000, v51
	v_bfe_u32 v19, v6, 16, 1
	v_add_f32_e32 v0, v21, v0
	v_cndmask_b32_e32 v51, v54, v55, vcc_lo
	v_bfe_u32 v54, v47, 16, 1
	v_add3_u32 v55, v57, v50, 0x7fff
	v_or_b32_e32 v57, 0x400000, v50
	v_cmp_u_f32_e32 vcc_lo, v50, v50
	v_and_b32_e32 v51, 0xffff0000, v51
	v_add3_u32 v54, v54, v47, 0x7fff
	v_add_f32_e32 v32, v32, v0
	v_cndmask_b32_e32 v50, v55, v57, vcc_lo
	v_bfe_u32 v55, v49, 16, 1
	v_cmp_u_f32_e32 vcc_lo, v47, v47
	v_or_b32_e32 v57, 0x400000, v49
	v_and_b32_e32 v50, 0xffff0000, v50
	v_add3_u32 v55, v55, v49, 0x7fff
	v_cndmask_b32_e32 v47, v54, v58, vcc_lo
	v_bfe_u32 v54, v45, 16, 1
	v_cmp_u_f32_e32 vcc_lo, v49, v49
	v_or_b32_e32 v58, 0x400000, v45
	v_add_f32_e32 v50, v50, v51
	v_and_b32_e32 v47, 0xffff0000, v47
	v_add3_u32 v54, v54, v45, 0x7fff
	v_cndmask_b32_e32 v49, v55, v57, vcc_lo
	v_bfe_u32 v55, v44, 16, 1
	v_cmp_u_f32_e32 vcc_lo, v45, v45
	v_bfe_u32 v57, v48, 16, 1
	v_and_b32_e32 v49, 0xffff0000, v49
	v_cndmask_b32_e32 v45, v54, v58, vcc_lo
	v_add3_u32 v54, v55, v44, 0x7fff
	v_or_b32_e32 v55, 0x400000, v44
	v_cmp_u_f32_e32 vcc_lo, v44, v44
	v_add3_u32 v57, v57, v48, 0x7fff
	v_or_b32_e32 v58, 0x400000, v48
	v_add_f32_e32 v47, v49, v47
	v_lshlrev_b32_e32 v49, 16, v98
	v_cndmask_b32_e32 v44, v54, v55, vcc_lo
	v_cmp_u_f32_e32 vcc_lo, v48, v48
	v_bfe_u32 v54, v46, 16, 1
	v_or_b32_e32 v55, 0x400000, v46
	v_and_b32_e32 v45, 0xffff0000, v45
	v_and_b32_e32 v44, 0xffff0000, v44
	v_cndmask_b32_e32 v48, v57, v58, vcc_lo
	v_lshlrev_b32_e32 v57, 16, v99
	v_add3_u32 v54, v54, v46, 0x7fff
	v_cmp_u_f32_e32 vcc_lo, v46, v46
	v_add_f32_e32 v47, v47, v50
	v_mul_f32_e32 v1, v1, v49
	v_mul_f32_e32 v5, v5, v57
	v_add_f32_e32 v44, v44, v45
	v_cndmask_b32_e32 v46, v54, v55, vcc_lo
	v_bfe_u32 v50, v5, 16, 1
	v_or_b32_e32 v49, 0x400000, v5
	v_and_b32_e32 v45, 0xffff0000, v46
	v_cmp_u_f32_e32 vcc_lo, v5, v5
	v_add3_u32 v46, v50, v5, 0x7fff
	v_bfe_u32 v50, v1, 16, 1
	v_cndmask_b32_e32 v5, v46, v49, vcc_lo
	v_add3_u32 v20, v50, v1, 0x7fff
	v_or_b32_e32 v46, 0x400000, v1
	v_bfe_u32 v49, v7, 16, 1
	v_cmp_u_f32_e32 vcc_lo, v1, v1
	v_and_b32_e32 v5, 0xffff0000, v5
	v_add3_u32 v17, v49, v7, 0x7fff
	v_cndmask_b32_e32 v1, v20, v46, vcc_lo
	v_or_b32_e32 v20, 0x400000, v7
	v_bfe_u32 v46, v2, 16, 1
	v_cmp_u_f32_e32 vcc_lo, v7, v7
	v_and_b32_e32 v1, 0xffff0000, v1
	v_add3_u32 v16, v46, v2, 0x7fff
	v_cndmask_b32_e32 v7, v17, v20, vcc_lo
	v_or_b32_e32 v17, 0x400000, v2
	v_bfe_u32 v20, v8, 16, 1
	v_cmp_u_f32_e32 vcc_lo, v2, v2
	v_add_f32_e32 v1, v5, v1
	v_and_b32_e32 v7, 0xffff0000, v7
	v_cndmask_b32_e32 v2, v16, v17, vcc_lo
	v_bfe_u32 v16, v3, 16, 1
	v_add3_u32 v17, v20, v8, 0x7fff
	v_cmp_u_f32_e32 vcc_lo, v8, v8
	v_bfe_u32 v20, v4, 16, 1
	v_and_b32_e32 v2, 0xffff0000, v2
	v_add3_u32 v16, v16, v3, 0x7fff
	v_cndmask_b32_e32 v8, v17, v10, vcc_lo
	v_cmp_u_f32_e32 vcc_lo, v3, v3
	v_or_b32_e32 v17, 0x400000, v4
	v_add3_u32 v10, v19, v6, 0x7fff
	v_add_f32_e32 v2, v7, v2
	v_and_b32_e32 v5, 0xffff0000, v8
	v_cndmask_b32_e32 v3, v16, v18, vcc_lo
	v_add3_u32 v16, v20, v4, 0x7fff
	v_cmp_u_f32_e32 vcc_lo, v4, v4
	v_or_b32_e32 v18, 0x400000, v6
	v_and_b32_e32 v7, 0xffff0000, v48
	v_and_b32_e32 v3, 0xffff0000, v3
	v_add_f32_e32 v1, v2, v1
	v_cndmask_b32_e32 v4, v16, v17, vcc_lo
	v_cmp_u_f32_e32 vcc_lo, v6, v6
	v_add_f32_e32 v7, v45, v7
	v_add_f32_e32 v2, v5, v3
	;; [unrolled: 1-line block ×3, first 2 shown]
	v_and_b32_e32 v3, 0xffff0000, v4
	v_cndmask_b32_e32 v6, v10, v18, vcc_lo
	v_add_f32_e32 v1, v2, v1
	v_and_b32_e32 v4, 0xffff0000, v6
	v_add_f32_e32 v6, v44, v47
	v_add_f32_e32 v2, v4, v3
	;; [unrolled: 1-line block ×10, first 2 shown]
.LBB372_517:                            ;   in Loop: Header=BB372_518 Depth=1
	s_or_b32 exec_lo, exec_lo, s17
	v_add_nc_u32_e32 v9, 4, v9
	v_add_co_u32 v12, s0, v12, 16
	v_add_co_ci_u32_e64 v13, null, 0, v13, s0
	v_cmp_le_i32_e32 vcc_lo, s20, v9
	v_add_nc_u32_e32 v24, 0x80, v24
	v_add_nc_u32_e32 v42, 0x200, v42
	s_or_b32 s13, vcc_lo, s13
	s_andn2_b32 exec_lo, exec_lo, s13
	s_cbranch_execz .LBB372_1015
.LBB372_518:                            ; =>This Inner Loop Header: Depth=1
	v_sub_nc_u32_e32 v0, 0, v24
	v_max_i32_e32 v0, v24, v0
	v_mul_hi_u32 v1, v0, s16
	v_mul_lo_u32 v2, v1, s11
	v_sub_nc_u32_e32 v0, v0, v2
	v_add_nc_u32_e32 v2, 1, v1
	v_subrev_nc_u32_e32 v3, s11, v0
	v_cmp_le_u32_e32 vcc_lo, s11, v0
	v_cndmask_b32_e32 v1, v1, v2, vcc_lo
	v_cndmask_b32_e32 v0, v0, v3, vcc_lo
	v_ashrrev_i32_e32 v2, 31, v24
	v_add_nc_u32_e32 v3, 1, v1
	v_cmp_le_u32_e32 vcc_lo, s11, v0
	v_xor_b32_e32 v2, s23, v2
	v_cndmask_b32_e32 v0, v1, v3, vcc_lo
	v_xor_b32_e32 v0, v0, v2
	v_sub_nc_u32_e32 v0, v0, v2
	v_add_nc_u32_e32 v1, s19, v0
	v_cmp_lt_i32_e64 s0, s3, v0
	v_sub_nc_u32_e32 v2, 0, v1
	v_max_i32_e32 v2, v1, v2
	v_ashrrev_i32_e32 v1, 31, v1
	v_mul_hi_u32 v3, v2, v43
	v_mul_lo_u32 v3, v3, s6
	v_sub_nc_u32_e32 v2, v2, v3
	v_subrev_nc_u32_e32 v3, s6, v2
	v_cmp_le_u32_e32 vcc_lo, s6, v2
	v_cndmask_b32_e32 v2, v2, v3, vcc_lo
	v_subrev_nc_u32_e32 v3, s6, v2
	v_cmp_le_u32_e32 vcc_lo, s6, v2
	v_cndmask_b32_e32 v2, v2, v3, vcc_lo
	v_xor_b32_e32 v2, v2, v1
	v_sub_nc_u32_e32 v1, v2, v1
	v_cmp_eq_u32_e32 vcc_lo, 0, v1
	s_or_b32 s0, vcc_lo, s0
	s_and_saveexec_b32 s17, s0
	s_cbranch_execz .LBB372_517
; %bb.519:                              ;   in Loop: Header=BB372_518 Depth=1
	global_load_dword v0, v[12:13], off
	v_mov_b32_e32 v22, 0
	s_waitcnt vmcnt(0)
	v_mad_i64_i32 v[16:17], null, v0, s9, v[14:15]
	v_mov_b32_e32 v0, 0
	global_load_dwordx2 v[18:19], v[16:17], off
	ds_read2_b64 v[5:8], v42 offset1:1
	ds_read2_b64 v[1:4], v42 offset0:2 offset1:3
	s_load_dword s18, s[14:15], 0x0
	s_waitcnt vmcnt(0)
	v_cmp_ne_u16_sdwa s21, v18, v11 src0_sel:BYTE_0 src1_sel:DWORD
	s_and_saveexec_b32 s0, s21
	s_cbranch_execz .LBB372_525
; %bb.520:                              ;   in Loop: Header=BB372_518 Depth=1
	v_cmp_ne_u16_sdwa s22, v18, v36 src0_sel:BYTE_0 src1_sel:DWORD
	v_bfrev_b32_e32 v0, 1
	s_and_saveexec_b32 s21, s22
	s_cbranch_execz .LBB372_524
; %bb.521:                              ;   in Loop: Header=BB372_518 Depth=1
	v_and_b32_e32 v10, 0x7f, v18
	v_mov_b32_e32 v0, 0x7f800001
	s_mov_b32 s22, exec_lo
	v_cmpx_ne_u32_e32 0x7f, v10
	s_cbranch_execz .LBB372_523
; %bb.522:                              ;   in Loop: Header=BB372_518 Depth=1
	v_and_b32_e32 v0, 7, v18
	v_cmp_gt_u32_e32 vcc_lo, 8, v10
	v_lshrrev_b32_e32 v20, 3, v10
	v_ffbh_u32_e32 v0, v0
	v_min_u32_e32 v0, 32, v0
	v_subrev_nc_u32_e32 v21, 28, v0
	v_sub_nc_u32_e32 v0, 29, v0
	v_cndmask_b32_e32 v10, 0, v21, vcc_lo
	v_cndmask_b32_e32 v0, v20, v0, vcc_lo
	v_lshlrev_b64 v[20:21], v10, v[18:19]
	v_lshlrev_b32_e32 v10, 24, v18
	v_lshl_add_u32 v0, v0, 23, 0x3c000000
	v_and_b32_e32 v10, 0x80000000, v10
	v_lshlrev_b32_e32 v20, 20, v20
	v_and_b32_e32 v20, 0x700000, v20
	v_or3_b32 v0, v20, v10, v0
.LBB372_523:                            ;   in Loop: Header=BB372_518 Depth=1
	s_or_b32 exec_lo, exec_lo, s22
.LBB372_524:                            ;   in Loop: Header=BB372_518 Depth=1
	s_or_b32 exec_lo, exec_lo, s21
.LBB372_525:                            ;   in Loop: Header=BB372_518 Depth=1
	s_or_b32 exec_lo, exec_lo, s0
	v_cmp_ne_u16_sdwa s21, v18, v11 src0_sel:BYTE_1 src1_sel:DWORD
	s_and_saveexec_b32 s0, s21
	s_cbranch_execz .LBB372_533
; %bb.526:                              ;   in Loop: Header=BB372_518 Depth=1
	v_cmp_ne_u16_sdwa s22, v18, v36 src0_sel:BYTE_1 src1_sel:DWORD
	v_bfrev_b32_e32 v22, 1
	s_and_saveexec_b32 s21, s22
	s_cbranch_execz .LBB372_532
; %bb.527:                              ;   in Loop: Header=BB372_518 Depth=1
	v_and_b32_sdwa v10, v37, v18 dst_sel:DWORD dst_unused:UNUSED_PAD src0_sel:DWORD src1_sel:BYTE_1
	v_mov_b32_e32 v22, 0x7f800001
	s_mov_b32 s22, exec_lo
	v_and_b32_e32 v21, 0x7f, v10
	v_cmpx_ne_u32_e32 0x7f, v21
	s_cbranch_execz .LBB372_531
; %bb.528:                              ;   in Loop: Header=BB372_518 Depth=1
	v_and_b32_e32 v10, 7, v10
	v_lshrrev_b32_e32 v20, 3, v21
	s_mov_b32 s24, exec_lo
	v_cmpx_gt_u32_e32 8, v21
; %bb.529:                              ;   in Loop: Header=BB372_518 Depth=1
	v_ffbh_u32_e32 v20, v10
	v_min_u32_e32 v20, 32, v20
	v_subrev_nc_u32_e32 v21, 28, v20
	v_sub_nc_u32_e32 v20, 29, v20
	v_lshlrev_b64 v[21:22], v21, v[10:11]
	v_and_b32_e32 v10, 7, v21
; %bb.530:                              ;   in Loop: Header=BB372_518 Depth=1
	s_or_b32 exec_lo, exec_lo, s24
	v_lshlrev_b32_e32 v21, 16, v18
	v_lshlrev_b32_e32 v10, 20, v10
	v_lshl_add_u32 v20, v20, 23, 0x3c000000
	v_and_b32_e32 v21, 0x80000000, v21
	v_or3_b32 v22, v10, v21, v20
.LBB372_531:                            ;   in Loop: Header=BB372_518 Depth=1
	s_or_b32 exec_lo, exec_lo, s22
.LBB372_532:                            ;   in Loop: Header=BB372_518 Depth=1
	s_or_b32 exec_lo, exec_lo, s21
.LBB372_533:                            ;   in Loop: Header=BB372_518 Depth=1
	s_or_b32 exec_lo, exec_lo, s0
	v_and_b32_sdwa v10, v18, v38 dst_sel:DWORD dst_unused:UNUSED_PAD src0_sel:WORD_1 src1_sel:DWORD
	v_mov_b32_e32 v44, 0
	v_mov_b32_e32 v23, 0
	s_mov_b32 s0, exec_lo
	v_cmpx_ne_u16_e32 0, v10
	s_cbranch_execz .LBB372_541
; %bb.534:                              ;   in Loop: Header=BB372_518 Depth=1
	v_bfrev_b32_e32 v23, 1
	s_mov_b32 s21, exec_lo
	v_cmpx_ne_u16_e32 0x80, v10
	s_cbranch_execz .LBB372_540
; %bb.535:                              ;   in Loop: Header=BB372_518 Depth=1
	v_bfe_u32 v21, v18, 16, 7
	v_mov_b32_e32 v23, 0x7f800001
	s_mov_b32 s22, exec_lo
	v_cmpx_ne_u32_e32 0x7f, v21
	s_cbranch_execz .LBB372_539
; %bb.536:                              ;   in Loop: Header=BB372_518 Depth=1
	v_and_b32_sdwa v10, v18, v39 dst_sel:DWORD dst_unused:UNUSED_PAD src0_sel:WORD_1 src1_sel:DWORD
	v_lshrrev_b32_e32 v20, 3, v21
	s_mov_b32 s24, exec_lo
	v_cmpx_gt_u32_e32 8, v21
; %bb.537:                              ;   in Loop: Header=BB372_518 Depth=1
	v_ffbh_u32_e32 v20, v10
	v_min_u32_e32 v20, 32, v20
	v_subrev_nc_u32_e32 v21, 28, v20
	v_sub_nc_u32_e32 v20, 29, v20
	v_lshlrev_b64 v[45:46], v21, v[10:11]
	v_and_b32_e32 v10, 7, v45
; %bb.538:                              ;   in Loop: Header=BB372_518 Depth=1
	s_or_b32 exec_lo, exec_lo, s24
	v_lshlrev_b32_sdwa v21, v40, v18 dst_sel:DWORD dst_unused:UNUSED_PAD src0_sel:DWORD src1_sel:WORD_1
	v_lshlrev_b32_e32 v10, 20, v10
	v_lshl_add_u32 v20, v20, 23, 0x3c000000
	v_and_b32_e32 v21, 0x80000000, v21
	v_or3_b32 v23, v10, v21, v20
.LBB372_539:                            ;   in Loop: Header=BB372_518 Depth=1
	s_or_b32 exec_lo, exec_lo, s22
.LBB372_540:                            ;   in Loop: Header=BB372_518 Depth=1
	s_or_b32 exec_lo, exec_lo, s21
.LBB372_541:                            ;   in Loop: Header=BB372_518 Depth=1
	s_or_b32 exec_lo, exec_lo, s0
	s_mov_b32 s0, exec_lo
	v_cmpx_lt_u32_e32 0xffffff, v18
	s_cbranch_execz .LBB372_549
; %bb.542:                              ;   in Loop: Header=BB372_518 Depth=1
	v_cmp_ne_u32_sdwa s22, v18, v36 src0_sel:BYTE_3 src1_sel:DWORD
	v_bfrev_b32_e32 v44, 1
	s_and_saveexec_b32 s21, s22
	s_cbranch_execz .LBB372_548
; %bb.543:                              ;   in Loop: Header=BB372_518 Depth=1
	v_bfe_u32 v21, v18, 24, 7
	v_mov_b32_e32 v44, 0x7f800001
	s_mov_b32 s22, exec_lo
	v_cmpx_ne_u32_e32 0x7f, v21
	s_cbranch_execz .LBB372_547
; %bb.544:                              ;   in Loop: Header=BB372_518 Depth=1
	v_and_b32_sdwa v10, v18, v39 dst_sel:DWORD dst_unused:UNUSED_PAD src0_sel:BYTE_3 src1_sel:DWORD
	v_lshrrev_b32_e32 v20, 3, v21
	s_mov_b32 s24, exec_lo
	v_cmpx_gt_u32_e32 8, v21
; %bb.545:                              ;   in Loop: Header=BB372_518 Depth=1
	v_ffbh_u32_e32 v20, v10
	v_min_u32_e32 v20, 32, v20
	v_subrev_nc_u32_e32 v21, 28, v20
	v_sub_nc_u32_e32 v20, 29, v20
	v_lshlrev_b64 v[44:45], v21, v[10:11]
	v_and_b32_e32 v10, 7, v44
; %bb.546:                              ;   in Loop: Header=BB372_518 Depth=1
	s_or_b32 exec_lo, exec_lo, s24
	v_lshlrev_b32_sdwa v21, v40, v18 dst_sel:DWORD dst_unused:UNUSED_PAD src0_sel:DWORD src1_sel:BYTE_3
	v_lshlrev_b32_e32 v10, 20, v10
	v_lshl_add_u32 v20, v20, 23, 0x3c000000
	v_and_b32_e32 v21, 0x80000000, v21
	v_or3_b32 v44, v10, v21, v20
.LBB372_547:                            ;   in Loop: Header=BB372_518 Depth=1
	s_or_b32 exec_lo, exec_lo, s22
.LBB372_548:                            ;   in Loop: Header=BB372_518 Depth=1
	s_or_b32 exec_lo, exec_lo, s21
.LBB372_549:                            ;   in Loop: Header=BB372_518 Depth=1
	s_or_b32 exec_lo, exec_lo, s0
	v_mov_b32_e32 v10, v19
	v_cmp_ne_u16_sdwa s21, v19, v11 src0_sel:BYTE_0 src1_sel:DWORD
	v_mov_b32_e32 v20, 0
	v_mov_b32_e32 v45, 0
	s_and_saveexec_b32 s0, s21
	s_cbranch_execz .LBB372_555
; %bb.550:                              ;   in Loop: Header=BB372_518 Depth=1
	v_cmp_ne_u16_sdwa s22, v19, v36 src0_sel:BYTE_0 src1_sel:DWORD
	v_bfrev_b32_e32 v45, 1
	s_and_saveexec_b32 s21, s22
	s_cbranch_execz .LBB372_554
; %bb.551:                              ;   in Loop: Header=BB372_518 Depth=1
	v_and_b32_e32 v21, 0x7f, v19
	v_mov_b32_e32 v45, 0x7f800001
	s_mov_b32 s22, exec_lo
	v_cmpx_ne_u32_e32 0x7f, v21
	s_cbranch_execz .LBB372_553
; %bb.552:                              ;   in Loop: Header=BB372_518 Depth=1
	v_and_b32_e32 v45, 7, v19
	v_lshrrev_b32_e32 v46, 3, v21
	v_cmp_gt_u32_e32 vcc_lo, 8, v21
	v_ffbh_u32_e32 v45, v45
	v_min_u32_e32 v45, 32, v45
	v_subrev_nc_u32_e32 v47, 28, v45
	v_sub_nc_u32_e32 v45, 29, v45
	v_cndmask_b32_e32 v21, v46, v45, vcc_lo
	v_cndmask_b32_e32 v45, 0, v47, vcc_lo
	v_lshl_add_u32 v21, v21, 23, 0x3c000000
	v_lshlrev_b64 v[45:46], v45, v[10:11]
	v_lshlrev_b32_e32 v46, 24, v10
	v_lshlrev_b32_e32 v45, 20, v45
	v_and_b32_e32 v46, 0x80000000, v46
	v_and_b32_e32 v45, 0x700000, v45
	v_or3_b32 v45, v45, v46, v21
.LBB372_553:                            ;   in Loop: Header=BB372_518 Depth=1
	s_or_b32 exec_lo, exec_lo, s22
.LBB372_554:                            ;   in Loop: Header=BB372_518 Depth=1
	s_or_b32 exec_lo, exec_lo, s21
.LBB372_555:                            ;   in Loop: Header=BB372_518 Depth=1
	s_or_b32 exec_lo, exec_lo, s0
	v_cmp_ne_u16_sdwa s21, v10, v11 src0_sel:BYTE_1 src1_sel:DWORD
	s_and_saveexec_b32 s0, s21
	s_cbranch_execz .LBB372_563
; %bb.556:                              ;   in Loop: Header=BB372_518 Depth=1
	v_cmp_ne_u16_sdwa s22, v10, v36 src0_sel:BYTE_1 src1_sel:DWORD
	v_bfrev_b32_e32 v20, 1
	s_and_saveexec_b32 s21, s22
	s_cbranch_execz .LBB372_562
; %bb.557:                              ;   in Loop: Header=BB372_518 Depth=1
	v_and_b32_sdwa v21, v37, v10 dst_sel:DWORD dst_unused:UNUSED_PAD src0_sel:DWORD src1_sel:BYTE_1
	v_mov_b32_e32 v20, 0x7f800001
	s_mov_b32 s22, exec_lo
	v_and_b32_e32 v47, 0x7f, v21
	v_cmpx_ne_u32_e32 0x7f, v47
	s_cbranch_execz .LBB372_561
; %bb.558:                              ;   in Loop: Header=BB372_518 Depth=1
	v_and_b32_e32 v20, 7, v21
	v_mov_b32_e32 v21, v11
	v_lshrrev_b32_e32 v46, 3, v47
	s_mov_b32 s24, exec_lo
	v_cmpx_gt_u32_e32 8, v47
; %bb.559:                              ;   in Loop: Header=BB372_518 Depth=1
	v_ffbh_u32_e32 v46, v20
	v_min_u32_e32 v46, 32, v46
	v_subrev_nc_u32_e32 v47, 28, v46
	v_sub_nc_u32_e32 v46, 29, v46
	v_lshlrev_b64 v[20:21], v47, v[20:21]
	v_and_b32_e32 v20, 7, v20
; %bb.560:                              ;   in Loop: Header=BB372_518 Depth=1
	s_or_b32 exec_lo, exec_lo, s24
	v_lshlrev_b32_e32 v10, 16, v10
	v_lshlrev_b32_e32 v20, 20, v20
	v_lshl_add_u32 v21, v46, 23, 0x3c000000
	v_and_b32_e32 v10, 0x80000000, v10
	v_or3_b32 v20, v20, v10, v21
.LBB372_561:                            ;   in Loop: Header=BB372_518 Depth=1
	s_or_b32 exec_lo, exec_lo, s22
.LBB372_562:                            ;   in Loop: Header=BB372_518 Depth=1
	s_or_b32 exec_lo, exec_lo, s21
.LBB372_563:                            ;   in Loop: Header=BB372_518 Depth=1
	s_or_b32 exec_lo, exec_lo, s0
	v_and_b32_sdwa v10, v19, v38 dst_sel:DWORD dst_unused:UNUSED_PAD src0_sel:WORD_1 src1_sel:DWORD
	v_mov_b32_e32 v21, 0
	v_mov_b32_e32 v46, 0
	s_mov_b32 s0, exec_lo
	v_cmpx_ne_u16_e32 0, v10
	s_cbranch_execz .LBB372_571
; %bb.564:                              ;   in Loop: Header=BB372_518 Depth=1
	v_bfrev_b32_e32 v46, 1
	s_mov_b32 s21, exec_lo
	v_cmpx_ne_u16_e32 0x80, v10
	s_cbranch_execz .LBB372_570
; %bb.565:                              ;   in Loop: Header=BB372_518 Depth=1
	v_bfe_u32 v47, v19, 16, 7
	v_mov_b32_e32 v46, 0x7f800001
	s_mov_b32 s22, exec_lo
	v_cmpx_ne_u32_e32 0x7f, v47
	s_cbranch_execz .LBB372_569
; %bb.566:                              ;   in Loop: Header=BB372_518 Depth=1
	v_and_b32_sdwa v10, v19, v39 dst_sel:DWORD dst_unused:UNUSED_PAD src0_sel:WORD_1 src1_sel:DWORD
	v_lshrrev_b32_e32 v46, 3, v47
	s_mov_b32 s24, exec_lo
	v_cmpx_gt_u32_e32 8, v47
; %bb.567:                              ;   in Loop: Header=BB372_518 Depth=1
	v_ffbh_u32_e32 v46, v10
	v_min_u32_e32 v46, 32, v46
	v_subrev_nc_u32_e32 v47, 28, v46
	v_sub_nc_u32_e32 v46, 29, v46
	v_lshlrev_b64 v[47:48], v47, v[10:11]
	v_and_b32_e32 v10, 7, v47
; %bb.568:                              ;   in Loop: Header=BB372_518 Depth=1
	s_or_b32 exec_lo, exec_lo, s24
	v_lshlrev_b32_sdwa v47, v40, v19 dst_sel:DWORD dst_unused:UNUSED_PAD src0_sel:DWORD src1_sel:WORD_1
	v_lshlrev_b32_e32 v10, 20, v10
	v_lshl_add_u32 v46, v46, 23, 0x3c000000
	v_and_b32_e32 v47, 0x80000000, v47
	v_or3_b32 v46, v10, v47, v46
.LBB372_569:                            ;   in Loop: Header=BB372_518 Depth=1
	s_or_b32 exec_lo, exec_lo, s22
.LBB372_570:                            ;   in Loop: Header=BB372_518 Depth=1
	s_or_b32 exec_lo, exec_lo, s21
.LBB372_571:                            ;   in Loop: Header=BB372_518 Depth=1
	s_or_b32 exec_lo, exec_lo, s0
	s_mov_b32 s0, exec_lo
	v_cmpx_lt_u64_e64 s[4:5], v[18:19]
	s_cbranch_execz .LBB372_579
; %bb.572:                              ;   in Loop: Header=BB372_518 Depth=1
	v_cmp_ne_u32_sdwa s22, v19, v36 src0_sel:BYTE_3 src1_sel:DWORD
	v_bfrev_b32_e32 v21, 1
	s_and_saveexec_b32 s21, s22
	s_cbranch_execz .LBB372_578
; %bb.573:                              ;   in Loop: Header=BB372_518 Depth=1
	v_bfe_u32 v47, v19, 24, 7
	v_mov_b32_e32 v21, 0x7f800001
	s_mov_b32 s22, exec_lo
	v_cmpx_ne_u32_e32 0x7f, v47
	s_cbranch_execz .LBB372_577
; %bb.574:                              ;   in Loop: Header=BB372_518 Depth=1
	v_and_b32_sdwa v10, v19, v39 dst_sel:DWORD dst_unused:UNUSED_PAD src0_sel:BYTE_3 src1_sel:DWORD
	v_lshrrev_b32_e32 v18, 3, v47
	s_mov_b32 s24, exec_lo
	v_cmpx_gt_u32_e32 8, v47
; %bb.575:                              ;   in Loop: Header=BB372_518 Depth=1
	v_ffbh_u32_e32 v18, v10
	v_min_u32_e32 v18, 32, v18
	v_subrev_nc_u32_e32 v21, 28, v18
	v_sub_nc_u32_e32 v18, 29, v18
	v_lshlrev_b64 v[47:48], v21, v[10:11]
	v_and_b32_e32 v10, 7, v47
; %bb.576:                              ;   in Loop: Header=BB372_518 Depth=1
	s_or_b32 exec_lo, exec_lo, s24
	v_lshlrev_b32_sdwa v19, v40, v19 dst_sel:DWORD dst_unused:UNUSED_PAD src0_sel:DWORD src1_sel:BYTE_3
	v_lshlrev_b32_e32 v10, 20, v10
	v_lshl_add_u32 v18, v18, 23, 0x3c000000
	v_and_b32_e32 v19, 0x80000000, v19
	v_or3_b32 v21, v10, v19, v18
.LBB372_577:                            ;   in Loop: Header=BB372_518 Depth=1
	s_or_b32 exec_lo, exec_lo, s22
.LBB372_578:                            ;   in Loop: Header=BB372_518 Depth=1
	s_or_b32 exec_lo, exec_lo, s21
.LBB372_579:                            ;   in Loop: Header=BB372_518 Depth=1
	s_or_b32 exec_lo, exec_lo, s0
	s_waitcnt lgkmcnt(0)
	v_mul_f32_e32 v10, s18, v20
	v_mul_f32_e32 v18, s18, v45
	;; [unrolled: 1-line block ×5, first 2 shown]
	v_bfe_u32 v20, v10, 16, 1
	v_or_b32_e32 v44, 0x400000, v10
	v_bfe_u32 v45, v18, 16, 1
	v_cmp_u_f32_e64 s0, v10, v10
	v_or_b32_e32 v47, 0x400000, v18
	v_add3_u32 v20, v20, v10, 0x7fff
	v_bfe_u32 v48, v19, 16, 1
	v_add3_u32 v45, v45, v18, 0x7fff
	v_or_b32_e32 v49, 0x400000, v19
	v_mul_f32_e32 v21, s18, v21
	v_cndmask_b32_e64 v10, v20, v44, s0
	v_cmp_u_f32_e64 s0, v18, v18
	v_add3_u32 v44, v48, v19, 0x7fff
	v_bfe_u32 v20, v23, 16, 1
	v_add_nc_u32_e32 v52, v41, v24
	v_cmp_eq_u32_e32 vcc_lo, s12, v9
	v_cndmask_b32_e64 v18, v45, v47, s0
	v_cmp_u_f32_e64 s0, v19, v19
	v_lshrrev_b32_e32 v45, 16, v10
	v_mul_f32_e32 v19, s18, v22
	v_add3_u32 v20, v20, v23, 0x7fff
	v_or_b32_e32 v22, 0x400000, v23
	v_cndmask_b32_e64 v10, v44, v49, s0
	v_cmp_u_f32_e64 s0, v23, v23
	v_lshrrev_b32_e32 v44, 16, v18
	v_bfe_u32 v23, v0, 16, 1
	v_or_b32_e32 v49, 0x400000, v21
	v_lshrrev_b32_e32 v47, 16, v10
	v_bfe_u32 v10, v19, 16, 1
	v_cndmask_b32_e64 v18, v20, v22, s0
	v_mul_f32_e32 v20, s18, v46
	v_or_b32_e32 v22, 0x400000, v19
	v_cmp_u_f32_e64 s0, v19, v19
	v_add3_u32 v10, v10, v19, 0x7fff
	v_bfe_u32 v19, v21, 16, 1
	v_bfe_u32 v46, v20, 16, 1
	v_or_b32_e32 v48, 0x400000, v20
	v_add_nc_u32_e32 v64, 1, v52
	v_cndmask_b32_e64 v10, v10, v22, s0
	v_add3_u32 v22, v23, v0, 0x7fff
	v_or_b32_e32 v23, 0x400000, v0
	v_cmp_u_f32_e64 s0, v0, v0
	v_add3_u32 v46, v46, v20, 0x7fff
	v_add3_u32 v19, v19, v21, 0x7fff
	v_lshrrev_b32_e32 v51, 16, v10
	v_add_nc_u32_e32 v63, 2, v52
	v_cndmask_b32_e64 v0, v22, v23, s0
	v_cmp_u_f32_e64 s0, v20, v20
	v_add_nc_u32_e32 v62, 3, v52
	v_add_nc_u32_e32 v61, 4, v52
	;; [unrolled: 1-line block ×3, first 2 shown]
	v_lshrrev_b32_e32 v50, 16, v0
	v_cndmask_b32_e64 v20, v46, v48, s0
	v_cmp_u_f32_e64 s0, v21, v21
	v_add_nc_u32_e32 v59, 6, v52
	v_add_nc_u32_e32 v58, 7, v52
	v_lshrrev_b32_e32 v46, 16, v20
	v_cndmask_b32_e64 v19, v19, v49, s0
	v_lshrrev_b32_e32 v49, 16, v18
	v_lshrrev_b32_e32 v48, 16, v19
	s_and_saveexec_b32 s21, vcc_lo
	s_cbranch_execz .LBB372_581
; %bb.580:                              ;   in Loop: Header=BB372_518 Depth=1
	v_cmp_gt_i32_e64 s0, s31, v52
	v_cndmask_b32_e64 v50, 0, v50, s0
	v_cmp_gt_i32_e64 s0, s31, v64
	v_cndmask_b32_e64 v51, 0, v51, s0
	;; [unrolled: 2-line block ×8, first 2 shown]
.LBB372_581:                            ;   in Loop: Header=BB372_518 Depth=1
	s_or_b32 exec_lo, exec_lo, s21
	global_load_dwordx2 v[18:19], v[16:17], off offset:256
	v_mov_b32_e32 v22, 0
	v_mov_b32_e32 v0, 0
	s_waitcnt vmcnt(0)
	v_cmp_ne_u16_sdwa s0, v18, v11 src0_sel:BYTE_0 src1_sel:DWORD
	s_and_saveexec_b32 s21, s0
	s_cbranch_execz .LBB372_587
; %bb.582:                              ;   in Loop: Header=BB372_518 Depth=1
	v_cmp_ne_u16_sdwa s0, v18, v36 src0_sel:BYTE_0 src1_sel:DWORD
	v_bfrev_b32_e32 v0, 1
	s_and_saveexec_b32 s22, s0
	s_cbranch_execz .LBB372_586
; %bb.583:                              ;   in Loop: Header=BB372_518 Depth=1
	v_and_b32_e32 v10, 0x7f, v18
	v_mov_b32_e32 v0, 0x7f800001
	s_mov_b32 s24, exec_lo
	v_cmpx_ne_u32_e32 0x7f, v10
	s_cbranch_execz .LBB372_585
; %bb.584:                              ;   in Loop: Header=BB372_518 Depth=1
	v_and_b32_e32 v0, 7, v18
	v_cmp_gt_u32_e64 s0, 8, v10
	v_lshrrev_b32_e32 v20, 3, v10
	v_ffbh_u32_e32 v0, v0
	v_min_u32_e32 v0, 32, v0
	v_subrev_nc_u32_e32 v21, 28, v0
	v_sub_nc_u32_e32 v0, 29, v0
	v_cndmask_b32_e64 v10, 0, v21, s0
	v_cndmask_b32_e64 v0, v20, v0, s0
	v_lshlrev_b64 v[20:21], v10, v[18:19]
	v_lshlrev_b32_e32 v10, 24, v18
	v_lshl_add_u32 v0, v0, 23, 0x3c000000
	v_and_b32_e32 v10, 0x80000000, v10
	v_lshlrev_b32_e32 v20, 20, v20
	v_and_b32_e32 v20, 0x700000, v20
	v_or3_b32 v0, v20, v10, v0
.LBB372_585:                            ;   in Loop: Header=BB372_518 Depth=1
	s_or_b32 exec_lo, exec_lo, s24
.LBB372_586:                            ;   in Loop: Header=BB372_518 Depth=1
	s_or_b32 exec_lo, exec_lo, s22
.LBB372_587:                            ;   in Loop: Header=BB372_518 Depth=1
	s_or_b32 exec_lo, exec_lo, s21
	v_cmp_ne_u16_sdwa s0, v18, v11 src0_sel:BYTE_1 src1_sel:DWORD
	s_and_saveexec_b32 s21, s0
	s_cbranch_execz .LBB372_595
; %bb.588:                              ;   in Loop: Header=BB372_518 Depth=1
	v_cmp_ne_u16_sdwa s0, v18, v36 src0_sel:BYTE_1 src1_sel:DWORD
	v_bfrev_b32_e32 v22, 1
	s_and_saveexec_b32 s22, s0
	s_cbranch_execz .LBB372_594
; %bb.589:                              ;   in Loop: Header=BB372_518 Depth=1
	v_and_b32_sdwa v10, v37, v18 dst_sel:DWORD dst_unused:UNUSED_PAD src0_sel:DWORD src1_sel:BYTE_1
	v_mov_b32_e32 v22, 0x7f800001
	s_mov_b32 s24, exec_lo
	v_and_b32_e32 v21, 0x7f, v10
	v_cmpx_ne_u32_e32 0x7f, v21
	s_cbranch_execz .LBB372_593
; %bb.590:                              ;   in Loop: Header=BB372_518 Depth=1
	v_and_b32_e32 v10, 7, v10
	v_lshrrev_b32_e32 v20, 3, v21
	s_mov_b32 s25, exec_lo
	v_cmpx_gt_u32_e32 8, v21
; %bb.591:                              ;   in Loop: Header=BB372_518 Depth=1
	v_ffbh_u32_e32 v20, v10
	v_min_u32_e32 v20, 32, v20
	v_subrev_nc_u32_e32 v21, 28, v20
	v_sub_nc_u32_e32 v20, 29, v20
	v_lshlrev_b64 v[21:22], v21, v[10:11]
	v_and_b32_e32 v10, 7, v21
; %bb.592:                              ;   in Loop: Header=BB372_518 Depth=1
	s_or_b32 exec_lo, exec_lo, s25
	v_lshlrev_b32_e32 v21, 16, v18
	v_lshlrev_b32_e32 v10, 20, v10
	v_lshl_add_u32 v20, v20, 23, 0x3c000000
	v_and_b32_e32 v21, 0x80000000, v21
	v_or3_b32 v22, v10, v21, v20
.LBB372_593:                            ;   in Loop: Header=BB372_518 Depth=1
	s_or_b32 exec_lo, exec_lo, s24
.LBB372_594:                            ;   in Loop: Header=BB372_518 Depth=1
	s_or_b32 exec_lo, exec_lo, s22
.LBB372_595:                            ;   in Loop: Header=BB372_518 Depth=1
	s_or_b32 exec_lo, exec_lo, s21
	v_and_b32_sdwa v10, v18, v38 dst_sel:DWORD dst_unused:UNUSED_PAD src0_sel:WORD_1 src1_sel:DWORD
	v_mov_b32_e32 v53, 0
	v_mov_b32_e32 v23, 0
	s_mov_b32 s21, exec_lo
	v_cmpx_ne_u16_e32 0, v10
	s_cbranch_execz .LBB372_603
; %bb.596:                              ;   in Loop: Header=BB372_518 Depth=1
	v_bfrev_b32_e32 v23, 1
	s_mov_b32 s22, exec_lo
	v_cmpx_ne_u16_e32 0x80, v10
	s_cbranch_execz .LBB372_602
; %bb.597:                              ;   in Loop: Header=BB372_518 Depth=1
	v_bfe_u32 v21, v18, 16, 7
	v_mov_b32_e32 v23, 0x7f800001
	s_mov_b32 s24, exec_lo
	v_cmpx_ne_u32_e32 0x7f, v21
	s_cbranch_execz .LBB372_601
; %bb.598:                              ;   in Loop: Header=BB372_518 Depth=1
	v_and_b32_sdwa v10, v18, v39 dst_sel:DWORD dst_unused:UNUSED_PAD src0_sel:WORD_1 src1_sel:DWORD
	v_lshrrev_b32_e32 v20, 3, v21
	s_mov_b32 s25, exec_lo
	v_cmpx_gt_u32_e32 8, v21
; %bb.599:                              ;   in Loop: Header=BB372_518 Depth=1
	v_ffbh_u32_e32 v20, v10
	v_min_u32_e32 v20, 32, v20
	v_subrev_nc_u32_e32 v21, 28, v20
	v_sub_nc_u32_e32 v20, 29, v20
	v_lshlrev_b64 v[54:55], v21, v[10:11]
	v_and_b32_e32 v10, 7, v54
; %bb.600:                              ;   in Loop: Header=BB372_518 Depth=1
	s_or_b32 exec_lo, exec_lo, s25
	v_lshlrev_b32_sdwa v21, v40, v18 dst_sel:DWORD dst_unused:UNUSED_PAD src0_sel:DWORD src1_sel:WORD_1
	v_lshlrev_b32_e32 v10, 20, v10
	v_lshl_add_u32 v20, v20, 23, 0x3c000000
	v_and_b32_e32 v21, 0x80000000, v21
	v_or3_b32 v23, v10, v21, v20
.LBB372_601:                            ;   in Loop: Header=BB372_518 Depth=1
	s_or_b32 exec_lo, exec_lo, s24
.LBB372_602:                            ;   in Loop: Header=BB372_518 Depth=1
	s_or_b32 exec_lo, exec_lo, s22
.LBB372_603:                            ;   in Loop: Header=BB372_518 Depth=1
	s_or_b32 exec_lo, exec_lo, s21
	s_mov_b32 s21, exec_lo
	v_cmpx_lt_u32_e32 0xffffff, v18
	s_cbranch_execz .LBB372_611
; %bb.604:                              ;   in Loop: Header=BB372_518 Depth=1
	v_cmp_ne_u32_sdwa s0, v18, v36 src0_sel:BYTE_3 src1_sel:DWORD
	v_bfrev_b32_e32 v53, 1
	s_and_saveexec_b32 s22, s0
	s_cbranch_execz .LBB372_610
; %bb.605:                              ;   in Loop: Header=BB372_518 Depth=1
	v_bfe_u32 v21, v18, 24, 7
	v_mov_b32_e32 v53, 0x7f800001
	s_mov_b32 s24, exec_lo
	v_cmpx_ne_u32_e32 0x7f, v21
	s_cbranch_execz .LBB372_609
; %bb.606:                              ;   in Loop: Header=BB372_518 Depth=1
	v_and_b32_sdwa v10, v18, v39 dst_sel:DWORD dst_unused:UNUSED_PAD src0_sel:BYTE_3 src1_sel:DWORD
	v_lshrrev_b32_e32 v20, 3, v21
	s_mov_b32 s25, exec_lo
	v_cmpx_gt_u32_e32 8, v21
; %bb.607:                              ;   in Loop: Header=BB372_518 Depth=1
	v_ffbh_u32_e32 v20, v10
	v_min_u32_e32 v20, 32, v20
	v_subrev_nc_u32_e32 v21, 28, v20
	v_sub_nc_u32_e32 v20, 29, v20
	v_lshlrev_b64 v[53:54], v21, v[10:11]
	v_and_b32_e32 v10, 7, v53
; %bb.608:                              ;   in Loop: Header=BB372_518 Depth=1
	s_or_b32 exec_lo, exec_lo, s25
	v_lshlrev_b32_sdwa v21, v40, v18 dst_sel:DWORD dst_unused:UNUSED_PAD src0_sel:DWORD src1_sel:BYTE_3
	v_lshlrev_b32_e32 v10, 20, v10
	v_lshl_add_u32 v20, v20, 23, 0x3c000000
	v_and_b32_e32 v21, 0x80000000, v21
	v_or3_b32 v53, v10, v21, v20
.LBB372_609:                            ;   in Loop: Header=BB372_518 Depth=1
	s_or_b32 exec_lo, exec_lo, s24
.LBB372_610:                            ;   in Loop: Header=BB372_518 Depth=1
	s_or_b32 exec_lo, exec_lo, s22
.LBB372_611:                            ;   in Loop: Header=BB372_518 Depth=1
	s_or_b32 exec_lo, exec_lo, s21
	v_mov_b32_e32 v10, v19
	v_cmp_ne_u16_sdwa s0, v19, v11 src0_sel:BYTE_0 src1_sel:DWORD
	v_mov_b32_e32 v20, 0
	v_mov_b32_e32 v54, 0
	s_and_saveexec_b32 s21, s0
	s_cbranch_execz .LBB372_617
; %bb.612:                              ;   in Loop: Header=BB372_518 Depth=1
	v_cmp_ne_u16_sdwa s0, v19, v36 src0_sel:BYTE_0 src1_sel:DWORD
	v_bfrev_b32_e32 v54, 1
	s_and_saveexec_b32 s22, s0
	s_cbranch_execz .LBB372_616
; %bb.613:                              ;   in Loop: Header=BB372_518 Depth=1
	v_and_b32_e32 v21, 0x7f, v19
	v_mov_b32_e32 v54, 0x7f800001
	s_mov_b32 s24, exec_lo
	v_cmpx_ne_u32_e32 0x7f, v21
	s_cbranch_execz .LBB372_615
; %bb.614:                              ;   in Loop: Header=BB372_518 Depth=1
	v_and_b32_e32 v54, 7, v19
	v_lshrrev_b32_e32 v55, 3, v21
	v_cmp_gt_u32_e64 s0, 8, v21
	v_ffbh_u32_e32 v54, v54
	v_min_u32_e32 v54, 32, v54
	v_subrev_nc_u32_e32 v56, 28, v54
	v_sub_nc_u32_e32 v54, 29, v54
	v_cndmask_b32_e64 v21, v55, v54, s0
	v_cndmask_b32_e64 v54, 0, v56, s0
	v_lshl_add_u32 v21, v21, 23, 0x3c000000
	v_lshlrev_b64 v[54:55], v54, v[10:11]
	v_lshlrev_b32_e32 v55, 24, v10
	v_lshlrev_b32_e32 v54, 20, v54
	v_and_b32_e32 v55, 0x80000000, v55
	v_and_b32_e32 v54, 0x700000, v54
	v_or3_b32 v54, v54, v55, v21
.LBB372_615:                            ;   in Loop: Header=BB372_518 Depth=1
	s_or_b32 exec_lo, exec_lo, s24
.LBB372_616:                            ;   in Loop: Header=BB372_518 Depth=1
	s_or_b32 exec_lo, exec_lo, s22
.LBB372_617:                            ;   in Loop: Header=BB372_518 Depth=1
	s_or_b32 exec_lo, exec_lo, s21
	v_cmp_ne_u16_sdwa s0, v10, v11 src0_sel:BYTE_1 src1_sel:DWORD
	s_and_saveexec_b32 s21, s0
	s_cbranch_execz .LBB372_625
; %bb.618:                              ;   in Loop: Header=BB372_518 Depth=1
	v_cmp_ne_u16_sdwa s0, v10, v36 src0_sel:BYTE_1 src1_sel:DWORD
	v_bfrev_b32_e32 v20, 1
	s_and_saveexec_b32 s22, s0
	s_cbranch_execz .LBB372_624
; %bb.619:                              ;   in Loop: Header=BB372_518 Depth=1
	v_and_b32_sdwa v21, v37, v10 dst_sel:DWORD dst_unused:UNUSED_PAD src0_sel:DWORD src1_sel:BYTE_1
	v_mov_b32_e32 v20, 0x7f800001
	s_mov_b32 s24, exec_lo
	v_and_b32_e32 v56, 0x7f, v21
	v_cmpx_ne_u32_e32 0x7f, v56
	s_cbranch_execz .LBB372_623
; %bb.620:                              ;   in Loop: Header=BB372_518 Depth=1
	v_and_b32_e32 v20, 7, v21
	v_mov_b32_e32 v21, v11
	v_lshrrev_b32_e32 v55, 3, v56
	s_mov_b32 s25, exec_lo
	v_cmpx_gt_u32_e32 8, v56
; %bb.621:                              ;   in Loop: Header=BB372_518 Depth=1
	v_ffbh_u32_e32 v55, v20
	v_min_u32_e32 v55, 32, v55
	v_subrev_nc_u32_e32 v56, 28, v55
	v_sub_nc_u32_e32 v55, 29, v55
	v_lshlrev_b64 v[20:21], v56, v[20:21]
	v_and_b32_e32 v20, 7, v20
; %bb.622:                              ;   in Loop: Header=BB372_518 Depth=1
	s_or_b32 exec_lo, exec_lo, s25
	v_lshlrev_b32_e32 v10, 16, v10
	v_lshlrev_b32_e32 v20, 20, v20
	v_lshl_add_u32 v21, v55, 23, 0x3c000000
	v_and_b32_e32 v10, 0x80000000, v10
	v_or3_b32 v20, v20, v10, v21
.LBB372_623:                            ;   in Loop: Header=BB372_518 Depth=1
	s_or_b32 exec_lo, exec_lo, s24
.LBB372_624:                            ;   in Loop: Header=BB372_518 Depth=1
	s_or_b32 exec_lo, exec_lo, s22
.LBB372_625:                            ;   in Loop: Header=BB372_518 Depth=1
	s_or_b32 exec_lo, exec_lo, s21
	v_and_b32_sdwa v10, v19, v38 dst_sel:DWORD dst_unused:UNUSED_PAD src0_sel:WORD_1 src1_sel:DWORD
	v_mov_b32_e32 v21, 0
	v_mov_b32_e32 v55, 0
	s_mov_b32 s21, exec_lo
	v_cmpx_ne_u16_e32 0, v10
	s_cbranch_execz .LBB372_633
; %bb.626:                              ;   in Loop: Header=BB372_518 Depth=1
	v_bfrev_b32_e32 v55, 1
	s_mov_b32 s22, exec_lo
	v_cmpx_ne_u16_e32 0x80, v10
	s_cbranch_execz .LBB372_632
; %bb.627:                              ;   in Loop: Header=BB372_518 Depth=1
	v_bfe_u32 v56, v19, 16, 7
	v_mov_b32_e32 v55, 0x7f800001
	s_mov_b32 s24, exec_lo
	v_cmpx_ne_u32_e32 0x7f, v56
	s_cbranch_execz .LBB372_631
; %bb.628:                              ;   in Loop: Header=BB372_518 Depth=1
	v_and_b32_sdwa v10, v19, v39 dst_sel:DWORD dst_unused:UNUSED_PAD src0_sel:WORD_1 src1_sel:DWORD
	v_lshrrev_b32_e32 v55, 3, v56
	s_mov_b32 s25, exec_lo
	v_cmpx_gt_u32_e32 8, v56
; %bb.629:                              ;   in Loop: Header=BB372_518 Depth=1
	v_ffbh_u32_e32 v55, v10
	v_min_u32_e32 v55, 32, v55
	v_subrev_nc_u32_e32 v56, 28, v55
	v_sub_nc_u32_e32 v55, 29, v55
	v_lshlrev_b64 v[56:57], v56, v[10:11]
	v_and_b32_e32 v10, 7, v56
; %bb.630:                              ;   in Loop: Header=BB372_518 Depth=1
	s_or_b32 exec_lo, exec_lo, s25
	v_lshlrev_b32_sdwa v56, v40, v19 dst_sel:DWORD dst_unused:UNUSED_PAD src0_sel:DWORD src1_sel:WORD_1
	v_lshlrev_b32_e32 v10, 20, v10
	v_lshl_add_u32 v55, v55, 23, 0x3c000000
	v_and_b32_e32 v56, 0x80000000, v56
	v_or3_b32 v55, v10, v56, v55
.LBB372_631:                            ;   in Loop: Header=BB372_518 Depth=1
	s_or_b32 exec_lo, exec_lo, s24
.LBB372_632:                            ;   in Loop: Header=BB372_518 Depth=1
	s_or_b32 exec_lo, exec_lo, s22
.LBB372_633:                            ;   in Loop: Header=BB372_518 Depth=1
	s_or_b32 exec_lo, exec_lo, s21
	s_mov_b32 s21, exec_lo
	v_cmpx_lt_u64_e64 s[4:5], v[18:19]
	s_cbranch_execz .LBB372_641
; %bb.634:                              ;   in Loop: Header=BB372_518 Depth=1
	v_cmp_ne_u32_sdwa s0, v19, v36 src0_sel:BYTE_3 src1_sel:DWORD
	v_bfrev_b32_e32 v21, 1
	s_and_saveexec_b32 s22, s0
	s_cbranch_execz .LBB372_640
; %bb.635:                              ;   in Loop: Header=BB372_518 Depth=1
	v_bfe_u32 v56, v19, 24, 7
	v_mov_b32_e32 v21, 0x7f800001
	s_mov_b32 s24, exec_lo
	v_cmpx_ne_u32_e32 0x7f, v56
	s_cbranch_execz .LBB372_639
; %bb.636:                              ;   in Loop: Header=BB372_518 Depth=1
	v_and_b32_sdwa v10, v19, v39 dst_sel:DWORD dst_unused:UNUSED_PAD src0_sel:BYTE_3 src1_sel:DWORD
	v_lshrrev_b32_e32 v18, 3, v56
	s_mov_b32 s25, exec_lo
	v_cmpx_gt_u32_e32 8, v56
; %bb.637:                              ;   in Loop: Header=BB372_518 Depth=1
	v_ffbh_u32_e32 v18, v10
	v_min_u32_e32 v18, 32, v18
	v_subrev_nc_u32_e32 v21, 28, v18
	v_sub_nc_u32_e32 v18, 29, v18
	v_lshlrev_b64 v[56:57], v21, v[10:11]
	v_and_b32_e32 v10, 7, v56
; %bb.638:                              ;   in Loop: Header=BB372_518 Depth=1
	s_or_b32 exec_lo, exec_lo, s25
	v_lshlrev_b32_sdwa v19, v40, v19 dst_sel:DWORD dst_unused:UNUSED_PAD src0_sel:DWORD src1_sel:BYTE_3
	v_lshlrev_b32_e32 v10, 20, v10
	v_lshl_add_u32 v18, v18, 23, 0x3c000000
	v_and_b32_e32 v19, 0x80000000, v19
	v_or3_b32 v21, v10, v19, v18
.LBB372_639:                            ;   in Loop: Header=BB372_518 Depth=1
	s_or_b32 exec_lo, exec_lo, s24
.LBB372_640:                            ;   in Loop: Header=BB372_518 Depth=1
	s_or_b32 exec_lo, exec_lo, s22
.LBB372_641:                            ;   in Loop: Header=BB372_518 Depth=1
	s_or_b32 exec_lo, exec_lo, s21
	v_mul_f32_e32 v10, s18, v20
	v_mul_f32_e32 v18, s18, v54
	;; [unrolled: 1-line block ×5, first 2 shown]
	v_bfe_u32 v23, v10, 16, 1
	v_or_b32_e32 v53, 0x400000, v10
	v_bfe_u32 v54, v18, 16, 1
	v_cmp_u_f32_e64 s0, v10, v10
	v_or_b32_e32 v56, 0x400000, v18
	v_add3_u32 v23, v23, v10, 0x7fff
	v_bfe_u32 v57, v19, 16, 1
	v_add3_u32 v54, v54, v18, 0x7fff
	v_or_b32_e32 v65, 0x400000, v19
	v_bfe_u32 v66, v20, 16, 1
	v_cndmask_b32_e64 v10, v23, v53, s0
	v_cmp_u_f32_e64 s0, v18, v18
	v_add3_u32 v57, v57, v19, 0x7fff
	v_or_b32_e32 v23, 0x400000, v20
	v_mul_f32_e32 v21, s18, v21
	v_lshrrev_b32_e32 v53, 16, v10
	v_cndmask_b32_e64 v18, v54, v56, s0
	v_cmp_u_f32_e64 s0, v19, v19
	v_mul_f32_e32 v10, s18, v22
	v_add3_u32 v22, v66, v20, 0x7fff
	v_lshrrev_b32_e32 v54, 16, v18
	v_cndmask_b32_e64 v19, v57, v65, s0
	v_bfe_u32 v18, v10, 16, 1
	v_cmp_u_f32_e64 s0, v20, v20
	v_mul_f32_e32 v20, s18, v55
	v_or_b32_e32 v65, 0x400000, v21
	v_lshrrev_b32_e32 v56, 16, v19
	v_add3_u32 v18, v18, v10, 0x7fff
	v_cndmask_b32_e64 v19, v22, v23, s0
	v_or_b32_e32 v22, 0x400000, v10
	v_bfe_u32 v23, v0, 16, 1
	v_cmp_u_f32_e64 s0, v10, v10
	v_bfe_u32 v55, v20, 16, 1
	v_or_b32_e32 v57, 0x400000, v20
	v_cndmask_b32_e64 v10, v18, v22, s0
	v_add3_u32 v22, v23, v0, 0x7fff
	v_or_b32_e32 v23, 0x400000, v0
	v_cmp_u_f32_e64 s0, v0, v0
	v_bfe_u32 v18, v21, 16, 1
	v_add3_u32 v55, v55, v20, 0x7fff
	v_lshrrev_b32_e32 v67, 16, v10
	v_cndmask_b32_e64 v0, v22, v23, s0
	v_cmp_u_f32_e64 s0, v20, v20
	v_add3_u32 v18, v18, v21, 0x7fff
	v_lshrrev_b32_e32 v66, 16, v0
	v_cndmask_b32_e64 v20, v55, v57, s0
	v_cmp_u_f32_e64 s0, v21, v21
	v_lshrrev_b32_e32 v55, 16, v20
	v_cndmask_b32_e64 v18, v18, v65, s0
	v_lshrrev_b32_e32 v65, 16, v19
	v_lshrrev_b32_e32 v57, 16, v18
	s_and_saveexec_b32 s21, vcc_lo
	s_cbranch_execz .LBB372_643
; %bb.642:                              ;   in Loop: Header=BB372_518 Depth=1
	v_cmp_gt_i32_e64 s0, s31, v52
	v_cndmask_b32_e64 v66, 0, v66, s0
	v_cmp_gt_i32_e64 s0, s31, v64
	v_cndmask_b32_e64 v67, 0, v67, s0
	;; [unrolled: 2-line block ×8, first 2 shown]
.LBB372_643:                            ;   in Loop: Header=BB372_518 Depth=1
	s_or_b32 exec_lo, exec_lo, s21
	global_load_dwordx2 v[18:19], v[16:17], off offset:512
	v_mov_b32_e32 v22, 0
	v_mov_b32_e32 v0, 0
	s_waitcnt vmcnt(0)
	v_cmp_ne_u16_sdwa s0, v18, v11 src0_sel:BYTE_0 src1_sel:DWORD
	s_and_saveexec_b32 s21, s0
	s_cbranch_execz .LBB372_649
; %bb.644:                              ;   in Loop: Header=BB372_518 Depth=1
	v_cmp_ne_u16_sdwa s0, v18, v36 src0_sel:BYTE_0 src1_sel:DWORD
	v_bfrev_b32_e32 v0, 1
	s_and_saveexec_b32 s22, s0
	s_cbranch_execz .LBB372_648
; %bb.645:                              ;   in Loop: Header=BB372_518 Depth=1
	v_and_b32_e32 v10, 0x7f, v18
	v_mov_b32_e32 v0, 0x7f800001
	s_mov_b32 s24, exec_lo
	v_cmpx_ne_u32_e32 0x7f, v10
	s_cbranch_execz .LBB372_647
; %bb.646:                              ;   in Loop: Header=BB372_518 Depth=1
	v_and_b32_e32 v0, 7, v18
	v_cmp_gt_u32_e64 s0, 8, v10
	v_lshrrev_b32_e32 v20, 3, v10
	v_ffbh_u32_e32 v0, v0
	v_min_u32_e32 v0, 32, v0
	v_subrev_nc_u32_e32 v21, 28, v0
	v_sub_nc_u32_e32 v0, 29, v0
	v_cndmask_b32_e64 v10, 0, v21, s0
	v_cndmask_b32_e64 v0, v20, v0, s0
	v_lshlrev_b64 v[20:21], v10, v[18:19]
	v_lshlrev_b32_e32 v10, 24, v18
	v_lshl_add_u32 v0, v0, 23, 0x3c000000
	v_and_b32_e32 v10, 0x80000000, v10
	v_lshlrev_b32_e32 v20, 20, v20
	v_and_b32_e32 v20, 0x700000, v20
	v_or3_b32 v0, v20, v10, v0
.LBB372_647:                            ;   in Loop: Header=BB372_518 Depth=1
	s_or_b32 exec_lo, exec_lo, s24
.LBB372_648:                            ;   in Loop: Header=BB372_518 Depth=1
	s_or_b32 exec_lo, exec_lo, s22
.LBB372_649:                            ;   in Loop: Header=BB372_518 Depth=1
	s_or_b32 exec_lo, exec_lo, s21
	v_cmp_ne_u16_sdwa s0, v18, v11 src0_sel:BYTE_1 src1_sel:DWORD
	s_and_saveexec_b32 s21, s0
	s_cbranch_execz .LBB372_657
; %bb.650:                              ;   in Loop: Header=BB372_518 Depth=1
	v_cmp_ne_u16_sdwa s0, v18, v36 src0_sel:BYTE_1 src1_sel:DWORD
	v_bfrev_b32_e32 v22, 1
	s_and_saveexec_b32 s22, s0
	s_cbranch_execz .LBB372_656
; %bb.651:                              ;   in Loop: Header=BB372_518 Depth=1
	v_and_b32_sdwa v10, v37, v18 dst_sel:DWORD dst_unused:UNUSED_PAD src0_sel:DWORD src1_sel:BYTE_1
	v_mov_b32_e32 v22, 0x7f800001
	s_mov_b32 s24, exec_lo
	v_and_b32_e32 v21, 0x7f, v10
	v_cmpx_ne_u32_e32 0x7f, v21
	s_cbranch_execz .LBB372_655
; %bb.652:                              ;   in Loop: Header=BB372_518 Depth=1
	v_and_b32_e32 v10, 7, v10
	v_lshrrev_b32_e32 v20, 3, v21
	s_mov_b32 s25, exec_lo
	v_cmpx_gt_u32_e32 8, v21
; %bb.653:                              ;   in Loop: Header=BB372_518 Depth=1
	v_ffbh_u32_e32 v20, v10
	v_min_u32_e32 v20, 32, v20
	v_subrev_nc_u32_e32 v21, 28, v20
	v_sub_nc_u32_e32 v20, 29, v20
	v_lshlrev_b64 v[21:22], v21, v[10:11]
	v_and_b32_e32 v10, 7, v21
; %bb.654:                              ;   in Loop: Header=BB372_518 Depth=1
	s_or_b32 exec_lo, exec_lo, s25
	v_lshlrev_b32_e32 v21, 16, v18
	v_lshlrev_b32_e32 v10, 20, v10
	v_lshl_add_u32 v20, v20, 23, 0x3c000000
	v_and_b32_e32 v21, 0x80000000, v21
	v_or3_b32 v22, v10, v21, v20
.LBB372_655:                            ;   in Loop: Header=BB372_518 Depth=1
	s_or_b32 exec_lo, exec_lo, s24
.LBB372_656:                            ;   in Loop: Header=BB372_518 Depth=1
	s_or_b32 exec_lo, exec_lo, s22
.LBB372_657:                            ;   in Loop: Header=BB372_518 Depth=1
	s_or_b32 exec_lo, exec_lo, s21
	v_and_b32_sdwa v10, v18, v38 dst_sel:DWORD dst_unused:UNUSED_PAD src0_sel:WORD_1 src1_sel:DWORD
	v_mov_b32_e32 v68, 0
	v_mov_b32_e32 v23, 0
	s_mov_b32 s21, exec_lo
	v_cmpx_ne_u16_e32 0, v10
	s_cbranch_execz .LBB372_665
; %bb.658:                              ;   in Loop: Header=BB372_518 Depth=1
	v_bfrev_b32_e32 v23, 1
	s_mov_b32 s22, exec_lo
	v_cmpx_ne_u16_e32 0x80, v10
	s_cbranch_execz .LBB372_664
; %bb.659:                              ;   in Loop: Header=BB372_518 Depth=1
	v_bfe_u32 v21, v18, 16, 7
	v_mov_b32_e32 v23, 0x7f800001
	s_mov_b32 s24, exec_lo
	v_cmpx_ne_u32_e32 0x7f, v21
	s_cbranch_execz .LBB372_663
; %bb.660:                              ;   in Loop: Header=BB372_518 Depth=1
	v_and_b32_sdwa v10, v18, v39 dst_sel:DWORD dst_unused:UNUSED_PAD src0_sel:WORD_1 src1_sel:DWORD
	v_lshrrev_b32_e32 v20, 3, v21
	s_mov_b32 s25, exec_lo
	v_cmpx_gt_u32_e32 8, v21
; %bb.661:                              ;   in Loop: Header=BB372_518 Depth=1
	v_ffbh_u32_e32 v20, v10
	v_min_u32_e32 v20, 32, v20
	v_subrev_nc_u32_e32 v21, 28, v20
	v_sub_nc_u32_e32 v20, 29, v20
	v_lshlrev_b64 v[69:70], v21, v[10:11]
	v_and_b32_e32 v10, 7, v69
; %bb.662:                              ;   in Loop: Header=BB372_518 Depth=1
	s_or_b32 exec_lo, exec_lo, s25
	v_lshlrev_b32_sdwa v21, v40, v18 dst_sel:DWORD dst_unused:UNUSED_PAD src0_sel:DWORD src1_sel:WORD_1
	v_lshlrev_b32_e32 v10, 20, v10
	v_lshl_add_u32 v20, v20, 23, 0x3c000000
	v_and_b32_e32 v21, 0x80000000, v21
	v_or3_b32 v23, v10, v21, v20
.LBB372_663:                            ;   in Loop: Header=BB372_518 Depth=1
	s_or_b32 exec_lo, exec_lo, s24
.LBB372_664:                            ;   in Loop: Header=BB372_518 Depth=1
	s_or_b32 exec_lo, exec_lo, s22
.LBB372_665:                            ;   in Loop: Header=BB372_518 Depth=1
	s_or_b32 exec_lo, exec_lo, s21
	s_mov_b32 s21, exec_lo
	v_cmpx_lt_u32_e32 0xffffff, v18
	s_cbranch_execz .LBB372_673
; %bb.666:                              ;   in Loop: Header=BB372_518 Depth=1
	v_cmp_ne_u32_sdwa s0, v18, v36 src0_sel:BYTE_3 src1_sel:DWORD
	v_bfrev_b32_e32 v68, 1
	s_and_saveexec_b32 s22, s0
	s_cbranch_execz .LBB372_672
; %bb.667:                              ;   in Loop: Header=BB372_518 Depth=1
	v_bfe_u32 v21, v18, 24, 7
	v_mov_b32_e32 v68, 0x7f800001
	s_mov_b32 s24, exec_lo
	v_cmpx_ne_u32_e32 0x7f, v21
	s_cbranch_execz .LBB372_671
; %bb.668:                              ;   in Loop: Header=BB372_518 Depth=1
	v_and_b32_sdwa v10, v18, v39 dst_sel:DWORD dst_unused:UNUSED_PAD src0_sel:BYTE_3 src1_sel:DWORD
	v_lshrrev_b32_e32 v20, 3, v21
	s_mov_b32 s25, exec_lo
	v_cmpx_gt_u32_e32 8, v21
; %bb.669:                              ;   in Loop: Header=BB372_518 Depth=1
	v_ffbh_u32_e32 v20, v10
	v_min_u32_e32 v20, 32, v20
	v_subrev_nc_u32_e32 v21, 28, v20
	v_sub_nc_u32_e32 v20, 29, v20
	v_lshlrev_b64 v[68:69], v21, v[10:11]
	v_and_b32_e32 v10, 7, v68
; %bb.670:                              ;   in Loop: Header=BB372_518 Depth=1
	s_or_b32 exec_lo, exec_lo, s25
	v_lshlrev_b32_sdwa v21, v40, v18 dst_sel:DWORD dst_unused:UNUSED_PAD src0_sel:DWORD src1_sel:BYTE_3
	v_lshlrev_b32_e32 v10, 20, v10
	v_lshl_add_u32 v20, v20, 23, 0x3c000000
	v_and_b32_e32 v21, 0x80000000, v21
	v_or3_b32 v68, v10, v21, v20
.LBB372_671:                            ;   in Loop: Header=BB372_518 Depth=1
	s_or_b32 exec_lo, exec_lo, s24
.LBB372_672:                            ;   in Loop: Header=BB372_518 Depth=1
	s_or_b32 exec_lo, exec_lo, s22
.LBB372_673:                            ;   in Loop: Header=BB372_518 Depth=1
	s_or_b32 exec_lo, exec_lo, s21
	v_mov_b32_e32 v10, v19
	v_cmp_ne_u16_sdwa s0, v19, v11 src0_sel:BYTE_0 src1_sel:DWORD
	v_mov_b32_e32 v20, 0
	v_mov_b32_e32 v69, 0
	s_and_saveexec_b32 s21, s0
	s_cbranch_execz .LBB372_679
; %bb.674:                              ;   in Loop: Header=BB372_518 Depth=1
	v_cmp_ne_u16_sdwa s0, v19, v36 src0_sel:BYTE_0 src1_sel:DWORD
	v_bfrev_b32_e32 v69, 1
	s_and_saveexec_b32 s22, s0
	s_cbranch_execz .LBB372_678
; %bb.675:                              ;   in Loop: Header=BB372_518 Depth=1
	v_and_b32_e32 v21, 0x7f, v19
	v_mov_b32_e32 v69, 0x7f800001
	s_mov_b32 s24, exec_lo
	v_cmpx_ne_u32_e32 0x7f, v21
	s_cbranch_execz .LBB372_677
; %bb.676:                              ;   in Loop: Header=BB372_518 Depth=1
	v_and_b32_e32 v69, 7, v19
	v_lshrrev_b32_e32 v70, 3, v21
	v_cmp_gt_u32_e64 s0, 8, v21
	v_ffbh_u32_e32 v69, v69
	v_min_u32_e32 v69, 32, v69
	v_subrev_nc_u32_e32 v71, 28, v69
	v_sub_nc_u32_e32 v69, 29, v69
	v_cndmask_b32_e64 v21, v70, v69, s0
	v_cndmask_b32_e64 v69, 0, v71, s0
	v_lshl_add_u32 v21, v21, 23, 0x3c000000
	v_lshlrev_b64 v[69:70], v69, v[10:11]
	v_lshlrev_b32_e32 v70, 24, v10
	v_lshlrev_b32_e32 v69, 20, v69
	v_and_b32_e32 v70, 0x80000000, v70
	v_and_b32_e32 v69, 0x700000, v69
	v_or3_b32 v69, v69, v70, v21
.LBB372_677:                            ;   in Loop: Header=BB372_518 Depth=1
	s_or_b32 exec_lo, exec_lo, s24
.LBB372_678:                            ;   in Loop: Header=BB372_518 Depth=1
	s_or_b32 exec_lo, exec_lo, s22
.LBB372_679:                            ;   in Loop: Header=BB372_518 Depth=1
	s_or_b32 exec_lo, exec_lo, s21
	v_cmp_ne_u16_sdwa s0, v10, v11 src0_sel:BYTE_1 src1_sel:DWORD
	s_and_saveexec_b32 s21, s0
	s_cbranch_execz .LBB372_687
; %bb.680:                              ;   in Loop: Header=BB372_518 Depth=1
	v_cmp_ne_u16_sdwa s0, v10, v36 src0_sel:BYTE_1 src1_sel:DWORD
	v_bfrev_b32_e32 v20, 1
	s_and_saveexec_b32 s22, s0
	s_cbranch_execz .LBB372_686
; %bb.681:                              ;   in Loop: Header=BB372_518 Depth=1
	v_and_b32_sdwa v21, v37, v10 dst_sel:DWORD dst_unused:UNUSED_PAD src0_sel:DWORD src1_sel:BYTE_1
	v_mov_b32_e32 v20, 0x7f800001
	s_mov_b32 s24, exec_lo
	v_and_b32_e32 v71, 0x7f, v21
	v_cmpx_ne_u32_e32 0x7f, v71
	s_cbranch_execz .LBB372_685
; %bb.682:                              ;   in Loop: Header=BB372_518 Depth=1
	v_and_b32_e32 v20, 7, v21
	v_mov_b32_e32 v21, v11
	v_lshrrev_b32_e32 v70, 3, v71
	s_mov_b32 s25, exec_lo
	v_cmpx_gt_u32_e32 8, v71
; %bb.683:                              ;   in Loop: Header=BB372_518 Depth=1
	v_ffbh_u32_e32 v70, v20
	v_min_u32_e32 v70, 32, v70
	v_subrev_nc_u32_e32 v71, 28, v70
	v_sub_nc_u32_e32 v70, 29, v70
	v_lshlrev_b64 v[20:21], v71, v[20:21]
	v_and_b32_e32 v20, 7, v20
; %bb.684:                              ;   in Loop: Header=BB372_518 Depth=1
	s_or_b32 exec_lo, exec_lo, s25
	v_lshlrev_b32_e32 v10, 16, v10
	v_lshlrev_b32_e32 v20, 20, v20
	v_lshl_add_u32 v21, v70, 23, 0x3c000000
	v_and_b32_e32 v10, 0x80000000, v10
	v_or3_b32 v20, v20, v10, v21
.LBB372_685:                            ;   in Loop: Header=BB372_518 Depth=1
	s_or_b32 exec_lo, exec_lo, s24
.LBB372_686:                            ;   in Loop: Header=BB372_518 Depth=1
	s_or_b32 exec_lo, exec_lo, s22
.LBB372_687:                            ;   in Loop: Header=BB372_518 Depth=1
	s_or_b32 exec_lo, exec_lo, s21
	v_and_b32_sdwa v10, v19, v38 dst_sel:DWORD dst_unused:UNUSED_PAD src0_sel:WORD_1 src1_sel:DWORD
	v_mov_b32_e32 v21, 0
	v_mov_b32_e32 v70, 0
	s_mov_b32 s21, exec_lo
	v_cmpx_ne_u16_e32 0, v10
	s_cbranch_execz .LBB372_695
; %bb.688:                              ;   in Loop: Header=BB372_518 Depth=1
	v_bfrev_b32_e32 v70, 1
	s_mov_b32 s22, exec_lo
	v_cmpx_ne_u16_e32 0x80, v10
	s_cbranch_execz .LBB372_694
; %bb.689:                              ;   in Loop: Header=BB372_518 Depth=1
	v_bfe_u32 v71, v19, 16, 7
	v_mov_b32_e32 v70, 0x7f800001
	s_mov_b32 s24, exec_lo
	v_cmpx_ne_u32_e32 0x7f, v71
	s_cbranch_execz .LBB372_693
; %bb.690:                              ;   in Loop: Header=BB372_518 Depth=1
	v_and_b32_sdwa v10, v19, v39 dst_sel:DWORD dst_unused:UNUSED_PAD src0_sel:WORD_1 src1_sel:DWORD
	v_lshrrev_b32_e32 v70, 3, v71
	s_mov_b32 s25, exec_lo
	v_cmpx_gt_u32_e32 8, v71
; %bb.691:                              ;   in Loop: Header=BB372_518 Depth=1
	v_ffbh_u32_e32 v70, v10
	v_min_u32_e32 v70, 32, v70
	v_subrev_nc_u32_e32 v71, 28, v70
	v_sub_nc_u32_e32 v70, 29, v70
	v_lshlrev_b64 v[71:72], v71, v[10:11]
	v_and_b32_e32 v10, 7, v71
; %bb.692:                              ;   in Loop: Header=BB372_518 Depth=1
	s_or_b32 exec_lo, exec_lo, s25
	v_lshlrev_b32_sdwa v71, v40, v19 dst_sel:DWORD dst_unused:UNUSED_PAD src0_sel:DWORD src1_sel:WORD_1
	v_lshlrev_b32_e32 v10, 20, v10
	v_lshl_add_u32 v70, v70, 23, 0x3c000000
	v_and_b32_e32 v71, 0x80000000, v71
	v_or3_b32 v70, v10, v71, v70
.LBB372_693:                            ;   in Loop: Header=BB372_518 Depth=1
	s_or_b32 exec_lo, exec_lo, s24
.LBB372_694:                            ;   in Loop: Header=BB372_518 Depth=1
	s_or_b32 exec_lo, exec_lo, s22
.LBB372_695:                            ;   in Loop: Header=BB372_518 Depth=1
	s_or_b32 exec_lo, exec_lo, s21
	s_mov_b32 s21, exec_lo
	v_cmpx_lt_u64_e64 s[4:5], v[18:19]
	s_cbranch_execz .LBB372_703
; %bb.696:                              ;   in Loop: Header=BB372_518 Depth=1
	v_cmp_ne_u32_sdwa s0, v19, v36 src0_sel:BYTE_3 src1_sel:DWORD
	v_bfrev_b32_e32 v21, 1
	s_and_saveexec_b32 s22, s0
	s_cbranch_execz .LBB372_702
; %bb.697:                              ;   in Loop: Header=BB372_518 Depth=1
	v_bfe_u32 v71, v19, 24, 7
	v_mov_b32_e32 v21, 0x7f800001
	s_mov_b32 s24, exec_lo
	v_cmpx_ne_u32_e32 0x7f, v71
	s_cbranch_execz .LBB372_701
; %bb.698:                              ;   in Loop: Header=BB372_518 Depth=1
	v_and_b32_sdwa v10, v19, v39 dst_sel:DWORD dst_unused:UNUSED_PAD src0_sel:BYTE_3 src1_sel:DWORD
	v_lshrrev_b32_e32 v18, 3, v71
	s_mov_b32 s25, exec_lo
	v_cmpx_gt_u32_e32 8, v71
; %bb.699:                              ;   in Loop: Header=BB372_518 Depth=1
	v_ffbh_u32_e32 v18, v10
	v_min_u32_e32 v18, 32, v18
	v_subrev_nc_u32_e32 v21, 28, v18
	v_sub_nc_u32_e32 v18, 29, v18
	v_lshlrev_b64 v[71:72], v21, v[10:11]
	v_and_b32_e32 v10, 7, v71
; %bb.700:                              ;   in Loop: Header=BB372_518 Depth=1
	s_or_b32 exec_lo, exec_lo, s25
	v_lshlrev_b32_sdwa v19, v40, v19 dst_sel:DWORD dst_unused:UNUSED_PAD src0_sel:DWORD src1_sel:BYTE_3
	v_lshlrev_b32_e32 v10, 20, v10
	v_lshl_add_u32 v18, v18, 23, 0x3c000000
	v_and_b32_e32 v19, 0x80000000, v19
	v_or3_b32 v21, v10, v19, v18
.LBB372_701:                            ;   in Loop: Header=BB372_518 Depth=1
	s_or_b32 exec_lo, exec_lo, s24
.LBB372_702:                            ;   in Loop: Header=BB372_518 Depth=1
	s_or_b32 exec_lo, exec_lo, s22
.LBB372_703:                            ;   in Loop: Header=BB372_518 Depth=1
	s_or_b32 exec_lo, exec_lo, s21
	v_mul_f32_e32 v10, s18, v20
	v_mul_f32_e32 v18, s18, v69
	;; [unrolled: 1-line block ×5, first 2 shown]
	v_bfe_u32 v23, v10, 16, 1
	v_or_b32_e32 v68, 0x400000, v10
	v_bfe_u32 v69, v18, 16, 1
	v_cmp_u_f32_e64 s0, v10, v10
	v_or_b32_e32 v71, 0x400000, v18
	v_add3_u32 v23, v23, v10, 0x7fff
	v_bfe_u32 v72, v19, 16, 1
	v_add3_u32 v69, v69, v18, 0x7fff
	v_or_b32_e32 v73, 0x400000, v19
	v_bfe_u32 v74, v20, 16, 1
	v_cndmask_b32_e64 v10, v23, v68, s0
	v_cmp_u_f32_e64 s0, v18, v18
	v_add3_u32 v72, v72, v19, 0x7fff
	v_or_b32_e32 v23, 0x400000, v20
	v_mul_f32_e32 v21, s18, v21
	v_lshrrev_b32_e32 v68, 16, v10
	v_cndmask_b32_e64 v18, v69, v71, s0
	v_cmp_u_f32_e64 s0, v19, v19
	v_mul_f32_e32 v10, s18, v22
	v_add3_u32 v22, v74, v20, 0x7fff
	v_lshrrev_b32_e32 v69, 16, v18
	v_cndmask_b32_e64 v19, v72, v73, s0
	v_bfe_u32 v18, v10, 16, 1
	v_cmp_u_f32_e64 s0, v20, v20
	v_mul_f32_e32 v20, s18, v70
	v_or_b32_e32 v73, 0x400000, v21
	v_lshrrev_b32_e32 v71, 16, v19
	v_add3_u32 v18, v18, v10, 0x7fff
	v_cndmask_b32_e64 v19, v22, v23, s0
	v_or_b32_e32 v22, 0x400000, v10
	v_bfe_u32 v23, v0, 16, 1
	v_cmp_u_f32_e64 s0, v10, v10
	v_bfe_u32 v70, v20, 16, 1
	v_or_b32_e32 v72, 0x400000, v20
	v_cndmask_b32_e64 v10, v18, v22, s0
	v_add3_u32 v22, v23, v0, 0x7fff
	v_or_b32_e32 v23, 0x400000, v0
	v_cmp_u_f32_e64 s0, v0, v0
	v_bfe_u32 v18, v21, 16, 1
	v_add3_u32 v70, v70, v20, 0x7fff
	v_lshrrev_b32_e32 v75, 16, v10
	v_cndmask_b32_e64 v0, v22, v23, s0
	v_cmp_u_f32_e64 s0, v20, v20
	v_add3_u32 v18, v18, v21, 0x7fff
	v_lshrrev_b32_e32 v74, 16, v0
	v_cndmask_b32_e64 v20, v70, v72, s0
	v_cmp_u_f32_e64 s0, v21, v21
	v_lshrrev_b32_e32 v70, 16, v20
	v_cndmask_b32_e64 v18, v18, v73, s0
	v_lshrrev_b32_e32 v73, 16, v19
	v_lshrrev_b32_e32 v72, 16, v18
	s_and_saveexec_b32 s21, vcc_lo
	s_cbranch_execz .LBB372_705
; %bb.704:                              ;   in Loop: Header=BB372_518 Depth=1
	v_cmp_gt_i32_e64 s0, s31, v52
	v_cndmask_b32_e64 v74, 0, v74, s0
	v_cmp_gt_i32_e64 s0, s31, v64
	v_cndmask_b32_e64 v75, 0, v75, s0
	;; [unrolled: 2-line block ×8, first 2 shown]
.LBB372_705:                            ;   in Loop: Header=BB372_518 Depth=1
	s_or_b32 exec_lo, exec_lo, s21
	global_load_dwordx2 v[18:19], v[16:17], off offset:768
	v_mov_b32_e32 v22, 0
	v_mov_b32_e32 v0, 0
	s_waitcnt vmcnt(0)
	v_cmp_ne_u16_sdwa s0, v18, v11 src0_sel:BYTE_0 src1_sel:DWORD
	s_and_saveexec_b32 s21, s0
	s_cbranch_execz .LBB372_711
; %bb.706:                              ;   in Loop: Header=BB372_518 Depth=1
	v_cmp_ne_u16_sdwa s0, v18, v36 src0_sel:BYTE_0 src1_sel:DWORD
	v_bfrev_b32_e32 v0, 1
	s_and_saveexec_b32 s22, s0
	s_cbranch_execz .LBB372_710
; %bb.707:                              ;   in Loop: Header=BB372_518 Depth=1
	v_and_b32_e32 v10, 0x7f, v18
	v_mov_b32_e32 v0, 0x7f800001
	s_mov_b32 s24, exec_lo
	v_cmpx_ne_u32_e32 0x7f, v10
	s_cbranch_execz .LBB372_709
; %bb.708:                              ;   in Loop: Header=BB372_518 Depth=1
	v_and_b32_e32 v0, 7, v18
	v_cmp_gt_u32_e64 s0, 8, v10
	v_lshrrev_b32_e32 v20, 3, v10
	v_ffbh_u32_e32 v0, v0
	v_min_u32_e32 v0, 32, v0
	v_subrev_nc_u32_e32 v21, 28, v0
	v_sub_nc_u32_e32 v0, 29, v0
	v_cndmask_b32_e64 v10, 0, v21, s0
	v_cndmask_b32_e64 v0, v20, v0, s0
	v_lshlrev_b64 v[20:21], v10, v[18:19]
	v_lshlrev_b32_e32 v10, 24, v18
	v_lshl_add_u32 v0, v0, 23, 0x3c000000
	v_and_b32_e32 v10, 0x80000000, v10
	v_lshlrev_b32_e32 v20, 20, v20
	v_and_b32_e32 v20, 0x700000, v20
	v_or3_b32 v0, v20, v10, v0
.LBB372_709:                            ;   in Loop: Header=BB372_518 Depth=1
	s_or_b32 exec_lo, exec_lo, s24
.LBB372_710:                            ;   in Loop: Header=BB372_518 Depth=1
	s_or_b32 exec_lo, exec_lo, s22
.LBB372_711:                            ;   in Loop: Header=BB372_518 Depth=1
	s_or_b32 exec_lo, exec_lo, s21
	v_cmp_ne_u16_sdwa s0, v18, v11 src0_sel:BYTE_1 src1_sel:DWORD
	s_and_saveexec_b32 s21, s0
	s_cbranch_execz .LBB372_719
; %bb.712:                              ;   in Loop: Header=BB372_518 Depth=1
	v_cmp_ne_u16_sdwa s0, v18, v36 src0_sel:BYTE_1 src1_sel:DWORD
	v_bfrev_b32_e32 v22, 1
	s_and_saveexec_b32 s22, s0
	s_cbranch_execz .LBB372_718
; %bb.713:                              ;   in Loop: Header=BB372_518 Depth=1
	v_and_b32_sdwa v10, v37, v18 dst_sel:DWORD dst_unused:UNUSED_PAD src0_sel:DWORD src1_sel:BYTE_1
	v_mov_b32_e32 v22, 0x7f800001
	s_mov_b32 s24, exec_lo
	v_and_b32_e32 v21, 0x7f, v10
	v_cmpx_ne_u32_e32 0x7f, v21
	s_cbranch_execz .LBB372_717
; %bb.714:                              ;   in Loop: Header=BB372_518 Depth=1
	v_and_b32_e32 v10, 7, v10
	v_lshrrev_b32_e32 v20, 3, v21
	s_mov_b32 s25, exec_lo
	v_cmpx_gt_u32_e32 8, v21
; %bb.715:                              ;   in Loop: Header=BB372_518 Depth=1
	v_ffbh_u32_e32 v20, v10
	v_min_u32_e32 v20, 32, v20
	v_subrev_nc_u32_e32 v21, 28, v20
	v_sub_nc_u32_e32 v20, 29, v20
	v_lshlrev_b64 v[21:22], v21, v[10:11]
	v_and_b32_e32 v10, 7, v21
; %bb.716:                              ;   in Loop: Header=BB372_518 Depth=1
	s_or_b32 exec_lo, exec_lo, s25
	v_lshlrev_b32_e32 v21, 16, v18
	v_lshlrev_b32_e32 v10, 20, v10
	v_lshl_add_u32 v20, v20, 23, 0x3c000000
	v_and_b32_e32 v21, 0x80000000, v21
	v_or3_b32 v22, v10, v21, v20
.LBB372_717:                            ;   in Loop: Header=BB372_518 Depth=1
	s_or_b32 exec_lo, exec_lo, s24
.LBB372_718:                            ;   in Loop: Header=BB372_518 Depth=1
	s_or_b32 exec_lo, exec_lo, s22
.LBB372_719:                            ;   in Loop: Header=BB372_518 Depth=1
	s_or_b32 exec_lo, exec_lo, s21
	v_and_b32_sdwa v10, v18, v38 dst_sel:DWORD dst_unused:UNUSED_PAD src0_sel:WORD_1 src1_sel:DWORD
	v_mov_b32_e32 v76, 0
	v_mov_b32_e32 v23, 0
	s_mov_b32 s21, exec_lo
	v_cmpx_ne_u16_e32 0, v10
	s_cbranch_execz .LBB372_727
; %bb.720:                              ;   in Loop: Header=BB372_518 Depth=1
	v_bfrev_b32_e32 v23, 1
	s_mov_b32 s22, exec_lo
	v_cmpx_ne_u16_e32 0x80, v10
	s_cbranch_execz .LBB372_726
; %bb.721:                              ;   in Loop: Header=BB372_518 Depth=1
	v_bfe_u32 v21, v18, 16, 7
	v_mov_b32_e32 v23, 0x7f800001
	s_mov_b32 s24, exec_lo
	v_cmpx_ne_u32_e32 0x7f, v21
	s_cbranch_execz .LBB372_725
; %bb.722:                              ;   in Loop: Header=BB372_518 Depth=1
	v_and_b32_sdwa v10, v18, v39 dst_sel:DWORD dst_unused:UNUSED_PAD src0_sel:WORD_1 src1_sel:DWORD
	v_lshrrev_b32_e32 v20, 3, v21
	s_mov_b32 s25, exec_lo
	v_cmpx_gt_u32_e32 8, v21
; %bb.723:                              ;   in Loop: Header=BB372_518 Depth=1
	v_ffbh_u32_e32 v20, v10
	v_min_u32_e32 v20, 32, v20
	v_subrev_nc_u32_e32 v21, 28, v20
	v_sub_nc_u32_e32 v20, 29, v20
	v_lshlrev_b64 v[77:78], v21, v[10:11]
	v_and_b32_e32 v10, 7, v77
; %bb.724:                              ;   in Loop: Header=BB372_518 Depth=1
	s_or_b32 exec_lo, exec_lo, s25
	v_lshlrev_b32_sdwa v21, v40, v18 dst_sel:DWORD dst_unused:UNUSED_PAD src0_sel:DWORD src1_sel:WORD_1
	v_lshlrev_b32_e32 v10, 20, v10
	v_lshl_add_u32 v20, v20, 23, 0x3c000000
	v_and_b32_e32 v21, 0x80000000, v21
	v_or3_b32 v23, v10, v21, v20
.LBB372_725:                            ;   in Loop: Header=BB372_518 Depth=1
	s_or_b32 exec_lo, exec_lo, s24
.LBB372_726:                            ;   in Loop: Header=BB372_518 Depth=1
	s_or_b32 exec_lo, exec_lo, s22
.LBB372_727:                            ;   in Loop: Header=BB372_518 Depth=1
	s_or_b32 exec_lo, exec_lo, s21
	s_mov_b32 s21, exec_lo
	v_cmpx_lt_u32_e32 0xffffff, v18
	s_cbranch_execz .LBB372_735
; %bb.728:                              ;   in Loop: Header=BB372_518 Depth=1
	v_cmp_ne_u32_sdwa s0, v18, v36 src0_sel:BYTE_3 src1_sel:DWORD
	v_bfrev_b32_e32 v76, 1
	s_and_saveexec_b32 s22, s0
	s_cbranch_execz .LBB372_734
; %bb.729:                              ;   in Loop: Header=BB372_518 Depth=1
	v_bfe_u32 v21, v18, 24, 7
	v_mov_b32_e32 v76, 0x7f800001
	s_mov_b32 s24, exec_lo
	v_cmpx_ne_u32_e32 0x7f, v21
	s_cbranch_execz .LBB372_733
; %bb.730:                              ;   in Loop: Header=BB372_518 Depth=1
	v_and_b32_sdwa v10, v18, v39 dst_sel:DWORD dst_unused:UNUSED_PAD src0_sel:BYTE_3 src1_sel:DWORD
	v_lshrrev_b32_e32 v20, 3, v21
	s_mov_b32 s25, exec_lo
	v_cmpx_gt_u32_e32 8, v21
; %bb.731:                              ;   in Loop: Header=BB372_518 Depth=1
	v_ffbh_u32_e32 v20, v10
	v_min_u32_e32 v20, 32, v20
	v_subrev_nc_u32_e32 v21, 28, v20
	v_sub_nc_u32_e32 v20, 29, v20
	v_lshlrev_b64 v[76:77], v21, v[10:11]
	v_and_b32_e32 v10, 7, v76
; %bb.732:                              ;   in Loop: Header=BB372_518 Depth=1
	s_or_b32 exec_lo, exec_lo, s25
	v_lshlrev_b32_sdwa v21, v40, v18 dst_sel:DWORD dst_unused:UNUSED_PAD src0_sel:DWORD src1_sel:BYTE_3
	v_lshlrev_b32_e32 v10, 20, v10
	v_lshl_add_u32 v20, v20, 23, 0x3c000000
	v_and_b32_e32 v21, 0x80000000, v21
	v_or3_b32 v76, v10, v21, v20
.LBB372_733:                            ;   in Loop: Header=BB372_518 Depth=1
	s_or_b32 exec_lo, exec_lo, s24
.LBB372_734:                            ;   in Loop: Header=BB372_518 Depth=1
	s_or_b32 exec_lo, exec_lo, s22
.LBB372_735:                            ;   in Loop: Header=BB372_518 Depth=1
	s_or_b32 exec_lo, exec_lo, s21
	v_mov_b32_e32 v10, v19
	v_cmp_ne_u16_sdwa s0, v19, v11 src0_sel:BYTE_0 src1_sel:DWORD
	v_mov_b32_e32 v20, 0
	v_mov_b32_e32 v77, 0
	s_and_saveexec_b32 s21, s0
	s_cbranch_execz .LBB372_741
; %bb.736:                              ;   in Loop: Header=BB372_518 Depth=1
	v_cmp_ne_u16_sdwa s0, v19, v36 src0_sel:BYTE_0 src1_sel:DWORD
	v_bfrev_b32_e32 v77, 1
	s_and_saveexec_b32 s22, s0
	s_cbranch_execz .LBB372_740
; %bb.737:                              ;   in Loop: Header=BB372_518 Depth=1
	v_and_b32_e32 v21, 0x7f, v19
	v_mov_b32_e32 v77, 0x7f800001
	s_mov_b32 s24, exec_lo
	v_cmpx_ne_u32_e32 0x7f, v21
	s_cbranch_execz .LBB372_739
; %bb.738:                              ;   in Loop: Header=BB372_518 Depth=1
	v_and_b32_e32 v77, 7, v19
	v_lshrrev_b32_e32 v78, 3, v21
	v_cmp_gt_u32_e64 s0, 8, v21
	v_ffbh_u32_e32 v77, v77
	v_min_u32_e32 v77, 32, v77
	v_subrev_nc_u32_e32 v79, 28, v77
	v_sub_nc_u32_e32 v77, 29, v77
	v_cndmask_b32_e64 v21, v78, v77, s0
	v_cndmask_b32_e64 v77, 0, v79, s0
	v_lshl_add_u32 v21, v21, 23, 0x3c000000
	v_lshlrev_b64 v[77:78], v77, v[10:11]
	v_lshlrev_b32_e32 v78, 24, v10
	v_lshlrev_b32_e32 v77, 20, v77
	v_and_b32_e32 v78, 0x80000000, v78
	v_and_b32_e32 v77, 0x700000, v77
	v_or3_b32 v77, v77, v78, v21
.LBB372_739:                            ;   in Loop: Header=BB372_518 Depth=1
	s_or_b32 exec_lo, exec_lo, s24
.LBB372_740:                            ;   in Loop: Header=BB372_518 Depth=1
	s_or_b32 exec_lo, exec_lo, s22
.LBB372_741:                            ;   in Loop: Header=BB372_518 Depth=1
	s_or_b32 exec_lo, exec_lo, s21
	v_cmp_ne_u16_sdwa s0, v10, v11 src0_sel:BYTE_1 src1_sel:DWORD
	s_and_saveexec_b32 s21, s0
	s_cbranch_execz .LBB372_749
; %bb.742:                              ;   in Loop: Header=BB372_518 Depth=1
	v_cmp_ne_u16_sdwa s0, v10, v36 src0_sel:BYTE_1 src1_sel:DWORD
	v_bfrev_b32_e32 v20, 1
	s_and_saveexec_b32 s22, s0
	s_cbranch_execz .LBB372_748
; %bb.743:                              ;   in Loop: Header=BB372_518 Depth=1
	v_and_b32_sdwa v21, v37, v10 dst_sel:DWORD dst_unused:UNUSED_PAD src0_sel:DWORD src1_sel:BYTE_1
	v_mov_b32_e32 v20, 0x7f800001
	s_mov_b32 s24, exec_lo
	v_and_b32_e32 v79, 0x7f, v21
	v_cmpx_ne_u32_e32 0x7f, v79
	s_cbranch_execz .LBB372_747
; %bb.744:                              ;   in Loop: Header=BB372_518 Depth=1
	v_and_b32_e32 v20, 7, v21
	v_mov_b32_e32 v21, v11
	v_lshrrev_b32_e32 v78, 3, v79
	s_mov_b32 s25, exec_lo
	v_cmpx_gt_u32_e32 8, v79
; %bb.745:                              ;   in Loop: Header=BB372_518 Depth=1
	v_ffbh_u32_e32 v78, v20
	v_min_u32_e32 v78, 32, v78
	v_subrev_nc_u32_e32 v79, 28, v78
	v_sub_nc_u32_e32 v78, 29, v78
	v_lshlrev_b64 v[20:21], v79, v[20:21]
	v_and_b32_e32 v20, 7, v20
; %bb.746:                              ;   in Loop: Header=BB372_518 Depth=1
	s_or_b32 exec_lo, exec_lo, s25
	v_lshlrev_b32_e32 v10, 16, v10
	v_lshlrev_b32_e32 v20, 20, v20
	v_lshl_add_u32 v21, v78, 23, 0x3c000000
	v_and_b32_e32 v10, 0x80000000, v10
	v_or3_b32 v20, v20, v10, v21
.LBB372_747:                            ;   in Loop: Header=BB372_518 Depth=1
	s_or_b32 exec_lo, exec_lo, s24
.LBB372_748:                            ;   in Loop: Header=BB372_518 Depth=1
	s_or_b32 exec_lo, exec_lo, s22
.LBB372_749:                            ;   in Loop: Header=BB372_518 Depth=1
	s_or_b32 exec_lo, exec_lo, s21
	v_and_b32_sdwa v10, v19, v38 dst_sel:DWORD dst_unused:UNUSED_PAD src0_sel:WORD_1 src1_sel:DWORD
	v_mov_b32_e32 v21, 0
	v_mov_b32_e32 v78, 0
	s_mov_b32 s21, exec_lo
	v_cmpx_ne_u16_e32 0, v10
	s_cbranch_execz .LBB372_757
; %bb.750:                              ;   in Loop: Header=BB372_518 Depth=1
	v_bfrev_b32_e32 v78, 1
	s_mov_b32 s22, exec_lo
	v_cmpx_ne_u16_e32 0x80, v10
	s_cbranch_execz .LBB372_756
; %bb.751:                              ;   in Loop: Header=BB372_518 Depth=1
	v_bfe_u32 v79, v19, 16, 7
	v_mov_b32_e32 v78, 0x7f800001
	s_mov_b32 s24, exec_lo
	v_cmpx_ne_u32_e32 0x7f, v79
	s_cbranch_execz .LBB372_755
; %bb.752:                              ;   in Loop: Header=BB372_518 Depth=1
	v_and_b32_sdwa v10, v19, v39 dst_sel:DWORD dst_unused:UNUSED_PAD src0_sel:WORD_1 src1_sel:DWORD
	v_lshrrev_b32_e32 v78, 3, v79
	s_mov_b32 s25, exec_lo
	v_cmpx_gt_u32_e32 8, v79
; %bb.753:                              ;   in Loop: Header=BB372_518 Depth=1
	v_ffbh_u32_e32 v78, v10
	v_min_u32_e32 v78, 32, v78
	v_subrev_nc_u32_e32 v79, 28, v78
	v_sub_nc_u32_e32 v78, 29, v78
	v_lshlrev_b64 v[79:80], v79, v[10:11]
	v_and_b32_e32 v10, 7, v79
; %bb.754:                              ;   in Loop: Header=BB372_518 Depth=1
	s_or_b32 exec_lo, exec_lo, s25
	v_lshlrev_b32_sdwa v79, v40, v19 dst_sel:DWORD dst_unused:UNUSED_PAD src0_sel:DWORD src1_sel:WORD_1
	v_lshlrev_b32_e32 v10, 20, v10
	v_lshl_add_u32 v78, v78, 23, 0x3c000000
	v_and_b32_e32 v79, 0x80000000, v79
	v_or3_b32 v78, v10, v79, v78
.LBB372_755:                            ;   in Loop: Header=BB372_518 Depth=1
	s_or_b32 exec_lo, exec_lo, s24
.LBB372_756:                            ;   in Loop: Header=BB372_518 Depth=1
	s_or_b32 exec_lo, exec_lo, s22
.LBB372_757:                            ;   in Loop: Header=BB372_518 Depth=1
	s_or_b32 exec_lo, exec_lo, s21
	s_mov_b32 s21, exec_lo
	v_cmpx_lt_u64_e64 s[4:5], v[18:19]
	s_cbranch_execz .LBB372_765
; %bb.758:                              ;   in Loop: Header=BB372_518 Depth=1
	v_cmp_ne_u32_sdwa s0, v19, v36 src0_sel:BYTE_3 src1_sel:DWORD
	v_bfrev_b32_e32 v21, 1
	s_and_saveexec_b32 s22, s0
	s_cbranch_execz .LBB372_764
; %bb.759:                              ;   in Loop: Header=BB372_518 Depth=1
	v_bfe_u32 v79, v19, 24, 7
	v_mov_b32_e32 v21, 0x7f800001
	s_mov_b32 s24, exec_lo
	v_cmpx_ne_u32_e32 0x7f, v79
	s_cbranch_execz .LBB372_763
; %bb.760:                              ;   in Loop: Header=BB372_518 Depth=1
	v_and_b32_sdwa v10, v19, v39 dst_sel:DWORD dst_unused:UNUSED_PAD src0_sel:BYTE_3 src1_sel:DWORD
	v_lshrrev_b32_e32 v18, 3, v79
	s_mov_b32 s25, exec_lo
	v_cmpx_gt_u32_e32 8, v79
; %bb.761:                              ;   in Loop: Header=BB372_518 Depth=1
	v_ffbh_u32_e32 v18, v10
	v_min_u32_e32 v18, 32, v18
	v_subrev_nc_u32_e32 v21, 28, v18
	v_sub_nc_u32_e32 v18, 29, v18
	v_lshlrev_b64 v[79:80], v21, v[10:11]
	v_and_b32_e32 v10, 7, v79
; %bb.762:                              ;   in Loop: Header=BB372_518 Depth=1
	s_or_b32 exec_lo, exec_lo, s25
	v_lshlrev_b32_sdwa v19, v40, v19 dst_sel:DWORD dst_unused:UNUSED_PAD src0_sel:DWORD src1_sel:BYTE_3
	v_lshlrev_b32_e32 v10, 20, v10
	v_lshl_add_u32 v18, v18, 23, 0x3c000000
	v_and_b32_e32 v19, 0x80000000, v19
	v_or3_b32 v21, v10, v19, v18
.LBB372_763:                            ;   in Loop: Header=BB372_518 Depth=1
	s_or_b32 exec_lo, exec_lo, s24
.LBB372_764:                            ;   in Loop: Header=BB372_518 Depth=1
	s_or_b32 exec_lo, exec_lo, s22
.LBB372_765:                            ;   in Loop: Header=BB372_518 Depth=1
	s_or_b32 exec_lo, exec_lo, s21
	v_mul_f32_e32 v10, s18, v20
	v_mul_f32_e32 v18, s18, v77
	;; [unrolled: 1-line block ×5, first 2 shown]
	v_bfe_u32 v23, v10, 16, 1
	v_or_b32_e32 v76, 0x400000, v10
	v_bfe_u32 v77, v18, 16, 1
	v_cmp_u_f32_e64 s0, v10, v10
	v_or_b32_e32 v79, 0x400000, v18
	v_add3_u32 v23, v23, v10, 0x7fff
	v_bfe_u32 v80, v19, 16, 1
	v_add3_u32 v77, v77, v18, 0x7fff
	v_or_b32_e32 v81, 0x400000, v19
	v_bfe_u32 v82, v20, 16, 1
	v_cndmask_b32_e64 v10, v23, v76, s0
	v_cmp_u_f32_e64 s0, v18, v18
	v_add3_u32 v80, v80, v19, 0x7fff
	v_or_b32_e32 v23, 0x400000, v20
	v_mul_f32_e32 v21, s18, v21
	v_lshrrev_b32_e32 v76, 16, v10
	v_cndmask_b32_e64 v18, v77, v79, s0
	v_cmp_u_f32_e64 s0, v19, v19
	v_mul_f32_e32 v10, s18, v22
	v_add3_u32 v22, v82, v20, 0x7fff
	v_lshrrev_b32_e32 v77, 16, v18
	v_cndmask_b32_e64 v19, v80, v81, s0
	v_bfe_u32 v18, v10, 16, 1
	v_cmp_u_f32_e64 s0, v20, v20
	v_mul_f32_e32 v20, s18, v78
	v_or_b32_e32 v81, 0x400000, v21
	v_lshrrev_b32_e32 v79, 16, v19
	v_add3_u32 v18, v18, v10, 0x7fff
	v_cndmask_b32_e64 v19, v22, v23, s0
	v_or_b32_e32 v22, 0x400000, v10
	v_bfe_u32 v23, v0, 16, 1
	v_cmp_u_f32_e64 s0, v10, v10
	v_bfe_u32 v78, v20, 16, 1
	v_or_b32_e32 v80, 0x400000, v20
	v_cndmask_b32_e64 v10, v18, v22, s0
	v_add3_u32 v22, v23, v0, 0x7fff
	v_or_b32_e32 v23, 0x400000, v0
	v_cmp_u_f32_e64 s0, v0, v0
	v_bfe_u32 v18, v21, 16, 1
	v_add3_u32 v78, v78, v20, 0x7fff
	v_lshrrev_b32_e32 v83, 16, v10
	v_cndmask_b32_e64 v0, v22, v23, s0
	v_cmp_u_f32_e64 s0, v20, v20
	v_add3_u32 v18, v18, v21, 0x7fff
	v_lshrrev_b32_e32 v82, 16, v0
	v_cndmask_b32_e64 v20, v78, v80, s0
	v_cmp_u_f32_e64 s0, v21, v21
	v_lshrrev_b32_e32 v78, 16, v20
	v_cndmask_b32_e64 v18, v18, v81, s0
	v_lshrrev_b32_e32 v81, 16, v19
	v_lshrrev_b32_e32 v80, 16, v18
	s_and_saveexec_b32 s21, vcc_lo
	s_cbranch_execz .LBB372_767
; %bb.766:                              ;   in Loop: Header=BB372_518 Depth=1
	v_cmp_gt_i32_e64 s0, s31, v52
	v_cndmask_b32_e64 v82, 0, v82, s0
	v_cmp_gt_i32_e64 s0, s31, v64
	v_cndmask_b32_e64 v83, 0, v83, s0
	;; [unrolled: 2-line block ×8, first 2 shown]
.LBB372_767:                            ;   in Loop: Header=BB372_518 Depth=1
	s_or_b32 exec_lo, exec_lo, s21
	global_load_dwordx2 v[18:19], v[16:17], off offset:1024
	v_mov_b32_e32 v22, 0
	v_mov_b32_e32 v0, 0
	s_waitcnt vmcnt(0)
	v_cmp_ne_u16_sdwa s0, v18, v11 src0_sel:BYTE_0 src1_sel:DWORD
	s_and_saveexec_b32 s21, s0
	s_cbranch_execz .LBB372_773
; %bb.768:                              ;   in Loop: Header=BB372_518 Depth=1
	v_cmp_ne_u16_sdwa s0, v18, v36 src0_sel:BYTE_0 src1_sel:DWORD
	v_bfrev_b32_e32 v0, 1
	s_and_saveexec_b32 s22, s0
	s_cbranch_execz .LBB372_772
; %bb.769:                              ;   in Loop: Header=BB372_518 Depth=1
	v_and_b32_e32 v10, 0x7f, v18
	v_mov_b32_e32 v0, 0x7f800001
	s_mov_b32 s24, exec_lo
	v_cmpx_ne_u32_e32 0x7f, v10
	s_cbranch_execz .LBB372_771
; %bb.770:                              ;   in Loop: Header=BB372_518 Depth=1
	v_and_b32_e32 v0, 7, v18
	v_cmp_gt_u32_e64 s0, 8, v10
	v_lshrrev_b32_e32 v20, 3, v10
	v_ffbh_u32_e32 v0, v0
	v_min_u32_e32 v0, 32, v0
	v_subrev_nc_u32_e32 v21, 28, v0
	v_sub_nc_u32_e32 v0, 29, v0
	v_cndmask_b32_e64 v10, 0, v21, s0
	v_cndmask_b32_e64 v0, v20, v0, s0
	v_lshlrev_b64 v[20:21], v10, v[18:19]
	v_lshlrev_b32_e32 v10, 24, v18
	v_lshl_add_u32 v0, v0, 23, 0x3c000000
	v_and_b32_e32 v10, 0x80000000, v10
	v_lshlrev_b32_e32 v20, 20, v20
	v_and_b32_e32 v20, 0x700000, v20
	v_or3_b32 v0, v20, v10, v0
.LBB372_771:                            ;   in Loop: Header=BB372_518 Depth=1
	s_or_b32 exec_lo, exec_lo, s24
.LBB372_772:                            ;   in Loop: Header=BB372_518 Depth=1
	s_or_b32 exec_lo, exec_lo, s22
.LBB372_773:                            ;   in Loop: Header=BB372_518 Depth=1
	s_or_b32 exec_lo, exec_lo, s21
	v_cmp_ne_u16_sdwa s0, v18, v11 src0_sel:BYTE_1 src1_sel:DWORD
	s_and_saveexec_b32 s21, s0
	s_cbranch_execz .LBB372_781
; %bb.774:                              ;   in Loop: Header=BB372_518 Depth=1
	v_cmp_ne_u16_sdwa s0, v18, v36 src0_sel:BYTE_1 src1_sel:DWORD
	v_bfrev_b32_e32 v22, 1
	s_and_saveexec_b32 s22, s0
	s_cbranch_execz .LBB372_780
; %bb.775:                              ;   in Loop: Header=BB372_518 Depth=1
	v_and_b32_sdwa v10, v37, v18 dst_sel:DWORD dst_unused:UNUSED_PAD src0_sel:DWORD src1_sel:BYTE_1
	v_mov_b32_e32 v22, 0x7f800001
	s_mov_b32 s24, exec_lo
	v_and_b32_e32 v21, 0x7f, v10
	v_cmpx_ne_u32_e32 0x7f, v21
	s_cbranch_execz .LBB372_779
; %bb.776:                              ;   in Loop: Header=BB372_518 Depth=1
	v_and_b32_e32 v10, 7, v10
	v_lshrrev_b32_e32 v20, 3, v21
	s_mov_b32 s25, exec_lo
	v_cmpx_gt_u32_e32 8, v21
; %bb.777:                              ;   in Loop: Header=BB372_518 Depth=1
	v_ffbh_u32_e32 v20, v10
	v_min_u32_e32 v20, 32, v20
	v_subrev_nc_u32_e32 v21, 28, v20
	v_sub_nc_u32_e32 v20, 29, v20
	v_lshlrev_b64 v[21:22], v21, v[10:11]
	v_and_b32_e32 v10, 7, v21
; %bb.778:                              ;   in Loop: Header=BB372_518 Depth=1
	s_or_b32 exec_lo, exec_lo, s25
	v_lshlrev_b32_e32 v21, 16, v18
	v_lshlrev_b32_e32 v10, 20, v10
	v_lshl_add_u32 v20, v20, 23, 0x3c000000
	v_and_b32_e32 v21, 0x80000000, v21
	v_or3_b32 v22, v10, v21, v20
.LBB372_779:                            ;   in Loop: Header=BB372_518 Depth=1
	s_or_b32 exec_lo, exec_lo, s24
.LBB372_780:                            ;   in Loop: Header=BB372_518 Depth=1
	s_or_b32 exec_lo, exec_lo, s22
.LBB372_781:                            ;   in Loop: Header=BB372_518 Depth=1
	s_or_b32 exec_lo, exec_lo, s21
	v_and_b32_sdwa v10, v18, v38 dst_sel:DWORD dst_unused:UNUSED_PAD src0_sel:WORD_1 src1_sel:DWORD
	v_mov_b32_e32 v84, 0
	v_mov_b32_e32 v23, 0
	s_mov_b32 s21, exec_lo
	v_cmpx_ne_u16_e32 0, v10
	s_cbranch_execz .LBB372_789
; %bb.782:                              ;   in Loop: Header=BB372_518 Depth=1
	v_bfrev_b32_e32 v23, 1
	s_mov_b32 s22, exec_lo
	v_cmpx_ne_u16_e32 0x80, v10
	s_cbranch_execz .LBB372_788
; %bb.783:                              ;   in Loop: Header=BB372_518 Depth=1
	v_bfe_u32 v21, v18, 16, 7
	v_mov_b32_e32 v23, 0x7f800001
	s_mov_b32 s24, exec_lo
	v_cmpx_ne_u32_e32 0x7f, v21
	s_cbranch_execz .LBB372_787
; %bb.784:                              ;   in Loop: Header=BB372_518 Depth=1
	v_and_b32_sdwa v10, v18, v39 dst_sel:DWORD dst_unused:UNUSED_PAD src0_sel:WORD_1 src1_sel:DWORD
	v_lshrrev_b32_e32 v20, 3, v21
	s_mov_b32 s25, exec_lo
	v_cmpx_gt_u32_e32 8, v21
; %bb.785:                              ;   in Loop: Header=BB372_518 Depth=1
	v_ffbh_u32_e32 v20, v10
	v_min_u32_e32 v20, 32, v20
	v_subrev_nc_u32_e32 v21, 28, v20
	v_sub_nc_u32_e32 v20, 29, v20
	v_lshlrev_b64 v[85:86], v21, v[10:11]
	v_and_b32_e32 v10, 7, v85
; %bb.786:                              ;   in Loop: Header=BB372_518 Depth=1
	s_or_b32 exec_lo, exec_lo, s25
	v_lshlrev_b32_sdwa v21, v40, v18 dst_sel:DWORD dst_unused:UNUSED_PAD src0_sel:DWORD src1_sel:WORD_1
	v_lshlrev_b32_e32 v10, 20, v10
	v_lshl_add_u32 v20, v20, 23, 0x3c000000
	v_and_b32_e32 v21, 0x80000000, v21
	v_or3_b32 v23, v10, v21, v20
.LBB372_787:                            ;   in Loop: Header=BB372_518 Depth=1
	s_or_b32 exec_lo, exec_lo, s24
.LBB372_788:                            ;   in Loop: Header=BB372_518 Depth=1
	s_or_b32 exec_lo, exec_lo, s22
.LBB372_789:                            ;   in Loop: Header=BB372_518 Depth=1
	s_or_b32 exec_lo, exec_lo, s21
	s_mov_b32 s21, exec_lo
	v_cmpx_lt_u32_e32 0xffffff, v18
	s_cbranch_execz .LBB372_797
; %bb.790:                              ;   in Loop: Header=BB372_518 Depth=1
	v_cmp_ne_u32_sdwa s0, v18, v36 src0_sel:BYTE_3 src1_sel:DWORD
	v_bfrev_b32_e32 v84, 1
	s_and_saveexec_b32 s22, s0
	s_cbranch_execz .LBB372_796
; %bb.791:                              ;   in Loop: Header=BB372_518 Depth=1
	v_bfe_u32 v21, v18, 24, 7
	v_mov_b32_e32 v84, 0x7f800001
	s_mov_b32 s24, exec_lo
	v_cmpx_ne_u32_e32 0x7f, v21
	s_cbranch_execz .LBB372_795
; %bb.792:                              ;   in Loop: Header=BB372_518 Depth=1
	v_and_b32_sdwa v10, v18, v39 dst_sel:DWORD dst_unused:UNUSED_PAD src0_sel:BYTE_3 src1_sel:DWORD
	v_lshrrev_b32_e32 v20, 3, v21
	s_mov_b32 s25, exec_lo
	v_cmpx_gt_u32_e32 8, v21
; %bb.793:                              ;   in Loop: Header=BB372_518 Depth=1
	v_ffbh_u32_e32 v20, v10
	v_min_u32_e32 v20, 32, v20
	v_subrev_nc_u32_e32 v21, 28, v20
	v_sub_nc_u32_e32 v20, 29, v20
	v_lshlrev_b64 v[84:85], v21, v[10:11]
	v_and_b32_e32 v10, 7, v84
; %bb.794:                              ;   in Loop: Header=BB372_518 Depth=1
	s_or_b32 exec_lo, exec_lo, s25
	v_lshlrev_b32_sdwa v21, v40, v18 dst_sel:DWORD dst_unused:UNUSED_PAD src0_sel:DWORD src1_sel:BYTE_3
	v_lshlrev_b32_e32 v10, 20, v10
	v_lshl_add_u32 v20, v20, 23, 0x3c000000
	v_and_b32_e32 v21, 0x80000000, v21
	v_or3_b32 v84, v10, v21, v20
.LBB372_795:                            ;   in Loop: Header=BB372_518 Depth=1
	s_or_b32 exec_lo, exec_lo, s24
.LBB372_796:                            ;   in Loop: Header=BB372_518 Depth=1
	s_or_b32 exec_lo, exec_lo, s22
.LBB372_797:                            ;   in Loop: Header=BB372_518 Depth=1
	s_or_b32 exec_lo, exec_lo, s21
	v_mov_b32_e32 v10, v19
	v_cmp_ne_u16_sdwa s0, v19, v11 src0_sel:BYTE_0 src1_sel:DWORD
	v_mov_b32_e32 v20, 0
	v_mov_b32_e32 v85, 0
	s_and_saveexec_b32 s21, s0
	s_cbranch_execz .LBB372_803
; %bb.798:                              ;   in Loop: Header=BB372_518 Depth=1
	v_cmp_ne_u16_sdwa s0, v19, v36 src0_sel:BYTE_0 src1_sel:DWORD
	v_bfrev_b32_e32 v85, 1
	s_and_saveexec_b32 s22, s0
	s_cbranch_execz .LBB372_802
; %bb.799:                              ;   in Loop: Header=BB372_518 Depth=1
	v_and_b32_e32 v21, 0x7f, v19
	v_mov_b32_e32 v85, 0x7f800001
	s_mov_b32 s24, exec_lo
	v_cmpx_ne_u32_e32 0x7f, v21
	s_cbranch_execz .LBB372_801
; %bb.800:                              ;   in Loop: Header=BB372_518 Depth=1
	v_and_b32_e32 v85, 7, v19
	v_lshrrev_b32_e32 v86, 3, v21
	v_cmp_gt_u32_e64 s0, 8, v21
	v_ffbh_u32_e32 v85, v85
	v_min_u32_e32 v85, 32, v85
	v_subrev_nc_u32_e32 v87, 28, v85
	v_sub_nc_u32_e32 v85, 29, v85
	v_cndmask_b32_e64 v21, v86, v85, s0
	v_cndmask_b32_e64 v85, 0, v87, s0
	v_lshl_add_u32 v21, v21, 23, 0x3c000000
	v_lshlrev_b64 v[85:86], v85, v[10:11]
	v_lshlrev_b32_e32 v86, 24, v10
	v_lshlrev_b32_e32 v85, 20, v85
	v_and_b32_e32 v86, 0x80000000, v86
	v_and_b32_e32 v85, 0x700000, v85
	v_or3_b32 v85, v85, v86, v21
.LBB372_801:                            ;   in Loop: Header=BB372_518 Depth=1
	s_or_b32 exec_lo, exec_lo, s24
.LBB372_802:                            ;   in Loop: Header=BB372_518 Depth=1
	s_or_b32 exec_lo, exec_lo, s22
.LBB372_803:                            ;   in Loop: Header=BB372_518 Depth=1
	s_or_b32 exec_lo, exec_lo, s21
	v_cmp_ne_u16_sdwa s0, v10, v11 src0_sel:BYTE_1 src1_sel:DWORD
	s_and_saveexec_b32 s21, s0
	s_cbranch_execz .LBB372_811
; %bb.804:                              ;   in Loop: Header=BB372_518 Depth=1
	v_cmp_ne_u16_sdwa s0, v10, v36 src0_sel:BYTE_1 src1_sel:DWORD
	v_bfrev_b32_e32 v20, 1
	s_and_saveexec_b32 s22, s0
	s_cbranch_execz .LBB372_810
; %bb.805:                              ;   in Loop: Header=BB372_518 Depth=1
	v_and_b32_sdwa v21, v37, v10 dst_sel:DWORD dst_unused:UNUSED_PAD src0_sel:DWORD src1_sel:BYTE_1
	v_mov_b32_e32 v20, 0x7f800001
	s_mov_b32 s24, exec_lo
	v_and_b32_e32 v87, 0x7f, v21
	v_cmpx_ne_u32_e32 0x7f, v87
	s_cbranch_execz .LBB372_809
; %bb.806:                              ;   in Loop: Header=BB372_518 Depth=1
	v_and_b32_e32 v20, 7, v21
	v_mov_b32_e32 v21, v11
	v_lshrrev_b32_e32 v86, 3, v87
	s_mov_b32 s25, exec_lo
	v_cmpx_gt_u32_e32 8, v87
; %bb.807:                              ;   in Loop: Header=BB372_518 Depth=1
	v_ffbh_u32_e32 v86, v20
	v_min_u32_e32 v86, 32, v86
	v_subrev_nc_u32_e32 v87, 28, v86
	v_sub_nc_u32_e32 v86, 29, v86
	v_lshlrev_b64 v[20:21], v87, v[20:21]
	v_and_b32_e32 v20, 7, v20
; %bb.808:                              ;   in Loop: Header=BB372_518 Depth=1
	s_or_b32 exec_lo, exec_lo, s25
	v_lshlrev_b32_e32 v10, 16, v10
	v_lshlrev_b32_e32 v20, 20, v20
	v_lshl_add_u32 v21, v86, 23, 0x3c000000
	v_and_b32_e32 v10, 0x80000000, v10
	v_or3_b32 v20, v20, v10, v21
.LBB372_809:                            ;   in Loop: Header=BB372_518 Depth=1
	s_or_b32 exec_lo, exec_lo, s24
.LBB372_810:                            ;   in Loop: Header=BB372_518 Depth=1
	s_or_b32 exec_lo, exec_lo, s22
.LBB372_811:                            ;   in Loop: Header=BB372_518 Depth=1
	s_or_b32 exec_lo, exec_lo, s21
	v_and_b32_sdwa v10, v19, v38 dst_sel:DWORD dst_unused:UNUSED_PAD src0_sel:WORD_1 src1_sel:DWORD
	v_mov_b32_e32 v21, 0
	v_mov_b32_e32 v86, 0
	s_mov_b32 s21, exec_lo
	v_cmpx_ne_u16_e32 0, v10
	s_cbranch_execz .LBB372_819
; %bb.812:                              ;   in Loop: Header=BB372_518 Depth=1
	v_bfrev_b32_e32 v86, 1
	s_mov_b32 s22, exec_lo
	v_cmpx_ne_u16_e32 0x80, v10
	s_cbranch_execz .LBB372_818
; %bb.813:                              ;   in Loop: Header=BB372_518 Depth=1
	v_bfe_u32 v87, v19, 16, 7
	v_mov_b32_e32 v86, 0x7f800001
	s_mov_b32 s24, exec_lo
	v_cmpx_ne_u32_e32 0x7f, v87
	s_cbranch_execz .LBB372_817
; %bb.814:                              ;   in Loop: Header=BB372_518 Depth=1
	v_and_b32_sdwa v10, v19, v39 dst_sel:DWORD dst_unused:UNUSED_PAD src0_sel:WORD_1 src1_sel:DWORD
	v_lshrrev_b32_e32 v86, 3, v87
	s_mov_b32 s25, exec_lo
	v_cmpx_gt_u32_e32 8, v87
; %bb.815:                              ;   in Loop: Header=BB372_518 Depth=1
	v_ffbh_u32_e32 v86, v10
	v_min_u32_e32 v86, 32, v86
	v_subrev_nc_u32_e32 v87, 28, v86
	v_sub_nc_u32_e32 v86, 29, v86
	v_lshlrev_b64 v[87:88], v87, v[10:11]
	v_and_b32_e32 v10, 7, v87
; %bb.816:                              ;   in Loop: Header=BB372_518 Depth=1
	s_or_b32 exec_lo, exec_lo, s25
	v_lshlrev_b32_sdwa v87, v40, v19 dst_sel:DWORD dst_unused:UNUSED_PAD src0_sel:DWORD src1_sel:WORD_1
	v_lshlrev_b32_e32 v10, 20, v10
	v_lshl_add_u32 v86, v86, 23, 0x3c000000
	v_and_b32_e32 v87, 0x80000000, v87
	v_or3_b32 v86, v10, v87, v86
.LBB372_817:                            ;   in Loop: Header=BB372_518 Depth=1
	s_or_b32 exec_lo, exec_lo, s24
.LBB372_818:                            ;   in Loop: Header=BB372_518 Depth=1
	s_or_b32 exec_lo, exec_lo, s22
.LBB372_819:                            ;   in Loop: Header=BB372_518 Depth=1
	s_or_b32 exec_lo, exec_lo, s21
	s_mov_b32 s21, exec_lo
	v_cmpx_lt_u64_e64 s[4:5], v[18:19]
	s_cbranch_execz .LBB372_827
; %bb.820:                              ;   in Loop: Header=BB372_518 Depth=1
	v_cmp_ne_u32_sdwa s0, v19, v36 src0_sel:BYTE_3 src1_sel:DWORD
	v_bfrev_b32_e32 v21, 1
	s_and_saveexec_b32 s22, s0
	s_cbranch_execz .LBB372_826
; %bb.821:                              ;   in Loop: Header=BB372_518 Depth=1
	v_bfe_u32 v87, v19, 24, 7
	v_mov_b32_e32 v21, 0x7f800001
	s_mov_b32 s24, exec_lo
	v_cmpx_ne_u32_e32 0x7f, v87
	s_cbranch_execz .LBB372_825
; %bb.822:                              ;   in Loop: Header=BB372_518 Depth=1
	v_and_b32_sdwa v10, v19, v39 dst_sel:DWORD dst_unused:UNUSED_PAD src0_sel:BYTE_3 src1_sel:DWORD
	v_lshrrev_b32_e32 v18, 3, v87
	s_mov_b32 s25, exec_lo
	v_cmpx_gt_u32_e32 8, v87
; %bb.823:                              ;   in Loop: Header=BB372_518 Depth=1
	v_ffbh_u32_e32 v18, v10
	v_min_u32_e32 v18, 32, v18
	v_subrev_nc_u32_e32 v21, 28, v18
	v_sub_nc_u32_e32 v18, 29, v18
	v_lshlrev_b64 v[87:88], v21, v[10:11]
	v_and_b32_e32 v10, 7, v87
; %bb.824:                              ;   in Loop: Header=BB372_518 Depth=1
	s_or_b32 exec_lo, exec_lo, s25
	v_lshlrev_b32_sdwa v19, v40, v19 dst_sel:DWORD dst_unused:UNUSED_PAD src0_sel:DWORD src1_sel:BYTE_3
	v_lshlrev_b32_e32 v10, 20, v10
	v_lshl_add_u32 v18, v18, 23, 0x3c000000
	v_and_b32_e32 v19, 0x80000000, v19
	v_or3_b32 v21, v10, v19, v18
.LBB372_825:                            ;   in Loop: Header=BB372_518 Depth=1
	s_or_b32 exec_lo, exec_lo, s24
.LBB372_826:                            ;   in Loop: Header=BB372_518 Depth=1
	s_or_b32 exec_lo, exec_lo, s22
.LBB372_827:                            ;   in Loop: Header=BB372_518 Depth=1
	s_or_b32 exec_lo, exec_lo, s21
	v_mul_f32_e32 v10, s18, v20
	v_mul_f32_e32 v18, s18, v85
	;; [unrolled: 1-line block ×5, first 2 shown]
	v_bfe_u32 v23, v10, 16, 1
	v_or_b32_e32 v84, 0x400000, v10
	v_bfe_u32 v85, v18, 16, 1
	v_cmp_u_f32_e64 s0, v10, v10
	v_or_b32_e32 v87, 0x400000, v18
	v_add3_u32 v23, v23, v10, 0x7fff
	v_bfe_u32 v88, v19, 16, 1
	v_add3_u32 v85, v85, v18, 0x7fff
	v_or_b32_e32 v89, 0x400000, v19
	v_bfe_u32 v90, v20, 16, 1
	v_cndmask_b32_e64 v10, v23, v84, s0
	v_cmp_u_f32_e64 s0, v18, v18
	v_add3_u32 v88, v88, v19, 0x7fff
	v_or_b32_e32 v23, 0x400000, v20
	v_mul_f32_e32 v21, s18, v21
	v_cndmask_b32_e64 v18, v85, v87, s0
	v_cmp_u_f32_e64 s0, v19, v19
	v_lshrrev_b32_e32 v85, 16, v10
	v_mul_f32_e32 v10, s18, v22
	v_add3_u32 v22, v90, v20, 0x7fff
	v_lshrrev_b32_e32 v84, 16, v18
	v_cndmask_b32_e64 v19, v88, v89, s0
	v_cmp_u_f32_e64 s0, v20, v20
	v_bfe_u32 v18, v10, 16, 1
	v_mul_f32_e32 v20, s18, v86
	v_or_b32_e32 v89, 0x400000, v21
	v_lshrrev_b32_e32 v87, 16, v19
	v_cndmask_b32_e64 v19, v22, v23, s0
	v_add3_u32 v18, v18, v10, 0x7fff
	v_or_b32_e32 v22, 0x400000, v10
	v_bfe_u32 v23, v0, 16, 1
	v_cmp_u_f32_e64 s0, v10, v10
	v_bfe_u32 v86, v20, 16, 1
	v_or_b32_e32 v88, 0x400000, v20
	v_cndmask_b32_e64 v10, v18, v22, s0
	v_add3_u32 v22, v23, v0, 0x7fff
	v_or_b32_e32 v23, 0x400000, v0
	v_cmp_u_f32_e64 s0, v0, v0
	v_bfe_u32 v18, v21, 16, 1
	v_add3_u32 v86, v86, v20, 0x7fff
	v_lshrrev_b32_e32 v91, 16, v10
	v_cndmask_b32_e64 v0, v22, v23, s0
	v_cmp_u_f32_e64 s0, v20, v20
	v_add3_u32 v18, v18, v21, 0x7fff
	v_lshrrev_b32_e32 v90, 16, v0
	v_cndmask_b32_e64 v20, v86, v88, s0
	v_cmp_u_f32_e64 s0, v21, v21
	v_lshrrev_b32_e32 v86, 16, v20
	v_cndmask_b32_e64 v18, v18, v89, s0
	v_lshrrev_b32_e32 v89, 16, v19
	v_lshrrev_b32_e32 v88, 16, v18
	s_and_saveexec_b32 s21, vcc_lo
	s_cbranch_execz .LBB372_829
; %bb.828:                              ;   in Loop: Header=BB372_518 Depth=1
	v_cmp_gt_i32_e64 s0, s31, v52
	v_cndmask_b32_e64 v90, 0, v90, s0
	v_cmp_gt_i32_e64 s0, s31, v64
	v_cndmask_b32_e64 v91, 0, v91, s0
	;; [unrolled: 2-line block ×8, first 2 shown]
.LBB372_829:                            ;   in Loop: Header=BB372_518 Depth=1
	s_or_b32 exec_lo, exec_lo, s21
	global_load_dwordx2 v[18:19], v[16:17], off offset:1280
	v_mov_b32_e32 v22, 0
	v_mov_b32_e32 v23, 0
	s_waitcnt vmcnt(0)
	v_cmp_ne_u16_sdwa s0, v18, v11 src0_sel:BYTE_0 src1_sel:DWORD
	s_and_saveexec_b32 s21, s0
	s_cbranch_execz .LBB372_835
; %bb.830:                              ;   in Loop: Header=BB372_518 Depth=1
	v_cmp_ne_u16_sdwa s0, v18, v36 src0_sel:BYTE_0 src1_sel:DWORD
	v_bfrev_b32_e32 v23, 1
	s_and_saveexec_b32 s22, s0
	s_cbranch_execz .LBB372_834
; %bb.831:                              ;   in Loop: Header=BB372_518 Depth=1
	v_and_b32_e32 v0, 0x7f, v18
	v_mov_b32_e32 v23, 0x7f800001
	s_mov_b32 s24, exec_lo
	v_cmpx_ne_u32_e32 0x7f, v0
	s_cbranch_execz .LBB372_833
; %bb.832:                              ;   in Loop: Header=BB372_518 Depth=1
	v_and_b32_e32 v10, 7, v18
	v_lshrrev_b32_e32 v20, 3, v0
	v_cmp_gt_u32_e64 s0, 8, v0
	v_ffbh_u32_e32 v10, v10
	v_min_u32_e32 v10, 32, v10
	v_subrev_nc_u32_e32 v21, 28, v10
	v_sub_nc_u32_e32 v10, 29, v10
	v_cndmask_b32_e64 v0, v20, v10, s0
	v_cndmask_b32_e64 v10, 0, v21, s0
	v_lshl_add_u32 v0, v0, 23, 0x3c000000
	v_lshlrev_b64 v[20:21], v10, v[18:19]
	v_lshlrev_b32_e32 v10, 24, v18
	v_and_b32_e32 v10, 0x80000000, v10
	v_lshlrev_b32_e32 v20, 20, v20
	v_and_b32_e32 v20, 0x700000, v20
	v_or3_b32 v23, v20, v10, v0
.LBB372_833:                            ;   in Loop: Header=BB372_518 Depth=1
	s_or_b32 exec_lo, exec_lo, s24
.LBB372_834:                            ;   in Loop: Header=BB372_518 Depth=1
	s_or_b32 exec_lo, exec_lo, s22
.LBB372_835:                            ;   in Loop: Header=BB372_518 Depth=1
	s_or_b32 exec_lo, exec_lo, s21
	v_cmp_ne_u16_sdwa s0, v18, v11 src0_sel:BYTE_1 src1_sel:DWORD
	s_and_saveexec_b32 s21, s0
	s_cbranch_execz .LBB372_843
; %bb.836:                              ;   in Loop: Header=BB372_518 Depth=1
	v_cmp_ne_u16_sdwa s0, v18, v36 src0_sel:BYTE_1 src1_sel:DWORD
	v_bfrev_b32_e32 v22, 1
	s_and_saveexec_b32 s22, s0
	s_cbranch_execz .LBB372_842
; %bb.837:                              ;   in Loop: Header=BB372_518 Depth=1
	v_and_b32_sdwa v0, v37, v18 dst_sel:DWORD dst_unused:UNUSED_PAD src0_sel:DWORD src1_sel:BYTE_1
	v_mov_b32_e32 v22, 0x7f800001
	s_mov_b32 s24, exec_lo
	v_and_b32_e32 v20, 0x7f, v0
	v_cmpx_ne_u32_e32 0x7f, v20
	s_cbranch_execz .LBB372_841
; %bb.838:                              ;   in Loop: Header=BB372_518 Depth=1
	v_and_b32_e32 v10, 7, v0
	v_lshrrev_b32_e32 v0, 3, v20
	s_mov_b32 s25, exec_lo
	v_cmpx_gt_u32_e32 8, v20
; %bb.839:                              ;   in Loop: Header=BB372_518 Depth=1
	v_ffbh_u32_e32 v0, v10
	v_min_u32_e32 v0, 32, v0
	v_subrev_nc_u32_e32 v20, 28, v0
	v_sub_nc_u32_e32 v0, 29, v0
	v_lshlrev_b64 v[20:21], v20, v[10:11]
	v_and_b32_e32 v10, 7, v20
; %bb.840:                              ;   in Loop: Header=BB372_518 Depth=1
	s_or_b32 exec_lo, exec_lo, s25
	v_lshlrev_b32_e32 v20, 16, v18
	v_lshlrev_b32_e32 v10, 20, v10
	v_lshl_add_u32 v0, v0, 23, 0x3c000000
	v_and_b32_e32 v20, 0x80000000, v20
	v_or3_b32 v22, v10, v20, v0
.LBB372_841:                            ;   in Loop: Header=BB372_518 Depth=1
	s_or_b32 exec_lo, exec_lo, s24
.LBB372_842:                            ;   in Loop: Header=BB372_518 Depth=1
	s_or_b32 exec_lo, exec_lo, s22
.LBB372_843:                            ;   in Loop: Header=BB372_518 Depth=1
	s_or_b32 exec_lo, exec_lo, s21
	v_and_b32_sdwa v10, v18, v38 dst_sel:DWORD dst_unused:UNUSED_PAD src0_sel:WORD_1 src1_sel:DWORD
	v_mov_b32_e32 v92, 0
	v_mov_b32_e32 v0, 0
	s_mov_b32 s21, exec_lo
	v_cmpx_ne_u16_e32 0, v10
	s_cbranch_execz .LBB372_851
; %bb.844:                              ;   in Loop: Header=BB372_518 Depth=1
	v_bfrev_b32_e32 v0, 1
	s_mov_b32 s22, exec_lo
	v_cmpx_ne_u16_e32 0x80, v10
	s_cbranch_execz .LBB372_850
; %bb.845:                              ;   in Loop: Header=BB372_518 Depth=1
	v_bfe_u32 v20, v18, 16, 7
	v_mov_b32_e32 v0, 0x7f800001
	s_mov_b32 s24, exec_lo
	v_cmpx_ne_u32_e32 0x7f, v20
	s_cbranch_execz .LBB372_849
; %bb.846:                              ;   in Loop: Header=BB372_518 Depth=1
	v_and_b32_sdwa v10, v18, v39 dst_sel:DWORD dst_unused:UNUSED_PAD src0_sel:WORD_1 src1_sel:DWORD
	v_lshrrev_b32_e32 v0, 3, v20
	s_mov_b32 s25, exec_lo
	v_cmpx_gt_u32_e32 8, v20
; %bb.847:                              ;   in Loop: Header=BB372_518 Depth=1
	v_ffbh_u32_e32 v0, v10
	v_min_u32_e32 v0, 32, v0
	v_subrev_nc_u32_e32 v20, 28, v0
	v_sub_nc_u32_e32 v0, 29, v0
	v_lshlrev_b64 v[20:21], v20, v[10:11]
	v_and_b32_e32 v10, 7, v20
; %bb.848:                              ;   in Loop: Header=BB372_518 Depth=1
	s_or_b32 exec_lo, exec_lo, s25
	v_lshlrev_b32_sdwa v20, v40, v18 dst_sel:DWORD dst_unused:UNUSED_PAD src0_sel:DWORD src1_sel:WORD_1
	v_lshlrev_b32_e32 v10, 20, v10
	v_lshl_add_u32 v0, v0, 23, 0x3c000000
	v_and_b32_e32 v20, 0x80000000, v20
	v_or3_b32 v0, v10, v20, v0
.LBB372_849:                            ;   in Loop: Header=BB372_518 Depth=1
	s_or_b32 exec_lo, exec_lo, s24
.LBB372_850:                            ;   in Loop: Header=BB372_518 Depth=1
	s_or_b32 exec_lo, exec_lo, s22
.LBB372_851:                            ;   in Loop: Header=BB372_518 Depth=1
	s_or_b32 exec_lo, exec_lo, s21
	s_mov_b32 s21, exec_lo
	v_cmpx_lt_u32_e32 0xffffff, v18
	s_cbranch_execz .LBB372_859
; %bb.852:                              ;   in Loop: Header=BB372_518 Depth=1
	v_cmp_ne_u32_sdwa s0, v18, v36 src0_sel:BYTE_3 src1_sel:DWORD
	v_bfrev_b32_e32 v92, 1
	s_and_saveexec_b32 s22, s0
	s_cbranch_execz .LBB372_858
; %bb.853:                              ;   in Loop: Header=BB372_518 Depth=1
	v_bfe_u32 v21, v18, 24, 7
	v_mov_b32_e32 v92, 0x7f800001
	s_mov_b32 s24, exec_lo
	v_cmpx_ne_u32_e32 0x7f, v21
	s_cbranch_execz .LBB372_857
; %bb.854:                              ;   in Loop: Header=BB372_518 Depth=1
	v_and_b32_sdwa v10, v18, v39 dst_sel:DWORD dst_unused:UNUSED_PAD src0_sel:BYTE_3 src1_sel:DWORD
	v_lshrrev_b32_e32 v20, 3, v21
	s_mov_b32 s25, exec_lo
	v_cmpx_gt_u32_e32 8, v21
; %bb.855:                              ;   in Loop: Header=BB372_518 Depth=1
	v_ffbh_u32_e32 v20, v10
	v_min_u32_e32 v20, 32, v20
	v_subrev_nc_u32_e32 v21, 28, v20
	v_sub_nc_u32_e32 v20, 29, v20
	v_lshlrev_b64 v[92:93], v21, v[10:11]
	v_and_b32_e32 v10, 7, v92
; %bb.856:                              ;   in Loop: Header=BB372_518 Depth=1
	s_or_b32 exec_lo, exec_lo, s25
	v_lshlrev_b32_sdwa v21, v40, v18 dst_sel:DWORD dst_unused:UNUSED_PAD src0_sel:DWORD src1_sel:BYTE_3
	v_lshlrev_b32_e32 v10, 20, v10
	v_lshl_add_u32 v20, v20, 23, 0x3c000000
	v_and_b32_e32 v21, 0x80000000, v21
	v_or3_b32 v92, v10, v21, v20
.LBB372_857:                            ;   in Loop: Header=BB372_518 Depth=1
	s_or_b32 exec_lo, exec_lo, s24
.LBB372_858:                            ;   in Loop: Header=BB372_518 Depth=1
	s_or_b32 exec_lo, exec_lo, s22
.LBB372_859:                            ;   in Loop: Header=BB372_518 Depth=1
	s_or_b32 exec_lo, exec_lo, s21
	v_mov_b32_e32 v10, v19
	v_cmp_ne_u16_sdwa s0, v19, v11 src0_sel:BYTE_0 src1_sel:DWORD
	v_mov_b32_e32 v20, 0
	v_mov_b32_e32 v93, 0
	s_and_saveexec_b32 s21, s0
	s_cbranch_execz .LBB372_865
; %bb.860:                              ;   in Loop: Header=BB372_518 Depth=1
	v_cmp_ne_u16_sdwa s0, v19, v36 src0_sel:BYTE_0 src1_sel:DWORD
	v_bfrev_b32_e32 v93, 1
	s_and_saveexec_b32 s22, s0
	s_cbranch_execz .LBB372_864
; %bb.861:                              ;   in Loop: Header=BB372_518 Depth=1
	v_and_b32_e32 v21, 0x7f, v19
	v_mov_b32_e32 v93, 0x7f800001
	s_mov_b32 s24, exec_lo
	v_cmpx_ne_u32_e32 0x7f, v21
	s_cbranch_execz .LBB372_863
; %bb.862:                              ;   in Loop: Header=BB372_518 Depth=1
	v_and_b32_e32 v93, 7, v19
	v_lshrrev_b32_e32 v94, 3, v21
	v_cmp_gt_u32_e64 s0, 8, v21
	v_ffbh_u32_e32 v93, v93
	v_min_u32_e32 v93, 32, v93
	v_subrev_nc_u32_e32 v95, 28, v93
	v_sub_nc_u32_e32 v93, 29, v93
	v_cndmask_b32_e64 v21, v94, v93, s0
	v_cndmask_b32_e64 v93, 0, v95, s0
	v_lshl_add_u32 v21, v21, 23, 0x3c000000
	v_lshlrev_b64 v[93:94], v93, v[10:11]
	v_lshlrev_b32_e32 v94, 24, v10
	v_lshlrev_b32_e32 v93, 20, v93
	v_and_b32_e32 v94, 0x80000000, v94
	v_and_b32_e32 v93, 0x700000, v93
	v_or3_b32 v93, v93, v94, v21
.LBB372_863:                            ;   in Loop: Header=BB372_518 Depth=1
	s_or_b32 exec_lo, exec_lo, s24
.LBB372_864:                            ;   in Loop: Header=BB372_518 Depth=1
	s_or_b32 exec_lo, exec_lo, s22
.LBB372_865:                            ;   in Loop: Header=BB372_518 Depth=1
	s_or_b32 exec_lo, exec_lo, s21
	v_cmp_ne_u16_sdwa s0, v10, v11 src0_sel:BYTE_1 src1_sel:DWORD
	s_and_saveexec_b32 s21, s0
	s_cbranch_execz .LBB372_873
; %bb.866:                              ;   in Loop: Header=BB372_518 Depth=1
	v_cmp_ne_u16_sdwa s0, v10, v36 src0_sel:BYTE_1 src1_sel:DWORD
	v_bfrev_b32_e32 v20, 1
	s_and_saveexec_b32 s22, s0
	s_cbranch_execz .LBB372_872
; %bb.867:                              ;   in Loop: Header=BB372_518 Depth=1
	v_and_b32_sdwa v21, v37, v10 dst_sel:DWORD dst_unused:UNUSED_PAD src0_sel:DWORD src1_sel:BYTE_1
	v_mov_b32_e32 v20, 0x7f800001
	s_mov_b32 s24, exec_lo
	v_and_b32_e32 v95, 0x7f, v21
	v_cmpx_ne_u32_e32 0x7f, v95
	s_cbranch_execz .LBB372_871
; %bb.868:                              ;   in Loop: Header=BB372_518 Depth=1
	v_and_b32_e32 v20, 7, v21
	v_mov_b32_e32 v21, v11
	v_lshrrev_b32_e32 v94, 3, v95
	s_mov_b32 s25, exec_lo
	v_cmpx_gt_u32_e32 8, v95
; %bb.869:                              ;   in Loop: Header=BB372_518 Depth=1
	v_ffbh_u32_e32 v94, v20
	v_min_u32_e32 v94, 32, v94
	v_subrev_nc_u32_e32 v95, 28, v94
	v_sub_nc_u32_e32 v94, 29, v94
	v_lshlrev_b64 v[20:21], v95, v[20:21]
	v_and_b32_e32 v20, 7, v20
; %bb.870:                              ;   in Loop: Header=BB372_518 Depth=1
	s_or_b32 exec_lo, exec_lo, s25
	v_lshlrev_b32_e32 v10, 16, v10
	v_lshlrev_b32_e32 v20, 20, v20
	v_lshl_add_u32 v21, v94, 23, 0x3c000000
	v_and_b32_e32 v10, 0x80000000, v10
	v_or3_b32 v20, v20, v10, v21
.LBB372_871:                            ;   in Loop: Header=BB372_518 Depth=1
	s_or_b32 exec_lo, exec_lo, s24
.LBB372_872:                            ;   in Loop: Header=BB372_518 Depth=1
	s_or_b32 exec_lo, exec_lo, s22
.LBB372_873:                            ;   in Loop: Header=BB372_518 Depth=1
	s_or_b32 exec_lo, exec_lo, s21
	v_and_b32_sdwa v10, v19, v38 dst_sel:DWORD dst_unused:UNUSED_PAD src0_sel:WORD_1 src1_sel:DWORD
	v_mov_b32_e32 v21, 0
	v_mov_b32_e32 v94, 0
	s_mov_b32 s21, exec_lo
	v_cmpx_ne_u16_e32 0, v10
	s_cbranch_execz .LBB372_881
; %bb.874:                              ;   in Loop: Header=BB372_518 Depth=1
	v_bfrev_b32_e32 v94, 1
	s_mov_b32 s22, exec_lo
	v_cmpx_ne_u16_e32 0x80, v10
	s_cbranch_execz .LBB372_880
; %bb.875:                              ;   in Loop: Header=BB372_518 Depth=1
	v_bfe_u32 v95, v19, 16, 7
	v_mov_b32_e32 v94, 0x7f800001
	s_mov_b32 s24, exec_lo
	v_cmpx_ne_u32_e32 0x7f, v95
	s_cbranch_execz .LBB372_879
; %bb.876:                              ;   in Loop: Header=BB372_518 Depth=1
	v_and_b32_sdwa v10, v19, v39 dst_sel:DWORD dst_unused:UNUSED_PAD src0_sel:WORD_1 src1_sel:DWORD
	v_lshrrev_b32_e32 v94, 3, v95
	s_mov_b32 s25, exec_lo
	v_cmpx_gt_u32_e32 8, v95
; %bb.877:                              ;   in Loop: Header=BB372_518 Depth=1
	v_ffbh_u32_e32 v94, v10
	v_min_u32_e32 v94, 32, v94
	v_subrev_nc_u32_e32 v95, 28, v94
	v_sub_nc_u32_e32 v94, 29, v94
	v_lshlrev_b64 v[95:96], v95, v[10:11]
	v_and_b32_e32 v10, 7, v95
; %bb.878:                              ;   in Loop: Header=BB372_518 Depth=1
	s_or_b32 exec_lo, exec_lo, s25
	v_lshlrev_b32_sdwa v95, v40, v19 dst_sel:DWORD dst_unused:UNUSED_PAD src0_sel:DWORD src1_sel:WORD_1
	v_lshlrev_b32_e32 v10, 20, v10
	v_lshl_add_u32 v94, v94, 23, 0x3c000000
	v_and_b32_e32 v95, 0x80000000, v95
	v_or3_b32 v94, v10, v95, v94
.LBB372_879:                            ;   in Loop: Header=BB372_518 Depth=1
	s_or_b32 exec_lo, exec_lo, s24
.LBB372_880:                            ;   in Loop: Header=BB372_518 Depth=1
	s_or_b32 exec_lo, exec_lo, s22
.LBB372_881:                            ;   in Loop: Header=BB372_518 Depth=1
	s_or_b32 exec_lo, exec_lo, s21
	s_mov_b32 s21, exec_lo
	v_cmpx_lt_u64_e64 s[4:5], v[18:19]
	s_cbranch_execz .LBB372_889
; %bb.882:                              ;   in Loop: Header=BB372_518 Depth=1
	v_cmp_ne_u32_sdwa s0, v19, v36 src0_sel:BYTE_3 src1_sel:DWORD
	v_bfrev_b32_e32 v21, 1
	s_and_saveexec_b32 s22, s0
	s_cbranch_execz .LBB372_888
; %bb.883:                              ;   in Loop: Header=BB372_518 Depth=1
	v_bfe_u32 v95, v19, 24, 7
	v_mov_b32_e32 v21, 0x7f800001
	s_mov_b32 s24, exec_lo
	v_cmpx_ne_u32_e32 0x7f, v95
	s_cbranch_execz .LBB372_887
; %bb.884:                              ;   in Loop: Header=BB372_518 Depth=1
	v_and_b32_sdwa v10, v19, v39 dst_sel:DWORD dst_unused:UNUSED_PAD src0_sel:BYTE_3 src1_sel:DWORD
	v_lshrrev_b32_e32 v18, 3, v95
	s_mov_b32 s25, exec_lo
	v_cmpx_gt_u32_e32 8, v95
; %bb.885:                              ;   in Loop: Header=BB372_518 Depth=1
	v_ffbh_u32_e32 v18, v10
	v_min_u32_e32 v18, 32, v18
	v_subrev_nc_u32_e32 v21, 28, v18
	v_sub_nc_u32_e32 v18, 29, v18
	v_lshlrev_b64 v[95:96], v21, v[10:11]
	v_and_b32_e32 v10, 7, v95
; %bb.886:                              ;   in Loop: Header=BB372_518 Depth=1
	s_or_b32 exec_lo, exec_lo, s25
	v_lshlrev_b32_sdwa v19, v40, v19 dst_sel:DWORD dst_unused:UNUSED_PAD src0_sel:DWORD src1_sel:BYTE_3
	v_lshlrev_b32_e32 v10, 20, v10
	v_lshl_add_u32 v18, v18, 23, 0x3c000000
	v_and_b32_e32 v19, 0x80000000, v19
	v_or3_b32 v21, v10, v19, v18
.LBB372_887:                            ;   in Loop: Header=BB372_518 Depth=1
	s_or_b32 exec_lo, exec_lo, s24
.LBB372_888:                            ;   in Loop: Header=BB372_518 Depth=1
	s_or_b32 exec_lo, exec_lo, s22
.LBB372_889:                            ;   in Loop: Header=BB372_518 Depth=1
	s_or_b32 exec_lo, exec_lo, s21
	v_mul_f32_e32 v10, s18, v20
	v_mul_f32_e32 v18, s18, v93
	;; [unrolled: 1-line block ×5, first 2 shown]
	v_bfe_u32 v0, v10, 16, 1
	v_or_b32_e32 v92, 0x400000, v10
	v_bfe_u32 v93, v18, 16, 1
	v_cmp_u_f32_e64 s0, v10, v10
	v_or_b32_e32 v95, 0x400000, v18
	v_add3_u32 v0, v0, v10, 0x7fff
	v_bfe_u32 v96, v19, 16, 1
	v_add3_u32 v93, v93, v18, 0x7fff
	v_or_b32_e32 v97, 0x400000, v19
	v_bfe_u32 v98, v20, 16, 1
	v_cndmask_b32_e64 v0, v0, v92, s0
	v_cmp_u_f32_e64 s0, v18, v18
	v_add3_u32 v96, v96, v19, 0x7fff
	v_lshrrev_b32_e32 v0, 16, v0
	v_cndmask_b32_e64 v10, v93, v95, s0
	v_cmp_u_f32_e64 s0, v19, v19
	v_mul_f32_e32 v19, s18, v22
	v_add3_u32 v93, v98, v20, 0x7fff
	v_or_b32_e32 v95, 0x400000, v20
	v_lshrrev_b32_e32 v22, 16, v10
	v_cndmask_b32_e64 v18, v96, v97, s0
	v_bfe_u32 v10, v19, 16, 1
	v_cmp_u_f32_e64 s0, v20, v20
	v_mul_f32_e32 v20, s18, v23
	v_mul_f32_e32 v23, s18, v94
	v_lshrrev_b32_e32 v92, 16, v18
	v_add3_u32 v10, v10, v19, 0x7fff
	v_cndmask_b32_e64 v18, v93, v95, s0
	v_or_b32_e32 v93, 0x400000, v19
	v_bfe_u32 v94, v20, 16, 1
	v_cmp_u_f32_e64 s0, v19, v19
	v_bfe_u32 v95, v23, 16, 1
	v_bfe_u32 v19, v21, 16, 1
	v_or_b32_e32 v96, 0x400000, v23
	v_or_b32_e32 v97, 0x400000, v21
	v_cndmask_b32_e64 v10, v10, v93, s0
	v_add3_u32 v93, v94, v20, 0x7fff
	v_or_b32_e32 v94, 0x400000, v20
	v_cmp_u_f32_e64 s0, v20, v20
	v_add3_u32 v95, v95, v23, 0x7fff
	v_add3_u32 v19, v19, v21, 0x7fff
	v_cndmask_b32_e64 v20, v93, v94, s0
	v_cmp_u_f32_e64 s0, v23, v23
	v_lshrrev_b32_e32 v94, 16, v18
	v_cndmask_b32_e64 v23, v95, v96, s0
	v_cmp_u_f32_e64 s0, v21, v21
	v_lshrrev_b32_e32 v96, 16, v10
	v_lshrrev_b32_e32 v95, 16, v20
	;; [unrolled: 1-line block ×3, first 2 shown]
	v_cndmask_b32_e64 v19, v19, v97, s0
	v_lshrrev_b32_e32 v93, 16, v19
	s_and_saveexec_b32 s21, vcc_lo
	s_cbranch_execz .LBB372_891
; %bb.890:                              ;   in Loop: Header=BB372_518 Depth=1
	v_cmp_gt_i32_e64 s0, s31, v52
	v_cndmask_b32_e64 v95, 0, v95, s0
	v_cmp_gt_i32_e64 s0, s31, v64
	v_cndmask_b32_e64 v96, 0, v96, s0
	;; [unrolled: 2-line block ×8, first 2 shown]
.LBB372_891:                            ;   in Loop: Header=BB372_518 Depth=1
	s_or_b32 exec_lo, exec_lo, s21
	global_load_dwordx2 v[18:19], v[16:17], off offset:1536
	v_mov_b32_e32 v99, 0
	v_mov_b32_e32 v98, 0
	s_waitcnt vmcnt(0)
	v_cmp_ne_u16_sdwa s0, v18, v11 src0_sel:BYTE_0 src1_sel:DWORD
	s_and_saveexec_b32 s21, s0
	s_cbranch_execz .LBB372_897
; %bb.892:                              ;   in Loop: Header=BB372_518 Depth=1
	v_cmp_ne_u16_sdwa s0, v18, v36 src0_sel:BYTE_0 src1_sel:DWORD
	v_bfrev_b32_e32 v98, 1
	s_and_saveexec_b32 s22, s0
	s_cbranch_execz .LBB372_896
; %bb.893:                              ;   in Loop: Header=BB372_518 Depth=1
	v_and_b32_e32 v10, 0x7f, v18
	v_mov_b32_e32 v98, 0x7f800001
	s_mov_b32 s24, exec_lo
	v_cmpx_ne_u32_e32 0x7f, v10
	s_cbranch_execz .LBB372_895
; %bb.894:                              ;   in Loop: Header=BB372_518 Depth=1
	v_and_b32_e32 v20, 7, v18
	v_lshrrev_b32_e32 v21, 3, v10
	v_cmp_gt_u32_e64 s0, 8, v10
	v_ffbh_u32_e32 v20, v20
	v_min_u32_e32 v20, 32, v20
	v_subrev_nc_u32_e32 v97, 28, v20
	v_sub_nc_u32_e32 v20, 29, v20
	v_cndmask_b32_e64 v10, v21, v20, s0
	v_cndmask_b32_e64 v20, 0, v97, s0
	v_lshl_add_u32 v10, v10, 23, 0x3c000000
	v_lshlrev_b64 v[20:21], v20, v[18:19]
	v_lshlrev_b32_e32 v21, 24, v18
	v_lshlrev_b32_e32 v20, 20, v20
	v_and_b32_e32 v21, 0x80000000, v21
	v_and_b32_e32 v20, 0x700000, v20
	v_or3_b32 v98, v20, v21, v10
.LBB372_895:                            ;   in Loop: Header=BB372_518 Depth=1
	s_or_b32 exec_lo, exec_lo, s24
.LBB372_896:                            ;   in Loop: Header=BB372_518 Depth=1
	s_or_b32 exec_lo, exec_lo, s22
.LBB372_897:                            ;   in Loop: Header=BB372_518 Depth=1
	s_or_b32 exec_lo, exec_lo, s21
	v_cmp_ne_u16_sdwa s0, v18, v11 src0_sel:BYTE_1 src1_sel:DWORD
	s_and_saveexec_b32 s21, s0
	s_cbranch_execz .LBB372_905
; %bb.898:                              ;   in Loop: Header=BB372_518 Depth=1
	v_cmp_ne_u16_sdwa s0, v18, v36 src0_sel:BYTE_1 src1_sel:DWORD
	v_bfrev_b32_e32 v99, 1
	s_and_saveexec_b32 s22, s0
	s_cbranch_execz .LBB372_904
; %bb.899:                              ;   in Loop: Header=BB372_518 Depth=1
	v_and_b32_sdwa v10, v37, v18 dst_sel:DWORD dst_unused:UNUSED_PAD src0_sel:DWORD src1_sel:BYTE_1
	v_mov_b32_e32 v99, 0x7f800001
	s_mov_b32 s24, exec_lo
	v_and_b32_e32 v21, 0x7f, v10
	v_cmpx_ne_u32_e32 0x7f, v21
	s_cbranch_execz .LBB372_903
; %bb.900:                              ;   in Loop: Header=BB372_518 Depth=1
	v_and_b32_e32 v10, 7, v10
	v_lshrrev_b32_e32 v20, 3, v21
	s_mov_b32 s25, exec_lo
	v_cmpx_gt_u32_e32 8, v21
; %bb.901:                              ;   in Loop: Header=BB372_518 Depth=1
	v_ffbh_u32_e32 v20, v10
	v_min_u32_e32 v20, 32, v20
	v_subrev_nc_u32_e32 v21, 28, v20
	v_sub_nc_u32_e32 v20, 29, v20
	v_lshlrev_b64 v[99:100], v21, v[10:11]
	v_and_b32_e32 v10, 7, v99
; %bb.902:                              ;   in Loop: Header=BB372_518 Depth=1
	s_or_b32 exec_lo, exec_lo, s25
	v_lshlrev_b32_e32 v21, 16, v18
	v_lshlrev_b32_e32 v10, 20, v10
	v_lshl_add_u32 v20, v20, 23, 0x3c000000
	v_and_b32_e32 v21, 0x80000000, v21
	v_or3_b32 v99, v10, v21, v20
.LBB372_903:                            ;   in Loop: Header=BB372_518 Depth=1
	s_or_b32 exec_lo, exec_lo, s24
.LBB372_904:                            ;   in Loop: Header=BB372_518 Depth=1
	s_or_b32 exec_lo, exec_lo, s22
.LBB372_905:                            ;   in Loop: Header=BB372_518 Depth=1
	s_or_b32 exec_lo, exec_lo, s21
	v_and_b32_sdwa v10, v18, v38 dst_sel:DWORD dst_unused:UNUSED_PAD src0_sel:WORD_1 src1_sel:DWORD
	v_mov_b32_e32 v100, 0
	v_mov_b32_e32 v97, 0
	s_mov_b32 s21, exec_lo
	v_cmpx_ne_u16_e32 0, v10
	s_cbranch_execz .LBB372_913
; %bb.906:                              ;   in Loop: Header=BB372_518 Depth=1
	v_bfrev_b32_e32 v97, 1
	s_mov_b32 s22, exec_lo
	v_cmpx_ne_u16_e32 0x80, v10
	s_cbranch_execz .LBB372_912
; %bb.907:                              ;   in Loop: Header=BB372_518 Depth=1
	v_bfe_u32 v21, v18, 16, 7
	v_mov_b32_e32 v97, 0x7f800001
	s_mov_b32 s24, exec_lo
	v_cmpx_ne_u32_e32 0x7f, v21
	s_cbranch_execz .LBB372_911
; %bb.908:                              ;   in Loop: Header=BB372_518 Depth=1
	v_and_b32_sdwa v10, v18, v39 dst_sel:DWORD dst_unused:UNUSED_PAD src0_sel:WORD_1 src1_sel:DWORD
	v_lshrrev_b32_e32 v20, 3, v21
	s_mov_b32 s25, exec_lo
	v_cmpx_gt_u32_e32 8, v21
; %bb.909:                              ;   in Loop: Header=BB372_518 Depth=1
	v_ffbh_u32_e32 v20, v10
	v_min_u32_e32 v20, 32, v20
	v_subrev_nc_u32_e32 v21, 28, v20
	v_sub_nc_u32_e32 v20, 29, v20
	v_lshlrev_b64 v[101:102], v21, v[10:11]
	v_and_b32_e32 v10, 7, v101
; %bb.910:                              ;   in Loop: Header=BB372_518 Depth=1
	s_or_b32 exec_lo, exec_lo, s25
	v_lshlrev_b32_sdwa v21, v40, v18 dst_sel:DWORD dst_unused:UNUSED_PAD src0_sel:DWORD src1_sel:WORD_1
	v_lshlrev_b32_e32 v10, 20, v10
	v_lshl_add_u32 v20, v20, 23, 0x3c000000
	v_and_b32_e32 v21, 0x80000000, v21
	v_or3_b32 v97, v10, v21, v20
.LBB372_911:                            ;   in Loop: Header=BB372_518 Depth=1
	s_or_b32 exec_lo, exec_lo, s24
.LBB372_912:                            ;   in Loop: Header=BB372_518 Depth=1
	s_or_b32 exec_lo, exec_lo, s22
.LBB372_913:                            ;   in Loop: Header=BB372_518 Depth=1
	s_or_b32 exec_lo, exec_lo, s21
	s_mov_b32 s21, exec_lo
	v_cmpx_lt_u32_e32 0xffffff, v18
	s_cbranch_execz .LBB372_921
; %bb.914:                              ;   in Loop: Header=BB372_518 Depth=1
	v_cmp_ne_u32_sdwa s0, v18, v36 src0_sel:BYTE_3 src1_sel:DWORD
	v_bfrev_b32_e32 v100, 1
	s_and_saveexec_b32 s22, s0
	s_cbranch_execz .LBB372_920
; %bb.915:                              ;   in Loop: Header=BB372_518 Depth=1
	v_bfe_u32 v21, v18, 24, 7
	v_mov_b32_e32 v100, 0x7f800001
	s_mov_b32 s24, exec_lo
	v_cmpx_ne_u32_e32 0x7f, v21
	s_cbranch_execz .LBB372_919
; %bb.916:                              ;   in Loop: Header=BB372_518 Depth=1
	v_and_b32_sdwa v10, v18, v39 dst_sel:DWORD dst_unused:UNUSED_PAD src0_sel:BYTE_3 src1_sel:DWORD
	v_lshrrev_b32_e32 v20, 3, v21
	s_mov_b32 s25, exec_lo
	v_cmpx_gt_u32_e32 8, v21
; %bb.917:                              ;   in Loop: Header=BB372_518 Depth=1
	v_ffbh_u32_e32 v20, v10
	v_min_u32_e32 v20, 32, v20
	v_subrev_nc_u32_e32 v21, 28, v20
	v_sub_nc_u32_e32 v20, 29, v20
	v_lshlrev_b64 v[100:101], v21, v[10:11]
	v_and_b32_e32 v10, 7, v100
; %bb.918:                              ;   in Loop: Header=BB372_518 Depth=1
	s_or_b32 exec_lo, exec_lo, s25
	v_lshlrev_b32_sdwa v21, v40, v18 dst_sel:DWORD dst_unused:UNUSED_PAD src0_sel:DWORD src1_sel:BYTE_3
	v_lshlrev_b32_e32 v10, 20, v10
	v_lshl_add_u32 v20, v20, 23, 0x3c000000
	v_and_b32_e32 v21, 0x80000000, v21
	v_or3_b32 v100, v10, v21, v20
.LBB372_919:                            ;   in Loop: Header=BB372_518 Depth=1
	s_or_b32 exec_lo, exec_lo, s24
.LBB372_920:                            ;   in Loop: Header=BB372_518 Depth=1
	s_or_b32 exec_lo, exec_lo, s22
.LBB372_921:                            ;   in Loop: Header=BB372_518 Depth=1
	s_or_b32 exec_lo, exec_lo, s21
	v_mov_b32_e32 v10, v19
	v_cmp_ne_u16_sdwa s0, v19, v11 src0_sel:BYTE_0 src1_sel:DWORD
	v_mov_b32_e32 v20, 0
	v_mov_b32_e32 v101, 0
	s_and_saveexec_b32 s21, s0
	s_cbranch_execz .LBB372_927
; %bb.922:                              ;   in Loop: Header=BB372_518 Depth=1
	v_cmp_ne_u16_sdwa s0, v19, v36 src0_sel:BYTE_0 src1_sel:DWORD
	v_bfrev_b32_e32 v101, 1
	s_and_saveexec_b32 s22, s0
	s_cbranch_execz .LBB372_926
; %bb.923:                              ;   in Loop: Header=BB372_518 Depth=1
	v_and_b32_e32 v21, 0x7f, v19
	v_mov_b32_e32 v101, 0x7f800001
	s_mov_b32 s24, exec_lo
	v_cmpx_ne_u32_e32 0x7f, v21
	s_cbranch_execz .LBB372_925
; %bb.924:                              ;   in Loop: Header=BB372_518 Depth=1
	v_and_b32_e32 v101, 7, v19
	v_lshrrev_b32_e32 v102, 3, v21
	v_cmp_gt_u32_e64 s0, 8, v21
	v_ffbh_u32_e32 v101, v101
	v_min_u32_e32 v101, 32, v101
	v_subrev_nc_u32_e32 v103, 28, v101
	v_sub_nc_u32_e32 v101, 29, v101
	v_cndmask_b32_e64 v21, v102, v101, s0
	v_cndmask_b32_e64 v101, 0, v103, s0
	v_lshl_add_u32 v21, v21, 23, 0x3c000000
	v_lshlrev_b64 v[101:102], v101, v[10:11]
	v_lshlrev_b32_e32 v102, 24, v10
	v_lshlrev_b32_e32 v101, 20, v101
	v_and_b32_e32 v102, 0x80000000, v102
	v_and_b32_e32 v101, 0x700000, v101
	v_or3_b32 v101, v101, v102, v21
.LBB372_925:                            ;   in Loop: Header=BB372_518 Depth=1
	s_or_b32 exec_lo, exec_lo, s24
.LBB372_926:                            ;   in Loop: Header=BB372_518 Depth=1
	s_or_b32 exec_lo, exec_lo, s22
.LBB372_927:                            ;   in Loop: Header=BB372_518 Depth=1
	s_or_b32 exec_lo, exec_lo, s21
	v_cmp_ne_u16_sdwa s0, v10, v11 src0_sel:BYTE_1 src1_sel:DWORD
	s_and_saveexec_b32 s21, s0
	s_cbranch_execz .LBB372_935
; %bb.928:                              ;   in Loop: Header=BB372_518 Depth=1
	v_cmp_ne_u16_sdwa s0, v10, v36 src0_sel:BYTE_1 src1_sel:DWORD
	v_bfrev_b32_e32 v20, 1
	s_and_saveexec_b32 s22, s0
	s_cbranch_execz .LBB372_934
; %bb.929:                              ;   in Loop: Header=BB372_518 Depth=1
	v_and_b32_sdwa v21, v37, v10 dst_sel:DWORD dst_unused:UNUSED_PAD src0_sel:DWORD src1_sel:BYTE_1
	v_mov_b32_e32 v20, 0x7f800001
	s_mov_b32 s24, exec_lo
	v_and_b32_e32 v103, 0x7f, v21
	v_cmpx_ne_u32_e32 0x7f, v103
	s_cbranch_execz .LBB372_933
; %bb.930:                              ;   in Loop: Header=BB372_518 Depth=1
	v_and_b32_e32 v20, 7, v21
	v_mov_b32_e32 v21, v11
	v_lshrrev_b32_e32 v102, 3, v103
	s_mov_b32 s25, exec_lo
	v_cmpx_gt_u32_e32 8, v103
; %bb.931:                              ;   in Loop: Header=BB372_518 Depth=1
	v_ffbh_u32_e32 v102, v20
	v_min_u32_e32 v102, 32, v102
	v_subrev_nc_u32_e32 v103, 28, v102
	v_sub_nc_u32_e32 v102, 29, v102
	v_lshlrev_b64 v[20:21], v103, v[20:21]
	v_and_b32_e32 v20, 7, v20
; %bb.932:                              ;   in Loop: Header=BB372_518 Depth=1
	s_or_b32 exec_lo, exec_lo, s25
	v_lshlrev_b32_e32 v10, 16, v10
	v_lshlrev_b32_e32 v20, 20, v20
	v_lshl_add_u32 v21, v102, 23, 0x3c000000
	v_and_b32_e32 v10, 0x80000000, v10
	v_or3_b32 v20, v20, v10, v21
.LBB372_933:                            ;   in Loop: Header=BB372_518 Depth=1
	s_or_b32 exec_lo, exec_lo, s24
.LBB372_934:                            ;   in Loop: Header=BB372_518 Depth=1
	s_or_b32 exec_lo, exec_lo, s22
.LBB372_935:                            ;   in Loop: Header=BB372_518 Depth=1
	s_or_b32 exec_lo, exec_lo, s21
	v_and_b32_sdwa v10, v19, v38 dst_sel:DWORD dst_unused:UNUSED_PAD src0_sel:WORD_1 src1_sel:DWORD
	v_mov_b32_e32 v103, 0
	v_mov_b32_e32 v104, 0
	s_mov_b32 s21, exec_lo
	v_cmpx_ne_u16_e32 0, v10
	s_cbranch_execz .LBB372_943
; %bb.936:                              ;   in Loop: Header=BB372_518 Depth=1
	v_bfrev_b32_e32 v104, 1
	s_mov_b32 s22, exec_lo
	v_cmpx_ne_u16_e32 0x80, v10
	s_cbranch_execz .LBB372_942
; %bb.937:                              ;   in Loop: Header=BB372_518 Depth=1
	v_bfe_u32 v102, v19, 16, 7
	v_mov_b32_e32 v104, 0x7f800001
	s_mov_b32 s24, exec_lo
	v_cmpx_ne_u32_e32 0x7f, v102
	s_cbranch_execz .LBB372_941
; %bb.938:                              ;   in Loop: Header=BB372_518 Depth=1
	v_and_b32_sdwa v10, v19, v39 dst_sel:DWORD dst_unused:UNUSED_PAD src0_sel:WORD_1 src1_sel:DWORD
	v_lshrrev_b32_e32 v21, 3, v102
	s_mov_b32 s25, exec_lo
	v_cmpx_gt_u32_e32 8, v102
; %bb.939:                              ;   in Loop: Header=BB372_518 Depth=1
	v_ffbh_u32_e32 v21, v10
	v_min_u32_e32 v21, 32, v21
	v_subrev_nc_u32_e32 v102, 28, v21
	v_sub_nc_u32_e32 v21, 29, v21
	v_lshlrev_b64 v[104:105], v102, v[10:11]
	v_and_b32_e32 v10, 7, v104
; %bb.940:                              ;   in Loop: Header=BB372_518 Depth=1
	s_or_b32 exec_lo, exec_lo, s25
	v_lshlrev_b32_sdwa v102, v40, v19 dst_sel:DWORD dst_unused:UNUSED_PAD src0_sel:DWORD src1_sel:WORD_1
	v_lshlrev_b32_e32 v10, 20, v10
	v_lshl_add_u32 v21, v21, 23, 0x3c000000
	v_and_b32_e32 v102, 0x80000000, v102
	v_or3_b32 v104, v10, v102, v21
.LBB372_941:                            ;   in Loop: Header=BB372_518 Depth=1
	s_or_b32 exec_lo, exec_lo, s24
.LBB372_942:                            ;   in Loop: Header=BB372_518 Depth=1
	s_or_b32 exec_lo, exec_lo, s22
.LBB372_943:                            ;   in Loop: Header=BB372_518 Depth=1
	s_or_b32 exec_lo, exec_lo, s21
	s_mov_b32 s21, exec_lo
	v_cmpx_lt_u64_e64 s[4:5], v[18:19]
	s_cbranch_execz .LBB372_951
; %bb.944:                              ;   in Loop: Header=BB372_518 Depth=1
	v_cmp_ne_u32_sdwa s0, v19, v36 src0_sel:BYTE_3 src1_sel:DWORD
	v_bfrev_b32_e32 v103, 1
	s_and_saveexec_b32 s22, s0
	s_cbranch_execz .LBB372_950
; %bb.945:                              ;   in Loop: Header=BB372_518 Depth=1
	v_bfe_u32 v21, v19, 24, 7
	v_mov_b32_e32 v103, 0x7f800001
	s_mov_b32 s24, exec_lo
	v_cmpx_ne_u32_e32 0x7f, v21
	s_cbranch_execz .LBB372_949
; %bb.946:                              ;   in Loop: Header=BB372_518 Depth=1
	v_and_b32_sdwa v10, v19, v39 dst_sel:DWORD dst_unused:UNUSED_PAD src0_sel:BYTE_3 src1_sel:DWORD
	v_lshrrev_b32_e32 v18, 3, v21
	s_mov_b32 s25, exec_lo
	v_cmpx_gt_u32_e32 8, v21
; %bb.947:                              ;   in Loop: Header=BB372_518 Depth=1
	v_ffbh_u32_e32 v18, v10
	v_min_u32_e32 v18, 32, v18
	v_subrev_nc_u32_e32 v21, 28, v18
	v_sub_nc_u32_e32 v18, 29, v18
	v_lshlrev_b64 v[102:103], v21, v[10:11]
	v_and_b32_e32 v10, 7, v102
; %bb.948:                              ;   in Loop: Header=BB372_518 Depth=1
	s_or_b32 exec_lo, exec_lo, s25
	v_lshlrev_b32_sdwa v19, v40, v19 dst_sel:DWORD dst_unused:UNUSED_PAD src0_sel:DWORD src1_sel:BYTE_3
	v_lshlrev_b32_e32 v10, 20, v10
	v_lshl_add_u32 v18, v18, 23, 0x3c000000
	v_and_b32_e32 v19, 0x80000000, v19
	v_or3_b32 v103, v10, v19, v18
.LBB372_949:                            ;   in Loop: Header=BB372_518 Depth=1
	s_or_b32 exec_lo, exec_lo, s24
.LBB372_950:                            ;   in Loop: Header=BB372_518 Depth=1
	s_or_b32 exec_lo, exec_lo, s22
.LBB372_951:                            ;   in Loop: Header=BB372_518 Depth=1
	s_or_b32 exec_lo, exec_lo, s21
	v_mul_f32_e32 v10, s18, v20
	v_mul_f32_e32 v18, s18, v101
	;; [unrolled: 1-line block ×4, first 2 shown]
	v_bfe_u32 v21, v10, 16, 1
	v_or_b32_e32 v97, 0x400000, v10
	v_bfe_u32 v100, v18, 16, 1
	v_cmp_u_f32_e64 s0, v10, v10
	v_or_b32_e32 v101, 0x400000, v18
	v_add3_u32 v21, v21, v10, 0x7fff
	v_bfe_u32 v102, v19, 16, 1
	v_add3_u32 v100, v100, v18, 0x7fff
	v_or_b32_e32 v105, 0x400000, v19
	v_bfe_u32 v106, v20, 16, 1
	v_cndmask_b32_e64 v10, v21, v97, s0
	v_cmp_u_f32_e64 s0, v18, v18
	v_add3_u32 v102, v102, v19, 0x7fff
	v_lshrrev_b32_e32 v97, 16, v10
	v_cndmask_b32_e64 v18, v100, v101, s0
	v_cmp_u_f32_e64 s0, v19, v19
	v_mul_f32_e32 v10, s18, v99
	v_add3_u32 v99, v106, v20, 0x7fff
	v_or_b32_e32 v100, 0x400000, v20
	v_lshrrev_b32_e32 v21, 16, v18
	v_cndmask_b32_e64 v19, v102, v105, s0
	v_bfe_u32 v18, v10, 16, 1
	v_cmp_u_f32_e64 s0, v20, v20
	v_mul_f32_e32 v20, s18, v98
	v_mul_f32_e32 v98, s18, v104
	v_lshrrev_b32_e32 v102, 16, v19
	v_add3_u32 v18, v18, v10, 0x7fff
	v_cndmask_b32_e64 v19, v99, v100, s0
	v_or_b32_e32 v99, 0x400000, v10
	v_bfe_u32 v101, v20, 16, 1
	v_cmp_u_f32_e64 s0, v10, v10
	v_mul_f32_e32 v100, s18, v103
	v_bfe_u32 v103, v98, 16, 1
	v_or_b32_e32 v104, 0x400000, v98
	v_cndmask_b32_e64 v10, v18, v99, s0
	v_add3_u32 v99, v101, v20, 0x7fff
	v_or_b32_e32 v101, 0x400000, v20
	v_cmp_u_f32_e64 s0, v20, v20
	v_bfe_u32 v18, v100, 16, 1
	v_add3_u32 v103, v103, v98, 0x7fff
	v_or_b32_e32 v105, 0x400000, v100
	v_cndmask_b32_e64 v20, v99, v101, s0
	v_cmp_u_f32_e64 s0, v98, v98
	v_add3_u32 v18, v18, v100, 0x7fff
	v_cndmask_b32_e64 v98, v103, v104, s0
	v_cmp_u_f32_e64 s0, v100, v100
	v_lshrrev_b32_e32 v103, 16, v19
	v_lshrrev_b32_e32 v104, 16, v20
	;; [unrolled: 1-line block ×3, first 2 shown]
	v_cndmask_b32_e64 v18, v18, v105, s0
	v_lshrrev_b32_e32 v105, 16, v10
	v_lshrrev_b32_e32 v101, 16, v18
	s_and_saveexec_b32 s21, vcc_lo
	s_cbranch_execz .LBB372_953
; %bb.952:                              ;   in Loop: Header=BB372_518 Depth=1
	v_cmp_gt_i32_e64 s0, s31, v52
	v_cndmask_b32_e64 v104, 0, v104, s0
	v_cmp_gt_i32_e64 s0, s31, v64
	v_cndmask_b32_e64 v105, 0, v105, s0
	v_cmp_gt_i32_e64 s0, s31, v63
	v_cndmask_b32_e64 v103, 0, v103, s0
	v_cmp_gt_i32_e64 s0, s31, v62
	v_cndmask_b32_e64 v102, 0, v102, s0
	v_cmp_gt_i32_e64 s0, s31, v61
	v_cndmask_b32_e64 v21, 0, v21, s0
	v_cmp_gt_i32_e64 s0, s31, v60
	v_cndmask_b32_e64 v97, 0, v97, s0
	v_cmp_gt_i32_e64 s0, s31, v59
	v_cndmask_b32_e64 v100, 0, v100, s0
	v_cmp_gt_i32_e64 s0, s31, v58
	v_cndmask_b32_e64 v101, 0, v101, s0
.LBB372_953:                            ;   in Loop: Header=BB372_518 Depth=1
	s_or_b32 exec_lo, exec_lo, s21
	global_load_dwordx2 v[16:17], v[16:17], off offset:1792
	v_mov_b32_e32 v98, 0
	v_mov_b32_e32 v20, 0
	s_waitcnt vmcnt(0)
	v_cmp_ne_u16_sdwa s0, v16, v11 src0_sel:BYTE_0 src1_sel:DWORD
	s_and_saveexec_b32 s21, s0
	s_cbranch_execz .LBB372_959
; %bb.954:                              ;   in Loop: Header=BB372_518 Depth=1
	v_cmp_ne_u16_sdwa s0, v16, v36 src0_sel:BYTE_0 src1_sel:DWORD
	v_bfrev_b32_e32 v20, 1
	s_and_saveexec_b32 s22, s0
	s_cbranch_execz .LBB372_958
; %bb.955:                              ;   in Loop: Header=BB372_518 Depth=1
	v_and_b32_e32 v10, 0x7f, v16
	v_mov_b32_e32 v20, 0x7f800001
	s_mov_b32 s24, exec_lo
	v_cmpx_ne_u32_e32 0x7f, v10
	s_cbranch_execz .LBB372_957
; %bb.956:                              ;   in Loop: Header=BB372_518 Depth=1
	v_and_b32_e32 v18, 7, v16
	v_lshrrev_b32_e32 v19, 3, v10
	v_cmp_gt_u32_e64 s0, 8, v10
	v_ffbh_u32_e32 v18, v18
	v_min_u32_e32 v18, 32, v18
	v_subrev_nc_u32_e32 v20, 28, v18
	v_sub_nc_u32_e32 v18, 29, v18
	v_cndmask_b32_e64 v10, v19, v18, s0
	v_cndmask_b32_e64 v18, 0, v20, s0
	v_lshl_add_u32 v10, v10, 23, 0x3c000000
	v_lshlrev_b64 v[18:19], v18, v[16:17]
	v_lshlrev_b32_e32 v19, 24, v16
	v_lshlrev_b32_e32 v18, 20, v18
	v_and_b32_e32 v19, 0x80000000, v19
	v_and_b32_e32 v18, 0x700000, v18
	v_or3_b32 v20, v18, v19, v10
.LBB372_957:                            ;   in Loop: Header=BB372_518 Depth=1
	s_or_b32 exec_lo, exec_lo, s24
.LBB372_958:                            ;   in Loop: Header=BB372_518 Depth=1
	s_or_b32 exec_lo, exec_lo, s22
.LBB372_959:                            ;   in Loop: Header=BB372_518 Depth=1
	s_or_b32 exec_lo, exec_lo, s21
	v_cmp_ne_u16_sdwa s0, v16, v11 src0_sel:BYTE_1 src1_sel:DWORD
	s_and_saveexec_b32 s21, s0
	s_cbranch_execz .LBB372_967
; %bb.960:                              ;   in Loop: Header=BB372_518 Depth=1
	v_cmp_ne_u16_sdwa s0, v16, v36 src0_sel:BYTE_1 src1_sel:DWORD
	v_bfrev_b32_e32 v98, 1
	s_and_saveexec_b32 s22, s0
	s_cbranch_execz .LBB372_966
; %bb.961:                              ;   in Loop: Header=BB372_518 Depth=1
	v_and_b32_sdwa v10, v37, v16 dst_sel:DWORD dst_unused:UNUSED_PAD src0_sel:DWORD src1_sel:BYTE_1
	v_mov_b32_e32 v98, 0x7f800001
	s_mov_b32 s24, exec_lo
	v_and_b32_e32 v19, 0x7f, v10
	v_cmpx_ne_u32_e32 0x7f, v19
	s_cbranch_execz .LBB372_965
; %bb.962:                              ;   in Loop: Header=BB372_518 Depth=1
	v_and_b32_e32 v10, 7, v10
	v_lshrrev_b32_e32 v18, 3, v19
	s_mov_b32 s25, exec_lo
	v_cmpx_gt_u32_e32 8, v19
; %bb.963:                              ;   in Loop: Header=BB372_518 Depth=1
	v_ffbh_u32_e32 v18, v10
	v_min_u32_e32 v18, 32, v18
	v_subrev_nc_u32_e32 v19, 28, v18
	v_sub_nc_u32_e32 v18, 29, v18
	v_lshlrev_b64 v[98:99], v19, v[10:11]
	v_and_b32_e32 v10, 7, v98
; %bb.964:                              ;   in Loop: Header=BB372_518 Depth=1
	s_or_b32 exec_lo, exec_lo, s25
	v_lshlrev_b32_e32 v19, 16, v16
	v_lshlrev_b32_e32 v10, 20, v10
	v_lshl_add_u32 v18, v18, 23, 0x3c000000
	v_and_b32_e32 v19, 0x80000000, v19
	v_or3_b32 v98, v10, v19, v18
.LBB372_965:                            ;   in Loop: Header=BB372_518 Depth=1
	s_or_b32 exec_lo, exec_lo, s24
.LBB372_966:                            ;   in Loop: Header=BB372_518 Depth=1
	s_or_b32 exec_lo, exec_lo, s22
.LBB372_967:                            ;   in Loop: Header=BB372_518 Depth=1
	s_or_b32 exec_lo, exec_lo, s21
	v_and_b32_sdwa v10, v16, v38 dst_sel:DWORD dst_unused:UNUSED_PAD src0_sel:WORD_1 src1_sel:DWORD
	v_mov_b32_e32 v106, 0
	v_mov_b32_e32 v99, 0
	s_mov_b32 s21, exec_lo
	v_cmpx_ne_u16_e32 0, v10
	s_cbranch_execz .LBB372_975
; %bb.968:                              ;   in Loop: Header=BB372_518 Depth=1
	v_bfrev_b32_e32 v99, 1
	s_mov_b32 s22, exec_lo
	v_cmpx_ne_u16_e32 0x80, v10
	s_cbranch_execz .LBB372_974
; %bb.969:                              ;   in Loop: Header=BB372_518 Depth=1
	v_bfe_u32 v19, v16, 16, 7
	v_mov_b32_e32 v99, 0x7f800001
	s_mov_b32 s24, exec_lo
	v_cmpx_ne_u32_e32 0x7f, v19
	s_cbranch_execz .LBB372_973
; %bb.970:                              ;   in Loop: Header=BB372_518 Depth=1
	v_and_b32_sdwa v10, v16, v39 dst_sel:DWORD dst_unused:UNUSED_PAD src0_sel:WORD_1 src1_sel:DWORD
	v_lshrrev_b32_e32 v18, 3, v19
	s_mov_b32 s25, exec_lo
	v_cmpx_gt_u32_e32 8, v19
; %bb.971:                              ;   in Loop: Header=BB372_518 Depth=1
	v_ffbh_u32_e32 v18, v10
	v_min_u32_e32 v18, 32, v18
	v_subrev_nc_u32_e32 v19, 28, v18
	v_sub_nc_u32_e32 v18, 29, v18
	v_lshlrev_b64 v[107:108], v19, v[10:11]
	v_and_b32_e32 v10, 7, v107
; %bb.972:                              ;   in Loop: Header=BB372_518 Depth=1
	s_or_b32 exec_lo, exec_lo, s25
	v_lshlrev_b32_sdwa v19, v40, v16 dst_sel:DWORD dst_unused:UNUSED_PAD src0_sel:DWORD src1_sel:WORD_1
	v_lshlrev_b32_e32 v10, 20, v10
	v_lshl_add_u32 v18, v18, 23, 0x3c000000
	v_and_b32_e32 v19, 0x80000000, v19
	v_or3_b32 v99, v10, v19, v18
.LBB372_973:                            ;   in Loop: Header=BB372_518 Depth=1
	s_or_b32 exec_lo, exec_lo, s24
.LBB372_974:                            ;   in Loop: Header=BB372_518 Depth=1
	s_or_b32 exec_lo, exec_lo, s22
.LBB372_975:                            ;   in Loop: Header=BB372_518 Depth=1
	s_or_b32 exec_lo, exec_lo, s21
	s_mov_b32 s21, exec_lo
	v_cmpx_lt_u32_e32 0xffffff, v16
	s_cbranch_execz .LBB372_983
; %bb.976:                              ;   in Loop: Header=BB372_518 Depth=1
	v_cmp_ne_u32_sdwa s0, v16, v36 src0_sel:BYTE_3 src1_sel:DWORD
	v_bfrev_b32_e32 v106, 1
	s_and_saveexec_b32 s22, s0
	s_cbranch_execz .LBB372_982
; %bb.977:                              ;   in Loop: Header=BB372_518 Depth=1
	v_bfe_u32 v19, v16, 24, 7
	v_mov_b32_e32 v106, 0x7f800001
	s_mov_b32 s24, exec_lo
	v_cmpx_ne_u32_e32 0x7f, v19
	s_cbranch_execz .LBB372_981
; %bb.978:                              ;   in Loop: Header=BB372_518 Depth=1
	v_and_b32_sdwa v10, v16, v39 dst_sel:DWORD dst_unused:UNUSED_PAD src0_sel:BYTE_3 src1_sel:DWORD
	v_lshrrev_b32_e32 v18, 3, v19
	s_mov_b32 s25, exec_lo
	v_cmpx_gt_u32_e32 8, v19
; %bb.979:                              ;   in Loop: Header=BB372_518 Depth=1
	v_ffbh_u32_e32 v18, v10
	v_min_u32_e32 v18, 32, v18
	v_subrev_nc_u32_e32 v19, 28, v18
	v_sub_nc_u32_e32 v18, 29, v18
	v_lshlrev_b64 v[106:107], v19, v[10:11]
	v_and_b32_e32 v10, 7, v106
; %bb.980:                              ;   in Loop: Header=BB372_518 Depth=1
	s_or_b32 exec_lo, exec_lo, s25
	v_lshlrev_b32_sdwa v19, v40, v16 dst_sel:DWORD dst_unused:UNUSED_PAD src0_sel:DWORD src1_sel:BYTE_3
	v_lshlrev_b32_e32 v10, 20, v10
	v_lshl_add_u32 v18, v18, 23, 0x3c000000
	v_and_b32_e32 v19, 0x80000000, v19
	v_or3_b32 v106, v10, v19, v18
.LBB372_981:                            ;   in Loop: Header=BB372_518 Depth=1
	s_or_b32 exec_lo, exec_lo, s24
.LBB372_982:                            ;   in Loop: Header=BB372_518 Depth=1
	s_or_b32 exec_lo, exec_lo, s22
.LBB372_983:                            ;   in Loop: Header=BB372_518 Depth=1
	s_or_b32 exec_lo, exec_lo, s21
	v_mov_b32_e32 v10, v17
	v_cmp_ne_u16_sdwa s0, v17, v11 src0_sel:BYTE_0 src1_sel:DWORD
	v_mov_b32_e32 v18, 0
	v_mov_b32_e32 v107, 0
	s_and_saveexec_b32 s21, s0
	s_cbranch_execz .LBB372_989
; %bb.984:                              ;   in Loop: Header=BB372_518 Depth=1
	v_cmp_ne_u16_sdwa s0, v17, v36 src0_sel:BYTE_0 src1_sel:DWORD
	v_bfrev_b32_e32 v107, 1
	s_and_saveexec_b32 s22, s0
	s_cbranch_execz .LBB372_988
; %bb.985:                              ;   in Loop: Header=BB372_518 Depth=1
	v_and_b32_e32 v19, 0x7f, v17
	v_mov_b32_e32 v107, 0x7f800001
	s_mov_b32 s24, exec_lo
	v_cmpx_ne_u32_e32 0x7f, v19
	s_cbranch_execz .LBB372_987
; %bb.986:                              ;   in Loop: Header=BB372_518 Depth=1
	v_and_b32_e32 v107, 7, v17
	v_lshrrev_b32_e32 v108, 3, v19
	v_cmp_gt_u32_e64 s0, 8, v19
	v_ffbh_u32_e32 v107, v107
	v_min_u32_e32 v107, 32, v107
	v_subrev_nc_u32_e32 v109, 28, v107
	v_sub_nc_u32_e32 v107, 29, v107
	v_cndmask_b32_e64 v19, v108, v107, s0
	v_cndmask_b32_e64 v107, 0, v109, s0
	v_lshl_add_u32 v19, v19, 23, 0x3c000000
	v_lshlrev_b64 v[107:108], v107, v[10:11]
	v_lshlrev_b32_e32 v108, 24, v10
	v_lshlrev_b32_e32 v107, 20, v107
	v_and_b32_e32 v108, 0x80000000, v108
	v_and_b32_e32 v107, 0x700000, v107
	v_or3_b32 v107, v107, v108, v19
.LBB372_987:                            ;   in Loop: Header=BB372_518 Depth=1
	s_or_b32 exec_lo, exec_lo, s24
.LBB372_988:                            ;   in Loop: Header=BB372_518 Depth=1
	s_or_b32 exec_lo, exec_lo, s22
.LBB372_989:                            ;   in Loop: Header=BB372_518 Depth=1
	s_or_b32 exec_lo, exec_lo, s21
	v_cmp_ne_u16_sdwa s0, v10, v11 src0_sel:BYTE_1 src1_sel:DWORD
	s_and_saveexec_b32 s21, s0
	s_cbranch_execz .LBB372_997
; %bb.990:                              ;   in Loop: Header=BB372_518 Depth=1
	v_cmp_ne_u16_sdwa s0, v10, v36 src0_sel:BYTE_1 src1_sel:DWORD
	v_bfrev_b32_e32 v18, 1
	s_and_saveexec_b32 s22, s0
	s_cbranch_execz .LBB372_996
; %bb.991:                              ;   in Loop: Header=BB372_518 Depth=1
	v_and_b32_sdwa v19, v37, v10 dst_sel:DWORD dst_unused:UNUSED_PAD src0_sel:DWORD src1_sel:BYTE_1
	v_mov_b32_e32 v18, 0x7f800001
	s_mov_b32 s24, exec_lo
	v_and_b32_e32 v109, 0x7f, v19
	v_cmpx_ne_u32_e32 0x7f, v109
	s_cbranch_execz .LBB372_995
; %bb.992:                              ;   in Loop: Header=BB372_518 Depth=1
	v_and_b32_e32 v18, 7, v19
	v_mov_b32_e32 v19, v11
	v_lshrrev_b32_e32 v108, 3, v109
	s_mov_b32 s25, exec_lo
	v_cmpx_gt_u32_e32 8, v109
; %bb.993:                              ;   in Loop: Header=BB372_518 Depth=1
	v_ffbh_u32_e32 v108, v18
	v_min_u32_e32 v108, 32, v108
	v_subrev_nc_u32_e32 v109, 28, v108
	v_sub_nc_u32_e32 v108, 29, v108
	v_lshlrev_b64 v[18:19], v109, v[18:19]
	v_and_b32_e32 v18, 7, v18
; %bb.994:                              ;   in Loop: Header=BB372_518 Depth=1
	s_or_b32 exec_lo, exec_lo, s25
	v_lshlrev_b32_e32 v10, 16, v10
	v_lshlrev_b32_e32 v18, 20, v18
	v_lshl_add_u32 v19, v108, 23, 0x3c000000
	v_and_b32_e32 v10, 0x80000000, v10
	v_or3_b32 v18, v18, v10, v19
.LBB372_995:                            ;   in Loop: Header=BB372_518 Depth=1
	s_or_b32 exec_lo, exec_lo, s24
.LBB372_996:                            ;   in Loop: Header=BB372_518 Depth=1
	s_or_b32 exec_lo, exec_lo, s22
.LBB372_997:                            ;   in Loop: Header=BB372_518 Depth=1
	s_or_b32 exec_lo, exec_lo, s21
	v_and_b32_sdwa v10, v17, v38 dst_sel:DWORD dst_unused:UNUSED_PAD src0_sel:WORD_1 src1_sel:DWORD
	v_mov_b32_e32 v19, 0
	v_mov_b32_e32 v108, 0
	s_mov_b32 s21, exec_lo
	v_cmpx_ne_u16_e32 0, v10
	s_cbranch_execz .LBB372_1005
; %bb.998:                              ;   in Loop: Header=BB372_518 Depth=1
	v_bfrev_b32_e32 v108, 1
	s_mov_b32 s22, exec_lo
	v_cmpx_ne_u16_e32 0x80, v10
	s_cbranch_execz .LBB372_1004
; %bb.999:                              ;   in Loop: Header=BB372_518 Depth=1
	v_bfe_u32 v109, v17, 16, 7
	v_mov_b32_e32 v108, 0x7f800001
	s_mov_b32 s24, exec_lo
	v_cmpx_ne_u32_e32 0x7f, v109
	s_cbranch_execz .LBB372_1003
; %bb.1000:                             ;   in Loop: Header=BB372_518 Depth=1
	v_and_b32_sdwa v10, v17, v39 dst_sel:DWORD dst_unused:UNUSED_PAD src0_sel:WORD_1 src1_sel:DWORD
	v_lshrrev_b32_e32 v108, 3, v109
	s_mov_b32 s25, exec_lo
	v_cmpx_gt_u32_e32 8, v109
; %bb.1001:                             ;   in Loop: Header=BB372_518 Depth=1
	v_ffbh_u32_e32 v108, v10
	v_min_u32_e32 v108, 32, v108
	v_subrev_nc_u32_e32 v109, 28, v108
	v_sub_nc_u32_e32 v108, 29, v108
	v_lshlrev_b64 v[109:110], v109, v[10:11]
	v_and_b32_e32 v10, 7, v109
; %bb.1002:                             ;   in Loop: Header=BB372_518 Depth=1
	s_or_b32 exec_lo, exec_lo, s25
	v_lshlrev_b32_sdwa v109, v40, v17 dst_sel:DWORD dst_unused:UNUSED_PAD src0_sel:DWORD src1_sel:WORD_1
	v_lshlrev_b32_e32 v10, 20, v10
	v_lshl_add_u32 v108, v108, 23, 0x3c000000
	v_and_b32_e32 v109, 0x80000000, v109
	v_or3_b32 v108, v10, v109, v108
.LBB372_1003:                           ;   in Loop: Header=BB372_518 Depth=1
	s_or_b32 exec_lo, exec_lo, s24
.LBB372_1004:                           ;   in Loop: Header=BB372_518 Depth=1
	s_or_b32 exec_lo, exec_lo, s22
.LBB372_1005:                           ;   in Loop: Header=BB372_518 Depth=1
	s_or_b32 exec_lo, exec_lo, s21
	s_mov_b32 s21, exec_lo
	v_cmpx_lt_u64_e64 s[4:5], v[16:17]
	s_cbranch_execz .LBB372_1013
; %bb.1006:                             ;   in Loop: Header=BB372_518 Depth=1
	v_cmp_ne_u32_sdwa s0, v17, v36 src0_sel:BYTE_3 src1_sel:DWORD
	v_bfrev_b32_e32 v19, 1
	s_and_saveexec_b32 s22, s0
	s_cbranch_execz .LBB372_1012
; %bb.1007:                             ;   in Loop: Header=BB372_518 Depth=1
	v_bfe_u32 v109, v17, 24, 7
	v_mov_b32_e32 v19, 0x7f800001
	s_mov_b32 s24, exec_lo
	v_cmpx_ne_u32_e32 0x7f, v109
	s_cbranch_execz .LBB372_1011
; %bb.1008:                             ;   in Loop: Header=BB372_518 Depth=1
	v_and_b32_sdwa v10, v17, v39 dst_sel:DWORD dst_unused:UNUSED_PAD src0_sel:BYTE_3 src1_sel:DWORD
	v_lshrrev_b32_e32 v16, 3, v109
	s_mov_b32 s25, exec_lo
	v_cmpx_gt_u32_e32 8, v109
; %bb.1009:                             ;   in Loop: Header=BB372_518 Depth=1
	v_ffbh_u32_e32 v16, v10
	v_min_u32_e32 v16, 32, v16
	v_subrev_nc_u32_e32 v19, 28, v16
	v_sub_nc_u32_e32 v16, 29, v16
	v_lshlrev_b64 v[109:110], v19, v[10:11]
	v_and_b32_e32 v10, 7, v109
; %bb.1010:                             ;   in Loop: Header=BB372_518 Depth=1
	s_or_b32 exec_lo, exec_lo, s25
	v_lshlrev_b32_sdwa v17, v40, v17 dst_sel:DWORD dst_unused:UNUSED_PAD src0_sel:DWORD src1_sel:BYTE_3
	v_lshlrev_b32_e32 v10, 20, v10
	v_lshl_add_u32 v16, v16, 23, 0x3c000000
	v_and_b32_e32 v17, 0x80000000, v17
	v_or3_b32 v19, v10, v17, v16
.LBB372_1011:                           ;   in Loop: Header=BB372_518 Depth=1
	s_or_b32 exec_lo, exec_lo, s24
.LBB372_1012:                           ;   in Loop: Header=BB372_518 Depth=1
	s_or_b32 exec_lo, exec_lo, s22
.LBB372_1013:                           ;   in Loop: Header=BB372_518 Depth=1
	s_or_b32 exec_lo, exec_lo, s21
	v_mul_f32_e32 v10, s18, v18
	v_mul_f32_e32 v16, s18, v107
	;; [unrolled: 1-line block ×5, first 2 shown]
	v_bfe_u32 v99, v10, 16, 1
	v_or_b32_e32 v106, 0x400000, v10
	v_bfe_u32 v107, v16, 16, 1
	v_cmp_u_f32_e64 s0, v10, v10
	v_or_b32_e32 v109, 0x400000, v16
	v_add3_u32 v99, v99, v10, 0x7fff
	v_bfe_u32 v110, v17, 16, 1
	v_add3_u32 v107, v107, v16, 0x7fff
	v_or_b32_e32 v111, 0x400000, v17
	v_bfe_u32 v112, v18, 16, 1
	v_cndmask_b32_e64 v10, v99, v106, s0
	v_cmp_u_f32_e64 s0, v16, v16
	v_add3_u32 v110, v110, v17, 0x7fff
	v_or_b32_e32 v106, 0x400000, v18
	v_add3_u32 v99, v112, v18, 0x7fff
	v_mul_f32_e32 v20, s18, v20
	v_cndmask_b32_e64 v16, v107, v109, s0
	v_cmp_u_f32_e64 s0, v17, v17
	v_bfe_u32 v107, v98, 16, 1
	v_mul_f32_e32 v19, s18, v19
	v_lshrrev_b32_e32 v10, 16, v10
	v_lshrrev_b32_e32 v16, 16, v16
	v_cndmask_b32_e64 v17, v110, v111, s0
	v_cmp_u_f32_e64 s0, v18, v18
	v_or_b32_e32 v111, 0x400000, v19
	v_lshrrev_b32_e32 v17, 16, v17
	v_cndmask_b32_e64 v18, v99, v106, s0
	v_mul_f32_e32 v99, s18, v108
	v_add3_u32 v106, v107, v98, 0x7fff
	v_or_b32_e32 v107, 0x400000, v98
	v_bfe_u32 v108, v20, 16, 1
	v_cmp_u_f32_e64 s0, v98, v98
	v_bfe_u32 v109, v99, 16, 1
	v_or_b32_e32 v110, 0x400000, v99
	v_cndmask_b32_e64 v98, v106, v107, s0
	v_add3_u32 v107, v108, v20, 0x7fff
	v_or_b32_e32 v108, 0x400000, v20
	v_cmp_u_f32_e64 s0, v20, v20
	v_bfe_u32 v106, v19, 16, 1
	v_add3_u32 v109, v109, v99, 0x7fff
	v_lshrrev_b32_e32 v20, 16, v18
	v_lshrrev_b32_e32 v98, 16, v98
	v_cndmask_b32_e64 v107, v107, v108, s0
	v_cmp_u_f32_e64 s0, v99, v99
	v_add3_u32 v106, v106, v19, 0x7fff
	v_lshrrev_b32_e32 v99, 16, v107
	v_cndmask_b32_e64 v108, v109, v110, s0
	v_cmp_u_f32_e64 s0, v19, v19
	v_lshrrev_b32_e32 v19, 16, v108
	v_cndmask_b32_e64 v106, v106, v111, s0
	v_lshrrev_b32_e32 v18, 16, v106
	s_and_saveexec_b32 s0, vcc_lo
	s_cbranch_execz .LBB372_516
; %bb.1014:                             ;   in Loop: Header=BB372_518 Depth=1
	v_cmp_gt_i32_e32 vcc_lo, s31, v52
	v_cndmask_b32_e32 v99, 0, v99, vcc_lo
	v_cmp_gt_i32_e32 vcc_lo, s31, v64
	v_cndmask_b32_e32 v98, 0, v98, vcc_lo
	;; [unrolled: 2-line block ×8, first 2 shown]
	s_branch .LBB372_516
.LBB372_1015:
	s_or_b32 exec_lo, exec_lo, s13
.LBB372_1016:
	s_or_b32 exec_lo, exec_lo, s1
	ds_bpermute_b32 v7, v26, v28
	ds_bpermute_b32 v6, v26, v29
	;; [unrolled: 1-line block ×8, first 2 shown]
	v_and_b32_e32 v21, 0x3c3, v113
	s_mov_b32 s0, exec_lo
	s_waitcnt lgkmcnt(7)
	v_add_f32_e32 v14, v28, v7
	buffer_load_dword v7, off, s[56:59], 0  ; 4-byte Folded Reload
	s_waitcnt lgkmcnt(6)
	v_add_f32_e32 v13, v29, v6
	s_waitcnt lgkmcnt(5)
	v_add_f32_e32 v0, v35, v0
	;; [unrolled: 2-line block ×7, first 2 shown]
	ds_bpermute_b32 v4, v25, v0
	ds_bpermute_b32 v5, v25, v1
	;; [unrolled: 1-line block ×8, first 2 shown]
	s_waitcnt vmcnt(0)
	v_and_b32_e32 v6, 28, v7
	v_lshrrev_b32_e32 v8, 2, v7
	buffer_load_dword v7, off, s[56:59], 0 offset:104 ; 4-byte Folded Reload
	s_waitcnt vmcnt(0) lgkmcnt(0)
	s_waitcnt_vscnt null, 0x0
	s_barrier
	v_add_nc_u32_e32 v9, 0xa0, v6
	v_add_f32_e32 v6, v1, v5
	v_add_f32_e32 v5, v2, v15
	;; [unrolled: 1-line block ×4, first 2 shown]
	buffer_gl0_inv
	v_lshlrev_b32_e32 v10, 8, v7
	v_add_f32_e32 v7, v0, v4
	v_add_f32_e32 v4, v3, v16
	;; [unrolled: 1-line block ×4, first 2 shown]
	v_cmpx_eq_u32_e32 64, v21
	s_cbranch_execz .LBB372_1018
; %bb.1017:
	v_add_nc_u32_e32 v11, v9, v10
	v_add_nc_u32_e32 v12, 0xfffffe00, v11
	;; [unrolled: 1-line block ×9, first 2 shown]
	ds_write_b32 v12, v7
	ds_write_b32 v13, v6
	;; [unrolled: 1-line block ×8, first 2 shown]
.LBB372_1018:
	s_or_b32 exec_lo, exec_lo, s0
	v_lshlrev_b32_e32 v8, 2, v8
	s_mov_b32 s1, exec_lo
	v_cmp_eq_u32_e32 vcc_lo, 0, v27
	s_waitcnt lgkmcnt(0)
	s_barrier
	v_add3_u32 v8, 0xa0, v10, v8
	buffer_gl0_inv
	v_cmpx_gt_u32_e32 64, v113
	s_cbranch_execz .LBB372_1029
; %bb.1019:
	s_and_saveexec_b32 s0, vcc_lo
	s_cbranch_execnz .LBB372_1045
; %bb.1020:
	s_or_b32 exec_lo, exec_lo, s0
	s_and_saveexec_b32 s0, vcc_lo
	s_cbranch_execnz .LBB372_1046
.LBB372_1021:
	s_or_b32 exec_lo, exec_lo, s0
	s_and_saveexec_b32 s0, vcc_lo
	s_cbranch_execnz .LBB372_1047
.LBB372_1022:
	s_or_b32 exec_lo, exec_lo, s0
	s_and_saveexec_b32 s0, vcc_lo
	s_cbranch_execnz .LBB372_1048
.LBB372_1023:
	s_or_b32 exec_lo, exec_lo, s0
	s_and_saveexec_b32 s0, vcc_lo
	s_cbranch_execnz .LBB372_1049
.LBB372_1024:
	s_or_b32 exec_lo, exec_lo, s0
	s_and_saveexec_b32 s0, vcc_lo
	s_cbranch_execnz .LBB372_1050
.LBB372_1025:
	s_or_b32 exec_lo, exec_lo, s0
	s_and_saveexec_b32 s0, vcc_lo
	s_cbranch_execnz .LBB372_1051
.LBB372_1026:
	s_or_b32 exec_lo, exec_lo, s0
	s_and_saveexec_b32 s0, vcc_lo
	s_cbranch_execz .LBB372_1028
.LBB372_1027:
	ds_read_b32 v10, v8 offset:224
	s_waitcnt lgkmcnt(0)
	v_add_f32_e32 v0, v0, v10
.LBB372_1028:
	s_or_b32 exec_lo, exec_lo, s0
.LBB372_1029:
	s_or_b32 exec_lo, exec_lo, s1
	v_and_b32_e32 v10, 0x3e3, v113
	s_mov_b32 s1, exec_lo
	s_barrier
	buffer_gl0_inv
	v_cmpx_eq_u32_e32 32, v10
	s_cbranch_execz .LBB372_1031
; %bb.1030:
	ds_write2_b32 v9, v7, v6 offset1:8
	ds_write2_b32 v9, v5, v4 offset0:16 offset1:24
	ds_write2_b32 v9, v3, v2 offset0:32 offset1:40
	;; [unrolled: 1-line block ×3, first 2 shown]
.LBB372_1031:
	s_or_b32 exec_lo, exec_lo, s1
	s_mov_b32 s1, exec_lo
	s_waitcnt lgkmcnt(0)
	s_barrier
	buffer_gl0_inv
	v_cmpx_gt_u32_e32 32, v113
	s_cbranch_execz .LBB372_1042
; %bb.1032:
	s_and_saveexec_b32 s0, vcc_lo
	s_cbranch_execnz .LBB372_1052
; %bb.1033:
	s_or_b32 exec_lo, exec_lo, s0
	s_and_saveexec_b32 s0, vcc_lo
	s_cbranch_execnz .LBB372_1053
.LBB372_1034:
	s_or_b32 exec_lo, exec_lo, s0
	s_and_saveexec_b32 s0, vcc_lo
	s_cbranch_execnz .LBB372_1054
.LBB372_1035:
	s_or_b32 exec_lo, exec_lo, s0
	s_and_saveexec_b32 s0, vcc_lo
	s_cbranch_execnz .LBB372_1055
.LBB372_1036:
	s_or_b32 exec_lo, exec_lo, s0
	s_and_saveexec_b32 s0, vcc_lo
	s_cbranch_execnz .LBB372_1056
.LBB372_1037:
	s_or_b32 exec_lo, exec_lo, s0
	s_and_saveexec_b32 s0, vcc_lo
	s_cbranch_execnz .LBB372_1057
.LBB372_1038:
	s_or_b32 exec_lo, exec_lo, s0
	s_and_saveexec_b32 s0, vcc_lo
	s_cbranch_execnz .LBB372_1058
.LBB372_1039:
	s_or_b32 exec_lo, exec_lo, s0
	s_and_saveexec_b32 s0, vcc_lo
	s_cbranch_execz .LBB372_1041
.LBB372_1040:
	ds_read_b32 v8, v8 offset:224
	s_waitcnt lgkmcnt(0)
	v_add_f32_e32 v0, v0, v8
.LBB372_1041:
	s_or_b32 exec_lo, exec_lo, s0
.LBB372_1042:
	s_or_b32 exec_lo, exec_lo, s1
	s_barrier
	buffer_gl0_inv
	s_mov_b32 s0, exec_lo
	v_cmpx_eq_u32_e32 0, v10
	s_cbranch_execz .LBB372_1044
; %bb.1043:
	s_lshl_b32 s0, s2, 6
	s_mul_i32 s2, s7, s10
	s_ashr_i32 s1, s0, 31
	v_bfe_u32 v9, v7, 16, 1
	s_lshl_b64 s[0:1], s[0:1], 1
	v_or_b32_e32 v10, 0x400000, v7
	s_add_u32 s4, s28, s0
	s_addc_u32 s5, s29, s1
	s_ashr_i32 s3, s2, 31
	v_add3_u32 v9, v9, v7, 0x7fff
	s_lshl_b64 s[0:1], s[2:3], 1
	v_bfe_u32 v11, v6, 16, 1
	s_add_u32 s2, s4, s0
	v_cmp_u_f32_e32 vcc_lo, v7, v7
	s_addc_u32 s3, s5, s1
	s_lshl_b32 s0, s8, 6
	v_lshrrev_b32_e32 v8, 1, v113
	s_ashr_i32 s1, s0, 31
	v_cndmask_b32_e32 v7, v9, v10, vcc_lo
	s_lshl_b64 s[0:1], s[0:1], 1
	v_bfe_u32 v9, v5, 16, 1
	v_add3_u32 v10, v11, v6, 0x7fff
	v_or_b32_e32 v11, 0x400000, v6
	v_cmp_u_f32_e32 vcc_lo, v6, v6
	s_add_u32 s0, s2, s0
	s_addc_u32 s1, s3, s1
	global_store_short_d16_hi v8, v7, s[0:1]
	v_add3_u32 v7, v9, v5, 0x7fff
	v_or_b32_e32 v9, 0x400000, v5
	v_cndmask_b32_e32 v6, v10, v11, vcc_lo
	v_bfe_u32 v10, v4, 16, 1
	v_cmp_u_f32_e32 vcc_lo, v5, v5
	v_or_b32_e32 v11, 0x400000, v0
	global_store_short_d16_hi v8, v6, s[0:1] offset:16
	v_add3_u32 v6, v10, v4, 0x7fff
	v_cndmask_b32_e32 v5, v7, v9, vcc_lo
	v_bfe_u32 v7, v3, 16, 1
	v_or_b32_e32 v9, 0x400000, v4
	v_cmp_u_f32_e32 vcc_lo, v4, v4
	v_or_b32_e32 v10, 0x400000, v1
	global_store_short_d16_hi v8, v5, s[0:1] offset:32
	v_add3_u32 v5, v7, v3, 0x7fff
	v_or_b32_e32 v7, 0x400000, v3
	v_cndmask_b32_e32 v4, v6, v9, vcc_lo
	v_bfe_u32 v6, v2, 16, 1
	v_cmp_u_f32_e32 vcc_lo, v3, v3
	v_bfe_u32 v9, v1, 16, 1
	v_add3_u32 v6, v6, v2, 0x7fff
	v_cndmask_b32_e32 v3, v5, v7, vcc_lo
	v_or_b32_e32 v7, 0x400000, v2
	v_cmp_u_f32_e32 vcc_lo, v2, v2
	v_bfe_u32 v5, v0, 16, 1
	v_add3_u32 v9, v9, v1, 0x7fff
	v_cndmask_b32_e32 v2, v6, v7, vcc_lo
	v_cmp_u_f32_e32 vcc_lo, v1, v1
	v_add3_u32 v5, v5, v0, 0x7fff
	v_cndmask_b32_e32 v1, v9, v10, vcc_lo
	v_cmp_u_f32_e32 vcc_lo, v0, v0
	v_cndmask_b32_e32 v0, v5, v11, vcc_lo
	global_store_short_d16_hi v8, v4, s[0:1] offset:48
	global_store_short_d16_hi v8, v3, s[0:1] offset:64
	;; [unrolled: 1-line block ×5, first 2 shown]
.LBB372_1044:
	s_endpgm
.LBB372_1045:
	ds_read_b32 v10, v8
	s_waitcnt lgkmcnt(0)
	v_add_f32_e32 v7, v7, v10
	s_or_b32 exec_lo, exec_lo, s0
	s_and_saveexec_b32 s0, vcc_lo
	s_cbranch_execz .LBB372_1021
.LBB372_1046:
	ds_read_b32 v10, v8 offset:32
	s_waitcnt lgkmcnt(0)
	v_add_f32_e32 v6, v6, v10
	s_or_b32 exec_lo, exec_lo, s0
	s_and_saveexec_b32 s0, vcc_lo
	s_cbranch_execz .LBB372_1022
.LBB372_1047:
	ds_read_b32 v10, v8 offset:64
	s_waitcnt lgkmcnt(0)
	v_add_f32_e32 v5, v5, v10
	s_or_b32 exec_lo, exec_lo, s0
	s_and_saveexec_b32 s0, vcc_lo
	s_cbranch_execz .LBB372_1023
.LBB372_1048:
	ds_read_b32 v10, v8 offset:96
	s_waitcnt lgkmcnt(0)
	v_add_f32_e32 v4, v4, v10
	s_or_b32 exec_lo, exec_lo, s0
	s_and_saveexec_b32 s0, vcc_lo
	s_cbranch_execz .LBB372_1024
.LBB372_1049:
	ds_read_b32 v10, v8 offset:128
	s_waitcnt lgkmcnt(0)
	v_add_f32_e32 v3, v3, v10
	s_or_b32 exec_lo, exec_lo, s0
	s_and_saveexec_b32 s0, vcc_lo
	s_cbranch_execz .LBB372_1025
.LBB372_1050:
	ds_read_b32 v10, v8 offset:160
	s_waitcnt lgkmcnt(0)
	v_add_f32_e32 v2, v2, v10
	s_or_b32 exec_lo, exec_lo, s0
	s_and_saveexec_b32 s0, vcc_lo
	s_cbranch_execz .LBB372_1026
.LBB372_1051:
	ds_read_b32 v10, v8 offset:192
	s_waitcnt lgkmcnt(0)
	v_add_f32_e32 v1, v1, v10
	s_or_b32 exec_lo, exec_lo, s0
	s_and_saveexec_b32 s0, vcc_lo
	s_cbranch_execnz .LBB372_1027
	s_branch .LBB372_1028
.LBB372_1052:
	ds_read_b32 v9, v8
	s_waitcnt lgkmcnt(0)
	v_add_f32_e32 v7, v7, v9
	s_or_b32 exec_lo, exec_lo, s0
	s_and_saveexec_b32 s0, vcc_lo
	s_cbranch_execz .LBB372_1034
.LBB372_1053:
	ds_read_b32 v9, v8 offset:32
	s_waitcnt lgkmcnt(0)
	v_add_f32_e32 v6, v6, v9
	s_or_b32 exec_lo, exec_lo, s0
	s_and_saveexec_b32 s0, vcc_lo
	s_cbranch_execz .LBB372_1035
.LBB372_1054:
	ds_read_b32 v9, v8 offset:64
	s_waitcnt lgkmcnt(0)
	v_add_f32_e32 v5, v5, v9
	s_or_b32 exec_lo, exec_lo, s0
	s_and_saveexec_b32 s0, vcc_lo
	s_cbranch_execz .LBB372_1036
.LBB372_1055:
	ds_read_b32 v9, v8 offset:96
	s_waitcnt lgkmcnt(0)
	v_add_f32_e32 v4, v4, v9
	s_or_b32 exec_lo, exec_lo, s0
	s_and_saveexec_b32 s0, vcc_lo
	s_cbranch_execz .LBB372_1037
.LBB372_1056:
	ds_read_b32 v9, v8 offset:128
	s_waitcnt lgkmcnt(0)
	v_add_f32_e32 v3, v3, v9
	s_or_b32 exec_lo, exec_lo, s0
	s_and_saveexec_b32 s0, vcc_lo
	s_cbranch_execz .LBB372_1038
.LBB372_1057:
	ds_read_b32 v9, v8 offset:160
	s_waitcnt lgkmcnt(0)
	v_add_f32_e32 v2, v2, v9
	s_or_b32 exec_lo, exec_lo, s0
	s_and_saveexec_b32 s0, vcc_lo
	s_cbranch_execz .LBB372_1039
.LBB372_1058:
	ds_read_b32 v9, v8 offset:192
	s_waitcnt lgkmcnt(0)
	v_add_f32_e32 v1, v1, v9
	s_or_b32 exec_lo, exec_lo, s0
	s_and_saveexec_b32 s0, vcc_lo
	s_cbranch_execnz .LBB372_1040
	s_branch .LBB372_1041
	.section	.rodata,"a",@progbits
	.p2align	6, 0x0
	.amdhsa_kernel _ZN4vllm25paged_attention_v2_kernelI14__hip_bfloat16hLi64ELi32ELi128ELNS_18Fp8KVCacheDataTypeE1ELb1ELi512EEEvPfS3_PT_PKS4_PKT0_SA_ifPKiSC_iPKfiiiSE_SE_iiiii
		.amdhsa_group_segment_fixed_size 160
		.amdhsa_private_segment_fixed_size 120
		.amdhsa_kernarg_size 400
		.amdhsa_user_sgpr_count 6
		.amdhsa_user_sgpr_private_segment_buffer 1
		.amdhsa_user_sgpr_dispatch_ptr 0
		.amdhsa_user_sgpr_queue_ptr 0
		.amdhsa_user_sgpr_kernarg_segment_ptr 1
		.amdhsa_user_sgpr_dispatch_id 0
		.amdhsa_user_sgpr_flat_scratch_init 0
		.amdhsa_user_sgpr_private_segment_size 0
		.amdhsa_wavefront_size32 1
		.amdhsa_uses_dynamic_stack 0
		.amdhsa_system_sgpr_private_segment_wavefront_offset 1
		.amdhsa_system_sgpr_workgroup_id_x 1
		.amdhsa_system_sgpr_workgroup_id_y 1
		.amdhsa_system_sgpr_workgroup_id_z 1
		.amdhsa_system_sgpr_workgroup_info 0
		.amdhsa_system_vgpr_workitem_id 0
		.amdhsa_next_free_vgpr 128
		.amdhsa_next_free_sgpr 60
		.amdhsa_reserve_vcc 1
		.amdhsa_reserve_flat_scratch 0
		.amdhsa_float_round_mode_32 0
		.amdhsa_float_round_mode_16_64 0
		.amdhsa_float_denorm_mode_32 3
		.amdhsa_float_denorm_mode_16_64 3
		.amdhsa_dx10_clamp 1
		.amdhsa_ieee_mode 1
		.amdhsa_fp16_overflow 0
		.amdhsa_workgroup_processor_mode 1
		.amdhsa_memory_ordered 1
		.amdhsa_forward_progress 1
		.amdhsa_shared_vgpr_count 0
		.amdhsa_exception_fp_ieee_invalid_op 0
		.amdhsa_exception_fp_denorm_src 0
		.amdhsa_exception_fp_ieee_div_zero 0
		.amdhsa_exception_fp_ieee_overflow 0
		.amdhsa_exception_fp_ieee_underflow 0
		.amdhsa_exception_fp_ieee_inexact 0
		.amdhsa_exception_int_div_zero 0
	.end_amdhsa_kernel
	.section	.text._ZN4vllm25paged_attention_v2_kernelI14__hip_bfloat16hLi64ELi32ELi128ELNS_18Fp8KVCacheDataTypeE1ELb1ELi512EEEvPfS3_PT_PKS4_PKT0_SA_ifPKiSC_iPKfiiiSE_SE_iiiii,"axG",@progbits,_ZN4vllm25paged_attention_v2_kernelI14__hip_bfloat16hLi64ELi32ELi128ELNS_18Fp8KVCacheDataTypeE1ELb1ELi512EEEvPfS3_PT_PKS4_PKT0_SA_ifPKiSC_iPKfiiiSE_SE_iiiii,comdat
.Lfunc_end372:
	.size	_ZN4vllm25paged_attention_v2_kernelI14__hip_bfloat16hLi64ELi32ELi128ELNS_18Fp8KVCacheDataTypeE1ELb1ELi512EEEvPfS3_PT_PKS4_PKT0_SA_ifPKiSC_iPKfiiiSE_SE_iiiii, .Lfunc_end372-_ZN4vllm25paged_attention_v2_kernelI14__hip_bfloat16hLi64ELi32ELi128ELNS_18Fp8KVCacheDataTypeE1ELb1ELi512EEEvPfS3_PT_PKS4_PKT0_SA_ifPKiSC_iPKfiiiSE_SE_iiiii
                                        ; -- End function
	.set _ZN4vllm25paged_attention_v2_kernelI14__hip_bfloat16hLi64ELi32ELi128ELNS_18Fp8KVCacheDataTypeE1ELb1ELi512EEEvPfS3_PT_PKS4_PKT0_SA_ifPKiSC_iPKfiiiSE_SE_iiiii.num_vgpr, 128
	.set _ZN4vllm25paged_attention_v2_kernelI14__hip_bfloat16hLi64ELi32ELi128ELNS_18Fp8KVCacheDataTypeE1ELb1ELi512EEEvPfS3_PT_PKS4_PKT0_SA_ifPKiSC_iPKfiiiSE_SE_iiiii.num_agpr, 0
	.set _ZN4vllm25paged_attention_v2_kernelI14__hip_bfloat16hLi64ELi32ELi128ELNS_18Fp8KVCacheDataTypeE1ELb1ELi512EEEvPfS3_PT_PKS4_PKT0_SA_ifPKiSC_iPKfiiiSE_SE_iiiii.numbered_sgpr, 60
	.set _ZN4vllm25paged_attention_v2_kernelI14__hip_bfloat16hLi64ELi32ELi128ELNS_18Fp8KVCacheDataTypeE1ELb1ELi512EEEvPfS3_PT_PKS4_PKT0_SA_ifPKiSC_iPKfiiiSE_SE_iiiii.num_named_barrier, 0
	.set _ZN4vllm25paged_attention_v2_kernelI14__hip_bfloat16hLi64ELi32ELi128ELNS_18Fp8KVCacheDataTypeE1ELb1ELi512EEEvPfS3_PT_PKS4_PKT0_SA_ifPKiSC_iPKfiiiSE_SE_iiiii.private_seg_size, 120
	.set _ZN4vllm25paged_attention_v2_kernelI14__hip_bfloat16hLi64ELi32ELi128ELNS_18Fp8KVCacheDataTypeE1ELb1ELi512EEEvPfS3_PT_PKS4_PKT0_SA_ifPKiSC_iPKfiiiSE_SE_iiiii.uses_vcc, 1
	.set _ZN4vllm25paged_attention_v2_kernelI14__hip_bfloat16hLi64ELi32ELi128ELNS_18Fp8KVCacheDataTypeE1ELb1ELi512EEEvPfS3_PT_PKS4_PKT0_SA_ifPKiSC_iPKfiiiSE_SE_iiiii.uses_flat_scratch, 0
	.set _ZN4vllm25paged_attention_v2_kernelI14__hip_bfloat16hLi64ELi32ELi128ELNS_18Fp8KVCacheDataTypeE1ELb1ELi512EEEvPfS3_PT_PKS4_PKT0_SA_ifPKiSC_iPKfiiiSE_SE_iiiii.has_dyn_sized_stack, 0
	.set _ZN4vllm25paged_attention_v2_kernelI14__hip_bfloat16hLi64ELi32ELi128ELNS_18Fp8KVCacheDataTypeE1ELb1ELi512EEEvPfS3_PT_PKS4_PKT0_SA_ifPKiSC_iPKfiiiSE_SE_iiiii.has_recursion, 0
	.set _ZN4vllm25paged_attention_v2_kernelI14__hip_bfloat16hLi64ELi32ELi128ELNS_18Fp8KVCacheDataTypeE1ELb1ELi512EEEvPfS3_PT_PKS4_PKT0_SA_ifPKiSC_iPKfiiiSE_SE_iiiii.has_indirect_call, 0
	.section	.AMDGPU.csdata,"",@progbits
; Kernel info:
; codeLenInByte = 41252
; TotalNumSgprs: 62
; NumVgprs: 128
; ScratchSize: 120
; MemoryBound: 0
; FloatMode: 240
; IeeeMode: 1
; LDSByteSize: 160 bytes/workgroup (compile time only)
; SGPRBlocks: 0
; VGPRBlocks: 15
; NumSGPRsForWavesPerEU: 62
; NumVGPRsForWavesPerEU: 128
; Occupancy: 8
; WaveLimiterHint : 1
; COMPUTE_PGM_RSRC2:SCRATCH_EN: 1
; COMPUTE_PGM_RSRC2:USER_SGPR: 6
; COMPUTE_PGM_RSRC2:TRAP_HANDLER: 0
; COMPUTE_PGM_RSRC2:TGID_X_EN: 1
; COMPUTE_PGM_RSRC2:TGID_Y_EN: 1
; COMPUTE_PGM_RSRC2:TGID_Z_EN: 1
; COMPUTE_PGM_RSRC2:TIDIG_COMP_CNT: 0
	.section	.text._ZN4vllm25paged_attention_v2_kernelI14__hip_bfloat16hLi80ELi32ELi128ELNS_18Fp8KVCacheDataTypeE1ELb1ELi512EEEvPfS3_PT_PKS4_PKT0_SA_ifPKiSC_iPKfiiiSE_SE_iiiii,"axG",@progbits,_ZN4vllm25paged_attention_v2_kernelI14__hip_bfloat16hLi80ELi32ELi128ELNS_18Fp8KVCacheDataTypeE1ELb1ELi512EEEvPfS3_PT_PKS4_PKT0_SA_ifPKiSC_iPKfiiiSE_SE_iiiii,comdat
	.protected	_ZN4vllm25paged_attention_v2_kernelI14__hip_bfloat16hLi80ELi32ELi128ELNS_18Fp8KVCacheDataTypeE1ELb1ELi512EEEvPfS3_PT_PKS4_PKT0_SA_ifPKiSC_iPKfiiiSE_SE_iiiii ; -- Begin function _ZN4vllm25paged_attention_v2_kernelI14__hip_bfloat16hLi80ELi32ELi128ELNS_18Fp8KVCacheDataTypeE1ELb1ELi512EEEvPfS3_PT_PKS4_PKT0_SA_ifPKiSC_iPKfiiiSE_SE_iiiii
	.globl	_ZN4vllm25paged_attention_v2_kernelI14__hip_bfloat16hLi80ELi32ELi128ELNS_18Fp8KVCacheDataTypeE1ELb1ELi512EEEvPfS3_PT_PKS4_PKT0_SA_ifPKiSC_iPKfiiiSE_SE_iiiii
	.p2align	8
	.type	_ZN4vllm25paged_attention_v2_kernelI14__hip_bfloat16hLi80ELi32ELi128ELNS_18Fp8KVCacheDataTypeE1ELb1ELi512EEEvPfS3_PT_PKS4_PKT0_SA_ifPKiSC_iPKfiiiSE_SE_iiiii,@function
_ZN4vllm25paged_attention_v2_kernelI14__hip_bfloat16hLi80ELi32ELi128ELNS_18Fp8KVCacheDataTypeE1ELb1ELi512EEEvPfS3_PT_PKS4_PKT0_SA_ifPKiSC_iPKfiiiSE_SE_iiiii: ; @_ZN4vllm25paged_attention_v2_kernelI14__hip_bfloat16hLi80ELi32ELi128ELNS_18Fp8KVCacheDataTypeE1ELb1ELi512EEEvPfS3_PT_PKS4_PKT0_SA_ifPKiSC_iPKfiiiSE_SE_iiiii
; %bb.0:
	s_mov_b64 s[58:59], s[2:3]
	s_mov_b64 s[56:57], s[0:1]
	s_load_dwordx2 s[0:1], s[4:5], 0x40
	s_add_u32 s56, s56, s9
	s_addc_u32 s57, s57, 0
	s_mov_b32 s30, s7
	s_ashr_i32 s31, s7, 31
	s_lshl_b64 s[2:3], s[30:31], 2
	s_waitcnt lgkmcnt(0)
	s_add_u32 s0, s0, s2
	s_addc_u32 s1, s1, s3
	s_lshl_b32 s40, s8, 9
	s_load_dword s31, s[0:1], 0x0
	s_waitcnt lgkmcnt(0)
	s_cmp_ge_i32 s40, s31
	s_cbranch_scc1 .LBB373_1292
; %bb.1:
	s_clause 0x1
	s_load_dword s9, s[4:5], 0x90
	s_load_dwordx2 s[2:3], s[4:5], 0x30
	v_mov_b32_e32 v12, v0
	s_mov_b32 s42, 0
	s_waitcnt lgkmcnt(0)
	s_abs_i32 s10, s9
	s_abs_i32 s0, s2
	v_cvt_f32_u32_e32 v0, s0
	s_sub_i32 s7, 0, s0
	v_rcp_iflag_f32_e32 v0, v0
	v_mul_f32_e32 v0, 0x4f7ffffe, v0
	v_cvt_u32_f32_e32 v0, v0
	v_readfirstlane_b32 s1, v0
	s_mul_i32 s7, s7, s1
	s_mul_hi_u32 s7, s1, s7
	s_add_i32 s1, s1, s7
	s_xor_b32 s7, s9, s2
	s_mul_hi_u32 s1, s10, s1
	s_ashr_i32 s7, s7, 31
	s_mul_i32 s11, s1, s0
	s_sub_i32 s10, s10, s11
	s_add_i32 s11, s1, 1
	s_sub_i32 s12, s10, s0
	s_cmp_ge_u32 s10, s0
	s_cselect_b32 s1, s11, s1
	s_cselect_b32 s10, s12, s10
	s_add_i32 s11, s1, 1
	s_cmp_ge_u32 s10, s0
	s_cselect_b32 s0, s11, s1
	s_abs_i32 s13, s6
	s_xor_b32 s0, s0, s7
	s_sub_i32 s10, s0, s7
	s_load_dwordx2 s[0:1], s[4:5], 0x50
	s_abs_i32 s12, s10
	v_cvt_f32_u32_e32 v0, s12
	s_sub_i32 s11, 0, s12
	v_rcp_iflag_f32_e32 v0, v0
	v_mul_f32_e32 v0, 0x4f7ffffe, v0
	v_cvt_u32_f32_e32 v0, v0
	v_readfirstlane_b32 s7, v0
	s_mul_i32 s11, s11, s7
	s_mul_hi_u32 s11, s7, s11
	s_add_i32 s7, s7, s11
	s_waitcnt lgkmcnt(0)
	s_cmp_eq_u64 s[0:1], 0
	s_mul_hi_u32 s14, s13, s7
	s_cbranch_scc1 .LBB373_3
; %bb.2:
	s_ashr_i32 s7, s6, 31
	s_lshl_b64 s[16:17], s[6:7], 2
	s_add_u32 s0, s0, s16
	s_addc_u32 s1, s1, s17
	s_load_dword s42, s[0:1], 0x0
.LBB373_3:
	s_load_dwordx4 s[16:19], s[4:5], 0x58
	s_ashr_i32 s0, s6, 31
	s_ashr_i32 s1, s10, 31
	s_mul_i32 s10, s6, 0x50
	s_mov_b32 s7, exec_lo
	v_cmpx_gt_u32_e32 10, v12
	s_cbranch_execz .LBB373_5
; %bb.4:
	s_load_dwordx2 s[20:21], s[4:5], 0x18
	s_waitcnt lgkmcnt(0)
	s_mul_i32 s22, s16, s30
	v_lshlrev_b32_e32 v4, 4, v12
	s_ashr_i32 s23, s22, 31
	s_lshl_b64 s[22:23], s[22:23], 1
	s_add_u32 s15, s20, s22
	s_addc_u32 s16, s21, s23
	s_ashr_i32 s11, s10, 31
	s_lshl_b64 s[20:21], s[10:11], 1
	s_add_u32 s20, s15, s20
	s_addc_u32 s21, s16, s21
	global_load_dwordx4 v[0:3], v4, s[20:21]
	s_waitcnt vmcnt(0)
	ds_write_b128 v4, v[0:3]
.LBB373_5:
	s_or_b32 exec_lo, exec_lo, s7
	s_load_dwordx4 s[20:23], s[4:5], 0x78
	s_mul_i32 s7, s14, s12
	s_xor_b32 s0, s0, s1
	s_sub_i32 s1, s13, s7
	s_add_i32 s7, s14, 1
	s_sub_i32 s11, s1, s12
	s_cmp_ge_u32 s1, s12
	s_mov_b32 s13, -1
	s_cselect_b32 s7, s7, s14
	s_cselect_b32 s1, s11, s1
	s_add_i32 s11, s7, 1
	s_cmp_ge_u32 s1, s12
                                        ; implicit-def: $sgpr19
	s_cselect_b32 s1, s11, s7
	s_load_dword s7, s[4:5], 0x88
	s_xor_b32 s1, s1, s0
	s_add_i32 s12, s31, -1
	s_sub_i32 s1, s1, s0
	s_abs_i32 s33, s12
	s_waitcnt lgkmcnt(0)
	s_abs_i32 s11, s23
	s_barrier
	v_cvt_f32_u32_e32 v0, s11
	s_sub_i32 s0, 0, s11
	buffer_gl0_inv
	v_rcp_iflag_f32_e32 v0, v0
	v_mul_f32_e32 v0, 0x4f7ffffe, v0
	v_cvt_u32_f32_e32 v0, v0
	v_readfirstlane_b32 s16, v0
	s_mul_i32 s0, s0, s16
	s_mul_hi_u32 s0, s16, s0
	s_add_i32 s16, s16, s0
	s_cmp_lt_i32 s7, 0
	s_mul_hi_u32 s0, s33, s16
	s_cbranch_scc0 .LBB373_7
; %bb.6:
	s_mul_i32 s2, s20, s2
	s_mov_b32 s13, 0
	s_add_i32 s2, s1, s2
	s_mul_i32 s2, s2, s7
	s_sub_i32 s19, 1, s2
.LBB373_7:
	s_load_dwordx2 s[34:35], s[4:5], 0x38
	s_ashr_i32 s2, s12, 31
	s_andn2_b32 vcc_lo, exec_lo, s13
	s_ashr_i32 s23, s23, 31
	s_cbranch_vccnz .LBB373_9
; %bb.8:
	s_mul_i32 s12, s9, s20
	s_add_i32 s12, s12, s6
	s_mul_i32 s7, s12, s7
	s_add_i32 s19, s7, 1
.LBB373_9:
	s_clause 0x5
	s_load_dword s20, s[4:5], 0x48
	s_load_dwordx2 s[38:39], s[4:5], 0x28
	s_load_dwordx4 s[24:27], s[4:5], 0x0
	s_load_dwordx2 s[28:29], s[4:5], 0x10
	s_load_dword s7, s[4:5], 0x98
	s_load_dwordx4 s[12:15], s[4:5], 0x68
	s_mul_i32 s36, s0, s11
	s_xor_b32 s2, s2, s23
	s_sub_i32 s33, s33, s36
	s_add_i32 s41, s0, 1
	v_lshrrev_b32_e32 v0, 5, v12
	v_and_b32_e32 v1, 31, v12
	v_mov_b32_e32 v94, 0xff7fffff
	s_mul_i32 s18, s1, s18
	v_lshl_add_u32 v24, v0, 5, s40
	v_lshlrev_b32_e32 v23, 2, v1
	buffer_store_dword v0, off, s[56:59], 0 offset:252 ; 4-byte Folded Spill
	buffer_store_dword v1, off, s[56:59], 0 ; 4-byte Folded Spill
	s_waitcnt lgkmcnt(0)
	s_mul_i32 s36, s20, s30
	s_sub_i32 s20, s33, s11
	s_ashr_i32 s37, s36, 31
	s_cmp_ge_u32 s33, s11
	s_cselect_b32 s0, s41, s0
	s_cselect_b32 s20, s20, s33
	s_add_i32 s33, s0, 1
	s_cmp_ge_u32 s20, s11
	s_cselect_b32 s0, s33, s0
	s_add_i32 s20, s31, 31
	s_lshl_b32 s43, s8, 4
	s_ashr_i32 s33, s20, 31
	v_add_nc_u32_e32 v9, s43, v0
	s_lshr_b32 s33, s33, 27
	s_add_i32 s41, s43, 16
	s_add_i32 s20, s20, s33
	s_xor_b32 s44, s0, s2
	s_ashr_i32 s33, s20, 5
	v_ashrrev_i32_e32 v10, 31, v9
	s_min_i32 s20, s41, s33
	s_sub_i32 s41, s44, s2
	v_cmp_gt_i32_e64 s0, s20, v9
	s_and_saveexec_b32 s44, s0
	s_cbranch_execz .LBB373_617
; %bb.10:
	v_mov_b32_e32 v2, 0
	buffer_store_dword v12, off, s[56:59], 0 offset:256 ; 4-byte Folded Spill
	s_load_dwordx2 s[4:5], s[4:5], 0x20
	s_sub_i32 s45, s41, s21
	s_ashr_i32 s1, s18, 31
	ds_read_b128 v[3:6], v2
	ds_read_b128 v[11:14], v2 offset:16
	ds_read_b128 v[15:18], v2 offset:32
	;; [unrolled: 1-line block ×4, first 2 shown]
	v_mov_b32_e32 v104, 0x80
	v_mov_b32_e32 v105, 0xffff
	;; [unrolled: 1-line block ×7, first 2 shown]
	s_mov_b32 s47, s17
	s_mov_b32 s48, 0
	buffer_store_dword v23, off, s[56:59], 0 offset:260 ; 4-byte Folded Spill
	buffer_load_dword v8, off, s[56:59], 0 offset:252 ; 4-byte Folded Reload
	s_waitcnt lgkmcnt(0)
	v_lshlrev_b32_e32 v0, 16, v3
	s_add_u32 s2, s4, s18
	s_addc_u32 s1, s5, s1
	s_abs_i32 s46, s22
	buffer_store_dword v0, off, s[56:59], 0 offset:4 ; 4-byte Folded Spill
	v_and_b32_e32 v0, 0xffff0000, v3
	s_sub_i32 s4, 0, s46
	buffer_store_dword v0, off, s[56:59], 0 offset:12 ; 4-byte Folded Spill
	v_lshlrev_b32_e32 v0, 16, v4
	buffer_store_dword v0, off, s[56:59], 0 offset:16 ; 4-byte Folded Spill
	v_and_b32_e32 v0, 0xffff0000, v4
	buffer_store_dword v0, off, s[56:59], 0 offset:20 ; 4-byte Folded Spill
	v_lshlrev_b32_e32 v0, 16, v5
	buffer_store_dword v0, off, s[56:59], 0 offset:24 ; 4-byte Folded Spill
	v_and_b32_e32 v0, 0xffff0000, v5
	;; [unrolled: 4-line block ×3, first 2 shown]
	ds_read_b128 v[3:6], v2 offset:80
	buffer_store_dword v0, off, s[56:59], 0 offset:36 ; 4-byte Folded Spill
	v_lshlrev_b32_e32 v0, 16, v11
	buffer_store_dword v0, off, s[56:59], 0 offset:40 ; 4-byte Folded Spill
	v_and_b32_e32 v0, 0xffff0000, v11
	buffer_store_dword v0, off, s[56:59], 0 offset:44 ; 4-byte Folded Spill
	v_lshlrev_b32_e32 v0, 16, v12
	buffer_store_dword v0, off, s[56:59], 0 offset:48 ; 4-byte Folded Spill
	v_and_b32_e32 v0, 0xffff0000, v12
	;; [unrolled: 4-line block ×4, first 2 shown]
	ds_read_b128 v[11:14], v2 offset:96
	buffer_store_dword v0, off, s[56:59], 0 offset:68 ; 4-byte Folded Spill
	v_lshlrev_b32_e32 v0, 16, v15
	buffer_store_dword v0, off, s[56:59], 0 offset:72 ; 4-byte Folded Spill
	v_and_b32_e32 v0, 0xffff0000, v15
	buffer_store_dword v0, off, s[56:59], 0 offset:76 ; 4-byte Folded Spill
	v_lshlrev_b32_e32 v0, 16, v16
	s_waitcnt lgkmcnt(0)
	v_and_b32_e32 v1, 0xffff0000, v14
	buffer_store_dword v0, off, s[56:59], 0 offset:80 ; 4-byte Folded Spill
	v_and_b32_e32 v0, 0xffff0000, v16
	buffer_store_dword v1, off, s[56:59], 0 offset:228 ; 4-byte Folded Spill
	buffer_store_dword v0, off, s[56:59], 0 offset:84 ; 4-byte Folded Spill
	v_lshlrev_b32_e32 v0, 16, v17
	buffer_store_dword v0, off, s[56:59], 0 offset:88 ; 4-byte Folded Spill
	v_and_b32_e32 v0, 0xffff0000, v17
	buffer_store_dword v0, off, s[56:59], 0 offset:92 ; 4-byte Folded Spill
	v_lshlrev_b32_e32 v0, 16, v18
	buffer_store_dword v0, off, s[56:59], 0 offset:96 ; 4-byte Folded Spill
	v_and_b32_e32 v0, 0xffff0000, v18
	ds_read_b128 v[15:18], v2 offset:112
	buffer_store_dword v0, off, s[56:59], 0 offset:100 ; 4-byte Folded Spill
	v_lshlrev_b32_e32 v0, 16, v19
	buffer_store_dword v0, off, s[56:59], 0 offset:104 ; 4-byte Folded Spill
	v_and_b32_e32 v0, 0xffff0000, v19
	buffer_store_dword v0, off, s[56:59], 0 offset:108 ; 4-byte Folded Spill
	v_lshlrev_b32_e32 v0, 16, v20
	buffer_store_dword v0, off, s[56:59], 0 offset:112 ; 4-byte Folded Spill
	v_and_b32_e32 v0, 0xffff0000, v20
	buffer_store_dword v0, off, s[56:59], 0 offset:116 ; 4-byte Folded Spill
	v_lshlrev_b32_e32 v0, 16, v21
	buffer_store_dword v0, off, s[56:59], 0 offset:120 ; 4-byte Folded Spill
	v_and_b32_e32 v0, 0xffff0000, v21
	buffer_store_dword v0, off, s[56:59], 0 offset:124 ; 4-byte Folded Spill
	v_lshlrev_b32_e32 v0, 16, v22
	buffer_store_dword v0, off, s[56:59], 0 offset:128 ; 4-byte Folded Spill
	v_and_b32_e32 v0, 0xffff0000, v22
	buffer_store_dword v0, off, s[56:59], 0 offset:132 ; 4-byte Folded Spill
	v_lshlrev_b32_e32 v0, 16, v25
	buffer_store_dword v0, off, s[56:59], 0 offset:136 ; 4-byte Folded Spill
	v_and_b32_e32 v0, 0xffff0000, v25
	buffer_store_dword v0, off, s[56:59], 0 offset:140 ; 4-byte Folded Spill
	v_lshlrev_b32_e32 v0, 16, v26
	buffer_store_dword v0, off, s[56:59], 0 offset:144 ; 4-byte Folded Spill
	v_and_b32_e32 v0, 0xffff0000, v26
	buffer_store_dword v0, off, s[56:59], 0 offset:148 ; 4-byte Folded Spill
	v_lshlrev_b32_e32 v0, 16, v27
	buffer_store_dword v0, off, s[56:59], 0 offset:152 ; 4-byte Folded Spill
	v_and_b32_e32 v0, 0xffff0000, v27
	buffer_store_dword v0, off, s[56:59], 0 offset:156 ; 4-byte Folded Spill
	v_lshlrev_b32_e32 v0, 16, v28
	buffer_store_dword v0, off, s[56:59], 0 offset:160 ; 4-byte Folded Spill
	v_and_b32_e32 v0, 0xffff0000, v28
	buffer_store_dword v0, off, s[56:59], 0 offset:164 ; 4-byte Folded Spill
	v_lshlrev_b32_e32 v0, 16, v3
	buffer_store_dword v0, off, s[56:59], 0 offset:168 ; 4-byte Folded Spill
	v_and_b32_e32 v0, 0xffff0000, v3
	buffer_store_dword v0, off, s[56:59], 0 offset:172 ; 4-byte Folded Spill
	v_lshlrev_b32_e32 v0, 16, v4
	buffer_store_dword v0, off, s[56:59], 0 offset:176 ; 4-byte Folded Spill
	v_and_b32_e32 v0, 0xffff0000, v4
	buffer_store_dword v0, off, s[56:59], 0 offset:180 ; 4-byte Folded Spill
	v_lshlrev_b32_e32 v0, 16, v5
	buffer_store_dword v0, off, s[56:59], 0 offset:184 ; 4-byte Folded Spill
	v_and_b32_e32 v0, 0xffff0000, v5
	buffer_store_dword v0, off, s[56:59], 0 offset:188 ; 4-byte Folded Spill
	v_lshlrev_b32_e32 v0, 16, v6
	buffer_store_dword v0, off, s[56:59], 0 offset:192 ; 4-byte Folded Spill
	v_and_b32_e32 v0, 0xffff0000, v6
	ds_read_b128 v[3:6], v2 offset:128
	s_waitcnt lgkmcnt(1)
	v_lshlrev_b32_e32 v1, 16, v15
	v_and_b32_e32 v80, 0xffff0000, v17
	v_lshlrev_b32_e32 v81, 16, v18
	buffer_store_dword v0, off, s[56:59], 0 offset:196 ; 4-byte Folded Spill
	v_lshlrev_b32_e32 v0, 16, v11
	buffer_store_dword v1, off, s[56:59], 0 offset:232 ; 4-byte Folded Spill
	v_and_b32_e32 v1, 0xffff0000, v15
	v_and_b32_e32 v82, 0xffff0000, v18
	buffer_store_dword v0, off, s[56:59], 0 offset:200 ; 4-byte Folded Spill
	v_and_b32_e32 v0, 0xffff0000, v11
	buffer_store_dword v1, off, s[56:59], 0 offset:236 ; 4-byte Folded Spill
	v_lshlrev_b32_e32 v1, 16, v16
	buffer_store_dword v0, off, s[56:59], 0 offset:204 ; 4-byte Folded Spill
	v_lshlrev_b32_e32 v0, 16, v12
	buffer_store_dword v1, off, s[56:59], 0 offset:240 ; 4-byte Folded Spill
	v_and_b32_e32 v1, 0xffff0000, v16
	s_waitcnt lgkmcnt(0)
	v_lshlrev_b32_e32 v87, 16, v5
	v_and_b32_e32 v88, 0xffff0000, v5
	buffer_store_dword v0, off, s[56:59], 0 offset:208 ; 4-byte Folded Spill
	v_and_b32_e32 v0, 0xffff0000, v12
	buffer_store_dword v1, off, s[56:59], 0 offset:244 ; 4-byte Folded Spill
	v_lshlrev_b32_e32 v1, 16, v17
	v_lshlrev_b32_e32 v83, 16, v3
	v_and_b32_e32 v84, 0xffff0000, v3
	buffer_store_dword v0, off, s[56:59], 0 offset:212 ; 4-byte Folded Spill
	v_lshlrev_b32_e32 v0, 16, v13
	buffer_store_dword v1, off, s[56:59], 0 offset:248 ; 4-byte Folded Spill
	v_lshlrev_b32_e32 v89, 16, v6
	v_and_b32_e32 v90, 0xffff0000, v6
	v_lshlrev_b32_e32 v85, 16, v4
	buffer_store_dword v0, off, s[56:59], 0 offset:216 ; 4-byte Folded Spill
	v_and_b32_e32 v0, 0xffff0000, v13
	v_and_b32_e32 v86, 0xffff0000, v4
	s_waitcnt vmcnt(0)
	v_lshl_or_b32 v7, v8, 7, v23
	v_lshl_add_u32 v103, v8, 5, s40
	buffer_store_dword v0, off, s[56:59], 0 offset:220 ; 4-byte Folded Spill
	v_lshlrev_b32_e32 v0, 16, v14
	ds_read_b128 v[11:14], v2 offset:144
	v_add_nc_u32_e32 v102, 0xc0, v7
	buffer_store_dword v0, off, s[56:59], 0 offset:224 ; 4-byte Folded Spill
	v_cvt_f32_u32_e32 v0, s46
	v_rcp_iflag_f32_e32 v0, v0
	v_mul_f32_e32 v0, 0x4f7ffffe, v0
	s_waitcnt lgkmcnt(0)
	v_lshlrev_b32_e32 v91, 16, v11
	v_and_b32_e32 v92, 0xffff0000, v11
	v_lshlrev_b32_e32 v93, 16, v12
	v_and_b32_e32 v95, 0xffff0000, v12
	v_cvt_u32_f32_e32 v5, v0
	v_lshlrev_b64 v[0:1], 2, v[9:10]
	v_lshlrev_b32_e32 v96, 16, v13
	v_and_b32_e32 v97, 0xffff0000, v13
	v_lshlrev_b32_e32 v98, 16, v14
	v_mul_lo_u32 v3, s4, v5
	s_lshl_b64 s[4:5], s[36:37], 2
	v_and_b32_e32 v99, 0xffff0000, v14
	s_add_u32 s4, s34, s4
	s_addc_u32 s5, s35, s5
	v_mul_hi_u32 v6, v5, v3
	v_add_co_u32 v3, vcc_lo, s4, v0
	v_add_co_ci_u32_e64 v4, null, s5, v1, vcc_lo
	buffer_load_dword v1, off, s[56:59], 0  ; 4-byte Folded Reload
	v_cmp_neq_f32_e64 vcc_lo, s42, 0
	s_mov_b32 s4, -1
	v_add_nc_u32_e32 v100, v5, v6
	s_mov_b32 s5, 0xffffff
	s_waitcnt vmcnt(0)
	v_lshlrev_b32_e32 v0, 4, v1
	v_subrev_nc_u32_e32 v1, s31, v1
	v_add_co_u32 v5, s2, s2, v0
	v_add_co_ci_u32_e64 v6, null, s1, 0, s2
	v_add_nc_u32_e32 v101, 1, v1
	s_branch .LBB373_16
.LBB373_11:                             ;   in Loop: Header=BB373_16 Depth=1
	s_or_b32 exec_lo, exec_lo, s53
	v_lshlrev_b32_sdwa v8, v108, v8 dst_sel:DWORD dst_unused:UNUSED_PAD src0_sel:DWORD src1_sel:BYTE_3
	v_lshlrev_b32_e32 v1, 20, v1
	v_lshl_add_u32 v7, v7, 23, 0x3c000000
	v_and_b32_e32 v8, 0x80000000, v8
	v_or3_b32 v73, v1, v8, v7
.LBB373_12:                             ;   in Loop: Header=BB373_16 Depth=1
	s_or_b32 exec_lo, exec_lo, s52
.LBB373_13:                             ;   in Loop: Header=BB373_16 Depth=1
	s_or_b32 exec_lo, exec_lo, s51
.LBB373_14:                             ;   in Loop: Header=BB373_16 Depth=1
	s_or_b32 exec_lo, exec_lo, s50
	s_waitcnt lgkmcnt(0)
	v_mul_f32_e32 v1, s49, v67
	v_mul_f32_e32 v57, s49, v57
	v_mul_f32_e32 v58, s49, v58
	v_mul_f32_e32 v56, s49, v56
	v_mul_f32_e32 v55, s49, v55
	v_bfe_u32 v7, v1, 16, 1
	v_or_b32_e32 v8, 0x400000, v1
	v_cmp_u_f32_e64 s1, v1, v1
	v_mul_f32_e32 v53, s49, v53
	v_mul_f32_e32 v49, s49, v49
	v_add3_u32 v7, v7, v1, 0x7fff
	v_mul_f32_e32 v50, s49, v50
	v_mul_f32_e32 v48, s49, v48
	v_mul_f32_e32 v47, s49, v47
	v_mul_f32_e32 v45, s49, v45
	v_cndmask_b32_e64 v1, v7, v8, s1
	v_mul_f32_e32 v7, s49, v68
	v_mul_f32_e32 v41, s49, v41
	v_mul_f32_e32 v42, s49, v42
	v_mul_f32_e32 v40, s49, v40
	v_mul_f32_e32 v39, s49, v39
	v_bfe_u32 v8, v7, 16, 1
	v_or_b32_e32 v11, 0x400000, v7
	v_cmp_u_f32_e64 s1, v7, v7
	v_mul_f32_e32 v37, s49, v37
	v_mul_f32_e32 v33, s49, v33
	v_add3_u32 v8, v8, v7, 0x7fff
	v_mul_f32_e32 v34, s49, v34
	v_mul_f32_e32 v32, s49, v32
	v_mul_f32_e32 v31, s49, v31
	v_mul_f32_e32 v29, s49, v29
	v_cndmask_b32_e64 v7, v8, v11, s1
	v_mul_f32_e32 v8, s49, v64
	v_mul_f32_e32 v25, s49, v25
	v_mul_f32_e32 v26, s49, v26
	v_mul_f32_e32 v21, s49, v21
	v_mul_f32_e32 v20, s49, v20
	v_bfe_u32 v11, v8, 16, 1
	v_or_b32_e32 v12, 0x400000, v8
	v_cmp_u_f32_e64 s1, v8, v8
	v_mul_f32_e32 v18, s49, v18
	v_mul_f32_e32 v23, s49, v23
	v_add3_u32 v11, v11, v8, 0x7fff
	v_mul_f32_e32 v8, s49, v63
	v_mul_f32_e32 v16, s49, v16
	v_mul_f32_e32 v15, s49, v15
	v_mul_f32_e32 v0, s49, v0
	v_cndmask_b32_e64 v12, v11, v12, s1
	v_bfe_u32 v11, v8, 16, 1
	v_or_b32_e32 v63, 0x400000, v8
	v_cmp_u_f32_e64 s1, v8, v8
	v_mul_f32_e32 v13, s49, v13
	v_and_b32_e32 v12, 0xffff0000, v12
	v_add3_u32 v11, v11, v8, 0x7fff
	v_mul_f32_e32 v8, s49, v61
	v_and_b32_e32 v7, 0xffff0000, v7
	v_and_b32_e32 v1, 0xffff0000, v1
	v_cndmask_b32_e64 v63, v11, v63, s1
	v_bfe_u32 v11, v8, 16, 1
	v_or_b32_e32 v61, 0x400000, v8
	v_cmp_u_f32_e64 s1, v8, v8
	v_add3_u32 v11, v11, v8, 0x7fff
	v_mul_f32_e32 v8, s49, v62
	v_cndmask_b32_e64 v61, v11, v61, s1
	v_bfe_u32 v11, v8, 16, 1
	v_or_b32_e32 v62, 0x400000, v8
	v_cmp_u_f32_e64 s1, v8, v8
	v_add3_u32 v11, v11, v8, 0x7fff
	v_mul_f32_e32 v8, s49, v72
	v_cndmask_b32_e64 v62, v11, v62, s1
	v_bfe_u32 v11, v8, 16, 1
	v_or_b32_e32 v64, 0x400000, v8
	v_cmp_u_f32_e64 s1, v8, v8
	v_add3_u32 v11, v11, v8, 0x7fff
	v_mul_f32_e32 v8, s49, v71
	v_cndmask_b32_e64 v11, v11, v64, s1
	v_bfe_u32 v64, v8, 16, 1
	v_or_b32_e32 v67, 0x400000, v8
	v_cmp_u_f32_e64 s1, v8, v8
	v_add3_u32 v64, v64, v8, 0x7fff
	v_cndmask_b32_e64 v8, v64, v67, s1
	v_bfe_u32 v64, v57, 16, 1
	v_or_b32_e32 v67, 0x400000, v57
	v_cmp_u_f32_e64 s1, v57, v57
	v_add3_u32 v64, v64, v57, 0x7fff
	;; [unrolled: 5-line block ×6, first 2 shown]
	v_mul_f32_e32 v53, s49, v54
	v_cndmask_b32_e64 v64, v64, v67, s1
	v_bfe_u32 v54, v53, 16, 1
	v_or_b32_e32 v67, 0x400000, v53
	v_cmp_u_f32_e64 s1, v53, v53
	v_add3_u32 v54, v54, v53, 0x7fff
	v_mul_f32_e32 v53, s49, v60
	v_cndmask_b32_e64 v67, v54, v67, s1
	v_bfe_u32 v54, v53, 16, 1
	v_or_b32_e32 v60, 0x400000, v53
	v_cmp_u_f32_e64 s1, v53, v53
	v_add3_u32 v54, v54, v53, 0x7fff
	v_cndmask_b32_e64 v53, v54, v60, s1
	v_mul_f32_e32 v54, s49, v59
	v_bfe_u32 v59, v54, 16, 1
	v_or_b32_e32 v60, 0x400000, v54
	v_cmp_u_f32_e64 s1, v54, v54
	v_add3_u32 v59, v59, v54, 0x7fff
	v_cndmask_b32_e64 v54, v59, v60, s1
	v_bfe_u32 v59, v49, 16, 1
	v_or_b32_e32 v60, 0x400000, v49
	v_cmp_u_f32_e64 s1, v49, v49
	v_add3_u32 v59, v59, v49, 0x7fff
	v_cndmask_b32_e64 v49, v59, v60, s1
	v_bfe_u32 v59, v50, 16, 1
	v_or_b32_e32 v60, 0x400000, v50
	v_cmp_u_f32_e64 s1, v50, v50
	v_add3_u32 v59, v59, v50, 0x7fff
	v_cndmask_b32_e64 v50, v59, v60, s1
	v_bfe_u32 v59, v48, 16, 1
	v_or_b32_e32 v60, 0x400000, v48
	v_cmp_u_f32_e64 s1, v48, v48
	v_add3_u32 v59, v59, v48, 0x7fff
	v_cndmask_b32_e64 v48, v59, v60, s1
	v_bfe_u32 v59, v47, 16, 1
	v_or_b32_e32 v60, 0x400000, v47
	v_cmp_u_f32_e64 s1, v47, v47
	v_add3_u32 v59, v59, v47, 0x7fff
	v_cndmask_b32_e64 v47, v59, v60, s1
	v_bfe_u32 v59, v45, 16, 1
	v_or_b32_e32 v60, 0x400000, v45
	v_cmp_u_f32_e64 s1, v45, v45
	v_add3_u32 v59, v59, v45, 0x7fff
	v_mul_f32_e32 v45, s49, v46
	v_cndmask_b32_e64 v59, v59, v60, s1
	v_bfe_u32 v46, v45, 16, 1
	v_or_b32_e32 v60, 0x400000, v45
	v_cmp_u_f32_e64 s1, v45, v45
	v_add3_u32 v46, v46, v45, 0x7fff
	v_mul_f32_e32 v45, s49, v52
	v_cndmask_b32_e64 v60, v46, v60, s1
	v_bfe_u32 v46, v45, 16, 1
	v_or_b32_e32 v52, 0x400000, v45
	v_cmp_u_f32_e64 s1, v45, v45
	v_add3_u32 v46, v46, v45, 0x7fff
	v_cndmask_b32_e64 v45, v46, v52, s1
	v_mul_f32_e32 v46, s49, v51
	v_bfe_u32 v51, v46, 16, 1
	v_or_b32_e32 v52, 0x400000, v46
	v_cmp_u_f32_e64 s1, v46, v46
	v_add3_u32 v51, v51, v46, 0x7fff
	v_cndmask_b32_e64 v46, v51, v52, s1
	v_bfe_u32 v51, v41, 16, 1
	v_or_b32_e32 v52, 0x400000, v41
	v_cmp_u_f32_e64 s1, v41, v41
	v_add3_u32 v51, v51, v41, 0x7fff
	v_cndmask_b32_e64 v41, v51, v52, s1
	v_bfe_u32 v51, v42, 16, 1
	v_or_b32_e32 v52, 0x400000, v42
	v_cmp_u_f32_e64 s1, v42, v42
	v_add3_u32 v51, v51, v42, 0x7fff
	v_cndmask_b32_e64 v42, v51, v52, s1
	v_bfe_u32 v51, v40, 16, 1
	v_or_b32_e32 v52, 0x400000, v40
	v_cmp_u_f32_e64 s1, v40, v40
	v_add3_u32 v51, v51, v40, 0x7fff
	v_cndmask_b32_e64 v40, v51, v52, s1
	v_bfe_u32 v51, v39, 16, 1
	v_or_b32_e32 v52, 0x400000, v39
	v_cmp_u_f32_e64 s1, v39, v39
	v_add3_u32 v51, v51, v39, 0x7fff
	v_cndmask_b32_e64 v39, v51, v52, s1
	v_bfe_u32 v51, v37, 16, 1
	v_or_b32_e32 v52, 0x400000, v37
	v_cmp_u_f32_e64 s1, v37, v37
	v_add3_u32 v51, v51, v37, 0x7fff
	v_mul_f32_e32 v37, s49, v38
	v_cndmask_b32_e64 v51, v51, v52, s1
	v_bfe_u32 v38, v37, 16, 1
	v_or_b32_e32 v52, 0x400000, v37
	v_cmp_u_f32_e64 s1, v37, v37
	v_add3_u32 v38, v38, v37, 0x7fff
	v_mul_f32_e32 v37, s49, v44
	v_cndmask_b32_e64 v52, v38, v52, s1
	v_bfe_u32 v38, v37, 16, 1
	v_or_b32_e32 v44, 0x400000, v37
	v_cmp_u_f32_e64 s1, v37, v37
	v_add3_u32 v38, v38, v37, 0x7fff
	v_cndmask_b32_e64 v37, v38, v44, s1
	v_mul_f32_e32 v38, s49, v43
	v_bfe_u32 v43, v38, 16, 1
	v_or_b32_e32 v44, 0x400000, v38
	v_cmp_u_f32_e64 s1, v38, v38
	v_add3_u32 v43, v43, v38, 0x7fff
	v_cndmask_b32_e64 v38, v43, v44, s1
	v_bfe_u32 v43, v33, 16, 1
	v_or_b32_e32 v44, 0x400000, v33
	v_cmp_u_f32_e64 s1, v33, v33
	v_add3_u32 v43, v43, v33, 0x7fff
	v_cndmask_b32_e64 v33, v43, v44, s1
	v_bfe_u32 v43, v34, 16, 1
	v_or_b32_e32 v44, 0x400000, v34
	v_cmp_u_f32_e64 s1, v34, v34
	v_add3_u32 v43, v43, v34, 0x7fff
	v_cndmask_b32_e64 v34, v43, v44, s1
	v_bfe_u32 v43, v32, 16, 1
	v_or_b32_e32 v44, 0x400000, v32
	v_cmp_u_f32_e64 s1, v32, v32
	v_add3_u32 v43, v43, v32, 0x7fff
	v_cndmask_b32_e64 v32, v43, v44, s1
	v_bfe_u32 v43, v31, 16, 1
	v_or_b32_e32 v44, 0x400000, v31
	v_cmp_u_f32_e64 s1, v31, v31
	v_add3_u32 v43, v43, v31, 0x7fff
	v_cndmask_b32_e64 v31, v43, v44, s1
	v_bfe_u32 v43, v29, 16, 1
	v_or_b32_e32 v44, 0x400000, v29
	v_cmp_u_f32_e64 s1, v29, v29
	v_add3_u32 v43, v43, v29, 0x7fff
	v_mul_f32_e32 v29, s49, v30
	v_cndmask_b32_e64 v43, v43, v44, s1
	v_bfe_u32 v30, v29, 16, 1
	v_or_b32_e32 v44, 0x400000, v29
	v_cmp_u_f32_e64 s1, v29, v29
	v_add3_u32 v30, v30, v29, 0x7fff
	v_mul_f32_e32 v29, s49, v36
	v_cndmask_b32_e64 v44, v30, v44, s1
	v_bfe_u32 v30, v29, 16, 1
	v_or_b32_e32 v36, 0x400000, v29
	v_cmp_u_f32_e64 s1, v29, v29
	v_add3_u32 v30, v30, v29, 0x7fff
	v_cndmask_b32_e64 v29, v30, v36, s1
	v_mul_f32_e32 v30, s49, v35
	v_bfe_u32 v35, v30, 16, 1
	v_or_b32_e32 v36, 0x400000, v30
	v_cmp_u_f32_e64 s1, v30, v30
	v_add3_u32 v35, v35, v30, 0x7fff
	v_cndmask_b32_e64 v30, v35, v36, s1
	v_bfe_u32 v35, v25, 16, 1
	v_or_b32_e32 v36, 0x400000, v25
	v_cmp_u_f32_e64 s1, v25, v25
	v_add3_u32 v35, v35, v25, 0x7fff
	v_cndmask_b32_e64 v25, v35, v36, s1
	;; [unrolled: 5-line block ×5, first 2 shown]
	v_bfe_u32 v35, v18, 16, 1
	v_or_b32_e32 v36, 0x400000, v18
	v_cmp_u_f32_e64 s1, v18, v18
	v_and_b32_e32 v20, 0xffff0000, v20
	v_add3_u32 v35, v35, v18, 0x7fff
	v_mul_f32_e32 v18, s49, v19
	v_cndmask_b32_e64 v35, v35, v36, s1
	v_bfe_u32 v19, v18, 16, 1
	v_or_b32_e32 v36, 0x400000, v18
	v_cmp_u_f32_e64 s1, v18, v18
	v_and_b32_e32 v35, 0xffff0000, v35
	v_add3_u32 v19, v19, v18, 0x7fff
	v_mul_f32_e32 v18, s49, v28
	v_cndmask_b32_e64 v36, v19, v36, s1
	v_bfe_u32 v19, v18, 16, 1
	v_or_b32_e32 v28, 0x400000, v18
	v_cmp_u_f32_e64 s1, v18, v18
	v_and_b32_e32 v36, 0xffff0000, v36
	v_add3_u32 v19, v19, v18, 0x7fff
	v_cndmask_b32_e64 v18, v19, v28, s1
	v_mul_f32_e32 v19, s49, v27
	v_and_b32_e32 v18, 0xffff0000, v18
	v_bfe_u32 v27, v19, 16, 1
	v_or_b32_e32 v28, 0x400000, v19
	v_cmp_u_f32_e64 s1, v19, v19
	v_add3_u32 v27, v27, v19, 0x7fff
	v_cndmask_b32_e64 v19, v27, v28, s1
	v_bfe_u32 v27, v23, 16, 1
	v_or_b32_e32 v28, 0x400000, v23
	v_cmp_u_f32_e64 s1, v23, v23
	v_add3_u32 v27, v27, v23, 0x7fff
	v_bfe_u32 v23, v16, 16, 1
	v_cndmask_b32_e64 v72, v27, v28, s1
	v_add3_u32 v23, v23, v16, 0x7fff
	v_or_b32_e32 v27, 0x400000, v16
	v_cmp_u_f32_e64 s1, v16, v16
	v_mul_f32_e32 v16, s49, v22
	v_and_b32_e32 v72, 0xffff0000, v72
	v_cndmask_b32_e64 v75, v23, v27, s1
	v_bfe_u32 v22, v16, 16, 1
	v_or_b32_e32 v23, 0x400000, v16
	v_cmp_u_f32_e64 s1, v16, v16
	v_add3_u32 v22, v22, v16, 0x7fff
	v_bfe_u32 v16, v15, 16, 1
	v_cndmask_b32_e64 v76, v22, v23, s1
	v_add3_u32 v16, v16, v15, 0x7fff
	v_or_b32_e32 v22, 0x400000, v15
	v_cmp_u_f32_e64 s1, v15, v15
	v_mul_f32_e32 v15, s49, v126
	v_cndmask_b32_e64 v77, v16, v22, s1
	v_bfe_u32 v16, v15, 16, 1
	v_or_b32_e32 v22, 0x400000, v15
	v_cmp_u_f32_e64 s1, v15, v15
	v_add3_u32 v16, v16, v15, 0x7fff
	v_mul_f32_e32 v15, s49, v127
	v_cndmask_b32_e64 v78, v16, v22, s1
	v_bfe_u32 v16, v15, 16, 1
	v_or_b32_e32 v22, 0x400000, v15
	v_cmp_u_f32_e64 s1, v15, v15
	v_add3_u32 v16, v16, v15, 0x7fff
	;; [unrolled: 6-line block ×3, first 2 shown]
	v_bfe_u32 v15, v0, 16, 1
	v_cndmask_b32_e64 v126, v16, v17, s1
	v_add3_u32 v15, v15, v0, 0x7fff
	v_or_b32_e32 v16, 0x400000, v0
	v_cmp_u_f32_e64 s1, v0, v0
	v_mul_f32_e32 v0, s49, v123
	v_cndmask_b32_e64 v127, v15, v16, s1
	v_bfe_u32 v15, v0, 16, 1
	v_or_b32_e32 v16, 0x400000, v0
	v_cmp_u_f32_e64 s1, v0, v0
	v_add3_u32 v15, v15, v0, 0x7fff
	v_mul_f32_e32 v0, s49, v122
	v_cndmask_b32_e64 v22, v15, v16, s1
	v_bfe_u32 v15, v0, 16, 1
	v_or_b32_e32 v16, 0x400000, v0
	v_cmp_u_f32_e64 s1, v0, v0
	v_and_b32_e32 v22, 0xffff0000, v22
	v_add3_u32 v15, v15, v0, 0x7fff
	v_mul_f32_e32 v0, s49, v121
	v_cndmask_b32_e64 v23, v15, v16, s1
	v_bfe_u32 v15, v0, 16, 1
	v_or_b32_e32 v16, 0x400000, v0
	v_cmp_u_f32_e64 s1, v0, v0
	v_and_b32_e32 v23, 0xffff0000, v23
	;; [unrolled: 7-line block ×4, first 2 shown]
	v_add3_u32 v15, v15, v0, 0x7fff
	v_mul_f32_e32 v0, s49, v118
	v_cndmask_b32_e64 v119, v15, v16, s1
	v_bfe_u32 v15, v0, 16, 1
	v_or_b32_e32 v16, 0x400000, v0
	v_cmp_u_f32_e64 s1, v0, v0
	v_add3_u32 v15, v15, v0, 0x7fff
	v_mul_f32_e32 v0, s49, v125
	v_cndmask_b32_e64 v68, v15, v16, s1
	v_bfe_u32 v15, v0, 16, 1
	v_or_b32_e32 v16, 0x400000, v0
	v_cmp_u_f32_e64 s1, v0, v0
	;; [unrolled: 6-line block ×12, first 2 shown]
	v_add3_u32 v15, v15, v0, 0x7fff
	v_cndmask_b32_e64 v0, v15, v16, s1
	v_mul_f32_e32 v15, s49, v70
	buffer_load_dword v70, off, s[56:59], 0 offset:44 ; 4-byte Folded Reload
	v_and_b32_e32 v0, 0xffff0000, v0
	v_bfe_u32 v16, v15, 16, 1
	v_or_b32_e32 v17, 0x400000, v15
	v_cmp_u_f32_e64 s1, v15, v15
	v_add3_u32 v16, v16, v15, 0x7fff
	v_cndmask_b32_e64 v15, v16, v17, s1
	v_mul_f32_e32 v16, s49, v66
	v_bfe_u32 v17, v16, 16, 1
	v_or_b32_e32 v66, 0x400000, v16
	v_cmp_u_f32_e64 s1, v16, v16
	v_add3_u32 v17, v17, v16, 0x7fff
	v_cndmask_b32_e64 v16, v17, v66, s1
	v_mul_f32_e32 v17, s49, v65
	v_bfe_u32 v65, v17, 16, 1
	v_or_b32_e32 v66, 0x400000, v17
	v_cmp_u_f32_e64 s1, v17, v17
	v_add3_u32 v65, v65, v17, 0x7fff
	v_cndmask_b32_e64 v17, v65, v66, s1
	v_bfe_u32 v65, v13, 16, 1
	v_or_b32_e32 v66, 0x400000, v13
	v_cmp_u_f32_e64 s1, v13, v13
	v_add3_u32 v65, v65, v13, 0x7fff
	v_mul_f32_e32 v13, s49, v14
	v_cndmask_b32_e64 v66, v65, v66, s1
	v_bfe_u32 v14, v13, 16, 1
	v_or_b32_e32 v65, 0x400000, v13
	v_cmp_u_f32_e64 s1, v13, v13
	v_add3_u32 v14, v14, v13, 0x7fff
	v_mul_f32_e32 v13, s49, v74
	buffer_load_dword v74, off, s[56:59], 0 offset:68 ; 4-byte Folded Reload
	v_cndmask_b32_e64 v71, v14, v65, s1
	v_bfe_u32 v14, v13, 16, 1
	v_or_b32_e32 v65, 0x400000, v13
	v_cmp_u_f32_e64 s1, v13, v13
	v_add3_u32 v14, v14, v13, 0x7fff
	v_cndmask_b32_e64 v13, v14, v65, s1
	v_mul_f32_e32 v14, s49, v73
	buffer_load_dword v73, off, s[56:59], 0 offset:64 ; 4-byte Folded Reload
	v_bfe_u32 v65, v14, 16, 1
	v_or_b32_e32 v69, 0x400000, v14
	v_cmp_u_f32_e64 s1, v14, v14
	v_add3_u32 v65, v65, v14, 0x7fff
	v_cndmask_b32_e64 v14, v65, v69, s1
	v_and_b32_e32 v65, 0xffff0000, v68
	buffer_load_dword v68, off, s[56:59], 0 offset:40 ; 4-byte Folded Reload
	v_and_b32_e32 v69, 0xffff0000, v110
	s_waitcnt vmcnt(0)
	v_mul_f32_e32 v68, v68, v65
	buffer_load_dword v65, off, s[56:59], 0 offset:4 ; 4-byte Folded Reload
	s_waitcnt vmcnt(0)
	v_fmac_f32_e32 v68, v65, v69
	v_and_b32_e32 v65, 0xffff0000, v119
	v_and_b32_e32 v69, 0xffff0000, v111
	v_mul_f32_e32 v70, v70, v65
	buffer_load_dword v65, off, s[56:59], 0 offset:12 ; 4-byte Folded Reload
	s_waitcnt vmcnt(0)
	v_fmac_f32_e32 v70, v65, v69
	buffer_load_dword v69, off, s[56:59], 0 offset:48 ; 4-byte Folded Reload
	v_and_b32_e32 v65, 0xffff0000, v112
	s_waitcnt vmcnt(0)
	v_mul_f32_e32 v69, v69, v28
	buffer_load_dword v28, off, s[56:59], 0 offset:16 ; 4-byte Folded Reload
	s_waitcnt vmcnt(0)
	v_fmac_f32_e32 v69, v28, v65
	buffer_load_dword v65, off, s[56:59], 0 offset:52 ; 4-byte Folded Reload
	v_and_b32_e32 v28, 0xffff0000, v113
	s_waitcnt vmcnt(0)
	;; [unrolled: 7-line block ×4, first 2 shown]
	v_mul_f32_e32 v22, v27, v22
	buffer_load_dword v27, off, s[56:59], 0 offset:28 ; 4-byte Folded Reload
	s_waitcnt vmcnt(0)
	v_fmac_f32_e32 v22, v27, v23
	v_and_b32_e32 v23, 0xffff0000, v118
	v_and_b32_e32 v27, 0xffff0000, v117
	v_mul_f32_e32 v23, v73, v23
	buffer_load_dword v73, off, s[56:59], 0 offset:32 ; 4-byte Folded Reload
	s_waitcnt vmcnt(0)
	v_fmac_f32_e32 v23, v73, v27
	v_and_b32_e32 v27, 0xffff0000, v120
	v_and_b32_e32 v73, 0xffff0000, v116
	v_mul_f32_e32 v27, v74, v27
	buffer_load_dword v74, off, s[56:59], 0 offset:36 ; 4-byte Folded Reload
	s_waitcnt vmcnt(0)
	v_fmac_f32_e32 v27, v74, v73
	buffer_load_dword v74, off, s[56:59], 0 offset:72 ; 4-byte Folded Reload
	v_and_b32_e32 v73, 0xffff0000, v79
	s_waitcnt vmcnt(0)
	v_fmac_f32_e32 v68, v74, v73
	buffer_load_dword v74, off, s[56:59], 0 offset:76 ; 4-byte Folded Reload
	v_and_b32_e32 v73, 0xffff0000, v78
	;; [unrolled: 4-line block ×5, first 2 shown]
	s_waitcnt vmcnt(0)
	v_fmac_f32_e32 v28, v74, v73
	buffer_load_dword v73, off, s[56:59], 0 offset:92 ; 4-byte Folded Reload
	s_waitcnt vmcnt(0)
	v_fmac_f32_e32 v22, v73, v72
	buffer_load_dword v73, off, s[56:59], 0 offset:96 ; 4-byte Folded Reload
	v_and_b32_e32 v72, 0xffff0000, v126
	s_waitcnt vmcnt(0)
	v_fmac_f32_e32 v23, v73, v72
	buffer_load_dword v73, off, s[56:59], 0 offset:100 ; 4-byte Folded Reload
	v_and_b32_e32 v72, 0xffff0000, v127
	s_waitcnt vmcnt(0)
	v_fmac_f32_e32 v27, v73, v72
	buffer_load_dword v72, off, s[56:59], 0 offset:104 ; 4-byte Folded Reload
	s_waitcnt vmcnt(0)
	v_fmac_f32_e32 v68, v72, v36
	buffer_load_dword v36, off, s[56:59], 0 offset:108 ; 4-byte Folded Reload
	;; [unrolled: 3-line block ×3, first 2 shown]
	s_waitcnt vmcnt(0)
	v_fmac_f32_e32 v69, v35, v20
	v_and_b32_e32 v20, 0xffff0000, v21
	buffer_load_dword v21, off, s[56:59], 0 offset:116 ; 4-byte Folded Reload
	s_waitcnt vmcnt(0)
	v_fmac_f32_e32 v65, v21, v20
	buffer_load_dword v21, off, s[56:59], 0 offset:120 ; 4-byte Folded Reload
	v_and_b32_e32 v20, 0xffff0000, v26
	s_waitcnt vmcnt(0)
	v_fmac_f32_e32 v28, v21, v20
	buffer_load_dword v21, off, s[56:59], 0 offset:124 ; 4-byte Folded Reload
	v_and_b32_e32 v20, 0xffff0000, v25
	s_waitcnt vmcnt(0)
	v_fmac_f32_e32 v22, v21, v20
	buffer_load_dword v20, off, s[56:59], 0 offset:128 ; 4-byte Folded Reload
	s_waitcnt vmcnt(0)
	v_fmac_f32_e32 v23, v20, v18
	v_and_b32_e32 v18, 0xffff0000, v19
	buffer_load_dword v19, off, s[56:59], 0 offset:132 ; 4-byte Folded Reload
	s_waitcnt vmcnt(0)
	v_fmac_f32_e32 v27, v19, v18
	buffer_load_dword v19, off, s[56:59], 0 offset:136 ; 4-byte Folded Reload
	v_and_b32_e32 v18, 0xffff0000, v44
	s_waitcnt vmcnt(0)
	v_fmac_f32_e32 v68, v19, v18
	buffer_load_dword v19, off, s[56:59], 0 offset:140 ; 4-byte Folded Reload
	v_and_b32_e32 v18, 0xffff0000, v43
	;; [unrolled: 4-line block ×29, first 2 shown]
	v_fmac_f32_e32 v65, v86, v12
	v_and_b32_e32 v12, 0xffff0000, v17
	s_waitcnt vmcnt(0)
	v_fmac_f32_e32 v28, v19, v18
	v_and_b32_e32 v18, 0xffff0000, v57
	v_fmac_f32_e32 v28, v87, v7
	v_fmac_f32_e32 v22, v80, v18
	v_and_b32_e32 v18, 0xffff0000, v53
	v_and_b32_e32 v7, 0xffff0000, v16
	v_fmac_f32_e32 v22, v88, v1
	v_fmac_f32_e32 v23, v81, v18
	v_and_b32_e32 v18, 0xffff0000, v54
	v_fmac_f32_e32 v65, v95, v7
	v_and_b32_e32 v1, 0xffff0000, v15
	v_fmac_f32_e32 v22, v97, v0
	v_fmac_f32_e32 v27, v82, v18
	v_and_b32_e32 v18, 0xffff0000, v62
	v_fmac_f32_e32 v28, v96, v1
	;; [unrolled: 3-line block ×3, first 2 shown]
	v_and_b32_e32 v18, 0xffff0000, v63
	v_fmac_f32_e32 v69, v85, v18
	v_and_b32_e32 v18, 0xffff0000, v71
	v_fmac_f32_e32 v69, v93, v12
	v_fmac_f32_e32 v68, v91, v18
	v_and_b32_e32 v18, 0xffff0000, v66
	v_fmac_f32_e32 v70, v92, v18
	v_add_f32_e32 v12, v68, v70
	v_add_f32_e32 v7, v12, v69
	;; [unrolled: 1-line block ×3, first 2 shown]
	v_and_b32_e32 v7, 0xffff0000, v11
	v_add_f32_e32 v0, v1, v28
	v_and_b32_e32 v1, 0xffff0000, v8
	v_fmac_f32_e32 v23, v89, v7
	v_add_f32_e32 v0, v0, v22
	v_fmac_f32_e32 v27, v90, v1
	v_and_b32_e32 v1, 0xffff0000, v13
	v_fmac_f32_e32 v23, v98, v1
	v_and_b32_e32 v1, 0xffff0000, v14
	v_add_f32_e32 v0, v0, v23
	v_fmac_f32_e32 v27, v99, v1
	v_add_nc_u32_e32 v1, v101, v103
	v_add_f32_e32 v0, v0, v27
	v_cvt_f32_i32_e32 v1, v1
	v_mul_f32_e32 v1, s42, v1
	v_cndmask_b32_e32 v1, 0, v1, vcc_lo
	v_fmac_f32_e32 v1, s3, v0
	buffer_load_dword v0, off, s[56:59], 0  ; 4-byte Folded Reload
	s_waitcnt vmcnt(0)
	v_add_nc_u32_e32 v0, v0, v103
	v_cmp_gt_i32_e64 s1, s31, v0
	v_max_f32_e32 v0, v94, v94
	v_max_f32_e32 v0, v0, v1
	v_cndmask_b32_e64 v1, 0, v1, s1
	v_cndmask_b32_e64 v94, v94, v0, s1
	ds_write_b32 v102, v1
.LBB373_15:                             ;   in Loop: Header=BB373_16 Depth=1
	s_or_b32 exec_lo, exec_lo, s2
	v_add_nc_u32_e32 v109, 4, v109
	v_add_co_u32 v3, s2, v3, 16
	v_add_co_ci_u32_e64 v4, null, 0, v4, s2
	v_cmp_le_i32_e64 s1, s20, v109
	v_add_nc_u32_e32 v103, 0x80, v103
	v_add_nc_u32_e32 v102, 0x200, v102
	s_or_b32 s48, s1, s48
	s_andn2_b32 exec_lo, exec_lo, s48
	s_cbranch_execz .LBB373_616
.LBB373_16:                             ; =>This Inner Loop Header: Depth=1
	v_sub_nc_u32_e32 v0, 0, v103
	v_max_i32_e32 v0, v103, v0
	v_mul_hi_u32 v1, v0, s16
	v_mul_lo_u32 v7, v1, s11
	v_sub_nc_u32_e32 v0, v0, v7
	v_add_nc_u32_e32 v7, 1, v1
	v_subrev_nc_u32_e32 v8, s11, v0
	v_cmp_le_u32_e64 s1, s11, v0
	v_cndmask_b32_e64 v1, v1, v7, s1
	v_cndmask_b32_e64 v0, v0, v8, s1
	v_ashrrev_i32_e32 v7, 31, v103
	v_add_nc_u32_e32 v8, 1, v1
	v_cmp_le_u32_e64 s1, s11, v0
	v_xor_b32_e32 v7, s23, v7
	v_cndmask_b32_e64 v0, v1, v8, s1
	v_xor_b32_e32 v0, v0, v7
	v_sub_nc_u32_e32 v0, v0, v7
	v_add_nc_u32_e32 v1, s19, v0
	v_cmp_ge_i32_e64 s2, s45, v0
	v_sub_nc_u32_e32 v7, 0, v1
	v_max_i32_e32 v7, v1, v7
	v_ashrrev_i32_e32 v1, 31, v1
	v_mul_hi_u32 v8, v7, v100
	v_mul_lo_u32 v8, v8, s46
	v_sub_nc_u32_e32 v7, v7, v8
	v_subrev_nc_u32_e32 v8, s46, v7
	v_cmp_le_u32_e64 s1, s46, v7
	v_cndmask_b32_e64 v7, v7, v8, s1
	v_subrev_nc_u32_e32 v8, s46, v7
	v_cmp_le_u32_e64 s1, s46, v7
	v_cndmask_b32_e64 v7, v7, v8, s1
	v_xor_b32_e32 v7, v7, v1
	v_sub_nc_u32_e32 v1, v7, v1
	v_cmp_ne_u32_e64 s1, 0, v1
	s_and_b32 s1, s1, s2
	s_and_saveexec_b32 s2, s1
	s_xor_b32 s1, exec_lo, s2
; %bb.17:                               ;   in Loop: Header=BB373_16 Depth=1
	v_mov_b32_e32 v0, 0xff7fffff
	ds_write_b32 v102, v0
; %bb.18:                               ;   in Loop: Header=BB373_16 Depth=1
	s_andn2_saveexec_b32 s2, s1
	s_cbranch_execz .LBB373_15
; %bb.19:                               ;   in Loop: Header=BB373_16 Depth=1
	global_load_dword v0, v[3:4], off
	s_load_dword s49, s[12:13], 0x0
	v_mov_b32_e32 v111, 0
	v_mov_b32_e32 v110, 0
	s_waitcnt vmcnt(0)
	v_mad_i64_i32 v[7:8], null, v0, s47, v[5:6]
	global_load_dwordx2 v[11:12], v[7:8], off
	s_waitcnt vmcnt(0)
	v_cmp_ne_u16_sdwa s1, v11, v2 src0_sel:BYTE_0 src1_sel:DWORD
	s_and_saveexec_b32 s50, s1
	s_cbranch_execz .LBB373_25
; %bb.20:                               ;   in Loop: Header=BB373_16 Depth=1
	v_cmp_ne_u16_sdwa s1, v11, v104 src0_sel:BYTE_0 src1_sel:DWORD
	v_bfrev_b32_e32 v110, 1
	s_and_saveexec_b32 s51, s1
	s_cbranch_execz .LBB373_24
; %bb.21:                               ;   in Loop: Header=BB373_16 Depth=1
	v_and_b32_e32 v0, 0x7f, v11
	v_mov_b32_e32 v110, 0x7f800001
	s_mov_b32 s52, exec_lo
	v_cmpx_ne_u32_e32 0x7f, v0
	s_cbranch_execz .LBB373_23
; %bb.22:                               ;   in Loop: Header=BB373_16 Depth=1
	v_and_b32_e32 v1, 7, v11
	v_cmp_gt_u32_e64 s1, 8, v0
	v_lshrrev_b32_e32 v13, 3, v0
	v_ffbh_u32_e32 v1, v1
	v_min_u32_e32 v1, 32, v1
	v_subrev_nc_u32_e32 v14, 28, v1
	v_sub_nc_u32_e32 v1, 29, v1
	v_cndmask_b32_e64 v0, 0, v14, s1
	v_cndmask_b32_e64 v13, v13, v1, s1
	v_lshlrev_b64 v[0:1], v0, v[11:12]
	v_lshlrev_b32_e32 v1, 24, v11
	v_lshl_add_u32 v13, v13, 23, 0x3c000000
	v_lshlrev_b32_e32 v0, 20, v0
	v_and_b32_e32 v1, 0x80000000, v1
	v_and_b32_e32 v0, 0x700000, v0
	v_or3_b32 v110, v0, v1, v13
.LBB373_23:                             ;   in Loop: Header=BB373_16 Depth=1
	s_or_b32 exec_lo, exec_lo, s52
.LBB373_24:                             ;   in Loop: Header=BB373_16 Depth=1
	s_or_b32 exec_lo, exec_lo, s51
.LBB373_25:                             ;   in Loop: Header=BB373_16 Depth=1
	s_or_b32 exec_lo, exec_lo, s50
	v_cmp_ne_u16_sdwa s1, v11, v2 src0_sel:BYTE_1 src1_sel:DWORD
	s_and_saveexec_b32 s50, s1
	s_cbranch_execz .LBB373_33
; %bb.26:                               ;   in Loop: Header=BB373_16 Depth=1
	v_cmp_ne_u16_sdwa s1, v11, v104 src0_sel:BYTE_1 src1_sel:DWORD
	v_bfrev_b32_e32 v111, 1
	s_and_saveexec_b32 s51, s1
	s_cbranch_execz .LBB373_32
; %bb.27:                               ;   in Loop: Header=BB373_16 Depth=1
	v_and_b32_sdwa v0, v105, v11 dst_sel:DWORD dst_unused:UNUSED_PAD src0_sel:DWORD src1_sel:BYTE_1
	v_mov_b32_e32 v111, 0x7f800001
	s_mov_b32 s52, exec_lo
	v_and_b32_e32 v13, 0x7f, v0
	v_cmpx_ne_u32_e32 0x7f, v13
	s_cbranch_execz .LBB373_31
; %bb.28:                               ;   in Loop: Header=BB373_16 Depth=1
	v_and_b32_e32 v1, 7, v0
	v_lshrrev_b32_e32 v0, 3, v13
	s_mov_b32 s53, exec_lo
	v_cmpx_gt_u32_e32 8, v13
; %bb.29:                               ;   in Loop: Header=BB373_16 Depth=1
	v_ffbh_u32_e32 v0, v1
	v_min_u32_e32 v0, 32, v0
	v_subrev_nc_u32_e32 v13, 28, v0
	v_sub_nc_u32_e32 v0, 29, v0
	v_lshlrev_b64 v[13:14], v13, v[1:2]
	v_and_b32_e32 v1, 7, v13
; %bb.30:                               ;   in Loop: Header=BB373_16 Depth=1
	s_or_b32 exec_lo, exec_lo, s53
	v_lshlrev_b32_e32 v13, 16, v11
	v_lshlrev_b32_e32 v1, 20, v1
	v_lshl_add_u32 v0, v0, 23, 0x3c000000
	v_and_b32_e32 v13, 0x80000000, v13
	v_or3_b32 v111, v1, v13, v0
.LBB373_31:                             ;   in Loop: Header=BB373_16 Depth=1
	s_or_b32 exec_lo, exec_lo, s52
.LBB373_32:                             ;   in Loop: Header=BB373_16 Depth=1
	s_or_b32 exec_lo, exec_lo, s51
.LBB373_33:                             ;   in Loop: Header=BB373_16 Depth=1
	s_or_b32 exec_lo, exec_lo, s50
	v_and_b32_sdwa v0, v11, v106 dst_sel:DWORD dst_unused:UNUSED_PAD src0_sel:WORD_1 src1_sel:DWORD
	v_mov_b32_e32 v113, 0
	v_mov_b32_e32 v112, 0
	s_mov_b32 s50, exec_lo
	v_cmpx_ne_u16_e32 0, v0
	s_cbranch_execz .LBB373_41
; %bb.34:                               ;   in Loop: Header=BB373_16 Depth=1
	v_bfrev_b32_e32 v112, 1
	s_mov_b32 s51, exec_lo
	v_cmpx_ne_u16_e32 0x80, v0
	s_cbranch_execz .LBB373_40
; %bb.35:                               ;   in Loop: Header=BB373_16 Depth=1
	v_bfe_u32 v13, v11, 16, 7
	v_mov_b32_e32 v112, 0x7f800001
	s_mov_b32 s52, exec_lo
	v_cmpx_ne_u32_e32 0x7f, v13
	s_cbranch_execz .LBB373_39
; %bb.36:                               ;   in Loop: Header=BB373_16 Depth=1
	v_and_b32_sdwa v1, v11, v107 dst_sel:DWORD dst_unused:UNUSED_PAD src0_sel:WORD_1 src1_sel:DWORD
	v_lshrrev_b32_e32 v0, 3, v13
	s_mov_b32 s53, exec_lo
	v_cmpx_gt_u32_e32 8, v13
; %bb.37:                               ;   in Loop: Header=BB373_16 Depth=1
	v_ffbh_u32_e32 v0, v1
	v_min_u32_e32 v0, 32, v0
	v_subrev_nc_u32_e32 v13, 28, v0
	v_sub_nc_u32_e32 v0, 29, v0
	v_lshlrev_b64 v[13:14], v13, v[1:2]
	v_and_b32_e32 v1, 7, v13
; %bb.38:                               ;   in Loop: Header=BB373_16 Depth=1
	s_or_b32 exec_lo, exec_lo, s53
	v_lshlrev_b32_sdwa v13, v108, v11 dst_sel:DWORD dst_unused:UNUSED_PAD src0_sel:DWORD src1_sel:WORD_1
	v_lshlrev_b32_e32 v1, 20, v1
	v_lshl_add_u32 v0, v0, 23, 0x3c000000
	v_and_b32_e32 v13, 0x80000000, v13
	v_or3_b32 v112, v1, v13, v0
.LBB373_39:                             ;   in Loop: Header=BB373_16 Depth=1
	s_or_b32 exec_lo, exec_lo, s52
.LBB373_40:                             ;   in Loop: Header=BB373_16 Depth=1
	s_or_b32 exec_lo, exec_lo, s51
.LBB373_41:                             ;   in Loop: Header=BB373_16 Depth=1
	s_or_b32 exec_lo, exec_lo, s50
	s_mov_b32 s50, exec_lo
	v_cmpx_lt_u32_e32 0xffffff, v11
	s_cbranch_execz .LBB373_49
; %bb.42:                               ;   in Loop: Header=BB373_16 Depth=1
	v_cmp_ne_u32_sdwa s1, v11, v104 src0_sel:BYTE_3 src1_sel:DWORD
	v_bfrev_b32_e32 v113, 1
	s_and_saveexec_b32 s51, s1
	s_cbranch_execz .LBB373_48
; %bb.43:                               ;   in Loop: Header=BB373_16 Depth=1
	v_bfe_u32 v13, v11, 24, 7
	v_mov_b32_e32 v113, 0x7f800001
	s_mov_b32 s52, exec_lo
	v_cmpx_ne_u32_e32 0x7f, v13
	s_cbranch_execz .LBB373_47
; %bb.44:                               ;   in Loop: Header=BB373_16 Depth=1
	v_and_b32_sdwa v1, v11, v107 dst_sel:DWORD dst_unused:UNUSED_PAD src0_sel:BYTE_3 src1_sel:DWORD
	v_lshrrev_b32_e32 v0, 3, v13
	s_mov_b32 s53, exec_lo
	v_cmpx_gt_u32_e32 8, v13
; %bb.45:                               ;   in Loop: Header=BB373_16 Depth=1
	v_ffbh_u32_e32 v0, v1
	v_min_u32_e32 v0, 32, v0
	v_subrev_nc_u32_e32 v13, 28, v0
	v_sub_nc_u32_e32 v0, 29, v0
	v_lshlrev_b64 v[13:14], v13, v[1:2]
	v_and_b32_e32 v1, 7, v13
; %bb.46:                               ;   in Loop: Header=BB373_16 Depth=1
	s_or_b32 exec_lo, exec_lo, s53
	v_lshlrev_b32_sdwa v13, v108, v11 dst_sel:DWORD dst_unused:UNUSED_PAD src0_sel:DWORD src1_sel:BYTE_3
	v_lshlrev_b32_e32 v1, 20, v1
	v_lshl_add_u32 v0, v0, 23, 0x3c000000
	v_and_b32_e32 v13, 0x80000000, v13
	v_or3_b32 v113, v1, v13, v0
.LBB373_47:                             ;   in Loop: Header=BB373_16 Depth=1
	s_or_b32 exec_lo, exec_lo, s52
.LBB373_48:                             ;   in Loop: Header=BB373_16 Depth=1
	s_or_b32 exec_lo, exec_lo, s51
.LBB373_49:                             ;   in Loop: Header=BB373_16 Depth=1
	s_or_b32 exec_lo, exec_lo, s50
	v_mov_b32_e32 v1, v12
	v_cmp_ne_u16_sdwa s1, v12, v2 src0_sel:BYTE_0 src1_sel:DWORD
	v_mov_b32_e32 v115, 0
	v_mov_b32_e32 v114, 0
	s_and_saveexec_b32 s50, s1
	s_cbranch_execz .LBB373_55
; %bb.50:                               ;   in Loop: Header=BB373_16 Depth=1
	v_cmp_ne_u16_sdwa s1, v12, v104 src0_sel:BYTE_0 src1_sel:DWORD
	v_bfrev_b32_e32 v114, 1
	s_and_saveexec_b32 s51, s1
	s_cbranch_execz .LBB373_54
; %bb.51:                               ;   in Loop: Header=BB373_16 Depth=1
	v_and_b32_e32 v0, 0x7f, v12
	v_mov_b32_e32 v114, 0x7f800001
	s_mov_b32 s52, exec_lo
	v_cmpx_ne_u32_e32 0x7f, v0
	s_cbranch_execz .LBB373_53
; %bb.52:                               ;   in Loop: Header=BB373_16 Depth=1
	v_and_b32_e32 v13, 7, v12
	v_lshrrev_b32_e32 v14, 3, v0
	v_cmp_gt_u32_e64 s1, 8, v0
	v_ffbh_u32_e32 v13, v13
	v_min_u32_e32 v13, 32, v13
	v_subrev_nc_u32_e32 v15, 28, v13
	v_sub_nc_u32_e32 v13, 29, v13
	v_cndmask_b32_e64 v0, v14, v13, s1
	v_cndmask_b32_e64 v13, 0, v15, s1
	v_lshl_add_u32 v0, v0, 23, 0x3c000000
	v_lshlrev_b64 v[13:14], v13, v[1:2]
	v_lshlrev_b32_e32 v14, 24, v1
	v_lshlrev_b32_e32 v13, 20, v13
	v_and_b32_e32 v14, 0x80000000, v14
	v_and_b32_e32 v13, 0x700000, v13
	v_or3_b32 v114, v13, v14, v0
.LBB373_53:                             ;   in Loop: Header=BB373_16 Depth=1
	s_or_b32 exec_lo, exec_lo, s52
.LBB373_54:                             ;   in Loop: Header=BB373_16 Depth=1
	s_or_b32 exec_lo, exec_lo, s51
.LBB373_55:                             ;   in Loop: Header=BB373_16 Depth=1
	s_or_b32 exec_lo, exec_lo, s50
	v_cmp_ne_u16_sdwa s1, v1, v2 src0_sel:BYTE_1 src1_sel:DWORD
	s_and_saveexec_b32 s50, s1
	s_cbranch_execz .LBB373_63
; %bb.56:                               ;   in Loop: Header=BB373_16 Depth=1
	v_cmp_ne_u16_sdwa s1, v1, v104 src0_sel:BYTE_1 src1_sel:DWORD
	v_bfrev_b32_e32 v115, 1
	s_and_saveexec_b32 s51, s1
	s_cbranch_execz .LBB373_62
; %bb.57:                               ;   in Loop: Header=BB373_16 Depth=1
	v_and_b32_sdwa v0, v105, v1 dst_sel:DWORD dst_unused:UNUSED_PAD src0_sel:DWORD src1_sel:BYTE_1
	v_mov_b32_e32 v115, 0x7f800001
	s_mov_b32 s52, exec_lo
	v_and_b32_e32 v15, 0x7f, v0
	v_cmpx_ne_u32_e32 0x7f, v15
	s_cbranch_execz .LBB373_61
; %bb.58:                               ;   in Loop: Header=BB373_16 Depth=1
	v_and_b32_e32 v13, 7, v0
	v_mov_b32_e32 v14, v2
	v_lshrrev_b32_e32 v0, 3, v15
	s_mov_b32 s53, exec_lo
	v_cmpx_gt_u32_e32 8, v15
; %bb.59:                               ;   in Loop: Header=BB373_16 Depth=1
	v_ffbh_u32_e32 v0, v13
	v_min_u32_e32 v0, 32, v0
	v_subrev_nc_u32_e32 v15, 28, v0
	v_sub_nc_u32_e32 v0, 29, v0
	v_lshlrev_b64 v[13:14], v15, v[13:14]
	v_and_b32_e32 v13, 7, v13
; %bb.60:                               ;   in Loop: Header=BB373_16 Depth=1
	s_or_b32 exec_lo, exec_lo, s53
	v_lshlrev_b32_e32 v1, 16, v1
	v_lshlrev_b32_e32 v13, 20, v13
	v_lshl_add_u32 v0, v0, 23, 0x3c000000
	v_and_b32_e32 v1, 0x80000000, v1
	v_or3_b32 v115, v13, v1, v0
.LBB373_61:                             ;   in Loop: Header=BB373_16 Depth=1
	s_or_b32 exec_lo, exec_lo, s52
.LBB373_62:                             ;   in Loop: Header=BB373_16 Depth=1
	s_or_b32 exec_lo, exec_lo, s51
.LBB373_63:                             ;   in Loop: Header=BB373_16 Depth=1
	s_or_b32 exec_lo, exec_lo, s50
	v_and_b32_sdwa v0, v12, v106 dst_sel:DWORD dst_unused:UNUSED_PAD src0_sel:WORD_1 src1_sel:DWORD
	v_mov_b32_e32 v116, 0
	v_mov_b32_e32 v117, 0
	s_mov_b32 s50, exec_lo
	v_cmpx_ne_u16_e32 0, v0
	s_cbranch_execz .LBB373_71
; %bb.64:                               ;   in Loop: Header=BB373_16 Depth=1
	v_bfrev_b32_e32 v117, 1
	s_mov_b32 s51, exec_lo
	v_cmpx_ne_u16_e32 0x80, v0
	s_cbranch_execz .LBB373_70
; %bb.65:                               ;   in Loop: Header=BB373_16 Depth=1
	v_bfe_u32 v13, v12, 16, 7
	v_mov_b32_e32 v117, 0x7f800001
	s_mov_b32 s52, exec_lo
	v_cmpx_ne_u32_e32 0x7f, v13
	s_cbranch_execz .LBB373_69
; %bb.66:                               ;   in Loop: Header=BB373_16 Depth=1
	v_and_b32_sdwa v1, v12, v107 dst_sel:DWORD dst_unused:UNUSED_PAD src0_sel:WORD_1 src1_sel:DWORD
	v_lshrrev_b32_e32 v0, 3, v13
	s_mov_b32 s53, exec_lo
	v_cmpx_gt_u32_e32 8, v13
; %bb.67:                               ;   in Loop: Header=BB373_16 Depth=1
	v_ffbh_u32_e32 v0, v1
	v_min_u32_e32 v0, 32, v0
	v_subrev_nc_u32_e32 v13, 28, v0
	v_sub_nc_u32_e32 v0, 29, v0
	v_lshlrev_b64 v[13:14], v13, v[1:2]
	v_and_b32_e32 v1, 7, v13
; %bb.68:                               ;   in Loop: Header=BB373_16 Depth=1
	s_or_b32 exec_lo, exec_lo, s53
	v_lshlrev_b32_sdwa v13, v108, v12 dst_sel:DWORD dst_unused:UNUSED_PAD src0_sel:DWORD src1_sel:WORD_1
	v_lshlrev_b32_e32 v1, 20, v1
	v_lshl_add_u32 v0, v0, 23, 0x3c000000
	v_and_b32_e32 v13, 0x80000000, v13
	v_or3_b32 v117, v1, v13, v0
.LBB373_69:                             ;   in Loop: Header=BB373_16 Depth=1
	s_or_b32 exec_lo, exec_lo, s52
.LBB373_70:                             ;   in Loop: Header=BB373_16 Depth=1
	s_or_b32 exec_lo, exec_lo, s51
.LBB373_71:                             ;   in Loop: Header=BB373_16 Depth=1
	s_or_b32 exec_lo, exec_lo, s50
	s_mov_b32 s50, exec_lo
	v_cmpx_lt_u64_e64 s[4:5], v[11:12]
	s_cbranch_execz .LBB373_79
; %bb.72:                               ;   in Loop: Header=BB373_16 Depth=1
	v_cmp_ne_u32_sdwa s1, v12, v104 src0_sel:BYTE_3 src1_sel:DWORD
	v_bfrev_b32_e32 v116, 1
	s_and_saveexec_b32 s51, s1
	s_cbranch_execz .LBB373_78
; %bb.73:                               ;   in Loop: Header=BB373_16 Depth=1
	v_bfe_u32 v11, v12, 24, 7
	v_mov_b32_e32 v116, 0x7f800001
	s_mov_b32 s52, exec_lo
	v_cmpx_ne_u32_e32 0x7f, v11
	s_cbranch_execz .LBB373_77
; %bb.74:                               ;   in Loop: Header=BB373_16 Depth=1
	v_and_b32_sdwa v1, v12, v107 dst_sel:DWORD dst_unused:UNUSED_PAD src0_sel:BYTE_3 src1_sel:DWORD
	v_lshrrev_b32_e32 v0, 3, v11
	s_mov_b32 s53, exec_lo
	v_cmpx_gt_u32_e32 8, v11
; %bb.75:                               ;   in Loop: Header=BB373_16 Depth=1
	v_ffbh_u32_e32 v0, v1
	v_min_u32_e32 v0, 32, v0
	v_subrev_nc_u32_e32 v11, 28, v0
	v_sub_nc_u32_e32 v0, 29, v0
	v_lshlrev_b64 v[13:14], v11, v[1:2]
	v_and_b32_e32 v1, 7, v13
; %bb.76:                               ;   in Loop: Header=BB373_16 Depth=1
	s_or_b32 exec_lo, exec_lo, s53
	v_lshlrev_b32_sdwa v11, v108, v12 dst_sel:DWORD dst_unused:UNUSED_PAD src0_sel:DWORD src1_sel:BYTE_3
	v_lshlrev_b32_e32 v1, 20, v1
	v_lshl_add_u32 v0, v0, 23, 0x3c000000
	v_and_b32_e32 v11, 0x80000000, v11
	v_or3_b32 v116, v1, v11, v0
.LBB373_77:                             ;   in Loop: Header=BB373_16 Depth=1
	s_or_b32 exec_lo, exec_lo, s52
.LBB373_78:                             ;   in Loop: Header=BB373_16 Depth=1
	s_or_b32 exec_lo, exec_lo, s51
.LBB373_79:                             ;   in Loop: Header=BB373_16 Depth=1
	s_or_b32 exec_lo, exec_lo, s50
	global_load_dwordx2 v[11:12], v[7:8], off offset:8
	v_mov_b32_e32 v119, 0
	v_mov_b32_e32 v118, 0
	s_waitcnt vmcnt(0)
	v_cmp_ne_u16_sdwa s1, v11, v2 src0_sel:BYTE_0 src1_sel:DWORD
	s_and_saveexec_b32 s50, s1
	s_cbranch_execz .LBB373_85
; %bb.80:                               ;   in Loop: Header=BB373_16 Depth=1
	v_cmp_ne_u16_sdwa s1, v11, v104 src0_sel:BYTE_0 src1_sel:DWORD
	v_bfrev_b32_e32 v118, 1
	s_and_saveexec_b32 s51, s1
	s_cbranch_execz .LBB373_84
; %bb.81:                               ;   in Loop: Header=BB373_16 Depth=1
	v_and_b32_e32 v0, 0x7f, v11
	v_mov_b32_e32 v118, 0x7f800001
	s_mov_b32 s52, exec_lo
	v_cmpx_ne_u32_e32 0x7f, v0
	s_cbranch_execz .LBB373_83
; %bb.82:                               ;   in Loop: Header=BB373_16 Depth=1
	v_and_b32_e32 v1, 7, v11
	v_cmp_gt_u32_e64 s1, 8, v0
	v_lshrrev_b32_e32 v13, 3, v0
	v_ffbh_u32_e32 v1, v1
	v_min_u32_e32 v1, 32, v1
	v_subrev_nc_u32_e32 v14, 28, v1
	v_sub_nc_u32_e32 v1, 29, v1
	v_cndmask_b32_e64 v0, 0, v14, s1
	v_cndmask_b32_e64 v13, v13, v1, s1
	v_lshlrev_b64 v[0:1], v0, v[11:12]
	v_lshlrev_b32_e32 v1, 24, v11
	v_lshl_add_u32 v13, v13, 23, 0x3c000000
	v_lshlrev_b32_e32 v0, 20, v0
	v_and_b32_e32 v1, 0x80000000, v1
	v_and_b32_e32 v0, 0x700000, v0
	v_or3_b32 v118, v0, v1, v13
.LBB373_83:                             ;   in Loop: Header=BB373_16 Depth=1
	s_or_b32 exec_lo, exec_lo, s52
.LBB373_84:                             ;   in Loop: Header=BB373_16 Depth=1
	s_or_b32 exec_lo, exec_lo, s51
.LBB373_85:                             ;   in Loop: Header=BB373_16 Depth=1
	s_or_b32 exec_lo, exec_lo, s50
	v_cmp_ne_u16_sdwa s1, v11, v2 src0_sel:BYTE_1 src1_sel:DWORD
	s_and_saveexec_b32 s50, s1
	s_cbranch_execz .LBB373_93
; %bb.86:                               ;   in Loop: Header=BB373_16 Depth=1
	v_cmp_ne_u16_sdwa s1, v11, v104 src0_sel:BYTE_1 src1_sel:DWORD
	v_bfrev_b32_e32 v119, 1
	s_and_saveexec_b32 s51, s1
	s_cbranch_execz .LBB373_92
; %bb.87:                               ;   in Loop: Header=BB373_16 Depth=1
	v_and_b32_sdwa v0, v105, v11 dst_sel:DWORD dst_unused:UNUSED_PAD src0_sel:DWORD src1_sel:BYTE_1
	v_mov_b32_e32 v119, 0x7f800001
	s_mov_b32 s52, exec_lo
	v_and_b32_e32 v13, 0x7f, v0
	v_cmpx_ne_u32_e32 0x7f, v13
	s_cbranch_execz .LBB373_91
; %bb.88:                               ;   in Loop: Header=BB373_16 Depth=1
	v_and_b32_e32 v1, 7, v0
	v_lshrrev_b32_e32 v0, 3, v13
	s_mov_b32 s53, exec_lo
	v_cmpx_gt_u32_e32 8, v13
; %bb.89:                               ;   in Loop: Header=BB373_16 Depth=1
	v_ffbh_u32_e32 v0, v1
	v_min_u32_e32 v0, 32, v0
	v_subrev_nc_u32_e32 v13, 28, v0
	v_sub_nc_u32_e32 v0, 29, v0
	v_lshlrev_b64 v[13:14], v13, v[1:2]
	v_and_b32_e32 v1, 7, v13
; %bb.90:                               ;   in Loop: Header=BB373_16 Depth=1
	s_or_b32 exec_lo, exec_lo, s53
	v_lshlrev_b32_e32 v13, 16, v11
	v_lshlrev_b32_e32 v1, 20, v1
	v_lshl_add_u32 v0, v0, 23, 0x3c000000
	v_and_b32_e32 v13, 0x80000000, v13
	v_or3_b32 v119, v1, v13, v0
.LBB373_91:                             ;   in Loop: Header=BB373_16 Depth=1
	s_or_b32 exec_lo, exec_lo, s52
.LBB373_92:                             ;   in Loop: Header=BB373_16 Depth=1
	s_or_b32 exec_lo, exec_lo, s51
.LBB373_93:                             ;   in Loop: Header=BB373_16 Depth=1
	s_or_b32 exec_lo, exec_lo, s50
	v_and_b32_sdwa v0, v11, v106 dst_sel:DWORD dst_unused:UNUSED_PAD src0_sel:WORD_1 src1_sel:DWORD
	v_mov_b32_e32 v121, 0
	v_mov_b32_e32 v120, 0
	s_mov_b32 s50, exec_lo
	v_cmpx_ne_u16_e32 0, v0
	s_cbranch_execz .LBB373_101
; %bb.94:                               ;   in Loop: Header=BB373_16 Depth=1
	v_bfrev_b32_e32 v120, 1
	s_mov_b32 s51, exec_lo
	v_cmpx_ne_u16_e32 0x80, v0
	s_cbranch_execz .LBB373_100
; %bb.95:                               ;   in Loop: Header=BB373_16 Depth=1
	v_bfe_u32 v13, v11, 16, 7
	v_mov_b32_e32 v120, 0x7f800001
	s_mov_b32 s52, exec_lo
	v_cmpx_ne_u32_e32 0x7f, v13
	s_cbranch_execz .LBB373_99
; %bb.96:                               ;   in Loop: Header=BB373_16 Depth=1
	v_and_b32_sdwa v1, v11, v107 dst_sel:DWORD dst_unused:UNUSED_PAD src0_sel:WORD_1 src1_sel:DWORD
	v_lshrrev_b32_e32 v0, 3, v13
	s_mov_b32 s53, exec_lo
	v_cmpx_gt_u32_e32 8, v13
; %bb.97:                               ;   in Loop: Header=BB373_16 Depth=1
	v_ffbh_u32_e32 v0, v1
	v_min_u32_e32 v0, 32, v0
	v_subrev_nc_u32_e32 v13, 28, v0
	v_sub_nc_u32_e32 v0, 29, v0
	v_lshlrev_b64 v[13:14], v13, v[1:2]
	v_and_b32_e32 v1, 7, v13
; %bb.98:                               ;   in Loop: Header=BB373_16 Depth=1
	s_or_b32 exec_lo, exec_lo, s53
	v_lshlrev_b32_sdwa v13, v108, v11 dst_sel:DWORD dst_unused:UNUSED_PAD src0_sel:DWORD src1_sel:WORD_1
	v_lshlrev_b32_e32 v1, 20, v1
	v_lshl_add_u32 v0, v0, 23, 0x3c000000
	v_and_b32_e32 v13, 0x80000000, v13
	v_or3_b32 v120, v1, v13, v0
.LBB373_99:                             ;   in Loop: Header=BB373_16 Depth=1
	s_or_b32 exec_lo, exec_lo, s52
.LBB373_100:                            ;   in Loop: Header=BB373_16 Depth=1
	s_or_b32 exec_lo, exec_lo, s51
.LBB373_101:                            ;   in Loop: Header=BB373_16 Depth=1
	s_or_b32 exec_lo, exec_lo, s50
	s_mov_b32 s50, exec_lo
	v_cmpx_lt_u32_e32 0xffffff, v11
	s_cbranch_execz .LBB373_109
; %bb.102:                              ;   in Loop: Header=BB373_16 Depth=1
	v_cmp_ne_u32_sdwa s1, v11, v104 src0_sel:BYTE_3 src1_sel:DWORD
	v_bfrev_b32_e32 v121, 1
	s_and_saveexec_b32 s51, s1
	s_cbranch_execz .LBB373_108
; %bb.103:                              ;   in Loop: Header=BB373_16 Depth=1
	v_bfe_u32 v13, v11, 24, 7
	v_mov_b32_e32 v121, 0x7f800001
	s_mov_b32 s52, exec_lo
	v_cmpx_ne_u32_e32 0x7f, v13
	s_cbranch_execz .LBB373_107
; %bb.104:                              ;   in Loop: Header=BB373_16 Depth=1
	v_and_b32_sdwa v1, v11, v107 dst_sel:DWORD dst_unused:UNUSED_PAD src0_sel:BYTE_3 src1_sel:DWORD
	v_lshrrev_b32_e32 v0, 3, v13
	s_mov_b32 s53, exec_lo
	v_cmpx_gt_u32_e32 8, v13
; %bb.105:                              ;   in Loop: Header=BB373_16 Depth=1
	v_ffbh_u32_e32 v0, v1
	v_min_u32_e32 v0, 32, v0
	v_subrev_nc_u32_e32 v13, 28, v0
	v_sub_nc_u32_e32 v0, 29, v0
	v_lshlrev_b64 v[13:14], v13, v[1:2]
	v_and_b32_e32 v1, 7, v13
; %bb.106:                              ;   in Loop: Header=BB373_16 Depth=1
	s_or_b32 exec_lo, exec_lo, s53
	v_lshlrev_b32_sdwa v13, v108, v11 dst_sel:DWORD dst_unused:UNUSED_PAD src0_sel:DWORD src1_sel:BYTE_3
	v_lshlrev_b32_e32 v1, 20, v1
	v_lshl_add_u32 v0, v0, 23, 0x3c000000
	v_and_b32_e32 v13, 0x80000000, v13
	v_or3_b32 v121, v1, v13, v0
.LBB373_107:                            ;   in Loop: Header=BB373_16 Depth=1
	s_or_b32 exec_lo, exec_lo, s52
.LBB373_108:                            ;   in Loop: Header=BB373_16 Depth=1
	s_or_b32 exec_lo, exec_lo, s51
.LBB373_109:                            ;   in Loop: Header=BB373_16 Depth=1
	s_or_b32 exec_lo, exec_lo, s50
	v_mov_b32_e32 v1, v12
	v_cmp_ne_u16_sdwa s1, v12, v2 src0_sel:BYTE_0 src1_sel:DWORD
	v_mov_b32_e32 v123, 0
	v_mov_b32_e32 v122, 0
	s_and_saveexec_b32 s50, s1
	s_cbranch_execz .LBB373_115
; %bb.110:                              ;   in Loop: Header=BB373_16 Depth=1
	v_cmp_ne_u16_sdwa s1, v12, v104 src0_sel:BYTE_0 src1_sel:DWORD
	v_bfrev_b32_e32 v122, 1
	s_and_saveexec_b32 s51, s1
	s_cbranch_execz .LBB373_114
; %bb.111:                              ;   in Loop: Header=BB373_16 Depth=1
	v_and_b32_e32 v0, 0x7f, v12
	v_mov_b32_e32 v122, 0x7f800001
	s_mov_b32 s52, exec_lo
	v_cmpx_ne_u32_e32 0x7f, v0
	s_cbranch_execz .LBB373_113
; %bb.112:                              ;   in Loop: Header=BB373_16 Depth=1
	v_and_b32_e32 v13, 7, v12
	v_lshrrev_b32_e32 v14, 3, v0
	v_cmp_gt_u32_e64 s1, 8, v0
	v_ffbh_u32_e32 v13, v13
	v_min_u32_e32 v13, 32, v13
	v_subrev_nc_u32_e32 v15, 28, v13
	v_sub_nc_u32_e32 v13, 29, v13
	v_cndmask_b32_e64 v0, v14, v13, s1
	v_cndmask_b32_e64 v13, 0, v15, s1
	v_lshl_add_u32 v0, v0, 23, 0x3c000000
	v_lshlrev_b64 v[13:14], v13, v[1:2]
	v_lshlrev_b32_e32 v14, 24, v1
	v_lshlrev_b32_e32 v13, 20, v13
	v_and_b32_e32 v14, 0x80000000, v14
	v_and_b32_e32 v13, 0x700000, v13
	v_or3_b32 v122, v13, v14, v0
.LBB373_113:                            ;   in Loop: Header=BB373_16 Depth=1
	s_or_b32 exec_lo, exec_lo, s52
.LBB373_114:                            ;   in Loop: Header=BB373_16 Depth=1
	s_or_b32 exec_lo, exec_lo, s51
.LBB373_115:                            ;   in Loop: Header=BB373_16 Depth=1
	s_or_b32 exec_lo, exec_lo, s50
	v_cmp_ne_u16_sdwa s1, v1, v2 src0_sel:BYTE_1 src1_sel:DWORD
	s_and_saveexec_b32 s50, s1
	s_cbranch_execz .LBB373_123
; %bb.116:                              ;   in Loop: Header=BB373_16 Depth=1
	v_cmp_ne_u16_sdwa s1, v1, v104 src0_sel:BYTE_1 src1_sel:DWORD
	v_bfrev_b32_e32 v123, 1
	s_and_saveexec_b32 s51, s1
	s_cbranch_execz .LBB373_122
; %bb.117:                              ;   in Loop: Header=BB373_16 Depth=1
	v_and_b32_sdwa v0, v105, v1 dst_sel:DWORD dst_unused:UNUSED_PAD src0_sel:DWORD src1_sel:BYTE_1
	v_mov_b32_e32 v123, 0x7f800001
	s_mov_b32 s52, exec_lo
	v_and_b32_e32 v15, 0x7f, v0
	v_cmpx_ne_u32_e32 0x7f, v15
	s_cbranch_execz .LBB373_121
; %bb.118:                              ;   in Loop: Header=BB373_16 Depth=1
	v_and_b32_e32 v13, 7, v0
	v_mov_b32_e32 v14, v2
	v_lshrrev_b32_e32 v0, 3, v15
	s_mov_b32 s53, exec_lo
	v_cmpx_gt_u32_e32 8, v15
; %bb.119:                              ;   in Loop: Header=BB373_16 Depth=1
	v_ffbh_u32_e32 v0, v13
	v_min_u32_e32 v0, 32, v0
	v_subrev_nc_u32_e32 v15, 28, v0
	v_sub_nc_u32_e32 v0, 29, v0
	v_lshlrev_b64 v[13:14], v15, v[13:14]
	v_and_b32_e32 v13, 7, v13
; %bb.120:                              ;   in Loop: Header=BB373_16 Depth=1
	s_or_b32 exec_lo, exec_lo, s53
	v_lshlrev_b32_e32 v1, 16, v1
	v_lshlrev_b32_e32 v13, 20, v13
	v_lshl_add_u32 v0, v0, 23, 0x3c000000
	v_and_b32_e32 v1, 0x80000000, v1
	v_or3_b32 v123, v13, v1, v0
.LBB373_121:                            ;   in Loop: Header=BB373_16 Depth=1
	s_or_b32 exec_lo, exec_lo, s52
.LBB373_122:                            ;   in Loop: Header=BB373_16 Depth=1
	s_or_b32 exec_lo, exec_lo, s51
.LBB373_123:                            ;   in Loop: Header=BB373_16 Depth=1
	s_or_b32 exec_lo, exec_lo, s50
	v_and_b32_sdwa v0, v12, v106 dst_sel:DWORD dst_unused:UNUSED_PAD src0_sel:WORD_1 src1_sel:DWORD
	v_mov_b32_e32 v124, 0
	v_mov_b32_e32 v125, 0
	s_mov_b32 s50, exec_lo
	v_cmpx_ne_u16_e32 0, v0
	s_cbranch_execz .LBB373_131
; %bb.124:                              ;   in Loop: Header=BB373_16 Depth=1
	v_bfrev_b32_e32 v125, 1
	s_mov_b32 s51, exec_lo
	v_cmpx_ne_u16_e32 0x80, v0
	s_cbranch_execz .LBB373_130
; %bb.125:                              ;   in Loop: Header=BB373_16 Depth=1
	v_bfe_u32 v13, v12, 16, 7
	v_mov_b32_e32 v125, 0x7f800001
	s_mov_b32 s52, exec_lo
	v_cmpx_ne_u32_e32 0x7f, v13
	s_cbranch_execz .LBB373_129
; %bb.126:                              ;   in Loop: Header=BB373_16 Depth=1
	v_and_b32_sdwa v1, v12, v107 dst_sel:DWORD dst_unused:UNUSED_PAD src0_sel:WORD_1 src1_sel:DWORD
	v_lshrrev_b32_e32 v0, 3, v13
	s_mov_b32 s53, exec_lo
	v_cmpx_gt_u32_e32 8, v13
; %bb.127:                              ;   in Loop: Header=BB373_16 Depth=1
	v_ffbh_u32_e32 v0, v1
	v_min_u32_e32 v0, 32, v0
	v_subrev_nc_u32_e32 v13, 28, v0
	v_sub_nc_u32_e32 v0, 29, v0
	v_lshlrev_b64 v[13:14], v13, v[1:2]
	v_and_b32_e32 v1, 7, v13
; %bb.128:                              ;   in Loop: Header=BB373_16 Depth=1
	s_or_b32 exec_lo, exec_lo, s53
	v_lshlrev_b32_sdwa v13, v108, v12 dst_sel:DWORD dst_unused:UNUSED_PAD src0_sel:DWORD src1_sel:WORD_1
	v_lshlrev_b32_e32 v1, 20, v1
	v_lshl_add_u32 v0, v0, 23, 0x3c000000
	v_and_b32_e32 v13, 0x80000000, v13
	v_or3_b32 v125, v1, v13, v0
.LBB373_129:                            ;   in Loop: Header=BB373_16 Depth=1
	s_or_b32 exec_lo, exec_lo, s52
.LBB373_130:                            ;   in Loop: Header=BB373_16 Depth=1
	s_or_b32 exec_lo, exec_lo, s51
.LBB373_131:                            ;   in Loop: Header=BB373_16 Depth=1
	s_or_b32 exec_lo, exec_lo, s50
	s_mov_b32 s50, exec_lo
	v_cmpx_lt_u64_e64 s[4:5], v[11:12]
	s_cbranch_execz .LBB373_139
; %bb.132:                              ;   in Loop: Header=BB373_16 Depth=1
	v_cmp_ne_u32_sdwa s1, v12, v104 src0_sel:BYTE_3 src1_sel:DWORD
	v_bfrev_b32_e32 v124, 1
	s_and_saveexec_b32 s51, s1
	s_cbranch_execz .LBB373_138
; %bb.133:                              ;   in Loop: Header=BB373_16 Depth=1
	v_bfe_u32 v11, v12, 24, 7
	v_mov_b32_e32 v124, 0x7f800001
	s_mov_b32 s52, exec_lo
	v_cmpx_ne_u32_e32 0x7f, v11
	s_cbranch_execz .LBB373_137
; %bb.134:                              ;   in Loop: Header=BB373_16 Depth=1
	v_and_b32_sdwa v1, v12, v107 dst_sel:DWORD dst_unused:UNUSED_PAD src0_sel:BYTE_3 src1_sel:DWORD
	v_lshrrev_b32_e32 v0, 3, v11
	s_mov_b32 s53, exec_lo
	v_cmpx_gt_u32_e32 8, v11
; %bb.135:                              ;   in Loop: Header=BB373_16 Depth=1
	v_ffbh_u32_e32 v0, v1
	v_min_u32_e32 v0, 32, v0
	v_subrev_nc_u32_e32 v11, 28, v0
	v_sub_nc_u32_e32 v0, 29, v0
	v_lshlrev_b64 v[13:14], v11, v[1:2]
	v_and_b32_e32 v1, 7, v13
; %bb.136:                              ;   in Loop: Header=BB373_16 Depth=1
	s_or_b32 exec_lo, exec_lo, s53
	v_lshlrev_b32_sdwa v11, v108, v12 dst_sel:DWORD dst_unused:UNUSED_PAD src0_sel:DWORD src1_sel:BYTE_3
	v_lshlrev_b32_e32 v1, 20, v1
	v_lshl_add_u32 v0, v0, 23, 0x3c000000
	v_and_b32_e32 v11, 0x80000000, v11
	v_or3_b32 v124, v1, v11, v0
.LBB373_137:                            ;   in Loop: Header=BB373_16 Depth=1
	s_or_b32 exec_lo, exec_lo, s52
.LBB373_138:                            ;   in Loop: Header=BB373_16 Depth=1
	s_or_b32 exec_lo, exec_lo, s51
.LBB373_139:                            ;   in Loop: Header=BB373_16 Depth=1
	s_or_b32 exec_lo, exec_lo, s50
	global_load_dwordx2 v[11:12], v[7:8], off offset:512
	v_mov_b32_e32 v126, 0
	v_mov_b32_e32 v127, 0
	s_waitcnt vmcnt(0)
	v_cmp_ne_u16_sdwa s1, v11, v2 src0_sel:BYTE_0 src1_sel:DWORD
	s_and_saveexec_b32 s50, s1
	s_cbranch_execz .LBB373_145
; %bb.140:                              ;   in Loop: Header=BB373_16 Depth=1
	v_cmp_ne_u16_sdwa s1, v11, v104 src0_sel:BYTE_0 src1_sel:DWORD
	v_bfrev_b32_e32 v127, 1
	s_and_saveexec_b32 s51, s1
	s_cbranch_execz .LBB373_144
; %bb.141:                              ;   in Loop: Header=BB373_16 Depth=1
	v_and_b32_e32 v0, 0x7f, v11
	v_mov_b32_e32 v127, 0x7f800001
	s_mov_b32 s52, exec_lo
	v_cmpx_ne_u32_e32 0x7f, v0
	s_cbranch_execz .LBB373_143
; %bb.142:                              ;   in Loop: Header=BB373_16 Depth=1
	v_and_b32_e32 v1, 7, v11
	v_lshrrev_b32_e32 v13, 3, v0
	v_cmp_gt_u32_e64 s1, 8, v0
	v_ffbh_u32_e32 v0, v1
	v_min_u32_e32 v0, 32, v0
	v_subrev_nc_u32_e32 v1, 28, v0
	v_sub_nc_u32_e32 v0, 29, v0
	v_cndmask_b32_e64 v13, v13, v0, s1
	v_cndmask_b32_e64 v0, 0, v1, s1
	v_lshl_add_u32 v13, v13, 23, 0x3c000000
	v_lshlrev_b64 v[0:1], v0, v[11:12]
	v_lshlrev_b32_e32 v1, 24, v11
	v_lshlrev_b32_e32 v0, 20, v0
	v_and_b32_e32 v1, 0x80000000, v1
	v_and_b32_e32 v0, 0x700000, v0
	v_or3_b32 v127, v0, v1, v13
.LBB373_143:                            ;   in Loop: Header=BB373_16 Depth=1
	s_or_b32 exec_lo, exec_lo, s52
.LBB373_144:                            ;   in Loop: Header=BB373_16 Depth=1
	s_or_b32 exec_lo, exec_lo, s51
.LBB373_145:                            ;   in Loop: Header=BB373_16 Depth=1
	s_or_b32 exec_lo, exec_lo, s50
	v_cmp_ne_u16_sdwa s1, v11, v2 src0_sel:BYTE_1 src1_sel:DWORD
	s_and_saveexec_b32 s50, s1
	s_cbranch_execz .LBB373_153
; %bb.146:                              ;   in Loop: Header=BB373_16 Depth=1
	v_cmp_ne_u16_sdwa s1, v11, v104 src0_sel:BYTE_1 src1_sel:DWORD
	v_bfrev_b32_e32 v126, 1
	s_and_saveexec_b32 s51, s1
	s_cbranch_execz .LBB373_152
; %bb.147:                              ;   in Loop: Header=BB373_16 Depth=1
	v_and_b32_sdwa v0, v105, v11 dst_sel:DWORD dst_unused:UNUSED_PAD src0_sel:DWORD src1_sel:BYTE_1
	v_mov_b32_e32 v126, 0x7f800001
	s_mov_b32 s52, exec_lo
	v_and_b32_e32 v13, 0x7f, v0
	v_cmpx_ne_u32_e32 0x7f, v13
	s_cbranch_execz .LBB373_151
; %bb.148:                              ;   in Loop: Header=BB373_16 Depth=1
	v_and_b32_e32 v1, 7, v0
	v_lshrrev_b32_e32 v0, 3, v13
	s_mov_b32 s53, exec_lo
	v_cmpx_gt_u32_e32 8, v13
; %bb.149:                              ;   in Loop: Header=BB373_16 Depth=1
	v_ffbh_u32_e32 v0, v1
	v_min_u32_e32 v0, 32, v0
	v_subrev_nc_u32_e32 v13, 28, v0
	v_sub_nc_u32_e32 v0, 29, v0
	v_lshlrev_b64 v[13:14], v13, v[1:2]
	v_and_b32_e32 v1, 7, v13
; %bb.150:                              ;   in Loop: Header=BB373_16 Depth=1
	s_or_b32 exec_lo, exec_lo, s53
	v_lshlrev_b32_e32 v13, 16, v11
	v_lshlrev_b32_e32 v1, 20, v1
	v_lshl_add_u32 v0, v0, 23, 0x3c000000
	v_and_b32_e32 v13, 0x80000000, v13
	v_or3_b32 v126, v1, v13, v0
.LBB373_151:                            ;   in Loop: Header=BB373_16 Depth=1
	s_or_b32 exec_lo, exec_lo, s52
.LBB373_152:                            ;   in Loop: Header=BB373_16 Depth=1
	s_or_b32 exec_lo, exec_lo, s51
.LBB373_153:                            ;   in Loop: Header=BB373_16 Depth=1
	s_or_b32 exec_lo, exec_lo, s50
	v_and_b32_sdwa v0, v11, v106 dst_sel:DWORD dst_unused:UNUSED_PAD src0_sel:WORD_1 src1_sel:DWORD
	v_mov_b32_e32 v22, 0
	v_mov_b32_e32 v15, 0
	s_mov_b32 s50, exec_lo
	v_cmpx_ne_u16_e32 0, v0
	s_cbranch_execz .LBB373_161
; %bb.154:                              ;   in Loop: Header=BB373_16 Depth=1
	v_bfrev_b32_e32 v15, 1
	s_mov_b32 s51, exec_lo
	v_cmpx_ne_u16_e32 0x80, v0
	s_cbranch_execz .LBB373_160
; %bb.155:                              ;   in Loop: Header=BB373_16 Depth=1
	v_bfe_u32 v13, v11, 16, 7
	v_mov_b32_e32 v15, 0x7f800001
	s_mov_b32 s52, exec_lo
	v_cmpx_ne_u32_e32 0x7f, v13
	s_cbranch_execz .LBB373_159
; %bb.156:                              ;   in Loop: Header=BB373_16 Depth=1
	v_and_b32_sdwa v1, v11, v107 dst_sel:DWORD dst_unused:UNUSED_PAD src0_sel:WORD_1 src1_sel:DWORD
	v_lshrrev_b32_e32 v0, 3, v13
	s_mov_b32 s53, exec_lo
	v_cmpx_gt_u32_e32 8, v13
; %bb.157:                              ;   in Loop: Header=BB373_16 Depth=1
	v_ffbh_u32_e32 v0, v1
	v_min_u32_e32 v0, 32, v0
	v_subrev_nc_u32_e32 v13, 28, v0
	v_sub_nc_u32_e32 v0, 29, v0
	v_lshlrev_b64 v[13:14], v13, v[1:2]
	v_and_b32_e32 v1, 7, v13
; %bb.158:                              ;   in Loop: Header=BB373_16 Depth=1
	s_or_b32 exec_lo, exec_lo, s53
	v_lshlrev_b32_sdwa v13, v108, v11 dst_sel:DWORD dst_unused:UNUSED_PAD src0_sel:DWORD src1_sel:WORD_1
	v_lshlrev_b32_e32 v1, 20, v1
	v_lshl_add_u32 v0, v0, 23, 0x3c000000
	v_and_b32_e32 v13, 0x80000000, v13
	v_or3_b32 v15, v1, v13, v0
.LBB373_159:                            ;   in Loop: Header=BB373_16 Depth=1
	s_or_b32 exec_lo, exec_lo, s52
.LBB373_160:                            ;   in Loop: Header=BB373_16 Depth=1
	s_or_b32 exec_lo, exec_lo, s51
.LBB373_161:                            ;   in Loop: Header=BB373_16 Depth=1
	s_or_b32 exec_lo, exec_lo, s50
	s_mov_b32 s50, exec_lo
	v_cmpx_lt_u32_e32 0xffffff, v11
	s_cbranch_execz .LBB373_169
; %bb.162:                              ;   in Loop: Header=BB373_16 Depth=1
	v_cmp_ne_u32_sdwa s1, v11, v104 src0_sel:BYTE_3 src1_sel:DWORD
	v_bfrev_b32_e32 v22, 1
	s_and_saveexec_b32 s51, s1
	s_cbranch_execz .LBB373_168
; %bb.163:                              ;   in Loop: Header=BB373_16 Depth=1
	v_bfe_u32 v13, v11, 24, 7
	v_mov_b32_e32 v22, 0x7f800001
	s_mov_b32 s52, exec_lo
	v_cmpx_ne_u32_e32 0x7f, v13
	s_cbranch_execz .LBB373_167
; %bb.164:                              ;   in Loop: Header=BB373_16 Depth=1
	v_and_b32_sdwa v1, v11, v107 dst_sel:DWORD dst_unused:UNUSED_PAD src0_sel:BYTE_3 src1_sel:DWORD
	v_lshrrev_b32_e32 v0, 3, v13
	s_mov_b32 s53, exec_lo
	v_cmpx_gt_u32_e32 8, v13
; %bb.165:                              ;   in Loop: Header=BB373_16 Depth=1
	v_ffbh_u32_e32 v0, v1
	v_min_u32_e32 v0, 32, v0
	v_subrev_nc_u32_e32 v13, 28, v0
	v_sub_nc_u32_e32 v0, 29, v0
	v_lshlrev_b64 v[13:14], v13, v[1:2]
	v_and_b32_e32 v1, 7, v13
; %bb.166:                              ;   in Loop: Header=BB373_16 Depth=1
	s_or_b32 exec_lo, exec_lo, s53
	v_lshlrev_b32_sdwa v13, v108, v11 dst_sel:DWORD dst_unused:UNUSED_PAD src0_sel:DWORD src1_sel:BYTE_3
	v_lshlrev_b32_e32 v1, 20, v1
	v_lshl_add_u32 v0, v0, 23, 0x3c000000
	v_and_b32_e32 v13, 0x80000000, v13
	v_or3_b32 v22, v1, v13, v0
.LBB373_167:                            ;   in Loop: Header=BB373_16 Depth=1
	s_or_b32 exec_lo, exec_lo, s52
.LBB373_168:                            ;   in Loop: Header=BB373_16 Depth=1
	s_or_b32 exec_lo, exec_lo, s51
.LBB373_169:                            ;   in Loop: Header=BB373_16 Depth=1
	s_or_b32 exec_lo, exec_lo, s50
	v_mov_b32_e32 v1, v12
	v_cmp_ne_u16_sdwa s1, v12, v2 src0_sel:BYTE_0 src1_sel:DWORD
	v_mov_b32_e32 v23, 0
	v_mov_b32_e32 v16, 0
	s_and_saveexec_b32 s50, s1
	s_cbranch_execz .LBB373_175
; %bb.170:                              ;   in Loop: Header=BB373_16 Depth=1
	v_cmp_ne_u16_sdwa s1, v12, v104 src0_sel:BYTE_0 src1_sel:DWORD
	v_bfrev_b32_e32 v16, 1
	s_and_saveexec_b32 s51, s1
	s_cbranch_execz .LBB373_174
; %bb.171:                              ;   in Loop: Header=BB373_16 Depth=1
	v_and_b32_e32 v0, 0x7f, v12
	v_mov_b32_e32 v16, 0x7f800001
	s_mov_b32 s52, exec_lo
	v_cmpx_ne_u32_e32 0x7f, v0
	s_cbranch_execz .LBB373_173
; %bb.172:                              ;   in Loop: Header=BB373_16 Depth=1
	v_and_b32_e32 v13, 7, v12
	v_lshrrev_b32_e32 v14, 3, v0
	v_cmp_gt_u32_e64 s1, 8, v0
	v_ffbh_u32_e32 v0, v13
	v_min_u32_e32 v0, 32, v0
	v_subrev_nc_u32_e32 v13, 28, v0
	v_sub_nc_u32_e32 v0, 29, v0
	v_cndmask_b32_e64 v13, 0, v13, s1
	v_cndmask_b32_e64 v0, v14, v0, s1
	v_lshlrev_b64 v[13:14], v13, v[1:2]
	v_lshlrev_b32_e32 v14, 24, v1
	v_lshl_add_u32 v0, v0, 23, 0x3c000000
	v_lshlrev_b32_e32 v13, 20, v13
	v_and_b32_e32 v14, 0x80000000, v14
	v_and_b32_e32 v13, 0x700000, v13
	v_or3_b32 v16, v13, v14, v0
.LBB373_173:                            ;   in Loop: Header=BB373_16 Depth=1
	s_or_b32 exec_lo, exec_lo, s52
.LBB373_174:                            ;   in Loop: Header=BB373_16 Depth=1
	s_or_b32 exec_lo, exec_lo, s51
.LBB373_175:                            ;   in Loop: Header=BB373_16 Depth=1
	s_or_b32 exec_lo, exec_lo, s50
	v_cmp_ne_u16_sdwa s1, v1, v2 src0_sel:BYTE_1 src1_sel:DWORD
	s_and_saveexec_b32 s50, s1
	s_cbranch_execz .LBB373_183
; %bb.176:                              ;   in Loop: Header=BB373_16 Depth=1
	v_cmp_ne_u16_sdwa s1, v1, v104 src0_sel:BYTE_1 src1_sel:DWORD
	v_bfrev_b32_e32 v23, 1
	s_and_saveexec_b32 s51, s1
	s_cbranch_execz .LBB373_182
; %bb.177:                              ;   in Loop: Header=BB373_16 Depth=1
	v_and_b32_sdwa v0, v105, v1 dst_sel:DWORD dst_unused:UNUSED_PAD src0_sel:DWORD src1_sel:BYTE_1
	v_mov_b32_e32 v23, 0x7f800001
	s_mov_b32 s52, exec_lo
	v_and_b32_e32 v17, 0x7f, v0
	v_cmpx_ne_u32_e32 0x7f, v17
	s_cbranch_execz .LBB373_181
; %bb.178:                              ;   in Loop: Header=BB373_16 Depth=1
	v_and_b32_e32 v13, 7, v0
	v_mov_b32_e32 v14, v2
	v_lshrrev_b32_e32 v0, 3, v17
	s_mov_b32 s53, exec_lo
	v_cmpx_gt_u32_e32 8, v17
; %bb.179:                              ;   in Loop: Header=BB373_16 Depth=1
	v_ffbh_u32_e32 v0, v13
	v_min_u32_e32 v0, 32, v0
	v_subrev_nc_u32_e32 v17, 28, v0
	v_sub_nc_u32_e32 v0, 29, v0
	v_lshlrev_b64 v[13:14], v17, v[13:14]
	v_and_b32_e32 v13, 7, v13
; %bb.180:                              ;   in Loop: Header=BB373_16 Depth=1
	s_or_b32 exec_lo, exec_lo, s53
	v_lshlrev_b32_e32 v1, 16, v1
	v_lshlrev_b32_e32 v13, 20, v13
	v_lshl_add_u32 v0, v0, 23, 0x3c000000
	v_and_b32_e32 v1, 0x80000000, v1
	v_or3_b32 v23, v13, v1, v0
.LBB373_181:                            ;   in Loop: Header=BB373_16 Depth=1
	s_or_b32 exec_lo, exec_lo, s52
.LBB373_182:                            ;   in Loop: Header=BB373_16 Depth=1
	s_or_b32 exec_lo, exec_lo, s51
.LBB373_183:                            ;   in Loop: Header=BB373_16 Depth=1
	s_or_b32 exec_lo, exec_lo, s50
	v_and_b32_sdwa v1, v12, v106 dst_sel:DWORD dst_unused:UNUSED_PAD src0_sel:WORD_1 src1_sel:DWORD
	v_mov_b32_e32 v0, 0
	v_mov_b32_e32 v17, 0
	s_mov_b32 s50, exec_lo
	v_cmpx_ne_u16_e32 0, v1
	s_cbranch_execz .LBB373_191
; %bb.184:                              ;   in Loop: Header=BB373_16 Depth=1
	v_bfrev_b32_e32 v17, 1
	s_mov_b32 s51, exec_lo
	v_cmpx_ne_u16_e32 0x80, v1
	s_cbranch_execz .LBB373_190
; %bb.185:                              ;   in Loop: Header=BB373_16 Depth=1
	v_bfe_u32 v14, v12, 16, 7
	v_mov_b32_e32 v17, 0x7f800001
	s_mov_b32 s52, exec_lo
	v_cmpx_ne_u32_e32 0x7f, v14
	s_cbranch_execz .LBB373_189
; %bb.186:                              ;   in Loop: Header=BB373_16 Depth=1
	v_and_b32_sdwa v1, v12, v107 dst_sel:DWORD dst_unused:UNUSED_PAD src0_sel:WORD_1 src1_sel:DWORD
	v_lshrrev_b32_e32 v13, 3, v14
	s_mov_b32 s53, exec_lo
	v_cmpx_gt_u32_e32 8, v14
; %bb.187:                              ;   in Loop: Header=BB373_16 Depth=1
	v_ffbh_u32_e32 v13, v1
	v_min_u32_e32 v13, 32, v13
	v_subrev_nc_u32_e32 v14, 28, v13
	v_sub_nc_u32_e32 v13, 29, v13
	v_lshlrev_b64 v[17:18], v14, v[1:2]
	v_and_b32_e32 v1, 7, v17
; %bb.188:                              ;   in Loop: Header=BB373_16 Depth=1
	s_or_b32 exec_lo, exec_lo, s53
	v_lshlrev_b32_sdwa v14, v108, v12 dst_sel:DWORD dst_unused:UNUSED_PAD src0_sel:DWORD src1_sel:WORD_1
	v_lshlrev_b32_e32 v1, 20, v1
	v_lshl_add_u32 v13, v13, 23, 0x3c000000
	v_and_b32_e32 v14, 0x80000000, v14
	v_or3_b32 v17, v1, v14, v13
.LBB373_189:                            ;   in Loop: Header=BB373_16 Depth=1
	s_or_b32 exec_lo, exec_lo, s52
.LBB373_190:                            ;   in Loop: Header=BB373_16 Depth=1
	s_or_b32 exec_lo, exec_lo, s51
.LBB373_191:                            ;   in Loop: Header=BB373_16 Depth=1
	s_or_b32 exec_lo, exec_lo, s50
	s_mov_b32 s50, exec_lo
	v_cmpx_lt_u64_e64 s[4:5], v[11:12]
	s_cbranch_execz .LBB373_199
; %bb.192:                              ;   in Loop: Header=BB373_16 Depth=1
	v_cmp_ne_u32_sdwa s1, v12, v104 src0_sel:BYTE_3 src1_sel:DWORD
	v_bfrev_b32_e32 v0, 1
	s_and_saveexec_b32 s51, s1
	s_cbranch_execz .LBB373_198
; %bb.193:                              ;   in Loop: Header=BB373_16 Depth=1
	v_bfe_u32 v11, v12, 24, 7
	v_mov_b32_e32 v0, 0x7f800001
	s_mov_b32 s52, exec_lo
	v_cmpx_ne_u32_e32 0x7f, v11
	s_cbranch_execz .LBB373_197
; %bb.194:                              ;   in Loop: Header=BB373_16 Depth=1
	v_and_b32_sdwa v1, v12, v107 dst_sel:DWORD dst_unused:UNUSED_PAD src0_sel:BYTE_3 src1_sel:DWORD
	v_lshrrev_b32_e32 v0, 3, v11
	s_mov_b32 s53, exec_lo
	v_cmpx_gt_u32_e32 8, v11
; %bb.195:                              ;   in Loop: Header=BB373_16 Depth=1
	v_ffbh_u32_e32 v0, v1
	v_min_u32_e32 v0, 32, v0
	v_subrev_nc_u32_e32 v11, 28, v0
	v_sub_nc_u32_e32 v0, 29, v0
	v_lshlrev_b64 v[13:14], v11, v[1:2]
	v_and_b32_e32 v1, 7, v13
; %bb.196:                              ;   in Loop: Header=BB373_16 Depth=1
	s_or_b32 exec_lo, exec_lo, s53
	v_lshlrev_b32_sdwa v11, v108, v12 dst_sel:DWORD dst_unused:UNUSED_PAD src0_sel:DWORD src1_sel:BYTE_3
	v_lshlrev_b32_e32 v1, 20, v1
	v_lshl_add_u32 v0, v0, 23, 0x3c000000
	v_and_b32_e32 v11, 0x80000000, v11
	v_or3_b32 v0, v1, v11, v0
.LBB373_197:                            ;   in Loop: Header=BB373_16 Depth=1
	s_or_b32 exec_lo, exec_lo, s52
.LBB373_198:                            ;   in Loop: Header=BB373_16 Depth=1
	s_or_b32 exec_lo, exec_lo, s51
.LBB373_199:                            ;   in Loop: Header=BB373_16 Depth=1
	s_or_b32 exec_lo, exec_lo, s50
	global_load_dwordx2 v[11:12], v[7:8], off offset:520
	v_mov_b32_e32 v18, 0
	v_mov_b32_e32 v19, 0
	s_waitcnt vmcnt(0)
	v_cmp_ne_u16_sdwa s1, v11, v2 src0_sel:BYTE_0 src1_sel:DWORD
	s_and_saveexec_b32 s50, s1
	s_cbranch_execz .LBB373_205
; %bb.200:                              ;   in Loop: Header=BB373_16 Depth=1
	v_cmp_ne_u16_sdwa s1, v11, v104 src0_sel:BYTE_0 src1_sel:DWORD
	v_bfrev_b32_e32 v19, 1
	s_and_saveexec_b32 s51, s1
	s_cbranch_execz .LBB373_204
; %bb.201:                              ;   in Loop: Header=BB373_16 Depth=1
	v_and_b32_e32 v1, 0x7f, v11
	v_mov_b32_e32 v19, 0x7f800001
	s_mov_b32 s52, exec_lo
	v_cmpx_ne_u32_e32 0x7f, v1
	s_cbranch_execz .LBB373_203
; %bb.202:                              ;   in Loop: Header=BB373_16 Depth=1
	v_and_b32_e32 v13, 7, v11
	v_lshrrev_b32_e32 v14, 3, v1
	v_cmp_gt_u32_e64 s1, 8, v1
	v_ffbh_u32_e32 v1, v13
	v_min_u32_e32 v1, 32, v1
	v_subrev_nc_u32_e32 v13, 28, v1
	v_sub_nc_u32_e32 v1, 29, v1
	v_cndmask_b32_e64 v13, 0, v13, s1
	v_cndmask_b32_e64 v1, v14, v1, s1
	v_lshlrev_b64 v[13:14], v13, v[11:12]
	v_lshlrev_b32_e32 v14, 24, v11
	v_lshl_add_u32 v1, v1, 23, 0x3c000000
	v_lshlrev_b32_e32 v13, 20, v13
	v_and_b32_e32 v14, 0x80000000, v14
	v_and_b32_e32 v13, 0x700000, v13
	v_or3_b32 v19, v13, v14, v1
.LBB373_203:                            ;   in Loop: Header=BB373_16 Depth=1
	s_or_b32 exec_lo, exec_lo, s52
.LBB373_204:                            ;   in Loop: Header=BB373_16 Depth=1
	s_or_b32 exec_lo, exec_lo, s51
.LBB373_205:                            ;   in Loop: Header=BB373_16 Depth=1
	s_or_b32 exec_lo, exec_lo, s50
	v_cmp_ne_u16_sdwa s1, v11, v2 src0_sel:BYTE_1 src1_sel:DWORD
	s_and_saveexec_b32 s50, s1
	s_cbranch_execz .LBB373_213
; %bb.206:                              ;   in Loop: Header=BB373_16 Depth=1
	v_cmp_ne_u16_sdwa s1, v11, v104 src0_sel:BYTE_1 src1_sel:DWORD
	v_bfrev_b32_e32 v18, 1
	s_and_saveexec_b32 s51, s1
	s_cbranch_execz .LBB373_212
; %bb.207:                              ;   in Loop: Header=BB373_16 Depth=1
	v_and_b32_sdwa v1, v105, v11 dst_sel:DWORD dst_unused:UNUSED_PAD src0_sel:DWORD src1_sel:BYTE_1
	v_mov_b32_e32 v18, 0x7f800001
	s_mov_b32 s52, exec_lo
	v_and_b32_e32 v14, 0x7f, v1
	v_cmpx_ne_u32_e32 0x7f, v14
	s_cbranch_execz .LBB373_211
; %bb.208:                              ;   in Loop: Header=BB373_16 Depth=1
	v_and_b32_e32 v1, 7, v1
	v_lshrrev_b32_e32 v13, 3, v14
	s_mov_b32 s53, exec_lo
	v_cmpx_gt_u32_e32 8, v14
; %bb.209:                              ;   in Loop: Header=BB373_16 Depth=1
	v_ffbh_u32_e32 v13, v1
	v_min_u32_e32 v13, 32, v13
	v_subrev_nc_u32_e32 v14, 28, v13
	v_sub_nc_u32_e32 v13, 29, v13
	v_lshlrev_b64 v[20:21], v14, v[1:2]
	v_and_b32_e32 v1, 7, v20
; %bb.210:                              ;   in Loop: Header=BB373_16 Depth=1
	s_or_b32 exec_lo, exec_lo, s53
	v_lshlrev_b32_e32 v14, 16, v11
	v_lshlrev_b32_e32 v1, 20, v1
	v_lshl_add_u32 v13, v13, 23, 0x3c000000
	v_and_b32_e32 v14, 0x80000000, v14
	v_or3_b32 v18, v1, v14, v13
.LBB373_211:                            ;   in Loop: Header=BB373_16 Depth=1
	s_or_b32 exec_lo, exec_lo, s52
.LBB373_212:                            ;   in Loop: Header=BB373_16 Depth=1
	s_or_b32 exec_lo, exec_lo, s51
.LBB373_213:                            ;   in Loop: Header=BB373_16 Depth=1
	s_or_b32 exec_lo, exec_lo, s50
	v_and_b32_sdwa v1, v11, v106 dst_sel:DWORD dst_unused:UNUSED_PAD src0_sel:WORD_1 src1_sel:DWORD
	v_mov_b32_e32 v21, 0
	v_mov_b32_e32 v20, 0
	s_mov_b32 s50, exec_lo
	v_cmpx_ne_u16_e32 0, v1
	s_cbranch_execz .LBB373_221
; %bb.214:                              ;   in Loop: Header=BB373_16 Depth=1
	v_bfrev_b32_e32 v20, 1
	s_mov_b32 s51, exec_lo
	v_cmpx_ne_u16_e32 0x80, v1
	s_cbranch_execz .LBB373_220
; %bb.215:                              ;   in Loop: Header=BB373_16 Depth=1
	v_bfe_u32 v14, v11, 16, 7
	v_mov_b32_e32 v20, 0x7f800001
	s_mov_b32 s52, exec_lo
	v_cmpx_ne_u32_e32 0x7f, v14
	s_cbranch_execz .LBB373_219
; %bb.216:                              ;   in Loop: Header=BB373_16 Depth=1
	v_and_b32_sdwa v1, v11, v107 dst_sel:DWORD dst_unused:UNUSED_PAD src0_sel:WORD_1 src1_sel:DWORD
	v_lshrrev_b32_e32 v13, 3, v14
	s_mov_b32 s53, exec_lo
	v_cmpx_gt_u32_e32 8, v14
; %bb.217:                              ;   in Loop: Header=BB373_16 Depth=1
	v_ffbh_u32_e32 v13, v1
	v_min_u32_e32 v13, 32, v13
	v_subrev_nc_u32_e32 v14, 28, v13
	v_sub_nc_u32_e32 v13, 29, v13
	v_lshlrev_b64 v[25:26], v14, v[1:2]
	v_and_b32_e32 v1, 7, v25
; %bb.218:                              ;   in Loop: Header=BB373_16 Depth=1
	s_or_b32 exec_lo, exec_lo, s53
	v_lshlrev_b32_sdwa v14, v108, v11 dst_sel:DWORD dst_unused:UNUSED_PAD src0_sel:DWORD src1_sel:WORD_1
	v_lshlrev_b32_e32 v1, 20, v1
	v_lshl_add_u32 v13, v13, 23, 0x3c000000
	v_and_b32_e32 v14, 0x80000000, v14
	v_or3_b32 v20, v1, v14, v13
.LBB373_219:                            ;   in Loop: Header=BB373_16 Depth=1
	s_or_b32 exec_lo, exec_lo, s52
.LBB373_220:                            ;   in Loop: Header=BB373_16 Depth=1
	s_or_b32 exec_lo, exec_lo, s51
.LBB373_221:                            ;   in Loop: Header=BB373_16 Depth=1
	s_or_b32 exec_lo, exec_lo, s50
	s_mov_b32 s50, exec_lo
	v_cmpx_lt_u32_e32 0xffffff, v11
	s_cbranch_execz .LBB373_229
; %bb.222:                              ;   in Loop: Header=BB373_16 Depth=1
	v_cmp_ne_u32_sdwa s1, v11, v104 src0_sel:BYTE_3 src1_sel:DWORD
	v_bfrev_b32_e32 v21, 1
	s_and_saveexec_b32 s51, s1
	s_cbranch_execz .LBB373_228
; %bb.223:                              ;   in Loop: Header=BB373_16 Depth=1
	v_bfe_u32 v14, v11, 24, 7
	v_mov_b32_e32 v21, 0x7f800001
	s_mov_b32 s52, exec_lo
	v_cmpx_ne_u32_e32 0x7f, v14
	s_cbranch_execz .LBB373_227
; %bb.224:                              ;   in Loop: Header=BB373_16 Depth=1
	v_and_b32_sdwa v1, v11, v107 dst_sel:DWORD dst_unused:UNUSED_PAD src0_sel:BYTE_3 src1_sel:DWORD
	v_lshrrev_b32_e32 v13, 3, v14
	s_mov_b32 s53, exec_lo
	v_cmpx_gt_u32_e32 8, v14
; %bb.225:                              ;   in Loop: Header=BB373_16 Depth=1
	v_ffbh_u32_e32 v13, v1
	v_min_u32_e32 v13, 32, v13
	v_subrev_nc_u32_e32 v14, 28, v13
	v_sub_nc_u32_e32 v13, 29, v13
	v_lshlrev_b64 v[25:26], v14, v[1:2]
	v_and_b32_e32 v1, 7, v25
; %bb.226:                              ;   in Loop: Header=BB373_16 Depth=1
	s_or_b32 exec_lo, exec_lo, s53
	v_lshlrev_b32_sdwa v14, v108, v11 dst_sel:DWORD dst_unused:UNUSED_PAD src0_sel:DWORD src1_sel:BYTE_3
	v_lshlrev_b32_e32 v1, 20, v1
	v_lshl_add_u32 v13, v13, 23, 0x3c000000
	v_and_b32_e32 v14, 0x80000000, v14
	v_or3_b32 v21, v1, v14, v13
.LBB373_227:                            ;   in Loop: Header=BB373_16 Depth=1
	s_or_b32 exec_lo, exec_lo, s52
.LBB373_228:                            ;   in Loop: Header=BB373_16 Depth=1
	s_or_b32 exec_lo, exec_lo, s51
.LBB373_229:                            ;   in Loop: Header=BB373_16 Depth=1
	s_or_b32 exec_lo, exec_lo, s50
	v_mov_b32_e32 v1, v12
	v_cmp_ne_u16_sdwa s1, v12, v2 src0_sel:BYTE_0 src1_sel:DWORD
	v_mov_b32_e32 v25, 0
	v_mov_b32_e32 v26, 0
	s_and_saveexec_b32 s50, s1
	s_cbranch_execz .LBB373_235
; %bb.230:                              ;   in Loop: Header=BB373_16 Depth=1
	v_cmp_ne_u16_sdwa s1, v12, v104 src0_sel:BYTE_0 src1_sel:DWORD
	v_bfrev_b32_e32 v26, 1
	s_and_saveexec_b32 s51, s1
	s_cbranch_execz .LBB373_234
; %bb.231:                              ;   in Loop: Header=BB373_16 Depth=1
	v_and_b32_e32 v13, 0x7f, v12
	v_mov_b32_e32 v26, 0x7f800001
	s_mov_b32 s52, exec_lo
	v_cmpx_ne_u32_e32 0x7f, v13
	s_cbranch_execz .LBB373_233
; %bb.232:                              ;   in Loop: Header=BB373_16 Depth=1
	v_and_b32_e32 v14, 7, v12
	v_lshrrev_b32_e32 v26, 3, v13
	v_cmp_gt_u32_e64 s1, 8, v13
	v_ffbh_u32_e32 v13, v14
	v_min_u32_e32 v13, 32, v13
	v_subrev_nc_u32_e32 v14, 28, v13
	v_sub_nc_u32_e32 v13, 29, v13
	v_cndmask_b32_e64 v26, v26, v13, s1
	v_cndmask_b32_e64 v13, 0, v14, s1
	v_lshl_add_u32 v26, v26, 23, 0x3c000000
	v_lshlrev_b64 v[13:14], v13, v[1:2]
	v_lshlrev_b32_e32 v14, 24, v1
	v_lshlrev_b32_e32 v13, 20, v13
	v_and_b32_e32 v14, 0x80000000, v14
	v_and_b32_e32 v13, 0x700000, v13
	v_or3_b32 v26, v13, v14, v26
.LBB373_233:                            ;   in Loop: Header=BB373_16 Depth=1
	s_or_b32 exec_lo, exec_lo, s52
.LBB373_234:                            ;   in Loop: Header=BB373_16 Depth=1
	s_or_b32 exec_lo, exec_lo, s51
.LBB373_235:                            ;   in Loop: Header=BB373_16 Depth=1
	s_or_b32 exec_lo, exec_lo, s50
	v_cmp_ne_u16_sdwa s1, v1, v2 src0_sel:BYTE_1 src1_sel:DWORD
	s_and_saveexec_b32 s50, s1
	s_cbranch_execz .LBB373_243
; %bb.236:                              ;   in Loop: Header=BB373_16 Depth=1
	v_cmp_ne_u16_sdwa s1, v1, v104 src0_sel:BYTE_1 src1_sel:DWORD
	v_bfrev_b32_e32 v25, 1
	s_and_saveexec_b32 s51, s1
	s_cbranch_execz .LBB373_242
; %bb.237:                              ;   in Loop: Header=BB373_16 Depth=1
	v_and_b32_sdwa v13, v105, v1 dst_sel:DWORD dst_unused:UNUSED_PAD src0_sel:DWORD src1_sel:BYTE_1
	v_mov_b32_e32 v25, 0x7f800001
	s_mov_b32 s52, exec_lo
	v_and_b32_e32 v27, 0x7f, v13
	v_cmpx_ne_u32_e32 0x7f, v27
	s_cbranch_execz .LBB373_241
; %bb.238:                              ;   in Loop: Header=BB373_16 Depth=1
	v_and_b32_e32 v13, 7, v13
	v_mov_b32_e32 v14, v2
	v_lshrrev_b32_e32 v25, 3, v27
	s_mov_b32 s53, exec_lo
	v_cmpx_gt_u32_e32 8, v27
; %bb.239:                              ;   in Loop: Header=BB373_16 Depth=1
	v_ffbh_u32_e32 v25, v13
	v_min_u32_e32 v25, 32, v25
	v_subrev_nc_u32_e32 v27, 28, v25
	v_sub_nc_u32_e32 v25, 29, v25
	v_lshlrev_b64 v[13:14], v27, v[13:14]
	v_and_b32_e32 v13, 7, v13
; %bb.240:                              ;   in Loop: Header=BB373_16 Depth=1
	s_or_b32 exec_lo, exec_lo, s53
	v_lshlrev_b32_e32 v1, 16, v1
	v_lshlrev_b32_e32 v13, 20, v13
	v_lshl_add_u32 v14, v25, 23, 0x3c000000
	v_and_b32_e32 v1, 0x80000000, v1
	v_or3_b32 v25, v13, v1, v14
.LBB373_241:                            ;   in Loop: Header=BB373_16 Depth=1
	s_or_b32 exec_lo, exec_lo, s52
.LBB373_242:                            ;   in Loop: Header=BB373_16 Depth=1
	s_or_b32 exec_lo, exec_lo, s51
.LBB373_243:                            ;   in Loop: Header=BB373_16 Depth=1
	s_or_b32 exec_lo, exec_lo, s50
	v_and_b32_sdwa v1, v12, v106 dst_sel:DWORD dst_unused:UNUSED_PAD src0_sel:WORD_1 src1_sel:DWORD
	v_mov_b32_e32 v27, 0
	v_mov_b32_e32 v28, 0
	s_mov_b32 s50, exec_lo
	v_cmpx_ne_u16_e32 0, v1
	s_cbranch_execz .LBB373_251
; %bb.244:                              ;   in Loop: Header=BB373_16 Depth=1
	v_bfrev_b32_e32 v28, 1
	s_mov_b32 s51, exec_lo
	v_cmpx_ne_u16_e32 0x80, v1
	s_cbranch_execz .LBB373_250
; %bb.245:                              ;   in Loop: Header=BB373_16 Depth=1
	v_bfe_u32 v14, v12, 16, 7
	v_mov_b32_e32 v28, 0x7f800001
	s_mov_b32 s52, exec_lo
	v_cmpx_ne_u32_e32 0x7f, v14
	s_cbranch_execz .LBB373_249
; %bb.246:                              ;   in Loop: Header=BB373_16 Depth=1
	v_and_b32_sdwa v1, v12, v107 dst_sel:DWORD dst_unused:UNUSED_PAD src0_sel:WORD_1 src1_sel:DWORD
	v_lshrrev_b32_e32 v13, 3, v14
	s_mov_b32 s53, exec_lo
	v_cmpx_gt_u32_e32 8, v14
; %bb.247:                              ;   in Loop: Header=BB373_16 Depth=1
	v_ffbh_u32_e32 v13, v1
	v_min_u32_e32 v13, 32, v13
	v_subrev_nc_u32_e32 v14, 28, v13
	v_sub_nc_u32_e32 v13, 29, v13
	v_lshlrev_b64 v[28:29], v14, v[1:2]
	v_and_b32_e32 v1, 7, v28
; %bb.248:                              ;   in Loop: Header=BB373_16 Depth=1
	s_or_b32 exec_lo, exec_lo, s53
	v_lshlrev_b32_sdwa v14, v108, v12 dst_sel:DWORD dst_unused:UNUSED_PAD src0_sel:DWORD src1_sel:WORD_1
	v_lshlrev_b32_e32 v1, 20, v1
	v_lshl_add_u32 v13, v13, 23, 0x3c000000
	v_and_b32_e32 v14, 0x80000000, v14
	v_or3_b32 v28, v1, v14, v13
.LBB373_249:                            ;   in Loop: Header=BB373_16 Depth=1
	s_or_b32 exec_lo, exec_lo, s52
.LBB373_250:                            ;   in Loop: Header=BB373_16 Depth=1
	s_or_b32 exec_lo, exec_lo, s51
.LBB373_251:                            ;   in Loop: Header=BB373_16 Depth=1
	s_or_b32 exec_lo, exec_lo, s50
	s_mov_b32 s50, exec_lo
	v_cmpx_lt_u64_e64 s[4:5], v[11:12]
	s_cbranch_execz .LBB373_259
; %bb.252:                              ;   in Loop: Header=BB373_16 Depth=1
	v_cmp_ne_u32_sdwa s1, v12, v104 src0_sel:BYTE_3 src1_sel:DWORD
	v_bfrev_b32_e32 v27, 1
	s_and_saveexec_b32 s51, s1
	s_cbranch_execz .LBB373_258
; %bb.253:                              ;   in Loop: Header=BB373_16 Depth=1
	v_bfe_u32 v13, v12, 24, 7
	v_mov_b32_e32 v27, 0x7f800001
	s_mov_b32 s52, exec_lo
	v_cmpx_ne_u32_e32 0x7f, v13
	s_cbranch_execz .LBB373_257
; %bb.254:                              ;   in Loop: Header=BB373_16 Depth=1
	v_and_b32_sdwa v1, v12, v107 dst_sel:DWORD dst_unused:UNUSED_PAD src0_sel:BYTE_3 src1_sel:DWORD
	v_lshrrev_b32_e32 v11, 3, v13
	s_mov_b32 s53, exec_lo
	v_cmpx_gt_u32_e32 8, v13
; %bb.255:                              ;   in Loop: Header=BB373_16 Depth=1
	v_ffbh_u32_e32 v11, v1
	v_min_u32_e32 v11, 32, v11
	v_subrev_nc_u32_e32 v13, 28, v11
	v_sub_nc_u32_e32 v11, 29, v11
	v_lshlrev_b64 v[13:14], v13, v[1:2]
	v_and_b32_e32 v1, 7, v13
; %bb.256:                              ;   in Loop: Header=BB373_16 Depth=1
	s_or_b32 exec_lo, exec_lo, s53
	v_lshlrev_b32_sdwa v12, v108, v12 dst_sel:DWORD dst_unused:UNUSED_PAD src0_sel:DWORD src1_sel:BYTE_3
	v_lshlrev_b32_e32 v1, 20, v1
	v_lshl_add_u32 v11, v11, 23, 0x3c000000
	v_and_b32_e32 v12, 0x80000000, v12
	v_or3_b32 v27, v1, v12, v11
.LBB373_257:                            ;   in Loop: Header=BB373_16 Depth=1
	s_or_b32 exec_lo, exec_lo, s52
.LBB373_258:                            ;   in Loop: Header=BB373_16 Depth=1
	s_or_b32 exec_lo, exec_lo, s51
.LBB373_259:                            ;   in Loop: Header=BB373_16 Depth=1
	s_or_b32 exec_lo, exec_lo, s50
	global_load_dwordx2 v[11:12], v[7:8], off offset:1024
	v_mov_b32_e32 v29, 0
	v_mov_b32_e32 v30, 0
	s_waitcnt vmcnt(0)
	v_cmp_ne_u16_sdwa s1, v11, v2 src0_sel:BYTE_0 src1_sel:DWORD
	s_and_saveexec_b32 s50, s1
	s_cbranch_execz .LBB373_265
; %bb.260:                              ;   in Loop: Header=BB373_16 Depth=1
	v_cmp_ne_u16_sdwa s1, v11, v104 src0_sel:BYTE_0 src1_sel:DWORD
	v_bfrev_b32_e32 v30, 1
	s_and_saveexec_b32 s51, s1
	s_cbranch_execz .LBB373_264
; %bb.261:                              ;   in Loop: Header=BB373_16 Depth=1
	v_and_b32_e32 v1, 0x7f, v11
	v_mov_b32_e32 v30, 0x7f800001
	s_mov_b32 s52, exec_lo
	v_cmpx_ne_u32_e32 0x7f, v1
	s_cbranch_execz .LBB373_263
; %bb.262:                              ;   in Loop: Header=BB373_16 Depth=1
	v_and_b32_e32 v13, 7, v11
	v_lshrrev_b32_e32 v14, 3, v1
	v_cmp_gt_u32_e64 s1, 8, v1
	v_ffbh_u32_e32 v1, v13
	v_min_u32_e32 v1, 32, v1
	v_subrev_nc_u32_e32 v13, 28, v1
	v_sub_nc_u32_e32 v1, 29, v1
	v_cndmask_b32_e64 v13, 0, v13, s1
	v_cndmask_b32_e64 v1, v14, v1, s1
	v_lshlrev_b64 v[13:14], v13, v[11:12]
	v_lshlrev_b32_e32 v14, 24, v11
	v_lshl_add_u32 v1, v1, 23, 0x3c000000
	v_lshlrev_b32_e32 v13, 20, v13
	v_and_b32_e32 v14, 0x80000000, v14
	v_and_b32_e32 v13, 0x700000, v13
	v_or3_b32 v30, v13, v14, v1
.LBB373_263:                            ;   in Loop: Header=BB373_16 Depth=1
	s_or_b32 exec_lo, exec_lo, s52
.LBB373_264:                            ;   in Loop: Header=BB373_16 Depth=1
	s_or_b32 exec_lo, exec_lo, s51
.LBB373_265:                            ;   in Loop: Header=BB373_16 Depth=1
	s_or_b32 exec_lo, exec_lo, s50
	v_cmp_ne_u16_sdwa s1, v11, v2 src0_sel:BYTE_1 src1_sel:DWORD
	s_and_saveexec_b32 s50, s1
	s_cbranch_execz .LBB373_273
; %bb.266:                              ;   in Loop: Header=BB373_16 Depth=1
	v_cmp_ne_u16_sdwa s1, v11, v104 src0_sel:BYTE_1 src1_sel:DWORD
	v_bfrev_b32_e32 v29, 1
	s_and_saveexec_b32 s51, s1
	s_cbranch_execz .LBB373_272
; %bb.267:                              ;   in Loop: Header=BB373_16 Depth=1
	v_and_b32_sdwa v1, v105, v11 dst_sel:DWORD dst_unused:UNUSED_PAD src0_sel:DWORD src1_sel:BYTE_1
	v_mov_b32_e32 v29, 0x7f800001
	s_mov_b32 s52, exec_lo
	v_and_b32_e32 v14, 0x7f, v1
	v_cmpx_ne_u32_e32 0x7f, v14
	s_cbranch_execz .LBB373_271
; %bb.268:                              ;   in Loop: Header=BB373_16 Depth=1
	v_and_b32_e32 v1, 7, v1
	v_lshrrev_b32_e32 v13, 3, v14
	s_mov_b32 s53, exec_lo
	v_cmpx_gt_u32_e32 8, v14
; %bb.269:                              ;   in Loop: Header=BB373_16 Depth=1
	v_ffbh_u32_e32 v13, v1
	v_min_u32_e32 v13, 32, v13
	v_subrev_nc_u32_e32 v14, 28, v13
	v_sub_nc_u32_e32 v13, 29, v13
	v_lshlrev_b64 v[31:32], v14, v[1:2]
	v_and_b32_e32 v1, 7, v31
; %bb.270:                              ;   in Loop: Header=BB373_16 Depth=1
	s_or_b32 exec_lo, exec_lo, s53
	v_lshlrev_b32_e32 v14, 16, v11
	v_lshlrev_b32_e32 v1, 20, v1
	v_lshl_add_u32 v13, v13, 23, 0x3c000000
	v_and_b32_e32 v14, 0x80000000, v14
	v_or3_b32 v29, v1, v14, v13
.LBB373_271:                            ;   in Loop: Header=BB373_16 Depth=1
	s_or_b32 exec_lo, exec_lo, s52
.LBB373_272:                            ;   in Loop: Header=BB373_16 Depth=1
	s_or_b32 exec_lo, exec_lo, s51
.LBB373_273:                            ;   in Loop: Header=BB373_16 Depth=1
	s_or_b32 exec_lo, exec_lo, s50
	v_and_b32_sdwa v1, v11, v106 dst_sel:DWORD dst_unused:UNUSED_PAD src0_sel:WORD_1 src1_sel:DWORD
	v_mov_b32_e32 v32, 0
	v_mov_b32_e32 v31, 0
	s_mov_b32 s50, exec_lo
	v_cmpx_ne_u16_e32 0, v1
	s_cbranch_execz .LBB373_281
; %bb.274:                              ;   in Loop: Header=BB373_16 Depth=1
	v_bfrev_b32_e32 v31, 1
	s_mov_b32 s51, exec_lo
	v_cmpx_ne_u16_e32 0x80, v1
	s_cbranch_execz .LBB373_280
; %bb.275:                              ;   in Loop: Header=BB373_16 Depth=1
	v_bfe_u32 v14, v11, 16, 7
	v_mov_b32_e32 v31, 0x7f800001
	s_mov_b32 s52, exec_lo
	v_cmpx_ne_u32_e32 0x7f, v14
	s_cbranch_execz .LBB373_279
; %bb.276:                              ;   in Loop: Header=BB373_16 Depth=1
	v_and_b32_sdwa v1, v11, v107 dst_sel:DWORD dst_unused:UNUSED_PAD src0_sel:WORD_1 src1_sel:DWORD
	v_lshrrev_b32_e32 v13, 3, v14
	s_mov_b32 s53, exec_lo
	v_cmpx_gt_u32_e32 8, v14
; %bb.277:                              ;   in Loop: Header=BB373_16 Depth=1
	v_ffbh_u32_e32 v13, v1
	v_min_u32_e32 v13, 32, v13
	v_subrev_nc_u32_e32 v14, 28, v13
	v_sub_nc_u32_e32 v13, 29, v13
	v_lshlrev_b64 v[33:34], v14, v[1:2]
	v_and_b32_e32 v1, 7, v33
; %bb.278:                              ;   in Loop: Header=BB373_16 Depth=1
	s_or_b32 exec_lo, exec_lo, s53
	v_lshlrev_b32_sdwa v14, v108, v11 dst_sel:DWORD dst_unused:UNUSED_PAD src0_sel:DWORD src1_sel:WORD_1
	v_lshlrev_b32_e32 v1, 20, v1
	v_lshl_add_u32 v13, v13, 23, 0x3c000000
	v_and_b32_e32 v14, 0x80000000, v14
	v_or3_b32 v31, v1, v14, v13
.LBB373_279:                            ;   in Loop: Header=BB373_16 Depth=1
	s_or_b32 exec_lo, exec_lo, s52
.LBB373_280:                            ;   in Loop: Header=BB373_16 Depth=1
	s_or_b32 exec_lo, exec_lo, s51
.LBB373_281:                            ;   in Loop: Header=BB373_16 Depth=1
	s_or_b32 exec_lo, exec_lo, s50
	s_mov_b32 s50, exec_lo
	v_cmpx_lt_u32_e32 0xffffff, v11
	s_cbranch_execz .LBB373_289
; %bb.282:                              ;   in Loop: Header=BB373_16 Depth=1
	v_cmp_ne_u32_sdwa s1, v11, v104 src0_sel:BYTE_3 src1_sel:DWORD
	v_bfrev_b32_e32 v32, 1
	s_and_saveexec_b32 s51, s1
	s_cbranch_execz .LBB373_288
; %bb.283:                              ;   in Loop: Header=BB373_16 Depth=1
	v_bfe_u32 v14, v11, 24, 7
	v_mov_b32_e32 v32, 0x7f800001
	s_mov_b32 s52, exec_lo
	v_cmpx_ne_u32_e32 0x7f, v14
	s_cbranch_execz .LBB373_287
; %bb.284:                              ;   in Loop: Header=BB373_16 Depth=1
	v_and_b32_sdwa v1, v11, v107 dst_sel:DWORD dst_unused:UNUSED_PAD src0_sel:BYTE_3 src1_sel:DWORD
	v_lshrrev_b32_e32 v13, 3, v14
	s_mov_b32 s53, exec_lo
	v_cmpx_gt_u32_e32 8, v14
; %bb.285:                              ;   in Loop: Header=BB373_16 Depth=1
	v_ffbh_u32_e32 v13, v1
	v_min_u32_e32 v13, 32, v13
	v_subrev_nc_u32_e32 v14, 28, v13
	v_sub_nc_u32_e32 v13, 29, v13
	v_lshlrev_b64 v[32:33], v14, v[1:2]
	v_and_b32_e32 v1, 7, v32
; %bb.286:                              ;   in Loop: Header=BB373_16 Depth=1
	s_or_b32 exec_lo, exec_lo, s53
	v_lshlrev_b32_sdwa v14, v108, v11 dst_sel:DWORD dst_unused:UNUSED_PAD src0_sel:DWORD src1_sel:BYTE_3
	v_lshlrev_b32_e32 v1, 20, v1
	v_lshl_add_u32 v13, v13, 23, 0x3c000000
	v_and_b32_e32 v14, 0x80000000, v14
	v_or3_b32 v32, v1, v14, v13
.LBB373_287:                            ;   in Loop: Header=BB373_16 Depth=1
	s_or_b32 exec_lo, exec_lo, s52
.LBB373_288:                            ;   in Loop: Header=BB373_16 Depth=1
	s_or_b32 exec_lo, exec_lo, s51
.LBB373_289:                            ;   in Loop: Header=BB373_16 Depth=1
	s_or_b32 exec_lo, exec_lo, s50
	v_mov_b32_e32 v1, v12
	v_cmp_ne_u16_sdwa s1, v12, v2 src0_sel:BYTE_0 src1_sel:DWORD
	v_mov_b32_e32 v33, 0
	v_mov_b32_e32 v34, 0
	s_and_saveexec_b32 s50, s1
	s_cbranch_execz .LBB373_295
; %bb.290:                              ;   in Loop: Header=BB373_16 Depth=1
	v_cmp_ne_u16_sdwa s1, v12, v104 src0_sel:BYTE_0 src1_sel:DWORD
	v_bfrev_b32_e32 v34, 1
	s_and_saveexec_b32 s51, s1
	s_cbranch_execz .LBB373_294
; %bb.291:                              ;   in Loop: Header=BB373_16 Depth=1
	v_and_b32_e32 v13, 0x7f, v12
	v_mov_b32_e32 v34, 0x7f800001
	s_mov_b32 s52, exec_lo
	v_cmpx_ne_u32_e32 0x7f, v13
	s_cbranch_execz .LBB373_293
; %bb.292:                              ;   in Loop: Header=BB373_16 Depth=1
	v_and_b32_e32 v14, 7, v12
	v_lshrrev_b32_e32 v34, 3, v13
	v_cmp_gt_u32_e64 s1, 8, v13
	v_ffbh_u32_e32 v13, v14
	v_min_u32_e32 v13, 32, v13
	v_subrev_nc_u32_e32 v14, 28, v13
	v_sub_nc_u32_e32 v13, 29, v13
	v_cndmask_b32_e64 v34, v34, v13, s1
	v_cndmask_b32_e64 v13, 0, v14, s1
	v_lshl_add_u32 v34, v34, 23, 0x3c000000
	v_lshlrev_b64 v[13:14], v13, v[1:2]
	v_lshlrev_b32_e32 v14, 24, v1
	v_lshlrev_b32_e32 v13, 20, v13
	v_and_b32_e32 v14, 0x80000000, v14
	v_and_b32_e32 v13, 0x700000, v13
	v_or3_b32 v34, v13, v14, v34
.LBB373_293:                            ;   in Loop: Header=BB373_16 Depth=1
	s_or_b32 exec_lo, exec_lo, s52
.LBB373_294:                            ;   in Loop: Header=BB373_16 Depth=1
	s_or_b32 exec_lo, exec_lo, s51
.LBB373_295:                            ;   in Loop: Header=BB373_16 Depth=1
	s_or_b32 exec_lo, exec_lo, s50
	v_cmp_ne_u16_sdwa s1, v1, v2 src0_sel:BYTE_1 src1_sel:DWORD
	s_and_saveexec_b32 s50, s1
	s_cbranch_execz .LBB373_303
; %bb.296:                              ;   in Loop: Header=BB373_16 Depth=1
	v_cmp_ne_u16_sdwa s1, v1, v104 src0_sel:BYTE_1 src1_sel:DWORD
	v_bfrev_b32_e32 v33, 1
	s_and_saveexec_b32 s51, s1
	s_cbranch_execz .LBB373_302
; %bb.297:                              ;   in Loop: Header=BB373_16 Depth=1
	v_and_b32_sdwa v13, v105, v1 dst_sel:DWORD dst_unused:UNUSED_PAD src0_sel:DWORD src1_sel:BYTE_1
	v_mov_b32_e32 v33, 0x7f800001
	s_mov_b32 s52, exec_lo
	v_and_b32_e32 v35, 0x7f, v13
	v_cmpx_ne_u32_e32 0x7f, v35
	s_cbranch_execz .LBB373_301
; %bb.298:                              ;   in Loop: Header=BB373_16 Depth=1
	v_and_b32_e32 v13, 7, v13
	v_mov_b32_e32 v14, v2
	v_lshrrev_b32_e32 v33, 3, v35
	s_mov_b32 s53, exec_lo
	v_cmpx_gt_u32_e32 8, v35
; %bb.299:                              ;   in Loop: Header=BB373_16 Depth=1
	v_ffbh_u32_e32 v33, v13
	v_min_u32_e32 v33, 32, v33
	v_subrev_nc_u32_e32 v35, 28, v33
	v_sub_nc_u32_e32 v33, 29, v33
	v_lshlrev_b64 v[13:14], v35, v[13:14]
	v_and_b32_e32 v13, 7, v13
; %bb.300:                              ;   in Loop: Header=BB373_16 Depth=1
	s_or_b32 exec_lo, exec_lo, s53
	v_lshlrev_b32_e32 v1, 16, v1
	v_lshlrev_b32_e32 v13, 20, v13
	v_lshl_add_u32 v14, v33, 23, 0x3c000000
	v_and_b32_e32 v1, 0x80000000, v1
	v_or3_b32 v33, v13, v1, v14
.LBB373_301:                            ;   in Loop: Header=BB373_16 Depth=1
	s_or_b32 exec_lo, exec_lo, s52
.LBB373_302:                            ;   in Loop: Header=BB373_16 Depth=1
	s_or_b32 exec_lo, exec_lo, s51
.LBB373_303:                            ;   in Loop: Header=BB373_16 Depth=1
	s_or_b32 exec_lo, exec_lo, s50
	v_and_b32_sdwa v1, v12, v106 dst_sel:DWORD dst_unused:UNUSED_PAD src0_sel:WORD_1 src1_sel:DWORD
	v_mov_b32_e32 v35, 0
	v_mov_b32_e32 v36, 0
	s_mov_b32 s50, exec_lo
	v_cmpx_ne_u16_e32 0, v1
	s_cbranch_execz .LBB373_311
; %bb.304:                              ;   in Loop: Header=BB373_16 Depth=1
	v_bfrev_b32_e32 v36, 1
	s_mov_b32 s51, exec_lo
	v_cmpx_ne_u16_e32 0x80, v1
	s_cbranch_execz .LBB373_310
; %bb.305:                              ;   in Loop: Header=BB373_16 Depth=1
	v_bfe_u32 v14, v12, 16, 7
	v_mov_b32_e32 v36, 0x7f800001
	s_mov_b32 s52, exec_lo
	v_cmpx_ne_u32_e32 0x7f, v14
	s_cbranch_execz .LBB373_309
; %bb.306:                              ;   in Loop: Header=BB373_16 Depth=1
	v_and_b32_sdwa v1, v12, v107 dst_sel:DWORD dst_unused:UNUSED_PAD src0_sel:WORD_1 src1_sel:DWORD
	v_lshrrev_b32_e32 v13, 3, v14
	s_mov_b32 s53, exec_lo
	v_cmpx_gt_u32_e32 8, v14
; %bb.307:                              ;   in Loop: Header=BB373_16 Depth=1
	v_ffbh_u32_e32 v13, v1
	v_min_u32_e32 v13, 32, v13
	v_subrev_nc_u32_e32 v14, 28, v13
	v_sub_nc_u32_e32 v13, 29, v13
	v_lshlrev_b64 v[36:37], v14, v[1:2]
	v_and_b32_e32 v1, 7, v36
; %bb.308:                              ;   in Loop: Header=BB373_16 Depth=1
	s_or_b32 exec_lo, exec_lo, s53
	v_lshlrev_b32_sdwa v14, v108, v12 dst_sel:DWORD dst_unused:UNUSED_PAD src0_sel:DWORD src1_sel:WORD_1
	v_lshlrev_b32_e32 v1, 20, v1
	v_lshl_add_u32 v13, v13, 23, 0x3c000000
	v_and_b32_e32 v14, 0x80000000, v14
	v_or3_b32 v36, v1, v14, v13
.LBB373_309:                            ;   in Loop: Header=BB373_16 Depth=1
	s_or_b32 exec_lo, exec_lo, s52
.LBB373_310:                            ;   in Loop: Header=BB373_16 Depth=1
	s_or_b32 exec_lo, exec_lo, s51
.LBB373_311:                            ;   in Loop: Header=BB373_16 Depth=1
	s_or_b32 exec_lo, exec_lo, s50
	s_mov_b32 s50, exec_lo
	v_cmpx_lt_u64_e64 s[4:5], v[11:12]
	s_cbranch_execz .LBB373_319
; %bb.312:                              ;   in Loop: Header=BB373_16 Depth=1
	v_cmp_ne_u32_sdwa s1, v12, v104 src0_sel:BYTE_3 src1_sel:DWORD
	v_bfrev_b32_e32 v35, 1
	s_and_saveexec_b32 s51, s1
	s_cbranch_execz .LBB373_318
; %bb.313:                              ;   in Loop: Header=BB373_16 Depth=1
	v_bfe_u32 v13, v12, 24, 7
	v_mov_b32_e32 v35, 0x7f800001
	s_mov_b32 s52, exec_lo
	v_cmpx_ne_u32_e32 0x7f, v13
	s_cbranch_execz .LBB373_317
; %bb.314:                              ;   in Loop: Header=BB373_16 Depth=1
	v_and_b32_sdwa v1, v12, v107 dst_sel:DWORD dst_unused:UNUSED_PAD src0_sel:BYTE_3 src1_sel:DWORD
	v_lshrrev_b32_e32 v11, 3, v13
	s_mov_b32 s53, exec_lo
	v_cmpx_gt_u32_e32 8, v13
; %bb.315:                              ;   in Loop: Header=BB373_16 Depth=1
	v_ffbh_u32_e32 v11, v1
	v_min_u32_e32 v11, 32, v11
	v_subrev_nc_u32_e32 v13, 28, v11
	v_sub_nc_u32_e32 v11, 29, v11
	v_lshlrev_b64 v[13:14], v13, v[1:2]
	v_and_b32_e32 v1, 7, v13
; %bb.316:                              ;   in Loop: Header=BB373_16 Depth=1
	s_or_b32 exec_lo, exec_lo, s53
	v_lshlrev_b32_sdwa v12, v108, v12 dst_sel:DWORD dst_unused:UNUSED_PAD src0_sel:DWORD src1_sel:BYTE_3
	v_lshlrev_b32_e32 v1, 20, v1
	v_lshl_add_u32 v11, v11, 23, 0x3c000000
	v_and_b32_e32 v12, 0x80000000, v12
	v_or3_b32 v35, v1, v12, v11
.LBB373_317:                            ;   in Loop: Header=BB373_16 Depth=1
	s_or_b32 exec_lo, exec_lo, s52
.LBB373_318:                            ;   in Loop: Header=BB373_16 Depth=1
	s_or_b32 exec_lo, exec_lo, s51
.LBB373_319:                            ;   in Loop: Header=BB373_16 Depth=1
	s_or_b32 exec_lo, exec_lo, s50
	global_load_dwordx2 v[11:12], v[7:8], off offset:1032
	v_mov_b32_e32 v37, 0
	v_mov_b32_e32 v38, 0
	s_waitcnt vmcnt(0)
	v_cmp_ne_u16_sdwa s1, v11, v2 src0_sel:BYTE_0 src1_sel:DWORD
	s_and_saveexec_b32 s50, s1
	s_cbranch_execz .LBB373_325
; %bb.320:                              ;   in Loop: Header=BB373_16 Depth=1
	v_cmp_ne_u16_sdwa s1, v11, v104 src0_sel:BYTE_0 src1_sel:DWORD
	v_bfrev_b32_e32 v38, 1
	s_and_saveexec_b32 s51, s1
	s_cbranch_execz .LBB373_324
; %bb.321:                              ;   in Loop: Header=BB373_16 Depth=1
	v_and_b32_e32 v1, 0x7f, v11
	v_mov_b32_e32 v38, 0x7f800001
	s_mov_b32 s52, exec_lo
	v_cmpx_ne_u32_e32 0x7f, v1
	s_cbranch_execz .LBB373_323
; %bb.322:                              ;   in Loop: Header=BB373_16 Depth=1
	v_and_b32_e32 v13, 7, v11
	v_lshrrev_b32_e32 v14, 3, v1
	v_cmp_gt_u32_e64 s1, 8, v1
	v_ffbh_u32_e32 v1, v13
	v_min_u32_e32 v1, 32, v1
	v_subrev_nc_u32_e32 v13, 28, v1
	v_sub_nc_u32_e32 v1, 29, v1
	v_cndmask_b32_e64 v13, 0, v13, s1
	v_cndmask_b32_e64 v1, v14, v1, s1
	v_lshlrev_b64 v[13:14], v13, v[11:12]
	v_lshlrev_b32_e32 v14, 24, v11
	v_lshl_add_u32 v1, v1, 23, 0x3c000000
	v_lshlrev_b32_e32 v13, 20, v13
	v_and_b32_e32 v14, 0x80000000, v14
	v_and_b32_e32 v13, 0x700000, v13
	v_or3_b32 v38, v13, v14, v1
.LBB373_323:                            ;   in Loop: Header=BB373_16 Depth=1
	s_or_b32 exec_lo, exec_lo, s52
.LBB373_324:                            ;   in Loop: Header=BB373_16 Depth=1
	s_or_b32 exec_lo, exec_lo, s51
.LBB373_325:                            ;   in Loop: Header=BB373_16 Depth=1
	s_or_b32 exec_lo, exec_lo, s50
	v_cmp_ne_u16_sdwa s1, v11, v2 src0_sel:BYTE_1 src1_sel:DWORD
	s_and_saveexec_b32 s50, s1
	s_cbranch_execz .LBB373_333
; %bb.326:                              ;   in Loop: Header=BB373_16 Depth=1
	v_cmp_ne_u16_sdwa s1, v11, v104 src0_sel:BYTE_1 src1_sel:DWORD
	v_bfrev_b32_e32 v37, 1
	s_and_saveexec_b32 s51, s1
	s_cbranch_execz .LBB373_332
; %bb.327:                              ;   in Loop: Header=BB373_16 Depth=1
	v_and_b32_sdwa v1, v105, v11 dst_sel:DWORD dst_unused:UNUSED_PAD src0_sel:DWORD src1_sel:BYTE_1
	v_mov_b32_e32 v37, 0x7f800001
	s_mov_b32 s52, exec_lo
	v_and_b32_e32 v14, 0x7f, v1
	v_cmpx_ne_u32_e32 0x7f, v14
	s_cbranch_execz .LBB373_331
; %bb.328:                              ;   in Loop: Header=BB373_16 Depth=1
	v_and_b32_e32 v1, 7, v1
	v_lshrrev_b32_e32 v13, 3, v14
	s_mov_b32 s53, exec_lo
	v_cmpx_gt_u32_e32 8, v14
; %bb.329:                              ;   in Loop: Header=BB373_16 Depth=1
	v_ffbh_u32_e32 v13, v1
	v_min_u32_e32 v13, 32, v13
	v_subrev_nc_u32_e32 v14, 28, v13
	v_sub_nc_u32_e32 v13, 29, v13
	v_lshlrev_b64 v[39:40], v14, v[1:2]
	v_and_b32_e32 v1, 7, v39
; %bb.330:                              ;   in Loop: Header=BB373_16 Depth=1
	s_or_b32 exec_lo, exec_lo, s53
	v_lshlrev_b32_e32 v14, 16, v11
	v_lshlrev_b32_e32 v1, 20, v1
	v_lshl_add_u32 v13, v13, 23, 0x3c000000
	v_and_b32_e32 v14, 0x80000000, v14
	v_or3_b32 v37, v1, v14, v13
.LBB373_331:                            ;   in Loop: Header=BB373_16 Depth=1
	s_or_b32 exec_lo, exec_lo, s52
.LBB373_332:                            ;   in Loop: Header=BB373_16 Depth=1
	s_or_b32 exec_lo, exec_lo, s51
.LBB373_333:                            ;   in Loop: Header=BB373_16 Depth=1
	s_or_b32 exec_lo, exec_lo, s50
	v_and_b32_sdwa v1, v11, v106 dst_sel:DWORD dst_unused:UNUSED_PAD src0_sel:WORD_1 src1_sel:DWORD
	v_mov_b32_e32 v40, 0
	v_mov_b32_e32 v39, 0
	s_mov_b32 s50, exec_lo
	v_cmpx_ne_u16_e32 0, v1
	s_cbranch_execz .LBB373_341
; %bb.334:                              ;   in Loop: Header=BB373_16 Depth=1
	v_bfrev_b32_e32 v39, 1
	s_mov_b32 s51, exec_lo
	v_cmpx_ne_u16_e32 0x80, v1
	s_cbranch_execz .LBB373_340
; %bb.335:                              ;   in Loop: Header=BB373_16 Depth=1
	v_bfe_u32 v14, v11, 16, 7
	v_mov_b32_e32 v39, 0x7f800001
	s_mov_b32 s52, exec_lo
	v_cmpx_ne_u32_e32 0x7f, v14
	s_cbranch_execz .LBB373_339
; %bb.336:                              ;   in Loop: Header=BB373_16 Depth=1
	v_and_b32_sdwa v1, v11, v107 dst_sel:DWORD dst_unused:UNUSED_PAD src0_sel:WORD_1 src1_sel:DWORD
	v_lshrrev_b32_e32 v13, 3, v14
	s_mov_b32 s53, exec_lo
	v_cmpx_gt_u32_e32 8, v14
; %bb.337:                              ;   in Loop: Header=BB373_16 Depth=1
	v_ffbh_u32_e32 v13, v1
	v_min_u32_e32 v13, 32, v13
	v_subrev_nc_u32_e32 v14, 28, v13
	v_sub_nc_u32_e32 v13, 29, v13
	v_lshlrev_b64 v[41:42], v14, v[1:2]
	v_and_b32_e32 v1, 7, v41
; %bb.338:                              ;   in Loop: Header=BB373_16 Depth=1
	s_or_b32 exec_lo, exec_lo, s53
	v_lshlrev_b32_sdwa v14, v108, v11 dst_sel:DWORD dst_unused:UNUSED_PAD src0_sel:DWORD src1_sel:WORD_1
	v_lshlrev_b32_e32 v1, 20, v1
	v_lshl_add_u32 v13, v13, 23, 0x3c000000
	v_and_b32_e32 v14, 0x80000000, v14
	v_or3_b32 v39, v1, v14, v13
.LBB373_339:                            ;   in Loop: Header=BB373_16 Depth=1
	s_or_b32 exec_lo, exec_lo, s52
.LBB373_340:                            ;   in Loop: Header=BB373_16 Depth=1
	s_or_b32 exec_lo, exec_lo, s51
.LBB373_341:                            ;   in Loop: Header=BB373_16 Depth=1
	s_or_b32 exec_lo, exec_lo, s50
	s_mov_b32 s50, exec_lo
	v_cmpx_lt_u32_e32 0xffffff, v11
	s_cbranch_execz .LBB373_349
; %bb.342:                              ;   in Loop: Header=BB373_16 Depth=1
	v_cmp_ne_u32_sdwa s1, v11, v104 src0_sel:BYTE_3 src1_sel:DWORD
	v_bfrev_b32_e32 v40, 1
	s_and_saveexec_b32 s51, s1
	s_cbranch_execz .LBB373_348
; %bb.343:                              ;   in Loop: Header=BB373_16 Depth=1
	v_bfe_u32 v14, v11, 24, 7
	v_mov_b32_e32 v40, 0x7f800001
	s_mov_b32 s52, exec_lo
	v_cmpx_ne_u32_e32 0x7f, v14
	s_cbranch_execz .LBB373_347
; %bb.344:                              ;   in Loop: Header=BB373_16 Depth=1
	v_and_b32_sdwa v1, v11, v107 dst_sel:DWORD dst_unused:UNUSED_PAD src0_sel:BYTE_3 src1_sel:DWORD
	v_lshrrev_b32_e32 v13, 3, v14
	s_mov_b32 s53, exec_lo
	v_cmpx_gt_u32_e32 8, v14
; %bb.345:                              ;   in Loop: Header=BB373_16 Depth=1
	v_ffbh_u32_e32 v13, v1
	v_min_u32_e32 v13, 32, v13
	v_subrev_nc_u32_e32 v14, 28, v13
	v_sub_nc_u32_e32 v13, 29, v13
	v_lshlrev_b64 v[40:41], v14, v[1:2]
	v_and_b32_e32 v1, 7, v40
; %bb.346:                              ;   in Loop: Header=BB373_16 Depth=1
	s_or_b32 exec_lo, exec_lo, s53
	v_lshlrev_b32_sdwa v14, v108, v11 dst_sel:DWORD dst_unused:UNUSED_PAD src0_sel:DWORD src1_sel:BYTE_3
	v_lshlrev_b32_e32 v1, 20, v1
	v_lshl_add_u32 v13, v13, 23, 0x3c000000
	v_and_b32_e32 v14, 0x80000000, v14
	v_or3_b32 v40, v1, v14, v13
.LBB373_347:                            ;   in Loop: Header=BB373_16 Depth=1
	s_or_b32 exec_lo, exec_lo, s52
.LBB373_348:                            ;   in Loop: Header=BB373_16 Depth=1
	s_or_b32 exec_lo, exec_lo, s51
.LBB373_349:                            ;   in Loop: Header=BB373_16 Depth=1
	s_or_b32 exec_lo, exec_lo, s50
	v_mov_b32_e32 v1, v12
	v_cmp_ne_u16_sdwa s1, v12, v2 src0_sel:BYTE_0 src1_sel:DWORD
	v_mov_b32_e32 v41, 0
	v_mov_b32_e32 v42, 0
	s_and_saveexec_b32 s50, s1
	s_cbranch_execz .LBB373_355
; %bb.350:                              ;   in Loop: Header=BB373_16 Depth=1
	v_cmp_ne_u16_sdwa s1, v12, v104 src0_sel:BYTE_0 src1_sel:DWORD
	v_bfrev_b32_e32 v42, 1
	s_and_saveexec_b32 s51, s1
	s_cbranch_execz .LBB373_354
; %bb.351:                              ;   in Loop: Header=BB373_16 Depth=1
	v_and_b32_e32 v13, 0x7f, v12
	v_mov_b32_e32 v42, 0x7f800001
	s_mov_b32 s52, exec_lo
	v_cmpx_ne_u32_e32 0x7f, v13
	s_cbranch_execz .LBB373_353
; %bb.352:                              ;   in Loop: Header=BB373_16 Depth=1
	v_and_b32_e32 v14, 7, v12
	v_lshrrev_b32_e32 v42, 3, v13
	v_cmp_gt_u32_e64 s1, 8, v13
	v_ffbh_u32_e32 v13, v14
	v_min_u32_e32 v13, 32, v13
	v_subrev_nc_u32_e32 v14, 28, v13
	v_sub_nc_u32_e32 v13, 29, v13
	v_cndmask_b32_e64 v42, v42, v13, s1
	v_cndmask_b32_e64 v13, 0, v14, s1
	v_lshl_add_u32 v42, v42, 23, 0x3c000000
	v_lshlrev_b64 v[13:14], v13, v[1:2]
	v_lshlrev_b32_e32 v14, 24, v1
	v_lshlrev_b32_e32 v13, 20, v13
	v_and_b32_e32 v14, 0x80000000, v14
	v_and_b32_e32 v13, 0x700000, v13
	v_or3_b32 v42, v13, v14, v42
.LBB373_353:                            ;   in Loop: Header=BB373_16 Depth=1
	s_or_b32 exec_lo, exec_lo, s52
.LBB373_354:                            ;   in Loop: Header=BB373_16 Depth=1
	s_or_b32 exec_lo, exec_lo, s51
.LBB373_355:                            ;   in Loop: Header=BB373_16 Depth=1
	s_or_b32 exec_lo, exec_lo, s50
	v_cmp_ne_u16_sdwa s1, v1, v2 src0_sel:BYTE_1 src1_sel:DWORD
	s_and_saveexec_b32 s50, s1
	s_cbranch_execz .LBB373_363
; %bb.356:                              ;   in Loop: Header=BB373_16 Depth=1
	v_cmp_ne_u16_sdwa s1, v1, v104 src0_sel:BYTE_1 src1_sel:DWORD
	v_bfrev_b32_e32 v41, 1
	s_and_saveexec_b32 s51, s1
	s_cbranch_execz .LBB373_362
; %bb.357:                              ;   in Loop: Header=BB373_16 Depth=1
	v_and_b32_sdwa v13, v105, v1 dst_sel:DWORD dst_unused:UNUSED_PAD src0_sel:DWORD src1_sel:BYTE_1
	v_mov_b32_e32 v41, 0x7f800001
	s_mov_b32 s52, exec_lo
	v_and_b32_e32 v43, 0x7f, v13
	v_cmpx_ne_u32_e32 0x7f, v43
	s_cbranch_execz .LBB373_361
; %bb.358:                              ;   in Loop: Header=BB373_16 Depth=1
	v_and_b32_e32 v13, 7, v13
	v_mov_b32_e32 v14, v2
	v_lshrrev_b32_e32 v41, 3, v43
	s_mov_b32 s53, exec_lo
	v_cmpx_gt_u32_e32 8, v43
; %bb.359:                              ;   in Loop: Header=BB373_16 Depth=1
	v_ffbh_u32_e32 v41, v13
	v_min_u32_e32 v41, 32, v41
	v_subrev_nc_u32_e32 v43, 28, v41
	v_sub_nc_u32_e32 v41, 29, v41
	v_lshlrev_b64 v[13:14], v43, v[13:14]
	v_and_b32_e32 v13, 7, v13
; %bb.360:                              ;   in Loop: Header=BB373_16 Depth=1
	s_or_b32 exec_lo, exec_lo, s53
	v_lshlrev_b32_e32 v1, 16, v1
	v_lshlrev_b32_e32 v13, 20, v13
	v_lshl_add_u32 v14, v41, 23, 0x3c000000
	v_and_b32_e32 v1, 0x80000000, v1
	v_or3_b32 v41, v13, v1, v14
.LBB373_361:                            ;   in Loop: Header=BB373_16 Depth=1
	s_or_b32 exec_lo, exec_lo, s52
.LBB373_362:                            ;   in Loop: Header=BB373_16 Depth=1
	s_or_b32 exec_lo, exec_lo, s51
.LBB373_363:                            ;   in Loop: Header=BB373_16 Depth=1
	s_or_b32 exec_lo, exec_lo, s50
	v_and_b32_sdwa v1, v12, v106 dst_sel:DWORD dst_unused:UNUSED_PAD src0_sel:WORD_1 src1_sel:DWORD
	v_mov_b32_e32 v43, 0
	v_mov_b32_e32 v44, 0
	s_mov_b32 s50, exec_lo
	v_cmpx_ne_u16_e32 0, v1
	s_cbranch_execz .LBB373_371
; %bb.364:                              ;   in Loop: Header=BB373_16 Depth=1
	v_bfrev_b32_e32 v44, 1
	s_mov_b32 s51, exec_lo
	v_cmpx_ne_u16_e32 0x80, v1
	s_cbranch_execz .LBB373_370
; %bb.365:                              ;   in Loop: Header=BB373_16 Depth=1
	v_bfe_u32 v14, v12, 16, 7
	v_mov_b32_e32 v44, 0x7f800001
	s_mov_b32 s52, exec_lo
	v_cmpx_ne_u32_e32 0x7f, v14
	s_cbranch_execz .LBB373_369
; %bb.366:                              ;   in Loop: Header=BB373_16 Depth=1
	v_and_b32_sdwa v1, v12, v107 dst_sel:DWORD dst_unused:UNUSED_PAD src0_sel:WORD_1 src1_sel:DWORD
	v_lshrrev_b32_e32 v13, 3, v14
	s_mov_b32 s53, exec_lo
	v_cmpx_gt_u32_e32 8, v14
; %bb.367:                              ;   in Loop: Header=BB373_16 Depth=1
	v_ffbh_u32_e32 v13, v1
	v_min_u32_e32 v13, 32, v13
	v_subrev_nc_u32_e32 v14, 28, v13
	v_sub_nc_u32_e32 v13, 29, v13
	v_lshlrev_b64 v[44:45], v14, v[1:2]
	v_and_b32_e32 v1, 7, v44
; %bb.368:                              ;   in Loop: Header=BB373_16 Depth=1
	s_or_b32 exec_lo, exec_lo, s53
	v_lshlrev_b32_sdwa v14, v108, v12 dst_sel:DWORD dst_unused:UNUSED_PAD src0_sel:DWORD src1_sel:WORD_1
	v_lshlrev_b32_e32 v1, 20, v1
	v_lshl_add_u32 v13, v13, 23, 0x3c000000
	v_and_b32_e32 v14, 0x80000000, v14
	v_or3_b32 v44, v1, v14, v13
.LBB373_369:                            ;   in Loop: Header=BB373_16 Depth=1
	s_or_b32 exec_lo, exec_lo, s52
.LBB373_370:                            ;   in Loop: Header=BB373_16 Depth=1
	s_or_b32 exec_lo, exec_lo, s51
.LBB373_371:                            ;   in Loop: Header=BB373_16 Depth=1
	s_or_b32 exec_lo, exec_lo, s50
	s_mov_b32 s50, exec_lo
	v_cmpx_lt_u64_e64 s[4:5], v[11:12]
	s_cbranch_execz .LBB373_379
; %bb.372:                              ;   in Loop: Header=BB373_16 Depth=1
	v_cmp_ne_u32_sdwa s1, v12, v104 src0_sel:BYTE_3 src1_sel:DWORD
	v_bfrev_b32_e32 v43, 1
	s_and_saveexec_b32 s51, s1
	s_cbranch_execz .LBB373_378
; %bb.373:                              ;   in Loop: Header=BB373_16 Depth=1
	v_bfe_u32 v13, v12, 24, 7
	v_mov_b32_e32 v43, 0x7f800001
	s_mov_b32 s52, exec_lo
	v_cmpx_ne_u32_e32 0x7f, v13
	s_cbranch_execz .LBB373_377
; %bb.374:                              ;   in Loop: Header=BB373_16 Depth=1
	v_and_b32_sdwa v1, v12, v107 dst_sel:DWORD dst_unused:UNUSED_PAD src0_sel:BYTE_3 src1_sel:DWORD
	v_lshrrev_b32_e32 v11, 3, v13
	s_mov_b32 s53, exec_lo
	v_cmpx_gt_u32_e32 8, v13
; %bb.375:                              ;   in Loop: Header=BB373_16 Depth=1
	v_ffbh_u32_e32 v11, v1
	v_min_u32_e32 v11, 32, v11
	v_subrev_nc_u32_e32 v13, 28, v11
	v_sub_nc_u32_e32 v11, 29, v11
	v_lshlrev_b64 v[13:14], v13, v[1:2]
	v_and_b32_e32 v1, 7, v13
; %bb.376:                              ;   in Loop: Header=BB373_16 Depth=1
	s_or_b32 exec_lo, exec_lo, s53
	v_lshlrev_b32_sdwa v12, v108, v12 dst_sel:DWORD dst_unused:UNUSED_PAD src0_sel:DWORD src1_sel:BYTE_3
	v_lshlrev_b32_e32 v1, 20, v1
	v_lshl_add_u32 v11, v11, 23, 0x3c000000
	v_and_b32_e32 v12, 0x80000000, v12
	v_or3_b32 v43, v1, v12, v11
.LBB373_377:                            ;   in Loop: Header=BB373_16 Depth=1
	s_or_b32 exec_lo, exec_lo, s52
.LBB373_378:                            ;   in Loop: Header=BB373_16 Depth=1
	s_or_b32 exec_lo, exec_lo, s51
.LBB373_379:                            ;   in Loop: Header=BB373_16 Depth=1
	s_or_b32 exec_lo, exec_lo, s50
	global_load_dwordx2 v[11:12], v[7:8], off offset:1536
	v_mov_b32_e32 v45, 0
	v_mov_b32_e32 v46, 0
	s_waitcnt vmcnt(0)
	v_cmp_ne_u16_sdwa s1, v11, v2 src0_sel:BYTE_0 src1_sel:DWORD
	s_and_saveexec_b32 s50, s1
	s_cbranch_execz .LBB373_385
; %bb.380:                              ;   in Loop: Header=BB373_16 Depth=1
	v_cmp_ne_u16_sdwa s1, v11, v104 src0_sel:BYTE_0 src1_sel:DWORD
	v_bfrev_b32_e32 v46, 1
	s_and_saveexec_b32 s51, s1
	s_cbranch_execz .LBB373_384
; %bb.381:                              ;   in Loop: Header=BB373_16 Depth=1
	v_and_b32_e32 v1, 0x7f, v11
	v_mov_b32_e32 v46, 0x7f800001
	s_mov_b32 s52, exec_lo
	v_cmpx_ne_u32_e32 0x7f, v1
	s_cbranch_execz .LBB373_383
; %bb.382:                              ;   in Loop: Header=BB373_16 Depth=1
	v_and_b32_e32 v13, 7, v11
	v_lshrrev_b32_e32 v14, 3, v1
	v_cmp_gt_u32_e64 s1, 8, v1
	v_ffbh_u32_e32 v1, v13
	v_min_u32_e32 v1, 32, v1
	v_subrev_nc_u32_e32 v13, 28, v1
	v_sub_nc_u32_e32 v1, 29, v1
	v_cndmask_b32_e64 v13, 0, v13, s1
	v_cndmask_b32_e64 v1, v14, v1, s1
	v_lshlrev_b64 v[13:14], v13, v[11:12]
	v_lshlrev_b32_e32 v14, 24, v11
	v_lshl_add_u32 v1, v1, 23, 0x3c000000
	v_lshlrev_b32_e32 v13, 20, v13
	v_and_b32_e32 v14, 0x80000000, v14
	v_and_b32_e32 v13, 0x700000, v13
	v_or3_b32 v46, v13, v14, v1
.LBB373_383:                            ;   in Loop: Header=BB373_16 Depth=1
	s_or_b32 exec_lo, exec_lo, s52
.LBB373_384:                            ;   in Loop: Header=BB373_16 Depth=1
	s_or_b32 exec_lo, exec_lo, s51
.LBB373_385:                            ;   in Loop: Header=BB373_16 Depth=1
	s_or_b32 exec_lo, exec_lo, s50
	v_cmp_ne_u16_sdwa s1, v11, v2 src0_sel:BYTE_1 src1_sel:DWORD
	s_and_saveexec_b32 s50, s1
	s_cbranch_execz .LBB373_393
; %bb.386:                              ;   in Loop: Header=BB373_16 Depth=1
	v_cmp_ne_u16_sdwa s1, v11, v104 src0_sel:BYTE_1 src1_sel:DWORD
	v_bfrev_b32_e32 v45, 1
	s_and_saveexec_b32 s51, s1
	s_cbranch_execz .LBB373_392
; %bb.387:                              ;   in Loop: Header=BB373_16 Depth=1
	v_and_b32_sdwa v1, v105, v11 dst_sel:DWORD dst_unused:UNUSED_PAD src0_sel:DWORD src1_sel:BYTE_1
	v_mov_b32_e32 v45, 0x7f800001
	s_mov_b32 s52, exec_lo
	v_and_b32_e32 v14, 0x7f, v1
	v_cmpx_ne_u32_e32 0x7f, v14
	s_cbranch_execz .LBB373_391
; %bb.388:                              ;   in Loop: Header=BB373_16 Depth=1
	v_and_b32_e32 v1, 7, v1
	v_lshrrev_b32_e32 v13, 3, v14
	s_mov_b32 s53, exec_lo
	v_cmpx_gt_u32_e32 8, v14
; %bb.389:                              ;   in Loop: Header=BB373_16 Depth=1
	v_ffbh_u32_e32 v13, v1
	v_min_u32_e32 v13, 32, v13
	v_subrev_nc_u32_e32 v14, 28, v13
	v_sub_nc_u32_e32 v13, 29, v13
	v_lshlrev_b64 v[47:48], v14, v[1:2]
	v_and_b32_e32 v1, 7, v47
; %bb.390:                              ;   in Loop: Header=BB373_16 Depth=1
	s_or_b32 exec_lo, exec_lo, s53
	v_lshlrev_b32_e32 v14, 16, v11
	v_lshlrev_b32_e32 v1, 20, v1
	v_lshl_add_u32 v13, v13, 23, 0x3c000000
	v_and_b32_e32 v14, 0x80000000, v14
	v_or3_b32 v45, v1, v14, v13
.LBB373_391:                            ;   in Loop: Header=BB373_16 Depth=1
	s_or_b32 exec_lo, exec_lo, s52
.LBB373_392:                            ;   in Loop: Header=BB373_16 Depth=1
	s_or_b32 exec_lo, exec_lo, s51
.LBB373_393:                            ;   in Loop: Header=BB373_16 Depth=1
	s_or_b32 exec_lo, exec_lo, s50
	v_and_b32_sdwa v1, v11, v106 dst_sel:DWORD dst_unused:UNUSED_PAD src0_sel:WORD_1 src1_sel:DWORD
	v_mov_b32_e32 v48, 0
	v_mov_b32_e32 v47, 0
	s_mov_b32 s50, exec_lo
	v_cmpx_ne_u16_e32 0, v1
	s_cbranch_execz .LBB373_401
; %bb.394:                              ;   in Loop: Header=BB373_16 Depth=1
	v_bfrev_b32_e32 v47, 1
	s_mov_b32 s51, exec_lo
	v_cmpx_ne_u16_e32 0x80, v1
	s_cbranch_execz .LBB373_400
; %bb.395:                              ;   in Loop: Header=BB373_16 Depth=1
	v_bfe_u32 v14, v11, 16, 7
	v_mov_b32_e32 v47, 0x7f800001
	s_mov_b32 s52, exec_lo
	v_cmpx_ne_u32_e32 0x7f, v14
	s_cbranch_execz .LBB373_399
; %bb.396:                              ;   in Loop: Header=BB373_16 Depth=1
	v_and_b32_sdwa v1, v11, v107 dst_sel:DWORD dst_unused:UNUSED_PAD src0_sel:WORD_1 src1_sel:DWORD
	v_lshrrev_b32_e32 v13, 3, v14
	s_mov_b32 s53, exec_lo
	v_cmpx_gt_u32_e32 8, v14
; %bb.397:                              ;   in Loop: Header=BB373_16 Depth=1
	v_ffbh_u32_e32 v13, v1
	v_min_u32_e32 v13, 32, v13
	v_subrev_nc_u32_e32 v14, 28, v13
	v_sub_nc_u32_e32 v13, 29, v13
	v_lshlrev_b64 v[49:50], v14, v[1:2]
	v_and_b32_e32 v1, 7, v49
; %bb.398:                              ;   in Loop: Header=BB373_16 Depth=1
	s_or_b32 exec_lo, exec_lo, s53
	v_lshlrev_b32_sdwa v14, v108, v11 dst_sel:DWORD dst_unused:UNUSED_PAD src0_sel:DWORD src1_sel:WORD_1
	v_lshlrev_b32_e32 v1, 20, v1
	v_lshl_add_u32 v13, v13, 23, 0x3c000000
	v_and_b32_e32 v14, 0x80000000, v14
	v_or3_b32 v47, v1, v14, v13
.LBB373_399:                            ;   in Loop: Header=BB373_16 Depth=1
	s_or_b32 exec_lo, exec_lo, s52
.LBB373_400:                            ;   in Loop: Header=BB373_16 Depth=1
	s_or_b32 exec_lo, exec_lo, s51
.LBB373_401:                            ;   in Loop: Header=BB373_16 Depth=1
	s_or_b32 exec_lo, exec_lo, s50
	s_mov_b32 s50, exec_lo
	v_cmpx_lt_u32_e32 0xffffff, v11
	s_cbranch_execz .LBB373_409
; %bb.402:                              ;   in Loop: Header=BB373_16 Depth=1
	v_cmp_ne_u32_sdwa s1, v11, v104 src0_sel:BYTE_3 src1_sel:DWORD
	v_bfrev_b32_e32 v48, 1
	s_and_saveexec_b32 s51, s1
	s_cbranch_execz .LBB373_408
; %bb.403:                              ;   in Loop: Header=BB373_16 Depth=1
	v_bfe_u32 v14, v11, 24, 7
	v_mov_b32_e32 v48, 0x7f800001
	s_mov_b32 s52, exec_lo
	v_cmpx_ne_u32_e32 0x7f, v14
	s_cbranch_execz .LBB373_407
; %bb.404:                              ;   in Loop: Header=BB373_16 Depth=1
	v_and_b32_sdwa v1, v11, v107 dst_sel:DWORD dst_unused:UNUSED_PAD src0_sel:BYTE_3 src1_sel:DWORD
	v_lshrrev_b32_e32 v13, 3, v14
	s_mov_b32 s53, exec_lo
	v_cmpx_gt_u32_e32 8, v14
; %bb.405:                              ;   in Loop: Header=BB373_16 Depth=1
	v_ffbh_u32_e32 v13, v1
	v_min_u32_e32 v13, 32, v13
	v_subrev_nc_u32_e32 v14, 28, v13
	v_sub_nc_u32_e32 v13, 29, v13
	v_lshlrev_b64 v[48:49], v14, v[1:2]
	v_and_b32_e32 v1, 7, v48
; %bb.406:                              ;   in Loop: Header=BB373_16 Depth=1
	s_or_b32 exec_lo, exec_lo, s53
	v_lshlrev_b32_sdwa v14, v108, v11 dst_sel:DWORD dst_unused:UNUSED_PAD src0_sel:DWORD src1_sel:BYTE_3
	v_lshlrev_b32_e32 v1, 20, v1
	v_lshl_add_u32 v13, v13, 23, 0x3c000000
	v_and_b32_e32 v14, 0x80000000, v14
	v_or3_b32 v48, v1, v14, v13
.LBB373_407:                            ;   in Loop: Header=BB373_16 Depth=1
	s_or_b32 exec_lo, exec_lo, s52
.LBB373_408:                            ;   in Loop: Header=BB373_16 Depth=1
	s_or_b32 exec_lo, exec_lo, s51
.LBB373_409:                            ;   in Loop: Header=BB373_16 Depth=1
	s_or_b32 exec_lo, exec_lo, s50
	v_mov_b32_e32 v1, v12
	v_cmp_ne_u16_sdwa s1, v12, v2 src0_sel:BYTE_0 src1_sel:DWORD
	v_mov_b32_e32 v49, 0
	v_mov_b32_e32 v50, 0
	s_and_saveexec_b32 s50, s1
	s_cbranch_execz .LBB373_415
; %bb.410:                              ;   in Loop: Header=BB373_16 Depth=1
	v_cmp_ne_u16_sdwa s1, v12, v104 src0_sel:BYTE_0 src1_sel:DWORD
	v_bfrev_b32_e32 v50, 1
	s_and_saveexec_b32 s51, s1
	s_cbranch_execz .LBB373_414
; %bb.411:                              ;   in Loop: Header=BB373_16 Depth=1
	v_and_b32_e32 v13, 0x7f, v12
	v_mov_b32_e32 v50, 0x7f800001
	s_mov_b32 s52, exec_lo
	v_cmpx_ne_u32_e32 0x7f, v13
	s_cbranch_execz .LBB373_413
; %bb.412:                              ;   in Loop: Header=BB373_16 Depth=1
	v_and_b32_e32 v14, 7, v12
	v_lshrrev_b32_e32 v50, 3, v13
	v_cmp_gt_u32_e64 s1, 8, v13
	v_ffbh_u32_e32 v13, v14
	v_min_u32_e32 v13, 32, v13
	v_subrev_nc_u32_e32 v14, 28, v13
	v_sub_nc_u32_e32 v13, 29, v13
	v_cndmask_b32_e64 v50, v50, v13, s1
	v_cndmask_b32_e64 v13, 0, v14, s1
	v_lshl_add_u32 v50, v50, 23, 0x3c000000
	v_lshlrev_b64 v[13:14], v13, v[1:2]
	v_lshlrev_b32_e32 v14, 24, v1
	v_lshlrev_b32_e32 v13, 20, v13
	v_and_b32_e32 v14, 0x80000000, v14
	v_and_b32_e32 v13, 0x700000, v13
	v_or3_b32 v50, v13, v14, v50
.LBB373_413:                            ;   in Loop: Header=BB373_16 Depth=1
	s_or_b32 exec_lo, exec_lo, s52
.LBB373_414:                            ;   in Loop: Header=BB373_16 Depth=1
	s_or_b32 exec_lo, exec_lo, s51
.LBB373_415:                            ;   in Loop: Header=BB373_16 Depth=1
	s_or_b32 exec_lo, exec_lo, s50
	v_cmp_ne_u16_sdwa s1, v1, v2 src0_sel:BYTE_1 src1_sel:DWORD
	s_and_saveexec_b32 s50, s1
	s_cbranch_execz .LBB373_423
; %bb.416:                              ;   in Loop: Header=BB373_16 Depth=1
	v_cmp_ne_u16_sdwa s1, v1, v104 src0_sel:BYTE_1 src1_sel:DWORD
	v_bfrev_b32_e32 v49, 1
	s_and_saveexec_b32 s51, s1
	s_cbranch_execz .LBB373_422
; %bb.417:                              ;   in Loop: Header=BB373_16 Depth=1
	v_and_b32_sdwa v13, v105, v1 dst_sel:DWORD dst_unused:UNUSED_PAD src0_sel:DWORD src1_sel:BYTE_1
	v_mov_b32_e32 v49, 0x7f800001
	s_mov_b32 s52, exec_lo
	v_and_b32_e32 v51, 0x7f, v13
	v_cmpx_ne_u32_e32 0x7f, v51
	s_cbranch_execz .LBB373_421
; %bb.418:                              ;   in Loop: Header=BB373_16 Depth=1
	v_and_b32_e32 v13, 7, v13
	v_mov_b32_e32 v14, v2
	v_lshrrev_b32_e32 v49, 3, v51
	s_mov_b32 s53, exec_lo
	v_cmpx_gt_u32_e32 8, v51
; %bb.419:                              ;   in Loop: Header=BB373_16 Depth=1
	v_ffbh_u32_e32 v49, v13
	v_min_u32_e32 v49, 32, v49
	v_subrev_nc_u32_e32 v51, 28, v49
	v_sub_nc_u32_e32 v49, 29, v49
	v_lshlrev_b64 v[13:14], v51, v[13:14]
	v_and_b32_e32 v13, 7, v13
; %bb.420:                              ;   in Loop: Header=BB373_16 Depth=1
	s_or_b32 exec_lo, exec_lo, s53
	v_lshlrev_b32_e32 v1, 16, v1
	v_lshlrev_b32_e32 v13, 20, v13
	v_lshl_add_u32 v14, v49, 23, 0x3c000000
	v_and_b32_e32 v1, 0x80000000, v1
	v_or3_b32 v49, v13, v1, v14
.LBB373_421:                            ;   in Loop: Header=BB373_16 Depth=1
	s_or_b32 exec_lo, exec_lo, s52
.LBB373_422:                            ;   in Loop: Header=BB373_16 Depth=1
	s_or_b32 exec_lo, exec_lo, s51
.LBB373_423:                            ;   in Loop: Header=BB373_16 Depth=1
	s_or_b32 exec_lo, exec_lo, s50
	v_and_b32_sdwa v1, v12, v106 dst_sel:DWORD dst_unused:UNUSED_PAD src0_sel:WORD_1 src1_sel:DWORD
	v_mov_b32_e32 v51, 0
	v_mov_b32_e32 v52, 0
	s_mov_b32 s50, exec_lo
	v_cmpx_ne_u16_e32 0, v1
	s_cbranch_execz .LBB373_431
; %bb.424:                              ;   in Loop: Header=BB373_16 Depth=1
	v_bfrev_b32_e32 v52, 1
	s_mov_b32 s51, exec_lo
	v_cmpx_ne_u16_e32 0x80, v1
	s_cbranch_execz .LBB373_430
; %bb.425:                              ;   in Loop: Header=BB373_16 Depth=1
	v_bfe_u32 v14, v12, 16, 7
	v_mov_b32_e32 v52, 0x7f800001
	s_mov_b32 s52, exec_lo
	v_cmpx_ne_u32_e32 0x7f, v14
	s_cbranch_execz .LBB373_429
; %bb.426:                              ;   in Loop: Header=BB373_16 Depth=1
	v_and_b32_sdwa v1, v12, v107 dst_sel:DWORD dst_unused:UNUSED_PAD src0_sel:WORD_1 src1_sel:DWORD
	v_lshrrev_b32_e32 v13, 3, v14
	s_mov_b32 s53, exec_lo
	v_cmpx_gt_u32_e32 8, v14
; %bb.427:                              ;   in Loop: Header=BB373_16 Depth=1
	v_ffbh_u32_e32 v13, v1
	v_min_u32_e32 v13, 32, v13
	v_subrev_nc_u32_e32 v14, 28, v13
	v_sub_nc_u32_e32 v13, 29, v13
	v_lshlrev_b64 v[52:53], v14, v[1:2]
	v_and_b32_e32 v1, 7, v52
; %bb.428:                              ;   in Loop: Header=BB373_16 Depth=1
	s_or_b32 exec_lo, exec_lo, s53
	v_lshlrev_b32_sdwa v14, v108, v12 dst_sel:DWORD dst_unused:UNUSED_PAD src0_sel:DWORD src1_sel:WORD_1
	v_lshlrev_b32_e32 v1, 20, v1
	v_lshl_add_u32 v13, v13, 23, 0x3c000000
	v_and_b32_e32 v14, 0x80000000, v14
	v_or3_b32 v52, v1, v14, v13
.LBB373_429:                            ;   in Loop: Header=BB373_16 Depth=1
	s_or_b32 exec_lo, exec_lo, s52
.LBB373_430:                            ;   in Loop: Header=BB373_16 Depth=1
	s_or_b32 exec_lo, exec_lo, s51
.LBB373_431:                            ;   in Loop: Header=BB373_16 Depth=1
	s_or_b32 exec_lo, exec_lo, s50
	s_mov_b32 s50, exec_lo
	v_cmpx_lt_u64_e64 s[4:5], v[11:12]
	s_cbranch_execz .LBB373_439
; %bb.432:                              ;   in Loop: Header=BB373_16 Depth=1
	v_cmp_ne_u32_sdwa s1, v12, v104 src0_sel:BYTE_3 src1_sel:DWORD
	v_bfrev_b32_e32 v51, 1
	s_and_saveexec_b32 s51, s1
	s_cbranch_execz .LBB373_438
; %bb.433:                              ;   in Loop: Header=BB373_16 Depth=1
	v_bfe_u32 v13, v12, 24, 7
	v_mov_b32_e32 v51, 0x7f800001
	s_mov_b32 s52, exec_lo
	v_cmpx_ne_u32_e32 0x7f, v13
	s_cbranch_execz .LBB373_437
; %bb.434:                              ;   in Loop: Header=BB373_16 Depth=1
	v_and_b32_sdwa v1, v12, v107 dst_sel:DWORD dst_unused:UNUSED_PAD src0_sel:BYTE_3 src1_sel:DWORD
	v_lshrrev_b32_e32 v11, 3, v13
	s_mov_b32 s53, exec_lo
	v_cmpx_gt_u32_e32 8, v13
; %bb.435:                              ;   in Loop: Header=BB373_16 Depth=1
	v_ffbh_u32_e32 v11, v1
	v_min_u32_e32 v11, 32, v11
	v_subrev_nc_u32_e32 v13, 28, v11
	v_sub_nc_u32_e32 v11, 29, v11
	v_lshlrev_b64 v[13:14], v13, v[1:2]
	v_and_b32_e32 v1, 7, v13
; %bb.436:                              ;   in Loop: Header=BB373_16 Depth=1
	s_or_b32 exec_lo, exec_lo, s53
	v_lshlrev_b32_sdwa v12, v108, v12 dst_sel:DWORD dst_unused:UNUSED_PAD src0_sel:DWORD src1_sel:BYTE_3
	v_lshlrev_b32_e32 v1, 20, v1
	v_lshl_add_u32 v11, v11, 23, 0x3c000000
	v_and_b32_e32 v12, 0x80000000, v12
	v_or3_b32 v51, v1, v12, v11
.LBB373_437:                            ;   in Loop: Header=BB373_16 Depth=1
	s_or_b32 exec_lo, exec_lo, s52
.LBB373_438:                            ;   in Loop: Header=BB373_16 Depth=1
	s_or_b32 exec_lo, exec_lo, s51
.LBB373_439:                            ;   in Loop: Header=BB373_16 Depth=1
	s_or_b32 exec_lo, exec_lo, s50
	global_load_dwordx2 v[11:12], v[7:8], off offset:1544
	v_mov_b32_e32 v53, 0
	v_mov_b32_e32 v54, 0
	s_waitcnt vmcnt(0)
	v_cmp_ne_u16_sdwa s1, v11, v2 src0_sel:BYTE_0 src1_sel:DWORD
	s_and_saveexec_b32 s50, s1
	s_cbranch_execz .LBB373_445
; %bb.440:                              ;   in Loop: Header=BB373_16 Depth=1
	v_cmp_ne_u16_sdwa s1, v11, v104 src0_sel:BYTE_0 src1_sel:DWORD
	v_bfrev_b32_e32 v54, 1
	s_and_saveexec_b32 s51, s1
	s_cbranch_execz .LBB373_444
; %bb.441:                              ;   in Loop: Header=BB373_16 Depth=1
	v_and_b32_e32 v1, 0x7f, v11
	v_mov_b32_e32 v54, 0x7f800001
	s_mov_b32 s52, exec_lo
	v_cmpx_ne_u32_e32 0x7f, v1
	s_cbranch_execz .LBB373_443
; %bb.442:                              ;   in Loop: Header=BB373_16 Depth=1
	v_and_b32_e32 v13, 7, v11
	v_lshrrev_b32_e32 v14, 3, v1
	v_cmp_gt_u32_e64 s1, 8, v1
	v_ffbh_u32_e32 v1, v13
	v_min_u32_e32 v1, 32, v1
	v_subrev_nc_u32_e32 v13, 28, v1
	v_sub_nc_u32_e32 v1, 29, v1
	v_cndmask_b32_e64 v13, 0, v13, s1
	v_cndmask_b32_e64 v1, v14, v1, s1
	v_lshlrev_b64 v[13:14], v13, v[11:12]
	v_lshlrev_b32_e32 v14, 24, v11
	v_lshl_add_u32 v1, v1, 23, 0x3c000000
	v_lshlrev_b32_e32 v13, 20, v13
	v_and_b32_e32 v14, 0x80000000, v14
	v_and_b32_e32 v13, 0x700000, v13
	v_or3_b32 v54, v13, v14, v1
.LBB373_443:                            ;   in Loop: Header=BB373_16 Depth=1
	s_or_b32 exec_lo, exec_lo, s52
.LBB373_444:                            ;   in Loop: Header=BB373_16 Depth=1
	s_or_b32 exec_lo, exec_lo, s51
.LBB373_445:                            ;   in Loop: Header=BB373_16 Depth=1
	s_or_b32 exec_lo, exec_lo, s50
	v_cmp_ne_u16_sdwa s1, v11, v2 src0_sel:BYTE_1 src1_sel:DWORD
	s_and_saveexec_b32 s50, s1
	s_cbranch_execz .LBB373_453
; %bb.446:                              ;   in Loop: Header=BB373_16 Depth=1
	v_cmp_ne_u16_sdwa s1, v11, v104 src0_sel:BYTE_1 src1_sel:DWORD
	v_bfrev_b32_e32 v53, 1
	s_and_saveexec_b32 s51, s1
	s_cbranch_execz .LBB373_452
; %bb.447:                              ;   in Loop: Header=BB373_16 Depth=1
	v_and_b32_sdwa v1, v105, v11 dst_sel:DWORD dst_unused:UNUSED_PAD src0_sel:DWORD src1_sel:BYTE_1
	v_mov_b32_e32 v53, 0x7f800001
	s_mov_b32 s52, exec_lo
	v_and_b32_e32 v14, 0x7f, v1
	v_cmpx_ne_u32_e32 0x7f, v14
	s_cbranch_execz .LBB373_451
; %bb.448:                              ;   in Loop: Header=BB373_16 Depth=1
	v_and_b32_e32 v1, 7, v1
	v_lshrrev_b32_e32 v13, 3, v14
	s_mov_b32 s53, exec_lo
	v_cmpx_gt_u32_e32 8, v14
; %bb.449:                              ;   in Loop: Header=BB373_16 Depth=1
	v_ffbh_u32_e32 v13, v1
	v_min_u32_e32 v13, 32, v13
	v_subrev_nc_u32_e32 v14, 28, v13
	v_sub_nc_u32_e32 v13, 29, v13
	v_lshlrev_b64 v[55:56], v14, v[1:2]
	v_and_b32_e32 v1, 7, v55
; %bb.450:                              ;   in Loop: Header=BB373_16 Depth=1
	s_or_b32 exec_lo, exec_lo, s53
	v_lshlrev_b32_e32 v14, 16, v11
	v_lshlrev_b32_e32 v1, 20, v1
	v_lshl_add_u32 v13, v13, 23, 0x3c000000
	v_and_b32_e32 v14, 0x80000000, v14
	v_or3_b32 v53, v1, v14, v13
.LBB373_451:                            ;   in Loop: Header=BB373_16 Depth=1
	s_or_b32 exec_lo, exec_lo, s52
.LBB373_452:                            ;   in Loop: Header=BB373_16 Depth=1
	s_or_b32 exec_lo, exec_lo, s51
.LBB373_453:                            ;   in Loop: Header=BB373_16 Depth=1
	s_or_b32 exec_lo, exec_lo, s50
	v_and_b32_sdwa v1, v11, v106 dst_sel:DWORD dst_unused:UNUSED_PAD src0_sel:WORD_1 src1_sel:DWORD
	v_mov_b32_e32 v56, 0
	v_mov_b32_e32 v55, 0
	s_mov_b32 s50, exec_lo
	v_cmpx_ne_u16_e32 0, v1
	s_cbranch_execz .LBB373_461
; %bb.454:                              ;   in Loop: Header=BB373_16 Depth=1
	v_bfrev_b32_e32 v55, 1
	s_mov_b32 s51, exec_lo
	v_cmpx_ne_u16_e32 0x80, v1
	s_cbranch_execz .LBB373_460
; %bb.455:                              ;   in Loop: Header=BB373_16 Depth=1
	v_bfe_u32 v14, v11, 16, 7
	v_mov_b32_e32 v55, 0x7f800001
	s_mov_b32 s52, exec_lo
	v_cmpx_ne_u32_e32 0x7f, v14
	s_cbranch_execz .LBB373_459
; %bb.456:                              ;   in Loop: Header=BB373_16 Depth=1
	v_and_b32_sdwa v1, v11, v107 dst_sel:DWORD dst_unused:UNUSED_PAD src0_sel:WORD_1 src1_sel:DWORD
	v_lshrrev_b32_e32 v13, 3, v14
	s_mov_b32 s53, exec_lo
	v_cmpx_gt_u32_e32 8, v14
; %bb.457:                              ;   in Loop: Header=BB373_16 Depth=1
	v_ffbh_u32_e32 v13, v1
	v_min_u32_e32 v13, 32, v13
	v_subrev_nc_u32_e32 v14, 28, v13
	v_sub_nc_u32_e32 v13, 29, v13
	v_lshlrev_b64 v[57:58], v14, v[1:2]
	v_and_b32_e32 v1, 7, v57
; %bb.458:                              ;   in Loop: Header=BB373_16 Depth=1
	s_or_b32 exec_lo, exec_lo, s53
	v_lshlrev_b32_sdwa v14, v108, v11 dst_sel:DWORD dst_unused:UNUSED_PAD src0_sel:DWORD src1_sel:WORD_1
	v_lshlrev_b32_e32 v1, 20, v1
	v_lshl_add_u32 v13, v13, 23, 0x3c000000
	v_and_b32_e32 v14, 0x80000000, v14
	v_or3_b32 v55, v1, v14, v13
.LBB373_459:                            ;   in Loop: Header=BB373_16 Depth=1
	s_or_b32 exec_lo, exec_lo, s52
.LBB373_460:                            ;   in Loop: Header=BB373_16 Depth=1
	s_or_b32 exec_lo, exec_lo, s51
.LBB373_461:                            ;   in Loop: Header=BB373_16 Depth=1
	s_or_b32 exec_lo, exec_lo, s50
	s_mov_b32 s50, exec_lo
	v_cmpx_lt_u32_e32 0xffffff, v11
	s_cbranch_execz .LBB373_469
; %bb.462:                              ;   in Loop: Header=BB373_16 Depth=1
	v_cmp_ne_u32_sdwa s1, v11, v104 src0_sel:BYTE_3 src1_sel:DWORD
	v_bfrev_b32_e32 v56, 1
	s_and_saveexec_b32 s51, s1
	s_cbranch_execz .LBB373_468
; %bb.463:                              ;   in Loop: Header=BB373_16 Depth=1
	v_bfe_u32 v14, v11, 24, 7
	v_mov_b32_e32 v56, 0x7f800001
	s_mov_b32 s52, exec_lo
	v_cmpx_ne_u32_e32 0x7f, v14
	s_cbranch_execz .LBB373_467
; %bb.464:                              ;   in Loop: Header=BB373_16 Depth=1
	v_and_b32_sdwa v1, v11, v107 dst_sel:DWORD dst_unused:UNUSED_PAD src0_sel:BYTE_3 src1_sel:DWORD
	v_lshrrev_b32_e32 v13, 3, v14
	s_mov_b32 s53, exec_lo
	v_cmpx_gt_u32_e32 8, v14
; %bb.465:                              ;   in Loop: Header=BB373_16 Depth=1
	v_ffbh_u32_e32 v13, v1
	v_min_u32_e32 v13, 32, v13
	v_subrev_nc_u32_e32 v14, 28, v13
	v_sub_nc_u32_e32 v13, 29, v13
	v_lshlrev_b64 v[56:57], v14, v[1:2]
	v_and_b32_e32 v1, 7, v56
; %bb.466:                              ;   in Loop: Header=BB373_16 Depth=1
	s_or_b32 exec_lo, exec_lo, s53
	v_lshlrev_b32_sdwa v14, v108, v11 dst_sel:DWORD dst_unused:UNUSED_PAD src0_sel:DWORD src1_sel:BYTE_3
	v_lshlrev_b32_e32 v1, 20, v1
	v_lshl_add_u32 v13, v13, 23, 0x3c000000
	v_and_b32_e32 v14, 0x80000000, v14
	v_or3_b32 v56, v1, v14, v13
.LBB373_467:                            ;   in Loop: Header=BB373_16 Depth=1
	s_or_b32 exec_lo, exec_lo, s52
.LBB373_468:                            ;   in Loop: Header=BB373_16 Depth=1
	s_or_b32 exec_lo, exec_lo, s51
.LBB373_469:                            ;   in Loop: Header=BB373_16 Depth=1
	s_or_b32 exec_lo, exec_lo, s50
	v_mov_b32_e32 v1, v12
	v_cmp_ne_u16_sdwa s1, v12, v2 src0_sel:BYTE_0 src1_sel:DWORD
	v_mov_b32_e32 v57, 0
	v_mov_b32_e32 v58, 0
	s_and_saveexec_b32 s50, s1
	s_cbranch_execz .LBB373_475
; %bb.470:                              ;   in Loop: Header=BB373_16 Depth=1
	v_cmp_ne_u16_sdwa s1, v12, v104 src0_sel:BYTE_0 src1_sel:DWORD
	v_bfrev_b32_e32 v58, 1
	s_and_saveexec_b32 s51, s1
	s_cbranch_execz .LBB373_474
; %bb.471:                              ;   in Loop: Header=BB373_16 Depth=1
	v_and_b32_e32 v13, 0x7f, v12
	v_mov_b32_e32 v58, 0x7f800001
	s_mov_b32 s52, exec_lo
	v_cmpx_ne_u32_e32 0x7f, v13
	s_cbranch_execz .LBB373_473
; %bb.472:                              ;   in Loop: Header=BB373_16 Depth=1
	v_and_b32_e32 v14, 7, v12
	v_lshrrev_b32_e32 v58, 3, v13
	v_cmp_gt_u32_e64 s1, 8, v13
	v_ffbh_u32_e32 v13, v14
	v_min_u32_e32 v13, 32, v13
	v_subrev_nc_u32_e32 v14, 28, v13
	v_sub_nc_u32_e32 v13, 29, v13
	v_cndmask_b32_e64 v58, v58, v13, s1
	v_cndmask_b32_e64 v13, 0, v14, s1
	v_lshl_add_u32 v58, v58, 23, 0x3c000000
	v_lshlrev_b64 v[13:14], v13, v[1:2]
	v_lshlrev_b32_e32 v14, 24, v1
	v_lshlrev_b32_e32 v13, 20, v13
	v_and_b32_e32 v14, 0x80000000, v14
	v_and_b32_e32 v13, 0x700000, v13
	v_or3_b32 v58, v13, v14, v58
.LBB373_473:                            ;   in Loop: Header=BB373_16 Depth=1
	s_or_b32 exec_lo, exec_lo, s52
.LBB373_474:                            ;   in Loop: Header=BB373_16 Depth=1
	s_or_b32 exec_lo, exec_lo, s51
.LBB373_475:                            ;   in Loop: Header=BB373_16 Depth=1
	s_or_b32 exec_lo, exec_lo, s50
	v_cmp_ne_u16_sdwa s1, v1, v2 src0_sel:BYTE_1 src1_sel:DWORD
	s_and_saveexec_b32 s50, s1
	s_cbranch_execz .LBB373_483
; %bb.476:                              ;   in Loop: Header=BB373_16 Depth=1
	v_cmp_ne_u16_sdwa s1, v1, v104 src0_sel:BYTE_1 src1_sel:DWORD
	v_bfrev_b32_e32 v57, 1
	s_and_saveexec_b32 s51, s1
	s_cbranch_execz .LBB373_482
; %bb.477:                              ;   in Loop: Header=BB373_16 Depth=1
	v_and_b32_sdwa v13, v105, v1 dst_sel:DWORD dst_unused:UNUSED_PAD src0_sel:DWORD src1_sel:BYTE_1
	v_mov_b32_e32 v57, 0x7f800001
	s_mov_b32 s52, exec_lo
	v_and_b32_e32 v59, 0x7f, v13
	v_cmpx_ne_u32_e32 0x7f, v59
	s_cbranch_execz .LBB373_481
; %bb.478:                              ;   in Loop: Header=BB373_16 Depth=1
	v_and_b32_e32 v13, 7, v13
	v_mov_b32_e32 v14, v2
	v_lshrrev_b32_e32 v57, 3, v59
	s_mov_b32 s53, exec_lo
	v_cmpx_gt_u32_e32 8, v59
; %bb.479:                              ;   in Loop: Header=BB373_16 Depth=1
	v_ffbh_u32_e32 v57, v13
	v_min_u32_e32 v57, 32, v57
	v_subrev_nc_u32_e32 v59, 28, v57
	v_sub_nc_u32_e32 v57, 29, v57
	v_lshlrev_b64 v[13:14], v59, v[13:14]
	v_and_b32_e32 v13, 7, v13
; %bb.480:                              ;   in Loop: Header=BB373_16 Depth=1
	s_or_b32 exec_lo, exec_lo, s53
	v_lshlrev_b32_e32 v1, 16, v1
	v_lshlrev_b32_e32 v13, 20, v13
	v_lshl_add_u32 v14, v57, 23, 0x3c000000
	v_and_b32_e32 v1, 0x80000000, v1
	v_or3_b32 v57, v13, v1, v14
.LBB373_481:                            ;   in Loop: Header=BB373_16 Depth=1
	s_or_b32 exec_lo, exec_lo, s52
.LBB373_482:                            ;   in Loop: Header=BB373_16 Depth=1
	s_or_b32 exec_lo, exec_lo, s51
.LBB373_483:                            ;   in Loop: Header=BB373_16 Depth=1
	s_or_b32 exec_lo, exec_lo, s50
	v_and_b32_sdwa v1, v12, v106 dst_sel:DWORD dst_unused:UNUSED_PAD src0_sel:WORD_1 src1_sel:DWORD
	v_mov_b32_e32 v59, 0
	v_mov_b32_e32 v60, 0
	s_mov_b32 s50, exec_lo
	v_cmpx_ne_u16_e32 0, v1
	s_cbranch_execz .LBB373_491
; %bb.484:                              ;   in Loop: Header=BB373_16 Depth=1
	v_bfrev_b32_e32 v60, 1
	s_mov_b32 s51, exec_lo
	v_cmpx_ne_u16_e32 0x80, v1
	s_cbranch_execz .LBB373_490
; %bb.485:                              ;   in Loop: Header=BB373_16 Depth=1
	v_bfe_u32 v14, v12, 16, 7
	v_mov_b32_e32 v60, 0x7f800001
	s_mov_b32 s52, exec_lo
	v_cmpx_ne_u32_e32 0x7f, v14
	s_cbranch_execz .LBB373_489
; %bb.486:                              ;   in Loop: Header=BB373_16 Depth=1
	v_and_b32_sdwa v1, v12, v107 dst_sel:DWORD dst_unused:UNUSED_PAD src0_sel:WORD_1 src1_sel:DWORD
	v_lshrrev_b32_e32 v13, 3, v14
	s_mov_b32 s53, exec_lo
	v_cmpx_gt_u32_e32 8, v14
; %bb.487:                              ;   in Loop: Header=BB373_16 Depth=1
	v_ffbh_u32_e32 v13, v1
	v_min_u32_e32 v13, 32, v13
	v_subrev_nc_u32_e32 v14, 28, v13
	v_sub_nc_u32_e32 v13, 29, v13
	v_lshlrev_b64 v[60:61], v14, v[1:2]
	v_and_b32_e32 v1, 7, v60
; %bb.488:                              ;   in Loop: Header=BB373_16 Depth=1
	s_or_b32 exec_lo, exec_lo, s53
	v_lshlrev_b32_sdwa v14, v108, v12 dst_sel:DWORD dst_unused:UNUSED_PAD src0_sel:DWORD src1_sel:WORD_1
	v_lshlrev_b32_e32 v1, 20, v1
	v_lshl_add_u32 v13, v13, 23, 0x3c000000
	v_and_b32_e32 v14, 0x80000000, v14
	v_or3_b32 v60, v1, v14, v13
.LBB373_489:                            ;   in Loop: Header=BB373_16 Depth=1
	s_or_b32 exec_lo, exec_lo, s52
.LBB373_490:                            ;   in Loop: Header=BB373_16 Depth=1
	s_or_b32 exec_lo, exec_lo, s51
.LBB373_491:                            ;   in Loop: Header=BB373_16 Depth=1
	s_or_b32 exec_lo, exec_lo, s50
	s_mov_b32 s50, exec_lo
	v_cmpx_lt_u64_e64 s[4:5], v[11:12]
	s_cbranch_execz .LBB373_499
; %bb.492:                              ;   in Loop: Header=BB373_16 Depth=1
	v_cmp_ne_u32_sdwa s1, v12, v104 src0_sel:BYTE_3 src1_sel:DWORD
	v_bfrev_b32_e32 v59, 1
	s_and_saveexec_b32 s51, s1
	s_cbranch_execz .LBB373_498
; %bb.493:                              ;   in Loop: Header=BB373_16 Depth=1
	v_bfe_u32 v13, v12, 24, 7
	v_mov_b32_e32 v59, 0x7f800001
	s_mov_b32 s52, exec_lo
	v_cmpx_ne_u32_e32 0x7f, v13
	s_cbranch_execz .LBB373_497
; %bb.494:                              ;   in Loop: Header=BB373_16 Depth=1
	v_and_b32_sdwa v1, v12, v107 dst_sel:DWORD dst_unused:UNUSED_PAD src0_sel:BYTE_3 src1_sel:DWORD
	v_lshrrev_b32_e32 v11, 3, v13
	s_mov_b32 s53, exec_lo
	v_cmpx_gt_u32_e32 8, v13
; %bb.495:                              ;   in Loop: Header=BB373_16 Depth=1
	v_ffbh_u32_e32 v11, v1
	v_min_u32_e32 v11, 32, v11
	v_subrev_nc_u32_e32 v13, 28, v11
	v_sub_nc_u32_e32 v11, 29, v11
	v_lshlrev_b64 v[13:14], v13, v[1:2]
	v_and_b32_e32 v1, 7, v13
; %bb.496:                              ;   in Loop: Header=BB373_16 Depth=1
	s_or_b32 exec_lo, exec_lo, s53
	v_lshlrev_b32_sdwa v12, v108, v12 dst_sel:DWORD dst_unused:UNUSED_PAD src0_sel:DWORD src1_sel:BYTE_3
	v_lshlrev_b32_e32 v1, 20, v1
	v_lshl_add_u32 v11, v11, 23, 0x3c000000
	v_and_b32_e32 v12, 0x80000000, v12
	v_or3_b32 v59, v1, v12, v11
.LBB373_497:                            ;   in Loop: Header=BB373_16 Depth=1
	s_or_b32 exec_lo, exec_lo, s52
.LBB373_498:                            ;   in Loop: Header=BB373_16 Depth=1
	s_or_b32 exec_lo, exec_lo, s51
.LBB373_499:                            ;   in Loop: Header=BB373_16 Depth=1
	s_or_b32 exec_lo, exec_lo, s50
	v_add_co_u32 v7, s1, 0x800, v7
	v_add_co_ci_u32_e64 v8, null, 0, v8, s1
	v_mov_b32_e32 v61, 0
	v_mov_b32_e32 v62, 0
	global_load_dwordx2 v[11:12], v[7:8], off
	s_waitcnt vmcnt(0)
	v_cmp_ne_u16_sdwa s1, v11, v2 src0_sel:BYTE_0 src1_sel:DWORD
	s_and_saveexec_b32 s50, s1
	s_cbranch_execz .LBB373_505
; %bb.500:                              ;   in Loop: Header=BB373_16 Depth=1
	v_cmp_ne_u16_sdwa s1, v11, v104 src0_sel:BYTE_0 src1_sel:DWORD
	v_bfrev_b32_e32 v62, 1
	s_and_saveexec_b32 s51, s1
	s_cbranch_execz .LBB373_504
; %bb.501:                              ;   in Loop: Header=BB373_16 Depth=1
	v_and_b32_e32 v1, 0x7f, v11
	v_mov_b32_e32 v62, 0x7f800001
	s_mov_b32 s52, exec_lo
	v_cmpx_ne_u32_e32 0x7f, v1
	s_cbranch_execz .LBB373_503
; %bb.502:                              ;   in Loop: Header=BB373_16 Depth=1
	v_and_b32_e32 v13, 7, v11
	v_lshrrev_b32_e32 v14, 3, v1
	v_cmp_gt_u32_e64 s1, 8, v1
	v_ffbh_u32_e32 v1, v13
	v_min_u32_e32 v1, 32, v1
	v_subrev_nc_u32_e32 v13, 28, v1
	v_sub_nc_u32_e32 v1, 29, v1
	v_cndmask_b32_e64 v13, 0, v13, s1
	v_cndmask_b32_e64 v1, v14, v1, s1
	v_lshlrev_b64 v[13:14], v13, v[11:12]
	v_lshlrev_b32_e32 v14, 24, v11
	v_lshl_add_u32 v1, v1, 23, 0x3c000000
	v_lshlrev_b32_e32 v13, 20, v13
	v_and_b32_e32 v14, 0x80000000, v14
	v_and_b32_e32 v13, 0x700000, v13
	v_or3_b32 v62, v13, v14, v1
.LBB373_503:                            ;   in Loop: Header=BB373_16 Depth=1
	s_or_b32 exec_lo, exec_lo, s52
.LBB373_504:                            ;   in Loop: Header=BB373_16 Depth=1
	s_or_b32 exec_lo, exec_lo, s51
.LBB373_505:                            ;   in Loop: Header=BB373_16 Depth=1
	s_or_b32 exec_lo, exec_lo, s50
	v_cmp_ne_u16_sdwa s1, v11, v2 src0_sel:BYTE_1 src1_sel:DWORD
	s_and_saveexec_b32 s50, s1
	s_cbranch_execz .LBB373_513
; %bb.506:                              ;   in Loop: Header=BB373_16 Depth=1
	v_cmp_ne_u16_sdwa s1, v11, v104 src0_sel:BYTE_1 src1_sel:DWORD
	v_bfrev_b32_e32 v61, 1
	s_and_saveexec_b32 s51, s1
	s_cbranch_execz .LBB373_512
; %bb.507:                              ;   in Loop: Header=BB373_16 Depth=1
	v_and_b32_sdwa v1, v105, v11 dst_sel:DWORD dst_unused:UNUSED_PAD src0_sel:DWORD src1_sel:BYTE_1
	v_mov_b32_e32 v61, 0x7f800001
	s_mov_b32 s52, exec_lo
	v_and_b32_e32 v14, 0x7f, v1
	v_cmpx_ne_u32_e32 0x7f, v14
	s_cbranch_execz .LBB373_511
; %bb.508:                              ;   in Loop: Header=BB373_16 Depth=1
	v_and_b32_e32 v1, 7, v1
	v_lshrrev_b32_e32 v13, 3, v14
	s_mov_b32 s53, exec_lo
	v_cmpx_gt_u32_e32 8, v14
; %bb.509:                              ;   in Loop: Header=BB373_16 Depth=1
	v_ffbh_u32_e32 v13, v1
	v_min_u32_e32 v13, 32, v13
	v_subrev_nc_u32_e32 v14, 28, v13
	v_sub_nc_u32_e32 v13, 29, v13
	v_lshlrev_b64 v[63:64], v14, v[1:2]
	v_and_b32_e32 v1, 7, v63
; %bb.510:                              ;   in Loop: Header=BB373_16 Depth=1
	s_or_b32 exec_lo, exec_lo, s53
	v_lshlrev_b32_e32 v14, 16, v11
	v_lshlrev_b32_e32 v1, 20, v1
	v_lshl_add_u32 v13, v13, 23, 0x3c000000
	v_and_b32_e32 v14, 0x80000000, v14
	v_or3_b32 v61, v1, v14, v13
.LBB373_511:                            ;   in Loop: Header=BB373_16 Depth=1
	s_or_b32 exec_lo, exec_lo, s52
.LBB373_512:                            ;   in Loop: Header=BB373_16 Depth=1
	s_or_b32 exec_lo, exec_lo, s51
.LBB373_513:                            ;   in Loop: Header=BB373_16 Depth=1
	s_or_b32 exec_lo, exec_lo, s50
	v_and_b32_sdwa v1, v11, v106 dst_sel:DWORD dst_unused:UNUSED_PAD src0_sel:WORD_1 src1_sel:DWORD
	v_mov_b32_e32 v64, 0
	v_mov_b32_e32 v63, 0
	s_mov_b32 s50, exec_lo
	v_cmpx_ne_u16_e32 0, v1
	s_cbranch_execz .LBB373_521
; %bb.514:                              ;   in Loop: Header=BB373_16 Depth=1
	v_bfrev_b32_e32 v63, 1
	s_mov_b32 s51, exec_lo
	v_cmpx_ne_u16_e32 0x80, v1
	s_cbranch_execz .LBB373_520
; %bb.515:                              ;   in Loop: Header=BB373_16 Depth=1
	v_bfe_u32 v14, v11, 16, 7
	v_mov_b32_e32 v63, 0x7f800001
	s_mov_b32 s52, exec_lo
	v_cmpx_ne_u32_e32 0x7f, v14
	s_cbranch_execz .LBB373_519
; %bb.516:                              ;   in Loop: Header=BB373_16 Depth=1
	v_and_b32_sdwa v1, v11, v107 dst_sel:DWORD dst_unused:UNUSED_PAD src0_sel:WORD_1 src1_sel:DWORD
	v_lshrrev_b32_e32 v13, 3, v14
	s_mov_b32 s53, exec_lo
	v_cmpx_gt_u32_e32 8, v14
; %bb.517:                              ;   in Loop: Header=BB373_16 Depth=1
	v_ffbh_u32_e32 v13, v1
	v_min_u32_e32 v13, 32, v13
	v_subrev_nc_u32_e32 v14, 28, v13
	v_sub_nc_u32_e32 v13, 29, v13
	v_lshlrev_b64 v[65:66], v14, v[1:2]
	v_and_b32_e32 v1, 7, v65
; %bb.518:                              ;   in Loop: Header=BB373_16 Depth=1
	s_or_b32 exec_lo, exec_lo, s53
	v_lshlrev_b32_sdwa v14, v108, v11 dst_sel:DWORD dst_unused:UNUSED_PAD src0_sel:DWORD src1_sel:WORD_1
	v_lshlrev_b32_e32 v1, 20, v1
	v_lshl_add_u32 v13, v13, 23, 0x3c000000
	v_and_b32_e32 v14, 0x80000000, v14
	v_or3_b32 v63, v1, v14, v13
.LBB373_519:                            ;   in Loop: Header=BB373_16 Depth=1
	s_or_b32 exec_lo, exec_lo, s52
.LBB373_520:                            ;   in Loop: Header=BB373_16 Depth=1
	s_or_b32 exec_lo, exec_lo, s51
.LBB373_521:                            ;   in Loop: Header=BB373_16 Depth=1
	s_or_b32 exec_lo, exec_lo, s50
	s_mov_b32 s50, exec_lo
	v_cmpx_lt_u32_e32 0xffffff, v11
	s_cbranch_execz .LBB373_529
; %bb.522:                              ;   in Loop: Header=BB373_16 Depth=1
	v_cmp_ne_u32_sdwa s1, v11, v104 src0_sel:BYTE_3 src1_sel:DWORD
	v_bfrev_b32_e32 v64, 1
	s_and_saveexec_b32 s51, s1
	s_cbranch_execz .LBB373_528
; %bb.523:                              ;   in Loop: Header=BB373_16 Depth=1
	v_bfe_u32 v14, v11, 24, 7
	v_mov_b32_e32 v64, 0x7f800001
	s_mov_b32 s52, exec_lo
	v_cmpx_ne_u32_e32 0x7f, v14
	s_cbranch_execz .LBB373_527
; %bb.524:                              ;   in Loop: Header=BB373_16 Depth=1
	v_and_b32_sdwa v1, v11, v107 dst_sel:DWORD dst_unused:UNUSED_PAD src0_sel:BYTE_3 src1_sel:DWORD
	v_lshrrev_b32_e32 v13, 3, v14
	s_mov_b32 s53, exec_lo
	v_cmpx_gt_u32_e32 8, v14
; %bb.525:                              ;   in Loop: Header=BB373_16 Depth=1
	v_ffbh_u32_e32 v13, v1
	v_min_u32_e32 v13, 32, v13
	v_subrev_nc_u32_e32 v14, 28, v13
	v_sub_nc_u32_e32 v13, 29, v13
	v_lshlrev_b64 v[64:65], v14, v[1:2]
	v_and_b32_e32 v1, 7, v64
; %bb.526:                              ;   in Loop: Header=BB373_16 Depth=1
	s_or_b32 exec_lo, exec_lo, s53
	v_lshlrev_b32_sdwa v14, v108, v11 dst_sel:DWORD dst_unused:UNUSED_PAD src0_sel:DWORD src1_sel:BYTE_3
	v_lshlrev_b32_e32 v1, 20, v1
	v_lshl_add_u32 v13, v13, 23, 0x3c000000
	v_and_b32_e32 v14, 0x80000000, v14
	v_or3_b32 v64, v1, v14, v13
.LBB373_527:                            ;   in Loop: Header=BB373_16 Depth=1
	s_or_b32 exec_lo, exec_lo, s52
.LBB373_528:                            ;   in Loop: Header=BB373_16 Depth=1
	s_or_b32 exec_lo, exec_lo, s51
.LBB373_529:                            ;   in Loop: Header=BB373_16 Depth=1
	s_or_b32 exec_lo, exec_lo, s50
	v_mov_b32_e32 v1, v12
	v_cmp_ne_u16_sdwa s1, v12, v2 src0_sel:BYTE_0 src1_sel:DWORD
	v_mov_b32_e32 v67, 0
	v_mov_b32_e32 v68, 0
	s_and_saveexec_b32 s50, s1
	s_cbranch_execz .LBB373_535
; %bb.530:                              ;   in Loop: Header=BB373_16 Depth=1
	v_cmp_ne_u16_sdwa s1, v12, v104 src0_sel:BYTE_0 src1_sel:DWORD
	v_bfrev_b32_e32 v68, 1
	s_and_saveexec_b32 s51, s1
	s_cbranch_execz .LBB373_534
; %bb.531:                              ;   in Loop: Header=BB373_16 Depth=1
	v_and_b32_e32 v13, 0x7f, v12
	v_mov_b32_e32 v68, 0x7f800001
	s_mov_b32 s52, exec_lo
	v_cmpx_ne_u32_e32 0x7f, v13
	s_cbranch_execz .LBB373_533
; %bb.532:                              ;   in Loop: Header=BB373_16 Depth=1
	v_and_b32_e32 v14, 7, v12
	v_lshrrev_b32_e32 v65, 3, v13
	v_cmp_gt_u32_e64 s1, 8, v13
	v_ffbh_u32_e32 v13, v14
	v_min_u32_e32 v13, 32, v13
	v_subrev_nc_u32_e32 v14, 28, v13
	v_sub_nc_u32_e32 v13, 29, v13
	v_cndmask_b32_e64 v65, v65, v13, s1
	v_cndmask_b32_e64 v13, 0, v14, s1
	v_lshl_add_u32 v65, v65, 23, 0x3c000000
	v_lshlrev_b64 v[13:14], v13, v[1:2]
	v_lshlrev_b32_e32 v14, 24, v1
	v_lshlrev_b32_e32 v13, 20, v13
	v_and_b32_e32 v14, 0x80000000, v14
	v_and_b32_e32 v13, 0x700000, v13
	v_or3_b32 v68, v13, v14, v65
.LBB373_533:                            ;   in Loop: Header=BB373_16 Depth=1
	s_or_b32 exec_lo, exec_lo, s52
.LBB373_534:                            ;   in Loop: Header=BB373_16 Depth=1
	s_or_b32 exec_lo, exec_lo, s51
.LBB373_535:                            ;   in Loop: Header=BB373_16 Depth=1
	s_or_b32 exec_lo, exec_lo, s50
	v_cmp_ne_u16_sdwa s1, v1, v2 src0_sel:BYTE_1 src1_sel:DWORD
	s_and_saveexec_b32 s50, s1
	s_cbranch_execz .LBB373_543
; %bb.536:                              ;   in Loop: Header=BB373_16 Depth=1
	v_cmp_ne_u16_sdwa s1, v1, v104 src0_sel:BYTE_1 src1_sel:DWORD
	v_bfrev_b32_e32 v67, 1
	s_and_saveexec_b32 s51, s1
	s_cbranch_execz .LBB373_542
; %bb.537:                              ;   in Loop: Header=BB373_16 Depth=1
	v_and_b32_sdwa v13, v105, v1 dst_sel:DWORD dst_unused:UNUSED_PAD src0_sel:DWORD src1_sel:BYTE_1
	v_mov_b32_e32 v67, 0x7f800001
	s_mov_b32 s52, exec_lo
	v_and_b32_e32 v66, 0x7f, v13
	v_cmpx_ne_u32_e32 0x7f, v66
	s_cbranch_execz .LBB373_541
; %bb.538:                              ;   in Loop: Header=BB373_16 Depth=1
	v_and_b32_e32 v13, 7, v13
	v_mov_b32_e32 v14, v2
	v_lshrrev_b32_e32 v65, 3, v66
	s_mov_b32 s53, exec_lo
	v_cmpx_gt_u32_e32 8, v66
; %bb.539:                              ;   in Loop: Header=BB373_16 Depth=1
	v_ffbh_u32_e32 v65, v13
	v_min_u32_e32 v65, 32, v65
	v_subrev_nc_u32_e32 v66, 28, v65
	v_sub_nc_u32_e32 v65, 29, v65
	v_lshlrev_b64 v[13:14], v66, v[13:14]
	v_and_b32_e32 v13, 7, v13
; %bb.540:                              ;   in Loop: Header=BB373_16 Depth=1
	s_or_b32 exec_lo, exec_lo, s53
	v_lshlrev_b32_e32 v1, 16, v1
	v_lshlrev_b32_e32 v13, 20, v13
	v_lshl_add_u32 v14, v65, 23, 0x3c000000
	v_and_b32_e32 v1, 0x80000000, v1
	v_or3_b32 v67, v13, v1, v14
.LBB373_541:                            ;   in Loop: Header=BB373_16 Depth=1
	s_or_b32 exec_lo, exec_lo, s52
.LBB373_542:                            ;   in Loop: Header=BB373_16 Depth=1
	s_or_b32 exec_lo, exec_lo, s51
.LBB373_543:                            ;   in Loop: Header=BB373_16 Depth=1
	s_or_b32 exec_lo, exec_lo, s50
	v_and_b32_sdwa v1, v12, v106 dst_sel:DWORD dst_unused:UNUSED_PAD src0_sel:WORD_1 src1_sel:DWORD
	v_mov_b32_e32 v71, 0
	v_mov_b32_e32 v72, 0
	s_mov_b32 s50, exec_lo
	v_cmpx_ne_u16_e32 0, v1
	s_cbranch_execz .LBB373_551
; %bb.544:                              ;   in Loop: Header=BB373_16 Depth=1
	v_bfrev_b32_e32 v72, 1
	s_mov_b32 s51, exec_lo
	v_cmpx_ne_u16_e32 0x80, v1
	s_cbranch_execz .LBB373_550
; %bb.545:                              ;   in Loop: Header=BB373_16 Depth=1
	v_bfe_u32 v14, v12, 16, 7
	v_mov_b32_e32 v72, 0x7f800001
	s_mov_b32 s52, exec_lo
	v_cmpx_ne_u32_e32 0x7f, v14
	s_cbranch_execz .LBB373_549
; %bb.546:                              ;   in Loop: Header=BB373_16 Depth=1
	v_and_b32_sdwa v1, v12, v107 dst_sel:DWORD dst_unused:UNUSED_PAD src0_sel:WORD_1 src1_sel:DWORD
	v_lshrrev_b32_e32 v13, 3, v14
	s_mov_b32 s53, exec_lo
	v_cmpx_gt_u32_e32 8, v14
; %bb.547:                              ;   in Loop: Header=BB373_16 Depth=1
	v_ffbh_u32_e32 v13, v1
	v_min_u32_e32 v13, 32, v13
	v_subrev_nc_u32_e32 v14, 28, v13
	v_sub_nc_u32_e32 v13, 29, v13
	v_lshlrev_b64 v[65:66], v14, v[1:2]
	v_and_b32_e32 v1, 7, v65
; %bb.548:                              ;   in Loop: Header=BB373_16 Depth=1
	s_or_b32 exec_lo, exec_lo, s53
	v_lshlrev_b32_sdwa v14, v108, v12 dst_sel:DWORD dst_unused:UNUSED_PAD src0_sel:DWORD src1_sel:WORD_1
	v_lshlrev_b32_e32 v1, 20, v1
	v_lshl_add_u32 v13, v13, 23, 0x3c000000
	v_and_b32_e32 v14, 0x80000000, v14
	v_or3_b32 v72, v1, v14, v13
.LBB373_549:                            ;   in Loop: Header=BB373_16 Depth=1
	s_or_b32 exec_lo, exec_lo, s52
.LBB373_550:                            ;   in Loop: Header=BB373_16 Depth=1
	s_or_b32 exec_lo, exec_lo, s51
.LBB373_551:                            ;   in Loop: Header=BB373_16 Depth=1
	s_or_b32 exec_lo, exec_lo, s50
	s_mov_b32 s50, exec_lo
	v_cmpx_lt_u64_e64 s[4:5], v[11:12]
	s_cbranch_execz .LBB373_559
; %bb.552:                              ;   in Loop: Header=BB373_16 Depth=1
	v_cmp_ne_u32_sdwa s1, v12, v104 src0_sel:BYTE_3 src1_sel:DWORD
	v_bfrev_b32_e32 v71, 1
	s_and_saveexec_b32 s51, s1
	s_cbranch_execz .LBB373_558
; %bb.553:                              ;   in Loop: Header=BB373_16 Depth=1
	v_bfe_u32 v13, v12, 24, 7
	v_mov_b32_e32 v71, 0x7f800001
	s_mov_b32 s52, exec_lo
	v_cmpx_ne_u32_e32 0x7f, v13
	s_cbranch_execz .LBB373_557
; %bb.554:                              ;   in Loop: Header=BB373_16 Depth=1
	v_and_b32_sdwa v1, v12, v107 dst_sel:DWORD dst_unused:UNUSED_PAD src0_sel:BYTE_3 src1_sel:DWORD
	v_lshrrev_b32_e32 v11, 3, v13
	s_mov_b32 s53, exec_lo
	v_cmpx_gt_u32_e32 8, v13
; %bb.555:                              ;   in Loop: Header=BB373_16 Depth=1
	v_ffbh_u32_e32 v11, v1
	v_min_u32_e32 v11, 32, v11
	v_subrev_nc_u32_e32 v13, 28, v11
	v_sub_nc_u32_e32 v11, 29, v11
	v_lshlrev_b64 v[13:14], v13, v[1:2]
	v_and_b32_e32 v1, 7, v13
; %bb.556:                              ;   in Loop: Header=BB373_16 Depth=1
	s_or_b32 exec_lo, exec_lo, s53
	v_lshlrev_b32_sdwa v12, v108, v12 dst_sel:DWORD dst_unused:UNUSED_PAD src0_sel:DWORD src1_sel:BYTE_3
	v_lshlrev_b32_e32 v1, 20, v1
	v_lshl_add_u32 v11, v11, 23, 0x3c000000
	v_and_b32_e32 v12, 0x80000000, v12
	v_or3_b32 v71, v1, v12, v11
.LBB373_557:                            ;   in Loop: Header=BB373_16 Depth=1
	s_or_b32 exec_lo, exec_lo, s52
.LBB373_558:                            ;   in Loop: Header=BB373_16 Depth=1
	s_or_b32 exec_lo, exec_lo, s51
.LBB373_559:                            ;   in Loop: Header=BB373_16 Depth=1
	s_or_b32 exec_lo, exec_lo, s50
	global_load_dwordx2 v[7:8], v[7:8], off offset:8
	v_mov_b32_e32 v13, 0
	v_mov_b32_e32 v14, 0
	s_waitcnt vmcnt(0)
	v_cmp_ne_u16_sdwa s1, v7, v2 src0_sel:BYTE_0 src1_sel:DWORD
	s_and_saveexec_b32 s50, s1
	s_cbranch_execz .LBB373_565
; %bb.560:                              ;   in Loop: Header=BB373_16 Depth=1
	v_cmp_ne_u16_sdwa s1, v7, v104 src0_sel:BYTE_0 src1_sel:DWORD
	v_bfrev_b32_e32 v14, 1
	s_and_saveexec_b32 s51, s1
	s_cbranch_execz .LBB373_564
; %bb.561:                              ;   in Loop: Header=BB373_16 Depth=1
	v_and_b32_e32 v1, 0x7f, v7
	v_mov_b32_e32 v14, 0x7f800001
	s_mov_b32 s52, exec_lo
	v_cmpx_ne_u32_e32 0x7f, v1
	s_cbranch_execz .LBB373_563
; %bb.562:                              ;   in Loop: Header=BB373_16 Depth=1
	v_and_b32_e32 v11, 7, v7
	v_lshrrev_b32_e32 v12, 3, v1
	v_cmp_gt_u32_e64 s1, 8, v1
	v_ffbh_u32_e32 v1, v11
	v_min_u32_e32 v1, 32, v1
	v_subrev_nc_u32_e32 v11, 28, v1
	v_sub_nc_u32_e32 v1, 29, v1
	v_cndmask_b32_e64 v11, 0, v11, s1
	v_cndmask_b32_e64 v1, v12, v1, s1
	v_lshlrev_b64 v[11:12], v11, v[7:8]
	v_lshlrev_b32_e32 v12, 24, v7
	v_lshl_add_u32 v1, v1, 23, 0x3c000000
	v_lshlrev_b32_e32 v11, 20, v11
	v_and_b32_e32 v12, 0x80000000, v12
	v_and_b32_e32 v11, 0x700000, v11
	v_or3_b32 v14, v11, v12, v1
.LBB373_563:                            ;   in Loop: Header=BB373_16 Depth=1
	s_or_b32 exec_lo, exec_lo, s52
.LBB373_564:                            ;   in Loop: Header=BB373_16 Depth=1
	s_or_b32 exec_lo, exec_lo, s51
.LBB373_565:                            ;   in Loop: Header=BB373_16 Depth=1
	s_or_b32 exec_lo, exec_lo, s50
	v_cmp_ne_u16_sdwa s1, v7, v2 src0_sel:BYTE_1 src1_sel:DWORD
	s_and_saveexec_b32 s50, s1
	s_cbranch_execz .LBB373_573
; %bb.566:                              ;   in Loop: Header=BB373_16 Depth=1
	v_cmp_ne_u16_sdwa s1, v7, v104 src0_sel:BYTE_1 src1_sel:DWORD
	v_bfrev_b32_e32 v13, 1
	s_and_saveexec_b32 s51, s1
	s_cbranch_execz .LBB373_572
; %bb.567:                              ;   in Loop: Header=BB373_16 Depth=1
	v_and_b32_sdwa v1, v105, v7 dst_sel:DWORD dst_unused:UNUSED_PAD src0_sel:DWORD src1_sel:BYTE_1
	v_mov_b32_e32 v13, 0x7f800001
	s_mov_b32 s52, exec_lo
	v_and_b32_e32 v12, 0x7f, v1
	v_cmpx_ne_u32_e32 0x7f, v12
	s_cbranch_execz .LBB373_571
; %bb.568:                              ;   in Loop: Header=BB373_16 Depth=1
	v_and_b32_e32 v1, 7, v1
	v_lshrrev_b32_e32 v11, 3, v12
	s_mov_b32 s53, exec_lo
	v_cmpx_gt_u32_e32 8, v12
; %bb.569:                              ;   in Loop: Header=BB373_16 Depth=1
	v_ffbh_u32_e32 v11, v1
	v_min_u32_e32 v11, 32, v11
	v_subrev_nc_u32_e32 v12, 28, v11
	v_sub_nc_u32_e32 v11, 29, v11
	v_lshlrev_b64 v[12:13], v12, v[1:2]
	v_and_b32_e32 v1, 7, v12
; %bb.570:                              ;   in Loop: Header=BB373_16 Depth=1
	s_or_b32 exec_lo, exec_lo, s53
	v_lshlrev_b32_e32 v12, 16, v7
	v_lshlrev_b32_e32 v1, 20, v1
	v_lshl_add_u32 v11, v11, 23, 0x3c000000
	v_and_b32_e32 v12, 0x80000000, v12
	v_or3_b32 v13, v1, v12, v11
.LBB373_571:                            ;   in Loop: Header=BB373_16 Depth=1
	s_or_b32 exec_lo, exec_lo, s52
.LBB373_572:                            ;   in Loop: Header=BB373_16 Depth=1
	s_or_b32 exec_lo, exec_lo, s51
.LBB373_573:                            ;   in Loop: Header=BB373_16 Depth=1
	s_or_b32 exec_lo, exec_lo, s50
	v_and_b32_sdwa v1, v7, v106 dst_sel:DWORD dst_unused:UNUSED_PAD src0_sel:WORD_1 src1_sel:DWORD
	v_mov_b32_e32 v66, 0
	v_mov_b32_e32 v65, 0
	s_mov_b32 s50, exec_lo
	v_cmpx_ne_u16_e32 0, v1
	s_cbranch_execz .LBB373_581
; %bb.574:                              ;   in Loop: Header=BB373_16 Depth=1
	v_bfrev_b32_e32 v65, 1
	s_mov_b32 s51, exec_lo
	v_cmpx_ne_u16_e32 0x80, v1
	s_cbranch_execz .LBB373_580
; %bb.575:                              ;   in Loop: Header=BB373_16 Depth=1
	v_bfe_u32 v12, v7, 16, 7
	v_mov_b32_e32 v65, 0x7f800001
	s_mov_b32 s52, exec_lo
	v_cmpx_ne_u32_e32 0x7f, v12
	s_cbranch_execz .LBB373_579
; %bb.576:                              ;   in Loop: Header=BB373_16 Depth=1
	v_and_b32_sdwa v1, v7, v107 dst_sel:DWORD dst_unused:UNUSED_PAD src0_sel:WORD_1 src1_sel:DWORD
	v_lshrrev_b32_e32 v11, 3, v12
	s_mov_b32 s53, exec_lo
	v_cmpx_gt_u32_e32 8, v12
; %bb.577:                              ;   in Loop: Header=BB373_16 Depth=1
	v_ffbh_u32_e32 v11, v1
	v_min_u32_e32 v11, 32, v11
	v_subrev_nc_u32_e32 v12, 28, v11
	v_sub_nc_u32_e32 v11, 29, v11
	v_lshlrev_b64 v[69:70], v12, v[1:2]
	v_and_b32_e32 v1, 7, v69
; %bb.578:                              ;   in Loop: Header=BB373_16 Depth=1
	s_or_b32 exec_lo, exec_lo, s53
	v_lshlrev_b32_sdwa v12, v108, v7 dst_sel:DWORD dst_unused:UNUSED_PAD src0_sel:DWORD src1_sel:WORD_1
	v_lshlrev_b32_e32 v1, 20, v1
	v_lshl_add_u32 v11, v11, 23, 0x3c000000
	v_and_b32_e32 v12, 0x80000000, v12
	v_or3_b32 v65, v1, v12, v11
.LBB373_579:                            ;   in Loop: Header=BB373_16 Depth=1
	s_or_b32 exec_lo, exec_lo, s52
.LBB373_580:                            ;   in Loop: Header=BB373_16 Depth=1
	s_or_b32 exec_lo, exec_lo, s51
.LBB373_581:                            ;   in Loop: Header=BB373_16 Depth=1
	s_or_b32 exec_lo, exec_lo, s50
	s_mov_b32 s50, exec_lo
	v_cmpx_lt_u32_e32 0xffffff, v7
	s_cbranch_execz .LBB373_589
; %bb.582:                              ;   in Loop: Header=BB373_16 Depth=1
	v_cmp_ne_u32_sdwa s1, v7, v104 src0_sel:BYTE_3 src1_sel:DWORD
	v_bfrev_b32_e32 v66, 1
	s_and_saveexec_b32 s51, s1
	s_cbranch_execz .LBB373_588
; %bb.583:                              ;   in Loop: Header=BB373_16 Depth=1
	v_bfe_u32 v12, v7, 24, 7
	v_mov_b32_e32 v66, 0x7f800001
	s_mov_b32 s52, exec_lo
	v_cmpx_ne_u32_e32 0x7f, v12
	s_cbranch_execz .LBB373_587
; %bb.584:                              ;   in Loop: Header=BB373_16 Depth=1
	v_and_b32_sdwa v1, v7, v107 dst_sel:DWORD dst_unused:UNUSED_PAD src0_sel:BYTE_3 src1_sel:DWORD
	v_lshrrev_b32_e32 v11, 3, v12
	s_mov_b32 s53, exec_lo
	v_cmpx_gt_u32_e32 8, v12
; %bb.585:                              ;   in Loop: Header=BB373_16 Depth=1
	v_ffbh_u32_e32 v11, v1
	v_min_u32_e32 v11, 32, v11
	v_subrev_nc_u32_e32 v12, 28, v11
	v_sub_nc_u32_e32 v11, 29, v11
	v_lshlrev_b64 v[69:70], v12, v[1:2]
	v_and_b32_e32 v1, 7, v69
; %bb.586:                              ;   in Loop: Header=BB373_16 Depth=1
	s_or_b32 exec_lo, exec_lo, s53
	v_lshlrev_b32_sdwa v12, v108, v7 dst_sel:DWORD dst_unused:UNUSED_PAD src0_sel:DWORD src1_sel:BYTE_3
	v_lshlrev_b32_e32 v1, 20, v1
	v_lshl_add_u32 v11, v11, 23, 0x3c000000
	v_and_b32_e32 v12, 0x80000000, v12
	v_or3_b32 v66, v1, v12, v11
.LBB373_587:                            ;   in Loop: Header=BB373_16 Depth=1
	s_or_b32 exec_lo, exec_lo, s52
.LBB373_588:                            ;   in Loop: Header=BB373_16 Depth=1
	s_or_b32 exec_lo, exec_lo, s51
.LBB373_589:                            ;   in Loop: Header=BB373_16 Depth=1
	s_or_b32 exec_lo, exec_lo, s50
	v_mov_b32_e32 v1, v8
	v_cmp_ne_u16_sdwa s1, v8, v2 src0_sel:BYTE_0 src1_sel:DWORD
	v_mov_b32_e32 v69, 0
	v_mov_b32_e32 v70, 0
	s_and_saveexec_b32 s50, s1
	s_cbranch_execz .LBB373_595
; %bb.590:                              ;   in Loop: Header=BB373_16 Depth=1
	v_cmp_ne_u16_sdwa s1, v8, v104 src0_sel:BYTE_0 src1_sel:DWORD
	v_bfrev_b32_e32 v70, 1
	s_and_saveexec_b32 s51, s1
	s_cbranch_execz .LBB373_594
; %bb.591:                              ;   in Loop: Header=BB373_16 Depth=1
	v_and_b32_e32 v11, 0x7f, v8
	v_mov_b32_e32 v70, 0x7f800001
	s_mov_b32 s52, exec_lo
	v_cmpx_ne_u32_e32 0x7f, v11
	s_cbranch_execz .LBB373_593
; %bb.592:                              ;   in Loop: Header=BB373_16 Depth=1
	v_and_b32_e32 v12, 7, v8
	v_lshrrev_b32_e32 v70, 3, v11
	v_cmp_gt_u32_e64 s1, 8, v11
	v_ffbh_u32_e32 v11, v12
	v_min_u32_e32 v11, 32, v11
	v_subrev_nc_u32_e32 v12, 28, v11
	v_sub_nc_u32_e32 v11, 29, v11
	v_cndmask_b32_e64 v70, v70, v11, s1
	v_cndmask_b32_e64 v11, 0, v12, s1
	v_lshl_add_u32 v70, v70, 23, 0x3c000000
	v_lshlrev_b64 v[11:12], v11, v[1:2]
	v_lshlrev_b32_e32 v12, 24, v1
	v_lshlrev_b32_e32 v11, 20, v11
	v_and_b32_e32 v12, 0x80000000, v12
	v_and_b32_e32 v11, 0x700000, v11
	v_or3_b32 v70, v11, v12, v70
.LBB373_593:                            ;   in Loop: Header=BB373_16 Depth=1
	s_or_b32 exec_lo, exec_lo, s52
.LBB373_594:                            ;   in Loop: Header=BB373_16 Depth=1
	s_or_b32 exec_lo, exec_lo, s51
.LBB373_595:                            ;   in Loop: Header=BB373_16 Depth=1
	s_or_b32 exec_lo, exec_lo, s50
	v_cmp_ne_u16_sdwa s1, v1, v2 src0_sel:BYTE_1 src1_sel:DWORD
	s_and_saveexec_b32 s50, s1
	s_cbranch_execz .LBB373_603
; %bb.596:                              ;   in Loop: Header=BB373_16 Depth=1
	v_cmp_ne_u16_sdwa s1, v1, v104 src0_sel:BYTE_1 src1_sel:DWORD
	v_bfrev_b32_e32 v69, 1
	s_and_saveexec_b32 s51, s1
	s_cbranch_execz .LBB373_602
; %bb.597:                              ;   in Loop: Header=BB373_16 Depth=1
	v_and_b32_sdwa v11, v105, v1 dst_sel:DWORD dst_unused:UNUSED_PAD src0_sel:DWORD src1_sel:BYTE_1
	v_mov_b32_e32 v69, 0x7f800001
	s_mov_b32 s52, exec_lo
	v_and_b32_e32 v73, 0x7f, v11
	v_cmpx_ne_u32_e32 0x7f, v73
	s_cbranch_execz .LBB373_601
; %bb.598:                              ;   in Loop: Header=BB373_16 Depth=1
	v_and_b32_e32 v11, 7, v11
	v_mov_b32_e32 v12, v2
	v_lshrrev_b32_e32 v69, 3, v73
	s_mov_b32 s53, exec_lo
	v_cmpx_gt_u32_e32 8, v73
; %bb.599:                              ;   in Loop: Header=BB373_16 Depth=1
	v_ffbh_u32_e32 v69, v11
	v_min_u32_e32 v69, 32, v69
	v_subrev_nc_u32_e32 v73, 28, v69
	v_sub_nc_u32_e32 v69, 29, v69
	v_lshlrev_b64 v[11:12], v73, v[11:12]
	v_and_b32_e32 v11, 7, v11
; %bb.600:                              ;   in Loop: Header=BB373_16 Depth=1
	s_or_b32 exec_lo, exec_lo, s53
	v_lshlrev_b32_e32 v1, 16, v1
	v_lshlrev_b32_e32 v11, 20, v11
	v_lshl_add_u32 v12, v69, 23, 0x3c000000
	v_and_b32_e32 v1, 0x80000000, v1
	v_or3_b32 v69, v11, v1, v12
.LBB373_601:                            ;   in Loop: Header=BB373_16 Depth=1
	s_or_b32 exec_lo, exec_lo, s52
.LBB373_602:                            ;   in Loop: Header=BB373_16 Depth=1
	s_or_b32 exec_lo, exec_lo, s51
.LBB373_603:                            ;   in Loop: Header=BB373_16 Depth=1
	s_or_b32 exec_lo, exec_lo, s50
	v_and_b32_sdwa v1, v8, v106 dst_sel:DWORD dst_unused:UNUSED_PAD src0_sel:WORD_1 src1_sel:DWORD
	v_mov_b32_e32 v73, 0
	v_mov_b32_e32 v74, 0
	s_mov_b32 s50, exec_lo
	v_cmpx_ne_u16_e32 0, v1
	s_cbranch_execz .LBB373_611
; %bb.604:                              ;   in Loop: Header=BB373_16 Depth=1
	v_bfrev_b32_e32 v74, 1
	s_mov_b32 s51, exec_lo
	v_cmpx_ne_u16_e32 0x80, v1
	s_cbranch_execz .LBB373_610
; %bb.605:                              ;   in Loop: Header=BB373_16 Depth=1
	v_bfe_u32 v12, v8, 16, 7
	v_mov_b32_e32 v74, 0x7f800001
	s_mov_b32 s52, exec_lo
	v_cmpx_ne_u32_e32 0x7f, v12
	s_cbranch_execz .LBB373_609
; %bb.606:                              ;   in Loop: Header=BB373_16 Depth=1
	v_and_b32_sdwa v1, v8, v107 dst_sel:DWORD dst_unused:UNUSED_PAD src0_sel:WORD_1 src1_sel:DWORD
	v_lshrrev_b32_e32 v11, 3, v12
	s_mov_b32 s53, exec_lo
	v_cmpx_gt_u32_e32 8, v12
; %bb.607:                              ;   in Loop: Header=BB373_16 Depth=1
	v_ffbh_u32_e32 v11, v1
	v_min_u32_e32 v11, 32, v11
	v_subrev_nc_u32_e32 v12, 28, v11
	v_sub_nc_u32_e32 v11, 29, v11
	v_lshlrev_b64 v[74:75], v12, v[1:2]
	v_and_b32_e32 v1, 7, v74
; %bb.608:                              ;   in Loop: Header=BB373_16 Depth=1
	s_or_b32 exec_lo, exec_lo, s53
	v_lshlrev_b32_sdwa v12, v108, v8 dst_sel:DWORD dst_unused:UNUSED_PAD src0_sel:DWORD src1_sel:WORD_1
	v_lshlrev_b32_e32 v1, 20, v1
	v_lshl_add_u32 v11, v11, 23, 0x3c000000
	v_and_b32_e32 v12, 0x80000000, v12
	v_or3_b32 v74, v1, v12, v11
.LBB373_609:                            ;   in Loop: Header=BB373_16 Depth=1
	s_or_b32 exec_lo, exec_lo, s52
.LBB373_610:                            ;   in Loop: Header=BB373_16 Depth=1
	s_or_b32 exec_lo, exec_lo, s51
.LBB373_611:                            ;   in Loop: Header=BB373_16 Depth=1
	s_or_b32 exec_lo, exec_lo, s50
	s_mov_b32 s50, exec_lo
	v_cmpx_lt_u64_e64 s[4:5], v[7:8]
	s_cbranch_execz .LBB373_14
; %bb.612:                              ;   in Loop: Header=BB373_16 Depth=1
	v_cmp_ne_u32_sdwa s1, v8, v104 src0_sel:BYTE_3 src1_sel:DWORD
	v_bfrev_b32_e32 v73, 1
	s_and_saveexec_b32 s51, s1
	s_cbranch_execz .LBB373_13
; %bb.613:                              ;   in Loop: Header=BB373_16 Depth=1
	v_bfe_u32 v11, v8, 24, 7
	v_mov_b32_e32 v73, 0x7f800001
	s_mov_b32 s52, exec_lo
	v_cmpx_ne_u32_e32 0x7f, v11
	s_cbranch_execz .LBB373_12
; %bb.614:                              ;   in Loop: Header=BB373_16 Depth=1
	v_and_b32_sdwa v1, v8, v107 dst_sel:DWORD dst_unused:UNUSED_PAD src0_sel:BYTE_3 src1_sel:DWORD
	v_lshrrev_b32_e32 v7, 3, v11
	s_mov_b32 s53, exec_lo
	v_cmpx_gt_u32_e32 8, v11
	s_cbranch_execz .LBB373_11
; %bb.615:                              ;   in Loop: Header=BB373_16 Depth=1
	v_ffbh_u32_e32 v7, v1
	v_min_u32_e32 v7, 32, v7
	v_subrev_nc_u32_e32 v11, 28, v7
	v_sub_nc_u32_e32 v7, 29, v7
	v_lshlrev_b64 v[11:12], v11, v[1:2]
	v_and_b32_e32 v1, 7, v11
	s_branch .LBB373_11
.LBB373_616:
	s_or_b32 exec_lo, exec_lo, s48
	s_clause 0x1
	buffer_load_dword v12, off, s[56:59], 0 offset:256
	buffer_load_dword v23, off, s[56:59], 0 offset:260
.LBB373_617:
	s_or_b32 exec_lo, exec_lo, s44
	v_mbcnt_lo_u32_b32 v0, -1, 0
	v_max_f32_e32 v4, v94, v94
	v_xor_b32_e32 v1, 16, v0
	v_xor_b32_e32 v3, 8, v0
	v_cmp_gt_i32_e32 vcc_lo, 32, v1
	v_cndmask_b32_e32 v1, v0, v1, vcc_lo
	v_cmp_gt_i32_e32 vcc_lo, 32, v3
	v_lshlrev_b32_e32 v1, 2, v1
	v_cndmask_b32_e32 v3, v0, v3, vcc_lo
	ds_bpermute_b32 v2, v1, v94
	s_waitcnt lgkmcnt(0)
	v_max_f32_e32 v5, v2, v2
	v_lshlrev_b32_e32 v2, 2, v3
	v_max_f32_e32 v3, v4, v5
	v_xor_b32_e32 v5, 4, v0
	ds_bpermute_b32 v4, v2, v3
	v_cmp_gt_i32_e32 vcc_lo, 32, v5
	v_cndmask_b32_e32 v5, v0, v5, vcc_lo
	s_waitcnt lgkmcnt(0)
	v_max_f32_e32 v6, v4, v4
	v_lshlrev_b32_e32 v4, 2, v5
	v_max_f32_e32 v3, v3, v6
	v_xor_b32_e32 v6, 2, v0
	ds_bpermute_b32 v5, v4, v3
	v_cmp_gt_i32_e32 vcc_lo, 32, v6
	v_cndmask_b32_e32 v6, v0, v6, vcc_lo
	v_lshlrev_b32_e32 v26, 2, v6
	v_xor_b32_e32 v6, 1, v0
	v_cmp_gt_i32_e32 vcc_lo, 32, v6
	s_waitcnt lgkmcnt(0)
	v_max_f32_e32 v5, v5, v5
	v_cndmask_b32_e32 v6, v0, v6, vcc_lo
	v_max_f32_e32 v3, v3, v5
	v_lshlrev_b32_e32 v25, 2, v6
	ds_bpermute_b32 v5, v26, v3
	s_waitcnt lgkmcnt(0)
	v_max_f32_e32 v5, v5, v5
	v_max_f32_e32 v0, v3, v5
	buffer_load_dword v5, off, s[56:59], 0  ; 4-byte Folded Reload
	ds_bpermute_b32 v3, v25, v0
	s_waitcnt vmcnt(0)
	v_cmp_eq_u32_e32 vcc_lo, 0, v5
	buffer_load_dword v5, off, s[56:59], 0 offset:252 ; 4-byte Folded Reload
	s_waitcnt vmcnt(0)
	v_lshlrev_b32_e32 v5, 2, v5
	s_and_saveexec_b32 s1, vcc_lo
	s_cbranch_execz .LBB373_619
; %bb.618:
	s_waitcnt lgkmcnt(0)
	v_max_f32_e32 v3, v3, v3
	v_max_f32_e32 v0, v0, v0
	;; [unrolled: 1-line block ×3, first 2 shown]
	ds_write_b32 v5, v0 offset:160
.LBB373_619:
	s_or_b32 exec_lo, exec_lo, s1
	buffer_load_dword v0, off, s[56:59], 0  ; 4-byte Folded Reload
	s_waitcnt vmcnt(0) lgkmcnt(0)
	s_waitcnt_vscnt null, 0x0
	s_barrier
	buffer_gl0_inv
	v_cmp_gt_u32_e64 s1, 4, v0
	v_mov_b32_e32 v0, 0xff7fffff
	s_and_saveexec_b32 s2, s1
; %bb.620:
	ds_read_b32 v0, v23 offset:160
; %bb.621:
	s_or_b32 exec_lo, exec_lo, s2
	s_waitcnt lgkmcnt(0)
	ds_bpermute_b32 v3, v26, v0
	v_max_f32_e32 v0, v0, v0
	v_mov_b32_e32 v6, 0
	s_sub_i32 s2, s20, s43
	s_lshl_b32 s2, s2, 5
	s_add_i32 s2, s2, s40
	s_min_i32 s2, s2, s31
	s_sub_i32 s4, s2, s40
	v_cmp_gt_i32_e64 s2, s4, v12
	s_waitcnt lgkmcnt(0)
	v_max_f32_e32 v3, v3, v3
	v_max_f32_e32 v0, v0, v3
	ds_bpermute_b32 v3, v25, v0
	s_waitcnt lgkmcnt(0)
	v_max_f32_e32 v3, v3, v3
	v_max_f32_e32 v0, v0, v3
	v_lshl_add_u32 v3, v12, 2, 0xc0
	ds_bpermute_b32 v0, v6, v0
	s_and_saveexec_b32 s5, s2
	s_cbranch_execz .LBB373_625
; %bb.622:
	v_lshl_add_u32 v7, v12, 2, 0xc0
	v_mov_b32_e32 v6, 0
	v_mov_b32_e32 v8, v12
	s_mov_b32 s12, 0
	.p2align	6
.LBB373_623:                            ; =>This Inner Loop Header: Depth=1
	ds_read_b32 v11, v7
	v_add_nc_u32_e32 v8, 0x80, v8
	v_cmp_le_i32_e64 s3, s4, v8
	s_or_b32 s12, s3, s12
	s_waitcnt lgkmcnt(0)
	v_sub_f32_e32 v11, v11, v0
	v_mul_f32_e32 v11, 0x3fb8aa3b, v11
	v_exp_f32_e32 v11, v11
	ds_write_b32 v7, v11
	v_add_f32_e32 v6, v6, v11
	v_add_nc_u32_e32 v7, 0x200, v7
	s_andn2_b32 exec_lo, exec_lo, s12
	s_cbranch_execnz .LBB373_623
; %bb.624:
	s_or_b32 exec_lo, exec_lo, s12
.LBB373_625:
	s_or_b32 exec_lo, exec_lo, s5
	ds_bpermute_b32 v1, v1, v6
	s_waitcnt lgkmcnt(0)
	v_add_f32_e32 v1, v6, v1
	ds_bpermute_b32 v2, v2, v1
	s_waitcnt lgkmcnt(0)
	v_add_f32_e32 v1, v1, v2
	;; [unrolled: 3-line block ×5, first 2 shown]
	s_and_saveexec_b32 s3, vcc_lo
; %bb.626:
	ds_write_b32 v5, v1 offset:176
; %bb.627:
	s_or_b32 exec_lo, exec_lo, s3
	s_waitcnt lgkmcnt(0)
	s_barrier
	buffer_gl0_inv
	s_and_saveexec_b32 s3, s1
; %bb.628:
	ds_read_b32 v1, v23 offset:176
; %bb.629:
	s_or_b32 exec_lo, exec_lo, s3
	s_waitcnt lgkmcnt(0)
	ds_bpermute_b32 v2, v26, v1
	s_waitcnt lgkmcnt(0)
	v_add_f32_e32 v1, v1, v2
	ds_bpermute_b32 v2, v25, v1
	s_waitcnt lgkmcnt(0)
	v_add_f32_e32 v1, v1, v2
	v_mov_b32_e32 v2, 0
	ds_bpermute_b32 v1, v2, v1
	s_and_saveexec_b32 s1, s2
	s_cbranch_execz .LBB373_632
; %bb.630:
	s_waitcnt lgkmcnt(0)
	v_add_f32_e32 v2, 0x358637bd, v1
	s_mov_b32 s2, 0
	v_div_scale_f32 v4, null, v2, v2, 1.0
	v_div_scale_f32 v7, vcc_lo, 1.0, v2, 1.0
	v_rcp_f32_e32 v5, v4
	v_fma_f32 v6, -v4, v5, 1.0
	v_fmac_f32_e32 v5, v6, v5
	v_mul_f32_e32 v6, v7, v5
	v_fma_f32 v8, -v4, v6, v7
	v_fmac_f32_e32 v6, v8, v5
	v_fma_f32 v4, -v4, v6, v7
	v_div_fmas_f32 v4, v4, v5, v6
	v_div_fixup_f32 v2, v4, v2, 1.0
	v_mov_b32_e32 v4, v12
.LBB373_631:                            ; =>This Inner Loop Header: Depth=1
	ds_read_b32 v5, v3
	v_add_nc_u32_e32 v4, 0x80, v4
	v_cmp_le_i32_e32 vcc_lo, s4, v4
	s_or_b32 s2, vcc_lo, s2
	s_waitcnt lgkmcnt(0)
	v_mul_f32_e32 v5, v2, v5
	ds_write_b32 v3, v5
	v_add_nc_u32_e32 v3, 0x200, v3
	s_andn2_b32 exec_lo, exec_lo, s2
	s_cbranch_execnz .LBB373_631
.LBB373_632:
	s_or_b32 exec_lo, exec_lo, s1
	s_mul_i32 s1, s7, s30
	s_waitcnt lgkmcnt(0)
	s_mul_i32 s2, s1, s9
	s_mov_b32 s1, exec_lo
	s_barrier
	buffer_gl0_inv
	v_cmpx_eq_u32_e32 0, v12
	s_cbranch_execz .LBB373_634
; %bb.633:
	s_ashr_i32 s3, s2, 31
	s_mul_i32 s12, s7, s6
	s_lshl_b64 s[4:5], s[2:3], 2
	v_mov_b32_e32 v2, 0
	s_add_u32 s3, s26, s4
	s_addc_u32 s6, s27, s5
	s_ashr_i32 s13, s12, 31
	s_lshl_b64 s[12:13], s[12:13], 2
	s_add_u32 s3, s3, s12
	s_addc_u32 s6, s6, s13
	s_ashr_i32 s9, s8, 31
	s_lshl_b64 s[26:27], s[8:9], 2
	s_add_u32 s42, s3, s26
	s_addc_u32 s43, s6, s27
	s_add_u32 s3, s24, s4
	s_addc_u32 s4, s25, s5
	;; [unrolled: 2-line block ×4, first 2 shown]
	global_store_dword v2, v0, s[42:43]
	global_store_dword v2, v1, s[4:5]
.LBB373_634:
	s_or_b32 exec_lo, exec_lo, s1
	v_mov_b32_e32 v36, 0
	v_mov_b32_e32 v27, v12
	v_and_b32_e32 v38, 3, v12
	v_mov_b32_e32 v37, 0
	v_mov_b32_e32 v35, 0
	;; [unrolled: 1-line block ×9, first 2 shown]
	s_and_saveexec_b32 s1, s0
	s_cbranch_execz .LBB373_1260
; %bb.635:
	buffer_load_dword v6, off, s[56:59], 0 offset:252 ; 4-byte Folded Reload
	s_sub_i32 s3, s41, s21
	s_ashr_i32 s0, s18, 31
	s_add_u32 s13, s38, s18
	s_addc_u32 s0, s39, s0
	s_abs_i32 s6, s22
	v_lshlrev_b32_e32 v2, 3, v27
	v_cvt_f32_u32_e32 v0, s6
	s_sub_i32 s4, 0, s6
	v_lshlrev_b32_e32 v4, 5, v38
	s_add_i32 s12, s33, -1
	v_and_b32_e32 v43, 24, v2
	v_rcp_iflag_f32_e32 v3, v0
	v_lshlrev_b64 v[0:1], 2, v[9:10]
	v_and_b32_e32 v2, 0xf8, v2
	v_mov_b32_e32 v11, 0
	buffer_store_dword v38, off, s[56:59], 0 offset:12 ; 4-byte Folded Spill
	v_mov_b32_e32 v38, 0x80
	v_mov_b32_e32 v39, 0xffff
	;; [unrolled: 1-line block ×5, first 2 shown]
	v_mul_f32_e32 v3, 0x4f7ffffe, v3
	v_mov_b32_e32 v28, 0
	v_mov_b32_e32 v29, 0
	;; [unrolled: 1-line block ×4, first 2 shown]
	v_cvt_u32_f32_e32 v3, v3
	v_mov_b32_e32 v32, 0
	v_mov_b32_e32 v33, 0
	v_mov_b32_e32 v34, 0
	v_mov_b32_e32 v35, 0
	v_mul_lo_u32 v5, s4, v3
	s_lshl_b64 s[4:5], s[36:37], 2
	v_mov_b32_e32 v37, 0
	s_add_u32 s4, s34, s4
	s_addc_u32 s5, s35, s5
	v_add_co_u32 v12, vcc_lo, s4, v0
	v_add_co_u32 v0, s4, s13, v2
	v_mul_hi_u32 v5, v3, v5
	v_add_co_ci_u32_e64 v13, null, s5, v1, vcc_lo
	v_add_co_ci_u32_e64 v1, null, s0, 0, s4
	v_mov_b32_e32 v36, 0
	s_mov_b32 s4, -1
	s_mov_b32 s9, s17
	v_add_nc_u32_e32 v45, v3, v5
	s_mov_b32 s5, 0xffffff
	s_mov_b32 s13, 0
	buffer_store_dword v0, off, s[56:59], 0 offset:4 ; 4-byte Folded Spill
	buffer_store_dword v1, off, s[56:59], 0 offset:8 ; 4-byte Folded Spill
	s_waitcnt vmcnt(0)
	v_lshl_or_b32 v4, v6, 7, v4
	v_add_nc_u32_e32 v44, 0xc0, v4
	s_branch .LBB373_638
.LBB373_636:                            ;   in Loop: Header=BB373_638 Depth=1
	s_or_b32 exec_lo, exec_lo, s0
	v_bfe_u32 v14, v5, 16, 1
	v_or_b32_e32 v15, 0x400000, v5
	v_bfe_u32 v62, v6, 16, 1
	v_cmp_u_f32_e32 vcc_lo, v5, v5
	v_bfe_u32 v63, v7, 16, 1
	v_add3_u32 v14, v14, v5, 0x7fff
	v_or_b32_e32 v64, 0x400000, v6
	v_add3_u32 v62, v62, v6, 0x7fff
	v_or_b32_e32 v65, 0x400000, v7
	v_add3_u32 v63, v63, v7, 0x7fff
	v_cndmask_b32_e32 v5, v14, v15, vcc_lo
	v_cmp_u_f32_e32 vcc_lo, v6, v6
	v_bfe_u32 v14, v8, 16, 1
	v_bfe_u32 v15, v1, 16, 1
	v_lshlrev_b32_e32 v22, 16, v22
	v_lshlrev_b32_e32 v0, 16, v0
	v_cndmask_b32_e32 v6, v62, v64, vcc_lo
	v_cmp_u_f32_e32 vcc_lo, v7, v7
	v_add3_u32 v14, v14, v8, 0x7fff
	v_or_b32_e32 v62, 0x400000, v8
	v_add3_u32 v15, v15, v1, 0x7fff
	v_bfe_u32 v64, v2, 16, 1
	v_cndmask_b32_e32 v7, v63, v65, vcc_lo
	v_cmp_u_f32_e32 vcc_lo, v8, v8
	v_or_b32_e32 v63, 0x400000, v1
	v_lshlrev_b32_e32 v23, 16, v23
	v_lshlrev_b32_e32 v60, 16, v60
	v_and_b32_e32 v7, 0xffff0000, v7
	v_cndmask_b32_e32 v8, v14, v62, vcc_lo
	v_cmp_u_f32_e32 vcc_lo, v1, v1
	v_or_b32_e32 v62, 0x400000, v2
	v_and_b32_e32 v1, 0xffff0000, v6
	v_lshlrev_b32_e32 v6, 16, v121
	v_lshlrev_b32_e32 v57, 16, v57
	v_cndmask_b32_e32 v14, v15, v63, vcc_lo
	v_add3_u32 v15, v64, v2, 0x7fff
	v_bfe_u32 v63, v3, 16, 1
	v_cmp_u_f32_e32 vcc_lo, v2, v2
	v_mul_f32_e32 v64, v1, v6
	v_and_b32_e32 v6, 0xffff0000, v5
	v_lshlrev_b32_e32 v5, 16, v122
	v_add3_u32 v2, v63, v3, 0x7fff
	v_cndmask_b32_e32 v15, v15, v62, vcc_lo
	v_or_b32_e32 v62, 0x400000, v3
	v_bfe_u32 v63, v4, 16, 1
	v_cmp_u_f32_e32 vcc_lo, v3, v3
	v_bfe_u32 v65, v64, 16, 1
	v_mul_f32_e32 v5, v6, v5
	v_mul_f32_e32 v60, v6, v60
	v_add3_u32 v3, v63, v4, 0x7fff
	v_cndmask_b32_e32 v62, v2, v62, vcc_lo
	v_or_b32_e32 v63, 0x400000, v4
	v_and_b32_e32 v2, 0xffff0000, v8
	v_lshlrev_b32_e32 v8, 16, v116
	v_cmp_u_f32_e32 vcc_lo, v4, v4
	v_lshlrev_b32_e32 v59, 16, v59
	v_lshlrev_b32_e32 v54, 16, v54
	v_lshlrev_b32_e32 v55, 16, v55
	v_mul_f32_e32 v66, v2, v8
	v_cndmask_b32_e32 v4, v3, v63, vcc_lo
	v_add3_u32 v3, v65, v64, 0x7fff
	v_or_b32_e32 v63, 0x400000, v64
	v_bfe_u32 v65, v5, 16, 1
	v_lshlrev_b32_e32 v8, 16, v117
	v_cmp_u_f32_e32 vcc_lo, v64, v64
	v_bfe_u32 v67, v66, 16, 1
	v_and_b32_e32 v4, 0xffff0000, v4
	v_add3_u32 v64, v65, v5, 0x7fff
	v_or_b32_e32 v65, 0x400000, v5
	v_cndmask_b32_e32 v63, v3, v63, vcc_lo
	v_mul_f32_e32 v68, v7, v8
	v_and_b32_e32 v3, 0xffff0000, v15
	v_lshlrev_b32_e32 v8, 16, v20
	v_cmp_u_f32_e32 vcc_lo, v5, v5
	v_add3_u32 v5, v67, v66, 0x7fff
	v_or_b32_e32 v20, 0x400000, v66
	v_lshlrev_b32_e32 v67, 16, v123
	v_and_b32_e32 v63, 0xffff0000, v63
	v_cndmask_b32_e32 v15, v64, v65, vcc_lo
	v_bfe_u32 v64, v68, 16, 1
	v_mul_f32_e32 v65, v3, v8
	v_and_b32_e32 v8, 0xffff0000, v14
	v_lshlrev_b32_e32 v14, 16, v21
	v_cmp_u_f32_e32 vcc_lo, v66, v66
	v_add3_u32 v21, v64, v68, 0x7fff
	v_or_b32_e32 v64, 0x400000, v68
	v_bfe_u32 v66, v65, 16, 1
	v_mul_f32_e32 v14, v8, v14
	v_cndmask_b32_e32 v20, v5, v20, vcc_lo
	v_and_b32_e32 v5, 0xffff0000, v62
	v_lshlrev_b32_e32 v62, 16, v120
	v_cmp_u_f32_e32 vcc_lo, v68, v68
	v_add3_u32 v66, v66, v65, 0x7fff
	v_or_b32_e32 v68, 0x400000, v65
	v_mul_f32_e32 v67, v4, v67
	v_mul_f32_e32 v62, v5, v62
	v_cndmask_b32_e32 v21, v21, v64, vcc_lo
	v_bfe_u32 v64, v14, 16, 1
	v_cmp_u_f32_e32 vcc_lo, v65, v65
	v_or_b32_e32 v69, 0x400000, v14
	v_bfe_u32 v117, v62, 16, 1
	v_bfe_u32 v116, v67, 16, 1
	v_add3_u32 v64, v64, v14, 0x7fff
	v_cndmask_b32_e32 v65, v66, v68, vcc_lo
	v_cmp_u_f32_e32 vcc_lo, v14, v14
	v_add3_u32 v66, v117, v62, 0x7fff
	v_or_b32_e32 v68, 0x400000, v62
	v_and_b32_e32 v15, 0xffff0000, v15
	v_and_b32_e32 v21, 0xffff0000, v21
	v_cndmask_b32_e32 v14, v64, v69, vcc_lo
	v_cmp_u_f32_e32 vcc_lo, v62, v62
	v_add3_u32 v64, v116, v67, 0x7fff
	v_and_b32_e32 v20, 0xffff0000, v20
	v_or_b32_e32 v69, 0x400000, v67
	v_add_f32_e32 v15, v15, v63
	v_cndmask_b32_e32 v62, v66, v68, vcc_lo
	v_cmp_u_f32_e32 vcc_lo, v67, v67
	v_add_f32_e32 v20, v21, v20
	v_and_b32_e32 v14, 0xffff0000, v14
	v_and_b32_e32 v21, 0xffff0000, v65
	v_lshlrev_b32_e32 v65, 16, v112
	v_cndmask_b32_e32 v63, v64, v69, vcc_lo
	v_add_f32_e32 v15, v20, v15
	v_and_b32_e32 v20, 0xffff0000, v62
	v_add_f32_e32 v14, v14, v21
	v_lshlrev_b32_e32 v62, 16, v114
	v_and_b32_e32 v21, 0xffff0000, v63
	v_lshlrev_b32_e32 v63, 16, v113
	v_lshlrev_b32_e32 v67, 16, v111
	v_add_f32_e32 v14, v14, v15
	v_mul_f32_e32 v22, v3, v22
	v_add_f32_e32 v15, v20, v21
	v_mul_f32_e32 v20, v1, v62
	v_mul_f32_e32 v21, v6, v63
	v_lshlrev_b32_e32 v63, 16, v110
	v_mul_f32_e32 v0, v8, v0
	v_add_f32_e32 v14, v15, v14
	v_bfe_u32 v15, v20, 16, 1
	v_bfe_u32 v62, v21, 16, 1
	v_cmp_u_f32_e32 vcc_lo, v20, v20
	v_mul_f32_e32 v63, v2, v63
	v_add_f32_e32 v29, v29, v14
	v_add3_u32 v14, v15, v20, 0x7fff
	v_or_b32_e32 v15, 0x400000, v20
	v_add3_u32 v62, v62, v21, 0x7fff
	v_or_b32_e32 v64, 0x400000, v21
	v_mul_f32_e32 v23, v5, v23
	v_mul_f32_e32 v54, v3, v54
	v_cndmask_b32_e32 v14, v14, v15, vcc_lo
	v_cmp_u_f32_e32 vcc_lo, v21, v21
	v_bfe_u32 v15, v63, 16, 1
	v_mul_f32_e32 v21, v7, v65
	v_lshlrev_b32_e32 v65, 16, v108
	v_and_b32_e32 v14, 0xffff0000, v14
	v_cndmask_b32_e32 v20, v62, v64, vcc_lo
	v_lshlrev_b32_e32 v62, 16, v107
	v_add3_u32 v15, v15, v63, 0x7fff
	v_or_b32_e32 v64, 0x400000, v63
	v_bfe_u32 v66, v21, 16, 1
	v_cmp_u_f32_e32 vcc_lo, v63, v63
	v_mul_f32_e32 v62, v3, v62
	v_mul_f32_e32 v63, v8, v65
	v_or_b32_e32 v65, 0x400000, v21
	v_and_b32_e32 v20, 0xffff0000, v20
	v_cndmask_b32_e32 v15, v15, v64, vcc_lo
	v_add3_u32 v64, v66, v21, 0x7fff
	v_bfe_u32 v66, v62, 16, 1
	v_bfe_u32 v68, v63, 16, 1
	v_cmp_u_f32_e32 vcc_lo, v21, v21
	v_or_b32_e32 v69, 0x400000, v63
	v_and_b32_e32 v15, 0xffff0000, v15
	v_add_f32_e32 v14, v20, v14
	v_mul_f32_e32 v55, v8, v55
	v_cndmask_b32_e32 v21, v64, v65, vcc_lo
	v_add3_u32 v64, v66, v62, 0x7fff
	v_mul_f32_e32 v65, v4, v67
	v_or_b32_e32 v66, 0x400000, v62
	v_add3_u32 v67, v68, v63, 0x7fff
	v_lshlrev_b32_e32 v68, 16, v109
	v_cmp_u_f32_e32 vcc_lo, v62, v62
	v_bfe_u32 v107, v65, 16, 1
	v_and_b32_e32 v21, 0xffff0000, v21
	v_lshlrev_b32_e32 v58, 16, v58
	v_lshlrev_b32_e32 v56, 16, v56
	v_cndmask_b32_e32 v62, v64, v66, vcc_lo
	v_mul_f32_e32 v64, v5, v68
	v_cmp_u_f32_e32 vcc_lo, v63, v63
	v_add3_u32 v66, v107, v65, 0x7fff
	v_add_f32_e32 v15, v21, v15
	v_lshlrev_b32_e32 v21, 16, v106
	v_bfe_u32 v68, v64, 16, 1
	v_cndmask_b32_e32 v63, v67, v69, vcc_lo
	v_or_b32_e32 v67, 0x400000, v65
	v_cmp_u_f32_e32 vcc_lo, v65, v65
	v_and_b32_e32 v62, 0xffff0000, v62
	v_add_f32_e32 v14, v15, v14
	v_and_b32_e32 v20, 0xffff0000, v63
	v_mul_f32_e32 v15, v1, v21
	v_cndmask_b32_e32 v65, v66, v67, vcc_lo
	v_add3_u32 v66, v68, v64, 0x7fff
	v_or_b32_e32 v67, 0x400000, v64
	v_cmp_u_f32_e32 vcc_lo, v64, v64
	v_add_f32_e32 v20, v20, v62
	v_lshlrev_b32_e32 v21, 16, v105
	v_bfe_u32 v64, v15, 16, 1
	v_lshlrev_b32_e32 v68, 16, v99
	v_cndmask_b32_e32 v63, v66, v67, vcc_lo
	v_add_f32_e32 v14, v20, v14
	v_mul_f32_e32 v20, v6, v21
	v_lshlrev_b32_e32 v21, 16, v102
	v_lshlrev_b32_e32 v66, 16, v104
	v_and_b32_e32 v62, 0xffff0000, v63
	v_and_b32_e32 v63, 0xffff0000, v65
	v_bfe_u32 v65, v20, 16, 1
	v_mul_f32_e32 v21, v2, v21
	v_cmp_u_f32_e32 vcc_lo, v15, v15
	v_mul_f32_e32 v66, v7, v66
	v_add_f32_e32 v62, v62, v63
	v_add3_u32 v63, v64, v15, 0x7fff
	v_or_b32_e32 v64, 0x400000, v15
	v_lshlrev_b32_e32 v67, 16, v100
	v_lshlrev_b32_e32 v69, 16, v103
	v_add_f32_e32 v14, v62, v14
	v_mul_f32_e32 v58, v4, v58
	v_cndmask_b32_e32 v15, v63, v64, vcc_lo
	v_add3_u32 v63, v65, v20, 0x7fff
	v_or_b32_e32 v64, 0x400000, v20
	v_bfe_u32 v65, v21, 16, 1
	v_cmp_u_f32_e32 vcc_lo, v20, v20
	v_mul_f32_e32 v67, v3, v67
	v_and_b32_e32 v15, 0xffff0000, v15
	v_add_f32_e32 v30, v30, v14
	v_mul_f32_e32 v56, v5, v56
	v_cndmask_b32_e32 v20, v63, v64, vcc_lo
	v_add3_u32 v63, v65, v21, 0x7fff
	v_or_b32_e32 v64, 0x400000, v21
	v_bfe_u32 v65, v66, 16, 1
	v_cmp_u_f32_e32 vcc_lo, v21, v21
	v_or_b32_e32 v99, 0x400000, v67
	v_and_b32_e32 v20, 0xffff0000, v20
	v_lshlrev_b32_e32 v53, 16, v53
	v_lshlrev_b32_e32 v52, 16, v52
	v_cndmask_b32_e32 v21, v63, v64, vcc_lo
	v_add3_u32 v63, v65, v66, 0x7fff
	v_mul_f32_e32 v65, v8, v68
	v_bfe_u32 v68, v67, 16, 1
	v_or_b32_e32 v64, 0x400000, v66
	v_cmp_u_f32_e32 vcc_lo, v66, v66
	v_and_b32_e32 v21, 0xffff0000, v21
	v_or_b32_e32 v100, 0x400000, v65
	v_add3_u32 v66, v68, v67, 0x7fff
	v_mul_f32_e32 v68, v4, v69
	v_lshlrev_b32_e32 v69, 16, v101
	v_cndmask_b32_e32 v63, v63, v64, vcc_lo
	v_bfe_u32 v64, v65, 16, 1
	v_cmp_u_f32_e32 vcc_lo, v67, v67
	v_bfe_u32 v101, v68, 16, 1
	v_mul_f32_e32 v69, v5, v69
	v_and_b32_e32 v63, 0xffff0000, v63
	v_add3_u32 v64, v64, v65, 0x7fff
	v_cndmask_b32_e32 v66, v66, v99, vcc_lo
	v_cmp_u_f32_e32 vcc_lo, v65, v65
	v_bfe_u32 v67, v69, 16, 1
	v_add3_u32 v65, v101, v68, 0x7fff
	v_or_b32_e32 v99, 0x400000, v68
	v_add_f32_e32 v15, v20, v15
	v_cndmask_b32_e32 v64, v64, v100, vcc_lo
	v_add3_u32 v67, v67, v69, 0x7fff
	v_or_b32_e32 v100, 0x400000, v69
	v_cmp_u_f32_e32 vcc_lo, v69, v69
	v_add_f32_e32 v20, v63, v21
	v_and_b32_e32 v21, 0xffff0000, v64
	v_and_b32_e32 v63, 0xffff0000, v66
	v_mul_f32_e32 v52, v6, v52
	v_cndmask_b32_e32 v64, v67, v100, vcc_lo
	v_cmp_u_f32_e32 vcc_lo, v68, v68
	v_add_f32_e32 v15, v20, v15
	v_add_f32_e32 v20, v21, v63
	v_lshlrev_b32_e32 v21, 16, v98
	v_and_b32_e32 v63, 0xffff0000, v64
	v_cndmask_b32_e32 v65, v65, v99, vcc_lo
	v_lshlrev_b32_e32 v64, 16, v97
	v_add_f32_e32 v15, v20, v15
	v_mul_f32_e32 v21, v1, v21
	v_lshlrev_b32_e32 v67, 16, v96
	v_and_b32_e32 v65, 0xffff0000, v65
	v_mul_f32_e32 v20, v6, v64
	v_lshlrev_b32_e32 v51, 16, v51
	v_bfe_u32 v64, v21, 16, 1
	v_cmp_u_f32_e32 vcc_lo, v21, v21
	v_add_f32_e32 v62, v63, v65
	v_lshlrev_b32_e32 v63, 16, v94
	v_bfe_u32 v14, v20, 16, 1
	v_or_b32_e32 v65, 0x400000, v20
	v_lshlrev_b32_e32 v47, 16, v47
	v_add_f32_e32 v15, v62, v15
	v_mul_f32_e32 v62, v2, v63
	v_add3_u32 v63, v64, v21, 0x7fff
	v_or_b32_e32 v64, 0x400000, v21
	v_add3_u32 v14, v14, v20, 0x7fff
	v_add_f32_e32 v31, v31, v15
	v_bfe_u32 v66, v62, 16, 1
	v_mul_f32_e32 v51, v7, v51
	v_cndmask_b32_e32 v21, v63, v64, vcc_lo
	v_cmp_u_f32_e32 vcc_lo, v20, v20
	v_mul_f32_e32 v20, v7, v67
	v_add3_u32 v63, v66, v62, 0x7fff
	v_or_b32_e32 v64, 0x400000, v62
	v_lshlrev_b32_e32 v66, 16, v92
	v_cndmask_b32_e32 v14, v14, v65, vcc_lo
	v_lshlrev_b32_e32 v65, 16, v91
	v_cmp_u_f32_e32 vcc_lo, v62, v62
	v_bfe_u32 v67, v20, 16, 1
	v_and_b32_e32 v21, 0xffff0000, v21
	v_and_b32_e32 v14, 0xffff0000, v14
	v_mul_f32_e32 v47, v3, v47
	v_cndmask_b32_e32 v62, v63, v64, vcc_lo
	v_mul_f32_e32 v63, v3, v65
	v_mul_f32_e32 v64, v8, v66
	v_add3_u32 v65, v67, v20, 0x7fff
	v_or_b32_e32 v66, 0x400000, v20
	v_lshlrev_b32_e32 v67, 16, v95
	v_bfe_u32 v68, v63, 16, 1
	v_cmp_u_f32_e32 vcc_lo, v20, v20
	v_bfe_u32 v69, v64, 16, 1
	v_and_b32_e32 v62, 0xffff0000, v62
	v_add_f32_e32 v14, v14, v21
	v_lshlrev_b32_e32 v46, 16, v46
	v_cndmask_b32_e32 v20, v65, v66, vcc_lo
	v_mul_f32_e32 v65, v4, v67
	v_add3_u32 v66, v68, v63, 0x7fff
	v_or_b32_e32 v67, 0x400000, v63
	v_cmp_u_f32_e32 vcc_lo, v63, v63
	v_add3_u32 v68, v69, v64, 0x7fff
	v_or_b32_e32 v69, 0x400000, v64
	v_bfe_u32 v91, v65, 16, 1
	v_and_b32_e32 v20, 0xffff0000, v20
	v_cndmask_b32_e32 v63, v66, v67, vcc_lo
	v_lshlrev_b32_e32 v66, 16, v93
	v_cmp_u_f32_e32 vcc_lo, v64, v64
	v_add3_u32 v67, v91, v65, 0x7fff
	v_add_f32_e32 v20, v20, v62
	v_lshlrev_b32_e32 v62, 16, v90
	v_mul_f32_e32 v66, v5, v66
	v_cndmask_b32_e32 v64, v68, v69, vcc_lo
	v_or_b32_e32 v68, 0x400000, v65
	v_cmp_u_f32_e32 vcc_lo, v65, v65
	v_and_b32_e32 v63, 0xffff0000, v63
	v_add_f32_e32 v14, v20, v14
	v_and_b32_e32 v21, 0xffff0000, v64
	v_mul_f32_e32 v20, v1, v62
	v_cndmask_b32_e32 v65, v67, v68, vcc_lo
	v_bfe_u32 v67, v66, 16, 1
	v_lshlrev_b32_e32 v62, 16, v89
	v_add_f32_e32 v21, v21, v63
	v_cmp_u_f32_e32 vcc_lo, v66, v66
	v_lshlrev_b32_e32 v68, 16, v88
	v_add3_u32 v64, v67, v66, 0x7fff
	v_or_b32_e32 v67, 0x400000, v66
	v_add_f32_e32 v14, v21, v14
	v_mul_f32_e32 v21, v6, v62
	v_lshlrev_b32_e32 v62, 16, v86
	v_or_b32_e32 v66, 0x400000, v20
	v_cndmask_b32_e32 v63, v64, v67, vcc_lo
	v_bfe_u32 v64, v20, 16, 1
	v_bfe_u32 v67, v21, 16, 1
	v_mul_f32_e32 v62, v2, v62
	v_cmp_u_f32_e32 vcc_lo, v20, v20
	v_mul_f32_e32 v68, v7, v68
	v_add3_u32 v64, v64, v20, 0x7fff
	v_lshlrev_b32_e32 v69, 16, v87
	v_or_b32_e32 v86, 0x400000, v0
	v_bfe_u32 v88, v23, 16, 1
	v_and_b32_e32 v63, 0xffff0000, v63
	v_cndmask_b32_e32 v20, v64, v66, vcc_lo
	v_add3_u32 v64, v67, v21, 0x7fff
	v_or_b32_e32 v66, 0x400000, v21
	v_bfe_u32 v67, v62, 16, 1
	v_cmp_u_f32_e32 vcc_lo, v21, v21
	v_and_b32_e32 v20, 0xffff0000, v20
	v_lshlrev_b32_e32 v50, 16, v50
	v_mul_f32_e32 v46, v8, v46
	v_lshlrev_b32_e32 v48, 16, v48
	v_cndmask_b32_e32 v21, v64, v66, vcc_lo
	v_add3_u32 v64, v67, v62, 0x7fff
	v_or_b32_e32 v66, 0x400000, v62
	v_bfe_u32 v67, v68, 16, 1
	v_cmp_u_f32_e32 vcc_lo, v62, v62
	v_and_b32_e32 v21, 0xffff0000, v21
	v_mul_f32_e32 v50, v4, v50
	v_mul_f32_e32 v48, v5, v48
	v_lshlrev_b32_e32 v18, 16, v18
	v_cndmask_b32_e32 v62, v64, v66, vcc_lo
	v_add3_u32 v64, v67, v68, 0x7fff
	v_or_b32_e32 v66, 0x400000, v68
	v_bfe_u32 v67, v22, 16, 1
	v_cmp_u_f32_e32 vcc_lo, v68, v68
	v_mul_f32_e32 v68, v4, v69
	v_or_b32_e32 v69, 0x400000, v22
	v_and_b32_e32 v62, 0xffff0000, v62
	v_add3_u32 v67, v67, v22, 0x7fff
	v_cndmask_b32_e32 v64, v64, v66, vcc_lo
	v_bfe_u32 v66, v0, 16, 1
	v_cmp_u_f32_e32 vcc_lo, v22, v22
	v_bfe_u32 v87, v68, 16, 1
	v_add_f32_e32 v20, v21, v20
	v_and_b32_e32 v64, 0xffff0000, v64
	v_add3_u32 v66, v66, v0, 0x7fff
	v_cndmask_b32_e32 v22, v67, v69, vcc_lo
	v_cmp_u_f32_e32 vcc_lo, v0, v0
	v_add3_u32 v67, v88, v23, 0x7fff
	v_or_b32_e32 v69, 0x400000, v23
	v_add_f32_e32 v21, v64, v62
	v_and_b32_e32 v22, 0xffff0000, v22
	v_cndmask_b32_e32 v0, v66, v86, vcc_lo
	v_cmp_u_f32_e32 vcc_lo, v23, v23
	v_add3_u32 v66, v87, v68, 0x7fff
	v_or_b32_e32 v86, 0x400000, v68
	v_and_b32_e32 v64, 0xffff0000, v65
	v_and_b32_e32 v0, 0xffff0000, v0
	v_cndmask_b32_e32 v23, v67, v69, vcc_lo
	v_cmp_u_f32_e32 vcc_lo, v68, v68
	v_add_f32_e32 v20, v21, v20
	v_lshlrev_b32_e32 v17, 16, v17
	v_add_f32_e32 v0, v0, v22
	v_and_b32_e32 v21, 0xffff0000, v23
	v_cndmask_b32_e32 v62, v66, v86, vcc_lo
	v_lshlrev_b32_e32 v23, 16, v85
	v_lshlrev_b32_e32 v16, 16, v16
	v_add_f32_e32 v0, v0, v20
	v_lshlrev_b32_e32 v10, 16, v10
	v_and_b32_e32 v22, 0xffff0000, v62
	v_add_f32_e32 v62, v63, v64
	v_lshlrev_b32_e32 v63, 16, v84
	v_lshlrev_b32_e32 v64, 16, v82
	v_add_f32_e32 v20, v21, v22
	v_mul_f32_e32 v21, v1, v23
	v_add_f32_e32 v14, v62, v14
	v_mul_f32_e32 v22, v6, v63
	v_lshlrev_b32_e32 v62, 16, v83
	v_add_f32_e32 v0, v20, v0
	v_bfe_u32 v15, v21, 16, 1
	v_lshlrev_b32_e32 v20, 16, v81
	v_add_f32_e32 v32, v32, v14
	v_bfe_u32 v14, v22, 16, 1
	v_add_f32_e32 v33, v33, v0
	v_add3_u32 v0, v15, v21, 0x7fff
	v_or_b32_e32 v15, 0x400000, v21
	v_mul_f32_e32 v20, v2, v20
	v_cmp_u_f32_e32 vcc_lo, v21, v21
	v_add3_u32 v14, v14, v22, 0x7fff
	v_or_b32_e32 v23, 0x400000, v22
	v_mul_f32_e32 v21, v7, v62
	v_lshlrev_b32_e32 v62, 16, v79
	v_cndmask_b32_e32 v0, v0, v15, vcc_lo
	v_bfe_u32 v15, v20, 16, 1
	v_cmp_u_f32_e32 vcc_lo, v22, v22
	v_lshlrev_b32_e32 v22, 16, v78
	v_bfe_u32 v63, v21, 16, 1
	v_and_b32_e32 v0, 0xffff0000, v0
	v_add3_u32 v15, v15, v20, 0x7fff
	v_cndmask_b32_e32 v14, v14, v23, vcc_lo
	v_or_b32_e32 v23, 0x400000, v20
	v_mul_f32_e32 v22, v3, v22
	v_cmp_u_f32_e32 vcc_lo, v20, v20
	v_mul_f32_e32 v20, v8, v62
	v_or_b32_e32 v62, 0x400000, v21
	v_and_b32_e32 v14, 0xffff0000, v14
	v_cndmask_b32_e32 v15, v15, v23, vcc_lo
	v_add3_u32 v23, v63, v21, 0x7fff
	v_bfe_u32 v63, v22, 16, 1
	v_bfe_u32 v65, v20, 16, 1
	v_cmp_u_f32_e32 vcc_lo, v21, v21
	v_or_b32_e32 v66, 0x400000, v20
	v_and_b32_e32 v15, 0xffff0000, v15
	v_add_f32_e32 v0, v14, v0
	v_cndmask_b32_e32 v21, v23, v62, vcc_lo
	v_add3_u32 v23, v63, v22, 0x7fff
	v_mul_f32_e32 v62, v4, v64
	v_or_b32_e32 v63, 0x400000, v22
	v_add3_u32 v64, v65, v20, 0x7fff
	v_lshlrev_b32_e32 v65, 16, v80
	v_cmp_u_f32_e32 vcc_lo, v22, v22
	v_bfe_u32 v67, v62, 16, 1
	v_and_b32_e32 v21, 0xffff0000, v21
	v_cndmask_b32_e32 v22, v23, v63, vcc_lo
	v_mul_f32_e32 v23, v5, v65
	v_cmp_u_f32_e32 vcc_lo, v20, v20
	v_add3_u32 v63, v67, v62, 0x7fff
	v_add_f32_e32 v14, v21, v15
	v_lshlrev_b32_e32 v21, 16, v77
	v_bfe_u32 v65, v23, 16, 1
	v_cndmask_b32_e32 v20, v64, v66, vcc_lo
	v_or_b32_e32 v64, 0x400000, v62
	v_cmp_u_f32_e32 vcc_lo, v62, v62
	v_add_f32_e32 v0, v14, v0
	v_mul_f32_e32 v14, v1, v21
	v_and_b32_e32 v15, 0xffff0000, v20
	v_and_b32_e32 v20, 0xffff0000, v22
	v_cndmask_b32_e32 v62, v63, v64, vcc_lo
	v_add3_u32 v63, v65, v23, 0x7fff
	v_or_b32_e32 v64, 0x400000, v23
	v_cmp_u_f32_e32 vcc_lo, v23, v23
	v_lshlrev_b32_e32 v22, 16, v76
	v_add_f32_e32 v15, v15, v20
	v_lshlrev_b32_e32 v66, 16, v74
	v_cndmask_b32_e32 v23, v63, v64, vcc_lo
	v_mul_f32_e32 v21, v6, v22
	v_and_b32_e32 v22, 0xffff0000, v62
	v_lshlrev_b32_e32 v62, 16, v73
	v_add_f32_e32 v0, v15, v0
	v_and_b32_e32 v20, 0xffff0000, v23
	v_bfe_u32 v23, v14, 16, 1
	v_bfe_u32 v15, v21, 16, 1
	v_mul_f32_e32 v62, v2, v62
	v_lshlrev_b32_e32 v64, 16, v75
	v_add_f32_e32 v20, v20, v22
	v_add3_u32 v22, v23, v14, 0x7fff
	v_or_b32_e32 v23, 0x400000, v14
	v_cmp_u_f32_e32 vcc_lo, v14, v14
	v_add3_u32 v15, v15, v21, 0x7fff
	v_or_b32_e32 v63, 0x400000, v21
	v_add_f32_e32 v0, v20, v0
	v_cndmask_b32_e32 v14, v22, v23, vcc_lo
	v_bfe_u32 v22, v62, 16, 1
	v_cmp_u_f32_e32 vcc_lo, v21, v21
	v_mul_f32_e32 v21, v7, v64
	v_lshlrev_b32_e32 v23, 16, v70
	v_lshlrev_b32_e32 v64, 16, v71
	v_add3_u32 v22, v22, v62, 0x7fff
	v_cndmask_b32_e32 v15, v15, v63, vcc_lo
	v_or_b32_e32 v63, 0x400000, v62
	v_bfe_u32 v65, v21, 16, 1
	v_mul_f32_e32 v23, v3, v23
	v_cmp_u_f32_e32 vcc_lo, v62, v62
	v_mul_f32_e32 v62, v8, v64
	v_or_b32_e32 v64, 0x400000, v21
	v_and_b32_e32 v15, 0xffff0000, v15
	v_and_b32_e32 v14, 0xffff0000, v14
	v_cndmask_b32_e32 v22, v22, v63, vcc_lo
	v_add3_u32 v63, v65, v21, 0x7fff
	v_bfe_u32 v65, v23, 16, 1
	v_bfe_u32 v67, v62, 16, 1
	v_cmp_u_f32_e32 vcc_lo, v21, v21
	v_or_b32_e32 v68, 0x400000, v62
	v_and_b32_e32 v22, 0xffff0000, v22
	v_add_f32_e32 v14, v15, v14
	v_mul_f32_e32 v8, v8, v16
	v_cndmask_b32_e32 v21, v63, v64, vcc_lo
	v_add3_u32 v63, v65, v23, 0x7fff
	v_mul_f32_e32 v64, v4, v66
	v_or_b32_e32 v65, 0x400000, v23
	v_add3_u32 v66, v67, v62, 0x7fff
	v_lshlrev_b32_e32 v67, 16, v72
	v_cmp_u_f32_e32 vcc_lo, v23, v23
	v_bfe_u32 v69, v64, 16, 1
	v_and_b32_e32 v21, 0xffff0000, v21
	v_mul_f32_e32 v3, v3, v10
	v_lshlrev_b32_e32 v10, 16, v19
	v_cndmask_b32_e32 v23, v63, v65, vcc_lo
	v_mul_f32_e32 v63, v5, v67
	v_cmp_u_f32_e32 vcc_lo, v62, v62
	v_add3_u32 v65, v69, v64, 0x7fff
	v_add_f32_e32 v15, v21, v22
	v_and_b32_e32 v22, 0xffff0000, v23
	v_bfe_u32 v67, v63, 16, 1
	v_cndmask_b32_e32 v62, v66, v68, vcc_lo
	v_or_b32_e32 v66, 0x400000, v64
	v_cmp_u_f32_e32 vcc_lo, v64, v64
	v_lshlrev_b32_e32 v23, 16, v61
	v_add_f32_e32 v14, v15, v14
	v_and_b32_e32 v21, 0xffff0000, v62
	v_lshlrev_b32_e32 v19, 16, v119
	v_cndmask_b32_e32 v64, v65, v66, vcc_lo
	v_add3_u32 v65, v67, v63, 0x7fff
	v_or_b32_e32 v66, 0x400000, v63
	v_cmp_u_f32_e32 vcc_lo, v63, v63
	v_mul_f32_e32 v23, v1, v23
	v_add_f32_e32 v15, v21, v22
	v_mul_f32_e32 v5, v5, v10
	v_mul_f32_e32 v4, v4, v19
	v_cndmask_b32_e32 v61, v65, v66, vcc_lo
	v_bfe_u32 v62, v23, 16, 1
	v_add_f32_e32 v21, v15, v14
	v_bfe_u32 v14, v60, 16, 1
	v_mul_f32_e32 v15, v2, v57
	v_and_b32_e32 v22, 0xffff0000, v61
	v_and_b32_e32 v61, 0xffff0000, v64
	v_add3_u32 v57, v62, v23, 0x7fff
	v_cmp_u_f32_e32 vcc_lo, v23, v23
	v_add3_u32 v14, v14, v60, 0x7fff
	v_or_b32_e32 v62, 0x400000, v60
	v_add_f32_e32 v22, v22, v61
	v_or_b32_e32 v61, 0x400000, v23
	v_bfe_u32 v63, v15, 16, 1
	v_or_b32_e32 v10, 0x400000, v8
	v_bfe_u32 v19, v5, 16, 1
	v_add_f32_e32 v34, v34, v0
	v_cndmask_b32_e32 v23, v57, v61, vcc_lo
	v_cmp_u_f32_e32 vcc_lo, v60, v60
	v_mul_f32_e32 v57, v7, v59
	v_add3_u32 v59, v63, v15, 0x7fff
	v_or_b32_e32 v60, 0x400000, v15
	v_bfe_u32 v63, v58, 16, 1
	v_cndmask_b32_e32 v14, v14, v62, vcc_lo
	v_bfe_u32 v61, v57, 16, 1
	v_cmp_u_f32_e32 vcc_lo, v15, v15
	v_bfe_u32 v62, v55, 16, 1
	v_and_b32_e32 v23, 0xffff0000, v23
	v_and_b32_e32 v14, 0xffff0000, v14
	v_mul_f32_e32 v7, v7, v18
	v_cndmask_b32_e32 v15, v59, v60, vcc_lo
	v_add3_u32 v59, v61, v57, 0x7fff
	v_or_b32_e32 v60, 0x400000, v57
	v_bfe_u32 v61, v54, 16, 1
	v_cmp_u_f32_e32 vcc_lo, v57, v57
	v_and_b32_e32 v15, 0xffff0000, v15
	v_add_f32_e32 v14, v14, v23
	v_cndmask_b32_e32 v57, v59, v60, vcc_lo
	v_add3_u32 v59, v61, v54, 0x7fff
	v_or_b32_e32 v60, 0x400000, v54
	v_cmp_u_f32_e32 vcc_lo, v54, v54
	v_add3_u32 v61, v62, v55, 0x7fff
	v_or_b32_e32 v62, 0x400000, v55
	v_and_b32_e32 v57, 0xffff0000, v57
	v_cndmask_b32_e32 v54, v59, v60, vcc_lo
	v_cmp_u_f32_e32 vcc_lo, v55, v55
	v_add3_u32 v59, v63, v58, 0x7fff
	v_or_b32_e32 v60, 0x400000, v58
	v_add_f32_e32 v15, v57, v15
	v_and_b32_e32 v54, 0xffff0000, v54
	v_cndmask_b32_e32 v55, v61, v62, vcc_lo
	v_cmp_u_f32_e32 vcc_lo, v58, v58
	v_or_b32_e32 v57, 0x400000, v56
	v_add_f32_e32 v14, v15, v14
	v_mul_f32_e32 v15, v1, v53
	v_and_b32_e32 v23, 0xffff0000, v55
	v_cndmask_b32_e32 v58, v59, v60, vcc_lo
	v_bfe_u32 v59, v56, 16, 1
	v_cmp_u_f32_e32 vcc_lo, v56, v56
	v_add_f32_e32 v23, v23, v54
	v_bfe_u32 v54, v15, 16, 1
	v_add3_u32 v55, v59, v56, 0x7fff
	v_bfe_u32 v56, v52, 16, 1
	v_add_f32_e32 v14, v23, v14
	v_lshlrev_b32_e32 v23, 16, v49
	v_cndmask_b32_e32 v53, v55, v57, vcc_lo
	v_cmp_u_f32_e32 vcc_lo, v15, v15
	v_and_b32_e32 v55, 0xffff0000, v58
	v_mul_f32_e32 v23, v2, v23
	v_and_b32_e32 v49, 0xffff0000, v53
	v_add3_u32 v53, v54, v15, 0x7fff
	v_or_b32_e32 v54, 0x400000, v15
	v_mul_f32_e32 v2, v2, v17
	v_or_b32_e32 v57, 0x400000, v23
	v_cndmask_b32_e32 v15, v53, v54, vcc_lo
	v_bfe_u32 v53, v23, 16, 1
	v_add3_u32 v54, v56, v52, 0x7fff
	v_or_b32_e32 v56, 0x400000, v52
	v_cmp_u_f32_e32 vcc_lo, v52, v52
	v_and_b32_e32 v15, 0xffff0000, v15
	v_add3_u32 v53, v53, v23, 0x7fff
	v_cndmask_b32_e32 v52, v54, v56, vcc_lo
	v_bfe_u32 v54, v51, 16, 1
	v_cmp_u_f32_e32 vcc_lo, v23, v23
	v_or_b32_e32 v56, 0x400000, v51
	v_and_b32_e32 v52, 0xffff0000, v52
	v_add3_u32 v54, v54, v51, 0x7fff
	v_cndmask_b32_e32 v23, v53, v57, vcc_lo
	v_bfe_u32 v53, v47, 16, 1
	v_cmp_u_f32_e32 vcc_lo, v51, v51
	v_or_b32_e32 v57, 0x400000, v47
	v_add_f32_e32 v15, v52, v15
	v_and_b32_e32 v23, 0xffff0000, v23
	v_add3_u32 v53, v53, v47, 0x7fff
	v_cndmask_b32_e32 v51, v54, v56, vcc_lo
	v_bfe_u32 v54, v46, 16, 1
	v_cmp_u_f32_e32 vcc_lo, v47, v47
	v_bfe_u32 v56, v50, 16, 1
	v_and_b32_e32 v51, 0xffff0000, v51
	v_cndmask_b32_e32 v47, v53, v57, vcc_lo
	v_add3_u32 v53, v54, v46, 0x7fff
	v_or_b32_e32 v54, 0x400000, v46
	v_cmp_u_f32_e32 vcc_lo, v46, v46
	v_add3_u32 v56, v56, v50, 0x7fff
	v_or_b32_e32 v57, 0x400000, v50
	v_add_f32_e32 v23, v51, v23
	v_lshlrev_b32_e32 v51, 16, v115
	v_cndmask_b32_e32 v46, v53, v54, vcc_lo
	v_cmp_u_f32_e32 vcc_lo, v50, v50
	v_bfe_u32 v53, v48, 16, 1
	v_or_b32_e32 v54, 0x400000, v48
	v_and_b32_e32 v47, 0xffff0000, v47
	v_and_b32_e32 v46, 0xffff0000, v46
	v_cndmask_b32_e32 v50, v56, v57, vcc_lo
	v_lshlrev_b32_e32 v56, 16, v118
	v_add3_u32 v53, v53, v48, 0x7fff
	v_cmp_u_f32_e32 vcc_lo, v48, v48
	v_add_f32_e32 v15, v23, v15
	v_mul_f32_e32 v1, v1, v51
	v_mul_f32_e32 v6, v6, v56
	v_add_f32_e32 v46, v46, v47
	v_cndmask_b32_e32 v48, v53, v54, vcc_lo
	v_bfe_u32 v51, v1, 16, 1
	v_bfe_u32 v23, v6, 16, 1
	v_cmp_u_f32_e32 vcc_lo, v6, v6
	v_and_b32_e32 v47, 0xffff0000, v48
	v_or_b32_e32 v48, 0x400000, v6
	v_add3_u32 v18, v51, v1, 0x7fff
	v_add3_u32 v23, v23, v6, 0x7fff
	v_cndmask_b32_e32 v6, v23, v48, vcc_lo
	v_or_b32_e32 v23, 0x400000, v1
	v_bfe_u32 v48, v7, 16, 1
	v_cmp_u_f32_e32 vcc_lo, v1, v1
	v_and_b32_e32 v6, 0xffff0000, v6
	v_add3_u32 v17, v48, v7, 0x7fff
	v_cndmask_b32_e32 v1, v18, v23, vcc_lo
	v_or_b32_e32 v18, 0x400000, v7
	v_bfe_u32 v23, v2, 16, 1
	v_cmp_u_f32_e32 vcc_lo, v7, v7
	v_and_b32_e32 v1, 0xffff0000, v1
	v_add3_u32 v16, v23, v2, 0x7fff
	v_cndmask_b32_e32 v7, v17, v18, vcc_lo
	v_or_b32_e32 v17, 0x400000, v2
	v_bfe_u32 v18, v8, 16, 1
	v_cmp_u_f32_e32 vcc_lo, v2, v2
	v_bfe_u32 v23, v4, 16, 1
	v_and_b32_e32 v7, 0xffff0000, v7
	v_add_f32_e32 v1, v6, v1
	v_cndmask_b32_e32 v2, v16, v17, vcc_lo
	v_bfe_u32 v16, v3, 16, 1
	v_add3_u32 v17, v18, v8, 0x7fff
	v_cmp_u_f32_e32 vcc_lo, v8, v8
	v_or_b32_e32 v18, 0x400000, v3
	v_and_b32_e32 v2, 0xffff0000, v2
	v_add3_u32 v16, v16, v3, 0x7fff
	v_cndmask_b32_e32 v8, v17, v10, vcc_lo
	v_cmp_u_f32_e32 vcc_lo, v3, v3
	v_or_b32_e32 v17, 0x400000, v4
	v_add3_u32 v10, v19, v5, 0x7fff
	v_add_f32_e32 v2, v7, v2
	v_and_b32_e32 v6, 0xffff0000, v8
	v_cndmask_b32_e32 v3, v16, v18, vcc_lo
	v_add3_u32 v16, v23, v4, 0x7fff
	v_cmp_u_f32_e32 vcc_lo, v4, v4
	v_or_b32_e32 v18, 0x400000, v5
	v_and_b32_e32 v7, 0xffff0000, v50
	v_and_b32_e32 v3, 0xffff0000, v3
	v_add_f32_e32 v1, v2, v1
	v_cndmask_b32_e32 v4, v16, v17, vcc_lo
	v_cmp_u_f32_e32 vcc_lo, v5, v5
	v_add_f32_e32 v7, v47, v7
	v_add_f32_e32 v2, v6, v3
	;; [unrolled: 1-line block ×3, first 2 shown]
	v_and_b32_e32 v3, 0xffff0000, v4
	v_cndmask_b32_e32 v5, v10, v18, vcc_lo
	v_add_f32_e32 v1, v2, v1
	v_and_b32_e32 v4, 0xffff0000, v5
	v_add_f32_e32 v5, v49, v55
	v_add_f32_e32 v2, v4, v3
	;; [unrolled: 1-line block ×10, first 2 shown]
.LBB373_637:                            ;   in Loop: Header=BB373_638 Depth=1
	s_or_b32 exec_lo, exec_lo, s17
	v_add_nc_u32_e32 v9, 4, v9
	v_add_co_u32 v12, s0, v12, 16
	v_add_co_ci_u32_e64 v13, null, 0, v13, s0
	v_cmp_le_i32_e32 vcc_lo, s20, v9
	v_add_nc_u32_e32 v24, 0x80, v24
	v_add_nc_u32_e32 v44, 0x200, v44
	s_or_b32 s13, vcc_lo, s13
	s_andn2_b32 exec_lo, exec_lo, s13
	s_cbranch_execz .LBB373_1259
.LBB373_638:                            ; =>This Inner Loop Header: Depth=1
	v_sub_nc_u32_e32 v0, 0, v24
	v_max_i32_e32 v0, v24, v0
	v_mul_hi_u32 v1, v0, s16
	v_mul_lo_u32 v2, v1, s11
	v_sub_nc_u32_e32 v0, v0, v2
	v_add_nc_u32_e32 v2, 1, v1
	v_subrev_nc_u32_e32 v3, s11, v0
	v_cmp_le_u32_e32 vcc_lo, s11, v0
	v_cndmask_b32_e32 v1, v1, v2, vcc_lo
	v_cndmask_b32_e32 v0, v0, v3, vcc_lo
	v_ashrrev_i32_e32 v2, 31, v24
	v_add_nc_u32_e32 v3, 1, v1
	v_cmp_le_u32_e32 vcc_lo, s11, v0
	v_xor_b32_e32 v2, s23, v2
	v_cndmask_b32_e32 v0, v1, v3, vcc_lo
	v_xor_b32_e32 v0, v0, v2
	v_sub_nc_u32_e32 v0, v0, v2
	v_add_nc_u32_e32 v1, s19, v0
	v_cmp_lt_i32_e64 s0, s3, v0
	v_sub_nc_u32_e32 v2, 0, v1
	v_max_i32_e32 v2, v1, v2
	v_ashrrev_i32_e32 v1, 31, v1
	v_mul_hi_u32 v3, v2, v45
	v_mul_lo_u32 v3, v3, s6
	v_sub_nc_u32_e32 v2, v2, v3
	v_subrev_nc_u32_e32 v3, s6, v2
	v_cmp_le_u32_e32 vcc_lo, s6, v2
	v_cndmask_b32_e32 v2, v2, v3, vcc_lo
	v_subrev_nc_u32_e32 v3, s6, v2
	v_cmp_le_u32_e32 vcc_lo, s6, v2
	v_cndmask_b32_e32 v2, v2, v3, vcc_lo
	v_xor_b32_e32 v2, v2, v1
	v_sub_nc_u32_e32 v1, v2, v1
	v_cmp_eq_u32_e32 vcc_lo, 0, v1
	s_or_b32 s0, vcc_lo, s0
	s_and_saveexec_b32 s17, s0
	s_cbranch_execz .LBB373_637
; %bb.639:                              ;   in Loop: Header=BB373_638 Depth=1
	global_load_dword v0, v[12:13], off
	s_clause 0x1
	buffer_load_dword v1, off, s[56:59], 0 offset:4
	buffer_load_dword v2, off, s[56:59], 0 offset:8
	v_mov_b32_e32 v22, 0
	s_waitcnt vmcnt(0)
	v_mad_i64_i32 v[16:17], null, v0, s9, v[1:2]
	v_mov_b32_e32 v0, 0
	global_load_dwordx2 v[18:19], v[16:17], off
	ds_read2_b64 v[5:8], v44 offset1:1
	ds_read2_b64 v[1:4], v44 offset0:2 offset1:3
	s_load_dword s18, s[14:15], 0x0
	s_waitcnt vmcnt(0)
	v_cmp_ne_u16_sdwa s21, v18, v11 src0_sel:BYTE_0 src1_sel:DWORD
	s_and_saveexec_b32 s0, s21
	s_cbranch_execz .LBB373_645
; %bb.640:                              ;   in Loop: Header=BB373_638 Depth=1
	v_cmp_ne_u16_sdwa s22, v18, v38 src0_sel:BYTE_0 src1_sel:DWORD
	v_bfrev_b32_e32 v0, 1
	s_and_saveexec_b32 s21, s22
	s_cbranch_execz .LBB373_644
; %bb.641:                              ;   in Loop: Header=BB373_638 Depth=1
	v_and_b32_e32 v10, 0x7f, v18
	v_mov_b32_e32 v0, 0x7f800001
	s_mov_b32 s22, exec_lo
	v_cmpx_ne_u32_e32 0x7f, v10
	s_cbranch_execz .LBB373_643
; %bb.642:                              ;   in Loop: Header=BB373_638 Depth=1
	v_and_b32_e32 v0, 7, v18
	v_cmp_gt_u32_e32 vcc_lo, 8, v10
	v_lshrrev_b32_e32 v14, 3, v10
	v_ffbh_u32_e32 v0, v0
	v_min_u32_e32 v0, 32, v0
	v_subrev_nc_u32_e32 v15, 28, v0
	v_sub_nc_u32_e32 v0, 29, v0
	v_cndmask_b32_e32 v10, 0, v15, vcc_lo
	v_cndmask_b32_e32 v0, v14, v0, vcc_lo
	v_lshlrev_b64 v[20:21], v10, v[18:19]
	v_lshlrev_b32_e32 v10, 24, v18
	v_lshl_add_u32 v0, v0, 23, 0x3c000000
	v_and_b32_e32 v10, 0x80000000, v10
	v_lshlrev_b32_e32 v14, 20, v20
	v_and_b32_e32 v14, 0x700000, v14
	v_or3_b32 v0, v14, v10, v0
.LBB373_643:                            ;   in Loop: Header=BB373_638 Depth=1
	s_or_b32 exec_lo, exec_lo, s22
.LBB373_644:                            ;   in Loop: Header=BB373_638 Depth=1
	s_or_b32 exec_lo, exec_lo, s21
.LBB373_645:                            ;   in Loop: Header=BB373_638 Depth=1
	s_or_b32 exec_lo, exec_lo, s0
	v_cmp_ne_u16_sdwa s21, v18, v11 src0_sel:BYTE_1 src1_sel:DWORD
	s_and_saveexec_b32 s0, s21
	s_cbranch_execz .LBB373_653
; %bb.646:                              ;   in Loop: Header=BB373_638 Depth=1
	v_cmp_ne_u16_sdwa s22, v18, v38 src0_sel:BYTE_1 src1_sel:DWORD
	v_bfrev_b32_e32 v22, 1
	s_and_saveexec_b32 s21, s22
	s_cbranch_execz .LBB373_652
; %bb.647:                              ;   in Loop: Header=BB373_638 Depth=1
	v_and_b32_sdwa v10, v39, v18 dst_sel:DWORD dst_unused:UNUSED_PAD src0_sel:DWORD src1_sel:BYTE_1
	v_mov_b32_e32 v22, 0x7f800001
	s_mov_b32 s22, exec_lo
	v_and_b32_e32 v21, 0x7f, v10
	v_cmpx_ne_u32_e32 0x7f, v21
	s_cbranch_execz .LBB373_651
; %bb.648:                              ;   in Loop: Header=BB373_638 Depth=1
	v_and_b32_e32 v10, 7, v10
	v_lshrrev_b32_e32 v20, 3, v21
	s_mov_b32 s24, exec_lo
	v_cmpx_gt_u32_e32 8, v21
; %bb.649:                              ;   in Loop: Header=BB373_638 Depth=1
	v_ffbh_u32_e32 v14, v10
	v_min_u32_e32 v14, 32, v14
	v_subrev_nc_u32_e32 v15, 28, v14
	v_sub_nc_u32_e32 v20, 29, v14
	v_lshlrev_b64 v[21:22], v15, v[10:11]
	v_and_b32_e32 v10, 7, v21
; %bb.650:                              ;   in Loop: Header=BB373_638 Depth=1
	s_or_b32 exec_lo, exec_lo, s24
	v_lshlrev_b32_e32 v14, 16, v18
	v_lshlrev_b32_e32 v10, 20, v10
	v_lshl_add_u32 v15, v20, 23, 0x3c000000
	v_and_b32_e32 v14, 0x80000000, v14
	v_or3_b32 v22, v10, v14, v15
.LBB373_651:                            ;   in Loop: Header=BB373_638 Depth=1
	s_or_b32 exec_lo, exec_lo, s22
.LBB373_652:                            ;   in Loop: Header=BB373_638 Depth=1
	s_or_b32 exec_lo, exec_lo, s21
.LBB373_653:                            ;   in Loop: Header=BB373_638 Depth=1
	s_or_b32 exec_lo, exec_lo, s0
	v_and_b32_sdwa v10, v18, v40 dst_sel:DWORD dst_unused:UNUSED_PAD src0_sel:WORD_1 src1_sel:DWORD
	v_mov_b32_e32 v46, 0
	v_mov_b32_e32 v23, 0
	s_mov_b32 s0, exec_lo
	v_cmpx_ne_u16_e32 0, v10
	s_cbranch_execz .LBB373_661
; %bb.654:                              ;   in Loop: Header=BB373_638 Depth=1
	v_bfrev_b32_e32 v23, 1
	s_mov_b32 s21, exec_lo
	v_cmpx_ne_u16_e32 0x80, v10
	s_cbranch_execz .LBB373_660
; %bb.655:                              ;   in Loop: Header=BB373_638 Depth=1
	v_bfe_u32 v21, v18, 16, 7
	v_mov_b32_e32 v23, 0x7f800001
	s_mov_b32 s22, exec_lo
	v_cmpx_ne_u32_e32 0x7f, v21
	s_cbranch_execz .LBB373_659
; %bb.656:                              ;   in Loop: Header=BB373_638 Depth=1
	v_and_b32_sdwa v10, v18, v41 dst_sel:DWORD dst_unused:UNUSED_PAD src0_sel:WORD_1 src1_sel:DWORD
	v_lshrrev_b32_e32 v20, 3, v21
	s_mov_b32 s24, exec_lo
	v_cmpx_gt_u32_e32 8, v21
; %bb.657:                              ;   in Loop: Header=BB373_638 Depth=1
	v_ffbh_u32_e32 v14, v10
	v_min_u32_e32 v14, 32, v14
	v_subrev_nc_u32_e32 v15, 28, v14
	v_sub_nc_u32_e32 v20, 29, v14
	v_lshlrev_b64 v[47:48], v15, v[10:11]
	v_and_b32_e32 v10, 7, v47
; %bb.658:                              ;   in Loop: Header=BB373_638 Depth=1
	s_or_b32 exec_lo, exec_lo, s24
	v_lshlrev_b32_sdwa v14, v42, v18 dst_sel:DWORD dst_unused:UNUSED_PAD src0_sel:DWORD src1_sel:WORD_1
	v_lshlrev_b32_e32 v10, 20, v10
	v_lshl_add_u32 v15, v20, 23, 0x3c000000
	v_and_b32_e32 v14, 0x80000000, v14
	v_or3_b32 v23, v10, v14, v15
.LBB373_659:                            ;   in Loop: Header=BB373_638 Depth=1
	s_or_b32 exec_lo, exec_lo, s22
.LBB373_660:                            ;   in Loop: Header=BB373_638 Depth=1
	s_or_b32 exec_lo, exec_lo, s21
.LBB373_661:                            ;   in Loop: Header=BB373_638 Depth=1
	s_or_b32 exec_lo, exec_lo, s0
	s_mov_b32 s0, exec_lo
	v_cmpx_lt_u32_e32 0xffffff, v18
	s_cbranch_execz .LBB373_669
; %bb.662:                              ;   in Loop: Header=BB373_638 Depth=1
	v_cmp_ne_u32_sdwa s22, v18, v38 src0_sel:BYTE_3 src1_sel:DWORD
	v_bfrev_b32_e32 v46, 1
	s_and_saveexec_b32 s21, s22
	s_cbranch_execz .LBB373_668
; %bb.663:                              ;   in Loop: Header=BB373_638 Depth=1
	v_bfe_u32 v21, v18, 24, 7
	v_mov_b32_e32 v46, 0x7f800001
	s_mov_b32 s22, exec_lo
	v_cmpx_ne_u32_e32 0x7f, v21
	s_cbranch_execz .LBB373_667
; %bb.664:                              ;   in Loop: Header=BB373_638 Depth=1
	v_and_b32_sdwa v10, v18, v41 dst_sel:DWORD dst_unused:UNUSED_PAD src0_sel:BYTE_3 src1_sel:DWORD
	v_lshrrev_b32_e32 v20, 3, v21
	s_mov_b32 s24, exec_lo
	v_cmpx_gt_u32_e32 8, v21
; %bb.665:                              ;   in Loop: Header=BB373_638 Depth=1
	v_ffbh_u32_e32 v14, v10
	v_min_u32_e32 v14, 32, v14
	v_subrev_nc_u32_e32 v15, 28, v14
	v_sub_nc_u32_e32 v20, 29, v14
	v_lshlrev_b64 v[46:47], v15, v[10:11]
	v_and_b32_e32 v10, 7, v46
; %bb.666:                              ;   in Loop: Header=BB373_638 Depth=1
	s_or_b32 exec_lo, exec_lo, s24
	v_lshlrev_b32_sdwa v14, v42, v18 dst_sel:DWORD dst_unused:UNUSED_PAD src0_sel:DWORD src1_sel:BYTE_3
	v_lshlrev_b32_e32 v10, 20, v10
	v_lshl_add_u32 v15, v20, 23, 0x3c000000
	v_and_b32_e32 v14, 0x80000000, v14
	v_or3_b32 v46, v10, v14, v15
.LBB373_667:                            ;   in Loop: Header=BB373_638 Depth=1
	s_or_b32 exec_lo, exec_lo, s22
.LBB373_668:                            ;   in Loop: Header=BB373_638 Depth=1
	s_or_b32 exec_lo, exec_lo, s21
.LBB373_669:                            ;   in Loop: Header=BB373_638 Depth=1
	s_or_b32 exec_lo, exec_lo, s0
	v_mov_b32_e32 v10, v19
	v_cmp_ne_u16_sdwa s21, v19, v11 src0_sel:BYTE_0 src1_sel:DWORD
	v_mov_b32_e32 v20, 0
	v_mov_b32_e32 v47, 0
	s_and_saveexec_b32 s0, s21
	s_cbranch_execz .LBB373_675
; %bb.670:                              ;   in Loop: Header=BB373_638 Depth=1
	v_cmp_ne_u16_sdwa s22, v19, v38 src0_sel:BYTE_0 src1_sel:DWORD
	v_bfrev_b32_e32 v47, 1
	s_and_saveexec_b32 s21, s22
	s_cbranch_execz .LBB373_674
; %bb.671:                              ;   in Loop: Header=BB373_638 Depth=1
	v_and_b32_e32 v21, 0x7f, v19
	v_mov_b32_e32 v47, 0x7f800001
	s_mov_b32 s22, exec_lo
	v_cmpx_ne_u32_e32 0x7f, v21
	s_cbranch_execz .LBB373_673
; %bb.672:                              ;   in Loop: Header=BB373_638 Depth=1
	v_and_b32_e32 v14, 7, v19
	v_lshrrev_b32_e32 v15, 3, v21
	v_cmp_gt_u32_e32 vcc_lo, 8, v21
	v_ffbh_u32_e32 v14, v14
	v_min_u32_e32 v14, 32, v14
	v_subrev_nc_u32_e32 v47, 28, v14
	v_sub_nc_u32_e32 v14, 29, v14
	v_cndmask_b32_e32 v14, v15, v14, vcc_lo
	v_cndmask_b32_e32 v15, 0, v47, vcc_lo
	v_lshl_add_u32 v14, v14, 23, 0x3c000000
	v_lshlrev_b64 v[47:48], v15, v[10:11]
	v_lshlrev_b32_e32 v15, 24, v10
	v_and_b32_e32 v15, 0x80000000, v15
	v_lshlrev_b32_e32 v21, 20, v47
	v_and_b32_e32 v21, 0x700000, v21
	v_or3_b32 v47, v21, v15, v14
.LBB373_673:                            ;   in Loop: Header=BB373_638 Depth=1
	s_or_b32 exec_lo, exec_lo, s22
.LBB373_674:                            ;   in Loop: Header=BB373_638 Depth=1
	s_or_b32 exec_lo, exec_lo, s21
.LBB373_675:                            ;   in Loop: Header=BB373_638 Depth=1
	s_or_b32 exec_lo, exec_lo, s0
	v_cmp_ne_u16_sdwa s21, v10, v11 src0_sel:BYTE_1 src1_sel:DWORD
	s_and_saveexec_b32 s0, s21
	s_cbranch_execz .LBB373_683
; %bb.676:                              ;   in Loop: Header=BB373_638 Depth=1
	v_cmp_ne_u16_sdwa s22, v10, v38 src0_sel:BYTE_1 src1_sel:DWORD
	v_bfrev_b32_e32 v20, 1
	s_and_saveexec_b32 s21, s22
	s_cbranch_execz .LBB373_682
; %bb.677:                              ;   in Loop: Header=BB373_638 Depth=1
	v_and_b32_sdwa v21, v39, v10 dst_sel:DWORD dst_unused:UNUSED_PAD src0_sel:DWORD src1_sel:BYTE_1
	v_mov_b32_e32 v20, 0x7f800001
	s_mov_b32 s22, exec_lo
	v_and_b32_e32 v49, 0x7f, v21
	v_cmpx_ne_u32_e32 0x7f, v49
	s_cbranch_execz .LBB373_681
; %bb.678:                              ;   in Loop: Header=BB373_638 Depth=1
	v_and_b32_e32 v20, 7, v21
	v_mov_b32_e32 v21, v11
	v_lshrrev_b32_e32 v48, 3, v49
	s_mov_b32 s24, exec_lo
	v_cmpx_gt_u32_e32 8, v49
; %bb.679:                              ;   in Loop: Header=BB373_638 Depth=1
	v_ffbh_u32_e32 v14, v20
	v_min_u32_e32 v14, 32, v14
	v_subrev_nc_u32_e32 v15, 28, v14
	v_sub_nc_u32_e32 v48, 29, v14
	v_lshlrev_b64 v[20:21], v15, v[20:21]
	v_and_b32_e32 v20, 7, v20
; %bb.680:                              ;   in Loop: Header=BB373_638 Depth=1
	s_or_b32 exec_lo, exec_lo, s24
	v_lshlrev_b32_e32 v10, 16, v10
	v_lshlrev_b32_e32 v14, 20, v20
	v_lshl_add_u32 v15, v48, 23, 0x3c000000
	v_and_b32_e32 v10, 0x80000000, v10
	v_or3_b32 v20, v14, v10, v15
.LBB373_681:                            ;   in Loop: Header=BB373_638 Depth=1
	s_or_b32 exec_lo, exec_lo, s22
.LBB373_682:                            ;   in Loop: Header=BB373_638 Depth=1
	s_or_b32 exec_lo, exec_lo, s21
.LBB373_683:                            ;   in Loop: Header=BB373_638 Depth=1
	s_or_b32 exec_lo, exec_lo, s0
	v_and_b32_sdwa v10, v19, v40 dst_sel:DWORD dst_unused:UNUSED_PAD src0_sel:WORD_1 src1_sel:DWORD
	v_mov_b32_e32 v21, 0
	v_mov_b32_e32 v48, 0
	s_mov_b32 s0, exec_lo
	v_cmpx_ne_u16_e32 0, v10
	s_cbranch_execz .LBB373_691
; %bb.684:                              ;   in Loop: Header=BB373_638 Depth=1
	v_bfrev_b32_e32 v48, 1
	s_mov_b32 s21, exec_lo
	v_cmpx_ne_u16_e32 0x80, v10
	s_cbranch_execz .LBB373_690
; %bb.685:                              ;   in Loop: Header=BB373_638 Depth=1
	v_bfe_u32 v49, v19, 16, 7
	v_mov_b32_e32 v48, 0x7f800001
	s_mov_b32 s22, exec_lo
	v_cmpx_ne_u32_e32 0x7f, v49
	s_cbranch_execz .LBB373_689
; %bb.686:                              ;   in Loop: Header=BB373_638 Depth=1
	v_and_b32_sdwa v10, v19, v41 dst_sel:DWORD dst_unused:UNUSED_PAD src0_sel:WORD_1 src1_sel:DWORD
	v_lshrrev_b32_e32 v48, 3, v49
	s_mov_b32 s24, exec_lo
	v_cmpx_gt_u32_e32 8, v49
; %bb.687:                              ;   in Loop: Header=BB373_638 Depth=1
	v_ffbh_u32_e32 v14, v10
	v_min_u32_e32 v14, 32, v14
	v_subrev_nc_u32_e32 v15, 28, v14
	v_sub_nc_u32_e32 v48, 29, v14
	v_lshlrev_b64 v[49:50], v15, v[10:11]
	v_and_b32_e32 v10, 7, v49
; %bb.688:                              ;   in Loop: Header=BB373_638 Depth=1
	s_or_b32 exec_lo, exec_lo, s24
	v_lshlrev_b32_sdwa v14, v42, v19 dst_sel:DWORD dst_unused:UNUSED_PAD src0_sel:DWORD src1_sel:WORD_1
	v_lshlrev_b32_e32 v10, 20, v10
	v_lshl_add_u32 v15, v48, 23, 0x3c000000
	v_and_b32_e32 v14, 0x80000000, v14
	v_or3_b32 v48, v10, v14, v15
.LBB373_689:                            ;   in Loop: Header=BB373_638 Depth=1
	s_or_b32 exec_lo, exec_lo, s22
.LBB373_690:                            ;   in Loop: Header=BB373_638 Depth=1
	s_or_b32 exec_lo, exec_lo, s21
.LBB373_691:                            ;   in Loop: Header=BB373_638 Depth=1
	s_or_b32 exec_lo, exec_lo, s0
	s_mov_b32 s0, exec_lo
	v_cmpx_lt_u64_e64 s[4:5], v[18:19]
	s_cbranch_execz .LBB373_699
; %bb.692:                              ;   in Loop: Header=BB373_638 Depth=1
	v_cmp_ne_u32_sdwa s22, v19, v38 src0_sel:BYTE_3 src1_sel:DWORD
	v_bfrev_b32_e32 v21, 1
	s_and_saveexec_b32 s21, s22
	s_cbranch_execz .LBB373_698
; %bb.693:                              ;   in Loop: Header=BB373_638 Depth=1
	v_bfe_u32 v49, v19, 24, 7
	v_mov_b32_e32 v21, 0x7f800001
	s_mov_b32 s22, exec_lo
	v_cmpx_ne_u32_e32 0x7f, v49
	s_cbranch_execz .LBB373_697
; %bb.694:                              ;   in Loop: Header=BB373_638 Depth=1
	v_and_b32_sdwa v10, v19, v41 dst_sel:DWORD dst_unused:UNUSED_PAD src0_sel:BYTE_3 src1_sel:DWORD
	v_lshrrev_b32_e32 v18, 3, v49
	s_mov_b32 s24, exec_lo
	v_cmpx_gt_u32_e32 8, v49
; %bb.695:                              ;   in Loop: Header=BB373_638 Depth=1
	v_ffbh_u32_e32 v14, v10
	v_min_u32_e32 v14, 32, v14
	v_subrev_nc_u32_e32 v15, 28, v14
	v_sub_nc_u32_e32 v18, 29, v14
	v_lshlrev_b64 v[49:50], v15, v[10:11]
	v_and_b32_e32 v10, 7, v49
; %bb.696:                              ;   in Loop: Header=BB373_638 Depth=1
	s_or_b32 exec_lo, exec_lo, s24
	v_lshlrev_b32_sdwa v14, v42, v19 dst_sel:DWORD dst_unused:UNUSED_PAD src0_sel:DWORD src1_sel:BYTE_3
	v_lshlrev_b32_e32 v10, 20, v10
	v_lshl_add_u32 v15, v18, 23, 0x3c000000
	v_and_b32_e32 v14, 0x80000000, v14
	v_or3_b32 v21, v10, v14, v15
.LBB373_697:                            ;   in Loop: Header=BB373_638 Depth=1
	s_or_b32 exec_lo, exec_lo, s22
.LBB373_698:                            ;   in Loop: Header=BB373_638 Depth=1
	s_or_b32 exec_lo, exec_lo, s21
.LBB373_699:                            ;   in Loop: Header=BB373_638 Depth=1
	s_or_b32 exec_lo, exec_lo, s0
	s_waitcnt lgkmcnt(0)
	v_mul_f32_e32 v10, s18, v20
	v_mul_f32_e32 v14, s18, v47
	;; [unrolled: 1-line block ×5, first 2 shown]
	v_bfe_u32 v18, v10, 16, 1
	v_or_b32_e32 v20, 0x400000, v10
	v_bfe_u32 v23, v14, 16, 1
	v_cmp_u_f32_e64 s0, v10, v10
	v_or_b32_e32 v46, 0x400000, v14
	v_add3_u32 v18, v18, v10, 0x7fff
	v_bfe_u32 v47, v15, 16, 1
	v_add3_u32 v23, v23, v14, 0x7fff
	v_or_b32_e32 v49, 0x400000, v15
	v_add_nc_u32_e32 v62, v43, v24
	v_cndmask_b32_e64 v10, v18, v20, s0
	v_cmp_u_f32_e64 s0, v14, v14
	v_add3_u32 v20, v47, v15, 0x7fff
	v_bfe_u32 v18, v19, 16, 1
	v_cmp_eq_u32_e32 vcc_lo, s12, v9
	v_lshrrev_b32_e32 v47, 16, v10
	v_cndmask_b32_e64 v14, v23, v46, s0
	v_cmp_u_f32_e64 s0, v15, v15
	v_mul_f32_e32 v15, s18, v22
	v_add3_u32 v18, v18, v19, 0x7fff
	v_add_nc_u32_e32 v69, 1, v62
	v_lshrrev_b32_e32 v46, 16, v14
	v_cndmask_b32_e64 v10, v20, v49, s0
	v_or_b32_e32 v20, 0x400000, v19
	v_cmp_u_f32_e64 s0, v19, v19
	v_or_b32_e32 v19, 0x400000, v15
	v_add_nc_u32_e32 v68, 2, v62
	v_lshrrev_b32_e32 v49, 16, v10
	v_bfe_u32 v10, v15, 16, 1
	v_cndmask_b32_e64 v14, v18, v20, s0
	v_mul_f32_e32 v18, s18, v48
	v_mul_f32_e32 v20, s18, v21
	v_bfe_u32 v21, v0, 16, 1
	v_add3_u32 v10, v10, v15, 0x7fff
	v_cmp_u_f32_e64 s0, v15, v15
	v_bfe_u32 v22, v18, 16, 1
	v_bfe_u32 v15, v20, 16, 1
	v_or_b32_e32 v23, 0x400000, v18
	v_or_b32_e32 v48, 0x400000, v20
	v_cndmask_b32_e64 v10, v10, v19, s0
	v_add3_u32 v19, v21, v0, 0x7fff
	v_or_b32_e32 v21, 0x400000, v0
	v_cmp_u_f32_e64 s0, v0, v0
	v_add3_u32 v22, v22, v18, 0x7fff
	v_add3_u32 v15, v15, v20, 0x7fff
	v_lshrrev_b32_e32 v51, 16, v14
	v_lshrrev_b32_e32 v53, 16, v10
	v_cndmask_b32_e64 v0, v19, v21, s0
	v_cmp_u_f32_e64 s0, v18, v18
	v_add_nc_u32_e32 v67, 3, v62
	v_add_nc_u32_e32 v66, 4, v62
	;; [unrolled: 1-line block ×3, first 2 shown]
	v_lshrrev_b32_e32 v52, 16, v0
	v_cndmask_b32_e64 v18, v22, v23, s0
	v_cmp_u_f32_e64 s0, v20, v20
	v_add_nc_u32_e32 v64, 6, v62
	v_add_nc_u32_e32 v63, 7, v62
	v_cndmask_b32_e64 v15, v15, v48, s0
	v_lshrrev_b32_e32 v48, 16, v18
	v_lshrrev_b32_e32 v50, 16, v15
	s_and_saveexec_b32 s21, vcc_lo
	s_cbranch_execz .LBB373_701
; %bb.700:                              ;   in Loop: Header=BB373_638 Depth=1
	v_cmp_gt_i32_e64 s0, s31, v62
	v_cndmask_b32_e64 v52, 0, v52, s0
	v_cmp_gt_i32_e64 s0, s31, v69
	v_cndmask_b32_e64 v53, 0, v53, s0
	;; [unrolled: 2-line block ×8, first 2 shown]
.LBB373_701:                            ;   in Loop: Header=BB373_638 Depth=1
	s_or_b32 exec_lo, exec_lo, s21
	global_load_dwordx2 v[18:19], v[16:17], off offset:256
	v_mov_b32_e32 v22, 0
	v_mov_b32_e32 v0, 0
	s_waitcnt vmcnt(0)
	v_cmp_ne_u16_sdwa s0, v18, v11 src0_sel:BYTE_0 src1_sel:DWORD
	s_and_saveexec_b32 s21, s0
	s_cbranch_execz .LBB373_707
; %bb.702:                              ;   in Loop: Header=BB373_638 Depth=1
	v_cmp_ne_u16_sdwa s0, v18, v38 src0_sel:BYTE_0 src1_sel:DWORD
	v_bfrev_b32_e32 v0, 1
	s_and_saveexec_b32 s22, s0
	s_cbranch_execz .LBB373_706
; %bb.703:                              ;   in Loop: Header=BB373_638 Depth=1
	v_and_b32_e32 v10, 0x7f, v18
	v_mov_b32_e32 v0, 0x7f800001
	s_mov_b32 s24, exec_lo
	v_cmpx_ne_u32_e32 0x7f, v10
	s_cbranch_execz .LBB373_705
; %bb.704:                              ;   in Loop: Header=BB373_638 Depth=1
	v_and_b32_e32 v0, 7, v18
	v_cmp_gt_u32_e64 s0, 8, v10
	v_lshrrev_b32_e32 v14, 3, v10
	v_ffbh_u32_e32 v0, v0
	v_min_u32_e32 v0, 32, v0
	v_subrev_nc_u32_e32 v15, 28, v0
	v_sub_nc_u32_e32 v0, 29, v0
	v_cndmask_b32_e64 v10, 0, v15, s0
	v_cndmask_b32_e64 v0, v14, v0, s0
	v_lshlrev_b64 v[20:21], v10, v[18:19]
	v_lshlrev_b32_e32 v10, 24, v18
	v_lshl_add_u32 v0, v0, 23, 0x3c000000
	v_and_b32_e32 v10, 0x80000000, v10
	v_lshlrev_b32_e32 v14, 20, v20
	v_and_b32_e32 v14, 0x700000, v14
	v_or3_b32 v0, v14, v10, v0
.LBB373_705:                            ;   in Loop: Header=BB373_638 Depth=1
	s_or_b32 exec_lo, exec_lo, s24
.LBB373_706:                            ;   in Loop: Header=BB373_638 Depth=1
	s_or_b32 exec_lo, exec_lo, s22
.LBB373_707:                            ;   in Loop: Header=BB373_638 Depth=1
	s_or_b32 exec_lo, exec_lo, s21
	v_cmp_ne_u16_sdwa s0, v18, v11 src0_sel:BYTE_1 src1_sel:DWORD
	s_and_saveexec_b32 s21, s0
	s_cbranch_execz .LBB373_715
; %bb.708:                              ;   in Loop: Header=BB373_638 Depth=1
	v_cmp_ne_u16_sdwa s0, v18, v38 src0_sel:BYTE_1 src1_sel:DWORD
	v_bfrev_b32_e32 v22, 1
	s_and_saveexec_b32 s22, s0
	s_cbranch_execz .LBB373_714
; %bb.709:                              ;   in Loop: Header=BB373_638 Depth=1
	v_and_b32_sdwa v10, v39, v18 dst_sel:DWORD dst_unused:UNUSED_PAD src0_sel:DWORD src1_sel:BYTE_1
	v_mov_b32_e32 v22, 0x7f800001
	s_mov_b32 s24, exec_lo
	v_and_b32_e32 v21, 0x7f, v10
	v_cmpx_ne_u32_e32 0x7f, v21
	s_cbranch_execz .LBB373_713
; %bb.710:                              ;   in Loop: Header=BB373_638 Depth=1
	v_and_b32_e32 v10, 7, v10
	v_lshrrev_b32_e32 v20, 3, v21
	s_mov_b32 s25, exec_lo
	v_cmpx_gt_u32_e32 8, v21
; %bb.711:                              ;   in Loop: Header=BB373_638 Depth=1
	v_ffbh_u32_e32 v14, v10
	v_min_u32_e32 v14, 32, v14
	v_subrev_nc_u32_e32 v15, 28, v14
	v_sub_nc_u32_e32 v20, 29, v14
	v_lshlrev_b64 v[21:22], v15, v[10:11]
	v_and_b32_e32 v10, 7, v21
; %bb.712:                              ;   in Loop: Header=BB373_638 Depth=1
	s_or_b32 exec_lo, exec_lo, s25
	v_lshlrev_b32_e32 v14, 16, v18
	v_lshlrev_b32_e32 v10, 20, v10
	v_lshl_add_u32 v15, v20, 23, 0x3c000000
	v_and_b32_e32 v14, 0x80000000, v14
	v_or3_b32 v22, v10, v14, v15
.LBB373_713:                            ;   in Loop: Header=BB373_638 Depth=1
	s_or_b32 exec_lo, exec_lo, s24
.LBB373_714:                            ;   in Loop: Header=BB373_638 Depth=1
	s_or_b32 exec_lo, exec_lo, s22
.LBB373_715:                            ;   in Loop: Header=BB373_638 Depth=1
	s_or_b32 exec_lo, exec_lo, s21
	v_and_b32_sdwa v10, v18, v40 dst_sel:DWORD dst_unused:UNUSED_PAD src0_sel:WORD_1 src1_sel:DWORD
	v_mov_b32_e32 v54, 0
	v_mov_b32_e32 v23, 0
	s_mov_b32 s21, exec_lo
	v_cmpx_ne_u16_e32 0, v10
	s_cbranch_execz .LBB373_723
; %bb.716:                              ;   in Loop: Header=BB373_638 Depth=1
	v_bfrev_b32_e32 v23, 1
	s_mov_b32 s22, exec_lo
	v_cmpx_ne_u16_e32 0x80, v10
	s_cbranch_execz .LBB373_722
; %bb.717:                              ;   in Loop: Header=BB373_638 Depth=1
	v_bfe_u32 v21, v18, 16, 7
	v_mov_b32_e32 v23, 0x7f800001
	s_mov_b32 s24, exec_lo
	v_cmpx_ne_u32_e32 0x7f, v21
	s_cbranch_execz .LBB373_721
; %bb.718:                              ;   in Loop: Header=BB373_638 Depth=1
	v_and_b32_sdwa v10, v18, v41 dst_sel:DWORD dst_unused:UNUSED_PAD src0_sel:WORD_1 src1_sel:DWORD
	v_lshrrev_b32_e32 v20, 3, v21
	s_mov_b32 s25, exec_lo
	v_cmpx_gt_u32_e32 8, v21
; %bb.719:                              ;   in Loop: Header=BB373_638 Depth=1
	v_ffbh_u32_e32 v14, v10
	v_min_u32_e32 v14, 32, v14
	v_subrev_nc_u32_e32 v15, 28, v14
	v_sub_nc_u32_e32 v20, 29, v14
	v_lshlrev_b64 v[55:56], v15, v[10:11]
	v_and_b32_e32 v10, 7, v55
; %bb.720:                              ;   in Loop: Header=BB373_638 Depth=1
	s_or_b32 exec_lo, exec_lo, s25
	v_lshlrev_b32_sdwa v14, v42, v18 dst_sel:DWORD dst_unused:UNUSED_PAD src0_sel:DWORD src1_sel:WORD_1
	v_lshlrev_b32_e32 v10, 20, v10
	v_lshl_add_u32 v15, v20, 23, 0x3c000000
	v_and_b32_e32 v14, 0x80000000, v14
	v_or3_b32 v23, v10, v14, v15
.LBB373_721:                            ;   in Loop: Header=BB373_638 Depth=1
	s_or_b32 exec_lo, exec_lo, s24
.LBB373_722:                            ;   in Loop: Header=BB373_638 Depth=1
	s_or_b32 exec_lo, exec_lo, s22
.LBB373_723:                            ;   in Loop: Header=BB373_638 Depth=1
	s_or_b32 exec_lo, exec_lo, s21
	s_mov_b32 s21, exec_lo
	v_cmpx_lt_u32_e32 0xffffff, v18
	s_cbranch_execz .LBB373_731
; %bb.724:                              ;   in Loop: Header=BB373_638 Depth=1
	v_cmp_ne_u32_sdwa s0, v18, v38 src0_sel:BYTE_3 src1_sel:DWORD
	v_bfrev_b32_e32 v54, 1
	s_and_saveexec_b32 s22, s0
	s_cbranch_execz .LBB373_730
; %bb.725:                              ;   in Loop: Header=BB373_638 Depth=1
	v_bfe_u32 v21, v18, 24, 7
	v_mov_b32_e32 v54, 0x7f800001
	s_mov_b32 s24, exec_lo
	v_cmpx_ne_u32_e32 0x7f, v21
	s_cbranch_execz .LBB373_729
; %bb.726:                              ;   in Loop: Header=BB373_638 Depth=1
	v_and_b32_sdwa v10, v18, v41 dst_sel:DWORD dst_unused:UNUSED_PAD src0_sel:BYTE_3 src1_sel:DWORD
	v_lshrrev_b32_e32 v20, 3, v21
	s_mov_b32 s25, exec_lo
	v_cmpx_gt_u32_e32 8, v21
; %bb.727:                              ;   in Loop: Header=BB373_638 Depth=1
	v_ffbh_u32_e32 v14, v10
	v_min_u32_e32 v14, 32, v14
	v_subrev_nc_u32_e32 v15, 28, v14
	v_sub_nc_u32_e32 v20, 29, v14
	v_lshlrev_b64 v[54:55], v15, v[10:11]
	v_and_b32_e32 v10, 7, v54
; %bb.728:                              ;   in Loop: Header=BB373_638 Depth=1
	s_or_b32 exec_lo, exec_lo, s25
	v_lshlrev_b32_sdwa v14, v42, v18 dst_sel:DWORD dst_unused:UNUSED_PAD src0_sel:DWORD src1_sel:BYTE_3
	v_lshlrev_b32_e32 v10, 20, v10
	v_lshl_add_u32 v15, v20, 23, 0x3c000000
	v_and_b32_e32 v14, 0x80000000, v14
	v_or3_b32 v54, v10, v14, v15
.LBB373_729:                            ;   in Loop: Header=BB373_638 Depth=1
	s_or_b32 exec_lo, exec_lo, s24
.LBB373_730:                            ;   in Loop: Header=BB373_638 Depth=1
	s_or_b32 exec_lo, exec_lo, s22
.LBB373_731:                            ;   in Loop: Header=BB373_638 Depth=1
	s_or_b32 exec_lo, exec_lo, s21
	v_mov_b32_e32 v10, v19
	v_cmp_ne_u16_sdwa s0, v19, v11 src0_sel:BYTE_0 src1_sel:DWORD
	v_mov_b32_e32 v20, 0
	v_mov_b32_e32 v55, 0
	s_and_saveexec_b32 s21, s0
	s_cbranch_execz .LBB373_737
; %bb.732:                              ;   in Loop: Header=BB373_638 Depth=1
	v_cmp_ne_u16_sdwa s0, v19, v38 src0_sel:BYTE_0 src1_sel:DWORD
	v_bfrev_b32_e32 v55, 1
	s_and_saveexec_b32 s22, s0
	s_cbranch_execz .LBB373_736
; %bb.733:                              ;   in Loop: Header=BB373_638 Depth=1
	v_and_b32_e32 v21, 0x7f, v19
	v_mov_b32_e32 v55, 0x7f800001
	s_mov_b32 s24, exec_lo
	v_cmpx_ne_u32_e32 0x7f, v21
	s_cbranch_execz .LBB373_735
; %bb.734:                              ;   in Loop: Header=BB373_638 Depth=1
	v_and_b32_e32 v14, 7, v19
	v_lshrrev_b32_e32 v15, 3, v21
	v_cmp_gt_u32_e64 s0, 8, v21
	v_ffbh_u32_e32 v14, v14
	v_min_u32_e32 v14, 32, v14
	v_subrev_nc_u32_e32 v55, 28, v14
	v_sub_nc_u32_e32 v14, 29, v14
	v_cndmask_b32_e64 v14, v15, v14, s0
	v_cndmask_b32_e64 v15, 0, v55, s0
	v_lshl_add_u32 v14, v14, 23, 0x3c000000
	v_lshlrev_b64 v[55:56], v15, v[10:11]
	v_lshlrev_b32_e32 v15, 24, v10
	v_and_b32_e32 v15, 0x80000000, v15
	v_lshlrev_b32_e32 v21, 20, v55
	v_and_b32_e32 v21, 0x700000, v21
	v_or3_b32 v55, v21, v15, v14
.LBB373_735:                            ;   in Loop: Header=BB373_638 Depth=1
	s_or_b32 exec_lo, exec_lo, s24
.LBB373_736:                            ;   in Loop: Header=BB373_638 Depth=1
	s_or_b32 exec_lo, exec_lo, s22
.LBB373_737:                            ;   in Loop: Header=BB373_638 Depth=1
	s_or_b32 exec_lo, exec_lo, s21
	v_cmp_ne_u16_sdwa s0, v10, v11 src0_sel:BYTE_1 src1_sel:DWORD
	s_and_saveexec_b32 s21, s0
	s_cbranch_execz .LBB373_745
; %bb.738:                              ;   in Loop: Header=BB373_638 Depth=1
	v_cmp_ne_u16_sdwa s0, v10, v38 src0_sel:BYTE_1 src1_sel:DWORD
	v_bfrev_b32_e32 v20, 1
	s_and_saveexec_b32 s22, s0
	s_cbranch_execz .LBB373_744
; %bb.739:                              ;   in Loop: Header=BB373_638 Depth=1
	v_and_b32_sdwa v21, v39, v10 dst_sel:DWORD dst_unused:UNUSED_PAD src0_sel:DWORD src1_sel:BYTE_1
	v_mov_b32_e32 v20, 0x7f800001
	s_mov_b32 s24, exec_lo
	v_and_b32_e32 v57, 0x7f, v21
	v_cmpx_ne_u32_e32 0x7f, v57
	s_cbranch_execz .LBB373_743
; %bb.740:                              ;   in Loop: Header=BB373_638 Depth=1
	v_and_b32_e32 v20, 7, v21
	v_mov_b32_e32 v21, v11
	v_lshrrev_b32_e32 v56, 3, v57
	s_mov_b32 s25, exec_lo
	v_cmpx_gt_u32_e32 8, v57
; %bb.741:                              ;   in Loop: Header=BB373_638 Depth=1
	v_ffbh_u32_e32 v14, v20
	v_min_u32_e32 v14, 32, v14
	v_subrev_nc_u32_e32 v15, 28, v14
	v_sub_nc_u32_e32 v56, 29, v14
	v_lshlrev_b64 v[20:21], v15, v[20:21]
	v_and_b32_e32 v20, 7, v20
; %bb.742:                              ;   in Loop: Header=BB373_638 Depth=1
	s_or_b32 exec_lo, exec_lo, s25
	v_lshlrev_b32_e32 v10, 16, v10
	v_lshlrev_b32_e32 v14, 20, v20
	v_lshl_add_u32 v15, v56, 23, 0x3c000000
	v_and_b32_e32 v10, 0x80000000, v10
	v_or3_b32 v20, v14, v10, v15
.LBB373_743:                            ;   in Loop: Header=BB373_638 Depth=1
	s_or_b32 exec_lo, exec_lo, s24
.LBB373_744:                            ;   in Loop: Header=BB373_638 Depth=1
	s_or_b32 exec_lo, exec_lo, s22
.LBB373_745:                            ;   in Loop: Header=BB373_638 Depth=1
	s_or_b32 exec_lo, exec_lo, s21
	v_and_b32_sdwa v10, v19, v40 dst_sel:DWORD dst_unused:UNUSED_PAD src0_sel:WORD_1 src1_sel:DWORD
	v_mov_b32_e32 v21, 0
	v_mov_b32_e32 v56, 0
	s_mov_b32 s21, exec_lo
	v_cmpx_ne_u16_e32 0, v10
	s_cbranch_execz .LBB373_753
; %bb.746:                              ;   in Loop: Header=BB373_638 Depth=1
	v_bfrev_b32_e32 v56, 1
	s_mov_b32 s22, exec_lo
	v_cmpx_ne_u16_e32 0x80, v10
	s_cbranch_execz .LBB373_752
; %bb.747:                              ;   in Loop: Header=BB373_638 Depth=1
	v_bfe_u32 v57, v19, 16, 7
	v_mov_b32_e32 v56, 0x7f800001
	s_mov_b32 s24, exec_lo
	v_cmpx_ne_u32_e32 0x7f, v57
	s_cbranch_execz .LBB373_751
; %bb.748:                              ;   in Loop: Header=BB373_638 Depth=1
	v_and_b32_sdwa v10, v19, v41 dst_sel:DWORD dst_unused:UNUSED_PAD src0_sel:WORD_1 src1_sel:DWORD
	v_lshrrev_b32_e32 v56, 3, v57
	s_mov_b32 s25, exec_lo
	v_cmpx_gt_u32_e32 8, v57
; %bb.749:                              ;   in Loop: Header=BB373_638 Depth=1
	v_ffbh_u32_e32 v14, v10
	v_min_u32_e32 v14, 32, v14
	v_subrev_nc_u32_e32 v15, 28, v14
	v_sub_nc_u32_e32 v56, 29, v14
	v_lshlrev_b64 v[57:58], v15, v[10:11]
	v_and_b32_e32 v10, 7, v57
; %bb.750:                              ;   in Loop: Header=BB373_638 Depth=1
	s_or_b32 exec_lo, exec_lo, s25
	v_lshlrev_b32_sdwa v14, v42, v19 dst_sel:DWORD dst_unused:UNUSED_PAD src0_sel:DWORD src1_sel:WORD_1
	v_lshlrev_b32_e32 v10, 20, v10
	v_lshl_add_u32 v15, v56, 23, 0x3c000000
	v_and_b32_e32 v14, 0x80000000, v14
	v_or3_b32 v56, v10, v14, v15
.LBB373_751:                            ;   in Loop: Header=BB373_638 Depth=1
	s_or_b32 exec_lo, exec_lo, s24
.LBB373_752:                            ;   in Loop: Header=BB373_638 Depth=1
	s_or_b32 exec_lo, exec_lo, s22
.LBB373_753:                            ;   in Loop: Header=BB373_638 Depth=1
	s_or_b32 exec_lo, exec_lo, s21
	s_mov_b32 s21, exec_lo
	v_cmpx_lt_u64_e64 s[4:5], v[18:19]
	s_cbranch_execz .LBB373_761
; %bb.754:                              ;   in Loop: Header=BB373_638 Depth=1
	v_cmp_ne_u32_sdwa s0, v19, v38 src0_sel:BYTE_3 src1_sel:DWORD
	v_bfrev_b32_e32 v21, 1
	s_and_saveexec_b32 s22, s0
	s_cbranch_execz .LBB373_760
; %bb.755:                              ;   in Loop: Header=BB373_638 Depth=1
	v_bfe_u32 v57, v19, 24, 7
	v_mov_b32_e32 v21, 0x7f800001
	s_mov_b32 s24, exec_lo
	v_cmpx_ne_u32_e32 0x7f, v57
	s_cbranch_execz .LBB373_759
; %bb.756:                              ;   in Loop: Header=BB373_638 Depth=1
	v_and_b32_sdwa v10, v19, v41 dst_sel:DWORD dst_unused:UNUSED_PAD src0_sel:BYTE_3 src1_sel:DWORD
	v_lshrrev_b32_e32 v18, 3, v57
	s_mov_b32 s25, exec_lo
	v_cmpx_gt_u32_e32 8, v57
; %bb.757:                              ;   in Loop: Header=BB373_638 Depth=1
	v_ffbh_u32_e32 v14, v10
	v_min_u32_e32 v14, 32, v14
	v_subrev_nc_u32_e32 v15, 28, v14
	v_sub_nc_u32_e32 v18, 29, v14
	v_lshlrev_b64 v[57:58], v15, v[10:11]
	v_and_b32_e32 v10, 7, v57
; %bb.758:                              ;   in Loop: Header=BB373_638 Depth=1
	s_or_b32 exec_lo, exec_lo, s25
	v_lshlrev_b32_sdwa v14, v42, v19 dst_sel:DWORD dst_unused:UNUSED_PAD src0_sel:DWORD src1_sel:BYTE_3
	v_lshlrev_b32_e32 v10, 20, v10
	v_lshl_add_u32 v15, v18, 23, 0x3c000000
	v_and_b32_e32 v14, 0x80000000, v14
	v_or3_b32 v21, v10, v14, v15
.LBB373_759:                            ;   in Loop: Header=BB373_638 Depth=1
	s_or_b32 exec_lo, exec_lo, s24
.LBB373_760:                            ;   in Loop: Header=BB373_638 Depth=1
	s_or_b32 exec_lo, exec_lo, s22
.LBB373_761:                            ;   in Loop: Header=BB373_638 Depth=1
	s_or_b32 exec_lo, exec_lo, s21
	v_mul_f32_e32 v10, s18, v20
	v_mul_f32_e32 v14, s18, v55
	;; [unrolled: 1-line block ×5, first 2 shown]
	v_bfe_u32 v19, v10, 16, 1
	v_or_b32_e32 v20, 0x400000, v10
	v_bfe_u32 v23, v14, 16, 1
	v_cmp_u_f32_e64 s0, v10, v10
	v_or_b32_e32 v54, 0x400000, v14
	v_add3_u32 v19, v19, v10, 0x7fff
	v_bfe_u32 v55, v15, 16, 1
	v_add3_u32 v23, v23, v14, 0x7fff
	v_or_b32_e32 v57, 0x400000, v15
	v_bfe_u32 v58, v18, 16, 1
	v_cndmask_b32_e64 v10, v19, v20, s0
	v_cmp_u_f32_e64 s0, v14, v14
	v_add3_u32 v55, v55, v15, 0x7fff
	v_or_b32_e32 v20, 0x400000, v18
	v_add3_u32 v19, v58, v18, 0x7fff
	v_cndmask_b32_e64 v14, v23, v54, s0
	v_cmp_u_f32_e64 s0, v15, v15
	v_lshrrev_b32_e32 v54, 16, v10
	v_mul_f32_e32 v10, s18, v22
	v_cndmask_b32_e64 v15, v55, v57, s0
	v_lshrrev_b32_e32 v55, 16, v14
	v_bfe_u32 v14, v10, 16, 1
	v_cmp_u_f32_e64 s0, v18, v18
	v_mul_f32_e32 v18, s18, v56
	v_lshrrev_b32_e32 v57, 16, v15
	v_add3_u32 v14, v14, v10, 0x7fff
	v_cndmask_b32_e64 v15, v19, v20, s0
	v_or_b32_e32 v19, 0x400000, v10
	v_mul_f32_e32 v20, s18, v21
	v_bfe_u32 v21, v0, 16, 1
	v_cmp_u_f32_e64 s0, v10, v10
	v_bfe_u32 v22, v18, 16, 1
	v_or_b32_e32 v23, 0x400000, v18
	v_or_b32_e32 v56, 0x400000, v20
	v_lshrrev_b32_e32 v59, 16, v15
	v_cndmask_b32_e64 v10, v14, v19, s0
	v_add3_u32 v19, v21, v0, 0x7fff
	v_or_b32_e32 v21, 0x400000, v0
	v_cmp_u_f32_e64 s0, v0, v0
	v_bfe_u32 v14, v20, 16, 1
	v_add3_u32 v22, v22, v18, 0x7fff
	v_lshrrev_b32_e32 v61, 16, v10
	v_cndmask_b32_e64 v0, v19, v21, s0
	v_cmp_u_f32_e64 s0, v18, v18
	v_add3_u32 v14, v14, v20, 0x7fff
	v_lshrrev_b32_e32 v60, 16, v0
	v_cndmask_b32_e64 v18, v22, v23, s0
	v_cmp_u_f32_e64 s0, v20, v20
	v_cndmask_b32_e64 v14, v14, v56, s0
	v_lshrrev_b32_e32 v56, 16, v18
	v_lshrrev_b32_e32 v58, 16, v14
	s_and_saveexec_b32 s21, vcc_lo
	s_cbranch_execz .LBB373_763
; %bb.762:                              ;   in Loop: Header=BB373_638 Depth=1
	v_cmp_gt_i32_e64 s0, s31, v62
	v_cndmask_b32_e64 v60, 0, v60, s0
	v_cmp_gt_i32_e64 s0, s31, v69
	v_cndmask_b32_e64 v61, 0, v61, s0
	;; [unrolled: 2-line block ×8, first 2 shown]
.LBB373_763:                            ;   in Loop: Header=BB373_638 Depth=1
	s_or_b32 exec_lo, exec_lo, s21
	global_load_dwordx2 v[18:19], v[16:17], off offset:512
	v_mov_b32_e32 v22, 0
	v_mov_b32_e32 v0, 0
	s_waitcnt vmcnt(0)
	v_cmp_ne_u16_sdwa s0, v18, v11 src0_sel:BYTE_0 src1_sel:DWORD
	s_and_saveexec_b32 s21, s0
	s_cbranch_execz .LBB373_769
; %bb.764:                              ;   in Loop: Header=BB373_638 Depth=1
	v_cmp_ne_u16_sdwa s0, v18, v38 src0_sel:BYTE_0 src1_sel:DWORD
	v_bfrev_b32_e32 v0, 1
	s_and_saveexec_b32 s22, s0
	s_cbranch_execz .LBB373_768
; %bb.765:                              ;   in Loop: Header=BB373_638 Depth=1
	v_and_b32_e32 v10, 0x7f, v18
	v_mov_b32_e32 v0, 0x7f800001
	s_mov_b32 s24, exec_lo
	v_cmpx_ne_u32_e32 0x7f, v10
	s_cbranch_execz .LBB373_767
; %bb.766:                              ;   in Loop: Header=BB373_638 Depth=1
	v_and_b32_e32 v0, 7, v18
	v_cmp_gt_u32_e64 s0, 8, v10
	v_lshrrev_b32_e32 v14, 3, v10
	v_ffbh_u32_e32 v0, v0
	v_min_u32_e32 v0, 32, v0
	v_subrev_nc_u32_e32 v15, 28, v0
	v_sub_nc_u32_e32 v0, 29, v0
	v_cndmask_b32_e64 v10, 0, v15, s0
	v_cndmask_b32_e64 v0, v14, v0, s0
	v_lshlrev_b64 v[20:21], v10, v[18:19]
	v_lshlrev_b32_e32 v10, 24, v18
	v_lshl_add_u32 v0, v0, 23, 0x3c000000
	v_and_b32_e32 v10, 0x80000000, v10
	v_lshlrev_b32_e32 v14, 20, v20
	v_and_b32_e32 v14, 0x700000, v14
	v_or3_b32 v0, v14, v10, v0
.LBB373_767:                            ;   in Loop: Header=BB373_638 Depth=1
	s_or_b32 exec_lo, exec_lo, s24
.LBB373_768:                            ;   in Loop: Header=BB373_638 Depth=1
	s_or_b32 exec_lo, exec_lo, s22
.LBB373_769:                            ;   in Loop: Header=BB373_638 Depth=1
	s_or_b32 exec_lo, exec_lo, s21
	v_cmp_ne_u16_sdwa s0, v18, v11 src0_sel:BYTE_1 src1_sel:DWORD
	s_and_saveexec_b32 s21, s0
	s_cbranch_execz .LBB373_777
; %bb.770:                              ;   in Loop: Header=BB373_638 Depth=1
	v_cmp_ne_u16_sdwa s0, v18, v38 src0_sel:BYTE_1 src1_sel:DWORD
	v_bfrev_b32_e32 v22, 1
	s_and_saveexec_b32 s22, s0
	s_cbranch_execz .LBB373_776
; %bb.771:                              ;   in Loop: Header=BB373_638 Depth=1
	v_and_b32_sdwa v10, v39, v18 dst_sel:DWORD dst_unused:UNUSED_PAD src0_sel:DWORD src1_sel:BYTE_1
	v_mov_b32_e32 v22, 0x7f800001
	s_mov_b32 s24, exec_lo
	v_and_b32_e32 v21, 0x7f, v10
	v_cmpx_ne_u32_e32 0x7f, v21
	s_cbranch_execz .LBB373_775
; %bb.772:                              ;   in Loop: Header=BB373_638 Depth=1
	v_and_b32_e32 v10, 7, v10
	v_lshrrev_b32_e32 v20, 3, v21
	s_mov_b32 s25, exec_lo
	v_cmpx_gt_u32_e32 8, v21
; %bb.773:                              ;   in Loop: Header=BB373_638 Depth=1
	v_ffbh_u32_e32 v14, v10
	v_min_u32_e32 v14, 32, v14
	v_subrev_nc_u32_e32 v15, 28, v14
	v_sub_nc_u32_e32 v20, 29, v14
	v_lshlrev_b64 v[21:22], v15, v[10:11]
	v_and_b32_e32 v10, 7, v21
; %bb.774:                              ;   in Loop: Header=BB373_638 Depth=1
	s_or_b32 exec_lo, exec_lo, s25
	v_lshlrev_b32_e32 v14, 16, v18
	v_lshlrev_b32_e32 v10, 20, v10
	v_lshl_add_u32 v15, v20, 23, 0x3c000000
	v_and_b32_e32 v14, 0x80000000, v14
	v_or3_b32 v22, v10, v14, v15
.LBB373_775:                            ;   in Loop: Header=BB373_638 Depth=1
	s_or_b32 exec_lo, exec_lo, s24
.LBB373_776:                            ;   in Loop: Header=BB373_638 Depth=1
	s_or_b32 exec_lo, exec_lo, s22
.LBB373_777:                            ;   in Loop: Header=BB373_638 Depth=1
	s_or_b32 exec_lo, exec_lo, s21
	v_and_b32_sdwa v10, v18, v40 dst_sel:DWORD dst_unused:UNUSED_PAD src0_sel:WORD_1 src1_sel:DWORD
	v_mov_b32_e32 v70, 0
	v_mov_b32_e32 v23, 0
	s_mov_b32 s21, exec_lo
	v_cmpx_ne_u16_e32 0, v10
	s_cbranch_execz .LBB373_785
; %bb.778:                              ;   in Loop: Header=BB373_638 Depth=1
	v_bfrev_b32_e32 v23, 1
	s_mov_b32 s22, exec_lo
	v_cmpx_ne_u16_e32 0x80, v10
	s_cbranch_execz .LBB373_784
; %bb.779:                              ;   in Loop: Header=BB373_638 Depth=1
	v_bfe_u32 v21, v18, 16, 7
	v_mov_b32_e32 v23, 0x7f800001
	s_mov_b32 s24, exec_lo
	v_cmpx_ne_u32_e32 0x7f, v21
	s_cbranch_execz .LBB373_783
; %bb.780:                              ;   in Loop: Header=BB373_638 Depth=1
	v_and_b32_sdwa v10, v18, v41 dst_sel:DWORD dst_unused:UNUSED_PAD src0_sel:WORD_1 src1_sel:DWORD
	v_lshrrev_b32_e32 v20, 3, v21
	s_mov_b32 s25, exec_lo
	v_cmpx_gt_u32_e32 8, v21
; %bb.781:                              ;   in Loop: Header=BB373_638 Depth=1
	v_ffbh_u32_e32 v14, v10
	v_min_u32_e32 v14, 32, v14
	v_subrev_nc_u32_e32 v15, 28, v14
	v_sub_nc_u32_e32 v20, 29, v14
	v_lshlrev_b64 v[71:72], v15, v[10:11]
	v_and_b32_e32 v10, 7, v71
; %bb.782:                              ;   in Loop: Header=BB373_638 Depth=1
	s_or_b32 exec_lo, exec_lo, s25
	v_lshlrev_b32_sdwa v14, v42, v18 dst_sel:DWORD dst_unused:UNUSED_PAD src0_sel:DWORD src1_sel:WORD_1
	v_lshlrev_b32_e32 v10, 20, v10
	v_lshl_add_u32 v15, v20, 23, 0x3c000000
	v_and_b32_e32 v14, 0x80000000, v14
	v_or3_b32 v23, v10, v14, v15
.LBB373_783:                            ;   in Loop: Header=BB373_638 Depth=1
	s_or_b32 exec_lo, exec_lo, s24
.LBB373_784:                            ;   in Loop: Header=BB373_638 Depth=1
	s_or_b32 exec_lo, exec_lo, s22
.LBB373_785:                            ;   in Loop: Header=BB373_638 Depth=1
	s_or_b32 exec_lo, exec_lo, s21
	s_mov_b32 s21, exec_lo
	v_cmpx_lt_u32_e32 0xffffff, v18
	s_cbranch_execz .LBB373_793
; %bb.786:                              ;   in Loop: Header=BB373_638 Depth=1
	v_cmp_ne_u32_sdwa s0, v18, v38 src0_sel:BYTE_3 src1_sel:DWORD
	v_bfrev_b32_e32 v70, 1
	s_and_saveexec_b32 s22, s0
	s_cbranch_execz .LBB373_792
; %bb.787:                              ;   in Loop: Header=BB373_638 Depth=1
	v_bfe_u32 v21, v18, 24, 7
	v_mov_b32_e32 v70, 0x7f800001
	s_mov_b32 s24, exec_lo
	v_cmpx_ne_u32_e32 0x7f, v21
	s_cbranch_execz .LBB373_791
; %bb.788:                              ;   in Loop: Header=BB373_638 Depth=1
	v_and_b32_sdwa v10, v18, v41 dst_sel:DWORD dst_unused:UNUSED_PAD src0_sel:BYTE_3 src1_sel:DWORD
	v_lshrrev_b32_e32 v20, 3, v21
	s_mov_b32 s25, exec_lo
	v_cmpx_gt_u32_e32 8, v21
; %bb.789:                              ;   in Loop: Header=BB373_638 Depth=1
	v_ffbh_u32_e32 v14, v10
	v_min_u32_e32 v14, 32, v14
	v_subrev_nc_u32_e32 v15, 28, v14
	v_sub_nc_u32_e32 v20, 29, v14
	v_lshlrev_b64 v[70:71], v15, v[10:11]
	v_and_b32_e32 v10, 7, v70
; %bb.790:                              ;   in Loop: Header=BB373_638 Depth=1
	s_or_b32 exec_lo, exec_lo, s25
	v_lshlrev_b32_sdwa v14, v42, v18 dst_sel:DWORD dst_unused:UNUSED_PAD src0_sel:DWORD src1_sel:BYTE_3
	v_lshlrev_b32_e32 v10, 20, v10
	v_lshl_add_u32 v15, v20, 23, 0x3c000000
	v_and_b32_e32 v14, 0x80000000, v14
	v_or3_b32 v70, v10, v14, v15
.LBB373_791:                            ;   in Loop: Header=BB373_638 Depth=1
	s_or_b32 exec_lo, exec_lo, s24
.LBB373_792:                            ;   in Loop: Header=BB373_638 Depth=1
	s_or_b32 exec_lo, exec_lo, s22
.LBB373_793:                            ;   in Loop: Header=BB373_638 Depth=1
	s_or_b32 exec_lo, exec_lo, s21
	v_mov_b32_e32 v10, v19
	v_cmp_ne_u16_sdwa s0, v19, v11 src0_sel:BYTE_0 src1_sel:DWORD
	v_mov_b32_e32 v20, 0
	v_mov_b32_e32 v71, 0
	s_and_saveexec_b32 s21, s0
	s_cbranch_execz .LBB373_799
; %bb.794:                              ;   in Loop: Header=BB373_638 Depth=1
	v_cmp_ne_u16_sdwa s0, v19, v38 src0_sel:BYTE_0 src1_sel:DWORD
	v_bfrev_b32_e32 v71, 1
	s_and_saveexec_b32 s22, s0
	s_cbranch_execz .LBB373_798
; %bb.795:                              ;   in Loop: Header=BB373_638 Depth=1
	v_and_b32_e32 v21, 0x7f, v19
	v_mov_b32_e32 v71, 0x7f800001
	s_mov_b32 s24, exec_lo
	v_cmpx_ne_u32_e32 0x7f, v21
	s_cbranch_execz .LBB373_797
; %bb.796:                              ;   in Loop: Header=BB373_638 Depth=1
	v_and_b32_e32 v14, 7, v19
	v_lshrrev_b32_e32 v15, 3, v21
	v_cmp_gt_u32_e64 s0, 8, v21
	v_ffbh_u32_e32 v14, v14
	v_min_u32_e32 v14, 32, v14
	v_subrev_nc_u32_e32 v71, 28, v14
	v_sub_nc_u32_e32 v14, 29, v14
	v_cndmask_b32_e64 v14, v15, v14, s0
	v_cndmask_b32_e64 v15, 0, v71, s0
	v_lshl_add_u32 v14, v14, 23, 0x3c000000
	v_lshlrev_b64 v[71:72], v15, v[10:11]
	v_lshlrev_b32_e32 v15, 24, v10
	v_and_b32_e32 v15, 0x80000000, v15
	v_lshlrev_b32_e32 v21, 20, v71
	v_and_b32_e32 v21, 0x700000, v21
	v_or3_b32 v71, v21, v15, v14
.LBB373_797:                            ;   in Loop: Header=BB373_638 Depth=1
	s_or_b32 exec_lo, exec_lo, s24
.LBB373_798:                            ;   in Loop: Header=BB373_638 Depth=1
	s_or_b32 exec_lo, exec_lo, s22
.LBB373_799:                            ;   in Loop: Header=BB373_638 Depth=1
	s_or_b32 exec_lo, exec_lo, s21
	v_cmp_ne_u16_sdwa s0, v10, v11 src0_sel:BYTE_1 src1_sel:DWORD
	s_and_saveexec_b32 s21, s0
	s_cbranch_execz .LBB373_807
; %bb.800:                              ;   in Loop: Header=BB373_638 Depth=1
	v_cmp_ne_u16_sdwa s0, v10, v38 src0_sel:BYTE_1 src1_sel:DWORD
	v_bfrev_b32_e32 v20, 1
	s_and_saveexec_b32 s22, s0
	s_cbranch_execz .LBB373_806
; %bb.801:                              ;   in Loop: Header=BB373_638 Depth=1
	v_and_b32_sdwa v21, v39, v10 dst_sel:DWORD dst_unused:UNUSED_PAD src0_sel:DWORD src1_sel:BYTE_1
	v_mov_b32_e32 v20, 0x7f800001
	s_mov_b32 s24, exec_lo
	v_and_b32_e32 v73, 0x7f, v21
	v_cmpx_ne_u32_e32 0x7f, v73
	s_cbranch_execz .LBB373_805
; %bb.802:                              ;   in Loop: Header=BB373_638 Depth=1
	v_and_b32_e32 v20, 7, v21
	v_mov_b32_e32 v21, v11
	v_lshrrev_b32_e32 v72, 3, v73
	s_mov_b32 s25, exec_lo
	v_cmpx_gt_u32_e32 8, v73
; %bb.803:                              ;   in Loop: Header=BB373_638 Depth=1
	v_ffbh_u32_e32 v14, v20
	v_min_u32_e32 v14, 32, v14
	v_subrev_nc_u32_e32 v15, 28, v14
	v_sub_nc_u32_e32 v72, 29, v14
	v_lshlrev_b64 v[20:21], v15, v[20:21]
	v_and_b32_e32 v20, 7, v20
; %bb.804:                              ;   in Loop: Header=BB373_638 Depth=1
	s_or_b32 exec_lo, exec_lo, s25
	v_lshlrev_b32_e32 v10, 16, v10
	v_lshlrev_b32_e32 v14, 20, v20
	v_lshl_add_u32 v15, v72, 23, 0x3c000000
	v_and_b32_e32 v10, 0x80000000, v10
	v_or3_b32 v20, v14, v10, v15
.LBB373_805:                            ;   in Loop: Header=BB373_638 Depth=1
	s_or_b32 exec_lo, exec_lo, s24
.LBB373_806:                            ;   in Loop: Header=BB373_638 Depth=1
	s_or_b32 exec_lo, exec_lo, s22
.LBB373_807:                            ;   in Loop: Header=BB373_638 Depth=1
	s_or_b32 exec_lo, exec_lo, s21
	v_and_b32_sdwa v10, v19, v40 dst_sel:DWORD dst_unused:UNUSED_PAD src0_sel:WORD_1 src1_sel:DWORD
	v_mov_b32_e32 v21, 0
	v_mov_b32_e32 v72, 0
	s_mov_b32 s21, exec_lo
	v_cmpx_ne_u16_e32 0, v10
	s_cbranch_execz .LBB373_815
; %bb.808:                              ;   in Loop: Header=BB373_638 Depth=1
	v_bfrev_b32_e32 v72, 1
	s_mov_b32 s22, exec_lo
	v_cmpx_ne_u16_e32 0x80, v10
	s_cbranch_execz .LBB373_814
; %bb.809:                              ;   in Loop: Header=BB373_638 Depth=1
	v_bfe_u32 v73, v19, 16, 7
	v_mov_b32_e32 v72, 0x7f800001
	s_mov_b32 s24, exec_lo
	v_cmpx_ne_u32_e32 0x7f, v73
	s_cbranch_execz .LBB373_813
; %bb.810:                              ;   in Loop: Header=BB373_638 Depth=1
	v_and_b32_sdwa v10, v19, v41 dst_sel:DWORD dst_unused:UNUSED_PAD src0_sel:WORD_1 src1_sel:DWORD
	v_lshrrev_b32_e32 v72, 3, v73
	s_mov_b32 s25, exec_lo
	v_cmpx_gt_u32_e32 8, v73
; %bb.811:                              ;   in Loop: Header=BB373_638 Depth=1
	v_ffbh_u32_e32 v14, v10
	v_min_u32_e32 v14, 32, v14
	v_subrev_nc_u32_e32 v15, 28, v14
	v_sub_nc_u32_e32 v72, 29, v14
	v_lshlrev_b64 v[73:74], v15, v[10:11]
	v_and_b32_e32 v10, 7, v73
; %bb.812:                              ;   in Loop: Header=BB373_638 Depth=1
	s_or_b32 exec_lo, exec_lo, s25
	v_lshlrev_b32_sdwa v14, v42, v19 dst_sel:DWORD dst_unused:UNUSED_PAD src0_sel:DWORD src1_sel:WORD_1
	v_lshlrev_b32_e32 v10, 20, v10
	v_lshl_add_u32 v15, v72, 23, 0x3c000000
	v_and_b32_e32 v14, 0x80000000, v14
	v_or3_b32 v72, v10, v14, v15
.LBB373_813:                            ;   in Loop: Header=BB373_638 Depth=1
	s_or_b32 exec_lo, exec_lo, s24
.LBB373_814:                            ;   in Loop: Header=BB373_638 Depth=1
	s_or_b32 exec_lo, exec_lo, s22
.LBB373_815:                            ;   in Loop: Header=BB373_638 Depth=1
	s_or_b32 exec_lo, exec_lo, s21
	s_mov_b32 s21, exec_lo
	v_cmpx_lt_u64_e64 s[4:5], v[18:19]
	s_cbranch_execz .LBB373_823
; %bb.816:                              ;   in Loop: Header=BB373_638 Depth=1
	v_cmp_ne_u32_sdwa s0, v19, v38 src0_sel:BYTE_3 src1_sel:DWORD
	v_bfrev_b32_e32 v21, 1
	s_and_saveexec_b32 s22, s0
	s_cbranch_execz .LBB373_822
; %bb.817:                              ;   in Loop: Header=BB373_638 Depth=1
	v_bfe_u32 v73, v19, 24, 7
	v_mov_b32_e32 v21, 0x7f800001
	s_mov_b32 s24, exec_lo
	v_cmpx_ne_u32_e32 0x7f, v73
	s_cbranch_execz .LBB373_821
; %bb.818:                              ;   in Loop: Header=BB373_638 Depth=1
	v_and_b32_sdwa v10, v19, v41 dst_sel:DWORD dst_unused:UNUSED_PAD src0_sel:BYTE_3 src1_sel:DWORD
	v_lshrrev_b32_e32 v18, 3, v73
	s_mov_b32 s25, exec_lo
	v_cmpx_gt_u32_e32 8, v73
; %bb.819:                              ;   in Loop: Header=BB373_638 Depth=1
	v_ffbh_u32_e32 v14, v10
	v_min_u32_e32 v14, 32, v14
	v_subrev_nc_u32_e32 v15, 28, v14
	v_sub_nc_u32_e32 v18, 29, v14
	v_lshlrev_b64 v[73:74], v15, v[10:11]
	v_and_b32_e32 v10, 7, v73
; %bb.820:                              ;   in Loop: Header=BB373_638 Depth=1
	s_or_b32 exec_lo, exec_lo, s25
	v_lshlrev_b32_sdwa v14, v42, v19 dst_sel:DWORD dst_unused:UNUSED_PAD src0_sel:DWORD src1_sel:BYTE_3
	v_lshlrev_b32_e32 v10, 20, v10
	v_lshl_add_u32 v15, v18, 23, 0x3c000000
	v_and_b32_e32 v14, 0x80000000, v14
	v_or3_b32 v21, v10, v14, v15
.LBB373_821:                            ;   in Loop: Header=BB373_638 Depth=1
	s_or_b32 exec_lo, exec_lo, s24
.LBB373_822:                            ;   in Loop: Header=BB373_638 Depth=1
	s_or_b32 exec_lo, exec_lo, s22
.LBB373_823:                            ;   in Loop: Header=BB373_638 Depth=1
	s_or_b32 exec_lo, exec_lo, s21
	v_mul_f32_e32 v10, s18, v20
	v_mul_f32_e32 v14, s18, v71
	;; [unrolled: 1-line block ×5, first 2 shown]
	v_bfe_u32 v19, v10, 16, 1
	v_or_b32_e32 v20, 0x400000, v10
	v_bfe_u32 v23, v14, 16, 1
	v_cmp_u_f32_e64 s0, v10, v10
	v_or_b32_e32 v70, 0x400000, v14
	v_add3_u32 v19, v19, v10, 0x7fff
	v_bfe_u32 v71, v15, 16, 1
	v_add3_u32 v23, v23, v14, 0x7fff
	v_or_b32_e32 v73, 0x400000, v15
	v_bfe_u32 v74, v18, 16, 1
	v_cndmask_b32_e64 v10, v19, v20, s0
	v_cmp_u_f32_e64 s0, v14, v14
	v_add3_u32 v71, v71, v15, 0x7fff
	v_or_b32_e32 v20, 0x400000, v18
	v_add3_u32 v19, v74, v18, 0x7fff
	v_cndmask_b32_e64 v14, v23, v70, s0
	v_cmp_u_f32_e64 s0, v15, v15
	v_lshrrev_b32_e32 v70, 16, v10
	v_mul_f32_e32 v10, s18, v22
	v_cndmask_b32_e64 v15, v71, v73, s0
	v_lshrrev_b32_e32 v71, 16, v14
	v_bfe_u32 v14, v10, 16, 1
	v_cmp_u_f32_e64 s0, v18, v18
	v_mul_f32_e32 v18, s18, v72
	v_lshrrev_b32_e32 v73, 16, v15
	v_add3_u32 v14, v14, v10, 0x7fff
	v_cndmask_b32_e64 v15, v19, v20, s0
	v_or_b32_e32 v19, 0x400000, v10
	v_mul_f32_e32 v20, s18, v21
	v_bfe_u32 v21, v0, 16, 1
	v_cmp_u_f32_e64 s0, v10, v10
	v_bfe_u32 v22, v18, 16, 1
	v_or_b32_e32 v23, 0x400000, v18
	v_or_b32_e32 v72, 0x400000, v20
	v_lshrrev_b32_e32 v75, 16, v15
	v_cndmask_b32_e64 v10, v14, v19, s0
	v_add3_u32 v19, v21, v0, 0x7fff
	v_or_b32_e32 v21, 0x400000, v0
	v_cmp_u_f32_e64 s0, v0, v0
	v_bfe_u32 v14, v20, 16, 1
	v_add3_u32 v22, v22, v18, 0x7fff
	v_lshrrev_b32_e32 v77, 16, v10
	v_cndmask_b32_e64 v0, v19, v21, s0
	v_cmp_u_f32_e64 s0, v18, v18
	v_add3_u32 v14, v14, v20, 0x7fff
	v_lshrrev_b32_e32 v76, 16, v0
	v_cndmask_b32_e64 v18, v22, v23, s0
	v_cmp_u_f32_e64 s0, v20, v20
	v_cndmask_b32_e64 v14, v14, v72, s0
	v_lshrrev_b32_e32 v72, 16, v18
	v_lshrrev_b32_e32 v74, 16, v14
	s_and_saveexec_b32 s21, vcc_lo
	s_cbranch_execz .LBB373_825
; %bb.824:                              ;   in Loop: Header=BB373_638 Depth=1
	v_cmp_gt_i32_e64 s0, s31, v62
	v_cndmask_b32_e64 v76, 0, v76, s0
	v_cmp_gt_i32_e64 s0, s31, v69
	v_cndmask_b32_e64 v77, 0, v77, s0
	;; [unrolled: 2-line block ×8, first 2 shown]
.LBB373_825:                            ;   in Loop: Header=BB373_638 Depth=1
	s_or_b32 exec_lo, exec_lo, s21
	global_load_dwordx2 v[18:19], v[16:17], off offset:768
	v_mov_b32_e32 v22, 0
	v_mov_b32_e32 v0, 0
	s_waitcnt vmcnt(0)
	v_cmp_ne_u16_sdwa s0, v18, v11 src0_sel:BYTE_0 src1_sel:DWORD
	s_and_saveexec_b32 s21, s0
	s_cbranch_execz .LBB373_831
; %bb.826:                              ;   in Loop: Header=BB373_638 Depth=1
	v_cmp_ne_u16_sdwa s0, v18, v38 src0_sel:BYTE_0 src1_sel:DWORD
	v_bfrev_b32_e32 v0, 1
	s_and_saveexec_b32 s22, s0
	s_cbranch_execz .LBB373_830
; %bb.827:                              ;   in Loop: Header=BB373_638 Depth=1
	v_and_b32_e32 v10, 0x7f, v18
	v_mov_b32_e32 v0, 0x7f800001
	s_mov_b32 s24, exec_lo
	v_cmpx_ne_u32_e32 0x7f, v10
	s_cbranch_execz .LBB373_829
; %bb.828:                              ;   in Loop: Header=BB373_638 Depth=1
	v_and_b32_e32 v0, 7, v18
	v_cmp_gt_u32_e64 s0, 8, v10
	v_lshrrev_b32_e32 v14, 3, v10
	v_ffbh_u32_e32 v0, v0
	v_min_u32_e32 v0, 32, v0
	v_subrev_nc_u32_e32 v15, 28, v0
	v_sub_nc_u32_e32 v0, 29, v0
	v_cndmask_b32_e64 v10, 0, v15, s0
	v_cndmask_b32_e64 v0, v14, v0, s0
	v_lshlrev_b64 v[20:21], v10, v[18:19]
	v_lshlrev_b32_e32 v10, 24, v18
	v_lshl_add_u32 v0, v0, 23, 0x3c000000
	v_and_b32_e32 v10, 0x80000000, v10
	v_lshlrev_b32_e32 v14, 20, v20
	v_and_b32_e32 v14, 0x700000, v14
	v_or3_b32 v0, v14, v10, v0
.LBB373_829:                            ;   in Loop: Header=BB373_638 Depth=1
	s_or_b32 exec_lo, exec_lo, s24
.LBB373_830:                            ;   in Loop: Header=BB373_638 Depth=1
	s_or_b32 exec_lo, exec_lo, s22
.LBB373_831:                            ;   in Loop: Header=BB373_638 Depth=1
	s_or_b32 exec_lo, exec_lo, s21
	v_cmp_ne_u16_sdwa s0, v18, v11 src0_sel:BYTE_1 src1_sel:DWORD
	s_and_saveexec_b32 s21, s0
	s_cbranch_execz .LBB373_839
; %bb.832:                              ;   in Loop: Header=BB373_638 Depth=1
	v_cmp_ne_u16_sdwa s0, v18, v38 src0_sel:BYTE_1 src1_sel:DWORD
	v_bfrev_b32_e32 v22, 1
	s_and_saveexec_b32 s22, s0
	s_cbranch_execz .LBB373_838
; %bb.833:                              ;   in Loop: Header=BB373_638 Depth=1
	v_and_b32_sdwa v10, v39, v18 dst_sel:DWORD dst_unused:UNUSED_PAD src0_sel:DWORD src1_sel:BYTE_1
	v_mov_b32_e32 v22, 0x7f800001
	s_mov_b32 s24, exec_lo
	v_and_b32_e32 v21, 0x7f, v10
	v_cmpx_ne_u32_e32 0x7f, v21
	s_cbranch_execz .LBB373_837
; %bb.834:                              ;   in Loop: Header=BB373_638 Depth=1
	v_and_b32_e32 v10, 7, v10
	v_lshrrev_b32_e32 v20, 3, v21
	s_mov_b32 s25, exec_lo
	v_cmpx_gt_u32_e32 8, v21
; %bb.835:                              ;   in Loop: Header=BB373_638 Depth=1
	v_ffbh_u32_e32 v14, v10
	v_min_u32_e32 v14, 32, v14
	v_subrev_nc_u32_e32 v15, 28, v14
	v_sub_nc_u32_e32 v20, 29, v14
	v_lshlrev_b64 v[21:22], v15, v[10:11]
	v_and_b32_e32 v10, 7, v21
; %bb.836:                              ;   in Loop: Header=BB373_638 Depth=1
	s_or_b32 exec_lo, exec_lo, s25
	v_lshlrev_b32_e32 v14, 16, v18
	v_lshlrev_b32_e32 v10, 20, v10
	v_lshl_add_u32 v15, v20, 23, 0x3c000000
	v_and_b32_e32 v14, 0x80000000, v14
	v_or3_b32 v22, v10, v14, v15
.LBB373_837:                            ;   in Loop: Header=BB373_638 Depth=1
	s_or_b32 exec_lo, exec_lo, s24
.LBB373_838:                            ;   in Loop: Header=BB373_638 Depth=1
	s_or_b32 exec_lo, exec_lo, s22
.LBB373_839:                            ;   in Loop: Header=BB373_638 Depth=1
	s_or_b32 exec_lo, exec_lo, s21
	v_and_b32_sdwa v10, v18, v40 dst_sel:DWORD dst_unused:UNUSED_PAD src0_sel:WORD_1 src1_sel:DWORD
	v_mov_b32_e32 v78, 0
	v_mov_b32_e32 v23, 0
	s_mov_b32 s21, exec_lo
	v_cmpx_ne_u16_e32 0, v10
	s_cbranch_execz .LBB373_847
; %bb.840:                              ;   in Loop: Header=BB373_638 Depth=1
	v_bfrev_b32_e32 v23, 1
	s_mov_b32 s22, exec_lo
	v_cmpx_ne_u16_e32 0x80, v10
	s_cbranch_execz .LBB373_846
; %bb.841:                              ;   in Loop: Header=BB373_638 Depth=1
	v_bfe_u32 v21, v18, 16, 7
	v_mov_b32_e32 v23, 0x7f800001
	s_mov_b32 s24, exec_lo
	v_cmpx_ne_u32_e32 0x7f, v21
	s_cbranch_execz .LBB373_845
; %bb.842:                              ;   in Loop: Header=BB373_638 Depth=1
	v_and_b32_sdwa v10, v18, v41 dst_sel:DWORD dst_unused:UNUSED_PAD src0_sel:WORD_1 src1_sel:DWORD
	v_lshrrev_b32_e32 v20, 3, v21
	s_mov_b32 s25, exec_lo
	v_cmpx_gt_u32_e32 8, v21
; %bb.843:                              ;   in Loop: Header=BB373_638 Depth=1
	v_ffbh_u32_e32 v14, v10
	v_min_u32_e32 v14, 32, v14
	v_subrev_nc_u32_e32 v15, 28, v14
	v_sub_nc_u32_e32 v20, 29, v14
	v_lshlrev_b64 v[79:80], v15, v[10:11]
	v_and_b32_e32 v10, 7, v79
; %bb.844:                              ;   in Loop: Header=BB373_638 Depth=1
	s_or_b32 exec_lo, exec_lo, s25
	v_lshlrev_b32_sdwa v14, v42, v18 dst_sel:DWORD dst_unused:UNUSED_PAD src0_sel:DWORD src1_sel:WORD_1
	v_lshlrev_b32_e32 v10, 20, v10
	v_lshl_add_u32 v15, v20, 23, 0x3c000000
	v_and_b32_e32 v14, 0x80000000, v14
	v_or3_b32 v23, v10, v14, v15
.LBB373_845:                            ;   in Loop: Header=BB373_638 Depth=1
	s_or_b32 exec_lo, exec_lo, s24
.LBB373_846:                            ;   in Loop: Header=BB373_638 Depth=1
	s_or_b32 exec_lo, exec_lo, s22
.LBB373_847:                            ;   in Loop: Header=BB373_638 Depth=1
	s_or_b32 exec_lo, exec_lo, s21
	s_mov_b32 s21, exec_lo
	v_cmpx_lt_u32_e32 0xffffff, v18
	s_cbranch_execz .LBB373_855
; %bb.848:                              ;   in Loop: Header=BB373_638 Depth=1
	v_cmp_ne_u32_sdwa s0, v18, v38 src0_sel:BYTE_3 src1_sel:DWORD
	v_bfrev_b32_e32 v78, 1
	s_and_saveexec_b32 s22, s0
	s_cbranch_execz .LBB373_854
; %bb.849:                              ;   in Loop: Header=BB373_638 Depth=1
	v_bfe_u32 v21, v18, 24, 7
	v_mov_b32_e32 v78, 0x7f800001
	s_mov_b32 s24, exec_lo
	v_cmpx_ne_u32_e32 0x7f, v21
	s_cbranch_execz .LBB373_853
; %bb.850:                              ;   in Loop: Header=BB373_638 Depth=1
	v_and_b32_sdwa v10, v18, v41 dst_sel:DWORD dst_unused:UNUSED_PAD src0_sel:BYTE_3 src1_sel:DWORD
	v_lshrrev_b32_e32 v20, 3, v21
	s_mov_b32 s25, exec_lo
	v_cmpx_gt_u32_e32 8, v21
; %bb.851:                              ;   in Loop: Header=BB373_638 Depth=1
	v_ffbh_u32_e32 v14, v10
	v_min_u32_e32 v14, 32, v14
	v_subrev_nc_u32_e32 v15, 28, v14
	v_sub_nc_u32_e32 v20, 29, v14
	v_lshlrev_b64 v[78:79], v15, v[10:11]
	v_and_b32_e32 v10, 7, v78
; %bb.852:                              ;   in Loop: Header=BB373_638 Depth=1
	s_or_b32 exec_lo, exec_lo, s25
	v_lshlrev_b32_sdwa v14, v42, v18 dst_sel:DWORD dst_unused:UNUSED_PAD src0_sel:DWORD src1_sel:BYTE_3
	v_lshlrev_b32_e32 v10, 20, v10
	v_lshl_add_u32 v15, v20, 23, 0x3c000000
	v_and_b32_e32 v14, 0x80000000, v14
	v_or3_b32 v78, v10, v14, v15
.LBB373_853:                            ;   in Loop: Header=BB373_638 Depth=1
	s_or_b32 exec_lo, exec_lo, s24
.LBB373_854:                            ;   in Loop: Header=BB373_638 Depth=1
	s_or_b32 exec_lo, exec_lo, s22
.LBB373_855:                            ;   in Loop: Header=BB373_638 Depth=1
	s_or_b32 exec_lo, exec_lo, s21
	v_mov_b32_e32 v10, v19
	v_cmp_ne_u16_sdwa s0, v19, v11 src0_sel:BYTE_0 src1_sel:DWORD
	v_mov_b32_e32 v20, 0
	v_mov_b32_e32 v79, 0
	s_and_saveexec_b32 s21, s0
	s_cbranch_execz .LBB373_861
; %bb.856:                              ;   in Loop: Header=BB373_638 Depth=1
	v_cmp_ne_u16_sdwa s0, v19, v38 src0_sel:BYTE_0 src1_sel:DWORD
	v_bfrev_b32_e32 v79, 1
	s_and_saveexec_b32 s22, s0
	s_cbranch_execz .LBB373_860
; %bb.857:                              ;   in Loop: Header=BB373_638 Depth=1
	v_and_b32_e32 v21, 0x7f, v19
	v_mov_b32_e32 v79, 0x7f800001
	s_mov_b32 s24, exec_lo
	v_cmpx_ne_u32_e32 0x7f, v21
	s_cbranch_execz .LBB373_859
; %bb.858:                              ;   in Loop: Header=BB373_638 Depth=1
	v_and_b32_e32 v14, 7, v19
	v_lshrrev_b32_e32 v15, 3, v21
	v_cmp_gt_u32_e64 s0, 8, v21
	v_ffbh_u32_e32 v14, v14
	v_min_u32_e32 v14, 32, v14
	v_subrev_nc_u32_e32 v79, 28, v14
	v_sub_nc_u32_e32 v14, 29, v14
	v_cndmask_b32_e64 v14, v15, v14, s0
	v_cndmask_b32_e64 v15, 0, v79, s0
	v_lshl_add_u32 v14, v14, 23, 0x3c000000
	v_lshlrev_b64 v[79:80], v15, v[10:11]
	v_lshlrev_b32_e32 v15, 24, v10
	v_and_b32_e32 v15, 0x80000000, v15
	v_lshlrev_b32_e32 v21, 20, v79
	v_and_b32_e32 v21, 0x700000, v21
	v_or3_b32 v79, v21, v15, v14
.LBB373_859:                            ;   in Loop: Header=BB373_638 Depth=1
	s_or_b32 exec_lo, exec_lo, s24
.LBB373_860:                            ;   in Loop: Header=BB373_638 Depth=1
	s_or_b32 exec_lo, exec_lo, s22
.LBB373_861:                            ;   in Loop: Header=BB373_638 Depth=1
	s_or_b32 exec_lo, exec_lo, s21
	v_cmp_ne_u16_sdwa s0, v10, v11 src0_sel:BYTE_1 src1_sel:DWORD
	s_and_saveexec_b32 s21, s0
	s_cbranch_execz .LBB373_869
; %bb.862:                              ;   in Loop: Header=BB373_638 Depth=1
	v_cmp_ne_u16_sdwa s0, v10, v38 src0_sel:BYTE_1 src1_sel:DWORD
	v_bfrev_b32_e32 v20, 1
	s_and_saveexec_b32 s22, s0
	s_cbranch_execz .LBB373_868
; %bb.863:                              ;   in Loop: Header=BB373_638 Depth=1
	v_and_b32_sdwa v21, v39, v10 dst_sel:DWORD dst_unused:UNUSED_PAD src0_sel:DWORD src1_sel:BYTE_1
	v_mov_b32_e32 v20, 0x7f800001
	s_mov_b32 s24, exec_lo
	v_and_b32_e32 v81, 0x7f, v21
	v_cmpx_ne_u32_e32 0x7f, v81
	s_cbranch_execz .LBB373_867
; %bb.864:                              ;   in Loop: Header=BB373_638 Depth=1
	v_and_b32_e32 v20, 7, v21
	v_mov_b32_e32 v21, v11
	v_lshrrev_b32_e32 v80, 3, v81
	s_mov_b32 s25, exec_lo
	v_cmpx_gt_u32_e32 8, v81
; %bb.865:                              ;   in Loop: Header=BB373_638 Depth=1
	v_ffbh_u32_e32 v14, v20
	v_min_u32_e32 v14, 32, v14
	v_subrev_nc_u32_e32 v15, 28, v14
	v_sub_nc_u32_e32 v80, 29, v14
	v_lshlrev_b64 v[20:21], v15, v[20:21]
	v_and_b32_e32 v20, 7, v20
; %bb.866:                              ;   in Loop: Header=BB373_638 Depth=1
	s_or_b32 exec_lo, exec_lo, s25
	v_lshlrev_b32_e32 v10, 16, v10
	v_lshlrev_b32_e32 v14, 20, v20
	v_lshl_add_u32 v15, v80, 23, 0x3c000000
	v_and_b32_e32 v10, 0x80000000, v10
	v_or3_b32 v20, v14, v10, v15
.LBB373_867:                            ;   in Loop: Header=BB373_638 Depth=1
	s_or_b32 exec_lo, exec_lo, s24
.LBB373_868:                            ;   in Loop: Header=BB373_638 Depth=1
	s_or_b32 exec_lo, exec_lo, s22
.LBB373_869:                            ;   in Loop: Header=BB373_638 Depth=1
	s_or_b32 exec_lo, exec_lo, s21
	v_and_b32_sdwa v10, v19, v40 dst_sel:DWORD dst_unused:UNUSED_PAD src0_sel:WORD_1 src1_sel:DWORD
	v_mov_b32_e32 v21, 0
	v_mov_b32_e32 v80, 0
	s_mov_b32 s21, exec_lo
	v_cmpx_ne_u16_e32 0, v10
	s_cbranch_execz .LBB373_877
; %bb.870:                              ;   in Loop: Header=BB373_638 Depth=1
	v_bfrev_b32_e32 v80, 1
	s_mov_b32 s22, exec_lo
	v_cmpx_ne_u16_e32 0x80, v10
	s_cbranch_execz .LBB373_876
; %bb.871:                              ;   in Loop: Header=BB373_638 Depth=1
	v_bfe_u32 v81, v19, 16, 7
	v_mov_b32_e32 v80, 0x7f800001
	s_mov_b32 s24, exec_lo
	v_cmpx_ne_u32_e32 0x7f, v81
	s_cbranch_execz .LBB373_875
; %bb.872:                              ;   in Loop: Header=BB373_638 Depth=1
	v_and_b32_sdwa v10, v19, v41 dst_sel:DWORD dst_unused:UNUSED_PAD src0_sel:WORD_1 src1_sel:DWORD
	v_lshrrev_b32_e32 v80, 3, v81
	s_mov_b32 s25, exec_lo
	v_cmpx_gt_u32_e32 8, v81
; %bb.873:                              ;   in Loop: Header=BB373_638 Depth=1
	v_ffbh_u32_e32 v14, v10
	v_min_u32_e32 v14, 32, v14
	v_subrev_nc_u32_e32 v15, 28, v14
	v_sub_nc_u32_e32 v80, 29, v14
	v_lshlrev_b64 v[81:82], v15, v[10:11]
	v_and_b32_e32 v10, 7, v81
; %bb.874:                              ;   in Loop: Header=BB373_638 Depth=1
	s_or_b32 exec_lo, exec_lo, s25
	v_lshlrev_b32_sdwa v14, v42, v19 dst_sel:DWORD dst_unused:UNUSED_PAD src0_sel:DWORD src1_sel:WORD_1
	v_lshlrev_b32_e32 v10, 20, v10
	v_lshl_add_u32 v15, v80, 23, 0x3c000000
	v_and_b32_e32 v14, 0x80000000, v14
	v_or3_b32 v80, v10, v14, v15
.LBB373_875:                            ;   in Loop: Header=BB373_638 Depth=1
	s_or_b32 exec_lo, exec_lo, s24
.LBB373_876:                            ;   in Loop: Header=BB373_638 Depth=1
	s_or_b32 exec_lo, exec_lo, s22
.LBB373_877:                            ;   in Loop: Header=BB373_638 Depth=1
	s_or_b32 exec_lo, exec_lo, s21
	s_mov_b32 s21, exec_lo
	v_cmpx_lt_u64_e64 s[4:5], v[18:19]
	s_cbranch_execz .LBB373_885
; %bb.878:                              ;   in Loop: Header=BB373_638 Depth=1
	v_cmp_ne_u32_sdwa s0, v19, v38 src0_sel:BYTE_3 src1_sel:DWORD
	v_bfrev_b32_e32 v21, 1
	s_and_saveexec_b32 s22, s0
	s_cbranch_execz .LBB373_884
; %bb.879:                              ;   in Loop: Header=BB373_638 Depth=1
	v_bfe_u32 v81, v19, 24, 7
	v_mov_b32_e32 v21, 0x7f800001
	s_mov_b32 s24, exec_lo
	v_cmpx_ne_u32_e32 0x7f, v81
	s_cbranch_execz .LBB373_883
; %bb.880:                              ;   in Loop: Header=BB373_638 Depth=1
	v_and_b32_sdwa v10, v19, v41 dst_sel:DWORD dst_unused:UNUSED_PAD src0_sel:BYTE_3 src1_sel:DWORD
	v_lshrrev_b32_e32 v18, 3, v81
	s_mov_b32 s25, exec_lo
	v_cmpx_gt_u32_e32 8, v81
; %bb.881:                              ;   in Loop: Header=BB373_638 Depth=1
	v_ffbh_u32_e32 v14, v10
	v_min_u32_e32 v14, 32, v14
	v_subrev_nc_u32_e32 v15, 28, v14
	v_sub_nc_u32_e32 v18, 29, v14
	v_lshlrev_b64 v[81:82], v15, v[10:11]
	v_and_b32_e32 v10, 7, v81
; %bb.882:                              ;   in Loop: Header=BB373_638 Depth=1
	s_or_b32 exec_lo, exec_lo, s25
	v_lshlrev_b32_sdwa v14, v42, v19 dst_sel:DWORD dst_unused:UNUSED_PAD src0_sel:DWORD src1_sel:BYTE_3
	v_lshlrev_b32_e32 v10, 20, v10
	v_lshl_add_u32 v15, v18, 23, 0x3c000000
	v_and_b32_e32 v14, 0x80000000, v14
	v_or3_b32 v21, v10, v14, v15
.LBB373_883:                            ;   in Loop: Header=BB373_638 Depth=1
	s_or_b32 exec_lo, exec_lo, s24
.LBB373_884:                            ;   in Loop: Header=BB373_638 Depth=1
	s_or_b32 exec_lo, exec_lo, s22
.LBB373_885:                            ;   in Loop: Header=BB373_638 Depth=1
	s_or_b32 exec_lo, exec_lo, s21
	v_mul_f32_e32 v10, s18, v20
	v_mul_f32_e32 v14, s18, v79
	;; [unrolled: 1-line block ×5, first 2 shown]
	v_bfe_u32 v19, v10, 16, 1
	v_or_b32_e32 v20, 0x400000, v10
	v_bfe_u32 v23, v14, 16, 1
	v_cmp_u_f32_e64 s0, v10, v10
	v_or_b32_e32 v78, 0x400000, v14
	v_add3_u32 v19, v19, v10, 0x7fff
	v_bfe_u32 v79, v15, 16, 1
	v_add3_u32 v23, v23, v14, 0x7fff
	v_or_b32_e32 v81, 0x400000, v15
	v_bfe_u32 v82, v18, 16, 1
	v_cndmask_b32_e64 v10, v19, v20, s0
	v_cmp_u_f32_e64 s0, v14, v14
	v_add3_u32 v79, v79, v15, 0x7fff
	v_or_b32_e32 v20, 0x400000, v18
	v_add3_u32 v19, v82, v18, 0x7fff
	v_cndmask_b32_e64 v14, v23, v78, s0
	v_cmp_u_f32_e64 s0, v15, v15
	v_lshrrev_b32_e32 v78, 16, v10
	v_mul_f32_e32 v10, s18, v22
	v_cndmask_b32_e64 v15, v79, v81, s0
	v_lshrrev_b32_e32 v79, 16, v14
	v_bfe_u32 v14, v10, 16, 1
	v_cmp_u_f32_e64 s0, v18, v18
	v_mul_f32_e32 v18, s18, v80
	v_lshrrev_b32_e32 v81, 16, v15
	v_add3_u32 v14, v14, v10, 0x7fff
	v_cndmask_b32_e64 v15, v19, v20, s0
	v_or_b32_e32 v19, 0x400000, v10
	v_mul_f32_e32 v20, s18, v21
	v_bfe_u32 v21, v0, 16, 1
	v_cmp_u_f32_e64 s0, v10, v10
	v_bfe_u32 v22, v18, 16, 1
	v_or_b32_e32 v23, 0x400000, v18
	v_or_b32_e32 v80, 0x400000, v20
	v_lshrrev_b32_e32 v83, 16, v15
	v_cndmask_b32_e64 v10, v14, v19, s0
	v_add3_u32 v19, v21, v0, 0x7fff
	v_or_b32_e32 v21, 0x400000, v0
	v_cmp_u_f32_e64 s0, v0, v0
	v_bfe_u32 v14, v20, 16, 1
	v_add3_u32 v22, v22, v18, 0x7fff
	v_lshrrev_b32_e32 v85, 16, v10
	v_cndmask_b32_e64 v0, v19, v21, s0
	v_cmp_u_f32_e64 s0, v18, v18
	v_add3_u32 v14, v14, v20, 0x7fff
	v_lshrrev_b32_e32 v84, 16, v0
	v_cndmask_b32_e64 v18, v22, v23, s0
	v_cmp_u_f32_e64 s0, v20, v20
	v_cndmask_b32_e64 v14, v14, v80, s0
	v_lshrrev_b32_e32 v80, 16, v18
	v_lshrrev_b32_e32 v82, 16, v14
	s_and_saveexec_b32 s21, vcc_lo
	s_cbranch_execz .LBB373_887
; %bb.886:                              ;   in Loop: Header=BB373_638 Depth=1
	v_cmp_gt_i32_e64 s0, s31, v62
	v_cndmask_b32_e64 v84, 0, v84, s0
	v_cmp_gt_i32_e64 s0, s31, v69
	v_cndmask_b32_e64 v85, 0, v85, s0
	;; [unrolled: 2-line block ×8, first 2 shown]
.LBB373_887:                            ;   in Loop: Header=BB373_638 Depth=1
	s_or_b32 exec_lo, exec_lo, s21
	global_load_dwordx2 v[18:19], v[16:17], off offset:1024
	v_mov_b32_e32 v0, 0
	v_mov_b32_e32 v23, 0
	s_waitcnt vmcnt(0)
	v_cmp_ne_u16_sdwa s0, v18, v11 src0_sel:BYTE_0 src1_sel:DWORD
	s_and_saveexec_b32 s21, s0
	s_cbranch_execz .LBB373_893
; %bb.888:                              ;   in Loop: Header=BB373_638 Depth=1
	v_cmp_ne_u16_sdwa s0, v18, v38 src0_sel:BYTE_0 src1_sel:DWORD
	v_bfrev_b32_e32 v23, 1
	s_and_saveexec_b32 s22, s0
	s_cbranch_execz .LBB373_892
; %bb.889:                              ;   in Loop: Header=BB373_638 Depth=1
	v_and_b32_e32 v10, 0x7f, v18
	v_mov_b32_e32 v23, 0x7f800001
	s_mov_b32 s24, exec_lo
	v_cmpx_ne_u32_e32 0x7f, v10
	s_cbranch_execz .LBB373_891
; %bb.890:                              ;   in Loop: Header=BB373_638 Depth=1
	v_and_b32_e32 v14, 7, v18
	v_lshrrev_b32_e32 v15, 3, v10
	v_cmp_gt_u32_e64 s0, 8, v10
	v_ffbh_u32_e32 v14, v14
	v_min_u32_e32 v14, 32, v14
	v_subrev_nc_u32_e32 v20, 28, v14
	v_sub_nc_u32_e32 v14, 29, v14
	v_cndmask_b32_e64 v10, v15, v14, s0
	v_cndmask_b32_e64 v14, 0, v20, s0
	v_lshl_add_u32 v10, v10, 23, 0x3c000000
	v_lshlrev_b64 v[20:21], v14, v[18:19]
	v_lshlrev_b32_e32 v14, 24, v18
	v_and_b32_e32 v14, 0x80000000, v14
	v_lshlrev_b32_e32 v15, 20, v20
	v_and_b32_e32 v15, 0x700000, v15
	v_or3_b32 v23, v15, v14, v10
.LBB373_891:                            ;   in Loop: Header=BB373_638 Depth=1
	s_or_b32 exec_lo, exec_lo, s24
.LBB373_892:                            ;   in Loop: Header=BB373_638 Depth=1
	s_or_b32 exec_lo, exec_lo, s22
.LBB373_893:                            ;   in Loop: Header=BB373_638 Depth=1
	s_or_b32 exec_lo, exec_lo, s21
	v_cmp_ne_u16_sdwa s0, v18, v11 src0_sel:BYTE_1 src1_sel:DWORD
	s_and_saveexec_b32 s21, s0
	s_cbranch_execz .LBB373_901
; %bb.894:                              ;   in Loop: Header=BB373_638 Depth=1
	v_cmp_ne_u16_sdwa s0, v18, v38 src0_sel:BYTE_1 src1_sel:DWORD
	v_bfrev_b32_e32 v0, 1
	s_and_saveexec_b32 s22, s0
	s_cbranch_execz .LBB373_900
; %bb.895:                              ;   in Loop: Header=BB373_638 Depth=1
	v_and_b32_sdwa v10, v39, v18 dst_sel:DWORD dst_unused:UNUSED_PAD src0_sel:DWORD src1_sel:BYTE_1
	v_mov_b32_e32 v0, 0x7f800001
	s_mov_b32 s24, exec_lo
	v_and_b32_e32 v20, 0x7f, v10
	v_cmpx_ne_u32_e32 0x7f, v20
	s_cbranch_execz .LBB373_899
; %bb.896:                              ;   in Loop: Header=BB373_638 Depth=1
	v_and_b32_e32 v10, 7, v10
	v_lshrrev_b32_e32 v0, 3, v20
	s_mov_b32 s25, exec_lo
	v_cmpx_gt_u32_e32 8, v20
; %bb.897:                              ;   in Loop: Header=BB373_638 Depth=1
	v_ffbh_u32_e32 v0, v10
	v_min_u32_e32 v0, 32, v0
	v_subrev_nc_u32_e32 v14, 28, v0
	v_sub_nc_u32_e32 v0, 29, v0
	v_lshlrev_b64 v[20:21], v14, v[10:11]
	v_and_b32_e32 v10, 7, v20
; %bb.898:                              ;   in Loop: Header=BB373_638 Depth=1
	s_or_b32 exec_lo, exec_lo, s25
	v_lshlrev_b32_e32 v14, 16, v18
	v_lshlrev_b32_e32 v10, 20, v10
	v_lshl_add_u32 v0, v0, 23, 0x3c000000
	v_and_b32_e32 v14, 0x80000000, v14
	v_or3_b32 v0, v10, v14, v0
.LBB373_899:                            ;   in Loop: Header=BB373_638 Depth=1
	s_or_b32 exec_lo, exec_lo, s24
.LBB373_900:                            ;   in Loop: Header=BB373_638 Depth=1
	s_or_b32 exec_lo, exec_lo, s22
.LBB373_901:                            ;   in Loop: Header=BB373_638 Depth=1
	s_or_b32 exec_lo, exec_lo, s21
	v_and_b32_sdwa v10, v18, v40 dst_sel:DWORD dst_unused:UNUSED_PAD src0_sel:WORD_1 src1_sel:DWORD
	v_mov_b32_e32 v86, 0
	v_mov_b32_e32 v22, 0
	s_mov_b32 s21, exec_lo
	v_cmpx_ne_u16_e32 0, v10
	s_cbranch_execz .LBB373_909
; %bb.902:                              ;   in Loop: Header=BB373_638 Depth=1
	v_bfrev_b32_e32 v22, 1
	s_mov_b32 s22, exec_lo
	v_cmpx_ne_u16_e32 0x80, v10
	s_cbranch_execz .LBB373_908
; %bb.903:                              ;   in Loop: Header=BB373_638 Depth=1
	v_bfe_u32 v21, v18, 16, 7
	v_mov_b32_e32 v22, 0x7f800001
	s_mov_b32 s24, exec_lo
	v_cmpx_ne_u32_e32 0x7f, v21
	s_cbranch_execz .LBB373_907
; %bb.904:                              ;   in Loop: Header=BB373_638 Depth=1
	v_and_b32_sdwa v10, v18, v41 dst_sel:DWORD dst_unused:UNUSED_PAD src0_sel:WORD_1 src1_sel:DWORD
	v_lshrrev_b32_e32 v20, 3, v21
	s_mov_b32 s25, exec_lo
	v_cmpx_gt_u32_e32 8, v21
; %bb.905:                              ;   in Loop: Header=BB373_638 Depth=1
	v_ffbh_u32_e32 v14, v10
	v_min_u32_e32 v14, 32, v14
	v_subrev_nc_u32_e32 v15, 28, v14
	v_sub_nc_u32_e32 v20, 29, v14
	v_lshlrev_b64 v[21:22], v15, v[10:11]
	v_and_b32_e32 v10, 7, v21
; %bb.906:                              ;   in Loop: Header=BB373_638 Depth=1
	s_or_b32 exec_lo, exec_lo, s25
	v_lshlrev_b32_sdwa v14, v42, v18 dst_sel:DWORD dst_unused:UNUSED_PAD src0_sel:DWORD src1_sel:WORD_1
	v_lshlrev_b32_e32 v10, 20, v10
	v_lshl_add_u32 v15, v20, 23, 0x3c000000
	v_and_b32_e32 v14, 0x80000000, v14
	v_or3_b32 v22, v10, v14, v15
.LBB373_907:                            ;   in Loop: Header=BB373_638 Depth=1
	s_or_b32 exec_lo, exec_lo, s24
.LBB373_908:                            ;   in Loop: Header=BB373_638 Depth=1
	s_or_b32 exec_lo, exec_lo, s22
.LBB373_909:                            ;   in Loop: Header=BB373_638 Depth=1
	s_or_b32 exec_lo, exec_lo, s21
	s_mov_b32 s21, exec_lo
	v_cmpx_lt_u32_e32 0xffffff, v18
	s_cbranch_execz .LBB373_917
; %bb.910:                              ;   in Loop: Header=BB373_638 Depth=1
	v_cmp_ne_u32_sdwa s0, v18, v38 src0_sel:BYTE_3 src1_sel:DWORD
	v_bfrev_b32_e32 v86, 1
	s_and_saveexec_b32 s22, s0
	s_cbranch_execz .LBB373_916
; %bb.911:                              ;   in Loop: Header=BB373_638 Depth=1
	v_bfe_u32 v21, v18, 24, 7
	v_mov_b32_e32 v86, 0x7f800001
	s_mov_b32 s24, exec_lo
	v_cmpx_ne_u32_e32 0x7f, v21
	s_cbranch_execz .LBB373_915
; %bb.912:                              ;   in Loop: Header=BB373_638 Depth=1
	v_and_b32_sdwa v10, v18, v41 dst_sel:DWORD dst_unused:UNUSED_PAD src0_sel:BYTE_3 src1_sel:DWORD
	v_lshrrev_b32_e32 v20, 3, v21
	s_mov_b32 s25, exec_lo
	v_cmpx_gt_u32_e32 8, v21
; %bb.913:                              ;   in Loop: Header=BB373_638 Depth=1
	v_ffbh_u32_e32 v14, v10
	v_min_u32_e32 v14, 32, v14
	v_subrev_nc_u32_e32 v15, 28, v14
	v_sub_nc_u32_e32 v20, 29, v14
	v_lshlrev_b64 v[86:87], v15, v[10:11]
	v_and_b32_e32 v10, 7, v86
; %bb.914:                              ;   in Loop: Header=BB373_638 Depth=1
	s_or_b32 exec_lo, exec_lo, s25
	v_lshlrev_b32_sdwa v14, v42, v18 dst_sel:DWORD dst_unused:UNUSED_PAD src0_sel:DWORD src1_sel:BYTE_3
	v_lshlrev_b32_e32 v10, 20, v10
	v_lshl_add_u32 v15, v20, 23, 0x3c000000
	v_and_b32_e32 v14, 0x80000000, v14
	v_or3_b32 v86, v10, v14, v15
.LBB373_915:                            ;   in Loop: Header=BB373_638 Depth=1
	s_or_b32 exec_lo, exec_lo, s24
.LBB373_916:                            ;   in Loop: Header=BB373_638 Depth=1
	s_or_b32 exec_lo, exec_lo, s22
.LBB373_917:                            ;   in Loop: Header=BB373_638 Depth=1
	s_or_b32 exec_lo, exec_lo, s21
	v_mov_b32_e32 v10, v19
	v_cmp_ne_u16_sdwa s0, v19, v11 src0_sel:BYTE_0 src1_sel:DWORD
	v_mov_b32_e32 v20, 0
	v_mov_b32_e32 v87, 0
	s_and_saveexec_b32 s21, s0
	s_cbranch_execz .LBB373_923
; %bb.918:                              ;   in Loop: Header=BB373_638 Depth=1
	v_cmp_ne_u16_sdwa s0, v19, v38 src0_sel:BYTE_0 src1_sel:DWORD
	v_bfrev_b32_e32 v87, 1
	s_and_saveexec_b32 s22, s0
	s_cbranch_execz .LBB373_922
; %bb.919:                              ;   in Loop: Header=BB373_638 Depth=1
	v_and_b32_e32 v21, 0x7f, v19
	v_mov_b32_e32 v87, 0x7f800001
	s_mov_b32 s24, exec_lo
	v_cmpx_ne_u32_e32 0x7f, v21
	s_cbranch_execz .LBB373_921
; %bb.920:                              ;   in Loop: Header=BB373_638 Depth=1
	v_and_b32_e32 v14, 7, v19
	v_lshrrev_b32_e32 v15, 3, v21
	v_cmp_gt_u32_e64 s0, 8, v21
	v_ffbh_u32_e32 v14, v14
	v_min_u32_e32 v14, 32, v14
	v_subrev_nc_u32_e32 v87, 28, v14
	v_sub_nc_u32_e32 v14, 29, v14
	v_cndmask_b32_e64 v14, v15, v14, s0
	v_cndmask_b32_e64 v15, 0, v87, s0
	v_lshl_add_u32 v14, v14, 23, 0x3c000000
	v_lshlrev_b64 v[87:88], v15, v[10:11]
	v_lshlrev_b32_e32 v15, 24, v10
	v_and_b32_e32 v15, 0x80000000, v15
	v_lshlrev_b32_e32 v21, 20, v87
	v_and_b32_e32 v21, 0x700000, v21
	v_or3_b32 v87, v21, v15, v14
.LBB373_921:                            ;   in Loop: Header=BB373_638 Depth=1
	s_or_b32 exec_lo, exec_lo, s24
.LBB373_922:                            ;   in Loop: Header=BB373_638 Depth=1
	s_or_b32 exec_lo, exec_lo, s22
.LBB373_923:                            ;   in Loop: Header=BB373_638 Depth=1
	s_or_b32 exec_lo, exec_lo, s21
	v_cmp_ne_u16_sdwa s0, v10, v11 src0_sel:BYTE_1 src1_sel:DWORD
	s_and_saveexec_b32 s21, s0
	s_cbranch_execz .LBB373_931
; %bb.924:                              ;   in Loop: Header=BB373_638 Depth=1
	v_cmp_ne_u16_sdwa s0, v10, v38 src0_sel:BYTE_1 src1_sel:DWORD
	v_bfrev_b32_e32 v20, 1
	s_and_saveexec_b32 s22, s0
	s_cbranch_execz .LBB373_930
; %bb.925:                              ;   in Loop: Header=BB373_638 Depth=1
	v_and_b32_sdwa v21, v39, v10 dst_sel:DWORD dst_unused:UNUSED_PAD src0_sel:DWORD src1_sel:BYTE_1
	v_mov_b32_e32 v20, 0x7f800001
	s_mov_b32 s24, exec_lo
	v_and_b32_e32 v89, 0x7f, v21
	v_cmpx_ne_u32_e32 0x7f, v89
	s_cbranch_execz .LBB373_929
; %bb.926:                              ;   in Loop: Header=BB373_638 Depth=1
	v_and_b32_e32 v20, 7, v21
	v_mov_b32_e32 v21, v11
	v_lshrrev_b32_e32 v88, 3, v89
	s_mov_b32 s25, exec_lo
	v_cmpx_gt_u32_e32 8, v89
; %bb.927:                              ;   in Loop: Header=BB373_638 Depth=1
	v_ffbh_u32_e32 v14, v20
	v_min_u32_e32 v14, 32, v14
	v_subrev_nc_u32_e32 v15, 28, v14
	v_sub_nc_u32_e32 v88, 29, v14
	v_lshlrev_b64 v[20:21], v15, v[20:21]
	v_and_b32_e32 v20, 7, v20
; %bb.928:                              ;   in Loop: Header=BB373_638 Depth=1
	s_or_b32 exec_lo, exec_lo, s25
	v_lshlrev_b32_e32 v10, 16, v10
	v_lshlrev_b32_e32 v14, 20, v20
	v_lshl_add_u32 v15, v88, 23, 0x3c000000
	v_and_b32_e32 v10, 0x80000000, v10
	v_or3_b32 v20, v14, v10, v15
.LBB373_929:                            ;   in Loop: Header=BB373_638 Depth=1
	s_or_b32 exec_lo, exec_lo, s24
.LBB373_930:                            ;   in Loop: Header=BB373_638 Depth=1
	s_or_b32 exec_lo, exec_lo, s22
.LBB373_931:                            ;   in Loop: Header=BB373_638 Depth=1
	s_or_b32 exec_lo, exec_lo, s21
	v_and_b32_sdwa v10, v19, v40 dst_sel:DWORD dst_unused:UNUSED_PAD src0_sel:WORD_1 src1_sel:DWORD
	v_mov_b32_e32 v21, 0
	v_mov_b32_e32 v88, 0
	s_mov_b32 s21, exec_lo
	v_cmpx_ne_u16_e32 0, v10
	s_cbranch_execz .LBB373_939
; %bb.932:                              ;   in Loop: Header=BB373_638 Depth=1
	v_bfrev_b32_e32 v88, 1
	s_mov_b32 s22, exec_lo
	v_cmpx_ne_u16_e32 0x80, v10
	s_cbranch_execz .LBB373_938
; %bb.933:                              ;   in Loop: Header=BB373_638 Depth=1
	v_bfe_u32 v89, v19, 16, 7
	v_mov_b32_e32 v88, 0x7f800001
	s_mov_b32 s24, exec_lo
	v_cmpx_ne_u32_e32 0x7f, v89
	s_cbranch_execz .LBB373_937
; %bb.934:                              ;   in Loop: Header=BB373_638 Depth=1
	v_and_b32_sdwa v10, v19, v41 dst_sel:DWORD dst_unused:UNUSED_PAD src0_sel:WORD_1 src1_sel:DWORD
	v_lshrrev_b32_e32 v88, 3, v89
	s_mov_b32 s25, exec_lo
	v_cmpx_gt_u32_e32 8, v89
; %bb.935:                              ;   in Loop: Header=BB373_638 Depth=1
	v_ffbh_u32_e32 v14, v10
	v_min_u32_e32 v14, 32, v14
	v_subrev_nc_u32_e32 v15, 28, v14
	v_sub_nc_u32_e32 v88, 29, v14
	v_lshlrev_b64 v[89:90], v15, v[10:11]
	v_and_b32_e32 v10, 7, v89
; %bb.936:                              ;   in Loop: Header=BB373_638 Depth=1
	s_or_b32 exec_lo, exec_lo, s25
	v_lshlrev_b32_sdwa v14, v42, v19 dst_sel:DWORD dst_unused:UNUSED_PAD src0_sel:DWORD src1_sel:WORD_1
	v_lshlrev_b32_e32 v10, 20, v10
	v_lshl_add_u32 v15, v88, 23, 0x3c000000
	v_and_b32_e32 v14, 0x80000000, v14
	v_or3_b32 v88, v10, v14, v15
.LBB373_937:                            ;   in Loop: Header=BB373_638 Depth=1
	s_or_b32 exec_lo, exec_lo, s24
.LBB373_938:                            ;   in Loop: Header=BB373_638 Depth=1
	s_or_b32 exec_lo, exec_lo, s22
.LBB373_939:                            ;   in Loop: Header=BB373_638 Depth=1
	s_or_b32 exec_lo, exec_lo, s21
	s_mov_b32 s21, exec_lo
	v_cmpx_lt_u64_e64 s[4:5], v[18:19]
	s_cbranch_execz .LBB373_947
; %bb.940:                              ;   in Loop: Header=BB373_638 Depth=1
	v_cmp_ne_u32_sdwa s0, v19, v38 src0_sel:BYTE_3 src1_sel:DWORD
	v_bfrev_b32_e32 v21, 1
	s_and_saveexec_b32 s22, s0
	s_cbranch_execz .LBB373_946
; %bb.941:                              ;   in Loop: Header=BB373_638 Depth=1
	v_bfe_u32 v89, v19, 24, 7
	v_mov_b32_e32 v21, 0x7f800001
	s_mov_b32 s24, exec_lo
	v_cmpx_ne_u32_e32 0x7f, v89
	s_cbranch_execz .LBB373_945
; %bb.942:                              ;   in Loop: Header=BB373_638 Depth=1
	v_and_b32_sdwa v10, v19, v41 dst_sel:DWORD dst_unused:UNUSED_PAD src0_sel:BYTE_3 src1_sel:DWORD
	v_lshrrev_b32_e32 v18, 3, v89
	s_mov_b32 s25, exec_lo
	v_cmpx_gt_u32_e32 8, v89
; %bb.943:                              ;   in Loop: Header=BB373_638 Depth=1
	v_ffbh_u32_e32 v14, v10
	v_min_u32_e32 v14, 32, v14
	v_subrev_nc_u32_e32 v15, 28, v14
	v_sub_nc_u32_e32 v18, 29, v14
	v_lshlrev_b64 v[89:90], v15, v[10:11]
	v_and_b32_e32 v10, 7, v89
; %bb.944:                              ;   in Loop: Header=BB373_638 Depth=1
	s_or_b32 exec_lo, exec_lo, s25
	v_lshlrev_b32_sdwa v14, v42, v19 dst_sel:DWORD dst_unused:UNUSED_PAD src0_sel:DWORD src1_sel:BYTE_3
	v_lshlrev_b32_e32 v10, 20, v10
	v_lshl_add_u32 v15, v18, 23, 0x3c000000
	v_and_b32_e32 v14, 0x80000000, v14
	v_or3_b32 v21, v10, v14, v15
.LBB373_945:                            ;   in Loop: Header=BB373_638 Depth=1
	s_or_b32 exec_lo, exec_lo, s24
.LBB373_946:                            ;   in Loop: Header=BB373_638 Depth=1
	s_or_b32 exec_lo, exec_lo, s22
.LBB373_947:                            ;   in Loop: Header=BB373_638 Depth=1
	s_or_b32 exec_lo, exec_lo, s21
	v_mul_f32_e32 v10, s18, v20
	v_mul_f32_e32 v14, s18, v87
	v_mul_f32_e32 v15, s18, v86
	v_mul_f32_e32 v18, s18, v22
	v_mul_f32_e32 v21, s18, v21
	v_bfe_u32 v19, v10, 16, 1
	v_or_b32_e32 v20, 0x400000, v10
	v_bfe_u32 v22, v14, 16, 1
	v_cmp_u_f32_e64 s0, v10, v10
	v_or_b32_e32 v86, 0x400000, v14
	v_add3_u32 v19, v19, v10, 0x7fff
	v_bfe_u32 v87, v15, 16, 1
	v_add3_u32 v22, v22, v14, 0x7fff
	v_or_b32_e32 v89, 0x400000, v15
	v_bfe_u32 v90, v18, 16, 1
	v_cndmask_b32_e64 v10, v19, v20, s0
	v_cmp_u_f32_e64 s0, v14, v14
	v_add3_u32 v87, v87, v15, 0x7fff
	v_or_b32_e32 v20, 0x400000, v18
	v_add3_u32 v19, v90, v18, 0x7fff
	v_cndmask_b32_e64 v14, v22, v86, s0
	v_cmp_u_f32_e64 s0, v15, v15
	v_lshrrev_b32_e32 v22, 16, v10
	v_mul_f32_e32 v10, s18, v0
	v_lshrrev_b32_e32 v0, 16, v14
	v_cndmask_b32_e64 v15, v87, v89, s0
	v_cmp_u_f32_e64 s0, v18, v18
	v_bfe_u32 v14, v10, 16, 1
	v_mul_f32_e32 v18, s18, v23
	v_or_b32_e32 v89, 0x400000, v21
	v_lshrrev_b32_e32 v86, 16, v15
	v_cndmask_b32_e64 v15, v19, v20, s0
	v_mul_f32_e32 v19, s18, v88
	v_add3_u32 v14, v14, v10, 0x7fff
	v_or_b32_e32 v20, 0x400000, v10
	v_bfe_u32 v23, v18, 16, 1
	v_cmp_u_f32_e64 s0, v10, v10
	v_bfe_u32 v87, v19, 16, 1
	v_or_b32_e32 v88, 0x400000, v19
	v_cndmask_b32_e64 v10, v14, v20, s0
	v_add3_u32 v20, v23, v18, 0x7fff
	v_or_b32_e32 v23, 0x400000, v18
	v_cmp_u_f32_e64 s0, v18, v18
	v_bfe_u32 v14, v21, 16, 1
	v_add3_u32 v87, v87, v19, 0x7fff
	v_lshrrev_b32_e32 v90, 16, v10
	v_cndmask_b32_e64 v18, v20, v23, s0
	v_cmp_u_f32_e64 s0, v19, v19
	v_add3_u32 v14, v14, v21, 0x7fff
	v_cndmask_b32_e64 v19, v87, v88, s0
	v_cmp_u_f32_e64 s0, v21, v21
	v_lshrrev_b32_e32 v88, 16, v15
	v_lshrrev_b32_e32 v23, 16, v19
	v_cndmask_b32_e64 v14, v14, v89, s0
	v_lshrrev_b32_e32 v89, 16, v18
	v_lshrrev_b32_e32 v87, 16, v14
	s_and_saveexec_b32 s21, vcc_lo
	s_cbranch_execz .LBB373_949
; %bb.948:                              ;   in Loop: Header=BB373_638 Depth=1
	v_cmp_gt_i32_e64 s0, s31, v62
	v_cndmask_b32_e64 v89, 0, v89, s0
	v_cmp_gt_i32_e64 s0, s31, v69
	v_cndmask_b32_e64 v90, 0, v90, s0
	v_cmp_gt_i32_e64 s0, s31, v68
	v_cndmask_b32_e64 v88, 0, v88, s0
	v_cmp_gt_i32_e64 s0, s31, v67
	v_cndmask_b32_e64 v86, 0, v86, s0
	v_cmp_gt_i32_e64 s0, s31, v66
	v_cndmask_b32_e64 v0, 0, v0, s0
	v_cmp_gt_i32_e64 s0, s31, v65
	v_cndmask_b32_e64 v22, 0, v22, s0
	v_cmp_gt_i32_e64 s0, s31, v64
	v_cndmask_b32_e64 v23, 0, v23, s0
	v_cmp_gt_i32_e64 s0, s31, v63
	v_cndmask_b32_e64 v87, 0, v87, s0
.LBB373_949:                            ;   in Loop: Header=BB373_638 Depth=1
	s_or_b32 exec_lo, exec_lo, s21
	global_load_dwordx2 v[18:19], v[16:17], off offset:1280
	v_mov_b32_e32 v92, 0
	v_mov_b32_e32 v93, 0
	s_waitcnt vmcnt(0)
	v_cmp_ne_u16_sdwa s0, v18, v11 src0_sel:BYTE_0 src1_sel:DWORD
	s_and_saveexec_b32 s21, s0
	s_cbranch_execz .LBB373_955
; %bb.950:                              ;   in Loop: Header=BB373_638 Depth=1
	v_cmp_ne_u16_sdwa s0, v18, v38 src0_sel:BYTE_0 src1_sel:DWORD
	v_bfrev_b32_e32 v93, 1
	s_and_saveexec_b32 s22, s0
	s_cbranch_execz .LBB373_954
; %bb.951:                              ;   in Loop: Header=BB373_638 Depth=1
	v_and_b32_e32 v10, 0x7f, v18
	v_mov_b32_e32 v93, 0x7f800001
	s_mov_b32 s24, exec_lo
	v_cmpx_ne_u32_e32 0x7f, v10
	s_cbranch_execz .LBB373_953
; %bb.952:                              ;   in Loop: Header=BB373_638 Depth=1
	v_and_b32_e32 v14, 7, v18
	v_lshrrev_b32_e32 v15, 3, v10
	v_cmp_gt_u32_e64 s0, 8, v10
	v_ffbh_u32_e32 v14, v14
	v_min_u32_e32 v14, 32, v14
	v_subrev_nc_u32_e32 v20, 28, v14
	v_sub_nc_u32_e32 v14, 29, v14
	v_cndmask_b32_e64 v10, v15, v14, s0
	v_cndmask_b32_e64 v14, 0, v20, s0
	v_lshl_add_u32 v10, v10, 23, 0x3c000000
	v_lshlrev_b64 v[20:21], v14, v[18:19]
	v_lshlrev_b32_e32 v14, 24, v18
	v_and_b32_e32 v14, 0x80000000, v14
	v_lshlrev_b32_e32 v15, 20, v20
	v_and_b32_e32 v15, 0x700000, v15
	v_or3_b32 v93, v15, v14, v10
.LBB373_953:                            ;   in Loop: Header=BB373_638 Depth=1
	s_or_b32 exec_lo, exec_lo, s24
.LBB373_954:                            ;   in Loop: Header=BB373_638 Depth=1
	s_or_b32 exec_lo, exec_lo, s22
.LBB373_955:                            ;   in Loop: Header=BB373_638 Depth=1
	s_or_b32 exec_lo, exec_lo, s21
	v_cmp_ne_u16_sdwa s0, v18, v11 src0_sel:BYTE_1 src1_sel:DWORD
	s_and_saveexec_b32 s21, s0
	s_cbranch_execz .LBB373_963
; %bb.956:                              ;   in Loop: Header=BB373_638 Depth=1
	v_cmp_ne_u16_sdwa s0, v18, v38 src0_sel:BYTE_1 src1_sel:DWORD
	v_bfrev_b32_e32 v92, 1
	s_and_saveexec_b32 s22, s0
	s_cbranch_execz .LBB373_962
; %bb.957:                              ;   in Loop: Header=BB373_638 Depth=1
	v_and_b32_sdwa v10, v39, v18 dst_sel:DWORD dst_unused:UNUSED_PAD src0_sel:DWORD src1_sel:BYTE_1
	v_mov_b32_e32 v92, 0x7f800001
	s_mov_b32 s24, exec_lo
	v_and_b32_e32 v21, 0x7f, v10
	v_cmpx_ne_u32_e32 0x7f, v21
	s_cbranch_execz .LBB373_961
; %bb.958:                              ;   in Loop: Header=BB373_638 Depth=1
	v_and_b32_e32 v10, 7, v10
	v_lshrrev_b32_e32 v20, 3, v21
	s_mov_b32 s25, exec_lo
	v_cmpx_gt_u32_e32 8, v21
; %bb.959:                              ;   in Loop: Header=BB373_638 Depth=1
	v_ffbh_u32_e32 v14, v10
	v_min_u32_e32 v14, 32, v14
	v_subrev_nc_u32_e32 v15, 28, v14
	v_sub_nc_u32_e32 v20, 29, v14
	v_lshlrev_b64 v[91:92], v15, v[10:11]
	v_and_b32_e32 v10, 7, v91
; %bb.960:                              ;   in Loop: Header=BB373_638 Depth=1
	s_or_b32 exec_lo, exec_lo, s25
	v_lshlrev_b32_e32 v14, 16, v18
	v_lshlrev_b32_e32 v10, 20, v10
	v_lshl_add_u32 v15, v20, 23, 0x3c000000
	v_and_b32_e32 v14, 0x80000000, v14
	v_or3_b32 v92, v10, v14, v15
.LBB373_961:                            ;   in Loop: Header=BB373_638 Depth=1
	s_or_b32 exec_lo, exec_lo, s24
.LBB373_962:                            ;   in Loop: Header=BB373_638 Depth=1
	s_or_b32 exec_lo, exec_lo, s22
.LBB373_963:                            ;   in Loop: Header=BB373_638 Depth=1
	s_or_b32 exec_lo, exec_lo, s21
	v_and_b32_sdwa v10, v18, v40 dst_sel:DWORD dst_unused:UNUSED_PAD src0_sel:WORD_1 src1_sel:DWORD
	v_mov_b32_e32 v94, 0
	v_mov_b32_e32 v91, 0
	s_mov_b32 s21, exec_lo
	v_cmpx_ne_u16_e32 0, v10
	s_cbranch_execz .LBB373_971
; %bb.964:                              ;   in Loop: Header=BB373_638 Depth=1
	v_bfrev_b32_e32 v91, 1
	s_mov_b32 s22, exec_lo
	v_cmpx_ne_u16_e32 0x80, v10
	s_cbranch_execz .LBB373_970
; %bb.965:                              ;   in Loop: Header=BB373_638 Depth=1
	v_bfe_u32 v21, v18, 16, 7
	v_mov_b32_e32 v91, 0x7f800001
	s_mov_b32 s24, exec_lo
	v_cmpx_ne_u32_e32 0x7f, v21
	s_cbranch_execz .LBB373_969
; %bb.966:                              ;   in Loop: Header=BB373_638 Depth=1
	v_and_b32_sdwa v10, v18, v41 dst_sel:DWORD dst_unused:UNUSED_PAD src0_sel:WORD_1 src1_sel:DWORD
	v_lshrrev_b32_e32 v20, 3, v21
	s_mov_b32 s25, exec_lo
	v_cmpx_gt_u32_e32 8, v21
; %bb.967:                              ;   in Loop: Header=BB373_638 Depth=1
	v_ffbh_u32_e32 v14, v10
	v_min_u32_e32 v14, 32, v14
	v_subrev_nc_u32_e32 v15, 28, v14
	v_sub_nc_u32_e32 v20, 29, v14
	v_lshlrev_b64 v[95:96], v15, v[10:11]
	v_and_b32_e32 v10, 7, v95
; %bb.968:                              ;   in Loop: Header=BB373_638 Depth=1
	s_or_b32 exec_lo, exec_lo, s25
	v_lshlrev_b32_sdwa v14, v42, v18 dst_sel:DWORD dst_unused:UNUSED_PAD src0_sel:DWORD src1_sel:WORD_1
	v_lshlrev_b32_e32 v10, 20, v10
	v_lshl_add_u32 v15, v20, 23, 0x3c000000
	v_and_b32_e32 v14, 0x80000000, v14
	v_or3_b32 v91, v10, v14, v15
.LBB373_969:                            ;   in Loop: Header=BB373_638 Depth=1
	s_or_b32 exec_lo, exec_lo, s24
.LBB373_970:                            ;   in Loop: Header=BB373_638 Depth=1
	s_or_b32 exec_lo, exec_lo, s22
.LBB373_971:                            ;   in Loop: Header=BB373_638 Depth=1
	s_or_b32 exec_lo, exec_lo, s21
	s_mov_b32 s21, exec_lo
	v_cmpx_lt_u32_e32 0xffffff, v18
	s_cbranch_execz .LBB373_979
; %bb.972:                              ;   in Loop: Header=BB373_638 Depth=1
	v_cmp_ne_u32_sdwa s0, v18, v38 src0_sel:BYTE_3 src1_sel:DWORD
	v_bfrev_b32_e32 v94, 1
	s_and_saveexec_b32 s22, s0
	s_cbranch_execz .LBB373_978
; %bb.973:                              ;   in Loop: Header=BB373_638 Depth=1
	v_bfe_u32 v21, v18, 24, 7
	v_mov_b32_e32 v94, 0x7f800001
	s_mov_b32 s24, exec_lo
	v_cmpx_ne_u32_e32 0x7f, v21
	s_cbranch_execz .LBB373_977
; %bb.974:                              ;   in Loop: Header=BB373_638 Depth=1
	v_and_b32_sdwa v10, v18, v41 dst_sel:DWORD dst_unused:UNUSED_PAD src0_sel:BYTE_3 src1_sel:DWORD
	v_lshrrev_b32_e32 v20, 3, v21
	s_mov_b32 s25, exec_lo
	v_cmpx_gt_u32_e32 8, v21
; %bb.975:                              ;   in Loop: Header=BB373_638 Depth=1
	v_ffbh_u32_e32 v14, v10
	v_min_u32_e32 v14, 32, v14
	v_subrev_nc_u32_e32 v15, 28, v14
	v_sub_nc_u32_e32 v20, 29, v14
	v_lshlrev_b64 v[94:95], v15, v[10:11]
	v_and_b32_e32 v10, 7, v94
; %bb.976:                              ;   in Loop: Header=BB373_638 Depth=1
	s_or_b32 exec_lo, exec_lo, s25
	v_lshlrev_b32_sdwa v14, v42, v18 dst_sel:DWORD dst_unused:UNUSED_PAD src0_sel:DWORD src1_sel:BYTE_3
	v_lshlrev_b32_e32 v10, 20, v10
	v_lshl_add_u32 v15, v20, 23, 0x3c000000
	v_and_b32_e32 v14, 0x80000000, v14
	v_or3_b32 v94, v10, v14, v15
.LBB373_977:                            ;   in Loop: Header=BB373_638 Depth=1
	s_or_b32 exec_lo, exec_lo, s24
.LBB373_978:                            ;   in Loop: Header=BB373_638 Depth=1
	s_or_b32 exec_lo, exec_lo, s22
.LBB373_979:                            ;   in Loop: Header=BB373_638 Depth=1
	s_or_b32 exec_lo, exec_lo, s21
	v_mov_b32_e32 v10, v19
	v_cmp_ne_u16_sdwa s0, v19, v11 src0_sel:BYTE_0 src1_sel:DWORD
	v_mov_b32_e32 v20, 0
	v_mov_b32_e32 v95, 0
	s_and_saveexec_b32 s21, s0
	s_cbranch_execz .LBB373_985
; %bb.980:                              ;   in Loop: Header=BB373_638 Depth=1
	v_cmp_ne_u16_sdwa s0, v19, v38 src0_sel:BYTE_0 src1_sel:DWORD
	v_bfrev_b32_e32 v95, 1
	s_and_saveexec_b32 s22, s0
	s_cbranch_execz .LBB373_984
; %bb.981:                              ;   in Loop: Header=BB373_638 Depth=1
	v_and_b32_e32 v21, 0x7f, v19
	v_mov_b32_e32 v95, 0x7f800001
	s_mov_b32 s24, exec_lo
	v_cmpx_ne_u32_e32 0x7f, v21
	s_cbranch_execz .LBB373_983
; %bb.982:                              ;   in Loop: Header=BB373_638 Depth=1
	v_and_b32_e32 v14, 7, v19
	v_lshrrev_b32_e32 v15, 3, v21
	v_cmp_gt_u32_e64 s0, 8, v21
	v_ffbh_u32_e32 v14, v14
	v_min_u32_e32 v14, 32, v14
	v_subrev_nc_u32_e32 v95, 28, v14
	v_sub_nc_u32_e32 v14, 29, v14
	v_cndmask_b32_e64 v14, v15, v14, s0
	v_cndmask_b32_e64 v15, 0, v95, s0
	v_lshl_add_u32 v14, v14, 23, 0x3c000000
	v_lshlrev_b64 v[95:96], v15, v[10:11]
	v_lshlrev_b32_e32 v15, 24, v10
	v_and_b32_e32 v15, 0x80000000, v15
	v_lshlrev_b32_e32 v21, 20, v95
	v_and_b32_e32 v21, 0x700000, v21
	v_or3_b32 v95, v21, v15, v14
.LBB373_983:                            ;   in Loop: Header=BB373_638 Depth=1
	s_or_b32 exec_lo, exec_lo, s24
.LBB373_984:                            ;   in Loop: Header=BB373_638 Depth=1
	s_or_b32 exec_lo, exec_lo, s22
.LBB373_985:                            ;   in Loop: Header=BB373_638 Depth=1
	s_or_b32 exec_lo, exec_lo, s21
	v_cmp_ne_u16_sdwa s0, v10, v11 src0_sel:BYTE_1 src1_sel:DWORD
	s_and_saveexec_b32 s21, s0
	s_cbranch_execz .LBB373_993
; %bb.986:                              ;   in Loop: Header=BB373_638 Depth=1
	v_cmp_ne_u16_sdwa s0, v10, v38 src0_sel:BYTE_1 src1_sel:DWORD
	v_bfrev_b32_e32 v20, 1
	s_and_saveexec_b32 s22, s0
	s_cbranch_execz .LBB373_992
; %bb.987:                              ;   in Loop: Header=BB373_638 Depth=1
	v_and_b32_sdwa v21, v39, v10 dst_sel:DWORD dst_unused:UNUSED_PAD src0_sel:DWORD src1_sel:BYTE_1
	v_mov_b32_e32 v20, 0x7f800001
	s_mov_b32 s24, exec_lo
	v_and_b32_e32 v97, 0x7f, v21
	v_cmpx_ne_u32_e32 0x7f, v97
	s_cbranch_execz .LBB373_991
; %bb.988:                              ;   in Loop: Header=BB373_638 Depth=1
	v_and_b32_e32 v20, 7, v21
	v_mov_b32_e32 v21, v11
	v_lshrrev_b32_e32 v96, 3, v97
	s_mov_b32 s25, exec_lo
	v_cmpx_gt_u32_e32 8, v97
; %bb.989:                              ;   in Loop: Header=BB373_638 Depth=1
	v_ffbh_u32_e32 v14, v20
	v_min_u32_e32 v14, 32, v14
	v_subrev_nc_u32_e32 v15, 28, v14
	v_sub_nc_u32_e32 v96, 29, v14
	v_lshlrev_b64 v[20:21], v15, v[20:21]
	v_and_b32_e32 v20, 7, v20
; %bb.990:                              ;   in Loop: Header=BB373_638 Depth=1
	s_or_b32 exec_lo, exec_lo, s25
	v_lshlrev_b32_e32 v10, 16, v10
	v_lshlrev_b32_e32 v14, 20, v20
	v_lshl_add_u32 v15, v96, 23, 0x3c000000
	v_and_b32_e32 v10, 0x80000000, v10
	v_or3_b32 v20, v14, v10, v15
.LBB373_991:                            ;   in Loop: Header=BB373_638 Depth=1
	s_or_b32 exec_lo, exec_lo, s24
.LBB373_992:                            ;   in Loop: Header=BB373_638 Depth=1
	s_or_b32 exec_lo, exec_lo, s22
.LBB373_993:                            ;   in Loop: Header=BB373_638 Depth=1
	s_or_b32 exec_lo, exec_lo, s21
	v_and_b32_sdwa v10, v19, v40 dst_sel:DWORD dst_unused:UNUSED_PAD src0_sel:WORD_1 src1_sel:DWORD
	v_mov_b32_e32 v21, 0
	v_mov_b32_e32 v96, 0
	s_mov_b32 s21, exec_lo
	v_cmpx_ne_u16_e32 0, v10
	s_cbranch_execz .LBB373_1001
; %bb.994:                              ;   in Loop: Header=BB373_638 Depth=1
	v_bfrev_b32_e32 v96, 1
	s_mov_b32 s22, exec_lo
	v_cmpx_ne_u16_e32 0x80, v10
	s_cbranch_execz .LBB373_1000
; %bb.995:                              ;   in Loop: Header=BB373_638 Depth=1
	v_bfe_u32 v97, v19, 16, 7
	v_mov_b32_e32 v96, 0x7f800001
	s_mov_b32 s24, exec_lo
	v_cmpx_ne_u32_e32 0x7f, v97
	s_cbranch_execz .LBB373_999
; %bb.996:                              ;   in Loop: Header=BB373_638 Depth=1
	v_and_b32_sdwa v10, v19, v41 dst_sel:DWORD dst_unused:UNUSED_PAD src0_sel:WORD_1 src1_sel:DWORD
	v_lshrrev_b32_e32 v96, 3, v97
	s_mov_b32 s25, exec_lo
	v_cmpx_gt_u32_e32 8, v97
; %bb.997:                              ;   in Loop: Header=BB373_638 Depth=1
	v_ffbh_u32_e32 v14, v10
	v_min_u32_e32 v14, 32, v14
	v_subrev_nc_u32_e32 v15, 28, v14
	v_sub_nc_u32_e32 v96, 29, v14
	v_lshlrev_b64 v[97:98], v15, v[10:11]
	v_and_b32_e32 v10, 7, v97
; %bb.998:                              ;   in Loop: Header=BB373_638 Depth=1
	s_or_b32 exec_lo, exec_lo, s25
	v_lshlrev_b32_sdwa v14, v42, v19 dst_sel:DWORD dst_unused:UNUSED_PAD src0_sel:DWORD src1_sel:WORD_1
	v_lshlrev_b32_e32 v10, 20, v10
	v_lshl_add_u32 v15, v96, 23, 0x3c000000
	v_and_b32_e32 v14, 0x80000000, v14
	v_or3_b32 v96, v10, v14, v15
.LBB373_999:                            ;   in Loop: Header=BB373_638 Depth=1
	s_or_b32 exec_lo, exec_lo, s24
.LBB373_1000:                           ;   in Loop: Header=BB373_638 Depth=1
	s_or_b32 exec_lo, exec_lo, s22
.LBB373_1001:                           ;   in Loop: Header=BB373_638 Depth=1
	s_or_b32 exec_lo, exec_lo, s21
	s_mov_b32 s21, exec_lo
	v_cmpx_lt_u64_e64 s[4:5], v[18:19]
	s_cbranch_execz .LBB373_1009
; %bb.1002:                             ;   in Loop: Header=BB373_638 Depth=1
	v_cmp_ne_u32_sdwa s0, v19, v38 src0_sel:BYTE_3 src1_sel:DWORD
	v_bfrev_b32_e32 v21, 1
	s_and_saveexec_b32 s22, s0
	s_cbranch_execz .LBB373_1008
; %bb.1003:                             ;   in Loop: Header=BB373_638 Depth=1
	v_bfe_u32 v97, v19, 24, 7
	v_mov_b32_e32 v21, 0x7f800001
	s_mov_b32 s24, exec_lo
	v_cmpx_ne_u32_e32 0x7f, v97
	s_cbranch_execz .LBB373_1007
; %bb.1004:                             ;   in Loop: Header=BB373_638 Depth=1
	v_and_b32_sdwa v10, v19, v41 dst_sel:DWORD dst_unused:UNUSED_PAD src0_sel:BYTE_3 src1_sel:DWORD
	v_lshrrev_b32_e32 v18, 3, v97
	s_mov_b32 s25, exec_lo
	v_cmpx_gt_u32_e32 8, v97
; %bb.1005:                             ;   in Loop: Header=BB373_638 Depth=1
	v_ffbh_u32_e32 v14, v10
	v_min_u32_e32 v14, 32, v14
	v_subrev_nc_u32_e32 v15, 28, v14
	v_sub_nc_u32_e32 v18, 29, v14
	v_lshlrev_b64 v[97:98], v15, v[10:11]
	v_and_b32_e32 v10, 7, v97
; %bb.1006:                             ;   in Loop: Header=BB373_638 Depth=1
	s_or_b32 exec_lo, exec_lo, s25
	v_lshlrev_b32_sdwa v14, v42, v19 dst_sel:DWORD dst_unused:UNUSED_PAD src0_sel:DWORD src1_sel:BYTE_3
	v_lshlrev_b32_e32 v10, 20, v10
	v_lshl_add_u32 v15, v18, 23, 0x3c000000
	v_and_b32_e32 v14, 0x80000000, v14
	v_or3_b32 v21, v10, v14, v15
.LBB373_1007:                           ;   in Loop: Header=BB373_638 Depth=1
	s_or_b32 exec_lo, exec_lo, s24
.LBB373_1008:                           ;   in Loop: Header=BB373_638 Depth=1
	s_or_b32 exec_lo, exec_lo, s22
.LBB373_1009:                           ;   in Loop: Header=BB373_638 Depth=1
	s_or_b32 exec_lo, exec_lo, s21
	v_mul_f32_e32 v10, s18, v20
	v_mul_f32_e32 v14, s18, v95
	;; [unrolled: 1-line block ×5, first 2 shown]
	v_bfe_u32 v19, v10, 16, 1
	v_or_b32_e32 v20, 0x400000, v10
	v_bfe_u32 v91, v14, 16, 1
	v_cmp_u_f32_e64 s0, v10, v10
	v_or_b32_e32 v94, 0x400000, v14
	v_add3_u32 v19, v19, v10, 0x7fff
	v_bfe_u32 v95, v15, 16, 1
	v_add3_u32 v91, v91, v14, 0x7fff
	v_or_b32_e32 v97, 0x400000, v15
	v_bfe_u32 v98, v18, 16, 1
	v_cndmask_b32_e64 v10, v19, v20, s0
	v_cmp_u_f32_e64 s0, v14, v14
	v_add3_u32 v95, v95, v15, 0x7fff
	v_or_b32_e32 v20, 0x400000, v18
	v_add3_u32 v19, v98, v18, 0x7fff
	v_cndmask_b32_e64 v14, v91, v94, s0
	v_cmp_u_f32_e64 s0, v15, v15
	v_lshrrev_b32_e32 v91, 16, v10
	v_mul_f32_e32 v10, s18, v92
	v_lshrrev_b32_e32 v92, 16, v14
	v_cndmask_b32_e64 v15, v95, v97, s0
	v_cmp_u_f32_e64 s0, v18, v18
	v_bfe_u32 v14, v10, 16, 1
	v_mul_f32_e32 v18, s18, v93
	v_or_b32_e32 v97, 0x400000, v21
	v_lshrrev_b32_e32 v94, 16, v15
	v_cndmask_b32_e64 v15, v19, v20, s0
	v_mul_f32_e32 v19, s18, v96
	v_add3_u32 v14, v14, v10, 0x7fff
	v_or_b32_e32 v20, 0x400000, v10
	v_bfe_u32 v93, v18, 16, 1
	v_cmp_u_f32_e64 s0, v10, v10
	v_bfe_u32 v95, v19, 16, 1
	v_or_b32_e32 v96, 0x400000, v19
	v_cndmask_b32_e64 v10, v14, v20, s0
	v_add3_u32 v20, v93, v18, 0x7fff
	v_or_b32_e32 v93, 0x400000, v18
	v_cmp_u_f32_e64 s0, v18, v18
	v_bfe_u32 v14, v21, 16, 1
	v_add3_u32 v95, v95, v19, 0x7fff
	v_lshrrev_b32_e32 v98, 16, v10
	v_cndmask_b32_e64 v18, v20, v93, s0
	v_cmp_u_f32_e64 s0, v19, v19
	v_add3_u32 v14, v14, v21, 0x7fff
	v_cndmask_b32_e64 v19, v95, v96, s0
	v_cmp_u_f32_e64 s0, v21, v21
	v_lshrrev_b32_e32 v96, 16, v15
	v_lshrrev_b32_e32 v93, 16, v19
	v_cndmask_b32_e64 v14, v14, v97, s0
	v_lshrrev_b32_e32 v97, 16, v18
	v_lshrrev_b32_e32 v95, 16, v14
	s_and_saveexec_b32 s21, vcc_lo
	s_cbranch_execz .LBB373_1011
; %bb.1010:                             ;   in Loop: Header=BB373_638 Depth=1
	v_cmp_gt_i32_e64 s0, s31, v62
	v_cndmask_b32_e64 v97, 0, v97, s0
	v_cmp_gt_i32_e64 s0, s31, v69
	v_cndmask_b32_e64 v98, 0, v98, s0
	;; [unrolled: 2-line block ×8, first 2 shown]
.LBB373_1011:                           ;   in Loop: Header=BB373_638 Depth=1
	s_or_b32 exec_lo, exec_lo, s21
	global_load_dwordx2 v[18:19], v[16:17], off offset:1536
	v_mov_b32_e32 v99, 0
	v_mov_b32_e32 v101, 0
	s_waitcnt vmcnt(0)
	v_cmp_ne_u16_sdwa s0, v18, v11 src0_sel:BYTE_0 src1_sel:DWORD
	s_and_saveexec_b32 s21, s0
	s_cbranch_execz .LBB373_1017
; %bb.1012:                             ;   in Loop: Header=BB373_638 Depth=1
	v_cmp_ne_u16_sdwa s0, v18, v38 src0_sel:BYTE_0 src1_sel:DWORD
	v_bfrev_b32_e32 v101, 1
	s_and_saveexec_b32 s22, s0
	s_cbranch_execz .LBB373_1016
; %bb.1013:                             ;   in Loop: Header=BB373_638 Depth=1
	v_and_b32_e32 v10, 0x7f, v18
	v_mov_b32_e32 v101, 0x7f800001
	s_mov_b32 s24, exec_lo
	v_cmpx_ne_u32_e32 0x7f, v10
	s_cbranch_execz .LBB373_1015
; %bb.1014:                             ;   in Loop: Header=BB373_638 Depth=1
	v_and_b32_e32 v14, 7, v18
	v_lshrrev_b32_e32 v15, 3, v10
	v_cmp_gt_u32_e64 s0, 8, v10
	v_ffbh_u32_e32 v14, v14
	v_min_u32_e32 v14, 32, v14
	v_subrev_nc_u32_e32 v20, 28, v14
	v_sub_nc_u32_e32 v14, 29, v14
	v_cndmask_b32_e64 v10, v15, v14, s0
	v_cndmask_b32_e64 v14, 0, v20, s0
	v_lshl_add_u32 v10, v10, 23, 0x3c000000
	v_lshlrev_b64 v[20:21], v14, v[18:19]
	v_lshlrev_b32_e32 v14, 24, v18
	v_and_b32_e32 v14, 0x80000000, v14
	v_lshlrev_b32_e32 v15, 20, v20
	v_and_b32_e32 v15, 0x700000, v15
	v_or3_b32 v101, v15, v14, v10
.LBB373_1015:                           ;   in Loop: Header=BB373_638 Depth=1
	s_or_b32 exec_lo, exec_lo, s24
.LBB373_1016:                           ;   in Loop: Header=BB373_638 Depth=1
	s_or_b32 exec_lo, exec_lo, s22
.LBB373_1017:                           ;   in Loop: Header=BB373_638 Depth=1
	s_or_b32 exec_lo, exec_lo, s21
	v_cmp_ne_u16_sdwa s0, v18, v11 src0_sel:BYTE_1 src1_sel:DWORD
	s_and_saveexec_b32 s21, s0
	s_cbranch_execz .LBB373_1025
; %bb.1018:                             ;   in Loop: Header=BB373_638 Depth=1
	v_cmp_ne_u16_sdwa s0, v18, v38 src0_sel:BYTE_1 src1_sel:DWORD
	v_bfrev_b32_e32 v99, 1
	s_and_saveexec_b32 s22, s0
	s_cbranch_execz .LBB373_1024
; %bb.1019:                             ;   in Loop: Header=BB373_638 Depth=1
	v_and_b32_sdwa v10, v39, v18 dst_sel:DWORD dst_unused:UNUSED_PAD src0_sel:DWORD src1_sel:BYTE_1
	v_mov_b32_e32 v99, 0x7f800001
	s_mov_b32 s24, exec_lo
	v_and_b32_e32 v21, 0x7f, v10
	v_cmpx_ne_u32_e32 0x7f, v21
	s_cbranch_execz .LBB373_1023
; %bb.1020:                             ;   in Loop: Header=BB373_638 Depth=1
	v_and_b32_e32 v10, 7, v10
	v_lshrrev_b32_e32 v20, 3, v21
	s_mov_b32 s25, exec_lo
	v_cmpx_gt_u32_e32 8, v21
; %bb.1021:                             ;   in Loop: Header=BB373_638 Depth=1
	v_ffbh_u32_e32 v14, v10
	v_min_u32_e32 v14, 32, v14
	v_subrev_nc_u32_e32 v15, 28, v14
	v_sub_nc_u32_e32 v20, 29, v14
	v_lshlrev_b64 v[99:100], v15, v[10:11]
	v_and_b32_e32 v10, 7, v99
; %bb.1022:                             ;   in Loop: Header=BB373_638 Depth=1
	s_or_b32 exec_lo, exec_lo, s25
	v_lshlrev_b32_e32 v14, 16, v18
	v_lshlrev_b32_e32 v10, 20, v10
	v_lshl_add_u32 v15, v20, 23, 0x3c000000
	v_and_b32_e32 v14, 0x80000000, v14
	v_or3_b32 v99, v10, v14, v15
.LBB373_1023:                           ;   in Loop: Header=BB373_638 Depth=1
	s_or_b32 exec_lo, exec_lo, s24
.LBB373_1024:                           ;   in Loop: Header=BB373_638 Depth=1
	s_or_b32 exec_lo, exec_lo, s22
.LBB373_1025:                           ;   in Loop: Header=BB373_638 Depth=1
	s_or_b32 exec_lo, exec_lo, s21
	v_and_b32_sdwa v10, v18, v40 dst_sel:DWORD dst_unused:UNUSED_PAD src0_sel:WORD_1 src1_sel:DWORD
	v_mov_b32_e32 v102, 0
	v_mov_b32_e32 v100, 0
	s_mov_b32 s21, exec_lo
	v_cmpx_ne_u16_e32 0, v10
	s_cbranch_execz .LBB373_1033
; %bb.1026:                             ;   in Loop: Header=BB373_638 Depth=1
	v_bfrev_b32_e32 v100, 1
	s_mov_b32 s22, exec_lo
	v_cmpx_ne_u16_e32 0x80, v10
	s_cbranch_execz .LBB373_1032
; %bb.1027:                             ;   in Loop: Header=BB373_638 Depth=1
	v_bfe_u32 v21, v18, 16, 7
	v_mov_b32_e32 v100, 0x7f800001
	s_mov_b32 s24, exec_lo
	v_cmpx_ne_u32_e32 0x7f, v21
	s_cbranch_execz .LBB373_1031
; %bb.1028:                             ;   in Loop: Header=BB373_638 Depth=1
	v_and_b32_sdwa v10, v18, v41 dst_sel:DWORD dst_unused:UNUSED_PAD src0_sel:WORD_1 src1_sel:DWORD
	v_lshrrev_b32_e32 v20, 3, v21
	s_mov_b32 s25, exec_lo
	v_cmpx_gt_u32_e32 8, v21
; %bb.1029:                             ;   in Loop: Header=BB373_638 Depth=1
	v_ffbh_u32_e32 v14, v10
	v_min_u32_e32 v14, 32, v14
	v_subrev_nc_u32_e32 v15, 28, v14
	v_sub_nc_u32_e32 v20, 29, v14
	v_lshlrev_b64 v[103:104], v15, v[10:11]
	v_and_b32_e32 v10, 7, v103
; %bb.1030:                             ;   in Loop: Header=BB373_638 Depth=1
	s_or_b32 exec_lo, exec_lo, s25
	v_lshlrev_b32_sdwa v14, v42, v18 dst_sel:DWORD dst_unused:UNUSED_PAD src0_sel:DWORD src1_sel:WORD_1
	v_lshlrev_b32_e32 v10, 20, v10
	v_lshl_add_u32 v15, v20, 23, 0x3c000000
	v_and_b32_e32 v14, 0x80000000, v14
	v_or3_b32 v100, v10, v14, v15
.LBB373_1031:                           ;   in Loop: Header=BB373_638 Depth=1
	s_or_b32 exec_lo, exec_lo, s24
.LBB373_1032:                           ;   in Loop: Header=BB373_638 Depth=1
	s_or_b32 exec_lo, exec_lo, s22
.LBB373_1033:                           ;   in Loop: Header=BB373_638 Depth=1
	s_or_b32 exec_lo, exec_lo, s21
	s_mov_b32 s21, exec_lo
	v_cmpx_lt_u32_e32 0xffffff, v18
	s_cbranch_execz .LBB373_1041
; %bb.1034:                             ;   in Loop: Header=BB373_638 Depth=1
	v_cmp_ne_u32_sdwa s0, v18, v38 src0_sel:BYTE_3 src1_sel:DWORD
	v_bfrev_b32_e32 v102, 1
	s_and_saveexec_b32 s22, s0
	s_cbranch_execz .LBB373_1040
; %bb.1035:                             ;   in Loop: Header=BB373_638 Depth=1
	v_bfe_u32 v21, v18, 24, 7
	v_mov_b32_e32 v102, 0x7f800001
	s_mov_b32 s24, exec_lo
	v_cmpx_ne_u32_e32 0x7f, v21
	s_cbranch_execz .LBB373_1039
; %bb.1036:                             ;   in Loop: Header=BB373_638 Depth=1
	v_and_b32_sdwa v10, v18, v41 dst_sel:DWORD dst_unused:UNUSED_PAD src0_sel:BYTE_3 src1_sel:DWORD
	v_lshrrev_b32_e32 v20, 3, v21
	s_mov_b32 s25, exec_lo
	v_cmpx_gt_u32_e32 8, v21
; %bb.1037:                             ;   in Loop: Header=BB373_638 Depth=1
	v_ffbh_u32_e32 v14, v10
	v_min_u32_e32 v14, 32, v14
	v_subrev_nc_u32_e32 v15, 28, v14
	v_sub_nc_u32_e32 v20, 29, v14
	v_lshlrev_b64 v[102:103], v15, v[10:11]
	v_and_b32_e32 v10, 7, v102
; %bb.1038:                             ;   in Loop: Header=BB373_638 Depth=1
	s_or_b32 exec_lo, exec_lo, s25
	v_lshlrev_b32_sdwa v14, v42, v18 dst_sel:DWORD dst_unused:UNUSED_PAD src0_sel:DWORD src1_sel:BYTE_3
	v_lshlrev_b32_e32 v10, 20, v10
	v_lshl_add_u32 v15, v20, 23, 0x3c000000
	v_and_b32_e32 v14, 0x80000000, v14
	v_or3_b32 v102, v10, v14, v15
.LBB373_1039:                           ;   in Loop: Header=BB373_638 Depth=1
	s_or_b32 exec_lo, exec_lo, s24
.LBB373_1040:                           ;   in Loop: Header=BB373_638 Depth=1
	s_or_b32 exec_lo, exec_lo, s22
.LBB373_1041:                           ;   in Loop: Header=BB373_638 Depth=1
	s_or_b32 exec_lo, exec_lo, s21
	v_mov_b32_e32 v10, v19
	v_cmp_ne_u16_sdwa s0, v19, v11 src0_sel:BYTE_0 src1_sel:DWORD
	v_mov_b32_e32 v20, 0
	v_mov_b32_e32 v103, 0
	s_and_saveexec_b32 s21, s0
	s_cbranch_execz .LBB373_1047
; %bb.1042:                             ;   in Loop: Header=BB373_638 Depth=1
	v_cmp_ne_u16_sdwa s0, v19, v38 src0_sel:BYTE_0 src1_sel:DWORD
	v_bfrev_b32_e32 v103, 1
	s_and_saveexec_b32 s22, s0
	s_cbranch_execz .LBB373_1046
; %bb.1043:                             ;   in Loop: Header=BB373_638 Depth=1
	v_and_b32_e32 v21, 0x7f, v19
	v_mov_b32_e32 v103, 0x7f800001
	s_mov_b32 s24, exec_lo
	v_cmpx_ne_u32_e32 0x7f, v21
	s_cbranch_execz .LBB373_1045
; %bb.1044:                             ;   in Loop: Header=BB373_638 Depth=1
	v_and_b32_e32 v14, 7, v19
	v_lshrrev_b32_e32 v15, 3, v21
	v_cmp_gt_u32_e64 s0, 8, v21
	v_ffbh_u32_e32 v14, v14
	v_min_u32_e32 v14, 32, v14
	v_subrev_nc_u32_e32 v103, 28, v14
	v_sub_nc_u32_e32 v14, 29, v14
	v_cndmask_b32_e64 v14, v15, v14, s0
	v_cndmask_b32_e64 v15, 0, v103, s0
	v_lshl_add_u32 v14, v14, 23, 0x3c000000
	v_lshlrev_b64 v[103:104], v15, v[10:11]
	v_lshlrev_b32_e32 v15, 24, v10
	v_and_b32_e32 v15, 0x80000000, v15
	v_lshlrev_b32_e32 v21, 20, v103
	v_and_b32_e32 v21, 0x700000, v21
	v_or3_b32 v103, v21, v15, v14
.LBB373_1045:                           ;   in Loop: Header=BB373_638 Depth=1
	s_or_b32 exec_lo, exec_lo, s24
.LBB373_1046:                           ;   in Loop: Header=BB373_638 Depth=1
	s_or_b32 exec_lo, exec_lo, s22
.LBB373_1047:                           ;   in Loop: Header=BB373_638 Depth=1
	s_or_b32 exec_lo, exec_lo, s21
	v_cmp_ne_u16_sdwa s0, v10, v11 src0_sel:BYTE_1 src1_sel:DWORD
	s_and_saveexec_b32 s21, s0
	s_cbranch_execz .LBB373_1055
; %bb.1048:                             ;   in Loop: Header=BB373_638 Depth=1
	v_cmp_ne_u16_sdwa s0, v10, v38 src0_sel:BYTE_1 src1_sel:DWORD
	v_bfrev_b32_e32 v20, 1
	s_and_saveexec_b32 s22, s0
	s_cbranch_execz .LBB373_1054
; %bb.1049:                             ;   in Loop: Header=BB373_638 Depth=1
	v_and_b32_sdwa v21, v39, v10 dst_sel:DWORD dst_unused:UNUSED_PAD src0_sel:DWORD src1_sel:BYTE_1
	v_mov_b32_e32 v20, 0x7f800001
	s_mov_b32 s24, exec_lo
	v_and_b32_e32 v105, 0x7f, v21
	v_cmpx_ne_u32_e32 0x7f, v105
	s_cbranch_execz .LBB373_1053
; %bb.1050:                             ;   in Loop: Header=BB373_638 Depth=1
	v_and_b32_e32 v20, 7, v21
	v_mov_b32_e32 v21, v11
	v_lshrrev_b32_e32 v104, 3, v105
	s_mov_b32 s25, exec_lo
	v_cmpx_gt_u32_e32 8, v105
; %bb.1051:                             ;   in Loop: Header=BB373_638 Depth=1
	v_ffbh_u32_e32 v14, v20
	v_min_u32_e32 v14, 32, v14
	v_subrev_nc_u32_e32 v15, 28, v14
	v_sub_nc_u32_e32 v104, 29, v14
	v_lshlrev_b64 v[20:21], v15, v[20:21]
	v_and_b32_e32 v20, 7, v20
; %bb.1052:                             ;   in Loop: Header=BB373_638 Depth=1
	s_or_b32 exec_lo, exec_lo, s25
	v_lshlrev_b32_e32 v10, 16, v10
	v_lshlrev_b32_e32 v14, 20, v20
	v_lshl_add_u32 v15, v104, 23, 0x3c000000
	v_and_b32_e32 v10, 0x80000000, v10
	v_or3_b32 v20, v14, v10, v15
.LBB373_1053:                           ;   in Loop: Header=BB373_638 Depth=1
	s_or_b32 exec_lo, exec_lo, s24
.LBB373_1054:                           ;   in Loop: Header=BB373_638 Depth=1
	s_or_b32 exec_lo, exec_lo, s22
.LBB373_1055:                           ;   in Loop: Header=BB373_638 Depth=1
	s_or_b32 exec_lo, exec_lo, s21
	v_and_b32_sdwa v10, v19, v40 dst_sel:DWORD dst_unused:UNUSED_PAD src0_sel:WORD_1 src1_sel:DWORD
	v_mov_b32_e32 v21, 0
	v_mov_b32_e32 v104, 0
	s_mov_b32 s21, exec_lo
	v_cmpx_ne_u16_e32 0, v10
	s_cbranch_execz .LBB373_1063
; %bb.1056:                             ;   in Loop: Header=BB373_638 Depth=1
	v_bfrev_b32_e32 v104, 1
	s_mov_b32 s22, exec_lo
	v_cmpx_ne_u16_e32 0x80, v10
	s_cbranch_execz .LBB373_1062
; %bb.1057:                             ;   in Loop: Header=BB373_638 Depth=1
	v_bfe_u32 v105, v19, 16, 7
	v_mov_b32_e32 v104, 0x7f800001
	s_mov_b32 s24, exec_lo
	v_cmpx_ne_u32_e32 0x7f, v105
	s_cbranch_execz .LBB373_1061
; %bb.1058:                             ;   in Loop: Header=BB373_638 Depth=1
	v_and_b32_sdwa v10, v19, v41 dst_sel:DWORD dst_unused:UNUSED_PAD src0_sel:WORD_1 src1_sel:DWORD
	v_lshrrev_b32_e32 v104, 3, v105
	s_mov_b32 s25, exec_lo
	v_cmpx_gt_u32_e32 8, v105
; %bb.1059:                             ;   in Loop: Header=BB373_638 Depth=1
	v_ffbh_u32_e32 v14, v10
	v_min_u32_e32 v14, 32, v14
	v_subrev_nc_u32_e32 v15, 28, v14
	v_sub_nc_u32_e32 v104, 29, v14
	v_lshlrev_b64 v[105:106], v15, v[10:11]
	v_and_b32_e32 v10, 7, v105
; %bb.1060:                             ;   in Loop: Header=BB373_638 Depth=1
	s_or_b32 exec_lo, exec_lo, s25
	v_lshlrev_b32_sdwa v14, v42, v19 dst_sel:DWORD dst_unused:UNUSED_PAD src0_sel:DWORD src1_sel:WORD_1
	v_lshlrev_b32_e32 v10, 20, v10
	v_lshl_add_u32 v15, v104, 23, 0x3c000000
	v_and_b32_e32 v14, 0x80000000, v14
	v_or3_b32 v104, v10, v14, v15
.LBB373_1061:                           ;   in Loop: Header=BB373_638 Depth=1
	s_or_b32 exec_lo, exec_lo, s24
.LBB373_1062:                           ;   in Loop: Header=BB373_638 Depth=1
	s_or_b32 exec_lo, exec_lo, s22
.LBB373_1063:                           ;   in Loop: Header=BB373_638 Depth=1
	s_or_b32 exec_lo, exec_lo, s21
	s_mov_b32 s21, exec_lo
	v_cmpx_lt_u64_e64 s[4:5], v[18:19]
	s_cbranch_execz .LBB373_1071
; %bb.1064:                             ;   in Loop: Header=BB373_638 Depth=1
	v_cmp_ne_u32_sdwa s0, v19, v38 src0_sel:BYTE_3 src1_sel:DWORD
	v_bfrev_b32_e32 v21, 1
	s_and_saveexec_b32 s22, s0
	s_cbranch_execz .LBB373_1070
; %bb.1065:                             ;   in Loop: Header=BB373_638 Depth=1
	v_bfe_u32 v105, v19, 24, 7
	v_mov_b32_e32 v21, 0x7f800001
	s_mov_b32 s24, exec_lo
	v_cmpx_ne_u32_e32 0x7f, v105
	s_cbranch_execz .LBB373_1069
; %bb.1066:                             ;   in Loop: Header=BB373_638 Depth=1
	v_and_b32_sdwa v10, v19, v41 dst_sel:DWORD dst_unused:UNUSED_PAD src0_sel:BYTE_3 src1_sel:DWORD
	v_lshrrev_b32_e32 v18, 3, v105
	s_mov_b32 s25, exec_lo
	v_cmpx_gt_u32_e32 8, v105
; %bb.1067:                             ;   in Loop: Header=BB373_638 Depth=1
	v_ffbh_u32_e32 v14, v10
	v_min_u32_e32 v14, 32, v14
	v_subrev_nc_u32_e32 v15, 28, v14
	v_sub_nc_u32_e32 v18, 29, v14
	v_lshlrev_b64 v[105:106], v15, v[10:11]
	v_and_b32_e32 v10, 7, v105
; %bb.1068:                             ;   in Loop: Header=BB373_638 Depth=1
	s_or_b32 exec_lo, exec_lo, s25
	v_lshlrev_b32_sdwa v14, v42, v19 dst_sel:DWORD dst_unused:UNUSED_PAD src0_sel:DWORD src1_sel:BYTE_3
	v_lshlrev_b32_e32 v10, 20, v10
	v_lshl_add_u32 v15, v18, 23, 0x3c000000
	v_and_b32_e32 v14, 0x80000000, v14
	v_or3_b32 v21, v10, v14, v15
.LBB373_1069:                           ;   in Loop: Header=BB373_638 Depth=1
	s_or_b32 exec_lo, exec_lo, s24
.LBB373_1070:                           ;   in Loop: Header=BB373_638 Depth=1
	s_or_b32 exec_lo, exec_lo, s22
.LBB373_1071:                           ;   in Loop: Header=BB373_638 Depth=1
	s_or_b32 exec_lo, exec_lo, s21
	v_mul_f32_e32 v10, s18, v20
	v_mul_f32_e32 v14, s18, v103
	;; [unrolled: 1-line block ×5, first 2 shown]
	v_bfe_u32 v19, v10, 16, 1
	v_or_b32_e32 v20, 0x400000, v10
	v_bfe_u32 v100, v14, 16, 1
	v_cmp_u_f32_e64 s0, v10, v10
	v_or_b32_e32 v102, 0x400000, v14
	v_add3_u32 v19, v19, v10, 0x7fff
	v_bfe_u32 v103, v15, 16, 1
	v_add3_u32 v100, v100, v14, 0x7fff
	v_or_b32_e32 v105, 0x400000, v15
	v_bfe_u32 v106, v18, 16, 1
	v_cndmask_b32_e64 v10, v19, v20, s0
	v_cmp_u_f32_e64 s0, v14, v14
	v_add3_u32 v103, v103, v15, 0x7fff
	v_or_b32_e32 v20, 0x400000, v18
	v_add3_u32 v19, v106, v18, 0x7fff
	v_cndmask_b32_e64 v14, v100, v102, s0
	v_cmp_u_f32_e64 s0, v15, v15
	v_lshrrev_b32_e32 v100, 16, v10
	v_mul_f32_e32 v10, s18, v99
	v_lshrrev_b32_e32 v99, 16, v14
	v_cndmask_b32_e64 v15, v103, v105, s0
	v_cmp_u_f32_e64 s0, v18, v18
	v_bfe_u32 v14, v10, 16, 1
	v_mul_f32_e32 v18, s18, v101
	v_or_b32_e32 v105, 0x400000, v21
	v_lshrrev_b32_e32 v102, 16, v15
	v_cndmask_b32_e64 v15, v19, v20, s0
	v_mul_f32_e32 v19, s18, v104
	v_add3_u32 v14, v14, v10, 0x7fff
	v_or_b32_e32 v20, 0x400000, v10
	v_bfe_u32 v101, v18, 16, 1
	v_cmp_u_f32_e64 s0, v10, v10
	v_bfe_u32 v103, v19, 16, 1
	v_or_b32_e32 v104, 0x400000, v19
	v_cndmask_b32_e64 v10, v14, v20, s0
	v_add3_u32 v20, v101, v18, 0x7fff
	v_or_b32_e32 v101, 0x400000, v18
	v_cmp_u_f32_e64 s0, v18, v18
	v_bfe_u32 v14, v21, 16, 1
	v_add3_u32 v103, v103, v19, 0x7fff
	v_lshrrev_b32_e32 v106, 16, v10
	v_cndmask_b32_e64 v18, v20, v101, s0
	v_cmp_u_f32_e64 s0, v19, v19
	v_add3_u32 v14, v14, v21, 0x7fff
	v_cndmask_b32_e64 v19, v103, v104, s0
	v_cmp_u_f32_e64 s0, v21, v21
	v_lshrrev_b32_e32 v104, 16, v15
	v_lshrrev_b32_e32 v101, 16, v19
	v_cndmask_b32_e64 v14, v14, v105, s0
	v_lshrrev_b32_e32 v105, 16, v18
	v_lshrrev_b32_e32 v103, 16, v14
	s_and_saveexec_b32 s21, vcc_lo
	s_cbranch_execz .LBB373_1073
; %bb.1072:                             ;   in Loop: Header=BB373_638 Depth=1
	v_cmp_gt_i32_e64 s0, s31, v62
	v_cndmask_b32_e64 v105, 0, v105, s0
	v_cmp_gt_i32_e64 s0, s31, v69
	v_cndmask_b32_e64 v106, 0, v106, s0
	;; [unrolled: 2-line block ×8, first 2 shown]
.LBB373_1073:                           ;   in Loop: Header=BB373_638 Depth=1
	s_or_b32 exec_lo, exec_lo, s21
	global_load_dwordx2 v[18:19], v[16:17], off offset:1792
	v_mov_b32_e32 v108, 0
	v_mov_b32_e32 v109, 0
	s_waitcnt vmcnt(0)
	v_cmp_ne_u16_sdwa s0, v18, v11 src0_sel:BYTE_0 src1_sel:DWORD
	s_and_saveexec_b32 s21, s0
	s_cbranch_execz .LBB373_1079
; %bb.1074:                             ;   in Loop: Header=BB373_638 Depth=1
	v_cmp_ne_u16_sdwa s0, v18, v38 src0_sel:BYTE_0 src1_sel:DWORD
	v_bfrev_b32_e32 v109, 1
	s_and_saveexec_b32 s22, s0
	s_cbranch_execz .LBB373_1078
; %bb.1075:                             ;   in Loop: Header=BB373_638 Depth=1
	v_and_b32_e32 v10, 0x7f, v18
	v_mov_b32_e32 v109, 0x7f800001
	s_mov_b32 s24, exec_lo
	v_cmpx_ne_u32_e32 0x7f, v10
	s_cbranch_execz .LBB373_1077
; %bb.1076:                             ;   in Loop: Header=BB373_638 Depth=1
	v_and_b32_e32 v14, 7, v18
	v_lshrrev_b32_e32 v15, 3, v10
	v_cmp_gt_u32_e64 s0, 8, v10
	v_ffbh_u32_e32 v14, v14
	v_min_u32_e32 v14, 32, v14
	v_subrev_nc_u32_e32 v20, 28, v14
	v_sub_nc_u32_e32 v14, 29, v14
	v_cndmask_b32_e64 v10, v15, v14, s0
	v_cndmask_b32_e64 v14, 0, v20, s0
	v_lshl_add_u32 v10, v10, 23, 0x3c000000
	v_lshlrev_b64 v[20:21], v14, v[18:19]
	v_lshlrev_b32_e32 v14, 24, v18
	v_and_b32_e32 v14, 0x80000000, v14
	v_lshlrev_b32_e32 v15, 20, v20
	v_and_b32_e32 v15, 0x700000, v15
	v_or3_b32 v109, v15, v14, v10
.LBB373_1077:                           ;   in Loop: Header=BB373_638 Depth=1
	s_or_b32 exec_lo, exec_lo, s24
.LBB373_1078:                           ;   in Loop: Header=BB373_638 Depth=1
	s_or_b32 exec_lo, exec_lo, s22
.LBB373_1079:                           ;   in Loop: Header=BB373_638 Depth=1
	s_or_b32 exec_lo, exec_lo, s21
	v_cmp_ne_u16_sdwa s0, v18, v11 src0_sel:BYTE_1 src1_sel:DWORD
	s_and_saveexec_b32 s21, s0
	s_cbranch_execz .LBB373_1087
; %bb.1080:                             ;   in Loop: Header=BB373_638 Depth=1
	v_cmp_ne_u16_sdwa s0, v18, v38 src0_sel:BYTE_1 src1_sel:DWORD
	v_bfrev_b32_e32 v108, 1
	s_and_saveexec_b32 s22, s0
	s_cbranch_execz .LBB373_1086
; %bb.1081:                             ;   in Loop: Header=BB373_638 Depth=1
	v_and_b32_sdwa v10, v39, v18 dst_sel:DWORD dst_unused:UNUSED_PAD src0_sel:DWORD src1_sel:BYTE_1
	v_mov_b32_e32 v108, 0x7f800001
	s_mov_b32 s24, exec_lo
	v_and_b32_e32 v21, 0x7f, v10
	v_cmpx_ne_u32_e32 0x7f, v21
	s_cbranch_execz .LBB373_1085
; %bb.1082:                             ;   in Loop: Header=BB373_638 Depth=1
	v_and_b32_e32 v10, 7, v10
	v_lshrrev_b32_e32 v20, 3, v21
	s_mov_b32 s25, exec_lo
	v_cmpx_gt_u32_e32 8, v21
; %bb.1083:                             ;   in Loop: Header=BB373_638 Depth=1
	v_ffbh_u32_e32 v14, v10
	v_min_u32_e32 v14, 32, v14
	v_subrev_nc_u32_e32 v15, 28, v14
	v_sub_nc_u32_e32 v20, 29, v14
	v_lshlrev_b64 v[107:108], v15, v[10:11]
	v_and_b32_e32 v10, 7, v107
; %bb.1084:                             ;   in Loop: Header=BB373_638 Depth=1
	s_or_b32 exec_lo, exec_lo, s25
	v_lshlrev_b32_e32 v14, 16, v18
	v_lshlrev_b32_e32 v10, 20, v10
	v_lshl_add_u32 v15, v20, 23, 0x3c000000
	v_and_b32_e32 v14, 0x80000000, v14
	v_or3_b32 v108, v10, v14, v15
.LBB373_1085:                           ;   in Loop: Header=BB373_638 Depth=1
	s_or_b32 exec_lo, exec_lo, s24
.LBB373_1086:                           ;   in Loop: Header=BB373_638 Depth=1
	s_or_b32 exec_lo, exec_lo, s22
.LBB373_1087:                           ;   in Loop: Header=BB373_638 Depth=1
	s_or_b32 exec_lo, exec_lo, s21
	v_and_b32_sdwa v10, v18, v40 dst_sel:DWORD dst_unused:UNUSED_PAD src0_sel:WORD_1 src1_sel:DWORD
	v_mov_b32_e32 v110, 0
	v_mov_b32_e32 v107, 0
	s_mov_b32 s21, exec_lo
	v_cmpx_ne_u16_e32 0, v10
	s_cbranch_execz .LBB373_1095
; %bb.1088:                             ;   in Loop: Header=BB373_638 Depth=1
	v_bfrev_b32_e32 v107, 1
	s_mov_b32 s22, exec_lo
	v_cmpx_ne_u16_e32 0x80, v10
	s_cbranch_execz .LBB373_1094
; %bb.1089:                             ;   in Loop: Header=BB373_638 Depth=1
	v_bfe_u32 v21, v18, 16, 7
	v_mov_b32_e32 v107, 0x7f800001
	s_mov_b32 s24, exec_lo
	v_cmpx_ne_u32_e32 0x7f, v21
	s_cbranch_execz .LBB373_1093
; %bb.1090:                             ;   in Loop: Header=BB373_638 Depth=1
	v_and_b32_sdwa v10, v18, v41 dst_sel:DWORD dst_unused:UNUSED_PAD src0_sel:WORD_1 src1_sel:DWORD
	v_lshrrev_b32_e32 v20, 3, v21
	s_mov_b32 s25, exec_lo
	v_cmpx_gt_u32_e32 8, v21
; %bb.1091:                             ;   in Loop: Header=BB373_638 Depth=1
	v_ffbh_u32_e32 v14, v10
	v_min_u32_e32 v14, 32, v14
	v_subrev_nc_u32_e32 v15, 28, v14
	v_sub_nc_u32_e32 v20, 29, v14
	v_lshlrev_b64 v[111:112], v15, v[10:11]
	v_and_b32_e32 v10, 7, v111
; %bb.1092:                             ;   in Loop: Header=BB373_638 Depth=1
	s_or_b32 exec_lo, exec_lo, s25
	v_lshlrev_b32_sdwa v14, v42, v18 dst_sel:DWORD dst_unused:UNUSED_PAD src0_sel:DWORD src1_sel:WORD_1
	v_lshlrev_b32_e32 v10, 20, v10
	v_lshl_add_u32 v15, v20, 23, 0x3c000000
	v_and_b32_e32 v14, 0x80000000, v14
	v_or3_b32 v107, v10, v14, v15
.LBB373_1093:                           ;   in Loop: Header=BB373_638 Depth=1
	s_or_b32 exec_lo, exec_lo, s24
.LBB373_1094:                           ;   in Loop: Header=BB373_638 Depth=1
	s_or_b32 exec_lo, exec_lo, s22
.LBB373_1095:                           ;   in Loop: Header=BB373_638 Depth=1
	s_or_b32 exec_lo, exec_lo, s21
	s_mov_b32 s21, exec_lo
	v_cmpx_lt_u32_e32 0xffffff, v18
	s_cbranch_execz .LBB373_1103
; %bb.1096:                             ;   in Loop: Header=BB373_638 Depth=1
	v_cmp_ne_u32_sdwa s0, v18, v38 src0_sel:BYTE_3 src1_sel:DWORD
	v_bfrev_b32_e32 v110, 1
	s_and_saveexec_b32 s22, s0
	s_cbranch_execz .LBB373_1102
; %bb.1097:                             ;   in Loop: Header=BB373_638 Depth=1
	v_bfe_u32 v21, v18, 24, 7
	v_mov_b32_e32 v110, 0x7f800001
	s_mov_b32 s24, exec_lo
	v_cmpx_ne_u32_e32 0x7f, v21
	s_cbranch_execz .LBB373_1101
; %bb.1098:                             ;   in Loop: Header=BB373_638 Depth=1
	v_and_b32_sdwa v10, v18, v41 dst_sel:DWORD dst_unused:UNUSED_PAD src0_sel:BYTE_3 src1_sel:DWORD
	v_lshrrev_b32_e32 v20, 3, v21
	s_mov_b32 s25, exec_lo
	v_cmpx_gt_u32_e32 8, v21
; %bb.1099:                             ;   in Loop: Header=BB373_638 Depth=1
	v_ffbh_u32_e32 v14, v10
	v_min_u32_e32 v14, 32, v14
	v_subrev_nc_u32_e32 v15, 28, v14
	v_sub_nc_u32_e32 v20, 29, v14
	v_lshlrev_b64 v[110:111], v15, v[10:11]
	v_and_b32_e32 v10, 7, v110
; %bb.1100:                             ;   in Loop: Header=BB373_638 Depth=1
	s_or_b32 exec_lo, exec_lo, s25
	v_lshlrev_b32_sdwa v14, v42, v18 dst_sel:DWORD dst_unused:UNUSED_PAD src0_sel:DWORD src1_sel:BYTE_3
	v_lshlrev_b32_e32 v10, 20, v10
	v_lshl_add_u32 v15, v20, 23, 0x3c000000
	v_and_b32_e32 v14, 0x80000000, v14
	v_or3_b32 v110, v10, v14, v15
.LBB373_1101:                           ;   in Loop: Header=BB373_638 Depth=1
	s_or_b32 exec_lo, exec_lo, s24
.LBB373_1102:                           ;   in Loop: Header=BB373_638 Depth=1
	s_or_b32 exec_lo, exec_lo, s22
.LBB373_1103:                           ;   in Loop: Header=BB373_638 Depth=1
	s_or_b32 exec_lo, exec_lo, s21
	v_mov_b32_e32 v10, v19
	v_cmp_ne_u16_sdwa s0, v19, v11 src0_sel:BYTE_0 src1_sel:DWORD
	v_mov_b32_e32 v20, 0
	v_mov_b32_e32 v111, 0
	s_and_saveexec_b32 s21, s0
	s_cbranch_execz .LBB373_1109
; %bb.1104:                             ;   in Loop: Header=BB373_638 Depth=1
	v_cmp_ne_u16_sdwa s0, v19, v38 src0_sel:BYTE_0 src1_sel:DWORD
	v_bfrev_b32_e32 v111, 1
	s_and_saveexec_b32 s22, s0
	s_cbranch_execz .LBB373_1108
; %bb.1105:                             ;   in Loop: Header=BB373_638 Depth=1
	v_and_b32_e32 v21, 0x7f, v19
	v_mov_b32_e32 v111, 0x7f800001
	s_mov_b32 s24, exec_lo
	v_cmpx_ne_u32_e32 0x7f, v21
	s_cbranch_execz .LBB373_1107
; %bb.1106:                             ;   in Loop: Header=BB373_638 Depth=1
	v_and_b32_e32 v14, 7, v19
	v_lshrrev_b32_e32 v15, 3, v21
	v_cmp_gt_u32_e64 s0, 8, v21
	v_ffbh_u32_e32 v14, v14
	v_min_u32_e32 v14, 32, v14
	v_subrev_nc_u32_e32 v111, 28, v14
	v_sub_nc_u32_e32 v14, 29, v14
	v_cndmask_b32_e64 v14, v15, v14, s0
	v_cndmask_b32_e64 v15, 0, v111, s0
	v_lshl_add_u32 v14, v14, 23, 0x3c000000
	v_lshlrev_b64 v[111:112], v15, v[10:11]
	v_lshlrev_b32_e32 v15, 24, v10
	v_and_b32_e32 v15, 0x80000000, v15
	v_lshlrev_b32_e32 v21, 20, v111
	v_and_b32_e32 v21, 0x700000, v21
	v_or3_b32 v111, v21, v15, v14
.LBB373_1107:                           ;   in Loop: Header=BB373_638 Depth=1
	s_or_b32 exec_lo, exec_lo, s24
.LBB373_1108:                           ;   in Loop: Header=BB373_638 Depth=1
	s_or_b32 exec_lo, exec_lo, s22
.LBB373_1109:                           ;   in Loop: Header=BB373_638 Depth=1
	s_or_b32 exec_lo, exec_lo, s21
	v_cmp_ne_u16_sdwa s0, v10, v11 src0_sel:BYTE_1 src1_sel:DWORD
	s_and_saveexec_b32 s21, s0
	s_cbranch_execz .LBB373_1117
; %bb.1110:                             ;   in Loop: Header=BB373_638 Depth=1
	v_cmp_ne_u16_sdwa s0, v10, v38 src0_sel:BYTE_1 src1_sel:DWORD
	v_bfrev_b32_e32 v20, 1
	s_and_saveexec_b32 s22, s0
	s_cbranch_execz .LBB373_1116
; %bb.1111:                             ;   in Loop: Header=BB373_638 Depth=1
	v_and_b32_sdwa v21, v39, v10 dst_sel:DWORD dst_unused:UNUSED_PAD src0_sel:DWORD src1_sel:BYTE_1
	v_mov_b32_e32 v20, 0x7f800001
	s_mov_b32 s24, exec_lo
	v_and_b32_e32 v113, 0x7f, v21
	v_cmpx_ne_u32_e32 0x7f, v113
	s_cbranch_execz .LBB373_1115
; %bb.1112:                             ;   in Loop: Header=BB373_638 Depth=1
	v_and_b32_e32 v20, 7, v21
	v_mov_b32_e32 v21, v11
	v_lshrrev_b32_e32 v112, 3, v113
	s_mov_b32 s25, exec_lo
	v_cmpx_gt_u32_e32 8, v113
; %bb.1113:                             ;   in Loop: Header=BB373_638 Depth=1
	v_ffbh_u32_e32 v14, v20
	v_min_u32_e32 v14, 32, v14
	v_subrev_nc_u32_e32 v15, 28, v14
	v_sub_nc_u32_e32 v112, 29, v14
	v_lshlrev_b64 v[20:21], v15, v[20:21]
	v_and_b32_e32 v20, 7, v20
; %bb.1114:                             ;   in Loop: Header=BB373_638 Depth=1
	s_or_b32 exec_lo, exec_lo, s25
	v_lshlrev_b32_e32 v10, 16, v10
	v_lshlrev_b32_e32 v14, 20, v20
	v_lshl_add_u32 v15, v112, 23, 0x3c000000
	v_and_b32_e32 v10, 0x80000000, v10
	v_or3_b32 v20, v14, v10, v15
.LBB373_1115:                           ;   in Loop: Header=BB373_638 Depth=1
	s_or_b32 exec_lo, exec_lo, s24
.LBB373_1116:                           ;   in Loop: Header=BB373_638 Depth=1
	s_or_b32 exec_lo, exec_lo, s22
.LBB373_1117:                           ;   in Loop: Header=BB373_638 Depth=1
	s_or_b32 exec_lo, exec_lo, s21
	v_and_b32_sdwa v10, v19, v40 dst_sel:DWORD dst_unused:UNUSED_PAD src0_sel:WORD_1 src1_sel:DWORD
	v_mov_b32_e32 v21, 0
	v_mov_b32_e32 v112, 0
	s_mov_b32 s21, exec_lo
	v_cmpx_ne_u16_e32 0, v10
	s_cbranch_execz .LBB373_1125
; %bb.1118:                             ;   in Loop: Header=BB373_638 Depth=1
	v_bfrev_b32_e32 v112, 1
	s_mov_b32 s22, exec_lo
	v_cmpx_ne_u16_e32 0x80, v10
	s_cbranch_execz .LBB373_1124
; %bb.1119:                             ;   in Loop: Header=BB373_638 Depth=1
	v_bfe_u32 v113, v19, 16, 7
	v_mov_b32_e32 v112, 0x7f800001
	s_mov_b32 s24, exec_lo
	v_cmpx_ne_u32_e32 0x7f, v113
	s_cbranch_execz .LBB373_1123
; %bb.1120:                             ;   in Loop: Header=BB373_638 Depth=1
	v_and_b32_sdwa v10, v19, v41 dst_sel:DWORD dst_unused:UNUSED_PAD src0_sel:WORD_1 src1_sel:DWORD
	v_lshrrev_b32_e32 v112, 3, v113
	s_mov_b32 s25, exec_lo
	v_cmpx_gt_u32_e32 8, v113
; %bb.1121:                             ;   in Loop: Header=BB373_638 Depth=1
	v_ffbh_u32_e32 v14, v10
	v_min_u32_e32 v14, 32, v14
	v_subrev_nc_u32_e32 v15, 28, v14
	v_sub_nc_u32_e32 v112, 29, v14
	v_lshlrev_b64 v[113:114], v15, v[10:11]
	v_and_b32_e32 v10, 7, v113
; %bb.1122:                             ;   in Loop: Header=BB373_638 Depth=1
	s_or_b32 exec_lo, exec_lo, s25
	v_lshlrev_b32_sdwa v14, v42, v19 dst_sel:DWORD dst_unused:UNUSED_PAD src0_sel:DWORD src1_sel:WORD_1
	v_lshlrev_b32_e32 v10, 20, v10
	v_lshl_add_u32 v15, v112, 23, 0x3c000000
	v_and_b32_e32 v14, 0x80000000, v14
	v_or3_b32 v112, v10, v14, v15
.LBB373_1123:                           ;   in Loop: Header=BB373_638 Depth=1
	s_or_b32 exec_lo, exec_lo, s24
.LBB373_1124:                           ;   in Loop: Header=BB373_638 Depth=1
	s_or_b32 exec_lo, exec_lo, s22
.LBB373_1125:                           ;   in Loop: Header=BB373_638 Depth=1
	s_or_b32 exec_lo, exec_lo, s21
	s_mov_b32 s21, exec_lo
	v_cmpx_lt_u64_e64 s[4:5], v[18:19]
	s_cbranch_execz .LBB373_1133
; %bb.1126:                             ;   in Loop: Header=BB373_638 Depth=1
	v_cmp_ne_u32_sdwa s0, v19, v38 src0_sel:BYTE_3 src1_sel:DWORD
	v_bfrev_b32_e32 v21, 1
	s_and_saveexec_b32 s22, s0
	s_cbranch_execz .LBB373_1132
; %bb.1127:                             ;   in Loop: Header=BB373_638 Depth=1
	v_bfe_u32 v113, v19, 24, 7
	v_mov_b32_e32 v21, 0x7f800001
	s_mov_b32 s24, exec_lo
	v_cmpx_ne_u32_e32 0x7f, v113
	s_cbranch_execz .LBB373_1131
; %bb.1128:                             ;   in Loop: Header=BB373_638 Depth=1
	v_and_b32_sdwa v10, v19, v41 dst_sel:DWORD dst_unused:UNUSED_PAD src0_sel:BYTE_3 src1_sel:DWORD
	v_lshrrev_b32_e32 v18, 3, v113
	s_mov_b32 s25, exec_lo
	v_cmpx_gt_u32_e32 8, v113
; %bb.1129:                             ;   in Loop: Header=BB373_638 Depth=1
	v_ffbh_u32_e32 v14, v10
	v_min_u32_e32 v14, 32, v14
	v_subrev_nc_u32_e32 v15, 28, v14
	v_sub_nc_u32_e32 v18, 29, v14
	v_lshlrev_b64 v[113:114], v15, v[10:11]
	v_and_b32_e32 v10, 7, v113
; %bb.1130:                             ;   in Loop: Header=BB373_638 Depth=1
	s_or_b32 exec_lo, exec_lo, s25
	v_lshlrev_b32_sdwa v14, v42, v19 dst_sel:DWORD dst_unused:UNUSED_PAD src0_sel:DWORD src1_sel:BYTE_3
	v_lshlrev_b32_e32 v10, 20, v10
	v_lshl_add_u32 v15, v18, 23, 0x3c000000
	v_and_b32_e32 v14, 0x80000000, v14
	v_or3_b32 v21, v10, v14, v15
.LBB373_1131:                           ;   in Loop: Header=BB373_638 Depth=1
	s_or_b32 exec_lo, exec_lo, s24
.LBB373_1132:                           ;   in Loop: Header=BB373_638 Depth=1
	s_or_b32 exec_lo, exec_lo, s22
.LBB373_1133:                           ;   in Loop: Header=BB373_638 Depth=1
	s_or_b32 exec_lo, exec_lo, s21
	v_mul_f32_e32 v10, s18, v20
	v_mul_f32_e32 v14, s18, v111
	;; [unrolled: 1-line block ×5, first 2 shown]
	v_bfe_u32 v19, v10, 16, 1
	v_or_b32_e32 v20, 0x400000, v10
	v_bfe_u32 v107, v14, 16, 1
	v_cmp_u_f32_e64 s0, v10, v10
	v_or_b32_e32 v110, 0x400000, v14
	v_add3_u32 v19, v19, v10, 0x7fff
	v_bfe_u32 v111, v15, 16, 1
	v_add3_u32 v107, v107, v14, 0x7fff
	v_or_b32_e32 v113, 0x400000, v15
	v_bfe_u32 v114, v18, 16, 1
	v_cndmask_b32_e64 v10, v19, v20, s0
	v_cmp_u_f32_e64 s0, v14, v14
	v_add3_u32 v111, v111, v15, 0x7fff
	v_or_b32_e32 v20, 0x400000, v18
	v_add3_u32 v19, v114, v18, 0x7fff
	v_cndmask_b32_e64 v14, v107, v110, s0
	v_cmp_u_f32_e64 s0, v15, v15
	v_lshrrev_b32_e32 v107, 16, v10
	v_mul_f32_e32 v10, s18, v108
	v_lshrrev_b32_e32 v108, 16, v14
	v_cndmask_b32_e64 v15, v111, v113, s0
	v_cmp_u_f32_e64 s0, v18, v18
	v_bfe_u32 v14, v10, 16, 1
	v_mul_f32_e32 v18, s18, v109
	v_or_b32_e32 v113, 0x400000, v21
	v_lshrrev_b32_e32 v110, 16, v15
	v_cndmask_b32_e64 v15, v19, v20, s0
	v_mul_f32_e32 v19, s18, v112
	v_add3_u32 v14, v14, v10, 0x7fff
	v_or_b32_e32 v20, 0x400000, v10
	v_bfe_u32 v109, v18, 16, 1
	v_cmp_u_f32_e64 s0, v10, v10
	v_bfe_u32 v111, v19, 16, 1
	v_or_b32_e32 v112, 0x400000, v19
	v_cndmask_b32_e64 v10, v14, v20, s0
	v_add3_u32 v20, v109, v18, 0x7fff
	v_or_b32_e32 v109, 0x400000, v18
	v_cmp_u_f32_e64 s0, v18, v18
	v_bfe_u32 v14, v21, 16, 1
	v_add3_u32 v111, v111, v19, 0x7fff
	v_lshrrev_b32_e32 v114, 16, v10
	v_cndmask_b32_e64 v18, v20, v109, s0
	v_cmp_u_f32_e64 s0, v19, v19
	v_add3_u32 v14, v14, v21, 0x7fff
	v_cndmask_b32_e64 v19, v111, v112, s0
	v_cmp_u_f32_e64 s0, v21, v21
	v_lshrrev_b32_e32 v112, 16, v15
	v_lshrrev_b32_e32 v109, 16, v19
	v_cndmask_b32_e64 v14, v14, v113, s0
	v_lshrrev_b32_e32 v113, 16, v18
	v_lshrrev_b32_e32 v111, 16, v14
	s_and_saveexec_b32 s21, vcc_lo
	s_cbranch_execz .LBB373_1135
; %bb.1134:                             ;   in Loop: Header=BB373_638 Depth=1
	v_cmp_gt_i32_e64 s0, s31, v62
	v_cndmask_b32_e64 v113, 0, v113, s0
	v_cmp_gt_i32_e64 s0, s31, v69
	v_cndmask_b32_e64 v114, 0, v114, s0
	;; [unrolled: 2-line block ×8, first 2 shown]
.LBB373_1135:                           ;   in Loop: Header=BB373_638 Depth=1
	s_or_b32 exec_lo, exec_lo, s21
	v_add_co_u32 v16, s0, 0x800, v16
	v_add_co_ci_u32_e64 v17, null, 0, v17, s0
	v_mov_b32_e32 v118, 0
	v_mov_b32_e32 v115, 0
	global_load_dwordx2 v[18:19], v[16:17], off
	s_waitcnt vmcnt(0)
	v_cmp_ne_u16_sdwa s0, v18, v11 src0_sel:BYTE_0 src1_sel:DWORD
	s_and_saveexec_b32 s21, s0
	s_cbranch_execz .LBB373_1141
; %bb.1136:                             ;   in Loop: Header=BB373_638 Depth=1
	v_cmp_ne_u16_sdwa s0, v18, v38 src0_sel:BYTE_0 src1_sel:DWORD
	v_bfrev_b32_e32 v115, 1
	s_and_saveexec_b32 s22, s0
	s_cbranch_execz .LBB373_1140
; %bb.1137:                             ;   in Loop: Header=BB373_638 Depth=1
	v_and_b32_e32 v10, 0x7f, v18
	v_mov_b32_e32 v115, 0x7f800001
	s_mov_b32 s24, exec_lo
	v_cmpx_ne_u32_e32 0x7f, v10
	s_cbranch_execz .LBB373_1139
; %bb.1138:                             ;   in Loop: Header=BB373_638 Depth=1
	v_and_b32_e32 v14, 7, v18
	v_lshrrev_b32_e32 v15, 3, v10
	v_cmp_gt_u32_e64 s0, 8, v10
	v_ffbh_u32_e32 v14, v14
	v_min_u32_e32 v14, 32, v14
	v_subrev_nc_u32_e32 v20, 28, v14
	v_sub_nc_u32_e32 v14, 29, v14
	v_cndmask_b32_e64 v10, v15, v14, s0
	v_cndmask_b32_e64 v14, 0, v20, s0
	v_lshl_add_u32 v10, v10, 23, 0x3c000000
	v_lshlrev_b64 v[20:21], v14, v[18:19]
	v_lshlrev_b32_e32 v14, 24, v18
	v_and_b32_e32 v14, 0x80000000, v14
	v_lshlrev_b32_e32 v15, 20, v20
	v_and_b32_e32 v15, 0x700000, v15
	v_or3_b32 v115, v15, v14, v10
.LBB373_1139:                           ;   in Loop: Header=BB373_638 Depth=1
	s_or_b32 exec_lo, exec_lo, s24
.LBB373_1140:                           ;   in Loop: Header=BB373_638 Depth=1
	s_or_b32 exec_lo, exec_lo, s22
.LBB373_1141:                           ;   in Loop: Header=BB373_638 Depth=1
	s_or_b32 exec_lo, exec_lo, s21
	v_cmp_ne_u16_sdwa s0, v18, v11 src0_sel:BYTE_1 src1_sel:DWORD
	s_and_saveexec_b32 s21, s0
	s_cbranch_execz .LBB373_1149
; %bb.1142:                             ;   in Loop: Header=BB373_638 Depth=1
	v_cmp_ne_u16_sdwa s0, v18, v38 src0_sel:BYTE_1 src1_sel:DWORD
	v_bfrev_b32_e32 v118, 1
	s_and_saveexec_b32 s22, s0
	s_cbranch_execz .LBB373_1148
; %bb.1143:                             ;   in Loop: Header=BB373_638 Depth=1
	v_and_b32_sdwa v10, v39, v18 dst_sel:DWORD dst_unused:UNUSED_PAD src0_sel:DWORD src1_sel:BYTE_1
	v_mov_b32_e32 v118, 0x7f800001
	s_mov_b32 s24, exec_lo
	v_and_b32_e32 v21, 0x7f, v10
	v_cmpx_ne_u32_e32 0x7f, v21
	s_cbranch_execz .LBB373_1147
; %bb.1144:                             ;   in Loop: Header=BB373_638 Depth=1
	v_and_b32_e32 v10, 7, v10
	v_lshrrev_b32_e32 v20, 3, v21
	s_mov_b32 s25, exec_lo
	v_cmpx_gt_u32_e32 8, v21
; %bb.1145:                             ;   in Loop: Header=BB373_638 Depth=1
	v_ffbh_u32_e32 v14, v10
	v_min_u32_e32 v14, 32, v14
	v_subrev_nc_u32_e32 v15, 28, v14
	v_sub_nc_u32_e32 v20, 29, v14
	v_lshlrev_b64 v[116:117], v15, v[10:11]
	v_and_b32_e32 v10, 7, v116
; %bb.1146:                             ;   in Loop: Header=BB373_638 Depth=1
	s_or_b32 exec_lo, exec_lo, s25
	v_lshlrev_b32_e32 v14, 16, v18
	v_lshlrev_b32_e32 v10, 20, v10
	v_lshl_add_u32 v15, v20, 23, 0x3c000000
	v_and_b32_e32 v14, 0x80000000, v14
	v_or3_b32 v118, v10, v14, v15
.LBB373_1147:                           ;   in Loop: Header=BB373_638 Depth=1
	s_or_b32 exec_lo, exec_lo, s24
.LBB373_1148:                           ;   in Loop: Header=BB373_638 Depth=1
	s_or_b32 exec_lo, exec_lo, s22
.LBB373_1149:                           ;   in Loop: Header=BB373_638 Depth=1
	s_or_b32 exec_lo, exec_lo, s21
	v_and_b32_sdwa v10, v18, v40 dst_sel:DWORD dst_unused:UNUSED_PAD src0_sel:WORD_1 src1_sel:DWORD
	v_mov_b32_e32 v116, 0
	v_mov_b32_e32 v117, 0
	s_mov_b32 s21, exec_lo
	v_cmpx_ne_u16_e32 0, v10
	s_cbranch_execz .LBB373_1157
; %bb.1150:                             ;   in Loop: Header=BB373_638 Depth=1
	v_bfrev_b32_e32 v117, 1
	s_mov_b32 s22, exec_lo
	v_cmpx_ne_u16_e32 0x80, v10
	s_cbranch_execz .LBB373_1156
; %bb.1151:                             ;   in Loop: Header=BB373_638 Depth=1
	v_bfe_u32 v21, v18, 16, 7
	v_mov_b32_e32 v117, 0x7f800001
	s_mov_b32 s24, exec_lo
	v_cmpx_ne_u32_e32 0x7f, v21
	s_cbranch_execz .LBB373_1155
; %bb.1152:                             ;   in Loop: Header=BB373_638 Depth=1
	v_and_b32_sdwa v10, v18, v41 dst_sel:DWORD dst_unused:UNUSED_PAD src0_sel:WORD_1 src1_sel:DWORD
	v_lshrrev_b32_e32 v20, 3, v21
	s_mov_b32 s25, exec_lo
	v_cmpx_gt_u32_e32 8, v21
; %bb.1153:                             ;   in Loop: Header=BB373_638 Depth=1
	v_ffbh_u32_e32 v14, v10
	v_min_u32_e32 v14, 32, v14
	v_subrev_nc_u32_e32 v15, 28, v14
	v_sub_nc_u32_e32 v20, 29, v14
	v_lshlrev_b64 v[119:120], v15, v[10:11]
	v_and_b32_e32 v10, 7, v119
; %bb.1154:                             ;   in Loop: Header=BB373_638 Depth=1
	s_or_b32 exec_lo, exec_lo, s25
	v_lshlrev_b32_sdwa v14, v42, v18 dst_sel:DWORD dst_unused:UNUSED_PAD src0_sel:DWORD src1_sel:WORD_1
	v_lshlrev_b32_e32 v10, 20, v10
	v_lshl_add_u32 v15, v20, 23, 0x3c000000
	v_and_b32_e32 v14, 0x80000000, v14
	v_or3_b32 v117, v10, v14, v15
.LBB373_1155:                           ;   in Loop: Header=BB373_638 Depth=1
	s_or_b32 exec_lo, exec_lo, s24
.LBB373_1156:                           ;   in Loop: Header=BB373_638 Depth=1
	s_or_b32 exec_lo, exec_lo, s22
.LBB373_1157:                           ;   in Loop: Header=BB373_638 Depth=1
	s_or_b32 exec_lo, exec_lo, s21
	s_mov_b32 s21, exec_lo
	v_cmpx_lt_u32_e32 0xffffff, v18
	s_cbranch_execz .LBB373_1165
; %bb.1158:                             ;   in Loop: Header=BB373_638 Depth=1
	v_cmp_ne_u32_sdwa s0, v18, v38 src0_sel:BYTE_3 src1_sel:DWORD
	v_bfrev_b32_e32 v116, 1
	s_and_saveexec_b32 s22, s0
	s_cbranch_execz .LBB373_1164
; %bb.1159:                             ;   in Loop: Header=BB373_638 Depth=1
	v_bfe_u32 v21, v18, 24, 7
	v_mov_b32_e32 v116, 0x7f800001
	s_mov_b32 s24, exec_lo
	v_cmpx_ne_u32_e32 0x7f, v21
	s_cbranch_execz .LBB373_1163
; %bb.1160:                             ;   in Loop: Header=BB373_638 Depth=1
	v_and_b32_sdwa v10, v18, v41 dst_sel:DWORD dst_unused:UNUSED_PAD src0_sel:BYTE_3 src1_sel:DWORD
	v_lshrrev_b32_e32 v20, 3, v21
	s_mov_b32 s25, exec_lo
	v_cmpx_gt_u32_e32 8, v21
; %bb.1161:                             ;   in Loop: Header=BB373_638 Depth=1
	v_ffbh_u32_e32 v14, v10
	v_min_u32_e32 v14, 32, v14
	v_subrev_nc_u32_e32 v15, 28, v14
	v_sub_nc_u32_e32 v20, 29, v14
	v_lshlrev_b64 v[119:120], v15, v[10:11]
	v_and_b32_e32 v10, 7, v119
; %bb.1162:                             ;   in Loop: Header=BB373_638 Depth=1
	s_or_b32 exec_lo, exec_lo, s25
	v_lshlrev_b32_sdwa v14, v42, v18 dst_sel:DWORD dst_unused:UNUSED_PAD src0_sel:DWORD src1_sel:BYTE_3
	v_lshlrev_b32_e32 v10, 20, v10
	v_lshl_add_u32 v15, v20, 23, 0x3c000000
	v_and_b32_e32 v14, 0x80000000, v14
	v_or3_b32 v116, v10, v14, v15
.LBB373_1163:                           ;   in Loop: Header=BB373_638 Depth=1
	s_or_b32 exec_lo, exec_lo, s24
.LBB373_1164:                           ;   in Loop: Header=BB373_638 Depth=1
	s_or_b32 exec_lo, exec_lo, s22
.LBB373_1165:                           ;   in Loop: Header=BB373_638 Depth=1
	s_or_b32 exec_lo, exec_lo, s21
	v_mov_b32_e32 v10, v19
	v_cmp_ne_u16_sdwa s0, v19, v11 src0_sel:BYTE_0 src1_sel:DWORD
	v_mov_b32_e32 v20, 0
	v_mov_b32_e32 v121, 0
	s_and_saveexec_b32 s21, s0
	s_cbranch_execz .LBB373_1171
; %bb.1166:                             ;   in Loop: Header=BB373_638 Depth=1
	v_cmp_ne_u16_sdwa s0, v19, v38 src0_sel:BYTE_0 src1_sel:DWORD
	v_bfrev_b32_e32 v121, 1
	s_and_saveexec_b32 s22, s0
	s_cbranch_execz .LBB373_1170
; %bb.1167:                             ;   in Loop: Header=BB373_638 Depth=1
	v_and_b32_e32 v21, 0x7f, v19
	v_mov_b32_e32 v121, 0x7f800001
	s_mov_b32 s24, exec_lo
	v_cmpx_ne_u32_e32 0x7f, v21
	s_cbranch_execz .LBB373_1169
; %bb.1168:                             ;   in Loop: Header=BB373_638 Depth=1
	v_and_b32_e32 v14, 7, v19
	v_lshrrev_b32_e32 v15, 3, v21
	v_cmp_gt_u32_e64 s0, 8, v21
	v_ffbh_u32_e32 v14, v14
	v_min_u32_e32 v14, 32, v14
	v_subrev_nc_u32_e32 v119, 28, v14
	v_sub_nc_u32_e32 v14, 29, v14
	v_cndmask_b32_e64 v14, v15, v14, s0
	v_cndmask_b32_e64 v15, 0, v119, s0
	v_lshl_add_u32 v14, v14, 23, 0x3c000000
	v_lshlrev_b64 v[119:120], v15, v[10:11]
	v_lshlrev_b32_e32 v15, 24, v10
	v_and_b32_e32 v15, 0x80000000, v15
	v_lshlrev_b32_e32 v21, 20, v119
	v_and_b32_e32 v21, 0x700000, v21
	v_or3_b32 v121, v21, v15, v14
.LBB373_1169:                           ;   in Loop: Header=BB373_638 Depth=1
	s_or_b32 exec_lo, exec_lo, s24
.LBB373_1170:                           ;   in Loop: Header=BB373_638 Depth=1
	s_or_b32 exec_lo, exec_lo, s22
.LBB373_1171:                           ;   in Loop: Header=BB373_638 Depth=1
	s_or_b32 exec_lo, exec_lo, s21
	v_cmp_ne_u16_sdwa s0, v10, v11 src0_sel:BYTE_1 src1_sel:DWORD
	s_and_saveexec_b32 s21, s0
	s_cbranch_execz .LBB373_1179
; %bb.1172:                             ;   in Loop: Header=BB373_638 Depth=1
	v_cmp_ne_u16_sdwa s0, v10, v38 src0_sel:BYTE_1 src1_sel:DWORD
	v_bfrev_b32_e32 v20, 1
	s_and_saveexec_b32 s22, s0
	s_cbranch_execz .LBB373_1178
; %bb.1173:                             ;   in Loop: Header=BB373_638 Depth=1
	v_and_b32_sdwa v21, v39, v10 dst_sel:DWORD dst_unused:UNUSED_PAD src0_sel:DWORD src1_sel:BYTE_1
	v_mov_b32_e32 v20, 0x7f800001
	s_mov_b32 s24, exec_lo
	v_and_b32_e32 v120, 0x7f, v21
	v_cmpx_ne_u32_e32 0x7f, v120
	s_cbranch_execz .LBB373_1177
; %bb.1174:                             ;   in Loop: Header=BB373_638 Depth=1
	v_and_b32_e32 v20, 7, v21
	v_mov_b32_e32 v21, v11
	v_lshrrev_b32_e32 v119, 3, v120
	s_mov_b32 s25, exec_lo
	v_cmpx_gt_u32_e32 8, v120
; %bb.1175:                             ;   in Loop: Header=BB373_638 Depth=1
	v_ffbh_u32_e32 v14, v20
	v_min_u32_e32 v14, 32, v14
	v_subrev_nc_u32_e32 v15, 28, v14
	v_sub_nc_u32_e32 v119, 29, v14
	v_lshlrev_b64 v[20:21], v15, v[20:21]
	v_and_b32_e32 v20, 7, v20
; %bb.1176:                             ;   in Loop: Header=BB373_638 Depth=1
	s_or_b32 exec_lo, exec_lo, s25
	v_lshlrev_b32_e32 v10, 16, v10
	v_lshlrev_b32_e32 v14, 20, v20
	v_lshl_add_u32 v15, v119, 23, 0x3c000000
	v_and_b32_e32 v10, 0x80000000, v10
	v_or3_b32 v20, v14, v10, v15
.LBB373_1177:                           ;   in Loop: Header=BB373_638 Depth=1
	s_or_b32 exec_lo, exec_lo, s24
.LBB373_1178:                           ;   in Loop: Header=BB373_638 Depth=1
	s_or_b32 exec_lo, exec_lo, s22
.LBB373_1179:                           ;   in Loop: Header=BB373_638 Depth=1
	s_or_b32 exec_lo, exec_lo, s21
	v_and_b32_sdwa v10, v19, v40 dst_sel:DWORD dst_unused:UNUSED_PAD src0_sel:WORD_1 src1_sel:DWORD
	v_mov_b32_e32 v119, 0
	v_mov_b32_e32 v120, 0
	s_mov_b32 s21, exec_lo
	v_cmpx_ne_u16_e32 0, v10
	s_cbranch_execz .LBB373_1187
; %bb.1180:                             ;   in Loop: Header=BB373_638 Depth=1
	v_bfrev_b32_e32 v120, 1
	s_mov_b32 s22, exec_lo
	v_cmpx_ne_u16_e32 0x80, v10
	s_cbranch_execz .LBB373_1186
; %bb.1181:                             ;   in Loop: Header=BB373_638 Depth=1
	v_bfe_u32 v122, v19, 16, 7
	v_mov_b32_e32 v120, 0x7f800001
	s_mov_b32 s24, exec_lo
	v_cmpx_ne_u32_e32 0x7f, v122
	s_cbranch_execz .LBB373_1185
; %bb.1182:                             ;   in Loop: Header=BB373_638 Depth=1
	v_and_b32_sdwa v10, v19, v41 dst_sel:DWORD dst_unused:UNUSED_PAD src0_sel:WORD_1 src1_sel:DWORD
	v_lshrrev_b32_e32 v21, 3, v122
	s_mov_b32 s25, exec_lo
	v_cmpx_gt_u32_e32 8, v122
; %bb.1183:                             ;   in Loop: Header=BB373_638 Depth=1
	v_ffbh_u32_e32 v14, v10
	v_min_u32_e32 v14, 32, v14
	v_subrev_nc_u32_e32 v15, 28, v14
	v_sub_nc_u32_e32 v21, 29, v14
	v_lshlrev_b64 v[122:123], v15, v[10:11]
	v_and_b32_e32 v10, 7, v122
; %bb.1184:                             ;   in Loop: Header=BB373_638 Depth=1
	s_or_b32 exec_lo, exec_lo, s25
	v_lshlrev_b32_sdwa v14, v42, v19 dst_sel:DWORD dst_unused:UNUSED_PAD src0_sel:DWORD src1_sel:WORD_1
	v_lshlrev_b32_e32 v10, 20, v10
	v_lshl_add_u32 v15, v21, 23, 0x3c000000
	v_and_b32_e32 v14, 0x80000000, v14
	v_or3_b32 v120, v10, v14, v15
.LBB373_1185:                           ;   in Loop: Header=BB373_638 Depth=1
	s_or_b32 exec_lo, exec_lo, s24
.LBB373_1186:                           ;   in Loop: Header=BB373_638 Depth=1
	s_or_b32 exec_lo, exec_lo, s22
.LBB373_1187:                           ;   in Loop: Header=BB373_638 Depth=1
	s_or_b32 exec_lo, exec_lo, s21
	s_mov_b32 s21, exec_lo
	v_cmpx_lt_u64_e64 s[4:5], v[18:19]
	s_cbranch_execz .LBB373_1195
; %bb.1188:                             ;   in Loop: Header=BB373_638 Depth=1
	v_cmp_ne_u32_sdwa s0, v19, v38 src0_sel:BYTE_3 src1_sel:DWORD
	v_bfrev_b32_e32 v119, 1
	s_and_saveexec_b32 s22, s0
	s_cbranch_execz .LBB373_1194
; %bb.1189:                             ;   in Loop: Header=BB373_638 Depth=1
	v_bfe_u32 v21, v19, 24, 7
	v_mov_b32_e32 v119, 0x7f800001
	s_mov_b32 s24, exec_lo
	v_cmpx_ne_u32_e32 0x7f, v21
	s_cbranch_execz .LBB373_1193
; %bb.1190:                             ;   in Loop: Header=BB373_638 Depth=1
	v_and_b32_sdwa v10, v19, v41 dst_sel:DWORD dst_unused:UNUSED_PAD src0_sel:BYTE_3 src1_sel:DWORD
	v_lshrrev_b32_e32 v18, 3, v21
	s_mov_b32 s25, exec_lo
	v_cmpx_gt_u32_e32 8, v21
; %bb.1191:                             ;   in Loop: Header=BB373_638 Depth=1
	v_ffbh_u32_e32 v14, v10
	v_min_u32_e32 v14, 32, v14
	v_subrev_nc_u32_e32 v15, 28, v14
	v_sub_nc_u32_e32 v18, 29, v14
	v_lshlrev_b64 v[122:123], v15, v[10:11]
	v_and_b32_e32 v10, 7, v122
; %bb.1192:                             ;   in Loop: Header=BB373_638 Depth=1
	s_or_b32 exec_lo, exec_lo, s25
	v_lshlrev_b32_sdwa v14, v42, v19 dst_sel:DWORD dst_unused:UNUSED_PAD src0_sel:DWORD src1_sel:BYTE_3
	v_lshlrev_b32_e32 v10, 20, v10
	v_lshl_add_u32 v15, v18, 23, 0x3c000000
	v_and_b32_e32 v14, 0x80000000, v14
	v_or3_b32 v119, v10, v14, v15
.LBB373_1193:                           ;   in Loop: Header=BB373_638 Depth=1
	s_or_b32 exec_lo, exec_lo, s24
.LBB373_1194:                           ;   in Loop: Header=BB373_638 Depth=1
	s_or_b32 exec_lo, exec_lo, s22
.LBB373_1195:                           ;   in Loop: Header=BB373_638 Depth=1
	s_or_b32 exec_lo, exec_lo, s21
	v_mul_f32_e32 v10, s18, v20
	v_bfe_u32 v14, v10, 16, 1
	v_or_b32_e32 v15, 0x400000, v10
	v_cmp_u_f32_e64 s0, v10, v10
	v_add3_u32 v14, v14, v10, 0x7fff
	v_cndmask_b32_e64 v10, v14, v15, s0
	v_lshrrev_b32_e32 v20, 16, v10
	v_mul_f32_e32 v10, s18, v121
	v_bfe_u32 v14, v10, 16, 1
	v_or_b32_e32 v15, 0x400000, v10
	v_cmp_u_f32_e64 s0, v10, v10
	v_add3_u32 v14, v14, v10, 0x7fff
	v_cndmask_b32_e64 v10, v14, v15, s0
	v_lshrrev_b32_e32 v21, 16, v10
	;; [unrolled: 7-line block ×8, first 2 shown]
	s_and_saveexec_b32 s21, vcc_lo
	s_cbranch_execz .LBB373_1197
; %bb.1196:                             ;   in Loop: Header=BB373_638 Depth=1
	v_cmp_gt_i32_e64 s0, s31, v62
	v_cndmask_b32_e64 v122, 0, v122, s0
	v_cmp_gt_i32_e64 s0, s31, v69
	v_cndmask_b32_e64 v121, 0, v121, s0
	;; [unrolled: 2-line block ×8, first 2 shown]
.LBB373_1197:                           ;   in Loop: Header=BB373_638 Depth=1
	s_or_b32 exec_lo, exec_lo, s21
	global_load_dwordx2 v[16:17], v[16:17], off offset:256
	v_mov_b32_e32 v115, 0
	v_mov_b32_e32 v118, 0
	s_waitcnt vmcnt(0)
	v_cmp_ne_u16_sdwa s0, v16, v11 src0_sel:BYTE_0 src1_sel:DWORD
	s_and_saveexec_b32 s21, s0
	s_cbranch_execz .LBB373_1203
; %bb.1198:                             ;   in Loop: Header=BB373_638 Depth=1
	v_cmp_ne_u16_sdwa s0, v16, v38 src0_sel:BYTE_0 src1_sel:DWORD
	v_bfrev_b32_e32 v118, 1
	s_and_saveexec_b32 s22, s0
	s_cbranch_execz .LBB373_1202
; %bb.1199:                             ;   in Loop: Header=BB373_638 Depth=1
	v_and_b32_e32 v10, 0x7f, v16
	v_mov_b32_e32 v118, 0x7f800001
	s_mov_b32 s24, exec_lo
	v_cmpx_ne_u32_e32 0x7f, v10
	s_cbranch_execz .LBB373_1201
; %bb.1200:                             ;   in Loop: Header=BB373_638 Depth=1
	v_and_b32_e32 v14, 7, v16
	v_lshrrev_b32_e32 v15, 3, v10
	v_cmp_gt_u32_e64 s0, 8, v10
	v_ffbh_u32_e32 v14, v14
	v_min_u32_e32 v14, 32, v14
	v_subrev_nc_u32_e32 v18, 28, v14
	v_sub_nc_u32_e32 v14, 29, v14
	v_cndmask_b32_e64 v10, v15, v14, s0
	v_cndmask_b32_e64 v14, 0, v18, s0
	v_lshl_add_u32 v10, v10, 23, 0x3c000000
	v_lshlrev_b64 v[18:19], v14, v[16:17]
	v_lshlrev_b32_e32 v14, 24, v16
	v_and_b32_e32 v14, 0x80000000, v14
	v_lshlrev_b32_e32 v15, 20, v18
	v_and_b32_e32 v15, 0x700000, v15
	v_or3_b32 v118, v15, v14, v10
.LBB373_1201:                           ;   in Loop: Header=BB373_638 Depth=1
	s_or_b32 exec_lo, exec_lo, s24
.LBB373_1202:                           ;   in Loop: Header=BB373_638 Depth=1
	s_or_b32 exec_lo, exec_lo, s22
.LBB373_1203:                           ;   in Loop: Header=BB373_638 Depth=1
	s_or_b32 exec_lo, exec_lo, s21
	v_cmp_ne_u16_sdwa s0, v16, v11 src0_sel:BYTE_1 src1_sel:DWORD
	s_and_saveexec_b32 s21, s0
	s_cbranch_execz .LBB373_1211
; %bb.1204:                             ;   in Loop: Header=BB373_638 Depth=1
	v_cmp_ne_u16_sdwa s0, v16, v38 src0_sel:BYTE_1 src1_sel:DWORD
	v_bfrev_b32_e32 v115, 1
	s_and_saveexec_b32 s22, s0
	s_cbranch_execz .LBB373_1210
; %bb.1205:                             ;   in Loop: Header=BB373_638 Depth=1
	v_and_b32_sdwa v10, v39, v16 dst_sel:DWORD dst_unused:UNUSED_PAD src0_sel:DWORD src1_sel:BYTE_1
	v_mov_b32_e32 v115, 0x7f800001
	s_mov_b32 s24, exec_lo
	v_and_b32_e32 v19, 0x7f, v10
	v_cmpx_ne_u32_e32 0x7f, v19
	s_cbranch_execz .LBB373_1209
; %bb.1206:                             ;   in Loop: Header=BB373_638 Depth=1
	v_and_b32_e32 v10, 7, v10
	v_lshrrev_b32_e32 v18, 3, v19
	s_mov_b32 s25, exec_lo
	v_cmpx_gt_u32_e32 8, v19
; %bb.1207:                             ;   in Loop: Header=BB373_638 Depth=1
	v_ffbh_u32_e32 v14, v10
	v_min_u32_e32 v14, 32, v14
	v_subrev_nc_u32_e32 v15, 28, v14
	v_sub_nc_u32_e32 v18, 29, v14
	v_lshlrev_b64 v[124:125], v15, v[10:11]
	v_and_b32_e32 v10, 7, v124
; %bb.1208:                             ;   in Loop: Header=BB373_638 Depth=1
	s_or_b32 exec_lo, exec_lo, s25
	v_lshlrev_b32_e32 v14, 16, v16
	v_lshlrev_b32_e32 v10, 20, v10
	v_lshl_add_u32 v15, v18, 23, 0x3c000000
	v_and_b32_e32 v14, 0x80000000, v14
	v_or3_b32 v115, v10, v14, v15
.LBB373_1209:                           ;   in Loop: Header=BB373_638 Depth=1
	s_or_b32 exec_lo, exec_lo, s24
.LBB373_1210:                           ;   in Loop: Header=BB373_638 Depth=1
	s_or_b32 exec_lo, exec_lo, s22
.LBB373_1211:                           ;   in Loop: Header=BB373_638 Depth=1
	s_or_b32 exec_lo, exec_lo, s21
	v_and_b32_sdwa v10, v16, v40 dst_sel:DWORD dst_unused:UNUSED_PAD src0_sel:WORD_1 src1_sel:DWORD
	v_mov_b32_e32 v124, 0
	v_mov_b32_e32 v119, 0
	s_mov_b32 s21, exec_lo
	v_cmpx_ne_u16_e32 0, v10
	s_cbranch_execz .LBB373_1219
; %bb.1212:                             ;   in Loop: Header=BB373_638 Depth=1
	v_bfrev_b32_e32 v119, 1
	s_mov_b32 s22, exec_lo
	v_cmpx_ne_u16_e32 0x80, v10
	s_cbranch_execz .LBB373_1218
; %bb.1213:                             ;   in Loop: Header=BB373_638 Depth=1
	v_bfe_u32 v19, v16, 16, 7
	v_mov_b32_e32 v119, 0x7f800001
	s_mov_b32 s24, exec_lo
	v_cmpx_ne_u32_e32 0x7f, v19
	s_cbranch_execz .LBB373_1217
; %bb.1214:                             ;   in Loop: Header=BB373_638 Depth=1
	v_and_b32_sdwa v10, v16, v41 dst_sel:DWORD dst_unused:UNUSED_PAD src0_sel:WORD_1 src1_sel:DWORD
	v_lshrrev_b32_e32 v18, 3, v19
	s_mov_b32 s25, exec_lo
	v_cmpx_gt_u32_e32 8, v19
; %bb.1215:                             ;   in Loop: Header=BB373_638 Depth=1
	v_ffbh_u32_e32 v14, v10
	v_min_u32_e32 v14, 32, v14
	v_subrev_nc_u32_e32 v15, 28, v14
	v_sub_nc_u32_e32 v18, 29, v14
	v_lshlrev_b64 v[125:126], v15, v[10:11]
	v_and_b32_e32 v10, 7, v125
; %bb.1216:                             ;   in Loop: Header=BB373_638 Depth=1
	s_or_b32 exec_lo, exec_lo, s25
	v_lshlrev_b32_sdwa v14, v42, v16 dst_sel:DWORD dst_unused:UNUSED_PAD src0_sel:DWORD src1_sel:WORD_1
	v_lshlrev_b32_e32 v10, 20, v10
	v_lshl_add_u32 v15, v18, 23, 0x3c000000
	v_and_b32_e32 v14, 0x80000000, v14
	v_or3_b32 v119, v10, v14, v15
.LBB373_1217:                           ;   in Loop: Header=BB373_638 Depth=1
	s_or_b32 exec_lo, exec_lo, s24
.LBB373_1218:                           ;   in Loop: Header=BB373_638 Depth=1
	s_or_b32 exec_lo, exec_lo, s22
.LBB373_1219:                           ;   in Loop: Header=BB373_638 Depth=1
	s_or_b32 exec_lo, exec_lo, s21
	s_mov_b32 s21, exec_lo
	v_cmpx_lt_u32_e32 0xffffff, v16
	s_cbranch_execz .LBB373_1227
; %bb.1220:                             ;   in Loop: Header=BB373_638 Depth=1
	v_cmp_ne_u32_sdwa s0, v16, v38 src0_sel:BYTE_3 src1_sel:DWORD
	v_bfrev_b32_e32 v124, 1
	s_and_saveexec_b32 s22, s0
	s_cbranch_execz .LBB373_1226
; %bb.1221:                             ;   in Loop: Header=BB373_638 Depth=1
	v_bfe_u32 v19, v16, 24, 7
	v_mov_b32_e32 v124, 0x7f800001
	s_mov_b32 s24, exec_lo
	v_cmpx_ne_u32_e32 0x7f, v19
	s_cbranch_execz .LBB373_1225
; %bb.1222:                             ;   in Loop: Header=BB373_638 Depth=1
	v_and_b32_sdwa v10, v16, v41 dst_sel:DWORD dst_unused:UNUSED_PAD src0_sel:BYTE_3 src1_sel:DWORD
	v_lshrrev_b32_e32 v18, 3, v19
	s_mov_b32 s25, exec_lo
	v_cmpx_gt_u32_e32 8, v19
; %bb.1223:                             ;   in Loop: Header=BB373_638 Depth=1
	v_ffbh_u32_e32 v14, v10
	v_min_u32_e32 v14, 32, v14
	v_subrev_nc_u32_e32 v15, 28, v14
	v_sub_nc_u32_e32 v18, 29, v14
	v_lshlrev_b64 v[124:125], v15, v[10:11]
	v_and_b32_e32 v10, 7, v124
; %bb.1224:                             ;   in Loop: Header=BB373_638 Depth=1
	s_or_b32 exec_lo, exec_lo, s25
	v_lshlrev_b32_sdwa v14, v42, v16 dst_sel:DWORD dst_unused:UNUSED_PAD src0_sel:DWORD src1_sel:BYTE_3
	v_lshlrev_b32_e32 v10, 20, v10
	v_lshl_add_u32 v15, v18, 23, 0x3c000000
	v_and_b32_e32 v14, 0x80000000, v14
	v_or3_b32 v124, v10, v14, v15
.LBB373_1225:                           ;   in Loop: Header=BB373_638 Depth=1
	s_or_b32 exec_lo, exec_lo, s24
.LBB373_1226:                           ;   in Loop: Header=BB373_638 Depth=1
	s_or_b32 exec_lo, exec_lo, s22
.LBB373_1227:                           ;   in Loop: Header=BB373_638 Depth=1
	s_or_b32 exec_lo, exec_lo, s21
	v_mov_b32_e32 v10, v17
	v_cmp_ne_u16_sdwa s0, v17, v11 src0_sel:BYTE_0 src1_sel:DWORD
	v_mov_b32_e32 v18, 0
	v_mov_b32_e32 v126, 0
	s_and_saveexec_b32 s21, s0
	s_cbranch_execz .LBB373_1233
; %bb.1228:                             ;   in Loop: Header=BB373_638 Depth=1
	v_cmp_ne_u16_sdwa s0, v17, v38 src0_sel:BYTE_0 src1_sel:DWORD
	v_bfrev_b32_e32 v126, 1
	s_and_saveexec_b32 s22, s0
	s_cbranch_execz .LBB373_1232
; %bb.1229:                             ;   in Loop: Header=BB373_638 Depth=1
	v_and_b32_e32 v19, 0x7f, v17
	v_mov_b32_e32 v126, 0x7f800001
	s_mov_b32 s24, exec_lo
	v_cmpx_ne_u32_e32 0x7f, v19
	s_cbranch_execz .LBB373_1231
; %bb.1230:                             ;   in Loop: Header=BB373_638 Depth=1
	v_and_b32_e32 v14, 7, v17
	v_lshrrev_b32_e32 v15, 3, v19
	v_cmp_gt_u32_e64 s0, 8, v19
	v_ffbh_u32_e32 v14, v14
	v_min_u32_e32 v14, 32, v14
	v_subrev_nc_u32_e32 v19, 28, v14
	v_sub_nc_u32_e32 v14, 29, v14
	v_cndmask_b32_e64 v14, v15, v14, s0
	v_cndmask_b32_e64 v15, 0, v19, s0
	v_lshlrev_b32_e32 v19, 24, v10
	v_lshl_add_u32 v14, v14, 23, 0x3c000000
	v_lshlrev_b64 v[125:126], v15, v[10:11]
	v_and_b32_e32 v19, 0x80000000, v19
	v_lshlrev_b32_e32 v15, 20, v125
	v_and_b32_e32 v15, 0x700000, v15
	v_or3_b32 v126, v15, v19, v14
.LBB373_1231:                           ;   in Loop: Header=BB373_638 Depth=1
	s_or_b32 exec_lo, exec_lo, s24
.LBB373_1232:                           ;   in Loop: Header=BB373_638 Depth=1
	s_or_b32 exec_lo, exec_lo, s22
.LBB373_1233:                           ;   in Loop: Header=BB373_638 Depth=1
	s_or_b32 exec_lo, exec_lo, s21
	v_cmp_ne_u16_sdwa s0, v10, v11 src0_sel:BYTE_1 src1_sel:DWORD
	s_and_saveexec_b32 s21, s0
	s_cbranch_execz .LBB373_1241
; %bb.1234:                             ;   in Loop: Header=BB373_638 Depth=1
	v_cmp_ne_u16_sdwa s0, v10, v38 src0_sel:BYTE_1 src1_sel:DWORD
	v_bfrev_b32_e32 v18, 1
	s_and_saveexec_b32 s22, s0
	s_cbranch_execz .LBB373_1240
; %bb.1235:                             ;   in Loop: Header=BB373_638 Depth=1
	v_and_b32_sdwa v19, v39, v10 dst_sel:DWORD dst_unused:UNUSED_PAD src0_sel:DWORD src1_sel:BYTE_1
	v_mov_b32_e32 v18, 0x7f800001
	s_mov_b32 s24, exec_lo
	v_and_b32_e32 v127, 0x7f, v19
	v_cmpx_ne_u32_e32 0x7f, v127
	s_cbranch_execz .LBB373_1239
; %bb.1236:                             ;   in Loop: Header=BB373_638 Depth=1
	v_and_b32_e32 v18, 7, v19
	v_mov_b32_e32 v19, v11
	v_lshrrev_b32_e32 v125, 3, v127
	s_mov_b32 s25, exec_lo
	v_cmpx_gt_u32_e32 8, v127
; %bb.1237:                             ;   in Loop: Header=BB373_638 Depth=1
	v_ffbh_u32_e32 v14, v18
	v_min_u32_e32 v14, 32, v14
	v_subrev_nc_u32_e32 v15, 28, v14
	v_sub_nc_u32_e32 v125, 29, v14
	v_lshlrev_b64 v[18:19], v15, v[18:19]
	v_and_b32_e32 v18, 7, v18
; %bb.1238:                             ;   in Loop: Header=BB373_638 Depth=1
	s_or_b32 exec_lo, exec_lo, s25
	v_lshlrev_b32_e32 v10, 16, v10
	v_lshlrev_b32_e32 v14, 20, v18
	v_lshl_add_u32 v15, v125, 23, 0x3c000000
	v_and_b32_e32 v10, 0x80000000, v10
	v_or3_b32 v18, v14, v10, v15
.LBB373_1239:                           ;   in Loop: Header=BB373_638 Depth=1
	s_or_b32 exec_lo, exec_lo, s24
.LBB373_1240:                           ;   in Loop: Header=BB373_638 Depth=1
	s_or_b32 exec_lo, exec_lo, s22
.LBB373_1241:                           ;   in Loop: Header=BB373_638 Depth=1
	s_or_b32 exec_lo, exec_lo, s21
	v_and_b32_sdwa v10, v17, v40 dst_sel:DWORD dst_unused:UNUSED_PAD src0_sel:WORD_1 src1_sel:DWORD
	v_mov_b32_e32 v125, 0
	v_mov_b32_e32 v19, 0
	s_mov_b32 s21, exec_lo
	v_cmpx_ne_u16_e32 0, v10
	s_cbranch_execz .LBB373_1249
; %bb.1242:                             ;   in Loop: Header=BB373_638 Depth=1
	v_bfrev_b32_e32 v19, 1
	s_mov_b32 s22, exec_lo
	v_cmpx_ne_u16_e32 0x80, v10
	s_cbranch_execz .LBB373_1248
; %bb.1243:                             ;   in Loop: Header=BB373_638 Depth=1
	v_bfe_u32 v127, v17, 16, 7
	v_mov_b32_e32 v19, 0x7f800001
	s_mov_b32 s24, exec_lo
	v_cmpx_ne_u32_e32 0x7f, v127
	s_cbranch_execz .LBB373_1247
; %bb.1244:                             ;   in Loop: Header=BB373_638 Depth=1
	v_and_b32_sdwa v10, v17, v41 dst_sel:DWORD dst_unused:UNUSED_PAD src0_sel:WORD_1 src1_sel:DWORD
	v_lshrrev_b32_e32 v19, 3, v127
	s_mov_b32 s25, exec_lo
	v_cmpx_gt_u32_e32 8, v127
; %bb.1245:                             ;   in Loop: Header=BB373_638 Depth=1
	v_ffbh_u32_e32 v14, v10
	v_min_u32_e32 v19, 32, v14
	v_subrev_nc_u32_e32 v14, 28, v19
	v_sub_nc_u32_e32 v19, 29, v19
	v_lshlrev_b64 v[14:15], v14, v[10:11]
	v_and_b32_e32 v10, 7, v14
; %bb.1246:                             ;   in Loop: Header=BB373_638 Depth=1
	s_or_b32 exec_lo, exec_lo, s25
	v_lshlrev_b32_sdwa v14, v42, v17 dst_sel:DWORD dst_unused:UNUSED_PAD src0_sel:DWORD src1_sel:WORD_1
	v_lshlrev_b32_e32 v10, 20, v10
	v_lshl_add_u32 v15, v19, 23, 0x3c000000
	v_and_b32_e32 v14, 0x80000000, v14
	v_or3_b32 v19, v10, v14, v15
.LBB373_1247:                           ;   in Loop: Header=BB373_638 Depth=1
	s_or_b32 exec_lo, exec_lo, s24
.LBB373_1248:                           ;   in Loop: Header=BB373_638 Depth=1
	s_or_b32 exec_lo, exec_lo, s22
.LBB373_1249:                           ;   in Loop: Header=BB373_638 Depth=1
	s_or_b32 exec_lo, exec_lo, s21
	s_mov_b32 s21, exec_lo
	v_cmpx_lt_u64_e64 s[4:5], v[16:17]
	s_cbranch_execz .LBB373_1257
; %bb.1250:                             ;   in Loop: Header=BB373_638 Depth=1
	v_cmp_ne_u32_sdwa s0, v17, v38 src0_sel:BYTE_3 src1_sel:DWORD
	v_bfrev_b32_e32 v125, 1
	s_and_saveexec_b32 s22, s0
	s_cbranch_execz .LBB373_1256
; %bb.1251:                             ;   in Loop: Header=BB373_638 Depth=1
	v_bfe_u32 v127, v17, 24, 7
	v_mov_b32_e32 v125, 0x7f800001
	s_mov_b32 s24, exec_lo
	v_cmpx_ne_u32_e32 0x7f, v127
	s_cbranch_execz .LBB373_1255
; %bb.1252:                             ;   in Loop: Header=BB373_638 Depth=1
	v_and_b32_sdwa v10, v17, v41 dst_sel:DWORD dst_unused:UNUSED_PAD src0_sel:BYTE_3 src1_sel:DWORD
	v_lshrrev_b32_e32 v16, 3, v127
	s_mov_b32 s25, exec_lo
	v_cmpx_gt_u32_e32 8, v127
; %bb.1253:                             ;   in Loop: Header=BB373_638 Depth=1
	v_ffbh_u32_e32 v14, v10
	v_min_u32_e32 v16, 32, v14
	v_subrev_nc_u32_e32 v14, 28, v16
	v_sub_nc_u32_e32 v16, 29, v16
	v_lshlrev_b64 v[14:15], v14, v[10:11]
	v_and_b32_e32 v10, 7, v14
; %bb.1254:                             ;   in Loop: Header=BB373_638 Depth=1
	s_or_b32 exec_lo, exec_lo, s25
	v_lshlrev_b32_sdwa v14, v42, v17 dst_sel:DWORD dst_unused:UNUSED_PAD src0_sel:DWORD src1_sel:BYTE_3
	v_lshlrev_b32_e32 v10, 20, v10
	v_lshl_add_u32 v15, v16, 23, 0x3c000000
	v_and_b32_e32 v14, 0x80000000, v14
	v_or3_b32 v125, v10, v14, v15
.LBB373_1255:                           ;   in Loop: Header=BB373_638 Depth=1
	s_or_b32 exec_lo, exec_lo, s24
.LBB373_1256:                           ;   in Loop: Header=BB373_638 Depth=1
	s_or_b32 exec_lo, exec_lo, s22
.LBB373_1257:                           ;   in Loop: Header=BB373_638 Depth=1
	s_or_b32 exec_lo, exec_lo, s21
	v_mul_f32_e32 v10, s18, v18
	v_bfe_u32 v14, v10, 16, 1
	v_or_b32_e32 v15, 0x400000, v10
	v_cmp_u_f32_e64 s0, v10, v10
	v_add3_u32 v14, v14, v10, 0x7fff
	v_cndmask_b32_e64 v10, v14, v15, s0
	v_mul_f32_e32 v14, s18, v126
	v_lshrrev_b32_e32 v10, 16, v10
	v_bfe_u32 v15, v14, 16, 1
	v_or_b32_e32 v16, 0x400000, v14
	v_cmp_u_f32_e64 s0, v14, v14
	v_add3_u32 v15, v15, v14, 0x7fff
	v_cndmask_b32_e64 v14, v15, v16, s0
	v_lshrrev_b32_e32 v16, 16, v14
	v_mul_f32_e32 v14, s18, v124
	v_bfe_u32 v15, v14, 16, 1
	v_or_b32_e32 v17, 0x400000, v14
	v_cmp_u_f32_e64 s0, v14, v14
	v_add3_u32 v15, v15, v14, 0x7fff
	v_cndmask_b32_e64 v14, v15, v17, s0
	v_lshrrev_b32_e32 v17, 16, v14
	v_mul_f32_e32 v14, s18, v119
	;; [unrolled: 7-line block ×6, first 2 shown]
	v_bfe_u32 v15, v14, 16, 1
	v_or_b32_e32 v119, 0x400000, v14
	v_cmp_u_f32_e64 s0, v14, v14
	v_add3_u32 v15, v15, v14, 0x7fff
	v_cndmask_b32_e64 v14, v15, v119, s0
	v_lshrrev_b32_e32 v119, 16, v14
	s_and_saveexec_b32 s0, vcc_lo
	s_cbranch_execz .LBB373_636
; %bb.1258:                             ;   in Loop: Header=BB373_638 Depth=1
	v_cmp_gt_i32_e32 vcc_lo, s31, v62
	v_cndmask_b32_e32 v118, 0, v118, vcc_lo
	v_cmp_gt_i32_e32 vcc_lo, s31, v69
	v_cndmask_b32_e32 v115, 0, v115, vcc_lo
	v_cmp_gt_i32_e32 vcc_lo, s31, v68
	v_cndmask_b32_e32 v18, 0, v18, vcc_lo
	v_cmp_gt_i32_e32 vcc_lo, s31, v67
	v_cndmask_b32_e32 v17, 0, v17, vcc_lo
	v_cmp_gt_i32_e32 vcc_lo, s31, v66
	v_cndmask_b32_e32 v16, 0, v16, vcc_lo
	v_cmp_gt_i32_e32 vcc_lo, s31, v65
	v_cndmask_b32_e32 v10, 0, v10, vcc_lo
	v_cmp_gt_i32_e32 vcc_lo, s31, v64
	v_cndmask_b32_e32 v19, 0, v19, vcc_lo
	v_cmp_gt_i32_e32 vcc_lo, s31, v63
	v_cndmask_b32_e32 v119, 0, v119, vcc_lo
	s_branch .LBB373_636
.LBB373_1259:
	s_or_b32 exec_lo, exec_lo, s13
	buffer_load_dword v38, off, s[56:59], 0 offset:12 ; 4-byte Folded Reload
.LBB373_1260:
	s_or_b32 exec_lo, exec_lo, s1
	ds_bpermute_b32 v9, v26, v28
	ds_bpermute_b32 v8, v26, v29
	;; [unrolled: 1-line block ×10, first 2 shown]
	s_mov_b32 s0, exec_lo
	s_waitcnt lgkmcnt(9)
	v_add_f32_e32 v17, v28, v9
	buffer_load_dword v9, off, s[56:59], 0  ; 4-byte Folded Reload
	s_waitcnt lgkmcnt(8)
	v_add_f32_e32 v16, v29, v8
	s_waitcnt lgkmcnt(7)
	v_add_f32_e32 v0, v36, v0
	;; [unrolled: 2-line block ×9, first 2 shown]
	ds_bpermute_b32 v5, v25, v0
	ds_bpermute_b32 v6, v25, v1
	;; [unrolled: 1-line block ×10, first 2 shown]
	v_and_b32_e32 v25, 0x3c3, v27
	s_waitcnt lgkmcnt(7)
	v_add_f32_e32 v7, v2, v7
	s_waitcnt lgkmcnt(2)
	v_add_f32_e32 v2, v15, v22
	s_waitcnt vmcnt(0)
	v_and_b32_e32 v8, 28, v9
	v_lshrrev_b32_e32 v10, 2, v9
	buffer_load_dword v9, off, s[56:59], 0 offset:252 ; 4-byte Folded Reload
	s_waitcnt vmcnt(0) lgkmcnt(0)
	s_waitcnt_vscnt null, 0x0
	s_barrier
	v_add_nc_u32_e32 v11, 0xc0, v8
	v_add_f32_e32 v8, v1, v6
	v_add_f32_e32 v6, v3, v18
	;; [unrolled: 1-line block ×4, first 2 shown]
	buffer_gl0_inv
	v_mul_u32_u24_e32 v12, 0x140, v9
	v_add_f32_e32 v9, v0, v5
	v_add_f32_e32 v5, v4, v19
	;; [unrolled: 1-line block ×4, first 2 shown]
	v_cmpx_eq_u32_e32 64, v25
	s_cbranch_execz .LBB373_1262
; %bb.1261:
	v_add_nc_u32_e32 v13, v11, v12
	v_add_nc_u32_e32 v14, 0xfffffd80, v13
	;; [unrolled: 1-line block ×6, first 2 shown]
	ds_write_b32 v14, v9
	ds_write_b32 v15, v8
	;; [unrolled: 1-line block ×5, first 2 shown]
	v_add_nc_u32_e32 v14, 0xfffffe20, v13
	v_add_nc_u32_e32 v15, 0xfffffe40, v13
	;; [unrolled: 1-line block ×5, first 2 shown]
	ds_write_b32 v14, v4
	ds_write_b32 v15, v3
	;; [unrolled: 1-line block ×5, first 2 shown]
.LBB373_1262:
	s_or_b32 exec_lo, exec_lo, s0
	v_lshlrev_b32_e32 v10, 2, v10
	s_mov_b32 s1, exec_lo
	v_cmp_eq_u32_e32 vcc_lo, 0, v38
	s_waitcnt lgkmcnt(0)
	s_barrier
	v_add3_u32 v10, 0xc0, v12, v10
	buffer_gl0_inv
	v_cmpx_gt_u32_e32 64, v27
	s_cbranch_execz .LBB373_1275
; %bb.1263:
	s_and_saveexec_b32 s0, vcc_lo
	s_cbranch_execnz .LBB373_1293
; %bb.1264:
	s_or_b32 exec_lo, exec_lo, s0
	s_and_saveexec_b32 s0, vcc_lo
	s_cbranch_execnz .LBB373_1294
.LBB373_1265:
	s_or_b32 exec_lo, exec_lo, s0
	s_and_saveexec_b32 s0, vcc_lo
	s_cbranch_execnz .LBB373_1295
.LBB373_1266:
	s_or_b32 exec_lo, exec_lo, s0
	s_and_saveexec_b32 s0, vcc_lo
	s_cbranch_execnz .LBB373_1296
.LBB373_1267:
	s_or_b32 exec_lo, exec_lo, s0
	s_and_saveexec_b32 s0, vcc_lo
	s_cbranch_execnz .LBB373_1297
.LBB373_1268:
	s_or_b32 exec_lo, exec_lo, s0
	s_and_saveexec_b32 s0, vcc_lo
	s_cbranch_execnz .LBB373_1298
.LBB373_1269:
	s_or_b32 exec_lo, exec_lo, s0
	s_and_saveexec_b32 s0, vcc_lo
	s_cbranch_execnz .LBB373_1299
.LBB373_1270:
	s_or_b32 exec_lo, exec_lo, s0
	s_and_saveexec_b32 s0, vcc_lo
	s_cbranch_execnz .LBB373_1300
.LBB373_1271:
	s_or_b32 exec_lo, exec_lo, s0
	s_and_saveexec_b32 s0, vcc_lo
	s_cbranch_execnz .LBB373_1301
.LBB373_1272:
	s_or_b32 exec_lo, exec_lo, s0
	s_and_saveexec_b32 s0, vcc_lo
	s_cbranch_execz .LBB373_1274
.LBB373_1273:
	ds_read_b32 v12, v10 offset:288
	s_waitcnt lgkmcnt(0)
	v_add_f32_e32 v0, v0, v12
.LBB373_1274:
	s_or_b32 exec_lo, exec_lo, s0
.LBB373_1275:
	s_or_b32 exec_lo, exec_lo, s1
	v_and_b32_e32 v12, 0x3e3, v27
	s_mov_b32 s1, exec_lo
	s_barrier
	buffer_gl0_inv
	v_cmpx_eq_u32_e32 32, v12
	s_cbranch_execz .LBB373_1277
; %bb.1276:
	ds_write2_b32 v11, v9, v8 offset1:8
	ds_write2_b32 v11, v7, v6 offset0:16 offset1:24
	ds_write2_b32 v11, v5, v4 offset0:32 offset1:40
	;; [unrolled: 1-line block ×4, first 2 shown]
.LBB373_1277:
	s_or_b32 exec_lo, exec_lo, s1
	s_mov_b32 s1, exec_lo
	s_waitcnt lgkmcnt(0)
	s_barrier
	buffer_gl0_inv
	v_cmpx_gt_u32_e32 32, v27
	s_cbranch_execz .LBB373_1290
; %bb.1278:
	s_and_saveexec_b32 s0, vcc_lo
	s_cbranch_execnz .LBB373_1302
; %bb.1279:
	s_or_b32 exec_lo, exec_lo, s0
	s_and_saveexec_b32 s0, vcc_lo
	s_cbranch_execnz .LBB373_1303
.LBB373_1280:
	s_or_b32 exec_lo, exec_lo, s0
	s_and_saveexec_b32 s0, vcc_lo
	s_cbranch_execnz .LBB373_1304
.LBB373_1281:
	s_or_b32 exec_lo, exec_lo, s0
	s_and_saveexec_b32 s0, vcc_lo
	s_cbranch_execnz .LBB373_1305
.LBB373_1282:
	s_or_b32 exec_lo, exec_lo, s0
	s_and_saveexec_b32 s0, vcc_lo
	s_cbranch_execnz .LBB373_1306
.LBB373_1283:
	s_or_b32 exec_lo, exec_lo, s0
	s_and_saveexec_b32 s0, vcc_lo
	s_cbranch_execnz .LBB373_1307
.LBB373_1284:
	s_or_b32 exec_lo, exec_lo, s0
	s_and_saveexec_b32 s0, vcc_lo
	s_cbranch_execnz .LBB373_1308
.LBB373_1285:
	s_or_b32 exec_lo, exec_lo, s0
	s_and_saveexec_b32 s0, vcc_lo
	s_cbranch_execnz .LBB373_1309
.LBB373_1286:
	s_or_b32 exec_lo, exec_lo, s0
	s_and_saveexec_b32 s0, vcc_lo
	s_cbranch_execnz .LBB373_1310
.LBB373_1287:
	s_or_b32 exec_lo, exec_lo, s0
	s_and_saveexec_b32 s0, vcc_lo
	s_cbranch_execz .LBB373_1289
.LBB373_1288:
	ds_read_b32 v10, v10 offset:288
	s_waitcnt lgkmcnt(0)
	v_add_f32_e32 v0, v0, v10
.LBB373_1289:
	s_or_b32 exec_lo, exec_lo, s0
.LBB373_1290:
	s_or_b32 exec_lo, exec_lo, s1
	s_barrier
	buffer_gl0_inv
	s_mov_b32 s0, exec_lo
	v_cmpx_eq_u32_e32 0, v12
	s_cbranch_execz .LBB373_1292
; %bb.1291:
	s_mul_i32 s0, s2, 0x50
	v_bfe_u32 v10, v9, 16, 1
	s_ashr_i32 s1, s0, 31
	s_mul_i32 s2, s7, s10
	s_lshl_b64 s[0:1], s[0:1], 1
	v_or_b32_e32 v11, 0x400000, v9
	s_add_u32 s4, s28, s0
	s_addc_u32 s1, s29, s1
	s_ashr_i32 s3, s2, 31
	v_add3_u32 v10, v10, v9, 0x7fff
	s_lshl_b64 s[2:3], s[2:3], 1
	v_bfe_u32 v13, v8, 16, 1
	v_cmp_u_f32_e32 vcc_lo, v9, v9
	s_mul_i32 s0, s8, 0x50
	s_add_u32 s2, s4, s2
	s_addc_u32 s3, s1, s3
	s_ashr_i32 s1, s0, 31
	v_lshrrev_b32_e32 v12, 1, v27
	s_lshl_b64 s[0:1], s[0:1], 1
	v_cndmask_b32_e32 v9, v10, v11, vcc_lo
	v_bfe_u32 v10, v7, 16, 1
	v_add3_u32 v11, v13, v8, 0x7fff
	v_or_b32_e32 v13, 0x400000, v8
	v_cmp_u_f32_e32 vcc_lo, v8, v8
	s_add_u32 s0, s2, s0
	s_addc_u32 s1, s3, s1
	global_store_short_d16_hi v12, v9, s[0:1]
	v_add3_u32 v9, v10, v7, 0x7fff
	v_or_b32_e32 v10, 0x400000, v7
	v_cndmask_b32_e32 v8, v11, v13, vcc_lo
	v_bfe_u32 v11, v6, 16, 1
	v_cmp_u_f32_e32 vcc_lo, v7, v7
	global_store_short_d16_hi v12, v8, s[0:1] offset:16
	v_add3_u32 v8, v11, v6, 0x7fff
	v_cndmask_b32_e32 v7, v9, v10, vcc_lo
	v_bfe_u32 v9, v5, 16, 1
	v_or_b32_e32 v10, 0x400000, v6
	v_cmp_u_f32_e32 vcc_lo, v6, v6
	global_store_short_d16_hi v12, v7, s[0:1] offset:32
	v_add3_u32 v7, v9, v5, 0x7fff
	v_or_b32_e32 v9, 0x400000, v5
	v_cndmask_b32_e32 v6, v8, v10, vcc_lo
	v_bfe_u32 v8, v4, 16, 1
	v_cmp_u_f32_e32 vcc_lo, v5, v5
	v_or_b32_e32 v10, 0x400000, v0
	global_store_short_d16_hi v12, v6, s[0:1] offset:48
	v_add3_u32 v6, v8, v4, 0x7fff
	v_cndmask_b32_e32 v5, v7, v9, vcc_lo
	v_bfe_u32 v7, v3, 16, 1
	v_or_b32_e32 v8, 0x400000, v4
	v_cmp_u_f32_e32 vcc_lo, v4, v4
	v_or_b32_e32 v9, 0x400000, v1
	global_store_short_d16_hi v12, v5, s[0:1] offset:64
	v_add3_u32 v5, v7, v3, 0x7fff
	v_or_b32_e32 v7, 0x400000, v3
	v_cndmask_b32_e32 v4, v6, v8, vcc_lo
	v_bfe_u32 v6, v2, 16, 1
	v_cmp_u_f32_e32 vcc_lo, v3, v3
	v_bfe_u32 v8, v1, 16, 1
	v_add3_u32 v6, v6, v2, 0x7fff
	v_cndmask_b32_e32 v3, v5, v7, vcc_lo
	v_or_b32_e32 v7, 0x400000, v2
	v_cmp_u_f32_e32 vcc_lo, v2, v2
	v_bfe_u32 v5, v0, 16, 1
	v_add3_u32 v8, v8, v1, 0x7fff
	v_cndmask_b32_e32 v2, v6, v7, vcc_lo
	v_cmp_u_f32_e32 vcc_lo, v1, v1
	v_add3_u32 v5, v5, v0, 0x7fff
	v_cndmask_b32_e32 v1, v8, v9, vcc_lo
	v_cmp_u_f32_e32 vcc_lo, v0, v0
	v_cndmask_b32_e32 v0, v5, v10, vcc_lo
	global_store_short_d16_hi v12, v4, s[0:1] offset:80
	global_store_short_d16_hi v12, v3, s[0:1] offset:96
	;; [unrolled: 1-line block ×5, first 2 shown]
.LBB373_1292:
	s_endpgm
.LBB373_1293:
	ds_read_b32 v12, v10
	s_waitcnt lgkmcnt(0)
	v_add_f32_e32 v9, v9, v12
	s_or_b32 exec_lo, exec_lo, s0
	s_and_saveexec_b32 s0, vcc_lo
	s_cbranch_execz .LBB373_1265
.LBB373_1294:
	ds_read_b32 v12, v10 offset:32
	s_waitcnt lgkmcnt(0)
	v_add_f32_e32 v8, v8, v12
	s_or_b32 exec_lo, exec_lo, s0
	s_and_saveexec_b32 s0, vcc_lo
	s_cbranch_execz .LBB373_1266
.LBB373_1295:
	ds_read_b32 v12, v10 offset:64
	s_waitcnt lgkmcnt(0)
	v_add_f32_e32 v7, v7, v12
	s_or_b32 exec_lo, exec_lo, s0
	s_and_saveexec_b32 s0, vcc_lo
	s_cbranch_execz .LBB373_1267
.LBB373_1296:
	ds_read_b32 v12, v10 offset:96
	s_waitcnt lgkmcnt(0)
	v_add_f32_e32 v6, v6, v12
	s_or_b32 exec_lo, exec_lo, s0
	s_and_saveexec_b32 s0, vcc_lo
	s_cbranch_execz .LBB373_1268
.LBB373_1297:
	ds_read_b32 v12, v10 offset:128
	s_waitcnt lgkmcnt(0)
	v_add_f32_e32 v5, v5, v12
	s_or_b32 exec_lo, exec_lo, s0
	s_and_saveexec_b32 s0, vcc_lo
	s_cbranch_execz .LBB373_1269
.LBB373_1298:
	ds_read_b32 v12, v10 offset:160
	s_waitcnt lgkmcnt(0)
	v_add_f32_e32 v4, v4, v12
	s_or_b32 exec_lo, exec_lo, s0
	s_and_saveexec_b32 s0, vcc_lo
	s_cbranch_execz .LBB373_1270
.LBB373_1299:
	ds_read_b32 v12, v10 offset:192
	s_waitcnt lgkmcnt(0)
	v_add_f32_e32 v3, v3, v12
	s_or_b32 exec_lo, exec_lo, s0
	s_and_saveexec_b32 s0, vcc_lo
	s_cbranch_execz .LBB373_1271
.LBB373_1300:
	ds_read_b32 v12, v10 offset:224
	s_waitcnt lgkmcnt(0)
	v_add_f32_e32 v2, v2, v12
	s_or_b32 exec_lo, exec_lo, s0
	s_and_saveexec_b32 s0, vcc_lo
	s_cbranch_execz .LBB373_1272
.LBB373_1301:
	ds_read_b32 v12, v10 offset:256
	s_waitcnt lgkmcnt(0)
	v_add_f32_e32 v1, v1, v12
	s_or_b32 exec_lo, exec_lo, s0
	s_and_saveexec_b32 s0, vcc_lo
	s_cbranch_execnz .LBB373_1273
	s_branch .LBB373_1274
.LBB373_1302:
	ds_read_b32 v11, v10
	s_waitcnt lgkmcnt(0)
	v_add_f32_e32 v9, v9, v11
	s_or_b32 exec_lo, exec_lo, s0
	s_and_saveexec_b32 s0, vcc_lo
	s_cbranch_execz .LBB373_1280
.LBB373_1303:
	ds_read_b32 v11, v10 offset:32
	s_waitcnt lgkmcnt(0)
	v_add_f32_e32 v8, v8, v11
	s_or_b32 exec_lo, exec_lo, s0
	s_and_saveexec_b32 s0, vcc_lo
	s_cbranch_execz .LBB373_1281
.LBB373_1304:
	ds_read_b32 v11, v10 offset:64
	s_waitcnt lgkmcnt(0)
	v_add_f32_e32 v7, v7, v11
	s_or_b32 exec_lo, exec_lo, s0
	s_and_saveexec_b32 s0, vcc_lo
	s_cbranch_execz .LBB373_1282
.LBB373_1305:
	ds_read_b32 v11, v10 offset:96
	s_waitcnt lgkmcnt(0)
	v_add_f32_e32 v6, v6, v11
	s_or_b32 exec_lo, exec_lo, s0
	s_and_saveexec_b32 s0, vcc_lo
	s_cbranch_execz .LBB373_1283
.LBB373_1306:
	ds_read_b32 v11, v10 offset:128
	s_waitcnt lgkmcnt(0)
	v_add_f32_e32 v5, v5, v11
	s_or_b32 exec_lo, exec_lo, s0
	s_and_saveexec_b32 s0, vcc_lo
	s_cbranch_execz .LBB373_1284
.LBB373_1307:
	ds_read_b32 v11, v10 offset:160
	s_waitcnt lgkmcnt(0)
	v_add_f32_e32 v4, v4, v11
	s_or_b32 exec_lo, exec_lo, s0
	s_and_saveexec_b32 s0, vcc_lo
	s_cbranch_execz .LBB373_1285
.LBB373_1308:
	ds_read_b32 v11, v10 offset:192
	s_waitcnt lgkmcnt(0)
	v_add_f32_e32 v3, v3, v11
	s_or_b32 exec_lo, exec_lo, s0
	s_and_saveexec_b32 s0, vcc_lo
	s_cbranch_execz .LBB373_1286
.LBB373_1309:
	ds_read_b32 v11, v10 offset:224
	s_waitcnt lgkmcnt(0)
	v_add_f32_e32 v2, v2, v11
	s_or_b32 exec_lo, exec_lo, s0
	s_and_saveexec_b32 s0, vcc_lo
	s_cbranch_execz .LBB373_1287
.LBB373_1310:
	ds_read_b32 v11, v10 offset:256
	s_waitcnt lgkmcnt(0)
	v_add_f32_e32 v1, v1, v11
	s_or_b32 exec_lo, exec_lo, s0
	s_and_saveexec_b32 s0, vcc_lo
	s_cbranch_execnz .LBB373_1288
	s_branch .LBB373_1289
	.section	.rodata,"a",@progbits
	.p2align	6, 0x0
	.amdhsa_kernel _ZN4vllm25paged_attention_v2_kernelI14__hip_bfloat16hLi80ELi32ELi128ELNS_18Fp8KVCacheDataTypeE1ELb1ELi512EEEvPfS3_PT_PKS4_PKT0_SA_ifPKiSC_iPKfiiiSE_SE_iiiii
		.amdhsa_group_segment_fixed_size 192
		.amdhsa_private_segment_fixed_size 268
		.amdhsa_kernarg_size 400
		.amdhsa_user_sgpr_count 6
		.amdhsa_user_sgpr_private_segment_buffer 1
		.amdhsa_user_sgpr_dispatch_ptr 0
		.amdhsa_user_sgpr_queue_ptr 0
		.amdhsa_user_sgpr_kernarg_segment_ptr 1
		.amdhsa_user_sgpr_dispatch_id 0
		.amdhsa_user_sgpr_flat_scratch_init 0
		.amdhsa_user_sgpr_private_segment_size 0
		.amdhsa_wavefront_size32 1
		.amdhsa_uses_dynamic_stack 0
		.amdhsa_system_sgpr_private_segment_wavefront_offset 1
		.amdhsa_system_sgpr_workgroup_id_x 1
		.amdhsa_system_sgpr_workgroup_id_y 1
		.amdhsa_system_sgpr_workgroup_id_z 1
		.amdhsa_system_sgpr_workgroup_info 0
		.amdhsa_system_vgpr_workitem_id 0
		.amdhsa_next_free_vgpr 128
		.amdhsa_next_free_sgpr 60
		.amdhsa_reserve_vcc 1
		.amdhsa_reserve_flat_scratch 0
		.amdhsa_float_round_mode_32 0
		.amdhsa_float_round_mode_16_64 0
		.amdhsa_float_denorm_mode_32 3
		.amdhsa_float_denorm_mode_16_64 3
		.amdhsa_dx10_clamp 1
		.amdhsa_ieee_mode 1
		.amdhsa_fp16_overflow 0
		.amdhsa_workgroup_processor_mode 1
		.amdhsa_memory_ordered 1
		.amdhsa_forward_progress 1
		.amdhsa_shared_vgpr_count 0
		.amdhsa_exception_fp_ieee_invalid_op 0
		.amdhsa_exception_fp_denorm_src 0
		.amdhsa_exception_fp_ieee_div_zero 0
		.amdhsa_exception_fp_ieee_overflow 0
		.amdhsa_exception_fp_ieee_underflow 0
		.amdhsa_exception_fp_ieee_inexact 0
		.amdhsa_exception_int_div_zero 0
	.end_amdhsa_kernel
	.section	.text._ZN4vllm25paged_attention_v2_kernelI14__hip_bfloat16hLi80ELi32ELi128ELNS_18Fp8KVCacheDataTypeE1ELb1ELi512EEEvPfS3_PT_PKS4_PKT0_SA_ifPKiSC_iPKfiiiSE_SE_iiiii,"axG",@progbits,_ZN4vllm25paged_attention_v2_kernelI14__hip_bfloat16hLi80ELi32ELi128ELNS_18Fp8KVCacheDataTypeE1ELb1ELi512EEEvPfS3_PT_PKS4_PKT0_SA_ifPKiSC_iPKfiiiSE_SE_iiiii,comdat
.Lfunc_end373:
	.size	_ZN4vllm25paged_attention_v2_kernelI14__hip_bfloat16hLi80ELi32ELi128ELNS_18Fp8KVCacheDataTypeE1ELb1ELi512EEEvPfS3_PT_PKS4_PKT0_SA_ifPKiSC_iPKfiiiSE_SE_iiiii, .Lfunc_end373-_ZN4vllm25paged_attention_v2_kernelI14__hip_bfloat16hLi80ELi32ELi128ELNS_18Fp8KVCacheDataTypeE1ELb1ELi512EEEvPfS3_PT_PKS4_PKT0_SA_ifPKiSC_iPKfiiiSE_SE_iiiii
                                        ; -- End function
	.set _ZN4vllm25paged_attention_v2_kernelI14__hip_bfloat16hLi80ELi32ELi128ELNS_18Fp8KVCacheDataTypeE1ELb1ELi512EEEvPfS3_PT_PKS4_PKT0_SA_ifPKiSC_iPKfiiiSE_SE_iiiii.num_vgpr, 128
	.set _ZN4vllm25paged_attention_v2_kernelI14__hip_bfloat16hLi80ELi32ELi128ELNS_18Fp8KVCacheDataTypeE1ELb1ELi512EEEvPfS3_PT_PKS4_PKT0_SA_ifPKiSC_iPKfiiiSE_SE_iiiii.num_agpr, 0
	.set _ZN4vllm25paged_attention_v2_kernelI14__hip_bfloat16hLi80ELi32ELi128ELNS_18Fp8KVCacheDataTypeE1ELb1ELi512EEEvPfS3_PT_PKS4_PKT0_SA_ifPKiSC_iPKfiiiSE_SE_iiiii.numbered_sgpr, 60
	.set _ZN4vllm25paged_attention_v2_kernelI14__hip_bfloat16hLi80ELi32ELi128ELNS_18Fp8KVCacheDataTypeE1ELb1ELi512EEEvPfS3_PT_PKS4_PKT0_SA_ifPKiSC_iPKfiiiSE_SE_iiiii.num_named_barrier, 0
	.set _ZN4vllm25paged_attention_v2_kernelI14__hip_bfloat16hLi80ELi32ELi128ELNS_18Fp8KVCacheDataTypeE1ELb1ELi512EEEvPfS3_PT_PKS4_PKT0_SA_ifPKiSC_iPKfiiiSE_SE_iiiii.private_seg_size, 268
	.set _ZN4vllm25paged_attention_v2_kernelI14__hip_bfloat16hLi80ELi32ELi128ELNS_18Fp8KVCacheDataTypeE1ELb1ELi512EEEvPfS3_PT_PKS4_PKT0_SA_ifPKiSC_iPKfiiiSE_SE_iiiii.uses_vcc, 1
	.set _ZN4vllm25paged_attention_v2_kernelI14__hip_bfloat16hLi80ELi32ELi128ELNS_18Fp8KVCacheDataTypeE1ELb1ELi512EEEvPfS3_PT_PKS4_PKT0_SA_ifPKiSC_iPKfiiiSE_SE_iiiii.uses_flat_scratch, 0
	.set _ZN4vllm25paged_attention_v2_kernelI14__hip_bfloat16hLi80ELi32ELi128ELNS_18Fp8KVCacheDataTypeE1ELb1ELi512EEEvPfS3_PT_PKS4_PKT0_SA_ifPKiSC_iPKfiiiSE_SE_iiiii.has_dyn_sized_stack, 0
	.set _ZN4vllm25paged_attention_v2_kernelI14__hip_bfloat16hLi80ELi32ELi128ELNS_18Fp8KVCacheDataTypeE1ELb1ELi512EEEvPfS3_PT_PKS4_PKT0_SA_ifPKiSC_iPKfiiiSE_SE_iiiii.has_recursion, 0
	.set _ZN4vllm25paged_attention_v2_kernelI14__hip_bfloat16hLi80ELi32ELi128ELNS_18Fp8KVCacheDataTypeE1ELb1ELi512EEEvPfS3_PT_PKS4_PKT0_SA_ifPKiSC_iPKfiiiSE_SE_iiiii.has_indirect_call, 0
	.section	.AMDGPU.csdata,"",@progbits
; Kernel info:
; codeLenInByte = 51288
; TotalNumSgprs: 62
; NumVgprs: 128
; ScratchSize: 268
; MemoryBound: 0
; FloatMode: 240
; IeeeMode: 1
; LDSByteSize: 192 bytes/workgroup (compile time only)
; SGPRBlocks: 0
; VGPRBlocks: 15
; NumSGPRsForWavesPerEU: 62
; NumVGPRsForWavesPerEU: 128
; Occupancy: 8
; WaveLimiterHint : 1
; COMPUTE_PGM_RSRC2:SCRATCH_EN: 1
; COMPUTE_PGM_RSRC2:USER_SGPR: 6
; COMPUTE_PGM_RSRC2:TRAP_HANDLER: 0
; COMPUTE_PGM_RSRC2:TGID_X_EN: 1
; COMPUTE_PGM_RSRC2:TGID_Y_EN: 1
; COMPUTE_PGM_RSRC2:TGID_Z_EN: 1
; COMPUTE_PGM_RSRC2:TIDIG_COMP_CNT: 0
	.text
	.p2align	2                               ; -- Begin function _ZN4vllm22paged_attention_kernelI14__hip_bfloat16hLi96ELi32ELi128ELNS_18Fp8KVCacheDataTypeE1ELb1ELi512EEEvPfS3_PT_PKS4_PKT0_SA_ifPKiSC_iPKfiiiSE_SE_iiiii
	.type	_ZN4vllm22paged_attention_kernelI14__hip_bfloat16hLi96ELi32ELi128ELNS_18Fp8KVCacheDataTypeE1ELb1ELi512EEEvPfS3_PT_PKS4_PKT0_SA_ifPKiSC_iPKfiiiSE_SE_iiiii,@function
_ZN4vllm22paged_attention_kernelI14__hip_bfloat16hLi96ELi32ELi128ELNS_18Fp8KVCacheDataTypeE1ELb1ELi512EEEvPfS3_PT_PKS4_PKT0_SA_ifPKiSC_iPKfiiiSE_SE_iiiii: ; @_ZN4vllm22paged_attention_kernelI14__hip_bfloat16hLi96ELi32ELi128ELNS_18Fp8KVCacheDataTypeE1ELb1ELi512EEEvPfS3_PT_PKS4_PKT0_SA_ifPKiSC_iPKfiiiSE_SE_iiiii
; %bb.0:
	s_waitcnt vmcnt(0) expcnt(0) lgkmcnt(0)
	buffer_store_dword v40, off, s[0:3], s32 offset:196 ; 4-byte Folded Spill
	buffer_store_dword v41, off, s[0:3], s32 offset:192 ; 4-byte Folded Spill
	;; [unrolled: 1-line block ×48, first 2 shown]
	s_mov_b32 s18, s13
	s_ashr_i32 s19, s13, 31
	v_mov_b32_e32 v33, v0
	s_lshl_b64 s[4:5], s[18:19], 2
	buffer_store_dword v26, off, s[0:3], s32 offset:288 ; 4-byte Folded Spill
	buffer_store_dword v27, off, s[0:3], s32 offset:292 ; 4-byte Folded Spill
	;; [unrolled: 1-line block ×3, first 2 shown]
	v_add_co_u32 v0, vcc_lo, v16, s4
	v_mov_b32_e32 v22, v1
	v_add_co_ci_u32_e64 v1, null, s5, v17, vcc_lo
	v_mov_b32_e32 v27, v5
	v_mov_b32_e32 v34, v4
	;; [unrolled: 1-line block ×3, first 2 shown]
	flat_load_dword v38, v[0:1]
	s_clause 0x1
	buffer_load_dword v0, off, s[0:3], s32 offset:4
	buffer_load_dword v1, off, s[0:3], s32
	v_mov_b32_e32 v37, v2
	s_lshl_b32 s7, s14, 9
	s_mov_b32 s19, exec_lo
	s_waitcnt vmcnt(2) lgkmcnt(0)
	v_cmpx_lt_i32_e64 s7, v38
	s_cbranch_execz .LBB374_1636
; %bb.1:
	v_sub_nc_u32_e32 v2, 0, v12
	s_clause 0x1
	s_load_dword s4, s[8:9], 0x10
	s_load_dword s5, s[8:9], 0x0
	s_mov_b32 s16, s15
	v_mov_b32_e32 v55, 0
	v_max_i32_e32 v2, v12, v2
	v_cvt_f32_u32_e32 v3, v2
	v_sub_nc_u32_e32 v4, 0, v2
	v_rcp_iflag_f32_e32 v3, v3
	s_waitcnt lgkmcnt(0)
	s_lshr_b32 s4, s4, 16
	s_cmp_lg_u32 s4, 0
	s_cselect_b32 s4, -1, 0
	v_mul_f32_e32 v3, 0x4f7ffffe, v3
	s_cmp_lg_u32 s4, 0
	s_addc_u32 s15, s5, 0
	s_mov_b32 s5, exec_lo
	v_cvt_u32_f32_e32 v3, v3
	s_abs_i32 s4, s15
	v_mul_lo_u32 v4, v4, v3
	v_mul_hi_u32 v4, v3, v4
	v_add_nc_u32_e32 v3, v3, v4
	v_mul_hi_u32 v3, s4, v3
	v_mul_lo_u32 v4, v3, v2
	v_add_nc_u32_e32 v5, 1, v3
	v_sub_nc_u32_e32 v4, s4, v4
	s_abs_i32 s4, s12
	v_sub_nc_u32_e32 v16, v4, v2
	v_cmp_ge_u32_e32 vcc_lo, v4, v2
	v_cndmask_b32_e32 v3, v3, v5, vcc_lo
	v_cndmask_b32_e32 v4, v4, v16, vcc_lo
	v_xor_b32_e32 v5, s15, v12
	v_add_nc_u32_e32 v16, 1, v3
	v_cmp_ge_u32_e32 vcc_lo, v4, v2
	v_ashrrev_i32_e32 v5, 31, v5
	v_cndmask_b32_e32 v2, v3, v16, vcc_lo
	v_xor_b32_e32 v2, v2, v5
	v_sub_nc_u32_e32 v3, v2, v5
	v_sub_nc_u32_e32 v2, 0, v3
	v_max_i32_e32 v2, v3, v2
	v_cvt_f32_u32_e32 v4, v2
	v_sub_nc_u32_e32 v5, 0, v2
	v_rcp_iflag_f32_e32 v4, v4
	v_mul_f32_e32 v4, 0x4f7ffffe, v4
	v_cvt_u32_f32_e32 v4, v4
	v_mul_lo_u32 v5, v5, v4
	v_mul_hi_u32 v5, v4, v5
	v_add_nc_u32_e32 v4, v4, v5
	v_mad_u64_u32 v[16:17], null, s4, v4, 0
	v_cmpx_ne_u64_e32 0, v[19:20]
	s_cbranch_execz .LBB374_3
; %bb.2:
	s_ashr_i32 s13, s12, 31
	s_lshl_b64 s[10:11], s[12:13], 2
	v_add_co_u32 v4, vcc_lo, v19, s10
	v_add_co_ci_u32_e64 v5, null, s11, v20, vcc_lo
	flat_load_dword v55, v[4:5]
.LBB374_3:
	s_or_b32 exec_lo, exec_lo, s5
	v_and_b32_e32 v31, 0x3ff, v31
	v_ashrrev_i32_e32 v3, 31, v3
	s_ashr_i32 s5, s12, 31
	s_mul_i32 s10, s12, 0x60
	s_mov_b32 s6, exec_lo
	v_cmpx_gt_u32_e32 12, v31
	s_cbranch_execz .LBB374_5
; %bb.4:
	v_mul_lo_u32 v4, v21, s18
	s_ashr_i32 s11, s10, 31
	v_lshlrev_b32_e32 v16, 4, v31
	s_lshl_b64 s[20:21], s[10:11], 1
	v_ashrrev_i32_e32 v5, 31, v4
	v_lshlrev_b64 v[4:5], 1, v[4:5]
	v_add_co_u32 v4, vcc_lo, v6, v4
	v_add_co_ci_u32_e64 v5, null, v7, v5, vcc_lo
	v_add_co_u32 v4, vcc_lo, v4, s20
	v_add_co_ci_u32_e64 v5, null, s21, v5, vcc_lo
	;; [unrolled: 2-line block ×3, first 2 shown]
	flat_load_dwordx4 v[4:7], v[4:5]
	s_waitcnt vmcnt(0) lgkmcnt(0)
	ds_write_b128 v16, v[4:7]
.LBB374_5:
	s_or_b32 exec_lo, exec_lo, s6
	s_waitcnt vmcnt(0)
	v_sub_nc_u32_e32 v4, 0, v1
	v_mul_lo_u32 v5, v17, v2
	v_add_nc_u32_e32 v7, 1, v17
	v_xor_b32_e32 v3, s5, v3
	v_max_i32_e32 v49, v1, v4
	v_sub_nc_u32_e32 v5, s4, v5
	v_cvt_f32_u32_e32 v4, v49
	s_mov_b32 s4, exec_lo
	v_sub_nc_u32_e32 v19, v5, v2
	v_rcp_iflag_f32_e32 v4, v4
	v_cmp_ge_u32_e32 vcc_lo, v5, v2
	v_cndmask_b32_e32 v7, v17, v7, vcc_lo
	v_cndmask_b32_e32 v5, v5, v19, vcc_lo
	v_mul_f32_e32 v4, 0x4f7ffffe, v4
	v_add_nc_u32_e32 v19, 1, v7
	v_cmp_ge_u32_e32 vcc_lo, v5, v2
	v_cvt_u32_f32_e32 v6, v4
	v_sub_nc_u32_e32 v4, 0, v49
	v_cndmask_b32_e32 v5, v7, v19, vcc_lo
	v_mul_lo_u32 v16, v4, v6
	v_add_nc_u32_e32 v4, -1, v38
	v_xor_b32_e32 v5, v5, v3
	v_mul_hi_u32 v17, v6, v16
	v_sub_nc_u32_e32 v16, 0, v4
	v_max_i32_e32 v2, v4, v16
	v_add_nc_u32_e32 v6, v6, v17
	buffer_store_dword v6, off, s[0:3], s32 offset:216 ; 4-byte Folded Spill
	v_mad_u64_u32 v[6:7], null, v2, v6, 0
	v_sub_nc_u32_e32 v6, v5, v3
                                        ; implicit-def: $vgpr3
	s_waitcnt lgkmcnt(0)
	s_waitcnt_vscnt null, 0x0
	s_barrier
	buffer_gl0_inv
	buffer_store_dword v3, off, s[0:3], s32 offset:200 ; 4-byte Folded Spill
	buffer_store_dword v4, off, s[0:3], s32 offset:204 ; 4-byte Folded Spill
	v_cmpx_gt_i32_e32 0, v0
	s_xor_b32 s4, exec_lo, s4
	s_cbranch_execz .LBB374_7
; %bb.6:
	v_mad_u64_u32 v[16:17], null, v28, v12, v[6:7]
                                        ; implicit-def: $vgpr28
	v_mul_lo_u32 v0, v16, v0
	v_sub_nc_u32_e32 v0, 1, v0
	buffer_store_dword v0, off, s[0:3], s32 offset:200 ; 4-byte Folded Spill
	buffer_store_dword v1, off, s[0:3], s32 offset:204 ; 4-byte Folded Spill
                                        ; implicit-def: $vgpr0
.LBB374_7:
	s_or_saveexec_b32 s4, s4
	v_ashrrev_i32_e32 v3, 31, v4
	v_ashrrev_i32_e32 v1, 31, v1
	buffer_store_dword v1, off, s[0:3], s32 offset:208 ; 4-byte Folded Spill
	s_xor_b32 exec_lo, exec_lo, s4
	s_cbranch_execz .LBB374_9
; %bb.8:
	v_mad_u64_u32 v[4:5], null, s15, v28, s[12:13]
	v_mad_u64_u32 v[0:1], null, v4, v0, 1
	buffer_store_dword v0, off, s[0:3], s32 offset:200 ; 4-byte Folded Spill
	buffer_store_dword v1, off, s[0:3], s32 offset:204 ; 4-byte Folded Spill
.LBB374_9:
	s_or_b32 exec_lo, exec_lo, s4
	s_clause 0x1
	s_load_dword s22, s[8:9], 0x14
	s_load_dword s11, s[8:9], 0x8
	buffer_load_dword v5, off, s[0:3], s32 offset:208 ; 4-byte Folded Reload
	v_mul_lo_u32 v0, v7, v49
	v_add_nc_u32_e32 v4, 1, v7
	v_add_nc_u32_e32 v1, 31, v38
	v_lshrrev_b32_e32 v32, 5, v31
	s_lshl_b32 s13, s14, 4
	v_mul_lo_u32 v39, v6, v23
	s_add_i32 s4, s13, 16
	v_mov_b32_e32 v48, 0xff7fffff
	v_sub_nc_u32_e32 v2, v2, v0
	v_mul_lo_u32 v0, v18, s18
	v_add_nc_u32_e32 v17, s13, v32
	v_sub_nc_u32_e32 v54, 0, v30
	v_lshl_add_u32 v52, v32, 5, s7
	v_sub_nc_u32_e32 v12, v2, v49
	v_cmp_ge_u32_e32 vcc_lo, v2, v49
	v_ashrrev_i32_e32 v64, 31, v39
	v_ashrrev_i32_e32 v18, 31, v17
	v_cndmask_b32_e32 v4, v7, v4, vcc_lo
	v_cndmask_b32_e32 v2, v2, v12, vcc_lo
	v_and_b32_e32 v12, 31, v31
	v_add_nc_u32_e32 v7, 1, v4
	v_cmp_ge_u32_e32 vcc_lo, v2, v49
	v_cndmask_b32_e32 v2, v4, v7, vcc_lo
	s_waitcnt vmcnt(0)
	v_xor_b32_e32 v3, v3, v5
	v_ashrrev_i32_e32 v5, 31, v1
	v_xor_b32_e32 v2, v2, v3
	v_lshrrev_b32_e32 v5, 27, v5
	v_sub_nc_u32_e32 v2, v2, v3
	v_add_nc_u32_e32 v1, v1, v5
	v_ashrrev_i32_e32 v53, 5, v1
	v_ashrrev_i32_e32 v1, 31, v0
	v_min_i32_e32 v4, s4, v53
	v_lshlrev_b64 v[50:51], 2, v[0:1]
	v_sub_nc_u32_e32 v0, v2, v29
	buffer_store_dword v4, off, s[0:3], s32 offset:212 ; 4-byte Folded Spill
	v_cmp_lt_i32_e64 s4, v17, v4
	buffer_store_dword v0, off, s[0:3], s32 offset:220 ; 4-byte Folded Spill
	buffer_store_dword v12, off, s[0:3], s32 offset:284 ; 4-byte Folded Spill
	v_lshlrev_b32_e32 v12, 2, v12
	s_mov_b32 s23, exec_lo
	s_and_b32 s5, s23, s4
	buffer_store_dword v27, off, s[0:3], s32 offset:632 ; 4-byte Folded Spill
	buffer_store_dword v34, off, s[0:3], s32 offset:636 ; 4-byte Folded Spill
	;; [unrolled: 1-line block ×4, first 2 shown]
	s_mov_b32 exec_lo, s5
	s_cbranch_execz .LBB374_785
; %bb.10:
	v_mov_b32_e32 v20, 0
	buffer_store_dword v53, off, s[0:3], s32 offset:696 ; 4-byte Folded Spill
	buffer_store_dword v37, off, s[0:3], s32 offset:680 ; 4-byte Folded Spill
	;; [unrolled: 1-line block ×7, first 2 shown]
	v_max_i32_e32 v37, v30, v54
	s_getpc_b64 s[8:9]
	s_add_u32 s8, s8, llvm.amdgcn.dynlds.offset.table@rel32@lo+4
	s_addc_u32 s9, s9, llvm.amdgcn.dynlds.offset.table@rel32@hi+12
	s_ashr_i32 s17, s16, 31
	ds_read_b128 v[0:3], v20
	ds_read_b128 v[4:7], v20 offset:16
	s_lshl_b64 s[20:21], s[16:17], 2
	v_lshl_add_u32 v65, v32, 5, s7
	s_add_u32 s8, s8, s20
	s_addc_u32 s9, s9, s21
	v_mov_b32_e32 v22, 0x80
	v_mov_b32_e32 v66, 0xffff
	;; [unrolled: 1-line block ×7, first 2 shown]
	s_mov_b32 s20, -1
	s_mov_b32 s17, 0
	s_mov_b32 s21, 0xffffff
	s_waitcnt lgkmcnt(0)
	v_lshlrev_b32_e32 v10, 16, v0
	v_and_b32_e32 v0, 0xffff0000, v0
	buffer_store_dword v10, off, s[0:3], s32 offset:224 ; 4-byte Folded Spill
	buffer_store_dword v0, off, s[0:3], s32 offset:232 ; 4-byte Folded Spill
	v_lshlrev_b32_e32 v0, 16, v1
	buffer_store_dword v0, off, s[0:3], s32 offset:236 ; 4-byte Folded Spill
	v_and_b32_e32 v0, 0xffff0000, v1
	buffer_store_dword v0, off, s[0:3], s32 offset:240 ; 4-byte Folded Spill
	v_lshlrev_b32_e32 v0, 16, v2
	buffer_store_dword v0, off, s[0:3], s32 offset:244 ; 4-byte Folded Spill
	v_and_b32_e32 v0, 0xffff0000, v2
	;; [unrolled: 4-line block ×7, first 2 shown]
	buffer_store_dword v0, off, s[0:3], s32 offset:300 ; 4-byte Folded Spill
	ds_read_b128 v[0:3], v20 offset:32
	s_waitcnt lgkmcnt(0)
	v_lshlrev_b32_e32 v4, 16, v0
	v_and_b32_e32 v0, 0xffff0000, v0
	buffer_store_dword v4, off, s[0:3], s32 offset:304 ; 4-byte Folded Spill
	buffer_store_dword v0, off, s[0:3], s32 offset:312 ; 4-byte Folded Spill
	v_lshlrev_b32_e32 v0, 16, v1
	buffer_store_dword v0, off, s[0:3], s32 offset:316 ; 4-byte Folded Spill
	v_and_b32_e32 v0, 0xffff0000, v1
	buffer_store_dword v0, off, s[0:3], s32 offset:320 ; 4-byte Folded Spill
	v_lshlrev_b32_e32 v0, 16, v2
	buffer_store_dword v0, off, s[0:3], s32 offset:324 ; 4-byte Folded Spill
	v_and_b32_e32 v0, 0xffff0000, v2
	buffer_store_dword v0, off, s[0:3], s32 offset:328 ; 4-byte Folded Spill
	v_lshlrev_b32_e32 v0, 16, v3
	buffer_store_dword v0, off, s[0:3], s32 offset:332 ; 4-byte Folded Spill
	v_and_b32_e32 v0, 0xffff0000, v3
	buffer_store_dword v0, off, s[0:3], s32 offset:336 ; 4-byte Folded Spill
	ds_read_b128 v[0:3], v20 offset:48
	s_waitcnt lgkmcnt(0)
	v_lshlrev_b32_e32 v4, 16, v0
	v_and_b32_e32 v0, 0xffff0000, v0
	buffer_store_dword v4, off, s[0:3], s32 offset:340 ; 4-byte Folded Spill
	buffer_store_dword v0, off, s[0:3], s32 offset:344 ; 4-byte Folded Spill
	v_lshlrev_b32_e32 v0, 16, v1
	buffer_store_dword v0, off, s[0:3], s32 offset:348 ; 4-byte Folded Spill
	v_and_b32_e32 v0, 0xffff0000, v1
	buffer_store_dword v0, off, s[0:3], s32 offset:352 ; 4-byte Folded Spill
	v_lshlrev_b32_e32 v0, 16, v2
	buffer_store_dword v0, off, s[0:3], s32 offset:356 ; 4-byte Folded Spill
	v_and_b32_e32 v0, 0xffff0000, v2
	buffer_store_dword v0, off, s[0:3], s32 offset:360 ; 4-byte Folded Spill
	v_lshlrev_b32_e32 v0, 16, v3
	buffer_store_dword v0, off, s[0:3], s32 offset:364 ; 4-byte Folded Spill
	v_and_b32_e32 v0, 0xffff0000, v3
	buffer_store_dword v0, off, s[0:3], s32 offset:368 ; 4-byte Folded Spill
	ds_read_b128 v[0:3], v20 offset:64
	s_waitcnt lgkmcnt(0)
	v_lshlrev_b32_e32 v4, 16, v0
	v_and_b32_e32 v0, 0xffff0000, v0
	buffer_store_dword v4, off, s[0:3], s32 offset:372 ; 4-byte Folded Spill
	buffer_store_dword v0, off, s[0:3], s32 offset:376 ; 4-byte Folded Spill
	v_lshlrev_b32_e32 v0, 16, v1
	buffer_store_dword v0, off, s[0:3], s32 offset:380 ; 4-byte Folded Spill
	v_and_b32_e32 v0, 0xffff0000, v1
	buffer_store_dword v0, off, s[0:3], s32 offset:384 ; 4-byte Folded Spill
	v_lshlrev_b32_e32 v0, 16, v2
	buffer_store_dword v0, off, s[0:3], s32 offset:388 ; 4-byte Folded Spill
	v_and_b32_e32 v0, 0xffff0000, v2
	buffer_store_dword v0, off, s[0:3], s32 offset:392 ; 4-byte Folded Spill
	v_lshlrev_b32_e32 v0, 16, v3
	buffer_store_dword v0, off, s[0:3], s32 offset:396 ; 4-byte Folded Spill
	v_and_b32_e32 v0, 0xffff0000, v3
	buffer_store_dword v0, off, s[0:3], s32 offset:400 ; 4-byte Folded Spill
	ds_read_b128 v[0:3], v20 offset:80
	s_waitcnt lgkmcnt(0)
	v_lshlrev_b32_e32 v4, 16, v0
	v_and_b32_e32 v0, 0xffff0000, v0
	buffer_store_dword v4, off, s[0:3], s32 offset:404 ; 4-byte Folded Spill
	buffer_store_dword v0, off, s[0:3], s32 offset:408 ; 4-byte Folded Spill
	v_lshlrev_b32_e32 v0, 16, v1
	buffer_store_dword v0, off, s[0:3], s32 offset:412 ; 4-byte Folded Spill
	v_and_b32_e32 v0, 0xffff0000, v1
	buffer_store_dword v0, off, s[0:3], s32 offset:416 ; 4-byte Folded Spill
	v_lshlrev_b32_e32 v0, 16, v2
	buffer_store_dword v0, off, s[0:3], s32 offset:420 ; 4-byte Folded Spill
	v_and_b32_e32 v0, 0xffff0000, v2
	buffer_store_dword v0, off, s[0:3], s32 offset:424 ; 4-byte Folded Spill
	v_lshlrev_b32_e32 v0, 16, v3
	buffer_store_dword v0, off, s[0:3], s32 offset:428 ; 4-byte Folded Spill
	v_and_b32_e32 v0, 0xffff0000, v3
	buffer_store_dword v0, off, s[0:3], s32 offset:432 ; 4-byte Folded Spill
	ds_read_b128 v[0:3], v20 offset:96
	s_waitcnt lgkmcnt(0)
	v_lshlrev_b32_e32 v4, 16, v0
	v_and_b32_e32 v0, 0xffff0000, v0
	buffer_store_dword v4, off, s[0:3], s32 offset:436 ; 4-byte Folded Spill
	buffer_store_dword v0, off, s[0:3], s32 offset:440 ; 4-byte Folded Spill
	v_lshlrev_b32_e32 v0, 16, v1
	buffer_store_dword v0, off, s[0:3], s32 offset:444 ; 4-byte Folded Spill
	v_and_b32_e32 v0, 0xffff0000, v1
	buffer_store_dword v0, off, s[0:3], s32 offset:448 ; 4-byte Folded Spill
	v_lshlrev_b32_e32 v0, 16, v2
	buffer_store_dword v0, off, s[0:3], s32 offset:452 ; 4-byte Folded Spill
	v_and_b32_e32 v0, 0xffff0000, v2
	buffer_store_dword v0, off, s[0:3], s32 offset:456 ; 4-byte Folded Spill
	v_lshlrev_b32_e32 v0, 16, v3
	buffer_store_dword v0, off, s[0:3], s32 offset:460 ; 4-byte Folded Spill
	v_and_b32_e32 v0, 0xffff0000, v3
	buffer_store_dword v0, off, s[0:3], s32 offset:464 ; 4-byte Folded Spill
	ds_read_b128 v[0:3], v20 offset:112
	s_waitcnt lgkmcnt(0)
	v_lshlrev_b32_e32 v4, 16, v0
	v_and_b32_e32 v0, 0xffff0000, v0
	buffer_store_dword v4, off, s[0:3], s32 offset:468 ; 4-byte Folded Spill
	buffer_store_dword v0, off, s[0:3], s32 offset:472 ; 4-byte Folded Spill
	v_lshlrev_b32_e32 v0, 16, v1
	buffer_store_dword v0, off, s[0:3], s32 offset:476 ; 4-byte Folded Spill
	v_and_b32_e32 v0, 0xffff0000, v1
	buffer_store_dword v0, off, s[0:3], s32 offset:480 ; 4-byte Folded Spill
	v_lshlrev_b32_e32 v0, 16, v2
	buffer_store_dword v0, off, s[0:3], s32 offset:484 ; 4-byte Folded Spill
	v_and_b32_e32 v0, 0xffff0000, v2
	buffer_store_dword v0, off, s[0:3], s32 offset:488 ; 4-byte Folded Spill
	v_lshlrev_b32_e32 v0, 16, v3
	buffer_store_dword v0, off, s[0:3], s32 offset:492 ; 4-byte Folded Spill
	v_and_b32_e32 v0, 0xffff0000, v3
	buffer_store_dword v0, off, s[0:3], s32 offset:496 ; 4-byte Folded Spill
	ds_read_b128 v[0:3], v20 offset:128
	s_waitcnt lgkmcnt(0)
	v_lshlrev_b32_e32 v4, 16, v0
	v_and_b32_e32 v0, 0xffff0000, v0
	buffer_store_dword v4, off, s[0:3], s32 offset:500 ; 4-byte Folded Spill
	buffer_store_dword v0, off, s[0:3], s32 offset:504 ; 4-byte Folded Spill
	v_lshlrev_b32_e32 v0, 16, v1
	buffer_store_dword v0, off, s[0:3], s32 offset:508 ; 4-byte Folded Spill
	v_and_b32_e32 v0, 0xffff0000, v1
	buffer_store_dword v0, off, s[0:3], s32 offset:512 ; 4-byte Folded Spill
	v_lshlrev_b32_e32 v0, 16, v2
	buffer_store_dword v0, off, s[0:3], s32 offset:516 ; 4-byte Folded Spill
	v_and_b32_e32 v0, 0xffff0000, v2
	buffer_store_dword v0, off, s[0:3], s32 offset:520 ; 4-byte Folded Spill
	v_lshlrev_b32_e32 v0, 16, v3
	buffer_store_dword v0, off, s[0:3], s32 offset:524 ; 4-byte Folded Spill
	v_and_b32_e32 v0, 0xffff0000, v3
	buffer_store_dword v0, off, s[0:3], s32 offset:528 ; 4-byte Folded Spill
	ds_read_b128 v[0:3], v20 offset:144
	s_waitcnt lgkmcnt(0)
	v_lshlrev_b32_e32 v4, 16, v0
	v_and_b32_e32 v0, 0xffff0000, v0
	buffer_store_dword v4, off, s[0:3], s32 offset:532 ; 4-byte Folded Spill
	buffer_store_dword v0, off, s[0:3], s32 offset:536 ; 4-byte Folded Spill
	v_lshlrev_b32_e32 v0, 16, v1
	buffer_store_dword v0, off, s[0:3], s32 offset:540 ; 4-byte Folded Spill
	v_and_b32_e32 v0, 0xffff0000, v1
	buffer_store_dword v0, off, s[0:3], s32 offset:544 ; 4-byte Folded Spill
	v_lshlrev_b32_e32 v0, 16, v2
	buffer_store_dword v0, off, s[0:3], s32 offset:548 ; 4-byte Folded Spill
	v_and_b32_e32 v0, 0xffff0000, v2
	buffer_store_dword v0, off, s[0:3], s32 offset:552 ; 4-byte Folded Spill
	v_lshlrev_b32_e32 v0, 16, v3
	buffer_store_dword v0, off, s[0:3], s32 offset:556 ; 4-byte Folded Spill
	v_and_b32_e32 v0, 0xffff0000, v3
	buffer_store_dword v0, off, s[0:3], s32 offset:560 ; 4-byte Folded Spill
	ds_read_b128 v[0:3], v20 offset:160
	s_waitcnt lgkmcnt(0)
	v_lshlrev_b32_e32 v4, 16, v0
	v_and_b32_e32 v0, 0xffff0000, v0
	buffer_store_dword v4, off, s[0:3], s32 offset:564 ; 4-byte Folded Spill
	buffer_store_dword v0, off, s[0:3], s32 offset:568 ; 4-byte Folded Spill
	v_lshlrev_b32_e32 v0, 16, v1
	buffer_store_dword v0, off, s[0:3], s32 offset:572 ; 4-byte Folded Spill
	v_and_b32_e32 v0, 0xffff0000, v1
	buffer_store_dword v0, off, s[0:3], s32 offset:576 ; 4-byte Folded Spill
	v_lshlrev_b32_e32 v0, 16, v2
	buffer_store_dword v0, off, s[0:3], s32 offset:580 ; 4-byte Folded Spill
	v_and_b32_e32 v0, 0xffff0000, v2
	buffer_store_dword v0, off, s[0:3], s32 offset:584 ; 4-byte Folded Spill
	v_lshlrev_b32_e32 v0, 16, v3
	buffer_store_dword v0, off, s[0:3], s32 offset:588 ; 4-byte Folded Spill
	v_and_b32_e32 v0, 0xffff0000, v3
	buffer_store_dword v0, off, s[0:3], s32 offset:592 ; 4-byte Folded Spill
	ds_read_b128 v[0:3], v20 offset:176
	s_waitcnt lgkmcnt(0)
	v_lshlrev_b32_e32 v4, 16, v0
	v_and_b32_e32 v0, 0xffff0000, v0
	buffer_store_dword v4, off, s[0:3], s32 offset:596 ; 4-byte Folded Spill
	buffer_store_dword v0, off, s[0:3], s32 offset:600 ; 4-byte Folded Spill
	v_lshlrev_b32_e32 v0, 16, v1
	buffer_store_dword v0, off, s[0:3], s32 offset:604 ; 4-byte Folded Spill
	v_and_b32_e32 v0, 0xffff0000, v1
	buffer_store_dword v0, off, s[0:3], s32 offset:608 ; 4-byte Folded Spill
	v_lshlrev_b32_e32 v0, 16, v2
	buffer_store_dword v0, off, s[0:3], s32 offset:612 ; 4-byte Folded Spill
	v_and_b32_e32 v0, 0xffff0000, v2
	buffer_store_dword v0, off, s[0:3], s32 offset:616 ; 4-byte Folded Spill
	v_lshlrev_b32_e32 v0, 16, v3
	buffer_store_dword v0, off, s[0:3], s32 offset:620 ; 4-byte Folded Spill
	v_and_b32_e32 v0, 0xffff0000, v3
	buffer_store_dword v0, off, s[0:3], s32 offset:624 ; 4-byte Folded Spill
	buffer_store_dword v39, off, s[0:3], s32 offset:692 ; 4-byte Folded Spill
	buffer_load_dword v4, off, s[0:3], s32 offset:284 ; 4-byte Folded Reload
	v_add_co_u32 v0, vcc_lo, v8, v39
	v_add_co_ci_u32_e64 v1, null, v9, v64, vcc_lo
	buffer_store_dword v64, off, s[0:3], s32 offset:704 ; 4-byte Folded Spill
	v_sub_nc_u32_e32 v3, 0, v37
	s_waitcnt vmcnt(0)
	v_lshlrev_b32_e32 v2, 4, v4
	v_add_co_u32 v8, vcc_lo, v0, v2
	v_add_co_ci_u32_e64 v9, null, 0, v1, vcc_lo
	v_lshlrev_b64 v[0:1], 2, v[17:18]
	v_cvt_f32_u32_e32 v2, v37
	v_add_co_u32 v0, vcc_lo, v50, v0
	buffer_store_dword v50, off, s[0:3], s32 offset:684 ; 4-byte Folded Spill
	buffer_store_dword v51, off, s[0:3], s32 offset:688 ; 4-byte Folded Spill
	v_rcp_iflag_f32_e32 v2, v2
	buffer_store_dword v30, off, s[0:3], s32 offset:656 ; 4-byte Folded Spill
	buffer_store_dword v54, off, s[0:3], s32 offset:700 ; 4-byte Folded Spill
	s_load_dword s24, s[8:9], 0x0
	v_lshl_or_b32 v30, v32, 7, v12
	buffer_store_dword v14, off, s[0:3], s32 offset:652 ; 4-byte Folded Spill
	buffer_store_dword v15, off, s[0:3], s32 offset:648 ; 4-byte Folded Spill
	;; [unrolled: 1-line block ×3, first 2 shown]
	v_mul_f32_e32 v2, 0x4f7ffffe, v2
	v_cvt_u32_f32_e32 v2, v2
	v_mul_lo_u32 v3, v3, v2
	v_mul_hi_u32 v3, v2, v3
	v_add_nc_u32_e32 v27, v2, v3
	v_add_co_ci_u32_e64 v1, null, v51, v1, vcc_lo
	v_add_co_u32 v28, vcc_lo, v14, v0
	v_sub_nc_u32_e32 v0, v4, v38
	v_add_co_ci_u32_e64 v29, null, v15, v1, vcc_lo
	v_cmp_neq_f32_e32 vcc_lo, 0, v55
	v_add_nc_u32_e32 v0, 1, v0
	buffer_store_dword v0, off, s[0:3], s32 offset:628 ; 4-byte Folded Spill
	s_branch .LBB374_16
.LBB374_11:                             ;   in Loop: Header=BB374_16 Depth=1
	s_or_b32 exec_lo, exec_lo, s28
	v_lshlrev_b32_sdwa v19, v70, v32 dst_sel:DWORD dst_unused:UNUSED_PAD src0_sel:DWORD src1_sel:BYTE_3
	v_lshlrev_b32_e32 v31, 20, v33
	v_lshl_add_u32 v7, v7, 23, 0x3c000000
	v_and_b32_e32 v19, 0x80000000, v19
	v_or3_b32 v7, v31, v19, v7
.LBB374_12:                             ;   in Loop: Header=BB374_16 Depth=1
	s_or_b32 exec_lo, exec_lo, s27
.LBB374_13:                             ;   in Loop: Header=BB374_16 Depth=1
	s_or_b32 exec_lo, exec_lo, s26
.LBB374_14:                             ;   in Loop: Header=BB374_16 Depth=1
	s_or_b32 exec_lo, exec_lo, s25
	v_mul_f32_e32 v14, v80, v14
	v_mul_f32_e32 v6, v80, v6
	;; [unrolled: 1-line block ×5, first 2 shown]
	v_bfe_u32 v19, v14, 16, 1
	v_or_b32_e32 v31, 0x400000, v14
	v_cmp_u_f32_e64 s5, v14, v14
	v_mul_f32_e32 v45, v80, v45
	v_mul_f32_e32 v44, v80, v44
	v_add3_u32 v19, v19, v14, 0x7fff
	v_bfe_u32 v14, v6, 16, 1
	v_mul_f32_e32 v43, v80, v43
	v_mul_f32_e32 v42, v80, v42
	;; [unrolled: 1-line block ×3, first 2 shown]
	v_cndmask_b32_e64 v19, v19, v31, s5
	v_add3_u32 v14, v14, v6, 0x7fff
	v_or_b32_e32 v31, 0x400000, v6
	v_cmp_u_f32_e64 s5, v6, v6
	v_bfe_u32 v6, v0, 16, 1
	v_mul_f32_e32 v47, v80, v47
	v_mul_f32_e32 v118, v80, v118
	v_mul_f32_e32 v117, v80, v117
	v_cndmask_b32_e64 v31, v14, v31, s5
	v_add3_u32 v6, v6, v0, 0x7fff
	v_or_b32_e32 v14, 0x400000, v0
	v_cmp_u_f32_e64 s5, v0, v0
	v_mul_f32_e32 v0, v80, v1
	v_mul_f32_e32 v116, v80, v116
	;; [unrolled: 1-line block ×4, first 2 shown]
	v_cndmask_b32_e64 v34, v6, v14, s5
	v_bfe_u32 v1, v0, 16, 1
	v_or_b32_e32 v6, 0x400000, v0
	v_cmp_u_f32_e64 s5, v0, v0
	v_mul_f32_e32 v113, v80, v113
	v_mul_f32_e32 v119, v80, v119
	v_add3_u32 v1, v1, v0, 0x7fff
	v_mul_f32_e32 v102, v80, v102
	v_mul_f32_e32 v101, v80, v101
	;; [unrolled: 1-line block ×4, first 2 shown]
	v_cndmask_b32_e64 v0, v1, v6, s5
	v_mul_f32_e32 v1, v80, v51
	v_mul_f32_e32 v98, v80, v98
	;; [unrolled: 1-line block ×5, first 2 shown]
	v_bfe_u32 v6, v1, 16, 1
	v_or_b32_e32 v14, 0x400000, v1
	v_cmp_u_f32_e64 s5, v1, v1
	v_mul_f32_e32 v86, v80, v86
	v_mul_f32_e32 v85, v80, v85
	v_add3_u32 v6, v6, v1, 0x7fff
	v_mul_f32_e32 v84, v80, v84
	v_mul_f32_e32 v83, v80, v83
	;; [unrolled: 1-line block ×4, first 2 shown]
	v_cndmask_b32_e64 v1, v6, v14, s5
	v_mul_f32_e32 v6, v80, v50
	v_mul_f32_e32 v2, v80, v2
	;; [unrolled: 1-line block ×5, first 2 shown]
	v_bfe_u32 v14, v6, 16, 1
	v_or_b32_e32 v32, 0x400000, v6
	v_cmp_u_f32_e64 s5, v6, v6
	v_mul_f32_e32 v35, v80, v35
	v_mul_f32_e32 v16, v80, v16
	v_add3_u32 v14, v14, v6, 0x7fff
	v_mul_f32_e32 v6, v80, v26
	v_mul_f32_e32 v15, v80, v15
	v_and_b32_e32 v1, 0xffff0000, v1
	v_and_b32_e32 v0, 0xffff0000, v0
	v_cndmask_b32_e64 v50, v14, v32, s5
	v_bfe_u32 v14, v6, 16, 1
	v_or_b32_e32 v26, 0x400000, v6
	v_cmp_u_f32_e64 s5, v6, v6
	s_load_dword s25, s[8:9], 0x0
	v_add3_u32 v14, v14, v6, 0x7fff
	v_mul_f32_e32 v6, v80, v12
	v_cndmask_b32_e64 v33, v14, v26, s5
	v_bfe_u32 v12, v6, 16, 1
	v_or_b32_e32 v14, 0x400000, v6
	v_cmp_u_f32_e64 s5, v6, v6
	v_add3_u32 v12, v12, v6, 0x7fff
	v_mul_f32_e32 v6, v80, v21
	v_cndmask_b32_e64 v32, v12, v14, s5
	v_bfe_u32 v12, v6, 16, 1
	v_or_b32_e32 v14, 0x400000, v6
	v_cmp_u_f32_e64 s5, v6, v6
	;; [unrolled: 6-line block ×5, first 2 shown]
	v_add3_u32 v12, v12, v6, 0x7fff
	v_bfe_u32 v6, v4, 16, 1
	v_cndmask_b32_e64 v64, v12, v14, s5
	v_add3_u32 v6, v6, v4, 0x7fff
	v_or_b32_e32 v12, 0x400000, v4
	v_cmp_u_f32_e64 s5, v4, v4
	v_mul_f32_e32 v4, v80, v5
	v_cndmask_b32_e64 v69, v6, v12, s5
	v_bfe_u32 v5, v4, 16, 1
	v_or_b32_e32 v6, 0x400000, v4
	v_cmp_u_f32_e64 s5, v4, v4
	v_add3_u32 v5, v5, v4, 0x7fff
	v_mul_f32_e32 v4, v80, v10
	v_cndmask_b32_e64 v6, v5, v6, s5
	v_bfe_u32 v5, v4, 16, 1
	v_or_b32_e32 v10, 0x400000, v4
	v_cmp_u_f32_e64 s5, v4, v4
	v_and_b32_e32 v6, 0xffff0000, v6
	v_add3_u32 v5, v5, v4, 0x7fff
	v_cndmask_b32_e64 v4, v5, v10, s5
	v_mul_f32_e32 v5, v80, v11
	v_and_b32_e32 v4, 0xffff0000, v4
	v_bfe_u32 v10, v5, 16, 1
	v_or_b32_e32 v11, 0x400000, v5
	v_cmp_u_f32_e64 s5, v5, v5
	v_add3_u32 v10, v10, v5, 0x7fff
	v_cndmask_b32_e64 v5, v10, v11, s5
	v_mul_f32_e32 v10, v80, v126
	v_bfe_u32 v11, v10, 16, 1
	v_or_b32_e32 v12, 0x400000, v10
	v_cmp_u_f32_e64 s5, v10, v10
	v_add3_u32 v11, v11, v10, 0x7fff
	v_cndmask_b32_e64 v10, v11, v12, s5
	v_mul_f32_e32 v11, v80, v125
	v_and_b32_e32 v10, 0xffff0000, v10
	v_bfe_u32 v12, v11, 16, 1
	v_or_b32_e32 v14, 0x400000, v11
	v_cmp_u_f32_e64 s5, v11, v11
	v_add3_u32 v12, v12, v11, 0x7fff
	v_cndmask_b32_e64 v11, v12, v14, s5
	v_mul_f32_e32 v12, v80, v124
	v_and_b32_e32 v11, 0xffff0000, v11
	v_bfe_u32 v14, v12, 16, 1
	v_or_b32_e32 v26, 0x400000, v12
	v_cmp_u_f32_e64 s5, v12, v12
	v_add3_u32 v14, v14, v12, 0x7fff
	v_mul_f32_e32 v12, v80, v123
	v_cndmask_b32_e64 v14, v14, v26, s5
	v_bfe_u32 v26, v12, 16, 1
	v_or_b32_e32 v53, 0x400000, v12
	v_cmp_u_f32_e64 s5, v12, v12
	v_add3_u32 v26, v26, v12, 0x7fff
	v_mul_f32_e32 v12, v80, v122
	v_cndmask_b32_e64 v123, v26, v53, s5
	;; [unrolled: 6-line block ×6, first 2 shown]
	v_bfe_u32 v26, v12, 16, 1
	v_or_b32_e32 v53, 0x400000, v12
	v_cmp_u_f32_e64 s5, v12, v12
	v_add3_u32 v26, v26, v12, 0x7fff
	v_cndmask_b32_e64 v12, v26, v53, s5
	v_mul_f32_e32 v26, v80, v109
	v_and_b32_e32 v12, 0xffff0000, v12
	v_bfe_u32 v53, v26, 16, 1
	v_or_b32_e32 v109, 0x400000, v26
	v_cmp_u_f32_e64 s5, v26, v26
	v_add3_u32 v53, v53, v26, 0x7fff
	v_cndmask_b32_e64 v26, v53, v109, s5
	v_mul_f32_e32 v53, v80, v108
	v_and_b32_e32 v26, 0xffff0000, v26
	v_bfe_u32 v108, v53, 16, 1
	v_or_b32_e32 v109, 0x400000, v53
	v_cmp_u_f32_e64 s5, v53, v53
	v_add3_u32 v108, v108, v53, 0x7fff
	v_mul_f32_e32 v53, v80, v107
	v_cndmask_b32_e64 v108, v108, v109, s5
	v_bfe_u32 v107, v53, 16, 1
	v_or_b32_e32 v109, 0x400000, v53
	v_cmp_u_f32_e64 s5, v53, v53
	v_add3_u32 v107, v107, v53, 0x7fff
	v_mul_f32_e32 v53, v80, v106
	v_cndmask_b32_e64 v107, v107, v109, s5
	;; [unrolled: 6-line block ×28, first 2 shown]
	v_bfe_u32 v57, v53, 16, 1
	v_or_b32_e32 v72, 0x400000, v53
	v_cmp_u_f32_e64 s5, v53, v53
	v_add3_u32 v57, v57, v53, 0x7fff
	v_cndmask_b32_e64 v53, v57, v72, s5
	v_mul_f32_e32 v57, v80, v63
	v_and_b32_e32 v53, 0xffff0000, v53
	v_bfe_u32 v63, v57, 16, 1
	v_or_b32_e32 v72, 0x400000, v57
	v_cmp_u_f32_e64 s5, v57, v57
	v_add3_u32 v63, v63, v57, 0x7fff
	v_cndmask_b32_e64 v57, v63, v72, s5
	v_bfe_u32 v63, v46, 16, 1
	v_or_b32_e32 v72, 0x400000, v46
	v_cmp_u_f32_e64 s5, v46, v46
	v_add3_u32 v63, v63, v46, 0x7fff
	v_cndmask_b32_e64 v46, v63, v72, s5
	;; [unrolled: 5-line block ×6, first 2 shown]
	v_bfe_u32 v63, v41, 16, 1
	v_or_b32_e32 v72, 0x400000, v41
	v_cmp_u_f32_e64 s5, v41, v41
	v_add3_u32 v63, v63, v41, 0x7fff
	v_mul_f32_e32 v41, v80, v56
	v_cndmask_b32_e64 v63, v63, v72, s5
	v_bfe_u32 v56, v41, 16, 1
	v_or_b32_e32 v72, 0x400000, v41
	v_cmp_u_f32_e64 s5, v41, v41
	v_add3_u32 v56, v56, v41, 0x7fff
	v_cndmask_b32_e64 v41, v56, v72, s5
	v_bfe_u32 v56, v47, 16, 1
	v_or_b32_e32 v72, 0x400000, v47
	v_cmp_u_f32_e64 s5, v47, v47
	v_add3_u32 v56, v56, v47, 0x7fff
	;; [unrolled: 5-line block ×8, first 2 shown]
	v_mul_f32_e32 v113, v80, v40
	v_cndmask_b32_e64 v56, v56, v72, s5
	v_bfe_u32 v40, v113, 16, 1
	v_or_b32_e32 v72, 0x400000, v113
	v_cmp_u_f32_e64 s5, v113, v113
	v_add3_u32 v40, v40, v113, 0x7fff
	v_cndmask_b32_e64 v113, v40, v72, s5
	v_bfe_u32 v40, v119, 16, 1
	v_or_b32_e32 v72, 0x400000, v119
	v_cmp_u_f32_e64 s5, v119, v119
	v_add3_u32 v40, v40, v119, 0x7fff
	;; [unrolled: 5-line block ×11, first 2 shown]
	v_bfe_u32 v86, v85, 16, 1
	v_cndmask_b32_e64 v40, v40, v72, s5
	v_add3_u32 v86, v86, v85, 0x7fff
	v_or_b32_e32 v72, 0x400000, v85
	v_cmp_u_f32_e64 s5, v85, v85
	v_bfe_u32 v85, v84, 16, 1
	v_cndmask_b32_e64 v72, v86, v72, s5
	v_add3_u32 v85, v85, v84, 0x7fff
	v_or_b32_e32 v86, 0x400000, v84
	v_cmp_u_f32_e64 s5, v84, v84
	;; [unrolled: 5-line block ×3, first 2 shown]
	v_cndmask_b32_e64 v83, v84, v85, s5
	v_bfe_u32 v84, v82, 16, 1
	v_or_b32_e32 v85, 0x400000, v82
	v_cmp_u_f32_e64 s5, v82, v82
	v_add3_u32 v84, v84, v82, 0x7fff
	v_bfe_u32 v82, v81, 16, 1
	v_cndmask_b32_e64 v85, v84, v85, s5
	v_add3_u32 v82, v82, v81, 0x7fff
	v_or_b32_e32 v84, 0x400000, v81
	v_cmp_u_f32_e64 s5, v81, v81
	v_cndmask_b32_e64 v81, v82, v84, s5
	v_mul_f32_e32 v82, v80, v96
	v_bfe_u32 v84, v82, 16, 1
	v_or_b32_e32 v86, 0x400000, v82
	v_cmp_u_f32_e64 s5, v82, v82
	v_add3_u32 v84, v84, v82, 0x7fff
	v_mul_f32_e32 v82, v80, v87
	v_cndmask_b32_e64 v96, v84, v86, s5
	v_bfe_u32 v84, v82, 16, 1
	v_or_b32_e32 v86, 0x400000, v82
	v_cmp_u_f32_e64 s5, v82, v82
	v_add3_u32 v84, v84, v82, 0x7fff
	v_bfe_u32 v82, v2, 16, 1
	v_cndmask_b32_e64 v125, v84, v86, s5
	v_add3_u32 v82, v82, v2, 0x7fff
	v_or_b32_e32 v84, 0x400000, v2
	v_cmp_u_f32_e64 s5, v2, v2
	v_cndmask_b32_e64 v2, v82, v84, s5
	v_bfe_u32 v82, v3, 16, 1
	v_or_b32_e32 v84, 0x400000, v3
	v_cmp_u_f32_e64 s5, v3, v3
	v_add3_u32 v82, v82, v3, 0x7fff
	v_cndmask_b32_e64 v3, v82, v84, s5
	v_bfe_u32 v82, v54, 16, 1
	v_or_b32_e32 v84, 0x400000, v54
	v_cmp_u_f32_e64 s5, v54, v54
	v_add3_u32 v82, v82, v54, 0x7fff
	;; [unrolled: 5-line block ×4, first 2 shown]
	v_bfe_u32 v35, v16, 16, 1
	v_cndmask_b32_e64 v82, v82, v84, s5
	v_add3_u32 v35, v35, v16, 0x7fff
	v_or_b32_e32 v84, 0x400000, v16
	v_cmp_u_f32_e64 s5, v16, v16
	v_mul_f32_e32 v16, v80, v7
	buffer_load_dword v80, off, s[0:3], s32 offset:260 ; 4-byte Folded Reload
	v_bfe_u32 v7, v15, 16, 1
	v_cndmask_b32_e64 v86, v35, v84, s5
	v_or_b32_e32 v35, 0x400000, v15
	v_cmp_u_f32_e64 s5, v15, v15
	v_add3_u32 v7, v7, v15, 0x7fff
	v_bfe_u32 v15, v16, 16, 1
	v_cndmask_b32_e64 v7, v7, v35, s5
	v_add3_u32 v15, v15, v16, 0x7fff
	v_or_b32_e32 v35, 0x400000, v16
	v_cmp_u_f32_e64 s5, v16, v16
	v_and_b32_e32 v16, 0xffff0000, v97
	buffer_load_dword v97, off, s[0:3], s32 offset:300 ; 4-byte Folded Reload
	v_cndmask_b32_e64 v15, v15, v35, s5
	v_and_b32_e32 v35, 0xffff0000, v81
	s_waitcnt vmcnt(1)
	v_mul_f32_e32 v84, v80, v16
	s_clause 0x1
	buffer_load_dword v16, off, s[0:3], s32 offset:224
	buffer_load_dword v80, off, s[0:3], s32 offset:264
	s_waitcnt vmcnt(1)
	v_fmac_f32_e32 v84, v16, v35
	v_and_b32_e32 v16, 0xffff0000, v98
	v_and_b32_e32 v35, 0xffff0000, v85
	s_waitcnt vmcnt(0)
	v_mul_f32_e32 v87, v80, v16
	s_clause 0x1
	buffer_load_dword v16, off, s[0:3], s32 offset:232
	buffer_load_dword v80, off, s[0:3], s32 offset:268
	s_waitcnt vmcnt(1)
	v_fmac_f32_e32 v87, v16, v35
	v_and_b32_e32 v16, 0xffff0000, v99
	;; [unrolled: 9-line block ×4, first 2 shown]
	v_and_b32_e32 v35, 0xffff0000, v72
	s_waitcnt vmcnt(0)
	v_mul_f32_e32 v81, v80, v16
	buffer_load_dword v16, off, s[0:3], s32 offset:244 ; 4-byte Folded Reload
	v_and_b32_e32 v80, 0xffff0000, v40
	s_waitcnt vmcnt(0)
	v_fmac_f32_e32 v81, v16, v35
	buffer_load_dword v35, off, s[0:3], s32 offset:280 ; 4-byte Folded Reload
	v_and_b32_e32 v16, 0xffff0000, v102
	s_waitcnt vmcnt(0)
	v_mul_f32_e32 v35, v35, v16
	buffer_load_dword v16, off, s[0:3], s32 offset:248 ; 4-byte Folded Reload
	s_waitcnt vmcnt(0)
	v_fmac_f32_e32 v35, v16, v80
	v_and_b32_e32 v80, 0xffff0000, v96
	buffer_load_dword v96, off, s[0:3], s32 offset:296 ; 4-byte Folded Reload
	v_and_b32_e32 v16, 0xffff0000, v112
	s_waitcnt vmcnt(0)
	v_mul_f32_e32 v16, v96, v16
	buffer_load_dword v96, off, s[0:3], s32 offset:252 ; 4-byte Folded Reload
	s_waitcnt vmcnt(0)
	v_fmac_f32_e32 v16, v96, v80
	v_and_b32_e32 v80, 0xffff0000, v103
	v_and_b32_e32 v96, 0xffff0000, v125
	v_mul_f32_e32 v80, v97, v80
	buffer_load_dword v97, off, s[0:3], s32 offset:256 ; 4-byte Folded Reload
	s_waitcnt vmcnt(0)
	v_fmac_f32_e32 v80, v97, v96
	buffer_load_dword v97, off, s[0:3], s32 offset:304 ; 4-byte Folded Reload
	v_and_b32_e32 v96, 0xffff0000, v56
	s_waitcnt vmcnt(0)
	v_fmac_f32_e32 v84, v97, v96
	buffer_load_dword v97, off, s[0:3], s32 offset:312 ; 4-byte Folded Reload
	v_and_b32_e32 v96, 0xffff0000, v114
	;; [unrolled: 4-line block ×22, first 2 shown]
	s_waitcnt vmcnt(0)
	v_fmac_f32_e32 v35, v97, v96
	buffer_load_dword v96, off, s[0:3], s32 offset:396 ; 4-byte Folded Reload
	s_waitcnt vmcnt(0)
	v_fmac_f32_e32 v16, v96, v53
	buffer_load_dword v96, off, s[0:3], s32 offset:400 ; 4-byte Folded Reload
	v_and_b32_e32 v53, 0xffff0000, v57
	s_waitcnt vmcnt(0)
	v_fmac_f32_e32 v80, v96, v53
	buffer_load_dword v96, off, s[0:3], s32 offset:404 ; 4-byte Folded Reload
	v_and_b32_e32 v53, 0xffff0000, v104
	;; [unrolled: 4-line block ×21, first 2 shown]
	s_waitcnt vmcnt(0)
	v_fmac_f32_e32 v83, v96, v53
	buffer_load_dword v53, off, s[0:3], s32 offset:484 ; 4-byte Folded Reload
	s_waitcnt vmcnt(0)
	v_fmac_f32_e32 v81, v53, v26
	buffer_load_dword v26, off, s[0:3], s32 offset:488 ; 4-byte Folded Reload
	;; [unrolled: 3-line block ×3, first 2 shown]
	v_and_b32_e32 v12, 0xffff0000, v105
	s_waitcnt vmcnt(0)
	v_fmac_f32_e32 v16, v26, v12
	buffer_load_dword v26, off, s[0:3], s32 offset:496 ; 4-byte Folded Reload
	v_and_b32_e32 v12, 0xffff0000, v109
	s_waitcnt vmcnt(0)
	v_fmac_f32_e32 v80, v26, v12
	buffer_load_dword v26, off, s[0:3], s32 offset:500 ; 4-byte Folded Reload
	;; [unrolled: 4-line block ×4, first 2 shown]
	v_and_b32_e32 v12, 0xffff0000, v123
	s_waitcnt vmcnt(0)
	v_fmac_f32_e32 v85, v26, v12
	v_and_b32_e32 v12, 0xffff0000, v14
	buffer_load_dword v14, off, s[0:3], s32 offset:512 ; 4-byte Folded Reload
	s_waitcnt vmcnt(0)
	v_fmac_f32_e32 v83, v14, v12
	buffer_load_dword v12, off, s[0:3], s32 offset:516 ; 4-byte Folded Reload
	s_waitcnt vmcnt(0)
	v_fmac_f32_e32 v81, v12, v11
	;; [unrolled: 3-line block ×3, first 2 shown]
	buffer_load_dword v11, off, s[0:3], s32 offset:524 ; 4-byte Folded Reload
	v_and_b32_e32 v10, 0xffff0000, v23
	s_waitcnt vmcnt(0)
	v_fmac_f32_e32 v16, v11, v10
	buffer_load_dword v11, off, s[0:3], s32 offset:528 ; 4-byte Folded Reload
	v_and_b32_e32 v10, 0xffff0000, v121
	s_waitcnt vmcnt(0)
	v_fmac_f32_e32 v80, v11, v10
	buffer_load_dword v10, off, s[0:3], s32 offset:532 ; 4-byte Folded Reload
	s_waitcnt vmcnt(0)
	v_fmac_f32_e32 v84, v10, v6
	buffer_load_dword v10, off, s[0:3], s32 offset:536 ; 4-byte Folded Reload
	v_and_b32_e32 v6, 0xffff0000, v69
	s_waitcnt vmcnt(0)
	v_fmac_f32_e32 v87, v10, v6
	buffer_load_dword v10, off, s[0:3], s32 offset:540 ; 4-byte Folded Reload
	v_and_b32_e32 v6, 0xffff0000, v64
	;; [unrolled: 4-line block ×5, first 2 shown]
	s_waitcnt vmcnt(0)
	v_fmac_f32_e32 v35, v10, v6
	buffer_load_dword v6, off, s[0:3], s32 offset:556 ; 4-byte Folded Reload
	s_waitcnt vmcnt(0)
	v_fmac_f32_e32 v16, v6, v4
	v_and_b32_e32 v4, 0xffff0000, v5
	buffer_load_dword v5, off, s[0:3], s32 offset:560 ; 4-byte Folded Reload
	s_waitcnt vmcnt(0)
	v_fmac_f32_e32 v80, v5, v4
	buffer_load_dword v5, off, s[0:3], s32 offset:564 ; 4-byte Folded Reload
	v_and_b32_e32 v4, 0xffff0000, v50
	s_waitcnt vmcnt(0)
	v_fmac_f32_e32 v84, v5, v4
	buffer_load_dword v4, off, s[0:3], s32 offset:568 ; 4-byte Folded Reload
	s_waitcnt vmcnt(0)
	v_fmac_f32_e32 v87, v4, v1
	s_clause 0x1
	buffer_load_dword v1, off, s[0:3], s32 offset:572
	buffer_load_dword v4, off, s[0:3], s32 offset:580
	s_waitcnt vmcnt(1)
	v_fmac_f32_e32 v85, v1, v0
	buffer_load_dword v1, off, s[0:3], s32 offset:596 ; 4-byte Folded Reload
	v_and_b32_e32 v0, 0xffff0000, v86
	s_waitcnt vmcnt(0)
	v_fmac_f32_e32 v84, v1, v0
	buffer_load_dword v1, off, s[0:3], s32 offset:600 ; 4-byte Folded Reload
	v_and_b32_e32 v0, 0xffff0000, v82
	;; [unrolled: 4-line block ×4, first 2 shown]
	s_waitcnt vmcnt(0)
	v_fmac_f32_e32 v85, v1, v0
	v_and_b32_e32 v1, 0xffff0000, v31
	v_add_f32_e32 v0, v84, v87
	v_fmac_f32_e32 v81, v4, v1
	buffer_load_dword v4, off, s[0:3], s32 offset:608 ; 4-byte Folded Reload
	v_and_b32_e32 v1, 0xffff0000, v54
	v_add_f32_e32 v0, v0, v85
	s_waitcnt vmcnt(0)
	v_fmac_f32_e32 v83, v4, v1
	buffer_load_dword v4, off, s[0:3], s32 offset:584 ; 4-byte Folded Reload
	v_and_b32_e32 v1, 0xffff0000, v19
	v_add_f32_e32 v0, v83, v0
	s_waitcnt vmcnt(0)
	v_fmac_f32_e32 v35, v4, v1
	v_and_b32_e32 v1, 0xffff0000, v3
	buffer_load_dword v3, off, s[0:3], s32 offset:612 ; 4-byte Folded Reload
	s_waitcnt vmcnt(0)
	v_fmac_f32_e32 v81, v3, v1
	buffer_load_dword v3, off, s[0:3], s32 offset:588 ; 4-byte Folded Reload
	v_and_b32_e32 v1, 0xffff0000, v33
	v_add_f32_e32 v0, v81, v0
	s_waitcnt vmcnt(0)
	v_fmac_f32_e32 v16, v3, v1
	v_and_b32_e32 v1, 0xffff0000, v2
	buffer_load_dword v2, off, s[0:3], s32 offset:616 ; 4-byte Folded Reload
	s_waitcnt vmcnt(0)
	v_fmac_f32_e32 v35, v2, v1
	buffer_load_dword v2, off, s[0:3], s32 offset:592 ; 4-byte Folded Reload
	v_and_b32_e32 v1, 0xffff0000, v32
	v_add_f32_e32 v0, v35, v0
	s_waitcnt vmcnt(0)
	v_fmac_f32_e32 v80, v2, v1
	buffer_load_dword v2, off, s[0:3], s32 offset:620 ; 4-byte Folded Reload
	v_and_b32_e32 v1, 0xffff0000, v7
	s_waitcnt vmcnt(0)
	v_fmac_f32_e32 v16, v2, v1
	buffer_load_dword v2, off, s[0:3], s32 offset:624 ; 4-byte Folded Reload
	v_and_b32_e32 v1, 0xffff0000, v15
	v_add_f32_e32 v0, v16, v0
	s_waitcnt vmcnt(0)
	v_fmac_f32_e32 v80, v2, v1
	buffer_load_dword v1, off, s[0:3], s32 offset:628 ; 4-byte Folded Reload
	v_add_f32_e32 v0, v80, v0
	s_waitcnt vmcnt(0)
	v_add_nc_u32_e32 v1, v1, v65
	v_cvt_f32_i32_e32 v1, v1
	v_mul_f32_e32 v1, v55, v1
	v_cndmask_b32_e32 v1, 0, v1, vcc_lo
	v_fmac_f32_e32 v1, v13, v0
	buffer_load_dword v0, off, s[0:3], s32 offset:284 ; 4-byte Folded Reload
	s_waitcnt vmcnt(0)
	v_add_nc_u32_e32 v0, v0, v65
	v_cmp_lt_i32_e64 s5, v0, v38
	s_waitcnt lgkmcnt(0)
	v_add_nc_u32_e32 v0, s25, v30
	v_cndmask_b32_e64 v2, 0, v1, s5
	ds_write_b32 v0, v2
	v_max_f32_e32 v0, v48, v48
	v_max_f32_e32 v0, v0, v1
	v_cndmask_b32_e64 v48, v48, v0, s5
.LBB374_15:                             ;   in Loop: Header=BB374_16 Depth=1
	s_or_b32 exec_lo, exec_lo, s6
	buffer_load_dword v0, off, s[0:3], s32 offset:212 ; 4-byte Folded Reload
	v_add_nc_u32_e32 v71, 4, v71
	v_add_co_u32 v28, s5, v28, 16
	v_add_co_ci_u32_e64 v29, null, 0, v29, s5
	v_add_nc_u32_e32 v65, 0x80, v65
	v_add_nc_u32_e32 v30, 0x200, v30
	s_waitcnt vmcnt(0)
	v_cmp_ge_i32_e64 s5, v71, v0
	s_or_b32 s17, s5, s17
	s_andn2_b32 exec_lo, exec_lo, s17
	s_cbranch_execz .LBB374_784
.LBB374_16:                             ; =>This Inner Loop Header: Depth=1
	s_clause 0x1
	buffer_load_dword v1, off, s[0:3], s32 offset:216
	buffer_load_dword v4, off, s[0:3], s32 offset:208
	v_sub_nc_u32_e32 v0, 0, v65
	v_max_i32_e32 v0, v65, v0
	s_waitcnt vmcnt(1)
	v_mul_hi_u32 v1, v0, v1
	v_mul_lo_u32 v2, v1, v49
	v_sub_nc_u32_e32 v0, v0, v2
	v_add_nc_u32_e32 v2, 1, v1
	v_sub_nc_u32_e32 v3, v0, v49
	v_cmp_ge_u32_e64 s5, v0, v49
	v_cndmask_b32_e64 v1, v1, v2, s5
	v_cndmask_b32_e64 v0, v0, v3, s5
	v_ashrrev_i32_e32 v2, 31, v65
	v_add_nc_u32_e32 v3, 1, v1
	v_cmp_ge_u32_e64 s5, v0, v49
	s_waitcnt vmcnt(0)
	v_xor_b32_e32 v2, v2, v4
	v_cndmask_b32_e64 v0, v1, v3, s5
	v_xor_b32_e32 v0, v0, v2
	v_sub_nc_u32_e32 v0, v0, v2
	s_clause 0x1
	buffer_load_dword v1, off, s[0:3], s32 offset:200
	buffer_load_dword v2, off, s[0:3], s32 offset:204
	s_waitcnt vmcnt(1)
	v_add_nc_u32_e32 v1, v0, v1
	s_waitcnt vmcnt(0)
	v_sub_nc_u32_e32 v2, 0, v1
	v_max_i32_e32 v2, v1, v2
	v_ashrrev_i32_e32 v1, 31, v1
	v_mul_hi_u32 v3, v2, v27
	v_mul_lo_u32 v3, v3, v37
	v_sub_nc_u32_e32 v2, v2, v3
	v_sub_nc_u32_e32 v3, v2, v37
	v_cmp_ge_u32_e64 s5, v2, v37
	v_cndmask_b32_e64 v2, v2, v3, s5
	v_sub_nc_u32_e32 v3, v2, v37
	v_cmp_ge_u32_e64 s5, v2, v37
	v_cndmask_b32_e64 v2, v2, v3, s5
	v_xor_b32_e32 v2, v2, v1
	v_sub_nc_u32_e32 v1, v2, v1
	v_cmp_ne_u32_e64 s5, 0, v1
	buffer_load_dword v1, off, s[0:3], s32 offset:220 ; 4-byte Folded Reload
	s_waitcnt vmcnt(0)
	v_cmp_le_i32_e64 s6, v0, v1
	s_and_b32 s5, s5, s6
	s_and_saveexec_b32 s6, s5
	s_xor_b32 s5, exec_lo, s6
	s_cbranch_execz .LBB374_18
; %bb.17:                               ;   in Loop: Header=BB374_16 Depth=1
	s_waitcnt lgkmcnt(0)
	v_add_nc_u32_e32 v0, s24, v30
	v_mov_b32_e32 v1, 0xff7fffff
	ds_write_b32 v0, v1
.LBB374_18:                             ;   in Loop: Header=BB374_16 Depth=1
	s_andn2_saveexec_b32 s6, s5
	s_cbranch_execz .LBB374_15
; %bb.19:                               ;   in Loop: Header=BB374_16 Depth=1
	flat_load_dword v0, v[28:29]
	buffer_load_dword v1, off, s[0:3], s32 offset:228 ; 4-byte Folded Reload
	v_mov_b32_e32 v82, 0
	v_mov_b32_e32 v81, 0
	s_waitcnt vmcnt(0) lgkmcnt(0)
	v_mad_i64_i32 v[31:32], null, v0, v1, v[8:9]
	flat_load_dwordx2 v[33:34], v[31:32]
	flat_load_dword v80, v[24:25]
	s_waitcnt vmcnt(1) lgkmcnt(1)
	v_cmp_ne_u16_sdwa s5, v33, v20 src0_sel:BYTE_0 src1_sel:DWORD
	s_and_saveexec_b32 s25, s5
	s_cbranch_execz .LBB374_27
; %bb.20:                               ;   in Loop: Header=BB374_16 Depth=1
	v_cmp_ne_u16_sdwa s5, v33, v22 src0_sel:BYTE_0 src1_sel:DWORD
	v_bfrev_b32_e32 v81, 1
	s_and_saveexec_b32 s26, s5
	s_cbranch_execz .LBB374_26
; %bb.21:                               ;   in Loop: Header=BB374_16 Depth=1
	v_and_b32_e32 v1, 0x7f, v33
	v_mov_b32_e32 v81, 0x7f800001
	s_mov_b32 s27, exec_lo
	v_cmpx_ne_u32_e32 0x7f, v1
	s_cbranch_execz .LBB374_25
; %bb.22:                               ;   in Loop: Header=BB374_16 Depth=1
	v_mov_b32_e32 v36, v34
	v_lshrrev_b32_e32 v0, 3, v1
	v_mov_b32_e32 v35, v33
	s_mov_b32 s28, exec_lo
	v_cmpx_gt_u32_e32 8, v1
; %bb.23:                               ;   in Loop: Header=BB374_16 Depth=1
	v_and_b32_e32 v0, 7, v33
	v_ffbh_u32_e32 v0, v0
	v_min_u32_e32 v0, 32, v0
	v_subrev_nc_u32_e32 v1, 28, v0
	v_sub_nc_u32_e32 v0, 29, v0
	v_lshlrev_b64 v[35:36], v1, v[33:34]
; %bb.24:                               ;   in Loop: Header=BB374_16 Depth=1
	s_or_b32 exec_lo, exec_lo, s28
	v_lshlrev_b32_e32 v1, 20, v35
	v_lshlrev_b32_e32 v2, 24, v33
	v_lshl_add_u32 v0, v0, 23, 0x3c000000
	v_and_b32_e32 v1, 0x700000, v1
	v_and_b32_e32 v2, 0x80000000, v2
	v_or3_b32 v81, v1, v2, v0
.LBB374_25:                             ;   in Loop: Header=BB374_16 Depth=1
	s_or_b32 exec_lo, exec_lo, s27
.LBB374_26:                             ;   in Loop: Header=BB374_16 Depth=1
	s_or_b32 exec_lo, exec_lo, s26
.LBB374_27:                             ;   in Loop: Header=BB374_16 Depth=1
	s_or_b32 exec_lo, exec_lo, s25
	v_cmp_ne_u16_sdwa s5, v33, v20 src0_sel:BYTE_1 src1_sel:DWORD
	s_and_saveexec_b32 s25, s5
	s_cbranch_execz .LBB374_35
; %bb.28:                               ;   in Loop: Header=BB374_16 Depth=1
	v_cmp_ne_u16_sdwa s5, v33, v22 src0_sel:BYTE_1 src1_sel:DWORD
	v_bfrev_b32_e32 v82, 1
	s_and_saveexec_b32 s26, s5
	s_cbranch_execz .LBB374_34
; %bb.29:                               ;   in Loop: Header=BB374_16 Depth=1
	v_and_b32_sdwa v0, v66, v33 dst_sel:DWORD dst_unused:UNUSED_PAD src0_sel:DWORD src1_sel:BYTE_1
	v_mov_b32_e32 v82, 0x7f800001
	s_mov_b32 s27, exec_lo
	v_and_b32_e32 v1, 0x7f, v0
	v_cmpx_ne_u32_e32 0x7f, v1
	s_cbranch_execz .LBB374_33
; %bb.30:                               ;   in Loop: Header=BB374_16 Depth=1
	v_and_b32_e32 v19, 7, v0
	v_lshrrev_b32_e32 v0, 3, v1
	s_mov_b32 s28, exec_lo
	v_cmpx_gt_u32_e32 8, v1
; %bb.31:                               ;   in Loop: Header=BB374_16 Depth=1
	v_ffbh_u32_e32 v0, v19
	v_min_u32_e32 v0, 32, v0
	v_subrev_nc_u32_e32 v1, 28, v0
	v_sub_nc_u32_e32 v0, 29, v0
	v_lshlrev_b64 v[1:2], v1, v[19:20]
	v_and_b32_e32 v19, 7, v1
; %bb.32:                               ;   in Loop: Header=BB374_16 Depth=1
	s_or_b32 exec_lo, exec_lo, s28
	v_lshlrev_b32_e32 v1, 16, v33
	v_lshlrev_b32_e32 v2, 20, v19
	v_lshl_add_u32 v0, v0, 23, 0x3c000000
	v_and_b32_e32 v1, 0x80000000, v1
	v_or3_b32 v82, v2, v1, v0
.LBB374_33:                             ;   in Loop: Header=BB374_16 Depth=1
	s_or_b32 exec_lo, exec_lo, s27
.LBB374_34:                             ;   in Loop: Header=BB374_16 Depth=1
	s_or_b32 exec_lo, exec_lo, s26
.LBB374_35:                             ;   in Loop: Header=BB374_16 Depth=1
	s_or_b32 exec_lo, exec_lo, s25
	v_and_b32_sdwa v0, v33, v67 dst_sel:DWORD dst_unused:UNUSED_PAD src0_sel:WORD_1 src1_sel:DWORD
	v_mov_b32_e32 v84, 0
	v_mov_b32_e32 v83, 0
	s_mov_b32 s25, exec_lo
	v_cmpx_ne_u16_e32 0, v0
	s_cbranch_execz .LBB374_43
; %bb.36:                               ;   in Loop: Header=BB374_16 Depth=1
	v_bfrev_b32_e32 v83, 1
	s_mov_b32 s26, exec_lo
	v_cmpx_ne_u16_e32 0x80, v0
	s_cbranch_execz .LBB374_42
; %bb.37:                               ;   in Loop: Header=BB374_16 Depth=1
	v_bfe_u32 v1, v33, 16, 7
	v_mov_b32_e32 v83, 0x7f800001
	s_mov_b32 s27, exec_lo
	v_cmpx_ne_u32_e32 0x7f, v1
	s_cbranch_execz .LBB374_41
; %bb.38:                               ;   in Loop: Header=BB374_16 Depth=1
	v_and_b32_sdwa v19, v33, v68 dst_sel:DWORD dst_unused:UNUSED_PAD src0_sel:WORD_1 src1_sel:DWORD
	v_lshrrev_b32_e32 v0, 3, v1
	s_mov_b32 s28, exec_lo
	v_cmpx_gt_u32_e32 8, v1
; %bb.39:                               ;   in Loop: Header=BB374_16 Depth=1
	v_ffbh_u32_e32 v0, v19
	v_min_u32_e32 v0, 32, v0
	v_subrev_nc_u32_e32 v1, 28, v0
	v_sub_nc_u32_e32 v0, 29, v0
	v_lshlrev_b64 v[1:2], v1, v[19:20]
	v_and_b32_e32 v19, 7, v1
; %bb.40:                               ;   in Loop: Header=BB374_16 Depth=1
	s_or_b32 exec_lo, exec_lo, s28
	v_lshlrev_b32_sdwa v1, v70, v33 dst_sel:DWORD dst_unused:UNUSED_PAD src0_sel:DWORD src1_sel:WORD_1
	v_lshlrev_b32_e32 v2, 20, v19
	v_lshl_add_u32 v0, v0, 23, 0x3c000000
	v_and_b32_e32 v1, 0x80000000, v1
	v_or3_b32 v83, v2, v1, v0
.LBB374_41:                             ;   in Loop: Header=BB374_16 Depth=1
	s_or_b32 exec_lo, exec_lo, s27
.LBB374_42:                             ;   in Loop: Header=BB374_16 Depth=1
	s_or_b32 exec_lo, exec_lo, s26
.LBB374_43:                             ;   in Loop: Header=BB374_16 Depth=1
	s_or_b32 exec_lo, exec_lo, s25
	s_mov_b32 s25, exec_lo
	v_cmpx_lt_u32_e32 0xffffff, v33
	s_cbranch_execz .LBB374_51
; %bb.44:                               ;   in Loop: Header=BB374_16 Depth=1
	v_cmp_ne_u32_sdwa s5, v33, v22 src0_sel:BYTE_3 src1_sel:DWORD
	v_bfrev_b32_e32 v84, 1
	s_and_saveexec_b32 s26, s5
	s_cbranch_execz .LBB374_50
; %bb.45:                               ;   in Loop: Header=BB374_16 Depth=1
	v_bfe_u32 v1, v33, 24, 7
	v_mov_b32_e32 v84, 0x7f800001
	s_mov_b32 s27, exec_lo
	v_cmpx_ne_u32_e32 0x7f, v1
	s_cbranch_execz .LBB374_49
; %bb.46:                               ;   in Loop: Header=BB374_16 Depth=1
	v_and_b32_sdwa v19, v33, v68 dst_sel:DWORD dst_unused:UNUSED_PAD src0_sel:BYTE_3 src1_sel:DWORD
	v_lshrrev_b32_e32 v0, 3, v1
	s_mov_b32 s28, exec_lo
	v_cmpx_gt_u32_e32 8, v1
; %bb.47:                               ;   in Loop: Header=BB374_16 Depth=1
	v_ffbh_u32_e32 v0, v19
	v_min_u32_e32 v0, 32, v0
	v_subrev_nc_u32_e32 v1, 28, v0
	v_sub_nc_u32_e32 v0, 29, v0
	v_lshlrev_b64 v[1:2], v1, v[19:20]
	v_and_b32_e32 v19, 7, v1
; %bb.48:                               ;   in Loop: Header=BB374_16 Depth=1
	s_or_b32 exec_lo, exec_lo, s28
	v_lshlrev_b32_sdwa v1, v70, v33 dst_sel:DWORD dst_unused:UNUSED_PAD src0_sel:DWORD src1_sel:BYTE_3
	v_lshlrev_b32_e32 v2, 20, v19
	v_lshl_add_u32 v0, v0, 23, 0x3c000000
	v_and_b32_e32 v1, 0x80000000, v1
	v_or3_b32 v84, v2, v1, v0
.LBB374_49:                             ;   in Loop: Header=BB374_16 Depth=1
	s_or_b32 exec_lo, exec_lo, s27
.LBB374_50:                             ;   in Loop: Header=BB374_16 Depth=1
	s_or_b32 exec_lo, exec_lo, s26
.LBB374_51:                             ;   in Loop: Header=BB374_16 Depth=1
	s_or_b32 exec_lo, exec_lo, s25
	v_mov_b32_e32 v19, v34
	v_cmp_ne_u16_sdwa s5, v34, v20 src0_sel:BYTE_0 src1_sel:DWORD
	v_mov_b32_e32 v86, 0
	v_mov_b32_e32 v85, 0
	s_and_saveexec_b32 s25, s5
	s_cbranch_execz .LBB374_59
; %bb.52:                               ;   in Loop: Header=BB374_16 Depth=1
	v_cmp_ne_u16_sdwa s5, v34, v22 src0_sel:BYTE_0 src1_sel:DWORD
	v_bfrev_b32_e32 v85, 1
	s_and_saveexec_b32 s26, s5
	s_cbranch_execz .LBB374_58
; %bb.53:                               ;   in Loop: Header=BB374_16 Depth=1
	v_and_b32_e32 v1, 0x7f, v34
	v_mov_b32_e32 v85, 0x7f800001
	s_mov_b32 s27, exec_lo
	v_cmpx_ne_u32_e32 0x7f, v1
	s_cbranch_execz .LBB374_57
; %bb.54:                               ;   in Loop: Header=BB374_16 Depth=1
	v_mov_b32_e32 v36, v20
	v_lshrrev_b32_e32 v0, 3, v1
	v_mov_b32_e32 v35, v19
	s_mov_b32 s28, exec_lo
	v_cmpx_gt_u32_e32 8, v1
; %bb.55:                               ;   in Loop: Header=BB374_16 Depth=1
	v_and_b32_e32 v0, 7, v34
	v_ffbh_u32_e32 v0, v0
	v_min_u32_e32 v0, 32, v0
	v_subrev_nc_u32_e32 v1, 28, v0
	v_sub_nc_u32_e32 v0, 29, v0
	v_lshlrev_b64 v[35:36], v1, v[19:20]
; %bb.56:                               ;   in Loop: Header=BB374_16 Depth=1
	s_or_b32 exec_lo, exec_lo, s28
	v_lshlrev_b32_e32 v1, 20, v35
	v_lshlrev_b32_e32 v2, 24, v19
	v_lshl_add_u32 v0, v0, 23, 0x3c000000
	v_and_b32_e32 v1, 0x700000, v1
	v_and_b32_e32 v2, 0x80000000, v2
	v_or3_b32 v85, v1, v2, v0
.LBB374_57:                             ;   in Loop: Header=BB374_16 Depth=1
	s_or_b32 exec_lo, exec_lo, s27
.LBB374_58:                             ;   in Loop: Header=BB374_16 Depth=1
	s_or_b32 exec_lo, exec_lo, s26
.LBB374_59:                             ;   in Loop: Header=BB374_16 Depth=1
	s_or_b32 exec_lo, exec_lo, s25
	v_cmp_ne_u16_sdwa s5, v19, v20 src0_sel:BYTE_1 src1_sel:DWORD
	s_and_saveexec_b32 s25, s5
	s_cbranch_execz .LBB374_67
; %bb.60:                               ;   in Loop: Header=BB374_16 Depth=1
	v_cmp_ne_u16_sdwa s5, v19, v22 src0_sel:BYTE_1 src1_sel:DWORD
	v_bfrev_b32_e32 v86, 1
	s_and_saveexec_b32 s26, s5
	s_cbranch_execz .LBB374_66
; %bb.61:                               ;   in Loop: Header=BB374_16 Depth=1
	v_and_b32_sdwa v0, v66, v19 dst_sel:DWORD dst_unused:UNUSED_PAD src0_sel:DWORD src1_sel:BYTE_1
	v_mov_b32_e32 v86, 0x7f800001
	s_mov_b32 s27, exec_lo
	v_and_b32_e32 v1, 0x7f, v0
	v_cmpx_ne_u32_e32 0x7f, v1
	s_cbranch_execz .LBB374_65
; %bb.62:                               ;   in Loop: Header=BB374_16 Depth=1
	v_and_b32_e32 v35, 7, v0
	v_mov_b32_e32 v36, v20
	v_lshrrev_b32_e32 v0, 3, v1
	s_mov_b32 s28, exec_lo
	v_cmpx_gt_u32_e32 8, v1
; %bb.63:                               ;   in Loop: Header=BB374_16 Depth=1
	v_ffbh_u32_e32 v0, v35
	v_min_u32_e32 v0, 32, v0
	v_subrev_nc_u32_e32 v1, 28, v0
	v_sub_nc_u32_e32 v0, 29, v0
	v_lshlrev_b64 v[1:2], v1, v[35:36]
	v_and_b32_e32 v35, 7, v1
; %bb.64:                               ;   in Loop: Header=BB374_16 Depth=1
	s_or_b32 exec_lo, exec_lo, s28
	v_lshlrev_b32_e32 v1, 16, v19
	v_lshlrev_b32_e32 v2, 20, v35
	v_lshl_add_u32 v0, v0, 23, 0x3c000000
	v_and_b32_e32 v1, 0x80000000, v1
	v_or3_b32 v86, v2, v1, v0
.LBB374_65:                             ;   in Loop: Header=BB374_16 Depth=1
	s_or_b32 exec_lo, exec_lo, s27
.LBB374_66:                             ;   in Loop: Header=BB374_16 Depth=1
	s_or_b32 exec_lo, exec_lo, s26
.LBB374_67:                             ;   in Loop: Header=BB374_16 Depth=1
	s_or_b32 exec_lo, exec_lo, s25
	v_and_b32_sdwa v0, v34, v67 dst_sel:DWORD dst_unused:UNUSED_PAD src0_sel:WORD_1 src1_sel:DWORD
	v_mov_b32_e32 v87, 0
	v_mov_b32_e32 v96, 0
	s_mov_b32 s25, exec_lo
	v_cmpx_ne_u16_e32 0, v0
	s_cbranch_execz .LBB374_75
; %bb.68:                               ;   in Loop: Header=BB374_16 Depth=1
	v_bfrev_b32_e32 v96, 1
	s_mov_b32 s26, exec_lo
	v_cmpx_ne_u16_e32 0x80, v0
	s_cbranch_execz .LBB374_74
; %bb.69:                               ;   in Loop: Header=BB374_16 Depth=1
	v_bfe_u32 v1, v34, 16, 7
	v_mov_b32_e32 v96, 0x7f800001
	s_mov_b32 s27, exec_lo
	v_cmpx_ne_u32_e32 0x7f, v1
	s_cbranch_execz .LBB374_73
; %bb.70:                               ;   in Loop: Header=BB374_16 Depth=1
	v_and_b32_sdwa v19, v34, v68 dst_sel:DWORD dst_unused:UNUSED_PAD src0_sel:WORD_1 src1_sel:DWORD
	v_lshrrev_b32_e32 v0, 3, v1
	s_mov_b32 s28, exec_lo
	v_cmpx_gt_u32_e32 8, v1
; %bb.71:                               ;   in Loop: Header=BB374_16 Depth=1
	v_ffbh_u32_e32 v0, v19
	v_min_u32_e32 v0, 32, v0
	v_subrev_nc_u32_e32 v1, 28, v0
	v_sub_nc_u32_e32 v0, 29, v0
	v_lshlrev_b64 v[1:2], v1, v[19:20]
	v_and_b32_e32 v19, 7, v1
; %bb.72:                               ;   in Loop: Header=BB374_16 Depth=1
	s_or_b32 exec_lo, exec_lo, s28
	v_lshlrev_b32_sdwa v1, v70, v34 dst_sel:DWORD dst_unused:UNUSED_PAD src0_sel:DWORD src1_sel:WORD_1
	v_lshlrev_b32_e32 v2, 20, v19
	v_lshl_add_u32 v0, v0, 23, 0x3c000000
	v_and_b32_e32 v1, 0x80000000, v1
	v_or3_b32 v96, v2, v1, v0
.LBB374_73:                             ;   in Loop: Header=BB374_16 Depth=1
	s_or_b32 exec_lo, exec_lo, s27
.LBB374_74:                             ;   in Loop: Header=BB374_16 Depth=1
	s_or_b32 exec_lo, exec_lo, s26
.LBB374_75:                             ;   in Loop: Header=BB374_16 Depth=1
	s_or_b32 exec_lo, exec_lo, s25
	s_mov_b32 s25, exec_lo
	v_cmpx_lt_u64_e64 s[20:21], v[33:34]
	s_cbranch_execz .LBB374_83
; %bb.76:                               ;   in Loop: Header=BB374_16 Depth=1
	v_cmp_ne_u32_sdwa s5, v34, v22 src0_sel:BYTE_3 src1_sel:DWORD
	v_bfrev_b32_e32 v87, 1
	s_and_saveexec_b32 s26, s5
	s_cbranch_execz .LBB374_82
; %bb.77:                               ;   in Loop: Header=BB374_16 Depth=1
	v_bfe_u32 v1, v34, 24, 7
	v_mov_b32_e32 v87, 0x7f800001
	s_mov_b32 s27, exec_lo
	v_cmpx_ne_u32_e32 0x7f, v1
	s_cbranch_execz .LBB374_81
; %bb.78:                               ;   in Loop: Header=BB374_16 Depth=1
	v_and_b32_sdwa v19, v34, v68 dst_sel:DWORD dst_unused:UNUSED_PAD src0_sel:BYTE_3 src1_sel:DWORD
	v_lshrrev_b32_e32 v0, 3, v1
	s_mov_b32 s28, exec_lo
	v_cmpx_gt_u32_e32 8, v1
; %bb.79:                               ;   in Loop: Header=BB374_16 Depth=1
	v_ffbh_u32_e32 v0, v19
	v_min_u32_e32 v0, 32, v0
	v_subrev_nc_u32_e32 v1, 28, v0
	v_sub_nc_u32_e32 v0, 29, v0
	v_lshlrev_b64 v[1:2], v1, v[19:20]
	v_and_b32_e32 v19, 7, v1
; %bb.80:                               ;   in Loop: Header=BB374_16 Depth=1
	s_or_b32 exec_lo, exec_lo, s28
	v_lshlrev_b32_sdwa v1, v70, v34 dst_sel:DWORD dst_unused:UNUSED_PAD src0_sel:DWORD src1_sel:BYTE_3
	v_lshlrev_b32_e32 v2, 20, v19
	v_lshl_add_u32 v0, v0, 23, 0x3c000000
	v_and_b32_e32 v1, 0x80000000, v1
	v_or3_b32 v87, v2, v1, v0
.LBB374_81:                             ;   in Loop: Header=BB374_16 Depth=1
	s_or_b32 exec_lo, exec_lo, s27
.LBB374_82:                             ;   in Loop: Header=BB374_16 Depth=1
	s_or_b32 exec_lo, exec_lo, s26
.LBB374_83:                             ;   in Loop: Header=BB374_16 Depth=1
	s_or_b32 exec_lo, exec_lo, s25
	flat_load_dwordx2 v[33:34], v[31:32] offset:8
	v_mov_b32_e32 v98, 0
	v_mov_b32_e32 v97, 0
	s_waitcnt vmcnt(0) lgkmcnt(0)
	v_cmp_ne_u16_sdwa s5, v33, v20 src0_sel:BYTE_0 src1_sel:DWORD
	s_and_saveexec_b32 s25, s5
	s_cbranch_execz .LBB374_91
; %bb.84:                               ;   in Loop: Header=BB374_16 Depth=1
	v_cmp_ne_u16_sdwa s5, v33, v22 src0_sel:BYTE_0 src1_sel:DWORD
	v_bfrev_b32_e32 v97, 1
	s_and_saveexec_b32 s26, s5
	s_cbranch_execz .LBB374_90
; %bb.85:                               ;   in Loop: Header=BB374_16 Depth=1
	v_and_b32_e32 v1, 0x7f, v33
	v_mov_b32_e32 v97, 0x7f800001
	s_mov_b32 s27, exec_lo
	v_cmpx_ne_u32_e32 0x7f, v1
	s_cbranch_execz .LBB374_89
; %bb.86:                               ;   in Loop: Header=BB374_16 Depth=1
	v_mov_b32_e32 v36, v34
	v_lshrrev_b32_e32 v0, 3, v1
	v_mov_b32_e32 v35, v33
	s_mov_b32 s28, exec_lo
	v_cmpx_gt_u32_e32 8, v1
; %bb.87:                               ;   in Loop: Header=BB374_16 Depth=1
	v_and_b32_e32 v0, 7, v33
	v_ffbh_u32_e32 v0, v0
	v_min_u32_e32 v0, 32, v0
	v_subrev_nc_u32_e32 v1, 28, v0
	v_sub_nc_u32_e32 v0, 29, v0
	v_lshlrev_b64 v[35:36], v1, v[33:34]
; %bb.88:                               ;   in Loop: Header=BB374_16 Depth=1
	s_or_b32 exec_lo, exec_lo, s28
	v_lshlrev_b32_e32 v1, 20, v35
	v_lshlrev_b32_e32 v2, 24, v33
	v_lshl_add_u32 v0, v0, 23, 0x3c000000
	v_and_b32_e32 v1, 0x700000, v1
	v_and_b32_e32 v2, 0x80000000, v2
	v_or3_b32 v97, v1, v2, v0
.LBB374_89:                             ;   in Loop: Header=BB374_16 Depth=1
	s_or_b32 exec_lo, exec_lo, s27
.LBB374_90:                             ;   in Loop: Header=BB374_16 Depth=1
	s_or_b32 exec_lo, exec_lo, s26
.LBB374_91:                             ;   in Loop: Header=BB374_16 Depth=1
	s_or_b32 exec_lo, exec_lo, s25
	v_cmp_ne_u16_sdwa s5, v33, v20 src0_sel:BYTE_1 src1_sel:DWORD
	s_and_saveexec_b32 s25, s5
	s_cbranch_execz .LBB374_99
; %bb.92:                               ;   in Loop: Header=BB374_16 Depth=1
	v_cmp_ne_u16_sdwa s5, v33, v22 src0_sel:BYTE_1 src1_sel:DWORD
	v_bfrev_b32_e32 v98, 1
	s_and_saveexec_b32 s26, s5
	s_cbranch_execz .LBB374_98
; %bb.93:                               ;   in Loop: Header=BB374_16 Depth=1
	v_and_b32_sdwa v0, v66, v33 dst_sel:DWORD dst_unused:UNUSED_PAD src0_sel:DWORD src1_sel:BYTE_1
	v_mov_b32_e32 v98, 0x7f800001
	s_mov_b32 s27, exec_lo
	v_and_b32_e32 v1, 0x7f, v0
	v_cmpx_ne_u32_e32 0x7f, v1
	s_cbranch_execz .LBB374_97
; %bb.94:                               ;   in Loop: Header=BB374_16 Depth=1
	v_and_b32_e32 v19, 7, v0
	v_lshrrev_b32_e32 v0, 3, v1
	s_mov_b32 s28, exec_lo
	v_cmpx_gt_u32_e32 8, v1
; %bb.95:                               ;   in Loop: Header=BB374_16 Depth=1
	v_ffbh_u32_e32 v0, v19
	v_min_u32_e32 v0, 32, v0
	v_subrev_nc_u32_e32 v1, 28, v0
	v_sub_nc_u32_e32 v0, 29, v0
	v_lshlrev_b64 v[1:2], v1, v[19:20]
	v_and_b32_e32 v19, 7, v1
; %bb.96:                               ;   in Loop: Header=BB374_16 Depth=1
	s_or_b32 exec_lo, exec_lo, s28
	v_lshlrev_b32_e32 v1, 16, v33
	v_lshlrev_b32_e32 v2, 20, v19
	v_lshl_add_u32 v0, v0, 23, 0x3c000000
	v_and_b32_e32 v1, 0x80000000, v1
	v_or3_b32 v98, v2, v1, v0
.LBB374_97:                             ;   in Loop: Header=BB374_16 Depth=1
	s_or_b32 exec_lo, exec_lo, s27
.LBB374_98:                             ;   in Loop: Header=BB374_16 Depth=1
	s_or_b32 exec_lo, exec_lo, s26
.LBB374_99:                             ;   in Loop: Header=BB374_16 Depth=1
	s_or_b32 exec_lo, exec_lo, s25
	v_and_b32_sdwa v0, v33, v67 dst_sel:DWORD dst_unused:UNUSED_PAD src0_sel:WORD_1 src1_sel:DWORD
	v_mov_b32_e32 v100, 0
	v_mov_b32_e32 v99, 0
	s_mov_b32 s25, exec_lo
	v_cmpx_ne_u16_e32 0, v0
	s_cbranch_execz .LBB374_107
; %bb.100:                              ;   in Loop: Header=BB374_16 Depth=1
	v_bfrev_b32_e32 v99, 1
	s_mov_b32 s26, exec_lo
	v_cmpx_ne_u16_e32 0x80, v0
	s_cbranch_execz .LBB374_106
; %bb.101:                              ;   in Loop: Header=BB374_16 Depth=1
	v_bfe_u32 v1, v33, 16, 7
	v_mov_b32_e32 v99, 0x7f800001
	s_mov_b32 s27, exec_lo
	v_cmpx_ne_u32_e32 0x7f, v1
	s_cbranch_execz .LBB374_105
; %bb.102:                              ;   in Loop: Header=BB374_16 Depth=1
	v_and_b32_sdwa v19, v33, v68 dst_sel:DWORD dst_unused:UNUSED_PAD src0_sel:WORD_1 src1_sel:DWORD
	v_lshrrev_b32_e32 v0, 3, v1
	s_mov_b32 s28, exec_lo
	v_cmpx_gt_u32_e32 8, v1
; %bb.103:                              ;   in Loop: Header=BB374_16 Depth=1
	v_ffbh_u32_e32 v0, v19
	v_min_u32_e32 v0, 32, v0
	v_subrev_nc_u32_e32 v1, 28, v0
	v_sub_nc_u32_e32 v0, 29, v0
	v_lshlrev_b64 v[1:2], v1, v[19:20]
	v_and_b32_e32 v19, 7, v1
; %bb.104:                              ;   in Loop: Header=BB374_16 Depth=1
	s_or_b32 exec_lo, exec_lo, s28
	v_lshlrev_b32_sdwa v1, v70, v33 dst_sel:DWORD dst_unused:UNUSED_PAD src0_sel:DWORD src1_sel:WORD_1
	v_lshlrev_b32_e32 v2, 20, v19
	v_lshl_add_u32 v0, v0, 23, 0x3c000000
	v_and_b32_e32 v1, 0x80000000, v1
	v_or3_b32 v99, v2, v1, v0
.LBB374_105:                            ;   in Loop: Header=BB374_16 Depth=1
	s_or_b32 exec_lo, exec_lo, s27
.LBB374_106:                            ;   in Loop: Header=BB374_16 Depth=1
	s_or_b32 exec_lo, exec_lo, s26
.LBB374_107:                            ;   in Loop: Header=BB374_16 Depth=1
	s_or_b32 exec_lo, exec_lo, s25
	s_mov_b32 s25, exec_lo
	v_cmpx_lt_u32_e32 0xffffff, v33
	s_cbranch_execz .LBB374_115
; %bb.108:                              ;   in Loop: Header=BB374_16 Depth=1
	v_cmp_ne_u32_sdwa s5, v33, v22 src0_sel:BYTE_3 src1_sel:DWORD
	v_bfrev_b32_e32 v100, 1
	s_and_saveexec_b32 s26, s5
	s_cbranch_execz .LBB374_114
; %bb.109:                              ;   in Loop: Header=BB374_16 Depth=1
	v_bfe_u32 v1, v33, 24, 7
	v_mov_b32_e32 v100, 0x7f800001
	s_mov_b32 s27, exec_lo
	v_cmpx_ne_u32_e32 0x7f, v1
	s_cbranch_execz .LBB374_113
; %bb.110:                              ;   in Loop: Header=BB374_16 Depth=1
	v_and_b32_sdwa v19, v33, v68 dst_sel:DWORD dst_unused:UNUSED_PAD src0_sel:BYTE_3 src1_sel:DWORD
	v_lshrrev_b32_e32 v0, 3, v1
	s_mov_b32 s28, exec_lo
	v_cmpx_gt_u32_e32 8, v1
; %bb.111:                              ;   in Loop: Header=BB374_16 Depth=1
	v_ffbh_u32_e32 v0, v19
	v_min_u32_e32 v0, 32, v0
	v_subrev_nc_u32_e32 v1, 28, v0
	v_sub_nc_u32_e32 v0, 29, v0
	v_lshlrev_b64 v[1:2], v1, v[19:20]
	v_and_b32_e32 v19, 7, v1
; %bb.112:                              ;   in Loop: Header=BB374_16 Depth=1
	s_or_b32 exec_lo, exec_lo, s28
	v_lshlrev_b32_sdwa v1, v70, v33 dst_sel:DWORD dst_unused:UNUSED_PAD src0_sel:DWORD src1_sel:BYTE_3
	v_lshlrev_b32_e32 v2, 20, v19
	v_lshl_add_u32 v0, v0, 23, 0x3c000000
	v_and_b32_e32 v1, 0x80000000, v1
	v_or3_b32 v100, v2, v1, v0
.LBB374_113:                            ;   in Loop: Header=BB374_16 Depth=1
	s_or_b32 exec_lo, exec_lo, s27
.LBB374_114:                            ;   in Loop: Header=BB374_16 Depth=1
	s_or_b32 exec_lo, exec_lo, s26
.LBB374_115:                            ;   in Loop: Header=BB374_16 Depth=1
	s_or_b32 exec_lo, exec_lo, s25
	v_mov_b32_e32 v19, v34
	v_cmp_ne_u16_sdwa s5, v34, v20 src0_sel:BYTE_0 src1_sel:DWORD
	v_mov_b32_e32 v102, 0
	v_mov_b32_e32 v101, 0
	s_and_saveexec_b32 s25, s5
	s_cbranch_execz .LBB374_123
; %bb.116:                              ;   in Loop: Header=BB374_16 Depth=1
	v_cmp_ne_u16_sdwa s5, v34, v22 src0_sel:BYTE_0 src1_sel:DWORD
	v_bfrev_b32_e32 v101, 1
	s_and_saveexec_b32 s26, s5
	s_cbranch_execz .LBB374_122
; %bb.117:                              ;   in Loop: Header=BB374_16 Depth=1
	v_and_b32_e32 v1, 0x7f, v34
	v_mov_b32_e32 v101, 0x7f800001
	s_mov_b32 s27, exec_lo
	v_cmpx_ne_u32_e32 0x7f, v1
	s_cbranch_execz .LBB374_121
; %bb.118:                              ;   in Loop: Header=BB374_16 Depth=1
	v_mov_b32_e32 v36, v20
	v_lshrrev_b32_e32 v0, 3, v1
	v_mov_b32_e32 v35, v19
	s_mov_b32 s28, exec_lo
	v_cmpx_gt_u32_e32 8, v1
; %bb.119:                              ;   in Loop: Header=BB374_16 Depth=1
	v_and_b32_e32 v0, 7, v34
	v_ffbh_u32_e32 v0, v0
	v_min_u32_e32 v0, 32, v0
	v_subrev_nc_u32_e32 v1, 28, v0
	v_sub_nc_u32_e32 v0, 29, v0
	v_lshlrev_b64 v[35:36], v1, v[19:20]
; %bb.120:                              ;   in Loop: Header=BB374_16 Depth=1
	s_or_b32 exec_lo, exec_lo, s28
	v_lshlrev_b32_e32 v1, 20, v35
	v_lshlrev_b32_e32 v2, 24, v19
	v_lshl_add_u32 v0, v0, 23, 0x3c000000
	v_and_b32_e32 v1, 0x700000, v1
	v_and_b32_e32 v2, 0x80000000, v2
	v_or3_b32 v101, v1, v2, v0
.LBB374_121:                            ;   in Loop: Header=BB374_16 Depth=1
	s_or_b32 exec_lo, exec_lo, s27
.LBB374_122:                            ;   in Loop: Header=BB374_16 Depth=1
	s_or_b32 exec_lo, exec_lo, s26
.LBB374_123:                            ;   in Loop: Header=BB374_16 Depth=1
	s_or_b32 exec_lo, exec_lo, s25
	v_cmp_ne_u16_sdwa s5, v19, v20 src0_sel:BYTE_1 src1_sel:DWORD
	s_and_saveexec_b32 s25, s5
	s_cbranch_execz .LBB374_131
; %bb.124:                              ;   in Loop: Header=BB374_16 Depth=1
	v_cmp_ne_u16_sdwa s5, v19, v22 src0_sel:BYTE_1 src1_sel:DWORD
	v_bfrev_b32_e32 v102, 1
	s_and_saveexec_b32 s26, s5
	s_cbranch_execz .LBB374_130
; %bb.125:                              ;   in Loop: Header=BB374_16 Depth=1
	v_and_b32_sdwa v0, v66, v19 dst_sel:DWORD dst_unused:UNUSED_PAD src0_sel:DWORD src1_sel:BYTE_1
	v_mov_b32_e32 v102, 0x7f800001
	s_mov_b32 s27, exec_lo
	v_and_b32_e32 v1, 0x7f, v0
	v_cmpx_ne_u32_e32 0x7f, v1
	s_cbranch_execz .LBB374_129
; %bb.126:                              ;   in Loop: Header=BB374_16 Depth=1
	v_and_b32_e32 v35, 7, v0
	v_mov_b32_e32 v36, v20
	v_lshrrev_b32_e32 v0, 3, v1
	s_mov_b32 s28, exec_lo
	v_cmpx_gt_u32_e32 8, v1
; %bb.127:                              ;   in Loop: Header=BB374_16 Depth=1
	v_ffbh_u32_e32 v0, v35
	v_min_u32_e32 v0, 32, v0
	v_subrev_nc_u32_e32 v1, 28, v0
	v_sub_nc_u32_e32 v0, 29, v0
	v_lshlrev_b64 v[1:2], v1, v[35:36]
	v_and_b32_e32 v35, 7, v1
; %bb.128:                              ;   in Loop: Header=BB374_16 Depth=1
	s_or_b32 exec_lo, exec_lo, s28
	v_lshlrev_b32_e32 v1, 16, v19
	v_lshlrev_b32_e32 v2, 20, v35
	v_lshl_add_u32 v0, v0, 23, 0x3c000000
	v_and_b32_e32 v1, 0x80000000, v1
	v_or3_b32 v102, v2, v1, v0
.LBB374_129:                            ;   in Loop: Header=BB374_16 Depth=1
	s_or_b32 exec_lo, exec_lo, s27
.LBB374_130:                            ;   in Loop: Header=BB374_16 Depth=1
	s_or_b32 exec_lo, exec_lo, s26
.LBB374_131:                            ;   in Loop: Header=BB374_16 Depth=1
	s_or_b32 exec_lo, exec_lo, s25
	v_and_b32_sdwa v0, v34, v67 dst_sel:DWORD dst_unused:UNUSED_PAD src0_sel:WORD_1 src1_sel:DWORD
	v_mov_b32_e32 v103, 0
	v_mov_b32_e32 v112, 0
	s_mov_b32 s25, exec_lo
	v_cmpx_ne_u16_e32 0, v0
	s_cbranch_execz .LBB374_139
; %bb.132:                              ;   in Loop: Header=BB374_16 Depth=1
	v_bfrev_b32_e32 v112, 1
	s_mov_b32 s26, exec_lo
	v_cmpx_ne_u16_e32 0x80, v0
	s_cbranch_execz .LBB374_138
; %bb.133:                              ;   in Loop: Header=BB374_16 Depth=1
	v_bfe_u32 v1, v34, 16, 7
	v_mov_b32_e32 v112, 0x7f800001
	s_mov_b32 s27, exec_lo
	v_cmpx_ne_u32_e32 0x7f, v1
	s_cbranch_execz .LBB374_137
; %bb.134:                              ;   in Loop: Header=BB374_16 Depth=1
	v_and_b32_sdwa v19, v34, v68 dst_sel:DWORD dst_unused:UNUSED_PAD src0_sel:WORD_1 src1_sel:DWORD
	v_lshrrev_b32_e32 v0, 3, v1
	s_mov_b32 s28, exec_lo
	v_cmpx_gt_u32_e32 8, v1
; %bb.135:                              ;   in Loop: Header=BB374_16 Depth=1
	v_ffbh_u32_e32 v0, v19
	v_min_u32_e32 v0, 32, v0
	v_subrev_nc_u32_e32 v1, 28, v0
	v_sub_nc_u32_e32 v0, 29, v0
	v_lshlrev_b64 v[1:2], v1, v[19:20]
	v_and_b32_e32 v19, 7, v1
; %bb.136:                              ;   in Loop: Header=BB374_16 Depth=1
	s_or_b32 exec_lo, exec_lo, s28
	v_lshlrev_b32_sdwa v1, v70, v34 dst_sel:DWORD dst_unused:UNUSED_PAD src0_sel:DWORD src1_sel:WORD_1
	v_lshlrev_b32_e32 v2, 20, v19
	v_lshl_add_u32 v0, v0, 23, 0x3c000000
	v_and_b32_e32 v1, 0x80000000, v1
	v_or3_b32 v112, v2, v1, v0
.LBB374_137:                            ;   in Loop: Header=BB374_16 Depth=1
	s_or_b32 exec_lo, exec_lo, s27
.LBB374_138:                            ;   in Loop: Header=BB374_16 Depth=1
	s_or_b32 exec_lo, exec_lo, s26
.LBB374_139:                            ;   in Loop: Header=BB374_16 Depth=1
	s_or_b32 exec_lo, exec_lo, s25
	s_mov_b32 s25, exec_lo
	v_cmpx_lt_u64_e64 s[20:21], v[33:34]
	s_cbranch_execz .LBB374_147
; %bb.140:                              ;   in Loop: Header=BB374_16 Depth=1
	v_cmp_ne_u32_sdwa s5, v34, v22 src0_sel:BYTE_3 src1_sel:DWORD
	v_bfrev_b32_e32 v103, 1
	s_and_saveexec_b32 s26, s5
	s_cbranch_execz .LBB374_146
; %bb.141:                              ;   in Loop: Header=BB374_16 Depth=1
	v_bfe_u32 v1, v34, 24, 7
	v_mov_b32_e32 v103, 0x7f800001
	s_mov_b32 s27, exec_lo
	v_cmpx_ne_u32_e32 0x7f, v1
	s_cbranch_execz .LBB374_145
; %bb.142:                              ;   in Loop: Header=BB374_16 Depth=1
	v_and_b32_sdwa v19, v34, v68 dst_sel:DWORD dst_unused:UNUSED_PAD src0_sel:BYTE_3 src1_sel:DWORD
	v_lshrrev_b32_e32 v0, 3, v1
	s_mov_b32 s28, exec_lo
	v_cmpx_gt_u32_e32 8, v1
; %bb.143:                              ;   in Loop: Header=BB374_16 Depth=1
	v_ffbh_u32_e32 v0, v19
	v_min_u32_e32 v0, 32, v0
	v_subrev_nc_u32_e32 v1, 28, v0
	v_sub_nc_u32_e32 v0, 29, v0
	v_lshlrev_b64 v[1:2], v1, v[19:20]
	v_and_b32_e32 v19, 7, v1
; %bb.144:                              ;   in Loop: Header=BB374_16 Depth=1
	s_or_b32 exec_lo, exec_lo, s28
	v_lshlrev_b32_sdwa v1, v70, v34 dst_sel:DWORD dst_unused:UNUSED_PAD src0_sel:DWORD src1_sel:BYTE_3
	v_lshlrev_b32_e32 v2, 20, v19
	v_lshl_add_u32 v0, v0, 23, 0x3c000000
	v_and_b32_e32 v1, 0x80000000, v1
	v_or3_b32 v103, v2, v1, v0
.LBB374_145:                            ;   in Loop: Header=BB374_16 Depth=1
	s_or_b32 exec_lo, exec_lo, s27
.LBB374_146:                            ;   in Loop: Header=BB374_16 Depth=1
	s_or_b32 exec_lo, exec_lo, s26
.LBB374_147:                            ;   in Loop: Header=BB374_16 Depth=1
	s_or_b32 exec_lo, exec_lo, s25
	flat_load_dwordx2 v[33:34], v[31:32] offset:512
	v_mov_b32_e32 v114, 0
	v_mov_b32_e32 v113, 0
	s_waitcnt vmcnt(0) lgkmcnt(0)
	v_cmp_ne_u16_sdwa s5, v33, v20 src0_sel:BYTE_0 src1_sel:DWORD
	s_and_saveexec_b32 s25, s5
	s_cbranch_execz .LBB374_155
; %bb.148:                              ;   in Loop: Header=BB374_16 Depth=1
	v_cmp_ne_u16_sdwa s5, v33, v22 src0_sel:BYTE_0 src1_sel:DWORD
	v_bfrev_b32_e32 v113, 1
	s_and_saveexec_b32 s26, s5
	s_cbranch_execz .LBB374_154
; %bb.149:                              ;   in Loop: Header=BB374_16 Depth=1
	v_and_b32_e32 v1, 0x7f, v33
	v_mov_b32_e32 v113, 0x7f800001
	s_mov_b32 s27, exec_lo
	v_cmpx_ne_u32_e32 0x7f, v1
	s_cbranch_execz .LBB374_153
; %bb.150:                              ;   in Loop: Header=BB374_16 Depth=1
	v_mov_b32_e32 v36, v34
	v_lshrrev_b32_e32 v0, 3, v1
	v_mov_b32_e32 v35, v33
	s_mov_b32 s28, exec_lo
	v_cmpx_gt_u32_e32 8, v1
; %bb.151:                              ;   in Loop: Header=BB374_16 Depth=1
	v_and_b32_e32 v0, 7, v33
	v_ffbh_u32_e32 v0, v0
	v_min_u32_e32 v0, 32, v0
	v_subrev_nc_u32_e32 v1, 28, v0
	v_sub_nc_u32_e32 v0, 29, v0
	v_lshlrev_b64 v[35:36], v1, v[33:34]
; %bb.152:                              ;   in Loop: Header=BB374_16 Depth=1
	s_or_b32 exec_lo, exec_lo, s28
	v_lshlrev_b32_e32 v1, 20, v35
	v_lshlrev_b32_e32 v2, 24, v33
	v_lshl_add_u32 v0, v0, 23, 0x3c000000
	v_and_b32_e32 v1, 0x700000, v1
	v_and_b32_e32 v2, 0x80000000, v2
	v_or3_b32 v113, v1, v2, v0
.LBB374_153:                            ;   in Loop: Header=BB374_16 Depth=1
	s_or_b32 exec_lo, exec_lo, s27
.LBB374_154:                            ;   in Loop: Header=BB374_16 Depth=1
	s_or_b32 exec_lo, exec_lo, s26
.LBB374_155:                            ;   in Loop: Header=BB374_16 Depth=1
	s_or_b32 exec_lo, exec_lo, s25
	v_cmp_ne_u16_sdwa s5, v33, v20 src0_sel:BYTE_1 src1_sel:DWORD
	s_and_saveexec_b32 s25, s5
	s_cbranch_execz .LBB374_163
; %bb.156:                              ;   in Loop: Header=BB374_16 Depth=1
	v_cmp_ne_u16_sdwa s5, v33, v22 src0_sel:BYTE_1 src1_sel:DWORD
	v_bfrev_b32_e32 v114, 1
	s_and_saveexec_b32 s26, s5
	s_cbranch_execz .LBB374_162
; %bb.157:                              ;   in Loop: Header=BB374_16 Depth=1
	v_and_b32_sdwa v0, v66, v33 dst_sel:DWORD dst_unused:UNUSED_PAD src0_sel:DWORD src1_sel:BYTE_1
	v_mov_b32_e32 v114, 0x7f800001
	s_mov_b32 s27, exec_lo
	v_and_b32_e32 v1, 0x7f, v0
	v_cmpx_ne_u32_e32 0x7f, v1
	s_cbranch_execz .LBB374_161
; %bb.158:                              ;   in Loop: Header=BB374_16 Depth=1
	v_and_b32_e32 v19, 7, v0
	v_lshrrev_b32_e32 v0, 3, v1
	s_mov_b32 s28, exec_lo
	v_cmpx_gt_u32_e32 8, v1
; %bb.159:                              ;   in Loop: Header=BB374_16 Depth=1
	v_ffbh_u32_e32 v0, v19
	v_min_u32_e32 v0, 32, v0
	v_subrev_nc_u32_e32 v1, 28, v0
	v_sub_nc_u32_e32 v0, 29, v0
	v_lshlrev_b64 v[1:2], v1, v[19:20]
	v_and_b32_e32 v19, 7, v1
; %bb.160:                              ;   in Loop: Header=BB374_16 Depth=1
	s_or_b32 exec_lo, exec_lo, s28
	v_lshlrev_b32_e32 v1, 16, v33
	v_lshlrev_b32_e32 v2, 20, v19
	v_lshl_add_u32 v0, v0, 23, 0x3c000000
	v_and_b32_e32 v1, 0x80000000, v1
	v_or3_b32 v114, v2, v1, v0
.LBB374_161:                            ;   in Loop: Header=BB374_16 Depth=1
	s_or_b32 exec_lo, exec_lo, s27
.LBB374_162:                            ;   in Loop: Header=BB374_16 Depth=1
	s_or_b32 exec_lo, exec_lo, s26
.LBB374_163:                            ;   in Loop: Header=BB374_16 Depth=1
	s_or_b32 exec_lo, exec_lo, s25
	v_and_b32_sdwa v0, v33, v67 dst_sel:DWORD dst_unused:UNUSED_PAD src0_sel:WORD_1 src1_sel:DWORD
	v_mov_b32_e32 v116, 0
	v_mov_b32_e32 v115, 0
	s_mov_b32 s25, exec_lo
	v_cmpx_ne_u16_e32 0, v0
	s_cbranch_execz .LBB374_171
; %bb.164:                              ;   in Loop: Header=BB374_16 Depth=1
	v_bfrev_b32_e32 v115, 1
	s_mov_b32 s26, exec_lo
	v_cmpx_ne_u16_e32 0x80, v0
	s_cbranch_execz .LBB374_170
; %bb.165:                              ;   in Loop: Header=BB374_16 Depth=1
	v_bfe_u32 v1, v33, 16, 7
	v_mov_b32_e32 v115, 0x7f800001
	s_mov_b32 s27, exec_lo
	v_cmpx_ne_u32_e32 0x7f, v1
	s_cbranch_execz .LBB374_169
; %bb.166:                              ;   in Loop: Header=BB374_16 Depth=1
	v_and_b32_sdwa v19, v33, v68 dst_sel:DWORD dst_unused:UNUSED_PAD src0_sel:WORD_1 src1_sel:DWORD
	v_lshrrev_b32_e32 v0, 3, v1
	s_mov_b32 s28, exec_lo
	v_cmpx_gt_u32_e32 8, v1
; %bb.167:                              ;   in Loop: Header=BB374_16 Depth=1
	v_ffbh_u32_e32 v0, v19
	v_min_u32_e32 v0, 32, v0
	v_subrev_nc_u32_e32 v1, 28, v0
	v_sub_nc_u32_e32 v0, 29, v0
	v_lshlrev_b64 v[1:2], v1, v[19:20]
	v_and_b32_e32 v19, 7, v1
; %bb.168:                              ;   in Loop: Header=BB374_16 Depth=1
	s_or_b32 exec_lo, exec_lo, s28
	v_lshlrev_b32_sdwa v1, v70, v33 dst_sel:DWORD dst_unused:UNUSED_PAD src0_sel:DWORD src1_sel:WORD_1
	v_lshlrev_b32_e32 v2, 20, v19
	v_lshl_add_u32 v0, v0, 23, 0x3c000000
	v_and_b32_e32 v1, 0x80000000, v1
	v_or3_b32 v115, v2, v1, v0
.LBB374_169:                            ;   in Loop: Header=BB374_16 Depth=1
	s_or_b32 exec_lo, exec_lo, s27
.LBB374_170:                            ;   in Loop: Header=BB374_16 Depth=1
	s_or_b32 exec_lo, exec_lo, s26
.LBB374_171:                            ;   in Loop: Header=BB374_16 Depth=1
	s_or_b32 exec_lo, exec_lo, s25
	s_mov_b32 s25, exec_lo
	v_cmpx_lt_u32_e32 0xffffff, v33
	s_cbranch_execz .LBB374_179
; %bb.172:                              ;   in Loop: Header=BB374_16 Depth=1
	v_cmp_ne_u32_sdwa s5, v33, v22 src0_sel:BYTE_3 src1_sel:DWORD
	v_bfrev_b32_e32 v116, 1
	s_and_saveexec_b32 s26, s5
	s_cbranch_execz .LBB374_178
; %bb.173:                              ;   in Loop: Header=BB374_16 Depth=1
	v_bfe_u32 v1, v33, 24, 7
	v_mov_b32_e32 v116, 0x7f800001
	s_mov_b32 s27, exec_lo
	v_cmpx_ne_u32_e32 0x7f, v1
	s_cbranch_execz .LBB374_177
; %bb.174:                              ;   in Loop: Header=BB374_16 Depth=1
	v_and_b32_sdwa v19, v33, v68 dst_sel:DWORD dst_unused:UNUSED_PAD src0_sel:BYTE_3 src1_sel:DWORD
	v_lshrrev_b32_e32 v0, 3, v1
	s_mov_b32 s28, exec_lo
	v_cmpx_gt_u32_e32 8, v1
; %bb.175:                              ;   in Loop: Header=BB374_16 Depth=1
	v_ffbh_u32_e32 v0, v19
	v_min_u32_e32 v0, 32, v0
	v_subrev_nc_u32_e32 v1, 28, v0
	v_sub_nc_u32_e32 v0, 29, v0
	v_lshlrev_b64 v[1:2], v1, v[19:20]
	v_and_b32_e32 v19, 7, v1
; %bb.176:                              ;   in Loop: Header=BB374_16 Depth=1
	s_or_b32 exec_lo, exec_lo, s28
	v_lshlrev_b32_sdwa v1, v70, v33 dst_sel:DWORD dst_unused:UNUSED_PAD src0_sel:DWORD src1_sel:BYTE_3
	v_lshlrev_b32_e32 v2, 20, v19
	v_lshl_add_u32 v0, v0, 23, 0x3c000000
	v_and_b32_e32 v1, 0x80000000, v1
	v_or3_b32 v116, v2, v1, v0
.LBB374_177:                            ;   in Loop: Header=BB374_16 Depth=1
	s_or_b32 exec_lo, exec_lo, s27
.LBB374_178:                            ;   in Loop: Header=BB374_16 Depth=1
	s_or_b32 exec_lo, exec_lo, s26
.LBB374_179:                            ;   in Loop: Header=BB374_16 Depth=1
	s_or_b32 exec_lo, exec_lo, s25
	v_mov_b32_e32 v19, v34
	v_cmp_ne_u16_sdwa s5, v34, v20 src0_sel:BYTE_0 src1_sel:DWORD
	v_mov_b32_e32 v118, 0
	v_mov_b32_e32 v117, 0
	s_and_saveexec_b32 s25, s5
	s_cbranch_execz .LBB374_187
; %bb.180:                              ;   in Loop: Header=BB374_16 Depth=1
	v_cmp_ne_u16_sdwa s5, v34, v22 src0_sel:BYTE_0 src1_sel:DWORD
	v_bfrev_b32_e32 v117, 1
	s_and_saveexec_b32 s26, s5
	s_cbranch_execz .LBB374_186
; %bb.181:                              ;   in Loop: Header=BB374_16 Depth=1
	v_and_b32_e32 v1, 0x7f, v34
	v_mov_b32_e32 v117, 0x7f800001
	s_mov_b32 s27, exec_lo
	v_cmpx_ne_u32_e32 0x7f, v1
	s_cbranch_execz .LBB374_185
; %bb.182:                              ;   in Loop: Header=BB374_16 Depth=1
	v_mov_b32_e32 v36, v20
	v_lshrrev_b32_e32 v0, 3, v1
	v_mov_b32_e32 v35, v19
	s_mov_b32 s28, exec_lo
	v_cmpx_gt_u32_e32 8, v1
; %bb.183:                              ;   in Loop: Header=BB374_16 Depth=1
	v_and_b32_e32 v0, 7, v34
	v_ffbh_u32_e32 v0, v0
	v_min_u32_e32 v0, 32, v0
	v_subrev_nc_u32_e32 v1, 28, v0
	v_sub_nc_u32_e32 v0, 29, v0
	v_lshlrev_b64 v[35:36], v1, v[19:20]
; %bb.184:                              ;   in Loop: Header=BB374_16 Depth=1
	s_or_b32 exec_lo, exec_lo, s28
	v_lshlrev_b32_e32 v1, 20, v35
	v_lshlrev_b32_e32 v2, 24, v19
	v_lshl_add_u32 v0, v0, 23, 0x3c000000
	v_and_b32_e32 v1, 0x700000, v1
	v_and_b32_e32 v2, 0x80000000, v2
	v_or3_b32 v117, v1, v2, v0
.LBB374_185:                            ;   in Loop: Header=BB374_16 Depth=1
	s_or_b32 exec_lo, exec_lo, s27
.LBB374_186:                            ;   in Loop: Header=BB374_16 Depth=1
	s_or_b32 exec_lo, exec_lo, s26
.LBB374_187:                            ;   in Loop: Header=BB374_16 Depth=1
	s_or_b32 exec_lo, exec_lo, s25
	v_cmp_ne_u16_sdwa s5, v19, v20 src0_sel:BYTE_1 src1_sel:DWORD
	s_and_saveexec_b32 s25, s5
	s_cbranch_execz .LBB374_195
; %bb.188:                              ;   in Loop: Header=BB374_16 Depth=1
	v_cmp_ne_u16_sdwa s5, v19, v22 src0_sel:BYTE_1 src1_sel:DWORD
	v_bfrev_b32_e32 v118, 1
	s_and_saveexec_b32 s26, s5
	s_cbranch_execz .LBB374_194
; %bb.189:                              ;   in Loop: Header=BB374_16 Depth=1
	v_and_b32_sdwa v0, v66, v19 dst_sel:DWORD dst_unused:UNUSED_PAD src0_sel:DWORD src1_sel:BYTE_1
	v_mov_b32_e32 v118, 0x7f800001
	s_mov_b32 s27, exec_lo
	v_and_b32_e32 v1, 0x7f, v0
	v_cmpx_ne_u32_e32 0x7f, v1
	s_cbranch_execz .LBB374_193
; %bb.190:                              ;   in Loop: Header=BB374_16 Depth=1
	v_and_b32_e32 v35, 7, v0
	v_mov_b32_e32 v36, v20
	v_lshrrev_b32_e32 v0, 3, v1
	s_mov_b32 s28, exec_lo
	v_cmpx_gt_u32_e32 8, v1
; %bb.191:                              ;   in Loop: Header=BB374_16 Depth=1
	v_ffbh_u32_e32 v0, v35
	v_min_u32_e32 v0, 32, v0
	v_subrev_nc_u32_e32 v1, 28, v0
	v_sub_nc_u32_e32 v0, 29, v0
	v_lshlrev_b64 v[1:2], v1, v[35:36]
	v_and_b32_e32 v35, 7, v1
; %bb.192:                              ;   in Loop: Header=BB374_16 Depth=1
	s_or_b32 exec_lo, exec_lo, s28
	v_lshlrev_b32_e32 v1, 16, v19
	v_lshlrev_b32_e32 v2, 20, v35
	v_lshl_add_u32 v0, v0, 23, 0x3c000000
	v_and_b32_e32 v1, 0x80000000, v1
	v_or3_b32 v118, v2, v1, v0
.LBB374_193:                            ;   in Loop: Header=BB374_16 Depth=1
	s_or_b32 exec_lo, exec_lo, s27
.LBB374_194:                            ;   in Loop: Header=BB374_16 Depth=1
	s_or_b32 exec_lo, exec_lo, s26
.LBB374_195:                            ;   in Loop: Header=BB374_16 Depth=1
	s_or_b32 exec_lo, exec_lo, s25
	v_and_b32_sdwa v0, v34, v67 dst_sel:DWORD dst_unused:UNUSED_PAD src0_sel:WORD_1 src1_sel:DWORD
	v_mov_b32_e32 v119, 0
	v_mov_b32_e32 v40, 0
	s_mov_b32 s25, exec_lo
	v_cmpx_ne_u16_e32 0, v0
	s_cbranch_execz .LBB374_203
; %bb.196:                              ;   in Loop: Header=BB374_16 Depth=1
	v_bfrev_b32_e32 v40, 1
	s_mov_b32 s26, exec_lo
	v_cmpx_ne_u16_e32 0x80, v0
	s_cbranch_execz .LBB374_202
; %bb.197:                              ;   in Loop: Header=BB374_16 Depth=1
	v_bfe_u32 v1, v34, 16, 7
	v_mov_b32_e32 v40, 0x7f800001
	s_mov_b32 s27, exec_lo
	v_cmpx_ne_u32_e32 0x7f, v1
	s_cbranch_execz .LBB374_201
; %bb.198:                              ;   in Loop: Header=BB374_16 Depth=1
	v_and_b32_sdwa v19, v34, v68 dst_sel:DWORD dst_unused:UNUSED_PAD src0_sel:WORD_1 src1_sel:DWORD
	v_lshrrev_b32_e32 v0, 3, v1
	s_mov_b32 s28, exec_lo
	v_cmpx_gt_u32_e32 8, v1
; %bb.199:                              ;   in Loop: Header=BB374_16 Depth=1
	v_ffbh_u32_e32 v0, v19
	v_min_u32_e32 v0, 32, v0
	v_subrev_nc_u32_e32 v1, 28, v0
	v_sub_nc_u32_e32 v0, 29, v0
	v_lshlrev_b64 v[1:2], v1, v[19:20]
	v_and_b32_e32 v19, 7, v1
; %bb.200:                              ;   in Loop: Header=BB374_16 Depth=1
	s_or_b32 exec_lo, exec_lo, s28
	v_lshlrev_b32_sdwa v1, v70, v34 dst_sel:DWORD dst_unused:UNUSED_PAD src0_sel:DWORD src1_sel:WORD_1
	v_lshlrev_b32_e32 v2, 20, v19
	v_lshl_add_u32 v0, v0, 23, 0x3c000000
	v_and_b32_e32 v1, 0x80000000, v1
	v_or3_b32 v40, v2, v1, v0
.LBB374_201:                            ;   in Loop: Header=BB374_16 Depth=1
	s_or_b32 exec_lo, exec_lo, s27
.LBB374_202:                            ;   in Loop: Header=BB374_16 Depth=1
	s_or_b32 exec_lo, exec_lo, s26
.LBB374_203:                            ;   in Loop: Header=BB374_16 Depth=1
	s_or_b32 exec_lo, exec_lo, s25
	s_mov_b32 s25, exec_lo
	v_cmpx_lt_u64_e64 s[20:21], v[33:34]
	s_cbranch_execz .LBB374_211
; %bb.204:                              ;   in Loop: Header=BB374_16 Depth=1
	v_cmp_ne_u32_sdwa s5, v34, v22 src0_sel:BYTE_3 src1_sel:DWORD
	v_bfrev_b32_e32 v119, 1
	s_and_saveexec_b32 s26, s5
	s_cbranch_execz .LBB374_210
; %bb.205:                              ;   in Loop: Header=BB374_16 Depth=1
	v_bfe_u32 v1, v34, 24, 7
	v_mov_b32_e32 v119, 0x7f800001
	s_mov_b32 s27, exec_lo
	v_cmpx_ne_u32_e32 0x7f, v1
	s_cbranch_execz .LBB374_209
; %bb.206:                              ;   in Loop: Header=BB374_16 Depth=1
	v_and_b32_sdwa v19, v34, v68 dst_sel:DWORD dst_unused:UNUSED_PAD src0_sel:BYTE_3 src1_sel:DWORD
	v_lshrrev_b32_e32 v0, 3, v1
	s_mov_b32 s28, exec_lo
	v_cmpx_gt_u32_e32 8, v1
; %bb.207:                              ;   in Loop: Header=BB374_16 Depth=1
	v_ffbh_u32_e32 v0, v19
	v_min_u32_e32 v0, 32, v0
	v_subrev_nc_u32_e32 v1, 28, v0
	v_sub_nc_u32_e32 v0, 29, v0
	v_lshlrev_b64 v[1:2], v1, v[19:20]
	v_and_b32_e32 v19, 7, v1
; %bb.208:                              ;   in Loop: Header=BB374_16 Depth=1
	s_or_b32 exec_lo, exec_lo, s28
	v_lshlrev_b32_sdwa v1, v70, v34 dst_sel:DWORD dst_unused:UNUSED_PAD src0_sel:DWORD src1_sel:BYTE_3
	v_lshlrev_b32_e32 v2, 20, v19
	v_lshl_add_u32 v0, v0, 23, 0x3c000000
	v_and_b32_e32 v1, 0x80000000, v1
	v_or3_b32 v119, v2, v1, v0
.LBB374_209:                            ;   in Loop: Header=BB374_16 Depth=1
	s_or_b32 exec_lo, exec_lo, s27
.LBB374_210:                            ;   in Loop: Header=BB374_16 Depth=1
	s_or_b32 exec_lo, exec_lo, s26
.LBB374_211:                            ;   in Loop: Header=BB374_16 Depth=1
	s_or_b32 exec_lo, exec_lo, s25
	flat_load_dwordx2 v[33:34], v[31:32] offset:520
	v_mov_b32_e32 v42, 0
	v_mov_b32_e32 v41, 0
	s_waitcnt vmcnt(0) lgkmcnt(0)
	v_cmp_ne_u16_sdwa s5, v33, v20 src0_sel:BYTE_0 src1_sel:DWORD
	s_and_saveexec_b32 s25, s5
	s_cbranch_execz .LBB374_219
; %bb.212:                              ;   in Loop: Header=BB374_16 Depth=1
	v_cmp_ne_u16_sdwa s5, v33, v22 src0_sel:BYTE_0 src1_sel:DWORD
	v_bfrev_b32_e32 v41, 1
	s_and_saveexec_b32 s26, s5
	s_cbranch_execz .LBB374_218
; %bb.213:                              ;   in Loop: Header=BB374_16 Depth=1
	v_and_b32_e32 v1, 0x7f, v33
	v_mov_b32_e32 v41, 0x7f800001
	s_mov_b32 s27, exec_lo
	v_cmpx_ne_u32_e32 0x7f, v1
	s_cbranch_execz .LBB374_217
; %bb.214:                              ;   in Loop: Header=BB374_16 Depth=1
	v_mov_b32_e32 v36, v34
	v_lshrrev_b32_e32 v0, 3, v1
	v_mov_b32_e32 v35, v33
	s_mov_b32 s28, exec_lo
	v_cmpx_gt_u32_e32 8, v1
; %bb.215:                              ;   in Loop: Header=BB374_16 Depth=1
	v_and_b32_e32 v0, 7, v33
	v_ffbh_u32_e32 v0, v0
	v_min_u32_e32 v0, 32, v0
	v_subrev_nc_u32_e32 v1, 28, v0
	v_sub_nc_u32_e32 v0, 29, v0
	v_lshlrev_b64 v[35:36], v1, v[33:34]
; %bb.216:                              ;   in Loop: Header=BB374_16 Depth=1
	s_or_b32 exec_lo, exec_lo, s28
	v_lshlrev_b32_e32 v1, 20, v35
	v_lshlrev_b32_e32 v2, 24, v33
	v_lshl_add_u32 v0, v0, 23, 0x3c000000
	v_and_b32_e32 v1, 0x700000, v1
	v_and_b32_e32 v2, 0x80000000, v2
	v_or3_b32 v41, v1, v2, v0
.LBB374_217:                            ;   in Loop: Header=BB374_16 Depth=1
	s_or_b32 exec_lo, exec_lo, s27
.LBB374_218:                            ;   in Loop: Header=BB374_16 Depth=1
	s_or_b32 exec_lo, exec_lo, s26
.LBB374_219:                            ;   in Loop: Header=BB374_16 Depth=1
	s_or_b32 exec_lo, exec_lo, s25
	v_cmp_ne_u16_sdwa s5, v33, v20 src0_sel:BYTE_1 src1_sel:DWORD
	s_and_saveexec_b32 s25, s5
	s_cbranch_execz .LBB374_227
; %bb.220:                              ;   in Loop: Header=BB374_16 Depth=1
	v_cmp_ne_u16_sdwa s5, v33, v22 src0_sel:BYTE_1 src1_sel:DWORD
	v_bfrev_b32_e32 v42, 1
	s_and_saveexec_b32 s26, s5
	s_cbranch_execz .LBB374_226
; %bb.221:                              ;   in Loop: Header=BB374_16 Depth=1
	v_and_b32_sdwa v0, v66, v33 dst_sel:DWORD dst_unused:UNUSED_PAD src0_sel:DWORD src1_sel:BYTE_1
	v_mov_b32_e32 v42, 0x7f800001
	s_mov_b32 s27, exec_lo
	v_and_b32_e32 v1, 0x7f, v0
	v_cmpx_ne_u32_e32 0x7f, v1
	s_cbranch_execz .LBB374_225
; %bb.222:                              ;   in Loop: Header=BB374_16 Depth=1
	v_and_b32_e32 v19, 7, v0
	v_lshrrev_b32_e32 v0, 3, v1
	s_mov_b32 s28, exec_lo
	v_cmpx_gt_u32_e32 8, v1
; %bb.223:                              ;   in Loop: Header=BB374_16 Depth=1
	v_ffbh_u32_e32 v0, v19
	v_min_u32_e32 v0, 32, v0
	v_subrev_nc_u32_e32 v1, 28, v0
	v_sub_nc_u32_e32 v0, 29, v0
	v_lshlrev_b64 v[1:2], v1, v[19:20]
	v_and_b32_e32 v19, 7, v1
; %bb.224:                              ;   in Loop: Header=BB374_16 Depth=1
	s_or_b32 exec_lo, exec_lo, s28
	v_lshlrev_b32_e32 v1, 16, v33
	v_lshlrev_b32_e32 v2, 20, v19
	v_lshl_add_u32 v0, v0, 23, 0x3c000000
	v_and_b32_e32 v1, 0x80000000, v1
	v_or3_b32 v42, v2, v1, v0
.LBB374_225:                            ;   in Loop: Header=BB374_16 Depth=1
	s_or_b32 exec_lo, exec_lo, s27
.LBB374_226:                            ;   in Loop: Header=BB374_16 Depth=1
	s_or_b32 exec_lo, exec_lo, s26
.LBB374_227:                            ;   in Loop: Header=BB374_16 Depth=1
	s_or_b32 exec_lo, exec_lo, s25
	v_and_b32_sdwa v0, v33, v67 dst_sel:DWORD dst_unused:UNUSED_PAD src0_sel:WORD_1 src1_sel:DWORD
	v_mov_b32_e32 v44, 0
	v_mov_b32_e32 v43, 0
	s_mov_b32 s25, exec_lo
	v_cmpx_ne_u16_e32 0, v0
	s_cbranch_execz .LBB374_235
; %bb.228:                              ;   in Loop: Header=BB374_16 Depth=1
	v_bfrev_b32_e32 v43, 1
	s_mov_b32 s26, exec_lo
	v_cmpx_ne_u16_e32 0x80, v0
	s_cbranch_execz .LBB374_234
; %bb.229:                              ;   in Loop: Header=BB374_16 Depth=1
	v_bfe_u32 v1, v33, 16, 7
	v_mov_b32_e32 v43, 0x7f800001
	s_mov_b32 s27, exec_lo
	v_cmpx_ne_u32_e32 0x7f, v1
	s_cbranch_execz .LBB374_233
; %bb.230:                              ;   in Loop: Header=BB374_16 Depth=1
	v_and_b32_sdwa v19, v33, v68 dst_sel:DWORD dst_unused:UNUSED_PAD src0_sel:WORD_1 src1_sel:DWORD
	v_lshrrev_b32_e32 v0, 3, v1
	s_mov_b32 s28, exec_lo
	v_cmpx_gt_u32_e32 8, v1
; %bb.231:                              ;   in Loop: Header=BB374_16 Depth=1
	v_ffbh_u32_e32 v0, v19
	v_min_u32_e32 v0, 32, v0
	v_subrev_nc_u32_e32 v1, 28, v0
	v_sub_nc_u32_e32 v0, 29, v0
	v_lshlrev_b64 v[1:2], v1, v[19:20]
	v_and_b32_e32 v19, 7, v1
; %bb.232:                              ;   in Loop: Header=BB374_16 Depth=1
	s_or_b32 exec_lo, exec_lo, s28
	v_lshlrev_b32_sdwa v1, v70, v33 dst_sel:DWORD dst_unused:UNUSED_PAD src0_sel:DWORD src1_sel:WORD_1
	v_lshlrev_b32_e32 v2, 20, v19
	v_lshl_add_u32 v0, v0, 23, 0x3c000000
	v_and_b32_e32 v1, 0x80000000, v1
	v_or3_b32 v43, v2, v1, v0
.LBB374_233:                            ;   in Loop: Header=BB374_16 Depth=1
	s_or_b32 exec_lo, exec_lo, s27
.LBB374_234:                            ;   in Loop: Header=BB374_16 Depth=1
	s_or_b32 exec_lo, exec_lo, s26
.LBB374_235:                            ;   in Loop: Header=BB374_16 Depth=1
	s_or_b32 exec_lo, exec_lo, s25
	s_mov_b32 s25, exec_lo
	v_cmpx_lt_u32_e32 0xffffff, v33
	s_cbranch_execz .LBB374_243
; %bb.236:                              ;   in Loop: Header=BB374_16 Depth=1
	v_cmp_ne_u32_sdwa s5, v33, v22 src0_sel:BYTE_3 src1_sel:DWORD
	v_bfrev_b32_e32 v44, 1
	s_and_saveexec_b32 s26, s5
	s_cbranch_execz .LBB374_242
; %bb.237:                              ;   in Loop: Header=BB374_16 Depth=1
	v_bfe_u32 v1, v33, 24, 7
	v_mov_b32_e32 v44, 0x7f800001
	s_mov_b32 s27, exec_lo
	v_cmpx_ne_u32_e32 0x7f, v1
	s_cbranch_execz .LBB374_241
; %bb.238:                              ;   in Loop: Header=BB374_16 Depth=1
	v_and_b32_sdwa v19, v33, v68 dst_sel:DWORD dst_unused:UNUSED_PAD src0_sel:BYTE_3 src1_sel:DWORD
	v_lshrrev_b32_e32 v0, 3, v1
	s_mov_b32 s28, exec_lo
	v_cmpx_gt_u32_e32 8, v1
; %bb.239:                              ;   in Loop: Header=BB374_16 Depth=1
	v_ffbh_u32_e32 v0, v19
	v_min_u32_e32 v0, 32, v0
	v_subrev_nc_u32_e32 v1, 28, v0
	v_sub_nc_u32_e32 v0, 29, v0
	v_lshlrev_b64 v[1:2], v1, v[19:20]
	v_and_b32_e32 v19, 7, v1
; %bb.240:                              ;   in Loop: Header=BB374_16 Depth=1
	s_or_b32 exec_lo, exec_lo, s28
	v_lshlrev_b32_sdwa v1, v70, v33 dst_sel:DWORD dst_unused:UNUSED_PAD src0_sel:DWORD src1_sel:BYTE_3
	v_lshlrev_b32_e32 v2, 20, v19
	v_lshl_add_u32 v0, v0, 23, 0x3c000000
	v_and_b32_e32 v1, 0x80000000, v1
	v_or3_b32 v44, v2, v1, v0
.LBB374_241:                            ;   in Loop: Header=BB374_16 Depth=1
	s_or_b32 exec_lo, exec_lo, s27
.LBB374_242:                            ;   in Loop: Header=BB374_16 Depth=1
	s_or_b32 exec_lo, exec_lo, s26
.LBB374_243:                            ;   in Loop: Header=BB374_16 Depth=1
	s_or_b32 exec_lo, exec_lo, s25
	v_mov_b32_e32 v19, v34
	v_cmp_ne_u16_sdwa s5, v34, v20 src0_sel:BYTE_0 src1_sel:DWORD
	v_mov_b32_e32 v46, 0
	v_mov_b32_e32 v45, 0
	s_and_saveexec_b32 s25, s5
	s_cbranch_execz .LBB374_251
; %bb.244:                              ;   in Loop: Header=BB374_16 Depth=1
	v_cmp_ne_u16_sdwa s5, v34, v22 src0_sel:BYTE_0 src1_sel:DWORD
	v_bfrev_b32_e32 v45, 1
	s_and_saveexec_b32 s26, s5
	s_cbranch_execz .LBB374_250
; %bb.245:                              ;   in Loop: Header=BB374_16 Depth=1
	v_and_b32_e32 v1, 0x7f, v34
	v_mov_b32_e32 v45, 0x7f800001
	s_mov_b32 s27, exec_lo
	v_cmpx_ne_u32_e32 0x7f, v1
	s_cbranch_execz .LBB374_249
; %bb.246:                              ;   in Loop: Header=BB374_16 Depth=1
	v_mov_b32_e32 v36, v20
	v_lshrrev_b32_e32 v0, 3, v1
	v_mov_b32_e32 v35, v19
	s_mov_b32 s28, exec_lo
	v_cmpx_gt_u32_e32 8, v1
; %bb.247:                              ;   in Loop: Header=BB374_16 Depth=1
	v_and_b32_e32 v0, 7, v34
	v_ffbh_u32_e32 v0, v0
	v_min_u32_e32 v0, 32, v0
	v_subrev_nc_u32_e32 v1, 28, v0
	v_sub_nc_u32_e32 v0, 29, v0
	v_lshlrev_b64 v[35:36], v1, v[19:20]
; %bb.248:                              ;   in Loop: Header=BB374_16 Depth=1
	s_or_b32 exec_lo, exec_lo, s28
	v_lshlrev_b32_e32 v1, 20, v35
	v_lshlrev_b32_e32 v2, 24, v19
	v_lshl_add_u32 v0, v0, 23, 0x3c000000
	v_and_b32_e32 v1, 0x700000, v1
	v_and_b32_e32 v2, 0x80000000, v2
	v_or3_b32 v45, v1, v2, v0
.LBB374_249:                            ;   in Loop: Header=BB374_16 Depth=1
	s_or_b32 exec_lo, exec_lo, s27
.LBB374_250:                            ;   in Loop: Header=BB374_16 Depth=1
	s_or_b32 exec_lo, exec_lo, s26
.LBB374_251:                            ;   in Loop: Header=BB374_16 Depth=1
	s_or_b32 exec_lo, exec_lo, s25
	v_cmp_ne_u16_sdwa s5, v19, v20 src0_sel:BYTE_1 src1_sel:DWORD
	s_and_saveexec_b32 s25, s5
	s_cbranch_execz .LBB374_259
; %bb.252:                              ;   in Loop: Header=BB374_16 Depth=1
	v_cmp_ne_u16_sdwa s5, v19, v22 src0_sel:BYTE_1 src1_sel:DWORD
	v_bfrev_b32_e32 v46, 1
	s_and_saveexec_b32 s26, s5
	s_cbranch_execz .LBB374_258
; %bb.253:                              ;   in Loop: Header=BB374_16 Depth=1
	v_and_b32_sdwa v0, v66, v19 dst_sel:DWORD dst_unused:UNUSED_PAD src0_sel:DWORD src1_sel:BYTE_1
	v_mov_b32_e32 v46, 0x7f800001
	s_mov_b32 s27, exec_lo
	v_and_b32_e32 v1, 0x7f, v0
	v_cmpx_ne_u32_e32 0x7f, v1
	s_cbranch_execz .LBB374_257
; %bb.254:                              ;   in Loop: Header=BB374_16 Depth=1
	v_and_b32_e32 v35, 7, v0
	v_mov_b32_e32 v36, v20
	v_lshrrev_b32_e32 v0, 3, v1
	s_mov_b32 s28, exec_lo
	v_cmpx_gt_u32_e32 8, v1
; %bb.255:                              ;   in Loop: Header=BB374_16 Depth=1
	v_ffbh_u32_e32 v0, v35
	v_min_u32_e32 v0, 32, v0
	v_subrev_nc_u32_e32 v1, 28, v0
	v_sub_nc_u32_e32 v0, 29, v0
	v_lshlrev_b64 v[1:2], v1, v[35:36]
	v_and_b32_e32 v35, 7, v1
; %bb.256:                              ;   in Loop: Header=BB374_16 Depth=1
	s_or_b32 exec_lo, exec_lo, s28
	v_lshlrev_b32_e32 v1, 16, v19
	v_lshlrev_b32_e32 v2, 20, v35
	v_lshl_add_u32 v0, v0, 23, 0x3c000000
	v_and_b32_e32 v1, 0x80000000, v1
	v_or3_b32 v46, v2, v1, v0
.LBB374_257:                            ;   in Loop: Header=BB374_16 Depth=1
	s_or_b32 exec_lo, exec_lo, s27
.LBB374_258:                            ;   in Loop: Header=BB374_16 Depth=1
	s_or_b32 exec_lo, exec_lo, s26
.LBB374_259:                            ;   in Loop: Header=BB374_16 Depth=1
	s_or_b32 exec_lo, exec_lo, s25
	v_and_b32_sdwa v0, v34, v67 dst_sel:DWORD dst_unused:UNUSED_PAD src0_sel:WORD_1 src1_sel:DWORD
	v_mov_b32_e32 v47, 0
	v_mov_b32_e32 v56, 0
	s_mov_b32 s25, exec_lo
	v_cmpx_ne_u16_e32 0, v0
	s_cbranch_execz .LBB374_267
; %bb.260:                              ;   in Loop: Header=BB374_16 Depth=1
	v_bfrev_b32_e32 v56, 1
	s_mov_b32 s26, exec_lo
	v_cmpx_ne_u16_e32 0x80, v0
	s_cbranch_execz .LBB374_266
; %bb.261:                              ;   in Loop: Header=BB374_16 Depth=1
	v_bfe_u32 v1, v34, 16, 7
	v_mov_b32_e32 v56, 0x7f800001
	s_mov_b32 s27, exec_lo
	v_cmpx_ne_u32_e32 0x7f, v1
	s_cbranch_execz .LBB374_265
; %bb.262:                              ;   in Loop: Header=BB374_16 Depth=1
	v_and_b32_sdwa v19, v34, v68 dst_sel:DWORD dst_unused:UNUSED_PAD src0_sel:WORD_1 src1_sel:DWORD
	v_lshrrev_b32_e32 v0, 3, v1
	s_mov_b32 s28, exec_lo
	v_cmpx_gt_u32_e32 8, v1
; %bb.263:                              ;   in Loop: Header=BB374_16 Depth=1
	v_ffbh_u32_e32 v0, v19
	v_min_u32_e32 v0, 32, v0
	v_subrev_nc_u32_e32 v1, 28, v0
	v_sub_nc_u32_e32 v0, 29, v0
	v_lshlrev_b64 v[1:2], v1, v[19:20]
	v_and_b32_e32 v19, 7, v1
; %bb.264:                              ;   in Loop: Header=BB374_16 Depth=1
	s_or_b32 exec_lo, exec_lo, s28
	v_lshlrev_b32_sdwa v1, v70, v34 dst_sel:DWORD dst_unused:UNUSED_PAD src0_sel:DWORD src1_sel:WORD_1
	v_lshlrev_b32_e32 v2, 20, v19
	v_lshl_add_u32 v0, v0, 23, 0x3c000000
	v_and_b32_e32 v1, 0x80000000, v1
	v_or3_b32 v56, v2, v1, v0
.LBB374_265:                            ;   in Loop: Header=BB374_16 Depth=1
	s_or_b32 exec_lo, exec_lo, s27
.LBB374_266:                            ;   in Loop: Header=BB374_16 Depth=1
	s_or_b32 exec_lo, exec_lo, s26
.LBB374_267:                            ;   in Loop: Header=BB374_16 Depth=1
	s_or_b32 exec_lo, exec_lo, s25
	s_mov_b32 s25, exec_lo
	v_cmpx_lt_u64_e64 s[20:21], v[33:34]
	s_cbranch_execz .LBB374_275
; %bb.268:                              ;   in Loop: Header=BB374_16 Depth=1
	v_cmp_ne_u32_sdwa s5, v34, v22 src0_sel:BYTE_3 src1_sel:DWORD
	v_bfrev_b32_e32 v47, 1
	s_and_saveexec_b32 s26, s5
	s_cbranch_execz .LBB374_274
; %bb.269:                              ;   in Loop: Header=BB374_16 Depth=1
	v_bfe_u32 v1, v34, 24, 7
	v_mov_b32_e32 v47, 0x7f800001
	s_mov_b32 s27, exec_lo
	v_cmpx_ne_u32_e32 0x7f, v1
	s_cbranch_execz .LBB374_273
; %bb.270:                              ;   in Loop: Header=BB374_16 Depth=1
	v_and_b32_sdwa v19, v34, v68 dst_sel:DWORD dst_unused:UNUSED_PAD src0_sel:BYTE_3 src1_sel:DWORD
	v_lshrrev_b32_e32 v0, 3, v1
	s_mov_b32 s28, exec_lo
	v_cmpx_gt_u32_e32 8, v1
; %bb.271:                              ;   in Loop: Header=BB374_16 Depth=1
	v_ffbh_u32_e32 v0, v19
	v_min_u32_e32 v0, 32, v0
	v_subrev_nc_u32_e32 v1, 28, v0
	v_sub_nc_u32_e32 v0, 29, v0
	v_lshlrev_b64 v[1:2], v1, v[19:20]
	v_and_b32_e32 v19, 7, v1
; %bb.272:                              ;   in Loop: Header=BB374_16 Depth=1
	s_or_b32 exec_lo, exec_lo, s28
	v_lshlrev_b32_sdwa v1, v70, v34 dst_sel:DWORD dst_unused:UNUSED_PAD src0_sel:DWORD src1_sel:BYTE_3
	v_lshlrev_b32_e32 v2, 20, v19
	v_lshl_add_u32 v0, v0, 23, 0x3c000000
	v_and_b32_e32 v1, 0x80000000, v1
	v_or3_b32 v47, v2, v1, v0
.LBB374_273:                            ;   in Loop: Header=BB374_16 Depth=1
	s_or_b32 exec_lo, exec_lo, s27
.LBB374_274:                            ;   in Loop: Header=BB374_16 Depth=1
	s_or_b32 exec_lo, exec_lo, s26
.LBB374_275:                            ;   in Loop: Header=BB374_16 Depth=1
	s_or_b32 exec_lo, exec_lo, s25
	flat_load_dwordx2 v[33:34], v[31:32] offset:1024
	v_mov_b32_e32 v58, 0
	v_mov_b32_e32 v57, 0
	s_waitcnt vmcnt(0) lgkmcnt(0)
	v_cmp_ne_u16_sdwa s5, v33, v20 src0_sel:BYTE_0 src1_sel:DWORD
	s_and_saveexec_b32 s25, s5
	s_cbranch_execz .LBB374_283
; %bb.276:                              ;   in Loop: Header=BB374_16 Depth=1
	v_cmp_ne_u16_sdwa s5, v33, v22 src0_sel:BYTE_0 src1_sel:DWORD
	v_bfrev_b32_e32 v57, 1
	s_and_saveexec_b32 s26, s5
	s_cbranch_execz .LBB374_282
; %bb.277:                              ;   in Loop: Header=BB374_16 Depth=1
	v_and_b32_e32 v1, 0x7f, v33
	v_mov_b32_e32 v57, 0x7f800001
	s_mov_b32 s27, exec_lo
	v_cmpx_ne_u32_e32 0x7f, v1
	s_cbranch_execz .LBB374_281
; %bb.278:                              ;   in Loop: Header=BB374_16 Depth=1
	v_mov_b32_e32 v36, v34
	v_lshrrev_b32_e32 v0, 3, v1
	v_mov_b32_e32 v35, v33
	s_mov_b32 s28, exec_lo
	v_cmpx_gt_u32_e32 8, v1
; %bb.279:                              ;   in Loop: Header=BB374_16 Depth=1
	v_and_b32_e32 v0, 7, v33
	v_ffbh_u32_e32 v0, v0
	v_min_u32_e32 v0, 32, v0
	v_subrev_nc_u32_e32 v1, 28, v0
	v_sub_nc_u32_e32 v0, 29, v0
	v_lshlrev_b64 v[35:36], v1, v[33:34]
; %bb.280:                              ;   in Loop: Header=BB374_16 Depth=1
	s_or_b32 exec_lo, exec_lo, s28
	v_lshlrev_b32_e32 v1, 20, v35
	v_lshlrev_b32_e32 v2, 24, v33
	v_lshl_add_u32 v0, v0, 23, 0x3c000000
	v_and_b32_e32 v1, 0x700000, v1
	v_and_b32_e32 v2, 0x80000000, v2
	v_or3_b32 v57, v1, v2, v0
.LBB374_281:                            ;   in Loop: Header=BB374_16 Depth=1
	s_or_b32 exec_lo, exec_lo, s27
.LBB374_282:                            ;   in Loop: Header=BB374_16 Depth=1
	s_or_b32 exec_lo, exec_lo, s26
.LBB374_283:                            ;   in Loop: Header=BB374_16 Depth=1
	s_or_b32 exec_lo, exec_lo, s25
	v_cmp_ne_u16_sdwa s5, v33, v20 src0_sel:BYTE_1 src1_sel:DWORD
	s_and_saveexec_b32 s25, s5
	s_cbranch_execz .LBB374_291
; %bb.284:                              ;   in Loop: Header=BB374_16 Depth=1
	v_cmp_ne_u16_sdwa s5, v33, v22 src0_sel:BYTE_1 src1_sel:DWORD
	v_bfrev_b32_e32 v58, 1
	s_and_saveexec_b32 s26, s5
	s_cbranch_execz .LBB374_290
; %bb.285:                              ;   in Loop: Header=BB374_16 Depth=1
	v_and_b32_sdwa v0, v66, v33 dst_sel:DWORD dst_unused:UNUSED_PAD src0_sel:DWORD src1_sel:BYTE_1
	v_mov_b32_e32 v58, 0x7f800001
	s_mov_b32 s27, exec_lo
	v_and_b32_e32 v1, 0x7f, v0
	v_cmpx_ne_u32_e32 0x7f, v1
	s_cbranch_execz .LBB374_289
; %bb.286:                              ;   in Loop: Header=BB374_16 Depth=1
	v_and_b32_e32 v19, 7, v0
	v_lshrrev_b32_e32 v0, 3, v1
	s_mov_b32 s28, exec_lo
	v_cmpx_gt_u32_e32 8, v1
; %bb.287:                              ;   in Loop: Header=BB374_16 Depth=1
	v_ffbh_u32_e32 v0, v19
	v_min_u32_e32 v0, 32, v0
	v_subrev_nc_u32_e32 v1, 28, v0
	v_sub_nc_u32_e32 v0, 29, v0
	v_lshlrev_b64 v[1:2], v1, v[19:20]
	v_and_b32_e32 v19, 7, v1
; %bb.288:                              ;   in Loop: Header=BB374_16 Depth=1
	s_or_b32 exec_lo, exec_lo, s28
	v_lshlrev_b32_e32 v1, 16, v33
	v_lshlrev_b32_e32 v2, 20, v19
	v_lshl_add_u32 v0, v0, 23, 0x3c000000
	v_and_b32_e32 v1, 0x80000000, v1
	v_or3_b32 v58, v2, v1, v0
.LBB374_289:                            ;   in Loop: Header=BB374_16 Depth=1
	s_or_b32 exec_lo, exec_lo, s27
.LBB374_290:                            ;   in Loop: Header=BB374_16 Depth=1
	s_or_b32 exec_lo, exec_lo, s26
.LBB374_291:                            ;   in Loop: Header=BB374_16 Depth=1
	s_or_b32 exec_lo, exec_lo, s25
	v_and_b32_sdwa v0, v33, v67 dst_sel:DWORD dst_unused:UNUSED_PAD src0_sel:WORD_1 src1_sel:DWORD
	v_mov_b32_e32 v60, 0
	v_mov_b32_e32 v59, 0
	s_mov_b32 s25, exec_lo
	v_cmpx_ne_u16_e32 0, v0
	s_cbranch_execz .LBB374_299
; %bb.292:                              ;   in Loop: Header=BB374_16 Depth=1
	v_bfrev_b32_e32 v59, 1
	s_mov_b32 s26, exec_lo
	v_cmpx_ne_u16_e32 0x80, v0
	s_cbranch_execz .LBB374_298
; %bb.293:                              ;   in Loop: Header=BB374_16 Depth=1
	v_bfe_u32 v1, v33, 16, 7
	v_mov_b32_e32 v59, 0x7f800001
	s_mov_b32 s27, exec_lo
	v_cmpx_ne_u32_e32 0x7f, v1
	s_cbranch_execz .LBB374_297
; %bb.294:                              ;   in Loop: Header=BB374_16 Depth=1
	v_and_b32_sdwa v19, v33, v68 dst_sel:DWORD dst_unused:UNUSED_PAD src0_sel:WORD_1 src1_sel:DWORD
	v_lshrrev_b32_e32 v0, 3, v1
	s_mov_b32 s28, exec_lo
	v_cmpx_gt_u32_e32 8, v1
; %bb.295:                              ;   in Loop: Header=BB374_16 Depth=1
	v_ffbh_u32_e32 v0, v19
	v_min_u32_e32 v0, 32, v0
	v_subrev_nc_u32_e32 v1, 28, v0
	v_sub_nc_u32_e32 v0, 29, v0
	v_lshlrev_b64 v[1:2], v1, v[19:20]
	v_and_b32_e32 v19, 7, v1
; %bb.296:                              ;   in Loop: Header=BB374_16 Depth=1
	s_or_b32 exec_lo, exec_lo, s28
	v_lshlrev_b32_sdwa v1, v70, v33 dst_sel:DWORD dst_unused:UNUSED_PAD src0_sel:DWORD src1_sel:WORD_1
	v_lshlrev_b32_e32 v2, 20, v19
	v_lshl_add_u32 v0, v0, 23, 0x3c000000
	v_and_b32_e32 v1, 0x80000000, v1
	v_or3_b32 v59, v2, v1, v0
.LBB374_297:                            ;   in Loop: Header=BB374_16 Depth=1
	s_or_b32 exec_lo, exec_lo, s27
.LBB374_298:                            ;   in Loop: Header=BB374_16 Depth=1
	s_or_b32 exec_lo, exec_lo, s26
.LBB374_299:                            ;   in Loop: Header=BB374_16 Depth=1
	s_or_b32 exec_lo, exec_lo, s25
	s_mov_b32 s25, exec_lo
	v_cmpx_lt_u32_e32 0xffffff, v33
	s_cbranch_execz .LBB374_307
; %bb.300:                              ;   in Loop: Header=BB374_16 Depth=1
	v_cmp_ne_u32_sdwa s5, v33, v22 src0_sel:BYTE_3 src1_sel:DWORD
	v_bfrev_b32_e32 v60, 1
	s_and_saveexec_b32 s26, s5
	s_cbranch_execz .LBB374_306
; %bb.301:                              ;   in Loop: Header=BB374_16 Depth=1
	v_bfe_u32 v1, v33, 24, 7
	v_mov_b32_e32 v60, 0x7f800001
	s_mov_b32 s27, exec_lo
	v_cmpx_ne_u32_e32 0x7f, v1
	s_cbranch_execz .LBB374_305
; %bb.302:                              ;   in Loop: Header=BB374_16 Depth=1
	v_and_b32_sdwa v19, v33, v68 dst_sel:DWORD dst_unused:UNUSED_PAD src0_sel:BYTE_3 src1_sel:DWORD
	v_lshrrev_b32_e32 v0, 3, v1
	s_mov_b32 s28, exec_lo
	v_cmpx_gt_u32_e32 8, v1
; %bb.303:                              ;   in Loop: Header=BB374_16 Depth=1
	v_ffbh_u32_e32 v0, v19
	v_min_u32_e32 v0, 32, v0
	v_subrev_nc_u32_e32 v1, 28, v0
	v_sub_nc_u32_e32 v0, 29, v0
	v_lshlrev_b64 v[1:2], v1, v[19:20]
	v_and_b32_e32 v19, 7, v1
; %bb.304:                              ;   in Loop: Header=BB374_16 Depth=1
	s_or_b32 exec_lo, exec_lo, s28
	v_lshlrev_b32_sdwa v1, v70, v33 dst_sel:DWORD dst_unused:UNUSED_PAD src0_sel:DWORD src1_sel:BYTE_3
	v_lshlrev_b32_e32 v2, 20, v19
	v_lshl_add_u32 v0, v0, 23, 0x3c000000
	v_and_b32_e32 v1, 0x80000000, v1
	v_or3_b32 v60, v2, v1, v0
.LBB374_305:                            ;   in Loop: Header=BB374_16 Depth=1
	s_or_b32 exec_lo, exec_lo, s27
.LBB374_306:                            ;   in Loop: Header=BB374_16 Depth=1
	s_or_b32 exec_lo, exec_lo, s26
.LBB374_307:                            ;   in Loop: Header=BB374_16 Depth=1
	s_or_b32 exec_lo, exec_lo, s25
	v_mov_b32_e32 v19, v34
	v_cmp_ne_u16_sdwa s5, v34, v20 src0_sel:BYTE_0 src1_sel:DWORD
	v_mov_b32_e32 v62, 0
	v_mov_b32_e32 v61, 0
	s_and_saveexec_b32 s25, s5
	s_cbranch_execz .LBB374_315
; %bb.308:                              ;   in Loop: Header=BB374_16 Depth=1
	v_cmp_ne_u16_sdwa s5, v34, v22 src0_sel:BYTE_0 src1_sel:DWORD
	v_bfrev_b32_e32 v61, 1
	s_and_saveexec_b32 s26, s5
	s_cbranch_execz .LBB374_314
; %bb.309:                              ;   in Loop: Header=BB374_16 Depth=1
	v_and_b32_e32 v1, 0x7f, v34
	v_mov_b32_e32 v61, 0x7f800001
	s_mov_b32 s27, exec_lo
	v_cmpx_ne_u32_e32 0x7f, v1
	s_cbranch_execz .LBB374_313
; %bb.310:                              ;   in Loop: Header=BB374_16 Depth=1
	v_mov_b32_e32 v36, v20
	v_lshrrev_b32_e32 v0, 3, v1
	v_mov_b32_e32 v35, v19
	s_mov_b32 s28, exec_lo
	v_cmpx_gt_u32_e32 8, v1
; %bb.311:                              ;   in Loop: Header=BB374_16 Depth=1
	v_and_b32_e32 v0, 7, v34
	v_ffbh_u32_e32 v0, v0
	v_min_u32_e32 v0, 32, v0
	v_subrev_nc_u32_e32 v1, 28, v0
	v_sub_nc_u32_e32 v0, 29, v0
	v_lshlrev_b64 v[35:36], v1, v[19:20]
; %bb.312:                              ;   in Loop: Header=BB374_16 Depth=1
	s_or_b32 exec_lo, exec_lo, s28
	v_lshlrev_b32_e32 v1, 20, v35
	v_lshlrev_b32_e32 v2, 24, v19
	v_lshl_add_u32 v0, v0, 23, 0x3c000000
	v_and_b32_e32 v1, 0x700000, v1
	v_and_b32_e32 v2, 0x80000000, v2
	v_or3_b32 v61, v1, v2, v0
.LBB374_313:                            ;   in Loop: Header=BB374_16 Depth=1
	s_or_b32 exec_lo, exec_lo, s27
.LBB374_314:                            ;   in Loop: Header=BB374_16 Depth=1
	s_or_b32 exec_lo, exec_lo, s26
.LBB374_315:                            ;   in Loop: Header=BB374_16 Depth=1
	s_or_b32 exec_lo, exec_lo, s25
	v_cmp_ne_u16_sdwa s5, v19, v20 src0_sel:BYTE_1 src1_sel:DWORD
	s_and_saveexec_b32 s25, s5
	s_cbranch_execz .LBB374_323
; %bb.316:                              ;   in Loop: Header=BB374_16 Depth=1
	v_cmp_ne_u16_sdwa s5, v19, v22 src0_sel:BYTE_1 src1_sel:DWORD
	v_bfrev_b32_e32 v62, 1
	s_and_saveexec_b32 s26, s5
	s_cbranch_execz .LBB374_322
; %bb.317:                              ;   in Loop: Header=BB374_16 Depth=1
	v_and_b32_sdwa v0, v66, v19 dst_sel:DWORD dst_unused:UNUSED_PAD src0_sel:DWORD src1_sel:BYTE_1
	v_mov_b32_e32 v62, 0x7f800001
	s_mov_b32 s27, exec_lo
	v_and_b32_e32 v1, 0x7f, v0
	v_cmpx_ne_u32_e32 0x7f, v1
	s_cbranch_execz .LBB374_321
; %bb.318:                              ;   in Loop: Header=BB374_16 Depth=1
	v_and_b32_e32 v35, 7, v0
	v_mov_b32_e32 v36, v20
	v_lshrrev_b32_e32 v0, 3, v1
	s_mov_b32 s28, exec_lo
	v_cmpx_gt_u32_e32 8, v1
; %bb.319:                              ;   in Loop: Header=BB374_16 Depth=1
	v_ffbh_u32_e32 v0, v35
	v_min_u32_e32 v0, 32, v0
	v_subrev_nc_u32_e32 v1, 28, v0
	v_sub_nc_u32_e32 v0, 29, v0
	v_lshlrev_b64 v[1:2], v1, v[35:36]
	v_and_b32_e32 v35, 7, v1
; %bb.320:                              ;   in Loop: Header=BB374_16 Depth=1
	s_or_b32 exec_lo, exec_lo, s28
	v_lshlrev_b32_e32 v1, 16, v19
	v_lshlrev_b32_e32 v2, 20, v35
	v_lshl_add_u32 v0, v0, 23, 0x3c000000
	v_and_b32_e32 v1, 0x80000000, v1
	v_or3_b32 v62, v2, v1, v0
.LBB374_321:                            ;   in Loop: Header=BB374_16 Depth=1
	s_or_b32 exec_lo, exec_lo, s27
.LBB374_322:                            ;   in Loop: Header=BB374_16 Depth=1
	s_or_b32 exec_lo, exec_lo, s26
.LBB374_323:                            ;   in Loop: Header=BB374_16 Depth=1
	s_or_b32 exec_lo, exec_lo, s25
	v_and_b32_sdwa v0, v34, v67 dst_sel:DWORD dst_unused:UNUSED_PAD src0_sel:WORD_1 src1_sel:DWORD
	v_mov_b32_e32 v63, 0
	v_mov_b32_e32 v72, 0
	s_mov_b32 s25, exec_lo
	v_cmpx_ne_u16_e32 0, v0
	s_cbranch_execz .LBB374_331
; %bb.324:                              ;   in Loop: Header=BB374_16 Depth=1
	v_bfrev_b32_e32 v72, 1
	s_mov_b32 s26, exec_lo
	v_cmpx_ne_u16_e32 0x80, v0
	s_cbranch_execz .LBB374_330
; %bb.325:                              ;   in Loop: Header=BB374_16 Depth=1
	v_bfe_u32 v1, v34, 16, 7
	v_mov_b32_e32 v72, 0x7f800001
	s_mov_b32 s27, exec_lo
	v_cmpx_ne_u32_e32 0x7f, v1
	s_cbranch_execz .LBB374_329
; %bb.326:                              ;   in Loop: Header=BB374_16 Depth=1
	v_and_b32_sdwa v19, v34, v68 dst_sel:DWORD dst_unused:UNUSED_PAD src0_sel:WORD_1 src1_sel:DWORD
	v_lshrrev_b32_e32 v0, 3, v1
	s_mov_b32 s28, exec_lo
	v_cmpx_gt_u32_e32 8, v1
; %bb.327:                              ;   in Loop: Header=BB374_16 Depth=1
	v_ffbh_u32_e32 v0, v19
	v_min_u32_e32 v0, 32, v0
	v_subrev_nc_u32_e32 v1, 28, v0
	v_sub_nc_u32_e32 v0, 29, v0
	v_lshlrev_b64 v[1:2], v1, v[19:20]
	v_and_b32_e32 v19, 7, v1
; %bb.328:                              ;   in Loop: Header=BB374_16 Depth=1
	s_or_b32 exec_lo, exec_lo, s28
	v_lshlrev_b32_sdwa v1, v70, v34 dst_sel:DWORD dst_unused:UNUSED_PAD src0_sel:DWORD src1_sel:WORD_1
	v_lshlrev_b32_e32 v2, 20, v19
	v_lshl_add_u32 v0, v0, 23, 0x3c000000
	v_and_b32_e32 v1, 0x80000000, v1
	v_or3_b32 v72, v2, v1, v0
.LBB374_329:                            ;   in Loop: Header=BB374_16 Depth=1
	s_or_b32 exec_lo, exec_lo, s27
.LBB374_330:                            ;   in Loop: Header=BB374_16 Depth=1
	s_or_b32 exec_lo, exec_lo, s26
.LBB374_331:                            ;   in Loop: Header=BB374_16 Depth=1
	s_or_b32 exec_lo, exec_lo, s25
	s_mov_b32 s25, exec_lo
	v_cmpx_lt_u64_e64 s[20:21], v[33:34]
	s_cbranch_execz .LBB374_339
; %bb.332:                              ;   in Loop: Header=BB374_16 Depth=1
	v_cmp_ne_u32_sdwa s5, v34, v22 src0_sel:BYTE_3 src1_sel:DWORD
	v_bfrev_b32_e32 v63, 1
	s_and_saveexec_b32 s26, s5
	s_cbranch_execz .LBB374_338
; %bb.333:                              ;   in Loop: Header=BB374_16 Depth=1
	v_bfe_u32 v1, v34, 24, 7
	v_mov_b32_e32 v63, 0x7f800001
	s_mov_b32 s27, exec_lo
	v_cmpx_ne_u32_e32 0x7f, v1
	s_cbranch_execz .LBB374_337
; %bb.334:                              ;   in Loop: Header=BB374_16 Depth=1
	v_and_b32_sdwa v19, v34, v68 dst_sel:DWORD dst_unused:UNUSED_PAD src0_sel:BYTE_3 src1_sel:DWORD
	v_lshrrev_b32_e32 v0, 3, v1
	s_mov_b32 s28, exec_lo
	v_cmpx_gt_u32_e32 8, v1
; %bb.335:                              ;   in Loop: Header=BB374_16 Depth=1
	v_ffbh_u32_e32 v0, v19
	v_min_u32_e32 v0, 32, v0
	v_subrev_nc_u32_e32 v1, 28, v0
	v_sub_nc_u32_e32 v0, 29, v0
	v_lshlrev_b64 v[1:2], v1, v[19:20]
	v_and_b32_e32 v19, 7, v1
; %bb.336:                              ;   in Loop: Header=BB374_16 Depth=1
	s_or_b32 exec_lo, exec_lo, s28
	v_lshlrev_b32_sdwa v1, v70, v34 dst_sel:DWORD dst_unused:UNUSED_PAD src0_sel:DWORD src1_sel:BYTE_3
	v_lshlrev_b32_e32 v2, 20, v19
	v_lshl_add_u32 v0, v0, 23, 0x3c000000
	v_and_b32_e32 v1, 0x80000000, v1
	v_or3_b32 v63, v2, v1, v0
.LBB374_337:                            ;   in Loop: Header=BB374_16 Depth=1
	s_or_b32 exec_lo, exec_lo, s27
.LBB374_338:                            ;   in Loop: Header=BB374_16 Depth=1
	s_or_b32 exec_lo, exec_lo, s26
.LBB374_339:                            ;   in Loop: Header=BB374_16 Depth=1
	s_or_b32 exec_lo, exec_lo, s25
	flat_load_dwordx2 v[33:34], v[31:32] offset:1032
	v_mov_b32_e32 v74, 0
	v_mov_b32_e32 v73, 0
	s_waitcnt vmcnt(0) lgkmcnt(0)
	v_cmp_ne_u16_sdwa s5, v33, v20 src0_sel:BYTE_0 src1_sel:DWORD
	s_and_saveexec_b32 s25, s5
	s_cbranch_execz .LBB374_347
; %bb.340:                              ;   in Loop: Header=BB374_16 Depth=1
	v_cmp_ne_u16_sdwa s5, v33, v22 src0_sel:BYTE_0 src1_sel:DWORD
	v_bfrev_b32_e32 v73, 1
	s_and_saveexec_b32 s26, s5
	s_cbranch_execz .LBB374_346
; %bb.341:                              ;   in Loop: Header=BB374_16 Depth=1
	v_and_b32_e32 v1, 0x7f, v33
	v_mov_b32_e32 v73, 0x7f800001
	s_mov_b32 s27, exec_lo
	v_cmpx_ne_u32_e32 0x7f, v1
	s_cbranch_execz .LBB374_345
; %bb.342:                              ;   in Loop: Header=BB374_16 Depth=1
	v_mov_b32_e32 v36, v34
	v_lshrrev_b32_e32 v0, 3, v1
	v_mov_b32_e32 v35, v33
	s_mov_b32 s28, exec_lo
	v_cmpx_gt_u32_e32 8, v1
; %bb.343:                              ;   in Loop: Header=BB374_16 Depth=1
	v_and_b32_e32 v0, 7, v33
	v_ffbh_u32_e32 v0, v0
	v_min_u32_e32 v0, 32, v0
	v_subrev_nc_u32_e32 v1, 28, v0
	v_sub_nc_u32_e32 v0, 29, v0
	v_lshlrev_b64 v[35:36], v1, v[33:34]
; %bb.344:                              ;   in Loop: Header=BB374_16 Depth=1
	s_or_b32 exec_lo, exec_lo, s28
	v_lshlrev_b32_e32 v1, 20, v35
	v_lshlrev_b32_e32 v2, 24, v33
	v_lshl_add_u32 v0, v0, 23, 0x3c000000
	v_and_b32_e32 v1, 0x700000, v1
	v_and_b32_e32 v2, 0x80000000, v2
	v_or3_b32 v73, v1, v2, v0
.LBB374_345:                            ;   in Loop: Header=BB374_16 Depth=1
	s_or_b32 exec_lo, exec_lo, s27
.LBB374_346:                            ;   in Loop: Header=BB374_16 Depth=1
	s_or_b32 exec_lo, exec_lo, s26
.LBB374_347:                            ;   in Loop: Header=BB374_16 Depth=1
	s_or_b32 exec_lo, exec_lo, s25
	v_cmp_ne_u16_sdwa s5, v33, v20 src0_sel:BYTE_1 src1_sel:DWORD
	s_and_saveexec_b32 s25, s5
	s_cbranch_execz .LBB374_355
; %bb.348:                              ;   in Loop: Header=BB374_16 Depth=1
	v_cmp_ne_u16_sdwa s5, v33, v22 src0_sel:BYTE_1 src1_sel:DWORD
	v_bfrev_b32_e32 v74, 1
	s_and_saveexec_b32 s26, s5
	s_cbranch_execz .LBB374_354
; %bb.349:                              ;   in Loop: Header=BB374_16 Depth=1
	v_and_b32_sdwa v0, v66, v33 dst_sel:DWORD dst_unused:UNUSED_PAD src0_sel:DWORD src1_sel:BYTE_1
	v_mov_b32_e32 v74, 0x7f800001
	s_mov_b32 s27, exec_lo
	v_and_b32_e32 v1, 0x7f, v0
	v_cmpx_ne_u32_e32 0x7f, v1
	s_cbranch_execz .LBB374_353
; %bb.350:                              ;   in Loop: Header=BB374_16 Depth=1
	v_and_b32_e32 v19, 7, v0
	v_lshrrev_b32_e32 v0, 3, v1
	s_mov_b32 s28, exec_lo
	v_cmpx_gt_u32_e32 8, v1
; %bb.351:                              ;   in Loop: Header=BB374_16 Depth=1
	v_ffbh_u32_e32 v0, v19
	v_min_u32_e32 v0, 32, v0
	v_subrev_nc_u32_e32 v1, 28, v0
	v_sub_nc_u32_e32 v0, 29, v0
	v_lshlrev_b64 v[1:2], v1, v[19:20]
	v_and_b32_e32 v19, 7, v1
; %bb.352:                              ;   in Loop: Header=BB374_16 Depth=1
	s_or_b32 exec_lo, exec_lo, s28
	v_lshlrev_b32_e32 v1, 16, v33
	v_lshlrev_b32_e32 v2, 20, v19
	v_lshl_add_u32 v0, v0, 23, 0x3c000000
	v_and_b32_e32 v1, 0x80000000, v1
	v_or3_b32 v74, v2, v1, v0
.LBB374_353:                            ;   in Loop: Header=BB374_16 Depth=1
	s_or_b32 exec_lo, exec_lo, s27
.LBB374_354:                            ;   in Loop: Header=BB374_16 Depth=1
	s_or_b32 exec_lo, exec_lo, s26
.LBB374_355:                            ;   in Loop: Header=BB374_16 Depth=1
	s_or_b32 exec_lo, exec_lo, s25
	v_and_b32_sdwa v0, v33, v67 dst_sel:DWORD dst_unused:UNUSED_PAD src0_sel:WORD_1 src1_sel:DWORD
	v_mov_b32_e32 v76, 0
	v_mov_b32_e32 v75, 0
	s_mov_b32 s25, exec_lo
	v_cmpx_ne_u16_e32 0, v0
	s_cbranch_execz .LBB374_363
; %bb.356:                              ;   in Loop: Header=BB374_16 Depth=1
	v_bfrev_b32_e32 v75, 1
	s_mov_b32 s26, exec_lo
	v_cmpx_ne_u16_e32 0x80, v0
	s_cbranch_execz .LBB374_362
; %bb.357:                              ;   in Loop: Header=BB374_16 Depth=1
	v_bfe_u32 v1, v33, 16, 7
	v_mov_b32_e32 v75, 0x7f800001
	s_mov_b32 s27, exec_lo
	v_cmpx_ne_u32_e32 0x7f, v1
	s_cbranch_execz .LBB374_361
; %bb.358:                              ;   in Loop: Header=BB374_16 Depth=1
	v_and_b32_sdwa v19, v33, v68 dst_sel:DWORD dst_unused:UNUSED_PAD src0_sel:WORD_1 src1_sel:DWORD
	v_lshrrev_b32_e32 v0, 3, v1
	s_mov_b32 s28, exec_lo
	v_cmpx_gt_u32_e32 8, v1
; %bb.359:                              ;   in Loop: Header=BB374_16 Depth=1
	v_ffbh_u32_e32 v0, v19
	v_min_u32_e32 v0, 32, v0
	v_subrev_nc_u32_e32 v1, 28, v0
	v_sub_nc_u32_e32 v0, 29, v0
	v_lshlrev_b64 v[1:2], v1, v[19:20]
	v_and_b32_e32 v19, 7, v1
; %bb.360:                              ;   in Loop: Header=BB374_16 Depth=1
	s_or_b32 exec_lo, exec_lo, s28
	v_lshlrev_b32_sdwa v1, v70, v33 dst_sel:DWORD dst_unused:UNUSED_PAD src0_sel:DWORD src1_sel:WORD_1
	v_lshlrev_b32_e32 v2, 20, v19
	v_lshl_add_u32 v0, v0, 23, 0x3c000000
	v_and_b32_e32 v1, 0x80000000, v1
	v_or3_b32 v75, v2, v1, v0
.LBB374_361:                            ;   in Loop: Header=BB374_16 Depth=1
	s_or_b32 exec_lo, exec_lo, s27
.LBB374_362:                            ;   in Loop: Header=BB374_16 Depth=1
	s_or_b32 exec_lo, exec_lo, s26
.LBB374_363:                            ;   in Loop: Header=BB374_16 Depth=1
	s_or_b32 exec_lo, exec_lo, s25
	s_mov_b32 s25, exec_lo
	v_cmpx_lt_u32_e32 0xffffff, v33
	s_cbranch_execz .LBB374_371
; %bb.364:                              ;   in Loop: Header=BB374_16 Depth=1
	v_cmp_ne_u32_sdwa s5, v33, v22 src0_sel:BYTE_3 src1_sel:DWORD
	v_bfrev_b32_e32 v76, 1
	s_and_saveexec_b32 s26, s5
	s_cbranch_execz .LBB374_370
; %bb.365:                              ;   in Loop: Header=BB374_16 Depth=1
	v_bfe_u32 v1, v33, 24, 7
	v_mov_b32_e32 v76, 0x7f800001
	s_mov_b32 s27, exec_lo
	v_cmpx_ne_u32_e32 0x7f, v1
	s_cbranch_execz .LBB374_369
; %bb.366:                              ;   in Loop: Header=BB374_16 Depth=1
	v_and_b32_sdwa v19, v33, v68 dst_sel:DWORD dst_unused:UNUSED_PAD src0_sel:BYTE_3 src1_sel:DWORD
	v_lshrrev_b32_e32 v0, 3, v1
	s_mov_b32 s28, exec_lo
	v_cmpx_gt_u32_e32 8, v1
; %bb.367:                              ;   in Loop: Header=BB374_16 Depth=1
	v_ffbh_u32_e32 v0, v19
	v_min_u32_e32 v0, 32, v0
	v_subrev_nc_u32_e32 v1, 28, v0
	v_sub_nc_u32_e32 v0, 29, v0
	v_lshlrev_b64 v[1:2], v1, v[19:20]
	v_and_b32_e32 v19, 7, v1
; %bb.368:                              ;   in Loop: Header=BB374_16 Depth=1
	s_or_b32 exec_lo, exec_lo, s28
	v_lshlrev_b32_sdwa v1, v70, v33 dst_sel:DWORD dst_unused:UNUSED_PAD src0_sel:DWORD src1_sel:BYTE_3
	v_lshlrev_b32_e32 v2, 20, v19
	v_lshl_add_u32 v0, v0, 23, 0x3c000000
	v_and_b32_e32 v1, 0x80000000, v1
	v_or3_b32 v76, v2, v1, v0
.LBB374_369:                            ;   in Loop: Header=BB374_16 Depth=1
	s_or_b32 exec_lo, exec_lo, s27
.LBB374_370:                            ;   in Loop: Header=BB374_16 Depth=1
	s_or_b32 exec_lo, exec_lo, s26
.LBB374_371:                            ;   in Loop: Header=BB374_16 Depth=1
	s_or_b32 exec_lo, exec_lo, s25
	v_mov_b32_e32 v19, v34
	v_cmp_ne_u16_sdwa s5, v34, v20 src0_sel:BYTE_0 src1_sel:DWORD
	v_mov_b32_e32 v78, 0
	v_mov_b32_e32 v77, 0
	s_and_saveexec_b32 s25, s5
	s_cbranch_execz .LBB374_379
; %bb.372:                              ;   in Loop: Header=BB374_16 Depth=1
	v_cmp_ne_u16_sdwa s5, v34, v22 src0_sel:BYTE_0 src1_sel:DWORD
	v_bfrev_b32_e32 v77, 1
	s_and_saveexec_b32 s26, s5
	s_cbranch_execz .LBB374_378
; %bb.373:                              ;   in Loop: Header=BB374_16 Depth=1
	v_and_b32_e32 v1, 0x7f, v34
	v_mov_b32_e32 v77, 0x7f800001
	s_mov_b32 s27, exec_lo
	v_cmpx_ne_u32_e32 0x7f, v1
	s_cbranch_execz .LBB374_377
; %bb.374:                              ;   in Loop: Header=BB374_16 Depth=1
	v_mov_b32_e32 v36, v20
	v_lshrrev_b32_e32 v0, 3, v1
	v_mov_b32_e32 v35, v19
	s_mov_b32 s28, exec_lo
	v_cmpx_gt_u32_e32 8, v1
; %bb.375:                              ;   in Loop: Header=BB374_16 Depth=1
	v_and_b32_e32 v0, 7, v34
	v_ffbh_u32_e32 v0, v0
	v_min_u32_e32 v0, 32, v0
	v_subrev_nc_u32_e32 v1, 28, v0
	v_sub_nc_u32_e32 v0, 29, v0
	v_lshlrev_b64 v[35:36], v1, v[19:20]
; %bb.376:                              ;   in Loop: Header=BB374_16 Depth=1
	s_or_b32 exec_lo, exec_lo, s28
	v_lshlrev_b32_e32 v1, 20, v35
	v_lshlrev_b32_e32 v2, 24, v19
	v_lshl_add_u32 v0, v0, 23, 0x3c000000
	v_and_b32_e32 v1, 0x700000, v1
	v_and_b32_e32 v2, 0x80000000, v2
	v_or3_b32 v77, v1, v2, v0
.LBB374_377:                            ;   in Loop: Header=BB374_16 Depth=1
	s_or_b32 exec_lo, exec_lo, s27
.LBB374_378:                            ;   in Loop: Header=BB374_16 Depth=1
	s_or_b32 exec_lo, exec_lo, s26
.LBB374_379:                            ;   in Loop: Header=BB374_16 Depth=1
	s_or_b32 exec_lo, exec_lo, s25
	v_cmp_ne_u16_sdwa s5, v19, v20 src0_sel:BYTE_1 src1_sel:DWORD
	s_and_saveexec_b32 s25, s5
	s_cbranch_execz .LBB374_387
; %bb.380:                              ;   in Loop: Header=BB374_16 Depth=1
	v_cmp_ne_u16_sdwa s5, v19, v22 src0_sel:BYTE_1 src1_sel:DWORD
	v_bfrev_b32_e32 v78, 1
	s_and_saveexec_b32 s26, s5
	s_cbranch_execz .LBB374_386
; %bb.381:                              ;   in Loop: Header=BB374_16 Depth=1
	v_and_b32_sdwa v0, v66, v19 dst_sel:DWORD dst_unused:UNUSED_PAD src0_sel:DWORD src1_sel:BYTE_1
	v_mov_b32_e32 v78, 0x7f800001
	s_mov_b32 s27, exec_lo
	v_and_b32_e32 v1, 0x7f, v0
	v_cmpx_ne_u32_e32 0x7f, v1
	s_cbranch_execz .LBB374_385
; %bb.382:                              ;   in Loop: Header=BB374_16 Depth=1
	v_and_b32_e32 v35, 7, v0
	v_mov_b32_e32 v36, v20
	v_lshrrev_b32_e32 v0, 3, v1
	s_mov_b32 s28, exec_lo
	v_cmpx_gt_u32_e32 8, v1
; %bb.383:                              ;   in Loop: Header=BB374_16 Depth=1
	v_ffbh_u32_e32 v0, v35
	v_min_u32_e32 v0, 32, v0
	v_subrev_nc_u32_e32 v1, 28, v0
	v_sub_nc_u32_e32 v0, 29, v0
	v_lshlrev_b64 v[1:2], v1, v[35:36]
	v_and_b32_e32 v35, 7, v1
; %bb.384:                              ;   in Loop: Header=BB374_16 Depth=1
	s_or_b32 exec_lo, exec_lo, s28
	v_lshlrev_b32_e32 v1, 16, v19
	v_lshlrev_b32_e32 v2, 20, v35
	v_lshl_add_u32 v0, v0, 23, 0x3c000000
	v_and_b32_e32 v1, 0x80000000, v1
	v_or3_b32 v78, v2, v1, v0
.LBB374_385:                            ;   in Loop: Header=BB374_16 Depth=1
	s_or_b32 exec_lo, exec_lo, s27
.LBB374_386:                            ;   in Loop: Header=BB374_16 Depth=1
	s_or_b32 exec_lo, exec_lo, s26
.LBB374_387:                            ;   in Loop: Header=BB374_16 Depth=1
	s_or_b32 exec_lo, exec_lo, s25
	v_and_b32_sdwa v0, v34, v67 dst_sel:DWORD dst_unused:UNUSED_PAD src0_sel:WORD_1 src1_sel:DWORD
	v_mov_b32_e32 v79, 0
	v_mov_b32_e32 v88, 0
	s_mov_b32 s25, exec_lo
	v_cmpx_ne_u16_e32 0, v0
	s_cbranch_execz .LBB374_395
; %bb.388:                              ;   in Loop: Header=BB374_16 Depth=1
	v_bfrev_b32_e32 v88, 1
	s_mov_b32 s26, exec_lo
	v_cmpx_ne_u16_e32 0x80, v0
	s_cbranch_execz .LBB374_394
; %bb.389:                              ;   in Loop: Header=BB374_16 Depth=1
	v_bfe_u32 v1, v34, 16, 7
	v_mov_b32_e32 v88, 0x7f800001
	s_mov_b32 s27, exec_lo
	v_cmpx_ne_u32_e32 0x7f, v1
	s_cbranch_execz .LBB374_393
; %bb.390:                              ;   in Loop: Header=BB374_16 Depth=1
	v_and_b32_sdwa v19, v34, v68 dst_sel:DWORD dst_unused:UNUSED_PAD src0_sel:WORD_1 src1_sel:DWORD
	v_lshrrev_b32_e32 v0, 3, v1
	s_mov_b32 s28, exec_lo
	v_cmpx_gt_u32_e32 8, v1
; %bb.391:                              ;   in Loop: Header=BB374_16 Depth=1
	v_ffbh_u32_e32 v0, v19
	v_min_u32_e32 v0, 32, v0
	v_subrev_nc_u32_e32 v1, 28, v0
	v_sub_nc_u32_e32 v0, 29, v0
	v_lshlrev_b64 v[1:2], v1, v[19:20]
	v_and_b32_e32 v19, 7, v1
; %bb.392:                              ;   in Loop: Header=BB374_16 Depth=1
	s_or_b32 exec_lo, exec_lo, s28
	v_lshlrev_b32_sdwa v1, v70, v34 dst_sel:DWORD dst_unused:UNUSED_PAD src0_sel:DWORD src1_sel:WORD_1
	v_lshlrev_b32_e32 v2, 20, v19
	v_lshl_add_u32 v0, v0, 23, 0x3c000000
	v_and_b32_e32 v1, 0x80000000, v1
	v_or3_b32 v88, v2, v1, v0
.LBB374_393:                            ;   in Loop: Header=BB374_16 Depth=1
	s_or_b32 exec_lo, exec_lo, s27
.LBB374_394:                            ;   in Loop: Header=BB374_16 Depth=1
	s_or_b32 exec_lo, exec_lo, s26
.LBB374_395:                            ;   in Loop: Header=BB374_16 Depth=1
	s_or_b32 exec_lo, exec_lo, s25
	s_mov_b32 s25, exec_lo
	v_cmpx_lt_u64_e64 s[20:21], v[33:34]
	s_cbranch_execz .LBB374_403
; %bb.396:                              ;   in Loop: Header=BB374_16 Depth=1
	v_cmp_ne_u32_sdwa s5, v34, v22 src0_sel:BYTE_3 src1_sel:DWORD
	v_bfrev_b32_e32 v79, 1
	s_and_saveexec_b32 s26, s5
	s_cbranch_execz .LBB374_402
; %bb.397:                              ;   in Loop: Header=BB374_16 Depth=1
	v_bfe_u32 v1, v34, 24, 7
	v_mov_b32_e32 v79, 0x7f800001
	s_mov_b32 s27, exec_lo
	v_cmpx_ne_u32_e32 0x7f, v1
	s_cbranch_execz .LBB374_401
; %bb.398:                              ;   in Loop: Header=BB374_16 Depth=1
	v_and_b32_sdwa v19, v34, v68 dst_sel:DWORD dst_unused:UNUSED_PAD src0_sel:BYTE_3 src1_sel:DWORD
	v_lshrrev_b32_e32 v0, 3, v1
	s_mov_b32 s28, exec_lo
	v_cmpx_gt_u32_e32 8, v1
; %bb.399:                              ;   in Loop: Header=BB374_16 Depth=1
	v_ffbh_u32_e32 v0, v19
	v_min_u32_e32 v0, 32, v0
	v_subrev_nc_u32_e32 v1, 28, v0
	v_sub_nc_u32_e32 v0, 29, v0
	v_lshlrev_b64 v[1:2], v1, v[19:20]
	v_and_b32_e32 v19, 7, v1
; %bb.400:                              ;   in Loop: Header=BB374_16 Depth=1
	s_or_b32 exec_lo, exec_lo, s28
	v_lshlrev_b32_sdwa v1, v70, v34 dst_sel:DWORD dst_unused:UNUSED_PAD src0_sel:DWORD src1_sel:BYTE_3
	v_lshlrev_b32_e32 v2, 20, v19
	v_lshl_add_u32 v0, v0, 23, 0x3c000000
	v_and_b32_e32 v1, 0x80000000, v1
	v_or3_b32 v79, v2, v1, v0
.LBB374_401:                            ;   in Loop: Header=BB374_16 Depth=1
	s_or_b32 exec_lo, exec_lo, s27
.LBB374_402:                            ;   in Loop: Header=BB374_16 Depth=1
	s_or_b32 exec_lo, exec_lo, s26
.LBB374_403:                            ;   in Loop: Header=BB374_16 Depth=1
	s_or_b32 exec_lo, exec_lo, s25
	flat_load_dwordx2 v[33:34], v[31:32] offset:1536
	v_mov_b32_e32 v90, 0
	v_mov_b32_e32 v89, 0
	s_waitcnt vmcnt(0) lgkmcnt(0)
	v_cmp_ne_u16_sdwa s5, v33, v20 src0_sel:BYTE_0 src1_sel:DWORD
	s_and_saveexec_b32 s25, s5
	s_cbranch_execz .LBB374_411
; %bb.404:                              ;   in Loop: Header=BB374_16 Depth=1
	v_cmp_ne_u16_sdwa s5, v33, v22 src0_sel:BYTE_0 src1_sel:DWORD
	v_bfrev_b32_e32 v89, 1
	s_and_saveexec_b32 s26, s5
	s_cbranch_execz .LBB374_410
; %bb.405:                              ;   in Loop: Header=BB374_16 Depth=1
	v_and_b32_e32 v1, 0x7f, v33
	v_mov_b32_e32 v89, 0x7f800001
	s_mov_b32 s27, exec_lo
	v_cmpx_ne_u32_e32 0x7f, v1
	s_cbranch_execz .LBB374_409
; %bb.406:                              ;   in Loop: Header=BB374_16 Depth=1
	v_mov_b32_e32 v36, v34
	v_lshrrev_b32_e32 v0, 3, v1
	v_mov_b32_e32 v35, v33
	s_mov_b32 s28, exec_lo
	v_cmpx_gt_u32_e32 8, v1
; %bb.407:                              ;   in Loop: Header=BB374_16 Depth=1
	v_and_b32_e32 v0, 7, v33
	v_ffbh_u32_e32 v0, v0
	v_min_u32_e32 v0, 32, v0
	v_subrev_nc_u32_e32 v1, 28, v0
	v_sub_nc_u32_e32 v0, 29, v0
	v_lshlrev_b64 v[35:36], v1, v[33:34]
; %bb.408:                              ;   in Loop: Header=BB374_16 Depth=1
	s_or_b32 exec_lo, exec_lo, s28
	v_lshlrev_b32_e32 v1, 20, v35
	v_lshlrev_b32_e32 v2, 24, v33
	v_lshl_add_u32 v0, v0, 23, 0x3c000000
	v_and_b32_e32 v1, 0x700000, v1
	v_and_b32_e32 v2, 0x80000000, v2
	v_or3_b32 v89, v1, v2, v0
.LBB374_409:                            ;   in Loop: Header=BB374_16 Depth=1
	s_or_b32 exec_lo, exec_lo, s27
.LBB374_410:                            ;   in Loop: Header=BB374_16 Depth=1
	s_or_b32 exec_lo, exec_lo, s26
.LBB374_411:                            ;   in Loop: Header=BB374_16 Depth=1
	s_or_b32 exec_lo, exec_lo, s25
	v_cmp_ne_u16_sdwa s5, v33, v20 src0_sel:BYTE_1 src1_sel:DWORD
	s_and_saveexec_b32 s25, s5
	s_cbranch_execz .LBB374_419
; %bb.412:                              ;   in Loop: Header=BB374_16 Depth=1
	v_cmp_ne_u16_sdwa s5, v33, v22 src0_sel:BYTE_1 src1_sel:DWORD
	v_bfrev_b32_e32 v90, 1
	s_and_saveexec_b32 s26, s5
	s_cbranch_execz .LBB374_418
; %bb.413:                              ;   in Loop: Header=BB374_16 Depth=1
	v_and_b32_sdwa v0, v66, v33 dst_sel:DWORD dst_unused:UNUSED_PAD src0_sel:DWORD src1_sel:BYTE_1
	v_mov_b32_e32 v90, 0x7f800001
	s_mov_b32 s27, exec_lo
	v_and_b32_e32 v1, 0x7f, v0
	v_cmpx_ne_u32_e32 0x7f, v1
	s_cbranch_execz .LBB374_417
; %bb.414:                              ;   in Loop: Header=BB374_16 Depth=1
	v_and_b32_e32 v19, 7, v0
	v_lshrrev_b32_e32 v0, 3, v1
	s_mov_b32 s28, exec_lo
	v_cmpx_gt_u32_e32 8, v1
; %bb.415:                              ;   in Loop: Header=BB374_16 Depth=1
	v_ffbh_u32_e32 v0, v19
	v_min_u32_e32 v0, 32, v0
	v_subrev_nc_u32_e32 v1, 28, v0
	v_sub_nc_u32_e32 v0, 29, v0
	v_lshlrev_b64 v[1:2], v1, v[19:20]
	v_and_b32_e32 v19, 7, v1
; %bb.416:                              ;   in Loop: Header=BB374_16 Depth=1
	s_or_b32 exec_lo, exec_lo, s28
	v_lshlrev_b32_e32 v1, 16, v33
	v_lshlrev_b32_e32 v2, 20, v19
	v_lshl_add_u32 v0, v0, 23, 0x3c000000
	v_and_b32_e32 v1, 0x80000000, v1
	v_or3_b32 v90, v2, v1, v0
.LBB374_417:                            ;   in Loop: Header=BB374_16 Depth=1
	s_or_b32 exec_lo, exec_lo, s27
.LBB374_418:                            ;   in Loop: Header=BB374_16 Depth=1
	s_or_b32 exec_lo, exec_lo, s26
.LBB374_419:                            ;   in Loop: Header=BB374_16 Depth=1
	s_or_b32 exec_lo, exec_lo, s25
	v_and_b32_sdwa v0, v33, v67 dst_sel:DWORD dst_unused:UNUSED_PAD src0_sel:WORD_1 src1_sel:DWORD
	v_mov_b32_e32 v92, 0
	v_mov_b32_e32 v91, 0
	s_mov_b32 s25, exec_lo
	v_cmpx_ne_u16_e32 0, v0
	s_cbranch_execz .LBB374_427
; %bb.420:                              ;   in Loop: Header=BB374_16 Depth=1
	v_bfrev_b32_e32 v91, 1
	s_mov_b32 s26, exec_lo
	v_cmpx_ne_u16_e32 0x80, v0
	s_cbranch_execz .LBB374_426
; %bb.421:                              ;   in Loop: Header=BB374_16 Depth=1
	v_bfe_u32 v1, v33, 16, 7
	v_mov_b32_e32 v91, 0x7f800001
	s_mov_b32 s27, exec_lo
	v_cmpx_ne_u32_e32 0x7f, v1
	s_cbranch_execz .LBB374_425
; %bb.422:                              ;   in Loop: Header=BB374_16 Depth=1
	v_and_b32_sdwa v19, v33, v68 dst_sel:DWORD dst_unused:UNUSED_PAD src0_sel:WORD_1 src1_sel:DWORD
	v_lshrrev_b32_e32 v0, 3, v1
	s_mov_b32 s28, exec_lo
	v_cmpx_gt_u32_e32 8, v1
; %bb.423:                              ;   in Loop: Header=BB374_16 Depth=1
	v_ffbh_u32_e32 v0, v19
	v_min_u32_e32 v0, 32, v0
	v_subrev_nc_u32_e32 v1, 28, v0
	v_sub_nc_u32_e32 v0, 29, v0
	v_lshlrev_b64 v[1:2], v1, v[19:20]
	v_and_b32_e32 v19, 7, v1
; %bb.424:                              ;   in Loop: Header=BB374_16 Depth=1
	s_or_b32 exec_lo, exec_lo, s28
	v_lshlrev_b32_sdwa v1, v70, v33 dst_sel:DWORD dst_unused:UNUSED_PAD src0_sel:DWORD src1_sel:WORD_1
	v_lshlrev_b32_e32 v2, 20, v19
	v_lshl_add_u32 v0, v0, 23, 0x3c000000
	v_and_b32_e32 v1, 0x80000000, v1
	v_or3_b32 v91, v2, v1, v0
.LBB374_425:                            ;   in Loop: Header=BB374_16 Depth=1
	s_or_b32 exec_lo, exec_lo, s27
.LBB374_426:                            ;   in Loop: Header=BB374_16 Depth=1
	s_or_b32 exec_lo, exec_lo, s26
.LBB374_427:                            ;   in Loop: Header=BB374_16 Depth=1
	s_or_b32 exec_lo, exec_lo, s25
	s_mov_b32 s25, exec_lo
	v_cmpx_lt_u32_e32 0xffffff, v33
	s_cbranch_execz .LBB374_435
; %bb.428:                              ;   in Loop: Header=BB374_16 Depth=1
	v_cmp_ne_u32_sdwa s5, v33, v22 src0_sel:BYTE_3 src1_sel:DWORD
	v_bfrev_b32_e32 v92, 1
	s_and_saveexec_b32 s26, s5
	s_cbranch_execz .LBB374_434
; %bb.429:                              ;   in Loop: Header=BB374_16 Depth=1
	v_bfe_u32 v1, v33, 24, 7
	v_mov_b32_e32 v92, 0x7f800001
	s_mov_b32 s27, exec_lo
	v_cmpx_ne_u32_e32 0x7f, v1
	s_cbranch_execz .LBB374_433
; %bb.430:                              ;   in Loop: Header=BB374_16 Depth=1
	v_and_b32_sdwa v19, v33, v68 dst_sel:DWORD dst_unused:UNUSED_PAD src0_sel:BYTE_3 src1_sel:DWORD
	v_lshrrev_b32_e32 v0, 3, v1
	s_mov_b32 s28, exec_lo
	v_cmpx_gt_u32_e32 8, v1
; %bb.431:                              ;   in Loop: Header=BB374_16 Depth=1
	v_ffbh_u32_e32 v0, v19
	v_min_u32_e32 v0, 32, v0
	v_subrev_nc_u32_e32 v1, 28, v0
	v_sub_nc_u32_e32 v0, 29, v0
	v_lshlrev_b64 v[1:2], v1, v[19:20]
	v_and_b32_e32 v19, 7, v1
; %bb.432:                              ;   in Loop: Header=BB374_16 Depth=1
	s_or_b32 exec_lo, exec_lo, s28
	v_lshlrev_b32_sdwa v1, v70, v33 dst_sel:DWORD dst_unused:UNUSED_PAD src0_sel:DWORD src1_sel:BYTE_3
	v_lshlrev_b32_e32 v2, 20, v19
	v_lshl_add_u32 v0, v0, 23, 0x3c000000
	v_and_b32_e32 v1, 0x80000000, v1
	v_or3_b32 v92, v2, v1, v0
.LBB374_433:                            ;   in Loop: Header=BB374_16 Depth=1
	s_or_b32 exec_lo, exec_lo, s27
.LBB374_434:                            ;   in Loop: Header=BB374_16 Depth=1
	s_or_b32 exec_lo, exec_lo, s26
.LBB374_435:                            ;   in Loop: Header=BB374_16 Depth=1
	s_or_b32 exec_lo, exec_lo, s25
	v_mov_b32_e32 v19, v34
	v_cmp_ne_u16_sdwa s5, v34, v20 src0_sel:BYTE_0 src1_sel:DWORD
	v_mov_b32_e32 v94, 0
	v_mov_b32_e32 v93, 0
	s_and_saveexec_b32 s25, s5
	s_cbranch_execz .LBB374_443
; %bb.436:                              ;   in Loop: Header=BB374_16 Depth=1
	v_cmp_ne_u16_sdwa s5, v34, v22 src0_sel:BYTE_0 src1_sel:DWORD
	v_bfrev_b32_e32 v93, 1
	s_and_saveexec_b32 s26, s5
	s_cbranch_execz .LBB374_442
; %bb.437:                              ;   in Loop: Header=BB374_16 Depth=1
	v_and_b32_e32 v1, 0x7f, v34
	v_mov_b32_e32 v93, 0x7f800001
	s_mov_b32 s27, exec_lo
	v_cmpx_ne_u32_e32 0x7f, v1
	s_cbranch_execz .LBB374_441
; %bb.438:                              ;   in Loop: Header=BB374_16 Depth=1
	v_mov_b32_e32 v36, v20
	v_lshrrev_b32_e32 v0, 3, v1
	v_mov_b32_e32 v35, v19
	s_mov_b32 s28, exec_lo
	v_cmpx_gt_u32_e32 8, v1
; %bb.439:                              ;   in Loop: Header=BB374_16 Depth=1
	v_and_b32_e32 v0, 7, v34
	v_ffbh_u32_e32 v0, v0
	v_min_u32_e32 v0, 32, v0
	v_subrev_nc_u32_e32 v1, 28, v0
	v_sub_nc_u32_e32 v0, 29, v0
	v_lshlrev_b64 v[35:36], v1, v[19:20]
; %bb.440:                              ;   in Loop: Header=BB374_16 Depth=1
	s_or_b32 exec_lo, exec_lo, s28
	v_lshlrev_b32_e32 v1, 20, v35
	v_lshlrev_b32_e32 v2, 24, v19
	v_lshl_add_u32 v0, v0, 23, 0x3c000000
	v_and_b32_e32 v1, 0x700000, v1
	v_and_b32_e32 v2, 0x80000000, v2
	v_or3_b32 v93, v1, v2, v0
.LBB374_441:                            ;   in Loop: Header=BB374_16 Depth=1
	s_or_b32 exec_lo, exec_lo, s27
.LBB374_442:                            ;   in Loop: Header=BB374_16 Depth=1
	s_or_b32 exec_lo, exec_lo, s26
.LBB374_443:                            ;   in Loop: Header=BB374_16 Depth=1
	s_or_b32 exec_lo, exec_lo, s25
	v_cmp_ne_u16_sdwa s5, v19, v20 src0_sel:BYTE_1 src1_sel:DWORD
	s_and_saveexec_b32 s25, s5
	s_cbranch_execz .LBB374_451
; %bb.444:                              ;   in Loop: Header=BB374_16 Depth=1
	v_cmp_ne_u16_sdwa s5, v19, v22 src0_sel:BYTE_1 src1_sel:DWORD
	v_bfrev_b32_e32 v94, 1
	s_and_saveexec_b32 s26, s5
	s_cbranch_execz .LBB374_450
; %bb.445:                              ;   in Loop: Header=BB374_16 Depth=1
	v_and_b32_sdwa v0, v66, v19 dst_sel:DWORD dst_unused:UNUSED_PAD src0_sel:DWORD src1_sel:BYTE_1
	v_mov_b32_e32 v94, 0x7f800001
	s_mov_b32 s27, exec_lo
	v_and_b32_e32 v1, 0x7f, v0
	v_cmpx_ne_u32_e32 0x7f, v1
	s_cbranch_execz .LBB374_449
; %bb.446:                              ;   in Loop: Header=BB374_16 Depth=1
	v_and_b32_e32 v35, 7, v0
	v_mov_b32_e32 v36, v20
	v_lshrrev_b32_e32 v0, 3, v1
	s_mov_b32 s28, exec_lo
	v_cmpx_gt_u32_e32 8, v1
; %bb.447:                              ;   in Loop: Header=BB374_16 Depth=1
	v_ffbh_u32_e32 v0, v35
	v_min_u32_e32 v0, 32, v0
	v_subrev_nc_u32_e32 v1, 28, v0
	v_sub_nc_u32_e32 v0, 29, v0
	v_lshlrev_b64 v[1:2], v1, v[35:36]
	v_and_b32_e32 v35, 7, v1
; %bb.448:                              ;   in Loop: Header=BB374_16 Depth=1
	s_or_b32 exec_lo, exec_lo, s28
	v_lshlrev_b32_e32 v1, 16, v19
	v_lshlrev_b32_e32 v2, 20, v35
	v_lshl_add_u32 v0, v0, 23, 0x3c000000
	v_and_b32_e32 v1, 0x80000000, v1
	v_or3_b32 v94, v2, v1, v0
.LBB374_449:                            ;   in Loop: Header=BB374_16 Depth=1
	s_or_b32 exec_lo, exec_lo, s27
.LBB374_450:                            ;   in Loop: Header=BB374_16 Depth=1
	s_or_b32 exec_lo, exec_lo, s26
.LBB374_451:                            ;   in Loop: Header=BB374_16 Depth=1
	s_or_b32 exec_lo, exec_lo, s25
	v_and_b32_sdwa v0, v34, v67 dst_sel:DWORD dst_unused:UNUSED_PAD src0_sel:WORD_1 src1_sel:DWORD
	v_mov_b32_e32 v95, 0
	v_mov_b32_e32 v104, 0
	s_mov_b32 s25, exec_lo
	v_cmpx_ne_u16_e32 0, v0
	s_cbranch_execz .LBB374_459
; %bb.452:                              ;   in Loop: Header=BB374_16 Depth=1
	v_bfrev_b32_e32 v104, 1
	s_mov_b32 s26, exec_lo
	v_cmpx_ne_u16_e32 0x80, v0
	s_cbranch_execz .LBB374_458
; %bb.453:                              ;   in Loop: Header=BB374_16 Depth=1
	v_bfe_u32 v1, v34, 16, 7
	v_mov_b32_e32 v104, 0x7f800001
	s_mov_b32 s27, exec_lo
	v_cmpx_ne_u32_e32 0x7f, v1
	s_cbranch_execz .LBB374_457
; %bb.454:                              ;   in Loop: Header=BB374_16 Depth=1
	v_and_b32_sdwa v19, v34, v68 dst_sel:DWORD dst_unused:UNUSED_PAD src0_sel:WORD_1 src1_sel:DWORD
	v_mov_b32_e32 v36, v20
	v_lshrrev_b32_e32 v0, 3, v1
	s_mov_b32 s28, exec_lo
	v_mov_b32_e32 v35, v19
	v_cmpx_gt_u32_e32 8, v1
; %bb.455:                              ;   in Loop: Header=BB374_16 Depth=1
	v_ffbh_u32_e32 v0, v19
	v_min_u32_e32 v0, 32, v0
	v_subrev_nc_u32_e32 v1, 28, v0
	v_sub_nc_u32_e32 v0, 29, v0
	v_lshlrev_b64 v[1:2], v1, v[19:20]
	v_and_b32_e32 v35, 7, v1
; %bb.456:                              ;   in Loop: Header=BB374_16 Depth=1
	s_or_b32 exec_lo, exec_lo, s28
	v_lshlrev_b32_sdwa v1, v70, v34 dst_sel:DWORD dst_unused:UNUSED_PAD src0_sel:DWORD src1_sel:WORD_1
	v_lshlrev_b32_e32 v2, 20, v35
	v_lshl_add_u32 v0, v0, 23, 0x3c000000
	v_and_b32_e32 v1, 0x80000000, v1
	v_or3_b32 v104, v2, v1, v0
.LBB374_457:                            ;   in Loop: Header=BB374_16 Depth=1
	s_or_b32 exec_lo, exec_lo, s27
.LBB374_458:                            ;   in Loop: Header=BB374_16 Depth=1
	s_or_b32 exec_lo, exec_lo, s26
.LBB374_459:                            ;   in Loop: Header=BB374_16 Depth=1
	s_or_b32 exec_lo, exec_lo, s25
	s_mov_b32 s25, exec_lo
	v_cmpx_lt_u64_e64 s[20:21], v[33:34]
	s_cbranch_execz .LBB374_467
; %bb.460:                              ;   in Loop: Header=BB374_16 Depth=1
	v_cmp_ne_u32_sdwa s5, v34, v22 src0_sel:BYTE_3 src1_sel:DWORD
	v_bfrev_b32_e32 v95, 1
	s_and_saveexec_b32 s26, s5
	s_cbranch_execz .LBB374_466
; %bb.461:                              ;   in Loop: Header=BB374_16 Depth=1
	v_bfe_u32 v1, v34, 24, 7
	v_mov_b32_e32 v95, 0x7f800001
	s_mov_b32 s27, exec_lo
	v_cmpx_ne_u32_e32 0x7f, v1
	s_cbranch_execz .LBB374_465
; %bb.462:                              ;   in Loop: Header=BB374_16 Depth=1
	v_and_b32_sdwa v19, v34, v68 dst_sel:DWORD dst_unused:UNUSED_PAD src0_sel:BYTE_3 src1_sel:DWORD
	v_mov_b32_e32 v36, v20
	v_lshrrev_b32_e32 v0, 3, v1
	s_mov_b32 s28, exec_lo
	v_mov_b32_e32 v35, v19
	v_cmpx_gt_u32_e32 8, v1
; %bb.463:                              ;   in Loop: Header=BB374_16 Depth=1
	v_ffbh_u32_e32 v0, v19
	v_min_u32_e32 v0, 32, v0
	v_subrev_nc_u32_e32 v1, 28, v0
	v_sub_nc_u32_e32 v0, 29, v0
	v_lshlrev_b64 v[1:2], v1, v[19:20]
	v_and_b32_e32 v35, 7, v1
; %bb.464:                              ;   in Loop: Header=BB374_16 Depth=1
	s_or_b32 exec_lo, exec_lo, s28
	v_lshlrev_b32_sdwa v1, v70, v34 dst_sel:DWORD dst_unused:UNUSED_PAD src0_sel:DWORD src1_sel:BYTE_3
	v_lshlrev_b32_e32 v2, 20, v35
	v_lshl_add_u32 v0, v0, 23, 0x3c000000
	v_and_b32_e32 v1, 0x80000000, v1
	v_or3_b32 v95, v2, v1, v0
.LBB374_465:                            ;   in Loop: Header=BB374_16 Depth=1
	s_or_b32 exec_lo, exec_lo, s27
.LBB374_466:                            ;   in Loop: Header=BB374_16 Depth=1
	s_or_b32 exec_lo, exec_lo, s26
.LBB374_467:                            ;   in Loop: Header=BB374_16 Depth=1
	s_or_b32 exec_lo, exec_lo, s25
	flat_load_dwordx2 v[33:34], v[31:32] offset:1544
	v_mov_b32_e32 v106, 0
	v_mov_b32_e32 v105, 0
	s_waitcnt vmcnt(0) lgkmcnt(0)
	v_cmp_ne_u16_sdwa s5, v33, v20 src0_sel:BYTE_0 src1_sel:DWORD
	s_and_saveexec_b32 s25, s5
	s_cbranch_execz .LBB374_475
; %bb.468:                              ;   in Loop: Header=BB374_16 Depth=1
	v_cmp_ne_u16_sdwa s5, v33, v22 src0_sel:BYTE_0 src1_sel:DWORD
	v_bfrev_b32_e32 v105, 1
	s_and_saveexec_b32 s26, s5
	s_cbranch_execz .LBB374_474
; %bb.469:                              ;   in Loop: Header=BB374_16 Depth=1
	v_and_b32_e32 v1, 0x7f, v33
	v_mov_b32_e32 v105, 0x7f800001
	s_mov_b32 s27, exec_lo
	v_cmpx_ne_u32_e32 0x7f, v1
	s_cbranch_execz .LBB374_473
; %bb.470:                              ;   in Loop: Header=BB374_16 Depth=1
	v_mov_b32_e32 v36, v34
	v_lshrrev_b32_e32 v0, 3, v1
	v_mov_b32_e32 v35, v33
	s_mov_b32 s28, exec_lo
	v_cmpx_gt_u32_e32 8, v1
; %bb.471:                              ;   in Loop: Header=BB374_16 Depth=1
	v_and_b32_e32 v0, 7, v33
	v_ffbh_u32_e32 v0, v0
	v_min_u32_e32 v0, 32, v0
	v_subrev_nc_u32_e32 v1, 28, v0
	v_sub_nc_u32_e32 v0, 29, v0
	v_lshlrev_b64 v[35:36], v1, v[33:34]
; %bb.472:                              ;   in Loop: Header=BB374_16 Depth=1
	s_or_b32 exec_lo, exec_lo, s28
	v_lshlrev_b32_e32 v1, 20, v35
	v_lshlrev_b32_e32 v2, 24, v33
	v_lshl_add_u32 v0, v0, 23, 0x3c000000
	v_and_b32_e32 v1, 0x700000, v1
	v_and_b32_e32 v2, 0x80000000, v2
	v_or3_b32 v105, v1, v2, v0
.LBB374_473:                            ;   in Loop: Header=BB374_16 Depth=1
	s_or_b32 exec_lo, exec_lo, s27
.LBB374_474:                            ;   in Loop: Header=BB374_16 Depth=1
	s_or_b32 exec_lo, exec_lo, s26
.LBB374_475:                            ;   in Loop: Header=BB374_16 Depth=1
	s_or_b32 exec_lo, exec_lo, s25
	v_cmp_ne_u16_sdwa s5, v33, v20 src0_sel:BYTE_1 src1_sel:DWORD
	s_and_saveexec_b32 s25, s5
	s_cbranch_execz .LBB374_483
; %bb.476:                              ;   in Loop: Header=BB374_16 Depth=1
	v_cmp_ne_u16_sdwa s5, v33, v22 src0_sel:BYTE_1 src1_sel:DWORD
	v_bfrev_b32_e32 v106, 1
	s_and_saveexec_b32 s26, s5
	s_cbranch_execz .LBB374_482
; %bb.477:                              ;   in Loop: Header=BB374_16 Depth=1
	v_and_b32_sdwa v0, v66, v33 dst_sel:DWORD dst_unused:UNUSED_PAD src0_sel:DWORD src1_sel:BYTE_1
	v_mov_b32_e32 v106, 0x7f800001
	s_mov_b32 s27, exec_lo
	v_and_b32_e32 v1, 0x7f, v0
	v_cmpx_ne_u32_e32 0x7f, v1
	s_cbranch_execz .LBB374_481
; %bb.478:                              ;   in Loop: Header=BB374_16 Depth=1
	v_and_b32_e32 v19, 7, v0
	v_mov_b32_e32 v36, v20
	v_lshrrev_b32_e32 v0, 3, v1
	s_mov_b32 s28, exec_lo
	v_mov_b32_e32 v35, v19
	v_cmpx_gt_u32_e32 8, v1
; %bb.479:                              ;   in Loop: Header=BB374_16 Depth=1
	v_ffbh_u32_e32 v0, v19
	v_min_u32_e32 v0, 32, v0
	v_subrev_nc_u32_e32 v1, 28, v0
	v_sub_nc_u32_e32 v0, 29, v0
	v_lshlrev_b64 v[1:2], v1, v[19:20]
	v_and_b32_e32 v35, 7, v1
; %bb.480:                              ;   in Loop: Header=BB374_16 Depth=1
	s_or_b32 exec_lo, exec_lo, s28
	v_lshlrev_b32_e32 v1, 16, v33
	v_lshlrev_b32_e32 v2, 20, v35
	v_lshl_add_u32 v0, v0, 23, 0x3c000000
	v_and_b32_e32 v1, 0x80000000, v1
	v_or3_b32 v106, v2, v1, v0
.LBB374_481:                            ;   in Loop: Header=BB374_16 Depth=1
	s_or_b32 exec_lo, exec_lo, s27
.LBB374_482:                            ;   in Loop: Header=BB374_16 Depth=1
	s_or_b32 exec_lo, exec_lo, s26
.LBB374_483:                            ;   in Loop: Header=BB374_16 Depth=1
	s_or_b32 exec_lo, exec_lo, s25
	v_and_b32_sdwa v0, v33, v67 dst_sel:DWORD dst_unused:UNUSED_PAD src0_sel:WORD_1 src1_sel:DWORD
	v_mov_b32_e32 v108, 0
	v_mov_b32_e32 v107, 0
	s_mov_b32 s25, exec_lo
	v_cmpx_ne_u16_e32 0, v0
	s_cbranch_execz .LBB374_491
; %bb.484:                              ;   in Loop: Header=BB374_16 Depth=1
	v_bfrev_b32_e32 v107, 1
	s_mov_b32 s26, exec_lo
	v_cmpx_ne_u16_e32 0x80, v0
	s_cbranch_execz .LBB374_490
; %bb.485:                              ;   in Loop: Header=BB374_16 Depth=1
	v_bfe_u32 v1, v33, 16, 7
	v_mov_b32_e32 v107, 0x7f800001
	s_mov_b32 s27, exec_lo
	v_cmpx_ne_u32_e32 0x7f, v1
	s_cbranch_execz .LBB374_489
; %bb.486:                              ;   in Loop: Header=BB374_16 Depth=1
	v_and_b32_sdwa v19, v33, v68 dst_sel:DWORD dst_unused:UNUSED_PAD src0_sel:WORD_1 src1_sel:DWORD
	v_mov_b32_e32 v36, v20
	v_lshrrev_b32_e32 v0, 3, v1
	s_mov_b32 s28, exec_lo
	v_mov_b32_e32 v35, v19
	v_cmpx_gt_u32_e32 8, v1
; %bb.487:                              ;   in Loop: Header=BB374_16 Depth=1
	v_ffbh_u32_e32 v0, v19
	v_min_u32_e32 v0, 32, v0
	v_subrev_nc_u32_e32 v1, 28, v0
	v_sub_nc_u32_e32 v0, 29, v0
	v_lshlrev_b64 v[1:2], v1, v[19:20]
	v_and_b32_e32 v35, 7, v1
; %bb.488:                              ;   in Loop: Header=BB374_16 Depth=1
	s_or_b32 exec_lo, exec_lo, s28
	v_lshlrev_b32_sdwa v1, v70, v33 dst_sel:DWORD dst_unused:UNUSED_PAD src0_sel:DWORD src1_sel:WORD_1
	v_lshlrev_b32_e32 v2, 20, v35
	v_lshl_add_u32 v0, v0, 23, 0x3c000000
	v_and_b32_e32 v1, 0x80000000, v1
	v_or3_b32 v107, v2, v1, v0
.LBB374_489:                            ;   in Loop: Header=BB374_16 Depth=1
	s_or_b32 exec_lo, exec_lo, s27
.LBB374_490:                            ;   in Loop: Header=BB374_16 Depth=1
	s_or_b32 exec_lo, exec_lo, s26
.LBB374_491:                            ;   in Loop: Header=BB374_16 Depth=1
	s_or_b32 exec_lo, exec_lo, s25
	s_mov_b32 s25, exec_lo
	v_cmpx_lt_u32_e32 0xffffff, v33
	s_cbranch_execz .LBB374_499
; %bb.492:                              ;   in Loop: Header=BB374_16 Depth=1
	v_cmp_ne_u32_sdwa s5, v33, v22 src0_sel:BYTE_3 src1_sel:DWORD
	v_bfrev_b32_e32 v108, 1
	s_and_saveexec_b32 s26, s5
	s_cbranch_execz .LBB374_498
; %bb.493:                              ;   in Loop: Header=BB374_16 Depth=1
	v_bfe_u32 v1, v33, 24, 7
	v_mov_b32_e32 v108, 0x7f800001
	s_mov_b32 s27, exec_lo
	v_cmpx_ne_u32_e32 0x7f, v1
	s_cbranch_execz .LBB374_497
; %bb.494:                              ;   in Loop: Header=BB374_16 Depth=1
	v_and_b32_sdwa v19, v33, v68 dst_sel:DWORD dst_unused:UNUSED_PAD src0_sel:BYTE_3 src1_sel:DWORD
	v_mov_b32_e32 v36, v20
	v_lshrrev_b32_e32 v0, 3, v1
	s_mov_b32 s28, exec_lo
	v_mov_b32_e32 v35, v19
	v_cmpx_gt_u32_e32 8, v1
; %bb.495:                              ;   in Loop: Header=BB374_16 Depth=1
	v_ffbh_u32_e32 v0, v19
	v_min_u32_e32 v0, 32, v0
	v_subrev_nc_u32_e32 v1, 28, v0
	v_sub_nc_u32_e32 v0, 29, v0
	v_lshlrev_b64 v[1:2], v1, v[19:20]
	v_and_b32_e32 v35, 7, v1
; %bb.496:                              ;   in Loop: Header=BB374_16 Depth=1
	s_or_b32 exec_lo, exec_lo, s28
	v_lshlrev_b32_sdwa v1, v70, v33 dst_sel:DWORD dst_unused:UNUSED_PAD src0_sel:DWORD src1_sel:BYTE_3
	v_lshlrev_b32_e32 v2, 20, v35
	v_lshl_add_u32 v0, v0, 23, 0x3c000000
	v_and_b32_e32 v1, 0x80000000, v1
	v_or3_b32 v108, v2, v1, v0
.LBB374_497:                            ;   in Loop: Header=BB374_16 Depth=1
	s_or_b32 exec_lo, exec_lo, s27
.LBB374_498:                            ;   in Loop: Header=BB374_16 Depth=1
	s_or_b32 exec_lo, exec_lo, s26
.LBB374_499:                            ;   in Loop: Header=BB374_16 Depth=1
	s_or_b32 exec_lo, exec_lo, s25
	v_mov_b32_e32 v19, v34
	v_cmp_ne_u16_sdwa s5, v34, v20 src0_sel:BYTE_0 src1_sel:DWORD
	v_mov_b32_e32 v110, 0
	v_mov_b32_e32 v109, 0
	s_and_saveexec_b32 s25, s5
	s_cbranch_execz .LBB374_507
; %bb.500:                              ;   in Loop: Header=BB374_16 Depth=1
	v_cmp_ne_u16_sdwa s5, v34, v22 src0_sel:BYTE_0 src1_sel:DWORD
	v_bfrev_b32_e32 v109, 1
	s_and_saveexec_b32 s26, s5
	s_cbranch_execz .LBB374_506
; %bb.501:                              ;   in Loop: Header=BB374_16 Depth=1
	v_and_b32_e32 v1, 0x7f, v34
	v_mov_b32_e32 v109, 0x7f800001
	s_mov_b32 s27, exec_lo
	v_cmpx_ne_u32_e32 0x7f, v1
	s_cbranch_execz .LBB374_505
; %bb.502:                              ;   in Loop: Header=BB374_16 Depth=1
	v_mov_b32_e32 v36, v20
	v_lshrrev_b32_e32 v0, 3, v1
	v_mov_b32_e32 v35, v19
	s_mov_b32 s28, exec_lo
	v_cmpx_gt_u32_e32 8, v1
; %bb.503:                              ;   in Loop: Header=BB374_16 Depth=1
	v_and_b32_e32 v0, 7, v34
	v_ffbh_u32_e32 v0, v0
	v_min_u32_e32 v0, 32, v0
	v_subrev_nc_u32_e32 v1, 28, v0
	v_sub_nc_u32_e32 v0, 29, v0
	v_lshlrev_b64 v[35:36], v1, v[19:20]
; %bb.504:                              ;   in Loop: Header=BB374_16 Depth=1
	s_or_b32 exec_lo, exec_lo, s28
	v_lshlrev_b32_e32 v1, 20, v35
	v_lshlrev_b32_e32 v2, 24, v19
	v_lshl_add_u32 v0, v0, 23, 0x3c000000
	v_and_b32_e32 v1, 0x700000, v1
	v_and_b32_e32 v2, 0x80000000, v2
	v_or3_b32 v109, v1, v2, v0
.LBB374_505:                            ;   in Loop: Header=BB374_16 Depth=1
	s_or_b32 exec_lo, exec_lo, s27
.LBB374_506:                            ;   in Loop: Header=BB374_16 Depth=1
	s_or_b32 exec_lo, exec_lo, s26
.LBB374_507:                            ;   in Loop: Header=BB374_16 Depth=1
	s_or_b32 exec_lo, exec_lo, s25
	v_cmp_ne_u16_sdwa s5, v19, v20 src0_sel:BYTE_1 src1_sel:DWORD
	s_and_saveexec_b32 s25, s5
	s_cbranch_execz .LBB374_515
; %bb.508:                              ;   in Loop: Header=BB374_16 Depth=1
	v_cmp_ne_u16_sdwa s5, v19, v22 src0_sel:BYTE_1 src1_sel:DWORD
	v_bfrev_b32_e32 v110, 1
	s_and_saveexec_b32 s26, s5
	s_cbranch_execz .LBB374_514
; %bb.509:                              ;   in Loop: Header=BB374_16 Depth=1
	v_and_b32_sdwa v0, v66, v19 dst_sel:DWORD dst_unused:UNUSED_PAD src0_sel:DWORD src1_sel:BYTE_1
	v_mov_b32_e32 v110, 0x7f800001
	s_mov_b32 s27, exec_lo
	v_and_b32_e32 v1, 0x7f, v0
	v_cmpx_ne_u32_e32 0x7f, v1
	s_cbranch_execz .LBB374_513
; %bb.510:                              ;   in Loop: Header=BB374_16 Depth=1
	v_and_b32_e32 v35, 7, v0
	v_mov_b32_e32 v36, v20
	v_lshrrev_b32_e32 v0, 3, v1
	s_mov_b32 s28, exec_lo
	v_cmpx_gt_u32_e32 8, v1
; %bb.511:                              ;   in Loop: Header=BB374_16 Depth=1
	v_ffbh_u32_e32 v0, v35
	v_min_u32_e32 v0, 32, v0
	v_subrev_nc_u32_e32 v1, 28, v0
	v_sub_nc_u32_e32 v0, 29, v0
	v_lshlrev_b64 v[1:2], v1, v[35:36]
	v_and_b32_e32 v35, 7, v1
; %bb.512:                              ;   in Loop: Header=BB374_16 Depth=1
	s_or_b32 exec_lo, exec_lo, s28
	v_lshlrev_b32_e32 v1, 16, v19
	v_lshlrev_b32_e32 v2, 20, v35
	v_lshl_add_u32 v0, v0, 23, 0x3c000000
	v_and_b32_e32 v1, 0x80000000, v1
	v_or3_b32 v110, v2, v1, v0
.LBB374_513:                            ;   in Loop: Header=BB374_16 Depth=1
	s_or_b32 exec_lo, exec_lo, s27
.LBB374_514:                            ;   in Loop: Header=BB374_16 Depth=1
	s_or_b32 exec_lo, exec_lo, s26
.LBB374_515:                            ;   in Loop: Header=BB374_16 Depth=1
	s_or_b32 exec_lo, exec_lo, s25
	v_and_b32_sdwa v0, v34, v67 dst_sel:DWORD dst_unused:UNUSED_PAD src0_sel:WORD_1 src1_sel:DWORD
	v_mov_b32_e32 v111, 0
	v_mov_b32_e32 v120, 0
	s_mov_b32 s25, exec_lo
	v_cmpx_ne_u16_e32 0, v0
	s_cbranch_execz .LBB374_523
; %bb.516:                              ;   in Loop: Header=BB374_16 Depth=1
	v_bfrev_b32_e32 v120, 1
	s_mov_b32 s26, exec_lo
	v_cmpx_ne_u16_e32 0x80, v0
	s_cbranch_execz .LBB374_522
; %bb.517:                              ;   in Loop: Header=BB374_16 Depth=1
	v_bfe_u32 v1, v34, 16, 7
	v_mov_b32_e32 v120, 0x7f800001
	s_mov_b32 s27, exec_lo
	v_cmpx_ne_u32_e32 0x7f, v1
	s_cbranch_execz .LBB374_521
; %bb.518:                              ;   in Loop: Header=BB374_16 Depth=1
	v_and_b32_sdwa v19, v34, v68 dst_sel:DWORD dst_unused:UNUSED_PAD src0_sel:WORD_1 src1_sel:DWORD
	v_mov_b32_e32 v36, v20
	v_lshrrev_b32_e32 v0, 3, v1
	s_mov_b32 s28, exec_lo
	v_mov_b32_e32 v35, v19
	v_cmpx_gt_u32_e32 8, v1
; %bb.519:                              ;   in Loop: Header=BB374_16 Depth=1
	v_ffbh_u32_e32 v0, v19
	v_min_u32_e32 v0, 32, v0
	v_subrev_nc_u32_e32 v1, 28, v0
	v_sub_nc_u32_e32 v0, 29, v0
	v_lshlrev_b64 v[1:2], v1, v[19:20]
	v_and_b32_e32 v35, 7, v1
; %bb.520:                              ;   in Loop: Header=BB374_16 Depth=1
	s_or_b32 exec_lo, exec_lo, s28
	v_lshlrev_b32_sdwa v1, v70, v34 dst_sel:DWORD dst_unused:UNUSED_PAD src0_sel:DWORD src1_sel:WORD_1
	v_lshlrev_b32_e32 v2, 20, v35
	v_lshl_add_u32 v0, v0, 23, 0x3c000000
	v_and_b32_e32 v1, 0x80000000, v1
	v_or3_b32 v120, v2, v1, v0
.LBB374_521:                            ;   in Loop: Header=BB374_16 Depth=1
	s_or_b32 exec_lo, exec_lo, s27
.LBB374_522:                            ;   in Loop: Header=BB374_16 Depth=1
	s_or_b32 exec_lo, exec_lo, s26
.LBB374_523:                            ;   in Loop: Header=BB374_16 Depth=1
	s_or_b32 exec_lo, exec_lo, s25
	s_mov_b32 s25, exec_lo
	v_cmpx_lt_u64_e64 s[20:21], v[33:34]
	s_cbranch_execz .LBB374_531
; %bb.524:                              ;   in Loop: Header=BB374_16 Depth=1
	v_cmp_ne_u32_sdwa s5, v34, v22 src0_sel:BYTE_3 src1_sel:DWORD
	v_bfrev_b32_e32 v111, 1
	s_and_saveexec_b32 s26, s5
	s_cbranch_execz .LBB374_530
; %bb.525:                              ;   in Loop: Header=BB374_16 Depth=1
	v_bfe_u32 v1, v34, 24, 7
	v_mov_b32_e32 v111, 0x7f800001
	s_mov_b32 s27, exec_lo
	v_cmpx_ne_u32_e32 0x7f, v1
	s_cbranch_execz .LBB374_529
; %bb.526:                              ;   in Loop: Header=BB374_16 Depth=1
	v_and_b32_sdwa v19, v34, v68 dst_sel:DWORD dst_unused:UNUSED_PAD src0_sel:BYTE_3 src1_sel:DWORD
	v_mov_b32_e32 v36, v20
	v_lshrrev_b32_e32 v0, 3, v1
	s_mov_b32 s28, exec_lo
	v_mov_b32_e32 v35, v19
	v_cmpx_gt_u32_e32 8, v1
; %bb.527:                              ;   in Loop: Header=BB374_16 Depth=1
	v_ffbh_u32_e32 v0, v19
	v_min_u32_e32 v0, 32, v0
	v_subrev_nc_u32_e32 v1, 28, v0
	v_sub_nc_u32_e32 v0, 29, v0
	v_lshlrev_b64 v[1:2], v1, v[19:20]
	v_and_b32_e32 v35, 7, v1
; %bb.528:                              ;   in Loop: Header=BB374_16 Depth=1
	s_or_b32 exec_lo, exec_lo, s28
	v_lshlrev_b32_sdwa v1, v70, v34 dst_sel:DWORD dst_unused:UNUSED_PAD src0_sel:DWORD src1_sel:BYTE_3
	v_lshlrev_b32_e32 v2, 20, v35
	v_lshl_add_u32 v0, v0, 23, 0x3c000000
	v_and_b32_e32 v1, 0x80000000, v1
	v_or3_b32 v111, v2, v1, v0
.LBB374_529:                            ;   in Loop: Header=BB374_16 Depth=1
	s_or_b32 exec_lo, exec_lo, s27
.LBB374_530:                            ;   in Loop: Header=BB374_16 Depth=1
	s_or_b32 exec_lo, exec_lo, s26
.LBB374_531:                            ;   in Loop: Header=BB374_16 Depth=1
	s_or_b32 exec_lo, exec_lo, s25
	v_add_co_u32 v31, s5, 0x800, v31
	v_add_co_ci_u32_e64 v32, null, 0, v32, s5
	v_mov_b32_e32 v122, 0
	v_mov_b32_e32 v121, 0
	flat_load_dwordx2 v[33:34], v[31:32]
	s_waitcnt vmcnt(0) lgkmcnt(0)
	v_cmp_ne_u16_sdwa s5, v33, v20 src0_sel:BYTE_0 src1_sel:DWORD
	s_and_saveexec_b32 s25, s5
	s_cbranch_execz .LBB374_539
; %bb.532:                              ;   in Loop: Header=BB374_16 Depth=1
	v_cmp_ne_u16_sdwa s5, v33, v22 src0_sel:BYTE_0 src1_sel:DWORD
	v_bfrev_b32_e32 v121, 1
	s_and_saveexec_b32 s26, s5
	s_cbranch_execz .LBB374_538
; %bb.533:                              ;   in Loop: Header=BB374_16 Depth=1
	v_and_b32_e32 v1, 0x7f, v33
	v_mov_b32_e32 v121, 0x7f800001
	s_mov_b32 s27, exec_lo
	v_cmpx_ne_u32_e32 0x7f, v1
	s_cbranch_execz .LBB374_537
; %bb.534:                              ;   in Loop: Header=BB374_16 Depth=1
	v_mov_b32_e32 v36, v34
	v_lshrrev_b32_e32 v0, 3, v1
	v_mov_b32_e32 v35, v33
	s_mov_b32 s28, exec_lo
	v_cmpx_gt_u32_e32 8, v1
; %bb.535:                              ;   in Loop: Header=BB374_16 Depth=1
	v_and_b32_e32 v0, 7, v33
	v_ffbh_u32_e32 v0, v0
	v_min_u32_e32 v0, 32, v0
	v_subrev_nc_u32_e32 v1, 28, v0
	v_sub_nc_u32_e32 v0, 29, v0
	v_lshlrev_b64 v[35:36], v1, v[33:34]
; %bb.536:                              ;   in Loop: Header=BB374_16 Depth=1
	s_or_b32 exec_lo, exec_lo, s28
	v_lshlrev_b32_e32 v1, 20, v35
	v_lshlrev_b32_e32 v2, 24, v33
	v_lshl_add_u32 v0, v0, 23, 0x3c000000
	v_and_b32_e32 v1, 0x700000, v1
	v_and_b32_e32 v2, 0x80000000, v2
	v_or3_b32 v121, v1, v2, v0
.LBB374_537:                            ;   in Loop: Header=BB374_16 Depth=1
	s_or_b32 exec_lo, exec_lo, s27
.LBB374_538:                            ;   in Loop: Header=BB374_16 Depth=1
	s_or_b32 exec_lo, exec_lo, s26
.LBB374_539:                            ;   in Loop: Header=BB374_16 Depth=1
	s_or_b32 exec_lo, exec_lo, s25
	v_cmp_ne_u16_sdwa s5, v33, v20 src0_sel:BYTE_1 src1_sel:DWORD
	s_and_saveexec_b32 s25, s5
	s_cbranch_execz .LBB374_547
; %bb.540:                              ;   in Loop: Header=BB374_16 Depth=1
	v_cmp_ne_u16_sdwa s5, v33, v22 src0_sel:BYTE_1 src1_sel:DWORD
	v_bfrev_b32_e32 v122, 1
	s_and_saveexec_b32 s26, s5
	s_cbranch_execz .LBB374_546
; %bb.541:                              ;   in Loop: Header=BB374_16 Depth=1
	v_and_b32_sdwa v0, v66, v33 dst_sel:DWORD dst_unused:UNUSED_PAD src0_sel:DWORD src1_sel:BYTE_1
	v_mov_b32_e32 v122, 0x7f800001
	s_mov_b32 s27, exec_lo
	v_and_b32_e32 v1, 0x7f, v0
	v_cmpx_ne_u32_e32 0x7f, v1
	s_cbranch_execz .LBB374_545
; %bb.542:                              ;   in Loop: Header=BB374_16 Depth=1
	v_and_b32_e32 v19, 7, v0
	v_mov_b32_e32 v36, v20
	v_lshrrev_b32_e32 v0, 3, v1
	s_mov_b32 s28, exec_lo
	v_mov_b32_e32 v35, v19
	v_cmpx_gt_u32_e32 8, v1
; %bb.543:                              ;   in Loop: Header=BB374_16 Depth=1
	v_ffbh_u32_e32 v0, v19
	v_min_u32_e32 v0, 32, v0
	v_subrev_nc_u32_e32 v1, 28, v0
	v_sub_nc_u32_e32 v0, 29, v0
	v_lshlrev_b64 v[1:2], v1, v[19:20]
	v_and_b32_e32 v35, 7, v1
; %bb.544:                              ;   in Loop: Header=BB374_16 Depth=1
	s_or_b32 exec_lo, exec_lo, s28
	v_lshlrev_b32_e32 v1, 16, v33
	v_lshlrev_b32_e32 v2, 20, v35
	v_lshl_add_u32 v0, v0, 23, 0x3c000000
	v_and_b32_e32 v1, 0x80000000, v1
	v_or3_b32 v122, v2, v1, v0
.LBB374_545:                            ;   in Loop: Header=BB374_16 Depth=1
	s_or_b32 exec_lo, exec_lo, s27
.LBB374_546:                            ;   in Loop: Header=BB374_16 Depth=1
	s_or_b32 exec_lo, exec_lo, s26
.LBB374_547:                            ;   in Loop: Header=BB374_16 Depth=1
	s_or_b32 exec_lo, exec_lo, s25
	v_and_b32_sdwa v0, v33, v67 dst_sel:DWORD dst_unused:UNUSED_PAD src0_sel:WORD_1 src1_sel:DWORD
	v_mov_b32_e32 v124, 0
	v_mov_b32_e32 v123, 0
	s_mov_b32 s25, exec_lo
	v_cmpx_ne_u16_e32 0, v0
	s_cbranch_execz .LBB374_555
; %bb.548:                              ;   in Loop: Header=BB374_16 Depth=1
	v_bfrev_b32_e32 v123, 1
	s_mov_b32 s26, exec_lo
	v_cmpx_ne_u16_e32 0x80, v0
	s_cbranch_execz .LBB374_554
; %bb.549:                              ;   in Loop: Header=BB374_16 Depth=1
	v_bfe_u32 v1, v33, 16, 7
	v_mov_b32_e32 v123, 0x7f800001
	s_mov_b32 s27, exec_lo
	v_cmpx_ne_u32_e32 0x7f, v1
	s_cbranch_execz .LBB374_553
; %bb.550:                              ;   in Loop: Header=BB374_16 Depth=1
	v_and_b32_sdwa v19, v33, v68 dst_sel:DWORD dst_unused:UNUSED_PAD src0_sel:WORD_1 src1_sel:DWORD
	v_mov_b32_e32 v36, v20
	v_lshrrev_b32_e32 v0, 3, v1
	s_mov_b32 s28, exec_lo
	v_mov_b32_e32 v35, v19
	v_cmpx_gt_u32_e32 8, v1
; %bb.551:                              ;   in Loop: Header=BB374_16 Depth=1
	v_ffbh_u32_e32 v0, v19
	v_min_u32_e32 v0, 32, v0
	v_subrev_nc_u32_e32 v1, 28, v0
	v_sub_nc_u32_e32 v0, 29, v0
	v_lshlrev_b64 v[1:2], v1, v[19:20]
	v_and_b32_e32 v35, 7, v1
; %bb.552:                              ;   in Loop: Header=BB374_16 Depth=1
	s_or_b32 exec_lo, exec_lo, s28
	v_lshlrev_b32_sdwa v1, v70, v33 dst_sel:DWORD dst_unused:UNUSED_PAD src0_sel:DWORD src1_sel:WORD_1
	v_lshlrev_b32_e32 v2, 20, v35
	v_lshl_add_u32 v0, v0, 23, 0x3c000000
	v_and_b32_e32 v1, 0x80000000, v1
	v_or3_b32 v123, v2, v1, v0
.LBB374_553:                            ;   in Loop: Header=BB374_16 Depth=1
	s_or_b32 exec_lo, exec_lo, s27
.LBB374_554:                            ;   in Loop: Header=BB374_16 Depth=1
	s_or_b32 exec_lo, exec_lo, s26
.LBB374_555:                            ;   in Loop: Header=BB374_16 Depth=1
	s_or_b32 exec_lo, exec_lo, s25
	s_mov_b32 s25, exec_lo
	v_cmpx_lt_u32_e32 0xffffff, v33
	s_cbranch_execz .LBB374_563
; %bb.556:                              ;   in Loop: Header=BB374_16 Depth=1
	v_cmp_ne_u32_sdwa s5, v33, v22 src0_sel:BYTE_3 src1_sel:DWORD
	v_bfrev_b32_e32 v124, 1
	s_and_saveexec_b32 s26, s5
	s_cbranch_execz .LBB374_562
; %bb.557:                              ;   in Loop: Header=BB374_16 Depth=1
	v_bfe_u32 v1, v33, 24, 7
	v_mov_b32_e32 v124, 0x7f800001
	s_mov_b32 s27, exec_lo
	v_cmpx_ne_u32_e32 0x7f, v1
	s_cbranch_execz .LBB374_561
; %bb.558:                              ;   in Loop: Header=BB374_16 Depth=1
	v_and_b32_sdwa v19, v33, v68 dst_sel:DWORD dst_unused:UNUSED_PAD src0_sel:BYTE_3 src1_sel:DWORD
	v_mov_b32_e32 v36, v20
	v_lshrrev_b32_e32 v0, 3, v1
	s_mov_b32 s28, exec_lo
	v_mov_b32_e32 v35, v19
	v_cmpx_gt_u32_e32 8, v1
; %bb.559:                              ;   in Loop: Header=BB374_16 Depth=1
	v_ffbh_u32_e32 v0, v19
	v_min_u32_e32 v0, 32, v0
	v_subrev_nc_u32_e32 v1, 28, v0
	v_sub_nc_u32_e32 v0, 29, v0
	v_lshlrev_b64 v[1:2], v1, v[19:20]
	v_and_b32_e32 v35, 7, v1
; %bb.560:                              ;   in Loop: Header=BB374_16 Depth=1
	s_or_b32 exec_lo, exec_lo, s28
	v_lshlrev_b32_sdwa v1, v70, v33 dst_sel:DWORD dst_unused:UNUSED_PAD src0_sel:DWORD src1_sel:BYTE_3
	v_lshlrev_b32_e32 v2, 20, v35
	v_lshl_add_u32 v0, v0, 23, 0x3c000000
	v_and_b32_e32 v1, 0x80000000, v1
	v_or3_b32 v124, v2, v1, v0
.LBB374_561:                            ;   in Loop: Header=BB374_16 Depth=1
	s_or_b32 exec_lo, exec_lo, s27
.LBB374_562:                            ;   in Loop: Header=BB374_16 Depth=1
	s_or_b32 exec_lo, exec_lo, s26
.LBB374_563:                            ;   in Loop: Header=BB374_16 Depth=1
	s_or_b32 exec_lo, exec_lo, s25
	v_mov_b32_e32 v19, v34
	v_cmp_ne_u16_sdwa s5, v34, v20 src0_sel:BYTE_0 src1_sel:DWORD
	v_mov_b32_e32 v126, 0
	v_mov_b32_e32 v125, 0
	s_and_saveexec_b32 s25, s5
	s_cbranch_execz .LBB374_571
; %bb.564:                              ;   in Loop: Header=BB374_16 Depth=1
	v_cmp_ne_u16_sdwa s5, v34, v22 src0_sel:BYTE_0 src1_sel:DWORD
	v_bfrev_b32_e32 v125, 1
	s_and_saveexec_b32 s26, s5
	s_cbranch_execz .LBB374_570
; %bb.565:                              ;   in Loop: Header=BB374_16 Depth=1
	v_and_b32_e32 v1, 0x7f, v34
	v_mov_b32_e32 v125, 0x7f800001
	s_mov_b32 s27, exec_lo
	v_cmpx_ne_u32_e32 0x7f, v1
	s_cbranch_execz .LBB374_569
; %bb.566:                              ;   in Loop: Header=BB374_16 Depth=1
	v_mov_b32_e32 v36, v20
	v_lshrrev_b32_e32 v0, 3, v1
	v_mov_b32_e32 v35, v19
	s_mov_b32 s28, exec_lo
	v_cmpx_gt_u32_e32 8, v1
; %bb.567:                              ;   in Loop: Header=BB374_16 Depth=1
	v_and_b32_e32 v0, 7, v34
	v_ffbh_u32_e32 v0, v0
	v_min_u32_e32 v0, 32, v0
	v_subrev_nc_u32_e32 v1, 28, v0
	v_sub_nc_u32_e32 v0, 29, v0
	v_lshlrev_b64 v[35:36], v1, v[19:20]
; %bb.568:                              ;   in Loop: Header=BB374_16 Depth=1
	s_or_b32 exec_lo, exec_lo, s28
	v_lshlrev_b32_e32 v1, 20, v35
	v_lshlrev_b32_e32 v2, 24, v19
	v_lshl_add_u32 v0, v0, 23, 0x3c000000
	v_and_b32_e32 v1, 0x700000, v1
	v_and_b32_e32 v2, 0x80000000, v2
	v_or3_b32 v125, v1, v2, v0
.LBB374_569:                            ;   in Loop: Header=BB374_16 Depth=1
	s_or_b32 exec_lo, exec_lo, s27
.LBB374_570:                            ;   in Loop: Header=BB374_16 Depth=1
	s_or_b32 exec_lo, exec_lo, s26
.LBB374_571:                            ;   in Loop: Header=BB374_16 Depth=1
	s_or_b32 exec_lo, exec_lo, s25
	v_cmp_ne_u16_sdwa s5, v19, v20 src0_sel:BYTE_1 src1_sel:DWORD
	s_and_saveexec_b32 s25, s5
	s_cbranch_execz .LBB374_579
; %bb.572:                              ;   in Loop: Header=BB374_16 Depth=1
	v_cmp_ne_u16_sdwa s5, v19, v22 src0_sel:BYTE_1 src1_sel:DWORD
	v_bfrev_b32_e32 v126, 1
	s_and_saveexec_b32 s26, s5
	s_cbranch_execz .LBB374_578
; %bb.573:                              ;   in Loop: Header=BB374_16 Depth=1
	v_and_b32_sdwa v0, v66, v19 dst_sel:DWORD dst_unused:UNUSED_PAD src0_sel:DWORD src1_sel:BYTE_1
	v_mov_b32_e32 v126, 0x7f800001
	s_mov_b32 s27, exec_lo
	v_and_b32_e32 v1, 0x7f, v0
	v_cmpx_ne_u32_e32 0x7f, v1
	s_cbranch_execz .LBB374_577
; %bb.574:                              ;   in Loop: Header=BB374_16 Depth=1
	v_and_b32_e32 v35, 7, v0
	v_mov_b32_e32 v36, v20
	v_lshrrev_b32_e32 v0, 3, v1
	s_mov_b32 s28, exec_lo
	v_cmpx_gt_u32_e32 8, v1
; %bb.575:                              ;   in Loop: Header=BB374_16 Depth=1
	v_ffbh_u32_e32 v0, v35
	v_min_u32_e32 v0, 32, v0
	v_subrev_nc_u32_e32 v1, 28, v0
	v_sub_nc_u32_e32 v0, 29, v0
	v_lshlrev_b64 v[1:2], v1, v[35:36]
	v_and_b32_e32 v35, 7, v1
; %bb.576:                              ;   in Loop: Header=BB374_16 Depth=1
	s_or_b32 exec_lo, exec_lo, s28
	v_lshlrev_b32_e32 v1, 16, v19
	v_lshlrev_b32_e32 v2, 20, v35
	v_lshl_add_u32 v0, v0, 23, 0x3c000000
	v_and_b32_e32 v1, 0x80000000, v1
	v_or3_b32 v126, v2, v1, v0
.LBB374_577:                            ;   in Loop: Header=BB374_16 Depth=1
	s_or_b32 exec_lo, exec_lo, s27
.LBB374_578:                            ;   in Loop: Header=BB374_16 Depth=1
	s_or_b32 exec_lo, exec_lo, s26
.LBB374_579:                            ;   in Loop: Header=BB374_16 Depth=1
	s_or_b32 exec_lo, exec_lo, s25
	v_and_b32_sdwa v0, v34, v67 dst_sel:DWORD dst_unused:UNUSED_PAD src0_sel:WORD_1 src1_sel:DWORD
	v_mov_b32_e32 v127, 0
	v_mov_b32_e32 v23, 0
	s_mov_b32 s25, exec_lo
	v_cmpx_ne_u16_e32 0, v0
	s_cbranch_execz .LBB374_587
; %bb.580:                              ;   in Loop: Header=BB374_16 Depth=1
	v_bfrev_b32_e32 v23, 1
	s_mov_b32 s26, exec_lo
	v_cmpx_ne_u16_e32 0x80, v0
	s_cbranch_execz .LBB374_586
; %bb.581:                              ;   in Loop: Header=BB374_16 Depth=1
	v_bfe_u32 v1, v34, 16, 7
	v_mov_b32_e32 v23, 0x7f800001
	s_mov_b32 s27, exec_lo
	v_cmpx_ne_u32_e32 0x7f, v1
	s_cbranch_execz .LBB374_585
; %bb.582:                              ;   in Loop: Header=BB374_16 Depth=1
	v_and_b32_sdwa v19, v34, v68 dst_sel:DWORD dst_unused:UNUSED_PAD src0_sel:WORD_1 src1_sel:DWORD
	v_mov_b32_e32 v36, v20
	v_lshrrev_b32_e32 v0, 3, v1
	s_mov_b32 s28, exec_lo
	v_mov_b32_e32 v35, v19
	v_cmpx_gt_u32_e32 8, v1
; %bb.583:                              ;   in Loop: Header=BB374_16 Depth=1
	v_ffbh_u32_e32 v0, v19
	v_min_u32_e32 v0, 32, v0
	v_subrev_nc_u32_e32 v1, 28, v0
	v_sub_nc_u32_e32 v0, 29, v0
	v_lshlrev_b64 v[1:2], v1, v[19:20]
	v_and_b32_e32 v35, 7, v1
; %bb.584:                              ;   in Loop: Header=BB374_16 Depth=1
	s_or_b32 exec_lo, exec_lo, s28
	v_lshlrev_b32_sdwa v1, v70, v34 dst_sel:DWORD dst_unused:UNUSED_PAD src0_sel:DWORD src1_sel:WORD_1
	v_lshlrev_b32_e32 v2, 20, v35
	v_lshl_add_u32 v0, v0, 23, 0x3c000000
	v_and_b32_e32 v1, 0x80000000, v1
	v_or3_b32 v23, v2, v1, v0
.LBB374_585:                            ;   in Loop: Header=BB374_16 Depth=1
	s_or_b32 exec_lo, exec_lo, s27
.LBB374_586:                            ;   in Loop: Header=BB374_16 Depth=1
	s_or_b32 exec_lo, exec_lo, s26
.LBB374_587:                            ;   in Loop: Header=BB374_16 Depth=1
	s_or_b32 exec_lo, exec_lo, s25
	s_mov_b32 s25, exec_lo
	v_cmpx_lt_u64_e64 s[20:21], v[33:34]
	s_cbranch_execz .LBB374_595
; %bb.588:                              ;   in Loop: Header=BB374_16 Depth=1
	v_cmp_ne_u32_sdwa s5, v34, v22 src0_sel:BYTE_3 src1_sel:DWORD
	v_bfrev_b32_e32 v127, 1
	s_and_saveexec_b32 s26, s5
	s_cbranch_execz .LBB374_594
; %bb.589:                              ;   in Loop: Header=BB374_16 Depth=1
	v_bfe_u32 v1, v34, 24, 7
	v_mov_b32_e32 v127, 0x7f800001
	s_mov_b32 s27, exec_lo
	v_cmpx_ne_u32_e32 0x7f, v1
	s_cbranch_execz .LBB374_593
; %bb.590:                              ;   in Loop: Header=BB374_16 Depth=1
	v_and_b32_sdwa v19, v34, v68 dst_sel:DWORD dst_unused:UNUSED_PAD src0_sel:BYTE_3 src1_sel:DWORD
	v_mov_b32_e32 v36, v20
	v_lshrrev_b32_e32 v0, 3, v1
	s_mov_b32 s28, exec_lo
	v_mov_b32_e32 v35, v19
	v_cmpx_gt_u32_e32 8, v1
; %bb.591:                              ;   in Loop: Header=BB374_16 Depth=1
	v_ffbh_u32_e32 v0, v19
	v_min_u32_e32 v0, 32, v0
	v_subrev_nc_u32_e32 v1, 28, v0
	v_sub_nc_u32_e32 v0, 29, v0
	v_lshlrev_b64 v[1:2], v1, v[19:20]
	v_and_b32_e32 v35, 7, v1
; %bb.592:                              ;   in Loop: Header=BB374_16 Depth=1
	s_or_b32 exec_lo, exec_lo, s28
	v_lshlrev_b32_sdwa v1, v70, v34 dst_sel:DWORD dst_unused:UNUSED_PAD src0_sel:DWORD src1_sel:BYTE_3
	v_lshlrev_b32_e32 v2, 20, v35
	v_lshl_add_u32 v0, v0, 23, 0x3c000000
	v_and_b32_e32 v1, 0x80000000, v1
	v_or3_b32 v127, v2, v1, v0
.LBB374_593:                            ;   in Loop: Header=BB374_16 Depth=1
	s_or_b32 exec_lo, exec_lo, s27
.LBB374_594:                            ;   in Loop: Header=BB374_16 Depth=1
	s_or_b32 exec_lo, exec_lo, s26
.LBB374_595:                            ;   in Loop: Header=BB374_16 Depth=1
	s_or_b32 exec_lo, exec_lo, s25
	flat_load_dwordx2 v[33:34], v[31:32] offset:8
	v_mov_b32_e32 v4, 0
	v_mov_b32_e32 v5, 0
	s_waitcnt vmcnt(0) lgkmcnt(0)
	v_cmp_ne_u16_sdwa s5, v33, v20 src0_sel:BYTE_0 src1_sel:DWORD
	s_and_saveexec_b32 s25, s5
	s_cbranch_execz .LBB374_603
; %bb.596:                              ;   in Loop: Header=BB374_16 Depth=1
	v_cmp_ne_u16_sdwa s5, v33, v22 src0_sel:BYTE_0 src1_sel:DWORD
	v_bfrev_b32_e32 v5, 1
	s_and_saveexec_b32 s26, s5
	s_cbranch_execz .LBB374_602
; %bb.597:                              ;   in Loop: Header=BB374_16 Depth=1
	v_and_b32_e32 v1, 0x7f, v33
	v_mov_b32_e32 v5, 0x7f800001
	s_mov_b32 s27, exec_lo
	v_cmpx_ne_u32_e32 0x7f, v1
	s_cbranch_execz .LBB374_601
; %bb.598:                              ;   in Loop: Header=BB374_16 Depth=1
	v_mov_b32_e32 v36, v34
	v_lshrrev_b32_e32 v0, 3, v1
	v_mov_b32_e32 v35, v33
	s_mov_b32 s28, exec_lo
	v_cmpx_gt_u32_e32 8, v1
; %bb.599:                              ;   in Loop: Header=BB374_16 Depth=1
	v_and_b32_e32 v0, 7, v33
	v_ffbh_u32_e32 v0, v0
	v_min_u32_e32 v0, 32, v0
	v_subrev_nc_u32_e32 v1, 28, v0
	v_sub_nc_u32_e32 v0, 29, v0
	v_lshlrev_b64 v[35:36], v1, v[33:34]
; %bb.600:                              ;   in Loop: Header=BB374_16 Depth=1
	s_or_b32 exec_lo, exec_lo, s28
	v_lshlrev_b32_e32 v1, 20, v35
	v_lshlrev_b32_e32 v2, 24, v33
	v_lshl_add_u32 v0, v0, 23, 0x3c000000
	v_and_b32_e32 v1, 0x700000, v1
	v_and_b32_e32 v2, 0x80000000, v2
	v_or3_b32 v5, v1, v2, v0
.LBB374_601:                            ;   in Loop: Header=BB374_16 Depth=1
	s_or_b32 exec_lo, exec_lo, s27
.LBB374_602:                            ;   in Loop: Header=BB374_16 Depth=1
	s_or_b32 exec_lo, exec_lo, s26
.LBB374_603:                            ;   in Loop: Header=BB374_16 Depth=1
	s_or_b32 exec_lo, exec_lo, s25
	v_cmp_ne_u16_sdwa s5, v33, v20 src0_sel:BYTE_1 src1_sel:DWORD
	s_and_saveexec_b32 s25, s5
	s_cbranch_execz .LBB374_611
; %bb.604:                              ;   in Loop: Header=BB374_16 Depth=1
	v_cmp_ne_u16_sdwa s5, v33, v22 src0_sel:BYTE_1 src1_sel:DWORD
	v_bfrev_b32_e32 v4, 1
	s_and_saveexec_b32 s26, s5
	s_cbranch_execz .LBB374_610
; %bb.605:                              ;   in Loop: Header=BB374_16 Depth=1
	v_and_b32_sdwa v0, v66, v33 dst_sel:DWORD dst_unused:UNUSED_PAD src0_sel:DWORD src1_sel:BYTE_1
	v_mov_b32_e32 v4, 0x7f800001
	s_mov_b32 s27, exec_lo
	v_and_b32_e32 v1, 0x7f, v0
	v_cmpx_ne_u32_e32 0x7f, v1
	s_cbranch_execz .LBB374_609
; %bb.606:                              ;   in Loop: Header=BB374_16 Depth=1
	v_and_b32_e32 v19, 7, v0
	v_mov_b32_e32 v36, v20
	v_lshrrev_b32_e32 v0, 3, v1
	s_mov_b32 s28, exec_lo
	v_mov_b32_e32 v35, v19
	v_cmpx_gt_u32_e32 8, v1
; %bb.607:                              ;   in Loop: Header=BB374_16 Depth=1
	v_ffbh_u32_e32 v0, v19
	v_min_u32_e32 v0, 32, v0
	v_subrev_nc_u32_e32 v1, 28, v0
	v_sub_nc_u32_e32 v0, 29, v0
	v_lshlrev_b64 v[1:2], v1, v[19:20]
	v_and_b32_e32 v35, 7, v1
; %bb.608:                              ;   in Loop: Header=BB374_16 Depth=1
	s_or_b32 exec_lo, exec_lo, s28
	v_lshlrev_b32_e32 v1, 16, v33
	v_lshlrev_b32_e32 v2, 20, v35
	v_lshl_add_u32 v0, v0, 23, 0x3c000000
	v_and_b32_e32 v1, 0x80000000, v1
	v_or3_b32 v4, v2, v1, v0
.LBB374_609:                            ;   in Loop: Header=BB374_16 Depth=1
	s_or_b32 exec_lo, exec_lo, s27
.LBB374_610:                            ;   in Loop: Header=BB374_16 Depth=1
	s_or_b32 exec_lo, exec_lo, s26
.LBB374_611:                            ;   in Loop: Header=BB374_16 Depth=1
	s_or_b32 exec_lo, exec_lo, s25
	v_and_b32_sdwa v0, v33, v67 dst_sel:DWORD dst_unused:UNUSED_PAD src0_sel:WORD_1 src1_sel:DWORD
	v_mov_b32_e32 v39, 0
	v_mov_b32_e32 v64, 0
	s_mov_b32 s25, exec_lo
	v_cmpx_ne_u16_e32 0, v0
	s_cbranch_execz .LBB374_619
; %bb.612:                              ;   in Loop: Header=BB374_16 Depth=1
	v_bfrev_b32_e32 v64, 1
	s_mov_b32 s26, exec_lo
	v_cmpx_ne_u16_e32 0x80, v0
	s_cbranch_execz .LBB374_618
; %bb.613:                              ;   in Loop: Header=BB374_16 Depth=1
	v_bfe_u32 v1, v33, 16, 7
	v_mov_b32_e32 v64, 0x7f800001
	s_mov_b32 s27, exec_lo
	v_cmpx_ne_u32_e32 0x7f, v1
	s_cbranch_execz .LBB374_617
; %bb.614:                              ;   in Loop: Header=BB374_16 Depth=1
	v_and_b32_sdwa v19, v33, v68 dst_sel:DWORD dst_unused:UNUSED_PAD src0_sel:WORD_1 src1_sel:DWORD
	v_mov_b32_e32 v36, v20
	v_lshrrev_b32_e32 v0, 3, v1
	s_mov_b32 s28, exec_lo
	v_mov_b32_e32 v35, v19
	v_cmpx_gt_u32_e32 8, v1
; %bb.615:                              ;   in Loop: Header=BB374_16 Depth=1
	v_ffbh_u32_e32 v0, v19
	v_min_u32_e32 v0, 32, v0
	v_subrev_nc_u32_e32 v1, 28, v0
	v_sub_nc_u32_e32 v0, 29, v0
	v_lshlrev_b64 v[1:2], v1, v[19:20]
	v_and_b32_e32 v35, 7, v1
; %bb.616:                              ;   in Loop: Header=BB374_16 Depth=1
	s_or_b32 exec_lo, exec_lo, s28
	v_lshlrev_b32_sdwa v1, v70, v33 dst_sel:DWORD dst_unused:UNUSED_PAD src0_sel:DWORD src1_sel:WORD_1
	v_lshlrev_b32_e32 v2, 20, v35
	v_lshl_add_u32 v0, v0, 23, 0x3c000000
	v_and_b32_e32 v1, 0x80000000, v1
	v_or3_b32 v64, v2, v1, v0
.LBB374_617:                            ;   in Loop: Header=BB374_16 Depth=1
	s_or_b32 exec_lo, exec_lo, s27
.LBB374_618:                            ;   in Loop: Header=BB374_16 Depth=1
	s_or_b32 exec_lo, exec_lo, s26
.LBB374_619:                            ;   in Loop: Header=BB374_16 Depth=1
	s_or_b32 exec_lo, exec_lo, s25
	s_mov_b32 s25, exec_lo
	v_cmpx_lt_u32_e32 0xffffff, v33
	s_cbranch_execz .LBB374_627
; %bb.620:                              ;   in Loop: Header=BB374_16 Depth=1
	v_cmp_ne_u32_sdwa s5, v33, v22 src0_sel:BYTE_3 src1_sel:DWORD
	v_bfrev_b32_e32 v39, 1
	s_and_saveexec_b32 s26, s5
	s_cbranch_execz .LBB374_626
; %bb.621:                              ;   in Loop: Header=BB374_16 Depth=1
	v_bfe_u32 v1, v33, 24, 7
	v_mov_b32_e32 v39, 0x7f800001
	s_mov_b32 s27, exec_lo
	v_cmpx_ne_u32_e32 0x7f, v1
	s_cbranch_execz .LBB374_625
; %bb.622:                              ;   in Loop: Header=BB374_16 Depth=1
	v_and_b32_sdwa v19, v33, v68 dst_sel:DWORD dst_unused:UNUSED_PAD src0_sel:BYTE_3 src1_sel:DWORD
	v_mov_b32_e32 v36, v20
	v_lshrrev_b32_e32 v0, 3, v1
	s_mov_b32 s28, exec_lo
	v_mov_b32_e32 v35, v19
	v_cmpx_gt_u32_e32 8, v1
; %bb.623:                              ;   in Loop: Header=BB374_16 Depth=1
	v_ffbh_u32_e32 v0, v19
	v_min_u32_e32 v0, 32, v0
	v_subrev_nc_u32_e32 v1, 28, v0
	v_sub_nc_u32_e32 v0, 29, v0
	v_lshlrev_b64 v[1:2], v1, v[19:20]
	v_and_b32_e32 v35, 7, v1
; %bb.624:                              ;   in Loop: Header=BB374_16 Depth=1
	s_or_b32 exec_lo, exec_lo, s28
	v_lshlrev_b32_sdwa v1, v70, v33 dst_sel:DWORD dst_unused:UNUSED_PAD src0_sel:DWORD src1_sel:BYTE_3
	v_lshlrev_b32_e32 v2, 20, v35
	v_lshl_add_u32 v0, v0, 23, 0x3c000000
	v_and_b32_e32 v1, 0x80000000, v1
	v_or3_b32 v39, v2, v1, v0
.LBB374_625:                            ;   in Loop: Header=BB374_16 Depth=1
	s_or_b32 exec_lo, exec_lo, s27
.LBB374_626:                            ;   in Loop: Header=BB374_16 Depth=1
	s_or_b32 exec_lo, exec_lo, s26
.LBB374_627:                            ;   in Loop: Header=BB374_16 Depth=1
	s_or_b32 exec_lo, exec_lo, s25
	v_mov_b32_e32 v19, v34
	v_cmp_ne_u16_sdwa s5, v34, v20 src0_sel:BYTE_0 src1_sel:DWORD
	v_mov_b32_e32 v21, 0
	v_mov_b32_e32 v69, 0
	s_and_saveexec_b32 s25, s5
	s_cbranch_execz .LBB374_635
; %bb.628:                              ;   in Loop: Header=BB374_16 Depth=1
	v_cmp_ne_u16_sdwa s5, v34, v22 src0_sel:BYTE_0 src1_sel:DWORD
	v_bfrev_b32_e32 v69, 1
	s_and_saveexec_b32 s26, s5
	s_cbranch_execz .LBB374_634
; %bb.629:                              ;   in Loop: Header=BB374_16 Depth=1
	v_and_b32_e32 v1, 0x7f, v34
	v_mov_b32_e32 v69, 0x7f800001
	s_mov_b32 s27, exec_lo
	v_cmpx_ne_u32_e32 0x7f, v1
	s_cbranch_execz .LBB374_633
; %bb.630:                              ;   in Loop: Header=BB374_16 Depth=1
	v_mov_b32_e32 v36, v20
	v_lshrrev_b32_e32 v0, 3, v1
	v_mov_b32_e32 v35, v19
	s_mov_b32 s28, exec_lo
	v_cmpx_gt_u32_e32 8, v1
; %bb.631:                              ;   in Loop: Header=BB374_16 Depth=1
	v_and_b32_e32 v0, 7, v34
	v_ffbh_u32_e32 v0, v0
	v_min_u32_e32 v0, 32, v0
	v_subrev_nc_u32_e32 v1, 28, v0
	v_sub_nc_u32_e32 v0, 29, v0
	v_lshlrev_b64 v[35:36], v1, v[19:20]
; %bb.632:                              ;   in Loop: Header=BB374_16 Depth=1
	s_or_b32 exec_lo, exec_lo, s28
	v_lshlrev_b32_e32 v1, 20, v35
	v_lshlrev_b32_e32 v2, 24, v19
	v_lshl_add_u32 v0, v0, 23, 0x3c000000
	v_and_b32_e32 v1, 0x700000, v1
	v_and_b32_e32 v2, 0x80000000, v2
	v_or3_b32 v69, v1, v2, v0
.LBB374_633:                            ;   in Loop: Header=BB374_16 Depth=1
	s_or_b32 exec_lo, exec_lo, s27
.LBB374_634:                            ;   in Loop: Header=BB374_16 Depth=1
	s_or_b32 exec_lo, exec_lo, s26
.LBB374_635:                            ;   in Loop: Header=BB374_16 Depth=1
	s_or_b32 exec_lo, exec_lo, s25
	v_cmp_ne_u16_sdwa s5, v19, v20 src0_sel:BYTE_1 src1_sel:DWORD
	s_and_saveexec_b32 s25, s5
	s_cbranch_execz .LBB374_643
; %bb.636:                              ;   in Loop: Header=BB374_16 Depth=1
	v_cmp_ne_u16_sdwa s5, v19, v22 src0_sel:BYTE_1 src1_sel:DWORD
	v_bfrev_b32_e32 v21, 1
	s_and_saveexec_b32 s26, s5
	s_cbranch_execz .LBB374_642
; %bb.637:                              ;   in Loop: Header=BB374_16 Depth=1
	v_and_b32_sdwa v0, v66, v19 dst_sel:DWORD dst_unused:UNUSED_PAD src0_sel:DWORD src1_sel:BYTE_1
	v_mov_b32_e32 v21, 0x7f800001
	s_mov_b32 s27, exec_lo
	v_and_b32_e32 v1, 0x7f, v0
	v_cmpx_ne_u32_e32 0x7f, v1
	s_cbranch_execz .LBB374_641
; %bb.638:                              ;   in Loop: Header=BB374_16 Depth=1
	v_and_b32_e32 v35, 7, v0
	v_mov_b32_e32 v36, v20
	v_lshrrev_b32_e32 v0, 3, v1
	s_mov_b32 s28, exec_lo
	v_cmpx_gt_u32_e32 8, v1
; %bb.639:                              ;   in Loop: Header=BB374_16 Depth=1
	v_ffbh_u32_e32 v0, v35
	v_min_u32_e32 v0, 32, v0
	v_subrev_nc_u32_e32 v1, 28, v0
	v_sub_nc_u32_e32 v0, 29, v0
	v_lshlrev_b64 v[1:2], v1, v[35:36]
	v_and_b32_e32 v35, 7, v1
; %bb.640:                              ;   in Loop: Header=BB374_16 Depth=1
	s_or_b32 exec_lo, exec_lo, s28
	v_lshlrev_b32_e32 v1, 16, v19
	v_lshlrev_b32_e32 v2, 20, v35
	v_lshl_add_u32 v0, v0, 23, 0x3c000000
	v_and_b32_e32 v1, 0x80000000, v1
	v_or3_b32 v21, v2, v1, v0
.LBB374_641:                            ;   in Loop: Header=BB374_16 Depth=1
	s_or_b32 exec_lo, exec_lo, s27
.LBB374_642:                            ;   in Loop: Header=BB374_16 Depth=1
	s_or_b32 exec_lo, exec_lo, s26
.LBB374_643:                            ;   in Loop: Header=BB374_16 Depth=1
	s_or_b32 exec_lo, exec_lo, s25
	v_and_b32_sdwa v0, v34, v67 dst_sel:DWORD dst_unused:UNUSED_PAD src0_sel:WORD_1 src1_sel:DWORD
	v_mov_b32_e32 v11, 0
	v_mov_b32_e32 v10, 0
	s_mov_b32 s25, exec_lo
	v_cmpx_ne_u16_e32 0, v0
	s_cbranch_execz .LBB374_651
; %bb.644:                              ;   in Loop: Header=BB374_16 Depth=1
	v_bfrev_b32_e32 v10, 1
	s_mov_b32 s26, exec_lo
	v_cmpx_ne_u16_e32 0x80, v0
	s_cbranch_execz .LBB374_650
; %bb.645:                              ;   in Loop: Header=BB374_16 Depth=1
	v_bfe_u32 v1, v34, 16, 7
	v_mov_b32_e32 v10, 0x7f800001
	s_mov_b32 s27, exec_lo
	v_cmpx_ne_u32_e32 0x7f, v1
	s_cbranch_execz .LBB374_649
; %bb.646:                              ;   in Loop: Header=BB374_16 Depth=1
	v_and_b32_sdwa v19, v34, v68 dst_sel:DWORD dst_unused:UNUSED_PAD src0_sel:WORD_1 src1_sel:DWORD
	v_mov_b32_e32 v36, v20
	v_lshrrev_b32_e32 v0, 3, v1
	s_mov_b32 s28, exec_lo
	v_mov_b32_e32 v35, v19
	v_cmpx_gt_u32_e32 8, v1
; %bb.647:                              ;   in Loop: Header=BB374_16 Depth=1
	v_ffbh_u32_e32 v0, v19
	v_min_u32_e32 v0, 32, v0
	v_subrev_nc_u32_e32 v1, 28, v0
	v_sub_nc_u32_e32 v0, 29, v0
	v_lshlrev_b64 v[1:2], v1, v[19:20]
	v_and_b32_e32 v35, 7, v1
; %bb.648:                              ;   in Loop: Header=BB374_16 Depth=1
	s_or_b32 exec_lo, exec_lo, s28
	v_lshlrev_b32_sdwa v1, v70, v34 dst_sel:DWORD dst_unused:UNUSED_PAD src0_sel:DWORD src1_sel:WORD_1
	v_lshlrev_b32_e32 v2, 20, v35
	v_lshl_add_u32 v0, v0, 23, 0x3c000000
	v_and_b32_e32 v1, 0x80000000, v1
	v_or3_b32 v10, v2, v1, v0
.LBB374_649:                            ;   in Loop: Header=BB374_16 Depth=1
	s_or_b32 exec_lo, exec_lo, s27
.LBB374_650:                            ;   in Loop: Header=BB374_16 Depth=1
	s_or_b32 exec_lo, exec_lo, s26
.LBB374_651:                            ;   in Loop: Header=BB374_16 Depth=1
	s_or_b32 exec_lo, exec_lo, s25
	s_mov_b32 s25, exec_lo
	v_cmpx_lt_u64_e64 s[20:21], v[33:34]
	s_cbranch_execz .LBB374_659
; %bb.652:                              ;   in Loop: Header=BB374_16 Depth=1
	v_cmp_ne_u32_sdwa s5, v34, v22 src0_sel:BYTE_3 src1_sel:DWORD
	v_bfrev_b32_e32 v11, 1
	s_and_saveexec_b32 s26, s5
	s_cbranch_execz .LBB374_658
; %bb.653:                              ;   in Loop: Header=BB374_16 Depth=1
	v_bfe_u32 v1, v34, 24, 7
	v_mov_b32_e32 v11, 0x7f800001
	s_mov_b32 s27, exec_lo
	v_cmpx_ne_u32_e32 0x7f, v1
	s_cbranch_execz .LBB374_657
; %bb.654:                              ;   in Loop: Header=BB374_16 Depth=1
	v_and_b32_sdwa v19, v34, v68 dst_sel:DWORD dst_unused:UNUSED_PAD src0_sel:BYTE_3 src1_sel:DWORD
	v_mov_b32_e32 v36, v20
	v_lshrrev_b32_e32 v0, 3, v1
	s_mov_b32 s28, exec_lo
	v_mov_b32_e32 v35, v19
	v_cmpx_gt_u32_e32 8, v1
; %bb.655:                              ;   in Loop: Header=BB374_16 Depth=1
	v_ffbh_u32_e32 v0, v19
	v_min_u32_e32 v0, 32, v0
	v_subrev_nc_u32_e32 v1, 28, v0
	v_sub_nc_u32_e32 v0, 29, v0
	v_lshlrev_b64 v[1:2], v1, v[19:20]
	v_and_b32_e32 v35, 7, v1
; %bb.656:                              ;   in Loop: Header=BB374_16 Depth=1
	s_or_b32 exec_lo, exec_lo, s28
	v_lshlrev_b32_sdwa v1, v70, v34 dst_sel:DWORD dst_unused:UNUSED_PAD src0_sel:DWORD src1_sel:BYTE_3
	v_lshlrev_b32_e32 v2, 20, v35
	v_lshl_add_u32 v0, v0, 23, 0x3c000000
	v_and_b32_e32 v1, 0x80000000, v1
	v_or3_b32 v11, v2, v1, v0
.LBB374_657:                            ;   in Loop: Header=BB374_16 Depth=1
	s_or_b32 exec_lo, exec_lo, s27
.LBB374_658:                            ;   in Loop: Header=BB374_16 Depth=1
	s_or_b32 exec_lo, exec_lo, s26
.LBB374_659:                            ;   in Loop: Header=BB374_16 Depth=1
	s_or_b32 exec_lo, exec_lo, s25
	flat_load_dwordx2 v[33:34], v[31:32] offset:512
	v_mov_b32_e32 v51, 0
	v_mov_b32_e32 v50, 0
	s_waitcnt vmcnt(0) lgkmcnt(0)
	v_cmp_ne_u16_sdwa s5, v33, v20 src0_sel:BYTE_0 src1_sel:DWORD
	s_and_saveexec_b32 s25, s5
	s_cbranch_execz .LBB374_667
; %bb.660:                              ;   in Loop: Header=BB374_16 Depth=1
	v_cmp_ne_u16_sdwa s5, v33, v22 src0_sel:BYTE_0 src1_sel:DWORD
	v_bfrev_b32_e32 v50, 1
	s_and_saveexec_b32 s26, s5
	s_cbranch_execz .LBB374_666
; %bb.661:                              ;   in Loop: Header=BB374_16 Depth=1
	v_and_b32_e32 v1, 0x7f, v33
	v_mov_b32_e32 v50, 0x7f800001
	s_mov_b32 s27, exec_lo
	v_cmpx_ne_u32_e32 0x7f, v1
	s_cbranch_execz .LBB374_665
; %bb.662:                              ;   in Loop: Header=BB374_16 Depth=1
	v_mov_b32_e32 v36, v34
	v_lshrrev_b32_e32 v0, 3, v1
	v_mov_b32_e32 v35, v33
	s_mov_b32 s28, exec_lo
	v_cmpx_gt_u32_e32 8, v1
; %bb.663:                              ;   in Loop: Header=BB374_16 Depth=1
	v_and_b32_e32 v0, 7, v33
	v_ffbh_u32_e32 v0, v0
	v_min_u32_e32 v0, 32, v0
	v_subrev_nc_u32_e32 v1, 28, v0
	v_sub_nc_u32_e32 v0, 29, v0
	v_lshlrev_b64 v[35:36], v1, v[33:34]
; %bb.664:                              ;   in Loop: Header=BB374_16 Depth=1
	s_or_b32 exec_lo, exec_lo, s28
	v_lshlrev_b32_e32 v1, 20, v35
	v_lshlrev_b32_e32 v2, 24, v33
	v_lshl_add_u32 v0, v0, 23, 0x3c000000
	v_and_b32_e32 v1, 0x700000, v1
	v_and_b32_e32 v2, 0x80000000, v2
	v_or3_b32 v50, v1, v2, v0
.LBB374_665:                            ;   in Loop: Header=BB374_16 Depth=1
	s_or_b32 exec_lo, exec_lo, s27
.LBB374_666:                            ;   in Loop: Header=BB374_16 Depth=1
	s_or_b32 exec_lo, exec_lo, s26
.LBB374_667:                            ;   in Loop: Header=BB374_16 Depth=1
	s_or_b32 exec_lo, exec_lo, s25
	v_cmp_ne_u16_sdwa s5, v33, v20 src0_sel:BYTE_1 src1_sel:DWORD
	s_and_saveexec_b32 s25, s5
	s_cbranch_execz .LBB374_675
; %bb.668:                              ;   in Loop: Header=BB374_16 Depth=1
	v_cmp_ne_u16_sdwa s5, v33, v22 src0_sel:BYTE_1 src1_sel:DWORD
	v_bfrev_b32_e32 v51, 1
	s_and_saveexec_b32 s26, s5
	s_cbranch_execz .LBB374_674
; %bb.669:                              ;   in Loop: Header=BB374_16 Depth=1
	v_and_b32_sdwa v0, v66, v33 dst_sel:DWORD dst_unused:UNUSED_PAD src0_sel:DWORD src1_sel:BYTE_1
	v_mov_b32_e32 v51, 0x7f800001
	s_mov_b32 s27, exec_lo
	v_and_b32_e32 v1, 0x7f, v0
	v_cmpx_ne_u32_e32 0x7f, v1
	s_cbranch_execz .LBB374_673
; %bb.670:                              ;   in Loop: Header=BB374_16 Depth=1
	v_and_b32_e32 v19, 7, v0
	v_mov_b32_e32 v36, v20
	v_lshrrev_b32_e32 v0, 3, v1
	s_mov_b32 s28, exec_lo
	v_mov_b32_e32 v35, v19
	v_cmpx_gt_u32_e32 8, v1
; %bb.671:                              ;   in Loop: Header=BB374_16 Depth=1
	v_ffbh_u32_e32 v0, v19
	v_min_u32_e32 v0, 32, v0
	v_subrev_nc_u32_e32 v1, 28, v0
	v_sub_nc_u32_e32 v0, 29, v0
	v_lshlrev_b64 v[1:2], v1, v[19:20]
	v_and_b32_e32 v35, 7, v1
; %bb.672:                              ;   in Loop: Header=BB374_16 Depth=1
	s_or_b32 exec_lo, exec_lo, s28
	v_lshlrev_b32_e32 v1, 16, v33
	v_lshlrev_b32_e32 v2, 20, v35
	v_lshl_add_u32 v0, v0, 23, 0x3c000000
	v_and_b32_e32 v1, 0x80000000, v1
	v_or3_b32 v51, v2, v1, v0
.LBB374_673:                            ;   in Loop: Header=BB374_16 Depth=1
	s_or_b32 exec_lo, exec_lo, s27
.LBB374_674:                            ;   in Loop: Header=BB374_16 Depth=1
	s_or_b32 exec_lo, exec_lo, s26
.LBB374_675:                            ;   in Loop: Header=BB374_16 Depth=1
	s_or_b32 exec_lo, exec_lo, s25
	v_and_b32_sdwa v2, v33, v67 dst_sel:DWORD dst_unused:UNUSED_PAD src0_sel:WORD_1 src1_sel:DWORD
	v_mov_b32_e32 v0, 0
	v_mov_b32_e32 v1, 0
	s_mov_b32 s25, exec_lo
	v_cmpx_ne_u16_e32 0, v2
	s_cbranch_execz .LBB374_683
; %bb.676:                              ;   in Loop: Header=BB374_16 Depth=1
	v_bfrev_b32_e32 v1, 1
	s_mov_b32 s26, exec_lo
	v_cmpx_ne_u16_e32 0x80, v2
	s_cbranch_execz .LBB374_682
; %bb.677:                              ;   in Loop: Header=BB374_16 Depth=1
	v_bfe_u32 v2, v33, 16, 7
	v_mov_b32_e32 v1, 0x7f800001
	s_mov_b32 s27, exec_lo
	v_cmpx_ne_u32_e32 0x7f, v2
	s_cbranch_execz .LBB374_681
; %bb.678:                              ;   in Loop: Header=BB374_16 Depth=1
	v_and_b32_sdwa v19, v33, v68 dst_sel:DWORD dst_unused:UNUSED_PAD src0_sel:WORD_1 src1_sel:DWORD
	v_mov_b32_e32 v36, v20
	v_lshrrev_b32_e32 v1, 3, v2
	s_mov_b32 s28, exec_lo
	v_mov_b32_e32 v35, v19
	v_cmpx_gt_u32_e32 8, v2
; %bb.679:                              ;   in Loop: Header=BB374_16 Depth=1
	v_ffbh_u32_e32 v1, v19
	v_min_u32_e32 v1, 32, v1
	v_subrev_nc_u32_e32 v2, 28, v1
	v_sub_nc_u32_e32 v1, 29, v1
	v_lshlrev_b64 v[2:3], v2, v[19:20]
	v_and_b32_e32 v35, 7, v2
; %bb.680:                              ;   in Loop: Header=BB374_16 Depth=1
	s_or_b32 exec_lo, exec_lo, s28
	v_lshlrev_b32_sdwa v2, v70, v33 dst_sel:DWORD dst_unused:UNUSED_PAD src0_sel:DWORD src1_sel:WORD_1
	v_lshlrev_b32_e32 v3, 20, v35
	v_lshl_add_u32 v1, v1, 23, 0x3c000000
	v_and_b32_e32 v2, 0x80000000, v2
	v_or3_b32 v1, v3, v2, v1
.LBB374_681:                            ;   in Loop: Header=BB374_16 Depth=1
	s_or_b32 exec_lo, exec_lo, s27
.LBB374_682:                            ;   in Loop: Header=BB374_16 Depth=1
	s_or_b32 exec_lo, exec_lo, s26
.LBB374_683:                            ;   in Loop: Header=BB374_16 Depth=1
	s_or_b32 exec_lo, exec_lo, s25
	s_mov_b32 s25, exec_lo
	v_cmpx_lt_u32_e32 0xffffff, v33
	s_cbranch_execz .LBB374_691
; %bb.684:                              ;   in Loop: Header=BB374_16 Depth=1
	v_cmp_ne_u32_sdwa s5, v33, v22 src0_sel:BYTE_3 src1_sel:DWORD
	v_bfrev_b32_e32 v0, 1
	s_and_saveexec_b32 s26, s5
	s_cbranch_execz .LBB374_690
; %bb.685:                              ;   in Loop: Header=BB374_16 Depth=1
	v_bfe_u32 v2, v33, 24, 7
	v_mov_b32_e32 v0, 0x7f800001
	s_mov_b32 s27, exec_lo
	v_cmpx_ne_u32_e32 0x7f, v2
	s_cbranch_execz .LBB374_689
; %bb.686:                              ;   in Loop: Header=BB374_16 Depth=1
	v_and_b32_sdwa v19, v33, v68 dst_sel:DWORD dst_unused:UNUSED_PAD src0_sel:BYTE_3 src1_sel:DWORD
	v_mov_b32_e32 v36, v20
	v_lshrrev_b32_e32 v0, 3, v2
	s_mov_b32 s28, exec_lo
	v_mov_b32_e32 v35, v19
	v_cmpx_gt_u32_e32 8, v2
; %bb.687:                              ;   in Loop: Header=BB374_16 Depth=1
	v_ffbh_u32_e32 v0, v19
	v_min_u32_e32 v0, 32, v0
	v_subrev_nc_u32_e32 v2, 28, v0
	v_sub_nc_u32_e32 v0, 29, v0
	v_lshlrev_b64 v[2:3], v2, v[19:20]
	v_and_b32_e32 v35, 7, v2
; %bb.688:                              ;   in Loop: Header=BB374_16 Depth=1
	s_or_b32 exec_lo, exec_lo, s28
	v_lshlrev_b32_sdwa v2, v70, v33 dst_sel:DWORD dst_unused:UNUSED_PAD src0_sel:DWORD src1_sel:BYTE_3
	v_lshlrev_b32_e32 v3, 20, v35
	v_lshl_add_u32 v0, v0, 23, 0x3c000000
	v_and_b32_e32 v2, 0x80000000, v2
	v_or3_b32 v0, v3, v2, v0
.LBB374_689:                            ;   in Loop: Header=BB374_16 Depth=1
	s_or_b32 exec_lo, exec_lo, s27
.LBB374_690:                            ;   in Loop: Header=BB374_16 Depth=1
	s_or_b32 exec_lo, exec_lo, s26
.LBB374_691:                            ;   in Loop: Header=BB374_16 Depth=1
	s_or_b32 exec_lo, exec_lo, s25
	v_mov_b32_e32 v19, v34
	v_cmp_ne_u16_sdwa s5, v34, v20 src0_sel:BYTE_0 src1_sel:DWORD
	v_mov_b32_e32 v14, 0
	v_mov_b32_e32 v6, 0
	s_and_saveexec_b32 s25, s5
	s_cbranch_execz .LBB374_699
; %bb.692:                              ;   in Loop: Header=BB374_16 Depth=1
	v_cmp_ne_u16_sdwa s5, v34, v22 src0_sel:BYTE_0 src1_sel:DWORD
	v_bfrev_b32_e32 v6, 1
	s_and_saveexec_b32 s26, s5
	s_cbranch_execz .LBB374_698
; %bb.693:                              ;   in Loop: Header=BB374_16 Depth=1
	v_and_b32_e32 v3, 0x7f, v34
	v_mov_b32_e32 v6, 0x7f800001
	s_mov_b32 s27, exec_lo
	v_cmpx_ne_u32_e32 0x7f, v3
	s_cbranch_execz .LBB374_697
; %bb.694:                              ;   in Loop: Header=BB374_16 Depth=1
	v_mov_b32_e32 v36, v20
	v_lshrrev_b32_e32 v2, 3, v3
	v_mov_b32_e32 v35, v19
	s_mov_b32 s28, exec_lo
	v_cmpx_gt_u32_e32 8, v3
; %bb.695:                              ;   in Loop: Header=BB374_16 Depth=1
	v_and_b32_e32 v2, 7, v34
	v_ffbh_u32_e32 v2, v2
	v_min_u32_e32 v2, 32, v2
	v_subrev_nc_u32_e32 v3, 28, v2
	v_sub_nc_u32_e32 v2, 29, v2
	v_lshlrev_b64 v[35:36], v3, v[19:20]
; %bb.696:                              ;   in Loop: Header=BB374_16 Depth=1
	s_or_b32 exec_lo, exec_lo, s28
	v_lshlrev_b32_e32 v3, 20, v35
	v_lshlrev_b32_e32 v6, 24, v19
	v_lshl_add_u32 v2, v2, 23, 0x3c000000
	v_and_b32_e32 v3, 0x700000, v3
	v_and_b32_e32 v6, 0x80000000, v6
	v_or3_b32 v6, v3, v6, v2
.LBB374_697:                            ;   in Loop: Header=BB374_16 Depth=1
	s_or_b32 exec_lo, exec_lo, s27
.LBB374_698:                            ;   in Loop: Header=BB374_16 Depth=1
	s_or_b32 exec_lo, exec_lo, s26
.LBB374_699:                            ;   in Loop: Header=BB374_16 Depth=1
	s_or_b32 exec_lo, exec_lo, s25
	v_cmp_ne_u16_sdwa s5, v19, v20 src0_sel:BYTE_1 src1_sel:DWORD
	s_and_saveexec_b32 s25, s5
	s_cbranch_execz .LBB374_707
; %bb.700:                              ;   in Loop: Header=BB374_16 Depth=1
	v_cmp_ne_u16_sdwa s5, v19, v22 src0_sel:BYTE_1 src1_sel:DWORD
	v_bfrev_b32_e32 v14, 1
	s_and_saveexec_b32 s26, s5
	s_cbranch_execz .LBB374_706
; %bb.701:                              ;   in Loop: Header=BB374_16 Depth=1
	v_and_b32_sdwa v2, v66, v19 dst_sel:DWORD dst_unused:UNUSED_PAD src0_sel:DWORD src1_sel:BYTE_1
	v_mov_b32_e32 v14, 0x7f800001
	s_mov_b32 s27, exec_lo
	v_and_b32_e32 v3, 0x7f, v2
	v_cmpx_ne_u32_e32 0x7f, v3
	s_cbranch_execz .LBB374_705
; %bb.702:                              ;   in Loop: Header=BB374_16 Depth=1
	v_and_b32_e32 v35, 7, v2
	v_mov_b32_e32 v36, v20
	v_lshrrev_b32_e32 v2, 3, v3
	s_mov_b32 s28, exec_lo
	v_cmpx_gt_u32_e32 8, v3
; %bb.703:                              ;   in Loop: Header=BB374_16 Depth=1
	v_ffbh_u32_e32 v2, v35
	v_min_u32_e32 v2, 32, v2
	v_subrev_nc_u32_e32 v3, 28, v2
	v_sub_nc_u32_e32 v2, 29, v2
	v_lshlrev_b64 v[14:15], v3, v[35:36]
	v_and_b32_e32 v35, 7, v14
; %bb.704:                              ;   in Loop: Header=BB374_16 Depth=1
	s_or_b32 exec_lo, exec_lo, s28
	v_lshlrev_b32_e32 v3, 16, v19
	v_lshlrev_b32_e32 v7, 20, v35
	v_lshl_add_u32 v2, v2, 23, 0x3c000000
	v_and_b32_e32 v3, 0x80000000, v3
	v_or3_b32 v14, v7, v3, v2
.LBB374_705:                            ;   in Loop: Header=BB374_16 Depth=1
	s_or_b32 exec_lo, exec_lo, s27
.LBB374_706:                            ;   in Loop: Header=BB374_16 Depth=1
	s_or_b32 exec_lo, exec_lo, s26
.LBB374_707:                            ;   in Loop: Header=BB374_16 Depth=1
	s_or_b32 exec_lo, exec_lo, s25
	v_and_b32_sdwa v2, v34, v67 dst_sel:DWORD dst_unused:UNUSED_PAD src0_sel:WORD_1 src1_sel:DWORD
	v_mov_b32_e32 v12, 0
	v_mov_b32_e32 v26, 0
	s_mov_b32 s25, exec_lo
	v_cmpx_ne_u16_e32 0, v2
	s_cbranch_execz .LBB374_715
; %bb.708:                              ;   in Loop: Header=BB374_16 Depth=1
	v_bfrev_b32_e32 v26, 1
	s_mov_b32 s26, exec_lo
	v_cmpx_ne_u16_e32 0x80, v2
	s_cbranch_execz .LBB374_714
; %bb.709:                              ;   in Loop: Header=BB374_16 Depth=1
	v_bfe_u32 v3, v34, 16, 7
	v_mov_b32_e32 v26, 0x7f800001
	s_mov_b32 s27, exec_lo
	v_cmpx_ne_u32_e32 0x7f, v3
	s_cbranch_execz .LBB374_713
; %bb.710:                              ;   in Loop: Header=BB374_16 Depth=1
	v_and_b32_sdwa v19, v34, v68 dst_sel:DWORD dst_unused:UNUSED_PAD src0_sel:WORD_1 src1_sel:DWORD
	v_mov_b32_e32 v36, v20
	v_lshrrev_b32_e32 v2, 3, v3
	s_mov_b32 s28, exec_lo
	v_mov_b32_e32 v35, v19
	v_cmpx_gt_u32_e32 8, v3
; %bb.711:                              ;   in Loop: Header=BB374_16 Depth=1
	v_ffbh_u32_e32 v2, v19
	v_min_u32_e32 v2, 32, v2
	v_subrev_nc_u32_e32 v3, 28, v2
	v_sub_nc_u32_e32 v2, 29, v2
	v_lshlrev_b64 v[15:16], v3, v[19:20]
	v_and_b32_e32 v35, 7, v15
; %bb.712:                              ;   in Loop: Header=BB374_16 Depth=1
	s_or_b32 exec_lo, exec_lo, s28
	v_lshlrev_b32_sdwa v3, v70, v34 dst_sel:DWORD dst_unused:UNUSED_PAD src0_sel:DWORD src1_sel:WORD_1
	v_lshlrev_b32_e32 v7, 20, v35
	v_lshl_add_u32 v2, v2, 23, 0x3c000000
	v_and_b32_e32 v3, 0x80000000, v3
	v_or3_b32 v26, v7, v3, v2
.LBB374_713:                            ;   in Loop: Header=BB374_16 Depth=1
	s_or_b32 exec_lo, exec_lo, s27
.LBB374_714:                            ;   in Loop: Header=BB374_16 Depth=1
	s_or_b32 exec_lo, exec_lo, s26
.LBB374_715:                            ;   in Loop: Header=BB374_16 Depth=1
	s_or_b32 exec_lo, exec_lo, s25
	s_mov_b32 s25, exec_lo
	v_cmpx_lt_u64_e64 s[20:21], v[33:34]
	s_cbranch_execz .LBB374_723
; %bb.716:                              ;   in Loop: Header=BB374_16 Depth=1
	v_cmp_ne_u32_sdwa s5, v34, v22 src0_sel:BYTE_3 src1_sel:DWORD
	v_bfrev_b32_e32 v12, 1
	s_and_saveexec_b32 s26, s5
	s_cbranch_execz .LBB374_722
; %bb.717:                              ;   in Loop: Header=BB374_16 Depth=1
	v_bfe_u32 v3, v34, 24, 7
	v_mov_b32_e32 v12, 0x7f800001
	s_mov_b32 s27, exec_lo
	v_cmpx_ne_u32_e32 0x7f, v3
	s_cbranch_execz .LBB374_721
; %bb.718:                              ;   in Loop: Header=BB374_16 Depth=1
	v_and_b32_sdwa v19, v34, v68 dst_sel:DWORD dst_unused:UNUSED_PAD src0_sel:BYTE_3 src1_sel:DWORD
	v_mov_b32_e32 v36, v20
	v_lshrrev_b32_e32 v2, 3, v3
	s_mov_b32 s28, exec_lo
	v_mov_b32_e32 v35, v19
	v_cmpx_gt_u32_e32 8, v3
; %bb.719:                              ;   in Loop: Header=BB374_16 Depth=1
	v_ffbh_u32_e32 v2, v19
	v_min_u32_e32 v2, 32, v2
	v_subrev_nc_u32_e32 v3, 28, v2
	v_sub_nc_u32_e32 v2, 29, v2
	v_lshlrev_b64 v[15:16], v3, v[19:20]
	v_and_b32_e32 v35, 7, v15
; %bb.720:                              ;   in Loop: Header=BB374_16 Depth=1
	s_or_b32 exec_lo, exec_lo, s28
	v_lshlrev_b32_sdwa v3, v70, v34 dst_sel:DWORD dst_unused:UNUSED_PAD src0_sel:DWORD src1_sel:BYTE_3
	v_lshlrev_b32_e32 v7, 20, v35
	v_lshl_add_u32 v2, v2, 23, 0x3c000000
	v_and_b32_e32 v3, 0x80000000, v3
	v_or3_b32 v12, v7, v3, v2
.LBB374_721:                            ;   in Loop: Header=BB374_16 Depth=1
	s_or_b32 exec_lo, exec_lo, s27
.LBB374_722:                            ;   in Loop: Header=BB374_16 Depth=1
	s_or_b32 exec_lo, exec_lo, s26
.LBB374_723:                            ;   in Loop: Header=BB374_16 Depth=1
	s_or_b32 exec_lo, exec_lo, s25
	flat_load_dwordx2 v[31:32], v[31:32] offset:520
	v_mov_b32_e32 v35, 0
	v_mov_b32_e32 v16, 0
	s_waitcnt vmcnt(0) lgkmcnt(0)
	v_cmp_ne_u16_sdwa s5, v31, v20 src0_sel:BYTE_0 src1_sel:DWORD
	s_and_saveexec_b32 s25, s5
	s_cbranch_execz .LBB374_731
; %bb.724:                              ;   in Loop: Header=BB374_16 Depth=1
	v_cmp_ne_u16_sdwa s5, v31, v22 src0_sel:BYTE_0 src1_sel:DWORD
	v_bfrev_b32_e32 v16, 1
	s_and_saveexec_b32 s26, s5
	s_cbranch_execz .LBB374_730
; %bb.725:                              ;   in Loop: Header=BB374_16 Depth=1
	v_and_b32_e32 v3, 0x7f, v31
	v_mov_b32_e32 v16, 0x7f800001
	s_mov_b32 s27, exec_lo
	v_cmpx_ne_u32_e32 0x7f, v3
	s_cbranch_execz .LBB374_729
; %bb.726:                              ;   in Loop: Header=BB374_16 Depth=1
	v_mov_b32_e32 v34, v32
	v_lshrrev_b32_e32 v2, 3, v3
	v_mov_b32_e32 v33, v31
	s_mov_b32 s28, exec_lo
	v_cmpx_gt_u32_e32 8, v3
; %bb.727:                              ;   in Loop: Header=BB374_16 Depth=1
	v_and_b32_e32 v2, 7, v31
	v_ffbh_u32_e32 v2, v2
	v_min_u32_e32 v2, 32, v2
	v_subrev_nc_u32_e32 v3, 28, v2
	v_sub_nc_u32_e32 v2, 29, v2
	v_lshlrev_b64 v[33:34], v3, v[31:32]
; %bb.728:                              ;   in Loop: Header=BB374_16 Depth=1
	s_or_b32 exec_lo, exec_lo, s28
	v_lshlrev_b32_e32 v3, 20, v33
	v_lshlrev_b32_e32 v7, 24, v31
	v_lshl_add_u32 v2, v2, 23, 0x3c000000
	v_and_b32_e32 v3, 0x700000, v3
	v_and_b32_e32 v7, 0x80000000, v7
	v_or3_b32 v16, v3, v7, v2
.LBB374_729:                            ;   in Loop: Header=BB374_16 Depth=1
	s_or_b32 exec_lo, exec_lo, s27
.LBB374_730:                            ;   in Loop: Header=BB374_16 Depth=1
	s_or_b32 exec_lo, exec_lo, s26
.LBB374_731:                            ;   in Loop: Header=BB374_16 Depth=1
	s_or_b32 exec_lo, exec_lo, s25
	v_cmp_ne_u16_sdwa s5, v31, v20 src0_sel:BYTE_1 src1_sel:DWORD
	s_and_saveexec_b32 s25, s5
	s_cbranch_execz .LBB374_739
; %bb.732:                              ;   in Loop: Header=BB374_16 Depth=1
	v_cmp_ne_u16_sdwa s5, v31, v22 src0_sel:BYTE_1 src1_sel:DWORD
	v_bfrev_b32_e32 v35, 1
	s_and_saveexec_b32 s26, s5
	s_cbranch_execz .LBB374_738
; %bb.733:                              ;   in Loop: Header=BB374_16 Depth=1
	v_and_b32_sdwa v2, v66, v31 dst_sel:DWORD dst_unused:UNUSED_PAD src0_sel:DWORD src1_sel:BYTE_1
	v_mov_b32_e32 v35, 0x7f800001
	s_mov_b32 s27, exec_lo
	v_and_b32_e32 v3, 0x7f, v2
	v_cmpx_ne_u32_e32 0x7f, v3
	s_cbranch_execz .LBB374_737
; %bb.734:                              ;   in Loop: Header=BB374_16 Depth=1
	v_and_b32_e32 v19, 7, v2
	v_mov_b32_e32 v34, v20
	v_lshrrev_b32_e32 v2, 3, v3
	s_mov_b32 s28, exec_lo
	v_mov_b32_e32 v33, v19
	v_cmpx_gt_u32_e32 8, v3
; %bb.735:                              ;   in Loop: Header=BB374_16 Depth=1
	v_ffbh_u32_e32 v2, v19
	v_min_u32_e32 v2, 32, v2
	v_subrev_nc_u32_e32 v3, 28, v2
	v_sub_nc_u32_e32 v2, 29, v2
	v_lshlrev_b64 v[33:34], v3, v[19:20]
	v_and_b32_e32 v33, 7, v33
; %bb.736:                              ;   in Loop: Header=BB374_16 Depth=1
	s_or_b32 exec_lo, exec_lo, s28
	v_lshlrev_b32_e32 v3, 16, v31
	v_lshlrev_b32_e32 v7, 20, v33
	v_lshl_add_u32 v2, v2, 23, 0x3c000000
	v_and_b32_e32 v3, 0x80000000, v3
	v_or3_b32 v35, v7, v3, v2
.LBB374_737:                            ;   in Loop: Header=BB374_16 Depth=1
	s_or_b32 exec_lo, exec_lo, s27
.LBB374_738:                            ;   in Loop: Header=BB374_16 Depth=1
	s_or_b32 exec_lo, exec_lo, s26
.LBB374_739:                            ;   in Loop: Header=BB374_16 Depth=1
	s_or_b32 exec_lo, exec_lo, s25
	v_and_b32_sdwa v2, v31, v67 dst_sel:DWORD dst_unused:UNUSED_PAD src0_sel:WORD_1 src1_sel:DWORD
	v_mov_b32_e32 v54, 0
	v_mov_b32_e32 v36, 0
	s_mov_b32 s25, exec_lo
	v_cmpx_ne_u16_e32 0, v2
	s_cbranch_execz .LBB374_747
; %bb.740:                              ;   in Loop: Header=BB374_16 Depth=1
	v_bfrev_b32_e32 v36, 1
	s_mov_b32 s26, exec_lo
	v_cmpx_ne_u16_e32 0x80, v2
	s_cbranch_execz .LBB374_746
; %bb.741:                              ;   in Loop: Header=BB374_16 Depth=1
	v_bfe_u32 v3, v31, 16, 7
	v_mov_b32_e32 v36, 0x7f800001
	s_mov_b32 s27, exec_lo
	v_cmpx_ne_u32_e32 0x7f, v3
	s_cbranch_execz .LBB374_745
; %bb.742:                              ;   in Loop: Header=BB374_16 Depth=1
	v_and_b32_sdwa v19, v31, v68 dst_sel:DWORD dst_unused:UNUSED_PAD src0_sel:WORD_1 src1_sel:DWORD
	v_mov_b32_e32 v34, v20
	v_lshrrev_b32_e32 v2, 3, v3
	s_mov_b32 s28, exec_lo
	v_mov_b32_e32 v33, v19
	v_cmpx_gt_u32_e32 8, v3
; %bb.743:                              ;   in Loop: Header=BB374_16 Depth=1
	v_ffbh_u32_e32 v2, v19
	v_min_u32_e32 v2, 32, v2
	v_subrev_nc_u32_e32 v3, 28, v2
	v_sub_nc_u32_e32 v2, 29, v2
	v_lshlrev_b64 v[33:34], v3, v[19:20]
	v_and_b32_e32 v33, 7, v33
; %bb.744:                              ;   in Loop: Header=BB374_16 Depth=1
	s_or_b32 exec_lo, exec_lo, s28
	v_lshlrev_b32_sdwa v3, v70, v31 dst_sel:DWORD dst_unused:UNUSED_PAD src0_sel:DWORD src1_sel:WORD_1
	v_lshlrev_b32_e32 v7, 20, v33
	v_lshl_add_u32 v2, v2, 23, 0x3c000000
	v_and_b32_e32 v3, 0x80000000, v3
	v_or3_b32 v36, v7, v3, v2
.LBB374_745:                            ;   in Loop: Header=BB374_16 Depth=1
	s_or_b32 exec_lo, exec_lo, s27
.LBB374_746:                            ;   in Loop: Header=BB374_16 Depth=1
	s_or_b32 exec_lo, exec_lo, s26
.LBB374_747:                            ;   in Loop: Header=BB374_16 Depth=1
	s_or_b32 exec_lo, exec_lo, s25
	s_mov_b32 s25, exec_lo
	v_cmpx_lt_u32_e32 0xffffff, v31
	s_cbranch_execz .LBB374_755
; %bb.748:                              ;   in Loop: Header=BB374_16 Depth=1
	v_cmp_ne_u32_sdwa s5, v31, v22 src0_sel:BYTE_3 src1_sel:DWORD
	v_bfrev_b32_e32 v54, 1
	s_and_saveexec_b32 s26, s5
	s_cbranch_execz .LBB374_754
; %bb.749:                              ;   in Loop: Header=BB374_16 Depth=1
	v_bfe_u32 v3, v31, 24, 7
	v_mov_b32_e32 v54, 0x7f800001
	s_mov_b32 s27, exec_lo
	v_cmpx_ne_u32_e32 0x7f, v3
	s_cbranch_execz .LBB374_753
; %bb.750:                              ;   in Loop: Header=BB374_16 Depth=1
	v_and_b32_sdwa v19, v31, v68 dst_sel:DWORD dst_unused:UNUSED_PAD src0_sel:BYTE_3 src1_sel:DWORD
	v_mov_b32_e32 v34, v20
	v_lshrrev_b32_e32 v2, 3, v3
	s_mov_b32 s28, exec_lo
	v_mov_b32_e32 v33, v19
	v_cmpx_gt_u32_e32 8, v3
; %bb.751:                              ;   in Loop: Header=BB374_16 Depth=1
	v_ffbh_u32_e32 v2, v19
	v_min_u32_e32 v2, 32, v2
	v_subrev_nc_u32_e32 v3, 28, v2
	v_sub_nc_u32_e32 v2, 29, v2
	v_lshlrev_b64 v[33:34], v3, v[19:20]
	v_and_b32_e32 v33, 7, v33
; %bb.752:                              ;   in Loop: Header=BB374_16 Depth=1
	s_or_b32 exec_lo, exec_lo, s28
	v_lshlrev_b32_sdwa v3, v70, v31 dst_sel:DWORD dst_unused:UNUSED_PAD src0_sel:DWORD src1_sel:BYTE_3
	v_lshlrev_b32_e32 v7, 20, v33
	v_lshl_add_u32 v2, v2, 23, 0x3c000000
	v_and_b32_e32 v3, 0x80000000, v3
	v_or3_b32 v54, v7, v3, v2
.LBB374_753:                            ;   in Loop: Header=BB374_16 Depth=1
	s_or_b32 exec_lo, exec_lo, s27
.LBB374_754:                            ;   in Loop: Header=BB374_16 Depth=1
	s_or_b32 exec_lo, exec_lo, s26
.LBB374_755:                            ;   in Loop: Header=BB374_16 Depth=1
	s_or_b32 exec_lo, exec_lo, s25
	v_mov_b32_e32 v19, v32
	v_cmp_ne_u16_sdwa s5, v32, v20 src0_sel:BYTE_0 src1_sel:DWORD
	v_mov_b32_e32 v2, 0
	v_mov_b32_e32 v3, 0
	s_and_saveexec_b32 s25, s5
	s_cbranch_execz .LBB374_763
; %bb.756:                              ;   in Loop: Header=BB374_16 Depth=1
	v_cmp_ne_u16_sdwa s5, v32, v22 src0_sel:BYTE_0 src1_sel:DWORD
	v_bfrev_b32_e32 v3, 1
	s_and_saveexec_b32 s26, s5
	s_cbranch_execz .LBB374_762
; %bb.757:                              ;   in Loop: Header=BB374_16 Depth=1
	v_and_b32_e32 v7, 0x7f, v32
	v_mov_b32_e32 v3, 0x7f800001
	s_mov_b32 s27, exec_lo
	v_cmpx_ne_u32_e32 0x7f, v7
	s_cbranch_execz .LBB374_761
; %bb.758:                              ;   in Loop: Header=BB374_16 Depth=1
	v_mov_b32_e32 v34, v20
	v_lshrrev_b32_e32 v3, 3, v7
	v_mov_b32_e32 v33, v19
	s_mov_b32 s28, exec_lo
	v_cmpx_gt_u32_e32 8, v7
; %bb.759:                              ;   in Loop: Header=BB374_16 Depth=1
	v_and_b32_e32 v3, 7, v32
	v_ffbh_u32_e32 v3, v3
	v_min_u32_e32 v3, 32, v3
	v_subrev_nc_u32_e32 v7, 28, v3
	v_sub_nc_u32_e32 v3, 29, v3
	v_lshlrev_b64 v[33:34], v7, v[19:20]
; %bb.760:                              ;   in Loop: Header=BB374_16 Depth=1
	s_or_b32 exec_lo, exec_lo, s28
	v_lshlrev_b32_e32 v7, 20, v33
	v_lshlrev_b32_e32 v15, 24, v19
	v_lshl_add_u32 v3, v3, 23, 0x3c000000
	v_and_b32_e32 v7, 0x700000, v7
	v_and_b32_e32 v15, 0x80000000, v15
	v_or3_b32 v3, v7, v15, v3
.LBB374_761:                            ;   in Loop: Header=BB374_16 Depth=1
	s_or_b32 exec_lo, exec_lo, s27
.LBB374_762:                            ;   in Loop: Header=BB374_16 Depth=1
	s_or_b32 exec_lo, exec_lo, s26
.LBB374_763:                            ;   in Loop: Header=BB374_16 Depth=1
	s_or_b32 exec_lo, exec_lo, s25
	v_cmp_ne_u16_sdwa s5, v19, v20 src0_sel:BYTE_1 src1_sel:DWORD
	s_and_saveexec_b32 s25, s5
	s_cbranch_execz .LBB374_771
; %bb.764:                              ;   in Loop: Header=BB374_16 Depth=1
	v_cmp_ne_u16_sdwa s5, v19, v22 src0_sel:BYTE_1 src1_sel:DWORD
	v_bfrev_b32_e32 v2, 1
	s_and_saveexec_b32 s26, s5
	s_cbranch_execz .LBB374_770
; %bb.765:                              ;   in Loop: Header=BB374_16 Depth=1
	v_and_b32_sdwa v15, v66, v19 dst_sel:DWORD dst_unused:UNUSED_PAD src0_sel:DWORD src1_sel:BYTE_1
	v_mov_b32_e32 v2, 0x7f800001
	s_mov_b32 s27, exec_lo
	v_and_b32_e32 v7, 0x7f, v15
	v_cmpx_ne_u32_e32 0x7f, v7
	s_cbranch_execz .LBB374_769
; %bb.766:                              ;   in Loop: Header=BB374_16 Depth=1
	v_and_b32_e32 v33, 7, v15
	v_mov_b32_e32 v34, v20
	v_lshrrev_b32_e32 v2, 3, v7
	s_mov_b32 s28, exec_lo
	v_cmpx_gt_u32_e32 8, v7
; %bb.767:                              ;   in Loop: Header=BB374_16 Depth=1
	v_ffbh_u32_e32 v2, v33
	v_min_u32_e32 v2, 32, v2
	v_subrev_nc_u32_e32 v7, 28, v2
	v_sub_nc_u32_e32 v2, 29, v2
	v_lshlrev_b64 v[33:34], v7, v[33:34]
	v_and_b32_e32 v33, 7, v33
; %bb.768:                              ;   in Loop: Header=BB374_16 Depth=1
	s_or_b32 exec_lo, exec_lo, s28
	v_lshlrev_b32_e32 v7, 16, v19
	v_lshlrev_b32_e32 v15, 20, v33
	v_lshl_add_u32 v2, v2, 23, 0x3c000000
	v_and_b32_e32 v7, 0x80000000, v7
	v_or3_b32 v2, v15, v7, v2
.LBB374_769:                            ;   in Loop: Header=BB374_16 Depth=1
	s_or_b32 exec_lo, exec_lo, s27
.LBB374_770:                            ;   in Loop: Header=BB374_16 Depth=1
	s_or_b32 exec_lo, exec_lo, s26
.LBB374_771:                            ;   in Loop: Header=BB374_16 Depth=1
	s_or_b32 exec_lo, exec_lo, s25
	v_and_b32_sdwa v19, v32, v67 dst_sel:DWORD dst_unused:UNUSED_PAD src0_sel:WORD_1 src1_sel:DWORD
	v_mov_b32_e32 v7, 0
	v_mov_b32_e32 v15, 0
	s_mov_b32 s25, exec_lo
	v_cmpx_ne_u16_e32 0, v19
	s_cbranch_execz .LBB374_779
; %bb.772:                              ;   in Loop: Header=BB374_16 Depth=1
	v_bfrev_b32_e32 v15, 1
	s_mov_b32 s26, exec_lo
	v_cmpx_ne_u16_e32 0x80, v19
	s_cbranch_execz .LBB374_778
; %bb.773:                              ;   in Loop: Header=BB374_16 Depth=1
	v_bfe_u32 v33, v32, 16, 7
	v_mov_b32_e32 v15, 0x7f800001
	s_mov_b32 s27, exec_lo
	v_cmpx_ne_u32_e32 0x7f, v33
	s_cbranch_execz .LBB374_777
; %bb.774:                              ;   in Loop: Header=BB374_16 Depth=1
	v_and_b32_sdwa v19, v32, v68 dst_sel:DWORD dst_unused:UNUSED_PAD src0_sel:WORD_1 src1_sel:DWORD
	v_lshrrev_b32_e32 v15, 3, v33
	v_cmp_gt_u32_e64 s5, 8, v33
	v_mov_b32_e32 v34, v20
	v_mov_b32_e32 v33, v19
	s_and_saveexec_b32 s28, s5
; %bb.775:                              ;   in Loop: Header=BB374_16 Depth=1
	v_ffbh_u32_e32 v15, v19
	v_min_u32_e32 v15, 32, v15
	v_subrev_nc_u32_e32 v33, 28, v15
	v_sub_nc_u32_e32 v15, 29, v15
	v_lshlrev_b64 v[33:34], v33, v[19:20]
	v_and_b32_e32 v33, 7, v33
; %bb.776:                              ;   in Loop: Header=BB374_16 Depth=1
	s_or_b32 exec_lo, exec_lo, s28
	v_lshlrev_b32_sdwa v19, v70, v32 dst_sel:DWORD dst_unused:UNUSED_PAD src0_sel:DWORD src1_sel:WORD_1
	v_lshlrev_b32_e32 v33, 20, v33
	v_lshl_add_u32 v15, v15, 23, 0x3c000000
	v_and_b32_e32 v19, 0x80000000, v19
	v_or3_b32 v15, v33, v19, v15
.LBB374_777:                            ;   in Loop: Header=BB374_16 Depth=1
	s_or_b32 exec_lo, exec_lo, s27
.LBB374_778:                            ;   in Loop: Header=BB374_16 Depth=1
	s_or_b32 exec_lo, exec_lo, s26
.LBB374_779:                            ;   in Loop: Header=BB374_16 Depth=1
	s_or_b32 exec_lo, exec_lo, s25
	s_mov_b32 s25, exec_lo
	v_cmpx_lt_u64_e64 s[20:21], v[31:32]
	s_cbranch_execz .LBB374_14
; %bb.780:                              ;   in Loop: Header=BB374_16 Depth=1
	v_cmp_ne_u32_sdwa s5, v32, v22 src0_sel:BYTE_3 src1_sel:DWORD
	v_bfrev_b32_e32 v7, 1
	s_and_saveexec_b32 s26, s5
	s_cbranch_execz .LBB374_13
; %bb.781:                              ;   in Loop: Header=BB374_16 Depth=1
	v_bfe_u32 v31, v32, 24, 7
	v_mov_b32_e32 v7, 0x7f800001
	s_mov_b32 s27, exec_lo
	v_cmpx_ne_u32_e32 0x7f, v31
	s_cbranch_execz .LBB374_12
; %bb.782:                              ;   in Loop: Header=BB374_16 Depth=1
	v_and_b32_sdwa v19, v32, v68 dst_sel:DWORD dst_unused:UNUSED_PAD src0_sel:BYTE_3 src1_sel:DWORD
	v_mov_b32_e32 v34, v20
	v_lshrrev_b32_e32 v7, 3, v31
	s_mov_b32 s28, exec_lo
	v_mov_b32_e32 v33, v19
	v_cmpx_gt_u32_e32 8, v31
	s_cbranch_execz .LBB374_11
; %bb.783:                              ;   in Loop: Header=BB374_16 Depth=1
	v_ffbh_u32_e32 v7, v19
	v_min_u32_e32 v7, 32, v7
	v_subrev_nc_u32_e32 v31, 28, v7
	v_sub_nc_u32_e32 v7, 29, v7
	v_lshlrev_b64 v[33:34], v31, v[19:20]
	v_and_b32_e32 v33, 7, v33
	s_branch .LBB374_11
.LBB374_784:
	s_or_b32 exec_lo, exec_lo, s17
	s_clause 0x13
	buffer_load_dword v27, off, s[0:3], s32 offset:632
	buffer_load_dword v34, off, s[0:3], s32 offset:636
	;; [unrolled: 1-line block ×20, first 2 shown]
.LBB374_785:
	s_or_b32 exec_lo, exec_lo, s23
	v_mbcnt_lo_u32_b32 v0, -1, 0
	v_max_f32_e32 v4, v48, v48
	s_waitcnt lgkmcnt(0)
	s_lshr_b32 s8, s22, 16
	v_xor_b32_e32 v1, 16, v0
	v_xor_b32_e32 v3, 8, v0
	v_xor_b32_e32 v5, 4, v0
	v_cmp_gt_i32_e32 vcc_lo, 32, v1
	v_cndmask_b32_e32 v1, v0, v1, vcc_lo
	v_cmp_gt_i32_e32 vcc_lo, 32, v3
	v_lshlrev_b32_e32 v2, 2, v1
	v_cndmask_b32_e32 v3, v0, v3, vcc_lo
	v_cmp_gt_i32_e32 vcc_lo, 32, v5
	ds_bpermute_b32 v1, v2, v48
	v_lshlrev_b32_e32 v3, 2, v3
	v_cndmask_b32_e32 v5, v0, v5, vcc_lo
	s_waitcnt lgkmcnt(0)
	v_max_f32_e32 v1, v1, v1
	v_max_f32_e32 v1, v4, v1
	ds_bpermute_b32 v4, v3, v1
	s_waitcnt lgkmcnt(0)
	v_max_f32_e32 v6, v4, v4
	v_lshlrev_b32_e32 v4, 2, v5
	v_max_f32_e32 v1, v1, v6
	v_xor_b32_e32 v6, 2, v0
	ds_bpermute_b32 v5, v4, v1
	v_cmp_gt_i32_e32 vcc_lo, 32, v6
	v_cndmask_b32_e32 v6, v0, v6, vcc_lo
	v_lshlrev_b32_e32 v35, 2, v6
	v_xor_b32_e32 v6, 1, v0
	v_cmp_gt_i32_e32 vcc_lo, 32, v6
	s_waitcnt lgkmcnt(0)
	v_max_f32_e32 v5, v5, v5
	v_cndmask_b32_e32 v6, v0, v6, vcc_lo
	v_max_f32_e32 v1, v1, v5
	v_lshlrev_b32_e32 v26, 2, v6
	ds_bpermute_b32 v5, v35, v1
	s_waitcnt lgkmcnt(0)
	v_max_f32_e32 v5, v5, v5
	v_max_f32_e32 v0, v1, v5
	buffer_load_dword v5, off, s[0:3], s32 offset:284 ; 4-byte Folded Reload
	ds_bpermute_b32 v1, v26, v0
	s_waitcnt vmcnt(0)
	v_cmp_eq_u32_e32 vcc_lo, 0, v5
	v_lshlrev_b32_e32 v5, 2, v32
	s_and_saveexec_b32 s5, vcc_lo
	s_cbranch_execz .LBB374_787
; %bb.786:
	s_waitcnt lgkmcnt(0)
	v_max_f32_e32 v1, v1, v1
	v_max_f32_e32 v0, v0, v0
	;; [unrolled: 1-line block ×3, first 2 shown]
	ds_write_b32 v5, v0 offset:192
.LBB374_787:
	s_or_b32 exec_lo, exec_lo, s5
	buffer_load_dword v0, off, s[0:3], s32 offset:284 ; 4-byte Folded Reload
	s_waitcnt vmcnt(0) lgkmcnt(0)
	s_waitcnt_vscnt null, 0x0
	s_barrier
	buffer_gl0_inv
	v_cmp_gt_u32_e64 s5, 4, v0
	v_mov_b32_e32 v0, 0xff7fffff
	s_and_saveexec_b32 s6, s5
; %bb.788:
	ds_read_b32 v0, v12 offset:192
; %bb.789:
	s_or_b32 exec_lo, exec_lo, s6
	buffer_load_dword v6, off, s[0:3], s32 offset:212 ; 4-byte Folded Reload
	s_waitcnt lgkmcnt(0)
	ds_bpermute_b32 v1, v35, v0
	v_max_f32_e32 v0, v0, v0
	s_waitcnt lgkmcnt(0)
	v_max_f32_e32 v1, v1, v1
	v_max_f32_e32 v0, v0, v1
	ds_bpermute_b32 v1, v26, v0
	s_waitcnt lgkmcnt(0)
	v_max_f32_e32 v1, v1, v1
	v_max_f32_e32 v0, v0, v1
	s_waitcnt vmcnt(0)
	v_subrev_nc_u32_e32 v7, s13, v6
	v_mov_b32_e32 v6, 0
	v_lshl_add_u32 v1, v7, 5, s7
	ds_bpermute_b32 v0, v6, v0
	v_min_i32_e32 v1, v1, v38
	v_subrev_nc_u32_e32 v1, s7, v1
	v_cmp_lt_i32_e64 s6, v31, v1
	s_and_saveexec_b32 s9, s6
	s_cbranch_execz .LBB374_793
; %bb.790:
	s_getpc_b64 s[20:21]
	s_add_u32 s20, s20, llvm.amdgcn.dynlds.offset.table@rel32@lo+4
	s_addc_u32 s21, s21, llvm.amdgcn.dynlds.offset.table@rel32@hi+12
	s_ashr_i32 s17, s16, 31
	v_mov_b32_e32 v6, 0
	s_lshl_b64 s[22:23], s[16:17], 2
	v_mov_b32_e32 v8, v31
	s_add_u32 s20, s20, s22
	s_addc_u32 s21, s21, s23
	s_mov_b32 s13, 0
	s_load_dword s7, s[20:21], 0x0
	s_waitcnt lgkmcnt(0)
	v_lshl_add_u32 v7, v31, 2, s7
	.p2align	6
.LBB374_791:                            ; =>This Inner Loop Header: Depth=1
	ds_read_b32 v9, v7
	v_add_nc_u32_e32 v8, 0x80, v8
	v_cmp_ge_i32_e64 s7, v8, v1
	s_or_b32 s13, s7, s13
	s_waitcnt lgkmcnt(0)
	v_sub_f32_e32 v9, v9, v0
	v_mul_f32_e32 v9, 0x3fb8aa3b, v9
	v_exp_f32_e32 v9, v9
	ds_write_b32 v7, v9
	v_add_f32_e32 v6, v6, v9
	v_add_nc_u32_e32 v7, 0x200, v7
	s_andn2_b32 exec_lo, exec_lo, s13
	s_cbranch_execnz .LBB374_791
; %bb.792:
	s_or_b32 exec_lo, exec_lo, s13
.LBB374_793:
	s_or_b32 exec_lo, exec_lo, s9
	ds_bpermute_b32 v2, v2, v6
	s_waitcnt lgkmcnt(0)
	v_add_f32_e32 v2, v6, v2
	ds_bpermute_b32 v3, v3, v2
	s_waitcnt lgkmcnt(0)
	v_add_f32_e32 v2, v2, v3
	;; [unrolled: 3-line block ×5, first 2 shown]
	s_and_saveexec_b32 s7, vcc_lo
; %bb.794:
	ds_write_b32 v5, v2 offset:208
; %bb.795:
	s_or_b32 exec_lo, exec_lo, s7
	s_waitcnt lgkmcnt(0)
	s_barrier
	buffer_gl0_inv
	s_and_saveexec_b32 s7, s5
; %bb.796:
	ds_read_b32 v2, v12 offset:208
; %bb.797:
	s_or_b32 exec_lo, exec_lo, s7
	s_waitcnt lgkmcnt(0)
	ds_bpermute_b32 v3, v35, v2
	s_waitcnt lgkmcnt(0)
	v_add_f32_e32 v2, v2, v3
	ds_bpermute_b32 v3, v26, v2
	s_waitcnt lgkmcnt(0)
	v_add_f32_e32 v2, v2, v3
	v_mov_b32_e32 v3, 0
	ds_bpermute_b32 v2, v3, v2
	s_and_saveexec_b32 s5, s6
	s_cbranch_execz .LBB374_800
; %bb.798:
	s_waitcnt lgkmcnt(0)
	v_add_f32_e32 v4, 0x358637bd, v2
	s_getpc_b64 s[6:7]
	s_add_u32 s6, s6, llvm.amdgcn.dynlds.offset.table@rel32@lo+4
	s_addc_u32 s7, s7, llvm.amdgcn.dynlds.offset.table@rel32@hi+12
	s_ashr_i32 s17, s16, 31
	s_lshl_b64 s[20:21], s[16:17], 2
	v_div_scale_f32 v3, null, v4, v4, 1.0
	v_div_scale_f32 v7, vcc_lo, 1.0, v4, 1.0
	s_add_u32 s6, s6, s20
	v_rcp_f32_e32 v5, v3
	s_addc_u32 s7, s7, s21
	s_load_dword s6, s[6:7], 0x0
	v_fma_f32 v6, -v3, v5, 1.0
	v_fmac_f32_e32 v5, v6, v5
	v_mul_f32_e32 v6, v7, v5
	v_fma_f32 v8, -v3, v6, v7
	v_fmac_f32_e32 v6, v8, v5
	v_fma_f32 v3, -v3, v6, v7
	v_div_fmas_f32 v5, v3, v5, v6
	s_waitcnt lgkmcnt(0)
	v_lshl_add_u32 v3, v31, 2, s6
	s_mov_b32 s6, 0
	v_div_fixup_f32 v4, v5, v4, 1.0
	v_mov_b32_e32 v5, v31
.LBB374_799:                            ; =>This Inner Loop Header: Depth=1
	ds_read_b32 v6, v3
	v_add_nc_u32_e32 v5, 0x80, v5
	v_cmp_ge_i32_e32 vcc_lo, v5, v1
	s_or_b32 s6, vcc_lo, s6
	s_waitcnt lgkmcnt(0)
	v_mul_f32_e32 v6, v4, v6
	ds_write_b32 v3, v6
	v_add_nc_u32_e32 v3, 0x200, v3
	s_andn2_b32 exec_lo, exec_lo, s6
	s_cbranch_execnz .LBB374_799
.LBB374_800:
	s_or_b32 exec_lo, exec_lo, s5
	s_and_b32 s5, 0xffff, s8
	s_mov_b32 s8, exec_lo
	s_cmp_lg_u32 s5, 0
	s_waitcnt lgkmcnt(0)
	s_cselect_b32 s5, -1, 0
	s_barrier
	s_cmp_lg_u32 s5, 0
	buffer_gl0_inv
	s_addc_u32 s5, s11, 0
	s_mul_i32 s6, s5, s18
	s_mul_i32 s6, s6, s15
	v_cmpx_eq_u32_e32 0, v31
	s_cbranch_execz .LBB374_802
; %bb.801:
	s_ashr_i32 s7, s6, 31
	s_mul_i32 s12, s5, s12
	s_lshl_b64 s[20:21], s[6:7], 2
	s_ashr_i32 s13, s12, 31
	v_add_co_u32 v1, vcc_lo, v37, s20
	v_add_co_ci_u32_e64 v3, null, s21, v36, vcc_lo
	s_lshl_b64 s[12:13], s[12:13], 2
	s_ashr_i32 s15, s14, 31
	v_add_co_u32 v1, vcc_lo, v1, s12
	v_add_co_ci_u32_e64 v4, null, s13, v3, vcc_lo
	v_add_co_u32 v3, vcc_lo, v33, s20
	v_add_co_ci_u32_e64 v5, null, s21, v22, vcc_lo
	s_lshl_b64 s[20:21], s[14:15], 2
	v_add_co_u32 v6, vcc_lo, v3, s12
	v_add_co_ci_u32_e64 v7, null, s13, v5, vcc_lo
	v_add_co_u32 v3, vcc_lo, v1, s20
	v_add_co_ci_u32_e64 v4, null, s21, v4, vcc_lo
	;; [unrolled: 2-line block ×3, first 2 shown]
	flat_store_dword v[3:4], v0
	flat_store_dword v[5:6], v2
.LBB374_802:
	s_or_b32 exec_lo, exec_lo, s8
	s_ashr_i32 s17, s16, 31
	s_getpc_b64 s[8:9]
	s_add_u32 s8, s8, llvm.amdgcn.dynlds.offset.table@rel32@lo+4
	s_addc_u32 s9, s9, llvm.amdgcn.dynlds.offset.table@rel32@hi+12
	s_lshl_b64 s[12:13], s[16:17], 2
	v_mov_b32_e32 v24, 0
	v_and_b32_e32 v28, 3, v31
	v_mov_b32_e32 v25, 0
	v_mov_b32_e32 v23, 0
	;; [unrolled: 1-line block ×11, first 2 shown]
	s_add_u32 s8, s8, s12
	s_addc_u32 s9, s9, s13
	s_and_saveexec_b32 s7, s4
	s_cbranch_execz .LBB374_1600
; %bb.803:
	v_max_i32_e32 v30, v30, v54
	v_mov_b32_e32 v7, 0
	v_mov_b32_e32 v8, 0
	buffer_store_dword v35, off, s[0:3], s32 offset:316 ; 4-byte Folded Spill
	buffer_store_dword v26, off, s[0:3], s32 offset:312 ; 4-byte Folded Spill
	v_lshlrev_b32_e32 v2, 3, v31
	v_cvt_f32_u32_e32 v0, v30
	buffer_store_dword v7, off, s[0:3], s32 offset:232 ; 4-byte Folded Spill
	v_mov_b32_e32 v7, 0
	buffer_store_dword v8, off, s[0:3], s32 offset:240 ; 4-byte Folded Spill
	v_mov_b32_e32 v8, 0
	v_rcp_iflag_f32_e32 v5, v0
	v_add_nc_u32_e32 v0, -1, v53
	buffer_store_dword v7, off, s[0:3], s32 offset:236 ; 4-byte Folded Spill
	v_sub_nc_u32_e32 v7, 0, v30
	buffer_store_dword v8, off, s[0:3], s32 offset:244 ; 4-byte Folded Spill
	v_mov_b32_e32 v8, 0
	buffer_store_dword v0, off, s[0:3], s32 offset:296 ; 4-byte Folded Spill
	v_lshlrev_b64 v[0:1], 2, v[17:18]
	v_add_co_u32 v3, vcc_lo, v10, v39
	v_mul_f32_e32 v5, 0x4f7ffffe, v5
	buffer_store_dword v8, off, s[0:3], s32 offset:248 ; 4-byte Folded Spill
	v_mov_b32_e32 v8, 0
	v_add_co_ci_u32_e64 v4, null, v11, v64, vcc_lo
	v_cvt_u32_f32_e32 v5, v5
	v_add_co_u32 v0, vcc_lo, v50, v0
	buffer_store_dword v8, off, s[0:3], s32 offset:252 ; 4-byte Folded Spill
	v_and_b32_e32 v8, 24, v2
	v_mul_lo_u32 v7, v7, v5
	v_and_b32_e32 v2, 0xf8, v2
	v_add_co_ci_u32_e64 v1, null, v51, v1, vcc_lo
	s_load_dword s4, s[8:9], 0x0
	buffer_store_dword v28, off, s[0:3], s32 offset:320 ; 4-byte Folded Spill
	v_add_co_u32 v2, vcc_lo, v3, v2
	v_mul_hi_u32 v7, v5, v7
	v_add_co_ci_u32_e64 v3, null, 0, v4, vcc_lo
	v_add_co_u32 v14, vcc_lo, v14, v0
	buffer_store_dword v8, off, s[0:3], s32 offset:300 ; 4-byte Folded Spill
	buffer_store_dword v2, off, s[0:3], s32 offset:304 ; 4-byte Folded Spill
	;; [unrolled: 1-line block ×3, first 2 shown]
	v_lshlrev_b32_e32 v6, 5, v28
	v_add_nc_u32_e32 v0, v5, v7
	v_mov_b32_e32 v11, 0
	v_mov_b32_e32 v70, 0x80
	;; [unrolled: 1-line block ×3, first 2 shown]
	v_lshl_or_b32 v6, v32, 7, v6
	buffer_store_dword v0, off, s[0:3], s32 offset:276 ; 4-byte Folded Spill
	v_mov_b32_e32 v0, 0
	v_mov_b32_e32 v19, 0
	v_add_co_ci_u32_e64 v15, null, v15, v1, vcc_lo
	s_waitcnt lgkmcnt(0)
	v_add_nc_u32_e32 v84, s4, v6
	buffer_store_dword v0, off, s[0:3], s32 offset:256 ; 4-byte Folded Spill
	v_mov_b32_e32 v0, 0
	s_mov_b32 s12, -1
	s_mov_b32 s13, 0xffffff
	s_mov_b32 s11, 0
	buffer_store_dword v0, off, s[0:3], s32 offset:260 ; 4-byte Folded Spill
	v_mov_b32_e32 v0, 0
	buffer_store_dword v0, off, s[0:3], s32 offset:264 ; 4-byte Folded Spill
	v_mov_b32_e32 v0, 0
	buffer_store_dword v0, off, s[0:3], s32 offset:272 ; 4-byte Folded Spill
	v_mov_b32_e32 v0, 0
	buffer_store_dword v0, off, s[0:3], s32 offset:268 ; 4-byte Folded Spill
	s_branch .LBB374_806
.LBB374_804:                            ;   in Loop: Header=BB374_806 Depth=1
	s_or_b32 exec_lo, exec_lo, s4
	v_bfe_u32 v53, v6, 16, 1
	v_or_b32_e32 v71, 0x400000, v6
	v_cmp_u_f32_e32 vcc_lo, v6, v6
	v_lshlrev_b32_e32 v51, 16, v51
	v_lshlrev_b32_e32 v16, 16, v16
	v_add3_u32 v53, v53, v6, 0x7fff
	v_lshlrev_b32_e32 v33, 16, v33
	v_lshlrev_b32_e32 v34, 16, v34
	;; [unrolled: 1-line block ×4, first 2 shown]
	v_cndmask_b32_e32 v6, v53, v71, vcc_lo
	v_bfe_u32 v53, v7, 16, 1
	v_or_b32_e32 v71, 0x400000, v7
	v_cmp_u_f32_e32 vcc_lo, v7, v7
	v_lshlrev_b32_e32 v35, 16, v35
	v_lshlrev_b32_e32 v13, 16, v13
	v_add3_u32 v53, v53, v7, 0x7fff
	v_lshlrev_b32_e32 v29, 16, v29
	v_lshlrev_b32_e32 v28, 16, v28
	v_lshlrev_b32_e32 v12, 16, v12
	v_lshlrev_b32_e32 v5, 16, v5
	v_cndmask_b32_e32 v7, v53, v71, vcc_lo
	v_bfe_u32 v53, v8, 16, 1
	v_or_b32_e32 v71, 0x400000, v8
	v_cmp_u_f32_e32 vcc_lo, v8, v8
	v_lshlrev_b32_e32 v4, 16, v4
	v_and_b32_e32 v7, 0xffff0000, v7
	v_add3_u32 v53, v53, v8, 0x7fff
	v_lshlrev_b32_e32 v26, 16, v26
	v_lshlrev_b32_e32 v22, 16, v22
	v_mul_f32_e32 v13, v7, v13
	v_cndmask_b32_e32 v8, v53, v71, vcc_lo
	v_bfe_u32 v53, v9, 16, 1
	v_or_b32_e32 v71, 0x400000, v9
	v_cmp_u_f32_e32 vcc_lo, v9, v9
	v_and_b32_e32 v8, 0xffff0000, v8
	v_add3_u32 v53, v53, v9, 0x7fff
	v_bfe_u32 v9, v0, 16, 1
	v_mul_f32_e32 v34, v8, v34
	v_cndmask_b32_e32 v53, v53, v71, vcc_lo
	v_add3_u32 v9, v9, v0, 0x7fff
	v_or_b32_e32 v71, 0x400000, v0
	v_cmp_u_f32_e32 vcc_lo, v0, v0
	v_cndmask_b32_e32 v0, v9, v71, vcc_lo
	v_bfe_u32 v9, v1, 16, 1
	v_or_b32_e32 v71, 0x400000, v1
	v_cmp_u_f32_e32 vcc_lo, v1, v1
	v_add3_u32 v9, v9, v1, 0x7fff
	v_cndmask_b32_e32 v1, v9, v71, vcc_lo
	v_bfe_u32 v9, v2, 16, 1
	v_or_b32_e32 v71, 0x400000, v2
	v_cmp_u_f32_e32 vcc_lo, v2, v2
	v_and_b32_e32 v1, 0xffff0000, v1
	v_add3_u32 v9, v9, v2, 0x7fff
	v_mul_f32_e32 v31, v1, v31
	v_cndmask_b32_e32 v2, v9, v71, vcc_lo
	v_bfe_u32 v9, v3, 16, 1
	v_or_b32_e32 v71, 0x400000, v3
	v_cmp_u_f32_e32 vcc_lo, v3, v3
	v_mul_f32_e32 v5, v1, v5
	v_and_b32_e32 v2, 0xffff0000, v2
	v_add3_u32 v9, v9, v3, 0x7fff
	v_lshlrev_b32_e32 v3, 16, v54
	v_mul_f32_e32 v16, v2, v16
	v_cndmask_b32_e32 v71, v9, v71, vcc_lo
	v_mul_f32_e32 v3, v7, v3
	v_mul_f32_e32 v35, v2, v35
	;; [unrolled: 1-line block ×4, first 2 shown]
	v_bfe_u32 v9, v3, 16, 1
	v_or_b32_e32 v54, 0x400000, v3
	v_cmp_u_f32_e32 vcc_lo, v3, v3
	v_add3_u32 v9, v9, v3, 0x7fff
	v_lshlrev_b32_e32 v3, 16, v50
	v_cndmask_b32_e32 v54, v9, v54, vcc_lo
	v_and_b32_e32 v9, 0xffff0000, v6
	v_and_b32_e32 v54, 0xffff0000, v54
	v_mul_f32_e32 v3, v9, v3
	v_bfe_u32 v6, v3, 16, 1
	v_or_b32_e32 v50, 0x400000, v3
	v_cmp_u_f32_e32 vcc_lo, v3, v3
	v_add3_u32 v6, v6, v3, 0x7fff
	v_and_b32_e32 v3, 0xffff0000, v53
	v_cndmask_b32_e32 v50, v6, v50, vcc_lo
	v_lshlrev_b32_e32 v6, 16, v67
	v_mul_f32_e32 v33, v3, v33
	v_and_b32_e32 v50, 0xffff0000, v50
	v_mul_f32_e32 v6, v3, v6
	v_add_f32_e32 v50, v50, v54
	v_bfe_u32 v53, v6, 16, 1
	v_or_b32_e32 v67, 0x400000, v6
	v_cmp_u_f32_e32 vcc_lo, v6, v6
	v_add3_u32 v53, v53, v6, 0x7fff
	v_lshlrev_b32_e32 v6, 16, v68
	v_cndmask_b32_e32 v53, v53, v67, vcc_lo
	v_mul_f32_e32 v6, v8, v6
	v_and_b32_e32 v53, 0xffff0000, v53
	v_bfe_u32 v67, v6, 16, 1
	v_or_b32_e32 v68, 0x400000, v6
	v_cmp_u_f32_e32 vcc_lo, v6, v6
	v_add3_u32 v67, v67, v6, 0x7fff
	v_lshlrev_b32_e32 v6, 16, v65
	v_cndmask_b32_e32 v67, v67, v68, vcc_lo
	v_mul_f32_e32 v6, v1, v6
	v_and_b32_e32 v54, 0xffff0000, v67
	v_bfe_u32 v65, v6, 16, 1
	v_or_b32_e32 v68, 0x400000, v6
	v_cmp_u_f32_e32 vcc_lo, v6, v6
	v_add_f32_e32 v53, v54, v53
	v_add3_u32 v65, v65, v6, 0x7fff
	v_and_b32_e32 v6, 0xffff0000, v0
	v_lshlrev_b32_e32 v0, 16, v66
	v_add_f32_e32 v50, v50, v53
	v_cndmask_b32_e32 v65, v65, v68, vcc_lo
	v_mul_f32_e32 v32, v6, v32
	v_mul_f32_e32 v0, v6, v0
	;; [unrolled: 1-line block ×4, first 2 shown]
	v_and_b32_e32 v54, 0xffff0000, v65
	v_bfe_u32 v66, v0, 16, 1
	v_or_b32_e32 v68, 0x400000, v0
	v_cmp_u_f32_e32 vcc_lo, v0, v0
	v_add3_u32 v66, v66, v0, 0x7fff
	v_and_b32_e32 v0, 0xffff0000, v71
	v_cndmask_b32_e32 v66, v66, v68, vcc_lo
	v_mul_f32_e32 v51, v0, v51
	v_mul_f32_e32 v28, v0, v28
	;; [unrolled: 1-line block ×3, first 2 shown]
	v_and_b32_e32 v53, 0xffff0000, v66
	v_bfe_u32 v68, v51, 16, 1
	v_or_b32_e32 v71, 0x400000, v51
	v_cmp_u_f32_e32 vcc_lo, v51, v51
	v_add_f32_e32 v53, v53, v54
	v_add3_u32 v68, v68, v51, 0x7fff
	v_add_f32_e32 v50, v50, v53
	v_cndmask_b32_e32 v51, v68, v71, vcc_lo
	v_bfe_u32 v68, v16, 16, 1
	v_or_b32_e32 v71, 0x400000, v16
	v_cmp_u_f32_e32 vcc_lo, v16, v16
	v_and_b32_e32 v51, 0xffff0000, v51
	v_add3_u32 v68, v68, v16, 0x7fff
	v_cndmask_b32_e32 v16, v68, v71, vcc_lo
	v_and_b32_e32 v16, 0xffff0000, v16
	v_add_f32_e32 v16, v16, v51
	v_add_f32_e32 v16, v50, v16
	buffer_load_dword v50, off, s[0:3], s32 offset:232 ; 4-byte Folded Reload
	s_waitcnt vmcnt(0)
	v_add_f32_e32 v50, v50, v16
	v_lshlrev_b32_e32 v16, 16, v36
	buffer_store_dword v50, off, s[0:3], s32 offset:232 ; 4-byte Folded Spill
	v_mul_f32_e32 v16, v7, v16
	v_bfe_u32 v36, v16, 16, 1
	v_or_b32_e32 v50, 0x400000, v16
	v_cmp_u_f32_e32 vcc_lo, v16, v16
	v_add3_u32 v36, v36, v16, 0x7fff
	v_cndmask_b32_e32 v16, v36, v50, vcc_lo
	v_lshlrev_b32_e32 v36, 16, v55
	v_and_b32_e32 v16, 0xffff0000, v16
	v_mul_f32_e32 v36, v9, v36
	v_bfe_u32 v50, v36, 16, 1
	v_or_b32_e32 v51, 0x400000, v36
	v_cmp_u_f32_e32 vcc_lo, v36, v36
	v_add3_u32 v50, v50, v36, 0x7fff
	v_cndmask_b32_e32 v36, v50, v51, vcc_lo
	v_bfe_u32 v50, v33, 16, 1
	v_or_b32_e32 v51, 0x400000, v33
	v_cmp_u_f32_e32 vcc_lo, v33, v33
	v_and_b32_e32 v36, 0xffff0000, v36
	v_add3_u32 v50, v50, v33, 0x7fff
	v_add_f32_e32 v16, v36, v16
	v_cndmask_b32_e32 v33, v50, v51, vcc_lo
	v_bfe_u32 v50, v34, 16, 1
	v_or_b32_e32 v51, 0x400000, v34
	v_cmp_u_f32_e32 vcc_lo, v34, v34
	v_and_b32_e32 v33, 0xffff0000, v33
	v_add3_u32 v50, v50, v34, 0x7fff
	v_cndmask_b32_e32 v34, v50, v51, vcc_lo
	v_bfe_u32 v50, v31, 16, 1
	v_or_b32_e32 v51, 0x400000, v31
	v_cmp_u_f32_e32 vcc_lo, v31, v31
	v_and_b32_e32 v34, 0xffff0000, v34
	v_add3_u32 v50, v50, v31, 0x7fff
	v_add_f32_e32 v33, v34, v33
	v_cndmask_b32_e32 v31, v50, v51, vcc_lo
	v_bfe_u32 v50, v32, 16, 1
	v_or_b32_e32 v51, 0x400000, v32
	v_cmp_u_f32_e32 vcc_lo, v32, v32
	v_add_f32_e32 v16, v16, v33
	v_and_b32_e32 v31, 0xffff0000, v31
	v_add3_u32 v50, v50, v32, 0x7fff
	v_cndmask_b32_e32 v32, v50, v51, vcc_lo
	v_lshlrev_b32_e32 v50, 16, v64
	v_and_b32_e32 v32, 0xffff0000, v32
	v_mul_f32_e32 v50, v0, v50
	v_add_f32_e32 v31, v32, v31
	v_bfe_u32 v51, v50, 16, 1
	v_or_b32_e32 v53, 0x400000, v50
	v_cmp_u_f32_e32 vcc_lo, v50, v50
	v_add_f32_e32 v16, v16, v31
	v_add3_u32 v51, v51, v50, 0x7fff
	v_cndmask_b32_e32 v50, v51, v53, vcc_lo
	v_bfe_u32 v51, v35, 16, 1
	v_or_b32_e32 v53, 0x400000, v35
	v_cmp_u_f32_e32 vcc_lo, v35, v35
	v_and_b32_e32 v32, 0xffff0000, v50
	v_add3_u32 v51, v51, v35, 0x7fff
	v_cndmask_b32_e32 v35, v51, v53, vcc_lo
	v_cmp_u_f32_e32 vcc_lo, v13, v13
	v_and_b32_e32 v31, 0xffff0000, v35
	v_add_f32_e32 v31, v31, v32
	v_add_f32_e32 v16, v16, v31
	buffer_load_dword v31, off, s[0:3], s32 offset:236 ; 4-byte Folded Reload
	s_waitcnt vmcnt(0)
	v_add_f32_e32 v31, v31, v16
	v_bfe_u32 v16, v13, 16, 1
	buffer_store_dword v31, off, s[0:3], s32 offset:236 ; 4-byte Folded Spill
	v_add3_u32 v16, v16, v13, 0x7fff
	v_or_b32_e32 v31, 0x400000, v13
	v_cndmask_b32_e32 v13, v16, v31, vcc_lo
	v_lshlrev_b32_e32 v16, 16, v25
	v_and_b32_e32 v13, 0xffff0000, v13
	v_mul_f32_e32 v16, v9, v16
	v_bfe_u32 v25, v16, 16, 1
	v_or_b32_e32 v31, 0x400000, v16
	v_cmp_u_f32_e32 vcc_lo, v16, v16
	v_add3_u32 v25, v25, v16, 0x7fff
	v_cndmask_b32_e32 v16, v25, v31, vcc_lo
	v_lshlrev_b32_e32 v25, 16, v69
	v_and_b32_e32 v16, 0xffff0000, v16
	v_mul_f32_e32 v25, v3, v25
	v_add_f32_e32 v13, v16, v13
	v_bfe_u32 v31, v25, 16, 1
	v_or_b32_e32 v32, 0x400000, v25
	v_cmp_u_f32_e32 vcc_lo, v25, v25
	v_add3_u32 v31, v31, v25, 0x7fff
	v_cndmask_b32_e32 v25, v31, v32, vcc_lo
	v_lshlrev_b32_e32 v31, 16, v83
	v_and_b32_e32 v25, 0xffff0000, v25
	v_mul_f32_e32 v31, v8, v31
	v_bfe_u32 v32, v31, 16, 1
	v_or_b32_e32 v33, 0x400000, v31
	v_cmp_u_f32_e32 vcc_lo, v31, v31
	v_add3_u32 v32, v32, v31, 0x7fff
	v_cndmask_b32_e32 v31, v32, v33, vcc_lo
	v_lshlrev_b32_e32 v32, 16, v127
	v_and_b32_e32 v16, 0xffff0000, v31
	v_mul_f32_e32 v32, v1, v32
	v_add_f32_e32 v16, v16, v25
	v_bfe_u32 v33, v32, 16, 1
	v_or_b32_e32 v34, 0x400000, v32
	v_cmp_u_f32_e32 vcc_lo, v32, v32
	v_add_f32_e32 v13, v13, v16
	v_add3_u32 v33, v33, v32, 0x7fff
	v_cndmask_b32_e32 v32, v33, v34, vcc_lo
	v_bfe_u32 v33, v29, 16, 1
	v_or_b32_e32 v34, 0x400000, v29
	v_cmp_u_f32_e32 vcc_lo, v29, v29
	v_and_b32_e32 v25, 0xffff0000, v32
	v_add3_u32 v33, v33, v29, 0x7fff
	v_cndmask_b32_e32 v29, v33, v34, vcc_lo
	v_bfe_u32 v33, v28, 16, 1
	v_or_b32_e32 v34, 0x400000, v28
	v_cmp_u_f32_e32 vcc_lo, v28, v28
	v_and_b32_e32 v16, 0xffff0000, v29
	v_add3_u32 v33, v33, v28, 0x7fff
	v_add_f32_e32 v16, v16, v25
	v_cndmask_b32_e32 v28, v33, v34, vcc_lo
	v_bfe_u32 v33, v12, 16, 1
	v_or_b32_e32 v34, 0x400000, v12
	v_cmp_u_f32_e32 vcc_lo, v12, v12
	v_add_f32_e32 v13, v13, v16
	v_and_b32_e32 v16, 0xffff0000, v28
	v_add3_u32 v33, v33, v12, 0x7fff
	v_cndmask_b32_e32 v12, v33, v34, vcc_lo
	v_and_b32_e32 v12, 0xffff0000, v12
	v_add_f32_e32 v12, v12, v16
	v_add_f32_e32 v12, v13, v12
	buffer_load_dword v13, off, s[0:3], s32 offset:240 ; 4-byte Folded Reload
	s_waitcnt vmcnt(0)
	v_add_f32_e32 v13, v13, v12
	v_lshlrev_b32_e32 v12, 16, v124
	buffer_store_dword v13, off, s[0:3], s32 offset:240 ; 4-byte Folded Spill
	v_mul_f32_e32 v12, v7, v12
	v_bfe_u32 v13, v12, 16, 1
	v_or_b32_e32 v16, 0x400000, v12
	v_cmp_u_f32_e32 vcc_lo, v12, v12
	v_add3_u32 v13, v13, v12, 0x7fff
	v_cndmask_b32_e32 v12, v13, v16, vcc_lo
	v_lshlrev_b32_e32 v13, 16, v125
	v_and_b32_e32 v12, 0xffff0000, v12
	v_mul_f32_e32 v13, v9, v13
	v_bfe_u32 v16, v13, 16, 1
	v_or_b32_e32 v25, 0x400000, v13
	v_cmp_u_f32_e32 vcc_lo, v13, v13
	v_add3_u32 v16, v16, v13, 0x7fff
	v_cndmask_b32_e32 v13, v16, v25, vcc_lo
	v_lshlrev_b32_e32 v16, 16, v121
	v_and_b32_e32 v13, 0xffff0000, v13
	v_mul_f32_e32 v16, v3, v16
	v_add_f32_e32 v12, v13, v12
	v_bfe_u32 v25, v16, 16, 1
	v_or_b32_e32 v28, 0x400000, v16
	v_cmp_u_f32_e32 vcc_lo, v16, v16
	v_add3_u32 v25, v25, v16, 0x7fff
	v_cndmask_b32_e32 v16, v25, v28, vcc_lo
	v_lshlrev_b32_e32 v25, 16, v122
	v_and_b32_e32 v16, 0xffff0000, v16
	v_mul_f32_e32 v25, v8, v25
	v_bfe_u32 v28, v25, 16, 1
	v_or_b32_e32 v29, 0x400000, v25
	v_cmp_u_f32_e32 vcc_lo, v25, v25
	v_add3_u32 v28, v28, v25, 0x7fff
	v_cndmask_b32_e32 v25, v28, v29, vcc_lo
	v_lshlrev_b32_e32 v28, 16, v111
	v_and_b32_e32 v13, 0xffff0000, v25
	v_mul_f32_e32 v28, v1, v28
	v_add_f32_e32 v13, v13, v16
	v_bfe_u32 v29, v28, 16, 1
	v_or_b32_e32 v31, 0x400000, v28
	v_cmp_u_f32_e32 vcc_lo, v28, v28
	v_add_f32_e32 v12, v12, v13
	v_add3_u32 v29, v29, v28, 0x7fff
	v_cndmask_b32_e32 v28, v29, v31, vcc_lo
	v_lshlrev_b32_e32 v29, 16, v120
	v_and_b32_e32 v16, 0xffff0000, v28
	v_mul_f32_e32 v29, v6, v29
	v_bfe_u32 v31, v29, 16, 1
	v_or_b32_e32 v32, 0x400000, v29
	v_cmp_u_f32_e32 vcc_lo, v29, v29
	v_add3_u32 v31, v31, v29, 0x7fff
	v_cndmask_b32_e32 v29, v31, v32, vcc_lo
	v_lshlrev_b32_e32 v31, 16, v126
	v_and_b32_e32 v13, 0xffff0000, v29
	v_mul_f32_e32 v31, v0, v31
	v_add_f32_e32 v13, v13, v16
	v_bfe_u32 v32, v31, 16, 1
	v_or_b32_e32 v33, 0x400000, v31
	v_cmp_u_f32_e32 vcc_lo, v31, v31
	v_add_f32_e32 v12, v12, v13
	v_add3_u32 v32, v32, v31, 0x7fff
	v_cndmask_b32_e32 v31, v32, v33, vcc_lo
	v_lshlrev_b32_e32 v32, 16, v123
	v_and_b32_e32 v16, 0xffff0000, v31
	v_mul_f32_e32 v32, v2, v32
	v_bfe_u32 v33, v32, 16, 1
	v_or_b32_e32 v34, 0x400000, v32
	v_cmp_u_f32_e32 vcc_lo, v32, v32
	v_add3_u32 v33, v33, v32, 0x7fff
	v_cndmask_b32_e32 v32, v33, v34, vcc_lo
	v_and_b32_e32 v13, 0xffff0000, v32
	v_add_f32_e32 v13, v13, v16
	v_add_f32_e32 v12, v12, v13
	buffer_load_dword v13, off, s[0:3], s32 offset:244 ; 4-byte Folded Reload
	s_waitcnt vmcnt(0)
	v_add_f32_e32 v13, v13, v12
	v_lshlrev_b32_e32 v12, 16, v108
	buffer_store_dword v13, off, s[0:3], s32 offset:244 ; 4-byte Folded Spill
	v_mul_f32_e32 v12, v7, v12
	v_bfe_u32 v13, v12, 16, 1
	v_or_b32_e32 v16, 0x400000, v12
	v_cmp_u_f32_e32 vcc_lo, v12, v12
	v_add3_u32 v13, v13, v12, 0x7fff
	v_cndmask_b32_e32 v12, v13, v16, vcc_lo
	v_lshlrev_b32_e32 v13, 16, v109
	v_and_b32_e32 v12, 0xffff0000, v12
	v_mul_f32_e32 v13, v9, v13
	v_bfe_u32 v16, v13, 16, 1
	v_or_b32_e32 v25, 0x400000, v13
	v_cmp_u_f32_e32 vcc_lo, v13, v13
	v_add3_u32 v16, v16, v13, 0x7fff
	v_cndmask_b32_e32 v13, v16, v25, vcc_lo
	v_lshlrev_b32_e32 v16, 16, v105
	v_and_b32_e32 v13, 0xffff0000, v13
	v_mul_f32_e32 v16, v3, v16
	v_add_f32_e32 v12, v13, v12
	v_bfe_u32 v25, v16, 16, 1
	v_or_b32_e32 v28, 0x400000, v16
	v_cmp_u_f32_e32 vcc_lo, v16, v16
	v_add3_u32 v25, v25, v16, 0x7fff
	v_cndmask_b32_e32 v16, v25, v28, vcc_lo
	v_lshlrev_b32_e32 v25, 16, v106
	v_and_b32_e32 v16, 0xffff0000, v16
	v_mul_f32_e32 v25, v8, v25
	v_bfe_u32 v28, v25, 16, 1
	v_or_b32_e32 v29, 0x400000, v25
	v_cmp_u_f32_e32 vcc_lo, v25, v25
	v_add3_u32 v28, v28, v25, 0x7fff
	v_cndmask_b32_e32 v25, v28, v29, vcc_lo
	v_lshlrev_b32_e32 v28, 16, v95
	v_and_b32_e32 v13, 0xffff0000, v25
	v_mul_f32_e32 v28, v1, v28
	v_add_f32_e32 v13, v13, v16
	v_bfe_u32 v29, v28, 16, 1
	v_or_b32_e32 v31, 0x400000, v28
	v_cmp_u_f32_e32 vcc_lo, v28, v28
	v_add_f32_e32 v12, v12, v13
	v_add3_u32 v29, v29, v28, 0x7fff
	v_cndmask_b32_e32 v28, v29, v31, vcc_lo
	v_lshlrev_b32_e32 v29, 16, v104
	v_and_b32_e32 v16, 0xffff0000, v28
	v_mul_f32_e32 v29, v6, v29
	v_bfe_u32 v31, v29, 16, 1
	v_or_b32_e32 v32, 0x400000, v29
	v_cmp_u_f32_e32 vcc_lo, v29, v29
	v_add3_u32 v31, v31, v29, 0x7fff
	v_cndmask_b32_e32 v29, v31, v32, vcc_lo
	v_lshlrev_b32_e32 v31, 16, v110
	v_and_b32_e32 v13, 0xffff0000, v29
	v_mul_f32_e32 v31, v0, v31
	v_add_f32_e32 v13, v13, v16
	v_bfe_u32 v32, v31, 16, 1
	v_or_b32_e32 v33, 0x400000, v31
	v_cmp_u_f32_e32 vcc_lo, v31, v31
	v_add_f32_e32 v12, v12, v13
	v_add3_u32 v32, v32, v31, 0x7fff
	v_cndmask_b32_e32 v31, v32, v33, vcc_lo
	v_lshlrev_b32_e32 v32, 16, v107
	v_and_b32_e32 v16, 0xffff0000, v31
	v_mul_f32_e32 v32, v2, v32
	v_bfe_u32 v33, v32, 16, 1
	v_or_b32_e32 v34, 0x400000, v32
	v_cmp_u_f32_e32 vcc_lo, v32, v32
	v_add3_u32 v33, v33, v32, 0x7fff
	v_cndmask_b32_e32 v32, v33, v34, vcc_lo
	v_and_b32_e32 v13, 0xffff0000, v32
	v_add_f32_e32 v13, v13, v16
	v_add_f32_e32 v12, v12, v13
	buffer_load_dword v13, off, s[0:3], s32 offset:248 ; 4-byte Folded Reload
	s_waitcnt vmcnt(0)
	v_add_f32_e32 v13, v13, v12
	v_lshlrev_b32_e32 v12, 16, v94
	buffer_store_dword v13, off, s[0:3], s32 offset:248 ; 4-byte Folded Spill
	v_mul_f32_e32 v12, v7, v12
	v_bfe_u32 v13, v12, 16, 1
	v_or_b32_e32 v16, 0x400000, v12
	v_cmp_u_f32_e32 vcc_lo, v12, v12
	v_add3_u32 v13, v13, v12, 0x7fff
	v_cndmask_b32_e32 v12, v13, v16, vcc_lo
	v_lshlrev_b32_e32 v13, 16, v93
	v_and_b32_e32 v12, 0xffff0000, v12
	v_mul_f32_e32 v13, v9, v13
	v_bfe_u32 v16, v13, 16, 1
	v_or_b32_e32 v25, 0x400000, v13
	v_cmp_u_f32_e32 vcc_lo, v13, v13
	v_add3_u32 v16, v16, v13, 0x7fff
	v_cndmask_b32_e32 v13, v16, v25, vcc_lo
	v_lshlrev_b32_e32 v16, 16, v91
	v_and_b32_e32 v13, 0xffff0000, v13
	v_mul_f32_e32 v16, v3, v16
	v_add_f32_e32 v12, v13, v12
	v_bfe_u32 v25, v16, 16, 1
	v_or_b32_e32 v28, 0x400000, v16
	v_cmp_u_f32_e32 vcc_lo, v16, v16
	v_add3_u32 v25, v25, v16, 0x7fff
	v_cndmask_b32_e32 v16, v25, v28, vcc_lo
	v_lshlrev_b32_e32 v25, 16, v92
	v_and_b32_e32 v16, 0xffff0000, v16
	v_mul_f32_e32 v25, v8, v25
	v_bfe_u32 v28, v25, 16, 1
	v_or_b32_e32 v29, 0x400000, v25
	v_cmp_u_f32_e32 vcc_lo, v25, v25
	v_add3_u32 v28, v28, v25, 0x7fff
	v_cndmask_b32_e32 v25, v28, v29, vcc_lo
	v_lshlrev_b32_e32 v28, 16, v88
	v_and_b32_e32 v13, 0xffff0000, v25
	v_mul_f32_e32 v28, v1, v28
	v_add_f32_e32 v13, v13, v16
	v_bfe_u32 v29, v28, 16, 1
	v_or_b32_e32 v31, 0x400000, v28
	v_cmp_u_f32_e32 vcc_lo, v28, v28
	v_add_f32_e32 v12, v12, v13
	v_add3_u32 v29, v29, v28, 0x7fff
	v_cndmask_b32_e32 v28, v29, v31, vcc_lo
	v_lshlrev_b32_e32 v29, 16, v79
	v_and_b32_e32 v16, 0xffff0000, v28
	v_mul_f32_e32 v29, v6, v29
	v_bfe_u32 v31, v29, 16, 1
	v_or_b32_e32 v32, 0x400000, v29
	v_cmp_u_f32_e32 vcc_lo, v29, v29
	v_add3_u32 v31, v31, v29, 0x7fff
	v_cndmask_b32_e32 v29, v31, v32, vcc_lo
	v_lshlrev_b32_e32 v31, 16, v90
	v_and_b32_e32 v13, 0xffff0000, v29
	v_mul_f32_e32 v31, v0, v31
	v_add_f32_e32 v13, v13, v16
	v_bfe_u32 v32, v31, 16, 1
	v_or_b32_e32 v33, 0x400000, v31
	v_cmp_u_f32_e32 vcc_lo, v31, v31
	v_add_f32_e32 v12, v12, v13
	v_add3_u32 v32, v32, v31, 0x7fff
	v_cndmask_b32_e32 v31, v32, v33, vcc_lo
	v_lshlrev_b32_e32 v32, 16, v89
	v_and_b32_e32 v16, 0xffff0000, v31
	v_mul_f32_e32 v32, v2, v32
	v_bfe_u32 v33, v32, 16, 1
	v_or_b32_e32 v34, 0x400000, v32
	v_cmp_u_f32_e32 vcc_lo, v32, v32
	v_add3_u32 v33, v33, v32, 0x7fff
	v_cndmask_b32_e32 v32, v33, v34, vcc_lo
	v_and_b32_e32 v13, 0xffff0000, v32
	v_add_f32_e32 v13, v13, v16
	v_add_f32_e32 v12, v12, v13
	buffer_load_dword v13, off, s[0:3], s32 offset:252 ; 4-byte Folded Reload
	s_waitcnt vmcnt(0)
	v_add_f32_e32 v13, v13, v12
	v_lshlrev_b32_e32 v12, 16, v48
	buffer_store_dword v13, off, s[0:3], s32 offset:252 ; 4-byte Folded Spill
	v_mul_f32_e32 v12, v7, v12
	v_bfe_u32 v13, v12, 16, 1
	v_or_b32_e32 v16, 0x400000, v12
	v_cmp_u_f32_e32 vcc_lo, v12, v12
	v_add3_u32 v13, v13, v12, 0x7fff
	v_cndmask_b32_e32 v12, v13, v16, vcc_lo
	v_lshlrev_b32_e32 v13, 16, v39
	v_and_b32_e32 v12, 0xffff0000, v12
	v_mul_f32_e32 v13, v9, v13
	v_bfe_u32 v16, v13, 16, 1
	v_or_b32_e32 v25, 0x400000, v13
	v_cmp_u_f32_e32 vcc_lo, v13, v13
	v_add3_u32 v16, v16, v13, 0x7fff
	v_cndmask_b32_e32 v13, v16, v25, vcc_lo
	v_lshlrev_b32_e32 v16, 16, v27
	v_and_b32_e32 v13, 0xffff0000, v13
	v_mul_f32_e32 v16, v3, v16
	v_add_f32_e32 v12, v13, v12
	v_bfe_u32 v25, v16, 16, 1
	v_or_b32_e32 v27, 0x400000, v16
	v_cmp_u_f32_e32 vcc_lo, v16, v16
	v_add3_u32 v25, v25, v16, 0x7fff
	v_cndmask_b32_e32 v16, v25, v27, vcc_lo
	v_lshlrev_b32_e32 v25, 16, v37
	v_and_b32_e32 v16, 0xffff0000, v16
	v_mul_f32_e32 v25, v8, v25
	v_bfe_u32 v27, v25, 16, 1
	v_or_b32_e32 v28, 0x400000, v25
	v_cmp_u_f32_e32 vcc_lo, v25, v25
	v_add3_u32 v27, v27, v25, 0x7fff
	v_cndmask_b32_e32 v25, v27, v28, vcc_lo
	v_bfe_u32 v27, v5, 16, 1
	v_or_b32_e32 v28, 0x400000, v5
	v_cmp_u_f32_e32 vcc_lo, v5, v5
	v_and_b32_e32 v13, 0xffff0000, v25
	v_add3_u32 v27, v27, v5, 0x7fff
	v_add_f32_e32 v13, v13, v16
	v_cndmask_b32_e32 v5, v27, v28, vcc_lo
	v_bfe_u32 v27, v4, 16, 1
	v_or_b32_e32 v28, 0x400000, v4
	v_cmp_u_f32_e32 vcc_lo, v4, v4
	v_add_f32_e32 v12, v12, v13
	v_and_b32_e32 v5, 0xffff0000, v5
	v_add3_u32 v27, v27, v4, 0x7fff
	v_cndmask_b32_e32 v4, v27, v28, vcc_lo
	v_bfe_u32 v27, v26, 16, 1
	v_or_b32_e32 v28, 0x400000, v26
	v_cmp_u_f32_e32 vcc_lo, v26, v26
	v_and_b32_e32 v4, 0xffff0000, v4
	v_add3_u32 v27, v27, v26, 0x7fff
	v_add_f32_e32 v4, v4, v5
	v_cndmask_b32_e32 v26, v27, v28, vcc_lo
	v_bfe_u32 v27, v22, 16, 1
	v_or_b32_e32 v28, 0x400000, v22
	v_cmp_u_f32_e32 vcc_lo, v22, v22
	v_add_f32_e32 v4, v12, v4
	v_and_b32_e32 v12, 0xffff0000, v26
	v_add3_u32 v27, v27, v22, 0x7fff
	v_cndmask_b32_e32 v22, v27, v28, vcc_lo
	v_and_b32_e32 v5, 0xffff0000, v22
	v_add_f32_e32 v5, v5, v12
	v_add_f32_e32 v4, v4, v5
	buffer_load_dword v5, off, s[0:3], s32 offset:256 ; 4-byte Folded Reload
	s_waitcnt vmcnt(0)
	v_add_f32_e32 v5, v5, v4
	v_lshlrev_b32_e32 v4, 16, v78
	buffer_store_dword v5, off, s[0:3], s32 offset:256 ; 4-byte Folded Spill
	v_mul_f32_e32 v4, v7, v4
	v_bfe_u32 v5, v4, 16, 1
	v_or_b32_e32 v12, 0x400000, v4
	v_cmp_u_f32_e32 vcc_lo, v4, v4
	v_add3_u32 v5, v5, v4, 0x7fff
	v_cndmask_b32_e32 v4, v5, v12, vcc_lo
	v_lshlrev_b32_e32 v5, 16, v77
	v_and_b32_e32 v4, 0xffff0000, v4
	v_mul_f32_e32 v5, v9, v5
	v_bfe_u32 v12, v5, 16, 1
	v_or_b32_e32 v13, 0x400000, v5
	v_cmp_u_f32_e32 vcc_lo, v5, v5
	v_add3_u32 v12, v12, v5, 0x7fff
	v_cndmask_b32_e32 v5, v12, v13, vcc_lo
	v_lshlrev_b32_e32 v12, 16, v75
	v_and_b32_e32 v5, 0xffff0000, v5
	v_mul_f32_e32 v12, v3, v12
	v_add_f32_e32 v4, v5, v4
	v_bfe_u32 v13, v12, 16, 1
	v_or_b32_e32 v16, 0x400000, v12
	v_cmp_u_f32_e32 vcc_lo, v12, v12
	v_add3_u32 v13, v13, v12, 0x7fff
	v_cndmask_b32_e32 v12, v13, v16, vcc_lo
	v_lshlrev_b32_e32 v13, 16, v76
	v_and_b32_e32 v12, 0xffff0000, v12
	v_mul_f32_e32 v13, v8, v13
	v_bfe_u32 v16, v13, 16, 1
	v_or_b32_e32 v22, 0x400000, v13
	v_cmp_u_f32_e32 vcc_lo, v13, v13
	v_add3_u32 v16, v16, v13, 0x7fff
	v_cndmask_b32_e32 v13, v16, v22, vcc_lo
	v_lshlrev_b32_e32 v16, 16, v72
	v_and_b32_e32 v5, 0xffff0000, v13
	v_mul_f32_e32 v16, v1, v16
	v_add_f32_e32 v5, v5, v12
	v_bfe_u32 v22, v16, 16, 1
	v_or_b32_e32 v25, 0x400000, v16
	v_cmp_u_f32_e32 vcc_lo, v16, v16
	v_add_f32_e32 v4, v4, v5
	v_add3_u32 v22, v22, v16, 0x7fff
	v_cndmask_b32_e32 v16, v22, v25, vcc_lo
	v_lshlrev_b32_e32 v22, 16, v63
	v_and_b32_e32 v12, 0xffff0000, v16
	v_mul_f32_e32 v22, v6, v22
	v_bfe_u32 v25, v22, 16, 1
	v_or_b32_e32 v26, 0x400000, v22
	v_cmp_u_f32_e32 vcc_lo, v22, v22
	v_add3_u32 v25, v25, v22, 0x7fff
	v_cndmask_b32_e32 v22, v25, v26, vcc_lo
	v_lshlrev_b32_e32 v25, 16, v74
	v_and_b32_e32 v5, 0xffff0000, v22
	v_mul_f32_e32 v25, v0, v25
	v_add_f32_e32 v5, v5, v12
	v_bfe_u32 v26, v25, 16, 1
	v_or_b32_e32 v27, 0x400000, v25
	v_cmp_u_f32_e32 vcc_lo, v25, v25
	v_add_f32_e32 v4, v4, v5
	v_add3_u32 v26, v26, v25, 0x7fff
	v_cndmask_b32_e32 v25, v26, v27, vcc_lo
	v_lshlrev_b32_e32 v26, 16, v73
	v_and_b32_e32 v12, 0xffff0000, v25
	v_mul_f32_e32 v26, v2, v26
	v_bfe_u32 v27, v26, 16, 1
	v_or_b32_e32 v28, 0x400000, v26
	v_cmp_u_f32_e32 vcc_lo, v26, v26
	v_add3_u32 v27, v27, v26, 0x7fff
	v_cndmask_b32_e32 v26, v27, v28, vcc_lo
	v_and_b32_e32 v5, 0xffff0000, v26
	v_add_f32_e32 v5, v5, v12
	v_add_f32_e32 v4, v4, v5
	buffer_load_dword v5, off, s[0:3], s32 offset:260 ; 4-byte Folded Reload
	s_waitcnt vmcnt(0)
	v_add_f32_e32 v5, v5, v4
	v_lshlrev_b32_e32 v4, 16, v46
	buffer_store_dword v5, off, s[0:3], s32 offset:260 ; 4-byte Folded Spill
	v_mul_f32_e32 v4, v7, v4
	v_bfe_u32 v5, v4, 16, 1
	v_or_b32_e32 v12, 0x400000, v4
	v_cmp_u_f32_e32 vcc_lo, v4, v4
	v_add3_u32 v5, v5, v4, 0x7fff
	v_cndmask_b32_e32 v4, v5, v12, vcc_lo
	v_lshlrev_b32_e32 v5, 16, v45
	v_and_b32_e32 v4, 0xffff0000, v4
	v_mul_f32_e32 v5, v9, v5
	v_bfe_u32 v12, v5, 16, 1
	v_or_b32_e32 v13, 0x400000, v5
	v_cmp_u_f32_e32 vcc_lo, v5, v5
	v_add3_u32 v12, v12, v5, 0x7fff
	v_cndmask_b32_e32 v5, v12, v13, vcc_lo
	v_lshlrev_b32_e32 v12, 16, v42
	v_and_b32_e32 v5, 0xffff0000, v5
	v_mul_f32_e32 v12, v3, v12
	v_add_f32_e32 v4, v5, v4
	v_bfe_u32 v13, v12, 16, 1
	v_or_b32_e32 v16, 0x400000, v12
	v_cmp_u_f32_e32 vcc_lo, v12, v12
	v_add3_u32 v13, v13, v12, 0x7fff
	v_cndmask_b32_e32 v12, v13, v16, vcc_lo
	v_lshlrev_b32_e32 v13, 16, v43
	v_and_b32_e32 v12, 0xffff0000, v12
	v_mul_f32_e32 v13, v8, v13
	v_bfe_u32 v16, v13, 16, 1
	v_or_b32_e32 v22, 0x400000, v13
	v_cmp_u_f32_e32 vcc_lo, v13, v13
	v_add3_u32 v16, v16, v13, 0x7fff
	v_cndmask_b32_e32 v13, v16, v22, vcc_lo
	v_lshlrev_b32_e32 v16, 16, v40
	v_and_b32_e32 v5, 0xffff0000, v13
	v_mul_f32_e32 v16, v1, v16
	v_add_f32_e32 v5, v5, v12
	v_bfe_u32 v22, v16, 16, 1
	v_or_b32_e32 v25, 0x400000, v16
	v_cmp_u_f32_e32 vcc_lo, v16, v16
	v_add_f32_e32 v4, v4, v5
	v_add3_u32 v22, v22, v16, 0x7fff
	v_cndmask_b32_e32 v16, v22, v25, vcc_lo
	v_lshlrev_b32_e32 v22, 16, v119
	v_and_b32_e32 v12, 0xffff0000, v16
	v_mul_f32_e32 v22, v6, v22
	v_bfe_u32 v25, v22, 16, 1
	v_or_b32_e32 v26, 0x400000, v22
	v_cmp_u_f32_e32 vcc_lo, v22, v22
	v_add3_u32 v25, v25, v22, 0x7fff
	v_cndmask_b32_e32 v22, v25, v26, vcc_lo
	v_lshlrev_b32_e32 v25, 16, v41
	v_and_b32_e32 v5, 0xffff0000, v22
	v_mul_f32_e32 v25, v0, v25
	v_add_f32_e32 v5, v5, v12
	v_bfe_u32 v26, v25, 16, 1
	v_or_b32_e32 v27, 0x400000, v25
	v_cmp_u_f32_e32 vcc_lo, v25, v25
	v_add_f32_e32 v4, v4, v5
	v_add3_u32 v26, v26, v25, 0x7fff
	v_cndmask_b32_e32 v25, v26, v27, vcc_lo
	v_lshlrev_b32_e32 v26, 16, v118
	v_and_b32_e32 v12, 0xffff0000, v25
	v_mul_f32_e32 v26, v2, v26
	v_bfe_u32 v27, v26, 16, 1
	v_or_b32_e32 v28, 0x400000, v26
	v_cmp_u_f32_e32 vcc_lo, v26, v26
	v_add3_u32 v27, v27, v26, 0x7fff
	v_cndmask_b32_e32 v26, v27, v28, vcc_lo
	v_and_b32_e32 v5, 0xffff0000, v26
	v_add_f32_e32 v5, v5, v12
	v_add_f32_e32 v4, v4, v5
	buffer_load_dword v5, off, s[0:3], s32 offset:264 ; 4-byte Folded Reload
	s_waitcnt vmcnt(0)
	v_add_f32_e32 v5, v5, v4
	v_lshlrev_b32_e32 v4, 16, v117
	buffer_store_dword v5, off, s[0:3], s32 offset:264 ; 4-byte Folded Spill
	v_mul_f32_e32 v4, v7, v4
	v_bfe_u32 v5, v4, 16, 1
	v_or_b32_e32 v12, 0x400000, v4
	v_cmp_u_f32_e32 vcc_lo, v4, v4
	v_add3_u32 v5, v5, v4, 0x7fff
	v_cndmask_b32_e32 v4, v5, v12, vcc_lo
	v_lshlrev_b32_e32 v5, 16, v116
	v_and_b32_e32 v4, 0xffff0000, v4
	v_mul_f32_e32 v5, v9, v5
	v_bfe_u32 v12, v5, 16, 1
	v_or_b32_e32 v13, 0x400000, v5
	v_cmp_u_f32_e32 vcc_lo, v5, v5
	v_add3_u32 v12, v12, v5, 0x7fff
	v_cndmask_b32_e32 v5, v12, v13, vcc_lo
	v_lshlrev_b32_e32 v12, 16, v114
	v_and_b32_e32 v5, 0xffff0000, v5
	v_mul_f32_e32 v12, v3, v12
	v_add_f32_e32 v4, v5, v4
	v_bfe_u32 v13, v12, 16, 1
	v_or_b32_e32 v16, 0x400000, v12
	v_cmp_u_f32_e32 vcc_lo, v12, v12
	v_add3_u32 v13, v13, v12, 0x7fff
	v_cndmask_b32_e32 v12, v13, v16, vcc_lo
	v_lshlrev_b32_e32 v13, 16, v115
	v_and_b32_e32 v12, 0xffff0000, v12
	v_mul_f32_e32 v13, v8, v13
	v_bfe_u32 v16, v13, 16, 1
	v_or_b32_e32 v22, 0x400000, v13
	v_cmp_u_f32_e32 vcc_lo, v13, v13
	v_add3_u32 v16, v16, v13, 0x7fff
	v_cndmask_b32_e32 v13, v16, v22, vcc_lo
	v_lshlrev_b32_e32 v16, 16, v113
	v_and_b32_e32 v5, 0xffff0000, v13
	v_mul_f32_e32 v16, v1, v16
	v_add_f32_e32 v5, v5, v12
	v_bfe_u32 v22, v16, 16, 1
	v_or_b32_e32 v25, 0x400000, v16
	v_cmp_u_f32_e32 vcc_lo, v16, v16
	v_add_f32_e32 v4, v4, v5
	v_add3_u32 v22, v22, v16, 0x7fff
	v_cndmask_b32_e32 v16, v22, v25, vcc_lo
	v_lshlrev_b32_e32 v22, 16, v103
	v_and_b32_e32 v12, 0xffff0000, v16
	v_mul_f32_e32 v22, v6, v22
	v_bfe_u32 v25, v22, 16, 1
	v_or_b32_e32 v26, 0x400000, v22
	v_cmp_u_f32_e32 vcc_lo, v22, v22
	v_add3_u32 v25, v25, v22, 0x7fff
	v_cndmask_b32_e32 v22, v25, v26, vcc_lo
	v_lshlrev_b32_e32 v25, 16, v112
	v_and_b32_e32 v5, 0xffff0000, v22
	v_mul_f32_e32 v25, v0, v25
	v_add_f32_e32 v5, v5, v12
	v_bfe_u32 v26, v25, 16, 1
	v_or_b32_e32 v27, 0x400000, v25
	v_cmp_u_f32_e32 vcc_lo, v25, v25
	v_add_f32_e32 v4, v4, v5
	v_add3_u32 v26, v26, v25, 0x7fff
	v_cndmask_b32_e32 v25, v26, v27, vcc_lo
	v_lshlrev_b32_e32 v26, 16, v102
	v_and_b32_e32 v12, 0xffff0000, v25
	v_mul_f32_e32 v26, v2, v26
	v_bfe_u32 v27, v26, 16, 1
	v_or_b32_e32 v28, 0x400000, v26
	v_cmp_u_f32_e32 vcc_lo, v26, v26
	v_add3_u32 v27, v27, v26, 0x7fff
	v_cndmask_b32_e32 v26, v27, v28, vcc_lo
	v_and_b32_e32 v5, 0xffff0000, v26
	v_add_f32_e32 v5, v5, v12
	v_add_f32_e32 v4, v4, v5
	buffer_load_dword v5, off, s[0:3], s32 offset:272 ; 4-byte Folded Reload
	s_waitcnt vmcnt(0)
	v_add_f32_e32 v5, v5, v4
	v_lshlrev_b32_e32 v4, 16, v101
	buffer_store_dword v5, off, s[0:3], s32 offset:272 ; 4-byte Folded Spill
	v_mul_f32_e32 v4, v7, v4
	v_bfe_u32 v5, v4, 16, 1
	v_or_b32_e32 v12, 0x400000, v4
	v_cmp_u_f32_e32 vcc_lo, v4, v4
	v_add3_u32 v5, v5, v4, 0x7fff
	v_cndmask_b32_e32 v4, v5, v12, vcc_lo
	v_lshlrev_b32_e32 v5, 16, v100
	v_and_b32_e32 v4, 0xffff0000, v4
	v_mul_f32_e32 v5, v9, v5
	v_bfe_u32 v12, v5, 16, 1
	v_or_b32_e32 v13, 0x400000, v5
	v_cmp_u_f32_e32 vcc_lo, v5, v5
	v_add3_u32 v12, v12, v5, 0x7fff
	v_cndmask_b32_e32 v5, v12, v13, vcc_lo
	v_lshlrev_b32_e32 v12, 16, v98
	v_and_b32_e32 v5, 0xffff0000, v5
	v_mul_f32_e32 v12, v3, v12
	v_add_f32_e32 v4, v5, v4
	v_bfe_u32 v13, v12, 16, 1
	v_or_b32_e32 v16, 0x400000, v12
	v_cmp_u_f32_e32 vcc_lo, v12, v12
	v_add3_u32 v13, v13, v12, 0x7fff
	v_cndmask_b32_e32 v12, v13, v16, vcc_lo
	v_lshlrev_b32_e32 v13, 16, v99
	v_and_b32_e32 v12, 0xffff0000, v12
	v_mul_f32_e32 v13, v8, v13
	v_bfe_u32 v16, v13, 16, 1
	v_or_b32_e32 v22, 0x400000, v13
	v_cmp_u_f32_e32 vcc_lo, v13, v13
	v_add3_u32 v16, v16, v13, 0x7fff
	v_cndmask_b32_e32 v13, v16, v22, vcc_lo
	v_lshlrev_b32_e32 v16, 16, v97
	v_and_b32_e32 v5, 0xffff0000, v13
	v_mul_f32_e32 v16, v1, v16
	v_add_f32_e32 v5, v5, v12
	v_bfe_u32 v22, v16, 16, 1
	v_or_b32_e32 v25, 0x400000, v16
	v_cmp_u_f32_e32 vcc_lo, v16, v16
	v_add_f32_e32 v4, v4, v5
	v_add3_u32 v22, v22, v16, 0x7fff
	v_cndmask_b32_e32 v16, v22, v25, vcc_lo
	v_lshlrev_b32_e32 v22, 16, v87
	v_and_b32_e32 v12, 0xffff0000, v16
	v_mul_f32_e32 v22, v6, v22
	v_bfe_u32 v25, v22, 16, 1
	v_or_b32_e32 v26, 0x400000, v22
	v_cmp_u_f32_e32 vcc_lo, v22, v22
	v_add3_u32 v25, v25, v22, 0x7fff
	v_cndmask_b32_e32 v22, v25, v26, vcc_lo
	v_lshlrev_b32_e32 v25, 16, v96
	v_and_b32_e32 v5, 0xffff0000, v22
	v_mul_f32_e32 v25, v0, v25
	v_add_f32_e32 v5, v5, v12
	v_bfe_u32 v26, v25, 16, 1
	v_or_b32_e32 v27, 0x400000, v25
	v_cmp_u_f32_e32 vcc_lo, v25, v25
	v_add_f32_e32 v4, v4, v5
	v_add3_u32 v26, v26, v25, 0x7fff
	v_cndmask_b32_e32 v25, v26, v27, vcc_lo
	buffer_load_dword v26, off, s[0:3], s32 offset:224 ; 4-byte Folded Reload
	v_and_b32_e32 v12, 0xffff0000, v25
	s_waitcnt vmcnt(0)
	v_lshlrev_b32_e32 v26, 16, v26
	v_mul_f32_e32 v26, v2, v26
	v_bfe_u32 v27, v26, 16, 1
	v_or_b32_e32 v28, 0x400000, v26
	v_cmp_u_f32_e32 vcc_lo, v26, v26
	v_add3_u32 v27, v27, v26, 0x7fff
	v_cndmask_b32_e32 v26, v27, v28, vcc_lo
	v_and_b32_e32 v5, 0xffff0000, v26
	v_add_f32_e32 v5, v5, v12
	v_add_f32_e32 v4, v4, v5
	buffer_load_dword v5, off, s[0:3], s32 offset:268 ; 4-byte Folded Reload
	s_waitcnt vmcnt(0)
	v_add_f32_e32 v5, v5, v4
	v_lshlrev_b32_e32 v4, 16, v85
	buffer_store_dword v5, off, s[0:3], s32 offset:268 ; 4-byte Folded Spill
	v_mul_f32_e32 v4, v9, v4
	v_bfe_u32 v5, v4, 16, 1
	v_or_b32_e32 v9, 0x400000, v4
	v_cmp_u_f32_e32 vcc_lo, v4, v4
	v_add3_u32 v5, v5, v4, 0x7fff
	v_cndmask_b32_e32 v4, v5, v9, vcc_lo
	v_lshlrev_b32_e32 v5, 16, v24
	v_and_b32_e32 v4, 0xffff0000, v4
	v_mul_f32_e32 v5, v7, v5
	v_bfe_u32 v7, v5, 16, 1
	v_or_b32_e32 v9, 0x400000, v5
	v_cmp_u_f32_e32 vcc_lo, v5, v5
	v_add3_u32 v7, v7, v5, 0x7fff
	v_cndmask_b32_e32 v5, v7, v9, vcc_lo
	v_lshlrev_b32_e32 v7, 16, v21
	v_and_b32_e32 v5, 0xffff0000, v5
	v_mul_f32_e32 v7, v8, v7
	v_add_f32_e32 v4, v4, v5
	v_bfe_u32 v8, v7, 16, 1
	v_or_b32_e32 v9, 0x400000, v7
	v_cmp_u_f32_e32 vcc_lo, v7, v7
	v_add3_u32 v8, v8, v7, 0x7fff
	v_cndmask_b32_e32 v7, v8, v9, vcc_lo
	v_lshlrev_b32_e32 v8, 16, v19
	buffer_load_dword v19, off, s[0:3], s32 offset:280 ; 4-byte Folded Reload
	v_and_b32_e32 v5, 0xffff0000, v7
	v_mul_f32_e32 v3, v3, v8
	v_bfe_u32 v8, v3, 16, 1
	v_or_b32_e32 v9, 0x400000, v3
	v_cmp_u_f32_e32 vcc_lo, v3, v3
	v_add3_u32 v8, v8, v3, 0x7fff
	v_cndmask_b32_e32 v3, v8, v9, vcc_lo
	v_lshlrev_b32_e32 v8, 16, v18
	v_and_b32_e32 v3, 0xffff0000, v3
	v_mul_f32_e32 v6, v6, v8
	v_add_f32_e32 v3, v5, v3
	v_bfe_u32 v8, v6, 16, 1
	v_or_b32_e32 v9, 0x400000, v6
	v_cmp_u_f32_e32 vcc_lo, v6, v6
	v_add_f32_e32 v3, v4, v3
	v_add3_u32 v8, v8, v6, 0x7fff
	v_cndmask_b32_e32 v6, v8, v9, vcc_lo
	v_lshlrev_b32_e32 v8, 16, v10
	v_and_b32_e32 v4, 0xffff0000, v6
	v_mul_f32_e32 v1, v1, v8
	v_bfe_u32 v8, v1, 16, 1
	v_or_b32_e32 v9, 0x400000, v1
	v_cmp_u_f32_e32 vcc_lo, v1, v1
	v_add3_u32 v8, v8, v1, 0x7fff
	v_cndmask_b32_e32 v1, v8, v9, vcc_lo
	v_lshlrev_b32_e32 v8, 16, v20
	v_and_b32_e32 v1, 0xffff0000, v1
	v_mul_f32_e32 v2, v2, v8
	v_add_f32_e32 v1, v4, v1
	v_bfe_u32 v8, v2, 16, 1
	v_or_b32_e32 v9, 0x400000, v2
	v_cmp_u_f32_e32 vcc_lo, v2, v2
	v_add_f32_e32 v1, v3, v1
	v_add3_u32 v8, v8, v2, 0x7fff
	v_cndmask_b32_e32 v2, v8, v9, vcc_lo
	v_lshlrev_b32_e32 v8, 16, v23
	v_and_b32_e32 v2, 0xffff0000, v2
	v_mul_f32_e32 v0, v0, v8
	v_bfe_u32 v8, v0, 16, 1
	v_or_b32_e32 v9, 0x400000, v0
	v_cmp_u_f32_e32 vcc_lo, v0, v0
	v_add3_u32 v8, v8, v0, 0x7fff
	v_cndmask_b32_e32 v0, v8, v9, vcc_lo
	v_and_b32_e32 v0, 0xffff0000, v0
	v_add_f32_e32 v0, v2, v0
	v_add_f32_e32 v0, v1, v0
	s_waitcnt vmcnt(0)
	v_add_f32_e32 v19, v19, v0
.LBB374_805:                            ;   in Loop: Header=BB374_806 Depth=1
	s_or_b32 exec_lo, exec_lo, s15
	buffer_load_dword v0, off, s[0:3], s32 offset:212 ; 4-byte Folded Reload
	v_add_nc_u32_e32 v17, 4, v17
	v_add_co_u32 v14, s4, v14, 16
	v_add_co_ci_u32_e64 v15, null, 0, v15, s4
	v_add_nc_u32_e32 v52, 0x80, v52
	v_add_nc_u32_e32 v84, 0x200, v84
	s_waitcnt vmcnt(0)
	v_cmp_ge_i32_e32 vcc_lo, v17, v0
	s_or_b32 s11, vcc_lo, s11
	s_andn2_b32 exec_lo, exec_lo, s11
	s_cbranch_execz .LBB374_1599
.LBB374_806:                            ; =>This Inner Loop Header: Depth=1
	s_clause 0x1
	buffer_load_dword v1, off, s[0:3], s32 offset:216
	buffer_load_dword v4, off, s[0:3], s32 offset:208
	v_sub_nc_u32_e32 v0, 0, v52
	v_max_i32_e32 v0, v52, v0
	s_waitcnt vmcnt(1)
	v_mul_hi_u32 v1, v0, v1
	v_mul_lo_u32 v2, v1, v49
	v_sub_nc_u32_e32 v0, v0, v2
	v_add_nc_u32_e32 v2, 1, v1
	v_sub_nc_u32_e32 v3, v0, v49
	v_cmp_ge_u32_e32 vcc_lo, v0, v49
	v_cndmask_b32_e32 v1, v1, v2, vcc_lo
	v_cndmask_b32_e32 v0, v0, v3, vcc_lo
	v_ashrrev_i32_e32 v2, 31, v52
	v_add_nc_u32_e32 v3, 1, v1
	v_cmp_ge_u32_e32 vcc_lo, v0, v49
	s_waitcnt vmcnt(0)
	v_xor_b32_e32 v2, v2, v4
	v_cndmask_b32_e32 v0, v1, v3, vcc_lo
	v_xor_b32_e32 v0, v0, v2
	v_sub_nc_u32_e32 v0, v0, v2
	s_clause 0x2
	buffer_load_dword v1, off, s[0:3], s32 offset:200
	buffer_load_dword v2, off, s[0:3], s32 offset:204
	;; [unrolled: 1-line block ×3, first 2 shown]
	s_waitcnt vmcnt(2)
	v_add_nc_u32_e32 v1, v0, v1
	s_waitcnt vmcnt(1)
	v_sub_nc_u32_e32 v2, 0, v1
	v_max_i32_e32 v2, v1, v2
	v_ashrrev_i32_e32 v1, 31, v1
	s_waitcnt vmcnt(0)
	v_mul_hi_u32 v3, v2, v3
	v_mul_lo_u32 v3, v3, v30
	v_sub_nc_u32_e32 v2, v2, v3
	v_sub_nc_u32_e32 v3, v2, v30
	v_cmp_ge_u32_e32 vcc_lo, v2, v30
	v_cndmask_b32_e32 v2, v2, v3, vcc_lo
	v_sub_nc_u32_e32 v3, v2, v30
	v_cmp_ge_u32_e32 vcc_lo, v2, v30
	v_cndmask_b32_e32 v2, v2, v3, vcc_lo
	v_xor_b32_e32 v2, v2, v1
	v_sub_nc_u32_e32 v1, v2, v1
	v_cmp_eq_u32_e32 vcc_lo, 0, v1
	buffer_load_dword v1, off, s[0:3], s32 offset:220 ; 4-byte Folded Reload
	s_waitcnt vmcnt(0)
	v_cmp_gt_i32_e64 s4, v0, v1
	s_or_b32 s4, vcc_lo, s4
	s_and_saveexec_b32 s15, s4
	s_cbranch_execz .LBB374_805
; %bb.807:                              ;   in Loop: Header=BB374_806 Depth=1
	buffer_store_dword v19, off, s[0:3], s32 offset:280 ; 4-byte Folded Spill
	flat_load_dword v0, v[14:15]
	s_clause 0x2
	buffer_load_dword v1, off, s[0:3], s32 offset:228
	buffer_load_dword v2, off, s[0:3], s32 offset:304
	;; [unrolled: 1-line block ×3, first 2 shown]
	v_mov_b32_e32 v5, 0
	v_mov_b32_e32 v4, 0
	s_waitcnt vmcnt(0) lgkmcnt(0)
	v_mad_i64_i32 v[18:19], null, v0, v1, v[2:3]
	flat_load_dwordx2 v[20:21], v[18:19]
	s_clause 0x1
	buffer_load_dword v0, off, s[0:3], s32 offset:288
	buffer_load_dword v1, off, s[0:3], s32 offset:292
	s_waitcnt vmcnt(2) lgkmcnt(0)
	v_cmp_ne_u16_sdwa s16, v20, v11 src0_sel:BYTE_0 src1_sel:DWORD
	s_waitcnt vmcnt(0)
	flat_load_dword v44, v[0:1]
	ds_read2_b64 v[6:9], v84 offset1:1
	ds_read2_b64 v[0:3], v84 offset0:2 offset1:3
	s_and_saveexec_b32 s4, s16
	s_cbranch_execz .LBB374_815
; %bb.808:                              ;   in Loop: Header=BB374_806 Depth=1
	v_cmp_ne_u16_sdwa s17, v20, v70 src0_sel:BYTE_0 src1_sel:DWORD
	v_bfrev_b32_e32 v4, 1
	s_and_saveexec_b32 s16, s17
	s_cbranch_execz .LBB374_814
; %bb.809:                              ;   in Loop: Header=BB374_806 Depth=1
	v_and_b32_e32 v10, 0x7f, v20
	v_mov_b32_e32 v4, 0x7f800001
	s_mov_b32 s17, exec_lo
	v_cmpx_ne_u32_e32 0x7f, v10
	s_cbranch_execz .LBB374_813
; %bb.810:                              ;   in Loop: Header=BB374_806 Depth=1
	v_mov_b32_e32 v24, v21
	v_lshrrev_b32_e32 v4, 3, v10
	v_mov_b32_e32 v23, v20
	s_mov_b32 s18, exec_lo
	v_cmpx_gt_u32_e32 8, v10
; %bb.811:                              ;   in Loop: Header=BB374_806 Depth=1
	v_and_b32_e32 v4, 7, v20
	v_ffbh_u32_e32 v4, v4
	v_min_u32_e32 v4, 32, v4
	v_subrev_nc_u32_e32 v10, 28, v4
	v_sub_nc_u32_e32 v4, 29, v4
	v_lshlrev_b64 v[23:24], v10, v[20:21]
; %bb.812:                              ;   in Loop: Header=BB374_806 Depth=1
	s_or_b32 exec_lo, exec_lo, s18
	v_lshlrev_b32_e32 v10, 20, v23
	v_lshlrev_b32_e32 v12, 24, v20
	v_lshl_add_u32 v4, v4, 23, 0x3c000000
	v_and_b32_e32 v10, 0x700000, v10
	v_and_b32_e32 v12, 0x80000000, v12
	v_or3_b32 v4, v10, v12, v4
.LBB374_813:                            ;   in Loop: Header=BB374_806 Depth=1
	s_or_b32 exec_lo, exec_lo, s17
.LBB374_814:                            ;   in Loop: Header=BB374_806 Depth=1
	s_or_b32 exec_lo, exec_lo, s16
.LBB374_815:                            ;   in Loop: Header=BB374_806 Depth=1
	s_or_b32 exec_lo, exec_lo, s4
	v_cmp_ne_u16_sdwa s16, v20, v11 src0_sel:BYTE_1 src1_sel:DWORD
	s_and_saveexec_b32 s4, s16
	s_cbranch_execz .LBB374_823
; %bb.816:                              ;   in Loop: Header=BB374_806 Depth=1
	v_cmp_ne_u16_sdwa s17, v20, v70 src0_sel:BYTE_1 src1_sel:DWORD
	v_bfrev_b32_e32 v5, 1
	s_and_saveexec_b32 s16, s17
	s_cbranch_execz .LBB374_822
; %bb.817:                              ;   in Loop: Header=BB374_806 Depth=1
	v_mov_b32_e32 v5, 0xffff
	s_mov_b32 s17, exec_lo
	v_and_b32_sdwa v10, v5, v20 dst_sel:DWORD dst_unused:UNUSED_PAD src0_sel:DWORD src1_sel:BYTE_1
	v_mov_b32_e32 v5, 0x7f800001
	v_and_b32_e32 v12, 0x7f, v10
	v_cmpx_ne_u32_e32 0x7f, v12
	s_cbranch_execz .LBB374_821
; %bb.818:                              ;   in Loop: Header=BB374_806 Depth=1
	v_and_b32_e32 v10, 7, v10
	v_lshrrev_b32_e32 v5, 3, v12
	s_mov_b32 s18, exec_lo
	v_cmpx_gt_u32_e32 8, v12
; %bb.819:                              ;   in Loop: Header=BB374_806 Depth=1
	v_ffbh_u32_e32 v5, v10
	v_min_u32_e32 v5, 32, v5
	v_subrev_nc_u32_e32 v12, 28, v5
	v_sub_nc_u32_e32 v5, 29, v5
	v_lshlrev_b64 v[12:13], v12, v[10:11]
	v_and_b32_e32 v10, 7, v12
; %bb.820:                              ;   in Loop: Header=BB374_806 Depth=1
	s_or_b32 exec_lo, exec_lo, s18
	v_lshlrev_b32_e32 v12, 16, v20
	v_lshlrev_b32_e32 v10, 20, v10
	v_lshl_add_u32 v5, v5, 23, 0x3c000000
	v_and_b32_e32 v12, 0x80000000, v12
	v_or3_b32 v5, v10, v12, v5
.LBB374_821:                            ;   in Loop: Header=BB374_806 Depth=1
	s_or_b32 exec_lo, exec_lo, s17
.LBB374_822:                            ;   in Loop: Header=BB374_806 Depth=1
	s_or_b32 exec_lo, exec_lo, s16
.LBB374_823:                            ;   in Loop: Header=BB374_806 Depth=1
	s_or_b32 exec_lo, exec_lo, s4
	v_and_b32_sdwa v10, v20, v80 dst_sel:DWORD dst_unused:UNUSED_PAD src0_sel:WORD_1 src1_sel:DWORD
	v_mov_b32_e32 v13, 0
	v_mov_b32_e32 v12, 0
	s_mov_b32 s4, exec_lo
	v_cmpx_ne_u16_e32 0, v10
	s_cbranch_execz .LBB374_831
; %bb.824:                              ;   in Loop: Header=BB374_806 Depth=1
	v_bfrev_b32_e32 v12, 1
	s_mov_b32 s16, exec_lo
	v_cmpx_ne_u16_e32 0x80, v10
	s_cbranch_execz .LBB374_830
; %bb.825:                              ;   in Loop: Header=BB374_806 Depth=1
	v_bfe_u32 v16, v20, 16, 7
	v_mov_b32_e32 v12, 0x7f800001
	s_mov_b32 s17, exec_lo
	v_cmpx_ne_u32_e32 0x7f, v16
	s_cbranch_execz .LBB374_829
; %bb.826:                              ;   in Loop: Header=BB374_806 Depth=1
	v_mov_b32_e32 v10, 7
	v_lshrrev_b32_e32 v12, 3, v16
	s_mov_b32 s18, exec_lo
	v_and_b32_sdwa v10, v20, v10 dst_sel:DWORD dst_unused:UNUSED_PAD src0_sel:WORD_1 src1_sel:DWORD
	v_cmpx_gt_u32_e32 8, v16
; %bb.827:                              ;   in Loop: Header=BB374_806 Depth=1
	v_ffbh_u32_e32 v12, v10
	v_min_u32_e32 v12, 32, v12
	v_subrev_nc_u32_e32 v16, 28, v12
	v_sub_nc_u32_e32 v12, 29, v12
	v_lshlrev_b64 v[22:23], v16, v[10:11]
	v_and_b32_e32 v10, 7, v22
; %bb.828:                              ;   in Loop: Header=BB374_806 Depth=1
	s_or_b32 exec_lo, exec_lo, s18
	v_mov_b32_e32 v16, 24
	v_lshlrev_b32_e32 v10, 20, v10
	v_lshl_add_u32 v12, v12, 23, 0x3c000000
	v_lshlrev_b32_sdwa v16, v16, v20 dst_sel:DWORD dst_unused:UNUSED_PAD src0_sel:DWORD src1_sel:WORD_1
	v_and_b32_e32 v16, 0x80000000, v16
	v_or3_b32 v12, v10, v16, v12
.LBB374_829:                            ;   in Loop: Header=BB374_806 Depth=1
	s_or_b32 exec_lo, exec_lo, s17
.LBB374_830:                            ;   in Loop: Header=BB374_806 Depth=1
	s_or_b32 exec_lo, exec_lo, s16
.LBB374_831:                            ;   in Loop: Header=BB374_806 Depth=1
	s_or_b32 exec_lo, exec_lo, s4
	s_mov_b32 s4, exec_lo
	v_cmpx_lt_u32_e32 0xffffff, v20
	s_cbranch_execz .LBB374_839
; %bb.832:                              ;   in Loop: Header=BB374_806 Depth=1
	v_cmp_ne_u32_sdwa s17, v20, v70 src0_sel:BYTE_3 src1_sel:DWORD
	v_bfrev_b32_e32 v13, 1
	s_and_saveexec_b32 s16, s17
	s_cbranch_execz .LBB374_838
; %bb.833:                              ;   in Loop: Header=BB374_806 Depth=1
	v_bfe_u32 v16, v20, 24, 7
	v_mov_b32_e32 v13, 0x7f800001
	s_mov_b32 s17, exec_lo
	v_cmpx_ne_u32_e32 0x7f, v16
	s_cbranch_execz .LBB374_837
; %bb.834:                              ;   in Loop: Header=BB374_806 Depth=1
	v_mov_b32_e32 v10, 7
	v_lshrrev_b32_e32 v13, 3, v16
	s_mov_b32 s18, exec_lo
	v_and_b32_sdwa v10, v20, v10 dst_sel:DWORD dst_unused:UNUSED_PAD src0_sel:BYTE_3 src1_sel:DWORD
	v_cmpx_gt_u32_e32 8, v16
; %bb.835:                              ;   in Loop: Header=BB374_806 Depth=1
	v_ffbh_u32_e32 v13, v10
	v_min_u32_e32 v13, 32, v13
	v_subrev_nc_u32_e32 v16, 28, v13
	v_sub_nc_u32_e32 v13, 29, v13
	v_lshlrev_b64 v[22:23], v16, v[10:11]
	v_and_b32_e32 v10, 7, v22
; %bb.836:                              ;   in Loop: Header=BB374_806 Depth=1
	s_or_b32 exec_lo, exec_lo, s18
	v_mov_b32_e32 v16, 24
	v_lshlrev_b32_e32 v10, 20, v10
	v_lshl_add_u32 v13, v13, 23, 0x3c000000
	v_lshlrev_b32_sdwa v16, v16, v20 dst_sel:DWORD dst_unused:UNUSED_PAD src0_sel:DWORD src1_sel:BYTE_3
	v_and_b32_e32 v16, 0x80000000, v16
	v_or3_b32 v13, v10, v16, v13
.LBB374_837:                            ;   in Loop: Header=BB374_806 Depth=1
	s_or_b32 exec_lo, exec_lo, s17
.LBB374_838:                            ;   in Loop: Header=BB374_806 Depth=1
	s_or_b32 exec_lo, exec_lo, s16
.LBB374_839:                            ;   in Loop: Header=BB374_806 Depth=1
	s_or_b32 exec_lo, exec_lo, s4
	v_mov_b32_e32 v10, v21
	v_cmp_ne_u16_sdwa s16, v21, v11 src0_sel:BYTE_0 src1_sel:DWORD
	v_mov_b32_e32 v22, 0
	v_mov_b32_e32 v16, 0
	s_and_saveexec_b32 s4, s16
	s_cbranch_execz .LBB374_847
; %bb.840:                              ;   in Loop: Header=BB374_806 Depth=1
	v_cmp_ne_u16_sdwa s17, v21, v70 src0_sel:BYTE_0 src1_sel:DWORD
	v_bfrev_b32_e32 v16, 1
	s_and_saveexec_b32 s16, s17
	s_cbranch_execz .LBB374_846
; %bb.841:                              ;   in Loop: Header=BB374_806 Depth=1
	v_and_b32_e32 v23, 0x7f, v21
	v_mov_b32_e32 v16, 0x7f800001
	s_mov_b32 s17, exec_lo
	v_cmpx_ne_u32_e32 0x7f, v23
	s_cbranch_execz .LBB374_845
; %bb.842:                              ;   in Loop: Header=BB374_806 Depth=1
	v_lshrrev_b32_e32 v16, 3, v23
	v_cmp_gt_u32_e32 vcc_lo, 8, v23
	v_mov_b32_e32 v24, v11
	v_mov_b32_e32 v23, v10
	s_and_saveexec_b32 s18, vcc_lo
; %bb.843:                              ;   in Loop: Header=BB374_806 Depth=1
	v_and_b32_e32 v16, 7, v21
	v_ffbh_u32_e32 v16, v16
	v_min_u32_e32 v16, 32, v16
	v_subrev_nc_u32_e32 v23, 28, v16
	v_sub_nc_u32_e32 v16, 29, v16
	v_lshlrev_b64 v[23:24], v23, v[10:11]
; %bb.844:                              ;   in Loop: Header=BB374_806 Depth=1
	s_or_b32 exec_lo, exec_lo, s18
	v_lshlrev_b32_e32 v23, 20, v23
	v_lshlrev_b32_e32 v24, 24, v10
	v_lshl_add_u32 v16, v16, 23, 0x3c000000
	v_and_b32_e32 v23, 0x700000, v23
	v_and_b32_e32 v24, 0x80000000, v24
	v_or3_b32 v16, v23, v24, v16
.LBB374_845:                            ;   in Loop: Header=BB374_806 Depth=1
	s_or_b32 exec_lo, exec_lo, s17
.LBB374_846:                            ;   in Loop: Header=BB374_806 Depth=1
	s_or_b32 exec_lo, exec_lo, s16
.LBB374_847:                            ;   in Loop: Header=BB374_806 Depth=1
	s_or_b32 exec_lo, exec_lo, s4
	v_cmp_ne_u16_sdwa s16, v10, v11 src0_sel:BYTE_1 src1_sel:DWORD
	s_and_saveexec_b32 s4, s16
	s_cbranch_execz .LBB374_855
; %bb.848:                              ;   in Loop: Header=BB374_806 Depth=1
	v_cmp_ne_u16_sdwa s17, v10, v70 src0_sel:BYTE_1 src1_sel:DWORD
	v_bfrev_b32_e32 v22, 1
	s_and_saveexec_b32 s16, s17
	s_cbranch_execz .LBB374_854
; %bb.849:                              ;   in Loop: Header=BB374_806 Depth=1
	v_mov_b32_e32 v22, 0xffff
	s_mov_b32 s17, exec_lo
	v_and_b32_sdwa v23, v22, v10 dst_sel:DWORD dst_unused:UNUSED_PAD src0_sel:DWORD src1_sel:BYTE_1
	v_mov_b32_e32 v22, 0x7f800001
	v_and_b32_e32 v25, 0x7f, v23
	v_cmpx_ne_u32_e32 0x7f, v25
	s_cbranch_execz .LBB374_853
; %bb.850:                              ;   in Loop: Header=BB374_806 Depth=1
	v_and_b32_e32 v23, 7, v23
	v_mov_b32_e32 v24, v11
	v_lshrrev_b32_e32 v22, 3, v25
	s_mov_b32 s18, exec_lo
	v_cmpx_gt_u32_e32 8, v25
; %bb.851:                              ;   in Loop: Header=BB374_806 Depth=1
	v_ffbh_u32_e32 v22, v23
	v_min_u32_e32 v22, 32, v22
	v_subrev_nc_u32_e32 v25, 28, v22
	v_sub_nc_u32_e32 v22, 29, v22
	v_lshlrev_b64 v[23:24], v25, v[23:24]
	v_and_b32_e32 v23, 7, v23
; %bb.852:                              ;   in Loop: Header=BB374_806 Depth=1
	s_or_b32 exec_lo, exec_lo, s18
	v_lshlrev_b32_e32 v10, 16, v10
	v_lshlrev_b32_e32 v23, 20, v23
	v_lshl_add_u32 v22, v22, 23, 0x3c000000
	v_and_b32_e32 v10, 0x80000000, v10
	v_or3_b32 v22, v23, v10, v22
.LBB374_853:                            ;   in Loop: Header=BB374_806 Depth=1
	s_or_b32 exec_lo, exec_lo, s17
.LBB374_854:                            ;   in Loop: Header=BB374_806 Depth=1
	s_or_b32 exec_lo, exec_lo, s16
.LBB374_855:                            ;   in Loop: Header=BB374_806 Depth=1
	s_or_b32 exec_lo, exec_lo, s4
	v_and_b32_sdwa v10, v21, v80 dst_sel:DWORD dst_unused:UNUSED_PAD src0_sel:WORD_1 src1_sel:DWORD
	v_mov_b32_e32 v23, 0
	v_mov_b32_e32 v24, 0
	s_mov_b32 s4, exec_lo
	v_cmpx_ne_u16_e32 0, v10
	s_cbranch_execz .LBB374_863
; %bb.856:                              ;   in Loop: Header=BB374_806 Depth=1
	v_bfrev_b32_e32 v24, 1
	s_mov_b32 s16, exec_lo
	v_cmpx_ne_u16_e32 0x80, v10
	s_cbranch_execz .LBB374_862
; %bb.857:                              ;   in Loop: Header=BB374_806 Depth=1
	v_bfe_u32 v25, v21, 16, 7
	v_mov_b32_e32 v24, 0x7f800001
	s_mov_b32 s17, exec_lo
	v_cmpx_ne_u32_e32 0x7f, v25
	s_cbranch_execz .LBB374_861
; %bb.858:                              ;   in Loop: Header=BB374_806 Depth=1
	v_mov_b32_e32 v10, 7
	v_lshrrev_b32_e32 v24, 3, v25
	s_mov_b32 s18, exec_lo
	v_and_b32_sdwa v10, v21, v10 dst_sel:DWORD dst_unused:UNUSED_PAD src0_sel:WORD_1 src1_sel:DWORD
	v_cmpx_gt_u32_e32 8, v25
; %bb.859:                              ;   in Loop: Header=BB374_806 Depth=1
	v_ffbh_u32_e32 v24, v10
	v_min_u32_e32 v24, 32, v24
	v_subrev_nc_u32_e32 v25, 28, v24
	v_sub_nc_u32_e32 v24, 29, v24
	v_lshlrev_b64 v[25:26], v25, v[10:11]
	v_and_b32_e32 v10, 7, v25
; %bb.860:                              ;   in Loop: Header=BB374_806 Depth=1
	s_or_b32 exec_lo, exec_lo, s18
	v_mov_b32_e32 v25, 24
	v_lshlrev_b32_e32 v10, 20, v10
	v_lshl_add_u32 v24, v24, 23, 0x3c000000
	v_lshlrev_b32_sdwa v25, v25, v21 dst_sel:DWORD dst_unused:UNUSED_PAD src0_sel:DWORD src1_sel:WORD_1
	v_and_b32_e32 v25, 0x80000000, v25
	v_or3_b32 v24, v10, v25, v24
.LBB374_861:                            ;   in Loop: Header=BB374_806 Depth=1
	s_or_b32 exec_lo, exec_lo, s17
.LBB374_862:                            ;   in Loop: Header=BB374_806 Depth=1
	s_or_b32 exec_lo, exec_lo, s16
.LBB374_863:                            ;   in Loop: Header=BB374_806 Depth=1
	s_or_b32 exec_lo, exec_lo, s4
	s_mov_b32 s4, exec_lo
	v_cmpx_lt_u64_e64 s[12:13], v[20:21]
	s_cbranch_execz .LBB374_871
; %bb.864:                              ;   in Loop: Header=BB374_806 Depth=1
	v_cmp_ne_u32_sdwa s17, v21, v70 src0_sel:BYTE_3 src1_sel:DWORD
	v_bfrev_b32_e32 v23, 1
	s_and_saveexec_b32 s16, s17
	s_cbranch_execz .LBB374_870
; %bb.865:                              ;   in Loop: Header=BB374_806 Depth=1
	v_bfe_u32 v25, v21, 24, 7
	v_mov_b32_e32 v23, 0x7f800001
	s_mov_b32 s17, exec_lo
	v_cmpx_ne_u32_e32 0x7f, v25
	s_cbranch_execz .LBB374_869
; %bb.866:                              ;   in Loop: Header=BB374_806 Depth=1
	v_mov_b32_e32 v10, 7
	v_lshrrev_b32_e32 v20, 3, v25
	s_mov_b32 s18, exec_lo
	v_and_b32_sdwa v10, v21, v10 dst_sel:DWORD dst_unused:UNUSED_PAD src0_sel:BYTE_3 src1_sel:DWORD
	v_cmpx_gt_u32_e32 8, v25
; %bb.867:                              ;   in Loop: Header=BB374_806 Depth=1
	v_ffbh_u32_e32 v20, v10
	v_min_u32_e32 v20, 32, v20
	v_subrev_nc_u32_e32 v23, 28, v20
	v_sub_nc_u32_e32 v20, 29, v20
	v_lshlrev_b64 v[25:26], v23, v[10:11]
	v_and_b32_e32 v10, 7, v25
; %bb.868:                              ;   in Loop: Header=BB374_806 Depth=1
	s_or_b32 exec_lo, exec_lo, s18
	v_mov_b32_e32 v23, 24
	v_lshlrev_b32_e32 v10, 20, v10
	v_lshl_add_u32 v20, v20, 23, 0x3c000000
	v_lshlrev_b32_sdwa v21, v23, v21 dst_sel:DWORD dst_unused:UNUSED_PAD src0_sel:DWORD src1_sel:BYTE_3
	v_and_b32_e32 v21, 0x80000000, v21
	v_or3_b32 v23, v10, v21, v20
.LBB374_869:                            ;   in Loop: Header=BB374_806 Depth=1
	s_or_b32 exec_lo, exec_lo, s17
.LBB374_870:                            ;   in Loop: Header=BB374_806 Depth=1
	s_or_b32 exec_lo, exec_lo, s16
.LBB374_871:                            ;   in Loop: Header=BB374_806 Depth=1
	s_or_b32 exec_lo, exec_lo, s4
	buffer_load_dword v20, off, s[0:3], s32 offset:300 ; 4-byte Folded Reload
	s_waitcnt vmcnt(1) lgkmcnt(2)
	v_mul_f32_e32 v10, v44, v22
	v_mul_f32_e32 v16, v44, v16
	;; [unrolled: 1-line block ×5, first 2 shown]
	v_or_b32_e32 v21, 0x400000, v10
	v_bfe_u32 v22, v16, 16, 1
	v_cmp_u_f32_e64 s4, v10, v10
	v_or_b32_e32 v25, 0x400000, v16
	v_bfe_u32 v26, v13, 16, 1
	v_or_b32_e32 v27, 0x400000, v13
	v_add3_u32 v22, v22, v16, 0x7fff
	v_mul_f32_e32 v4, v44, v4
	s_waitcnt vmcnt(0)
	v_add_nc_u32_e32 v47, v20, v52
	buffer_load_dword v20, off, s[0:3], s32 offset:296 ; 4-byte Folded Reload
	v_add_nc_u32_e32 v62, 1, v47
	v_add_nc_u32_e32 v61, 2, v47
	;; [unrolled: 1-line block ×7, first 2 shown]
	s_waitcnt vmcnt(0)
	v_cmp_eq_u32_e32 vcc_lo, v20, v17
	v_bfe_u32 v20, v10, 16, 1
	v_add3_u32 v20, v20, v10, 0x7fff
	v_cndmask_b32_e64 v10, v20, v21, s4
	v_cmp_u_f32_e64 s4, v16, v16
	v_add3_u32 v21, v26, v13, 0x7fff
	v_bfe_u32 v20, v12, 16, 1
	v_lshrrev_b32_e32 v97, 16, v10
	v_cndmask_b32_e64 v16, v22, v25, s4
	v_cmp_u_f32_e64 s4, v13, v13
	v_add3_u32 v13, v20, v12, 0x7fff
	v_or_b32_e32 v20, 0x400000, v12
	v_lshrrev_b32_e32 v87, 16, v16
	v_cndmask_b32_e64 v10, v21, v27, s4
	v_cmp_u_f32_e64 s4, v12, v12
	v_or_b32_e32 v16, 0x400000, v5
	v_bfe_u32 v21, v4, 16, 1
	v_lshrrev_b32_e32 v98, 16, v10
	v_bfe_u32 v10, v5, 16, 1
	v_cndmask_b32_e64 v12, v13, v20, s4
	v_mul_f32_e32 v13, v44, v24
	v_cmp_u_f32_e64 s4, v5, v5
	v_mul_f32_e32 v20, v44, v23
	v_add3_u32 v10, v10, v5, 0x7fff
	v_lshrrev_b32_e32 v99, 16, v12
	v_bfe_u32 v22, v13, 16, 1
	v_or_b32_e32 v23, 0x400000, v13
	v_or_b32_e32 v24, 0x400000, v20
	v_cndmask_b32_e64 v5, v10, v16, s4
	v_add3_u32 v16, v21, v4, 0x7fff
	v_or_b32_e32 v21, 0x400000, v4
	v_cmp_u_f32_e64 s4, v4, v4
	v_bfe_u32 v10, v20, 16, 1
	v_add3_u32 v22, v22, v13, 0x7fff
	v_lshrrev_b32_e32 v101, 16, v5
	v_cndmask_b32_e64 v4, v16, v21, s4
	v_cmp_u_f32_e64 s4, v13, v13
	v_add3_u32 v10, v10, v20, 0x7fff
	v_lshrrev_b32_e32 v100, 16, v4
	v_cndmask_b32_e64 v13, v22, v23, s4
	v_cmp_u_f32_e64 s4, v20, v20
	v_lshrrev_b32_e32 v4, 16, v13
	v_cndmask_b32_e64 v10, v10, v24, s4
	buffer_store_dword v4, off, s[0:3], s32 offset:224 ; 4-byte Folded Spill
	v_lshrrev_b32_e32 v96, 16, v10
	s_and_saveexec_b32 s16, vcc_lo
	s_cbranch_execz .LBB374_873
; %bb.872:                              ;   in Loop: Header=BB374_806 Depth=1
	buffer_load_dword v4, off, s[0:3], s32 offset:224 ; 4-byte Folded Reload
	v_cmp_lt_i32_e64 s4, v47, v38
	v_cndmask_b32_e64 v100, 0, v100, s4
	v_cmp_lt_i32_e64 s4, v62, v38
	v_cndmask_b32_e64 v101, 0, v101, s4
	;; [unrolled: 2-line block ×6, first 2 shown]
	v_cmp_lt_i32_e64 s4, v57, v38
	s_waitcnt vmcnt(0)
	v_cndmask_b32_e64 v4, 0, v4, s4
	v_cmp_lt_i32_e64 s4, v56, v38
	buffer_store_dword v4, off, s[0:3], s32 offset:224 ; 4-byte Folded Spill
	v_cndmask_b32_e64 v96, 0, v96, s4
.LBB374_873:                            ;   in Loop: Header=BB374_806 Depth=1
	s_or_b32 exec_lo, exec_lo, s16
	flat_load_dwordx2 v[20:21], v[18:19] offset:256
	v_mov_b32_e32 v5, 0
	v_mov_b32_e32 v4, 0
	s_waitcnt vmcnt(0) lgkmcnt(0)
	v_cmp_ne_u16_sdwa s4, v20, v11 src0_sel:BYTE_0 src1_sel:DWORD
	s_and_saveexec_b32 s16, s4
	s_cbranch_execz .LBB374_881
; %bb.874:                              ;   in Loop: Header=BB374_806 Depth=1
	v_cmp_ne_u16_sdwa s4, v20, v70 src0_sel:BYTE_0 src1_sel:DWORD
	v_bfrev_b32_e32 v4, 1
	s_and_saveexec_b32 s17, s4
	s_cbranch_execz .LBB374_880
; %bb.875:                              ;   in Loop: Header=BB374_806 Depth=1
	v_and_b32_e32 v10, 0x7f, v20
	v_mov_b32_e32 v4, 0x7f800001
	s_mov_b32 s18, exec_lo
	v_cmpx_ne_u32_e32 0x7f, v10
	s_cbranch_execz .LBB374_879
; %bb.876:                              ;   in Loop: Header=BB374_806 Depth=1
	v_mov_b32_e32 v24, v21
	v_lshrrev_b32_e32 v4, 3, v10
	v_mov_b32_e32 v23, v20
	s_mov_b32 s20, exec_lo
	v_cmpx_gt_u32_e32 8, v10
; %bb.877:                              ;   in Loop: Header=BB374_806 Depth=1
	v_and_b32_e32 v4, 7, v20
	v_ffbh_u32_e32 v4, v4
	v_min_u32_e32 v4, 32, v4
	v_subrev_nc_u32_e32 v10, 28, v4
	v_sub_nc_u32_e32 v4, 29, v4
	v_lshlrev_b64 v[23:24], v10, v[20:21]
; %bb.878:                              ;   in Loop: Header=BB374_806 Depth=1
	s_or_b32 exec_lo, exec_lo, s20
	v_lshlrev_b32_e32 v10, 20, v23
	v_lshlrev_b32_e32 v12, 24, v20
	v_lshl_add_u32 v4, v4, 23, 0x3c000000
	v_and_b32_e32 v10, 0x700000, v10
	v_and_b32_e32 v12, 0x80000000, v12
	v_or3_b32 v4, v10, v12, v4
.LBB374_879:                            ;   in Loop: Header=BB374_806 Depth=1
	s_or_b32 exec_lo, exec_lo, s18
.LBB374_880:                            ;   in Loop: Header=BB374_806 Depth=1
	s_or_b32 exec_lo, exec_lo, s17
.LBB374_881:                            ;   in Loop: Header=BB374_806 Depth=1
	s_or_b32 exec_lo, exec_lo, s16
	v_cmp_ne_u16_sdwa s4, v20, v11 src0_sel:BYTE_1 src1_sel:DWORD
	s_and_saveexec_b32 s16, s4
	s_cbranch_execz .LBB374_889
; %bb.882:                              ;   in Loop: Header=BB374_806 Depth=1
	v_cmp_ne_u16_sdwa s4, v20, v70 src0_sel:BYTE_1 src1_sel:DWORD
	v_bfrev_b32_e32 v5, 1
	s_and_saveexec_b32 s17, s4
	s_cbranch_execz .LBB374_888
; %bb.883:                              ;   in Loop: Header=BB374_806 Depth=1
	v_mov_b32_e32 v5, 0xffff
	s_mov_b32 s18, exec_lo
	v_and_b32_sdwa v10, v5, v20 dst_sel:DWORD dst_unused:UNUSED_PAD src0_sel:DWORD src1_sel:BYTE_1
	v_mov_b32_e32 v5, 0x7f800001
	v_and_b32_e32 v12, 0x7f, v10
	v_cmpx_ne_u32_e32 0x7f, v12
	s_cbranch_execz .LBB374_887
; %bb.884:                              ;   in Loop: Header=BB374_806 Depth=1
	v_and_b32_e32 v10, 7, v10
	v_lshrrev_b32_e32 v5, 3, v12
	s_mov_b32 s20, exec_lo
	v_cmpx_gt_u32_e32 8, v12
; %bb.885:                              ;   in Loop: Header=BB374_806 Depth=1
	v_ffbh_u32_e32 v5, v10
	v_min_u32_e32 v5, 32, v5
	v_subrev_nc_u32_e32 v12, 28, v5
	v_sub_nc_u32_e32 v5, 29, v5
	v_lshlrev_b64 v[12:13], v12, v[10:11]
	v_and_b32_e32 v10, 7, v12
; %bb.886:                              ;   in Loop: Header=BB374_806 Depth=1
	s_or_b32 exec_lo, exec_lo, s20
	v_lshlrev_b32_e32 v12, 16, v20
	v_lshlrev_b32_e32 v10, 20, v10
	v_lshl_add_u32 v5, v5, 23, 0x3c000000
	v_and_b32_e32 v12, 0x80000000, v12
	v_or3_b32 v5, v10, v12, v5
.LBB374_887:                            ;   in Loop: Header=BB374_806 Depth=1
	s_or_b32 exec_lo, exec_lo, s18
.LBB374_888:                            ;   in Loop: Header=BB374_806 Depth=1
	s_or_b32 exec_lo, exec_lo, s17
.LBB374_889:                            ;   in Loop: Header=BB374_806 Depth=1
	s_or_b32 exec_lo, exec_lo, s16
	v_and_b32_sdwa v10, v20, v80 dst_sel:DWORD dst_unused:UNUSED_PAD src0_sel:WORD_1 src1_sel:DWORD
	v_mov_b32_e32 v13, 0
	v_mov_b32_e32 v12, 0
	s_mov_b32 s16, exec_lo
	v_cmpx_ne_u16_e32 0, v10
	s_cbranch_execz .LBB374_897
; %bb.890:                              ;   in Loop: Header=BB374_806 Depth=1
	v_bfrev_b32_e32 v12, 1
	s_mov_b32 s17, exec_lo
	v_cmpx_ne_u16_e32 0x80, v10
	s_cbranch_execz .LBB374_896
; %bb.891:                              ;   in Loop: Header=BB374_806 Depth=1
	v_bfe_u32 v16, v20, 16, 7
	v_mov_b32_e32 v12, 0x7f800001
	s_mov_b32 s18, exec_lo
	v_cmpx_ne_u32_e32 0x7f, v16
	s_cbranch_execz .LBB374_895
; %bb.892:                              ;   in Loop: Header=BB374_806 Depth=1
	v_mov_b32_e32 v10, 7
	v_lshrrev_b32_e32 v12, 3, v16
	s_mov_b32 s20, exec_lo
	v_and_b32_sdwa v10, v20, v10 dst_sel:DWORD dst_unused:UNUSED_PAD src0_sel:WORD_1 src1_sel:DWORD
	v_cmpx_gt_u32_e32 8, v16
; %bb.893:                              ;   in Loop: Header=BB374_806 Depth=1
	v_ffbh_u32_e32 v12, v10
	v_min_u32_e32 v12, 32, v12
	v_subrev_nc_u32_e32 v16, 28, v12
	v_sub_nc_u32_e32 v12, 29, v12
	v_lshlrev_b64 v[22:23], v16, v[10:11]
	v_and_b32_e32 v10, 7, v22
; %bb.894:                              ;   in Loop: Header=BB374_806 Depth=1
	s_or_b32 exec_lo, exec_lo, s20
	v_mov_b32_e32 v16, 24
	v_lshlrev_b32_e32 v10, 20, v10
	v_lshl_add_u32 v12, v12, 23, 0x3c000000
	v_lshlrev_b32_sdwa v16, v16, v20 dst_sel:DWORD dst_unused:UNUSED_PAD src0_sel:DWORD src1_sel:WORD_1
	v_and_b32_e32 v16, 0x80000000, v16
	v_or3_b32 v12, v10, v16, v12
.LBB374_895:                            ;   in Loop: Header=BB374_806 Depth=1
	s_or_b32 exec_lo, exec_lo, s18
.LBB374_896:                            ;   in Loop: Header=BB374_806 Depth=1
	s_or_b32 exec_lo, exec_lo, s17
.LBB374_897:                            ;   in Loop: Header=BB374_806 Depth=1
	s_or_b32 exec_lo, exec_lo, s16
	s_mov_b32 s16, exec_lo
	v_cmpx_lt_u32_e32 0xffffff, v20
	s_cbranch_execz .LBB374_905
; %bb.898:                              ;   in Loop: Header=BB374_806 Depth=1
	v_cmp_ne_u32_sdwa s4, v20, v70 src0_sel:BYTE_3 src1_sel:DWORD
	v_bfrev_b32_e32 v13, 1
	s_and_saveexec_b32 s17, s4
	s_cbranch_execz .LBB374_904
; %bb.899:                              ;   in Loop: Header=BB374_806 Depth=1
	v_bfe_u32 v16, v20, 24, 7
	v_mov_b32_e32 v13, 0x7f800001
	s_mov_b32 s18, exec_lo
	v_cmpx_ne_u32_e32 0x7f, v16
	s_cbranch_execz .LBB374_903
; %bb.900:                              ;   in Loop: Header=BB374_806 Depth=1
	v_mov_b32_e32 v10, 7
	v_lshrrev_b32_e32 v13, 3, v16
	s_mov_b32 s20, exec_lo
	v_and_b32_sdwa v10, v20, v10 dst_sel:DWORD dst_unused:UNUSED_PAD src0_sel:BYTE_3 src1_sel:DWORD
	v_cmpx_gt_u32_e32 8, v16
; %bb.901:                              ;   in Loop: Header=BB374_806 Depth=1
	v_ffbh_u32_e32 v13, v10
	v_min_u32_e32 v13, 32, v13
	v_subrev_nc_u32_e32 v16, 28, v13
	v_sub_nc_u32_e32 v13, 29, v13
	v_lshlrev_b64 v[22:23], v16, v[10:11]
	v_and_b32_e32 v10, 7, v22
; %bb.902:                              ;   in Loop: Header=BB374_806 Depth=1
	s_or_b32 exec_lo, exec_lo, s20
	v_mov_b32_e32 v16, 24
	v_lshlrev_b32_e32 v10, 20, v10
	v_lshl_add_u32 v13, v13, 23, 0x3c000000
	v_lshlrev_b32_sdwa v16, v16, v20 dst_sel:DWORD dst_unused:UNUSED_PAD src0_sel:DWORD src1_sel:BYTE_3
	v_and_b32_e32 v16, 0x80000000, v16
	v_or3_b32 v13, v10, v16, v13
.LBB374_903:                            ;   in Loop: Header=BB374_806 Depth=1
	s_or_b32 exec_lo, exec_lo, s18
.LBB374_904:                            ;   in Loop: Header=BB374_806 Depth=1
	s_or_b32 exec_lo, exec_lo, s17
.LBB374_905:                            ;   in Loop: Header=BB374_806 Depth=1
	s_or_b32 exec_lo, exec_lo, s16
	v_mov_b32_e32 v10, v21
	v_cmp_ne_u16_sdwa s4, v21, v11 src0_sel:BYTE_0 src1_sel:DWORD
	v_mov_b32_e32 v22, 0
	v_mov_b32_e32 v16, 0
	s_and_saveexec_b32 s16, s4
	s_cbranch_execz .LBB374_913
; %bb.906:                              ;   in Loop: Header=BB374_806 Depth=1
	v_cmp_ne_u16_sdwa s4, v21, v70 src0_sel:BYTE_0 src1_sel:DWORD
	v_bfrev_b32_e32 v16, 1
	s_and_saveexec_b32 s17, s4
	s_cbranch_execz .LBB374_912
; %bb.907:                              ;   in Loop: Header=BB374_806 Depth=1
	v_and_b32_e32 v23, 0x7f, v21
	v_mov_b32_e32 v16, 0x7f800001
	s_mov_b32 s18, exec_lo
	v_cmpx_ne_u32_e32 0x7f, v23
	s_cbranch_execz .LBB374_911
; %bb.908:                              ;   in Loop: Header=BB374_806 Depth=1
	v_lshrrev_b32_e32 v16, 3, v23
	v_cmp_gt_u32_e64 s4, 8, v23
	v_mov_b32_e32 v24, v11
	v_mov_b32_e32 v23, v10
	s_and_saveexec_b32 s20, s4
; %bb.909:                              ;   in Loop: Header=BB374_806 Depth=1
	v_and_b32_e32 v16, 7, v21
	v_ffbh_u32_e32 v16, v16
	v_min_u32_e32 v16, 32, v16
	v_subrev_nc_u32_e32 v23, 28, v16
	v_sub_nc_u32_e32 v16, 29, v16
	v_lshlrev_b64 v[23:24], v23, v[10:11]
; %bb.910:                              ;   in Loop: Header=BB374_806 Depth=1
	s_or_b32 exec_lo, exec_lo, s20
	v_lshlrev_b32_e32 v23, 20, v23
	v_lshlrev_b32_e32 v24, 24, v10
	v_lshl_add_u32 v16, v16, 23, 0x3c000000
	v_and_b32_e32 v23, 0x700000, v23
	v_and_b32_e32 v24, 0x80000000, v24
	v_or3_b32 v16, v23, v24, v16
.LBB374_911:                            ;   in Loop: Header=BB374_806 Depth=1
	s_or_b32 exec_lo, exec_lo, s18
.LBB374_912:                            ;   in Loop: Header=BB374_806 Depth=1
	s_or_b32 exec_lo, exec_lo, s17
.LBB374_913:                            ;   in Loop: Header=BB374_806 Depth=1
	s_or_b32 exec_lo, exec_lo, s16
	v_cmp_ne_u16_sdwa s4, v10, v11 src0_sel:BYTE_1 src1_sel:DWORD
	s_and_saveexec_b32 s16, s4
	s_cbranch_execz .LBB374_921
; %bb.914:                              ;   in Loop: Header=BB374_806 Depth=1
	v_cmp_ne_u16_sdwa s4, v10, v70 src0_sel:BYTE_1 src1_sel:DWORD
	v_bfrev_b32_e32 v22, 1
	s_and_saveexec_b32 s17, s4
	s_cbranch_execz .LBB374_920
; %bb.915:                              ;   in Loop: Header=BB374_806 Depth=1
	v_mov_b32_e32 v22, 0xffff
	s_mov_b32 s18, exec_lo
	v_and_b32_sdwa v23, v22, v10 dst_sel:DWORD dst_unused:UNUSED_PAD src0_sel:DWORD src1_sel:BYTE_1
	v_mov_b32_e32 v22, 0x7f800001
	v_and_b32_e32 v25, 0x7f, v23
	v_cmpx_ne_u32_e32 0x7f, v25
	s_cbranch_execz .LBB374_919
; %bb.916:                              ;   in Loop: Header=BB374_806 Depth=1
	v_and_b32_e32 v23, 7, v23
	v_mov_b32_e32 v24, v11
	v_lshrrev_b32_e32 v22, 3, v25
	s_mov_b32 s20, exec_lo
	v_cmpx_gt_u32_e32 8, v25
; %bb.917:                              ;   in Loop: Header=BB374_806 Depth=1
	v_ffbh_u32_e32 v22, v23
	v_min_u32_e32 v22, 32, v22
	v_subrev_nc_u32_e32 v25, 28, v22
	v_sub_nc_u32_e32 v22, 29, v22
	v_lshlrev_b64 v[23:24], v25, v[23:24]
	v_and_b32_e32 v23, 7, v23
; %bb.918:                              ;   in Loop: Header=BB374_806 Depth=1
	s_or_b32 exec_lo, exec_lo, s20
	v_lshlrev_b32_e32 v10, 16, v10
	v_lshlrev_b32_e32 v23, 20, v23
	v_lshl_add_u32 v22, v22, 23, 0x3c000000
	v_and_b32_e32 v10, 0x80000000, v10
	v_or3_b32 v22, v23, v10, v22
.LBB374_919:                            ;   in Loop: Header=BB374_806 Depth=1
	s_or_b32 exec_lo, exec_lo, s18
.LBB374_920:                            ;   in Loop: Header=BB374_806 Depth=1
	s_or_b32 exec_lo, exec_lo, s17
.LBB374_921:                            ;   in Loop: Header=BB374_806 Depth=1
	s_or_b32 exec_lo, exec_lo, s16
	v_and_b32_sdwa v10, v21, v80 dst_sel:DWORD dst_unused:UNUSED_PAD src0_sel:WORD_1 src1_sel:DWORD
	v_mov_b32_e32 v23, 0
	v_mov_b32_e32 v24, 0
	s_mov_b32 s16, exec_lo
	v_cmpx_ne_u16_e32 0, v10
	s_cbranch_execz .LBB374_929
; %bb.922:                              ;   in Loop: Header=BB374_806 Depth=1
	v_bfrev_b32_e32 v24, 1
	s_mov_b32 s17, exec_lo
	v_cmpx_ne_u16_e32 0x80, v10
	s_cbranch_execz .LBB374_928
; %bb.923:                              ;   in Loop: Header=BB374_806 Depth=1
	v_bfe_u32 v25, v21, 16, 7
	v_mov_b32_e32 v24, 0x7f800001
	s_mov_b32 s18, exec_lo
	v_cmpx_ne_u32_e32 0x7f, v25
	s_cbranch_execz .LBB374_927
; %bb.924:                              ;   in Loop: Header=BB374_806 Depth=1
	v_mov_b32_e32 v10, 7
	v_lshrrev_b32_e32 v24, 3, v25
	s_mov_b32 s20, exec_lo
	v_and_b32_sdwa v10, v21, v10 dst_sel:DWORD dst_unused:UNUSED_PAD src0_sel:WORD_1 src1_sel:DWORD
	v_cmpx_gt_u32_e32 8, v25
; %bb.925:                              ;   in Loop: Header=BB374_806 Depth=1
	v_ffbh_u32_e32 v24, v10
	v_min_u32_e32 v24, 32, v24
	v_subrev_nc_u32_e32 v25, 28, v24
	v_sub_nc_u32_e32 v24, 29, v24
	v_lshlrev_b64 v[25:26], v25, v[10:11]
	v_and_b32_e32 v10, 7, v25
; %bb.926:                              ;   in Loop: Header=BB374_806 Depth=1
	s_or_b32 exec_lo, exec_lo, s20
	v_mov_b32_e32 v25, 24
	v_lshlrev_b32_e32 v10, 20, v10
	v_lshl_add_u32 v24, v24, 23, 0x3c000000
	v_lshlrev_b32_sdwa v25, v25, v21 dst_sel:DWORD dst_unused:UNUSED_PAD src0_sel:DWORD src1_sel:WORD_1
	v_and_b32_e32 v25, 0x80000000, v25
	v_or3_b32 v24, v10, v25, v24
.LBB374_927:                            ;   in Loop: Header=BB374_806 Depth=1
	s_or_b32 exec_lo, exec_lo, s18
.LBB374_928:                            ;   in Loop: Header=BB374_806 Depth=1
	s_or_b32 exec_lo, exec_lo, s17
.LBB374_929:                            ;   in Loop: Header=BB374_806 Depth=1
	s_or_b32 exec_lo, exec_lo, s16
	s_mov_b32 s16, exec_lo
	v_cmpx_lt_u64_e64 s[12:13], v[20:21]
	s_cbranch_execz .LBB374_937
; %bb.930:                              ;   in Loop: Header=BB374_806 Depth=1
	v_cmp_ne_u32_sdwa s4, v21, v70 src0_sel:BYTE_3 src1_sel:DWORD
	v_bfrev_b32_e32 v23, 1
	s_and_saveexec_b32 s17, s4
	s_cbranch_execz .LBB374_936
; %bb.931:                              ;   in Loop: Header=BB374_806 Depth=1
	v_bfe_u32 v25, v21, 24, 7
	v_mov_b32_e32 v23, 0x7f800001
	s_mov_b32 s18, exec_lo
	v_cmpx_ne_u32_e32 0x7f, v25
	s_cbranch_execz .LBB374_935
; %bb.932:                              ;   in Loop: Header=BB374_806 Depth=1
	v_mov_b32_e32 v10, 7
	v_lshrrev_b32_e32 v20, 3, v25
	s_mov_b32 s20, exec_lo
	v_and_b32_sdwa v10, v21, v10 dst_sel:DWORD dst_unused:UNUSED_PAD src0_sel:BYTE_3 src1_sel:DWORD
	v_cmpx_gt_u32_e32 8, v25
; %bb.933:                              ;   in Loop: Header=BB374_806 Depth=1
	v_ffbh_u32_e32 v20, v10
	v_min_u32_e32 v20, 32, v20
	v_subrev_nc_u32_e32 v23, 28, v20
	v_sub_nc_u32_e32 v20, 29, v20
	v_lshlrev_b64 v[25:26], v23, v[10:11]
	v_and_b32_e32 v10, 7, v25
; %bb.934:                              ;   in Loop: Header=BB374_806 Depth=1
	s_or_b32 exec_lo, exec_lo, s20
	v_mov_b32_e32 v23, 24
	v_lshlrev_b32_e32 v10, 20, v10
	v_lshl_add_u32 v20, v20, 23, 0x3c000000
	v_lshlrev_b32_sdwa v21, v23, v21 dst_sel:DWORD dst_unused:UNUSED_PAD src0_sel:DWORD src1_sel:BYTE_3
	v_and_b32_e32 v21, 0x80000000, v21
	v_or3_b32 v23, v10, v21, v20
.LBB374_935:                            ;   in Loop: Header=BB374_806 Depth=1
	s_or_b32 exec_lo, exec_lo, s18
.LBB374_936:                            ;   in Loop: Header=BB374_806 Depth=1
	s_or_b32 exec_lo, exec_lo, s17
.LBB374_937:                            ;   in Loop: Header=BB374_806 Depth=1
	s_or_b32 exec_lo, exec_lo, s16
	v_mul_f32_e32 v10, v44, v22
	v_mul_f32_e32 v16, v44, v16
	;; [unrolled: 1-line block ×5, first 2 shown]
	v_bfe_u32 v20, v10, 16, 1
	v_or_b32_e32 v21, 0x400000, v10
	v_bfe_u32 v22, v16, 16, 1
	v_cmp_u_f32_e64 s4, v10, v10
	v_or_b32_e32 v25, 0x400000, v16
	v_add3_u32 v20, v20, v10, 0x7fff
	v_bfe_u32 v26, v13, 16, 1
	v_add3_u32 v22, v22, v16, 0x7fff
	v_or_b32_e32 v27, 0x400000, v13
	v_bfe_u32 v28, v12, 16, 1
	v_cndmask_b32_e64 v10, v20, v21, s4
	v_cmp_u_f32_e64 s4, v16, v16
	v_add3_u32 v26, v26, v13, 0x7fff
	v_or_b32_e32 v20, 0x400000, v12
	v_mul_f32_e32 v4, v44, v4
	v_lshrrev_b32_e32 v113, 16, v10
	v_cndmask_b32_e64 v16, v22, v25, s4
	v_cmp_u_f32_e64 s4, v13, v13
	v_add3_u32 v10, v28, v12, 0x7fff
	v_bfe_u32 v21, v4, 16, 1
	v_lshrrev_b32_e32 v103, 16, v16
	v_cndmask_b32_e64 v13, v26, v27, s4
	v_cmp_u_f32_e64 s4, v12, v12
	v_mul_f32_e32 v12, v44, v24
	v_or_b32_e32 v16, 0x400000, v5
	v_lshrrev_b32_e32 v114, 16, v13
	v_bfe_u32 v13, v5, 16, 1
	v_cndmask_b32_e64 v10, v10, v20, s4
	v_cmp_u_f32_e64 s4, v5, v5
	v_mul_f32_e32 v20, v44, v23
	v_bfe_u32 v22, v12, 16, 1
	v_add3_u32 v13, v13, v5, 0x7fff
	v_or_b32_e32 v23, 0x400000, v12
	v_lshrrev_b32_e32 v115, 16, v10
	v_or_b32_e32 v24, 0x400000, v20
	v_add3_u32 v22, v22, v12, 0x7fff
	v_cndmask_b32_e64 v5, v13, v16, s4
	v_add3_u32 v16, v21, v4, 0x7fff
	v_or_b32_e32 v21, 0x400000, v4
	v_cmp_u_f32_e64 s4, v4, v4
	v_bfe_u32 v13, v20, 16, 1
	v_lshrrev_b32_e32 v117, 16, v5
	v_cndmask_b32_e64 v4, v16, v21, s4
	v_cmp_u_f32_e64 s4, v12, v12
	v_add3_u32 v13, v13, v20, 0x7fff
	v_lshrrev_b32_e32 v116, 16, v4
	v_cndmask_b32_e64 v12, v22, v23, s4
	v_cmp_u_f32_e64 s4, v20, v20
	v_lshrrev_b32_e32 v102, 16, v12
	v_cndmask_b32_e64 v13, v13, v24, s4
	v_lshrrev_b32_e32 v112, 16, v13
	s_and_saveexec_b32 s16, vcc_lo
	s_cbranch_execz .LBB374_939
; %bb.938:                              ;   in Loop: Header=BB374_806 Depth=1
	v_cmp_lt_i32_e64 s4, v47, v38
	v_cndmask_b32_e64 v116, 0, v116, s4
	v_cmp_lt_i32_e64 s4, v62, v38
	v_cndmask_b32_e64 v117, 0, v117, s4
	;; [unrolled: 2-line block ×8, first 2 shown]
.LBB374_939:                            ;   in Loop: Header=BB374_806 Depth=1
	s_or_b32 exec_lo, exec_lo, s16
	flat_load_dwordx2 v[20:21], v[18:19] offset:512
	v_mov_b32_e32 v5, 0
	v_mov_b32_e32 v4, 0
	s_waitcnt vmcnt(0) lgkmcnt(0)
	v_cmp_ne_u16_sdwa s4, v20, v11 src0_sel:BYTE_0 src1_sel:DWORD
	s_and_saveexec_b32 s16, s4
	s_cbranch_execz .LBB374_947
; %bb.940:                              ;   in Loop: Header=BB374_806 Depth=1
	v_cmp_ne_u16_sdwa s4, v20, v70 src0_sel:BYTE_0 src1_sel:DWORD
	v_bfrev_b32_e32 v4, 1
	s_and_saveexec_b32 s17, s4
	s_cbranch_execz .LBB374_946
; %bb.941:                              ;   in Loop: Header=BB374_806 Depth=1
	v_and_b32_e32 v10, 0x7f, v20
	v_mov_b32_e32 v4, 0x7f800001
	s_mov_b32 s18, exec_lo
	v_cmpx_ne_u32_e32 0x7f, v10
	s_cbranch_execz .LBB374_945
; %bb.942:                              ;   in Loop: Header=BB374_806 Depth=1
	v_mov_b32_e32 v24, v21
	v_lshrrev_b32_e32 v4, 3, v10
	v_mov_b32_e32 v23, v20
	s_mov_b32 s20, exec_lo
	v_cmpx_gt_u32_e32 8, v10
; %bb.943:                              ;   in Loop: Header=BB374_806 Depth=1
	v_and_b32_e32 v4, 7, v20
	v_ffbh_u32_e32 v4, v4
	v_min_u32_e32 v4, 32, v4
	v_subrev_nc_u32_e32 v10, 28, v4
	v_sub_nc_u32_e32 v4, 29, v4
	v_lshlrev_b64 v[23:24], v10, v[20:21]
; %bb.944:                              ;   in Loop: Header=BB374_806 Depth=1
	s_or_b32 exec_lo, exec_lo, s20
	v_lshlrev_b32_e32 v10, 20, v23
	v_lshlrev_b32_e32 v12, 24, v20
	v_lshl_add_u32 v4, v4, 23, 0x3c000000
	v_and_b32_e32 v10, 0x700000, v10
	v_and_b32_e32 v12, 0x80000000, v12
	v_or3_b32 v4, v10, v12, v4
.LBB374_945:                            ;   in Loop: Header=BB374_806 Depth=1
	s_or_b32 exec_lo, exec_lo, s18
.LBB374_946:                            ;   in Loop: Header=BB374_806 Depth=1
	s_or_b32 exec_lo, exec_lo, s17
.LBB374_947:                            ;   in Loop: Header=BB374_806 Depth=1
	s_or_b32 exec_lo, exec_lo, s16
	v_cmp_ne_u16_sdwa s4, v20, v11 src0_sel:BYTE_1 src1_sel:DWORD
	s_and_saveexec_b32 s16, s4
	s_cbranch_execz .LBB374_955
; %bb.948:                              ;   in Loop: Header=BB374_806 Depth=1
	v_cmp_ne_u16_sdwa s4, v20, v70 src0_sel:BYTE_1 src1_sel:DWORD
	v_bfrev_b32_e32 v5, 1
	s_and_saveexec_b32 s17, s4
	s_cbranch_execz .LBB374_954
; %bb.949:                              ;   in Loop: Header=BB374_806 Depth=1
	v_mov_b32_e32 v5, 0xffff
	s_mov_b32 s18, exec_lo
	v_and_b32_sdwa v10, v5, v20 dst_sel:DWORD dst_unused:UNUSED_PAD src0_sel:DWORD src1_sel:BYTE_1
	v_mov_b32_e32 v5, 0x7f800001
	v_and_b32_e32 v12, 0x7f, v10
	v_cmpx_ne_u32_e32 0x7f, v12
	s_cbranch_execz .LBB374_953
; %bb.950:                              ;   in Loop: Header=BB374_806 Depth=1
	v_and_b32_e32 v10, 7, v10
	v_lshrrev_b32_e32 v5, 3, v12
	s_mov_b32 s20, exec_lo
	v_cmpx_gt_u32_e32 8, v12
; %bb.951:                              ;   in Loop: Header=BB374_806 Depth=1
	v_ffbh_u32_e32 v5, v10
	v_min_u32_e32 v5, 32, v5
	v_subrev_nc_u32_e32 v12, 28, v5
	v_sub_nc_u32_e32 v5, 29, v5
	v_lshlrev_b64 v[12:13], v12, v[10:11]
	v_and_b32_e32 v10, 7, v12
; %bb.952:                              ;   in Loop: Header=BB374_806 Depth=1
	s_or_b32 exec_lo, exec_lo, s20
	v_lshlrev_b32_e32 v12, 16, v20
	v_lshlrev_b32_e32 v10, 20, v10
	v_lshl_add_u32 v5, v5, 23, 0x3c000000
	v_and_b32_e32 v12, 0x80000000, v12
	v_or3_b32 v5, v10, v12, v5
.LBB374_953:                            ;   in Loop: Header=BB374_806 Depth=1
	s_or_b32 exec_lo, exec_lo, s18
.LBB374_954:                            ;   in Loop: Header=BB374_806 Depth=1
	s_or_b32 exec_lo, exec_lo, s17
.LBB374_955:                            ;   in Loop: Header=BB374_806 Depth=1
	s_or_b32 exec_lo, exec_lo, s16
	v_and_b32_sdwa v10, v20, v80 dst_sel:DWORD dst_unused:UNUSED_PAD src0_sel:WORD_1 src1_sel:DWORD
	v_mov_b32_e32 v13, 0
	v_mov_b32_e32 v12, 0
	s_mov_b32 s16, exec_lo
	v_cmpx_ne_u16_e32 0, v10
	s_cbranch_execz .LBB374_963
; %bb.956:                              ;   in Loop: Header=BB374_806 Depth=1
	v_bfrev_b32_e32 v12, 1
	s_mov_b32 s17, exec_lo
	v_cmpx_ne_u16_e32 0x80, v10
	s_cbranch_execz .LBB374_962
; %bb.957:                              ;   in Loop: Header=BB374_806 Depth=1
	v_bfe_u32 v16, v20, 16, 7
	v_mov_b32_e32 v12, 0x7f800001
	s_mov_b32 s18, exec_lo
	v_cmpx_ne_u32_e32 0x7f, v16
	s_cbranch_execz .LBB374_961
; %bb.958:                              ;   in Loop: Header=BB374_806 Depth=1
	v_mov_b32_e32 v10, 7
	v_lshrrev_b32_e32 v12, 3, v16
	s_mov_b32 s20, exec_lo
	v_and_b32_sdwa v10, v20, v10 dst_sel:DWORD dst_unused:UNUSED_PAD src0_sel:WORD_1 src1_sel:DWORD
	v_cmpx_gt_u32_e32 8, v16
; %bb.959:                              ;   in Loop: Header=BB374_806 Depth=1
	v_ffbh_u32_e32 v12, v10
	v_min_u32_e32 v12, 32, v12
	v_subrev_nc_u32_e32 v16, 28, v12
	v_sub_nc_u32_e32 v12, 29, v12
	v_lshlrev_b64 v[22:23], v16, v[10:11]
	v_and_b32_e32 v10, 7, v22
; %bb.960:                              ;   in Loop: Header=BB374_806 Depth=1
	s_or_b32 exec_lo, exec_lo, s20
	v_mov_b32_e32 v16, 24
	v_lshlrev_b32_e32 v10, 20, v10
	v_lshl_add_u32 v12, v12, 23, 0x3c000000
	v_lshlrev_b32_sdwa v16, v16, v20 dst_sel:DWORD dst_unused:UNUSED_PAD src0_sel:DWORD src1_sel:WORD_1
	v_and_b32_e32 v16, 0x80000000, v16
	v_or3_b32 v12, v10, v16, v12
.LBB374_961:                            ;   in Loop: Header=BB374_806 Depth=1
	s_or_b32 exec_lo, exec_lo, s18
.LBB374_962:                            ;   in Loop: Header=BB374_806 Depth=1
	s_or_b32 exec_lo, exec_lo, s17
.LBB374_963:                            ;   in Loop: Header=BB374_806 Depth=1
	s_or_b32 exec_lo, exec_lo, s16
	s_mov_b32 s16, exec_lo
	v_cmpx_lt_u32_e32 0xffffff, v20
	s_cbranch_execz .LBB374_971
; %bb.964:                              ;   in Loop: Header=BB374_806 Depth=1
	v_cmp_ne_u32_sdwa s4, v20, v70 src0_sel:BYTE_3 src1_sel:DWORD
	v_bfrev_b32_e32 v13, 1
	s_and_saveexec_b32 s17, s4
	s_cbranch_execz .LBB374_970
; %bb.965:                              ;   in Loop: Header=BB374_806 Depth=1
	v_bfe_u32 v16, v20, 24, 7
	v_mov_b32_e32 v13, 0x7f800001
	s_mov_b32 s18, exec_lo
	v_cmpx_ne_u32_e32 0x7f, v16
	s_cbranch_execz .LBB374_969
; %bb.966:                              ;   in Loop: Header=BB374_806 Depth=1
	v_mov_b32_e32 v10, 7
	v_lshrrev_b32_e32 v13, 3, v16
	s_mov_b32 s20, exec_lo
	v_and_b32_sdwa v10, v20, v10 dst_sel:DWORD dst_unused:UNUSED_PAD src0_sel:BYTE_3 src1_sel:DWORD
	v_cmpx_gt_u32_e32 8, v16
; %bb.967:                              ;   in Loop: Header=BB374_806 Depth=1
	v_ffbh_u32_e32 v13, v10
	v_min_u32_e32 v13, 32, v13
	v_subrev_nc_u32_e32 v16, 28, v13
	v_sub_nc_u32_e32 v13, 29, v13
	v_lshlrev_b64 v[22:23], v16, v[10:11]
	v_and_b32_e32 v10, 7, v22
; %bb.968:                              ;   in Loop: Header=BB374_806 Depth=1
	s_or_b32 exec_lo, exec_lo, s20
	v_mov_b32_e32 v16, 24
	v_lshlrev_b32_e32 v10, 20, v10
	v_lshl_add_u32 v13, v13, 23, 0x3c000000
	v_lshlrev_b32_sdwa v16, v16, v20 dst_sel:DWORD dst_unused:UNUSED_PAD src0_sel:DWORD src1_sel:BYTE_3
	v_and_b32_e32 v16, 0x80000000, v16
	v_or3_b32 v13, v10, v16, v13
.LBB374_969:                            ;   in Loop: Header=BB374_806 Depth=1
	s_or_b32 exec_lo, exec_lo, s18
.LBB374_970:                            ;   in Loop: Header=BB374_806 Depth=1
	s_or_b32 exec_lo, exec_lo, s17
.LBB374_971:                            ;   in Loop: Header=BB374_806 Depth=1
	s_or_b32 exec_lo, exec_lo, s16
	v_mov_b32_e32 v10, v21
	v_cmp_ne_u16_sdwa s4, v21, v11 src0_sel:BYTE_0 src1_sel:DWORD
	v_mov_b32_e32 v22, 0
	v_mov_b32_e32 v16, 0
	s_and_saveexec_b32 s16, s4
	s_cbranch_execz .LBB374_979
; %bb.972:                              ;   in Loop: Header=BB374_806 Depth=1
	v_cmp_ne_u16_sdwa s4, v21, v70 src0_sel:BYTE_0 src1_sel:DWORD
	v_bfrev_b32_e32 v16, 1
	s_and_saveexec_b32 s17, s4
	s_cbranch_execz .LBB374_978
; %bb.973:                              ;   in Loop: Header=BB374_806 Depth=1
	v_and_b32_e32 v23, 0x7f, v21
	v_mov_b32_e32 v16, 0x7f800001
	s_mov_b32 s18, exec_lo
	v_cmpx_ne_u32_e32 0x7f, v23
	s_cbranch_execz .LBB374_977
; %bb.974:                              ;   in Loop: Header=BB374_806 Depth=1
	v_lshrrev_b32_e32 v16, 3, v23
	v_cmp_gt_u32_e64 s4, 8, v23
	v_mov_b32_e32 v24, v11
	v_mov_b32_e32 v23, v10
	s_and_saveexec_b32 s20, s4
; %bb.975:                              ;   in Loop: Header=BB374_806 Depth=1
	v_and_b32_e32 v16, 7, v21
	v_ffbh_u32_e32 v16, v16
	v_min_u32_e32 v16, 32, v16
	v_subrev_nc_u32_e32 v23, 28, v16
	v_sub_nc_u32_e32 v16, 29, v16
	v_lshlrev_b64 v[23:24], v23, v[10:11]
; %bb.976:                              ;   in Loop: Header=BB374_806 Depth=1
	s_or_b32 exec_lo, exec_lo, s20
	v_lshlrev_b32_e32 v23, 20, v23
	v_lshlrev_b32_e32 v24, 24, v10
	v_lshl_add_u32 v16, v16, 23, 0x3c000000
	v_and_b32_e32 v23, 0x700000, v23
	v_and_b32_e32 v24, 0x80000000, v24
	v_or3_b32 v16, v23, v24, v16
.LBB374_977:                            ;   in Loop: Header=BB374_806 Depth=1
	s_or_b32 exec_lo, exec_lo, s18
.LBB374_978:                            ;   in Loop: Header=BB374_806 Depth=1
	s_or_b32 exec_lo, exec_lo, s17
.LBB374_979:                            ;   in Loop: Header=BB374_806 Depth=1
	s_or_b32 exec_lo, exec_lo, s16
	v_cmp_ne_u16_sdwa s4, v10, v11 src0_sel:BYTE_1 src1_sel:DWORD
	s_and_saveexec_b32 s16, s4
	s_cbranch_execz .LBB374_987
; %bb.980:                              ;   in Loop: Header=BB374_806 Depth=1
	v_cmp_ne_u16_sdwa s4, v10, v70 src0_sel:BYTE_1 src1_sel:DWORD
	v_bfrev_b32_e32 v22, 1
	s_and_saveexec_b32 s17, s4
	s_cbranch_execz .LBB374_986
; %bb.981:                              ;   in Loop: Header=BB374_806 Depth=1
	v_mov_b32_e32 v22, 0xffff
	s_mov_b32 s18, exec_lo
	v_and_b32_sdwa v23, v22, v10 dst_sel:DWORD dst_unused:UNUSED_PAD src0_sel:DWORD src1_sel:BYTE_1
	v_mov_b32_e32 v22, 0x7f800001
	v_and_b32_e32 v25, 0x7f, v23
	v_cmpx_ne_u32_e32 0x7f, v25
	s_cbranch_execz .LBB374_985
; %bb.982:                              ;   in Loop: Header=BB374_806 Depth=1
	v_and_b32_e32 v23, 7, v23
	v_mov_b32_e32 v24, v11
	v_lshrrev_b32_e32 v22, 3, v25
	s_mov_b32 s20, exec_lo
	v_cmpx_gt_u32_e32 8, v25
; %bb.983:                              ;   in Loop: Header=BB374_806 Depth=1
	v_ffbh_u32_e32 v22, v23
	v_min_u32_e32 v22, 32, v22
	v_subrev_nc_u32_e32 v25, 28, v22
	v_sub_nc_u32_e32 v22, 29, v22
	v_lshlrev_b64 v[23:24], v25, v[23:24]
	v_and_b32_e32 v23, 7, v23
; %bb.984:                              ;   in Loop: Header=BB374_806 Depth=1
	s_or_b32 exec_lo, exec_lo, s20
	v_lshlrev_b32_e32 v10, 16, v10
	v_lshlrev_b32_e32 v23, 20, v23
	v_lshl_add_u32 v22, v22, 23, 0x3c000000
	v_and_b32_e32 v10, 0x80000000, v10
	v_or3_b32 v22, v23, v10, v22
.LBB374_985:                            ;   in Loop: Header=BB374_806 Depth=1
	s_or_b32 exec_lo, exec_lo, s18
.LBB374_986:                            ;   in Loop: Header=BB374_806 Depth=1
	s_or_b32 exec_lo, exec_lo, s17
.LBB374_987:                            ;   in Loop: Header=BB374_806 Depth=1
	s_or_b32 exec_lo, exec_lo, s16
	v_and_b32_sdwa v10, v21, v80 dst_sel:DWORD dst_unused:UNUSED_PAD src0_sel:WORD_1 src1_sel:DWORD
	v_mov_b32_e32 v23, 0
	v_mov_b32_e32 v24, 0
	s_mov_b32 s16, exec_lo
	v_cmpx_ne_u16_e32 0, v10
	s_cbranch_execz .LBB374_995
; %bb.988:                              ;   in Loop: Header=BB374_806 Depth=1
	v_bfrev_b32_e32 v24, 1
	s_mov_b32 s17, exec_lo
	v_cmpx_ne_u16_e32 0x80, v10
	s_cbranch_execz .LBB374_994
; %bb.989:                              ;   in Loop: Header=BB374_806 Depth=1
	v_bfe_u32 v25, v21, 16, 7
	v_mov_b32_e32 v24, 0x7f800001
	s_mov_b32 s18, exec_lo
	v_cmpx_ne_u32_e32 0x7f, v25
	s_cbranch_execz .LBB374_993
; %bb.990:                              ;   in Loop: Header=BB374_806 Depth=1
	v_mov_b32_e32 v10, 7
	v_lshrrev_b32_e32 v24, 3, v25
	s_mov_b32 s20, exec_lo
	v_and_b32_sdwa v10, v21, v10 dst_sel:DWORD dst_unused:UNUSED_PAD src0_sel:WORD_1 src1_sel:DWORD
	v_cmpx_gt_u32_e32 8, v25
; %bb.991:                              ;   in Loop: Header=BB374_806 Depth=1
	v_ffbh_u32_e32 v24, v10
	v_min_u32_e32 v24, 32, v24
	v_subrev_nc_u32_e32 v25, 28, v24
	v_sub_nc_u32_e32 v24, 29, v24
	v_lshlrev_b64 v[25:26], v25, v[10:11]
	v_and_b32_e32 v10, 7, v25
; %bb.992:                              ;   in Loop: Header=BB374_806 Depth=1
	s_or_b32 exec_lo, exec_lo, s20
	v_mov_b32_e32 v25, 24
	v_lshlrev_b32_e32 v10, 20, v10
	v_lshl_add_u32 v24, v24, 23, 0x3c000000
	v_lshlrev_b32_sdwa v25, v25, v21 dst_sel:DWORD dst_unused:UNUSED_PAD src0_sel:DWORD src1_sel:WORD_1
	v_and_b32_e32 v25, 0x80000000, v25
	v_or3_b32 v24, v10, v25, v24
.LBB374_993:                            ;   in Loop: Header=BB374_806 Depth=1
	s_or_b32 exec_lo, exec_lo, s18
.LBB374_994:                            ;   in Loop: Header=BB374_806 Depth=1
	s_or_b32 exec_lo, exec_lo, s17
.LBB374_995:                            ;   in Loop: Header=BB374_806 Depth=1
	s_or_b32 exec_lo, exec_lo, s16
	s_mov_b32 s16, exec_lo
	v_cmpx_lt_u64_e64 s[12:13], v[20:21]
	s_cbranch_execz .LBB374_1003
; %bb.996:                              ;   in Loop: Header=BB374_806 Depth=1
	v_cmp_ne_u32_sdwa s4, v21, v70 src0_sel:BYTE_3 src1_sel:DWORD
	v_bfrev_b32_e32 v23, 1
	s_and_saveexec_b32 s17, s4
	s_cbranch_execz .LBB374_1002
; %bb.997:                              ;   in Loop: Header=BB374_806 Depth=1
	v_bfe_u32 v25, v21, 24, 7
	v_mov_b32_e32 v23, 0x7f800001
	s_mov_b32 s18, exec_lo
	v_cmpx_ne_u32_e32 0x7f, v25
	s_cbranch_execz .LBB374_1001
; %bb.998:                              ;   in Loop: Header=BB374_806 Depth=1
	v_mov_b32_e32 v10, 7
	v_lshrrev_b32_e32 v20, 3, v25
	s_mov_b32 s20, exec_lo
	v_and_b32_sdwa v10, v21, v10 dst_sel:DWORD dst_unused:UNUSED_PAD src0_sel:BYTE_3 src1_sel:DWORD
	v_cmpx_gt_u32_e32 8, v25
; %bb.999:                              ;   in Loop: Header=BB374_806 Depth=1
	v_ffbh_u32_e32 v20, v10
	v_min_u32_e32 v20, 32, v20
	v_subrev_nc_u32_e32 v23, 28, v20
	v_sub_nc_u32_e32 v20, 29, v20
	v_lshlrev_b64 v[25:26], v23, v[10:11]
	v_and_b32_e32 v10, 7, v25
; %bb.1000:                             ;   in Loop: Header=BB374_806 Depth=1
	s_or_b32 exec_lo, exec_lo, s20
	v_mov_b32_e32 v23, 24
	v_lshlrev_b32_e32 v10, 20, v10
	v_lshl_add_u32 v20, v20, 23, 0x3c000000
	v_lshlrev_b32_sdwa v21, v23, v21 dst_sel:DWORD dst_unused:UNUSED_PAD src0_sel:DWORD src1_sel:BYTE_3
	v_and_b32_e32 v21, 0x80000000, v21
	v_or3_b32 v23, v10, v21, v20
.LBB374_1001:                           ;   in Loop: Header=BB374_806 Depth=1
	s_or_b32 exec_lo, exec_lo, s18
.LBB374_1002:                           ;   in Loop: Header=BB374_806 Depth=1
	s_or_b32 exec_lo, exec_lo, s17
.LBB374_1003:                           ;   in Loop: Header=BB374_806 Depth=1
	s_or_b32 exec_lo, exec_lo, s16
	v_mul_f32_e32 v10, v44, v22
	v_mul_f32_e32 v16, v44, v16
	;; [unrolled: 1-line block ×5, first 2 shown]
	v_bfe_u32 v20, v10, 16, 1
	v_or_b32_e32 v21, 0x400000, v10
	v_bfe_u32 v22, v16, 16, 1
	v_cmp_u_f32_e64 s4, v10, v10
	v_or_b32_e32 v25, 0x400000, v16
	v_add3_u32 v20, v20, v10, 0x7fff
	v_bfe_u32 v26, v13, 16, 1
	v_add3_u32 v22, v22, v16, 0x7fff
	v_or_b32_e32 v27, 0x400000, v13
	v_bfe_u32 v28, v12, 16, 1
	v_cndmask_b32_e64 v10, v20, v21, s4
	v_cmp_u_f32_e64 s4, v16, v16
	v_add3_u32 v26, v26, v13, 0x7fff
	v_or_b32_e32 v20, 0x400000, v12
	v_mul_f32_e32 v4, v44, v4
	v_lshrrev_b32_e32 v40, 16, v10
	v_cndmask_b32_e64 v16, v22, v25, s4
	v_cmp_u_f32_e64 s4, v13, v13
	v_add3_u32 v10, v28, v12, 0x7fff
	v_bfe_u32 v21, v4, 16, 1
	v_lshrrev_b32_e32 v119, 16, v16
	v_cndmask_b32_e64 v13, v26, v27, s4
	v_cmp_u_f32_e64 s4, v12, v12
	v_mul_f32_e32 v12, v44, v24
	v_or_b32_e32 v16, 0x400000, v5
	v_lshrrev_b32_e32 v42, 16, v13
	v_bfe_u32 v13, v5, 16, 1
	v_cndmask_b32_e64 v10, v10, v20, s4
	v_cmp_u_f32_e64 s4, v5, v5
	v_mul_f32_e32 v20, v44, v23
	v_bfe_u32 v22, v12, 16, 1
	v_add3_u32 v13, v13, v5, 0x7fff
	v_or_b32_e32 v23, 0x400000, v12
	v_lshrrev_b32_e32 v43, 16, v10
	v_or_b32_e32 v24, 0x400000, v20
	v_add3_u32 v22, v22, v12, 0x7fff
	v_cndmask_b32_e64 v5, v13, v16, s4
	v_add3_u32 v16, v21, v4, 0x7fff
	v_or_b32_e32 v21, 0x400000, v4
	v_cmp_u_f32_e64 s4, v4, v4
	v_bfe_u32 v13, v20, 16, 1
	v_lshrrev_b32_e32 v46, 16, v5
	v_cndmask_b32_e64 v4, v16, v21, s4
	v_cmp_u_f32_e64 s4, v12, v12
	v_add3_u32 v13, v13, v20, 0x7fff
	v_lshrrev_b32_e32 v45, 16, v4
	v_cndmask_b32_e64 v12, v22, v23, s4
	v_cmp_u_f32_e64 s4, v20, v20
	v_lshrrev_b32_e32 v118, 16, v12
	v_cndmask_b32_e64 v13, v13, v24, s4
	v_lshrrev_b32_e32 v41, 16, v13
	s_and_saveexec_b32 s16, vcc_lo
	s_cbranch_execz .LBB374_1005
; %bb.1004:                             ;   in Loop: Header=BB374_806 Depth=1
	v_cmp_lt_i32_e64 s4, v47, v38
	v_cndmask_b32_e64 v45, 0, v45, s4
	v_cmp_lt_i32_e64 s4, v62, v38
	v_cndmask_b32_e64 v46, 0, v46, s4
	;; [unrolled: 2-line block ×8, first 2 shown]
.LBB374_1005:                           ;   in Loop: Header=BB374_806 Depth=1
	s_or_b32 exec_lo, exec_lo, s16
	flat_load_dwordx2 v[20:21], v[18:19] offset:768
	v_mov_b32_e32 v5, 0
	v_mov_b32_e32 v4, 0
	s_waitcnt vmcnt(0) lgkmcnt(0)
	v_cmp_ne_u16_sdwa s4, v20, v11 src0_sel:BYTE_0 src1_sel:DWORD
	s_and_saveexec_b32 s16, s4
	s_cbranch_execz .LBB374_1013
; %bb.1006:                             ;   in Loop: Header=BB374_806 Depth=1
	v_cmp_ne_u16_sdwa s4, v20, v70 src0_sel:BYTE_0 src1_sel:DWORD
	v_bfrev_b32_e32 v4, 1
	s_and_saveexec_b32 s17, s4
	s_cbranch_execz .LBB374_1012
; %bb.1007:                             ;   in Loop: Header=BB374_806 Depth=1
	v_and_b32_e32 v10, 0x7f, v20
	v_mov_b32_e32 v4, 0x7f800001
	s_mov_b32 s18, exec_lo
	v_cmpx_ne_u32_e32 0x7f, v10
	s_cbranch_execz .LBB374_1011
; %bb.1008:                             ;   in Loop: Header=BB374_806 Depth=1
	v_mov_b32_e32 v24, v21
	v_lshrrev_b32_e32 v4, 3, v10
	v_mov_b32_e32 v23, v20
	s_mov_b32 s20, exec_lo
	v_cmpx_gt_u32_e32 8, v10
; %bb.1009:                             ;   in Loop: Header=BB374_806 Depth=1
	v_and_b32_e32 v4, 7, v20
	v_ffbh_u32_e32 v4, v4
	v_min_u32_e32 v4, 32, v4
	v_subrev_nc_u32_e32 v10, 28, v4
	v_sub_nc_u32_e32 v4, 29, v4
	v_lshlrev_b64 v[23:24], v10, v[20:21]
; %bb.1010:                             ;   in Loop: Header=BB374_806 Depth=1
	s_or_b32 exec_lo, exec_lo, s20
	v_lshlrev_b32_e32 v10, 20, v23
	v_lshlrev_b32_e32 v12, 24, v20
	v_lshl_add_u32 v4, v4, 23, 0x3c000000
	v_and_b32_e32 v10, 0x700000, v10
	v_and_b32_e32 v12, 0x80000000, v12
	v_or3_b32 v4, v10, v12, v4
.LBB374_1011:                           ;   in Loop: Header=BB374_806 Depth=1
	s_or_b32 exec_lo, exec_lo, s18
.LBB374_1012:                           ;   in Loop: Header=BB374_806 Depth=1
	s_or_b32 exec_lo, exec_lo, s17
.LBB374_1013:                           ;   in Loop: Header=BB374_806 Depth=1
	s_or_b32 exec_lo, exec_lo, s16
	v_cmp_ne_u16_sdwa s4, v20, v11 src0_sel:BYTE_1 src1_sel:DWORD
	s_and_saveexec_b32 s16, s4
	s_cbranch_execz .LBB374_1021
; %bb.1014:                             ;   in Loop: Header=BB374_806 Depth=1
	v_cmp_ne_u16_sdwa s4, v20, v70 src0_sel:BYTE_1 src1_sel:DWORD
	v_bfrev_b32_e32 v5, 1
	s_and_saveexec_b32 s17, s4
	s_cbranch_execz .LBB374_1020
; %bb.1015:                             ;   in Loop: Header=BB374_806 Depth=1
	v_mov_b32_e32 v5, 0xffff
	s_mov_b32 s18, exec_lo
	v_and_b32_sdwa v10, v5, v20 dst_sel:DWORD dst_unused:UNUSED_PAD src0_sel:DWORD src1_sel:BYTE_1
	v_mov_b32_e32 v5, 0x7f800001
	v_and_b32_e32 v12, 0x7f, v10
	v_cmpx_ne_u32_e32 0x7f, v12
	s_cbranch_execz .LBB374_1019
; %bb.1016:                             ;   in Loop: Header=BB374_806 Depth=1
	v_and_b32_e32 v10, 7, v10
	v_lshrrev_b32_e32 v5, 3, v12
	s_mov_b32 s20, exec_lo
	v_cmpx_gt_u32_e32 8, v12
; %bb.1017:                             ;   in Loop: Header=BB374_806 Depth=1
	v_ffbh_u32_e32 v5, v10
	v_min_u32_e32 v5, 32, v5
	v_subrev_nc_u32_e32 v12, 28, v5
	v_sub_nc_u32_e32 v5, 29, v5
	v_lshlrev_b64 v[12:13], v12, v[10:11]
	v_and_b32_e32 v10, 7, v12
; %bb.1018:                             ;   in Loop: Header=BB374_806 Depth=1
	s_or_b32 exec_lo, exec_lo, s20
	v_lshlrev_b32_e32 v12, 16, v20
	v_lshlrev_b32_e32 v10, 20, v10
	v_lshl_add_u32 v5, v5, 23, 0x3c000000
	v_and_b32_e32 v12, 0x80000000, v12
	v_or3_b32 v5, v10, v12, v5
.LBB374_1019:                           ;   in Loop: Header=BB374_806 Depth=1
	s_or_b32 exec_lo, exec_lo, s18
.LBB374_1020:                           ;   in Loop: Header=BB374_806 Depth=1
	s_or_b32 exec_lo, exec_lo, s17
.LBB374_1021:                           ;   in Loop: Header=BB374_806 Depth=1
	s_or_b32 exec_lo, exec_lo, s16
	v_and_b32_sdwa v10, v20, v80 dst_sel:DWORD dst_unused:UNUSED_PAD src0_sel:WORD_1 src1_sel:DWORD
	v_mov_b32_e32 v13, 0
	v_mov_b32_e32 v12, 0
	s_mov_b32 s16, exec_lo
	v_cmpx_ne_u16_e32 0, v10
	s_cbranch_execz .LBB374_1029
; %bb.1022:                             ;   in Loop: Header=BB374_806 Depth=1
	v_bfrev_b32_e32 v12, 1
	s_mov_b32 s17, exec_lo
	v_cmpx_ne_u16_e32 0x80, v10
	s_cbranch_execz .LBB374_1028
; %bb.1023:                             ;   in Loop: Header=BB374_806 Depth=1
	v_bfe_u32 v16, v20, 16, 7
	v_mov_b32_e32 v12, 0x7f800001
	s_mov_b32 s18, exec_lo
	v_cmpx_ne_u32_e32 0x7f, v16
	s_cbranch_execz .LBB374_1027
; %bb.1024:                             ;   in Loop: Header=BB374_806 Depth=1
	v_mov_b32_e32 v10, 7
	v_lshrrev_b32_e32 v12, 3, v16
	s_mov_b32 s20, exec_lo
	v_and_b32_sdwa v10, v20, v10 dst_sel:DWORD dst_unused:UNUSED_PAD src0_sel:WORD_1 src1_sel:DWORD
	v_cmpx_gt_u32_e32 8, v16
; %bb.1025:                             ;   in Loop: Header=BB374_806 Depth=1
	v_ffbh_u32_e32 v12, v10
	v_min_u32_e32 v12, 32, v12
	v_subrev_nc_u32_e32 v16, 28, v12
	v_sub_nc_u32_e32 v12, 29, v12
	v_lshlrev_b64 v[22:23], v16, v[10:11]
	v_and_b32_e32 v10, 7, v22
; %bb.1026:                             ;   in Loop: Header=BB374_806 Depth=1
	s_or_b32 exec_lo, exec_lo, s20
	v_mov_b32_e32 v16, 24
	v_lshlrev_b32_e32 v10, 20, v10
	v_lshl_add_u32 v12, v12, 23, 0x3c000000
	v_lshlrev_b32_sdwa v16, v16, v20 dst_sel:DWORD dst_unused:UNUSED_PAD src0_sel:DWORD src1_sel:WORD_1
	v_and_b32_e32 v16, 0x80000000, v16
	v_or3_b32 v12, v10, v16, v12
.LBB374_1027:                           ;   in Loop: Header=BB374_806 Depth=1
	s_or_b32 exec_lo, exec_lo, s18
.LBB374_1028:                           ;   in Loop: Header=BB374_806 Depth=1
	s_or_b32 exec_lo, exec_lo, s17
.LBB374_1029:                           ;   in Loop: Header=BB374_806 Depth=1
	s_or_b32 exec_lo, exec_lo, s16
	s_mov_b32 s16, exec_lo
	v_cmpx_lt_u32_e32 0xffffff, v20
	s_cbranch_execz .LBB374_1037
; %bb.1030:                             ;   in Loop: Header=BB374_806 Depth=1
	v_cmp_ne_u32_sdwa s4, v20, v70 src0_sel:BYTE_3 src1_sel:DWORD
	v_bfrev_b32_e32 v13, 1
	s_and_saveexec_b32 s17, s4
	s_cbranch_execz .LBB374_1036
; %bb.1031:                             ;   in Loop: Header=BB374_806 Depth=1
	v_bfe_u32 v16, v20, 24, 7
	v_mov_b32_e32 v13, 0x7f800001
	s_mov_b32 s18, exec_lo
	v_cmpx_ne_u32_e32 0x7f, v16
	s_cbranch_execz .LBB374_1035
; %bb.1032:                             ;   in Loop: Header=BB374_806 Depth=1
	v_mov_b32_e32 v10, 7
	v_lshrrev_b32_e32 v13, 3, v16
	s_mov_b32 s20, exec_lo
	v_and_b32_sdwa v10, v20, v10 dst_sel:DWORD dst_unused:UNUSED_PAD src0_sel:BYTE_3 src1_sel:DWORD
	v_cmpx_gt_u32_e32 8, v16
; %bb.1033:                             ;   in Loop: Header=BB374_806 Depth=1
	v_ffbh_u32_e32 v13, v10
	v_min_u32_e32 v13, 32, v13
	v_subrev_nc_u32_e32 v16, 28, v13
	v_sub_nc_u32_e32 v13, 29, v13
	v_lshlrev_b64 v[22:23], v16, v[10:11]
	v_and_b32_e32 v10, 7, v22
; %bb.1034:                             ;   in Loop: Header=BB374_806 Depth=1
	s_or_b32 exec_lo, exec_lo, s20
	v_mov_b32_e32 v16, 24
	v_lshlrev_b32_e32 v10, 20, v10
	v_lshl_add_u32 v13, v13, 23, 0x3c000000
	v_lshlrev_b32_sdwa v16, v16, v20 dst_sel:DWORD dst_unused:UNUSED_PAD src0_sel:DWORD src1_sel:BYTE_3
	v_and_b32_e32 v16, 0x80000000, v16
	v_or3_b32 v13, v10, v16, v13
.LBB374_1035:                           ;   in Loop: Header=BB374_806 Depth=1
	s_or_b32 exec_lo, exec_lo, s18
.LBB374_1036:                           ;   in Loop: Header=BB374_806 Depth=1
	s_or_b32 exec_lo, exec_lo, s17
.LBB374_1037:                           ;   in Loop: Header=BB374_806 Depth=1
	s_or_b32 exec_lo, exec_lo, s16
	v_mov_b32_e32 v10, v21
	v_cmp_ne_u16_sdwa s4, v21, v11 src0_sel:BYTE_0 src1_sel:DWORD
	v_mov_b32_e32 v22, 0
	v_mov_b32_e32 v16, 0
	s_and_saveexec_b32 s16, s4
	s_cbranch_execz .LBB374_1045
; %bb.1038:                             ;   in Loop: Header=BB374_806 Depth=1
	v_cmp_ne_u16_sdwa s4, v21, v70 src0_sel:BYTE_0 src1_sel:DWORD
	v_bfrev_b32_e32 v16, 1
	s_and_saveexec_b32 s17, s4
	s_cbranch_execz .LBB374_1044
; %bb.1039:                             ;   in Loop: Header=BB374_806 Depth=1
	v_and_b32_e32 v23, 0x7f, v21
	v_mov_b32_e32 v16, 0x7f800001
	s_mov_b32 s18, exec_lo
	v_cmpx_ne_u32_e32 0x7f, v23
	s_cbranch_execz .LBB374_1043
; %bb.1040:                             ;   in Loop: Header=BB374_806 Depth=1
	v_lshrrev_b32_e32 v16, 3, v23
	v_cmp_gt_u32_e64 s4, 8, v23
	v_mov_b32_e32 v24, v11
	v_mov_b32_e32 v23, v10
	s_and_saveexec_b32 s20, s4
; %bb.1041:                             ;   in Loop: Header=BB374_806 Depth=1
	v_and_b32_e32 v16, 7, v21
	v_ffbh_u32_e32 v16, v16
	v_min_u32_e32 v16, 32, v16
	v_subrev_nc_u32_e32 v23, 28, v16
	v_sub_nc_u32_e32 v16, 29, v16
	v_lshlrev_b64 v[23:24], v23, v[10:11]
; %bb.1042:                             ;   in Loop: Header=BB374_806 Depth=1
	s_or_b32 exec_lo, exec_lo, s20
	v_lshlrev_b32_e32 v23, 20, v23
	v_lshlrev_b32_e32 v24, 24, v10
	v_lshl_add_u32 v16, v16, 23, 0x3c000000
	v_and_b32_e32 v23, 0x700000, v23
	v_and_b32_e32 v24, 0x80000000, v24
	v_or3_b32 v16, v23, v24, v16
.LBB374_1043:                           ;   in Loop: Header=BB374_806 Depth=1
	s_or_b32 exec_lo, exec_lo, s18
.LBB374_1044:                           ;   in Loop: Header=BB374_806 Depth=1
	s_or_b32 exec_lo, exec_lo, s17
.LBB374_1045:                           ;   in Loop: Header=BB374_806 Depth=1
	s_or_b32 exec_lo, exec_lo, s16
	v_cmp_ne_u16_sdwa s4, v10, v11 src0_sel:BYTE_1 src1_sel:DWORD
	s_and_saveexec_b32 s16, s4
	s_cbranch_execz .LBB374_1053
; %bb.1046:                             ;   in Loop: Header=BB374_806 Depth=1
	v_cmp_ne_u16_sdwa s4, v10, v70 src0_sel:BYTE_1 src1_sel:DWORD
	v_bfrev_b32_e32 v22, 1
	s_and_saveexec_b32 s17, s4
	s_cbranch_execz .LBB374_1052
; %bb.1047:                             ;   in Loop: Header=BB374_806 Depth=1
	v_mov_b32_e32 v22, 0xffff
	s_mov_b32 s18, exec_lo
	v_and_b32_sdwa v23, v22, v10 dst_sel:DWORD dst_unused:UNUSED_PAD src0_sel:DWORD src1_sel:BYTE_1
	v_mov_b32_e32 v22, 0x7f800001
	v_and_b32_e32 v25, 0x7f, v23
	v_cmpx_ne_u32_e32 0x7f, v25
	s_cbranch_execz .LBB374_1051
; %bb.1048:                             ;   in Loop: Header=BB374_806 Depth=1
	v_and_b32_e32 v23, 7, v23
	v_mov_b32_e32 v24, v11
	v_lshrrev_b32_e32 v22, 3, v25
	s_mov_b32 s20, exec_lo
	v_cmpx_gt_u32_e32 8, v25
; %bb.1049:                             ;   in Loop: Header=BB374_806 Depth=1
	v_ffbh_u32_e32 v22, v23
	v_min_u32_e32 v22, 32, v22
	v_subrev_nc_u32_e32 v25, 28, v22
	v_sub_nc_u32_e32 v22, 29, v22
	v_lshlrev_b64 v[23:24], v25, v[23:24]
	v_and_b32_e32 v23, 7, v23
; %bb.1050:                             ;   in Loop: Header=BB374_806 Depth=1
	s_or_b32 exec_lo, exec_lo, s20
	v_lshlrev_b32_e32 v10, 16, v10
	v_lshlrev_b32_e32 v23, 20, v23
	v_lshl_add_u32 v22, v22, 23, 0x3c000000
	v_and_b32_e32 v10, 0x80000000, v10
	v_or3_b32 v22, v23, v10, v22
.LBB374_1051:                           ;   in Loop: Header=BB374_806 Depth=1
	s_or_b32 exec_lo, exec_lo, s18
.LBB374_1052:                           ;   in Loop: Header=BB374_806 Depth=1
	s_or_b32 exec_lo, exec_lo, s17
.LBB374_1053:                           ;   in Loop: Header=BB374_806 Depth=1
	s_or_b32 exec_lo, exec_lo, s16
	v_and_b32_sdwa v10, v21, v80 dst_sel:DWORD dst_unused:UNUSED_PAD src0_sel:WORD_1 src1_sel:DWORD
	v_mov_b32_e32 v23, 0
	v_mov_b32_e32 v24, 0
	s_mov_b32 s16, exec_lo
	v_cmpx_ne_u16_e32 0, v10
	s_cbranch_execz .LBB374_1061
; %bb.1054:                             ;   in Loop: Header=BB374_806 Depth=1
	v_bfrev_b32_e32 v24, 1
	s_mov_b32 s17, exec_lo
	v_cmpx_ne_u16_e32 0x80, v10
	s_cbranch_execz .LBB374_1060
; %bb.1055:                             ;   in Loop: Header=BB374_806 Depth=1
	v_bfe_u32 v25, v21, 16, 7
	v_mov_b32_e32 v24, 0x7f800001
	s_mov_b32 s18, exec_lo
	v_cmpx_ne_u32_e32 0x7f, v25
	s_cbranch_execz .LBB374_1059
; %bb.1056:                             ;   in Loop: Header=BB374_806 Depth=1
	v_mov_b32_e32 v10, 7
	v_lshrrev_b32_e32 v24, 3, v25
	s_mov_b32 s20, exec_lo
	v_and_b32_sdwa v10, v21, v10 dst_sel:DWORD dst_unused:UNUSED_PAD src0_sel:WORD_1 src1_sel:DWORD
	v_cmpx_gt_u32_e32 8, v25
; %bb.1057:                             ;   in Loop: Header=BB374_806 Depth=1
	v_ffbh_u32_e32 v24, v10
	v_min_u32_e32 v24, 32, v24
	v_subrev_nc_u32_e32 v25, 28, v24
	v_sub_nc_u32_e32 v24, 29, v24
	v_lshlrev_b64 v[25:26], v25, v[10:11]
	v_and_b32_e32 v10, 7, v25
; %bb.1058:                             ;   in Loop: Header=BB374_806 Depth=1
	s_or_b32 exec_lo, exec_lo, s20
	v_mov_b32_e32 v25, 24
	v_lshlrev_b32_e32 v10, 20, v10
	v_lshl_add_u32 v24, v24, 23, 0x3c000000
	v_lshlrev_b32_sdwa v25, v25, v21 dst_sel:DWORD dst_unused:UNUSED_PAD src0_sel:DWORD src1_sel:WORD_1
	v_and_b32_e32 v25, 0x80000000, v25
	v_or3_b32 v24, v10, v25, v24
.LBB374_1059:                           ;   in Loop: Header=BB374_806 Depth=1
	s_or_b32 exec_lo, exec_lo, s18
.LBB374_1060:                           ;   in Loop: Header=BB374_806 Depth=1
	s_or_b32 exec_lo, exec_lo, s17
.LBB374_1061:                           ;   in Loop: Header=BB374_806 Depth=1
	s_or_b32 exec_lo, exec_lo, s16
	s_mov_b32 s16, exec_lo
	v_cmpx_lt_u64_e64 s[12:13], v[20:21]
	s_cbranch_execz .LBB374_1069
; %bb.1062:                             ;   in Loop: Header=BB374_806 Depth=1
	v_cmp_ne_u32_sdwa s4, v21, v70 src0_sel:BYTE_3 src1_sel:DWORD
	v_bfrev_b32_e32 v23, 1
	s_and_saveexec_b32 s17, s4
	s_cbranch_execz .LBB374_1068
; %bb.1063:                             ;   in Loop: Header=BB374_806 Depth=1
	v_bfe_u32 v25, v21, 24, 7
	v_mov_b32_e32 v23, 0x7f800001
	s_mov_b32 s18, exec_lo
	v_cmpx_ne_u32_e32 0x7f, v25
	s_cbranch_execz .LBB374_1067
; %bb.1064:                             ;   in Loop: Header=BB374_806 Depth=1
	v_mov_b32_e32 v10, 7
	v_lshrrev_b32_e32 v20, 3, v25
	s_mov_b32 s20, exec_lo
	v_and_b32_sdwa v10, v21, v10 dst_sel:DWORD dst_unused:UNUSED_PAD src0_sel:BYTE_3 src1_sel:DWORD
	v_cmpx_gt_u32_e32 8, v25
; %bb.1065:                             ;   in Loop: Header=BB374_806 Depth=1
	v_ffbh_u32_e32 v20, v10
	v_min_u32_e32 v20, 32, v20
	v_subrev_nc_u32_e32 v23, 28, v20
	v_sub_nc_u32_e32 v20, 29, v20
	v_lshlrev_b64 v[25:26], v23, v[10:11]
	v_and_b32_e32 v10, 7, v25
; %bb.1066:                             ;   in Loop: Header=BB374_806 Depth=1
	s_or_b32 exec_lo, exec_lo, s20
	v_mov_b32_e32 v23, 24
	v_lshlrev_b32_e32 v10, 20, v10
	v_lshl_add_u32 v20, v20, 23, 0x3c000000
	v_lshlrev_b32_sdwa v21, v23, v21 dst_sel:DWORD dst_unused:UNUSED_PAD src0_sel:DWORD src1_sel:BYTE_3
	v_and_b32_e32 v21, 0x80000000, v21
	v_or3_b32 v23, v10, v21, v20
.LBB374_1067:                           ;   in Loop: Header=BB374_806 Depth=1
	s_or_b32 exec_lo, exec_lo, s18
.LBB374_1068:                           ;   in Loop: Header=BB374_806 Depth=1
	s_or_b32 exec_lo, exec_lo, s17
.LBB374_1069:                           ;   in Loop: Header=BB374_806 Depth=1
	s_or_b32 exec_lo, exec_lo, s16
	v_mul_f32_e32 v10, v44, v22
	v_mul_f32_e32 v16, v44, v16
	;; [unrolled: 1-line block ×5, first 2 shown]
	v_bfe_u32 v20, v10, 16, 1
	v_or_b32_e32 v21, 0x400000, v10
	v_bfe_u32 v22, v16, 16, 1
	v_cmp_u_f32_e64 s4, v10, v10
	v_or_b32_e32 v25, 0x400000, v16
	v_add3_u32 v20, v20, v10, 0x7fff
	v_bfe_u32 v26, v13, 16, 1
	v_add3_u32 v22, v22, v16, 0x7fff
	v_or_b32_e32 v27, 0x400000, v13
	v_bfe_u32 v28, v12, 16, 1
	v_cndmask_b32_e64 v10, v20, v21, s4
	v_cmp_u_f32_e64 s4, v16, v16
	v_add3_u32 v26, v26, v13, 0x7fff
	v_or_b32_e32 v20, 0x400000, v12
	v_mul_f32_e32 v4, v44, v4
	v_lshrrev_b32_e32 v72, 16, v10
	v_cndmask_b32_e64 v16, v22, v25, s4
	v_cmp_u_f32_e64 s4, v13, v13
	v_add3_u32 v10, v28, v12, 0x7fff
	v_bfe_u32 v21, v4, 16, 1
	v_lshrrev_b32_e32 v63, 16, v16
	v_cndmask_b32_e64 v13, v26, v27, s4
	v_cmp_u_f32_e64 s4, v12, v12
	v_mul_f32_e32 v12, v44, v24
	v_or_b32_e32 v16, 0x400000, v5
	v_lshrrev_b32_e32 v75, 16, v13
	v_bfe_u32 v13, v5, 16, 1
	v_cndmask_b32_e64 v10, v10, v20, s4
	v_cmp_u_f32_e64 s4, v5, v5
	v_mul_f32_e32 v20, v44, v23
	v_bfe_u32 v22, v12, 16, 1
	v_add3_u32 v13, v13, v5, 0x7fff
	v_or_b32_e32 v23, 0x400000, v12
	v_lshrrev_b32_e32 v76, 16, v10
	v_or_b32_e32 v24, 0x400000, v20
	v_add3_u32 v22, v22, v12, 0x7fff
	v_cndmask_b32_e64 v5, v13, v16, s4
	v_add3_u32 v16, v21, v4, 0x7fff
	v_or_b32_e32 v21, 0x400000, v4
	v_cmp_u_f32_e64 s4, v4, v4
	v_bfe_u32 v13, v20, 16, 1
	v_lshrrev_b32_e32 v78, 16, v5
	v_cndmask_b32_e64 v4, v16, v21, s4
	v_cmp_u_f32_e64 s4, v12, v12
	v_add3_u32 v13, v13, v20, 0x7fff
	v_lshrrev_b32_e32 v77, 16, v4
	v_cndmask_b32_e64 v12, v22, v23, s4
	v_cmp_u_f32_e64 s4, v20, v20
	v_lshrrev_b32_e32 v73, 16, v12
	v_cndmask_b32_e64 v13, v13, v24, s4
	v_lshrrev_b32_e32 v74, 16, v13
	s_and_saveexec_b32 s16, vcc_lo
	s_cbranch_execz .LBB374_1071
; %bb.1070:                             ;   in Loop: Header=BB374_806 Depth=1
	v_cmp_lt_i32_e64 s4, v47, v38
	v_cndmask_b32_e64 v77, 0, v77, s4
	v_cmp_lt_i32_e64 s4, v62, v38
	v_cndmask_b32_e64 v78, 0, v78, s4
	;; [unrolled: 2-line block ×8, first 2 shown]
.LBB374_1071:                           ;   in Loop: Header=BB374_806 Depth=1
	s_or_b32 exec_lo, exec_lo, s16
	flat_load_dwordx2 v[20:21], v[18:19] offset:1024
	v_mov_b32_e32 v4, 0
	v_mov_b32_e32 v12, 0
	s_waitcnt vmcnt(0) lgkmcnt(0)
	v_cmp_ne_u16_sdwa s4, v20, v11 src0_sel:BYTE_0 src1_sel:DWORD
	s_and_saveexec_b32 s16, s4
	s_cbranch_execz .LBB374_1079
; %bb.1072:                             ;   in Loop: Header=BB374_806 Depth=1
	v_cmp_ne_u16_sdwa s4, v20, v70 src0_sel:BYTE_0 src1_sel:DWORD
	v_bfrev_b32_e32 v12, 1
	s_and_saveexec_b32 s17, s4
	s_cbranch_execz .LBB374_1078
; %bb.1073:                             ;   in Loop: Header=BB374_806 Depth=1
	v_and_b32_e32 v10, 0x7f, v20
	v_mov_b32_e32 v12, 0x7f800001
	s_mov_b32 s18, exec_lo
	v_cmpx_ne_u32_e32 0x7f, v10
	s_cbranch_execz .LBB374_1077
; %bb.1074:                             ;   in Loop: Header=BB374_806 Depth=1
	v_mov_b32_e32 v24, v21
	v_lshrrev_b32_e32 v5, 3, v10
	v_mov_b32_e32 v23, v20
	s_mov_b32 s20, exec_lo
	v_cmpx_gt_u32_e32 8, v10
; %bb.1075:                             ;   in Loop: Header=BB374_806 Depth=1
	v_and_b32_e32 v5, 7, v20
	v_ffbh_u32_e32 v5, v5
	v_min_u32_e32 v5, 32, v5
	v_subrev_nc_u32_e32 v10, 28, v5
	v_sub_nc_u32_e32 v5, 29, v5
	v_lshlrev_b64 v[23:24], v10, v[20:21]
; %bb.1076:                             ;   in Loop: Header=BB374_806 Depth=1
	s_or_b32 exec_lo, exec_lo, s20
	v_lshlrev_b32_e32 v10, 20, v23
	v_lshlrev_b32_e32 v12, 24, v20
	v_lshl_add_u32 v5, v5, 23, 0x3c000000
	v_and_b32_e32 v10, 0x700000, v10
	v_and_b32_e32 v12, 0x80000000, v12
	v_or3_b32 v12, v10, v12, v5
.LBB374_1077:                           ;   in Loop: Header=BB374_806 Depth=1
	s_or_b32 exec_lo, exec_lo, s18
.LBB374_1078:                           ;   in Loop: Header=BB374_806 Depth=1
	s_or_b32 exec_lo, exec_lo, s17
.LBB374_1079:                           ;   in Loop: Header=BB374_806 Depth=1
	s_or_b32 exec_lo, exec_lo, s16
	v_cmp_ne_u16_sdwa s4, v20, v11 src0_sel:BYTE_1 src1_sel:DWORD
	s_and_saveexec_b32 s16, s4
	s_cbranch_execz .LBB374_1087
; %bb.1080:                             ;   in Loop: Header=BB374_806 Depth=1
	v_cmp_ne_u16_sdwa s4, v20, v70 src0_sel:BYTE_1 src1_sel:DWORD
	v_bfrev_b32_e32 v4, 1
	s_and_saveexec_b32 s17, s4
	s_cbranch_execz .LBB374_1086
; %bb.1081:                             ;   in Loop: Header=BB374_806 Depth=1
	v_mov_b32_e32 v4, 0xffff
	s_mov_b32 s18, exec_lo
	v_and_b32_sdwa v10, v4, v20 dst_sel:DWORD dst_unused:UNUSED_PAD src0_sel:DWORD src1_sel:BYTE_1
	v_mov_b32_e32 v4, 0x7f800001
	v_and_b32_e32 v5, 0x7f, v10
	v_cmpx_ne_u32_e32 0x7f, v5
	s_cbranch_execz .LBB374_1085
; %bb.1082:                             ;   in Loop: Header=BB374_806 Depth=1
	v_and_b32_e32 v10, 7, v10
	v_lshrrev_b32_e32 v4, 3, v5
	s_mov_b32 s20, exec_lo
	v_cmpx_gt_u32_e32 8, v5
; %bb.1083:                             ;   in Loop: Header=BB374_806 Depth=1
	v_ffbh_u32_e32 v4, v10
	v_min_u32_e32 v4, 32, v4
	v_subrev_nc_u32_e32 v5, 28, v4
	v_sub_nc_u32_e32 v4, 29, v4
	v_lshlrev_b64 v[22:23], v5, v[10:11]
	v_and_b32_e32 v10, 7, v22
; %bb.1084:                             ;   in Loop: Header=BB374_806 Depth=1
	s_or_b32 exec_lo, exec_lo, s20
	v_lshlrev_b32_e32 v5, 16, v20
	v_lshlrev_b32_e32 v10, 20, v10
	v_lshl_add_u32 v4, v4, 23, 0x3c000000
	v_and_b32_e32 v5, 0x80000000, v5
	v_or3_b32 v4, v10, v5, v4
.LBB374_1085:                           ;   in Loop: Header=BB374_806 Depth=1
	s_or_b32 exec_lo, exec_lo, s18
.LBB374_1086:                           ;   in Loop: Header=BB374_806 Depth=1
	s_or_b32 exec_lo, exec_lo, s17
.LBB374_1087:                           ;   in Loop: Header=BB374_806 Depth=1
	s_or_b32 exec_lo, exec_lo, s16
	v_and_b32_sdwa v10, v20, v80 dst_sel:DWORD dst_unused:UNUSED_PAD src0_sel:WORD_1 src1_sel:DWORD
	v_mov_b32_e32 v13, 0
	v_mov_b32_e32 v5, 0
	s_mov_b32 s16, exec_lo
	v_cmpx_ne_u16_e32 0, v10
	s_cbranch_execz .LBB374_1095
; %bb.1088:                             ;   in Loop: Header=BB374_806 Depth=1
	v_bfrev_b32_e32 v5, 1
	s_mov_b32 s17, exec_lo
	v_cmpx_ne_u16_e32 0x80, v10
	s_cbranch_execz .LBB374_1094
; %bb.1089:                             ;   in Loop: Header=BB374_806 Depth=1
	v_bfe_u32 v16, v20, 16, 7
	v_mov_b32_e32 v5, 0x7f800001
	s_mov_b32 s18, exec_lo
	v_cmpx_ne_u32_e32 0x7f, v16
	s_cbranch_execz .LBB374_1093
; %bb.1090:                             ;   in Loop: Header=BB374_806 Depth=1
	v_mov_b32_e32 v5, 7
	s_mov_b32 s20, exec_lo
	v_and_b32_sdwa v10, v20, v5 dst_sel:DWORD dst_unused:UNUSED_PAD src0_sel:WORD_1 src1_sel:DWORD
	v_lshrrev_b32_e32 v5, 3, v16
	v_cmpx_gt_u32_e32 8, v16
; %bb.1091:                             ;   in Loop: Header=BB374_806 Depth=1
	v_ffbh_u32_e32 v5, v10
	v_min_u32_e32 v5, 32, v5
	v_subrev_nc_u32_e32 v16, 28, v5
	v_sub_nc_u32_e32 v5, 29, v5
	v_lshlrev_b64 v[22:23], v16, v[10:11]
	v_and_b32_e32 v10, 7, v22
; %bb.1092:                             ;   in Loop: Header=BB374_806 Depth=1
	s_or_b32 exec_lo, exec_lo, s20
	v_mov_b32_e32 v16, 24
	v_lshlrev_b32_e32 v10, 20, v10
	v_lshl_add_u32 v5, v5, 23, 0x3c000000
	v_lshlrev_b32_sdwa v16, v16, v20 dst_sel:DWORD dst_unused:UNUSED_PAD src0_sel:DWORD src1_sel:WORD_1
	v_and_b32_e32 v16, 0x80000000, v16
	v_or3_b32 v5, v10, v16, v5
.LBB374_1093:                           ;   in Loop: Header=BB374_806 Depth=1
	s_or_b32 exec_lo, exec_lo, s18
.LBB374_1094:                           ;   in Loop: Header=BB374_806 Depth=1
	s_or_b32 exec_lo, exec_lo, s17
.LBB374_1095:                           ;   in Loop: Header=BB374_806 Depth=1
	s_or_b32 exec_lo, exec_lo, s16
	s_mov_b32 s16, exec_lo
	v_cmpx_lt_u32_e32 0xffffff, v20
	s_cbranch_execz .LBB374_1103
; %bb.1096:                             ;   in Loop: Header=BB374_806 Depth=1
	v_cmp_ne_u32_sdwa s4, v20, v70 src0_sel:BYTE_3 src1_sel:DWORD
	v_bfrev_b32_e32 v13, 1
	s_and_saveexec_b32 s17, s4
	s_cbranch_execz .LBB374_1102
; %bb.1097:                             ;   in Loop: Header=BB374_806 Depth=1
	v_bfe_u32 v16, v20, 24, 7
	v_mov_b32_e32 v13, 0x7f800001
	s_mov_b32 s18, exec_lo
	v_cmpx_ne_u32_e32 0x7f, v16
	s_cbranch_execz .LBB374_1101
; %bb.1098:                             ;   in Loop: Header=BB374_806 Depth=1
	v_mov_b32_e32 v10, 7
	v_lshrrev_b32_e32 v13, 3, v16
	s_mov_b32 s20, exec_lo
	v_and_b32_sdwa v10, v20, v10 dst_sel:DWORD dst_unused:UNUSED_PAD src0_sel:BYTE_3 src1_sel:DWORD
	v_cmpx_gt_u32_e32 8, v16
; %bb.1099:                             ;   in Loop: Header=BB374_806 Depth=1
	v_ffbh_u32_e32 v13, v10
	v_min_u32_e32 v13, 32, v13
	v_subrev_nc_u32_e32 v16, 28, v13
	v_sub_nc_u32_e32 v13, 29, v13
	v_lshlrev_b64 v[22:23], v16, v[10:11]
	v_and_b32_e32 v10, 7, v22
; %bb.1100:                             ;   in Loop: Header=BB374_806 Depth=1
	s_or_b32 exec_lo, exec_lo, s20
	v_mov_b32_e32 v16, 24
	v_lshlrev_b32_e32 v10, 20, v10
	v_lshl_add_u32 v13, v13, 23, 0x3c000000
	v_lshlrev_b32_sdwa v16, v16, v20 dst_sel:DWORD dst_unused:UNUSED_PAD src0_sel:DWORD src1_sel:BYTE_3
	v_and_b32_e32 v16, 0x80000000, v16
	v_or3_b32 v13, v10, v16, v13
.LBB374_1101:                           ;   in Loop: Header=BB374_806 Depth=1
	s_or_b32 exec_lo, exec_lo, s18
.LBB374_1102:                           ;   in Loop: Header=BB374_806 Depth=1
	s_or_b32 exec_lo, exec_lo, s17
.LBB374_1103:                           ;   in Loop: Header=BB374_806 Depth=1
	s_or_b32 exec_lo, exec_lo, s16
	v_mov_b32_e32 v10, v21
	v_cmp_ne_u16_sdwa s4, v21, v11 src0_sel:BYTE_0 src1_sel:DWORD
	v_mov_b32_e32 v22, 0
	v_mov_b32_e32 v16, 0
	s_and_saveexec_b32 s16, s4
	s_cbranch_execz .LBB374_1111
; %bb.1104:                             ;   in Loop: Header=BB374_806 Depth=1
	v_cmp_ne_u16_sdwa s4, v21, v70 src0_sel:BYTE_0 src1_sel:DWORD
	v_bfrev_b32_e32 v16, 1
	s_and_saveexec_b32 s17, s4
	s_cbranch_execz .LBB374_1110
; %bb.1105:                             ;   in Loop: Header=BB374_806 Depth=1
	v_and_b32_e32 v23, 0x7f, v21
	v_mov_b32_e32 v16, 0x7f800001
	s_mov_b32 s18, exec_lo
	v_cmpx_ne_u32_e32 0x7f, v23
	s_cbranch_execz .LBB374_1109
; %bb.1106:                             ;   in Loop: Header=BB374_806 Depth=1
	v_lshrrev_b32_e32 v16, 3, v23
	v_cmp_gt_u32_e64 s4, 8, v23
	v_mov_b32_e32 v24, v11
	v_mov_b32_e32 v23, v10
	s_and_saveexec_b32 s20, s4
; %bb.1107:                             ;   in Loop: Header=BB374_806 Depth=1
	v_and_b32_e32 v16, 7, v21
	v_ffbh_u32_e32 v16, v16
	v_min_u32_e32 v16, 32, v16
	v_subrev_nc_u32_e32 v23, 28, v16
	v_sub_nc_u32_e32 v16, 29, v16
	v_lshlrev_b64 v[23:24], v23, v[10:11]
; %bb.1108:                             ;   in Loop: Header=BB374_806 Depth=1
	s_or_b32 exec_lo, exec_lo, s20
	v_lshlrev_b32_e32 v23, 20, v23
	v_lshlrev_b32_e32 v24, 24, v10
	v_lshl_add_u32 v16, v16, 23, 0x3c000000
	v_and_b32_e32 v23, 0x700000, v23
	v_and_b32_e32 v24, 0x80000000, v24
	v_or3_b32 v16, v23, v24, v16
.LBB374_1109:                           ;   in Loop: Header=BB374_806 Depth=1
	s_or_b32 exec_lo, exec_lo, s18
.LBB374_1110:                           ;   in Loop: Header=BB374_806 Depth=1
	s_or_b32 exec_lo, exec_lo, s17
.LBB374_1111:                           ;   in Loop: Header=BB374_806 Depth=1
	s_or_b32 exec_lo, exec_lo, s16
	v_cmp_ne_u16_sdwa s4, v10, v11 src0_sel:BYTE_1 src1_sel:DWORD
	s_and_saveexec_b32 s16, s4
	s_cbranch_execz .LBB374_1119
; %bb.1112:                             ;   in Loop: Header=BB374_806 Depth=1
	v_cmp_ne_u16_sdwa s4, v10, v70 src0_sel:BYTE_1 src1_sel:DWORD
	v_bfrev_b32_e32 v22, 1
	s_and_saveexec_b32 s17, s4
	s_cbranch_execz .LBB374_1118
; %bb.1113:                             ;   in Loop: Header=BB374_806 Depth=1
	v_mov_b32_e32 v22, 0xffff
	s_mov_b32 s18, exec_lo
	v_and_b32_sdwa v23, v22, v10 dst_sel:DWORD dst_unused:UNUSED_PAD src0_sel:DWORD src1_sel:BYTE_1
	v_mov_b32_e32 v22, 0x7f800001
	v_and_b32_e32 v25, 0x7f, v23
	v_cmpx_ne_u32_e32 0x7f, v25
	s_cbranch_execz .LBB374_1117
; %bb.1114:                             ;   in Loop: Header=BB374_806 Depth=1
	v_and_b32_e32 v23, 7, v23
	v_mov_b32_e32 v24, v11
	v_lshrrev_b32_e32 v22, 3, v25
	s_mov_b32 s20, exec_lo
	v_cmpx_gt_u32_e32 8, v25
; %bb.1115:                             ;   in Loop: Header=BB374_806 Depth=1
	v_ffbh_u32_e32 v22, v23
	v_min_u32_e32 v22, 32, v22
	v_subrev_nc_u32_e32 v25, 28, v22
	v_sub_nc_u32_e32 v22, 29, v22
	v_lshlrev_b64 v[23:24], v25, v[23:24]
	v_and_b32_e32 v23, 7, v23
; %bb.1116:                             ;   in Loop: Header=BB374_806 Depth=1
	s_or_b32 exec_lo, exec_lo, s20
	v_lshlrev_b32_e32 v10, 16, v10
	v_lshlrev_b32_e32 v23, 20, v23
	v_lshl_add_u32 v22, v22, 23, 0x3c000000
	v_and_b32_e32 v10, 0x80000000, v10
	v_or3_b32 v22, v23, v10, v22
.LBB374_1117:                           ;   in Loop: Header=BB374_806 Depth=1
	s_or_b32 exec_lo, exec_lo, s18
.LBB374_1118:                           ;   in Loop: Header=BB374_806 Depth=1
	s_or_b32 exec_lo, exec_lo, s17
.LBB374_1119:                           ;   in Loop: Header=BB374_806 Depth=1
	s_or_b32 exec_lo, exec_lo, s16
	v_and_b32_sdwa v10, v21, v80 dst_sel:DWORD dst_unused:UNUSED_PAD src0_sel:WORD_1 src1_sel:DWORD
	v_mov_b32_e32 v25, 0
	v_mov_b32_e32 v26, 0
	s_mov_b32 s16, exec_lo
	v_cmpx_ne_u16_e32 0, v10
	s_cbranch_execz .LBB374_1127
; %bb.1120:                             ;   in Loop: Header=BB374_806 Depth=1
	v_bfrev_b32_e32 v26, 1
	s_mov_b32 s17, exec_lo
	v_cmpx_ne_u16_e32 0x80, v10
	s_cbranch_execz .LBB374_1126
; %bb.1121:                             ;   in Loop: Header=BB374_806 Depth=1
	v_bfe_u32 v23, v21, 16, 7
	v_mov_b32_e32 v26, 0x7f800001
	s_mov_b32 s18, exec_lo
	v_cmpx_ne_u32_e32 0x7f, v23
	s_cbranch_execz .LBB374_1125
; %bb.1122:                             ;   in Loop: Header=BB374_806 Depth=1
	v_mov_b32_e32 v10, 7
	v_lshrrev_b32_e32 v26, 3, v23
	v_cmp_gt_u32_e64 s4, 8, v23
	v_and_b32_sdwa v10, v21, v10 dst_sel:DWORD dst_unused:UNUSED_PAD src0_sel:WORD_1 src1_sel:DWORD
	v_mov_b32_e32 v24, v11
	v_mov_b32_e32 v23, v10
	s_and_saveexec_b32 s20, s4
; %bb.1123:                             ;   in Loop: Header=BB374_806 Depth=1
	v_ffbh_u32_e32 v23, v10
	v_min_u32_e32 v26, 32, v23
	v_subrev_nc_u32_e32 v23, 28, v26
	v_sub_nc_u32_e32 v26, 29, v26
	v_lshlrev_b64 v[23:24], v23, v[10:11]
	v_and_b32_e32 v23, 7, v23
; %bb.1124:                             ;   in Loop: Header=BB374_806 Depth=1
	s_or_b32 exec_lo, exec_lo, s20
	v_mov_b32_e32 v10, 24
	v_lshlrev_b32_e32 v23, 20, v23
	v_lshl_add_u32 v24, v26, 23, 0x3c000000
	v_lshlrev_b32_sdwa v10, v10, v21 dst_sel:DWORD dst_unused:UNUSED_PAD src0_sel:DWORD src1_sel:WORD_1
	v_and_b32_e32 v10, 0x80000000, v10
	v_or3_b32 v26, v23, v10, v24
.LBB374_1125:                           ;   in Loop: Header=BB374_806 Depth=1
	s_or_b32 exec_lo, exec_lo, s18
.LBB374_1126:                           ;   in Loop: Header=BB374_806 Depth=1
	s_or_b32 exec_lo, exec_lo, s17
.LBB374_1127:                           ;   in Loop: Header=BB374_806 Depth=1
	s_or_b32 exec_lo, exec_lo, s16
	s_mov_b32 s16, exec_lo
	v_cmpx_lt_u64_e64 s[12:13], v[20:21]
	s_cbranch_execz .LBB374_1135
; %bb.1128:                             ;   in Loop: Header=BB374_806 Depth=1
	v_cmp_ne_u32_sdwa s4, v21, v70 src0_sel:BYTE_3 src1_sel:DWORD
	v_bfrev_b32_e32 v25, 1
	s_and_saveexec_b32 s17, s4
	s_cbranch_execz .LBB374_1134
; %bb.1129:                             ;   in Loop: Header=BB374_806 Depth=1
	v_bfe_u32 v23, v21, 24, 7
	v_mov_b32_e32 v25, 0x7f800001
	s_mov_b32 s18, exec_lo
	v_cmpx_ne_u32_e32 0x7f, v23
	s_cbranch_execz .LBB374_1133
; %bb.1130:                             ;   in Loop: Header=BB374_806 Depth=1
	v_mov_b32_e32 v10, 7
	v_lshrrev_b32_e32 v20, 3, v23
	v_cmp_gt_u32_e64 s4, 8, v23
	v_and_b32_sdwa v10, v21, v10 dst_sel:DWORD dst_unused:UNUSED_PAD src0_sel:BYTE_3 src1_sel:DWORD
	v_mov_b32_e32 v24, v11
	v_mov_b32_e32 v23, v10
	s_and_saveexec_b32 s20, s4
; %bb.1131:                             ;   in Loop: Header=BB374_806 Depth=1
	v_ffbh_u32_e32 v20, v10
	v_min_u32_e32 v20, 32, v20
	v_subrev_nc_u32_e32 v23, 28, v20
	v_sub_nc_u32_e32 v20, 29, v20
	v_lshlrev_b64 v[23:24], v23, v[10:11]
	v_and_b32_e32 v23, 7, v23
; %bb.1132:                             ;   in Loop: Header=BB374_806 Depth=1
	s_or_b32 exec_lo, exec_lo, s20
	v_mov_b32_e32 v10, 24
	v_lshl_add_u32 v20, v20, 23, 0x3c000000
	v_lshlrev_b32_sdwa v10, v10, v21 dst_sel:DWORD dst_unused:UNUSED_PAD src0_sel:DWORD src1_sel:BYTE_3
	v_lshlrev_b32_e32 v21, 20, v23
	v_and_b32_e32 v10, 0x80000000, v10
	v_or3_b32 v25, v21, v10, v20
.LBB374_1133:                           ;   in Loop: Header=BB374_806 Depth=1
	s_or_b32 exec_lo, exec_lo, s18
.LBB374_1134:                           ;   in Loop: Header=BB374_806 Depth=1
	s_or_b32 exec_lo, exec_lo, s17
.LBB374_1135:                           ;   in Loop: Header=BB374_806 Depth=1
	s_or_b32 exec_lo, exec_lo, s16
	v_mul_f32_e32 v10, v44, v22
	v_mul_f32_e32 v16, v44, v16
	;; [unrolled: 1-line block ×5, first 2 shown]
	v_bfe_u32 v5, v10, 16, 1
	v_or_b32_e32 v21, 0x400000, v10
	v_bfe_u32 v22, v16, 16, 1
	v_cmp_u_f32_e64 s4, v10, v10
	v_or_b32_e32 v23, 0x400000, v16
	v_add3_u32 v5, v5, v10, 0x7fff
	v_bfe_u32 v24, v13, 16, 1
	v_add3_u32 v22, v22, v16, 0x7fff
	v_or_b32_e32 v27, 0x400000, v13
	v_bfe_u32 v28, v20, 16, 1
	v_cndmask_b32_e64 v5, v5, v21, s4
	v_cmp_u_f32_e64 s4, v16, v16
	v_add3_u32 v24, v24, v13, 0x7fff
	v_mul_f32_e32 v16, v44, v4
	v_add3_u32 v21, v28, v20, 0x7fff
	v_lshrrev_b32_e32 v5, 16, v5
	v_cndmask_b32_e64 v10, v22, v23, s4
	v_cmp_u_f32_e64 s4, v13, v13
	v_or_b32_e32 v22, 0x400000, v20
	v_bfe_u32 v23, v12, 16, 1
	v_lshrrev_b32_e32 v4, 16, v10
	v_cndmask_b32_e64 v13, v24, v27, s4
	v_bfe_u32 v10, v16, 16, 1
	v_cmp_u_f32_e64 s4, v20, v20
	v_mul_f32_e32 v20, v44, v26
	v_lshrrev_b32_e32 v27, 16, v13
	v_add3_u32 v10, v10, v16, 0x7fff
	v_cndmask_b32_e64 v13, v21, v22, s4
	v_or_b32_e32 v21, 0x400000, v16
	v_cmp_u_f32_e64 s4, v16, v16
	v_mul_f32_e32 v22, v44, v25
	v_bfe_u32 v24, v20, 16, 1
	v_or_b32_e32 v25, 0x400000, v20
	v_lshrrev_b32_e32 v37, 16, v13
	v_cndmask_b32_e64 v10, v10, v21, s4
	v_add3_u32 v21, v23, v12, 0x7fff
	v_or_b32_e32 v23, 0x400000, v12
	v_cmp_u_f32_e64 s4, v12, v12
	v_bfe_u32 v16, v22, 16, 1
	v_add3_u32 v24, v24, v20, 0x7fff
	v_or_b32_e32 v26, 0x400000, v22
	v_lshrrev_b32_e32 v48, 16, v10
	v_cndmask_b32_e64 v12, v21, v23, s4
	v_cmp_u_f32_e64 s4, v20, v20
	v_add3_u32 v16, v16, v22, 0x7fff
	v_lshrrev_b32_e32 v39, 16, v12
	v_cndmask_b32_e64 v20, v24, v25, s4
	v_cmp_u_f32_e64 s4, v22, v22
	v_lshrrev_b32_e32 v22, 16, v20
	v_cndmask_b32_e64 v16, v16, v26, s4
	v_lshrrev_b32_e32 v26, 16, v16
	s_and_saveexec_b32 s16, vcc_lo
	s_cbranch_execz .LBB374_1137
; %bb.1136:                             ;   in Loop: Header=BB374_806 Depth=1
	v_cmp_lt_i32_e64 s4, v47, v38
	v_cndmask_b32_e64 v39, 0, v39, s4
	v_cmp_lt_i32_e64 s4, v62, v38
	v_cndmask_b32_e64 v48, 0, v48, s4
	;; [unrolled: 2-line block ×8, first 2 shown]
.LBB374_1137:                           ;   in Loop: Header=BB374_806 Depth=1
	s_or_b32 exec_lo, exec_lo, s16
	flat_load_dwordx2 v[20:21], v[18:19] offset:1280
	v_mov_b32_e32 v13, 0
	v_mov_b32_e32 v12, 0
	s_waitcnt vmcnt(0) lgkmcnt(0)
	v_cmp_ne_u16_sdwa s4, v20, v11 src0_sel:BYTE_0 src1_sel:DWORD
	s_and_saveexec_b32 s16, s4
	s_cbranch_execz .LBB374_1145
; %bb.1138:                             ;   in Loop: Header=BB374_806 Depth=1
	v_cmp_ne_u16_sdwa s4, v20, v70 src0_sel:BYTE_0 src1_sel:DWORD
	v_bfrev_b32_e32 v12, 1
	s_and_saveexec_b32 s17, s4
	s_cbranch_execz .LBB374_1144
; %bb.1139:                             ;   in Loop: Header=BB374_806 Depth=1
	v_and_b32_e32 v16, 0x7f, v20
	v_mov_b32_e32 v12, 0x7f800001
	s_mov_b32 s18, exec_lo
	v_cmpx_ne_u32_e32 0x7f, v16
	s_cbranch_execz .LBB374_1143
; %bb.1140:                             ;   in Loop: Header=BB374_806 Depth=1
	v_mov_b32_e32 v24, v21
	v_lshrrev_b32_e32 v10, 3, v16
	v_mov_b32_e32 v23, v20
	s_mov_b32 s20, exec_lo
	v_cmpx_gt_u32_e32 8, v16
; %bb.1141:                             ;   in Loop: Header=BB374_806 Depth=1
	v_and_b32_e32 v10, 7, v20
	v_ffbh_u32_e32 v10, v10
	v_min_u32_e32 v10, 32, v10
	v_subrev_nc_u32_e32 v12, 28, v10
	v_sub_nc_u32_e32 v10, 29, v10
	v_lshlrev_b64 v[23:24], v12, v[20:21]
; %bb.1142:                             ;   in Loop: Header=BB374_806 Depth=1
	s_or_b32 exec_lo, exec_lo, s20
	v_lshlrev_b32_e32 v12, 20, v23
	v_lshlrev_b32_e32 v16, 24, v20
	v_lshl_add_u32 v10, v10, 23, 0x3c000000
	v_and_b32_e32 v12, 0x700000, v12
	v_and_b32_e32 v16, 0x80000000, v16
	v_or3_b32 v12, v12, v16, v10
.LBB374_1143:                           ;   in Loop: Header=BB374_806 Depth=1
	s_or_b32 exec_lo, exec_lo, s18
.LBB374_1144:                           ;   in Loop: Header=BB374_806 Depth=1
	s_or_b32 exec_lo, exec_lo, s17
.LBB374_1145:                           ;   in Loop: Header=BB374_806 Depth=1
	s_or_b32 exec_lo, exec_lo, s16
	v_cmp_ne_u16_sdwa s4, v20, v11 src0_sel:BYTE_1 src1_sel:DWORD
	s_and_saveexec_b32 s16, s4
	s_cbranch_execz .LBB374_1153
; %bb.1146:                             ;   in Loop: Header=BB374_806 Depth=1
	v_cmp_ne_u16_sdwa s4, v20, v70 src0_sel:BYTE_1 src1_sel:DWORD
	v_bfrev_b32_e32 v13, 1
	s_and_saveexec_b32 s17, s4
	s_cbranch_execz .LBB374_1152
; %bb.1147:                             ;   in Loop: Header=BB374_806 Depth=1
	v_mov_b32_e32 v10, 0xffff
	v_mov_b32_e32 v13, 0x7f800001
	s_mov_b32 s18, exec_lo
	v_and_b32_sdwa v10, v10, v20 dst_sel:DWORD dst_unused:UNUSED_PAD src0_sel:DWORD src1_sel:BYTE_1
	v_and_b32_e32 v16, 0x7f, v10
	v_cmpx_ne_u32_e32 0x7f, v16
	s_cbranch_execz .LBB374_1151
; %bb.1148:                             ;   in Loop: Header=BB374_806 Depth=1
	v_and_b32_e32 v10, 7, v10
	v_mov_b32_e32 v24, v11
	v_lshrrev_b32_e32 v13, 3, v16
	s_mov_b32 s20, exec_lo
	v_mov_b32_e32 v23, v10
	v_cmpx_gt_u32_e32 8, v16
; %bb.1149:                             ;   in Loop: Header=BB374_806 Depth=1
	v_ffbh_u32_e32 v13, v10
	v_min_u32_e32 v13, 32, v13
	v_subrev_nc_u32_e32 v16, 28, v13
	v_sub_nc_u32_e32 v13, 29, v13
	v_lshlrev_b64 v[23:24], v16, v[10:11]
	v_and_b32_e32 v23, 7, v23
; %bb.1150:                             ;   in Loop: Header=BB374_806 Depth=1
	s_or_b32 exec_lo, exec_lo, s20
	v_lshlrev_b32_e32 v10, 16, v20
	v_lshlrev_b32_e32 v16, 20, v23
	v_lshl_add_u32 v13, v13, 23, 0x3c000000
	v_and_b32_e32 v10, 0x80000000, v10
	v_or3_b32 v13, v16, v10, v13
.LBB374_1151:                           ;   in Loop: Header=BB374_806 Depth=1
	s_or_b32 exec_lo, exec_lo, s18
.LBB374_1152:                           ;   in Loop: Header=BB374_806 Depth=1
	s_or_b32 exec_lo, exec_lo, s17
.LBB374_1153:                           ;   in Loop: Header=BB374_806 Depth=1
	s_or_b32 exec_lo, exec_lo, s16
	v_and_b32_sdwa v10, v20, v80 dst_sel:DWORD dst_unused:UNUSED_PAD src0_sel:WORD_1 src1_sel:DWORD
	v_mov_b32_e32 v25, 0
	v_mov_b32_e32 v16, 0
	s_mov_b32 s16, exec_lo
	v_cmpx_ne_u16_e32 0, v10
	s_cbranch_execz .LBB374_1161
; %bb.1154:                             ;   in Loop: Header=BB374_806 Depth=1
	v_bfrev_b32_e32 v16, 1
	s_mov_b32 s17, exec_lo
	v_cmpx_ne_u16_e32 0x80, v10
	s_cbranch_execz .LBB374_1160
; %bb.1155:                             ;   in Loop: Header=BB374_806 Depth=1
	v_bfe_u32 v23, v20, 16, 7
	v_mov_b32_e32 v16, 0x7f800001
	s_mov_b32 s18, exec_lo
	v_cmpx_ne_u32_e32 0x7f, v23
	s_cbranch_execz .LBB374_1159
; %bb.1156:                             ;   in Loop: Header=BB374_806 Depth=1
	v_mov_b32_e32 v10, 7
	v_lshrrev_b32_e32 v16, 3, v23
	v_cmp_gt_u32_e64 s4, 8, v23
	v_and_b32_sdwa v10, v20, v10 dst_sel:DWORD dst_unused:UNUSED_PAD src0_sel:WORD_1 src1_sel:DWORD
	v_mov_b32_e32 v24, v11
	v_mov_b32_e32 v23, v10
	s_and_saveexec_b32 s20, s4
; %bb.1157:                             ;   in Loop: Header=BB374_806 Depth=1
	v_ffbh_u32_e32 v16, v10
	v_min_u32_e32 v16, 32, v16
	v_subrev_nc_u32_e32 v23, 28, v16
	v_sub_nc_u32_e32 v16, 29, v16
	v_lshlrev_b64 v[23:24], v23, v[10:11]
	v_and_b32_e32 v23, 7, v23
; %bb.1158:                             ;   in Loop: Header=BB374_806 Depth=1
	s_or_b32 exec_lo, exec_lo, s20
	v_mov_b32_e32 v10, 24
	v_lshlrev_b32_e32 v23, 20, v23
	v_lshl_add_u32 v16, v16, 23, 0x3c000000
	v_lshlrev_b32_sdwa v10, v10, v20 dst_sel:DWORD dst_unused:UNUSED_PAD src0_sel:DWORD src1_sel:WORD_1
	v_and_b32_e32 v10, 0x80000000, v10
	v_or3_b32 v16, v23, v10, v16
.LBB374_1159:                           ;   in Loop: Header=BB374_806 Depth=1
	s_or_b32 exec_lo, exec_lo, s18
.LBB374_1160:                           ;   in Loop: Header=BB374_806 Depth=1
	s_or_b32 exec_lo, exec_lo, s17
.LBB374_1161:                           ;   in Loop: Header=BB374_806 Depth=1
	s_or_b32 exec_lo, exec_lo, s16
	s_mov_b32 s16, exec_lo
	v_cmpx_lt_u32_e32 0xffffff, v20
	s_cbranch_execz .LBB374_1169
; %bb.1162:                             ;   in Loop: Header=BB374_806 Depth=1
	v_cmp_ne_u32_sdwa s4, v20, v70 src0_sel:BYTE_3 src1_sel:DWORD
	v_bfrev_b32_e32 v25, 1
	s_and_saveexec_b32 s17, s4
	s_cbranch_execz .LBB374_1168
; %bb.1163:                             ;   in Loop: Header=BB374_806 Depth=1
	v_bfe_u32 v23, v20, 24, 7
	v_mov_b32_e32 v25, 0x7f800001
	s_mov_b32 s18, exec_lo
	v_cmpx_ne_u32_e32 0x7f, v23
	s_cbranch_execz .LBB374_1167
; %bb.1164:                             ;   in Loop: Header=BB374_806 Depth=1
	v_mov_b32_e32 v10, 7
	v_lshrrev_b32_e32 v25, 3, v23
	v_cmp_gt_u32_e64 s4, 8, v23
	v_and_b32_sdwa v10, v20, v10 dst_sel:DWORD dst_unused:UNUSED_PAD src0_sel:BYTE_3 src1_sel:DWORD
	v_mov_b32_e32 v24, v11
	v_mov_b32_e32 v23, v10
	s_and_saveexec_b32 s20, s4
; %bb.1165:                             ;   in Loop: Header=BB374_806 Depth=1
	v_ffbh_u32_e32 v23, v10
	v_min_u32_e32 v25, 32, v23
	v_subrev_nc_u32_e32 v23, 28, v25
	v_sub_nc_u32_e32 v25, 29, v25
	v_lshlrev_b64 v[23:24], v23, v[10:11]
	v_and_b32_e32 v23, 7, v23
; %bb.1166:                             ;   in Loop: Header=BB374_806 Depth=1
	s_or_b32 exec_lo, exec_lo, s20
	v_mov_b32_e32 v10, 24
	v_lshlrev_b32_e32 v23, 20, v23
	v_lshl_add_u32 v24, v25, 23, 0x3c000000
	v_lshlrev_b32_sdwa v10, v10, v20 dst_sel:DWORD dst_unused:UNUSED_PAD src0_sel:DWORD src1_sel:BYTE_3
	v_and_b32_e32 v10, 0x80000000, v10
	v_or3_b32 v25, v23, v10, v24
.LBB374_1167:                           ;   in Loop: Header=BB374_806 Depth=1
	s_or_b32 exec_lo, exec_lo, s18
.LBB374_1168:                           ;   in Loop: Header=BB374_806 Depth=1
	s_or_b32 exec_lo, exec_lo, s17
.LBB374_1169:                           ;   in Loop: Header=BB374_806 Depth=1
	s_or_b32 exec_lo, exec_lo, s16
	v_mov_b32_e32 v10, v21
	v_cmp_ne_u16_sdwa s4, v21, v11 src0_sel:BYTE_0 src1_sel:DWORD
	v_mov_b32_e32 v29, 0
	v_mov_b32_e32 v28, 0
	s_and_saveexec_b32 s16, s4
	s_cbranch_execz .LBB374_1177
; %bb.1170:                             ;   in Loop: Header=BB374_806 Depth=1
	v_cmp_ne_u16_sdwa s4, v21, v70 src0_sel:BYTE_0 src1_sel:DWORD
	v_bfrev_b32_e32 v28, 1
	s_and_saveexec_b32 s17, s4
	s_cbranch_execz .LBB374_1176
; %bb.1171:                             ;   in Loop: Header=BB374_806 Depth=1
	v_and_b32_e32 v23, 0x7f, v21
	v_mov_b32_e32 v28, 0x7f800001
	s_mov_b32 s18, exec_lo
	v_cmpx_ne_u32_e32 0x7f, v23
	s_cbranch_execz .LBB374_1175
; %bb.1172:                             ;   in Loop: Header=BB374_806 Depth=1
	v_lshrrev_b32_e32 v28, 3, v23
	v_cmp_gt_u32_e64 s4, 8, v23
	v_mov_b32_e32 v24, v11
	v_mov_b32_e32 v23, v10
	s_and_saveexec_b32 s20, s4
; %bb.1173:                             ;   in Loop: Header=BB374_806 Depth=1
	v_and_b32_e32 v23, 7, v21
	v_ffbh_u32_e32 v23, v23
	v_min_u32_e32 v28, 32, v23
	v_subrev_nc_u32_e32 v23, 28, v28
	v_sub_nc_u32_e32 v28, 29, v28
	v_lshlrev_b64 v[23:24], v23, v[10:11]
; %bb.1174:                             ;   in Loop: Header=BB374_806 Depth=1
	s_or_b32 exec_lo, exec_lo, s20
	v_lshlrev_b32_e32 v23, 20, v23
	v_lshlrev_b32_e32 v24, 24, v10
	v_lshl_add_u32 v28, v28, 23, 0x3c000000
	v_and_b32_e32 v23, 0x700000, v23
	v_and_b32_e32 v24, 0x80000000, v24
	v_or3_b32 v28, v23, v24, v28
.LBB374_1175:                           ;   in Loop: Header=BB374_806 Depth=1
	s_or_b32 exec_lo, exec_lo, s18
.LBB374_1176:                           ;   in Loop: Header=BB374_806 Depth=1
	s_or_b32 exec_lo, exec_lo, s17
.LBB374_1177:                           ;   in Loop: Header=BB374_806 Depth=1
	s_or_b32 exec_lo, exec_lo, s16
	v_cmp_ne_u16_sdwa s4, v10, v11 src0_sel:BYTE_1 src1_sel:DWORD
	s_and_saveexec_b32 s16, s4
	s_cbranch_execz .LBB374_1185
; %bb.1178:                             ;   in Loop: Header=BB374_806 Depth=1
	v_cmp_ne_u16_sdwa s4, v10, v70 src0_sel:BYTE_1 src1_sel:DWORD
	v_bfrev_b32_e32 v29, 1
	s_and_saveexec_b32 s17, s4
	s_cbranch_execz .LBB374_1184
; %bb.1179:                             ;   in Loop: Header=BB374_806 Depth=1
	v_mov_b32_e32 v23, 0xffff
	v_mov_b32_e32 v29, 0x7f800001
	s_mov_b32 s18, exec_lo
	v_and_b32_sdwa v23, v23, v10 dst_sel:DWORD dst_unused:UNUSED_PAD src0_sel:DWORD src1_sel:BYTE_1
	v_and_b32_e32 v31, 0x7f, v23
	v_cmpx_ne_u32_e32 0x7f, v31
	s_cbranch_execz .LBB374_1183
; %bb.1180:                             ;   in Loop: Header=BB374_806 Depth=1
	v_and_b32_e32 v23, 7, v23
	v_mov_b32_e32 v24, v11
	v_lshrrev_b32_e32 v29, 3, v31
	s_mov_b32 s20, exec_lo
	v_cmpx_gt_u32_e32 8, v31
; %bb.1181:                             ;   in Loop: Header=BB374_806 Depth=1
	v_ffbh_u32_e32 v29, v23
	v_min_u32_e32 v29, 32, v29
	v_subrev_nc_u32_e32 v31, 28, v29
	v_sub_nc_u32_e32 v29, 29, v29
	v_lshlrev_b64 v[23:24], v31, v[23:24]
	v_and_b32_e32 v23, 7, v23
; %bb.1182:                             ;   in Loop: Header=BB374_806 Depth=1
	s_or_b32 exec_lo, exec_lo, s20
	v_lshlrev_b32_e32 v10, 16, v10
	v_lshlrev_b32_e32 v23, 20, v23
	v_lshl_add_u32 v24, v29, 23, 0x3c000000
	v_and_b32_e32 v10, 0x80000000, v10
	v_or3_b32 v29, v23, v10, v24
.LBB374_1183:                           ;   in Loop: Header=BB374_806 Depth=1
	s_or_b32 exec_lo, exec_lo, s18
.LBB374_1184:                           ;   in Loop: Header=BB374_806 Depth=1
	s_or_b32 exec_lo, exec_lo, s17
.LBB374_1185:                           ;   in Loop: Header=BB374_806 Depth=1
	s_or_b32 exec_lo, exec_lo, s16
	v_and_b32_sdwa v10, v21, v80 dst_sel:DWORD dst_unused:UNUSED_PAD src0_sel:WORD_1 src1_sel:DWORD
	v_mov_b32_e32 v31, 0
	v_mov_b32_e32 v32, 0
	s_mov_b32 s16, exec_lo
	v_cmpx_ne_u16_e32 0, v10
	s_cbranch_execz .LBB374_1193
; %bb.1186:                             ;   in Loop: Header=BB374_806 Depth=1
	v_bfrev_b32_e32 v32, 1
	s_mov_b32 s17, exec_lo
	v_cmpx_ne_u16_e32 0x80, v10
	s_cbranch_execz .LBB374_1192
; %bb.1187:                             ;   in Loop: Header=BB374_806 Depth=1
	v_bfe_u32 v23, v21, 16, 7
	v_mov_b32_e32 v32, 0x7f800001
	s_mov_b32 s18, exec_lo
	v_cmpx_ne_u32_e32 0x7f, v23
	s_cbranch_execz .LBB374_1191
; %bb.1188:                             ;   in Loop: Header=BB374_806 Depth=1
	v_mov_b32_e32 v10, 7
	v_lshrrev_b32_e32 v32, 3, v23
	v_cmp_gt_u32_e64 s4, 8, v23
	v_and_b32_sdwa v10, v21, v10 dst_sel:DWORD dst_unused:UNUSED_PAD src0_sel:WORD_1 src1_sel:DWORD
	v_mov_b32_e32 v24, v11
	v_mov_b32_e32 v23, v10
	s_and_saveexec_b32 s20, s4
; %bb.1189:                             ;   in Loop: Header=BB374_806 Depth=1
	v_ffbh_u32_e32 v23, v10
	v_min_u32_e32 v32, 32, v23
	v_subrev_nc_u32_e32 v23, 28, v32
	v_sub_nc_u32_e32 v32, 29, v32
	v_lshlrev_b64 v[23:24], v23, v[10:11]
	v_and_b32_e32 v23, 7, v23
; %bb.1190:                             ;   in Loop: Header=BB374_806 Depth=1
	s_or_b32 exec_lo, exec_lo, s20
	v_mov_b32_e32 v10, 24
	v_lshlrev_b32_e32 v23, 20, v23
	v_lshl_add_u32 v24, v32, 23, 0x3c000000
	v_lshlrev_b32_sdwa v10, v10, v21 dst_sel:DWORD dst_unused:UNUSED_PAD src0_sel:DWORD src1_sel:WORD_1
	v_and_b32_e32 v10, 0x80000000, v10
	v_or3_b32 v32, v23, v10, v24
.LBB374_1191:                           ;   in Loop: Header=BB374_806 Depth=1
	s_or_b32 exec_lo, exec_lo, s18
.LBB374_1192:                           ;   in Loop: Header=BB374_806 Depth=1
	s_or_b32 exec_lo, exec_lo, s17
.LBB374_1193:                           ;   in Loop: Header=BB374_806 Depth=1
	s_or_b32 exec_lo, exec_lo, s16
	s_mov_b32 s16, exec_lo
	v_cmpx_lt_u64_e64 s[12:13], v[20:21]
	s_cbranch_execz .LBB374_1201
; %bb.1194:                             ;   in Loop: Header=BB374_806 Depth=1
	v_cmp_ne_u32_sdwa s4, v21, v70 src0_sel:BYTE_3 src1_sel:DWORD
	v_bfrev_b32_e32 v31, 1
	s_and_saveexec_b32 s17, s4
	s_cbranch_execz .LBB374_1200
; %bb.1195:                             ;   in Loop: Header=BB374_806 Depth=1
	v_bfe_u32 v23, v21, 24, 7
	v_mov_b32_e32 v31, 0x7f800001
	s_mov_b32 s18, exec_lo
	v_cmpx_ne_u32_e32 0x7f, v23
	s_cbranch_execz .LBB374_1199
; %bb.1196:                             ;   in Loop: Header=BB374_806 Depth=1
	v_mov_b32_e32 v10, 7
	v_lshrrev_b32_e32 v20, 3, v23
	v_cmp_gt_u32_e64 s4, 8, v23
	v_and_b32_sdwa v10, v21, v10 dst_sel:DWORD dst_unused:UNUSED_PAD src0_sel:BYTE_3 src1_sel:DWORD
	v_mov_b32_e32 v24, v11
	v_mov_b32_e32 v23, v10
	s_and_saveexec_b32 s20, s4
; %bb.1197:                             ;   in Loop: Header=BB374_806 Depth=1
	v_ffbh_u32_e32 v20, v10
	v_min_u32_e32 v20, 32, v20
	v_subrev_nc_u32_e32 v23, 28, v20
	v_sub_nc_u32_e32 v20, 29, v20
	v_lshlrev_b64 v[23:24], v23, v[10:11]
	v_and_b32_e32 v23, 7, v23
; %bb.1198:                             ;   in Loop: Header=BB374_806 Depth=1
	s_or_b32 exec_lo, exec_lo, s20
	v_mov_b32_e32 v10, 24
	v_lshl_add_u32 v20, v20, 23, 0x3c000000
	v_lshlrev_b32_sdwa v10, v10, v21 dst_sel:DWORD dst_unused:UNUSED_PAD src0_sel:DWORD src1_sel:BYTE_3
	v_lshlrev_b32_e32 v21, 20, v23
	v_and_b32_e32 v10, 0x80000000, v10
	v_or3_b32 v31, v21, v10, v20
.LBB374_1199:                           ;   in Loop: Header=BB374_806 Depth=1
	s_or_b32 exec_lo, exec_lo, s18
.LBB374_1200:                           ;   in Loop: Header=BB374_806 Depth=1
	s_or_b32 exec_lo, exec_lo, s17
.LBB374_1201:                           ;   in Loop: Header=BB374_806 Depth=1
	s_or_b32 exec_lo, exec_lo, s16
	v_mul_f32_e32 v10, v44, v29
	v_mul_f32_e32 v20, v44, v28
	;; [unrolled: 1-line block ×5, first 2 shown]
	v_bfe_u32 v23, v10, 16, 1
	v_or_b32_e32 v24, 0x400000, v10
	v_bfe_u32 v25, v20, 16, 1
	v_cmp_u_f32_e64 s4, v10, v10
	v_or_b32_e32 v28, 0x400000, v20
	v_add3_u32 v23, v23, v10, 0x7fff
	v_bfe_u32 v29, v21, 16, 1
	v_add3_u32 v25, v25, v20, 0x7fff
	v_or_b32_e32 v33, 0x400000, v21
	v_bfe_u32 v34, v16, 16, 1
	v_cndmask_b32_e64 v10, v23, v24, s4
	v_cmp_u_f32_e64 s4, v20, v20
	v_add3_u32 v29, v29, v21, 0x7fff
	v_or_b32_e32 v23, 0x400000, v16
	v_bfe_u32 v24, v12, 16, 1
	v_lshrrev_b32_e32 v88, 16, v10
	v_cndmask_b32_e64 v20, v25, v28, s4
	v_cmp_u_f32_e64 s4, v21, v21
	v_mul_f32_e32 v10, v44, v13
	v_add3_u32 v13, v34, v16, 0x7fff
	v_lshrrev_b32_e32 v79, 16, v20
	v_cndmask_b32_e64 v21, v29, v33, s4
	v_bfe_u32 v20, v10, 16, 1
	v_cmp_u_f32_e64 s4, v16, v16
	v_mul_f32_e32 v16, v44, v32
	v_lshrrev_b32_e32 v91, 16, v21
	v_add3_u32 v20, v20, v10, 0x7fff
	v_cndmask_b32_e64 v13, v13, v23, s4
	v_or_b32_e32 v21, 0x400000, v10
	v_cmp_u_f32_e64 s4, v10, v10
	v_mul_f32_e32 v23, v44, v31
	v_bfe_u32 v25, v16, 16, 1
	v_or_b32_e32 v28, 0x400000, v16
	v_lshrrev_b32_e32 v92, 16, v13
	v_cndmask_b32_e64 v10, v20, v21, s4
	v_add3_u32 v21, v24, v12, 0x7fff
	v_or_b32_e32 v24, 0x400000, v12
	v_cmp_u_f32_e64 s4, v12, v12
	v_bfe_u32 v20, v23, 16, 1
	v_add3_u32 v25, v25, v16, 0x7fff
	v_or_b32_e32 v29, 0x400000, v23
	v_lshrrev_b32_e32 v94, 16, v10
	v_cndmask_b32_e64 v12, v21, v24, s4
	v_cmp_u_f32_e64 s4, v16, v16
	v_add3_u32 v20, v20, v23, 0x7fff
	v_lshrrev_b32_e32 v93, 16, v12
	v_cndmask_b32_e64 v16, v25, v28, s4
	v_cmp_u_f32_e64 s4, v23, v23
	v_lshrrev_b32_e32 v89, 16, v16
	v_cndmask_b32_e64 v20, v20, v29, s4
	v_lshrrev_b32_e32 v90, 16, v20
	s_and_saveexec_b32 s16, vcc_lo
	s_cbranch_execz .LBB374_1203
; %bb.1202:                             ;   in Loop: Header=BB374_806 Depth=1
	v_cmp_lt_i32_e64 s4, v47, v38
	v_cndmask_b32_e64 v93, 0, v93, s4
	v_cmp_lt_i32_e64 s4, v62, v38
	v_cndmask_b32_e64 v94, 0, v94, s4
	v_cmp_lt_i32_e64 s4, v61, v38
	v_cndmask_b32_e64 v92, 0, v92, s4
	v_cmp_lt_i32_e64 s4, v60, v38
	v_cndmask_b32_e64 v91, 0, v91, s4
	v_cmp_lt_i32_e64 s4, v59, v38
	v_cndmask_b32_e64 v79, 0, v79, s4
	v_cmp_lt_i32_e64 s4, v58, v38
	v_cndmask_b32_e64 v88, 0, v88, s4
	v_cmp_lt_i32_e64 s4, v57, v38
	v_cndmask_b32_e64 v89, 0, v89, s4
	v_cmp_lt_i32_e64 s4, v56, v38
	v_cndmask_b32_e64 v90, 0, v90, s4
.LBB374_1203:                           ;   in Loop: Header=BB374_806 Depth=1
	s_or_b32 exec_lo, exec_lo, s16
	flat_load_dwordx2 v[20:21], v[18:19] offset:1536
	v_mov_b32_e32 v13, 0
	v_mov_b32_e32 v12, 0
	s_waitcnt vmcnt(0) lgkmcnt(0)
	v_cmp_ne_u16_sdwa s4, v20, v11 src0_sel:BYTE_0 src1_sel:DWORD
	s_and_saveexec_b32 s16, s4
	s_cbranch_execz .LBB374_1211
; %bb.1204:                             ;   in Loop: Header=BB374_806 Depth=1
	v_cmp_ne_u16_sdwa s4, v20, v70 src0_sel:BYTE_0 src1_sel:DWORD
	v_bfrev_b32_e32 v12, 1
	s_and_saveexec_b32 s17, s4
	s_cbranch_execz .LBB374_1210
; %bb.1205:                             ;   in Loop: Header=BB374_806 Depth=1
	v_and_b32_e32 v16, 0x7f, v20
	v_mov_b32_e32 v12, 0x7f800001
	s_mov_b32 s18, exec_lo
	v_cmpx_ne_u32_e32 0x7f, v16
	s_cbranch_execz .LBB374_1209
; %bb.1206:                             ;   in Loop: Header=BB374_806 Depth=1
	v_mov_b32_e32 v24, v21
	v_lshrrev_b32_e32 v10, 3, v16
	v_mov_b32_e32 v23, v20
	s_mov_b32 s20, exec_lo
	v_cmpx_gt_u32_e32 8, v16
; %bb.1207:                             ;   in Loop: Header=BB374_806 Depth=1
	v_and_b32_e32 v10, 7, v20
	v_ffbh_u32_e32 v10, v10
	v_min_u32_e32 v10, 32, v10
	v_subrev_nc_u32_e32 v12, 28, v10
	v_sub_nc_u32_e32 v10, 29, v10
	v_lshlrev_b64 v[23:24], v12, v[20:21]
; %bb.1208:                             ;   in Loop: Header=BB374_806 Depth=1
	s_or_b32 exec_lo, exec_lo, s20
	v_lshlrev_b32_e32 v12, 20, v23
	v_lshlrev_b32_e32 v16, 24, v20
	v_lshl_add_u32 v10, v10, 23, 0x3c000000
	v_and_b32_e32 v12, 0x700000, v12
	v_and_b32_e32 v16, 0x80000000, v16
	v_or3_b32 v12, v12, v16, v10
.LBB374_1209:                           ;   in Loop: Header=BB374_806 Depth=1
	s_or_b32 exec_lo, exec_lo, s18
.LBB374_1210:                           ;   in Loop: Header=BB374_806 Depth=1
	s_or_b32 exec_lo, exec_lo, s17
.LBB374_1211:                           ;   in Loop: Header=BB374_806 Depth=1
	s_or_b32 exec_lo, exec_lo, s16
	v_cmp_ne_u16_sdwa s4, v20, v11 src0_sel:BYTE_1 src1_sel:DWORD
	s_and_saveexec_b32 s16, s4
	s_cbranch_execz .LBB374_1219
; %bb.1212:                             ;   in Loop: Header=BB374_806 Depth=1
	v_cmp_ne_u16_sdwa s4, v20, v70 src0_sel:BYTE_1 src1_sel:DWORD
	v_bfrev_b32_e32 v13, 1
	s_and_saveexec_b32 s17, s4
	s_cbranch_execz .LBB374_1218
; %bb.1213:                             ;   in Loop: Header=BB374_806 Depth=1
	v_mov_b32_e32 v10, 0xffff
	v_mov_b32_e32 v13, 0x7f800001
	s_mov_b32 s18, exec_lo
	v_and_b32_sdwa v10, v10, v20 dst_sel:DWORD dst_unused:UNUSED_PAD src0_sel:DWORD src1_sel:BYTE_1
	v_and_b32_e32 v16, 0x7f, v10
	v_cmpx_ne_u32_e32 0x7f, v16
	s_cbranch_execz .LBB374_1217
; %bb.1214:                             ;   in Loop: Header=BB374_806 Depth=1
	v_and_b32_e32 v10, 7, v10
	v_mov_b32_e32 v24, v11
	v_lshrrev_b32_e32 v13, 3, v16
	s_mov_b32 s20, exec_lo
	v_mov_b32_e32 v23, v10
	v_cmpx_gt_u32_e32 8, v16
; %bb.1215:                             ;   in Loop: Header=BB374_806 Depth=1
	v_ffbh_u32_e32 v13, v10
	v_min_u32_e32 v13, 32, v13
	v_subrev_nc_u32_e32 v16, 28, v13
	v_sub_nc_u32_e32 v13, 29, v13
	v_lshlrev_b64 v[23:24], v16, v[10:11]
	v_and_b32_e32 v23, 7, v23
; %bb.1216:                             ;   in Loop: Header=BB374_806 Depth=1
	s_or_b32 exec_lo, exec_lo, s20
	v_lshlrev_b32_e32 v10, 16, v20
	v_lshlrev_b32_e32 v16, 20, v23
	v_lshl_add_u32 v13, v13, 23, 0x3c000000
	v_and_b32_e32 v10, 0x80000000, v10
	v_or3_b32 v13, v16, v10, v13
.LBB374_1217:                           ;   in Loop: Header=BB374_806 Depth=1
	s_or_b32 exec_lo, exec_lo, s18
.LBB374_1218:                           ;   in Loop: Header=BB374_806 Depth=1
	s_or_b32 exec_lo, exec_lo, s17
.LBB374_1219:                           ;   in Loop: Header=BB374_806 Depth=1
	s_or_b32 exec_lo, exec_lo, s16
	v_and_b32_sdwa v10, v20, v80 dst_sel:DWORD dst_unused:UNUSED_PAD src0_sel:WORD_1 src1_sel:DWORD
	v_mov_b32_e32 v25, 0
	v_mov_b32_e32 v16, 0
	s_mov_b32 s16, exec_lo
	v_cmpx_ne_u16_e32 0, v10
	s_cbranch_execz .LBB374_1227
; %bb.1220:                             ;   in Loop: Header=BB374_806 Depth=1
	v_bfrev_b32_e32 v16, 1
	s_mov_b32 s17, exec_lo
	v_cmpx_ne_u16_e32 0x80, v10
	s_cbranch_execz .LBB374_1226
; %bb.1221:                             ;   in Loop: Header=BB374_806 Depth=1
	v_bfe_u32 v23, v20, 16, 7
	v_mov_b32_e32 v16, 0x7f800001
	s_mov_b32 s18, exec_lo
	v_cmpx_ne_u32_e32 0x7f, v23
	s_cbranch_execz .LBB374_1225
; %bb.1222:                             ;   in Loop: Header=BB374_806 Depth=1
	v_mov_b32_e32 v10, 7
	v_lshrrev_b32_e32 v16, 3, v23
	v_cmp_gt_u32_e64 s4, 8, v23
	v_and_b32_sdwa v10, v20, v10 dst_sel:DWORD dst_unused:UNUSED_PAD src0_sel:WORD_1 src1_sel:DWORD
	v_mov_b32_e32 v24, v11
	v_mov_b32_e32 v23, v10
	s_and_saveexec_b32 s20, s4
; %bb.1223:                             ;   in Loop: Header=BB374_806 Depth=1
	v_ffbh_u32_e32 v16, v10
	v_min_u32_e32 v16, 32, v16
	v_subrev_nc_u32_e32 v23, 28, v16
	v_sub_nc_u32_e32 v16, 29, v16
	v_lshlrev_b64 v[23:24], v23, v[10:11]
	v_and_b32_e32 v23, 7, v23
; %bb.1224:                             ;   in Loop: Header=BB374_806 Depth=1
	s_or_b32 exec_lo, exec_lo, s20
	v_mov_b32_e32 v10, 24
	v_lshlrev_b32_e32 v23, 20, v23
	v_lshl_add_u32 v16, v16, 23, 0x3c000000
	v_lshlrev_b32_sdwa v10, v10, v20 dst_sel:DWORD dst_unused:UNUSED_PAD src0_sel:DWORD src1_sel:WORD_1
	v_and_b32_e32 v10, 0x80000000, v10
	v_or3_b32 v16, v23, v10, v16
.LBB374_1225:                           ;   in Loop: Header=BB374_806 Depth=1
	s_or_b32 exec_lo, exec_lo, s18
.LBB374_1226:                           ;   in Loop: Header=BB374_806 Depth=1
	s_or_b32 exec_lo, exec_lo, s17
.LBB374_1227:                           ;   in Loop: Header=BB374_806 Depth=1
	s_or_b32 exec_lo, exec_lo, s16
	s_mov_b32 s16, exec_lo
	v_cmpx_lt_u32_e32 0xffffff, v20
	s_cbranch_execz .LBB374_1235
; %bb.1228:                             ;   in Loop: Header=BB374_806 Depth=1
	v_cmp_ne_u32_sdwa s4, v20, v70 src0_sel:BYTE_3 src1_sel:DWORD
	v_bfrev_b32_e32 v25, 1
	s_and_saveexec_b32 s17, s4
	s_cbranch_execz .LBB374_1234
; %bb.1229:                             ;   in Loop: Header=BB374_806 Depth=1
	v_bfe_u32 v23, v20, 24, 7
	v_mov_b32_e32 v25, 0x7f800001
	s_mov_b32 s18, exec_lo
	v_cmpx_ne_u32_e32 0x7f, v23
	s_cbranch_execz .LBB374_1233
; %bb.1230:                             ;   in Loop: Header=BB374_806 Depth=1
	v_mov_b32_e32 v10, 7
	v_lshrrev_b32_e32 v25, 3, v23
	v_cmp_gt_u32_e64 s4, 8, v23
	v_and_b32_sdwa v10, v20, v10 dst_sel:DWORD dst_unused:UNUSED_PAD src0_sel:BYTE_3 src1_sel:DWORD
	v_mov_b32_e32 v24, v11
	v_mov_b32_e32 v23, v10
	s_and_saveexec_b32 s20, s4
; %bb.1231:                             ;   in Loop: Header=BB374_806 Depth=1
	v_ffbh_u32_e32 v23, v10
	v_min_u32_e32 v25, 32, v23
	v_subrev_nc_u32_e32 v23, 28, v25
	v_sub_nc_u32_e32 v25, 29, v25
	v_lshlrev_b64 v[23:24], v23, v[10:11]
	v_and_b32_e32 v23, 7, v23
; %bb.1232:                             ;   in Loop: Header=BB374_806 Depth=1
	s_or_b32 exec_lo, exec_lo, s20
	v_mov_b32_e32 v10, 24
	v_lshlrev_b32_e32 v23, 20, v23
	v_lshl_add_u32 v24, v25, 23, 0x3c000000
	v_lshlrev_b32_sdwa v10, v10, v20 dst_sel:DWORD dst_unused:UNUSED_PAD src0_sel:DWORD src1_sel:BYTE_3
	v_and_b32_e32 v10, 0x80000000, v10
	v_or3_b32 v25, v23, v10, v24
.LBB374_1233:                           ;   in Loop: Header=BB374_806 Depth=1
	s_or_b32 exec_lo, exec_lo, s18
.LBB374_1234:                           ;   in Loop: Header=BB374_806 Depth=1
	s_or_b32 exec_lo, exec_lo, s17
.LBB374_1235:                           ;   in Loop: Header=BB374_806 Depth=1
	s_or_b32 exec_lo, exec_lo, s16
	v_mov_b32_e32 v10, v21
	v_cmp_ne_u16_sdwa s4, v21, v11 src0_sel:BYTE_0 src1_sel:DWORD
	v_mov_b32_e32 v32, 0
	v_mov_b32_e32 v31, 0
	s_and_saveexec_b32 s16, s4
	s_cbranch_execz .LBB374_1243
; %bb.1236:                             ;   in Loop: Header=BB374_806 Depth=1
	v_cmp_ne_u16_sdwa s4, v21, v70 src0_sel:BYTE_0 src1_sel:DWORD
	v_bfrev_b32_e32 v31, 1
	s_and_saveexec_b32 s17, s4
	s_cbranch_execz .LBB374_1242
; %bb.1237:                             ;   in Loop: Header=BB374_806 Depth=1
	v_and_b32_e32 v23, 0x7f, v21
	v_mov_b32_e32 v31, 0x7f800001
	s_mov_b32 s18, exec_lo
	v_cmpx_ne_u32_e32 0x7f, v23
	s_cbranch_execz .LBB374_1241
; %bb.1238:                             ;   in Loop: Header=BB374_806 Depth=1
	v_lshrrev_b32_e32 v28, 3, v23
	v_cmp_gt_u32_e64 s4, 8, v23
	v_mov_b32_e32 v24, v11
	v_mov_b32_e32 v23, v10
	s_and_saveexec_b32 s20, s4
; %bb.1239:                             ;   in Loop: Header=BB374_806 Depth=1
	v_and_b32_e32 v23, 7, v21
	v_ffbh_u32_e32 v23, v23
	v_min_u32_e32 v28, 32, v23
	v_subrev_nc_u32_e32 v23, 28, v28
	v_sub_nc_u32_e32 v28, 29, v28
	v_lshlrev_b64 v[23:24], v23, v[10:11]
; %bb.1240:                             ;   in Loop: Header=BB374_806 Depth=1
	s_or_b32 exec_lo, exec_lo, s20
	v_lshlrev_b32_e32 v23, 20, v23
	v_lshlrev_b32_e32 v24, 24, v10
	v_lshl_add_u32 v28, v28, 23, 0x3c000000
	v_and_b32_e32 v23, 0x700000, v23
	v_and_b32_e32 v24, 0x80000000, v24
	v_or3_b32 v31, v23, v24, v28
.LBB374_1241:                           ;   in Loop: Header=BB374_806 Depth=1
	s_or_b32 exec_lo, exec_lo, s18
.LBB374_1242:                           ;   in Loop: Header=BB374_806 Depth=1
	s_or_b32 exec_lo, exec_lo, s17
.LBB374_1243:                           ;   in Loop: Header=BB374_806 Depth=1
	s_or_b32 exec_lo, exec_lo, s16
	v_cmp_ne_u16_sdwa s4, v10, v11 src0_sel:BYTE_1 src1_sel:DWORD
	s_and_saveexec_b32 s16, s4
	s_cbranch_execz .LBB374_1251
; %bb.1244:                             ;   in Loop: Header=BB374_806 Depth=1
	v_cmp_ne_u16_sdwa s4, v10, v70 src0_sel:BYTE_1 src1_sel:DWORD
	v_bfrev_b32_e32 v32, 1
	s_and_saveexec_b32 s17, s4
	s_cbranch_execz .LBB374_1250
; %bb.1245:                             ;   in Loop: Header=BB374_806 Depth=1
	v_mov_b32_e32 v23, 0xffff
	v_mov_b32_e32 v32, 0x7f800001
	s_mov_b32 s18, exec_lo
	v_and_b32_sdwa v23, v23, v10 dst_sel:DWORD dst_unused:UNUSED_PAD src0_sel:DWORD src1_sel:BYTE_1
	v_and_b32_e32 v29, 0x7f, v23
	v_cmpx_ne_u32_e32 0x7f, v29
	s_cbranch_execz .LBB374_1249
; %bb.1246:                             ;   in Loop: Header=BB374_806 Depth=1
	v_and_b32_e32 v23, 7, v23
	v_mov_b32_e32 v24, v11
	v_lshrrev_b32_e32 v28, 3, v29
	s_mov_b32 s20, exec_lo
	v_cmpx_gt_u32_e32 8, v29
; %bb.1247:                             ;   in Loop: Header=BB374_806 Depth=1
	v_ffbh_u32_e32 v28, v23
	v_min_u32_e32 v28, 32, v28
	v_subrev_nc_u32_e32 v29, 28, v28
	v_sub_nc_u32_e32 v28, 29, v28
	v_lshlrev_b64 v[23:24], v29, v[23:24]
	v_and_b32_e32 v23, 7, v23
; %bb.1248:                             ;   in Loop: Header=BB374_806 Depth=1
	s_or_b32 exec_lo, exec_lo, s20
	v_lshlrev_b32_e32 v10, 16, v10
	v_lshlrev_b32_e32 v23, 20, v23
	v_lshl_add_u32 v24, v28, 23, 0x3c000000
	v_and_b32_e32 v10, 0x80000000, v10
	v_or3_b32 v32, v23, v10, v24
.LBB374_1249:                           ;   in Loop: Header=BB374_806 Depth=1
	s_or_b32 exec_lo, exec_lo, s18
.LBB374_1250:                           ;   in Loop: Header=BB374_806 Depth=1
	s_or_b32 exec_lo, exec_lo, s17
.LBB374_1251:                           ;   in Loop: Header=BB374_806 Depth=1
	s_or_b32 exec_lo, exec_lo, s16
	v_and_b32_sdwa v10, v21, v80 dst_sel:DWORD dst_unused:UNUSED_PAD src0_sel:WORD_1 src1_sel:DWORD
	v_mov_b32_e32 v28, 0
	v_mov_b32_e32 v29, 0
	s_mov_b32 s16, exec_lo
	v_cmpx_ne_u16_e32 0, v10
	s_cbranch_execz .LBB374_1259
; %bb.1252:                             ;   in Loop: Header=BB374_806 Depth=1
	v_bfrev_b32_e32 v29, 1
	s_mov_b32 s17, exec_lo
	v_cmpx_ne_u16_e32 0x80, v10
	s_cbranch_execz .LBB374_1258
; %bb.1253:                             ;   in Loop: Header=BB374_806 Depth=1
	v_bfe_u32 v23, v21, 16, 7
	v_mov_b32_e32 v29, 0x7f800001
	s_mov_b32 s18, exec_lo
	v_cmpx_ne_u32_e32 0x7f, v23
	s_cbranch_execz .LBB374_1257
; %bb.1254:                             ;   in Loop: Header=BB374_806 Depth=1
	v_mov_b32_e32 v10, 7
	v_lshrrev_b32_e32 v29, 3, v23
	v_cmp_gt_u32_e64 s4, 8, v23
	v_and_b32_sdwa v10, v21, v10 dst_sel:DWORD dst_unused:UNUSED_PAD src0_sel:WORD_1 src1_sel:DWORD
	v_mov_b32_e32 v24, v11
	v_mov_b32_e32 v23, v10
	s_and_saveexec_b32 s20, s4
; %bb.1255:                             ;   in Loop: Header=BB374_806 Depth=1
	v_ffbh_u32_e32 v23, v10
	v_min_u32_e32 v29, 32, v23
	v_subrev_nc_u32_e32 v23, 28, v29
	v_sub_nc_u32_e32 v29, 29, v29
	v_lshlrev_b64 v[23:24], v23, v[10:11]
	v_and_b32_e32 v23, 7, v23
; %bb.1256:                             ;   in Loop: Header=BB374_806 Depth=1
	s_or_b32 exec_lo, exec_lo, s20
	v_mov_b32_e32 v10, 24
	v_lshlrev_b32_e32 v23, 20, v23
	v_lshl_add_u32 v24, v29, 23, 0x3c000000
	v_lshlrev_b32_sdwa v10, v10, v21 dst_sel:DWORD dst_unused:UNUSED_PAD src0_sel:DWORD src1_sel:WORD_1
	v_and_b32_e32 v10, 0x80000000, v10
	v_or3_b32 v29, v23, v10, v24
.LBB374_1257:                           ;   in Loop: Header=BB374_806 Depth=1
	s_or_b32 exec_lo, exec_lo, s18
.LBB374_1258:                           ;   in Loop: Header=BB374_806 Depth=1
	s_or_b32 exec_lo, exec_lo, s17
.LBB374_1259:                           ;   in Loop: Header=BB374_806 Depth=1
	s_or_b32 exec_lo, exec_lo, s16
	s_mov_b32 s16, exec_lo
	v_cmpx_lt_u64_e64 s[12:13], v[20:21]
	s_cbranch_execz .LBB374_1267
; %bb.1260:                             ;   in Loop: Header=BB374_806 Depth=1
	v_cmp_ne_u32_sdwa s4, v21, v70 src0_sel:BYTE_3 src1_sel:DWORD
	v_bfrev_b32_e32 v28, 1
	s_and_saveexec_b32 s17, s4
	s_cbranch_execz .LBB374_1266
; %bb.1261:                             ;   in Loop: Header=BB374_806 Depth=1
	v_bfe_u32 v23, v21, 24, 7
	v_mov_b32_e32 v28, 0x7f800001
	s_mov_b32 s18, exec_lo
	v_cmpx_ne_u32_e32 0x7f, v23
	s_cbranch_execz .LBB374_1265
; %bb.1262:                             ;   in Loop: Header=BB374_806 Depth=1
	v_mov_b32_e32 v10, 7
	v_lshrrev_b32_e32 v20, 3, v23
	v_cmp_gt_u32_e64 s4, 8, v23
	v_and_b32_sdwa v10, v21, v10 dst_sel:DWORD dst_unused:UNUSED_PAD src0_sel:BYTE_3 src1_sel:DWORD
	v_mov_b32_e32 v24, v11
	v_mov_b32_e32 v23, v10
	s_and_saveexec_b32 s20, s4
; %bb.1263:                             ;   in Loop: Header=BB374_806 Depth=1
	v_ffbh_u32_e32 v20, v10
	v_min_u32_e32 v20, 32, v20
	v_subrev_nc_u32_e32 v23, 28, v20
	v_sub_nc_u32_e32 v20, 29, v20
	v_lshlrev_b64 v[23:24], v23, v[10:11]
	v_and_b32_e32 v23, 7, v23
; %bb.1264:                             ;   in Loop: Header=BB374_806 Depth=1
	s_or_b32 exec_lo, exec_lo, s20
	v_mov_b32_e32 v10, 24
	v_lshl_add_u32 v20, v20, 23, 0x3c000000
	v_lshlrev_b32_sdwa v10, v10, v21 dst_sel:DWORD dst_unused:UNUSED_PAD src0_sel:DWORD src1_sel:BYTE_3
	v_lshlrev_b32_e32 v21, 20, v23
	v_and_b32_e32 v10, 0x80000000, v10
	v_or3_b32 v28, v21, v10, v20
.LBB374_1265:                           ;   in Loop: Header=BB374_806 Depth=1
	s_or_b32 exec_lo, exec_lo, s18
.LBB374_1266:                           ;   in Loop: Header=BB374_806 Depth=1
	s_or_b32 exec_lo, exec_lo, s17
.LBB374_1267:                           ;   in Loop: Header=BB374_806 Depth=1
	s_or_b32 exec_lo, exec_lo, s16
	v_mul_f32_e32 v10, v44, v32
	v_bfe_u32 v20, v10, 16, 1
	v_or_b32_e32 v21, 0x400000, v10
	v_cmp_u_f32_e64 s4, v10, v10
	v_add3_u32 v20, v20, v10, 0x7fff
	v_cndmask_b32_e64 v10, v20, v21, s4
	v_lshrrev_b32_e32 v95, 16, v10
	v_mul_f32_e32 v10, v44, v31
	v_bfe_u32 v20, v10, 16, 1
	v_or_b32_e32 v21, 0x400000, v10
	v_cmp_u_f32_e64 s4, v10, v10
	v_add3_u32 v20, v20, v10, 0x7fff
	v_cndmask_b32_e64 v10, v20, v21, s4
	v_lshrrev_b32_e32 v104, 16, v10
	;; [unrolled: 7-line block ×8, first 2 shown]
	s_and_saveexec_b32 s16, vcc_lo
	s_cbranch_execz .LBB374_1269
; %bb.1268:                             ;   in Loop: Header=BB374_806 Depth=1
	v_cmp_lt_i32_e64 s4, v47, v38
	v_cndmask_b32_e64 v109, 0, v109, s4
	v_cmp_lt_i32_e64 s4, v62, v38
	v_cndmask_b32_e64 v108, 0, v108, s4
	;; [unrolled: 2-line block ×8, first 2 shown]
.LBB374_1269:                           ;   in Loop: Header=BB374_806 Depth=1
	s_or_b32 exec_lo, exec_lo, s16
	flat_load_dwordx2 v[20:21], v[18:19] offset:1792
	v_mov_b32_e32 v13, 0
	v_mov_b32_e32 v12, 0
	s_waitcnt vmcnt(0) lgkmcnt(0)
	v_cmp_ne_u16_sdwa s4, v20, v11 src0_sel:BYTE_0 src1_sel:DWORD
	s_and_saveexec_b32 s16, s4
	s_cbranch_execz .LBB374_1277
; %bb.1270:                             ;   in Loop: Header=BB374_806 Depth=1
	v_cmp_ne_u16_sdwa s4, v20, v70 src0_sel:BYTE_0 src1_sel:DWORD
	v_bfrev_b32_e32 v12, 1
	s_and_saveexec_b32 s17, s4
	s_cbranch_execz .LBB374_1276
; %bb.1271:                             ;   in Loop: Header=BB374_806 Depth=1
	v_and_b32_e32 v16, 0x7f, v20
	v_mov_b32_e32 v12, 0x7f800001
	s_mov_b32 s18, exec_lo
	v_cmpx_ne_u32_e32 0x7f, v16
	s_cbranch_execz .LBB374_1275
; %bb.1272:                             ;   in Loop: Header=BB374_806 Depth=1
	v_mov_b32_e32 v24, v21
	v_lshrrev_b32_e32 v10, 3, v16
	v_mov_b32_e32 v23, v20
	s_mov_b32 s20, exec_lo
	v_cmpx_gt_u32_e32 8, v16
; %bb.1273:                             ;   in Loop: Header=BB374_806 Depth=1
	v_and_b32_e32 v10, 7, v20
	v_ffbh_u32_e32 v10, v10
	v_min_u32_e32 v10, 32, v10
	v_subrev_nc_u32_e32 v12, 28, v10
	v_sub_nc_u32_e32 v10, 29, v10
	v_lshlrev_b64 v[23:24], v12, v[20:21]
; %bb.1274:                             ;   in Loop: Header=BB374_806 Depth=1
	s_or_b32 exec_lo, exec_lo, s20
	v_lshlrev_b32_e32 v12, 20, v23
	v_lshlrev_b32_e32 v16, 24, v20
	v_lshl_add_u32 v10, v10, 23, 0x3c000000
	v_and_b32_e32 v12, 0x700000, v12
	v_and_b32_e32 v16, 0x80000000, v16
	v_or3_b32 v12, v12, v16, v10
.LBB374_1275:                           ;   in Loop: Header=BB374_806 Depth=1
	s_or_b32 exec_lo, exec_lo, s18
.LBB374_1276:                           ;   in Loop: Header=BB374_806 Depth=1
	s_or_b32 exec_lo, exec_lo, s17
.LBB374_1277:                           ;   in Loop: Header=BB374_806 Depth=1
	s_or_b32 exec_lo, exec_lo, s16
	v_cmp_ne_u16_sdwa s4, v20, v11 src0_sel:BYTE_1 src1_sel:DWORD
	s_and_saveexec_b32 s16, s4
	s_cbranch_execz .LBB374_1285
; %bb.1278:                             ;   in Loop: Header=BB374_806 Depth=1
	v_cmp_ne_u16_sdwa s4, v20, v70 src0_sel:BYTE_1 src1_sel:DWORD
	v_bfrev_b32_e32 v13, 1
	s_and_saveexec_b32 s17, s4
	s_cbranch_execz .LBB374_1284
; %bb.1279:                             ;   in Loop: Header=BB374_806 Depth=1
	v_mov_b32_e32 v10, 0xffff
	v_mov_b32_e32 v13, 0x7f800001
	s_mov_b32 s18, exec_lo
	v_and_b32_sdwa v10, v10, v20 dst_sel:DWORD dst_unused:UNUSED_PAD src0_sel:DWORD src1_sel:BYTE_1
	v_and_b32_e32 v16, 0x7f, v10
	v_cmpx_ne_u32_e32 0x7f, v16
	s_cbranch_execz .LBB374_1283
; %bb.1280:                             ;   in Loop: Header=BB374_806 Depth=1
	v_and_b32_e32 v10, 7, v10
	v_mov_b32_e32 v24, v11
	v_lshrrev_b32_e32 v13, 3, v16
	s_mov_b32 s20, exec_lo
	v_mov_b32_e32 v23, v10
	v_cmpx_gt_u32_e32 8, v16
; %bb.1281:                             ;   in Loop: Header=BB374_806 Depth=1
	v_ffbh_u32_e32 v13, v10
	v_min_u32_e32 v13, 32, v13
	v_subrev_nc_u32_e32 v16, 28, v13
	v_sub_nc_u32_e32 v13, 29, v13
	v_lshlrev_b64 v[23:24], v16, v[10:11]
	v_and_b32_e32 v23, 7, v23
; %bb.1282:                             ;   in Loop: Header=BB374_806 Depth=1
	s_or_b32 exec_lo, exec_lo, s20
	v_lshlrev_b32_e32 v10, 16, v20
	v_lshlrev_b32_e32 v16, 20, v23
	v_lshl_add_u32 v13, v13, 23, 0x3c000000
	v_and_b32_e32 v10, 0x80000000, v10
	v_or3_b32 v13, v16, v10, v13
.LBB374_1283:                           ;   in Loop: Header=BB374_806 Depth=1
	s_or_b32 exec_lo, exec_lo, s18
.LBB374_1284:                           ;   in Loop: Header=BB374_806 Depth=1
	s_or_b32 exec_lo, exec_lo, s17
.LBB374_1285:                           ;   in Loop: Header=BB374_806 Depth=1
	s_or_b32 exec_lo, exec_lo, s16
	v_and_b32_sdwa v10, v20, v80 dst_sel:DWORD dst_unused:UNUSED_PAD src0_sel:WORD_1 src1_sel:DWORD
	v_mov_b32_e32 v25, 0
	v_mov_b32_e32 v16, 0
	s_mov_b32 s16, exec_lo
	v_cmpx_ne_u16_e32 0, v10
	s_cbranch_execz .LBB374_1293
; %bb.1286:                             ;   in Loop: Header=BB374_806 Depth=1
	v_bfrev_b32_e32 v16, 1
	s_mov_b32 s17, exec_lo
	v_cmpx_ne_u16_e32 0x80, v10
	s_cbranch_execz .LBB374_1292
; %bb.1287:                             ;   in Loop: Header=BB374_806 Depth=1
	v_bfe_u32 v23, v20, 16, 7
	v_mov_b32_e32 v16, 0x7f800001
	s_mov_b32 s18, exec_lo
	v_cmpx_ne_u32_e32 0x7f, v23
	s_cbranch_execz .LBB374_1291
; %bb.1288:                             ;   in Loop: Header=BB374_806 Depth=1
	v_mov_b32_e32 v10, 7
	v_lshrrev_b32_e32 v16, 3, v23
	v_cmp_gt_u32_e64 s4, 8, v23
	v_and_b32_sdwa v10, v20, v10 dst_sel:DWORD dst_unused:UNUSED_PAD src0_sel:WORD_1 src1_sel:DWORD
	v_mov_b32_e32 v24, v11
	v_mov_b32_e32 v23, v10
	s_and_saveexec_b32 s20, s4
; %bb.1289:                             ;   in Loop: Header=BB374_806 Depth=1
	v_ffbh_u32_e32 v16, v10
	v_min_u32_e32 v16, 32, v16
	v_subrev_nc_u32_e32 v23, 28, v16
	v_sub_nc_u32_e32 v16, 29, v16
	v_lshlrev_b64 v[23:24], v23, v[10:11]
	v_and_b32_e32 v23, 7, v23
; %bb.1290:                             ;   in Loop: Header=BB374_806 Depth=1
	s_or_b32 exec_lo, exec_lo, s20
	v_mov_b32_e32 v10, 24
	v_lshlrev_b32_e32 v23, 20, v23
	v_lshl_add_u32 v16, v16, 23, 0x3c000000
	v_lshlrev_b32_sdwa v10, v10, v20 dst_sel:DWORD dst_unused:UNUSED_PAD src0_sel:DWORD src1_sel:WORD_1
	v_and_b32_e32 v10, 0x80000000, v10
	v_or3_b32 v16, v23, v10, v16
.LBB374_1291:                           ;   in Loop: Header=BB374_806 Depth=1
	s_or_b32 exec_lo, exec_lo, s18
.LBB374_1292:                           ;   in Loop: Header=BB374_806 Depth=1
	s_or_b32 exec_lo, exec_lo, s17
.LBB374_1293:                           ;   in Loop: Header=BB374_806 Depth=1
	s_or_b32 exec_lo, exec_lo, s16
	s_mov_b32 s16, exec_lo
	v_cmpx_lt_u32_e32 0xffffff, v20
	s_cbranch_execz .LBB374_1301
; %bb.1294:                             ;   in Loop: Header=BB374_806 Depth=1
	v_cmp_ne_u32_sdwa s4, v20, v70 src0_sel:BYTE_3 src1_sel:DWORD
	v_bfrev_b32_e32 v25, 1
	s_and_saveexec_b32 s17, s4
	s_cbranch_execz .LBB374_1300
; %bb.1295:                             ;   in Loop: Header=BB374_806 Depth=1
	v_bfe_u32 v23, v20, 24, 7
	v_mov_b32_e32 v25, 0x7f800001
	s_mov_b32 s18, exec_lo
	v_cmpx_ne_u32_e32 0x7f, v23
	s_cbranch_execz .LBB374_1299
; %bb.1296:                             ;   in Loop: Header=BB374_806 Depth=1
	v_mov_b32_e32 v10, 7
	v_lshrrev_b32_e32 v25, 3, v23
	v_cmp_gt_u32_e64 s4, 8, v23
	v_and_b32_sdwa v10, v20, v10 dst_sel:DWORD dst_unused:UNUSED_PAD src0_sel:BYTE_3 src1_sel:DWORD
	v_mov_b32_e32 v24, v11
	v_mov_b32_e32 v23, v10
	s_and_saveexec_b32 s20, s4
; %bb.1297:                             ;   in Loop: Header=BB374_806 Depth=1
	v_ffbh_u32_e32 v23, v10
	v_min_u32_e32 v25, 32, v23
	v_subrev_nc_u32_e32 v23, 28, v25
	v_sub_nc_u32_e32 v25, 29, v25
	v_lshlrev_b64 v[23:24], v23, v[10:11]
	v_and_b32_e32 v23, 7, v23
; %bb.1298:                             ;   in Loop: Header=BB374_806 Depth=1
	s_or_b32 exec_lo, exec_lo, s20
	v_mov_b32_e32 v10, 24
	v_lshlrev_b32_e32 v23, 20, v23
	v_lshl_add_u32 v24, v25, 23, 0x3c000000
	v_lshlrev_b32_sdwa v10, v10, v20 dst_sel:DWORD dst_unused:UNUSED_PAD src0_sel:DWORD src1_sel:BYTE_3
	v_and_b32_e32 v10, 0x80000000, v10
	v_or3_b32 v25, v23, v10, v24
.LBB374_1299:                           ;   in Loop: Header=BB374_806 Depth=1
	s_or_b32 exec_lo, exec_lo, s18
.LBB374_1300:                           ;   in Loop: Header=BB374_806 Depth=1
	s_or_b32 exec_lo, exec_lo, s17
.LBB374_1301:                           ;   in Loop: Header=BB374_806 Depth=1
	s_or_b32 exec_lo, exec_lo, s16
	v_mov_b32_e32 v10, v21
	v_cmp_ne_u16_sdwa s4, v21, v11 src0_sel:BYTE_0 src1_sel:DWORD
	v_mov_b32_e32 v32, 0
	v_mov_b32_e32 v31, 0
	s_and_saveexec_b32 s16, s4
	s_cbranch_execz .LBB374_1309
; %bb.1302:                             ;   in Loop: Header=BB374_806 Depth=1
	v_cmp_ne_u16_sdwa s4, v21, v70 src0_sel:BYTE_0 src1_sel:DWORD
	v_bfrev_b32_e32 v31, 1
	s_and_saveexec_b32 s17, s4
	s_cbranch_execz .LBB374_1308
; %bb.1303:                             ;   in Loop: Header=BB374_806 Depth=1
	v_and_b32_e32 v23, 0x7f, v21
	v_mov_b32_e32 v31, 0x7f800001
	s_mov_b32 s18, exec_lo
	v_cmpx_ne_u32_e32 0x7f, v23
	s_cbranch_execz .LBB374_1307
; %bb.1304:                             ;   in Loop: Header=BB374_806 Depth=1
	v_lshrrev_b32_e32 v28, 3, v23
	v_cmp_gt_u32_e64 s4, 8, v23
	v_mov_b32_e32 v24, v11
	v_mov_b32_e32 v23, v10
	s_and_saveexec_b32 s20, s4
; %bb.1305:                             ;   in Loop: Header=BB374_806 Depth=1
	v_and_b32_e32 v23, 7, v21
	v_ffbh_u32_e32 v23, v23
	v_min_u32_e32 v28, 32, v23
	v_subrev_nc_u32_e32 v23, 28, v28
	v_sub_nc_u32_e32 v28, 29, v28
	v_lshlrev_b64 v[23:24], v23, v[10:11]
; %bb.1306:                             ;   in Loop: Header=BB374_806 Depth=1
	s_or_b32 exec_lo, exec_lo, s20
	v_lshlrev_b32_e32 v23, 20, v23
	v_lshlrev_b32_e32 v24, 24, v10
	v_lshl_add_u32 v28, v28, 23, 0x3c000000
	v_and_b32_e32 v23, 0x700000, v23
	v_and_b32_e32 v24, 0x80000000, v24
	v_or3_b32 v31, v23, v24, v28
.LBB374_1307:                           ;   in Loop: Header=BB374_806 Depth=1
	s_or_b32 exec_lo, exec_lo, s18
.LBB374_1308:                           ;   in Loop: Header=BB374_806 Depth=1
	s_or_b32 exec_lo, exec_lo, s17
.LBB374_1309:                           ;   in Loop: Header=BB374_806 Depth=1
	s_or_b32 exec_lo, exec_lo, s16
	v_cmp_ne_u16_sdwa s4, v10, v11 src0_sel:BYTE_1 src1_sel:DWORD
	s_and_saveexec_b32 s16, s4
	s_cbranch_execz .LBB374_1317
; %bb.1310:                             ;   in Loop: Header=BB374_806 Depth=1
	v_cmp_ne_u16_sdwa s4, v10, v70 src0_sel:BYTE_1 src1_sel:DWORD
	v_bfrev_b32_e32 v32, 1
	s_and_saveexec_b32 s17, s4
	s_cbranch_execz .LBB374_1316
; %bb.1311:                             ;   in Loop: Header=BB374_806 Depth=1
	v_mov_b32_e32 v23, 0xffff
	v_mov_b32_e32 v32, 0x7f800001
	s_mov_b32 s18, exec_lo
	v_and_b32_sdwa v23, v23, v10 dst_sel:DWORD dst_unused:UNUSED_PAD src0_sel:DWORD src1_sel:BYTE_1
	v_and_b32_e32 v29, 0x7f, v23
	v_cmpx_ne_u32_e32 0x7f, v29
	s_cbranch_execz .LBB374_1315
; %bb.1312:                             ;   in Loop: Header=BB374_806 Depth=1
	v_and_b32_e32 v23, 7, v23
	v_mov_b32_e32 v24, v11
	v_lshrrev_b32_e32 v28, 3, v29
	s_mov_b32 s20, exec_lo
	v_cmpx_gt_u32_e32 8, v29
; %bb.1313:                             ;   in Loop: Header=BB374_806 Depth=1
	v_ffbh_u32_e32 v28, v23
	v_min_u32_e32 v28, 32, v28
	v_subrev_nc_u32_e32 v29, 28, v28
	v_sub_nc_u32_e32 v28, 29, v28
	v_lshlrev_b64 v[23:24], v29, v[23:24]
	v_and_b32_e32 v23, 7, v23
; %bb.1314:                             ;   in Loop: Header=BB374_806 Depth=1
	s_or_b32 exec_lo, exec_lo, s20
	v_lshlrev_b32_e32 v10, 16, v10
	v_lshlrev_b32_e32 v23, 20, v23
	v_lshl_add_u32 v24, v28, 23, 0x3c000000
	v_and_b32_e32 v10, 0x80000000, v10
	v_or3_b32 v32, v23, v10, v24
.LBB374_1315:                           ;   in Loop: Header=BB374_806 Depth=1
	s_or_b32 exec_lo, exec_lo, s18
.LBB374_1316:                           ;   in Loop: Header=BB374_806 Depth=1
	s_or_b32 exec_lo, exec_lo, s17
.LBB374_1317:                           ;   in Loop: Header=BB374_806 Depth=1
	s_or_b32 exec_lo, exec_lo, s16
	v_and_b32_sdwa v10, v21, v80 dst_sel:DWORD dst_unused:UNUSED_PAD src0_sel:WORD_1 src1_sel:DWORD
	v_mov_b32_e32 v28, 0
	v_mov_b32_e32 v29, 0
	s_mov_b32 s16, exec_lo
	v_cmpx_ne_u16_e32 0, v10
	s_cbranch_execz .LBB374_1325
; %bb.1318:                             ;   in Loop: Header=BB374_806 Depth=1
	v_bfrev_b32_e32 v29, 1
	s_mov_b32 s17, exec_lo
	v_cmpx_ne_u16_e32 0x80, v10
	s_cbranch_execz .LBB374_1324
; %bb.1319:                             ;   in Loop: Header=BB374_806 Depth=1
	v_bfe_u32 v23, v21, 16, 7
	v_mov_b32_e32 v29, 0x7f800001
	s_mov_b32 s18, exec_lo
	v_cmpx_ne_u32_e32 0x7f, v23
	s_cbranch_execz .LBB374_1323
; %bb.1320:                             ;   in Loop: Header=BB374_806 Depth=1
	v_mov_b32_e32 v10, 7
	v_lshrrev_b32_e32 v29, 3, v23
	v_cmp_gt_u32_e64 s4, 8, v23
	v_and_b32_sdwa v10, v21, v10 dst_sel:DWORD dst_unused:UNUSED_PAD src0_sel:WORD_1 src1_sel:DWORD
	v_mov_b32_e32 v24, v11
	v_mov_b32_e32 v23, v10
	s_and_saveexec_b32 s20, s4
; %bb.1321:                             ;   in Loop: Header=BB374_806 Depth=1
	v_ffbh_u32_e32 v23, v10
	v_min_u32_e32 v29, 32, v23
	v_subrev_nc_u32_e32 v23, 28, v29
	v_sub_nc_u32_e32 v29, 29, v29
	v_lshlrev_b64 v[23:24], v23, v[10:11]
	v_and_b32_e32 v23, 7, v23
; %bb.1322:                             ;   in Loop: Header=BB374_806 Depth=1
	s_or_b32 exec_lo, exec_lo, s20
	v_mov_b32_e32 v10, 24
	v_lshlrev_b32_e32 v23, 20, v23
	v_lshl_add_u32 v24, v29, 23, 0x3c000000
	v_lshlrev_b32_sdwa v10, v10, v21 dst_sel:DWORD dst_unused:UNUSED_PAD src0_sel:DWORD src1_sel:WORD_1
	v_and_b32_e32 v10, 0x80000000, v10
	v_or3_b32 v29, v23, v10, v24
.LBB374_1323:                           ;   in Loop: Header=BB374_806 Depth=1
	s_or_b32 exec_lo, exec_lo, s18
.LBB374_1324:                           ;   in Loop: Header=BB374_806 Depth=1
	s_or_b32 exec_lo, exec_lo, s17
.LBB374_1325:                           ;   in Loop: Header=BB374_806 Depth=1
	s_or_b32 exec_lo, exec_lo, s16
	s_mov_b32 s16, exec_lo
	v_cmpx_lt_u64_e64 s[12:13], v[20:21]
	s_cbranch_execz .LBB374_1333
; %bb.1326:                             ;   in Loop: Header=BB374_806 Depth=1
	v_cmp_ne_u32_sdwa s4, v21, v70 src0_sel:BYTE_3 src1_sel:DWORD
	v_bfrev_b32_e32 v28, 1
	s_and_saveexec_b32 s17, s4
	s_cbranch_execz .LBB374_1332
; %bb.1327:                             ;   in Loop: Header=BB374_806 Depth=1
	v_bfe_u32 v23, v21, 24, 7
	v_mov_b32_e32 v28, 0x7f800001
	s_mov_b32 s18, exec_lo
	v_cmpx_ne_u32_e32 0x7f, v23
	s_cbranch_execz .LBB374_1331
; %bb.1328:                             ;   in Loop: Header=BB374_806 Depth=1
	v_mov_b32_e32 v10, 7
	v_lshrrev_b32_e32 v20, 3, v23
	v_cmp_gt_u32_e64 s4, 8, v23
	v_and_b32_sdwa v10, v21, v10 dst_sel:DWORD dst_unused:UNUSED_PAD src0_sel:BYTE_3 src1_sel:DWORD
	v_mov_b32_e32 v24, v11
	v_mov_b32_e32 v23, v10
	s_and_saveexec_b32 s20, s4
; %bb.1329:                             ;   in Loop: Header=BB374_806 Depth=1
	v_ffbh_u32_e32 v20, v10
	v_min_u32_e32 v20, 32, v20
	v_subrev_nc_u32_e32 v23, 28, v20
	v_sub_nc_u32_e32 v20, 29, v20
	v_lshlrev_b64 v[23:24], v23, v[10:11]
	v_and_b32_e32 v23, 7, v23
; %bb.1330:                             ;   in Loop: Header=BB374_806 Depth=1
	s_or_b32 exec_lo, exec_lo, s20
	v_mov_b32_e32 v10, 24
	v_lshl_add_u32 v20, v20, 23, 0x3c000000
	v_lshlrev_b32_sdwa v10, v10, v21 dst_sel:DWORD dst_unused:UNUSED_PAD src0_sel:DWORD src1_sel:BYTE_3
	v_lshlrev_b32_e32 v21, 20, v23
	v_and_b32_e32 v10, 0x80000000, v10
	v_or3_b32 v28, v21, v10, v20
.LBB374_1331:                           ;   in Loop: Header=BB374_806 Depth=1
	s_or_b32 exec_lo, exec_lo, s18
.LBB374_1332:                           ;   in Loop: Header=BB374_806 Depth=1
	s_or_b32 exec_lo, exec_lo, s17
.LBB374_1333:                           ;   in Loop: Header=BB374_806 Depth=1
	s_or_b32 exec_lo, exec_lo, s16
	v_mul_f32_e32 v10, v44, v32
	v_bfe_u32 v20, v10, 16, 1
	v_or_b32_e32 v21, 0x400000, v10
	v_cmp_u_f32_e64 s4, v10, v10
	v_add3_u32 v20, v20, v10, 0x7fff
	v_cndmask_b32_e64 v10, v20, v21, s4
	v_lshrrev_b32_e32 v111, 16, v10
	v_mul_f32_e32 v10, v44, v31
	v_bfe_u32 v20, v10, 16, 1
	v_or_b32_e32 v21, 0x400000, v10
	v_cmp_u_f32_e64 s4, v10, v10
	v_add3_u32 v20, v20, v10, 0x7fff
	v_cndmask_b32_e64 v10, v20, v21, s4
	v_lshrrev_b32_e32 v120, 16, v10
	;; [unrolled: 7-line block ×8, first 2 shown]
	s_and_saveexec_b32 s16, vcc_lo
	s_cbranch_execz .LBB374_1335
; %bb.1334:                             ;   in Loop: Header=BB374_806 Depth=1
	v_cmp_lt_i32_e64 s4, v47, v38
	v_cndmask_b32_e64 v125, 0, v125, s4
	v_cmp_lt_i32_e64 s4, v62, v38
	v_cndmask_b32_e64 v124, 0, v124, s4
	;; [unrolled: 2-line block ×8, first 2 shown]
.LBB374_1335:                           ;   in Loop: Header=BB374_806 Depth=1
	s_or_b32 exec_lo, exec_lo, s16
	v_add_co_u32 v18, s4, 0x800, v18
	v_add_co_ci_u32_e64 v19, null, 0, v19, s4
	v_mov_b32_e32 v13, 0
	v_mov_b32_e32 v12, 0
	flat_load_dwordx2 v[20:21], v[18:19]
	s_waitcnt vmcnt(0) lgkmcnt(0)
	v_cmp_ne_u16_sdwa s4, v20, v11 src0_sel:BYTE_0 src1_sel:DWORD
	s_and_saveexec_b32 s16, s4
	s_cbranch_execz .LBB374_1343
; %bb.1336:                             ;   in Loop: Header=BB374_806 Depth=1
	v_cmp_ne_u16_sdwa s4, v20, v70 src0_sel:BYTE_0 src1_sel:DWORD
	v_bfrev_b32_e32 v12, 1
	s_and_saveexec_b32 s17, s4
	s_cbranch_execz .LBB374_1342
; %bb.1337:                             ;   in Loop: Header=BB374_806 Depth=1
	v_and_b32_e32 v16, 0x7f, v20
	v_mov_b32_e32 v12, 0x7f800001
	s_mov_b32 s18, exec_lo
	v_cmpx_ne_u32_e32 0x7f, v16
	s_cbranch_execz .LBB374_1341
; %bb.1338:                             ;   in Loop: Header=BB374_806 Depth=1
	v_mov_b32_e32 v24, v21
	v_lshrrev_b32_e32 v10, 3, v16
	v_mov_b32_e32 v23, v20
	s_mov_b32 s20, exec_lo
	v_cmpx_gt_u32_e32 8, v16
; %bb.1339:                             ;   in Loop: Header=BB374_806 Depth=1
	v_and_b32_e32 v10, 7, v20
	v_ffbh_u32_e32 v10, v10
	v_min_u32_e32 v10, 32, v10
	v_subrev_nc_u32_e32 v12, 28, v10
	v_sub_nc_u32_e32 v10, 29, v10
	v_lshlrev_b64 v[23:24], v12, v[20:21]
; %bb.1340:                             ;   in Loop: Header=BB374_806 Depth=1
	s_or_b32 exec_lo, exec_lo, s20
	v_lshlrev_b32_e32 v12, 20, v23
	v_lshlrev_b32_e32 v16, 24, v20
	v_lshl_add_u32 v10, v10, 23, 0x3c000000
	v_and_b32_e32 v12, 0x700000, v12
	v_and_b32_e32 v16, 0x80000000, v16
	v_or3_b32 v12, v12, v16, v10
.LBB374_1341:                           ;   in Loop: Header=BB374_806 Depth=1
	s_or_b32 exec_lo, exec_lo, s18
.LBB374_1342:                           ;   in Loop: Header=BB374_806 Depth=1
	s_or_b32 exec_lo, exec_lo, s17
.LBB374_1343:                           ;   in Loop: Header=BB374_806 Depth=1
	s_or_b32 exec_lo, exec_lo, s16
	v_cmp_ne_u16_sdwa s4, v20, v11 src0_sel:BYTE_1 src1_sel:DWORD
	s_and_saveexec_b32 s16, s4
	s_cbranch_execz .LBB374_1351
; %bb.1344:                             ;   in Loop: Header=BB374_806 Depth=1
	v_cmp_ne_u16_sdwa s4, v20, v70 src0_sel:BYTE_1 src1_sel:DWORD
	v_bfrev_b32_e32 v13, 1
	s_and_saveexec_b32 s17, s4
	s_cbranch_execz .LBB374_1350
; %bb.1345:                             ;   in Loop: Header=BB374_806 Depth=1
	v_mov_b32_e32 v10, 0xffff
	v_mov_b32_e32 v13, 0x7f800001
	s_mov_b32 s18, exec_lo
	v_and_b32_sdwa v10, v10, v20 dst_sel:DWORD dst_unused:UNUSED_PAD src0_sel:DWORD src1_sel:BYTE_1
	v_and_b32_e32 v16, 0x7f, v10
	v_cmpx_ne_u32_e32 0x7f, v16
	s_cbranch_execz .LBB374_1349
; %bb.1346:                             ;   in Loop: Header=BB374_806 Depth=1
	v_and_b32_e32 v10, 7, v10
	v_mov_b32_e32 v24, v11
	v_lshrrev_b32_e32 v13, 3, v16
	s_mov_b32 s20, exec_lo
	v_mov_b32_e32 v23, v10
	v_cmpx_gt_u32_e32 8, v16
; %bb.1347:                             ;   in Loop: Header=BB374_806 Depth=1
	v_ffbh_u32_e32 v13, v10
	v_min_u32_e32 v13, 32, v13
	v_subrev_nc_u32_e32 v16, 28, v13
	v_sub_nc_u32_e32 v13, 29, v13
	v_lshlrev_b64 v[23:24], v16, v[10:11]
	v_and_b32_e32 v23, 7, v23
; %bb.1348:                             ;   in Loop: Header=BB374_806 Depth=1
	s_or_b32 exec_lo, exec_lo, s20
	v_lshlrev_b32_e32 v10, 16, v20
	v_lshlrev_b32_e32 v16, 20, v23
	v_lshl_add_u32 v13, v13, 23, 0x3c000000
	v_and_b32_e32 v10, 0x80000000, v10
	v_or3_b32 v13, v16, v10, v13
.LBB374_1349:                           ;   in Loop: Header=BB374_806 Depth=1
	s_or_b32 exec_lo, exec_lo, s18
.LBB374_1350:                           ;   in Loop: Header=BB374_806 Depth=1
	s_or_b32 exec_lo, exec_lo, s17
.LBB374_1351:                           ;   in Loop: Header=BB374_806 Depth=1
	s_or_b32 exec_lo, exec_lo, s16
	v_and_b32_sdwa v10, v20, v80 dst_sel:DWORD dst_unused:UNUSED_PAD src0_sel:WORD_1 src1_sel:DWORD
	v_mov_b32_e32 v25, 0
	v_mov_b32_e32 v16, 0
	s_mov_b32 s16, exec_lo
	v_cmpx_ne_u16_e32 0, v10
	s_cbranch_execz .LBB374_1359
; %bb.1352:                             ;   in Loop: Header=BB374_806 Depth=1
	v_bfrev_b32_e32 v16, 1
	s_mov_b32 s17, exec_lo
	v_cmpx_ne_u16_e32 0x80, v10
	s_cbranch_execz .LBB374_1358
; %bb.1353:                             ;   in Loop: Header=BB374_806 Depth=1
	v_bfe_u32 v23, v20, 16, 7
	v_mov_b32_e32 v16, 0x7f800001
	s_mov_b32 s18, exec_lo
	v_cmpx_ne_u32_e32 0x7f, v23
	s_cbranch_execz .LBB374_1357
; %bb.1354:                             ;   in Loop: Header=BB374_806 Depth=1
	v_mov_b32_e32 v10, 7
	v_lshrrev_b32_e32 v16, 3, v23
	v_cmp_gt_u32_e64 s4, 8, v23
	v_and_b32_sdwa v10, v20, v10 dst_sel:DWORD dst_unused:UNUSED_PAD src0_sel:WORD_1 src1_sel:DWORD
	v_mov_b32_e32 v24, v11
	v_mov_b32_e32 v23, v10
	s_and_saveexec_b32 s20, s4
; %bb.1355:                             ;   in Loop: Header=BB374_806 Depth=1
	v_ffbh_u32_e32 v16, v10
	v_min_u32_e32 v16, 32, v16
	v_subrev_nc_u32_e32 v23, 28, v16
	v_sub_nc_u32_e32 v16, 29, v16
	v_lshlrev_b64 v[23:24], v23, v[10:11]
	v_and_b32_e32 v23, 7, v23
; %bb.1356:                             ;   in Loop: Header=BB374_806 Depth=1
	s_or_b32 exec_lo, exec_lo, s20
	v_mov_b32_e32 v10, 24
	v_lshlrev_b32_e32 v23, 20, v23
	v_lshl_add_u32 v16, v16, 23, 0x3c000000
	v_lshlrev_b32_sdwa v10, v10, v20 dst_sel:DWORD dst_unused:UNUSED_PAD src0_sel:DWORD src1_sel:WORD_1
	v_and_b32_e32 v10, 0x80000000, v10
	v_or3_b32 v16, v23, v10, v16
.LBB374_1357:                           ;   in Loop: Header=BB374_806 Depth=1
	s_or_b32 exec_lo, exec_lo, s18
.LBB374_1358:                           ;   in Loop: Header=BB374_806 Depth=1
	s_or_b32 exec_lo, exec_lo, s17
.LBB374_1359:                           ;   in Loop: Header=BB374_806 Depth=1
	s_or_b32 exec_lo, exec_lo, s16
	s_mov_b32 s16, exec_lo
	v_cmpx_lt_u32_e32 0xffffff, v20
	s_cbranch_execz .LBB374_1367
; %bb.1360:                             ;   in Loop: Header=BB374_806 Depth=1
	v_cmp_ne_u32_sdwa s4, v20, v70 src0_sel:BYTE_3 src1_sel:DWORD
	v_bfrev_b32_e32 v25, 1
	s_and_saveexec_b32 s17, s4
	s_cbranch_execz .LBB374_1366
; %bb.1361:                             ;   in Loop: Header=BB374_806 Depth=1
	v_bfe_u32 v23, v20, 24, 7
	v_mov_b32_e32 v25, 0x7f800001
	s_mov_b32 s18, exec_lo
	v_cmpx_ne_u32_e32 0x7f, v23
	s_cbranch_execz .LBB374_1365
; %bb.1362:                             ;   in Loop: Header=BB374_806 Depth=1
	v_mov_b32_e32 v10, 7
	v_lshrrev_b32_e32 v25, 3, v23
	v_cmp_gt_u32_e64 s4, 8, v23
	v_and_b32_sdwa v10, v20, v10 dst_sel:DWORD dst_unused:UNUSED_PAD src0_sel:BYTE_3 src1_sel:DWORD
	v_mov_b32_e32 v24, v11
	v_mov_b32_e32 v23, v10
	s_and_saveexec_b32 s20, s4
; %bb.1363:                             ;   in Loop: Header=BB374_806 Depth=1
	v_ffbh_u32_e32 v23, v10
	v_min_u32_e32 v25, 32, v23
	v_subrev_nc_u32_e32 v23, 28, v25
	v_sub_nc_u32_e32 v25, 29, v25
	v_lshlrev_b64 v[23:24], v23, v[10:11]
	v_and_b32_e32 v23, 7, v23
; %bb.1364:                             ;   in Loop: Header=BB374_806 Depth=1
	s_or_b32 exec_lo, exec_lo, s20
	v_mov_b32_e32 v10, 24
	v_lshlrev_b32_e32 v23, 20, v23
	v_lshl_add_u32 v24, v25, 23, 0x3c000000
	v_lshlrev_b32_sdwa v10, v10, v20 dst_sel:DWORD dst_unused:UNUSED_PAD src0_sel:DWORD src1_sel:BYTE_3
	v_and_b32_e32 v10, 0x80000000, v10
	v_or3_b32 v25, v23, v10, v24
.LBB374_1365:                           ;   in Loop: Header=BB374_806 Depth=1
	s_or_b32 exec_lo, exec_lo, s18
.LBB374_1366:                           ;   in Loop: Header=BB374_806 Depth=1
	s_or_b32 exec_lo, exec_lo, s17
.LBB374_1367:                           ;   in Loop: Header=BB374_806 Depth=1
	s_or_b32 exec_lo, exec_lo, s16
	v_mov_b32_e32 v10, v21
	v_cmp_ne_u16_sdwa s4, v21, v11 src0_sel:BYTE_0 src1_sel:DWORD
	v_mov_b32_e32 v32, 0
	v_mov_b32_e32 v29, 0
	s_and_saveexec_b32 s16, s4
	s_cbranch_execz .LBB374_1375
; %bb.1368:                             ;   in Loop: Header=BB374_806 Depth=1
	v_cmp_ne_u16_sdwa s4, v21, v70 src0_sel:BYTE_0 src1_sel:DWORD
	v_bfrev_b32_e32 v29, 1
	s_and_saveexec_b32 s17, s4
	s_cbranch_execz .LBB374_1374
; %bb.1369:                             ;   in Loop: Header=BB374_806 Depth=1
	v_and_b32_e32 v23, 0x7f, v21
	v_mov_b32_e32 v29, 0x7f800001
	s_mov_b32 s18, exec_lo
	v_cmpx_ne_u32_e32 0x7f, v23
	s_cbranch_execz .LBB374_1373
; %bb.1370:                             ;   in Loop: Header=BB374_806 Depth=1
	v_lshrrev_b32_e32 v28, 3, v23
	v_cmp_gt_u32_e64 s4, 8, v23
	v_mov_b32_e32 v24, v11
	v_mov_b32_e32 v23, v10
	s_and_saveexec_b32 s20, s4
; %bb.1371:                             ;   in Loop: Header=BB374_806 Depth=1
	v_and_b32_e32 v23, 7, v21
	v_ffbh_u32_e32 v23, v23
	v_min_u32_e32 v28, 32, v23
	v_subrev_nc_u32_e32 v23, 28, v28
	v_sub_nc_u32_e32 v28, 29, v28
	v_lshlrev_b64 v[23:24], v23, v[10:11]
; %bb.1372:                             ;   in Loop: Header=BB374_806 Depth=1
	s_or_b32 exec_lo, exec_lo, s20
	v_lshlrev_b32_e32 v23, 20, v23
	v_lshlrev_b32_e32 v24, 24, v10
	v_lshl_add_u32 v28, v28, 23, 0x3c000000
	v_and_b32_e32 v23, 0x700000, v23
	v_and_b32_e32 v24, 0x80000000, v24
	v_or3_b32 v29, v23, v24, v28
.LBB374_1373:                           ;   in Loop: Header=BB374_806 Depth=1
	s_or_b32 exec_lo, exec_lo, s18
.LBB374_1374:                           ;   in Loop: Header=BB374_806 Depth=1
	s_or_b32 exec_lo, exec_lo, s17
.LBB374_1375:                           ;   in Loop: Header=BB374_806 Depth=1
	s_or_b32 exec_lo, exec_lo, s16
	v_cmp_ne_u16_sdwa s4, v10, v11 src0_sel:BYTE_1 src1_sel:DWORD
	s_and_saveexec_b32 s16, s4
	s_cbranch_execz .LBB374_1383
; %bb.1376:                             ;   in Loop: Header=BB374_806 Depth=1
	v_cmp_ne_u16_sdwa s4, v10, v70 src0_sel:BYTE_1 src1_sel:DWORD
	v_bfrev_b32_e32 v32, 1
	s_and_saveexec_b32 s17, s4
	s_cbranch_execz .LBB374_1382
; %bb.1377:                             ;   in Loop: Header=BB374_806 Depth=1
	v_mov_b32_e32 v23, 0xffff
	v_mov_b32_e32 v32, 0x7f800001
	s_mov_b32 s18, exec_lo
	v_and_b32_sdwa v23, v23, v10 dst_sel:DWORD dst_unused:UNUSED_PAD src0_sel:DWORD src1_sel:BYTE_1
	v_and_b32_e32 v31, 0x7f, v23
	v_cmpx_ne_u32_e32 0x7f, v31
	s_cbranch_execz .LBB374_1381
; %bb.1378:                             ;   in Loop: Header=BB374_806 Depth=1
	v_and_b32_e32 v23, 7, v23
	v_mov_b32_e32 v24, v11
	v_lshrrev_b32_e32 v28, 3, v31
	s_mov_b32 s20, exec_lo
	v_cmpx_gt_u32_e32 8, v31
; %bb.1379:                             ;   in Loop: Header=BB374_806 Depth=1
	v_ffbh_u32_e32 v28, v23
	v_min_u32_e32 v28, 32, v28
	v_subrev_nc_u32_e32 v31, 28, v28
	v_sub_nc_u32_e32 v28, 29, v28
	v_lshlrev_b64 v[23:24], v31, v[23:24]
	v_and_b32_e32 v23, 7, v23
; %bb.1380:                             ;   in Loop: Header=BB374_806 Depth=1
	s_or_b32 exec_lo, exec_lo, s20
	v_lshlrev_b32_e32 v10, 16, v10
	v_lshlrev_b32_e32 v23, 20, v23
	v_lshl_add_u32 v24, v28, 23, 0x3c000000
	v_and_b32_e32 v10, 0x80000000, v10
	v_or3_b32 v32, v23, v10, v24
.LBB374_1381:                           ;   in Loop: Header=BB374_806 Depth=1
	s_or_b32 exec_lo, exec_lo, s18
.LBB374_1382:                           ;   in Loop: Header=BB374_806 Depth=1
	s_or_b32 exec_lo, exec_lo, s17
.LBB374_1383:                           ;   in Loop: Header=BB374_806 Depth=1
	s_or_b32 exec_lo, exec_lo, s16
	v_and_b32_sdwa v10, v21, v80 dst_sel:DWORD dst_unused:UNUSED_PAD src0_sel:WORD_1 src1_sel:DWORD
	v_mov_b32_e32 v28, 0
	v_mov_b32_e32 v31, 0
	s_mov_b32 s16, exec_lo
	v_cmpx_ne_u16_e32 0, v10
	s_cbranch_execz .LBB374_1391
; %bb.1384:                             ;   in Loop: Header=BB374_806 Depth=1
	v_bfrev_b32_e32 v31, 1
	s_mov_b32 s17, exec_lo
	v_cmpx_ne_u16_e32 0x80, v10
	s_cbranch_execz .LBB374_1390
; %bb.1385:                             ;   in Loop: Header=BB374_806 Depth=1
	v_bfe_u32 v23, v21, 16, 7
	v_mov_b32_e32 v31, 0x7f800001
	s_mov_b32 s18, exec_lo
	v_cmpx_ne_u32_e32 0x7f, v23
	s_cbranch_execz .LBB374_1389
; %bb.1386:                             ;   in Loop: Header=BB374_806 Depth=1
	v_mov_b32_e32 v10, 7
	v_lshrrev_b32_e32 v31, 3, v23
	v_cmp_gt_u32_e64 s4, 8, v23
	v_and_b32_sdwa v10, v21, v10 dst_sel:DWORD dst_unused:UNUSED_PAD src0_sel:WORD_1 src1_sel:DWORD
	v_mov_b32_e32 v24, v11
	v_mov_b32_e32 v23, v10
	s_and_saveexec_b32 s20, s4
; %bb.1387:                             ;   in Loop: Header=BB374_806 Depth=1
	v_ffbh_u32_e32 v23, v10
	v_min_u32_e32 v31, 32, v23
	v_subrev_nc_u32_e32 v23, 28, v31
	v_sub_nc_u32_e32 v31, 29, v31
	v_lshlrev_b64 v[23:24], v23, v[10:11]
	v_and_b32_e32 v23, 7, v23
; %bb.1388:                             ;   in Loop: Header=BB374_806 Depth=1
	s_or_b32 exec_lo, exec_lo, s20
	v_mov_b32_e32 v10, 24
	v_lshlrev_b32_e32 v23, 20, v23
	v_lshl_add_u32 v24, v31, 23, 0x3c000000
	v_lshlrev_b32_sdwa v10, v10, v21 dst_sel:DWORD dst_unused:UNUSED_PAD src0_sel:DWORD src1_sel:WORD_1
	v_and_b32_e32 v10, 0x80000000, v10
	v_or3_b32 v31, v23, v10, v24
.LBB374_1389:                           ;   in Loop: Header=BB374_806 Depth=1
	s_or_b32 exec_lo, exec_lo, s18
.LBB374_1390:                           ;   in Loop: Header=BB374_806 Depth=1
	s_or_b32 exec_lo, exec_lo, s17
.LBB374_1391:                           ;   in Loop: Header=BB374_806 Depth=1
	s_or_b32 exec_lo, exec_lo, s16
	s_mov_b32 s16, exec_lo
	v_cmpx_lt_u64_e64 s[12:13], v[20:21]
	s_cbranch_execz .LBB374_1399
; %bb.1392:                             ;   in Loop: Header=BB374_806 Depth=1
	v_cmp_ne_u32_sdwa s4, v21, v70 src0_sel:BYTE_3 src1_sel:DWORD
	v_bfrev_b32_e32 v28, 1
	s_and_saveexec_b32 s17, s4
	s_cbranch_execz .LBB374_1398
; %bb.1393:                             ;   in Loop: Header=BB374_806 Depth=1
	v_bfe_u32 v23, v21, 24, 7
	v_mov_b32_e32 v28, 0x7f800001
	s_mov_b32 s18, exec_lo
	v_cmpx_ne_u32_e32 0x7f, v23
	s_cbranch_execz .LBB374_1397
; %bb.1394:                             ;   in Loop: Header=BB374_806 Depth=1
	v_mov_b32_e32 v10, 7
	v_lshrrev_b32_e32 v20, 3, v23
	v_cmp_gt_u32_e64 s4, 8, v23
	v_and_b32_sdwa v10, v21, v10 dst_sel:DWORD dst_unused:UNUSED_PAD src0_sel:BYTE_3 src1_sel:DWORD
	v_mov_b32_e32 v24, v11
	v_mov_b32_e32 v23, v10
	s_and_saveexec_b32 s20, s4
; %bb.1395:                             ;   in Loop: Header=BB374_806 Depth=1
	v_ffbh_u32_e32 v20, v10
	v_min_u32_e32 v20, 32, v20
	v_subrev_nc_u32_e32 v23, 28, v20
	v_sub_nc_u32_e32 v20, 29, v20
	v_lshlrev_b64 v[23:24], v23, v[10:11]
	v_and_b32_e32 v23, 7, v23
; %bb.1396:                             ;   in Loop: Header=BB374_806 Depth=1
	s_or_b32 exec_lo, exec_lo, s20
	v_mov_b32_e32 v10, 24
	v_lshl_add_u32 v20, v20, 23, 0x3c000000
	v_lshlrev_b32_sdwa v10, v10, v21 dst_sel:DWORD dst_unused:UNUSED_PAD src0_sel:DWORD src1_sel:BYTE_3
	v_lshlrev_b32_e32 v21, 20, v23
	v_and_b32_e32 v10, 0x80000000, v10
	v_or3_b32 v28, v21, v10, v20
.LBB374_1397:                           ;   in Loop: Header=BB374_806 Depth=1
	s_or_b32 exec_lo, exec_lo, s18
.LBB374_1398:                           ;   in Loop: Header=BB374_806 Depth=1
	s_or_b32 exec_lo, exec_lo, s17
.LBB374_1399:                           ;   in Loop: Header=BB374_806 Depth=1
	s_or_b32 exec_lo, exec_lo, s16
	v_mul_f32_e32 v10, v44, v32
	v_bfe_u32 v20, v10, 16, 1
	v_or_b32_e32 v21, 0x400000, v10
	v_cmp_u_f32_e64 s4, v10, v10
	v_add3_u32 v20, v20, v10, 0x7fff
	v_cndmask_b32_e64 v10, v20, v21, s4
	v_lshrrev_b32_e32 v127, 16, v10
	v_mul_f32_e32 v10, v44, v29
	v_bfe_u32 v20, v10, 16, 1
	v_or_b32_e32 v21, 0x400000, v10
	v_cmp_u_f32_e64 s4, v10, v10
	v_add3_u32 v20, v20, v10, 0x7fff
	v_cndmask_b32_e64 v10, v20, v21, s4
	v_lshrrev_b32_e32 v29, 16, v10
	;; [unrolled: 7-line block ×8, first 2 shown]
	s_and_saveexec_b32 s16, vcc_lo
	s_cbranch_execz .LBB374_1401
; %bb.1400:                             ;   in Loop: Header=BB374_806 Depth=1
	v_cmp_lt_i32_e64 s4, v47, v38
	v_cndmask_b32_e64 v25, 0, v25, s4
	v_cmp_lt_i32_e64 s4, v62, v38
	v_cndmask_b32_e64 v13, 0, v13, s4
	;; [unrolled: 2-line block ×8, first 2 shown]
.LBB374_1401:                           ;   in Loop: Header=BB374_806 Depth=1
	s_or_b32 exec_lo, exec_lo, s16
	flat_load_dwordx2 v[20:21], v[18:19] offset:256
	v_mov_b32_e32 v35, 0
	v_mov_b32_e32 v16, 0
	s_waitcnt vmcnt(0) lgkmcnt(0)
	v_cmp_ne_u16_sdwa s4, v20, v11 src0_sel:BYTE_0 src1_sel:DWORD
	s_and_saveexec_b32 s16, s4
	s_cbranch_execz .LBB374_1409
; %bb.1402:                             ;   in Loop: Header=BB374_806 Depth=1
	v_cmp_ne_u16_sdwa s4, v20, v70 src0_sel:BYTE_0 src1_sel:DWORD
	v_bfrev_b32_e32 v16, 1
	s_and_saveexec_b32 s17, s4
	s_cbranch_execz .LBB374_1408
; %bb.1403:                             ;   in Loop: Header=BB374_806 Depth=1
	v_and_b32_e32 v23, 0x7f, v20
	v_mov_b32_e32 v16, 0x7f800001
	s_mov_b32 s18, exec_lo
	v_cmpx_ne_u32_e32 0x7f, v23
	s_cbranch_execz .LBB374_1407
; %bb.1404:                             ;   in Loop: Header=BB374_806 Depth=1
	v_lshrrev_b32_e32 v10, 3, v23
	v_cmp_gt_u32_e64 s4, 8, v23
	v_mov_b32_e32 v24, v21
	v_mov_b32_e32 v23, v20
	s_and_saveexec_b32 s20, s4
; %bb.1405:                             ;   in Loop: Header=BB374_806 Depth=1
	v_and_b32_e32 v10, 7, v20
	v_ffbh_u32_e32 v10, v10
	v_min_u32_e32 v10, 32, v10
	v_subrev_nc_u32_e32 v16, 28, v10
	v_sub_nc_u32_e32 v10, 29, v10
	v_lshlrev_b64 v[23:24], v16, v[20:21]
; %bb.1406:                             ;   in Loop: Header=BB374_806 Depth=1
	s_or_b32 exec_lo, exec_lo, s20
	v_lshlrev_b32_e32 v16, 20, v23
	v_lshlrev_b32_e32 v23, 24, v20
	v_lshl_add_u32 v10, v10, 23, 0x3c000000
	v_and_b32_e32 v16, 0x700000, v16
	v_and_b32_e32 v23, 0x80000000, v23
	v_or3_b32 v16, v16, v23, v10
.LBB374_1407:                           ;   in Loop: Header=BB374_806 Depth=1
	s_or_b32 exec_lo, exec_lo, s18
.LBB374_1408:                           ;   in Loop: Header=BB374_806 Depth=1
	s_or_b32 exec_lo, exec_lo, s17
.LBB374_1409:                           ;   in Loop: Header=BB374_806 Depth=1
	s_or_b32 exec_lo, exec_lo, s16
	v_cmp_ne_u16_sdwa s4, v20, v11 src0_sel:BYTE_1 src1_sel:DWORD
	s_and_saveexec_b32 s16, s4
	s_cbranch_execz .LBB374_1417
; %bb.1410:                             ;   in Loop: Header=BB374_806 Depth=1
	v_cmp_ne_u16_sdwa s4, v20, v70 src0_sel:BYTE_1 src1_sel:DWORD
	v_bfrev_b32_e32 v35, 1
	s_and_saveexec_b32 s17, s4
	s_cbranch_execz .LBB374_1416
; %bb.1411:                             ;   in Loop: Header=BB374_806 Depth=1
	v_mov_b32_e32 v10, 0xffff
	v_mov_b32_e32 v35, 0x7f800001
	s_mov_b32 s18, exec_lo
	v_and_b32_sdwa v10, v10, v20 dst_sel:DWORD dst_unused:UNUSED_PAD src0_sel:DWORD src1_sel:BYTE_1
	v_and_b32_e32 v23, 0x7f, v10
	v_cmpx_ne_u32_e32 0x7f, v23
	s_cbranch_execz .LBB374_1415
; %bb.1412:                             ;   in Loop: Header=BB374_806 Depth=1
	v_and_b32_e32 v10, 7, v10
	v_lshrrev_b32_e32 v31, 3, v23
	v_cmp_gt_u32_e64 s4, 8, v23
	v_mov_b32_e32 v24, v11
	v_mov_b32_e32 v23, v10
	s_and_saveexec_b32 s20, s4
; %bb.1413:                             ;   in Loop: Header=BB374_806 Depth=1
	v_ffbh_u32_e32 v23, v10
	v_min_u32_e32 v31, 32, v23
	v_subrev_nc_u32_e32 v23, 28, v31
	v_sub_nc_u32_e32 v31, 29, v31
	v_lshlrev_b64 v[23:24], v23, v[10:11]
	v_and_b32_e32 v23, 7, v23
; %bb.1414:                             ;   in Loop: Header=BB374_806 Depth=1
	s_or_b32 exec_lo, exec_lo, s20
	v_lshlrev_b32_e32 v10, 16, v20
	v_lshlrev_b32_e32 v23, 20, v23
	v_lshl_add_u32 v24, v31, 23, 0x3c000000
	v_and_b32_e32 v10, 0x80000000, v10
	v_or3_b32 v35, v23, v10, v24
.LBB374_1415:                           ;   in Loop: Header=BB374_806 Depth=1
	s_or_b32 exec_lo, exec_lo, s18
.LBB374_1416:                           ;   in Loop: Header=BB374_806 Depth=1
	s_or_b32 exec_lo, exec_lo, s17
.LBB374_1417:                           ;   in Loop: Header=BB374_806 Depth=1
	s_or_b32 exec_lo, exec_lo, s16
	v_and_b32_sdwa v10, v20, v80 dst_sel:DWORD dst_unused:UNUSED_PAD src0_sel:WORD_1 src1_sel:DWORD
	v_mov_b32_e32 v33, 0
	v_mov_b32_e32 v34, 0
	s_mov_b32 s16, exec_lo
	v_cmpx_ne_u16_e32 0, v10
	s_cbranch_execz .LBB374_1425
; %bb.1418:                             ;   in Loop: Header=BB374_806 Depth=1
	v_bfrev_b32_e32 v34, 1
	s_mov_b32 s17, exec_lo
	v_cmpx_ne_u16_e32 0x80, v10
	s_cbranch_execz .LBB374_1424
; %bb.1419:                             ;   in Loop: Header=BB374_806 Depth=1
	v_bfe_u32 v23, v20, 16, 7
	v_mov_b32_e32 v34, 0x7f800001
	s_mov_b32 s18, exec_lo
	v_cmpx_ne_u32_e32 0x7f, v23
	s_cbranch_execz .LBB374_1423
; %bb.1420:                             ;   in Loop: Header=BB374_806 Depth=1
	v_mov_b32_e32 v10, 7
	v_lshrrev_b32_e32 v31, 3, v23
	v_cmp_gt_u32_e64 s4, 8, v23
	v_and_b32_sdwa v10, v20, v10 dst_sel:DWORD dst_unused:UNUSED_PAD src0_sel:WORD_1 src1_sel:DWORD
	v_mov_b32_e32 v24, v11
	v_mov_b32_e32 v23, v10
	s_and_saveexec_b32 s20, s4
; %bb.1421:                             ;   in Loop: Header=BB374_806 Depth=1
	v_ffbh_u32_e32 v23, v10
	v_min_u32_e32 v31, 32, v23
	v_subrev_nc_u32_e32 v23, 28, v31
	v_sub_nc_u32_e32 v31, 29, v31
	v_lshlrev_b64 v[23:24], v23, v[10:11]
	v_and_b32_e32 v23, 7, v23
; %bb.1422:                             ;   in Loop: Header=BB374_806 Depth=1
	s_or_b32 exec_lo, exec_lo, s20
	v_mov_b32_e32 v10, 24
	v_lshlrev_b32_e32 v23, 20, v23
	v_lshl_add_u32 v24, v31, 23, 0x3c000000
	v_lshlrev_b32_sdwa v10, v10, v20 dst_sel:DWORD dst_unused:UNUSED_PAD src0_sel:DWORD src1_sel:WORD_1
	v_and_b32_e32 v10, 0x80000000, v10
	v_or3_b32 v34, v23, v10, v24
.LBB374_1423:                           ;   in Loop: Header=BB374_806 Depth=1
	s_or_b32 exec_lo, exec_lo, s18
.LBB374_1424:                           ;   in Loop: Header=BB374_806 Depth=1
	s_or_b32 exec_lo, exec_lo, s17
.LBB374_1425:                           ;   in Loop: Header=BB374_806 Depth=1
	s_or_b32 exec_lo, exec_lo, s16
	s_mov_b32 s16, exec_lo
	v_cmpx_lt_u32_e32 0xffffff, v20
	s_cbranch_execz .LBB374_1433
; %bb.1426:                             ;   in Loop: Header=BB374_806 Depth=1
	v_cmp_ne_u32_sdwa s4, v20, v70 src0_sel:BYTE_3 src1_sel:DWORD
	v_bfrev_b32_e32 v33, 1
	s_and_saveexec_b32 s17, s4
	s_cbranch_execz .LBB374_1432
; %bb.1427:                             ;   in Loop: Header=BB374_806 Depth=1
	v_bfe_u32 v23, v20, 24, 7
	v_mov_b32_e32 v33, 0x7f800001
	s_mov_b32 s18, exec_lo
	v_cmpx_ne_u32_e32 0x7f, v23
	s_cbranch_execz .LBB374_1431
; %bb.1428:                             ;   in Loop: Header=BB374_806 Depth=1
	v_mov_b32_e32 v10, 7
	v_lshrrev_b32_e32 v31, 3, v23
	v_cmp_gt_u32_e64 s4, 8, v23
	v_and_b32_sdwa v10, v20, v10 dst_sel:DWORD dst_unused:UNUSED_PAD src0_sel:BYTE_3 src1_sel:DWORD
	v_mov_b32_e32 v24, v11
	v_mov_b32_e32 v23, v10
	s_and_saveexec_b32 s20, s4
; %bb.1429:                             ;   in Loop: Header=BB374_806 Depth=1
	v_ffbh_u32_e32 v23, v10
	v_min_u32_e32 v31, 32, v23
	v_subrev_nc_u32_e32 v23, 28, v31
	v_sub_nc_u32_e32 v31, 29, v31
	v_lshlrev_b64 v[23:24], v23, v[10:11]
	v_and_b32_e32 v23, 7, v23
; %bb.1430:                             ;   in Loop: Header=BB374_806 Depth=1
	s_or_b32 exec_lo, exec_lo, s20
	v_mov_b32_e32 v10, 24
	v_lshlrev_b32_e32 v23, 20, v23
	v_lshl_add_u32 v24, v31, 23, 0x3c000000
	v_lshlrev_b32_sdwa v10, v10, v20 dst_sel:DWORD dst_unused:UNUSED_PAD src0_sel:DWORD src1_sel:BYTE_3
	v_and_b32_e32 v10, 0x80000000, v10
	v_or3_b32 v33, v23, v10, v24
.LBB374_1431:                           ;   in Loop: Header=BB374_806 Depth=1
	s_or_b32 exec_lo, exec_lo, s18
.LBB374_1432:                           ;   in Loop: Header=BB374_806 Depth=1
	s_or_b32 exec_lo, exec_lo, s17
.LBB374_1433:                           ;   in Loop: Header=BB374_806 Depth=1
	s_or_b32 exec_lo, exec_lo, s16
	v_mov_b32_e32 v10, v21
	v_cmp_ne_u16_sdwa s4, v21, v11 src0_sel:BYTE_0 src1_sel:DWORD
	v_mov_b32_e32 v31, 0
	v_mov_b32_e32 v32, 0
	s_and_saveexec_b32 s16, s4
	s_cbranch_execz .LBB374_1441
; %bb.1434:                             ;   in Loop: Header=BB374_806 Depth=1
	v_cmp_ne_u16_sdwa s4, v21, v70 src0_sel:BYTE_0 src1_sel:DWORD
	v_bfrev_b32_e32 v32, 1
	s_and_saveexec_b32 s17, s4
	s_cbranch_execz .LBB374_1440
; %bb.1435:                             ;   in Loop: Header=BB374_806 Depth=1
	v_and_b32_e32 v23, 0x7f, v21
	v_mov_b32_e32 v32, 0x7f800001
	s_mov_b32 s18, exec_lo
	v_cmpx_ne_u32_e32 0x7f, v23
	s_cbranch_execz .LBB374_1439
; %bb.1436:                             ;   in Loop: Header=BB374_806 Depth=1
	v_lshrrev_b32_e32 v32, 3, v23
	v_cmp_gt_u32_e64 s4, 8, v23
	v_mov_b32_e32 v24, v11
	v_mov_b32_e32 v23, v10
	s_and_saveexec_b32 s20, s4
; %bb.1437:                             ;   in Loop: Header=BB374_806 Depth=1
	v_and_b32_e32 v23, 7, v21
	v_ffbh_u32_e32 v23, v23
	v_min_u32_e32 v32, 32, v23
	v_subrev_nc_u32_e32 v23, 28, v32
	v_sub_nc_u32_e32 v32, 29, v32
	v_lshlrev_b64 v[23:24], v23, v[10:11]
; %bb.1438:                             ;   in Loop: Header=BB374_806 Depth=1
	s_or_b32 exec_lo, exec_lo, s20
	v_lshlrev_b32_e32 v23, 20, v23
	v_lshlrev_b32_e32 v24, 24, v10
	v_lshl_add_u32 v32, v32, 23, 0x3c000000
	v_and_b32_e32 v23, 0x700000, v23
	v_and_b32_e32 v24, 0x80000000, v24
	v_or3_b32 v32, v23, v24, v32
.LBB374_1439:                           ;   in Loop: Header=BB374_806 Depth=1
	s_or_b32 exec_lo, exec_lo, s18
.LBB374_1440:                           ;   in Loop: Header=BB374_806 Depth=1
	s_or_b32 exec_lo, exec_lo, s17
.LBB374_1441:                           ;   in Loop: Header=BB374_806 Depth=1
	s_or_b32 exec_lo, exec_lo, s16
	v_cmp_ne_u16_sdwa s4, v10, v11 src0_sel:BYTE_1 src1_sel:DWORD
	s_and_saveexec_b32 s16, s4
	s_cbranch_execz .LBB374_1449
; %bb.1442:                             ;   in Loop: Header=BB374_806 Depth=1
	v_cmp_ne_u16_sdwa s4, v10, v70 src0_sel:BYTE_1 src1_sel:DWORD
	v_bfrev_b32_e32 v31, 1
	s_and_saveexec_b32 s17, s4
	s_cbranch_execz .LBB374_1448
; %bb.1443:                             ;   in Loop: Header=BB374_806 Depth=1
	v_mov_b32_e32 v23, 0xffff
	v_mov_b32_e32 v31, 0x7f800001
	s_mov_b32 s18, exec_lo
	v_and_b32_sdwa v23, v23, v10 dst_sel:DWORD dst_unused:UNUSED_PAD src0_sel:DWORD src1_sel:BYTE_1
	v_and_b32_e32 v36, 0x7f, v23
	v_cmpx_ne_u32_e32 0x7f, v36
	s_cbranch_execz .LBB374_1447
; %bb.1444:                             ;   in Loop: Header=BB374_806 Depth=1
	v_and_b32_e32 v23, 7, v23
	v_mov_b32_e32 v24, v11
	v_lshrrev_b32_e32 v31, 3, v36
	s_mov_b32 s20, exec_lo
	v_cmpx_gt_u32_e32 8, v36
; %bb.1445:                             ;   in Loop: Header=BB374_806 Depth=1
	v_ffbh_u32_e32 v31, v23
	v_min_u32_e32 v31, 32, v31
	v_subrev_nc_u32_e32 v36, 28, v31
	v_sub_nc_u32_e32 v31, 29, v31
	v_lshlrev_b64 v[23:24], v36, v[23:24]
	v_and_b32_e32 v23, 7, v23
; %bb.1446:                             ;   in Loop: Header=BB374_806 Depth=1
	s_or_b32 exec_lo, exec_lo, s20
	v_lshlrev_b32_e32 v10, 16, v10
	v_lshlrev_b32_e32 v23, 20, v23
	v_lshl_add_u32 v24, v31, 23, 0x3c000000
	v_and_b32_e32 v10, 0x80000000, v10
	v_or3_b32 v31, v23, v10, v24
.LBB374_1447:                           ;   in Loop: Header=BB374_806 Depth=1
	s_or_b32 exec_lo, exec_lo, s18
.LBB374_1448:                           ;   in Loop: Header=BB374_806 Depth=1
	s_or_b32 exec_lo, exec_lo, s17
.LBB374_1449:                           ;   in Loop: Header=BB374_806 Depth=1
	s_or_b32 exec_lo, exec_lo, s16
	v_and_b32_sdwa v10, v21, v80 dst_sel:DWORD dst_unused:UNUSED_PAD src0_sel:WORD_1 src1_sel:DWORD
	v_mov_b32_e32 v50, 0
	v_mov_b32_e32 v51, 0
	s_mov_b32 s16, exec_lo
	v_cmpx_ne_u16_e32 0, v10
	s_cbranch_execz .LBB374_1457
; %bb.1450:                             ;   in Loop: Header=BB374_806 Depth=1
	v_bfrev_b32_e32 v51, 1
	s_mov_b32 s17, exec_lo
	v_cmpx_ne_u16_e32 0x80, v10
	s_cbranch_execz .LBB374_1456
; %bb.1451:                             ;   in Loop: Header=BB374_806 Depth=1
	v_bfe_u32 v23, v21, 16, 7
	v_mov_b32_e32 v51, 0x7f800001
	s_mov_b32 s18, exec_lo
	v_cmpx_ne_u32_e32 0x7f, v23
	s_cbranch_execz .LBB374_1455
; %bb.1452:                             ;   in Loop: Header=BB374_806 Depth=1
	v_mov_b32_e32 v10, 7
	v_lshrrev_b32_e32 v36, 3, v23
	v_cmp_gt_u32_e64 s4, 8, v23
	v_and_b32_sdwa v10, v21, v10 dst_sel:DWORD dst_unused:UNUSED_PAD src0_sel:WORD_1 src1_sel:DWORD
	v_mov_b32_e32 v24, v11
	v_mov_b32_e32 v23, v10
	s_and_saveexec_b32 s20, s4
; %bb.1453:                             ;   in Loop: Header=BB374_806 Depth=1
	v_ffbh_u32_e32 v23, v10
	v_min_u32_e32 v36, 32, v23
	v_subrev_nc_u32_e32 v23, 28, v36
	v_sub_nc_u32_e32 v36, 29, v36
	v_lshlrev_b64 v[23:24], v23, v[10:11]
	v_and_b32_e32 v23, 7, v23
; %bb.1454:                             ;   in Loop: Header=BB374_806 Depth=1
	s_or_b32 exec_lo, exec_lo, s20
	v_mov_b32_e32 v10, 24
	v_lshlrev_b32_e32 v23, 20, v23
	v_lshl_add_u32 v24, v36, 23, 0x3c000000
	v_lshlrev_b32_sdwa v10, v10, v21 dst_sel:DWORD dst_unused:UNUSED_PAD src0_sel:DWORD src1_sel:WORD_1
	v_and_b32_e32 v10, 0x80000000, v10
	v_or3_b32 v51, v23, v10, v24
.LBB374_1455:                           ;   in Loop: Header=BB374_806 Depth=1
	s_or_b32 exec_lo, exec_lo, s18
.LBB374_1456:                           ;   in Loop: Header=BB374_806 Depth=1
	s_or_b32 exec_lo, exec_lo, s17
.LBB374_1457:                           ;   in Loop: Header=BB374_806 Depth=1
	s_or_b32 exec_lo, exec_lo, s16
	s_mov_b32 s16, exec_lo
	v_cmpx_lt_u64_e64 s[12:13], v[20:21]
	s_cbranch_execz .LBB374_1465
; %bb.1458:                             ;   in Loop: Header=BB374_806 Depth=1
	v_cmp_ne_u32_sdwa s4, v21, v70 src0_sel:BYTE_3 src1_sel:DWORD
	v_bfrev_b32_e32 v50, 1
	s_and_saveexec_b32 s17, s4
	s_cbranch_execz .LBB374_1464
; %bb.1459:                             ;   in Loop: Header=BB374_806 Depth=1
	v_bfe_u32 v23, v21, 24, 7
	v_mov_b32_e32 v50, 0x7f800001
	s_mov_b32 s18, exec_lo
	v_cmpx_ne_u32_e32 0x7f, v23
	s_cbranch_execz .LBB374_1463
; %bb.1460:                             ;   in Loop: Header=BB374_806 Depth=1
	v_mov_b32_e32 v10, 7
	v_lshrrev_b32_e32 v20, 3, v23
	v_cmp_gt_u32_e64 s4, 8, v23
	v_and_b32_sdwa v10, v21, v10 dst_sel:DWORD dst_unused:UNUSED_PAD src0_sel:BYTE_3 src1_sel:DWORD
	v_mov_b32_e32 v24, v11
	v_mov_b32_e32 v23, v10
	s_and_saveexec_b32 s20, s4
; %bb.1461:                             ;   in Loop: Header=BB374_806 Depth=1
	v_ffbh_u32_e32 v20, v10
	v_min_u32_e32 v20, 32, v20
	v_subrev_nc_u32_e32 v23, 28, v20
	v_sub_nc_u32_e32 v20, 29, v20
	v_lshlrev_b64 v[23:24], v23, v[10:11]
	v_and_b32_e32 v23, 7, v23
; %bb.1462:                             ;   in Loop: Header=BB374_806 Depth=1
	s_or_b32 exec_lo, exec_lo, s20
	v_mov_b32_e32 v10, 24
	v_lshl_add_u32 v20, v20, 23, 0x3c000000
	v_lshlrev_b32_sdwa v10, v10, v21 dst_sel:DWORD dst_unused:UNUSED_PAD src0_sel:DWORD src1_sel:BYTE_3
	v_lshlrev_b32_e32 v21, 20, v23
	v_and_b32_e32 v10, 0x80000000, v10
	v_or3_b32 v50, v21, v10, v20
.LBB374_1463:                           ;   in Loop: Header=BB374_806 Depth=1
	s_or_b32 exec_lo, exec_lo, s18
.LBB374_1464:                           ;   in Loop: Header=BB374_806 Depth=1
	s_or_b32 exec_lo, exec_lo, s17
.LBB374_1465:                           ;   in Loop: Header=BB374_806 Depth=1
	s_or_b32 exec_lo, exec_lo, s16
	v_mul_f32_e32 v10, v44, v31
	v_bfe_u32 v20, v10, 16, 1
	v_or_b32_e32 v21, 0x400000, v10
	v_cmp_u_f32_e64 s4, v10, v10
	v_add3_u32 v20, v20, v10, 0x7fff
	v_cndmask_b32_e64 v10, v20, v21, s4
	v_lshrrev_b32_e32 v31, 16, v10
	v_mul_f32_e32 v10, v44, v32
	v_bfe_u32 v20, v10, 16, 1
	v_or_b32_e32 v21, 0x400000, v10
	v_cmp_u_f32_e64 s4, v10, v10
	v_add3_u32 v20, v20, v10, 0x7fff
	v_cndmask_b32_e64 v10, v20, v21, s4
	v_lshrrev_b32_e32 v32, 16, v10
	;; [unrolled: 7-line block ×8, first 2 shown]
	s_and_saveexec_b32 s16, vcc_lo
	s_cbranch_execz .LBB374_1467
; %bb.1466:                             ;   in Loop: Header=BB374_806 Depth=1
	v_cmp_lt_i32_e64 s4, v47, v38
	v_cndmask_b32_e64 v55, 0, v55, s4
	v_cmp_lt_i32_e64 s4, v62, v38
	v_cndmask_b32_e64 v36, 0, v36, s4
	;; [unrolled: 2-line block ×8, first 2 shown]
.LBB374_1467:                           ;   in Loop: Header=BB374_806 Depth=1
	s_or_b32 exec_lo, exec_lo, s16
	flat_load_dwordx2 v[20:21], v[18:19] offset:512
	v_mov_b32_e32 v50, 0
	v_mov_b32_e32 v16, 0
	s_waitcnt vmcnt(0) lgkmcnt(0)
	v_cmp_ne_u16_sdwa s4, v20, v11 src0_sel:BYTE_0 src1_sel:DWORD
	s_and_saveexec_b32 s16, s4
	s_cbranch_execz .LBB374_1475
; %bb.1468:                             ;   in Loop: Header=BB374_806 Depth=1
	v_cmp_ne_u16_sdwa s4, v20, v70 src0_sel:BYTE_0 src1_sel:DWORD
	v_bfrev_b32_e32 v16, 1
	s_and_saveexec_b32 s17, s4
	s_cbranch_execz .LBB374_1474
; %bb.1469:                             ;   in Loop: Header=BB374_806 Depth=1
	v_and_b32_e32 v23, 0x7f, v20
	v_mov_b32_e32 v16, 0x7f800001
	s_mov_b32 s18, exec_lo
	v_cmpx_ne_u32_e32 0x7f, v23
	s_cbranch_execz .LBB374_1473
; %bb.1470:                             ;   in Loop: Header=BB374_806 Depth=1
	v_lshrrev_b32_e32 v10, 3, v23
	v_cmp_gt_u32_e64 s4, 8, v23
	v_mov_b32_e32 v24, v21
	v_mov_b32_e32 v23, v20
	s_and_saveexec_b32 s20, s4
; %bb.1471:                             ;   in Loop: Header=BB374_806 Depth=1
	v_and_b32_e32 v10, 7, v20
	v_ffbh_u32_e32 v10, v10
	v_min_u32_e32 v10, 32, v10
	v_subrev_nc_u32_e32 v16, 28, v10
	v_sub_nc_u32_e32 v10, 29, v10
	v_lshlrev_b64 v[23:24], v16, v[20:21]
; %bb.1472:                             ;   in Loop: Header=BB374_806 Depth=1
	s_or_b32 exec_lo, exec_lo, s20
	v_lshlrev_b32_e32 v16, 20, v23
	v_lshlrev_b32_e32 v23, 24, v20
	v_lshl_add_u32 v10, v10, 23, 0x3c000000
	v_and_b32_e32 v16, 0x700000, v16
	v_and_b32_e32 v23, 0x80000000, v23
	v_or3_b32 v16, v16, v23, v10
.LBB374_1473:                           ;   in Loop: Header=BB374_806 Depth=1
	s_or_b32 exec_lo, exec_lo, s18
.LBB374_1474:                           ;   in Loop: Header=BB374_806 Depth=1
	s_or_b32 exec_lo, exec_lo, s17
.LBB374_1475:                           ;   in Loop: Header=BB374_806 Depth=1
	s_or_b32 exec_lo, exec_lo, s16
	v_cmp_ne_u16_sdwa s4, v20, v11 src0_sel:BYTE_1 src1_sel:DWORD
	s_and_saveexec_b32 s16, s4
	s_cbranch_execz .LBB374_1483
; %bb.1476:                             ;   in Loop: Header=BB374_806 Depth=1
	v_cmp_ne_u16_sdwa s4, v20, v70 src0_sel:BYTE_1 src1_sel:DWORD
	v_bfrev_b32_e32 v50, 1
	s_and_saveexec_b32 s17, s4
	s_cbranch_execz .LBB374_1482
; %bb.1477:                             ;   in Loop: Header=BB374_806 Depth=1
	v_mov_b32_e32 v10, 0xffff
	v_mov_b32_e32 v50, 0x7f800001
	s_mov_b32 s18, exec_lo
	v_and_b32_sdwa v10, v10, v20 dst_sel:DWORD dst_unused:UNUSED_PAD src0_sel:DWORD src1_sel:BYTE_1
	v_and_b32_e32 v23, 0x7f, v10
	v_cmpx_ne_u32_e32 0x7f, v23
	s_cbranch_execz .LBB374_1481
; %bb.1478:                             ;   in Loop: Header=BB374_806 Depth=1
	v_and_b32_e32 v10, 7, v10
	v_lshrrev_b32_e32 v50, 3, v23
	v_cmp_gt_u32_e64 s4, 8, v23
	v_mov_b32_e32 v24, v11
	v_mov_b32_e32 v23, v10
	s_and_saveexec_b32 s20, s4
; %bb.1479:                             ;   in Loop: Header=BB374_806 Depth=1
	v_ffbh_u32_e32 v23, v10
	v_min_u32_e32 v50, 32, v23
	v_subrev_nc_u32_e32 v23, 28, v50
	v_sub_nc_u32_e32 v50, 29, v50
	v_lshlrev_b64 v[23:24], v23, v[10:11]
	v_and_b32_e32 v23, 7, v23
; %bb.1480:                             ;   in Loop: Header=BB374_806 Depth=1
	s_or_b32 exec_lo, exec_lo, s20
	v_lshlrev_b32_e32 v10, 16, v20
	v_lshlrev_b32_e32 v23, 20, v23
	v_lshl_add_u32 v24, v50, 23, 0x3c000000
	v_and_b32_e32 v10, 0x80000000, v10
	v_or3_b32 v50, v23, v10, v24
.LBB374_1481:                           ;   in Loop: Header=BB374_806 Depth=1
	s_or_b32 exec_lo, exec_lo, s18
.LBB374_1482:                           ;   in Loop: Header=BB374_806 Depth=1
	s_or_b32 exec_lo, exec_lo, s17
.LBB374_1483:                           ;   in Loop: Header=BB374_806 Depth=1
	s_or_b32 exec_lo, exec_lo, s16
	v_and_b32_sdwa v10, v20, v80 dst_sel:DWORD dst_unused:UNUSED_PAD src0_sel:WORD_1 src1_sel:DWORD
	v_mov_b32_e32 v54, 0
	v_mov_b32_e32 v51, 0
	s_mov_b32 s16, exec_lo
	v_cmpx_ne_u16_e32 0, v10
	s_cbranch_execz .LBB374_1491
; %bb.1484:                             ;   in Loop: Header=BB374_806 Depth=1
	v_bfrev_b32_e32 v51, 1
	s_mov_b32 s17, exec_lo
	v_cmpx_ne_u16_e32 0x80, v10
	s_cbranch_execz .LBB374_1490
; %bb.1485:                             ;   in Loop: Header=BB374_806 Depth=1
	v_bfe_u32 v23, v20, 16, 7
	v_mov_b32_e32 v51, 0x7f800001
	s_mov_b32 s18, exec_lo
	v_cmpx_ne_u32_e32 0x7f, v23
	s_cbranch_execz .LBB374_1489
; %bb.1486:                             ;   in Loop: Header=BB374_806 Depth=1
	v_mov_b32_e32 v10, 7
	v_lshrrev_b32_e32 v51, 3, v23
	v_cmp_gt_u32_e64 s4, 8, v23
	v_and_b32_sdwa v10, v20, v10 dst_sel:DWORD dst_unused:UNUSED_PAD src0_sel:WORD_1 src1_sel:DWORD
	v_mov_b32_e32 v24, v11
	v_mov_b32_e32 v23, v10
	s_and_saveexec_b32 s20, s4
; %bb.1487:                             ;   in Loop: Header=BB374_806 Depth=1
	v_ffbh_u32_e32 v23, v10
	v_min_u32_e32 v51, 32, v23
	v_subrev_nc_u32_e32 v23, 28, v51
	v_sub_nc_u32_e32 v51, 29, v51
	v_lshlrev_b64 v[23:24], v23, v[10:11]
	v_and_b32_e32 v23, 7, v23
; %bb.1488:                             ;   in Loop: Header=BB374_806 Depth=1
	s_or_b32 exec_lo, exec_lo, s20
	v_mov_b32_e32 v10, 24
	v_lshlrev_b32_e32 v23, 20, v23
	v_lshl_add_u32 v24, v51, 23, 0x3c000000
	v_lshlrev_b32_sdwa v10, v10, v20 dst_sel:DWORD dst_unused:UNUSED_PAD src0_sel:DWORD src1_sel:WORD_1
	v_and_b32_e32 v10, 0x80000000, v10
	v_or3_b32 v51, v23, v10, v24
.LBB374_1489:                           ;   in Loop: Header=BB374_806 Depth=1
	s_or_b32 exec_lo, exec_lo, s18
.LBB374_1490:                           ;   in Loop: Header=BB374_806 Depth=1
	s_or_b32 exec_lo, exec_lo, s17
.LBB374_1491:                           ;   in Loop: Header=BB374_806 Depth=1
	s_or_b32 exec_lo, exec_lo, s16
	s_mov_b32 s16, exec_lo
	v_cmpx_lt_u32_e32 0xffffff, v20
	s_cbranch_execz .LBB374_1499
; %bb.1492:                             ;   in Loop: Header=BB374_806 Depth=1
	v_cmp_ne_u32_sdwa s4, v20, v70 src0_sel:BYTE_3 src1_sel:DWORD
	v_bfrev_b32_e32 v54, 1
	s_and_saveexec_b32 s17, s4
	s_cbranch_execz .LBB374_1498
; %bb.1493:                             ;   in Loop: Header=BB374_806 Depth=1
	v_bfe_u32 v23, v20, 24, 7
	v_mov_b32_e32 v54, 0x7f800001
	s_mov_b32 s18, exec_lo
	v_cmpx_ne_u32_e32 0x7f, v23
	s_cbranch_execz .LBB374_1497
; %bb.1494:                             ;   in Loop: Header=BB374_806 Depth=1
	v_mov_b32_e32 v10, 7
	v_lshrrev_b32_e32 v53, 3, v23
	v_cmp_gt_u32_e64 s4, 8, v23
	v_and_b32_sdwa v10, v20, v10 dst_sel:DWORD dst_unused:UNUSED_PAD src0_sel:BYTE_3 src1_sel:DWORD
	v_mov_b32_e32 v24, v11
	v_mov_b32_e32 v23, v10
	s_and_saveexec_b32 s20, s4
; %bb.1495:                             ;   in Loop: Header=BB374_806 Depth=1
	v_ffbh_u32_e32 v23, v10
	v_min_u32_e32 v53, 32, v23
	v_subrev_nc_u32_e32 v23, 28, v53
	v_sub_nc_u32_e32 v53, 29, v53
	v_lshlrev_b64 v[23:24], v23, v[10:11]
	v_and_b32_e32 v23, 7, v23
; %bb.1496:                             ;   in Loop: Header=BB374_806 Depth=1
	s_or_b32 exec_lo, exec_lo, s20
	v_mov_b32_e32 v10, 24
	v_lshlrev_b32_e32 v23, 20, v23
	v_lshl_add_u32 v24, v53, 23, 0x3c000000
	v_lshlrev_b32_sdwa v10, v10, v20 dst_sel:DWORD dst_unused:UNUSED_PAD src0_sel:DWORD src1_sel:BYTE_3
	v_and_b32_e32 v10, 0x80000000, v10
	v_or3_b32 v54, v23, v10, v24
.LBB374_1497:                           ;   in Loop: Header=BB374_806 Depth=1
	s_or_b32 exec_lo, exec_lo, s18
.LBB374_1498:                           ;   in Loop: Header=BB374_806 Depth=1
	s_or_b32 exec_lo, exec_lo, s17
.LBB374_1499:                           ;   in Loop: Header=BB374_806 Depth=1
	s_or_b32 exec_lo, exec_lo, s16
	v_mov_b32_e32 v10, v21
	v_cmp_ne_u16_sdwa s4, v21, v11 src0_sel:BYTE_0 src1_sel:DWORD
	v_mov_b32_e32 v65, 0
	v_mov_b32_e32 v66, 0
	s_and_saveexec_b32 s16, s4
	s_cbranch_execz .LBB374_1507
; %bb.1500:                             ;   in Loop: Header=BB374_806 Depth=1
	v_cmp_ne_u16_sdwa s4, v21, v70 src0_sel:BYTE_0 src1_sel:DWORD
	v_bfrev_b32_e32 v66, 1
	s_and_saveexec_b32 s17, s4
	s_cbranch_execz .LBB374_1506
; %bb.1501:                             ;   in Loop: Header=BB374_806 Depth=1
	v_and_b32_e32 v23, 0x7f, v21
	v_mov_b32_e32 v66, 0x7f800001
	s_mov_b32 s18, exec_lo
	v_cmpx_ne_u32_e32 0x7f, v23
	s_cbranch_execz .LBB374_1505
; %bb.1502:                             ;   in Loop: Header=BB374_806 Depth=1
	v_lshrrev_b32_e32 v53, 3, v23
	v_cmp_gt_u32_e64 s4, 8, v23
	v_mov_b32_e32 v24, v11
	v_mov_b32_e32 v23, v10
	s_and_saveexec_b32 s20, s4
; %bb.1503:                             ;   in Loop: Header=BB374_806 Depth=1
	v_and_b32_e32 v23, 7, v21
	v_ffbh_u32_e32 v23, v23
	v_min_u32_e32 v53, 32, v23
	v_subrev_nc_u32_e32 v23, 28, v53
	v_sub_nc_u32_e32 v53, 29, v53
	v_lshlrev_b64 v[23:24], v23, v[10:11]
; %bb.1504:                             ;   in Loop: Header=BB374_806 Depth=1
	s_or_b32 exec_lo, exec_lo, s20
	v_lshlrev_b32_e32 v23, 20, v23
	v_lshlrev_b32_e32 v24, 24, v10
	v_lshl_add_u32 v53, v53, 23, 0x3c000000
	v_and_b32_e32 v23, 0x700000, v23
	v_and_b32_e32 v24, 0x80000000, v24
	v_or3_b32 v66, v23, v24, v53
.LBB374_1505:                           ;   in Loop: Header=BB374_806 Depth=1
	s_or_b32 exec_lo, exec_lo, s18
.LBB374_1506:                           ;   in Loop: Header=BB374_806 Depth=1
	s_or_b32 exec_lo, exec_lo, s17
.LBB374_1507:                           ;   in Loop: Header=BB374_806 Depth=1
	s_or_b32 exec_lo, exec_lo, s16
	v_cmp_ne_u16_sdwa s4, v10, v11 src0_sel:BYTE_1 src1_sel:DWORD
	s_and_saveexec_b32 s16, s4
	s_cbranch_execz .LBB374_1515
; %bb.1508:                             ;   in Loop: Header=BB374_806 Depth=1
	v_cmp_ne_u16_sdwa s4, v10, v70 src0_sel:BYTE_1 src1_sel:DWORD
	v_bfrev_b32_e32 v65, 1
	s_and_saveexec_b32 s17, s4
	s_cbranch_execz .LBB374_1514
; %bb.1509:                             ;   in Loop: Header=BB374_806 Depth=1
	v_mov_b32_e32 v23, 0xffff
	v_mov_b32_e32 v65, 0x7f800001
	s_mov_b32 s18, exec_lo
	v_and_b32_sdwa v23, v23, v10 dst_sel:DWORD dst_unused:UNUSED_PAD src0_sel:DWORD src1_sel:BYTE_1
	v_and_b32_e32 v67, 0x7f, v23
	v_cmpx_ne_u32_e32 0x7f, v67
	s_cbranch_execz .LBB374_1513
; %bb.1510:                             ;   in Loop: Header=BB374_806 Depth=1
	v_and_b32_e32 v23, 7, v23
	v_mov_b32_e32 v24, v11
	v_lshrrev_b32_e32 v53, 3, v67
	s_mov_b32 s20, exec_lo
	v_cmpx_gt_u32_e32 8, v67
; %bb.1511:                             ;   in Loop: Header=BB374_806 Depth=1
	v_ffbh_u32_e32 v53, v23
	v_min_u32_e32 v53, 32, v53
	v_subrev_nc_u32_e32 v65, 28, v53
	v_sub_nc_u32_e32 v53, 29, v53
	v_lshlrev_b64 v[23:24], v65, v[23:24]
	v_and_b32_e32 v23, 7, v23
; %bb.1512:                             ;   in Loop: Header=BB374_806 Depth=1
	s_or_b32 exec_lo, exec_lo, s20
	v_lshlrev_b32_e32 v10, 16, v10
	v_lshlrev_b32_e32 v23, 20, v23
	v_lshl_add_u32 v24, v53, 23, 0x3c000000
	v_and_b32_e32 v10, 0x80000000, v10
	v_or3_b32 v65, v23, v10, v24
.LBB374_1513:                           ;   in Loop: Header=BB374_806 Depth=1
	s_or_b32 exec_lo, exec_lo, s18
.LBB374_1514:                           ;   in Loop: Header=BB374_806 Depth=1
	s_or_b32 exec_lo, exec_lo, s17
.LBB374_1515:                           ;   in Loop: Header=BB374_806 Depth=1
	s_or_b32 exec_lo, exec_lo, s16
	v_and_b32_sdwa v10, v21, v80 dst_sel:DWORD dst_unused:UNUSED_PAD src0_sel:WORD_1 src1_sel:DWORD
	v_mov_b32_e32 v53, 0
	v_mov_b32_e32 v71, 0
	s_mov_b32 s16, exec_lo
	v_cmpx_ne_u16_e32 0, v10
	s_cbranch_execz .LBB374_1523
; %bb.1516:                             ;   in Loop: Header=BB374_806 Depth=1
	v_bfrev_b32_e32 v71, 1
	s_mov_b32 s17, exec_lo
	v_cmpx_ne_u16_e32 0x80, v10
	s_cbranch_execz .LBB374_1522
; %bb.1517:                             ;   in Loop: Header=BB374_806 Depth=1
	v_bfe_u32 v23, v21, 16, 7
	v_mov_b32_e32 v71, 0x7f800001
	s_mov_b32 s18, exec_lo
	v_cmpx_ne_u32_e32 0x7f, v23
	s_cbranch_execz .LBB374_1521
; %bb.1518:                             ;   in Loop: Header=BB374_806 Depth=1
	v_mov_b32_e32 v10, 7
	v_lshrrev_b32_e32 v67, 3, v23
	v_cmp_gt_u32_e64 s4, 8, v23
	v_and_b32_sdwa v10, v21, v10 dst_sel:DWORD dst_unused:UNUSED_PAD src0_sel:WORD_1 src1_sel:DWORD
	v_mov_b32_e32 v24, v11
	v_mov_b32_e32 v23, v10
	s_and_saveexec_b32 s20, s4
; %bb.1519:                             ;   in Loop: Header=BB374_806 Depth=1
	v_ffbh_u32_e32 v23, v10
	v_min_u32_e32 v67, 32, v23
	v_subrev_nc_u32_e32 v23, 28, v67
	v_sub_nc_u32_e32 v67, 29, v67
	v_lshlrev_b64 v[23:24], v23, v[10:11]
	v_and_b32_e32 v23, 7, v23
; %bb.1520:                             ;   in Loop: Header=BB374_806 Depth=1
	s_or_b32 exec_lo, exec_lo, s20
	v_mov_b32_e32 v10, 24
	v_lshlrev_b32_e32 v23, 20, v23
	v_lshl_add_u32 v24, v67, 23, 0x3c000000
	v_lshlrev_b32_sdwa v10, v10, v21 dst_sel:DWORD dst_unused:UNUSED_PAD src0_sel:DWORD src1_sel:WORD_1
	v_and_b32_e32 v10, 0x80000000, v10
	v_or3_b32 v71, v23, v10, v24
.LBB374_1521:                           ;   in Loop: Header=BB374_806 Depth=1
	s_or_b32 exec_lo, exec_lo, s18
.LBB374_1522:                           ;   in Loop: Header=BB374_806 Depth=1
	s_or_b32 exec_lo, exec_lo, s17
.LBB374_1523:                           ;   in Loop: Header=BB374_806 Depth=1
	s_or_b32 exec_lo, exec_lo, s16
	s_mov_b32 s16, exec_lo
	v_cmpx_lt_u64_e64 s[12:13], v[20:21]
	s_cbranch_execz .LBB374_1531
; %bb.1524:                             ;   in Loop: Header=BB374_806 Depth=1
	v_cmp_ne_u32_sdwa s4, v21, v70 src0_sel:BYTE_3 src1_sel:DWORD
	v_bfrev_b32_e32 v53, 1
	s_and_saveexec_b32 s17, s4
	s_cbranch_execz .LBB374_1530
; %bb.1525:                             ;   in Loop: Header=BB374_806 Depth=1
	v_bfe_u32 v23, v21, 24, 7
	v_mov_b32_e32 v53, 0x7f800001
	s_mov_b32 s18, exec_lo
	v_cmpx_ne_u32_e32 0x7f, v23
	s_cbranch_execz .LBB374_1529
; %bb.1526:                             ;   in Loop: Header=BB374_806 Depth=1
	v_mov_b32_e32 v10, 7
	v_lshrrev_b32_e32 v20, 3, v23
	v_cmp_gt_u32_e64 s4, 8, v23
	v_and_b32_sdwa v10, v21, v10 dst_sel:DWORD dst_unused:UNUSED_PAD src0_sel:BYTE_3 src1_sel:DWORD
	v_mov_b32_e32 v24, v11
	v_mov_b32_e32 v23, v10
	s_and_saveexec_b32 s20, s4
; %bb.1527:                             ;   in Loop: Header=BB374_806 Depth=1
	v_ffbh_u32_e32 v20, v10
	v_min_u32_e32 v20, 32, v20
	v_subrev_nc_u32_e32 v23, 28, v20
	v_sub_nc_u32_e32 v20, 29, v20
	v_lshlrev_b64 v[23:24], v23, v[10:11]
	v_and_b32_e32 v23, 7, v23
; %bb.1528:                             ;   in Loop: Header=BB374_806 Depth=1
	s_or_b32 exec_lo, exec_lo, s20
	v_mov_b32_e32 v10, 24
	v_lshl_add_u32 v20, v20, 23, 0x3c000000
	v_lshlrev_b32_sdwa v10, v10, v21 dst_sel:DWORD dst_unused:UNUSED_PAD src0_sel:DWORD src1_sel:BYTE_3
	v_lshlrev_b32_e32 v21, 20, v23
	v_and_b32_e32 v10, 0x80000000, v10
	v_or3_b32 v53, v21, v10, v20
.LBB374_1529:                           ;   in Loop: Header=BB374_806 Depth=1
	s_or_b32 exec_lo, exec_lo, s18
.LBB374_1530:                           ;   in Loop: Header=BB374_806 Depth=1
	s_or_b32 exec_lo, exec_lo, s17
.LBB374_1531:                           ;   in Loop: Header=BB374_806 Depth=1
	s_or_b32 exec_lo, exec_lo, s16
	v_mul_f32_e32 v10, v44, v65
	v_bfe_u32 v20, v10, 16, 1
	v_or_b32_e32 v21, 0x400000, v10
	v_cmp_u_f32_e64 s4, v10, v10
	v_add3_u32 v20, v20, v10, 0x7fff
	v_cndmask_b32_e64 v10, v20, v21, s4
	v_lshrrev_b32_e32 v65, 16, v10
	v_mul_f32_e32 v10, v44, v66
	v_bfe_u32 v20, v10, 16, 1
	v_or_b32_e32 v21, 0x400000, v10
	v_cmp_u_f32_e64 s4, v10, v10
	v_add3_u32 v20, v20, v10, 0x7fff
	v_cndmask_b32_e64 v10, v20, v21, s4
	v_lshrrev_b32_e32 v66, 16, v10
	;; [unrolled: 7-line block ×8, first 2 shown]
	s_and_saveexec_b32 s16, vcc_lo
	s_cbranch_execz .LBB374_1533
; %bb.1532:                             ;   in Loop: Header=BB374_806 Depth=1
	v_cmp_lt_i32_e64 s4, v47, v38
	v_cndmask_b32_e64 v50, 0, v50, s4
	v_cmp_lt_i32_e64 s4, v62, v38
	v_cndmask_b32_e64 v54, 0, v54, s4
	;; [unrolled: 2-line block ×8, first 2 shown]
.LBB374_1533:                           ;   in Loop: Header=BB374_806 Depth=1
	s_or_b32 exec_lo, exec_lo, s16
	flat_load_dwordx2 v[18:19], v[18:19] offset:768
	v_mov_b32_e32 v24, 0
	v_mov_b32_e32 v23, 0
	s_waitcnt vmcnt(0) lgkmcnt(0)
	v_cmp_ne_u16_sdwa s4, v18, v11 src0_sel:BYTE_0 src1_sel:DWORD
	s_and_saveexec_b32 s16, s4
	s_cbranch_execz .LBB374_1541
; %bb.1534:                             ;   in Loop: Header=BB374_806 Depth=1
	v_cmp_ne_u16_sdwa s4, v18, v70 src0_sel:BYTE_0 src1_sel:DWORD
	v_bfrev_b32_e32 v23, 1
	s_and_saveexec_b32 s17, s4
	s_cbranch_execz .LBB374_1540
; %bb.1535:                             ;   in Loop: Header=BB374_806 Depth=1
	v_and_b32_e32 v20, 0x7f, v18
	v_mov_b32_e32 v23, 0x7f800001
	s_mov_b32 s18, exec_lo
	v_cmpx_ne_u32_e32 0x7f, v20
	s_cbranch_execz .LBB374_1539
; %bb.1536:                             ;   in Loop: Header=BB374_806 Depth=1
	v_lshrrev_b32_e32 v10, 3, v20
	v_cmp_gt_u32_e64 s4, 8, v20
	v_mov_b32_e32 v21, v19
	v_mov_b32_e32 v20, v18
	s_and_saveexec_b32 s20, s4
; %bb.1537:                             ;   in Loop: Header=BB374_806 Depth=1
	v_and_b32_e32 v10, 7, v18
	v_ffbh_u32_e32 v10, v10
	v_min_u32_e32 v10, 32, v10
	v_subrev_nc_u32_e32 v20, 28, v10
	v_sub_nc_u32_e32 v10, 29, v10
	v_lshlrev_b64 v[20:21], v20, v[18:19]
; %bb.1538:                             ;   in Loop: Header=BB374_806 Depth=1
	s_or_b32 exec_lo, exec_lo, s20
	v_lshlrev_b32_e32 v20, 20, v20
	v_lshlrev_b32_e32 v21, 24, v18
	v_lshl_add_u32 v10, v10, 23, 0x3c000000
	v_and_b32_e32 v20, 0x700000, v20
	v_and_b32_e32 v21, 0x80000000, v21
	v_or3_b32 v23, v20, v21, v10
.LBB374_1539:                           ;   in Loop: Header=BB374_806 Depth=1
	s_or_b32 exec_lo, exec_lo, s18
.LBB374_1540:                           ;   in Loop: Header=BB374_806 Depth=1
	s_or_b32 exec_lo, exec_lo, s17
.LBB374_1541:                           ;   in Loop: Header=BB374_806 Depth=1
	s_or_b32 exec_lo, exec_lo, s16
	v_cmp_ne_u16_sdwa s4, v18, v11 src0_sel:BYTE_1 src1_sel:DWORD
	s_and_saveexec_b32 s16, s4
	s_cbranch_execz .LBB374_1549
; %bb.1542:                             ;   in Loop: Header=BB374_806 Depth=1
	v_cmp_ne_u16_sdwa s4, v18, v70 src0_sel:BYTE_1 src1_sel:DWORD
	v_bfrev_b32_e32 v24, 1
	s_and_saveexec_b32 s17, s4
	s_cbranch_execz .LBB374_1548
; %bb.1543:                             ;   in Loop: Header=BB374_806 Depth=1
	v_mov_b32_e32 v10, 0xffff
	v_mov_b32_e32 v24, 0x7f800001
	s_mov_b32 s18, exec_lo
	v_and_b32_sdwa v10, v10, v18 dst_sel:DWORD dst_unused:UNUSED_PAD src0_sel:DWORD src1_sel:BYTE_1
	v_and_b32_e32 v20, 0x7f, v10
	v_cmpx_ne_u32_e32 0x7f, v20
	s_cbranch_execz .LBB374_1547
; %bb.1544:                             ;   in Loop: Header=BB374_806 Depth=1
	v_and_b32_e32 v10, 7, v10
	v_lshrrev_b32_e32 v24, 3, v20
	v_cmp_gt_u32_e64 s4, 8, v20
	v_mov_b32_e32 v21, v11
	v_mov_b32_e32 v20, v10
	s_and_saveexec_b32 s20, s4
; %bb.1545:                             ;   in Loop: Header=BB374_806 Depth=1
	v_ffbh_u32_e32 v20, v10
	v_min_u32_e32 v24, 32, v20
	v_subrev_nc_u32_e32 v20, 28, v24
	v_sub_nc_u32_e32 v24, 29, v24
	v_lshlrev_b64 v[20:21], v20, v[10:11]
	v_and_b32_e32 v20, 7, v20
; %bb.1546:                             ;   in Loop: Header=BB374_806 Depth=1
	s_or_b32 exec_lo, exec_lo, s20
	v_lshlrev_b32_e32 v10, 16, v18
	v_lshlrev_b32_e32 v20, 20, v20
	v_lshl_add_u32 v21, v24, 23, 0x3c000000
	v_and_b32_e32 v10, 0x80000000, v10
	v_or3_b32 v24, v20, v10, v21
.LBB374_1547:                           ;   in Loop: Header=BB374_806 Depth=1
	s_or_b32 exec_lo, exec_lo, s18
.LBB374_1548:                           ;   in Loop: Header=BB374_806 Depth=1
	s_or_b32 exec_lo, exec_lo, s17
.LBB374_1549:                           ;   in Loop: Header=BB374_806 Depth=1
	s_or_b32 exec_lo, exec_lo, s16
	v_and_b32_sdwa v10, v18, v80 dst_sel:DWORD dst_unused:UNUSED_PAD src0_sel:WORD_1 src1_sel:DWORD
	v_mov_b32_e32 v53, 0
	v_mov_b32_e32 v85, 0
	s_mov_b32 s16, exec_lo
	v_cmpx_ne_u16_e32 0, v10
	s_cbranch_execz .LBB374_1557
; %bb.1550:                             ;   in Loop: Header=BB374_806 Depth=1
	v_bfrev_b32_e32 v85, 1
	s_mov_b32 s17, exec_lo
	v_cmpx_ne_u16_e32 0x80, v10
	s_cbranch_execz .LBB374_1556
; %bb.1551:                             ;   in Loop: Header=BB374_806 Depth=1
	v_bfe_u32 v20, v18, 16, 7
	v_mov_b32_e32 v85, 0x7f800001
	s_mov_b32 s18, exec_lo
	v_cmpx_ne_u32_e32 0x7f, v20
	s_cbranch_execz .LBB374_1555
; %bb.1552:                             ;   in Loop: Header=BB374_806 Depth=1
	v_mov_b32_e32 v10, 7
	v_lshrrev_b32_e32 v71, 3, v20
	v_cmp_gt_u32_e64 s4, 8, v20
	v_and_b32_sdwa v10, v18, v10 dst_sel:DWORD dst_unused:UNUSED_PAD src0_sel:WORD_1 src1_sel:DWORD
	v_mov_b32_e32 v21, v11
	v_mov_b32_e32 v20, v10
	s_and_saveexec_b32 s20, s4
; %bb.1553:                             ;   in Loop: Header=BB374_806 Depth=1
	v_ffbh_u32_e32 v20, v10
	v_min_u32_e32 v71, 32, v20
	v_subrev_nc_u32_e32 v20, 28, v71
	v_sub_nc_u32_e32 v71, 29, v71
	v_lshlrev_b64 v[20:21], v20, v[10:11]
	v_and_b32_e32 v20, 7, v20
; %bb.1554:                             ;   in Loop: Header=BB374_806 Depth=1
	s_or_b32 exec_lo, exec_lo, s20
	v_mov_b32_e32 v10, 24
	v_lshlrev_b32_e32 v20, 20, v20
	v_lshl_add_u32 v21, v71, 23, 0x3c000000
	v_lshlrev_b32_sdwa v10, v10, v18 dst_sel:DWORD dst_unused:UNUSED_PAD src0_sel:DWORD src1_sel:WORD_1
	v_and_b32_e32 v10, 0x80000000, v10
	v_or3_b32 v85, v20, v10, v21
.LBB374_1555:                           ;   in Loop: Header=BB374_806 Depth=1
	s_or_b32 exec_lo, exec_lo, s18
.LBB374_1556:                           ;   in Loop: Header=BB374_806 Depth=1
	s_or_b32 exec_lo, exec_lo, s17
.LBB374_1557:                           ;   in Loop: Header=BB374_806 Depth=1
	s_or_b32 exec_lo, exec_lo, s16
	s_mov_b32 s16, exec_lo
	v_cmpx_lt_u32_e32 0xffffff, v18
	s_cbranch_execz .LBB374_1565
; %bb.1558:                             ;   in Loop: Header=BB374_806 Depth=1
	v_cmp_ne_u32_sdwa s4, v18, v70 src0_sel:BYTE_3 src1_sel:DWORD
	v_bfrev_b32_e32 v53, 1
	s_and_saveexec_b32 s17, s4
	s_cbranch_execz .LBB374_1564
; %bb.1559:                             ;   in Loop: Header=BB374_806 Depth=1
	v_bfe_u32 v20, v18, 24, 7
	v_mov_b32_e32 v53, 0x7f800001
	s_mov_b32 s18, exec_lo
	v_cmpx_ne_u32_e32 0x7f, v20
	s_cbranch_execz .LBB374_1563
; %bb.1560:                             ;   in Loop: Header=BB374_806 Depth=1
	v_mov_b32_e32 v10, 7
	v_lshrrev_b32_e32 v53, 3, v20
	v_cmp_gt_u32_e64 s4, 8, v20
	v_and_b32_sdwa v10, v18, v10 dst_sel:DWORD dst_unused:UNUSED_PAD src0_sel:BYTE_3 src1_sel:DWORD
	v_mov_b32_e32 v21, v11
	v_mov_b32_e32 v20, v10
	s_and_saveexec_b32 s20, s4
; %bb.1561:                             ;   in Loop: Header=BB374_806 Depth=1
	v_ffbh_u32_e32 v20, v10
	v_min_u32_e32 v53, 32, v20
	v_subrev_nc_u32_e32 v20, 28, v53
	v_sub_nc_u32_e32 v53, 29, v53
	v_lshlrev_b64 v[20:21], v20, v[10:11]
	v_and_b32_e32 v20, 7, v20
; %bb.1562:                             ;   in Loop: Header=BB374_806 Depth=1
	s_or_b32 exec_lo, exec_lo, s20
	v_mov_b32_e32 v10, 24
	v_lshlrev_b32_e32 v20, 20, v20
	v_lshl_add_u32 v21, v53, 23, 0x3c000000
	v_lshlrev_b32_sdwa v10, v10, v18 dst_sel:DWORD dst_unused:UNUSED_PAD src0_sel:DWORD src1_sel:BYTE_3
	v_and_b32_e32 v10, 0x80000000, v10
	v_or3_b32 v53, v20, v10, v21
.LBB374_1563:                           ;   in Loop: Header=BB374_806 Depth=1
	s_or_b32 exec_lo, exec_lo, s18
.LBB374_1564:                           ;   in Loop: Header=BB374_806 Depth=1
	s_or_b32 exec_lo, exec_lo, s17
.LBB374_1565:                           ;   in Loop: Header=BB374_806 Depth=1
	s_or_b32 exec_lo, exec_lo, s16
	v_mov_b32_e32 v10, v19
	v_cmp_ne_u16_sdwa s4, v19, v11 src0_sel:BYTE_0 src1_sel:DWORD
	v_mov_b32_e32 v86, 0
	v_mov_b32_e32 v82, 0
	s_and_saveexec_b32 s16, s4
	s_cbranch_execz .LBB374_1573
; %bb.1566:                             ;   in Loop: Header=BB374_806 Depth=1
	v_cmp_ne_u16_sdwa s4, v19, v70 src0_sel:BYTE_0 src1_sel:DWORD
	v_bfrev_b32_e32 v82, 1
	s_and_saveexec_b32 s17, s4
	s_cbranch_execz .LBB374_1572
; %bb.1567:                             ;   in Loop: Header=BB374_806 Depth=1
	v_and_b32_e32 v20, 0x7f, v19
	v_mov_b32_e32 v82, 0x7f800001
	s_mov_b32 s18, exec_lo
	v_cmpx_ne_u32_e32 0x7f, v20
	s_cbranch_execz .LBB374_1571
; %bb.1568:                             ;   in Loop: Header=BB374_806 Depth=1
	v_lshrrev_b32_e32 v71, 3, v20
	v_cmp_gt_u32_e64 s4, 8, v20
	v_mov_b32_e32 v21, v11
	v_mov_b32_e32 v20, v10
	s_and_saveexec_b32 s20, s4
; %bb.1569:                             ;   in Loop: Header=BB374_806 Depth=1
	v_and_b32_e32 v20, 7, v19
	v_ffbh_u32_e32 v20, v20
	v_min_u32_e32 v71, 32, v20
	v_subrev_nc_u32_e32 v20, 28, v71
	v_sub_nc_u32_e32 v71, 29, v71
	v_lshlrev_b64 v[20:21], v20, v[10:11]
; %bb.1570:                             ;   in Loop: Header=BB374_806 Depth=1
	s_or_b32 exec_lo, exec_lo, s20
	v_lshlrev_b32_e32 v20, 20, v20
	v_lshlrev_b32_e32 v21, 24, v10
	v_lshl_add_u32 v71, v71, 23, 0x3c000000
	v_and_b32_e32 v20, 0x700000, v20
	v_and_b32_e32 v21, 0x80000000, v21
	v_or3_b32 v82, v20, v21, v71
.LBB374_1571:                           ;   in Loop: Header=BB374_806 Depth=1
	s_or_b32 exec_lo, exec_lo, s18
.LBB374_1572:                           ;   in Loop: Header=BB374_806 Depth=1
	s_or_b32 exec_lo, exec_lo, s17
.LBB374_1573:                           ;   in Loop: Header=BB374_806 Depth=1
	s_or_b32 exec_lo, exec_lo, s16
	v_cmp_ne_u16_sdwa s4, v10, v11 src0_sel:BYTE_1 src1_sel:DWORD
	s_and_saveexec_b32 s16, s4
	s_cbranch_execz .LBB374_1581
; %bb.1574:                             ;   in Loop: Header=BB374_806 Depth=1
	v_cmp_ne_u16_sdwa s4, v10, v70 src0_sel:BYTE_1 src1_sel:DWORD
	v_bfrev_b32_e32 v86, 1
	s_and_saveexec_b32 s17, s4
	s_cbranch_execz .LBB374_1580
; %bb.1575:                             ;   in Loop: Header=BB374_806 Depth=1
	v_mov_b32_e32 v20, 0xffff
	v_mov_b32_e32 v86, 0x7f800001
	s_mov_b32 s18, exec_lo
	v_and_b32_sdwa v20, v20, v10 dst_sel:DWORD dst_unused:UNUSED_PAD src0_sel:DWORD src1_sel:BYTE_1
	v_and_b32_e32 v81, 0x7f, v20
	v_cmpx_ne_u32_e32 0x7f, v81
	s_cbranch_execz .LBB374_1579
; %bb.1576:                             ;   in Loop: Header=BB374_806 Depth=1
	v_and_b32_e32 v20, 7, v20
	v_mov_b32_e32 v21, v11
	v_lshrrev_b32_e32 v71, 3, v81
	s_mov_b32 s20, exec_lo
	v_cmpx_gt_u32_e32 8, v81
; %bb.1577:                             ;   in Loop: Header=BB374_806 Depth=1
	v_ffbh_u32_e32 v71, v20
	v_min_u32_e32 v71, 32, v71
	v_subrev_nc_u32_e32 v81, 28, v71
	v_sub_nc_u32_e32 v71, 29, v71
	v_lshlrev_b64 v[20:21], v81, v[20:21]
	v_and_b32_e32 v20, 7, v20
; %bb.1578:                             ;   in Loop: Header=BB374_806 Depth=1
	s_or_b32 exec_lo, exec_lo, s20
	v_lshlrev_b32_e32 v10, 16, v10
	v_lshlrev_b32_e32 v20, 20, v20
	v_lshl_add_u32 v21, v71, 23, 0x3c000000
	v_and_b32_e32 v10, 0x80000000, v10
	v_or3_b32 v86, v20, v10, v21
.LBB374_1579:                           ;   in Loop: Header=BB374_806 Depth=1
	s_or_b32 exec_lo, exec_lo, s18
.LBB374_1580:                           ;   in Loop: Header=BB374_806 Depth=1
	s_or_b32 exec_lo, exec_lo, s17
.LBB374_1581:                           ;   in Loop: Header=BB374_806 Depth=1
	s_or_b32 exec_lo, exec_lo, s16
	v_and_b32_sdwa v10, v19, v80 dst_sel:DWORD dst_unused:UNUSED_PAD src0_sel:WORD_1 src1_sel:DWORD
	v_mov_b32_e32 v71, 0
	v_mov_b32_e32 v81, 0
	s_mov_b32 s16, exec_lo
	v_cmpx_ne_u16_e32 0, v10
	s_cbranch_execz .LBB374_1589
; %bb.1582:                             ;   in Loop: Header=BB374_806 Depth=1
	v_bfrev_b32_e32 v81, 1
	s_mov_b32 s17, exec_lo
	v_cmpx_ne_u16_e32 0x80, v10
	s_cbranch_execz .LBB374_1588
; %bb.1583:                             ;   in Loop: Header=BB374_806 Depth=1
	v_bfe_u32 v20, v19, 16, 7
	v_mov_b32_e32 v81, 0x7f800001
	s_mov_b32 s18, exec_lo
	v_cmpx_ne_u32_e32 0x7f, v20
	s_cbranch_execz .LBB374_1587
; %bb.1584:                             ;   in Loop: Header=BB374_806 Depth=1
	v_mov_b32_e32 v10, 7
	v_lshrrev_b32_e32 v81, 3, v20
	v_cmp_gt_u32_e64 s4, 8, v20
	v_and_b32_sdwa v10, v19, v10 dst_sel:DWORD dst_unused:UNUSED_PAD src0_sel:WORD_1 src1_sel:DWORD
	v_mov_b32_e32 v21, v11
	v_mov_b32_e32 v20, v10
	s_and_saveexec_b32 s20, s4
; %bb.1585:                             ;   in Loop: Header=BB374_806 Depth=1
	v_ffbh_u32_e32 v20, v10
	v_min_u32_e32 v81, 32, v20
	v_subrev_nc_u32_e32 v20, 28, v81
	v_sub_nc_u32_e32 v81, 29, v81
	v_lshlrev_b64 v[20:21], v20, v[10:11]
	v_and_b32_e32 v20, 7, v20
; %bb.1586:                             ;   in Loop: Header=BB374_806 Depth=1
	s_or_b32 exec_lo, exec_lo, s20
	v_mov_b32_e32 v10, 24
	v_lshlrev_b32_e32 v20, 20, v20
	v_lshl_add_u32 v21, v81, 23, 0x3c000000
	v_lshlrev_b32_sdwa v10, v10, v19 dst_sel:DWORD dst_unused:UNUSED_PAD src0_sel:DWORD src1_sel:WORD_1
	v_and_b32_e32 v10, 0x80000000, v10
	v_or3_b32 v81, v20, v10, v21
.LBB374_1587:                           ;   in Loop: Header=BB374_806 Depth=1
	s_or_b32 exec_lo, exec_lo, s18
.LBB374_1588:                           ;   in Loop: Header=BB374_806 Depth=1
	s_or_b32 exec_lo, exec_lo, s17
.LBB374_1589:                           ;   in Loop: Header=BB374_806 Depth=1
	s_or_b32 exec_lo, exec_lo, s16
	s_mov_b32 s16, exec_lo
	v_cmpx_lt_u64_e64 s[12:13], v[18:19]
	s_cbranch_execz .LBB374_1597
; %bb.1590:                             ;   in Loop: Header=BB374_806 Depth=1
	v_cmp_ne_u32_sdwa s4, v19, v70 src0_sel:BYTE_3 src1_sel:DWORD
	v_bfrev_b32_e32 v71, 1
	s_and_saveexec_b32 s17, s4
	s_cbranch_execz .LBB374_1596
; %bb.1591:                             ;   in Loop: Header=BB374_806 Depth=1
	v_bfe_u32 v20, v19, 24, 7
	v_mov_b32_e32 v71, 0x7f800001
	s_mov_b32 s18, exec_lo
	v_cmpx_ne_u32_e32 0x7f, v20
	s_cbranch_execz .LBB374_1595
; %bb.1592:                             ;   in Loop: Header=BB374_806 Depth=1
	v_mov_b32_e32 v10, 7
	v_lshrrev_b32_e32 v18, 3, v20
	v_cmp_gt_u32_e64 s4, 8, v20
	v_and_b32_sdwa v10, v19, v10 dst_sel:DWORD dst_unused:UNUSED_PAD src0_sel:BYTE_3 src1_sel:DWORD
	v_mov_b32_e32 v21, v11
	v_mov_b32_e32 v20, v10
	s_and_saveexec_b32 s20, s4
; %bb.1593:                             ;   in Loop: Header=BB374_806 Depth=1
	v_ffbh_u32_e32 v18, v10
	v_min_u32_e32 v18, 32, v18
	v_subrev_nc_u32_e32 v20, 28, v18
	v_sub_nc_u32_e32 v18, 29, v18
	v_lshlrev_b64 v[20:21], v20, v[10:11]
	v_and_b32_e32 v20, 7, v20
; %bb.1594:                             ;   in Loop: Header=BB374_806 Depth=1
	s_or_b32 exec_lo, exec_lo, s20
	v_mov_b32_e32 v10, 24
	v_lshl_add_u32 v18, v18, 23, 0x3c000000
	v_lshlrev_b32_sdwa v10, v10, v19 dst_sel:DWORD dst_unused:UNUSED_PAD src0_sel:DWORD src1_sel:BYTE_3
	v_lshlrev_b32_e32 v19, 20, v20
	v_and_b32_e32 v10, 0x80000000, v10
	v_or3_b32 v71, v19, v10, v18
.LBB374_1595:                           ;   in Loop: Header=BB374_806 Depth=1
	s_or_b32 exec_lo, exec_lo, s18
.LBB374_1596:                           ;   in Loop: Header=BB374_806 Depth=1
	s_or_b32 exec_lo, exec_lo, s17
.LBB374_1597:                           ;   in Loop: Header=BB374_806 Depth=1
	s_or_b32 exec_lo, exec_lo, s16
	v_mul_f32_e32 v10, v44, v86
	v_bfe_u32 v18, v10, 16, 1
	v_or_b32_e32 v19, 0x400000, v10
	v_cmp_u_f32_e64 s4, v10, v10
	v_add3_u32 v18, v18, v10, 0x7fff
	v_cndmask_b32_e64 v10, v18, v19, s4
	v_mul_f32_e32 v18, v44, v82
	v_lshrrev_b32_e32 v10, 16, v10
	v_bfe_u32 v19, v18, 16, 1
	v_or_b32_e32 v20, 0x400000, v18
	v_cmp_u_f32_e64 s4, v18, v18
	v_add3_u32 v19, v19, v18, 0x7fff
	v_cndmask_b32_e64 v18, v19, v20, s4
	v_mul_f32_e32 v19, v44, v53
	v_lshrrev_b32_e32 v18, 16, v18
	;; [unrolled: 7-line block ×3, first 2 shown]
	v_bfe_u32 v21, v20, 16, 1
	v_or_b32_e32 v53, 0x400000, v20
	v_cmp_u_f32_e64 s4, v20, v20
	v_add3_u32 v21, v21, v20, 0x7fff
	v_cndmask_b32_e64 v20, v21, v53, s4
	v_lshrrev_b32_e32 v21, 16, v20
	v_mul_f32_e32 v20, v44, v24
	v_bfe_u32 v24, v20, 16, 1
	v_or_b32_e32 v53, 0x400000, v20
	v_cmp_u_f32_e64 s4, v20, v20
	v_add3_u32 v24, v24, v20, 0x7fff
	v_cndmask_b32_e64 v20, v24, v53, s4
	v_lshrrev_b32_e32 v24, 16, v20
	v_mul_f32_e32 v20, v44, v23
	;; [unrolled: 7-line block ×3, first 2 shown]
	v_bfe_u32 v23, v20, 16, 1
	v_or_b32_e32 v53, 0x400000, v20
	v_cmp_u_f32_e64 s4, v20, v20
	v_add3_u32 v23, v23, v20, 0x7fff
	v_cndmask_b32_e64 v20, v23, v53, s4
	v_mul_f32_e32 v23, v44, v71
	v_lshrrev_b32_e32 v20, 16, v20
	v_bfe_u32 v53, v23, 16, 1
	v_or_b32_e32 v71, 0x400000, v23
	v_cmp_u_f32_e64 s4, v23, v23
	v_add3_u32 v53, v53, v23, 0x7fff
	v_cndmask_b32_e64 v23, v53, v71, s4
	v_lshrrev_b32_e32 v23, 16, v23
	s_and_saveexec_b32 s4, vcc_lo
	s_cbranch_execz .LBB374_804
; %bb.1598:                             ;   in Loop: Header=BB374_806 Depth=1
	v_cmp_lt_i32_e32 vcc_lo, v47, v38
	v_cndmask_b32_e32 v85, 0, v85, vcc_lo
	v_cmp_lt_i32_e32 vcc_lo, v62, v38
	v_cndmask_b32_e32 v24, 0, v24, vcc_lo
	;; [unrolled: 2-line block ×8, first 2 shown]
	s_branch .LBB374_804
.LBB374_1599:
	s_or_b32 exec_lo, exec_lo, s11
	s_clause 0x11
	buffer_load_dword v27, off, s[0:3], s32 offset:632
	buffer_load_dword v34, off, s[0:3], s32 offset:636
	;; [unrolled: 1-line block ×18, first 2 shown]
.LBB374_1600:
	s_or_b32 exec_lo, exec_lo, s7
	s_waitcnt vmcnt(1)
	ds_bpermute_b32 v0, v35, v24
	ds_bpermute_b32 v5, v35, v20
	;; [unrolled: 1-line block ×5, first 2 shown]
	s_waitcnt vmcnt(0) lgkmcnt(0)
	s_waitcnt_vscnt null, 0x0
	s_barrier
	buffer_gl0_inv
	ds_bpermute_b32 v1, v35, v25
	ds_bpermute_b32 v7, v35, v13
	;; [unrolled: 1-line block ×7, first 2 shown]
	s_load_dword s4, s[8:9], 0x0
	s_mov_b32 s7, exec_lo
	v_add_f32_e32 v0, v24, v0
	v_add_f32_e32 v5, v20, v5
	;; [unrolled: 1-line block ×5, first 2 shown]
	ds_bpermute_b32 v6, v26, v0
	ds_bpermute_b32 v20, v26, v5
	ds_bpermute_b32 v21, v26, v12
	s_waitcnt lgkmcnt(0)
	v_add_f32_e32 v1, v25, v1
	v_add_f32_e32 v13, v13, v7
	v_add_f32_e32 v2, v23, v2
	v_add_f32_e32 v3, v22, v3
	v_add_f32_e32 v14, v33, v8
	v_add_f32_e32 v15, v29, v9
	v_add_f32_e32 v16, v16, v10
	ds_bpermute_b32 v7, v26, v1
	ds_bpermute_b32 v19, v26, v4
	;; [unrolled: 1-line block ×9, first 2 shown]
	v_add_f32_e32 v11, v0, v6
	v_add_f32_e32 v6, v5, v20
	;; [unrolled: 1-line block ×3, first 2 shown]
	buffer_load_dword v12, off, s[0:3], s32 offset:284 ; 4-byte Folded Reload
	s_waitcnt lgkmcnt(8)
	v_add_f32_e32 v10, v1, v7
	s_waitcnt lgkmcnt(7)
	v_add_f32_e32 v7, v4, v19
	;; [unrolled: 2-line block ×8, first 2 shown]
	v_and_b32_e32 v15, 0x3c3, v31
	s_waitcnt lgkmcnt(0)
	v_add_f32_e32 v2, v17, v26
	v_mul_u32_u24_e32 v14, 0x180, v32
	s_waitcnt vmcnt(0)
	v_and_b32_e32 v13, 28, v12
	v_lshrrev_b32_e32 v12, 2, v12
	v_add_nc_u32_e32 v13, s4, v13
	v_cmpx_eq_u32_e32 64, v15
	s_cbranch_execz .LBB374_1602
; %bb.1601:
	v_add_nc_u32_e32 v15, v13, v14
	v_add_nc_u32_e32 v16, 0xfffffd00, v15
	;; [unrolled: 1-line block ×8, first 2 shown]
	ds_write_b32 v16, v11
	ds_write_b32 v17, v10
	;; [unrolled: 1-line block ×7, first 2 shown]
	v_add_nc_u32_e32 v16, 0xfffffde0, v15
	v_add_nc_u32_e32 v17, 0xfffffe00, v15
	;; [unrolled: 1-line block ×5, first 2 shown]
	ds_write_b32 v16, v4
	ds_write_b32 v17, v3
	;; [unrolled: 1-line block ×5, first 2 shown]
.LBB374_1602:
	s_or_b32 exec_lo, exec_lo, s7
	v_lshlrev_b32_e32 v12, 2, v12
	s_mov_b32 s7, exec_lo
	v_cmp_eq_u32_e32 vcc_lo, 0, v28
	s_waitcnt lgkmcnt(0)
	s_barrier
	v_add3_u32 v12, s4, v14, v12
	buffer_gl0_inv
	v_cmpx_gt_u32_e32 64, v31
	s_cbranch_execz .LBB374_1617
; %bb.1603:
	s_and_saveexec_b32 s4, vcc_lo
	s_cbranch_execnz .LBB374_1637
; %bb.1604:
	s_or_b32 exec_lo, exec_lo, s4
	s_and_saveexec_b32 s4, vcc_lo
	s_cbranch_execnz .LBB374_1638
.LBB374_1605:
	s_or_b32 exec_lo, exec_lo, s4
	s_and_saveexec_b32 s4, vcc_lo
	s_cbranch_execnz .LBB374_1639
.LBB374_1606:
	s_or_b32 exec_lo, exec_lo, s4
	s_and_saveexec_b32 s4, vcc_lo
	s_cbranch_execnz .LBB374_1640
.LBB374_1607:
	s_or_b32 exec_lo, exec_lo, s4
	s_and_saveexec_b32 s4, vcc_lo
	s_cbranch_execnz .LBB374_1641
.LBB374_1608:
	s_or_b32 exec_lo, exec_lo, s4
	s_and_saveexec_b32 s4, vcc_lo
	s_cbranch_execnz .LBB374_1642
.LBB374_1609:
	s_or_b32 exec_lo, exec_lo, s4
	s_and_saveexec_b32 s4, vcc_lo
	s_cbranch_execnz .LBB374_1643
.LBB374_1610:
	s_or_b32 exec_lo, exec_lo, s4
	s_and_saveexec_b32 s4, vcc_lo
	s_cbranch_execnz .LBB374_1644
.LBB374_1611:
	s_or_b32 exec_lo, exec_lo, s4
	s_and_saveexec_b32 s4, vcc_lo
	s_cbranch_execnz .LBB374_1645
.LBB374_1612:
	s_or_b32 exec_lo, exec_lo, s4
	s_and_saveexec_b32 s4, vcc_lo
	s_cbranch_execnz .LBB374_1646
.LBB374_1613:
	s_or_b32 exec_lo, exec_lo, s4
	s_and_saveexec_b32 s4, vcc_lo
	s_cbranch_execnz .LBB374_1647
.LBB374_1614:
	s_or_b32 exec_lo, exec_lo, s4
	s_and_saveexec_b32 s4, vcc_lo
	s_cbranch_execz .LBB374_1616
.LBB374_1615:
	ds_read_b32 v14, v12 offset:352
	s_waitcnt lgkmcnt(0)
	v_add_f32_e32 v2, v14, v2
.LBB374_1616:
	s_or_b32 exec_lo, exec_lo, s4
.LBB374_1617:
	s_or_b32 exec_lo, exec_lo, s7
	v_and_b32_e32 v14, 0x3e3, v31
	s_mov_b32 s7, exec_lo
	s_barrier
	buffer_gl0_inv
	v_cmpx_eq_u32_e32 32, v14
	s_cbranch_execz .LBB374_1619
; %bb.1618:
	ds_write2_b32 v13, v11, v10 offset1:8
	ds_write2_b32 v13, v9, v8 offset0:16 offset1:24
	ds_write2_b32 v13, v7, v6 offset0:32 offset1:40
	;; [unrolled: 1-line block ×5, first 2 shown]
.LBB374_1619:
	s_or_b32 exec_lo, exec_lo, s7
	s_mov_b32 s7, exec_lo
	s_waitcnt lgkmcnt(0)
	s_barrier
	buffer_gl0_inv
	v_cmpx_gt_u32_e32 32, v31
	s_cbranch_execz .LBB374_1634
; %bb.1620:
	s_and_saveexec_b32 s4, vcc_lo
	s_cbranch_execnz .LBB374_1648
; %bb.1621:
	s_or_b32 exec_lo, exec_lo, s4
	s_and_saveexec_b32 s4, vcc_lo
	s_cbranch_execnz .LBB374_1649
.LBB374_1622:
	s_or_b32 exec_lo, exec_lo, s4
	s_and_saveexec_b32 s4, vcc_lo
	s_cbranch_execnz .LBB374_1650
.LBB374_1623:
	s_or_b32 exec_lo, exec_lo, s4
	s_and_saveexec_b32 s4, vcc_lo
	s_cbranch_execnz .LBB374_1651
.LBB374_1624:
	s_or_b32 exec_lo, exec_lo, s4
	s_and_saveexec_b32 s4, vcc_lo
	s_cbranch_execnz .LBB374_1652
.LBB374_1625:
	s_or_b32 exec_lo, exec_lo, s4
	s_and_saveexec_b32 s4, vcc_lo
	s_cbranch_execnz .LBB374_1653
.LBB374_1626:
	s_or_b32 exec_lo, exec_lo, s4
	s_and_saveexec_b32 s4, vcc_lo
	s_cbranch_execnz .LBB374_1654
.LBB374_1627:
	s_or_b32 exec_lo, exec_lo, s4
	s_and_saveexec_b32 s4, vcc_lo
	s_cbranch_execnz .LBB374_1655
.LBB374_1628:
	s_or_b32 exec_lo, exec_lo, s4
	s_and_saveexec_b32 s4, vcc_lo
	s_cbranch_execnz .LBB374_1656
.LBB374_1629:
	s_or_b32 exec_lo, exec_lo, s4
	s_and_saveexec_b32 s4, vcc_lo
	s_cbranch_execnz .LBB374_1657
.LBB374_1630:
	s_or_b32 exec_lo, exec_lo, s4
	s_and_saveexec_b32 s4, vcc_lo
	s_cbranch_execnz .LBB374_1658
.LBB374_1631:
	s_or_b32 exec_lo, exec_lo, s4
	s_and_saveexec_b32 s4, vcc_lo
	s_cbranch_execz .LBB374_1633
.LBB374_1632:
	ds_read_b32 v12, v12 offset:352
	s_waitcnt lgkmcnt(0)
	v_add_f32_e32 v2, v12, v2
.LBB374_1633:
	s_or_b32 exec_lo, exec_lo, s4
.LBB374_1634:
	s_or_b32 exec_lo, exec_lo, s7
	v_cmp_eq_u32_e32 vcc_lo, 0, v14
	s_barrier
	buffer_gl0_inv
	s_and_b32 exec_lo, exec_lo, vcc_lo
	s_cbranch_execz .LBB374_1636
; %bb.1635:
	s_mulk_i32 s6, 0x60
	s_mul_i32 s4, s10, s5
	s_ashr_i32 s7, s6, 31
	s_ashr_i32 s5, s4, 31
	s_lshl_b64 s[6:7], s[6:7], 1
	s_lshl_b64 s[4:5], s[4:5], 1
	v_add_co_u32 v12, vcc_lo, v34, s6
	v_add_co_ci_u32_e64 v13, null, s7, v27, vcc_lo
	s_mul_i32 s6, s14, 0x60
	v_add_co_u32 v12, vcc_lo, v12, s4
	s_ashr_i32 s7, s6, 31
	v_add_co_ci_u32_e64 v13, null, s5, v13, vcc_lo
	s_lshl_b64 s[4:5], s[6:7], 1
	v_lshrrev_b32_e32 v14, 1, v31
	v_add_co_u32 v12, vcc_lo, v12, s4
	v_bfe_u32 v15, v11, 16, 1
	v_add_co_ci_u32_e64 v13, null, s5, v13, vcc_lo
	v_add_co_u32 v12, vcc_lo, v12, v14
	v_add3_u32 v15, v15, v11, 0x7fff
	v_or_b32_e32 v16, 0x400000, v11
	v_add_co_ci_u32_e64 v13, null, 0, v13, vcc_lo
	v_bfe_u32 v14, v10, 16, 1
	v_cmp_u_f32_e32 vcc_lo, v11, v11
	v_add3_u32 v14, v14, v10, 0x7fff
	v_cndmask_b32_e32 v11, v15, v16, vcc_lo
	v_bfe_u32 v15, v9, 16, 1
	v_or_b32_e32 v16, 0x400000, v10
	v_cmp_u_f32_e32 vcc_lo, v10, v10
	flat_store_short_d16_hi v[12:13], v11
	v_add3_u32 v11, v15, v9, 0x7fff
	v_or_b32_e32 v15, 0x400000, v9
	v_cndmask_b32_e32 v10, v14, v16, vcc_lo
	v_bfe_u32 v14, v8, 16, 1
	v_cmp_u_f32_e32 vcc_lo, v9, v9
	flat_store_short_d16_hi v[12:13], v10 offset:16
	v_add3_u32 v10, v14, v8, 0x7fff
	v_cndmask_b32_e32 v9, v11, v15, vcc_lo
	v_bfe_u32 v11, v7, 16, 1
	v_or_b32_e32 v14, 0x400000, v8
	v_cmp_u_f32_e32 vcc_lo, v8, v8
	flat_store_short_d16_hi v[12:13], v9 offset:32
	v_add3_u32 v9, v11, v7, 0x7fff
	v_or_b32_e32 v11, 0x400000, v7
	v_cndmask_b32_e32 v8, v10, v14, vcc_lo
	v_bfe_u32 v10, v6, 16, 1
	v_cmp_u_f32_e32 vcc_lo, v7, v7
	flat_store_short_d16_hi v[12:13], v8 offset:48
	v_add3_u32 v8, v10, v6, 0x7fff
	v_cndmask_b32_e32 v7, v9, v11, vcc_lo
	v_bfe_u32 v9, v5, 16, 1
	v_or_b32_e32 v10, 0x400000, v6
	v_cmp_u_f32_e32 vcc_lo, v6, v6
	flat_store_short_d16_hi v[12:13], v7 offset:64
	v_add3_u32 v7, v9, v5, 0x7fff
	v_or_b32_e32 v9, 0x400000, v5
	v_cndmask_b32_e32 v6, v8, v10, vcc_lo
	v_bfe_u32 v8, v4, 16, 1
	v_cmp_u_f32_e32 vcc_lo, v5, v5
	v_or_b32_e32 v10, 0x400000, v2
	flat_store_short_d16_hi v[12:13], v6 offset:80
	v_add3_u32 v6, v8, v4, 0x7fff
	v_cndmask_b32_e32 v5, v7, v9, vcc_lo
	v_bfe_u32 v7, v3, 16, 1
	v_or_b32_e32 v8, 0x400000, v4
	v_cmp_u_f32_e32 vcc_lo, v4, v4
	v_or_b32_e32 v9, 0x400000, v1
	flat_store_short_d16_hi v[12:13], v5 offset:96
	v_add3_u32 v5, v7, v3, 0x7fff
	v_or_b32_e32 v7, 0x400000, v3
	v_cndmask_b32_e32 v4, v6, v8, vcc_lo
	v_bfe_u32 v6, v0, 16, 1
	v_cmp_u_f32_e32 vcc_lo, v3, v3
	v_bfe_u32 v8, v1, 16, 1
	v_add3_u32 v6, v6, v0, 0x7fff
	v_cndmask_b32_e32 v3, v5, v7, vcc_lo
	v_or_b32_e32 v7, 0x400000, v0
	v_cmp_u_f32_e32 vcc_lo, v0, v0
	v_bfe_u32 v5, v2, 16, 1
	v_add3_u32 v8, v8, v1, 0x7fff
	v_cndmask_b32_e32 v0, v6, v7, vcc_lo
	v_cmp_u_f32_e32 vcc_lo, v1, v1
	v_add3_u32 v5, v5, v2, 0x7fff
	v_cndmask_b32_e32 v1, v8, v9, vcc_lo
	v_cmp_u_f32_e32 vcc_lo, v2, v2
	v_cndmask_b32_e32 v2, v5, v10, vcc_lo
	flat_store_short_d16_hi v[12:13], v4 offset:112
	flat_store_short_d16_hi v[12:13], v3 offset:128
	;; [unrolled: 1-line block ×5, first 2 shown]
.LBB374_1636:
	s_or_b32 exec_lo, exec_lo, s19
	s_clause 0x2f
	buffer_load_dword v127, off, s[0:3], s32 offset:8
	buffer_load_dword v126, off, s[0:3], s32 offset:12
	;; [unrolled: 1-line block ×48, first 2 shown]
	s_waitcnt vmcnt(0) lgkmcnt(0)
	s_setpc_b64 s[30:31]
.LBB374_1637:
	ds_read_b32 v14, v12
	s_waitcnt lgkmcnt(0)
	v_add_f32_e32 v11, v14, v11
	s_or_b32 exec_lo, exec_lo, s4
	s_and_saveexec_b32 s4, vcc_lo
	s_cbranch_execz .LBB374_1605
.LBB374_1638:
	ds_read_b32 v14, v12 offset:32
	s_waitcnt lgkmcnt(0)
	v_add_f32_e32 v10, v14, v10
	s_or_b32 exec_lo, exec_lo, s4
	s_and_saveexec_b32 s4, vcc_lo
	s_cbranch_execz .LBB374_1606
.LBB374_1639:
	ds_read_b32 v14, v12 offset:64
	s_waitcnt lgkmcnt(0)
	v_add_f32_e32 v9, v14, v9
	s_or_b32 exec_lo, exec_lo, s4
	s_and_saveexec_b32 s4, vcc_lo
	s_cbranch_execz .LBB374_1607
.LBB374_1640:
	ds_read_b32 v14, v12 offset:96
	s_waitcnt lgkmcnt(0)
	v_add_f32_e32 v8, v14, v8
	s_or_b32 exec_lo, exec_lo, s4
	s_and_saveexec_b32 s4, vcc_lo
	s_cbranch_execz .LBB374_1608
.LBB374_1641:
	ds_read_b32 v14, v12 offset:128
	s_waitcnt lgkmcnt(0)
	v_add_f32_e32 v7, v14, v7
	s_or_b32 exec_lo, exec_lo, s4
	s_and_saveexec_b32 s4, vcc_lo
	s_cbranch_execz .LBB374_1609
.LBB374_1642:
	ds_read_b32 v14, v12 offset:160
	s_waitcnt lgkmcnt(0)
	v_add_f32_e32 v6, v14, v6
	s_or_b32 exec_lo, exec_lo, s4
	s_and_saveexec_b32 s4, vcc_lo
	s_cbranch_execz .LBB374_1610
.LBB374_1643:
	ds_read_b32 v14, v12 offset:192
	s_waitcnt lgkmcnt(0)
	v_add_f32_e32 v5, v14, v5
	s_or_b32 exec_lo, exec_lo, s4
	s_and_saveexec_b32 s4, vcc_lo
	s_cbranch_execz .LBB374_1611
.LBB374_1644:
	ds_read_b32 v14, v12 offset:224
	s_waitcnt lgkmcnt(0)
	v_add_f32_e32 v4, v14, v4
	s_or_b32 exec_lo, exec_lo, s4
	s_and_saveexec_b32 s4, vcc_lo
	s_cbranch_execz .LBB374_1612
.LBB374_1645:
	ds_read_b32 v14, v12 offset:256
	s_waitcnt lgkmcnt(0)
	v_add_f32_e32 v3, v14, v3
	s_or_b32 exec_lo, exec_lo, s4
	s_and_saveexec_b32 s4, vcc_lo
	s_cbranch_execz .LBB374_1613
.LBB374_1646:
	ds_read_b32 v14, v12 offset:288
	s_waitcnt lgkmcnt(0)
	v_add_f32_e32 v0, v14, v0
	s_or_b32 exec_lo, exec_lo, s4
	s_and_saveexec_b32 s4, vcc_lo
	s_cbranch_execz .LBB374_1614
.LBB374_1647:
	ds_read_b32 v14, v12 offset:320
	s_waitcnt lgkmcnt(0)
	v_add_f32_e32 v1, v14, v1
	s_or_b32 exec_lo, exec_lo, s4
	s_and_saveexec_b32 s4, vcc_lo
	s_cbranch_execnz .LBB374_1615
	s_branch .LBB374_1616
.LBB374_1648:
	ds_read_b32 v13, v12
	s_waitcnt lgkmcnt(0)
	v_add_f32_e32 v11, v13, v11
	s_or_b32 exec_lo, exec_lo, s4
	s_and_saveexec_b32 s4, vcc_lo
	s_cbranch_execz .LBB374_1622
.LBB374_1649:
	ds_read_b32 v13, v12 offset:32
	s_waitcnt lgkmcnt(0)
	v_add_f32_e32 v10, v13, v10
	s_or_b32 exec_lo, exec_lo, s4
	s_and_saveexec_b32 s4, vcc_lo
	s_cbranch_execz .LBB374_1623
.LBB374_1650:
	ds_read_b32 v13, v12 offset:64
	s_waitcnt lgkmcnt(0)
	v_add_f32_e32 v9, v13, v9
	s_or_b32 exec_lo, exec_lo, s4
	s_and_saveexec_b32 s4, vcc_lo
	s_cbranch_execz .LBB374_1624
.LBB374_1651:
	ds_read_b32 v13, v12 offset:96
	s_waitcnt lgkmcnt(0)
	v_add_f32_e32 v8, v13, v8
	s_or_b32 exec_lo, exec_lo, s4
	s_and_saveexec_b32 s4, vcc_lo
	s_cbranch_execz .LBB374_1625
.LBB374_1652:
	ds_read_b32 v13, v12 offset:128
	s_waitcnt lgkmcnt(0)
	v_add_f32_e32 v7, v13, v7
	s_or_b32 exec_lo, exec_lo, s4
	s_and_saveexec_b32 s4, vcc_lo
	s_cbranch_execz .LBB374_1626
.LBB374_1653:
	ds_read_b32 v13, v12 offset:160
	s_waitcnt lgkmcnt(0)
	v_add_f32_e32 v6, v13, v6
	s_or_b32 exec_lo, exec_lo, s4
	s_and_saveexec_b32 s4, vcc_lo
	s_cbranch_execz .LBB374_1627
.LBB374_1654:
	ds_read_b32 v13, v12 offset:192
	s_waitcnt lgkmcnt(0)
	v_add_f32_e32 v5, v13, v5
	s_or_b32 exec_lo, exec_lo, s4
	s_and_saveexec_b32 s4, vcc_lo
	s_cbranch_execz .LBB374_1628
.LBB374_1655:
	ds_read_b32 v13, v12 offset:224
	s_waitcnt lgkmcnt(0)
	v_add_f32_e32 v4, v13, v4
	s_or_b32 exec_lo, exec_lo, s4
	s_and_saveexec_b32 s4, vcc_lo
	s_cbranch_execz .LBB374_1629
.LBB374_1656:
	ds_read_b32 v13, v12 offset:256
	s_waitcnt lgkmcnt(0)
	v_add_f32_e32 v3, v13, v3
	s_or_b32 exec_lo, exec_lo, s4
	s_and_saveexec_b32 s4, vcc_lo
	s_cbranch_execz .LBB374_1630
.LBB374_1657:
	ds_read_b32 v13, v12 offset:288
	s_waitcnt lgkmcnt(0)
	v_add_f32_e32 v0, v13, v0
	s_or_b32 exec_lo, exec_lo, s4
	s_and_saveexec_b32 s4, vcc_lo
	s_cbranch_execz .LBB374_1631
.LBB374_1658:
	ds_read_b32 v13, v12 offset:320
	s_waitcnt lgkmcnt(0)
	v_add_f32_e32 v1, v13, v1
	s_or_b32 exec_lo, exec_lo, s4
	s_and_saveexec_b32 s4, vcc_lo
	s_cbranch_execnz .LBB374_1632
	s_branch .LBB374_1633
.Lfunc_end374:
	.size	_ZN4vllm22paged_attention_kernelI14__hip_bfloat16hLi96ELi32ELi128ELNS_18Fp8KVCacheDataTypeE1ELb1ELi512EEEvPfS3_PT_PKS4_PKT0_SA_ifPKiSC_iPKfiiiSE_SE_iiiii, .Lfunc_end374-_ZN4vllm22paged_attention_kernelI14__hip_bfloat16hLi96ELi32ELi128ELNS_18Fp8KVCacheDataTypeE1ELb1ELi512EEEvPfS3_PT_PKS4_PKT0_SA_ifPKiSC_iPKfiiiSE_SE_iiiii
                                        ; -- End function
	.set .L_ZN4vllm22paged_attention_kernelI14__hip_bfloat16hLi96ELi32ELi128ELNS_18Fp8KVCacheDataTypeE1ELb1ELi512EEEvPfS3_PT_PKS4_PKT0_SA_ifPKiSC_iPKfiiiSE_SE_iiiii.num_vgpr, 128
	.set .L_ZN4vllm22paged_attention_kernelI14__hip_bfloat16hLi96ELi32ELi128ELNS_18Fp8KVCacheDataTypeE1ELb1ELi512EEEvPfS3_PT_PKS4_PKT0_SA_ifPKiSC_iPKfiiiSE_SE_iiiii.num_agpr, 0
	.set .L_ZN4vllm22paged_attention_kernelI14__hip_bfloat16hLi96ELi32ELi128ELNS_18Fp8KVCacheDataTypeE1ELb1ELi512EEEvPfS3_PT_PKS4_PKT0_SA_ifPKiSC_iPKfiiiSE_SE_iiiii.numbered_sgpr, 33
	.set .L_ZN4vllm22paged_attention_kernelI14__hip_bfloat16hLi96ELi32ELi128ELNS_18Fp8KVCacheDataTypeE1ELb1ELi512EEEvPfS3_PT_PKS4_PKT0_SA_ifPKiSC_iPKfiiiSE_SE_iiiii.num_named_barrier, 0
	.set .L_ZN4vllm22paged_attention_kernelI14__hip_bfloat16hLi96ELi32ELi128ELNS_18Fp8KVCacheDataTypeE1ELb1ELi512EEEvPfS3_PT_PKS4_PKT0_SA_ifPKiSC_iPKfiiiSE_SE_iiiii.private_seg_size, 716
	.set .L_ZN4vllm22paged_attention_kernelI14__hip_bfloat16hLi96ELi32ELi128ELNS_18Fp8KVCacheDataTypeE1ELb1ELi512EEEvPfS3_PT_PKS4_PKT0_SA_ifPKiSC_iPKfiiiSE_SE_iiiii.uses_vcc, 1
	.set .L_ZN4vllm22paged_attention_kernelI14__hip_bfloat16hLi96ELi32ELi128ELNS_18Fp8KVCacheDataTypeE1ELb1ELi512EEEvPfS3_PT_PKS4_PKT0_SA_ifPKiSC_iPKfiiiSE_SE_iiiii.uses_flat_scratch, 0
	.set .L_ZN4vllm22paged_attention_kernelI14__hip_bfloat16hLi96ELi32ELi128ELNS_18Fp8KVCacheDataTypeE1ELb1ELi512EEEvPfS3_PT_PKS4_PKT0_SA_ifPKiSC_iPKfiiiSE_SE_iiiii.has_dyn_sized_stack, 0
	.set .L_ZN4vllm22paged_attention_kernelI14__hip_bfloat16hLi96ELi32ELi128ELNS_18Fp8KVCacheDataTypeE1ELb1ELi512EEEvPfS3_PT_PKS4_PKT0_SA_ifPKiSC_iPKfiiiSE_SE_iiiii.has_recursion, 0
	.set .L_ZN4vllm22paged_attention_kernelI14__hip_bfloat16hLi96ELi32ELi128ELNS_18Fp8KVCacheDataTypeE1ELb1ELi512EEEvPfS3_PT_PKS4_PKT0_SA_ifPKiSC_iPKfiiiSE_SE_iiiii.has_indirect_call, 0
	.section	.AMDGPU.csdata,"",@progbits
; Function info:
; codeLenInByte = 64744
; TotalNumSgprs: 35
; NumVgprs: 128
; ScratchSize: 716
; MemoryBound: 0
	.section	.text._ZN4vllm25paged_attention_v2_kernelI14__hip_bfloat16hLi96ELi32ELi128ELNS_18Fp8KVCacheDataTypeE1ELb1ELi512EEEvPfS3_PT_PKS4_PKT0_SA_ifPKiSC_iPKfiiiSE_SE_iiiii,"axG",@progbits,_ZN4vllm25paged_attention_v2_kernelI14__hip_bfloat16hLi96ELi32ELi128ELNS_18Fp8KVCacheDataTypeE1ELb1ELi512EEEvPfS3_PT_PKS4_PKT0_SA_ifPKiSC_iPKfiiiSE_SE_iiiii,comdat
	.protected	_ZN4vllm25paged_attention_v2_kernelI14__hip_bfloat16hLi96ELi32ELi128ELNS_18Fp8KVCacheDataTypeE1ELb1ELi512EEEvPfS3_PT_PKS4_PKT0_SA_ifPKiSC_iPKfiiiSE_SE_iiiii ; -- Begin function _ZN4vllm25paged_attention_v2_kernelI14__hip_bfloat16hLi96ELi32ELi128ELNS_18Fp8KVCacheDataTypeE1ELb1ELi512EEEvPfS3_PT_PKS4_PKT0_SA_ifPKiSC_iPKfiiiSE_SE_iiiii
	.globl	_ZN4vllm25paged_attention_v2_kernelI14__hip_bfloat16hLi96ELi32ELi128ELNS_18Fp8KVCacheDataTypeE1ELb1ELi512EEEvPfS3_PT_PKS4_PKT0_SA_ifPKiSC_iPKfiiiSE_SE_iiiii
	.p2align	8
	.type	_ZN4vllm25paged_attention_v2_kernelI14__hip_bfloat16hLi96ELi32ELi128ELNS_18Fp8KVCacheDataTypeE1ELb1ELi512EEEvPfS3_PT_PKS4_PKT0_SA_ifPKiSC_iPKfiiiSE_SE_iiiii,@function
_ZN4vllm25paged_attention_v2_kernelI14__hip_bfloat16hLi96ELi32ELi128ELNS_18Fp8KVCacheDataTypeE1ELb1ELi512EEEvPfS3_PT_PKS4_PKT0_SA_ifPKiSC_iPKfiiiSE_SE_iiiii: ; @_ZN4vllm25paged_attention_v2_kernelI14__hip_bfloat16hLi96ELi32ELi128ELNS_18Fp8KVCacheDataTypeE1ELb1ELi512EEEvPfS3_PT_PKS4_PKT0_SA_ifPKiSC_iPKfiiiSE_SE_iiiii
; %bb.0:
	s_mov_b32 s14, s8
	s_clause 0x7
	s_load_dwordx4 s[36:39], s[4:5], 0x78
	s_load_dword s8, s[4:5], 0x88
	s_load_dwordx8 s[40:47], s[4:5], 0x0
	s_load_dwordx8 s[24:31], s[4:5], 0x20
	s_load_dwordx2 s[10:11], s[4:5], 0x40
	s_load_dwordx2 s[34:35], s[4:5], 0x50
	s_load_dword s13, s[4:5], 0x48
	s_load_dwordx8 s[16:23], s[4:5], 0x58
	s_add_u32 s0, s0, s9
	s_mov_b32 s32, 0
	s_addc_u32 s1, s1, 0
	v_mov_b32_e32 v31, v0
	s_mov_b32 s12, s6
	s_mov_b32 s15, 15
	s_waitcnt lgkmcnt(0)
	v_mov_b32_e32 v1, s39
	v_mov_b32_e32 v2, s8
	;; [unrolled: 1-line block ×4, first 2 shown]
	buffer_store_dword v1, off, s[0:3], s32
	buffer_store_dword v2, off, s[0:3], s32 offset:4
	v_mov_b32_e32 v1, s41
	v_mov_b32_e32 v2, s42
	;; [unrolled: 1-line block ×29, first 2 shown]
	s_add_u32 s8, s4, 0x90
	s_addc_u32 s9, s5, 0
	s_getpc_b64 s[4:5]
	s_add_u32 s4, s4, _ZN4vllm22paged_attention_kernelI14__hip_bfloat16hLi96ELi32ELi128ELNS_18Fp8KVCacheDataTypeE1ELb1ELi512EEEvPfS3_PT_PKS4_PKT0_SA_ifPKiSC_iPKfiiiSE_SE_iiiii@rel32@lo+4
	s_addc_u32 s5, s5, _ZN4vllm22paged_attention_kernelI14__hip_bfloat16hLi96ELi32ELi128ELNS_18Fp8KVCacheDataTypeE1ELb1ELi512EEEvPfS3_PT_PKS4_PKT0_SA_ifPKiSC_iPKfiiiSE_SE_iiiii@rel32@hi+12
	s_mov_b32 s13, s7
	s_swappc_b64 s[30:31], s[4:5]
	s_endpgm
	.section	.rodata,"a",@progbits
	.p2align	6, 0x0
	.amdhsa_kernel _ZN4vllm25paged_attention_v2_kernelI14__hip_bfloat16hLi96ELi32ELi128ELNS_18Fp8KVCacheDataTypeE1ELb1ELi512EEEvPfS3_PT_PKS4_PKT0_SA_ifPKiSC_iPKfiiiSE_SE_iiiii
		.amdhsa_group_segment_fixed_size 224
		.amdhsa_private_segment_fixed_size 716
		.amdhsa_kernarg_size 400
		.amdhsa_user_sgpr_count 6
		.amdhsa_user_sgpr_private_segment_buffer 1
		.amdhsa_user_sgpr_dispatch_ptr 0
		.amdhsa_user_sgpr_queue_ptr 0
		.amdhsa_user_sgpr_kernarg_segment_ptr 1
		.amdhsa_user_sgpr_dispatch_id 0
		.amdhsa_user_sgpr_flat_scratch_init 0
		.amdhsa_user_sgpr_private_segment_size 0
		.amdhsa_wavefront_size32 1
		.amdhsa_uses_dynamic_stack 0
		.amdhsa_system_sgpr_private_segment_wavefront_offset 1
		.amdhsa_system_sgpr_workgroup_id_x 1
		.amdhsa_system_sgpr_workgroup_id_y 1
		.amdhsa_system_sgpr_workgroup_id_z 1
		.amdhsa_system_sgpr_workgroup_info 0
		.amdhsa_system_vgpr_workitem_id 0
		.amdhsa_next_free_vgpr 128
		.amdhsa_next_free_sgpr 48
		.amdhsa_reserve_vcc 1
		.amdhsa_reserve_flat_scratch 0
		.amdhsa_float_round_mode_32 0
		.amdhsa_float_round_mode_16_64 0
		.amdhsa_float_denorm_mode_32 3
		.amdhsa_float_denorm_mode_16_64 3
		.amdhsa_dx10_clamp 1
		.amdhsa_ieee_mode 1
		.amdhsa_fp16_overflow 0
		.amdhsa_workgroup_processor_mode 1
		.amdhsa_memory_ordered 1
		.amdhsa_forward_progress 1
		.amdhsa_shared_vgpr_count 0
		.amdhsa_exception_fp_ieee_invalid_op 0
		.amdhsa_exception_fp_denorm_src 0
		.amdhsa_exception_fp_ieee_div_zero 0
		.amdhsa_exception_fp_ieee_overflow 0
		.amdhsa_exception_fp_ieee_underflow 0
		.amdhsa_exception_fp_ieee_inexact 0
		.amdhsa_exception_int_div_zero 0
	.end_amdhsa_kernel
	.section	.text._ZN4vllm25paged_attention_v2_kernelI14__hip_bfloat16hLi96ELi32ELi128ELNS_18Fp8KVCacheDataTypeE1ELb1ELi512EEEvPfS3_PT_PKS4_PKT0_SA_ifPKiSC_iPKfiiiSE_SE_iiiii,"axG",@progbits,_ZN4vllm25paged_attention_v2_kernelI14__hip_bfloat16hLi96ELi32ELi128ELNS_18Fp8KVCacheDataTypeE1ELb1ELi512EEEvPfS3_PT_PKS4_PKT0_SA_ifPKiSC_iPKfiiiSE_SE_iiiii,comdat
.Lfunc_end375:
	.size	_ZN4vllm25paged_attention_v2_kernelI14__hip_bfloat16hLi96ELi32ELi128ELNS_18Fp8KVCacheDataTypeE1ELb1ELi512EEEvPfS3_PT_PKS4_PKT0_SA_ifPKiSC_iPKfiiiSE_SE_iiiii, .Lfunc_end375-_ZN4vllm25paged_attention_v2_kernelI14__hip_bfloat16hLi96ELi32ELi128ELNS_18Fp8KVCacheDataTypeE1ELb1ELi512EEEvPfS3_PT_PKS4_PKT0_SA_ifPKiSC_iPKfiiiSE_SE_iiiii
                                        ; -- End function
	.set _ZN4vllm25paged_attention_v2_kernelI14__hip_bfloat16hLi96ELi32ELi128ELNS_18Fp8KVCacheDataTypeE1ELb1ELi512EEEvPfS3_PT_PKS4_PKT0_SA_ifPKiSC_iPKfiiiSE_SE_iiiii.num_vgpr, max(32, .L_ZN4vllm22paged_attention_kernelI14__hip_bfloat16hLi96ELi32ELi128ELNS_18Fp8KVCacheDataTypeE1ELb1ELi512EEEvPfS3_PT_PKS4_PKT0_SA_ifPKiSC_iPKfiiiSE_SE_iiiii.num_vgpr)
	.set _ZN4vllm25paged_attention_v2_kernelI14__hip_bfloat16hLi96ELi32ELi128ELNS_18Fp8KVCacheDataTypeE1ELb1ELi512EEEvPfS3_PT_PKS4_PKT0_SA_ifPKiSC_iPKfiiiSE_SE_iiiii.num_agpr, max(0, .L_ZN4vllm22paged_attention_kernelI14__hip_bfloat16hLi96ELi32ELi128ELNS_18Fp8KVCacheDataTypeE1ELb1ELi512EEEvPfS3_PT_PKS4_PKT0_SA_ifPKiSC_iPKfiiiSE_SE_iiiii.num_agpr)
	.set _ZN4vllm25paged_attention_v2_kernelI14__hip_bfloat16hLi96ELi32ELi128ELNS_18Fp8KVCacheDataTypeE1ELb1ELi512EEEvPfS3_PT_PKS4_PKT0_SA_ifPKiSC_iPKfiiiSE_SE_iiiii.numbered_sgpr, max(48, .L_ZN4vllm22paged_attention_kernelI14__hip_bfloat16hLi96ELi32ELi128ELNS_18Fp8KVCacheDataTypeE1ELb1ELi512EEEvPfS3_PT_PKS4_PKT0_SA_ifPKiSC_iPKfiiiSE_SE_iiiii.numbered_sgpr)
	.set _ZN4vllm25paged_attention_v2_kernelI14__hip_bfloat16hLi96ELi32ELi128ELNS_18Fp8KVCacheDataTypeE1ELb1ELi512EEEvPfS3_PT_PKS4_PKT0_SA_ifPKiSC_iPKfiiiSE_SE_iiiii.num_named_barrier, max(0, .L_ZN4vllm22paged_attention_kernelI14__hip_bfloat16hLi96ELi32ELi128ELNS_18Fp8KVCacheDataTypeE1ELb1ELi512EEEvPfS3_PT_PKS4_PKT0_SA_ifPKiSC_iPKfiiiSE_SE_iiiii.num_named_barrier)
	.set _ZN4vllm25paged_attention_v2_kernelI14__hip_bfloat16hLi96ELi32ELi128ELNS_18Fp8KVCacheDataTypeE1ELb1ELi512EEEvPfS3_PT_PKS4_PKT0_SA_ifPKiSC_iPKfiiiSE_SE_iiiii.private_seg_size, 0+max(.L_ZN4vllm22paged_attention_kernelI14__hip_bfloat16hLi96ELi32ELi128ELNS_18Fp8KVCacheDataTypeE1ELb1ELi512EEEvPfS3_PT_PKS4_PKT0_SA_ifPKiSC_iPKfiiiSE_SE_iiiii.private_seg_size)
	.set _ZN4vllm25paged_attention_v2_kernelI14__hip_bfloat16hLi96ELi32ELi128ELNS_18Fp8KVCacheDataTypeE1ELb1ELi512EEEvPfS3_PT_PKS4_PKT0_SA_ifPKiSC_iPKfiiiSE_SE_iiiii.uses_vcc, or(1, .L_ZN4vllm22paged_attention_kernelI14__hip_bfloat16hLi96ELi32ELi128ELNS_18Fp8KVCacheDataTypeE1ELb1ELi512EEEvPfS3_PT_PKS4_PKT0_SA_ifPKiSC_iPKfiiiSE_SE_iiiii.uses_vcc)
	.set _ZN4vllm25paged_attention_v2_kernelI14__hip_bfloat16hLi96ELi32ELi128ELNS_18Fp8KVCacheDataTypeE1ELb1ELi512EEEvPfS3_PT_PKS4_PKT0_SA_ifPKiSC_iPKfiiiSE_SE_iiiii.uses_flat_scratch, or(0, .L_ZN4vllm22paged_attention_kernelI14__hip_bfloat16hLi96ELi32ELi128ELNS_18Fp8KVCacheDataTypeE1ELb1ELi512EEEvPfS3_PT_PKS4_PKT0_SA_ifPKiSC_iPKfiiiSE_SE_iiiii.uses_flat_scratch)
	.set _ZN4vllm25paged_attention_v2_kernelI14__hip_bfloat16hLi96ELi32ELi128ELNS_18Fp8KVCacheDataTypeE1ELb1ELi512EEEvPfS3_PT_PKS4_PKT0_SA_ifPKiSC_iPKfiiiSE_SE_iiiii.has_dyn_sized_stack, or(0, .L_ZN4vllm22paged_attention_kernelI14__hip_bfloat16hLi96ELi32ELi128ELNS_18Fp8KVCacheDataTypeE1ELb1ELi512EEEvPfS3_PT_PKS4_PKT0_SA_ifPKiSC_iPKfiiiSE_SE_iiiii.has_dyn_sized_stack)
	.set _ZN4vllm25paged_attention_v2_kernelI14__hip_bfloat16hLi96ELi32ELi128ELNS_18Fp8KVCacheDataTypeE1ELb1ELi512EEEvPfS3_PT_PKS4_PKT0_SA_ifPKiSC_iPKfiiiSE_SE_iiiii.has_recursion, or(0, .L_ZN4vllm22paged_attention_kernelI14__hip_bfloat16hLi96ELi32ELi128ELNS_18Fp8KVCacheDataTypeE1ELb1ELi512EEEvPfS3_PT_PKS4_PKT0_SA_ifPKiSC_iPKfiiiSE_SE_iiiii.has_recursion)
	.set _ZN4vllm25paged_attention_v2_kernelI14__hip_bfloat16hLi96ELi32ELi128ELNS_18Fp8KVCacheDataTypeE1ELb1ELi512EEEvPfS3_PT_PKS4_PKT0_SA_ifPKiSC_iPKfiiiSE_SE_iiiii.has_indirect_call, or(0, .L_ZN4vllm22paged_attention_kernelI14__hip_bfloat16hLi96ELi32ELi128ELNS_18Fp8KVCacheDataTypeE1ELb1ELi512EEEvPfS3_PT_PKS4_PKT0_SA_ifPKiSC_iPKfiiiSE_SE_iiiii.has_indirect_call)
	.section	.AMDGPU.csdata,"",@progbits
; Kernel info:
; codeLenInByte = 292
; TotalNumSgprs: 50
; NumVgprs: 128
; ScratchSize: 716
; MemoryBound: 0
; FloatMode: 240
; IeeeMode: 1
; LDSByteSize: 224 bytes/workgroup (compile time only)
; SGPRBlocks: 0
; VGPRBlocks: 15
; NumSGPRsForWavesPerEU: 50
; NumVGPRsForWavesPerEU: 128
; Occupancy: 8
; WaveLimiterHint : 1
; COMPUTE_PGM_RSRC2:SCRATCH_EN: 1
; COMPUTE_PGM_RSRC2:USER_SGPR: 6
; COMPUTE_PGM_RSRC2:TRAP_HANDLER: 0
; COMPUTE_PGM_RSRC2:TGID_X_EN: 1
; COMPUTE_PGM_RSRC2:TGID_Y_EN: 1
; COMPUTE_PGM_RSRC2:TGID_Z_EN: 1
; COMPUTE_PGM_RSRC2:TIDIG_COMP_CNT: 0
	.text
	.p2align	2                               ; -- Begin function _ZN4vllm22paged_attention_kernelI14__hip_bfloat16hLi112ELi32ELi128ELNS_18Fp8KVCacheDataTypeE1ELb1ELi512EEEvPfS3_PT_PKS4_PKT0_SA_ifPKiSC_iPKfiiiSE_SE_iiiii
	.type	_ZN4vllm22paged_attention_kernelI14__hip_bfloat16hLi112ELi32ELi128ELNS_18Fp8KVCacheDataTypeE1ELb1ELi512EEEvPfS3_PT_PKS4_PKT0_SA_ifPKiSC_iPKfiiiSE_SE_iiiii,@function
_ZN4vllm22paged_attention_kernelI14__hip_bfloat16hLi112ELi32ELi128ELNS_18Fp8KVCacheDataTypeE1ELb1ELi512EEEvPfS3_PT_PKS4_PKT0_SA_ifPKiSC_iPKfiiiSE_SE_iiiii: ; @_ZN4vllm22paged_attention_kernelI14__hip_bfloat16hLi112ELi32ELi128ELNS_18Fp8KVCacheDataTypeE1ELb1ELi512EEEvPfS3_PT_PKS4_PKT0_SA_ifPKiSC_iPKfiiiSE_SE_iiiii
; %bb.0:
	s_waitcnt vmcnt(0) expcnt(0) lgkmcnt(0)
	buffer_store_dword v40, off, s[0:3], s32 offset:196 ; 4-byte Folded Spill
	buffer_store_dword v41, off, s[0:3], s32 offset:192 ; 4-byte Folded Spill
	;; [unrolled: 1-line block ×48, first 2 shown]
	s_mov_b32 s18, s13
	s_ashr_i32 s19, s13, 31
	buffer_store_dword v26, off, s[0:3], s32 offset:364 ; 4-byte Folded Spill
	buffer_store_dword v27, off, s[0:3], s32 offset:368 ; 4-byte Folded Spill
	;; [unrolled: 1-line block ×8, first 2 shown]
	s_lshl_b64 s[4:5], s[18:19], 2
	v_mov_b32_e32 v24, v0
	v_add_co_u32 v0, vcc_lo, v16, s4
	v_mov_b32_e32 v22, v1
	v_add_co_ci_u32_e64 v1, null, s5, v17, vcc_lo
	v_mov_b32_e32 v25, v3
	v_mov_b32_e32 v26, v2
	s_lshl_b32 s7, s14, 9
	flat_load_dword v38, v[0:1]
	s_clause 0x1
	buffer_load_dword v0, off, s[0:3], s32 offset:4
	buffer_load_dword v1, off, s[0:3], s32
	s_mov_b32 s19, exec_lo
	s_waitcnt vmcnt(2) lgkmcnt(0)
	v_cmpx_lt_i32_e64 s7, v38
	s_cbranch_execz .LBB376_1900
; %bb.1:
	v_sub_nc_u32_e32 v2, 0, v12
	s_clause 0x1
	s_load_dword s4, s[8:9], 0x10
	s_load_dword s5, s[8:9], 0x0
	s_mov_b32 s16, s15
	v_max_i32_e32 v2, v12, v2
	v_cvt_f32_u32_e32 v3, v2
	v_sub_nc_u32_e32 v4, 0, v2
	v_rcp_iflag_f32_e32 v3, v3
	s_waitcnt lgkmcnt(0)
	s_lshr_b32 s4, s4, 16
	s_cmp_lg_u32 s4, 0
	s_cselect_b32 s4, -1, 0
	v_mul_f32_e32 v3, 0x4f7ffffe, v3
	s_cmp_lg_u32 s4, 0
	s_addc_u32 s15, s5, 0
	s_mov_b32 s5, exec_lo
	v_cvt_u32_f32_e32 v3, v3
	s_abs_i32 s4, s15
	v_mul_lo_u32 v4, v4, v3
	v_mul_hi_u32 v4, v3, v4
	v_add_nc_u32_e32 v3, v3, v4
	v_mul_hi_u32 v3, s4, v3
	v_mul_lo_u32 v4, v3, v2
	v_add_nc_u32_e32 v5, 1, v3
	v_sub_nc_u32_e32 v4, s4, v4
	s_abs_i32 s4, s12
	v_sub_nc_u32_e32 v13, v4, v2
	v_cmp_ge_u32_e32 vcc_lo, v4, v2
	v_cndmask_b32_e32 v3, v3, v5, vcc_lo
	v_cndmask_b32_e32 v4, v4, v13, vcc_lo
	v_xor_b32_e32 v5, s15, v12
	v_add_nc_u32_e32 v13, 1, v3
	v_cmp_ge_u32_e32 vcc_lo, v4, v2
	v_ashrrev_i32_e32 v5, 31, v5
	v_cndmask_b32_e32 v2, v3, v13, vcc_lo
	v_xor_b32_e32 v2, v2, v5
	v_sub_nc_u32_e32 v3, v2, v5
	v_sub_nc_u32_e32 v2, 0, v3
	v_max_i32_e32 v2, v3, v2
	v_cvt_f32_u32_e32 v4, v2
	v_sub_nc_u32_e32 v5, 0, v2
	v_rcp_iflag_f32_e32 v4, v4
	v_mul_f32_e32 v4, 0x4f7ffffe, v4
	v_cvt_u32_f32_e32 v4, v4
	v_mul_lo_u32 v5, v5, v4
	v_mul_hi_u32 v5, v4, v5
	v_add_nc_u32_e32 v4, v4, v5
	v_mad_u64_u32 v[16:17], null, s4, v4, 0
	v_mov_b32_e32 v4, 0
	buffer_store_dword v4, off, s[0:3], s32 offset:260 ; 4-byte Folded Spill
	v_cmpx_ne_u64_e32 0, v[19:20]
	s_cbranch_execz .LBB376_3
; %bb.2:
	s_ashr_i32 s13, s12, 31
	s_lshl_b64 s[10:11], s[12:13], 2
	v_add_co_u32 v4, vcc_lo, v19, s10
	v_add_co_ci_u32_e64 v5, null, s11, v20, vcc_lo
	flat_load_dword v4, v[4:5]
	s_waitcnt vmcnt(0) lgkmcnt(0)
	buffer_store_dword v4, off, s[0:3], s32 offset:260 ; 4-byte Folded Spill
.LBB376_3:
	s_or_b32 exec_lo, exec_lo, s5
	v_and_b32_e32 v16, 0x3ff, v31
	v_ashrrev_i32_e32 v3, 31, v3
	s_ashr_i32 s5, s12, 31
	s_mul_i32 s10, s12, 0x70
	s_mov_b32 s6, exec_lo
	v_cmpx_gt_u32_e32 14, v16
	s_cbranch_execz .LBB376_5
; %bb.4:
	v_mul_lo_u32 v4, v21, s18
	s_ashr_i32 s11, s10, 31
	v_lshlrev_b32_e32 v13, 4, v16
	s_lshl_b64 s[20:21], s[10:11], 1
	v_ashrrev_i32_e32 v5, 31, v4
	v_lshlrev_b64 v[4:5], 1, v[4:5]
	v_add_co_u32 v4, vcc_lo, v6, v4
	v_add_co_ci_u32_e64 v5, null, v7, v5, vcc_lo
	v_add_co_u32 v4, vcc_lo, v4, s20
	v_add_co_ci_u32_e64 v5, null, s21, v5, vcc_lo
	;; [unrolled: 2-line block ×3, first 2 shown]
	flat_load_dwordx4 v[4:7], v[4:5]
	s_waitcnt vmcnt(0) lgkmcnt(0)
	ds_write_b128 v13, v[4:7]
.LBB376_5:
	s_or_b32 exec_lo, exec_lo, s6
	s_waitcnt vmcnt(0)
	v_sub_nc_u32_e32 v4, 0, v1
	v_mul_lo_u32 v5, v17, v2
	v_add_nc_u32_e32 v7, 1, v17
	v_xor_b32_e32 v3, s5, v3
	v_max_i32_e32 v49, v1, v4
	v_sub_nc_u32_e32 v5, s4, v5
	v_cvt_f32_u32_e32 v4, v49
	s_mov_b32 s4, exec_lo
	v_sub_nc_u32_e32 v19, v5, v2
	v_rcp_iflag_f32_e32 v4, v4
	v_cmp_ge_u32_e32 vcc_lo, v5, v2
	v_cndmask_b32_e32 v7, v17, v7, vcc_lo
	v_cndmask_b32_e32 v5, v5, v19, vcc_lo
	v_mul_f32_e32 v4, 0x4f7ffffe, v4
	v_add_nc_u32_e32 v19, 1, v7
	v_cmp_ge_u32_e32 vcc_lo, v5, v2
	v_cvt_u32_f32_e32 v6, v4
	v_sub_nc_u32_e32 v4, 0, v49
	v_cndmask_b32_e32 v5, v7, v19, vcc_lo
	v_mul_lo_u32 v13, v4, v6
	v_add_nc_u32_e32 v4, -1, v38
	v_xor_b32_e32 v5, v5, v3
	v_mul_hi_u32 v17, v6, v13
	v_sub_nc_u32_e32 v13, 0, v4
	v_max_i32_e32 v2, v4, v13
	v_add_nc_u32_e32 v6, v6, v17
	buffer_store_dword v6, off, s[0:3], s32 offset:216 ; 4-byte Folded Spill
	v_mad_u64_u32 v[6:7], null, v2, v6, 0
	v_sub_nc_u32_e32 v6, v5, v3
                                        ; implicit-def: $vgpr3
	s_waitcnt lgkmcnt(0)
	s_waitcnt_vscnt null, 0x0
	s_barrier
	buffer_gl0_inv
	buffer_store_dword v3, off, s[0:3], s32 offset:200 ; 4-byte Folded Spill
	buffer_store_dword v4, off, s[0:3], s32 offset:204 ; 4-byte Folded Spill
	v_cmpx_gt_i32_e32 0, v0
	s_xor_b32 s4, exec_lo, s4
	s_cbranch_execz .LBB376_7
; %bb.6:
	v_mad_u64_u32 v[12:13], null, v28, v12, v[6:7]
                                        ; implicit-def: $vgpr28
	v_mul_lo_u32 v0, v12, v0
	v_sub_nc_u32_e32 v0, 1, v0
	buffer_store_dword v0, off, s[0:3], s32 offset:200 ; 4-byte Folded Spill
	buffer_store_dword v1, off, s[0:3], s32 offset:204 ; 4-byte Folded Spill
                                        ; implicit-def: $vgpr0
.LBB376_7:
	s_or_saveexec_b32 s4, s4
	v_ashrrev_i32_e32 v3, 31, v4
	v_ashrrev_i32_e32 v1, 31, v1
	buffer_store_dword v1, off, s[0:3], s32 offset:208 ; 4-byte Folded Spill
	s_xor_b32 exec_lo, exec_lo, s4
	s_cbranch_execz .LBB376_9
; %bb.8:
	v_mad_u64_u32 v[4:5], null, s15, v28, s[12:13]
	v_mad_u64_u32 v[0:1], null, v4, v0, 1
	buffer_store_dword v0, off, s[0:3], s32 offset:200 ; 4-byte Folded Spill
	buffer_store_dword v1, off, s[0:3], s32 offset:204 ; 4-byte Folded Spill
.LBB376_9:
	s_or_b32 exec_lo, exec_lo, s4
	s_clause 0x1
	s_load_dword s22, s[8:9], 0x14
	s_load_dword s11, s[8:9], 0x8
	buffer_load_dword v5, off, s[0:3], s32 offset:208 ; 4-byte Folded Reload
	v_mul_lo_u32 v0, v7, v49
	v_add_nc_u32_e32 v1, 31, v38
	v_add_nc_u32_e32 v4, 1, v7
	v_lshrrev_b32_e32 v12, 5, v16
	s_lshl_b32 s13, s14, 4
	v_mul_lo_u32 v37, v6, v23
	s_add_i32 s4, s13, 16
	buffer_store_dword v16, off, s[0:3], s32 offset:744 ; 4-byte Folded Spill
	v_sub_nc_u32_e32 v2, v2, v0
	v_mul_lo_u32 v0, v18, s18
	v_add_nc_u32_e32 v17, s13, v12
	v_mov_b32_e32 v19, 0xff7fffff
	v_sub_nc_u32_e32 v48, 0, v30
	v_sub_nc_u32_e32 v13, v2, v49
	v_cmp_ge_u32_e32 vcc_lo, v2, v49
	v_lshl_add_u32 v52, v12, 5, s7
	v_ashrrev_i32_e32 v50, 31, v37
	v_ashrrev_i32_e32 v18, 31, v17
	buffer_store_dword v12, off, s[0:3], s32 offset:748 ; 4-byte Folded Spill
	v_cndmask_b32_e32 v4, v7, v4, vcc_lo
	v_cndmask_b32_e32 v2, v2, v13, vcc_lo
	v_and_b32_e32 v13, 31, v16
	v_add_nc_u32_e32 v7, 1, v4
	v_cmp_ge_u32_e32 vcc_lo, v2, v49
	v_lshlrev_b32_e32 v16, 2, v13
	v_cndmask_b32_e32 v2, v4, v7, vcc_lo
	s_waitcnt vmcnt(0)
	v_xor_b32_e32 v3, v3, v5
	v_ashrrev_i32_e32 v5, 31, v1
	v_xor_b32_e32 v2, v2, v3
	v_lshrrev_b32_e32 v5, 27, v5
	v_sub_nc_u32_e32 v2, v2, v3
	v_add_nc_u32_e32 v1, v1, v5
	v_ashrrev_i32_e32 v39, 5, v1
	v_ashrrev_i32_e32 v1, 31, v0
	v_min_i32_e32 v4, s4, v39
	v_lshlrev_b64 v[35:36], 2, v[0:1]
	v_sub_nc_u32_e32 v0, v2, v29
	v_cmp_lt_i32_e64 s4, v17, v4
	buffer_store_dword v4, off, s[0:3], s32 offset:212 ; 4-byte Folded Spill
	buffer_store_dword v0, off, s[0:3], s32 offset:220 ; 4-byte Folded Spill
	;; [unrolled: 1-line block ×3, first 2 shown]
	s_and_saveexec_b32 s23, s4
	s_cbranch_execz .LBB376_913
; %bb.10:
	v_mov_b32_e32 v20, 0
	buffer_store_dword v39, off, s[0:3], s32 offset:808 ; 4-byte Folded Spill
	buffer_store_dword v26, off, s[0:3], s32 offset:792 ; 4-byte Folded Spill
	;; [unrolled: 1-line block ×7, first 2 shown]
	s_getpc_b64 s[8:9]
	s_add_u32 s8, s8, llvm.amdgcn.dynlds.offset.table@rel32@lo+4
	s_addc_u32 s9, s9, llvm.amdgcn.dynlds.offset.table@rel32@hi+12
	s_ashr_i32 s17, s16, 31
	v_mov_b32_e32 v98, 0x80
	ds_read_b128 v[0:3], v20
	ds_read_b128 v[4:7], v20 offset:16
	ds_read_b128 v[10:13], v20 offset:32
	s_lshl_b64 s[20:21], s[16:17], 2
	v_mov_b32_e32 v100, 0xff
	s_add_u32 s8, s8, s20
	s_addc_u32 s9, s9, s21
	v_mov_b32_e32 v103, v17
	s_mov_b32 s20, -1
	s_mov_b32 s17, 0
	s_mov_b32 s21, 0xffffff
	s_waitcnt lgkmcnt(0)
	v_lshlrev_b32_e32 v19, 16, v0
	v_and_b32_e32 v0, 0xffff0000, v0
	buffer_store_dword v19, off, s[0:3], s32 offset:264 ; 4-byte Folded Spill
	buffer_store_dword v0, off, s[0:3], s32 offset:268 ; 4-byte Folded Spill
	v_lshlrev_b32_e32 v0, 16, v1
	v_mov_b32_e32 v19, 0xff7fffff
	buffer_store_dword v0, off, s[0:3], s32 offset:272 ; 4-byte Folded Spill
	v_and_b32_e32 v0, 0xffff0000, v1
	buffer_store_dword v0, off, s[0:3], s32 offset:276 ; 4-byte Folded Spill
	v_lshlrev_b32_e32 v0, 16, v2
	buffer_store_dword v0, off, s[0:3], s32 offset:280 ; 4-byte Folded Spill
	v_and_b32_e32 v0, 0xffff0000, v2
	buffer_store_dword v0, off, s[0:3], s32 offset:284 ; 4-byte Folded Spill
	v_lshlrev_b32_e32 v0, 16, v3
	;; [unrolled: 4-line block ×3, first 2 shown]
	buffer_store_dword v0, off, s[0:3], s32 offset:300 ; 4-byte Folded Spill
	v_and_b32_e32 v0, 0xffff0000, v4
	v_lshlrev_b32_e32 v4, 16, v10
	buffer_store_dword v0, off, s[0:3], s32 offset:304 ; 4-byte Folded Spill
	v_lshlrev_b32_e32 v0, 16, v5
	buffer_store_dword v4, off, s[0:3], s32 offset:332 ; 4-byte Folded Spill
	v_and_b32_e32 v4, 0xffff0000, v10
	buffer_store_dword v0, off, s[0:3], s32 offset:308 ; 4-byte Folded Spill
	v_and_b32_e32 v0, 0xffff0000, v5
	buffer_store_dword v4, off, s[0:3], s32 offset:336 ; 4-byte Folded Spill
	v_lshlrev_b32_e32 v4, 16, v11
	buffer_store_dword v0, off, s[0:3], s32 offset:312 ; 4-byte Folded Spill
	v_lshlrev_b32_e32 v0, 16, v6
	buffer_store_dword v4, off, s[0:3], s32 offset:340 ; 4-byte Folded Spill
	v_and_b32_e32 v4, 0xffff0000, v11
	buffer_store_dword v0, off, s[0:3], s32 offset:316 ; 4-byte Folded Spill
	v_and_b32_e32 v0, 0xffff0000, v6
	buffer_store_dword v4, off, s[0:3], s32 offset:344 ; 4-byte Folded Spill
	;; [unrolled: 8-line block ×3, first 2 shown]
	v_lshlrev_b32_e32 v4, 16, v13
	buffer_store_dword v0, off, s[0:3], s32 offset:328 ; 4-byte Folded Spill
	ds_read_b128 v[0:3], v20 offset:48
	buffer_store_dword v4, off, s[0:3], s32 offset:356 ; 4-byte Folded Spill
	v_and_b32_e32 v4, 0xffff0000, v13
	buffer_store_dword v4, off, s[0:3], s32 offset:372 ; 4-byte Folded Spill
	s_waitcnt lgkmcnt(0)
	v_lshlrev_b32_e32 v4, 16, v0
	v_and_b32_e32 v0, 0xffff0000, v0
	buffer_store_dword v4, off, s[0:3], s32 offset:376 ; 4-byte Folded Spill
	buffer_store_dword v0, off, s[0:3], s32 offset:380 ; 4-byte Folded Spill
	v_lshlrev_b32_e32 v0, 16, v1
	buffer_store_dword v0, off, s[0:3], s32 offset:388 ; 4-byte Folded Spill
	v_and_b32_e32 v0, 0xffff0000, v1
	buffer_store_dword v0, off, s[0:3], s32 offset:392 ; 4-byte Folded Spill
	v_lshlrev_b32_e32 v0, 16, v2
	buffer_store_dword v0, off, s[0:3], s32 offset:396 ; 4-byte Folded Spill
	v_and_b32_e32 v0, 0xffff0000, v2
	buffer_store_dword v0, off, s[0:3], s32 offset:400 ; 4-byte Folded Spill
	v_lshlrev_b32_e32 v0, 16, v3
	buffer_store_dword v0, off, s[0:3], s32 offset:404 ; 4-byte Folded Spill
	v_and_b32_e32 v0, 0xffff0000, v3
	buffer_store_dword v0, off, s[0:3], s32 offset:408 ; 4-byte Folded Spill
	ds_read_b128 v[0:3], v20 offset:64
	ds_read_b128 v[4:7], v20 offset:80
	s_waitcnt lgkmcnt(1)
	v_lshlrev_b32_e32 v10, 16, v0
	v_and_b32_e32 v0, 0xffff0000, v0
	buffer_store_dword v10, off, s[0:3], s32 offset:412 ; 4-byte Folded Spill
	buffer_store_dword v0, off, s[0:3], s32 offset:416 ; 4-byte Folded Spill
	v_lshlrev_b32_e32 v0, 16, v1
	buffer_store_dword v0, off, s[0:3], s32 offset:420 ; 4-byte Folded Spill
	v_and_b32_e32 v0, 0xffff0000, v1
	buffer_store_dword v0, off, s[0:3], s32 offset:424 ; 4-byte Folded Spill
	v_lshlrev_b32_e32 v0, 16, v2
	buffer_store_dword v0, off, s[0:3], s32 offset:428 ; 4-byte Folded Spill
	v_and_b32_e32 v0, 0xffff0000, v2
	buffer_store_dword v0, off, s[0:3], s32 offset:432 ; 4-byte Folded Spill
	v_lshlrev_b32_e32 v0, 16, v3
	buffer_store_dword v0, off, s[0:3], s32 offset:436 ; 4-byte Folded Spill
	v_and_b32_e32 v0, 0xffff0000, v3
	buffer_store_dword v0, off, s[0:3], s32 offset:440 ; 4-byte Folded Spill
	s_waitcnt lgkmcnt(0)
	v_lshlrev_b32_e32 v0, 16, v4
	buffer_store_dword v0, off, s[0:3], s32 offset:444 ; 4-byte Folded Spill
	v_and_b32_e32 v0, 0xffff0000, v4
	buffer_store_dword v0, off, s[0:3], s32 offset:448 ; 4-byte Folded Spill
	v_lshlrev_b32_e32 v0, 16, v5
	buffer_store_dword v0, off, s[0:3], s32 offset:452 ; 4-byte Folded Spill
	v_and_b32_e32 v0, 0xffff0000, v5
	buffer_store_dword v0, off, s[0:3], s32 offset:456 ; 4-byte Folded Spill
	v_lshlrev_b32_e32 v0, 16, v6
	buffer_store_dword v0, off, s[0:3], s32 offset:460 ; 4-byte Folded Spill
	v_and_b32_e32 v0, 0xffff0000, v6
	buffer_store_dword v0, off, s[0:3], s32 offset:464 ; 4-byte Folded Spill
	v_lshlrev_b32_e32 v0, 16, v7
	buffer_store_dword v0, off, s[0:3], s32 offset:468 ; 4-byte Folded Spill
	v_and_b32_e32 v0, 0xffff0000, v7
	buffer_store_dword v0, off, s[0:3], s32 offset:472 ; 4-byte Folded Spill
	ds_read_b128 v[0:3], v20 offset:96
	ds_read_b128 v[4:7], v20 offset:112
	s_waitcnt lgkmcnt(1)
	v_lshlrev_b32_e32 v10, 16, v0
	v_and_b32_e32 v0, 0xffff0000, v0
	buffer_store_dword v10, off, s[0:3], s32 offset:476 ; 4-byte Folded Spill
	buffer_store_dword v0, off, s[0:3], s32 offset:480 ; 4-byte Folded Spill
	v_lshlrev_b32_e32 v0, 16, v1
	buffer_store_dword v0, off, s[0:3], s32 offset:484 ; 4-byte Folded Spill
	v_and_b32_e32 v0, 0xffff0000, v1
	buffer_store_dword v0, off, s[0:3], s32 offset:488 ; 4-byte Folded Spill
	v_lshlrev_b32_e32 v0, 16, v2
	buffer_store_dword v0, off, s[0:3], s32 offset:492 ; 4-byte Folded Spill
	v_and_b32_e32 v0, 0xffff0000, v2
	buffer_store_dword v0, off, s[0:3], s32 offset:496 ; 4-byte Folded Spill
	v_lshlrev_b32_e32 v0, 16, v3
	buffer_store_dword v0, off, s[0:3], s32 offset:500 ; 4-byte Folded Spill
	v_and_b32_e32 v0, 0xffff0000, v3
	buffer_store_dword v0, off, s[0:3], s32 offset:504 ; 4-byte Folded Spill
	s_waitcnt lgkmcnt(0)
	v_lshlrev_b32_e32 v0, 16, v4
	buffer_store_dword v0, off, s[0:3], s32 offset:508 ; 4-byte Folded Spill
	v_and_b32_e32 v0, 0xffff0000, v4
	;; [unrolled: 36-line block ×4, first 2 shown]
	buffer_store_dword v0, off, s[0:3], s32 offset:640 ; 4-byte Folded Spill
	v_lshlrev_b32_e32 v0, 16, v5
	buffer_store_dword v0, off, s[0:3], s32 offset:644 ; 4-byte Folded Spill
	v_and_b32_e32 v0, 0xffff0000, v5
	buffer_store_dword v0, off, s[0:3], s32 offset:648 ; 4-byte Folded Spill
	v_lshlrev_b32_e32 v0, 16, v6
	buffer_store_dword v0, off, s[0:3], s32 offset:652 ; 4-byte Folded Spill
	v_and_b32_e32 v0, 0xffff0000, v6
	;; [unrolled: 4-line block ×3, first 2 shown]
	buffer_store_dword v0, off, s[0:3], s32 offset:664 ; 4-byte Folded Spill
	ds_read_b128 v[0:3], v20 offset:192
	ds_read_b128 v[4:7], v20 offset:208
	s_waitcnt lgkmcnt(1)
	v_lshlrev_b32_e32 v10, 16, v0
	v_and_b32_e32 v0, 0xffff0000, v0
	buffer_store_dword v10, off, s[0:3], s32 offset:668 ; 4-byte Folded Spill
	buffer_store_dword v0, off, s[0:3], s32 offset:672 ; 4-byte Folded Spill
	v_lshlrev_b32_e32 v0, 16, v1
	buffer_store_dword v0, off, s[0:3], s32 offset:676 ; 4-byte Folded Spill
	v_and_b32_e32 v0, 0xffff0000, v1
	buffer_store_dword v0, off, s[0:3], s32 offset:680 ; 4-byte Folded Spill
	v_lshlrev_b32_e32 v0, 16, v2
	buffer_store_dword v0, off, s[0:3], s32 offset:684 ; 4-byte Folded Spill
	v_and_b32_e32 v0, 0xffff0000, v2
	;; [unrolled: 4-line block ×3, first 2 shown]
	v_max_i32_e32 v3, v30, v48
	buffer_store_dword v0, off, s[0:3], s32 offset:696 ; 4-byte Folded Spill
	s_waitcnt lgkmcnt(0)
	v_lshlrev_b32_e32 v0, 16, v4
	buffer_store_dword v0, off, s[0:3], s32 offset:700 ; 4-byte Folded Spill
	v_and_b32_e32 v0, 0xffff0000, v4
	buffer_store_dword v0, off, s[0:3], s32 offset:704 ; 4-byte Folded Spill
	v_lshlrev_b32_e32 v0, 16, v5
	buffer_store_dword v0, off, s[0:3], s32 offset:708 ; 4-byte Folded Spill
	v_and_b32_e32 v0, 0xffff0000, v5
	buffer_store_dword v0, off, s[0:3], s32 offset:712 ; 4-byte Folded Spill
	;; [unrolled: 4-line block ×4, first 2 shown]
	buffer_store_dword v37, off, s[0:3], s32 offset:804 ; 4-byte Folded Spill
	buffer_load_dword v4, off, s[0:3], s32 offset:360 ; 4-byte Folded Reload
	v_add_co_u32 v0, vcc_lo, v8, v37
	v_add_co_ci_u32_e64 v1, null, v9, v50, vcc_lo
	buffer_store_dword v50, off, s[0:3], s32 offset:816 ; 4-byte Folded Spill
	s_waitcnt vmcnt(0)
	v_lshlrev_b32_e32 v2, 4, v4
	v_add_co_u32 v0, vcc_lo, v0, v2
	v_add_co_ci_u32_e64 v1, null, 0, v1, vcc_lo
	buffer_store_dword v0, off, s[0:3], s32 offset:732 ; 4-byte Folded Spill
	buffer_store_dword v1, off, s[0:3], s32 offset:736 ; 4-byte Folded Spill
	v_lshlrev_b64 v[0:1], 2, v[17:18]
	v_cvt_f32_u32_e32 v2, v3
	v_add_co_u32 v0, vcc_lo, v35, v0
	buffer_store_dword v35, off, s[0:3], s32 offset:796 ; 4-byte Folded Spill
	buffer_store_dword v36, off, s[0:3], s32 offset:800 ; 4-byte Folded Spill
	v_rcp_iflag_f32_e32 v2, v2
	buffer_store_dword v30, off, s[0:3], s32 offset:768 ; 4-byte Folded Spill
	buffer_store_dword v48, off, s[0:3], s32 offset:812 ; 4-byte Folded Spill
	;; [unrolled: 1-line block ×3, first 2 shown]
	v_sub_nc_u32_e32 v3, 0, v3
	v_mul_f32_e32 v2, 0x4f7ffffe, v2
	v_cvt_u32_f32_e32 v2, v2
	v_mul_lo_u32 v3, v3, v2
	v_mul_hi_u32 v3, v2, v3
	v_add_nc_u32_e32 v2, v2, v3
	buffer_store_dword v2, off, s[0:3], s32 offset:240 ; 4-byte Folded Spill
	buffer_store_dword v14, off, s[0:3], s32 offset:764 ; 4-byte Folded Spill
	s_load_dword s24, s[8:9], 0x0
	buffer_store_dword v15, off, s[0:3], s32 offset:760 ; 4-byte Folded Spill
	buffer_store_dword v16, off, s[0:3], s32 offset:820 ; 4-byte Folded Spill
	v_add_co_ci_u32_e64 v1, null, v36, v1, vcc_lo
	v_add_co_u32 v28, vcc_lo, v14, v0
	buffer_load_dword v0, off, s[0:3], s32 offset:260 ; 4-byte Folded Reload
	v_add_co_ci_u32_e64 v29, null, v15, v1, vcc_lo
	s_waitcnt vmcnt(0)
	v_cmp_neq_f32_e32 vcc_lo, 0, v0
	v_sub_nc_u32_e32 v0, v4, v38
	v_add_nc_u32_e32 v0, 1, v0
	buffer_store_dword v0, off, s[0:3], s32 offset:740 ; 4-byte Folded Spill
	buffer_load_dword v0, off, s[0:3], s32 offset:748 ; 4-byte Folded Reload
	s_waitcnt vmcnt(0)
	v_lshl_add_u32 v96, v0, 5, s7
	v_lshl_or_b32 v97, v0, 7, v16
	s_branch .LBB376_16
.LBB376_11:                             ;   in Loop: Header=BB376_16 Depth=1
	s_or_b32 exec_lo, exec_lo, s28
	v_mov_b32_e32 v19, 24
	v_lshl_add_u32 v31, v31, 23, 0x3c000000
	v_lshlrev_b32_sdwa v19, v19, v32 dst_sel:DWORD dst_unused:UNUSED_PAD src0_sel:DWORD src1_sel:BYTE_3
	v_lshlrev_b32_e32 v32, 20, v33
	v_and_b32_e32 v19, 0x80000000, v19
	v_or3_b32 v115, v32, v19, v31
.LBB376_12:                             ;   in Loop: Header=BB376_16 Depth=1
	s_or_b32 exec_lo, exec_lo, s27
.LBB376_13:                             ;   in Loop: Header=BB376_16 Depth=1
	s_or_b32 exec_lo, exec_lo, s26
.LBB376_14:                             ;   in Loop: Header=BB376_16 Depth=1
	s_or_b32 exec_lo, exec_lo, s25
	v_mul_f32_e32 v19, v112, v118
	v_mul_f32_e32 v25, v112, v25
	;; [unrolled: 1-line block ×5, first 2 shown]
	v_bfe_u32 v31, v19, 16, 1
	v_or_b32_e32 v32, 0x400000, v19
	v_cmp_u_f32_e64 s5, v19, v19
	v_mul_f32_e32 v81, v112, v81
	v_mul_f32_e32 v80, v112, v80
	v_add3_u32 v31, v31, v19, 0x7fff
	v_mul_f32_e32 v70, v112, v70
	v_mul_f32_e32 v69, v112, v69
	;; [unrolled: 1-line block ×4, first 2 shown]
	v_cndmask_b32_e64 v19, v31, v32, s5
	v_mul_f32_e32 v31, v112, v116
	v_mul_f32_e32 v22, v112, v22
	;; [unrolled: 1-line block ×5, first 2 shown]
	v_bfe_u32 v32, v31, 16, 1
	v_or_b32_e32 v33, 0x400000, v31
	v_cmp_u_f32_e64 s5, v31, v31
	v_mul_f32_e32 v12, v112, v12
	v_mul_f32_e32 v15, v112, v15
	v_add3_u32 v32, v32, v31, 0x7fff
	v_mul_f32_e32 v14, v112, v14
	v_mul_f32_e32 v7, v112, v7
	;; [unrolled: 1-line block ×4, first 2 shown]
	v_cndmask_b32_e64 v31, v32, v33, s5
	v_bfe_u32 v32, v25, 16, 1
	v_or_b32_e32 v33, 0x400000, v25
	v_cmp_u_f32_e64 s5, v25, v25
	v_mul_f32_e32 v2, v112, v2
	v_mul_f32_e32 v3, v112, v3
	v_add3_u32 v32, v32, v25, 0x7fff
	v_mul_f32_e32 v0, v112, v0
	v_mul_f32_e32 v21, v112, v21
	;; [unrolled: 1-line block ×4, first 2 shown]
	v_cndmask_b32_e64 v25, v32, v33, s5
	v_mul_f32_e32 v32, v112, v114
	v_mul_f32_e32 v121, v112, v121
	;; [unrolled: 1-line block ×5, first 2 shown]
	v_bfe_u32 v33, v32, 16, 1
	v_or_b32_e32 v34, 0x400000, v32
	v_cmp_u_f32_e64 s5, v32, v32
	v_mul_f32_e32 v108, v112, v108
	v_mul_f32_e32 v107, v112, v107
	v_add3_u32 v33, v33, v32, 0x7fff
	v_mul_f32_e32 v106, v112, v106
	v_mul_f32_e32 v105, v112, v105
	;; [unrolled: 1-line block ×4, first 2 shown]
	v_cndmask_b32_e64 v32, v33, v34, s5
	v_mul_f32_e32 v33, v112, v86
	v_mul_f32_e32 v93, v112, v93
	;; [unrolled: 1-line block ×5, first 2 shown]
	v_bfe_u32 v34, v33, 16, 1
	v_or_b32_e32 v86, 0x400000, v33
	v_cmp_u_f32_e64 s5, v33, v33
	v_mul_f32_e32 v89, v112, v89
	v_mul_f32_e32 v95, v112, v95
	v_add3_u32 v34, v34, v33, 0x7fff
	v_mul_f32_e32 v78, v112, v78
	v_mul_f32_e32 v77, v112, v77
	v_mul_f32_e32 v76, v112, v76
	v_mul_f32_e32 v75, v112, v75
	v_cndmask_b32_e64 v33, v34, v86, s5
	v_bfe_u32 v34, v13, 16, 1
	v_or_b32_e32 v86, 0x400000, v13
	v_cmp_u_f32_e64 s5, v13, v13
	v_mul_f32_e32 v74, v112, v74
	v_mul_f32_e32 v73, v112, v73
	v_add3_u32 v34, v34, v13, 0x7fff
	v_mul_f32_e32 v13, v112, v40
	v_mul_f32_e32 v79, v112, v79
	v_mul_f32_e32 v62, v112, v62
	v_mul_f32_e32 v61, v112, v61
	v_cndmask_b32_e64 v86, v34, v86, s5
	;; [unrolled: 11-line block ×3, first 2 shown]
	v_mul_f32_e32 v34, v112, v119
	v_mul_f32_e32 v45, v112, v45
	;; [unrolled: 1-line block ×5, first 2 shown]
	v_bfe_u32 v114, v34, 16, 1
	v_or_b32_e32 v116, 0x400000, v34
	v_cmp_u_f32_e64 s5, v34, v34
	v_mul_f32_e32 v41, v112, v41
	v_mul_f32_e32 v113, v112, v113
	v_add3_u32 v114, v114, v34, 0x7fff
	v_mul_f32_e32 v24, v112, v24
	v_mul_f32_e32 v55, v112, v55
	;; [unrolled: 1-line block ×4, first 2 shown]
	v_cndmask_b32_e64 v34, v114, v116, s5
	v_bfe_u32 v114, v83, 16, 1
	v_or_b32_e32 v116, 0x400000, v83
	v_cmp_u_f32_e64 s5, v83, v83
	v_mul_f32_e32 v9, v112, v9
	s_load_dword s25, s[8:9], 0x0
	v_add3_u32 v114, v114, v83, 0x7fff
	v_cndmask_b32_e64 v83, v114, v116, s5
	v_bfe_u32 v114, v82, 16, 1
	v_or_b32_e32 v116, 0x400000, v82
	v_cmp_u_f32_e64 s5, v82, v82
	v_add3_u32 v114, v114, v82, 0x7fff
	v_cndmask_b32_e64 v82, v114, v116, s5
	v_bfe_u32 v114, v81, 16, 1
	v_or_b32_e32 v116, 0x400000, v81
	v_cmp_u_f32_e64 s5, v81, v81
	;; [unrolled: 5-line block ×5, first 2 shown]
	v_add3_u32 v114, v114, v69, 0x7fff
	v_bfe_u32 v69, v8, 16, 1
	v_cndmask_b32_e64 v114, v114, v116, s5
	v_add3_u32 v69, v69, v8, 0x7fff
	v_or_b32_e32 v116, 0x400000, v8
	v_cmp_u_f32_e64 s5, v8, v8
	v_cndmask_b32_e64 v8, v69, v116, s5
	v_mul_f32_e32 v69, v112, v87
	v_bfe_u32 v87, v69, 16, 1
	v_or_b32_e32 v116, 0x400000, v69
	v_cmp_u_f32_e64 s5, v69, v69
	v_add3_u32 v87, v87, v69, 0x7fff
	v_cndmask_b32_e64 v69, v87, v116, s5
	v_bfe_u32 v87, v66, 16, 1
	v_or_b32_e32 v116, 0x400000, v66
	v_cmp_u_f32_e64 s5, v66, v66
	v_add3_u32 v87, v87, v66, 0x7fff
	v_cndmask_b32_e64 v66, v87, v116, s5
	;; [unrolled: 5-line block ×5, first 2 shown]
	v_bfe_u32 v87, v26, 16, 1
	v_or_b32_e32 v116, 0x400000, v26
	v_cmp_u_f32_e64 s5, v26, v26
	v_add3_u32 v87, v87, v26, 0x7fff
	v_mul_f32_e32 v26, v112, v53
	v_cndmask_b32_e64 v87, v87, v116, s5
	v_bfe_u32 v53, v26, 16, 1
	v_or_b32_e32 v116, 0x400000, v26
	v_cmp_u_f32_e64 s5, v26, v26
	v_add3_u32 v53, v53, v26, 0x7fff
	v_mul_f32_e32 v26, v112, v68
	v_cndmask_b32_e64 v116, v53, v116, s5
	v_bfe_u32 v53, v26, 16, 1
	v_or_b32_e32 v68, 0x400000, v26
	v_cmp_u_f32_e64 s5, v26, v26
	v_add3_u32 v53, v53, v26, 0x7fff
	v_cndmask_b32_e64 v26, v53, v68, s5
	v_mul_f32_e32 v53, v112, v67
	v_bfe_u32 v67, v53, 16, 1
	v_or_b32_e32 v68, 0x400000, v53
	v_cmp_u_f32_e64 s5, v53, v53
	v_add3_u32 v67, v67, v53, 0x7fff
	v_cndmask_b32_e64 v53, v67, v68, s5
	v_bfe_u32 v67, v12, 16, 1
	v_or_b32_e32 v68, 0x400000, v12
	v_cmp_u_f32_e64 s5, v12, v12
	v_add3_u32 v67, v67, v12, 0x7fff
	v_cndmask_b32_e64 v12, v67, v68, s5
	;; [unrolled: 5-line block ×5, first 2 shown]
	v_bfe_u32 v67, v6, 16, 1
	v_or_b32_e32 v68, 0x400000, v6
	v_cmp_u_f32_e64 s5, v6, v6
	v_add3_u32 v67, v67, v6, 0x7fff
	v_mul_f32_e32 v6, v112, v48
	v_cndmask_b32_e64 v67, v67, v68, s5
	v_bfe_u32 v48, v6, 16, 1
	v_or_b32_e32 v68, 0x400000, v6
	v_cmp_u_f32_e64 s5, v6, v6
	v_add3_u32 v48, v48, v6, 0x7fff
	v_mul_f32_e32 v6, v112, v27
	v_cndmask_b32_e64 v48, v48, v68, s5
	v_bfe_u32 v27, v6, 16, 1
	v_or_b32_e32 v68, 0x400000, v6
	v_cmp_u_f32_e64 s5, v6, v6
	v_add3_u32 v27, v27, v6, 0x7fff
	v_cndmask_b32_e64 v6, v27, v68, s5
	v_mul_f32_e32 v27, v112, v37
	v_bfe_u32 v37, v27, 16, 1
	v_or_b32_e32 v68, 0x400000, v27
	v_cmp_u_f32_e64 s5, v27, v27
	v_add3_u32 v37, v37, v27, 0x7fff
	v_cndmask_b32_e64 v27, v37, v68, s5
	v_mul_f32_e32 v37, v112, v50
	v_bfe_u32 v50, v37, 16, 1
	v_or_b32_e32 v68, 0x400000, v37
	v_cmp_u_f32_e64 s5, v37, v37
	v_add3_u32 v50, v50, v37, 0x7fff
	v_cndmask_b32_e64 v37, v50, v68, s5
	v_bfe_u32 v50, v16, 16, 1
	v_or_b32_e32 v68, 0x400000, v16
	v_cmp_u_f32_e64 s5, v16, v16
	v_add3_u32 v50, v50, v16, 0x7fff
	v_cndmask_b32_e64 v16, v50, v68, s5
	;; [unrolled: 5-line block ×3, first 2 shown]
	v_bfe_u32 v50, v3, 16, 1
	v_or_b32_e32 v68, 0x400000, v3
	v_cmp_u_f32_e64 s5, v3, v3
	v_and_b32_e32 v2, 0xffff0000, v2
	v_add3_u32 v50, v50, v3, 0x7fff
	v_cndmask_b32_e64 v3, v50, v68, s5
	v_bfe_u32 v50, v0, 16, 1
	v_or_b32_e32 v68, 0x400000, v0
	v_cmp_u_f32_e64 s5, v0, v0
	v_and_b32_e32 v3, 0xffff0000, v3
	v_add3_u32 v50, v50, v0, 0x7fff
	v_mul_f32_e32 v0, v112, v1
	v_cndmask_b32_e64 v50, v50, v68, s5
	v_bfe_u32 v1, v0, 16, 1
	v_or_b32_e32 v68, 0x400000, v0
	v_cmp_u_f32_e64 s5, v0, v0
	v_add3_u32 v1, v1, v0, 0x7fff
	v_mul_f32_e32 v0, v112, v54
	v_cndmask_b32_e64 v68, v1, v68, s5
	v_bfe_u32 v1, v0, 16, 1
	v_or_b32_e32 v54, 0x400000, v0
	v_cmp_u_f32_e64 s5, v0, v0
	v_add3_u32 v1, v1, v0, 0x7fff
	v_cndmask_b32_e64 v0, v1, v54, s5
	v_mul_f32_e32 v1, v112, v51
	v_and_b32_e32 v0, 0xffff0000, v0
	v_bfe_u32 v51, v1, 16, 1
	v_or_b32_e32 v54, 0x400000, v1
	v_cmp_u_f32_e64 s5, v1, v1
	v_add3_u32 v51, v51, v1, 0x7fff
	v_cndmask_b32_e64 v1, v51, v54, s5
	v_bfe_u32 v51, v21, 16, 1
	v_or_b32_e32 v54, 0x400000, v21
	v_cmp_u_f32_e64 s5, v21, v21
	v_add3_u32 v51, v51, v21, 0x7fff
	v_cndmask_b32_e64 v21, v51, v54, s5
	v_mul_f32_e32 v51, v112, v71
	v_bfe_u32 v54, v51, 16, 1
	v_or_b32_e32 v71, 0x400000, v51
	v_cmp_u_f32_e64 s5, v51, v51
	v_add3_u32 v54, v54, v51, 0x7fff
	v_cndmask_b32_e64 v51, v54, v71, s5
	v_bfe_u32 v54, v39, 16, 1
	v_or_b32_e32 v71, 0x400000, v39
	v_cmp_u_f32_e64 s5, v39, v39
	v_add3_u32 v54, v54, v39, 0x7fff
	v_cndmask_b32_e64 v39, v54, v71, s5
	v_mul_f32_e32 v54, v112, v64
	v_bfe_u32 v64, v54, 16, 1
	v_or_b32_e32 v71, 0x400000, v54
	v_cmp_u_f32_e64 s5, v54, v54
	v_add3_u32 v64, v64, v54, 0x7fff
	v_cndmask_b32_e64 v54, v64, v71, s5
	v_bfe_u32 v64, v4, 16, 1
	v_or_b32_e32 v71, 0x400000, v4
	v_cmp_u_f32_e64 s5, v4, v4
	v_add3_u32 v64, v64, v4, 0x7fff
	v_mul_f32_e32 v4, v112, v5
	v_cndmask_b32_e64 v64, v64, v71, s5
	v_bfe_u32 v5, v4, 16, 1
	v_or_b32_e32 v71, 0x400000, v4
	v_cmp_u_f32_e64 s5, v4, v4
	v_add3_u32 v5, v5, v4, 0x7fff
	v_mul_f32_e32 v4, v112, v10
	v_cndmask_b32_e64 v71, v5, v71, s5
	v_bfe_u32 v5, v4, 16, 1
	v_or_b32_e32 v10, 0x400000, v4
	v_cmp_u_f32_e64 s5, v4, v4
	v_add3_u32 v5, v5, v4, 0x7fff
	v_cndmask_b32_e64 v4, v5, v10, s5
	v_mul_f32_e32 v5, v112, v11
	v_and_b32_e32 v4, 0xffff0000, v4
	v_bfe_u32 v10, v5, 16, 1
	v_or_b32_e32 v11, 0x400000, v5
	v_cmp_u_f32_e64 s5, v5, v5
	v_add3_u32 v10, v10, v5, 0x7fff
	v_cndmask_b32_e64 v5, v10, v11, s5
	v_mul_f32_e32 v10, v112, v126
	v_bfe_u32 v11, v10, 16, 1
	v_or_b32_e32 v118, 0x400000, v10
	v_cmp_u_f32_e64 s5, v10, v10
	v_add3_u32 v11, v11, v10, 0x7fff
	v_cndmask_b32_e64 v10, v11, v118, s5
	v_mul_f32_e32 v11, v112, v125
	v_and_b32_e32 v10, 0xffff0000, v10
	v_bfe_u32 v118, v11, 16, 1
	v_or_b32_e32 v119, 0x400000, v11
	v_cmp_u_f32_e64 s5, v11, v11
	v_add3_u32 v118, v118, v11, 0x7fff
	v_cndmask_b32_e64 v11, v118, v119, s5
	v_mul_f32_e32 v118, v112, v124
	v_and_b32_e32 v11, 0xffff0000, v11
	v_bfe_u32 v119, v118, 16, 1
	v_or_b32_e32 v40, 0x400000, v118
	v_cmp_u_f32_e64 s5, v118, v118
	v_add3_u32 v119, v119, v118, 0x7fff
	v_cndmask_b32_e64 v118, v119, v40, s5
	v_mul_f32_e32 v119, v112, v123
	v_bfe_u32 v40, v119, 16, 1
	v_or_b32_e32 v123, 0x400000, v119
	v_cmp_u_f32_e64 s5, v119, v119
	v_add3_u32 v40, v40, v119, 0x7fff
	v_cndmask_b32_e64 v119, v40, v123, s5
	v_mul_f32_e32 v40, v112, v122
	v_bfe_u32 v122, v40, 16, 1
	v_or_b32_e32 v123, 0x400000, v40
	v_cmp_u_f32_e64 s5, v40, v40
	v_add3_u32 v122, v122, v40, 0x7fff
	v_cndmask_b32_e64 v40, v122, v123, s5
	v_bfe_u32 v122, v121, 16, 1
	v_or_b32_e32 v123, 0x400000, v121
	v_cmp_u_f32_e64 s5, v121, v121
	v_add3_u32 v122, v122, v121, 0x7fff
	v_bfe_u32 v121, v23, 16, 1
	v_cndmask_b32_e64 v122, v122, v123, s5
	v_add3_u32 v121, v121, v23, 0x7fff
	v_or_b32_e32 v123, 0x400000, v23
	v_cmp_u_f32_e64 s5, v23, v23
	v_cndmask_b32_e64 v23, v121, v123, s5
	v_mul_f32_e32 v121, v112, v127
	v_bfe_u32 v123, v121, 16, 1
	v_or_b32_e32 v124, 0x400000, v121
	v_cmp_u_f32_e64 s5, v121, v121
	v_add3_u32 v123, v123, v121, 0x7fff
	v_cndmask_b32_e64 v121, v123, v124, s5
	v_bfe_u32 v123, v110, 16, 1
	v_or_b32_e32 v124, 0x400000, v110
	v_cmp_u_f32_e64 s5, v110, v110
	v_add3_u32 v123, v123, v110, 0x7fff
	v_cndmask_b32_e64 v110, v123, v124, s5
	v_bfe_u32 v123, v109, 16, 1
	v_or_b32_e32 v124, 0x400000, v109
	v_cmp_u_f32_e64 s5, v109, v109
	v_add3_u32 v123, v123, v109, 0x7fff
	v_cndmask_b32_e64 v109, v123, v124, s5
	v_bfe_u32 v123, v108, 16, 1
	v_or_b32_e32 v124, 0x400000, v108
	v_cmp_u_f32_e64 s5, v108, v108
	v_add3_u32 v123, v123, v108, 0x7fff
	v_cndmask_b32_e64 v108, v123, v124, s5
	v_bfe_u32 v123, v107, 16, 1
	v_or_b32_e32 v124, 0x400000, v107
	v_cmp_u_f32_e64 s5, v107, v107
	v_add3_u32 v123, v123, v107, 0x7fff
	v_cndmask_b32_e64 v107, v123, v124, s5
	v_bfe_u32 v123, v106, 16, 1
	v_or_b32_e32 v124, 0x400000, v106
	v_cmp_u_f32_e64 s5, v106, v106
	v_add3_u32 v123, v123, v106, 0x7fff
	v_cndmask_b32_e64 v106, v123, v124, s5
	v_bfe_u32 v123, v105, 16, 1
	v_or_b32_e32 v124, 0x400000, v105
	v_cmp_u_f32_e64 s5, v105, v105
	v_add3_u32 v123, v123, v105, 0x7fff
	v_mul_f32_e32 v105, v112, v120
	v_cndmask_b32_e64 v123, v123, v124, s5
	v_bfe_u32 v120, v105, 16, 1
	v_or_b32_e32 v124, 0x400000, v105
	v_cmp_u_f32_e64 s5, v105, v105
	v_add3_u32 v120, v120, v105, 0x7fff
	v_cndmask_b32_e64 v105, v120, v124, s5
	v_bfe_u32 v120, v111, 16, 1
	v_or_b32_e32 v124, 0x400000, v111
	v_cmp_u_f32_e64 s5, v111, v111
	v_add3_u32 v120, v120, v111, 0x7fff
	v_cndmask_b32_e64 v111, v120, v124, s5
	v_bfe_u32 v120, v94, 16, 1
	v_or_b32_e32 v124, 0x400000, v94
	v_cmp_u_f32_e64 s5, v94, v94
	v_add3_u32 v120, v120, v94, 0x7fff
	v_cndmask_b32_e64 v94, v120, v124, s5
	v_bfe_u32 v120, v93, 16, 1
	v_or_b32_e32 v124, 0x400000, v93
	v_cmp_u_f32_e64 s5, v93, v93
	v_add3_u32 v120, v120, v93, 0x7fff
	v_cndmask_b32_e64 v93, v120, v124, s5
	v_bfe_u32 v120, v92, 16, 1
	v_or_b32_e32 v124, 0x400000, v92
	v_cmp_u_f32_e64 s5, v92, v92
	v_add3_u32 v120, v120, v92, 0x7fff
	v_cndmask_b32_e64 v92, v120, v124, s5
	v_bfe_u32 v120, v91, 16, 1
	v_or_b32_e32 v124, 0x400000, v91
	v_cmp_u_f32_e64 s5, v91, v91
	v_add3_u32 v120, v120, v91, 0x7fff
	v_cndmask_b32_e64 v91, v120, v124, s5
	v_bfe_u32 v120, v90, 16, 1
	v_or_b32_e32 v124, 0x400000, v90
	v_cmp_u_f32_e64 s5, v90, v90
	v_add3_u32 v120, v120, v90, 0x7fff
	v_cndmask_b32_e64 v90, v120, v124, s5
	v_bfe_u32 v120, v89, 16, 1
	v_or_b32_e32 v124, 0x400000, v89
	v_cmp_u_f32_e64 s5, v89, v89
	v_add3_u32 v120, v120, v89, 0x7fff
	v_mul_f32_e32 v89, v112, v104
	v_cndmask_b32_e64 v120, v120, v124, s5
	v_bfe_u32 v104, v89, 16, 1
	v_or_b32_e32 v124, 0x400000, v89
	v_cmp_u_f32_e64 s5, v89, v89
	v_add3_u32 v104, v104, v89, 0x7fff
	v_cndmask_b32_e64 v89, v104, v124, s5
	;; [unrolled: 41-line block ×4, first 2 shown]
	v_bfe_u32 v72, v63, 16, 1
	v_or_b32_e32 v124, 0x400000, v63
	v_cmp_u_f32_e64 s5, v63, v63
	v_add3_u32 v72, v72, v63, 0x7fff
	v_cndmask_b32_e64 v63, v72, v124, s5
	v_bfe_u32 v72, v46, 16, 1
	v_or_b32_e32 v124, 0x400000, v46
	v_cmp_u_f32_e64 s5, v46, v46
	v_add3_u32 v72, v72, v46, 0x7fff
	v_bfe_u32 v46, v45, 16, 1
	v_cndmask_b32_e64 v72, v72, v124, s5
	v_add3_u32 v46, v46, v45, 0x7fff
	v_or_b32_e32 v124, 0x400000, v45
	v_cmp_u_f32_e64 s5, v45, v45
	v_bfe_u32 v45, v44, 16, 1
	v_cndmask_b32_e64 v124, v46, v124, s5
	v_add3_u32 v45, v45, v44, 0x7fff
	v_or_b32_e32 v46, 0x400000, v44
	v_cmp_u_f32_e64 s5, v44, v44
	v_cndmask_b32_e64 v44, v45, v46, s5
	v_bfe_u32 v45, v43, 16, 1
	v_or_b32_e32 v46, 0x400000, v43
	v_cmp_u_f32_e64 s5, v43, v43
	v_add3_u32 v45, v45, v43, 0x7fff
	v_cndmask_b32_e64 v43, v45, v46, s5
	v_bfe_u32 v45, v42, 16, 1
	v_or_b32_e32 v46, 0x400000, v42
	v_cmp_u_f32_e64 s5, v42, v42
	v_add3_u32 v45, v45, v42, 0x7fff
	v_bfe_u32 v42, v41, 16, 1
	v_cndmask_b32_e64 v46, v45, v46, s5
	v_add3_u32 v42, v42, v41, 0x7fff
	v_or_b32_e32 v45, 0x400000, v41
	v_cmp_u_f32_e64 s5, v41, v41
	v_mul_f32_e32 v41, v112, v56
	v_cndmask_b32_e64 v45, v42, v45, s5
	v_bfe_u32 v42, v41, 16, 1
	v_or_b32_e32 v56, 0x400000, v41
	v_cmp_u_f32_e64 s5, v41, v41
	v_add3_u32 v42, v42, v41, 0x7fff
	v_mul_f32_e32 v41, v112, v47
	v_cndmask_b32_e64 v56, v42, v56, s5
	v_bfe_u32 v42, v41, 16, 1
	v_or_b32_e32 v47, 0x400000, v41
	v_cmp_u_f32_e64 s5, v41, v41
	v_add3_u32 v42, v42, v41, 0x7fff
	buffer_load_dword v41, off, s[0:3], s32 offset:224 ; 4-byte Folded Reload
	v_cndmask_b32_e64 v125, v42, v47, s5
	s_waitcnt vmcnt(0)
	v_mul_f32_e32 v41, v112, v41
	v_bfe_u32 v42, v41, 16, 1
	v_or_b32_e32 v47, 0x400000, v41
	v_cmp_u_f32_e64 s5, v41, v41
	v_add3_u32 v42, v42, v41, 0x7fff
	v_mul_f32_e32 v41, v112, v102
	v_cndmask_b32_e64 v126, v42, v47, s5
	v_bfe_u32 v42, v41, 16, 1
	v_or_b32_e32 v47, 0x400000, v41
	v_cmp_u_f32_e64 s5, v41, v41
	v_add3_u32 v42, v42, v41, 0x7fff
	v_mul_f32_e32 v41, v112, v84
	v_cndmask_b32_e64 v127, v42, v47, s5
	;; [unrolled: 6-line block ×3, first 2 shown]
	v_bfe_u32 v42, v41, 16, 1
	v_or_b32_e32 v47, 0x400000, v41
	v_cmp_u_f32_e64 s5, v41, v41
	v_and_b32_e32 v84, 0xffff0000, v84
	v_add3_u32 v42, v42, v41, 0x7fff
	v_mul_f32_e32 v41, v112, v101
	v_cndmask_b32_e64 v99, v42, v47, s5
	v_bfe_u32 v42, v41, 16, 1
	v_or_b32_e32 v47, 0x400000, v41
	v_cmp_u_f32_e64 s5, v41, v41
	v_and_b32_e32 v99, 0xffff0000, v99
	v_add3_u32 v42, v42, v41, 0x7fff
	v_mul_f32_e32 v41, v112, v85
	buffer_load_dword v85, off, s[0:3], s32 offset:232 ; 4-byte Folded Reload
	v_cndmask_b32_e64 v47, v42, v47, s5
	v_bfe_u32 v42, v41, 16, 1
	v_or_b32_e32 v101, 0x400000, v41
	v_cmp_u_f32_e64 s5, v41, v41
	v_add3_u32 v42, v42, v41, 0x7fff
	v_cndmask_b32_e64 v101, v42, v101, s5
	v_and_b32_e32 v101, 0xffff0000, v101
	s_waitcnt vmcnt(0)
	v_mul_f32_e32 v41, v112, v85
	buffer_load_dword v85, off, s[0:3], s32 offset:228 ; 4-byte Folded Reload
	v_bfe_u32 v42, v41, 16, 1
	v_or_b32_e32 v102, 0x400000, v41
	v_cmp_u_f32_e64 s5, v41, v41
	v_add3_u32 v42, v42, v41, 0x7fff
	v_cndmask_b32_e64 v102, v42, v102, s5
	s_waitcnt vmcnt(0)
	v_mul_f32_e32 v41, v112, v85
	v_bfe_u32 v42, v41, 16, 1
	v_or_b32_e32 v85, 0x400000, v41
	v_cmp_u_f32_e64 s5, v41, v41
	v_add3_u32 v42, v42, v41, 0x7fff
	v_bfe_u32 v41, v113, 16, 1
	v_cndmask_b32_e64 v85, v42, v85, s5
	v_add3_u32 v41, v41, v113, 0x7fff
	v_or_b32_e32 v42, 0x400000, v113
	v_cmp_u_f32_e64 s5, v113, v113
	v_and_b32_e32 v85, 0xffff0000, v85
	v_cndmask_b32_e64 v113, v41, v42, s5
	v_bfe_u32 v41, v24, 16, 1
	v_or_b32_e32 v42, 0x400000, v24
	v_cmp_u_f32_e64 s5, v24, v24
	v_add3_u32 v41, v41, v24, 0x7fff
	v_cndmask_b32_e64 v24, v41, v42, s5
	v_bfe_u32 v41, v55, 16, 1
	v_or_b32_e32 v42, 0x400000, v55
	v_cmp_u_f32_e64 s5, v55, v55
	v_add3_u32 v41, v41, v55, 0x7fff
	;; [unrolled: 5-line block ×4, first 2 shown]
	v_bfe_u32 v35, v9, 16, 1
	v_cndmask_b32_e64 v41, v41, v42, s5
	v_add3_u32 v35, v35, v9, 0x7fff
	v_or_b32_e32 v42, 0x400000, v9
	v_cmp_u_f32_e64 s5, v9, v9
	v_mul_f32_e32 v9, v112, v117
	v_mul_f32_e32 v112, v112, v115
	v_cndmask_b32_e64 v42, v35, v42, s5
	v_bfe_u32 v35, v9, 16, 1
	v_or_b32_e32 v115, 0x400000, v9
	v_cmp_u_f32_e64 s5, v9, v9
	v_add3_u32 v35, v35, v9, 0x7fff
	v_bfe_u32 v9, v112, 16, 1
	v_cndmask_b32_e64 v35, v35, v115, s5
	v_add3_u32 v9, v9, v112, 0x7fff
	v_or_b32_e32 v115, 0x400000, v112
	v_cmp_u_f32_e64 s5, v112, v112
	v_and_b32_e32 v112, 0xffff0000, v45
	v_cndmask_b32_e64 v9, v9, v115, s5
	buffer_load_dword v115, off, s[0:3], s32 offset:300 ; 4-byte Folded Reload
	s_waitcnt vmcnt(0)
	v_mul_f32_e32 v45, v115, v112
	s_clause 0x1
	buffer_load_dword v112, off, s[0:3], s32 offset:264
	buffer_load_dword v115, off, s[0:3], s32 offset:304
	s_waitcnt vmcnt(1)
	v_fmac_f32_e32 v45, v112, v101
	v_and_b32_e32 v101, 0xffff0000, v46
	v_and_b32_e32 v112, 0xffff0000, v47
	s_waitcnt vmcnt(0)
	v_mul_f32_e32 v47, v115, v101
	buffer_load_dword v101, off, s[0:3], s32 offset:268 ; 4-byte Folded Reload
	s_waitcnt vmcnt(0)
	v_fmac_f32_e32 v47, v101, v112
	buffer_load_dword v112, off, s[0:3], s32 offset:308 ; 4-byte Folded Reload
	v_and_b32_e32 v101, 0xffff0000, v43
	s_waitcnt vmcnt(0)
	v_mul_f32_e32 v46, v112, v101
	buffer_load_dword v101, off, s[0:3], s32 offset:272 ; 4-byte Folded Reload
	s_waitcnt vmcnt(0)
	v_fmac_f32_e32 v46, v101, v99
	buffer_load_dword v101, off, s[0:3], s32 offset:312 ; 4-byte Folded Reload
	v_and_b32_e32 v99, 0xffff0000, v44
	s_waitcnt vmcnt(0)
	v_mul_f32_e32 v44, v101, v99
	s_clause 0x1
	buffer_load_dword v99, off, s[0:3], s32 offset:276
	buffer_load_dword v101, off, s[0:3], s32 offset:316
	s_waitcnt vmcnt(1)
	v_fmac_f32_e32 v44, v99, v84
	v_and_b32_e32 v84, 0xffff0000, v124
	v_and_b32_e32 v99, 0xffff0000, v127
	s_waitcnt vmcnt(0)
	v_mul_f32_e32 v43, v101, v84
	s_clause 0x1
	buffer_load_dword v84, off, s[0:3], s32 offset:280
	buffer_load_dword v101, off, s[0:3], s32 offset:320
	s_waitcnt vmcnt(1)
	v_fmac_f32_e32 v43, v84, v99
	v_and_b32_e32 v84, 0xffff0000, v72
	;; [unrolled: 9-line block ×3, first 2 shown]
	v_and_b32_e32 v99, 0xffff0000, v102
	s_waitcnt vmcnt(0)
	v_mul_f32_e32 v112, v101, v84
	buffer_load_dword v84, off, s[0:3], s32 offset:288 ; 4-byte Folded Reload
	s_waitcnt vmcnt(0)
	v_fmac_f32_e32 v112, v84, v99
	buffer_load_dword v99, off, s[0:3], s32 offset:328 ; 4-byte Folded Reload
	v_and_b32_e32 v84, 0xffff0000, v125
	s_waitcnt vmcnt(0)
	v_mul_f32_e32 v115, v99, v84
	buffer_load_dword v84, off, s[0:3], s32 offset:292 ; 4-byte Folded Reload
	s_waitcnt vmcnt(0)
	v_fmac_f32_e32 v115, v84, v85
	buffer_load_dword v85, off, s[0:3], s32 offset:332 ; 4-byte Folded Reload
	v_and_b32_e32 v84, 0xffff0000, v88
	s_waitcnt vmcnt(0)
	v_fmac_f32_e32 v45, v85, v84
	buffer_load_dword v85, off, s[0:3], s32 offset:336 ; 4-byte Folded Reload
	v_and_b32_e32 v84, 0xffff0000, v58
	;; [unrolled: 4-line block ×36, first 2 shown]
	s_waitcnt vmcnt(0)
	v_fmac_f32_e32 v44, v85, v84
	buffer_load_dword v84, off, s[0:3], s32 offset:492 ; 4-byte Folded Reload
	s_waitcnt vmcnt(0)
	v_fmac_f32_e32 v43, v84, v11
	buffer_load_dword v11, off, s[0:3], s32 offset:496 ; 4-byte Folded Reload
	;; [unrolled: 3-line block ×3, first 2 shown]
	v_and_b32_e32 v10, 0xffff0000, v23
	s_waitcnt vmcnt(0)
	v_fmac_f32_e32 v112, v11, v10
	buffer_load_dword v11, off, s[0:3], s32 offset:504 ; 4-byte Folded Reload
	v_and_b32_e32 v10, 0xffff0000, v121
	s_waitcnt vmcnt(0)
	v_fmac_f32_e32 v115, v11, v10
	buffer_load_dword v11, off, s[0:3], s32 offset:508 ; 4-byte Folded Reload
	;; [unrolled: 4-line block ×8, first 2 shown]
	s_waitcnt vmcnt(0)
	v_fmac_f32_e32 v112, v10, v4
	v_and_b32_e32 v4, 0xffff0000, v5
	buffer_load_dword v5, off, s[0:3], s32 offset:536 ; 4-byte Folded Reload
	s_waitcnt vmcnt(0)
	v_fmac_f32_e32 v115, v5, v4
	buffer_load_dword v5, off, s[0:3], s32 offset:540 ; 4-byte Folded Reload
	v_and_b32_e32 v4, 0xffff0000, v68
	s_waitcnt vmcnt(0)
	v_fmac_f32_e32 v45, v5, v4
	buffer_load_dword v5, off, s[0:3], s32 offset:544 ; 4-byte Folded Reload
	v_and_b32_e32 v4, 0xffff0000, v50
	s_waitcnt vmcnt(0)
	v_fmac_f32_e32 v47, v5, v4
	buffer_load_dword v4, off, s[0:3], s32 offset:548 ; 4-byte Folded Reload
	s_waitcnt vmcnt(0)
	v_fmac_f32_e32 v46, v4, v3
	buffer_load_dword v3, off, s[0:3], s32 offset:552 ; 4-byte Folded Reload
	s_waitcnt vmcnt(0)
	v_fmac_f32_e32 v44, v3, v2
	buffer_load_dword v3, off, s[0:3], s32 offset:556 ; 4-byte Folded Reload
	v_and_b32_e32 v2, 0xffff0000, v16
	s_waitcnt vmcnt(0)
	v_fmac_f32_e32 v43, v3, v2
	buffer_load_dword v3, off, s[0:3], s32 offset:560 ; 4-byte Folded Reload
	v_and_b32_e32 v2, 0xffff0000, v37
	s_waitcnt vmcnt(0)
	v_fmac_f32_e32 v117, v3, v2
	buffer_load_dword v2, off, s[0:3], s32 offset:564 ; 4-byte Folded Reload
	s_waitcnt vmcnt(0)
	v_fmac_f32_e32 v112, v2, v0
	v_and_b32_e32 v0, 0xffff0000, v1
	s_clause 0x1
	buffer_load_dword v1, off, s[0:3], s32 offset:568
	buffer_load_dword v2, off, s[0:3], s32 offset:712
	s_waitcnt vmcnt(1)
	v_fmac_f32_e32 v115, v1, v0
	buffer_load_dword v1, off, s[0:3], s32 offset:572 ; 4-byte Folded Reload
	v_and_b32_e32 v0, 0xffff0000, v48
	s_waitcnt vmcnt(0)
	v_fmac_f32_e32 v45, v1, v0
	buffer_load_dword v1, off, s[0:3], s32 offset:576 ; 4-byte Folded Reload
	v_and_b32_e32 v0, 0xffff0000, v67
	;; [unrolled: 4-line block ×30, first 2 shown]
	buffer_load_dword v19, off, s[0:3], s32 offset:244 ; 4-byte Folded Reload
	s_waitcnt vmcnt(1)
	v_fmac_f32_e32 v117, v1, v0
	buffer_load_dword v1, off, s[0:3], s32 offset:692 ; 4-byte Folded Reload
	v_and_b32_e32 v0, 0xffff0000, v13
	s_waitcnt vmcnt(0)
	v_fmac_f32_e32 v112, v1, v0
	buffer_load_dword v1, off, s[0:3], s32 offset:696 ; 4-byte Folded Reload
	v_and_b32_e32 v0, 0xffff0000, v34
	;; [unrolled: 4-line block ×5, first 2 shown]
	s_waitcnt vmcnt(0)
	v_fmac_f32_e32 v46, v1, v0
	v_and_b32_e32 v1, 0xffff0000, v55
	v_add_f32_e32 v0, v45, v47
	v_fmac_f32_e32 v44, v2, v1
	buffer_load_dword v2, off, s[0:3], s32 offset:716 ; 4-byte Folded Reload
	v_and_b32_e32 v1, 0xffff0000, v24
	v_add_f32_e32 v0, v0, v46
	v_add_f32_e32 v0, v44, v0
	s_waitcnt vmcnt(0)
	v_fmac_f32_e32 v43, v2, v1
	buffer_load_dword v2, off, s[0:3], s32 offset:720 ; 4-byte Folded Reload
	v_and_b32_e32 v1, 0xffff0000, v113
	v_add_f32_e32 v0, v43, v0
	s_waitcnt vmcnt(0)
	v_fmac_f32_e32 v117, v2, v1
	buffer_load_dword v2, off, s[0:3], s32 offset:724 ; 4-byte Folded Reload
	v_and_b32_e32 v1, 0xffff0000, v35
	;; [unrolled: 5-line block ×3, first 2 shown]
	v_add_f32_e32 v0, v112, v0
	s_waitcnt vmcnt(0)
	v_fmac_f32_e32 v115, v2, v1
	s_clause 0x1
	buffer_load_dword v1, off, s[0:3], s32 offset:740
	buffer_load_dword v2, off, s[0:3], s32 offset:260
	v_add_f32_e32 v0, v115, v0
	s_waitcnt vmcnt(1)
	v_add_nc_u32_e32 v1, v1, v96
	v_cvt_f32_i32_e32 v1, v1
	s_waitcnt vmcnt(0)
	v_mul_f32_e32 v1, v2, v1
	buffer_load_dword v2, off, s[0:3], s32 offset:256 ; 4-byte Folded Reload
	v_cndmask_b32_e32 v1, 0, v1, vcc_lo
	s_waitcnt vmcnt(0)
	v_fmac_f32_e32 v1, v2, v0
	buffer_load_dword v0, off, s[0:3], s32 offset:360 ; 4-byte Folded Reload
	s_waitcnt vmcnt(0)
	v_add_nc_u32_e32 v0, v0, v96
	v_cmp_lt_i32_e64 s5, v0, v38
	s_waitcnt lgkmcnt(0)
	v_add_nc_u32_e32 v0, s25, v97
	v_cndmask_b32_e64 v2, 0, v1, s5
	ds_write_b32 v0, v2
	v_max_f32_e32 v0, v19, v19
	v_max_f32_e32 v0, v0, v1
	v_cndmask_b32_e64 v19, v19, v0, s5
.LBB376_15:                             ;   in Loop: Header=BB376_16 Depth=1
	s_or_b32 exec_lo, exec_lo, s6
	buffer_load_dword v0, off, s[0:3], s32 offset:212 ; 4-byte Folded Reload
	v_add_nc_u32_e32 v103, 4, v103
	v_add_co_u32 v28, s5, v28, 16
	v_add_co_ci_u32_e64 v29, null, 0, v29, s5
	v_add_nc_u32_e32 v96, 0x80, v96
	v_add_nc_u32_e32 v97, 0x200, v97
	s_waitcnt vmcnt(0)
	v_cmp_ge_i32_e64 s5, v103, v0
	s_or_b32 s17, s5, s17
	s_andn2_b32 exec_lo, exec_lo, s17
	s_cbranch_execz .LBB376_912
.LBB376_16:                             ; =>This Inner Loop Header: Depth=1
	s_clause 0x1
	buffer_load_dword v1, off, s[0:3], s32 offset:216
	buffer_load_dword v4, off, s[0:3], s32 offset:208
	v_sub_nc_u32_e32 v0, 0, v96
	v_max_i32_e32 v0, v96, v0
	s_waitcnt vmcnt(1)
	v_mul_hi_u32 v1, v0, v1
	v_mul_lo_u32 v2, v1, v49
	v_sub_nc_u32_e32 v0, v0, v2
	v_add_nc_u32_e32 v2, 1, v1
	v_sub_nc_u32_e32 v3, v0, v49
	v_cmp_ge_u32_e64 s5, v0, v49
	v_cndmask_b32_e64 v1, v1, v2, s5
	v_cndmask_b32_e64 v0, v0, v3, s5
	v_ashrrev_i32_e32 v2, 31, v96
	v_add_nc_u32_e32 v3, 1, v1
	v_cmp_ge_u32_e64 s5, v0, v49
	s_waitcnt vmcnt(0)
	v_xor_b32_e32 v2, v2, v4
	v_cndmask_b32_e64 v0, v1, v3, s5
	v_xor_b32_e32 v0, v0, v2
	v_sub_nc_u32_e32 v0, v0, v2
	s_clause 0x3
	buffer_load_dword v1, off, s[0:3], s32 offset:200
	buffer_load_dword v2, off, s[0:3], s32 offset:204
	;; [unrolled: 1-line block ×4, first 2 shown]
	s_waitcnt vmcnt(3)
	v_add_nc_u32_e32 v1, v0, v1
	s_waitcnt vmcnt(2)
	v_sub_nc_u32_e32 v2, 0, v1
	v_max_i32_e32 v2, v1, v2
	v_ashrrev_i32_e32 v1, 31, v1
	s_waitcnt vmcnt(1)
	v_mul_hi_u32 v3, v2, v3
	s_waitcnt vmcnt(0)
	v_mul_lo_u32 v3, v3, v4
	v_sub_nc_u32_e32 v2, v2, v3
	v_sub_nc_u32_e32 v3, v2, v4
	v_cmp_ge_u32_e64 s5, v2, v4
	v_cndmask_b32_e64 v2, v2, v3, s5
	v_sub_nc_u32_e32 v3, v2, v4
	v_cmp_ge_u32_e64 s5, v2, v4
	v_cndmask_b32_e64 v2, v2, v3, s5
	v_xor_b32_e32 v2, v2, v1
	v_sub_nc_u32_e32 v1, v2, v1
	v_cmp_ne_u32_e64 s5, 0, v1
	buffer_load_dword v1, off, s[0:3], s32 offset:220 ; 4-byte Folded Reload
	s_waitcnt vmcnt(0)
	v_cmp_le_i32_e64 s6, v0, v1
	s_and_b32 s5, s5, s6
	s_and_saveexec_b32 s6, s5
	s_xor_b32 s5, exec_lo, s6
	s_cbranch_execz .LBB376_18
; %bb.17:                               ;   in Loop: Header=BB376_16 Depth=1
	s_waitcnt lgkmcnt(0)
	v_add_nc_u32_e32 v0, s24, v97
	v_mov_b32_e32 v1, 0xff7fffff
	ds_write_b32 v0, v1
.LBB376_18:                             ;   in Loop: Header=BB376_16 Depth=1
	s_andn2_saveexec_b32 s6, s5
	s_cbranch_execz .LBB376_15
; %bb.19:                               ;   in Loop: Header=BB376_16 Depth=1
	buffer_store_dword v19, off, s[0:3], s32 offset:244 ; 4-byte Folded Spill
	flat_load_dword v0, v[28:29]
	s_clause 0x2
	buffer_load_dword v1, off, s[0:3], s32 offset:296
	buffer_load_dword v2, off, s[0:3], s32 offset:732
	;; [unrolled: 1-line block ×3, first 2 shown]
	v_mov_b32_e32 v101, 0
	v_mov_b32_e32 v85, 0
	s_waitcnt vmcnt(0) lgkmcnt(0)
	v_mad_i64_i32 v[31:32], null, v0, v1, v[2:3]
	flat_load_dwordx2 v[33:34], v[31:32]
	s_clause 0x1
	buffer_load_dword v0, off, s[0:3], s32 offset:248
	buffer_load_dword v1, off, s[0:3], s32 offset:252
	s_waitcnt vmcnt(2) lgkmcnt(0)
	v_cmp_ne_u16_sdwa s5, v33, v20 src0_sel:BYTE_0 src1_sel:DWORD
	s_waitcnt vmcnt(0)
	flat_load_dword v112, v[0:1]
	s_and_saveexec_b32 s25, s5
	s_cbranch_execz .LBB376_27
; %bb.20:                               ;   in Loop: Header=BB376_16 Depth=1
	v_cmp_ne_u16_sdwa s5, v33, v98 src0_sel:BYTE_0 src1_sel:DWORD
	v_bfrev_b32_e32 v85, 1
	s_and_saveexec_b32 s26, s5
	s_cbranch_execz .LBB376_26
; %bb.21:                               ;   in Loop: Header=BB376_16 Depth=1
	v_and_b32_e32 v1, 0x7f, v33
	v_mov_b32_e32 v85, 0x7f800001
	s_mov_b32 s27, exec_lo
	v_cmpx_ne_u32_e32 0x7f, v1
	s_cbranch_execz .LBB376_25
; %bb.22:                               ;   in Loop: Header=BB376_16 Depth=1
	v_mov_b32_e32 v36, v34
	v_lshrrev_b32_e32 v0, 3, v1
	v_mov_b32_e32 v35, v33
	s_mov_b32 s28, exec_lo
	v_cmpx_gt_u32_e32 8, v1
; %bb.23:                               ;   in Loop: Header=BB376_16 Depth=1
	v_and_b32_e32 v0, 7, v33
	v_ffbh_u32_e32 v0, v0
	v_min_u32_e32 v0, 32, v0
	v_subrev_nc_u32_e32 v1, 28, v0
	v_sub_nc_u32_e32 v0, 29, v0
	v_lshlrev_b64 v[35:36], v1, v[33:34]
; %bb.24:                               ;   in Loop: Header=BB376_16 Depth=1
	s_or_b32 exec_lo, exec_lo, s28
	v_lshlrev_b32_e32 v1, 20, v35
	v_lshlrev_b32_e32 v2, 24, v33
	v_lshl_add_u32 v0, v0, 23, 0x3c000000
	v_and_b32_e32 v1, 0x700000, v1
	v_and_b32_e32 v2, 0x80000000, v2
	v_or3_b32 v85, v1, v2, v0
.LBB376_25:                             ;   in Loop: Header=BB376_16 Depth=1
	s_or_b32 exec_lo, exec_lo, s27
.LBB376_26:                             ;   in Loop: Header=BB376_16 Depth=1
	s_or_b32 exec_lo, exec_lo, s26
.LBB376_27:                             ;   in Loop: Header=BB376_16 Depth=1
	s_or_b32 exec_lo, exec_lo, s25
	v_cmp_ne_u16_sdwa s5, v33, v20 src0_sel:BYTE_1 src1_sel:DWORD
	s_and_saveexec_b32 s25, s5
	s_cbranch_execz .LBB376_35
; %bb.28:                               ;   in Loop: Header=BB376_16 Depth=1
	v_cmp_ne_u16_sdwa s5, v33, v98 src0_sel:BYTE_1 src1_sel:DWORD
	v_bfrev_b32_e32 v101, 1
	s_and_saveexec_b32 s26, s5
	s_cbranch_execz .LBB376_34
; %bb.29:                               ;   in Loop: Header=BB376_16 Depth=1
	v_mov_b32_e32 v0, 0xffff
	v_mov_b32_e32 v101, 0x7f800001
	s_mov_b32 s27, exec_lo
	v_and_b32_sdwa v0, v0, v33 dst_sel:DWORD dst_unused:UNUSED_PAD src0_sel:DWORD src1_sel:BYTE_1
	v_and_b32_e32 v1, 0x7f, v0
	v_cmpx_ne_u32_e32 0x7f, v1
	s_cbranch_execz .LBB376_33
; %bb.30:                               ;   in Loop: Header=BB376_16 Depth=1
	v_and_b32_e32 v19, 7, v0
	v_lshrrev_b32_e32 v0, 3, v1
	s_mov_b32 s28, exec_lo
	v_cmpx_gt_u32_e32 8, v1
; %bb.31:                               ;   in Loop: Header=BB376_16 Depth=1
	v_ffbh_u32_e32 v0, v19
	v_min_u32_e32 v0, 32, v0
	v_subrev_nc_u32_e32 v1, 28, v0
	v_sub_nc_u32_e32 v0, 29, v0
	v_lshlrev_b64 v[1:2], v1, v[19:20]
	v_and_b32_e32 v19, 7, v1
; %bb.32:                               ;   in Loop: Header=BB376_16 Depth=1
	s_or_b32 exec_lo, exec_lo, s28
	v_lshlrev_b32_e32 v1, 16, v33
	v_lshlrev_b32_e32 v2, 20, v19
	v_lshl_add_u32 v0, v0, 23, 0x3c000000
	v_and_b32_e32 v1, 0x80000000, v1
	v_or3_b32 v101, v2, v1, v0
.LBB376_33:                             ;   in Loop: Header=BB376_16 Depth=1
	s_or_b32 exec_lo, exec_lo, s27
.LBB376_34:                             ;   in Loop: Header=BB376_16 Depth=1
	s_or_b32 exec_lo, exec_lo, s26
.LBB376_35:                             ;   in Loop: Header=BB376_16 Depth=1
	s_or_b32 exec_lo, exec_lo, s25
	v_and_b32_sdwa v0, v33, v100 dst_sel:DWORD dst_unused:UNUSED_PAD src0_sel:WORD_1 src1_sel:DWORD
	v_mov_b32_e32 v84, 0
	v_mov_b32_e32 v99, 0
	s_mov_b32 s25, exec_lo
	v_cmpx_ne_u16_e32 0, v0
	s_cbranch_execz .LBB376_43
; %bb.36:                               ;   in Loop: Header=BB376_16 Depth=1
	v_bfrev_b32_e32 v99, 1
	s_mov_b32 s26, exec_lo
	v_cmpx_ne_u16_e32 0x80, v0
	s_cbranch_execz .LBB376_42
; %bb.37:                               ;   in Loop: Header=BB376_16 Depth=1
	v_bfe_u32 v1, v33, 16, 7
	v_mov_b32_e32 v99, 0x7f800001
	s_mov_b32 s27, exec_lo
	v_cmpx_ne_u32_e32 0x7f, v1
	s_cbranch_execz .LBB376_41
; %bb.38:                               ;   in Loop: Header=BB376_16 Depth=1
	v_mov_b32_e32 v0, 7
	s_mov_b32 s28, exec_lo
	v_and_b32_sdwa v19, v33, v0 dst_sel:DWORD dst_unused:UNUSED_PAD src0_sel:WORD_1 src1_sel:DWORD
	v_lshrrev_b32_e32 v0, 3, v1
	v_cmpx_gt_u32_e32 8, v1
; %bb.39:                               ;   in Loop: Header=BB376_16 Depth=1
	v_ffbh_u32_e32 v0, v19
	v_min_u32_e32 v0, 32, v0
	v_subrev_nc_u32_e32 v1, 28, v0
	v_sub_nc_u32_e32 v0, 29, v0
	v_lshlrev_b64 v[1:2], v1, v[19:20]
	v_and_b32_e32 v19, 7, v1
; %bb.40:                               ;   in Loop: Header=BB376_16 Depth=1
	s_or_b32 exec_lo, exec_lo, s28
	v_mov_b32_e32 v1, 24
	v_lshlrev_b32_e32 v2, 20, v19
	v_lshl_add_u32 v0, v0, 23, 0x3c000000
	v_lshlrev_b32_sdwa v1, v1, v33 dst_sel:DWORD dst_unused:UNUSED_PAD src0_sel:DWORD src1_sel:WORD_1
	v_and_b32_e32 v1, 0x80000000, v1
	v_or3_b32 v99, v2, v1, v0
.LBB376_41:                             ;   in Loop: Header=BB376_16 Depth=1
	s_or_b32 exec_lo, exec_lo, s27
.LBB376_42:                             ;   in Loop: Header=BB376_16 Depth=1
	s_or_b32 exec_lo, exec_lo, s26
.LBB376_43:                             ;   in Loop: Header=BB376_16 Depth=1
	s_or_b32 exec_lo, exec_lo, s25
	s_mov_b32 s25, exec_lo
	v_cmpx_lt_u32_e32 0xffffff, v33
	s_cbranch_execz .LBB376_51
; %bb.44:                               ;   in Loop: Header=BB376_16 Depth=1
	v_cmp_ne_u32_sdwa s5, v33, v98 src0_sel:BYTE_3 src1_sel:DWORD
	v_bfrev_b32_e32 v84, 1
	s_and_saveexec_b32 s26, s5
	s_cbranch_execz .LBB376_50
; %bb.45:                               ;   in Loop: Header=BB376_16 Depth=1
	v_bfe_u32 v1, v33, 24, 7
	v_mov_b32_e32 v84, 0x7f800001
	s_mov_b32 s27, exec_lo
	v_cmpx_ne_u32_e32 0x7f, v1
	s_cbranch_execz .LBB376_49
; %bb.46:                               ;   in Loop: Header=BB376_16 Depth=1
	v_mov_b32_e32 v0, 7
	s_mov_b32 s28, exec_lo
	v_and_b32_sdwa v19, v33, v0 dst_sel:DWORD dst_unused:UNUSED_PAD src0_sel:BYTE_3 src1_sel:DWORD
	v_lshrrev_b32_e32 v0, 3, v1
	v_cmpx_gt_u32_e32 8, v1
; %bb.47:                               ;   in Loop: Header=BB376_16 Depth=1
	v_ffbh_u32_e32 v0, v19
	v_min_u32_e32 v0, 32, v0
	v_subrev_nc_u32_e32 v1, 28, v0
	v_sub_nc_u32_e32 v0, 29, v0
	v_lshlrev_b64 v[1:2], v1, v[19:20]
	v_and_b32_e32 v19, 7, v1
; %bb.48:                               ;   in Loop: Header=BB376_16 Depth=1
	s_or_b32 exec_lo, exec_lo, s28
	v_mov_b32_e32 v1, 24
	v_lshlrev_b32_e32 v2, 20, v19
	v_lshl_add_u32 v0, v0, 23, 0x3c000000
	v_lshlrev_b32_sdwa v1, v1, v33 dst_sel:DWORD dst_unused:UNUSED_PAD src0_sel:DWORD src1_sel:BYTE_3
	v_and_b32_e32 v1, 0x80000000, v1
	v_or3_b32 v84, v2, v1, v0
.LBB376_49:                             ;   in Loop: Header=BB376_16 Depth=1
	s_or_b32 exec_lo, exec_lo, s27
.LBB376_50:                             ;   in Loop: Header=BB376_16 Depth=1
	s_or_b32 exec_lo, exec_lo, s26
.LBB376_51:                             ;   in Loop: Header=BB376_16 Depth=1
	s_or_b32 exec_lo, exec_lo, s25
	v_mov_b32_e32 v19, v34
	v_cmp_ne_u16_sdwa s5, v34, v20 src0_sel:BYTE_0 src1_sel:DWORD
	v_mov_b32_e32 v0, 0
	v_mov_b32_e32 v102, 0
	buffer_store_dword v0, off, s[0:3], s32 offset:224 ; 4-byte Folded Spill
	s_and_saveexec_b32 s25, s5
	s_cbranch_execz .LBB376_59
; %bb.52:                               ;   in Loop: Header=BB376_16 Depth=1
	v_cmp_ne_u16_sdwa s5, v34, v98 src0_sel:BYTE_0 src1_sel:DWORD
	v_bfrev_b32_e32 v102, 1
	s_and_saveexec_b32 s26, s5
	s_cbranch_execz .LBB376_58
; %bb.53:                               ;   in Loop: Header=BB376_16 Depth=1
	v_and_b32_e32 v1, 0x7f, v34
	v_mov_b32_e32 v102, 0x7f800001
	s_mov_b32 s27, exec_lo
	v_cmpx_ne_u32_e32 0x7f, v1
	s_cbranch_execz .LBB376_57
; %bb.54:                               ;   in Loop: Header=BB376_16 Depth=1
	v_mov_b32_e32 v36, v20
	v_lshrrev_b32_e32 v0, 3, v1
	v_mov_b32_e32 v35, v19
	s_mov_b32 s28, exec_lo
	v_cmpx_gt_u32_e32 8, v1
; %bb.55:                               ;   in Loop: Header=BB376_16 Depth=1
	v_and_b32_e32 v0, 7, v34
	v_ffbh_u32_e32 v0, v0
	v_min_u32_e32 v0, 32, v0
	v_subrev_nc_u32_e32 v1, 28, v0
	v_sub_nc_u32_e32 v0, 29, v0
	v_lshlrev_b64 v[35:36], v1, v[19:20]
; %bb.56:                               ;   in Loop: Header=BB376_16 Depth=1
	s_or_b32 exec_lo, exec_lo, s28
	v_lshlrev_b32_e32 v1, 20, v35
	v_lshlrev_b32_e32 v2, 24, v19
	v_lshl_add_u32 v0, v0, 23, 0x3c000000
	v_and_b32_e32 v1, 0x700000, v1
	v_and_b32_e32 v2, 0x80000000, v2
	v_or3_b32 v102, v1, v2, v0
.LBB376_57:                             ;   in Loop: Header=BB376_16 Depth=1
	s_or_b32 exec_lo, exec_lo, s27
.LBB376_58:                             ;   in Loop: Header=BB376_16 Depth=1
	s_or_b32 exec_lo, exec_lo, s26
.LBB376_59:                             ;   in Loop: Header=BB376_16 Depth=1
	s_or_b32 exec_lo, exec_lo, s25
	v_cmp_ne_u16_sdwa s5, v19, v20 src0_sel:BYTE_1 src1_sel:DWORD
	s_and_saveexec_b32 s25, s5
	s_cbranch_execz .LBB376_67
; %bb.60:                               ;   in Loop: Header=BB376_16 Depth=1
	v_cmp_ne_u16_sdwa s5, v19, v98 src0_sel:BYTE_1 src1_sel:DWORD
	v_bfrev_b32_e32 v0, 1
	buffer_store_dword v0, off, s[0:3], s32 offset:224 ; 4-byte Folded Spill
	s_and_saveexec_b32 s26, s5
	s_cbranch_execz .LBB376_66
; %bb.61:                               ;   in Loop: Header=BB376_16 Depth=1
	v_mov_b32_e32 v0, 0xffff
	v_mov_b32_e32 v2, 0x7f800001
	s_mov_b32 s27, exec_lo
	v_and_b32_sdwa v0, v0, v19 dst_sel:DWORD dst_unused:UNUSED_PAD src0_sel:DWORD src1_sel:BYTE_1
	buffer_store_dword v2, off, s[0:3], s32 offset:224 ; 4-byte Folded Spill
	v_and_b32_e32 v1, 0x7f, v0
	v_cmpx_ne_u32_e32 0x7f, v1
	s_cbranch_execz .LBB376_65
; %bb.62:                               ;   in Loop: Header=BB376_16 Depth=1
	v_and_b32_e32 v35, 7, v0
	v_mov_b32_e32 v36, v20
	v_lshrrev_b32_e32 v0, 3, v1
	s_mov_b32 s28, exec_lo
	v_cmpx_gt_u32_e32 8, v1
; %bb.63:                               ;   in Loop: Header=BB376_16 Depth=1
	v_ffbh_u32_e32 v0, v35
	v_min_u32_e32 v0, 32, v0
	v_subrev_nc_u32_e32 v1, 28, v0
	v_sub_nc_u32_e32 v0, 29, v0
	v_lshlrev_b64 v[1:2], v1, v[35:36]
	v_and_b32_e32 v35, 7, v1
; %bb.64:                               ;   in Loop: Header=BB376_16 Depth=1
	s_or_b32 exec_lo, exec_lo, s28
	v_lshlrev_b32_e32 v1, 16, v19
	v_lshlrev_b32_e32 v2, 20, v35
	v_lshl_add_u32 v0, v0, 23, 0x3c000000
	v_and_b32_e32 v1, 0x80000000, v1
	v_or3_b32 v0, v2, v1, v0
	buffer_store_dword v0, off, s[0:3], s32 offset:224 ; 4-byte Folded Spill
.LBB376_65:                             ;   in Loop: Header=BB376_16 Depth=1
	s_or_b32 exec_lo, exec_lo, s27
.LBB376_66:                             ;   in Loop: Header=BB376_16 Depth=1
	s_or_b32 exec_lo, exec_lo, s26
.LBB376_67:                             ;   in Loop: Header=BB376_16 Depth=1
	s_or_b32 exec_lo, exec_lo, s25
	v_mov_b32_e32 v1, 0
	v_and_b32_sdwa v0, v34, v100 dst_sel:DWORD dst_unused:UNUSED_PAD src0_sel:WORD_1 src1_sel:DWORD
	s_mov_b32 s25, exec_lo
	buffer_store_dword v1, off, s[0:3], s32 offset:228 ; 4-byte Folded Spill
	v_mov_b32_e32 v1, 0
	buffer_store_dword v1, off, s[0:3], s32 offset:232 ; 4-byte Folded Spill
	v_cmpx_ne_u16_e32 0, v0
	s_cbranch_execz .LBB376_75
; %bb.68:                               ;   in Loop: Header=BB376_16 Depth=1
	v_cmp_ne_u16_e64 s5, 0x80, v0
	v_bfrev_b32_e32 v0, 1
	s_and_saveexec_b32 s26, s5
	s_cbranch_execz .LBB376_74
; %bb.69:                               ;   in Loop: Header=BB376_16 Depth=1
	v_bfe_u32 v1, v34, 16, 7
	v_mov_b32_e32 v0, 0x7f800001
	s_mov_b32 s27, exec_lo
	v_cmpx_ne_u32_e32 0x7f, v1
	s_cbranch_execz .LBB376_73
; %bb.70:                               ;   in Loop: Header=BB376_16 Depth=1
	v_mov_b32_e32 v0, 7
	s_mov_b32 s28, exec_lo
	v_and_b32_sdwa v19, v34, v0 dst_sel:DWORD dst_unused:UNUSED_PAD src0_sel:WORD_1 src1_sel:DWORD
	v_mov_b32_e32 v36, v20
	v_lshrrev_b32_e32 v0, 3, v1
	v_mov_b32_e32 v35, v19
	v_cmpx_gt_u32_e32 8, v1
; %bb.71:                               ;   in Loop: Header=BB376_16 Depth=1
	v_ffbh_u32_e32 v0, v19
	v_min_u32_e32 v0, 32, v0
	v_subrev_nc_u32_e32 v1, 28, v0
	v_sub_nc_u32_e32 v0, 29, v0
	v_lshlrev_b64 v[1:2], v1, v[19:20]
	v_and_b32_e32 v35, 7, v1
; %bb.72:                               ;   in Loop: Header=BB376_16 Depth=1
	s_or_b32 exec_lo, exec_lo, s28
	v_mov_b32_e32 v1, 24
	v_lshlrev_b32_e32 v2, 20, v35
	v_lshl_add_u32 v0, v0, 23, 0x3c000000
	v_lshlrev_b32_sdwa v1, v1, v34 dst_sel:DWORD dst_unused:UNUSED_PAD src0_sel:DWORD src1_sel:WORD_1
	v_and_b32_e32 v1, 0x80000000, v1
	v_or3_b32 v0, v2, v1, v0
.LBB376_73:                             ;   in Loop: Header=BB376_16 Depth=1
	s_or_b32 exec_lo, exec_lo, s27
.LBB376_74:                             ;   in Loop: Header=BB376_16 Depth=1
	s_or_b32 exec_lo, exec_lo, s26
	buffer_store_dword v0, off, s[0:3], s32 offset:232 ; 4-byte Folded Spill
.LBB376_75:                             ;   in Loop: Header=BB376_16 Depth=1
	s_or_b32 exec_lo, exec_lo, s25
	s_mov_b32 s25, exec_lo
	v_cmpx_lt_u64_e64 s[20:21], v[33:34]
	s_cbranch_execz .LBB376_83
; %bb.76:                               ;   in Loop: Header=BB376_16 Depth=1
	v_cmp_ne_u32_sdwa s5, v34, v98 src0_sel:BYTE_3 src1_sel:DWORD
	v_bfrev_b32_e32 v0, 1
	buffer_store_dword v0, off, s[0:3], s32 offset:228 ; 4-byte Folded Spill
	s_and_saveexec_b32 s26, s5
	s_cbranch_execz .LBB376_82
; %bb.77:                               ;   in Loop: Header=BB376_16 Depth=1
	v_bfe_u32 v1, v34, 24, 7
	v_mov_b32_e32 v0, 0x7f800001
	s_mov_b32 s27, exec_lo
	buffer_store_dword v0, off, s[0:3], s32 offset:228 ; 4-byte Folded Spill
	v_cmpx_ne_u32_e32 0x7f, v1
	s_cbranch_execz .LBB376_81
; %bb.78:                               ;   in Loop: Header=BB376_16 Depth=1
	v_mov_b32_e32 v0, 7
	s_mov_b32 s28, exec_lo
	v_and_b32_sdwa v19, v34, v0 dst_sel:DWORD dst_unused:UNUSED_PAD src0_sel:BYTE_3 src1_sel:DWORD
	v_mov_b32_e32 v36, v20
	v_lshrrev_b32_e32 v0, 3, v1
	v_mov_b32_e32 v35, v19
	v_cmpx_gt_u32_e32 8, v1
; %bb.79:                               ;   in Loop: Header=BB376_16 Depth=1
	v_ffbh_u32_e32 v0, v19
	v_min_u32_e32 v0, 32, v0
	v_subrev_nc_u32_e32 v1, 28, v0
	v_sub_nc_u32_e32 v0, 29, v0
	v_lshlrev_b64 v[1:2], v1, v[19:20]
	v_and_b32_e32 v35, 7, v1
; %bb.80:                               ;   in Loop: Header=BB376_16 Depth=1
	s_or_b32 exec_lo, exec_lo, s28
	v_mov_b32_e32 v1, 24
	v_lshlrev_b32_e32 v2, 20, v35
	v_lshl_add_u32 v0, v0, 23, 0x3c000000
	v_lshlrev_b32_sdwa v1, v1, v34 dst_sel:DWORD dst_unused:UNUSED_PAD src0_sel:DWORD src1_sel:BYTE_3
	v_and_b32_e32 v1, 0x80000000, v1
	v_or3_b32 v0, v2, v1, v0
	buffer_store_dword v0, off, s[0:3], s32 offset:228 ; 4-byte Folded Spill
.LBB376_81:                             ;   in Loop: Header=BB376_16 Depth=1
	s_or_b32 exec_lo, exec_lo, s27
.LBB376_82:                             ;   in Loop: Header=BB376_16 Depth=1
	s_or_b32 exec_lo, exec_lo, s26
.LBB376_83:                             ;   in Loop: Header=BB376_16 Depth=1
	s_or_b32 exec_lo, exec_lo, s25
	flat_load_dwordx2 v[33:34], v[31:32] offset:8
	v_mov_b32_e32 v42, 0
	v_mov_b32_e32 v41, 0
	s_waitcnt vmcnt(0) lgkmcnt(0)
	v_cmp_ne_u16_sdwa s5, v33, v20 src0_sel:BYTE_0 src1_sel:DWORD
	s_and_saveexec_b32 s25, s5
	s_cbranch_execz .LBB376_91
; %bb.84:                               ;   in Loop: Header=BB376_16 Depth=1
	v_cmp_ne_u16_sdwa s5, v33, v98 src0_sel:BYTE_0 src1_sel:DWORD
	v_bfrev_b32_e32 v41, 1
	s_and_saveexec_b32 s26, s5
	s_cbranch_execz .LBB376_90
; %bb.85:                               ;   in Loop: Header=BB376_16 Depth=1
	v_and_b32_e32 v1, 0x7f, v33
	v_mov_b32_e32 v41, 0x7f800001
	s_mov_b32 s27, exec_lo
	v_cmpx_ne_u32_e32 0x7f, v1
	s_cbranch_execz .LBB376_89
; %bb.86:                               ;   in Loop: Header=BB376_16 Depth=1
	v_mov_b32_e32 v36, v34
	v_lshrrev_b32_e32 v0, 3, v1
	v_mov_b32_e32 v35, v33
	s_mov_b32 s28, exec_lo
	v_cmpx_gt_u32_e32 8, v1
; %bb.87:                               ;   in Loop: Header=BB376_16 Depth=1
	v_and_b32_e32 v0, 7, v33
	v_ffbh_u32_e32 v0, v0
	v_min_u32_e32 v0, 32, v0
	v_subrev_nc_u32_e32 v1, 28, v0
	v_sub_nc_u32_e32 v0, 29, v0
	v_lshlrev_b64 v[35:36], v1, v[33:34]
; %bb.88:                               ;   in Loop: Header=BB376_16 Depth=1
	s_or_b32 exec_lo, exec_lo, s28
	v_lshlrev_b32_e32 v1, 20, v35
	v_lshlrev_b32_e32 v2, 24, v33
	v_lshl_add_u32 v0, v0, 23, 0x3c000000
	v_and_b32_e32 v1, 0x700000, v1
	v_and_b32_e32 v2, 0x80000000, v2
	v_or3_b32 v41, v1, v2, v0
.LBB376_89:                             ;   in Loop: Header=BB376_16 Depth=1
	s_or_b32 exec_lo, exec_lo, s27
.LBB376_90:                             ;   in Loop: Header=BB376_16 Depth=1
	s_or_b32 exec_lo, exec_lo, s26
.LBB376_91:                             ;   in Loop: Header=BB376_16 Depth=1
	s_or_b32 exec_lo, exec_lo, s25
	v_cmp_ne_u16_sdwa s5, v33, v20 src0_sel:BYTE_1 src1_sel:DWORD
	s_and_saveexec_b32 s25, s5
	s_cbranch_execz .LBB376_99
; %bb.92:                               ;   in Loop: Header=BB376_16 Depth=1
	v_cmp_ne_u16_sdwa s5, v33, v98 src0_sel:BYTE_1 src1_sel:DWORD
	v_bfrev_b32_e32 v42, 1
	s_and_saveexec_b32 s26, s5
	s_cbranch_execz .LBB376_98
; %bb.93:                               ;   in Loop: Header=BB376_16 Depth=1
	v_mov_b32_e32 v0, 0xffff
	v_mov_b32_e32 v42, 0x7f800001
	s_mov_b32 s27, exec_lo
	v_and_b32_sdwa v0, v0, v33 dst_sel:DWORD dst_unused:UNUSED_PAD src0_sel:DWORD src1_sel:BYTE_1
	v_and_b32_e32 v1, 0x7f, v0
	v_cmpx_ne_u32_e32 0x7f, v1
	s_cbranch_execz .LBB376_97
; %bb.94:                               ;   in Loop: Header=BB376_16 Depth=1
	v_and_b32_e32 v19, 7, v0
	v_mov_b32_e32 v36, v20
	v_lshrrev_b32_e32 v0, 3, v1
	s_mov_b32 s28, exec_lo
	v_mov_b32_e32 v35, v19
	v_cmpx_gt_u32_e32 8, v1
; %bb.95:                               ;   in Loop: Header=BB376_16 Depth=1
	v_ffbh_u32_e32 v0, v19
	v_min_u32_e32 v0, 32, v0
	v_subrev_nc_u32_e32 v1, 28, v0
	v_sub_nc_u32_e32 v0, 29, v0
	v_lshlrev_b64 v[1:2], v1, v[19:20]
	v_and_b32_e32 v35, 7, v1
; %bb.96:                               ;   in Loop: Header=BB376_16 Depth=1
	s_or_b32 exec_lo, exec_lo, s28
	v_lshlrev_b32_e32 v1, 16, v33
	v_lshlrev_b32_e32 v2, 20, v35
	v_lshl_add_u32 v0, v0, 23, 0x3c000000
	v_and_b32_e32 v1, 0x80000000, v1
	v_or3_b32 v42, v2, v1, v0
.LBB376_97:                             ;   in Loop: Header=BB376_16 Depth=1
	s_or_b32 exec_lo, exec_lo, s27
.LBB376_98:                             ;   in Loop: Header=BB376_16 Depth=1
	s_or_b32 exec_lo, exec_lo, s26
.LBB376_99:                             ;   in Loop: Header=BB376_16 Depth=1
	s_or_b32 exec_lo, exec_lo, s25
	v_and_b32_sdwa v0, v33, v100 dst_sel:DWORD dst_unused:UNUSED_PAD src0_sel:WORD_1 src1_sel:DWORD
	v_mov_b32_e32 v44, 0
	v_mov_b32_e32 v43, 0
	s_mov_b32 s25, exec_lo
	v_cmpx_ne_u16_e32 0, v0
	s_cbranch_execz .LBB376_107
; %bb.100:                              ;   in Loop: Header=BB376_16 Depth=1
	v_bfrev_b32_e32 v43, 1
	s_mov_b32 s26, exec_lo
	v_cmpx_ne_u16_e32 0x80, v0
	s_cbranch_execz .LBB376_106
; %bb.101:                              ;   in Loop: Header=BB376_16 Depth=1
	v_bfe_u32 v1, v33, 16, 7
	v_mov_b32_e32 v43, 0x7f800001
	s_mov_b32 s27, exec_lo
	v_cmpx_ne_u32_e32 0x7f, v1
	s_cbranch_execz .LBB376_105
; %bb.102:                              ;   in Loop: Header=BB376_16 Depth=1
	v_mov_b32_e32 v0, 7
	s_mov_b32 s28, exec_lo
	v_and_b32_sdwa v19, v33, v0 dst_sel:DWORD dst_unused:UNUSED_PAD src0_sel:WORD_1 src1_sel:DWORD
	v_mov_b32_e32 v36, v20
	v_lshrrev_b32_e32 v0, 3, v1
	v_mov_b32_e32 v35, v19
	v_cmpx_gt_u32_e32 8, v1
; %bb.103:                              ;   in Loop: Header=BB376_16 Depth=1
	v_ffbh_u32_e32 v0, v19
	v_min_u32_e32 v0, 32, v0
	v_subrev_nc_u32_e32 v1, 28, v0
	v_sub_nc_u32_e32 v0, 29, v0
	v_lshlrev_b64 v[1:2], v1, v[19:20]
	v_and_b32_e32 v35, 7, v1
; %bb.104:                              ;   in Loop: Header=BB376_16 Depth=1
	s_or_b32 exec_lo, exec_lo, s28
	v_mov_b32_e32 v1, 24
	v_lshlrev_b32_e32 v2, 20, v35
	v_lshl_add_u32 v0, v0, 23, 0x3c000000
	v_lshlrev_b32_sdwa v1, v1, v33 dst_sel:DWORD dst_unused:UNUSED_PAD src0_sel:DWORD src1_sel:WORD_1
	v_and_b32_e32 v1, 0x80000000, v1
	v_or3_b32 v43, v2, v1, v0
.LBB376_105:                            ;   in Loop: Header=BB376_16 Depth=1
	s_or_b32 exec_lo, exec_lo, s27
.LBB376_106:                            ;   in Loop: Header=BB376_16 Depth=1
	s_or_b32 exec_lo, exec_lo, s26
.LBB376_107:                            ;   in Loop: Header=BB376_16 Depth=1
	s_or_b32 exec_lo, exec_lo, s25
	s_mov_b32 s25, exec_lo
	v_cmpx_lt_u32_e32 0xffffff, v33
	s_cbranch_execz .LBB376_115
; %bb.108:                              ;   in Loop: Header=BB376_16 Depth=1
	v_cmp_ne_u32_sdwa s5, v33, v98 src0_sel:BYTE_3 src1_sel:DWORD
	v_bfrev_b32_e32 v44, 1
	s_and_saveexec_b32 s26, s5
	s_cbranch_execz .LBB376_114
; %bb.109:                              ;   in Loop: Header=BB376_16 Depth=1
	v_bfe_u32 v1, v33, 24, 7
	v_mov_b32_e32 v44, 0x7f800001
	s_mov_b32 s27, exec_lo
	v_cmpx_ne_u32_e32 0x7f, v1
	s_cbranch_execz .LBB376_113
; %bb.110:                              ;   in Loop: Header=BB376_16 Depth=1
	v_mov_b32_e32 v0, 7
	s_mov_b32 s28, exec_lo
	v_and_b32_sdwa v19, v33, v0 dst_sel:DWORD dst_unused:UNUSED_PAD src0_sel:BYTE_3 src1_sel:DWORD
	v_mov_b32_e32 v36, v20
	v_lshrrev_b32_e32 v0, 3, v1
	v_mov_b32_e32 v35, v19
	v_cmpx_gt_u32_e32 8, v1
; %bb.111:                              ;   in Loop: Header=BB376_16 Depth=1
	v_ffbh_u32_e32 v0, v19
	v_min_u32_e32 v0, 32, v0
	v_subrev_nc_u32_e32 v1, 28, v0
	v_sub_nc_u32_e32 v0, 29, v0
	v_lshlrev_b64 v[1:2], v1, v[19:20]
	v_and_b32_e32 v35, 7, v1
; %bb.112:                              ;   in Loop: Header=BB376_16 Depth=1
	s_or_b32 exec_lo, exec_lo, s28
	v_mov_b32_e32 v1, 24
	v_lshlrev_b32_e32 v2, 20, v35
	v_lshl_add_u32 v0, v0, 23, 0x3c000000
	v_lshlrev_b32_sdwa v1, v1, v33 dst_sel:DWORD dst_unused:UNUSED_PAD src0_sel:DWORD src1_sel:BYTE_3
	v_and_b32_e32 v1, 0x80000000, v1
	v_or3_b32 v44, v2, v1, v0
.LBB376_113:                            ;   in Loop: Header=BB376_16 Depth=1
	s_or_b32 exec_lo, exec_lo, s27
.LBB376_114:                            ;   in Loop: Header=BB376_16 Depth=1
	s_or_b32 exec_lo, exec_lo, s26
.LBB376_115:                            ;   in Loop: Header=BB376_16 Depth=1
	s_or_b32 exec_lo, exec_lo, s25
	v_mov_b32_e32 v19, v34
	v_cmp_ne_u16_sdwa s5, v34, v20 src0_sel:BYTE_0 src1_sel:DWORD
	v_mov_b32_e32 v46, 0
	v_mov_b32_e32 v45, 0
	s_and_saveexec_b32 s25, s5
	s_cbranch_execz .LBB376_123
; %bb.116:                              ;   in Loop: Header=BB376_16 Depth=1
	v_cmp_ne_u16_sdwa s5, v34, v98 src0_sel:BYTE_0 src1_sel:DWORD
	v_bfrev_b32_e32 v45, 1
	s_and_saveexec_b32 s26, s5
	s_cbranch_execz .LBB376_122
; %bb.117:                              ;   in Loop: Header=BB376_16 Depth=1
	v_and_b32_e32 v1, 0x7f, v34
	v_mov_b32_e32 v45, 0x7f800001
	s_mov_b32 s27, exec_lo
	v_cmpx_ne_u32_e32 0x7f, v1
	s_cbranch_execz .LBB376_121
; %bb.118:                              ;   in Loop: Header=BB376_16 Depth=1
	v_mov_b32_e32 v36, v20
	v_lshrrev_b32_e32 v0, 3, v1
	v_mov_b32_e32 v35, v19
	s_mov_b32 s28, exec_lo
	v_cmpx_gt_u32_e32 8, v1
; %bb.119:                              ;   in Loop: Header=BB376_16 Depth=1
	v_and_b32_e32 v0, 7, v34
	v_ffbh_u32_e32 v0, v0
	v_min_u32_e32 v0, 32, v0
	v_subrev_nc_u32_e32 v1, 28, v0
	v_sub_nc_u32_e32 v0, 29, v0
	v_lshlrev_b64 v[35:36], v1, v[19:20]
; %bb.120:                              ;   in Loop: Header=BB376_16 Depth=1
	s_or_b32 exec_lo, exec_lo, s28
	v_lshlrev_b32_e32 v1, 20, v35
	v_lshlrev_b32_e32 v2, 24, v19
	v_lshl_add_u32 v0, v0, 23, 0x3c000000
	v_and_b32_e32 v1, 0x700000, v1
	v_and_b32_e32 v2, 0x80000000, v2
	v_or3_b32 v45, v1, v2, v0
.LBB376_121:                            ;   in Loop: Header=BB376_16 Depth=1
	s_or_b32 exec_lo, exec_lo, s27
.LBB376_122:                            ;   in Loop: Header=BB376_16 Depth=1
	s_or_b32 exec_lo, exec_lo, s26
.LBB376_123:                            ;   in Loop: Header=BB376_16 Depth=1
	s_or_b32 exec_lo, exec_lo, s25
	v_cmp_ne_u16_sdwa s5, v19, v20 src0_sel:BYTE_1 src1_sel:DWORD
	s_and_saveexec_b32 s25, s5
	s_cbranch_execz .LBB376_131
; %bb.124:                              ;   in Loop: Header=BB376_16 Depth=1
	v_cmp_ne_u16_sdwa s5, v19, v98 src0_sel:BYTE_1 src1_sel:DWORD
	v_bfrev_b32_e32 v46, 1
	s_and_saveexec_b32 s26, s5
	s_cbranch_execz .LBB376_130
; %bb.125:                              ;   in Loop: Header=BB376_16 Depth=1
	v_mov_b32_e32 v0, 0xffff
	v_mov_b32_e32 v46, 0x7f800001
	s_mov_b32 s27, exec_lo
	v_and_b32_sdwa v0, v0, v19 dst_sel:DWORD dst_unused:UNUSED_PAD src0_sel:DWORD src1_sel:BYTE_1
	v_and_b32_e32 v1, 0x7f, v0
	v_cmpx_ne_u32_e32 0x7f, v1
	s_cbranch_execz .LBB376_129
; %bb.126:                              ;   in Loop: Header=BB376_16 Depth=1
	v_and_b32_e32 v35, 7, v0
	v_mov_b32_e32 v36, v20
	v_lshrrev_b32_e32 v0, 3, v1
	s_mov_b32 s28, exec_lo
	v_cmpx_gt_u32_e32 8, v1
; %bb.127:                              ;   in Loop: Header=BB376_16 Depth=1
	v_ffbh_u32_e32 v0, v35
	v_min_u32_e32 v0, 32, v0
	v_subrev_nc_u32_e32 v1, 28, v0
	v_sub_nc_u32_e32 v0, 29, v0
	v_lshlrev_b64 v[1:2], v1, v[35:36]
	v_and_b32_e32 v35, 7, v1
; %bb.128:                              ;   in Loop: Header=BB376_16 Depth=1
	s_or_b32 exec_lo, exec_lo, s28
	v_lshlrev_b32_e32 v1, 16, v19
	v_lshlrev_b32_e32 v2, 20, v35
	v_lshl_add_u32 v0, v0, 23, 0x3c000000
	v_and_b32_e32 v1, 0x80000000, v1
	v_or3_b32 v46, v2, v1, v0
.LBB376_129:                            ;   in Loop: Header=BB376_16 Depth=1
	s_or_b32 exec_lo, exec_lo, s27
.LBB376_130:                            ;   in Loop: Header=BB376_16 Depth=1
	s_or_b32 exec_lo, exec_lo, s26
.LBB376_131:                            ;   in Loop: Header=BB376_16 Depth=1
	s_or_b32 exec_lo, exec_lo, s25
	v_and_b32_sdwa v0, v34, v100 dst_sel:DWORD dst_unused:UNUSED_PAD src0_sel:WORD_1 src1_sel:DWORD
	v_mov_b32_e32 v47, 0
	v_mov_b32_e32 v56, 0
	s_mov_b32 s25, exec_lo
	v_cmpx_ne_u16_e32 0, v0
	s_cbranch_execz .LBB376_139
; %bb.132:                              ;   in Loop: Header=BB376_16 Depth=1
	v_bfrev_b32_e32 v56, 1
	s_mov_b32 s26, exec_lo
	v_cmpx_ne_u16_e32 0x80, v0
	s_cbranch_execz .LBB376_138
; %bb.133:                              ;   in Loop: Header=BB376_16 Depth=1
	v_bfe_u32 v1, v34, 16, 7
	v_mov_b32_e32 v56, 0x7f800001
	s_mov_b32 s27, exec_lo
	v_cmpx_ne_u32_e32 0x7f, v1
	s_cbranch_execz .LBB376_137
; %bb.134:                              ;   in Loop: Header=BB376_16 Depth=1
	v_mov_b32_e32 v0, 7
	s_mov_b32 s28, exec_lo
	v_and_b32_sdwa v19, v34, v0 dst_sel:DWORD dst_unused:UNUSED_PAD src0_sel:WORD_1 src1_sel:DWORD
	v_mov_b32_e32 v36, v20
	v_lshrrev_b32_e32 v0, 3, v1
	v_mov_b32_e32 v35, v19
	v_cmpx_gt_u32_e32 8, v1
; %bb.135:                              ;   in Loop: Header=BB376_16 Depth=1
	v_ffbh_u32_e32 v0, v19
	v_min_u32_e32 v0, 32, v0
	v_subrev_nc_u32_e32 v1, 28, v0
	v_sub_nc_u32_e32 v0, 29, v0
	v_lshlrev_b64 v[1:2], v1, v[19:20]
	v_and_b32_e32 v35, 7, v1
; %bb.136:                              ;   in Loop: Header=BB376_16 Depth=1
	s_or_b32 exec_lo, exec_lo, s28
	v_mov_b32_e32 v1, 24
	v_lshlrev_b32_e32 v2, 20, v35
	v_lshl_add_u32 v0, v0, 23, 0x3c000000
	v_lshlrev_b32_sdwa v1, v1, v34 dst_sel:DWORD dst_unused:UNUSED_PAD src0_sel:DWORD src1_sel:WORD_1
	v_and_b32_e32 v1, 0x80000000, v1
	v_or3_b32 v56, v2, v1, v0
.LBB376_137:                            ;   in Loop: Header=BB376_16 Depth=1
	s_or_b32 exec_lo, exec_lo, s27
.LBB376_138:                            ;   in Loop: Header=BB376_16 Depth=1
	s_or_b32 exec_lo, exec_lo, s26
.LBB376_139:                            ;   in Loop: Header=BB376_16 Depth=1
	s_or_b32 exec_lo, exec_lo, s25
	s_mov_b32 s25, exec_lo
	v_cmpx_lt_u64_e64 s[20:21], v[33:34]
	s_cbranch_execz .LBB376_147
; %bb.140:                              ;   in Loop: Header=BB376_16 Depth=1
	v_cmp_ne_u32_sdwa s5, v34, v98 src0_sel:BYTE_3 src1_sel:DWORD
	v_bfrev_b32_e32 v47, 1
	s_and_saveexec_b32 s26, s5
	s_cbranch_execz .LBB376_146
; %bb.141:                              ;   in Loop: Header=BB376_16 Depth=1
	v_bfe_u32 v1, v34, 24, 7
	v_mov_b32_e32 v47, 0x7f800001
	s_mov_b32 s27, exec_lo
	v_cmpx_ne_u32_e32 0x7f, v1
	s_cbranch_execz .LBB376_145
; %bb.142:                              ;   in Loop: Header=BB376_16 Depth=1
	v_mov_b32_e32 v0, 7
	s_mov_b32 s28, exec_lo
	v_and_b32_sdwa v19, v34, v0 dst_sel:DWORD dst_unused:UNUSED_PAD src0_sel:BYTE_3 src1_sel:DWORD
	v_mov_b32_e32 v36, v20
	v_lshrrev_b32_e32 v0, 3, v1
	v_mov_b32_e32 v35, v19
	v_cmpx_gt_u32_e32 8, v1
; %bb.143:                              ;   in Loop: Header=BB376_16 Depth=1
	v_ffbh_u32_e32 v0, v19
	v_min_u32_e32 v0, 32, v0
	v_subrev_nc_u32_e32 v1, 28, v0
	v_sub_nc_u32_e32 v0, 29, v0
	v_lshlrev_b64 v[1:2], v1, v[19:20]
	v_and_b32_e32 v35, 7, v1
; %bb.144:                              ;   in Loop: Header=BB376_16 Depth=1
	s_or_b32 exec_lo, exec_lo, s28
	v_mov_b32_e32 v1, 24
	v_lshlrev_b32_e32 v2, 20, v35
	v_lshl_add_u32 v0, v0, 23, 0x3c000000
	v_lshlrev_b32_sdwa v1, v1, v34 dst_sel:DWORD dst_unused:UNUSED_PAD src0_sel:DWORD src1_sel:BYTE_3
	v_and_b32_e32 v1, 0x80000000, v1
	v_or3_b32 v47, v2, v1, v0
.LBB376_145:                            ;   in Loop: Header=BB376_16 Depth=1
	s_or_b32 exec_lo, exec_lo, s27
.LBB376_146:                            ;   in Loop: Header=BB376_16 Depth=1
	s_or_b32 exec_lo, exec_lo, s26
.LBB376_147:                            ;   in Loop: Header=BB376_16 Depth=1
	s_or_b32 exec_lo, exec_lo, s25
	flat_load_dwordx2 v[33:34], v[31:32] offset:512
	v_mov_b32_e32 v58, 0
	v_mov_b32_e32 v57, 0
	s_waitcnt vmcnt(0) lgkmcnt(0)
	v_cmp_ne_u16_sdwa s5, v33, v20 src0_sel:BYTE_0 src1_sel:DWORD
	s_and_saveexec_b32 s25, s5
	s_cbranch_execz .LBB376_155
; %bb.148:                              ;   in Loop: Header=BB376_16 Depth=1
	v_cmp_ne_u16_sdwa s5, v33, v98 src0_sel:BYTE_0 src1_sel:DWORD
	v_bfrev_b32_e32 v57, 1
	s_and_saveexec_b32 s26, s5
	s_cbranch_execz .LBB376_154
; %bb.149:                              ;   in Loop: Header=BB376_16 Depth=1
	v_and_b32_e32 v1, 0x7f, v33
	v_mov_b32_e32 v57, 0x7f800001
	s_mov_b32 s27, exec_lo
	v_cmpx_ne_u32_e32 0x7f, v1
	s_cbranch_execz .LBB376_153
; %bb.150:                              ;   in Loop: Header=BB376_16 Depth=1
	v_mov_b32_e32 v36, v34
	v_lshrrev_b32_e32 v0, 3, v1
	v_mov_b32_e32 v35, v33
	s_mov_b32 s28, exec_lo
	v_cmpx_gt_u32_e32 8, v1
; %bb.151:                              ;   in Loop: Header=BB376_16 Depth=1
	v_and_b32_e32 v0, 7, v33
	v_ffbh_u32_e32 v0, v0
	v_min_u32_e32 v0, 32, v0
	v_subrev_nc_u32_e32 v1, 28, v0
	v_sub_nc_u32_e32 v0, 29, v0
	v_lshlrev_b64 v[35:36], v1, v[33:34]
; %bb.152:                              ;   in Loop: Header=BB376_16 Depth=1
	s_or_b32 exec_lo, exec_lo, s28
	v_lshlrev_b32_e32 v1, 20, v35
	v_lshlrev_b32_e32 v2, 24, v33
	v_lshl_add_u32 v0, v0, 23, 0x3c000000
	v_and_b32_e32 v1, 0x700000, v1
	v_and_b32_e32 v2, 0x80000000, v2
	v_or3_b32 v57, v1, v2, v0
.LBB376_153:                            ;   in Loop: Header=BB376_16 Depth=1
	s_or_b32 exec_lo, exec_lo, s27
.LBB376_154:                            ;   in Loop: Header=BB376_16 Depth=1
	s_or_b32 exec_lo, exec_lo, s26
.LBB376_155:                            ;   in Loop: Header=BB376_16 Depth=1
	s_or_b32 exec_lo, exec_lo, s25
	v_cmp_ne_u16_sdwa s5, v33, v20 src0_sel:BYTE_1 src1_sel:DWORD
	s_and_saveexec_b32 s25, s5
	s_cbranch_execz .LBB376_163
; %bb.156:                              ;   in Loop: Header=BB376_16 Depth=1
	v_cmp_ne_u16_sdwa s5, v33, v98 src0_sel:BYTE_1 src1_sel:DWORD
	v_bfrev_b32_e32 v58, 1
	s_and_saveexec_b32 s26, s5
	s_cbranch_execz .LBB376_162
; %bb.157:                              ;   in Loop: Header=BB376_16 Depth=1
	v_mov_b32_e32 v0, 0xffff
	v_mov_b32_e32 v58, 0x7f800001
	s_mov_b32 s27, exec_lo
	v_and_b32_sdwa v0, v0, v33 dst_sel:DWORD dst_unused:UNUSED_PAD src0_sel:DWORD src1_sel:BYTE_1
	v_and_b32_e32 v1, 0x7f, v0
	v_cmpx_ne_u32_e32 0x7f, v1
	s_cbranch_execz .LBB376_161
; %bb.158:                              ;   in Loop: Header=BB376_16 Depth=1
	v_and_b32_e32 v19, 7, v0
	v_mov_b32_e32 v36, v20
	v_lshrrev_b32_e32 v0, 3, v1
	s_mov_b32 s28, exec_lo
	v_mov_b32_e32 v35, v19
	v_cmpx_gt_u32_e32 8, v1
; %bb.159:                              ;   in Loop: Header=BB376_16 Depth=1
	v_ffbh_u32_e32 v0, v19
	v_min_u32_e32 v0, 32, v0
	v_subrev_nc_u32_e32 v1, 28, v0
	v_sub_nc_u32_e32 v0, 29, v0
	v_lshlrev_b64 v[1:2], v1, v[19:20]
	v_and_b32_e32 v35, 7, v1
; %bb.160:                              ;   in Loop: Header=BB376_16 Depth=1
	s_or_b32 exec_lo, exec_lo, s28
	v_lshlrev_b32_e32 v1, 16, v33
	v_lshlrev_b32_e32 v2, 20, v35
	v_lshl_add_u32 v0, v0, 23, 0x3c000000
	v_and_b32_e32 v1, 0x80000000, v1
	v_or3_b32 v58, v2, v1, v0
.LBB376_161:                            ;   in Loop: Header=BB376_16 Depth=1
	s_or_b32 exec_lo, exec_lo, s27
.LBB376_162:                            ;   in Loop: Header=BB376_16 Depth=1
	s_or_b32 exec_lo, exec_lo, s26
.LBB376_163:                            ;   in Loop: Header=BB376_16 Depth=1
	s_or_b32 exec_lo, exec_lo, s25
	v_and_b32_sdwa v0, v33, v100 dst_sel:DWORD dst_unused:UNUSED_PAD src0_sel:WORD_1 src1_sel:DWORD
	v_mov_b32_e32 v60, 0
	v_mov_b32_e32 v59, 0
	s_mov_b32 s25, exec_lo
	v_cmpx_ne_u16_e32 0, v0
	s_cbranch_execz .LBB376_171
; %bb.164:                              ;   in Loop: Header=BB376_16 Depth=1
	v_bfrev_b32_e32 v59, 1
	s_mov_b32 s26, exec_lo
	v_cmpx_ne_u16_e32 0x80, v0
	s_cbranch_execz .LBB376_170
; %bb.165:                              ;   in Loop: Header=BB376_16 Depth=1
	v_bfe_u32 v1, v33, 16, 7
	v_mov_b32_e32 v59, 0x7f800001
	s_mov_b32 s27, exec_lo
	v_cmpx_ne_u32_e32 0x7f, v1
	s_cbranch_execz .LBB376_169
; %bb.166:                              ;   in Loop: Header=BB376_16 Depth=1
	v_mov_b32_e32 v0, 7
	s_mov_b32 s28, exec_lo
	v_and_b32_sdwa v19, v33, v0 dst_sel:DWORD dst_unused:UNUSED_PAD src0_sel:WORD_1 src1_sel:DWORD
	v_mov_b32_e32 v36, v20
	v_lshrrev_b32_e32 v0, 3, v1
	v_mov_b32_e32 v35, v19
	v_cmpx_gt_u32_e32 8, v1
; %bb.167:                              ;   in Loop: Header=BB376_16 Depth=1
	v_ffbh_u32_e32 v0, v19
	v_min_u32_e32 v0, 32, v0
	v_subrev_nc_u32_e32 v1, 28, v0
	v_sub_nc_u32_e32 v0, 29, v0
	v_lshlrev_b64 v[1:2], v1, v[19:20]
	v_and_b32_e32 v35, 7, v1
; %bb.168:                              ;   in Loop: Header=BB376_16 Depth=1
	s_or_b32 exec_lo, exec_lo, s28
	v_mov_b32_e32 v1, 24
	v_lshlrev_b32_e32 v2, 20, v35
	v_lshl_add_u32 v0, v0, 23, 0x3c000000
	v_lshlrev_b32_sdwa v1, v1, v33 dst_sel:DWORD dst_unused:UNUSED_PAD src0_sel:DWORD src1_sel:WORD_1
	v_and_b32_e32 v1, 0x80000000, v1
	v_or3_b32 v59, v2, v1, v0
.LBB376_169:                            ;   in Loop: Header=BB376_16 Depth=1
	s_or_b32 exec_lo, exec_lo, s27
.LBB376_170:                            ;   in Loop: Header=BB376_16 Depth=1
	s_or_b32 exec_lo, exec_lo, s26
.LBB376_171:                            ;   in Loop: Header=BB376_16 Depth=1
	s_or_b32 exec_lo, exec_lo, s25
	s_mov_b32 s25, exec_lo
	v_cmpx_lt_u32_e32 0xffffff, v33
	s_cbranch_execz .LBB376_179
; %bb.172:                              ;   in Loop: Header=BB376_16 Depth=1
	v_cmp_ne_u32_sdwa s5, v33, v98 src0_sel:BYTE_3 src1_sel:DWORD
	v_bfrev_b32_e32 v60, 1
	s_and_saveexec_b32 s26, s5
	s_cbranch_execz .LBB376_178
; %bb.173:                              ;   in Loop: Header=BB376_16 Depth=1
	v_bfe_u32 v1, v33, 24, 7
	v_mov_b32_e32 v60, 0x7f800001
	s_mov_b32 s27, exec_lo
	v_cmpx_ne_u32_e32 0x7f, v1
	s_cbranch_execz .LBB376_177
; %bb.174:                              ;   in Loop: Header=BB376_16 Depth=1
	v_mov_b32_e32 v0, 7
	s_mov_b32 s28, exec_lo
	v_and_b32_sdwa v19, v33, v0 dst_sel:DWORD dst_unused:UNUSED_PAD src0_sel:BYTE_3 src1_sel:DWORD
	v_mov_b32_e32 v36, v20
	v_lshrrev_b32_e32 v0, 3, v1
	v_mov_b32_e32 v35, v19
	v_cmpx_gt_u32_e32 8, v1
; %bb.175:                              ;   in Loop: Header=BB376_16 Depth=1
	v_ffbh_u32_e32 v0, v19
	v_min_u32_e32 v0, 32, v0
	v_subrev_nc_u32_e32 v1, 28, v0
	v_sub_nc_u32_e32 v0, 29, v0
	v_lshlrev_b64 v[1:2], v1, v[19:20]
	v_and_b32_e32 v35, 7, v1
; %bb.176:                              ;   in Loop: Header=BB376_16 Depth=1
	s_or_b32 exec_lo, exec_lo, s28
	v_mov_b32_e32 v1, 24
	v_lshlrev_b32_e32 v2, 20, v35
	v_lshl_add_u32 v0, v0, 23, 0x3c000000
	v_lshlrev_b32_sdwa v1, v1, v33 dst_sel:DWORD dst_unused:UNUSED_PAD src0_sel:DWORD src1_sel:BYTE_3
	v_and_b32_e32 v1, 0x80000000, v1
	v_or3_b32 v60, v2, v1, v0
.LBB376_177:                            ;   in Loop: Header=BB376_16 Depth=1
	s_or_b32 exec_lo, exec_lo, s27
.LBB376_178:                            ;   in Loop: Header=BB376_16 Depth=1
	s_or_b32 exec_lo, exec_lo, s26
.LBB376_179:                            ;   in Loop: Header=BB376_16 Depth=1
	s_or_b32 exec_lo, exec_lo, s25
	v_mov_b32_e32 v19, v34
	v_cmp_ne_u16_sdwa s5, v34, v20 src0_sel:BYTE_0 src1_sel:DWORD
	v_mov_b32_e32 v62, 0
	v_mov_b32_e32 v61, 0
	s_and_saveexec_b32 s25, s5
	s_cbranch_execz .LBB376_187
; %bb.180:                              ;   in Loop: Header=BB376_16 Depth=1
	v_cmp_ne_u16_sdwa s5, v34, v98 src0_sel:BYTE_0 src1_sel:DWORD
	v_bfrev_b32_e32 v61, 1
	s_and_saveexec_b32 s26, s5
	s_cbranch_execz .LBB376_186
; %bb.181:                              ;   in Loop: Header=BB376_16 Depth=1
	v_and_b32_e32 v1, 0x7f, v34
	v_mov_b32_e32 v61, 0x7f800001
	s_mov_b32 s27, exec_lo
	v_cmpx_ne_u32_e32 0x7f, v1
	s_cbranch_execz .LBB376_185
; %bb.182:                              ;   in Loop: Header=BB376_16 Depth=1
	v_mov_b32_e32 v36, v20
	v_lshrrev_b32_e32 v0, 3, v1
	v_mov_b32_e32 v35, v19
	s_mov_b32 s28, exec_lo
	v_cmpx_gt_u32_e32 8, v1
; %bb.183:                              ;   in Loop: Header=BB376_16 Depth=1
	v_and_b32_e32 v0, 7, v34
	v_ffbh_u32_e32 v0, v0
	v_min_u32_e32 v0, 32, v0
	v_subrev_nc_u32_e32 v1, 28, v0
	v_sub_nc_u32_e32 v0, 29, v0
	v_lshlrev_b64 v[35:36], v1, v[19:20]
; %bb.184:                              ;   in Loop: Header=BB376_16 Depth=1
	s_or_b32 exec_lo, exec_lo, s28
	v_lshlrev_b32_e32 v1, 20, v35
	v_lshlrev_b32_e32 v2, 24, v19
	v_lshl_add_u32 v0, v0, 23, 0x3c000000
	v_and_b32_e32 v1, 0x700000, v1
	v_and_b32_e32 v2, 0x80000000, v2
	v_or3_b32 v61, v1, v2, v0
.LBB376_185:                            ;   in Loop: Header=BB376_16 Depth=1
	s_or_b32 exec_lo, exec_lo, s27
.LBB376_186:                            ;   in Loop: Header=BB376_16 Depth=1
	s_or_b32 exec_lo, exec_lo, s26
.LBB376_187:                            ;   in Loop: Header=BB376_16 Depth=1
	s_or_b32 exec_lo, exec_lo, s25
	v_cmp_ne_u16_sdwa s5, v19, v20 src0_sel:BYTE_1 src1_sel:DWORD
	s_and_saveexec_b32 s25, s5
	s_cbranch_execz .LBB376_195
; %bb.188:                              ;   in Loop: Header=BB376_16 Depth=1
	v_cmp_ne_u16_sdwa s5, v19, v98 src0_sel:BYTE_1 src1_sel:DWORD
	v_bfrev_b32_e32 v62, 1
	s_and_saveexec_b32 s26, s5
	s_cbranch_execz .LBB376_194
; %bb.189:                              ;   in Loop: Header=BB376_16 Depth=1
	v_mov_b32_e32 v0, 0xffff
	v_mov_b32_e32 v62, 0x7f800001
	s_mov_b32 s27, exec_lo
	v_and_b32_sdwa v0, v0, v19 dst_sel:DWORD dst_unused:UNUSED_PAD src0_sel:DWORD src1_sel:BYTE_1
	v_and_b32_e32 v1, 0x7f, v0
	v_cmpx_ne_u32_e32 0x7f, v1
	s_cbranch_execz .LBB376_193
; %bb.190:                              ;   in Loop: Header=BB376_16 Depth=1
	v_and_b32_e32 v35, 7, v0
	v_mov_b32_e32 v36, v20
	v_lshrrev_b32_e32 v0, 3, v1
	s_mov_b32 s28, exec_lo
	v_cmpx_gt_u32_e32 8, v1
; %bb.191:                              ;   in Loop: Header=BB376_16 Depth=1
	v_ffbh_u32_e32 v0, v35
	v_min_u32_e32 v0, 32, v0
	v_subrev_nc_u32_e32 v1, 28, v0
	v_sub_nc_u32_e32 v0, 29, v0
	v_lshlrev_b64 v[1:2], v1, v[35:36]
	v_and_b32_e32 v35, 7, v1
; %bb.192:                              ;   in Loop: Header=BB376_16 Depth=1
	s_or_b32 exec_lo, exec_lo, s28
	v_lshlrev_b32_e32 v1, 16, v19
	v_lshlrev_b32_e32 v2, 20, v35
	v_lshl_add_u32 v0, v0, 23, 0x3c000000
	v_and_b32_e32 v1, 0x80000000, v1
	v_or3_b32 v62, v2, v1, v0
.LBB376_193:                            ;   in Loop: Header=BB376_16 Depth=1
	s_or_b32 exec_lo, exec_lo, s27
.LBB376_194:                            ;   in Loop: Header=BB376_16 Depth=1
	s_or_b32 exec_lo, exec_lo, s26
.LBB376_195:                            ;   in Loop: Header=BB376_16 Depth=1
	s_or_b32 exec_lo, exec_lo, s25
	v_and_b32_sdwa v0, v34, v100 dst_sel:DWORD dst_unused:UNUSED_PAD src0_sel:WORD_1 src1_sel:DWORD
	v_mov_b32_e32 v63, 0
	v_mov_b32_e32 v72, 0
	s_mov_b32 s25, exec_lo
	v_cmpx_ne_u16_e32 0, v0
	s_cbranch_execz .LBB376_203
; %bb.196:                              ;   in Loop: Header=BB376_16 Depth=1
	v_bfrev_b32_e32 v72, 1
	s_mov_b32 s26, exec_lo
	v_cmpx_ne_u16_e32 0x80, v0
	s_cbranch_execz .LBB376_202
; %bb.197:                              ;   in Loop: Header=BB376_16 Depth=1
	v_bfe_u32 v1, v34, 16, 7
	v_mov_b32_e32 v72, 0x7f800001
	s_mov_b32 s27, exec_lo
	v_cmpx_ne_u32_e32 0x7f, v1
	s_cbranch_execz .LBB376_201
; %bb.198:                              ;   in Loop: Header=BB376_16 Depth=1
	v_mov_b32_e32 v0, 7
	s_mov_b32 s28, exec_lo
	v_and_b32_sdwa v19, v34, v0 dst_sel:DWORD dst_unused:UNUSED_PAD src0_sel:WORD_1 src1_sel:DWORD
	v_mov_b32_e32 v36, v20
	v_lshrrev_b32_e32 v0, 3, v1
	v_mov_b32_e32 v35, v19
	v_cmpx_gt_u32_e32 8, v1
; %bb.199:                              ;   in Loop: Header=BB376_16 Depth=1
	v_ffbh_u32_e32 v0, v19
	v_min_u32_e32 v0, 32, v0
	v_subrev_nc_u32_e32 v1, 28, v0
	v_sub_nc_u32_e32 v0, 29, v0
	v_lshlrev_b64 v[1:2], v1, v[19:20]
	v_and_b32_e32 v35, 7, v1
; %bb.200:                              ;   in Loop: Header=BB376_16 Depth=1
	s_or_b32 exec_lo, exec_lo, s28
	v_mov_b32_e32 v1, 24
	v_lshlrev_b32_e32 v2, 20, v35
	v_lshl_add_u32 v0, v0, 23, 0x3c000000
	v_lshlrev_b32_sdwa v1, v1, v34 dst_sel:DWORD dst_unused:UNUSED_PAD src0_sel:DWORD src1_sel:WORD_1
	v_and_b32_e32 v1, 0x80000000, v1
	v_or3_b32 v72, v2, v1, v0
.LBB376_201:                            ;   in Loop: Header=BB376_16 Depth=1
	s_or_b32 exec_lo, exec_lo, s27
.LBB376_202:                            ;   in Loop: Header=BB376_16 Depth=1
	s_or_b32 exec_lo, exec_lo, s26
.LBB376_203:                            ;   in Loop: Header=BB376_16 Depth=1
	s_or_b32 exec_lo, exec_lo, s25
	s_mov_b32 s25, exec_lo
	v_cmpx_lt_u64_e64 s[20:21], v[33:34]
	s_cbranch_execz .LBB376_211
; %bb.204:                              ;   in Loop: Header=BB376_16 Depth=1
	v_cmp_ne_u32_sdwa s5, v34, v98 src0_sel:BYTE_3 src1_sel:DWORD
	v_bfrev_b32_e32 v63, 1
	s_and_saveexec_b32 s26, s5
	s_cbranch_execz .LBB376_210
; %bb.205:                              ;   in Loop: Header=BB376_16 Depth=1
	v_bfe_u32 v1, v34, 24, 7
	v_mov_b32_e32 v63, 0x7f800001
	s_mov_b32 s27, exec_lo
	v_cmpx_ne_u32_e32 0x7f, v1
	s_cbranch_execz .LBB376_209
; %bb.206:                              ;   in Loop: Header=BB376_16 Depth=1
	v_mov_b32_e32 v0, 7
	s_mov_b32 s28, exec_lo
	v_and_b32_sdwa v19, v34, v0 dst_sel:DWORD dst_unused:UNUSED_PAD src0_sel:BYTE_3 src1_sel:DWORD
	v_mov_b32_e32 v36, v20
	v_lshrrev_b32_e32 v0, 3, v1
	v_mov_b32_e32 v35, v19
	v_cmpx_gt_u32_e32 8, v1
; %bb.207:                              ;   in Loop: Header=BB376_16 Depth=1
	v_ffbh_u32_e32 v0, v19
	v_min_u32_e32 v0, 32, v0
	v_subrev_nc_u32_e32 v1, 28, v0
	v_sub_nc_u32_e32 v0, 29, v0
	v_lshlrev_b64 v[1:2], v1, v[19:20]
	v_and_b32_e32 v35, 7, v1
; %bb.208:                              ;   in Loop: Header=BB376_16 Depth=1
	s_or_b32 exec_lo, exec_lo, s28
	v_mov_b32_e32 v1, 24
	v_lshlrev_b32_e32 v2, 20, v35
	v_lshl_add_u32 v0, v0, 23, 0x3c000000
	v_lshlrev_b32_sdwa v1, v1, v34 dst_sel:DWORD dst_unused:UNUSED_PAD src0_sel:DWORD src1_sel:BYTE_3
	v_and_b32_e32 v1, 0x80000000, v1
	v_or3_b32 v63, v2, v1, v0
.LBB376_209:                            ;   in Loop: Header=BB376_16 Depth=1
	s_or_b32 exec_lo, exec_lo, s27
.LBB376_210:                            ;   in Loop: Header=BB376_16 Depth=1
	s_or_b32 exec_lo, exec_lo, s26
.LBB376_211:                            ;   in Loop: Header=BB376_16 Depth=1
	s_or_b32 exec_lo, exec_lo, s25
	flat_load_dwordx2 v[33:34], v[31:32] offset:520
	v_mov_b32_e32 v74, 0
	v_mov_b32_e32 v73, 0
	s_waitcnt vmcnt(0) lgkmcnt(0)
	v_cmp_ne_u16_sdwa s5, v33, v20 src0_sel:BYTE_0 src1_sel:DWORD
	s_and_saveexec_b32 s25, s5
	s_cbranch_execz .LBB376_219
; %bb.212:                              ;   in Loop: Header=BB376_16 Depth=1
	v_cmp_ne_u16_sdwa s5, v33, v98 src0_sel:BYTE_0 src1_sel:DWORD
	v_bfrev_b32_e32 v73, 1
	s_and_saveexec_b32 s26, s5
	s_cbranch_execz .LBB376_218
; %bb.213:                              ;   in Loop: Header=BB376_16 Depth=1
	v_and_b32_e32 v1, 0x7f, v33
	v_mov_b32_e32 v73, 0x7f800001
	s_mov_b32 s27, exec_lo
	v_cmpx_ne_u32_e32 0x7f, v1
	s_cbranch_execz .LBB376_217
; %bb.214:                              ;   in Loop: Header=BB376_16 Depth=1
	v_mov_b32_e32 v36, v34
	v_lshrrev_b32_e32 v0, 3, v1
	v_mov_b32_e32 v35, v33
	s_mov_b32 s28, exec_lo
	v_cmpx_gt_u32_e32 8, v1
; %bb.215:                              ;   in Loop: Header=BB376_16 Depth=1
	v_and_b32_e32 v0, 7, v33
	v_ffbh_u32_e32 v0, v0
	v_min_u32_e32 v0, 32, v0
	v_subrev_nc_u32_e32 v1, 28, v0
	v_sub_nc_u32_e32 v0, 29, v0
	v_lshlrev_b64 v[35:36], v1, v[33:34]
; %bb.216:                              ;   in Loop: Header=BB376_16 Depth=1
	s_or_b32 exec_lo, exec_lo, s28
	v_lshlrev_b32_e32 v1, 20, v35
	v_lshlrev_b32_e32 v2, 24, v33
	v_lshl_add_u32 v0, v0, 23, 0x3c000000
	v_and_b32_e32 v1, 0x700000, v1
	v_and_b32_e32 v2, 0x80000000, v2
	v_or3_b32 v73, v1, v2, v0
.LBB376_217:                            ;   in Loop: Header=BB376_16 Depth=1
	s_or_b32 exec_lo, exec_lo, s27
.LBB376_218:                            ;   in Loop: Header=BB376_16 Depth=1
	s_or_b32 exec_lo, exec_lo, s26
.LBB376_219:                            ;   in Loop: Header=BB376_16 Depth=1
	s_or_b32 exec_lo, exec_lo, s25
	v_cmp_ne_u16_sdwa s5, v33, v20 src0_sel:BYTE_1 src1_sel:DWORD
	s_and_saveexec_b32 s25, s5
	s_cbranch_execz .LBB376_227
; %bb.220:                              ;   in Loop: Header=BB376_16 Depth=1
	v_cmp_ne_u16_sdwa s5, v33, v98 src0_sel:BYTE_1 src1_sel:DWORD
	v_bfrev_b32_e32 v74, 1
	s_and_saveexec_b32 s26, s5
	s_cbranch_execz .LBB376_226
; %bb.221:                              ;   in Loop: Header=BB376_16 Depth=1
	v_mov_b32_e32 v0, 0xffff
	v_mov_b32_e32 v74, 0x7f800001
	s_mov_b32 s27, exec_lo
	v_and_b32_sdwa v0, v0, v33 dst_sel:DWORD dst_unused:UNUSED_PAD src0_sel:DWORD src1_sel:BYTE_1
	v_and_b32_e32 v1, 0x7f, v0
	v_cmpx_ne_u32_e32 0x7f, v1
	s_cbranch_execz .LBB376_225
; %bb.222:                              ;   in Loop: Header=BB376_16 Depth=1
	v_and_b32_e32 v19, 7, v0
	v_mov_b32_e32 v36, v20
	v_lshrrev_b32_e32 v0, 3, v1
	s_mov_b32 s28, exec_lo
	v_mov_b32_e32 v35, v19
	v_cmpx_gt_u32_e32 8, v1
; %bb.223:                              ;   in Loop: Header=BB376_16 Depth=1
	v_ffbh_u32_e32 v0, v19
	v_min_u32_e32 v0, 32, v0
	v_subrev_nc_u32_e32 v1, 28, v0
	v_sub_nc_u32_e32 v0, 29, v0
	v_lshlrev_b64 v[1:2], v1, v[19:20]
	v_and_b32_e32 v35, 7, v1
; %bb.224:                              ;   in Loop: Header=BB376_16 Depth=1
	s_or_b32 exec_lo, exec_lo, s28
	v_lshlrev_b32_e32 v1, 16, v33
	v_lshlrev_b32_e32 v2, 20, v35
	v_lshl_add_u32 v0, v0, 23, 0x3c000000
	v_and_b32_e32 v1, 0x80000000, v1
	v_or3_b32 v74, v2, v1, v0
.LBB376_225:                            ;   in Loop: Header=BB376_16 Depth=1
	s_or_b32 exec_lo, exec_lo, s27
.LBB376_226:                            ;   in Loop: Header=BB376_16 Depth=1
	s_or_b32 exec_lo, exec_lo, s26
.LBB376_227:                            ;   in Loop: Header=BB376_16 Depth=1
	s_or_b32 exec_lo, exec_lo, s25
	v_and_b32_sdwa v0, v33, v100 dst_sel:DWORD dst_unused:UNUSED_PAD src0_sel:WORD_1 src1_sel:DWORD
	v_mov_b32_e32 v76, 0
	v_mov_b32_e32 v75, 0
	s_mov_b32 s25, exec_lo
	v_cmpx_ne_u16_e32 0, v0
	s_cbranch_execz .LBB376_235
; %bb.228:                              ;   in Loop: Header=BB376_16 Depth=1
	v_bfrev_b32_e32 v75, 1
	s_mov_b32 s26, exec_lo
	v_cmpx_ne_u16_e32 0x80, v0
	s_cbranch_execz .LBB376_234
; %bb.229:                              ;   in Loop: Header=BB376_16 Depth=1
	v_bfe_u32 v1, v33, 16, 7
	v_mov_b32_e32 v75, 0x7f800001
	s_mov_b32 s27, exec_lo
	v_cmpx_ne_u32_e32 0x7f, v1
	s_cbranch_execz .LBB376_233
; %bb.230:                              ;   in Loop: Header=BB376_16 Depth=1
	v_mov_b32_e32 v0, 7
	s_mov_b32 s28, exec_lo
	v_and_b32_sdwa v19, v33, v0 dst_sel:DWORD dst_unused:UNUSED_PAD src0_sel:WORD_1 src1_sel:DWORD
	v_mov_b32_e32 v36, v20
	v_lshrrev_b32_e32 v0, 3, v1
	v_mov_b32_e32 v35, v19
	v_cmpx_gt_u32_e32 8, v1
; %bb.231:                              ;   in Loop: Header=BB376_16 Depth=1
	v_ffbh_u32_e32 v0, v19
	v_min_u32_e32 v0, 32, v0
	v_subrev_nc_u32_e32 v1, 28, v0
	v_sub_nc_u32_e32 v0, 29, v0
	v_lshlrev_b64 v[1:2], v1, v[19:20]
	v_and_b32_e32 v35, 7, v1
; %bb.232:                              ;   in Loop: Header=BB376_16 Depth=1
	s_or_b32 exec_lo, exec_lo, s28
	v_mov_b32_e32 v1, 24
	v_lshlrev_b32_e32 v2, 20, v35
	v_lshl_add_u32 v0, v0, 23, 0x3c000000
	v_lshlrev_b32_sdwa v1, v1, v33 dst_sel:DWORD dst_unused:UNUSED_PAD src0_sel:DWORD src1_sel:WORD_1
	v_and_b32_e32 v1, 0x80000000, v1
	v_or3_b32 v75, v2, v1, v0
.LBB376_233:                            ;   in Loop: Header=BB376_16 Depth=1
	s_or_b32 exec_lo, exec_lo, s27
.LBB376_234:                            ;   in Loop: Header=BB376_16 Depth=1
	s_or_b32 exec_lo, exec_lo, s26
.LBB376_235:                            ;   in Loop: Header=BB376_16 Depth=1
	s_or_b32 exec_lo, exec_lo, s25
	s_mov_b32 s25, exec_lo
	v_cmpx_lt_u32_e32 0xffffff, v33
	s_cbranch_execz .LBB376_243
; %bb.236:                              ;   in Loop: Header=BB376_16 Depth=1
	v_cmp_ne_u32_sdwa s5, v33, v98 src0_sel:BYTE_3 src1_sel:DWORD
	v_bfrev_b32_e32 v76, 1
	s_and_saveexec_b32 s26, s5
	s_cbranch_execz .LBB376_242
; %bb.237:                              ;   in Loop: Header=BB376_16 Depth=1
	v_bfe_u32 v1, v33, 24, 7
	v_mov_b32_e32 v76, 0x7f800001
	s_mov_b32 s27, exec_lo
	v_cmpx_ne_u32_e32 0x7f, v1
	s_cbranch_execz .LBB376_241
; %bb.238:                              ;   in Loop: Header=BB376_16 Depth=1
	v_mov_b32_e32 v0, 7
	s_mov_b32 s28, exec_lo
	v_and_b32_sdwa v19, v33, v0 dst_sel:DWORD dst_unused:UNUSED_PAD src0_sel:BYTE_3 src1_sel:DWORD
	v_mov_b32_e32 v36, v20
	v_lshrrev_b32_e32 v0, 3, v1
	v_mov_b32_e32 v35, v19
	v_cmpx_gt_u32_e32 8, v1
; %bb.239:                              ;   in Loop: Header=BB376_16 Depth=1
	v_ffbh_u32_e32 v0, v19
	v_min_u32_e32 v0, 32, v0
	v_subrev_nc_u32_e32 v1, 28, v0
	v_sub_nc_u32_e32 v0, 29, v0
	v_lshlrev_b64 v[1:2], v1, v[19:20]
	v_and_b32_e32 v35, 7, v1
; %bb.240:                              ;   in Loop: Header=BB376_16 Depth=1
	s_or_b32 exec_lo, exec_lo, s28
	v_mov_b32_e32 v1, 24
	v_lshlrev_b32_e32 v2, 20, v35
	v_lshl_add_u32 v0, v0, 23, 0x3c000000
	v_lshlrev_b32_sdwa v1, v1, v33 dst_sel:DWORD dst_unused:UNUSED_PAD src0_sel:DWORD src1_sel:BYTE_3
	v_and_b32_e32 v1, 0x80000000, v1
	v_or3_b32 v76, v2, v1, v0
.LBB376_241:                            ;   in Loop: Header=BB376_16 Depth=1
	s_or_b32 exec_lo, exec_lo, s27
.LBB376_242:                            ;   in Loop: Header=BB376_16 Depth=1
	s_or_b32 exec_lo, exec_lo, s26
.LBB376_243:                            ;   in Loop: Header=BB376_16 Depth=1
	s_or_b32 exec_lo, exec_lo, s25
	v_mov_b32_e32 v19, v34
	v_cmp_ne_u16_sdwa s5, v34, v20 src0_sel:BYTE_0 src1_sel:DWORD
	v_mov_b32_e32 v78, 0
	v_mov_b32_e32 v77, 0
	s_and_saveexec_b32 s25, s5
	s_cbranch_execz .LBB376_251
; %bb.244:                              ;   in Loop: Header=BB376_16 Depth=1
	v_cmp_ne_u16_sdwa s5, v34, v98 src0_sel:BYTE_0 src1_sel:DWORD
	v_bfrev_b32_e32 v77, 1
	s_and_saveexec_b32 s26, s5
	s_cbranch_execz .LBB376_250
; %bb.245:                              ;   in Loop: Header=BB376_16 Depth=1
	v_and_b32_e32 v1, 0x7f, v34
	v_mov_b32_e32 v77, 0x7f800001
	s_mov_b32 s27, exec_lo
	v_cmpx_ne_u32_e32 0x7f, v1
	s_cbranch_execz .LBB376_249
; %bb.246:                              ;   in Loop: Header=BB376_16 Depth=1
	v_mov_b32_e32 v36, v20
	v_lshrrev_b32_e32 v0, 3, v1
	v_mov_b32_e32 v35, v19
	s_mov_b32 s28, exec_lo
	v_cmpx_gt_u32_e32 8, v1
; %bb.247:                              ;   in Loop: Header=BB376_16 Depth=1
	v_and_b32_e32 v0, 7, v34
	v_ffbh_u32_e32 v0, v0
	v_min_u32_e32 v0, 32, v0
	v_subrev_nc_u32_e32 v1, 28, v0
	v_sub_nc_u32_e32 v0, 29, v0
	v_lshlrev_b64 v[35:36], v1, v[19:20]
; %bb.248:                              ;   in Loop: Header=BB376_16 Depth=1
	s_or_b32 exec_lo, exec_lo, s28
	v_lshlrev_b32_e32 v1, 20, v35
	v_lshlrev_b32_e32 v2, 24, v19
	v_lshl_add_u32 v0, v0, 23, 0x3c000000
	v_and_b32_e32 v1, 0x700000, v1
	v_and_b32_e32 v2, 0x80000000, v2
	v_or3_b32 v77, v1, v2, v0
.LBB376_249:                            ;   in Loop: Header=BB376_16 Depth=1
	s_or_b32 exec_lo, exec_lo, s27
.LBB376_250:                            ;   in Loop: Header=BB376_16 Depth=1
	s_or_b32 exec_lo, exec_lo, s26
.LBB376_251:                            ;   in Loop: Header=BB376_16 Depth=1
	s_or_b32 exec_lo, exec_lo, s25
	v_cmp_ne_u16_sdwa s5, v19, v20 src0_sel:BYTE_1 src1_sel:DWORD
	s_and_saveexec_b32 s25, s5
	s_cbranch_execz .LBB376_259
; %bb.252:                              ;   in Loop: Header=BB376_16 Depth=1
	v_cmp_ne_u16_sdwa s5, v19, v98 src0_sel:BYTE_1 src1_sel:DWORD
	v_bfrev_b32_e32 v78, 1
	s_and_saveexec_b32 s26, s5
	s_cbranch_execz .LBB376_258
; %bb.253:                              ;   in Loop: Header=BB376_16 Depth=1
	v_mov_b32_e32 v0, 0xffff
	v_mov_b32_e32 v78, 0x7f800001
	s_mov_b32 s27, exec_lo
	v_and_b32_sdwa v0, v0, v19 dst_sel:DWORD dst_unused:UNUSED_PAD src0_sel:DWORD src1_sel:BYTE_1
	v_and_b32_e32 v1, 0x7f, v0
	v_cmpx_ne_u32_e32 0x7f, v1
	s_cbranch_execz .LBB376_257
; %bb.254:                              ;   in Loop: Header=BB376_16 Depth=1
	v_and_b32_e32 v35, 7, v0
	v_mov_b32_e32 v36, v20
	v_lshrrev_b32_e32 v0, 3, v1
	s_mov_b32 s28, exec_lo
	v_cmpx_gt_u32_e32 8, v1
; %bb.255:                              ;   in Loop: Header=BB376_16 Depth=1
	v_ffbh_u32_e32 v0, v35
	v_min_u32_e32 v0, 32, v0
	v_subrev_nc_u32_e32 v1, 28, v0
	v_sub_nc_u32_e32 v0, 29, v0
	v_lshlrev_b64 v[1:2], v1, v[35:36]
	v_and_b32_e32 v35, 7, v1
; %bb.256:                              ;   in Loop: Header=BB376_16 Depth=1
	s_or_b32 exec_lo, exec_lo, s28
	v_lshlrev_b32_e32 v1, 16, v19
	v_lshlrev_b32_e32 v2, 20, v35
	v_lshl_add_u32 v0, v0, 23, 0x3c000000
	v_and_b32_e32 v1, 0x80000000, v1
	v_or3_b32 v78, v2, v1, v0
.LBB376_257:                            ;   in Loop: Header=BB376_16 Depth=1
	s_or_b32 exec_lo, exec_lo, s27
.LBB376_258:                            ;   in Loop: Header=BB376_16 Depth=1
	s_or_b32 exec_lo, exec_lo, s26
.LBB376_259:                            ;   in Loop: Header=BB376_16 Depth=1
	s_or_b32 exec_lo, exec_lo, s25
	v_and_b32_sdwa v0, v34, v100 dst_sel:DWORD dst_unused:UNUSED_PAD src0_sel:WORD_1 src1_sel:DWORD
	v_mov_b32_e32 v79, 0
	v_mov_b32_e32 v88, 0
	s_mov_b32 s25, exec_lo
	v_cmpx_ne_u16_e32 0, v0
	s_cbranch_execz .LBB376_267
; %bb.260:                              ;   in Loop: Header=BB376_16 Depth=1
	v_bfrev_b32_e32 v88, 1
	s_mov_b32 s26, exec_lo
	v_cmpx_ne_u16_e32 0x80, v0
	s_cbranch_execz .LBB376_266
; %bb.261:                              ;   in Loop: Header=BB376_16 Depth=1
	v_bfe_u32 v1, v34, 16, 7
	v_mov_b32_e32 v88, 0x7f800001
	s_mov_b32 s27, exec_lo
	v_cmpx_ne_u32_e32 0x7f, v1
	s_cbranch_execz .LBB376_265
; %bb.262:                              ;   in Loop: Header=BB376_16 Depth=1
	v_mov_b32_e32 v0, 7
	s_mov_b32 s28, exec_lo
	v_and_b32_sdwa v19, v34, v0 dst_sel:DWORD dst_unused:UNUSED_PAD src0_sel:WORD_1 src1_sel:DWORD
	v_mov_b32_e32 v36, v20
	v_lshrrev_b32_e32 v0, 3, v1
	v_mov_b32_e32 v35, v19
	v_cmpx_gt_u32_e32 8, v1
; %bb.263:                              ;   in Loop: Header=BB376_16 Depth=1
	v_ffbh_u32_e32 v0, v19
	v_min_u32_e32 v0, 32, v0
	v_subrev_nc_u32_e32 v1, 28, v0
	v_sub_nc_u32_e32 v0, 29, v0
	v_lshlrev_b64 v[1:2], v1, v[19:20]
	v_and_b32_e32 v35, 7, v1
; %bb.264:                              ;   in Loop: Header=BB376_16 Depth=1
	s_or_b32 exec_lo, exec_lo, s28
	v_mov_b32_e32 v1, 24
	v_lshlrev_b32_e32 v2, 20, v35
	v_lshl_add_u32 v0, v0, 23, 0x3c000000
	v_lshlrev_b32_sdwa v1, v1, v34 dst_sel:DWORD dst_unused:UNUSED_PAD src0_sel:DWORD src1_sel:WORD_1
	v_and_b32_e32 v1, 0x80000000, v1
	v_or3_b32 v88, v2, v1, v0
.LBB376_265:                            ;   in Loop: Header=BB376_16 Depth=1
	s_or_b32 exec_lo, exec_lo, s27
.LBB376_266:                            ;   in Loop: Header=BB376_16 Depth=1
	s_or_b32 exec_lo, exec_lo, s26
.LBB376_267:                            ;   in Loop: Header=BB376_16 Depth=1
	s_or_b32 exec_lo, exec_lo, s25
	s_mov_b32 s25, exec_lo
	v_cmpx_lt_u64_e64 s[20:21], v[33:34]
	s_cbranch_execz .LBB376_275
; %bb.268:                              ;   in Loop: Header=BB376_16 Depth=1
	v_cmp_ne_u32_sdwa s5, v34, v98 src0_sel:BYTE_3 src1_sel:DWORD
	v_bfrev_b32_e32 v79, 1
	s_and_saveexec_b32 s26, s5
	s_cbranch_execz .LBB376_274
; %bb.269:                              ;   in Loop: Header=BB376_16 Depth=1
	v_bfe_u32 v1, v34, 24, 7
	v_mov_b32_e32 v79, 0x7f800001
	s_mov_b32 s27, exec_lo
	v_cmpx_ne_u32_e32 0x7f, v1
	s_cbranch_execz .LBB376_273
; %bb.270:                              ;   in Loop: Header=BB376_16 Depth=1
	v_mov_b32_e32 v0, 7
	s_mov_b32 s28, exec_lo
	v_and_b32_sdwa v19, v34, v0 dst_sel:DWORD dst_unused:UNUSED_PAD src0_sel:BYTE_3 src1_sel:DWORD
	v_mov_b32_e32 v36, v20
	v_lshrrev_b32_e32 v0, 3, v1
	v_mov_b32_e32 v35, v19
	v_cmpx_gt_u32_e32 8, v1
; %bb.271:                              ;   in Loop: Header=BB376_16 Depth=1
	v_ffbh_u32_e32 v0, v19
	v_min_u32_e32 v0, 32, v0
	v_subrev_nc_u32_e32 v1, 28, v0
	v_sub_nc_u32_e32 v0, 29, v0
	v_lshlrev_b64 v[1:2], v1, v[19:20]
	v_and_b32_e32 v35, 7, v1
; %bb.272:                              ;   in Loop: Header=BB376_16 Depth=1
	s_or_b32 exec_lo, exec_lo, s28
	v_mov_b32_e32 v1, 24
	v_lshlrev_b32_e32 v2, 20, v35
	v_lshl_add_u32 v0, v0, 23, 0x3c000000
	v_lshlrev_b32_sdwa v1, v1, v34 dst_sel:DWORD dst_unused:UNUSED_PAD src0_sel:DWORD src1_sel:BYTE_3
	v_and_b32_e32 v1, 0x80000000, v1
	v_or3_b32 v79, v2, v1, v0
.LBB376_273:                            ;   in Loop: Header=BB376_16 Depth=1
	s_or_b32 exec_lo, exec_lo, s27
.LBB376_274:                            ;   in Loop: Header=BB376_16 Depth=1
	s_or_b32 exec_lo, exec_lo, s26
.LBB376_275:                            ;   in Loop: Header=BB376_16 Depth=1
	s_or_b32 exec_lo, exec_lo, s25
	flat_load_dwordx2 v[33:34], v[31:32] offset:1024
	v_mov_b32_e32 v90, 0
	v_mov_b32_e32 v89, 0
	s_waitcnt vmcnt(0) lgkmcnt(0)
	v_cmp_ne_u16_sdwa s5, v33, v20 src0_sel:BYTE_0 src1_sel:DWORD
	s_and_saveexec_b32 s25, s5
	s_cbranch_execz .LBB376_283
; %bb.276:                              ;   in Loop: Header=BB376_16 Depth=1
	v_cmp_ne_u16_sdwa s5, v33, v98 src0_sel:BYTE_0 src1_sel:DWORD
	v_bfrev_b32_e32 v89, 1
	s_and_saveexec_b32 s26, s5
	s_cbranch_execz .LBB376_282
; %bb.277:                              ;   in Loop: Header=BB376_16 Depth=1
	v_and_b32_e32 v1, 0x7f, v33
	v_mov_b32_e32 v89, 0x7f800001
	s_mov_b32 s27, exec_lo
	v_cmpx_ne_u32_e32 0x7f, v1
	s_cbranch_execz .LBB376_281
; %bb.278:                              ;   in Loop: Header=BB376_16 Depth=1
	v_mov_b32_e32 v36, v34
	v_lshrrev_b32_e32 v0, 3, v1
	v_mov_b32_e32 v35, v33
	s_mov_b32 s28, exec_lo
	v_cmpx_gt_u32_e32 8, v1
; %bb.279:                              ;   in Loop: Header=BB376_16 Depth=1
	v_and_b32_e32 v0, 7, v33
	v_ffbh_u32_e32 v0, v0
	v_min_u32_e32 v0, 32, v0
	v_subrev_nc_u32_e32 v1, 28, v0
	v_sub_nc_u32_e32 v0, 29, v0
	v_lshlrev_b64 v[35:36], v1, v[33:34]
; %bb.280:                              ;   in Loop: Header=BB376_16 Depth=1
	s_or_b32 exec_lo, exec_lo, s28
	v_lshlrev_b32_e32 v1, 20, v35
	v_lshlrev_b32_e32 v2, 24, v33
	v_lshl_add_u32 v0, v0, 23, 0x3c000000
	v_and_b32_e32 v1, 0x700000, v1
	v_and_b32_e32 v2, 0x80000000, v2
	v_or3_b32 v89, v1, v2, v0
.LBB376_281:                            ;   in Loop: Header=BB376_16 Depth=1
	s_or_b32 exec_lo, exec_lo, s27
.LBB376_282:                            ;   in Loop: Header=BB376_16 Depth=1
	s_or_b32 exec_lo, exec_lo, s26
.LBB376_283:                            ;   in Loop: Header=BB376_16 Depth=1
	s_or_b32 exec_lo, exec_lo, s25
	v_cmp_ne_u16_sdwa s5, v33, v20 src0_sel:BYTE_1 src1_sel:DWORD
	s_and_saveexec_b32 s25, s5
	s_cbranch_execz .LBB376_291
; %bb.284:                              ;   in Loop: Header=BB376_16 Depth=1
	v_cmp_ne_u16_sdwa s5, v33, v98 src0_sel:BYTE_1 src1_sel:DWORD
	v_bfrev_b32_e32 v90, 1
	s_and_saveexec_b32 s26, s5
	s_cbranch_execz .LBB376_290
; %bb.285:                              ;   in Loop: Header=BB376_16 Depth=1
	v_mov_b32_e32 v0, 0xffff
	v_mov_b32_e32 v90, 0x7f800001
	s_mov_b32 s27, exec_lo
	v_and_b32_sdwa v0, v0, v33 dst_sel:DWORD dst_unused:UNUSED_PAD src0_sel:DWORD src1_sel:BYTE_1
	v_and_b32_e32 v1, 0x7f, v0
	v_cmpx_ne_u32_e32 0x7f, v1
	s_cbranch_execz .LBB376_289
; %bb.286:                              ;   in Loop: Header=BB376_16 Depth=1
	v_and_b32_e32 v19, 7, v0
	v_mov_b32_e32 v36, v20
	v_lshrrev_b32_e32 v0, 3, v1
	s_mov_b32 s28, exec_lo
	v_mov_b32_e32 v35, v19
	v_cmpx_gt_u32_e32 8, v1
; %bb.287:                              ;   in Loop: Header=BB376_16 Depth=1
	v_ffbh_u32_e32 v0, v19
	v_min_u32_e32 v0, 32, v0
	v_subrev_nc_u32_e32 v1, 28, v0
	v_sub_nc_u32_e32 v0, 29, v0
	v_lshlrev_b64 v[1:2], v1, v[19:20]
	v_and_b32_e32 v35, 7, v1
; %bb.288:                              ;   in Loop: Header=BB376_16 Depth=1
	s_or_b32 exec_lo, exec_lo, s28
	v_lshlrev_b32_e32 v1, 16, v33
	v_lshlrev_b32_e32 v2, 20, v35
	v_lshl_add_u32 v0, v0, 23, 0x3c000000
	v_and_b32_e32 v1, 0x80000000, v1
	v_or3_b32 v90, v2, v1, v0
.LBB376_289:                            ;   in Loop: Header=BB376_16 Depth=1
	s_or_b32 exec_lo, exec_lo, s27
.LBB376_290:                            ;   in Loop: Header=BB376_16 Depth=1
	s_or_b32 exec_lo, exec_lo, s26
.LBB376_291:                            ;   in Loop: Header=BB376_16 Depth=1
	s_or_b32 exec_lo, exec_lo, s25
	v_and_b32_sdwa v0, v33, v100 dst_sel:DWORD dst_unused:UNUSED_PAD src0_sel:WORD_1 src1_sel:DWORD
	v_mov_b32_e32 v92, 0
	v_mov_b32_e32 v91, 0
	s_mov_b32 s25, exec_lo
	v_cmpx_ne_u16_e32 0, v0
	s_cbranch_execz .LBB376_299
; %bb.292:                              ;   in Loop: Header=BB376_16 Depth=1
	v_bfrev_b32_e32 v91, 1
	s_mov_b32 s26, exec_lo
	v_cmpx_ne_u16_e32 0x80, v0
	s_cbranch_execz .LBB376_298
; %bb.293:                              ;   in Loop: Header=BB376_16 Depth=1
	v_bfe_u32 v1, v33, 16, 7
	v_mov_b32_e32 v91, 0x7f800001
	s_mov_b32 s27, exec_lo
	v_cmpx_ne_u32_e32 0x7f, v1
	s_cbranch_execz .LBB376_297
; %bb.294:                              ;   in Loop: Header=BB376_16 Depth=1
	v_mov_b32_e32 v0, 7
	s_mov_b32 s28, exec_lo
	v_and_b32_sdwa v19, v33, v0 dst_sel:DWORD dst_unused:UNUSED_PAD src0_sel:WORD_1 src1_sel:DWORD
	v_mov_b32_e32 v36, v20
	v_lshrrev_b32_e32 v0, 3, v1
	v_mov_b32_e32 v35, v19
	v_cmpx_gt_u32_e32 8, v1
; %bb.295:                              ;   in Loop: Header=BB376_16 Depth=1
	v_ffbh_u32_e32 v0, v19
	v_min_u32_e32 v0, 32, v0
	v_subrev_nc_u32_e32 v1, 28, v0
	v_sub_nc_u32_e32 v0, 29, v0
	v_lshlrev_b64 v[1:2], v1, v[19:20]
	v_and_b32_e32 v35, 7, v1
; %bb.296:                              ;   in Loop: Header=BB376_16 Depth=1
	s_or_b32 exec_lo, exec_lo, s28
	v_mov_b32_e32 v1, 24
	v_lshlrev_b32_e32 v2, 20, v35
	v_lshl_add_u32 v0, v0, 23, 0x3c000000
	v_lshlrev_b32_sdwa v1, v1, v33 dst_sel:DWORD dst_unused:UNUSED_PAD src0_sel:DWORD src1_sel:WORD_1
	v_and_b32_e32 v1, 0x80000000, v1
	v_or3_b32 v91, v2, v1, v0
.LBB376_297:                            ;   in Loop: Header=BB376_16 Depth=1
	s_or_b32 exec_lo, exec_lo, s27
.LBB376_298:                            ;   in Loop: Header=BB376_16 Depth=1
	s_or_b32 exec_lo, exec_lo, s26
.LBB376_299:                            ;   in Loop: Header=BB376_16 Depth=1
	s_or_b32 exec_lo, exec_lo, s25
	s_mov_b32 s25, exec_lo
	v_cmpx_lt_u32_e32 0xffffff, v33
	s_cbranch_execz .LBB376_307
; %bb.300:                              ;   in Loop: Header=BB376_16 Depth=1
	v_cmp_ne_u32_sdwa s5, v33, v98 src0_sel:BYTE_3 src1_sel:DWORD
	v_bfrev_b32_e32 v92, 1
	s_and_saveexec_b32 s26, s5
	s_cbranch_execz .LBB376_306
; %bb.301:                              ;   in Loop: Header=BB376_16 Depth=1
	v_bfe_u32 v1, v33, 24, 7
	v_mov_b32_e32 v92, 0x7f800001
	s_mov_b32 s27, exec_lo
	v_cmpx_ne_u32_e32 0x7f, v1
	s_cbranch_execz .LBB376_305
; %bb.302:                              ;   in Loop: Header=BB376_16 Depth=1
	v_mov_b32_e32 v0, 7
	s_mov_b32 s28, exec_lo
	v_and_b32_sdwa v19, v33, v0 dst_sel:DWORD dst_unused:UNUSED_PAD src0_sel:BYTE_3 src1_sel:DWORD
	v_mov_b32_e32 v36, v20
	v_lshrrev_b32_e32 v0, 3, v1
	v_mov_b32_e32 v35, v19
	v_cmpx_gt_u32_e32 8, v1
; %bb.303:                              ;   in Loop: Header=BB376_16 Depth=1
	v_ffbh_u32_e32 v0, v19
	v_min_u32_e32 v0, 32, v0
	v_subrev_nc_u32_e32 v1, 28, v0
	v_sub_nc_u32_e32 v0, 29, v0
	v_lshlrev_b64 v[1:2], v1, v[19:20]
	v_and_b32_e32 v35, 7, v1
; %bb.304:                              ;   in Loop: Header=BB376_16 Depth=1
	s_or_b32 exec_lo, exec_lo, s28
	v_mov_b32_e32 v1, 24
	v_lshlrev_b32_e32 v2, 20, v35
	v_lshl_add_u32 v0, v0, 23, 0x3c000000
	v_lshlrev_b32_sdwa v1, v1, v33 dst_sel:DWORD dst_unused:UNUSED_PAD src0_sel:DWORD src1_sel:BYTE_3
	v_and_b32_e32 v1, 0x80000000, v1
	v_or3_b32 v92, v2, v1, v0
.LBB376_305:                            ;   in Loop: Header=BB376_16 Depth=1
	s_or_b32 exec_lo, exec_lo, s27
.LBB376_306:                            ;   in Loop: Header=BB376_16 Depth=1
	s_or_b32 exec_lo, exec_lo, s26
.LBB376_307:                            ;   in Loop: Header=BB376_16 Depth=1
	s_or_b32 exec_lo, exec_lo, s25
	v_mov_b32_e32 v19, v34
	v_cmp_ne_u16_sdwa s5, v34, v20 src0_sel:BYTE_0 src1_sel:DWORD
	v_mov_b32_e32 v94, 0
	v_mov_b32_e32 v93, 0
	s_and_saveexec_b32 s25, s5
	s_cbranch_execz .LBB376_315
; %bb.308:                              ;   in Loop: Header=BB376_16 Depth=1
	v_cmp_ne_u16_sdwa s5, v34, v98 src0_sel:BYTE_0 src1_sel:DWORD
	v_bfrev_b32_e32 v93, 1
	s_and_saveexec_b32 s26, s5
	s_cbranch_execz .LBB376_314
; %bb.309:                              ;   in Loop: Header=BB376_16 Depth=1
	v_and_b32_e32 v1, 0x7f, v34
	v_mov_b32_e32 v93, 0x7f800001
	s_mov_b32 s27, exec_lo
	v_cmpx_ne_u32_e32 0x7f, v1
	s_cbranch_execz .LBB376_313
; %bb.310:                              ;   in Loop: Header=BB376_16 Depth=1
	v_mov_b32_e32 v36, v20
	v_lshrrev_b32_e32 v0, 3, v1
	v_mov_b32_e32 v35, v19
	s_mov_b32 s28, exec_lo
	v_cmpx_gt_u32_e32 8, v1
; %bb.311:                              ;   in Loop: Header=BB376_16 Depth=1
	v_and_b32_e32 v0, 7, v34
	v_ffbh_u32_e32 v0, v0
	v_min_u32_e32 v0, 32, v0
	v_subrev_nc_u32_e32 v1, 28, v0
	v_sub_nc_u32_e32 v0, 29, v0
	v_lshlrev_b64 v[35:36], v1, v[19:20]
; %bb.312:                              ;   in Loop: Header=BB376_16 Depth=1
	s_or_b32 exec_lo, exec_lo, s28
	v_lshlrev_b32_e32 v1, 20, v35
	v_lshlrev_b32_e32 v2, 24, v19
	v_lshl_add_u32 v0, v0, 23, 0x3c000000
	v_and_b32_e32 v1, 0x700000, v1
	v_and_b32_e32 v2, 0x80000000, v2
	v_or3_b32 v93, v1, v2, v0
.LBB376_313:                            ;   in Loop: Header=BB376_16 Depth=1
	s_or_b32 exec_lo, exec_lo, s27
.LBB376_314:                            ;   in Loop: Header=BB376_16 Depth=1
	s_or_b32 exec_lo, exec_lo, s26
.LBB376_315:                            ;   in Loop: Header=BB376_16 Depth=1
	s_or_b32 exec_lo, exec_lo, s25
	v_cmp_ne_u16_sdwa s5, v19, v20 src0_sel:BYTE_1 src1_sel:DWORD
	s_and_saveexec_b32 s25, s5
	s_cbranch_execz .LBB376_323
; %bb.316:                              ;   in Loop: Header=BB376_16 Depth=1
	v_cmp_ne_u16_sdwa s5, v19, v98 src0_sel:BYTE_1 src1_sel:DWORD
	v_bfrev_b32_e32 v94, 1
	s_and_saveexec_b32 s26, s5
	s_cbranch_execz .LBB376_322
; %bb.317:                              ;   in Loop: Header=BB376_16 Depth=1
	v_mov_b32_e32 v0, 0xffff
	v_mov_b32_e32 v94, 0x7f800001
	s_mov_b32 s27, exec_lo
	v_and_b32_sdwa v0, v0, v19 dst_sel:DWORD dst_unused:UNUSED_PAD src0_sel:DWORD src1_sel:BYTE_1
	v_and_b32_e32 v1, 0x7f, v0
	v_cmpx_ne_u32_e32 0x7f, v1
	s_cbranch_execz .LBB376_321
; %bb.318:                              ;   in Loop: Header=BB376_16 Depth=1
	v_and_b32_e32 v35, 7, v0
	v_mov_b32_e32 v36, v20
	v_lshrrev_b32_e32 v0, 3, v1
	s_mov_b32 s28, exec_lo
	v_cmpx_gt_u32_e32 8, v1
; %bb.319:                              ;   in Loop: Header=BB376_16 Depth=1
	v_ffbh_u32_e32 v0, v35
	v_min_u32_e32 v0, 32, v0
	v_subrev_nc_u32_e32 v1, 28, v0
	v_sub_nc_u32_e32 v0, 29, v0
	v_lshlrev_b64 v[1:2], v1, v[35:36]
	v_and_b32_e32 v35, 7, v1
; %bb.320:                              ;   in Loop: Header=BB376_16 Depth=1
	s_or_b32 exec_lo, exec_lo, s28
	v_lshlrev_b32_e32 v1, 16, v19
	v_lshlrev_b32_e32 v2, 20, v35
	v_lshl_add_u32 v0, v0, 23, 0x3c000000
	v_and_b32_e32 v1, 0x80000000, v1
	v_or3_b32 v94, v2, v1, v0
.LBB376_321:                            ;   in Loop: Header=BB376_16 Depth=1
	s_or_b32 exec_lo, exec_lo, s27
.LBB376_322:                            ;   in Loop: Header=BB376_16 Depth=1
	s_or_b32 exec_lo, exec_lo, s26
.LBB376_323:                            ;   in Loop: Header=BB376_16 Depth=1
	s_or_b32 exec_lo, exec_lo, s25
	v_and_b32_sdwa v0, v34, v100 dst_sel:DWORD dst_unused:UNUSED_PAD src0_sel:WORD_1 src1_sel:DWORD
	v_mov_b32_e32 v95, 0
	v_mov_b32_e32 v104, 0
	s_mov_b32 s25, exec_lo
	v_cmpx_ne_u16_e32 0, v0
	s_cbranch_execz .LBB376_331
; %bb.324:                              ;   in Loop: Header=BB376_16 Depth=1
	v_bfrev_b32_e32 v104, 1
	s_mov_b32 s26, exec_lo
	v_cmpx_ne_u16_e32 0x80, v0
	s_cbranch_execz .LBB376_330
; %bb.325:                              ;   in Loop: Header=BB376_16 Depth=1
	v_bfe_u32 v1, v34, 16, 7
	v_mov_b32_e32 v104, 0x7f800001
	s_mov_b32 s27, exec_lo
	v_cmpx_ne_u32_e32 0x7f, v1
	s_cbranch_execz .LBB376_329
; %bb.326:                              ;   in Loop: Header=BB376_16 Depth=1
	v_mov_b32_e32 v0, 7
	s_mov_b32 s28, exec_lo
	v_and_b32_sdwa v19, v34, v0 dst_sel:DWORD dst_unused:UNUSED_PAD src0_sel:WORD_1 src1_sel:DWORD
	v_mov_b32_e32 v36, v20
	v_lshrrev_b32_e32 v0, 3, v1
	v_mov_b32_e32 v35, v19
	v_cmpx_gt_u32_e32 8, v1
; %bb.327:                              ;   in Loop: Header=BB376_16 Depth=1
	v_ffbh_u32_e32 v0, v19
	v_min_u32_e32 v0, 32, v0
	v_subrev_nc_u32_e32 v1, 28, v0
	v_sub_nc_u32_e32 v0, 29, v0
	v_lshlrev_b64 v[1:2], v1, v[19:20]
	v_and_b32_e32 v35, 7, v1
; %bb.328:                              ;   in Loop: Header=BB376_16 Depth=1
	s_or_b32 exec_lo, exec_lo, s28
	v_mov_b32_e32 v1, 24
	v_lshlrev_b32_e32 v2, 20, v35
	v_lshl_add_u32 v0, v0, 23, 0x3c000000
	v_lshlrev_b32_sdwa v1, v1, v34 dst_sel:DWORD dst_unused:UNUSED_PAD src0_sel:DWORD src1_sel:WORD_1
	v_and_b32_e32 v1, 0x80000000, v1
	v_or3_b32 v104, v2, v1, v0
.LBB376_329:                            ;   in Loop: Header=BB376_16 Depth=1
	s_or_b32 exec_lo, exec_lo, s27
.LBB376_330:                            ;   in Loop: Header=BB376_16 Depth=1
	s_or_b32 exec_lo, exec_lo, s26
.LBB376_331:                            ;   in Loop: Header=BB376_16 Depth=1
	s_or_b32 exec_lo, exec_lo, s25
	s_mov_b32 s25, exec_lo
	v_cmpx_lt_u64_e64 s[20:21], v[33:34]
	s_cbranch_execz .LBB376_339
; %bb.332:                              ;   in Loop: Header=BB376_16 Depth=1
	v_cmp_ne_u32_sdwa s5, v34, v98 src0_sel:BYTE_3 src1_sel:DWORD
	v_bfrev_b32_e32 v95, 1
	s_and_saveexec_b32 s26, s5
	s_cbranch_execz .LBB376_338
; %bb.333:                              ;   in Loop: Header=BB376_16 Depth=1
	v_bfe_u32 v1, v34, 24, 7
	v_mov_b32_e32 v95, 0x7f800001
	s_mov_b32 s27, exec_lo
	v_cmpx_ne_u32_e32 0x7f, v1
	s_cbranch_execz .LBB376_337
; %bb.334:                              ;   in Loop: Header=BB376_16 Depth=1
	v_mov_b32_e32 v0, 7
	s_mov_b32 s28, exec_lo
	v_and_b32_sdwa v19, v34, v0 dst_sel:DWORD dst_unused:UNUSED_PAD src0_sel:BYTE_3 src1_sel:DWORD
	v_mov_b32_e32 v36, v20
	v_lshrrev_b32_e32 v0, 3, v1
	v_mov_b32_e32 v35, v19
	v_cmpx_gt_u32_e32 8, v1
; %bb.335:                              ;   in Loop: Header=BB376_16 Depth=1
	v_ffbh_u32_e32 v0, v19
	v_min_u32_e32 v0, 32, v0
	v_subrev_nc_u32_e32 v1, 28, v0
	v_sub_nc_u32_e32 v0, 29, v0
	v_lshlrev_b64 v[1:2], v1, v[19:20]
	v_and_b32_e32 v35, 7, v1
; %bb.336:                              ;   in Loop: Header=BB376_16 Depth=1
	s_or_b32 exec_lo, exec_lo, s28
	v_mov_b32_e32 v1, 24
	v_lshlrev_b32_e32 v2, 20, v35
	v_lshl_add_u32 v0, v0, 23, 0x3c000000
	v_lshlrev_b32_sdwa v1, v1, v34 dst_sel:DWORD dst_unused:UNUSED_PAD src0_sel:DWORD src1_sel:BYTE_3
	v_and_b32_e32 v1, 0x80000000, v1
	v_or3_b32 v95, v2, v1, v0
.LBB376_337:                            ;   in Loop: Header=BB376_16 Depth=1
	s_or_b32 exec_lo, exec_lo, s27
.LBB376_338:                            ;   in Loop: Header=BB376_16 Depth=1
	s_or_b32 exec_lo, exec_lo, s26
.LBB376_339:                            ;   in Loop: Header=BB376_16 Depth=1
	s_or_b32 exec_lo, exec_lo, s25
	flat_load_dwordx2 v[33:34], v[31:32] offset:1032
	v_mov_b32_e32 v106, 0
	v_mov_b32_e32 v105, 0
	s_waitcnt vmcnt(0) lgkmcnt(0)
	v_cmp_ne_u16_sdwa s5, v33, v20 src0_sel:BYTE_0 src1_sel:DWORD
	s_and_saveexec_b32 s25, s5
	s_cbranch_execz .LBB376_347
; %bb.340:                              ;   in Loop: Header=BB376_16 Depth=1
	v_cmp_ne_u16_sdwa s5, v33, v98 src0_sel:BYTE_0 src1_sel:DWORD
	v_bfrev_b32_e32 v105, 1
	s_and_saveexec_b32 s26, s5
	s_cbranch_execz .LBB376_346
; %bb.341:                              ;   in Loop: Header=BB376_16 Depth=1
	v_and_b32_e32 v1, 0x7f, v33
	v_mov_b32_e32 v105, 0x7f800001
	s_mov_b32 s27, exec_lo
	v_cmpx_ne_u32_e32 0x7f, v1
	s_cbranch_execz .LBB376_345
; %bb.342:                              ;   in Loop: Header=BB376_16 Depth=1
	v_mov_b32_e32 v36, v34
	v_lshrrev_b32_e32 v0, 3, v1
	v_mov_b32_e32 v35, v33
	s_mov_b32 s28, exec_lo
	v_cmpx_gt_u32_e32 8, v1
; %bb.343:                              ;   in Loop: Header=BB376_16 Depth=1
	v_and_b32_e32 v0, 7, v33
	v_ffbh_u32_e32 v0, v0
	v_min_u32_e32 v0, 32, v0
	v_subrev_nc_u32_e32 v1, 28, v0
	v_sub_nc_u32_e32 v0, 29, v0
	v_lshlrev_b64 v[35:36], v1, v[33:34]
; %bb.344:                              ;   in Loop: Header=BB376_16 Depth=1
	s_or_b32 exec_lo, exec_lo, s28
	v_lshlrev_b32_e32 v1, 20, v35
	v_lshlrev_b32_e32 v2, 24, v33
	v_lshl_add_u32 v0, v0, 23, 0x3c000000
	v_and_b32_e32 v1, 0x700000, v1
	v_and_b32_e32 v2, 0x80000000, v2
	v_or3_b32 v105, v1, v2, v0
.LBB376_345:                            ;   in Loop: Header=BB376_16 Depth=1
	s_or_b32 exec_lo, exec_lo, s27
.LBB376_346:                            ;   in Loop: Header=BB376_16 Depth=1
	s_or_b32 exec_lo, exec_lo, s26
.LBB376_347:                            ;   in Loop: Header=BB376_16 Depth=1
	s_or_b32 exec_lo, exec_lo, s25
	v_cmp_ne_u16_sdwa s5, v33, v20 src0_sel:BYTE_1 src1_sel:DWORD
	s_and_saveexec_b32 s25, s5
	s_cbranch_execz .LBB376_355
; %bb.348:                              ;   in Loop: Header=BB376_16 Depth=1
	v_cmp_ne_u16_sdwa s5, v33, v98 src0_sel:BYTE_1 src1_sel:DWORD
	v_bfrev_b32_e32 v106, 1
	s_and_saveexec_b32 s26, s5
	s_cbranch_execz .LBB376_354
; %bb.349:                              ;   in Loop: Header=BB376_16 Depth=1
	v_mov_b32_e32 v0, 0xffff
	v_mov_b32_e32 v106, 0x7f800001
	s_mov_b32 s27, exec_lo
	v_and_b32_sdwa v0, v0, v33 dst_sel:DWORD dst_unused:UNUSED_PAD src0_sel:DWORD src1_sel:BYTE_1
	v_and_b32_e32 v1, 0x7f, v0
	v_cmpx_ne_u32_e32 0x7f, v1
	s_cbranch_execz .LBB376_353
; %bb.350:                              ;   in Loop: Header=BB376_16 Depth=1
	v_and_b32_e32 v19, 7, v0
	v_mov_b32_e32 v36, v20
	v_lshrrev_b32_e32 v0, 3, v1
	s_mov_b32 s28, exec_lo
	v_mov_b32_e32 v35, v19
	v_cmpx_gt_u32_e32 8, v1
; %bb.351:                              ;   in Loop: Header=BB376_16 Depth=1
	v_ffbh_u32_e32 v0, v19
	v_min_u32_e32 v0, 32, v0
	v_subrev_nc_u32_e32 v1, 28, v0
	v_sub_nc_u32_e32 v0, 29, v0
	v_lshlrev_b64 v[1:2], v1, v[19:20]
	v_and_b32_e32 v35, 7, v1
; %bb.352:                              ;   in Loop: Header=BB376_16 Depth=1
	s_or_b32 exec_lo, exec_lo, s28
	v_lshlrev_b32_e32 v1, 16, v33
	v_lshlrev_b32_e32 v2, 20, v35
	v_lshl_add_u32 v0, v0, 23, 0x3c000000
	v_and_b32_e32 v1, 0x80000000, v1
	v_or3_b32 v106, v2, v1, v0
.LBB376_353:                            ;   in Loop: Header=BB376_16 Depth=1
	s_or_b32 exec_lo, exec_lo, s27
.LBB376_354:                            ;   in Loop: Header=BB376_16 Depth=1
	s_or_b32 exec_lo, exec_lo, s26
.LBB376_355:                            ;   in Loop: Header=BB376_16 Depth=1
	s_or_b32 exec_lo, exec_lo, s25
	v_and_b32_sdwa v0, v33, v100 dst_sel:DWORD dst_unused:UNUSED_PAD src0_sel:WORD_1 src1_sel:DWORD
	v_mov_b32_e32 v108, 0
	v_mov_b32_e32 v107, 0
	s_mov_b32 s25, exec_lo
	v_cmpx_ne_u16_e32 0, v0
	s_cbranch_execz .LBB376_363
; %bb.356:                              ;   in Loop: Header=BB376_16 Depth=1
	v_bfrev_b32_e32 v107, 1
	s_mov_b32 s26, exec_lo
	v_cmpx_ne_u16_e32 0x80, v0
	s_cbranch_execz .LBB376_362
; %bb.357:                              ;   in Loop: Header=BB376_16 Depth=1
	v_bfe_u32 v1, v33, 16, 7
	v_mov_b32_e32 v107, 0x7f800001
	s_mov_b32 s27, exec_lo
	v_cmpx_ne_u32_e32 0x7f, v1
	s_cbranch_execz .LBB376_361
; %bb.358:                              ;   in Loop: Header=BB376_16 Depth=1
	v_mov_b32_e32 v0, 7
	s_mov_b32 s28, exec_lo
	v_and_b32_sdwa v19, v33, v0 dst_sel:DWORD dst_unused:UNUSED_PAD src0_sel:WORD_1 src1_sel:DWORD
	v_mov_b32_e32 v36, v20
	v_lshrrev_b32_e32 v0, 3, v1
	v_mov_b32_e32 v35, v19
	v_cmpx_gt_u32_e32 8, v1
; %bb.359:                              ;   in Loop: Header=BB376_16 Depth=1
	v_ffbh_u32_e32 v0, v19
	v_min_u32_e32 v0, 32, v0
	v_subrev_nc_u32_e32 v1, 28, v0
	v_sub_nc_u32_e32 v0, 29, v0
	v_lshlrev_b64 v[1:2], v1, v[19:20]
	v_and_b32_e32 v35, 7, v1
; %bb.360:                              ;   in Loop: Header=BB376_16 Depth=1
	s_or_b32 exec_lo, exec_lo, s28
	v_mov_b32_e32 v1, 24
	v_lshlrev_b32_e32 v2, 20, v35
	v_lshl_add_u32 v0, v0, 23, 0x3c000000
	v_lshlrev_b32_sdwa v1, v1, v33 dst_sel:DWORD dst_unused:UNUSED_PAD src0_sel:DWORD src1_sel:WORD_1
	v_and_b32_e32 v1, 0x80000000, v1
	v_or3_b32 v107, v2, v1, v0
.LBB376_361:                            ;   in Loop: Header=BB376_16 Depth=1
	s_or_b32 exec_lo, exec_lo, s27
.LBB376_362:                            ;   in Loop: Header=BB376_16 Depth=1
	s_or_b32 exec_lo, exec_lo, s26
.LBB376_363:                            ;   in Loop: Header=BB376_16 Depth=1
	s_or_b32 exec_lo, exec_lo, s25
	s_mov_b32 s25, exec_lo
	v_cmpx_lt_u32_e32 0xffffff, v33
	s_cbranch_execz .LBB376_371
; %bb.364:                              ;   in Loop: Header=BB376_16 Depth=1
	v_cmp_ne_u32_sdwa s5, v33, v98 src0_sel:BYTE_3 src1_sel:DWORD
	v_bfrev_b32_e32 v108, 1
	s_and_saveexec_b32 s26, s5
	s_cbranch_execz .LBB376_370
; %bb.365:                              ;   in Loop: Header=BB376_16 Depth=1
	v_bfe_u32 v1, v33, 24, 7
	v_mov_b32_e32 v108, 0x7f800001
	s_mov_b32 s27, exec_lo
	v_cmpx_ne_u32_e32 0x7f, v1
	s_cbranch_execz .LBB376_369
; %bb.366:                              ;   in Loop: Header=BB376_16 Depth=1
	v_mov_b32_e32 v0, 7
	s_mov_b32 s28, exec_lo
	v_and_b32_sdwa v19, v33, v0 dst_sel:DWORD dst_unused:UNUSED_PAD src0_sel:BYTE_3 src1_sel:DWORD
	v_mov_b32_e32 v36, v20
	v_lshrrev_b32_e32 v0, 3, v1
	v_mov_b32_e32 v35, v19
	v_cmpx_gt_u32_e32 8, v1
; %bb.367:                              ;   in Loop: Header=BB376_16 Depth=1
	v_ffbh_u32_e32 v0, v19
	v_min_u32_e32 v0, 32, v0
	v_subrev_nc_u32_e32 v1, 28, v0
	v_sub_nc_u32_e32 v0, 29, v0
	v_lshlrev_b64 v[1:2], v1, v[19:20]
	v_and_b32_e32 v35, 7, v1
; %bb.368:                              ;   in Loop: Header=BB376_16 Depth=1
	s_or_b32 exec_lo, exec_lo, s28
	v_mov_b32_e32 v1, 24
	v_lshlrev_b32_e32 v2, 20, v35
	v_lshl_add_u32 v0, v0, 23, 0x3c000000
	v_lshlrev_b32_sdwa v1, v1, v33 dst_sel:DWORD dst_unused:UNUSED_PAD src0_sel:DWORD src1_sel:BYTE_3
	v_and_b32_e32 v1, 0x80000000, v1
	v_or3_b32 v108, v2, v1, v0
.LBB376_369:                            ;   in Loop: Header=BB376_16 Depth=1
	s_or_b32 exec_lo, exec_lo, s27
.LBB376_370:                            ;   in Loop: Header=BB376_16 Depth=1
	s_or_b32 exec_lo, exec_lo, s26
.LBB376_371:                            ;   in Loop: Header=BB376_16 Depth=1
	s_or_b32 exec_lo, exec_lo, s25
	v_mov_b32_e32 v19, v34
	v_cmp_ne_u16_sdwa s5, v34, v20 src0_sel:BYTE_0 src1_sel:DWORD
	v_mov_b32_e32 v110, 0
	v_mov_b32_e32 v109, 0
	s_and_saveexec_b32 s25, s5
	s_cbranch_execz .LBB376_379
; %bb.372:                              ;   in Loop: Header=BB376_16 Depth=1
	v_cmp_ne_u16_sdwa s5, v34, v98 src0_sel:BYTE_0 src1_sel:DWORD
	v_bfrev_b32_e32 v109, 1
	s_and_saveexec_b32 s26, s5
	s_cbranch_execz .LBB376_378
; %bb.373:                              ;   in Loop: Header=BB376_16 Depth=1
	v_and_b32_e32 v1, 0x7f, v34
	v_mov_b32_e32 v109, 0x7f800001
	s_mov_b32 s27, exec_lo
	v_cmpx_ne_u32_e32 0x7f, v1
	s_cbranch_execz .LBB376_377
; %bb.374:                              ;   in Loop: Header=BB376_16 Depth=1
	v_mov_b32_e32 v36, v20
	v_lshrrev_b32_e32 v0, 3, v1
	v_mov_b32_e32 v35, v19
	s_mov_b32 s28, exec_lo
	v_cmpx_gt_u32_e32 8, v1
; %bb.375:                              ;   in Loop: Header=BB376_16 Depth=1
	v_and_b32_e32 v0, 7, v34
	v_ffbh_u32_e32 v0, v0
	v_min_u32_e32 v0, 32, v0
	v_subrev_nc_u32_e32 v1, 28, v0
	v_sub_nc_u32_e32 v0, 29, v0
	v_lshlrev_b64 v[35:36], v1, v[19:20]
; %bb.376:                              ;   in Loop: Header=BB376_16 Depth=1
	s_or_b32 exec_lo, exec_lo, s28
	v_lshlrev_b32_e32 v1, 20, v35
	v_lshlrev_b32_e32 v2, 24, v19
	v_lshl_add_u32 v0, v0, 23, 0x3c000000
	v_and_b32_e32 v1, 0x700000, v1
	v_and_b32_e32 v2, 0x80000000, v2
	v_or3_b32 v109, v1, v2, v0
.LBB376_377:                            ;   in Loop: Header=BB376_16 Depth=1
	s_or_b32 exec_lo, exec_lo, s27
.LBB376_378:                            ;   in Loop: Header=BB376_16 Depth=1
	s_or_b32 exec_lo, exec_lo, s26
.LBB376_379:                            ;   in Loop: Header=BB376_16 Depth=1
	s_or_b32 exec_lo, exec_lo, s25
	v_cmp_ne_u16_sdwa s5, v19, v20 src0_sel:BYTE_1 src1_sel:DWORD
	s_and_saveexec_b32 s25, s5
	s_cbranch_execz .LBB376_387
; %bb.380:                              ;   in Loop: Header=BB376_16 Depth=1
	v_cmp_ne_u16_sdwa s5, v19, v98 src0_sel:BYTE_1 src1_sel:DWORD
	v_bfrev_b32_e32 v110, 1
	s_and_saveexec_b32 s26, s5
	s_cbranch_execz .LBB376_386
; %bb.381:                              ;   in Loop: Header=BB376_16 Depth=1
	v_mov_b32_e32 v0, 0xffff
	v_mov_b32_e32 v110, 0x7f800001
	s_mov_b32 s27, exec_lo
	v_and_b32_sdwa v0, v0, v19 dst_sel:DWORD dst_unused:UNUSED_PAD src0_sel:DWORD src1_sel:BYTE_1
	v_and_b32_e32 v1, 0x7f, v0
	v_cmpx_ne_u32_e32 0x7f, v1
	s_cbranch_execz .LBB376_385
; %bb.382:                              ;   in Loop: Header=BB376_16 Depth=1
	v_and_b32_e32 v35, 7, v0
	v_mov_b32_e32 v36, v20
	v_lshrrev_b32_e32 v0, 3, v1
	s_mov_b32 s28, exec_lo
	v_cmpx_gt_u32_e32 8, v1
; %bb.383:                              ;   in Loop: Header=BB376_16 Depth=1
	v_ffbh_u32_e32 v0, v35
	v_min_u32_e32 v0, 32, v0
	v_subrev_nc_u32_e32 v1, 28, v0
	v_sub_nc_u32_e32 v0, 29, v0
	v_lshlrev_b64 v[1:2], v1, v[35:36]
	v_and_b32_e32 v35, 7, v1
; %bb.384:                              ;   in Loop: Header=BB376_16 Depth=1
	s_or_b32 exec_lo, exec_lo, s28
	v_lshlrev_b32_e32 v1, 16, v19
	v_lshlrev_b32_e32 v2, 20, v35
	v_lshl_add_u32 v0, v0, 23, 0x3c000000
	v_and_b32_e32 v1, 0x80000000, v1
	v_or3_b32 v110, v2, v1, v0
.LBB376_385:                            ;   in Loop: Header=BB376_16 Depth=1
	s_or_b32 exec_lo, exec_lo, s27
.LBB376_386:                            ;   in Loop: Header=BB376_16 Depth=1
	s_or_b32 exec_lo, exec_lo, s26
.LBB376_387:                            ;   in Loop: Header=BB376_16 Depth=1
	s_or_b32 exec_lo, exec_lo, s25
	v_and_b32_sdwa v0, v34, v100 dst_sel:DWORD dst_unused:UNUSED_PAD src0_sel:WORD_1 src1_sel:DWORD
	v_mov_b32_e32 v111, 0
	v_mov_b32_e32 v120, 0
	s_mov_b32 s25, exec_lo
	v_cmpx_ne_u16_e32 0, v0
	s_cbranch_execz .LBB376_395
; %bb.388:                              ;   in Loop: Header=BB376_16 Depth=1
	v_bfrev_b32_e32 v120, 1
	s_mov_b32 s26, exec_lo
	v_cmpx_ne_u16_e32 0x80, v0
	s_cbranch_execz .LBB376_394
; %bb.389:                              ;   in Loop: Header=BB376_16 Depth=1
	v_bfe_u32 v1, v34, 16, 7
	v_mov_b32_e32 v120, 0x7f800001
	s_mov_b32 s27, exec_lo
	v_cmpx_ne_u32_e32 0x7f, v1
	s_cbranch_execz .LBB376_393
; %bb.390:                              ;   in Loop: Header=BB376_16 Depth=1
	v_mov_b32_e32 v0, 7
	s_mov_b32 s28, exec_lo
	v_and_b32_sdwa v19, v34, v0 dst_sel:DWORD dst_unused:UNUSED_PAD src0_sel:WORD_1 src1_sel:DWORD
	v_mov_b32_e32 v36, v20
	v_lshrrev_b32_e32 v0, 3, v1
	v_mov_b32_e32 v35, v19
	v_cmpx_gt_u32_e32 8, v1
; %bb.391:                              ;   in Loop: Header=BB376_16 Depth=1
	v_ffbh_u32_e32 v0, v19
	v_min_u32_e32 v0, 32, v0
	v_subrev_nc_u32_e32 v1, 28, v0
	v_sub_nc_u32_e32 v0, 29, v0
	v_lshlrev_b64 v[1:2], v1, v[19:20]
	v_and_b32_e32 v35, 7, v1
; %bb.392:                              ;   in Loop: Header=BB376_16 Depth=1
	s_or_b32 exec_lo, exec_lo, s28
	v_mov_b32_e32 v1, 24
	v_lshlrev_b32_e32 v2, 20, v35
	v_lshl_add_u32 v0, v0, 23, 0x3c000000
	v_lshlrev_b32_sdwa v1, v1, v34 dst_sel:DWORD dst_unused:UNUSED_PAD src0_sel:DWORD src1_sel:WORD_1
	v_and_b32_e32 v1, 0x80000000, v1
	v_or3_b32 v120, v2, v1, v0
.LBB376_393:                            ;   in Loop: Header=BB376_16 Depth=1
	s_or_b32 exec_lo, exec_lo, s27
.LBB376_394:                            ;   in Loop: Header=BB376_16 Depth=1
	s_or_b32 exec_lo, exec_lo, s26
.LBB376_395:                            ;   in Loop: Header=BB376_16 Depth=1
	s_or_b32 exec_lo, exec_lo, s25
	s_mov_b32 s25, exec_lo
	v_cmpx_lt_u64_e64 s[20:21], v[33:34]
	s_cbranch_execz .LBB376_403
; %bb.396:                              ;   in Loop: Header=BB376_16 Depth=1
	v_cmp_ne_u32_sdwa s5, v34, v98 src0_sel:BYTE_3 src1_sel:DWORD
	v_bfrev_b32_e32 v111, 1
	s_and_saveexec_b32 s26, s5
	s_cbranch_execz .LBB376_402
; %bb.397:                              ;   in Loop: Header=BB376_16 Depth=1
	v_bfe_u32 v1, v34, 24, 7
	v_mov_b32_e32 v111, 0x7f800001
	s_mov_b32 s27, exec_lo
	v_cmpx_ne_u32_e32 0x7f, v1
	s_cbranch_execz .LBB376_401
; %bb.398:                              ;   in Loop: Header=BB376_16 Depth=1
	v_mov_b32_e32 v0, 7
	s_mov_b32 s28, exec_lo
	v_and_b32_sdwa v19, v34, v0 dst_sel:DWORD dst_unused:UNUSED_PAD src0_sel:BYTE_3 src1_sel:DWORD
	v_mov_b32_e32 v36, v20
	v_lshrrev_b32_e32 v0, 3, v1
	v_mov_b32_e32 v35, v19
	v_cmpx_gt_u32_e32 8, v1
; %bb.399:                              ;   in Loop: Header=BB376_16 Depth=1
	v_ffbh_u32_e32 v0, v19
	v_min_u32_e32 v0, 32, v0
	v_subrev_nc_u32_e32 v1, 28, v0
	v_sub_nc_u32_e32 v0, 29, v0
	v_lshlrev_b64 v[1:2], v1, v[19:20]
	v_and_b32_e32 v35, 7, v1
; %bb.400:                              ;   in Loop: Header=BB376_16 Depth=1
	s_or_b32 exec_lo, exec_lo, s28
	v_mov_b32_e32 v1, 24
	v_lshlrev_b32_e32 v2, 20, v35
	v_lshl_add_u32 v0, v0, 23, 0x3c000000
	v_lshlrev_b32_sdwa v1, v1, v34 dst_sel:DWORD dst_unused:UNUSED_PAD src0_sel:DWORD src1_sel:BYTE_3
	v_and_b32_e32 v1, 0x80000000, v1
	v_or3_b32 v111, v2, v1, v0
.LBB376_401:                            ;   in Loop: Header=BB376_16 Depth=1
	s_or_b32 exec_lo, exec_lo, s27
.LBB376_402:                            ;   in Loop: Header=BB376_16 Depth=1
	s_or_b32 exec_lo, exec_lo, s26
.LBB376_403:                            ;   in Loop: Header=BB376_16 Depth=1
	s_or_b32 exec_lo, exec_lo, s25
	flat_load_dwordx2 v[33:34], v[31:32] offset:1536
	v_mov_b32_e32 v122, 0
	v_mov_b32_e32 v121, 0
	s_waitcnt vmcnt(0) lgkmcnt(0)
	v_cmp_ne_u16_sdwa s5, v33, v20 src0_sel:BYTE_0 src1_sel:DWORD
	s_and_saveexec_b32 s25, s5
	s_cbranch_execz .LBB376_411
; %bb.404:                              ;   in Loop: Header=BB376_16 Depth=1
	v_cmp_ne_u16_sdwa s5, v33, v98 src0_sel:BYTE_0 src1_sel:DWORD
	v_bfrev_b32_e32 v121, 1
	s_and_saveexec_b32 s26, s5
	s_cbranch_execz .LBB376_410
; %bb.405:                              ;   in Loop: Header=BB376_16 Depth=1
	v_and_b32_e32 v1, 0x7f, v33
	v_mov_b32_e32 v121, 0x7f800001
	s_mov_b32 s27, exec_lo
	v_cmpx_ne_u32_e32 0x7f, v1
	s_cbranch_execz .LBB376_409
; %bb.406:                              ;   in Loop: Header=BB376_16 Depth=1
	v_mov_b32_e32 v36, v34
	v_lshrrev_b32_e32 v0, 3, v1
	v_mov_b32_e32 v35, v33
	s_mov_b32 s28, exec_lo
	v_cmpx_gt_u32_e32 8, v1
; %bb.407:                              ;   in Loop: Header=BB376_16 Depth=1
	v_and_b32_e32 v0, 7, v33
	v_ffbh_u32_e32 v0, v0
	v_min_u32_e32 v0, 32, v0
	v_subrev_nc_u32_e32 v1, 28, v0
	v_sub_nc_u32_e32 v0, 29, v0
	v_lshlrev_b64 v[35:36], v1, v[33:34]
; %bb.408:                              ;   in Loop: Header=BB376_16 Depth=1
	s_or_b32 exec_lo, exec_lo, s28
	v_lshlrev_b32_e32 v1, 20, v35
	v_lshlrev_b32_e32 v2, 24, v33
	v_lshl_add_u32 v0, v0, 23, 0x3c000000
	v_and_b32_e32 v1, 0x700000, v1
	v_and_b32_e32 v2, 0x80000000, v2
	v_or3_b32 v121, v1, v2, v0
.LBB376_409:                            ;   in Loop: Header=BB376_16 Depth=1
	s_or_b32 exec_lo, exec_lo, s27
.LBB376_410:                            ;   in Loop: Header=BB376_16 Depth=1
	s_or_b32 exec_lo, exec_lo, s26
.LBB376_411:                            ;   in Loop: Header=BB376_16 Depth=1
	s_or_b32 exec_lo, exec_lo, s25
	v_cmp_ne_u16_sdwa s5, v33, v20 src0_sel:BYTE_1 src1_sel:DWORD
	s_and_saveexec_b32 s25, s5
	s_cbranch_execz .LBB376_419
; %bb.412:                              ;   in Loop: Header=BB376_16 Depth=1
	v_cmp_ne_u16_sdwa s5, v33, v98 src0_sel:BYTE_1 src1_sel:DWORD
	v_bfrev_b32_e32 v122, 1
	s_and_saveexec_b32 s26, s5
	s_cbranch_execz .LBB376_418
; %bb.413:                              ;   in Loop: Header=BB376_16 Depth=1
	v_mov_b32_e32 v0, 0xffff
	v_mov_b32_e32 v122, 0x7f800001
	s_mov_b32 s27, exec_lo
	v_and_b32_sdwa v0, v0, v33 dst_sel:DWORD dst_unused:UNUSED_PAD src0_sel:DWORD src1_sel:BYTE_1
	v_and_b32_e32 v1, 0x7f, v0
	v_cmpx_ne_u32_e32 0x7f, v1
	s_cbranch_execz .LBB376_417
; %bb.414:                              ;   in Loop: Header=BB376_16 Depth=1
	v_and_b32_e32 v19, 7, v0
	v_mov_b32_e32 v36, v20
	v_lshrrev_b32_e32 v0, 3, v1
	s_mov_b32 s28, exec_lo
	v_mov_b32_e32 v35, v19
	v_cmpx_gt_u32_e32 8, v1
; %bb.415:                              ;   in Loop: Header=BB376_16 Depth=1
	v_ffbh_u32_e32 v0, v19
	v_min_u32_e32 v0, 32, v0
	v_subrev_nc_u32_e32 v1, 28, v0
	v_sub_nc_u32_e32 v0, 29, v0
	v_lshlrev_b64 v[1:2], v1, v[19:20]
	v_and_b32_e32 v35, 7, v1
; %bb.416:                              ;   in Loop: Header=BB376_16 Depth=1
	s_or_b32 exec_lo, exec_lo, s28
	v_lshlrev_b32_e32 v1, 16, v33
	v_lshlrev_b32_e32 v2, 20, v35
	v_lshl_add_u32 v0, v0, 23, 0x3c000000
	v_and_b32_e32 v1, 0x80000000, v1
	v_or3_b32 v122, v2, v1, v0
.LBB376_417:                            ;   in Loop: Header=BB376_16 Depth=1
	s_or_b32 exec_lo, exec_lo, s27
.LBB376_418:                            ;   in Loop: Header=BB376_16 Depth=1
	s_or_b32 exec_lo, exec_lo, s26
.LBB376_419:                            ;   in Loop: Header=BB376_16 Depth=1
	s_or_b32 exec_lo, exec_lo, s25
	v_and_b32_sdwa v0, v33, v100 dst_sel:DWORD dst_unused:UNUSED_PAD src0_sel:WORD_1 src1_sel:DWORD
	v_mov_b32_e32 v124, 0
	v_mov_b32_e32 v123, 0
	s_mov_b32 s25, exec_lo
	v_cmpx_ne_u16_e32 0, v0
	s_cbranch_execz .LBB376_427
; %bb.420:                              ;   in Loop: Header=BB376_16 Depth=1
	v_bfrev_b32_e32 v123, 1
	s_mov_b32 s26, exec_lo
	v_cmpx_ne_u16_e32 0x80, v0
	s_cbranch_execz .LBB376_426
; %bb.421:                              ;   in Loop: Header=BB376_16 Depth=1
	v_bfe_u32 v1, v33, 16, 7
	v_mov_b32_e32 v123, 0x7f800001
	s_mov_b32 s27, exec_lo
	v_cmpx_ne_u32_e32 0x7f, v1
	s_cbranch_execz .LBB376_425
; %bb.422:                              ;   in Loop: Header=BB376_16 Depth=1
	v_mov_b32_e32 v0, 7
	s_mov_b32 s28, exec_lo
	v_and_b32_sdwa v19, v33, v0 dst_sel:DWORD dst_unused:UNUSED_PAD src0_sel:WORD_1 src1_sel:DWORD
	v_mov_b32_e32 v36, v20
	v_lshrrev_b32_e32 v0, 3, v1
	v_mov_b32_e32 v35, v19
	v_cmpx_gt_u32_e32 8, v1
; %bb.423:                              ;   in Loop: Header=BB376_16 Depth=1
	v_ffbh_u32_e32 v0, v19
	v_min_u32_e32 v0, 32, v0
	v_subrev_nc_u32_e32 v1, 28, v0
	v_sub_nc_u32_e32 v0, 29, v0
	v_lshlrev_b64 v[1:2], v1, v[19:20]
	v_and_b32_e32 v35, 7, v1
; %bb.424:                              ;   in Loop: Header=BB376_16 Depth=1
	s_or_b32 exec_lo, exec_lo, s28
	v_mov_b32_e32 v1, 24
	v_lshlrev_b32_e32 v2, 20, v35
	v_lshl_add_u32 v0, v0, 23, 0x3c000000
	v_lshlrev_b32_sdwa v1, v1, v33 dst_sel:DWORD dst_unused:UNUSED_PAD src0_sel:DWORD src1_sel:WORD_1
	v_and_b32_e32 v1, 0x80000000, v1
	v_or3_b32 v123, v2, v1, v0
.LBB376_425:                            ;   in Loop: Header=BB376_16 Depth=1
	s_or_b32 exec_lo, exec_lo, s27
.LBB376_426:                            ;   in Loop: Header=BB376_16 Depth=1
	s_or_b32 exec_lo, exec_lo, s26
.LBB376_427:                            ;   in Loop: Header=BB376_16 Depth=1
	s_or_b32 exec_lo, exec_lo, s25
	s_mov_b32 s25, exec_lo
	v_cmpx_lt_u32_e32 0xffffff, v33
	s_cbranch_execz .LBB376_435
; %bb.428:                              ;   in Loop: Header=BB376_16 Depth=1
	v_cmp_ne_u32_sdwa s5, v33, v98 src0_sel:BYTE_3 src1_sel:DWORD
	v_bfrev_b32_e32 v124, 1
	s_and_saveexec_b32 s26, s5
	s_cbranch_execz .LBB376_434
; %bb.429:                              ;   in Loop: Header=BB376_16 Depth=1
	v_bfe_u32 v1, v33, 24, 7
	v_mov_b32_e32 v124, 0x7f800001
	s_mov_b32 s27, exec_lo
	v_cmpx_ne_u32_e32 0x7f, v1
	s_cbranch_execz .LBB376_433
; %bb.430:                              ;   in Loop: Header=BB376_16 Depth=1
	v_mov_b32_e32 v0, 7
	s_mov_b32 s28, exec_lo
	v_and_b32_sdwa v19, v33, v0 dst_sel:DWORD dst_unused:UNUSED_PAD src0_sel:BYTE_3 src1_sel:DWORD
	v_mov_b32_e32 v36, v20
	v_lshrrev_b32_e32 v0, 3, v1
	v_mov_b32_e32 v35, v19
	v_cmpx_gt_u32_e32 8, v1
; %bb.431:                              ;   in Loop: Header=BB376_16 Depth=1
	v_ffbh_u32_e32 v0, v19
	v_min_u32_e32 v0, 32, v0
	v_subrev_nc_u32_e32 v1, 28, v0
	v_sub_nc_u32_e32 v0, 29, v0
	v_lshlrev_b64 v[1:2], v1, v[19:20]
	v_and_b32_e32 v35, 7, v1
; %bb.432:                              ;   in Loop: Header=BB376_16 Depth=1
	s_or_b32 exec_lo, exec_lo, s28
	v_mov_b32_e32 v1, 24
	v_lshlrev_b32_e32 v2, 20, v35
	v_lshl_add_u32 v0, v0, 23, 0x3c000000
	v_lshlrev_b32_sdwa v1, v1, v33 dst_sel:DWORD dst_unused:UNUSED_PAD src0_sel:DWORD src1_sel:BYTE_3
	v_and_b32_e32 v1, 0x80000000, v1
	v_or3_b32 v124, v2, v1, v0
.LBB376_433:                            ;   in Loop: Header=BB376_16 Depth=1
	s_or_b32 exec_lo, exec_lo, s27
.LBB376_434:                            ;   in Loop: Header=BB376_16 Depth=1
	s_or_b32 exec_lo, exec_lo, s26
.LBB376_435:                            ;   in Loop: Header=BB376_16 Depth=1
	s_or_b32 exec_lo, exec_lo, s25
	v_mov_b32_e32 v19, v34
	v_cmp_ne_u16_sdwa s5, v34, v20 src0_sel:BYTE_0 src1_sel:DWORD
	v_mov_b32_e32 v126, 0
	v_mov_b32_e32 v125, 0
	s_and_saveexec_b32 s25, s5
	s_cbranch_execz .LBB376_443
; %bb.436:                              ;   in Loop: Header=BB376_16 Depth=1
	v_cmp_ne_u16_sdwa s5, v34, v98 src0_sel:BYTE_0 src1_sel:DWORD
	v_bfrev_b32_e32 v125, 1
	s_and_saveexec_b32 s26, s5
	s_cbranch_execz .LBB376_442
; %bb.437:                              ;   in Loop: Header=BB376_16 Depth=1
	v_and_b32_e32 v1, 0x7f, v34
	v_mov_b32_e32 v125, 0x7f800001
	s_mov_b32 s27, exec_lo
	v_cmpx_ne_u32_e32 0x7f, v1
	s_cbranch_execz .LBB376_441
; %bb.438:                              ;   in Loop: Header=BB376_16 Depth=1
	v_mov_b32_e32 v36, v20
	v_lshrrev_b32_e32 v0, 3, v1
	v_mov_b32_e32 v35, v19
	s_mov_b32 s28, exec_lo
	v_cmpx_gt_u32_e32 8, v1
; %bb.439:                              ;   in Loop: Header=BB376_16 Depth=1
	v_and_b32_e32 v0, 7, v34
	v_ffbh_u32_e32 v0, v0
	v_min_u32_e32 v0, 32, v0
	v_subrev_nc_u32_e32 v1, 28, v0
	v_sub_nc_u32_e32 v0, 29, v0
	v_lshlrev_b64 v[35:36], v1, v[19:20]
; %bb.440:                              ;   in Loop: Header=BB376_16 Depth=1
	s_or_b32 exec_lo, exec_lo, s28
	v_lshlrev_b32_e32 v1, 20, v35
	v_lshlrev_b32_e32 v2, 24, v19
	v_lshl_add_u32 v0, v0, 23, 0x3c000000
	v_and_b32_e32 v1, 0x700000, v1
	v_and_b32_e32 v2, 0x80000000, v2
	v_or3_b32 v125, v1, v2, v0
.LBB376_441:                            ;   in Loop: Header=BB376_16 Depth=1
	s_or_b32 exec_lo, exec_lo, s27
.LBB376_442:                            ;   in Loop: Header=BB376_16 Depth=1
	s_or_b32 exec_lo, exec_lo, s26
.LBB376_443:                            ;   in Loop: Header=BB376_16 Depth=1
	s_or_b32 exec_lo, exec_lo, s25
	v_cmp_ne_u16_sdwa s5, v19, v20 src0_sel:BYTE_1 src1_sel:DWORD
	s_and_saveexec_b32 s25, s5
	s_cbranch_execz .LBB376_451
; %bb.444:                              ;   in Loop: Header=BB376_16 Depth=1
	v_cmp_ne_u16_sdwa s5, v19, v98 src0_sel:BYTE_1 src1_sel:DWORD
	v_bfrev_b32_e32 v126, 1
	s_and_saveexec_b32 s26, s5
	s_cbranch_execz .LBB376_450
; %bb.445:                              ;   in Loop: Header=BB376_16 Depth=1
	v_mov_b32_e32 v0, 0xffff
	v_mov_b32_e32 v126, 0x7f800001
	s_mov_b32 s27, exec_lo
	v_and_b32_sdwa v0, v0, v19 dst_sel:DWORD dst_unused:UNUSED_PAD src0_sel:DWORD src1_sel:BYTE_1
	v_and_b32_e32 v1, 0x7f, v0
	v_cmpx_ne_u32_e32 0x7f, v1
	s_cbranch_execz .LBB376_449
; %bb.446:                              ;   in Loop: Header=BB376_16 Depth=1
	v_and_b32_e32 v35, 7, v0
	v_mov_b32_e32 v36, v20
	v_lshrrev_b32_e32 v0, 3, v1
	s_mov_b32 s28, exec_lo
	v_cmpx_gt_u32_e32 8, v1
; %bb.447:                              ;   in Loop: Header=BB376_16 Depth=1
	v_ffbh_u32_e32 v0, v35
	v_min_u32_e32 v0, 32, v0
	v_subrev_nc_u32_e32 v1, 28, v0
	v_sub_nc_u32_e32 v0, 29, v0
	v_lshlrev_b64 v[1:2], v1, v[35:36]
	v_and_b32_e32 v35, 7, v1
; %bb.448:                              ;   in Loop: Header=BB376_16 Depth=1
	s_or_b32 exec_lo, exec_lo, s28
	v_lshlrev_b32_e32 v1, 16, v19
	v_lshlrev_b32_e32 v2, 20, v35
	v_lshl_add_u32 v0, v0, 23, 0x3c000000
	v_and_b32_e32 v1, 0x80000000, v1
	v_or3_b32 v126, v2, v1, v0
.LBB376_449:                            ;   in Loop: Header=BB376_16 Depth=1
	s_or_b32 exec_lo, exec_lo, s27
.LBB376_450:                            ;   in Loop: Header=BB376_16 Depth=1
	s_or_b32 exec_lo, exec_lo, s26
.LBB376_451:                            ;   in Loop: Header=BB376_16 Depth=1
	s_or_b32 exec_lo, exec_lo, s25
	v_and_b32_sdwa v0, v34, v100 dst_sel:DWORD dst_unused:UNUSED_PAD src0_sel:WORD_1 src1_sel:DWORD
	v_mov_b32_e32 v127, 0
	v_mov_b32_e32 v23, 0
	s_mov_b32 s25, exec_lo
	v_cmpx_ne_u16_e32 0, v0
	s_cbranch_execz .LBB376_459
; %bb.452:                              ;   in Loop: Header=BB376_16 Depth=1
	v_bfrev_b32_e32 v23, 1
	s_mov_b32 s26, exec_lo
	v_cmpx_ne_u16_e32 0x80, v0
	s_cbranch_execz .LBB376_458
; %bb.453:                              ;   in Loop: Header=BB376_16 Depth=1
	v_bfe_u32 v1, v34, 16, 7
	v_mov_b32_e32 v23, 0x7f800001
	s_mov_b32 s27, exec_lo
	v_cmpx_ne_u32_e32 0x7f, v1
	s_cbranch_execz .LBB376_457
; %bb.454:                              ;   in Loop: Header=BB376_16 Depth=1
	v_mov_b32_e32 v0, 7
	s_mov_b32 s28, exec_lo
	v_and_b32_sdwa v19, v34, v0 dst_sel:DWORD dst_unused:UNUSED_PAD src0_sel:WORD_1 src1_sel:DWORD
	v_mov_b32_e32 v36, v20
	v_lshrrev_b32_e32 v0, 3, v1
	v_mov_b32_e32 v35, v19
	v_cmpx_gt_u32_e32 8, v1
; %bb.455:                              ;   in Loop: Header=BB376_16 Depth=1
	v_ffbh_u32_e32 v0, v19
	v_min_u32_e32 v0, 32, v0
	v_subrev_nc_u32_e32 v1, 28, v0
	v_sub_nc_u32_e32 v0, 29, v0
	v_lshlrev_b64 v[1:2], v1, v[19:20]
	v_and_b32_e32 v35, 7, v1
; %bb.456:                              ;   in Loop: Header=BB376_16 Depth=1
	s_or_b32 exec_lo, exec_lo, s28
	v_mov_b32_e32 v1, 24
	v_lshlrev_b32_e32 v2, 20, v35
	v_lshl_add_u32 v0, v0, 23, 0x3c000000
	v_lshlrev_b32_sdwa v1, v1, v34 dst_sel:DWORD dst_unused:UNUSED_PAD src0_sel:DWORD src1_sel:WORD_1
	v_and_b32_e32 v1, 0x80000000, v1
	v_or3_b32 v23, v2, v1, v0
.LBB376_457:                            ;   in Loop: Header=BB376_16 Depth=1
	s_or_b32 exec_lo, exec_lo, s27
.LBB376_458:                            ;   in Loop: Header=BB376_16 Depth=1
	s_or_b32 exec_lo, exec_lo, s26
.LBB376_459:                            ;   in Loop: Header=BB376_16 Depth=1
	s_or_b32 exec_lo, exec_lo, s25
	s_mov_b32 s25, exec_lo
	v_cmpx_lt_u64_e64 s[20:21], v[33:34]
	s_cbranch_execz .LBB376_467
; %bb.460:                              ;   in Loop: Header=BB376_16 Depth=1
	v_cmp_ne_u32_sdwa s5, v34, v98 src0_sel:BYTE_3 src1_sel:DWORD
	v_bfrev_b32_e32 v127, 1
	s_and_saveexec_b32 s26, s5
	s_cbranch_execz .LBB376_466
; %bb.461:                              ;   in Loop: Header=BB376_16 Depth=1
	v_bfe_u32 v1, v34, 24, 7
	v_mov_b32_e32 v127, 0x7f800001
	s_mov_b32 s27, exec_lo
	v_cmpx_ne_u32_e32 0x7f, v1
	s_cbranch_execz .LBB376_465
; %bb.462:                              ;   in Loop: Header=BB376_16 Depth=1
	v_mov_b32_e32 v0, 7
	s_mov_b32 s28, exec_lo
	v_and_b32_sdwa v19, v34, v0 dst_sel:DWORD dst_unused:UNUSED_PAD src0_sel:BYTE_3 src1_sel:DWORD
	v_mov_b32_e32 v36, v20
	v_lshrrev_b32_e32 v0, 3, v1
	v_mov_b32_e32 v35, v19
	v_cmpx_gt_u32_e32 8, v1
; %bb.463:                              ;   in Loop: Header=BB376_16 Depth=1
	v_ffbh_u32_e32 v0, v19
	v_min_u32_e32 v0, 32, v0
	v_subrev_nc_u32_e32 v1, 28, v0
	v_sub_nc_u32_e32 v0, 29, v0
	v_lshlrev_b64 v[1:2], v1, v[19:20]
	v_and_b32_e32 v35, 7, v1
; %bb.464:                              ;   in Loop: Header=BB376_16 Depth=1
	s_or_b32 exec_lo, exec_lo, s28
	v_mov_b32_e32 v1, 24
	v_lshlrev_b32_e32 v2, 20, v35
	v_lshl_add_u32 v0, v0, 23, 0x3c000000
	v_lshlrev_b32_sdwa v1, v1, v34 dst_sel:DWORD dst_unused:UNUSED_PAD src0_sel:DWORD src1_sel:BYTE_3
	v_and_b32_e32 v1, 0x80000000, v1
	v_or3_b32 v127, v2, v1, v0
.LBB376_465:                            ;   in Loop: Header=BB376_16 Depth=1
	s_or_b32 exec_lo, exec_lo, s27
.LBB376_466:                            ;   in Loop: Header=BB376_16 Depth=1
	s_or_b32 exec_lo, exec_lo, s26
.LBB376_467:                            ;   in Loop: Header=BB376_16 Depth=1
	s_or_b32 exec_lo, exec_lo, s25
	flat_load_dwordx2 v[33:34], v[31:32] offset:1544
	v_mov_b32_e32 v4, 0
	v_mov_b32_e32 v5, 0
	s_waitcnt vmcnt(0) lgkmcnt(0)
	v_cmp_ne_u16_sdwa s5, v33, v20 src0_sel:BYTE_0 src1_sel:DWORD
	s_and_saveexec_b32 s25, s5
	s_cbranch_execz .LBB376_475
; %bb.468:                              ;   in Loop: Header=BB376_16 Depth=1
	v_cmp_ne_u16_sdwa s5, v33, v98 src0_sel:BYTE_0 src1_sel:DWORD
	v_bfrev_b32_e32 v5, 1
	s_and_saveexec_b32 s26, s5
	s_cbranch_execz .LBB376_474
; %bb.469:                              ;   in Loop: Header=BB376_16 Depth=1
	v_and_b32_e32 v1, 0x7f, v33
	v_mov_b32_e32 v5, 0x7f800001
	s_mov_b32 s27, exec_lo
	v_cmpx_ne_u32_e32 0x7f, v1
	s_cbranch_execz .LBB376_473
; %bb.470:                              ;   in Loop: Header=BB376_16 Depth=1
	v_mov_b32_e32 v36, v34
	v_lshrrev_b32_e32 v0, 3, v1
	v_mov_b32_e32 v35, v33
	s_mov_b32 s28, exec_lo
	v_cmpx_gt_u32_e32 8, v1
; %bb.471:                              ;   in Loop: Header=BB376_16 Depth=1
	v_and_b32_e32 v0, 7, v33
	v_ffbh_u32_e32 v0, v0
	v_min_u32_e32 v0, 32, v0
	v_subrev_nc_u32_e32 v1, 28, v0
	v_sub_nc_u32_e32 v0, 29, v0
	v_lshlrev_b64 v[35:36], v1, v[33:34]
; %bb.472:                              ;   in Loop: Header=BB376_16 Depth=1
	s_or_b32 exec_lo, exec_lo, s28
	v_lshlrev_b32_e32 v1, 20, v35
	v_lshlrev_b32_e32 v2, 24, v33
	v_lshl_add_u32 v0, v0, 23, 0x3c000000
	v_and_b32_e32 v1, 0x700000, v1
	v_and_b32_e32 v2, 0x80000000, v2
	v_or3_b32 v5, v1, v2, v0
.LBB376_473:                            ;   in Loop: Header=BB376_16 Depth=1
	s_or_b32 exec_lo, exec_lo, s27
.LBB376_474:                            ;   in Loop: Header=BB376_16 Depth=1
	s_or_b32 exec_lo, exec_lo, s26
.LBB376_475:                            ;   in Loop: Header=BB376_16 Depth=1
	s_or_b32 exec_lo, exec_lo, s25
	v_cmp_ne_u16_sdwa s5, v33, v20 src0_sel:BYTE_1 src1_sel:DWORD
	s_and_saveexec_b32 s25, s5
	s_cbranch_execz .LBB376_483
; %bb.476:                              ;   in Loop: Header=BB376_16 Depth=1
	v_cmp_ne_u16_sdwa s5, v33, v98 src0_sel:BYTE_1 src1_sel:DWORD
	v_bfrev_b32_e32 v4, 1
	s_and_saveexec_b32 s26, s5
	s_cbranch_execz .LBB376_482
; %bb.477:                              ;   in Loop: Header=BB376_16 Depth=1
	v_mov_b32_e32 v0, 0xffff
	v_mov_b32_e32 v4, 0x7f800001
	s_mov_b32 s27, exec_lo
	v_and_b32_sdwa v0, v0, v33 dst_sel:DWORD dst_unused:UNUSED_PAD src0_sel:DWORD src1_sel:BYTE_1
	v_and_b32_e32 v1, 0x7f, v0
	v_cmpx_ne_u32_e32 0x7f, v1
	s_cbranch_execz .LBB376_481
; %bb.478:                              ;   in Loop: Header=BB376_16 Depth=1
	v_and_b32_e32 v19, 7, v0
	v_mov_b32_e32 v36, v20
	v_lshrrev_b32_e32 v0, 3, v1
	s_mov_b32 s28, exec_lo
	v_mov_b32_e32 v35, v19
	v_cmpx_gt_u32_e32 8, v1
; %bb.479:                              ;   in Loop: Header=BB376_16 Depth=1
	v_ffbh_u32_e32 v0, v19
	v_min_u32_e32 v0, 32, v0
	v_subrev_nc_u32_e32 v1, 28, v0
	v_sub_nc_u32_e32 v0, 29, v0
	v_lshlrev_b64 v[1:2], v1, v[19:20]
	v_and_b32_e32 v35, 7, v1
; %bb.480:                              ;   in Loop: Header=BB376_16 Depth=1
	s_or_b32 exec_lo, exec_lo, s28
	v_lshlrev_b32_e32 v1, 16, v33
	v_lshlrev_b32_e32 v2, 20, v35
	v_lshl_add_u32 v0, v0, 23, 0x3c000000
	v_and_b32_e32 v1, 0x80000000, v1
	v_or3_b32 v4, v2, v1, v0
.LBB376_481:                            ;   in Loop: Header=BB376_16 Depth=1
	s_or_b32 exec_lo, exec_lo, s27
.LBB376_482:                            ;   in Loop: Header=BB376_16 Depth=1
	s_or_b32 exec_lo, exec_lo, s26
.LBB376_483:                            ;   in Loop: Header=BB376_16 Depth=1
	s_or_b32 exec_lo, exec_lo, s25
	v_and_b32_sdwa v0, v33, v100 dst_sel:DWORD dst_unused:UNUSED_PAD src0_sel:WORD_1 src1_sel:DWORD
	v_mov_b32_e32 v39, 0
	v_mov_b32_e32 v64, 0
	s_mov_b32 s25, exec_lo
	v_cmpx_ne_u16_e32 0, v0
	s_cbranch_execz .LBB376_491
; %bb.484:                              ;   in Loop: Header=BB376_16 Depth=1
	v_bfrev_b32_e32 v64, 1
	s_mov_b32 s26, exec_lo
	v_cmpx_ne_u16_e32 0x80, v0
	s_cbranch_execz .LBB376_490
; %bb.485:                              ;   in Loop: Header=BB376_16 Depth=1
	v_bfe_u32 v1, v33, 16, 7
	v_mov_b32_e32 v64, 0x7f800001
	s_mov_b32 s27, exec_lo
	v_cmpx_ne_u32_e32 0x7f, v1
	s_cbranch_execz .LBB376_489
; %bb.486:                              ;   in Loop: Header=BB376_16 Depth=1
	v_mov_b32_e32 v0, 7
	s_mov_b32 s28, exec_lo
	v_and_b32_sdwa v19, v33, v0 dst_sel:DWORD dst_unused:UNUSED_PAD src0_sel:WORD_1 src1_sel:DWORD
	v_mov_b32_e32 v36, v20
	v_lshrrev_b32_e32 v0, 3, v1
	v_mov_b32_e32 v35, v19
	v_cmpx_gt_u32_e32 8, v1
; %bb.487:                              ;   in Loop: Header=BB376_16 Depth=1
	v_ffbh_u32_e32 v0, v19
	v_min_u32_e32 v0, 32, v0
	v_subrev_nc_u32_e32 v1, 28, v0
	v_sub_nc_u32_e32 v0, 29, v0
	v_lshlrev_b64 v[1:2], v1, v[19:20]
	v_and_b32_e32 v35, 7, v1
; %bb.488:                              ;   in Loop: Header=BB376_16 Depth=1
	s_or_b32 exec_lo, exec_lo, s28
	v_mov_b32_e32 v1, 24
	v_lshlrev_b32_e32 v2, 20, v35
	v_lshl_add_u32 v0, v0, 23, 0x3c000000
	v_lshlrev_b32_sdwa v1, v1, v33 dst_sel:DWORD dst_unused:UNUSED_PAD src0_sel:DWORD src1_sel:WORD_1
	v_and_b32_e32 v1, 0x80000000, v1
	v_or3_b32 v64, v2, v1, v0
.LBB376_489:                            ;   in Loop: Header=BB376_16 Depth=1
	s_or_b32 exec_lo, exec_lo, s27
.LBB376_490:                            ;   in Loop: Header=BB376_16 Depth=1
	s_or_b32 exec_lo, exec_lo, s26
.LBB376_491:                            ;   in Loop: Header=BB376_16 Depth=1
	s_or_b32 exec_lo, exec_lo, s25
	s_mov_b32 s25, exec_lo
	v_cmpx_lt_u32_e32 0xffffff, v33
	s_cbranch_execz .LBB376_499
; %bb.492:                              ;   in Loop: Header=BB376_16 Depth=1
	v_cmp_ne_u32_sdwa s5, v33, v98 src0_sel:BYTE_3 src1_sel:DWORD
	v_bfrev_b32_e32 v39, 1
	s_and_saveexec_b32 s26, s5
	s_cbranch_execz .LBB376_498
; %bb.493:                              ;   in Loop: Header=BB376_16 Depth=1
	v_bfe_u32 v1, v33, 24, 7
	v_mov_b32_e32 v39, 0x7f800001
	s_mov_b32 s27, exec_lo
	v_cmpx_ne_u32_e32 0x7f, v1
	s_cbranch_execz .LBB376_497
; %bb.494:                              ;   in Loop: Header=BB376_16 Depth=1
	v_mov_b32_e32 v0, 7
	s_mov_b32 s28, exec_lo
	v_and_b32_sdwa v19, v33, v0 dst_sel:DWORD dst_unused:UNUSED_PAD src0_sel:BYTE_3 src1_sel:DWORD
	v_mov_b32_e32 v36, v20
	v_lshrrev_b32_e32 v0, 3, v1
	v_mov_b32_e32 v35, v19
	v_cmpx_gt_u32_e32 8, v1
; %bb.495:                              ;   in Loop: Header=BB376_16 Depth=1
	v_ffbh_u32_e32 v0, v19
	v_min_u32_e32 v0, 32, v0
	v_subrev_nc_u32_e32 v1, 28, v0
	v_sub_nc_u32_e32 v0, 29, v0
	v_lshlrev_b64 v[1:2], v1, v[19:20]
	v_and_b32_e32 v35, 7, v1
; %bb.496:                              ;   in Loop: Header=BB376_16 Depth=1
	s_or_b32 exec_lo, exec_lo, s28
	v_mov_b32_e32 v1, 24
	v_lshlrev_b32_e32 v2, 20, v35
	v_lshl_add_u32 v0, v0, 23, 0x3c000000
	v_lshlrev_b32_sdwa v1, v1, v33 dst_sel:DWORD dst_unused:UNUSED_PAD src0_sel:DWORD src1_sel:BYTE_3
	v_and_b32_e32 v1, 0x80000000, v1
	v_or3_b32 v39, v2, v1, v0
.LBB376_497:                            ;   in Loop: Header=BB376_16 Depth=1
	s_or_b32 exec_lo, exec_lo, s27
.LBB376_498:                            ;   in Loop: Header=BB376_16 Depth=1
	s_or_b32 exec_lo, exec_lo, s26
.LBB376_499:                            ;   in Loop: Header=BB376_16 Depth=1
	s_or_b32 exec_lo, exec_lo, s25
	v_mov_b32_e32 v19, v34
	v_cmp_ne_u16_sdwa s5, v34, v20 src0_sel:BYTE_0 src1_sel:DWORD
	v_mov_b32_e32 v21, 0
	v_mov_b32_e32 v71, 0
	s_and_saveexec_b32 s25, s5
	s_cbranch_execz .LBB376_507
; %bb.500:                              ;   in Loop: Header=BB376_16 Depth=1
	v_cmp_ne_u16_sdwa s5, v34, v98 src0_sel:BYTE_0 src1_sel:DWORD
	v_bfrev_b32_e32 v71, 1
	s_and_saveexec_b32 s26, s5
	s_cbranch_execz .LBB376_506
; %bb.501:                              ;   in Loop: Header=BB376_16 Depth=1
	v_and_b32_e32 v1, 0x7f, v34
	v_mov_b32_e32 v71, 0x7f800001
	s_mov_b32 s27, exec_lo
	v_cmpx_ne_u32_e32 0x7f, v1
	s_cbranch_execz .LBB376_505
; %bb.502:                              ;   in Loop: Header=BB376_16 Depth=1
	v_mov_b32_e32 v36, v20
	v_lshrrev_b32_e32 v0, 3, v1
	v_mov_b32_e32 v35, v19
	s_mov_b32 s28, exec_lo
	v_cmpx_gt_u32_e32 8, v1
; %bb.503:                              ;   in Loop: Header=BB376_16 Depth=1
	v_and_b32_e32 v0, 7, v34
	v_ffbh_u32_e32 v0, v0
	v_min_u32_e32 v0, 32, v0
	v_subrev_nc_u32_e32 v1, 28, v0
	v_sub_nc_u32_e32 v0, 29, v0
	v_lshlrev_b64 v[35:36], v1, v[19:20]
; %bb.504:                              ;   in Loop: Header=BB376_16 Depth=1
	s_or_b32 exec_lo, exec_lo, s28
	v_lshlrev_b32_e32 v1, 20, v35
	v_lshlrev_b32_e32 v2, 24, v19
	v_lshl_add_u32 v0, v0, 23, 0x3c000000
	v_and_b32_e32 v1, 0x700000, v1
	v_and_b32_e32 v2, 0x80000000, v2
	v_or3_b32 v71, v1, v2, v0
.LBB376_505:                            ;   in Loop: Header=BB376_16 Depth=1
	s_or_b32 exec_lo, exec_lo, s27
.LBB376_506:                            ;   in Loop: Header=BB376_16 Depth=1
	s_or_b32 exec_lo, exec_lo, s26
.LBB376_507:                            ;   in Loop: Header=BB376_16 Depth=1
	s_or_b32 exec_lo, exec_lo, s25
	v_cmp_ne_u16_sdwa s5, v19, v20 src0_sel:BYTE_1 src1_sel:DWORD
	s_and_saveexec_b32 s25, s5
	s_cbranch_execz .LBB376_515
; %bb.508:                              ;   in Loop: Header=BB376_16 Depth=1
	v_cmp_ne_u16_sdwa s5, v19, v98 src0_sel:BYTE_1 src1_sel:DWORD
	v_bfrev_b32_e32 v21, 1
	s_and_saveexec_b32 s26, s5
	s_cbranch_execz .LBB376_514
; %bb.509:                              ;   in Loop: Header=BB376_16 Depth=1
	v_mov_b32_e32 v0, 0xffff
	v_mov_b32_e32 v21, 0x7f800001
	s_mov_b32 s27, exec_lo
	v_and_b32_sdwa v0, v0, v19 dst_sel:DWORD dst_unused:UNUSED_PAD src0_sel:DWORD src1_sel:BYTE_1
	v_and_b32_e32 v1, 0x7f, v0
	v_cmpx_ne_u32_e32 0x7f, v1
	s_cbranch_execz .LBB376_513
; %bb.510:                              ;   in Loop: Header=BB376_16 Depth=1
	v_and_b32_e32 v35, 7, v0
	v_mov_b32_e32 v36, v20
	v_lshrrev_b32_e32 v0, 3, v1
	s_mov_b32 s28, exec_lo
	v_cmpx_gt_u32_e32 8, v1
; %bb.511:                              ;   in Loop: Header=BB376_16 Depth=1
	v_ffbh_u32_e32 v0, v35
	v_min_u32_e32 v0, 32, v0
	v_subrev_nc_u32_e32 v1, 28, v0
	v_sub_nc_u32_e32 v0, 29, v0
	v_lshlrev_b64 v[1:2], v1, v[35:36]
	v_and_b32_e32 v35, 7, v1
; %bb.512:                              ;   in Loop: Header=BB376_16 Depth=1
	s_or_b32 exec_lo, exec_lo, s28
	v_lshlrev_b32_e32 v1, 16, v19
	v_lshlrev_b32_e32 v2, 20, v35
	v_lshl_add_u32 v0, v0, 23, 0x3c000000
	v_and_b32_e32 v1, 0x80000000, v1
	v_or3_b32 v21, v2, v1, v0
.LBB376_513:                            ;   in Loop: Header=BB376_16 Depth=1
	s_or_b32 exec_lo, exec_lo, s27
.LBB376_514:                            ;   in Loop: Header=BB376_16 Depth=1
	s_or_b32 exec_lo, exec_lo, s26
.LBB376_515:                            ;   in Loop: Header=BB376_16 Depth=1
	s_or_b32 exec_lo, exec_lo, s25
	v_and_b32_sdwa v0, v34, v100 dst_sel:DWORD dst_unused:UNUSED_PAD src0_sel:WORD_1 src1_sel:DWORD
	v_mov_b32_e32 v11, 0
	v_mov_b32_e32 v10, 0
	s_mov_b32 s25, exec_lo
	v_cmpx_ne_u16_e32 0, v0
	s_cbranch_execz .LBB376_523
; %bb.516:                              ;   in Loop: Header=BB376_16 Depth=1
	v_bfrev_b32_e32 v10, 1
	s_mov_b32 s26, exec_lo
	v_cmpx_ne_u16_e32 0x80, v0
	s_cbranch_execz .LBB376_522
; %bb.517:                              ;   in Loop: Header=BB376_16 Depth=1
	v_bfe_u32 v1, v34, 16, 7
	v_mov_b32_e32 v10, 0x7f800001
	s_mov_b32 s27, exec_lo
	v_cmpx_ne_u32_e32 0x7f, v1
	s_cbranch_execz .LBB376_521
; %bb.518:                              ;   in Loop: Header=BB376_16 Depth=1
	v_mov_b32_e32 v0, 7
	s_mov_b32 s28, exec_lo
	v_and_b32_sdwa v19, v34, v0 dst_sel:DWORD dst_unused:UNUSED_PAD src0_sel:WORD_1 src1_sel:DWORD
	v_mov_b32_e32 v36, v20
	v_lshrrev_b32_e32 v0, 3, v1
	v_mov_b32_e32 v35, v19
	v_cmpx_gt_u32_e32 8, v1
; %bb.519:                              ;   in Loop: Header=BB376_16 Depth=1
	v_ffbh_u32_e32 v0, v19
	v_min_u32_e32 v0, 32, v0
	v_subrev_nc_u32_e32 v1, 28, v0
	v_sub_nc_u32_e32 v0, 29, v0
	v_lshlrev_b64 v[1:2], v1, v[19:20]
	v_and_b32_e32 v35, 7, v1
; %bb.520:                              ;   in Loop: Header=BB376_16 Depth=1
	s_or_b32 exec_lo, exec_lo, s28
	v_mov_b32_e32 v1, 24
	v_lshlrev_b32_e32 v2, 20, v35
	v_lshl_add_u32 v0, v0, 23, 0x3c000000
	v_lshlrev_b32_sdwa v1, v1, v34 dst_sel:DWORD dst_unused:UNUSED_PAD src0_sel:DWORD src1_sel:WORD_1
	v_and_b32_e32 v1, 0x80000000, v1
	v_or3_b32 v10, v2, v1, v0
.LBB376_521:                            ;   in Loop: Header=BB376_16 Depth=1
	s_or_b32 exec_lo, exec_lo, s27
.LBB376_522:                            ;   in Loop: Header=BB376_16 Depth=1
	s_or_b32 exec_lo, exec_lo, s26
.LBB376_523:                            ;   in Loop: Header=BB376_16 Depth=1
	s_or_b32 exec_lo, exec_lo, s25
	s_mov_b32 s25, exec_lo
	v_cmpx_lt_u64_e64 s[20:21], v[33:34]
	s_cbranch_execz .LBB376_531
; %bb.524:                              ;   in Loop: Header=BB376_16 Depth=1
	v_cmp_ne_u32_sdwa s5, v34, v98 src0_sel:BYTE_3 src1_sel:DWORD
	v_bfrev_b32_e32 v11, 1
	s_and_saveexec_b32 s26, s5
	s_cbranch_execz .LBB376_530
; %bb.525:                              ;   in Loop: Header=BB376_16 Depth=1
	v_bfe_u32 v1, v34, 24, 7
	v_mov_b32_e32 v11, 0x7f800001
	s_mov_b32 s27, exec_lo
	v_cmpx_ne_u32_e32 0x7f, v1
	s_cbranch_execz .LBB376_529
; %bb.526:                              ;   in Loop: Header=BB376_16 Depth=1
	v_mov_b32_e32 v0, 7
	s_mov_b32 s28, exec_lo
	v_and_b32_sdwa v19, v34, v0 dst_sel:DWORD dst_unused:UNUSED_PAD src0_sel:BYTE_3 src1_sel:DWORD
	v_mov_b32_e32 v36, v20
	v_lshrrev_b32_e32 v0, 3, v1
	v_mov_b32_e32 v35, v19
	v_cmpx_gt_u32_e32 8, v1
; %bb.527:                              ;   in Loop: Header=BB376_16 Depth=1
	v_ffbh_u32_e32 v0, v19
	v_min_u32_e32 v0, 32, v0
	v_subrev_nc_u32_e32 v1, 28, v0
	v_sub_nc_u32_e32 v0, 29, v0
	v_lshlrev_b64 v[1:2], v1, v[19:20]
	v_and_b32_e32 v35, 7, v1
; %bb.528:                              ;   in Loop: Header=BB376_16 Depth=1
	s_or_b32 exec_lo, exec_lo, s28
	v_mov_b32_e32 v1, 24
	v_lshlrev_b32_e32 v2, 20, v35
	v_lshl_add_u32 v0, v0, 23, 0x3c000000
	v_lshlrev_b32_sdwa v1, v1, v34 dst_sel:DWORD dst_unused:UNUSED_PAD src0_sel:DWORD src1_sel:BYTE_3
	v_and_b32_e32 v1, 0x80000000, v1
	v_or3_b32 v11, v2, v1, v0
.LBB376_529:                            ;   in Loop: Header=BB376_16 Depth=1
	s_or_b32 exec_lo, exec_lo, s27
.LBB376_530:                            ;   in Loop: Header=BB376_16 Depth=1
	s_or_b32 exec_lo, exec_lo, s26
.LBB376_531:                            ;   in Loop: Header=BB376_16 Depth=1
	s_or_b32 exec_lo, exec_lo, s25
	v_add_co_u32 v31, s5, 0x800, v31
	v_add_co_ci_u32_e64 v32, null, 0, v32, s5
	v_mov_b32_e32 v0, 0
	v_mov_b32_e32 v1, 0
	flat_load_dwordx2 v[33:34], v[31:32]
	s_waitcnt vmcnt(0) lgkmcnt(0)
	v_cmp_ne_u16_sdwa s5, v33, v20 src0_sel:BYTE_0 src1_sel:DWORD
	s_and_saveexec_b32 s25, s5
	s_cbranch_execz .LBB376_539
; %bb.532:                              ;   in Loop: Header=BB376_16 Depth=1
	v_cmp_ne_u16_sdwa s5, v33, v98 src0_sel:BYTE_0 src1_sel:DWORD
	v_bfrev_b32_e32 v1, 1
	s_and_saveexec_b32 s26, s5
	s_cbranch_execz .LBB376_538
; %bb.533:                              ;   in Loop: Header=BB376_16 Depth=1
	v_and_b32_e32 v2, 0x7f, v33
	v_mov_b32_e32 v1, 0x7f800001
	s_mov_b32 s27, exec_lo
	v_cmpx_ne_u32_e32 0x7f, v2
	s_cbranch_execz .LBB376_537
; %bb.534:                              ;   in Loop: Header=BB376_16 Depth=1
	v_mov_b32_e32 v36, v34
	v_lshrrev_b32_e32 v1, 3, v2
	v_mov_b32_e32 v35, v33
	s_mov_b32 s28, exec_lo
	v_cmpx_gt_u32_e32 8, v2
; %bb.535:                              ;   in Loop: Header=BB376_16 Depth=1
	v_and_b32_e32 v1, 7, v33
	v_ffbh_u32_e32 v1, v1
	v_min_u32_e32 v1, 32, v1
	v_subrev_nc_u32_e32 v2, 28, v1
	v_sub_nc_u32_e32 v1, 29, v1
	v_lshlrev_b64 v[35:36], v2, v[33:34]
; %bb.536:                              ;   in Loop: Header=BB376_16 Depth=1
	s_or_b32 exec_lo, exec_lo, s28
	v_lshlrev_b32_e32 v2, 20, v35
	v_lshlrev_b32_e32 v3, 24, v33
	v_lshl_add_u32 v1, v1, 23, 0x3c000000
	v_and_b32_e32 v2, 0x700000, v2
	v_and_b32_e32 v3, 0x80000000, v3
	v_or3_b32 v1, v2, v3, v1
.LBB376_537:                            ;   in Loop: Header=BB376_16 Depth=1
	s_or_b32 exec_lo, exec_lo, s27
.LBB376_538:                            ;   in Loop: Header=BB376_16 Depth=1
	s_or_b32 exec_lo, exec_lo, s26
.LBB376_539:                            ;   in Loop: Header=BB376_16 Depth=1
	s_or_b32 exec_lo, exec_lo, s25
	v_cmp_ne_u16_sdwa s5, v33, v20 src0_sel:BYTE_1 src1_sel:DWORD
	s_and_saveexec_b32 s25, s5
	s_cbranch_execz .LBB376_547
; %bb.540:                              ;   in Loop: Header=BB376_16 Depth=1
	v_cmp_ne_u16_sdwa s5, v33, v98 src0_sel:BYTE_1 src1_sel:DWORD
	v_bfrev_b32_e32 v0, 1
	s_and_saveexec_b32 s26, s5
	s_cbranch_execz .LBB376_546
; %bb.541:                              ;   in Loop: Header=BB376_16 Depth=1
	v_mov_b32_e32 v0, 0xffff
	s_mov_b32 s27, exec_lo
	v_and_b32_sdwa v3, v0, v33 dst_sel:DWORD dst_unused:UNUSED_PAD src0_sel:DWORD src1_sel:BYTE_1
	v_mov_b32_e32 v0, 0x7f800001
	v_and_b32_e32 v2, 0x7f, v3
	v_cmpx_ne_u32_e32 0x7f, v2
	s_cbranch_execz .LBB376_545
; %bb.542:                              ;   in Loop: Header=BB376_16 Depth=1
	v_and_b32_e32 v19, 7, v3
	v_mov_b32_e32 v36, v20
	v_lshrrev_b32_e32 v0, 3, v2
	s_mov_b32 s28, exec_lo
	v_mov_b32_e32 v35, v19
	v_cmpx_gt_u32_e32 8, v2
; %bb.543:                              ;   in Loop: Header=BB376_16 Depth=1
	v_ffbh_u32_e32 v0, v19
	v_min_u32_e32 v0, 32, v0
	v_subrev_nc_u32_e32 v2, 28, v0
	v_sub_nc_u32_e32 v0, 29, v0
	v_lshlrev_b64 v[2:3], v2, v[19:20]
	v_and_b32_e32 v35, 7, v2
; %bb.544:                              ;   in Loop: Header=BB376_16 Depth=1
	s_or_b32 exec_lo, exec_lo, s28
	v_lshlrev_b32_e32 v2, 16, v33
	v_lshlrev_b32_e32 v3, 20, v35
	v_lshl_add_u32 v0, v0, 23, 0x3c000000
	v_and_b32_e32 v2, 0x80000000, v2
	v_or3_b32 v0, v3, v2, v0
.LBB376_545:                            ;   in Loop: Header=BB376_16 Depth=1
	s_or_b32 exec_lo, exec_lo, s27
.LBB376_546:                            ;   in Loop: Header=BB376_16 Depth=1
	s_or_b32 exec_lo, exec_lo, s26
.LBB376_547:                            ;   in Loop: Header=BB376_16 Depth=1
	s_or_b32 exec_lo, exec_lo, s25
	v_and_b32_sdwa v6, v33, v100 dst_sel:DWORD dst_unused:UNUSED_PAD src0_sel:WORD_1 src1_sel:DWORD
	v_mov_b32_e32 v2, 0
	v_mov_b32_e32 v3, 0
	s_mov_b32 s25, exec_lo
	v_cmpx_ne_u16_e32 0, v6
	s_cbranch_execz .LBB376_555
; %bb.548:                              ;   in Loop: Header=BB376_16 Depth=1
	v_bfrev_b32_e32 v3, 1
	s_mov_b32 s26, exec_lo
	v_cmpx_ne_u16_e32 0x80, v6
	s_cbranch_execz .LBB376_554
; %bb.549:                              ;   in Loop: Header=BB376_16 Depth=1
	v_bfe_u32 v6, v33, 16, 7
	v_mov_b32_e32 v3, 0x7f800001
	s_mov_b32 s27, exec_lo
	v_cmpx_ne_u32_e32 0x7f, v6
	s_cbranch_execz .LBB376_553
; %bb.550:                              ;   in Loop: Header=BB376_16 Depth=1
	v_mov_b32_e32 v3, 7
	s_mov_b32 s28, exec_lo
	v_and_b32_sdwa v19, v33, v3 dst_sel:DWORD dst_unused:UNUSED_PAD src0_sel:WORD_1 src1_sel:DWORD
	v_mov_b32_e32 v36, v20
	v_lshrrev_b32_e32 v3, 3, v6
	v_mov_b32_e32 v35, v19
	v_cmpx_gt_u32_e32 8, v6
; %bb.551:                              ;   in Loop: Header=BB376_16 Depth=1
	v_ffbh_u32_e32 v3, v19
	v_min_u32_e32 v3, 32, v3
	v_subrev_nc_u32_e32 v6, 28, v3
	v_sub_nc_u32_e32 v3, 29, v3
	v_lshlrev_b64 v[6:7], v6, v[19:20]
	v_and_b32_e32 v35, 7, v6
; %bb.552:                              ;   in Loop: Header=BB376_16 Depth=1
	s_or_b32 exec_lo, exec_lo, s28
	v_mov_b32_e32 v6, 24
	v_lshlrev_b32_e32 v7, 20, v35
	v_lshl_add_u32 v3, v3, 23, 0x3c000000
	v_lshlrev_b32_sdwa v6, v6, v33 dst_sel:DWORD dst_unused:UNUSED_PAD src0_sel:DWORD src1_sel:WORD_1
	v_and_b32_e32 v6, 0x80000000, v6
	v_or3_b32 v3, v7, v6, v3
.LBB376_553:                            ;   in Loop: Header=BB376_16 Depth=1
	s_or_b32 exec_lo, exec_lo, s27
.LBB376_554:                            ;   in Loop: Header=BB376_16 Depth=1
	s_or_b32 exec_lo, exec_lo, s26
.LBB376_555:                            ;   in Loop: Header=BB376_16 Depth=1
	s_or_b32 exec_lo, exec_lo, s25
	s_mov_b32 s25, exec_lo
	v_cmpx_lt_u32_e32 0xffffff, v33
	s_cbranch_execz .LBB376_563
; %bb.556:                              ;   in Loop: Header=BB376_16 Depth=1
	v_cmp_ne_u32_sdwa s5, v33, v98 src0_sel:BYTE_3 src1_sel:DWORD
	v_bfrev_b32_e32 v2, 1
	s_and_saveexec_b32 s26, s5
	s_cbranch_execz .LBB376_562
; %bb.557:                              ;   in Loop: Header=BB376_16 Depth=1
	v_bfe_u32 v6, v33, 24, 7
	v_mov_b32_e32 v2, 0x7f800001
	s_mov_b32 s27, exec_lo
	v_cmpx_ne_u32_e32 0x7f, v6
	s_cbranch_execz .LBB376_561
; %bb.558:                              ;   in Loop: Header=BB376_16 Depth=1
	v_mov_b32_e32 v2, 7
	s_mov_b32 s28, exec_lo
	v_and_b32_sdwa v19, v33, v2 dst_sel:DWORD dst_unused:UNUSED_PAD src0_sel:BYTE_3 src1_sel:DWORD
	v_mov_b32_e32 v36, v20
	v_lshrrev_b32_e32 v2, 3, v6
	v_mov_b32_e32 v35, v19
	v_cmpx_gt_u32_e32 8, v6
; %bb.559:                              ;   in Loop: Header=BB376_16 Depth=1
	v_ffbh_u32_e32 v2, v19
	v_min_u32_e32 v2, 32, v2
	v_subrev_nc_u32_e32 v6, 28, v2
	v_sub_nc_u32_e32 v2, 29, v2
	v_lshlrev_b64 v[6:7], v6, v[19:20]
	v_and_b32_e32 v35, 7, v6
; %bb.560:                              ;   in Loop: Header=BB376_16 Depth=1
	s_or_b32 exec_lo, exec_lo, s28
	v_mov_b32_e32 v6, 24
	v_lshlrev_b32_e32 v7, 20, v35
	v_lshl_add_u32 v2, v2, 23, 0x3c000000
	v_lshlrev_b32_sdwa v6, v6, v33 dst_sel:DWORD dst_unused:UNUSED_PAD src0_sel:DWORD src1_sel:BYTE_3
	v_and_b32_e32 v6, 0x80000000, v6
	v_or3_b32 v2, v7, v6, v2
.LBB376_561:                            ;   in Loop: Header=BB376_16 Depth=1
	s_or_b32 exec_lo, exec_lo, s27
.LBB376_562:                            ;   in Loop: Header=BB376_16 Depth=1
	s_or_b32 exec_lo, exec_lo, s26
.LBB376_563:                            ;   in Loop: Header=BB376_16 Depth=1
	s_or_b32 exec_lo, exec_lo, s25
	v_mov_b32_e32 v19, v34
	v_cmp_ne_u16_sdwa s5, v34, v20 src0_sel:BYTE_0 src1_sel:DWORD
	v_mov_b32_e32 v50, 0
	v_mov_b32_e32 v16, 0
	s_and_saveexec_b32 s25, s5
	s_cbranch_execz .LBB376_571
; %bb.564:                              ;   in Loop: Header=BB376_16 Depth=1
	v_cmp_ne_u16_sdwa s5, v34, v98 src0_sel:BYTE_0 src1_sel:DWORD
	v_bfrev_b32_e32 v16, 1
	s_and_saveexec_b32 s26, s5
	s_cbranch_execz .LBB376_570
; %bb.565:                              ;   in Loop: Header=BB376_16 Depth=1
	v_and_b32_e32 v7, 0x7f, v34
	v_mov_b32_e32 v16, 0x7f800001
	s_mov_b32 s27, exec_lo
	v_cmpx_ne_u32_e32 0x7f, v7
	s_cbranch_execz .LBB376_569
; %bb.566:                              ;   in Loop: Header=BB376_16 Depth=1
	v_mov_b32_e32 v36, v20
	v_lshrrev_b32_e32 v6, 3, v7
	v_mov_b32_e32 v35, v19
	s_mov_b32 s28, exec_lo
	v_cmpx_gt_u32_e32 8, v7
; %bb.567:                              ;   in Loop: Header=BB376_16 Depth=1
	v_and_b32_e32 v6, 7, v34
	v_ffbh_u32_e32 v6, v6
	v_min_u32_e32 v6, 32, v6
	v_subrev_nc_u32_e32 v7, 28, v6
	v_sub_nc_u32_e32 v6, 29, v6
	v_lshlrev_b64 v[35:36], v7, v[19:20]
; %bb.568:                              ;   in Loop: Header=BB376_16 Depth=1
	s_or_b32 exec_lo, exec_lo, s28
	v_lshlrev_b32_e32 v7, 20, v35
	v_lshlrev_b32_e32 v8, 24, v19
	v_lshl_add_u32 v6, v6, 23, 0x3c000000
	v_and_b32_e32 v7, 0x700000, v7
	v_and_b32_e32 v8, 0x80000000, v8
	v_or3_b32 v16, v7, v8, v6
.LBB376_569:                            ;   in Loop: Header=BB376_16 Depth=1
	s_or_b32 exec_lo, exec_lo, s27
.LBB376_570:                            ;   in Loop: Header=BB376_16 Depth=1
	s_or_b32 exec_lo, exec_lo, s26
.LBB376_571:                            ;   in Loop: Header=BB376_16 Depth=1
	s_or_b32 exec_lo, exec_lo, s25
	v_cmp_ne_u16_sdwa s5, v19, v20 src0_sel:BYTE_1 src1_sel:DWORD
	s_and_saveexec_b32 s25, s5
	s_cbranch_execz .LBB376_579
; %bb.572:                              ;   in Loop: Header=BB376_16 Depth=1
	v_cmp_ne_u16_sdwa s5, v19, v98 src0_sel:BYTE_1 src1_sel:DWORD
	v_bfrev_b32_e32 v50, 1
	s_and_saveexec_b32 s26, s5
	s_cbranch_execz .LBB376_578
; %bb.573:                              ;   in Loop: Header=BB376_16 Depth=1
	v_mov_b32_e32 v6, 0xffff
	v_mov_b32_e32 v50, 0x7f800001
	s_mov_b32 s27, exec_lo
	v_and_b32_sdwa v6, v6, v19 dst_sel:DWORD dst_unused:UNUSED_PAD src0_sel:DWORD src1_sel:BYTE_1
	v_and_b32_e32 v7, 0x7f, v6
	v_cmpx_ne_u32_e32 0x7f, v7
	s_cbranch_execz .LBB376_577
; %bb.574:                              ;   in Loop: Header=BB376_16 Depth=1
	v_and_b32_e32 v35, 7, v6
	v_mov_b32_e32 v36, v20
	v_lshrrev_b32_e32 v6, 3, v7
	s_mov_b32 s28, exec_lo
	v_cmpx_gt_u32_e32 8, v7
; %bb.575:                              ;   in Loop: Header=BB376_16 Depth=1
	v_ffbh_u32_e32 v6, v35
	v_min_u32_e32 v6, 32, v6
	v_subrev_nc_u32_e32 v7, 28, v6
	v_sub_nc_u32_e32 v6, 29, v6
	v_lshlrev_b64 v[7:8], v7, v[35:36]
	v_and_b32_e32 v35, 7, v7
; %bb.576:                              ;   in Loop: Header=BB376_16 Depth=1
	s_or_b32 exec_lo, exec_lo, s28
	v_lshlrev_b32_e32 v7, 16, v19
	v_lshlrev_b32_e32 v8, 20, v35
	v_lshl_add_u32 v6, v6, 23, 0x3c000000
	v_and_b32_e32 v7, 0x80000000, v7
	v_or3_b32 v50, v8, v7, v6
.LBB376_577:                            ;   in Loop: Header=BB376_16 Depth=1
	s_or_b32 exec_lo, exec_lo, s27
.LBB376_578:                            ;   in Loop: Header=BB376_16 Depth=1
	s_or_b32 exec_lo, exec_lo, s26
.LBB376_579:                            ;   in Loop: Header=BB376_16 Depth=1
	s_or_b32 exec_lo, exec_lo, s25
	v_and_b32_sdwa v6, v34, v100 dst_sel:DWORD dst_unused:UNUSED_PAD src0_sel:WORD_1 src1_sel:DWORD
	v_mov_b32_e32 v51, 0
	v_mov_b32_e32 v54, 0
	s_mov_b32 s25, exec_lo
	v_cmpx_ne_u16_e32 0, v6
	s_cbranch_execz .LBB376_587
; %bb.580:                              ;   in Loop: Header=BB376_16 Depth=1
	v_bfrev_b32_e32 v54, 1
	s_mov_b32 s26, exec_lo
	v_cmpx_ne_u16_e32 0x80, v6
	s_cbranch_execz .LBB376_586
; %bb.581:                              ;   in Loop: Header=BB376_16 Depth=1
	v_bfe_u32 v7, v34, 16, 7
	v_mov_b32_e32 v54, 0x7f800001
	s_mov_b32 s27, exec_lo
	v_cmpx_ne_u32_e32 0x7f, v7
	s_cbranch_execz .LBB376_585
; %bb.582:                              ;   in Loop: Header=BB376_16 Depth=1
	v_mov_b32_e32 v6, 7
	s_mov_b32 s28, exec_lo
	v_and_b32_sdwa v19, v34, v6 dst_sel:DWORD dst_unused:UNUSED_PAD src0_sel:WORD_1 src1_sel:DWORD
	v_mov_b32_e32 v36, v20
	v_lshrrev_b32_e32 v6, 3, v7
	v_mov_b32_e32 v35, v19
	v_cmpx_gt_u32_e32 8, v7
; %bb.583:                              ;   in Loop: Header=BB376_16 Depth=1
	v_ffbh_u32_e32 v6, v19
	v_min_u32_e32 v6, 32, v6
	v_subrev_nc_u32_e32 v7, 28, v6
	v_sub_nc_u32_e32 v6, 29, v6
	v_lshlrev_b64 v[7:8], v7, v[19:20]
	v_and_b32_e32 v35, 7, v7
; %bb.584:                              ;   in Loop: Header=BB376_16 Depth=1
	s_or_b32 exec_lo, exec_lo, s28
	v_mov_b32_e32 v7, 24
	v_lshlrev_b32_e32 v8, 20, v35
	v_lshl_add_u32 v6, v6, 23, 0x3c000000
	v_lshlrev_b32_sdwa v7, v7, v34 dst_sel:DWORD dst_unused:UNUSED_PAD src0_sel:DWORD src1_sel:WORD_1
	v_and_b32_e32 v7, 0x80000000, v7
	v_or3_b32 v54, v8, v7, v6
.LBB376_585:                            ;   in Loop: Header=BB376_16 Depth=1
	s_or_b32 exec_lo, exec_lo, s27
.LBB376_586:                            ;   in Loop: Header=BB376_16 Depth=1
	s_or_b32 exec_lo, exec_lo, s26
.LBB376_587:                            ;   in Loop: Header=BB376_16 Depth=1
	s_or_b32 exec_lo, exec_lo, s25
	s_mov_b32 s25, exec_lo
	v_cmpx_lt_u64_e64 s[20:21], v[33:34]
	s_cbranch_execz .LBB376_595
; %bb.588:                              ;   in Loop: Header=BB376_16 Depth=1
	v_cmp_ne_u32_sdwa s5, v34, v98 src0_sel:BYTE_3 src1_sel:DWORD
	v_bfrev_b32_e32 v51, 1
	s_and_saveexec_b32 s26, s5
	s_cbranch_execz .LBB376_594
; %bb.589:                              ;   in Loop: Header=BB376_16 Depth=1
	v_bfe_u32 v7, v34, 24, 7
	v_mov_b32_e32 v51, 0x7f800001
	s_mov_b32 s27, exec_lo
	v_cmpx_ne_u32_e32 0x7f, v7
	s_cbranch_execz .LBB376_593
; %bb.590:                              ;   in Loop: Header=BB376_16 Depth=1
	v_mov_b32_e32 v6, 7
	s_mov_b32 s28, exec_lo
	v_and_b32_sdwa v19, v34, v6 dst_sel:DWORD dst_unused:UNUSED_PAD src0_sel:BYTE_3 src1_sel:DWORD
	v_mov_b32_e32 v36, v20
	v_lshrrev_b32_e32 v6, 3, v7
	v_mov_b32_e32 v35, v19
	v_cmpx_gt_u32_e32 8, v7
; %bb.591:                              ;   in Loop: Header=BB376_16 Depth=1
	v_ffbh_u32_e32 v6, v19
	v_min_u32_e32 v6, 32, v6
	v_subrev_nc_u32_e32 v7, 28, v6
	v_sub_nc_u32_e32 v6, 29, v6
	v_lshlrev_b64 v[7:8], v7, v[19:20]
	v_and_b32_e32 v35, 7, v7
; %bb.592:                              ;   in Loop: Header=BB376_16 Depth=1
	s_or_b32 exec_lo, exec_lo, s28
	v_mov_b32_e32 v7, 24
	v_lshlrev_b32_e32 v8, 20, v35
	v_lshl_add_u32 v6, v6, 23, 0x3c000000
	v_lshlrev_b32_sdwa v7, v7, v34 dst_sel:DWORD dst_unused:UNUSED_PAD src0_sel:DWORD src1_sel:BYTE_3
	v_and_b32_e32 v7, 0x80000000, v7
	v_or3_b32 v51, v8, v7, v6
.LBB376_593:                            ;   in Loop: Header=BB376_16 Depth=1
	s_or_b32 exec_lo, exec_lo, s27
.LBB376_594:                            ;   in Loop: Header=BB376_16 Depth=1
	s_or_b32 exec_lo, exec_lo, s26
.LBB376_595:                            ;   in Loop: Header=BB376_16 Depth=1
	s_or_b32 exec_lo, exec_lo, s25
	flat_load_dwordx2 v[33:34], v[31:32] offset:8
	v_mov_b32_e32 v6, 0
	v_mov_b32_e32 v48, 0
	s_waitcnt vmcnt(0) lgkmcnt(0)
	v_cmp_ne_u16_sdwa s5, v33, v20 src0_sel:BYTE_0 src1_sel:DWORD
	s_and_saveexec_b32 s25, s5
	s_cbranch_execz .LBB376_603
; %bb.596:                              ;   in Loop: Header=BB376_16 Depth=1
	v_cmp_ne_u16_sdwa s5, v33, v98 src0_sel:BYTE_0 src1_sel:DWORD
	v_bfrev_b32_e32 v48, 1
	s_and_saveexec_b32 s26, s5
	s_cbranch_execz .LBB376_602
; %bb.597:                              ;   in Loop: Header=BB376_16 Depth=1
	v_and_b32_e32 v8, 0x7f, v33
	v_mov_b32_e32 v48, 0x7f800001
	s_mov_b32 s27, exec_lo
	v_cmpx_ne_u32_e32 0x7f, v8
	s_cbranch_execz .LBB376_601
; %bb.598:                              ;   in Loop: Header=BB376_16 Depth=1
	v_mov_b32_e32 v36, v34
	v_lshrrev_b32_e32 v7, 3, v8
	v_mov_b32_e32 v35, v33
	s_mov_b32 s28, exec_lo
	v_cmpx_gt_u32_e32 8, v8
; %bb.599:                              ;   in Loop: Header=BB376_16 Depth=1
	v_and_b32_e32 v7, 7, v33
	v_ffbh_u32_e32 v7, v7
	v_min_u32_e32 v7, 32, v7
	v_subrev_nc_u32_e32 v8, 28, v7
	v_sub_nc_u32_e32 v7, 29, v7
	v_lshlrev_b64 v[35:36], v8, v[33:34]
; %bb.600:                              ;   in Loop: Header=BB376_16 Depth=1
	s_or_b32 exec_lo, exec_lo, s28
	v_lshlrev_b32_e32 v8, 20, v35
	v_lshlrev_b32_e32 v9, 24, v33
	v_lshl_add_u32 v7, v7, 23, 0x3c000000
	v_and_b32_e32 v8, 0x700000, v8
	v_and_b32_e32 v9, 0x80000000, v9
	v_or3_b32 v48, v8, v9, v7
.LBB376_601:                            ;   in Loop: Header=BB376_16 Depth=1
	s_or_b32 exec_lo, exec_lo, s27
.LBB376_602:                            ;   in Loop: Header=BB376_16 Depth=1
	s_or_b32 exec_lo, exec_lo, s26
.LBB376_603:                            ;   in Loop: Header=BB376_16 Depth=1
	s_or_b32 exec_lo, exec_lo, s25
	v_cmp_ne_u16_sdwa s5, v33, v20 src0_sel:BYTE_1 src1_sel:DWORD
	s_and_saveexec_b32 s25, s5
	s_cbranch_execz .LBB376_611
; %bb.604:                              ;   in Loop: Header=BB376_16 Depth=1
	v_cmp_ne_u16_sdwa s5, v33, v98 src0_sel:BYTE_1 src1_sel:DWORD
	v_bfrev_b32_e32 v6, 1
	s_and_saveexec_b32 s26, s5
	s_cbranch_execz .LBB376_610
; %bb.605:                              ;   in Loop: Header=BB376_16 Depth=1
	v_mov_b32_e32 v6, 0xffff
	s_mov_b32 s27, exec_lo
	v_and_b32_sdwa v8, v6, v33 dst_sel:DWORD dst_unused:UNUSED_PAD src0_sel:DWORD src1_sel:BYTE_1
	v_mov_b32_e32 v6, 0x7f800001
	v_and_b32_e32 v7, 0x7f, v8
	v_cmpx_ne_u32_e32 0x7f, v7
	s_cbranch_execz .LBB376_609
; %bb.606:                              ;   in Loop: Header=BB376_16 Depth=1
	v_and_b32_e32 v19, 7, v8
	v_mov_b32_e32 v36, v20
	v_lshrrev_b32_e32 v6, 3, v7
	s_mov_b32 s28, exec_lo
	v_mov_b32_e32 v35, v19
	v_cmpx_gt_u32_e32 8, v7
; %bb.607:                              ;   in Loop: Header=BB376_16 Depth=1
	v_ffbh_u32_e32 v6, v19
	v_min_u32_e32 v6, 32, v6
	v_subrev_nc_u32_e32 v7, 28, v6
	v_sub_nc_u32_e32 v6, 29, v6
	v_lshlrev_b64 v[7:8], v7, v[19:20]
	v_and_b32_e32 v35, 7, v7
; %bb.608:                              ;   in Loop: Header=BB376_16 Depth=1
	s_or_b32 exec_lo, exec_lo, s28
	v_lshlrev_b32_e32 v7, 16, v33
	v_lshlrev_b32_e32 v8, 20, v35
	v_lshl_add_u32 v6, v6, 23, 0x3c000000
	v_and_b32_e32 v7, 0x80000000, v7
	v_or3_b32 v6, v8, v7, v6
.LBB376_609:                            ;   in Loop: Header=BB376_16 Depth=1
	s_or_b32 exec_lo, exec_lo, s27
.LBB376_610:                            ;   in Loop: Header=BB376_16 Depth=1
	s_or_b32 exec_lo, exec_lo, s26
.LBB376_611:                            ;   in Loop: Header=BB376_16 Depth=1
	s_or_b32 exec_lo, exec_lo, s25
	v_and_b32_sdwa v8, v33, v100 dst_sel:DWORD dst_unused:UNUSED_PAD src0_sel:WORD_1 src1_sel:DWORD
	v_mov_b32_e32 v14, 0
	v_mov_b32_e32 v7, 0
	s_mov_b32 s25, exec_lo
	v_cmpx_ne_u16_e32 0, v8
	s_cbranch_execz .LBB376_619
; %bb.612:                              ;   in Loop: Header=BB376_16 Depth=1
	v_bfrev_b32_e32 v7, 1
	s_mov_b32 s26, exec_lo
	v_cmpx_ne_u16_e32 0x80, v8
	s_cbranch_execz .LBB376_618
; %bb.613:                              ;   in Loop: Header=BB376_16 Depth=1
	v_bfe_u32 v8, v33, 16, 7
	v_mov_b32_e32 v7, 0x7f800001
	s_mov_b32 s27, exec_lo
	v_cmpx_ne_u32_e32 0x7f, v8
	s_cbranch_execz .LBB376_617
; %bb.614:                              ;   in Loop: Header=BB376_16 Depth=1
	v_mov_b32_e32 v7, 7
	s_mov_b32 s28, exec_lo
	v_and_b32_sdwa v19, v33, v7 dst_sel:DWORD dst_unused:UNUSED_PAD src0_sel:WORD_1 src1_sel:DWORD
	v_mov_b32_e32 v36, v20
	v_lshrrev_b32_e32 v7, 3, v8
	v_mov_b32_e32 v35, v19
	v_cmpx_gt_u32_e32 8, v8
; %bb.615:                              ;   in Loop: Header=BB376_16 Depth=1
	v_ffbh_u32_e32 v7, v19
	v_min_u32_e32 v7, 32, v7
	v_subrev_nc_u32_e32 v8, 28, v7
	v_sub_nc_u32_e32 v7, 29, v7
	v_lshlrev_b64 v[8:9], v8, v[19:20]
	v_and_b32_e32 v35, 7, v8
; %bb.616:                              ;   in Loop: Header=BB376_16 Depth=1
	s_or_b32 exec_lo, exec_lo, s28
	v_mov_b32_e32 v8, 24
	v_lshlrev_b32_e32 v9, 20, v35
	v_lshl_add_u32 v7, v7, 23, 0x3c000000
	v_lshlrev_b32_sdwa v8, v8, v33 dst_sel:DWORD dst_unused:UNUSED_PAD src0_sel:DWORD src1_sel:WORD_1
	v_and_b32_e32 v8, 0x80000000, v8
	v_or3_b32 v7, v9, v8, v7
.LBB376_617:                            ;   in Loop: Header=BB376_16 Depth=1
	s_or_b32 exec_lo, exec_lo, s27
.LBB376_618:                            ;   in Loop: Header=BB376_16 Depth=1
	s_or_b32 exec_lo, exec_lo, s26
.LBB376_619:                            ;   in Loop: Header=BB376_16 Depth=1
	s_or_b32 exec_lo, exec_lo, s25
	s_mov_b32 s25, exec_lo
	v_cmpx_lt_u32_e32 0xffffff, v33
	s_cbranch_execz .LBB376_627
; %bb.620:                              ;   in Loop: Header=BB376_16 Depth=1
	v_cmp_ne_u32_sdwa s5, v33, v98 src0_sel:BYTE_3 src1_sel:DWORD
	v_bfrev_b32_e32 v14, 1
	s_and_saveexec_b32 s26, s5
	s_cbranch_execz .LBB376_626
; %bb.621:                              ;   in Loop: Header=BB376_16 Depth=1
	v_bfe_u32 v9, v33, 24, 7
	v_mov_b32_e32 v14, 0x7f800001
	s_mov_b32 s27, exec_lo
	v_cmpx_ne_u32_e32 0x7f, v9
	s_cbranch_execz .LBB376_625
; %bb.622:                              ;   in Loop: Header=BB376_16 Depth=1
	v_mov_b32_e32 v8, 7
	s_mov_b32 s28, exec_lo
	v_and_b32_sdwa v19, v33, v8 dst_sel:DWORD dst_unused:UNUSED_PAD src0_sel:BYTE_3 src1_sel:DWORD
	v_mov_b32_e32 v36, v20
	v_lshrrev_b32_e32 v8, 3, v9
	v_mov_b32_e32 v35, v19
	v_cmpx_gt_u32_e32 8, v9
; %bb.623:                              ;   in Loop: Header=BB376_16 Depth=1
	v_ffbh_u32_e32 v8, v19
	v_min_u32_e32 v8, 32, v8
	v_subrev_nc_u32_e32 v9, 28, v8
	v_sub_nc_u32_e32 v8, 29, v8
	v_lshlrev_b64 v[12:13], v9, v[19:20]
	v_and_b32_e32 v35, 7, v12
; %bb.624:                              ;   in Loop: Header=BB376_16 Depth=1
	s_or_b32 exec_lo, exec_lo, s28
	v_mov_b32_e32 v9, 24
	v_lshlrev_b32_e32 v12, 20, v35
	v_lshl_add_u32 v8, v8, 23, 0x3c000000
	v_lshlrev_b32_sdwa v9, v9, v33 dst_sel:DWORD dst_unused:UNUSED_PAD src0_sel:DWORD src1_sel:BYTE_3
	v_and_b32_e32 v9, 0x80000000, v9
	v_or3_b32 v14, v12, v9, v8
.LBB376_625:                            ;   in Loop: Header=BB376_16 Depth=1
	s_or_b32 exec_lo, exec_lo, s27
.LBB376_626:                            ;   in Loop: Header=BB376_16 Depth=1
	s_or_b32 exec_lo, exec_lo, s26
.LBB376_627:                            ;   in Loop: Header=BB376_16 Depth=1
	s_or_b32 exec_lo, exec_lo, s25
	v_mov_b32_e32 v19, v34
	v_cmp_ne_u16_sdwa s5, v34, v20 src0_sel:BYTE_0 src1_sel:DWORD
	v_mov_b32_e32 v12, 0
	v_mov_b32_e32 v15, 0
	s_and_saveexec_b32 s25, s5
	s_cbranch_execz .LBB376_635
; %bb.628:                              ;   in Loop: Header=BB376_16 Depth=1
	v_cmp_ne_u16_sdwa s5, v34, v98 src0_sel:BYTE_0 src1_sel:DWORD
	v_bfrev_b32_e32 v15, 1
	s_and_saveexec_b32 s26, s5
	s_cbranch_execz .LBB376_634
; %bb.629:                              ;   in Loop: Header=BB376_16 Depth=1
	v_and_b32_e32 v9, 0x7f, v34
	v_mov_b32_e32 v15, 0x7f800001
	s_mov_b32 s27, exec_lo
	v_cmpx_ne_u32_e32 0x7f, v9
	s_cbranch_execz .LBB376_633
; %bb.630:                              ;   in Loop: Header=BB376_16 Depth=1
	v_mov_b32_e32 v36, v20
	v_lshrrev_b32_e32 v8, 3, v9
	v_mov_b32_e32 v35, v19
	s_mov_b32 s28, exec_lo
	v_cmpx_gt_u32_e32 8, v9
; %bb.631:                              ;   in Loop: Header=BB376_16 Depth=1
	v_and_b32_e32 v8, 7, v34
	v_ffbh_u32_e32 v8, v8
	v_min_u32_e32 v8, 32, v8
	v_subrev_nc_u32_e32 v9, 28, v8
	v_sub_nc_u32_e32 v8, 29, v8
	v_lshlrev_b64 v[35:36], v9, v[19:20]
; %bb.632:                              ;   in Loop: Header=BB376_16 Depth=1
	s_or_b32 exec_lo, exec_lo, s28
	v_lshlrev_b32_e32 v9, 20, v35
	v_lshlrev_b32_e32 v13, 24, v19
	v_lshl_add_u32 v8, v8, 23, 0x3c000000
	v_and_b32_e32 v9, 0x700000, v9
	v_and_b32_e32 v13, 0x80000000, v13
	v_or3_b32 v15, v9, v13, v8
.LBB376_633:                            ;   in Loop: Header=BB376_16 Depth=1
	s_or_b32 exec_lo, exec_lo, s27
.LBB376_634:                            ;   in Loop: Header=BB376_16 Depth=1
	s_or_b32 exec_lo, exec_lo, s26
.LBB376_635:                            ;   in Loop: Header=BB376_16 Depth=1
	s_or_b32 exec_lo, exec_lo, s25
	v_cmp_ne_u16_sdwa s5, v19, v20 src0_sel:BYTE_1 src1_sel:DWORD
	s_and_saveexec_b32 s25, s5
	s_cbranch_execz .LBB376_643
; %bb.636:                              ;   in Loop: Header=BB376_16 Depth=1
	v_cmp_ne_u16_sdwa s5, v19, v98 src0_sel:BYTE_1 src1_sel:DWORD
	v_bfrev_b32_e32 v12, 1
	s_and_saveexec_b32 s26, s5
	s_cbranch_execz .LBB376_642
; %bb.637:                              ;   in Loop: Header=BB376_16 Depth=1
	v_mov_b32_e32 v8, 0xffff
	v_mov_b32_e32 v12, 0x7f800001
	s_mov_b32 s27, exec_lo
	v_and_b32_sdwa v8, v8, v19 dst_sel:DWORD dst_unused:UNUSED_PAD src0_sel:DWORD src1_sel:BYTE_1
	v_and_b32_e32 v9, 0x7f, v8
	v_cmpx_ne_u32_e32 0x7f, v9
	s_cbranch_execz .LBB376_641
; %bb.638:                              ;   in Loop: Header=BB376_16 Depth=1
	v_and_b32_e32 v35, 7, v8
	v_mov_b32_e32 v36, v20
	v_lshrrev_b32_e32 v8, 3, v9
	s_mov_b32 s28, exec_lo
	v_cmpx_gt_u32_e32 8, v9
; %bb.639:                              ;   in Loop: Header=BB376_16 Depth=1
	v_ffbh_u32_e32 v8, v35
	v_min_u32_e32 v8, 32, v8
	v_subrev_nc_u32_e32 v9, 28, v8
	v_sub_nc_u32_e32 v8, 29, v8
	v_lshlrev_b64 v[12:13], v9, v[35:36]
	v_and_b32_e32 v35, 7, v12
; %bb.640:                              ;   in Loop: Header=BB376_16 Depth=1
	s_or_b32 exec_lo, exec_lo, s28
	v_lshlrev_b32_e32 v9, 16, v19
	v_lshlrev_b32_e32 v12, 20, v35
	v_lshl_add_u32 v8, v8, 23, 0x3c000000
	v_and_b32_e32 v9, 0x80000000, v9
	v_or3_b32 v12, v12, v9, v8
.LBB376_641:                            ;   in Loop: Header=BB376_16 Depth=1
	s_or_b32 exec_lo, exec_lo, s27
.LBB376_642:                            ;   in Loop: Header=BB376_16 Depth=1
	s_or_b32 exec_lo, exec_lo, s26
.LBB376_643:                            ;   in Loop: Header=BB376_16 Depth=1
	s_or_b32 exec_lo, exec_lo, s25
	v_and_b32_sdwa v8, v34, v100 dst_sel:DWORD dst_unused:UNUSED_PAD src0_sel:WORD_1 src1_sel:DWORD
	v_mov_b32_e32 v37, 0
	v_mov_b32_e32 v27, 0
	s_mov_b32 s25, exec_lo
	v_cmpx_ne_u16_e32 0, v8
	s_cbranch_execz .LBB376_651
; %bb.644:                              ;   in Loop: Header=BB376_16 Depth=1
	v_bfrev_b32_e32 v27, 1
	s_mov_b32 s26, exec_lo
	v_cmpx_ne_u16_e32 0x80, v8
	s_cbranch_execz .LBB376_650
; %bb.645:                              ;   in Loop: Header=BB376_16 Depth=1
	v_bfe_u32 v9, v34, 16, 7
	v_mov_b32_e32 v27, 0x7f800001
	s_mov_b32 s27, exec_lo
	v_cmpx_ne_u32_e32 0x7f, v9
	s_cbranch_execz .LBB376_649
; %bb.646:                              ;   in Loop: Header=BB376_16 Depth=1
	v_mov_b32_e32 v8, 7
	s_mov_b32 s28, exec_lo
	v_and_b32_sdwa v19, v34, v8 dst_sel:DWORD dst_unused:UNUSED_PAD src0_sel:WORD_1 src1_sel:DWORD
	v_mov_b32_e32 v36, v20
	v_lshrrev_b32_e32 v8, 3, v9
	v_mov_b32_e32 v35, v19
	v_cmpx_gt_u32_e32 8, v9
; %bb.647:                              ;   in Loop: Header=BB376_16 Depth=1
	v_ffbh_u32_e32 v8, v19
	v_min_u32_e32 v8, 32, v8
	v_subrev_nc_u32_e32 v9, 28, v8
	v_sub_nc_u32_e32 v8, 29, v8
	v_lshlrev_b64 v[24:25], v9, v[19:20]
	v_and_b32_e32 v35, 7, v24
; %bb.648:                              ;   in Loop: Header=BB376_16 Depth=1
	s_or_b32 exec_lo, exec_lo, s28
	v_mov_b32_e32 v9, 24
	v_lshlrev_b32_e32 v13, 20, v35
	v_lshl_add_u32 v8, v8, 23, 0x3c000000
	v_lshlrev_b32_sdwa v9, v9, v34 dst_sel:DWORD dst_unused:UNUSED_PAD src0_sel:DWORD src1_sel:WORD_1
	v_and_b32_e32 v9, 0x80000000, v9
	v_or3_b32 v27, v13, v9, v8
.LBB376_649:                            ;   in Loop: Header=BB376_16 Depth=1
	s_or_b32 exec_lo, exec_lo, s27
.LBB376_650:                            ;   in Loop: Header=BB376_16 Depth=1
	s_or_b32 exec_lo, exec_lo, s26
.LBB376_651:                            ;   in Loop: Header=BB376_16 Depth=1
	s_or_b32 exec_lo, exec_lo, s25
	s_mov_b32 s25, exec_lo
	v_cmpx_lt_u64_e64 s[20:21], v[33:34]
	s_cbranch_execz .LBB376_659
; %bb.652:                              ;   in Loop: Header=BB376_16 Depth=1
	v_cmp_ne_u32_sdwa s5, v34, v98 src0_sel:BYTE_3 src1_sel:DWORD
	v_bfrev_b32_e32 v37, 1
	s_and_saveexec_b32 s26, s5
	s_cbranch_execz .LBB376_658
; %bb.653:                              ;   in Loop: Header=BB376_16 Depth=1
	v_bfe_u32 v9, v34, 24, 7
	v_mov_b32_e32 v37, 0x7f800001
	s_mov_b32 s27, exec_lo
	v_cmpx_ne_u32_e32 0x7f, v9
	s_cbranch_execz .LBB376_657
; %bb.654:                              ;   in Loop: Header=BB376_16 Depth=1
	v_mov_b32_e32 v8, 7
	s_mov_b32 s28, exec_lo
	v_and_b32_sdwa v19, v34, v8 dst_sel:DWORD dst_unused:UNUSED_PAD src0_sel:BYTE_3 src1_sel:DWORD
	v_mov_b32_e32 v36, v20
	v_lshrrev_b32_e32 v8, 3, v9
	v_mov_b32_e32 v35, v19
	v_cmpx_gt_u32_e32 8, v9
; %bb.655:                              ;   in Loop: Header=BB376_16 Depth=1
	v_ffbh_u32_e32 v8, v19
	v_min_u32_e32 v8, 32, v8
	v_subrev_nc_u32_e32 v9, 28, v8
	v_sub_nc_u32_e32 v8, 29, v8
	v_lshlrev_b64 v[24:25], v9, v[19:20]
	v_and_b32_e32 v35, 7, v24
; %bb.656:                              ;   in Loop: Header=BB376_16 Depth=1
	s_or_b32 exec_lo, exec_lo, s28
	v_mov_b32_e32 v9, 24
	v_lshlrev_b32_e32 v13, 20, v35
	v_lshl_add_u32 v8, v8, 23, 0x3c000000
	v_lshlrev_b32_sdwa v9, v9, v34 dst_sel:DWORD dst_unused:UNUSED_PAD src0_sel:DWORD src1_sel:BYTE_3
	v_and_b32_e32 v9, 0x80000000, v9
	v_or3_b32 v37, v13, v9, v8
.LBB376_657:                            ;   in Loop: Header=BB376_16 Depth=1
	s_or_b32 exec_lo, exec_lo, s27
.LBB376_658:                            ;   in Loop: Header=BB376_16 Depth=1
	s_or_b32 exec_lo, exec_lo, s26
.LBB376_659:                            ;   in Loop: Header=BB376_16 Depth=1
	s_or_b32 exec_lo, exec_lo, s25
	flat_load_dwordx2 v[33:34], v[31:32] offset:512
	v_mov_b32_e32 v26, 0
	v_mov_b32_e32 v53, 0
	s_waitcnt vmcnt(0) lgkmcnt(0)
	v_cmp_ne_u16_sdwa s5, v33, v20 src0_sel:BYTE_0 src1_sel:DWORD
	s_and_saveexec_b32 s25, s5
	s_cbranch_execz .LBB376_667
; %bb.660:                              ;   in Loop: Header=BB376_16 Depth=1
	v_cmp_ne_u16_sdwa s5, v33, v98 src0_sel:BYTE_0 src1_sel:DWORD
	v_bfrev_b32_e32 v53, 1
	s_and_saveexec_b32 s26, s5
	s_cbranch_execz .LBB376_666
; %bb.661:                              ;   in Loop: Header=BB376_16 Depth=1
	v_and_b32_e32 v9, 0x7f, v33
	v_mov_b32_e32 v53, 0x7f800001
	s_mov_b32 s27, exec_lo
	v_cmpx_ne_u32_e32 0x7f, v9
	s_cbranch_execz .LBB376_665
; %bb.662:                              ;   in Loop: Header=BB376_16 Depth=1
	v_mov_b32_e32 v36, v34
	v_lshrrev_b32_e32 v8, 3, v9
	v_mov_b32_e32 v35, v33
	s_mov_b32 s28, exec_lo
	v_cmpx_gt_u32_e32 8, v9
; %bb.663:                              ;   in Loop: Header=BB376_16 Depth=1
	v_and_b32_e32 v8, 7, v33
	v_ffbh_u32_e32 v8, v8
	v_min_u32_e32 v8, 32, v8
	v_subrev_nc_u32_e32 v9, 28, v8
	v_sub_nc_u32_e32 v8, 29, v8
	v_lshlrev_b64 v[35:36], v9, v[33:34]
; %bb.664:                              ;   in Loop: Header=BB376_16 Depth=1
	s_or_b32 exec_lo, exec_lo, s28
	v_lshlrev_b32_e32 v9, 20, v35
	v_lshlrev_b32_e32 v13, 24, v33
	v_lshl_add_u32 v8, v8, 23, 0x3c000000
	v_and_b32_e32 v9, 0x700000, v9
	v_and_b32_e32 v13, 0x80000000, v13
	v_or3_b32 v53, v9, v13, v8
.LBB376_665:                            ;   in Loop: Header=BB376_16 Depth=1
	s_or_b32 exec_lo, exec_lo, s27
.LBB376_666:                            ;   in Loop: Header=BB376_16 Depth=1
	s_or_b32 exec_lo, exec_lo, s26
.LBB376_667:                            ;   in Loop: Header=BB376_16 Depth=1
	s_or_b32 exec_lo, exec_lo, s25
	v_cmp_ne_u16_sdwa s5, v33, v20 src0_sel:BYTE_1 src1_sel:DWORD
	s_and_saveexec_b32 s25, s5
	s_cbranch_execz .LBB376_675
; %bb.668:                              ;   in Loop: Header=BB376_16 Depth=1
	v_cmp_ne_u16_sdwa s5, v33, v98 src0_sel:BYTE_1 src1_sel:DWORD
	v_bfrev_b32_e32 v26, 1
	s_and_saveexec_b32 s26, s5
	s_cbranch_execz .LBB376_674
; %bb.669:                              ;   in Loop: Header=BB376_16 Depth=1
	v_mov_b32_e32 v8, 0xffff
	v_mov_b32_e32 v26, 0x7f800001
	s_mov_b32 s27, exec_lo
	v_and_b32_sdwa v8, v8, v33 dst_sel:DWORD dst_unused:UNUSED_PAD src0_sel:DWORD src1_sel:BYTE_1
	v_and_b32_e32 v9, 0x7f, v8
	v_cmpx_ne_u32_e32 0x7f, v9
	s_cbranch_execz .LBB376_673
; %bb.670:                              ;   in Loop: Header=BB376_16 Depth=1
	v_and_b32_e32 v19, 7, v8
	v_mov_b32_e32 v36, v20
	v_lshrrev_b32_e32 v8, 3, v9
	s_mov_b32 s28, exec_lo
	v_mov_b32_e32 v35, v19
	v_cmpx_gt_u32_e32 8, v9
; %bb.671:                              ;   in Loop: Header=BB376_16 Depth=1
	v_ffbh_u32_e32 v8, v19
	v_min_u32_e32 v8, 32, v8
	v_subrev_nc_u32_e32 v9, 28, v8
	v_sub_nc_u32_e32 v8, 29, v8
	v_lshlrev_b64 v[24:25], v9, v[19:20]
	v_and_b32_e32 v35, 7, v24
; %bb.672:                              ;   in Loop: Header=BB376_16 Depth=1
	s_or_b32 exec_lo, exec_lo, s28
	v_lshlrev_b32_e32 v9, 16, v33
	v_lshlrev_b32_e32 v13, 20, v35
	v_lshl_add_u32 v8, v8, 23, 0x3c000000
	v_and_b32_e32 v9, 0x80000000, v9
	v_or3_b32 v26, v13, v9, v8
.LBB376_673:                            ;   in Loop: Header=BB376_16 Depth=1
	s_or_b32 exec_lo, exec_lo, s27
.LBB376_674:                            ;   in Loop: Header=BB376_16 Depth=1
	s_or_b32 exec_lo, exec_lo, s26
.LBB376_675:                            ;   in Loop: Header=BB376_16 Depth=1
	s_or_b32 exec_lo, exec_lo, s25
	v_and_b32_sdwa v8, v33, v100 dst_sel:DWORD dst_unused:UNUSED_PAD src0_sel:WORD_1 src1_sel:DWORD
	v_mov_b32_e32 v30, 0
	v_mov_b32_e32 v65, 0
	s_mov_b32 s25, exec_lo
	v_cmpx_ne_u16_e32 0, v8
	s_cbranch_execz .LBB376_683
; %bb.676:                              ;   in Loop: Header=BB376_16 Depth=1
	v_bfrev_b32_e32 v65, 1
	s_mov_b32 s26, exec_lo
	v_cmpx_ne_u16_e32 0x80, v8
	s_cbranch_execz .LBB376_682
; %bb.677:                              ;   in Loop: Header=BB376_16 Depth=1
	v_bfe_u32 v9, v33, 16, 7
	v_mov_b32_e32 v65, 0x7f800001
	s_mov_b32 s27, exec_lo
	v_cmpx_ne_u32_e32 0x7f, v9
	s_cbranch_execz .LBB376_681
; %bb.678:                              ;   in Loop: Header=BB376_16 Depth=1
	v_mov_b32_e32 v8, 7
	s_mov_b32 s28, exec_lo
	v_and_b32_sdwa v19, v33, v8 dst_sel:DWORD dst_unused:UNUSED_PAD src0_sel:WORD_1 src1_sel:DWORD
	v_mov_b32_e32 v36, v20
	v_lshrrev_b32_e32 v8, 3, v9
	v_mov_b32_e32 v35, v19
	v_cmpx_gt_u32_e32 8, v9
; %bb.679:                              ;   in Loop: Header=BB376_16 Depth=1
	v_ffbh_u32_e32 v8, v19
	v_min_u32_e32 v8, 32, v8
	v_subrev_nc_u32_e32 v9, 28, v8
	v_sub_nc_u32_e32 v8, 29, v8
	v_lshlrev_b64 v[24:25], v9, v[19:20]
	v_and_b32_e32 v35, 7, v24
; %bb.680:                              ;   in Loop: Header=BB376_16 Depth=1
	s_or_b32 exec_lo, exec_lo, s28
	v_mov_b32_e32 v9, 24
	v_lshlrev_b32_e32 v13, 20, v35
	v_lshl_add_u32 v8, v8, 23, 0x3c000000
	v_lshlrev_b32_sdwa v9, v9, v33 dst_sel:DWORD dst_unused:UNUSED_PAD src0_sel:DWORD src1_sel:WORD_1
	v_and_b32_e32 v9, 0x80000000, v9
	v_or3_b32 v65, v13, v9, v8
.LBB376_681:                            ;   in Loop: Header=BB376_16 Depth=1
	s_or_b32 exec_lo, exec_lo, s27
.LBB376_682:                            ;   in Loop: Header=BB376_16 Depth=1
	s_or_b32 exec_lo, exec_lo, s26
.LBB376_683:                            ;   in Loop: Header=BB376_16 Depth=1
	s_or_b32 exec_lo, exec_lo, s25
	s_mov_b32 s25, exec_lo
	v_cmpx_lt_u32_e32 0xffffff, v33
	s_cbranch_execz .LBB376_691
; %bb.684:                              ;   in Loop: Header=BB376_16 Depth=1
	v_cmp_ne_u32_sdwa s5, v33, v98 src0_sel:BYTE_3 src1_sel:DWORD
	v_bfrev_b32_e32 v30, 1
	s_and_saveexec_b32 s26, s5
	s_cbranch_execz .LBB376_690
; %bb.685:                              ;   in Loop: Header=BB376_16 Depth=1
	v_bfe_u32 v9, v33, 24, 7
	v_mov_b32_e32 v30, 0x7f800001
	s_mov_b32 s27, exec_lo
	v_cmpx_ne_u32_e32 0x7f, v9
	s_cbranch_execz .LBB376_689
; %bb.686:                              ;   in Loop: Header=BB376_16 Depth=1
	v_mov_b32_e32 v8, 7
	s_mov_b32 s28, exec_lo
	v_and_b32_sdwa v19, v33, v8 dst_sel:DWORD dst_unused:UNUSED_PAD src0_sel:BYTE_3 src1_sel:DWORD
	v_mov_b32_e32 v36, v20
	v_lshrrev_b32_e32 v8, 3, v9
	v_mov_b32_e32 v35, v19
	v_cmpx_gt_u32_e32 8, v9
; %bb.687:                              ;   in Loop: Header=BB376_16 Depth=1
	v_ffbh_u32_e32 v8, v19
	v_min_u32_e32 v8, 32, v8
	v_subrev_nc_u32_e32 v9, 28, v8
	v_sub_nc_u32_e32 v8, 29, v8
	v_lshlrev_b64 v[24:25], v9, v[19:20]
	v_and_b32_e32 v35, 7, v24
; %bb.688:                              ;   in Loop: Header=BB376_16 Depth=1
	s_or_b32 exec_lo, exec_lo, s28
	v_mov_b32_e32 v9, 24
	v_lshlrev_b32_e32 v13, 20, v35
	v_lshl_add_u32 v8, v8, 23, 0x3c000000
	v_lshlrev_b32_sdwa v9, v9, v33 dst_sel:DWORD dst_unused:UNUSED_PAD src0_sel:DWORD src1_sel:BYTE_3
	v_and_b32_e32 v9, 0x80000000, v9
	v_or3_b32 v30, v13, v9, v8
.LBB376_689:                            ;   in Loop: Header=BB376_16 Depth=1
	s_or_b32 exec_lo, exec_lo, s27
.LBB376_690:                            ;   in Loop: Header=BB376_16 Depth=1
	s_or_b32 exec_lo, exec_lo, s26
.LBB376_691:                            ;   in Loop: Header=BB376_16 Depth=1
	s_or_b32 exec_lo, exec_lo, s25
	v_mov_b32_e32 v19, v34
	v_cmp_ne_u16_sdwa s5, v34, v20 src0_sel:BYTE_0 src1_sel:DWORD
	v_mov_b32_e32 v66, 0
	v_mov_b32_e32 v22, 0
	s_and_saveexec_b32 s25, s5
	s_cbranch_execz .LBB376_699
; %bb.692:                              ;   in Loop: Header=BB376_16 Depth=1
	v_cmp_ne_u16_sdwa s5, v34, v98 src0_sel:BYTE_0 src1_sel:DWORD
	v_bfrev_b32_e32 v22, 1
	s_and_saveexec_b32 s26, s5
	s_cbranch_execz .LBB376_698
; %bb.693:                              ;   in Loop: Header=BB376_16 Depth=1
	v_and_b32_e32 v9, 0x7f, v34
	v_mov_b32_e32 v22, 0x7f800001
	s_mov_b32 s27, exec_lo
	v_cmpx_ne_u32_e32 0x7f, v9
	s_cbranch_execz .LBB376_697
; %bb.694:                              ;   in Loop: Header=BB376_16 Depth=1
	v_mov_b32_e32 v36, v20
	v_lshrrev_b32_e32 v8, 3, v9
	v_mov_b32_e32 v35, v19
	s_mov_b32 s28, exec_lo
	v_cmpx_gt_u32_e32 8, v9
; %bb.695:                              ;   in Loop: Header=BB376_16 Depth=1
	v_and_b32_e32 v8, 7, v34
	v_ffbh_u32_e32 v8, v8
	v_min_u32_e32 v8, 32, v8
	v_subrev_nc_u32_e32 v9, 28, v8
	v_sub_nc_u32_e32 v8, 29, v8
	v_lshlrev_b64 v[35:36], v9, v[19:20]
; %bb.696:                              ;   in Loop: Header=BB376_16 Depth=1
	s_or_b32 exec_lo, exec_lo, s28
	v_lshlrev_b32_e32 v9, 20, v35
	v_lshlrev_b32_e32 v13, 24, v19
	v_lshl_add_u32 v8, v8, 23, 0x3c000000
	v_and_b32_e32 v9, 0x700000, v9
	v_and_b32_e32 v13, 0x80000000, v13
	v_or3_b32 v22, v9, v13, v8
.LBB376_697:                            ;   in Loop: Header=BB376_16 Depth=1
	s_or_b32 exec_lo, exec_lo, s27
.LBB376_698:                            ;   in Loop: Header=BB376_16 Depth=1
	s_or_b32 exec_lo, exec_lo, s26
.LBB376_699:                            ;   in Loop: Header=BB376_16 Depth=1
	s_or_b32 exec_lo, exec_lo, s25
	v_cmp_ne_u16_sdwa s5, v19, v20 src0_sel:BYTE_1 src1_sel:DWORD
	s_and_saveexec_b32 s25, s5
	s_cbranch_execz .LBB376_707
; %bb.700:                              ;   in Loop: Header=BB376_16 Depth=1
	v_cmp_ne_u16_sdwa s5, v19, v98 src0_sel:BYTE_1 src1_sel:DWORD
	v_bfrev_b32_e32 v66, 1
	s_and_saveexec_b32 s26, s5
	s_cbranch_execz .LBB376_706
; %bb.701:                              ;   in Loop: Header=BB376_16 Depth=1
	v_mov_b32_e32 v8, 0xffff
	v_mov_b32_e32 v66, 0x7f800001
	s_mov_b32 s27, exec_lo
	v_and_b32_sdwa v8, v8, v19 dst_sel:DWORD dst_unused:UNUSED_PAD src0_sel:DWORD src1_sel:BYTE_1
	v_and_b32_e32 v9, 0x7f, v8
	v_cmpx_ne_u32_e32 0x7f, v9
	s_cbranch_execz .LBB376_705
; %bb.702:                              ;   in Loop: Header=BB376_16 Depth=1
	v_and_b32_e32 v35, 7, v8
	v_mov_b32_e32 v36, v20
	v_lshrrev_b32_e32 v8, 3, v9
	s_mov_b32 s28, exec_lo
	v_cmpx_gt_u32_e32 8, v9
; %bb.703:                              ;   in Loop: Header=BB376_16 Depth=1
	v_ffbh_u32_e32 v8, v35
	v_min_u32_e32 v8, 32, v8
	v_subrev_nc_u32_e32 v9, 28, v8
	v_sub_nc_u32_e32 v8, 29, v8
	v_lshlrev_b64 v[24:25], v9, v[35:36]
	v_and_b32_e32 v35, 7, v24
; %bb.704:                              ;   in Loop: Header=BB376_16 Depth=1
	s_or_b32 exec_lo, exec_lo, s28
	v_lshlrev_b32_e32 v9, 16, v19
	v_lshlrev_b32_e32 v13, 20, v35
	v_lshl_add_u32 v8, v8, 23, 0x3c000000
	v_and_b32_e32 v9, 0x80000000, v9
	v_or3_b32 v66, v13, v9, v8
.LBB376_705:                            ;   in Loop: Header=BB376_16 Depth=1
	s_or_b32 exec_lo, exec_lo, s27
.LBB376_706:                            ;   in Loop: Header=BB376_16 Depth=1
	s_or_b32 exec_lo, exec_lo, s26
.LBB376_707:                            ;   in Loop: Header=BB376_16 Depth=1
	s_or_b32 exec_lo, exec_lo, s25
	v_and_b32_sdwa v8, v34, v100 dst_sel:DWORD dst_unused:UNUSED_PAD src0_sel:WORD_1 src1_sel:DWORD
	v_mov_b32_e32 v67, 0
	v_mov_b32_e32 v68, 0
	s_mov_b32 s25, exec_lo
	v_cmpx_ne_u16_e32 0, v8
	s_cbranch_execz .LBB376_715
; %bb.708:                              ;   in Loop: Header=BB376_16 Depth=1
	v_bfrev_b32_e32 v68, 1
	s_mov_b32 s26, exec_lo
	v_cmpx_ne_u16_e32 0x80, v8
	s_cbranch_execz .LBB376_714
; %bb.709:                              ;   in Loop: Header=BB376_16 Depth=1
	v_bfe_u32 v9, v34, 16, 7
	v_mov_b32_e32 v68, 0x7f800001
	s_mov_b32 s27, exec_lo
	v_cmpx_ne_u32_e32 0x7f, v9
	s_cbranch_execz .LBB376_713
; %bb.710:                              ;   in Loop: Header=BB376_16 Depth=1
	v_mov_b32_e32 v8, 7
	s_mov_b32 s28, exec_lo
	v_and_b32_sdwa v19, v34, v8 dst_sel:DWORD dst_unused:UNUSED_PAD src0_sel:WORD_1 src1_sel:DWORD
	v_mov_b32_e32 v36, v20
	v_lshrrev_b32_e32 v8, 3, v9
	v_mov_b32_e32 v35, v19
	v_cmpx_gt_u32_e32 8, v9
; %bb.711:                              ;   in Loop: Header=BB376_16 Depth=1
	v_ffbh_u32_e32 v8, v19
	v_min_u32_e32 v8, 32, v8
	v_subrev_nc_u32_e32 v9, 28, v8
	v_sub_nc_u32_e32 v8, 29, v8
	v_lshlrev_b64 v[24:25], v9, v[19:20]
	v_and_b32_e32 v35, 7, v24
; %bb.712:                              ;   in Loop: Header=BB376_16 Depth=1
	s_or_b32 exec_lo, exec_lo, s28
	v_mov_b32_e32 v9, 24
	v_lshlrev_b32_e32 v13, 20, v35
	v_lshl_add_u32 v8, v8, 23, 0x3c000000
	v_lshlrev_b32_sdwa v9, v9, v34 dst_sel:DWORD dst_unused:UNUSED_PAD src0_sel:DWORD src1_sel:WORD_1
	v_and_b32_e32 v9, 0x80000000, v9
	v_or3_b32 v68, v13, v9, v8
.LBB376_713:                            ;   in Loop: Header=BB376_16 Depth=1
	s_or_b32 exec_lo, exec_lo, s27
.LBB376_714:                            ;   in Loop: Header=BB376_16 Depth=1
	s_or_b32 exec_lo, exec_lo, s26
.LBB376_715:                            ;   in Loop: Header=BB376_16 Depth=1
	s_or_b32 exec_lo, exec_lo, s25
	s_mov_b32 s25, exec_lo
	v_cmpx_lt_u64_e64 s[20:21], v[33:34]
	s_cbranch_execz .LBB376_723
; %bb.716:                              ;   in Loop: Header=BB376_16 Depth=1
	v_cmp_ne_u32_sdwa s5, v34, v98 src0_sel:BYTE_3 src1_sel:DWORD
	v_bfrev_b32_e32 v67, 1
	s_and_saveexec_b32 s26, s5
	s_cbranch_execz .LBB376_722
; %bb.717:                              ;   in Loop: Header=BB376_16 Depth=1
	v_bfe_u32 v9, v34, 24, 7
	v_mov_b32_e32 v67, 0x7f800001
	s_mov_b32 s27, exec_lo
	v_cmpx_ne_u32_e32 0x7f, v9
	s_cbranch_execz .LBB376_721
; %bb.718:                              ;   in Loop: Header=BB376_16 Depth=1
	v_mov_b32_e32 v8, 7
	s_mov_b32 s28, exec_lo
	v_and_b32_sdwa v19, v34, v8 dst_sel:DWORD dst_unused:UNUSED_PAD src0_sel:BYTE_3 src1_sel:DWORD
	v_mov_b32_e32 v36, v20
	v_lshrrev_b32_e32 v8, 3, v9
	v_mov_b32_e32 v35, v19
	v_cmpx_gt_u32_e32 8, v9
; %bb.719:                              ;   in Loop: Header=BB376_16 Depth=1
	v_ffbh_u32_e32 v8, v19
	v_min_u32_e32 v8, 32, v8
	v_subrev_nc_u32_e32 v9, 28, v8
	v_sub_nc_u32_e32 v8, 29, v8
	v_lshlrev_b64 v[24:25], v9, v[19:20]
	v_and_b32_e32 v35, 7, v24
; %bb.720:                              ;   in Loop: Header=BB376_16 Depth=1
	s_or_b32 exec_lo, exec_lo, s28
	v_mov_b32_e32 v9, 24
	v_lshlrev_b32_e32 v13, 20, v35
	v_lshl_add_u32 v8, v8, 23, 0x3c000000
	v_lshlrev_b32_sdwa v9, v9, v34 dst_sel:DWORD dst_unused:UNUSED_PAD src0_sel:DWORD src1_sel:BYTE_3
	v_and_b32_e32 v9, 0x80000000, v9
	v_or3_b32 v67, v13, v9, v8
.LBB376_721:                            ;   in Loop: Header=BB376_16 Depth=1
	s_or_b32 exec_lo, exec_lo, s27
.LBB376_722:                            ;   in Loop: Header=BB376_16 Depth=1
	s_or_b32 exec_lo, exec_lo, s26
.LBB376_723:                            ;   in Loop: Header=BB376_16 Depth=1
	s_or_b32 exec_lo, exec_lo, s25
	flat_load_dwordx2 v[33:34], v[31:32] offset:520
	v_mov_b32_e32 v70, 0
	v_mov_b32_e32 v69, 0
	s_waitcnt vmcnt(0) lgkmcnt(0)
	v_cmp_ne_u16_sdwa s5, v33, v20 src0_sel:BYTE_0 src1_sel:DWORD
	s_and_saveexec_b32 s25, s5
	s_cbranch_execz .LBB376_731
; %bb.724:                              ;   in Loop: Header=BB376_16 Depth=1
	v_cmp_ne_u16_sdwa s5, v33, v98 src0_sel:BYTE_0 src1_sel:DWORD
	v_bfrev_b32_e32 v69, 1
	s_and_saveexec_b32 s26, s5
	s_cbranch_execz .LBB376_730
; %bb.725:                              ;   in Loop: Header=BB376_16 Depth=1
	v_and_b32_e32 v9, 0x7f, v33
	v_mov_b32_e32 v69, 0x7f800001
	s_mov_b32 s27, exec_lo
	v_cmpx_ne_u32_e32 0x7f, v9
	s_cbranch_execz .LBB376_729
; %bb.726:                              ;   in Loop: Header=BB376_16 Depth=1
	v_mov_b32_e32 v36, v34
	v_lshrrev_b32_e32 v8, 3, v9
	v_mov_b32_e32 v35, v33
	s_mov_b32 s28, exec_lo
	v_cmpx_gt_u32_e32 8, v9
; %bb.727:                              ;   in Loop: Header=BB376_16 Depth=1
	v_and_b32_e32 v8, 7, v33
	v_ffbh_u32_e32 v8, v8
	v_min_u32_e32 v8, 32, v8
	v_subrev_nc_u32_e32 v9, 28, v8
	v_sub_nc_u32_e32 v8, 29, v8
	v_lshlrev_b64 v[35:36], v9, v[33:34]
; %bb.728:                              ;   in Loop: Header=BB376_16 Depth=1
	s_or_b32 exec_lo, exec_lo, s28
	v_lshlrev_b32_e32 v9, 20, v35
	v_lshlrev_b32_e32 v13, 24, v33
	v_lshl_add_u32 v8, v8, 23, 0x3c000000
	v_and_b32_e32 v9, 0x700000, v9
	v_and_b32_e32 v13, 0x80000000, v13
	v_or3_b32 v69, v9, v13, v8
.LBB376_729:                            ;   in Loop: Header=BB376_16 Depth=1
	s_or_b32 exec_lo, exec_lo, s27
.LBB376_730:                            ;   in Loop: Header=BB376_16 Depth=1
	s_or_b32 exec_lo, exec_lo, s26
.LBB376_731:                            ;   in Loop: Header=BB376_16 Depth=1
	s_or_b32 exec_lo, exec_lo, s25
	v_cmp_ne_u16_sdwa s5, v33, v20 src0_sel:BYTE_1 src1_sel:DWORD
	s_and_saveexec_b32 s25, s5
	s_cbranch_execz .LBB376_739
; %bb.732:                              ;   in Loop: Header=BB376_16 Depth=1
	v_cmp_ne_u16_sdwa s5, v33, v98 src0_sel:BYTE_1 src1_sel:DWORD
	v_bfrev_b32_e32 v70, 1
	s_and_saveexec_b32 s26, s5
	s_cbranch_execz .LBB376_738
; %bb.733:                              ;   in Loop: Header=BB376_16 Depth=1
	v_mov_b32_e32 v8, 0xffff
	v_mov_b32_e32 v70, 0x7f800001
	s_mov_b32 s27, exec_lo
	v_and_b32_sdwa v8, v8, v33 dst_sel:DWORD dst_unused:UNUSED_PAD src0_sel:DWORD src1_sel:BYTE_1
	v_and_b32_e32 v9, 0x7f, v8
	v_cmpx_ne_u32_e32 0x7f, v9
	s_cbranch_execz .LBB376_737
; %bb.734:                              ;   in Loop: Header=BB376_16 Depth=1
	v_and_b32_e32 v19, 7, v8
	v_mov_b32_e32 v36, v20
	v_lshrrev_b32_e32 v8, 3, v9
	s_mov_b32 s28, exec_lo
	v_mov_b32_e32 v35, v19
	v_cmpx_gt_u32_e32 8, v9
; %bb.735:                              ;   in Loop: Header=BB376_16 Depth=1
	v_ffbh_u32_e32 v8, v19
	v_min_u32_e32 v8, 32, v8
	v_subrev_nc_u32_e32 v9, 28, v8
	v_sub_nc_u32_e32 v8, 29, v8
	v_lshlrev_b64 v[24:25], v9, v[19:20]
	v_and_b32_e32 v35, 7, v24
; %bb.736:                              ;   in Loop: Header=BB376_16 Depth=1
	s_or_b32 exec_lo, exec_lo, s28
	v_lshlrev_b32_e32 v9, 16, v33
	v_lshlrev_b32_e32 v13, 20, v35
	v_lshl_add_u32 v8, v8, 23, 0x3c000000
	v_and_b32_e32 v9, 0x80000000, v9
	v_or3_b32 v70, v13, v9, v8
.LBB376_737:                            ;   in Loop: Header=BB376_16 Depth=1
	s_or_b32 exec_lo, exec_lo, s27
.LBB376_738:                            ;   in Loop: Header=BB376_16 Depth=1
	s_or_b32 exec_lo, exec_lo, s26
.LBB376_739:                            ;   in Loop: Header=BB376_16 Depth=1
	s_or_b32 exec_lo, exec_lo, s25
	v_and_b32_sdwa v8, v33, v100 dst_sel:DWORD dst_unused:UNUSED_PAD src0_sel:WORD_1 src1_sel:DWORD
	v_mov_b32_e32 v81, 0
	v_mov_b32_e32 v80, 0
	s_mov_b32 s25, exec_lo
	v_cmpx_ne_u16_e32 0, v8
	s_cbranch_execz .LBB376_747
; %bb.740:                              ;   in Loop: Header=BB376_16 Depth=1
	v_bfrev_b32_e32 v80, 1
	s_mov_b32 s26, exec_lo
	v_cmpx_ne_u16_e32 0x80, v8
	s_cbranch_execz .LBB376_746
; %bb.741:                              ;   in Loop: Header=BB376_16 Depth=1
	v_bfe_u32 v9, v33, 16, 7
	v_mov_b32_e32 v80, 0x7f800001
	s_mov_b32 s27, exec_lo
	v_cmpx_ne_u32_e32 0x7f, v9
	s_cbranch_execz .LBB376_745
; %bb.742:                              ;   in Loop: Header=BB376_16 Depth=1
	v_mov_b32_e32 v8, 7
	s_mov_b32 s28, exec_lo
	v_and_b32_sdwa v19, v33, v8 dst_sel:DWORD dst_unused:UNUSED_PAD src0_sel:WORD_1 src1_sel:DWORD
	v_mov_b32_e32 v36, v20
	v_lshrrev_b32_e32 v8, 3, v9
	v_mov_b32_e32 v35, v19
	v_cmpx_gt_u32_e32 8, v9
; %bb.743:                              ;   in Loop: Header=BB376_16 Depth=1
	v_ffbh_u32_e32 v8, v19
	v_min_u32_e32 v8, 32, v8
	v_subrev_nc_u32_e32 v9, 28, v8
	v_sub_nc_u32_e32 v8, 29, v8
	v_lshlrev_b64 v[24:25], v9, v[19:20]
	v_and_b32_e32 v35, 7, v24
; %bb.744:                              ;   in Loop: Header=BB376_16 Depth=1
	s_or_b32 exec_lo, exec_lo, s28
	v_mov_b32_e32 v9, 24
	v_lshlrev_b32_e32 v13, 20, v35
	v_lshl_add_u32 v8, v8, 23, 0x3c000000
	v_lshlrev_b32_sdwa v9, v9, v33 dst_sel:DWORD dst_unused:UNUSED_PAD src0_sel:DWORD src1_sel:WORD_1
	v_and_b32_e32 v9, 0x80000000, v9
	v_or3_b32 v80, v13, v9, v8
.LBB376_745:                            ;   in Loop: Header=BB376_16 Depth=1
	s_or_b32 exec_lo, exec_lo, s27
.LBB376_746:                            ;   in Loop: Header=BB376_16 Depth=1
	s_or_b32 exec_lo, exec_lo, s26
.LBB376_747:                            ;   in Loop: Header=BB376_16 Depth=1
	s_or_b32 exec_lo, exec_lo, s25
	s_mov_b32 s25, exec_lo
	v_cmpx_lt_u32_e32 0xffffff, v33
	s_cbranch_execz .LBB376_755
; %bb.748:                              ;   in Loop: Header=BB376_16 Depth=1
	v_cmp_ne_u32_sdwa s5, v33, v98 src0_sel:BYTE_3 src1_sel:DWORD
	v_bfrev_b32_e32 v81, 1
	s_and_saveexec_b32 s26, s5
	s_cbranch_execz .LBB376_754
; %bb.749:                              ;   in Loop: Header=BB376_16 Depth=1
	v_bfe_u32 v9, v33, 24, 7
	v_mov_b32_e32 v81, 0x7f800001
	s_mov_b32 s27, exec_lo
	v_cmpx_ne_u32_e32 0x7f, v9
	s_cbranch_execz .LBB376_753
; %bb.750:                              ;   in Loop: Header=BB376_16 Depth=1
	v_mov_b32_e32 v8, 7
	s_mov_b32 s28, exec_lo
	v_and_b32_sdwa v19, v33, v8 dst_sel:DWORD dst_unused:UNUSED_PAD src0_sel:BYTE_3 src1_sel:DWORD
	v_mov_b32_e32 v36, v20
	v_lshrrev_b32_e32 v8, 3, v9
	v_mov_b32_e32 v35, v19
	v_cmpx_gt_u32_e32 8, v9
; %bb.751:                              ;   in Loop: Header=BB376_16 Depth=1
	v_ffbh_u32_e32 v8, v19
	v_min_u32_e32 v8, 32, v8
	v_subrev_nc_u32_e32 v9, 28, v8
	v_sub_nc_u32_e32 v8, 29, v8
	v_lshlrev_b64 v[24:25], v9, v[19:20]
	v_and_b32_e32 v35, 7, v24
; %bb.752:                              ;   in Loop: Header=BB376_16 Depth=1
	s_or_b32 exec_lo, exec_lo, s28
	v_mov_b32_e32 v9, 24
	v_lshlrev_b32_e32 v13, 20, v35
	v_lshl_add_u32 v8, v8, 23, 0x3c000000
	v_lshlrev_b32_sdwa v9, v9, v33 dst_sel:DWORD dst_unused:UNUSED_PAD src0_sel:DWORD src1_sel:BYTE_3
	v_and_b32_e32 v9, 0x80000000, v9
	v_or3_b32 v81, v13, v9, v8
.LBB376_753:                            ;   in Loop: Header=BB376_16 Depth=1
	s_or_b32 exec_lo, exec_lo, s27
.LBB376_754:                            ;   in Loop: Header=BB376_16 Depth=1
	s_or_b32 exec_lo, exec_lo, s26
.LBB376_755:                            ;   in Loop: Header=BB376_16 Depth=1
	s_or_b32 exec_lo, exec_lo, s25
	v_mov_b32_e32 v19, v34
	v_cmp_ne_u16_sdwa s5, v34, v20 src0_sel:BYTE_0 src1_sel:DWORD
	v_mov_b32_e32 v83, 0
	v_mov_b32_e32 v82, 0
	s_and_saveexec_b32 s25, s5
	s_cbranch_execz .LBB376_763
; %bb.756:                              ;   in Loop: Header=BB376_16 Depth=1
	v_cmp_ne_u16_sdwa s5, v34, v98 src0_sel:BYTE_0 src1_sel:DWORD
	v_bfrev_b32_e32 v82, 1
	s_and_saveexec_b32 s26, s5
	s_cbranch_execz .LBB376_762
; %bb.757:                              ;   in Loop: Header=BB376_16 Depth=1
	v_and_b32_e32 v9, 0x7f, v34
	v_mov_b32_e32 v82, 0x7f800001
	s_mov_b32 s27, exec_lo
	v_cmpx_ne_u32_e32 0x7f, v9
	s_cbranch_execz .LBB376_761
; %bb.758:                              ;   in Loop: Header=BB376_16 Depth=1
	v_mov_b32_e32 v36, v20
	v_lshrrev_b32_e32 v8, 3, v9
	v_mov_b32_e32 v35, v19
	s_mov_b32 s28, exec_lo
	v_cmpx_gt_u32_e32 8, v9
; %bb.759:                              ;   in Loop: Header=BB376_16 Depth=1
	v_and_b32_e32 v8, 7, v34
	v_ffbh_u32_e32 v8, v8
	v_min_u32_e32 v8, 32, v8
	v_subrev_nc_u32_e32 v9, 28, v8
	v_sub_nc_u32_e32 v8, 29, v8
	v_lshlrev_b64 v[35:36], v9, v[19:20]
; %bb.760:                              ;   in Loop: Header=BB376_16 Depth=1
	s_or_b32 exec_lo, exec_lo, s28
	v_lshlrev_b32_e32 v9, 20, v35
	v_lshlrev_b32_e32 v13, 24, v19
	v_lshl_add_u32 v8, v8, 23, 0x3c000000
	v_and_b32_e32 v9, 0x700000, v9
	v_and_b32_e32 v13, 0x80000000, v13
	v_or3_b32 v82, v9, v13, v8
.LBB376_761:                            ;   in Loop: Header=BB376_16 Depth=1
	s_or_b32 exec_lo, exec_lo, s27
.LBB376_762:                            ;   in Loop: Header=BB376_16 Depth=1
	s_or_b32 exec_lo, exec_lo, s26
.LBB376_763:                            ;   in Loop: Header=BB376_16 Depth=1
	s_or_b32 exec_lo, exec_lo, s25
	v_cmp_ne_u16_sdwa s5, v19, v20 src0_sel:BYTE_1 src1_sel:DWORD
	s_and_saveexec_b32 s25, s5
	s_cbranch_execz .LBB376_771
; %bb.764:                              ;   in Loop: Header=BB376_16 Depth=1
	v_cmp_ne_u16_sdwa s5, v19, v98 src0_sel:BYTE_1 src1_sel:DWORD
	v_bfrev_b32_e32 v83, 1
	s_and_saveexec_b32 s26, s5
	s_cbranch_execz .LBB376_770
; %bb.765:                              ;   in Loop: Header=BB376_16 Depth=1
	v_mov_b32_e32 v8, 0xffff
	v_mov_b32_e32 v83, 0x7f800001
	s_mov_b32 s27, exec_lo
	v_and_b32_sdwa v8, v8, v19 dst_sel:DWORD dst_unused:UNUSED_PAD src0_sel:DWORD src1_sel:BYTE_1
	v_and_b32_e32 v9, 0x7f, v8
	v_cmpx_ne_u32_e32 0x7f, v9
	s_cbranch_execz .LBB376_769
; %bb.766:                              ;   in Loop: Header=BB376_16 Depth=1
	v_and_b32_e32 v35, 7, v8
	v_mov_b32_e32 v36, v20
	v_lshrrev_b32_e32 v8, 3, v9
	s_mov_b32 s28, exec_lo
	v_cmpx_gt_u32_e32 8, v9
; %bb.767:                              ;   in Loop: Header=BB376_16 Depth=1
	v_ffbh_u32_e32 v8, v35
	v_min_u32_e32 v8, 32, v8
	v_subrev_nc_u32_e32 v9, 28, v8
	v_sub_nc_u32_e32 v8, 29, v8
	v_lshlrev_b64 v[24:25], v9, v[35:36]
	v_and_b32_e32 v35, 7, v24
; %bb.768:                              ;   in Loop: Header=BB376_16 Depth=1
	s_or_b32 exec_lo, exec_lo, s28
	v_lshlrev_b32_e32 v9, 16, v19
	v_lshlrev_b32_e32 v13, 20, v35
	v_lshl_add_u32 v8, v8, 23, 0x3c000000
	v_and_b32_e32 v9, 0x80000000, v9
	v_or3_b32 v83, v13, v9, v8
.LBB376_769:                            ;   in Loop: Header=BB376_16 Depth=1
	s_or_b32 exec_lo, exec_lo, s27
.LBB376_770:                            ;   in Loop: Header=BB376_16 Depth=1
	s_or_b32 exec_lo, exec_lo, s26
.LBB376_771:                            ;   in Loop: Header=BB376_16 Depth=1
	s_or_b32 exec_lo, exec_lo, s25
	v_and_b32_sdwa v9, v34, v100 dst_sel:DWORD dst_unused:UNUSED_PAD src0_sel:WORD_1 src1_sel:DWORD
	v_mov_b32_e32 v87, 0
	v_mov_b32_e32 v8, 0
	s_mov_b32 s25, exec_lo
	v_cmpx_ne_u16_e32 0, v9
	s_cbranch_execz .LBB376_779
; %bb.772:                              ;   in Loop: Header=BB376_16 Depth=1
	v_bfrev_b32_e32 v8, 1
	s_mov_b32 s26, exec_lo
	v_cmpx_ne_u16_e32 0x80, v9
	s_cbranch_execz .LBB376_778
; %bb.773:                              ;   in Loop: Header=BB376_16 Depth=1
	v_bfe_u32 v9, v34, 16, 7
	v_mov_b32_e32 v8, 0x7f800001
	s_mov_b32 s27, exec_lo
	v_cmpx_ne_u32_e32 0x7f, v9
	s_cbranch_execz .LBB376_777
; %bb.774:                              ;   in Loop: Header=BB376_16 Depth=1
	v_mov_b32_e32 v8, 7
	s_mov_b32 s28, exec_lo
	v_and_b32_sdwa v19, v34, v8 dst_sel:DWORD dst_unused:UNUSED_PAD src0_sel:WORD_1 src1_sel:DWORD
	v_mov_b32_e32 v36, v20
	v_lshrrev_b32_e32 v8, 3, v9
	v_mov_b32_e32 v35, v19
	v_cmpx_gt_u32_e32 8, v9
; %bb.775:                              ;   in Loop: Header=BB376_16 Depth=1
	v_ffbh_u32_e32 v8, v19
	v_min_u32_e32 v8, 32, v8
	v_subrev_nc_u32_e32 v9, 28, v8
	v_sub_nc_u32_e32 v8, 29, v8
	v_lshlrev_b64 v[24:25], v9, v[19:20]
	v_and_b32_e32 v35, 7, v24
; %bb.776:                              ;   in Loop: Header=BB376_16 Depth=1
	s_or_b32 exec_lo, exec_lo, s28
	v_mov_b32_e32 v9, 24
	v_lshlrev_b32_e32 v13, 20, v35
	v_lshl_add_u32 v8, v8, 23, 0x3c000000
	v_lshlrev_b32_sdwa v9, v9, v34 dst_sel:DWORD dst_unused:UNUSED_PAD src0_sel:DWORD src1_sel:WORD_1
	v_and_b32_e32 v9, 0x80000000, v9
	v_or3_b32 v8, v13, v9, v8
.LBB376_777:                            ;   in Loop: Header=BB376_16 Depth=1
	s_or_b32 exec_lo, exec_lo, s27
.LBB376_778:                            ;   in Loop: Header=BB376_16 Depth=1
	s_or_b32 exec_lo, exec_lo, s26
.LBB376_779:                            ;   in Loop: Header=BB376_16 Depth=1
	s_or_b32 exec_lo, exec_lo, s25
	s_mov_b32 s25, exec_lo
	v_cmpx_lt_u64_e64 s[20:21], v[33:34]
	s_cbranch_execz .LBB376_787
; %bb.780:                              ;   in Loop: Header=BB376_16 Depth=1
	v_cmp_ne_u32_sdwa s5, v34, v98 src0_sel:BYTE_3 src1_sel:DWORD
	v_bfrev_b32_e32 v87, 1
	s_and_saveexec_b32 s26, s5
	s_cbranch_execz .LBB376_786
; %bb.781:                              ;   in Loop: Header=BB376_16 Depth=1
	v_bfe_u32 v13, v34, 24, 7
	v_mov_b32_e32 v87, 0x7f800001
	s_mov_b32 s27, exec_lo
	v_cmpx_ne_u32_e32 0x7f, v13
	s_cbranch_execz .LBB376_785
; %bb.782:                              ;   in Loop: Header=BB376_16 Depth=1
	v_mov_b32_e32 v9, 7
	s_mov_b32 s28, exec_lo
	v_and_b32_sdwa v19, v34, v9 dst_sel:DWORD dst_unused:UNUSED_PAD src0_sel:BYTE_3 src1_sel:DWORD
	v_mov_b32_e32 v36, v20
	v_lshrrev_b32_e32 v9, 3, v13
	v_mov_b32_e32 v35, v19
	v_cmpx_gt_u32_e32 8, v13
; %bb.783:                              ;   in Loop: Header=BB376_16 Depth=1
	v_ffbh_u32_e32 v9, v19
	v_min_u32_e32 v9, 32, v9
	v_subrev_nc_u32_e32 v13, 28, v9
	v_sub_nc_u32_e32 v9, 29, v9
	v_lshlrev_b64 v[24:25], v13, v[19:20]
	v_and_b32_e32 v35, 7, v24
; %bb.784:                              ;   in Loop: Header=BB376_16 Depth=1
	s_or_b32 exec_lo, exec_lo, s28
	v_mov_b32_e32 v13, 24
	v_lshlrev_b32_e32 v19, 20, v35
	v_lshl_add_u32 v9, v9, 23, 0x3c000000
	v_lshlrev_b32_sdwa v13, v13, v34 dst_sel:DWORD dst_unused:UNUSED_PAD src0_sel:DWORD src1_sel:BYTE_3
	v_and_b32_e32 v13, 0x80000000, v13
	v_or3_b32 v87, v19, v13, v9
.LBB376_785:                            ;   in Loop: Header=BB376_16 Depth=1
	s_or_b32 exec_lo, exec_lo, s27
.LBB376_786:                            ;   in Loop: Header=BB376_16 Depth=1
	s_or_b32 exec_lo, exec_lo, s26
.LBB376_787:                            ;   in Loop: Header=BB376_16 Depth=1
	s_or_b32 exec_lo, exec_lo, s25
	flat_load_dwordx2 v[33:34], v[31:32] offset:1024
	v_mov_b32_e32 v86, 0
	v_mov_b32_e32 v13, 0
	s_waitcnt vmcnt(0) lgkmcnt(0)
	v_cmp_ne_u16_sdwa s5, v33, v20 src0_sel:BYTE_0 src1_sel:DWORD
	s_and_saveexec_b32 s25, s5
	s_cbranch_execz .LBB376_795
; %bb.788:                              ;   in Loop: Header=BB376_16 Depth=1
	v_cmp_ne_u16_sdwa s5, v33, v98 src0_sel:BYTE_0 src1_sel:DWORD
	v_bfrev_b32_e32 v13, 1
	s_and_saveexec_b32 s26, s5
	s_cbranch_execz .LBB376_794
; %bb.789:                              ;   in Loop: Header=BB376_16 Depth=1
	v_and_b32_e32 v19, 0x7f, v33
	v_mov_b32_e32 v13, 0x7f800001
	s_mov_b32 s27, exec_lo
	v_cmpx_ne_u32_e32 0x7f, v19
	s_cbranch_execz .LBB376_793
; %bb.790:                              ;   in Loop: Header=BB376_16 Depth=1
	v_mov_b32_e32 v36, v34
	v_lshrrev_b32_e32 v9, 3, v19
	v_mov_b32_e32 v35, v33
	s_mov_b32 s28, exec_lo
	v_cmpx_gt_u32_e32 8, v19
; %bb.791:                              ;   in Loop: Header=BB376_16 Depth=1
	v_and_b32_e32 v9, 7, v33
	v_ffbh_u32_e32 v9, v9
	v_min_u32_e32 v9, 32, v9
	v_subrev_nc_u32_e32 v13, 28, v9
	v_sub_nc_u32_e32 v9, 29, v9
	v_lshlrev_b64 v[35:36], v13, v[33:34]
; %bb.792:                              ;   in Loop: Header=BB376_16 Depth=1
	s_or_b32 exec_lo, exec_lo, s28
	v_lshlrev_b32_e32 v13, 20, v35
	v_lshlrev_b32_e32 v19, 24, v33
	v_lshl_add_u32 v9, v9, 23, 0x3c000000
	v_and_b32_e32 v13, 0x700000, v13
	v_and_b32_e32 v19, 0x80000000, v19
	v_or3_b32 v13, v13, v19, v9
.LBB376_793:                            ;   in Loop: Header=BB376_16 Depth=1
	s_or_b32 exec_lo, exec_lo, s27
.LBB376_794:                            ;   in Loop: Header=BB376_16 Depth=1
	s_or_b32 exec_lo, exec_lo, s26
.LBB376_795:                            ;   in Loop: Header=BB376_16 Depth=1
	s_or_b32 exec_lo, exec_lo, s25
	v_cmp_ne_u16_sdwa s5, v33, v20 src0_sel:BYTE_1 src1_sel:DWORD
	s_and_saveexec_b32 s25, s5
	s_cbranch_execz .LBB376_803
; %bb.796:                              ;   in Loop: Header=BB376_16 Depth=1
	v_cmp_ne_u16_sdwa s5, v33, v98 src0_sel:BYTE_1 src1_sel:DWORD
	v_bfrev_b32_e32 v86, 1
	s_and_saveexec_b32 s26, s5
	s_cbranch_execz .LBB376_802
; %bb.797:                              ;   in Loop: Header=BB376_16 Depth=1
	v_mov_b32_e32 v9, 0xffff
	v_mov_b32_e32 v86, 0x7f800001
	s_mov_b32 s27, exec_lo
	v_and_b32_sdwa v9, v9, v33 dst_sel:DWORD dst_unused:UNUSED_PAD src0_sel:DWORD src1_sel:BYTE_1
	v_and_b32_e32 v24, 0x7f, v9
	v_cmpx_ne_u32_e32 0x7f, v24
	s_cbranch_execz .LBB376_801
; %bb.798:                              ;   in Loop: Header=BB376_16 Depth=1
	v_and_b32_e32 v19, 7, v9
	v_mov_b32_e32 v36, v20
	v_lshrrev_b32_e32 v9, 3, v24
	s_mov_b32 s28, exec_lo
	v_mov_b32_e32 v35, v19
	v_cmpx_gt_u32_e32 8, v24
; %bb.799:                              ;   in Loop: Header=BB376_16 Depth=1
	v_ffbh_u32_e32 v9, v19
	v_min_u32_e32 v9, 32, v9
	v_subrev_nc_u32_e32 v24, 28, v9
	v_sub_nc_u32_e32 v9, 29, v9
	v_lshlrev_b64 v[24:25], v24, v[19:20]
	v_and_b32_e32 v35, 7, v24
; %bb.800:                              ;   in Loop: Header=BB376_16 Depth=1
	s_or_b32 exec_lo, exec_lo, s28
	v_lshlrev_b32_e32 v19, 16, v33
	v_lshlrev_b32_e32 v24, 20, v35
	v_lshl_add_u32 v9, v9, 23, 0x3c000000
	v_and_b32_e32 v19, 0x80000000, v19
	v_or3_b32 v86, v24, v19, v9
.LBB376_801:                            ;   in Loop: Header=BB376_16 Depth=1
	s_or_b32 exec_lo, exec_lo, s27
.LBB376_802:                            ;   in Loop: Header=BB376_16 Depth=1
	s_or_b32 exec_lo, exec_lo, s26
.LBB376_803:                            ;   in Loop: Header=BB376_16 Depth=1
	s_or_b32 exec_lo, exec_lo, s25
	v_and_b32_sdwa v9, v33, v100 dst_sel:DWORD dst_unused:UNUSED_PAD src0_sel:WORD_1 src1_sel:DWORD
	v_mov_b32_e32 v25, 0
	v_mov_b32_e32 v114, 0
	s_mov_b32 s25, exec_lo
	v_cmpx_ne_u16_e32 0, v9
	s_cbranch_execz .LBB376_811
; %bb.804:                              ;   in Loop: Header=BB376_16 Depth=1
	v_bfrev_b32_e32 v114, 1
	s_mov_b32 s26, exec_lo
	v_cmpx_ne_u16_e32 0x80, v9
	s_cbranch_execz .LBB376_810
; %bb.805:                              ;   in Loop: Header=BB376_16 Depth=1
	v_bfe_u32 v24, v33, 16, 7
	v_mov_b32_e32 v114, 0x7f800001
	s_mov_b32 s27, exec_lo
	v_cmpx_ne_u32_e32 0x7f, v24
	s_cbranch_execz .LBB376_809
; %bb.806:                              ;   in Loop: Header=BB376_16 Depth=1
	v_mov_b32_e32 v9, 7
	s_mov_b32 s28, exec_lo
	v_and_b32_sdwa v19, v33, v9 dst_sel:DWORD dst_unused:UNUSED_PAD src0_sel:WORD_1 src1_sel:DWORD
	v_mov_b32_e32 v36, v20
	v_lshrrev_b32_e32 v9, 3, v24
	v_mov_b32_e32 v35, v19
	v_cmpx_gt_u32_e32 8, v24
; %bb.807:                              ;   in Loop: Header=BB376_16 Depth=1
	v_ffbh_u32_e32 v9, v19
	v_min_u32_e32 v9, 32, v9
	v_subrev_nc_u32_e32 v24, 28, v9
	v_sub_nc_u32_e32 v9, 29, v9
	v_lshlrev_b64 v[35:36], v24, v[19:20]
	v_and_b32_e32 v35, 7, v35
; %bb.808:                              ;   in Loop: Header=BB376_16 Depth=1
	s_or_b32 exec_lo, exec_lo, s28
	v_mov_b32_e32 v19, 24
	v_lshlrev_b32_e32 v24, 20, v35
	v_lshl_add_u32 v9, v9, 23, 0x3c000000
	v_lshlrev_b32_sdwa v19, v19, v33 dst_sel:DWORD dst_unused:UNUSED_PAD src0_sel:DWORD src1_sel:WORD_1
	v_and_b32_e32 v19, 0x80000000, v19
	v_or3_b32 v114, v24, v19, v9
.LBB376_809:                            ;   in Loop: Header=BB376_16 Depth=1
	s_or_b32 exec_lo, exec_lo, s27
.LBB376_810:                            ;   in Loop: Header=BB376_16 Depth=1
	s_or_b32 exec_lo, exec_lo, s26
.LBB376_811:                            ;   in Loop: Header=BB376_16 Depth=1
	s_or_b32 exec_lo, exec_lo, s25
	s_mov_b32 s25, exec_lo
	v_cmpx_lt_u32_e32 0xffffff, v33
	s_cbranch_execz .LBB376_819
; %bb.812:                              ;   in Loop: Header=BB376_16 Depth=1
	v_cmp_ne_u32_sdwa s5, v33, v98 src0_sel:BYTE_3 src1_sel:DWORD
	v_bfrev_b32_e32 v25, 1
	s_and_saveexec_b32 s26, s5
	s_cbranch_execz .LBB376_818
; %bb.813:                              ;   in Loop: Header=BB376_16 Depth=1
	v_bfe_u32 v24, v33, 24, 7
	v_mov_b32_e32 v25, 0x7f800001
	s_mov_b32 s27, exec_lo
	v_cmpx_ne_u32_e32 0x7f, v24
	s_cbranch_execz .LBB376_817
; %bb.814:                              ;   in Loop: Header=BB376_16 Depth=1
	v_mov_b32_e32 v9, 7
	s_mov_b32 s28, exec_lo
	v_and_b32_sdwa v19, v33, v9 dst_sel:DWORD dst_unused:UNUSED_PAD src0_sel:BYTE_3 src1_sel:DWORD
	v_mov_b32_e32 v36, v20
	v_lshrrev_b32_e32 v9, 3, v24
	v_mov_b32_e32 v35, v19
	v_cmpx_gt_u32_e32 8, v24
; %bb.815:                              ;   in Loop: Header=BB376_16 Depth=1
	v_ffbh_u32_e32 v9, v19
	v_min_u32_e32 v9, 32, v9
	v_subrev_nc_u32_e32 v24, 28, v9
	v_sub_nc_u32_e32 v9, 29, v9
	v_lshlrev_b64 v[24:25], v24, v[19:20]
	v_and_b32_e32 v35, 7, v24
; %bb.816:                              ;   in Loop: Header=BB376_16 Depth=1
	s_or_b32 exec_lo, exec_lo, s28
	v_mov_b32_e32 v19, 24
	v_lshlrev_b32_e32 v24, 20, v35
	v_lshl_add_u32 v9, v9, 23, 0x3c000000
	v_lshlrev_b32_sdwa v19, v19, v33 dst_sel:DWORD dst_unused:UNUSED_PAD src0_sel:DWORD src1_sel:BYTE_3
	v_and_b32_e32 v19, 0x80000000, v19
	v_or3_b32 v25, v24, v19, v9
.LBB376_817:                            ;   in Loop: Header=BB376_16 Depth=1
	s_or_b32 exec_lo, exec_lo, s27
.LBB376_818:                            ;   in Loop: Header=BB376_16 Depth=1
	s_or_b32 exec_lo, exec_lo, s26
.LBB376_819:                            ;   in Loop: Header=BB376_16 Depth=1
	s_or_b32 exec_lo, exec_lo, s25
	v_mov_b32_e32 v19, v34
	v_cmp_ne_u16_sdwa s5, v34, v20 src0_sel:BYTE_0 src1_sel:DWORD
	v_mov_b32_e32 v118, 0
	v_mov_b32_e32 v116, 0
	s_and_saveexec_b32 s25, s5
	s_cbranch_execz .LBB376_827
; %bb.820:                              ;   in Loop: Header=BB376_16 Depth=1
	v_cmp_ne_u16_sdwa s5, v34, v98 src0_sel:BYTE_0 src1_sel:DWORD
	v_bfrev_b32_e32 v116, 1
	s_and_saveexec_b32 s26, s5
	s_cbranch_execz .LBB376_826
; %bb.821:                              ;   in Loop: Header=BB376_16 Depth=1
	v_and_b32_e32 v24, 0x7f, v34
	v_mov_b32_e32 v116, 0x7f800001
	s_mov_b32 s27, exec_lo
	v_cmpx_ne_u32_e32 0x7f, v24
	s_cbranch_execz .LBB376_825
; %bb.822:                              ;   in Loop: Header=BB376_16 Depth=1
	v_mov_b32_e32 v36, v20
	v_lshrrev_b32_e32 v9, 3, v24
	v_mov_b32_e32 v35, v19
	s_mov_b32 s28, exec_lo
	v_cmpx_gt_u32_e32 8, v24
; %bb.823:                              ;   in Loop: Header=BB376_16 Depth=1
	v_and_b32_e32 v9, 7, v34
	v_ffbh_u32_e32 v9, v9
	v_min_u32_e32 v9, 32, v9
	v_subrev_nc_u32_e32 v24, 28, v9
	v_sub_nc_u32_e32 v9, 29, v9
	v_lshlrev_b64 v[35:36], v24, v[19:20]
; %bb.824:                              ;   in Loop: Header=BB376_16 Depth=1
	s_or_b32 exec_lo, exec_lo, s28
	v_lshlrev_b32_e32 v24, 20, v35
	v_lshlrev_b32_e32 v35, 24, v19
	v_lshl_add_u32 v9, v9, 23, 0x3c000000
	v_and_b32_e32 v24, 0x700000, v24
	v_and_b32_e32 v35, 0x80000000, v35
	v_or3_b32 v116, v24, v35, v9
.LBB376_825:                            ;   in Loop: Header=BB376_16 Depth=1
	s_or_b32 exec_lo, exec_lo, s27
.LBB376_826:                            ;   in Loop: Header=BB376_16 Depth=1
	s_or_b32 exec_lo, exec_lo, s26
.LBB376_827:                            ;   in Loop: Header=BB376_16 Depth=1
	s_or_b32 exec_lo, exec_lo, s25
	v_cmp_ne_u16_sdwa s5, v19, v20 src0_sel:BYTE_1 src1_sel:DWORD
	s_and_saveexec_b32 s25, s5
	s_cbranch_execz .LBB376_835
; %bb.828:                              ;   in Loop: Header=BB376_16 Depth=1
	v_cmp_ne_u16_sdwa s5, v19, v98 src0_sel:BYTE_1 src1_sel:DWORD
	v_bfrev_b32_e32 v118, 1
	s_and_saveexec_b32 s26, s5
	s_cbranch_execz .LBB376_834
; %bb.829:                              ;   in Loop: Header=BB376_16 Depth=1
	v_mov_b32_e32 v9, 0xffff
	v_mov_b32_e32 v118, 0x7f800001
	s_mov_b32 s27, exec_lo
	v_and_b32_sdwa v9, v9, v19 dst_sel:DWORD dst_unused:UNUSED_PAD src0_sel:DWORD src1_sel:BYTE_1
	v_and_b32_e32 v24, 0x7f, v9
	v_cmpx_ne_u32_e32 0x7f, v24
	s_cbranch_execz .LBB376_833
; %bb.830:                              ;   in Loop: Header=BB376_16 Depth=1
	v_and_b32_e32 v35, 7, v9
	v_mov_b32_e32 v36, v20
	v_lshrrev_b32_e32 v9, 3, v24
	s_mov_b32 s28, exec_lo
	v_cmpx_gt_u32_e32 8, v24
; %bb.831:                              ;   in Loop: Header=BB376_16 Depth=1
	v_ffbh_u32_e32 v9, v35
	v_min_u32_e32 v9, 32, v9
	v_subrev_nc_u32_e32 v24, 28, v9
	v_sub_nc_u32_e32 v9, 29, v9
	v_lshlrev_b64 v[35:36], v24, v[35:36]
	v_and_b32_e32 v35, 7, v35
; %bb.832:                              ;   in Loop: Header=BB376_16 Depth=1
	s_or_b32 exec_lo, exec_lo, s28
	v_lshlrev_b32_e32 v19, 16, v19
	v_lshlrev_b32_e32 v24, 20, v35
	v_lshl_add_u32 v9, v9, 23, 0x3c000000
	v_and_b32_e32 v19, 0x80000000, v19
	v_or3_b32 v118, v24, v19, v9
.LBB376_833:                            ;   in Loop: Header=BB376_16 Depth=1
	s_or_b32 exec_lo, exec_lo, s27
.LBB376_834:                            ;   in Loop: Header=BB376_16 Depth=1
	s_or_b32 exec_lo, exec_lo, s26
.LBB376_835:                            ;   in Loop: Header=BB376_16 Depth=1
	s_or_b32 exec_lo, exec_lo, s25
	v_and_b32_sdwa v9, v34, v100 dst_sel:DWORD dst_unused:UNUSED_PAD src0_sel:WORD_1 src1_sel:DWORD
	v_mov_b32_e32 v119, 0
	v_mov_b32_e32 v40, 0
	s_mov_b32 s25, exec_lo
	v_cmpx_ne_u16_e32 0, v9
	s_cbranch_execz .LBB376_843
; %bb.836:                              ;   in Loop: Header=BB376_16 Depth=1
	v_bfrev_b32_e32 v40, 1
	s_mov_b32 s26, exec_lo
	v_cmpx_ne_u16_e32 0x80, v9
	s_cbranch_execz .LBB376_842
; %bb.837:                              ;   in Loop: Header=BB376_16 Depth=1
	v_bfe_u32 v24, v34, 16, 7
	v_mov_b32_e32 v40, 0x7f800001
	s_mov_b32 s27, exec_lo
	v_cmpx_ne_u32_e32 0x7f, v24
	s_cbranch_execz .LBB376_841
; %bb.838:                              ;   in Loop: Header=BB376_16 Depth=1
	v_mov_b32_e32 v9, 7
	s_mov_b32 s28, exec_lo
	v_and_b32_sdwa v19, v34, v9 dst_sel:DWORD dst_unused:UNUSED_PAD src0_sel:WORD_1 src1_sel:DWORD
	v_mov_b32_e32 v36, v20
	v_lshrrev_b32_e32 v9, 3, v24
	v_mov_b32_e32 v35, v19
	v_cmpx_gt_u32_e32 8, v24
; %bb.839:                              ;   in Loop: Header=BB376_16 Depth=1
	v_ffbh_u32_e32 v9, v19
	v_min_u32_e32 v9, 32, v9
	v_subrev_nc_u32_e32 v24, 28, v9
	v_sub_nc_u32_e32 v9, 29, v9
	v_lshlrev_b64 v[35:36], v24, v[19:20]
	v_and_b32_e32 v35, 7, v35
; %bb.840:                              ;   in Loop: Header=BB376_16 Depth=1
	s_or_b32 exec_lo, exec_lo, s28
	v_mov_b32_e32 v19, 24
	v_lshlrev_b32_e32 v24, 20, v35
	v_lshl_add_u32 v9, v9, 23, 0x3c000000
	v_lshlrev_b32_sdwa v19, v19, v34 dst_sel:DWORD dst_unused:UNUSED_PAD src0_sel:DWORD src1_sel:WORD_1
	v_and_b32_e32 v19, 0x80000000, v19
	v_or3_b32 v40, v24, v19, v9
.LBB376_841:                            ;   in Loop: Header=BB376_16 Depth=1
	s_or_b32 exec_lo, exec_lo, s27
.LBB376_842:                            ;   in Loop: Header=BB376_16 Depth=1
	s_or_b32 exec_lo, exec_lo, s26
.LBB376_843:                            ;   in Loop: Header=BB376_16 Depth=1
	s_or_b32 exec_lo, exec_lo, s25
	s_mov_b32 s25, exec_lo
	v_cmpx_lt_u64_e64 s[20:21], v[33:34]
	s_cbranch_execz .LBB376_851
; %bb.844:                              ;   in Loop: Header=BB376_16 Depth=1
	v_cmp_ne_u32_sdwa s5, v34, v98 src0_sel:BYTE_3 src1_sel:DWORD
	v_bfrev_b32_e32 v119, 1
	s_and_saveexec_b32 s26, s5
	s_cbranch_execz .LBB376_850
; %bb.845:                              ;   in Loop: Header=BB376_16 Depth=1
	v_bfe_u32 v24, v34, 24, 7
	v_mov_b32_e32 v119, 0x7f800001
	s_mov_b32 s27, exec_lo
	v_cmpx_ne_u32_e32 0x7f, v24
	s_cbranch_execz .LBB376_849
; %bb.846:                              ;   in Loop: Header=BB376_16 Depth=1
	v_mov_b32_e32 v9, 7
	s_mov_b32 s28, exec_lo
	v_and_b32_sdwa v19, v34, v9 dst_sel:DWORD dst_unused:UNUSED_PAD src0_sel:BYTE_3 src1_sel:DWORD
	v_mov_b32_e32 v36, v20
	v_lshrrev_b32_e32 v9, 3, v24
	v_mov_b32_e32 v35, v19
	v_cmpx_gt_u32_e32 8, v24
; %bb.847:                              ;   in Loop: Header=BB376_16 Depth=1
	v_ffbh_u32_e32 v9, v19
	v_min_u32_e32 v9, 32, v9
	v_subrev_nc_u32_e32 v24, 28, v9
	v_sub_nc_u32_e32 v9, 29, v9
	v_lshlrev_b64 v[35:36], v24, v[19:20]
	v_and_b32_e32 v35, 7, v35
; %bb.848:                              ;   in Loop: Header=BB376_16 Depth=1
	s_or_b32 exec_lo, exec_lo, s28
	v_mov_b32_e32 v19, 24
	v_lshlrev_b32_e32 v24, 20, v35
	v_lshl_add_u32 v9, v9, 23, 0x3c000000
	v_lshlrev_b32_sdwa v19, v19, v34 dst_sel:DWORD dst_unused:UNUSED_PAD src0_sel:DWORD src1_sel:BYTE_3
	v_and_b32_e32 v19, 0x80000000, v19
	v_or3_b32 v119, v24, v19, v9
.LBB376_849:                            ;   in Loop: Header=BB376_16 Depth=1
	s_or_b32 exec_lo, exec_lo, s27
.LBB376_850:                            ;   in Loop: Header=BB376_16 Depth=1
	s_or_b32 exec_lo, exec_lo, s26
.LBB376_851:                            ;   in Loop: Header=BB376_16 Depth=1
	s_or_b32 exec_lo, exec_lo, s25
	flat_load_dwordx2 v[31:32], v[31:32] offset:1032
	v_mov_b32_e32 v35, 0
	v_mov_b32_e32 v9, 0
	s_waitcnt vmcnt(0) lgkmcnt(0)
	v_cmp_ne_u16_sdwa s5, v31, v20 src0_sel:BYTE_0 src1_sel:DWORD
	s_and_saveexec_b32 s25, s5
	s_cbranch_execz .LBB376_859
; %bb.852:                              ;   in Loop: Header=BB376_16 Depth=1
	v_cmp_ne_u16_sdwa s5, v31, v98 src0_sel:BYTE_0 src1_sel:DWORD
	v_bfrev_b32_e32 v9, 1
	s_and_saveexec_b32 s26, s5
	s_cbranch_execz .LBB376_858
; %bb.853:                              ;   in Loop: Header=BB376_16 Depth=1
	v_and_b32_e32 v19, 0x7f, v31
	v_mov_b32_e32 v9, 0x7f800001
	s_mov_b32 s27, exec_lo
	v_cmpx_ne_u32_e32 0x7f, v19
	s_cbranch_execz .LBB376_857
; %bb.854:                              ;   in Loop: Header=BB376_16 Depth=1
	v_mov_b32_e32 v34, v32
	v_lshrrev_b32_e32 v9, 3, v19
	v_mov_b32_e32 v33, v31
	s_mov_b32 s28, exec_lo
	v_cmpx_gt_u32_e32 8, v19
; %bb.855:                              ;   in Loop: Header=BB376_16 Depth=1
	v_and_b32_e32 v9, 7, v31
	v_ffbh_u32_e32 v9, v9
	v_min_u32_e32 v9, 32, v9
	v_subrev_nc_u32_e32 v19, 28, v9
	v_sub_nc_u32_e32 v9, 29, v9
	v_lshlrev_b64 v[33:34], v19, v[31:32]
; %bb.856:                              ;   in Loop: Header=BB376_16 Depth=1
	s_or_b32 exec_lo, exec_lo, s28
	v_lshlrev_b32_e32 v19, 20, v33
	v_lshlrev_b32_e32 v24, 24, v31
	v_lshl_add_u32 v9, v9, 23, 0x3c000000
	v_and_b32_e32 v19, 0x700000, v19
	v_and_b32_e32 v24, 0x80000000, v24
	v_or3_b32 v9, v19, v24, v9
.LBB376_857:                            ;   in Loop: Header=BB376_16 Depth=1
	s_or_b32 exec_lo, exec_lo, s27
.LBB376_858:                            ;   in Loop: Header=BB376_16 Depth=1
	s_or_b32 exec_lo, exec_lo, s26
.LBB376_859:                            ;   in Loop: Header=BB376_16 Depth=1
	s_or_b32 exec_lo, exec_lo, s25
	v_cmp_ne_u16_sdwa s5, v31, v20 src0_sel:BYTE_1 src1_sel:DWORD
	s_and_saveexec_b32 s25, s5
	s_cbranch_execz .LBB376_867
; %bb.860:                              ;   in Loop: Header=BB376_16 Depth=1
	v_cmp_ne_u16_sdwa s5, v31, v98 src0_sel:BYTE_1 src1_sel:DWORD
	v_bfrev_b32_e32 v35, 1
	s_and_saveexec_b32 s26, s5
	s_cbranch_execz .LBB376_866
; %bb.861:                              ;   in Loop: Header=BB376_16 Depth=1
	v_mov_b32_e32 v19, 0xffff
	v_mov_b32_e32 v35, 0x7f800001
	s_mov_b32 s27, exec_lo
	v_and_b32_sdwa v19, v19, v31 dst_sel:DWORD dst_unused:UNUSED_PAD src0_sel:DWORD src1_sel:BYTE_1
	v_and_b32_e32 v33, 0x7f, v19
	v_cmpx_ne_u32_e32 0x7f, v33
	s_cbranch_execz .LBB376_865
; %bb.862:                              ;   in Loop: Header=BB376_16 Depth=1
	v_and_b32_e32 v19, 7, v19
	v_lshrrev_b32_e32 v24, 3, v33
	v_cmp_gt_u32_e64 s5, 8, v33
	v_mov_b32_e32 v34, v20
	v_mov_b32_e32 v33, v19
	s_and_saveexec_b32 s28, s5
; %bb.863:                              ;   in Loop: Header=BB376_16 Depth=1
	v_ffbh_u32_e32 v24, v19
	v_min_u32_e32 v24, 32, v24
	v_subrev_nc_u32_e32 v33, 28, v24
	v_sub_nc_u32_e32 v24, 29, v24
	v_lshlrev_b64 v[33:34], v33, v[19:20]
	v_and_b32_e32 v33, 7, v33
; %bb.864:                              ;   in Loop: Header=BB376_16 Depth=1
	s_or_b32 exec_lo, exec_lo, s28
	v_lshlrev_b32_e32 v19, 16, v31
	v_lshlrev_b32_e32 v33, 20, v33
	v_lshl_add_u32 v24, v24, 23, 0x3c000000
	v_and_b32_e32 v19, 0x80000000, v19
	v_or3_b32 v35, v33, v19, v24
.LBB376_865:                            ;   in Loop: Header=BB376_16 Depth=1
	s_or_b32 exec_lo, exec_lo, s27
.LBB376_866:                            ;   in Loop: Header=BB376_16 Depth=1
	s_or_b32 exec_lo, exec_lo, s26
.LBB376_867:                            ;   in Loop: Header=BB376_16 Depth=1
	s_or_b32 exec_lo, exec_lo, s25
	v_and_b32_sdwa v19, v31, v100 dst_sel:DWORD dst_unused:UNUSED_PAD src0_sel:WORD_1 src1_sel:DWORD
	v_mov_b32_e32 v55, 0
	v_mov_b32_e32 v36, 0
	s_mov_b32 s25, exec_lo
	v_cmpx_ne_u16_e32 0, v19
	s_cbranch_execz .LBB376_875
; %bb.868:                              ;   in Loop: Header=BB376_16 Depth=1
	v_bfrev_b32_e32 v36, 1
	s_mov_b32 s26, exec_lo
	v_cmpx_ne_u16_e32 0x80, v19
	s_cbranch_execz .LBB376_874
; %bb.869:                              ;   in Loop: Header=BB376_16 Depth=1
	v_bfe_u32 v33, v31, 16, 7
	v_mov_b32_e32 v36, 0x7f800001
	s_mov_b32 s27, exec_lo
	v_cmpx_ne_u32_e32 0x7f, v33
	s_cbranch_execz .LBB376_873
; %bb.870:                              ;   in Loop: Header=BB376_16 Depth=1
	v_mov_b32_e32 v19, 7
	v_lshrrev_b32_e32 v24, 3, v33
	v_cmp_gt_u32_e64 s5, 8, v33
	v_and_b32_sdwa v19, v31, v19 dst_sel:DWORD dst_unused:UNUSED_PAD src0_sel:WORD_1 src1_sel:DWORD
	v_mov_b32_e32 v34, v20
	v_mov_b32_e32 v33, v19
	s_and_saveexec_b32 s28, s5
; %bb.871:                              ;   in Loop: Header=BB376_16 Depth=1
	v_ffbh_u32_e32 v24, v19
	v_min_u32_e32 v24, 32, v24
	v_subrev_nc_u32_e32 v33, 28, v24
	v_sub_nc_u32_e32 v24, 29, v24
	v_lshlrev_b64 v[33:34], v33, v[19:20]
	v_and_b32_e32 v33, 7, v33
; %bb.872:                              ;   in Loop: Header=BB376_16 Depth=1
	s_or_b32 exec_lo, exec_lo, s28
	v_mov_b32_e32 v19, 24
	v_lshlrev_b32_e32 v33, 20, v33
	v_lshl_add_u32 v24, v24, 23, 0x3c000000
	v_lshlrev_b32_sdwa v19, v19, v31 dst_sel:DWORD dst_unused:UNUSED_PAD src0_sel:DWORD src1_sel:WORD_1
	v_and_b32_e32 v19, 0x80000000, v19
	v_or3_b32 v36, v33, v19, v24
.LBB376_873:                            ;   in Loop: Header=BB376_16 Depth=1
	s_or_b32 exec_lo, exec_lo, s27
.LBB376_874:                            ;   in Loop: Header=BB376_16 Depth=1
	s_or_b32 exec_lo, exec_lo, s26
.LBB376_875:                            ;   in Loop: Header=BB376_16 Depth=1
	s_or_b32 exec_lo, exec_lo, s25
	s_mov_b32 s25, exec_lo
	v_cmpx_lt_u32_e32 0xffffff, v31
	s_cbranch_execz .LBB376_883
; %bb.876:                              ;   in Loop: Header=BB376_16 Depth=1
	v_cmp_ne_u32_sdwa s5, v31, v98 src0_sel:BYTE_3 src1_sel:DWORD
	v_bfrev_b32_e32 v55, 1
	s_and_saveexec_b32 s26, s5
	s_cbranch_execz .LBB376_882
; %bb.877:                              ;   in Loop: Header=BB376_16 Depth=1
	v_bfe_u32 v33, v31, 24, 7
	v_mov_b32_e32 v55, 0x7f800001
	s_mov_b32 s27, exec_lo
	v_cmpx_ne_u32_e32 0x7f, v33
	s_cbranch_execz .LBB376_881
; %bb.878:                              ;   in Loop: Header=BB376_16 Depth=1
	v_mov_b32_e32 v19, 7
	v_lshrrev_b32_e32 v24, 3, v33
	v_cmp_gt_u32_e64 s5, 8, v33
	v_and_b32_sdwa v19, v31, v19 dst_sel:DWORD dst_unused:UNUSED_PAD src0_sel:BYTE_3 src1_sel:DWORD
	v_mov_b32_e32 v34, v20
	v_mov_b32_e32 v33, v19
	s_and_saveexec_b32 s28, s5
; %bb.879:                              ;   in Loop: Header=BB376_16 Depth=1
	v_ffbh_u32_e32 v24, v19
	v_min_u32_e32 v24, 32, v24
	v_subrev_nc_u32_e32 v33, 28, v24
	v_sub_nc_u32_e32 v24, 29, v24
	v_lshlrev_b64 v[33:34], v33, v[19:20]
	v_and_b32_e32 v33, 7, v33
; %bb.880:                              ;   in Loop: Header=BB376_16 Depth=1
	s_or_b32 exec_lo, exec_lo, s28
	v_mov_b32_e32 v19, 24
	v_lshlrev_b32_e32 v33, 20, v33
	v_lshl_add_u32 v24, v24, 23, 0x3c000000
	v_lshlrev_b32_sdwa v19, v19, v31 dst_sel:DWORD dst_unused:UNUSED_PAD src0_sel:DWORD src1_sel:BYTE_3
	v_and_b32_e32 v19, 0x80000000, v19
	v_or3_b32 v55, v33, v19, v24
.LBB376_881:                            ;   in Loop: Header=BB376_16 Depth=1
	s_or_b32 exec_lo, exec_lo, s27
.LBB376_882:                            ;   in Loop: Header=BB376_16 Depth=1
	s_or_b32 exec_lo, exec_lo, s26
.LBB376_883:                            ;   in Loop: Header=BB376_16 Depth=1
	s_or_b32 exec_lo, exec_lo, s25
	v_mov_b32_e32 v19, v32
	v_cmp_ne_u16_sdwa s5, v32, v20 src0_sel:BYTE_0 src1_sel:DWORD
	v_mov_b32_e32 v113, 0
	v_mov_b32_e32 v24, 0
	s_and_saveexec_b32 s25, s5
	s_cbranch_execz .LBB376_891
; %bb.884:                              ;   in Loop: Header=BB376_16 Depth=1
	v_cmp_ne_u16_sdwa s5, v32, v98 src0_sel:BYTE_0 src1_sel:DWORD
	v_bfrev_b32_e32 v24, 1
	s_and_saveexec_b32 s26, s5
	s_cbranch_execz .LBB376_890
; %bb.885:                              ;   in Loop: Header=BB376_16 Depth=1
	v_and_b32_e32 v33, 0x7f, v32
	v_mov_b32_e32 v24, 0x7f800001
	s_mov_b32 s27, exec_lo
	v_cmpx_ne_u32_e32 0x7f, v33
	s_cbranch_execz .LBB376_889
; %bb.886:                              ;   in Loop: Header=BB376_16 Depth=1
	v_lshrrev_b32_e32 v24, 3, v33
	v_cmp_gt_u32_e64 s5, 8, v33
	v_mov_b32_e32 v34, v20
	v_mov_b32_e32 v33, v19
	s_and_saveexec_b32 s28, s5
; %bb.887:                              ;   in Loop: Header=BB376_16 Depth=1
	v_and_b32_e32 v24, 7, v32
	v_ffbh_u32_e32 v24, v24
	v_min_u32_e32 v24, 32, v24
	v_subrev_nc_u32_e32 v33, 28, v24
	v_sub_nc_u32_e32 v24, 29, v24
	v_lshlrev_b64 v[33:34], v33, v[19:20]
; %bb.888:                              ;   in Loop: Header=BB376_16 Depth=1
	s_or_b32 exec_lo, exec_lo, s28
	v_lshlrev_b32_e32 v33, 20, v33
	v_lshlrev_b32_e32 v34, 24, v19
	v_lshl_add_u32 v24, v24, 23, 0x3c000000
	v_and_b32_e32 v33, 0x700000, v33
	v_and_b32_e32 v34, 0x80000000, v34
	v_or3_b32 v24, v33, v34, v24
.LBB376_889:                            ;   in Loop: Header=BB376_16 Depth=1
	s_or_b32 exec_lo, exec_lo, s27
.LBB376_890:                            ;   in Loop: Header=BB376_16 Depth=1
	s_or_b32 exec_lo, exec_lo, s26
.LBB376_891:                            ;   in Loop: Header=BB376_16 Depth=1
	s_or_b32 exec_lo, exec_lo, s25
	v_cmp_ne_u16_sdwa s5, v19, v20 src0_sel:BYTE_1 src1_sel:DWORD
	s_and_saveexec_b32 s25, s5
	s_cbranch_execz .LBB376_899
; %bb.892:                              ;   in Loop: Header=BB376_16 Depth=1
	v_cmp_ne_u16_sdwa s5, v19, v98 src0_sel:BYTE_1 src1_sel:DWORD
	v_bfrev_b32_e32 v113, 1
	s_and_saveexec_b32 s26, s5
	s_cbranch_execz .LBB376_898
; %bb.893:                              ;   in Loop: Header=BB376_16 Depth=1
	v_mov_b32_e32 v33, 0xffff
	v_mov_b32_e32 v113, 0x7f800001
	s_mov_b32 s27, exec_lo
	v_and_b32_sdwa v33, v33, v19 dst_sel:DWORD dst_unused:UNUSED_PAD src0_sel:DWORD src1_sel:BYTE_1
	v_and_b32_e32 v115, 0x7f, v33
	v_cmpx_ne_u32_e32 0x7f, v115
	s_cbranch_execz .LBB376_897
; %bb.894:                              ;   in Loop: Header=BB376_16 Depth=1
	v_and_b32_e32 v33, 7, v33
	v_mov_b32_e32 v34, v20
	v_lshrrev_b32_e32 v113, 3, v115
	s_mov_b32 s28, exec_lo
	v_cmpx_gt_u32_e32 8, v115
; %bb.895:                              ;   in Loop: Header=BB376_16 Depth=1
	v_ffbh_u32_e32 v113, v33
	v_min_u32_e32 v113, 32, v113
	v_subrev_nc_u32_e32 v115, 28, v113
	v_sub_nc_u32_e32 v113, 29, v113
	v_lshlrev_b64 v[33:34], v115, v[33:34]
	v_and_b32_e32 v33, 7, v33
; %bb.896:                              ;   in Loop: Header=BB376_16 Depth=1
	s_or_b32 exec_lo, exec_lo, s28
	v_lshlrev_b32_e32 v19, 16, v19
	v_lshlrev_b32_e32 v33, 20, v33
	v_lshl_add_u32 v34, v113, 23, 0x3c000000
	v_and_b32_e32 v19, 0x80000000, v19
	v_or3_b32 v113, v33, v19, v34
.LBB376_897:                            ;   in Loop: Header=BB376_16 Depth=1
	s_or_b32 exec_lo, exec_lo, s27
.LBB376_898:                            ;   in Loop: Header=BB376_16 Depth=1
	s_or_b32 exec_lo, exec_lo, s26
.LBB376_899:                            ;   in Loop: Header=BB376_16 Depth=1
	s_or_b32 exec_lo, exec_lo, s25
	v_and_b32_sdwa v19, v32, v100 dst_sel:DWORD dst_unused:UNUSED_PAD src0_sel:WORD_1 src1_sel:DWORD
	v_mov_b32_e32 v115, 0
	v_mov_b32_e32 v117, 0
	s_mov_b32 s25, exec_lo
	v_cmpx_ne_u16_e32 0, v19
	s_cbranch_execz .LBB376_907
; %bb.900:                              ;   in Loop: Header=BB376_16 Depth=1
	v_bfrev_b32_e32 v117, 1
	s_mov_b32 s26, exec_lo
	v_cmpx_ne_u16_e32 0x80, v19
	s_cbranch_execz .LBB376_906
; %bb.901:                              ;   in Loop: Header=BB376_16 Depth=1
	v_bfe_u32 v33, v32, 16, 7
	v_mov_b32_e32 v117, 0x7f800001
	s_mov_b32 s27, exec_lo
	v_cmpx_ne_u32_e32 0x7f, v33
	s_cbranch_execz .LBB376_905
; %bb.902:                              ;   in Loop: Header=BB376_16 Depth=1
	v_mov_b32_e32 v19, 7
	v_lshrrev_b32_e32 v117, 3, v33
	v_cmp_gt_u32_e64 s5, 8, v33
	v_and_b32_sdwa v19, v32, v19 dst_sel:DWORD dst_unused:UNUSED_PAD src0_sel:WORD_1 src1_sel:DWORD
	v_mov_b32_e32 v34, v20
	v_mov_b32_e32 v33, v19
	s_and_saveexec_b32 s28, s5
; %bb.903:                              ;   in Loop: Header=BB376_16 Depth=1
	v_ffbh_u32_e32 v33, v19
	v_min_u32_e32 v117, 32, v33
	v_subrev_nc_u32_e32 v33, 28, v117
	v_sub_nc_u32_e32 v117, 29, v117
	v_lshlrev_b64 v[33:34], v33, v[19:20]
	v_and_b32_e32 v33, 7, v33
; %bb.904:                              ;   in Loop: Header=BB376_16 Depth=1
	s_or_b32 exec_lo, exec_lo, s28
	v_mov_b32_e32 v19, 24
	v_lshlrev_b32_e32 v33, 20, v33
	v_lshl_add_u32 v34, v117, 23, 0x3c000000
	v_lshlrev_b32_sdwa v19, v19, v32 dst_sel:DWORD dst_unused:UNUSED_PAD src0_sel:DWORD src1_sel:WORD_1
	v_and_b32_e32 v19, 0x80000000, v19
	v_or3_b32 v117, v33, v19, v34
.LBB376_905:                            ;   in Loop: Header=BB376_16 Depth=1
	s_or_b32 exec_lo, exec_lo, s27
.LBB376_906:                            ;   in Loop: Header=BB376_16 Depth=1
	s_or_b32 exec_lo, exec_lo, s26
.LBB376_907:                            ;   in Loop: Header=BB376_16 Depth=1
	s_or_b32 exec_lo, exec_lo, s25
	s_mov_b32 s25, exec_lo
	v_cmpx_lt_u64_e64 s[20:21], v[31:32]
	s_cbranch_execz .LBB376_14
; %bb.908:                              ;   in Loop: Header=BB376_16 Depth=1
	v_cmp_ne_u32_sdwa s5, v32, v98 src0_sel:BYTE_3 src1_sel:DWORD
	v_bfrev_b32_e32 v115, 1
	s_and_saveexec_b32 s26, s5
	s_cbranch_execz .LBB376_13
; %bb.909:                              ;   in Loop: Header=BB376_16 Depth=1
	v_bfe_u32 v33, v32, 24, 7
	v_mov_b32_e32 v115, 0x7f800001
	s_mov_b32 s27, exec_lo
	v_cmpx_ne_u32_e32 0x7f, v33
	s_cbranch_execz .LBB376_12
; %bb.910:                              ;   in Loop: Header=BB376_16 Depth=1
	v_mov_b32_e32 v19, 7
	v_lshrrev_b32_e32 v31, 3, v33
	v_cmp_gt_u32_e64 s5, 8, v33
	v_and_b32_sdwa v19, v32, v19 dst_sel:DWORD dst_unused:UNUSED_PAD src0_sel:BYTE_3 src1_sel:DWORD
	v_mov_b32_e32 v34, v20
	v_mov_b32_e32 v33, v19
	s_and_saveexec_b32 s28, s5
	s_cbranch_execz .LBB376_11
; %bb.911:                              ;   in Loop: Header=BB376_16 Depth=1
	v_ffbh_u32_e32 v31, v19
	v_min_u32_e32 v31, 32, v31
	v_subrev_nc_u32_e32 v33, 28, v31
	v_sub_nc_u32_e32 v31, 29, v31
	v_lshlrev_b64 v[33:34], v33, v[19:20]
	v_and_b32_e32 v33, 7, v33
	s_branch .LBB376_11
.LBB376_912:
	s_or_b32 exec_lo, exec_lo, s17
	s_clause 0xf
	buffer_load_dword v15, off, s[0:3], s32 offset:760
	buffer_load_dword v14, off, s[0:3], s32 offset:764
	buffer_load_dword v30, off, s[0:3], s32 offset:768
	buffer_load_dword v11, off, s[0:3], s32 offset:772
	buffer_load_dword v10, off, s[0:3], s32 offset:776
	buffer_load_dword v22, off, s[0:3], s32 offset:780
	buffer_load_dword v24, off, s[0:3], s32 offset:784
	buffer_load_dword v25, off, s[0:3], s32 offset:788
	buffer_load_dword v26, off, s[0:3], s32 offset:792
	buffer_load_dword v35, off, s[0:3], s32 offset:796
	buffer_load_dword v36, off, s[0:3], s32 offset:800
	buffer_load_dword v37, off, s[0:3], s32 offset:804
	buffer_load_dword v39, off, s[0:3], s32 offset:808
	buffer_load_dword v48, off, s[0:3], s32 offset:812
	buffer_load_dword v50, off, s[0:3], s32 offset:816
	buffer_load_dword v16, off, s[0:3], s32 offset:820
.LBB376_913:
	s_or_b32 exec_lo, exec_lo, s23
	v_mbcnt_lo_u32_b32 v0, -1, 0
	v_max_f32_e32 v4, v19, v19
	s_waitcnt lgkmcnt(0)
	s_lshr_b32 s8, s22, 16
	v_xor_b32_e32 v1, 16, v0
	v_xor_b32_e32 v3, 8, v0
	;; [unrolled: 1-line block ×3, first 2 shown]
	v_cmp_gt_i32_e32 vcc_lo, 32, v1
	v_cndmask_b32_e32 v1, v0, v1, vcc_lo
	v_cmp_gt_i32_e32 vcc_lo, 32, v3
	v_lshlrev_b32_e32 v2, 2, v1
	v_cndmask_b32_e32 v3, v0, v3, vcc_lo
	v_cmp_gt_i32_e32 vcc_lo, 32, v5
	ds_bpermute_b32 v1, v2, v19
	v_lshlrev_b32_e32 v3, 2, v3
	v_cndmask_b32_e32 v5, v0, v5, vcc_lo
	s_waitcnt lgkmcnt(0)
	v_max_f32_e32 v1, v1, v1
	v_max_f32_e32 v1, v4, v1
	ds_bpermute_b32 v4, v3, v1
	s_waitcnt lgkmcnt(0)
	v_max_f32_e32 v6, v4, v4
	v_lshlrev_b32_e32 v4, 2, v5
	v_max_f32_e32 v1, v1, v6
	v_xor_b32_e32 v6, 2, v0
	ds_bpermute_b32 v5, v4, v1
	v_cmp_gt_i32_e32 vcc_lo, 32, v6
	v_cndmask_b32_e32 v6, v0, v6, vcc_lo
	v_lshlrev_b32_e32 v13, 2, v6
	v_xor_b32_e32 v6, 1, v0
	v_cmp_gt_i32_e32 vcc_lo, 32, v6
	s_waitcnt lgkmcnt(0)
	v_max_f32_e32 v5, v5, v5
	v_cndmask_b32_e32 v6, v0, v6, vcc_lo
	v_max_f32_e32 v1, v1, v5
	v_lshlrev_b32_e32 v32, 2, v6
	ds_bpermute_b32 v5, v13, v1
	s_waitcnt lgkmcnt(0)
	v_max_f32_e32 v5, v5, v5
	v_max_f32_e32 v0, v1, v5
	buffer_load_dword v5, off, s[0:3], s32 offset:360 ; 4-byte Folded Reload
	ds_bpermute_b32 v1, v32, v0
	s_waitcnt vmcnt(0)
	v_cmp_eq_u32_e32 vcc_lo, 0, v5
	buffer_load_dword v5, off, s[0:3], s32 offset:748 ; 4-byte Folded Reload
	s_waitcnt vmcnt(0)
	v_lshlrev_b32_e32 v5, 2, v5
	s_and_saveexec_b32 s5, vcc_lo
	s_cbranch_execz .LBB376_915
; %bb.914:
	s_waitcnt lgkmcnt(0)
	v_max_f32_e32 v1, v1, v1
	v_max_f32_e32 v0, v0, v0
	;; [unrolled: 1-line block ×3, first 2 shown]
	ds_write_b32 v5, v0 offset:224
.LBB376_915:
	s_or_b32 exec_lo, exec_lo, s5
	buffer_load_dword v0, off, s[0:3], s32 offset:360 ; 4-byte Folded Reload
	s_waitcnt vmcnt(0) lgkmcnt(0)
	s_waitcnt_vscnt null, 0x0
	s_barrier
	buffer_gl0_inv
	v_cmp_gt_u32_e64 s5, 4, v0
	v_mov_b32_e32 v0, 0xff7fffff
	s_and_saveexec_b32 s6, s5
; %bb.916:
	ds_read_b32 v0, v16 offset:224
; %bb.917:
	s_or_b32 exec_lo, exec_lo, s6
	buffer_load_dword v6, off, s[0:3], s32 offset:212 ; 4-byte Folded Reload
	s_waitcnt lgkmcnt(0)
	ds_bpermute_b32 v1, v13, v0
	v_max_f32_e32 v0, v0, v0
	s_waitcnt lgkmcnt(0)
	v_max_f32_e32 v1, v1, v1
	v_max_f32_e32 v0, v0, v1
	ds_bpermute_b32 v1, v32, v0
	s_waitcnt lgkmcnt(0)
	v_max_f32_e32 v1, v1, v1
	v_max_f32_e32 v0, v0, v1
	s_waitcnt vmcnt(0)
	v_subrev_nc_u32_e32 v7, s13, v6
	v_mov_b32_e32 v6, 0
	v_lshl_add_u32 v1, v7, 5, s7
	buffer_load_dword v7, off, s[0:3], s32 offset:744 ; 4-byte Folded Reload
	ds_bpermute_b32 v0, v6, v0
	v_min_i32_e32 v1, v1, v38
	v_subrev_nc_u32_e32 v1, s7, v1
	s_waitcnt vmcnt(0)
	v_cmp_lt_i32_e64 s6, v7, v1
	s_and_saveexec_b32 s9, s6
	s_cbranch_execz .LBB376_921
; %bb.918:
	buffer_load_dword v8, off, s[0:3], s32 offset:744 ; 4-byte Folded Reload
	s_getpc_b64 s[20:21]
	s_add_u32 s20, s20, llvm.amdgcn.dynlds.offset.table@rel32@lo+4
	s_addc_u32 s21, s21, llvm.amdgcn.dynlds.offset.table@rel32@hi+12
	s_ashr_i32 s17, s16, 31
	v_mov_b32_e32 v6, 0
	s_lshl_b64 s[22:23], s[16:17], 2
	s_mov_b32 s13, 0
	s_add_u32 s20, s20, s22
	s_addc_u32 s21, s21, s23
	s_load_dword s7, s[20:21], 0x0
	s_waitcnt vmcnt(0) lgkmcnt(0)
	v_lshl_add_u32 v7, v8, 2, s7
	.p2align	6
.LBB376_919:                            ; =>This Inner Loop Header: Depth=1
	ds_read_b32 v9, v7
	v_add_nc_u32_e32 v8, 0x80, v8
	v_cmp_ge_i32_e64 s7, v8, v1
	s_or_b32 s13, s7, s13
	s_waitcnt lgkmcnt(0)
	v_sub_f32_e32 v9, v9, v0
	v_mul_f32_e32 v9, 0x3fb8aa3b, v9
	v_exp_f32_e32 v9, v9
	ds_write_b32 v7, v9
	v_add_f32_e32 v6, v6, v9
	v_add_nc_u32_e32 v7, 0x200, v7
	s_andn2_b32 exec_lo, exec_lo, s13
	s_cbranch_execnz .LBB376_919
; %bb.920:
	s_or_b32 exec_lo, exec_lo, s13
.LBB376_921:
	s_or_b32 exec_lo, exec_lo, s9
	ds_bpermute_b32 v2, v2, v6
	s_waitcnt lgkmcnt(0)
	v_add_f32_e32 v2, v6, v2
	ds_bpermute_b32 v3, v3, v2
	s_waitcnt lgkmcnt(0)
	v_add_f32_e32 v2, v2, v3
	;; [unrolled: 3-line block ×5, first 2 shown]
	s_and_saveexec_b32 s7, vcc_lo
; %bb.922:
	ds_write_b32 v5, v2 offset:240
; %bb.923:
	s_or_b32 exec_lo, exec_lo, s7
	s_waitcnt lgkmcnt(0)
	s_barrier
	buffer_gl0_inv
	s_and_saveexec_b32 s7, s5
; %bb.924:
	ds_read_b32 v2, v16 offset:240
; %bb.925:
	s_or_b32 exec_lo, exec_lo, s7
	s_waitcnt lgkmcnt(0)
	ds_bpermute_b32 v3, v13, v2
	s_waitcnt lgkmcnt(0)
	v_add_f32_e32 v2, v2, v3
	ds_bpermute_b32 v3, v32, v2
	s_waitcnt lgkmcnt(0)
	v_add_f32_e32 v2, v2, v3
	v_mov_b32_e32 v3, 0
	ds_bpermute_b32 v2, v3, v2
	s_and_saveexec_b32 s5, s6
	s_cbranch_execz .LBB376_928
; %bb.926:
	s_waitcnt lgkmcnt(0)
	v_add_f32_e32 v4, 0x358637bd, v2
	s_getpc_b64 s[6:7]
	s_add_u32 s6, s6, llvm.amdgcn.dynlds.offset.table@rel32@lo+4
	s_addc_u32 s7, s7, llvm.amdgcn.dynlds.offset.table@rel32@hi+12
	s_ashr_i32 s17, s16, 31
	s_lshl_b64 s[20:21], s[16:17], 2
	v_div_scale_f32 v3, null, v4, v4, 1.0
	v_div_scale_f32 v7, vcc_lo, 1.0, v4, 1.0
	s_add_u32 s6, s6, s20
	v_rcp_f32_e32 v5, v3
	s_addc_u32 s7, s7, s21
	s_load_dword s6, s[6:7], 0x0
	v_fma_f32 v6, -v3, v5, 1.0
	v_fmac_f32_e32 v5, v6, v5
	v_mul_f32_e32 v6, v7, v5
	v_fma_f32 v8, -v3, v6, v7
	v_fmac_f32_e32 v6, v8, v5
	v_fma_f32 v3, -v3, v6, v7
	v_div_fmas_f32 v5, v3, v5, v6
	buffer_load_dword v6, off, s[0:3], s32 offset:744 ; 4-byte Folded Reload
	v_div_fixup_f32 v4, v5, v4, 1.0
	s_waitcnt vmcnt(0) lgkmcnt(0)
	v_lshl_add_u32 v3, v6, 2, s6
	v_mov_b32_e32 v5, v6
	s_mov_b32 s6, 0
.LBB376_927:                            ; =>This Inner Loop Header: Depth=1
	ds_read_b32 v6, v3
	v_add_nc_u32_e32 v5, 0x80, v5
	v_cmp_ge_i32_e32 vcc_lo, v5, v1
	s_or_b32 s6, vcc_lo, s6
	s_waitcnt lgkmcnt(0)
	v_mul_f32_e32 v6, v4, v6
	ds_write_b32 v3, v6
	v_add_nc_u32_e32 v3, 0x200, v3
	s_andn2_b32 exec_lo, exec_lo, s6
	s_cbranch_execnz .LBB376_927
.LBB376_928:
	s_or_b32 exec_lo, exec_lo, s5
	s_waitcnt lgkmcnt(0)
	buffer_load_dword v1, off, s[0:3], s32 offset:744 ; 4-byte Folded Reload
	s_and_b32 s5, 0xffff, s8
	s_mov_b32 s8, exec_lo
	s_cmp_lg_u32 s5, 0
	s_barrier
	s_cselect_b32 s5, -1, 0
	s_waitcnt vmcnt(0)
	buffer_gl0_inv
	s_cmp_lg_u32 s5, 0
	s_addc_u32 s5, s11, 0
	s_mul_i32 s6, s5, s18
	s_mul_i32 s6, s6, s15
	v_cmpx_eq_u32_e32 0, v1
	s_cbranch_execz .LBB376_930
; %bb.929:
	s_ashr_i32 s7, s6, 31
	s_mul_i32 s12, s5, s12
	s_lshl_b64 s[20:21], s[6:7], 2
	s_ashr_i32 s13, s12, 31
	v_add_co_u32 v1, vcc_lo, v26, s20
	v_add_co_ci_u32_e64 v3, null, s21, v25, vcc_lo
	s_lshl_b64 s[12:13], s[12:13], 2
	s_ashr_i32 s15, s14, 31
	v_add_co_u32 v1, vcc_lo, v1, s12
	v_add_co_ci_u32_e64 v4, null, s13, v3, vcc_lo
	v_add_co_u32 v3, vcc_lo, v24, s20
	v_add_co_ci_u32_e64 v5, null, s21, v22, vcc_lo
	s_lshl_b64 s[20:21], s[14:15], 2
	v_add_co_u32 v6, vcc_lo, v3, s12
	v_add_co_ci_u32_e64 v7, null, s13, v5, vcc_lo
	v_add_co_u32 v3, vcc_lo, v1, s20
	v_add_co_ci_u32_e64 v4, null, s21, v4, vcc_lo
	v_add_co_u32 v5, vcc_lo, v6, s20
	v_add_co_ci_u32_e64 v6, null, s21, v7, vcc_lo
	flat_store_dword v[3:4], v0
	flat_store_dword v[5:6], v2
.LBB376_930:
	s_or_b32 exec_lo, exec_lo, s8
	buffer_load_dword v0, off, s[0:3], s32 offset:744 ; 4-byte Folded Reload
	s_ashr_i32 s17, s16, 31
	s_getpc_b64 s[8:9]
	s_add_u32 s8, s8, llvm.amdgcn.dynlds.offset.table@rel32@lo+4
	s_addc_u32 s9, s9, llvm.amdgcn.dynlds.offset.table@rel32@hi+12
	s_lshl_b64 s[12:13], s[16:17], 2
	v_mov_b32_e32 v28, 0
	v_mov_b32_e32 v29, 0
	;; [unrolled: 1-line block ×14, first 2 shown]
	s_add_u32 s8, s8, s12
	s_addc_u32 s9, s9, s13
	s_waitcnt vmcnt(0)
	v_and_b32_e32 v33, 3, v0
	s_and_saveexec_b32 s7, s4
	s_cbranch_execz .LBB376_1860
; %bb.931:
	buffer_store_dword v13, off, s[0:3], s32 offset:392 ; 4-byte Folded Spill
	buffer_store_dword v32, off, s[0:3], s32 offset:388 ; 4-byte Folded Spill
	buffer_load_dword v0, off, s[0:3], s32 offset:744 ; 4-byte Folded Reload
	v_mov_b32_e32 v8, 0
	v_max_i32_e32 v30, v30, v48
	v_mov_b32_e32 v7, 0
	v_add_co_u32 v3, vcc_lo, v10, v37
	buffer_store_dword v8, off, s[0:3], s32 offset:308 ; 4-byte Folded Spill
	v_mov_b32_e32 v8, 0
	buffer_store_dword v7, off, s[0:3], s32 offset:300 ; 4-byte Folded Spill
	v_mov_b32_e32 v7, 0
	v_add_co_ci_u32_e64 v4, null, v11, v50, vcc_lo
	buffer_store_dword v8, off, s[0:3], s32 offset:312 ; 4-byte Folded Spill
	v_mov_b32_e32 v8, 0
	buffer_store_dword v7, off, s[0:3], s32 offset:304 ; 4-byte Folded Spill
	v_sub_nc_u32_e32 v7, 0, v30
	s_load_dword s4, s[8:9], 0x0
	buffer_store_dword v33, off, s[0:3], s32 offset:396 ; 4-byte Folded Spill
	buffer_store_dword v8, off, s[0:3], s32 offset:316 ; 4-byte Folded Spill
	v_mov_b32_e32 v8, 0
	v_lshlrev_b32_e32 v6, 5, v33
	v_mov_b32_e32 v11, 0
	v_mov_b32_e32 v80, 0x80
	;; [unrolled: 1-line block ×3, first 2 shown]
	buffer_store_dword v8, off, s[0:3], s32 offset:320 ; 4-byte Folded Spill
	v_mov_b32_e32 v19, 0
	s_mov_b32 s12, -1
	s_mov_b32 s13, 0xffffff
	s_mov_b32 s11, 0
	s_waitcnt vmcnt(0)
	v_lshlrev_b32_e32 v2, 3, v0
	v_cvt_f32_u32_e32 v0, v30
	v_and_b32_e32 v8, 24, v2
	v_rcp_iflag_f32_e32 v5, v0
	v_add_nc_u32_e32 v0, -1, v39
	v_and_b32_e32 v2, 0xf8, v2
	buffer_store_dword v8, off, s[0:3], s32 offset:376 ; 4-byte Folded Spill
	buffer_load_dword v8, off, s[0:3], s32 offset:748 ; 4-byte Folded Reload
	buffer_store_dword v0, off, s[0:3], s32 offset:372 ; 4-byte Folded Spill
	v_lshlrev_b64 v[0:1], 2, v[17:18]
	v_mul_f32_e32 v5, 0x4f7ffffe, v5
	v_add_co_u32 v0, vcc_lo, v35, v0
	v_cvt_u32_f32_e32 v5, v5
	v_add_co_ci_u32_e64 v1, null, v36, v1, vcc_lo
	v_add_co_u32 v2, vcc_lo, v3, v2
	v_mul_lo_u32 v7, v7, v5
	v_add_co_ci_u32_e64 v3, null, 0, v4, vcc_lo
	v_add_co_u32 v14, vcc_lo, v14, v0
	buffer_store_dword v2, off, s[0:3], s32 offset:380 ; 4-byte Folded Spill
	buffer_store_dword v3, off, s[0:3], s32 offset:384 ; 4-byte Folded Spill
	v_add_co_ci_u32_e64 v15, null, v15, v1, vcc_lo
	v_mul_hi_u32 v7, v5, v7
	v_add_nc_u32_e32 v0, v5, v7
	buffer_store_dword v0, off, s[0:3], s32 offset:352 ; 4-byte Folded Spill
	v_mov_b32_e32 v0, 0
	buffer_store_dword v0, off, s[0:3], s32 offset:324 ; 4-byte Folded Spill
	v_mov_b32_e32 v0, 0
	;; [unrolled: 2-line block ×7, first 2 shown]
	buffer_store_dword v0, off, s[0:3], s32 offset:344 ; 4-byte Folded Spill
	s_waitcnt vmcnt(0)
	v_lshl_or_b32 v6, v8, 7, v6
	s_waitcnt lgkmcnt(0)
	v_add_nc_u32_e32 v86, s4, v6
	s_branch .LBB376_934
.LBB376_932:                            ;   in Loop: Header=BB376_934 Depth=1
	s_or_b32 exec_lo, exec_lo, s4
	v_bfe_u32 v116, v6, 16, 1
	v_or_b32_e32 v117, 0x400000, v6
	v_cmp_u_f32_e32 vcc_lo, v6, v6
	v_lshlrev_b32_e32 v115, 16, v115
	v_lshlrev_b32_e32 v112, 16, v112
	v_add3_u32 v116, v116, v6, 0x7fff
	v_lshlrev_b32_e32 v53, 16, v53
	v_lshlrev_b32_e32 v96, 16, v96
	;; [unrolled: 1-line block ×4, first 2 shown]
	v_cndmask_b32_e32 v6, v116, v117, vcc_lo
	v_bfe_u32 v116, v7, 16, 1
	v_or_b32_e32 v117, 0x400000, v7
	v_cmp_u_f32_e32 vcc_lo, v7, v7
	v_lshlrev_b32_e32 v66, 16, v66
	v_lshlrev_b32_e32 v67, 16, v67
	v_add3_u32 v116, v116, v7, 0x7fff
	v_lshlrev_b32_e32 v51, 16, v51
	v_lshlrev_b32_e32 v16, 16, v16
	;; [unrolled: 1-line block ×4, first 2 shown]
	v_cndmask_b32_e32 v7, v116, v117, vcc_lo
	v_bfe_u32 v116, v8, 16, 1
	v_or_b32_e32 v117, 0x400000, v8
	v_cmp_u_f32_e32 vcc_lo, v8, v8
	v_lshlrev_b32_e32 v32, 16, v32
	v_lshlrev_b32_e32 v33, 16, v33
	v_add3_u32 v116, v116, v8, 0x7fff
	v_bfe_u32 v8, v9, 16, 1
	v_lshlrev_b32_e32 v36, 16, v36
	v_lshlrev_b32_e32 v12, 16, v12
	;; [unrolled: 1-line block ×3, first 2 shown]
	v_cndmask_b32_e32 v116, v116, v117, vcc_lo
	v_add3_u32 v8, v8, v9, 0x7fff
	v_or_b32_e32 v117, 0x400000, v9
	v_cmp_u_f32_e32 vcc_lo, v9, v9
	v_or_b32_e32 v9, 0x400000, v0
	v_lshlrev_b32_e32 v31, 16, v31
	v_lshlrev_b32_e32 v29, 16, v29
	;; [unrolled: 1-line block ×3, first 2 shown]
	v_cndmask_b32_e32 v117, v8, v117, vcc_lo
	v_bfe_u32 v8, v0, 16, 1
	v_cmp_u_f32_e32 vcc_lo, v0, v0
	v_lshlrev_b32_e32 v4, 16, v4
	v_lshlrev_b32_e32 v26, 16, v26
	v_lshlrev_b32_e32 v22, 16, v22
	v_add3_u32 v8, v8, v0, 0x7fff
	v_cndmask_b32_e32 v0, v8, v9, vcc_lo
	v_bfe_u32 v8, v1, 16, 1
	v_or_b32_e32 v9, 0x400000, v1
	v_cmp_u_f32_e32 vcc_lo, v1, v1
	v_add3_u32 v8, v8, v1, 0x7fff
	v_cndmask_b32_e32 v1, v8, v9, vcc_lo
	v_bfe_u32 v8, v2, 16, 1
	v_or_b32_e32 v9, 0x400000, v2
	v_cmp_u_f32_e32 vcc_lo, v2, v2
	v_and_b32_e32 v1, 0xffff0000, v1
	v_add3_u32 v8, v8, v2, 0x7fff
	v_mul_f32_e32 v53, v1, v53
	v_cndmask_b32_e32 v2, v8, v9, vcc_lo
	v_bfe_u32 v8, v3, 16, 1
	v_or_b32_e32 v9, 0x400000, v3
	v_cmp_u_f32_e32 vcc_lo, v3, v3
	v_mul_f32_e32 v66, v1, v66
	v_and_b32_e32 v2, 0xffff0000, v2
	v_add3_u32 v8, v8, v3, 0x7fff
	v_lshlrev_b32_e32 v3, 16, v113
	v_mul_f32_e32 v32, v1, v32
	v_mul_f32_e32 v5, v1, v5
	;; [unrolled: 1-line block ×3, first 2 shown]
	v_cndmask_b32_e32 v118, v8, v9, vcc_lo
	v_and_b32_e32 v8, 0xffff0000, v7
	v_mul_f32_e32 v99, v2, v99
	v_mul_f32_e32 v16, v2, v16
	;; [unrolled: 1-line block ×5, first 2 shown]
	v_bfe_u32 v7, v3, 16, 1
	v_or_b32_e32 v9, 0x400000, v3
	v_cmp_u_f32_e32 vcc_lo, v3, v3
	v_add3_u32 v7, v7, v3, 0x7fff
	v_lshlrev_b32_e32 v3, 16, v114
	v_cndmask_b32_e32 v113, v7, v9, vcc_lo
	v_and_b32_e32 v9, 0xffff0000, v6
	v_and_b32_e32 v113, 0xffff0000, v113
	v_mul_f32_e32 v3, v9, v3
	v_mul_f32_e32 v50, v9, v50
	v_bfe_u32 v6, v3, 16, 1
	v_or_b32_e32 v7, 0x400000, v3
	v_cmp_u_f32_e32 vcc_lo, v3, v3
	v_add3_u32 v6, v6, v3, 0x7fff
	v_and_b32_e32 v3, 0xffff0000, v117
	v_cndmask_b32_e32 v114, v6, v7, vcc_lo
	v_lshlrev_b32_e32 v6, 16, v83
	v_mul_f32_e32 v34, v3, v34
	v_mul_f32_e32 v12, v3, v12
	v_and_b32_e32 v114, 0xffff0000, v114
	v_mul_f32_e32 v6, v3, v6
	v_add_f32_e32 v113, v114, v113
	v_bfe_u32 v7, v6, 16, 1
	v_or_b32_e32 v83, 0x400000, v6
	v_cmp_u_f32_e32 vcc_lo, v6, v6
	v_add3_u32 v7, v7, v6, 0x7fff
	v_lshlrev_b32_e32 v6, 16, v84
	v_cndmask_b32_e32 v83, v7, v83, vcc_lo
	v_and_b32_e32 v7, 0xffff0000, v116
	v_and_b32_e32 v83, 0xffff0000, v83
	v_mul_f32_e32 v6, v7, v6
	v_mul_f32_e32 v35, v7, v35
	;; [unrolled: 1-line block ×3, first 2 shown]
	v_bfe_u32 v84, v6, 16, 1
	v_or_b32_e32 v116, 0x400000, v6
	v_cmp_u_f32_e32 vcc_lo, v6, v6
	v_add3_u32 v84, v84, v6, 0x7fff
	v_lshlrev_b32_e32 v6, 16, v103
	v_cndmask_b32_e32 v84, v84, v116, vcc_lo
	v_mul_f32_e32 v6, v1, v6
	v_and_b32_e32 v84, 0xffff0000, v84
	v_bfe_u32 v103, v6, 16, 1
	v_or_b32_e32 v116, 0x400000, v6
	v_cmp_u_f32_e32 vcc_lo, v6, v6
	v_add_f32_e32 v83, v84, v83
	v_add3_u32 v103, v103, v6, 0x7fff
	v_and_b32_e32 v6, 0xffff0000, v0
	v_lshlrev_b32_e32 v0, 16, v81
	v_add_f32_e32 v83, v113, v83
	v_cndmask_b32_e32 v103, v103, v116, vcc_lo
	v_mul_f32_e32 v96, v6, v96
	v_mul_f32_e32 v0, v6, v0
	;; [unrolled: 1-line block ×4, first 2 shown]
	v_and_b32_e32 v84, 0xffff0000, v103
	v_mul_f32_e32 v4, v6, v4
	v_bfe_u32 v81, v0, 16, 1
	v_or_b32_e32 v116, 0x400000, v0
	v_cmp_u_f32_e32 vcc_lo, v0, v0
	v_add3_u32 v81, v81, v0, 0x7fff
	v_and_b32_e32 v0, 0xffff0000, v118
	v_cndmask_b32_e32 v81, v81, v116, vcc_lo
	v_mul_f32_e32 v115, v0, v115
	v_mul_f32_e32 v51, v0, v51
	;; [unrolled: 1-line block ×4, first 2 shown]
	v_and_b32_e32 v81, 0xffff0000, v81
	v_bfe_u32 v116, v115, 16, 1
	v_or_b32_e32 v117, 0x400000, v115
	v_cmp_u_f32_e32 vcc_lo, v115, v115
	v_mul_f32_e32 v26, v0, v26
	v_add_f32_e32 v81, v81, v84
	v_add3_u32 v116, v116, v115, 0x7fff
	v_add_f32_e32 v81, v83, v81
	v_cndmask_b32_e32 v115, v116, v117, vcc_lo
	v_bfe_u32 v116, v112, 16, 1
	v_or_b32_e32 v117, 0x400000, v112
	v_cmp_u_f32_e32 vcc_lo, v112, v112
	v_and_b32_e32 v84, 0xffff0000, v115
	v_add3_u32 v116, v116, v112, 0x7fff
	v_cndmask_b32_e32 v112, v116, v117, vcc_lo
	v_and_b32_e32 v83, 0xffff0000, v112
	v_add_f32_e32 v83, v83, v84
	v_add_f32_e32 v81, v81, v83
	buffer_load_dword v83, off, s[0:3], s32 offset:300 ; 4-byte Folded Reload
	s_waitcnt vmcnt(0)
	v_add_f32_e32 v83, v83, v81
	v_lshlrev_b32_e32 v81, 16, v100
	buffer_store_dword v83, off, s[0:3], s32 offset:300 ; 4-byte Folded Spill
	v_mul_f32_e32 v81, v8, v81
	v_bfe_u32 v83, v81, 16, 1
	v_or_b32_e32 v84, 0x400000, v81
	v_cmp_u_f32_e32 vcc_lo, v81, v81
	v_add3_u32 v83, v83, v81, 0x7fff
	v_cndmask_b32_e32 v81, v83, v84, vcc_lo
	v_lshlrev_b32_e32 v83, 16, v101
	v_and_b32_e32 v81, 0xffff0000, v81
	v_mul_f32_e32 v83, v9, v83
	v_bfe_u32 v84, v83, 16, 1
	v_or_b32_e32 v100, 0x400000, v83
	v_cmp_u_f32_e32 vcc_lo, v83, v83
	v_add3_u32 v84, v84, v83, 0x7fff
	v_cndmask_b32_e32 v83, v84, v100, vcc_lo
	v_lshlrev_b32_e32 v84, 16, v97
	v_and_b32_e32 v83, 0xffff0000, v83
	v_mul_f32_e32 v84, v3, v84
	v_add_f32_e32 v81, v83, v81
	v_bfe_u32 v97, v84, 16, 1
	v_or_b32_e32 v100, 0x400000, v84
	v_cmp_u_f32_e32 vcc_lo, v84, v84
	v_add3_u32 v97, v97, v84, 0x7fff
	v_cndmask_b32_e32 v84, v97, v100, vcc_lo
	v_lshlrev_b32_e32 v97, 16, v98
	v_and_b32_e32 v84, 0xffff0000, v84
	v_mul_f32_e32 v97, v7, v97
	v_bfe_u32 v98, v97, 16, 1
	v_or_b32_e32 v100, 0x400000, v97
	v_cmp_u_f32_e32 vcc_lo, v97, v97
	v_add3_u32 v98, v98, v97, 0x7fff
	v_cndmask_b32_e32 v97, v98, v100, vcc_lo
	v_bfe_u32 v98, v53, 16, 1
	v_or_b32_e32 v100, 0x400000, v53
	v_cmp_u_f32_e32 vcc_lo, v53, v53
	v_and_b32_e32 v83, 0xffff0000, v97
	v_add3_u32 v98, v98, v53, 0x7fff
	v_add_f32_e32 v83, v83, v84
	v_cndmask_b32_e32 v53, v98, v100, vcc_lo
	v_bfe_u32 v98, v96, 16, 1
	v_or_b32_e32 v100, 0x400000, v96
	v_cmp_u_f32_e32 vcc_lo, v96, v96
	v_add_f32_e32 v81, v81, v83
	v_and_b32_e32 v53, 0xffff0000, v53
	v_add3_u32 v98, v98, v96, 0x7fff
	v_cndmask_b32_e32 v96, v98, v100, vcc_lo
	v_lshlrev_b32_e32 v98, 16, v102
	v_and_b32_e32 v83, 0xffff0000, v96
	v_mul_f32_e32 v98, v0, v98
	v_add_f32_e32 v53, v83, v53
	v_bfe_u32 v100, v98, 16, 1
	v_or_b32_e32 v101, 0x400000, v98
	v_cmp_u_f32_e32 vcc_lo, v98, v98
	v_add_f32_e32 v53, v81, v53
	v_add3_u32 v100, v100, v98, 0x7fff
	v_cndmask_b32_e32 v98, v100, v101, vcc_lo
	v_bfe_u32 v100, v99, 16, 1
	v_or_b32_e32 v101, 0x400000, v99
	v_cmp_u_f32_e32 vcc_lo, v99, v99
	v_and_b32_e32 v83, 0xffff0000, v98
	v_add3_u32 v100, v100, v99, 0x7fff
	v_cndmask_b32_e32 v99, v100, v101, vcc_lo
	v_and_b32_e32 v81, 0xffff0000, v99
	v_add_f32_e32 v81, v81, v83
	v_add_f32_e32 v53, v53, v81
	buffer_load_dword v81, off, s[0:3], s32 offset:304 ; 4-byte Folded Reload
	s_waitcnt vmcnt(0)
	v_add_f32_e32 v81, v81, v53
	v_lshlrev_b32_e32 v53, 16, v54
	buffer_store_dword v81, off, s[0:3], s32 offset:304 ; 4-byte Folded Spill
	v_mul_f32_e32 v53, v8, v53
	v_bfe_u32 v54, v53, 16, 1
	v_or_b32_e32 v81, 0x400000, v53
	v_cmp_u_f32_e32 vcc_lo, v53, v53
	v_add3_u32 v54, v54, v53, 0x7fff
	v_cndmask_b32_e32 v53, v54, v81, vcc_lo
	v_bfe_u32 v54, v50, 16, 1
	v_or_b32_e32 v81, 0x400000, v50
	v_cmp_u_f32_e32 vcc_lo, v50, v50
	v_and_b32_e32 v53, 0xffff0000, v53
	v_add3_u32 v54, v54, v50, 0x7fff
	v_cndmask_b32_e32 v50, v54, v81, vcc_lo
	v_lshlrev_b32_e32 v54, 16, v69
	v_and_b32_e32 v50, 0xffff0000, v50
	v_mul_f32_e32 v54, v3, v54
	v_add_f32_e32 v50, v50, v53
	v_bfe_u32 v69, v54, 16, 1
	v_or_b32_e32 v81, 0x400000, v54
	v_cmp_u_f32_e32 vcc_lo, v54, v54
	v_add3_u32 v69, v69, v54, 0x7fff
	v_cndmask_b32_e32 v54, v69, v81, vcc_lo
	v_lshlrev_b32_e32 v69, 16, v70
	v_and_b32_e32 v54, 0xffff0000, v54
	v_mul_f32_e32 v69, v7, v69
	v_bfe_u32 v70, v69, 16, 1
	v_or_b32_e32 v81, 0x400000, v69
	v_cmp_u_f32_e32 vcc_lo, v69, v69
	v_add3_u32 v70, v70, v69, 0x7fff
	v_cndmask_b32_e32 v69, v70, v81, vcc_lo
	v_bfe_u32 v70, v66, 16, 1
	v_or_b32_e32 v81, 0x400000, v66
	v_cmp_u_f32_e32 vcc_lo, v66, v66
	v_and_b32_e32 v53, 0xffff0000, v69
	v_add3_u32 v70, v70, v66, 0x7fff
	v_add_f32_e32 v53, v53, v54
	v_cndmask_b32_e32 v66, v70, v81, vcc_lo
	v_bfe_u32 v70, v67, 16, 1
	v_or_b32_e32 v81, 0x400000, v67
	v_cmp_u_f32_e32 vcc_lo, v67, v67
	v_add_f32_e32 v50, v50, v53
	v_and_b32_e32 v54, 0xffff0000, v66
	v_add3_u32 v70, v70, v67, 0x7fff
	v_cndmask_b32_e32 v67, v70, v81, vcc_lo
	v_bfe_u32 v70, v51, 16, 1
	v_or_b32_e32 v81, 0x400000, v51
	v_cmp_u_f32_e32 vcc_lo, v51, v51
	v_and_b32_e32 v53, 0xffff0000, v67
	v_add3_u32 v70, v70, v51, 0x7fff
	v_add_f32_e32 v53, v53, v54
	v_cndmask_b32_e32 v51, v70, v81, vcc_lo
	v_bfe_u32 v70, v16, 16, 1
	v_or_b32_e32 v81, 0x400000, v16
	v_cmp_u_f32_e32 vcc_lo, v16, v16
	v_add_f32_e32 v50, v50, v53
	v_and_b32_e32 v51, 0xffff0000, v51
	v_add3_u32 v70, v70, v16, 0x7fff
	v_cndmask_b32_e32 v16, v70, v81, vcc_lo
	v_and_b32_e32 v16, 0xffff0000, v16
	v_add_f32_e32 v16, v16, v51
	v_add_f32_e32 v16, v50, v16
	buffer_load_dword v50, off, s[0:3], s32 offset:308 ; 4-byte Folded Reload
	s_waitcnt vmcnt(0)
	v_add_f32_e32 v50, v50, v16
	v_lshlrev_b32_e32 v16, 16, v55
	buffer_store_dword v50, off, s[0:3], s32 offset:308 ; 4-byte Folded Spill
	v_mul_f32_e32 v16, v8, v16
	v_bfe_u32 v50, v16, 16, 1
	v_or_b32_e32 v51, 0x400000, v16
	v_cmp_u_f32_e32 vcc_lo, v16, v16
	v_add3_u32 v50, v50, v16, 0x7fff
	v_cndmask_b32_e32 v16, v50, v51, vcc_lo
	v_lshlrev_b32_e32 v50, 16, v64
	v_and_b32_e32 v16, 0xffff0000, v16
	v_mul_f32_e32 v50, v9, v50
	v_bfe_u32 v51, v50, 16, 1
	v_or_b32_e32 v53, 0x400000, v50
	v_cmp_u_f32_e32 vcc_lo, v50, v50
	v_add3_u32 v51, v51, v50, 0x7fff
	v_cndmask_b32_e32 v50, v51, v53, vcc_lo
	v_bfe_u32 v51, v34, 16, 1
	v_or_b32_e32 v53, 0x400000, v34
	v_cmp_u_f32_e32 vcc_lo, v34, v34
	v_and_b32_e32 v50, 0xffff0000, v50
	v_add3_u32 v51, v51, v34, 0x7fff
	v_add_f32_e32 v16, v50, v16
	v_cndmask_b32_e32 v34, v51, v53, vcc_lo
	v_bfe_u32 v51, v35, 16, 1
	v_or_b32_e32 v53, 0x400000, v35
	v_cmp_u_f32_e32 vcc_lo, v35, v35
	v_and_b32_e32 v34, 0xffff0000, v34
	v_add3_u32 v51, v51, v35, 0x7fff
	v_cndmask_b32_e32 v35, v51, v53, vcc_lo
	v_bfe_u32 v51, v32, 16, 1
	v_or_b32_e32 v53, 0x400000, v32
	v_cmp_u_f32_e32 vcc_lo, v32, v32
	v_and_b32_e32 v35, 0xffff0000, v35
	v_add3_u32 v51, v51, v32, 0x7fff
	v_add_f32_e32 v34, v35, v34
	v_cndmask_b32_e32 v32, v51, v53, vcc_lo
	v_bfe_u32 v51, v33, 16, 1
	v_or_b32_e32 v53, 0x400000, v33
	v_cmp_u_f32_e32 vcc_lo, v33, v33
	v_add_f32_e32 v16, v16, v34
	v_and_b32_e32 v32, 0xffff0000, v32
	v_add3_u32 v51, v51, v33, 0x7fff
	v_cndmask_b32_e32 v33, v51, v53, vcc_lo
	v_lshlrev_b32_e32 v51, 16, v65
	v_and_b32_e32 v33, 0xffff0000, v33
	v_mul_f32_e32 v51, v0, v51
	v_add_f32_e32 v32, v33, v32
	v_bfe_u32 v53, v51, 16, 1
	v_or_b32_e32 v54, 0x400000, v51
	v_cmp_u_f32_e32 vcc_lo, v51, v51
	v_add_f32_e32 v16, v16, v32
	v_add3_u32 v53, v53, v51, 0x7fff
	v_cndmask_b32_e32 v51, v53, v54, vcc_lo
	v_bfe_u32 v53, v36, 16, 1
	v_or_b32_e32 v54, 0x400000, v36
	v_cmp_u_f32_e32 vcc_lo, v36, v36
	v_and_b32_e32 v33, 0xffff0000, v51
	v_add3_u32 v53, v53, v36, 0x7fff
	v_cndmask_b32_e32 v36, v53, v54, vcc_lo
	v_and_b32_e32 v32, 0xffff0000, v36
	v_add_f32_e32 v32, v32, v33
	v_add_f32_e32 v16, v16, v32
	buffer_load_dword v32, off, s[0:3], s32 offset:312 ; 4-byte Folded Reload
	s_waitcnt vmcnt(0)
	v_add_f32_e32 v32, v32, v16
	v_lshlrev_b32_e32 v16, 16, v25
	buffer_store_dword v32, off, s[0:3], s32 offset:312 ; 4-byte Folded Spill
	v_mul_f32_e32 v16, v8, v16
	v_bfe_u32 v25, v16, 16, 1
	v_or_b32_e32 v32, 0x400000, v16
	v_cmp_u_f32_e32 vcc_lo, v16, v16
	v_add3_u32 v25, v25, v16, 0x7fff
	v_cndmask_b32_e32 v16, v25, v32, vcc_lo
	v_lshlrev_b32_e32 v25, 16, v28
	v_and_b32_e32 v16, 0xffff0000, v16
	v_mul_f32_e32 v25, v9, v25
	v_bfe_u32 v28, v25, 16, 1
	v_or_b32_e32 v32, 0x400000, v25
	v_cmp_u_f32_e32 vcc_lo, v25, v25
	v_add3_u32 v28, v28, v25, 0x7fff
	v_cndmask_b32_e32 v25, v28, v32, vcc_lo
	v_bfe_u32 v28, v12, 16, 1
	v_or_b32_e32 v32, 0x400000, v12
	v_cmp_u_f32_e32 vcc_lo, v12, v12
	v_and_b32_e32 v25, 0xffff0000, v25
	v_add3_u32 v28, v28, v12, 0x7fff
	v_add_f32_e32 v16, v25, v16
	v_cndmask_b32_e32 v12, v28, v32, vcc_lo
	v_bfe_u32 v28, v13, 16, 1
	v_or_b32_e32 v32, 0x400000, v13
	v_cmp_u_f32_e32 vcc_lo, v13, v13
	v_and_b32_e32 v12, 0xffff0000, v12
	v_add3_u32 v28, v28, v13, 0x7fff
	v_cndmask_b32_e32 v13, v28, v32, vcc_lo
	v_lshlrev_b32_e32 v28, 16, v71
	v_and_b32_e32 v13, 0xffff0000, v13
	v_mul_f32_e32 v28, v1, v28
	v_add_f32_e32 v12, v13, v12
	v_bfe_u32 v32, v28, 16, 1
	v_or_b32_e32 v33, 0x400000, v28
	v_cmp_u_f32_e32 vcc_lo, v28, v28
	v_add_f32_e32 v12, v16, v12
	v_add3_u32 v32, v32, v28, 0x7fff
	v_cndmask_b32_e32 v28, v32, v33, vcc_lo
	v_lshlrev_b32_e32 v32, 16, v85
	v_and_b32_e32 v16, 0xffff0000, v28
	v_mul_f32_e32 v32, v6, v32
	v_bfe_u32 v33, v32, 16, 1
	v_or_b32_e32 v34, 0x400000, v32
	v_cmp_u_f32_e32 vcc_lo, v32, v32
	v_add3_u32 v33, v33, v32, 0x7fff
	v_cndmask_b32_e32 v32, v33, v34, vcc_lo
	v_bfe_u32 v33, v31, 16, 1
	v_or_b32_e32 v34, 0x400000, v31
	v_cmp_u_f32_e32 vcc_lo, v31, v31
	v_and_b32_e32 v13, 0xffff0000, v32
	v_add3_u32 v33, v33, v31, 0x7fff
	v_add_f32_e32 v13, v13, v16
	v_cndmask_b32_e32 v31, v33, v34, vcc_lo
	v_lshlrev_b32_e32 v33, 16, v87
	v_add_f32_e32 v12, v12, v13
	v_and_b32_e32 v16, 0xffff0000, v31
	v_mul_f32_e32 v33, v2, v33
	v_bfe_u32 v34, v33, 16, 1
	v_or_b32_e32 v35, 0x400000, v33
	v_cmp_u_f32_e32 vcc_lo, v33, v33
	v_add3_u32 v34, v34, v33, 0x7fff
	v_cndmask_b32_e32 v33, v34, v35, vcc_lo
	v_and_b32_e32 v13, 0xffff0000, v33
	v_add_f32_e32 v13, v13, v16
	v_add_f32_e32 v12, v12, v13
	buffer_load_dword v13, off, s[0:3], s32 offset:316 ; 4-byte Folded Reload
	s_waitcnt vmcnt(0)
	v_add_f32_e32 v13, v13, v12
	v_lshlrev_b32_e32 v12, 16, v126
	buffer_store_dword v13, off, s[0:3], s32 offset:316 ; 4-byte Folded Spill
	v_mul_f32_e32 v12, v8, v12
	v_bfe_u32 v13, v12, 16, 1
	v_or_b32_e32 v16, 0x400000, v12
	v_cmp_u_f32_e32 vcc_lo, v12, v12
	v_add3_u32 v13, v13, v12, 0x7fff
	v_cndmask_b32_e32 v12, v13, v16, vcc_lo
	v_lshlrev_b32_e32 v13, 16, v127
	v_and_b32_e32 v12, 0xffff0000, v12
	v_mul_f32_e32 v13, v9, v13
	v_bfe_u32 v16, v13, 16, 1
	v_or_b32_e32 v25, 0x400000, v13
	v_cmp_u_f32_e32 vcc_lo, v13, v13
	v_add3_u32 v16, v16, v13, 0x7fff
	v_cndmask_b32_e32 v13, v16, v25, vcc_lo
	v_lshlrev_b32_e32 v16, 16, v123
	v_and_b32_e32 v13, 0xffff0000, v13
	v_mul_f32_e32 v16, v3, v16
	v_add_f32_e32 v12, v13, v12
	v_bfe_u32 v25, v16, 16, 1
	v_or_b32_e32 v28, 0x400000, v16
	v_cmp_u_f32_e32 vcc_lo, v16, v16
	v_add3_u32 v25, v25, v16, 0x7fff
	v_cndmask_b32_e32 v16, v25, v28, vcc_lo
	v_lshlrev_b32_e32 v25, 16, v124
	v_and_b32_e32 v16, 0xffff0000, v16
	v_mul_f32_e32 v25, v7, v25
	v_bfe_u32 v28, v25, 16, 1
	v_or_b32_e32 v31, 0x400000, v25
	v_cmp_u_f32_e32 vcc_lo, v25, v25
	v_add3_u32 v28, v28, v25, 0x7fff
	v_cndmask_b32_e32 v25, v28, v31, vcc_lo
	v_lshlrev_b32_e32 v28, 16, v121
	v_and_b32_e32 v13, 0xffff0000, v25
	v_mul_f32_e32 v28, v1, v28
	v_add_f32_e32 v13, v13, v16
	v_bfe_u32 v31, v28, 16, 1
	v_or_b32_e32 v32, 0x400000, v28
	v_cmp_u_f32_e32 vcc_lo, v28, v28
	v_add_f32_e32 v12, v12, v13
	v_add3_u32 v31, v31, v28, 0x7fff
	v_cndmask_b32_e32 v28, v31, v32, vcc_lo
	v_lshlrev_b32_e32 v31, 16, v122
	v_and_b32_e32 v16, 0xffff0000, v28
	v_mul_f32_e32 v31, v6, v31
	v_bfe_u32 v32, v31, 16, 1
	v_or_b32_e32 v33, 0x400000, v31
	v_cmp_u_f32_e32 vcc_lo, v31, v31
	v_add3_u32 v32, v32, v31, 0x7fff
	v_cndmask_b32_e32 v31, v32, v33, vcc_lo
	v_bfe_u32 v32, v29, 16, 1
	v_or_b32_e32 v33, 0x400000, v29
	v_cmp_u_f32_e32 vcc_lo, v29, v29
	v_and_b32_e32 v13, 0xffff0000, v31
	v_add3_u32 v32, v32, v29, 0x7fff
	v_add_f32_e32 v13, v13, v16
	v_cndmask_b32_e32 v29, v32, v33, vcc_lo
	v_lshlrev_b32_e32 v32, 16, v125
	v_add_f32_e32 v12, v12, v13
	v_and_b32_e32 v16, 0xffff0000, v29
	v_mul_f32_e32 v32, v2, v32
	v_bfe_u32 v33, v32, 16, 1
	v_or_b32_e32 v34, 0x400000, v32
	v_cmp_u_f32_e32 vcc_lo, v32, v32
	v_add3_u32 v33, v33, v32, 0x7fff
	v_cndmask_b32_e32 v32, v33, v34, vcc_lo
	v_and_b32_e32 v13, 0xffff0000, v32
	v_add_f32_e32 v13, v13, v16
	v_add_f32_e32 v12, v12, v13
	buffer_load_dword v13, off, s[0:3], s32 offset:320 ; 4-byte Folded Reload
	s_waitcnt vmcnt(0)
	v_add_f32_e32 v13, v13, v12
	v_lshlrev_b32_e32 v12, 16, v110
	buffer_store_dword v13, off, s[0:3], s32 offset:320 ; 4-byte Folded Spill
	v_mul_f32_e32 v12, v8, v12
	v_bfe_u32 v13, v12, 16, 1
	v_or_b32_e32 v16, 0x400000, v12
	v_cmp_u_f32_e32 vcc_lo, v12, v12
	v_add3_u32 v13, v13, v12, 0x7fff
	v_cndmask_b32_e32 v12, v13, v16, vcc_lo
	v_lshlrev_b32_e32 v13, 16, v111
	v_and_b32_e32 v12, 0xffff0000, v12
	v_mul_f32_e32 v13, v9, v13
	v_bfe_u32 v16, v13, 16, 1
	v_or_b32_e32 v25, 0x400000, v13
	v_cmp_u_f32_e32 vcc_lo, v13, v13
	v_add3_u32 v16, v16, v13, 0x7fff
	v_cndmask_b32_e32 v13, v16, v25, vcc_lo
	v_lshlrev_b32_e32 v16, 16, v107
	v_and_b32_e32 v13, 0xffff0000, v13
	v_mul_f32_e32 v16, v3, v16
	v_add_f32_e32 v12, v13, v12
	v_bfe_u32 v25, v16, 16, 1
	v_or_b32_e32 v28, 0x400000, v16
	v_cmp_u_f32_e32 vcc_lo, v16, v16
	v_add3_u32 v25, v25, v16, 0x7fff
	v_cndmask_b32_e32 v16, v25, v28, vcc_lo
	v_lshlrev_b32_e32 v25, 16, v108
	v_and_b32_e32 v16, 0xffff0000, v16
	v_mul_f32_e32 v25, v7, v25
	v_bfe_u32 v28, v25, 16, 1
	v_or_b32_e32 v29, 0x400000, v25
	v_cmp_u_f32_e32 vcc_lo, v25, v25
	v_add3_u32 v28, v28, v25, 0x7fff
	v_cndmask_b32_e32 v25, v28, v29, vcc_lo
	v_lshlrev_b32_e32 v28, 16, v105
	v_and_b32_e32 v13, 0xffff0000, v25
	v_mul_f32_e32 v28, v1, v28
	v_add_f32_e32 v13, v13, v16
	v_bfe_u32 v29, v28, 16, 1
	v_or_b32_e32 v31, 0x400000, v28
	v_cmp_u_f32_e32 vcc_lo, v28, v28
	v_add_f32_e32 v12, v12, v13
	v_add3_u32 v29, v29, v28, 0x7fff
	v_cndmask_b32_e32 v28, v29, v31, vcc_lo
	v_lshlrev_b32_e32 v29, 16, v106
	v_and_b32_e32 v16, 0xffff0000, v28
	v_mul_f32_e32 v29, v6, v29
	v_bfe_u32 v31, v29, 16, 1
	v_or_b32_e32 v32, 0x400000, v29
	v_cmp_u_f32_e32 vcc_lo, v29, v29
	v_add3_u32 v31, v31, v29, 0x7fff
	v_cndmask_b32_e32 v29, v31, v32, vcc_lo
	v_lshlrev_b32_e32 v31, 16, v120
	v_and_b32_e32 v13, 0xffff0000, v29
	v_mul_f32_e32 v31, v0, v31
	v_add_f32_e32 v13, v13, v16
	v_bfe_u32 v32, v31, 16, 1
	v_or_b32_e32 v33, 0x400000, v31
	v_cmp_u_f32_e32 vcc_lo, v31, v31
	v_add_f32_e32 v12, v12, v13
	v_add3_u32 v32, v32, v31, 0x7fff
	v_cndmask_b32_e32 v31, v32, v33, vcc_lo
	v_lshlrev_b32_e32 v32, 16, v109
	v_and_b32_e32 v16, 0xffff0000, v31
	v_mul_f32_e32 v32, v2, v32
	v_bfe_u32 v33, v32, 16, 1
	v_or_b32_e32 v34, 0x400000, v32
	v_cmp_u_f32_e32 vcc_lo, v32, v32
	v_add3_u32 v33, v33, v32, 0x7fff
	v_cndmask_b32_e32 v32, v33, v34, vcc_lo
	v_and_b32_e32 v13, 0xffff0000, v32
	v_add_f32_e32 v13, v13, v16
	v_add_f32_e32 v12, v12, v13
	buffer_load_dword v13, off, s[0:3], s32 offset:324 ; 4-byte Folded Reload
	s_waitcnt vmcnt(0)
	v_add_f32_e32 v13, v13, v12
	v_lshlrev_b32_e32 v12, 16, v48
	buffer_store_dword v13, off, s[0:3], s32 offset:324 ; 4-byte Folded Spill
	v_mul_f32_e32 v12, v8, v12
	v_bfe_u32 v13, v12, 16, 1
	v_or_b32_e32 v16, 0x400000, v12
	v_cmp_u_f32_e32 vcc_lo, v12, v12
	v_add3_u32 v13, v13, v12, 0x7fff
	v_cndmask_b32_e32 v12, v13, v16, vcc_lo
	v_lshlrev_b32_e32 v13, 16, v39
	v_and_b32_e32 v12, 0xffff0000, v12
	v_mul_f32_e32 v13, v9, v13
	v_bfe_u32 v16, v13, 16, 1
	v_or_b32_e32 v25, 0x400000, v13
	v_cmp_u_f32_e32 vcc_lo, v13, v13
	v_add3_u32 v16, v16, v13, 0x7fff
	v_cndmask_b32_e32 v13, v16, v25, vcc_lo
	v_lshlrev_b32_e32 v16, 16, v27
	v_and_b32_e32 v13, 0xffff0000, v13
	v_mul_f32_e32 v16, v3, v16
	v_add_f32_e32 v12, v13, v12
	v_bfe_u32 v25, v16, 16, 1
	v_or_b32_e32 v27, 0x400000, v16
	v_cmp_u_f32_e32 vcc_lo, v16, v16
	v_add3_u32 v25, v25, v16, 0x7fff
	v_cndmask_b32_e32 v16, v25, v27, vcc_lo
	v_lshlrev_b32_e32 v25, 16, v37
	v_and_b32_e32 v16, 0xffff0000, v16
	v_mul_f32_e32 v25, v7, v25
	v_bfe_u32 v27, v25, 16, 1
	v_or_b32_e32 v28, 0x400000, v25
	v_cmp_u_f32_e32 vcc_lo, v25, v25
	v_add3_u32 v27, v27, v25, 0x7fff
	v_cndmask_b32_e32 v25, v27, v28, vcc_lo
	v_bfe_u32 v27, v5, 16, 1
	v_or_b32_e32 v28, 0x400000, v5
	v_cmp_u_f32_e32 vcc_lo, v5, v5
	v_and_b32_e32 v13, 0xffff0000, v25
	v_add3_u32 v27, v27, v5, 0x7fff
	v_add_f32_e32 v13, v13, v16
	v_cndmask_b32_e32 v5, v27, v28, vcc_lo
	v_bfe_u32 v27, v4, 16, 1
	v_or_b32_e32 v28, 0x400000, v4
	v_cmp_u_f32_e32 vcc_lo, v4, v4
	v_add_f32_e32 v12, v12, v13
	v_and_b32_e32 v5, 0xffff0000, v5
	v_add3_u32 v27, v27, v4, 0x7fff
	v_cndmask_b32_e32 v4, v27, v28, vcc_lo
	v_bfe_u32 v27, v26, 16, 1
	v_or_b32_e32 v28, 0x400000, v26
	v_cmp_u_f32_e32 vcc_lo, v26, v26
	v_and_b32_e32 v4, 0xffff0000, v4
	v_add3_u32 v27, v27, v26, 0x7fff
	v_add_f32_e32 v4, v4, v5
	v_cndmask_b32_e32 v26, v27, v28, vcc_lo
	v_bfe_u32 v27, v22, 16, 1
	v_or_b32_e32 v28, 0x400000, v22
	v_cmp_u_f32_e32 vcc_lo, v22, v22
	v_add_f32_e32 v4, v12, v4
	v_and_b32_e32 v12, 0xffff0000, v26
	v_add3_u32 v27, v27, v22, 0x7fff
	v_cndmask_b32_e32 v22, v27, v28, vcc_lo
	v_and_b32_e32 v5, 0xffff0000, v22
	v_add_f32_e32 v5, v5, v12
	v_add_f32_e32 v4, v4, v5
	buffer_load_dword v5, off, s[0:3], s32 offset:328 ; 4-byte Folded Reload
	s_waitcnt vmcnt(0)
	v_add_f32_e32 v5, v5, v4
	v_lshlrev_b32_e32 v4, 16, v104
	buffer_store_dword v5, off, s[0:3], s32 offset:328 ; 4-byte Folded Spill
	v_mul_f32_e32 v4, v8, v4
	v_bfe_u32 v5, v4, 16, 1
	v_or_b32_e32 v12, 0x400000, v4
	v_cmp_u_f32_e32 vcc_lo, v4, v4
	v_add3_u32 v5, v5, v4, 0x7fff
	v_cndmask_b32_e32 v4, v5, v12, vcc_lo
	v_lshlrev_b32_e32 v5, 16, v95
	v_and_b32_e32 v4, 0xffff0000, v4
	v_mul_f32_e32 v5, v9, v5
	v_bfe_u32 v12, v5, 16, 1
	v_or_b32_e32 v13, 0x400000, v5
	v_cmp_u_f32_e32 vcc_lo, v5, v5
	v_add3_u32 v12, v12, v5, 0x7fff
	v_cndmask_b32_e32 v5, v12, v13, vcc_lo
	v_lshlrev_b32_e32 v12, 16, v93
	v_and_b32_e32 v5, 0xffff0000, v5
	v_mul_f32_e32 v12, v3, v12
	v_add_f32_e32 v4, v5, v4
	v_bfe_u32 v13, v12, 16, 1
	v_or_b32_e32 v16, 0x400000, v12
	v_cmp_u_f32_e32 vcc_lo, v12, v12
	v_add3_u32 v13, v13, v12, 0x7fff
	v_cndmask_b32_e32 v12, v13, v16, vcc_lo
	v_lshlrev_b32_e32 v13, 16, v94
	v_and_b32_e32 v12, 0xffff0000, v12
	v_mul_f32_e32 v13, v7, v13
	v_bfe_u32 v16, v13, 16, 1
	v_or_b32_e32 v22, 0x400000, v13
	v_cmp_u_f32_e32 vcc_lo, v13, v13
	v_add3_u32 v16, v16, v13, 0x7fff
	v_cndmask_b32_e32 v13, v16, v22, vcc_lo
	v_lshlrev_b32_e32 v16, 16, v91
	v_and_b32_e32 v5, 0xffff0000, v13
	v_mul_f32_e32 v16, v1, v16
	v_add_f32_e32 v5, v5, v12
	v_bfe_u32 v22, v16, 16, 1
	v_or_b32_e32 v25, 0x400000, v16
	v_cmp_u_f32_e32 vcc_lo, v16, v16
	v_add_f32_e32 v4, v4, v5
	v_add3_u32 v22, v22, v16, 0x7fff
	v_cndmask_b32_e32 v16, v22, v25, vcc_lo
	v_lshlrev_b32_e32 v22, 16, v89
	v_and_b32_e32 v12, 0xffff0000, v16
	v_mul_f32_e32 v22, v6, v22
	v_bfe_u32 v25, v22, 16, 1
	v_or_b32_e32 v26, 0x400000, v22
	v_cmp_u_f32_e32 vcc_lo, v22, v22
	v_add3_u32 v25, v25, v22, 0x7fff
	v_cndmask_b32_e32 v22, v25, v26, vcc_lo
	v_lshlrev_b32_e32 v25, 16, v92
	v_and_b32_e32 v5, 0xffff0000, v22
	v_mul_f32_e32 v25, v0, v25
	v_add_f32_e32 v5, v5, v12
	v_bfe_u32 v26, v25, 16, 1
	v_or_b32_e32 v27, 0x400000, v25
	v_cmp_u_f32_e32 vcc_lo, v25, v25
	v_add_f32_e32 v4, v4, v5
	v_add3_u32 v26, v26, v25, 0x7fff
	v_cndmask_b32_e32 v25, v26, v27, vcc_lo
	v_lshlrev_b32_e32 v26, 16, v90
	v_and_b32_e32 v12, 0xffff0000, v25
	v_mul_f32_e32 v26, v2, v26
	v_bfe_u32 v27, v26, 16, 1
	v_or_b32_e32 v28, 0x400000, v26
	v_cmp_u_f32_e32 vcc_lo, v26, v26
	v_add3_u32 v27, v27, v26, 0x7fff
	v_cndmask_b32_e32 v26, v27, v28, vcc_lo
	v_and_b32_e32 v5, 0xffff0000, v26
	v_add_f32_e32 v5, v5, v12
	v_add_f32_e32 v4, v4, v5
	buffer_load_dword v5, off, s[0:3], s32 offset:332 ; 4-byte Folded Reload
	s_waitcnt vmcnt(0)
	v_add_f32_e32 v5, v5, v4
	v_lshlrev_b32_e32 v4, 16, v88
	buffer_store_dword v5, off, s[0:3], s32 offset:332 ; 4-byte Folded Spill
	v_mul_f32_e32 v4, v8, v4
	v_bfe_u32 v5, v4, 16, 1
	v_or_b32_e32 v12, 0x400000, v4
	v_cmp_u_f32_e32 vcc_lo, v4, v4
	v_add3_u32 v5, v5, v4, 0x7fff
	v_cndmask_b32_e32 v4, v5, v12, vcc_lo
	v_lshlrev_b32_e32 v5, 16, v79
	v_and_b32_e32 v4, 0xffff0000, v4
	v_mul_f32_e32 v5, v9, v5
	v_bfe_u32 v12, v5, 16, 1
	v_or_b32_e32 v13, 0x400000, v5
	v_cmp_u_f32_e32 vcc_lo, v5, v5
	v_add3_u32 v12, v12, v5, 0x7fff
	v_cndmask_b32_e32 v5, v12, v13, vcc_lo
	v_lshlrev_b32_e32 v12, 16, v62
	v_and_b32_e32 v5, 0xffff0000, v5
	v_mul_f32_e32 v12, v3, v12
	v_add_f32_e32 v4, v5, v4
	v_bfe_u32 v13, v12, 16, 1
	v_or_b32_e32 v16, 0x400000, v12
	v_cmp_u_f32_e32 vcc_lo, v12, v12
	v_add3_u32 v13, v13, v12, 0x7fff
	v_cndmask_b32_e32 v12, v13, v16, vcc_lo
	v_lshlrev_b32_e32 v13, 16, v63
	v_and_b32_e32 v12, 0xffff0000, v12
	v_mul_f32_e32 v13, v7, v13
	v_bfe_u32 v16, v13, 16, 1
	v_or_b32_e32 v22, 0x400000, v13
	v_cmp_u_f32_e32 vcc_lo, v13, v13
	v_add3_u32 v16, v16, v13, 0x7fff
	v_cndmask_b32_e32 v13, v16, v22, vcc_lo
	v_lshlrev_b32_e32 v16, 16, v60
	v_and_b32_e32 v5, 0xffff0000, v13
	v_mul_f32_e32 v16, v1, v16
	v_add_f32_e32 v5, v5, v12
	v_bfe_u32 v22, v16, 16, 1
	v_or_b32_e32 v25, 0x400000, v16
	v_cmp_u_f32_e32 vcc_lo, v16, v16
	v_add_f32_e32 v4, v4, v5
	v_add3_u32 v22, v22, v16, 0x7fff
	v_cndmask_b32_e32 v16, v22, v25, vcc_lo
	v_lshlrev_b32_e32 v22, 16, v58
	v_and_b32_e32 v12, 0xffff0000, v16
	v_mul_f32_e32 v22, v6, v22
	v_bfe_u32 v25, v22, 16, 1
	v_or_b32_e32 v26, 0x400000, v22
	v_cmp_u_f32_e32 vcc_lo, v22, v22
	v_add3_u32 v25, v25, v22, 0x7fff
	v_cndmask_b32_e32 v22, v25, v26, vcc_lo
	v_lshlrev_b32_e32 v25, 16, v59
	v_and_b32_e32 v5, 0xffff0000, v22
	v_mul_f32_e32 v25, v0, v25
	v_add_f32_e32 v5, v5, v12
	v_bfe_u32 v26, v25, 16, 1
	v_or_b32_e32 v27, 0x400000, v25
	v_cmp_u_f32_e32 vcc_lo, v25, v25
	v_add_f32_e32 v4, v4, v5
	v_add3_u32 v26, v26, v25, 0x7fff
	v_cndmask_b32_e32 v25, v26, v27, vcc_lo
	v_lshlrev_b32_e32 v26, 16, v57
	v_and_b32_e32 v12, 0xffff0000, v25
	v_mul_f32_e32 v26, v2, v26
	v_bfe_u32 v27, v26, 16, 1
	v_or_b32_e32 v28, 0x400000, v26
	v_cmp_u_f32_e32 vcc_lo, v26, v26
	v_add3_u32 v27, v27, v26, 0x7fff
	v_cndmask_b32_e32 v26, v27, v28, vcc_lo
	v_and_b32_e32 v5, 0xffff0000, v26
	v_add_f32_e32 v5, v5, v12
	v_add_f32_e32 v4, v4, v5
	buffer_load_dword v5, off, s[0:3], s32 offset:336 ; 4-byte Folded Reload
	s_waitcnt vmcnt(0)
	v_add_f32_e32 v5, v5, v4
	v_lshlrev_b32_e32 v4, 16, v47
	buffer_store_dword v5, off, s[0:3], s32 offset:336 ; 4-byte Folded Spill
	v_mul_f32_e32 v4, v8, v4
	v_bfe_u32 v5, v4, 16, 1
	v_or_b32_e32 v12, 0x400000, v4
	v_cmp_u_f32_e32 vcc_lo, v4, v4
	v_add3_u32 v5, v5, v4, 0x7fff
	v_cndmask_b32_e32 v4, v5, v12, vcc_lo
	v_lshlrev_b32_e32 v5, 16, v46
	v_and_b32_e32 v4, 0xffff0000, v4
	v_mul_f32_e32 v5, v9, v5
	v_bfe_u32 v12, v5, 16, 1
	v_or_b32_e32 v13, 0x400000, v5
	v_cmp_u_f32_e32 vcc_lo, v5, v5
	v_add3_u32 v12, v12, v5, 0x7fff
	v_cndmask_b32_e32 v5, v12, v13, vcc_lo
	v_lshlrev_b32_e32 v12, 16, v44
	v_and_b32_e32 v5, 0xffff0000, v5
	v_mul_f32_e32 v12, v3, v12
	v_add_f32_e32 v4, v5, v4
	v_bfe_u32 v13, v12, 16, 1
	v_or_b32_e32 v16, 0x400000, v12
	v_cmp_u_f32_e32 vcc_lo, v12, v12
	v_add3_u32 v13, v13, v12, 0x7fff
	v_cndmask_b32_e32 v12, v13, v16, vcc_lo
	v_lshlrev_b32_e32 v13, 16, v45
	v_and_b32_e32 v12, 0xffff0000, v12
	v_mul_f32_e32 v13, v7, v13
	v_bfe_u32 v16, v13, 16, 1
	v_or_b32_e32 v22, 0x400000, v13
	v_cmp_u_f32_e32 vcc_lo, v13, v13
	v_add3_u32 v16, v16, v13, 0x7fff
	v_cndmask_b32_e32 v13, v16, v22, vcc_lo
	v_lshlrev_b32_e32 v16, 16, v43
	v_and_b32_e32 v5, 0xffff0000, v13
	v_mul_f32_e32 v16, v1, v16
	v_add_f32_e32 v5, v5, v12
	v_bfe_u32 v22, v16, 16, 1
	v_or_b32_e32 v25, 0x400000, v16
	v_cmp_u_f32_e32 vcc_lo, v16, v16
	v_add_f32_e32 v4, v4, v5
	v_add3_u32 v22, v22, v16, 0x7fff
	v_cndmask_b32_e32 v16, v22, v25, vcc_lo
	v_lshlrev_b32_e32 v22, 16, v41
	v_and_b32_e32 v12, 0xffff0000, v16
	v_mul_f32_e32 v22, v6, v22
	v_bfe_u32 v25, v22, 16, 1
	v_or_b32_e32 v26, 0x400000, v22
	v_cmp_u_f32_e32 vcc_lo, v22, v22
	v_add3_u32 v25, v25, v22, 0x7fff
	v_cndmask_b32_e32 v22, v25, v26, vcc_lo
	v_lshlrev_b32_e32 v25, 16, v42
	v_and_b32_e32 v5, 0xffff0000, v22
	v_mul_f32_e32 v25, v0, v25
	v_add_f32_e32 v5, v5, v12
	v_bfe_u32 v26, v25, 16, 1
	v_or_b32_e32 v27, 0x400000, v25
	v_cmp_u_f32_e32 vcc_lo, v25, v25
	v_add_f32_e32 v4, v4, v5
	v_add3_u32 v26, v26, v25, 0x7fff
	v_cndmask_b32_e32 v25, v26, v27, vcc_lo
	buffer_load_dword v26, off, s[0:3], s32 offset:292 ; 4-byte Folded Reload
	v_and_b32_e32 v12, 0xffff0000, v25
	s_waitcnt vmcnt(0)
	v_lshlrev_b32_e32 v26, 16, v26
	v_mul_f32_e32 v26, v2, v26
	v_bfe_u32 v27, v26, 16, 1
	v_or_b32_e32 v28, 0x400000, v26
	v_cmp_u_f32_e32 vcc_lo, v26, v26
	v_add3_u32 v27, v27, v26, 0x7fff
	v_cndmask_b32_e32 v26, v27, v28, vcc_lo
	v_and_b32_e32 v5, 0xffff0000, v26
	v_add_f32_e32 v5, v5, v12
	v_add_f32_e32 v4, v4, v5
	buffer_load_dword v5, off, s[0:3], s32 offset:340 ; 4-byte Folded Reload
	s_waitcnt vmcnt(0)
	v_add_f32_e32 v5, v5, v4
	buffer_load_dword v4, off, s[0:3], s32 offset:288 ; 4-byte Folded Reload
	buffer_store_dword v5, off, s[0:3], s32 offset:340 ; 4-byte Folded Spill
	s_waitcnt vmcnt(0)
	v_lshlrev_b32_e32 v4, 16, v4
	v_mul_f32_e32 v4, v8, v4
	v_bfe_u32 v5, v4, 16, 1
	v_or_b32_e32 v12, 0x400000, v4
	v_cmp_u_f32_e32 vcc_lo, v4, v4
	v_add3_u32 v5, v5, v4, 0x7fff
	v_cndmask_b32_e32 v4, v5, v12, vcc_lo
	buffer_load_dword v5, off, s[0:3], s32 offset:284 ; 4-byte Folded Reload
	v_and_b32_e32 v4, 0xffff0000, v4
	s_waitcnt vmcnt(0)
	v_lshlrev_b32_e32 v5, 16, v5
	v_mul_f32_e32 v5, v9, v5
	v_bfe_u32 v12, v5, 16, 1
	v_or_b32_e32 v13, 0x400000, v5
	v_cmp_u_f32_e32 vcc_lo, v5, v5
	v_add3_u32 v12, v12, v5, 0x7fff
	v_cndmask_b32_e32 v5, v12, v13, vcc_lo
	buffer_load_dword v12, off, s[0:3], s32 offset:276 ; 4-byte Folded Reload
	v_and_b32_e32 v5, 0xffff0000, v5
	v_add_f32_e32 v4, v5, v4
	s_waitcnt vmcnt(0)
	v_lshlrev_b32_e32 v12, 16, v12
	v_mul_f32_e32 v12, v3, v12
	v_bfe_u32 v13, v12, 16, 1
	v_or_b32_e32 v16, 0x400000, v12
	v_cmp_u_f32_e32 vcc_lo, v12, v12
	v_add3_u32 v13, v13, v12, 0x7fff
	v_cndmask_b32_e32 v12, v13, v16, vcc_lo
	buffer_load_dword v13, off, s[0:3], s32 offset:280 ; 4-byte Folded Reload
	v_and_b32_e32 v12, 0xffff0000, v12
	s_waitcnt vmcnt(0)
	v_lshlrev_b32_e32 v13, 16, v13
	v_mul_f32_e32 v13, v7, v13
	v_bfe_u32 v16, v13, 16, 1
	v_or_b32_e32 v22, 0x400000, v13
	v_cmp_u_f32_e32 vcc_lo, v13, v13
	v_add3_u32 v16, v16, v13, 0x7fff
	v_cndmask_b32_e32 v13, v16, v22, vcc_lo
	buffer_load_dword v16, off, s[0:3], s32 offset:272 ; 4-byte Folded Reload
	v_and_b32_e32 v5, 0xffff0000, v13
	v_add_f32_e32 v5, v5, v12
	v_add_f32_e32 v4, v4, v5
	s_waitcnt vmcnt(0)
	v_lshlrev_b32_e32 v16, 16, v16
	v_mul_f32_e32 v16, v1, v16
	v_bfe_u32 v22, v16, 16, 1
	v_or_b32_e32 v25, 0x400000, v16
	v_cmp_u_f32_e32 vcc_lo, v16, v16
	v_add3_u32 v22, v22, v16, 0x7fff
	v_cndmask_b32_e32 v16, v22, v25, vcc_lo
	buffer_load_dword v22, off, s[0:3], s32 offset:264 ; 4-byte Folded Reload
	v_and_b32_e32 v12, 0xffff0000, v16
	s_waitcnt vmcnt(0)
	v_lshlrev_b32_e32 v22, 16, v22
	v_mul_f32_e32 v22, v6, v22
	v_bfe_u32 v25, v22, 16, 1
	v_or_b32_e32 v26, 0x400000, v22
	v_cmp_u_f32_e32 vcc_lo, v22, v22
	v_add3_u32 v25, v25, v22, 0x7fff
	v_cndmask_b32_e32 v22, v25, v26, vcc_lo
	buffer_load_dword v25, off, s[0:3], s32 offset:268 ; 4-byte Folded Reload
	v_and_b32_e32 v5, 0xffff0000, v22
	v_add_f32_e32 v5, v5, v12
	v_add_f32_e32 v4, v4, v5
	s_waitcnt vmcnt(0)
	v_lshlrev_b32_e32 v25, 16, v25
	v_mul_f32_e32 v25, v0, v25
	v_bfe_u32 v26, v25, 16, 1
	v_or_b32_e32 v27, 0x400000, v25
	v_cmp_u_f32_e32 vcc_lo, v25, v25
	v_add3_u32 v26, v26, v25, 0x7fff
	v_cndmask_b32_e32 v25, v26, v27, vcc_lo
	buffer_load_dword v26, off, s[0:3], s32 offset:260 ; 4-byte Folded Reload
	v_and_b32_e32 v12, 0xffff0000, v25
	s_waitcnt vmcnt(0)
	v_lshlrev_b32_e32 v26, 16, v26
	v_mul_f32_e32 v26, v2, v26
	v_bfe_u32 v27, v26, 16, 1
	v_or_b32_e32 v28, 0x400000, v26
	v_cmp_u_f32_e32 vcc_lo, v26, v26
	v_add3_u32 v27, v27, v26, 0x7fff
	v_cndmask_b32_e32 v26, v27, v28, vcc_lo
	v_and_b32_e32 v5, 0xffff0000, v26
	v_add_f32_e32 v5, v5, v12
	v_add_f32_e32 v4, v4, v5
	buffer_load_dword v5, off, s[0:3], s32 offset:348 ; 4-byte Folded Reload
	s_waitcnt vmcnt(0)
	v_add_f32_e32 v5, v5, v4
	buffer_load_dword v4, off, s[0:3], s32 offset:256 ; 4-byte Folded Reload
	buffer_store_dword v5, off, s[0:3], s32 offset:348 ; 4-byte Folded Spill
	s_waitcnt vmcnt(0)
	v_lshlrev_b32_e32 v4, 16, v4
	v_mul_f32_e32 v4, v8, v4
	v_bfe_u32 v5, v4, 16, 1
	v_or_b32_e32 v12, 0x400000, v4
	v_cmp_u_f32_e32 vcc_lo, v4, v4
	v_add3_u32 v5, v5, v4, 0x7fff
	v_cndmask_b32_e32 v4, v5, v12, vcc_lo
	buffer_load_dword v5, off, s[0:3], s32 offset:248 ; 4-byte Folded Reload
	v_and_b32_e32 v4, 0xffff0000, v4
	s_waitcnt vmcnt(0)
	v_lshlrev_b32_e32 v5, 16, v5
	v_mul_f32_e32 v5, v9, v5
	v_bfe_u32 v12, v5, 16, 1
	v_or_b32_e32 v13, 0x400000, v5
	v_cmp_u_f32_e32 vcc_lo, v5, v5
	v_add3_u32 v12, v12, v5, 0x7fff
	v_cndmask_b32_e32 v5, v12, v13, vcc_lo
	buffer_load_dword v12, off, s[0:3], s32 offset:240 ; 4-byte Folded Reload
	v_and_b32_e32 v5, 0xffff0000, v5
	v_add_f32_e32 v4, v5, v4
	s_waitcnt vmcnt(0)
	v_lshlrev_b32_e32 v12, 16, v12
	v_mul_f32_e32 v12, v3, v12
	v_bfe_u32 v13, v12, 16, 1
	v_or_b32_e32 v16, 0x400000, v12
	v_cmp_u_f32_e32 vcc_lo, v12, v12
	v_add3_u32 v13, v13, v12, 0x7fff
	v_cndmask_b32_e32 v12, v13, v16, vcc_lo
	buffer_load_dword v13, off, s[0:3], s32 offset:244 ; 4-byte Folded Reload
	v_and_b32_e32 v12, 0xffff0000, v12
	s_waitcnt vmcnt(0)
	v_lshlrev_b32_e32 v13, 16, v13
	v_mul_f32_e32 v13, v7, v13
	v_bfe_u32 v16, v13, 16, 1
	v_or_b32_e32 v22, 0x400000, v13
	v_cmp_u_f32_e32 vcc_lo, v13, v13
	v_add3_u32 v16, v16, v13, 0x7fff
	v_cndmask_b32_e32 v13, v16, v22, vcc_lo
	buffer_load_dword v16, off, s[0:3], s32 offset:236 ; 4-byte Folded Reload
	v_and_b32_e32 v5, 0xffff0000, v13
	v_add_f32_e32 v5, v5, v12
	v_add_f32_e32 v4, v4, v5
	s_waitcnt vmcnt(0)
	v_lshlrev_b32_e32 v16, 16, v16
	v_mul_f32_e32 v16, v1, v16
	v_bfe_u32 v22, v16, 16, 1
	v_or_b32_e32 v25, 0x400000, v16
	v_cmp_u_f32_e32 vcc_lo, v16, v16
	v_add3_u32 v22, v22, v16, 0x7fff
	v_cndmask_b32_e32 v16, v22, v25, vcc_lo
	buffer_load_dword v22, off, s[0:3], s32 offset:228 ; 4-byte Folded Reload
	v_and_b32_e32 v12, 0xffff0000, v16
	s_waitcnt vmcnt(0)
	v_lshlrev_b32_e32 v22, 16, v22
	v_mul_f32_e32 v22, v6, v22
	v_bfe_u32 v25, v22, 16, 1
	v_or_b32_e32 v26, 0x400000, v22
	v_cmp_u_f32_e32 vcc_lo, v22, v22
	v_add3_u32 v25, v25, v22, 0x7fff
	v_cndmask_b32_e32 v22, v25, v26, vcc_lo
	buffer_load_dword v25, off, s[0:3], s32 offset:232 ; 4-byte Folded Reload
	v_and_b32_e32 v5, 0xffff0000, v22
	v_add_f32_e32 v5, v5, v12
	v_add_f32_e32 v4, v4, v5
	s_waitcnt vmcnt(0)
	v_lshlrev_b32_e32 v25, 16, v25
	v_mul_f32_e32 v25, v0, v25
	v_bfe_u32 v26, v25, 16, 1
	v_or_b32_e32 v27, 0x400000, v25
	v_cmp_u_f32_e32 vcc_lo, v25, v25
	v_add3_u32 v26, v26, v25, 0x7fff
	v_cndmask_b32_e32 v25, v26, v27, vcc_lo
	buffer_load_dword v26, off, s[0:3], s32 offset:224 ; 4-byte Folded Reload
	v_and_b32_e32 v12, 0xffff0000, v25
	s_waitcnt vmcnt(0)
	v_lshlrev_b32_e32 v26, 16, v26
	v_mul_f32_e32 v26, v2, v26
	v_bfe_u32 v27, v26, 16, 1
	v_or_b32_e32 v28, 0x400000, v26
	v_cmp_u_f32_e32 vcc_lo, v26, v26
	v_add3_u32 v27, v27, v26, 0x7fff
	v_cndmask_b32_e32 v26, v27, v28, vcc_lo
	v_and_b32_e32 v5, 0xffff0000, v26
	v_add_f32_e32 v5, v5, v12
	v_add_f32_e32 v4, v4, v5
	buffer_load_dword v5, off, s[0:3], s32 offset:344 ; 4-byte Folded Reload
	s_waitcnt vmcnt(0)
	v_add_f32_e32 v5, v5, v4
	v_lshlrev_b32_e32 v4, 16, v68
	buffer_store_dword v5, off, s[0:3], s32 offset:344 ; 4-byte Folded Spill
	v_mul_f32_e32 v4, v9, v4
	v_bfe_u32 v5, v4, 16, 1
	v_or_b32_e32 v9, 0x400000, v4
	v_cmp_u_f32_e32 vcc_lo, v4, v4
	v_add3_u32 v5, v5, v4, 0x7fff
	v_cndmask_b32_e32 v4, v5, v9, vcc_lo
	v_lshlrev_b32_e32 v5, 16, v24
	v_and_b32_e32 v4, 0xffff0000, v4
	v_mul_f32_e32 v5, v8, v5
	v_bfe_u32 v8, v5, 16, 1
	v_or_b32_e32 v9, 0x400000, v5
	v_cmp_u_f32_e32 vcc_lo, v5, v5
	v_add3_u32 v8, v8, v5, 0x7fff
	v_cndmask_b32_e32 v5, v8, v9, vcc_lo
	v_lshlrev_b32_e32 v8, 16, v21
	v_and_b32_e32 v5, 0xffff0000, v5
	v_mul_f32_e32 v7, v7, v8
	v_add_f32_e32 v4, v4, v5
	v_bfe_u32 v8, v7, 16, 1
	v_or_b32_e32 v9, 0x400000, v7
	v_cmp_u_f32_e32 vcc_lo, v7, v7
	v_add3_u32 v8, v8, v7, 0x7fff
	v_cndmask_b32_e32 v7, v8, v9, vcc_lo
	v_lshlrev_b32_e32 v8, 16, v19
	buffer_load_dword v19, off, s[0:3], s32 offset:356 ; 4-byte Folded Reload
	v_and_b32_e32 v5, 0xffff0000, v7
	v_mul_f32_e32 v3, v3, v8
	v_bfe_u32 v8, v3, 16, 1
	v_or_b32_e32 v9, 0x400000, v3
	v_cmp_u_f32_e32 vcc_lo, v3, v3
	v_add3_u32 v8, v8, v3, 0x7fff
	v_cndmask_b32_e32 v3, v8, v9, vcc_lo
	v_lshlrev_b32_e32 v8, 16, v18
	v_and_b32_e32 v3, 0xffff0000, v3
	v_mul_f32_e32 v6, v6, v8
	v_add_f32_e32 v3, v5, v3
	v_bfe_u32 v8, v6, 16, 1
	v_or_b32_e32 v9, 0x400000, v6
	v_cmp_u_f32_e32 vcc_lo, v6, v6
	v_add_f32_e32 v3, v4, v3
	v_add3_u32 v8, v8, v6, 0x7fff
	v_cndmask_b32_e32 v6, v8, v9, vcc_lo
	v_lshlrev_b32_e32 v8, 16, v10
	v_and_b32_e32 v4, 0xffff0000, v6
	v_mul_f32_e32 v1, v1, v8
	v_bfe_u32 v8, v1, 16, 1
	v_or_b32_e32 v9, 0x400000, v1
	v_cmp_u_f32_e32 vcc_lo, v1, v1
	v_add3_u32 v8, v8, v1, 0x7fff
	v_cndmask_b32_e32 v1, v8, v9, vcc_lo
	v_lshlrev_b32_e32 v8, 16, v20
	v_and_b32_e32 v1, 0xffff0000, v1
	v_mul_f32_e32 v2, v2, v8
	v_add_f32_e32 v1, v4, v1
	v_bfe_u32 v8, v2, 16, 1
	v_or_b32_e32 v9, 0x400000, v2
	v_cmp_u_f32_e32 vcc_lo, v2, v2
	v_add_f32_e32 v1, v3, v1
	v_add3_u32 v8, v8, v2, 0x7fff
	v_cndmask_b32_e32 v2, v8, v9, vcc_lo
	v_lshlrev_b32_e32 v8, 16, v23
	v_and_b32_e32 v2, 0xffff0000, v2
	v_mul_f32_e32 v0, v0, v8
	v_bfe_u32 v8, v0, 16, 1
	v_or_b32_e32 v9, 0x400000, v0
	v_cmp_u_f32_e32 vcc_lo, v0, v0
	v_add3_u32 v8, v8, v0, 0x7fff
	v_cndmask_b32_e32 v0, v8, v9, vcc_lo
	v_and_b32_e32 v0, 0xffff0000, v0
	v_add_f32_e32 v0, v2, v0
	v_add_f32_e32 v0, v1, v0
	s_waitcnt vmcnt(0)
	v_add_f32_e32 v19, v19, v0
.LBB376_933:                            ;   in Loop: Header=BB376_934 Depth=1
	s_or_b32 exec_lo, exec_lo, s15
	buffer_load_dword v0, off, s[0:3], s32 offset:212 ; 4-byte Folded Reload
	v_add_nc_u32_e32 v17, 4, v17
	v_add_co_u32 v14, s4, v14, 16
	v_add_co_ci_u32_e64 v15, null, 0, v15, s4
	v_add_nc_u32_e32 v52, 0x80, v52
	v_add_nc_u32_e32 v86, 0x200, v86
	s_waitcnt vmcnt(0)
	v_cmp_ge_i32_e32 vcc_lo, v17, v0
	s_or_b32 s11, vcc_lo, s11
	s_andn2_b32 exec_lo, exec_lo, s11
	s_cbranch_execz .LBB376_1859
.LBB376_934:                            ; =>This Inner Loop Header: Depth=1
	s_clause 0x1
	buffer_load_dword v1, off, s[0:3], s32 offset:216
	buffer_load_dword v4, off, s[0:3], s32 offset:208
	v_sub_nc_u32_e32 v0, 0, v52
	v_max_i32_e32 v0, v52, v0
	s_waitcnt vmcnt(1)
	v_mul_hi_u32 v1, v0, v1
	v_mul_lo_u32 v2, v1, v49
	v_sub_nc_u32_e32 v0, v0, v2
	v_add_nc_u32_e32 v2, 1, v1
	v_sub_nc_u32_e32 v3, v0, v49
	v_cmp_ge_u32_e32 vcc_lo, v0, v49
	v_cndmask_b32_e32 v1, v1, v2, vcc_lo
	v_cndmask_b32_e32 v0, v0, v3, vcc_lo
	v_ashrrev_i32_e32 v2, 31, v52
	v_add_nc_u32_e32 v3, 1, v1
	v_cmp_ge_u32_e32 vcc_lo, v0, v49
	s_waitcnt vmcnt(0)
	v_xor_b32_e32 v2, v2, v4
	v_cndmask_b32_e32 v0, v1, v3, vcc_lo
	v_xor_b32_e32 v0, v0, v2
	v_sub_nc_u32_e32 v0, v0, v2
	s_clause 0x2
	buffer_load_dword v1, off, s[0:3], s32 offset:200
	buffer_load_dword v2, off, s[0:3], s32 offset:204
	;; [unrolled: 1-line block ×3, first 2 shown]
	s_waitcnt vmcnt(2)
	v_add_nc_u32_e32 v1, v0, v1
	s_waitcnt vmcnt(1)
	v_sub_nc_u32_e32 v2, 0, v1
	v_max_i32_e32 v2, v1, v2
	v_ashrrev_i32_e32 v1, 31, v1
	s_waitcnt vmcnt(0)
	v_mul_hi_u32 v3, v2, v3
	v_mul_lo_u32 v3, v3, v30
	v_sub_nc_u32_e32 v2, v2, v3
	v_sub_nc_u32_e32 v3, v2, v30
	v_cmp_ge_u32_e32 vcc_lo, v2, v30
	v_cndmask_b32_e32 v2, v2, v3, vcc_lo
	v_sub_nc_u32_e32 v3, v2, v30
	v_cmp_ge_u32_e32 vcc_lo, v2, v30
	v_cndmask_b32_e32 v2, v2, v3, vcc_lo
	v_xor_b32_e32 v2, v2, v1
	v_sub_nc_u32_e32 v1, v2, v1
	v_cmp_eq_u32_e32 vcc_lo, 0, v1
	buffer_load_dword v1, off, s[0:3], s32 offset:220 ; 4-byte Folded Reload
	s_waitcnt vmcnt(0)
	v_cmp_gt_i32_e64 s4, v0, v1
	s_or_b32 s4, vcc_lo, s4
	s_and_saveexec_b32 s15, s4
	s_cbranch_execz .LBB376_933
; %bb.935:                              ;   in Loop: Header=BB376_934 Depth=1
	buffer_store_dword v19, off, s[0:3], s32 offset:356 ; 4-byte Folded Spill
	flat_load_dword v0, v[14:15]
	s_clause 0x2
	buffer_load_dword v1, off, s[0:3], s32 offset:296
	buffer_load_dword v2, off, s[0:3], s32 offset:380
	;; [unrolled: 1-line block ×3, first 2 shown]
	v_mov_b32_e32 v5, 0
	v_mov_b32_e32 v4, 0
	s_waitcnt vmcnt(0) lgkmcnt(0)
	v_mad_i64_i32 v[18:19], null, v0, v1, v[2:3]
	flat_load_dwordx2 v[20:21], v[18:19]
	s_clause 0x1
	buffer_load_dword v0, off, s[0:3], s32 offset:364
	buffer_load_dword v1, off, s[0:3], s32 offset:368
	s_waitcnt vmcnt(2) lgkmcnt(0)
	v_cmp_ne_u16_sdwa s16, v20, v11 src0_sel:BYTE_0 src1_sel:DWORD
	s_waitcnt vmcnt(0)
	flat_load_dword v56, v[0:1]
	ds_read2_b64 v[6:9], v86 offset1:1
	ds_read2_b64 v[0:3], v86 offset0:2 offset1:3
	s_and_saveexec_b32 s4, s16
	s_cbranch_execz .LBB376_943
; %bb.936:                              ;   in Loop: Header=BB376_934 Depth=1
	v_cmp_ne_u16_sdwa s17, v20, v80 src0_sel:BYTE_0 src1_sel:DWORD
	v_bfrev_b32_e32 v4, 1
	s_and_saveexec_b32 s16, s17
	s_cbranch_execz .LBB376_942
; %bb.937:                              ;   in Loop: Header=BB376_934 Depth=1
	v_and_b32_e32 v10, 0x7f, v20
	v_mov_b32_e32 v4, 0x7f800001
	s_mov_b32 s17, exec_lo
	v_cmpx_ne_u32_e32 0x7f, v10
	s_cbranch_execz .LBB376_941
; %bb.938:                              ;   in Loop: Header=BB376_934 Depth=1
	v_mov_b32_e32 v24, v21
	v_lshrrev_b32_e32 v4, 3, v10
	v_mov_b32_e32 v23, v20
	s_mov_b32 s18, exec_lo
	v_cmpx_gt_u32_e32 8, v10
; %bb.939:                              ;   in Loop: Header=BB376_934 Depth=1
	v_and_b32_e32 v4, 7, v20
	v_ffbh_u32_e32 v4, v4
	v_min_u32_e32 v4, 32, v4
	v_subrev_nc_u32_e32 v10, 28, v4
	v_sub_nc_u32_e32 v4, 29, v4
	v_lshlrev_b64 v[23:24], v10, v[20:21]
; %bb.940:                              ;   in Loop: Header=BB376_934 Depth=1
	s_or_b32 exec_lo, exec_lo, s18
	v_lshlrev_b32_e32 v10, 20, v23
	v_lshlrev_b32_e32 v12, 24, v20
	v_lshl_add_u32 v4, v4, 23, 0x3c000000
	v_and_b32_e32 v10, 0x700000, v10
	v_and_b32_e32 v12, 0x80000000, v12
	v_or3_b32 v4, v10, v12, v4
.LBB376_941:                            ;   in Loop: Header=BB376_934 Depth=1
	s_or_b32 exec_lo, exec_lo, s17
.LBB376_942:                            ;   in Loop: Header=BB376_934 Depth=1
	s_or_b32 exec_lo, exec_lo, s16
.LBB376_943:                            ;   in Loop: Header=BB376_934 Depth=1
	s_or_b32 exec_lo, exec_lo, s4
	v_cmp_ne_u16_sdwa s16, v20, v11 src0_sel:BYTE_1 src1_sel:DWORD
	s_and_saveexec_b32 s4, s16
	s_cbranch_execz .LBB376_951
; %bb.944:                              ;   in Loop: Header=BB376_934 Depth=1
	v_cmp_ne_u16_sdwa s17, v20, v80 src0_sel:BYTE_1 src1_sel:DWORD
	v_bfrev_b32_e32 v5, 1
	s_and_saveexec_b32 s16, s17
	s_cbranch_execz .LBB376_950
; %bb.945:                              ;   in Loop: Header=BB376_934 Depth=1
	v_mov_b32_e32 v5, 0xffff
	s_mov_b32 s17, exec_lo
	v_and_b32_sdwa v10, v5, v20 dst_sel:DWORD dst_unused:UNUSED_PAD src0_sel:DWORD src1_sel:BYTE_1
	v_mov_b32_e32 v5, 0x7f800001
	v_and_b32_e32 v12, 0x7f, v10
	v_cmpx_ne_u32_e32 0x7f, v12
	s_cbranch_execz .LBB376_949
; %bb.946:                              ;   in Loop: Header=BB376_934 Depth=1
	v_and_b32_e32 v10, 7, v10
	v_mov_b32_e32 v24, v11
	v_lshrrev_b32_e32 v5, 3, v12
	s_mov_b32 s18, exec_lo
	v_mov_b32_e32 v23, v10
	v_cmpx_gt_u32_e32 8, v12
; %bb.947:                              ;   in Loop: Header=BB376_934 Depth=1
	v_ffbh_u32_e32 v5, v10
	v_min_u32_e32 v5, 32, v5
	v_subrev_nc_u32_e32 v12, 28, v5
	v_sub_nc_u32_e32 v5, 29, v5
	v_lshlrev_b64 v[12:13], v12, v[10:11]
	v_and_b32_e32 v23, 7, v12
; %bb.948:                              ;   in Loop: Header=BB376_934 Depth=1
	s_or_b32 exec_lo, exec_lo, s18
	v_lshlrev_b32_e32 v10, 16, v20
	v_lshlrev_b32_e32 v12, 20, v23
	v_lshl_add_u32 v5, v5, 23, 0x3c000000
	v_and_b32_e32 v10, 0x80000000, v10
	v_or3_b32 v5, v12, v10, v5
.LBB376_949:                            ;   in Loop: Header=BB376_934 Depth=1
	s_or_b32 exec_lo, exec_lo, s17
.LBB376_950:                            ;   in Loop: Header=BB376_934 Depth=1
	s_or_b32 exec_lo, exec_lo, s16
.LBB376_951:                            ;   in Loop: Header=BB376_934 Depth=1
	s_or_b32 exec_lo, exec_lo, s4
	v_and_b32_sdwa v10, v20, v82 dst_sel:DWORD dst_unused:UNUSED_PAD src0_sel:WORD_1 src1_sel:DWORD
	v_mov_b32_e32 v13, 0
	v_mov_b32_e32 v12, 0
	s_mov_b32 s4, exec_lo
	v_cmpx_ne_u16_e32 0, v10
	s_cbranch_execz .LBB376_959
; %bb.952:                              ;   in Loop: Header=BB376_934 Depth=1
	v_bfrev_b32_e32 v12, 1
	s_mov_b32 s16, exec_lo
	v_cmpx_ne_u16_e32 0x80, v10
	s_cbranch_execz .LBB376_958
; %bb.953:                              ;   in Loop: Header=BB376_934 Depth=1
	v_bfe_u32 v16, v20, 16, 7
	v_mov_b32_e32 v12, 0x7f800001
	s_mov_b32 s17, exec_lo
	v_cmpx_ne_u32_e32 0x7f, v16
	s_cbranch_execz .LBB376_957
; %bb.954:                              ;   in Loop: Header=BB376_934 Depth=1
	v_mov_b32_e32 v10, 7
	v_lshrrev_b32_e32 v12, 3, v16
	s_mov_b32 s18, exec_lo
	v_and_b32_sdwa v10, v20, v10 dst_sel:DWORD dst_unused:UNUSED_PAD src0_sel:WORD_1 src1_sel:DWORD
	v_mov_b32_e32 v24, v11
	v_mov_b32_e32 v23, v10
	v_cmpx_gt_u32_e32 8, v16
; %bb.955:                              ;   in Loop: Header=BB376_934 Depth=1
	v_ffbh_u32_e32 v12, v10
	v_min_u32_e32 v12, 32, v12
	v_subrev_nc_u32_e32 v16, 28, v12
	v_sub_nc_u32_e32 v12, 29, v12
	v_lshlrev_b64 v[22:23], v16, v[10:11]
	v_and_b32_e32 v23, 7, v22
; %bb.956:                              ;   in Loop: Header=BB376_934 Depth=1
	s_or_b32 exec_lo, exec_lo, s18
	v_mov_b32_e32 v10, 24
	v_lshlrev_b32_e32 v16, 20, v23
	v_lshl_add_u32 v12, v12, 23, 0x3c000000
	v_lshlrev_b32_sdwa v10, v10, v20 dst_sel:DWORD dst_unused:UNUSED_PAD src0_sel:DWORD src1_sel:WORD_1
	v_and_b32_e32 v10, 0x80000000, v10
	v_or3_b32 v12, v16, v10, v12
.LBB376_957:                            ;   in Loop: Header=BB376_934 Depth=1
	s_or_b32 exec_lo, exec_lo, s17
.LBB376_958:                            ;   in Loop: Header=BB376_934 Depth=1
	s_or_b32 exec_lo, exec_lo, s16
.LBB376_959:                            ;   in Loop: Header=BB376_934 Depth=1
	s_or_b32 exec_lo, exec_lo, s4
	s_mov_b32 s4, exec_lo
	v_cmpx_lt_u32_e32 0xffffff, v20
	s_cbranch_execz .LBB376_967
; %bb.960:                              ;   in Loop: Header=BB376_934 Depth=1
	v_cmp_ne_u32_sdwa s17, v20, v80 src0_sel:BYTE_3 src1_sel:DWORD
	v_bfrev_b32_e32 v13, 1
	s_and_saveexec_b32 s16, s17
	s_cbranch_execz .LBB376_966
; %bb.961:                              ;   in Loop: Header=BB376_934 Depth=1
	v_bfe_u32 v16, v20, 24, 7
	v_mov_b32_e32 v13, 0x7f800001
	s_mov_b32 s17, exec_lo
	v_cmpx_ne_u32_e32 0x7f, v16
	s_cbranch_execz .LBB376_965
; %bb.962:                              ;   in Loop: Header=BB376_934 Depth=1
	v_mov_b32_e32 v10, 7
	v_lshrrev_b32_e32 v13, 3, v16
	s_mov_b32 s18, exec_lo
	v_and_b32_sdwa v10, v20, v10 dst_sel:DWORD dst_unused:UNUSED_PAD src0_sel:BYTE_3 src1_sel:DWORD
	v_mov_b32_e32 v24, v11
	v_mov_b32_e32 v23, v10
	v_cmpx_gt_u32_e32 8, v16
; %bb.963:                              ;   in Loop: Header=BB376_934 Depth=1
	v_ffbh_u32_e32 v13, v10
	v_min_u32_e32 v13, 32, v13
	v_subrev_nc_u32_e32 v16, 28, v13
	v_sub_nc_u32_e32 v13, 29, v13
	v_lshlrev_b64 v[22:23], v16, v[10:11]
	v_and_b32_e32 v23, 7, v22
; %bb.964:                              ;   in Loop: Header=BB376_934 Depth=1
	s_or_b32 exec_lo, exec_lo, s18
	v_mov_b32_e32 v10, 24
	v_lshlrev_b32_e32 v16, 20, v23
	v_lshl_add_u32 v13, v13, 23, 0x3c000000
	v_lshlrev_b32_sdwa v10, v10, v20 dst_sel:DWORD dst_unused:UNUSED_PAD src0_sel:DWORD src1_sel:BYTE_3
	v_and_b32_e32 v10, 0x80000000, v10
	v_or3_b32 v13, v16, v10, v13
.LBB376_965:                            ;   in Loop: Header=BB376_934 Depth=1
	s_or_b32 exec_lo, exec_lo, s17
.LBB376_966:                            ;   in Loop: Header=BB376_934 Depth=1
	s_or_b32 exec_lo, exec_lo, s16
.LBB376_967:                            ;   in Loop: Header=BB376_934 Depth=1
	s_or_b32 exec_lo, exec_lo, s4
	v_mov_b32_e32 v10, v21
	v_cmp_ne_u16_sdwa s16, v21, v11 src0_sel:BYTE_0 src1_sel:DWORD
	v_mov_b32_e32 v22, 0
	v_mov_b32_e32 v16, 0
	s_and_saveexec_b32 s4, s16
	s_cbranch_execz .LBB376_975
; %bb.968:                              ;   in Loop: Header=BB376_934 Depth=1
	v_cmp_ne_u16_sdwa s17, v21, v80 src0_sel:BYTE_0 src1_sel:DWORD
	v_bfrev_b32_e32 v16, 1
	s_and_saveexec_b32 s16, s17
	s_cbranch_execz .LBB376_974
; %bb.969:                              ;   in Loop: Header=BB376_934 Depth=1
	v_and_b32_e32 v23, 0x7f, v21
	v_mov_b32_e32 v16, 0x7f800001
	s_mov_b32 s17, exec_lo
	v_cmpx_ne_u32_e32 0x7f, v23
	s_cbranch_execz .LBB376_973
; %bb.970:                              ;   in Loop: Header=BB376_934 Depth=1
	v_lshrrev_b32_e32 v16, 3, v23
	v_cmp_gt_u32_e32 vcc_lo, 8, v23
	v_mov_b32_e32 v24, v11
	v_mov_b32_e32 v23, v10
	s_and_saveexec_b32 s18, vcc_lo
; %bb.971:                              ;   in Loop: Header=BB376_934 Depth=1
	v_and_b32_e32 v16, 7, v21
	v_ffbh_u32_e32 v16, v16
	v_min_u32_e32 v16, 32, v16
	v_subrev_nc_u32_e32 v23, 28, v16
	v_sub_nc_u32_e32 v16, 29, v16
	v_lshlrev_b64 v[23:24], v23, v[10:11]
; %bb.972:                              ;   in Loop: Header=BB376_934 Depth=1
	s_or_b32 exec_lo, exec_lo, s18
	v_lshlrev_b32_e32 v23, 20, v23
	v_lshlrev_b32_e32 v24, 24, v10
	v_lshl_add_u32 v16, v16, 23, 0x3c000000
	v_and_b32_e32 v23, 0x700000, v23
	v_and_b32_e32 v24, 0x80000000, v24
	v_or3_b32 v16, v23, v24, v16
.LBB376_973:                            ;   in Loop: Header=BB376_934 Depth=1
	s_or_b32 exec_lo, exec_lo, s17
.LBB376_974:                            ;   in Loop: Header=BB376_934 Depth=1
	s_or_b32 exec_lo, exec_lo, s16
.LBB376_975:                            ;   in Loop: Header=BB376_934 Depth=1
	s_or_b32 exec_lo, exec_lo, s4
	v_cmp_ne_u16_sdwa s16, v10, v11 src0_sel:BYTE_1 src1_sel:DWORD
	s_and_saveexec_b32 s4, s16
	s_cbranch_execz .LBB376_983
; %bb.976:                              ;   in Loop: Header=BB376_934 Depth=1
	v_cmp_ne_u16_sdwa s17, v10, v80 src0_sel:BYTE_1 src1_sel:DWORD
	v_bfrev_b32_e32 v22, 1
	s_and_saveexec_b32 s16, s17
	s_cbranch_execz .LBB376_982
; %bb.977:                              ;   in Loop: Header=BB376_934 Depth=1
	v_mov_b32_e32 v22, 0xffff
	s_mov_b32 s17, exec_lo
	v_and_b32_sdwa v23, v22, v10 dst_sel:DWORD dst_unused:UNUSED_PAD src0_sel:DWORD src1_sel:BYTE_1
	v_mov_b32_e32 v22, 0x7f800001
	v_and_b32_e32 v25, 0x7f, v23
	v_cmpx_ne_u32_e32 0x7f, v25
	s_cbranch_execz .LBB376_981
; %bb.978:                              ;   in Loop: Header=BB376_934 Depth=1
	v_and_b32_e32 v23, 7, v23
	v_mov_b32_e32 v24, v11
	v_lshrrev_b32_e32 v22, 3, v25
	s_mov_b32 s18, exec_lo
	v_cmpx_gt_u32_e32 8, v25
; %bb.979:                              ;   in Loop: Header=BB376_934 Depth=1
	v_ffbh_u32_e32 v22, v23
	v_min_u32_e32 v22, 32, v22
	v_subrev_nc_u32_e32 v25, 28, v22
	v_sub_nc_u32_e32 v22, 29, v22
	v_lshlrev_b64 v[23:24], v25, v[23:24]
	v_and_b32_e32 v23, 7, v23
; %bb.980:                              ;   in Loop: Header=BB376_934 Depth=1
	s_or_b32 exec_lo, exec_lo, s18
	v_lshlrev_b32_e32 v10, 16, v10
	v_lshlrev_b32_e32 v23, 20, v23
	v_lshl_add_u32 v22, v22, 23, 0x3c000000
	v_and_b32_e32 v10, 0x80000000, v10
	v_or3_b32 v22, v23, v10, v22
.LBB376_981:                            ;   in Loop: Header=BB376_934 Depth=1
	s_or_b32 exec_lo, exec_lo, s17
.LBB376_982:                            ;   in Loop: Header=BB376_934 Depth=1
	s_or_b32 exec_lo, exec_lo, s16
.LBB376_983:                            ;   in Loop: Header=BB376_934 Depth=1
	s_or_b32 exec_lo, exec_lo, s4
	v_and_b32_sdwa v10, v21, v82 dst_sel:DWORD dst_unused:UNUSED_PAD src0_sel:WORD_1 src1_sel:DWORD
	v_mov_b32_e32 v25, 0
	v_mov_b32_e32 v26, 0
	s_mov_b32 s4, exec_lo
	v_cmpx_ne_u16_e32 0, v10
	s_cbranch_execz .LBB376_991
; %bb.984:                              ;   in Loop: Header=BB376_934 Depth=1
	v_bfrev_b32_e32 v26, 1
	s_mov_b32 s16, exec_lo
	v_cmpx_ne_u16_e32 0x80, v10
	s_cbranch_execz .LBB376_990
; %bb.985:                              ;   in Loop: Header=BB376_934 Depth=1
	v_bfe_u32 v23, v21, 16, 7
	v_mov_b32_e32 v26, 0x7f800001
	s_mov_b32 s17, exec_lo
	v_cmpx_ne_u32_e32 0x7f, v23
	s_cbranch_execz .LBB376_989
; %bb.986:                              ;   in Loop: Header=BB376_934 Depth=1
	v_mov_b32_e32 v10, 7
	v_lshrrev_b32_e32 v26, 3, v23
	v_cmp_gt_u32_e32 vcc_lo, 8, v23
	v_and_b32_sdwa v10, v21, v10 dst_sel:DWORD dst_unused:UNUSED_PAD src0_sel:WORD_1 src1_sel:DWORD
	v_mov_b32_e32 v24, v11
	v_mov_b32_e32 v23, v10
	s_and_saveexec_b32 s18, vcc_lo
; %bb.987:                              ;   in Loop: Header=BB376_934 Depth=1
	v_ffbh_u32_e32 v23, v10
	v_min_u32_e32 v26, 32, v23
	v_subrev_nc_u32_e32 v23, 28, v26
	v_sub_nc_u32_e32 v26, 29, v26
	v_lshlrev_b64 v[23:24], v23, v[10:11]
	v_and_b32_e32 v23, 7, v23
; %bb.988:                              ;   in Loop: Header=BB376_934 Depth=1
	s_or_b32 exec_lo, exec_lo, s18
	v_mov_b32_e32 v10, 24
	v_lshlrev_b32_e32 v23, 20, v23
	v_lshl_add_u32 v24, v26, 23, 0x3c000000
	v_lshlrev_b32_sdwa v10, v10, v21 dst_sel:DWORD dst_unused:UNUSED_PAD src0_sel:DWORD src1_sel:WORD_1
	v_and_b32_e32 v10, 0x80000000, v10
	v_or3_b32 v26, v23, v10, v24
.LBB376_989:                            ;   in Loop: Header=BB376_934 Depth=1
	s_or_b32 exec_lo, exec_lo, s17
.LBB376_990:                            ;   in Loop: Header=BB376_934 Depth=1
	s_or_b32 exec_lo, exec_lo, s16
.LBB376_991:                            ;   in Loop: Header=BB376_934 Depth=1
	s_or_b32 exec_lo, exec_lo, s4
	s_mov_b32 s4, exec_lo
	v_cmpx_lt_u64_e64 s[12:13], v[20:21]
	s_cbranch_execz .LBB376_999
; %bb.992:                              ;   in Loop: Header=BB376_934 Depth=1
	v_cmp_ne_u32_sdwa s17, v21, v80 src0_sel:BYTE_3 src1_sel:DWORD
	v_bfrev_b32_e32 v25, 1
	s_and_saveexec_b32 s16, s17
	s_cbranch_execz .LBB376_998
; %bb.993:                              ;   in Loop: Header=BB376_934 Depth=1
	v_bfe_u32 v23, v21, 24, 7
	v_mov_b32_e32 v25, 0x7f800001
	s_mov_b32 s17, exec_lo
	v_cmpx_ne_u32_e32 0x7f, v23
	s_cbranch_execz .LBB376_997
; %bb.994:                              ;   in Loop: Header=BB376_934 Depth=1
	v_mov_b32_e32 v10, 7
	v_lshrrev_b32_e32 v20, 3, v23
	v_cmp_gt_u32_e32 vcc_lo, 8, v23
	v_and_b32_sdwa v10, v21, v10 dst_sel:DWORD dst_unused:UNUSED_PAD src0_sel:BYTE_3 src1_sel:DWORD
	v_mov_b32_e32 v24, v11
	v_mov_b32_e32 v23, v10
	s_and_saveexec_b32 s18, vcc_lo
; %bb.995:                              ;   in Loop: Header=BB376_934 Depth=1
	v_ffbh_u32_e32 v20, v10
	v_min_u32_e32 v20, 32, v20
	v_subrev_nc_u32_e32 v23, 28, v20
	v_sub_nc_u32_e32 v20, 29, v20
	v_lshlrev_b64 v[23:24], v23, v[10:11]
	v_and_b32_e32 v23, 7, v23
; %bb.996:                              ;   in Loop: Header=BB376_934 Depth=1
	s_or_b32 exec_lo, exec_lo, s18
	v_mov_b32_e32 v10, 24
	v_lshl_add_u32 v20, v20, 23, 0x3c000000
	v_lshlrev_b32_sdwa v10, v10, v21 dst_sel:DWORD dst_unused:UNUSED_PAD src0_sel:DWORD src1_sel:BYTE_3
	v_lshlrev_b32_e32 v21, 20, v23
	v_and_b32_e32 v10, 0x80000000, v10
	v_or3_b32 v25, v21, v10, v20
.LBB376_997:                            ;   in Loop: Header=BB376_934 Depth=1
	s_or_b32 exec_lo, exec_lo, s17
.LBB376_998:                            ;   in Loop: Header=BB376_934 Depth=1
	s_or_b32 exec_lo, exec_lo, s16
.LBB376_999:                            ;   in Loop: Header=BB376_934 Depth=1
	s_or_b32 exec_lo, exec_lo, s4
	buffer_load_dword v20, off, s[0:3], s32 offset:376 ; 4-byte Folded Reload
	s_waitcnt vmcnt(1) lgkmcnt(2)
	v_mul_f32_e32 v10, v56, v22
	v_mul_f32_e32 v16, v56, v16
	;; [unrolled: 1-line block ×5, first 2 shown]
	v_or_b32_e32 v21, 0x400000, v10
	v_bfe_u32 v22, v16, 16, 1
	v_cmp_u_f32_e64 s4, v10, v10
	v_or_b32_e32 v23, 0x400000, v16
	v_bfe_u32 v24, v13, 16, 1
	v_or_b32_e32 v27, 0x400000, v13
	v_add3_u32 v22, v22, v16, 0x7fff
	v_mul_f32_e32 v4, v56, v4
	s_waitcnt vmcnt(0)
	v_add_nc_u32_e32 v61, v20, v52
	buffer_load_dword v20, off, s[0:3], s32 offset:372 ; 4-byte Folded Reload
	v_add_nc_u32_e32 v78, 1, v61
	v_add_nc_u32_e32 v77, 2, v61
	;; [unrolled: 1-line block ×7, first 2 shown]
	s_waitcnt vmcnt(0)
	v_cmp_eq_u32_e32 vcc_lo, v20, v17
	v_bfe_u32 v20, v10, 16, 1
	v_add3_u32 v20, v20, v10, 0x7fff
	v_cndmask_b32_e64 v10, v20, v21, s4
	v_cmp_u_f32_e64 s4, v16, v16
	v_add3_u32 v21, v24, v13, 0x7fff
	v_bfe_u32 v20, v12, 16, 1
	v_lshrrev_b32_e32 v10, 16, v10
	v_cndmask_b32_e64 v16, v22, v23, s4
	v_cmp_u_f32_e64 s4, v13, v13
	v_add3_u32 v13, v20, v12, 0x7fff
	v_or_b32_e32 v20, 0x400000, v12
	buffer_store_dword v10, off, s[0:3], s32 offset:236 ; 4-byte Folded Spill
	v_lshrrev_b32_e32 v16, 16, v16
	v_cndmask_b32_e64 v10, v21, v27, s4
	v_cmp_u_f32_e64 s4, v12, v12
	v_bfe_u32 v21, v4, 16, 1
	buffer_store_dword v16, off, s[0:3], s32 offset:228 ; 4-byte Folded Spill
	v_lshrrev_b32_e32 v10, 16, v10
	v_cndmask_b32_e64 v12, v13, v20, s4
	v_mul_f32_e32 v13, v56, v26
	v_or_b32_e32 v16, 0x400000, v5
	v_cmp_u_f32_e64 s4, v5, v5
	buffer_store_dword v10, off, s[0:3], s32 offset:240 ; 4-byte Folded Spill
	v_bfe_u32 v10, v5, 16, 1
	v_mul_f32_e32 v20, v56, v25
	v_bfe_u32 v22, v13, 16, 1
	v_or_b32_e32 v23, 0x400000, v13
	v_lshrrev_b32_e32 v12, 16, v12
	v_add3_u32 v10, v10, v5, 0x7fff
	v_or_b32_e32 v24, 0x400000, v20
	v_add3_u32 v22, v22, v13, 0x7fff
	buffer_store_dword v12, off, s[0:3], s32 offset:244 ; 4-byte Folded Spill
	v_cndmask_b32_e64 v5, v10, v16, s4
	v_add3_u32 v16, v21, v4, 0x7fff
	v_or_b32_e32 v21, 0x400000, v4
	v_cmp_u_f32_e64 s4, v4, v4
	v_bfe_u32 v10, v20, 16, 1
	v_lshrrev_b32_e32 v5, 16, v5
	v_cndmask_b32_e64 v4, v16, v21, s4
	v_cmp_u_f32_e64 s4, v13, v13
	v_add3_u32 v10, v10, v20, 0x7fff
	buffer_store_dword v5, off, s[0:3], s32 offset:256 ; 4-byte Folded Spill
	v_lshrrev_b32_e32 v4, 16, v4
	v_cndmask_b32_e64 v13, v22, v23, s4
	v_cmp_u_f32_e64 s4, v20, v20
	buffer_store_dword v4, off, s[0:3], s32 offset:248 ; 4-byte Folded Spill
	v_lshrrev_b32_e32 v4, 16, v13
	v_cndmask_b32_e64 v10, v10, v24, s4
	buffer_store_dword v4, off, s[0:3], s32 offset:224 ; 4-byte Folded Spill
	v_lshrrev_b32_e32 v4, 16, v10
	buffer_store_dword v4, off, s[0:3], s32 offset:232 ; 4-byte Folded Spill
	s_and_saveexec_b32 s16, vcc_lo
	s_cbranch_execz .LBB376_1001
; %bb.1000:                             ;   in Loop: Header=BB376_934 Depth=1
	buffer_load_dword v4, off, s[0:3], s32 offset:248 ; 4-byte Folded Reload
	v_cmp_lt_i32_e64 s4, v61, v38
	s_waitcnt vmcnt(0)
	v_cndmask_b32_e64 v4, 0, v4, s4
	v_cmp_lt_i32_e64 s4, v78, v38
	buffer_store_dword v4, off, s[0:3], s32 offset:248 ; 4-byte Folded Spill
	buffer_load_dword v4, off, s[0:3], s32 offset:256 ; 4-byte Folded Reload
	s_waitcnt vmcnt(0)
	v_cndmask_b32_e64 v4, 0, v4, s4
	v_cmp_lt_i32_e64 s4, v77, v38
	buffer_store_dword v4, off, s[0:3], s32 offset:256 ; 4-byte Folded Spill
	buffer_load_dword v4, off, s[0:3], s32 offset:244 ; 4-byte Folded Reload
	;; [unrolled: 5-line block ×7, first 2 shown]
	s_waitcnt vmcnt(0)
	v_cndmask_b32_e64 v4, 0, v4, s4
	buffer_store_dword v4, off, s[0:3], s32 offset:232 ; 4-byte Folded Spill
.LBB376_1001:                           ;   in Loop: Header=BB376_934 Depth=1
	s_or_b32 exec_lo, exec_lo, s16
	flat_load_dwordx2 v[20:21], v[18:19] offset:256
	v_mov_b32_e32 v5, 0
	v_mov_b32_e32 v4, 0
	s_waitcnt vmcnt(0) lgkmcnt(0)
	v_cmp_ne_u16_sdwa s4, v20, v11 src0_sel:BYTE_0 src1_sel:DWORD
	s_and_saveexec_b32 s16, s4
	s_cbranch_execz .LBB376_1009
; %bb.1002:                             ;   in Loop: Header=BB376_934 Depth=1
	v_cmp_ne_u16_sdwa s4, v20, v80 src0_sel:BYTE_0 src1_sel:DWORD
	v_bfrev_b32_e32 v4, 1
	s_and_saveexec_b32 s17, s4
	s_cbranch_execz .LBB376_1008
; %bb.1003:                             ;   in Loop: Header=BB376_934 Depth=1
	v_and_b32_e32 v10, 0x7f, v20
	v_mov_b32_e32 v4, 0x7f800001
	s_mov_b32 s18, exec_lo
	v_cmpx_ne_u32_e32 0x7f, v10
	s_cbranch_execz .LBB376_1007
; %bb.1004:                             ;   in Loop: Header=BB376_934 Depth=1
	v_mov_b32_e32 v24, v21
	v_lshrrev_b32_e32 v4, 3, v10
	v_mov_b32_e32 v23, v20
	s_mov_b32 s20, exec_lo
	v_cmpx_gt_u32_e32 8, v10
; %bb.1005:                             ;   in Loop: Header=BB376_934 Depth=1
	v_and_b32_e32 v4, 7, v20
	v_ffbh_u32_e32 v4, v4
	v_min_u32_e32 v4, 32, v4
	v_subrev_nc_u32_e32 v10, 28, v4
	v_sub_nc_u32_e32 v4, 29, v4
	v_lshlrev_b64 v[23:24], v10, v[20:21]
; %bb.1006:                             ;   in Loop: Header=BB376_934 Depth=1
	s_or_b32 exec_lo, exec_lo, s20
	v_lshlrev_b32_e32 v10, 20, v23
	v_lshlrev_b32_e32 v12, 24, v20
	v_lshl_add_u32 v4, v4, 23, 0x3c000000
	v_and_b32_e32 v10, 0x700000, v10
	v_and_b32_e32 v12, 0x80000000, v12
	v_or3_b32 v4, v10, v12, v4
.LBB376_1007:                           ;   in Loop: Header=BB376_934 Depth=1
	s_or_b32 exec_lo, exec_lo, s18
.LBB376_1008:                           ;   in Loop: Header=BB376_934 Depth=1
	s_or_b32 exec_lo, exec_lo, s17
.LBB376_1009:                           ;   in Loop: Header=BB376_934 Depth=1
	s_or_b32 exec_lo, exec_lo, s16
	v_cmp_ne_u16_sdwa s4, v20, v11 src0_sel:BYTE_1 src1_sel:DWORD
	s_and_saveexec_b32 s16, s4
	s_cbranch_execz .LBB376_1017
; %bb.1010:                             ;   in Loop: Header=BB376_934 Depth=1
	v_cmp_ne_u16_sdwa s4, v20, v80 src0_sel:BYTE_1 src1_sel:DWORD
	v_bfrev_b32_e32 v5, 1
	s_and_saveexec_b32 s17, s4
	s_cbranch_execz .LBB376_1016
; %bb.1011:                             ;   in Loop: Header=BB376_934 Depth=1
	v_mov_b32_e32 v5, 0xffff
	s_mov_b32 s18, exec_lo
	v_and_b32_sdwa v10, v5, v20 dst_sel:DWORD dst_unused:UNUSED_PAD src0_sel:DWORD src1_sel:BYTE_1
	v_mov_b32_e32 v5, 0x7f800001
	v_and_b32_e32 v12, 0x7f, v10
	v_cmpx_ne_u32_e32 0x7f, v12
	s_cbranch_execz .LBB376_1015
; %bb.1012:                             ;   in Loop: Header=BB376_934 Depth=1
	v_and_b32_e32 v10, 7, v10
	v_mov_b32_e32 v24, v11
	v_lshrrev_b32_e32 v5, 3, v12
	s_mov_b32 s20, exec_lo
	v_mov_b32_e32 v23, v10
	v_cmpx_gt_u32_e32 8, v12
; %bb.1013:                             ;   in Loop: Header=BB376_934 Depth=1
	v_ffbh_u32_e32 v5, v10
	v_min_u32_e32 v5, 32, v5
	v_subrev_nc_u32_e32 v12, 28, v5
	v_sub_nc_u32_e32 v5, 29, v5
	v_lshlrev_b64 v[12:13], v12, v[10:11]
	v_and_b32_e32 v23, 7, v12
; %bb.1014:                             ;   in Loop: Header=BB376_934 Depth=1
	s_or_b32 exec_lo, exec_lo, s20
	v_lshlrev_b32_e32 v10, 16, v20
	v_lshlrev_b32_e32 v12, 20, v23
	v_lshl_add_u32 v5, v5, 23, 0x3c000000
	v_and_b32_e32 v10, 0x80000000, v10
	v_or3_b32 v5, v12, v10, v5
.LBB376_1015:                           ;   in Loop: Header=BB376_934 Depth=1
	s_or_b32 exec_lo, exec_lo, s18
.LBB376_1016:                           ;   in Loop: Header=BB376_934 Depth=1
	s_or_b32 exec_lo, exec_lo, s17
.LBB376_1017:                           ;   in Loop: Header=BB376_934 Depth=1
	s_or_b32 exec_lo, exec_lo, s16
	v_and_b32_sdwa v10, v20, v82 dst_sel:DWORD dst_unused:UNUSED_PAD src0_sel:WORD_1 src1_sel:DWORD
	v_mov_b32_e32 v13, 0
	v_mov_b32_e32 v12, 0
	s_mov_b32 s16, exec_lo
	v_cmpx_ne_u16_e32 0, v10
	s_cbranch_execz .LBB376_1025
; %bb.1018:                             ;   in Loop: Header=BB376_934 Depth=1
	v_bfrev_b32_e32 v12, 1
	s_mov_b32 s17, exec_lo
	v_cmpx_ne_u16_e32 0x80, v10
	s_cbranch_execz .LBB376_1024
; %bb.1019:                             ;   in Loop: Header=BB376_934 Depth=1
	v_bfe_u32 v16, v20, 16, 7
	v_mov_b32_e32 v12, 0x7f800001
	s_mov_b32 s18, exec_lo
	v_cmpx_ne_u32_e32 0x7f, v16
	s_cbranch_execz .LBB376_1023
; %bb.1020:                             ;   in Loop: Header=BB376_934 Depth=1
	v_mov_b32_e32 v10, 7
	v_lshrrev_b32_e32 v12, 3, v16
	s_mov_b32 s20, exec_lo
	v_and_b32_sdwa v10, v20, v10 dst_sel:DWORD dst_unused:UNUSED_PAD src0_sel:WORD_1 src1_sel:DWORD
	v_mov_b32_e32 v24, v11
	v_mov_b32_e32 v23, v10
	v_cmpx_gt_u32_e32 8, v16
; %bb.1021:                             ;   in Loop: Header=BB376_934 Depth=1
	v_ffbh_u32_e32 v12, v10
	v_min_u32_e32 v12, 32, v12
	v_subrev_nc_u32_e32 v16, 28, v12
	v_sub_nc_u32_e32 v12, 29, v12
	v_lshlrev_b64 v[22:23], v16, v[10:11]
	v_and_b32_e32 v23, 7, v22
; %bb.1022:                             ;   in Loop: Header=BB376_934 Depth=1
	s_or_b32 exec_lo, exec_lo, s20
	v_mov_b32_e32 v10, 24
	v_lshlrev_b32_e32 v16, 20, v23
	v_lshl_add_u32 v12, v12, 23, 0x3c000000
	v_lshlrev_b32_sdwa v10, v10, v20 dst_sel:DWORD dst_unused:UNUSED_PAD src0_sel:DWORD src1_sel:WORD_1
	v_and_b32_e32 v10, 0x80000000, v10
	v_or3_b32 v12, v16, v10, v12
.LBB376_1023:                           ;   in Loop: Header=BB376_934 Depth=1
	s_or_b32 exec_lo, exec_lo, s18
.LBB376_1024:                           ;   in Loop: Header=BB376_934 Depth=1
	s_or_b32 exec_lo, exec_lo, s17
.LBB376_1025:                           ;   in Loop: Header=BB376_934 Depth=1
	s_or_b32 exec_lo, exec_lo, s16
	s_mov_b32 s16, exec_lo
	v_cmpx_lt_u32_e32 0xffffff, v20
	s_cbranch_execz .LBB376_1033
; %bb.1026:                             ;   in Loop: Header=BB376_934 Depth=1
	v_cmp_ne_u32_sdwa s4, v20, v80 src0_sel:BYTE_3 src1_sel:DWORD
	v_bfrev_b32_e32 v13, 1
	s_and_saveexec_b32 s17, s4
	s_cbranch_execz .LBB376_1032
; %bb.1027:                             ;   in Loop: Header=BB376_934 Depth=1
	v_bfe_u32 v16, v20, 24, 7
	v_mov_b32_e32 v13, 0x7f800001
	s_mov_b32 s18, exec_lo
	v_cmpx_ne_u32_e32 0x7f, v16
	s_cbranch_execz .LBB376_1031
; %bb.1028:                             ;   in Loop: Header=BB376_934 Depth=1
	v_mov_b32_e32 v10, 7
	v_lshrrev_b32_e32 v13, 3, v16
	s_mov_b32 s20, exec_lo
	v_and_b32_sdwa v10, v20, v10 dst_sel:DWORD dst_unused:UNUSED_PAD src0_sel:BYTE_3 src1_sel:DWORD
	v_mov_b32_e32 v24, v11
	v_mov_b32_e32 v23, v10
	v_cmpx_gt_u32_e32 8, v16
; %bb.1029:                             ;   in Loop: Header=BB376_934 Depth=1
	v_ffbh_u32_e32 v13, v10
	v_min_u32_e32 v13, 32, v13
	v_subrev_nc_u32_e32 v16, 28, v13
	v_sub_nc_u32_e32 v13, 29, v13
	v_lshlrev_b64 v[22:23], v16, v[10:11]
	v_and_b32_e32 v23, 7, v22
; %bb.1030:                             ;   in Loop: Header=BB376_934 Depth=1
	s_or_b32 exec_lo, exec_lo, s20
	v_mov_b32_e32 v10, 24
	v_lshlrev_b32_e32 v16, 20, v23
	v_lshl_add_u32 v13, v13, 23, 0x3c000000
	v_lshlrev_b32_sdwa v10, v10, v20 dst_sel:DWORD dst_unused:UNUSED_PAD src0_sel:DWORD src1_sel:BYTE_3
	v_and_b32_e32 v10, 0x80000000, v10
	v_or3_b32 v13, v16, v10, v13
.LBB376_1031:                           ;   in Loop: Header=BB376_934 Depth=1
	s_or_b32 exec_lo, exec_lo, s18
.LBB376_1032:                           ;   in Loop: Header=BB376_934 Depth=1
	s_or_b32 exec_lo, exec_lo, s17
.LBB376_1033:                           ;   in Loop: Header=BB376_934 Depth=1
	s_or_b32 exec_lo, exec_lo, s16
	v_mov_b32_e32 v10, v21
	v_cmp_ne_u16_sdwa s4, v21, v11 src0_sel:BYTE_0 src1_sel:DWORD
	v_mov_b32_e32 v22, 0
	v_mov_b32_e32 v16, 0
	s_and_saveexec_b32 s16, s4
	s_cbranch_execz .LBB376_1041
; %bb.1034:                             ;   in Loop: Header=BB376_934 Depth=1
	v_cmp_ne_u16_sdwa s4, v21, v80 src0_sel:BYTE_0 src1_sel:DWORD
	v_bfrev_b32_e32 v16, 1
	s_and_saveexec_b32 s17, s4
	s_cbranch_execz .LBB376_1040
; %bb.1035:                             ;   in Loop: Header=BB376_934 Depth=1
	v_and_b32_e32 v23, 0x7f, v21
	v_mov_b32_e32 v16, 0x7f800001
	s_mov_b32 s18, exec_lo
	v_cmpx_ne_u32_e32 0x7f, v23
	s_cbranch_execz .LBB376_1039
; %bb.1036:                             ;   in Loop: Header=BB376_934 Depth=1
	v_lshrrev_b32_e32 v16, 3, v23
	v_cmp_gt_u32_e64 s4, 8, v23
	v_mov_b32_e32 v24, v11
	v_mov_b32_e32 v23, v10
	s_and_saveexec_b32 s20, s4
; %bb.1037:                             ;   in Loop: Header=BB376_934 Depth=1
	v_and_b32_e32 v16, 7, v21
	v_ffbh_u32_e32 v16, v16
	v_min_u32_e32 v16, 32, v16
	v_subrev_nc_u32_e32 v23, 28, v16
	v_sub_nc_u32_e32 v16, 29, v16
	v_lshlrev_b64 v[23:24], v23, v[10:11]
; %bb.1038:                             ;   in Loop: Header=BB376_934 Depth=1
	s_or_b32 exec_lo, exec_lo, s20
	v_lshlrev_b32_e32 v23, 20, v23
	v_lshlrev_b32_e32 v24, 24, v10
	v_lshl_add_u32 v16, v16, 23, 0x3c000000
	v_and_b32_e32 v23, 0x700000, v23
	v_and_b32_e32 v24, 0x80000000, v24
	v_or3_b32 v16, v23, v24, v16
.LBB376_1039:                           ;   in Loop: Header=BB376_934 Depth=1
	s_or_b32 exec_lo, exec_lo, s18
.LBB376_1040:                           ;   in Loop: Header=BB376_934 Depth=1
	s_or_b32 exec_lo, exec_lo, s17
.LBB376_1041:                           ;   in Loop: Header=BB376_934 Depth=1
	s_or_b32 exec_lo, exec_lo, s16
	v_cmp_ne_u16_sdwa s4, v10, v11 src0_sel:BYTE_1 src1_sel:DWORD
	s_and_saveexec_b32 s16, s4
	s_cbranch_execz .LBB376_1049
; %bb.1042:                             ;   in Loop: Header=BB376_934 Depth=1
	v_cmp_ne_u16_sdwa s4, v10, v80 src0_sel:BYTE_1 src1_sel:DWORD
	v_bfrev_b32_e32 v22, 1
	s_and_saveexec_b32 s17, s4
	s_cbranch_execz .LBB376_1048
; %bb.1043:                             ;   in Loop: Header=BB376_934 Depth=1
	v_mov_b32_e32 v22, 0xffff
	s_mov_b32 s18, exec_lo
	v_and_b32_sdwa v23, v22, v10 dst_sel:DWORD dst_unused:UNUSED_PAD src0_sel:DWORD src1_sel:BYTE_1
	v_mov_b32_e32 v22, 0x7f800001
	v_and_b32_e32 v25, 0x7f, v23
	v_cmpx_ne_u32_e32 0x7f, v25
	s_cbranch_execz .LBB376_1047
; %bb.1044:                             ;   in Loop: Header=BB376_934 Depth=1
	v_and_b32_e32 v23, 7, v23
	v_mov_b32_e32 v24, v11
	v_lshrrev_b32_e32 v22, 3, v25
	s_mov_b32 s20, exec_lo
	v_cmpx_gt_u32_e32 8, v25
; %bb.1045:                             ;   in Loop: Header=BB376_934 Depth=1
	v_ffbh_u32_e32 v22, v23
	v_min_u32_e32 v22, 32, v22
	v_subrev_nc_u32_e32 v25, 28, v22
	v_sub_nc_u32_e32 v22, 29, v22
	v_lshlrev_b64 v[23:24], v25, v[23:24]
	v_and_b32_e32 v23, 7, v23
; %bb.1046:                             ;   in Loop: Header=BB376_934 Depth=1
	s_or_b32 exec_lo, exec_lo, s20
	v_lshlrev_b32_e32 v10, 16, v10
	v_lshlrev_b32_e32 v23, 20, v23
	v_lshl_add_u32 v22, v22, 23, 0x3c000000
	v_and_b32_e32 v10, 0x80000000, v10
	v_or3_b32 v22, v23, v10, v22
.LBB376_1047:                           ;   in Loop: Header=BB376_934 Depth=1
	s_or_b32 exec_lo, exec_lo, s18
.LBB376_1048:                           ;   in Loop: Header=BB376_934 Depth=1
	s_or_b32 exec_lo, exec_lo, s17
.LBB376_1049:                           ;   in Loop: Header=BB376_934 Depth=1
	s_or_b32 exec_lo, exec_lo, s16
	v_and_b32_sdwa v10, v21, v82 dst_sel:DWORD dst_unused:UNUSED_PAD src0_sel:WORD_1 src1_sel:DWORD
	v_mov_b32_e32 v25, 0
	v_mov_b32_e32 v26, 0
	s_mov_b32 s16, exec_lo
	v_cmpx_ne_u16_e32 0, v10
	s_cbranch_execz .LBB376_1057
; %bb.1050:                             ;   in Loop: Header=BB376_934 Depth=1
	v_bfrev_b32_e32 v26, 1
	s_mov_b32 s17, exec_lo
	v_cmpx_ne_u16_e32 0x80, v10
	s_cbranch_execz .LBB376_1056
; %bb.1051:                             ;   in Loop: Header=BB376_934 Depth=1
	v_bfe_u32 v23, v21, 16, 7
	v_mov_b32_e32 v26, 0x7f800001
	s_mov_b32 s18, exec_lo
	v_cmpx_ne_u32_e32 0x7f, v23
	s_cbranch_execz .LBB376_1055
; %bb.1052:                             ;   in Loop: Header=BB376_934 Depth=1
	v_mov_b32_e32 v10, 7
	v_lshrrev_b32_e32 v26, 3, v23
	v_cmp_gt_u32_e64 s4, 8, v23
	v_and_b32_sdwa v10, v21, v10 dst_sel:DWORD dst_unused:UNUSED_PAD src0_sel:WORD_1 src1_sel:DWORD
	v_mov_b32_e32 v24, v11
	v_mov_b32_e32 v23, v10
	s_and_saveexec_b32 s20, s4
; %bb.1053:                             ;   in Loop: Header=BB376_934 Depth=1
	v_ffbh_u32_e32 v23, v10
	v_min_u32_e32 v26, 32, v23
	v_subrev_nc_u32_e32 v23, 28, v26
	v_sub_nc_u32_e32 v26, 29, v26
	v_lshlrev_b64 v[23:24], v23, v[10:11]
	v_and_b32_e32 v23, 7, v23
; %bb.1054:                             ;   in Loop: Header=BB376_934 Depth=1
	s_or_b32 exec_lo, exec_lo, s20
	v_mov_b32_e32 v10, 24
	v_lshlrev_b32_e32 v23, 20, v23
	v_lshl_add_u32 v24, v26, 23, 0x3c000000
	v_lshlrev_b32_sdwa v10, v10, v21 dst_sel:DWORD dst_unused:UNUSED_PAD src0_sel:DWORD src1_sel:WORD_1
	v_and_b32_e32 v10, 0x80000000, v10
	v_or3_b32 v26, v23, v10, v24
.LBB376_1055:                           ;   in Loop: Header=BB376_934 Depth=1
	s_or_b32 exec_lo, exec_lo, s18
.LBB376_1056:                           ;   in Loop: Header=BB376_934 Depth=1
	s_or_b32 exec_lo, exec_lo, s17
.LBB376_1057:                           ;   in Loop: Header=BB376_934 Depth=1
	s_or_b32 exec_lo, exec_lo, s16
	s_mov_b32 s16, exec_lo
	v_cmpx_lt_u64_e64 s[12:13], v[20:21]
	s_cbranch_execz .LBB376_1065
; %bb.1058:                             ;   in Loop: Header=BB376_934 Depth=1
	v_cmp_ne_u32_sdwa s4, v21, v80 src0_sel:BYTE_3 src1_sel:DWORD
	v_bfrev_b32_e32 v25, 1
	s_and_saveexec_b32 s17, s4
	s_cbranch_execz .LBB376_1064
; %bb.1059:                             ;   in Loop: Header=BB376_934 Depth=1
	v_bfe_u32 v23, v21, 24, 7
	v_mov_b32_e32 v25, 0x7f800001
	s_mov_b32 s18, exec_lo
	v_cmpx_ne_u32_e32 0x7f, v23
	s_cbranch_execz .LBB376_1063
; %bb.1060:                             ;   in Loop: Header=BB376_934 Depth=1
	v_mov_b32_e32 v10, 7
	v_lshrrev_b32_e32 v20, 3, v23
	v_cmp_gt_u32_e64 s4, 8, v23
	v_and_b32_sdwa v10, v21, v10 dst_sel:DWORD dst_unused:UNUSED_PAD src0_sel:BYTE_3 src1_sel:DWORD
	v_mov_b32_e32 v24, v11
	v_mov_b32_e32 v23, v10
	s_and_saveexec_b32 s20, s4
; %bb.1061:                             ;   in Loop: Header=BB376_934 Depth=1
	v_ffbh_u32_e32 v20, v10
	v_min_u32_e32 v20, 32, v20
	v_subrev_nc_u32_e32 v23, 28, v20
	v_sub_nc_u32_e32 v20, 29, v20
	v_lshlrev_b64 v[23:24], v23, v[10:11]
	v_and_b32_e32 v23, 7, v23
; %bb.1062:                             ;   in Loop: Header=BB376_934 Depth=1
	s_or_b32 exec_lo, exec_lo, s20
	v_mov_b32_e32 v10, 24
	v_lshl_add_u32 v20, v20, 23, 0x3c000000
	v_lshlrev_b32_sdwa v10, v10, v21 dst_sel:DWORD dst_unused:UNUSED_PAD src0_sel:DWORD src1_sel:BYTE_3
	v_lshlrev_b32_e32 v21, 20, v23
	v_and_b32_e32 v10, 0x80000000, v10
	v_or3_b32 v25, v21, v10, v20
.LBB376_1063:                           ;   in Loop: Header=BB376_934 Depth=1
	s_or_b32 exec_lo, exec_lo, s18
.LBB376_1064:                           ;   in Loop: Header=BB376_934 Depth=1
	s_or_b32 exec_lo, exec_lo, s17
.LBB376_1065:                           ;   in Loop: Header=BB376_934 Depth=1
	s_or_b32 exec_lo, exec_lo, s16
	v_mul_f32_e32 v10, v56, v22
	v_mul_f32_e32 v16, v56, v16
	;; [unrolled: 1-line block ×5, first 2 shown]
	v_bfe_u32 v20, v10, 16, 1
	v_or_b32_e32 v21, 0x400000, v10
	v_bfe_u32 v22, v16, 16, 1
	v_cmp_u_f32_e64 s4, v10, v10
	v_or_b32_e32 v23, 0x400000, v16
	v_add3_u32 v20, v20, v10, 0x7fff
	v_bfe_u32 v24, v13, 16, 1
	v_add3_u32 v22, v22, v16, 0x7fff
	v_or_b32_e32 v27, 0x400000, v13
	v_bfe_u32 v28, v12, 16, 1
	v_cndmask_b32_e64 v10, v20, v21, s4
	v_cmp_u_f32_e64 s4, v16, v16
	v_add3_u32 v24, v24, v13, 0x7fff
	v_or_b32_e32 v20, 0x400000, v12
	v_mul_f32_e32 v4, v56, v4
	v_lshrrev_b32_e32 v10, 16, v10
	v_cndmask_b32_e64 v16, v22, v23, s4
	v_cmp_u_f32_e64 s4, v13, v13
	v_bfe_u32 v21, v4, 16, 1
	buffer_store_dword v10, off, s[0:3], s32 offset:272 ; 4-byte Folded Spill
	v_add3_u32 v10, v28, v12, 0x7fff
	v_cndmask_b32_e64 v13, v24, v27, s4
	v_lshrrev_b32_e32 v16, 16, v16
	v_cmp_u_f32_e64 s4, v12, v12
	v_mul_f32_e32 v12, v56, v26
	v_lshrrev_b32_e32 v13, 16, v13
	buffer_store_dword v16, off, s[0:3], s32 offset:264 ; 4-byte Folded Spill
	v_cndmask_b32_e64 v10, v10, v20, s4
	v_or_b32_e32 v16, 0x400000, v5
	v_cmp_u_f32_e64 s4, v5, v5
	buffer_store_dword v13, off, s[0:3], s32 offset:276 ; 4-byte Folded Spill
	v_bfe_u32 v13, v5, 16, 1
	v_mul_f32_e32 v20, v56, v25
	v_bfe_u32 v22, v12, 16, 1
	v_or_b32_e32 v23, 0x400000, v12
	v_lshrrev_b32_e32 v10, 16, v10
	v_add3_u32 v13, v13, v5, 0x7fff
	v_or_b32_e32 v24, 0x400000, v20
	v_add3_u32 v22, v22, v12, 0x7fff
	buffer_store_dword v10, off, s[0:3], s32 offset:280 ; 4-byte Folded Spill
	v_cndmask_b32_e64 v5, v13, v16, s4
	v_add3_u32 v16, v21, v4, 0x7fff
	v_or_b32_e32 v21, 0x400000, v4
	v_cmp_u_f32_e64 s4, v4, v4
	v_bfe_u32 v13, v20, 16, 1
	v_lshrrev_b32_e32 v5, 16, v5
	v_cndmask_b32_e64 v4, v16, v21, s4
	v_cmp_u_f32_e64 s4, v12, v12
	v_add3_u32 v13, v13, v20, 0x7fff
	buffer_store_dword v5, off, s[0:3], s32 offset:288 ; 4-byte Folded Spill
	v_lshrrev_b32_e32 v4, 16, v4
	v_cndmask_b32_e64 v12, v22, v23, s4
	v_cmp_u_f32_e64 s4, v20, v20
	buffer_store_dword v4, off, s[0:3], s32 offset:284 ; 4-byte Folded Spill
	v_lshrrev_b32_e32 v4, 16, v12
	v_cndmask_b32_e64 v13, v13, v24, s4
	buffer_store_dword v4, off, s[0:3], s32 offset:260 ; 4-byte Folded Spill
	v_lshrrev_b32_e32 v4, 16, v13
	buffer_store_dword v4, off, s[0:3], s32 offset:268 ; 4-byte Folded Spill
	s_and_saveexec_b32 s16, vcc_lo
	s_cbranch_execz .LBB376_1067
; %bb.1066:                             ;   in Loop: Header=BB376_934 Depth=1
	buffer_load_dword v4, off, s[0:3], s32 offset:284 ; 4-byte Folded Reload
	v_cmp_lt_i32_e64 s4, v61, v38
	s_waitcnt vmcnt(0)
	v_cndmask_b32_e64 v4, 0, v4, s4
	v_cmp_lt_i32_e64 s4, v78, v38
	buffer_store_dword v4, off, s[0:3], s32 offset:284 ; 4-byte Folded Spill
	buffer_load_dword v4, off, s[0:3], s32 offset:288 ; 4-byte Folded Reload
	s_waitcnt vmcnt(0)
	v_cndmask_b32_e64 v4, 0, v4, s4
	v_cmp_lt_i32_e64 s4, v77, v38
	buffer_store_dword v4, off, s[0:3], s32 offset:288 ; 4-byte Folded Spill
	buffer_load_dword v4, off, s[0:3], s32 offset:280 ; 4-byte Folded Reload
	;; [unrolled: 5-line block ×7, first 2 shown]
	s_waitcnt vmcnt(0)
	v_cndmask_b32_e64 v4, 0, v4, s4
	buffer_store_dword v4, off, s[0:3], s32 offset:268 ; 4-byte Folded Spill
.LBB376_1067:                           ;   in Loop: Header=BB376_934 Depth=1
	s_or_b32 exec_lo, exec_lo, s16
	flat_load_dwordx2 v[20:21], v[18:19] offset:512
	v_mov_b32_e32 v5, 0
	v_mov_b32_e32 v4, 0
	s_waitcnt vmcnt(0) lgkmcnt(0)
	v_cmp_ne_u16_sdwa s4, v20, v11 src0_sel:BYTE_0 src1_sel:DWORD
	s_and_saveexec_b32 s16, s4
	s_cbranch_execz .LBB376_1075
; %bb.1068:                             ;   in Loop: Header=BB376_934 Depth=1
	v_cmp_ne_u16_sdwa s4, v20, v80 src0_sel:BYTE_0 src1_sel:DWORD
	v_bfrev_b32_e32 v4, 1
	s_and_saveexec_b32 s17, s4
	s_cbranch_execz .LBB376_1074
; %bb.1069:                             ;   in Loop: Header=BB376_934 Depth=1
	v_and_b32_e32 v10, 0x7f, v20
	v_mov_b32_e32 v4, 0x7f800001
	s_mov_b32 s18, exec_lo
	v_cmpx_ne_u32_e32 0x7f, v10
	s_cbranch_execz .LBB376_1073
; %bb.1070:                             ;   in Loop: Header=BB376_934 Depth=1
	v_mov_b32_e32 v24, v21
	v_lshrrev_b32_e32 v4, 3, v10
	v_mov_b32_e32 v23, v20
	s_mov_b32 s20, exec_lo
	v_cmpx_gt_u32_e32 8, v10
; %bb.1071:                             ;   in Loop: Header=BB376_934 Depth=1
	v_and_b32_e32 v4, 7, v20
	v_ffbh_u32_e32 v4, v4
	v_min_u32_e32 v4, 32, v4
	v_subrev_nc_u32_e32 v10, 28, v4
	v_sub_nc_u32_e32 v4, 29, v4
	v_lshlrev_b64 v[23:24], v10, v[20:21]
; %bb.1072:                             ;   in Loop: Header=BB376_934 Depth=1
	s_or_b32 exec_lo, exec_lo, s20
	v_lshlrev_b32_e32 v10, 20, v23
	v_lshlrev_b32_e32 v12, 24, v20
	v_lshl_add_u32 v4, v4, 23, 0x3c000000
	v_and_b32_e32 v10, 0x700000, v10
	v_and_b32_e32 v12, 0x80000000, v12
	v_or3_b32 v4, v10, v12, v4
.LBB376_1073:                           ;   in Loop: Header=BB376_934 Depth=1
	s_or_b32 exec_lo, exec_lo, s18
.LBB376_1074:                           ;   in Loop: Header=BB376_934 Depth=1
	s_or_b32 exec_lo, exec_lo, s17
.LBB376_1075:                           ;   in Loop: Header=BB376_934 Depth=1
	s_or_b32 exec_lo, exec_lo, s16
	v_cmp_ne_u16_sdwa s4, v20, v11 src0_sel:BYTE_1 src1_sel:DWORD
	s_and_saveexec_b32 s16, s4
	s_cbranch_execz .LBB376_1083
; %bb.1076:                             ;   in Loop: Header=BB376_934 Depth=1
	v_cmp_ne_u16_sdwa s4, v20, v80 src0_sel:BYTE_1 src1_sel:DWORD
	v_bfrev_b32_e32 v5, 1
	s_and_saveexec_b32 s17, s4
	s_cbranch_execz .LBB376_1082
; %bb.1077:                             ;   in Loop: Header=BB376_934 Depth=1
	v_mov_b32_e32 v5, 0xffff
	s_mov_b32 s18, exec_lo
	v_and_b32_sdwa v10, v5, v20 dst_sel:DWORD dst_unused:UNUSED_PAD src0_sel:DWORD src1_sel:BYTE_1
	v_mov_b32_e32 v5, 0x7f800001
	v_and_b32_e32 v12, 0x7f, v10
	v_cmpx_ne_u32_e32 0x7f, v12
	s_cbranch_execz .LBB376_1081
; %bb.1078:                             ;   in Loop: Header=BB376_934 Depth=1
	v_and_b32_e32 v10, 7, v10
	v_mov_b32_e32 v24, v11
	v_lshrrev_b32_e32 v5, 3, v12
	s_mov_b32 s20, exec_lo
	v_mov_b32_e32 v23, v10
	v_cmpx_gt_u32_e32 8, v12
; %bb.1079:                             ;   in Loop: Header=BB376_934 Depth=1
	v_ffbh_u32_e32 v5, v10
	v_min_u32_e32 v5, 32, v5
	v_subrev_nc_u32_e32 v12, 28, v5
	v_sub_nc_u32_e32 v5, 29, v5
	v_lshlrev_b64 v[12:13], v12, v[10:11]
	v_and_b32_e32 v23, 7, v12
; %bb.1080:                             ;   in Loop: Header=BB376_934 Depth=1
	s_or_b32 exec_lo, exec_lo, s20
	v_lshlrev_b32_e32 v10, 16, v20
	v_lshlrev_b32_e32 v12, 20, v23
	v_lshl_add_u32 v5, v5, 23, 0x3c000000
	v_and_b32_e32 v10, 0x80000000, v10
	v_or3_b32 v5, v12, v10, v5
.LBB376_1081:                           ;   in Loop: Header=BB376_934 Depth=1
	s_or_b32 exec_lo, exec_lo, s18
.LBB376_1082:                           ;   in Loop: Header=BB376_934 Depth=1
	s_or_b32 exec_lo, exec_lo, s17
.LBB376_1083:                           ;   in Loop: Header=BB376_934 Depth=1
	s_or_b32 exec_lo, exec_lo, s16
	v_and_b32_sdwa v10, v20, v82 dst_sel:DWORD dst_unused:UNUSED_PAD src0_sel:WORD_1 src1_sel:DWORD
	v_mov_b32_e32 v13, 0
	v_mov_b32_e32 v12, 0
	s_mov_b32 s16, exec_lo
	v_cmpx_ne_u16_e32 0, v10
	s_cbranch_execz .LBB376_1091
; %bb.1084:                             ;   in Loop: Header=BB376_934 Depth=1
	v_bfrev_b32_e32 v12, 1
	s_mov_b32 s17, exec_lo
	v_cmpx_ne_u16_e32 0x80, v10
	s_cbranch_execz .LBB376_1090
; %bb.1085:                             ;   in Loop: Header=BB376_934 Depth=1
	v_bfe_u32 v16, v20, 16, 7
	v_mov_b32_e32 v12, 0x7f800001
	s_mov_b32 s18, exec_lo
	v_cmpx_ne_u32_e32 0x7f, v16
	s_cbranch_execz .LBB376_1089
; %bb.1086:                             ;   in Loop: Header=BB376_934 Depth=1
	v_mov_b32_e32 v10, 7
	v_lshrrev_b32_e32 v12, 3, v16
	s_mov_b32 s20, exec_lo
	v_and_b32_sdwa v10, v20, v10 dst_sel:DWORD dst_unused:UNUSED_PAD src0_sel:WORD_1 src1_sel:DWORD
	v_mov_b32_e32 v24, v11
	v_mov_b32_e32 v23, v10
	v_cmpx_gt_u32_e32 8, v16
; %bb.1087:                             ;   in Loop: Header=BB376_934 Depth=1
	v_ffbh_u32_e32 v12, v10
	v_min_u32_e32 v12, 32, v12
	v_subrev_nc_u32_e32 v16, 28, v12
	v_sub_nc_u32_e32 v12, 29, v12
	v_lshlrev_b64 v[22:23], v16, v[10:11]
	v_and_b32_e32 v23, 7, v22
; %bb.1088:                             ;   in Loop: Header=BB376_934 Depth=1
	s_or_b32 exec_lo, exec_lo, s20
	v_mov_b32_e32 v10, 24
	v_lshlrev_b32_e32 v16, 20, v23
	v_lshl_add_u32 v12, v12, 23, 0x3c000000
	v_lshlrev_b32_sdwa v10, v10, v20 dst_sel:DWORD dst_unused:UNUSED_PAD src0_sel:DWORD src1_sel:WORD_1
	v_and_b32_e32 v10, 0x80000000, v10
	v_or3_b32 v12, v16, v10, v12
.LBB376_1089:                           ;   in Loop: Header=BB376_934 Depth=1
	s_or_b32 exec_lo, exec_lo, s18
.LBB376_1090:                           ;   in Loop: Header=BB376_934 Depth=1
	s_or_b32 exec_lo, exec_lo, s17
.LBB376_1091:                           ;   in Loop: Header=BB376_934 Depth=1
	s_or_b32 exec_lo, exec_lo, s16
	s_mov_b32 s16, exec_lo
	v_cmpx_lt_u32_e32 0xffffff, v20
	s_cbranch_execz .LBB376_1099
; %bb.1092:                             ;   in Loop: Header=BB376_934 Depth=1
	v_cmp_ne_u32_sdwa s4, v20, v80 src0_sel:BYTE_3 src1_sel:DWORD
	v_bfrev_b32_e32 v13, 1
	s_and_saveexec_b32 s17, s4
	s_cbranch_execz .LBB376_1098
; %bb.1093:                             ;   in Loop: Header=BB376_934 Depth=1
	v_bfe_u32 v16, v20, 24, 7
	v_mov_b32_e32 v13, 0x7f800001
	s_mov_b32 s18, exec_lo
	v_cmpx_ne_u32_e32 0x7f, v16
	s_cbranch_execz .LBB376_1097
; %bb.1094:                             ;   in Loop: Header=BB376_934 Depth=1
	v_mov_b32_e32 v10, 7
	v_lshrrev_b32_e32 v13, 3, v16
	s_mov_b32 s20, exec_lo
	v_and_b32_sdwa v10, v20, v10 dst_sel:DWORD dst_unused:UNUSED_PAD src0_sel:BYTE_3 src1_sel:DWORD
	v_mov_b32_e32 v24, v11
	v_mov_b32_e32 v23, v10
	v_cmpx_gt_u32_e32 8, v16
; %bb.1095:                             ;   in Loop: Header=BB376_934 Depth=1
	v_ffbh_u32_e32 v13, v10
	v_min_u32_e32 v13, 32, v13
	v_subrev_nc_u32_e32 v16, 28, v13
	v_sub_nc_u32_e32 v13, 29, v13
	v_lshlrev_b64 v[22:23], v16, v[10:11]
	v_and_b32_e32 v23, 7, v22
; %bb.1096:                             ;   in Loop: Header=BB376_934 Depth=1
	s_or_b32 exec_lo, exec_lo, s20
	v_mov_b32_e32 v10, 24
	v_lshlrev_b32_e32 v16, 20, v23
	v_lshl_add_u32 v13, v13, 23, 0x3c000000
	v_lshlrev_b32_sdwa v10, v10, v20 dst_sel:DWORD dst_unused:UNUSED_PAD src0_sel:DWORD src1_sel:BYTE_3
	v_and_b32_e32 v10, 0x80000000, v10
	v_or3_b32 v13, v16, v10, v13
.LBB376_1097:                           ;   in Loop: Header=BB376_934 Depth=1
	s_or_b32 exec_lo, exec_lo, s18
.LBB376_1098:                           ;   in Loop: Header=BB376_934 Depth=1
	s_or_b32 exec_lo, exec_lo, s17
.LBB376_1099:                           ;   in Loop: Header=BB376_934 Depth=1
	s_or_b32 exec_lo, exec_lo, s16
	v_mov_b32_e32 v10, v21
	v_cmp_ne_u16_sdwa s4, v21, v11 src0_sel:BYTE_0 src1_sel:DWORD
	v_mov_b32_e32 v22, 0
	v_mov_b32_e32 v16, 0
	s_and_saveexec_b32 s16, s4
	s_cbranch_execz .LBB376_1107
; %bb.1100:                             ;   in Loop: Header=BB376_934 Depth=1
	v_cmp_ne_u16_sdwa s4, v21, v80 src0_sel:BYTE_0 src1_sel:DWORD
	v_bfrev_b32_e32 v16, 1
	s_and_saveexec_b32 s17, s4
	s_cbranch_execz .LBB376_1106
; %bb.1101:                             ;   in Loop: Header=BB376_934 Depth=1
	v_and_b32_e32 v23, 0x7f, v21
	v_mov_b32_e32 v16, 0x7f800001
	s_mov_b32 s18, exec_lo
	v_cmpx_ne_u32_e32 0x7f, v23
	s_cbranch_execz .LBB376_1105
; %bb.1102:                             ;   in Loop: Header=BB376_934 Depth=1
	v_lshrrev_b32_e32 v16, 3, v23
	v_cmp_gt_u32_e64 s4, 8, v23
	v_mov_b32_e32 v24, v11
	v_mov_b32_e32 v23, v10
	s_and_saveexec_b32 s20, s4
; %bb.1103:                             ;   in Loop: Header=BB376_934 Depth=1
	v_and_b32_e32 v16, 7, v21
	v_ffbh_u32_e32 v16, v16
	v_min_u32_e32 v16, 32, v16
	v_subrev_nc_u32_e32 v23, 28, v16
	v_sub_nc_u32_e32 v16, 29, v16
	v_lshlrev_b64 v[23:24], v23, v[10:11]
; %bb.1104:                             ;   in Loop: Header=BB376_934 Depth=1
	s_or_b32 exec_lo, exec_lo, s20
	v_lshlrev_b32_e32 v23, 20, v23
	v_lshlrev_b32_e32 v24, 24, v10
	v_lshl_add_u32 v16, v16, 23, 0x3c000000
	v_and_b32_e32 v23, 0x700000, v23
	v_and_b32_e32 v24, 0x80000000, v24
	v_or3_b32 v16, v23, v24, v16
.LBB376_1105:                           ;   in Loop: Header=BB376_934 Depth=1
	s_or_b32 exec_lo, exec_lo, s18
.LBB376_1106:                           ;   in Loop: Header=BB376_934 Depth=1
	s_or_b32 exec_lo, exec_lo, s17
.LBB376_1107:                           ;   in Loop: Header=BB376_934 Depth=1
	s_or_b32 exec_lo, exec_lo, s16
	v_cmp_ne_u16_sdwa s4, v10, v11 src0_sel:BYTE_1 src1_sel:DWORD
	s_and_saveexec_b32 s16, s4
	s_cbranch_execz .LBB376_1115
; %bb.1108:                             ;   in Loop: Header=BB376_934 Depth=1
	v_cmp_ne_u16_sdwa s4, v10, v80 src0_sel:BYTE_1 src1_sel:DWORD
	v_bfrev_b32_e32 v22, 1
	s_and_saveexec_b32 s17, s4
	s_cbranch_execz .LBB376_1114
; %bb.1109:                             ;   in Loop: Header=BB376_934 Depth=1
	v_mov_b32_e32 v22, 0xffff
	s_mov_b32 s18, exec_lo
	v_and_b32_sdwa v23, v22, v10 dst_sel:DWORD dst_unused:UNUSED_PAD src0_sel:DWORD src1_sel:BYTE_1
	v_mov_b32_e32 v22, 0x7f800001
	v_and_b32_e32 v25, 0x7f, v23
	v_cmpx_ne_u32_e32 0x7f, v25
	s_cbranch_execz .LBB376_1113
; %bb.1110:                             ;   in Loop: Header=BB376_934 Depth=1
	v_and_b32_e32 v23, 7, v23
	v_mov_b32_e32 v24, v11
	v_lshrrev_b32_e32 v22, 3, v25
	s_mov_b32 s20, exec_lo
	v_cmpx_gt_u32_e32 8, v25
; %bb.1111:                             ;   in Loop: Header=BB376_934 Depth=1
	v_ffbh_u32_e32 v22, v23
	v_min_u32_e32 v22, 32, v22
	v_subrev_nc_u32_e32 v25, 28, v22
	v_sub_nc_u32_e32 v22, 29, v22
	v_lshlrev_b64 v[23:24], v25, v[23:24]
	v_and_b32_e32 v23, 7, v23
; %bb.1112:                             ;   in Loop: Header=BB376_934 Depth=1
	s_or_b32 exec_lo, exec_lo, s20
	v_lshlrev_b32_e32 v10, 16, v10
	v_lshlrev_b32_e32 v23, 20, v23
	v_lshl_add_u32 v22, v22, 23, 0x3c000000
	v_and_b32_e32 v10, 0x80000000, v10
	v_or3_b32 v22, v23, v10, v22
.LBB376_1113:                           ;   in Loop: Header=BB376_934 Depth=1
	s_or_b32 exec_lo, exec_lo, s18
.LBB376_1114:                           ;   in Loop: Header=BB376_934 Depth=1
	s_or_b32 exec_lo, exec_lo, s17
.LBB376_1115:                           ;   in Loop: Header=BB376_934 Depth=1
	s_or_b32 exec_lo, exec_lo, s16
	v_and_b32_sdwa v10, v21, v82 dst_sel:DWORD dst_unused:UNUSED_PAD src0_sel:WORD_1 src1_sel:DWORD
	v_mov_b32_e32 v25, 0
	v_mov_b32_e32 v26, 0
	s_mov_b32 s16, exec_lo
	v_cmpx_ne_u16_e32 0, v10
	s_cbranch_execz .LBB376_1123
; %bb.1116:                             ;   in Loop: Header=BB376_934 Depth=1
	v_bfrev_b32_e32 v26, 1
	s_mov_b32 s17, exec_lo
	v_cmpx_ne_u16_e32 0x80, v10
	s_cbranch_execz .LBB376_1122
; %bb.1117:                             ;   in Loop: Header=BB376_934 Depth=1
	v_bfe_u32 v23, v21, 16, 7
	v_mov_b32_e32 v26, 0x7f800001
	s_mov_b32 s18, exec_lo
	v_cmpx_ne_u32_e32 0x7f, v23
	s_cbranch_execz .LBB376_1121
; %bb.1118:                             ;   in Loop: Header=BB376_934 Depth=1
	v_mov_b32_e32 v10, 7
	v_lshrrev_b32_e32 v26, 3, v23
	v_cmp_gt_u32_e64 s4, 8, v23
	v_and_b32_sdwa v10, v21, v10 dst_sel:DWORD dst_unused:UNUSED_PAD src0_sel:WORD_1 src1_sel:DWORD
	v_mov_b32_e32 v24, v11
	v_mov_b32_e32 v23, v10
	s_and_saveexec_b32 s20, s4
; %bb.1119:                             ;   in Loop: Header=BB376_934 Depth=1
	v_ffbh_u32_e32 v23, v10
	v_min_u32_e32 v26, 32, v23
	v_subrev_nc_u32_e32 v23, 28, v26
	v_sub_nc_u32_e32 v26, 29, v26
	v_lshlrev_b64 v[23:24], v23, v[10:11]
	v_and_b32_e32 v23, 7, v23
; %bb.1120:                             ;   in Loop: Header=BB376_934 Depth=1
	s_or_b32 exec_lo, exec_lo, s20
	v_mov_b32_e32 v10, 24
	v_lshlrev_b32_e32 v23, 20, v23
	v_lshl_add_u32 v24, v26, 23, 0x3c000000
	v_lshlrev_b32_sdwa v10, v10, v21 dst_sel:DWORD dst_unused:UNUSED_PAD src0_sel:DWORD src1_sel:WORD_1
	v_and_b32_e32 v10, 0x80000000, v10
	v_or3_b32 v26, v23, v10, v24
.LBB376_1121:                           ;   in Loop: Header=BB376_934 Depth=1
	s_or_b32 exec_lo, exec_lo, s18
.LBB376_1122:                           ;   in Loop: Header=BB376_934 Depth=1
	s_or_b32 exec_lo, exec_lo, s17
.LBB376_1123:                           ;   in Loop: Header=BB376_934 Depth=1
	s_or_b32 exec_lo, exec_lo, s16
	s_mov_b32 s16, exec_lo
	v_cmpx_lt_u64_e64 s[12:13], v[20:21]
	s_cbranch_execz .LBB376_1131
; %bb.1124:                             ;   in Loop: Header=BB376_934 Depth=1
	v_cmp_ne_u32_sdwa s4, v21, v80 src0_sel:BYTE_3 src1_sel:DWORD
	v_bfrev_b32_e32 v25, 1
	s_and_saveexec_b32 s17, s4
	s_cbranch_execz .LBB376_1130
; %bb.1125:                             ;   in Loop: Header=BB376_934 Depth=1
	v_bfe_u32 v23, v21, 24, 7
	v_mov_b32_e32 v25, 0x7f800001
	s_mov_b32 s18, exec_lo
	v_cmpx_ne_u32_e32 0x7f, v23
	s_cbranch_execz .LBB376_1129
; %bb.1126:                             ;   in Loop: Header=BB376_934 Depth=1
	v_mov_b32_e32 v10, 7
	v_lshrrev_b32_e32 v20, 3, v23
	v_cmp_gt_u32_e64 s4, 8, v23
	v_and_b32_sdwa v10, v21, v10 dst_sel:DWORD dst_unused:UNUSED_PAD src0_sel:BYTE_3 src1_sel:DWORD
	v_mov_b32_e32 v24, v11
	v_mov_b32_e32 v23, v10
	s_and_saveexec_b32 s20, s4
; %bb.1127:                             ;   in Loop: Header=BB376_934 Depth=1
	v_ffbh_u32_e32 v20, v10
	v_min_u32_e32 v20, 32, v20
	v_subrev_nc_u32_e32 v23, 28, v20
	v_sub_nc_u32_e32 v20, 29, v20
	v_lshlrev_b64 v[23:24], v23, v[10:11]
	v_and_b32_e32 v23, 7, v23
; %bb.1128:                             ;   in Loop: Header=BB376_934 Depth=1
	s_or_b32 exec_lo, exec_lo, s20
	v_mov_b32_e32 v10, 24
	v_lshl_add_u32 v20, v20, 23, 0x3c000000
	v_lshlrev_b32_sdwa v10, v10, v21 dst_sel:DWORD dst_unused:UNUSED_PAD src0_sel:DWORD src1_sel:BYTE_3
	v_lshlrev_b32_e32 v21, 20, v23
	v_and_b32_e32 v10, 0x80000000, v10
	v_or3_b32 v25, v21, v10, v20
.LBB376_1129:                           ;   in Loop: Header=BB376_934 Depth=1
	s_or_b32 exec_lo, exec_lo, s18
.LBB376_1130:                           ;   in Loop: Header=BB376_934 Depth=1
	s_or_b32 exec_lo, exec_lo, s17
.LBB376_1131:                           ;   in Loop: Header=BB376_934 Depth=1
	s_or_b32 exec_lo, exec_lo, s16
	v_mul_f32_e32 v10, v56, v22
	v_mul_f32_e32 v16, v56, v16
	;; [unrolled: 1-line block ×5, first 2 shown]
	v_bfe_u32 v20, v10, 16, 1
	v_or_b32_e32 v21, 0x400000, v10
	v_bfe_u32 v22, v16, 16, 1
	v_cmp_u_f32_e64 s4, v10, v10
	v_or_b32_e32 v23, 0x400000, v16
	v_add3_u32 v20, v20, v10, 0x7fff
	v_bfe_u32 v24, v13, 16, 1
	v_add3_u32 v22, v22, v16, 0x7fff
	v_or_b32_e32 v27, 0x400000, v13
	v_bfe_u32 v28, v12, 16, 1
	v_cndmask_b32_e64 v10, v20, v21, s4
	v_cmp_u_f32_e64 s4, v16, v16
	v_add3_u32 v24, v24, v13, 0x7fff
	v_or_b32_e32 v20, 0x400000, v12
	v_mul_f32_e32 v4, v56, v4
	v_lshrrev_b32_e32 v43, 16, v10
	v_cndmask_b32_e64 v16, v22, v23, s4
	v_cmp_u_f32_e64 s4, v13, v13
	v_add3_u32 v10, v28, v12, 0x7fff
	v_bfe_u32 v21, v4, 16, 1
	v_lshrrev_b32_e32 v41, 16, v16
	v_cndmask_b32_e64 v13, v24, v27, s4
	v_cmp_u_f32_e64 s4, v12, v12
	v_mul_f32_e32 v12, v56, v26
	v_or_b32_e32 v16, 0x400000, v5
	v_lshrrev_b32_e32 v44, 16, v13
	v_bfe_u32 v13, v5, 16, 1
	v_cndmask_b32_e64 v10, v10, v20, s4
	v_cmp_u_f32_e64 s4, v5, v5
	v_mul_f32_e32 v20, v56, v25
	v_bfe_u32 v22, v12, 16, 1
	v_add3_u32 v13, v13, v5, 0x7fff
	v_or_b32_e32 v23, 0x400000, v12
	v_lshrrev_b32_e32 v45, 16, v10
	v_or_b32_e32 v24, 0x400000, v20
	v_add3_u32 v22, v22, v12, 0x7fff
	v_cndmask_b32_e64 v5, v13, v16, s4
	v_add3_u32 v16, v21, v4, 0x7fff
	v_or_b32_e32 v21, 0x400000, v4
	v_cmp_u_f32_e64 s4, v4, v4
	v_bfe_u32 v13, v20, 16, 1
	v_lshrrev_b32_e32 v47, 16, v5
	v_cndmask_b32_e64 v4, v16, v21, s4
	v_cmp_u_f32_e64 s4, v12, v12
	v_add3_u32 v13, v13, v20, 0x7fff
	v_lshrrev_b32_e32 v46, 16, v4
	v_cndmask_b32_e64 v12, v22, v23, s4
	v_cmp_u_f32_e64 s4, v20, v20
	v_lshrrev_b32_e32 v4, 16, v12
	v_cndmask_b32_e64 v13, v13, v24, s4
	buffer_store_dword v4, off, s[0:3], s32 offset:292 ; 4-byte Folded Spill
	v_lshrrev_b32_e32 v42, 16, v13
	s_and_saveexec_b32 s16, vcc_lo
	s_cbranch_execz .LBB376_1133
; %bb.1132:                             ;   in Loop: Header=BB376_934 Depth=1
	buffer_load_dword v4, off, s[0:3], s32 offset:292 ; 4-byte Folded Reload
	v_cmp_lt_i32_e64 s4, v61, v38
	v_cndmask_b32_e64 v46, 0, v46, s4
	v_cmp_lt_i32_e64 s4, v78, v38
	v_cndmask_b32_e64 v47, 0, v47, s4
	;; [unrolled: 2-line block ×6, first 2 shown]
	v_cmp_lt_i32_e64 s4, v73, v38
	s_waitcnt vmcnt(0)
	v_cndmask_b32_e64 v4, 0, v4, s4
	v_cmp_lt_i32_e64 s4, v72, v38
	buffer_store_dword v4, off, s[0:3], s32 offset:292 ; 4-byte Folded Spill
	v_cndmask_b32_e64 v42, 0, v42, s4
.LBB376_1133:                           ;   in Loop: Header=BB376_934 Depth=1
	s_or_b32 exec_lo, exec_lo, s16
	flat_load_dwordx2 v[20:21], v[18:19] offset:768
	v_mov_b32_e32 v5, 0
	v_mov_b32_e32 v4, 0
	s_waitcnt vmcnt(0) lgkmcnt(0)
	v_cmp_ne_u16_sdwa s4, v20, v11 src0_sel:BYTE_0 src1_sel:DWORD
	s_and_saveexec_b32 s16, s4
	s_cbranch_execz .LBB376_1141
; %bb.1134:                             ;   in Loop: Header=BB376_934 Depth=1
	v_cmp_ne_u16_sdwa s4, v20, v80 src0_sel:BYTE_0 src1_sel:DWORD
	v_bfrev_b32_e32 v4, 1
	s_and_saveexec_b32 s17, s4
	s_cbranch_execz .LBB376_1140
; %bb.1135:                             ;   in Loop: Header=BB376_934 Depth=1
	v_and_b32_e32 v10, 0x7f, v20
	v_mov_b32_e32 v4, 0x7f800001
	s_mov_b32 s18, exec_lo
	v_cmpx_ne_u32_e32 0x7f, v10
	s_cbranch_execz .LBB376_1139
; %bb.1136:                             ;   in Loop: Header=BB376_934 Depth=1
	v_mov_b32_e32 v24, v21
	v_lshrrev_b32_e32 v4, 3, v10
	v_mov_b32_e32 v23, v20
	s_mov_b32 s20, exec_lo
	v_cmpx_gt_u32_e32 8, v10
; %bb.1137:                             ;   in Loop: Header=BB376_934 Depth=1
	v_and_b32_e32 v4, 7, v20
	v_ffbh_u32_e32 v4, v4
	v_min_u32_e32 v4, 32, v4
	v_subrev_nc_u32_e32 v10, 28, v4
	v_sub_nc_u32_e32 v4, 29, v4
	v_lshlrev_b64 v[23:24], v10, v[20:21]
; %bb.1138:                             ;   in Loop: Header=BB376_934 Depth=1
	s_or_b32 exec_lo, exec_lo, s20
	v_lshlrev_b32_e32 v10, 20, v23
	v_lshlrev_b32_e32 v12, 24, v20
	v_lshl_add_u32 v4, v4, 23, 0x3c000000
	v_and_b32_e32 v10, 0x700000, v10
	v_and_b32_e32 v12, 0x80000000, v12
	v_or3_b32 v4, v10, v12, v4
.LBB376_1139:                           ;   in Loop: Header=BB376_934 Depth=1
	s_or_b32 exec_lo, exec_lo, s18
.LBB376_1140:                           ;   in Loop: Header=BB376_934 Depth=1
	s_or_b32 exec_lo, exec_lo, s17
.LBB376_1141:                           ;   in Loop: Header=BB376_934 Depth=1
	s_or_b32 exec_lo, exec_lo, s16
	v_cmp_ne_u16_sdwa s4, v20, v11 src0_sel:BYTE_1 src1_sel:DWORD
	s_and_saveexec_b32 s16, s4
	s_cbranch_execz .LBB376_1149
; %bb.1142:                             ;   in Loop: Header=BB376_934 Depth=1
	v_cmp_ne_u16_sdwa s4, v20, v80 src0_sel:BYTE_1 src1_sel:DWORD
	v_bfrev_b32_e32 v5, 1
	s_and_saveexec_b32 s17, s4
	s_cbranch_execz .LBB376_1148
; %bb.1143:                             ;   in Loop: Header=BB376_934 Depth=1
	v_mov_b32_e32 v5, 0xffff
	s_mov_b32 s18, exec_lo
	v_and_b32_sdwa v10, v5, v20 dst_sel:DWORD dst_unused:UNUSED_PAD src0_sel:DWORD src1_sel:BYTE_1
	v_mov_b32_e32 v5, 0x7f800001
	v_and_b32_e32 v12, 0x7f, v10
	v_cmpx_ne_u32_e32 0x7f, v12
	s_cbranch_execz .LBB376_1147
; %bb.1144:                             ;   in Loop: Header=BB376_934 Depth=1
	v_and_b32_e32 v10, 7, v10
	v_mov_b32_e32 v24, v11
	v_lshrrev_b32_e32 v5, 3, v12
	s_mov_b32 s20, exec_lo
	v_mov_b32_e32 v23, v10
	v_cmpx_gt_u32_e32 8, v12
; %bb.1145:                             ;   in Loop: Header=BB376_934 Depth=1
	v_ffbh_u32_e32 v5, v10
	v_min_u32_e32 v5, 32, v5
	v_subrev_nc_u32_e32 v12, 28, v5
	v_sub_nc_u32_e32 v5, 29, v5
	v_lshlrev_b64 v[12:13], v12, v[10:11]
	v_and_b32_e32 v23, 7, v12
; %bb.1146:                             ;   in Loop: Header=BB376_934 Depth=1
	s_or_b32 exec_lo, exec_lo, s20
	v_lshlrev_b32_e32 v10, 16, v20
	v_lshlrev_b32_e32 v12, 20, v23
	v_lshl_add_u32 v5, v5, 23, 0x3c000000
	v_and_b32_e32 v10, 0x80000000, v10
	v_or3_b32 v5, v12, v10, v5
.LBB376_1147:                           ;   in Loop: Header=BB376_934 Depth=1
	s_or_b32 exec_lo, exec_lo, s18
.LBB376_1148:                           ;   in Loop: Header=BB376_934 Depth=1
	s_or_b32 exec_lo, exec_lo, s17
.LBB376_1149:                           ;   in Loop: Header=BB376_934 Depth=1
	s_or_b32 exec_lo, exec_lo, s16
	v_and_b32_sdwa v10, v20, v82 dst_sel:DWORD dst_unused:UNUSED_PAD src0_sel:WORD_1 src1_sel:DWORD
	v_mov_b32_e32 v13, 0
	v_mov_b32_e32 v12, 0
	s_mov_b32 s16, exec_lo
	v_cmpx_ne_u16_e32 0, v10
	s_cbranch_execz .LBB376_1157
; %bb.1150:                             ;   in Loop: Header=BB376_934 Depth=1
	v_bfrev_b32_e32 v12, 1
	s_mov_b32 s17, exec_lo
	v_cmpx_ne_u16_e32 0x80, v10
	s_cbranch_execz .LBB376_1156
; %bb.1151:                             ;   in Loop: Header=BB376_934 Depth=1
	v_bfe_u32 v16, v20, 16, 7
	v_mov_b32_e32 v12, 0x7f800001
	s_mov_b32 s18, exec_lo
	v_cmpx_ne_u32_e32 0x7f, v16
	s_cbranch_execz .LBB376_1155
; %bb.1152:                             ;   in Loop: Header=BB376_934 Depth=1
	v_mov_b32_e32 v10, 7
	v_lshrrev_b32_e32 v12, 3, v16
	s_mov_b32 s20, exec_lo
	v_and_b32_sdwa v10, v20, v10 dst_sel:DWORD dst_unused:UNUSED_PAD src0_sel:WORD_1 src1_sel:DWORD
	v_mov_b32_e32 v24, v11
	v_mov_b32_e32 v23, v10
	v_cmpx_gt_u32_e32 8, v16
; %bb.1153:                             ;   in Loop: Header=BB376_934 Depth=1
	v_ffbh_u32_e32 v12, v10
	v_min_u32_e32 v12, 32, v12
	v_subrev_nc_u32_e32 v16, 28, v12
	v_sub_nc_u32_e32 v12, 29, v12
	v_lshlrev_b64 v[22:23], v16, v[10:11]
	v_and_b32_e32 v23, 7, v22
; %bb.1154:                             ;   in Loop: Header=BB376_934 Depth=1
	s_or_b32 exec_lo, exec_lo, s20
	v_mov_b32_e32 v10, 24
	v_lshlrev_b32_e32 v16, 20, v23
	v_lshl_add_u32 v12, v12, 23, 0x3c000000
	v_lshlrev_b32_sdwa v10, v10, v20 dst_sel:DWORD dst_unused:UNUSED_PAD src0_sel:DWORD src1_sel:WORD_1
	v_and_b32_e32 v10, 0x80000000, v10
	v_or3_b32 v12, v16, v10, v12
.LBB376_1155:                           ;   in Loop: Header=BB376_934 Depth=1
	s_or_b32 exec_lo, exec_lo, s18
.LBB376_1156:                           ;   in Loop: Header=BB376_934 Depth=1
	s_or_b32 exec_lo, exec_lo, s17
.LBB376_1157:                           ;   in Loop: Header=BB376_934 Depth=1
	s_or_b32 exec_lo, exec_lo, s16
	s_mov_b32 s16, exec_lo
	v_cmpx_lt_u32_e32 0xffffff, v20
	s_cbranch_execz .LBB376_1165
; %bb.1158:                             ;   in Loop: Header=BB376_934 Depth=1
	v_cmp_ne_u32_sdwa s4, v20, v80 src0_sel:BYTE_3 src1_sel:DWORD
	v_bfrev_b32_e32 v13, 1
	s_and_saveexec_b32 s17, s4
	s_cbranch_execz .LBB376_1164
; %bb.1159:                             ;   in Loop: Header=BB376_934 Depth=1
	v_bfe_u32 v16, v20, 24, 7
	v_mov_b32_e32 v13, 0x7f800001
	s_mov_b32 s18, exec_lo
	v_cmpx_ne_u32_e32 0x7f, v16
	s_cbranch_execz .LBB376_1163
; %bb.1160:                             ;   in Loop: Header=BB376_934 Depth=1
	v_mov_b32_e32 v10, 7
	v_lshrrev_b32_e32 v13, 3, v16
	s_mov_b32 s20, exec_lo
	v_and_b32_sdwa v10, v20, v10 dst_sel:DWORD dst_unused:UNUSED_PAD src0_sel:BYTE_3 src1_sel:DWORD
	v_mov_b32_e32 v24, v11
	v_mov_b32_e32 v23, v10
	v_cmpx_gt_u32_e32 8, v16
; %bb.1161:                             ;   in Loop: Header=BB376_934 Depth=1
	v_ffbh_u32_e32 v13, v10
	v_min_u32_e32 v13, 32, v13
	v_subrev_nc_u32_e32 v16, 28, v13
	v_sub_nc_u32_e32 v13, 29, v13
	v_lshlrev_b64 v[22:23], v16, v[10:11]
	v_and_b32_e32 v23, 7, v22
; %bb.1162:                             ;   in Loop: Header=BB376_934 Depth=1
	s_or_b32 exec_lo, exec_lo, s20
	v_mov_b32_e32 v10, 24
	v_lshlrev_b32_e32 v16, 20, v23
	v_lshl_add_u32 v13, v13, 23, 0x3c000000
	v_lshlrev_b32_sdwa v10, v10, v20 dst_sel:DWORD dst_unused:UNUSED_PAD src0_sel:DWORD src1_sel:BYTE_3
	v_and_b32_e32 v10, 0x80000000, v10
	v_or3_b32 v13, v16, v10, v13
.LBB376_1163:                           ;   in Loop: Header=BB376_934 Depth=1
	s_or_b32 exec_lo, exec_lo, s18
.LBB376_1164:                           ;   in Loop: Header=BB376_934 Depth=1
	s_or_b32 exec_lo, exec_lo, s17
.LBB376_1165:                           ;   in Loop: Header=BB376_934 Depth=1
	s_or_b32 exec_lo, exec_lo, s16
	v_mov_b32_e32 v10, v21
	v_cmp_ne_u16_sdwa s4, v21, v11 src0_sel:BYTE_0 src1_sel:DWORD
	v_mov_b32_e32 v22, 0
	v_mov_b32_e32 v16, 0
	s_and_saveexec_b32 s16, s4
	s_cbranch_execz .LBB376_1173
; %bb.1166:                             ;   in Loop: Header=BB376_934 Depth=1
	v_cmp_ne_u16_sdwa s4, v21, v80 src0_sel:BYTE_0 src1_sel:DWORD
	v_bfrev_b32_e32 v16, 1
	s_and_saveexec_b32 s17, s4
	s_cbranch_execz .LBB376_1172
; %bb.1167:                             ;   in Loop: Header=BB376_934 Depth=1
	v_and_b32_e32 v23, 0x7f, v21
	v_mov_b32_e32 v16, 0x7f800001
	s_mov_b32 s18, exec_lo
	v_cmpx_ne_u32_e32 0x7f, v23
	s_cbranch_execz .LBB376_1171
; %bb.1168:                             ;   in Loop: Header=BB376_934 Depth=1
	v_lshrrev_b32_e32 v16, 3, v23
	v_cmp_gt_u32_e64 s4, 8, v23
	v_mov_b32_e32 v24, v11
	v_mov_b32_e32 v23, v10
	s_and_saveexec_b32 s20, s4
; %bb.1169:                             ;   in Loop: Header=BB376_934 Depth=1
	v_and_b32_e32 v16, 7, v21
	v_ffbh_u32_e32 v16, v16
	v_min_u32_e32 v16, 32, v16
	v_subrev_nc_u32_e32 v23, 28, v16
	v_sub_nc_u32_e32 v16, 29, v16
	v_lshlrev_b64 v[23:24], v23, v[10:11]
; %bb.1170:                             ;   in Loop: Header=BB376_934 Depth=1
	s_or_b32 exec_lo, exec_lo, s20
	v_lshlrev_b32_e32 v23, 20, v23
	v_lshlrev_b32_e32 v24, 24, v10
	v_lshl_add_u32 v16, v16, 23, 0x3c000000
	v_and_b32_e32 v23, 0x700000, v23
	v_and_b32_e32 v24, 0x80000000, v24
	v_or3_b32 v16, v23, v24, v16
.LBB376_1171:                           ;   in Loop: Header=BB376_934 Depth=1
	s_or_b32 exec_lo, exec_lo, s18
.LBB376_1172:                           ;   in Loop: Header=BB376_934 Depth=1
	s_or_b32 exec_lo, exec_lo, s17
.LBB376_1173:                           ;   in Loop: Header=BB376_934 Depth=1
	s_or_b32 exec_lo, exec_lo, s16
	v_cmp_ne_u16_sdwa s4, v10, v11 src0_sel:BYTE_1 src1_sel:DWORD
	s_and_saveexec_b32 s16, s4
	s_cbranch_execz .LBB376_1181
; %bb.1174:                             ;   in Loop: Header=BB376_934 Depth=1
	v_cmp_ne_u16_sdwa s4, v10, v80 src0_sel:BYTE_1 src1_sel:DWORD
	v_bfrev_b32_e32 v22, 1
	s_and_saveexec_b32 s17, s4
	s_cbranch_execz .LBB376_1180
; %bb.1175:                             ;   in Loop: Header=BB376_934 Depth=1
	v_mov_b32_e32 v22, 0xffff
	s_mov_b32 s18, exec_lo
	v_and_b32_sdwa v23, v22, v10 dst_sel:DWORD dst_unused:UNUSED_PAD src0_sel:DWORD src1_sel:BYTE_1
	v_mov_b32_e32 v22, 0x7f800001
	v_and_b32_e32 v25, 0x7f, v23
	v_cmpx_ne_u32_e32 0x7f, v25
	s_cbranch_execz .LBB376_1179
; %bb.1176:                             ;   in Loop: Header=BB376_934 Depth=1
	v_and_b32_e32 v23, 7, v23
	v_mov_b32_e32 v24, v11
	v_lshrrev_b32_e32 v22, 3, v25
	s_mov_b32 s20, exec_lo
	v_cmpx_gt_u32_e32 8, v25
; %bb.1177:                             ;   in Loop: Header=BB376_934 Depth=1
	v_ffbh_u32_e32 v22, v23
	v_min_u32_e32 v22, 32, v22
	v_subrev_nc_u32_e32 v25, 28, v22
	v_sub_nc_u32_e32 v22, 29, v22
	v_lshlrev_b64 v[23:24], v25, v[23:24]
	v_and_b32_e32 v23, 7, v23
; %bb.1178:                             ;   in Loop: Header=BB376_934 Depth=1
	s_or_b32 exec_lo, exec_lo, s20
	v_lshlrev_b32_e32 v10, 16, v10
	v_lshlrev_b32_e32 v23, 20, v23
	v_lshl_add_u32 v22, v22, 23, 0x3c000000
	v_and_b32_e32 v10, 0x80000000, v10
	v_or3_b32 v22, v23, v10, v22
.LBB376_1179:                           ;   in Loop: Header=BB376_934 Depth=1
	s_or_b32 exec_lo, exec_lo, s18
.LBB376_1180:                           ;   in Loop: Header=BB376_934 Depth=1
	s_or_b32 exec_lo, exec_lo, s17
.LBB376_1181:                           ;   in Loop: Header=BB376_934 Depth=1
	s_or_b32 exec_lo, exec_lo, s16
	v_and_b32_sdwa v10, v21, v82 dst_sel:DWORD dst_unused:UNUSED_PAD src0_sel:WORD_1 src1_sel:DWORD
	v_mov_b32_e32 v25, 0
	v_mov_b32_e32 v26, 0
	s_mov_b32 s16, exec_lo
	v_cmpx_ne_u16_e32 0, v10
	s_cbranch_execz .LBB376_1189
; %bb.1182:                             ;   in Loop: Header=BB376_934 Depth=1
	v_bfrev_b32_e32 v26, 1
	s_mov_b32 s17, exec_lo
	v_cmpx_ne_u16_e32 0x80, v10
	s_cbranch_execz .LBB376_1188
; %bb.1183:                             ;   in Loop: Header=BB376_934 Depth=1
	v_bfe_u32 v23, v21, 16, 7
	v_mov_b32_e32 v26, 0x7f800001
	s_mov_b32 s18, exec_lo
	v_cmpx_ne_u32_e32 0x7f, v23
	s_cbranch_execz .LBB376_1187
; %bb.1184:                             ;   in Loop: Header=BB376_934 Depth=1
	v_mov_b32_e32 v10, 7
	v_lshrrev_b32_e32 v26, 3, v23
	v_cmp_gt_u32_e64 s4, 8, v23
	v_and_b32_sdwa v10, v21, v10 dst_sel:DWORD dst_unused:UNUSED_PAD src0_sel:WORD_1 src1_sel:DWORD
	v_mov_b32_e32 v24, v11
	v_mov_b32_e32 v23, v10
	s_and_saveexec_b32 s20, s4
; %bb.1185:                             ;   in Loop: Header=BB376_934 Depth=1
	v_ffbh_u32_e32 v23, v10
	v_min_u32_e32 v26, 32, v23
	v_subrev_nc_u32_e32 v23, 28, v26
	v_sub_nc_u32_e32 v26, 29, v26
	v_lshlrev_b64 v[23:24], v23, v[10:11]
	v_and_b32_e32 v23, 7, v23
; %bb.1186:                             ;   in Loop: Header=BB376_934 Depth=1
	s_or_b32 exec_lo, exec_lo, s20
	v_mov_b32_e32 v10, 24
	v_lshlrev_b32_e32 v23, 20, v23
	v_lshl_add_u32 v24, v26, 23, 0x3c000000
	v_lshlrev_b32_sdwa v10, v10, v21 dst_sel:DWORD dst_unused:UNUSED_PAD src0_sel:DWORD src1_sel:WORD_1
	v_and_b32_e32 v10, 0x80000000, v10
	v_or3_b32 v26, v23, v10, v24
.LBB376_1187:                           ;   in Loop: Header=BB376_934 Depth=1
	s_or_b32 exec_lo, exec_lo, s18
.LBB376_1188:                           ;   in Loop: Header=BB376_934 Depth=1
	s_or_b32 exec_lo, exec_lo, s17
.LBB376_1189:                           ;   in Loop: Header=BB376_934 Depth=1
	s_or_b32 exec_lo, exec_lo, s16
	s_mov_b32 s16, exec_lo
	v_cmpx_lt_u64_e64 s[12:13], v[20:21]
	s_cbranch_execz .LBB376_1197
; %bb.1190:                             ;   in Loop: Header=BB376_934 Depth=1
	v_cmp_ne_u32_sdwa s4, v21, v80 src0_sel:BYTE_3 src1_sel:DWORD
	v_bfrev_b32_e32 v25, 1
	s_and_saveexec_b32 s17, s4
	s_cbranch_execz .LBB376_1196
; %bb.1191:                             ;   in Loop: Header=BB376_934 Depth=1
	v_bfe_u32 v23, v21, 24, 7
	v_mov_b32_e32 v25, 0x7f800001
	s_mov_b32 s18, exec_lo
	v_cmpx_ne_u32_e32 0x7f, v23
	s_cbranch_execz .LBB376_1195
; %bb.1192:                             ;   in Loop: Header=BB376_934 Depth=1
	v_mov_b32_e32 v10, 7
	v_lshrrev_b32_e32 v20, 3, v23
	v_cmp_gt_u32_e64 s4, 8, v23
	v_and_b32_sdwa v10, v21, v10 dst_sel:DWORD dst_unused:UNUSED_PAD src0_sel:BYTE_3 src1_sel:DWORD
	v_mov_b32_e32 v24, v11
	v_mov_b32_e32 v23, v10
	s_and_saveexec_b32 s20, s4
; %bb.1193:                             ;   in Loop: Header=BB376_934 Depth=1
	v_ffbh_u32_e32 v20, v10
	v_min_u32_e32 v20, 32, v20
	v_subrev_nc_u32_e32 v23, 28, v20
	v_sub_nc_u32_e32 v20, 29, v20
	v_lshlrev_b64 v[23:24], v23, v[10:11]
	v_and_b32_e32 v23, 7, v23
; %bb.1194:                             ;   in Loop: Header=BB376_934 Depth=1
	s_or_b32 exec_lo, exec_lo, s20
	v_mov_b32_e32 v10, 24
	v_lshl_add_u32 v20, v20, 23, 0x3c000000
	v_lshlrev_b32_sdwa v10, v10, v21 dst_sel:DWORD dst_unused:UNUSED_PAD src0_sel:DWORD src1_sel:BYTE_3
	v_lshlrev_b32_e32 v21, 20, v23
	v_and_b32_e32 v10, 0x80000000, v10
	v_or3_b32 v25, v21, v10, v20
.LBB376_1195:                           ;   in Loop: Header=BB376_934 Depth=1
	s_or_b32 exec_lo, exec_lo, s18
.LBB376_1196:                           ;   in Loop: Header=BB376_934 Depth=1
	s_or_b32 exec_lo, exec_lo, s17
.LBB376_1197:                           ;   in Loop: Header=BB376_934 Depth=1
	s_or_b32 exec_lo, exec_lo, s16
	v_mul_f32_e32 v10, v56, v22
	v_mul_f32_e32 v16, v56, v16
	;; [unrolled: 1-line block ×5, first 2 shown]
	v_bfe_u32 v20, v10, 16, 1
	v_or_b32_e32 v21, 0x400000, v10
	v_bfe_u32 v22, v16, 16, 1
	v_cmp_u_f32_e64 s4, v10, v10
	v_or_b32_e32 v23, 0x400000, v16
	v_add3_u32 v20, v20, v10, 0x7fff
	v_bfe_u32 v24, v13, 16, 1
	v_add3_u32 v22, v22, v16, 0x7fff
	v_or_b32_e32 v27, 0x400000, v13
	v_bfe_u32 v28, v12, 16, 1
	v_cndmask_b32_e64 v10, v20, v21, s4
	v_cmp_u_f32_e64 s4, v16, v16
	v_add3_u32 v24, v24, v13, 0x7fff
	v_or_b32_e32 v20, 0x400000, v12
	v_mul_f32_e32 v4, v56, v4
	v_lshrrev_b32_e32 v60, 16, v10
	v_cndmask_b32_e64 v16, v22, v23, s4
	v_cmp_u_f32_e64 s4, v13, v13
	v_add3_u32 v10, v28, v12, 0x7fff
	v_bfe_u32 v21, v4, 16, 1
	v_lshrrev_b32_e32 v58, 16, v16
	v_cndmask_b32_e64 v13, v24, v27, s4
	v_cmp_u_f32_e64 s4, v12, v12
	v_mul_f32_e32 v12, v56, v26
	v_or_b32_e32 v16, 0x400000, v5
	v_lshrrev_b32_e32 v62, 16, v13
	v_bfe_u32 v13, v5, 16, 1
	v_cndmask_b32_e64 v10, v10, v20, s4
	v_cmp_u_f32_e64 s4, v5, v5
	v_mul_f32_e32 v20, v56, v25
	v_bfe_u32 v22, v12, 16, 1
	v_add3_u32 v13, v13, v5, 0x7fff
	v_or_b32_e32 v23, 0x400000, v12
	v_lshrrev_b32_e32 v63, 16, v10
	v_or_b32_e32 v24, 0x400000, v20
	v_add3_u32 v22, v22, v12, 0x7fff
	v_cndmask_b32_e64 v5, v13, v16, s4
	v_add3_u32 v16, v21, v4, 0x7fff
	v_or_b32_e32 v21, 0x400000, v4
	v_cmp_u_f32_e64 s4, v4, v4
	v_bfe_u32 v13, v20, 16, 1
	v_lshrrev_b32_e32 v88, 16, v5
	v_cndmask_b32_e64 v4, v16, v21, s4
	v_cmp_u_f32_e64 s4, v12, v12
	v_add3_u32 v13, v13, v20, 0x7fff
	v_lshrrev_b32_e32 v79, 16, v4
	v_cndmask_b32_e64 v12, v22, v23, s4
	v_cmp_u_f32_e64 s4, v20, v20
	v_lshrrev_b32_e32 v57, 16, v12
	v_cndmask_b32_e64 v13, v13, v24, s4
	v_lshrrev_b32_e32 v59, 16, v13
	s_and_saveexec_b32 s16, vcc_lo
	s_cbranch_execz .LBB376_1199
; %bb.1198:                             ;   in Loop: Header=BB376_934 Depth=1
	v_cmp_lt_i32_e64 s4, v61, v38
	v_cndmask_b32_e64 v79, 0, v79, s4
	v_cmp_lt_i32_e64 s4, v78, v38
	v_cndmask_b32_e64 v88, 0, v88, s4
	;; [unrolled: 2-line block ×8, first 2 shown]
.LBB376_1199:                           ;   in Loop: Header=BB376_934 Depth=1
	s_or_b32 exec_lo, exec_lo, s16
	flat_load_dwordx2 v[20:21], v[18:19] offset:1024
	v_mov_b32_e32 v5, 0
	v_mov_b32_e32 v4, 0
	s_waitcnt vmcnt(0) lgkmcnt(0)
	v_cmp_ne_u16_sdwa s4, v20, v11 src0_sel:BYTE_0 src1_sel:DWORD
	s_and_saveexec_b32 s16, s4
	s_cbranch_execz .LBB376_1207
; %bb.1200:                             ;   in Loop: Header=BB376_934 Depth=1
	v_cmp_ne_u16_sdwa s4, v20, v80 src0_sel:BYTE_0 src1_sel:DWORD
	v_bfrev_b32_e32 v4, 1
	s_and_saveexec_b32 s17, s4
	s_cbranch_execz .LBB376_1206
; %bb.1201:                             ;   in Loop: Header=BB376_934 Depth=1
	v_and_b32_e32 v10, 0x7f, v20
	v_mov_b32_e32 v4, 0x7f800001
	s_mov_b32 s18, exec_lo
	v_cmpx_ne_u32_e32 0x7f, v10
	s_cbranch_execz .LBB376_1205
; %bb.1202:                             ;   in Loop: Header=BB376_934 Depth=1
	v_mov_b32_e32 v24, v21
	v_lshrrev_b32_e32 v4, 3, v10
	v_mov_b32_e32 v23, v20
	s_mov_b32 s20, exec_lo
	v_cmpx_gt_u32_e32 8, v10
; %bb.1203:                             ;   in Loop: Header=BB376_934 Depth=1
	v_and_b32_e32 v4, 7, v20
	v_ffbh_u32_e32 v4, v4
	v_min_u32_e32 v4, 32, v4
	v_subrev_nc_u32_e32 v10, 28, v4
	v_sub_nc_u32_e32 v4, 29, v4
	v_lshlrev_b64 v[23:24], v10, v[20:21]
; %bb.1204:                             ;   in Loop: Header=BB376_934 Depth=1
	s_or_b32 exec_lo, exec_lo, s20
	v_lshlrev_b32_e32 v10, 20, v23
	v_lshlrev_b32_e32 v12, 24, v20
	v_lshl_add_u32 v4, v4, 23, 0x3c000000
	v_and_b32_e32 v10, 0x700000, v10
	v_and_b32_e32 v12, 0x80000000, v12
	v_or3_b32 v4, v10, v12, v4
.LBB376_1205:                           ;   in Loop: Header=BB376_934 Depth=1
	s_or_b32 exec_lo, exec_lo, s18
.LBB376_1206:                           ;   in Loop: Header=BB376_934 Depth=1
	s_or_b32 exec_lo, exec_lo, s17
.LBB376_1207:                           ;   in Loop: Header=BB376_934 Depth=1
	s_or_b32 exec_lo, exec_lo, s16
	v_cmp_ne_u16_sdwa s4, v20, v11 src0_sel:BYTE_1 src1_sel:DWORD
	s_and_saveexec_b32 s16, s4
	s_cbranch_execz .LBB376_1215
; %bb.1208:                             ;   in Loop: Header=BB376_934 Depth=1
	v_cmp_ne_u16_sdwa s4, v20, v80 src0_sel:BYTE_1 src1_sel:DWORD
	v_bfrev_b32_e32 v5, 1
	s_and_saveexec_b32 s17, s4
	s_cbranch_execz .LBB376_1214
; %bb.1209:                             ;   in Loop: Header=BB376_934 Depth=1
	v_mov_b32_e32 v5, 0xffff
	s_mov_b32 s18, exec_lo
	v_and_b32_sdwa v10, v5, v20 dst_sel:DWORD dst_unused:UNUSED_PAD src0_sel:DWORD src1_sel:BYTE_1
	v_mov_b32_e32 v5, 0x7f800001
	v_and_b32_e32 v12, 0x7f, v10
	v_cmpx_ne_u32_e32 0x7f, v12
	s_cbranch_execz .LBB376_1213
; %bb.1210:                             ;   in Loop: Header=BB376_934 Depth=1
	v_and_b32_e32 v10, 7, v10
	v_mov_b32_e32 v24, v11
	v_lshrrev_b32_e32 v5, 3, v12
	s_mov_b32 s20, exec_lo
	v_mov_b32_e32 v23, v10
	v_cmpx_gt_u32_e32 8, v12
; %bb.1211:                             ;   in Loop: Header=BB376_934 Depth=1
	v_ffbh_u32_e32 v5, v10
	v_min_u32_e32 v5, 32, v5
	v_subrev_nc_u32_e32 v12, 28, v5
	v_sub_nc_u32_e32 v5, 29, v5
	v_lshlrev_b64 v[12:13], v12, v[10:11]
	v_and_b32_e32 v23, 7, v12
; %bb.1212:                             ;   in Loop: Header=BB376_934 Depth=1
	s_or_b32 exec_lo, exec_lo, s20
	v_lshlrev_b32_e32 v10, 16, v20
	v_lshlrev_b32_e32 v12, 20, v23
	v_lshl_add_u32 v5, v5, 23, 0x3c000000
	v_and_b32_e32 v10, 0x80000000, v10
	v_or3_b32 v5, v12, v10, v5
.LBB376_1213:                           ;   in Loop: Header=BB376_934 Depth=1
	s_or_b32 exec_lo, exec_lo, s18
.LBB376_1214:                           ;   in Loop: Header=BB376_934 Depth=1
	s_or_b32 exec_lo, exec_lo, s17
.LBB376_1215:                           ;   in Loop: Header=BB376_934 Depth=1
	s_or_b32 exec_lo, exec_lo, s16
	v_and_b32_sdwa v10, v20, v82 dst_sel:DWORD dst_unused:UNUSED_PAD src0_sel:WORD_1 src1_sel:DWORD
	v_mov_b32_e32 v13, 0
	v_mov_b32_e32 v12, 0
	s_mov_b32 s16, exec_lo
	v_cmpx_ne_u16_e32 0, v10
	s_cbranch_execz .LBB376_1223
; %bb.1216:                             ;   in Loop: Header=BB376_934 Depth=1
	v_bfrev_b32_e32 v12, 1
	s_mov_b32 s17, exec_lo
	v_cmpx_ne_u16_e32 0x80, v10
	s_cbranch_execz .LBB376_1222
; %bb.1217:                             ;   in Loop: Header=BB376_934 Depth=1
	v_bfe_u32 v16, v20, 16, 7
	v_mov_b32_e32 v12, 0x7f800001
	s_mov_b32 s18, exec_lo
	v_cmpx_ne_u32_e32 0x7f, v16
	s_cbranch_execz .LBB376_1221
; %bb.1218:                             ;   in Loop: Header=BB376_934 Depth=1
	v_mov_b32_e32 v10, 7
	v_lshrrev_b32_e32 v12, 3, v16
	s_mov_b32 s20, exec_lo
	v_and_b32_sdwa v10, v20, v10 dst_sel:DWORD dst_unused:UNUSED_PAD src0_sel:WORD_1 src1_sel:DWORD
	v_mov_b32_e32 v24, v11
	v_mov_b32_e32 v23, v10
	v_cmpx_gt_u32_e32 8, v16
; %bb.1219:                             ;   in Loop: Header=BB376_934 Depth=1
	v_ffbh_u32_e32 v12, v10
	v_min_u32_e32 v12, 32, v12
	v_subrev_nc_u32_e32 v16, 28, v12
	v_sub_nc_u32_e32 v12, 29, v12
	v_lshlrev_b64 v[22:23], v16, v[10:11]
	v_and_b32_e32 v23, 7, v22
; %bb.1220:                             ;   in Loop: Header=BB376_934 Depth=1
	s_or_b32 exec_lo, exec_lo, s20
	v_mov_b32_e32 v10, 24
	v_lshlrev_b32_e32 v16, 20, v23
	v_lshl_add_u32 v12, v12, 23, 0x3c000000
	v_lshlrev_b32_sdwa v10, v10, v20 dst_sel:DWORD dst_unused:UNUSED_PAD src0_sel:DWORD src1_sel:WORD_1
	v_and_b32_e32 v10, 0x80000000, v10
	v_or3_b32 v12, v16, v10, v12
.LBB376_1221:                           ;   in Loop: Header=BB376_934 Depth=1
	s_or_b32 exec_lo, exec_lo, s18
.LBB376_1222:                           ;   in Loop: Header=BB376_934 Depth=1
	s_or_b32 exec_lo, exec_lo, s17
.LBB376_1223:                           ;   in Loop: Header=BB376_934 Depth=1
	s_or_b32 exec_lo, exec_lo, s16
	s_mov_b32 s16, exec_lo
	v_cmpx_lt_u32_e32 0xffffff, v20
	s_cbranch_execz .LBB376_1231
; %bb.1224:                             ;   in Loop: Header=BB376_934 Depth=1
	v_cmp_ne_u32_sdwa s4, v20, v80 src0_sel:BYTE_3 src1_sel:DWORD
	v_bfrev_b32_e32 v13, 1
	s_and_saveexec_b32 s17, s4
	s_cbranch_execz .LBB376_1230
; %bb.1225:                             ;   in Loop: Header=BB376_934 Depth=1
	v_bfe_u32 v16, v20, 24, 7
	v_mov_b32_e32 v13, 0x7f800001
	s_mov_b32 s18, exec_lo
	v_cmpx_ne_u32_e32 0x7f, v16
	s_cbranch_execz .LBB376_1229
; %bb.1226:                             ;   in Loop: Header=BB376_934 Depth=1
	v_mov_b32_e32 v10, 7
	v_lshrrev_b32_e32 v13, 3, v16
	s_mov_b32 s20, exec_lo
	v_and_b32_sdwa v10, v20, v10 dst_sel:DWORD dst_unused:UNUSED_PAD src0_sel:BYTE_3 src1_sel:DWORD
	v_mov_b32_e32 v24, v11
	v_mov_b32_e32 v23, v10
	v_cmpx_gt_u32_e32 8, v16
; %bb.1227:                             ;   in Loop: Header=BB376_934 Depth=1
	v_ffbh_u32_e32 v13, v10
	v_min_u32_e32 v13, 32, v13
	v_subrev_nc_u32_e32 v16, 28, v13
	v_sub_nc_u32_e32 v13, 29, v13
	v_lshlrev_b64 v[22:23], v16, v[10:11]
	v_and_b32_e32 v23, 7, v22
; %bb.1228:                             ;   in Loop: Header=BB376_934 Depth=1
	s_or_b32 exec_lo, exec_lo, s20
	v_mov_b32_e32 v10, 24
	v_lshlrev_b32_e32 v16, 20, v23
	v_lshl_add_u32 v13, v13, 23, 0x3c000000
	v_lshlrev_b32_sdwa v10, v10, v20 dst_sel:DWORD dst_unused:UNUSED_PAD src0_sel:DWORD src1_sel:BYTE_3
	v_and_b32_e32 v10, 0x80000000, v10
	v_or3_b32 v13, v16, v10, v13
.LBB376_1229:                           ;   in Loop: Header=BB376_934 Depth=1
	s_or_b32 exec_lo, exec_lo, s18
.LBB376_1230:                           ;   in Loop: Header=BB376_934 Depth=1
	s_or_b32 exec_lo, exec_lo, s17
.LBB376_1231:                           ;   in Loop: Header=BB376_934 Depth=1
	s_or_b32 exec_lo, exec_lo, s16
	v_mov_b32_e32 v10, v21
	v_cmp_ne_u16_sdwa s4, v21, v11 src0_sel:BYTE_0 src1_sel:DWORD
	v_mov_b32_e32 v22, 0
	v_mov_b32_e32 v16, 0
	s_and_saveexec_b32 s16, s4
	s_cbranch_execz .LBB376_1239
; %bb.1232:                             ;   in Loop: Header=BB376_934 Depth=1
	v_cmp_ne_u16_sdwa s4, v21, v80 src0_sel:BYTE_0 src1_sel:DWORD
	v_bfrev_b32_e32 v16, 1
	s_and_saveexec_b32 s17, s4
	s_cbranch_execz .LBB376_1238
; %bb.1233:                             ;   in Loop: Header=BB376_934 Depth=1
	v_and_b32_e32 v23, 0x7f, v21
	v_mov_b32_e32 v16, 0x7f800001
	s_mov_b32 s18, exec_lo
	v_cmpx_ne_u32_e32 0x7f, v23
	s_cbranch_execz .LBB376_1237
; %bb.1234:                             ;   in Loop: Header=BB376_934 Depth=1
	v_lshrrev_b32_e32 v16, 3, v23
	v_cmp_gt_u32_e64 s4, 8, v23
	v_mov_b32_e32 v24, v11
	v_mov_b32_e32 v23, v10
	s_and_saveexec_b32 s20, s4
; %bb.1235:                             ;   in Loop: Header=BB376_934 Depth=1
	v_and_b32_e32 v16, 7, v21
	v_ffbh_u32_e32 v16, v16
	v_min_u32_e32 v16, 32, v16
	v_subrev_nc_u32_e32 v23, 28, v16
	v_sub_nc_u32_e32 v16, 29, v16
	v_lshlrev_b64 v[23:24], v23, v[10:11]
; %bb.1236:                             ;   in Loop: Header=BB376_934 Depth=1
	s_or_b32 exec_lo, exec_lo, s20
	v_lshlrev_b32_e32 v23, 20, v23
	v_lshlrev_b32_e32 v24, 24, v10
	v_lshl_add_u32 v16, v16, 23, 0x3c000000
	v_and_b32_e32 v23, 0x700000, v23
	v_and_b32_e32 v24, 0x80000000, v24
	v_or3_b32 v16, v23, v24, v16
.LBB376_1237:                           ;   in Loop: Header=BB376_934 Depth=1
	s_or_b32 exec_lo, exec_lo, s18
.LBB376_1238:                           ;   in Loop: Header=BB376_934 Depth=1
	s_or_b32 exec_lo, exec_lo, s17
.LBB376_1239:                           ;   in Loop: Header=BB376_934 Depth=1
	s_or_b32 exec_lo, exec_lo, s16
	v_cmp_ne_u16_sdwa s4, v10, v11 src0_sel:BYTE_1 src1_sel:DWORD
	s_and_saveexec_b32 s16, s4
	s_cbranch_execz .LBB376_1247
; %bb.1240:                             ;   in Loop: Header=BB376_934 Depth=1
	v_cmp_ne_u16_sdwa s4, v10, v80 src0_sel:BYTE_1 src1_sel:DWORD
	v_bfrev_b32_e32 v22, 1
	s_and_saveexec_b32 s17, s4
	s_cbranch_execz .LBB376_1246
; %bb.1241:                             ;   in Loop: Header=BB376_934 Depth=1
	v_mov_b32_e32 v22, 0xffff
	s_mov_b32 s18, exec_lo
	v_and_b32_sdwa v23, v22, v10 dst_sel:DWORD dst_unused:UNUSED_PAD src0_sel:DWORD src1_sel:BYTE_1
	v_mov_b32_e32 v22, 0x7f800001
	v_and_b32_e32 v25, 0x7f, v23
	v_cmpx_ne_u32_e32 0x7f, v25
	s_cbranch_execz .LBB376_1245
; %bb.1242:                             ;   in Loop: Header=BB376_934 Depth=1
	v_and_b32_e32 v23, 7, v23
	v_mov_b32_e32 v24, v11
	v_lshrrev_b32_e32 v22, 3, v25
	s_mov_b32 s20, exec_lo
	v_cmpx_gt_u32_e32 8, v25
; %bb.1243:                             ;   in Loop: Header=BB376_934 Depth=1
	v_ffbh_u32_e32 v22, v23
	v_min_u32_e32 v22, 32, v22
	v_subrev_nc_u32_e32 v25, 28, v22
	v_sub_nc_u32_e32 v22, 29, v22
	v_lshlrev_b64 v[23:24], v25, v[23:24]
	v_and_b32_e32 v23, 7, v23
; %bb.1244:                             ;   in Loop: Header=BB376_934 Depth=1
	s_or_b32 exec_lo, exec_lo, s20
	v_lshlrev_b32_e32 v10, 16, v10
	v_lshlrev_b32_e32 v23, 20, v23
	v_lshl_add_u32 v22, v22, 23, 0x3c000000
	v_and_b32_e32 v10, 0x80000000, v10
	v_or3_b32 v22, v23, v10, v22
.LBB376_1245:                           ;   in Loop: Header=BB376_934 Depth=1
	s_or_b32 exec_lo, exec_lo, s18
.LBB376_1246:                           ;   in Loop: Header=BB376_934 Depth=1
	s_or_b32 exec_lo, exec_lo, s17
.LBB376_1247:                           ;   in Loop: Header=BB376_934 Depth=1
	s_or_b32 exec_lo, exec_lo, s16
	v_and_b32_sdwa v10, v21, v82 dst_sel:DWORD dst_unused:UNUSED_PAD src0_sel:WORD_1 src1_sel:DWORD
	v_mov_b32_e32 v25, 0
	v_mov_b32_e32 v26, 0
	s_mov_b32 s16, exec_lo
	v_cmpx_ne_u16_e32 0, v10
	s_cbranch_execz .LBB376_1255
; %bb.1248:                             ;   in Loop: Header=BB376_934 Depth=1
	v_bfrev_b32_e32 v26, 1
	s_mov_b32 s17, exec_lo
	v_cmpx_ne_u16_e32 0x80, v10
	s_cbranch_execz .LBB376_1254
; %bb.1249:                             ;   in Loop: Header=BB376_934 Depth=1
	v_bfe_u32 v23, v21, 16, 7
	v_mov_b32_e32 v26, 0x7f800001
	s_mov_b32 s18, exec_lo
	v_cmpx_ne_u32_e32 0x7f, v23
	s_cbranch_execz .LBB376_1253
; %bb.1250:                             ;   in Loop: Header=BB376_934 Depth=1
	v_mov_b32_e32 v10, 7
	v_lshrrev_b32_e32 v26, 3, v23
	v_cmp_gt_u32_e64 s4, 8, v23
	v_and_b32_sdwa v10, v21, v10 dst_sel:DWORD dst_unused:UNUSED_PAD src0_sel:WORD_1 src1_sel:DWORD
	v_mov_b32_e32 v24, v11
	v_mov_b32_e32 v23, v10
	s_and_saveexec_b32 s20, s4
; %bb.1251:                             ;   in Loop: Header=BB376_934 Depth=1
	v_ffbh_u32_e32 v23, v10
	v_min_u32_e32 v26, 32, v23
	v_subrev_nc_u32_e32 v23, 28, v26
	v_sub_nc_u32_e32 v26, 29, v26
	v_lshlrev_b64 v[23:24], v23, v[10:11]
	v_and_b32_e32 v23, 7, v23
; %bb.1252:                             ;   in Loop: Header=BB376_934 Depth=1
	s_or_b32 exec_lo, exec_lo, s20
	v_mov_b32_e32 v10, 24
	v_lshlrev_b32_e32 v23, 20, v23
	v_lshl_add_u32 v24, v26, 23, 0x3c000000
	v_lshlrev_b32_sdwa v10, v10, v21 dst_sel:DWORD dst_unused:UNUSED_PAD src0_sel:DWORD src1_sel:WORD_1
	v_and_b32_e32 v10, 0x80000000, v10
	v_or3_b32 v26, v23, v10, v24
.LBB376_1253:                           ;   in Loop: Header=BB376_934 Depth=1
	s_or_b32 exec_lo, exec_lo, s18
.LBB376_1254:                           ;   in Loop: Header=BB376_934 Depth=1
	s_or_b32 exec_lo, exec_lo, s17
.LBB376_1255:                           ;   in Loop: Header=BB376_934 Depth=1
	s_or_b32 exec_lo, exec_lo, s16
	s_mov_b32 s16, exec_lo
	v_cmpx_lt_u64_e64 s[12:13], v[20:21]
	s_cbranch_execz .LBB376_1263
; %bb.1256:                             ;   in Loop: Header=BB376_934 Depth=1
	v_cmp_ne_u32_sdwa s4, v21, v80 src0_sel:BYTE_3 src1_sel:DWORD
	v_bfrev_b32_e32 v25, 1
	s_and_saveexec_b32 s17, s4
	s_cbranch_execz .LBB376_1262
; %bb.1257:                             ;   in Loop: Header=BB376_934 Depth=1
	v_bfe_u32 v23, v21, 24, 7
	v_mov_b32_e32 v25, 0x7f800001
	s_mov_b32 s18, exec_lo
	v_cmpx_ne_u32_e32 0x7f, v23
	s_cbranch_execz .LBB376_1261
; %bb.1258:                             ;   in Loop: Header=BB376_934 Depth=1
	v_mov_b32_e32 v10, 7
	v_lshrrev_b32_e32 v20, 3, v23
	v_cmp_gt_u32_e64 s4, 8, v23
	v_and_b32_sdwa v10, v21, v10 dst_sel:DWORD dst_unused:UNUSED_PAD src0_sel:BYTE_3 src1_sel:DWORD
	v_mov_b32_e32 v24, v11
	v_mov_b32_e32 v23, v10
	s_and_saveexec_b32 s20, s4
; %bb.1259:                             ;   in Loop: Header=BB376_934 Depth=1
	v_ffbh_u32_e32 v20, v10
	v_min_u32_e32 v20, 32, v20
	v_subrev_nc_u32_e32 v23, 28, v20
	v_sub_nc_u32_e32 v20, 29, v20
	v_lshlrev_b64 v[23:24], v23, v[10:11]
	v_and_b32_e32 v23, 7, v23
; %bb.1260:                             ;   in Loop: Header=BB376_934 Depth=1
	s_or_b32 exec_lo, exec_lo, s20
	v_mov_b32_e32 v10, 24
	v_lshl_add_u32 v20, v20, 23, 0x3c000000
	v_lshlrev_b32_sdwa v10, v10, v21 dst_sel:DWORD dst_unused:UNUSED_PAD src0_sel:DWORD src1_sel:BYTE_3
	v_lshlrev_b32_e32 v21, 20, v23
	v_and_b32_e32 v10, 0x80000000, v10
	v_or3_b32 v25, v21, v10, v20
.LBB376_1261:                           ;   in Loop: Header=BB376_934 Depth=1
	s_or_b32 exec_lo, exec_lo, s18
.LBB376_1262:                           ;   in Loop: Header=BB376_934 Depth=1
	s_or_b32 exec_lo, exec_lo, s17
.LBB376_1263:                           ;   in Loop: Header=BB376_934 Depth=1
	s_or_b32 exec_lo, exec_lo, s16
	v_mul_f32_e32 v10, v56, v22
	v_mul_f32_e32 v16, v56, v16
	;; [unrolled: 1-line block ×5, first 2 shown]
	v_bfe_u32 v20, v10, 16, 1
	v_or_b32_e32 v21, 0x400000, v10
	v_bfe_u32 v22, v16, 16, 1
	v_cmp_u_f32_e64 s4, v10, v10
	v_or_b32_e32 v23, 0x400000, v16
	v_add3_u32 v20, v20, v10, 0x7fff
	v_bfe_u32 v24, v13, 16, 1
	v_add3_u32 v22, v22, v16, 0x7fff
	v_or_b32_e32 v27, 0x400000, v13
	v_bfe_u32 v28, v12, 16, 1
	v_cndmask_b32_e64 v10, v20, v21, s4
	v_cmp_u_f32_e64 s4, v16, v16
	v_add3_u32 v24, v24, v13, 0x7fff
	v_or_b32_e32 v20, 0x400000, v12
	v_mul_f32_e32 v4, v56, v4
	v_lshrrev_b32_e32 v91, 16, v10
	v_cndmask_b32_e64 v16, v22, v23, s4
	v_cmp_u_f32_e64 s4, v13, v13
	v_add3_u32 v10, v28, v12, 0x7fff
	v_bfe_u32 v21, v4, 16, 1
	v_lshrrev_b32_e32 v89, 16, v16
	v_cndmask_b32_e64 v13, v24, v27, s4
	v_cmp_u_f32_e64 s4, v12, v12
	v_mul_f32_e32 v12, v56, v26
	v_or_b32_e32 v16, 0x400000, v5
	v_lshrrev_b32_e32 v93, 16, v13
	v_bfe_u32 v13, v5, 16, 1
	v_cndmask_b32_e64 v10, v10, v20, s4
	v_cmp_u_f32_e64 s4, v5, v5
	v_mul_f32_e32 v20, v56, v25
	v_bfe_u32 v22, v12, 16, 1
	v_add3_u32 v13, v13, v5, 0x7fff
	v_or_b32_e32 v23, 0x400000, v12
	v_lshrrev_b32_e32 v94, 16, v10
	v_or_b32_e32 v24, 0x400000, v20
	v_add3_u32 v22, v22, v12, 0x7fff
	v_cndmask_b32_e64 v5, v13, v16, s4
	v_add3_u32 v16, v21, v4, 0x7fff
	v_or_b32_e32 v21, 0x400000, v4
	v_cmp_u_f32_e64 s4, v4, v4
	v_bfe_u32 v13, v20, 16, 1
	v_lshrrev_b32_e32 v104, 16, v5
	v_cndmask_b32_e64 v4, v16, v21, s4
	v_cmp_u_f32_e64 s4, v12, v12
	v_add3_u32 v13, v13, v20, 0x7fff
	v_lshrrev_b32_e32 v95, 16, v4
	v_cndmask_b32_e64 v12, v22, v23, s4
	v_cmp_u_f32_e64 s4, v20, v20
	v_lshrrev_b32_e32 v90, 16, v12
	v_cndmask_b32_e64 v13, v13, v24, s4
	v_lshrrev_b32_e32 v92, 16, v13
	s_and_saveexec_b32 s16, vcc_lo
	s_cbranch_execz .LBB376_1265
; %bb.1264:                             ;   in Loop: Header=BB376_934 Depth=1
	v_cmp_lt_i32_e64 s4, v61, v38
	v_cndmask_b32_e64 v95, 0, v95, s4
	v_cmp_lt_i32_e64 s4, v78, v38
	v_cndmask_b32_e64 v104, 0, v104, s4
	;; [unrolled: 2-line block ×8, first 2 shown]
.LBB376_1265:                           ;   in Loop: Header=BB376_934 Depth=1
	s_or_b32 exec_lo, exec_lo, s16
	flat_load_dwordx2 v[20:21], v[18:19] offset:1280
	v_mov_b32_e32 v4, 0
	v_mov_b32_e32 v12, 0
	s_waitcnt vmcnt(0) lgkmcnt(0)
	v_cmp_ne_u16_sdwa s4, v20, v11 src0_sel:BYTE_0 src1_sel:DWORD
	s_and_saveexec_b32 s16, s4
	s_cbranch_execz .LBB376_1273
; %bb.1266:                             ;   in Loop: Header=BB376_934 Depth=1
	v_cmp_ne_u16_sdwa s4, v20, v80 src0_sel:BYTE_0 src1_sel:DWORD
	v_bfrev_b32_e32 v12, 1
	s_and_saveexec_b32 s17, s4
	s_cbranch_execz .LBB376_1272
; %bb.1267:                             ;   in Loop: Header=BB376_934 Depth=1
	v_and_b32_e32 v10, 0x7f, v20
	v_mov_b32_e32 v12, 0x7f800001
	s_mov_b32 s18, exec_lo
	v_cmpx_ne_u32_e32 0x7f, v10
	s_cbranch_execz .LBB376_1271
; %bb.1268:                             ;   in Loop: Header=BB376_934 Depth=1
	v_mov_b32_e32 v24, v21
	v_lshrrev_b32_e32 v5, 3, v10
	v_mov_b32_e32 v23, v20
	s_mov_b32 s20, exec_lo
	v_cmpx_gt_u32_e32 8, v10
; %bb.1269:                             ;   in Loop: Header=BB376_934 Depth=1
	v_and_b32_e32 v5, 7, v20
	v_ffbh_u32_e32 v5, v5
	v_min_u32_e32 v5, 32, v5
	v_subrev_nc_u32_e32 v10, 28, v5
	v_sub_nc_u32_e32 v5, 29, v5
	v_lshlrev_b64 v[23:24], v10, v[20:21]
; %bb.1270:                             ;   in Loop: Header=BB376_934 Depth=1
	s_or_b32 exec_lo, exec_lo, s20
	v_lshlrev_b32_e32 v10, 20, v23
	v_lshlrev_b32_e32 v12, 24, v20
	v_lshl_add_u32 v5, v5, 23, 0x3c000000
	v_and_b32_e32 v10, 0x700000, v10
	v_and_b32_e32 v12, 0x80000000, v12
	v_or3_b32 v12, v10, v12, v5
.LBB376_1271:                           ;   in Loop: Header=BB376_934 Depth=1
	s_or_b32 exec_lo, exec_lo, s18
.LBB376_1272:                           ;   in Loop: Header=BB376_934 Depth=1
	s_or_b32 exec_lo, exec_lo, s17
.LBB376_1273:                           ;   in Loop: Header=BB376_934 Depth=1
	s_or_b32 exec_lo, exec_lo, s16
	v_cmp_ne_u16_sdwa s4, v20, v11 src0_sel:BYTE_1 src1_sel:DWORD
	s_and_saveexec_b32 s16, s4
	s_cbranch_execz .LBB376_1281
; %bb.1274:                             ;   in Loop: Header=BB376_934 Depth=1
	v_cmp_ne_u16_sdwa s4, v20, v80 src0_sel:BYTE_1 src1_sel:DWORD
	v_bfrev_b32_e32 v4, 1
	s_and_saveexec_b32 s17, s4
	s_cbranch_execz .LBB376_1280
; %bb.1275:                             ;   in Loop: Header=BB376_934 Depth=1
	v_mov_b32_e32 v4, 0xffff
	s_mov_b32 s18, exec_lo
	v_and_b32_sdwa v10, v4, v20 dst_sel:DWORD dst_unused:UNUSED_PAD src0_sel:DWORD src1_sel:BYTE_1
	v_mov_b32_e32 v4, 0x7f800001
	v_and_b32_e32 v5, 0x7f, v10
	v_cmpx_ne_u32_e32 0x7f, v5
	s_cbranch_execz .LBB376_1279
; %bb.1276:                             ;   in Loop: Header=BB376_934 Depth=1
	v_and_b32_e32 v10, 7, v10
	v_mov_b32_e32 v24, v11
	v_lshrrev_b32_e32 v4, 3, v5
	s_mov_b32 s20, exec_lo
	v_mov_b32_e32 v23, v10
	v_cmpx_gt_u32_e32 8, v5
; %bb.1277:                             ;   in Loop: Header=BB376_934 Depth=1
	v_ffbh_u32_e32 v4, v10
	v_min_u32_e32 v4, 32, v4
	v_subrev_nc_u32_e32 v5, 28, v4
	v_sub_nc_u32_e32 v4, 29, v4
	v_lshlrev_b64 v[22:23], v5, v[10:11]
	v_and_b32_e32 v23, 7, v22
; %bb.1278:                             ;   in Loop: Header=BB376_934 Depth=1
	s_or_b32 exec_lo, exec_lo, s20
	v_lshlrev_b32_e32 v5, 16, v20
	v_lshlrev_b32_e32 v10, 20, v23
	v_lshl_add_u32 v4, v4, 23, 0x3c000000
	v_and_b32_e32 v5, 0x80000000, v5
	v_or3_b32 v4, v10, v5, v4
.LBB376_1279:                           ;   in Loop: Header=BB376_934 Depth=1
	s_or_b32 exec_lo, exec_lo, s18
.LBB376_1280:                           ;   in Loop: Header=BB376_934 Depth=1
	s_or_b32 exec_lo, exec_lo, s17
.LBB376_1281:                           ;   in Loop: Header=BB376_934 Depth=1
	s_or_b32 exec_lo, exec_lo, s16
	v_and_b32_sdwa v10, v20, v82 dst_sel:DWORD dst_unused:UNUSED_PAD src0_sel:WORD_1 src1_sel:DWORD
	v_mov_b32_e32 v13, 0
	v_mov_b32_e32 v5, 0
	s_mov_b32 s16, exec_lo
	v_cmpx_ne_u16_e32 0, v10
	s_cbranch_execz .LBB376_1289
; %bb.1282:                             ;   in Loop: Header=BB376_934 Depth=1
	v_bfrev_b32_e32 v5, 1
	s_mov_b32 s17, exec_lo
	v_cmpx_ne_u16_e32 0x80, v10
	s_cbranch_execz .LBB376_1288
; %bb.1283:                             ;   in Loop: Header=BB376_934 Depth=1
	v_bfe_u32 v16, v20, 16, 7
	v_mov_b32_e32 v5, 0x7f800001
	s_mov_b32 s18, exec_lo
	v_cmpx_ne_u32_e32 0x7f, v16
	s_cbranch_execz .LBB376_1287
; %bb.1284:                             ;   in Loop: Header=BB376_934 Depth=1
	v_mov_b32_e32 v5, 7
	s_mov_b32 s20, exec_lo
	v_and_b32_sdwa v10, v20, v5 dst_sel:DWORD dst_unused:UNUSED_PAD src0_sel:WORD_1 src1_sel:DWORD
	v_mov_b32_e32 v24, v11
	v_lshrrev_b32_e32 v5, 3, v16
	v_mov_b32_e32 v23, v10
	v_cmpx_gt_u32_e32 8, v16
; %bb.1285:                             ;   in Loop: Header=BB376_934 Depth=1
	v_ffbh_u32_e32 v5, v10
	v_min_u32_e32 v5, 32, v5
	v_subrev_nc_u32_e32 v16, 28, v5
	v_sub_nc_u32_e32 v5, 29, v5
	v_lshlrev_b64 v[22:23], v16, v[10:11]
	v_and_b32_e32 v23, 7, v22
; %bb.1286:                             ;   in Loop: Header=BB376_934 Depth=1
	s_or_b32 exec_lo, exec_lo, s20
	v_mov_b32_e32 v10, 24
	v_lshlrev_b32_e32 v16, 20, v23
	v_lshl_add_u32 v5, v5, 23, 0x3c000000
	v_lshlrev_b32_sdwa v10, v10, v20 dst_sel:DWORD dst_unused:UNUSED_PAD src0_sel:DWORD src1_sel:WORD_1
	v_and_b32_e32 v10, 0x80000000, v10
	v_or3_b32 v5, v16, v10, v5
.LBB376_1287:                           ;   in Loop: Header=BB376_934 Depth=1
	s_or_b32 exec_lo, exec_lo, s18
.LBB376_1288:                           ;   in Loop: Header=BB376_934 Depth=1
	s_or_b32 exec_lo, exec_lo, s17
.LBB376_1289:                           ;   in Loop: Header=BB376_934 Depth=1
	s_or_b32 exec_lo, exec_lo, s16
	s_mov_b32 s16, exec_lo
	v_cmpx_lt_u32_e32 0xffffff, v20
	s_cbranch_execz .LBB376_1297
; %bb.1290:                             ;   in Loop: Header=BB376_934 Depth=1
	v_cmp_ne_u32_sdwa s4, v20, v80 src0_sel:BYTE_3 src1_sel:DWORD
	v_bfrev_b32_e32 v13, 1
	s_and_saveexec_b32 s17, s4
	s_cbranch_execz .LBB376_1296
; %bb.1291:                             ;   in Loop: Header=BB376_934 Depth=1
	v_bfe_u32 v16, v20, 24, 7
	v_mov_b32_e32 v13, 0x7f800001
	s_mov_b32 s18, exec_lo
	v_cmpx_ne_u32_e32 0x7f, v16
	s_cbranch_execz .LBB376_1295
; %bb.1292:                             ;   in Loop: Header=BB376_934 Depth=1
	v_mov_b32_e32 v10, 7
	v_lshrrev_b32_e32 v13, 3, v16
	s_mov_b32 s20, exec_lo
	v_and_b32_sdwa v10, v20, v10 dst_sel:DWORD dst_unused:UNUSED_PAD src0_sel:BYTE_3 src1_sel:DWORD
	v_mov_b32_e32 v24, v11
	v_mov_b32_e32 v23, v10
	v_cmpx_gt_u32_e32 8, v16
; %bb.1293:                             ;   in Loop: Header=BB376_934 Depth=1
	v_ffbh_u32_e32 v13, v10
	v_min_u32_e32 v13, 32, v13
	v_subrev_nc_u32_e32 v16, 28, v13
	v_sub_nc_u32_e32 v13, 29, v13
	v_lshlrev_b64 v[22:23], v16, v[10:11]
	v_and_b32_e32 v23, 7, v22
; %bb.1294:                             ;   in Loop: Header=BB376_934 Depth=1
	s_or_b32 exec_lo, exec_lo, s20
	v_mov_b32_e32 v10, 24
	v_lshlrev_b32_e32 v16, 20, v23
	v_lshl_add_u32 v13, v13, 23, 0x3c000000
	v_lshlrev_b32_sdwa v10, v10, v20 dst_sel:DWORD dst_unused:UNUSED_PAD src0_sel:DWORD src1_sel:BYTE_3
	v_and_b32_e32 v10, 0x80000000, v10
	v_or3_b32 v13, v16, v10, v13
.LBB376_1295:                           ;   in Loop: Header=BB376_934 Depth=1
	s_or_b32 exec_lo, exec_lo, s18
.LBB376_1296:                           ;   in Loop: Header=BB376_934 Depth=1
	s_or_b32 exec_lo, exec_lo, s17
.LBB376_1297:                           ;   in Loop: Header=BB376_934 Depth=1
	s_or_b32 exec_lo, exec_lo, s16
	v_mov_b32_e32 v10, v21
	v_cmp_ne_u16_sdwa s4, v21, v11 src0_sel:BYTE_0 src1_sel:DWORD
	v_mov_b32_e32 v22, 0
	v_mov_b32_e32 v16, 0
	s_and_saveexec_b32 s16, s4
	s_cbranch_execz .LBB376_1305
; %bb.1298:                             ;   in Loop: Header=BB376_934 Depth=1
	v_cmp_ne_u16_sdwa s4, v21, v80 src0_sel:BYTE_0 src1_sel:DWORD
	v_bfrev_b32_e32 v16, 1
	s_and_saveexec_b32 s17, s4
	s_cbranch_execz .LBB376_1304
; %bb.1299:                             ;   in Loop: Header=BB376_934 Depth=1
	v_and_b32_e32 v23, 0x7f, v21
	v_mov_b32_e32 v16, 0x7f800001
	s_mov_b32 s18, exec_lo
	v_cmpx_ne_u32_e32 0x7f, v23
	s_cbranch_execz .LBB376_1303
; %bb.1300:                             ;   in Loop: Header=BB376_934 Depth=1
	v_lshrrev_b32_e32 v16, 3, v23
	v_cmp_gt_u32_e64 s4, 8, v23
	v_mov_b32_e32 v24, v11
	v_mov_b32_e32 v23, v10
	s_and_saveexec_b32 s20, s4
; %bb.1301:                             ;   in Loop: Header=BB376_934 Depth=1
	v_and_b32_e32 v16, 7, v21
	v_ffbh_u32_e32 v16, v16
	v_min_u32_e32 v16, 32, v16
	v_subrev_nc_u32_e32 v23, 28, v16
	v_sub_nc_u32_e32 v16, 29, v16
	v_lshlrev_b64 v[23:24], v23, v[10:11]
; %bb.1302:                             ;   in Loop: Header=BB376_934 Depth=1
	s_or_b32 exec_lo, exec_lo, s20
	v_lshlrev_b32_e32 v23, 20, v23
	v_lshlrev_b32_e32 v24, 24, v10
	v_lshl_add_u32 v16, v16, 23, 0x3c000000
	v_and_b32_e32 v23, 0x700000, v23
	v_and_b32_e32 v24, 0x80000000, v24
	v_or3_b32 v16, v23, v24, v16
.LBB376_1303:                           ;   in Loop: Header=BB376_934 Depth=1
	s_or_b32 exec_lo, exec_lo, s18
.LBB376_1304:                           ;   in Loop: Header=BB376_934 Depth=1
	s_or_b32 exec_lo, exec_lo, s17
.LBB376_1305:                           ;   in Loop: Header=BB376_934 Depth=1
	s_or_b32 exec_lo, exec_lo, s16
	v_cmp_ne_u16_sdwa s4, v10, v11 src0_sel:BYTE_1 src1_sel:DWORD
	s_and_saveexec_b32 s16, s4
	s_cbranch_execz .LBB376_1313
; %bb.1306:                             ;   in Loop: Header=BB376_934 Depth=1
	v_cmp_ne_u16_sdwa s4, v10, v80 src0_sel:BYTE_1 src1_sel:DWORD
	v_bfrev_b32_e32 v22, 1
	s_and_saveexec_b32 s17, s4
	s_cbranch_execz .LBB376_1312
; %bb.1307:                             ;   in Loop: Header=BB376_934 Depth=1
	v_mov_b32_e32 v22, 0xffff
	s_mov_b32 s18, exec_lo
	v_and_b32_sdwa v23, v22, v10 dst_sel:DWORD dst_unused:UNUSED_PAD src0_sel:DWORD src1_sel:BYTE_1
	v_mov_b32_e32 v22, 0x7f800001
	v_and_b32_e32 v25, 0x7f, v23
	v_cmpx_ne_u32_e32 0x7f, v25
	s_cbranch_execz .LBB376_1311
; %bb.1308:                             ;   in Loop: Header=BB376_934 Depth=1
	v_and_b32_e32 v23, 7, v23
	v_mov_b32_e32 v24, v11
	v_lshrrev_b32_e32 v22, 3, v25
	s_mov_b32 s20, exec_lo
	v_cmpx_gt_u32_e32 8, v25
; %bb.1309:                             ;   in Loop: Header=BB376_934 Depth=1
	v_ffbh_u32_e32 v22, v23
	v_min_u32_e32 v22, 32, v22
	v_subrev_nc_u32_e32 v25, 28, v22
	v_sub_nc_u32_e32 v22, 29, v22
	v_lshlrev_b64 v[23:24], v25, v[23:24]
	v_and_b32_e32 v23, 7, v23
; %bb.1310:                             ;   in Loop: Header=BB376_934 Depth=1
	s_or_b32 exec_lo, exec_lo, s20
	v_lshlrev_b32_e32 v10, 16, v10
	v_lshlrev_b32_e32 v23, 20, v23
	v_lshl_add_u32 v22, v22, 23, 0x3c000000
	v_and_b32_e32 v10, 0x80000000, v10
	v_or3_b32 v22, v23, v10, v22
.LBB376_1311:                           ;   in Loop: Header=BB376_934 Depth=1
	s_or_b32 exec_lo, exec_lo, s18
.LBB376_1312:                           ;   in Loop: Header=BB376_934 Depth=1
	s_or_b32 exec_lo, exec_lo, s17
.LBB376_1313:                           ;   in Loop: Header=BB376_934 Depth=1
	s_or_b32 exec_lo, exec_lo, s16
	v_and_b32_sdwa v10, v21, v82 dst_sel:DWORD dst_unused:UNUSED_PAD src0_sel:WORD_1 src1_sel:DWORD
	v_mov_b32_e32 v25, 0
	v_mov_b32_e32 v26, 0
	s_mov_b32 s16, exec_lo
	v_cmpx_ne_u16_e32 0, v10
	s_cbranch_execz .LBB376_1321
; %bb.1314:                             ;   in Loop: Header=BB376_934 Depth=1
	v_bfrev_b32_e32 v26, 1
	s_mov_b32 s17, exec_lo
	v_cmpx_ne_u16_e32 0x80, v10
	s_cbranch_execz .LBB376_1320
; %bb.1315:                             ;   in Loop: Header=BB376_934 Depth=1
	v_bfe_u32 v23, v21, 16, 7
	v_mov_b32_e32 v26, 0x7f800001
	s_mov_b32 s18, exec_lo
	v_cmpx_ne_u32_e32 0x7f, v23
	s_cbranch_execz .LBB376_1319
; %bb.1316:                             ;   in Loop: Header=BB376_934 Depth=1
	v_mov_b32_e32 v10, 7
	v_lshrrev_b32_e32 v26, 3, v23
	v_cmp_gt_u32_e64 s4, 8, v23
	v_and_b32_sdwa v10, v21, v10 dst_sel:DWORD dst_unused:UNUSED_PAD src0_sel:WORD_1 src1_sel:DWORD
	v_mov_b32_e32 v24, v11
	v_mov_b32_e32 v23, v10
	s_and_saveexec_b32 s20, s4
; %bb.1317:                             ;   in Loop: Header=BB376_934 Depth=1
	v_ffbh_u32_e32 v23, v10
	v_min_u32_e32 v26, 32, v23
	v_subrev_nc_u32_e32 v23, 28, v26
	v_sub_nc_u32_e32 v26, 29, v26
	v_lshlrev_b64 v[23:24], v23, v[10:11]
	v_and_b32_e32 v23, 7, v23
; %bb.1318:                             ;   in Loop: Header=BB376_934 Depth=1
	s_or_b32 exec_lo, exec_lo, s20
	v_mov_b32_e32 v10, 24
	v_lshlrev_b32_e32 v23, 20, v23
	v_lshl_add_u32 v24, v26, 23, 0x3c000000
	v_lshlrev_b32_sdwa v10, v10, v21 dst_sel:DWORD dst_unused:UNUSED_PAD src0_sel:DWORD src1_sel:WORD_1
	v_and_b32_e32 v10, 0x80000000, v10
	v_or3_b32 v26, v23, v10, v24
.LBB376_1319:                           ;   in Loop: Header=BB376_934 Depth=1
	s_or_b32 exec_lo, exec_lo, s18
.LBB376_1320:                           ;   in Loop: Header=BB376_934 Depth=1
	s_or_b32 exec_lo, exec_lo, s17
.LBB376_1321:                           ;   in Loop: Header=BB376_934 Depth=1
	s_or_b32 exec_lo, exec_lo, s16
	s_mov_b32 s16, exec_lo
	v_cmpx_lt_u64_e64 s[12:13], v[20:21]
	s_cbranch_execz .LBB376_1329
; %bb.1322:                             ;   in Loop: Header=BB376_934 Depth=1
	v_cmp_ne_u32_sdwa s4, v21, v80 src0_sel:BYTE_3 src1_sel:DWORD
	v_bfrev_b32_e32 v25, 1
	s_and_saveexec_b32 s17, s4
	s_cbranch_execz .LBB376_1328
; %bb.1323:                             ;   in Loop: Header=BB376_934 Depth=1
	v_bfe_u32 v23, v21, 24, 7
	v_mov_b32_e32 v25, 0x7f800001
	s_mov_b32 s18, exec_lo
	v_cmpx_ne_u32_e32 0x7f, v23
	s_cbranch_execz .LBB376_1327
; %bb.1324:                             ;   in Loop: Header=BB376_934 Depth=1
	v_mov_b32_e32 v10, 7
	v_lshrrev_b32_e32 v20, 3, v23
	v_cmp_gt_u32_e64 s4, 8, v23
	v_and_b32_sdwa v10, v21, v10 dst_sel:DWORD dst_unused:UNUSED_PAD src0_sel:BYTE_3 src1_sel:DWORD
	v_mov_b32_e32 v24, v11
	v_mov_b32_e32 v23, v10
	s_and_saveexec_b32 s20, s4
; %bb.1325:                             ;   in Loop: Header=BB376_934 Depth=1
	v_ffbh_u32_e32 v20, v10
	v_min_u32_e32 v20, 32, v20
	v_subrev_nc_u32_e32 v23, 28, v20
	v_sub_nc_u32_e32 v20, 29, v20
	v_lshlrev_b64 v[23:24], v23, v[10:11]
	v_and_b32_e32 v23, 7, v23
; %bb.1326:                             ;   in Loop: Header=BB376_934 Depth=1
	s_or_b32 exec_lo, exec_lo, s20
	v_mov_b32_e32 v10, 24
	v_lshl_add_u32 v20, v20, 23, 0x3c000000
	v_lshlrev_b32_sdwa v10, v10, v21 dst_sel:DWORD dst_unused:UNUSED_PAD src0_sel:DWORD src1_sel:BYTE_3
	v_lshlrev_b32_e32 v21, 20, v23
	v_and_b32_e32 v10, 0x80000000, v10
	v_or3_b32 v25, v21, v10, v20
.LBB376_1327:                           ;   in Loop: Header=BB376_934 Depth=1
	s_or_b32 exec_lo, exec_lo, s18
.LBB376_1328:                           ;   in Loop: Header=BB376_934 Depth=1
	s_or_b32 exec_lo, exec_lo, s17
.LBB376_1329:                           ;   in Loop: Header=BB376_934 Depth=1
	s_or_b32 exec_lo, exec_lo, s16
	v_mul_f32_e32 v10, v56, v22
	v_mul_f32_e32 v16, v56, v16
	;; [unrolled: 1-line block ×5, first 2 shown]
	v_bfe_u32 v5, v10, 16, 1
	v_or_b32_e32 v21, 0x400000, v10
	v_bfe_u32 v22, v16, 16, 1
	v_cmp_u_f32_e64 s4, v10, v10
	v_or_b32_e32 v23, 0x400000, v16
	v_add3_u32 v5, v5, v10, 0x7fff
	v_bfe_u32 v24, v13, 16, 1
	v_add3_u32 v22, v22, v16, 0x7fff
	v_or_b32_e32 v27, 0x400000, v13
	v_bfe_u32 v28, v20, 16, 1
	v_cndmask_b32_e64 v5, v5, v21, s4
	v_cmp_u_f32_e64 s4, v16, v16
	v_add3_u32 v24, v24, v13, 0x7fff
	v_mul_f32_e32 v16, v56, v4
	v_add3_u32 v21, v28, v20, 0x7fff
	v_lshrrev_b32_e32 v5, 16, v5
	v_cndmask_b32_e64 v10, v22, v23, s4
	v_cmp_u_f32_e64 s4, v13, v13
	v_or_b32_e32 v22, 0x400000, v20
	v_bfe_u32 v23, v12, 16, 1
	v_lshrrev_b32_e32 v4, 16, v10
	v_cndmask_b32_e64 v13, v24, v27, s4
	v_bfe_u32 v10, v16, 16, 1
	v_cmp_u_f32_e64 s4, v20, v20
	v_mul_f32_e32 v20, v56, v26
	v_lshrrev_b32_e32 v27, 16, v13
	v_add3_u32 v10, v10, v16, 0x7fff
	v_cndmask_b32_e64 v13, v21, v22, s4
	v_or_b32_e32 v21, 0x400000, v16
	v_cmp_u_f32_e64 s4, v16, v16
	v_mul_f32_e32 v22, v56, v25
	v_bfe_u32 v24, v20, 16, 1
	v_or_b32_e32 v25, 0x400000, v20
	v_lshrrev_b32_e32 v37, 16, v13
	v_cndmask_b32_e64 v10, v10, v21, s4
	v_add3_u32 v21, v23, v12, 0x7fff
	v_or_b32_e32 v23, 0x400000, v12
	v_cmp_u_f32_e64 s4, v12, v12
	v_bfe_u32 v16, v22, 16, 1
	v_add3_u32 v24, v24, v20, 0x7fff
	v_or_b32_e32 v26, 0x400000, v22
	v_lshrrev_b32_e32 v48, 16, v10
	v_cndmask_b32_e64 v12, v21, v23, s4
	v_cmp_u_f32_e64 s4, v20, v20
	v_add3_u32 v16, v16, v22, 0x7fff
	v_lshrrev_b32_e32 v39, 16, v12
	v_cndmask_b32_e64 v20, v24, v25, s4
	v_cmp_u_f32_e64 s4, v22, v22
	v_lshrrev_b32_e32 v22, 16, v20
	v_cndmask_b32_e64 v16, v16, v26, s4
	v_lshrrev_b32_e32 v26, 16, v16
	s_and_saveexec_b32 s16, vcc_lo
	s_cbranch_execz .LBB376_1331
; %bb.1330:                             ;   in Loop: Header=BB376_934 Depth=1
	v_cmp_lt_i32_e64 s4, v61, v38
	v_cndmask_b32_e64 v39, 0, v39, s4
	v_cmp_lt_i32_e64 s4, v78, v38
	v_cndmask_b32_e64 v48, 0, v48, s4
	;; [unrolled: 2-line block ×8, first 2 shown]
.LBB376_1331:                           ;   in Loop: Header=BB376_934 Depth=1
	s_or_b32 exec_lo, exec_lo, s16
	flat_load_dwordx2 v[20:21], v[18:19] offset:1536
	v_mov_b32_e32 v13, 0
	v_mov_b32_e32 v12, 0
	s_waitcnt vmcnt(0) lgkmcnt(0)
	v_cmp_ne_u16_sdwa s4, v20, v11 src0_sel:BYTE_0 src1_sel:DWORD
	s_and_saveexec_b32 s16, s4
	s_cbranch_execz .LBB376_1339
; %bb.1332:                             ;   in Loop: Header=BB376_934 Depth=1
	v_cmp_ne_u16_sdwa s4, v20, v80 src0_sel:BYTE_0 src1_sel:DWORD
	v_bfrev_b32_e32 v12, 1
	s_and_saveexec_b32 s17, s4
	s_cbranch_execz .LBB376_1338
; %bb.1333:                             ;   in Loop: Header=BB376_934 Depth=1
	v_and_b32_e32 v16, 0x7f, v20
	v_mov_b32_e32 v12, 0x7f800001
	s_mov_b32 s18, exec_lo
	v_cmpx_ne_u32_e32 0x7f, v16
	s_cbranch_execz .LBB376_1337
; %bb.1334:                             ;   in Loop: Header=BB376_934 Depth=1
	v_mov_b32_e32 v24, v21
	v_lshrrev_b32_e32 v10, 3, v16
	v_mov_b32_e32 v23, v20
	s_mov_b32 s20, exec_lo
	v_cmpx_gt_u32_e32 8, v16
; %bb.1335:                             ;   in Loop: Header=BB376_934 Depth=1
	v_and_b32_e32 v10, 7, v20
	v_ffbh_u32_e32 v10, v10
	v_min_u32_e32 v10, 32, v10
	v_subrev_nc_u32_e32 v12, 28, v10
	v_sub_nc_u32_e32 v10, 29, v10
	v_lshlrev_b64 v[23:24], v12, v[20:21]
; %bb.1336:                             ;   in Loop: Header=BB376_934 Depth=1
	s_or_b32 exec_lo, exec_lo, s20
	v_lshlrev_b32_e32 v12, 20, v23
	v_lshlrev_b32_e32 v16, 24, v20
	v_lshl_add_u32 v10, v10, 23, 0x3c000000
	v_and_b32_e32 v12, 0x700000, v12
	v_and_b32_e32 v16, 0x80000000, v16
	v_or3_b32 v12, v12, v16, v10
.LBB376_1337:                           ;   in Loop: Header=BB376_934 Depth=1
	s_or_b32 exec_lo, exec_lo, s18
.LBB376_1338:                           ;   in Loop: Header=BB376_934 Depth=1
	s_or_b32 exec_lo, exec_lo, s17
.LBB376_1339:                           ;   in Loop: Header=BB376_934 Depth=1
	s_or_b32 exec_lo, exec_lo, s16
	v_cmp_ne_u16_sdwa s4, v20, v11 src0_sel:BYTE_1 src1_sel:DWORD
	s_and_saveexec_b32 s16, s4
	s_cbranch_execz .LBB376_1347
; %bb.1340:                             ;   in Loop: Header=BB376_934 Depth=1
	v_cmp_ne_u16_sdwa s4, v20, v80 src0_sel:BYTE_1 src1_sel:DWORD
	v_bfrev_b32_e32 v13, 1
	s_and_saveexec_b32 s17, s4
	s_cbranch_execz .LBB376_1346
; %bb.1341:                             ;   in Loop: Header=BB376_934 Depth=1
	v_mov_b32_e32 v10, 0xffff
	v_mov_b32_e32 v13, 0x7f800001
	s_mov_b32 s18, exec_lo
	v_and_b32_sdwa v10, v10, v20 dst_sel:DWORD dst_unused:UNUSED_PAD src0_sel:DWORD src1_sel:BYTE_1
	v_and_b32_e32 v16, 0x7f, v10
	v_cmpx_ne_u32_e32 0x7f, v16
	s_cbranch_execz .LBB376_1345
; %bb.1342:                             ;   in Loop: Header=BB376_934 Depth=1
	v_and_b32_e32 v10, 7, v10
	v_mov_b32_e32 v24, v11
	v_lshrrev_b32_e32 v13, 3, v16
	s_mov_b32 s20, exec_lo
	v_mov_b32_e32 v23, v10
	v_cmpx_gt_u32_e32 8, v16
; %bb.1343:                             ;   in Loop: Header=BB376_934 Depth=1
	v_ffbh_u32_e32 v13, v10
	v_min_u32_e32 v13, 32, v13
	v_subrev_nc_u32_e32 v16, 28, v13
	v_sub_nc_u32_e32 v13, 29, v13
	v_lshlrev_b64 v[23:24], v16, v[10:11]
	v_and_b32_e32 v23, 7, v23
; %bb.1344:                             ;   in Loop: Header=BB376_934 Depth=1
	s_or_b32 exec_lo, exec_lo, s20
	v_lshlrev_b32_e32 v10, 16, v20
	v_lshlrev_b32_e32 v16, 20, v23
	v_lshl_add_u32 v13, v13, 23, 0x3c000000
	v_and_b32_e32 v10, 0x80000000, v10
	v_or3_b32 v13, v16, v10, v13
.LBB376_1345:                           ;   in Loop: Header=BB376_934 Depth=1
	s_or_b32 exec_lo, exec_lo, s18
.LBB376_1346:                           ;   in Loop: Header=BB376_934 Depth=1
	s_or_b32 exec_lo, exec_lo, s17
.LBB376_1347:                           ;   in Loop: Header=BB376_934 Depth=1
	s_or_b32 exec_lo, exec_lo, s16
	v_and_b32_sdwa v10, v20, v82 dst_sel:DWORD dst_unused:UNUSED_PAD src0_sel:WORD_1 src1_sel:DWORD
	v_mov_b32_e32 v25, 0
	v_mov_b32_e32 v16, 0
	s_mov_b32 s16, exec_lo
	v_cmpx_ne_u16_e32 0, v10
	s_cbranch_execz .LBB376_1355
; %bb.1348:                             ;   in Loop: Header=BB376_934 Depth=1
	v_bfrev_b32_e32 v16, 1
	s_mov_b32 s17, exec_lo
	v_cmpx_ne_u16_e32 0x80, v10
	s_cbranch_execz .LBB376_1354
; %bb.1349:                             ;   in Loop: Header=BB376_934 Depth=1
	v_bfe_u32 v23, v20, 16, 7
	v_mov_b32_e32 v16, 0x7f800001
	s_mov_b32 s18, exec_lo
	v_cmpx_ne_u32_e32 0x7f, v23
	s_cbranch_execz .LBB376_1353
; %bb.1350:                             ;   in Loop: Header=BB376_934 Depth=1
	v_mov_b32_e32 v10, 7
	v_lshrrev_b32_e32 v16, 3, v23
	v_cmp_gt_u32_e64 s4, 8, v23
	v_and_b32_sdwa v10, v20, v10 dst_sel:DWORD dst_unused:UNUSED_PAD src0_sel:WORD_1 src1_sel:DWORD
	v_mov_b32_e32 v24, v11
	v_mov_b32_e32 v23, v10
	s_and_saveexec_b32 s20, s4
; %bb.1351:                             ;   in Loop: Header=BB376_934 Depth=1
	v_ffbh_u32_e32 v16, v10
	v_min_u32_e32 v16, 32, v16
	v_subrev_nc_u32_e32 v23, 28, v16
	v_sub_nc_u32_e32 v16, 29, v16
	v_lshlrev_b64 v[23:24], v23, v[10:11]
	v_and_b32_e32 v23, 7, v23
; %bb.1352:                             ;   in Loop: Header=BB376_934 Depth=1
	s_or_b32 exec_lo, exec_lo, s20
	v_mov_b32_e32 v10, 24
	v_lshlrev_b32_e32 v23, 20, v23
	v_lshl_add_u32 v16, v16, 23, 0x3c000000
	v_lshlrev_b32_sdwa v10, v10, v20 dst_sel:DWORD dst_unused:UNUSED_PAD src0_sel:DWORD src1_sel:WORD_1
	v_and_b32_e32 v10, 0x80000000, v10
	v_or3_b32 v16, v23, v10, v16
.LBB376_1353:                           ;   in Loop: Header=BB376_934 Depth=1
	s_or_b32 exec_lo, exec_lo, s18
.LBB376_1354:                           ;   in Loop: Header=BB376_934 Depth=1
	s_or_b32 exec_lo, exec_lo, s17
.LBB376_1355:                           ;   in Loop: Header=BB376_934 Depth=1
	s_or_b32 exec_lo, exec_lo, s16
	s_mov_b32 s16, exec_lo
	v_cmpx_lt_u32_e32 0xffffff, v20
	s_cbranch_execz .LBB376_1363
; %bb.1356:                             ;   in Loop: Header=BB376_934 Depth=1
	v_cmp_ne_u32_sdwa s4, v20, v80 src0_sel:BYTE_3 src1_sel:DWORD
	v_bfrev_b32_e32 v25, 1
	s_and_saveexec_b32 s17, s4
	s_cbranch_execz .LBB376_1362
; %bb.1357:                             ;   in Loop: Header=BB376_934 Depth=1
	v_bfe_u32 v23, v20, 24, 7
	v_mov_b32_e32 v25, 0x7f800001
	s_mov_b32 s18, exec_lo
	v_cmpx_ne_u32_e32 0x7f, v23
	s_cbranch_execz .LBB376_1361
; %bb.1358:                             ;   in Loop: Header=BB376_934 Depth=1
	v_mov_b32_e32 v10, 7
	v_lshrrev_b32_e32 v25, 3, v23
	v_cmp_gt_u32_e64 s4, 8, v23
	v_and_b32_sdwa v10, v20, v10 dst_sel:DWORD dst_unused:UNUSED_PAD src0_sel:BYTE_3 src1_sel:DWORD
	v_mov_b32_e32 v24, v11
	v_mov_b32_e32 v23, v10
	s_and_saveexec_b32 s20, s4
; %bb.1359:                             ;   in Loop: Header=BB376_934 Depth=1
	v_ffbh_u32_e32 v23, v10
	v_min_u32_e32 v25, 32, v23
	v_subrev_nc_u32_e32 v23, 28, v25
	v_sub_nc_u32_e32 v25, 29, v25
	v_lshlrev_b64 v[23:24], v23, v[10:11]
	v_and_b32_e32 v23, 7, v23
; %bb.1360:                             ;   in Loop: Header=BB376_934 Depth=1
	s_or_b32 exec_lo, exec_lo, s20
	v_mov_b32_e32 v10, 24
	v_lshlrev_b32_e32 v23, 20, v23
	v_lshl_add_u32 v24, v25, 23, 0x3c000000
	v_lshlrev_b32_sdwa v10, v10, v20 dst_sel:DWORD dst_unused:UNUSED_PAD src0_sel:DWORD src1_sel:BYTE_3
	v_and_b32_e32 v10, 0x80000000, v10
	v_or3_b32 v25, v23, v10, v24
.LBB376_1361:                           ;   in Loop: Header=BB376_934 Depth=1
	s_or_b32 exec_lo, exec_lo, s18
.LBB376_1362:                           ;   in Loop: Header=BB376_934 Depth=1
	s_or_b32 exec_lo, exec_lo, s17
.LBB376_1363:                           ;   in Loop: Header=BB376_934 Depth=1
	s_or_b32 exec_lo, exec_lo, s16
	v_mov_b32_e32 v10, v21
	v_cmp_ne_u16_sdwa s4, v21, v11 src0_sel:BYTE_0 src1_sel:DWORD
	v_mov_b32_e32 v32, 0
	v_mov_b32_e32 v31, 0
	s_and_saveexec_b32 s16, s4
	s_cbranch_execz .LBB376_1371
; %bb.1364:                             ;   in Loop: Header=BB376_934 Depth=1
	v_cmp_ne_u16_sdwa s4, v21, v80 src0_sel:BYTE_0 src1_sel:DWORD
	v_bfrev_b32_e32 v31, 1
	s_and_saveexec_b32 s17, s4
	s_cbranch_execz .LBB376_1370
; %bb.1365:                             ;   in Loop: Header=BB376_934 Depth=1
	v_and_b32_e32 v23, 0x7f, v21
	v_mov_b32_e32 v31, 0x7f800001
	s_mov_b32 s18, exec_lo
	v_cmpx_ne_u32_e32 0x7f, v23
	s_cbranch_execz .LBB376_1369
; %bb.1366:                             ;   in Loop: Header=BB376_934 Depth=1
	v_lshrrev_b32_e32 v28, 3, v23
	v_cmp_gt_u32_e64 s4, 8, v23
	v_mov_b32_e32 v24, v11
	v_mov_b32_e32 v23, v10
	s_and_saveexec_b32 s20, s4
; %bb.1367:                             ;   in Loop: Header=BB376_934 Depth=1
	v_and_b32_e32 v23, 7, v21
	v_ffbh_u32_e32 v23, v23
	v_min_u32_e32 v28, 32, v23
	v_subrev_nc_u32_e32 v23, 28, v28
	v_sub_nc_u32_e32 v28, 29, v28
	v_lshlrev_b64 v[23:24], v23, v[10:11]
; %bb.1368:                             ;   in Loop: Header=BB376_934 Depth=1
	s_or_b32 exec_lo, exec_lo, s20
	v_lshlrev_b32_e32 v23, 20, v23
	v_lshlrev_b32_e32 v24, 24, v10
	v_lshl_add_u32 v28, v28, 23, 0x3c000000
	v_and_b32_e32 v23, 0x700000, v23
	v_and_b32_e32 v24, 0x80000000, v24
	v_or3_b32 v31, v23, v24, v28
.LBB376_1369:                           ;   in Loop: Header=BB376_934 Depth=1
	s_or_b32 exec_lo, exec_lo, s18
.LBB376_1370:                           ;   in Loop: Header=BB376_934 Depth=1
	s_or_b32 exec_lo, exec_lo, s17
.LBB376_1371:                           ;   in Loop: Header=BB376_934 Depth=1
	s_or_b32 exec_lo, exec_lo, s16
	v_cmp_ne_u16_sdwa s4, v10, v11 src0_sel:BYTE_1 src1_sel:DWORD
	s_and_saveexec_b32 s16, s4
	s_cbranch_execz .LBB376_1379
; %bb.1372:                             ;   in Loop: Header=BB376_934 Depth=1
	v_cmp_ne_u16_sdwa s4, v10, v80 src0_sel:BYTE_1 src1_sel:DWORD
	v_bfrev_b32_e32 v32, 1
	s_and_saveexec_b32 s17, s4
	s_cbranch_execz .LBB376_1378
; %bb.1373:                             ;   in Loop: Header=BB376_934 Depth=1
	v_mov_b32_e32 v23, 0xffff
	v_mov_b32_e32 v32, 0x7f800001
	s_mov_b32 s18, exec_lo
	v_and_b32_sdwa v23, v23, v10 dst_sel:DWORD dst_unused:UNUSED_PAD src0_sel:DWORD src1_sel:BYTE_1
	v_and_b32_e32 v29, 0x7f, v23
	v_cmpx_ne_u32_e32 0x7f, v29
	s_cbranch_execz .LBB376_1377
; %bb.1374:                             ;   in Loop: Header=BB376_934 Depth=1
	v_and_b32_e32 v23, 7, v23
	v_mov_b32_e32 v24, v11
	v_lshrrev_b32_e32 v28, 3, v29
	s_mov_b32 s20, exec_lo
	v_cmpx_gt_u32_e32 8, v29
; %bb.1375:                             ;   in Loop: Header=BB376_934 Depth=1
	v_ffbh_u32_e32 v28, v23
	v_min_u32_e32 v28, 32, v28
	v_subrev_nc_u32_e32 v29, 28, v28
	v_sub_nc_u32_e32 v28, 29, v28
	v_lshlrev_b64 v[23:24], v29, v[23:24]
	v_and_b32_e32 v23, 7, v23
; %bb.1376:                             ;   in Loop: Header=BB376_934 Depth=1
	s_or_b32 exec_lo, exec_lo, s20
	v_lshlrev_b32_e32 v10, 16, v10
	v_lshlrev_b32_e32 v23, 20, v23
	v_lshl_add_u32 v24, v28, 23, 0x3c000000
	v_and_b32_e32 v10, 0x80000000, v10
	v_or3_b32 v32, v23, v10, v24
.LBB376_1377:                           ;   in Loop: Header=BB376_934 Depth=1
	s_or_b32 exec_lo, exec_lo, s18
.LBB376_1378:                           ;   in Loop: Header=BB376_934 Depth=1
	s_or_b32 exec_lo, exec_lo, s17
.LBB376_1379:                           ;   in Loop: Header=BB376_934 Depth=1
	s_or_b32 exec_lo, exec_lo, s16
	v_and_b32_sdwa v10, v21, v82 dst_sel:DWORD dst_unused:UNUSED_PAD src0_sel:WORD_1 src1_sel:DWORD
	v_mov_b32_e32 v28, 0
	v_mov_b32_e32 v29, 0
	s_mov_b32 s16, exec_lo
	v_cmpx_ne_u16_e32 0, v10
	s_cbranch_execz .LBB376_1387
; %bb.1380:                             ;   in Loop: Header=BB376_934 Depth=1
	v_bfrev_b32_e32 v29, 1
	s_mov_b32 s17, exec_lo
	v_cmpx_ne_u16_e32 0x80, v10
	s_cbranch_execz .LBB376_1386
; %bb.1381:                             ;   in Loop: Header=BB376_934 Depth=1
	v_bfe_u32 v23, v21, 16, 7
	v_mov_b32_e32 v29, 0x7f800001
	s_mov_b32 s18, exec_lo
	v_cmpx_ne_u32_e32 0x7f, v23
	s_cbranch_execz .LBB376_1385
; %bb.1382:                             ;   in Loop: Header=BB376_934 Depth=1
	v_mov_b32_e32 v10, 7
	v_lshrrev_b32_e32 v29, 3, v23
	v_cmp_gt_u32_e64 s4, 8, v23
	v_and_b32_sdwa v10, v21, v10 dst_sel:DWORD dst_unused:UNUSED_PAD src0_sel:WORD_1 src1_sel:DWORD
	v_mov_b32_e32 v24, v11
	v_mov_b32_e32 v23, v10
	s_and_saveexec_b32 s20, s4
; %bb.1383:                             ;   in Loop: Header=BB376_934 Depth=1
	v_ffbh_u32_e32 v23, v10
	v_min_u32_e32 v29, 32, v23
	v_subrev_nc_u32_e32 v23, 28, v29
	v_sub_nc_u32_e32 v29, 29, v29
	v_lshlrev_b64 v[23:24], v23, v[10:11]
	v_and_b32_e32 v23, 7, v23
; %bb.1384:                             ;   in Loop: Header=BB376_934 Depth=1
	s_or_b32 exec_lo, exec_lo, s20
	v_mov_b32_e32 v10, 24
	v_lshlrev_b32_e32 v23, 20, v23
	v_lshl_add_u32 v24, v29, 23, 0x3c000000
	v_lshlrev_b32_sdwa v10, v10, v21 dst_sel:DWORD dst_unused:UNUSED_PAD src0_sel:DWORD src1_sel:WORD_1
	v_and_b32_e32 v10, 0x80000000, v10
	v_or3_b32 v29, v23, v10, v24
.LBB376_1385:                           ;   in Loop: Header=BB376_934 Depth=1
	s_or_b32 exec_lo, exec_lo, s18
.LBB376_1386:                           ;   in Loop: Header=BB376_934 Depth=1
	s_or_b32 exec_lo, exec_lo, s17
.LBB376_1387:                           ;   in Loop: Header=BB376_934 Depth=1
	s_or_b32 exec_lo, exec_lo, s16
	s_mov_b32 s16, exec_lo
	v_cmpx_lt_u64_e64 s[12:13], v[20:21]
	s_cbranch_execz .LBB376_1395
; %bb.1388:                             ;   in Loop: Header=BB376_934 Depth=1
	v_cmp_ne_u32_sdwa s4, v21, v80 src0_sel:BYTE_3 src1_sel:DWORD
	v_bfrev_b32_e32 v28, 1
	s_and_saveexec_b32 s17, s4
	s_cbranch_execz .LBB376_1394
; %bb.1389:                             ;   in Loop: Header=BB376_934 Depth=1
	v_bfe_u32 v23, v21, 24, 7
	v_mov_b32_e32 v28, 0x7f800001
	s_mov_b32 s18, exec_lo
	v_cmpx_ne_u32_e32 0x7f, v23
	s_cbranch_execz .LBB376_1393
; %bb.1390:                             ;   in Loop: Header=BB376_934 Depth=1
	v_mov_b32_e32 v10, 7
	v_lshrrev_b32_e32 v20, 3, v23
	v_cmp_gt_u32_e64 s4, 8, v23
	v_and_b32_sdwa v10, v21, v10 dst_sel:DWORD dst_unused:UNUSED_PAD src0_sel:BYTE_3 src1_sel:DWORD
	v_mov_b32_e32 v24, v11
	v_mov_b32_e32 v23, v10
	s_and_saveexec_b32 s20, s4
; %bb.1391:                             ;   in Loop: Header=BB376_934 Depth=1
	v_ffbh_u32_e32 v20, v10
	v_min_u32_e32 v20, 32, v20
	v_subrev_nc_u32_e32 v23, 28, v20
	v_sub_nc_u32_e32 v20, 29, v20
	v_lshlrev_b64 v[23:24], v23, v[10:11]
	v_and_b32_e32 v23, 7, v23
; %bb.1392:                             ;   in Loop: Header=BB376_934 Depth=1
	s_or_b32 exec_lo, exec_lo, s20
	v_mov_b32_e32 v10, 24
	v_lshl_add_u32 v20, v20, 23, 0x3c000000
	v_lshlrev_b32_sdwa v10, v10, v21 dst_sel:DWORD dst_unused:UNUSED_PAD src0_sel:DWORD src1_sel:BYTE_3
	v_lshlrev_b32_e32 v21, 20, v23
	v_and_b32_e32 v10, 0x80000000, v10
	v_or3_b32 v28, v21, v10, v20
.LBB376_1393:                           ;   in Loop: Header=BB376_934 Depth=1
	s_or_b32 exec_lo, exec_lo, s18
.LBB376_1394:                           ;   in Loop: Header=BB376_934 Depth=1
	s_or_b32 exec_lo, exec_lo, s17
.LBB376_1395:                           ;   in Loop: Header=BB376_934 Depth=1
	s_or_b32 exec_lo, exec_lo, s16
	v_mul_f32_e32 v10, v56, v32
	v_bfe_u32 v20, v10, 16, 1
	v_or_b32_e32 v21, 0x400000, v10
	v_cmp_u_f32_e64 s4, v10, v10
	v_add3_u32 v20, v20, v10, 0x7fff
	v_cndmask_b32_e64 v10, v20, v21, s4
	v_lshrrev_b32_e32 v105, 16, v10
	v_mul_f32_e32 v10, v56, v31
	v_bfe_u32 v20, v10, 16, 1
	v_or_b32_e32 v21, 0x400000, v10
	v_cmp_u_f32_e64 s4, v10, v10
	v_add3_u32 v20, v20, v10, 0x7fff
	v_cndmask_b32_e64 v10, v20, v21, s4
	v_lshrrev_b32_e32 v106, 16, v10
	;; [unrolled: 7-line block ×8, first 2 shown]
	s_and_saveexec_b32 s16, vcc_lo
	s_cbranch_execz .LBB376_1397
; %bb.1396:                             ;   in Loop: Header=BB376_934 Depth=1
	v_cmp_lt_i32_e64 s4, v61, v38
	v_cndmask_b32_e64 v111, 0, v111, s4
	v_cmp_lt_i32_e64 s4, v78, v38
	v_cndmask_b32_e64 v110, 0, v110, s4
	;; [unrolled: 2-line block ×8, first 2 shown]
.LBB376_1397:                           ;   in Loop: Header=BB376_934 Depth=1
	s_or_b32 exec_lo, exec_lo, s16
	flat_load_dwordx2 v[20:21], v[18:19] offset:1792
	v_mov_b32_e32 v13, 0
	v_mov_b32_e32 v12, 0
	s_waitcnt vmcnt(0) lgkmcnt(0)
	v_cmp_ne_u16_sdwa s4, v20, v11 src0_sel:BYTE_0 src1_sel:DWORD
	s_and_saveexec_b32 s16, s4
	s_cbranch_execz .LBB376_1405
; %bb.1398:                             ;   in Loop: Header=BB376_934 Depth=1
	v_cmp_ne_u16_sdwa s4, v20, v80 src0_sel:BYTE_0 src1_sel:DWORD
	v_bfrev_b32_e32 v12, 1
	s_and_saveexec_b32 s17, s4
	s_cbranch_execz .LBB376_1404
; %bb.1399:                             ;   in Loop: Header=BB376_934 Depth=1
	v_and_b32_e32 v16, 0x7f, v20
	v_mov_b32_e32 v12, 0x7f800001
	s_mov_b32 s18, exec_lo
	v_cmpx_ne_u32_e32 0x7f, v16
	s_cbranch_execz .LBB376_1403
; %bb.1400:                             ;   in Loop: Header=BB376_934 Depth=1
	v_mov_b32_e32 v24, v21
	v_lshrrev_b32_e32 v10, 3, v16
	v_mov_b32_e32 v23, v20
	s_mov_b32 s20, exec_lo
	v_cmpx_gt_u32_e32 8, v16
; %bb.1401:                             ;   in Loop: Header=BB376_934 Depth=1
	v_and_b32_e32 v10, 7, v20
	v_ffbh_u32_e32 v10, v10
	v_min_u32_e32 v10, 32, v10
	v_subrev_nc_u32_e32 v12, 28, v10
	v_sub_nc_u32_e32 v10, 29, v10
	v_lshlrev_b64 v[23:24], v12, v[20:21]
; %bb.1402:                             ;   in Loop: Header=BB376_934 Depth=1
	s_or_b32 exec_lo, exec_lo, s20
	v_lshlrev_b32_e32 v12, 20, v23
	v_lshlrev_b32_e32 v16, 24, v20
	v_lshl_add_u32 v10, v10, 23, 0x3c000000
	v_and_b32_e32 v12, 0x700000, v12
	v_and_b32_e32 v16, 0x80000000, v16
	v_or3_b32 v12, v12, v16, v10
.LBB376_1403:                           ;   in Loop: Header=BB376_934 Depth=1
	s_or_b32 exec_lo, exec_lo, s18
.LBB376_1404:                           ;   in Loop: Header=BB376_934 Depth=1
	s_or_b32 exec_lo, exec_lo, s17
.LBB376_1405:                           ;   in Loop: Header=BB376_934 Depth=1
	s_or_b32 exec_lo, exec_lo, s16
	v_cmp_ne_u16_sdwa s4, v20, v11 src0_sel:BYTE_1 src1_sel:DWORD
	s_and_saveexec_b32 s16, s4
	s_cbranch_execz .LBB376_1413
; %bb.1406:                             ;   in Loop: Header=BB376_934 Depth=1
	v_cmp_ne_u16_sdwa s4, v20, v80 src0_sel:BYTE_1 src1_sel:DWORD
	v_bfrev_b32_e32 v13, 1
	s_and_saveexec_b32 s17, s4
	s_cbranch_execz .LBB376_1412
; %bb.1407:                             ;   in Loop: Header=BB376_934 Depth=1
	v_mov_b32_e32 v10, 0xffff
	v_mov_b32_e32 v13, 0x7f800001
	s_mov_b32 s18, exec_lo
	v_and_b32_sdwa v10, v10, v20 dst_sel:DWORD dst_unused:UNUSED_PAD src0_sel:DWORD src1_sel:BYTE_1
	v_and_b32_e32 v16, 0x7f, v10
	v_cmpx_ne_u32_e32 0x7f, v16
	s_cbranch_execz .LBB376_1411
; %bb.1408:                             ;   in Loop: Header=BB376_934 Depth=1
	v_and_b32_e32 v10, 7, v10
	v_mov_b32_e32 v24, v11
	v_lshrrev_b32_e32 v13, 3, v16
	s_mov_b32 s20, exec_lo
	v_mov_b32_e32 v23, v10
	v_cmpx_gt_u32_e32 8, v16
; %bb.1409:                             ;   in Loop: Header=BB376_934 Depth=1
	v_ffbh_u32_e32 v13, v10
	v_min_u32_e32 v13, 32, v13
	v_subrev_nc_u32_e32 v16, 28, v13
	v_sub_nc_u32_e32 v13, 29, v13
	v_lshlrev_b64 v[23:24], v16, v[10:11]
	v_and_b32_e32 v23, 7, v23
; %bb.1410:                             ;   in Loop: Header=BB376_934 Depth=1
	s_or_b32 exec_lo, exec_lo, s20
	v_lshlrev_b32_e32 v10, 16, v20
	v_lshlrev_b32_e32 v16, 20, v23
	v_lshl_add_u32 v13, v13, 23, 0x3c000000
	v_and_b32_e32 v10, 0x80000000, v10
	v_or3_b32 v13, v16, v10, v13
.LBB376_1411:                           ;   in Loop: Header=BB376_934 Depth=1
	s_or_b32 exec_lo, exec_lo, s18
.LBB376_1412:                           ;   in Loop: Header=BB376_934 Depth=1
	s_or_b32 exec_lo, exec_lo, s17
.LBB376_1413:                           ;   in Loop: Header=BB376_934 Depth=1
	s_or_b32 exec_lo, exec_lo, s16
	v_and_b32_sdwa v10, v20, v82 dst_sel:DWORD dst_unused:UNUSED_PAD src0_sel:WORD_1 src1_sel:DWORD
	v_mov_b32_e32 v25, 0
	v_mov_b32_e32 v16, 0
	s_mov_b32 s16, exec_lo
	v_cmpx_ne_u16_e32 0, v10
	s_cbranch_execz .LBB376_1421
; %bb.1414:                             ;   in Loop: Header=BB376_934 Depth=1
	v_bfrev_b32_e32 v16, 1
	s_mov_b32 s17, exec_lo
	v_cmpx_ne_u16_e32 0x80, v10
	s_cbranch_execz .LBB376_1420
; %bb.1415:                             ;   in Loop: Header=BB376_934 Depth=1
	v_bfe_u32 v23, v20, 16, 7
	v_mov_b32_e32 v16, 0x7f800001
	s_mov_b32 s18, exec_lo
	v_cmpx_ne_u32_e32 0x7f, v23
	s_cbranch_execz .LBB376_1419
; %bb.1416:                             ;   in Loop: Header=BB376_934 Depth=1
	v_mov_b32_e32 v10, 7
	v_lshrrev_b32_e32 v16, 3, v23
	v_cmp_gt_u32_e64 s4, 8, v23
	v_and_b32_sdwa v10, v20, v10 dst_sel:DWORD dst_unused:UNUSED_PAD src0_sel:WORD_1 src1_sel:DWORD
	v_mov_b32_e32 v24, v11
	v_mov_b32_e32 v23, v10
	s_and_saveexec_b32 s20, s4
; %bb.1417:                             ;   in Loop: Header=BB376_934 Depth=1
	v_ffbh_u32_e32 v16, v10
	v_min_u32_e32 v16, 32, v16
	v_subrev_nc_u32_e32 v23, 28, v16
	v_sub_nc_u32_e32 v16, 29, v16
	v_lshlrev_b64 v[23:24], v23, v[10:11]
	v_and_b32_e32 v23, 7, v23
; %bb.1418:                             ;   in Loop: Header=BB376_934 Depth=1
	s_or_b32 exec_lo, exec_lo, s20
	v_mov_b32_e32 v10, 24
	v_lshlrev_b32_e32 v23, 20, v23
	v_lshl_add_u32 v16, v16, 23, 0x3c000000
	v_lshlrev_b32_sdwa v10, v10, v20 dst_sel:DWORD dst_unused:UNUSED_PAD src0_sel:DWORD src1_sel:WORD_1
	v_and_b32_e32 v10, 0x80000000, v10
	v_or3_b32 v16, v23, v10, v16
.LBB376_1419:                           ;   in Loop: Header=BB376_934 Depth=1
	s_or_b32 exec_lo, exec_lo, s18
.LBB376_1420:                           ;   in Loop: Header=BB376_934 Depth=1
	s_or_b32 exec_lo, exec_lo, s17
.LBB376_1421:                           ;   in Loop: Header=BB376_934 Depth=1
	s_or_b32 exec_lo, exec_lo, s16
	s_mov_b32 s16, exec_lo
	v_cmpx_lt_u32_e32 0xffffff, v20
	s_cbranch_execz .LBB376_1429
; %bb.1422:                             ;   in Loop: Header=BB376_934 Depth=1
	v_cmp_ne_u32_sdwa s4, v20, v80 src0_sel:BYTE_3 src1_sel:DWORD
	v_bfrev_b32_e32 v25, 1
	s_and_saveexec_b32 s17, s4
	s_cbranch_execz .LBB376_1428
; %bb.1423:                             ;   in Loop: Header=BB376_934 Depth=1
	v_bfe_u32 v23, v20, 24, 7
	v_mov_b32_e32 v25, 0x7f800001
	s_mov_b32 s18, exec_lo
	v_cmpx_ne_u32_e32 0x7f, v23
	s_cbranch_execz .LBB376_1427
; %bb.1424:                             ;   in Loop: Header=BB376_934 Depth=1
	v_mov_b32_e32 v10, 7
	v_lshrrev_b32_e32 v25, 3, v23
	v_cmp_gt_u32_e64 s4, 8, v23
	v_and_b32_sdwa v10, v20, v10 dst_sel:DWORD dst_unused:UNUSED_PAD src0_sel:BYTE_3 src1_sel:DWORD
	v_mov_b32_e32 v24, v11
	v_mov_b32_e32 v23, v10
	s_and_saveexec_b32 s20, s4
; %bb.1425:                             ;   in Loop: Header=BB376_934 Depth=1
	v_ffbh_u32_e32 v23, v10
	v_min_u32_e32 v25, 32, v23
	v_subrev_nc_u32_e32 v23, 28, v25
	v_sub_nc_u32_e32 v25, 29, v25
	v_lshlrev_b64 v[23:24], v23, v[10:11]
	v_and_b32_e32 v23, 7, v23
; %bb.1426:                             ;   in Loop: Header=BB376_934 Depth=1
	s_or_b32 exec_lo, exec_lo, s20
	v_mov_b32_e32 v10, 24
	v_lshlrev_b32_e32 v23, 20, v23
	v_lshl_add_u32 v24, v25, 23, 0x3c000000
	v_lshlrev_b32_sdwa v10, v10, v20 dst_sel:DWORD dst_unused:UNUSED_PAD src0_sel:DWORD src1_sel:BYTE_3
	v_and_b32_e32 v10, 0x80000000, v10
	v_or3_b32 v25, v23, v10, v24
.LBB376_1427:                           ;   in Loop: Header=BB376_934 Depth=1
	s_or_b32 exec_lo, exec_lo, s18
.LBB376_1428:                           ;   in Loop: Header=BB376_934 Depth=1
	s_or_b32 exec_lo, exec_lo, s17
.LBB376_1429:                           ;   in Loop: Header=BB376_934 Depth=1
	s_or_b32 exec_lo, exec_lo, s16
	v_mov_b32_e32 v10, v21
	v_cmp_ne_u16_sdwa s4, v21, v11 src0_sel:BYTE_0 src1_sel:DWORD
	v_mov_b32_e32 v32, 0
	v_mov_b32_e32 v31, 0
	s_and_saveexec_b32 s16, s4
	s_cbranch_execz .LBB376_1437
; %bb.1430:                             ;   in Loop: Header=BB376_934 Depth=1
	v_cmp_ne_u16_sdwa s4, v21, v80 src0_sel:BYTE_0 src1_sel:DWORD
	v_bfrev_b32_e32 v31, 1
	s_and_saveexec_b32 s17, s4
	s_cbranch_execz .LBB376_1436
; %bb.1431:                             ;   in Loop: Header=BB376_934 Depth=1
	v_and_b32_e32 v23, 0x7f, v21
	v_mov_b32_e32 v31, 0x7f800001
	s_mov_b32 s18, exec_lo
	v_cmpx_ne_u32_e32 0x7f, v23
	s_cbranch_execz .LBB376_1435
; %bb.1432:                             ;   in Loop: Header=BB376_934 Depth=1
	v_lshrrev_b32_e32 v28, 3, v23
	v_cmp_gt_u32_e64 s4, 8, v23
	v_mov_b32_e32 v24, v11
	v_mov_b32_e32 v23, v10
	s_and_saveexec_b32 s20, s4
; %bb.1433:                             ;   in Loop: Header=BB376_934 Depth=1
	v_and_b32_e32 v23, 7, v21
	v_ffbh_u32_e32 v23, v23
	v_min_u32_e32 v28, 32, v23
	v_subrev_nc_u32_e32 v23, 28, v28
	v_sub_nc_u32_e32 v28, 29, v28
	v_lshlrev_b64 v[23:24], v23, v[10:11]
; %bb.1434:                             ;   in Loop: Header=BB376_934 Depth=1
	s_or_b32 exec_lo, exec_lo, s20
	v_lshlrev_b32_e32 v23, 20, v23
	v_lshlrev_b32_e32 v24, 24, v10
	v_lshl_add_u32 v28, v28, 23, 0x3c000000
	v_and_b32_e32 v23, 0x700000, v23
	v_and_b32_e32 v24, 0x80000000, v24
	v_or3_b32 v31, v23, v24, v28
.LBB376_1435:                           ;   in Loop: Header=BB376_934 Depth=1
	s_or_b32 exec_lo, exec_lo, s18
.LBB376_1436:                           ;   in Loop: Header=BB376_934 Depth=1
	s_or_b32 exec_lo, exec_lo, s17
.LBB376_1437:                           ;   in Loop: Header=BB376_934 Depth=1
	s_or_b32 exec_lo, exec_lo, s16
	v_cmp_ne_u16_sdwa s4, v10, v11 src0_sel:BYTE_1 src1_sel:DWORD
	s_and_saveexec_b32 s16, s4
	s_cbranch_execz .LBB376_1445
; %bb.1438:                             ;   in Loop: Header=BB376_934 Depth=1
	v_cmp_ne_u16_sdwa s4, v10, v80 src0_sel:BYTE_1 src1_sel:DWORD
	v_bfrev_b32_e32 v32, 1
	s_and_saveexec_b32 s17, s4
	s_cbranch_execz .LBB376_1444
; %bb.1439:                             ;   in Loop: Header=BB376_934 Depth=1
	v_mov_b32_e32 v23, 0xffff
	v_mov_b32_e32 v32, 0x7f800001
	s_mov_b32 s18, exec_lo
	v_and_b32_sdwa v23, v23, v10 dst_sel:DWORD dst_unused:UNUSED_PAD src0_sel:DWORD src1_sel:BYTE_1
	v_and_b32_e32 v29, 0x7f, v23
	v_cmpx_ne_u32_e32 0x7f, v29
	s_cbranch_execz .LBB376_1443
; %bb.1440:                             ;   in Loop: Header=BB376_934 Depth=1
	v_and_b32_e32 v23, 7, v23
	v_mov_b32_e32 v24, v11
	v_lshrrev_b32_e32 v28, 3, v29
	s_mov_b32 s20, exec_lo
	v_cmpx_gt_u32_e32 8, v29
; %bb.1441:                             ;   in Loop: Header=BB376_934 Depth=1
	v_ffbh_u32_e32 v28, v23
	v_min_u32_e32 v28, 32, v28
	v_subrev_nc_u32_e32 v29, 28, v28
	v_sub_nc_u32_e32 v28, 29, v28
	v_lshlrev_b64 v[23:24], v29, v[23:24]
	v_and_b32_e32 v23, 7, v23
; %bb.1442:                             ;   in Loop: Header=BB376_934 Depth=1
	s_or_b32 exec_lo, exec_lo, s20
	v_lshlrev_b32_e32 v10, 16, v10
	v_lshlrev_b32_e32 v23, 20, v23
	v_lshl_add_u32 v24, v28, 23, 0x3c000000
	v_and_b32_e32 v10, 0x80000000, v10
	v_or3_b32 v32, v23, v10, v24
.LBB376_1443:                           ;   in Loop: Header=BB376_934 Depth=1
	s_or_b32 exec_lo, exec_lo, s18
.LBB376_1444:                           ;   in Loop: Header=BB376_934 Depth=1
	s_or_b32 exec_lo, exec_lo, s17
.LBB376_1445:                           ;   in Loop: Header=BB376_934 Depth=1
	s_or_b32 exec_lo, exec_lo, s16
	v_and_b32_sdwa v10, v21, v82 dst_sel:DWORD dst_unused:UNUSED_PAD src0_sel:WORD_1 src1_sel:DWORD
	v_mov_b32_e32 v28, 0
	v_mov_b32_e32 v29, 0
	s_mov_b32 s16, exec_lo
	v_cmpx_ne_u16_e32 0, v10
	s_cbranch_execz .LBB376_1453
; %bb.1446:                             ;   in Loop: Header=BB376_934 Depth=1
	v_bfrev_b32_e32 v29, 1
	s_mov_b32 s17, exec_lo
	v_cmpx_ne_u16_e32 0x80, v10
	s_cbranch_execz .LBB376_1452
; %bb.1447:                             ;   in Loop: Header=BB376_934 Depth=1
	v_bfe_u32 v23, v21, 16, 7
	v_mov_b32_e32 v29, 0x7f800001
	s_mov_b32 s18, exec_lo
	v_cmpx_ne_u32_e32 0x7f, v23
	s_cbranch_execz .LBB376_1451
; %bb.1448:                             ;   in Loop: Header=BB376_934 Depth=1
	v_mov_b32_e32 v10, 7
	v_lshrrev_b32_e32 v29, 3, v23
	v_cmp_gt_u32_e64 s4, 8, v23
	v_and_b32_sdwa v10, v21, v10 dst_sel:DWORD dst_unused:UNUSED_PAD src0_sel:WORD_1 src1_sel:DWORD
	v_mov_b32_e32 v24, v11
	v_mov_b32_e32 v23, v10
	s_and_saveexec_b32 s20, s4
; %bb.1449:                             ;   in Loop: Header=BB376_934 Depth=1
	v_ffbh_u32_e32 v23, v10
	v_min_u32_e32 v29, 32, v23
	v_subrev_nc_u32_e32 v23, 28, v29
	v_sub_nc_u32_e32 v29, 29, v29
	v_lshlrev_b64 v[23:24], v23, v[10:11]
	v_and_b32_e32 v23, 7, v23
; %bb.1450:                             ;   in Loop: Header=BB376_934 Depth=1
	s_or_b32 exec_lo, exec_lo, s20
	v_mov_b32_e32 v10, 24
	v_lshlrev_b32_e32 v23, 20, v23
	v_lshl_add_u32 v24, v29, 23, 0x3c000000
	v_lshlrev_b32_sdwa v10, v10, v21 dst_sel:DWORD dst_unused:UNUSED_PAD src0_sel:DWORD src1_sel:WORD_1
	v_and_b32_e32 v10, 0x80000000, v10
	v_or3_b32 v29, v23, v10, v24
.LBB376_1451:                           ;   in Loop: Header=BB376_934 Depth=1
	s_or_b32 exec_lo, exec_lo, s18
.LBB376_1452:                           ;   in Loop: Header=BB376_934 Depth=1
	s_or_b32 exec_lo, exec_lo, s17
.LBB376_1453:                           ;   in Loop: Header=BB376_934 Depth=1
	s_or_b32 exec_lo, exec_lo, s16
	s_mov_b32 s16, exec_lo
	v_cmpx_lt_u64_e64 s[12:13], v[20:21]
	s_cbranch_execz .LBB376_1461
; %bb.1454:                             ;   in Loop: Header=BB376_934 Depth=1
	v_cmp_ne_u32_sdwa s4, v21, v80 src0_sel:BYTE_3 src1_sel:DWORD
	v_bfrev_b32_e32 v28, 1
	s_and_saveexec_b32 s17, s4
	s_cbranch_execz .LBB376_1460
; %bb.1455:                             ;   in Loop: Header=BB376_934 Depth=1
	v_bfe_u32 v23, v21, 24, 7
	v_mov_b32_e32 v28, 0x7f800001
	s_mov_b32 s18, exec_lo
	v_cmpx_ne_u32_e32 0x7f, v23
	s_cbranch_execz .LBB376_1459
; %bb.1456:                             ;   in Loop: Header=BB376_934 Depth=1
	v_mov_b32_e32 v10, 7
	v_lshrrev_b32_e32 v20, 3, v23
	v_cmp_gt_u32_e64 s4, 8, v23
	v_and_b32_sdwa v10, v21, v10 dst_sel:DWORD dst_unused:UNUSED_PAD src0_sel:BYTE_3 src1_sel:DWORD
	v_mov_b32_e32 v24, v11
	v_mov_b32_e32 v23, v10
	s_and_saveexec_b32 s20, s4
; %bb.1457:                             ;   in Loop: Header=BB376_934 Depth=1
	v_ffbh_u32_e32 v20, v10
	v_min_u32_e32 v20, 32, v20
	v_subrev_nc_u32_e32 v23, 28, v20
	v_sub_nc_u32_e32 v20, 29, v20
	v_lshlrev_b64 v[23:24], v23, v[10:11]
	v_and_b32_e32 v23, 7, v23
; %bb.1458:                             ;   in Loop: Header=BB376_934 Depth=1
	s_or_b32 exec_lo, exec_lo, s20
	v_mov_b32_e32 v10, 24
	v_lshl_add_u32 v20, v20, 23, 0x3c000000
	v_lshlrev_b32_sdwa v10, v10, v21 dst_sel:DWORD dst_unused:UNUSED_PAD src0_sel:DWORD src1_sel:BYTE_3
	v_lshlrev_b32_e32 v21, 20, v23
	v_and_b32_e32 v10, 0x80000000, v10
	v_or3_b32 v28, v21, v10, v20
.LBB376_1459:                           ;   in Loop: Header=BB376_934 Depth=1
	s_or_b32 exec_lo, exec_lo, s18
.LBB376_1460:                           ;   in Loop: Header=BB376_934 Depth=1
	s_or_b32 exec_lo, exec_lo, s17
.LBB376_1461:                           ;   in Loop: Header=BB376_934 Depth=1
	s_or_b32 exec_lo, exec_lo, s16
	v_mul_f32_e32 v10, v56, v32
	v_bfe_u32 v20, v10, 16, 1
	v_or_b32_e32 v21, 0x400000, v10
	v_cmp_u_f32_e64 s4, v10, v10
	v_add3_u32 v20, v20, v10, 0x7fff
	v_cndmask_b32_e64 v10, v20, v21, s4
	v_lshrrev_b32_e32 v121, 16, v10
	v_mul_f32_e32 v10, v56, v31
	v_bfe_u32 v20, v10, 16, 1
	v_or_b32_e32 v21, 0x400000, v10
	v_cmp_u_f32_e64 s4, v10, v10
	v_add3_u32 v20, v20, v10, 0x7fff
	v_cndmask_b32_e64 v10, v20, v21, s4
	v_lshrrev_b32_e32 v122, 16, v10
	;; [unrolled: 7-line block ×8, first 2 shown]
	s_and_saveexec_b32 s16, vcc_lo
	s_cbranch_execz .LBB376_1463
; %bb.1462:                             ;   in Loop: Header=BB376_934 Depth=1
	v_cmp_lt_i32_e64 s4, v61, v38
	v_cndmask_b32_e64 v127, 0, v127, s4
	v_cmp_lt_i32_e64 s4, v78, v38
	v_cndmask_b32_e64 v126, 0, v126, s4
	;; [unrolled: 2-line block ×8, first 2 shown]
.LBB376_1463:                           ;   in Loop: Header=BB376_934 Depth=1
	s_or_b32 exec_lo, exec_lo, s16
	v_add_co_u32 v18, s4, 0x800, v18
	v_add_co_ci_u32_e64 v19, null, 0, v19, s4
	v_mov_b32_e32 v25, 0
	v_mov_b32_e32 v16, 0
	flat_load_dwordx2 v[20:21], v[18:19]
	s_waitcnt vmcnt(0) lgkmcnt(0)
	v_cmp_ne_u16_sdwa s4, v20, v11 src0_sel:BYTE_0 src1_sel:DWORD
	s_and_saveexec_b32 s16, s4
	s_cbranch_execz .LBB376_1471
; %bb.1464:                             ;   in Loop: Header=BB376_934 Depth=1
	v_cmp_ne_u16_sdwa s4, v20, v80 src0_sel:BYTE_0 src1_sel:DWORD
	v_bfrev_b32_e32 v16, 1
	s_and_saveexec_b32 s17, s4
	s_cbranch_execz .LBB376_1470
; %bb.1465:                             ;   in Loop: Header=BB376_934 Depth=1
	v_and_b32_e32 v12, 0x7f, v20
	v_mov_b32_e32 v16, 0x7f800001
	s_mov_b32 s18, exec_lo
	v_cmpx_ne_u32_e32 0x7f, v12
	s_cbranch_execz .LBB376_1469
; %bb.1466:                             ;   in Loop: Header=BB376_934 Depth=1
	v_mov_b32_e32 v24, v21
	v_lshrrev_b32_e32 v10, 3, v12
	v_mov_b32_e32 v23, v20
	s_mov_b32 s20, exec_lo
	v_cmpx_gt_u32_e32 8, v12
; %bb.1467:                             ;   in Loop: Header=BB376_934 Depth=1
	v_and_b32_e32 v10, 7, v20
	v_ffbh_u32_e32 v10, v10
	v_min_u32_e32 v10, 32, v10
	v_subrev_nc_u32_e32 v12, 28, v10
	v_sub_nc_u32_e32 v10, 29, v10
	v_lshlrev_b64 v[23:24], v12, v[20:21]
; %bb.1468:                             ;   in Loop: Header=BB376_934 Depth=1
	s_or_b32 exec_lo, exec_lo, s20
	v_lshlrev_b32_e32 v12, 20, v23
	v_lshlrev_b32_e32 v13, 24, v20
	v_lshl_add_u32 v10, v10, 23, 0x3c000000
	v_and_b32_e32 v12, 0x700000, v12
	v_and_b32_e32 v13, 0x80000000, v13
	v_or3_b32 v16, v12, v13, v10
.LBB376_1469:                           ;   in Loop: Header=BB376_934 Depth=1
	s_or_b32 exec_lo, exec_lo, s18
.LBB376_1470:                           ;   in Loop: Header=BB376_934 Depth=1
	s_or_b32 exec_lo, exec_lo, s17
.LBB376_1471:                           ;   in Loop: Header=BB376_934 Depth=1
	s_or_b32 exec_lo, exec_lo, s16
	v_cmp_ne_u16_sdwa s4, v20, v11 src0_sel:BYTE_1 src1_sel:DWORD
	s_and_saveexec_b32 s16, s4
	s_cbranch_execz .LBB376_1479
; %bb.1472:                             ;   in Loop: Header=BB376_934 Depth=1
	v_cmp_ne_u16_sdwa s4, v20, v80 src0_sel:BYTE_1 src1_sel:DWORD
	v_bfrev_b32_e32 v25, 1
	s_and_saveexec_b32 s17, s4
	s_cbranch_execz .LBB376_1478
; %bb.1473:                             ;   in Loop: Header=BB376_934 Depth=1
	v_mov_b32_e32 v10, 0xffff
	v_mov_b32_e32 v25, 0x7f800001
	s_mov_b32 s18, exec_lo
	v_and_b32_sdwa v10, v10, v20 dst_sel:DWORD dst_unused:UNUSED_PAD src0_sel:DWORD src1_sel:BYTE_1
	v_and_b32_e32 v13, 0x7f, v10
	v_cmpx_ne_u32_e32 0x7f, v13
	s_cbranch_execz .LBB376_1477
; %bb.1474:                             ;   in Loop: Header=BB376_934 Depth=1
	v_and_b32_e32 v10, 7, v10
	v_mov_b32_e32 v24, v11
	v_lshrrev_b32_e32 v12, 3, v13
	s_mov_b32 s20, exec_lo
	v_mov_b32_e32 v23, v10
	v_cmpx_gt_u32_e32 8, v13
; %bb.1475:                             ;   in Loop: Header=BB376_934 Depth=1
	v_ffbh_u32_e32 v12, v10
	v_min_u32_e32 v12, 32, v12
	v_subrev_nc_u32_e32 v13, 28, v12
	v_sub_nc_u32_e32 v12, 29, v12
	v_lshlrev_b64 v[23:24], v13, v[10:11]
	v_and_b32_e32 v23, 7, v23
; %bb.1476:                             ;   in Loop: Header=BB376_934 Depth=1
	s_or_b32 exec_lo, exec_lo, s20
	v_lshlrev_b32_e32 v10, 16, v20
	v_lshlrev_b32_e32 v13, 20, v23
	v_lshl_add_u32 v12, v12, 23, 0x3c000000
	v_and_b32_e32 v10, 0x80000000, v10
	v_or3_b32 v25, v13, v10, v12
.LBB376_1477:                           ;   in Loop: Header=BB376_934 Depth=1
	s_or_b32 exec_lo, exec_lo, s18
.LBB376_1478:                           ;   in Loop: Header=BB376_934 Depth=1
	s_or_b32 exec_lo, exec_lo, s17
.LBB376_1479:                           ;   in Loop: Header=BB376_934 Depth=1
	s_or_b32 exec_lo, exec_lo, s16
	v_and_b32_sdwa v10, v20, v82 dst_sel:DWORD dst_unused:UNUSED_PAD src0_sel:WORD_1 src1_sel:DWORD
	v_mov_b32_e32 v12, 0
	v_mov_b32_e32 v13, 0
	s_mov_b32 s16, exec_lo
	v_cmpx_ne_u16_e32 0, v10
	s_cbranch_execz .LBB376_1487
; %bb.1480:                             ;   in Loop: Header=BB376_934 Depth=1
	v_bfrev_b32_e32 v13, 1
	s_mov_b32 s17, exec_lo
	v_cmpx_ne_u16_e32 0x80, v10
	s_cbranch_execz .LBB376_1486
; %bb.1481:                             ;   in Loop: Header=BB376_934 Depth=1
	v_bfe_u32 v23, v20, 16, 7
	v_mov_b32_e32 v13, 0x7f800001
	s_mov_b32 s18, exec_lo
	v_cmpx_ne_u32_e32 0x7f, v23
	s_cbranch_execz .LBB376_1485
; %bb.1482:                             ;   in Loop: Header=BB376_934 Depth=1
	v_mov_b32_e32 v10, 7
	v_lshrrev_b32_e32 v13, 3, v23
	v_cmp_gt_u32_e64 s4, 8, v23
	v_and_b32_sdwa v10, v20, v10 dst_sel:DWORD dst_unused:UNUSED_PAD src0_sel:WORD_1 src1_sel:DWORD
	v_mov_b32_e32 v24, v11
	v_mov_b32_e32 v23, v10
	s_and_saveexec_b32 s20, s4
; %bb.1483:                             ;   in Loop: Header=BB376_934 Depth=1
	v_ffbh_u32_e32 v13, v10
	v_min_u32_e32 v13, 32, v13
	v_subrev_nc_u32_e32 v23, 28, v13
	v_sub_nc_u32_e32 v13, 29, v13
	v_lshlrev_b64 v[23:24], v23, v[10:11]
	v_and_b32_e32 v23, 7, v23
; %bb.1484:                             ;   in Loop: Header=BB376_934 Depth=1
	s_or_b32 exec_lo, exec_lo, s20
	v_mov_b32_e32 v10, 24
	v_lshlrev_b32_e32 v23, 20, v23
	v_lshl_add_u32 v13, v13, 23, 0x3c000000
	v_lshlrev_b32_sdwa v10, v10, v20 dst_sel:DWORD dst_unused:UNUSED_PAD src0_sel:DWORD src1_sel:WORD_1
	v_and_b32_e32 v10, 0x80000000, v10
	v_or3_b32 v13, v23, v10, v13
.LBB376_1485:                           ;   in Loop: Header=BB376_934 Depth=1
	s_or_b32 exec_lo, exec_lo, s18
.LBB376_1486:                           ;   in Loop: Header=BB376_934 Depth=1
	s_or_b32 exec_lo, exec_lo, s17
.LBB376_1487:                           ;   in Loop: Header=BB376_934 Depth=1
	s_or_b32 exec_lo, exec_lo, s16
	s_mov_b32 s16, exec_lo
	v_cmpx_lt_u32_e32 0xffffff, v20
	s_cbranch_execz .LBB376_1495
; %bb.1488:                             ;   in Loop: Header=BB376_934 Depth=1
	v_cmp_ne_u32_sdwa s4, v20, v80 src0_sel:BYTE_3 src1_sel:DWORD
	v_bfrev_b32_e32 v12, 1
	s_and_saveexec_b32 s17, s4
	s_cbranch_execz .LBB376_1494
; %bb.1489:                             ;   in Loop: Header=BB376_934 Depth=1
	v_bfe_u32 v23, v20, 24, 7
	v_mov_b32_e32 v12, 0x7f800001
	s_mov_b32 s18, exec_lo
	v_cmpx_ne_u32_e32 0x7f, v23
	s_cbranch_execz .LBB376_1493
; %bb.1490:                             ;   in Loop: Header=BB376_934 Depth=1
	v_mov_b32_e32 v10, 7
	v_lshrrev_b32_e32 v12, 3, v23
	v_cmp_gt_u32_e64 s4, 8, v23
	v_and_b32_sdwa v10, v20, v10 dst_sel:DWORD dst_unused:UNUSED_PAD src0_sel:BYTE_3 src1_sel:DWORD
	v_mov_b32_e32 v24, v11
	v_mov_b32_e32 v23, v10
	s_and_saveexec_b32 s20, s4
; %bb.1491:                             ;   in Loop: Header=BB376_934 Depth=1
	v_ffbh_u32_e32 v12, v10
	v_min_u32_e32 v12, 32, v12
	v_subrev_nc_u32_e32 v23, 28, v12
	v_sub_nc_u32_e32 v12, 29, v12
	v_lshlrev_b64 v[23:24], v23, v[10:11]
	v_and_b32_e32 v23, 7, v23
; %bb.1492:                             ;   in Loop: Header=BB376_934 Depth=1
	s_or_b32 exec_lo, exec_lo, s20
	v_mov_b32_e32 v10, 24
	v_lshlrev_b32_e32 v23, 20, v23
	v_lshl_add_u32 v12, v12, 23, 0x3c000000
	v_lshlrev_b32_sdwa v10, v10, v20 dst_sel:DWORD dst_unused:UNUSED_PAD src0_sel:DWORD src1_sel:BYTE_3
	v_and_b32_e32 v10, 0x80000000, v10
	v_or3_b32 v12, v23, v10, v12
.LBB376_1493:                           ;   in Loop: Header=BB376_934 Depth=1
	s_or_b32 exec_lo, exec_lo, s18
.LBB376_1494:                           ;   in Loop: Header=BB376_934 Depth=1
	s_or_b32 exec_lo, exec_lo, s17
.LBB376_1495:                           ;   in Loop: Header=BB376_934 Depth=1
	s_or_b32 exec_lo, exec_lo, s16
	v_mov_b32_e32 v10, v21
	v_cmp_ne_u16_sdwa s4, v21, v11 src0_sel:BYTE_0 src1_sel:DWORD
	v_mov_b32_e32 v33, 0
	v_mov_b32_e32 v28, 0
	s_and_saveexec_b32 s16, s4
	s_cbranch_execz .LBB376_1503
; %bb.1496:                             ;   in Loop: Header=BB376_934 Depth=1
	v_cmp_ne_u16_sdwa s4, v21, v80 src0_sel:BYTE_0 src1_sel:DWORD
	v_bfrev_b32_e32 v28, 1
	s_and_saveexec_b32 s17, s4
	s_cbranch_execz .LBB376_1502
; %bb.1497:                             ;   in Loop: Header=BB376_934 Depth=1
	v_and_b32_e32 v23, 0x7f, v21
	v_mov_b32_e32 v28, 0x7f800001
	s_mov_b32 s18, exec_lo
	v_cmpx_ne_u32_e32 0x7f, v23
	s_cbranch_execz .LBB376_1501
; %bb.1498:                             ;   in Loop: Header=BB376_934 Depth=1
	v_lshrrev_b32_e32 v28, 3, v23
	v_cmp_gt_u32_e64 s4, 8, v23
	v_mov_b32_e32 v24, v11
	v_mov_b32_e32 v23, v10
	s_and_saveexec_b32 s20, s4
; %bb.1499:                             ;   in Loop: Header=BB376_934 Depth=1
	v_and_b32_e32 v23, 7, v21
	v_ffbh_u32_e32 v23, v23
	v_min_u32_e32 v28, 32, v23
	v_subrev_nc_u32_e32 v23, 28, v28
	v_sub_nc_u32_e32 v28, 29, v28
	v_lshlrev_b64 v[23:24], v23, v[10:11]
; %bb.1500:                             ;   in Loop: Header=BB376_934 Depth=1
	s_or_b32 exec_lo, exec_lo, s20
	v_lshlrev_b32_e32 v23, 20, v23
	v_lshlrev_b32_e32 v24, 24, v10
	v_lshl_add_u32 v28, v28, 23, 0x3c000000
	v_and_b32_e32 v23, 0x700000, v23
	v_and_b32_e32 v24, 0x80000000, v24
	v_or3_b32 v28, v23, v24, v28
.LBB376_1501:                           ;   in Loop: Header=BB376_934 Depth=1
	s_or_b32 exec_lo, exec_lo, s18
.LBB376_1502:                           ;   in Loop: Header=BB376_934 Depth=1
	s_or_b32 exec_lo, exec_lo, s17
.LBB376_1503:                           ;   in Loop: Header=BB376_934 Depth=1
	s_or_b32 exec_lo, exec_lo, s16
	v_cmp_ne_u16_sdwa s4, v10, v11 src0_sel:BYTE_1 src1_sel:DWORD
	s_and_saveexec_b32 s16, s4
	s_cbranch_execz .LBB376_1511
; %bb.1504:                             ;   in Loop: Header=BB376_934 Depth=1
	v_cmp_ne_u16_sdwa s4, v10, v80 src0_sel:BYTE_1 src1_sel:DWORD
	v_bfrev_b32_e32 v33, 1
	s_and_saveexec_b32 s17, s4
	s_cbranch_execz .LBB376_1510
; %bb.1505:                             ;   in Loop: Header=BB376_934 Depth=1
	v_mov_b32_e32 v23, 0xffff
	v_mov_b32_e32 v33, 0x7f800001
	s_mov_b32 s18, exec_lo
	v_and_b32_sdwa v23, v23, v10 dst_sel:DWORD dst_unused:UNUSED_PAD src0_sel:DWORD src1_sel:BYTE_1
	v_and_b32_e32 v32, 0x7f, v23
	v_cmpx_ne_u32_e32 0x7f, v32
	s_cbranch_execz .LBB376_1509
; %bb.1506:                             ;   in Loop: Header=BB376_934 Depth=1
	v_and_b32_e32 v23, 7, v23
	v_mov_b32_e32 v24, v11
	v_lshrrev_b32_e32 v31, 3, v32
	s_mov_b32 s20, exec_lo
	v_cmpx_gt_u32_e32 8, v32
; %bb.1507:                             ;   in Loop: Header=BB376_934 Depth=1
	v_ffbh_u32_e32 v31, v23
	v_min_u32_e32 v31, 32, v31
	v_subrev_nc_u32_e32 v32, 28, v31
	v_sub_nc_u32_e32 v31, 29, v31
	v_lshlrev_b64 v[23:24], v32, v[23:24]
	v_and_b32_e32 v23, 7, v23
; %bb.1508:                             ;   in Loop: Header=BB376_934 Depth=1
	s_or_b32 exec_lo, exec_lo, s20
	v_lshlrev_b32_e32 v10, 16, v10
	v_lshlrev_b32_e32 v23, 20, v23
	v_lshl_add_u32 v24, v31, 23, 0x3c000000
	v_and_b32_e32 v10, 0x80000000, v10
	v_or3_b32 v33, v23, v10, v24
.LBB376_1509:                           ;   in Loop: Header=BB376_934 Depth=1
	s_or_b32 exec_lo, exec_lo, s18
.LBB376_1510:                           ;   in Loop: Header=BB376_934 Depth=1
	s_or_b32 exec_lo, exec_lo, s17
.LBB376_1511:                           ;   in Loop: Header=BB376_934 Depth=1
	s_or_b32 exec_lo, exec_lo, s16
	v_and_b32_sdwa v10, v21, v82 dst_sel:DWORD dst_unused:UNUSED_PAD src0_sel:WORD_1 src1_sel:DWORD
	v_mov_b32_e32 v31, 0
	v_mov_b32_e32 v32, 0
	s_mov_b32 s16, exec_lo
	v_cmpx_ne_u16_e32 0, v10
	s_cbranch_execz .LBB376_1519
; %bb.1512:                             ;   in Loop: Header=BB376_934 Depth=1
	v_bfrev_b32_e32 v32, 1
	s_mov_b32 s17, exec_lo
	v_cmpx_ne_u16_e32 0x80, v10
	s_cbranch_execz .LBB376_1518
; %bb.1513:                             ;   in Loop: Header=BB376_934 Depth=1
	v_bfe_u32 v23, v21, 16, 7
	v_mov_b32_e32 v32, 0x7f800001
	s_mov_b32 s18, exec_lo
	v_cmpx_ne_u32_e32 0x7f, v23
	s_cbranch_execz .LBB376_1517
; %bb.1514:                             ;   in Loop: Header=BB376_934 Depth=1
	v_mov_b32_e32 v10, 7
	v_lshrrev_b32_e32 v32, 3, v23
	v_cmp_gt_u32_e64 s4, 8, v23
	v_and_b32_sdwa v10, v21, v10 dst_sel:DWORD dst_unused:UNUSED_PAD src0_sel:WORD_1 src1_sel:DWORD
	v_mov_b32_e32 v24, v11
	v_mov_b32_e32 v23, v10
	s_and_saveexec_b32 s20, s4
; %bb.1515:                             ;   in Loop: Header=BB376_934 Depth=1
	v_ffbh_u32_e32 v23, v10
	v_min_u32_e32 v32, 32, v23
	v_subrev_nc_u32_e32 v23, 28, v32
	v_sub_nc_u32_e32 v32, 29, v32
	v_lshlrev_b64 v[23:24], v23, v[10:11]
	v_and_b32_e32 v23, 7, v23
; %bb.1516:                             ;   in Loop: Header=BB376_934 Depth=1
	s_or_b32 exec_lo, exec_lo, s20
	v_mov_b32_e32 v10, 24
	v_lshlrev_b32_e32 v23, 20, v23
	v_lshl_add_u32 v24, v32, 23, 0x3c000000
	v_lshlrev_b32_sdwa v10, v10, v21 dst_sel:DWORD dst_unused:UNUSED_PAD src0_sel:DWORD src1_sel:WORD_1
	v_and_b32_e32 v10, 0x80000000, v10
	v_or3_b32 v32, v23, v10, v24
.LBB376_1517:                           ;   in Loop: Header=BB376_934 Depth=1
	s_or_b32 exec_lo, exec_lo, s18
.LBB376_1518:                           ;   in Loop: Header=BB376_934 Depth=1
	s_or_b32 exec_lo, exec_lo, s17
.LBB376_1519:                           ;   in Loop: Header=BB376_934 Depth=1
	s_or_b32 exec_lo, exec_lo, s16
	s_mov_b32 s16, exec_lo
	v_cmpx_lt_u64_e64 s[12:13], v[20:21]
	s_cbranch_execz .LBB376_1527
; %bb.1520:                             ;   in Loop: Header=BB376_934 Depth=1
	v_cmp_ne_u32_sdwa s4, v21, v80 src0_sel:BYTE_3 src1_sel:DWORD
	v_bfrev_b32_e32 v31, 1
	s_and_saveexec_b32 s17, s4
	s_cbranch_execz .LBB376_1526
; %bb.1521:                             ;   in Loop: Header=BB376_934 Depth=1
	v_bfe_u32 v23, v21, 24, 7
	v_mov_b32_e32 v31, 0x7f800001
	s_mov_b32 s18, exec_lo
	v_cmpx_ne_u32_e32 0x7f, v23
	s_cbranch_execz .LBB376_1525
; %bb.1522:                             ;   in Loop: Header=BB376_934 Depth=1
	v_mov_b32_e32 v10, 7
	v_lshrrev_b32_e32 v20, 3, v23
	v_cmp_gt_u32_e64 s4, 8, v23
	v_and_b32_sdwa v10, v21, v10 dst_sel:DWORD dst_unused:UNUSED_PAD src0_sel:BYTE_3 src1_sel:DWORD
	v_mov_b32_e32 v24, v11
	v_mov_b32_e32 v23, v10
	s_and_saveexec_b32 s20, s4
; %bb.1523:                             ;   in Loop: Header=BB376_934 Depth=1
	v_ffbh_u32_e32 v20, v10
	v_min_u32_e32 v20, 32, v20
	v_subrev_nc_u32_e32 v23, 28, v20
	v_sub_nc_u32_e32 v20, 29, v20
	v_lshlrev_b64 v[23:24], v23, v[10:11]
	v_and_b32_e32 v23, 7, v23
; %bb.1524:                             ;   in Loop: Header=BB376_934 Depth=1
	s_or_b32 exec_lo, exec_lo, s20
	v_mov_b32_e32 v10, 24
	v_lshl_add_u32 v20, v20, 23, 0x3c000000
	v_lshlrev_b32_sdwa v10, v10, v21 dst_sel:DWORD dst_unused:UNUSED_PAD src0_sel:DWORD src1_sel:BYTE_3
	v_lshlrev_b32_e32 v21, 20, v23
	v_and_b32_e32 v10, 0x80000000, v10
	v_or3_b32 v31, v21, v10, v20
.LBB376_1525:                           ;   in Loop: Header=BB376_934 Depth=1
	s_or_b32 exec_lo, exec_lo, s18
.LBB376_1526:                           ;   in Loop: Header=BB376_934 Depth=1
	s_or_b32 exec_lo, exec_lo, s17
.LBB376_1527:                           ;   in Loop: Header=BB376_934 Depth=1
	s_or_b32 exec_lo, exec_lo, s16
	v_mul_f32_e32 v10, v56, v33
	v_bfe_u32 v20, v10, 16, 1
	v_or_b32_e32 v21, 0x400000, v10
	v_cmp_u_f32_e64 s4, v10, v10
	v_add3_u32 v20, v20, v10, 0x7fff
	v_cndmask_b32_e64 v10, v20, v21, s4
	v_lshrrev_b32_e32 v71, 16, v10
	v_mul_f32_e32 v10, v56, v28
	v_bfe_u32 v20, v10, 16, 1
	v_or_b32_e32 v21, 0x400000, v10
	v_cmp_u_f32_e64 s4, v10, v10
	v_add3_u32 v20, v20, v10, 0x7fff
	v_cndmask_b32_e64 v10, v20, v21, s4
	v_lshrrev_b32_e32 v85, 16, v10
	;; [unrolled: 7-line block ×8, first 2 shown]
	s_and_saveexec_b32 s16, vcc_lo
	s_cbranch_execz .LBB376_1529
; %bb.1528:                             ;   in Loop: Header=BB376_934 Depth=1
	v_cmp_lt_i32_e64 s4, v61, v38
	v_cndmask_b32_e64 v28, 0, v28, s4
	v_cmp_lt_i32_e64 s4, v78, v38
	v_cndmask_b32_e64 v25, 0, v25, s4
	;; [unrolled: 2-line block ×8, first 2 shown]
.LBB376_1529:                           ;   in Loop: Header=BB376_934 Depth=1
	s_or_b32 exec_lo, exec_lo, s16
	flat_load_dwordx2 v[20:21], v[18:19] offset:256
	v_mov_b32_e32 v36, 0
	v_mov_b32_e32 v16, 0
	s_waitcnt vmcnt(0) lgkmcnt(0)
	v_cmp_ne_u16_sdwa s4, v20, v11 src0_sel:BYTE_0 src1_sel:DWORD
	s_and_saveexec_b32 s16, s4
	s_cbranch_execz .LBB376_1537
; %bb.1530:                             ;   in Loop: Header=BB376_934 Depth=1
	v_cmp_ne_u16_sdwa s4, v20, v80 src0_sel:BYTE_0 src1_sel:DWORD
	v_bfrev_b32_e32 v16, 1
	s_and_saveexec_b32 s17, s4
	s_cbranch_execz .LBB376_1536
; %bb.1531:                             ;   in Loop: Header=BB376_934 Depth=1
	v_and_b32_e32 v23, 0x7f, v20
	v_mov_b32_e32 v16, 0x7f800001
	s_mov_b32 s18, exec_lo
	v_cmpx_ne_u32_e32 0x7f, v23
	s_cbranch_execz .LBB376_1535
; %bb.1532:                             ;   in Loop: Header=BB376_934 Depth=1
	v_lshrrev_b32_e32 v10, 3, v23
	v_cmp_gt_u32_e64 s4, 8, v23
	v_mov_b32_e32 v24, v21
	v_mov_b32_e32 v23, v20
	s_and_saveexec_b32 s20, s4
; %bb.1533:                             ;   in Loop: Header=BB376_934 Depth=1
	v_and_b32_e32 v10, 7, v20
	v_ffbh_u32_e32 v10, v10
	v_min_u32_e32 v10, 32, v10
	v_subrev_nc_u32_e32 v16, 28, v10
	v_sub_nc_u32_e32 v10, 29, v10
	v_lshlrev_b64 v[23:24], v16, v[20:21]
; %bb.1534:                             ;   in Loop: Header=BB376_934 Depth=1
	s_or_b32 exec_lo, exec_lo, s20
	v_lshlrev_b32_e32 v16, 20, v23
	v_lshlrev_b32_e32 v23, 24, v20
	v_lshl_add_u32 v10, v10, 23, 0x3c000000
	v_and_b32_e32 v16, 0x700000, v16
	v_and_b32_e32 v23, 0x80000000, v23
	v_or3_b32 v16, v16, v23, v10
.LBB376_1535:                           ;   in Loop: Header=BB376_934 Depth=1
	s_or_b32 exec_lo, exec_lo, s18
.LBB376_1536:                           ;   in Loop: Header=BB376_934 Depth=1
	s_or_b32 exec_lo, exec_lo, s17
.LBB376_1537:                           ;   in Loop: Header=BB376_934 Depth=1
	s_or_b32 exec_lo, exec_lo, s16
	v_cmp_ne_u16_sdwa s4, v20, v11 src0_sel:BYTE_1 src1_sel:DWORD
	s_and_saveexec_b32 s16, s4
	s_cbranch_execz .LBB376_1545
; %bb.1538:                             ;   in Loop: Header=BB376_934 Depth=1
	v_cmp_ne_u16_sdwa s4, v20, v80 src0_sel:BYTE_1 src1_sel:DWORD
	v_bfrev_b32_e32 v36, 1
	s_and_saveexec_b32 s17, s4
	s_cbranch_execz .LBB376_1544
; %bb.1539:                             ;   in Loop: Header=BB376_934 Depth=1
	v_mov_b32_e32 v10, 0xffff
	v_mov_b32_e32 v36, 0x7f800001
	s_mov_b32 s18, exec_lo
	v_and_b32_sdwa v10, v10, v20 dst_sel:DWORD dst_unused:UNUSED_PAD src0_sel:DWORD src1_sel:BYTE_1
	v_and_b32_e32 v23, 0x7f, v10
	v_cmpx_ne_u32_e32 0x7f, v23
	s_cbranch_execz .LBB376_1543
; %bb.1540:                             ;   in Loop: Header=BB376_934 Depth=1
	v_and_b32_e32 v10, 7, v10
	v_lshrrev_b32_e32 v32, 3, v23
	v_cmp_gt_u32_e64 s4, 8, v23
	v_mov_b32_e32 v24, v11
	v_mov_b32_e32 v23, v10
	s_and_saveexec_b32 s20, s4
; %bb.1541:                             ;   in Loop: Header=BB376_934 Depth=1
	v_ffbh_u32_e32 v23, v10
	v_min_u32_e32 v32, 32, v23
	v_subrev_nc_u32_e32 v23, 28, v32
	v_sub_nc_u32_e32 v32, 29, v32
	v_lshlrev_b64 v[23:24], v23, v[10:11]
	v_and_b32_e32 v23, 7, v23
; %bb.1542:                             ;   in Loop: Header=BB376_934 Depth=1
	s_or_b32 exec_lo, exec_lo, s20
	v_lshlrev_b32_e32 v10, 16, v20
	v_lshlrev_b32_e32 v23, 20, v23
	v_lshl_add_u32 v24, v32, 23, 0x3c000000
	v_and_b32_e32 v10, 0x80000000, v10
	v_or3_b32 v36, v23, v10, v24
.LBB376_1543:                           ;   in Loop: Header=BB376_934 Depth=1
	s_or_b32 exec_lo, exec_lo, s18
.LBB376_1544:                           ;   in Loop: Header=BB376_934 Depth=1
	s_or_b32 exec_lo, exec_lo, s17
.LBB376_1545:                           ;   in Loop: Header=BB376_934 Depth=1
	s_or_b32 exec_lo, exec_lo, s16
	v_and_b32_sdwa v10, v20, v82 dst_sel:DWORD dst_unused:UNUSED_PAD src0_sel:WORD_1 src1_sel:DWORD
	v_mov_b32_e32 v34, 0
	v_mov_b32_e32 v35, 0
	s_mov_b32 s16, exec_lo
	v_cmpx_ne_u16_e32 0, v10
	s_cbranch_execz .LBB376_1553
; %bb.1546:                             ;   in Loop: Header=BB376_934 Depth=1
	v_bfrev_b32_e32 v35, 1
	s_mov_b32 s17, exec_lo
	v_cmpx_ne_u16_e32 0x80, v10
	s_cbranch_execz .LBB376_1552
; %bb.1547:                             ;   in Loop: Header=BB376_934 Depth=1
	v_bfe_u32 v23, v20, 16, 7
	v_mov_b32_e32 v35, 0x7f800001
	s_mov_b32 s18, exec_lo
	v_cmpx_ne_u32_e32 0x7f, v23
	s_cbranch_execz .LBB376_1551
; %bb.1548:                             ;   in Loop: Header=BB376_934 Depth=1
	v_mov_b32_e32 v10, 7
	v_lshrrev_b32_e32 v32, 3, v23
	v_cmp_gt_u32_e64 s4, 8, v23
	v_and_b32_sdwa v10, v20, v10 dst_sel:DWORD dst_unused:UNUSED_PAD src0_sel:WORD_1 src1_sel:DWORD
	v_mov_b32_e32 v24, v11
	v_mov_b32_e32 v23, v10
	s_and_saveexec_b32 s20, s4
; %bb.1549:                             ;   in Loop: Header=BB376_934 Depth=1
	v_ffbh_u32_e32 v23, v10
	v_min_u32_e32 v32, 32, v23
	v_subrev_nc_u32_e32 v23, 28, v32
	v_sub_nc_u32_e32 v32, 29, v32
	v_lshlrev_b64 v[23:24], v23, v[10:11]
	v_and_b32_e32 v23, 7, v23
; %bb.1550:                             ;   in Loop: Header=BB376_934 Depth=1
	s_or_b32 exec_lo, exec_lo, s20
	v_mov_b32_e32 v10, 24
	v_lshlrev_b32_e32 v23, 20, v23
	v_lshl_add_u32 v24, v32, 23, 0x3c000000
	v_lshlrev_b32_sdwa v10, v10, v20 dst_sel:DWORD dst_unused:UNUSED_PAD src0_sel:DWORD src1_sel:WORD_1
	v_and_b32_e32 v10, 0x80000000, v10
	v_or3_b32 v35, v23, v10, v24
.LBB376_1551:                           ;   in Loop: Header=BB376_934 Depth=1
	s_or_b32 exec_lo, exec_lo, s18
.LBB376_1552:                           ;   in Loop: Header=BB376_934 Depth=1
	s_or_b32 exec_lo, exec_lo, s17
.LBB376_1553:                           ;   in Loop: Header=BB376_934 Depth=1
	s_or_b32 exec_lo, exec_lo, s16
	s_mov_b32 s16, exec_lo
	v_cmpx_lt_u32_e32 0xffffff, v20
	s_cbranch_execz .LBB376_1561
; %bb.1554:                             ;   in Loop: Header=BB376_934 Depth=1
	v_cmp_ne_u32_sdwa s4, v20, v80 src0_sel:BYTE_3 src1_sel:DWORD
	v_bfrev_b32_e32 v34, 1
	s_and_saveexec_b32 s17, s4
	s_cbranch_execz .LBB376_1560
; %bb.1555:                             ;   in Loop: Header=BB376_934 Depth=1
	v_bfe_u32 v23, v20, 24, 7
	v_mov_b32_e32 v34, 0x7f800001
	s_mov_b32 s18, exec_lo
	v_cmpx_ne_u32_e32 0x7f, v23
	s_cbranch_execz .LBB376_1559
; %bb.1556:                             ;   in Loop: Header=BB376_934 Depth=1
	v_mov_b32_e32 v10, 7
	v_lshrrev_b32_e32 v32, 3, v23
	v_cmp_gt_u32_e64 s4, 8, v23
	v_and_b32_sdwa v10, v20, v10 dst_sel:DWORD dst_unused:UNUSED_PAD src0_sel:BYTE_3 src1_sel:DWORD
	v_mov_b32_e32 v24, v11
	v_mov_b32_e32 v23, v10
	s_and_saveexec_b32 s20, s4
; %bb.1557:                             ;   in Loop: Header=BB376_934 Depth=1
	v_ffbh_u32_e32 v23, v10
	v_min_u32_e32 v32, 32, v23
	v_subrev_nc_u32_e32 v23, 28, v32
	v_sub_nc_u32_e32 v32, 29, v32
	v_lshlrev_b64 v[23:24], v23, v[10:11]
	v_and_b32_e32 v23, 7, v23
; %bb.1558:                             ;   in Loop: Header=BB376_934 Depth=1
	s_or_b32 exec_lo, exec_lo, s20
	v_mov_b32_e32 v10, 24
	v_lshlrev_b32_e32 v23, 20, v23
	v_lshl_add_u32 v24, v32, 23, 0x3c000000
	v_lshlrev_b32_sdwa v10, v10, v20 dst_sel:DWORD dst_unused:UNUSED_PAD src0_sel:DWORD src1_sel:BYTE_3
	v_and_b32_e32 v10, 0x80000000, v10
	v_or3_b32 v34, v23, v10, v24
.LBB376_1559:                           ;   in Loop: Header=BB376_934 Depth=1
	s_or_b32 exec_lo, exec_lo, s18
.LBB376_1560:                           ;   in Loop: Header=BB376_934 Depth=1
	s_or_b32 exec_lo, exec_lo, s17
.LBB376_1561:                           ;   in Loop: Header=BB376_934 Depth=1
	s_or_b32 exec_lo, exec_lo, s16
	v_mov_b32_e32 v10, v21
	v_cmp_ne_u16_sdwa s4, v21, v11 src0_sel:BYTE_0 src1_sel:DWORD
	v_mov_b32_e32 v32, 0
	v_mov_b32_e32 v33, 0
	s_and_saveexec_b32 s16, s4
	s_cbranch_execz .LBB376_1569
; %bb.1562:                             ;   in Loop: Header=BB376_934 Depth=1
	v_cmp_ne_u16_sdwa s4, v21, v80 src0_sel:BYTE_0 src1_sel:DWORD
	v_bfrev_b32_e32 v33, 1
	s_and_saveexec_b32 s17, s4
	s_cbranch_execz .LBB376_1568
; %bb.1563:                             ;   in Loop: Header=BB376_934 Depth=1
	v_and_b32_e32 v23, 0x7f, v21
	v_mov_b32_e32 v33, 0x7f800001
	s_mov_b32 s18, exec_lo
	v_cmpx_ne_u32_e32 0x7f, v23
	s_cbranch_execz .LBB376_1567
; %bb.1564:                             ;   in Loop: Header=BB376_934 Depth=1
	v_lshrrev_b32_e32 v33, 3, v23
	v_cmp_gt_u32_e64 s4, 8, v23
	v_mov_b32_e32 v24, v11
	v_mov_b32_e32 v23, v10
	s_and_saveexec_b32 s20, s4
; %bb.1565:                             ;   in Loop: Header=BB376_934 Depth=1
	v_and_b32_e32 v23, 7, v21
	v_ffbh_u32_e32 v23, v23
	v_min_u32_e32 v33, 32, v23
	v_subrev_nc_u32_e32 v23, 28, v33
	v_sub_nc_u32_e32 v33, 29, v33
	v_lshlrev_b64 v[23:24], v23, v[10:11]
; %bb.1566:                             ;   in Loop: Header=BB376_934 Depth=1
	s_or_b32 exec_lo, exec_lo, s20
	v_lshlrev_b32_e32 v23, 20, v23
	v_lshlrev_b32_e32 v24, 24, v10
	v_lshl_add_u32 v33, v33, 23, 0x3c000000
	v_and_b32_e32 v23, 0x700000, v23
	v_and_b32_e32 v24, 0x80000000, v24
	v_or3_b32 v33, v23, v24, v33
.LBB376_1567:                           ;   in Loop: Header=BB376_934 Depth=1
	s_or_b32 exec_lo, exec_lo, s18
.LBB376_1568:                           ;   in Loop: Header=BB376_934 Depth=1
	s_or_b32 exec_lo, exec_lo, s17
.LBB376_1569:                           ;   in Loop: Header=BB376_934 Depth=1
	s_or_b32 exec_lo, exec_lo, s16
	v_cmp_ne_u16_sdwa s4, v10, v11 src0_sel:BYTE_1 src1_sel:DWORD
	s_and_saveexec_b32 s16, s4
	s_cbranch_execz .LBB376_1577
; %bb.1570:                             ;   in Loop: Header=BB376_934 Depth=1
	v_cmp_ne_u16_sdwa s4, v10, v80 src0_sel:BYTE_1 src1_sel:DWORD
	v_bfrev_b32_e32 v32, 1
	s_and_saveexec_b32 s17, s4
	s_cbranch_execz .LBB376_1576
; %bb.1571:                             ;   in Loop: Header=BB376_934 Depth=1
	v_mov_b32_e32 v23, 0xffff
	v_mov_b32_e32 v32, 0x7f800001
	s_mov_b32 s18, exec_lo
	v_and_b32_sdwa v23, v23, v10 dst_sel:DWORD dst_unused:UNUSED_PAD src0_sel:DWORD src1_sel:BYTE_1
	v_and_b32_e32 v50, 0x7f, v23
	v_cmpx_ne_u32_e32 0x7f, v50
	s_cbranch_execz .LBB376_1575
; %bb.1572:                             ;   in Loop: Header=BB376_934 Depth=1
	v_and_b32_e32 v23, 7, v23
	v_mov_b32_e32 v24, v11
	v_lshrrev_b32_e32 v32, 3, v50
	s_mov_b32 s20, exec_lo
	v_cmpx_gt_u32_e32 8, v50
; %bb.1573:                             ;   in Loop: Header=BB376_934 Depth=1
	v_ffbh_u32_e32 v32, v23
	v_min_u32_e32 v32, 32, v32
	v_subrev_nc_u32_e32 v50, 28, v32
	v_sub_nc_u32_e32 v32, 29, v32
	v_lshlrev_b64 v[23:24], v50, v[23:24]
	v_and_b32_e32 v23, 7, v23
; %bb.1574:                             ;   in Loop: Header=BB376_934 Depth=1
	s_or_b32 exec_lo, exec_lo, s20
	v_lshlrev_b32_e32 v10, 16, v10
	v_lshlrev_b32_e32 v23, 20, v23
	v_lshl_add_u32 v24, v32, 23, 0x3c000000
	v_and_b32_e32 v10, 0x80000000, v10
	v_or3_b32 v32, v23, v10, v24
.LBB376_1575:                           ;   in Loop: Header=BB376_934 Depth=1
	s_or_b32 exec_lo, exec_lo, s18
.LBB376_1576:                           ;   in Loop: Header=BB376_934 Depth=1
	s_or_b32 exec_lo, exec_lo, s17
.LBB376_1577:                           ;   in Loop: Header=BB376_934 Depth=1
	s_or_b32 exec_lo, exec_lo, s16
	v_and_b32_sdwa v10, v21, v82 dst_sel:DWORD dst_unused:UNUSED_PAD src0_sel:WORD_1 src1_sel:DWORD
	v_mov_b32_e32 v50, 0
	v_mov_b32_e32 v51, 0
	s_mov_b32 s16, exec_lo
	v_cmpx_ne_u16_e32 0, v10
	s_cbranch_execz .LBB376_1585
; %bb.1578:                             ;   in Loop: Header=BB376_934 Depth=1
	v_bfrev_b32_e32 v51, 1
	s_mov_b32 s17, exec_lo
	v_cmpx_ne_u16_e32 0x80, v10
	s_cbranch_execz .LBB376_1584
; %bb.1579:                             ;   in Loop: Header=BB376_934 Depth=1
	v_bfe_u32 v23, v21, 16, 7
	v_mov_b32_e32 v51, 0x7f800001
	s_mov_b32 s18, exec_lo
	v_cmpx_ne_u32_e32 0x7f, v23
	s_cbranch_execz .LBB376_1583
; %bb.1580:                             ;   in Loop: Header=BB376_934 Depth=1
	v_mov_b32_e32 v10, 7
	v_lshrrev_b32_e32 v51, 3, v23
	v_cmp_gt_u32_e64 s4, 8, v23
	v_and_b32_sdwa v10, v21, v10 dst_sel:DWORD dst_unused:UNUSED_PAD src0_sel:WORD_1 src1_sel:DWORD
	v_mov_b32_e32 v24, v11
	v_mov_b32_e32 v23, v10
	s_and_saveexec_b32 s20, s4
; %bb.1581:                             ;   in Loop: Header=BB376_934 Depth=1
	v_ffbh_u32_e32 v23, v10
	v_min_u32_e32 v51, 32, v23
	v_subrev_nc_u32_e32 v23, 28, v51
	v_sub_nc_u32_e32 v51, 29, v51
	v_lshlrev_b64 v[23:24], v23, v[10:11]
	v_and_b32_e32 v23, 7, v23
; %bb.1582:                             ;   in Loop: Header=BB376_934 Depth=1
	s_or_b32 exec_lo, exec_lo, s20
	v_mov_b32_e32 v10, 24
	v_lshlrev_b32_e32 v23, 20, v23
	v_lshl_add_u32 v24, v51, 23, 0x3c000000
	v_lshlrev_b32_sdwa v10, v10, v21 dst_sel:DWORD dst_unused:UNUSED_PAD src0_sel:DWORD src1_sel:WORD_1
	v_and_b32_e32 v10, 0x80000000, v10
	v_or3_b32 v51, v23, v10, v24
.LBB376_1583:                           ;   in Loop: Header=BB376_934 Depth=1
	s_or_b32 exec_lo, exec_lo, s18
.LBB376_1584:                           ;   in Loop: Header=BB376_934 Depth=1
	s_or_b32 exec_lo, exec_lo, s17
.LBB376_1585:                           ;   in Loop: Header=BB376_934 Depth=1
	s_or_b32 exec_lo, exec_lo, s16
	s_mov_b32 s16, exec_lo
	v_cmpx_lt_u64_e64 s[12:13], v[20:21]
	s_cbranch_execz .LBB376_1593
; %bb.1586:                             ;   in Loop: Header=BB376_934 Depth=1
	v_cmp_ne_u32_sdwa s4, v21, v80 src0_sel:BYTE_3 src1_sel:DWORD
	v_bfrev_b32_e32 v50, 1
	s_and_saveexec_b32 s17, s4
	s_cbranch_execz .LBB376_1592
; %bb.1587:                             ;   in Loop: Header=BB376_934 Depth=1
	v_bfe_u32 v23, v21, 24, 7
	v_mov_b32_e32 v50, 0x7f800001
	s_mov_b32 s18, exec_lo
	v_cmpx_ne_u32_e32 0x7f, v23
	s_cbranch_execz .LBB376_1591
; %bb.1588:                             ;   in Loop: Header=BB376_934 Depth=1
	v_mov_b32_e32 v10, 7
	v_lshrrev_b32_e32 v20, 3, v23
	v_cmp_gt_u32_e64 s4, 8, v23
	v_and_b32_sdwa v10, v21, v10 dst_sel:DWORD dst_unused:UNUSED_PAD src0_sel:BYTE_3 src1_sel:DWORD
	v_mov_b32_e32 v24, v11
	v_mov_b32_e32 v23, v10
	s_and_saveexec_b32 s20, s4
; %bb.1589:                             ;   in Loop: Header=BB376_934 Depth=1
	v_ffbh_u32_e32 v20, v10
	v_min_u32_e32 v20, 32, v20
	v_subrev_nc_u32_e32 v23, 28, v20
	v_sub_nc_u32_e32 v20, 29, v20
	v_lshlrev_b64 v[23:24], v23, v[10:11]
	v_and_b32_e32 v23, 7, v23
; %bb.1590:                             ;   in Loop: Header=BB376_934 Depth=1
	s_or_b32 exec_lo, exec_lo, s20
	v_mov_b32_e32 v10, 24
	v_lshl_add_u32 v20, v20, 23, 0x3c000000
	v_lshlrev_b32_sdwa v10, v10, v21 dst_sel:DWORD dst_unused:UNUSED_PAD src0_sel:DWORD src1_sel:BYTE_3
	v_lshlrev_b32_e32 v21, 20, v23
	v_and_b32_e32 v10, 0x80000000, v10
	v_or3_b32 v50, v21, v10, v20
.LBB376_1591:                           ;   in Loop: Header=BB376_934 Depth=1
	s_or_b32 exec_lo, exec_lo, s18
.LBB376_1592:                           ;   in Loop: Header=BB376_934 Depth=1
	s_or_b32 exec_lo, exec_lo, s17
.LBB376_1593:                           ;   in Loop: Header=BB376_934 Depth=1
	s_or_b32 exec_lo, exec_lo, s16
	v_mul_f32_e32 v10, v56, v32
	v_bfe_u32 v20, v10, 16, 1
	v_or_b32_e32 v21, 0x400000, v10
	v_cmp_u_f32_e64 s4, v10, v10
	v_add3_u32 v20, v20, v10, 0x7fff
	v_cndmask_b32_e64 v10, v20, v21, s4
	v_lshrrev_b32_e32 v32, 16, v10
	v_mul_f32_e32 v10, v56, v33
	v_bfe_u32 v20, v10, 16, 1
	v_or_b32_e32 v21, 0x400000, v10
	v_cmp_u_f32_e64 s4, v10, v10
	v_add3_u32 v20, v20, v10, 0x7fff
	v_cndmask_b32_e64 v10, v20, v21, s4
	v_lshrrev_b32_e32 v33, 16, v10
	;; [unrolled: 7-line block ×8, first 2 shown]
	s_and_saveexec_b32 s16, vcc_lo
	s_cbranch_execz .LBB376_1595
; %bb.1594:                             ;   in Loop: Header=BB376_934 Depth=1
	v_cmp_lt_i32_e64 s4, v61, v38
	v_cndmask_b32_e64 v64, 0, v64, s4
	v_cmp_lt_i32_e64 s4, v78, v38
	v_cndmask_b32_e64 v55, 0, v55, s4
	;; [unrolled: 2-line block ×8, first 2 shown]
.LBB376_1595:                           ;   in Loop: Header=BB376_934 Depth=1
	s_or_b32 exec_lo, exec_lo, s16
	flat_load_dwordx2 v[20:21], v[18:19] offset:512
	v_mov_b32_e32 v50, 0
	v_mov_b32_e32 v16, 0
	s_waitcnt vmcnt(0) lgkmcnt(0)
	v_cmp_ne_u16_sdwa s4, v20, v11 src0_sel:BYTE_0 src1_sel:DWORD
	s_and_saveexec_b32 s16, s4
	s_cbranch_execz .LBB376_1603
; %bb.1596:                             ;   in Loop: Header=BB376_934 Depth=1
	v_cmp_ne_u16_sdwa s4, v20, v80 src0_sel:BYTE_0 src1_sel:DWORD
	v_bfrev_b32_e32 v16, 1
	s_and_saveexec_b32 s17, s4
	s_cbranch_execz .LBB376_1602
; %bb.1597:                             ;   in Loop: Header=BB376_934 Depth=1
	v_and_b32_e32 v23, 0x7f, v20
	v_mov_b32_e32 v16, 0x7f800001
	s_mov_b32 s18, exec_lo
	v_cmpx_ne_u32_e32 0x7f, v23
	s_cbranch_execz .LBB376_1601
; %bb.1598:                             ;   in Loop: Header=BB376_934 Depth=1
	v_lshrrev_b32_e32 v10, 3, v23
	v_cmp_gt_u32_e64 s4, 8, v23
	v_mov_b32_e32 v24, v21
	v_mov_b32_e32 v23, v20
	s_and_saveexec_b32 s20, s4
; %bb.1599:                             ;   in Loop: Header=BB376_934 Depth=1
	v_and_b32_e32 v10, 7, v20
	v_ffbh_u32_e32 v10, v10
	v_min_u32_e32 v10, 32, v10
	v_subrev_nc_u32_e32 v16, 28, v10
	v_sub_nc_u32_e32 v10, 29, v10
	v_lshlrev_b64 v[23:24], v16, v[20:21]
; %bb.1600:                             ;   in Loop: Header=BB376_934 Depth=1
	s_or_b32 exec_lo, exec_lo, s20
	v_lshlrev_b32_e32 v16, 20, v23
	v_lshlrev_b32_e32 v23, 24, v20
	v_lshl_add_u32 v10, v10, 23, 0x3c000000
	v_and_b32_e32 v16, 0x700000, v16
	v_and_b32_e32 v23, 0x80000000, v23
	v_or3_b32 v16, v16, v23, v10
.LBB376_1601:                           ;   in Loop: Header=BB376_934 Depth=1
	s_or_b32 exec_lo, exec_lo, s18
.LBB376_1602:                           ;   in Loop: Header=BB376_934 Depth=1
	s_or_b32 exec_lo, exec_lo, s17
.LBB376_1603:                           ;   in Loop: Header=BB376_934 Depth=1
	s_or_b32 exec_lo, exec_lo, s16
	v_cmp_ne_u16_sdwa s4, v20, v11 src0_sel:BYTE_1 src1_sel:DWORD
	s_and_saveexec_b32 s16, s4
	s_cbranch_execz .LBB376_1611
; %bb.1604:                             ;   in Loop: Header=BB376_934 Depth=1
	v_cmp_ne_u16_sdwa s4, v20, v80 src0_sel:BYTE_1 src1_sel:DWORD
	v_bfrev_b32_e32 v50, 1
	s_and_saveexec_b32 s17, s4
	s_cbranch_execz .LBB376_1610
; %bb.1605:                             ;   in Loop: Header=BB376_934 Depth=1
	v_mov_b32_e32 v10, 0xffff
	v_mov_b32_e32 v50, 0x7f800001
	s_mov_b32 s18, exec_lo
	v_and_b32_sdwa v10, v10, v20 dst_sel:DWORD dst_unused:UNUSED_PAD src0_sel:DWORD src1_sel:BYTE_1
	v_and_b32_e32 v23, 0x7f, v10
	v_cmpx_ne_u32_e32 0x7f, v23
	s_cbranch_execz .LBB376_1609
; %bb.1606:                             ;   in Loop: Header=BB376_934 Depth=1
	v_and_b32_e32 v10, 7, v10
	v_lshrrev_b32_e32 v50, 3, v23
	v_cmp_gt_u32_e64 s4, 8, v23
	v_mov_b32_e32 v24, v11
	v_mov_b32_e32 v23, v10
	s_and_saveexec_b32 s20, s4
; %bb.1607:                             ;   in Loop: Header=BB376_934 Depth=1
	v_ffbh_u32_e32 v23, v10
	v_min_u32_e32 v50, 32, v23
	v_subrev_nc_u32_e32 v23, 28, v50
	v_sub_nc_u32_e32 v50, 29, v50
	v_lshlrev_b64 v[23:24], v23, v[10:11]
	v_and_b32_e32 v23, 7, v23
; %bb.1608:                             ;   in Loop: Header=BB376_934 Depth=1
	s_or_b32 exec_lo, exec_lo, s20
	v_lshlrev_b32_e32 v10, 16, v20
	v_lshlrev_b32_e32 v23, 20, v23
	v_lshl_add_u32 v24, v50, 23, 0x3c000000
	v_and_b32_e32 v10, 0x80000000, v10
	v_or3_b32 v50, v23, v10, v24
.LBB376_1609:                           ;   in Loop: Header=BB376_934 Depth=1
	s_or_b32 exec_lo, exec_lo, s18
.LBB376_1610:                           ;   in Loop: Header=BB376_934 Depth=1
	s_or_b32 exec_lo, exec_lo, s17
.LBB376_1611:                           ;   in Loop: Header=BB376_934 Depth=1
	s_or_b32 exec_lo, exec_lo, s16
	v_and_b32_sdwa v10, v20, v82 dst_sel:DWORD dst_unused:UNUSED_PAD src0_sel:WORD_1 src1_sel:DWORD
	v_mov_b32_e32 v53, 0
	v_mov_b32_e32 v51, 0
	s_mov_b32 s16, exec_lo
	v_cmpx_ne_u16_e32 0, v10
	s_cbranch_execz .LBB376_1619
; %bb.1612:                             ;   in Loop: Header=BB376_934 Depth=1
	v_bfrev_b32_e32 v51, 1
	s_mov_b32 s17, exec_lo
	v_cmpx_ne_u16_e32 0x80, v10
	s_cbranch_execz .LBB376_1618
; %bb.1613:                             ;   in Loop: Header=BB376_934 Depth=1
	v_bfe_u32 v23, v20, 16, 7
	v_mov_b32_e32 v51, 0x7f800001
	s_mov_b32 s18, exec_lo
	v_cmpx_ne_u32_e32 0x7f, v23
	s_cbranch_execz .LBB376_1617
; %bb.1614:                             ;   in Loop: Header=BB376_934 Depth=1
	v_mov_b32_e32 v10, 7
	v_lshrrev_b32_e32 v51, 3, v23
	v_cmp_gt_u32_e64 s4, 8, v23
	v_and_b32_sdwa v10, v20, v10 dst_sel:DWORD dst_unused:UNUSED_PAD src0_sel:WORD_1 src1_sel:DWORD
	v_mov_b32_e32 v24, v11
	v_mov_b32_e32 v23, v10
	s_and_saveexec_b32 s20, s4
; %bb.1615:                             ;   in Loop: Header=BB376_934 Depth=1
	v_ffbh_u32_e32 v23, v10
	v_min_u32_e32 v51, 32, v23
	v_subrev_nc_u32_e32 v23, 28, v51
	v_sub_nc_u32_e32 v51, 29, v51
	v_lshlrev_b64 v[23:24], v23, v[10:11]
	v_and_b32_e32 v23, 7, v23
; %bb.1616:                             ;   in Loop: Header=BB376_934 Depth=1
	s_or_b32 exec_lo, exec_lo, s20
	v_mov_b32_e32 v10, 24
	v_lshlrev_b32_e32 v23, 20, v23
	v_lshl_add_u32 v24, v51, 23, 0x3c000000
	v_lshlrev_b32_sdwa v10, v10, v20 dst_sel:DWORD dst_unused:UNUSED_PAD src0_sel:DWORD src1_sel:WORD_1
	v_and_b32_e32 v10, 0x80000000, v10
	v_or3_b32 v51, v23, v10, v24
.LBB376_1617:                           ;   in Loop: Header=BB376_934 Depth=1
	s_or_b32 exec_lo, exec_lo, s18
.LBB376_1618:                           ;   in Loop: Header=BB376_934 Depth=1
	s_or_b32 exec_lo, exec_lo, s17
.LBB376_1619:                           ;   in Loop: Header=BB376_934 Depth=1
	s_or_b32 exec_lo, exec_lo, s16
	s_mov_b32 s16, exec_lo
	v_cmpx_lt_u32_e32 0xffffff, v20
	s_cbranch_execz .LBB376_1627
; %bb.1620:                             ;   in Loop: Header=BB376_934 Depth=1
	v_cmp_ne_u32_sdwa s4, v20, v80 src0_sel:BYTE_3 src1_sel:DWORD
	v_bfrev_b32_e32 v53, 1
	s_and_saveexec_b32 s17, s4
	s_cbranch_execz .LBB376_1626
; %bb.1621:                             ;   in Loop: Header=BB376_934 Depth=1
	v_bfe_u32 v23, v20, 24, 7
	v_mov_b32_e32 v53, 0x7f800001
	s_mov_b32 s18, exec_lo
	v_cmpx_ne_u32_e32 0x7f, v23
	s_cbranch_execz .LBB376_1625
; %bb.1622:                             ;   in Loop: Header=BB376_934 Depth=1
	v_mov_b32_e32 v10, 7
	v_lshrrev_b32_e32 v53, 3, v23
	v_cmp_gt_u32_e64 s4, 8, v23
	v_and_b32_sdwa v10, v20, v10 dst_sel:DWORD dst_unused:UNUSED_PAD src0_sel:BYTE_3 src1_sel:DWORD
	v_mov_b32_e32 v24, v11
	v_mov_b32_e32 v23, v10
	s_and_saveexec_b32 s20, s4
; %bb.1623:                             ;   in Loop: Header=BB376_934 Depth=1
	v_ffbh_u32_e32 v23, v10
	v_min_u32_e32 v53, 32, v23
	v_subrev_nc_u32_e32 v23, 28, v53
	v_sub_nc_u32_e32 v53, 29, v53
	v_lshlrev_b64 v[23:24], v23, v[10:11]
	v_and_b32_e32 v23, 7, v23
; %bb.1624:                             ;   in Loop: Header=BB376_934 Depth=1
	s_or_b32 exec_lo, exec_lo, s20
	v_mov_b32_e32 v10, 24
	v_lshlrev_b32_e32 v23, 20, v23
	v_lshl_add_u32 v24, v53, 23, 0x3c000000
	v_lshlrev_b32_sdwa v10, v10, v20 dst_sel:DWORD dst_unused:UNUSED_PAD src0_sel:DWORD src1_sel:BYTE_3
	v_and_b32_e32 v10, 0x80000000, v10
	v_or3_b32 v53, v23, v10, v24
.LBB376_1625:                           ;   in Loop: Header=BB376_934 Depth=1
	s_or_b32 exec_lo, exec_lo, s18
.LBB376_1626:                           ;   in Loop: Header=BB376_934 Depth=1
	s_or_b32 exec_lo, exec_lo, s17
.LBB376_1627:                           ;   in Loop: Header=BB376_934 Depth=1
	s_or_b32 exec_lo, exec_lo, s16
	v_mov_b32_e32 v10, v21
	v_cmp_ne_u16_sdwa s4, v21, v11 src0_sel:BYTE_0 src1_sel:DWORD
	v_mov_b32_e32 v66, 0
	v_mov_b32_e32 v54, 0
	s_and_saveexec_b32 s16, s4
	s_cbranch_execz .LBB376_1635
; %bb.1628:                             ;   in Loop: Header=BB376_934 Depth=1
	v_cmp_ne_u16_sdwa s4, v21, v80 src0_sel:BYTE_0 src1_sel:DWORD
	v_bfrev_b32_e32 v54, 1
	s_and_saveexec_b32 s17, s4
	s_cbranch_execz .LBB376_1634
; %bb.1629:                             ;   in Loop: Header=BB376_934 Depth=1
	v_and_b32_e32 v23, 0x7f, v21
	v_mov_b32_e32 v54, 0x7f800001
	s_mov_b32 s18, exec_lo
	v_cmpx_ne_u32_e32 0x7f, v23
	s_cbranch_execz .LBB376_1633
; %bb.1630:                             ;   in Loop: Header=BB376_934 Depth=1
	v_lshrrev_b32_e32 v54, 3, v23
	v_cmp_gt_u32_e64 s4, 8, v23
	v_mov_b32_e32 v24, v11
	v_mov_b32_e32 v23, v10
	s_and_saveexec_b32 s20, s4
; %bb.1631:                             ;   in Loop: Header=BB376_934 Depth=1
	v_and_b32_e32 v23, 7, v21
	v_ffbh_u32_e32 v23, v23
	v_min_u32_e32 v54, 32, v23
	v_subrev_nc_u32_e32 v23, 28, v54
	v_sub_nc_u32_e32 v54, 29, v54
	v_lshlrev_b64 v[23:24], v23, v[10:11]
; %bb.1632:                             ;   in Loop: Header=BB376_934 Depth=1
	s_or_b32 exec_lo, exec_lo, s20
	v_lshlrev_b32_e32 v23, 20, v23
	v_lshlrev_b32_e32 v24, 24, v10
	v_lshl_add_u32 v54, v54, 23, 0x3c000000
	v_and_b32_e32 v23, 0x700000, v23
	v_and_b32_e32 v24, 0x80000000, v24
	v_or3_b32 v54, v23, v24, v54
.LBB376_1633:                           ;   in Loop: Header=BB376_934 Depth=1
	s_or_b32 exec_lo, exec_lo, s18
.LBB376_1634:                           ;   in Loop: Header=BB376_934 Depth=1
	s_or_b32 exec_lo, exec_lo, s17
.LBB376_1635:                           ;   in Loop: Header=BB376_934 Depth=1
	s_or_b32 exec_lo, exec_lo, s16
	v_cmp_ne_u16_sdwa s4, v10, v11 src0_sel:BYTE_1 src1_sel:DWORD
	s_and_saveexec_b32 s16, s4
	s_cbranch_execz .LBB376_1643
; %bb.1636:                             ;   in Loop: Header=BB376_934 Depth=1
	v_cmp_ne_u16_sdwa s4, v10, v80 src0_sel:BYTE_1 src1_sel:DWORD
	v_bfrev_b32_e32 v66, 1
	s_and_saveexec_b32 s17, s4
	s_cbranch_execz .LBB376_1642
; %bb.1637:                             ;   in Loop: Header=BB376_934 Depth=1
	v_mov_b32_e32 v23, 0xffff
	v_mov_b32_e32 v66, 0x7f800001
	s_mov_b32 s18, exec_lo
	v_and_b32_sdwa v23, v23, v10 dst_sel:DWORD dst_unused:UNUSED_PAD src0_sel:DWORD src1_sel:BYTE_1
	v_and_b32_e32 v67, 0x7f, v23
	v_cmpx_ne_u32_e32 0x7f, v67
	s_cbranch_execz .LBB376_1641
; %bb.1638:                             ;   in Loop: Header=BB376_934 Depth=1
	v_and_b32_e32 v23, 7, v23
	v_mov_b32_e32 v24, v11
	v_lshrrev_b32_e32 v66, 3, v67
	s_mov_b32 s20, exec_lo
	v_cmpx_gt_u32_e32 8, v67
; %bb.1639:                             ;   in Loop: Header=BB376_934 Depth=1
	v_ffbh_u32_e32 v66, v23
	v_min_u32_e32 v66, 32, v66
	v_subrev_nc_u32_e32 v67, 28, v66
	v_sub_nc_u32_e32 v66, 29, v66
	v_lshlrev_b64 v[23:24], v67, v[23:24]
	v_and_b32_e32 v23, 7, v23
; %bb.1640:                             ;   in Loop: Header=BB376_934 Depth=1
	s_or_b32 exec_lo, exec_lo, s20
	v_lshlrev_b32_e32 v10, 16, v10
	v_lshlrev_b32_e32 v23, 20, v23
	v_lshl_add_u32 v24, v66, 23, 0x3c000000
	v_and_b32_e32 v10, 0x80000000, v10
	v_or3_b32 v66, v23, v10, v24
.LBB376_1641:                           ;   in Loop: Header=BB376_934 Depth=1
	s_or_b32 exec_lo, exec_lo, s18
.LBB376_1642:                           ;   in Loop: Header=BB376_934 Depth=1
	s_or_b32 exec_lo, exec_lo, s17
.LBB376_1643:                           ;   in Loop: Header=BB376_934 Depth=1
	s_or_b32 exec_lo, exec_lo, s16
	v_and_b32_sdwa v10, v21, v82 dst_sel:DWORD dst_unused:UNUSED_PAD src0_sel:WORD_1 src1_sel:DWORD
	v_mov_b32_e32 v68, 0
	v_mov_b32_e32 v81, 0
	s_mov_b32 s16, exec_lo
	v_cmpx_ne_u16_e32 0, v10
	s_cbranch_execz .LBB376_1651
; %bb.1644:                             ;   in Loop: Header=BB376_934 Depth=1
	v_bfrev_b32_e32 v81, 1
	s_mov_b32 s17, exec_lo
	v_cmpx_ne_u16_e32 0x80, v10
	s_cbranch_execz .LBB376_1650
; %bb.1645:                             ;   in Loop: Header=BB376_934 Depth=1
	v_bfe_u32 v23, v21, 16, 7
	v_mov_b32_e32 v81, 0x7f800001
	s_mov_b32 s18, exec_lo
	v_cmpx_ne_u32_e32 0x7f, v23
	s_cbranch_execz .LBB376_1649
; %bb.1646:                             ;   in Loop: Header=BB376_934 Depth=1
	v_mov_b32_e32 v10, 7
	v_lshrrev_b32_e32 v67, 3, v23
	v_cmp_gt_u32_e64 s4, 8, v23
	v_and_b32_sdwa v10, v21, v10 dst_sel:DWORD dst_unused:UNUSED_PAD src0_sel:WORD_1 src1_sel:DWORD
	v_mov_b32_e32 v24, v11
	v_mov_b32_e32 v23, v10
	s_and_saveexec_b32 s20, s4
; %bb.1647:                             ;   in Loop: Header=BB376_934 Depth=1
	v_ffbh_u32_e32 v23, v10
	v_min_u32_e32 v67, 32, v23
	v_subrev_nc_u32_e32 v23, 28, v67
	v_sub_nc_u32_e32 v67, 29, v67
	v_lshlrev_b64 v[23:24], v23, v[10:11]
	v_and_b32_e32 v23, 7, v23
; %bb.1648:                             ;   in Loop: Header=BB376_934 Depth=1
	s_or_b32 exec_lo, exec_lo, s20
	v_mov_b32_e32 v10, 24
	v_lshlrev_b32_e32 v23, 20, v23
	v_lshl_add_u32 v24, v67, 23, 0x3c000000
	v_lshlrev_b32_sdwa v10, v10, v21 dst_sel:DWORD dst_unused:UNUSED_PAD src0_sel:DWORD src1_sel:WORD_1
	v_and_b32_e32 v10, 0x80000000, v10
	v_or3_b32 v81, v23, v10, v24
.LBB376_1649:                           ;   in Loop: Header=BB376_934 Depth=1
	s_or_b32 exec_lo, exec_lo, s18
.LBB376_1650:                           ;   in Loop: Header=BB376_934 Depth=1
	s_or_b32 exec_lo, exec_lo, s17
.LBB376_1651:                           ;   in Loop: Header=BB376_934 Depth=1
	s_or_b32 exec_lo, exec_lo, s16
	s_mov_b32 s16, exec_lo
	v_cmpx_lt_u64_e64 s[12:13], v[20:21]
	s_cbranch_execz .LBB376_1659
; %bb.1652:                             ;   in Loop: Header=BB376_934 Depth=1
	v_cmp_ne_u32_sdwa s4, v21, v80 src0_sel:BYTE_3 src1_sel:DWORD
	v_bfrev_b32_e32 v68, 1
	s_and_saveexec_b32 s17, s4
	s_cbranch_execz .LBB376_1658
; %bb.1653:                             ;   in Loop: Header=BB376_934 Depth=1
	v_bfe_u32 v23, v21, 24, 7
	v_mov_b32_e32 v68, 0x7f800001
	s_mov_b32 s18, exec_lo
	v_cmpx_ne_u32_e32 0x7f, v23
	s_cbranch_execz .LBB376_1657
; %bb.1654:                             ;   in Loop: Header=BB376_934 Depth=1
	v_mov_b32_e32 v10, 7
	v_lshrrev_b32_e32 v20, 3, v23
	v_cmp_gt_u32_e64 s4, 8, v23
	v_and_b32_sdwa v10, v21, v10 dst_sel:DWORD dst_unused:UNUSED_PAD src0_sel:BYTE_3 src1_sel:DWORD
	v_mov_b32_e32 v24, v11
	v_mov_b32_e32 v23, v10
	s_and_saveexec_b32 s20, s4
; %bb.1655:                             ;   in Loop: Header=BB376_934 Depth=1
	v_ffbh_u32_e32 v20, v10
	v_min_u32_e32 v20, 32, v20
	v_subrev_nc_u32_e32 v23, 28, v20
	v_sub_nc_u32_e32 v20, 29, v20
	v_lshlrev_b64 v[23:24], v23, v[10:11]
	v_and_b32_e32 v23, 7, v23
; %bb.1656:                             ;   in Loop: Header=BB376_934 Depth=1
	s_or_b32 exec_lo, exec_lo, s20
	v_mov_b32_e32 v10, 24
	v_lshl_add_u32 v20, v20, 23, 0x3c000000
	v_lshlrev_b32_sdwa v10, v10, v21 dst_sel:DWORD dst_unused:UNUSED_PAD src0_sel:DWORD src1_sel:BYTE_3
	v_lshlrev_b32_e32 v21, 20, v23
	v_and_b32_e32 v10, 0x80000000, v10
	v_or3_b32 v68, v21, v10, v20
.LBB376_1657:                           ;   in Loop: Header=BB376_934 Depth=1
	s_or_b32 exec_lo, exec_lo, s18
.LBB376_1658:                           ;   in Loop: Header=BB376_934 Depth=1
	s_or_b32 exec_lo, exec_lo, s17
.LBB376_1659:                           ;   in Loop: Header=BB376_934 Depth=1
	s_or_b32 exec_lo, exec_lo, s16
	v_mul_f32_e32 v10, v56, v66
	v_bfe_u32 v20, v10, 16, 1
	v_or_b32_e32 v21, 0x400000, v10
	v_cmp_u_f32_e64 s4, v10, v10
	v_add3_u32 v20, v20, v10, 0x7fff
	v_cndmask_b32_e64 v10, v20, v21, s4
	v_lshrrev_b32_e32 v66, 16, v10
	v_mul_f32_e32 v10, v56, v54
	v_bfe_u32 v20, v10, 16, 1
	v_or_b32_e32 v21, 0x400000, v10
	v_cmp_u_f32_e64 s4, v10, v10
	v_add3_u32 v20, v20, v10, 0x7fff
	v_cndmask_b32_e64 v10, v20, v21, s4
	v_lshrrev_b32_e32 v67, 16, v10
	v_mul_f32_e32 v10, v56, v53
	v_bfe_u32 v20, v10, 16, 1
	v_or_b32_e32 v21, 0x400000, v10
	v_cmp_u_f32_e64 s4, v10, v10
	v_add3_u32 v20, v20, v10, 0x7fff
	v_cndmask_b32_e64 v10, v20, v21, s4
	v_lshrrev_b32_e32 v69, 16, v10
	v_mul_f32_e32 v10, v56, v51
	v_bfe_u32 v20, v10, 16, 1
	v_or_b32_e32 v21, 0x400000, v10
	v_cmp_u_f32_e64 s4, v10, v10
	v_add3_u32 v20, v20, v10, 0x7fff
	v_cndmask_b32_e64 v10, v20, v21, s4
	v_lshrrev_b32_e32 v70, 16, v10
	v_mul_f32_e32 v10, v56, v50
	v_bfe_u32 v20, v10, 16, 1
	v_or_b32_e32 v21, 0x400000, v10
	v_cmp_u_f32_e64 s4, v10, v10
	v_add3_u32 v20, v20, v10, 0x7fff
	v_cndmask_b32_e64 v10, v20, v21, s4
	v_lshrrev_b32_e32 v54, 16, v10
	v_mul_f32_e32 v10, v56, v16
	v_bfe_u32 v16, v10, 16, 1
	v_or_b32_e32 v20, 0x400000, v10
	v_cmp_u_f32_e64 s4, v10, v10
	v_add3_u32 v16, v16, v10, 0x7fff
	v_cndmask_b32_e64 v10, v16, v20, s4
	v_lshrrev_b32_e32 v50, 16, v10
	v_mul_f32_e32 v10, v56, v81
	v_bfe_u32 v16, v10, 16, 1
	v_or_b32_e32 v20, 0x400000, v10
	v_cmp_u_f32_e64 s4, v10, v10
	v_add3_u32 v16, v16, v10, 0x7fff
	v_cndmask_b32_e64 v10, v16, v20, s4
	v_lshrrev_b32_e32 v16, 16, v10
	v_mul_f32_e32 v10, v56, v68
	v_bfe_u32 v20, v10, 16, 1
	v_or_b32_e32 v21, 0x400000, v10
	v_cmp_u_f32_e64 s4, v10, v10
	v_add3_u32 v20, v20, v10, 0x7fff
	v_cndmask_b32_e64 v10, v20, v21, s4
	v_lshrrev_b32_e32 v51, 16, v10
	s_and_saveexec_b32 s16, vcc_lo
	s_cbranch_execz .LBB376_1661
; %bb.1660:                             ;   in Loop: Header=BB376_934 Depth=1
	v_cmp_lt_i32_e64 s4, v61, v38
	v_cndmask_b32_e64 v50, 0, v50, s4
	v_cmp_lt_i32_e64 s4, v78, v38
	v_cndmask_b32_e64 v54, 0, v54, s4
	;; [unrolled: 2-line block ×8, first 2 shown]
.LBB376_1661:                           ;   in Loop: Header=BB376_934 Depth=1
	s_or_b32 exec_lo, exec_lo, s16
	flat_load_dwordx2 v[20:21], v[18:19] offset:768
	v_mov_b32_e32 v81, 0
	v_mov_b32_e32 v68, 0
	s_waitcnt vmcnt(0) lgkmcnt(0)
	v_cmp_ne_u16_sdwa s4, v20, v11 src0_sel:BYTE_0 src1_sel:DWORD
	s_and_saveexec_b32 s16, s4
	s_cbranch_execz .LBB376_1669
; %bb.1662:                             ;   in Loop: Header=BB376_934 Depth=1
	v_cmp_ne_u16_sdwa s4, v20, v80 src0_sel:BYTE_0 src1_sel:DWORD
	v_bfrev_b32_e32 v68, 1
	s_and_saveexec_b32 s17, s4
	s_cbranch_execz .LBB376_1668
; %bb.1663:                             ;   in Loop: Header=BB376_934 Depth=1
	v_and_b32_e32 v23, 0x7f, v20
	v_mov_b32_e32 v68, 0x7f800001
	s_mov_b32 s18, exec_lo
	v_cmpx_ne_u32_e32 0x7f, v23
	s_cbranch_execz .LBB376_1667
; %bb.1664:                             ;   in Loop: Header=BB376_934 Depth=1
	v_lshrrev_b32_e32 v10, 3, v23
	v_cmp_gt_u32_e64 s4, 8, v23
	v_mov_b32_e32 v24, v21
	v_mov_b32_e32 v23, v20
	s_and_saveexec_b32 s20, s4
; %bb.1665:                             ;   in Loop: Header=BB376_934 Depth=1
	v_and_b32_e32 v10, 7, v20
	v_ffbh_u32_e32 v10, v10
	v_min_u32_e32 v10, 32, v10
	v_subrev_nc_u32_e32 v23, 28, v10
	v_sub_nc_u32_e32 v10, 29, v10
	v_lshlrev_b64 v[23:24], v23, v[20:21]
; %bb.1666:                             ;   in Loop: Header=BB376_934 Depth=1
	s_or_b32 exec_lo, exec_lo, s20
	v_lshlrev_b32_e32 v23, 20, v23
	v_lshlrev_b32_e32 v24, 24, v20
	v_lshl_add_u32 v10, v10, 23, 0x3c000000
	v_and_b32_e32 v23, 0x700000, v23
	v_and_b32_e32 v24, 0x80000000, v24
	v_or3_b32 v68, v23, v24, v10
.LBB376_1667:                           ;   in Loop: Header=BB376_934 Depth=1
	s_or_b32 exec_lo, exec_lo, s18
.LBB376_1668:                           ;   in Loop: Header=BB376_934 Depth=1
	s_or_b32 exec_lo, exec_lo, s17
.LBB376_1669:                           ;   in Loop: Header=BB376_934 Depth=1
	s_or_b32 exec_lo, exec_lo, s16
	v_cmp_ne_u16_sdwa s4, v20, v11 src0_sel:BYTE_1 src1_sel:DWORD
	s_and_saveexec_b32 s16, s4
	s_cbranch_execz .LBB376_1677
; %bb.1670:                             ;   in Loop: Header=BB376_934 Depth=1
	v_cmp_ne_u16_sdwa s4, v20, v80 src0_sel:BYTE_1 src1_sel:DWORD
	v_bfrev_b32_e32 v81, 1
	s_and_saveexec_b32 s17, s4
	s_cbranch_execz .LBB376_1676
; %bb.1671:                             ;   in Loop: Header=BB376_934 Depth=1
	v_mov_b32_e32 v10, 0xffff
	v_mov_b32_e32 v81, 0x7f800001
	s_mov_b32 s18, exec_lo
	v_and_b32_sdwa v10, v10, v20 dst_sel:DWORD dst_unused:UNUSED_PAD src0_sel:DWORD src1_sel:BYTE_1
	v_and_b32_e32 v23, 0x7f, v10
	v_cmpx_ne_u32_e32 0x7f, v23
	s_cbranch_execz .LBB376_1675
; %bb.1672:                             ;   in Loop: Header=BB376_934 Depth=1
	v_and_b32_e32 v10, 7, v10
	v_lshrrev_b32_e32 v53, 3, v23
	v_cmp_gt_u32_e64 s4, 8, v23
	v_mov_b32_e32 v24, v11
	v_mov_b32_e32 v23, v10
	s_and_saveexec_b32 s20, s4
; %bb.1673:                             ;   in Loop: Header=BB376_934 Depth=1
	v_ffbh_u32_e32 v23, v10
	v_min_u32_e32 v53, 32, v23
	v_subrev_nc_u32_e32 v23, 28, v53
	v_sub_nc_u32_e32 v53, 29, v53
	v_lshlrev_b64 v[23:24], v23, v[10:11]
	v_and_b32_e32 v23, 7, v23
; %bb.1674:                             ;   in Loop: Header=BB376_934 Depth=1
	s_or_b32 exec_lo, exec_lo, s20
	v_lshlrev_b32_e32 v10, 16, v20
	v_lshlrev_b32_e32 v23, 20, v23
	v_lshl_add_u32 v24, v53, 23, 0x3c000000
	v_and_b32_e32 v10, 0x80000000, v10
	v_or3_b32 v81, v23, v10, v24
.LBB376_1675:                           ;   in Loop: Header=BB376_934 Depth=1
	s_or_b32 exec_lo, exec_lo, s18
.LBB376_1676:                           ;   in Loop: Header=BB376_934 Depth=1
	s_or_b32 exec_lo, exec_lo, s17
.LBB376_1677:                           ;   in Loop: Header=BB376_934 Depth=1
	s_or_b32 exec_lo, exec_lo, s16
	v_and_b32_sdwa v10, v20, v82 dst_sel:DWORD dst_unused:UNUSED_PAD src0_sel:WORD_1 src1_sel:DWORD
	v_mov_b32_e32 v84, 0
	v_mov_b32_e32 v83, 0
	s_mov_b32 s16, exec_lo
	v_cmpx_ne_u16_e32 0, v10
	s_cbranch_execz .LBB376_1685
; %bb.1678:                             ;   in Loop: Header=BB376_934 Depth=1
	v_bfrev_b32_e32 v83, 1
	s_mov_b32 s17, exec_lo
	v_cmpx_ne_u16_e32 0x80, v10
	s_cbranch_execz .LBB376_1684
; %bb.1679:                             ;   in Loop: Header=BB376_934 Depth=1
	v_bfe_u32 v23, v20, 16, 7
	v_mov_b32_e32 v83, 0x7f800001
	s_mov_b32 s18, exec_lo
	v_cmpx_ne_u32_e32 0x7f, v23
	s_cbranch_execz .LBB376_1683
; %bb.1680:                             ;   in Loop: Header=BB376_934 Depth=1
	v_mov_b32_e32 v10, 7
	v_lshrrev_b32_e32 v53, 3, v23
	v_cmp_gt_u32_e64 s4, 8, v23
	v_and_b32_sdwa v10, v20, v10 dst_sel:DWORD dst_unused:UNUSED_PAD src0_sel:WORD_1 src1_sel:DWORD
	v_mov_b32_e32 v24, v11
	v_mov_b32_e32 v23, v10
	s_and_saveexec_b32 s20, s4
; %bb.1681:                             ;   in Loop: Header=BB376_934 Depth=1
	v_ffbh_u32_e32 v23, v10
	v_min_u32_e32 v53, 32, v23
	v_subrev_nc_u32_e32 v23, 28, v53
	v_sub_nc_u32_e32 v53, 29, v53
	v_lshlrev_b64 v[23:24], v23, v[10:11]
	v_and_b32_e32 v23, 7, v23
; %bb.1682:                             ;   in Loop: Header=BB376_934 Depth=1
	s_or_b32 exec_lo, exec_lo, s20
	v_mov_b32_e32 v10, 24
	v_lshlrev_b32_e32 v23, 20, v23
	v_lshl_add_u32 v24, v53, 23, 0x3c000000
	v_lshlrev_b32_sdwa v10, v10, v20 dst_sel:DWORD dst_unused:UNUSED_PAD src0_sel:DWORD src1_sel:WORD_1
	v_and_b32_e32 v10, 0x80000000, v10
	v_or3_b32 v83, v23, v10, v24
.LBB376_1683:                           ;   in Loop: Header=BB376_934 Depth=1
	s_or_b32 exec_lo, exec_lo, s18
.LBB376_1684:                           ;   in Loop: Header=BB376_934 Depth=1
	s_or_b32 exec_lo, exec_lo, s17
.LBB376_1685:                           ;   in Loop: Header=BB376_934 Depth=1
	s_or_b32 exec_lo, exec_lo, s16
	s_mov_b32 s16, exec_lo
	v_cmpx_lt_u32_e32 0xffffff, v20
	s_cbranch_execz .LBB376_1693
; %bb.1686:                             ;   in Loop: Header=BB376_934 Depth=1
	v_cmp_ne_u32_sdwa s4, v20, v80 src0_sel:BYTE_3 src1_sel:DWORD
	v_bfrev_b32_e32 v84, 1
	s_and_saveexec_b32 s17, s4
	s_cbranch_execz .LBB376_1692
; %bb.1687:                             ;   in Loop: Header=BB376_934 Depth=1
	v_bfe_u32 v23, v20, 24, 7
	v_mov_b32_e32 v84, 0x7f800001
	s_mov_b32 s18, exec_lo
	v_cmpx_ne_u32_e32 0x7f, v23
	s_cbranch_execz .LBB376_1691
; %bb.1688:                             ;   in Loop: Header=BB376_934 Depth=1
	v_mov_b32_e32 v10, 7
	v_lshrrev_b32_e32 v53, 3, v23
	v_cmp_gt_u32_e64 s4, 8, v23
	v_and_b32_sdwa v10, v20, v10 dst_sel:DWORD dst_unused:UNUSED_PAD src0_sel:BYTE_3 src1_sel:DWORD
	v_mov_b32_e32 v24, v11
	v_mov_b32_e32 v23, v10
	s_and_saveexec_b32 s20, s4
; %bb.1689:                             ;   in Loop: Header=BB376_934 Depth=1
	v_ffbh_u32_e32 v23, v10
	v_min_u32_e32 v53, 32, v23
	v_subrev_nc_u32_e32 v23, 28, v53
	v_sub_nc_u32_e32 v53, 29, v53
	v_lshlrev_b64 v[23:24], v23, v[10:11]
	v_and_b32_e32 v23, 7, v23
; %bb.1690:                             ;   in Loop: Header=BB376_934 Depth=1
	s_or_b32 exec_lo, exec_lo, s20
	v_mov_b32_e32 v10, 24
	v_lshlrev_b32_e32 v23, 20, v23
	v_lshl_add_u32 v24, v53, 23, 0x3c000000
	v_lshlrev_b32_sdwa v10, v10, v20 dst_sel:DWORD dst_unused:UNUSED_PAD src0_sel:DWORD src1_sel:BYTE_3
	v_and_b32_e32 v10, 0x80000000, v10
	v_or3_b32 v84, v23, v10, v24
.LBB376_1691:                           ;   in Loop: Header=BB376_934 Depth=1
	s_or_b32 exec_lo, exec_lo, s18
.LBB376_1692:                           ;   in Loop: Header=BB376_934 Depth=1
	s_or_b32 exec_lo, exec_lo, s17
.LBB376_1693:                           ;   in Loop: Header=BB376_934 Depth=1
	s_or_b32 exec_lo, exec_lo, s16
	v_mov_b32_e32 v10, v21
	v_cmp_ne_u16_sdwa s4, v21, v11 src0_sel:BYTE_0 src1_sel:DWORD
	v_mov_b32_e32 v53, 0
	v_mov_b32_e32 v96, 0
	s_and_saveexec_b32 s16, s4
	s_cbranch_execz .LBB376_1701
; %bb.1694:                             ;   in Loop: Header=BB376_934 Depth=1
	v_cmp_ne_u16_sdwa s4, v21, v80 src0_sel:BYTE_0 src1_sel:DWORD
	v_bfrev_b32_e32 v96, 1
	s_and_saveexec_b32 s17, s4
	s_cbranch_execz .LBB376_1700
; %bb.1695:                             ;   in Loop: Header=BB376_934 Depth=1
	v_and_b32_e32 v23, 0x7f, v21
	v_mov_b32_e32 v96, 0x7f800001
	s_mov_b32 s18, exec_lo
	v_cmpx_ne_u32_e32 0x7f, v23
	s_cbranch_execz .LBB376_1699
; %bb.1696:                             ;   in Loop: Header=BB376_934 Depth=1
	v_lshrrev_b32_e32 v96, 3, v23
	v_cmp_gt_u32_e64 s4, 8, v23
	v_mov_b32_e32 v24, v11
	v_mov_b32_e32 v23, v10
	s_and_saveexec_b32 s20, s4
; %bb.1697:                             ;   in Loop: Header=BB376_934 Depth=1
	v_and_b32_e32 v23, 7, v21
	v_ffbh_u32_e32 v23, v23
	v_min_u32_e32 v96, 32, v23
	v_subrev_nc_u32_e32 v23, 28, v96
	v_sub_nc_u32_e32 v96, 29, v96
	v_lshlrev_b64 v[23:24], v23, v[10:11]
; %bb.1698:                             ;   in Loop: Header=BB376_934 Depth=1
	s_or_b32 exec_lo, exec_lo, s20
	v_lshlrev_b32_e32 v23, 20, v23
	v_lshlrev_b32_e32 v24, 24, v10
	v_lshl_add_u32 v96, v96, 23, 0x3c000000
	v_and_b32_e32 v23, 0x700000, v23
	v_and_b32_e32 v24, 0x80000000, v24
	v_or3_b32 v96, v23, v24, v96
.LBB376_1699:                           ;   in Loop: Header=BB376_934 Depth=1
	s_or_b32 exec_lo, exec_lo, s18
.LBB376_1700:                           ;   in Loop: Header=BB376_934 Depth=1
	s_or_b32 exec_lo, exec_lo, s17
.LBB376_1701:                           ;   in Loop: Header=BB376_934 Depth=1
	s_or_b32 exec_lo, exec_lo, s16
	v_cmp_ne_u16_sdwa s4, v10, v11 src0_sel:BYTE_1 src1_sel:DWORD
	s_and_saveexec_b32 s16, s4
	s_cbranch_execz .LBB376_1709
; %bb.1702:                             ;   in Loop: Header=BB376_934 Depth=1
	v_cmp_ne_u16_sdwa s4, v10, v80 src0_sel:BYTE_1 src1_sel:DWORD
	v_bfrev_b32_e32 v53, 1
	s_and_saveexec_b32 s17, s4
	s_cbranch_execz .LBB376_1708
; %bb.1703:                             ;   in Loop: Header=BB376_934 Depth=1
	v_mov_b32_e32 v23, 0xffff
	v_mov_b32_e32 v53, 0x7f800001
	s_mov_b32 s18, exec_lo
	v_and_b32_sdwa v23, v23, v10 dst_sel:DWORD dst_unused:UNUSED_PAD src0_sel:DWORD src1_sel:BYTE_1
	v_and_b32_e32 v97, 0x7f, v23
	v_cmpx_ne_u32_e32 0x7f, v97
	s_cbranch_execz .LBB376_1707
; %bb.1704:                             ;   in Loop: Header=BB376_934 Depth=1
	v_and_b32_e32 v23, 7, v23
	v_mov_b32_e32 v24, v11
	v_lshrrev_b32_e32 v53, 3, v97
	s_mov_b32 s20, exec_lo
	v_cmpx_gt_u32_e32 8, v97
; %bb.1705:                             ;   in Loop: Header=BB376_934 Depth=1
	v_ffbh_u32_e32 v53, v23
	v_min_u32_e32 v53, 32, v53
	v_subrev_nc_u32_e32 v97, 28, v53
	v_sub_nc_u32_e32 v53, 29, v53
	v_lshlrev_b64 v[23:24], v97, v[23:24]
	v_and_b32_e32 v23, 7, v23
; %bb.1706:                             ;   in Loop: Header=BB376_934 Depth=1
	s_or_b32 exec_lo, exec_lo, s20
	v_lshlrev_b32_e32 v10, 16, v10
	v_lshlrev_b32_e32 v23, 20, v23
	v_lshl_add_u32 v24, v53, 23, 0x3c000000
	v_and_b32_e32 v10, 0x80000000, v10
	v_or3_b32 v53, v23, v10, v24
.LBB376_1707:                           ;   in Loop: Header=BB376_934 Depth=1
	s_or_b32 exec_lo, exec_lo, s18
.LBB376_1708:                           ;   in Loop: Header=BB376_934 Depth=1
	s_or_b32 exec_lo, exec_lo, s17
.LBB376_1709:                           ;   in Loop: Header=BB376_934 Depth=1
	s_or_b32 exec_lo, exec_lo, s16
	v_and_b32_sdwa v10, v21, v82 dst_sel:DWORD dst_unused:UNUSED_PAD src0_sel:WORD_1 src1_sel:DWORD
	v_mov_b32_e32 v102, 0
	v_mov_b32_e32 v99, 0
	s_mov_b32 s16, exec_lo
	v_cmpx_ne_u16_e32 0, v10
	s_cbranch_execz .LBB376_1717
; %bb.1710:                             ;   in Loop: Header=BB376_934 Depth=1
	v_bfrev_b32_e32 v99, 1
	s_mov_b32 s17, exec_lo
	v_cmpx_ne_u16_e32 0x80, v10
	s_cbranch_execz .LBB376_1716
; %bb.1711:                             ;   in Loop: Header=BB376_934 Depth=1
	v_bfe_u32 v23, v21, 16, 7
	v_mov_b32_e32 v99, 0x7f800001
	s_mov_b32 s18, exec_lo
	v_cmpx_ne_u32_e32 0x7f, v23
	s_cbranch_execz .LBB376_1715
; %bb.1712:                             ;   in Loop: Header=BB376_934 Depth=1
	v_mov_b32_e32 v10, 7
	v_lshrrev_b32_e32 v97, 3, v23
	v_cmp_gt_u32_e64 s4, 8, v23
	v_and_b32_sdwa v10, v21, v10 dst_sel:DWORD dst_unused:UNUSED_PAD src0_sel:WORD_1 src1_sel:DWORD
	v_mov_b32_e32 v24, v11
	v_mov_b32_e32 v23, v10
	s_and_saveexec_b32 s20, s4
; %bb.1713:                             ;   in Loop: Header=BB376_934 Depth=1
	v_ffbh_u32_e32 v23, v10
	v_min_u32_e32 v97, 32, v23
	v_subrev_nc_u32_e32 v23, 28, v97
	v_sub_nc_u32_e32 v97, 29, v97
	v_lshlrev_b64 v[23:24], v23, v[10:11]
	v_and_b32_e32 v23, 7, v23
; %bb.1714:                             ;   in Loop: Header=BB376_934 Depth=1
	s_or_b32 exec_lo, exec_lo, s20
	v_mov_b32_e32 v10, 24
	v_lshlrev_b32_e32 v23, 20, v23
	v_lshl_add_u32 v24, v97, 23, 0x3c000000
	v_lshlrev_b32_sdwa v10, v10, v21 dst_sel:DWORD dst_unused:UNUSED_PAD src0_sel:DWORD src1_sel:WORD_1
	v_and_b32_e32 v10, 0x80000000, v10
	v_or3_b32 v99, v23, v10, v24
.LBB376_1715:                           ;   in Loop: Header=BB376_934 Depth=1
	s_or_b32 exec_lo, exec_lo, s18
.LBB376_1716:                           ;   in Loop: Header=BB376_934 Depth=1
	s_or_b32 exec_lo, exec_lo, s17
.LBB376_1717:                           ;   in Loop: Header=BB376_934 Depth=1
	s_or_b32 exec_lo, exec_lo, s16
	s_mov_b32 s16, exec_lo
	v_cmpx_lt_u64_e64 s[12:13], v[20:21]
	s_cbranch_execz .LBB376_1725
; %bb.1718:                             ;   in Loop: Header=BB376_934 Depth=1
	v_cmp_ne_u32_sdwa s4, v21, v80 src0_sel:BYTE_3 src1_sel:DWORD
	v_bfrev_b32_e32 v102, 1
	s_and_saveexec_b32 s17, s4
	s_cbranch_execz .LBB376_1724
; %bb.1719:                             ;   in Loop: Header=BB376_934 Depth=1
	v_bfe_u32 v23, v21, 24, 7
	v_mov_b32_e32 v102, 0x7f800001
	s_mov_b32 s18, exec_lo
	v_cmpx_ne_u32_e32 0x7f, v23
	s_cbranch_execz .LBB376_1723
; %bb.1720:                             ;   in Loop: Header=BB376_934 Depth=1
	v_mov_b32_e32 v10, 7
	v_lshrrev_b32_e32 v20, 3, v23
	v_cmp_gt_u32_e64 s4, 8, v23
	v_and_b32_sdwa v10, v21, v10 dst_sel:DWORD dst_unused:UNUSED_PAD src0_sel:BYTE_3 src1_sel:DWORD
	v_mov_b32_e32 v24, v11
	v_mov_b32_e32 v23, v10
	s_and_saveexec_b32 s20, s4
; %bb.1721:                             ;   in Loop: Header=BB376_934 Depth=1
	v_ffbh_u32_e32 v20, v10
	v_min_u32_e32 v20, 32, v20
	v_subrev_nc_u32_e32 v23, 28, v20
	v_sub_nc_u32_e32 v20, 29, v20
	v_lshlrev_b64 v[23:24], v23, v[10:11]
	v_and_b32_e32 v23, 7, v23
; %bb.1722:                             ;   in Loop: Header=BB376_934 Depth=1
	s_or_b32 exec_lo, exec_lo, s20
	v_mov_b32_e32 v10, 24
	v_lshl_add_u32 v20, v20, 23, 0x3c000000
	v_lshlrev_b32_sdwa v10, v10, v21 dst_sel:DWORD dst_unused:UNUSED_PAD src0_sel:DWORD src1_sel:BYTE_3
	v_lshlrev_b32_e32 v21, 20, v23
	v_and_b32_e32 v10, 0x80000000, v10
	v_or3_b32 v102, v21, v10, v20
.LBB376_1723:                           ;   in Loop: Header=BB376_934 Depth=1
	s_or_b32 exec_lo, exec_lo, s18
.LBB376_1724:                           ;   in Loop: Header=BB376_934 Depth=1
	s_or_b32 exec_lo, exec_lo, s17
.LBB376_1725:                           ;   in Loop: Header=BB376_934 Depth=1
	s_or_b32 exec_lo, exec_lo, s16
	v_mul_f32_e32 v10, v56, v53
	v_bfe_u32 v20, v10, 16, 1
	v_or_b32_e32 v21, 0x400000, v10
	v_cmp_u_f32_e64 s4, v10, v10
	v_add3_u32 v20, v20, v10, 0x7fff
	v_cndmask_b32_e64 v10, v20, v21, s4
	v_lshrrev_b32_e32 v53, 16, v10
	v_mul_f32_e32 v10, v56, v96
	v_bfe_u32 v20, v10, 16, 1
	v_or_b32_e32 v21, 0x400000, v10
	v_cmp_u_f32_e64 s4, v10, v10
	v_add3_u32 v20, v20, v10, 0x7fff
	v_cndmask_b32_e64 v10, v20, v21, s4
	v_lshrrev_b32_e32 v96, 16, v10
	;; [unrolled: 7-line block ×8, first 2 shown]
	s_and_saveexec_b32 s16, vcc_lo
	s_cbranch_execz .LBB376_1727
; %bb.1726:                             ;   in Loop: Header=BB376_934 Depth=1
	v_cmp_lt_i32_e64 s4, v61, v38
	v_cndmask_b32_e64 v101, 0, v101, s4
	v_cmp_lt_i32_e64 s4, v78, v38
	v_cndmask_b32_e64 v100, 0, v100, s4
	;; [unrolled: 2-line block ×8, first 2 shown]
.LBB376_1727:                           ;   in Loop: Header=BB376_934 Depth=1
	s_or_b32 exec_lo, exec_lo, s16
	flat_load_dwordx2 v[20:21], v[18:19] offset:1024
	v_mov_b32_e32 v112, 0
	v_mov_b32_e32 v68, 0
	s_waitcnt vmcnt(0) lgkmcnt(0)
	v_cmp_ne_u16_sdwa s4, v20, v11 src0_sel:BYTE_0 src1_sel:DWORD
	s_and_saveexec_b32 s16, s4
	s_cbranch_execz .LBB376_1735
; %bb.1728:                             ;   in Loop: Header=BB376_934 Depth=1
	v_cmp_ne_u16_sdwa s4, v20, v80 src0_sel:BYTE_0 src1_sel:DWORD
	v_bfrev_b32_e32 v68, 1
	s_and_saveexec_b32 s17, s4
	s_cbranch_execz .LBB376_1734
; %bb.1729:                             ;   in Loop: Header=BB376_934 Depth=1
	v_and_b32_e32 v23, 0x7f, v20
	v_mov_b32_e32 v68, 0x7f800001
	s_mov_b32 s18, exec_lo
	v_cmpx_ne_u32_e32 0x7f, v23
	s_cbranch_execz .LBB376_1733
; %bb.1730:                             ;   in Loop: Header=BB376_934 Depth=1
	v_lshrrev_b32_e32 v10, 3, v23
	v_cmp_gt_u32_e64 s4, 8, v23
	v_mov_b32_e32 v24, v21
	v_mov_b32_e32 v23, v20
	s_and_saveexec_b32 s20, s4
; %bb.1731:                             ;   in Loop: Header=BB376_934 Depth=1
	v_and_b32_e32 v10, 7, v20
	v_ffbh_u32_e32 v10, v10
	v_min_u32_e32 v10, 32, v10
	v_subrev_nc_u32_e32 v23, 28, v10
	v_sub_nc_u32_e32 v10, 29, v10
	v_lshlrev_b64 v[23:24], v23, v[20:21]
; %bb.1732:                             ;   in Loop: Header=BB376_934 Depth=1
	s_or_b32 exec_lo, exec_lo, s20
	v_lshlrev_b32_e32 v23, 20, v23
	v_lshlrev_b32_e32 v24, 24, v20
	v_lshl_add_u32 v10, v10, 23, 0x3c000000
	v_and_b32_e32 v23, 0x700000, v23
	v_and_b32_e32 v24, 0x80000000, v24
	v_or3_b32 v68, v23, v24, v10
.LBB376_1733:                           ;   in Loop: Header=BB376_934 Depth=1
	s_or_b32 exec_lo, exec_lo, s18
.LBB376_1734:                           ;   in Loop: Header=BB376_934 Depth=1
	s_or_b32 exec_lo, exec_lo, s17
.LBB376_1735:                           ;   in Loop: Header=BB376_934 Depth=1
	s_or_b32 exec_lo, exec_lo, s16
	v_cmp_ne_u16_sdwa s4, v20, v11 src0_sel:BYTE_1 src1_sel:DWORD
	s_and_saveexec_b32 s16, s4
	s_cbranch_execz .LBB376_1743
; %bb.1736:                             ;   in Loop: Header=BB376_934 Depth=1
	v_cmp_ne_u16_sdwa s4, v20, v80 src0_sel:BYTE_1 src1_sel:DWORD
	v_bfrev_b32_e32 v112, 1
	s_and_saveexec_b32 s17, s4
	s_cbranch_execz .LBB376_1742
; %bb.1737:                             ;   in Loop: Header=BB376_934 Depth=1
	v_mov_b32_e32 v10, 0xffff
	v_mov_b32_e32 v112, 0x7f800001
	s_mov_b32 s18, exec_lo
	v_and_b32_sdwa v10, v10, v20 dst_sel:DWORD dst_unused:UNUSED_PAD src0_sel:DWORD src1_sel:BYTE_1
	v_and_b32_e32 v23, 0x7f, v10
	v_cmpx_ne_u32_e32 0x7f, v23
	s_cbranch_execz .LBB376_1741
; %bb.1738:                             ;   in Loop: Header=BB376_934 Depth=1
	v_and_b32_e32 v10, 7, v10
	v_lshrrev_b32_e32 v81, 3, v23
	v_cmp_gt_u32_e64 s4, 8, v23
	v_mov_b32_e32 v24, v11
	v_mov_b32_e32 v23, v10
	s_and_saveexec_b32 s20, s4
; %bb.1739:                             ;   in Loop: Header=BB376_934 Depth=1
	v_ffbh_u32_e32 v23, v10
	v_min_u32_e32 v81, 32, v23
	v_subrev_nc_u32_e32 v23, 28, v81
	v_sub_nc_u32_e32 v81, 29, v81
	v_lshlrev_b64 v[23:24], v23, v[10:11]
	v_and_b32_e32 v23, 7, v23
; %bb.1740:                             ;   in Loop: Header=BB376_934 Depth=1
	s_or_b32 exec_lo, exec_lo, s20
	v_lshlrev_b32_e32 v10, 16, v20
	v_lshlrev_b32_e32 v23, 20, v23
	v_lshl_add_u32 v24, v81, 23, 0x3c000000
	v_and_b32_e32 v10, 0x80000000, v10
	v_or3_b32 v112, v23, v10, v24
.LBB376_1741:                           ;   in Loop: Header=BB376_934 Depth=1
	s_or_b32 exec_lo, exec_lo, s18
.LBB376_1742:                           ;   in Loop: Header=BB376_934 Depth=1
	s_or_b32 exec_lo, exec_lo, s17
.LBB376_1743:                           ;   in Loop: Header=BB376_934 Depth=1
	s_or_b32 exec_lo, exec_lo, s16
	v_and_b32_sdwa v10, v20, v82 dst_sel:DWORD dst_unused:UNUSED_PAD src0_sel:WORD_1 src1_sel:DWORD
	v_mov_b32_e32 v83, 0
	v_mov_b32_e32 v84, 0
	s_mov_b32 s16, exec_lo
	v_cmpx_ne_u16_e32 0, v10
	s_cbranch_execz .LBB376_1751
; %bb.1744:                             ;   in Loop: Header=BB376_934 Depth=1
	v_bfrev_b32_e32 v84, 1
	s_mov_b32 s17, exec_lo
	v_cmpx_ne_u16_e32 0x80, v10
	s_cbranch_execz .LBB376_1750
; %bb.1745:                             ;   in Loop: Header=BB376_934 Depth=1
	v_bfe_u32 v23, v20, 16, 7
	v_mov_b32_e32 v84, 0x7f800001
	s_mov_b32 s18, exec_lo
	v_cmpx_ne_u32_e32 0x7f, v23
	s_cbranch_execz .LBB376_1749
; %bb.1746:                             ;   in Loop: Header=BB376_934 Depth=1
	v_mov_b32_e32 v10, 7
	v_lshrrev_b32_e32 v81, 3, v23
	v_cmp_gt_u32_e64 s4, 8, v23
	v_and_b32_sdwa v10, v20, v10 dst_sel:DWORD dst_unused:UNUSED_PAD src0_sel:WORD_1 src1_sel:DWORD
	v_mov_b32_e32 v24, v11
	v_mov_b32_e32 v23, v10
	s_and_saveexec_b32 s20, s4
; %bb.1747:                             ;   in Loop: Header=BB376_934 Depth=1
	v_ffbh_u32_e32 v23, v10
	v_min_u32_e32 v81, 32, v23
	v_subrev_nc_u32_e32 v23, 28, v81
	v_sub_nc_u32_e32 v81, 29, v81
	v_lshlrev_b64 v[23:24], v23, v[10:11]
	v_and_b32_e32 v23, 7, v23
; %bb.1748:                             ;   in Loop: Header=BB376_934 Depth=1
	s_or_b32 exec_lo, exec_lo, s20
	v_mov_b32_e32 v10, 24
	v_lshlrev_b32_e32 v23, 20, v23
	v_lshl_add_u32 v24, v81, 23, 0x3c000000
	v_lshlrev_b32_sdwa v10, v10, v20 dst_sel:DWORD dst_unused:UNUSED_PAD src0_sel:DWORD src1_sel:WORD_1
	v_and_b32_e32 v10, 0x80000000, v10
	v_or3_b32 v84, v23, v10, v24
.LBB376_1749:                           ;   in Loop: Header=BB376_934 Depth=1
	s_or_b32 exec_lo, exec_lo, s18
.LBB376_1750:                           ;   in Loop: Header=BB376_934 Depth=1
	s_or_b32 exec_lo, exec_lo, s17
.LBB376_1751:                           ;   in Loop: Header=BB376_934 Depth=1
	s_or_b32 exec_lo, exec_lo, s16
	s_mov_b32 s16, exec_lo
	v_cmpx_lt_u32_e32 0xffffff, v20
	s_cbranch_execz .LBB376_1759
; %bb.1752:                             ;   in Loop: Header=BB376_934 Depth=1
	v_cmp_ne_u32_sdwa s4, v20, v80 src0_sel:BYTE_3 src1_sel:DWORD
	v_bfrev_b32_e32 v83, 1
	s_and_saveexec_b32 s17, s4
	s_cbranch_execz .LBB376_1758
; %bb.1753:                             ;   in Loop: Header=BB376_934 Depth=1
	v_bfe_u32 v23, v20, 24, 7
	v_mov_b32_e32 v83, 0x7f800001
	s_mov_b32 s18, exec_lo
	v_cmpx_ne_u32_e32 0x7f, v23
	s_cbranch_execz .LBB376_1757
; %bb.1754:                             ;   in Loop: Header=BB376_934 Depth=1
	v_mov_b32_e32 v10, 7
	v_lshrrev_b32_e32 v81, 3, v23
	v_cmp_gt_u32_e64 s4, 8, v23
	v_and_b32_sdwa v10, v20, v10 dst_sel:DWORD dst_unused:UNUSED_PAD src0_sel:BYTE_3 src1_sel:DWORD
	v_mov_b32_e32 v24, v11
	v_mov_b32_e32 v23, v10
	s_and_saveexec_b32 s20, s4
; %bb.1755:                             ;   in Loop: Header=BB376_934 Depth=1
	v_ffbh_u32_e32 v23, v10
	v_min_u32_e32 v81, 32, v23
	v_subrev_nc_u32_e32 v23, 28, v81
	v_sub_nc_u32_e32 v81, 29, v81
	v_lshlrev_b64 v[23:24], v23, v[10:11]
	v_and_b32_e32 v23, 7, v23
; %bb.1756:                             ;   in Loop: Header=BB376_934 Depth=1
	s_or_b32 exec_lo, exec_lo, s20
	v_mov_b32_e32 v10, 24
	v_lshlrev_b32_e32 v23, 20, v23
	v_lshl_add_u32 v24, v81, 23, 0x3c000000
	v_lshlrev_b32_sdwa v10, v10, v20 dst_sel:DWORD dst_unused:UNUSED_PAD src0_sel:DWORD src1_sel:BYTE_3
	v_and_b32_e32 v10, 0x80000000, v10
	v_or3_b32 v83, v23, v10, v24
.LBB376_1757:                           ;   in Loop: Header=BB376_934 Depth=1
	s_or_b32 exec_lo, exec_lo, s18
.LBB376_1758:                           ;   in Loop: Header=BB376_934 Depth=1
	s_or_b32 exec_lo, exec_lo, s17
.LBB376_1759:                           ;   in Loop: Header=BB376_934 Depth=1
	s_or_b32 exec_lo, exec_lo, s16
	v_mov_b32_e32 v10, v21
	v_cmp_ne_u16_sdwa s4, v21, v11 src0_sel:BYTE_0 src1_sel:DWORD
	v_mov_b32_e32 v103, 0
	v_mov_b32_e32 v81, 0
	s_and_saveexec_b32 s16, s4
	s_cbranch_execz .LBB376_1767
; %bb.1760:                             ;   in Loop: Header=BB376_934 Depth=1
	v_cmp_ne_u16_sdwa s4, v21, v80 src0_sel:BYTE_0 src1_sel:DWORD
	v_bfrev_b32_e32 v81, 1
	s_and_saveexec_b32 s17, s4
	s_cbranch_execz .LBB376_1766
; %bb.1761:                             ;   in Loop: Header=BB376_934 Depth=1
	v_and_b32_e32 v23, 0x7f, v21
	v_mov_b32_e32 v81, 0x7f800001
	s_mov_b32 s18, exec_lo
	v_cmpx_ne_u32_e32 0x7f, v23
	s_cbranch_execz .LBB376_1765
; %bb.1762:                             ;   in Loop: Header=BB376_934 Depth=1
	v_lshrrev_b32_e32 v81, 3, v23
	v_cmp_gt_u32_e64 s4, 8, v23
	v_mov_b32_e32 v24, v11
	v_mov_b32_e32 v23, v10
	s_and_saveexec_b32 s20, s4
; %bb.1763:                             ;   in Loop: Header=BB376_934 Depth=1
	v_and_b32_e32 v23, 7, v21
	v_ffbh_u32_e32 v23, v23
	v_min_u32_e32 v81, 32, v23
	v_subrev_nc_u32_e32 v23, 28, v81
	v_sub_nc_u32_e32 v81, 29, v81
	v_lshlrev_b64 v[23:24], v23, v[10:11]
; %bb.1764:                             ;   in Loop: Header=BB376_934 Depth=1
	s_or_b32 exec_lo, exec_lo, s20
	v_lshlrev_b32_e32 v23, 20, v23
	v_lshlrev_b32_e32 v24, 24, v10
	v_lshl_add_u32 v81, v81, 23, 0x3c000000
	v_and_b32_e32 v23, 0x700000, v23
	v_and_b32_e32 v24, 0x80000000, v24
	v_or3_b32 v81, v23, v24, v81
.LBB376_1765:                           ;   in Loop: Header=BB376_934 Depth=1
	s_or_b32 exec_lo, exec_lo, s18
.LBB376_1766:                           ;   in Loop: Header=BB376_934 Depth=1
	s_or_b32 exec_lo, exec_lo, s17
.LBB376_1767:                           ;   in Loop: Header=BB376_934 Depth=1
	s_or_b32 exec_lo, exec_lo, s16
	v_cmp_ne_u16_sdwa s4, v10, v11 src0_sel:BYTE_1 src1_sel:DWORD
	s_and_saveexec_b32 s16, s4
	s_cbranch_execz .LBB376_1775
; %bb.1768:                             ;   in Loop: Header=BB376_934 Depth=1
	v_cmp_ne_u16_sdwa s4, v10, v80 src0_sel:BYTE_1 src1_sel:DWORD
	v_bfrev_b32_e32 v103, 1
	s_and_saveexec_b32 s17, s4
	s_cbranch_execz .LBB376_1774
; %bb.1769:                             ;   in Loop: Header=BB376_934 Depth=1
	v_mov_b32_e32 v23, 0xffff
	v_mov_b32_e32 v103, 0x7f800001
	s_mov_b32 s18, exec_lo
	v_and_b32_sdwa v23, v23, v10 dst_sel:DWORD dst_unused:UNUSED_PAD src0_sel:DWORD src1_sel:BYTE_1
	v_and_b32_e32 v113, 0x7f, v23
	v_cmpx_ne_u32_e32 0x7f, v113
	s_cbranch_execz .LBB376_1773
; %bb.1770:                             ;   in Loop: Header=BB376_934 Depth=1
	v_and_b32_e32 v23, 7, v23
	v_mov_b32_e32 v24, v11
	v_lshrrev_b32_e32 v103, 3, v113
	s_mov_b32 s20, exec_lo
	v_cmpx_gt_u32_e32 8, v113
; %bb.1771:                             ;   in Loop: Header=BB376_934 Depth=1
	v_ffbh_u32_e32 v103, v23
	v_min_u32_e32 v103, 32, v103
	v_subrev_nc_u32_e32 v113, 28, v103
	v_sub_nc_u32_e32 v103, 29, v103
	v_lshlrev_b64 v[23:24], v113, v[23:24]
	v_and_b32_e32 v23, 7, v23
; %bb.1772:                             ;   in Loop: Header=BB376_934 Depth=1
	s_or_b32 exec_lo, exec_lo, s20
	v_lshlrev_b32_e32 v10, 16, v10
	v_lshlrev_b32_e32 v23, 20, v23
	v_lshl_add_u32 v24, v103, 23, 0x3c000000
	v_and_b32_e32 v10, 0x80000000, v10
	v_or3_b32 v103, v23, v10, v24
.LBB376_1773:                           ;   in Loop: Header=BB376_934 Depth=1
	s_or_b32 exec_lo, exec_lo, s18
.LBB376_1774:                           ;   in Loop: Header=BB376_934 Depth=1
	s_or_b32 exec_lo, exec_lo, s17
.LBB376_1775:                           ;   in Loop: Header=BB376_934 Depth=1
	s_or_b32 exec_lo, exec_lo, s16
	v_and_b32_sdwa v10, v21, v82 dst_sel:DWORD dst_unused:UNUSED_PAD src0_sel:WORD_1 src1_sel:DWORD
	v_mov_b32_e32 v115, 0
	v_mov_b32_e32 v116, 0
	s_mov_b32 s16, exec_lo
	v_cmpx_ne_u16_e32 0, v10
	s_cbranch_execz .LBB376_1783
; %bb.1776:                             ;   in Loop: Header=BB376_934 Depth=1
	v_bfrev_b32_e32 v116, 1
	s_mov_b32 s17, exec_lo
	v_cmpx_ne_u16_e32 0x80, v10
	s_cbranch_execz .LBB376_1782
; %bb.1777:                             ;   in Loop: Header=BB376_934 Depth=1
	v_bfe_u32 v23, v21, 16, 7
	v_mov_b32_e32 v116, 0x7f800001
	s_mov_b32 s18, exec_lo
	v_cmpx_ne_u32_e32 0x7f, v23
	s_cbranch_execz .LBB376_1781
; %bb.1778:                             ;   in Loop: Header=BB376_934 Depth=1
	v_mov_b32_e32 v10, 7
	v_lshrrev_b32_e32 v113, 3, v23
	v_cmp_gt_u32_e64 s4, 8, v23
	v_and_b32_sdwa v10, v21, v10 dst_sel:DWORD dst_unused:UNUSED_PAD src0_sel:WORD_1 src1_sel:DWORD
	v_mov_b32_e32 v24, v11
	v_mov_b32_e32 v23, v10
	s_and_saveexec_b32 s20, s4
; %bb.1779:                             ;   in Loop: Header=BB376_934 Depth=1
	v_ffbh_u32_e32 v23, v10
	v_min_u32_e32 v113, 32, v23
	v_subrev_nc_u32_e32 v23, 28, v113
	v_sub_nc_u32_e32 v113, 29, v113
	v_lshlrev_b64 v[23:24], v23, v[10:11]
	v_and_b32_e32 v23, 7, v23
; %bb.1780:                             ;   in Loop: Header=BB376_934 Depth=1
	s_or_b32 exec_lo, exec_lo, s20
	v_mov_b32_e32 v10, 24
	v_lshlrev_b32_e32 v23, 20, v23
	v_lshl_add_u32 v24, v113, 23, 0x3c000000
	v_lshlrev_b32_sdwa v10, v10, v21 dst_sel:DWORD dst_unused:UNUSED_PAD src0_sel:DWORD src1_sel:WORD_1
	v_and_b32_e32 v10, 0x80000000, v10
	v_or3_b32 v116, v23, v10, v24
.LBB376_1781:                           ;   in Loop: Header=BB376_934 Depth=1
	s_or_b32 exec_lo, exec_lo, s18
.LBB376_1782:                           ;   in Loop: Header=BB376_934 Depth=1
	s_or_b32 exec_lo, exec_lo, s17
.LBB376_1783:                           ;   in Loop: Header=BB376_934 Depth=1
	s_or_b32 exec_lo, exec_lo, s16
	s_mov_b32 s16, exec_lo
	v_cmpx_lt_u64_e64 s[12:13], v[20:21]
	s_cbranch_execz .LBB376_1791
; %bb.1784:                             ;   in Loop: Header=BB376_934 Depth=1
	v_cmp_ne_u32_sdwa s4, v21, v80 src0_sel:BYTE_3 src1_sel:DWORD
	v_bfrev_b32_e32 v115, 1
	s_and_saveexec_b32 s17, s4
	s_cbranch_execz .LBB376_1790
; %bb.1785:                             ;   in Loop: Header=BB376_934 Depth=1
	v_bfe_u32 v23, v21, 24, 7
	v_mov_b32_e32 v115, 0x7f800001
	s_mov_b32 s18, exec_lo
	v_cmpx_ne_u32_e32 0x7f, v23
	s_cbranch_execz .LBB376_1789
; %bb.1786:                             ;   in Loop: Header=BB376_934 Depth=1
	v_mov_b32_e32 v10, 7
	v_lshrrev_b32_e32 v20, 3, v23
	v_cmp_gt_u32_e64 s4, 8, v23
	v_and_b32_sdwa v10, v21, v10 dst_sel:DWORD dst_unused:UNUSED_PAD src0_sel:BYTE_3 src1_sel:DWORD
	v_mov_b32_e32 v24, v11
	v_mov_b32_e32 v23, v10
	s_and_saveexec_b32 s20, s4
; %bb.1787:                             ;   in Loop: Header=BB376_934 Depth=1
	v_ffbh_u32_e32 v20, v10
	v_min_u32_e32 v20, 32, v20
	v_subrev_nc_u32_e32 v23, 28, v20
	v_sub_nc_u32_e32 v20, 29, v20
	v_lshlrev_b64 v[23:24], v23, v[10:11]
	v_and_b32_e32 v23, 7, v23
; %bb.1788:                             ;   in Loop: Header=BB376_934 Depth=1
	s_or_b32 exec_lo, exec_lo, s20
	v_mov_b32_e32 v10, 24
	v_lshl_add_u32 v20, v20, 23, 0x3c000000
	v_lshlrev_b32_sdwa v10, v10, v21 dst_sel:DWORD dst_unused:UNUSED_PAD src0_sel:DWORD src1_sel:BYTE_3
	v_lshlrev_b32_e32 v21, 20, v23
	v_and_b32_e32 v10, 0x80000000, v10
	v_or3_b32 v115, v21, v10, v20
.LBB376_1789:                           ;   in Loop: Header=BB376_934 Depth=1
	s_or_b32 exec_lo, exec_lo, s18
.LBB376_1790:                           ;   in Loop: Header=BB376_934 Depth=1
	s_or_b32 exec_lo, exec_lo, s17
.LBB376_1791:                           ;   in Loop: Header=BB376_934 Depth=1
	s_or_b32 exec_lo, exec_lo, s16
	v_mul_f32_e32 v10, v56, v103
	v_bfe_u32 v20, v10, 16, 1
	v_or_b32_e32 v21, 0x400000, v10
	v_cmp_u_f32_e64 s4, v10, v10
	v_add3_u32 v20, v20, v10, 0x7fff
	v_cndmask_b32_e64 v10, v20, v21, s4
	v_lshrrev_b32_e32 v103, 16, v10
	v_mul_f32_e32 v10, v56, v81
	v_bfe_u32 v20, v10, 16, 1
	v_or_b32_e32 v21, 0x400000, v10
	v_cmp_u_f32_e64 s4, v10, v10
	v_add3_u32 v20, v20, v10, 0x7fff
	v_cndmask_b32_e64 v10, v20, v21, s4
	v_lshrrev_b32_e32 v81, 16, v10
	;; [unrolled: 7-line block ×8, first 2 shown]
	s_and_saveexec_b32 s16, vcc_lo
	s_cbranch_execz .LBB376_1793
; %bb.1792:                             ;   in Loop: Header=BB376_934 Depth=1
	v_cmp_lt_i32_e64 s4, v61, v38
	v_cndmask_b32_e64 v114, 0, v114, s4
	v_cmp_lt_i32_e64 s4, v78, v38
	v_cndmask_b32_e64 v113, 0, v113, s4
	;; [unrolled: 2-line block ×8, first 2 shown]
.LBB376_1793:                           ;   in Loop: Header=BB376_934 Depth=1
	s_or_b32 exec_lo, exec_lo, s16
	flat_load_dwordx2 v[18:19], v[18:19] offset:1280
	v_mov_b32_e32 v24, 0
	v_mov_b32_e32 v23, 0
	s_waitcnt vmcnt(0) lgkmcnt(0)
	v_cmp_ne_u16_sdwa s4, v18, v11 src0_sel:BYTE_0 src1_sel:DWORD
	s_and_saveexec_b32 s16, s4
	s_cbranch_execz .LBB376_1801
; %bb.1794:                             ;   in Loop: Header=BB376_934 Depth=1
	v_cmp_ne_u16_sdwa s4, v18, v80 src0_sel:BYTE_0 src1_sel:DWORD
	v_bfrev_b32_e32 v23, 1
	s_and_saveexec_b32 s17, s4
	s_cbranch_execz .LBB376_1800
; %bb.1795:                             ;   in Loop: Header=BB376_934 Depth=1
	v_and_b32_e32 v20, 0x7f, v18
	v_mov_b32_e32 v23, 0x7f800001
	s_mov_b32 s18, exec_lo
	v_cmpx_ne_u32_e32 0x7f, v20
	s_cbranch_execz .LBB376_1799
; %bb.1796:                             ;   in Loop: Header=BB376_934 Depth=1
	v_lshrrev_b32_e32 v10, 3, v20
	v_cmp_gt_u32_e64 s4, 8, v20
	v_mov_b32_e32 v21, v19
	v_mov_b32_e32 v20, v18
	s_and_saveexec_b32 s20, s4
; %bb.1797:                             ;   in Loop: Header=BB376_934 Depth=1
	v_and_b32_e32 v10, 7, v18
	v_ffbh_u32_e32 v10, v10
	v_min_u32_e32 v10, 32, v10
	v_subrev_nc_u32_e32 v20, 28, v10
	v_sub_nc_u32_e32 v10, 29, v10
	v_lshlrev_b64 v[20:21], v20, v[18:19]
; %bb.1798:                             ;   in Loop: Header=BB376_934 Depth=1
	s_or_b32 exec_lo, exec_lo, s20
	v_lshlrev_b32_e32 v20, 20, v20
	v_lshlrev_b32_e32 v21, 24, v18
	v_lshl_add_u32 v10, v10, 23, 0x3c000000
	v_and_b32_e32 v20, 0x700000, v20
	v_and_b32_e32 v21, 0x80000000, v21
	v_or3_b32 v23, v20, v21, v10
.LBB376_1799:                           ;   in Loop: Header=BB376_934 Depth=1
	s_or_b32 exec_lo, exec_lo, s18
.LBB376_1800:                           ;   in Loop: Header=BB376_934 Depth=1
	s_or_b32 exec_lo, exec_lo, s17
.LBB376_1801:                           ;   in Loop: Header=BB376_934 Depth=1
	s_or_b32 exec_lo, exec_lo, s16
	v_cmp_ne_u16_sdwa s4, v18, v11 src0_sel:BYTE_1 src1_sel:DWORD
	s_and_saveexec_b32 s16, s4
	s_cbranch_execz .LBB376_1809
; %bb.1802:                             ;   in Loop: Header=BB376_934 Depth=1
	v_cmp_ne_u16_sdwa s4, v18, v80 src0_sel:BYTE_1 src1_sel:DWORD
	v_bfrev_b32_e32 v24, 1
	s_and_saveexec_b32 s17, s4
	s_cbranch_execz .LBB376_1808
; %bb.1803:                             ;   in Loop: Header=BB376_934 Depth=1
	v_mov_b32_e32 v10, 0xffff
	v_mov_b32_e32 v24, 0x7f800001
	s_mov_b32 s18, exec_lo
	v_and_b32_sdwa v10, v10, v18 dst_sel:DWORD dst_unused:UNUSED_PAD src0_sel:DWORD src1_sel:BYTE_1
	v_and_b32_e32 v20, 0x7f, v10
	v_cmpx_ne_u32_e32 0x7f, v20
	s_cbranch_execz .LBB376_1807
; %bb.1804:                             ;   in Loop: Header=BB376_934 Depth=1
	v_and_b32_e32 v10, 7, v10
	v_lshrrev_b32_e32 v24, 3, v20
	v_cmp_gt_u32_e64 s4, 8, v20
	v_mov_b32_e32 v21, v11
	v_mov_b32_e32 v20, v10
	s_and_saveexec_b32 s20, s4
; %bb.1805:                             ;   in Loop: Header=BB376_934 Depth=1
	v_ffbh_u32_e32 v20, v10
	v_min_u32_e32 v24, 32, v20
	v_subrev_nc_u32_e32 v20, 28, v24
	v_sub_nc_u32_e32 v24, 29, v24
	v_lshlrev_b64 v[20:21], v20, v[10:11]
	v_and_b32_e32 v20, 7, v20
; %bb.1806:                             ;   in Loop: Header=BB376_934 Depth=1
	s_or_b32 exec_lo, exec_lo, s20
	v_lshlrev_b32_e32 v10, 16, v18
	v_lshlrev_b32_e32 v20, 20, v20
	v_lshl_add_u32 v21, v24, 23, 0x3c000000
	v_and_b32_e32 v10, 0x80000000, v10
	v_or3_b32 v24, v20, v10, v21
.LBB376_1807:                           ;   in Loop: Header=BB376_934 Depth=1
	s_or_b32 exec_lo, exec_lo, s18
.LBB376_1808:                           ;   in Loop: Header=BB376_934 Depth=1
	s_or_b32 exec_lo, exec_lo, s17
.LBB376_1809:                           ;   in Loop: Header=BB376_934 Depth=1
	s_or_b32 exec_lo, exec_lo, s16
	v_and_b32_sdwa v10, v18, v82 dst_sel:DWORD dst_unused:UNUSED_PAD src0_sel:WORD_1 src1_sel:DWORD
	v_mov_b32_e32 v116, 0
	v_mov_b32_e32 v68, 0
	s_mov_b32 s16, exec_lo
	v_cmpx_ne_u16_e32 0, v10
	s_cbranch_execz .LBB376_1817
; %bb.1810:                             ;   in Loop: Header=BB376_934 Depth=1
	v_bfrev_b32_e32 v68, 1
	s_mov_b32 s17, exec_lo
	v_cmpx_ne_u16_e32 0x80, v10
	s_cbranch_execz .LBB376_1816
; %bb.1811:                             ;   in Loop: Header=BB376_934 Depth=1
	v_bfe_u32 v20, v18, 16, 7
	v_mov_b32_e32 v68, 0x7f800001
	s_mov_b32 s18, exec_lo
	v_cmpx_ne_u32_e32 0x7f, v20
	s_cbranch_execz .LBB376_1815
; %bb.1812:                             ;   in Loop: Header=BB376_934 Depth=1
	v_mov_b32_e32 v10, 7
	v_lshrrev_b32_e32 v68, 3, v20
	v_cmp_gt_u32_e64 s4, 8, v20
	v_and_b32_sdwa v10, v18, v10 dst_sel:DWORD dst_unused:UNUSED_PAD src0_sel:WORD_1 src1_sel:DWORD
	v_mov_b32_e32 v21, v11
	v_mov_b32_e32 v20, v10
	s_and_saveexec_b32 s20, s4
; %bb.1813:                             ;   in Loop: Header=BB376_934 Depth=1
	v_ffbh_u32_e32 v20, v10
	v_min_u32_e32 v68, 32, v20
	v_subrev_nc_u32_e32 v20, 28, v68
	v_sub_nc_u32_e32 v68, 29, v68
	v_lshlrev_b64 v[20:21], v20, v[10:11]
	v_and_b32_e32 v20, 7, v20
; %bb.1814:                             ;   in Loop: Header=BB376_934 Depth=1
	s_or_b32 exec_lo, exec_lo, s20
	v_mov_b32_e32 v10, 24
	v_lshlrev_b32_e32 v20, 20, v20
	v_lshl_add_u32 v21, v68, 23, 0x3c000000
	v_lshlrev_b32_sdwa v10, v10, v18 dst_sel:DWORD dst_unused:UNUSED_PAD src0_sel:DWORD src1_sel:WORD_1
	v_and_b32_e32 v10, 0x80000000, v10
	v_or3_b32 v68, v20, v10, v21
.LBB376_1815:                           ;   in Loop: Header=BB376_934 Depth=1
	s_or_b32 exec_lo, exec_lo, s18
.LBB376_1816:                           ;   in Loop: Header=BB376_934 Depth=1
	s_or_b32 exec_lo, exec_lo, s17
.LBB376_1817:                           ;   in Loop: Header=BB376_934 Depth=1
	s_or_b32 exec_lo, exec_lo, s16
	s_mov_b32 s16, exec_lo
	v_cmpx_lt_u32_e32 0xffffff, v18
	s_cbranch_execz .LBB376_1825
; %bb.1818:                             ;   in Loop: Header=BB376_934 Depth=1
	v_cmp_ne_u32_sdwa s4, v18, v80 src0_sel:BYTE_3 src1_sel:DWORD
	v_bfrev_b32_e32 v116, 1
	s_and_saveexec_b32 s17, s4
	s_cbranch_execz .LBB376_1824
; %bb.1819:                             ;   in Loop: Header=BB376_934 Depth=1
	v_bfe_u32 v20, v18, 24, 7
	v_mov_b32_e32 v116, 0x7f800001
	s_mov_b32 s18, exec_lo
	v_cmpx_ne_u32_e32 0x7f, v20
	s_cbranch_execz .LBB376_1823
; %bb.1820:                             ;   in Loop: Header=BB376_934 Depth=1
	v_mov_b32_e32 v10, 7
	v_lshrrev_b32_e32 v116, 3, v20
	v_cmp_gt_u32_e64 s4, 8, v20
	v_and_b32_sdwa v10, v18, v10 dst_sel:DWORD dst_unused:UNUSED_PAD src0_sel:BYTE_3 src1_sel:DWORD
	v_mov_b32_e32 v21, v11
	v_mov_b32_e32 v20, v10
	s_and_saveexec_b32 s20, s4
; %bb.1821:                             ;   in Loop: Header=BB376_934 Depth=1
	v_ffbh_u32_e32 v20, v10
	v_min_u32_e32 v116, 32, v20
	v_subrev_nc_u32_e32 v20, 28, v116
	v_sub_nc_u32_e32 v116, 29, v116
	v_lshlrev_b64 v[20:21], v20, v[10:11]
	v_and_b32_e32 v20, 7, v20
; %bb.1822:                             ;   in Loop: Header=BB376_934 Depth=1
	s_or_b32 exec_lo, exec_lo, s20
	v_mov_b32_e32 v10, 24
	v_lshlrev_b32_e32 v20, 20, v20
	v_lshl_add_u32 v21, v116, 23, 0x3c000000
	v_lshlrev_b32_sdwa v10, v10, v18 dst_sel:DWORD dst_unused:UNUSED_PAD src0_sel:DWORD src1_sel:BYTE_3
	v_and_b32_e32 v10, 0x80000000, v10
	v_or3_b32 v116, v20, v10, v21
.LBB376_1823:                           ;   in Loop: Header=BB376_934 Depth=1
	s_or_b32 exec_lo, exec_lo, s18
.LBB376_1824:                           ;   in Loop: Header=BB376_934 Depth=1
	s_or_b32 exec_lo, exec_lo, s17
.LBB376_1825:                           ;   in Loop: Header=BB376_934 Depth=1
	s_or_b32 exec_lo, exec_lo, s16
	v_mov_b32_e32 v10, v19
	v_cmp_ne_u16_sdwa s4, v19, v11 src0_sel:BYTE_0 src1_sel:DWORD
	v_mov_b32_e32 v40, 0
	v_mov_b32_e32 v119, 0
	s_and_saveexec_b32 s16, s4
	s_cbranch_execz .LBB376_1833
; %bb.1826:                             ;   in Loop: Header=BB376_934 Depth=1
	v_cmp_ne_u16_sdwa s4, v19, v80 src0_sel:BYTE_0 src1_sel:DWORD
	v_bfrev_b32_e32 v119, 1
	s_and_saveexec_b32 s17, s4
	s_cbranch_execz .LBB376_1832
; %bb.1827:                             ;   in Loop: Header=BB376_934 Depth=1
	v_and_b32_e32 v20, 0x7f, v19
	v_mov_b32_e32 v119, 0x7f800001
	s_mov_b32 s18, exec_lo
	v_cmpx_ne_u32_e32 0x7f, v20
	s_cbranch_execz .LBB376_1831
; %bb.1828:                             ;   in Loop: Header=BB376_934 Depth=1
	v_lshrrev_b32_e32 v117, 3, v20
	v_cmp_gt_u32_e64 s4, 8, v20
	v_mov_b32_e32 v21, v11
	v_mov_b32_e32 v20, v10
	s_and_saveexec_b32 s20, s4
; %bb.1829:                             ;   in Loop: Header=BB376_934 Depth=1
	v_and_b32_e32 v20, 7, v19
	v_ffbh_u32_e32 v20, v20
	v_min_u32_e32 v117, 32, v20
	v_subrev_nc_u32_e32 v20, 28, v117
	v_sub_nc_u32_e32 v117, 29, v117
	v_lshlrev_b64 v[20:21], v20, v[10:11]
; %bb.1830:                             ;   in Loop: Header=BB376_934 Depth=1
	s_or_b32 exec_lo, exec_lo, s20
	v_lshlrev_b32_e32 v20, 20, v20
	v_lshlrev_b32_e32 v21, 24, v10
	v_lshl_add_u32 v117, v117, 23, 0x3c000000
	v_and_b32_e32 v20, 0x700000, v20
	v_and_b32_e32 v21, 0x80000000, v21
	v_or3_b32 v119, v20, v21, v117
.LBB376_1831:                           ;   in Loop: Header=BB376_934 Depth=1
	s_or_b32 exec_lo, exec_lo, s18
.LBB376_1832:                           ;   in Loop: Header=BB376_934 Depth=1
	s_or_b32 exec_lo, exec_lo, s17
.LBB376_1833:                           ;   in Loop: Header=BB376_934 Depth=1
	s_or_b32 exec_lo, exec_lo, s16
	v_cmp_ne_u16_sdwa s4, v10, v11 src0_sel:BYTE_1 src1_sel:DWORD
	s_and_saveexec_b32 s16, s4
	s_cbranch_execz .LBB376_1841
; %bb.1834:                             ;   in Loop: Header=BB376_934 Depth=1
	v_cmp_ne_u16_sdwa s4, v10, v80 src0_sel:BYTE_1 src1_sel:DWORD
	v_bfrev_b32_e32 v40, 1
	s_and_saveexec_b32 s17, s4
	s_cbranch_execz .LBB376_1840
; %bb.1835:                             ;   in Loop: Header=BB376_934 Depth=1
	v_mov_b32_e32 v20, 0xffff
	v_mov_b32_e32 v40, 0x7f800001
	s_mov_b32 s18, exec_lo
	v_and_b32_sdwa v20, v20, v10 dst_sel:DWORD dst_unused:UNUSED_PAD src0_sel:DWORD src1_sel:BYTE_1
	v_and_b32_e32 v118, 0x7f, v20
	v_cmpx_ne_u32_e32 0x7f, v118
	s_cbranch_execz .LBB376_1839
; %bb.1836:                             ;   in Loop: Header=BB376_934 Depth=1
	v_and_b32_e32 v20, 7, v20
	v_mov_b32_e32 v21, v11
	v_lshrrev_b32_e32 v117, 3, v118
	s_mov_b32 s20, exec_lo
	v_cmpx_gt_u32_e32 8, v118
; %bb.1837:                             ;   in Loop: Header=BB376_934 Depth=1
	v_ffbh_u32_e32 v117, v20
	v_min_u32_e32 v117, 32, v117
	v_subrev_nc_u32_e32 v118, 28, v117
	v_sub_nc_u32_e32 v117, 29, v117
	v_lshlrev_b64 v[20:21], v118, v[20:21]
	v_and_b32_e32 v20, 7, v20
; %bb.1838:                             ;   in Loop: Header=BB376_934 Depth=1
	s_or_b32 exec_lo, exec_lo, s20
	v_lshlrev_b32_e32 v10, 16, v10
	v_lshlrev_b32_e32 v20, 20, v20
	v_lshl_add_u32 v21, v117, 23, 0x3c000000
	v_and_b32_e32 v10, 0x80000000, v10
	v_or3_b32 v40, v20, v10, v21
.LBB376_1839:                           ;   in Loop: Header=BB376_934 Depth=1
	s_or_b32 exec_lo, exec_lo, s18
.LBB376_1840:                           ;   in Loop: Header=BB376_934 Depth=1
	s_or_b32 exec_lo, exec_lo, s17
.LBB376_1841:                           ;   in Loop: Header=BB376_934 Depth=1
	s_or_b32 exec_lo, exec_lo, s16
	v_and_b32_sdwa v10, v19, v82 dst_sel:DWORD dst_unused:UNUSED_PAD src0_sel:WORD_1 src1_sel:DWORD
	v_mov_b32_e32 v117, 0
	v_mov_b32_e32 v118, 0
	s_mov_b32 s16, exec_lo
	v_cmpx_ne_u16_e32 0, v10
	s_cbranch_execz .LBB376_1849
; %bb.1842:                             ;   in Loop: Header=BB376_934 Depth=1
	v_bfrev_b32_e32 v118, 1
	s_mov_b32 s17, exec_lo
	v_cmpx_ne_u16_e32 0x80, v10
	s_cbranch_execz .LBB376_1848
; %bb.1843:                             ;   in Loop: Header=BB376_934 Depth=1
	v_bfe_u32 v20, v19, 16, 7
	v_mov_b32_e32 v118, 0x7f800001
	s_mov_b32 s18, exec_lo
	v_cmpx_ne_u32_e32 0x7f, v20
	s_cbranch_execz .LBB376_1847
; %bb.1844:                             ;   in Loop: Header=BB376_934 Depth=1
	v_mov_b32_e32 v10, 7
	v_lshrrev_b32_e32 v118, 3, v20
	v_cmp_gt_u32_e64 s4, 8, v20
	v_and_b32_sdwa v10, v19, v10 dst_sel:DWORD dst_unused:UNUSED_PAD src0_sel:WORD_1 src1_sel:DWORD
	v_mov_b32_e32 v21, v11
	v_mov_b32_e32 v20, v10
	s_and_saveexec_b32 s20, s4
; %bb.1845:                             ;   in Loop: Header=BB376_934 Depth=1
	v_ffbh_u32_e32 v20, v10
	v_min_u32_e32 v118, 32, v20
	v_subrev_nc_u32_e32 v20, 28, v118
	v_sub_nc_u32_e32 v118, 29, v118
	v_lshlrev_b64 v[20:21], v20, v[10:11]
	v_and_b32_e32 v20, 7, v20
; %bb.1846:                             ;   in Loop: Header=BB376_934 Depth=1
	s_or_b32 exec_lo, exec_lo, s20
	v_mov_b32_e32 v10, 24
	v_lshlrev_b32_e32 v20, 20, v20
	v_lshl_add_u32 v21, v118, 23, 0x3c000000
	v_lshlrev_b32_sdwa v10, v10, v19 dst_sel:DWORD dst_unused:UNUSED_PAD src0_sel:DWORD src1_sel:WORD_1
	v_and_b32_e32 v10, 0x80000000, v10
	v_or3_b32 v118, v20, v10, v21
.LBB376_1847:                           ;   in Loop: Header=BB376_934 Depth=1
	s_or_b32 exec_lo, exec_lo, s18
.LBB376_1848:                           ;   in Loop: Header=BB376_934 Depth=1
	s_or_b32 exec_lo, exec_lo, s17
.LBB376_1849:                           ;   in Loop: Header=BB376_934 Depth=1
	s_or_b32 exec_lo, exec_lo, s16
	s_mov_b32 s16, exec_lo
	v_cmpx_lt_u64_e64 s[12:13], v[18:19]
	s_cbranch_execz .LBB376_1857
; %bb.1850:                             ;   in Loop: Header=BB376_934 Depth=1
	v_cmp_ne_u32_sdwa s4, v19, v80 src0_sel:BYTE_3 src1_sel:DWORD
	v_bfrev_b32_e32 v117, 1
	s_and_saveexec_b32 s17, s4
	s_cbranch_execz .LBB376_1856
; %bb.1851:                             ;   in Loop: Header=BB376_934 Depth=1
	v_bfe_u32 v20, v19, 24, 7
	v_mov_b32_e32 v117, 0x7f800001
	s_mov_b32 s18, exec_lo
	v_cmpx_ne_u32_e32 0x7f, v20
	s_cbranch_execz .LBB376_1855
; %bb.1852:                             ;   in Loop: Header=BB376_934 Depth=1
	v_mov_b32_e32 v10, 7
	v_lshrrev_b32_e32 v18, 3, v20
	v_cmp_gt_u32_e64 s4, 8, v20
	v_and_b32_sdwa v10, v19, v10 dst_sel:DWORD dst_unused:UNUSED_PAD src0_sel:BYTE_3 src1_sel:DWORD
	v_mov_b32_e32 v21, v11
	v_mov_b32_e32 v20, v10
	s_and_saveexec_b32 s20, s4
; %bb.1853:                             ;   in Loop: Header=BB376_934 Depth=1
	v_ffbh_u32_e32 v18, v10
	v_min_u32_e32 v18, 32, v18
	v_subrev_nc_u32_e32 v20, 28, v18
	v_sub_nc_u32_e32 v18, 29, v18
	v_lshlrev_b64 v[20:21], v20, v[10:11]
	v_and_b32_e32 v20, 7, v20
; %bb.1854:                             ;   in Loop: Header=BB376_934 Depth=1
	s_or_b32 exec_lo, exec_lo, s20
	v_mov_b32_e32 v10, 24
	v_lshl_add_u32 v18, v18, 23, 0x3c000000
	v_lshlrev_b32_sdwa v10, v10, v19 dst_sel:DWORD dst_unused:UNUSED_PAD src0_sel:DWORD src1_sel:BYTE_3
	v_lshlrev_b32_e32 v19, 20, v20
	v_and_b32_e32 v10, 0x80000000, v10
	v_or3_b32 v117, v19, v10, v18
.LBB376_1855:                           ;   in Loop: Header=BB376_934 Depth=1
	s_or_b32 exec_lo, exec_lo, s18
.LBB376_1856:                           ;   in Loop: Header=BB376_934 Depth=1
	s_or_b32 exec_lo, exec_lo, s17
.LBB376_1857:                           ;   in Loop: Header=BB376_934 Depth=1
	s_or_b32 exec_lo, exec_lo, s16
	v_mul_f32_e32 v10, v56, v40
	v_bfe_u32 v18, v10, 16, 1
	v_or_b32_e32 v19, 0x400000, v10
	v_cmp_u_f32_e64 s4, v10, v10
	v_add3_u32 v18, v18, v10, 0x7fff
	v_cndmask_b32_e64 v10, v18, v19, s4
	v_mul_f32_e32 v18, v56, v119
	v_lshrrev_b32_e32 v10, 16, v10
	v_bfe_u32 v19, v18, 16, 1
	v_or_b32_e32 v20, 0x400000, v18
	v_cmp_u_f32_e64 s4, v18, v18
	v_add3_u32 v19, v19, v18, 0x7fff
	v_cndmask_b32_e64 v18, v19, v20, s4
	v_mul_f32_e32 v19, v56, v116
	v_lshrrev_b32_e32 v18, 16, v18
	;; [unrolled: 7-line block ×3, first 2 shown]
	v_bfe_u32 v21, v20, 16, 1
	v_or_b32_e32 v68, 0x400000, v20
	v_cmp_u_f32_e64 s4, v20, v20
	v_add3_u32 v21, v21, v20, 0x7fff
	v_cndmask_b32_e64 v20, v21, v68, s4
	v_lshrrev_b32_e32 v21, 16, v20
	v_mul_f32_e32 v20, v56, v24
	v_bfe_u32 v24, v20, 16, 1
	v_or_b32_e32 v68, 0x400000, v20
	v_cmp_u_f32_e64 s4, v20, v20
	v_add3_u32 v24, v24, v20, 0x7fff
	v_cndmask_b32_e64 v20, v24, v68, s4
	v_lshrrev_b32_e32 v24, 16, v20
	v_mul_f32_e32 v20, v56, v23
	;; [unrolled: 7-line block ×3, first 2 shown]
	v_bfe_u32 v23, v20, 16, 1
	v_or_b32_e32 v116, 0x400000, v20
	v_cmp_u_f32_e64 s4, v20, v20
	v_add3_u32 v23, v23, v20, 0x7fff
	v_cndmask_b32_e64 v20, v23, v116, s4
	v_mul_f32_e32 v23, v56, v117
	v_lshrrev_b32_e32 v20, 16, v20
	v_bfe_u32 v116, v23, 16, 1
	v_or_b32_e32 v117, 0x400000, v23
	v_cmp_u_f32_e64 s4, v23, v23
	v_add3_u32 v116, v116, v23, 0x7fff
	v_cndmask_b32_e64 v23, v116, v117, s4
	v_lshrrev_b32_e32 v23, 16, v23
	s_and_saveexec_b32 s4, vcc_lo
	s_cbranch_execz .LBB376_932
; %bb.1858:                             ;   in Loop: Header=BB376_934 Depth=1
	v_cmp_lt_i32_e32 vcc_lo, v61, v38
	v_cndmask_b32_e32 v68, 0, v68, vcc_lo
	v_cmp_lt_i32_e32 vcc_lo, v78, v38
	v_cndmask_b32_e32 v24, 0, v24, vcc_lo
	v_cmp_lt_i32_e32 vcc_lo, v77, v38
	v_cndmask_b32_e32 v21, 0, v21, vcc_lo
	v_cmp_lt_i32_e32 vcc_lo, v76, v38
	v_cndmask_b32_e32 v19, 0, v19, vcc_lo
	v_cmp_lt_i32_e32 vcc_lo, v75, v38
	v_cndmask_b32_e32 v18, 0, v18, vcc_lo
	v_cmp_lt_i32_e32 vcc_lo, v74, v38
	v_cndmask_b32_e32 v10, 0, v10, vcc_lo
	v_cmp_lt_i32_e32 vcc_lo, v73, v38
	v_cndmask_b32_e32 v20, 0, v20, vcc_lo
	v_cmp_lt_i32_e32 vcc_lo, v72, v38
	v_cndmask_b32_e32 v23, 0, v23, vcc_lo
	s_branch .LBB376_932
.LBB376_1859:
	s_or_b32 exec_lo, exec_lo, s11
	s_clause 0xf
	buffer_load_dword v32, off, s[0:3], s32 offset:388
	buffer_load_dword v13, off, s[0:3], s32 offset:392
	;; [unrolled: 1-line block ×16, first 2 shown]
.LBB376_1860:
	s_or_b32 exec_lo, exec_lo, s7
	s_waitcnt vmcnt(1)
	ds_bpermute_b32 v0, v13, v28
	ds_bpermute_b32 v6, v13, v34
	;; [unrolled: 1-line block ×8, first 2 shown]
	s_waitcnt vmcnt(0)
	ds_bpermute_b32 v1, v13, v29
	ds_bpermute_b32 v5, v13, v16
	;; [unrolled: 1-line block ×6, first 2 shown]
	s_waitcnt lgkmcnt(0)
	s_waitcnt_vscnt null, 0x0
	s_barrier
	buffer_gl0_inv
	s_load_dword s4, s[8:9], 0x0
	s_mov_b32 s7, exec_lo
	v_add_f32_e32 v0, v28, v0
	v_add_f32_e32 v6, v34, v6
	;; [unrolled: 1-line block ×6, first 2 shown]
	ds_bpermute_b32 v7, v32, v0
	v_add_f32_e32 v18, v20, v8
	ds_bpermute_b32 v20, v32, v6
	ds_bpermute_b32 v21, v32, v14
	v_add_f32_e32 v24, v24, v10
	v_add_f32_e32 v1, v29, v1
	;; [unrolled: 1-line block ×3, first 2 shown]
	ds_bpermute_b32 v16, v32, v2
	ds_bpermute_b32 v17, v32, v3
	;; [unrolled: 1-line block ×3, first 2 shown]
	v_mov_b32_e32 v27, v19
	v_add_f32_e32 v25, v25, v11
	ds_bpermute_b32 v15, v32, v1
	v_add_f32_e32 v23, v23, v9
	v_add_f32_e32 v26, v26, v12
	v_add_f32_e32 v27, v27, v13
	ds_bpermute_b32 v8, v32, v4
	ds_bpermute_b32 v19, v32, v5
	;; [unrolled: 1-line block ×4, first 2 shown]
	s_waitcnt lgkmcnt(0)
	v_add_f32_e32 v13, v0, v7
	ds_bpermute_b32 v30, v32, v25
	v_add_f32_e32 v7, v6, v20
	v_add_f32_e32 v6, v14, v21
	buffer_load_dword v14, off, s[0:3], s32 offset:360 ; 4-byte Folded Reload
	ds_bpermute_b32 v31, v32, v26
	ds_bpermute_b32 v32, v32, v27
	v_add_f32_e32 v11, v2, v16
	v_add_f32_e32 v10, v3, v17
	;; [unrolled: 1-line block ×3, first 2 shown]
	s_clause 0x1
	buffer_load_dword v24, off, s[0:3], s32 offset:744
	buffer_load_dword v16, off, s[0:3], s32 offset:748
	v_add_f32_e32 v12, v1, v15
	v_add_f32_e32 v9, v4, v8
	;; [unrolled: 1-line block ×5, first 2 shown]
	s_waitcnt lgkmcnt(2)
	v_add_f32_e32 v0, v25, v30
	s_waitcnt lgkmcnt(1)
	v_add_f32_e32 v1, v26, v31
	;; [unrolled: 2-line block ×3, first 2 shown]
	s_waitcnt vmcnt(2)
	v_and_b32_e32 v15, 28, v14
	v_lshrrev_b32_e32 v14, 2, v14
	v_add_nc_u32_e32 v15, s4, v15
	s_waitcnt vmcnt(1)
	v_and_b32_e32 v17, 0x3c3, v24
	s_waitcnt vmcnt(0)
	v_mul_u32_u24_e32 v16, 0x1c0, v16
	v_cmpx_eq_u32_e32 64, v17
	s_cbranch_execz .LBB376_1862
; %bb.1861:
	v_add_nc_u32_e32 v17, v15, v16
	v_add_nc_u32_e32 v18, 0xfffffc80, v17
	;; [unrolled: 1-line block ×7, first 2 shown]
	ds_write_b32 v18, v13
	ds_write_b32 v19, v12
	;; [unrolled: 1-line block ×4, first 2 shown]
	v_add_nc_u32_e32 v18, 0xfffffd40, v17
	v_add_nc_u32_e32 v19, 0xfffffd60, v17
	;; [unrolled: 1-line block ×3, first 2 shown]
	ds_write_b32 v22, v9
	ds_write_b32 v23, v8
	;; [unrolled: 1-line block ×5, first 2 shown]
	v_add_nc_u32_e32 v18, 0xfffffda0, v17
	v_add_nc_u32_e32 v19, 0xfffffdc0, v17
	;; [unrolled: 1-line block ×5, first 2 shown]
	ds_write_b32 v18, v4
	ds_write_b32 v19, v3
	;; [unrolled: 1-line block ×5, first 2 shown]
.LBB376_1862:
	s_or_b32 exec_lo, exec_lo, s7
	v_lshlrev_b32_e32 v14, 2, v14
	s_mov_b32 s7, exec_lo
	v_cmp_eq_u32_e32 vcc_lo, 0, v33
	s_waitcnt lgkmcnt(0)
	s_barrier
	v_add3_u32 v14, s4, v16, v14
	buffer_gl0_inv
	v_cmpx_gt_u32_e32 64, v24
	s_cbranch_execz .LBB376_1879
; %bb.1863:
	s_and_saveexec_b32 s4, vcc_lo
	s_cbranch_execnz .LBB376_1901
; %bb.1864:
	s_or_b32 exec_lo, exec_lo, s4
	s_and_saveexec_b32 s4, vcc_lo
	s_cbranch_execnz .LBB376_1902
.LBB376_1865:
	s_or_b32 exec_lo, exec_lo, s4
	s_and_saveexec_b32 s4, vcc_lo
	s_cbranch_execnz .LBB376_1903
.LBB376_1866:
	s_or_b32 exec_lo, exec_lo, s4
	s_and_saveexec_b32 s4, vcc_lo
	s_cbranch_execnz .LBB376_1904
.LBB376_1867:
	s_or_b32 exec_lo, exec_lo, s4
	s_and_saveexec_b32 s4, vcc_lo
	s_cbranch_execnz .LBB376_1905
.LBB376_1868:
	s_or_b32 exec_lo, exec_lo, s4
	s_and_saveexec_b32 s4, vcc_lo
	s_cbranch_execnz .LBB376_1906
.LBB376_1869:
	s_or_b32 exec_lo, exec_lo, s4
	s_and_saveexec_b32 s4, vcc_lo
	s_cbranch_execnz .LBB376_1907
.LBB376_1870:
	s_or_b32 exec_lo, exec_lo, s4
	s_and_saveexec_b32 s4, vcc_lo
	s_cbranch_execnz .LBB376_1908
.LBB376_1871:
	s_or_b32 exec_lo, exec_lo, s4
	s_and_saveexec_b32 s4, vcc_lo
	s_cbranch_execnz .LBB376_1909
.LBB376_1872:
	s_or_b32 exec_lo, exec_lo, s4
	s_and_saveexec_b32 s4, vcc_lo
	s_cbranch_execnz .LBB376_1910
.LBB376_1873:
	s_or_b32 exec_lo, exec_lo, s4
	s_and_saveexec_b32 s4, vcc_lo
	s_cbranch_execnz .LBB376_1911
.LBB376_1874:
	s_or_b32 exec_lo, exec_lo, s4
	s_and_saveexec_b32 s4, vcc_lo
	s_cbranch_execnz .LBB376_1912
.LBB376_1875:
	s_or_b32 exec_lo, exec_lo, s4
	s_and_saveexec_b32 s4, vcc_lo
	s_cbranch_execnz .LBB376_1913
.LBB376_1876:
	s_or_b32 exec_lo, exec_lo, s4
	s_and_saveexec_b32 s4, vcc_lo
	s_cbranch_execz .LBB376_1878
.LBB376_1877:
	ds_read_b32 v16, v14 offset:416
	s_waitcnt lgkmcnt(0)
	v_add_f32_e32 v2, v16, v2
.LBB376_1878:
	s_or_b32 exec_lo, exec_lo, s4
.LBB376_1879:
	s_or_b32 exec_lo, exec_lo, s7
	v_and_b32_e32 v16, 0x3e3, v24
	s_mov_b32 s7, exec_lo
	s_barrier
	buffer_gl0_inv
	v_cmpx_eq_u32_e32 32, v16
	s_cbranch_execz .LBB376_1881
; %bb.1880:
	ds_write2_b32 v15, v13, v12 offset1:8
	ds_write2_b32 v15, v11, v10 offset0:16 offset1:24
	ds_write2_b32 v15, v9, v8 offset0:32 offset1:40
	;; [unrolled: 1-line block ×6, first 2 shown]
.LBB376_1881:
	s_or_b32 exec_lo, exec_lo, s7
	s_mov_b32 s7, exec_lo
	s_waitcnt lgkmcnt(0)
	s_barrier
	buffer_gl0_inv
	v_cmpx_gt_u32_e32 32, v24
	s_cbranch_execz .LBB376_1898
; %bb.1882:
	s_and_saveexec_b32 s4, vcc_lo
	s_cbranch_execnz .LBB376_1914
; %bb.1883:
	s_or_b32 exec_lo, exec_lo, s4
	s_and_saveexec_b32 s4, vcc_lo
	s_cbranch_execnz .LBB376_1915
.LBB376_1884:
	s_or_b32 exec_lo, exec_lo, s4
	s_and_saveexec_b32 s4, vcc_lo
	s_cbranch_execnz .LBB376_1916
.LBB376_1885:
	s_or_b32 exec_lo, exec_lo, s4
	s_and_saveexec_b32 s4, vcc_lo
	s_cbranch_execnz .LBB376_1917
.LBB376_1886:
	s_or_b32 exec_lo, exec_lo, s4
	s_and_saveexec_b32 s4, vcc_lo
	s_cbranch_execnz .LBB376_1918
.LBB376_1887:
	s_or_b32 exec_lo, exec_lo, s4
	s_and_saveexec_b32 s4, vcc_lo
	s_cbranch_execnz .LBB376_1919
.LBB376_1888:
	s_or_b32 exec_lo, exec_lo, s4
	s_and_saveexec_b32 s4, vcc_lo
	s_cbranch_execnz .LBB376_1920
.LBB376_1889:
	s_or_b32 exec_lo, exec_lo, s4
	s_and_saveexec_b32 s4, vcc_lo
	s_cbranch_execnz .LBB376_1921
.LBB376_1890:
	s_or_b32 exec_lo, exec_lo, s4
	s_and_saveexec_b32 s4, vcc_lo
	s_cbranch_execnz .LBB376_1922
.LBB376_1891:
	s_or_b32 exec_lo, exec_lo, s4
	s_and_saveexec_b32 s4, vcc_lo
	s_cbranch_execnz .LBB376_1923
.LBB376_1892:
	s_or_b32 exec_lo, exec_lo, s4
	s_and_saveexec_b32 s4, vcc_lo
	s_cbranch_execnz .LBB376_1924
.LBB376_1893:
	s_or_b32 exec_lo, exec_lo, s4
	s_and_saveexec_b32 s4, vcc_lo
	s_cbranch_execnz .LBB376_1925
.LBB376_1894:
	s_or_b32 exec_lo, exec_lo, s4
	s_and_saveexec_b32 s4, vcc_lo
	s_cbranch_execnz .LBB376_1926
.LBB376_1895:
	s_or_b32 exec_lo, exec_lo, s4
	s_and_saveexec_b32 s4, vcc_lo
	s_cbranch_execz .LBB376_1897
.LBB376_1896:
	ds_read_b32 v14, v14 offset:416
	s_waitcnt lgkmcnt(0)
	v_add_f32_e32 v2, v14, v2
.LBB376_1897:
	s_or_b32 exec_lo, exec_lo, s4
.LBB376_1898:
	s_or_b32 exec_lo, exec_lo, s7
	v_cmp_eq_u32_e32 vcc_lo, 0, v16
	s_barrier
	buffer_gl0_inv
	s_and_b32 exec_lo, exec_lo, vcc_lo
	s_cbranch_execz .LBB376_1900
; %bb.1899:
	s_clause 0x1
	buffer_load_dword v14, off, s[0:3], s32 offset:756
	buffer_load_dword v15, off, s[0:3], s32 offset:752
	s_mulk_i32 s6, 0x70
	s_mul_i32 s4, s10, s5
	s_ashr_i32 s7, s6, 31
	s_ashr_i32 s5, s4, 31
	s_lshl_b64 s[6:7], s[6:7], 1
	s_lshl_b64 s[4:5], s[4:5], 1
	v_lshrrev_b32_e32 v16, 1, v24
	v_bfe_u32 v17, v13, 16, 1
	v_or_b32_e32 v18, 0x400000, v13
	v_add3_u32 v17, v17, v13, 0x7fff
	s_waitcnt vmcnt(1)
	v_add_co_u32 v14, vcc_lo, v14, s6
	s_waitcnt vmcnt(0)
	v_add_co_ci_u32_e64 v15, null, s7, v15, vcc_lo
	s_mul_i32 s6, s14, 0x70
	v_add_co_u32 v14, vcc_lo, v14, s4
	s_ashr_i32 s7, s6, 31
	v_add_co_ci_u32_e64 v15, null, s5, v15, vcc_lo
	s_lshl_b64 s[4:5], s[6:7], 1
	v_add_co_u32 v14, vcc_lo, v14, s4
	v_add_co_ci_u32_e64 v15, null, s5, v15, vcc_lo
	v_add_co_u32 v14, vcc_lo, v14, v16
	v_add_co_ci_u32_e64 v15, null, 0, v15, vcc_lo
	v_bfe_u32 v16, v12, 16, 1
	v_cmp_u_f32_e32 vcc_lo, v13, v13
	v_add3_u32 v16, v16, v12, 0x7fff
	v_cndmask_b32_e32 v13, v17, v18, vcc_lo
	v_bfe_u32 v17, v11, 16, 1
	v_or_b32_e32 v18, 0x400000, v12
	v_cmp_u_f32_e32 vcc_lo, v12, v12
	flat_store_short_d16_hi v[14:15], v13
	v_add3_u32 v13, v17, v11, 0x7fff
	v_or_b32_e32 v17, 0x400000, v11
	v_cndmask_b32_e32 v12, v16, v18, vcc_lo
	v_bfe_u32 v16, v10, 16, 1
	v_cmp_u_f32_e32 vcc_lo, v11, v11
	flat_store_short_d16_hi v[14:15], v12 offset:16
	v_add3_u32 v12, v16, v10, 0x7fff
	v_cndmask_b32_e32 v11, v13, v17, vcc_lo
	v_bfe_u32 v13, v9, 16, 1
	v_or_b32_e32 v16, 0x400000, v10
	v_cmp_u_f32_e32 vcc_lo, v10, v10
	flat_store_short_d16_hi v[14:15], v11 offset:32
	v_add3_u32 v11, v13, v9, 0x7fff
	v_or_b32_e32 v13, 0x400000, v9
	v_cndmask_b32_e32 v10, v12, v16, vcc_lo
	v_bfe_u32 v12, v8, 16, 1
	v_cmp_u_f32_e32 vcc_lo, v9, v9
	flat_store_short_d16_hi v[14:15], v10 offset:48
	v_add3_u32 v10, v12, v8, 0x7fff
	v_cndmask_b32_e32 v9, v11, v13, vcc_lo
	v_bfe_u32 v11, v7, 16, 1
	v_or_b32_e32 v12, 0x400000, v8
	v_cmp_u_f32_e32 vcc_lo, v8, v8
	flat_store_short_d16_hi v[14:15], v9 offset:64
	;; [unrolled: 12-line block ×3, first 2 shown]
	v_add3_u32 v7, v9, v5, 0x7fff
	v_or_b32_e32 v9, 0x400000, v5
	v_cndmask_b32_e32 v6, v8, v10, vcc_lo
	v_bfe_u32 v8, v4, 16, 1
	v_cmp_u_f32_e32 vcc_lo, v5, v5
	v_or_b32_e32 v10, 0x400000, v2
	flat_store_short_d16_hi v[14:15], v6 offset:112
	v_add3_u32 v6, v8, v4, 0x7fff
	v_cndmask_b32_e32 v5, v7, v9, vcc_lo
	v_bfe_u32 v7, v3, 16, 1
	v_or_b32_e32 v8, 0x400000, v4
	v_cmp_u_f32_e32 vcc_lo, v4, v4
	v_or_b32_e32 v9, 0x400000, v1
	flat_store_short_d16_hi v[14:15], v5 offset:128
	v_add3_u32 v5, v7, v3, 0x7fff
	v_or_b32_e32 v7, 0x400000, v3
	v_cndmask_b32_e32 v4, v6, v8, vcc_lo
	v_bfe_u32 v6, v0, 16, 1
	v_cmp_u_f32_e32 vcc_lo, v3, v3
	v_bfe_u32 v8, v1, 16, 1
	v_add3_u32 v6, v6, v0, 0x7fff
	v_cndmask_b32_e32 v3, v5, v7, vcc_lo
	v_or_b32_e32 v7, 0x400000, v0
	v_cmp_u_f32_e32 vcc_lo, v0, v0
	v_bfe_u32 v5, v2, 16, 1
	v_add3_u32 v8, v8, v1, 0x7fff
	v_cndmask_b32_e32 v0, v6, v7, vcc_lo
	v_cmp_u_f32_e32 vcc_lo, v1, v1
	v_add3_u32 v5, v5, v2, 0x7fff
	v_cndmask_b32_e32 v1, v8, v9, vcc_lo
	v_cmp_u_f32_e32 vcc_lo, v2, v2
	v_cndmask_b32_e32 v2, v5, v10, vcc_lo
	flat_store_short_d16_hi v[14:15], v4 offset:144
	flat_store_short_d16_hi v[14:15], v3 offset:160
	;; [unrolled: 1-line block ×5, first 2 shown]
.LBB376_1900:
	s_or_b32 exec_lo, exec_lo, s19
	s_clause 0x2f
	buffer_load_dword v127, off, s[0:3], s32 offset:8
	buffer_load_dword v126, off, s[0:3], s32 offset:12
	;; [unrolled: 1-line block ×48, first 2 shown]
	s_waitcnt vmcnt(0) lgkmcnt(0)
	s_setpc_b64 s[30:31]
.LBB376_1901:
	ds_read_b32 v16, v14
	s_waitcnt lgkmcnt(0)
	v_add_f32_e32 v13, v16, v13
	s_or_b32 exec_lo, exec_lo, s4
	s_and_saveexec_b32 s4, vcc_lo
	s_cbranch_execz .LBB376_1865
.LBB376_1902:
	ds_read_b32 v16, v14 offset:32
	s_waitcnt lgkmcnt(0)
	v_add_f32_e32 v12, v16, v12
	s_or_b32 exec_lo, exec_lo, s4
	s_and_saveexec_b32 s4, vcc_lo
	s_cbranch_execz .LBB376_1866
.LBB376_1903:
	ds_read_b32 v16, v14 offset:64
	s_waitcnt lgkmcnt(0)
	v_add_f32_e32 v11, v16, v11
	s_or_b32 exec_lo, exec_lo, s4
	s_and_saveexec_b32 s4, vcc_lo
	s_cbranch_execz .LBB376_1867
.LBB376_1904:
	ds_read_b32 v16, v14 offset:96
	s_waitcnt lgkmcnt(0)
	v_add_f32_e32 v10, v16, v10
	s_or_b32 exec_lo, exec_lo, s4
	s_and_saveexec_b32 s4, vcc_lo
	s_cbranch_execz .LBB376_1868
.LBB376_1905:
	ds_read_b32 v16, v14 offset:128
	s_waitcnt lgkmcnt(0)
	v_add_f32_e32 v9, v16, v9
	s_or_b32 exec_lo, exec_lo, s4
	s_and_saveexec_b32 s4, vcc_lo
	s_cbranch_execz .LBB376_1869
.LBB376_1906:
	ds_read_b32 v16, v14 offset:160
	s_waitcnt lgkmcnt(0)
	v_add_f32_e32 v8, v16, v8
	s_or_b32 exec_lo, exec_lo, s4
	s_and_saveexec_b32 s4, vcc_lo
	s_cbranch_execz .LBB376_1870
.LBB376_1907:
	ds_read_b32 v16, v14 offset:192
	s_waitcnt lgkmcnt(0)
	v_add_f32_e32 v7, v16, v7
	s_or_b32 exec_lo, exec_lo, s4
	s_and_saveexec_b32 s4, vcc_lo
	s_cbranch_execz .LBB376_1871
.LBB376_1908:
	ds_read_b32 v16, v14 offset:224
	s_waitcnt lgkmcnt(0)
	v_add_f32_e32 v6, v16, v6
	s_or_b32 exec_lo, exec_lo, s4
	s_and_saveexec_b32 s4, vcc_lo
	s_cbranch_execz .LBB376_1872
.LBB376_1909:
	ds_read_b32 v16, v14 offset:256
	s_waitcnt lgkmcnt(0)
	v_add_f32_e32 v5, v16, v5
	s_or_b32 exec_lo, exec_lo, s4
	s_and_saveexec_b32 s4, vcc_lo
	s_cbranch_execz .LBB376_1873
.LBB376_1910:
	ds_read_b32 v16, v14 offset:288
	s_waitcnt lgkmcnt(0)
	v_add_f32_e32 v4, v16, v4
	s_or_b32 exec_lo, exec_lo, s4
	s_and_saveexec_b32 s4, vcc_lo
	s_cbranch_execz .LBB376_1874
.LBB376_1911:
	ds_read_b32 v16, v14 offset:320
	s_waitcnt lgkmcnt(0)
	v_add_f32_e32 v3, v16, v3
	s_or_b32 exec_lo, exec_lo, s4
	s_and_saveexec_b32 s4, vcc_lo
	s_cbranch_execz .LBB376_1875
.LBB376_1912:
	ds_read_b32 v16, v14 offset:352
	s_waitcnt lgkmcnt(0)
	v_add_f32_e32 v0, v16, v0
	s_or_b32 exec_lo, exec_lo, s4
	s_and_saveexec_b32 s4, vcc_lo
	s_cbranch_execz .LBB376_1876
.LBB376_1913:
	ds_read_b32 v16, v14 offset:384
	s_waitcnt lgkmcnt(0)
	v_add_f32_e32 v1, v16, v1
	s_or_b32 exec_lo, exec_lo, s4
	s_and_saveexec_b32 s4, vcc_lo
	s_cbranch_execnz .LBB376_1877
	s_branch .LBB376_1878
.LBB376_1914:
	ds_read_b32 v15, v14
	s_waitcnt lgkmcnt(0)
	v_add_f32_e32 v13, v15, v13
	s_or_b32 exec_lo, exec_lo, s4
	s_and_saveexec_b32 s4, vcc_lo
	s_cbranch_execz .LBB376_1884
.LBB376_1915:
	ds_read_b32 v15, v14 offset:32
	s_waitcnt lgkmcnt(0)
	v_add_f32_e32 v12, v15, v12
	s_or_b32 exec_lo, exec_lo, s4
	s_and_saveexec_b32 s4, vcc_lo
	s_cbranch_execz .LBB376_1885
.LBB376_1916:
	ds_read_b32 v15, v14 offset:64
	s_waitcnt lgkmcnt(0)
	v_add_f32_e32 v11, v15, v11
	s_or_b32 exec_lo, exec_lo, s4
	s_and_saveexec_b32 s4, vcc_lo
	s_cbranch_execz .LBB376_1886
.LBB376_1917:
	ds_read_b32 v15, v14 offset:96
	s_waitcnt lgkmcnt(0)
	v_add_f32_e32 v10, v15, v10
	s_or_b32 exec_lo, exec_lo, s4
	s_and_saveexec_b32 s4, vcc_lo
	s_cbranch_execz .LBB376_1887
.LBB376_1918:
	ds_read_b32 v15, v14 offset:128
	s_waitcnt lgkmcnt(0)
	v_add_f32_e32 v9, v15, v9
	s_or_b32 exec_lo, exec_lo, s4
	s_and_saveexec_b32 s4, vcc_lo
	s_cbranch_execz .LBB376_1888
.LBB376_1919:
	ds_read_b32 v15, v14 offset:160
	s_waitcnt lgkmcnt(0)
	v_add_f32_e32 v8, v15, v8
	s_or_b32 exec_lo, exec_lo, s4
	s_and_saveexec_b32 s4, vcc_lo
	s_cbranch_execz .LBB376_1889
.LBB376_1920:
	ds_read_b32 v15, v14 offset:192
	s_waitcnt lgkmcnt(0)
	v_add_f32_e32 v7, v15, v7
	s_or_b32 exec_lo, exec_lo, s4
	s_and_saveexec_b32 s4, vcc_lo
	s_cbranch_execz .LBB376_1890
.LBB376_1921:
	ds_read_b32 v15, v14 offset:224
	s_waitcnt lgkmcnt(0)
	v_add_f32_e32 v6, v15, v6
	s_or_b32 exec_lo, exec_lo, s4
	s_and_saveexec_b32 s4, vcc_lo
	s_cbranch_execz .LBB376_1891
.LBB376_1922:
	ds_read_b32 v15, v14 offset:256
	s_waitcnt lgkmcnt(0)
	v_add_f32_e32 v5, v15, v5
	s_or_b32 exec_lo, exec_lo, s4
	s_and_saveexec_b32 s4, vcc_lo
	s_cbranch_execz .LBB376_1892
.LBB376_1923:
	ds_read_b32 v15, v14 offset:288
	s_waitcnt lgkmcnt(0)
	v_add_f32_e32 v4, v15, v4
	s_or_b32 exec_lo, exec_lo, s4
	s_and_saveexec_b32 s4, vcc_lo
	s_cbranch_execz .LBB376_1893
.LBB376_1924:
	ds_read_b32 v15, v14 offset:320
	s_waitcnt lgkmcnt(0)
	v_add_f32_e32 v3, v15, v3
	s_or_b32 exec_lo, exec_lo, s4
	s_and_saveexec_b32 s4, vcc_lo
	s_cbranch_execz .LBB376_1894
.LBB376_1925:
	ds_read_b32 v15, v14 offset:352
	s_waitcnt lgkmcnt(0)
	v_add_f32_e32 v0, v15, v0
	s_or_b32 exec_lo, exec_lo, s4
	s_and_saveexec_b32 s4, vcc_lo
	s_cbranch_execz .LBB376_1895
.LBB376_1926:
	ds_read_b32 v15, v14 offset:384
	s_waitcnt lgkmcnt(0)
	v_add_f32_e32 v1, v15, v1
	s_or_b32 exec_lo, exec_lo, s4
	s_and_saveexec_b32 s4, vcc_lo
	s_cbranch_execnz .LBB376_1896
	s_branch .LBB376_1897
.Lfunc_end376:
	.size	_ZN4vllm22paged_attention_kernelI14__hip_bfloat16hLi112ELi32ELi128ELNS_18Fp8KVCacheDataTypeE1ELb1ELi512EEEvPfS3_PT_PKS4_PKT0_SA_ifPKiSC_iPKfiiiSE_SE_iiiii, .Lfunc_end376-_ZN4vllm22paged_attention_kernelI14__hip_bfloat16hLi112ELi32ELi128ELNS_18Fp8KVCacheDataTypeE1ELb1ELi512EEEvPfS3_PT_PKS4_PKT0_SA_ifPKiSC_iPKfiiiSE_SE_iiiii
                                        ; -- End function
	.set .L_ZN4vllm22paged_attention_kernelI14__hip_bfloat16hLi112ELi32ELi128ELNS_18Fp8KVCacheDataTypeE1ELb1ELi512EEEvPfS3_PT_PKS4_PKT0_SA_ifPKiSC_iPKfiiiSE_SE_iiiii.num_vgpr, 128
	.set .L_ZN4vllm22paged_attention_kernelI14__hip_bfloat16hLi112ELi32ELi128ELNS_18Fp8KVCacheDataTypeE1ELb1ELi512EEEvPfS3_PT_PKS4_PKT0_SA_ifPKiSC_iPKfiiiSE_SE_iiiii.num_agpr, 0
	.set .L_ZN4vllm22paged_attention_kernelI14__hip_bfloat16hLi112ELi32ELi128ELNS_18Fp8KVCacheDataTypeE1ELb1ELi512EEEvPfS3_PT_PKS4_PKT0_SA_ifPKiSC_iPKfiiiSE_SE_iiiii.numbered_sgpr, 33
	.set .L_ZN4vllm22paged_attention_kernelI14__hip_bfloat16hLi112ELi32ELi128ELNS_18Fp8KVCacheDataTypeE1ELb1ELi512EEEvPfS3_PT_PKS4_PKT0_SA_ifPKiSC_iPKfiiiSE_SE_iiiii.num_named_barrier, 0
	.set .L_ZN4vllm22paged_attention_kernelI14__hip_bfloat16hLi112ELi32ELi128ELNS_18Fp8KVCacheDataTypeE1ELb1ELi512EEEvPfS3_PT_PKS4_PKT0_SA_ifPKiSC_iPKfiiiSE_SE_iiiii.private_seg_size, 828
	.set .L_ZN4vllm22paged_attention_kernelI14__hip_bfloat16hLi112ELi32ELi128ELNS_18Fp8KVCacheDataTypeE1ELb1ELi512EEEvPfS3_PT_PKS4_PKT0_SA_ifPKiSC_iPKfiiiSE_SE_iiiii.uses_vcc, 1
	.set .L_ZN4vllm22paged_attention_kernelI14__hip_bfloat16hLi112ELi32ELi128ELNS_18Fp8KVCacheDataTypeE1ELb1ELi512EEEvPfS3_PT_PKS4_PKT0_SA_ifPKiSC_iPKfiiiSE_SE_iiiii.uses_flat_scratch, 0
	.set .L_ZN4vllm22paged_attention_kernelI14__hip_bfloat16hLi112ELi32ELi128ELNS_18Fp8KVCacheDataTypeE1ELb1ELi512EEEvPfS3_PT_PKS4_PKT0_SA_ifPKiSC_iPKfiiiSE_SE_iiiii.has_dyn_sized_stack, 0
	.set .L_ZN4vllm22paged_attention_kernelI14__hip_bfloat16hLi112ELi32ELi128ELNS_18Fp8KVCacheDataTypeE1ELb1ELi512EEEvPfS3_PT_PKS4_PKT0_SA_ifPKiSC_iPKfiiiSE_SE_iiiii.has_recursion, 0
	.set .L_ZN4vllm22paged_attention_kernelI14__hip_bfloat16hLi112ELi32ELi128ELNS_18Fp8KVCacheDataTypeE1ELb1ELi512EEEvPfS3_PT_PKS4_PKT0_SA_ifPKiSC_iPKfiiiSE_SE_iiiii.has_indirect_call, 0
	.section	.AMDGPU.csdata,"",@progbits
; Function info:
; codeLenInByte = 76832
; TotalNumSgprs: 35
; NumVgprs: 128
; ScratchSize: 828
; MemoryBound: 0
	.section	.text._ZN4vllm25paged_attention_v2_kernelI14__hip_bfloat16hLi112ELi32ELi128ELNS_18Fp8KVCacheDataTypeE1ELb1ELi512EEEvPfS3_PT_PKS4_PKT0_SA_ifPKiSC_iPKfiiiSE_SE_iiiii,"axG",@progbits,_ZN4vllm25paged_attention_v2_kernelI14__hip_bfloat16hLi112ELi32ELi128ELNS_18Fp8KVCacheDataTypeE1ELb1ELi512EEEvPfS3_PT_PKS4_PKT0_SA_ifPKiSC_iPKfiiiSE_SE_iiiii,comdat
	.protected	_ZN4vllm25paged_attention_v2_kernelI14__hip_bfloat16hLi112ELi32ELi128ELNS_18Fp8KVCacheDataTypeE1ELb1ELi512EEEvPfS3_PT_PKS4_PKT0_SA_ifPKiSC_iPKfiiiSE_SE_iiiii ; -- Begin function _ZN4vllm25paged_attention_v2_kernelI14__hip_bfloat16hLi112ELi32ELi128ELNS_18Fp8KVCacheDataTypeE1ELb1ELi512EEEvPfS3_PT_PKS4_PKT0_SA_ifPKiSC_iPKfiiiSE_SE_iiiii
	.globl	_ZN4vllm25paged_attention_v2_kernelI14__hip_bfloat16hLi112ELi32ELi128ELNS_18Fp8KVCacheDataTypeE1ELb1ELi512EEEvPfS3_PT_PKS4_PKT0_SA_ifPKiSC_iPKfiiiSE_SE_iiiii
	.p2align	8
	.type	_ZN4vllm25paged_attention_v2_kernelI14__hip_bfloat16hLi112ELi32ELi128ELNS_18Fp8KVCacheDataTypeE1ELb1ELi512EEEvPfS3_PT_PKS4_PKT0_SA_ifPKiSC_iPKfiiiSE_SE_iiiii,@function
_ZN4vllm25paged_attention_v2_kernelI14__hip_bfloat16hLi112ELi32ELi128ELNS_18Fp8KVCacheDataTypeE1ELb1ELi512EEEvPfS3_PT_PKS4_PKT0_SA_ifPKiSC_iPKfiiiSE_SE_iiiii: ; @_ZN4vllm25paged_attention_v2_kernelI14__hip_bfloat16hLi112ELi32ELi128ELNS_18Fp8KVCacheDataTypeE1ELb1ELi512EEEvPfS3_PT_PKS4_PKT0_SA_ifPKiSC_iPKfiiiSE_SE_iiiii
; %bb.0:
	s_mov_b32 s14, s8
	s_clause 0x7
	s_load_dwordx4 s[36:39], s[4:5], 0x78
	s_load_dword s8, s[4:5], 0x88
	s_load_dwordx8 s[40:47], s[4:5], 0x0
	s_load_dwordx8 s[24:31], s[4:5], 0x20
	s_load_dwordx2 s[10:11], s[4:5], 0x40
	s_load_dwordx2 s[34:35], s[4:5], 0x50
	s_load_dword s13, s[4:5], 0x48
	s_load_dwordx8 s[16:23], s[4:5], 0x58
	s_add_u32 s0, s0, s9
	s_mov_b32 s32, 0
	s_addc_u32 s1, s1, 0
	v_mov_b32_e32 v31, v0
	s_mov_b32 s12, s6
	s_mov_b32 s15, 1
	s_waitcnt lgkmcnt(0)
	v_mov_b32_e32 v1, s39
	v_mov_b32_e32 v2, s8
	;; [unrolled: 1-line block ×4, first 2 shown]
	buffer_store_dword v1, off, s[0:3], s32
	buffer_store_dword v2, off, s[0:3], s32 offset:4
	v_mov_b32_e32 v1, s41
	v_mov_b32_e32 v2, s42
	;; [unrolled: 1-line block ×29, first 2 shown]
	s_add_u32 s8, s4, 0x90
	s_addc_u32 s9, s5, 0
	s_getpc_b64 s[4:5]
	s_add_u32 s4, s4, _ZN4vllm22paged_attention_kernelI14__hip_bfloat16hLi112ELi32ELi128ELNS_18Fp8KVCacheDataTypeE1ELb1ELi512EEEvPfS3_PT_PKS4_PKT0_SA_ifPKiSC_iPKfiiiSE_SE_iiiii@rel32@lo+4
	s_addc_u32 s5, s5, _ZN4vllm22paged_attention_kernelI14__hip_bfloat16hLi112ELi32ELi128ELNS_18Fp8KVCacheDataTypeE1ELb1ELi512EEEvPfS3_PT_PKS4_PKT0_SA_ifPKiSC_iPKfiiiSE_SE_iiiii@rel32@hi+12
	s_mov_b32 s13, s7
	s_swappc_b64 s[30:31], s[4:5]
	s_endpgm
	.section	.rodata,"a",@progbits
	.p2align	6, 0x0
	.amdhsa_kernel _ZN4vllm25paged_attention_v2_kernelI14__hip_bfloat16hLi112ELi32ELi128ELNS_18Fp8KVCacheDataTypeE1ELb1ELi512EEEvPfS3_PT_PKS4_PKT0_SA_ifPKiSC_iPKfiiiSE_SE_iiiii
		.amdhsa_group_segment_fixed_size 256
		.amdhsa_private_segment_fixed_size 828
		.amdhsa_kernarg_size 400
		.amdhsa_user_sgpr_count 6
		.amdhsa_user_sgpr_private_segment_buffer 1
		.amdhsa_user_sgpr_dispatch_ptr 0
		.amdhsa_user_sgpr_queue_ptr 0
		.amdhsa_user_sgpr_kernarg_segment_ptr 1
		.amdhsa_user_sgpr_dispatch_id 0
		.amdhsa_user_sgpr_flat_scratch_init 0
		.amdhsa_user_sgpr_private_segment_size 0
		.amdhsa_wavefront_size32 1
		.amdhsa_uses_dynamic_stack 0
		.amdhsa_system_sgpr_private_segment_wavefront_offset 1
		.amdhsa_system_sgpr_workgroup_id_x 1
		.amdhsa_system_sgpr_workgroup_id_y 1
		.amdhsa_system_sgpr_workgroup_id_z 1
		.amdhsa_system_sgpr_workgroup_info 0
		.amdhsa_system_vgpr_workitem_id 0
		.amdhsa_next_free_vgpr 128
		.amdhsa_next_free_sgpr 48
		.amdhsa_reserve_vcc 1
		.amdhsa_reserve_flat_scratch 0
		.amdhsa_float_round_mode_32 0
		.amdhsa_float_round_mode_16_64 0
		.amdhsa_float_denorm_mode_32 3
		.amdhsa_float_denorm_mode_16_64 3
		.amdhsa_dx10_clamp 1
		.amdhsa_ieee_mode 1
		.amdhsa_fp16_overflow 0
		.amdhsa_workgroup_processor_mode 1
		.amdhsa_memory_ordered 1
		.amdhsa_forward_progress 1
		.amdhsa_shared_vgpr_count 0
		.amdhsa_exception_fp_ieee_invalid_op 0
		.amdhsa_exception_fp_denorm_src 0
		.amdhsa_exception_fp_ieee_div_zero 0
		.amdhsa_exception_fp_ieee_overflow 0
		.amdhsa_exception_fp_ieee_underflow 0
		.amdhsa_exception_fp_ieee_inexact 0
		.amdhsa_exception_int_div_zero 0
	.end_amdhsa_kernel
	.section	.text._ZN4vllm25paged_attention_v2_kernelI14__hip_bfloat16hLi112ELi32ELi128ELNS_18Fp8KVCacheDataTypeE1ELb1ELi512EEEvPfS3_PT_PKS4_PKT0_SA_ifPKiSC_iPKfiiiSE_SE_iiiii,"axG",@progbits,_ZN4vllm25paged_attention_v2_kernelI14__hip_bfloat16hLi112ELi32ELi128ELNS_18Fp8KVCacheDataTypeE1ELb1ELi512EEEvPfS3_PT_PKS4_PKT0_SA_ifPKiSC_iPKfiiiSE_SE_iiiii,comdat
.Lfunc_end377:
	.size	_ZN4vllm25paged_attention_v2_kernelI14__hip_bfloat16hLi112ELi32ELi128ELNS_18Fp8KVCacheDataTypeE1ELb1ELi512EEEvPfS3_PT_PKS4_PKT0_SA_ifPKiSC_iPKfiiiSE_SE_iiiii, .Lfunc_end377-_ZN4vllm25paged_attention_v2_kernelI14__hip_bfloat16hLi112ELi32ELi128ELNS_18Fp8KVCacheDataTypeE1ELb1ELi512EEEvPfS3_PT_PKS4_PKT0_SA_ifPKiSC_iPKfiiiSE_SE_iiiii
                                        ; -- End function
	.set _ZN4vllm25paged_attention_v2_kernelI14__hip_bfloat16hLi112ELi32ELi128ELNS_18Fp8KVCacheDataTypeE1ELb1ELi512EEEvPfS3_PT_PKS4_PKT0_SA_ifPKiSC_iPKfiiiSE_SE_iiiii.num_vgpr, max(32, .L_ZN4vllm22paged_attention_kernelI14__hip_bfloat16hLi112ELi32ELi128ELNS_18Fp8KVCacheDataTypeE1ELb1ELi512EEEvPfS3_PT_PKS4_PKT0_SA_ifPKiSC_iPKfiiiSE_SE_iiiii.num_vgpr)
	.set _ZN4vllm25paged_attention_v2_kernelI14__hip_bfloat16hLi112ELi32ELi128ELNS_18Fp8KVCacheDataTypeE1ELb1ELi512EEEvPfS3_PT_PKS4_PKT0_SA_ifPKiSC_iPKfiiiSE_SE_iiiii.num_agpr, max(0, .L_ZN4vllm22paged_attention_kernelI14__hip_bfloat16hLi112ELi32ELi128ELNS_18Fp8KVCacheDataTypeE1ELb1ELi512EEEvPfS3_PT_PKS4_PKT0_SA_ifPKiSC_iPKfiiiSE_SE_iiiii.num_agpr)
	.set _ZN4vllm25paged_attention_v2_kernelI14__hip_bfloat16hLi112ELi32ELi128ELNS_18Fp8KVCacheDataTypeE1ELb1ELi512EEEvPfS3_PT_PKS4_PKT0_SA_ifPKiSC_iPKfiiiSE_SE_iiiii.numbered_sgpr, max(48, .L_ZN4vllm22paged_attention_kernelI14__hip_bfloat16hLi112ELi32ELi128ELNS_18Fp8KVCacheDataTypeE1ELb1ELi512EEEvPfS3_PT_PKS4_PKT0_SA_ifPKiSC_iPKfiiiSE_SE_iiiii.numbered_sgpr)
	.set _ZN4vllm25paged_attention_v2_kernelI14__hip_bfloat16hLi112ELi32ELi128ELNS_18Fp8KVCacheDataTypeE1ELb1ELi512EEEvPfS3_PT_PKS4_PKT0_SA_ifPKiSC_iPKfiiiSE_SE_iiiii.num_named_barrier, max(0, .L_ZN4vllm22paged_attention_kernelI14__hip_bfloat16hLi112ELi32ELi128ELNS_18Fp8KVCacheDataTypeE1ELb1ELi512EEEvPfS3_PT_PKS4_PKT0_SA_ifPKiSC_iPKfiiiSE_SE_iiiii.num_named_barrier)
	.set _ZN4vllm25paged_attention_v2_kernelI14__hip_bfloat16hLi112ELi32ELi128ELNS_18Fp8KVCacheDataTypeE1ELb1ELi512EEEvPfS3_PT_PKS4_PKT0_SA_ifPKiSC_iPKfiiiSE_SE_iiiii.private_seg_size, 0+max(.L_ZN4vllm22paged_attention_kernelI14__hip_bfloat16hLi112ELi32ELi128ELNS_18Fp8KVCacheDataTypeE1ELb1ELi512EEEvPfS3_PT_PKS4_PKT0_SA_ifPKiSC_iPKfiiiSE_SE_iiiii.private_seg_size)
	.set _ZN4vllm25paged_attention_v2_kernelI14__hip_bfloat16hLi112ELi32ELi128ELNS_18Fp8KVCacheDataTypeE1ELb1ELi512EEEvPfS3_PT_PKS4_PKT0_SA_ifPKiSC_iPKfiiiSE_SE_iiiii.uses_vcc, or(1, .L_ZN4vllm22paged_attention_kernelI14__hip_bfloat16hLi112ELi32ELi128ELNS_18Fp8KVCacheDataTypeE1ELb1ELi512EEEvPfS3_PT_PKS4_PKT0_SA_ifPKiSC_iPKfiiiSE_SE_iiiii.uses_vcc)
	.set _ZN4vllm25paged_attention_v2_kernelI14__hip_bfloat16hLi112ELi32ELi128ELNS_18Fp8KVCacheDataTypeE1ELb1ELi512EEEvPfS3_PT_PKS4_PKT0_SA_ifPKiSC_iPKfiiiSE_SE_iiiii.uses_flat_scratch, or(0, .L_ZN4vllm22paged_attention_kernelI14__hip_bfloat16hLi112ELi32ELi128ELNS_18Fp8KVCacheDataTypeE1ELb1ELi512EEEvPfS3_PT_PKS4_PKT0_SA_ifPKiSC_iPKfiiiSE_SE_iiiii.uses_flat_scratch)
	.set _ZN4vllm25paged_attention_v2_kernelI14__hip_bfloat16hLi112ELi32ELi128ELNS_18Fp8KVCacheDataTypeE1ELb1ELi512EEEvPfS3_PT_PKS4_PKT0_SA_ifPKiSC_iPKfiiiSE_SE_iiiii.has_dyn_sized_stack, or(0, .L_ZN4vllm22paged_attention_kernelI14__hip_bfloat16hLi112ELi32ELi128ELNS_18Fp8KVCacheDataTypeE1ELb1ELi512EEEvPfS3_PT_PKS4_PKT0_SA_ifPKiSC_iPKfiiiSE_SE_iiiii.has_dyn_sized_stack)
	.set _ZN4vllm25paged_attention_v2_kernelI14__hip_bfloat16hLi112ELi32ELi128ELNS_18Fp8KVCacheDataTypeE1ELb1ELi512EEEvPfS3_PT_PKS4_PKT0_SA_ifPKiSC_iPKfiiiSE_SE_iiiii.has_recursion, or(0, .L_ZN4vllm22paged_attention_kernelI14__hip_bfloat16hLi112ELi32ELi128ELNS_18Fp8KVCacheDataTypeE1ELb1ELi512EEEvPfS3_PT_PKS4_PKT0_SA_ifPKiSC_iPKfiiiSE_SE_iiiii.has_recursion)
	.set _ZN4vllm25paged_attention_v2_kernelI14__hip_bfloat16hLi112ELi32ELi128ELNS_18Fp8KVCacheDataTypeE1ELb1ELi512EEEvPfS3_PT_PKS4_PKT0_SA_ifPKiSC_iPKfiiiSE_SE_iiiii.has_indirect_call, or(0, .L_ZN4vllm22paged_attention_kernelI14__hip_bfloat16hLi112ELi32ELi128ELNS_18Fp8KVCacheDataTypeE1ELb1ELi512EEEvPfS3_PT_PKS4_PKT0_SA_ifPKiSC_iPKfiiiSE_SE_iiiii.has_indirect_call)
	.section	.AMDGPU.csdata,"",@progbits
; Kernel info:
; codeLenInByte = 292
; TotalNumSgprs: 50
; NumVgprs: 128
; ScratchSize: 828
; MemoryBound: 0
; FloatMode: 240
; IeeeMode: 1
; LDSByteSize: 256 bytes/workgroup (compile time only)
; SGPRBlocks: 0
; VGPRBlocks: 15
; NumSGPRsForWavesPerEU: 50
; NumVGPRsForWavesPerEU: 128
; Occupancy: 8
; WaveLimiterHint : 1
; COMPUTE_PGM_RSRC2:SCRATCH_EN: 1
; COMPUTE_PGM_RSRC2:USER_SGPR: 6
; COMPUTE_PGM_RSRC2:TRAP_HANDLER: 0
; COMPUTE_PGM_RSRC2:TGID_X_EN: 1
; COMPUTE_PGM_RSRC2:TGID_Y_EN: 1
; COMPUTE_PGM_RSRC2:TGID_Z_EN: 1
; COMPUTE_PGM_RSRC2:TIDIG_COMP_CNT: 0
	.text
	.p2align	2                               ; -- Begin function _ZN4vllm22paged_attention_kernelI14__hip_bfloat16hLi120ELi32ELi128ELNS_18Fp8KVCacheDataTypeE1ELb1ELi512EEEvPfS3_PT_PKS4_PKT0_SA_ifPKiSC_iPKfiiiSE_SE_iiiii
	.type	_ZN4vllm22paged_attention_kernelI14__hip_bfloat16hLi120ELi32ELi128ELNS_18Fp8KVCacheDataTypeE1ELb1ELi512EEEvPfS3_PT_PKS4_PKT0_SA_ifPKiSC_iPKfiiiSE_SE_iiiii,@function
_ZN4vllm22paged_attention_kernelI14__hip_bfloat16hLi120ELi32ELi128ELNS_18Fp8KVCacheDataTypeE1ELb1ELi512EEEvPfS3_PT_PKS4_PKT0_SA_ifPKiSC_iPKfiiiSE_SE_iiiii: ; @_ZN4vllm22paged_attention_kernelI14__hip_bfloat16hLi120ELi32ELi128ELNS_18Fp8KVCacheDataTypeE1ELb1ELi512EEEvPfS3_PT_PKS4_PKT0_SA_ifPKiSC_iPKfiiiSE_SE_iiiii
; %bb.0:
	s_waitcnt vmcnt(0) expcnt(0) lgkmcnt(0)
	buffer_store_dword v40, off, s[0:3], s32 offset:196 ; 4-byte Folded Spill
	buffer_store_dword v41, off, s[0:3], s32 offset:192 ; 4-byte Folded Spill
	;; [unrolled: 1-line block ×48, first 2 shown]
	s_mov_b32 s18, s13
	s_ashr_i32 s19, s13, 31
	buffer_store_dword v26, off, s[0:3], s32 offset:420 ; 4-byte Folded Spill
	buffer_store_dword v27, off, s[0:3], s32 offset:424 ; 4-byte Folded Spill
	;; [unrolled: 1-line block ×6, first 2 shown]
	s_lshl_b64 s[4:5], s[18:19], 2
	v_mov_b32_e32 v24, v0
	v_add_co_u32 v0, vcc_lo, v16, s4
	v_mov_b32_e32 v22, v1
	v_add_co_ci_u32_e64 v1, null, s5, v17, vcc_lo
	buffer_store_dword v5, off, s[0:3], s32 offset:828 ; 4-byte Folded Spill
	buffer_store_dword v4, off, s[0:3], s32 offset:832 ; 4-byte Folded Spill
	v_mov_b32_e32 v32, v10
	v_mov_b32_e32 v25, v3
	flat_load_dword v38, v[0:1]
	s_clause 0x1
	buffer_load_dword v0, off, s[0:3], s32 offset:4
	buffer_load_dword v1, off, s[0:3], s32
	v_mov_b32_e32 v26, v2
	s_lshl_b32 s7, s14, 9
	s_mov_b32 s19, exec_lo
	s_waitcnt vmcnt(2) lgkmcnt(0)
	v_cmpx_lt_i32_e64 s7, v38
	s_cbranch_execz .LBB378_2032
; %bb.1:
	v_sub_nc_u32_e32 v2, 0, v12
	s_clause 0x1
	s_load_dword s4, s[8:9], 0x10
	s_load_dword s5, s[8:9], 0x0
	s_mov_b32 s16, s15
	v_max_i32_e32 v2, v12, v2
	v_cvt_f32_u32_e32 v3, v2
	v_sub_nc_u32_e32 v4, 0, v2
	v_rcp_iflag_f32_e32 v3, v3
	s_waitcnt lgkmcnt(0)
	s_lshr_b32 s4, s4, 16
	s_cmp_lg_u32 s4, 0
	s_cselect_b32 s4, -1, 0
	v_mul_f32_e32 v3, 0x4f7ffffe, v3
	s_cmp_lg_u32 s4, 0
	s_addc_u32 s15, s5, 0
	s_mov_b32 s5, exec_lo
	v_cvt_u32_f32_e32 v3, v3
	s_abs_i32 s4, s15
	v_mul_lo_u32 v4, v4, v3
	v_mul_hi_u32 v4, v3, v4
	v_add_nc_u32_e32 v3, v3, v4
	v_mul_hi_u32 v3, s4, v3
	v_mul_lo_u32 v4, v3, v2
	v_add_nc_u32_e32 v5, 1, v3
	v_sub_nc_u32_e32 v4, s4, v4
	s_abs_i32 s4, s12
	v_sub_nc_u32_e32 v10, v4, v2
	v_cmp_ge_u32_e32 vcc_lo, v4, v2
	v_cndmask_b32_e32 v3, v3, v5, vcc_lo
	v_cndmask_b32_e32 v4, v4, v10, vcc_lo
	v_xor_b32_e32 v5, s15, v12
	v_add_nc_u32_e32 v10, 1, v3
	v_cmp_ge_u32_e32 vcc_lo, v4, v2
	v_ashrrev_i32_e32 v5, 31, v5
	v_cndmask_b32_e32 v2, v3, v10, vcc_lo
	v_xor_b32_e32 v2, v2, v5
	v_sub_nc_u32_e32 v3, v2, v5
	v_sub_nc_u32_e32 v2, 0, v3
	v_max_i32_e32 v2, v3, v2
	v_cvt_f32_u32_e32 v4, v2
	v_sub_nc_u32_e32 v5, 0, v2
	v_rcp_iflag_f32_e32 v4, v4
	v_mul_f32_e32 v4, 0x4f7ffffe, v4
	v_cvt_u32_f32_e32 v4, v4
	v_mul_lo_u32 v5, v5, v4
	v_mul_hi_u32 v5, v4, v5
	v_add_nc_u32_e32 v4, v4, v5
	v_mad_u64_u32 v[16:17], null, s4, v4, 0
	v_mov_b32_e32 v4, 0
	buffer_store_dword v4, off, s[0:3], s32 offset:304 ; 4-byte Folded Spill
	v_cmpx_ne_u64_e32 0, v[19:20]
	s_cbranch_execz .LBB378_3
; %bb.2:
	s_ashr_i32 s13, s12, 31
	s_lshl_b64 s[10:11], s[12:13], 2
	v_add_co_u32 v4, vcc_lo, v19, s10
	v_add_co_ci_u32_e64 v5, null, s11, v20, vcc_lo
	flat_load_dword v4, v[4:5]
	s_waitcnt vmcnt(0) lgkmcnt(0)
	buffer_store_dword v4, off, s[0:3], s32 offset:304 ; 4-byte Folded Spill
.LBB378_3:
	s_or_b32 exec_lo, exec_lo, s5
	v_and_b32_e32 v4, 0x3ff, v31
	v_ashrrev_i32_e32 v3, 31, v3
	s_ashr_i32 s5, s12, 31
	s_mul_i32 s10, s12, 0x78
	s_mov_b32 s6, exec_lo
	buffer_store_dword v4, off, s[0:3], s32 offset:416 ; 4-byte Folded Spill
	v_cmpx_gt_u32_e32 15, v4
	s_cbranch_execz .LBB378_5
; %bb.4:
	buffer_load_dword v10, off, s[0:3], s32 offset:416 ; 4-byte Folded Reload
	v_mul_lo_u32 v4, v21, s18
	s_ashr_i32 s11, s10, 31
	s_lshl_b64 s[20:21], s[10:11], 1
	v_ashrrev_i32_e32 v5, 31, v4
	v_lshlrev_b64 v[4:5], 1, v[4:5]
	v_add_co_u32 v4, vcc_lo, v6, v4
	v_add_co_ci_u32_e64 v5, null, v7, v5, vcc_lo
	v_add_co_u32 v4, vcc_lo, v4, s20
	v_add_co_ci_u32_e64 v5, null, s21, v5, vcc_lo
	s_waitcnt vmcnt(0)
	v_lshlrev_b32_e32 v10, 4, v10
	v_add_co_u32 v4, vcc_lo, v4, v10
	v_add_co_ci_u32_e64 v5, null, 0, v5, vcc_lo
	flat_load_dwordx4 v[4:7], v[4:5]
	s_waitcnt vmcnt(0) lgkmcnt(0)
	ds_write_b128 v10, v[4:7]
.LBB378_5:
	s_or_b32 exec_lo, exec_lo, s6
	s_waitcnt vmcnt(0)
	v_sub_nc_u32_e32 v4, 0, v1
	v_mul_lo_u32 v5, v17, v2
	v_xor_b32_e32 v3, s5, v3
	v_max_i32_e32 v7, v1, v4
	v_sub_nc_u32_e32 v5, s4, v5
	v_cvt_f32_u32_e32 v4, v7
	buffer_store_dword v7, off, s[0:3], s32 offset:208 ; 4-byte Folded Spill
	s_mov_b32 s4, exec_lo
	v_sub_nc_u32_e32 v10, v5, v2
	v_rcp_iflag_f32_e32 v4, v4
	v_cmp_ge_u32_e32 vcc_lo, v5, v2
	v_cndmask_b32_e32 v5, v5, v10, vcc_lo
	v_mul_f32_e32 v4, 0x4f7ffffe, v4
	v_cvt_u32_f32_e32 v6, v4
	v_sub_nc_u32_e32 v4, 0, v7
	v_add_nc_u32_e32 v7, 1, v17
	v_mul_lo_u32 v13, v4, v6
	v_cndmask_b32_e32 v7, v17, v7, vcc_lo
	v_add_nc_u32_e32 v4, -1, v38
	v_cmp_ge_u32_e32 vcc_lo, v5, v2
	v_add_nc_u32_e32 v10, 1, v7
	v_mul_hi_u32 v16, v6, v13
	v_sub_nc_u32_e32 v13, 0, v4
	v_cndmask_b32_e32 v5, v7, v10, vcc_lo
	v_max_i32_e32 v2, v4, v13
	v_add_nc_u32_e32 v6, v6, v16
	v_xor_b32_e32 v5, v5, v3
	buffer_store_dword v6, off, s[0:3], s32 offset:228 ; 4-byte Folded Spill
	v_mad_u64_u32 v[6:7], null, v2, v6, 0
	v_sub_nc_u32_e32 v6, v5, v3
                                        ; implicit-def: $vgpr3
	s_waitcnt lgkmcnt(0)
	s_waitcnt_vscnt null, 0x0
	s_barrier
	buffer_gl0_inv
	buffer_store_dword v3, off, s[0:3], s32 offset:212 ; 4-byte Folded Spill
	buffer_store_dword v4, off, s[0:3], s32 offset:216 ; 4-byte Folded Spill
	v_cmpx_gt_i32_e32 0, v0
	s_xor_b32 s4, exec_lo, s4
	s_cbranch_execz .LBB378_7
; %bb.6:
	v_mad_u64_u32 v[12:13], null, v28, v12, v[6:7]
                                        ; implicit-def: $vgpr28
	v_mul_lo_u32 v0, v12, v0
	v_sub_nc_u32_e32 v0, 1, v0
	buffer_store_dword v0, off, s[0:3], s32 offset:212 ; 4-byte Folded Spill
	buffer_store_dword v1, off, s[0:3], s32 offset:216 ; 4-byte Folded Spill
                                        ; implicit-def: $vgpr0
.LBB378_7:
	s_or_saveexec_b32 s4, s4
	v_ashrrev_i32_e32 v3, 31, v4
	v_ashrrev_i32_e32 v1, 31, v1
	buffer_store_dword v1, off, s[0:3], s32 offset:220 ; 4-byte Folded Spill
	s_xor_b32 exec_lo, exec_lo, s4
	s_cbranch_execz .LBB378_9
; %bb.8:
	v_mad_u64_u32 v[4:5], null, s15, v28, s[12:13]
	v_mad_u64_u32 v[0:1], null, v4, v0, 1
	buffer_store_dword v0, off, s[0:3], s32 offset:212 ; 4-byte Folded Spill
	buffer_store_dword v1, off, s[0:3], s32 offset:216 ; 4-byte Folded Spill
.LBB378_9:
	s_or_b32 exec_lo, exec_lo, s4
	buffer_load_dword v13, off, s[0:3], s32 offset:208 ; 4-byte Folded Reload
	s_clause 0x1
	s_load_dword s22, s[8:9], 0x14
	s_load_dword s11, s[8:9], 0x8
	s_clause 0x1
	buffer_load_dword v5, off, s[0:3], s32 offset:220
	buffer_load_dword v16, off, s[0:3], s32 offset:416
	v_add_nc_u32_e32 v1, 31, v38
	v_add_nc_u32_e32 v4, 1, v7
	s_lshl_b32 s13, s14, 4
	v_mul_lo_u32 v37, v6, v23
	s_add_i32 s4, s13, 16
	v_mov_b32_e32 v17, 0xff7fffff
	v_sub_nc_u32_e32 v39, 0, v30
	v_ashrrev_i32_e32 v48, 31, v37
	s_waitcnt vmcnt(2)
	v_mul_lo_u32 v0, v7, v13
	s_waitcnt vmcnt(1)
	v_xor_b32_e32 v3, v3, v5
	v_ashrrev_i32_e32 v5, 31, v1
	s_waitcnt vmcnt(0)
	v_lshrrev_b32_e32 v12, 5, v16
	v_lshrrev_b32_e32 v5, 27, v5
	v_sub_nc_u32_e32 v2, v2, v0
	buffer_store_dword v12, off, s[0:3], s32 offset:824 ; 4-byte Folded Spill
	v_mul_lo_u32 v0, v18, s18
	v_add_nc_u32_e32 v1, v1, v5
	v_sub_nc_u32_e32 v10, v2, v13
	v_cmp_ge_u32_e32 vcc_lo, v2, v13
	v_cndmask_b32_e32 v4, v7, v4, vcc_lo
	v_cndmask_b32_e32 v2, v2, v10, vcc_lo
	v_and_b32_e32 v10, 31, v16
	v_add_nc_u32_e32 v7, 1, v4
	v_cmp_ge_u32_e32 vcc_lo, v2, v13
	v_ashrrev_i32_e32 v13, 5, v1
	v_lshl_add_u32 v1, v12, 5, s7
	v_lshlrev_b32_e32 v16, 2, v10
	v_cndmask_b32_e32 v2, v4, v7, vcc_lo
	v_add_nc_u32_e32 v4, s13, v12
	v_min_i32_e32 v6, s4, v13
	buffer_store_dword v1, off, s[0:3], s32 offset:836 ; 4-byte Folded Spill
	v_ashrrev_i32_e32 v1, 31, v0
	v_xor_b32_e32 v2, v2, v3
	v_ashrrev_i32_e32 v5, 31, v4
	buffer_store_dword v4, off, s[0:3], s32 offset:200 ; 4-byte Folded Spill
	buffer_store_dword v5, off, s[0:3], s32 offset:204 ; 4-byte Folded Spill
	buffer_store_dword v6, off, s[0:3], s32 offset:224 ; 4-byte Folded Spill
	v_sub_nc_u32_e32 v2, v2, v3
	v_lshlrev_b64 v[33:34], 2, v[0:1]
	v_sub_nc_u32_e32 v0, v2, v29
	buffer_store_dword v0, off, s[0:3], s32 offset:232 ; 4-byte Folded Spill
	buffer_store_dword v10, off, s[0:3], s32 offset:412 ; 4-byte Folded Spill
	v_cmp_lt_i32_e64 s4, v4, v6
	s_and_saveexec_b32 s23, s4
	s_cbranch_execz .LBB378_977
; %bb.10:
	v_mov_b32_e32 v20, 0
	buffer_store_dword v13, off, s[0:3], s32 offset:888 ; 4-byte Folded Spill
	buffer_store_dword v26, off, s[0:3], s32 offset:872 ; 4-byte Folded Spill
	;; [unrolled: 1-line block ×7, first 2 shown]
	s_getpc_b64 s[8:9]
	s_add_u32 s8, s8, llvm.amdgcn.dynlds.offset.table@rel32@lo+4
	s_addc_u32 s9, s9, llvm.amdgcn.dynlds.offset.table@rel32@hi+12
	s_ashr_i32 s17, s16, 31
	v_mov_b32_e32 v114, 0x80
	ds_read_b128 v[0:3], v20
	ds_read_b128 v[4:7], v20 offset:16
	ds_read_b128 v[10:13], v20 offset:32
	s_lshl_b64 s[20:21], s[16:17], 2
	s_mov_b32 s17, 0
	s_add_u32 s8, s8, s20
	s_addc_u32 s9, s9, s21
	s_mov_b32 s20, -1
	s_mov_b32 s21, 0xffffff
	s_waitcnt lgkmcnt(0)
	v_lshlrev_b32_e32 v17, 16, v0
	v_and_b32_e32 v0, 0xffff0000, v0
	buffer_store_dword v17, off, s[0:3], s32 offset:308 ; 4-byte Folded Spill
	buffer_store_dword v0, off, s[0:3], s32 offset:312 ; 4-byte Folded Spill
	v_lshlrev_b32_e32 v0, 16, v1
	v_mov_b32_e32 v17, 0xff7fffff
	buffer_store_dword v0, off, s[0:3], s32 offset:316 ; 4-byte Folded Spill
	v_and_b32_e32 v0, 0xffff0000, v1
	buffer_store_dword v0, off, s[0:3], s32 offset:320 ; 4-byte Folded Spill
	v_lshlrev_b32_e32 v0, 16, v2
	buffer_store_dword v0, off, s[0:3], s32 offset:324 ; 4-byte Folded Spill
	v_and_b32_e32 v0, 0xffff0000, v2
	buffer_store_dword v0, off, s[0:3], s32 offset:328 ; 4-byte Folded Spill
	v_lshlrev_b32_e32 v0, 16, v3
	;; [unrolled: 4-line block ×3, first 2 shown]
	buffer_store_dword v0, off, s[0:3], s32 offset:340 ; 4-byte Folded Spill
	v_and_b32_e32 v0, 0xffff0000, v4
	v_lshlrev_b32_e32 v4, 16, v10
	buffer_store_dword v0, off, s[0:3], s32 offset:344 ; 4-byte Folded Spill
	v_lshlrev_b32_e32 v0, 16, v5
	buffer_store_dword v4, off, s[0:3], s32 offset:376 ; 4-byte Folded Spill
	v_and_b32_e32 v4, 0xffff0000, v10
	buffer_store_dword v0, off, s[0:3], s32 offset:352 ; 4-byte Folded Spill
	v_and_b32_e32 v0, 0xffff0000, v5
	buffer_store_dword v4, off, s[0:3], s32 offset:380 ; 4-byte Folded Spill
	v_lshlrev_b32_e32 v4, 16, v11
	buffer_store_dword v0, off, s[0:3], s32 offset:356 ; 4-byte Folded Spill
	v_lshlrev_b32_e32 v0, 16, v6
	buffer_store_dword v4, off, s[0:3], s32 offset:384 ; 4-byte Folded Spill
	v_and_b32_e32 v4, 0xffff0000, v11
	buffer_store_dword v0, off, s[0:3], s32 offset:360 ; 4-byte Folded Spill
	v_and_b32_e32 v0, 0xffff0000, v6
	buffer_store_dword v4, off, s[0:3], s32 offset:388 ; 4-byte Folded Spill
	;; [unrolled: 8-line block ×3, first 2 shown]
	v_lshlrev_b32_e32 v4, 16, v13
	buffer_store_dword v0, off, s[0:3], s32 offset:372 ; 4-byte Folded Spill
	ds_read_b128 v[0:3], v20 offset:48
	buffer_store_dword v4, off, s[0:3], s32 offset:400 ; 4-byte Folded Spill
	v_and_b32_e32 v4, 0xffff0000, v13
	buffer_store_dword v4, off, s[0:3], s32 offset:404 ; 4-byte Folded Spill
	s_waitcnt lgkmcnt(0)
	v_lshlrev_b32_e32 v4, 16, v0
	v_and_b32_e32 v0, 0xffff0000, v0
	buffer_store_dword v4, off, s[0:3], s32 offset:408 ; 4-byte Folded Spill
	buffer_store_dword v0, off, s[0:3], s32 offset:428 ; 4-byte Folded Spill
	v_lshlrev_b32_e32 v0, 16, v1
	buffer_store_dword v0, off, s[0:3], s32 offset:432 ; 4-byte Folded Spill
	v_and_b32_e32 v0, 0xffff0000, v1
	buffer_store_dword v0, off, s[0:3], s32 offset:436 ; 4-byte Folded Spill
	v_lshlrev_b32_e32 v0, 16, v2
	buffer_store_dword v0, off, s[0:3], s32 offset:444 ; 4-byte Folded Spill
	v_and_b32_e32 v0, 0xffff0000, v2
	buffer_store_dword v0, off, s[0:3], s32 offset:448 ; 4-byte Folded Spill
	v_lshlrev_b32_e32 v0, 16, v3
	buffer_store_dword v0, off, s[0:3], s32 offset:452 ; 4-byte Folded Spill
	v_and_b32_e32 v0, 0xffff0000, v3
	buffer_store_dword v0, off, s[0:3], s32 offset:456 ; 4-byte Folded Spill
	ds_read_b128 v[0:3], v20 offset:64
	ds_read_b128 v[4:7], v20 offset:80
	s_waitcnt lgkmcnt(1)
	v_lshlrev_b32_e32 v10, 16, v0
	v_and_b32_e32 v0, 0xffff0000, v0
	buffer_store_dword v10, off, s[0:3], s32 offset:460 ; 4-byte Folded Spill
	buffer_store_dword v0, off, s[0:3], s32 offset:464 ; 4-byte Folded Spill
	v_lshlrev_b32_e32 v0, 16, v1
	buffer_store_dword v0, off, s[0:3], s32 offset:468 ; 4-byte Folded Spill
	v_and_b32_e32 v0, 0xffff0000, v1
	buffer_store_dword v0, off, s[0:3], s32 offset:472 ; 4-byte Folded Spill
	v_lshlrev_b32_e32 v0, 16, v2
	buffer_store_dword v0, off, s[0:3], s32 offset:476 ; 4-byte Folded Spill
	v_and_b32_e32 v0, 0xffff0000, v2
	buffer_store_dword v0, off, s[0:3], s32 offset:480 ; 4-byte Folded Spill
	v_lshlrev_b32_e32 v0, 16, v3
	buffer_store_dword v0, off, s[0:3], s32 offset:484 ; 4-byte Folded Spill
	v_and_b32_e32 v0, 0xffff0000, v3
	buffer_store_dword v0, off, s[0:3], s32 offset:488 ; 4-byte Folded Spill
	s_waitcnt lgkmcnt(0)
	v_lshlrev_b32_e32 v0, 16, v4
	buffer_store_dword v0, off, s[0:3], s32 offset:492 ; 4-byte Folded Spill
	v_and_b32_e32 v0, 0xffff0000, v4
	buffer_store_dword v0, off, s[0:3], s32 offset:496 ; 4-byte Folded Spill
	v_lshlrev_b32_e32 v0, 16, v5
	buffer_store_dword v0, off, s[0:3], s32 offset:500 ; 4-byte Folded Spill
	v_and_b32_e32 v0, 0xffff0000, v5
	buffer_store_dword v0, off, s[0:3], s32 offset:504 ; 4-byte Folded Spill
	v_lshlrev_b32_e32 v0, 16, v6
	buffer_store_dword v0, off, s[0:3], s32 offset:508 ; 4-byte Folded Spill
	v_and_b32_e32 v0, 0xffff0000, v6
	buffer_store_dword v0, off, s[0:3], s32 offset:512 ; 4-byte Folded Spill
	v_lshlrev_b32_e32 v0, 16, v7
	buffer_store_dword v0, off, s[0:3], s32 offset:516 ; 4-byte Folded Spill
	v_and_b32_e32 v0, 0xffff0000, v7
	buffer_store_dword v0, off, s[0:3], s32 offset:520 ; 4-byte Folded Spill
	ds_read_b128 v[0:3], v20 offset:96
	ds_read_b128 v[4:7], v20 offset:112
	s_waitcnt lgkmcnt(1)
	v_lshlrev_b32_e32 v10, 16, v0
	v_and_b32_e32 v0, 0xffff0000, v0
	buffer_store_dword v10, off, s[0:3], s32 offset:524 ; 4-byte Folded Spill
	buffer_store_dword v0, off, s[0:3], s32 offset:528 ; 4-byte Folded Spill
	v_lshlrev_b32_e32 v0, 16, v1
	buffer_store_dword v0, off, s[0:3], s32 offset:532 ; 4-byte Folded Spill
	v_and_b32_e32 v0, 0xffff0000, v1
	buffer_store_dword v0, off, s[0:3], s32 offset:536 ; 4-byte Folded Spill
	v_lshlrev_b32_e32 v0, 16, v2
	buffer_store_dword v0, off, s[0:3], s32 offset:540 ; 4-byte Folded Spill
	v_and_b32_e32 v0, 0xffff0000, v2
	buffer_store_dword v0, off, s[0:3], s32 offset:544 ; 4-byte Folded Spill
	v_lshlrev_b32_e32 v0, 16, v3
	buffer_store_dword v0, off, s[0:3], s32 offset:548 ; 4-byte Folded Spill
	v_and_b32_e32 v0, 0xffff0000, v3
	buffer_store_dword v0, off, s[0:3], s32 offset:552 ; 4-byte Folded Spill
	s_waitcnt lgkmcnt(0)
	v_lshlrev_b32_e32 v0, 16, v4
	buffer_store_dword v0, off, s[0:3], s32 offset:556 ; 4-byte Folded Spill
	v_and_b32_e32 v0, 0xffff0000, v4
	buffer_store_dword v0, off, s[0:3], s32 offset:560 ; 4-byte Folded Spill
	v_lshlrev_b32_e32 v0, 16, v5
	buffer_store_dword v0, off, s[0:3], s32 offset:564 ; 4-byte Folded Spill
	v_and_b32_e32 v0, 0xffff0000, v5
	buffer_store_dword v0, off, s[0:3], s32 offset:568 ; 4-byte Folded Spill
	v_lshlrev_b32_e32 v0, 16, v6
	buffer_store_dword v0, off, s[0:3], s32 offset:572 ; 4-byte Folded Spill
	v_and_b32_e32 v0, 0xffff0000, v6
	buffer_store_dword v0, off, s[0:3], s32 offset:576 ; 4-byte Folded Spill
	v_lshlrev_b32_e32 v0, 16, v7
	buffer_store_dword v0, off, s[0:3], s32 offset:580 ; 4-byte Folded Spill
	v_and_b32_e32 v0, 0xffff0000, v7
	buffer_store_dword v0, off, s[0:3], s32 offset:584 ; 4-byte Folded Spill
	ds_read_b128 v[0:3], v20 offset:128
	ds_read_b128 v[4:7], v20 offset:144
	s_waitcnt lgkmcnt(1)
	v_lshlrev_b32_e32 v10, 16, v0
	v_and_b32_e32 v0, 0xffff0000, v0
	buffer_store_dword v10, off, s[0:3], s32 offset:588 ; 4-byte Folded Spill
	buffer_store_dword v0, off, s[0:3], s32 offset:592 ; 4-byte Folded Spill
	v_lshlrev_b32_e32 v0, 16, v1
	buffer_store_dword v0, off, s[0:3], s32 offset:596 ; 4-byte Folded Spill
	v_and_b32_e32 v0, 0xffff0000, v1
	buffer_store_dword v0, off, s[0:3], s32 offset:600 ; 4-byte Folded Spill
	v_lshlrev_b32_e32 v0, 16, v2
	buffer_store_dword v0, off, s[0:3], s32 offset:604 ; 4-byte Folded Spill
	v_and_b32_e32 v0, 0xffff0000, v2
	buffer_store_dword v0, off, s[0:3], s32 offset:608 ; 4-byte Folded Spill
	v_lshlrev_b32_e32 v0, 16, v3
	buffer_store_dword v0, off, s[0:3], s32 offset:612 ; 4-byte Folded Spill
	v_and_b32_e32 v0, 0xffff0000, v3
	buffer_store_dword v0, off, s[0:3], s32 offset:616 ; 4-byte Folded Spill
	s_waitcnt lgkmcnt(0)
	v_lshlrev_b32_e32 v0, 16, v4
	buffer_store_dword v0, off, s[0:3], s32 offset:620 ; 4-byte Folded Spill
	v_and_b32_e32 v0, 0xffff0000, v4
	buffer_store_dword v0, off, s[0:3], s32 offset:624 ; 4-byte Folded Spill
	v_lshlrev_b32_e32 v0, 16, v5
	buffer_store_dword v0, off, s[0:3], s32 offset:628 ; 4-byte Folded Spill
	v_and_b32_e32 v0, 0xffff0000, v5
	buffer_store_dword v0, off, s[0:3], s32 offset:632 ; 4-byte Folded Spill
	v_lshlrev_b32_e32 v0, 16, v6
	buffer_store_dword v0, off, s[0:3], s32 offset:636 ; 4-byte Folded Spill
	v_and_b32_e32 v0, 0xffff0000, v6
	buffer_store_dword v0, off, s[0:3], s32 offset:640 ; 4-byte Folded Spill
	v_lshlrev_b32_e32 v0, 16, v7
	buffer_store_dword v0, off, s[0:3], s32 offset:644 ; 4-byte Folded Spill
	v_and_b32_e32 v0, 0xffff0000, v7
	buffer_store_dword v0, off, s[0:3], s32 offset:648 ; 4-byte Folded Spill
	ds_read_b128 v[0:3], v20 offset:160
	ds_read_b128 v[4:7], v20 offset:176
	s_waitcnt lgkmcnt(1)
	v_lshlrev_b32_e32 v10, 16, v0
	v_and_b32_e32 v0, 0xffff0000, v0
	buffer_store_dword v10, off, s[0:3], s32 offset:652 ; 4-byte Folded Spill
	buffer_store_dword v0, off, s[0:3], s32 offset:656 ; 4-byte Folded Spill
	v_lshlrev_b32_e32 v0, 16, v1
	buffer_store_dword v0, off, s[0:3], s32 offset:660 ; 4-byte Folded Spill
	v_and_b32_e32 v0, 0xffff0000, v1
	buffer_store_dword v0, off, s[0:3], s32 offset:664 ; 4-byte Folded Spill
	v_lshlrev_b32_e32 v0, 16, v2
	buffer_store_dword v0, off, s[0:3], s32 offset:668 ; 4-byte Folded Spill
	v_and_b32_e32 v0, 0xffff0000, v2
	buffer_store_dword v0, off, s[0:3], s32 offset:672 ; 4-byte Folded Spill
	v_lshlrev_b32_e32 v0, 16, v3
	buffer_store_dword v0, off, s[0:3], s32 offset:676 ; 4-byte Folded Spill
	v_and_b32_e32 v0, 0xffff0000, v3
	buffer_store_dword v0, off, s[0:3], s32 offset:680 ; 4-byte Folded Spill
	s_waitcnt lgkmcnt(0)
	v_lshlrev_b32_e32 v0, 16, v4
	buffer_store_dword v0, off, s[0:3], s32 offset:684 ; 4-byte Folded Spill
	v_and_b32_e32 v0, 0xffff0000, v4
	buffer_store_dword v0, off, s[0:3], s32 offset:688 ; 4-byte Folded Spill
	v_lshlrev_b32_e32 v0, 16, v5
	buffer_store_dword v0, off, s[0:3], s32 offset:692 ; 4-byte Folded Spill
	v_and_b32_e32 v0, 0xffff0000, v5
	buffer_store_dword v0, off, s[0:3], s32 offset:696 ; 4-byte Folded Spill
	v_lshlrev_b32_e32 v0, 16, v6
	buffer_store_dword v0, off, s[0:3], s32 offset:700 ; 4-byte Folded Spill
	v_and_b32_e32 v0, 0xffff0000, v6
	buffer_store_dword v0, off, s[0:3], s32 offset:704 ; 4-byte Folded Spill
	v_lshlrev_b32_e32 v0, 16, v7
	buffer_store_dword v0, off, s[0:3], s32 offset:708 ; 4-byte Folded Spill
	v_and_b32_e32 v0, 0xffff0000, v7
	buffer_store_dword v0, off, s[0:3], s32 offset:712 ; 4-byte Folded Spill
	ds_read_b128 v[0:3], v20 offset:192
	ds_read_b128 v[4:7], v20 offset:208
	s_waitcnt lgkmcnt(1)
	v_lshlrev_b32_e32 v10, 16, v0
	v_and_b32_e32 v0, 0xffff0000, v0
	buffer_store_dword v10, off, s[0:3], s32 offset:716 ; 4-byte Folded Spill
	buffer_store_dword v0, off, s[0:3], s32 offset:720 ; 4-byte Folded Spill
	v_lshlrev_b32_e32 v0, 16, v1
	buffer_store_dword v0, off, s[0:3], s32 offset:724 ; 4-byte Folded Spill
	v_and_b32_e32 v0, 0xffff0000, v1
	buffer_store_dword v0, off, s[0:3], s32 offset:728 ; 4-byte Folded Spill
	v_lshlrev_b32_e32 v0, 16, v2
	buffer_store_dword v0, off, s[0:3], s32 offset:732 ; 4-byte Folded Spill
	v_and_b32_e32 v0, 0xffff0000, v2
	buffer_store_dword v0, off, s[0:3], s32 offset:736 ; 4-byte Folded Spill
	v_lshlrev_b32_e32 v0, 16, v3
	buffer_store_dword v0, off, s[0:3], s32 offset:740 ; 4-byte Folded Spill
	v_and_b32_e32 v0, 0xffff0000, v3
	buffer_store_dword v0, off, s[0:3], s32 offset:744 ; 4-byte Folded Spill
	s_waitcnt lgkmcnt(0)
	v_lshlrev_b32_e32 v0, 16, v4
	buffer_store_dword v0, off, s[0:3], s32 offset:748 ; 4-byte Folded Spill
	v_and_b32_e32 v0, 0xffff0000, v4
	buffer_store_dword v0, off, s[0:3], s32 offset:752 ; 4-byte Folded Spill
	v_lshlrev_b32_e32 v0, 16, v5
	buffer_store_dword v0, off, s[0:3], s32 offset:756 ; 4-byte Folded Spill
	v_and_b32_e32 v0, 0xffff0000, v5
	buffer_store_dword v0, off, s[0:3], s32 offset:760 ; 4-byte Folded Spill
	v_lshlrev_b32_e32 v0, 16, v6
	buffer_store_dword v0, off, s[0:3], s32 offset:764 ; 4-byte Folded Spill
	v_and_b32_e32 v0, 0xffff0000, v6
	;; [unrolled: 4-line block ×3, first 2 shown]
	buffer_store_dword v0, off, s[0:3], s32 offset:776 ; 4-byte Folded Spill
	ds_read_b128 v[0:3], v20 offset:224
	s_waitcnt lgkmcnt(0)
	v_lshlrev_b32_e32 v4, 16, v0
	v_and_b32_e32 v0, 0xffff0000, v0
	buffer_store_dword v4, off, s[0:3], s32 offset:780 ; 4-byte Folded Spill
	buffer_store_dword v0, off, s[0:3], s32 offset:784 ; 4-byte Folded Spill
	v_lshlrev_b32_e32 v0, 16, v1
	buffer_store_dword v0, off, s[0:3], s32 offset:788 ; 4-byte Folded Spill
	v_and_b32_e32 v0, 0xffff0000, v1
	buffer_store_dword v0, off, s[0:3], s32 offset:792 ; 4-byte Folded Spill
	v_lshlrev_b32_e32 v0, 16, v2
	buffer_store_dword v0, off, s[0:3], s32 offset:796 ; 4-byte Folded Spill
	v_and_b32_e32 v0, 0xffff0000, v2
	;; [unrolled: 4-line block ×3, first 2 shown]
	buffer_store_dword v0, off, s[0:3], s32 offset:808 ; 4-byte Folded Spill
	buffer_store_dword v37, off, s[0:3], s32 offset:884 ; 4-byte Folded Spill
	buffer_load_dword v4, off, s[0:3], s32 offset:412 ; 4-byte Folded Reload
	v_add_co_u32 v0, vcc_lo, v8, v37
	v_add_co_ci_u32_e64 v1, null, v9, v48, vcc_lo
	buffer_store_dword v48, off, s[0:3], s32 offset:896 ; 4-byte Folded Spill
	v_max_i32_e32 v3, v30, v39
	s_waitcnt vmcnt(0)
	v_lshlrev_b32_e32 v2, 4, v4
	v_add_co_u32 v0, vcc_lo, v0, v2
	v_add_co_ci_u32_e64 v1, null, 0, v1, vcc_lo
	buffer_store_dword v0, off, s[0:3], s32 offset:812 ; 4-byte Folded Spill
	buffer_store_dword v1, off, s[0:3], s32 offset:816 ; 4-byte Folded Spill
	s_clause 0x1
	buffer_load_dword v5, off, s[0:3], s32 offset:200
	buffer_load_dword v6, off, s[0:3], s32 offset:204
	v_cvt_f32_u32_e32 v2, v3
	v_rcp_iflag_f32_e32 v2, v2
	v_mul_f32_e32 v2, 0x4f7ffffe, v2
	v_cvt_u32_f32_e32 v2, v2
	s_waitcnt vmcnt(0)
	v_lshlrev_b64 v[0:1], 2, v[5:6]
	v_add_co_u32 v0, vcc_lo, v33, v0
	buffer_store_dword v33, off, s[0:3], s32 offset:876 ; 4-byte Folded Spill
	buffer_store_dword v34, off, s[0:3], s32 offset:880 ; 4-byte Folded Spill
	;; [unrolled: 1-line block ×5, first 2 shown]
	v_sub_nc_u32_e32 v3, 0, v3
	v_mul_lo_u32 v3, v3, v2
	v_mul_hi_u32 v3, v2, v3
	v_add_nc_u32_e32 v2, v2, v3
	buffer_store_dword v2, off, s[0:3], s32 offset:276 ; 4-byte Folded Spill
	buffer_store_dword v14, off, s[0:3], s32 offset:844 ; 4-byte Folded Spill
	s_load_dword s24, s[8:9], 0x0
	buffer_store_dword v15, off, s[0:3], s32 offset:840 ; 4-byte Folded Spill
	buffer_store_dword v16, off, s[0:3], s32 offset:900 ; 4-byte Folded Spill
	v_add_co_ci_u32_e64 v1, null, v34, v1, vcc_lo
	v_add_co_u32 v28, vcc_lo, v14, v0
	buffer_load_dword v0, off, s[0:3], s32 offset:304 ; 4-byte Folded Reload
	v_add_co_ci_u32_e64 v29, null, v15, v1, vcc_lo
	v_mov_b32_e32 v1, v5
	s_waitcnt vmcnt(0)
	v_cmp_neq_f32_e32 vcc_lo, 0, v0
	v_sub_nc_u32_e32 v0, v4, v38
	v_add_nc_u32_e32 v0, 1, v0
	buffer_store_dword v0, off, s[0:3], s32 offset:820 ; 4-byte Folded Spill
	buffer_load_dword v0, off, s[0:3], s32 offset:824 ; 4-byte Folded Reload
	s_waitcnt vmcnt(0)
	v_lshl_add_u32 v18, v0, 5, s7
	v_lshl_or_b32 v6, v0, 7, v16
	s_branch .LBB378_16
.LBB378_11:                             ;   in Loop: Header=BB378_16 Depth=1
	s_or_b32 exec_lo, exec_lo, s28
	v_mov_b32_e32 v17, 24
	v_lshl_add_u32 v31, v31, 23, 0x3c000000
	v_lshlrev_b32_sdwa v19, v17, v32 dst_sel:DWORD dst_unused:UNUSED_PAD src0_sel:DWORD src1_sel:BYTE_3
	v_lshlrev_b32_e32 v32, 20, v33
	v_and_b32_e32 v19, 0x80000000, v19
	v_or3_b32 v59, v32, v19, v31
.LBB378_12:                             ;   in Loop: Header=BB378_16 Depth=1
	s_or_b32 exec_lo, exec_lo, s27
.LBB378_13:                             ;   in Loop: Header=BB378_16 Depth=1
	s_or_b32 exec_lo, exec_lo, s26
.LBB378_14:                             ;   in Loop: Header=BB378_16 Depth=1
	s_or_b32 exec_lo, exec_lo, s25
	v_mul_f32_e32 v19, v40, v61
	v_mul_f32_e32 v24, v40, v24
	v_mul_f32_e32 v25, v40, v25
	v_mul_f32_e32 v13, v40, v13
	v_mul_f32_e32 v55, v40, v55
	v_bfe_u32 v31, v19, 16, 1
	v_or_b32_e32 v32, 0x400000, v19
	v_cmp_u_f32_e64 s5, v19, v19
	v_mul_f32_e32 v9, v40, v9
	v_mul_f32_e32 v99, v40, v99
	v_add3_u32 v31, v31, v19, 0x7fff
	v_mul_f32_e32 v98, v40, v98
	v_mul_f32_e32 v97, v40, v97
	v_mul_f32_e32 v96, v40, v96
	v_mul_f32_e32 v87, v40, v87
	v_cndmask_b32_e64 v19, v31, v32, s5
	v_mul_f32_e32 v31, v40, v100
	v_mul_f32_e32 v86, v40, v86
	v_mul_f32_e32 v8, v40, v8
	v_mul_f32_e32 v83, v40, v83
	v_mul_f32_e32 v82, v40, v82
	v_bfe_u32 v32, v31, 16, 1
	v_or_b32_e32 v33, 0x400000, v31
	v_cmp_u_f32_e64 s5, v31, v31
	v_mul_f32_e32 v81, v40, v81
	v_mul_f32_e32 v71, v40, v71
	v_add3_u32 v32, v32, v31, 0x7fff
	v_mul_f32_e32 v70, v40, v70
	v_mul_f32_e32 v69, v40, v69
	v_mul_f32_e32 v84, v40, v84
	v_mul_f32_e32 v66, v40, v66
	v_cndmask_b32_e64 v31, v32, v33, s5
	;; [unrolled: 16-line block ×3, first 2 shown]
	v_mul_f32_e32 v33, v40, v47
	v_mul_f32_e32 v50, v40, v50
	;; [unrolled: 1-line block ×5, first 2 shown]
	v_bfe_u32 v34, v33, 16, 1
	v_or_b32_e32 v100, 0x400000, v33
	v_cmp_u_f32_e64 s5, v33, v33
	v_mul_f32_e32 v3, v40, v3
	v_mul_f32_e32 v0, v40, v0
	v_add3_u32 v34, v34, v33, 0x7fff
	v_mul_f32_e32 v4, v40, v4
	buffer_load_dword v17, off, s[0:3], s32 offset:248 ; 4-byte Folded Reload
	v_mul_f32_e32 v23, v40, v23
	v_mul_f32_e32 v18, v40, v116
	v_cndmask_b32_e64 v33, v34, v100, s5
	v_mul_f32_e32 v34, v40, v45
	v_mul_f32_e32 v58, v40, v58
	;; [unrolled: 1-line block ×5, first 2 shown]
	v_bfe_u32 v100, v34, 16, 1
	v_or_b32_e32 v115, 0x400000, v34
	v_cmp_u_f32_e64 s5, v34, v34
	v_add3_u32 v100, v100, v34, 0x7fff
	v_mul_f32_e32 v34, v40, v46
	v_cndmask_b32_e64 v45, v100, v115, s5
	v_bfe_u32 v100, v34, 16, 1
	v_or_b32_e32 v115, 0x400000, v34
	v_cmp_u_f32_e64 s5, v34, v34
	v_add3_u32 v100, v100, v34, 0x7fff
	v_mul_f32_e32 v34, v40, v63
	v_cndmask_b32_e64 v47, v100, v115, s5
	v_bfe_u32 v100, v34, 16, 1
	v_or_b32_e32 v115, 0x400000, v34
	v_cmp_u_f32_e64 s5, v34, v34
	v_add3_u32 v100, v100, v34, 0x7fff
	v_cndmask_b32_e64 v34, v100, v115, s5
	v_mul_f32_e32 v100, v40, v62
	v_bfe_u32 v115, v100, 16, 1
	v_or_b32_e32 v46, 0x400000, v100
	v_cmp_u_f32_e64 s5, v100, v100
	v_add3_u32 v115, v115, v100, 0x7fff
	v_bfe_u32 v100, v24, 16, 1
	v_cndmask_b32_e64 v46, v115, v46, s5
	v_add3_u32 v100, v100, v24, 0x7fff
	v_or_b32_e32 v115, 0x400000, v24
	v_cmp_u_f32_e64 s5, v24, v24
	v_cndmask_b32_e64 v24, v100, v115, s5
	v_bfe_u32 v100, v25, 16, 1
	v_or_b32_e32 v115, 0x400000, v25
	v_cmp_u_f32_e64 s5, v25, v25
	v_add3_u32 v100, v100, v25, 0x7fff
	v_cndmask_b32_e64 v25, v100, v115, s5
	v_bfe_u32 v100, v13, 16, 1
	v_or_b32_e32 v115, 0x400000, v13
	v_cmp_u_f32_e64 s5, v13, v13
	v_add3_u32 v100, v100, v13, 0x7fff
	v_cndmask_b32_e64 v13, v100, v115, s5
	v_mul_f32_e32 v100, v40, v102
	v_bfe_u32 v102, v100, 16, 1
	v_or_b32_e32 v115, 0x400000, v100
	v_cmp_u_f32_e64 s5, v100, v100
	v_add3_u32 v102, v102, v100, 0x7fff
	v_bfe_u32 v100, v55, 16, 1
	v_cndmask_b32_e64 v102, v102, v115, s5
	v_add3_u32 v100, v100, v55, 0x7fff
	v_or_b32_e32 v115, 0x400000, v55
	v_cmp_u_f32_e64 s5, v55, v55
	v_cndmask_b32_e64 v55, v100, v115, s5
	v_bfe_u32 v100, v9, 16, 1
	v_or_b32_e32 v115, 0x400000, v9
	v_cmp_u_f32_e64 s5, v9, v9
	v_add3_u32 v100, v100, v9, 0x7fff
	v_mul_f32_e32 v9, v40, v42
	v_cndmask_b32_e64 v56, v100, v115, s5
	v_bfe_u32 v100, v9, 16, 1
	v_or_b32_e32 v115, 0x400000, v9
	v_cmp_u_f32_e64 s5, v9, v9
	v_add3_u32 v100, v100, v9, 0x7fff
	v_cndmask_b32_e64 v9, v100, v115, s5
	v_mul_f32_e32 v100, v40, v41
	v_bfe_u32 v115, v100, 16, 1
	v_or_b32_e32 v41, 0x400000, v100
	v_cmp_u_f32_e64 s5, v100, v100
	v_add3_u32 v115, v115, v100, 0x7fff
	v_bfe_u32 v100, v99, 16, 1
	v_cndmask_b32_e64 v41, v115, v41, s5
	v_add3_u32 v100, v100, v99, 0x7fff
	v_or_b32_e32 v115, 0x400000, v99
	v_cmp_u_f32_e64 s5, v99, v99
	v_cndmask_b32_e64 v99, v100, v115, s5
	v_bfe_u32 v100, v98, 16, 1
	v_or_b32_e32 v115, 0x400000, v98
	v_cmp_u_f32_e64 s5, v98, v98
	v_add3_u32 v100, v100, v98, 0x7fff
	v_cndmask_b32_e64 v98, v100, v115, s5
	v_bfe_u32 v100, v97, 16, 1
	v_or_b32_e32 v115, 0x400000, v97
	v_cmp_u_f32_e64 s5, v97, v97
	v_add3_u32 v100, v100, v97, 0x7fff
	;; [unrolled: 5-line block ×5, first 2 shown]
	v_bfe_u32 v86, v8, 16, 1
	v_cndmask_b32_e64 v42, v100, v115, s5
	v_add3_u32 v86, v86, v8, 0x7fff
	v_or_b32_e32 v100, 0x400000, v8
	v_cmp_u_f32_e64 s5, v8, v8
	v_cndmask_b32_e64 v8, v86, v100, s5
	v_mul_f32_e32 v86, v40, v103
	v_bfe_u32 v100, v86, 16, 1
	v_or_b32_e32 v103, 0x400000, v86
	v_cmp_u_f32_e64 s5, v86, v86
	v_add3_u32 v100, v100, v86, 0x7fff
	v_cndmask_b32_e64 v86, v100, v103, s5
	v_bfe_u32 v100, v83, 16, 1
	v_or_b32_e32 v103, 0x400000, v83
	v_cmp_u_f32_e64 s5, v83, v83
	v_add3_u32 v100, v100, v83, 0x7fff
	v_cndmask_b32_e64 v83, v100, v103, s5
	v_bfe_u32 v100, v82, 16, 1
	v_or_b32_e32 v103, 0x400000, v82
	v_cmp_u_f32_e64 s5, v82, v82
	v_add3_u32 v100, v100, v82, 0x7fff
	v_cndmask_b32_e64 v82, v100, v103, s5
	v_bfe_u32 v100, v81, 16, 1
	v_or_b32_e32 v103, 0x400000, v81
	v_cmp_u_f32_e64 s5, v81, v81
	v_add3_u32 v100, v100, v81, 0x7fff
	v_cndmask_b32_e64 v81, v100, v103, s5
	v_bfe_u32 v100, v71, 16, 1
	v_or_b32_e32 v103, 0x400000, v71
	v_cmp_u_f32_e64 s5, v71, v71
	v_add3_u32 v100, v100, v71, 0x7fff
	v_cndmask_b32_e64 v71, v100, v103, s5
	v_bfe_u32 v100, v70, 16, 1
	v_or_b32_e32 v103, 0x400000, v70
	v_cmp_u_f32_e64 s5, v70, v70
	v_add3_u32 v100, v100, v70, 0x7fff
	v_cndmask_b32_e64 v70, v100, v103, s5
	v_bfe_u32 v100, v69, 16, 1
	v_or_b32_e32 v103, 0x400000, v69
	v_cmp_u_f32_e64 s5, v69, v69
	v_add3_u32 v100, v100, v69, 0x7fff
	v_mul_f32_e32 v69, v40, v85
	v_cndmask_b32_e64 v103, v100, v103, s5
	v_bfe_u32 v85, v69, 16, 1
	v_or_b32_e32 v100, 0x400000, v69
	v_cmp_u_f32_e64 s5, v69, v69
	v_add3_u32 v85, v85, v69, 0x7fff
	v_cndmask_b32_e64 v69, v85, v100, s5
	v_bfe_u32 v85, v84, 16, 1
	v_or_b32_e32 v100, 0x400000, v84
	v_cmp_u_f32_e64 s5, v84, v84
	v_add3_u32 v85, v85, v84, 0x7fff
	v_cndmask_b32_e64 v84, v85, v100, s5
	v_bfe_u32 v85, v66, 16, 1
	v_or_b32_e32 v100, 0x400000, v66
	v_cmp_u_f32_e64 s5, v66, v66
	v_add3_u32 v85, v85, v66, 0x7fff
	v_cndmask_b32_e64 v66, v85, v100, s5
	v_bfe_u32 v85, v22, 16, 1
	v_or_b32_e32 v100, 0x400000, v22
	v_cmp_u_f32_e64 s5, v22, v22
	v_add3_u32 v85, v85, v22, 0x7fff
	v_cndmask_b32_e64 v22, v85, v100, s5
	v_bfe_u32 v85, v30, 16, 1
	v_or_b32_e32 v100, 0x400000, v30
	v_cmp_u_f32_e64 s5, v30, v30
	v_add3_u32 v85, v85, v30, 0x7fff
	v_cndmask_b32_e64 v30, v85, v100, s5
	v_bfe_u32 v85, v53, 16, 1
	v_or_b32_e32 v100, 0x400000, v53
	v_cmp_u_f32_e64 s5, v53, v53
	v_add3_u32 v85, v85, v53, 0x7fff
	v_cndmask_b32_e64 v53, v85, v100, s5
	v_bfe_u32 v85, v65, 16, 1
	v_or_b32_e32 v100, 0x400000, v65
	v_cmp_u_f32_e64 s5, v65, v65
	v_add3_u32 v85, v85, v65, 0x7fff
	v_cndmask_b32_e64 v65, v85, v100, s5
	v_bfe_u32 v85, v51, 16, 1
	v_or_b32_e32 v100, 0x400000, v51
	v_cmp_u_f32_e64 s5, v51, v51
	v_add3_u32 v85, v85, v51, 0x7fff
	v_mul_f32_e32 v51, v40, v68
	v_cndmask_b32_e64 v85, v85, v100, s5
	v_bfe_u32 v68, v51, 16, 1
	v_or_b32_e32 v100, 0x400000, v51
	v_cmp_u_f32_e64 s5, v51, v51
	v_add3_u32 v68, v68, v51, 0x7fff
	v_cndmask_b32_e64 v51, v68, v100, s5
	;; [unrolled: 41-line block ×3, first 2 shown]
	v_mul_f32_e32 v26, v40, v27
	v_bfe_u32 v27, v26, 16, 1
	v_or_b32_e32 v100, 0x400000, v26
	v_cmp_u_f32_e64 s5, v26, v26
	v_add3_u32 v27, v27, v26, 0x7fff
	v_cndmask_b32_e64 v26, v27, v100, s5
	v_bfe_u32 v27, v6, 16, 1
	v_or_b32_e32 v100, 0x400000, v6
	v_cmp_u_f32_e64 s5, v6, v6
	v_add3_u32 v27, v27, v6, 0x7fff
	v_cndmask_b32_e64 v6, v27, v100, s5
	v_mul_f32_e32 v27, v40, v48
	v_bfe_u32 v48, v27, 16, 1
	v_or_b32_e32 v100, 0x400000, v27
	v_cmp_u_f32_e64 s5, v27, v27
	v_add3_u32 v48, v48, v27, 0x7fff
	v_cndmask_b32_e64 v27, v48, v100, s5
	v_bfe_u32 v48, v2, 16, 1
	v_or_b32_e32 v100, 0x400000, v2
	v_cmp_u_f32_e64 s5, v2, v2
	v_add3_u32 v48, v48, v2, 0x7fff
	v_cndmask_b32_e64 v2, v48, v100, s5
	v_bfe_u32 v48, v3, 16, 1
	v_or_b32_e32 v100, 0x400000, v3
	v_cmp_u_f32_e64 s5, v3, v3
	v_and_b32_e32 v2, 0xffff0000, v2
	v_add3_u32 v48, v48, v3, 0x7fff
	v_cndmask_b32_e64 v3, v48, v100, s5
	v_bfe_u32 v48, v0, 16, 1
	v_or_b32_e32 v100, 0x400000, v0
	v_cmp_u_f32_e64 s5, v0, v0
	v_and_b32_e32 v3, 0xffff0000, v3
	v_add3_u32 v48, v48, v0, 0x7fff
	v_mul_f32_e32 v0, v40, v1
	v_cndmask_b32_e64 v48, v48, v100, s5
	v_bfe_u32 v1, v0, 16, 1
	v_or_b32_e32 v100, 0x400000, v0
	v_cmp_u_f32_e64 s5, v0, v0
	v_add3_u32 v1, v1, v0, 0x7fff
	v_mul_f32_e32 v0, v40, v14
	v_cndmask_b32_e64 v100, v1, v100, s5
	v_bfe_u32 v1, v0, 16, 1
	v_or_b32_e32 v14, 0x400000, v0
	v_cmp_u_f32_e64 s5, v0, v0
	v_add3_u32 v1, v1, v0, 0x7fff
	v_cndmask_b32_e64 v0, v1, v14, s5
	v_mul_f32_e32 v1, v40, v7
	v_and_b32_e32 v0, 0xffff0000, v0
	v_bfe_u32 v7, v1, 16, 1
	v_or_b32_e32 v14, 0x400000, v1
	v_cmp_u_f32_e64 s5, v1, v1
	v_add3_u32 v7, v7, v1, 0x7fff
	v_cndmask_b32_e64 v1, v7, v14, s5
	v_mul_f32_e32 v7, v40, v21
	v_bfe_u32 v14, v7, 16, 1
	v_or_b32_e32 v21, 0x400000, v7
	v_cmp_u_f32_e64 s5, v7, v7
	v_add3_u32 v14, v14, v7, 0x7fff
	v_cndmask_b32_e64 v7, v14, v21, s5
	v_mul_f32_e32 v14, v40, v80
	v_and_b32_e32 v7, 0xffff0000, v7
	v_bfe_u32 v21, v14, 16, 1
	v_or_b32_e32 v80, 0x400000, v14
	v_cmp_u_f32_e64 s5, v14, v14
	v_add3_u32 v21, v21, v14, 0x7fff
	v_cndmask_b32_e64 v14, v21, v80, s5
	v_mul_f32_e32 v21, v40, v39
	v_bfe_u32 v39, v21, 16, 1
	v_or_b32_e32 v80, 0x400000, v21
	v_cmp_u_f32_e64 s5, v21, v21
	v_add3_u32 v39, v39, v21, 0x7fff
	v_cndmask_b32_e64 v21, v39, v80, s5
	v_mul_f32_e32 v39, v40, v64
	v_bfe_u32 v64, v39, 16, 1
	v_or_b32_e32 v80, 0x400000, v39
	v_cmp_u_f32_e64 s5, v39, v39
	v_add3_u32 v64, v64, v39, 0x7fff
	v_cndmask_b32_e64 v39, v64, v80, s5
	v_bfe_u32 v64, v4, 16, 1
	v_or_b32_e32 v80, 0x400000, v4
	v_cmp_u_f32_e64 s5, v4, v4
	v_add3_u32 v64, v64, v4, 0x7fff
	v_mul_f32_e32 v4, v40, v5
	v_cndmask_b32_e64 v64, v64, v80, s5
	v_bfe_u32 v5, v4, 16, 1
	v_or_b32_e32 v80, 0x400000, v4
	v_cmp_u_f32_e64 s5, v4, v4
	v_add3_u32 v5, v5, v4, 0x7fff
	v_mul_f32_e32 v4, v40, v10
	v_cndmask_b32_e64 v80, v5, v80, s5
	v_bfe_u32 v5, v4, 16, 1
	v_or_b32_e32 v10, 0x400000, v4
	v_cmp_u_f32_e64 s5, v4, v4
	v_add3_u32 v5, v5, v4, 0x7fff
	v_cndmask_b32_e64 v4, v5, v10, s5
	v_mul_f32_e32 v5, v40, v11
	v_and_b32_e32 v4, 0xffff0000, v4
	v_bfe_u32 v10, v5, 16, 1
	v_or_b32_e32 v11, 0x400000, v5
	v_cmp_u_f32_e64 s5, v5, v5
	v_add3_u32 v10, v10, v5, 0x7fff
	v_cndmask_b32_e64 v5, v10, v11, s5
	v_mul_f32_e32 v10, v40, v126
	v_bfe_u32 v11, v10, 16, 1
	v_or_b32_e32 v115, 0x400000, v10
	v_cmp_u_f32_e64 s5, v10, v10
	v_add3_u32 v11, v11, v10, 0x7fff
	v_cndmask_b32_e64 v10, v11, v115, s5
	v_mul_f32_e32 v11, v40, v125
	v_and_b32_e32 v10, 0xffff0000, v10
	v_bfe_u32 v115, v11, 16, 1
	v_or_b32_e32 v61, 0x400000, v11
	v_cmp_u_f32_e64 s5, v11, v11
	v_add3_u32 v115, v115, v11, 0x7fff
	v_cndmask_b32_e64 v11, v115, v61, s5
	v_mul_f32_e32 v115, v40, v124
	v_and_b32_e32 v11, 0xffff0000, v11
	v_bfe_u32 v61, v115, 16, 1
	v_or_b32_e32 v62, 0x400000, v115
	v_cmp_u_f32_e64 s5, v115, v115
	v_add3_u32 v61, v61, v115, 0x7fff
	v_mul_f32_e32 v115, v40, v123
	v_cndmask_b32_e64 v61, v61, v62, s5
	v_bfe_u32 v62, v115, 16, 1
	v_or_b32_e32 v63, 0x400000, v115
	v_cmp_u_f32_e64 s5, v115, v115
	v_add3_u32 v62, v62, v115, 0x7fff
	v_mul_f32_e32 v115, v40, v122
	v_cndmask_b32_e64 v62, v62, v63, s5
	;; [unrolled: 6-line block ×3, first 2 shown]
	v_bfe_u32 v121, v115, 16, 1
	v_or_b32_e32 v122, 0x400000, v115
	v_cmp_u_f32_e64 s5, v115, v115
	v_add3_u32 v121, v121, v115, 0x7fff
	v_bfe_u32 v115, v23, 16, 1
	v_cndmask_b32_e64 v122, v121, v122, s5
	v_add3_u32 v115, v115, v23, 0x7fff
	v_or_b32_e32 v121, 0x400000, v23
	v_cmp_u_f32_e64 s5, v23, v23
	v_cndmask_b32_e64 v23, v115, v121, s5
	v_mul_f32_e32 v115, v40, v127
	v_bfe_u32 v121, v115, 16, 1
	v_or_b32_e32 v123, 0x400000, v115
	v_cmp_u_f32_e64 s5, v115, v115
	v_add3_u32 v121, v121, v115, 0x7fff
	v_mul_f32_e32 v115, v40, v110
	v_cndmask_b32_e64 v121, v121, v123, s5
	v_bfe_u32 v110, v115, 16, 1
	v_or_b32_e32 v123, 0x400000, v115
	v_cmp_u_f32_e64 s5, v115, v115
	v_add3_u32 v110, v110, v115, 0x7fff
	v_mul_f32_e32 v115, v40, v109
	v_cndmask_b32_e64 v110, v110, v123, s5
	;; [unrolled: 6-line block ×22, first 2 shown]
	v_bfe_u32 v73, v115, 16, 1
	v_or_b32_e32 v74, 0x400000, v115
	v_cmp_u_f32_e64 s5, v115, v115
	v_add3_u32 v73, v73, v115, 0x7fff
	v_cndmask_b32_e64 v115, v73, v74, s5
	v_mul_f32_e32 v73, v40, v88
	v_bfe_u32 v74, v73, 16, 1
	v_or_b32_e32 v75, 0x400000, v73
	v_cmp_u_f32_e64 s5, v73, v73
	v_add3_u32 v74, v74, v73, 0x7fff
	v_mul_f32_e32 v73, v40, v79
	v_cndmask_b32_e64 v88, v74, v75, s5
	v_bfe_u32 v74, v73, 16, 1
	v_or_b32_e32 v75, 0x400000, v73
	v_cmp_u_f32_e64 s5, v73, v73
	v_add3_u32 v74, v74, v73, 0x7fff
	s_waitcnt vmcnt(0)
	v_mul_f32_e32 v73, v40, v17
	buffer_load_dword v17, off, s[0:3], s32 offset:244 ; 4-byte Folded Reload
	v_cndmask_b32_e64 v79, v74, v75, s5
	v_bfe_u32 v74, v73, 16, 1
	v_or_b32_e32 v75, 0x400000, v73
	v_cmp_u_f32_e64 s5, v73, v73
	v_add3_u32 v74, v74, v73, 0x7fff
	v_cndmask_b32_e64 v76, v74, v75, s5
	s_waitcnt vmcnt(0)
	v_mul_f32_e32 v73, v40, v17
	buffer_load_dword v17, off, s[0:3], s32 offset:240 ; 4-byte Folded Reload
	v_bfe_u32 v74, v73, 16, 1
	v_or_b32_e32 v75, 0x400000, v73
	v_cmp_u_f32_e64 s5, v73, v73
	v_add3_u32 v74, v74, v73, 0x7fff
	v_cndmask_b32_e64 v75, v74, v75, s5
	s_waitcnt vmcnt(0)
	v_mul_f32_e32 v73, v40, v17
	buffer_load_dword v17, off, s[0:3], s32 offset:264 ; 4-byte Folded Reload
	;; [unrolled: 8-line block ×3, first 2 shown]
	v_bfe_u32 v77, v73, 16, 1
	v_or_b32_e32 v78, 0x400000, v73
	v_cmp_u_f32_e64 s5, v73, v73
	v_add3_u32 v77, v77, v73, 0x7fff
	v_mul_f32_e32 v73, v40, v72
	v_cndmask_b32_e64 v77, v77, v78, s5
	v_bfe_u32 v78, v73, 16, 1
	v_or_b32_e32 v72, 0x400000, v73
	v_cmp_u_f32_e64 s5, v73, v73
	v_add3_u32 v78, v78, v73, 0x7fff
	v_cndmask_b32_e64 v78, v78, v72, s5
	v_mul_f32_e32 v72, v40, v118
	v_bfe_u32 v73, v72, 16, 1
	v_or_b32_e32 v117, 0x400000, v72
	v_cmp_u_f32_e64 s5, v72, v72
	v_add3_u32 v73, v73, v72, 0x7fff
	v_cndmask_b32_e64 v117, v73, v117, s5
	v_and_b32_e32 v117, 0xffff0000, v117
	s_waitcnt vmcnt(0)
	v_mul_f32_e32 v72, v40, v17
	buffer_load_dword v17, off, s[0:3], s32 offset:252 ; 4-byte Folded Reload
	v_bfe_u32 v73, v72, 16, 1
	v_or_b32_e32 v118, 0x400000, v72
	v_cmp_u_f32_e64 s5, v72, v72
	v_add3_u32 v73, v73, v72, 0x7fff
	v_cndmask_b32_e64 v118, v73, v118, s5
	s_waitcnt vmcnt(0)
	v_mul_f32_e32 v72, v40, v17
	v_bfe_u32 v73, v72, 16, 1
	v_or_b32_e32 v101, 0x400000, v72
	v_cmp_u_f32_e64 s5, v72, v72
	v_add3_u32 v73, v73, v72, 0x7fff
	v_mul_f32_e32 v72, v40, v119
	v_cndmask_b32_e64 v101, v73, v101, s5
	v_bfe_u32 v73, v72, 16, 1
	v_or_b32_e32 v17, 0x400000, v72
	v_cmp_u_f32_e64 s5, v72, v72
	v_add3_u32 v73, v73, v72, 0x7fff
	v_bfe_u32 v72, v18, 16, 1
	v_cndmask_b32_e64 v17, v73, v17, s5
	v_add3_u32 v72, v72, v18, 0x7fff
	v_or_b32_e32 v73, 0x400000, v18
	v_cmp_u_f32_e64 s5, v18, v18
	v_and_b32_e32 v17, 0xffff0000, v17
	v_cndmask_b32_e64 v18, v72, v73, s5
	v_mul_f32_e32 v72, v40, v49
	v_and_b32_e32 v18, 0xffff0000, v18
	v_bfe_u32 v73, v72, 16, 1
	v_or_b32_e32 v49, 0x400000, v72
	v_cmp_u_f32_e64 s5, v72, v72
	v_add3_u32 v73, v73, v72, 0x7fff
	v_mul_f32_e32 v72, v40, v52
	v_cndmask_b32_e64 v49, v73, v49, s5
	v_bfe_u32 v73, v72, 16, 1
	v_or_b32_e32 v52, 0x400000, v72
	v_cmp_u_f32_e64 s5, v72, v72
	v_and_b32_e32 v49, 0xffff0000, v49
	v_add3_u32 v73, v73, v72, 0x7fff
	v_mul_f32_e32 v72, v40, v113
	v_cndmask_b32_e64 v52, v73, v52, s5
	v_bfe_u32 v73, v72, 16, 1
	v_or_b32_e32 v113, 0x400000, v72
	v_cmp_u_f32_e64 s5, v72, v72
	v_and_b32_e32 v52, 0xffff0000, v52
	;; [unrolled: 7-line block ×4, first 2 shown]
	v_add3_u32 v73, v73, v72, 0x7fff
	v_mul_f32_e32 v72, v40, v35
	buffer_load_dword v35, off, s[0:3], s32 offset:260 ; 4-byte Folded Reload
	v_cndmask_b32_e64 v116, v73, v116, s5
	v_bfe_u32 v73, v72, 16, 1
	v_or_b32_e32 v112, 0x400000, v72
	v_cmp_u_f32_e64 s5, v72, v72
	v_add3_u32 v73, v73, v72, 0x7fff
	v_bfe_u32 v72, v58, 16, 1
	v_cndmask_b32_e64 v112, v73, v112, s5
	v_add3_u32 v72, v72, v58, 0x7fff
	v_or_b32_e32 v73, 0x400000, v58
	v_cmp_u_f32_e64 s5, v58, v58
	v_cndmask_b32_e64 v58, v72, v73, s5
	v_bfe_u32 v72, v57, 16, 1
	v_or_b32_e32 v73, 0x400000, v57
	v_cmp_u_f32_e64 s5, v57, v57
	v_add3_u32 v72, v72, v57, 0x7fff
	v_cndmask_b32_e64 v57, v72, v73, s5
	v_bfe_u32 v72, v44, 16, 1
	v_or_b32_e32 v73, 0x400000, v44
	v_cmp_u_f32_e64 s5, v44, v44
	v_add3_u32 v72, v72, v44, 0x7fff
	;; [unrolled: 5-line block ×3, first 2 shown]
	v_cndmask_b32_e64 v43, v72, v73, s5
	s_waitcnt vmcnt(0)
	v_mul_f32_e32 v36, v40, v35
	buffer_load_dword v35, off, s[0:3], s32 offset:256 ; 4-byte Folded Reload
	v_bfe_u32 v72, v36, 16, 1
	v_or_b32_e32 v73, 0x400000, v36
	v_cmp_u_f32_e64 s5, v36, v36
	v_add3_u32 v72, v72, v36, 0x7fff
	v_cndmask_b32_e64 v72, v72, v73, s5
	s_waitcnt vmcnt(0)
	v_mul_f32_e32 v35, v40, v35
	v_bfe_u32 v36, v35, 16, 1
	v_or_b32_e32 v73, 0x400000, v35
	v_cmp_u_f32_e64 s5, v35, v35
	v_add3_u32 v36, v36, v35, 0x7fff
	v_mul_f32_e32 v35, v40, v60
	v_cndmask_b32_e64 v73, v36, v73, s5
	v_mul_f32_e32 v36, v40, v59
	v_bfe_u32 v40, v35, 16, 1
	v_or_b32_e32 v59, 0x400000, v35
	v_cmp_u_f32_e64 s5, v35, v35
	v_add3_u32 v40, v40, v35, 0x7fff
	v_cndmask_b32_e64 v35, v40, v59, s5
	v_bfe_u32 v40, v36, 16, 1
	v_or_b32_e32 v59, 0x400000, v36
	v_cmp_u_f32_e64 s5, v36, v36
	v_add3_u32 v40, v40, v36, 0x7fff
	v_cndmask_b32_e64 v36, v40, v59, s5
	buffer_load_dword v40, off, s[0:3], s32 offset:340 ; 4-byte Folded Reload
	s_waitcnt vmcnt(0)
	v_mul_f32_e32 v40, v40, v117
	buffer_load_dword v117, off, s[0:3], s32 offset:308 ; 4-byte Folded Reload
	s_waitcnt vmcnt(0)
	v_fmac_f32_e32 v40, v117, v119
	buffer_load_dword v119, off, s[0:3], s32 offset:344 ; 4-byte Folded Reload
	v_and_b32_e32 v117, 0xffff0000, v78
	s_waitcnt vmcnt(0)
	v_mul_f32_e32 v59, v119, v117
	buffer_load_dword v117, off, s[0:3], s32 offset:312 ; 4-byte Folded Reload
	s_waitcnt vmcnt(0)
	v_fmac_f32_e32 v59, v117, v113
	buffer_load_dword v117, off, s[0:3], s32 offset:352 ; 4-byte Folded Reload
	v_and_b32_e32 v113, 0xffff0000, v77
	;; [unrolled: 7-line block ×5, first 2 shown]
	s_waitcnt vmcnt(0)
	v_mul_f32_e32 v76, v49, v18
	s_clause 0x1
	buffer_load_dword v18, off, s[0:3], s32 offset:328
	buffer_load_dword v49, off, s[0:3], s32 offset:368
	s_waitcnt vmcnt(1)
	v_fmac_f32_e32 v76, v18, v17
	v_and_b32_e32 v17, 0xffff0000, v118
	v_and_b32_e32 v18, 0xffff0000, v116
	s_waitcnt vmcnt(0)
	v_mul_f32_e32 v77, v49, v17
	s_clause 0x1
	buffer_load_dword v17, off, s[0:3], s32 offset:332
	buffer_load_dword v49, off, s[0:3], s32 offset:372
	s_waitcnt vmcnt(1)
	v_fmac_f32_e32 v77, v17, v18
	v_and_b32_e32 v17, 0xffff0000, v101
	v_and_b32_e32 v18, 0xffff0000, v112
	s_waitcnt vmcnt(0)
	v_mul_f32_e32 v78, v49, v17
	buffer_load_dword v17, off, s[0:3], s32 offset:336 ; 4-byte Folded Reload
	s_waitcnt vmcnt(0)
	v_fmac_f32_e32 v78, v17, v18
	buffer_load_dword v18, off, s[0:3], s32 offset:376 ; 4-byte Folded Reload
	v_and_b32_e32 v17, 0xffff0000, v115
	s_waitcnt vmcnt(0)
	v_fmac_f32_e32 v40, v18, v17
	buffer_load_dword v18, off, s[0:3], s32 offset:380 ; 4-byte Folded Reload
	v_and_b32_e32 v17, 0xffff0000, v127
	;; [unrolled: 4-line block ×28, first 2 shown]
	s_waitcnt vmcnt(0)
	v_fmac_f32_e32 v74, v18, v17
	buffer_load_dword v17, off, s[0:3], s32 offset:508 ; 4-byte Folded Reload
	s_waitcnt vmcnt(0)
	v_fmac_f32_e32 v75, v17, v11
	buffer_load_dword v11, off, s[0:3], s32 offset:512 ; 4-byte Folded Reload
	;; [unrolled: 3-line block ×3, first 2 shown]
	v_and_b32_e32 v10, 0xffff0000, v23
	s_waitcnt vmcnt(0)
	v_fmac_f32_e32 v77, v11, v10
	buffer_load_dword v11, off, s[0:3], s32 offset:520 ; 4-byte Folded Reload
	v_and_b32_e32 v10, 0xffff0000, v121
	s_waitcnt vmcnt(0)
	v_fmac_f32_e32 v78, v11, v10
	buffer_load_dword v11, off, s[0:3], s32 offset:524 ; 4-byte Folded Reload
	;; [unrolled: 4-line block ×7, first 2 shown]
	s_waitcnt vmcnt(0)
	v_fmac_f32_e32 v76, v10, v7
	buffer_load_dword v7, off, s[0:3], s32 offset:548 ; 4-byte Folded Reload
	s_waitcnt vmcnt(0)
	v_fmac_f32_e32 v77, v7, v4
	v_and_b32_e32 v4, 0xffff0000, v5
	buffer_load_dword v5, off, s[0:3], s32 offset:552 ; 4-byte Folded Reload
	s_waitcnt vmcnt(0)
	v_fmac_f32_e32 v78, v5, v4
	buffer_load_dword v5, off, s[0:3], s32 offset:556 ; 4-byte Folded Reload
	v_and_b32_e32 v4, 0xffff0000, v100
	s_waitcnt vmcnt(0)
	v_fmac_f32_e32 v40, v5, v4
	buffer_load_dword v5, off, s[0:3], s32 offset:560 ; 4-byte Folded Reload
	v_and_b32_e32 v4, 0xffff0000, v48
	s_waitcnt vmcnt(0)
	v_fmac_f32_e32 v59, v5, v4
	buffer_load_dword v4, off, s[0:3], s32 offset:564 ; 4-byte Folded Reload
	s_waitcnt vmcnt(0)
	v_fmac_f32_e32 v60, v4, v3
	buffer_load_dword v3, off, s[0:3], s32 offset:568 ; 4-byte Folded Reload
	;; [unrolled: 3-line block ×3, first 2 shown]
	v_and_b32_e32 v2, 0xffff0000, v27
	s_waitcnt vmcnt(0)
	v_fmac_f32_e32 v75, v3, v2
	buffer_load_dword v3, off, s[0:3], s32 offset:576 ; 4-byte Folded Reload
	v_and_b32_e32 v2, 0xffff0000, v6
	s_waitcnt vmcnt(0)
	v_fmac_f32_e32 v76, v3, v2
	buffer_load_dword v2, off, s[0:3], s32 offset:580 ; 4-byte Folded Reload
	s_waitcnt vmcnt(0)
	v_fmac_f32_e32 v77, v2, v0
	v_and_b32_e32 v0, 0xffff0000, v1
	s_clause 0x1
	buffer_load_dword v1, off, s[0:3], s32 offset:584
	buffer_load_dword v2, off, s[0:3], s32 offset:792
	s_waitcnt vmcnt(1)
	v_fmac_f32_e32 v78, v1, v0
	buffer_load_dword v1, off, s[0:3], s32 offset:588 ; 4-byte Folded Reload
	v_and_b32_e32 v0, 0xffff0000, v68
	s_waitcnt vmcnt(0)
	v_fmac_f32_e32 v40, v1, v0
	buffer_load_dword v1, off, s[0:3], s32 offset:592 ; 4-byte Folded Reload
	v_and_b32_e32 v0, 0xffff0000, v50
	;; [unrolled: 4-line block ×51, first 2 shown]
	s_waitcnt vmcnt(0)
	v_fmac_f32_e32 v60, v1, v0
	v_and_b32_e32 v1, 0xffff0000, v44
	v_add_f32_e32 v0, v40, v59
	v_fmac_f32_e32 v74, v2, v1
	buffer_load_dword v2, off, s[0:3], s32 offset:796 ; 4-byte Folded Reload
	v_and_b32_e32 v1, 0xffff0000, v57
	v_add_f32_e32 v0, v0, v60
	v_add_f32_e32 v0, v74, v0
	s_waitcnt vmcnt(0)
	v_fmac_f32_e32 v75, v2, v1
	buffer_load_dword v2, off, s[0:3], s32 offset:800 ; 4-byte Folded Reload
	v_and_b32_e32 v1, 0xffff0000, v58
	v_add_f32_e32 v0, v75, v0
	s_waitcnt vmcnt(0)
	v_fmac_f32_e32 v76, v2, v1
	buffer_load_dword v2, off, s[0:3], s32 offset:804 ; 4-byte Folded Reload
	v_and_b32_e32 v1, 0xffff0000, v35
	;; [unrolled: 5-line block ×3, first 2 shown]
	v_add_f32_e32 v0, v77, v0
	s_waitcnt vmcnt(0)
	v_fmac_f32_e32 v78, v2, v1
	s_clause 0x2
	buffer_load_dword v1, off, s[0:3], s32 offset:820
	buffer_load_dword v18, off, s[0:3], s32 offset:284
	buffer_load_dword v2, off, s[0:3], s32 offset:304
	s_load_dword s25, s[8:9], 0x0
	s_clause 0x1
	buffer_load_dword v6, off, s[0:3], s32 offset:288
	buffer_load_dword v17, off, s[0:3], s32 offset:280
	v_add_f32_e32 v0, v78, v0
	s_waitcnt vmcnt(3)
	v_add_nc_u32_e32 v1, v1, v18
	v_cvt_f32_i32_e32 v1, v1
	s_waitcnt vmcnt(2)
	v_mul_f32_e32 v1, v2, v1
	buffer_load_dword v2, off, s[0:3], s32 offset:300 ; 4-byte Folded Reload
	v_cndmask_b32_e32 v1, 0, v1, vcc_lo
	s_waitcnt vmcnt(0)
	v_fmac_f32_e32 v1, v2, v0
	buffer_load_dword v0, off, s[0:3], s32 offset:412 ; 4-byte Folded Reload
	s_waitcnt vmcnt(0)
	v_add_nc_u32_e32 v0, v0, v18
	v_cmp_lt_i32_e64 s5, v0, v38
	s_waitcnt lgkmcnt(0)
	v_add_nc_u32_e32 v0, s25, v6
	v_cndmask_b32_e64 v2, 0, v1, s5
	ds_write_b32 v0, v2
	v_max_f32_e32 v0, v17, v17
	v_max_f32_e32 v0, v0, v1
	v_cndmask_b32_e64 v17, v17, v0, s5
.LBB378_15:                             ;   in Loop: Header=BB378_16 Depth=1
	s_or_b32 exec_lo, exec_lo, s6
	s_clause 0x1
	buffer_load_dword v1, off, s[0:3], s32 offset:236
	buffer_load_dword v0, off, s[0:3], s32 offset:224
	v_add_co_u32 v28, s5, v28, 16
	v_add_co_ci_u32_e64 v29, null, 0, v29, s5
	v_add_nc_u32_e32 v18, 0x80, v18
	v_add_nc_u32_e32 v6, 0x200, v6
	s_waitcnt vmcnt(1)
	v_add_nc_u32_e32 v1, 4, v1
	s_waitcnt vmcnt(0)
	v_cmp_ge_i32_e64 s5, v1, v0
	s_or_b32 s17, s5, s17
	s_andn2_b32 exec_lo, exec_lo, s17
	s_cbranch_execz .LBB378_976
.LBB378_16:                             ; =>This Inner Loop Header: Depth=1
	buffer_store_dword v1, off, s[0:3], s32 offset:236 ; 4-byte Folded Spill
	s_clause 0x2
	buffer_load_dword v1, off, s[0:3], s32 offset:228
	buffer_load_dword v4, off, s[0:3], s32 offset:208
	buffer_load_dword v5, off, s[0:3], s32 offset:220
	v_sub_nc_u32_e32 v0, 0, v18
	v_max_i32_e32 v0, v18, v0
	s_waitcnt vmcnt(2)
	v_mul_hi_u32 v1, v0, v1
	s_waitcnt vmcnt(1)
	v_mul_lo_u32 v2, v1, v4
	v_sub_nc_u32_e32 v0, v0, v2
	v_add_nc_u32_e32 v2, 1, v1
	v_sub_nc_u32_e32 v3, v0, v4
	v_cmp_ge_u32_e64 s5, v0, v4
	v_cndmask_b32_e64 v1, v1, v2, s5
	v_cndmask_b32_e64 v0, v0, v3, s5
	v_ashrrev_i32_e32 v2, 31, v18
	v_add_nc_u32_e32 v3, 1, v1
	v_cmp_ge_u32_e64 s5, v0, v4
	s_waitcnt vmcnt(0)
	v_xor_b32_e32 v2, v2, v5
	v_cndmask_b32_e64 v0, v1, v3, s5
	v_xor_b32_e32 v0, v0, v2
	v_sub_nc_u32_e32 v0, v0, v2
	s_clause 0x3
	buffer_load_dword v1, off, s[0:3], s32 offset:212
	buffer_load_dword v2, off, s[0:3], s32 offset:216
	;; [unrolled: 1-line block ×4, first 2 shown]
	s_waitcnt vmcnt(3)
	v_add_nc_u32_e32 v1, v0, v1
	s_waitcnt vmcnt(2)
	v_sub_nc_u32_e32 v2, 0, v1
	v_max_i32_e32 v2, v1, v2
	v_ashrrev_i32_e32 v1, 31, v1
	s_waitcnt vmcnt(1)
	v_mul_hi_u32 v3, v2, v3
	s_waitcnt vmcnt(0)
	v_mul_lo_u32 v3, v3, v4
	v_sub_nc_u32_e32 v2, v2, v3
	v_sub_nc_u32_e32 v3, v2, v4
	v_cmp_ge_u32_e64 s5, v2, v4
	v_cndmask_b32_e64 v2, v2, v3, s5
	v_sub_nc_u32_e32 v3, v2, v4
	v_cmp_ge_u32_e64 s5, v2, v4
	v_cndmask_b32_e64 v2, v2, v3, s5
	v_xor_b32_e32 v2, v2, v1
	v_sub_nc_u32_e32 v1, v2, v1
	v_cmp_ne_u32_e64 s5, 0, v1
	buffer_load_dword v1, off, s[0:3], s32 offset:232 ; 4-byte Folded Reload
	s_waitcnt vmcnt(0)
	v_cmp_le_i32_e64 s6, v0, v1
	s_and_b32 s5, s5, s6
	s_and_saveexec_b32 s6, s5
	s_xor_b32 s5, exec_lo, s6
	s_cbranch_execz .LBB378_18
; %bb.17:                               ;   in Loop: Header=BB378_16 Depth=1
	s_waitcnt lgkmcnt(0)
	v_add_nc_u32_e32 v0, s24, v6
	v_mov_b32_e32 v1, 0xff7fffff
	ds_write_b32 v0, v1
.LBB378_18:                             ;   in Loop: Header=BB378_16 Depth=1
	s_andn2_saveexec_b32 s6, s5
	s_cbranch_execz .LBB378_15
; %bb.19:                               ;   in Loop: Header=BB378_16 Depth=1
	buffer_store_dword v6, off, s[0:3], s32 offset:288 ; 4-byte Folded Spill
	flat_load_dword v0, v[28:29]
	s_clause 0x2
	buffer_load_dword v1, off, s[0:3], s32 offset:348
	buffer_load_dword v2, off, s[0:3], s32 offset:812
	buffer_load_dword v3, off, s[0:3], s32 offset:816
	v_mov_b32_e32 v113, 0
	v_mov_b32_e32 v112, 0
	s_waitcnt vmcnt(0) lgkmcnt(0)
	v_mad_i64_i32 v[31:32], null, v0, v1, v[2:3]
	flat_load_dwordx2 v[33:34], v[31:32]
	s_clause 0x1
	buffer_load_dword v0, off, s[0:3], s32 offset:292
	buffer_load_dword v1, off, s[0:3], s32 offset:296
	s_waitcnt vmcnt(2) lgkmcnt(0)
	v_cmp_ne_u16_sdwa s5, v33, v20 src0_sel:BYTE_0 src1_sel:DWORD
	s_waitcnt vmcnt(0)
	flat_load_dword v40, v[0:1]
	s_and_saveexec_b32 s25, s5
	s_cbranch_execz .LBB378_27
; %bb.20:                               ;   in Loop: Header=BB378_16 Depth=1
	v_cmp_ne_u16_sdwa s5, v33, v114 src0_sel:BYTE_0 src1_sel:DWORD
	v_bfrev_b32_e32 v112, 1
	s_and_saveexec_b32 s26, s5
	s_cbranch_execz .LBB378_26
; %bb.21:                               ;   in Loop: Header=BB378_16 Depth=1
	v_and_b32_e32 v1, 0x7f, v33
	v_mov_b32_e32 v112, 0x7f800001
	s_mov_b32 s27, exec_lo
	v_cmpx_ne_u32_e32 0x7f, v1
	s_cbranch_execz .LBB378_25
; %bb.22:                               ;   in Loop: Header=BB378_16 Depth=1
	v_mov_b32_e32 v36, v34
	v_lshrrev_b32_e32 v0, 3, v1
	v_mov_b32_e32 v35, v33
	s_mov_b32 s28, exec_lo
	v_cmpx_gt_u32_e32 8, v1
; %bb.23:                               ;   in Loop: Header=BB378_16 Depth=1
	v_and_b32_e32 v0, 7, v33
	v_ffbh_u32_e32 v0, v0
	v_min_u32_e32 v0, 32, v0
	v_subrev_nc_u32_e32 v1, 28, v0
	v_sub_nc_u32_e32 v0, 29, v0
	v_lshlrev_b64 v[35:36], v1, v[33:34]
; %bb.24:                               ;   in Loop: Header=BB378_16 Depth=1
	s_or_b32 exec_lo, exec_lo, s28
	v_lshlrev_b32_e32 v1, 20, v35
	v_lshlrev_b32_e32 v2, 24, v33
	v_lshl_add_u32 v0, v0, 23, 0x3c000000
	v_and_b32_e32 v1, 0x700000, v1
	v_and_b32_e32 v2, 0x80000000, v2
	v_or3_b32 v112, v1, v2, v0
.LBB378_25:                             ;   in Loop: Header=BB378_16 Depth=1
	s_or_b32 exec_lo, exec_lo, s27
.LBB378_26:                             ;   in Loop: Header=BB378_16 Depth=1
	s_or_b32 exec_lo, exec_lo, s26
.LBB378_27:                             ;   in Loop: Header=BB378_16 Depth=1
	s_or_b32 exec_lo, exec_lo, s25
	v_cmp_ne_u16_sdwa s5, v33, v20 src0_sel:BYTE_1 src1_sel:DWORD
	s_and_saveexec_b32 s25, s5
	s_cbranch_execz .LBB378_35
; %bb.28:                               ;   in Loop: Header=BB378_16 Depth=1
	v_cmp_ne_u16_sdwa s5, v33, v114 src0_sel:BYTE_1 src1_sel:DWORD
	v_bfrev_b32_e32 v113, 1
	s_and_saveexec_b32 s26, s5
	s_cbranch_execz .LBB378_34
; %bb.29:                               ;   in Loop: Header=BB378_16 Depth=1
	v_mov_b32_e32 v0, 0xffff
	v_mov_b32_e32 v113, 0x7f800001
	s_mov_b32 s27, exec_lo
	v_and_b32_sdwa v0, v0, v33 dst_sel:DWORD dst_unused:UNUSED_PAD src0_sel:DWORD src1_sel:BYTE_1
	v_and_b32_e32 v1, 0x7f, v0
	v_cmpx_ne_u32_e32 0x7f, v1
	s_cbranch_execz .LBB378_33
; %bb.30:                               ;   in Loop: Header=BB378_16 Depth=1
	v_and_b32_e32 v19, 7, v0
	v_mov_b32_e32 v36, v20
	v_lshrrev_b32_e32 v0, 3, v1
	s_mov_b32 s28, exec_lo
	v_mov_b32_e32 v35, v19
	v_cmpx_gt_u32_e32 8, v1
; %bb.31:                               ;   in Loop: Header=BB378_16 Depth=1
	v_ffbh_u32_e32 v0, v19
	v_min_u32_e32 v0, 32, v0
	v_subrev_nc_u32_e32 v1, 28, v0
	v_sub_nc_u32_e32 v0, 29, v0
	v_lshlrev_b64 v[1:2], v1, v[19:20]
	v_and_b32_e32 v35, 7, v1
; %bb.32:                               ;   in Loop: Header=BB378_16 Depth=1
	s_or_b32 exec_lo, exec_lo, s28
	v_lshlrev_b32_e32 v1, 16, v33
	v_lshlrev_b32_e32 v2, 20, v35
	v_lshl_add_u32 v0, v0, 23, 0x3c000000
	v_and_b32_e32 v1, 0x80000000, v1
	v_or3_b32 v113, v2, v1, v0
.LBB378_33:                             ;   in Loop: Header=BB378_16 Depth=1
	s_or_b32 exec_lo, exec_lo, s27
.LBB378_34:                             ;   in Loop: Header=BB378_16 Depth=1
	s_or_b32 exec_lo, exec_lo, s26
.LBB378_35:                             ;   in Loop: Header=BB378_16 Depth=1
	s_or_b32 exec_lo, exec_lo, s25
	v_mov_b32_e32 v0, 0xff
	v_mov_b32_e32 v49, 0
	;; [unrolled: 1-line block ×3, first 2 shown]
	s_mov_b32 s25, exec_lo
	v_and_b32_sdwa v0, v33, v0 dst_sel:DWORD dst_unused:UNUSED_PAD src0_sel:WORD_1 src1_sel:DWORD
	v_cmpx_ne_u16_e32 0, v0
	s_cbranch_execz .LBB378_43
; %bb.36:                               ;   in Loop: Header=BB378_16 Depth=1
	v_bfrev_b32_e32 v52, 1
	s_mov_b32 s26, exec_lo
	v_cmpx_ne_u16_e32 0x80, v0
	s_cbranch_execz .LBB378_42
; %bb.37:                               ;   in Loop: Header=BB378_16 Depth=1
	v_bfe_u32 v1, v33, 16, 7
	v_mov_b32_e32 v52, 0x7f800001
	s_mov_b32 s27, exec_lo
	v_cmpx_ne_u32_e32 0x7f, v1
	s_cbranch_execz .LBB378_41
; %bb.38:                               ;   in Loop: Header=BB378_16 Depth=1
	v_mov_b32_e32 v0, 7
	s_mov_b32 s28, exec_lo
	v_and_b32_sdwa v19, v33, v0 dst_sel:DWORD dst_unused:UNUSED_PAD src0_sel:WORD_1 src1_sel:DWORD
	v_mov_b32_e32 v36, v20
	v_lshrrev_b32_e32 v0, 3, v1
	v_mov_b32_e32 v35, v19
	v_cmpx_gt_u32_e32 8, v1
; %bb.39:                               ;   in Loop: Header=BB378_16 Depth=1
	v_ffbh_u32_e32 v0, v19
	v_min_u32_e32 v0, 32, v0
	v_subrev_nc_u32_e32 v1, 28, v0
	v_sub_nc_u32_e32 v0, 29, v0
	v_lshlrev_b64 v[1:2], v1, v[19:20]
	v_and_b32_e32 v35, 7, v1
; %bb.40:                               ;   in Loop: Header=BB378_16 Depth=1
	s_or_b32 exec_lo, exec_lo, s28
	v_mov_b32_e32 v1, 24
	v_lshlrev_b32_e32 v2, 20, v35
	v_lshl_add_u32 v0, v0, 23, 0x3c000000
	v_lshlrev_b32_sdwa v1, v1, v33 dst_sel:DWORD dst_unused:UNUSED_PAD src0_sel:DWORD src1_sel:WORD_1
	v_and_b32_e32 v1, 0x80000000, v1
	v_or3_b32 v52, v2, v1, v0
.LBB378_41:                             ;   in Loop: Header=BB378_16 Depth=1
	s_or_b32 exec_lo, exec_lo, s27
.LBB378_42:                             ;   in Loop: Header=BB378_16 Depth=1
	s_or_b32 exec_lo, exec_lo, s26
.LBB378_43:                             ;   in Loop: Header=BB378_16 Depth=1
	s_or_b32 exec_lo, exec_lo, s25
	s_mov_b32 s25, exec_lo
	v_cmpx_lt_u32_e32 0xffffff, v33
	s_cbranch_execz .LBB378_51
; %bb.44:                               ;   in Loop: Header=BB378_16 Depth=1
	v_cmp_ne_u32_sdwa s5, v33, v114 src0_sel:BYTE_3 src1_sel:DWORD
	v_bfrev_b32_e32 v49, 1
	s_and_saveexec_b32 s26, s5
	s_cbranch_execz .LBB378_50
; %bb.45:                               ;   in Loop: Header=BB378_16 Depth=1
	v_bfe_u32 v1, v33, 24, 7
	v_mov_b32_e32 v49, 0x7f800001
	s_mov_b32 s27, exec_lo
	v_cmpx_ne_u32_e32 0x7f, v1
	s_cbranch_execz .LBB378_49
; %bb.46:                               ;   in Loop: Header=BB378_16 Depth=1
	v_mov_b32_e32 v0, 7
	s_mov_b32 s28, exec_lo
	v_and_b32_sdwa v19, v33, v0 dst_sel:DWORD dst_unused:UNUSED_PAD src0_sel:BYTE_3 src1_sel:DWORD
	v_mov_b32_e32 v36, v20
	v_lshrrev_b32_e32 v0, 3, v1
	v_mov_b32_e32 v35, v19
	v_cmpx_gt_u32_e32 8, v1
; %bb.47:                               ;   in Loop: Header=BB378_16 Depth=1
	v_ffbh_u32_e32 v0, v19
	v_min_u32_e32 v0, 32, v0
	v_subrev_nc_u32_e32 v1, 28, v0
	v_sub_nc_u32_e32 v0, 29, v0
	v_lshlrev_b64 v[1:2], v1, v[19:20]
	v_and_b32_e32 v35, 7, v1
; %bb.48:                               ;   in Loop: Header=BB378_16 Depth=1
	s_or_b32 exec_lo, exec_lo, s28
	v_mov_b32_e32 v1, 24
	v_lshlrev_b32_e32 v2, 20, v35
	v_lshl_add_u32 v0, v0, 23, 0x3c000000
	v_lshlrev_b32_sdwa v1, v1, v33 dst_sel:DWORD dst_unused:UNUSED_PAD src0_sel:DWORD src1_sel:BYTE_3
	v_and_b32_e32 v1, 0x80000000, v1
	v_or3_b32 v49, v2, v1, v0
.LBB378_49:                             ;   in Loop: Header=BB378_16 Depth=1
	s_or_b32 exec_lo, exec_lo, s27
.LBB378_50:                             ;   in Loop: Header=BB378_16 Depth=1
	s_or_b32 exec_lo, exec_lo, s26
.LBB378_51:                             ;   in Loop: Header=BB378_16 Depth=1
	s_or_b32 exec_lo, exec_lo, s25
	v_mov_b32_e32 v19, v34
	v_cmp_ne_u16_sdwa s5, v34, v20 src0_sel:BYTE_0 src1_sel:DWORD
	v_mov_b32_e32 v119, 0
	v_mov_b32_e32 v116, 0
	s_and_saveexec_b32 s25, s5
	s_cbranch_execz .LBB378_59
; %bb.52:                               ;   in Loop: Header=BB378_16 Depth=1
	v_cmp_ne_u16_sdwa s5, v34, v114 src0_sel:BYTE_0 src1_sel:DWORD
	v_bfrev_b32_e32 v116, 1
	s_and_saveexec_b32 s26, s5
	s_cbranch_execz .LBB378_58
; %bb.53:                               ;   in Loop: Header=BB378_16 Depth=1
	v_and_b32_e32 v1, 0x7f, v34
	v_mov_b32_e32 v116, 0x7f800001
	s_mov_b32 s27, exec_lo
	v_cmpx_ne_u32_e32 0x7f, v1
	s_cbranch_execz .LBB378_57
; %bb.54:                               ;   in Loop: Header=BB378_16 Depth=1
	v_mov_b32_e32 v36, v20
	v_lshrrev_b32_e32 v0, 3, v1
	v_mov_b32_e32 v35, v19
	s_mov_b32 s28, exec_lo
	v_cmpx_gt_u32_e32 8, v1
; %bb.55:                               ;   in Loop: Header=BB378_16 Depth=1
	v_and_b32_e32 v0, 7, v34
	v_ffbh_u32_e32 v0, v0
	v_min_u32_e32 v0, 32, v0
	v_subrev_nc_u32_e32 v1, 28, v0
	v_sub_nc_u32_e32 v0, 29, v0
	v_lshlrev_b64 v[35:36], v1, v[19:20]
; %bb.56:                               ;   in Loop: Header=BB378_16 Depth=1
	s_or_b32 exec_lo, exec_lo, s28
	v_lshlrev_b32_e32 v1, 20, v35
	v_lshlrev_b32_e32 v2, 24, v19
	v_lshl_add_u32 v0, v0, 23, 0x3c000000
	v_and_b32_e32 v1, 0x700000, v1
	v_and_b32_e32 v2, 0x80000000, v2
	v_or3_b32 v116, v1, v2, v0
.LBB378_57:                             ;   in Loop: Header=BB378_16 Depth=1
	s_or_b32 exec_lo, exec_lo, s27
.LBB378_58:                             ;   in Loop: Header=BB378_16 Depth=1
	s_or_b32 exec_lo, exec_lo, s26
.LBB378_59:                             ;   in Loop: Header=BB378_16 Depth=1
	s_or_b32 exec_lo, exec_lo, s25
	v_cmp_ne_u16_sdwa s5, v19, v20 src0_sel:BYTE_1 src1_sel:DWORD
	s_and_saveexec_b32 s25, s5
	s_cbranch_execz .LBB378_67
; %bb.60:                               ;   in Loop: Header=BB378_16 Depth=1
	v_cmp_ne_u16_sdwa s5, v19, v114 src0_sel:BYTE_1 src1_sel:DWORD
	v_bfrev_b32_e32 v119, 1
	s_and_saveexec_b32 s26, s5
	s_cbranch_execz .LBB378_66
; %bb.61:                               ;   in Loop: Header=BB378_16 Depth=1
	v_mov_b32_e32 v0, 0xffff
	v_mov_b32_e32 v119, 0x7f800001
	s_mov_b32 s27, exec_lo
	v_and_b32_sdwa v0, v0, v19 dst_sel:DWORD dst_unused:UNUSED_PAD src0_sel:DWORD src1_sel:BYTE_1
	v_and_b32_e32 v1, 0x7f, v0
	v_cmpx_ne_u32_e32 0x7f, v1
	s_cbranch_execz .LBB378_65
; %bb.62:                               ;   in Loop: Header=BB378_16 Depth=1
	v_and_b32_e32 v35, 7, v0
	v_mov_b32_e32 v36, v20
	v_lshrrev_b32_e32 v0, 3, v1
	s_mov_b32 s28, exec_lo
	v_cmpx_gt_u32_e32 8, v1
; %bb.63:                               ;   in Loop: Header=BB378_16 Depth=1
	v_ffbh_u32_e32 v0, v35
	v_min_u32_e32 v0, 32, v0
	v_subrev_nc_u32_e32 v1, 28, v0
	v_sub_nc_u32_e32 v0, 29, v0
	v_lshlrev_b64 v[1:2], v1, v[35:36]
	v_and_b32_e32 v35, 7, v1
; %bb.64:                               ;   in Loop: Header=BB378_16 Depth=1
	s_or_b32 exec_lo, exec_lo, s28
	v_lshlrev_b32_e32 v1, 16, v19
	v_lshlrev_b32_e32 v2, 20, v35
	v_lshl_add_u32 v0, v0, 23, 0x3c000000
	v_and_b32_e32 v1, 0x80000000, v1
	v_or3_b32 v119, v2, v1, v0
.LBB378_65:                             ;   in Loop: Header=BB378_16 Depth=1
	s_or_b32 exec_lo, exec_lo, s27
.LBB378_66:                             ;   in Loop: Header=BB378_16 Depth=1
	s_or_b32 exec_lo, exec_lo, s26
.LBB378_67:                             ;   in Loop: Header=BB378_16 Depth=1
	s_or_b32 exec_lo, exec_lo, s25
	v_mov_b32_e32 v0, 0xff
	v_mov_b32_e32 v101, 0
	;; [unrolled: 1-line block ×3, first 2 shown]
	s_mov_b32 s25, exec_lo
	v_and_b32_sdwa v0, v34, v0 dst_sel:DWORD dst_unused:UNUSED_PAD src0_sel:WORD_1 src1_sel:DWORD
	v_cmpx_ne_u16_e32 0, v0
	s_cbranch_execz .LBB378_75
; %bb.68:                               ;   in Loop: Header=BB378_16 Depth=1
	v_bfrev_b32_e32 v117, 1
	s_mov_b32 s26, exec_lo
	v_cmpx_ne_u16_e32 0x80, v0
	s_cbranch_execz .LBB378_74
; %bb.69:                               ;   in Loop: Header=BB378_16 Depth=1
	v_bfe_u32 v1, v34, 16, 7
	v_mov_b32_e32 v117, 0x7f800001
	s_mov_b32 s27, exec_lo
	v_cmpx_ne_u32_e32 0x7f, v1
	s_cbranch_execz .LBB378_73
; %bb.70:                               ;   in Loop: Header=BB378_16 Depth=1
	v_mov_b32_e32 v0, 7
	s_mov_b32 s28, exec_lo
	v_and_b32_sdwa v19, v34, v0 dst_sel:DWORD dst_unused:UNUSED_PAD src0_sel:WORD_1 src1_sel:DWORD
	v_mov_b32_e32 v36, v20
	v_lshrrev_b32_e32 v0, 3, v1
	v_mov_b32_e32 v35, v19
	v_cmpx_gt_u32_e32 8, v1
; %bb.71:                               ;   in Loop: Header=BB378_16 Depth=1
	v_ffbh_u32_e32 v0, v19
	v_min_u32_e32 v0, 32, v0
	v_subrev_nc_u32_e32 v1, 28, v0
	v_sub_nc_u32_e32 v0, 29, v0
	v_lshlrev_b64 v[1:2], v1, v[19:20]
	v_and_b32_e32 v35, 7, v1
; %bb.72:                               ;   in Loop: Header=BB378_16 Depth=1
	s_or_b32 exec_lo, exec_lo, s28
	v_mov_b32_e32 v1, 24
	v_lshlrev_b32_e32 v2, 20, v35
	v_lshl_add_u32 v0, v0, 23, 0x3c000000
	v_lshlrev_b32_sdwa v1, v1, v34 dst_sel:DWORD dst_unused:UNUSED_PAD src0_sel:DWORD src1_sel:WORD_1
	v_and_b32_e32 v1, 0x80000000, v1
	v_or3_b32 v117, v2, v1, v0
.LBB378_73:                             ;   in Loop: Header=BB378_16 Depth=1
	s_or_b32 exec_lo, exec_lo, s27
.LBB378_74:                             ;   in Loop: Header=BB378_16 Depth=1
	s_or_b32 exec_lo, exec_lo, s26
.LBB378_75:                             ;   in Loop: Header=BB378_16 Depth=1
	s_or_b32 exec_lo, exec_lo, s25
	s_mov_b32 s25, exec_lo
	v_cmpx_lt_u64_e64 s[20:21], v[33:34]
	s_cbranch_execz .LBB378_83
; %bb.76:                               ;   in Loop: Header=BB378_16 Depth=1
	v_cmp_ne_u32_sdwa s5, v34, v114 src0_sel:BYTE_3 src1_sel:DWORD
	v_bfrev_b32_e32 v101, 1
	s_and_saveexec_b32 s26, s5
	s_cbranch_execz .LBB378_82
; %bb.77:                               ;   in Loop: Header=BB378_16 Depth=1
	v_bfe_u32 v1, v34, 24, 7
	v_mov_b32_e32 v101, 0x7f800001
	s_mov_b32 s27, exec_lo
	v_cmpx_ne_u32_e32 0x7f, v1
	s_cbranch_execz .LBB378_81
; %bb.78:                               ;   in Loop: Header=BB378_16 Depth=1
	v_mov_b32_e32 v0, 7
	s_mov_b32 s28, exec_lo
	v_and_b32_sdwa v19, v34, v0 dst_sel:DWORD dst_unused:UNUSED_PAD src0_sel:BYTE_3 src1_sel:DWORD
	v_mov_b32_e32 v36, v20
	v_lshrrev_b32_e32 v0, 3, v1
	v_mov_b32_e32 v35, v19
	v_cmpx_gt_u32_e32 8, v1
; %bb.79:                               ;   in Loop: Header=BB378_16 Depth=1
	v_ffbh_u32_e32 v0, v19
	v_min_u32_e32 v0, 32, v0
	v_subrev_nc_u32_e32 v1, 28, v0
	v_sub_nc_u32_e32 v0, 29, v0
	v_lshlrev_b64 v[1:2], v1, v[19:20]
	v_and_b32_e32 v35, 7, v1
; %bb.80:                               ;   in Loop: Header=BB378_16 Depth=1
	s_or_b32 exec_lo, exec_lo, s28
	v_mov_b32_e32 v1, 24
	v_lshlrev_b32_e32 v2, 20, v35
	v_lshl_add_u32 v0, v0, 23, 0x3c000000
	v_lshlrev_b32_sdwa v1, v1, v34 dst_sel:DWORD dst_unused:UNUSED_PAD src0_sel:DWORD src1_sel:BYTE_3
	v_and_b32_e32 v1, 0x80000000, v1
	v_or3_b32 v101, v2, v1, v0
.LBB378_81:                             ;   in Loop: Header=BB378_16 Depth=1
	s_or_b32 exec_lo, exec_lo, s27
.LBB378_82:                             ;   in Loop: Header=BB378_16 Depth=1
	s_or_b32 exec_lo, exec_lo, s26
.LBB378_83:                             ;   in Loop: Header=BB378_16 Depth=1
	s_or_b32 exec_lo, exec_lo, s25
	flat_load_dwordx2 v[33:34], v[31:32] offset:8
	v_mov_b32_e32 v72, 0
	v_mov_b32_e32 v118, 0
	s_waitcnt vmcnt(0) lgkmcnt(0)
	v_cmp_ne_u16_sdwa s5, v33, v20 src0_sel:BYTE_0 src1_sel:DWORD
	s_and_saveexec_b32 s25, s5
	s_cbranch_execz .LBB378_91
; %bb.84:                               ;   in Loop: Header=BB378_16 Depth=1
	v_cmp_ne_u16_sdwa s5, v33, v114 src0_sel:BYTE_0 src1_sel:DWORD
	v_bfrev_b32_e32 v118, 1
	s_and_saveexec_b32 s26, s5
	s_cbranch_execz .LBB378_90
; %bb.85:                               ;   in Loop: Header=BB378_16 Depth=1
	v_and_b32_e32 v1, 0x7f, v33
	v_mov_b32_e32 v118, 0x7f800001
	s_mov_b32 s27, exec_lo
	v_cmpx_ne_u32_e32 0x7f, v1
	s_cbranch_execz .LBB378_89
; %bb.86:                               ;   in Loop: Header=BB378_16 Depth=1
	v_mov_b32_e32 v36, v34
	v_lshrrev_b32_e32 v0, 3, v1
	v_mov_b32_e32 v35, v33
	s_mov_b32 s28, exec_lo
	v_cmpx_gt_u32_e32 8, v1
; %bb.87:                               ;   in Loop: Header=BB378_16 Depth=1
	v_and_b32_e32 v0, 7, v33
	v_ffbh_u32_e32 v0, v0
	v_min_u32_e32 v0, 32, v0
	v_subrev_nc_u32_e32 v1, 28, v0
	v_sub_nc_u32_e32 v0, 29, v0
	v_lshlrev_b64 v[35:36], v1, v[33:34]
; %bb.88:                               ;   in Loop: Header=BB378_16 Depth=1
	s_or_b32 exec_lo, exec_lo, s28
	v_lshlrev_b32_e32 v1, 20, v35
	v_lshlrev_b32_e32 v2, 24, v33
	v_lshl_add_u32 v0, v0, 23, 0x3c000000
	v_and_b32_e32 v1, 0x700000, v1
	v_and_b32_e32 v2, 0x80000000, v2
	v_or3_b32 v118, v1, v2, v0
.LBB378_89:                             ;   in Loop: Header=BB378_16 Depth=1
	s_or_b32 exec_lo, exec_lo, s27
.LBB378_90:                             ;   in Loop: Header=BB378_16 Depth=1
	s_or_b32 exec_lo, exec_lo, s26
.LBB378_91:                             ;   in Loop: Header=BB378_16 Depth=1
	s_or_b32 exec_lo, exec_lo, s25
	v_cmp_ne_u16_sdwa s5, v33, v20 src0_sel:BYTE_1 src1_sel:DWORD
	s_and_saveexec_b32 s25, s5
	s_cbranch_execz .LBB378_99
; %bb.92:                               ;   in Loop: Header=BB378_16 Depth=1
	v_cmp_ne_u16_sdwa s5, v33, v114 src0_sel:BYTE_1 src1_sel:DWORD
	v_bfrev_b32_e32 v72, 1
	s_and_saveexec_b32 s26, s5
	s_cbranch_execz .LBB378_98
; %bb.93:                               ;   in Loop: Header=BB378_16 Depth=1
	v_mov_b32_e32 v0, 0xffff
	v_mov_b32_e32 v72, 0x7f800001
	s_mov_b32 s27, exec_lo
	v_and_b32_sdwa v0, v0, v33 dst_sel:DWORD dst_unused:UNUSED_PAD src0_sel:DWORD src1_sel:BYTE_1
	v_and_b32_e32 v1, 0x7f, v0
	v_cmpx_ne_u32_e32 0x7f, v1
	s_cbranch_execz .LBB378_97
; %bb.94:                               ;   in Loop: Header=BB378_16 Depth=1
	v_and_b32_e32 v19, 7, v0
	v_mov_b32_e32 v36, v20
	v_lshrrev_b32_e32 v0, 3, v1
	s_mov_b32 s28, exec_lo
	v_mov_b32_e32 v35, v19
	v_cmpx_gt_u32_e32 8, v1
; %bb.95:                               ;   in Loop: Header=BB378_16 Depth=1
	v_ffbh_u32_e32 v0, v19
	v_min_u32_e32 v0, 32, v0
	v_subrev_nc_u32_e32 v1, 28, v0
	v_sub_nc_u32_e32 v0, 29, v0
	v_lshlrev_b64 v[1:2], v1, v[19:20]
	v_and_b32_e32 v35, 7, v1
; %bb.96:                               ;   in Loop: Header=BB378_16 Depth=1
	s_or_b32 exec_lo, exec_lo, s28
	v_lshlrev_b32_e32 v1, 16, v33
	v_lshlrev_b32_e32 v2, 20, v35
	v_lshl_add_u32 v0, v0, 23, 0x3c000000
	v_and_b32_e32 v1, 0x80000000, v1
	v_or3_b32 v72, v2, v1, v0
.LBB378_97:                             ;   in Loop: Header=BB378_16 Depth=1
	s_or_b32 exec_lo, exec_lo, s27
.LBB378_98:                             ;   in Loop: Header=BB378_16 Depth=1
	s_or_b32 exec_lo, exec_lo, s26
.LBB378_99:                             ;   in Loop: Header=BB378_16 Depth=1
	s_or_b32 exec_lo, exec_lo, s25
	v_mov_b32_e32 v0, 0xff
	v_mov_b32_e32 v1, 0
	s_mov_b32 s25, exec_lo
	v_and_b32_sdwa v0, v33, v0 dst_sel:DWORD dst_unused:UNUSED_PAD src0_sel:WORD_1 src1_sel:DWORD
	buffer_store_dword v1, off, s[0:3], s32 offset:240 ; 4-byte Folded Spill
	v_mov_b32_e32 v1, 0
	buffer_store_dword v1, off, s[0:3], s32 offset:264 ; 4-byte Folded Spill
	v_cmpx_ne_u16_e32 0, v0
	s_cbranch_execz .LBB378_107
; %bb.100:                              ;   in Loop: Header=BB378_16 Depth=1
	v_cmp_ne_u16_e64 s5, 0x80, v0
	v_bfrev_b32_e32 v0, 1
	s_and_saveexec_b32 s26, s5
	s_cbranch_execz .LBB378_106
; %bb.101:                              ;   in Loop: Header=BB378_16 Depth=1
	v_bfe_u32 v1, v33, 16, 7
	v_mov_b32_e32 v0, 0x7f800001
	s_mov_b32 s27, exec_lo
	v_cmpx_ne_u32_e32 0x7f, v1
	s_cbranch_execz .LBB378_105
; %bb.102:                              ;   in Loop: Header=BB378_16 Depth=1
	v_mov_b32_e32 v0, 7
	s_mov_b32 s28, exec_lo
	v_and_b32_sdwa v19, v33, v0 dst_sel:DWORD dst_unused:UNUSED_PAD src0_sel:WORD_1 src1_sel:DWORD
	v_mov_b32_e32 v36, v20
	v_lshrrev_b32_e32 v0, 3, v1
	v_mov_b32_e32 v35, v19
	v_cmpx_gt_u32_e32 8, v1
; %bb.103:                              ;   in Loop: Header=BB378_16 Depth=1
	v_ffbh_u32_e32 v0, v19
	v_min_u32_e32 v0, 32, v0
	v_subrev_nc_u32_e32 v1, 28, v0
	v_sub_nc_u32_e32 v0, 29, v0
	v_lshlrev_b64 v[1:2], v1, v[19:20]
	v_and_b32_e32 v35, 7, v1
; %bb.104:                              ;   in Loop: Header=BB378_16 Depth=1
	s_or_b32 exec_lo, exec_lo, s28
	v_mov_b32_e32 v1, 24
	v_lshlrev_b32_e32 v2, 20, v35
	v_lshl_add_u32 v0, v0, 23, 0x3c000000
	v_lshlrev_b32_sdwa v1, v1, v33 dst_sel:DWORD dst_unused:UNUSED_PAD src0_sel:DWORD src1_sel:WORD_1
	v_and_b32_e32 v1, 0x80000000, v1
	v_or3_b32 v0, v2, v1, v0
.LBB378_105:                            ;   in Loop: Header=BB378_16 Depth=1
	s_or_b32 exec_lo, exec_lo, s27
.LBB378_106:                            ;   in Loop: Header=BB378_16 Depth=1
	s_or_b32 exec_lo, exec_lo, s26
	buffer_store_dword v0, off, s[0:3], s32 offset:264 ; 4-byte Folded Spill
.LBB378_107:                            ;   in Loop: Header=BB378_16 Depth=1
	s_or_b32 exec_lo, exec_lo, s25
	s_mov_b32 s25, exec_lo
	v_cmpx_lt_u32_e32 0xffffff, v33
	s_cbranch_execz .LBB378_115
; %bb.108:                              ;   in Loop: Header=BB378_16 Depth=1
	v_cmp_ne_u32_sdwa s5, v33, v114 src0_sel:BYTE_3 src1_sel:DWORD
	v_bfrev_b32_e32 v0, 1
	buffer_store_dword v0, off, s[0:3], s32 offset:240 ; 4-byte Folded Spill
	s_and_saveexec_b32 s26, s5
	s_cbranch_execz .LBB378_114
; %bb.109:                              ;   in Loop: Header=BB378_16 Depth=1
	v_bfe_u32 v1, v33, 24, 7
	v_mov_b32_e32 v0, 0x7f800001
	s_mov_b32 s27, exec_lo
	buffer_store_dword v0, off, s[0:3], s32 offset:240 ; 4-byte Folded Spill
	v_cmpx_ne_u32_e32 0x7f, v1
	s_cbranch_execz .LBB378_113
; %bb.110:                              ;   in Loop: Header=BB378_16 Depth=1
	v_mov_b32_e32 v0, 7
	s_mov_b32 s28, exec_lo
	v_and_b32_sdwa v19, v33, v0 dst_sel:DWORD dst_unused:UNUSED_PAD src0_sel:BYTE_3 src1_sel:DWORD
	v_mov_b32_e32 v36, v20
	v_lshrrev_b32_e32 v0, 3, v1
	v_mov_b32_e32 v35, v19
	v_cmpx_gt_u32_e32 8, v1
; %bb.111:                              ;   in Loop: Header=BB378_16 Depth=1
	v_ffbh_u32_e32 v0, v19
	v_min_u32_e32 v0, 32, v0
	v_subrev_nc_u32_e32 v1, 28, v0
	v_sub_nc_u32_e32 v0, 29, v0
	v_lshlrev_b64 v[1:2], v1, v[19:20]
	v_and_b32_e32 v35, 7, v1
; %bb.112:                              ;   in Loop: Header=BB378_16 Depth=1
	s_or_b32 exec_lo, exec_lo, s28
	v_mov_b32_e32 v1, 24
	v_lshlrev_b32_e32 v2, 20, v35
	v_lshl_add_u32 v0, v0, 23, 0x3c000000
	v_lshlrev_b32_sdwa v1, v1, v33 dst_sel:DWORD dst_unused:UNUSED_PAD src0_sel:DWORD src1_sel:BYTE_3
	v_and_b32_e32 v1, 0x80000000, v1
	v_or3_b32 v0, v2, v1, v0
	buffer_store_dword v0, off, s[0:3], s32 offset:240 ; 4-byte Folded Spill
.LBB378_113:                            ;   in Loop: Header=BB378_16 Depth=1
	s_or_b32 exec_lo, exec_lo, s27
.LBB378_114:                            ;   in Loop: Header=BB378_16 Depth=1
	s_or_b32 exec_lo, exec_lo, s26
.LBB378_115:                            ;   in Loop: Header=BB378_16 Depth=1
	s_or_b32 exec_lo, exec_lo, s25
	v_mov_b32_e32 v0, 0
	v_mov_b32_e32 v19, v34
	v_cmp_ne_u16_sdwa s5, v34, v20 src0_sel:BYTE_0 src1_sel:DWORD
	buffer_store_dword v0, off, s[0:3], s32 offset:248 ; 4-byte Folded Spill
	v_mov_b32_e32 v0, 0
	buffer_store_dword v0, off, s[0:3], s32 offset:244 ; 4-byte Folded Spill
	s_and_saveexec_b32 s25, s5
	s_cbranch_execz .LBB378_123
; %bb.116:                              ;   in Loop: Header=BB378_16 Depth=1
	v_cmp_ne_u16_sdwa s5, v34, v114 src0_sel:BYTE_0 src1_sel:DWORD
	v_bfrev_b32_e32 v0, 1
	buffer_store_dword v0, off, s[0:3], s32 offset:244 ; 4-byte Folded Spill
	s_and_saveexec_b32 s26, s5
	s_cbranch_execz .LBB378_122
; %bb.117:                              ;   in Loop: Header=BB378_16 Depth=1
	v_and_b32_e32 v1, 0x7f, v34
	v_mov_b32_e32 v0, 0x7f800001
	s_mov_b32 s27, exec_lo
	buffer_store_dword v0, off, s[0:3], s32 offset:244 ; 4-byte Folded Spill
	v_cmpx_ne_u32_e32 0x7f, v1
	s_cbranch_execz .LBB378_121
; %bb.118:                              ;   in Loop: Header=BB378_16 Depth=1
	v_mov_b32_e32 v36, v20
	v_lshrrev_b32_e32 v0, 3, v1
	v_mov_b32_e32 v35, v19
	s_mov_b32 s28, exec_lo
	v_cmpx_gt_u32_e32 8, v1
; %bb.119:                              ;   in Loop: Header=BB378_16 Depth=1
	v_and_b32_e32 v0, 7, v34
	v_ffbh_u32_e32 v0, v0
	v_min_u32_e32 v0, 32, v0
	v_subrev_nc_u32_e32 v1, 28, v0
	v_sub_nc_u32_e32 v0, 29, v0
	v_lshlrev_b64 v[35:36], v1, v[19:20]
; %bb.120:                              ;   in Loop: Header=BB378_16 Depth=1
	s_or_b32 exec_lo, exec_lo, s28
	v_lshlrev_b32_e32 v1, 20, v35
	v_lshlrev_b32_e32 v2, 24, v19
	v_lshl_add_u32 v0, v0, 23, 0x3c000000
	v_and_b32_e32 v1, 0x700000, v1
	v_and_b32_e32 v2, 0x80000000, v2
	v_or3_b32 v0, v1, v2, v0
	buffer_store_dword v0, off, s[0:3], s32 offset:244 ; 4-byte Folded Spill
.LBB378_121:                            ;   in Loop: Header=BB378_16 Depth=1
	s_or_b32 exec_lo, exec_lo, s27
.LBB378_122:                            ;   in Loop: Header=BB378_16 Depth=1
	s_or_b32 exec_lo, exec_lo, s26
.LBB378_123:                            ;   in Loop: Header=BB378_16 Depth=1
	s_or_b32 exec_lo, exec_lo, s25
	v_cmp_ne_u16_sdwa s5, v19, v20 src0_sel:BYTE_1 src1_sel:DWORD
	s_and_saveexec_b32 s25, s5
	s_cbranch_execz .LBB378_131
; %bb.124:                              ;   in Loop: Header=BB378_16 Depth=1
	v_cmp_ne_u16_sdwa s5, v19, v114 src0_sel:BYTE_1 src1_sel:DWORD
	v_bfrev_b32_e32 v0, 1
	buffer_store_dword v0, off, s[0:3], s32 offset:248 ; 4-byte Folded Spill
	s_and_saveexec_b32 s26, s5
	s_cbranch_execz .LBB378_130
; %bb.125:                              ;   in Loop: Header=BB378_16 Depth=1
	v_mov_b32_e32 v0, 0xffff
	v_mov_b32_e32 v2, 0x7f800001
	s_mov_b32 s27, exec_lo
	v_and_b32_sdwa v0, v0, v19 dst_sel:DWORD dst_unused:UNUSED_PAD src0_sel:DWORD src1_sel:BYTE_1
	buffer_store_dword v2, off, s[0:3], s32 offset:248 ; 4-byte Folded Spill
	v_and_b32_e32 v1, 0x7f, v0
	v_cmpx_ne_u32_e32 0x7f, v1
	s_cbranch_execz .LBB378_129
; %bb.126:                              ;   in Loop: Header=BB378_16 Depth=1
	v_and_b32_e32 v35, 7, v0
	v_mov_b32_e32 v36, v20
	v_lshrrev_b32_e32 v0, 3, v1
	s_mov_b32 s28, exec_lo
	v_cmpx_gt_u32_e32 8, v1
; %bb.127:                              ;   in Loop: Header=BB378_16 Depth=1
	v_ffbh_u32_e32 v0, v35
	v_min_u32_e32 v0, 32, v0
	v_subrev_nc_u32_e32 v1, 28, v0
	v_sub_nc_u32_e32 v0, 29, v0
	v_lshlrev_b64 v[1:2], v1, v[35:36]
	v_and_b32_e32 v35, 7, v1
; %bb.128:                              ;   in Loop: Header=BB378_16 Depth=1
	s_or_b32 exec_lo, exec_lo, s28
	v_lshlrev_b32_e32 v1, 16, v19
	v_lshlrev_b32_e32 v2, 20, v35
	v_lshl_add_u32 v0, v0, 23, 0x3c000000
	v_and_b32_e32 v1, 0x80000000, v1
	v_or3_b32 v0, v2, v1, v0
	buffer_store_dword v0, off, s[0:3], s32 offset:248 ; 4-byte Folded Spill
.LBB378_129:                            ;   in Loop: Header=BB378_16 Depth=1
	s_or_b32 exec_lo, exec_lo, s27
.LBB378_130:                            ;   in Loop: Header=BB378_16 Depth=1
	s_or_b32 exec_lo, exec_lo, s26
.LBB378_131:                            ;   in Loop: Header=BB378_16 Depth=1
	s_or_b32 exec_lo, exec_lo, s25
	v_mov_b32_e32 v0, 0xff
	v_mov_b32_e32 v1, 0
	s_mov_b32 s25, exec_lo
	v_and_b32_sdwa v0, v34, v0 dst_sel:DWORD dst_unused:UNUSED_PAD src0_sel:WORD_1 src1_sel:DWORD
	buffer_store_dword v1, off, s[0:3], s32 offset:252 ; 4-byte Folded Spill
	v_mov_b32_e32 v1, 0
	buffer_store_dword v1, off, s[0:3], s32 offset:268 ; 4-byte Folded Spill
	v_cmpx_ne_u16_e32 0, v0
	s_cbranch_execz .LBB378_139
; %bb.132:                              ;   in Loop: Header=BB378_16 Depth=1
	v_cmp_ne_u16_e64 s5, 0x80, v0
	v_bfrev_b32_e32 v0, 1
	s_and_saveexec_b32 s26, s5
	s_cbranch_execz .LBB378_138
; %bb.133:                              ;   in Loop: Header=BB378_16 Depth=1
	v_bfe_u32 v1, v34, 16, 7
	v_mov_b32_e32 v0, 0x7f800001
	s_mov_b32 s27, exec_lo
	v_cmpx_ne_u32_e32 0x7f, v1
	s_cbranch_execz .LBB378_137
; %bb.134:                              ;   in Loop: Header=BB378_16 Depth=1
	v_mov_b32_e32 v0, 7
	s_mov_b32 s28, exec_lo
	v_and_b32_sdwa v19, v34, v0 dst_sel:DWORD dst_unused:UNUSED_PAD src0_sel:WORD_1 src1_sel:DWORD
	v_mov_b32_e32 v36, v20
	v_lshrrev_b32_e32 v0, 3, v1
	v_mov_b32_e32 v35, v19
	v_cmpx_gt_u32_e32 8, v1
; %bb.135:                              ;   in Loop: Header=BB378_16 Depth=1
	v_ffbh_u32_e32 v0, v19
	v_min_u32_e32 v0, 32, v0
	v_subrev_nc_u32_e32 v1, 28, v0
	v_sub_nc_u32_e32 v0, 29, v0
	v_lshlrev_b64 v[1:2], v1, v[19:20]
	v_and_b32_e32 v35, 7, v1
; %bb.136:                              ;   in Loop: Header=BB378_16 Depth=1
	s_or_b32 exec_lo, exec_lo, s28
	v_mov_b32_e32 v1, 24
	v_lshlrev_b32_e32 v2, 20, v35
	v_lshl_add_u32 v0, v0, 23, 0x3c000000
	v_lshlrev_b32_sdwa v1, v1, v34 dst_sel:DWORD dst_unused:UNUSED_PAD src0_sel:DWORD src1_sel:WORD_1
	v_and_b32_e32 v1, 0x80000000, v1
	v_or3_b32 v0, v2, v1, v0
.LBB378_137:                            ;   in Loop: Header=BB378_16 Depth=1
	s_or_b32 exec_lo, exec_lo, s27
.LBB378_138:                            ;   in Loop: Header=BB378_16 Depth=1
	s_or_b32 exec_lo, exec_lo, s26
	buffer_store_dword v0, off, s[0:3], s32 offset:268 ; 4-byte Folded Spill
.LBB378_139:                            ;   in Loop: Header=BB378_16 Depth=1
	s_or_b32 exec_lo, exec_lo, s25
	s_mov_b32 s25, exec_lo
	v_cmpx_lt_u64_e64 s[20:21], v[33:34]
	s_cbranch_execz .LBB378_147
; %bb.140:                              ;   in Loop: Header=BB378_16 Depth=1
	v_cmp_ne_u32_sdwa s5, v34, v114 src0_sel:BYTE_3 src1_sel:DWORD
	v_bfrev_b32_e32 v0, 1
	buffer_store_dword v0, off, s[0:3], s32 offset:252 ; 4-byte Folded Spill
	s_and_saveexec_b32 s26, s5
	s_cbranch_execz .LBB378_146
; %bb.141:                              ;   in Loop: Header=BB378_16 Depth=1
	v_bfe_u32 v1, v34, 24, 7
	v_mov_b32_e32 v0, 0x7f800001
	s_mov_b32 s27, exec_lo
	buffer_store_dword v0, off, s[0:3], s32 offset:252 ; 4-byte Folded Spill
	v_cmpx_ne_u32_e32 0x7f, v1
	s_cbranch_execz .LBB378_145
; %bb.142:                              ;   in Loop: Header=BB378_16 Depth=1
	v_mov_b32_e32 v0, 7
	s_mov_b32 s28, exec_lo
	v_and_b32_sdwa v19, v34, v0 dst_sel:DWORD dst_unused:UNUSED_PAD src0_sel:BYTE_3 src1_sel:DWORD
	v_mov_b32_e32 v36, v20
	v_lshrrev_b32_e32 v0, 3, v1
	v_mov_b32_e32 v35, v19
	v_cmpx_gt_u32_e32 8, v1
; %bb.143:                              ;   in Loop: Header=BB378_16 Depth=1
	v_ffbh_u32_e32 v0, v19
	v_min_u32_e32 v0, 32, v0
	v_subrev_nc_u32_e32 v1, 28, v0
	v_sub_nc_u32_e32 v0, 29, v0
	v_lshlrev_b64 v[1:2], v1, v[19:20]
	v_and_b32_e32 v35, 7, v1
; %bb.144:                              ;   in Loop: Header=BB378_16 Depth=1
	s_or_b32 exec_lo, exec_lo, s28
	v_mov_b32_e32 v1, 24
	v_lshlrev_b32_e32 v2, 20, v35
	v_lshl_add_u32 v0, v0, 23, 0x3c000000
	v_lshlrev_b32_sdwa v1, v1, v34 dst_sel:DWORD dst_unused:UNUSED_PAD src0_sel:DWORD src1_sel:BYTE_3
	v_and_b32_e32 v1, 0x80000000, v1
	v_or3_b32 v0, v2, v1, v0
	buffer_store_dword v0, off, s[0:3], s32 offset:252 ; 4-byte Folded Spill
.LBB378_145:                            ;   in Loop: Header=BB378_16 Depth=1
	s_or_b32 exec_lo, exec_lo, s27
.LBB378_146:                            ;   in Loop: Header=BB378_16 Depth=1
	s_or_b32 exec_lo, exec_lo, s26
.LBB378_147:                            ;   in Loop: Header=BB378_16 Depth=1
	s_or_b32 exec_lo, exec_lo, s25
	flat_load_dwordx2 v[33:34], v[31:32] offset:512
	v_mov_b32_e32 v74, 0
	v_mov_b32_e32 v73, 0
	s_waitcnt vmcnt(0) lgkmcnt(0)
	v_cmp_ne_u16_sdwa s5, v33, v20 src0_sel:BYTE_0 src1_sel:DWORD
	s_and_saveexec_b32 s25, s5
	s_cbranch_execz .LBB378_155
; %bb.148:                              ;   in Loop: Header=BB378_16 Depth=1
	v_cmp_ne_u16_sdwa s5, v33, v114 src0_sel:BYTE_0 src1_sel:DWORD
	v_bfrev_b32_e32 v73, 1
	s_and_saveexec_b32 s26, s5
	s_cbranch_execz .LBB378_154
; %bb.149:                              ;   in Loop: Header=BB378_16 Depth=1
	v_and_b32_e32 v1, 0x7f, v33
	v_mov_b32_e32 v73, 0x7f800001
	s_mov_b32 s27, exec_lo
	v_cmpx_ne_u32_e32 0x7f, v1
	s_cbranch_execz .LBB378_153
; %bb.150:                              ;   in Loop: Header=BB378_16 Depth=1
	v_mov_b32_e32 v36, v34
	v_lshrrev_b32_e32 v0, 3, v1
	v_mov_b32_e32 v35, v33
	s_mov_b32 s28, exec_lo
	v_cmpx_gt_u32_e32 8, v1
; %bb.151:                              ;   in Loop: Header=BB378_16 Depth=1
	v_and_b32_e32 v0, 7, v33
	v_ffbh_u32_e32 v0, v0
	v_min_u32_e32 v0, 32, v0
	v_subrev_nc_u32_e32 v1, 28, v0
	v_sub_nc_u32_e32 v0, 29, v0
	v_lshlrev_b64 v[35:36], v1, v[33:34]
; %bb.152:                              ;   in Loop: Header=BB378_16 Depth=1
	s_or_b32 exec_lo, exec_lo, s28
	v_lshlrev_b32_e32 v1, 20, v35
	v_lshlrev_b32_e32 v2, 24, v33
	v_lshl_add_u32 v0, v0, 23, 0x3c000000
	v_and_b32_e32 v1, 0x700000, v1
	v_and_b32_e32 v2, 0x80000000, v2
	v_or3_b32 v73, v1, v2, v0
.LBB378_153:                            ;   in Loop: Header=BB378_16 Depth=1
	s_or_b32 exec_lo, exec_lo, s27
.LBB378_154:                            ;   in Loop: Header=BB378_16 Depth=1
	s_or_b32 exec_lo, exec_lo, s26
.LBB378_155:                            ;   in Loop: Header=BB378_16 Depth=1
	s_or_b32 exec_lo, exec_lo, s25
	v_cmp_ne_u16_sdwa s5, v33, v20 src0_sel:BYTE_1 src1_sel:DWORD
	s_and_saveexec_b32 s25, s5
	s_cbranch_execz .LBB378_163
; %bb.156:                              ;   in Loop: Header=BB378_16 Depth=1
	v_cmp_ne_u16_sdwa s5, v33, v114 src0_sel:BYTE_1 src1_sel:DWORD
	v_bfrev_b32_e32 v74, 1
	s_and_saveexec_b32 s26, s5
	s_cbranch_execz .LBB378_162
; %bb.157:                              ;   in Loop: Header=BB378_16 Depth=1
	v_mov_b32_e32 v0, 0xffff
	v_mov_b32_e32 v74, 0x7f800001
	s_mov_b32 s27, exec_lo
	v_and_b32_sdwa v0, v0, v33 dst_sel:DWORD dst_unused:UNUSED_PAD src0_sel:DWORD src1_sel:BYTE_1
	v_and_b32_e32 v1, 0x7f, v0
	v_cmpx_ne_u32_e32 0x7f, v1
	s_cbranch_execz .LBB378_161
; %bb.158:                              ;   in Loop: Header=BB378_16 Depth=1
	v_and_b32_e32 v19, 7, v0
	v_mov_b32_e32 v36, v20
	v_lshrrev_b32_e32 v0, 3, v1
	s_mov_b32 s28, exec_lo
	v_mov_b32_e32 v35, v19
	v_cmpx_gt_u32_e32 8, v1
; %bb.159:                              ;   in Loop: Header=BB378_16 Depth=1
	v_ffbh_u32_e32 v0, v19
	v_min_u32_e32 v0, 32, v0
	v_subrev_nc_u32_e32 v1, 28, v0
	v_sub_nc_u32_e32 v0, 29, v0
	v_lshlrev_b64 v[1:2], v1, v[19:20]
	v_and_b32_e32 v35, 7, v1
; %bb.160:                              ;   in Loop: Header=BB378_16 Depth=1
	s_or_b32 exec_lo, exec_lo, s28
	v_lshlrev_b32_e32 v1, 16, v33
	v_lshlrev_b32_e32 v2, 20, v35
	v_lshl_add_u32 v0, v0, 23, 0x3c000000
	v_and_b32_e32 v1, 0x80000000, v1
	v_or3_b32 v74, v2, v1, v0
.LBB378_161:                            ;   in Loop: Header=BB378_16 Depth=1
	s_or_b32 exec_lo, exec_lo, s27
.LBB378_162:                            ;   in Loop: Header=BB378_16 Depth=1
	s_or_b32 exec_lo, exec_lo, s26
.LBB378_163:                            ;   in Loop: Header=BB378_16 Depth=1
	s_or_b32 exec_lo, exec_lo, s25
	v_mov_b32_e32 v0, 0xff
	v_mov_b32_e32 v76, 0
	;; [unrolled: 1-line block ×3, first 2 shown]
	s_mov_b32 s25, exec_lo
	v_and_b32_sdwa v0, v33, v0 dst_sel:DWORD dst_unused:UNUSED_PAD src0_sel:WORD_1 src1_sel:DWORD
	v_cmpx_ne_u16_e32 0, v0
	s_cbranch_execz .LBB378_171
; %bb.164:                              ;   in Loop: Header=BB378_16 Depth=1
	v_bfrev_b32_e32 v75, 1
	s_mov_b32 s26, exec_lo
	v_cmpx_ne_u16_e32 0x80, v0
	s_cbranch_execz .LBB378_170
; %bb.165:                              ;   in Loop: Header=BB378_16 Depth=1
	v_bfe_u32 v1, v33, 16, 7
	v_mov_b32_e32 v75, 0x7f800001
	s_mov_b32 s27, exec_lo
	v_cmpx_ne_u32_e32 0x7f, v1
	s_cbranch_execz .LBB378_169
; %bb.166:                              ;   in Loop: Header=BB378_16 Depth=1
	v_mov_b32_e32 v0, 7
	s_mov_b32 s28, exec_lo
	v_and_b32_sdwa v19, v33, v0 dst_sel:DWORD dst_unused:UNUSED_PAD src0_sel:WORD_1 src1_sel:DWORD
	v_mov_b32_e32 v36, v20
	v_lshrrev_b32_e32 v0, 3, v1
	v_mov_b32_e32 v35, v19
	v_cmpx_gt_u32_e32 8, v1
; %bb.167:                              ;   in Loop: Header=BB378_16 Depth=1
	v_ffbh_u32_e32 v0, v19
	v_min_u32_e32 v0, 32, v0
	v_subrev_nc_u32_e32 v1, 28, v0
	v_sub_nc_u32_e32 v0, 29, v0
	v_lshlrev_b64 v[1:2], v1, v[19:20]
	v_and_b32_e32 v35, 7, v1
; %bb.168:                              ;   in Loop: Header=BB378_16 Depth=1
	s_or_b32 exec_lo, exec_lo, s28
	v_mov_b32_e32 v1, 24
	v_lshlrev_b32_e32 v2, 20, v35
	v_lshl_add_u32 v0, v0, 23, 0x3c000000
	v_lshlrev_b32_sdwa v1, v1, v33 dst_sel:DWORD dst_unused:UNUSED_PAD src0_sel:DWORD src1_sel:WORD_1
	v_and_b32_e32 v1, 0x80000000, v1
	v_or3_b32 v75, v2, v1, v0
.LBB378_169:                            ;   in Loop: Header=BB378_16 Depth=1
	s_or_b32 exec_lo, exec_lo, s27
.LBB378_170:                            ;   in Loop: Header=BB378_16 Depth=1
	s_or_b32 exec_lo, exec_lo, s26
.LBB378_171:                            ;   in Loop: Header=BB378_16 Depth=1
	s_or_b32 exec_lo, exec_lo, s25
	s_mov_b32 s25, exec_lo
	v_cmpx_lt_u32_e32 0xffffff, v33
	s_cbranch_execz .LBB378_179
; %bb.172:                              ;   in Loop: Header=BB378_16 Depth=1
	v_cmp_ne_u32_sdwa s5, v33, v114 src0_sel:BYTE_3 src1_sel:DWORD
	v_bfrev_b32_e32 v76, 1
	s_and_saveexec_b32 s26, s5
	s_cbranch_execz .LBB378_178
; %bb.173:                              ;   in Loop: Header=BB378_16 Depth=1
	v_bfe_u32 v1, v33, 24, 7
	v_mov_b32_e32 v76, 0x7f800001
	s_mov_b32 s27, exec_lo
	v_cmpx_ne_u32_e32 0x7f, v1
	s_cbranch_execz .LBB378_177
; %bb.174:                              ;   in Loop: Header=BB378_16 Depth=1
	v_mov_b32_e32 v0, 7
	s_mov_b32 s28, exec_lo
	v_and_b32_sdwa v19, v33, v0 dst_sel:DWORD dst_unused:UNUSED_PAD src0_sel:BYTE_3 src1_sel:DWORD
	v_mov_b32_e32 v36, v20
	v_lshrrev_b32_e32 v0, 3, v1
	v_mov_b32_e32 v35, v19
	v_cmpx_gt_u32_e32 8, v1
; %bb.175:                              ;   in Loop: Header=BB378_16 Depth=1
	v_ffbh_u32_e32 v0, v19
	v_min_u32_e32 v0, 32, v0
	v_subrev_nc_u32_e32 v1, 28, v0
	v_sub_nc_u32_e32 v0, 29, v0
	v_lshlrev_b64 v[1:2], v1, v[19:20]
	v_and_b32_e32 v35, 7, v1
; %bb.176:                              ;   in Loop: Header=BB378_16 Depth=1
	s_or_b32 exec_lo, exec_lo, s28
	v_mov_b32_e32 v1, 24
	v_lshlrev_b32_e32 v2, 20, v35
	v_lshl_add_u32 v0, v0, 23, 0x3c000000
	v_lshlrev_b32_sdwa v1, v1, v33 dst_sel:DWORD dst_unused:UNUSED_PAD src0_sel:DWORD src1_sel:BYTE_3
	v_and_b32_e32 v1, 0x80000000, v1
	v_or3_b32 v76, v2, v1, v0
.LBB378_177:                            ;   in Loop: Header=BB378_16 Depth=1
	s_or_b32 exec_lo, exec_lo, s27
.LBB378_178:                            ;   in Loop: Header=BB378_16 Depth=1
	s_or_b32 exec_lo, exec_lo, s26
.LBB378_179:                            ;   in Loop: Header=BB378_16 Depth=1
	s_or_b32 exec_lo, exec_lo, s25
	v_mov_b32_e32 v19, v34
	v_cmp_ne_u16_sdwa s5, v34, v20 src0_sel:BYTE_0 src1_sel:DWORD
	v_mov_b32_e32 v78, 0
	v_mov_b32_e32 v77, 0
	s_and_saveexec_b32 s25, s5
	s_cbranch_execz .LBB378_187
; %bb.180:                              ;   in Loop: Header=BB378_16 Depth=1
	v_cmp_ne_u16_sdwa s5, v34, v114 src0_sel:BYTE_0 src1_sel:DWORD
	v_bfrev_b32_e32 v77, 1
	s_and_saveexec_b32 s26, s5
	s_cbranch_execz .LBB378_186
; %bb.181:                              ;   in Loop: Header=BB378_16 Depth=1
	v_and_b32_e32 v1, 0x7f, v34
	v_mov_b32_e32 v77, 0x7f800001
	s_mov_b32 s27, exec_lo
	v_cmpx_ne_u32_e32 0x7f, v1
	s_cbranch_execz .LBB378_185
; %bb.182:                              ;   in Loop: Header=BB378_16 Depth=1
	v_mov_b32_e32 v36, v20
	v_lshrrev_b32_e32 v0, 3, v1
	v_mov_b32_e32 v35, v19
	s_mov_b32 s28, exec_lo
	v_cmpx_gt_u32_e32 8, v1
; %bb.183:                              ;   in Loop: Header=BB378_16 Depth=1
	v_and_b32_e32 v0, 7, v34
	v_ffbh_u32_e32 v0, v0
	v_min_u32_e32 v0, 32, v0
	v_subrev_nc_u32_e32 v1, 28, v0
	v_sub_nc_u32_e32 v0, 29, v0
	v_lshlrev_b64 v[35:36], v1, v[19:20]
; %bb.184:                              ;   in Loop: Header=BB378_16 Depth=1
	s_or_b32 exec_lo, exec_lo, s28
	v_lshlrev_b32_e32 v1, 20, v35
	v_lshlrev_b32_e32 v2, 24, v19
	v_lshl_add_u32 v0, v0, 23, 0x3c000000
	v_and_b32_e32 v1, 0x700000, v1
	v_and_b32_e32 v2, 0x80000000, v2
	v_or3_b32 v77, v1, v2, v0
.LBB378_185:                            ;   in Loop: Header=BB378_16 Depth=1
	s_or_b32 exec_lo, exec_lo, s27
.LBB378_186:                            ;   in Loop: Header=BB378_16 Depth=1
	s_or_b32 exec_lo, exec_lo, s26
.LBB378_187:                            ;   in Loop: Header=BB378_16 Depth=1
	s_or_b32 exec_lo, exec_lo, s25
	v_cmp_ne_u16_sdwa s5, v19, v20 src0_sel:BYTE_1 src1_sel:DWORD
	s_and_saveexec_b32 s25, s5
	s_cbranch_execz .LBB378_195
; %bb.188:                              ;   in Loop: Header=BB378_16 Depth=1
	v_cmp_ne_u16_sdwa s5, v19, v114 src0_sel:BYTE_1 src1_sel:DWORD
	v_bfrev_b32_e32 v78, 1
	s_and_saveexec_b32 s26, s5
	s_cbranch_execz .LBB378_194
; %bb.189:                              ;   in Loop: Header=BB378_16 Depth=1
	v_mov_b32_e32 v0, 0xffff
	v_mov_b32_e32 v78, 0x7f800001
	s_mov_b32 s27, exec_lo
	v_and_b32_sdwa v0, v0, v19 dst_sel:DWORD dst_unused:UNUSED_PAD src0_sel:DWORD src1_sel:BYTE_1
	v_and_b32_e32 v1, 0x7f, v0
	v_cmpx_ne_u32_e32 0x7f, v1
	s_cbranch_execz .LBB378_193
; %bb.190:                              ;   in Loop: Header=BB378_16 Depth=1
	v_and_b32_e32 v35, 7, v0
	v_mov_b32_e32 v36, v20
	v_lshrrev_b32_e32 v0, 3, v1
	s_mov_b32 s28, exec_lo
	v_cmpx_gt_u32_e32 8, v1
; %bb.191:                              ;   in Loop: Header=BB378_16 Depth=1
	v_ffbh_u32_e32 v0, v35
	v_min_u32_e32 v0, 32, v0
	v_subrev_nc_u32_e32 v1, 28, v0
	v_sub_nc_u32_e32 v0, 29, v0
	v_lshlrev_b64 v[1:2], v1, v[35:36]
	v_and_b32_e32 v35, 7, v1
; %bb.192:                              ;   in Loop: Header=BB378_16 Depth=1
	s_or_b32 exec_lo, exec_lo, s28
	v_lshlrev_b32_e32 v1, 16, v19
	v_lshlrev_b32_e32 v2, 20, v35
	v_lshl_add_u32 v0, v0, 23, 0x3c000000
	v_and_b32_e32 v1, 0x80000000, v1
	v_or3_b32 v78, v2, v1, v0
.LBB378_193:                            ;   in Loop: Header=BB378_16 Depth=1
	s_or_b32 exec_lo, exec_lo, s27
.LBB378_194:                            ;   in Loop: Header=BB378_16 Depth=1
	s_or_b32 exec_lo, exec_lo, s26
.LBB378_195:                            ;   in Loop: Header=BB378_16 Depth=1
	s_or_b32 exec_lo, exec_lo, s25
	v_mov_b32_e32 v0, 0xff
	v_mov_b32_e32 v79, 0
	;; [unrolled: 1-line block ×3, first 2 shown]
	s_mov_b32 s25, exec_lo
	v_and_b32_sdwa v0, v34, v0 dst_sel:DWORD dst_unused:UNUSED_PAD src0_sel:WORD_1 src1_sel:DWORD
	v_cmpx_ne_u16_e32 0, v0
	s_cbranch_execz .LBB378_203
; %bb.196:                              ;   in Loop: Header=BB378_16 Depth=1
	v_bfrev_b32_e32 v88, 1
	s_mov_b32 s26, exec_lo
	v_cmpx_ne_u16_e32 0x80, v0
	s_cbranch_execz .LBB378_202
; %bb.197:                              ;   in Loop: Header=BB378_16 Depth=1
	v_bfe_u32 v1, v34, 16, 7
	v_mov_b32_e32 v88, 0x7f800001
	s_mov_b32 s27, exec_lo
	v_cmpx_ne_u32_e32 0x7f, v1
	s_cbranch_execz .LBB378_201
; %bb.198:                              ;   in Loop: Header=BB378_16 Depth=1
	v_mov_b32_e32 v0, 7
	s_mov_b32 s28, exec_lo
	v_and_b32_sdwa v19, v34, v0 dst_sel:DWORD dst_unused:UNUSED_PAD src0_sel:WORD_1 src1_sel:DWORD
	v_mov_b32_e32 v36, v20
	v_lshrrev_b32_e32 v0, 3, v1
	v_mov_b32_e32 v35, v19
	v_cmpx_gt_u32_e32 8, v1
; %bb.199:                              ;   in Loop: Header=BB378_16 Depth=1
	v_ffbh_u32_e32 v0, v19
	v_min_u32_e32 v0, 32, v0
	v_subrev_nc_u32_e32 v1, 28, v0
	v_sub_nc_u32_e32 v0, 29, v0
	v_lshlrev_b64 v[1:2], v1, v[19:20]
	v_and_b32_e32 v35, 7, v1
; %bb.200:                              ;   in Loop: Header=BB378_16 Depth=1
	s_or_b32 exec_lo, exec_lo, s28
	v_mov_b32_e32 v1, 24
	v_lshlrev_b32_e32 v2, 20, v35
	v_lshl_add_u32 v0, v0, 23, 0x3c000000
	v_lshlrev_b32_sdwa v1, v1, v34 dst_sel:DWORD dst_unused:UNUSED_PAD src0_sel:DWORD src1_sel:WORD_1
	v_and_b32_e32 v1, 0x80000000, v1
	v_or3_b32 v88, v2, v1, v0
.LBB378_201:                            ;   in Loop: Header=BB378_16 Depth=1
	s_or_b32 exec_lo, exec_lo, s27
.LBB378_202:                            ;   in Loop: Header=BB378_16 Depth=1
	s_or_b32 exec_lo, exec_lo, s26
.LBB378_203:                            ;   in Loop: Header=BB378_16 Depth=1
	s_or_b32 exec_lo, exec_lo, s25
	s_mov_b32 s25, exec_lo
	v_cmpx_lt_u64_e64 s[20:21], v[33:34]
	s_cbranch_execz .LBB378_211
; %bb.204:                              ;   in Loop: Header=BB378_16 Depth=1
	v_cmp_ne_u32_sdwa s5, v34, v114 src0_sel:BYTE_3 src1_sel:DWORD
	v_bfrev_b32_e32 v79, 1
	s_and_saveexec_b32 s26, s5
	s_cbranch_execz .LBB378_210
; %bb.205:                              ;   in Loop: Header=BB378_16 Depth=1
	v_bfe_u32 v1, v34, 24, 7
	v_mov_b32_e32 v79, 0x7f800001
	s_mov_b32 s27, exec_lo
	v_cmpx_ne_u32_e32 0x7f, v1
	s_cbranch_execz .LBB378_209
; %bb.206:                              ;   in Loop: Header=BB378_16 Depth=1
	v_mov_b32_e32 v0, 7
	s_mov_b32 s28, exec_lo
	v_and_b32_sdwa v19, v34, v0 dst_sel:DWORD dst_unused:UNUSED_PAD src0_sel:BYTE_3 src1_sel:DWORD
	v_mov_b32_e32 v36, v20
	v_lshrrev_b32_e32 v0, 3, v1
	v_mov_b32_e32 v35, v19
	v_cmpx_gt_u32_e32 8, v1
; %bb.207:                              ;   in Loop: Header=BB378_16 Depth=1
	v_ffbh_u32_e32 v0, v19
	v_min_u32_e32 v0, 32, v0
	v_subrev_nc_u32_e32 v1, 28, v0
	v_sub_nc_u32_e32 v0, 29, v0
	v_lshlrev_b64 v[1:2], v1, v[19:20]
	v_and_b32_e32 v35, 7, v1
; %bb.208:                              ;   in Loop: Header=BB378_16 Depth=1
	s_or_b32 exec_lo, exec_lo, s28
	v_mov_b32_e32 v1, 24
	v_lshlrev_b32_e32 v2, 20, v35
	v_lshl_add_u32 v0, v0, 23, 0x3c000000
	v_lshlrev_b32_sdwa v1, v1, v34 dst_sel:DWORD dst_unused:UNUSED_PAD src0_sel:DWORD src1_sel:BYTE_3
	v_and_b32_e32 v1, 0x80000000, v1
	v_or3_b32 v79, v2, v1, v0
.LBB378_209:                            ;   in Loop: Header=BB378_16 Depth=1
	s_or_b32 exec_lo, exec_lo, s27
.LBB378_210:                            ;   in Loop: Header=BB378_16 Depth=1
	s_or_b32 exec_lo, exec_lo, s26
.LBB378_211:                            ;   in Loop: Header=BB378_16 Depth=1
	s_or_b32 exec_lo, exec_lo, s25
	flat_load_dwordx2 v[33:34], v[31:32] offset:520
	v_mov_b32_e32 v90, 0
	v_mov_b32_e32 v89, 0
	s_waitcnt vmcnt(0) lgkmcnt(0)
	v_cmp_ne_u16_sdwa s5, v33, v20 src0_sel:BYTE_0 src1_sel:DWORD
	s_and_saveexec_b32 s25, s5
	s_cbranch_execz .LBB378_219
; %bb.212:                              ;   in Loop: Header=BB378_16 Depth=1
	v_cmp_ne_u16_sdwa s5, v33, v114 src0_sel:BYTE_0 src1_sel:DWORD
	v_bfrev_b32_e32 v89, 1
	s_and_saveexec_b32 s26, s5
	s_cbranch_execz .LBB378_218
; %bb.213:                              ;   in Loop: Header=BB378_16 Depth=1
	v_and_b32_e32 v1, 0x7f, v33
	v_mov_b32_e32 v89, 0x7f800001
	s_mov_b32 s27, exec_lo
	v_cmpx_ne_u32_e32 0x7f, v1
	s_cbranch_execz .LBB378_217
; %bb.214:                              ;   in Loop: Header=BB378_16 Depth=1
	v_mov_b32_e32 v36, v34
	v_lshrrev_b32_e32 v0, 3, v1
	v_mov_b32_e32 v35, v33
	s_mov_b32 s28, exec_lo
	v_cmpx_gt_u32_e32 8, v1
; %bb.215:                              ;   in Loop: Header=BB378_16 Depth=1
	v_and_b32_e32 v0, 7, v33
	v_ffbh_u32_e32 v0, v0
	v_min_u32_e32 v0, 32, v0
	v_subrev_nc_u32_e32 v1, 28, v0
	v_sub_nc_u32_e32 v0, 29, v0
	v_lshlrev_b64 v[35:36], v1, v[33:34]
; %bb.216:                              ;   in Loop: Header=BB378_16 Depth=1
	s_or_b32 exec_lo, exec_lo, s28
	v_lshlrev_b32_e32 v1, 20, v35
	v_lshlrev_b32_e32 v2, 24, v33
	v_lshl_add_u32 v0, v0, 23, 0x3c000000
	v_and_b32_e32 v1, 0x700000, v1
	v_and_b32_e32 v2, 0x80000000, v2
	v_or3_b32 v89, v1, v2, v0
.LBB378_217:                            ;   in Loop: Header=BB378_16 Depth=1
	s_or_b32 exec_lo, exec_lo, s27
.LBB378_218:                            ;   in Loop: Header=BB378_16 Depth=1
	s_or_b32 exec_lo, exec_lo, s26
.LBB378_219:                            ;   in Loop: Header=BB378_16 Depth=1
	s_or_b32 exec_lo, exec_lo, s25
	v_cmp_ne_u16_sdwa s5, v33, v20 src0_sel:BYTE_1 src1_sel:DWORD
	s_and_saveexec_b32 s25, s5
	s_cbranch_execz .LBB378_227
; %bb.220:                              ;   in Loop: Header=BB378_16 Depth=1
	v_cmp_ne_u16_sdwa s5, v33, v114 src0_sel:BYTE_1 src1_sel:DWORD
	v_bfrev_b32_e32 v90, 1
	s_and_saveexec_b32 s26, s5
	s_cbranch_execz .LBB378_226
; %bb.221:                              ;   in Loop: Header=BB378_16 Depth=1
	v_mov_b32_e32 v0, 0xffff
	v_mov_b32_e32 v90, 0x7f800001
	s_mov_b32 s27, exec_lo
	v_and_b32_sdwa v0, v0, v33 dst_sel:DWORD dst_unused:UNUSED_PAD src0_sel:DWORD src1_sel:BYTE_1
	v_and_b32_e32 v1, 0x7f, v0
	v_cmpx_ne_u32_e32 0x7f, v1
	s_cbranch_execz .LBB378_225
; %bb.222:                              ;   in Loop: Header=BB378_16 Depth=1
	v_and_b32_e32 v19, 7, v0
	v_mov_b32_e32 v36, v20
	v_lshrrev_b32_e32 v0, 3, v1
	s_mov_b32 s28, exec_lo
	v_mov_b32_e32 v35, v19
	v_cmpx_gt_u32_e32 8, v1
; %bb.223:                              ;   in Loop: Header=BB378_16 Depth=1
	v_ffbh_u32_e32 v0, v19
	v_min_u32_e32 v0, 32, v0
	v_subrev_nc_u32_e32 v1, 28, v0
	v_sub_nc_u32_e32 v0, 29, v0
	v_lshlrev_b64 v[1:2], v1, v[19:20]
	v_and_b32_e32 v35, 7, v1
; %bb.224:                              ;   in Loop: Header=BB378_16 Depth=1
	s_or_b32 exec_lo, exec_lo, s28
	v_lshlrev_b32_e32 v1, 16, v33
	v_lshlrev_b32_e32 v2, 20, v35
	v_lshl_add_u32 v0, v0, 23, 0x3c000000
	v_and_b32_e32 v1, 0x80000000, v1
	v_or3_b32 v90, v2, v1, v0
.LBB378_225:                            ;   in Loop: Header=BB378_16 Depth=1
	s_or_b32 exec_lo, exec_lo, s27
.LBB378_226:                            ;   in Loop: Header=BB378_16 Depth=1
	s_or_b32 exec_lo, exec_lo, s26
.LBB378_227:                            ;   in Loop: Header=BB378_16 Depth=1
	s_or_b32 exec_lo, exec_lo, s25
	v_mov_b32_e32 v0, 0xff
	v_mov_b32_e32 v92, 0
	v_mov_b32_e32 v91, 0
	s_mov_b32 s25, exec_lo
	v_and_b32_sdwa v0, v33, v0 dst_sel:DWORD dst_unused:UNUSED_PAD src0_sel:WORD_1 src1_sel:DWORD
	v_cmpx_ne_u16_e32 0, v0
	s_cbranch_execz .LBB378_235
; %bb.228:                              ;   in Loop: Header=BB378_16 Depth=1
	v_bfrev_b32_e32 v91, 1
	s_mov_b32 s26, exec_lo
	v_cmpx_ne_u16_e32 0x80, v0
	s_cbranch_execz .LBB378_234
; %bb.229:                              ;   in Loop: Header=BB378_16 Depth=1
	v_bfe_u32 v1, v33, 16, 7
	v_mov_b32_e32 v91, 0x7f800001
	s_mov_b32 s27, exec_lo
	v_cmpx_ne_u32_e32 0x7f, v1
	s_cbranch_execz .LBB378_233
; %bb.230:                              ;   in Loop: Header=BB378_16 Depth=1
	v_mov_b32_e32 v0, 7
	s_mov_b32 s28, exec_lo
	v_and_b32_sdwa v19, v33, v0 dst_sel:DWORD dst_unused:UNUSED_PAD src0_sel:WORD_1 src1_sel:DWORD
	v_mov_b32_e32 v36, v20
	v_lshrrev_b32_e32 v0, 3, v1
	v_mov_b32_e32 v35, v19
	v_cmpx_gt_u32_e32 8, v1
; %bb.231:                              ;   in Loop: Header=BB378_16 Depth=1
	v_ffbh_u32_e32 v0, v19
	v_min_u32_e32 v0, 32, v0
	v_subrev_nc_u32_e32 v1, 28, v0
	v_sub_nc_u32_e32 v0, 29, v0
	v_lshlrev_b64 v[1:2], v1, v[19:20]
	v_and_b32_e32 v35, 7, v1
; %bb.232:                              ;   in Loop: Header=BB378_16 Depth=1
	s_or_b32 exec_lo, exec_lo, s28
	v_mov_b32_e32 v1, 24
	v_lshlrev_b32_e32 v2, 20, v35
	v_lshl_add_u32 v0, v0, 23, 0x3c000000
	v_lshlrev_b32_sdwa v1, v1, v33 dst_sel:DWORD dst_unused:UNUSED_PAD src0_sel:DWORD src1_sel:WORD_1
	v_and_b32_e32 v1, 0x80000000, v1
	v_or3_b32 v91, v2, v1, v0
.LBB378_233:                            ;   in Loop: Header=BB378_16 Depth=1
	s_or_b32 exec_lo, exec_lo, s27
.LBB378_234:                            ;   in Loop: Header=BB378_16 Depth=1
	s_or_b32 exec_lo, exec_lo, s26
.LBB378_235:                            ;   in Loop: Header=BB378_16 Depth=1
	s_or_b32 exec_lo, exec_lo, s25
	s_mov_b32 s25, exec_lo
	v_cmpx_lt_u32_e32 0xffffff, v33
	s_cbranch_execz .LBB378_243
; %bb.236:                              ;   in Loop: Header=BB378_16 Depth=1
	v_cmp_ne_u32_sdwa s5, v33, v114 src0_sel:BYTE_3 src1_sel:DWORD
	v_bfrev_b32_e32 v92, 1
	s_and_saveexec_b32 s26, s5
	s_cbranch_execz .LBB378_242
; %bb.237:                              ;   in Loop: Header=BB378_16 Depth=1
	v_bfe_u32 v1, v33, 24, 7
	v_mov_b32_e32 v92, 0x7f800001
	s_mov_b32 s27, exec_lo
	v_cmpx_ne_u32_e32 0x7f, v1
	s_cbranch_execz .LBB378_241
; %bb.238:                              ;   in Loop: Header=BB378_16 Depth=1
	v_mov_b32_e32 v0, 7
	s_mov_b32 s28, exec_lo
	v_and_b32_sdwa v19, v33, v0 dst_sel:DWORD dst_unused:UNUSED_PAD src0_sel:BYTE_3 src1_sel:DWORD
	v_mov_b32_e32 v36, v20
	v_lshrrev_b32_e32 v0, 3, v1
	v_mov_b32_e32 v35, v19
	v_cmpx_gt_u32_e32 8, v1
; %bb.239:                              ;   in Loop: Header=BB378_16 Depth=1
	v_ffbh_u32_e32 v0, v19
	v_min_u32_e32 v0, 32, v0
	v_subrev_nc_u32_e32 v1, 28, v0
	v_sub_nc_u32_e32 v0, 29, v0
	v_lshlrev_b64 v[1:2], v1, v[19:20]
	v_and_b32_e32 v35, 7, v1
; %bb.240:                              ;   in Loop: Header=BB378_16 Depth=1
	s_or_b32 exec_lo, exec_lo, s28
	v_mov_b32_e32 v1, 24
	v_lshlrev_b32_e32 v2, 20, v35
	v_lshl_add_u32 v0, v0, 23, 0x3c000000
	v_lshlrev_b32_sdwa v1, v1, v33 dst_sel:DWORD dst_unused:UNUSED_PAD src0_sel:DWORD src1_sel:BYTE_3
	v_and_b32_e32 v1, 0x80000000, v1
	v_or3_b32 v92, v2, v1, v0
.LBB378_241:                            ;   in Loop: Header=BB378_16 Depth=1
	s_or_b32 exec_lo, exec_lo, s27
.LBB378_242:                            ;   in Loop: Header=BB378_16 Depth=1
	s_or_b32 exec_lo, exec_lo, s26
.LBB378_243:                            ;   in Loop: Header=BB378_16 Depth=1
	s_or_b32 exec_lo, exec_lo, s25
	v_mov_b32_e32 v19, v34
	v_cmp_ne_u16_sdwa s5, v34, v20 src0_sel:BYTE_0 src1_sel:DWORD
	v_mov_b32_e32 v94, 0
	v_mov_b32_e32 v93, 0
	s_and_saveexec_b32 s25, s5
	s_cbranch_execz .LBB378_251
; %bb.244:                              ;   in Loop: Header=BB378_16 Depth=1
	v_cmp_ne_u16_sdwa s5, v34, v114 src0_sel:BYTE_0 src1_sel:DWORD
	v_bfrev_b32_e32 v93, 1
	s_and_saveexec_b32 s26, s5
	s_cbranch_execz .LBB378_250
; %bb.245:                              ;   in Loop: Header=BB378_16 Depth=1
	v_and_b32_e32 v1, 0x7f, v34
	v_mov_b32_e32 v93, 0x7f800001
	s_mov_b32 s27, exec_lo
	v_cmpx_ne_u32_e32 0x7f, v1
	s_cbranch_execz .LBB378_249
; %bb.246:                              ;   in Loop: Header=BB378_16 Depth=1
	v_mov_b32_e32 v36, v20
	v_lshrrev_b32_e32 v0, 3, v1
	v_mov_b32_e32 v35, v19
	s_mov_b32 s28, exec_lo
	v_cmpx_gt_u32_e32 8, v1
; %bb.247:                              ;   in Loop: Header=BB378_16 Depth=1
	v_and_b32_e32 v0, 7, v34
	v_ffbh_u32_e32 v0, v0
	v_min_u32_e32 v0, 32, v0
	v_subrev_nc_u32_e32 v1, 28, v0
	v_sub_nc_u32_e32 v0, 29, v0
	v_lshlrev_b64 v[35:36], v1, v[19:20]
; %bb.248:                              ;   in Loop: Header=BB378_16 Depth=1
	s_or_b32 exec_lo, exec_lo, s28
	v_lshlrev_b32_e32 v1, 20, v35
	v_lshlrev_b32_e32 v2, 24, v19
	v_lshl_add_u32 v0, v0, 23, 0x3c000000
	v_and_b32_e32 v1, 0x700000, v1
	v_and_b32_e32 v2, 0x80000000, v2
	v_or3_b32 v93, v1, v2, v0
.LBB378_249:                            ;   in Loop: Header=BB378_16 Depth=1
	s_or_b32 exec_lo, exec_lo, s27
.LBB378_250:                            ;   in Loop: Header=BB378_16 Depth=1
	s_or_b32 exec_lo, exec_lo, s26
.LBB378_251:                            ;   in Loop: Header=BB378_16 Depth=1
	s_or_b32 exec_lo, exec_lo, s25
	v_cmp_ne_u16_sdwa s5, v19, v20 src0_sel:BYTE_1 src1_sel:DWORD
	s_and_saveexec_b32 s25, s5
	s_cbranch_execz .LBB378_259
; %bb.252:                              ;   in Loop: Header=BB378_16 Depth=1
	v_cmp_ne_u16_sdwa s5, v19, v114 src0_sel:BYTE_1 src1_sel:DWORD
	v_bfrev_b32_e32 v94, 1
	s_and_saveexec_b32 s26, s5
	s_cbranch_execz .LBB378_258
; %bb.253:                              ;   in Loop: Header=BB378_16 Depth=1
	v_mov_b32_e32 v0, 0xffff
	v_mov_b32_e32 v94, 0x7f800001
	s_mov_b32 s27, exec_lo
	v_and_b32_sdwa v0, v0, v19 dst_sel:DWORD dst_unused:UNUSED_PAD src0_sel:DWORD src1_sel:BYTE_1
	v_and_b32_e32 v1, 0x7f, v0
	v_cmpx_ne_u32_e32 0x7f, v1
	s_cbranch_execz .LBB378_257
; %bb.254:                              ;   in Loop: Header=BB378_16 Depth=1
	v_and_b32_e32 v35, 7, v0
	v_mov_b32_e32 v36, v20
	v_lshrrev_b32_e32 v0, 3, v1
	s_mov_b32 s28, exec_lo
	v_cmpx_gt_u32_e32 8, v1
; %bb.255:                              ;   in Loop: Header=BB378_16 Depth=1
	v_ffbh_u32_e32 v0, v35
	v_min_u32_e32 v0, 32, v0
	v_subrev_nc_u32_e32 v1, 28, v0
	v_sub_nc_u32_e32 v0, 29, v0
	v_lshlrev_b64 v[1:2], v1, v[35:36]
	v_and_b32_e32 v35, 7, v1
; %bb.256:                              ;   in Loop: Header=BB378_16 Depth=1
	s_or_b32 exec_lo, exec_lo, s28
	v_lshlrev_b32_e32 v1, 16, v19
	v_lshlrev_b32_e32 v2, 20, v35
	v_lshl_add_u32 v0, v0, 23, 0x3c000000
	v_and_b32_e32 v1, 0x80000000, v1
	v_or3_b32 v94, v2, v1, v0
.LBB378_257:                            ;   in Loop: Header=BB378_16 Depth=1
	s_or_b32 exec_lo, exec_lo, s27
.LBB378_258:                            ;   in Loop: Header=BB378_16 Depth=1
	s_or_b32 exec_lo, exec_lo, s26
.LBB378_259:                            ;   in Loop: Header=BB378_16 Depth=1
	s_or_b32 exec_lo, exec_lo, s25
	v_mov_b32_e32 v0, 0xff
	v_mov_b32_e32 v95, 0
	;; [unrolled: 1-line block ×3, first 2 shown]
	s_mov_b32 s25, exec_lo
	v_and_b32_sdwa v0, v34, v0 dst_sel:DWORD dst_unused:UNUSED_PAD src0_sel:WORD_1 src1_sel:DWORD
	v_cmpx_ne_u16_e32 0, v0
	s_cbranch_execz .LBB378_267
; %bb.260:                              ;   in Loop: Header=BB378_16 Depth=1
	v_bfrev_b32_e32 v104, 1
	s_mov_b32 s26, exec_lo
	v_cmpx_ne_u16_e32 0x80, v0
	s_cbranch_execz .LBB378_266
; %bb.261:                              ;   in Loop: Header=BB378_16 Depth=1
	v_bfe_u32 v1, v34, 16, 7
	v_mov_b32_e32 v104, 0x7f800001
	s_mov_b32 s27, exec_lo
	v_cmpx_ne_u32_e32 0x7f, v1
	s_cbranch_execz .LBB378_265
; %bb.262:                              ;   in Loop: Header=BB378_16 Depth=1
	v_mov_b32_e32 v0, 7
	s_mov_b32 s28, exec_lo
	v_and_b32_sdwa v19, v34, v0 dst_sel:DWORD dst_unused:UNUSED_PAD src0_sel:WORD_1 src1_sel:DWORD
	v_mov_b32_e32 v36, v20
	v_lshrrev_b32_e32 v0, 3, v1
	v_mov_b32_e32 v35, v19
	v_cmpx_gt_u32_e32 8, v1
; %bb.263:                              ;   in Loop: Header=BB378_16 Depth=1
	v_ffbh_u32_e32 v0, v19
	v_min_u32_e32 v0, 32, v0
	v_subrev_nc_u32_e32 v1, 28, v0
	v_sub_nc_u32_e32 v0, 29, v0
	v_lshlrev_b64 v[1:2], v1, v[19:20]
	v_and_b32_e32 v35, 7, v1
; %bb.264:                              ;   in Loop: Header=BB378_16 Depth=1
	s_or_b32 exec_lo, exec_lo, s28
	v_mov_b32_e32 v1, 24
	v_lshlrev_b32_e32 v2, 20, v35
	v_lshl_add_u32 v0, v0, 23, 0x3c000000
	v_lshlrev_b32_sdwa v1, v1, v34 dst_sel:DWORD dst_unused:UNUSED_PAD src0_sel:DWORD src1_sel:WORD_1
	v_and_b32_e32 v1, 0x80000000, v1
	v_or3_b32 v104, v2, v1, v0
.LBB378_265:                            ;   in Loop: Header=BB378_16 Depth=1
	s_or_b32 exec_lo, exec_lo, s27
.LBB378_266:                            ;   in Loop: Header=BB378_16 Depth=1
	s_or_b32 exec_lo, exec_lo, s26
.LBB378_267:                            ;   in Loop: Header=BB378_16 Depth=1
	s_or_b32 exec_lo, exec_lo, s25
	s_mov_b32 s25, exec_lo
	v_cmpx_lt_u64_e64 s[20:21], v[33:34]
	s_cbranch_execz .LBB378_275
; %bb.268:                              ;   in Loop: Header=BB378_16 Depth=1
	v_cmp_ne_u32_sdwa s5, v34, v114 src0_sel:BYTE_3 src1_sel:DWORD
	v_bfrev_b32_e32 v95, 1
	s_and_saveexec_b32 s26, s5
	s_cbranch_execz .LBB378_274
; %bb.269:                              ;   in Loop: Header=BB378_16 Depth=1
	v_bfe_u32 v1, v34, 24, 7
	v_mov_b32_e32 v95, 0x7f800001
	s_mov_b32 s27, exec_lo
	v_cmpx_ne_u32_e32 0x7f, v1
	s_cbranch_execz .LBB378_273
; %bb.270:                              ;   in Loop: Header=BB378_16 Depth=1
	v_mov_b32_e32 v0, 7
	s_mov_b32 s28, exec_lo
	v_and_b32_sdwa v19, v34, v0 dst_sel:DWORD dst_unused:UNUSED_PAD src0_sel:BYTE_3 src1_sel:DWORD
	v_mov_b32_e32 v36, v20
	v_lshrrev_b32_e32 v0, 3, v1
	v_mov_b32_e32 v35, v19
	v_cmpx_gt_u32_e32 8, v1
; %bb.271:                              ;   in Loop: Header=BB378_16 Depth=1
	v_ffbh_u32_e32 v0, v19
	v_min_u32_e32 v0, 32, v0
	v_subrev_nc_u32_e32 v1, 28, v0
	v_sub_nc_u32_e32 v0, 29, v0
	v_lshlrev_b64 v[1:2], v1, v[19:20]
	v_and_b32_e32 v35, 7, v1
; %bb.272:                              ;   in Loop: Header=BB378_16 Depth=1
	s_or_b32 exec_lo, exec_lo, s28
	v_mov_b32_e32 v1, 24
	v_lshlrev_b32_e32 v2, 20, v35
	v_lshl_add_u32 v0, v0, 23, 0x3c000000
	v_lshlrev_b32_sdwa v1, v1, v34 dst_sel:DWORD dst_unused:UNUSED_PAD src0_sel:DWORD src1_sel:BYTE_3
	v_and_b32_e32 v1, 0x80000000, v1
	v_or3_b32 v95, v2, v1, v0
.LBB378_273:                            ;   in Loop: Header=BB378_16 Depth=1
	s_or_b32 exec_lo, exec_lo, s27
.LBB378_274:                            ;   in Loop: Header=BB378_16 Depth=1
	s_or_b32 exec_lo, exec_lo, s26
.LBB378_275:                            ;   in Loop: Header=BB378_16 Depth=1
	s_or_b32 exec_lo, exec_lo, s25
	flat_load_dwordx2 v[33:34], v[31:32] offset:1024
	v_mov_b32_e32 v106, 0
	v_mov_b32_e32 v105, 0
	s_waitcnt vmcnt(0) lgkmcnt(0)
	v_cmp_ne_u16_sdwa s5, v33, v20 src0_sel:BYTE_0 src1_sel:DWORD
	s_and_saveexec_b32 s25, s5
	s_cbranch_execz .LBB378_283
; %bb.276:                              ;   in Loop: Header=BB378_16 Depth=1
	v_cmp_ne_u16_sdwa s5, v33, v114 src0_sel:BYTE_0 src1_sel:DWORD
	v_bfrev_b32_e32 v105, 1
	s_and_saveexec_b32 s26, s5
	s_cbranch_execz .LBB378_282
; %bb.277:                              ;   in Loop: Header=BB378_16 Depth=1
	v_and_b32_e32 v1, 0x7f, v33
	v_mov_b32_e32 v105, 0x7f800001
	s_mov_b32 s27, exec_lo
	v_cmpx_ne_u32_e32 0x7f, v1
	s_cbranch_execz .LBB378_281
; %bb.278:                              ;   in Loop: Header=BB378_16 Depth=1
	v_mov_b32_e32 v36, v34
	v_lshrrev_b32_e32 v0, 3, v1
	v_mov_b32_e32 v35, v33
	s_mov_b32 s28, exec_lo
	v_cmpx_gt_u32_e32 8, v1
; %bb.279:                              ;   in Loop: Header=BB378_16 Depth=1
	v_and_b32_e32 v0, 7, v33
	v_ffbh_u32_e32 v0, v0
	v_min_u32_e32 v0, 32, v0
	v_subrev_nc_u32_e32 v1, 28, v0
	v_sub_nc_u32_e32 v0, 29, v0
	v_lshlrev_b64 v[35:36], v1, v[33:34]
; %bb.280:                              ;   in Loop: Header=BB378_16 Depth=1
	s_or_b32 exec_lo, exec_lo, s28
	v_lshlrev_b32_e32 v1, 20, v35
	v_lshlrev_b32_e32 v2, 24, v33
	v_lshl_add_u32 v0, v0, 23, 0x3c000000
	v_and_b32_e32 v1, 0x700000, v1
	v_and_b32_e32 v2, 0x80000000, v2
	v_or3_b32 v105, v1, v2, v0
.LBB378_281:                            ;   in Loop: Header=BB378_16 Depth=1
	s_or_b32 exec_lo, exec_lo, s27
.LBB378_282:                            ;   in Loop: Header=BB378_16 Depth=1
	s_or_b32 exec_lo, exec_lo, s26
.LBB378_283:                            ;   in Loop: Header=BB378_16 Depth=1
	s_or_b32 exec_lo, exec_lo, s25
	v_cmp_ne_u16_sdwa s5, v33, v20 src0_sel:BYTE_1 src1_sel:DWORD
	s_and_saveexec_b32 s25, s5
	s_cbranch_execz .LBB378_291
; %bb.284:                              ;   in Loop: Header=BB378_16 Depth=1
	v_cmp_ne_u16_sdwa s5, v33, v114 src0_sel:BYTE_1 src1_sel:DWORD
	v_bfrev_b32_e32 v106, 1
	s_and_saveexec_b32 s26, s5
	s_cbranch_execz .LBB378_290
; %bb.285:                              ;   in Loop: Header=BB378_16 Depth=1
	v_mov_b32_e32 v0, 0xffff
	v_mov_b32_e32 v106, 0x7f800001
	s_mov_b32 s27, exec_lo
	v_and_b32_sdwa v0, v0, v33 dst_sel:DWORD dst_unused:UNUSED_PAD src0_sel:DWORD src1_sel:BYTE_1
	v_and_b32_e32 v1, 0x7f, v0
	v_cmpx_ne_u32_e32 0x7f, v1
	s_cbranch_execz .LBB378_289
; %bb.286:                              ;   in Loop: Header=BB378_16 Depth=1
	v_and_b32_e32 v19, 7, v0
	v_mov_b32_e32 v36, v20
	v_lshrrev_b32_e32 v0, 3, v1
	s_mov_b32 s28, exec_lo
	v_mov_b32_e32 v35, v19
	v_cmpx_gt_u32_e32 8, v1
; %bb.287:                              ;   in Loop: Header=BB378_16 Depth=1
	v_ffbh_u32_e32 v0, v19
	v_min_u32_e32 v0, 32, v0
	v_subrev_nc_u32_e32 v1, 28, v0
	v_sub_nc_u32_e32 v0, 29, v0
	v_lshlrev_b64 v[1:2], v1, v[19:20]
	v_and_b32_e32 v35, 7, v1
; %bb.288:                              ;   in Loop: Header=BB378_16 Depth=1
	s_or_b32 exec_lo, exec_lo, s28
	v_lshlrev_b32_e32 v1, 16, v33
	v_lshlrev_b32_e32 v2, 20, v35
	v_lshl_add_u32 v0, v0, 23, 0x3c000000
	v_and_b32_e32 v1, 0x80000000, v1
	v_or3_b32 v106, v2, v1, v0
.LBB378_289:                            ;   in Loop: Header=BB378_16 Depth=1
	s_or_b32 exec_lo, exec_lo, s27
.LBB378_290:                            ;   in Loop: Header=BB378_16 Depth=1
	s_or_b32 exec_lo, exec_lo, s26
.LBB378_291:                            ;   in Loop: Header=BB378_16 Depth=1
	s_or_b32 exec_lo, exec_lo, s25
	v_mov_b32_e32 v0, 0xff
	v_mov_b32_e32 v108, 0
	v_mov_b32_e32 v107, 0
	s_mov_b32 s25, exec_lo
	v_and_b32_sdwa v0, v33, v0 dst_sel:DWORD dst_unused:UNUSED_PAD src0_sel:WORD_1 src1_sel:DWORD
	v_cmpx_ne_u16_e32 0, v0
	s_cbranch_execz .LBB378_299
; %bb.292:                              ;   in Loop: Header=BB378_16 Depth=1
	v_bfrev_b32_e32 v107, 1
	s_mov_b32 s26, exec_lo
	v_cmpx_ne_u16_e32 0x80, v0
	s_cbranch_execz .LBB378_298
; %bb.293:                              ;   in Loop: Header=BB378_16 Depth=1
	v_bfe_u32 v1, v33, 16, 7
	v_mov_b32_e32 v107, 0x7f800001
	s_mov_b32 s27, exec_lo
	v_cmpx_ne_u32_e32 0x7f, v1
	s_cbranch_execz .LBB378_297
; %bb.294:                              ;   in Loop: Header=BB378_16 Depth=1
	v_mov_b32_e32 v0, 7
	s_mov_b32 s28, exec_lo
	v_and_b32_sdwa v19, v33, v0 dst_sel:DWORD dst_unused:UNUSED_PAD src0_sel:WORD_1 src1_sel:DWORD
	v_mov_b32_e32 v36, v20
	v_lshrrev_b32_e32 v0, 3, v1
	v_mov_b32_e32 v35, v19
	v_cmpx_gt_u32_e32 8, v1
; %bb.295:                              ;   in Loop: Header=BB378_16 Depth=1
	v_ffbh_u32_e32 v0, v19
	v_min_u32_e32 v0, 32, v0
	v_subrev_nc_u32_e32 v1, 28, v0
	v_sub_nc_u32_e32 v0, 29, v0
	v_lshlrev_b64 v[1:2], v1, v[19:20]
	v_and_b32_e32 v35, 7, v1
; %bb.296:                              ;   in Loop: Header=BB378_16 Depth=1
	s_or_b32 exec_lo, exec_lo, s28
	v_mov_b32_e32 v1, 24
	v_lshlrev_b32_e32 v2, 20, v35
	v_lshl_add_u32 v0, v0, 23, 0x3c000000
	v_lshlrev_b32_sdwa v1, v1, v33 dst_sel:DWORD dst_unused:UNUSED_PAD src0_sel:DWORD src1_sel:WORD_1
	v_and_b32_e32 v1, 0x80000000, v1
	v_or3_b32 v107, v2, v1, v0
.LBB378_297:                            ;   in Loop: Header=BB378_16 Depth=1
	s_or_b32 exec_lo, exec_lo, s27
.LBB378_298:                            ;   in Loop: Header=BB378_16 Depth=1
	s_or_b32 exec_lo, exec_lo, s26
.LBB378_299:                            ;   in Loop: Header=BB378_16 Depth=1
	s_or_b32 exec_lo, exec_lo, s25
	s_mov_b32 s25, exec_lo
	v_cmpx_lt_u32_e32 0xffffff, v33
	s_cbranch_execz .LBB378_307
; %bb.300:                              ;   in Loop: Header=BB378_16 Depth=1
	v_cmp_ne_u32_sdwa s5, v33, v114 src0_sel:BYTE_3 src1_sel:DWORD
	v_bfrev_b32_e32 v108, 1
	s_and_saveexec_b32 s26, s5
	s_cbranch_execz .LBB378_306
; %bb.301:                              ;   in Loop: Header=BB378_16 Depth=1
	v_bfe_u32 v1, v33, 24, 7
	v_mov_b32_e32 v108, 0x7f800001
	s_mov_b32 s27, exec_lo
	v_cmpx_ne_u32_e32 0x7f, v1
	s_cbranch_execz .LBB378_305
; %bb.302:                              ;   in Loop: Header=BB378_16 Depth=1
	v_mov_b32_e32 v0, 7
	s_mov_b32 s28, exec_lo
	v_and_b32_sdwa v19, v33, v0 dst_sel:DWORD dst_unused:UNUSED_PAD src0_sel:BYTE_3 src1_sel:DWORD
	v_mov_b32_e32 v36, v20
	v_lshrrev_b32_e32 v0, 3, v1
	v_mov_b32_e32 v35, v19
	v_cmpx_gt_u32_e32 8, v1
; %bb.303:                              ;   in Loop: Header=BB378_16 Depth=1
	v_ffbh_u32_e32 v0, v19
	v_min_u32_e32 v0, 32, v0
	v_subrev_nc_u32_e32 v1, 28, v0
	v_sub_nc_u32_e32 v0, 29, v0
	v_lshlrev_b64 v[1:2], v1, v[19:20]
	v_and_b32_e32 v35, 7, v1
; %bb.304:                              ;   in Loop: Header=BB378_16 Depth=1
	s_or_b32 exec_lo, exec_lo, s28
	v_mov_b32_e32 v1, 24
	v_lshlrev_b32_e32 v2, 20, v35
	v_lshl_add_u32 v0, v0, 23, 0x3c000000
	v_lshlrev_b32_sdwa v1, v1, v33 dst_sel:DWORD dst_unused:UNUSED_PAD src0_sel:DWORD src1_sel:BYTE_3
	v_and_b32_e32 v1, 0x80000000, v1
	v_or3_b32 v108, v2, v1, v0
.LBB378_305:                            ;   in Loop: Header=BB378_16 Depth=1
	s_or_b32 exec_lo, exec_lo, s27
.LBB378_306:                            ;   in Loop: Header=BB378_16 Depth=1
	s_or_b32 exec_lo, exec_lo, s26
.LBB378_307:                            ;   in Loop: Header=BB378_16 Depth=1
	s_or_b32 exec_lo, exec_lo, s25
	v_mov_b32_e32 v19, v34
	v_cmp_ne_u16_sdwa s5, v34, v20 src0_sel:BYTE_0 src1_sel:DWORD
	v_mov_b32_e32 v110, 0
	v_mov_b32_e32 v109, 0
	s_and_saveexec_b32 s25, s5
	s_cbranch_execz .LBB378_315
; %bb.308:                              ;   in Loop: Header=BB378_16 Depth=1
	v_cmp_ne_u16_sdwa s5, v34, v114 src0_sel:BYTE_0 src1_sel:DWORD
	v_bfrev_b32_e32 v109, 1
	s_and_saveexec_b32 s26, s5
	s_cbranch_execz .LBB378_314
; %bb.309:                              ;   in Loop: Header=BB378_16 Depth=1
	v_and_b32_e32 v1, 0x7f, v34
	v_mov_b32_e32 v109, 0x7f800001
	s_mov_b32 s27, exec_lo
	v_cmpx_ne_u32_e32 0x7f, v1
	s_cbranch_execz .LBB378_313
; %bb.310:                              ;   in Loop: Header=BB378_16 Depth=1
	v_mov_b32_e32 v36, v20
	v_lshrrev_b32_e32 v0, 3, v1
	v_mov_b32_e32 v35, v19
	s_mov_b32 s28, exec_lo
	v_cmpx_gt_u32_e32 8, v1
; %bb.311:                              ;   in Loop: Header=BB378_16 Depth=1
	v_and_b32_e32 v0, 7, v34
	v_ffbh_u32_e32 v0, v0
	v_min_u32_e32 v0, 32, v0
	v_subrev_nc_u32_e32 v1, 28, v0
	v_sub_nc_u32_e32 v0, 29, v0
	v_lshlrev_b64 v[35:36], v1, v[19:20]
; %bb.312:                              ;   in Loop: Header=BB378_16 Depth=1
	s_or_b32 exec_lo, exec_lo, s28
	v_lshlrev_b32_e32 v1, 20, v35
	v_lshlrev_b32_e32 v2, 24, v19
	v_lshl_add_u32 v0, v0, 23, 0x3c000000
	v_and_b32_e32 v1, 0x700000, v1
	v_and_b32_e32 v2, 0x80000000, v2
	v_or3_b32 v109, v1, v2, v0
.LBB378_313:                            ;   in Loop: Header=BB378_16 Depth=1
	s_or_b32 exec_lo, exec_lo, s27
.LBB378_314:                            ;   in Loop: Header=BB378_16 Depth=1
	s_or_b32 exec_lo, exec_lo, s26
.LBB378_315:                            ;   in Loop: Header=BB378_16 Depth=1
	s_or_b32 exec_lo, exec_lo, s25
	v_cmp_ne_u16_sdwa s5, v19, v20 src0_sel:BYTE_1 src1_sel:DWORD
	s_and_saveexec_b32 s25, s5
	s_cbranch_execz .LBB378_323
; %bb.316:                              ;   in Loop: Header=BB378_16 Depth=1
	v_cmp_ne_u16_sdwa s5, v19, v114 src0_sel:BYTE_1 src1_sel:DWORD
	v_bfrev_b32_e32 v110, 1
	s_and_saveexec_b32 s26, s5
	s_cbranch_execz .LBB378_322
; %bb.317:                              ;   in Loop: Header=BB378_16 Depth=1
	v_mov_b32_e32 v0, 0xffff
	v_mov_b32_e32 v110, 0x7f800001
	s_mov_b32 s27, exec_lo
	v_and_b32_sdwa v0, v0, v19 dst_sel:DWORD dst_unused:UNUSED_PAD src0_sel:DWORD src1_sel:BYTE_1
	v_and_b32_e32 v1, 0x7f, v0
	v_cmpx_ne_u32_e32 0x7f, v1
	s_cbranch_execz .LBB378_321
; %bb.318:                              ;   in Loop: Header=BB378_16 Depth=1
	v_and_b32_e32 v35, 7, v0
	v_mov_b32_e32 v36, v20
	v_lshrrev_b32_e32 v0, 3, v1
	s_mov_b32 s28, exec_lo
	v_cmpx_gt_u32_e32 8, v1
; %bb.319:                              ;   in Loop: Header=BB378_16 Depth=1
	v_ffbh_u32_e32 v0, v35
	v_min_u32_e32 v0, 32, v0
	v_subrev_nc_u32_e32 v1, 28, v0
	v_sub_nc_u32_e32 v0, 29, v0
	v_lshlrev_b64 v[1:2], v1, v[35:36]
	v_and_b32_e32 v35, 7, v1
; %bb.320:                              ;   in Loop: Header=BB378_16 Depth=1
	s_or_b32 exec_lo, exec_lo, s28
	v_lshlrev_b32_e32 v1, 16, v19
	v_lshlrev_b32_e32 v2, 20, v35
	v_lshl_add_u32 v0, v0, 23, 0x3c000000
	v_and_b32_e32 v1, 0x80000000, v1
	v_or3_b32 v110, v2, v1, v0
.LBB378_321:                            ;   in Loop: Header=BB378_16 Depth=1
	s_or_b32 exec_lo, exec_lo, s27
.LBB378_322:                            ;   in Loop: Header=BB378_16 Depth=1
	s_or_b32 exec_lo, exec_lo, s26
.LBB378_323:                            ;   in Loop: Header=BB378_16 Depth=1
	s_or_b32 exec_lo, exec_lo, s25
	v_mov_b32_e32 v0, 0xff
	v_mov_b32_e32 v111, 0
	v_mov_b32_e32 v120, 0
	s_mov_b32 s25, exec_lo
	v_and_b32_sdwa v0, v34, v0 dst_sel:DWORD dst_unused:UNUSED_PAD src0_sel:WORD_1 src1_sel:DWORD
	v_cmpx_ne_u16_e32 0, v0
	s_cbranch_execz .LBB378_331
; %bb.324:                              ;   in Loop: Header=BB378_16 Depth=1
	v_bfrev_b32_e32 v120, 1
	s_mov_b32 s26, exec_lo
	v_cmpx_ne_u16_e32 0x80, v0
	s_cbranch_execz .LBB378_330
; %bb.325:                              ;   in Loop: Header=BB378_16 Depth=1
	v_bfe_u32 v1, v34, 16, 7
	v_mov_b32_e32 v120, 0x7f800001
	s_mov_b32 s27, exec_lo
	v_cmpx_ne_u32_e32 0x7f, v1
	s_cbranch_execz .LBB378_329
; %bb.326:                              ;   in Loop: Header=BB378_16 Depth=1
	v_mov_b32_e32 v0, 7
	s_mov_b32 s28, exec_lo
	v_and_b32_sdwa v19, v34, v0 dst_sel:DWORD dst_unused:UNUSED_PAD src0_sel:WORD_1 src1_sel:DWORD
	v_mov_b32_e32 v36, v20
	v_lshrrev_b32_e32 v0, 3, v1
	v_mov_b32_e32 v35, v19
	v_cmpx_gt_u32_e32 8, v1
; %bb.327:                              ;   in Loop: Header=BB378_16 Depth=1
	v_ffbh_u32_e32 v0, v19
	v_min_u32_e32 v0, 32, v0
	v_subrev_nc_u32_e32 v1, 28, v0
	v_sub_nc_u32_e32 v0, 29, v0
	v_lshlrev_b64 v[1:2], v1, v[19:20]
	v_and_b32_e32 v35, 7, v1
; %bb.328:                              ;   in Loop: Header=BB378_16 Depth=1
	s_or_b32 exec_lo, exec_lo, s28
	v_mov_b32_e32 v1, 24
	v_lshlrev_b32_e32 v2, 20, v35
	v_lshl_add_u32 v0, v0, 23, 0x3c000000
	v_lshlrev_b32_sdwa v1, v1, v34 dst_sel:DWORD dst_unused:UNUSED_PAD src0_sel:DWORD src1_sel:WORD_1
	v_and_b32_e32 v1, 0x80000000, v1
	v_or3_b32 v120, v2, v1, v0
.LBB378_329:                            ;   in Loop: Header=BB378_16 Depth=1
	s_or_b32 exec_lo, exec_lo, s27
.LBB378_330:                            ;   in Loop: Header=BB378_16 Depth=1
	s_or_b32 exec_lo, exec_lo, s26
.LBB378_331:                            ;   in Loop: Header=BB378_16 Depth=1
	s_or_b32 exec_lo, exec_lo, s25
	s_mov_b32 s25, exec_lo
	v_cmpx_lt_u64_e64 s[20:21], v[33:34]
	s_cbranch_execz .LBB378_339
; %bb.332:                              ;   in Loop: Header=BB378_16 Depth=1
	v_cmp_ne_u32_sdwa s5, v34, v114 src0_sel:BYTE_3 src1_sel:DWORD
	v_bfrev_b32_e32 v111, 1
	s_and_saveexec_b32 s26, s5
	s_cbranch_execz .LBB378_338
; %bb.333:                              ;   in Loop: Header=BB378_16 Depth=1
	v_bfe_u32 v1, v34, 24, 7
	v_mov_b32_e32 v111, 0x7f800001
	s_mov_b32 s27, exec_lo
	v_cmpx_ne_u32_e32 0x7f, v1
	s_cbranch_execz .LBB378_337
; %bb.334:                              ;   in Loop: Header=BB378_16 Depth=1
	v_mov_b32_e32 v0, 7
	s_mov_b32 s28, exec_lo
	v_and_b32_sdwa v19, v34, v0 dst_sel:DWORD dst_unused:UNUSED_PAD src0_sel:BYTE_3 src1_sel:DWORD
	v_mov_b32_e32 v36, v20
	v_lshrrev_b32_e32 v0, 3, v1
	v_mov_b32_e32 v35, v19
	v_cmpx_gt_u32_e32 8, v1
; %bb.335:                              ;   in Loop: Header=BB378_16 Depth=1
	v_ffbh_u32_e32 v0, v19
	v_min_u32_e32 v0, 32, v0
	v_subrev_nc_u32_e32 v1, 28, v0
	v_sub_nc_u32_e32 v0, 29, v0
	v_lshlrev_b64 v[1:2], v1, v[19:20]
	v_and_b32_e32 v35, 7, v1
; %bb.336:                              ;   in Loop: Header=BB378_16 Depth=1
	s_or_b32 exec_lo, exec_lo, s28
	v_mov_b32_e32 v1, 24
	v_lshlrev_b32_e32 v2, 20, v35
	v_lshl_add_u32 v0, v0, 23, 0x3c000000
	v_lshlrev_b32_sdwa v1, v1, v34 dst_sel:DWORD dst_unused:UNUSED_PAD src0_sel:DWORD src1_sel:BYTE_3
	v_and_b32_e32 v1, 0x80000000, v1
	v_or3_b32 v111, v2, v1, v0
.LBB378_337:                            ;   in Loop: Header=BB378_16 Depth=1
	s_or_b32 exec_lo, exec_lo, s27
.LBB378_338:                            ;   in Loop: Header=BB378_16 Depth=1
	s_or_b32 exec_lo, exec_lo, s26
.LBB378_339:                            ;   in Loop: Header=BB378_16 Depth=1
	s_or_b32 exec_lo, exec_lo, s25
	flat_load_dwordx2 v[33:34], v[31:32] offset:1032
	v_mov_b32_e32 v122, 0
	v_mov_b32_e32 v121, 0
	s_waitcnt vmcnt(0) lgkmcnt(0)
	v_cmp_ne_u16_sdwa s5, v33, v20 src0_sel:BYTE_0 src1_sel:DWORD
	s_and_saveexec_b32 s25, s5
	s_cbranch_execz .LBB378_347
; %bb.340:                              ;   in Loop: Header=BB378_16 Depth=1
	v_cmp_ne_u16_sdwa s5, v33, v114 src0_sel:BYTE_0 src1_sel:DWORD
	v_bfrev_b32_e32 v121, 1
	s_and_saveexec_b32 s26, s5
	s_cbranch_execz .LBB378_346
; %bb.341:                              ;   in Loop: Header=BB378_16 Depth=1
	v_and_b32_e32 v1, 0x7f, v33
	v_mov_b32_e32 v121, 0x7f800001
	s_mov_b32 s27, exec_lo
	v_cmpx_ne_u32_e32 0x7f, v1
	s_cbranch_execz .LBB378_345
; %bb.342:                              ;   in Loop: Header=BB378_16 Depth=1
	v_mov_b32_e32 v36, v34
	v_lshrrev_b32_e32 v0, 3, v1
	v_mov_b32_e32 v35, v33
	s_mov_b32 s28, exec_lo
	v_cmpx_gt_u32_e32 8, v1
; %bb.343:                              ;   in Loop: Header=BB378_16 Depth=1
	v_and_b32_e32 v0, 7, v33
	v_ffbh_u32_e32 v0, v0
	v_min_u32_e32 v0, 32, v0
	v_subrev_nc_u32_e32 v1, 28, v0
	v_sub_nc_u32_e32 v0, 29, v0
	v_lshlrev_b64 v[35:36], v1, v[33:34]
; %bb.344:                              ;   in Loop: Header=BB378_16 Depth=1
	s_or_b32 exec_lo, exec_lo, s28
	v_lshlrev_b32_e32 v1, 20, v35
	v_lshlrev_b32_e32 v2, 24, v33
	v_lshl_add_u32 v0, v0, 23, 0x3c000000
	v_and_b32_e32 v1, 0x700000, v1
	v_and_b32_e32 v2, 0x80000000, v2
	v_or3_b32 v121, v1, v2, v0
.LBB378_345:                            ;   in Loop: Header=BB378_16 Depth=1
	s_or_b32 exec_lo, exec_lo, s27
.LBB378_346:                            ;   in Loop: Header=BB378_16 Depth=1
	s_or_b32 exec_lo, exec_lo, s26
.LBB378_347:                            ;   in Loop: Header=BB378_16 Depth=1
	s_or_b32 exec_lo, exec_lo, s25
	v_cmp_ne_u16_sdwa s5, v33, v20 src0_sel:BYTE_1 src1_sel:DWORD
	s_and_saveexec_b32 s25, s5
	s_cbranch_execz .LBB378_355
; %bb.348:                              ;   in Loop: Header=BB378_16 Depth=1
	v_cmp_ne_u16_sdwa s5, v33, v114 src0_sel:BYTE_1 src1_sel:DWORD
	v_bfrev_b32_e32 v122, 1
	s_and_saveexec_b32 s26, s5
	s_cbranch_execz .LBB378_354
; %bb.349:                              ;   in Loop: Header=BB378_16 Depth=1
	v_mov_b32_e32 v0, 0xffff
	v_mov_b32_e32 v122, 0x7f800001
	s_mov_b32 s27, exec_lo
	v_and_b32_sdwa v0, v0, v33 dst_sel:DWORD dst_unused:UNUSED_PAD src0_sel:DWORD src1_sel:BYTE_1
	v_and_b32_e32 v1, 0x7f, v0
	v_cmpx_ne_u32_e32 0x7f, v1
	s_cbranch_execz .LBB378_353
; %bb.350:                              ;   in Loop: Header=BB378_16 Depth=1
	v_and_b32_e32 v19, 7, v0
	v_mov_b32_e32 v36, v20
	v_lshrrev_b32_e32 v0, 3, v1
	s_mov_b32 s28, exec_lo
	v_mov_b32_e32 v35, v19
	v_cmpx_gt_u32_e32 8, v1
; %bb.351:                              ;   in Loop: Header=BB378_16 Depth=1
	v_ffbh_u32_e32 v0, v19
	v_min_u32_e32 v0, 32, v0
	v_subrev_nc_u32_e32 v1, 28, v0
	v_sub_nc_u32_e32 v0, 29, v0
	v_lshlrev_b64 v[1:2], v1, v[19:20]
	v_and_b32_e32 v35, 7, v1
; %bb.352:                              ;   in Loop: Header=BB378_16 Depth=1
	s_or_b32 exec_lo, exec_lo, s28
	v_lshlrev_b32_e32 v1, 16, v33
	v_lshlrev_b32_e32 v2, 20, v35
	v_lshl_add_u32 v0, v0, 23, 0x3c000000
	v_and_b32_e32 v1, 0x80000000, v1
	v_or3_b32 v122, v2, v1, v0
.LBB378_353:                            ;   in Loop: Header=BB378_16 Depth=1
	s_or_b32 exec_lo, exec_lo, s27
.LBB378_354:                            ;   in Loop: Header=BB378_16 Depth=1
	s_or_b32 exec_lo, exec_lo, s26
.LBB378_355:                            ;   in Loop: Header=BB378_16 Depth=1
	s_or_b32 exec_lo, exec_lo, s25
	v_mov_b32_e32 v0, 0xff
	v_mov_b32_e32 v124, 0
	;; [unrolled: 1-line block ×3, first 2 shown]
	s_mov_b32 s25, exec_lo
	v_and_b32_sdwa v0, v33, v0 dst_sel:DWORD dst_unused:UNUSED_PAD src0_sel:WORD_1 src1_sel:DWORD
	v_cmpx_ne_u16_e32 0, v0
	s_cbranch_execz .LBB378_363
; %bb.356:                              ;   in Loop: Header=BB378_16 Depth=1
	v_bfrev_b32_e32 v123, 1
	s_mov_b32 s26, exec_lo
	v_cmpx_ne_u16_e32 0x80, v0
	s_cbranch_execz .LBB378_362
; %bb.357:                              ;   in Loop: Header=BB378_16 Depth=1
	v_bfe_u32 v1, v33, 16, 7
	v_mov_b32_e32 v123, 0x7f800001
	s_mov_b32 s27, exec_lo
	v_cmpx_ne_u32_e32 0x7f, v1
	s_cbranch_execz .LBB378_361
; %bb.358:                              ;   in Loop: Header=BB378_16 Depth=1
	v_mov_b32_e32 v0, 7
	s_mov_b32 s28, exec_lo
	v_and_b32_sdwa v19, v33, v0 dst_sel:DWORD dst_unused:UNUSED_PAD src0_sel:WORD_1 src1_sel:DWORD
	v_mov_b32_e32 v36, v20
	v_lshrrev_b32_e32 v0, 3, v1
	v_mov_b32_e32 v35, v19
	v_cmpx_gt_u32_e32 8, v1
; %bb.359:                              ;   in Loop: Header=BB378_16 Depth=1
	v_ffbh_u32_e32 v0, v19
	v_min_u32_e32 v0, 32, v0
	v_subrev_nc_u32_e32 v1, 28, v0
	v_sub_nc_u32_e32 v0, 29, v0
	v_lshlrev_b64 v[1:2], v1, v[19:20]
	v_and_b32_e32 v35, 7, v1
; %bb.360:                              ;   in Loop: Header=BB378_16 Depth=1
	s_or_b32 exec_lo, exec_lo, s28
	v_mov_b32_e32 v1, 24
	v_lshlrev_b32_e32 v2, 20, v35
	v_lshl_add_u32 v0, v0, 23, 0x3c000000
	v_lshlrev_b32_sdwa v1, v1, v33 dst_sel:DWORD dst_unused:UNUSED_PAD src0_sel:DWORD src1_sel:WORD_1
	v_and_b32_e32 v1, 0x80000000, v1
	v_or3_b32 v123, v2, v1, v0
.LBB378_361:                            ;   in Loop: Header=BB378_16 Depth=1
	s_or_b32 exec_lo, exec_lo, s27
.LBB378_362:                            ;   in Loop: Header=BB378_16 Depth=1
	s_or_b32 exec_lo, exec_lo, s26
.LBB378_363:                            ;   in Loop: Header=BB378_16 Depth=1
	s_or_b32 exec_lo, exec_lo, s25
	s_mov_b32 s25, exec_lo
	v_cmpx_lt_u32_e32 0xffffff, v33
	s_cbranch_execz .LBB378_371
; %bb.364:                              ;   in Loop: Header=BB378_16 Depth=1
	v_cmp_ne_u32_sdwa s5, v33, v114 src0_sel:BYTE_3 src1_sel:DWORD
	v_bfrev_b32_e32 v124, 1
	s_and_saveexec_b32 s26, s5
	s_cbranch_execz .LBB378_370
; %bb.365:                              ;   in Loop: Header=BB378_16 Depth=1
	v_bfe_u32 v1, v33, 24, 7
	v_mov_b32_e32 v124, 0x7f800001
	s_mov_b32 s27, exec_lo
	v_cmpx_ne_u32_e32 0x7f, v1
	s_cbranch_execz .LBB378_369
; %bb.366:                              ;   in Loop: Header=BB378_16 Depth=1
	v_mov_b32_e32 v0, 7
	s_mov_b32 s28, exec_lo
	v_and_b32_sdwa v19, v33, v0 dst_sel:DWORD dst_unused:UNUSED_PAD src0_sel:BYTE_3 src1_sel:DWORD
	v_mov_b32_e32 v36, v20
	v_lshrrev_b32_e32 v0, 3, v1
	v_mov_b32_e32 v35, v19
	v_cmpx_gt_u32_e32 8, v1
; %bb.367:                              ;   in Loop: Header=BB378_16 Depth=1
	v_ffbh_u32_e32 v0, v19
	v_min_u32_e32 v0, 32, v0
	v_subrev_nc_u32_e32 v1, 28, v0
	v_sub_nc_u32_e32 v0, 29, v0
	v_lshlrev_b64 v[1:2], v1, v[19:20]
	v_and_b32_e32 v35, 7, v1
; %bb.368:                              ;   in Loop: Header=BB378_16 Depth=1
	s_or_b32 exec_lo, exec_lo, s28
	v_mov_b32_e32 v1, 24
	v_lshlrev_b32_e32 v2, 20, v35
	v_lshl_add_u32 v0, v0, 23, 0x3c000000
	v_lshlrev_b32_sdwa v1, v1, v33 dst_sel:DWORD dst_unused:UNUSED_PAD src0_sel:DWORD src1_sel:BYTE_3
	v_and_b32_e32 v1, 0x80000000, v1
	v_or3_b32 v124, v2, v1, v0
.LBB378_369:                            ;   in Loop: Header=BB378_16 Depth=1
	s_or_b32 exec_lo, exec_lo, s27
.LBB378_370:                            ;   in Loop: Header=BB378_16 Depth=1
	s_or_b32 exec_lo, exec_lo, s26
.LBB378_371:                            ;   in Loop: Header=BB378_16 Depth=1
	s_or_b32 exec_lo, exec_lo, s25
	v_mov_b32_e32 v19, v34
	v_cmp_ne_u16_sdwa s5, v34, v20 src0_sel:BYTE_0 src1_sel:DWORD
	v_mov_b32_e32 v126, 0
	v_mov_b32_e32 v125, 0
	s_and_saveexec_b32 s25, s5
	s_cbranch_execz .LBB378_379
; %bb.372:                              ;   in Loop: Header=BB378_16 Depth=1
	v_cmp_ne_u16_sdwa s5, v34, v114 src0_sel:BYTE_0 src1_sel:DWORD
	v_bfrev_b32_e32 v125, 1
	s_and_saveexec_b32 s26, s5
	s_cbranch_execz .LBB378_378
; %bb.373:                              ;   in Loop: Header=BB378_16 Depth=1
	v_and_b32_e32 v1, 0x7f, v34
	v_mov_b32_e32 v125, 0x7f800001
	s_mov_b32 s27, exec_lo
	v_cmpx_ne_u32_e32 0x7f, v1
	s_cbranch_execz .LBB378_377
; %bb.374:                              ;   in Loop: Header=BB378_16 Depth=1
	v_mov_b32_e32 v36, v20
	v_lshrrev_b32_e32 v0, 3, v1
	v_mov_b32_e32 v35, v19
	s_mov_b32 s28, exec_lo
	v_cmpx_gt_u32_e32 8, v1
; %bb.375:                              ;   in Loop: Header=BB378_16 Depth=1
	v_and_b32_e32 v0, 7, v34
	v_ffbh_u32_e32 v0, v0
	v_min_u32_e32 v0, 32, v0
	v_subrev_nc_u32_e32 v1, 28, v0
	v_sub_nc_u32_e32 v0, 29, v0
	v_lshlrev_b64 v[35:36], v1, v[19:20]
; %bb.376:                              ;   in Loop: Header=BB378_16 Depth=1
	s_or_b32 exec_lo, exec_lo, s28
	v_lshlrev_b32_e32 v1, 20, v35
	v_lshlrev_b32_e32 v2, 24, v19
	v_lshl_add_u32 v0, v0, 23, 0x3c000000
	v_and_b32_e32 v1, 0x700000, v1
	v_and_b32_e32 v2, 0x80000000, v2
	v_or3_b32 v125, v1, v2, v0
.LBB378_377:                            ;   in Loop: Header=BB378_16 Depth=1
	s_or_b32 exec_lo, exec_lo, s27
.LBB378_378:                            ;   in Loop: Header=BB378_16 Depth=1
	s_or_b32 exec_lo, exec_lo, s26
.LBB378_379:                            ;   in Loop: Header=BB378_16 Depth=1
	s_or_b32 exec_lo, exec_lo, s25
	v_cmp_ne_u16_sdwa s5, v19, v20 src0_sel:BYTE_1 src1_sel:DWORD
	s_and_saveexec_b32 s25, s5
	s_cbranch_execz .LBB378_387
; %bb.380:                              ;   in Loop: Header=BB378_16 Depth=1
	v_cmp_ne_u16_sdwa s5, v19, v114 src0_sel:BYTE_1 src1_sel:DWORD
	v_bfrev_b32_e32 v126, 1
	s_and_saveexec_b32 s26, s5
	s_cbranch_execz .LBB378_386
; %bb.381:                              ;   in Loop: Header=BB378_16 Depth=1
	v_mov_b32_e32 v0, 0xffff
	v_mov_b32_e32 v126, 0x7f800001
	s_mov_b32 s27, exec_lo
	v_and_b32_sdwa v0, v0, v19 dst_sel:DWORD dst_unused:UNUSED_PAD src0_sel:DWORD src1_sel:BYTE_1
	v_and_b32_e32 v1, 0x7f, v0
	v_cmpx_ne_u32_e32 0x7f, v1
	s_cbranch_execz .LBB378_385
; %bb.382:                              ;   in Loop: Header=BB378_16 Depth=1
	v_and_b32_e32 v35, 7, v0
	v_mov_b32_e32 v36, v20
	v_lshrrev_b32_e32 v0, 3, v1
	s_mov_b32 s28, exec_lo
	v_cmpx_gt_u32_e32 8, v1
; %bb.383:                              ;   in Loop: Header=BB378_16 Depth=1
	v_ffbh_u32_e32 v0, v35
	v_min_u32_e32 v0, 32, v0
	v_subrev_nc_u32_e32 v1, 28, v0
	v_sub_nc_u32_e32 v0, 29, v0
	v_lshlrev_b64 v[1:2], v1, v[35:36]
	v_and_b32_e32 v35, 7, v1
; %bb.384:                              ;   in Loop: Header=BB378_16 Depth=1
	s_or_b32 exec_lo, exec_lo, s28
	v_lshlrev_b32_e32 v1, 16, v19
	v_lshlrev_b32_e32 v2, 20, v35
	v_lshl_add_u32 v0, v0, 23, 0x3c000000
	v_and_b32_e32 v1, 0x80000000, v1
	v_or3_b32 v126, v2, v1, v0
.LBB378_385:                            ;   in Loop: Header=BB378_16 Depth=1
	s_or_b32 exec_lo, exec_lo, s27
.LBB378_386:                            ;   in Loop: Header=BB378_16 Depth=1
	s_or_b32 exec_lo, exec_lo, s26
.LBB378_387:                            ;   in Loop: Header=BB378_16 Depth=1
	s_or_b32 exec_lo, exec_lo, s25
	v_mov_b32_e32 v0, 0xff
	v_mov_b32_e32 v127, 0
	;; [unrolled: 1-line block ×3, first 2 shown]
	s_mov_b32 s25, exec_lo
	v_and_b32_sdwa v0, v34, v0 dst_sel:DWORD dst_unused:UNUSED_PAD src0_sel:WORD_1 src1_sel:DWORD
	v_cmpx_ne_u16_e32 0, v0
	s_cbranch_execz .LBB378_395
; %bb.388:                              ;   in Loop: Header=BB378_16 Depth=1
	v_bfrev_b32_e32 v23, 1
	s_mov_b32 s26, exec_lo
	v_cmpx_ne_u16_e32 0x80, v0
	s_cbranch_execz .LBB378_394
; %bb.389:                              ;   in Loop: Header=BB378_16 Depth=1
	v_bfe_u32 v1, v34, 16, 7
	v_mov_b32_e32 v23, 0x7f800001
	s_mov_b32 s27, exec_lo
	v_cmpx_ne_u32_e32 0x7f, v1
	s_cbranch_execz .LBB378_393
; %bb.390:                              ;   in Loop: Header=BB378_16 Depth=1
	v_mov_b32_e32 v0, 7
	s_mov_b32 s28, exec_lo
	v_and_b32_sdwa v19, v34, v0 dst_sel:DWORD dst_unused:UNUSED_PAD src0_sel:WORD_1 src1_sel:DWORD
	v_mov_b32_e32 v36, v20
	v_lshrrev_b32_e32 v0, 3, v1
	v_mov_b32_e32 v35, v19
	v_cmpx_gt_u32_e32 8, v1
; %bb.391:                              ;   in Loop: Header=BB378_16 Depth=1
	v_ffbh_u32_e32 v0, v19
	v_min_u32_e32 v0, 32, v0
	v_subrev_nc_u32_e32 v1, 28, v0
	v_sub_nc_u32_e32 v0, 29, v0
	v_lshlrev_b64 v[1:2], v1, v[19:20]
	v_and_b32_e32 v35, 7, v1
; %bb.392:                              ;   in Loop: Header=BB378_16 Depth=1
	s_or_b32 exec_lo, exec_lo, s28
	v_mov_b32_e32 v1, 24
	v_lshlrev_b32_e32 v2, 20, v35
	v_lshl_add_u32 v0, v0, 23, 0x3c000000
	v_lshlrev_b32_sdwa v1, v1, v34 dst_sel:DWORD dst_unused:UNUSED_PAD src0_sel:DWORD src1_sel:WORD_1
	v_and_b32_e32 v1, 0x80000000, v1
	v_or3_b32 v23, v2, v1, v0
.LBB378_393:                            ;   in Loop: Header=BB378_16 Depth=1
	s_or_b32 exec_lo, exec_lo, s27
.LBB378_394:                            ;   in Loop: Header=BB378_16 Depth=1
	s_or_b32 exec_lo, exec_lo, s26
.LBB378_395:                            ;   in Loop: Header=BB378_16 Depth=1
	s_or_b32 exec_lo, exec_lo, s25
	s_mov_b32 s25, exec_lo
	v_cmpx_lt_u64_e64 s[20:21], v[33:34]
	s_cbranch_execz .LBB378_403
; %bb.396:                              ;   in Loop: Header=BB378_16 Depth=1
	v_cmp_ne_u32_sdwa s5, v34, v114 src0_sel:BYTE_3 src1_sel:DWORD
	v_bfrev_b32_e32 v127, 1
	s_and_saveexec_b32 s26, s5
	s_cbranch_execz .LBB378_402
; %bb.397:                              ;   in Loop: Header=BB378_16 Depth=1
	v_bfe_u32 v1, v34, 24, 7
	v_mov_b32_e32 v127, 0x7f800001
	s_mov_b32 s27, exec_lo
	v_cmpx_ne_u32_e32 0x7f, v1
	s_cbranch_execz .LBB378_401
; %bb.398:                              ;   in Loop: Header=BB378_16 Depth=1
	v_mov_b32_e32 v0, 7
	s_mov_b32 s28, exec_lo
	v_and_b32_sdwa v19, v34, v0 dst_sel:DWORD dst_unused:UNUSED_PAD src0_sel:BYTE_3 src1_sel:DWORD
	v_mov_b32_e32 v36, v20
	v_lshrrev_b32_e32 v0, 3, v1
	v_mov_b32_e32 v35, v19
	v_cmpx_gt_u32_e32 8, v1
; %bb.399:                              ;   in Loop: Header=BB378_16 Depth=1
	v_ffbh_u32_e32 v0, v19
	v_min_u32_e32 v0, 32, v0
	v_subrev_nc_u32_e32 v1, 28, v0
	v_sub_nc_u32_e32 v0, 29, v0
	v_lshlrev_b64 v[1:2], v1, v[19:20]
	v_and_b32_e32 v35, 7, v1
; %bb.400:                              ;   in Loop: Header=BB378_16 Depth=1
	s_or_b32 exec_lo, exec_lo, s28
	v_mov_b32_e32 v1, 24
	v_lshlrev_b32_e32 v2, 20, v35
	v_lshl_add_u32 v0, v0, 23, 0x3c000000
	v_lshlrev_b32_sdwa v1, v1, v34 dst_sel:DWORD dst_unused:UNUSED_PAD src0_sel:DWORD src1_sel:BYTE_3
	v_and_b32_e32 v1, 0x80000000, v1
	v_or3_b32 v127, v2, v1, v0
.LBB378_401:                            ;   in Loop: Header=BB378_16 Depth=1
	s_or_b32 exec_lo, exec_lo, s27
.LBB378_402:                            ;   in Loop: Header=BB378_16 Depth=1
	s_or_b32 exec_lo, exec_lo, s26
.LBB378_403:                            ;   in Loop: Header=BB378_16 Depth=1
	s_or_b32 exec_lo, exec_lo, s25
	flat_load_dwordx2 v[33:34], v[31:32] offset:1536
	v_mov_b32_e32 v4, 0
	v_mov_b32_e32 v5, 0
	s_waitcnt vmcnt(0) lgkmcnt(0)
	v_cmp_ne_u16_sdwa s5, v33, v20 src0_sel:BYTE_0 src1_sel:DWORD
	s_and_saveexec_b32 s25, s5
	s_cbranch_execz .LBB378_411
; %bb.404:                              ;   in Loop: Header=BB378_16 Depth=1
	v_cmp_ne_u16_sdwa s5, v33, v114 src0_sel:BYTE_0 src1_sel:DWORD
	v_bfrev_b32_e32 v5, 1
	s_and_saveexec_b32 s26, s5
	s_cbranch_execz .LBB378_410
; %bb.405:                              ;   in Loop: Header=BB378_16 Depth=1
	v_and_b32_e32 v1, 0x7f, v33
	v_mov_b32_e32 v5, 0x7f800001
	s_mov_b32 s27, exec_lo
	v_cmpx_ne_u32_e32 0x7f, v1
	s_cbranch_execz .LBB378_409
; %bb.406:                              ;   in Loop: Header=BB378_16 Depth=1
	v_mov_b32_e32 v36, v34
	v_lshrrev_b32_e32 v0, 3, v1
	v_mov_b32_e32 v35, v33
	s_mov_b32 s28, exec_lo
	v_cmpx_gt_u32_e32 8, v1
; %bb.407:                              ;   in Loop: Header=BB378_16 Depth=1
	v_and_b32_e32 v0, 7, v33
	v_ffbh_u32_e32 v0, v0
	v_min_u32_e32 v0, 32, v0
	v_subrev_nc_u32_e32 v1, 28, v0
	v_sub_nc_u32_e32 v0, 29, v0
	v_lshlrev_b64 v[35:36], v1, v[33:34]
; %bb.408:                              ;   in Loop: Header=BB378_16 Depth=1
	s_or_b32 exec_lo, exec_lo, s28
	v_lshlrev_b32_e32 v1, 20, v35
	v_lshlrev_b32_e32 v2, 24, v33
	v_lshl_add_u32 v0, v0, 23, 0x3c000000
	v_and_b32_e32 v1, 0x700000, v1
	v_and_b32_e32 v2, 0x80000000, v2
	v_or3_b32 v5, v1, v2, v0
.LBB378_409:                            ;   in Loop: Header=BB378_16 Depth=1
	s_or_b32 exec_lo, exec_lo, s27
.LBB378_410:                            ;   in Loop: Header=BB378_16 Depth=1
	s_or_b32 exec_lo, exec_lo, s26
.LBB378_411:                            ;   in Loop: Header=BB378_16 Depth=1
	s_or_b32 exec_lo, exec_lo, s25
	v_cmp_ne_u16_sdwa s5, v33, v20 src0_sel:BYTE_1 src1_sel:DWORD
	s_and_saveexec_b32 s25, s5
	s_cbranch_execz .LBB378_419
; %bb.412:                              ;   in Loop: Header=BB378_16 Depth=1
	v_cmp_ne_u16_sdwa s5, v33, v114 src0_sel:BYTE_1 src1_sel:DWORD
	v_bfrev_b32_e32 v4, 1
	s_and_saveexec_b32 s26, s5
	s_cbranch_execz .LBB378_418
; %bb.413:                              ;   in Loop: Header=BB378_16 Depth=1
	v_mov_b32_e32 v0, 0xffff
	v_mov_b32_e32 v4, 0x7f800001
	s_mov_b32 s27, exec_lo
	v_and_b32_sdwa v0, v0, v33 dst_sel:DWORD dst_unused:UNUSED_PAD src0_sel:DWORD src1_sel:BYTE_1
	v_and_b32_e32 v1, 0x7f, v0
	v_cmpx_ne_u32_e32 0x7f, v1
	s_cbranch_execz .LBB378_417
; %bb.414:                              ;   in Loop: Header=BB378_16 Depth=1
	v_and_b32_e32 v19, 7, v0
	v_mov_b32_e32 v36, v20
	v_lshrrev_b32_e32 v0, 3, v1
	s_mov_b32 s28, exec_lo
	v_mov_b32_e32 v35, v19
	v_cmpx_gt_u32_e32 8, v1
; %bb.415:                              ;   in Loop: Header=BB378_16 Depth=1
	v_ffbh_u32_e32 v0, v19
	v_min_u32_e32 v0, 32, v0
	v_subrev_nc_u32_e32 v1, 28, v0
	v_sub_nc_u32_e32 v0, 29, v0
	v_lshlrev_b64 v[1:2], v1, v[19:20]
	v_and_b32_e32 v35, 7, v1
; %bb.416:                              ;   in Loop: Header=BB378_16 Depth=1
	s_or_b32 exec_lo, exec_lo, s28
	v_lshlrev_b32_e32 v1, 16, v33
	v_lshlrev_b32_e32 v2, 20, v35
	v_lshl_add_u32 v0, v0, 23, 0x3c000000
	v_and_b32_e32 v1, 0x80000000, v1
	v_or3_b32 v4, v2, v1, v0
.LBB378_417:                            ;   in Loop: Header=BB378_16 Depth=1
	s_or_b32 exec_lo, exec_lo, s27
.LBB378_418:                            ;   in Loop: Header=BB378_16 Depth=1
	s_or_b32 exec_lo, exec_lo, s26
.LBB378_419:                            ;   in Loop: Header=BB378_16 Depth=1
	s_or_b32 exec_lo, exec_lo, s25
	v_mov_b32_e32 v0, 0xff
	v_mov_b32_e32 v39, 0
	;; [unrolled: 1-line block ×3, first 2 shown]
	s_mov_b32 s25, exec_lo
	v_and_b32_sdwa v0, v33, v0 dst_sel:DWORD dst_unused:UNUSED_PAD src0_sel:WORD_1 src1_sel:DWORD
	v_cmpx_ne_u16_e32 0, v0
	s_cbranch_execz .LBB378_427
; %bb.420:                              ;   in Loop: Header=BB378_16 Depth=1
	v_bfrev_b32_e32 v64, 1
	s_mov_b32 s26, exec_lo
	v_cmpx_ne_u16_e32 0x80, v0
	s_cbranch_execz .LBB378_426
; %bb.421:                              ;   in Loop: Header=BB378_16 Depth=1
	v_bfe_u32 v1, v33, 16, 7
	v_mov_b32_e32 v64, 0x7f800001
	s_mov_b32 s27, exec_lo
	v_cmpx_ne_u32_e32 0x7f, v1
	s_cbranch_execz .LBB378_425
; %bb.422:                              ;   in Loop: Header=BB378_16 Depth=1
	v_mov_b32_e32 v0, 7
	s_mov_b32 s28, exec_lo
	v_and_b32_sdwa v19, v33, v0 dst_sel:DWORD dst_unused:UNUSED_PAD src0_sel:WORD_1 src1_sel:DWORD
	v_mov_b32_e32 v36, v20
	v_lshrrev_b32_e32 v0, 3, v1
	v_mov_b32_e32 v35, v19
	v_cmpx_gt_u32_e32 8, v1
; %bb.423:                              ;   in Loop: Header=BB378_16 Depth=1
	v_ffbh_u32_e32 v0, v19
	v_min_u32_e32 v0, 32, v0
	v_subrev_nc_u32_e32 v1, 28, v0
	v_sub_nc_u32_e32 v0, 29, v0
	v_lshlrev_b64 v[1:2], v1, v[19:20]
	v_and_b32_e32 v35, 7, v1
; %bb.424:                              ;   in Loop: Header=BB378_16 Depth=1
	s_or_b32 exec_lo, exec_lo, s28
	v_mov_b32_e32 v1, 24
	v_lshlrev_b32_e32 v2, 20, v35
	v_lshl_add_u32 v0, v0, 23, 0x3c000000
	v_lshlrev_b32_sdwa v1, v1, v33 dst_sel:DWORD dst_unused:UNUSED_PAD src0_sel:DWORD src1_sel:WORD_1
	v_and_b32_e32 v1, 0x80000000, v1
	v_or3_b32 v64, v2, v1, v0
.LBB378_425:                            ;   in Loop: Header=BB378_16 Depth=1
	s_or_b32 exec_lo, exec_lo, s27
.LBB378_426:                            ;   in Loop: Header=BB378_16 Depth=1
	s_or_b32 exec_lo, exec_lo, s26
.LBB378_427:                            ;   in Loop: Header=BB378_16 Depth=1
	s_or_b32 exec_lo, exec_lo, s25
	s_mov_b32 s25, exec_lo
	v_cmpx_lt_u32_e32 0xffffff, v33
	s_cbranch_execz .LBB378_435
; %bb.428:                              ;   in Loop: Header=BB378_16 Depth=1
	v_cmp_ne_u32_sdwa s5, v33, v114 src0_sel:BYTE_3 src1_sel:DWORD
	v_bfrev_b32_e32 v39, 1
	s_and_saveexec_b32 s26, s5
	s_cbranch_execz .LBB378_434
; %bb.429:                              ;   in Loop: Header=BB378_16 Depth=1
	v_bfe_u32 v1, v33, 24, 7
	v_mov_b32_e32 v39, 0x7f800001
	s_mov_b32 s27, exec_lo
	v_cmpx_ne_u32_e32 0x7f, v1
	s_cbranch_execz .LBB378_433
; %bb.430:                              ;   in Loop: Header=BB378_16 Depth=1
	v_mov_b32_e32 v0, 7
	s_mov_b32 s28, exec_lo
	v_and_b32_sdwa v19, v33, v0 dst_sel:DWORD dst_unused:UNUSED_PAD src0_sel:BYTE_3 src1_sel:DWORD
	v_mov_b32_e32 v36, v20
	v_lshrrev_b32_e32 v0, 3, v1
	v_mov_b32_e32 v35, v19
	v_cmpx_gt_u32_e32 8, v1
; %bb.431:                              ;   in Loop: Header=BB378_16 Depth=1
	v_ffbh_u32_e32 v0, v19
	v_min_u32_e32 v0, 32, v0
	v_subrev_nc_u32_e32 v1, 28, v0
	v_sub_nc_u32_e32 v0, 29, v0
	v_lshlrev_b64 v[1:2], v1, v[19:20]
	v_and_b32_e32 v35, 7, v1
; %bb.432:                              ;   in Loop: Header=BB378_16 Depth=1
	s_or_b32 exec_lo, exec_lo, s28
	v_mov_b32_e32 v1, 24
	v_lshlrev_b32_e32 v2, 20, v35
	v_lshl_add_u32 v0, v0, 23, 0x3c000000
	v_lshlrev_b32_sdwa v1, v1, v33 dst_sel:DWORD dst_unused:UNUSED_PAD src0_sel:DWORD src1_sel:BYTE_3
	v_and_b32_e32 v1, 0x80000000, v1
	v_or3_b32 v39, v2, v1, v0
.LBB378_433:                            ;   in Loop: Header=BB378_16 Depth=1
	s_or_b32 exec_lo, exec_lo, s27
.LBB378_434:                            ;   in Loop: Header=BB378_16 Depth=1
	s_or_b32 exec_lo, exec_lo, s26
.LBB378_435:                            ;   in Loop: Header=BB378_16 Depth=1
	s_or_b32 exec_lo, exec_lo, s25
	v_mov_b32_e32 v19, v34
	v_cmp_ne_u16_sdwa s5, v34, v20 src0_sel:BYTE_0 src1_sel:DWORD
	v_mov_b32_e32 v21, 0
	v_mov_b32_e32 v80, 0
	s_and_saveexec_b32 s25, s5
	s_cbranch_execz .LBB378_443
; %bb.436:                              ;   in Loop: Header=BB378_16 Depth=1
	v_cmp_ne_u16_sdwa s5, v34, v114 src0_sel:BYTE_0 src1_sel:DWORD
	v_bfrev_b32_e32 v80, 1
	s_and_saveexec_b32 s26, s5
	s_cbranch_execz .LBB378_442
; %bb.437:                              ;   in Loop: Header=BB378_16 Depth=1
	v_and_b32_e32 v1, 0x7f, v34
	v_mov_b32_e32 v80, 0x7f800001
	s_mov_b32 s27, exec_lo
	v_cmpx_ne_u32_e32 0x7f, v1
	s_cbranch_execz .LBB378_441
; %bb.438:                              ;   in Loop: Header=BB378_16 Depth=1
	v_mov_b32_e32 v36, v20
	v_lshrrev_b32_e32 v0, 3, v1
	v_mov_b32_e32 v35, v19
	s_mov_b32 s28, exec_lo
	v_cmpx_gt_u32_e32 8, v1
; %bb.439:                              ;   in Loop: Header=BB378_16 Depth=1
	v_and_b32_e32 v0, 7, v34
	v_ffbh_u32_e32 v0, v0
	v_min_u32_e32 v0, 32, v0
	v_subrev_nc_u32_e32 v1, 28, v0
	v_sub_nc_u32_e32 v0, 29, v0
	v_lshlrev_b64 v[35:36], v1, v[19:20]
; %bb.440:                              ;   in Loop: Header=BB378_16 Depth=1
	s_or_b32 exec_lo, exec_lo, s28
	v_lshlrev_b32_e32 v1, 20, v35
	v_lshlrev_b32_e32 v2, 24, v19
	v_lshl_add_u32 v0, v0, 23, 0x3c000000
	v_and_b32_e32 v1, 0x700000, v1
	v_and_b32_e32 v2, 0x80000000, v2
	v_or3_b32 v80, v1, v2, v0
.LBB378_441:                            ;   in Loop: Header=BB378_16 Depth=1
	s_or_b32 exec_lo, exec_lo, s27
.LBB378_442:                            ;   in Loop: Header=BB378_16 Depth=1
	s_or_b32 exec_lo, exec_lo, s26
.LBB378_443:                            ;   in Loop: Header=BB378_16 Depth=1
	s_or_b32 exec_lo, exec_lo, s25
	v_cmp_ne_u16_sdwa s5, v19, v20 src0_sel:BYTE_1 src1_sel:DWORD
	s_and_saveexec_b32 s25, s5
	s_cbranch_execz .LBB378_451
; %bb.444:                              ;   in Loop: Header=BB378_16 Depth=1
	v_cmp_ne_u16_sdwa s5, v19, v114 src0_sel:BYTE_1 src1_sel:DWORD
	v_bfrev_b32_e32 v21, 1
	s_and_saveexec_b32 s26, s5
	s_cbranch_execz .LBB378_450
; %bb.445:                              ;   in Loop: Header=BB378_16 Depth=1
	v_mov_b32_e32 v0, 0xffff
	v_mov_b32_e32 v21, 0x7f800001
	s_mov_b32 s27, exec_lo
	v_and_b32_sdwa v0, v0, v19 dst_sel:DWORD dst_unused:UNUSED_PAD src0_sel:DWORD src1_sel:BYTE_1
	v_and_b32_e32 v1, 0x7f, v0
	v_cmpx_ne_u32_e32 0x7f, v1
	s_cbranch_execz .LBB378_449
; %bb.446:                              ;   in Loop: Header=BB378_16 Depth=1
	v_and_b32_e32 v35, 7, v0
	v_mov_b32_e32 v36, v20
	v_lshrrev_b32_e32 v0, 3, v1
	s_mov_b32 s28, exec_lo
	v_cmpx_gt_u32_e32 8, v1
; %bb.447:                              ;   in Loop: Header=BB378_16 Depth=1
	v_ffbh_u32_e32 v0, v35
	v_min_u32_e32 v0, 32, v0
	v_subrev_nc_u32_e32 v1, 28, v0
	v_sub_nc_u32_e32 v0, 29, v0
	v_lshlrev_b64 v[1:2], v1, v[35:36]
	v_and_b32_e32 v35, 7, v1
; %bb.448:                              ;   in Loop: Header=BB378_16 Depth=1
	s_or_b32 exec_lo, exec_lo, s28
	v_lshlrev_b32_e32 v1, 16, v19
	v_lshlrev_b32_e32 v2, 20, v35
	v_lshl_add_u32 v0, v0, 23, 0x3c000000
	v_and_b32_e32 v1, 0x80000000, v1
	v_or3_b32 v21, v2, v1, v0
.LBB378_449:                            ;   in Loop: Header=BB378_16 Depth=1
	s_or_b32 exec_lo, exec_lo, s27
.LBB378_450:                            ;   in Loop: Header=BB378_16 Depth=1
	s_or_b32 exec_lo, exec_lo, s26
.LBB378_451:                            ;   in Loop: Header=BB378_16 Depth=1
	s_or_b32 exec_lo, exec_lo, s25
	v_mov_b32_e32 v0, 0xff
	v_mov_b32_e32 v11, 0
	;; [unrolled: 1-line block ×3, first 2 shown]
	s_mov_b32 s25, exec_lo
	v_and_b32_sdwa v0, v34, v0 dst_sel:DWORD dst_unused:UNUSED_PAD src0_sel:WORD_1 src1_sel:DWORD
	v_cmpx_ne_u16_e32 0, v0
	s_cbranch_execz .LBB378_459
; %bb.452:                              ;   in Loop: Header=BB378_16 Depth=1
	v_bfrev_b32_e32 v10, 1
	s_mov_b32 s26, exec_lo
	v_cmpx_ne_u16_e32 0x80, v0
	s_cbranch_execz .LBB378_458
; %bb.453:                              ;   in Loop: Header=BB378_16 Depth=1
	v_bfe_u32 v1, v34, 16, 7
	v_mov_b32_e32 v10, 0x7f800001
	s_mov_b32 s27, exec_lo
	v_cmpx_ne_u32_e32 0x7f, v1
	s_cbranch_execz .LBB378_457
; %bb.454:                              ;   in Loop: Header=BB378_16 Depth=1
	v_mov_b32_e32 v0, 7
	s_mov_b32 s28, exec_lo
	v_and_b32_sdwa v19, v34, v0 dst_sel:DWORD dst_unused:UNUSED_PAD src0_sel:WORD_1 src1_sel:DWORD
	v_mov_b32_e32 v36, v20
	v_lshrrev_b32_e32 v0, 3, v1
	v_mov_b32_e32 v35, v19
	v_cmpx_gt_u32_e32 8, v1
; %bb.455:                              ;   in Loop: Header=BB378_16 Depth=1
	v_ffbh_u32_e32 v0, v19
	v_min_u32_e32 v0, 32, v0
	v_subrev_nc_u32_e32 v1, 28, v0
	v_sub_nc_u32_e32 v0, 29, v0
	v_lshlrev_b64 v[1:2], v1, v[19:20]
	v_and_b32_e32 v35, 7, v1
; %bb.456:                              ;   in Loop: Header=BB378_16 Depth=1
	s_or_b32 exec_lo, exec_lo, s28
	v_mov_b32_e32 v1, 24
	v_lshlrev_b32_e32 v2, 20, v35
	v_lshl_add_u32 v0, v0, 23, 0x3c000000
	v_lshlrev_b32_sdwa v1, v1, v34 dst_sel:DWORD dst_unused:UNUSED_PAD src0_sel:DWORD src1_sel:WORD_1
	v_and_b32_e32 v1, 0x80000000, v1
	v_or3_b32 v10, v2, v1, v0
.LBB378_457:                            ;   in Loop: Header=BB378_16 Depth=1
	s_or_b32 exec_lo, exec_lo, s27
.LBB378_458:                            ;   in Loop: Header=BB378_16 Depth=1
	s_or_b32 exec_lo, exec_lo, s26
.LBB378_459:                            ;   in Loop: Header=BB378_16 Depth=1
	s_or_b32 exec_lo, exec_lo, s25
	s_mov_b32 s25, exec_lo
	v_cmpx_lt_u64_e64 s[20:21], v[33:34]
	s_cbranch_execz .LBB378_467
; %bb.460:                              ;   in Loop: Header=BB378_16 Depth=1
	v_cmp_ne_u32_sdwa s5, v34, v114 src0_sel:BYTE_3 src1_sel:DWORD
	v_bfrev_b32_e32 v11, 1
	s_and_saveexec_b32 s26, s5
	s_cbranch_execz .LBB378_466
; %bb.461:                              ;   in Loop: Header=BB378_16 Depth=1
	v_bfe_u32 v1, v34, 24, 7
	v_mov_b32_e32 v11, 0x7f800001
	s_mov_b32 s27, exec_lo
	v_cmpx_ne_u32_e32 0x7f, v1
	s_cbranch_execz .LBB378_465
; %bb.462:                              ;   in Loop: Header=BB378_16 Depth=1
	v_mov_b32_e32 v0, 7
	s_mov_b32 s28, exec_lo
	v_and_b32_sdwa v19, v34, v0 dst_sel:DWORD dst_unused:UNUSED_PAD src0_sel:BYTE_3 src1_sel:DWORD
	v_mov_b32_e32 v36, v20
	v_lshrrev_b32_e32 v0, 3, v1
	v_mov_b32_e32 v35, v19
	v_cmpx_gt_u32_e32 8, v1
; %bb.463:                              ;   in Loop: Header=BB378_16 Depth=1
	v_ffbh_u32_e32 v0, v19
	v_min_u32_e32 v0, 32, v0
	v_subrev_nc_u32_e32 v1, 28, v0
	v_sub_nc_u32_e32 v0, 29, v0
	v_lshlrev_b64 v[1:2], v1, v[19:20]
	v_and_b32_e32 v35, 7, v1
; %bb.464:                              ;   in Loop: Header=BB378_16 Depth=1
	s_or_b32 exec_lo, exec_lo, s28
	v_mov_b32_e32 v1, 24
	v_lshlrev_b32_e32 v2, 20, v35
	v_lshl_add_u32 v0, v0, 23, 0x3c000000
	v_lshlrev_b32_sdwa v1, v1, v34 dst_sel:DWORD dst_unused:UNUSED_PAD src0_sel:DWORD src1_sel:BYTE_3
	v_and_b32_e32 v1, 0x80000000, v1
	v_or3_b32 v11, v2, v1, v0
.LBB378_465:                            ;   in Loop: Header=BB378_16 Depth=1
	s_or_b32 exec_lo, exec_lo, s27
.LBB378_466:                            ;   in Loop: Header=BB378_16 Depth=1
	s_or_b32 exec_lo, exec_lo, s26
.LBB378_467:                            ;   in Loop: Header=BB378_16 Depth=1
	s_or_b32 exec_lo, exec_lo, s25
	flat_load_dwordx2 v[33:34], v[31:32] offset:1544
	v_mov_b32_e32 v0, 0
	v_mov_b32_e32 v1, 0
	s_waitcnt vmcnt(0) lgkmcnt(0)
	v_cmp_ne_u16_sdwa s5, v33, v20 src0_sel:BYTE_0 src1_sel:DWORD
	s_and_saveexec_b32 s25, s5
	s_cbranch_execz .LBB378_475
; %bb.468:                              ;   in Loop: Header=BB378_16 Depth=1
	v_cmp_ne_u16_sdwa s5, v33, v114 src0_sel:BYTE_0 src1_sel:DWORD
	v_bfrev_b32_e32 v1, 1
	s_and_saveexec_b32 s26, s5
	s_cbranch_execz .LBB378_474
; %bb.469:                              ;   in Loop: Header=BB378_16 Depth=1
	v_and_b32_e32 v2, 0x7f, v33
	v_mov_b32_e32 v1, 0x7f800001
	s_mov_b32 s27, exec_lo
	v_cmpx_ne_u32_e32 0x7f, v2
	s_cbranch_execz .LBB378_473
; %bb.470:                              ;   in Loop: Header=BB378_16 Depth=1
	v_mov_b32_e32 v36, v34
	v_lshrrev_b32_e32 v1, 3, v2
	v_mov_b32_e32 v35, v33
	s_mov_b32 s28, exec_lo
	v_cmpx_gt_u32_e32 8, v2
; %bb.471:                              ;   in Loop: Header=BB378_16 Depth=1
	v_and_b32_e32 v1, 7, v33
	v_ffbh_u32_e32 v1, v1
	v_min_u32_e32 v1, 32, v1
	v_subrev_nc_u32_e32 v2, 28, v1
	v_sub_nc_u32_e32 v1, 29, v1
	v_lshlrev_b64 v[35:36], v2, v[33:34]
; %bb.472:                              ;   in Loop: Header=BB378_16 Depth=1
	s_or_b32 exec_lo, exec_lo, s28
	v_lshlrev_b32_e32 v2, 20, v35
	v_lshlrev_b32_e32 v3, 24, v33
	v_lshl_add_u32 v1, v1, 23, 0x3c000000
	v_and_b32_e32 v2, 0x700000, v2
	v_and_b32_e32 v3, 0x80000000, v3
	v_or3_b32 v1, v2, v3, v1
.LBB378_473:                            ;   in Loop: Header=BB378_16 Depth=1
	s_or_b32 exec_lo, exec_lo, s27
.LBB378_474:                            ;   in Loop: Header=BB378_16 Depth=1
	s_or_b32 exec_lo, exec_lo, s26
.LBB378_475:                            ;   in Loop: Header=BB378_16 Depth=1
	s_or_b32 exec_lo, exec_lo, s25
	v_cmp_ne_u16_sdwa s5, v33, v20 src0_sel:BYTE_1 src1_sel:DWORD
	s_and_saveexec_b32 s25, s5
	s_cbranch_execz .LBB378_483
; %bb.476:                              ;   in Loop: Header=BB378_16 Depth=1
	v_cmp_ne_u16_sdwa s5, v33, v114 src0_sel:BYTE_1 src1_sel:DWORD
	v_bfrev_b32_e32 v0, 1
	s_and_saveexec_b32 s26, s5
	s_cbranch_execz .LBB378_482
; %bb.477:                              ;   in Loop: Header=BB378_16 Depth=1
	v_mov_b32_e32 v0, 0xffff
	s_mov_b32 s27, exec_lo
	v_and_b32_sdwa v3, v0, v33 dst_sel:DWORD dst_unused:UNUSED_PAD src0_sel:DWORD src1_sel:BYTE_1
	v_mov_b32_e32 v0, 0x7f800001
	v_and_b32_e32 v2, 0x7f, v3
	v_cmpx_ne_u32_e32 0x7f, v2
	s_cbranch_execz .LBB378_481
; %bb.478:                              ;   in Loop: Header=BB378_16 Depth=1
	v_and_b32_e32 v19, 7, v3
	v_mov_b32_e32 v36, v20
	v_lshrrev_b32_e32 v0, 3, v2
	s_mov_b32 s28, exec_lo
	v_mov_b32_e32 v35, v19
	v_cmpx_gt_u32_e32 8, v2
; %bb.479:                              ;   in Loop: Header=BB378_16 Depth=1
	v_ffbh_u32_e32 v0, v19
	v_min_u32_e32 v0, 32, v0
	v_subrev_nc_u32_e32 v2, 28, v0
	v_sub_nc_u32_e32 v0, 29, v0
	v_lshlrev_b64 v[2:3], v2, v[19:20]
	v_and_b32_e32 v35, 7, v2
; %bb.480:                              ;   in Loop: Header=BB378_16 Depth=1
	s_or_b32 exec_lo, exec_lo, s28
	v_lshlrev_b32_e32 v2, 16, v33
	v_lshlrev_b32_e32 v3, 20, v35
	v_lshl_add_u32 v0, v0, 23, 0x3c000000
	v_and_b32_e32 v2, 0x80000000, v2
	v_or3_b32 v0, v3, v2, v0
.LBB378_481:                            ;   in Loop: Header=BB378_16 Depth=1
	s_or_b32 exec_lo, exec_lo, s27
.LBB378_482:                            ;   in Loop: Header=BB378_16 Depth=1
	s_or_b32 exec_lo, exec_lo, s26
.LBB378_483:                            ;   in Loop: Header=BB378_16 Depth=1
	s_or_b32 exec_lo, exec_lo, s25
	v_mov_b32_e32 v2, 0xff
	v_mov_b32_e32 v3, 0
	s_mov_b32 s25, exec_lo
	v_and_b32_sdwa v6, v33, v2 dst_sel:DWORD dst_unused:UNUSED_PAD src0_sel:WORD_1 src1_sel:DWORD
	v_mov_b32_e32 v2, 0
	v_cmpx_ne_u16_e32 0, v6
	s_cbranch_execz .LBB378_491
; %bb.484:                              ;   in Loop: Header=BB378_16 Depth=1
	v_bfrev_b32_e32 v3, 1
	s_mov_b32 s26, exec_lo
	v_cmpx_ne_u16_e32 0x80, v6
	s_cbranch_execz .LBB378_490
; %bb.485:                              ;   in Loop: Header=BB378_16 Depth=1
	v_bfe_u32 v6, v33, 16, 7
	v_mov_b32_e32 v3, 0x7f800001
	s_mov_b32 s27, exec_lo
	v_cmpx_ne_u32_e32 0x7f, v6
	s_cbranch_execz .LBB378_489
; %bb.486:                              ;   in Loop: Header=BB378_16 Depth=1
	v_mov_b32_e32 v3, 7
	s_mov_b32 s28, exec_lo
	v_and_b32_sdwa v19, v33, v3 dst_sel:DWORD dst_unused:UNUSED_PAD src0_sel:WORD_1 src1_sel:DWORD
	v_mov_b32_e32 v36, v20
	v_lshrrev_b32_e32 v3, 3, v6
	v_mov_b32_e32 v35, v19
	v_cmpx_gt_u32_e32 8, v6
; %bb.487:                              ;   in Loop: Header=BB378_16 Depth=1
	v_ffbh_u32_e32 v3, v19
	v_min_u32_e32 v3, 32, v3
	v_subrev_nc_u32_e32 v6, 28, v3
	v_sub_nc_u32_e32 v3, 29, v3
	v_lshlrev_b64 v[6:7], v6, v[19:20]
	v_and_b32_e32 v35, 7, v6
; %bb.488:                              ;   in Loop: Header=BB378_16 Depth=1
	s_or_b32 exec_lo, exec_lo, s28
	v_mov_b32_e32 v6, 24
	v_lshlrev_b32_e32 v7, 20, v35
	v_lshl_add_u32 v3, v3, 23, 0x3c000000
	v_lshlrev_b32_sdwa v6, v6, v33 dst_sel:DWORD dst_unused:UNUSED_PAD src0_sel:DWORD src1_sel:WORD_1
	v_and_b32_e32 v6, 0x80000000, v6
	v_or3_b32 v3, v7, v6, v3
.LBB378_489:                            ;   in Loop: Header=BB378_16 Depth=1
	s_or_b32 exec_lo, exec_lo, s27
.LBB378_490:                            ;   in Loop: Header=BB378_16 Depth=1
	s_or_b32 exec_lo, exec_lo, s26
.LBB378_491:                            ;   in Loop: Header=BB378_16 Depth=1
	s_or_b32 exec_lo, exec_lo, s25
	s_mov_b32 s25, exec_lo
	v_cmpx_lt_u32_e32 0xffffff, v33
	s_cbranch_execz .LBB378_499
; %bb.492:                              ;   in Loop: Header=BB378_16 Depth=1
	v_cmp_ne_u32_sdwa s5, v33, v114 src0_sel:BYTE_3 src1_sel:DWORD
	v_bfrev_b32_e32 v2, 1
	s_and_saveexec_b32 s26, s5
	s_cbranch_execz .LBB378_498
; %bb.493:                              ;   in Loop: Header=BB378_16 Depth=1
	v_bfe_u32 v6, v33, 24, 7
	v_mov_b32_e32 v2, 0x7f800001
	s_mov_b32 s27, exec_lo
	v_cmpx_ne_u32_e32 0x7f, v6
	s_cbranch_execz .LBB378_497
; %bb.494:                              ;   in Loop: Header=BB378_16 Depth=1
	v_mov_b32_e32 v2, 7
	s_mov_b32 s28, exec_lo
	v_and_b32_sdwa v19, v33, v2 dst_sel:DWORD dst_unused:UNUSED_PAD src0_sel:BYTE_3 src1_sel:DWORD
	v_mov_b32_e32 v36, v20
	v_lshrrev_b32_e32 v2, 3, v6
	v_mov_b32_e32 v35, v19
	v_cmpx_gt_u32_e32 8, v6
; %bb.495:                              ;   in Loop: Header=BB378_16 Depth=1
	v_ffbh_u32_e32 v2, v19
	v_min_u32_e32 v2, 32, v2
	v_subrev_nc_u32_e32 v6, 28, v2
	v_sub_nc_u32_e32 v2, 29, v2
	v_lshlrev_b64 v[6:7], v6, v[19:20]
	v_and_b32_e32 v35, 7, v6
; %bb.496:                              ;   in Loop: Header=BB378_16 Depth=1
	s_or_b32 exec_lo, exec_lo, s28
	v_mov_b32_e32 v6, 24
	v_lshlrev_b32_e32 v7, 20, v35
	v_lshl_add_u32 v2, v2, 23, 0x3c000000
	v_lshlrev_b32_sdwa v6, v6, v33 dst_sel:DWORD dst_unused:UNUSED_PAD src0_sel:DWORD src1_sel:BYTE_3
	v_and_b32_e32 v6, 0x80000000, v6
	v_or3_b32 v2, v7, v6, v2
.LBB378_497:                            ;   in Loop: Header=BB378_16 Depth=1
	s_or_b32 exec_lo, exec_lo, s27
.LBB378_498:                            ;   in Loop: Header=BB378_16 Depth=1
	s_or_b32 exec_lo, exec_lo, s26
.LBB378_499:                            ;   in Loop: Header=BB378_16 Depth=1
	s_or_b32 exec_lo, exec_lo, s25
	v_mov_b32_e32 v19, v34
	v_cmp_ne_u16_sdwa s5, v34, v20 src0_sel:BYTE_0 src1_sel:DWORD
	v_mov_b32_e32 v6, 0
	v_mov_b32_e32 v48, 0
	s_and_saveexec_b32 s25, s5
	s_cbranch_execz .LBB378_507
; %bb.500:                              ;   in Loop: Header=BB378_16 Depth=1
	v_cmp_ne_u16_sdwa s5, v34, v114 src0_sel:BYTE_0 src1_sel:DWORD
	v_bfrev_b32_e32 v48, 1
	s_and_saveexec_b32 s26, s5
	s_cbranch_execz .LBB378_506
; %bb.501:                              ;   in Loop: Header=BB378_16 Depth=1
	v_and_b32_e32 v8, 0x7f, v34
	v_mov_b32_e32 v48, 0x7f800001
	s_mov_b32 s27, exec_lo
	v_cmpx_ne_u32_e32 0x7f, v8
	s_cbranch_execz .LBB378_505
; %bb.502:                              ;   in Loop: Header=BB378_16 Depth=1
	v_mov_b32_e32 v36, v20
	v_lshrrev_b32_e32 v7, 3, v8
	v_mov_b32_e32 v35, v19
	s_mov_b32 s28, exec_lo
	v_cmpx_gt_u32_e32 8, v8
; %bb.503:                              ;   in Loop: Header=BB378_16 Depth=1
	v_and_b32_e32 v7, 7, v34
	v_ffbh_u32_e32 v7, v7
	v_min_u32_e32 v7, 32, v7
	v_subrev_nc_u32_e32 v8, 28, v7
	v_sub_nc_u32_e32 v7, 29, v7
	v_lshlrev_b64 v[35:36], v8, v[19:20]
; %bb.504:                              ;   in Loop: Header=BB378_16 Depth=1
	s_or_b32 exec_lo, exec_lo, s28
	v_lshlrev_b32_e32 v8, 20, v35
	v_lshlrev_b32_e32 v9, 24, v19
	v_lshl_add_u32 v7, v7, 23, 0x3c000000
	v_and_b32_e32 v8, 0x700000, v8
	v_and_b32_e32 v9, 0x80000000, v9
	v_or3_b32 v48, v8, v9, v7
.LBB378_505:                            ;   in Loop: Header=BB378_16 Depth=1
	s_or_b32 exec_lo, exec_lo, s27
.LBB378_506:                            ;   in Loop: Header=BB378_16 Depth=1
	s_or_b32 exec_lo, exec_lo, s26
.LBB378_507:                            ;   in Loop: Header=BB378_16 Depth=1
	s_or_b32 exec_lo, exec_lo, s25
	v_cmp_ne_u16_sdwa s5, v19, v20 src0_sel:BYTE_1 src1_sel:DWORD
	s_and_saveexec_b32 s25, s5
	s_cbranch_execz .LBB378_515
; %bb.508:                              ;   in Loop: Header=BB378_16 Depth=1
	v_cmp_ne_u16_sdwa s5, v19, v114 src0_sel:BYTE_1 src1_sel:DWORD
	v_bfrev_b32_e32 v6, 1
	s_and_saveexec_b32 s26, s5
	s_cbranch_execz .LBB378_514
; %bb.509:                              ;   in Loop: Header=BB378_16 Depth=1
	v_mov_b32_e32 v6, 0xffff
	s_mov_b32 s27, exec_lo
	v_and_b32_sdwa v8, v6, v19 dst_sel:DWORD dst_unused:UNUSED_PAD src0_sel:DWORD src1_sel:BYTE_1
	v_mov_b32_e32 v6, 0x7f800001
	v_and_b32_e32 v7, 0x7f, v8
	v_cmpx_ne_u32_e32 0x7f, v7
	s_cbranch_execz .LBB378_513
; %bb.510:                              ;   in Loop: Header=BB378_16 Depth=1
	v_and_b32_e32 v35, 7, v8
	v_mov_b32_e32 v36, v20
	v_lshrrev_b32_e32 v6, 3, v7
	s_mov_b32 s28, exec_lo
	v_cmpx_gt_u32_e32 8, v7
; %bb.511:                              ;   in Loop: Header=BB378_16 Depth=1
	v_ffbh_u32_e32 v6, v35
	v_min_u32_e32 v6, 32, v6
	v_subrev_nc_u32_e32 v7, 28, v6
	v_sub_nc_u32_e32 v6, 29, v6
	v_lshlrev_b64 v[7:8], v7, v[35:36]
	v_and_b32_e32 v35, 7, v7
; %bb.512:                              ;   in Loop: Header=BB378_16 Depth=1
	s_or_b32 exec_lo, exec_lo, s28
	v_lshlrev_b32_e32 v7, 16, v19
	v_lshlrev_b32_e32 v8, 20, v35
	v_lshl_add_u32 v6, v6, 23, 0x3c000000
	v_and_b32_e32 v7, 0x80000000, v7
	v_or3_b32 v6, v8, v7, v6
.LBB378_513:                            ;   in Loop: Header=BB378_16 Depth=1
	s_or_b32 exec_lo, exec_lo, s27
.LBB378_514:                            ;   in Loop: Header=BB378_16 Depth=1
	s_or_b32 exec_lo, exec_lo, s26
.LBB378_515:                            ;   in Loop: Header=BB378_16 Depth=1
	s_or_b32 exec_lo, exec_lo, s25
	v_mov_b32_e32 v7, 0xff
	v_mov_b32_e32 v14, 0
	s_mov_b32 s25, exec_lo
	v_and_b32_sdwa v8, v34, v7 dst_sel:DWORD dst_unused:UNUSED_PAD src0_sel:WORD_1 src1_sel:DWORD
	v_mov_b32_e32 v7, 0
	v_cmpx_ne_u16_e32 0, v8
	s_cbranch_execz .LBB378_523
; %bb.516:                              ;   in Loop: Header=BB378_16 Depth=1
	v_bfrev_b32_e32 v14, 1
	s_mov_b32 s26, exec_lo
	v_cmpx_ne_u16_e32 0x80, v8
	s_cbranch_execz .LBB378_522
; %bb.517:                              ;   in Loop: Header=BB378_16 Depth=1
	v_bfe_u32 v9, v34, 16, 7
	v_mov_b32_e32 v14, 0x7f800001
	s_mov_b32 s27, exec_lo
	v_cmpx_ne_u32_e32 0x7f, v9
	s_cbranch_execz .LBB378_521
; %bb.518:                              ;   in Loop: Header=BB378_16 Depth=1
	v_mov_b32_e32 v8, 7
	s_mov_b32 s28, exec_lo
	v_and_b32_sdwa v19, v34, v8 dst_sel:DWORD dst_unused:UNUSED_PAD src0_sel:WORD_1 src1_sel:DWORD
	v_mov_b32_e32 v36, v20
	v_lshrrev_b32_e32 v8, 3, v9
	v_mov_b32_e32 v35, v19
	v_cmpx_gt_u32_e32 8, v9
; %bb.519:                              ;   in Loop: Header=BB378_16 Depth=1
	v_ffbh_u32_e32 v8, v19
	v_min_u32_e32 v8, 32, v8
	v_subrev_nc_u32_e32 v9, 28, v8
	v_sub_nc_u32_e32 v8, 29, v8
	v_lshlrev_b64 v[12:13], v9, v[19:20]
	v_and_b32_e32 v35, 7, v12
; %bb.520:                              ;   in Loop: Header=BB378_16 Depth=1
	s_or_b32 exec_lo, exec_lo, s28
	v_mov_b32_e32 v9, 24
	v_lshlrev_b32_e32 v12, 20, v35
	v_lshl_add_u32 v8, v8, 23, 0x3c000000
	v_lshlrev_b32_sdwa v9, v9, v34 dst_sel:DWORD dst_unused:UNUSED_PAD src0_sel:DWORD src1_sel:WORD_1
	v_and_b32_e32 v9, 0x80000000, v9
	v_or3_b32 v14, v12, v9, v8
.LBB378_521:                            ;   in Loop: Header=BB378_16 Depth=1
	s_or_b32 exec_lo, exec_lo, s27
.LBB378_522:                            ;   in Loop: Header=BB378_16 Depth=1
	s_or_b32 exec_lo, exec_lo, s26
.LBB378_523:                            ;   in Loop: Header=BB378_16 Depth=1
	s_or_b32 exec_lo, exec_lo, s25
	s_mov_b32 s25, exec_lo
	v_cmpx_lt_u64_e64 s[20:21], v[33:34]
	s_cbranch_execz .LBB378_531
; %bb.524:                              ;   in Loop: Header=BB378_16 Depth=1
	v_cmp_ne_u32_sdwa s5, v34, v114 src0_sel:BYTE_3 src1_sel:DWORD
	v_bfrev_b32_e32 v7, 1
	s_and_saveexec_b32 s26, s5
	s_cbranch_execz .LBB378_530
; %bb.525:                              ;   in Loop: Header=BB378_16 Depth=1
	v_bfe_u32 v8, v34, 24, 7
	v_mov_b32_e32 v7, 0x7f800001
	s_mov_b32 s27, exec_lo
	v_cmpx_ne_u32_e32 0x7f, v8
	s_cbranch_execz .LBB378_529
; %bb.526:                              ;   in Loop: Header=BB378_16 Depth=1
	v_mov_b32_e32 v7, 7
	s_mov_b32 s28, exec_lo
	v_and_b32_sdwa v19, v34, v7 dst_sel:DWORD dst_unused:UNUSED_PAD src0_sel:BYTE_3 src1_sel:DWORD
	v_mov_b32_e32 v36, v20
	v_lshrrev_b32_e32 v7, 3, v8
	v_mov_b32_e32 v35, v19
	v_cmpx_gt_u32_e32 8, v8
; %bb.527:                              ;   in Loop: Header=BB378_16 Depth=1
	v_ffbh_u32_e32 v7, v19
	v_min_u32_e32 v7, 32, v7
	v_subrev_nc_u32_e32 v8, 28, v7
	v_sub_nc_u32_e32 v7, 29, v7
	v_lshlrev_b64 v[8:9], v8, v[19:20]
	v_and_b32_e32 v35, 7, v8
; %bb.528:                              ;   in Loop: Header=BB378_16 Depth=1
	s_or_b32 exec_lo, exec_lo, s28
	v_mov_b32_e32 v8, 24
	v_lshlrev_b32_e32 v9, 20, v35
	v_lshl_add_u32 v7, v7, 23, 0x3c000000
	v_lshlrev_b32_sdwa v8, v8, v34 dst_sel:DWORD dst_unused:UNUSED_PAD src0_sel:DWORD src1_sel:BYTE_3
	v_and_b32_e32 v8, 0x80000000, v8
	v_or3_b32 v7, v9, v8, v7
.LBB378_529:                            ;   in Loop: Header=BB378_16 Depth=1
	s_or_b32 exec_lo, exec_lo, s27
.LBB378_530:                            ;   in Loop: Header=BB378_16 Depth=1
	s_or_b32 exec_lo, exec_lo, s26
.LBB378_531:                            ;   in Loop: Header=BB378_16 Depth=1
	s_or_b32 exec_lo, exec_lo, s25
	v_add_co_u32 v31, s5, 0x800, v31
	v_add_co_ci_u32_e64 v32, null, 0, v32, s5
	v_mov_b32_e32 v50, 0
	v_mov_b32_e32 v16, 0
	flat_load_dwordx2 v[33:34], v[31:32]
	s_waitcnt vmcnt(0) lgkmcnt(0)
	v_cmp_ne_u16_sdwa s5, v33, v20 src0_sel:BYTE_0 src1_sel:DWORD
	s_and_saveexec_b32 s25, s5
	s_cbranch_execz .LBB378_539
; %bb.532:                              ;   in Loop: Header=BB378_16 Depth=1
	v_cmp_ne_u16_sdwa s5, v33, v114 src0_sel:BYTE_0 src1_sel:DWORD
	v_bfrev_b32_e32 v16, 1
	s_and_saveexec_b32 s26, s5
	s_cbranch_execz .LBB378_538
; %bb.533:                              ;   in Loop: Header=BB378_16 Depth=1
	v_and_b32_e32 v9, 0x7f, v33
	v_mov_b32_e32 v16, 0x7f800001
	s_mov_b32 s27, exec_lo
	v_cmpx_ne_u32_e32 0x7f, v9
	s_cbranch_execz .LBB378_537
; %bb.534:                              ;   in Loop: Header=BB378_16 Depth=1
	v_mov_b32_e32 v36, v34
	v_lshrrev_b32_e32 v8, 3, v9
	v_mov_b32_e32 v35, v33
	s_mov_b32 s28, exec_lo
	v_cmpx_gt_u32_e32 8, v9
; %bb.535:                              ;   in Loop: Header=BB378_16 Depth=1
	v_and_b32_e32 v8, 7, v33
	v_ffbh_u32_e32 v8, v8
	v_min_u32_e32 v8, 32, v8
	v_subrev_nc_u32_e32 v9, 28, v8
	v_sub_nc_u32_e32 v8, 29, v8
	v_lshlrev_b64 v[35:36], v9, v[33:34]
; %bb.536:                              ;   in Loop: Header=BB378_16 Depth=1
	s_or_b32 exec_lo, exec_lo, s28
	v_lshlrev_b32_e32 v9, 20, v35
	v_lshlrev_b32_e32 v12, 24, v33
	v_lshl_add_u32 v8, v8, 23, 0x3c000000
	v_and_b32_e32 v9, 0x700000, v9
	v_and_b32_e32 v12, 0x80000000, v12
	v_or3_b32 v16, v9, v12, v8
.LBB378_537:                            ;   in Loop: Header=BB378_16 Depth=1
	s_or_b32 exec_lo, exec_lo, s27
.LBB378_538:                            ;   in Loop: Header=BB378_16 Depth=1
	s_or_b32 exec_lo, exec_lo, s26
.LBB378_539:                            ;   in Loop: Header=BB378_16 Depth=1
	s_or_b32 exec_lo, exec_lo, s25
	v_cmp_ne_u16_sdwa s5, v33, v20 src0_sel:BYTE_1 src1_sel:DWORD
	s_and_saveexec_b32 s25, s5
	s_cbranch_execz .LBB378_547
; %bb.540:                              ;   in Loop: Header=BB378_16 Depth=1
	v_cmp_ne_u16_sdwa s5, v33, v114 src0_sel:BYTE_1 src1_sel:DWORD
	v_bfrev_b32_e32 v50, 1
	s_and_saveexec_b32 s26, s5
	s_cbranch_execz .LBB378_546
; %bb.541:                              ;   in Loop: Header=BB378_16 Depth=1
	v_mov_b32_e32 v8, 0xffff
	v_mov_b32_e32 v50, 0x7f800001
	s_mov_b32 s27, exec_lo
	v_and_b32_sdwa v8, v8, v33 dst_sel:DWORD dst_unused:UNUSED_PAD src0_sel:DWORD src1_sel:BYTE_1
	v_and_b32_e32 v9, 0x7f, v8
	v_cmpx_ne_u32_e32 0x7f, v9
	s_cbranch_execz .LBB378_545
; %bb.542:                              ;   in Loop: Header=BB378_16 Depth=1
	v_and_b32_e32 v19, 7, v8
	v_mov_b32_e32 v36, v20
	v_lshrrev_b32_e32 v8, 3, v9
	s_mov_b32 s28, exec_lo
	v_mov_b32_e32 v35, v19
	v_cmpx_gt_u32_e32 8, v9
; %bb.543:                              ;   in Loop: Header=BB378_16 Depth=1
	v_ffbh_u32_e32 v8, v19
	v_min_u32_e32 v8, 32, v8
	v_subrev_nc_u32_e32 v9, 28, v8
	v_sub_nc_u32_e32 v8, 29, v8
	v_lshlrev_b64 v[12:13], v9, v[19:20]
	v_and_b32_e32 v35, 7, v12
; %bb.544:                              ;   in Loop: Header=BB378_16 Depth=1
	s_or_b32 exec_lo, exec_lo, s28
	v_lshlrev_b32_e32 v9, 16, v33
	v_lshlrev_b32_e32 v12, 20, v35
	v_lshl_add_u32 v8, v8, 23, 0x3c000000
	v_and_b32_e32 v9, 0x80000000, v9
	v_or3_b32 v50, v12, v9, v8
.LBB378_545:                            ;   in Loop: Header=BB378_16 Depth=1
	s_or_b32 exec_lo, exec_lo, s27
.LBB378_546:                            ;   in Loop: Header=BB378_16 Depth=1
	s_or_b32 exec_lo, exec_lo, s26
.LBB378_547:                            ;   in Loop: Header=BB378_16 Depth=1
	s_or_b32 exec_lo, exec_lo, s25
	v_mov_b32_e32 v8, 0xff
	v_mov_b32_e32 v15, 0
	v_mov_b32_e32 v54, 0
	s_mov_b32 s25, exec_lo
	v_and_b32_sdwa v8, v33, v8 dst_sel:DWORD dst_unused:UNUSED_PAD src0_sel:WORD_1 src1_sel:DWORD
	v_cmpx_ne_u16_e32 0, v8
	s_cbranch_execz .LBB378_555
; %bb.548:                              ;   in Loop: Header=BB378_16 Depth=1
	v_bfrev_b32_e32 v54, 1
	s_mov_b32 s26, exec_lo
	v_cmpx_ne_u16_e32 0x80, v8
	s_cbranch_execz .LBB378_554
; %bb.549:                              ;   in Loop: Header=BB378_16 Depth=1
	v_bfe_u32 v9, v33, 16, 7
	v_mov_b32_e32 v54, 0x7f800001
	s_mov_b32 s27, exec_lo
	v_cmpx_ne_u32_e32 0x7f, v9
	s_cbranch_execz .LBB378_553
; %bb.550:                              ;   in Loop: Header=BB378_16 Depth=1
	v_mov_b32_e32 v8, 7
	s_mov_b32 s28, exec_lo
	v_and_b32_sdwa v19, v33, v8 dst_sel:DWORD dst_unused:UNUSED_PAD src0_sel:WORD_1 src1_sel:DWORD
	v_mov_b32_e32 v36, v20
	v_lshrrev_b32_e32 v8, 3, v9
	v_mov_b32_e32 v35, v19
	v_cmpx_gt_u32_e32 8, v9
; %bb.551:                              ;   in Loop: Header=BB378_16 Depth=1
	v_ffbh_u32_e32 v8, v19
	v_min_u32_e32 v8, 32, v8
	v_subrev_nc_u32_e32 v9, 28, v8
	v_sub_nc_u32_e32 v8, 29, v8
	v_lshlrev_b64 v[12:13], v9, v[19:20]
	v_and_b32_e32 v35, 7, v12
; %bb.552:                              ;   in Loop: Header=BB378_16 Depth=1
	s_or_b32 exec_lo, exec_lo, s28
	v_mov_b32_e32 v9, 24
	v_lshlrev_b32_e32 v12, 20, v35
	v_lshl_add_u32 v8, v8, 23, 0x3c000000
	v_lshlrev_b32_sdwa v9, v9, v33 dst_sel:DWORD dst_unused:UNUSED_PAD src0_sel:DWORD src1_sel:WORD_1
	v_and_b32_e32 v9, 0x80000000, v9
	v_or3_b32 v54, v12, v9, v8
.LBB378_553:                            ;   in Loop: Header=BB378_16 Depth=1
	s_or_b32 exec_lo, exec_lo, s27
.LBB378_554:                            ;   in Loop: Header=BB378_16 Depth=1
	s_or_b32 exec_lo, exec_lo, s26
.LBB378_555:                            ;   in Loop: Header=BB378_16 Depth=1
	s_or_b32 exec_lo, exec_lo, s25
	s_mov_b32 s25, exec_lo
	v_cmpx_lt_u32_e32 0xffffff, v33
	s_cbranch_execz .LBB378_563
; %bb.556:                              ;   in Loop: Header=BB378_16 Depth=1
	v_cmp_ne_u32_sdwa s5, v33, v114 src0_sel:BYTE_3 src1_sel:DWORD
	v_bfrev_b32_e32 v15, 1
	s_and_saveexec_b32 s26, s5
	s_cbranch_execz .LBB378_562
; %bb.557:                              ;   in Loop: Header=BB378_16 Depth=1
	v_bfe_u32 v9, v33, 24, 7
	v_mov_b32_e32 v15, 0x7f800001
	s_mov_b32 s27, exec_lo
	v_cmpx_ne_u32_e32 0x7f, v9
	s_cbranch_execz .LBB378_561
; %bb.558:                              ;   in Loop: Header=BB378_16 Depth=1
	v_mov_b32_e32 v8, 7
	s_mov_b32 s28, exec_lo
	v_and_b32_sdwa v19, v33, v8 dst_sel:DWORD dst_unused:UNUSED_PAD src0_sel:BYTE_3 src1_sel:DWORD
	v_mov_b32_e32 v36, v20
	v_lshrrev_b32_e32 v8, 3, v9
	v_mov_b32_e32 v35, v19
	v_cmpx_gt_u32_e32 8, v9
; %bb.559:                              ;   in Loop: Header=BB378_16 Depth=1
	v_ffbh_u32_e32 v8, v19
	v_min_u32_e32 v8, 32, v8
	v_subrev_nc_u32_e32 v9, 28, v8
	v_sub_nc_u32_e32 v8, 29, v8
	v_lshlrev_b64 v[12:13], v9, v[19:20]
	v_and_b32_e32 v35, 7, v12
; %bb.560:                              ;   in Loop: Header=BB378_16 Depth=1
	s_or_b32 exec_lo, exec_lo, s28
	v_mov_b32_e32 v9, 24
	v_lshlrev_b32_e32 v12, 20, v35
	v_lshl_add_u32 v8, v8, 23, 0x3c000000
	v_lshlrev_b32_sdwa v9, v9, v33 dst_sel:DWORD dst_unused:UNUSED_PAD src0_sel:DWORD src1_sel:BYTE_3
	v_and_b32_e32 v9, 0x80000000, v9
	v_or3_b32 v15, v12, v9, v8
.LBB378_561:                            ;   in Loop: Header=BB378_16 Depth=1
	s_or_b32 exec_lo, exec_lo, s27
.LBB378_562:                            ;   in Loop: Header=BB378_16 Depth=1
	s_or_b32 exec_lo, exec_lo, s26
.LBB378_563:                            ;   in Loop: Header=BB378_16 Depth=1
	s_or_b32 exec_lo, exec_lo, s25
	v_mov_b32_e32 v19, v34
	v_cmp_ne_u16_sdwa s5, v34, v20 src0_sel:BYTE_0 src1_sel:DWORD
	v_mov_b32_e32 v37, 0
	v_mov_b32_e32 v12, 0
	s_and_saveexec_b32 s25, s5
	s_cbranch_execz .LBB378_571
; %bb.564:                              ;   in Loop: Header=BB378_16 Depth=1
	v_cmp_ne_u16_sdwa s5, v34, v114 src0_sel:BYTE_0 src1_sel:DWORD
	v_bfrev_b32_e32 v12, 1
	s_and_saveexec_b32 s26, s5
	s_cbranch_execz .LBB378_570
; %bb.565:                              ;   in Loop: Header=BB378_16 Depth=1
	v_and_b32_e32 v9, 0x7f, v34
	v_mov_b32_e32 v12, 0x7f800001
	s_mov_b32 s27, exec_lo
	v_cmpx_ne_u32_e32 0x7f, v9
	s_cbranch_execz .LBB378_569
; %bb.566:                              ;   in Loop: Header=BB378_16 Depth=1
	v_mov_b32_e32 v36, v20
	v_lshrrev_b32_e32 v8, 3, v9
	v_mov_b32_e32 v35, v19
	s_mov_b32 s28, exec_lo
	v_cmpx_gt_u32_e32 8, v9
; %bb.567:                              ;   in Loop: Header=BB378_16 Depth=1
	v_and_b32_e32 v8, 7, v34
	v_ffbh_u32_e32 v8, v8
	v_min_u32_e32 v8, 32, v8
	v_subrev_nc_u32_e32 v9, 28, v8
	v_sub_nc_u32_e32 v8, 29, v8
	v_lshlrev_b64 v[35:36], v9, v[19:20]
; %bb.568:                              ;   in Loop: Header=BB378_16 Depth=1
	s_or_b32 exec_lo, exec_lo, s28
	v_lshlrev_b32_e32 v9, 20, v35
	v_lshlrev_b32_e32 v12, 24, v19
	v_lshl_add_u32 v8, v8, 23, 0x3c000000
	v_and_b32_e32 v9, 0x700000, v9
	v_and_b32_e32 v12, 0x80000000, v12
	v_or3_b32 v12, v9, v12, v8
.LBB378_569:                            ;   in Loop: Header=BB378_16 Depth=1
	s_or_b32 exec_lo, exec_lo, s27
.LBB378_570:                            ;   in Loop: Header=BB378_16 Depth=1
	s_or_b32 exec_lo, exec_lo, s26
.LBB378_571:                            ;   in Loop: Header=BB378_16 Depth=1
	s_or_b32 exec_lo, exec_lo, s25
	v_cmp_ne_u16_sdwa s5, v19, v20 src0_sel:BYTE_1 src1_sel:DWORD
	s_and_saveexec_b32 s25, s5
	s_cbranch_execz .LBB378_579
; %bb.572:                              ;   in Loop: Header=BB378_16 Depth=1
	v_cmp_ne_u16_sdwa s5, v19, v114 src0_sel:BYTE_1 src1_sel:DWORD
	v_bfrev_b32_e32 v37, 1
	s_and_saveexec_b32 s26, s5
	s_cbranch_execz .LBB378_578
; %bb.573:                              ;   in Loop: Header=BB378_16 Depth=1
	v_mov_b32_e32 v8, 0xffff
	v_mov_b32_e32 v37, 0x7f800001
	s_mov_b32 s27, exec_lo
	v_and_b32_sdwa v8, v8, v19 dst_sel:DWORD dst_unused:UNUSED_PAD src0_sel:DWORD src1_sel:BYTE_1
	v_and_b32_e32 v9, 0x7f, v8
	v_cmpx_ne_u32_e32 0x7f, v9
	s_cbranch_execz .LBB378_577
; %bb.574:                              ;   in Loop: Header=BB378_16 Depth=1
	v_and_b32_e32 v35, 7, v8
	v_mov_b32_e32 v36, v20
	v_lshrrev_b32_e32 v8, 3, v9
	s_mov_b32 s28, exec_lo
	v_cmpx_gt_u32_e32 8, v9
; %bb.575:                              ;   in Loop: Header=BB378_16 Depth=1
	v_ffbh_u32_e32 v8, v35
	v_min_u32_e32 v8, 32, v8
	v_subrev_nc_u32_e32 v9, 28, v8
	v_sub_nc_u32_e32 v8, 29, v8
	v_lshlrev_b64 v[24:25], v9, v[35:36]
	v_and_b32_e32 v35, 7, v24
; %bb.576:                              ;   in Loop: Header=BB378_16 Depth=1
	s_or_b32 exec_lo, exec_lo, s28
	v_lshlrev_b32_e32 v9, 16, v19
	v_lshlrev_b32_e32 v13, 20, v35
	v_lshl_add_u32 v8, v8, 23, 0x3c000000
	v_and_b32_e32 v9, 0x80000000, v9
	v_or3_b32 v37, v13, v9, v8
.LBB378_577:                            ;   in Loop: Header=BB378_16 Depth=1
	s_or_b32 exec_lo, exec_lo, s27
.LBB378_578:                            ;   in Loop: Header=BB378_16 Depth=1
	s_or_b32 exec_lo, exec_lo, s26
.LBB378_579:                            ;   in Loop: Header=BB378_16 Depth=1
	s_or_b32 exec_lo, exec_lo, s25
	v_mov_b32_e32 v8, 0xff
	v_mov_b32_e32 v27, 0
	;; [unrolled: 1-line block ×3, first 2 shown]
	s_mov_b32 s25, exec_lo
	v_and_b32_sdwa v8, v34, v8 dst_sel:DWORD dst_unused:UNUSED_PAD src0_sel:WORD_1 src1_sel:DWORD
	v_cmpx_ne_u16_e32 0, v8
	s_cbranch_execz .LBB378_587
; %bb.580:                              ;   in Loop: Header=BB378_16 Depth=1
	v_bfrev_b32_e32 v26, 1
	s_mov_b32 s26, exec_lo
	v_cmpx_ne_u16_e32 0x80, v8
	s_cbranch_execz .LBB378_586
; %bb.581:                              ;   in Loop: Header=BB378_16 Depth=1
	v_bfe_u32 v9, v34, 16, 7
	v_mov_b32_e32 v26, 0x7f800001
	s_mov_b32 s27, exec_lo
	v_cmpx_ne_u32_e32 0x7f, v9
	s_cbranch_execz .LBB378_585
; %bb.582:                              ;   in Loop: Header=BB378_16 Depth=1
	v_mov_b32_e32 v8, 7
	s_mov_b32 s28, exec_lo
	v_and_b32_sdwa v19, v34, v8 dst_sel:DWORD dst_unused:UNUSED_PAD src0_sel:WORD_1 src1_sel:DWORD
	v_mov_b32_e32 v36, v20
	v_lshrrev_b32_e32 v8, 3, v9
	v_mov_b32_e32 v35, v19
	v_cmpx_gt_u32_e32 8, v9
; %bb.583:                              ;   in Loop: Header=BB378_16 Depth=1
	v_ffbh_u32_e32 v8, v19
	v_min_u32_e32 v8, 32, v8
	v_subrev_nc_u32_e32 v9, 28, v8
	v_sub_nc_u32_e32 v8, 29, v8
	v_lshlrev_b64 v[24:25], v9, v[19:20]
	v_and_b32_e32 v35, 7, v24
; %bb.584:                              ;   in Loop: Header=BB378_16 Depth=1
	s_or_b32 exec_lo, exec_lo, s28
	v_mov_b32_e32 v9, 24
	v_lshlrev_b32_e32 v13, 20, v35
	v_lshl_add_u32 v8, v8, 23, 0x3c000000
	v_lshlrev_b32_sdwa v9, v9, v34 dst_sel:DWORD dst_unused:UNUSED_PAD src0_sel:DWORD src1_sel:WORD_1
	v_and_b32_e32 v9, 0x80000000, v9
	v_or3_b32 v26, v13, v9, v8
.LBB378_585:                            ;   in Loop: Header=BB378_16 Depth=1
	s_or_b32 exec_lo, exec_lo, s27
.LBB378_586:                            ;   in Loop: Header=BB378_16 Depth=1
	s_or_b32 exec_lo, exec_lo, s26
.LBB378_587:                            ;   in Loop: Header=BB378_16 Depth=1
	s_or_b32 exec_lo, exec_lo, s25
	s_mov_b32 s25, exec_lo
	v_cmpx_lt_u64_e64 s[20:21], v[33:34]
	s_cbranch_execz .LBB378_595
; %bb.588:                              ;   in Loop: Header=BB378_16 Depth=1
	v_cmp_ne_u32_sdwa s5, v34, v114 src0_sel:BYTE_3 src1_sel:DWORD
	v_bfrev_b32_e32 v27, 1
	s_and_saveexec_b32 s26, s5
	s_cbranch_execz .LBB378_594
; %bb.589:                              ;   in Loop: Header=BB378_16 Depth=1
	v_bfe_u32 v9, v34, 24, 7
	v_mov_b32_e32 v27, 0x7f800001
	s_mov_b32 s27, exec_lo
	v_cmpx_ne_u32_e32 0x7f, v9
	s_cbranch_execz .LBB378_593
; %bb.590:                              ;   in Loop: Header=BB378_16 Depth=1
	v_mov_b32_e32 v8, 7
	s_mov_b32 s28, exec_lo
	v_and_b32_sdwa v19, v34, v8 dst_sel:DWORD dst_unused:UNUSED_PAD src0_sel:BYTE_3 src1_sel:DWORD
	v_mov_b32_e32 v36, v20
	v_lshrrev_b32_e32 v8, 3, v9
	v_mov_b32_e32 v35, v19
	v_cmpx_gt_u32_e32 8, v9
; %bb.591:                              ;   in Loop: Header=BB378_16 Depth=1
	v_ffbh_u32_e32 v8, v19
	v_min_u32_e32 v8, 32, v8
	v_subrev_nc_u32_e32 v9, 28, v8
	v_sub_nc_u32_e32 v8, 29, v8
	v_lshlrev_b64 v[24:25], v9, v[19:20]
	v_and_b32_e32 v35, 7, v24
; %bb.592:                              ;   in Loop: Header=BB378_16 Depth=1
	s_or_b32 exec_lo, exec_lo, s28
	v_mov_b32_e32 v9, 24
	v_lshlrev_b32_e32 v13, 20, v35
	v_lshl_add_u32 v8, v8, 23, 0x3c000000
	v_lshlrev_b32_sdwa v9, v9, v34 dst_sel:DWORD dst_unused:UNUSED_PAD src0_sel:DWORD src1_sel:BYTE_3
	v_and_b32_e32 v9, 0x80000000, v9
	v_or3_b32 v27, v13, v9, v8
.LBB378_593:                            ;   in Loop: Header=BB378_16 Depth=1
	s_or_b32 exec_lo, exec_lo, s27
.LBB378_594:                            ;   in Loop: Header=BB378_16 Depth=1
	s_or_b32 exec_lo, exec_lo, s26
.LBB378_595:                            ;   in Loop: Header=BB378_16 Depth=1
	s_or_b32 exec_lo, exec_lo, s25
	flat_load_dwordx2 v[33:34], v[31:32] offset:8
	v_mov_b32_e32 v65, 0
	v_mov_b32_e32 v51, 0
	s_waitcnt vmcnt(0) lgkmcnt(0)
	v_cmp_ne_u16_sdwa s5, v33, v20 src0_sel:BYTE_0 src1_sel:DWORD
	s_and_saveexec_b32 s25, s5
	s_cbranch_execz .LBB378_603
; %bb.596:                              ;   in Loop: Header=BB378_16 Depth=1
	v_cmp_ne_u16_sdwa s5, v33, v114 src0_sel:BYTE_0 src1_sel:DWORD
	v_bfrev_b32_e32 v51, 1
	s_and_saveexec_b32 s26, s5
	s_cbranch_execz .LBB378_602
; %bb.597:                              ;   in Loop: Header=BB378_16 Depth=1
	v_and_b32_e32 v9, 0x7f, v33
	v_mov_b32_e32 v51, 0x7f800001
	s_mov_b32 s27, exec_lo
	v_cmpx_ne_u32_e32 0x7f, v9
	s_cbranch_execz .LBB378_601
; %bb.598:                              ;   in Loop: Header=BB378_16 Depth=1
	v_mov_b32_e32 v36, v34
	v_lshrrev_b32_e32 v8, 3, v9
	v_mov_b32_e32 v35, v33
	s_mov_b32 s28, exec_lo
	v_cmpx_gt_u32_e32 8, v9
; %bb.599:                              ;   in Loop: Header=BB378_16 Depth=1
	v_and_b32_e32 v8, 7, v33
	v_ffbh_u32_e32 v8, v8
	v_min_u32_e32 v8, 32, v8
	v_subrev_nc_u32_e32 v9, 28, v8
	v_sub_nc_u32_e32 v8, 29, v8
	v_lshlrev_b64 v[35:36], v9, v[33:34]
; %bb.600:                              ;   in Loop: Header=BB378_16 Depth=1
	s_or_b32 exec_lo, exec_lo, s28
	v_lshlrev_b32_e32 v9, 20, v35
	v_lshlrev_b32_e32 v13, 24, v33
	v_lshl_add_u32 v8, v8, 23, 0x3c000000
	v_and_b32_e32 v9, 0x700000, v9
	v_and_b32_e32 v13, 0x80000000, v13
	v_or3_b32 v51, v9, v13, v8
.LBB378_601:                            ;   in Loop: Header=BB378_16 Depth=1
	s_or_b32 exec_lo, exec_lo, s27
.LBB378_602:                            ;   in Loop: Header=BB378_16 Depth=1
	s_or_b32 exec_lo, exec_lo, s26
.LBB378_603:                            ;   in Loop: Header=BB378_16 Depth=1
	s_or_b32 exec_lo, exec_lo, s25
	v_cmp_ne_u16_sdwa s5, v33, v20 src0_sel:BYTE_1 src1_sel:DWORD
	s_and_saveexec_b32 s25, s5
	s_cbranch_execz .LBB378_611
; %bb.604:                              ;   in Loop: Header=BB378_16 Depth=1
	v_cmp_ne_u16_sdwa s5, v33, v114 src0_sel:BYTE_1 src1_sel:DWORD
	v_bfrev_b32_e32 v65, 1
	s_and_saveexec_b32 s26, s5
	s_cbranch_execz .LBB378_610
; %bb.605:                              ;   in Loop: Header=BB378_16 Depth=1
	v_mov_b32_e32 v8, 0xffff
	v_mov_b32_e32 v65, 0x7f800001
	s_mov_b32 s27, exec_lo
	v_and_b32_sdwa v8, v8, v33 dst_sel:DWORD dst_unused:UNUSED_PAD src0_sel:DWORD src1_sel:BYTE_1
	v_and_b32_e32 v9, 0x7f, v8
	v_cmpx_ne_u32_e32 0x7f, v9
	s_cbranch_execz .LBB378_609
; %bb.606:                              ;   in Loop: Header=BB378_16 Depth=1
	v_and_b32_e32 v19, 7, v8
	v_mov_b32_e32 v36, v20
	v_lshrrev_b32_e32 v8, 3, v9
	s_mov_b32 s28, exec_lo
	v_mov_b32_e32 v35, v19
	v_cmpx_gt_u32_e32 8, v9
; %bb.607:                              ;   in Loop: Header=BB378_16 Depth=1
	v_ffbh_u32_e32 v8, v19
	v_min_u32_e32 v8, 32, v8
	v_subrev_nc_u32_e32 v9, 28, v8
	v_sub_nc_u32_e32 v8, 29, v8
	v_lshlrev_b64 v[24:25], v9, v[19:20]
	v_and_b32_e32 v35, 7, v24
; %bb.608:                              ;   in Loop: Header=BB378_16 Depth=1
	s_or_b32 exec_lo, exec_lo, s28
	v_lshlrev_b32_e32 v9, 16, v33
	v_lshlrev_b32_e32 v13, 20, v35
	v_lshl_add_u32 v8, v8, 23, 0x3c000000
	v_and_b32_e32 v9, 0x80000000, v9
	v_or3_b32 v65, v13, v9, v8
.LBB378_609:                            ;   in Loop: Header=BB378_16 Depth=1
	s_or_b32 exec_lo, exec_lo, s27
.LBB378_610:                            ;   in Loop: Header=BB378_16 Depth=1
	s_or_b32 exec_lo, exec_lo, s26
.LBB378_611:                            ;   in Loop: Header=BB378_16 Depth=1
	s_or_b32 exec_lo, exec_lo, s25
	v_mov_b32_e32 v8, 0xff
	v_mov_b32_e32 v30, 0
	;; [unrolled: 1-line block ×3, first 2 shown]
	s_mov_b32 s25, exec_lo
	v_and_b32_sdwa v8, v33, v8 dst_sel:DWORD dst_unused:UNUSED_PAD src0_sel:WORD_1 src1_sel:DWORD
	v_cmpx_ne_u16_e32 0, v8
	s_cbranch_execz .LBB378_619
; %bb.612:                              ;   in Loop: Header=BB378_16 Depth=1
	v_bfrev_b32_e32 v53, 1
	s_mov_b32 s26, exec_lo
	v_cmpx_ne_u16_e32 0x80, v8
	s_cbranch_execz .LBB378_618
; %bb.613:                              ;   in Loop: Header=BB378_16 Depth=1
	v_bfe_u32 v9, v33, 16, 7
	v_mov_b32_e32 v53, 0x7f800001
	s_mov_b32 s27, exec_lo
	v_cmpx_ne_u32_e32 0x7f, v9
	s_cbranch_execz .LBB378_617
; %bb.614:                              ;   in Loop: Header=BB378_16 Depth=1
	v_mov_b32_e32 v8, 7
	s_mov_b32 s28, exec_lo
	v_and_b32_sdwa v19, v33, v8 dst_sel:DWORD dst_unused:UNUSED_PAD src0_sel:WORD_1 src1_sel:DWORD
	v_mov_b32_e32 v36, v20
	v_lshrrev_b32_e32 v8, 3, v9
	v_mov_b32_e32 v35, v19
	v_cmpx_gt_u32_e32 8, v9
; %bb.615:                              ;   in Loop: Header=BB378_16 Depth=1
	v_ffbh_u32_e32 v8, v19
	v_min_u32_e32 v8, 32, v8
	v_subrev_nc_u32_e32 v9, 28, v8
	v_sub_nc_u32_e32 v8, 29, v8
	v_lshlrev_b64 v[24:25], v9, v[19:20]
	v_and_b32_e32 v35, 7, v24
; %bb.616:                              ;   in Loop: Header=BB378_16 Depth=1
	s_or_b32 exec_lo, exec_lo, s28
	v_mov_b32_e32 v9, 24
	v_lshlrev_b32_e32 v13, 20, v35
	v_lshl_add_u32 v8, v8, 23, 0x3c000000
	v_lshlrev_b32_sdwa v9, v9, v33 dst_sel:DWORD dst_unused:UNUSED_PAD src0_sel:DWORD src1_sel:WORD_1
	v_and_b32_e32 v9, 0x80000000, v9
	v_or3_b32 v53, v13, v9, v8
.LBB378_617:                            ;   in Loop: Header=BB378_16 Depth=1
	s_or_b32 exec_lo, exec_lo, s27
.LBB378_618:                            ;   in Loop: Header=BB378_16 Depth=1
	s_or_b32 exec_lo, exec_lo, s26
.LBB378_619:                            ;   in Loop: Header=BB378_16 Depth=1
	s_or_b32 exec_lo, exec_lo, s25
	s_mov_b32 s25, exec_lo
	v_cmpx_lt_u32_e32 0xffffff, v33
	s_cbranch_execz .LBB378_627
; %bb.620:                              ;   in Loop: Header=BB378_16 Depth=1
	v_cmp_ne_u32_sdwa s5, v33, v114 src0_sel:BYTE_3 src1_sel:DWORD
	v_bfrev_b32_e32 v30, 1
	s_and_saveexec_b32 s26, s5
	s_cbranch_execz .LBB378_626
; %bb.621:                              ;   in Loop: Header=BB378_16 Depth=1
	v_bfe_u32 v9, v33, 24, 7
	v_mov_b32_e32 v30, 0x7f800001
	s_mov_b32 s27, exec_lo
	v_cmpx_ne_u32_e32 0x7f, v9
	s_cbranch_execz .LBB378_625
; %bb.622:                              ;   in Loop: Header=BB378_16 Depth=1
	v_mov_b32_e32 v8, 7
	s_mov_b32 s28, exec_lo
	v_and_b32_sdwa v19, v33, v8 dst_sel:DWORD dst_unused:UNUSED_PAD src0_sel:BYTE_3 src1_sel:DWORD
	v_mov_b32_e32 v36, v20
	v_lshrrev_b32_e32 v8, 3, v9
	v_mov_b32_e32 v35, v19
	v_cmpx_gt_u32_e32 8, v9
; %bb.623:                              ;   in Loop: Header=BB378_16 Depth=1
	v_ffbh_u32_e32 v8, v19
	v_min_u32_e32 v8, 32, v8
	v_subrev_nc_u32_e32 v9, 28, v8
	v_sub_nc_u32_e32 v8, 29, v8
	v_lshlrev_b64 v[24:25], v9, v[19:20]
	v_and_b32_e32 v35, 7, v24
; %bb.624:                              ;   in Loop: Header=BB378_16 Depth=1
	s_or_b32 exec_lo, exec_lo, s28
	v_mov_b32_e32 v9, 24
	v_lshlrev_b32_e32 v13, 20, v35
	v_lshl_add_u32 v8, v8, 23, 0x3c000000
	v_lshlrev_b32_sdwa v9, v9, v33 dst_sel:DWORD dst_unused:UNUSED_PAD src0_sel:DWORD src1_sel:BYTE_3
	v_and_b32_e32 v9, 0x80000000, v9
	v_or3_b32 v30, v13, v9, v8
.LBB378_625:                            ;   in Loop: Header=BB378_16 Depth=1
	s_or_b32 exec_lo, exec_lo, s27
.LBB378_626:                            ;   in Loop: Header=BB378_16 Depth=1
	s_or_b32 exec_lo, exec_lo, s26
.LBB378_627:                            ;   in Loop: Header=BB378_16 Depth=1
	s_or_b32 exec_lo, exec_lo, s25
	v_mov_b32_e32 v19, v34
	v_cmp_ne_u16_sdwa s5, v34, v20 src0_sel:BYTE_0 src1_sel:DWORD
	v_mov_b32_e32 v66, 0
	v_mov_b32_e32 v22, 0
	s_and_saveexec_b32 s25, s5
	s_cbranch_execz .LBB378_635
; %bb.628:                              ;   in Loop: Header=BB378_16 Depth=1
	v_cmp_ne_u16_sdwa s5, v34, v114 src0_sel:BYTE_0 src1_sel:DWORD
	v_bfrev_b32_e32 v22, 1
	s_and_saveexec_b32 s26, s5
	s_cbranch_execz .LBB378_634
; %bb.629:                              ;   in Loop: Header=BB378_16 Depth=1
	v_and_b32_e32 v9, 0x7f, v34
	v_mov_b32_e32 v22, 0x7f800001
	s_mov_b32 s27, exec_lo
	v_cmpx_ne_u32_e32 0x7f, v9
	s_cbranch_execz .LBB378_633
; %bb.630:                              ;   in Loop: Header=BB378_16 Depth=1
	v_mov_b32_e32 v36, v20
	v_lshrrev_b32_e32 v8, 3, v9
	v_mov_b32_e32 v35, v19
	s_mov_b32 s28, exec_lo
	v_cmpx_gt_u32_e32 8, v9
; %bb.631:                              ;   in Loop: Header=BB378_16 Depth=1
	v_and_b32_e32 v8, 7, v34
	v_ffbh_u32_e32 v8, v8
	v_min_u32_e32 v8, 32, v8
	v_subrev_nc_u32_e32 v9, 28, v8
	v_sub_nc_u32_e32 v8, 29, v8
	v_lshlrev_b64 v[35:36], v9, v[19:20]
; %bb.632:                              ;   in Loop: Header=BB378_16 Depth=1
	s_or_b32 exec_lo, exec_lo, s28
	v_lshlrev_b32_e32 v9, 20, v35
	v_lshlrev_b32_e32 v13, 24, v19
	v_lshl_add_u32 v8, v8, 23, 0x3c000000
	v_and_b32_e32 v9, 0x700000, v9
	v_and_b32_e32 v13, 0x80000000, v13
	v_or3_b32 v22, v9, v13, v8
.LBB378_633:                            ;   in Loop: Header=BB378_16 Depth=1
	s_or_b32 exec_lo, exec_lo, s27
.LBB378_634:                            ;   in Loop: Header=BB378_16 Depth=1
	s_or_b32 exec_lo, exec_lo, s26
.LBB378_635:                            ;   in Loop: Header=BB378_16 Depth=1
	s_or_b32 exec_lo, exec_lo, s25
	v_cmp_ne_u16_sdwa s5, v19, v20 src0_sel:BYTE_1 src1_sel:DWORD
	s_and_saveexec_b32 s25, s5
	s_cbranch_execz .LBB378_643
; %bb.636:                              ;   in Loop: Header=BB378_16 Depth=1
	v_cmp_ne_u16_sdwa s5, v19, v114 src0_sel:BYTE_1 src1_sel:DWORD
	v_bfrev_b32_e32 v66, 1
	s_and_saveexec_b32 s26, s5
	s_cbranch_execz .LBB378_642
; %bb.637:                              ;   in Loop: Header=BB378_16 Depth=1
	v_mov_b32_e32 v8, 0xffff
	v_mov_b32_e32 v66, 0x7f800001
	s_mov_b32 s27, exec_lo
	v_and_b32_sdwa v8, v8, v19 dst_sel:DWORD dst_unused:UNUSED_PAD src0_sel:DWORD src1_sel:BYTE_1
	v_and_b32_e32 v9, 0x7f, v8
	v_cmpx_ne_u32_e32 0x7f, v9
	s_cbranch_execz .LBB378_641
; %bb.638:                              ;   in Loop: Header=BB378_16 Depth=1
	v_and_b32_e32 v35, 7, v8
	v_mov_b32_e32 v36, v20
	v_lshrrev_b32_e32 v8, 3, v9
	s_mov_b32 s28, exec_lo
	v_cmpx_gt_u32_e32 8, v9
; %bb.639:                              ;   in Loop: Header=BB378_16 Depth=1
	v_ffbh_u32_e32 v8, v35
	v_min_u32_e32 v8, 32, v8
	v_subrev_nc_u32_e32 v9, 28, v8
	v_sub_nc_u32_e32 v8, 29, v8
	v_lshlrev_b64 v[24:25], v9, v[35:36]
	v_and_b32_e32 v35, 7, v24
; %bb.640:                              ;   in Loop: Header=BB378_16 Depth=1
	s_or_b32 exec_lo, exec_lo, s28
	v_lshlrev_b32_e32 v9, 16, v19
	v_lshlrev_b32_e32 v13, 20, v35
	v_lshl_add_u32 v8, v8, 23, 0x3c000000
	v_and_b32_e32 v9, 0x80000000, v9
	v_or3_b32 v66, v13, v9, v8
.LBB378_641:                            ;   in Loop: Header=BB378_16 Depth=1
	s_or_b32 exec_lo, exec_lo, s27
.LBB378_642:                            ;   in Loop: Header=BB378_16 Depth=1
	s_or_b32 exec_lo, exec_lo, s26
.LBB378_643:                            ;   in Loop: Header=BB378_16 Depth=1
	s_or_b32 exec_lo, exec_lo, s25
	v_mov_b32_e32 v8, 0xff
	v_mov_b32_e32 v67, 0
	;; [unrolled: 1-line block ×3, first 2 shown]
	s_mov_b32 s25, exec_lo
	v_and_b32_sdwa v8, v34, v8 dst_sel:DWORD dst_unused:UNUSED_PAD src0_sel:WORD_1 src1_sel:DWORD
	v_cmpx_ne_u16_e32 0, v8
	s_cbranch_execz .LBB378_651
; %bb.644:                              ;   in Loop: Header=BB378_16 Depth=1
	v_bfrev_b32_e32 v68, 1
	s_mov_b32 s26, exec_lo
	v_cmpx_ne_u16_e32 0x80, v8
	s_cbranch_execz .LBB378_650
; %bb.645:                              ;   in Loop: Header=BB378_16 Depth=1
	v_bfe_u32 v9, v34, 16, 7
	v_mov_b32_e32 v68, 0x7f800001
	s_mov_b32 s27, exec_lo
	v_cmpx_ne_u32_e32 0x7f, v9
	s_cbranch_execz .LBB378_649
; %bb.646:                              ;   in Loop: Header=BB378_16 Depth=1
	v_mov_b32_e32 v8, 7
	s_mov_b32 s28, exec_lo
	v_and_b32_sdwa v19, v34, v8 dst_sel:DWORD dst_unused:UNUSED_PAD src0_sel:WORD_1 src1_sel:DWORD
	v_mov_b32_e32 v36, v20
	v_lshrrev_b32_e32 v8, 3, v9
	v_mov_b32_e32 v35, v19
	v_cmpx_gt_u32_e32 8, v9
; %bb.647:                              ;   in Loop: Header=BB378_16 Depth=1
	v_ffbh_u32_e32 v8, v19
	v_min_u32_e32 v8, 32, v8
	v_subrev_nc_u32_e32 v9, 28, v8
	v_sub_nc_u32_e32 v8, 29, v8
	v_lshlrev_b64 v[24:25], v9, v[19:20]
	v_and_b32_e32 v35, 7, v24
; %bb.648:                              ;   in Loop: Header=BB378_16 Depth=1
	s_or_b32 exec_lo, exec_lo, s28
	v_mov_b32_e32 v9, 24
	v_lshlrev_b32_e32 v13, 20, v35
	v_lshl_add_u32 v8, v8, 23, 0x3c000000
	v_lshlrev_b32_sdwa v9, v9, v34 dst_sel:DWORD dst_unused:UNUSED_PAD src0_sel:DWORD src1_sel:WORD_1
	v_and_b32_e32 v9, 0x80000000, v9
	v_or3_b32 v68, v13, v9, v8
.LBB378_649:                            ;   in Loop: Header=BB378_16 Depth=1
	s_or_b32 exec_lo, exec_lo, s27
.LBB378_650:                            ;   in Loop: Header=BB378_16 Depth=1
	s_or_b32 exec_lo, exec_lo, s26
.LBB378_651:                            ;   in Loop: Header=BB378_16 Depth=1
	s_or_b32 exec_lo, exec_lo, s25
	s_mov_b32 s25, exec_lo
	v_cmpx_lt_u64_e64 s[20:21], v[33:34]
	s_cbranch_execz .LBB378_659
; %bb.652:                              ;   in Loop: Header=BB378_16 Depth=1
	v_cmp_ne_u32_sdwa s5, v34, v114 src0_sel:BYTE_3 src1_sel:DWORD
	v_bfrev_b32_e32 v67, 1
	s_and_saveexec_b32 s26, s5
	s_cbranch_execz .LBB378_658
; %bb.653:                              ;   in Loop: Header=BB378_16 Depth=1
	v_bfe_u32 v9, v34, 24, 7
	v_mov_b32_e32 v67, 0x7f800001
	s_mov_b32 s27, exec_lo
	v_cmpx_ne_u32_e32 0x7f, v9
	s_cbranch_execz .LBB378_657
; %bb.654:                              ;   in Loop: Header=BB378_16 Depth=1
	v_mov_b32_e32 v8, 7
	s_mov_b32 s28, exec_lo
	v_and_b32_sdwa v19, v34, v8 dst_sel:DWORD dst_unused:UNUSED_PAD src0_sel:BYTE_3 src1_sel:DWORD
	v_mov_b32_e32 v36, v20
	v_lshrrev_b32_e32 v8, 3, v9
	v_mov_b32_e32 v35, v19
	v_cmpx_gt_u32_e32 8, v9
; %bb.655:                              ;   in Loop: Header=BB378_16 Depth=1
	v_ffbh_u32_e32 v8, v19
	v_min_u32_e32 v8, 32, v8
	v_subrev_nc_u32_e32 v9, 28, v8
	v_sub_nc_u32_e32 v8, 29, v8
	v_lshlrev_b64 v[24:25], v9, v[19:20]
	v_and_b32_e32 v35, 7, v24
; %bb.656:                              ;   in Loop: Header=BB378_16 Depth=1
	s_or_b32 exec_lo, exec_lo, s28
	v_mov_b32_e32 v9, 24
	v_lshlrev_b32_e32 v13, 20, v35
	v_lshl_add_u32 v8, v8, 23, 0x3c000000
	v_lshlrev_b32_sdwa v9, v9, v34 dst_sel:DWORD dst_unused:UNUSED_PAD src0_sel:DWORD src1_sel:BYTE_3
	v_and_b32_e32 v9, 0x80000000, v9
	v_or3_b32 v67, v13, v9, v8
.LBB378_657:                            ;   in Loop: Header=BB378_16 Depth=1
	s_or_b32 exec_lo, exec_lo, s27
.LBB378_658:                            ;   in Loop: Header=BB378_16 Depth=1
	s_or_b32 exec_lo, exec_lo, s26
.LBB378_659:                            ;   in Loop: Header=BB378_16 Depth=1
	s_or_b32 exec_lo, exec_lo, s25
	flat_load_dwordx2 v[33:34], v[31:32] offset:512
	v_mov_b32_e32 v70, 0
	v_mov_b32_e32 v69, 0
	s_waitcnt vmcnt(0) lgkmcnt(0)
	v_cmp_ne_u16_sdwa s5, v33, v20 src0_sel:BYTE_0 src1_sel:DWORD
	s_and_saveexec_b32 s25, s5
	s_cbranch_execz .LBB378_667
; %bb.660:                              ;   in Loop: Header=BB378_16 Depth=1
	v_cmp_ne_u16_sdwa s5, v33, v114 src0_sel:BYTE_0 src1_sel:DWORD
	v_bfrev_b32_e32 v69, 1
	s_and_saveexec_b32 s26, s5
	s_cbranch_execz .LBB378_666
; %bb.661:                              ;   in Loop: Header=BB378_16 Depth=1
	v_and_b32_e32 v9, 0x7f, v33
	v_mov_b32_e32 v69, 0x7f800001
	s_mov_b32 s27, exec_lo
	v_cmpx_ne_u32_e32 0x7f, v9
	s_cbranch_execz .LBB378_665
; %bb.662:                              ;   in Loop: Header=BB378_16 Depth=1
	v_mov_b32_e32 v36, v34
	v_lshrrev_b32_e32 v8, 3, v9
	v_mov_b32_e32 v35, v33
	s_mov_b32 s28, exec_lo
	v_cmpx_gt_u32_e32 8, v9
; %bb.663:                              ;   in Loop: Header=BB378_16 Depth=1
	v_and_b32_e32 v8, 7, v33
	v_ffbh_u32_e32 v8, v8
	v_min_u32_e32 v8, 32, v8
	v_subrev_nc_u32_e32 v9, 28, v8
	v_sub_nc_u32_e32 v8, 29, v8
	v_lshlrev_b64 v[35:36], v9, v[33:34]
; %bb.664:                              ;   in Loop: Header=BB378_16 Depth=1
	s_or_b32 exec_lo, exec_lo, s28
	v_lshlrev_b32_e32 v9, 20, v35
	v_lshlrev_b32_e32 v13, 24, v33
	v_lshl_add_u32 v8, v8, 23, 0x3c000000
	v_and_b32_e32 v9, 0x700000, v9
	v_and_b32_e32 v13, 0x80000000, v13
	v_or3_b32 v69, v9, v13, v8
.LBB378_665:                            ;   in Loop: Header=BB378_16 Depth=1
	s_or_b32 exec_lo, exec_lo, s27
.LBB378_666:                            ;   in Loop: Header=BB378_16 Depth=1
	s_or_b32 exec_lo, exec_lo, s26
.LBB378_667:                            ;   in Loop: Header=BB378_16 Depth=1
	s_or_b32 exec_lo, exec_lo, s25
	v_cmp_ne_u16_sdwa s5, v33, v20 src0_sel:BYTE_1 src1_sel:DWORD
	s_and_saveexec_b32 s25, s5
	s_cbranch_execz .LBB378_675
; %bb.668:                              ;   in Loop: Header=BB378_16 Depth=1
	v_cmp_ne_u16_sdwa s5, v33, v114 src0_sel:BYTE_1 src1_sel:DWORD
	v_bfrev_b32_e32 v70, 1
	s_and_saveexec_b32 s26, s5
	s_cbranch_execz .LBB378_674
; %bb.669:                              ;   in Loop: Header=BB378_16 Depth=1
	v_mov_b32_e32 v8, 0xffff
	v_mov_b32_e32 v70, 0x7f800001
	s_mov_b32 s27, exec_lo
	v_and_b32_sdwa v8, v8, v33 dst_sel:DWORD dst_unused:UNUSED_PAD src0_sel:DWORD src1_sel:BYTE_1
	v_and_b32_e32 v9, 0x7f, v8
	v_cmpx_ne_u32_e32 0x7f, v9
	s_cbranch_execz .LBB378_673
; %bb.670:                              ;   in Loop: Header=BB378_16 Depth=1
	v_and_b32_e32 v19, 7, v8
	v_mov_b32_e32 v36, v20
	v_lshrrev_b32_e32 v8, 3, v9
	s_mov_b32 s28, exec_lo
	v_mov_b32_e32 v35, v19
	v_cmpx_gt_u32_e32 8, v9
; %bb.671:                              ;   in Loop: Header=BB378_16 Depth=1
	v_ffbh_u32_e32 v8, v19
	v_min_u32_e32 v8, 32, v8
	v_subrev_nc_u32_e32 v9, 28, v8
	v_sub_nc_u32_e32 v8, 29, v8
	v_lshlrev_b64 v[24:25], v9, v[19:20]
	v_and_b32_e32 v35, 7, v24
; %bb.672:                              ;   in Loop: Header=BB378_16 Depth=1
	s_or_b32 exec_lo, exec_lo, s28
	v_lshlrev_b32_e32 v9, 16, v33
	v_lshlrev_b32_e32 v13, 20, v35
	v_lshl_add_u32 v8, v8, 23, 0x3c000000
	v_and_b32_e32 v9, 0x80000000, v9
	v_or3_b32 v70, v13, v9, v8
.LBB378_673:                            ;   in Loop: Header=BB378_16 Depth=1
	s_or_b32 exec_lo, exec_lo, s27
.LBB378_674:                            ;   in Loop: Header=BB378_16 Depth=1
	s_or_b32 exec_lo, exec_lo, s26
.LBB378_675:                            ;   in Loop: Header=BB378_16 Depth=1
	s_or_b32 exec_lo, exec_lo, s25
	v_mov_b32_e32 v8, 0xff
	v_mov_b32_e32 v81, 0
	;; [unrolled: 1-line block ×3, first 2 shown]
	s_mov_b32 s25, exec_lo
	v_and_b32_sdwa v8, v33, v8 dst_sel:DWORD dst_unused:UNUSED_PAD src0_sel:WORD_1 src1_sel:DWORD
	v_cmpx_ne_u16_e32 0, v8
	s_cbranch_execz .LBB378_683
; %bb.676:                              ;   in Loop: Header=BB378_16 Depth=1
	v_bfrev_b32_e32 v71, 1
	s_mov_b32 s26, exec_lo
	v_cmpx_ne_u16_e32 0x80, v8
	s_cbranch_execz .LBB378_682
; %bb.677:                              ;   in Loop: Header=BB378_16 Depth=1
	v_bfe_u32 v9, v33, 16, 7
	v_mov_b32_e32 v71, 0x7f800001
	s_mov_b32 s27, exec_lo
	v_cmpx_ne_u32_e32 0x7f, v9
	s_cbranch_execz .LBB378_681
; %bb.678:                              ;   in Loop: Header=BB378_16 Depth=1
	v_mov_b32_e32 v8, 7
	s_mov_b32 s28, exec_lo
	v_and_b32_sdwa v19, v33, v8 dst_sel:DWORD dst_unused:UNUSED_PAD src0_sel:WORD_1 src1_sel:DWORD
	v_mov_b32_e32 v36, v20
	v_lshrrev_b32_e32 v8, 3, v9
	v_mov_b32_e32 v35, v19
	v_cmpx_gt_u32_e32 8, v9
; %bb.679:                              ;   in Loop: Header=BB378_16 Depth=1
	v_ffbh_u32_e32 v8, v19
	v_min_u32_e32 v8, 32, v8
	v_subrev_nc_u32_e32 v9, 28, v8
	v_sub_nc_u32_e32 v8, 29, v8
	v_lshlrev_b64 v[24:25], v9, v[19:20]
	v_and_b32_e32 v35, 7, v24
; %bb.680:                              ;   in Loop: Header=BB378_16 Depth=1
	s_or_b32 exec_lo, exec_lo, s28
	v_mov_b32_e32 v9, 24
	v_lshlrev_b32_e32 v13, 20, v35
	v_lshl_add_u32 v8, v8, 23, 0x3c000000
	v_lshlrev_b32_sdwa v9, v9, v33 dst_sel:DWORD dst_unused:UNUSED_PAD src0_sel:DWORD src1_sel:WORD_1
	v_and_b32_e32 v9, 0x80000000, v9
	v_or3_b32 v71, v13, v9, v8
.LBB378_681:                            ;   in Loop: Header=BB378_16 Depth=1
	s_or_b32 exec_lo, exec_lo, s27
.LBB378_682:                            ;   in Loop: Header=BB378_16 Depth=1
	s_or_b32 exec_lo, exec_lo, s26
.LBB378_683:                            ;   in Loop: Header=BB378_16 Depth=1
	s_or_b32 exec_lo, exec_lo, s25
	s_mov_b32 s25, exec_lo
	v_cmpx_lt_u32_e32 0xffffff, v33
	s_cbranch_execz .LBB378_691
; %bb.684:                              ;   in Loop: Header=BB378_16 Depth=1
	v_cmp_ne_u32_sdwa s5, v33, v114 src0_sel:BYTE_3 src1_sel:DWORD
	v_bfrev_b32_e32 v81, 1
	s_and_saveexec_b32 s26, s5
	s_cbranch_execz .LBB378_690
; %bb.685:                              ;   in Loop: Header=BB378_16 Depth=1
	v_bfe_u32 v9, v33, 24, 7
	v_mov_b32_e32 v81, 0x7f800001
	s_mov_b32 s27, exec_lo
	v_cmpx_ne_u32_e32 0x7f, v9
	s_cbranch_execz .LBB378_689
; %bb.686:                              ;   in Loop: Header=BB378_16 Depth=1
	v_mov_b32_e32 v8, 7
	s_mov_b32 s28, exec_lo
	v_and_b32_sdwa v19, v33, v8 dst_sel:DWORD dst_unused:UNUSED_PAD src0_sel:BYTE_3 src1_sel:DWORD
	v_mov_b32_e32 v36, v20
	v_lshrrev_b32_e32 v8, 3, v9
	v_mov_b32_e32 v35, v19
	v_cmpx_gt_u32_e32 8, v9
; %bb.687:                              ;   in Loop: Header=BB378_16 Depth=1
	v_ffbh_u32_e32 v8, v19
	v_min_u32_e32 v8, 32, v8
	v_subrev_nc_u32_e32 v9, 28, v8
	v_sub_nc_u32_e32 v8, 29, v8
	v_lshlrev_b64 v[24:25], v9, v[19:20]
	v_and_b32_e32 v35, 7, v24
; %bb.688:                              ;   in Loop: Header=BB378_16 Depth=1
	s_or_b32 exec_lo, exec_lo, s28
	v_mov_b32_e32 v9, 24
	v_lshlrev_b32_e32 v13, 20, v35
	v_lshl_add_u32 v8, v8, 23, 0x3c000000
	v_lshlrev_b32_sdwa v9, v9, v33 dst_sel:DWORD dst_unused:UNUSED_PAD src0_sel:DWORD src1_sel:BYTE_3
	v_and_b32_e32 v9, 0x80000000, v9
	v_or3_b32 v81, v13, v9, v8
.LBB378_689:                            ;   in Loop: Header=BB378_16 Depth=1
	s_or_b32 exec_lo, exec_lo, s27
.LBB378_690:                            ;   in Loop: Header=BB378_16 Depth=1
	s_or_b32 exec_lo, exec_lo, s26
.LBB378_691:                            ;   in Loop: Header=BB378_16 Depth=1
	s_or_b32 exec_lo, exec_lo, s25
	v_mov_b32_e32 v19, v34
	v_cmp_ne_u16_sdwa s5, v34, v20 src0_sel:BYTE_0 src1_sel:DWORD
	v_mov_b32_e32 v83, 0
	v_mov_b32_e32 v82, 0
	s_and_saveexec_b32 s25, s5
	s_cbranch_execz .LBB378_699
; %bb.692:                              ;   in Loop: Header=BB378_16 Depth=1
	v_cmp_ne_u16_sdwa s5, v34, v114 src0_sel:BYTE_0 src1_sel:DWORD
	v_bfrev_b32_e32 v82, 1
	s_and_saveexec_b32 s26, s5
	s_cbranch_execz .LBB378_698
; %bb.693:                              ;   in Loop: Header=BB378_16 Depth=1
	v_and_b32_e32 v9, 0x7f, v34
	v_mov_b32_e32 v82, 0x7f800001
	s_mov_b32 s27, exec_lo
	v_cmpx_ne_u32_e32 0x7f, v9
	s_cbranch_execz .LBB378_697
; %bb.694:                              ;   in Loop: Header=BB378_16 Depth=1
	v_mov_b32_e32 v36, v20
	v_lshrrev_b32_e32 v8, 3, v9
	v_mov_b32_e32 v35, v19
	s_mov_b32 s28, exec_lo
	v_cmpx_gt_u32_e32 8, v9
; %bb.695:                              ;   in Loop: Header=BB378_16 Depth=1
	v_and_b32_e32 v8, 7, v34
	v_ffbh_u32_e32 v8, v8
	v_min_u32_e32 v8, 32, v8
	v_subrev_nc_u32_e32 v9, 28, v8
	v_sub_nc_u32_e32 v8, 29, v8
	v_lshlrev_b64 v[35:36], v9, v[19:20]
; %bb.696:                              ;   in Loop: Header=BB378_16 Depth=1
	s_or_b32 exec_lo, exec_lo, s28
	v_lshlrev_b32_e32 v9, 20, v35
	v_lshlrev_b32_e32 v13, 24, v19
	v_lshl_add_u32 v8, v8, 23, 0x3c000000
	v_and_b32_e32 v9, 0x700000, v9
	v_and_b32_e32 v13, 0x80000000, v13
	v_or3_b32 v82, v9, v13, v8
.LBB378_697:                            ;   in Loop: Header=BB378_16 Depth=1
	s_or_b32 exec_lo, exec_lo, s27
.LBB378_698:                            ;   in Loop: Header=BB378_16 Depth=1
	s_or_b32 exec_lo, exec_lo, s26
.LBB378_699:                            ;   in Loop: Header=BB378_16 Depth=1
	s_or_b32 exec_lo, exec_lo, s25
	v_cmp_ne_u16_sdwa s5, v19, v20 src0_sel:BYTE_1 src1_sel:DWORD
	s_and_saveexec_b32 s25, s5
	s_cbranch_execz .LBB378_707
; %bb.700:                              ;   in Loop: Header=BB378_16 Depth=1
	v_cmp_ne_u16_sdwa s5, v19, v114 src0_sel:BYTE_1 src1_sel:DWORD
	v_bfrev_b32_e32 v83, 1
	s_and_saveexec_b32 s26, s5
	s_cbranch_execz .LBB378_706
; %bb.701:                              ;   in Loop: Header=BB378_16 Depth=1
	v_mov_b32_e32 v8, 0xffff
	v_mov_b32_e32 v83, 0x7f800001
	s_mov_b32 s27, exec_lo
	v_and_b32_sdwa v8, v8, v19 dst_sel:DWORD dst_unused:UNUSED_PAD src0_sel:DWORD src1_sel:BYTE_1
	v_and_b32_e32 v9, 0x7f, v8
	v_cmpx_ne_u32_e32 0x7f, v9
	s_cbranch_execz .LBB378_705
; %bb.702:                              ;   in Loop: Header=BB378_16 Depth=1
	v_and_b32_e32 v35, 7, v8
	v_mov_b32_e32 v36, v20
	v_lshrrev_b32_e32 v8, 3, v9
	s_mov_b32 s28, exec_lo
	v_cmpx_gt_u32_e32 8, v9
; %bb.703:                              ;   in Loop: Header=BB378_16 Depth=1
	v_ffbh_u32_e32 v8, v35
	v_min_u32_e32 v8, 32, v8
	v_subrev_nc_u32_e32 v9, 28, v8
	v_sub_nc_u32_e32 v8, 29, v8
	v_lshlrev_b64 v[24:25], v9, v[35:36]
	v_and_b32_e32 v35, 7, v24
; %bb.704:                              ;   in Loop: Header=BB378_16 Depth=1
	s_or_b32 exec_lo, exec_lo, s28
	v_lshlrev_b32_e32 v9, 16, v19
	v_lshlrev_b32_e32 v13, 20, v35
	v_lshl_add_u32 v8, v8, 23, 0x3c000000
	v_and_b32_e32 v9, 0x80000000, v9
	v_or3_b32 v83, v13, v9, v8
.LBB378_705:                            ;   in Loop: Header=BB378_16 Depth=1
	s_or_b32 exec_lo, exec_lo, s27
.LBB378_706:                            ;   in Loop: Header=BB378_16 Depth=1
	s_or_b32 exec_lo, exec_lo, s26
.LBB378_707:                            ;   in Loop: Header=BB378_16 Depth=1
	s_or_b32 exec_lo, exec_lo, s25
	v_mov_b32_e32 v8, 0xff
	v_mov_b32_e32 v84, 0
	;; [unrolled: 1-line block ×3, first 2 shown]
	s_mov_b32 s25, exec_lo
	v_and_b32_sdwa v8, v34, v8 dst_sel:DWORD dst_unused:UNUSED_PAD src0_sel:WORD_1 src1_sel:DWORD
	v_cmpx_ne_u16_e32 0, v8
	s_cbranch_execz .LBB378_715
; %bb.708:                              ;   in Loop: Header=BB378_16 Depth=1
	v_bfrev_b32_e32 v85, 1
	s_mov_b32 s26, exec_lo
	v_cmpx_ne_u16_e32 0x80, v8
	s_cbranch_execz .LBB378_714
; %bb.709:                              ;   in Loop: Header=BB378_16 Depth=1
	v_bfe_u32 v9, v34, 16, 7
	v_mov_b32_e32 v85, 0x7f800001
	s_mov_b32 s27, exec_lo
	v_cmpx_ne_u32_e32 0x7f, v9
	s_cbranch_execz .LBB378_713
; %bb.710:                              ;   in Loop: Header=BB378_16 Depth=1
	v_mov_b32_e32 v8, 7
	s_mov_b32 s28, exec_lo
	v_and_b32_sdwa v19, v34, v8 dst_sel:DWORD dst_unused:UNUSED_PAD src0_sel:WORD_1 src1_sel:DWORD
	v_mov_b32_e32 v36, v20
	v_lshrrev_b32_e32 v8, 3, v9
	v_mov_b32_e32 v35, v19
	v_cmpx_gt_u32_e32 8, v9
; %bb.711:                              ;   in Loop: Header=BB378_16 Depth=1
	v_ffbh_u32_e32 v8, v19
	v_min_u32_e32 v8, 32, v8
	v_subrev_nc_u32_e32 v9, 28, v8
	v_sub_nc_u32_e32 v8, 29, v8
	v_lshlrev_b64 v[24:25], v9, v[19:20]
	v_and_b32_e32 v35, 7, v24
; %bb.712:                              ;   in Loop: Header=BB378_16 Depth=1
	s_or_b32 exec_lo, exec_lo, s28
	v_mov_b32_e32 v9, 24
	v_lshlrev_b32_e32 v13, 20, v35
	v_lshl_add_u32 v8, v8, 23, 0x3c000000
	v_lshlrev_b32_sdwa v9, v9, v34 dst_sel:DWORD dst_unused:UNUSED_PAD src0_sel:DWORD src1_sel:WORD_1
	v_and_b32_e32 v9, 0x80000000, v9
	v_or3_b32 v85, v13, v9, v8
.LBB378_713:                            ;   in Loop: Header=BB378_16 Depth=1
	s_or_b32 exec_lo, exec_lo, s27
.LBB378_714:                            ;   in Loop: Header=BB378_16 Depth=1
	s_or_b32 exec_lo, exec_lo, s26
.LBB378_715:                            ;   in Loop: Header=BB378_16 Depth=1
	s_or_b32 exec_lo, exec_lo, s25
	s_mov_b32 s25, exec_lo
	v_cmpx_lt_u64_e64 s[20:21], v[33:34]
	s_cbranch_execz .LBB378_723
; %bb.716:                              ;   in Loop: Header=BB378_16 Depth=1
	v_cmp_ne_u32_sdwa s5, v34, v114 src0_sel:BYTE_3 src1_sel:DWORD
	v_bfrev_b32_e32 v84, 1
	s_and_saveexec_b32 s26, s5
	s_cbranch_execz .LBB378_722
; %bb.717:                              ;   in Loop: Header=BB378_16 Depth=1
	v_bfe_u32 v9, v34, 24, 7
	v_mov_b32_e32 v84, 0x7f800001
	s_mov_b32 s27, exec_lo
	v_cmpx_ne_u32_e32 0x7f, v9
	s_cbranch_execz .LBB378_721
; %bb.718:                              ;   in Loop: Header=BB378_16 Depth=1
	v_mov_b32_e32 v8, 7
	s_mov_b32 s28, exec_lo
	v_and_b32_sdwa v19, v34, v8 dst_sel:DWORD dst_unused:UNUSED_PAD src0_sel:BYTE_3 src1_sel:DWORD
	v_mov_b32_e32 v36, v20
	v_lshrrev_b32_e32 v8, 3, v9
	v_mov_b32_e32 v35, v19
	v_cmpx_gt_u32_e32 8, v9
; %bb.719:                              ;   in Loop: Header=BB378_16 Depth=1
	v_ffbh_u32_e32 v8, v19
	v_min_u32_e32 v8, 32, v8
	v_subrev_nc_u32_e32 v9, 28, v8
	v_sub_nc_u32_e32 v8, 29, v8
	v_lshlrev_b64 v[24:25], v9, v[19:20]
	v_and_b32_e32 v35, 7, v24
; %bb.720:                              ;   in Loop: Header=BB378_16 Depth=1
	s_or_b32 exec_lo, exec_lo, s28
	v_mov_b32_e32 v9, 24
	v_lshlrev_b32_e32 v13, 20, v35
	v_lshl_add_u32 v8, v8, 23, 0x3c000000
	v_lshlrev_b32_sdwa v9, v9, v34 dst_sel:DWORD dst_unused:UNUSED_PAD src0_sel:DWORD src1_sel:BYTE_3
	v_and_b32_e32 v9, 0x80000000, v9
	v_or3_b32 v84, v13, v9, v8
.LBB378_721:                            ;   in Loop: Header=BB378_16 Depth=1
	s_or_b32 exec_lo, exec_lo, s27
.LBB378_722:                            ;   in Loop: Header=BB378_16 Depth=1
	s_or_b32 exec_lo, exec_lo, s26
.LBB378_723:                            ;   in Loop: Header=BB378_16 Depth=1
	s_or_b32 exec_lo, exec_lo, s25
	flat_load_dwordx2 v[33:34], v[31:32] offset:520
	v_mov_b32_e32 v87, 0
	v_mov_b32_e32 v86, 0
	s_waitcnt vmcnt(0) lgkmcnt(0)
	v_cmp_ne_u16_sdwa s5, v33, v20 src0_sel:BYTE_0 src1_sel:DWORD
	s_and_saveexec_b32 s25, s5
	s_cbranch_execz .LBB378_731
; %bb.724:                              ;   in Loop: Header=BB378_16 Depth=1
	v_cmp_ne_u16_sdwa s5, v33, v114 src0_sel:BYTE_0 src1_sel:DWORD
	v_bfrev_b32_e32 v86, 1
	s_and_saveexec_b32 s26, s5
	s_cbranch_execz .LBB378_730
; %bb.725:                              ;   in Loop: Header=BB378_16 Depth=1
	v_and_b32_e32 v9, 0x7f, v33
	v_mov_b32_e32 v86, 0x7f800001
	s_mov_b32 s27, exec_lo
	v_cmpx_ne_u32_e32 0x7f, v9
	s_cbranch_execz .LBB378_729
; %bb.726:                              ;   in Loop: Header=BB378_16 Depth=1
	v_mov_b32_e32 v36, v34
	v_lshrrev_b32_e32 v8, 3, v9
	v_mov_b32_e32 v35, v33
	s_mov_b32 s28, exec_lo
	v_cmpx_gt_u32_e32 8, v9
; %bb.727:                              ;   in Loop: Header=BB378_16 Depth=1
	v_and_b32_e32 v8, 7, v33
	v_ffbh_u32_e32 v8, v8
	v_min_u32_e32 v8, 32, v8
	v_subrev_nc_u32_e32 v9, 28, v8
	v_sub_nc_u32_e32 v8, 29, v8
	v_lshlrev_b64 v[35:36], v9, v[33:34]
; %bb.728:                              ;   in Loop: Header=BB378_16 Depth=1
	s_or_b32 exec_lo, exec_lo, s28
	v_lshlrev_b32_e32 v9, 20, v35
	v_lshlrev_b32_e32 v13, 24, v33
	v_lshl_add_u32 v8, v8, 23, 0x3c000000
	v_and_b32_e32 v9, 0x700000, v9
	v_and_b32_e32 v13, 0x80000000, v13
	v_or3_b32 v86, v9, v13, v8
.LBB378_729:                            ;   in Loop: Header=BB378_16 Depth=1
	s_or_b32 exec_lo, exec_lo, s27
.LBB378_730:                            ;   in Loop: Header=BB378_16 Depth=1
	s_or_b32 exec_lo, exec_lo, s26
.LBB378_731:                            ;   in Loop: Header=BB378_16 Depth=1
	s_or_b32 exec_lo, exec_lo, s25
	v_cmp_ne_u16_sdwa s5, v33, v20 src0_sel:BYTE_1 src1_sel:DWORD
	s_and_saveexec_b32 s25, s5
	s_cbranch_execz .LBB378_739
; %bb.732:                              ;   in Loop: Header=BB378_16 Depth=1
	v_cmp_ne_u16_sdwa s5, v33, v114 src0_sel:BYTE_1 src1_sel:DWORD
	v_bfrev_b32_e32 v87, 1
	s_and_saveexec_b32 s26, s5
	s_cbranch_execz .LBB378_738
; %bb.733:                              ;   in Loop: Header=BB378_16 Depth=1
	v_mov_b32_e32 v8, 0xffff
	v_mov_b32_e32 v87, 0x7f800001
	s_mov_b32 s27, exec_lo
	v_and_b32_sdwa v8, v8, v33 dst_sel:DWORD dst_unused:UNUSED_PAD src0_sel:DWORD src1_sel:BYTE_1
	v_and_b32_e32 v9, 0x7f, v8
	v_cmpx_ne_u32_e32 0x7f, v9
	s_cbranch_execz .LBB378_737
; %bb.734:                              ;   in Loop: Header=BB378_16 Depth=1
	v_and_b32_e32 v19, 7, v8
	v_mov_b32_e32 v36, v20
	v_lshrrev_b32_e32 v8, 3, v9
	s_mov_b32 s28, exec_lo
	v_mov_b32_e32 v35, v19
	v_cmpx_gt_u32_e32 8, v9
; %bb.735:                              ;   in Loop: Header=BB378_16 Depth=1
	v_ffbh_u32_e32 v8, v19
	v_min_u32_e32 v8, 32, v8
	v_subrev_nc_u32_e32 v9, 28, v8
	v_sub_nc_u32_e32 v8, 29, v8
	v_lshlrev_b64 v[24:25], v9, v[19:20]
	v_and_b32_e32 v35, 7, v24
; %bb.736:                              ;   in Loop: Header=BB378_16 Depth=1
	s_or_b32 exec_lo, exec_lo, s28
	v_lshlrev_b32_e32 v9, 16, v33
	v_lshlrev_b32_e32 v13, 20, v35
	v_lshl_add_u32 v8, v8, 23, 0x3c000000
	v_and_b32_e32 v9, 0x80000000, v9
	v_or3_b32 v87, v13, v9, v8
.LBB378_737:                            ;   in Loop: Header=BB378_16 Depth=1
	s_or_b32 exec_lo, exec_lo, s27
.LBB378_738:                            ;   in Loop: Header=BB378_16 Depth=1
	s_or_b32 exec_lo, exec_lo, s26
.LBB378_739:                            ;   in Loop: Header=BB378_16 Depth=1
	s_or_b32 exec_lo, exec_lo, s25
	v_mov_b32_e32 v8, 0xff
	v_mov_b32_e32 v97, 0
	;; [unrolled: 1-line block ×3, first 2 shown]
	s_mov_b32 s25, exec_lo
	v_and_b32_sdwa v8, v33, v8 dst_sel:DWORD dst_unused:UNUSED_PAD src0_sel:WORD_1 src1_sel:DWORD
	v_cmpx_ne_u16_e32 0, v8
	s_cbranch_execz .LBB378_747
; %bb.740:                              ;   in Loop: Header=BB378_16 Depth=1
	v_bfrev_b32_e32 v96, 1
	s_mov_b32 s26, exec_lo
	v_cmpx_ne_u16_e32 0x80, v8
	s_cbranch_execz .LBB378_746
; %bb.741:                              ;   in Loop: Header=BB378_16 Depth=1
	v_bfe_u32 v9, v33, 16, 7
	v_mov_b32_e32 v96, 0x7f800001
	s_mov_b32 s27, exec_lo
	v_cmpx_ne_u32_e32 0x7f, v9
	s_cbranch_execz .LBB378_745
; %bb.742:                              ;   in Loop: Header=BB378_16 Depth=1
	v_mov_b32_e32 v8, 7
	s_mov_b32 s28, exec_lo
	v_and_b32_sdwa v19, v33, v8 dst_sel:DWORD dst_unused:UNUSED_PAD src0_sel:WORD_1 src1_sel:DWORD
	v_mov_b32_e32 v36, v20
	v_lshrrev_b32_e32 v8, 3, v9
	v_mov_b32_e32 v35, v19
	v_cmpx_gt_u32_e32 8, v9
; %bb.743:                              ;   in Loop: Header=BB378_16 Depth=1
	v_ffbh_u32_e32 v8, v19
	v_min_u32_e32 v8, 32, v8
	v_subrev_nc_u32_e32 v9, 28, v8
	v_sub_nc_u32_e32 v8, 29, v8
	v_lshlrev_b64 v[24:25], v9, v[19:20]
	v_and_b32_e32 v35, 7, v24
; %bb.744:                              ;   in Loop: Header=BB378_16 Depth=1
	s_or_b32 exec_lo, exec_lo, s28
	v_mov_b32_e32 v9, 24
	v_lshlrev_b32_e32 v13, 20, v35
	v_lshl_add_u32 v8, v8, 23, 0x3c000000
	v_lshlrev_b32_sdwa v9, v9, v33 dst_sel:DWORD dst_unused:UNUSED_PAD src0_sel:DWORD src1_sel:WORD_1
	v_and_b32_e32 v9, 0x80000000, v9
	v_or3_b32 v96, v13, v9, v8
.LBB378_745:                            ;   in Loop: Header=BB378_16 Depth=1
	s_or_b32 exec_lo, exec_lo, s27
.LBB378_746:                            ;   in Loop: Header=BB378_16 Depth=1
	s_or_b32 exec_lo, exec_lo, s26
.LBB378_747:                            ;   in Loop: Header=BB378_16 Depth=1
	s_or_b32 exec_lo, exec_lo, s25
	s_mov_b32 s25, exec_lo
	v_cmpx_lt_u32_e32 0xffffff, v33
	s_cbranch_execz .LBB378_755
; %bb.748:                              ;   in Loop: Header=BB378_16 Depth=1
	v_cmp_ne_u32_sdwa s5, v33, v114 src0_sel:BYTE_3 src1_sel:DWORD
	v_bfrev_b32_e32 v97, 1
	s_and_saveexec_b32 s26, s5
	s_cbranch_execz .LBB378_754
; %bb.749:                              ;   in Loop: Header=BB378_16 Depth=1
	v_bfe_u32 v9, v33, 24, 7
	v_mov_b32_e32 v97, 0x7f800001
	s_mov_b32 s27, exec_lo
	v_cmpx_ne_u32_e32 0x7f, v9
	s_cbranch_execz .LBB378_753
; %bb.750:                              ;   in Loop: Header=BB378_16 Depth=1
	v_mov_b32_e32 v8, 7
	s_mov_b32 s28, exec_lo
	v_and_b32_sdwa v19, v33, v8 dst_sel:DWORD dst_unused:UNUSED_PAD src0_sel:BYTE_3 src1_sel:DWORD
	v_mov_b32_e32 v36, v20
	v_lshrrev_b32_e32 v8, 3, v9
	v_mov_b32_e32 v35, v19
	v_cmpx_gt_u32_e32 8, v9
; %bb.751:                              ;   in Loop: Header=BB378_16 Depth=1
	v_ffbh_u32_e32 v8, v19
	v_min_u32_e32 v8, 32, v8
	v_subrev_nc_u32_e32 v9, 28, v8
	v_sub_nc_u32_e32 v8, 29, v8
	v_lshlrev_b64 v[24:25], v9, v[19:20]
	v_and_b32_e32 v35, 7, v24
; %bb.752:                              ;   in Loop: Header=BB378_16 Depth=1
	s_or_b32 exec_lo, exec_lo, s28
	v_mov_b32_e32 v9, 24
	v_lshlrev_b32_e32 v13, 20, v35
	v_lshl_add_u32 v8, v8, 23, 0x3c000000
	v_lshlrev_b32_sdwa v9, v9, v33 dst_sel:DWORD dst_unused:UNUSED_PAD src0_sel:DWORD src1_sel:BYTE_3
	v_and_b32_e32 v9, 0x80000000, v9
	v_or3_b32 v97, v13, v9, v8
.LBB378_753:                            ;   in Loop: Header=BB378_16 Depth=1
	s_or_b32 exec_lo, exec_lo, s27
.LBB378_754:                            ;   in Loop: Header=BB378_16 Depth=1
	s_or_b32 exec_lo, exec_lo, s26
.LBB378_755:                            ;   in Loop: Header=BB378_16 Depth=1
	s_or_b32 exec_lo, exec_lo, s25
	v_mov_b32_e32 v19, v34
	v_cmp_ne_u16_sdwa s5, v34, v20 src0_sel:BYTE_0 src1_sel:DWORD
	v_mov_b32_e32 v99, 0
	v_mov_b32_e32 v98, 0
	s_and_saveexec_b32 s25, s5
	s_cbranch_execz .LBB378_763
; %bb.756:                              ;   in Loop: Header=BB378_16 Depth=1
	v_cmp_ne_u16_sdwa s5, v34, v114 src0_sel:BYTE_0 src1_sel:DWORD
	v_bfrev_b32_e32 v98, 1
	s_and_saveexec_b32 s26, s5
	s_cbranch_execz .LBB378_762
; %bb.757:                              ;   in Loop: Header=BB378_16 Depth=1
	v_and_b32_e32 v9, 0x7f, v34
	v_mov_b32_e32 v98, 0x7f800001
	s_mov_b32 s27, exec_lo
	v_cmpx_ne_u32_e32 0x7f, v9
	s_cbranch_execz .LBB378_761
; %bb.758:                              ;   in Loop: Header=BB378_16 Depth=1
	v_mov_b32_e32 v36, v20
	v_lshrrev_b32_e32 v8, 3, v9
	v_mov_b32_e32 v35, v19
	s_mov_b32 s28, exec_lo
	v_cmpx_gt_u32_e32 8, v9
; %bb.759:                              ;   in Loop: Header=BB378_16 Depth=1
	v_and_b32_e32 v8, 7, v34
	v_ffbh_u32_e32 v8, v8
	v_min_u32_e32 v8, 32, v8
	v_subrev_nc_u32_e32 v9, 28, v8
	v_sub_nc_u32_e32 v8, 29, v8
	v_lshlrev_b64 v[35:36], v9, v[19:20]
; %bb.760:                              ;   in Loop: Header=BB378_16 Depth=1
	s_or_b32 exec_lo, exec_lo, s28
	v_lshlrev_b32_e32 v9, 20, v35
	v_lshlrev_b32_e32 v13, 24, v19
	v_lshl_add_u32 v8, v8, 23, 0x3c000000
	v_and_b32_e32 v9, 0x700000, v9
	v_and_b32_e32 v13, 0x80000000, v13
	v_or3_b32 v98, v9, v13, v8
.LBB378_761:                            ;   in Loop: Header=BB378_16 Depth=1
	s_or_b32 exec_lo, exec_lo, s27
.LBB378_762:                            ;   in Loop: Header=BB378_16 Depth=1
	s_or_b32 exec_lo, exec_lo, s26
.LBB378_763:                            ;   in Loop: Header=BB378_16 Depth=1
	s_or_b32 exec_lo, exec_lo, s25
	v_cmp_ne_u16_sdwa s5, v19, v20 src0_sel:BYTE_1 src1_sel:DWORD
	s_and_saveexec_b32 s25, s5
	s_cbranch_execz .LBB378_771
; %bb.764:                              ;   in Loop: Header=BB378_16 Depth=1
	v_cmp_ne_u16_sdwa s5, v19, v114 src0_sel:BYTE_1 src1_sel:DWORD
	v_bfrev_b32_e32 v99, 1
	s_and_saveexec_b32 s26, s5
	s_cbranch_execz .LBB378_770
; %bb.765:                              ;   in Loop: Header=BB378_16 Depth=1
	v_mov_b32_e32 v8, 0xffff
	v_mov_b32_e32 v99, 0x7f800001
	s_mov_b32 s27, exec_lo
	v_and_b32_sdwa v8, v8, v19 dst_sel:DWORD dst_unused:UNUSED_PAD src0_sel:DWORD src1_sel:BYTE_1
	v_and_b32_e32 v9, 0x7f, v8
	v_cmpx_ne_u32_e32 0x7f, v9
	s_cbranch_execz .LBB378_769
; %bb.766:                              ;   in Loop: Header=BB378_16 Depth=1
	v_and_b32_e32 v35, 7, v8
	v_mov_b32_e32 v36, v20
	v_lshrrev_b32_e32 v8, 3, v9
	s_mov_b32 s28, exec_lo
	v_cmpx_gt_u32_e32 8, v9
; %bb.767:                              ;   in Loop: Header=BB378_16 Depth=1
	v_ffbh_u32_e32 v8, v35
	v_min_u32_e32 v8, 32, v8
	v_subrev_nc_u32_e32 v9, 28, v8
	v_sub_nc_u32_e32 v8, 29, v8
	v_lshlrev_b64 v[24:25], v9, v[35:36]
	v_and_b32_e32 v35, 7, v24
; %bb.768:                              ;   in Loop: Header=BB378_16 Depth=1
	s_or_b32 exec_lo, exec_lo, s28
	v_lshlrev_b32_e32 v9, 16, v19
	v_lshlrev_b32_e32 v13, 20, v35
	v_lshl_add_u32 v8, v8, 23, 0x3c000000
	v_and_b32_e32 v9, 0x80000000, v9
	v_or3_b32 v99, v13, v9, v8
.LBB378_769:                            ;   in Loop: Header=BB378_16 Depth=1
	s_or_b32 exec_lo, exec_lo, s27
.LBB378_770:                            ;   in Loop: Header=BB378_16 Depth=1
	s_or_b32 exec_lo, exec_lo, s26
.LBB378_771:                            ;   in Loop: Header=BB378_16 Depth=1
	s_or_b32 exec_lo, exec_lo, s25
	v_mov_b32_e32 v8, 0xff
	v_mov_b32_e32 v103, 0
	s_mov_b32 s25, exec_lo
	v_and_b32_sdwa v9, v34, v8 dst_sel:DWORD dst_unused:UNUSED_PAD src0_sel:WORD_1 src1_sel:DWORD
	v_mov_b32_e32 v8, 0
	v_cmpx_ne_u16_e32 0, v9
	s_cbranch_execz .LBB378_779
; %bb.772:                              ;   in Loop: Header=BB378_16 Depth=1
	v_bfrev_b32_e32 v8, 1
	s_mov_b32 s26, exec_lo
	v_cmpx_ne_u16_e32 0x80, v9
	s_cbranch_execz .LBB378_778
; %bb.773:                              ;   in Loop: Header=BB378_16 Depth=1
	v_bfe_u32 v9, v34, 16, 7
	v_mov_b32_e32 v8, 0x7f800001
	s_mov_b32 s27, exec_lo
	v_cmpx_ne_u32_e32 0x7f, v9
	s_cbranch_execz .LBB378_777
; %bb.774:                              ;   in Loop: Header=BB378_16 Depth=1
	v_mov_b32_e32 v8, 7
	s_mov_b32 s28, exec_lo
	v_and_b32_sdwa v19, v34, v8 dst_sel:DWORD dst_unused:UNUSED_PAD src0_sel:WORD_1 src1_sel:DWORD
	v_mov_b32_e32 v36, v20
	v_lshrrev_b32_e32 v8, 3, v9
	v_mov_b32_e32 v35, v19
	v_cmpx_gt_u32_e32 8, v9
; %bb.775:                              ;   in Loop: Header=BB378_16 Depth=1
	v_ffbh_u32_e32 v8, v19
	v_min_u32_e32 v8, 32, v8
	v_subrev_nc_u32_e32 v9, 28, v8
	v_sub_nc_u32_e32 v8, 29, v8
	v_lshlrev_b64 v[24:25], v9, v[19:20]
	v_and_b32_e32 v35, 7, v24
; %bb.776:                              ;   in Loop: Header=BB378_16 Depth=1
	s_or_b32 exec_lo, exec_lo, s28
	v_mov_b32_e32 v9, 24
	v_lshlrev_b32_e32 v13, 20, v35
	v_lshl_add_u32 v8, v8, 23, 0x3c000000
	v_lshlrev_b32_sdwa v9, v9, v34 dst_sel:DWORD dst_unused:UNUSED_PAD src0_sel:DWORD src1_sel:WORD_1
	v_and_b32_e32 v9, 0x80000000, v9
	v_or3_b32 v8, v13, v9, v8
.LBB378_777:                            ;   in Loop: Header=BB378_16 Depth=1
	s_or_b32 exec_lo, exec_lo, s27
.LBB378_778:                            ;   in Loop: Header=BB378_16 Depth=1
	s_or_b32 exec_lo, exec_lo, s26
.LBB378_779:                            ;   in Loop: Header=BB378_16 Depth=1
	s_or_b32 exec_lo, exec_lo, s25
	s_mov_b32 s25, exec_lo
	v_cmpx_lt_u64_e64 s[20:21], v[33:34]
	s_cbranch_execz .LBB378_787
; %bb.780:                              ;   in Loop: Header=BB378_16 Depth=1
	v_cmp_ne_u32_sdwa s5, v34, v114 src0_sel:BYTE_3 src1_sel:DWORD
	v_bfrev_b32_e32 v103, 1
	s_and_saveexec_b32 s26, s5
	s_cbranch_execz .LBB378_786
; %bb.781:                              ;   in Loop: Header=BB378_16 Depth=1
	v_bfe_u32 v13, v34, 24, 7
	v_mov_b32_e32 v103, 0x7f800001
	s_mov_b32 s27, exec_lo
	v_cmpx_ne_u32_e32 0x7f, v13
	s_cbranch_execz .LBB378_785
; %bb.782:                              ;   in Loop: Header=BB378_16 Depth=1
	v_mov_b32_e32 v9, 7
	s_mov_b32 s28, exec_lo
	v_and_b32_sdwa v19, v34, v9 dst_sel:DWORD dst_unused:UNUSED_PAD src0_sel:BYTE_3 src1_sel:DWORD
	v_mov_b32_e32 v36, v20
	v_lshrrev_b32_e32 v9, 3, v13
	v_mov_b32_e32 v35, v19
	v_cmpx_gt_u32_e32 8, v13
; %bb.783:                              ;   in Loop: Header=BB378_16 Depth=1
	v_ffbh_u32_e32 v9, v19
	v_min_u32_e32 v9, 32, v9
	v_subrev_nc_u32_e32 v13, 28, v9
	v_sub_nc_u32_e32 v9, 29, v9
	v_lshlrev_b64 v[24:25], v13, v[19:20]
	v_and_b32_e32 v35, 7, v24
; %bb.784:                              ;   in Loop: Header=BB378_16 Depth=1
	s_or_b32 exec_lo, exec_lo, s28
	v_mov_b32_e32 v13, 24
	v_lshlrev_b32_e32 v19, 20, v35
	v_lshl_add_u32 v9, v9, 23, 0x3c000000
	v_lshlrev_b32_sdwa v13, v13, v34 dst_sel:DWORD dst_unused:UNUSED_PAD src0_sel:DWORD src1_sel:BYTE_3
	v_and_b32_e32 v13, 0x80000000, v13
	v_or3_b32 v103, v19, v13, v9
.LBB378_785:                            ;   in Loop: Header=BB378_16 Depth=1
	s_or_b32 exec_lo, exec_lo, s27
.LBB378_786:                            ;   in Loop: Header=BB378_16 Depth=1
	s_or_b32 exec_lo, exec_lo, s26
.LBB378_787:                            ;   in Loop: Header=BB378_16 Depth=1
	s_or_b32 exec_lo, exec_lo, s25
	flat_load_dwordx2 v[33:34], v[31:32] offset:1024
	v_mov_b32_e32 v55, 0
	v_mov_b32_e32 v9, 0
	s_waitcnt vmcnt(0) lgkmcnt(0)
	v_cmp_ne_u16_sdwa s5, v33, v20 src0_sel:BYTE_0 src1_sel:DWORD
	s_and_saveexec_b32 s25, s5
	s_cbranch_execz .LBB378_795
; %bb.788:                              ;   in Loop: Header=BB378_16 Depth=1
	v_cmp_ne_u16_sdwa s5, v33, v114 src0_sel:BYTE_0 src1_sel:DWORD
	v_bfrev_b32_e32 v9, 1
	s_and_saveexec_b32 s26, s5
	s_cbranch_execz .LBB378_794
; %bb.789:                              ;   in Loop: Header=BB378_16 Depth=1
	v_and_b32_e32 v13, 0x7f, v33
	v_mov_b32_e32 v9, 0x7f800001
	s_mov_b32 s27, exec_lo
	v_cmpx_ne_u32_e32 0x7f, v13
	s_cbranch_execz .LBB378_793
; %bb.790:                              ;   in Loop: Header=BB378_16 Depth=1
	v_mov_b32_e32 v36, v34
	v_lshrrev_b32_e32 v9, 3, v13
	v_mov_b32_e32 v35, v33
	s_mov_b32 s28, exec_lo
	v_cmpx_gt_u32_e32 8, v13
; %bb.791:                              ;   in Loop: Header=BB378_16 Depth=1
	v_and_b32_e32 v9, 7, v33
	v_ffbh_u32_e32 v9, v9
	v_min_u32_e32 v9, 32, v9
	v_subrev_nc_u32_e32 v13, 28, v9
	v_sub_nc_u32_e32 v9, 29, v9
	v_lshlrev_b64 v[35:36], v13, v[33:34]
; %bb.792:                              ;   in Loop: Header=BB378_16 Depth=1
	s_or_b32 exec_lo, exec_lo, s28
	v_lshlrev_b32_e32 v13, 20, v35
	v_lshlrev_b32_e32 v19, 24, v33
	v_lshl_add_u32 v9, v9, 23, 0x3c000000
	v_and_b32_e32 v13, 0x700000, v13
	v_and_b32_e32 v19, 0x80000000, v19
	v_or3_b32 v9, v13, v19, v9
.LBB378_793:                            ;   in Loop: Header=BB378_16 Depth=1
	s_or_b32 exec_lo, exec_lo, s27
.LBB378_794:                            ;   in Loop: Header=BB378_16 Depth=1
	s_or_b32 exec_lo, exec_lo, s26
.LBB378_795:                            ;   in Loop: Header=BB378_16 Depth=1
	s_or_b32 exec_lo, exec_lo, s25
	v_cmp_ne_u16_sdwa s5, v33, v20 src0_sel:BYTE_1 src1_sel:DWORD
	s_and_saveexec_b32 s25, s5
	s_cbranch_execz .LBB378_803
; %bb.796:                              ;   in Loop: Header=BB378_16 Depth=1
	v_cmp_ne_u16_sdwa s5, v33, v114 src0_sel:BYTE_1 src1_sel:DWORD
	v_bfrev_b32_e32 v55, 1
	s_and_saveexec_b32 s26, s5
	s_cbranch_execz .LBB378_802
; %bb.797:                              ;   in Loop: Header=BB378_16 Depth=1
	v_mov_b32_e32 v13, 0xffff
	v_mov_b32_e32 v55, 0x7f800001
	s_mov_b32 s27, exec_lo
	v_and_b32_sdwa v13, v13, v33 dst_sel:DWORD dst_unused:UNUSED_PAD src0_sel:DWORD src1_sel:BYTE_1
	v_and_b32_e32 v24, 0x7f, v13
	v_cmpx_ne_u32_e32 0x7f, v24
	s_cbranch_execz .LBB378_801
; %bb.798:                              ;   in Loop: Header=BB378_16 Depth=1
	v_and_b32_e32 v19, 7, v13
	v_mov_b32_e32 v36, v20
	v_lshrrev_b32_e32 v13, 3, v24
	s_mov_b32 s28, exec_lo
	v_mov_b32_e32 v35, v19
	v_cmpx_gt_u32_e32 8, v24
; %bb.799:                              ;   in Loop: Header=BB378_16 Depth=1
	v_ffbh_u32_e32 v13, v19
	v_min_u32_e32 v13, 32, v13
	v_subrev_nc_u32_e32 v24, 28, v13
	v_sub_nc_u32_e32 v13, 29, v13
	v_lshlrev_b64 v[24:25], v24, v[19:20]
	v_and_b32_e32 v35, 7, v24
; %bb.800:                              ;   in Loop: Header=BB378_16 Depth=1
	s_or_b32 exec_lo, exec_lo, s28
	v_lshlrev_b32_e32 v19, 16, v33
	v_lshlrev_b32_e32 v24, 20, v35
	v_lshl_add_u32 v13, v13, 23, 0x3c000000
	v_and_b32_e32 v19, 0x80000000, v19
	v_or3_b32 v55, v24, v19, v13
.LBB378_801:                            ;   in Loop: Header=BB378_16 Depth=1
	s_or_b32 exec_lo, exec_lo, s27
.LBB378_802:                            ;   in Loop: Header=BB378_16 Depth=1
	s_or_b32 exec_lo, exec_lo, s26
.LBB378_803:                            ;   in Loop: Header=BB378_16 Depth=1
	s_or_b32 exec_lo, exec_lo, s25
	v_mov_b32_e32 v13, 0xff
	v_mov_b32_e32 v102, 0
	s_mov_b32 s25, exec_lo
	v_and_b32_sdwa v19, v33, v13 dst_sel:DWORD dst_unused:UNUSED_PAD src0_sel:WORD_1 src1_sel:DWORD
	v_mov_b32_e32 v13, 0
	v_cmpx_ne_u16_e32 0, v19
	s_cbranch_execz .LBB378_811
; %bb.804:                              ;   in Loop: Header=BB378_16 Depth=1
	v_bfrev_b32_e32 v102, 1
	s_mov_b32 s26, exec_lo
	v_cmpx_ne_u16_e32 0x80, v19
	s_cbranch_execz .LBB378_810
; %bb.805:                              ;   in Loop: Header=BB378_16 Depth=1
	v_bfe_u32 v25, v33, 16, 7
	v_mov_b32_e32 v102, 0x7f800001
	s_mov_b32 s27, exec_lo
	v_cmpx_ne_u32_e32 0x7f, v25
	s_cbranch_execz .LBB378_809
; %bb.806:                              ;   in Loop: Header=BB378_16 Depth=1
	v_mov_b32_e32 v19, 7
	v_lshrrev_b32_e32 v24, 3, v25
	s_mov_b32 s28, exec_lo
	v_and_b32_sdwa v19, v33, v19 dst_sel:DWORD dst_unused:UNUSED_PAD src0_sel:WORD_1 src1_sel:DWORD
	v_mov_b32_e32 v36, v20
	v_mov_b32_e32 v35, v19
	v_cmpx_gt_u32_e32 8, v25
; %bb.807:                              ;   in Loop: Header=BB378_16 Depth=1
	v_ffbh_u32_e32 v24, v19
	v_min_u32_e32 v24, 32, v24
	v_subrev_nc_u32_e32 v25, 28, v24
	v_sub_nc_u32_e32 v24, 29, v24
	v_lshlrev_b64 v[35:36], v25, v[19:20]
	v_and_b32_e32 v35, 7, v35
; %bb.808:                              ;   in Loop: Header=BB378_16 Depth=1
	s_or_b32 exec_lo, exec_lo, s28
	v_mov_b32_e32 v19, 24
	v_lshlrev_b32_e32 v25, 20, v35
	v_lshl_add_u32 v24, v24, 23, 0x3c000000
	v_lshlrev_b32_sdwa v19, v19, v33 dst_sel:DWORD dst_unused:UNUSED_PAD src0_sel:DWORD src1_sel:WORD_1
	v_and_b32_e32 v19, 0x80000000, v19
	v_or3_b32 v102, v25, v19, v24
.LBB378_809:                            ;   in Loop: Header=BB378_16 Depth=1
	s_or_b32 exec_lo, exec_lo, s27
.LBB378_810:                            ;   in Loop: Header=BB378_16 Depth=1
	s_or_b32 exec_lo, exec_lo, s26
.LBB378_811:                            ;   in Loop: Header=BB378_16 Depth=1
	s_or_b32 exec_lo, exec_lo, s25
	s_mov_b32 s25, exec_lo
	v_cmpx_lt_u32_e32 0xffffff, v33
	s_cbranch_execz .LBB378_819
; %bb.812:                              ;   in Loop: Header=BB378_16 Depth=1
	v_cmp_ne_u32_sdwa s5, v33, v114 src0_sel:BYTE_3 src1_sel:DWORD
	v_bfrev_b32_e32 v13, 1
	s_and_saveexec_b32 s26, s5
	s_cbranch_execz .LBB378_818
; %bb.813:                              ;   in Loop: Header=BB378_16 Depth=1
	v_bfe_u32 v24, v33, 24, 7
	v_mov_b32_e32 v13, 0x7f800001
	s_mov_b32 s27, exec_lo
	v_cmpx_ne_u32_e32 0x7f, v24
	s_cbranch_execz .LBB378_817
; %bb.814:                              ;   in Loop: Header=BB378_16 Depth=1
	v_mov_b32_e32 v13, 7
	s_mov_b32 s28, exec_lo
	v_and_b32_sdwa v19, v33, v13 dst_sel:DWORD dst_unused:UNUSED_PAD src0_sel:BYTE_3 src1_sel:DWORD
	v_mov_b32_e32 v36, v20
	v_lshrrev_b32_e32 v13, 3, v24
	v_mov_b32_e32 v35, v19
	v_cmpx_gt_u32_e32 8, v24
; %bb.815:                              ;   in Loop: Header=BB378_16 Depth=1
	v_ffbh_u32_e32 v13, v19
	v_min_u32_e32 v13, 32, v13
	v_subrev_nc_u32_e32 v24, 28, v13
	v_sub_nc_u32_e32 v13, 29, v13
	v_lshlrev_b64 v[24:25], v24, v[19:20]
	v_and_b32_e32 v35, 7, v24
; %bb.816:                              ;   in Loop: Header=BB378_16 Depth=1
	s_or_b32 exec_lo, exec_lo, s28
	v_mov_b32_e32 v19, 24
	v_lshlrev_b32_e32 v24, 20, v35
	v_lshl_add_u32 v13, v13, 23, 0x3c000000
	v_lshlrev_b32_sdwa v19, v19, v33 dst_sel:DWORD dst_unused:UNUSED_PAD src0_sel:DWORD src1_sel:BYTE_3
	v_and_b32_e32 v19, 0x80000000, v19
	v_or3_b32 v13, v24, v19, v13
.LBB378_817:                            ;   in Loop: Header=BB378_16 Depth=1
	s_or_b32 exec_lo, exec_lo, s27
.LBB378_818:                            ;   in Loop: Header=BB378_16 Depth=1
	s_or_b32 exec_lo, exec_lo, s26
.LBB378_819:                            ;   in Loop: Header=BB378_16 Depth=1
	s_or_b32 exec_lo, exec_lo, s25
	v_mov_b32_e32 v19, v34
	v_cmp_ne_u16_sdwa s5, v34, v20 src0_sel:BYTE_0 src1_sel:DWORD
	v_mov_b32_e32 v24, 0
	v_mov_b32_e32 v25, 0
	s_and_saveexec_b32 s25, s5
	s_cbranch_execz .LBB378_827
; %bb.820:                              ;   in Loop: Header=BB378_16 Depth=1
	v_cmp_ne_u16_sdwa s5, v34, v114 src0_sel:BYTE_0 src1_sel:DWORD
	v_bfrev_b32_e32 v25, 1
	s_and_saveexec_b32 s26, s5
	s_cbranch_execz .LBB378_826
; %bb.821:                              ;   in Loop: Header=BB378_16 Depth=1
	v_and_b32_e32 v35, 0x7f, v34
	v_mov_b32_e32 v25, 0x7f800001
	s_mov_b32 s27, exec_lo
	v_cmpx_ne_u32_e32 0x7f, v35
	s_cbranch_execz .LBB378_825
; %bb.822:                              ;   in Loop: Header=BB378_16 Depth=1
	v_lshrrev_b32_e32 v25, 3, v35
	v_cmp_gt_u32_e64 s5, 8, v35
	v_mov_b32_e32 v36, v20
	v_mov_b32_e32 v35, v19
	s_and_saveexec_b32 s28, s5
; %bb.823:                              ;   in Loop: Header=BB378_16 Depth=1
	v_and_b32_e32 v25, 7, v34
	v_ffbh_u32_e32 v25, v25
	v_min_u32_e32 v25, 32, v25
	v_subrev_nc_u32_e32 v35, 28, v25
	v_sub_nc_u32_e32 v25, 29, v25
	v_lshlrev_b64 v[35:36], v35, v[19:20]
; %bb.824:                              ;   in Loop: Header=BB378_16 Depth=1
	s_or_b32 exec_lo, exec_lo, s28
	v_lshlrev_b32_e32 v35, 20, v35
	v_lshlrev_b32_e32 v36, 24, v19
	v_lshl_add_u32 v25, v25, 23, 0x3c000000
	v_and_b32_e32 v35, 0x700000, v35
	v_and_b32_e32 v36, 0x80000000, v36
	v_or3_b32 v25, v35, v36, v25
.LBB378_825:                            ;   in Loop: Header=BB378_16 Depth=1
	s_or_b32 exec_lo, exec_lo, s27
.LBB378_826:                            ;   in Loop: Header=BB378_16 Depth=1
	s_or_b32 exec_lo, exec_lo, s26
.LBB378_827:                            ;   in Loop: Header=BB378_16 Depth=1
	s_or_b32 exec_lo, exec_lo, s25
	v_cmp_ne_u16_sdwa s5, v19, v20 src0_sel:BYTE_1 src1_sel:DWORD
	s_and_saveexec_b32 s25, s5
	s_cbranch_execz .LBB378_835
; %bb.828:                              ;   in Loop: Header=BB378_16 Depth=1
	v_cmp_ne_u16_sdwa s5, v19, v114 src0_sel:BYTE_1 src1_sel:DWORD
	v_bfrev_b32_e32 v24, 1
	s_and_saveexec_b32 s26, s5
	s_cbranch_execz .LBB378_834
; %bb.829:                              ;   in Loop: Header=BB378_16 Depth=1
	v_mov_b32_e32 v24, 0xffff
	s_mov_b32 s27, exec_lo
	v_and_b32_sdwa v35, v24, v19 dst_sel:DWORD dst_unused:UNUSED_PAD src0_sel:DWORD src1_sel:BYTE_1
	v_mov_b32_e32 v24, 0x7f800001
	v_and_b32_e32 v100, 0x7f, v35
	v_cmpx_ne_u32_e32 0x7f, v100
	s_cbranch_execz .LBB378_833
; %bb.830:                              ;   in Loop: Header=BB378_16 Depth=1
	v_and_b32_e32 v35, 7, v35
	v_mov_b32_e32 v36, v20
	v_lshrrev_b32_e32 v24, 3, v100
	s_mov_b32 s28, exec_lo
	v_cmpx_gt_u32_e32 8, v100
; %bb.831:                              ;   in Loop: Header=BB378_16 Depth=1
	v_ffbh_u32_e32 v24, v35
	v_min_u32_e32 v24, 32, v24
	v_subrev_nc_u32_e32 v100, 28, v24
	v_sub_nc_u32_e32 v24, 29, v24
	v_lshlrev_b64 v[35:36], v100, v[35:36]
	v_and_b32_e32 v35, 7, v35
; %bb.832:                              ;   in Loop: Header=BB378_16 Depth=1
	s_or_b32 exec_lo, exec_lo, s28
	v_lshlrev_b32_e32 v19, 16, v19
	v_lshlrev_b32_e32 v35, 20, v35
	v_lshl_add_u32 v24, v24, 23, 0x3c000000
	v_and_b32_e32 v19, 0x80000000, v19
	v_or3_b32 v24, v35, v19, v24
.LBB378_833:                            ;   in Loop: Header=BB378_16 Depth=1
	s_or_b32 exec_lo, exec_lo, s27
.LBB378_834:                            ;   in Loop: Header=BB378_16 Depth=1
	s_or_b32 exec_lo, exec_lo, s26
.LBB378_835:                            ;   in Loop: Header=BB378_16 Depth=1
	s_or_b32 exec_lo, exec_lo, s25
	v_mov_b32_e32 v19, 0xff
	v_mov_b32_e32 v41, 0
	;; [unrolled: 1-line block ×3, first 2 shown]
	s_mov_b32 s25, exec_lo
	v_and_b32_sdwa v19, v34, v19 dst_sel:DWORD dst_unused:UNUSED_PAD src0_sel:WORD_1 src1_sel:DWORD
	v_cmpx_ne_u16_e32 0, v19
	s_cbranch_execz .LBB378_843
; %bb.836:                              ;   in Loop: Header=BB378_16 Depth=1
	v_bfrev_b32_e32 v42, 1
	s_mov_b32 s26, exec_lo
	v_cmpx_ne_u16_e32 0x80, v19
	s_cbranch_execz .LBB378_842
; %bb.837:                              ;   in Loop: Header=BB378_16 Depth=1
	v_bfe_u32 v35, v34, 16, 7
	v_mov_b32_e32 v42, 0x7f800001
	s_mov_b32 s27, exec_lo
	v_cmpx_ne_u32_e32 0x7f, v35
	s_cbranch_execz .LBB378_841
; %bb.838:                              ;   in Loop: Header=BB378_16 Depth=1
	v_mov_b32_e32 v19, 7
	v_lshrrev_b32_e32 v100, 3, v35
	v_cmp_gt_u32_e64 s5, 8, v35
	v_and_b32_sdwa v19, v34, v19 dst_sel:DWORD dst_unused:UNUSED_PAD src0_sel:WORD_1 src1_sel:DWORD
	v_mov_b32_e32 v36, v20
	v_mov_b32_e32 v35, v19
	s_and_saveexec_b32 s28, s5
; %bb.839:                              ;   in Loop: Header=BB378_16 Depth=1
	v_ffbh_u32_e32 v35, v19
	v_min_u32_e32 v100, 32, v35
	v_subrev_nc_u32_e32 v35, 28, v100
	v_sub_nc_u32_e32 v100, 29, v100
	v_lshlrev_b64 v[35:36], v35, v[19:20]
	v_and_b32_e32 v35, 7, v35
; %bb.840:                              ;   in Loop: Header=BB378_16 Depth=1
	s_or_b32 exec_lo, exec_lo, s28
	v_mov_b32_e32 v19, 24
	v_lshlrev_b32_e32 v35, 20, v35
	v_lshl_add_u32 v36, v100, 23, 0x3c000000
	v_lshlrev_b32_sdwa v19, v19, v34 dst_sel:DWORD dst_unused:UNUSED_PAD src0_sel:DWORD src1_sel:WORD_1
	v_and_b32_e32 v19, 0x80000000, v19
	v_or3_b32 v42, v35, v19, v36
.LBB378_841:                            ;   in Loop: Header=BB378_16 Depth=1
	s_or_b32 exec_lo, exec_lo, s27
.LBB378_842:                            ;   in Loop: Header=BB378_16 Depth=1
	s_or_b32 exec_lo, exec_lo, s26
.LBB378_843:                            ;   in Loop: Header=BB378_16 Depth=1
	s_or_b32 exec_lo, exec_lo, s25
	s_mov_b32 s25, exec_lo
	v_cmpx_lt_u64_e64 s[20:21], v[33:34]
	s_cbranch_execz .LBB378_851
; %bb.844:                              ;   in Loop: Header=BB378_16 Depth=1
	v_cmp_ne_u32_sdwa s5, v34, v114 src0_sel:BYTE_3 src1_sel:DWORD
	v_bfrev_b32_e32 v41, 1
	s_and_saveexec_b32 s26, s5
	s_cbranch_execz .LBB378_850
; %bb.845:                              ;   in Loop: Header=BB378_16 Depth=1
	v_bfe_u32 v35, v34, 24, 7
	v_mov_b32_e32 v41, 0x7f800001
	s_mov_b32 s27, exec_lo
	v_cmpx_ne_u32_e32 0x7f, v35
	s_cbranch_execz .LBB378_849
; %bb.846:                              ;   in Loop: Header=BB378_16 Depth=1
	v_mov_b32_e32 v19, 7
	v_lshrrev_b32_e32 v33, 3, v35
	v_cmp_gt_u32_e64 s5, 8, v35
	v_and_b32_sdwa v19, v34, v19 dst_sel:DWORD dst_unused:UNUSED_PAD src0_sel:BYTE_3 src1_sel:DWORD
	v_mov_b32_e32 v36, v20
	v_mov_b32_e32 v35, v19
	s_and_saveexec_b32 s28, s5
; %bb.847:                              ;   in Loop: Header=BB378_16 Depth=1
	v_ffbh_u32_e32 v33, v19
	v_min_u32_e32 v33, 32, v33
	v_subrev_nc_u32_e32 v35, 28, v33
	v_sub_nc_u32_e32 v33, 29, v33
	v_lshlrev_b64 v[35:36], v35, v[19:20]
	v_and_b32_e32 v35, 7, v35
; %bb.848:                              ;   in Loop: Header=BB378_16 Depth=1
	s_or_b32 exec_lo, exec_lo, s28
	v_mov_b32_e32 v19, 24
	v_lshl_add_u32 v33, v33, 23, 0x3c000000
	v_lshlrev_b32_sdwa v19, v19, v34 dst_sel:DWORD dst_unused:UNUSED_PAD src0_sel:DWORD src1_sel:BYTE_3
	v_lshlrev_b32_e32 v34, 20, v35
	v_and_b32_e32 v19, 0x80000000, v19
	v_or3_b32 v41, v34, v19, v33
.LBB378_849:                            ;   in Loop: Header=BB378_16 Depth=1
	s_or_b32 exec_lo, exec_lo, s27
.LBB378_850:                            ;   in Loop: Header=BB378_16 Depth=1
	s_or_b32 exec_lo, exec_lo, s26
.LBB378_851:                            ;   in Loop: Header=BB378_16 Depth=1
	s_or_b32 exec_lo, exec_lo, s25
	flat_load_dwordx2 v[33:34], v[31:32] offset:1032
	v_mov_b32_e32 v45, 0
	v_mov_b32_e32 v46, 0
	s_waitcnt vmcnt(0) lgkmcnt(0)
	v_cmp_ne_u16_sdwa s5, v33, v20 src0_sel:BYTE_0 src1_sel:DWORD
	s_and_saveexec_b32 s25, s5
	s_cbranch_execz .LBB378_859
; %bb.852:                              ;   in Loop: Header=BB378_16 Depth=1
	v_cmp_ne_u16_sdwa s5, v33, v114 src0_sel:BYTE_0 src1_sel:DWORD
	v_bfrev_b32_e32 v46, 1
	s_and_saveexec_b32 s26, s5
	s_cbranch_execz .LBB378_858
; %bb.853:                              ;   in Loop: Header=BB378_16 Depth=1
	v_and_b32_e32 v35, 0x7f, v33
	v_mov_b32_e32 v46, 0x7f800001
	s_mov_b32 s27, exec_lo
	v_cmpx_ne_u32_e32 0x7f, v35
	s_cbranch_execz .LBB378_857
; %bb.854:                              ;   in Loop: Header=BB378_16 Depth=1
	v_lshrrev_b32_e32 v19, 3, v35
	v_cmp_gt_u32_e64 s5, 8, v35
	v_mov_b32_e32 v36, v34
	v_mov_b32_e32 v35, v33
	s_and_saveexec_b32 s28, s5
; %bb.855:                              ;   in Loop: Header=BB378_16 Depth=1
	v_and_b32_e32 v19, 7, v33
	v_ffbh_u32_e32 v19, v19
	v_min_u32_e32 v19, 32, v19
	v_subrev_nc_u32_e32 v35, 28, v19
	v_sub_nc_u32_e32 v19, 29, v19
	v_lshlrev_b64 v[35:36], v35, v[33:34]
; %bb.856:                              ;   in Loop: Header=BB378_16 Depth=1
	s_or_b32 exec_lo, exec_lo, s28
	v_lshlrev_b32_e32 v35, 20, v35
	v_lshlrev_b32_e32 v36, 24, v33
	v_lshl_add_u32 v19, v19, 23, 0x3c000000
	v_and_b32_e32 v35, 0x700000, v35
	v_and_b32_e32 v36, 0x80000000, v36
	v_or3_b32 v46, v35, v36, v19
.LBB378_857:                            ;   in Loop: Header=BB378_16 Depth=1
	s_or_b32 exec_lo, exec_lo, s27
.LBB378_858:                            ;   in Loop: Header=BB378_16 Depth=1
	s_or_b32 exec_lo, exec_lo, s26
.LBB378_859:                            ;   in Loop: Header=BB378_16 Depth=1
	s_or_b32 exec_lo, exec_lo, s25
	v_cmp_ne_u16_sdwa s5, v33, v20 src0_sel:BYTE_1 src1_sel:DWORD
	s_and_saveexec_b32 s25, s5
	s_cbranch_execz .LBB378_867
; %bb.860:                              ;   in Loop: Header=BB378_16 Depth=1
	v_cmp_ne_u16_sdwa s5, v33, v114 src0_sel:BYTE_1 src1_sel:DWORD
	v_bfrev_b32_e32 v45, 1
	s_and_saveexec_b32 s26, s5
	s_cbranch_execz .LBB378_866
; %bb.861:                              ;   in Loop: Header=BB378_16 Depth=1
	v_mov_b32_e32 v19, 0xffff
	v_mov_b32_e32 v45, 0x7f800001
	s_mov_b32 s27, exec_lo
	v_and_b32_sdwa v19, v19, v33 dst_sel:DWORD dst_unused:UNUSED_PAD src0_sel:DWORD src1_sel:BYTE_1
	v_and_b32_e32 v35, 0x7f, v19
	v_cmpx_ne_u32_e32 0x7f, v35
	s_cbranch_execz .LBB378_865
; %bb.862:                              ;   in Loop: Header=BB378_16 Depth=1
	v_and_b32_e32 v19, 7, v19
	v_lshrrev_b32_e32 v100, 3, v35
	v_cmp_gt_u32_e64 s5, 8, v35
	v_mov_b32_e32 v36, v20
	v_mov_b32_e32 v35, v19
	s_and_saveexec_b32 s28, s5
; %bb.863:                              ;   in Loop: Header=BB378_16 Depth=1
	v_ffbh_u32_e32 v35, v19
	v_min_u32_e32 v100, 32, v35
	v_subrev_nc_u32_e32 v35, 28, v100
	v_sub_nc_u32_e32 v100, 29, v100
	v_lshlrev_b64 v[35:36], v35, v[19:20]
	v_and_b32_e32 v35, 7, v35
; %bb.864:                              ;   in Loop: Header=BB378_16 Depth=1
	s_or_b32 exec_lo, exec_lo, s28
	v_lshlrev_b32_e32 v19, 16, v33
	v_lshlrev_b32_e32 v35, 20, v35
	v_lshl_add_u32 v36, v100, 23, 0x3c000000
	v_and_b32_e32 v19, 0x80000000, v19
	v_or3_b32 v45, v35, v19, v36
.LBB378_865:                            ;   in Loop: Header=BB378_16 Depth=1
	s_or_b32 exec_lo, exec_lo, s27
.LBB378_866:                            ;   in Loop: Header=BB378_16 Depth=1
	s_or_b32 exec_lo, exec_lo, s26
.LBB378_867:                            ;   in Loop: Header=BB378_16 Depth=1
	s_or_b32 exec_lo, exec_lo, s25
	v_mov_b32_e32 v19, 0xff
	v_mov_b32_e32 v56, 0
	;; [unrolled: 1-line block ×3, first 2 shown]
	s_mov_b32 s25, exec_lo
	v_and_b32_sdwa v19, v33, v19 dst_sel:DWORD dst_unused:UNUSED_PAD src0_sel:WORD_1 src1_sel:DWORD
	v_cmpx_ne_u16_e32 0, v19
	s_cbranch_execz .LBB378_875
; %bb.868:                              ;   in Loop: Header=BB378_16 Depth=1
	v_bfrev_b32_e32 v47, 1
	s_mov_b32 s26, exec_lo
	v_cmpx_ne_u16_e32 0x80, v19
	s_cbranch_execz .LBB378_874
; %bb.869:                              ;   in Loop: Header=BB378_16 Depth=1
	v_bfe_u32 v35, v33, 16, 7
	v_mov_b32_e32 v47, 0x7f800001
	s_mov_b32 s27, exec_lo
	v_cmpx_ne_u32_e32 0x7f, v35
	s_cbranch_execz .LBB378_873
; %bb.870:                              ;   in Loop: Header=BB378_16 Depth=1
	v_mov_b32_e32 v19, 7
	v_lshrrev_b32_e32 v100, 3, v35
	v_cmp_gt_u32_e64 s5, 8, v35
	v_and_b32_sdwa v19, v33, v19 dst_sel:DWORD dst_unused:UNUSED_PAD src0_sel:WORD_1 src1_sel:DWORD
	v_mov_b32_e32 v36, v20
	v_mov_b32_e32 v35, v19
	s_and_saveexec_b32 s28, s5
; %bb.871:                              ;   in Loop: Header=BB378_16 Depth=1
	v_ffbh_u32_e32 v35, v19
	v_min_u32_e32 v100, 32, v35
	v_subrev_nc_u32_e32 v35, 28, v100
	v_sub_nc_u32_e32 v100, 29, v100
	v_lshlrev_b64 v[35:36], v35, v[19:20]
	v_and_b32_e32 v35, 7, v35
; %bb.872:                              ;   in Loop: Header=BB378_16 Depth=1
	s_or_b32 exec_lo, exec_lo, s28
	v_mov_b32_e32 v19, 24
	v_lshlrev_b32_e32 v35, 20, v35
	v_lshl_add_u32 v36, v100, 23, 0x3c000000
	v_lshlrev_b32_sdwa v19, v19, v33 dst_sel:DWORD dst_unused:UNUSED_PAD src0_sel:DWORD src1_sel:WORD_1
	v_and_b32_e32 v19, 0x80000000, v19
	v_or3_b32 v47, v35, v19, v36
.LBB378_873:                            ;   in Loop: Header=BB378_16 Depth=1
	s_or_b32 exec_lo, exec_lo, s27
.LBB378_874:                            ;   in Loop: Header=BB378_16 Depth=1
	s_or_b32 exec_lo, exec_lo, s26
.LBB378_875:                            ;   in Loop: Header=BB378_16 Depth=1
	s_or_b32 exec_lo, exec_lo, s25
	s_mov_b32 s25, exec_lo
	v_cmpx_lt_u32_e32 0xffffff, v33
	s_cbranch_execz .LBB378_883
; %bb.876:                              ;   in Loop: Header=BB378_16 Depth=1
	v_cmp_ne_u32_sdwa s5, v33, v114 src0_sel:BYTE_3 src1_sel:DWORD
	v_bfrev_b32_e32 v56, 1
	s_and_saveexec_b32 s26, s5
	s_cbranch_execz .LBB378_882
; %bb.877:                              ;   in Loop: Header=BB378_16 Depth=1
	v_bfe_u32 v35, v33, 24, 7
	v_mov_b32_e32 v56, 0x7f800001
	s_mov_b32 s27, exec_lo
	v_cmpx_ne_u32_e32 0x7f, v35
	s_cbranch_execz .LBB378_881
; %bb.878:                              ;   in Loop: Header=BB378_16 Depth=1
	v_mov_b32_e32 v19, 7
	v_lshrrev_b32_e32 v100, 3, v35
	v_cmp_gt_u32_e64 s5, 8, v35
	v_and_b32_sdwa v19, v33, v19 dst_sel:DWORD dst_unused:UNUSED_PAD src0_sel:BYTE_3 src1_sel:DWORD
	v_mov_b32_e32 v36, v20
	v_mov_b32_e32 v35, v19
	s_and_saveexec_b32 s28, s5
; %bb.879:                              ;   in Loop: Header=BB378_16 Depth=1
	v_ffbh_u32_e32 v35, v19
	v_min_u32_e32 v100, 32, v35
	v_subrev_nc_u32_e32 v35, 28, v100
	v_sub_nc_u32_e32 v100, 29, v100
	v_lshlrev_b64 v[35:36], v35, v[19:20]
	v_and_b32_e32 v35, 7, v35
; %bb.880:                              ;   in Loop: Header=BB378_16 Depth=1
	s_or_b32 exec_lo, exec_lo, s28
	v_mov_b32_e32 v19, 24
	v_lshlrev_b32_e32 v35, 20, v35
	v_lshl_add_u32 v36, v100, 23, 0x3c000000
	v_lshlrev_b32_sdwa v19, v19, v33 dst_sel:DWORD dst_unused:UNUSED_PAD src0_sel:DWORD src1_sel:BYTE_3
	v_and_b32_e32 v19, 0x80000000, v19
	v_or3_b32 v56, v35, v19, v36
.LBB378_881:                            ;   in Loop: Header=BB378_16 Depth=1
	s_or_b32 exec_lo, exec_lo, s27
.LBB378_882:                            ;   in Loop: Header=BB378_16 Depth=1
	s_or_b32 exec_lo, exec_lo, s26
.LBB378_883:                            ;   in Loop: Header=BB378_16 Depth=1
	s_or_b32 exec_lo, exec_lo, s25
	v_mov_b32_e32 v19, v34
	v_cmp_ne_u16_sdwa s5, v34, v20 src0_sel:BYTE_0 src1_sel:DWORD
	v_mov_b32_e32 v61, 0
	v_mov_b32_e32 v100, 0
	s_and_saveexec_b32 s25, s5
	s_cbranch_execz .LBB378_891
; %bb.884:                              ;   in Loop: Header=BB378_16 Depth=1
	v_cmp_ne_u16_sdwa s5, v34, v114 src0_sel:BYTE_0 src1_sel:DWORD
	v_bfrev_b32_e32 v100, 1
	s_and_saveexec_b32 s26, s5
	s_cbranch_execz .LBB378_890
; %bb.885:                              ;   in Loop: Header=BB378_16 Depth=1
	v_and_b32_e32 v35, 0x7f, v34
	v_mov_b32_e32 v100, 0x7f800001
	s_mov_b32 s27, exec_lo
	v_cmpx_ne_u32_e32 0x7f, v35
	s_cbranch_execz .LBB378_889
; %bb.886:                              ;   in Loop: Header=BB378_16 Depth=1
	v_lshrrev_b32_e32 v100, 3, v35
	v_cmp_gt_u32_e64 s5, 8, v35
	v_mov_b32_e32 v36, v20
	v_mov_b32_e32 v35, v19
	s_and_saveexec_b32 s28, s5
; %bb.887:                              ;   in Loop: Header=BB378_16 Depth=1
	v_and_b32_e32 v35, 7, v34
	v_ffbh_u32_e32 v35, v35
	v_min_u32_e32 v100, 32, v35
	v_subrev_nc_u32_e32 v35, 28, v100
	v_sub_nc_u32_e32 v100, 29, v100
	v_lshlrev_b64 v[35:36], v35, v[19:20]
; %bb.888:                              ;   in Loop: Header=BB378_16 Depth=1
	s_or_b32 exec_lo, exec_lo, s28
	v_lshlrev_b32_e32 v35, 20, v35
	v_lshlrev_b32_e32 v36, 24, v19
	v_lshl_add_u32 v100, v100, 23, 0x3c000000
	v_and_b32_e32 v35, 0x700000, v35
	v_and_b32_e32 v36, 0x80000000, v36
	v_or3_b32 v100, v35, v36, v100
.LBB378_889:                            ;   in Loop: Header=BB378_16 Depth=1
	s_or_b32 exec_lo, exec_lo, s27
.LBB378_890:                            ;   in Loop: Header=BB378_16 Depth=1
	s_or_b32 exec_lo, exec_lo, s26
.LBB378_891:                            ;   in Loop: Header=BB378_16 Depth=1
	s_or_b32 exec_lo, exec_lo, s25
	v_cmp_ne_u16_sdwa s5, v19, v20 src0_sel:BYTE_1 src1_sel:DWORD
	s_and_saveexec_b32 s25, s5
	s_cbranch_execz .LBB378_899
; %bb.892:                              ;   in Loop: Header=BB378_16 Depth=1
	v_cmp_ne_u16_sdwa s5, v19, v114 src0_sel:BYTE_1 src1_sel:DWORD
	v_bfrev_b32_e32 v61, 1
	s_and_saveexec_b32 s26, s5
	s_cbranch_execz .LBB378_898
; %bb.893:                              ;   in Loop: Header=BB378_16 Depth=1
	v_mov_b32_e32 v35, 0xffff
	v_mov_b32_e32 v61, 0x7f800001
	s_mov_b32 s27, exec_lo
	v_and_b32_sdwa v35, v35, v19 dst_sel:DWORD dst_unused:UNUSED_PAD src0_sel:DWORD src1_sel:BYTE_1
	v_and_b32_e32 v43, 0x7f, v35
	v_cmpx_ne_u32_e32 0x7f, v43
	s_cbranch_execz .LBB378_897
; %bb.894:                              ;   in Loop: Header=BB378_16 Depth=1
	v_and_b32_e32 v35, 7, v35
	v_mov_b32_e32 v36, v20
	v_lshrrev_b32_e32 v115, 3, v43
	s_mov_b32 s28, exec_lo
	v_cmpx_gt_u32_e32 8, v43
; %bb.895:                              ;   in Loop: Header=BB378_16 Depth=1
	v_ffbh_u32_e32 v115, v35
	v_min_u32_e32 v115, 32, v115
	v_subrev_nc_u32_e32 v43, 28, v115
	v_sub_nc_u32_e32 v115, 29, v115
	v_lshlrev_b64 v[35:36], v43, v[35:36]
	v_and_b32_e32 v35, 7, v35
; %bb.896:                              ;   in Loop: Header=BB378_16 Depth=1
	s_or_b32 exec_lo, exec_lo, s28
	v_lshlrev_b32_e32 v19, 16, v19
	v_lshlrev_b32_e32 v35, 20, v35
	v_lshl_add_u32 v36, v115, 23, 0x3c000000
	v_and_b32_e32 v19, 0x80000000, v19
	v_or3_b32 v61, v35, v19, v36
.LBB378_897:                            ;   in Loop: Header=BB378_16 Depth=1
	s_or_b32 exec_lo, exec_lo, s27
.LBB378_898:                            ;   in Loop: Header=BB378_16 Depth=1
	s_or_b32 exec_lo, exec_lo, s26
.LBB378_899:                            ;   in Loop: Header=BB378_16 Depth=1
	s_or_b32 exec_lo, exec_lo, s25
	v_mov_b32_e32 v19, 0xff
	v_mov_b32_e32 v62, 0
	;; [unrolled: 1-line block ×3, first 2 shown]
	s_mov_b32 s25, exec_lo
	v_and_b32_sdwa v19, v34, v19 dst_sel:DWORD dst_unused:UNUSED_PAD src0_sel:WORD_1 src1_sel:DWORD
	v_cmpx_ne_u16_e32 0, v19
	s_cbranch_execz .LBB378_907
; %bb.900:                              ;   in Loop: Header=BB378_16 Depth=1
	v_bfrev_b32_e32 v63, 1
	s_mov_b32 s26, exec_lo
	v_cmpx_ne_u16_e32 0x80, v19
	s_cbranch_execz .LBB378_906
; %bb.901:                              ;   in Loop: Header=BB378_16 Depth=1
	v_bfe_u32 v35, v34, 16, 7
	v_mov_b32_e32 v63, 0x7f800001
	s_mov_b32 s27, exec_lo
	v_cmpx_ne_u32_e32 0x7f, v35
	s_cbranch_execz .LBB378_905
; %bb.902:                              ;   in Loop: Header=BB378_16 Depth=1
	v_mov_b32_e32 v19, 7
	v_lshrrev_b32_e32 v115, 3, v35
	v_cmp_gt_u32_e64 s5, 8, v35
	v_and_b32_sdwa v19, v34, v19 dst_sel:DWORD dst_unused:UNUSED_PAD src0_sel:WORD_1 src1_sel:DWORD
	v_mov_b32_e32 v36, v20
	v_mov_b32_e32 v35, v19
	s_and_saveexec_b32 s28, s5
; %bb.903:                              ;   in Loop: Header=BB378_16 Depth=1
	v_ffbh_u32_e32 v35, v19
	v_min_u32_e32 v115, 32, v35
	v_subrev_nc_u32_e32 v35, 28, v115
	v_sub_nc_u32_e32 v115, 29, v115
	v_lshlrev_b64 v[35:36], v35, v[19:20]
	v_and_b32_e32 v35, 7, v35
; %bb.904:                              ;   in Loop: Header=BB378_16 Depth=1
	s_or_b32 exec_lo, exec_lo, s28
	v_mov_b32_e32 v19, 24
	v_lshlrev_b32_e32 v35, 20, v35
	v_lshl_add_u32 v36, v115, 23, 0x3c000000
	v_lshlrev_b32_sdwa v19, v19, v34 dst_sel:DWORD dst_unused:UNUSED_PAD src0_sel:DWORD src1_sel:WORD_1
	v_and_b32_e32 v19, 0x80000000, v19
	v_or3_b32 v63, v35, v19, v36
.LBB378_905:                            ;   in Loop: Header=BB378_16 Depth=1
	s_or_b32 exec_lo, exec_lo, s27
.LBB378_906:                            ;   in Loop: Header=BB378_16 Depth=1
	s_or_b32 exec_lo, exec_lo, s26
.LBB378_907:                            ;   in Loop: Header=BB378_16 Depth=1
	s_or_b32 exec_lo, exec_lo, s25
	s_mov_b32 s25, exec_lo
	v_cmpx_lt_u64_e64 s[20:21], v[33:34]
	s_cbranch_execz .LBB378_915
; %bb.908:                              ;   in Loop: Header=BB378_16 Depth=1
	v_cmp_ne_u32_sdwa s5, v34, v114 src0_sel:BYTE_3 src1_sel:DWORD
	v_bfrev_b32_e32 v62, 1
	s_and_saveexec_b32 s26, s5
	s_cbranch_execz .LBB378_914
; %bb.909:                              ;   in Loop: Header=BB378_16 Depth=1
	v_bfe_u32 v35, v34, 24, 7
	v_mov_b32_e32 v62, 0x7f800001
	s_mov_b32 s27, exec_lo
	v_cmpx_ne_u32_e32 0x7f, v35
	s_cbranch_execz .LBB378_913
; %bb.910:                              ;   in Loop: Header=BB378_16 Depth=1
	v_mov_b32_e32 v19, 7
	v_lshrrev_b32_e32 v33, 3, v35
	v_cmp_gt_u32_e64 s5, 8, v35
	v_and_b32_sdwa v19, v34, v19 dst_sel:DWORD dst_unused:UNUSED_PAD src0_sel:BYTE_3 src1_sel:DWORD
	v_mov_b32_e32 v36, v20
	v_mov_b32_e32 v35, v19
	s_and_saveexec_b32 s28, s5
; %bb.911:                              ;   in Loop: Header=BB378_16 Depth=1
	v_ffbh_u32_e32 v33, v19
	v_min_u32_e32 v33, 32, v33
	v_subrev_nc_u32_e32 v35, 28, v33
	v_sub_nc_u32_e32 v33, 29, v33
	v_lshlrev_b64 v[35:36], v35, v[19:20]
	v_and_b32_e32 v35, 7, v35
; %bb.912:                              ;   in Loop: Header=BB378_16 Depth=1
	s_or_b32 exec_lo, exec_lo, s28
	v_mov_b32_e32 v19, 24
	v_lshl_add_u32 v33, v33, 23, 0x3c000000
	v_lshlrev_b32_sdwa v19, v19, v34 dst_sel:DWORD dst_unused:UNUSED_PAD src0_sel:DWORD src1_sel:BYTE_3
	v_lshlrev_b32_e32 v34, 20, v35
	v_and_b32_e32 v19, 0x80000000, v19
	v_or3_b32 v62, v34, v19, v33
.LBB378_913:                            ;   in Loop: Header=BB378_16 Depth=1
	s_or_b32 exec_lo, exec_lo, s27
.LBB378_914:                            ;   in Loop: Header=BB378_16 Depth=1
	s_or_b32 exec_lo, exec_lo, s26
.LBB378_915:                            ;   in Loop: Header=BB378_16 Depth=1
	s_or_b32 exec_lo, exec_lo, s25
	flat_load_dwordx2 v[31:32], v[31:32] offset:1536
	v_mov_b32_e32 v19, 0
	buffer_store_dword v19, off, s[0:3], s32 offset:260 ; 4-byte Folded Spill
	v_mov_b32_e32 v19, 0
	buffer_store_dword v19, off, s[0:3], s32 offset:256 ; 4-byte Folded Spill
	s_waitcnt vmcnt(0) lgkmcnt(0)
	v_cmp_ne_u16_sdwa s5, v31, v20 src0_sel:BYTE_0 src1_sel:DWORD
	s_and_saveexec_b32 s25, s5
	s_cbranch_execz .LBB378_923
; %bb.916:                              ;   in Loop: Header=BB378_16 Depth=1
	v_cmp_ne_u16_sdwa s5, v31, v114 src0_sel:BYTE_0 src1_sel:DWORD
	v_bfrev_b32_e32 v19, 1
	buffer_store_dword v19, off, s[0:3], s32 offset:256 ; 4-byte Folded Spill
	s_and_saveexec_b32 s26, s5
	s_cbranch_execz .LBB378_922
; %bb.917:                              ;   in Loop: Header=BB378_16 Depth=1
	v_and_b32_e32 v33, 0x7f, v31
	v_mov_b32_e32 v19, 0x7f800001
	s_mov_b32 s27, exec_lo
	buffer_store_dword v19, off, s[0:3], s32 offset:256 ; 4-byte Folded Spill
	v_cmpx_ne_u32_e32 0x7f, v33
	s_cbranch_execz .LBB378_921
; %bb.918:                              ;   in Loop: Header=BB378_16 Depth=1
	v_lshrrev_b32_e32 v19, 3, v33
	v_cmp_gt_u32_e64 s5, 8, v33
	v_mov_b32_e32 v34, v32
	v_mov_b32_e32 v33, v31
	s_and_saveexec_b32 s28, s5
; %bb.919:                              ;   in Loop: Header=BB378_16 Depth=1
	v_and_b32_e32 v19, 7, v31
	v_ffbh_u32_e32 v19, v19
	v_min_u32_e32 v19, 32, v19
	v_subrev_nc_u32_e32 v33, 28, v19
	v_sub_nc_u32_e32 v19, 29, v19
	v_lshlrev_b64 v[33:34], v33, v[31:32]
; %bb.920:                              ;   in Loop: Header=BB378_16 Depth=1
	s_or_b32 exec_lo, exec_lo, s28
	v_lshlrev_b32_e32 v33, 20, v33
	v_lshlrev_b32_e32 v34, 24, v31
	v_lshl_add_u32 v19, v19, 23, 0x3c000000
	v_and_b32_e32 v33, 0x700000, v33
	v_and_b32_e32 v34, 0x80000000, v34
	v_or3_b32 v19, v33, v34, v19
	buffer_store_dword v19, off, s[0:3], s32 offset:256 ; 4-byte Folded Spill
.LBB378_921:                            ;   in Loop: Header=BB378_16 Depth=1
	s_or_b32 exec_lo, exec_lo, s27
.LBB378_922:                            ;   in Loop: Header=BB378_16 Depth=1
	s_or_b32 exec_lo, exec_lo, s26
.LBB378_923:                            ;   in Loop: Header=BB378_16 Depth=1
	s_or_b32 exec_lo, exec_lo, s25
	v_cmp_ne_u16_sdwa s5, v31, v20 src0_sel:BYTE_1 src1_sel:DWORD
	s_and_saveexec_b32 s25, s5
	s_cbranch_execz .LBB378_931
; %bb.924:                              ;   in Loop: Header=BB378_16 Depth=1
	v_cmp_ne_u16_sdwa s5, v31, v114 src0_sel:BYTE_1 src1_sel:DWORD
	v_bfrev_b32_e32 v19, 1
	buffer_store_dword v19, off, s[0:3], s32 offset:260 ; 4-byte Folded Spill
	s_and_saveexec_b32 s26, s5
	s_cbranch_execz .LBB378_930
; %bb.925:                              ;   in Loop: Header=BB378_16 Depth=1
	v_mov_b32_e32 v19, 0xffff
	v_mov_b32_e32 v34, 0x7f800001
	s_mov_b32 s27, exec_lo
	v_and_b32_sdwa v19, v19, v31 dst_sel:DWORD dst_unused:UNUSED_PAD src0_sel:DWORD src1_sel:BYTE_1
	buffer_store_dword v34, off, s[0:3], s32 offset:260 ; 4-byte Folded Spill
	v_and_b32_e32 v33, 0x7f, v19
	v_cmpx_ne_u32_e32 0x7f, v33
	s_cbranch_execz .LBB378_929
; %bb.926:                              ;   in Loop: Header=BB378_16 Depth=1
	v_and_b32_e32 v19, 7, v19
	v_lshrrev_b32_e32 v36, 3, v33
	v_cmp_gt_u32_e64 s5, 8, v33
	v_mov_b32_e32 v34, v20
	v_mov_b32_e32 v33, v19
	s_and_saveexec_b32 s28, s5
; %bb.927:                              ;   in Loop: Header=BB378_16 Depth=1
	v_ffbh_u32_e32 v33, v19
	v_min_u32_e32 v36, 32, v33
	v_subrev_nc_u32_e32 v33, 28, v36
	v_sub_nc_u32_e32 v36, 29, v36
	v_lshlrev_b64 v[33:34], v33, v[19:20]
	v_and_b32_e32 v33, 7, v33
; %bb.928:                              ;   in Loop: Header=BB378_16 Depth=1
	s_or_b32 exec_lo, exec_lo, s28
	v_lshlrev_b32_e32 v19, 16, v31
	v_lshlrev_b32_e32 v33, 20, v33
	v_lshl_add_u32 v34, v36, 23, 0x3c000000
	v_and_b32_e32 v19, 0x80000000, v19
	v_or3_b32 v19, v33, v19, v34
	buffer_store_dword v19, off, s[0:3], s32 offset:260 ; 4-byte Folded Spill
.LBB378_929:                            ;   in Loop: Header=BB378_16 Depth=1
	s_or_b32 exec_lo, exec_lo, s27
.LBB378_930:                            ;   in Loop: Header=BB378_16 Depth=1
	s_or_b32 exec_lo, exec_lo, s26
.LBB378_931:                            ;   in Loop: Header=BB378_16 Depth=1
	s_or_b32 exec_lo, exec_lo, s25
	v_mov_b32_e32 v19, 0xff
	v_mov_b32_e32 v44, 0
	;; [unrolled: 1-line block ×3, first 2 shown]
	s_mov_b32 s25, exec_lo
	v_and_b32_sdwa v19, v31, v19 dst_sel:DWORD dst_unused:UNUSED_PAD src0_sel:WORD_1 src1_sel:DWORD
	v_cmpx_ne_u16_e32 0, v19
	s_cbranch_execz .LBB378_939
; %bb.932:                              ;   in Loop: Header=BB378_16 Depth=1
	v_bfrev_b32_e32 v43, 1
	s_mov_b32 s26, exec_lo
	v_cmpx_ne_u16_e32 0x80, v19
	s_cbranch_execz .LBB378_938
; %bb.933:                              ;   in Loop: Header=BB378_16 Depth=1
	v_bfe_u32 v33, v31, 16, 7
	v_mov_b32_e32 v43, 0x7f800001
	s_mov_b32 s27, exec_lo
	v_cmpx_ne_u32_e32 0x7f, v33
	s_cbranch_execz .LBB378_937
; %bb.934:                              ;   in Loop: Header=BB378_16 Depth=1
	v_mov_b32_e32 v19, 7
	v_lshrrev_b32_e32 v115, 3, v33
	v_cmp_gt_u32_e64 s5, 8, v33
	v_and_b32_sdwa v19, v31, v19 dst_sel:DWORD dst_unused:UNUSED_PAD src0_sel:WORD_1 src1_sel:DWORD
	v_mov_b32_e32 v34, v20
	v_mov_b32_e32 v33, v19
	s_and_saveexec_b32 s28, s5
; %bb.935:                              ;   in Loop: Header=BB378_16 Depth=1
	v_ffbh_u32_e32 v33, v19
	v_min_u32_e32 v115, 32, v33
	v_subrev_nc_u32_e32 v33, 28, v115
	v_sub_nc_u32_e32 v115, 29, v115
	v_lshlrev_b64 v[33:34], v33, v[19:20]
	v_and_b32_e32 v33, 7, v33
; %bb.936:                              ;   in Loop: Header=BB378_16 Depth=1
	s_or_b32 exec_lo, exec_lo, s28
	v_mov_b32_e32 v19, 24
	v_lshlrev_b32_e32 v33, 20, v33
	v_lshl_add_u32 v34, v115, 23, 0x3c000000
	v_lshlrev_b32_sdwa v19, v19, v31 dst_sel:DWORD dst_unused:UNUSED_PAD src0_sel:DWORD src1_sel:WORD_1
	v_and_b32_e32 v19, 0x80000000, v19
	v_or3_b32 v43, v33, v19, v34
.LBB378_937:                            ;   in Loop: Header=BB378_16 Depth=1
	s_or_b32 exec_lo, exec_lo, s27
.LBB378_938:                            ;   in Loop: Header=BB378_16 Depth=1
	s_or_b32 exec_lo, exec_lo, s26
.LBB378_939:                            ;   in Loop: Header=BB378_16 Depth=1
	s_or_b32 exec_lo, exec_lo, s25
	s_mov_b32 s25, exec_lo
	v_cmpx_lt_u32_e32 0xffffff, v31
	s_cbranch_execz .LBB378_947
; %bb.940:                              ;   in Loop: Header=BB378_16 Depth=1
	v_cmp_ne_u32_sdwa s5, v31, v114 src0_sel:BYTE_3 src1_sel:DWORD
	v_bfrev_b32_e32 v44, 1
	s_and_saveexec_b32 s26, s5
	s_cbranch_execz .LBB378_946
; %bb.941:                              ;   in Loop: Header=BB378_16 Depth=1
	v_bfe_u32 v33, v31, 24, 7
	v_mov_b32_e32 v44, 0x7f800001
	s_mov_b32 s27, exec_lo
	v_cmpx_ne_u32_e32 0x7f, v33
	s_cbranch_execz .LBB378_945
; %bb.942:                              ;   in Loop: Header=BB378_16 Depth=1
	v_mov_b32_e32 v19, 7
	v_lshrrev_b32_e32 v115, 3, v33
	v_cmp_gt_u32_e64 s5, 8, v33
	v_and_b32_sdwa v19, v31, v19 dst_sel:DWORD dst_unused:UNUSED_PAD src0_sel:BYTE_3 src1_sel:DWORD
	v_mov_b32_e32 v34, v20
	v_mov_b32_e32 v33, v19
	s_and_saveexec_b32 s28, s5
; %bb.943:                              ;   in Loop: Header=BB378_16 Depth=1
	v_ffbh_u32_e32 v33, v19
	v_min_u32_e32 v115, 32, v33
	v_subrev_nc_u32_e32 v33, 28, v115
	v_sub_nc_u32_e32 v115, 29, v115
	v_lshlrev_b64 v[33:34], v33, v[19:20]
	v_and_b32_e32 v33, 7, v33
; %bb.944:                              ;   in Loop: Header=BB378_16 Depth=1
	s_or_b32 exec_lo, exec_lo, s28
	v_mov_b32_e32 v19, 24
	v_lshlrev_b32_e32 v33, 20, v33
	v_lshl_add_u32 v34, v115, 23, 0x3c000000
	v_lshlrev_b32_sdwa v19, v19, v31 dst_sel:DWORD dst_unused:UNUSED_PAD src0_sel:DWORD src1_sel:BYTE_3
	v_and_b32_e32 v19, 0x80000000, v19
	v_or3_b32 v44, v33, v19, v34
.LBB378_945:                            ;   in Loop: Header=BB378_16 Depth=1
	s_or_b32 exec_lo, exec_lo, s27
.LBB378_946:                            ;   in Loop: Header=BB378_16 Depth=1
	s_or_b32 exec_lo, exec_lo, s26
.LBB378_947:                            ;   in Loop: Header=BB378_16 Depth=1
	s_or_b32 exec_lo, exec_lo, s25
	v_mov_b32_e32 v19, v32
	v_cmp_ne_u16_sdwa s5, v32, v20 src0_sel:BYTE_0 src1_sel:DWORD
	v_mov_b32_e32 v58, 0
	v_mov_b32_e32 v57, 0
	s_and_saveexec_b32 s25, s5
	s_cbranch_execz .LBB378_955
; %bb.948:                              ;   in Loop: Header=BB378_16 Depth=1
	v_cmp_ne_u16_sdwa s5, v32, v114 src0_sel:BYTE_0 src1_sel:DWORD
	v_bfrev_b32_e32 v57, 1
	s_and_saveexec_b32 s26, s5
	s_cbranch_execz .LBB378_954
; %bb.949:                              ;   in Loop: Header=BB378_16 Depth=1
	v_and_b32_e32 v33, 0x7f, v32
	v_mov_b32_e32 v57, 0x7f800001
	s_mov_b32 s27, exec_lo
	v_cmpx_ne_u32_e32 0x7f, v33
	s_cbranch_execz .LBB378_953
; %bb.950:                              ;   in Loop: Header=BB378_16 Depth=1
	v_lshrrev_b32_e32 v115, 3, v33
	v_cmp_gt_u32_e64 s5, 8, v33
	v_mov_b32_e32 v34, v20
	v_mov_b32_e32 v33, v19
	s_and_saveexec_b32 s28, s5
; %bb.951:                              ;   in Loop: Header=BB378_16 Depth=1
	v_and_b32_e32 v33, 7, v32
	v_ffbh_u32_e32 v33, v33
	v_min_u32_e32 v115, 32, v33
	v_subrev_nc_u32_e32 v33, 28, v115
	v_sub_nc_u32_e32 v115, 29, v115
	v_lshlrev_b64 v[33:34], v33, v[19:20]
; %bb.952:                              ;   in Loop: Header=BB378_16 Depth=1
	s_or_b32 exec_lo, exec_lo, s28
	v_lshlrev_b32_e32 v33, 20, v33
	v_lshlrev_b32_e32 v34, 24, v19
	v_lshl_add_u32 v115, v115, 23, 0x3c000000
	v_and_b32_e32 v33, 0x700000, v33
	v_and_b32_e32 v34, 0x80000000, v34
	v_or3_b32 v57, v33, v34, v115
.LBB378_953:                            ;   in Loop: Header=BB378_16 Depth=1
	s_or_b32 exec_lo, exec_lo, s27
.LBB378_954:                            ;   in Loop: Header=BB378_16 Depth=1
	s_or_b32 exec_lo, exec_lo, s26
.LBB378_955:                            ;   in Loop: Header=BB378_16 Depth=1
	s_or_b32 exec_lo, exec_lo, s25
	v_cmp_ne_u16_sdwa s5, v19, v20 src0_sel:BYTE_1 src1_sel:DWORD
	s_and_saveexec_b32 s25, s5
	s_cbranch_execz .LBB378_963
; %bb.956:                              ;   in Loop: Header=BB378_16 Depth=1
	v_cmp_ne_u16_sdwa s5, v19, v114 src0_sel:BYTE_1 src1_sel:DWORD
	v_bfrev_b32_e32 v58, 1
	s_and_saveexec_b32 s26, s5
	s_cbranch_execz .LBB378_962
; %bb.957:                              ;   in Loop: Header=BB378_16 Depth=1
	v_mov_b32_e32 v33, 0xffff
	v_mov_b32_e32 v58, 0x7f800001
	s_mov_b32 s27, exec_lo
	v_and_b32_sdwa v33, v33, v19 dst_sel:DWORD dst_unused:UNUSED_PAD src0_sel:DWORD src1_sel:BYTE_1
	v_and_b32_e32 v59, 0x7f, v33
	v_cmpx_ne_u32_e32 0x7f, v59
	s_cbranch_execz .LBB378_961
; %bb.958:                              ;   in Loop: Header=BB378_16 Depth=1
	v_and_b32_e32 v33, 7, v33
	v_mov_b32_e32 v34, v20
	v_lshrrev_b32_e32 v115, 3, v59
	s_mov_b32 s28, exec_lo
	v_cmpx_gt_u32_e32 8, v59
; %bb.959:                              ;   in Loop: Header=BB378_16 Depth=1
	v_ffbh_u32_e32 v115, v33
	v_min_u32_e32 v115, 32, v115
	v_subrev_nc_u32_e32 v58, 28, v115
	v_sub_nc_u32_e32 v115, 29, v115
	v_lshlrev_b64 v[33:34], v58, v[33:34]
	v_and_b32_e32 v33, 7, v33
; %bb.960:                              ;   in Loop: Header=BB378_16 Depth=1
	s_or_b32 exec_lo, exec_lo, s28
	v_lshlrev_b32_e32 v19, 16, v19
	v_lshlrev_b32_e32 v33, 20, v33
	v_lshl_add_u32 v34, v115, 23, 0x3c000000
	v_and_b32_e32 v19, 0x80000000, v19
	v_or3_b32 v58, v33, v19, v34
.LBB378_961:                            ;   in Loop: Header=BB378_16 Depth=1
	s_or_b32 exec_lo, exec_lo, s27
.LBB378_962:                            ;   in Loop: Header=BB378_16 Depth=1
	s_or_b32 exec_lo, exec_lo, s26
.LBB378_963:                            ;   in Loop: Header=BB378_16 Depth=1
	s_or_b32 exec_lo, exec_lo, s25
	v_mov_b32_e32 v19, 0xff
	v_mov_b32_e32 v59, 0
	;; [unrolled: 1-line block ×3, first 2 shown]
	s_mov_b32 s25, exec_lo
	v_and_b32_sdwa v19, v32, v19 dst_sel:DWORD dst_unused:UNUSED_PAD src0_sel:WORD_1 src1_sel:DWORD
	v_cmpx_ne_u16_e32 0, v19
	s_cbranch_execz .LBB378_971
; %bb.964:                              ;   in Loop: Header=BB378_16 Depth=1
	v_bfrev_b32_e32 v60, 1
	s_mov_b32 s26, exec_lo
	v_cmpx_ne_u16_e32 0x80, v19
	s_cbranch_execz .LBB378_970
; %bb.965:                              ;   in Loop: Header=BB378_16 Depth=1
	v_bfe_u32 v33, v32, 16, 7
	v_mov_b32_e32 v60, 0x7f800001
	s_mov_b32 s27, exec_lo
	v_cmpx_ne_u32_e32 0x7f, v33
	s_cbranch_execz .LBB378_969
; %bb.966:                              ;   in Loop: Header=BB378_16 Depth=1
	v_mov_b32_e32 v19, 7
	v_lshrrev_b32_e32 v115, 3, v33
	v_cmp_gt_u32_e64 s5, 8, v33
	v_and_b32_sdwa v19, v32, v19 dst_sel:DWORD dst_unused:UNUSED_PAD src0_sel:WORD_1 src1_sel:DWORD
	v_mov_b32_e32 v34, v20
	v_mov_b32_e32 v33, v19
	s_and_saveexec_b32 s28, s5
; %bb.967:                              ;   in Loop: Header=BB378_16 Depth=1
	v_ffbh_u32_e32 v33, v19
	v_min_u32_e32 v115, 32, v33
	v_subrev_nc_u32_e32 v33, 28, v115
	v_sub_nc_u32_e32 v115, 29, v115
	v_lshlrev_b64 v[33:34], v33, v[19:20]
	v_and_b32_e32 v33, 7, v33
; %bb.968:                              ;   in Loop: Header=BB378_16 Depth=1
	s_or_b32 exec_lo, exec_lo, s28
	v_mov_b32_e32 v19, 24
	v_lshlrev_b32_e32 v33, 20, v33
	v_lshl_add_u32 v34, v115, 23, 0x3c000000
	v_lshlrev_b32_sdwa v19, v19, v32 dst_sel:DWORD dst_unused:UNUSED_PAD src0_sel:DWORD src1_sel:WORD_1
	v_and_b32_e32 v19, 0x80000000, v19
	v_or3_b32 v60, v33, v19, v34
.LBB378_969:                            ;   in Loop: Header=BB378_16 Depth=1
	s_or_b32 exec_lo, exec_lo, s27
.LBB378_970:                            ;   in Loop: Header=BB378_16 Depth=1
	s_or_b32 exec_lo, exec_lo, s26
.LBB378_971:                            ;   in Loop: Header=BB378_16 Depth=1
	s_or_b32 exec_lo, exec_lo, s25
	v_mov_b32_e32 v36, v117
	v_mov_b32_e32 v35, v101
	s_mov_b32 s25, exec_lo
	buffer_store_dword v18, off, s[0:3], s32 offset:284 ; 4-byte Folded Spill
	buffer_store_dword v17, off, s[0:3], s32 offset:280 ; 4-byte Folded Spill
	v_cmpx_lt_u64_e64 s[20:21], v[31:32]
	s_cbranch_execz .LBB378_14
; %bb.972:                              ;   in Loop: Header=BB378_16 Depth=1
	v_cmp_ne_u32_sdwa s5, v32, v114 src0_sel:BYTE_3 src1_sel:DWORD
	v_bfrev_b32_e32 v59, 1
	s_and_saveexec_b32 s26, s5
	s_cbranch_execz .LBB378_13
; %bb.973:                              ;   in Loop: Header=BB378_16 Depth=1
	v_bfe_u32 v33, v32, 24, 7
	v_mov_b32_e32 v59, 0x7f800001
	s_mov_b32 s27, exec_lo
	v_cmpx_ne_u32_e32 0x7f, v33
	s_cbranch_execz .LBB378_12
; %bb.974:                              ;   in Loop: Header=BB378_16 Depth=1
	v_mov_b32_e32 v17, 7
	v_lshrrev_b32_e32 v31, 3, v33
	v_cmp_gt_u32_e64 s5, 8, v33
	v_and_b32_sdwa v19, v32, v17 dst_sel:DWORD dst_unused:UNUSED_PAD src0_sel:BYTE_3 src1_sel:DWORD
	v_mov_b32_e32 v34, v20
	v_mov_b32_e32 v33, v19
	s_and_saveexec_b32 s28, s5
	s_cbranch_execz .LBB378_11
; %bb.975:                              ;   in Loop: Header=BB378_16 Depth=1
	v_ffbh_u32_e32 v31, v19
	v_min_u32_e32 v31, 32, v31
	v_subrev_nc_u32_e32 v33, 28, v31
	v_sub_nc_u32_e32 v31, 29, v31
	v_lshlrev_b64 v[33:34], v33, v[19:20]
	v_and_b32_e32 v33, 7, v33
	s_branch .LBB378_11
.LBB378_976:
	s_or_b32 exec_lo, exec_lo, s17
	s_clause 0xf
	buffer_load_dword v15, off, s[0:3], s32 offset:840
	buffer_load_dword v14, off, s[0:3], s32 offset:844
	;; [unrolled: 1-line block ×16, first 2 shown]
.LBB378_977:
	s_or_b32 exec_lo, exec_lo, s23
	v_mbcnt_lo_u32_b32 v0, -1, 0
	v_max_f32_e32 v4, v17, v17
	s_waitcnt lgkmcnt(0)
	s_lshr_b32 s8, s22, 16
	v_xor_b32_e32 v1, 16, v0
	v_xor_b32_e32 v3, 8, v0
	;; [unrolled: 1-line block ×3, first 2 shown]
	v_cmp_gt_i32_e32 vcc_lo, 32, v1
	v_cndmask_b32_e32 v1, v0, v1, vcc_lo
	v_cmp_gt_i32_e32 vcc_lo, 32, v3
	v_lshlrev_b32_e32 v2, 2, v1
	v_cndmask_b32_e32 v3, v0, v3, vcc_lo
	v_cmp_gt_i32_e32 vcc_lo, 32, v5
	ds_bpermute_b32 v1, v2, v17
	v_lshlrev_b32_e32 v3, 2, v3
	v_cndmask_b32_e32 v5, v0, v5, vcc_lo
	s_waitcnt lgkmcnt(0)
	v_max_f32_e32 v1, v1, v1
	v_max_f32_e32 v1, v4, v1
	ds_bpermute_b32 v4, v3, v1
	s_waitcnt lgkmcnt(0)
	v_max_f32_e32 v6, v4, v4
	v_lshlrev_b32_e32 v4, 2, v5
	v_max_f32_e32 v1, v1, v6
	v_xor_b32_e32 v6, 2, v0
	ds_bpermute_b32 v5, v4, v1
	v_cmp_gt_i32_e32 vcc_lo, 32, v6
	v_cndmask_b32_e32 v6, v0, v6, vcc_lo
	v_lshlrev_b32_e32 v31, 2, v6
	v_xor_b32_e32 v6, 1, v0
	v_cmp_gt_i32_e32 vcc_lo, 32, v6
	s_waitcnt lgkmcnt(0)
	v_max_f32_e32 v5, v5, v5
	v_cndmask_b32_e32 v6, v0, v6, vcc_lo
	v_max_f32_e32 v1, v1, v5
	v_lshlrev_b32_e32 v35, 2, v6
	ds_bpermute_b32 v5, v31, v1
	s_waitcnt lgkmcnt(0)
	v_max_f32_e32 v5, v5, v5
	v_max_f32_e32 v0, v1, v5
	buffer_load_dword v5, off, s[0:3], s32 offset:412 ; 4-byte Folded Reload
	ds_bpermute_b32 v1, v35, v0
	s_waitcnt vmcnt(0)
	v_cmp_eq_u32_e32 vcc_lo, 0, v5
	buffer_load_dword v5, off, s[0:3], s32 offset:824 ; 4-byte Folded Reload
	s_waitcnt vmcnt(0)
	v_lshlrev_b32_e32 v5, 2, v5
	s_and_saveexec_b32 s5, vcc_lo
	s_cbranch_execz .LBB378_979
; %bb.978:
	s_waitcnt lgkmcnt(0)
	v_max_f32_e32 v1, v1, v1
	v_max_f32_e32 v0, v0, v0
	;; [unrolled: 1-line block ×3, first 2 shown]
	ds_write_b32 v5, v0 offset:240
.LBB378_979:
	s_or_b32 exec_lo, exec_lo, s5
	buffer_load_dword v0, off, s[0:3], s32 offset:412 ; 4-byte Folded Reload
	s_waitcnt vmcnt(0) lgkmcnt(0)
	s_waitcnt_vscnt null, 0x0
	s_barrier
	buffer_gl0_inv
	v_cmp_gt_u32_e64 s5, 4, v0
	v_mov_b32_e32 v0, 0xff7fffff
	s_and_saveexec_b32 s6, s5
; %bb.980:
	ds_read_b32 v0, v16 offset:240
; %bb.981:
	s_or_b32 exec_lo, exec_lo, s6
	buffer_load_dword v6, off, s[0:3], s32 offset:224 ; 4-byte Folded Reload
	s_waitcnt lgkmcnt(0)
	ds_bpermute_b32 v1, v31, v0
	v_max_f32_e32 v0, v0, v0
	s_waitcnt lgkmcnt(0)
	v_max_f32_e32 v1, v1, v1
	v_max_f32_e32 v0, v0, v1
	ds_bpermute_b32 v1, v35, v0
	s_waitcnt lgkmcnt(0)
	v_max_f32_e32 v1, v1, v1
	v_max_f32_e32 v0, v0, v1
	s_waitcnt vmcnt(0)
	v_subrev_nc_u32_e32 v7, s13, v6
	v_mov_b32_e32 v6, 0
	v_lshl_add_u32 v1, v7, 5, s7
	buffer_load_dword v7, off, s[0:3], s32 offset:416 ; 4-byte Folded Reload
	ds_bpermute_b32 v0, v6, v0
	v_min_i32_e32 v1, v1, v38
	v_subrev_nc_u32_e32 v1, s7, v1
	s_waitcnt vmcnt(0)
	v_cmp_lt_i32_e64 s6, v7, v1
	s_and_saveexec_b32 s9, s6
	s_cbranch_execz .LBB378_985
; %bb.982:
	buffer_load_dword v8, off, s[0:3], s32 offset:416 ; 4-byte Folded Reload
	s_getpc_b64 s[20:21]
	s_add_u32 s20, s20, llvm.amdgcn.dynlds.offset.table@rel32@lo+4
	s_addc_u32 s21, s21, llvm.amdgcn.dynlds.offset.table@rel32@hi+12
	s_ashr_i32 s17, s16, 31
	v_mov_b32_e32 v6, 0
	s_lshl_b64 s[22:23], s[16:17], 2
	s_mov_b32 s13, 0
	s_add_u32 s20, s20, s22
	s_addc_u32 s21, s21, s23
	s_load_dword s7, s[20:21], 0x0
	s_waitcnt vmcnt(0) lgkmcnt(0)
	v_lshl_add_u32 v7, v8, 2, s7
	.p2align	6
.LBB378_983:                            ; =>This Inner Loop Header: Depth=1
	ds_read_b32 v9, v7
	v_add_nc_u32_e32 v8, 0x80, v8
	v_cmp_ge_i32_e64 s7, v8, v1
	s_or_b32 s13, s7, s13
	s_waitcnt lgkmcnt(0)
	v_sub_f32_e32 v9, v9, v0
	v_mul_f32_e32 v9, 0x3fb8aa3b, v9
	v_exp_f32_e32 v9, v9
	ds_write_b32 v7, v9
	v_add_f32_e32 v6, v6, v9
	v_add_nc_u32_e32 v7, 0x200, v7
	s_andn2_b32 exec_lo, exec_lo, s13
	s_cbranch_execnz .LBB378_983
; %bb.984:
	s_or_b32 exec_lo, exec_lo, s13
.LBB378_985:
	s_or_b32 exec_lo, exec_lo, s9
	ds_bpermute_b32 v2, v2, v6
	s_waitcnt lgkmcnt(0)
	v_add_f32_e32 v2, v6, v2
	ds_bpermute_b32 v3, v3, v2
	s_waitcnt lgkmcnt(0)
	v_add_f32_e32 v2, v2, v3
	;; [unrolled: 3-line block ×5, first 2 shown]
	s_and_saveexec_b32 s7, vcc_lo
; %bb.986:
	ds_write_b32 v5, v2 offset:256
; %bb.987:
	s_or_b32 exec_lo, exec_lo, s7
	s_waitcnt lgkmcnt(0)
	s_barrier
	buffer_gl0_inv
	s_and_saveexec_b32 s7, s5
; %bb.988:
	ds_read_b32 v2, v16 offset:256
; %bb.989:
	s_or_b32 exec_lo, exec_lo, s7
	s_waitcnt lgkmcnt(0)
	ds_bpermute_b32 v3, v31, v2
	s_waitcnt lgkmcnt(0)
	v_add_f32_e32 v2, v2, v3
	ds_bpermute_b32 v3, v35, v2
	s_waitcnt lgkmcnt(0)
	v_add_f32_e32 v2, v2, v3
	v_mov_b32_e32 v3, 0
	ds_bpermute_b32 v2, v3, v2
	s_and_saveexec_b32 s5, s6
	s_cbranch_execz .LBB378_992
; %bb.990:
	s_waitcnt lgkmcnt(0)
	v_add_f32_e32 v4, 0x358637bd, v2
	s_getpc_b64 s[6:7]
	s_add_u32 s6, s6, llvm.amdgcn.dynlds.offset.table@rel32@lo+4
	s_addc_u32 s7, s7, llvm.amdgcn.dynlds.offset.table@rel32@hi+12
	s_ashr_i32 s17, s16, 31
	s_lshl_b64 s[20:21], s[16:17], 2
	v_div_scale_f32 v3, null, v4, v4, 1.0
	v_div_scale_f32 v7, vcc_lo, 1.0, v4, 1.0
	s_add_u32 s6, s6, s20
	v_rcp_f32_e32 v5, v3
	s_addc_u32 s7, s7, s21
	s_load_dword s6, s[6:7], 0x0
	v_fma_f32 v6, -v3, v5, 1.0
	v_fmac_f32_e32 v5, v6, v5
	v_mul_f32_e32 v6, v7, v5
	v_fma_f32 v8, -v3, v6, v7
	v_fmac_f32_e32 v6, v8, v5
	v_fma_f32 v3, -v3, v6, v7
	v_div_fmas_f32 v5, v3, v5, v6
	buffer_load_dword v6, off, s[0:3], s32 offset:416 ; 4-byte Folded Reload
	v_div_fixup_f32 v4, v5, v4, 1.0
	s_waitcnt vmcnt(0) lgkmcnt(0)
	v_lshl_add_u32 v3, v6, 2, s6
	v_mov_b32_e32 v5, v6
	s_mov_b32 s6, 0
.LBB378_991:                            ; =>This Inner Loop Header: Depth=1
	ds_read_b32 v6, v3
	v_add_nc_u32_e32 v5, 0x80, v5
	v_cmp_ge_i32_e32 vcc_lo, v5, v1
	s_or_b32 s6, vcc_lo, s6
	s_waitcnt lgkmcnt(0)
	v_mul_f32_e32 v6, v4, v6
	ds_write_b32 v3, v6
	v_add_nc_u32_e32 v3, 0x200, v3
	s_andn2_b32 exec_lo, exec_lo, s6
	s_cbranch_execnz .LBB378_991
.LBB378_992:
	s_or_b32 exec_lo, exec_lo, s5
	s_waitcnt lgkmcnt(0)
	buffer_load_dword v1, off, s[0:3], s32 offset:416 ; 4-byte Folded Reload
	s_and_b32 s5, 0xffff, s8
	s_mov_b32 s8, exec_lo
	s_cmp_lg_u32 s5, 0
	s_barrier
	s_cselect_b32 s5, -1, 0
	s_waitcnt vmcnt(0)
	buffer_gl0_inv
	s_cmp_lg_u32 s5, 0
	s_addc_u32 s5, s11, 0
	s_mul_i32 s6, s5, s18
	s_mul_i32 s6, s6, s15
	v_cmpx_eq_u32_e32 0, v1
	s_cbranch_execz .LBB378_994
; %bb.993:
	s_ashr_i32 s7, s6, 31
	s_mul_i32 s12, s5, s12
	s_lshl_b64 s[20:21], s[6:7], 2
	s_ashr_i32 s13, s12, 31
	v_add_co_u32 v1, vcc_lo, v26, s20
	v_add_co_ci_u32_e64 v3, null, s21, v25, vcc_lo
	s_lshl_b64 s[12:13], s[12:13], 2
	s_ashr_i32 s15, s14, 31
	v_add_co_u32 v1, vcc_lo, v1, s12
	v_add_co_ci_u32_e64 v4, null, s13, v3, vcc_lo
	v_add_co_u32 v3, vcc_lo, v24, s20
	v_add_co_ci_u32_e64 v5, null, s21, v22, vcc_lo
	s_lshl_b64 s[20:21], s[14:15], 2
	v_add_co_u32 v6, vcc_lo, v3, s12
	v_add_co_ci_u32_e64 v7, null, s13, v5, vcc_lo
	v_add_co_u32 v3, vcc_lo, v1, s20
	v_add_co_ci_u32_e64 v4, null, s21, v4, vcc_lo
	;; [unrolled: 2-line block ×3, first 2 shown]
	flat_store_dword v[3:4], v0
	flat_store_dword v[5:6], v2
.LBB378_994:
	s_or_b32 exec_lo, exec_lo, s8
	buffer_load_dword v0, off, s[0:3], s32 offset:416 ; 4-byte Folded Reload
	s_ashr_i32 s17, s16, 31
	s_getpc_b64 s[8:9]
	s_add_u32 s8, s8, llvm.amdgcn.dynlds.offset.table@rel32@lo+4
	s_addc_u32 s9, s9, llvm.amdgcn.dynlds.offset.table@rel32@hi+12
	s_lshl_b64 s[12:13], s[16:17], 2
	v_mov_b32_e32 v19, 0
	v_mov_b32_e32 v24, 0
	;; [unrolled: 1-line block ×15, first 2 shown]
	s_add_u32 s8, s8, s12
	s_addc_u32 s9, s9, s13
	s_waitcnt vmcnt(0)
	v_and_b32_e32 v36, 3, v0
	s_and_saveexec_b32 s7, s4
	s_cbranch_execz .LBB378_1990
; %bb.995:
	buffer_store_dword v31, off, s[0:3], s32 offset:448 ; 4-byte Folded Spill
	buffer_store_dword v35, off, s[0:3], s32 offset:444 ; 4-byte Folded Spill
	buffer_load_dword v0, off, s[0:3], s32 offset:416 ; 4-byte Folded Reload
	v_max_i32_e32 v30, v30, v39
	s_load_dword s4, s[8:9], 0x0
	v_mov_b32_e32 v8, 0
	v_mov_b32_e32 v7, 0
	v_add_co_u32 v3, vcc_lo, v32, v37
	v_add_co_ci_u32_e64 v4, null, v11, v48, vcc_lo
	v_lshlrev_b32_e32 v6, 5, v36
	v_mov_b32_e32 v11, 0
	v_mov_b32_e32 v81, 0x80
	;; [unrolled: 1-line block ×4, first 2 shown]
	s_mov_b32 s12, -1
	s_mov_b32 s13, 0xffffff
	s_mov_b32 s11, 0
	s_waitcnt vmcnt(0)
	v_lshlrev_b32_e32 v2, 3, v0
	v_cvt_f32_u32_e32 v0, v30
	v_rcp_iflag_f32_e32 v5, v0
	v_add_nc_u32_e32 v0, -1, v13
	buffer_store_dword v0, off, s[0:3], s32 offset:428 ; 4-byte Folded Spill
	s_clause 0x1
	buffer_load_dword v0, off, s[0:3], s32 offset:200
	buffer_load_dword v1, off, s[0:3], s32 offset:204
	buffer_store_dword v8, off, s[0:3], s32 offset:360 ; 4-byte Folded Spill
	v_mov_b32_e32 v8, 0
	v_mul_f32_e32 v5, 0x4f7ffffe, v5
	buffer_store_dword v7, off, s[0:3], s32 offset:352 ; 4-byte Folded Spill
	v_mov_b32_e32 v7, 0
	buffer_store_dword v36, off, s[0:3], s32 offset:452 ; 4-byte Folded Spill
	buffer_store_dword v8, off, s[0:3], s32 offset:364 ; 4-byte Folded Spill
	v_mov_b32_e32 v8, 0
	v_cvt_u32_f32_e32 v5, v5
	buffer_store_dword v7, off, s[0:3], s32 offset:356 ; 4-byte Folded Spill
	v_sub_nc_u32_e32 v7, 0, v30
	buffer_store_dword v8, off, s[0:3], s32 offset:368 ; 4-byte Folded Spill
	v_mov_b32_e32 v8, 0
	v_mul_lo_u32 v7, v7, v5
	buffer_store_dword v8, off, s[0:3], s32 offset:372 ; 4-byte Folded Spill
	v_and_b32_e32 v8, 24, v2
	v_and_b32_e32 v2, 0xf8, v2
	v_mul_hi_u32 v7, v5, v7
	buffer_store_dword v8, off, s[0:3], s32 offset:432 ; 4-byte Folded Spill
	buffer_load_dword v8, off, s[0:3], s32 offset:824 ; 4-byte Folded Reload
	s_waitcnt vmcnt(1)
	v_lshlrev_b64 v[0:1], 2, v[0:1]
	v_add_co_u32 v0, vcc_lo, v33, v0
	v_add_co_ci_u32_e64 v1, null, v34, v1, vcc_lo
	v_add_co_u32 v2, vcc_lo, v3, v2
	v_add_co_ci_u32_e64 v3, null, 0, v4, vcc_lo
	buffer_store_dword v2, off, s[0:3], s32 offset:436 ; 4-byte Folded Spill
	buffer_store_dword v3, off, s[0:3], s32 offset:440 ; 4-byte Folded Spill
	v_add_co_u32 v14, vcc_lo, v14, v0
	v_add_nc_u32_e32 v0, v5, v7
	buffer_load_dword v5, off, s[0:3], s32 offset:836 ; 4-byte Folded Reload
	v_add_co_ci_u32_e64 v15, null, v15, v1, vcc_lo
	buffer_store_dword v0, off, s[0:3], s32 offset:408 ; 4-byte Folded Spill
	v_mov_b32_e32 v0, 0
	s_waitcnt vmcnt(1)
	v_lshl_or_b32 v6, v8, 7, v6
	buffer_store_dword v0, off, s[0:3], s32 offset:376 ; 4-byte Folded Spill
	v_mov_b32_e32 v0, 0
	s_waitcnt lgkmcnt(0)
	v_add_nc_u32_e32 v87, s4, v6
	buffer_store_dword v0, off, s[0:3], s32 offset:380 ; 4-byte Folded Spill
	v_mov_b32_e32 v0, 0
	buffer_store_dword v0, off, s[0:3], s32 offset:384 ; 4-byte Folded Spill
	v_mov_b32_e32 v0, 0
	;; [unrolled: 2-line block ×6, first 2 shown]
	buffer_store_dword v0, off, s[0:3], s32 offset:400 ; 4-byte Folded Spill
	s_branch .LBB378_998
.LBB378_996:                            ;   in Loop: Header=BB378_998 Depth=1
	s_or_b32 exec_lo, exec_lo, s4
	v_bfe_u32 v17, v6, 16, 1
	v_or_b32_e32 v49, 0x400000, v6
	v_cmp_u_f32_e32 vcc_lo, v6, v6
	v_lshlrev_b32_e32 v53, 16, v53
	v_lshlrev_b32_e32 v16, 16, v16
	v_add3_u32 v17, v17, v6, 0x7fff
	v_lshlrev_b32_e32 v25, 16, v25
	v_lshlrev_b32_e32 v50, 16, v50
	;; [unrolled: 1-line block ×4, first 2 shown]
	v_cndmask_b32_e32 v6, v17, v49, vcc_lo
	v_bfe_u32 v17, v7, 16, 1
	v_or_b32_e32 v49, 0x400000, v7
	v_cmp_u_f32_e32 vcc_lo, v7, v7
	v_lshlrev_b32_e32 v36, 16, v36
	v_lshlrev_b32_e32 v13, 16, v13
	v_add3_u32 v17, v17, v7, 0x7fff
	v_lshlrev_b32_e32 v12, 16, v12
	v_lshlrev_b32_e32 v31, 16, v31
	;; [unrolled: 1-line block ×4, first 2 shown]
	v_cndmask_b32_e32 v7, v17, v49, vcc_lo
	v_bfe_u32 v17, v8, 16, 1
	v_or_b32_e32 v49, 0x400000, v8
	v_cmp_u_f32_e32 vcc_lo, v8, v8
	v_lshlrev_b32_e32 v22, 16, v22
	v_add3_u32 v17, v17, v8, 0x7fff
	v_bfe_u32 v8, v9, 16, 1
	v_cndmask_b32_e32 v17, v17, v49, vcc_lo
	v_add3_u32 v8, v8, v9, 0x7fff
	v_or_b32_e32 v49, 0x400000, v9
	v_cmp_u_f32_e32 vcc_lo, v9, v9
	v_or_b32_e32 v9, 0x400000, v0
	v_cndmask_b32_e32 v49, v8, v49, vcc_lo
	v_bfe_u32 v8, v0, 16, 1
	v_cmp_u_f32_e32 vcc_lo, v0, v0
	v_add3_u32 v8, v8, v0, 0x7fff
	v_cndmask_b32_e32 v0, v8, v9, vcc_lo
	v_bfe_u32 v8, v1, 16, 1
	v_or_b32_e32 v9, 0x400000, v1
	v_cmp_u_f32_e32 vcc_lo, v1, v1
	v_add3_u32 v8, v8, v1, 0x7fff
	v_cndmask_b32_e32 v1, v8, v9, vcc_lo
	v_bfe_u32 v8, v2, 16, 1
	v_or_b32_e32 v9, 0x400000, v2
	v_cmp_u_f32_e32 vcc_lo, v2, v2
	v_and_b32_e32 v1, 0xffff0000, v1
	v_add3_u32 v8, v8, v2, 0x7fff
	v_mul_f32_e32 v53, v1, v53
	v_cndmask_b32_e32 v2, v8, v9, vcc_lo
	v_bfe_u32 v8, v3, 16, 1
	v_or_b32_e32 v9, 0x400000, v3
	v_cmp_u_f32_e32 vcc_lo, v3, v3
	v_mul_f32_e32 v35, v1, v35
	v_and_b32_e32 v2, 0xffff0000, v2
	v_add3_u32 v8, v8, v3, 0x7fff
	v_lshlrev_b32_e32 v3, 16, v42
	v_mul_f32_e32 v5, v1, v5
	v_mul_f32_e32 v28, v2, v28
	v_cndmask_b32_e32 v52, v8, v9, vcc_lo
	v_and_b32_e32 v8, 0xffff0000, v7
	v_mul_f32_e32 v31, v2, v31
	v_mul_f32_e32 v22, v2, v22
	;; [unrolled: 1-line block ×4, first 2 shown]
	v_bfe_u32 v7, v3, 16, 1
	v_or_b32_e32 v9, 0x400000, v3
	v_cmp_u_f32_e32 vcc_lo, v3, v3
	v_add3_u32 v7, v7, v3, 0x7fff
	v_lshlrev_b32_e32 v3, 16, v43
	v_cndmask_b32_e32 v42, v7, v9, vcc_lo
	v_and_b32_e32 v9, 0xffff0000, v6
	v_mul_f32_e32 v3, v9, v3
	v_bfe_u32 v6, v3, 16, 1
	v_or_b32_e32 v7, 0x400000, v3
	v_cmp_u_f32_e32 vcc_lo, v3, v3
	v_add3_u32 v6, v6, v3, 0x7fff
	v_and_b32_e32 v3, 0xffff0000, v49
	v_cndmask_b32_e32 v43, v6, v7, vcc_lo
	v_lshlrev_b32_e32 v6, 16, v84
	v_mul_f32_e32 v13, v3, v13
	v_mul_f32_e32 v6, v3, v6
	v_bfe_u32 v7, v6, 16, 1
	v_or_b32_e32 v49, 0x400000, v6
	v_cmp_u_f32_e32 vcc_lo, v6, v6
	v_add3_u32 v7, v7, v6, 0x7fff
	v_lshlrev_b32_e32 v6, 16, v85
	v_cndmask_b32_e32 v49, v7, v49, vcc_lo
	v_and_b32_e32 v7, 0xffff0000, v17
	v_and_b32_e32 v49, 0xffff0000, v49
	v_mul_f32_e32 v6, v7, v6
	v_mul_f32_e32 v25, v7, v25
	v_bfe_u32 v17, v6, 16, 1
	v_or_b32_e32 v84, 0x400000, v6
	v_cmp_u_f32_e32 vcc_lo, v6, v6
	v_add3_u32 v17, v17, v6, 0x7fff
	v_lshlrev_b32_e32 v6, 16, v40
	v_cndmask_b32_e32 v17, v17, v84, vcc_lo
	v_mul_f32_e32 v6, v1, v6
	v_and_b32_e32 v17, 0xffff0000, v17
	v_bfe_u32 v84, v6, 16, 1
	v_or_b32_e32 v85, 0x400000, v6
	v_cmp_u_f32_e32 vcc_lo, v6, v6
	v_add_f32_e32 v17, v17, v49
	v_add3_u32 v84, v84, v6, 0x7fff
	v_and_b32_e32 v6, 0xffff0000, v0
	v_lshlrev_b32_e32 v0, 16, v82
	v_cndmask_b32_e32 v84, v84, v85, vcc_lo
	v_mul_f32_e32 v36, v6, v36
	v_mul_f32_e32 v0, v6, v0
	;; [unrolled: 1-line block ×4, first 2 shown]
	v_bfe_u32 v82, v0, 16, 1
	v_or_b32_e32 v85, 0x400000, v0
	v_cmp_u_f32_e32 vcc_lo, v0, v0
	v_add3_u32 v82, v82, v0, 0x7fff
	v_and_b32_e32 v0, 0xffff0000, v52
	v_lshlrev_b32_e32 v52, 16, v44
	v_cndmask_b32_e32 v82, v82, v85, vcc_lo
	v_mul_f32_e32 v50, v0, v50
	v_mul_f32_e32 v52, v0, v52
	v_and_b32_e32 v49, 0xffff0000, v82
	v_and_b32_e32 v82, 0xffff0000, v84
	v_bfe_u32 v85, v52, 16, 1
	v_or_b32_e32 v40, 0x400000, v52
	v_cmp_u_f32_e32 vcc_lo, v52, v52
	v_add_f32_e32 v49, v49, v82
	v_add3_u32 v85, v85, v52, 0x7fff
	v_cndmask_b32_e32 v52, v85, v40, vcc_lo
	v_lshlrev_b32_e32 v85, 16, v41
	v_and_b32_e32 v52, 0xffff0000, v52
	v_mul_f32_e32 v85, v2, v85
	v_bfe_u32 v40, v85, 16, 1
	v_or_b32_e32 v41, 0x400000, v85
	v_cmp_u_f32_e32 vcc_lo, v85, v85
	v_add3_u32 v40, v40, v85, 0x7fff
	v_cndmask_b32_e32 v85, v40, v41, vcc_lo
	v_and_b32_e32 v40, 0xffff0000, v43
	v_and_b32_e32 v41, 0xffff0000, v42
	v_add_f32_e32 v40, v40, v41
	v_add_f32_e32 v17, v40, v17
	;; [unrolled: 1-line block ×3, first 2 shown]
	v_and_b32_e32 v49, 0xffff0000, v85
	v_add_f32_e32 v49, v49, v52
	v_add_f32_e32 v17, v17, v49
	buffer_load_dword v49, off, s[0:3], s32 offset:352 ; 4-byte Folded Reload
	s_waitcnt vmcnt(0)
	v_add_f32_e32 v49, v49, v17
	v_lshlrev_b32_e32 v17, 16, v117
	buffer_store_dword v49, off, s[0:3], s32 offset:352 ; 4-byte Folded Spill
	v_mul_f32_e32 v17, v8, v17
	v_bfe_u32 v49, v17, 16, 1
	v_or_b32_e32 v52, 0x400000, v17
	v_cmp_u_f32_e32 vcc_lo, v17, v17
	v_add3_u32 v49, v49, v17, 0x7fff
	v_cndmask_b32_e32 v17, v49, v52, vcc_lo
	v_lshlrev_b32_e32 v49, 16, v118
	v_and_b32_e32 v17, 0xffff0000, v17
	v_mul_f32_e32 v49, v9, v49
	v_bfe_u32 v52, v49, 16, 1
	v_or_b32_e32 v82, 0x400000, v49
	v_cmp_u_f32_e32 vcc_lo, v49, v49
	v_add3_u32 v52, v52, v49, 0x7fff
	v_cndmask_b32_e32 v49, v52, v82, vcc_lo
	v_lshlrev_b32_e32 v52, 16, v114
	v_and_b32_e32 v49, 0xffff0000, v49
	v_mul_f32_e32 v52, v3, v52
	v_add_f32_e32 v17, v49, v17
	v_bfe_u32 v82, v52, 16, 1
	v_or_b32_e32 v84, 0x400000, v52
	v_cmp_u_f32_e32 vcc_lo, v52, v52
	v_add3_u32 v82, v82, v52, 0x7fff
	v_cndmask_b32_e32 v52, v82, v84, vcc_lo
	v_lshlrev_b32_e32 v82, 16, v115
	v_and_b32_e32 v52, 0xffff0000, v52
	v_mul_f32_e32 v82, v7, v82
	v_bfe_u32 v84, v82, 16, 1
	v_or_b32_e32 v85, 0x400000, v82
	v_cmp_u_f32_e32 vcc_lo, v82, v82
	v_add3_u32 v84, v84, v82, 0x7fff
	v_cndmask_b32_e32 v82, v84, v85, vcc_lo
	v_lshlrev_b32_e32 v84, 16, v112
	v_and_b32_e32 v49, 0xffff0000, v82
	v_mul_f32_e32 v84, v1, v84
	v_add_f32_e32 v49, v49, v52
	v_bfe_u32 v85, v84, 16, 1
	v_or_b32_e32 v112, 0x400000, v84
	v_cmp_u_f32_e32 vcc_lo, v84, v84
	v_add_f32_e32 v17, v17, v49
	v_add3_u32 v85, v85, v84, 0x7fff
	v_cndmask_b32_e32 v84, v85, v112, vcc_lo
	v_lshlrev_b32_e32 v85, 16, v113
	v_and_b32_e32 v52, 0xffff0000, v84
	v_mul_f32_e32 v85, v6, v85
	v_bfe_u32 v112, v85, 16, 1
	v_or_b32_e32 v113, 0x400000, v85
	v_cmp_u_f32_e32 vcc_lo, v85, v85
	v_add3_u32 v112, v112, v85, 0x7fff
	v_cndmask_b32_e32 v85, v112, v113, vcc_lo
	v_lshlrev_b32_e32 v112, 16, v119
	v_and_b32_e32 v49, 0xffff0000, v85
	v_mul_f32_e32 v112, v0, v112
	v_add_f32_e32 v49, v49, v52
	v_bfe_u32 v113, v112, 16, 1
	v_or_b32_e32 v114, 0x400000, v112
	v_cmp_u_f32_e32 vcc_lo, v112, v112
	v_add_f32_e32 v17, v17, v49
	v_add3_u32 v113, v113, v112, 0x7fff
	v_cndmask_b32_e32 v112, v113, v114, vcc_lo
	v_lshlrev_b32_e32 v113, 16, v116
	v_and_b32_e32 v52, 0xffff0000, v112
	v_mul_f32_e32 v113, v2, v113
	v_bfe_u32 v114, v113, 16, 1
	v_or_b32_e32 v115, 0x400000, v113
	v_cmp_u_f32_e32 vcc_lo, v113, v113
	v_add3_u32 v114, v114, v113, 0x7fff
	v_cndmask_b32_e32 v113, v114, v115, vcc_lo
	v_and_b32_e32 v49, 0xffff0000, v113
	v_add_f32_e32 v49, v49, v52
	v_add_f32_e32 v17, v17, v49
	buffer_load_dword v49, off, s[0:3], s32 offset:356 ; 4-byte Folded Reload
	s_waitcnt vmcnt(0)
	v_add_f32_e32 v49, v49, v17
	v_lshlrev_b32_e32 v17, 16, v101
	buffer_store_dword v49, off, s[0:3], s32 offset:356 ; 4-byte Folded Spill
	v_mul_f32_e32 v17, v8, v17
	v_bfe_u32 v49, v17, 16, 1
	v_or_b32_e32 v52, 0x400000, v17
	v_cmp_u_f32_e32 vcc_lo, v17, v17
	v_add3_u32 v49, v49, v17, 0x7fff
	v_cndmask_b32_e32 v17, v49, v52, vcc_lo
	v_lshlrev_b32_e32 v49, 16, v102
	v_and_b32_e32 v17, 0xffff0000, v17
	v_mul_f32_e32 v49, v9, v49
	v_bfe_u32 v52, v49, 16, 1
	v_or_b32_e32 v82, 0x400000, v49
	v_cmp_u_f32_e32 vcc_lo, v49, v49
	v_add3_u32 v52, v52, v49, 0x7fff
	v_cndmask_b32_e32 v49, v52, v82, vcc_lo
	v_lshlrev_b32_e32 v52, 16, v98
	v_and_b32_e32 v49, 0xffff0000, v49
	v_mul_f32_e32 v52, v3, v52
	v_add_f32_e32 v17, v49, v17
	v_bfe_u32 v82, v52, 16, 1
	v_or_b32_e32 v84, 0x400000, v52
	v_cmp_u_f32_e32 vcc_lo, v52, v52
	v_add3_u32 v82, v82, v52, 0x7fff
	v_cndmask_b32_e32 v52, v82, v84, vcc_lo
	v_lshlrev_b32_e32 v82, 16, v99
	v_and_b32_e32 v52, 0xffff0000, v52
	v_mul_f32_e32 v82, v7, v82
	v_bfe_u32 v84, v82, 16, 1
	v_or_b32_e32 v85, 0x400000, v82
	v_cmp_u_f32_e32 vcc_lo, v82, v82
	v_add3_u32 v84, v84, v82, 0x7fff
	v_cndmask_b32_e32 v82, v84, v85, vcc_lo
	v_bfe_u32 v84, v53, 16, 1
	v_or_b32_e32 v85, 0x400000, v53
	v_cmp_u_f32_e32 vcc_lo, v53, v53
	v_and_b32_e32 v49, 0xffff0000, v82
	v_add3_u32 v84, v84, v53, 0x7fff
	v_add_f32_e32 v49, v49, v52
	v_cndmask_b32_e32 v53, v84, v85, vcc_lo
	v_lshlrev_b32_e32 v84, 16, v97
	v_add_f32_e32 v17, v17, v49
	v_and_b32_e32 v52, 0xffff0000, v53
	v_mul_f32_e32 v84, v6, v84
	v_bfe_u32 v85, v84, 16, 1
	v_or_b32_e32 v97, 0x400000, v84
	v_cmp_u_f32_e32 vcc_lo, v84, v84
	v_add3_u32 v85, v85, v84, 0x7fff
	v_cndmask_b32_e32 v84, v85, v97, vcc_lo
	v_lshlrev_b32_e32 v85, 16, v103
	v_and_b32_e32 v49, 0xffff0000, v84
	v_mul_f32_e32 v85, v0, v85
	v_add_f32_e32 v49, v49, v52
	v_bfe_u32 v97, v85, 16, 1
	v_or_b32_e32 v98, 0x400000, v85
	v_cmp_u_f32_e32 vcc_lo, v85, v85
	v_add_f32_e32 v17, v17, v49
	v_add3_u32 v97, v97, v85, 0x7fff
	v_cndmask_b32_e32 v85, v97, v98, vcc_lo
	v_lshlrev_b32_e32 v97, 16, v100
	v_and_b32_e32 v52, 0xffff0000, v85
	v_mul_f32_e32 v97, v2, v97
	v_bfe_u32 v98, v97, 16, 1
	v_or_b32_e32 v99, 0x400000, v97
	v_cmp_u_f32_e32 vcc_lo, v97, v97
	v_add3_u32 v98, v98, v97, 0x7fff
	v_cndmask_b32_e32 v97, v98, v99, vcc_lo
	v_cmp_u_f32_e32 vcc_lo, v16, v16
	v_and_b32_e32 v49, 0xffff0000, v97
	v_add_f32_e32 v49, v49, v52
	v_add_f32_e32 v17, v17, v49
	buffer_load_dword v49, off, s[0:3], s32 offset:360 ; 4-byte Folded Reload
	s_waitcnt vmcnt(0)
	v_add_f32_e32 v49, v49, v17
	v_bfe_u32 v17, v16, 16, 1
	buffer_store_dword v49, off, s[0:3], s32 offset:360 ; 4-byte Folded Spill
	v_add3_u32 v17, v17, v16, 0x7fff
	v_or_b32_e32 v49, 0x400000, v16
	v_cndmask_b32_e32 v16, v17, v49, vcc_lo
	v_lshlrev_b32_e32 v17, 16, v54
	v_and_b32_e32 v16, 0xffff0000, v16
	v_mul_f32_e32 v17, v9, v17
	v_bfe_u32 v49, v17, 16, 1
	v_or_b32_e32 v52, 0x400000, v17
	v_cmp_u_f32_e32 vcc_lo, v17, v17
	v_add3_u32 v49, v49, v17, 0x7fff
	v_cndmask_b32_e32 v17, v49, v52, vcc_lo
	v_lshlrev_b32_e32 v49, 16, v71
	v_and_b32_e32 v17, 0xffff0000, v17
	v_mul_f32_e32 v49, v3, v49
	v_add_f32_e32 v16, v17, v16
	v_bfe_u32 v52, v49, 16, 1
	v_or_b32_e32 v53, 0x400000, v49
	v_cmp_u_f32_e32 vcc_lo, v49, v49
	v_add3_u32 v52, v52, v49, 0x7fff
	v_cndmask_b32_e32 v49, v52, v53, vcc_lo
	v_bfe_u32 v52, v25, 16, 1
	v_or_b32_e32 v53, 0x400000, v25
	v_cmp_u_f32_e32 vcc_lo, v25, v25
	v_add3_u32 v52, v52, v25, 0x7fff
	v_cndmask_b32_e32 v25, v52, v53, vcc_lo
	v_lshlrev_b32_e32 v52, 16, v69
	v_and_b32_e32 v17, 0xffff0000, v25
	v_mul_f32_e32 v52, v1, v52
	v_and_b32_e32 v25, 0xffff0000, v49
	v_bfe_u32 v53, v52, 16, 1
	v_or_b32_e32 v54, 0x400000, v52
	v_cmp_u_f32_e32 vcc_lo, v52, v52
	v_add_f32_e32 v17, v17, v25
	v_add3_u32 v53, v53, v52, 0x7fff
	v_add_f32_e32 v16, v16, v17
	v_cndmask_b32_e32 v52, v53, v54, vcc_lo
	v_lshlrev_b32_e32 v53, 16, v70
	v_and_b32_e32 v25, 0xffff0000, v52
	v_mul_f32_e32 v53, v6, v53
	v_bfe_u32 v54, v53, 16, 1
	v_or_b32_e32 v69, 0x400000, v53
	v_cmp_u_f32_e32 vcc_lo, v53, v53
	v_add3_u32 v54, v54, v53, 0x7fff
	v_cndmask_b32_e32 v53, v54, v69, vcc_lo
	v_bfe_u32 v54, v50, 16, 1
	v_or_b32_e32 v69, 0x400000, v50
	v_cmp_u_f32_e32 vcc_lo, v50, v50
	v_and_b32_e32 v17, 0xffff0000, v53
	v_add3_u32 v54, v54, v50, 0x7fff
	v_add_f32_e32 v17, v17, v25
	v_cndmask_b32_e32 v50, v54, v69, vcc_lo
	v_bfe_u32 v54, v28, 16, 1
	v_or_b32_e32 v69, 0x400000, v28
	v_cmp_u_f32_e32 vcc_lo, v28, v28
	v_add_f32_e32 v16, v16, v17
	v_and_b32_e32 v25, 0xffff0000, v50
	v_add3_u32 v54, v54, v28, 0x7fff
	v_cndmask_b32_e32 v28, v54, v69, vcc_lo
	v_and_b32_e32 v17, 0xffff0000, v28
	v_add_f32_e32 v17, v17, v25
	v_add_f32_e32 v16, v16, v17
	buffer_load_dword v17, off, s[0:3], s32 offset:364 ; 4-byte Folded Reload
	s_waitcnt vmcnt(0)
	v_add_f32_e32 v17, v17, v16
	v_lshlrev_b32_e32 v16, 16, v66
	buffer_store_dword v17, off, s[0:3], s32 offset:364 ; 4-byte Folded Spill
	v_mul_f32_e32 v16, v8, v16
	v_bfe_u32 v17, v16, 16, 1
	v_or_b32_e32 v25, 0x400000, v16
	v_cmp_u_f32_e32 vcc_lo, v16, v16
	v_add3_u32 v17, v17, v16, 0x7fff
	v_cndmask_b32_e32 v16, v17, v25, vcc_lo
	v_lshlrev_b32_e32 v17, 16, v67
	v_and_b32_e32 v16, 0xffff0000, v16
	v_mul_f32_e32 v17, v9, v17
	v_bfe_u32 v25, v17, 16, 1
	v_or_b32_e32 v28, 0x400000, v17
	v_cmp_u_f32_e32 vcc_lo, v17, v17
	v_add3_u32 v25, v25, v17, 0x7fff
	v_cndmask_b32_e32 v17, v25, v28, vcc_lo
	v_lshlrev_b32_e32 v25, 16, v55
	v_and_b32_e32 v17, 0xffff0000, v17
	v_mul_f32_e32 v25, v3, v25
	v_add_f32_e32 v16, v17, v16
	v_bfe_u32 v28, v25, 16, 1
	v_or_b32_e32 v49, 0x400000, v25
	v_cmp_u_f32_e32 vcc_lo, v25, v25
	v_add3_u32 v28, v28, v25, 0x7fff
	v_cndmask_b32_e32 v25, v28, v49, vcc_lo
	v_lshlrev_b32_e32 v28, 16, v64
	v_and_b32_e32 v25, 0xffff0000, v25
	v_mul_f32_e32 v28, v7, v28
	v_bfe_u32 v49, v28, 16, 1
	v_or_b32_e32 v50, 0x400000, v28
	v_cmp_u_f32_e32 vcc_lo, v28, v28
	v_add3_u32 v49, v49, v28, 0x7fff
	v_cndmask_b32_e32 v28, v49, v50, vcc_lo
	v_bfe_u32 v49, v35, 16, 1
	v_or_b32_e32 v50, 0x400000, v35
	v_cmp_u_f32_e32 vcc_lo, v35, v35
	v_and_b32_e32 v17, 0xffff0000, v28
	v_add3_u32 v49, v49, v35, 0x7fff
	v_add_f32_e32 v17, v17, v25
	v_cndmask_b32_e32 v35, v49, v50, vcc_lo
	v_bfe_u32 v49, v36, 16, 1
	v_or_b32_e32 v50, 0x400000, v36
	v_cmp_u_f32_e32 vcc_lo, v36, v36
	v_add_f32_e32 v16, v16, v17
	v_and_b32_e32 v25, 0xffff0000, v35
	v_add3_u32 v49, v49, v36, 0x7fff
	v_cndmask_b32_e32 v36, v49, v50, vcc_lo
	v_lshlrev_b32_e32 v49, 16, v68
	v_and_b32_e32 v17, 0xffff0000, v36
	v_mul_f32_e32 v49, v0, v49
	v_add_f32_e32 v17, v17, v25
	v_bfe_u32 v50, v49, 16, 1
	v_or_b32_e32 v52, 0x400000, v49
	v_cmp_u_f32_e32 vcc_lo, v49, v49
	v_add_f32_e32 v16, v16, v17
	v_add3_u32 v50, v50, v49, 0x7fff
	v_cndmask_b32_e32 v49, v50, v52, vcc_lo
	v_lshlrev_b32_e32 v50, 16, v65
	v_and_b32_e32 v25, 0xffff0000, v49
	v_mul_f32_e32 v50, v2, v50
	v_bfe_u32 v52, v50, 16, 1
	v_or_b32_e32 v53, 0x400000, v50
	v_cmp_u_f32_e32 vcc_lo, v50, v50
	v_add3_u32 v52, v52, v50, 0x7fff
	v_cndmask_b32_e32 v50, v52, v53, vcc_lo
	v_and_b32_e32 v17, 0xffff0000, v50
	v_add_f32_e32 v17, v17, v25
	v_add_f32_e32 v16, v16, v17
	buffer_load_dword v17, off, s[0:3], s32 offset:368 ; 4-byte Folded Reload
	s_waitcnt vmcnt(0)
	v_add_f32_e32 v17, v17, v16
	v_lshlrev_b32_e32 v16, 16, v32
	buffer_store_dword v17, off, s[0:3], s32 offset:368 ; 4-byte Folded Spill
	v_mul_f32_e32 v16, v8, v16
	v_bfe_u32 v17, v16, 16, 1
	v_or_b32_e32 v25, 0x400000, v16
	v_cmp_u_f32_e32 vcc_lo, v16, v16
	v_add3_u32 v17, v17, v16, 0x7fff
	v_cndmask_b32_e32 v16, v17, v25, vcc_lo
	v_lshlrev_b32_e32 v17, 16, v33
	v_and_b32_e32 v16, 0xffff0000, v16
	v_mul_f32_e32 v17, v9, v17
	v_bfe_u32 v25, v17, 16, 1
	v_or_b32_e32 v28, 0x400000, v17
	v_cmp_u_f32_e32 vcc_lo, v17, v17
	v_add3_u32 v25, v25, v17, 0x7fff
	v_cndmask_b32_e32 v17, v25, v28, vcc_lo
	v_bfe_u32 v25, v13, 16, 1
	v_or_b32_e32 v28, 0x400000, v13
	v_cmp_u_f32_e32 vcc_lo, v13, v13
	v_and_b32_e32 v17, 0xffff0000, v17
	v_add3_u32 v25, v25, v13, 0x7fff
	v_add_f32_e32 v16, v17, v16
	v_cndmask_b32_e32 v13, v25, v28, vcc_lo
	v_lshlrev_b32_e32 v25, 16, v96
	v_and_b32_e32 v13, 0xffff0000, v13
	v_mul_f32_e32 v25, v7, v25
	v_bfe_u32 v28, v25, 16, 1
	v_or_b32_e32 v32, 0x400000, v25
	v_cmp_u_f32_e32 vcc_lo, v25, v25
	v_add3_u32 v28, v28, v25, 0x7fff
	v_cndmask_b32_e32 v25, v28, v32, vcc_lo
	v_lshlrev_b32_e32 v28, 16, v86
	v_and_b32_e32 v17, 0xffff0000, v25
	v_mul_f32_e32 v28, v1, v28
	v_add_f32_e32 v13, v17, v13
	v_bfe_u32 v32, v28, 16, 1
	v_or_b32_e32 v33, 0x400000, v28
	v_cmp_u_f32_e32 vcc_lo, v28, v28
	v_add_f32_e32 v13, v16, v13
	v_add3_u32 v32, v32, v28, 0x7fff
	v_cndmask_b32_e32 v28, v32, v33, vcc_lo
	v_bfe_u32 v32, v12, 16, 1
	v_or_b32_e32 v33, 0x400000, v12
	v_cmp_u_f32_e32 vcc_lo, v12, v12
	v_and_b32_e32 v16, 0xffff0000, v28
	v_add3_u32 v32, v32, v12, 0x7fff
	v_cndmask_b32_e32 v12, v32, v33, vcc_lo
	v_lshlrev_b32_e32 v32, 16, v34
	v_and_b32_e32 v12, 0xffff0000, v12
	v_mul_f32_e32 v32, v0, v32
	v_add_f32_e32 v12, v12, v16
	v_bfe_u32 v33, v32, 16, 1
	v_or_b32_e32 v34, 0x400000, v32
	v_cmp_u_f32_e32 vcc_lo, v32, v32
	v_add_f32_e32 v12, v13, v12
	v_add3_u32 v33, v33, v32, 0x7fff
	v_cndmask_b32_e32 v32, v33, v34, vcc_lo
	v_bfe_u32 v33, v31, 16, 1
	v_or_b32_e32 v34, 0x400000, v31
	v_cmp_u_f32_e32 vcc_lo, v31, v31
	v_and_b32_e32 v16, 0xffff0000, v32
	v_add3_u32 v33, v33, v31, 0x7fff
	v_cndmask_b32_e32 v31, v33, v34, vcc_lo
	v_and_b32_e32 v13, 0xffff0000, v31
	v_add_f32_e32 v13, v13, v16
	v_add_f32_e32 v12, v12, v13
	buffer_load_dword v13, off, s[0:3], s32 offset:372 ; 4-byte Folded Reload
	s_waitcnt vmcnt(0)
	v_add_f32_e32 v13, v13, v12
	v_lshlrev_b32_e32 v12, 16, v127
	buffer_store_dword v13, off, s[0:3], s32 offset:372 ; 4-byte Folded Spill
	v_mul_f32_e32 v12, v8, v12
	v_bfe_u32 v13, v12, 16, 1
	v_or_b32_e32 v16, 0x400000, v12
	v_cmp_u_f32_e32 vcc_lo, v12, v12
	v_add3_u32 v13, v13, v12, 0x7fff
	v_cndmask_b32_e32 v12, v13, v16, vcc_lo
	v_lshlrev_b32_e32 v13, 16, v29
	v_and_b32_e32 v12, 0xffff0000, v12
	v_mul_f32_e32 v13, v9, v13
	v_bfe_u32 v16, v13, 16, 1
	v_or_b32_e32 v17, 0x400000, v13
	v_cmp_u_f32_e32 vcc_lo, v13, v13
	v_add3_u32 v16, v16, v13, 0x7fff
	v_cndmask_b32_e32 v13, v16, v17, vcc_lo
	v_lshlrev_b32_e32 v16, 16, v124
	v_and_b32_e32 v13, 0xffff0000, v13
	v_mul_f32_e32 v16, v3, v16
	v_add_f32_e32 v12, v13, v12
	v_bfe_u32 v17, v16, 16, 1
	v_or_b32_e32 v25, 0x400000, v16
	v_cmp_u_f32_e32 vcc_lo, v16, v16
	v_add3_u32 v17, v17, v16, 0x7fff
	v_cndmask_b32_e32 v16, v17, v25, vcc_lo
	v_lshlrev_b32_e32 v17, 16, v125
	v_and_b32_e32 v16, 0xffff0000, v16
	v_mul_f32_e32 v17, v7, v17
	v_bfe_u32 v25, v17, 16, 1
	v_or_b32_e32 v28, 0x400000, v17
	v_cmp_u_f32_e32 vcc_lo, v17, v17
	v_add3_u32 v25, v25, v17, 0x7fff
	v_cndmask_b32_e32 v17, v25, v28, vcc_lo
	v_lshlrev_b32_e32 v25, 16, v122
	v_and_b32_e32 v13, 0xffff0000, v17
	v_mul_f32_e32 v25, v1, v25
	v_add_f32_e32 v13, v13, v16
	v_bfe_u32 v28, v25, 16, 1
	v_or_b32_e32 v29, 0x400000, v25
	v_cmp_u_f32_e32 vcc_lo, v25, v25
	v_add_f32_e32 v12, v12, v13
	v_add3_u32 v28, v28, v25, 0x7fff
	v_cndmask_b32_e32 v25, v28, v29, vcc_lo
	v_lshlrev_b32_e32 v28, 16, v123
	v_and_b32_e32 v16, 0xffff0000, v25
	v_mul_f32_e32 v28, v6, v28
	v_bfe_u32 v29, v28, 16, 1
	v_or_b32_e32 v31, 0x400000, v28
	v_cmp_u_f32_e32 vcc_lo, v28, v28
	v_add3_u32 v29, v29, v28, 0x7fff
	v_cndmask_b32_e32 v28, v29, v31, vcc_lo
	v_lshlrev_b32_e32 v29, 16, v80
	v_and_b32_e32 v13, 0xffff0000, v28
	v_mul_f32_e32 v29, v0, v29
	v_add_f32_e32 v13, v13, v16
	v_bfe_u32 v31, v29, 16, 1
	v_or_b32_e32 v32, 0x400000, v29
	v_cmp_u_f32_e32 vcc_lo, v29, v29
	v_add_f32_e32 v12, v12, v13
	v_add3_u32 v31, v31, v29, 0x7fff
	v_cndmask_b32_e32 v29, v31, v32, vcc_lo
	v_lshlrev_b32_e32 v31, 16, v126
	v_and_b32_e32 v16, 0xffff0000, v29
	v_mul_f32_e32 v31, v2, v31
	v_bfe_u32 v32, v31, 16, 1
	v_or_b32_e32 v33, 0x400000, v31
	v_cmp_u_f32_e32 vcc_lo, v31, v31
	v_add3_u32 v32, v32, v31, 0x7fff
	v_cndmask_b32_e32 v31, v32, v33, vcc_lo
	v_and_b32_e32 v13, 0xffff0000, v31
	v_add_f32_e32 v13, v13, v16
	v_add_f32_e32 v12, v12, v13
	buffer_load_dword v13, off, s[0:3], s32 offset:376 ; 4-byte Folded Reload
	s_waitcnt vmcnt(0)
	v_add_f32_e32 v13, v13, v12
	v_lshlrev_b32_e32 v12, 16, v111
	buffer_store_dword v13, off, s[0:3], s32 offset:376 ; 4-byte Folded Spill
	v_mul_f32_e32 v12, v8, v12
	v_bfe_u32 v13, v12, 16, 1
	v_or_b32_e32 v16, 0x400000, v12
	v_cmp_u_f32_e32 vcc_lo, v12, v12
	v_add3_u32 v13, v13, v12, 0x7fff
	v_cndmask_b32_e32 v12, v13, v16, vcc_lo
	v_lshlrev_b32_e32 v13, 16, v120
	v_and_b32_e32 v12, 0xffff0000, v12
	v_mul_f32_e32 v13, v9, v13
	v_bfe_u32 v16, v13, 16, 1
	v_or_b32_e32 v17, 0x400000, v13
	v_cmp_u_f32_e32 vcc_lo, v13, v13
	v_add3_u32 v16, v16, v13, 0x7fff
	v_cndmask_b32_e32 v13, v16, v17, vcc_lo
	v_lshlrev_b32_e32 v16, 16, v108
	v_and_b32_e32 v13, 0xffff0000, v13
	v_mul_f32_e32 v16, v3, v16
	v_add_f32_e32 v12, v13, v12
	v_bfe_u32 v17, v16, 16, 1
	v_or_b32_e32 v25, 0x400000, v16
	v_cmp_u_f32_e32 vcc_lo, v16, v16
	v_add3_u32 v17, v17, v16, 0x7fff
	v_cndmask_b32_e32 v16, v17, v25, vcc_lo
	v_lshlrev_b32_e32 v17, 16, v109
	v_and_b32_e32 v16, 0xffff0000, v16
	v_mul_f32_e32 v17, v7, v17
	v_bfe_u32 v25, v17, 16, 1
	v_or_b32_e32 v28, 0x400000, v17
	v_cmp_u_f32_e32 vcc_lo, v17, v17
	v_add3_u32 v25, v25, v17, 0x7fff
	v_cndmask_b32_e32 v17, v25, v28, vcc_lo
	v_lshlrev_b32_e32 v25, 16, v106
	v_and_b32_e32 v13, 0xffff0000, v17
	v_mul_f32_e32 v25, v1, v25
	v_add_f32_e32 v13, v13, v16
	v_bfe_u32 v28, v25, 16, 1
	v_or_b32_e32 v29, 0x400000, v25
	v_cmp_u_f32_e32 vcc_lo, v25, v25
	v_add_f32_e32 v12, v12, v13
	v_add3_u32 v28, v28, v25, 0x7fff
	v_cndmask_b32_e32 v25, v28, v29, vcc_lo
	v_lshlrev_b32_e32 v28, 16, v107
	v_and_b32_e32 v16, 0xffff0000, v25
	v_mul_f32_e32 v28, v6, v28
	v_bfe_u32 v29, v28, 16, 1
	v_or_b32_e32 v31, 0x400000, v28
	v_cmp_u_f32_e32 vcc_lo, v28, v28
	v_add3_u32 v29, v29, v28, 0x7fff
	v_cndmask_b32_e32 v28, v29, v31, vcc_lo
	v_lshlrev_b32_e32 v29, 16, v121
	v_and_b32_e32 v13, 0xffff0000, v28
	v_mul_f32_e32 v29, v0, v29
	v_add_f32_e32 v13, v13, v16
	v_bfe_u32 v31, v29, 16, 1
	v_or_b32_e32 v32, 0x400000, v29
	v_cmp_u_f32_e32 vcc_lo, v29, v29
	v_add_f32_e32 v12, v12, v13
	v_add3_u32 v31, v31, v29, 0x7fff
	v_cndmask_b32_e32 v29, v31, v32, vcc_lo
	v_lshlrev_b32_e32 v31, 16, v110
	v_and_b32_e32 v16, 0xffff0000, v29
	v_mul_f32_e32 v31, v2, v31
	v_bfe_u32 v32, v31, 16, 1
	v_or_b32_e32 v33, 0x400000, v31
	v_cmp_u_f32_e32 vcc_lo, v31, v31
	v_add3_u32 v32, v32, v31, 0x7fff
	v_cndmask_b32_e32 v31, v32, v33, vcc_lo
	v_and_b32_e32 v13, 0xffff0000, v31
	v_add_f32_e32 v13, v13, v16
	v_add_f32_e32 v12, v12, v13
	buffer_load_dword v13, off, s[0:3], s32 offset:380 ; 4-byte Folded Reload
	s_waitcnt vmcnt(0)
	v_add_f32_e32 v13, v13, v12
	v_lshlrev_b32_e32 v12, 16, v48
	buffer_store_dword v13, off, s[0:3], s32 offset:380 ; 4-byte Folded Spill
	v_mul_f32_e32 v12, v8, v12
	v_bfe_u32 v13, v12, 16, 1
	v_or_b32_e32 v16, 0x400000, v12
	v_cmp_u_f32_e32 vcc_lo, v12, v12
	v_add3_u32 v13, v13, v12, 0x7fff
	v_cndmask_b32_e32 v12, v13, v16, vcc_lo
	v_lshlrev_b32_e32 v13, 16, v39
	v_and_b32_e32 v12, 0xffff0000, v12
	v_mul_f32_e32 v13, v9, v13
	v_bfe_u32 v16, v13, 16, 1
	v_or_b32_e32 v17, 0x400000, v13
	v_cmp_u_f32_e32 vcc_lo, v13, v13
	v_add3_u32 v16, v16, v13, 0x7fff
	v_cndmask_b32_e32 v13, v16, v17, vcc_lo
	v_lshlrev_b32_e32 v16, 16, v27
	v_and_b32_e32 v13, 0xffff0000, v13
	v_mul_f32_e32 v16, v3, v16
	v_add_f32_e32 v12, v13, v12
	v_bfe_u32 v17, v16, 16, 1
	v_or_b32_e32 v25, 0x400000, v16
	v_cmp_u_f32_e32 vcc_lo, v16, v16
	v_add3_u32 v17, v17, v16, 0x7fff
	v_cndmask_b32_e32 v16, v17, v25, vcc_lo
	v_lshlrev_b32_e32 v17, 16, v37
	v_and_b32_e32 v16, 0xffff0000, v16
	v_mul_f32_e32 v17, v7, v17
	v_bfe_u32 v25, v17, 16, 1
	v_or_b32_e32 v27, 0x400000, v17
	v_cmp_u_f32_e32 vcc_lo, v17, v17
	v_add3_u32 v25, v25, v17, 0x7fff
	v_cndmask_b32_e32 v17, v25, v27, vcc_lo
	v_bfe_u32 v25, v5, 16, 1
	v_or_b32_e32 v27, 0x400000, v5
	v_cmp_u_f32_e32 vcc_lo, v5, v5
	v_and_b32_e32 v13, 0xffff0000, v17
	v_add3_u32 v25, v25, v5, 0x7fff
	v_add_f32_e32 v13, v13, v16
	v_cndmask_b32_e32 v5, v25, v27, vcc_lo
	v_bfe_u32 v25, v4, 16, 1
	v_or_b32_e32 v27, 0x400000, v4
	v_cmp_u_f32_e32 vcc_lo, v4, v4
	v_add_f32_e32 v12, v12, v13
	v_and_b32_e32 v5, 0xffff0000, v5
	v_add3_u32 v25, v25, v4, 0x7fff
	v_cndmask_b32_e32 v4, v25, v27, vcc_lo
	v_lshlrev_b32_e32 v25, 16, v26
	v_and_b32_e32 v4, 0xffff0000, v4
	v_mul_f32_e32 v25, v0, v25
	v_add_f32_e32 v4, v4, v5
	v_bfe_u32 v26, v25, 16, 1
	v_or_b32_e32 v27, 0x400000, v25
	v_cmp_u_f32_e32 vcc_lo, v25, v25
	v_add_f32_e32 v4, v12, v4
	v_add3_u32 v26, v26, v25, 0x7fff
	v_cndmask_b32_e32 v25, v26, v27, vcc_lo
	v_bfe_u32 v26, v22, 16, 1
	v_or_b32_e32 v27, 0x400000, v22
	v_cmp_u_f32_e32 vcc_lo, v22, v22
	v_and_b32_e32 v12, 0xffff0000, v25
	v_add3_u32 v26, v26, v22, 0x7fff
	v_cndmask_b32_e32 v22, v26, v27, vcc_lo
	v_and_b32_e32 v5, 0xffff0000, v22
	v_add_f32_e32 v5, v5, v12
	v_add_f32_e32 v4, v4, v5
	buffer_load_dword v5, off, s[0:3], s32 offset:384 ; 4-byte Folded Reload
	s_waitcnt vmcnt(0)
	v_add_f32_e32 v5, v5, v4
	v_lshlrev_b32_e32 v4, 16, v105
	buffer_store_dword v5, off, s[0:3], s32 offset:384 ; 4-byte Folded Spill
	v_mul_f32_e32 v4, v8, v4
	v_bfe_u32 v5, v4, 16, 1
	v_or_b32_e32 v12, 0x400000, v4
	v_cmp_u_f32_e32 vcc_lo, v4, v4
	v_add3_u32 v5, v5, v4, 0x7fff
	v_cndmask_b32_e32 v4, v5, v12, vcc_lo
	v_lshlrev_b32_e32 v5, 16, v104
	v_and_b32_e32 v4, 0xffff0000, v4
	v_mul_f32_e32 v5, v9, v5
	v_bfe_u32 v12, v5, 16, 1
	v_or_b32_e32 v13, 0x400000, v5
	v_cmp_u_f32_e32 vcc_lo, v5, v5
	v_add3_u32 v12, v12, v5, 0x7fff
	v_cndmask_b32_e32 v5, v12, v13, vcc_lo
	v_lshlrev_b32_e32 v12, 16, v94
	v_and_b32_e32 v5, 0xffff0000, v5
	v_mul_f32_e32 v12, v3, v12
	v_add_f32_e32 v4, v5, v4
	v_bfe_u32 v13, v12, 16, 1
	v_or_b32_e32 v16, 0x400000, v12
	v_cmp_u_f32_e32 vcc_lo, v12, v12
	v_add3_u32 v13, v13, v12, 0x7fff
	v_cndmask_b32_e32 v12, v13, v16, vcc_lo
	v_lshlrev_b32_e32 v13, 16, v95
	v_and_b32_e32 v12, 0xffff0000, v12
	v_mul_f32_e32 v13, v7, v13
	v_bfe_u32 v16, v13, 16, 1
	v_or_b32_e32 v17, 0x400000, v13
	v_cmp_u_f32_e32 vcc_lo, v13, v13
	v_add3_u32 v16, v16, v13, 0x7fff
	v_cndmask_b32_e32 v13, v16, v17, vcc_lo
	v_lshlrev_b32_e32 v16, 16, v91
	v_and_b32_e32 v5, 0xffff0000, v13
	v_mul_f32_e32 v16, v1, v16
	v_add_f32_e32 v5, v5, v12
	v_bfe_u32 v17, v16, 16, 1
	v_or_b32_e32 v22, 0x400000, v16
	v_cmp_u_f32_e32 vcc_lo, v16, v16
	v_add_f32_e32 v4, v4, v5
	v_add3_u32 v17, v17, v16, 0x7fff
	v_cndmask_b32_e32 v16, v17, v22, vcc_lo
	v_lshlrev_b32_e32 v17, 16, v90
	v_and_b32_e32 v12, 0xffff0000, v16
	v_mul_f32_e32 v17, v6, v17
	v_bfe_u32 v22, v17, 16, 1
	v_or_b32_e32 v25, 0x400000, v17
	v_cmp_u_f32_e32 vcc_lo, v17, v17
	v_add3_u32 v22, v22, v17, 0x7fff
	v_cndmask_b32_e32 v17, v22, v25, vcc_lo
	v_lshlrev_b32_e32 v22, 16, v93
	v_and_b32_e32 v5, 0xffff0000, v17
	v_mul_f32_e32 v22, v0, v22
	v_add_f32_e32 v5, v5, v12
	v_bfe_u32 v25, v22, 16, 1
	v_or_b32_e32 v26, 0x400000, v22
	v_cmp_u_f32_e32 vcc_lo, v22, v22
	v_add_f32_e32 v4, v4, v5
	v_add3_u32 v25, v25, v22, 0x7fff
	v_cndmask_b32_e32 v22, v25, v26, vcc_lo
	v_lshlrev_b32_e32 v25, 16, v92
	v_and_b32_e32 v12, 0xffff0000, v22
	v_mul_f32_e32 v25, v2, v25
	v_bfe_u32 v26, v25, 16, 1
	v_or_b32_e32 v27, 0x400000, v25
	v_cmp_u_f32_e32 vcc_lo, v25, v25
	v_add3_u32 v26, v26, v25, 0x7fff
	v_cndmask_b32_e32 v25, v26, v27, vcc_lo
	v_and_b32_e32 v5, 0xffff0000, v25
	v_add_f32_e32 v5, v5, v12
	v_add_f32_e32 v4, v4, v5
	buffer_load_dword v5, off, s[0:3], s32 offset:388 ; 4-byte Folded Reload
	s_waitcnt vmcnt(0)
	v_add_f32_e32 v5, v5, v4
	v_lshlrev_b32_e32 v4, 16, v73
	buffer_store_dword v5, off, s[0:3], s32 offset:388 ; 4-byte Folded Spill
	v_mul_f32_e32 v4, v8, v4
	v_bfe_u32 v5, v4, 16, 1
	v_or_b32_e32 v12, 0x400000, v4
	v_cmp_u_f32_e32 vcc_lo, v4, v4
	v_add3_u32 v5, v5, v4, 0x7fff
	v_cndmask_b32_e32 v4, v5, v12, vcc_lo
	v_lshlrev_b32_e32 v5, 16, v72
	v_and_b32_e32 v4, 0xffff0000, v4
	v_mul_f32_e32 v5, v9, v5
	v_bfe_u32 v12, v5, 16, 1
	v_or_b32_e32 v13, 0x400000, v5
	v_cmp_u_f32_e32 vcc_lo, v5, v5
	v_add3_u32 v12, v12, v5, 0x7fff
	v_cndmask_b32_e32 v5, v12, v13, vcc_lo
	v_lshlrev_b32_e32 v12, 16, v62
	v_and_b32_e32 v5, 0xffff0000, v5
	v_mul_f32_e32 v12, v3, v12
	v_add_f32_e32 v4, v5, v4
	v_bfe_u32 v13, v12, 16, 1
	v_or_b32_e32 v16, 0x400000, v12
	v_cmp_u_f32_e32 vcc_lo, v12, v12
	v_add3_u32 v13, v13, v12, 0x7fff
	v_cndmask_b32_e32 v12, v13, v16, vcc_lo
	v_lshlrev_b32_e32 v13, 16, v63
	v_and_b32_e32 v12, 0xffff0000, v12
	v_mul_f32_e32 v13, v7, v13
	v_bfe_u32 v16, v13, 16, 1
	v_or_b32_e32 v17, 0x400000, v13
	v_cmp_u_f32_e32 vcc_lo, v13, v13
	v_add3_u32 v16, v16, v13, 0x7fff
	v_cndmask_b32_e32 v13, v16, v17, vcc_lo
	v_lshlrev_b32_e32 v16, 16, v61
	v_and_b32_e32 v5, 0xffff0000, v13
	v_mul_f32_e32 v16, v1, v16
	v_add_f32_e32 v5, v5, v12
	v_bfe_u32 v17, v16, 16, 1
	v_or_b32_e32 v22, 0x400000, v16
	v_cmp_u_f32_e32 vcc_lo, v16, v16
	v_add_f32_e32 v4, v4, v5
	v_add3_u32 v17, v17, v16, 0x7fff
	v_cndmask_b32_e32 v16, v17, v22, vcc_lo
	buffer_load_dword v17, off, s[0:3], s32 offset:340 ; 4-byte Folded Reload
	v_and_b32_e32 v12, 0xffff0000, v16
	s_waitcnt vmcnt(0)
	v_lshlrev_b32_e32 v17, 16, v17
	v_mul_f32_e32 v17, v6, v17
	v_bfe_u32 v22, v17, 16, 1
	v_or_b32_e32 v25, 0x400000, v17
	v_cmp_u_f32_e32 vcc_lo, v17, v17
	v_add3_u32 v22, v22, v17, 0x7fff
	v_cndmask_b32_e32 v17, v22, v25, vcc_lo
	buffer_load_dword v22, off, s[0:3], s32 offset:344 ; 4-byte Folded Reload
	v_and_b32_e32 v5, 0xffff0000, v17
	v_add_f32_e32 v5, v5, v12
	v_add_f32_e32 v4, v4, v5
	s_waitcnt vmcnt(0)
	v_lshlrev_b32_e32 v22, 16, v22
	v_mul_f32_e32 v22, v0, v22
	v_bfe_u32 v25, v22, 16, 1
	v_or_b32_e32 v26, 0x400000, v22
	v_cmp_u_f32_e32 vcc_lo, v22, v22
	v_add3_u32 v25, v25, v22, 0x7fff
	v_cndmask_b32_e32 v22, v25, v26, vcc_lo
	buffer_load_dword v25, off, s[0:3], s32 offset:336 ; 4-byte Folded Reload
	v_and_b32_e32 v12, 0xffff0000, v22
	s_waitcnt vmcnt(0)
	v_lshlrev_b32_e32 v25, 16, v25
	v_mul_f32_e32 v25, v2, v25
	v_bfe_u32 v26, v25, 16, 1
	v_or_b32_e32 v27, 0x400000, v25
	v_cmp_u_f32_e32 vcc_lo, v25, v25
	v_add3_u32 v26, v26, v25, 0x7fff
	v_cndmask_b32_e32 v25, v26, v27, vcc_lo
	v_and_b32_e32 v5, 0xffff0000, v25
	v_add_f32_e32 v5, v5, v12
	v_add_f32_e32 v4, v4, v5
	buffer_load_dword v5, off, s[0:3], s32 offset:392 ; 4-byte Folded Reload
	s_waitcnt vmcnt(0)
	v_add_f32_e32 v5, v5, v4
	buffer_load_dword v4, off, s[0:3], s32 offset:332 ; 4-byte Folded Reload
	buffer_store_dword v5, off, s[0:3], s32 offset:392 ; 4-byte Folded Spill
	s_waitcnt vmcnt(0)
	v_lshlrev_b32_e32 v4, 16, v4
	v_mul_f32_e32 v4, v8, v4
	v_bfe_u32 v5, v4, 16, 1
	v_or_b32_e32 v12, 0x400000, v4
	v_cmp_u_f32_e32 vcc_lo, v4, v4
	v_add3_u32 v5, v5, v4, 0x7fff
	v_cndmask_b32_e32 v4, v5, v12, vcc_lo
	buffer_load_dword v5, off, s[0:3], s32 offset:328 ; 4-byte Folded Reload
	v_and_b32_e32 v4, 0xffff0000, v4
	s_waitcnt vmcnt(0)
	v_lshlrev_b32_e32 v5, 16, v5
	v_mul_f32_e32 v5, v9, v5
	v_bfe_u32 v12, v5, 16, 1
	v_or_b32_e32 v13, 0x400000, v5
	v_cmp_u_f32_e32 vcc_lo, v5, v5
	v_add3_u32 v12, v12, v5, 0x7fff
	v_cndmask_b32_e32 v5, v12, v13, vcc_lo
	buffer_load_dword v12, off, s[0:3], s32 offset:320 ; 4-byte Folded Reload
	v_and_b32_e32 v5, 0xffff0000, v5
	v_add_f32_e32 v4, v5, v4
	s_waitcnt vmcnt(0)
	v_lshlrev_b32_e32 v12, 16, v12
	v_mul_f32_e32 v12, v3, v12
	v_bfe_u32 v13, v12, 16, 1
	v_or_b32_e32 v16, 0x400000, v12
	v_cmp_u_f32_e32 vcc_lo, v12, v12
	v_add3_u32 v13, v13, v12, 0x7fff
	v_cndmask_b32_e32 v12, v13, v16, vcc_lo
	buffer_load_dword v13, off, s[0:3], s32 offset:324 ; 4-byte Folded Reload
	v_and_b32_e32 v12, 0xffff0000, v12
	s_waitcnt vmcnt(0)
	v_lshlrev_b32_e32 v13, 16, v13
	v_mul_f32_e32 v13, v7, v13
	v_bfe_u32 v16, v13, 16, 1
	v_or_b32_e32 v17, 0x400000, v13
	v_cmp_u_f32_e32 vcc_lo, v13, v13
	v_add3_u32 v16, v16, v13, 0x7fff
	v_cndmask_b32_e32 v13, v16, v17, vcc_lo
	buffer_load_dword v16, off, s[0:3], s32 offset:316 ; 4-byte Folded Reload
	v_and_b32_e32 v5, 0xffff0000, v13
	v_add_f32_e32 v5, v5, v12
	v_add_f32_e32 v4, v4, v5
	s_waitcnt vmcnt(0)
	v_lshlrev_b32_e32 v16, 16, v16
	v_mul_f32_e32 v16, v1, v16
	v_bfe_u32 v17, v16, 16, 1
	v_or_b32_e32 v22, 0x400000, v16
	v_cmp_u_f32_e32 vcc_lo, v16, v16
	v_add3_u32 v17, v17, v16, 0x7fff
	v_cndmask_b32_e32 v16, v17, v22, vcc_lo
	buffer_load_dword v17, off, s[0:3], s32 offset:308 ; 4-byte Folded Reload
	v_and_b32_e32 v12, 0xffff0000, v16
	s_waitcnt vmcnt(0)
	v_lshlrev_b32_e32 v17, 16, v17
	v_mul_f32_e32 v17, v6, v17
	v_bfe_u32 v22, v17, 16, 1
	v_or_b32_e32 v25, 0x400000, v17
	v_cmp_u_f32_e32 vcc_lo, v17, v17
	v_add3_u32 v22, v22, v17, 0x7fff
	v_cndmask_b32_e32 v17, v22, v25, vcc_lo
	buffer_load_dword v22, off, s[0:3], s32 offset:312 ; 4-byte Folded Reload
	v_and_b32_e32 v5, 0xffff0000, v17
	v_add_f32_e32 v5, v5, v12
	v_add_f32_e32 v4, v4, v5
	s_waitcnt vmcnt(0)
	v_lshlrev_b32_e32 v22, 16, v22
	v_mul_f32_e32 v22, v0, v22
	v_bfe_u32 v25, v22, 16, 1
	v_or_b32_e32 v26, 0x400000, v22
	v_cmp_u_f32_e32 vcc_lo, v22, v22
	v_add3_u32 v25, v25, v22, 0x7fff
	v_cndmask_b32_e32 v22, v25, v26, vcc_lo
	buffer_load_dword v25, off, s[0:3], s32 offset:304 ; 4-byte Folded Reload
	v_and_b32_e32 v12, 0xffff0000, v22
	s_waitcnt vmcnt(0)
	v_lshlrev_b32_e32 v25, 16, v25
	v_mul_f32_e32 v25, v2, v25
	v_bfe_u32 v26, v25, 16, 1
	v_or_b32_e32 v27, 0x400000, v25
	v_cmp_u_f32_e32 vcc_lo, v25, v25
	v_add3_u32 v26, v26, v25, 0x7fff
	v_cndmask_b32_e32 v25, v26, v27, vcc_lo
	v_and_b32_e32 v5, 0xffff0000, v25
	v_add_f32_e32 v5, v5, v12
	v_add_f32_e32 v4, v4, v5
	buffer_load_dword v5, off, s[0:3], s32 offset:396 ; 4-byte Folded Reload
	s_waitcnt vmcnt(0)
	v_add_f32_e32 v5, v5, v4
	buffer_load_dword v4, off, s[0:3], s32 offset:300 ; 4-byte Folded Reload
	buffer_store_dword v5, off, s[0:3], s32 offset:396 ; 4-byte Folded Spill
	s_waitcnt vmcnt(0)
	v_lshlrev_b32_e32 v4, 16, v4
	v_mul_f32_e32 v4, v8, v4
	v_bfe_u32 v5, v4, 16, 1
	v_or_b32_e32 v12, 0x400000, v4
	v_cmp_u_f32_e32 vcc_lo, v4, v4
	v_add3_u32 v5, v5, v4, 0x7fff
	v_cndmask_b32_e32 v4, v5, v12, vcc_lo
	buffer_load_dword v5, off, s[0:3], s32 offset:292 ; 4-byte Folded Reload
	v_and_b32_e32 v4, 0xffff0000, v4
	s_waitcnt vmcnt(0)
	v_lshlrev_b32_e32 v5, 16, v5
	v_mul_f32_e32 v5, v9, v5
	v_bfe_u32 v12, v5, 16, 1
	v_or_b32_e32 v13, 0x400000, v5
	v_cmp_u_f32_e32 vcc_lo, v5, v5
	v_add3_u32 v12, v12, v5, 0x7fff
	v_cndmask_b32_e32 v5, v12, v13, vcc_lo
	buffer_load_dword v12, off, s[0:3], s32 offset:284 ; 4-byte Folded Reload
	v_and_b32_e32 v5, 0xffff0000, v5
	v_add_f32_e32 v4, v5, v4
	s_waitcnt vmcnt(0)
	v_lshlrev_b32_e32 v12, 16, v12
	v_mul_f32_e32 v12, v3, v12
	v_bfe_u32 v13, v12, 16, 1
	v_or_b32_e32 v16, 0x400000, v12
	v_cmp_u_f32_e32 vcc_lo, v12, v12
	v_add3_u32 v13, v13, v12, 0x7fff
	v_cndmask_b32_e32 v12, v13, v16, vcc_lo
	buffer_load_dword v13, off, s[0:3], s32 offset:288 ; 4-byte Folded Reload
	v_and_b32_e32 v12, 0xffff0000, v12
	s_waitcnt vmcnt(0)
	v_lshlrev_b32_e32 v13, 16, v13
	v_mul_f32_e32 v13, v7, v13
	v_bfe_u32 v16, v13, 16, 1
	v_or_b32_e32 v17, 0x400000, v13
	v_cmp_u_f32_e32 vcc_lo, v13, v13
	v_add3_u32 v16, v16, v13, 0x7fff
	v_cndmask_b32_e32 v13, v16, v17, vcc_lo
	buffer_load_dword v16, off, s[0:3], s32 offset:280 ; 4-byte Folded Reload
	v_and_b32_e32 v5, 0xffff0000, v13
	v_add_f32_e32 v5, v5, v12
	v_add_f32_e32 v4, v4, v5
	s_waitcnt vmcnt(0)
	v_lshlrev_b32_e32 v16, 16, v16
	v_mul_f32_e32 v16, v1, v16
	v_bfe_u32 v17, v16, 16, 1
	v_or_b32_e32 v22, 0x400000, v16
	v_cmp_u_f32_e32 vcc_lo, v16, v16
	v_add3_u32 v17, v17, v16, 0x7fff
	v_cndmask_b32_e32 v16, v17, v22, vcc_lo
	buffer_load_dword v17, off, s[0:3], s32 offset:272 ; 4-byte Folded Reload
	v_and_b32_e32 v12, 0xffff0000, v16
	s_waitcnt vmcnt(0)
	v_lshlrev_b32_e32 v17, 16, v17
	v_mul_f32_e32 v17, v6, v17
	v_bfe_u32 v22, v17, 16, 1
	v_or_b32_e32 v25, 0x400000, v17
	v_cmp_u_f32_e32 vcc_lo, v17, v17
	v_add3_u32 v22, v22, v17, 0x7fff
	v_cndmask_b32_e32 v17, v22, v25, vcc_lo
	buffer_load_dword v22, off, s[0:3], s32 offset:276 ; 4-byte Folded Reload
	v_and_b32_e32 v5, 0xffff0000, v17
	v_add_f32_e32 v5, v5, v12
	v_add_f32_e32 v4, v4, v5
	s_waitcnt vmcnt(0)
	v_lshlrev_b32_e32 v22, 16, v22
	v_mul_f32_e32 v22, v0, v22
	v_bfe_u32 v25, v22, 16, 1
	v_or_b32_e32 v26, 0x400000, v22
	v_cmp_u_f32_e32 vcc_lo, v22, v22
	v_add3_u32 v25, v25, v22, 0x7fff
	v_cndmask_b32_e32 v22, v25, v26, vcc_lo
	buffer_load_dword v25, off, s[0:3], s32 offset:268 ; 4-byte Folded Reload
	v_and_b32_e32 v12, 0xffff0000, v22
	s_waitcnt vmcnt(0)
	v_lshlrev_b32_e32 v25, 16, v25
	v_mul_f32_e32 v25, v2, v25
	v_bfe_u32 v26, v25, 16, 1
	v_or_b32_e32 v27, 0x400000, v25
	v_cmp_u_f32_e32 vcc_lo, v25, v25
	v_add3_u32 v26, v26, v25, 0x7fff
	v_cndmask_b32_e32 v25, v26, v27, vcc_lo
	v_and_b32_e32 v5, 0xffff0000, v25
	v_add_f32_e32 v5, v5, v12
	v_add_f32_e32 v4, v4, v5
	buffer_load_dword v5, off, s[0:3], s32 offset:404 ; 4-byte Folded Reload
	s_waitcnt vmcnt(0)
	v_add_f32_e32 v5, v5, v4
	buffer_load_dword v4, off, s[0:3], s32 offset:264 ; 4-byte Folded Reload
	buffer_store_dword v5, off, s[0:3], s32 offset:404 ; 4-byte Folded Spill
	s_waitcnt vmcnt(0)
	v_lshlrev_b32_e32 v4, 16, v4
	v_mul_f32_e32 v4, v8, v4
	v_bfe_u32 v5, v4, 16, 1
	v_or_b32_e32 v12, 0x400000, v4
	v_cmp_u_f32_e32 vcc_lo, v4, v4
	v_add3_u32 v5, v5, v4, 0x7fff
	v_cndmask_b32_e32 v4, v5, v12, vcc_lo
	buffer_load_dword v5, off, s[0:3], s32 offset:260 ; 4-byte Folded Reload
	v_and_b32_e32 v4, 0xffff0000, v4
	s_waitcnt vmcnt(0)
	v_lshlrev_b32_e32 v5, 16, v5
	v_mul_f32_e32 v5, v9, v5
	v_bfe_u32 v12, v5, 16, 1
	v_or_b32_e32 v13, 0x400000, v5
	v_cmp_u_f32_e32 vcc_lo, v5, v5
	v_add3_u32 v12, v12, v5, 0x7fff
	v_cndmask_b32_e32 v5, v12, v13, vcc_lo
	buffer_load_dword v12, off, s[0:3], s32 offset:252 ; 4-byte Folded Reload
	v_and_b32_e32 v5, 0xffff0000, v5
	v_add_f32_e32 v4, v5, v4
	s_waitcnt vmcnt(0)
	v_lshlrev_b32_e32 v12, 16, v12
	v_mul_f32_e32 v12, v3, v12
	v_bfe_u32 v13, v12, 16, 1
	v_or_b32_e32 v16, 0x400000, v12
	v_cmp_u_f32_e32 vcc_lo, v12, v12
	v_add3_u32 v13, v13, v12, 0x7fff
	v_cndmask_b32_e32 v12, v13, v16, vcc_lo
	buffer_load_dword v13, off, s[0:3], s32 offset:256 ; 4-byte Folded Reload
	v_and_b32_e32 v12, 0xffff0000, v12
	s_waitcnt vmcnt(0)
	v_lshlrev_b32_e32 v13, 16, v13
	v_mul_f32_e32 v13, v7, v13
	v_bfe_u32 v16, v13, 16, 1
	v_or_b32_e32 v17, 0x400000, v13
	v_cmp_u_f32_e32 vcc_lo, v13, v13
	v_add3_u32 v16, v16, v13, 0x7fff
	v_cndmask_b32_e32 v13, v16, v17, vcc_lo
	buffer_load_dword v16, off, s[0:3], s32 offset:248 ; 4-byte Folded Reload
	v_and_b32_e32 v5, 0xffff0000, v13
	v_add_f32_e32 v5, v5, v12
	v_add_f32_e32 v4, v4, v5
	s_waitcnt vmcnt(0)
	v_lshlrev_b32_e32 v16, 16, v16
	v_mul_f32_e32 v16, v1, v16
	v_bfe_u32 v17, v16, 16, 1
	v_or_b32_e32 v22, 0x400000, v16
	v_cmp_u_f32_e32 vcc_lo, v16, v16
	v_add3_u32 v17, v17, v16, 0x7fff
	v_cndmask_b32_e32 v16, v17, v22, vcc_lo
	buffer_load_dword v17, off, s[0:3], s32 offset:240 ; 4-byte Folded Reload
	v_and_b32_e32 v12, 0xffff0000, v16
	s_waitcnt vmcnt(0)
	v_lshlrev_b32_e32 v17, 16, v17
	v_mul_f32_e32 v17, v6, v17
	v_bfe_u32 v22, v17, 16, 1
	v_or_b32_e32 v25, 0x400000, v17
	v_cmp_u_f32_e32 vcc_lo, v17, v17
	v_add3_u32 v22, v22, v17, 0x7fff
	v_cndmask_b32_e32 v17, v22, v25, vcc_lo
	buffer_load_dword v22, off, s[0:3], s32 offset:244 ; 4-byte Folded Reload
	v_and_b32_e32 v5, 0xffff0000, v17
	v_add_f32_e32 v5, v5, v12
	v_add_f32_e32 v4, v4, v5
	s_waitcnt vmcnt(0)
	v_lshlrev_b32_e32 v22, 16, v22
	v_mul_f32_e32 v22, v0, v22
	v_bfe_u32 v25, v22, 16, 1
	v_or_b32_e32 v26, 0x400000, v22
	v_cmp_u_f32_e32 vcc_lo, v22, v22
	v_add3_u32 v25, v25, v22, 0x7fff
	v_cndmask_b32_e32 v22, v25, v26, vcc_lo
	buffer_load_dword v25, off, s[0:3], s32 offset:236 ; 4-byte Folded Reload
	v_and_b32_e32 v12, 0xffff0000, v22
	s_waitcnt vmcnt(0)
	v_lshlrev_b32_e32 v25, 16, v25
	v_mul_f32_e32 v25, v2, v25
	v_bfe_u32 v26, v25, 16, 1
	v_or_b32_e32 v27, 0x400000, v25
	v_cmp_u_f32_e32 vcc_lo, v25, v25
	v_add3_u32 v26, v26, v25, 0x7fff
	v_cndmask_b32_e32 v25, v26, v27, vcc_lo
	v_and_b32_e32 v5, 0xffff0000, v25
	v_add_f32_e32 v5, v5, v12
	v_add_f32_e32 v4, v4, v5
	buffer_load_dword v5, off, s[0:3], s32 offset:400 ; 4-byte Folded Reload
	s_waitcnt vmcnt(0)
	v_add_f32_e32 v5, v5, v4
	v_lshlrev_b32_e32 v4, 16, v51
	buffer_store_dword v5, off, s[0:3], s32 offset:400 ; 4-byte Folded Spill
	v_mul_f32_e32 v4, v9, v4
	v_bfe_u32 v5, v4, 16, 1
	v_or_b32_e32 v9, 0x400000, v4
	v_cmp_u_f32_e32 vcc_lo, v4, v4
	v_add3_u32 v5, v5, v4, 0x7fff
	v_cndmask_b32_e32 v4, v5, v9, vcc_lo
	v_lshlrev_b32_e32 v5, 16, v24
	v_and_b32_e32 v4, 0xffff0000, v4
	v_mul_f32_e32 v5, v8, v5
	v_bfe_u32 v8, v5, 16, 1
	v_or_b32_e32 v9, 0x400000, v5
	v_cmp_u_f32_e32 vcc_lo, v5, v5
	v_add3_u32 v8, v8, v5, 0x7fff
	v_cndmask_b32_e32 v5, v8, v9, vcc_lo
	v_lshlrev_b32_e32 v8, 16, v21
	v_and_b32_e32 v5, 0xffff0000, v5
	v_mul_f32_e32 v7, v7, v8
	v_add_f32_e32 v4, v4, v5
	v_bfe_u32 v8, v7, 16, 1
	v_or_b32_e32 v9, 0x400000, v7
	v_cmp_u_f32_e32 vcc_lo, v7, v7
	v_add3_u32 v8, v8, v7, 0x7fff
	v_cndmask_b32_e32 v7, v8, v9, vcc_lo
	v_lshlrev_b32_e32 v8, 16, v19
	v_and_b32_e32 v5, 0xffff0000, v7
	v_mul_f32_e32 v3, v3, v8
	v_bfe_u32 v8, v3, 16, 1
	v_or_b32_e32 v9, 0x400000, v3
	v_cmp_u_f32_e32 vcc_lo, v3, v3
	v_add3_u32 v8, v8, v3, 0x7fff
	v_cndmask_b32_e32 v3, v8, v9, vcc_lo
	v_lshlrev_b32_e32 v8, 16, v18
	v_and_b32_e32 v3, 0xffff0000, v3
	v_mul_f32_e32 v6, v6, v8
	v_add_f32_e32 v3, v5, v3
	v_bfe_u32 v8, v6, 16, 1
	v_or_b32_e32 v9, 0x400000, v6
	v_cmp_u_f32_e32 vcc_lo, v6, v6
	v_add_f32_e32 v3, v4, v3
	v_add3_u32 v8, v8, v6, 0x7fff
	v_cndmask_b32_e32 v6, v8, v9, vcc_lo
	v_lshlrev_b32_e32 v8, 16, v10
	v_and_b32_e32 v4, 0xffff0000, v6
	v_mul_f32_e32 v1, v1, v8
	v_bfe_u32 v8, v1, 16, 1
	v_or_b32_e32 v9, 0x400000, v1
	v_cmp_u_f32_e32 vcc_lo, v1, v1
	v_add3_u32 v8, v8, v1, 0x7fff
	v_cndmask_b32_e32 v1, v8, v9, vcc_lo
	v_lshlrev_b32_e32 v8, 16, v20
	v_and_b32_e32 v1, 0xffff0000, v1
	v_mul_f32_e32 v2, v2, v8
	v_add_f32_e32 v1, v4, v1
	v_bfe_u32 v8, v2, 16, 1
	v_or_b32_e32 v9, 0x400000, v2
	v_cmp_u_f32_e32 vcc_lo, v2, v2
	v_add_f32_e32 v1, v3, v1
	v_add3_u32 v8, v8, v2, 0x7fff
	v_cndmask_b32_e32 v2, v8, v9, vcc_lo
	v_lshlrev_b32_e32 v8, 16, v23
	v_and_b32_e32 v2, 0xffff0000, v2
	v_mul_f32_e32 v0, v0, v8
	v_bfe_u32 v8, v0, 16, 1
	v_or_b32_e32 v9, 0x400000, v0
	v_cmp_u_f32_e32 vcc_lo, v0, v0
	v_add3_u32 v8, v8, v0, 0x7fff
	v_cndmask_b32_e32 v0, v8, v9, vcc_lo
	v_and_b32_e32 v0, 0xffff0000, v0
	v_add_f32_e32 v0, v2, v0
	v_add_f32_e32 v0, v1, v0
	;; [unrolled: 1-line block ×3, first 2 shown]
.LBB378_997:                            ;   in Loop: Header=BB378_998 Depth=1
	s_or_b32 exec_lo, exec_lo, s15
	s_clause 0x1
	buffer_load_dword v0, off, s[0:3], s32 offset:200
	buffer_load_dword v1, off, s[0:3], s32 offset:204
	v_mov_b32_e32 v5, v59
	v_add_co_u32 v14, s4, v14, 16
	v_add_co_ci_u32_e64 v15, null, 0, v15, s4
	v_add_nc_u32_e32 v5, 0x80, v5
	v_add_nc_u32_e32 v87, 0x200, v87
	s_waitcnt vmcnt(0)
	v_mov_b32_e32 v1, v0
	v_add_nc_u32_e32 v1, 4, v1
	v_mov_b32_e32 v0, v1
	buffer_store_dword v0, off, s[0:3], s32 offset:200 ; 4-byte Folded Spill
	buffer_store_dword v1, off, s[0:3], s32 offset:204 ; 4-byte Folded Spill
	buffer_load_dword v0, off, s[0:3], s32 offset:224 ; 4-byte Folded Reload
	s_waitcnt vmcnt(0)
	v_cmp_ge_i32_e32 vcc_lo, v1, v0
	s_or_b32 s11, vcc_lo, s11
	s_andn2_b32 exec_lo, exec_lo, s11
	s_cbranch_execz .LBB378_1989
.LBB378_998:                            ; =>This Inner Loop Header: Depth=1
	s_clause 0x1
	buffer_load_dword v1, off, s[0:3], s32 offset:228
	buffer_load_dword v4, off, s[0:3], s32 offset:208
	s_waitcnt vmcnt(2)
	v_sub_nc_u32_e32 v0, 0, v5
	v_mov_b32_e32 v59, v5
	v_max_i32_e32 v0, v5, v0
	s_waitcnt vmcnt(1)
	v_mul_hi_u32 v1, v0, v1
	s_waitcnt vmcnt(0)
	v_mul_lo_u32 v2, v1, v4
	v_sub_nc_u32_e32 v0, v0, v2
	v_add_nc_u32_e32 v2, 1, v1
	v_cmp_ge_u32_e32 vcc_lo, v0, v4
	v_sub_nc_u32_e32 v3, v0, v4
	v_cndmask_b32_e32 v1, v1, v2, vcc_lo
	v_ashrrev_i32_e32 v2, 31, v5
	buffer_load_dword v5, off, s[0:3], s32 offset:220 ; 4-byte Folded Reload
	v_cndmask_b32_e32 v0, v0, v3, vcc_lo
	v_add_nc_u32_e32 v3, 1, v1
	v_cmp_ge_u32_e32 vcc_lo, v0, v4
	v_cndmask_b32_e32 v0, v1, v3, vcc_lo
	s_waitcnt vmcnt(0)
	v_xor_b32_e32 v2, v2, v5
	v_xor_b32_e32 v0, v0, v2
	v_sub_nc_u32_e32 v0, v0, v2
	s_clause 0x2
	buffer_load_dword v1, off, s[0:3], s32 offset:212
	buffer_load_dword v2, off, s[0:3], s32 offset:216
	;; [unrolled: 1-line block ×3, first 2 shown]
	s_waitcnt vmcnt(2)
	v_add_nc_u32_e32 v1, v0, v1
	s_waitcnt vmcnt(1)
	v_sub_nc_u32_e32 v2, 0, v1
	v_max_i32_e32 v2, v1, v2
	v_ashrrev_i32_e32 v1, 31, v1
	s_waitcnt vmcnt(0)
	v_mul_hi_u32 v3, v2, v3
	v_mul_lo_u32 v3, v3, v30
	v_sub_nc_u32_e32 v2, v2, v3
	v_sub_nc_u32_e32 v3, v2, v30
	v_cmp_ge_u32_e32 vcc_lo, v2, v30
	v_cndmask_b32_e32 v2, v2, v3, vcc_lo
	v_sub_nc_u32_e32 v3, v2, v30
	v_cmp_ge_u32_e32 vcc_lo, v2, v30
	v_cndmask_b32_e32 v2, v2, v3, vcc_lo
	v_xor_b32_e32 v2, v2, v1
	v_sub_nc_u32_e32 v1, v2, v1
	v_cmp_eq_u32_e32 vcc_lo, 0, v1
	buffer_load_dword v1, off, s[0:3], s32 offset:232 ; 4-byte Folded Reload
	s_waitcnt vmcnt(0)
	v_cmp_gt_i32_e64 s4, v0, v1
	s_or_b32 s4, vcc_lo, s4
	s_and_saveexec_b32 s15, s4
	s_cbranch_execz .LBB378_997
; %bb.999:                              ;   in Loop: Header=BB378_998 Depth=1
	flat_load_dword v0, v[14:15]
	s_clause 0x2
	buffer_load_dword v1, off, s[0:3], s32 offset:348
	buffer_load_dword v2, off, s[0:3], s32 offset:436
	;; [unrolled: 1-line block ×3, first 2 shown]
	v_mov_b32_e32 v5, 0
	v_mov_b32_e32 v4, 0
	s_waitcnt vmcnt(0) lgkmcnt(0)
	v_mad_i64_i32 v[18:19], null, v0, v1, v[2:3]
	flat_load_dwordx2 v[20:21], v[18:19]
	s_clause 0x1
	buffer_load_dword v0, off, s[0:3], s32 offset:420
	buffer_load_dword v1, off, s[0:3], s32 offset:424
	s_waitcnt vmcnt(2) lgkmcnt(0)
	v_cmp_ne_u16_sdwa s16, v20, v11 src0_sel:BYTE_0 src1_sel:DWORD
	s_waitcnt vmcnt(0)
	flat_load_dword v57, v[0:1]
	ds_read2_b64 v[6:9], v87 offset1:1
	ds_read2_b64 v[0:3], v87 offset0:2 offset1:3
	s_and_saveexec_b32 s4, s16
	s_cbranch_execz .LBB378_1007
; %bb.1000:                             ;   in Loop: Header=BB378_998 Depth=1
	v_cmp_ne_u16_sdwa s17, v20, v81 src0_sel:BYTE_0 src1_sel:DWORD
	v_bfrev_b32_e32 v4, 1
	s_and_saveexec_b32 s16, s17
	s_cbranch_execz .LBB378_1006
; %bb.1001:                             ;   in Loop: Header=BB378_998 Depth=1
	v_and_b32_e32 v10, 0x7f, v20
	v_mov_b32_e32 v4, 0x7f800001
	s_mov_b32 s17, exec_lo
	v_cmpx_ne_u32_e32 0x7f, v10
	s_cbranch_execz .LBB378_1005
; %bb.1002:                             ;   in Loop: Header=BB378_998 Depth=1
	v_mov_b32_e32 v24, v21
	v_lshrrev_b32_e32 v4, 3, v10
	v_mov_b32_e32 v23, v20
	s_mov_b32 s18, exec_lo
	v_cmpx_gt_u32_e32 8, v10
; %bb.1003:                             ;   in Loop: Header=BB378_998 Depth=1
	v_and_b32_e32 v4, 7, v20
	v_ffbh_u32_e32 v4, v4
	v_min_u32_e32 v4, 32, v4
	v_subrev_nc_u32_e32 v10, 28, v4
	v_sub_nc_u32_e32 v4, 29, v4
	v_lshlrev_b64 v[23:24], v10, v[20:21]
; %bb.1004:                             ;   in Loop: Header=BB378_998 Depth=1
	s_or_b32 exec_lo, exec_lo, s18
	v_lshlrev_b32_e32 v10, 20, v23
	v_lshlrev_b32_e32 v12, 24, v20
	v_lshl_add_u32 v4, v4, 23, 0x3c000000
	v_and_b32_e32 v10, 0x700000, v10
	v_and_b32_e32 v12, 0x80000000, v12
	v_or3_b32 v4, v10, v12, v4
.LBB378_1005:                           ;   in Loop: Header=BB378_998 Depth=1
	s_or_b32 exec_lo, exec_lo, s17
.LBB378_1006:                           ;   in Loop: Header=BB378_998 Depth=1
	s_or_b32 exec_lo, exec_lo, s16
.LBB378_1007:                           ;   in Loop: Header=BB378_998 Depth=1
	s_or_b32 exec_lo, exec_lo, s4
	v_cmp_ne_u16_sdwa s16, v20, v11 src0_sel:BYTE_1 src1_sel:DWORD
	s_and_saveexec_b32 s4, s16
	s_cbranch_execz .LBB378_1015
; %bb.1008:                             ;   in Loop: Header=BB378_998 Depth=1
	v_cmp_ne_u16_sdwa s17, v20, v81 src0_sel:BYTE_1 src1_sel:DWORD
	v_bfrev_b32_e32 v5, 1
	s_and_saveexec_b32 s16, s17
	s_cbranch_execz .LBB378_1014
; %bb.1009:                             ;   in Loop: Header=BB378_998 Depth=1
	v_mov_b32_e32 v5, 0xffff
	s_mov_b32 s17, exec_lo
	v_and_b32_sdwa v10, v5, v20 dst_sel:DWORD dst_unused:UNUSED_PAD src0_sel:DWORD src1_sel:BYTE_1
	v_mov_b32_e32 v5, 0x7f800001
	v_and_b32_e32 v12, 0x7f, v10
	v_cmpx_ne_u32_e32 0x7f, v12
	s_cbranch_execz .LBB378_1013
; %bb.1010:                             ;   in Loop: Header=BB378_998 Depth=1
	v_and_b32_e32 v10, 7, v10
	v_mov_b32_e32 v24, v11
	v_lshrrev_b32_e32 v5, 3, v12
	s_mov_b32 s18, exec_lo
	v_mov_b32_e32 v23, v10
	v_cmpx_gt_u32_e32 8, v12
; %bb.1011:                             ;   in Loop: Header=BB378_998 Depth=1
	v_ffbh_u32_e32 v5, v10
	v_min_u32_e32 v5, 32, v5
	v_subrev_nc_u32_e32 v12, 28, v5
	v_sub_nc_u32_e32 v5, 29, v5
	v_lshlrev_b64 v[12:13], v12, v[10:11]
	v_and_b32_e32 v23, 7, v12
; %bb.1012:                             ;   in Loop: Header=BB378_998 Depth=1
	s_or_b32 exec_lo, exec_lo, s18
	v_lshlrev_b32_e32 v10, 16, v20
	v_lshlrev_b32_e32 v12, 20, v23
	v_lshl_add_u32 v5, v5, 23, 0x3c000000
	v_and_b32_e32 v10, 0x80000000, v10
	v_or3_b32 v5, v12, v10, v5
.LBB378_1013:                           ;   in Loop: Header=BB378_998 Depth=1
	s_or_b32 exec_lo, exec_lo, s17
.LBB378_1014:                           ;   in Loop: Header=BB378_998 Depth=1
	s_or_b32 exec_lo, exec_lo, s16
.LBB378_1015:                           ;   in Loop: Header=BB378_998 Depth=1
	s_or_b32 exec_lo, exec_lo, s4
	v_and_b32_sdwa v10, v20, v83 dst_sel:DWORD dst_unused:UNUSED_PAD src0_sel:WORD_1 src1_sel:DWORD
	v_mov_b32_e32 v13, 0
	v_mov_b32_e32 v12, 0
	s_mov_b32 s4, exec_lo
	v_cmpx_ne_u16_e32 0, v10
	s_cbranch_execz .LBB378_1023
; %bb.1016:                             ;   in Loop: Header=BB378_998 Depth=1
	v_bfrev_b32_e32 v12, 1
	s_mov_b32 s16, exec_lo
	v_cmpx_ne_u16_e32 0x80, v10
	s_cbranch_execz .LBB378_1022
; %bb.1017:                             ;   in Loop: Header=BB378_998 Depth=1
	v_bfe_u32 v16, v20, 16, 7
	v_mov_b32_e32 v12, 0x7f800001
	s_mov_b32 s17, exec_lo
	v_cmpx_ne_u32_e32 0x7f, v16
	s_cbranch_execz .LBB378_1021
; %bb.1018:                             ;   in Loop: Header=BB378_998 Depth=1
	v_mov_b32_e32 v10, 7
	v_lshrrev_b32_e32 v12, 3, v16
	s_mov_b32 s18, exec_lo
	v_and_b32_sdwa v10, v20, v10 dst_sel:DWORD dst_unused:UNUSED_PAD src0_sel:WORD_1 src1_sel:DWORD
	v_mov_b32_e32 v24, v11
	v_mov_b32_e32 v23, v10
	v_cmpx_gt_u32_e32 8, v16
; %bb.1019:                             ;   in Loop: Header=BB378_998 Depth=1
	v_ffbh_u32_e32 v12, v10
	v_min_u32_e32 v12, 32, v12
	v_subrev_nc_u32_e32 v16, 28, v12
	v_sub_nc_u32_e32 v12, 29, v12
	v_lshlrev_b64 v[22:23], v16, v[10:11]
	v_and_b32_e32 v23, 7, v22
; %bb.1020:                             ;   in Loop: Header=BB378_998 Depth=1
	s_or_b32 exec_lo, exec_lo, s18
	v_mov_b32_e32 v10, 24
	v_lshlrev_b32_e32 v16, 20, v23
	v_lshl_add_u32 v12, v12, 23, 0x3c000000
	v_lshlrev_b32_sdwa v10, v10, v20 dst_sel:DWORD dst_unused:UNUSED_PAD src0_sel:DWORD src1_sel:WORD_1
	v_and_b32_e32 v10, 0x80000000, v10
	v_or3_b32 v12, v16, v10, v12
.LBB378_1021:                           ;   in Loop: Header=BB378_998 Depth=1
	s_or_b32 exec_lo, exec_lo, s17
.LBB378_1022:                           ;   in Loop: Header=BB378_998 Depth=1
	s_or_b32 exec_lo, exec_lo, s16
.LBB378_1023:                           ;   in Loop: Header=BB378_998 Depth=1
	s_or_b32 exec_lo, exec_lo, s4
	s_mov_b32 s4, exec_lo
	v_cmpx_lt_u32_e32 0xffffff, v20
	s_cbranch_execz .LBB378_1031
; %bb.1024:                             ;   in Loop: Header=BB378_998 Depth=1
	v_cmp_ne_u32_sdwa s17, v20, v81 src0_sel:BYTE_3 src1_sel:DWORD
	v_bfrev_b32_e32 v13, 1
	s_and_saveexec_b32 s16, s17
	s_cbranch_execz .LBB378_1030
; %bb.1025:                             ;   in Loop: Header=BB378_998 Depth=1
	v_bfe_u32 v16, v20, 24, 7
	v_mov_b32_e32 v13, 0x7f800001
	s_mov_b32 s17, exec_lo
	v_cmpx_ne_u32_e32 0x7f, v16
	s_cbranch_execz .LBB378_1029
; %bb.1026:                             ;   in Loop: Header=BB378_998 Depth=1
	v_mov_b32_e32 v10, 7
	v_lshrrev_b32_e32 v13, 3, v16
	s_mov_b32 s18, exec_lo
	v_and_b32_sdwa v10, v20, v10 dst_sel:DWORD dst_unused:UNUSED_PAD src0_sel:BYTE_3 src1_sel:DWORD
	v_mov_b32_e32 v24, v11
	v_mov_b32_e32 v23, v10
	v_cmpx_gt_u32_e32 8, v16
; %bb.1027:                             ;   in Loop: Header=BB378_998 Depth=1
	v_ffbh_u32_e32 v13, v10
	v_min_u32_e32 v13, 32, v13
	v_subrev_nc_u32_e32 v16, 28, v13
	v_sub_nc_u32_e32 v13, 29, v13
	v_lshlrev_b64 v[22:23], v16, v[10:11]
	v_and_b32_e32 v23, 7, v22
; %bb.1028:                             ;   in Loop: Header=BB378_998 Depth=1
	s_or_b32 exec_lo, exec_lo, s18
	v_mov_b32_e32 v10, 24
	v_lshlrev_b32_e32 v16, 20, v23
	v_lshl_add_u32 v13, v13, 23, 0x3c000000
	v_lshlrev_b32_sdwa v10, v10, v20 dst_sel:DWORD dst_unused:UNUSED_PAD src0_sel:DWORD src1_sel:BYTE_3
	v_and_b32_e32 v10, 0x80000000, v10
	v_or3_b32 v13, v16, v10, v13
.LBB378_1029:                           ;   in Loop: Header=BB378_998 Depth=1
	s_or_b32 exec_lo, exec_lo, s17
.LBB378_1030:                           ;   in Loop: Header=BB378_998 Depth=1
	s_or_b32 exec_lo, exec_lo, s16
.LBB378_1031:                           ;   in Loop: Header=BB378_998 Depth=1
	s_or_b32 exec_lo, exec_lo, s4
	v_mov_b32_e32 v10, v21
	v_cmp_ne_u16_sdwa s16, v21, v11 src0_sel:BYTE_0 src1_sel:DWORD
	v_mov_b32_e32 v22, 0
	v_mov_b32_e32 v16, 0
	s_and_saveexec_b32 s4, s16
	s_cbranch_execz .LBB378_1039
; %bb.1032:                             ;   in Loop: Header=BB378_998 Depth=1
	v_cmp_ne_u16_sdwa s17, v21, v81 src0_sel:BYTE_0 src1_sel:DWORD
	v_bfrev_b32_e32 v16, 1
	s_and_saveexec_b32 s16, s17
	s_cbranch_execz .LBB378_1038
; %bb.1033:                             ;   in Loop: Header=BB378_998 Depth=1
	v_and_b32_e32 v23, 0x7f, v21
	v_mov_b32_e32 v16, 0x7f800001
	s_mov_b32 s17, exec_lo
	v_cmpx_ne_u32_e32 0x7f, v23
	s_cbranch_execz .LBB378_1037
; %bb.1034:                             ;   in Loop: Header=BB378_998 Depth=1
	v_lshrrev_b32_e32 v16, 3, v23
	v_cmp_gt_u32_e32 vcc_lo, 8, v23
	v_mov_b32_e32 v24, v11
	v_mov_b32_e32 v23, v10
	s_and_saveexec_b32 s18, vcc_lo
; %bb.1035:                             ;   in Loop: Header=BB378_998 Depth=1
	v_and_b32_e32 v16, 7, v21
	v_ffbh_u32_e32 v16, v16
	v_min_u32_e32 v16, 32, v16
	v_subrev_nc_u32_e32 v17, 28, v16
	v_sub_nc_u32_e32 v16, 29, v16
	v_lshlrev_b64 v[23:24], v17, v[10:11]
; %bb.1036:                             ;   in Loop: Header=BB378_998 Depth=1
	s_or_b32 exec_lo, exec_lo, s18
	v_lshlrev_b32_e32 v17, 20, v23
	v_lshlrev_b32_e32 v23, 24, v10
	v_lshl_add_u32 v16, v16, 23, 0x3c000000
	v_and_b32_e32 v17, 0x700000, v17
	v_and_b32_e32 v23, 0x80000000, v23
	v_or3_b32 v16, v17, v23, v16
.LBB378_1037:                           ;   in Loop: Header=BB378_998 Depth=1
	s_or_b32 exec_lo, exec_lo, s17
.LBB378_1038:                           ;   in Loop: Header=BB378_998 Depth=1
	s_or_b32 exec_lo, exec_lo, s16
.LBB378_1039:                           ;   in Loop: Header=BB378_998 Depth=1
	s_or_b32 exec_lo, exec_lo, s4
	v_cmp_ne_u16_sdwa s16, v10, v11 src0_sel:BYTE_1 src1_sel:DWORD
	s_and_saveexec_b32 s4, s16
	s_cbranch_execz .LBB378_1047
; %bb.1040:                             ;   in Loop: Header=BB378_998 Depth=1
	v_cmp_ne_u16_sdwa s17, v10, v81 src0_sel:BYTE_1 src1_sel:DWORD
	v_bfrev_b32_e32 v22, 1
	s_and_saveexec_b32 s16, s17
	s_cbranch_execz .LBB378_1046
; %bb.1041:                             ;   in Loop: Header=BB378_998 Depth=1
	v_mov_b32_e32 v17, 0xffff
	v_mov_b32_e32 v22, 0x7f800001
	s_mov_b32 s17, exec_lo
	v_and_b32_sdwa v23, v17, v10 dst_sel:DWORD dst_unused:UNUSED_PAD src0_sel:DWORD src1_sel:BYTE_1
	v_and_b32_e32 v25, 0x7f, v23
	v_cmpx_ne_u32_e32 0x7f, v25
	s_cbranch_execz .LBB378_1045
; %bb.1042:                             ;   in Loop: Header=BB378_998 Depth=1
	v_and_b32_e32 v23, 7, v23
	v_mov_b32_e32 v24, v11
	v_lshrrev_b32_e32 v22, 3, v25
	s_mov_b32 s18, exec_lo
	v_cmpx_gt_u32_e32 8, v25
; %bb.1043:                             ;   in Loop: Header=BB378_998 Depth=1
	v_ffbh_u32_e32 v17, v23
	v_min_u32_e32 v17, 32, v17
	v_subrev_nc_u32_e32 v22, 28, v17
	v_lshlrev_b64 v[23:24], v22, v[23:24]
	v_sub_nc_u32_e32 v22, 29, v17
	v_and_b32_e32 v23, 7, v23
; %bb.1044:                             ;   in Loop: Header=BB378_998 Depth=1
	s_or_b32 exec_lo, exec_lo, s18
	v_lshlrev_b32_e32 v10, 16, v10
	v_lshlrev_b32_e32 v17, 20, v23
	v_lshl_add_u32 v22, v22, 23, 0x3c000000
	v_and_b32_e32 v10, 0x80000000, v10
	v_or3_b32 v22, v17, v10, v22
.LBB378_1045:                           ;   in Loop: Header=BB378_998 Depth=1
	s_or_b32 exec_lo, exec_lo, s17
.LBB378_1046:                           ;   in Loop: Header=BB378_998 Depth=1
	s_or_b32 exec_lo, exec_lo, s16
.LBB378_1047:                           ;   in Loop: Header=BB378_998 Depth=1
	s_or_b32 exec_lo, exec_lo, s4
	v_and_b32_sdwa v10, v21, v83 dst_sel:DWORD dst_unused:UNUSED_PAD src0_sel:WORD_1 src1_sel:DWORD
	v_mov_b32_e32 v25, 0
	v_mov_b32_e32 v26, 0
	s_mov_b32 s4, exec_lo
	v_cmpx_ne_u16_e32 0, v10
	s_cbranch_execz .LBB378_1055
; %bb.1048:                             ;   in Loop: Header=BB378_998 Depth=1
	v_bfrev_b32_e32 v26, 1
	s_mov_b32 s16, exec_lo
	v_cmpx_ne_u16_e32 0x80, v10
	s_cbranch_execz .LBB378_1054
; %bb.1049:                             ;   in Loop: Header=BB378_998 Depth=1
	v_bfe_u32 v23, v21, 16, 7
	v_mov_b32_e32 v26, 0x7f800001
	s_mov_b32 s17, exec_lo
	v_cmpx_ne_u32_e32 0x7f, v23
	s_cbranch_execz .LBB378_1053
; %bb.1050:                             ;   in Loop: Header=BB378_998 Depth=1
	v_mov_b32_e32 v10, 7
	v_lshrrev_b32_e32 v26, 3, v23
	v_cmp_gt_u32_e32 vcc_lo, 8, v23
	v_and_b32_sdwa v10, v21, v10 dst_sel:DWORD dst_unused:UNUSED_PAD src0_sel:WORD_1 src1_sel:DWORD
	v_mov_b32_e32 v24, v11
	v_mov_b32_e32 v23, v10
	s_and_saveexec_b32 s18, vcc_lo
; %bb.1051:                             ;   in Loop: Header=BB378_998 Depth=1
	v_ffbh_u32_e32 v17, v10
	v_min_u32_e32 v17, 32, v17
	v_subrev_nc_u32_e32 v23, 28, v17
	v_sub_nc_u32_e32 v26, 29, v17
	v_lshlrev_b64 v[23:24], v23, v[10:11]
	v_and_b32_e32 v23, 7, v23
; %bb.1052:                             ;   in Loop: Header=BB378_998 Depth=1
	s_or_b32 exec_lo, exec_lo, s18
	v_mov_b32_e32 v10, 24
	v_lshlrev_b32_e32 v17, 20, v23
	v_lshl_add_u32 v23, v26, 23, 0x3c000000
	v_lshlrev_b32_sdwa v10, v10, v21 dst_sel:DWORD dst_unused:UNUSED_PAD src0_sel:DWORD src1_sel:WORD_1
	v_and_b32_e32 v10, 0x80000000, v10
	v_or3_b32 v26, v17, v10, v23
.LBB378_1053:                           ;   in Loop: Header=BB378_998 Depth=1
	s_or_b32 exec_lo, exec_lo, s17
.LBB378_1054:                           ;   in Loop: Header=BB378_998 Depth=1
	s_or_b32 exec_lo, exec_lo, s16
.LBB378_1055:                           ;   in Loop: Header=BB378_998 Depth=1
	s_or_b32 exec_lo, exec_lo, s4
	s_mov_b32 s4, exec_lo
	v_cmpx_lt_u64_e64 s[12:13], v[20:21]
	s_cbranch_execz .LBB378_1063
; %bb.1056:                             ;   in Loop: Header=BB378_998 Depth=1
	v_cmp_ne_u32_sdwa s17, v21, v81 src0_sel:BYTE_3 src1_sel:DWORD
	v_bfrev_b32_e32 v25, 1
	s_and_saveexec_b32 s16, s17
	s_cbranch_execz .LBB378_1062
; %bb.1057:                             ;   in Loop: Header=BB378_998 Depth=1
	v_bfe_u32 v23, v21, 24, 7
	v_mov_b32_e32 v25, 0x7f800001
	s_mov_b32 s17, exec_lo
	v_cmpx_ne_u32_e32 0x7f, v23
	s_cbranch_execz .LBB378_1061
; %bb.1058:                             ;   in Loop: Header=BB378_998 Depth=1
	v_mov_b32_e32 v10, 7
	v_lshrrev_b32_e32 v20, 3, v23
	v_cmp_gt_u32_e32 vcc_lo, 8, v23
	v_and_b32_sdwa v10, v21, v10 dst_sel:DWORD dst_unused:UNUSED_PAD src0_sel:BYTE_3 src1_sel:DWORD
	v_mov_b32_e32 v24, v11
	v_mov_b32_e32 v23, v10
	s_and_saveexec_b32 s18, vcc_lo
; %bb.1059:                             ;   in Loop: Header=BB378_998 Depth=1
	v_ffbh_u32_e32 v17, v10
	v_min_u32_e32 v17, 32, v17
	v_subrev_nc_u32_e32 v20, 28, v17
	v_lshlrev_b64 v[23:24], v20, v[10:11]
	v_sub_nc_u32_e32 v20, 29, v17
	v_and_b32_e32 v23, 7, v23
; %bb.1060:                             ;   in Loop: Header=BB378_998 Depth=1
	s_or_b32 exec_lo, exec_lo, s18
	v_mov_b32_e32 v10, 24
	v_lshlrev_b32_e32 v17, 20, v23
	v_lshl_add_u32 v20, v20, 23, 0x3c000000
	v_lshlrev_b32_sdwa v10, v10, v21 dst_sel:DWORD dst_unused:UNUSED_PAD src0_sel:DWORD src1_sel:BYTE_3
	v_and_b32_e32 v10, 0x80000000, v10
	v_or3_b32 v25, v17, v10, v20
.LBB378_1061:                           ;   in Loop: Header=BB378_998 Depth=1
	s_or_b32 exec_lo, exec_lo, s17
.LBB378_1062:                           ;   in Loop: Header=BB378_998 Depth=1
	s_or_b32 exec_lo, exec_lo, s16
.LBB378_1063:                           ;   in Loop: Header=BB378_998 Depth=1
	s_or_b32 exec_lo, exec_lo, s4
	buffer_load_dword v17, off, s[0:3], s32 offset:432 ; 4-byte Folded Reload
	s_waitcnt vmcnt(1) lgkmcnt(2)
	v_mul_f32_e32 v10, v57, v22
	v_mul_f32_e32 v16, v57, v16
	;; [unrolled: 1-line block ×5, first 2 shown]
	v_cmp_u_f32_e64 s4, v10, v10
	v_or_b32_e32 v22, 0x400000, v16
	v_bfe_u32 v23, v13, 16, 1
	v_or_b32_e32 v24, 0x400000, v13
	v_mul_f32_e32 v4, v57, v4
	s_waitcnt vmcnt(0)
	v_add_nc_u32_e32 v74, v17, v59
	s_clause 0x2
	buffer_load_dword v20, off, s[0:3], s32 offset:200
	buffer_load_dword v21, off, s[0:3], s32 offset:204
	;; [unrolled: 1-line block ×3, first 2 shown]
	s_waitcnt vmcnt(1)
	v_bfe_u32 v21, v16, 16, 1
	v_add_nc_u32_e32 v89, 1, v74
	v_add_nc_u32_e32 v88, 2, v74
	v_add3_u32 v21, v21, v16, 0x7fff
	v_add_nc_u32_e32 v79, 3, v74
	v_add_nc_u32_e32 v78, 4, v74
	;; [unrolled: 1-line block ×5, first 2 shown]
	s_waitcnt vmcnt(0)
	v_cmp_eq_u32_e32 vcc_lo, v17, v20
	v_bfe_u32 v17, v10, 16, 1
	v_or_b32_e32 v20, 0x400000, v10
	v_add3_u32 v17, v17, v10, 0x7fff
	v_cndmask_b32_e64 v10, v17, v20, s4
	v_cmp_u_f32_e64 s4, v16, v16
	v_add3_u32 v20, v23, v13, 0x7fff
	v_bfe_u32 v17, v12, 16, 1
	v_lshrrev_b32_e32 v10, 16, v10
	v_cndmask_b32_e64 v16, v21, v22, s4
	v_cmp_u_f32_e64 s4, v13, v13
	v_add3_u32 v13, v17, v12, 0x7fff
	v_or_b32_e32 v17, 0x400000, v12
	buffer_store_dword v10, off, s[0:3], s32 offset:248 ; 4-byte Folded Spill
	v_lshrrev_b32_e32 v16, 16, v16
	v_cndmask_b32_e64 v10, v20, v24, s4
	v_cmp_u_f32_e64 s4, v12, v12
	v_bfe_u32 v20, v4, 16, 1
	buffer_store_dword v16, off, s[0:3], s32 offset:240 ; 4-byte Folded Spill
	v_lshrrev_b32_e32 v10, 16, v10
	v_cndmask_b32_e64 v12, v13, v17, s4
	v_mul_f32_e32 v13, v57, v26
	v_or_b32_e32 v16, 0x400000, v5
	v_cmp_u_f32_e64 s4, v5, v5
	buffer_store_dword v10, off, s[0:3], s32 offset:252 ; 4-byte Folded Spill
	v_bfe_u32 v10, v5, 16, 1
	v_mul_f32_e32 v17, v57, v25
	v_bfe_u32 v21, v13, 16, 1
	v_or_b32_e32 v22, 0x400000, v13
	v_lshrrev_b32_e32 v12, 16, v12
	v_add3_u32 v10, v10, v5, 0x7fff
	v_or_b32_e32 v23, 0x400000, v17
	v_add3_u32 v21, v21, v13, 0x7fff
	buffer_store_dword v12, off, s[0:3], s32 offset:256 ; 4-byte Folded Spill
	v_cndmask_b32_e64 v5, v10, v16, s4
	v_add3_u32 v16, v20, v4, 0x7fff
	v_or_b32_e32 v20, 0x400000, v4
	v_cmp_u_f32_e64 s4, v4, v4
	v_bfe_u32 v10, v17, 16, 1
	v_lshrrev_b32_e32 v5, 16, v5
	v_cndmask_b32_e64 v4, v16, v20, s4
	v_cmp_u_f32_e64 s4, v13, v13
	v_add3_u32 v10, v10, v17, 0x7fff
	buffer_store_dword v5, off, s[0:3], s32 offset:264 ; 4-byte Folded Spill
	v_lshrrev_b32_e32 v4, 16, v4
	v_cndmask_b32_e64 v13, v21, v22, s4
	v_cmp_u_f32_e64 s4, v17, v17
	buffer_store_dword v4, off, s[0:3], s32 offset:260 ; 4-byte Folded Spill
	v_lshrrev_b32_e32 v4, 16, v13
	v_cndmask_b32_e64 v10, v10, v23, s4
	buffer_store_dword v4, off, s[0:3], s32 offset:236 ; 4-byte Folded Spill
	v_lshrrev_b32_e32 v4, 16, v10
	buffer_store_dword v4, off, s[0:3], s32 offset:244 ; 4-byte Folded Spill
	s_and_saveexec_b32 s16, vcc_lo
	s_cbranch_execz .LBB378_1065
; %bb.1064:                             ;   in Loop: Header=BB378_998 Depth=1
	buffer_load_dword v4, off, s[0:3], s32 offset:260 ; 4-byte Folded Reload
	v_cmp_lt_i32_e64 s4, v74, v38
	s_waitcnt vmcnt(0)
	v_cndmask_b32_e64 v4, 0, v4, s4
	v_cmp_lt_i32_e64 s4, v89, v38
	buffer_store_dword v4, off, s[0:3], s32 offset:260 ; 4-byte Folded Spill
	buffer_load_dword v4, off, s[0:3], s32 offset:264 ; 4-byte Folded Reload
	s_waitcnt vmcnt(0)
	v_cndmask_b32_e64 v4, 0, v4, s4
	v_cmp_lt_i32_e64 s4, v88, v38
	buffer_store_dword v4, off, s[0:3], s32 offset:264 ; 4-byte Folded Spill
	buffer_load_dword v4, off, s[0:3], s32 offset:256 ; 4-byte Folded Reload
	;; [unrolled: 5-line block ×7, first 2 shown]
	s_waitcnt vmcnt(0)
	v_cndmask_b32_e64 v4, 0, v4, s4
	buffer_store_dword v4, off, s[0:3], s32 offset:244 ; 4-byte Folded Spill
.LBB378_1065:                           ;   in Loop: Header=BB378_998 Depth=1
	s_or_b32 exec_lo, exec_lo, s16
	flat_load_dwordx2 v[20:21], v[18:19] offset:256
	v_mov_b32_e32 v5, 0
	v_mov_b32_e32 v4, 0
	s_waitcnt vmcnt(0) lgkmcnt(0)
	v_cmp_ne_u16_sdwa s4, v20, v11 src0_sel:BYTE_0 src1_sel:DWORD
	s_and_saveexec_b32 s16, s4
	s_cbranch_execz .LBB378_1073
; %bb.1066:                             ;   in Loop: Header=BB378_998 Depth=1
	v_cmp_ne_u16_sdwa s4, v20, v81 src0_sel:BYTE_0 src1_sel:DWORD
	v_bfrev_b32_e32 v4, 1
	s_and_saveexec_b32 s17, s4
	s_cbranch_execz .LBB378_1072
; %bb.1067:                             ;   in Loop: Header=BB378_998 Depth=1
	v_and_b32_e32 v10, 0x7f, v20
	v_mov_b32_e32 v4, 0x7f800001
	s_mov_b32 s18, exec_lo
	v_cmpx_ne_u32_e32 0x7f, v10
	s_cbranch_execz .LBB378_1071
; %bb.1068:                             ;   in Loop: Header=BB378_998 Depth=1
	v_mov_b32_e32 v24, v21
	v_lshrrev_b32_e32 v4, 3, v10
	v_mov_b32_e32 v23, v20
	s_mov_b32 s20, exec_lo
	v_cmpx_gt_u32_e32 8, v10
; %bb.1069:                             ;   in Loop: Header=BB378_998 Depth=1
	v_and_b32_e32 v4, 7, v20
	v_ffbh_u32_e32 v4, v4
	v_min_u32_e32 v4, 32, v4
	v_subrev_nc_u32_e32 v10, 28, v4
	v_sub_nc_u32_e32 v4, 29, v4
	v_lshlrev_b64 v[23:24], v10, v[20:21]
; %bb.1070:                             ;   in Loop: Header=BB378_998 Depth=1
	s_or_b32 exec_lo, exec_lo, s20
	v_lshlrev_b32_e32 v10, 20, v23
	v_lshlrev_b32_e32 v12, 24, v20
	v_lshl_add_u32 v4, v4, 23, 0x3c000000
	v_and_b32_e32 v10, 0x700000, v10
	v_and_b32_e32 v12, 0x80000000, v12
	v_or3_b32 v4, v10, v12, v4
.LBB378_1071:                           ;   in Loop: Header=BB378_998 Depth=1
	s_or_b32 exec_lo, exec_lo, s18
.LBB378_1072:                           ;   in Loop: Header=BB378_998 Depth=1
	s_or_b32 exec_lo, exec_lo, s17
.LBB378_1073:                           ;   in Loop: Header=BB378_998 Depth=1
	s_or_b32 exec_lo, exec_lo, s16
	v_cmp_ne_u16_sdwa s4, v20, v11 src0_sel:BYTE_1 src1_sel:DWORD
	s_and_saveexec_b32 s16, s4
	s_cbranch_execz .LBB378_1081
; %bb.1074:                             ;   in Loop: Header=BB378_998 Depth=1
	v_cmp_ne_u16_sdwa s4, v20, v81 src0_sel:BYTE_1 src1_sel:DWORD
	v_bfrev_b32_e32 v5, 1
	s_and_saveexec_b32 s17, s4
	s_cbranch_execz .LBB378_1080
; %bb.1075:                             ;   in Loop: Header=BB378_998 Depth=1
	v_mov_b32_e32 v5, 0xffff
	s_mov_b32 s18, exec_lo
	v_and_b32_sdwa v10, v5, v20 dst_sel:DWORD dst_unused:UNUSED_PAD src0_sel:DWORD src1_sel:BYTE_1
	v_mov_b32_e32 v5, 0x7f800001
	v_and_b32_e32 v12, 0x7f, v10
	v_cmpx_ne_u32_e32 0x7f, v12
	s_cbranch_execz .LBB378_1079
; %bb.1076:                             ;   in Loop: Header=BB378_998 Depth=1
	v_and_b32_e32 v10, 7, v10
	v_mov_b32_e32 v24, v11
	v_lshrrev_b32_e32 v5, 3, v12
	s_mov_b32 s20, exec_lo
	v_mov_b32_e32 v23, v10
	v_cmpx_gt_u32_e32 8, v12
; %bb.1077:                             ;   in Loop: Header=BB378_998 Depth=1
	v_ffbh_u32_e32 v5, v10
	v_min_u32_e32 v5, 32, v5
	v_subrev_nc_u32_e32 v12, 28, v5
	v_sub_nc_u32_e32 v5, 29, v5
	v_lshlrev_b64 v[12:13], v12, v[10:11]
	v_and_b32_e32 v23, 7, v12
; %bb.1078:                             ;   in Loop: Header=BB378_998 Depth=1
	s_or_b32 exec_lo, exec_lo, s20
	v_lshlrev_b32_e32 v10, 16, v20
	v_lshlrev_b32_e32 v12, 20, v23
	v_lshl_add_u32 v5, v5, 23, 0x3c000000
	v_and_b32_e32 v10, 0x80000000, v10
	v_or3_b32 v5, v12, v10, v5
.LBB378_1079:                           ;   in Loop: Header=BB378_998 Depth=1
	s_or_b32 exec_lo, exec_lo, s18
.LBB378_1080:                           ;   in Loop: Header=BB378_998 Depth=1
	s_or_b32 exec_lo, exec_lo, s17
.LBB378_1081:                           ;   in Loop: Header=BB378_998 Depth=1
	s_or_b32 exec_lo, exec_lo, s16
	v_and_b32_sdwa v10, v20, v83 dst_sel:DWORD dst_unused:UNUSED_PAD src0_sel:WORD_1 src1_sel:DWORD
	v_mov_b32_e32 v13, 0
	v_mov_b32_e32 v12, 0
	s_mov_b32 s16, exec_lo
	v_cmpx_ne_u16_e32 0, v10
	s_cbranch_execz .LBB378_1089
; %bb.1082:                             ;   in Loop: Header=BB378_998 Depth=1
	v_bfrev_b32_e32 v12, 1
	s_mov_b32 s17, exec_lo
	v_cmpx_ne_u16_e32 0x80, v10
	s_cbranch_execz .LBB378_1088
; %bb.1083:                             ;   in Loop: Header=BB378_998 Depth=1
	v_bfe_u32 v16, v20, 16, 7
	v_mov_b32_e32 v12, 0x7f800001
	s_mov_b32 s18, exec_lo
	v_cmpx_ne_u32_e32 0x7f, v16
	s_cbranch_execz .LBB378_1087
; %bb.1084:                             ;   in Loop: Header=BB378_998 Depth=1
	v_mov_b32_e32 v10, 7
	v_lshrrev_b32_e32 v12, 3, v16
	s_mov_b32 s20, exec_lo
	v_and_b32_sdwa v10, v20, v10 dst_sel:DWORD dst_unused:UNUSED_PAD src0_sel:WORD_1 src1_sel:DWORD
	v_mov_b32_e32 v24, v11
	v_mov_b32_e32 v23, v10
	v_cmpx_gt_u32_e32 8, v16
; %bb.1085:                             ;   in Loop: Header=BB378_998 Depth=1
	v_ffbh_u32_e32 v12, v10
	v_min_u32_e32 v12, 32, v12
	v_subrev_nc_u32_e32 v16, 28, v12
	v_sub_nc_u32_e32 v12, 29, v12
	v_lshlrev_b64 v[22:23], v16, v[10:11]
	v_and_b32_e32 v23, 7, v22
; %bb.1086:                             ;   in Loop: Header=BB378_998 Depth=1
	s_or_b32 exec_lo, exec_lo, s20
	v_mov_b32_e32 v10, 24
	v_lshlrev_b32_e32 v16, 20, v23
	v_lshl_add_u32 v12, v12, 23, 0x3c000000
	v_lshlrev_b32_sdwa v10, v10, v20 dst_sel:DWORD dst_unused:UNUSED_PAD src0_sel:DWORD src1_sel:WORD_1
	v_and_b32_e32 v10, 0x80000000, v10
	v_or3_b32 v12, v16, v10, v12
.LBB378_1087:                           ;   in Loop: Header=BB378_998 Depth=1
	s_or_b32 exec_lo, exec_lo, s18
.LBB378_1088:                           ;   in Loop: Header=BB378_998 Depth=1
	s_or_b32 exec_lo, exec_lo, s17
.LBB378_1089:                           ;   in Loop: Header=BB378_998 Depth=1
	s_or_b32 exec_lo, exec_lo, s16
	s_mov_b32 s16, exec_lo
	v_cmpx_lt_u32_e32 0xffffff, v20
	s_cbranch_execz .LBB378_1097
; %bb.1090:                             ;   in Loop: Header=BB378_998 Depth=1
	v_cmp_ne_u32_sdwa s4, v20, v81 src0_sel:BYTE_3 src1_sel:DWORD
	v_bfrev_b32_e32 v13, 1
	s_and_saveexec_b32 s17, s4
	s_cbranch_execz .LBB378_1096
; %bb.1091:                             ;   in Loop: Header=BB378_998 Depth=1
	v_bfe_u32 v16, v20, 24, 7
	v_mov_b32_e32 v13, 0x7f800001
	s_mov_b32 s18, exec_lo
	v_cmpx_ne_u32_e32 0x7f, v16
	s_cbranch_execz .LBB378_1095
; %bb.1092:                             ;   in Loop: Header=BB378_998 Depth=1
	v_mov_b32_e32 v10, 7
	v_lshrrev_b32_e32 v13, 3, v16
	s_mov_b32 s20, exec_lo
	v_and_b32_sdwa v10, v20, v10 dst_sel:DWORD dst_unused:UNUSED_PAD src0_sel:BYTE_3 src1_sel:DWORD
	v_mov_b32_e32 v24, v11
	v_mov_b32_e32 v23, v10
	v_cmpx_gt_u32_e32 8, v16
; %bb.1093:                             ;   in Loop: Header=BB378_998 Depth=1
	v_ffbh_u32_e32 v13, v10
	v_min_u32_e32 v13, 32, v13
	v_subrev_nc_u32_e32 v16, 28, v13
	v_sub_nc_u32_e32 v13, 29, v13
	v_lshlrev_b64 v[22:23], v16, v[10:11]
	v_and_b32_e32 v23, 7, v22
; %bb.1094:                             ;   in Loop: Header=BB378_998 Depth=1
	s_or_b32 exec_lo, exec_lo, s20
	v_mov_b32_e32 v10, 24
	v_lshlrev_b32_e32 v16, 20, v23
	v_lshl_add_u32 v13, v13, 23, 0x3c000000
	v_lshlrev_b32_sdwa v10, v10, v20 dst_sel:DWORD dst_unused:UNUSED_PAD src0_sel:DWORD src1_sel:BYTE_3
	v_and_b32_e32 v10, 0x80000000, v10
	v_or3_b32 v13, v16, v10, v13
.LBB378_1095:                           ;   in Loop: Header=BB378_998 Depth=1
	s_or_b32 exec_lo, exec_lo, s18
.LBB378_1096:                           ;   in Loop: Header=BB378_998 Depth=1
	s_or_b32 exec_lo, exec_lo, s17
.LBB378_1097:                           ;   in Loop: Header=BB378_998 Depth=1
	s_or_b32 exec_lo, exec_lo, s16
	v_mov_b32_e32 v10, v21
	v_cmp_ne_u16_sdwa s4, v21, v11 src0_sel:BYTE_0 src1_sel:DWORD
	v_mov_b32_e32 v22, 0
	v_mov_b32_e32 v16, 0
	s_and_saveexec_b32 s16, s4
	s_cbranch_execz .LBB378_1105
; %bb.1098:                             ;   in Loop: Header=BB378_998 Depth=1
	v_cmp_ne_u16_sdwa s4, v21, v81 src0_sel:BYTE_0 src1_sel:DWORD
	v_bfrev_b32_e32 v16, 1
	s_and_saveexec_b32 s17, s4
	s_cbranch_execz .LBB378_1104
; %bb.1099:                             ;   in Loop: Header=BB378_998 Depth=1
	v_and_b32_e32 v23, 0x7f, v21
	v_mov_b32_e32 v16, 0x7f800001
	s_mov_b32 s18, exec_lo
	v_cmpx_ne_u32_e32 0x7f, v23
	s_cbranch_execz .LBB378_1103
; %bb.1100:                             ;   in Loop: Header=BB378_998 Depth=1
	v_lshrrev_b32_e32 v16, 3, v23
	v_cmp_gt_u32_e64 s4, 8, v23
	v_mov_b32_e32 v24, v11
	v_mov_b32_e32 v23, v10
	s_and_saveexec_b32 s20, s4
; %bb.1101:                             ;   in Loop: Header=BB378_998 Depth=1
	v_and_b32_e32 v16, 7, v21
	v_ffbh_u32_e32 v16, v16
	v_min_u32_e32 v16, 32, v16
	v_subrev_nc_u32_e32 v17, 28, v16
	v_sub_nc_u32_e32 v16, 29, v16
	v_lshlrev_b64 v[23:24], v17, v[10:11]
; %bb.1102:                             ;   in Loop: Header=BB378_998 Depth=1
	s_or_b32 exec_lo, exec_lo, s20
	v_lshlrev_b32_e32 v17, 20, v23
	v_lshlrev_b32_e32 v23, 24, v10
	v_lshl_add_u32 v16, v16, 23, 0x3c000000
	v_and_b32_e32 v17, 0x700000, v17
	v_and_b32_e32 v23, 0x80000000, v23
	v_or3_b32 v16, v17, v23, v16
.LBB378_1103:                           ;   in Loop: Header=BB378_998 Depth=1
	s_or_b32 exec_lo, exec_lo, s18
.LBB378_1104:                           ;   in Loop: Header=BB378_998 Depth=1
	s_or_b32 exec_lo, exec_lo, s17
.LBB378_1105:                           ;   in Loop: Header=BB378_998 Depth=1
	s_or_b32 exec_lo, exec_lo, s16
	v_cmp_ne_u16_sdwa s4, v10, v11 src0_sel:BYTE_1 src1_sel:DWORD
	s_and_saveexec_b32 s16, s4
	s_cbranch_execz .LBB378_1113
; %bb.1106:                             ;   in Loop: Header=BB378_998 Depth=1
	v_cmp_ne_u16_sdwa s4, v10, v81 src0_sel:BYTE_1 src1_sel:DWORD
	v_bfrev_b32_e32 v22, 1
	s_and_saveexec_b32 s17, s4
	s_cbranch_execz .LBB378_1112
; %bb.1107:                             ;   in Loop: Header=BB378_998 Depth=1
	v_mov_b32_e32 v17, 0xffff
	v_mov_b32_e32 v22, 0x7f800001
	s_mov_b32 s18, exec_lo
	v_and_b32_sdwa v23, v17, v10 dst_sel:DWORD dst_unused:UNUSED_PAD src0_sel:DWORD src1_sel:BYTE_1
	v_and_b32_e32 v25, 0x7f, v23
	v_cmpx_ne_u32_e32 0x7f, v25
	s_cbranch_execz .LBB378_1111
; %bb.1108:                             ;   in Loop: Header=BB378_998 Depth=1
	v_and_b32_e32 v23, 7, v23
	v_mov_b32_e32 v24, v11
	v_lshrrev_b32_e32 v22, 3, v25
	s_mov_b32 s20, exec_lo
	v_cmpx_gt_u32_e32 8, v25
; %bb.1109:                             ;   in Loop: Header=BB378_998 Depth=1
	v_ffbh_u32_e32 v17, v23
	v_min_u32_e32 v17, 32, v17
	v_subrev_nc_u32_e32 v22, 28, v17
	v_lshlrev_b64 v[23:24], v22, v[23:24]
	v_sub_nc_u32_e32 v22, 29, v17
	v_and_b32_e32 v23, 7, v23
; %bb.1110:                             ;   in Loop: Header=BB378_998 Depth=1
	s_or_b32 exec_lo, exec_lo, s20
	v_lshlrev_b32_e32 v10, 16, v10
	v_lshlrev_b32_e32 v17, 20, v23
	v_lshl_add_u32 v22, v22, 23, 0x3c000000
	v_and_b32_e32 v10, 0x80000000, v10
	v_or3_b32 v22, v17, v10, v22
.LBB378_1111:                           ;   in Loop: Header=BB378_998 Depth=1
	s_or_b32 exec_lo, exec_lo, s18
.LBB378_1112:                           ;   in Loop: Header=BB378_998 Depth=1
	s_or_b32 exec_lo, exec_lo, s17
.LBB378_1113:                           ;   in Loop: Header=BB378_998 Depth=1
	s_or_b32 exec_lo, exec_lo, s16
	v_and_b32_sdwa v10, v21, v83 dst_sel:DWORD dst_unused:UNUSED_PAD src0_sel:WORD_1 src1_sel:DWORD
	v_mov_b32_e32 v25, 0
	v_mov_b32_e32 v26, 0
	s_mov_b32 s16, exec_lo
	v_cmpx_ne_u16_e32 0, v10
	s_cbranch_execz .LBB378_1121
; %bb.1114:                             ;   in Loop: Header=BB378_998 Depth=1
	v_bfrev_b32_e32 v26, 1
	s_mov_b32 s17, exec_lo
	v_cmpx_ne_u16_e32 0x80, v10
	s_cbranch_execz .LBB378_1120
; %bb.1115:                             ;   in Loop: Header=BB378_998 Depth=1
	v_bfe_u32 v23, v21, 16, 7
	v_mov_b32_e32 v26, 0x7f800001
	s_mov_b32 s18, exec_lo
	v_cmpx_ne_u32_e32 0x7f, v23
	s_cbranch_execz .LBB378_1119
; %bb.1116:                             ;   in Loop: Header=BB378_998 Depth=1
	v_mov_b32_e32 v10, 7
	v_lshrrev_b32_e32 v26, 3, v23
	v_cmp_gt_u32_e64 s4, 8, v23
	v_and_b32_sdwa v10, v21, v10 dst_sel:DWORD dst_unused:UNUSED_PAD src0_sel:WORD_1 src1_sel:DWORD
	v_mov_b32_e32 v24, v11
	v_mov_b32_e32 v23, v10
	s_and_saveexec_b32 s20, s4
; %bb.1117:                             ;   in Loop: Header=BB378_998 Depth=1
	v_ffbh_u32_e32 v17, v10
	v_min_u32_e32 v17, 32, v17
	v_subrev_nc_u32_e32 v23, 28, v17
	v_sub_nc_u32_e32 v26, 29, v17
	v_lshlrev_b64 v[23:24], v23, v[10:11]
	v_and_b32_e32 v23, 7, v23
; %bb.1118:                             ;   in Loop: Header=BB378_998 Depth=1
	s_or_b32 exec_lo, exec_lo, s20
	v_mov_b32_e32 v10, 24
	v_lshlrev_b32_e32 v17, 20, v23
	v_lshl_add_u32 v23, v26, 23, 0x3c000000
	v_lshlrev_b32_sdwa v10, v10, v21 dst_sel:DWORD dst_unused:UNUSED_PAD src0_sel:DWORD src1_sel:WORD_1
	v_and_b32_e32 v10, 0x80000000, v10
	v_or3_b32 v26, v17, v10, v23
.LBB378_1119:                           ;   in Loop: Header=BB378_998 Depth=1
	s_or_b32 exec_lo, exec_lo, s18
.LBB378_1120:                           ;   in Loop: Header=BB378_998 Depth=1
	s_or_b32 exec_lo, exec_lo, s17
.LBB378_1121:                           ;   in Loop: Header=BB378_998 Depth=1
	s_or_b32 exec_lo, exec_lo, s16
	s_mov_b32 s16, exec_lo
	v_cmpx_lt_u64_e64 s[12:13], v[20:21]
	s_cbranch_execz .LBB378_1129
; %bb.1122:                             ;   in Loop: Header=BB378_998 Depth=1
	v_cmp_ne_u32_sdwa s4, v21, v81 src0_sel:BYTE_3 src1_sel:DWORD
	v_bfrev_b32_e32 v25, 1
	s_and_saveexec_b32 s17, s4
	s_cbranch_execz .LBB378_1128
; %bb.1123:                             ;   in Loop: Header=BB378_998 Depth=1
	v_bfe_u32 v23, v21, 24, 7
	v_mov_b32_e32 v25, 0x7f800001
	s_mov_b32 s18, exec_lo
	v_cmpx_ne_u32_e32 0x7f, v23
	s_cbranch_execz .LBB378_1127
; %bb.1124:                             ;   in Loop: Header=BB378_998 Depth=1
	v_mov_b32_e32 v10, 7
	v_lshrrev_b32_e32 v20, 3, v23
	v_cmp_gt_u32_e64 s4, 8, v23
	v_and_b32_sdwa v10, v21, v10 dst_sel:DWORD dst_unused:UNUSED_PAD src0_sel:BYTE_3 src1_sel:DWORD
	v_mov_b32_e32 v24, v11
	v_mov_b32_e32 v23, v10
	s_and_saveexec_b32 s20, s4
; %bb.1125:                             ;   in Loop: Header=BB378_998 Depth=1
	v_ffbh_u32_e32 v17, v10
	v_min_u32_e32 v17, 32, v17
	v_subrev_nc_u32_e32 v20, 28, v17
	v_lshlrev_b64 v[23:24], v20, v[10:11]
	v_sub_nc_u32_e32 v20, 29, v17
	v_and_b32_e32 v23, 7, v23
; %bb.1126:                             ;   in Loop: Header=BB378_998 Depth=1
	s_or_b32 exec_lo, exec_lo, s20
	v_mov_b32_e32 v10, 24
	v_lshlrev_b32_e32 v17, 20, v23
	v_lshl_add_u32 v20, v20, 23, 0x3c000000
	v_lshlrev_b32_sdwa v10, v10, v21 dst_sel:DWORD dst_unused:UNUSED_PAD src0_sel:DWORD src1_sel:BYTE_3
	v_and_b32_e32 v10, 0x80000000, v10
	v_or3_b32 v25, v17, v10, v20
.LBB378_1127:                           ;   in Loop: Header=BB378_998 Depth=1
	s_or_b32 exec_lo, exec_lo, s18
.LBB378_1128:                           ;   in Loop: Header=BB378_998 Depth=1
	s_or_b32 exec_lo, exec_lo, s17
.LBB378_1129:                           ;   in Loop: Header=BB378_998 Depth=1
	s_or_b32 exec_lo, exec_lo, s16
	v_mul_f32_e32 v10, v57, v22
	v_mul_f32_e32 v16, v57, v16
	;; [unrolled: 1-line block ×5, first 2 shown]
	v_bfe_u32 v17, v10, 16, 1
	v_or_b32_e32 v20, 0x400000, v10
	v_bfe_u32 v21, v16, 16, 1
	v_cmp_u_f32_e64 s4, v10, v10
	v_or_b32_e32 v22, 0x400000, v16
	v_add3_u32 v17, v17, v10, 0x7fff
	v_bfe_u32 v23, v13, 16, 1
	v_add3_u32 v21, v21, v16, 0x7fff
	v_or_b32_e32 v24, 0x400000, v13
	v_bfe_u32 v27, v12, 16, 1
	v_cndmask_b32_e64 v10, v17, v20, s4
	v_cmp_u_f32_e64 s4, v16, v16
	v_add3_u32 v23, v23, v13, 0x7fff
	v_or_b32_e32 v17, 0x400000, v12
	v_mul_f32_e32 v4, v57, v4
	v_lshrrev_b32_e32 v10, 16, v10
	v_cndmask_b32_e64 v16, v21, v22, s4
	v_cmp_u_f32_e64 s4, v13, v13
	v_bfe_u32 v20, v4, 16, 1
	buffer_store_dword v10, off, s[0:3], s32 offset:280 ; 4-byte Folded Spill
	v_add3_u32 v10, v27, v12, 0x7fff
	v_cndmask_b32_e64 v13, v23, v24, s4
	v_lshrrev_b32_e32 v16, 16, v16
	v_cmp_u_f32_e64 s4, v12, v12
	v_mul_f32_e32 v12, v57, v26
	v_lshrrev_b32_e32 v13, 16, v13
	buffer_store_dword v16, off, s[0:3], s32 offset:272 ; 4-byte Folded Spill
	v_cndmask_b32_e64 v10, v10, v17, s4
	v_or_b32_e32 v16, 0x400000, v5
	v_cmp_u_f32_e64 s4, v5, v5
	buffer_store_dword v13, off, s[0:3], s32 offset:284 ; 4-byte Folded Spill
	v_bfe_u32 v13, v5, 16, 1
	v_mul_f32_e32 v17, v57, v25
	v_bfe_u32 v21, v12, 16, 1
	v_or_b32_e32 v22, 0x400000, v12
	v_lshrrev_b32_e32 v10, 16, v10
	v_add3_u32 v13, v13, v5, 0x7fff
	v_or_b32_e32 v23, 0x400000, v17
	v_add3_u32 v21, v21, v12, 0x7fff
	buffer_store_dword v10, off, s[0:3], s32 offset:288 ; 4-byte Folded Spill
	v_cndmask_b32_e64 v5, v13, v16, s4
	v_add3_u32 v16, v20, v4, 0x7fff
	v_or_b32_e32 v20, 0x400000, v4
	v_cmp_u_f32_e64 s4, v4, v4
	v_bfe_u32 v13, v17, 16, 1
	v_lshrrev_b32_e32 v5, 16, v5
	v_cndmask_b32_e64 v4, v16, v20, s4
	v_cmp_u_f32_e64 s4, v12, v12
	v_add3_u32 v13, v13, v17, 0x7fff
	buffer_store_dword v5, off, s[0:3], s32 offset:300 ; 4-byte Folded Spill
	v_lshrrev_b32_e32 v4, 16, v4
	v_cndmask_b32_e64 v12, v21, v22, s4
	v_cmp_u_f32_e64 s4, v17, v17
	buffer_store_dword v4, off, s[0:3], s32 offset:292 ; 4-byte Folded Spill
	v_lshrrev_b32_e32 v4, 16, v12
	v_cndmask_b32_e64 v13, v13, v23, s4
	buffer_store_dword v4, off, s[0:3], s32 offset:268 ; 4-byte Folded Spill
	v_lshrrev_b32_e32 v4, 16, v13
	buffer_store_dword v4, off, s[0:3], s32 offset:276 ; 4-byte Folded Spill
	s_and_saveexec_b32 s16, vcc_lo
	s_cbranch_execz .LBB378_1131
; %bb.1130:                             ;   in Loop: Header=BB378_998 Depth=1
	buffer_load_dword v4, off, s[0:3], s32 offset:292 ; 4-byte Folded Reload
	v_cmp_lt_i32_e64 s4, v74, v38
	s_waitcnt vmcnt(0)
	v_cndmask_b32_e64 v4, 0, v4, s4
	v_cmp_lt_i32_e64 s4, v89, v38
	buffer_store_dword v4, off, s[0:3], s32 offset:292 ; 4-byte Folded Spill
	buffer_load_dword v4, off, s[0:3], s32 offset:300 ; 4-byte Folded Reload
	s_waitcnt vmcnt(0)
	v_cndmask_b32_e64 v4, 0, v4, s4
	v_cmp_lt_i32_e64 s4, v88, v38
	buffer_store_dword v4, off, s[0:3], s32 offset:300 ; 4-byte Folded Spill
	buffer_load_dword v4, off, s[0:3], s32 offset:288 ; 4-byte Folded Reload
	;; [unrolled: 5-line block ×7, first 2 shown]
	s_waitcnt vmcnt(0)
	v_cndmask_b32_e64 v4, 0, v4, s4
	buffer_store_dword v4, off, s[0:3], s32 offset:276 ; 4-byte Folded Spill
.LBB378_1131:                           ;   in Loop: Header=BB378_998 Depth=1
	s_or_b32 exec_lo, exec_lo, s16
	flat_load_dwordx2 v[20:21], v[18:19] offset:512
	v_mov_b32_e32 v5, 0
	v_mov_b32_e32 v4, 0
	s_waitcnt vmcnt(0) lgkmcnt(0)
	v_cmp_ne_u16_sdwa s4, v20, v11 src0_sel:BYTE_0 src1_sel:DWORD
	s_and_saveexec_b32 s16, s4
	s_cbranch_execz .LBB378_1139
; %bb.1132:                             ;   in Loop: Header=BB378_998 Depth=1
	v_cmp_ne_u16_sdwa s4, v20, v81 src0_sel:BYTE_0 src1_sel:DWORD
	v_bfrev_b32_e32 v4, 1
	s_and_saveexec_b32 s17, s4
	s_cbranch_execz .LBB378_1138
; %bb.1133:                             ;   in Loop: Header=BB378_998 Depth=1
	v_and_b32_e32 v10, 0x7f, v20
	v_mov_b32_e32 v4, 0x7f800001
	s_mov_b32 s18, exec_lo
	v_cmpx_ne_u32_e32 0x7f, v10
	s_cbranch_execz .LBB378_1137
; %bb.1134:                             ;   in Loop: Header=BB378_998 Depth=1
	v_mov_b32_e32 v24, v21
	v_lshrrev_b32_e32 v4, 3, v10
	v_mov_b32_e32 v23, v20
	s_mov_b32 s20, exec_lo
	v_cmpx_gt_u32_e32 8, v10
; %bb.1135:                             ;   in Loop: Header=BB378_998 Depth=1
	v_and_b32_e32 v4, 7, v20
	v_ffbh_u32_e32 v4, v4
	v_min_u32_e32 v4, 32, v4
	v_subrev_nc_u32_e32 v10, 28, v4
	v_sub_nc_u32_e32 v4, 29, v4
	v_lshlrev_b64 v[23:24], v10, v[20:21]
; %bb.1136:                             ;   in Loop: Header=BB378_998 Depth=1
	s_or_b32 exec_lo, exec_lo, s20
	v_lshlrev_b32_e32 v10, 20, v23
	v_lshlrev_b32_e32 v12, 24, v20
	v_lshl_add_u32 v4, v4, 23, 0x3c000000
	v_and_b32_e32 v10, 0x700000, v10
	v_and_b32_e32 v12, 0x80000000, v12
	v_or3_b32 v4, v10, v12, v4
.LBB378_1137:                           ;   in Loop: Header=BB378_998 Depth=1
	s_or_b32 exec_lo, exec_lo, s18
.LBB378_1138:                           ;   in Loop: Header=BB378_998 Depth=1
	s_or_b32 exec_lo, exec_lo, s17
.LBB378_1139:                           ;   in Loop: Header=BB378_998 Depth=1
	s_or_b32 exec_lo, exec_lo, s16
	v_cmp_ne_u16_sdwa s4, v20, v11 src0_sel:BYTE_1 src1_sel:DWORD
	s_and_saveexec_b32 s16, s4
	s_cbranch_execz .LBB378_1147
; %bb.1140:                             ;   in Loop: Header=BB378_998 Depth=1
	v_cmp_ne_u16_sdwa s4, v20, v81 src0_sel:BYTE_1 src1_sel:DWORD
	v_bfrev_b32_e32 v5, 1
	s_and_saveexec_b32 s17, s4
	s_cbranch_execz .LBB378_1146
; %bb.1141:                             ;   in Loop: Header=BB378_998 Depth=1
	v_mov_b32_e32 v5, 0xffff
	s_mov_b32 s18, exec_lo
	v_and_b32_sdwa v10, v5, v20 dst_sel:DWORD dst_unused:UNUSED_PAD src0_sel:DWORD src1_sel:BYTE_1
	v_mov_b32_e32 v5, 0x7f800001
	v_and_b32_e32 v12, 0x7f, v10
	v_cmpx_ne_u32_e32 0x7f, v12
	s_cbranch_execz .LBB378_1145
; %bb.1142:                             ;   in Loop: Header=BB378_998 Depth=1
	v_and_b32_e32 v10, 7, v10
	v_mov_b32_e32 v24, v11
	v_lshrrev_b32_e32 v5, 3, v12
	s_mov_b32 s20, exec_lo
	v_mov_b32_e32 v23, v10
	v_cmpx_gt_u32_e32 8, v12
; %bb.1143:                             ;   in Loop: Header=BB378_998 Depth=1
	v_ffbh_u32_e32 v5, v10
	v_min_u32_e32 v5, 32, v5
	v_subrev_nc_u32_e32 v12, 28, v5
	v_sub_nc_u32_e32 v5, 29, v5
	v_lshlrev_b64 v[12:13], v12, v[10:11]
	v_and_b32_e32 v23, 7, v12
; %bb.1144:                             ;   in Loop: Header=BB378_998 Depth=1
	s_or_b32 exec_lo, exec_lo, s20
	v_lshlrev_b32_e32 v10, 16, v20
	v_lshlrev_b32_e32 v12, 20, v23
	v_lshl_add_u32 v5, v5, 23, 0x3c000000
	v_and_b32_e32 v10, 0x80000000, v10
	v_or3_b32 v5, v12, v10, v5
.LBB378_1145:                           ;   in Loop: Header=BB378_998 Depth=1
	s_or_b32 exec_lo, exec_lo, s18
.LBB378_1146:                           ;   in Loop: Header=BB378_998 Depth=1
	s_or_b32 exec_lo, exec_lo, s17
.LBB378_1147:                           ;   in Loop: Header=BB378_998 Depth=1
	s_or_b32 exec_lo, exec_lo, s16
	v_and_b32_sdwa v10, v20, v83 dst_sel:DWORD dst_unused:UNUSED_PAD src0_sel:WORD_1 src1_sel:DWORD
	v_mov_b32_e32 v13, 0
	v_mov_b32_e32 v12, 0
	s_mov_b32 s16, exec_lo
	v_cmpx_ne_u16_e32 0, v10
	s_cbranch_execz .LBB378_1155
; %bb.1148:                             ;   in Loop: Header=BB378_998 Depth=1
	v_bfrev_b32_e32 v12, 1
	s_mov_b32 s17, exec_lo
	v_cmpx_ne_u16_e32 0x80, v10
	s_cbranch_execz .LBB378_1154
; %bb.1149:                             ;   in Loop: Header=BB378_998 Depth=1
	v_bfe_u32 v16, v20, 16, 7
	v_mov_b32_e32 v12, 0x7f800001
	s_mov_b32 s18, exec_lo
	v_cmpx_ne_u32_e32 0x7f, v16
	s_cbranch_execz .LBB378_1153
; %bb.1150:                             ;   in Loop: Header=BB378_998 Depth=1
	v_mov_b32_e32 v10, 7
	v_lshrrev_b32_e32 v12, 3, v16
	s_mov_b32 s20, exec_lo
	v_and_b32_sdwa v10, v20, v10 dst_sel:DWORD dst_unused:UNUSED_PAD src0_sel:WORD_1 src1_sel:DWORD
	v_mov_b32_e32 v24, v11
	v_mov_b32_e32 v23, v10
	v_cmpx_gt_u32_e32 8, v16
; %bb.1151:                             ;   in Loop: Header=BB378_998 Depth=1
	v_ffbh_u32_e32 v12, v10
	v_min_u32_e32 v12, 32, v12
	v_subrev_nc_u32_e32 v16, 28, v12
	v_sub_nc_u32_e32 v12, 29, v12
	v_lshlrev_b64 v[22:23], v16, v[10:11]
	v_and_b32_e32 v23, 7, v22
; %bb.1152:                             ;   in Loop: Header=BB378_998 Depth=1
	s_or_b32 exec_lo, exec_lo, s20
	v_mov_b32_e32 v10, 24
	v_lshlrev_b32_e32 v16, 20, v23
	v_lshl_add_u32 v12, v12, 23, 0x3c000000
	v_lshlrev_b32_sdwa v10, v10, v20 dst_sel:DWORD dst_unused:UNUSED_PAD src0_sel:DWORD src1_sel:WORD_1
	v_and_b32_e32 v10, 0x80000000, v10
	v_or3_b32 v12, v16, v10, v12
.LBB378_1153:                           ;   in Loop: Header=BB378_998 Depth=1
	s_or_b32 exec_lo, exec_lo, s18
.LBB378_1154:                           ;   in Loop: Header=BB378_998 Depth=1
	s_or_b32 exec_lo, exec_lo, s17
.LBB378_1155:                           ;   in Loop: Header=BB378_998 Depth=1
	s_or_b32 exec_lo, exec_lo, s16
	s_mov_b32 s16, exec_lo
	v_cmpx_lt_u32_e32 0xffffff, v20
	s_cbranch_execz .LBB378_1163
; %bb.1156:                             ;   in Loop: Header=BB378_998 Depth=1
	v_cmp_ne_u32_sdwa s4, v20, v81 src0_sel:BYTE_3 src1_sel:DWORD
	v_bfrev_b32_e32 v13, 1
	s_and_saveexec_b32 s17, s4
	s_cbranch_execz .LBB378_1162
; %bb.1157:                             ;   in Loop: Header=BB378_998 Depth=1
	v_bfe_u32 v16, v20, 24, 7
	v_mov_b32_e32 v13, 0x7f800001
	s_mov_b32 s18, exec_lo
	v_cmpx_ne_u32_e32 0x7f, v16
	s_cbranch_execz .LBB378_1161
; %bb.1158:                             ;   in Loop: Header=BB378_998 Depth=1
	v_mov_b32_e32 v10, 7
	v_lshrrev_b32_e32 v13, 3, v16
	s_mov_b32 s20, exec_lo
	v_and_b32_sdwa v10, v20, v10 dst_sel:DWORD dst_unused:UNUSED_PAD src0_sel:BYTE_3 src1_sel:DWORD
	v_mov_b32_e32 v24, v11
	v_mov_b32_e32 v23, v10
	v_cmpx_gt_u32_e32 8, v16
; %bb.1159:                             ;   in Loop: Header=BB378_998 Depth=1
	v_ffbh_u32_e32 v13, v10
	v_min_u32_e32 v13, 32, v13
	v_subrev_nc_u32_e32 v16, 28, v13
	v_sub_nc_u32_e32 v13, 29, v13
	v_lshlrev_b64 v[22:23], v16, v[10:11]
	v_and_b32_e32 v23, 7, v22
; %bb.1160:                             ;   in Loop: Header=BB378_998 Depth=1
	s_or_b32 exec_lo, exec_lo, s20
	v_mov_b32_e32 v10, 24
	v_lshlrev_b32_e32 v16, 20, v23
	v_lshl_add_u32 v13, v13, 23, 0x3c000000
	v_lshlrev_b32_sdwa v10, v10, v20 dst_sel:DWORD dst_unused:UNUSED_PAD src0_sel:DWORD src1_sel:BYTE_3
	v_and_b32_e32 v10, 0x80000000, v10
	v_or3_b32 v13, v16, v10, v13
.LBB378_1161:                           ;   in Loop: Header=BB378_998 Depth=1
	s_or_b32 exec_lo, exec_lo, s18
.LBB378_1162:                           ;   in Loop: Header=BB378_998 Depth=1
	s_or_b32 exec_lo, exec_lo, s17
.LBB378_1163:                           ;   in Loop: Header=BB378_998 Depth=1
	s_or_b32 exec_lo, exec_lo, s16
	v_mov_b32_e32 v10, v21
	v_cmp_ne_u16_sdwa s4, v21, v11 src0_sel:BYTE_0 src1_sel:DWORD
	v_mov_b32_e32 v22, 0
	v_mov_b32_e32 v16, 0
	s_and_saveexec_b32 s16, s4
	s_cbranch_execz .LBB378_1171
; %bb.1164:                             ;   in Loop: Header=BB378_998 Depth=1
	v_cmp_ne_u16_sdwa s4, v21, v81 src0_sel:BYTE_0 src1_sel:DWORD
	v_bfrev_b32_e32 v16, 1
	s_and_saveexec_b32 s17, s4
	s_cbranch_execz .LBB378_1170
; %bb.1165:                             ;   in Loop: Header=BB378_998 Depth=1
	v_and_b32_e32 v23, 0x7f, v21
	v_mov_b32_e32 v16, 0x7f800001
	s_mov_b32 s18, exec_lo
	v_cmpx_ne_u32_e32 0x7f, v23
	s_cbranch_execz .LBB378_1169
; %bb.1166:                             ;   in Loop: Header=BB378_998 Depth=1
	v_lshrrev_b32_e32 v16, 3, v23
	v_cmp_gt_u32_e64 s4, 8, v23
	v_mov_b32_e32 v24, v11
	v_mov_b32_e32 v23, v10
	s_and_saveexec_b32 s20, s4
; %bb.1167:                             ;   in Loop: Header=BB378_998 Depth=1
	v_and_b32_e32 v16, 7, v21
	v_ffbh_u32_e32 v16, v16
	v_min_u32_e32 v16, 32, v16
	v_subrev_nc_u32_e32 v17, 28, v16
	v_sub_nc_u32_e32 v16, 29, v16
	v_lshlrev_b64 v[23:24], v17, v[10:11]
; %bb.1168:                             ;   in Loop: Header=BB378_998 Depth=1
	s_or_b32 exec_lo, exec_lo, s20
	v_lshlrev_b32_e32 v17, 20, v23
	v_lshlrev_b32_e32 v23, 24, v10
	v_lshl_add_u32 v16, v16, 23, 0x3c000000
	v_and_b32_e32 v17, 0x700000, v17
	v_and_b32_e32 v23, 0x80000000, v23
	v_or3_b32 v16, v17, v23, v16
.LBB378_1169:                           ;   in Loop: Header=BB378_998 Depth=1
	s_or_b32 exec_lo, exec_lo, s18
.LBB378_1170:                           ;   in Loop: Header=BB378_998 Depth=1
	s_or_b32 exec_lo, exec_lo, s17
.LBB378_1171:                           ;   in Loop: Header=BB378_998 Depth=1
	s_or_b32 exec_lo, exec_lo, s16
	v_cmp_ne_u16_sdwa s4, v10, v11 src0_sel:BYTE_1 src1_sel:DWORD
	s_and_saveexec_b32 s16, s4
	s_cbranch_execz .LBB378_1179
; %bb.1172:                             ;   in Loop: Header=BB378_998 Depth=1
	v_cmp_ne_u16_sdwa s4, v10, v81 src0_sel:BYTE_1 src1_sel:DWORD
	v_bfrev_b32_e32 v22, 1
	s_and_saveexec_b32 s17, s4
	s_cbranch_execz .LBB378_1178
; %bb.1173:                             ;   in Loop: Header=BB378_998 Depth=1
	v_mov_b32_e32 v17, 0xffff
	v_mov_b32_e32 v22, 0x7f800001
	s_mov_b32 s18, exec_lo
	v_and_b32_sdwa v23, v17, v10 dst_sel:DWORD dst_unused:UNUSED_PAD src0_sel:DWORD src1_sel:BYTE_1
	v_and_b32_e32 v25, 0x7f, v23
	v_cmpx_ne_u32_e32 0x7f, v25
	s_cbranch_execz .LBB378_1177
; %bb.1174:                             ;   in Loop: Header=BB378_998 Depth=1
	v_and_b32_e32 v23, 7, v23
	v_mov_b32_e32 v24, v11
	v_lshrrev_b32_e32 v22, 3, v25
	s_mov_b32 s20, exec_lo
	v_cmpx_gt_u32_e32 8, v25
; %bb.1175:                             ;   in Loop: Header=BB378_998 Depth=1
	v_ffbh_u32_e32 v17, v23
	v_min_u32_e32 v17, 32, v17
	v_subrev_nc_u32_e32 v22, 28, v17
	v_lshlrev_b64 v[23:24], v22, v[23:24]
	v_sub_nc_u32_e32 v22, 29, v17
	v_and_b32_e32 v23, 7, v23
; %bb.1176:                             ;   in Loop: Header=BB378_998 Depth=1
	s_or_b32 exec_lo, exec_lo, s20
	v_lshlrev_b32_e32 v10, 16, v10
	v_lshlrev_b32_e32 v17, 20, v23
	v_lshl_add_u32 v22, v22, 23, 0x3c000000
	v_and_b32_e32 v10, 0x80000000, v10
	v_or3_b32 v22, v17, v10, v22
.LBB378_1177:                           ;   in Loop: Header=BB378_998 Depth=1
	s_or_b32 exec_lo, exec_lo, s18
.LBB378_1178:                           ;   in Loop: Header=BB378_998 Depth=1
	s_or_b32 exec_lo, exec_lo, s17
.LBB378_1179:                           ;   in Loop: Header=BB378_998 Depth=1
	s_or_b32 exec_lo, exec_lo, s16
	v_and_b32_sdwa v10, v21, v83 dst_sel:DWORD dst_unused:UNUSED_PAD src0_sel:WORD_1 src1_sel:DWORD
	v_mov_b32_e32 v25, 0
	v_mov_b32_e32 v26, 0
	s_mov_b32 s16, exec_lo
	v_cmpx_ne_u16_e32 0, v10
	s_cbranch_execz .LBB378_1187
; %bb.1180:                             ;   in Loop: Header=BB378_998 Depth=1
	v_bfrev_b32_e32 v26, 1
	s_mov_b32 s17, exec_lo
	v_cmpx_ne_u16_e32 0x80, v10
	s_cbranch_execz .LBB378_1186
; %bb.1181:                             ;   in Loop: Header=BB378_998 Depth=1
	v_bfe_u32 v23, v21, 16, 7
	v_mov_b32_e32 v26, 0x7f800001
	s_mov_b32 s18, exec_lo
	v_cmpx_ne_u32_e32 0x7f, v23
	s_cbranch_execz .LBB378_1185
; %bb.1182:                             ;   in Loop: Header=BB378_998 Depth=1
	v_mov_b32_e32 v10, 7
	v_lshrrev_b32_e32 v26, 3, v23
	v_cmp_gt_u32_e64 s4, 8, v23
	v_and_b32_sdwa v10, v21, v10 dst_sel:DWORD dst_unused:UNUSED_PAD src0_sel:WORD_1 src1_sel:DWORD
	v_mov_b32_e32 v24, v11
	v_mov_b32_e32 v23, v10
	s_and_saveexec_b32 s20, s4
; %bb.1183:                             ;   in Loop: Header=BB378_998 Depth=1
	v_ffbh_u32_e32 v17, v10
	v_min_u32_e32 v17, 32, v17
	v_subrev_nc_u32_e32 v23, 28, v17
	v_sub_nc_u32_e32 v26, 29, v17
	v_lshlrev_b64 v[23:24], v23, v[10:11]
	v_and_b32_e32 v23, 7, v23
; %bb.1184:                             ;   in Loop: Header=BB378_998 Depth=1
	s_or_b32 exec_lo, exec_lo, s20
	v_mov_b32_e32 v10, 24
	v_lshlrev_b32_e32 v17, 20, v23
	v_lshl_add_u32 v23, v26, 23, 0x3c000000
	v_lshlrev_b32_sdwa v10, v10, v21 dst_sel:DWORD dst_unused:UNUSED_PAD src0_sel:DWORD src1_sel:WORD_1
	v_and_b32_e32 v10, 0x80000000, v10
	v_or3_b32 v26, v17, v10, v23
.LBB378_1185:                           ;   in Loop: Header=BB378_998 Depth=1
	s_or_b32 exec_lo, exec_lo, s18
.LBB378_1186:                           ;   in Loop: Header=BB378_998 Depth=1
	s_or_b32 exec_lo, exec_lo, s17
.LBB378_1187:                           ;   in Loop: Header=BB378_998 Depth=1
	s_or_b32 exec_lo, exec_lo, s16
	s_mov_b32 s16, exec_lo
	v_cmpx_lt_u64_e64 s[12:13], v[20:21]
	s_cbranch_execz .LBB378_1195
; %bb.1188:                             ;   in Loop: Header=BB378_998 Depth=1
	v_cmp_ne_u32_sdwa s4, v21, v81 src0_sel:BYTE_3 src1_sel:DWORD
	v_bfrev_b32_e32 v25, 1
	s_and_saveexec_b32 s17, s4
	s_cbranch_execz .LBB378_1194
; %bb.1189:                             ;   in Loop: Header=BB378_998 Depth=1
	v_bfe_u32 v23, v21, 24, 7
	v_mov_b32_e32 v25, 0x7f800001
	s_mov_b32 s18, exec_lo
	v_cmpx_ne_u32_e32 0x7f, v23
	s_cbranch_execz .LBB378_1193
; %bb.1190:                             ;   in Loop: Header=BB378_998 Depth=1
	v_mov_b32_e32 v10, 7
	v_lshrrev_b32_e32 v20, 3, v23
	v_cmp_gt_u32_e64 s4, 8, v23
	v_and_b32_sdwa v10, v21, v10 dst_sel:DWORD dst_unused:UNUSED_PAD src0_sel:BYTE_3 src1_sel:DWORD
	v_mov_b32_e32 v24, v11
	v_mov_b32_e32 v23, v10
	s_and_saveexec_b32 s20, s4
; %bb.1191:                             ;   in Loop: Header=BB378_998 Depth=1
	v_ffbh_u32_e32 v17, v10
	v_min_u32_e32 v17, 32, v17
	v_subrev_nc_u32_e32 v20, 28, v17
	v_lshlrev_b64 v[23:24], v20, v[10:11]
	v_sub_nc_u32_e32 v20, 29, v17
	v_and_b32_e32 v23, 7, v23
; %bb.1192:                             ;   in Loop: Header=BB378_998 Depth=1
	s_or_b32 exec_lo, exec_lo, s20
	v_mov_b32_e32 v10, 24
	v_lshlrev_b32_e32 v17, 20, v23
	v_lshl_add_u32 v20, v20, 23, 0x3c000000
	v_lshlrev_b32_sdwa v10, v10, v21 dst_sel:DWORD dst_unused:UNUSED_PAD src0_sel:DWORD src1_sel:BYTE_3
	v_and_b32_e32 v10, 0x80000000, v10
	v_or3_b32 v25, v17, v10, v20
.LBB378_1193:                           ;   in Loop: Header=BB378_998 Depth=1
	s_or_b32 exec_lo, exec_lo, s18
.LBB378_1194:                           ;   in Loop: Header=BB378_998 Depth=1
	s_or_b32 exec_lo, exec_lo, s17
.LBB378_1195:                           ;   in Loop: Header=BB378_998 Depth=1
	s_or_b32 exec_lo, exec_lo, s16
	v_mul_f32_e32 v10, v57, v22
	v_mul_f32_e32 v16, v57, v16
	;; [unrolled: 1-line block ×5, first 2 shown]
	v_bfe_u32 v17, v10, 16, 1
	v_or_b32_e32 v20, 0x400000, v10
	v_bfe_u32 v21, v16, 16, 1
	v_cmp_u_f32_e64 s4, v10, v10
	v_or_b32_e32 v22, 0x400000, v16
	v_add3_u32 v17, v17, v10, 0x7fff
	v_bfe_u32 v23, v13, 16, 1
	v_add3_u32 v21, v21, v16, 0x7fff
	v_or_b32_e32 v24, 0x400000, v13
	v_bfe_u32 v27, v12, 16, 1
	v_cndmask_b32_e64 v10, v17, v20, s4
	v_cmp_u_f32_e64 s4, v16, v16
	v_add3_u32 v23, v23, v13, 0x7fff
	v_or_b32_e32 v17, 0x400000, v12
	v_mul_f32_e32 v4, v57, v4
	v_lshrrev_b32_e32 v10, 16, v10
	v_cndmask_b32_e64 v16, v21, v22, s4
	v_cmp_u_f32_e64 s4, v13, v13
	v_bfe_u32 v20, v4, 16, 1
	buffer_store_dword v10, off, s[0:3], s32 offset:316 ; 4-byte Folded Spill
	v_add3_u32 v10, v27, v12, 0x7fff
	v_cndmask_b32_e64 v13, v23, v24, s4
	v_lshrrev_b32_e32 v16, 16, v16
	v_cmp_u_f32_e64 s4, v12, v12
	v_mul_f32_e32 v12, v57, v26
	v_lshrrev_b32_e32 v13, 16, v13
	buffer_store_dword v16, off, s[0:3], s32 offset:308 ; 4-byte Folded Spill
	v_cndmask_b32_e64 v10, v10, v17, s4
	v_or_b32_e32 v16, 0x400000, v5
	v_cmp_u_f32_e64 s4, v5, v5
	buffer_store_dword v13, off, s[0:3], s32 offset:320 ; 4-byte Folded Spill
	v_bfe_u32 v13, v5, 16, 1
	v_mul_f32_e32 v17, v57, v25
	v_bfe_u32 v21, v12, 16, 1
	v_or_b32_e32 v22, 0x400000, v12
	v_lshrrev_b32_e32 v10, 16, v10
	v_add3_u32 v13, v13, v5, 0x7fff
	v_or_b32_e32 v23, 0x400000, v17
	v_add3_u32 v21, v21, v12, 0x7fff
	buffer_store_dword v10, off, s[0:3], s32 offset:324 ; 4-byte Folded Spill
	v_cndmask_b32_e64 v5, v13, v16, s4
	v_add3_u32 v16, v20, v4, 0x7fff
	v_or_b32_e32 v20, 0x400000, v4
	v_cmp_u_f32_e64 s4, v4, v4
	v_bfe_u32 v13, v17, 16, 1
	v_lshrrev_b32_e32 v5, 16, v5
	v_cndmask_b32_e64 v4, v16, v20, s4
	v_cmp_u_f32_e64 s4, v12, v12
	v_add3_u32 v13, v13, v17, 0x7fff
	buffer_store_dword v5, off, s[0:3], s32 offset:332 ; 4-byte Folded Spill
	v_lshrrev_b32_e32 v4, 16, v4
	v_cndmask_b32_e64 v12, v21, v22, s4
	v_cmp_u_f32_e64 s4, v17, v17
	buffer_store_dword v4, off, s[0:3], s32 offset:328 ; 4-byte Folded Spill
	v_lshrrev_b32_e32 v4, 16, v12
	v_cndmask_b32_e64 v13, v13, v23, s4
	buffer_store_dword v4, off, s[0:3], s32 offset:304 ; 4-byte Folded Spill
	v_lshrrev_b32_e32 v4, 16, v13
	buffer_store_dword v4, off, s[0:3], s32 offset:312 ; 4-byte Folded Spill
	s_and_saveexec_b32 s16, vcc_lo
	s_cbranch_execz .LBB378_1197
; %bb.1196:                             ;   in Loop: Header=BB378_998 Depth=1
	buffer_load_dword v4, off, s[0:3], s32 offset:328 ; 4-byte Folded Reload
	v_cmp_lt_i32_e64 s4, v74, v38
	s_waitcnt vmcnt(0)
	v_cndmask_b32_e64 v4, 0, v4, s4
	v_cmp_lt_i32_e64 s4, v89, v38
	buffer_store_dword v4, off, s[0:3], s32 offset:328 ; 4-byte Folded Spill
	buffer_load_dword v4, off, s[0:3], s32 offset:332 ; 4-byte Folded Reload
	s_waitcnt vmcnt(0)
	v_cndmask_b32_e64 v4, 0, v4, s4
	v_cmp_lt_i32_e64 s4, v88, v38
	buffer_store_dword v4, off, s[0:3], s32 offset:332 ; 4-byte Folded Spill
	buffer_load_dword v4, off, s[0:3], s32 offset:324 ; 4-byte Folded Reload
	s_waitcnt vmcnt(0)
	v_cndmask_b32_e64 v4, 0, v4, s4
	v_cmp_lt_i32_e64 s4, v79, v38
	buffer_store_dword v4, off, s[0:3], s32 offset:324 ; 4-byte Folded Spill
	buffer_load_dword v4, off, s[0:3], s32 offset:320 ; 4-byte Folded Reload
	s_waitcnt vmcnt(0)
	v_cndmask_b32_e64 v4, 0, v4, s4
	v_cmp_lt_i32_e64 s4, v78, v38
	buffer_store_dword v4, off, s[0:3], s32 offset:320 ; 4-byte Folded Spill
	buffer_load_dword v4, off, s[0:3], s32 offset:308 ; 4-byte Folded Reload
	s_waitcnt vmcnt(0)
	v_cndmask_b32_e64 v4, 0, v4, s4
	v_cmp_lt_i32_e64 s4, v77, v38
	buffer_store_dword v4, off, s[0:3], s32 offset:308 ; 4-byte Folded Spill
	buffer_load_dword v4, off, s[0:3], s32 offset:316 ; 4-byte Folded Reload
	s_waitcnt vmcnt(0)
	v_cndmask_b32_e64 v4, 0, v4, s4
	v_cmp_lt_i32_e64 s4, v76, v38
	buffer_store_dword v4, off, s[0:3], s32 offset:316 ; 4-byte Folded Spill
	buffer_load_dword v4, off, s[0:3], s32 offset:304 ; 4-byte Folded Reload
	s_waitcnt vmcnt(0)
	v_cndmask_b32_e64 v4, 0, v4, s4
	v_cmp_lt_i32_e64 s4, v75, v38
	buffer_store_dword v4, off, s[0:3], s32 offset:304 ; 4-byte Folded Spill
	buffer_load_dword v4, off, s[0:3], s32 offset:312 ; 4-byte Folded Reload
	s_waitcnt vmcnt(0)
	v_cndmask_b32_e64 v4, 0, v4, s4
	buffer_store_dword v4, off, s[0:3], s32 offset:312 ; 4-byte Folded Spill
.LBB378_1197:                           ;   in Loop: Header=BB378_998 Depth=1
	s_or_b32 exec_lo, exec_lo, s16
	flat_load_dwordx2 v[20:21], v[18:19] offset:768
	v_mov_b32_e32 v5, 0
	v_mov_b32_e32 v4, 0
	s_waitcnt vmcnt(0) lgkmcnt(0)
	v_cmp_ne_u16_sdwa s4, v20, v11 src0_sel:BYTE_0 src1_sel:DWORD
	s_and_saveexec_b32 s16, s4
	s_cbranch_execz .LBB378_1205
; %bb.1198:                             ;   in Loop: Header=BB378_998 Depth=1
	v_cmp_ne_u16_sdwa s4, v20, v81 src0_sel:BYTE_0 src1_sel:DWORD
	v_bfrev_b32_e32 v4, 1
	s_and_saveexec_b32 s17, s4
	s_cbranch_execz .LBB378_1204
; %bb.1199:                             ;   in Loop: Header=BB378_998 Depth=1
	v_and_b32_e32 v10, 0x7f, v20
	v_mov_b32_e32 v4, 0x7f800001
	s_mov_b32 s18, exec_lo
	v_cmpx_ne_u32_e32 0x7f, v10
	s_cbranch_execz .LBB378_1203
; %bb.1200:                             ;   in Loop: Header=BB378_998 Depth=1
	v_mov_b32_e32 v24, v21
	v_lshrrev_b32_e32 v4, 3, v10
	v_mov_b32_e32 v23, v20
	s_mov_b32 s20, exec_lo
	v_cmpx_gt_u32_e32 8, v10
; %bb.1201:                             ;   in Loop: Header=BB378_998 Depth=1
	v_and_b32_e32 v4, 7, v20
	v_ffbh_u32_e32 v4, v4
	v_min_u32_e32 v4, 32, v4
	v_subrev_nc_u32_e32 v10, 28, v4
	v_sub_nc_u32_e32 v4, 29, v4
	v_lshlrev_b64 v[23:24], v10, v[20:21]
; %bb.1202:                             ;   in Loop: Header=BB378_998 Depth=1
	s_or_b32 exec_lo, exec_lo, s20
	v_lshlrev_b32_e32 v10, 20, v23
	v_lshlrev_b32_e32 v12, 24, v20
	v_lshl_add_u32 v4, v4, 23, 0x3c000000
	v_and_b32_e32 v10, 0x700000, v10
	v_and_b32_e32 v12, 0x80000000, v12
	v_or3_b32 v4, v10, v12, v4
.LBB378_1203:                           ;   in Loop: Header=BB378_998 Depth=1
	s_or_b32 exec_lo, exec_lo, s18
.LBB378_1204:                           ;   in Loop: Header=BB378_998 Depth=1
	s_or_b32 exec_lo, exec_lo, s17
.LBB378_1205:                           ;   in Loop: Header=BB378_998 Depth=1
	s_or_b32 exec_lo, exec_lo, s16
	v_cmp_ne_u16_sdwa s4, v20, v11 src0_sel:BYTE_1 src1_sel:DWORD
	s_and_saveexec_b32 s16, s4
	s_cbranch_execz .LBB378_1213
; %bb.1206:                             ;   in Loop: Header=BB378_998 Depth=1
	v_cmp_ne_u16_sdwa s4, v20, v81 src0_sel:BYTE_1 src1_sel:DWORD
	v_bfrev_b32_e32 v5, 1
	s_and_saveexec_b32 s17, s4
	s_cbranch_execz .LBB378_1212
; %bb.1207:                             ;   in Loop: Header=BB378_998 Depth=1
	v_mov_b32_e32 v5, 0xffff
	s_mov_b32 s18, exec_lo
	v_and_b32_sdwa v10, v5, v20 dst_sel:DWORD dst_unused:UNUSED_PAD src0_sel:DWORD src1_sel:BYTE_1
	v_mov_b32_e32 v5, 0x7f800001
	v_and_b32_e32 v12, 0x7f, v10
	v_cmpx_ne_u32_e32 0x7f, v12
	s_cbranch_execz .LBB378_1211
; %bb.1208:                             ;   in Loop: Header=BB378_998 Depth=1
	v_and_b32_e32 v10, 7, v10
	v_mov_b32_e32 v24, v11
	v_lshrrev_b32_e32 v5, 3, v12
	s_mov_b32 s20, exec_lo
	v_mov_b32_e32 v23, v10
	v_cmpx_gt_u32_e32 8, v12
; %bb.1209:                             ;   in Loop: Header=BB378_998 Depth=1
	v_ffbh_u32_e32 v5, v10
	v_min_u32_e32 v5, 32, v5
	v_subrev_nc_u32_e32 v12, 28, v5
	v_sub_nc_u32_e32 v5, 29, v5
	v_lshlrev_b64 v[12:13], v12, v[10:11]
	v_and_b32_e32 v23, 7, v12
; %bb.1210:                             ;   in Loop: Header=BB378_998 Depth=1
	s_or_b32 exec_lo, exec_lo, s20
	v_lshlrev_b32_e32 v10, 16, v20
	v_lshlrev_b32_e32 v12, 20, v23
	v_lshl_add_u32 v5, v5, 23, 0x3c000000
	v_and_b32_e32 v10, 0x80000000, v10
	v_or3_b32 v5, v12, v10, v5
.LBB378_1211:                           ;   in Loop: Header=BB378_998 Depth=1
	s_or_b32 exec_lo, exec_lo, s18
.LBB378_1212:                           ;   in Loop: Header=BB378_998 Depth=1
	s_or_b32 exec_lo, exec_lo, s17
.LBB378_1213:                           ;   in Loop: Header=BB378_998 Depth=1
	s_or_b32 exec_lo, exec_lo, s16
	v_and_b32_sdwa v10, v20, v83 dst_sel:DWORD dst_unused:UNUSED_PAD src0_sel:WORD_1 src1_sel:DWORD
	v_mov_b32_e32 v13, 0
	v_mov_b32_e32 v12, 0
	s_mov_b32 s16, exec_lo
	v_cmpx_ne_u16_e32 0, v10
	s_cbranch_execz .LBB378_1221
; %bb.1214:                             ;   in Loop: Header=BB378_998 Depth=1
	v_bfrev_b32_e32 v12, 1
	s_mov_b32 s17, exec_lo
	v_cmpx_ne_u16_e32 0x80, v10
	s_cbranch_execz .LBB378_1220
; %bb.1215:                             ;   in Loop: Header=BB378_998 Depth=1
	v_bfe_u32 v16, v20, 16, 7
	v_mov_b32_e32 v12, 0x7f800001
	s_mov_b32 s18, exec_lo
	v_cmpx_ne_u32_e32 0x7f, v16
	s_cbranch_execz .LBB378_1219
; %bb.1216:                             ;   in Loop: Header=BB378_998 Depth=1
	v_mov_b32_e32 v10, 7
	v_lshrrev_b32_e32 v12, 3, v16
	s_mov_b32 s20, exec_lo
	v_and_b32_sdwa v10, v20, v10 dst_sel:DWORD dst_unused:UNUSED_PAD src0_sel:WORD_1 src1_sel:DWORD
	v_mov_b32_e32 v24, v11
	v_mov_b32_e32 v23, v10
	v_cmpx_gt_u32_e32 8, v16
; %bb.1217:                             ;   in Loop: Header=BB378_998 Depth=1
	v_ffbh_u32_e32 v12, v10
	v_min_u32_e32 v12, 32, v12
	v_subrev_nc_u32_e32 v16, 28, v12
	v_sub_nc_u32_e32 v12, 29, v12
	v_lshlrev_b64 v[22:23], v16, v[10:11]
	v_and_b32_e32 v23, 7, v22
; %bb.1218:                             ;   in Loop: Header=BB378_998 Depth=1
	s_or_b32 exec_lo, exec_lo, s20
	v_mov_b32_e32 v10, 24
	v_lshlrev_b32_e32 v16, 20, v23
	v_lshl_add_u32 v12, v12, 23, 0x3c000000
	v_lshlrev_b32_sdwa v10, v10, v20 dst_sel:DWORD dst_unused:UNUSED_PAD src0_sel:DWORD src1_sel:WORD_1
	v_and_b32_e32 v10, 0x80000000, v10
	v_or3_b32 v12, v16, v10, v12
.LBB378_1219:                           ;   in Loop: Header=BB378_998 Depth=1
	s_or_b32 exec_lo, exec_lo, s18
.LBB378_1220:                           ;   in Loop: Header=BB378_998 Depth=1
	s_or_b32 exec_lo, exec_lo, s17
.LBB378_1221:                           ;   in Loop: Header=BB378_998 Depth=1
	s_or_b32 exec_lo, exec_lo, s16
	s_mov_b32 s16, exec_lo
	v_cmpx_lt_u32_e32 0xffffff, v20
	s_cbranch_execz .LBB378_1229
; %bb.1222:                             ;   in Loop: Header=BB378_998 Depth=1
	v_cmp_ne_u32_sdwa s4, v20, v81 src0_sel:BYTE_3 src1_sel:DWORD
	v_bfrev_b32_e32 v13, 1
	s_and_saveexec_b32 s17, s4
	s_cbranch_execz .LBB378_1228
; %bb.1223:                             ;   in Loop: Header=BB378_998 Depth=1
	v_bfe_u32 v16, v20, 24, 7
	v_mov_b32_e32 v13, 0x7f800001
	s_mov_b32 s18, exec_lo
	v_cmpx_ne_u32_e32 0x7f, v16
	s_cbranch_execz .LBB378_1227
; %bb.1224:                             ;   in Loop: Header=BB378_998 Depth=1
	v_mov_b32_e32 v10, 7
	v_lshrrev_b32_e32 v13, 3, v16
	s_mov_b32 s20, exec_lo
	v_and_b32_sdwa v10, v20, v10 dst_sel:DWORD dst_unused:UNUSED_PAD src0_sel:BYTE_3 src1_sel:DWORD
	v_mov_b32_e32 v24, v11
	v_mov_b32_e32 v23, v10
	v_cmpx_gt_u32_e32 8, v16
; %bb.1225:                             ;   in Loop: Header=BB378_998 Depth=1
	v_ffbh_u32_e32 v13, v10
	v_min_u32_e32 v13, 32, v13
	v_subrev_nc_u32_e32 v16, 28, v13
	v_sub_nc_u32_e32 v13, 29, v13
	v_lshlrev_b64 v[22:23], v16, v[10:11]
	v_and_b32_e32 v23, 7, v22
; %bb.1226:                             ;   in Loop: Header=BB378_998 Depth=1
	s_or_b32 exec_lo, exec_lo, s20
	v_mov_b32_e32 v10, 24
	v_lshlrev_b32_e32 v16, 20, v23
	v_lshl_add_u32 v13, v13, 23, 0x3c000000
	v_lshlrev_b32_sdwa v10, v10, v20 dst_sel:DWORD dst_unused:UNUSED_PAD src0_sel:DWORD src1_sel:BYTE_3
	v_and_b32_e32 v10, 0x80000000, v10
	v_or3_b32 v13, v16, v10, v13
.LBB378_1227:                           ;   in Loop: Header=BB378_998 Depth=1
	s_or_b32 exec_lo, exec_lo, s18
.LBB378_1228:                           ;   in Loop: Header=BB378_998 Depth=1
	s_or_b32 exec_lo, exec_lo, s17
.LBB378_1229:                           ;   in Loop: Header=BB378_998 Depth=1
	s_or_b32 exec_lo, exec_lo, s16
	v_mov_b32_e32 v10, v21
	v_cmp_ne_u16_sdwa s4, v21, v11 src0_sel:BYTE_0 src1_sel:DWORD
	v_mov_b32_e32 v22, 0
	v_mov_b32_e32 v16, 0
	s_and_saveexec_b32 s16, s4
	s_cbranch_execz .LBB378_1237
; %bb.1230:                             ;   in Loop: Header=BB378_998 Depth=1
	v_cmp_ne_u16_sdwa s4, v21, v81 src0_sel:BYTE_0 src1_sel:DWORD
	v_bfrev_b32_e32 v16, 1
	s_and_saveexec_b32 s17, s4
	s_cbranch_execz .LBB378_1236
; %bb.1231:                             ;   in Loop: Header=BB378_998 Depth=1
	v_and_b32_e32 v23, 0x7f, v21
	v_mov_b32_e32 v16, 0x7f800001
	s_mov_b32 s18, exec_lo
	v_cmpx_ne_u32_e32 0x7f, v23
	s_cbranch_execz .LBB378_1235
; %bb.1232:                             ;   in Loop: Header=BB378_998 Depth=1
	v_lshrrev_b32_e32 v16, 3, v23
	v_cmp_gt_u32_e64 s4, 8, v23
	v_mov_b32_e32 v24, v11
	v_mov_b32_e32 v23, v10
	s_and_saveexec_b32 s20, s4
; %bb.1233:                             ;   in Loop: Header=BB378_998 Depth=1
	v_and_b32_e32 v16, 7, v21
	v_ffbh_u32_e32 v16, v16
	v_min_u32_e32 v16, 32, v16
	v_subrev_nc_u32_e32 v17, 28, v16
	v_sub_nc_u32_e32 v16, 29, v16
	v_lshlrev_b64 v[23:24], v17, v[10:11]
; %bb.1234:                             ;   in Loop: Header=BB378_998 Depth=1
	s_or_b32 exec_lo, exec_lo, s20
	v_lshlrev_b32_e32 v17, 20, v23
	v_lshlrev_b32_e32 v23, 24, v10
	v_lshl_add_u32 v16, v16, 23, 0x3c000000
	v_and_b32_e32 v17, 0x700000, v17
	v_and_b32_e32 v23, 0x80000000, v23
	v_or3_b32 v16, v17, v23, v16
.LBB378_1235:                           ;   in Loop: Header=BB378_998 Depth=1
	s_or_b32 exec_lo, exec_lo, s18
.LBB378_1236:                           ;   in Loop: Header=BB378_998 Depth=1
	s_or_b32 exec_lo, exec_lo, s17
.LBB378_1237:                           ;   in Loop: Header=BB378_998 Depth=1
	s_or_b32 exec_lo, exec_lo, s16
	v_cmp_ne_u16_sdwa s4, v10, v11 src0_sel:BYTE_1 src1_sel:DWORD
	s_and_saveexec_b32 s16, s4
	s_cbranch_execz .LBB378_1245
; %bb.1238:                             ;   in Loop: Header=BB378_998 Depth=1
	v_cmp_ne_u16_sdwa s4, v10, v81 src0_sel:BYTE_1 src1_sel:DWORD
	v_bfrev_b32_e32 v22, 1
	s_and_saveexec_b32 s17, s4
	s_cbranch_execz .LBB378_1244
; %bb.1239:                             ;   in Loop: Header=BB378_998 Depth=1
	v_mov_b32_e32 v17, 0xffff
	v_mov_b32_e32 v22, 0x7f800001
	s_mov_b32 s18, exec_lo
	v_and_b32_sdwa v23, v17, v10 dst_sel:DWORD dst_unused:UNUSED_PAD src0_sel:DWORD src1_sel:BYTE_1
	v_and_b32_e32 v25, 0x7f, v23
	v_cmpx_ne_u32_e32 0x7f, v25
	s_cbranch_execz .LBB378_1243
; %bb.1240:                             ;   in Loop: Header=BB378_998 Depth=1
	v_and_b32_e32 v23, 7, v23
	v_mov_b32_e32 v24, v11
	v_lshrrev_b32_e32 v22, 3, v25
	s_mov_b32 s20, exec_lo
	v_cmpx_gt_u32_e32 8, v25
; %bb.1241:                             ;   in Loop: Header=BB378_998 Depth=1
	v_ffbh_u32_e32 v17, v23
	v_min_u32_e32 v17, 32, v17
	v_subrev_nc_u32_e32 v22, 28, v17
	v_lshlrev_b64 v[23:24], v22, v[23:24]
	v_sub_nc_u32_e32 v22, 29, v17
	v_and_b32_e32 v23, 7, v23
; %bb.1242:                             ;   in Loop: Header=BB378_998 Depth=1
	s_or_b32 exec_lo, exec_lo, s20
	v_lshlrev_b32_e32 v10, 16, v10
	v_lshlrev_b32_e32 v17, 20, v23
	v_lshl_add_u32 v22, v22, 23, 0x3c000000
	v_and_b32_e32 v10, 0x80000000, v10
	v_or3_b32 v22, v17, v10, v22
.LBB378_1243:                           ;   in Loop: Header=BB378_998 Depth=1
	s_or_b32 exec_lo, exec_lo, s18
.LBB378_1244:                           ;   in Loop: Header=BB378_998 Depth=1
	s_or_b32 exec_lo, exec_lo, s17
.LBB378_1245:                           ;   in Loop: Header=BB378_998 Depth=1
	s_or_b32 exec_lo, exec_lo, s16
	v_and_b32_sdwa v10, v21, v83 dst_sel:DWORD dst_unused:UNUSED_PAD src0_sel:WORD_1 src1_sel:DWORD
	v_mov_b32_e32 v25, 0
	v_mov_b32_e32 v26, 0
	s_mov_b32 s16, exec_lo
	v_cmpx_ne_u16_e32 0, v10
	s_cbranch_execz .LBB378_1253
; %bb.1246:                             ;   in Loop: Header=BB378_998 Depth=1
	v_bfrev_b32_e32 v26, 1
	s_mov_b32 s17, exec_lo
	v_cmpx_ne_u16_e32 0x80, v10
	s_cbranch_execz .LBB378_1252
; %bb.1247:                             ;   in Loop: Header=BB378_998 Depth=1
	v_bfe_u32 v23, v21, 16, 7
	v_mov_b32_e32 v26, 0x7f800001
	s_mov_b32 s18, exec_lo
	v_cmpx_ne_u32_e32 0x7f, v23
	s_cbranch_execz .LBB378_1251
; %bb.1248:                             ;   in Loop: Header=BB378_998 Depth=1
	v_mov_b32_e32 v10, 7
	v_lshrrev_b32_e32 v26, 3, v23
	v_cmp_gt_u32_e64 s4, 8, v23
	v_and_b32_sdwa v10, v21, v10 dst_sel:DWORD dst_unused:UNUSED_PAD src0_sel:WORD_1 src1_sel:DWORD
	v_mov_b32_e32 v24, v11
	v_mov_b32_e32 v23, v10
	s_and_saveexec_b32 s20, s4
; %bb.1249:                             ;   in Loop: Header=BB378_998 Depth=1
	v_ffbh_u32_e32 v17, v10
	v_min_u32_e32 v17, 32, v17
	v_subrev_nc_u32_e32 v23, 28, v17
	v_sub_nc_u32_e32 v26, 29, v17
	v_lshlrev_b64 v[23:24], v23, v[10:11]
	v_and_b32_e32 v23, 7, v23
; %bb.1250:                             ;   in Loop: Header=BB378_998 Depth=1
	s_or_b32 exec_lo, exec_lo, s20
	v_mov_b32_e32 v10, 24
	v_lshlrev_b32_e32 v17, 20, v23
	v_lshl_add_u32 v23, v26, 23, 0x3c000000
	v_lshlrev_b32_sdwa v10, v10, v21 dst_sel:DWORD dst_unused:UNUSED_PAD src0_sel:DWORD src1_sel:WORD_1
	v_and_b32_e32 v10, 0x80000000, v10
	v_or3_b32 v26, v17, v10, v23
.LBB378_1251:                           ;   in Loop: Header=BB378_998 Depth=1
	s_or_b32 exec_lo, exec_lo, s18
.LBB378_1252:                           ;   in Loop: Header=BB378_998 Depth=1
	s_or_b32 exec_lo, exec_lo, s17
.LBB378_1253:                           ;   in Loop: Header=BB378_998 Depth=1
	s_or_b32 exec_lo, exec_lo, s16
	s_mov_b32 s16, exec_lo
	v_cmpx_lt_u64_e64 s[12:13], v[20:21]
	s_cbranch_execz .LBB378_1261
; %bb.1254:                             ;   in Loop: Header=BB378_998 Depth=1
	v_cmp_ne_u32_sdwa s4, v21, v81 src0_sel:BYTE_3 src1_sel:DWORD
	v_bfrev_b32_e32 v25, 1
	s_and_saveexec_b32 s17, s4
	s_cbranch_execz .LBB378_1260
; %bb.1255:                             ;   in Loop: Header=BB378_998 Depth=1
	v_bfe_u32 v23, v21, 24, 7
	v_mov_b32_e32 v25, 0x7f800001
	s_mov_b32 s18, exec_lo
	v_cmpx_ne_u32_e32 0x7f, v23
	s_cbranch_execz .LBB378_1259
; %bb.1256:                             ;   in Loop: Header=BB378_998 Depth=1
	v_mov_b32_e32 v10, 7
	v_lshrrev_b32_e32 v20, 3, v23
	v_cmp_gt_u32_e64 s4, 8, v23
	v_and_b32_sdwa v10, v21, v10 dst_sel:DWORD dst_unused:UNUSED_PAD src0_sel:BYTE_3 src1_sel:DWORD
	v_mov_b32_e32 v24, v11
	v_mov_b32_e32 v23, v10
	s_and_saveexec_b32 s20, s4
; %bb.1257:                             ;   in Loop: Header=BB378_998 Depth=1
	v_ffbh_u32_e32 v17, v10
	v_min_u32_e32 v17, 32, v17
	v_subrev_nc_u32_e32 v20, 28, v17
	v_lshlrev_b64 v[23:24], v20, v[10:11]
	v_sub_nc_u32_e32 v20, 29, v17
	v_and_b32_e32 v23, 7, v23
; %bb.1258:                             ;   in Loop: Header=BB378_998 Depth=1
	s_or_b32 exec_lo, exec_lo, s20
	v_mov_b32_e32 v10, 24
	v_lshlrev_b32_e32 v17, 20, v23
	v_lshl_add_u32 v20, v20, 23, 0x3c000000
	v_lshlrev_b32_sdwa v10, v10, v21 dst_sel:DWORD dst_unused:UNUSED_PAD src0_sel:DWORD src1_sel:BYTE_3
	v_and_b32_e32 v10, 0x80000000, v10
	v_or3_b32 v25, v17, v10, v20
.LBB378_1259:                           ;   in Loop: Header=BB378_998 Depth=1
	s_or_b32 exec_lo, exec_lo, s18
.LBB378_1260:                           ;   in Loop: Header=BB378_998 Depth=1
	s_or_b32 exec_lo, exec_lo, s17
.LBB378_1261:                           ;   in Loop: Header=BB378_998 Depth=1
	s_or_b32 exec_lo, exec_lo, s16
	v_mul_f32_e32 v10, v57, v22
	v_mul_f32_e32 v16, v57, v16
	;; [unrolled: 1-line block ×5, first 2 shown]
	v_bfe_u32 v17, v10, 16, 1
	v_or_b32_e32 v20, 0x400000, v10
	v_bfe_u32 v21, v16, 16, 1
	v_cmp_u_f32_e64 s4, v10, v10
	v_or_b32_e32 v22, 0x400000, v16
	v_add3_u32 v17, v17, v10, 0x7fff
	v_bfe_u32 v23, v13, 16, 1
	v_add3_u32 v21, v21, v16, 0x7fff
	v_or_b32_e32 v24, 0x400000, v13
	v_bfe_u32 v27, v12, 16, 1
	v_cndmask_b32_e64 v10, v17, v20, s4
	v_cmp_u_f32_e64 s4, v16, v16
	v_add3_u32 v23, v23, v13, 0x7fff
	v_or_b32_e32 v17, 0x400000, v12
	v_mul_f32_e32 v4, v57, v4
	v_lshrrev_b32_e32 v61, 16, v10
	v_cndmask_b32_e64 v16, v21, v22, s4
	v_cmp_u_f32_e64 s4, v13, v13
	v_add3_u32 v10, v27, v12, 0x7fff
	v_bfe_u32 v20, v4, 16, 1
	v_lshrrev_b32_e32 v16, 16, v16
	v_cndmask_b32_e64 v13, v23, v24, s4
	v_cmp_u_f32_e64 s4, v12, v12
	v_mul_f32_e32 v12, v57, v26
	buffer_store_dword v16, off, s[0:3], s32 offset:340 ; 4-byte Folded Spill
	v_lshrrev_b32_e32 v62, 16, v13
	v_bfe_u32 v13, v5, 16, 1
	v_cndmask_b32_e64 v10, v10, v17, s4
	v_or_b32_e32 v16, 0x400000, v5
	v_cmp_u_f32_e64 s4, v5, v5
	v_mul_f32_e32 v17, v57, v25
	v_add3_u32 v13, v13, v5, 0x7fff
	v_bfe_u32 v21, v12, 16, 1
	v_or_b32_e32 v22, 0x400000, v12
	v_lshrrev_b32_e32 v63, 16, v10
	v_or_b32_e32 v23, 0x400000, v17
	v_cndmask_b32_e64 v5, v13, v16, s4
	v_add3_u32 v16, v20, v4, 0x7fff
	v_or_b32_e32 v20, 0x400000, v4
	v_cmp_u_f32_e64 s4, v4, v4
	v_bfe_u32 v13, v17, 16, 1
	v_add3_u32 v21, v21, v12, 0x7fff
	v_lshrrev_b32_e32 v73, 16, v5
	v_cndmask_b32_e64 v4, v16, v20, s4
	v_cmp_u_f32_e64 s4, v12, v12
	v_add3_u32 v13, v13, v17, 0x7fff
	v_lshrrev_b32_e32 v72, 16, v4
	v_cndmask_b32_e64 v12, v21, v22, s4
	v_cmp_u_f32_e64 s4, v17, v17
	v_lshrrev_b32_e32 v4, 16, v12
	v_cndmask_b32_e64 v13, v13, v23, s4
	buffer_store_dword v4, off, s[0:3], s32 offset:336 ; 4-byte Folded Spill
	v_lshrrev_b32_e32 v4, 16, v13
	buffer_store_dword v4, off, s[0:3], s32 offset:344 ; 4-byte Folded Spill
	s_and_saveexec_b32 s16, vcc_lo
	s_cbranch_execz .LBB378_1263
; %bb.1262:                             ;   in Loop: Header=BB378_998 Depth=1
	buffer_load_dword v4, off, s[0:3], s32 offset:340 ; 4-byte Folded Reload
	v_cmp_lt_i32_e64 s4, v74, v38
	v_cndmask_b32_e64 v72, 0, v72, s4
	v_cmp_lt_i32_e64 s4, v89, v38
	v_cndmask_b32_e64 v73, 0, v73, s4
	;; [unrolled: 2-line block ×4, first 2 shown]
	v_cmp_lt_i32_e64 s4, v78, v38
	s_waitcnt vmcnt(0)
	v_cndmask_b32_e64 v4, 0, v4, s4
	v_cmp_lt_i32_e64 s4, v77, v38
	buffer_store_dword v4, off, s[0:3], s32 offset:340 ; 4-byte Folded Spill
	buffer_load_dword v4, off, s[0:3], s32 offset:336 ; 4-byte Folded Reload
	v_cndmask_b32_e64 v61, 0, v61, s4
	v_cmp_lt_i32_e64 s4, v76, v38
	s_waitcnt vmcnt(0)
	v_cndmask_b32_e64 v4, 0, v4, s4
	v_cmp_lt_i32_e64 s4, v75, v38
	buffer_store_dword v4, off, s[0:3], s32 offset:336 ; 4-byte Folded Spill
	buffer_load_dword v4, off, s[0:3], s32 offset:344 ; 4-byte Folded Reload
	s_waitcnt vmcnt(0)
	v_cndmask_b32_e64 v4, 0, v4, s4
	buffer_store_dword v4, off, s[0:3], s32 offset:344 ; 4-byte Folded Spill
.LBB378_1263:                           ;   in Loop: Header=BB378_998 Depth=1
	s_or_b32 exec_lo, exec_lo, s16
	flat_load_dwordx2 v[20:21], v[18:19] offset:1024
	v_mov_b32_e32 v5, 0
	v_mov_b32_e32 v4, 0
	s_waitcnt vmcnt(0) lgkmcnt(0)
	v_cmp_ne_u16_sdwa s4, v20, v11 src0_sel:BYTE_0 src1_sel:DWORD
	s_and_saveexec_b32 s16, s4
	s_cbranch_execz .LBB378_1271
; %bb.1264:                             ;   in Loop: Header=BB378_998 Depth=1
	v_cmp_ne_u16_sdwa s4, v20, v81 src0_sel:BYTE_0 src1_sel:DWORD
	v_bfrev_b32_e32 v4, 1
	s_and_saveexec_b32 s17, s4
	s_cbranch_execz .LBB378_1270
; %bb.1265:                             ;   in Loop: Header=BB378_998 Depth=1
	v_and_b32_e32 v10, 0x7f, v20
	v_mov_b32_e32 v4, 0x7f800001
	s_mov_b32 s18, exec_lo
	v_cmpx_ne_u32_e32 0x7f, v10
	s_cbranch_execz .LBB378_1269
; %bb.1266:                             ;   in Loop: Header=BB378_998 Depth=1
	v_mov_b32_e32 v24, v21
	v_lshrrev_b32_e32 v4, 3, v10
	v_mov_b32_e32 v23, v20
	s_mov_b32 s20, exec_lo
	v_cmpx_gt_u32_e32 8, v10
; %bb.1267:                             ;   in Loop: Header=BB378_998 Depth=1
	v_and_b32_e32 v4, 7, v20
	v_ffbh_u32_e32 v4, v4
	v_min_u32_e32 v4, 32, v4
	v_subrev_nc_u32_e32 v10, 28, v4
	v_sub_nc_u32_e32 v4, 29, v4
	v_lshlrev_b64 v[23:24], v10, v[20:21]
; %bb.1268:                             ;   in Loop: Header=BB378_998 Depth=1
	s_or_b32 exec_lo, exec_lo, s20
	v_lshlrev_b32_e32 v10, 20, v23
	v_lshlrev_b32_e32 v12, 24, v20
	v_lshl_add_u32 v4, v4, 23, 0x3c000000
	v_and_b32_e32 v10, 0x700000, v10
	v_and_b32_e32 v12, 0x80000000, v12
	v_or3_b32 v4, v10, v12, v4
.LBB378_1269:                           ;   in Loop: Header=BB378_998 Depth=1
	s_or_b32 exec_lo, exec_lo, s18
.LBB378_1270:                           ;   in Loop: Header=BB378_998 Depth=1
	s_or_b32 exec_lo, exec_lo, s17
.LBB378_1271:                           ;   in Loop: Header=BB378_998 Depth=1
	s_or_b32 exec_lo, exec_lo, s16
	v_cmp_ne_u16_sdwa s4, v20, v11 src0_sel:BYTE_1 src1_sel:DWORD
	s_and_saveexec_b32 s16, s4
	s_cbranch_execz .LBB378_1279
; %bb.1272:                             ;   in Loop: Header=BB378_998 Depth=1
	v_cmp_ne_u16_sdwa s4, v20, v81 src0_sel:BYTE_1 src1_sel:DWORD
	v_bfrev_b32_e32 v5, 1
	s_and_saveexec_b32 s17, s4
	s_cbranch_execz .LBB378_1278
; %bb.1273:                             ;   in Loop: Header=BB378_998 Depth=1
	v_mov_b32_e32 v5, 0xffff
	s_mov_b32 s18, exec_lo
	v_and_b32_sdwa v10, v5, v20 dst_sel:DWORD dst_unused:UNUSED_PAD src0_sel:DWORD src1_sel:BYTE_1
	v_mov_b32_e32 v5, 0x7f800001
	v_and_b32_e32 v12, 0x7f, v10
	v_cmpx_ne_u32_e32 0x7f, v12
	s_cbranch_execz .LBB378_1277
; %bb.1274:                             ;   in Loop: Header=BB378_998 Depth=1
	v_and_b32_e32 v10, 7, v10
	v_mov_b32_e32 v24, v11
	v_lshrrev_b32_e32 v5, 3, v12
	s_mov_b32 s20, exec_lo
	v_mov_b32_e32 v23, v10
	v_cmpx_gt_u32_e32 8, v12
; %bb.1275:                             ;   in Loop: Header=BB378_998 Depth=1
	v_ffbh_u32_e32 v5, v10
	v_min_u32_e32 v5, 32, v5
	v_subrev_nc_u32_e32 v12, 28, v5
	v_sub_nc_u32_e32 v5, 29, v5
	v_lshlrev_b64 v[12:13], v12, v[10:11]
	v_and_b32_e32 v23, 7, v12
; %bb.1276:                             ;   in Loop: Header=BB378_998 Depth=1
	s_or_b32 exec_lo, exec_lo, s20
	v_lshlrev_b32_e32 v10, 16, v20
	v_lshlrev_b32_e32 v12, 20, v23
	v_lshl_add_u32 v5, v5, 23, 0x3c000000
	v_and_b32_e32 v10, 0x80000000, v10
	v_or3_b32 v5, v12, v10, v5
.LBB378_1277:                           ;   in Loop: Header=BB378_998 Depth=1
	s_or_b32 exec_lo, exec_lo, s18
.LBB378_1278:                           ;   in Loop: Header=BB378_998 Depth=1
	s_or_b32 exec_lo, exec_lo, s17
.LBB378_1279:                           ;   in Loop: Header=BB378_998 Depth=1
	s_or_b32 exec_lo, exec_lo, s16
	v_and_b32_sdwa v10, v20, v83 dst_sel:DWORD dst_unused:UNUSED_PAD src0_sel:WORD_1 src1_sel:DWORD
	v_mov_b32_e32 v13, 0
	v_mov_b32_e32 v12, 0
	s_mov_b32 s16, exec_lo
	v_cmpx_ne_u16_e32 0, v10
	s_cbranch_execz .LBB378_1287
; %bb.1280:                             ;   in Loop: Header=BB378_998 Depth=1
	v_bfrev_b32_e32 v12, 1
	s_mov_b32 s17, exec_lo
	v_cmpx_ne_u16_e32 0x80, v10
	s_cbranch_execz .LBB378_1286
; %bb.1281:                             ;   in Loop: Header=BB378_998 Depth=1
	v_bfe_u32 v16, v20, 16, 7
	v_mov_b32_e32 v12, 0x7f800001
	s_mov_b32 s18, exec_lo
	v_cmpx_ne_u32_e32 0x7f, v16
	s_cbranch_execz .LBB378_1285
; %bb.1282:                             ;   in Loop: Header=BB378_998 Depth=1
	v_mov_b32_e32 v10, 7
	v_lshrrev_b32_e32 v12, 3, v16
	s_mov_b32 s20, exec_lo
	v_and_b32_sdwa v10, v20, v10 dst_sel:DWORD dst_unused:UNUSED_PAD src0_sel:WORD_1 src1_sel:DWORD
	v_mov_b32_e32 v24, v11
	v_mov_b32_e32 v23, v10
	v_cmpx_gt_u32_e32 8, v16
; %bb.1283:                             ;   in Loop: Header=BB378_998 Depth=1
	v_ffbh_u32_e32 v12, v10
	v_min_u32_e32 v12, 32, v12
	v_subrev_nc_u32_e32 v16, 28, v12
	v_sub_nc_u32_e32 v12, 29, v12
	v_lshlrev_b64 v[22:23], v16, v[10:11]
	v_and_b32_e32 v23, 7, v22
; %bb.1284:                             ;   in Loop: Header=BB378_998 Depth=1
	s_or_b32 exec_lo, exec_lo, s20
	v_mov_b32_e32 v10, 24
	v_lshlrev_b32_e32 v16, 20, v23
	v_lshl_add_u32 v12, v12, 23, 0x3c000000
	v_lshlrev_b32_sdwa v10, v10, v20 dst_sel:DWORD dst_unused:UNUSED_PAD src0_sel:DWORD src1_sel:WORD_1
	v_and_b32_e32 v10, 0x80000000, v10
	v_or3_b32 v12, v16, v10, v12
.LBB378_1285:                           ;   in Loop: Header=BB378_998 Depth=1
	s_or_b32 exec_lo, exec_lo, s18
.LBB378_1286:                           ;   in Loop: Header=BB378_998 Depth=1
	s_or_b32 exec_lo, exec_lo, s17
.LBB378_1287:                           ;   in Loop: Header=BB378_998 Depth=1
	s_or_b32 exec_lo, exec_lo, s16
	s_mov_b32 s16, exec_lo
	v_cmpx_lt_u32_e32 0xffffff, v20
	s_cbranch_execz .LBB378_1295
; %bb.1288:                             ;   in Loop: Header=BB378_998 Depth=1
	v_cmp_ne_u32_sdwa s4, v20, v81 src0_sel:BYTE_3 src1_sel:DWORD
	v_bfrev_b32_e32 v13, 1
	s_and_saveexec_b32 s17, s4
	s_cbranch_execz .LBB378_1294
; %bb.1289:                             ;   in Loop: Header=BB378_998 Depth=1
	v_bfe_u32 v16, v20, 24, 7
	v_mov_b32_e32 v13, 0x7f800001
	s_mov_b32 s18, exec_lo
	v_cmpx_ne_u32_e32 0x7f, v16
	s_cbranch_execz .LBB378_1293
; %bb.1290:                             ;   in Loop: Header=BB378_998 Depth=1
	v_mov_b32_e32 v10, 7
	v_lshrrev_b32_e32 v13, 3, v16
	s_mov_b32 s20, exec_lo
	v_and_b32_sdwa v10, v20, v10 dst_sel:DWORD dst_unused:UNUSED_PAD src0_sel:BYTE_3 src1_sel:DWORD
	v_mov_b32_e32 v24, v11
	v_mov_b32_e32 v23, v10
	v_cmpx_gt_u32_e32 8, v16
; %bb.1291:                             ;   in Loop: Header=BB378_998 Depth=1
	v_ffbh_u32_e32 v13, v10
	v_min_u32_e32 v13, 32, v13
	v_subrev_nc_u32_e32 v16, 28, v13
	v_sub_nc_u32_e32 v13, 29, v13
	v_lshlrev_b64 v[22:23], v16, v[10:11]
	v_and_b32_e32 v23, 7, v22
; %bb.1292:                             ;   in Loop: Header=BB378_998 Depth=1
	s_or_b32 exec_lo, exec_lo, s20
	v_mov_b32_e32 v10, 24
	v_lshlrev_b32_e32 v16, 20, v23
	v_lshl_add_u32 v13, v13, 23, 0x3c000000
	v_lshlrev_b32_sdwa v10, v10, v20 dst_sel:DWORD dst_unused:UNUSED_PAD src0_sel:DWORD src1_sel:BYTE_3
	v_and_b32_e32 v10, 0x80000000, v10
	v_or3_b32 v13, v16, v10, v13
.LBB378_1293:                           ;   in Loop: Header=BB378_998 Depth=1
	s_or_b32 exec_lo, exec_lo, s18
.LBB378_1294:                           ;   in Loop: Header=BB378_998 Depth=1
	s_or_b32 exec_lo, exec_lo, s17
.LBB378_1295:                           ;   in Loop: Header=BB378_998 Depth=1
	s_or_b32 exec_lo, exec_lo, s16
	v_mov_b32_e32 v10, v21
	v_cmp_ne_u16_sdwa s4, v21, v11 src0_sel:BYTE_0 src1_sel:DWORD
	v_mov_b32_e32 v22, 0
	v_mov_b32_e32 v16, 0
	s_and_saveexec_b32 s16, s4
	s_cbranch_execz .LBB378_1303
; %bb.1296:                             ;   in Loop: Header=BB378_998 Depth=1
	v_cmp_ne_u16_sdwa s4, v21, v81 src0_sel:BYTE_0 src1_sel:DWORD
	v_bfrev_b32_e32 v16, 1
	s_and_saveexec_b32 s17, s4
	s_cbranch_execz .LBB378_1302
; %bb.1297:                             ;   in Loop: Header=BB378_998 Depth=1
	v_and_b32_e32 v23, 0x7f, v21
	v_mov_b32_e32 v16, 0x7f800001
	s_mov_b32 s18, exec_lo
	v_cmpx_ne_u32_e32 0x7f, v23
	s_cbranch_execz .LBB378_1301
; %bb.1298:                             ;   in Loop: Header=BB378_998 Depth=1
	v_lshrrev_b32_e32 v16, 3, v23
	v_cmp_gt_u32_e64 s4, 8, v23
	v_mov_b32_e32 v24, v11
	v_mov_b32_e32 v23, v10
	s_and_saveexec_b32 s20, s4
; %bb.1299:                             ;   in Loop: Header=BB378_998 Depth=1
	v_and_b32_e32 v16, 7, v21
	v_ffbh_u32_e32 v16, v16
	v_min_u32_e32 v16, 32, v16
	v_subrev_nc_u32_e32 v17, 28, v16
	v_sub_nc_u32_e32 v16, 29, v16
	v_lshlrev_b64 v[23:24], v17, v[10:11]
; %bb.1300:                             ;   in Loop: Header=BB378_998 Depth=1
	s_or_b32 exec_lo, exec_lo, s20
	v_lshlrev_b32_e32 v17, 20, v23
	v_lshlrev_b32_e32 v23, 24, v10
	v_lshl_add_u32 v16, v16, 23, 0x3c000000
	v_and_b32_e32 v17, 0x700000, v17
	v_and_b32_e32 v23, 0x80000000, v23
	v_or3_b32 v16, v17, v23, v16
.LBB378_1301:                           ;   in Loop: Header=BB378_998 Depth=1
	s_or_b32 exec_lo, exec_lo, s18
.LBB378_1302:                           ;   in Loop: Header=BB378_998 Depth=1
	s_or_b32 exec_lo, exec_lo, s17
.LBB378_1303:                           ;   in Loop: Header=BB378_998 Depth=1
	s_or_b32 exec_lo, exec_lo, s16
	v_cmp_ne_u16_sdwa s4, v10, v11 src0_sel:BYTE_1 src1_sel:DWORD
	s_and_saveexec_b32 s16, s4
	s_cbranch_execz .LBB378_1311
; %bb.1304:                             ;   in Loop: Header=BB378_998 Depth=1
	v_cmp_ne_u16_sdwa s4, v10, v81 src0_sel:BYTE_1 src1_sel:DWORD
	v_bfrev_b32_e32 v22, 1
	s_and_saveexec_b32 s17, s4
	s_cbranch_execz .LBB378_1310
; %bb.1305:                             ;   in Loop: Header=BB378_998 Depth=1
	v_mov_b32_e32 v17, 0xffff
	v_mov_b32_e32 v22, 0x7f800001
	s_mov_b32 s18, exec_lo
	v_and_b32_sdwa v23, v17, v10 dst_sel:DWORD dst_unused:UNUSED_PAD src0_sel:DWORD src1_sel:BYTE_1
	v_and_b32_e32 v25, 0x7f, v23
	v_cmpx_ne_u32_e32 0x7f, v25
	s_cbranch_execz .LBB378_1309
; %bb.1306:                             ;   in Loop: Header=BB378_998 Depth=1
	v_and_b32_e32 v23, 7, v23
	v_mov_b32_e32 v24, v11
	v_lshrrev_b32_e32 v22, 3, v25
	s_mov_b32 s20, exec_lo
	v_cmpx_gt_u32_e32 8, v25
; %bb.1307:                             ;   in Loop: Header=BB378_998 Depth=1
	v_ffbh_u32_e32 v17, v23
	v_min_u32_e32 v17, 32, v17
	v_subrev_nc_u32_e32 v22, 28, v17
	v_lshlrev_b64 v[23:24], v22, v[23:24]
	v_sub_nc_u32_e32 v22, 29, v17
	v_and_b32_e32 v23, 7, v23
; %bb.1308:                             ;   in Loop: Header=BB378_998 Depth=1
	s_or_b32 exec_lo, exec_lo, s20
	v_lshlrev_b32_e32 v10, 16, v10
	v_lshlrev_b32_e32 v17, 20, v23
	v_lshl_add_u32 v22, v22, 23, 0x3c000000
	v_and_b32_e32 v10, 0x80000000, v10
	v_or3_b32 v22, v17, v10, v22
.LBB378_1309:                           ;   in Loop: Header=BB378_998 Depth=1
	s_or_b32 exec_lo, exec_lo, s18
.LBB378_1310:                           ;   in Loop: Header=BB378_998 Depth=1
	s_or_b32 exec_lo, exec_lo, s17
.LBB378_1311:                           ;   in Loop: Header=BB378_998 Depth=1
	s_or_b32 exec_lo, exec_lo, s16
	v_and_b32_sdwa v10, v21, v83 dst_sel:DWORD dst_unused:UNUSED_PAD src0_sel:WORD_1 src1_sel:DWORD
	v_mov_b32_e32 v25, 0
	v_mov_b32_e32 v26, 0
	s_mov_b32 s16, exec_lo
	v_cmpx_ne_u16_e32 0, v10
	s_cbranch_execz .LBB378_1319
; %bb.1312:                             ;   in Loop: Header=BB378_998 Depth=1
	v_bfrev_b32_e32 v26, 1
	s_mov_b32 s17, exec_lo
	v_cmpx_ne_u16_e32 0x80, v10
	s_cbranch_execz .LBB378_1318
; %bb.1313:                             ;   in Loop: Header=BB378_998 Depth=1
	v_bfe_u32 v23, v21, 16, 7
	v_mov_b32_e32 v26, 0x7f800001
	s_mov_b32 s18, exec_lo
	v_cmpx_ne_u32_e32 0x7f, v23
	s_cbranch_execz .LBB378_1317
; %bb.1314:                             ;   in Loop: Header=BB378_998 Depth=1
	v_mov_b32_e32 v10, 7
	v_lshrrev_b32_e32 v26, 3, v23
	v_cmp_gt_u32_e64 s4, 8, v23
	v_and_b32_sdwa v10, v21, v10 dst_sel:DWORD dst_unused:UNUSED_PAD src0_sel:WORD_1 src1_sel:DWORD
	v_mov_b32_e32 v24, v11
	v_mov_b32_e32 v23, v10
	s_and_saveexec_b32 s20, s4
; %bb.1315:                             ;   in Loop: Header=BB378_998 Depth=1
	v_ffbh_u32_e32 v17, v10
	v_min_u32_e32 v17, 32, v17
	v_subrev_nc_u32_e32 v23, 28, v17
	v_sub_nc_u32_e32 v26, 29, v17
	v_lshlrev_b64 v[23:24], v23, v[10:11]
	v_and_b32_e32 v23, 7, v23
; %bb.1316:                             ;   in Loop: Header=BB378_998 Depth=1
	s_or_b32 exec_lo, exec_lo, s20
	v_mov_b32_e32 v10, 24
	v_lshlrev_b32_e32 v17, 20, v23
	v_lshl_add_u32 v23, v26, 23, 0x3c000000
	v_lshlrev_b32_sdwa v10, v10, v21 dst_sel:DWORD dst_unused:UNUSED_PAD src0_sel:DWORD src1_sel:WORD_1
	v_and_b32_e32 v10, 0x80000000, v10
	v_or3_b32 v26, v17, v10, v23
.LBB378_1317:                           ;   in Loop: Header=BB378_998 Depth=1
	s_or_b32 exec_lo, exec_lo, s18
.LBB378_1318:                           ;   in Loop: Header=BB378_998 Depth=1
	s_or_b32 exec_lo, exec_lo, s17
.LBB378_1319:                           ;   in Loop: Header=BB378_998 Depth=1
	s_or_b32 exec_lo, exec_lo, s16
	s_mov_b32 s16, exec_lo
	v_cmpx_lt_u64_e64 s[12:13], v[20:21]
	s_cbranch_execz .LBB378_1327
; %bb.1320:                             ;   in Loop: Header=BB378_998 Depth=1
	v_cmp_ne_u32_sdwa s4, v21, v81 src0_sel:BYTE_3 src1_sel:DWORD
	v_bfrev_b32_e32 v25, 1
	s_and_saveexec_b32 s17, s4
	s_cbranch_execz .LBB378_1326
; %bb.1321:                             ;   in Loop: Header=BB378_998 Depth=1
	v_bfe_u32 v23, v21, 24, 7
	v_mov_b32_e32 v25, 0x7f800001
	s_mov_b32 s18, exec_lo
	v_cmpx_ne_u32_e32 0x7f, v23
	s_cbranch_execz .LBB378_1325
; %bb.1322:                             ;   in Loop: Header=BB378_998 Depth=1
	v_mov_b32_e32 v10, 7
	v_lshrrev_b32_e32 v20, 3, v23
	v_cmp_gt_u32_e64 s4, 8, v23
	v_and_b32_sdwa v10, v21, v10 dst_sel:DWORD dst_unused:UNUSED_PAD src0_sel:BYTE_3 src1_sel:DWORD
	v_mov_b32_e32 v24, v11
	v_mov_b32_e32 v23, v10
	s_and_saveexec_b32 s20, s4
; %bb.1323:                             ;   in Loop: Header=BB378_998 Depth=1
	v_ffbh_u32_e32 v17, v10
	v_min_u32_e32 v17, 32, v17
	v_subrev_nc_u32_e32 v20, 28, v17
	v_lshlrev_b64 v[23:24], v20, v[10:11]
	v_sub_nc_u32_e32 v20, 29, v17
	v_and_b32_e32 v23, 7, v23
; %bb.1324:                             ;   in Loop: Header=BB378_998 Depth=1
	s_or_b32 exec_lo, exec_lo, s20
	v_mov_b32_e32 v10, 24
	v_lshlrev_b32_e32 v17, 20, v23
	v_lshl_add_u32 v20, v20, 23, 0x3c000000
	v_lshlrev_b32_sdwa v10, v10, v21 dst_sel:DWORD dst_unused:UNUSED_PAD src0_sel:DWORD src1_sel:BYTE_3
	v_and_b32_e32 v10, 0x80000000, v10
	v_or3_b32 v25, v17, v10, v20
.LBB378_1325:                           ;   in Loop: Header=BB378_998 Depth=1
	s_or_b32 exec_lo, exec_lo, s18
.LBB378_1326:                           ;   in Loop: Header=BB378_998 Depth=1
	s_or_b32 exec_lo, exec_lo, s17
.LBB378_1327:                           ;   in Loop: Header=BB378_998 Depth=1
	s_or_b32 exec_lo, exec_lo, s16
	v_mul_f32_e32 v10, v57, v22
	v_mul_f32_e32 v16, v57, v16
	;; [unrolled: 1-line block ×5, first 2 shown]
	v_bfe_u32 v17, v10, 16, 1
	v_or_b32_e32 v20, 0x400000, v10
	v_bfe_u32 v21, v16, 16, 1
	v_cmp_u_f32_e64 s4, v10, v10
	v_or_b32_e32 v22, 0x400000, v16
	v_add3_u32 v17, v17, v10, 0x7fff
	v_bfe_u32 v23, v13, 16, 1
	v_add3_u32 v21, v21, v16, 0x7fff
	v_or_b32_e32 v24, 0x400000, v13
	v_bfe_u32 v27, v12, 16, 1
	v_cndmask_b32_e64 v10, v17, v20, s4
	v_cmp_u_f32_e64 s4, v16, v16
	v_add3_u32 v23, v23, v13, 0x7fff
	v_or_b32_e32 v17, 0x400000, v12
	v_mul_f32_e32 v4, v57, v4
	v_lshrrev_b32_e32 v91, 16, v10
	v_cndmask_b32_e64 v16, v21, v22, s4
	v_cmp_u_f32_e64 s4, v13, v13
	v_add3_u32 v10, v27, v12, 0x7fff
	v_bfe_u32 v20, v4, 16, 1
	v_lshrrev_b32_e32 v90, 16, v16
	v_cndmask_b32_e64 v13, v23, v24, s4
	v_cmp_u_f32_e64 s4, v12, v12
	v_mul_f32_e32 v12, v57, v26
	v_or_b32_e32 v16, 0x400000, v5
	v_lshrrev_b32_e32 v94, 16, v13
	v_bfe_u32 v13, v5, 16, 1
	v_cndmask_b32_e64 v10, v10, v17, s4
	v_cmp_u_f32_e64 s4, v5, v5
	v_mul_f32_e32 v17, v57, v25
	v_bfe_u32 v21, v12, 16, 1
	v_add3_u32 v13, v13, v5, 0x7fff
	v_or_b32_e32 v22, 0x400000, v12
	v_lshrrev_b32_e32 v95, 16, v10
	v_or_b32_e32 v23, 0x400000, v17
	v_add3_u32 v21, v21, v12, 0x7fff
	v_cndmask_b32_e64 v5, v13, v16, s4
	v_add3_u32 v16, v20, v4, 0x7fff
	v_or_b32_e32 v20, 0x400000, v4
	v_cmp_u_f32_e64 s4, v4, v4
	v_bfe_u32 v13, v17, 16, 1
	v_lshrrev_b32_e32 v105, 16, v5
	v_cndmask_b32_e64 v4, v16, v20, s4
	v_cmp_u_f32_e64 s4, v12, v12
	v_add3_u32 v13, v13, v17, 0x7fff
	v_lshrrev_b32_e32 v104, 16, v4
	v_cndmask_b32_e64 v12, v21, v22, s4
	v_cmp_u_f32_e64 s4, v17, v17
	v_lshrrev_b32_e32 v92, 16, v12
	v_cndmask_b32_e64 v13, v13, v23, s4
	v_lshrrev_b32_e32 v93, 16, v13
	s_and_saveexec_b32 s16, vcc_lo
	s_cbranch_execz .LBB378_1329
; %bb.1328:                             ;   in Loop: Header=BB378_998 Depth=1
	v_cmp_lt_i32_e64 s4, v74, v38
	v_cndmask_b32_e64 v104, 0, v104, s4
	v_cmp_lt_i32_e64 s4, v89, v38
	v_cndmask_b32_e64 v105, 0, v105, s4
	;; [unrolled: 2-line block ×8, first 2 shown]
.LBB378_1329:                           ;   in Loop: Header=BB378_998 Depth=1
	s_or_b32 exec_lo, exec_lo, s16
	flat_load_dwordx2 v[20:21], v[18:19] offset:1280
	v_mov_b32_e32 v4, 0
	v_mov_b32_e32 v12, 0
	s_waitcnt vmcnt(0) lgkmcnt(0)
	v_cmp_ne_u16_sdwa s4, v20, v11 src0_sel:BYTE_0 src1_sel:DWORD
	s_and_saveexec_b32 s16, s4
	s_cbranch_execz .LBB378_1337
; %bb.1330:                             ;   in Loop: Header=BB378_998 Depth=1
	v_cmp_ne_u16_sdwa s4, v20, v81 src0_sel:BYTE_0 src1_sel:DWORD
	v_bfrev_b32_e32 v12, 1
	s_and_saveexec_b32 s17, s4
	s_cbranch_execz .LBB378_1336
; %bb.1331:                             ;   in Loop: Header=BB378_998 Depth=1
	v_and_b32_e32 v10, 0x7f, v20
	v_mov_b32_e32 v12, 0x7f800001
	s_mov_b32 s18, exec_lo
	v_cmpx_ne_u32_e32 0x7f, v10
	s_cbranch_execz .LBB378_1335
; %bb.1332:                             ;   in Loop: Header=BB378_998 Depth=1
	v_mov_b32_e32 v24, v21
	v_lshrrev_b32_e32 v5, 3, v10
	v_mov_b32_e32 v23, v20
	s_mov_b32 s20, exec_lo
	v_cmpx_gt_u32_e32 8, v10
; %bb.1333:                             ;   in Loop: Header=BB378_998 Depth=1
	v_and_b32_e32 v5, 7, v20
	v_ffbh_u32_e32 v5, v5
	v_min_u32_e32 v5, 32, v5
	v_subrev_nc_u32_e32 v10, 28, v5
	v_sub_nc_u32_e32 v5, 29, v5
	v_lshlrev_b64 v[23:24], v10, v[20:21]
; %bb.1334:                             ;   in Loop: Header=BB378_998 Depth=1
	s_or_b32 exec_lo, exec_lo, s20
	v_lshlrev_b32_e32 v10, 20, v23
	v_lshlrev_b32_e32 v12, 24, v20
	v_lshl_add_u32 v5, v5, 23, 0x3c000000
	v_and_b32_e32 v10, 0x700000, v10
	v_and_b32_e32 v12, 0x80000000, v12
	v_or3_b32 v12, v10, v12, v5
.LBB378_1335:                           ;   in Loop: Header=BB378_998 Depth=1
	s_or_b32 exec_lo, exec_lo, s18
.LBB378_1336:                           ;   in Loop: Header=BB378_998 Depth=1
	s_or_b32 exec_lo, exec_lo, s17
.LBB378_1337:                           ;   in Loop: Header=BB378_998 Depth=1
	s_or_b32 exec_lo, exec_lo, s16
	v_cmp_ne_u16_sdwa s4, v20, v11 src0_sel:BYTE_1 src1_sel:DWORD
	s_and_saveexec_b32 s16, s4
	s_cbranch_execz .LBB378_1345
; %bb.1338:                             ;   in Loop: Header=BB378_998 Depth=1
	v_cmp_ne_u16_sdwa s4, v20, v81 src0_sel:BYTE_1 src1_sel:DWORD
	v_bfrev_b32_e32 v4, 1
	s_and_saveexec_b32 s17, s4
	s_cbranch_execz .LBB378_1344
; %bb.1339:                             ;   in Loop: Header=BB378_998 Depth=1
	v_mov_b32_e32 v4, 0xffff
	s_mov_b32 s18, exec_lo
	v_and_b32_sdwa v10, v4, v20 dst_sel:DWORD dst_unused:UNUSED_PAD src0_sel:DWORD src1_sel:BYTE_1
	v_mov_b32_e32 v4, 0x7f800001
	v_and_b32_e32 v5, 0x7f, v10
	v_cmpx_ne_u32_e32 0x7f, v5
	s_cbranch_execz .LBB378_1343
; %bb.1340:                             ;   in Loop: Header=BB378_998 Depth=1
	v_and_b32_e32 v10, 7, v10
	v_mov_b32_e32 v24, v11
	v_lshrrev_b32_e32 v4, 3, v5
	s_mov_b32 s20, exec_lo
	v_mov_b32_e32 v23, v10
	v_cmpx_gt_u32_e32 8, v5
; %bb.1341:                             ;   in Loop: Header=BB378_998 Depth=1
	v_ffbh_u32_e32 v4, v10
	v_min_u32_e32 v4, 32, v4
	v_subrev_nc_u32_e32 v5, 28, v4
	v_sub_nc_u32_e32 v4, 29, v4
	v_lshlrev_b64 v[22:23], v5, v[10:11]
	v_and_b32_e32 v23, 7, v22
; %bb.1342:                             ;   in Loop: Header=BB378_998 Depth=1
	s_or_b32 exec_lo, exec_lo, s20
	v_lshlrev_b32_e32 v5, 16, v20
	v_lshlrev_b32_e32 v10, 20, v23
	v_lshl_add_u32 v4, v4, 23, 0x3c000000
	v_and_b32_e32 v5, 0x80000000, v5
	v_or3_b32 v4, v10, v5, v4
.LBB378_1343:                           ;   in Loop: Header=BB378_998 Depth=1
	s_or_b32 exec_lo, exec_lo, s18
.LBB378_1344:                           ;   in Loop: Header=BB378_998 Depth=1
	s_or_b32 exec_lo, exec_lo, s17
.LBB378_1345:                           ;   in Loop: Header=BB378_998 Depth=1
	s_or_b32 exec_lo, exec_lo, s16
	v_and_b32_sdwa v10, v20, v83 dst_sel:DWORD dst_unused:UNUSED_PAD src0_sel:WORD_1 src1_sel:DWORD
	v_mov_b32_e32 v13, 0
	v_mov_b32_e32 v5, 0
	s_mov_b32 s16, exec_lo
	v_cmpx_ne_u16_e32 0, v10
	s_cbranch_execz .LBB378_1353
; %bb.1346:                             ;   in Loop: Header=BB378_998 Depth=1
	v_bfrev_b32_e32 v5, 1
	s_mov_b32 s17, exec_lo
	v_cmpx_ne_u16_e32 0x80, v10
	s_cbranch_execz .LBB378_1352
; %bb.1347:                             ;   in Loop: Header=BB378_998 Depth=1
	v_bfe_u32 v16, v20, 16, 7
	v_mov_b32_e32 v5, 0x7f800001
	s_mov_b32 s18, exec_lo
	v_cmpx_ne_u32_e32 0x7f, v16
	s_cbranch_execz .LBB378_1351
; %bb.1348:                             ;   in Loop: Header=BB378_998 Depth=1
	v_mov_b32_e32 v5, 7
	s_mov_b32 s20, exec_lo
	v_and_b32_sdwa v10, v20, v5 dst_sel:DWORD dst_unused:UNUSED_PAD src0_sel:WORD_1 src1_sel:DWORD
	v_mov_b32_e32 v24, v11
	v_lshrrev_b32_e32 v5, 3, v16
	v_mov_b32_e32 v23, v10
	v_cmpx_gt_u32_e32 8, v16
; %bb.1349:                             ;   in Loop: Header=BB378_998 Depth=1
	v_ffbh_u32_e32 v5, v10
	v_min_u32_e32 v5, 32, v5
	v_subrev_nc_u32_e32 v16, 28, v5
	v_sub_nc_u32_e32 v5, 29, v5
	v_lshlrev_b64 v[22:23], v16, v[10:11]
	v_and_b32_e32 v23, 7, v22
; %bb.1350:                             ;   in Loop: Header=BB378_998 Depth=1
	s_or_b32 exec_lo, exec_lo, s20
	v_mov_b32_e32 v10, 24
	v_lshlrev_b32_e32 v16, 20, v23
	v_lshl_add_u32 v5, v5, 23, 0x3c000000
	v_lshlrev_b32_sdwa v10, v10, v20 dst_sel:DWORD dst_unused:UNUSED_PAD src0_sel:DWORD src1_sel:WORD_1
	v_and_b32_e32 v10, 0x80000000, v10
	v_or3_b32 v5, v16, v10, v5
.LBB378_1351:                           ;   in Loop: Header=BB378_998 Depth=1
	s_or_b32 exec_lo, exec_lo, s18
.LBB378_1352:                           ;   in Loop: Header=BB378_998 Depth=1
	s_or_b32 exec_lo, exec_lo, s17
.LBB378_1353:                           ;   in Loop: Header=BB378_998 Depth=1
	s_or_b32 exec_lo, exec_lo, s16
	s_mov_b32 s16, exec_lo
	v_cmpx_lt_u32_e32 0xffffff, v20
	s_cbranch_execz .LBB378_1361
; %bb.1354:                             ;   in Loop: Header=BB378_998 Depth=1
	v_cmp_ne_u32_sdwa s4, v20, v81 src0_sel:BYTE_3 src1_sel:DWORD
	v_bfrev_b32_e32 v13, 1
	s_and_saveexec_b32 s17, s4
	s_cbranch_execz .LBB378_1360
; %bb.1355:                             ;   in Loop: Header=BB378_998 Depth=1
	v_bfe_u32 v16, v20, 24, 7
	v_mov_b32_e32 v13, 0x7f800001
	s_mov_b32 s18, exec_lo
	v_cmpx_ne_u32_e32 0x7f, v16
	s_cbranch_execz .LBB378_1359
; %bb.1356:                             ;   in Loop: Header=BB378_998 Depth=1
	v_mov_b32_e32 v10, 7
	v_lshrrev_b32_e32 v13, 3, v16
	s_mov_b32 s20, exec_lo
	v_and_b32_sdwa v10, v20, v10 dst_sel:DWORD dst_unused:UNUSED_PAD src0_sel:BYTE_3 src1_sel:DWORD
	v_mov_b32_e32 v24, v11
	v_mov_b32_e32 v23, v10
	v_cmpx_gt_u32_e32 8, v16
; %bb.1357:                             ;   in Loop: Header=BB378_998 Depth=1
	v_ffbh_u32_e32 v13, v10
	v_min_u32_e32 v13, 32, v13
	v_subrev_nc_u32_e32 v16, 28, v13
	v_sub_nc_u32_e32 v13, 29, v13
	v_lshlrev_b64 v[22:23], v16, v[10:11]
	v_and_b32_e32 v23, 7, v22
; %bb.1358:                             ;   in Loop: Header=BB378_998 Depth=1
	s_or_b32 exec_lo, exec_lo, s20
	v_mov_b32_e32 v10, 24
	v_lshlrev_b32_e32 v16, 20, v23
	v_lshl_add_u32 v13, v13, 23, 0x3c000000
	v_lshlrev_b32_sdwa v10, v10, v20 dst_sel:DWORD dst_unused:UNUSED_PAD src0_sel:DWORD src1_sel:BYTE_3
	v_and_b32_e32 v10, 0x80000000, v10
	v_or3_b32 v13, v16, v10, v13
.LBB378_1359:                           ;   in Loop: Header=BB378_998 Depth=1
	s_or_b32 exec_lo, exec_lo, s18
.LBB378_1360:                           ;   in Loop: Header=BB378_998 Depth=1
	s_or_b32 exec_lo, exec_lo, s17
.LBB378_1361:                           ;   in Loop: Header=BB378_998 Depth=1
	s_or_b32 exec_lo, exec_lo, s16
	v_mov_b32_e32 v10, v21
	v_cmp_ne_u16_sdwa s4, v21, v11 src0_sel:BYTE_0 src1_sel:DWORD
	v_mov_b32_e32 v22, 0
	v_mov_b32_e32 v16, 0
	s_and_saveexec_b32 s16, s4
	s_cbranch_execz .LBB378_1369
; %bb.1362:                             ;   in Loop: Header=BB378_998 Depth=1
	v_cmp_ne_u16_sdwa s4, v21, v81 src0_sel:BYTE_0 src1_sel:DWORD
	v_bfrev_b32_e32 v16, 1
	s_and_saveexec_b32 s17, s4
	s_cbranch_execz .LBB378_1368
; %bb.1363:                             ;   in Loop: Header=BB378_998 Depth=1
	v_and_b32_e32 v23, 0x7f, v21
	v_mov_b32_e32 v16, 0x7f800001
	s_mov_b32 s18, exec_lo
	v_cmpx_ne_u32_e32 0x7f, v23
	s_cbranch_execz .LBB378_1367
; %bb.1364:                             ;   in Loop: Header=BB378_998 Depth=1
	v_lshrrev_b32_e32 v16, 3, v23
	v_cmp_gt_u32_e64 s4, 8, v23
	v_mov_b32_e32 v24, v11
	v_mov_b32_e32 v23, v10
	s_and_saveexec_b32 s20, s4
; %bb.1365:                             ;   in Loop: Header=BB378_998 Depth=1
	v_and_b32_e32 v16, 7, v21
	v_ffbh_u32_e32 v16, v16
	v_min_u32_e32 v16, 32, v16
	v_subrev_nc_u32_e32 v17, 28, v16
	v_sub_nc_u32_e32 v16, 29, v16
	v_lshlrev_b64 v[23:24], v17, v[10:11]
; %bb.1366:                             ;   in Loop: Header=BB378_998 Depth=1
	s_or_b32 exec_lo, exec_lo, s20
	v_lshlrev_b32_e32 v17, 20, v23
	v_lshlrev_b32_e32 v23, 24, v10
	v_lshl_add_u32 v16, v16, 23, 0x3c000000
	v_and_b32_e32 v17, 0x700000, v17
	v_and_b32_e32 v23, 0x80000000, v23
	v_or3_b32 v16, v17, v23, v16
.LBB378_1367:                           ;   in Loop: Header=BB378_998 Depth=1
	s_or_b32 exec_lo, exec_lo, s18
.LBB378_1368:                           ;   in Loop: Header=BB378_998 Depth=1
	s_or_b32 exec_lo, exec_lo, s17
.LBB378_1369:                           ;   in Loop: Header=BB378_998 Depth=1
	s_or_b32 exec_lo, exec_lo, s16
	v_cmp_ne_u16_sdwa s4, v10, v11 src0_sel:BYTE_1 src1_sel:DWORD
	s_and_saveexec_b32 s16, s4
	s_cbranch_execz .LBB378_1377
; %bb.1370:                             ;   in Loop: Header=BB378_998 Depth=1
	v_cmp_ne_u16_sdwa s4, v10, v81 src0_sel:BYTE_1 src1_sel:DWORD
	v_bfrev_b32_e32 v22, 1
	s_and_saveexec_b32 s17, s4
	s_cbranch_execz .LBB378_1376
; %bb.1371:                             ;   in Loop: Header=BB378_998 Depth=1
	v_mov_b32_e32 v17, 0xffff
	v_mov_b32_e32 v22, 0x7f800001
	s_mov_b32 s18, exec_lo
	v_and_b32_sdwa v23, v17, v10 dst_sel:DWORD dst_unused:UNUSED_PAD src0_sel:DWORD src1_sel:BYTE_1
	v_and_b32_e32 v25, 0x7f, v23
	v_cmpx_ne_u32_e32 0x7f, v25
	s_cbranch_execz .LBB378_1375
; %bb.1372:                             ;   in Loop: Header=BB378_998 Depth=1
	v_and_b32_e32 v23, 7, v23
	v_mov_b32_e32 v24, v11
	v_lshrrev_b32_e32 v22, 3, v25
	s_mov_b32 s20, exec_lo
	v_cmpx_gt_u32_e32 8, v25
; %bb.1373:                             ;   in Loop: Header=BB378_998 Depth=1
	v_ffbh_u32_e32 v17, v23
	v_min_u32_e32 v17, 32, v17
	v_subrev_nc_u32_e32 v22, 28, v17
	v_lshlrev_b64 v[23:24], v22, v[23:24]
	v_sub_nc_u32_e32 v22, 29, v17
	v_and_b32_e32 v23, 7, v23
; %bb.1374:                             ;   in Loop: Header=BB378_998 Depth=1
	s_or_b32 exec_lo, exec_lo, s20
	v_lshlrev_b32_e32 v10, 16, v10
	v_lshlrev_b32_e32 v17, 20, v23
	v_lshl_add_u32 v22, v22, 23, 0x3c000000
	v_and_b32_e32 v10, 0x80000000, v10
	v_or3_b32 v22, v17, v10, v22
.LBB378_1375:                           ;   in Loop: Header=BB378_998 Depth=1
	s_or_b32 exec_lo, exec_lo, s18
.LBB378_1376:                           ;   in Loop: Header=BB378_998 Depth=1
	s_or_b32 exec_lo, exec_lo, s17
.LBB378_1377:                           ;   in Loop: Header=BB378_998 Depth=1
	s_or_b32 exec_lo, exec_lo, s16
	v_and_b32_sdwa v10, v21, v83 dst_sel:DWORD dst_unused:UNUSED_PAD src0_sel:WORD_1 src1_sel:DWORD
	v_mov_b32_e32 v25, 0
	v_mov_b32_e32 v26, 0
	s_mov_b32 s16, exec_lo
	v_cmpx_ne_u16_e32 0, v10
	s_cbranch_execz .LBB378_1385
; %bb.1378:                             ;   in Loop: Header=BB378_998 Depth=1
	v_bfrev_b32_e32 v26, 1
	s_mov_b32 s17, exec_lo
	v_cmpx_ne_u16_e32 0x80, v10
	s_cbranch_execz .LBB378_1384
; %bb.1379:                             ;   in Loop: Header=BB378_998 Depth=1
	v_bfe_u32 v23, v21, 16, 7
	v_mov_b32_e32 v26, 0x7f800001
	s_mov_b32 s18, exec_lo
	v_cmpx_ne_u32_e32 0x7f, v23
	s_cbranch_execz .LBB378_1383
; %bb.1380:                             ;   in Loop: Header=BB378_998 Depth=1
	v_mov_b32_e32 v10, 7
	v_lshrrev_b32_e32 v26, 3, v23
	v_cmp_gt_u32_e64 s4, 8, v23
	v_and_b32_sdwa v10, v21, v10 dst_sel:DWORD dst_unused:UNUSED_PAD src0_sel:WORD_1 src1_sel:DWORD
	v_mov_b32_e32 v24, v11
	v_mov_b32_e32 v23, v10
	s_and_saveexec_b32 s20, s4
; %bb.1381:                             ;   in Loop: Header=BB378_998 Depth=1
	v_ffbh_u32_e32 v17, v10
	v_min_u32_e32 v17, 32, v17
	v_subrev_nc_u32_e32 v23, 28, v17
	v_sub_nc_u32_e32 v26, 29, v17
	v_lshlrev_b64 v[23:24], v23, v[10:11]
	v_and_b32_e32 v23, 7, v23
; %bb.1382:                             ;   in Loop: Header=BB378_998 Depth=1
	s_or_b32 exec_lo, exec_lo, s20
	v_mov_b32_e32 v10, 24
	v_lshlrev_b32_e32 v17, 20, v23
	v_lshl_add_u32 v23, v26, 23, 0x3c000000
	v_lshlrev_b32_sdwa v10, v10, v21 dst_sel:DWORD dst_unused:UNUSED_PAD src0_sel:DWORD src1_sel:WORD_1
	v_and_b32_e32 v10, 0x80000000, v10
	v_or3_b32 v26, v17, v10, v23
.LBB378_1383:                           ;   in Loop: Header=BB378_998 Depth=1
	s_or_b32 exec_lo, exec_lo, s18
.LBB378_1384:                           ;   in Loop: Header=BB378_998 Depth=1
	s_or_b32 exec_lo, exec_lo, s17
.LBB378_1385:                           ;   in Loop: Header=BB378_998 Depth=1
	s_or_b32 exec_lo, exec_lo, s16
	s_mov_b32 s16, exec_lo
	v_cmpx_lt_u64_e64 s[12:13], v[20:21]
	s_cbranch_execz .LBB378_1393
; %bb.1386:                             ;   in Loop: Header=BB378_998 Depth=1
	v_cmp_ne_u32_sdwa s4, v21, v81 src0_sel:BYTE_3 src1_sel:DWORD
	v_bfrev_b32_e32 v25, 1
	s_and_saveexec_b32 s17, s4
	s_cbranch_execz .LBB378_1392
; %bb.1387:                             ;   in Loop: Header=BB378_998 Depth=1
	v_bfe_u32 v23, v21, 24, 7
	v_mov_b32_e32 v25, 0x7f800001
	s_mov_b32 s18, exec_lo
	v_cmpx_ne_u32_e32 0x7f, v23
	s_cbranch_execz .LBB378_1391
; %bb.1388:                             ;   in Loop: Header=BB378_998 Depth=1
	v_mov_b32_e32 v10, 7
	v_lshrrev_b32_e32 v20, 3, v23
	v_cmp_gt_u32_e64 s4, 8, v23
	v_and_b32_sdwa v10, v21, v10 dst_sel:DWORD dst_unused:UNUSED_PAD src0_sel:BYTE_3 src1_sel:DWORD
	v_mov_b32_e32 v24, v11
	v_mov_b32_e32 v23, v10
	s_and_saveexec_b32 s20, s4
; %bb.1389:                             ;   in Loop: Header=BB378_998 Depth=1
	v_ffbh_u32_e32 v17, v10
	v_min_u32_e32 v17, 32, v17
	v_subrev_nc_u32_e32 v20, 28, v17
	v_lshlrev_b64 v[23:24], v20, v[10:11]
	v_sub_nc_u32_e32 v20, 29, v17
	v_and_b32_e32 v23, 7, v23
; %bb.1390:                             ;   in Loop: Header=BB378_998 Depth=1
	s_or_b32 exec_lo, exec_lo, s20
	v_mov_b32_e32 v10, 24
	v_lshlrev_b32_e32 v17, 20, v23
	v_lshl_add_u32 v20, v20, 23, 0x3c000000
	v_lshlrev_b32_sdwa v10, v10, v21 dst_sel:DWORD dst_unused:UNUSED_PAD src0_sel:DWORD src1_sel:BYTE_3
	v_and_b32_e32 v10, 0x80000000, v10
	v_or3_b32 v25, v17, v10, v20
.LBB378_1391:                           ;   in Loop: Header=BB378_998 Depth=1
	s_or_b32 exec_lo, exec_lo, s18
.LBB378_1392:                           ;   in Loop: Header=BB378_998 Depth=1
	s_or_b32 exec_lo, exec_lo, s17
.LBB378_1393:                           ;   in Loop: Header=BB378_998 Depth=1
	s_or_b32 exec_lo, exec_lo, s16
	v_mul_f32_e32 v10, v57, v22
	v_mul_f32_e32 v16, v57, v16
	;; [unrolled: 1-line block ×5, first 2 shown]
	v_bfe_u32 v5, v10, 16, 1
	v_or_b32_e32 v20, 0x400000, v10
	v_bfe_u32 v21, v16, 16, 1
	v_cmp_u_f32_e64 s4, v10, v10
	v_or_b32_e32 v22, 0x400000, v16
	v_add3_u32 v5, v5, v10, 0x7fff
	v_bfe_u32 v23, v13, 16, 1
	v_add3_u32 v21, v21, v16, 0x7fff
	v_or_b32_e32 v24, 0x400000, v13
	v_bfe_u32 v27, v17, 16, 1
	v_cndmask_b32_e64 v5, v5, v20, s4
	v_cmp_u_f32_e64 s4, v16, v16
	v_add3_u32 v23, v23, v13, 0x7fff
	v_mul_f32_e32 v16, v57, v4
	v_add3_u32 v20, v27, v17, 0x7fff
	v_lshrrev_b32_e32 v5, 16, v5
	v_cndmask_b32_e64 v10, v21, v22, s4
	v_cmp_u_f32_e64 s4, v13, v13
	v_or_b32_e32 v21, 0x400000, v17
	v_bfe_u32 v22, v12, 16, 1
	v_lshrrev_b32_e32 v4, 16, v10
	v_cndmask_b32_e64 v13, v23, v24, s4
	v_bfe_u32 v10, v16, 16, 1
	v_cmp_u_f32_e64 s4, v17, v17
	v_mul_f32_e32 v17, v57, v26
	v_lshrrev_b32_e32 v27, 16, v13
	v_add3_u32 v10, v10, v16, 0x7fff
	v_cndmask_b32_e64 v13, v20, v21, s4
	v_or_b32_e32 v20, 0x400000, v16
	v_cmp_u_f32_e64 s4, v16, v16
	v_mul_f32_e32 v21, v57, v25
	v_bfe_u32 v23, v17, 16, 1
	v_or_b32_e32 v24, 0x400000, v17
	v_lshrrev_b32_e32 v37, 16, v13
	v_cndmask_b32_e64 v10, v10, v20, s4
	v_add3_u32 v20, v22, v12, 0x7fff
	v_or_b32_e32 v22, 0x400000, v12
	v_cmp_u_f32_e64 s4, v12, v12
	v_bfe_u32 v16, v21, 16, 1
	v_add3_u32 v23, v23, v17, 0x7fff
	v_or_b32_e32 v25, 0x400000, v21
	v_lshrrev_b32_e32 v48, 16, v10
	v_cndmask_b32_e64 v12, v20, v22, s4
	v_cmp_u_f32_e64 s4, v17, v17
	v_add3_u32 v16, v16, v21, 0x7fff
	v_lshrrev_b32_e32 v39, 16, v12
	v_cndmask_b32_e64 v17, v23, v24, s4
	v_cmp_u_f32_e64 s4, v21, v21
	v_lshrrev_b32_e32 v22, 16, v17
	v_cndmask_b32_e64 v16, v16, v25, s4
	v_lshrrev_b32_e32 v26, 16, v16
	s_and_saveexec_b32 s16, vcc_lo
	s_cbranch_execz .LBB378_1395
; %bb.1394:                             ;   in Loop: Header=BB378_998 Depth=1
	v_cmp_lt_i32_e64 s4, v74, v38
	v_cndmask_b32_e64 v39, 0, v39, s4
	v_cmp_lt_i32_e64 s4, v89, v38
	v_cndmask_b32_e64 v48, 0, v48, s4
	;; [unrolled: 2-line block ×8, first 2 shown]
.LBB378_1395:                           ;   in Loop: Header=BB378_998 Depth=1
	s_or_b32 exec_lo, exec_lo, s16
	flat_load_dwordx2 v[20:21], v[18:19] offset:1536
	v_mov_b32_e32 v13, 0
	v_mov_b32_e32 v12, 0
	s_waitcnt vmcnt(0) lgkmcnt(0)
	v_cmp_ne_u16_sdwa s4, v20, v11 src0_sel:BYTE_0 src1_sel:DWORD
	s_and_saveexec_b32 s16, s4
	s_cbranch_execz .LBB378_1403
; %bb.1396:                             ;   in Loop: Header=BB378_998 Depth=1
	v_cmp_ne_u16_sdwa s4, v20, v81 src0_sel:BYTE_0 src1_sel:DWORD
	v_bfrev_b32_e32 v12, 1
	s_and_saveexec_b32 s17, s4
	s_cbranch_execz .LBB378_1402
; %bb.1397:                             ;   in Loop: Header=BB378_998 Depth=1
	v_and_b32_e32 v16, 0x7f, v20
	v_mov_b32_e32 v12, 0x7f800001
	s_mov_b32 s18, exec_lo
	v_cmpx_ne_u32_e32 0x7f, v16
	s_cbranch_execz .LBB378_1401
; %bb.1398:                             ;   in Loop: Header=BB378_998 Depth=1
	v_mov_b32_e32 v24, v21
	v_lshrrev_b32_e32 v10, 3, v16
	v_mov_b32_e32 v23, v20
	s_mov_b32 s20, exec_lo
	v_cmpx_gt_u32_e32 8, v16
; %bb.1399:                             ;   in Loop: Header=BB378_998 Depth=1
	v_and_b32_e32 v10, 7, v20
	v_ffbh_u32_e32 v10, v10
	v_min_u32_e32 v10, 32, v10
	v_subrev_nc_u32_e32 v12, 28, v10
	v_sub_nc_u32_e32 v10, 29, v10
	v_lshlrev_b64 v[23:24], v12, v[20:21]
; %bb.1400:                             ;   in Loop: Header=BB378_998 Depth=1
	s_or_b32 exec_lo, exec_lo, s20
	v_lshlrev_b32_e32 v12, 20, v23
	v_lshlrev_b32_e32 v16, 24, v20
	v_lshl_add_u32 v10, v10, 23, 0x3c000000
	v_and_b32_e32 v12, 0x700000, v12
	v_and_b32_e32 v16, 0x80000000, v16
	v_or3_b32 v12, v12, v16, v10
.LBB378_1401:                           ;   in Loop: Header=BB378_998 Depth=1
	s_or_b32 exec_lo, exec_lo, s18
.LBB378_1402:                           ;   in Loop: Header=BB378_998 Depth=1
	s_or_b32 exec_lo, exec_lo, s17
.LBB378_1403:                           ;   in Loop: Header=BB378_998 Depth=1
	s_or_b32 exec_lo, exec_lo, s16
	v_cmp_ne_u16_sdwa s4, v20, v11 src0_sel:BYTE_1 src1_sel:DWORD
	s_and_saveexec_b32 s16, s4
	s_cbranch_execz .LBB378_1411
; %bb.1404:                             ;   in Loop: Header=BB378_998 Depth=1
	v_cmp_ne_u16_sdwa s4, v20, v81 src0_sel:BYTE_1 src1_sel:DWORD
	v_bfrev_b32_e32 v13, 1
	s_and_saveexec_b32 s17, s4
	s_cbranch_execz .LBB378_1410
; %bb.1405:                             ;   in Loop: Header=BB378_998 Depth=1
	v_mov_b32_e32 v10, 0xffff
	v_mov_b32_e32 v13, 0x7f800001
	s_mov_b32 s18, exec_lo
	v_and_b32_sdwa v10, v10, v20 dst_sel:DWORD dst_unused:UNUSED_PAD src0_sel:DWORD src1_sel:BYTE_1
	v_and_b32_e32 v16, 0x7f, v10
	v_cmpx_ne_u32_e32 0x7f, v16
	s_cbranch_execz .LBB378_1409
; %bb.1406:                             ;   in Loop: Header=BB378_998 Depth=1
	v_and_b32_e32 v10, 7, v10
	v_mov_b32_e32 v24, v11
	v_lshrrev_b32_e32 v13, 3, v16
	s_mov_b32 s20, exec_lo
	v_mov_b32_e32 v23, v10
	v_cmpx_gt_u32_e32 8, v16
; %bb.1407:                             ;   in Loop: Header=BB378_998 Depth=1
	v_ffbh_u32_e32 v13, v10
	v_min_u32_e32 v13, 32, v13
	v_subrev_nc_u32_e32 v16, 28, v13
	v_sub_nc_u32_e32 v13, 29, v13
	v_lshlrev_b64 v[23:24], v16, v[10:11]
	v_and_b32_e32 v23, 7, v23
; %bb.1408:                             ;   in Loop: Header=BB378_998 Depth=1
	s_or_b32 exec_lo, exec_lo, s20
	v_lshlrev_b32_e32 v10, 16, v20
	v_lshlrev_b32_e32 v16, 20, v23
	v_lshl_add_u32 v13, v13, 23, 0x3c000000
	v_and_b32_e32 v10, 0x80000000, v10
	v_or3_b32 v13, v16, v10, v13
.LBB378_1409:                           ;   in Loop: Header=BB378_998 Depth=1
	s_or_b32 exec_lo, exec_lo, s18
.LBB378_1410:                           ;   in Loop: Header=BB378_998 Depth=1
	s_or_b32 exec_lo, exec_lo, s17
.LBB378_1411:                           ;   in Loop: Header=BB378_998 Depth=1
	s_or_b32 exec_lo, exec_lo, s16
	v_and_b32_sdwa v10, v20, v83 dst_sel:DWORD dst_unused:UNUSED_PAD src0_sel:WORD_1 src1_sel:DWORD
	v_mov_b32_e32 v25, 0
	v_mov_b32_e32 v16, 0
	s_mov_b32 s16, exec_lo
	v_cmpx_ne_u16_e32 0, v10
	s_cbranch_execz .LBB378_1419
; %bb.1412:                             ;   in Loop: Header=BB378_998 Depth=1
	v_bfrev_b32_e32 v16, 1
	s_mov_b32 s17, exec_lo
	v_cmpx_ne_u16_e32 0x80, v10
	s_cbranch_execz .LBB378_1418
; %bb.1413:                             ;   in Loop: Header=BB378_998 Depth=1
	v_bfe_u32 v23, v20, 16, 7
	v_mov_b32_e32 v16, 0x7f800001
	s_mov_b32 s18, exec_lo
	v_cmpx_ne_u32_e32 0x7f, v23
	s_cbranch_execz .LBB378_1417
; %bb.1414:                             ;   in Loop: Header=BB378_998 Depth=1
	v_mov_b32_e32 v10, 7
	v_lshrrev_b32_e32 v16, 3, v23
	v_cmp_gt_u32_e64 s4, 8, v23
	v_and_b32_sdwa v10, v20, v10 dst_sel:DWORD dst_unused:UNUSED_PAD src0_sel:WORD_1 src1_sel:DWORD
	v_mov_b32_e32 v24, v11
	v_mov_b32_e32 v23, v10
	s_and_saveexec_b32 s20, s4
; %bb.1415:                             ;   in Loop: Header=BB378_998 Depth=1
	v_ffbh_u32_e32 v16, v10
	v_min_u32_e32 v16, 32, v16
	v_subrev_nc_u32_e32 v17, 28, v16
	v_sub_nc_u32_e32 v16, 29, v16
	v_lshlrev_b64 v[23:24], v17, v[10:11]
	v_and_b32_e32 v23, 7, v23
; %bb.1416:                             ;   in Loop: Header=BB378_998 Depth=1
	s_or_b32 exec_lo, exec_lo, s20
	v_mov_b32_e32 v10, 24
	v_lshlrev_b32_e32 v17, 20, v23
	v_lshl_add_u32 v16, v16, 23, 0x3c000000
	v_lshlrev_b32_sdwa v10, v10, v20 dst_sel:DWORD dst_unused:UNUSED_PAD src0_sel:DWORD src1_sel:WORD_1
	v_and_b32_e32 v10, 0x80000000, v10
	v_or3_b32 v16, v17, v10, v16
.LBB378_1417:                           ;   in Loop: Header=BB378_998 Depth=1
	s_or_b32 exec_lo, exec_lo, s18
.LBB378_1418:                           ;   in Loop: Header=BB378_998 Depth=1
	s_or_b32 exec_lo, exec_lo, s17
.LBB378_1419:                           ;   in Loop: Header=BB378_998 Depth=1
	s_or_b32 exec_lo, exec_lo, s16
	s_mov_b32 s16, exec_lo
	v_cmpx_lt_u32_e32 0xffffff, v20
	s_cbranch_execz .LBB378_1427
; %bb.1420:                             ;   in Loop: Header=BB378_998 Depth=1
	v_cmp_ne_u32_sdwa s4, v20, v81 src0_sel:BYTE_3 src1_sel:DWORD
	v_bfrev_b32_e32 v25, 1
	s_and_saveexec_b32 s17, s4
	s_cbranch_execz .LBB378_1426
; %bb.1421:                             ;   in Loop: Header=BB378_998 Depth=1
	v_bfe_u32 v23, v20, 24, 7
	v_mov_b32_e32 v25, 0x7f800001
	s_mov_b32 s18, exec_lo
	v_cmpx_ne_u32_e32 0x7f, v23
	s_cbranch_execz .LBB378_1425
; %bb.1422:                             ;   in Loop: Header=BB378_998 Depth=1
	v_mov_b32_e32 v10, 7
	v_lshrrev_b32_e32 v25, 3, v23
	v_cmp_gt_u32_e64 s4, 8, v23
	v_and_b32_sdwa v10, v20, v10 dst_sel:DWORD dst_unused:UNUSED_PAD src0_sel:BYTE_3 src1_sel:DWORD
	v_mov_b32_e32 v24, v11
	v_mov_b32_e32 v23, v10
	s_and_saveexec_b32 s20, s4
; %bb.1423:                             ;   in Loop: Header=BB378_998 Depth=1
	v_ffbh_u32_e32 v17, v10
	v_min_u32_e32 v17, 32, v17
	v_subrev_nc_u32_e32 v23, 28, v17
	v_sub_nc_u32_e32 v25, 29, v17
	v_lshlrev_b64 v[23:24], v23, v[10:11]
	v_and_b32_e32 v23, 7, v23
; %bb.1424:                             ;   in Loop: Header=BB378_998 Depth=1
	s_or_b32 exec_lo, exec_lo, s20
	v_mov_b32_e32 v10, 24
	v_lshlrev_b32_e32 v17, 20, v23
	v_lshl_add_u32 v23, v25, 23, 0x3c000000
	v_lshlrev_b32_sdwa v10, v10, v20 dst_sel:DWORD dst_unused:UNUSED_PAD src0_sel:DWORD src1_sel:BYTE_3
	v_and_b32_e32 v10, 0x80000000, v10
	v_or3_b32 v25, v17, v10, v23
.LBB378_1425:                           ;   in Loop: Header=BB378_998 Depth=1
	s_or_b32 exec_lo, exec_lo, s18
.LBB378_1426:                           ;   in Loop: Header=BB378_998 Depth=1
	s_or_b32 exec_lo, exec_lo, s17
.LBB378_1427:                           ;   in Loop: Header=BB378_998 Depth=1
	s_or_b32 exec_lo, exec_lo, s16
	v_mov_b32_e32 v10, v21
	v_cmp_ne_u16_sdwa s4, v21, v11 src0_sel:BYTE_0 src1_sel:DWORD
	v_mov_b32_e32 v32, 0
	v_mov_b32_e32 v31, 0
	s_and_saveexec_b32 s16, s4
	s_cbranch_execz .LBB378_1435
; %bb.1428:                             ;   in Loop: Header=BB378_998 Depth=1
	v_cmp_ne_u16_sdwa s4, v21, v81 src0_sel:BYTE_0 src1_sel:DWORD
	v_bfrev_b32_e32 v31, 1
	s_and_saveexec_b32 s17, s4
	s_cbranch_execz .LBB378_1434
; %bb.1429:                             ;   in Loop: Header=BB378_998 Depth=1
	v_and_b32_e32 v23, 0x7f, v21
	v_mov_b32_e32 v31, 0x7f800001
	s_mov_b32 s18, exec_lo
	v_cmpx_ne_u32_e32 0x7f, v23
	s_cbranch_execz .LBB378_1433
; %bb.1430:                             ;   in Loop: Header=BB378_998 Depth=1
	v_lshrrev_b32_e32 v28, 3, v23
	v_cmp_gt_u32_e64 s4, 8, v23
	v_mov_b32_e32 v24, v11
	v_mov_b32_e32 v23, v10
	s_and_saveexec_b32 s20, s4
; %bb.1431:                             ;   in Loop: Header=BB378_998 Depth=1
	v_and_b32_e32 v17, 7, v21
	v_ffbh_u32_e32 v17, v17
	v_min_u32_e32 v17, 32, v17
	v_subrev_nc_u32_e32 v23, 28, v17
	v_sub_nc_u32_e32 v28, 29, v17
	v_lshlrev_b64 v[23:24], v23, v[10:11]
; %bb.1432:                             ;   in Loop: Header=BB378_998 Depth=1
	s_or_b32 exec_lo, exec_lo, s20
	v_lshlrev_b32_e32 v17, 20, v23
	v_lshlrev_b32_e32 v23, 24, v10
	v_lshl_add_u32 v24, v28, 23, 0x3c000000
	v_and_b32_e32 v17, 0x700000, v17
	v_and_b32_e32 v23, 0x80000000, v23
	v_or3_b32 v31, v17, v23, v24
.LBB378_1433:                           ;   in Loop: Header=BB378_998 Depth=1
	s_or_b32 exec_lo, exec_lo, s18
.LBB378_1434:                           ;   in Loop: Header=BB378_998 Depth=1
	s_or_b32 exec_lo, exec_lo, s17
.LBB378_1435:                           ;   in Loop: Header=BB378_998 Depth=1
	s_or_b32 exec_lo, exec_lo, s16
	v_cmp_ne_u16_sdwa s4, v10, v11 src0_sel:BYTE_1 src1_sel:DWORD
	s_and_saveexec_b32 s16, s4
	s_cbranch_execz .LBB378_1443
; %bb.1436:                             ;   in Loop: Header=BB378_998 Depth=1
	v_cmp_ne_u16_sdwa s4, v10, v81 src0_sel:BYTE_1 src1_sel:DWORD
	v_bfrev_b32_e32 v32, 1
	s_and_saveexec_b32 s17, s4
	s_cbranch_execz .LBB378_1442
; %bb.1437:                             ;   in Loop: Header=BB378_998 Depth=1
	v_mov_b32_e32 v17, 0xffff
	v_mov_b32_e32 v32, 0x7f800001
	s_mov_b32 s18, exec_lo
	v_and_b32_sdwa v23, v17, v10 dst_sel:DWORD dst_unused:UNUSED_PAD src0_sel:DWORD src1_sel:BYTE_1
	v_and_b32_e32 v29, 0x7f, v23
	v_cmpx_ne_u32_e32 0x7f, v29
	s_cbranch_execz .LBB378_1441
; %bb.1438:                             ;   in Loop: Header=BB378_998 Depth=1
	v_and_b32_e32 v23, 7, v23
	v_mov_b32_e32 v24, v11
	v_lshrrev_b32_e32 v28, 3, v29
	s_mov_b32 s20, exec_lo
	v_cmpx_gt_u32_e32 8, v29
; %bb.1439:                             ;   in Loop: Header=BB378_998 Depth=1
	v_ffbh_u32_e32 v17, v23
	v_min_u32_e32 v17, 32, v17
	v_subrev_nc_u32_e32 v28, 28, v17
	v_lshlrev_b64 v[23:24], v28, v[23:24]
	v_sub_nc_u32_e32 v28, 29, v17
	v_and_b32_e32 v23, 7, v23
; %bb.1440:                             ;   in Loop: Header=BB378_998 Depth=1
	s_or_b32 exec_lo, exec_lo, s20
	v_lshlrev_b32_e32 v10, 16, v10
	v_lshlrev_b32_e32 v17, 20, v23
	v_lshl_add_u32 v23, v28, 23, 0x3c000000
	v_and_b32_e32 v10, 0x80000000, v10
	v_or3_b32 v32, v17, v10, v23
.LBB378_1441:                           ;   in Loop: Header=BB378_998 Depth=1
	s_or_b32 exec_lo, exec_lo, s18
.LBB378_1442:                           ;   in Loop: Header=BB378_998 Depth=1
	s_or_b32 exec_lo, exec_lo, s17
.LBB378_1443:                           ;   in Loop: Header=BB378_998 Depth=1
	s_or_b32 exec_lo, exec_lo, s16
	v_and_b32_sdwa v10, v21, v83 dst_sel:DWORD dst_unused:UNUSED_PAD src0_sel:WORD_1 src1_sel:DWORD
	v_mov_b32_e32 v28, 0
	v_mov_b32_e32 v29, 0
	s_mov_b32 s16, exec_lo
	v_cmpx_ne_u16_e32 0, v10
	s_cbranch_execz .LBB378_1451
; %bb.1444:                             ;   in Loop: Header=BB378_998 Depth=1
	v_bfrev_b32_e32 v29, 1
	s_mov_b32 s17, exec_lo
	v_cmpx_ne_u16_e32 0x80, v10
	s_cbranch_execz .LBB378_1450
; %bb.1445:                             ;   in Loop: Header=BB378_998 Depth=1
	v_bfe_u32 v23, v21, 16, 7
	v_mov_b32_e32 v29, 0x7f800001
	s_mov_b32 s18, exec_lo
	v_cmpx_ne_u32_e32 0x7f, v23
	s_cbranch_execz .LBB378_1449
; %bb.1446:                             ;   in Loop: Header=BB378_998 Depth=1
	v_mov_b32_e32 v10, 7
	v_lshrrev_b32_e32 v29, 3, v23
	v_cmp_gt_u32_e64 s4, 8, v23
	v_and_b32_sdwa v10, v21, v10 dst_sel:DWORD dst_unused:UNUSED_PAD src0_sel:WORD_1 src1_sel:DWORD
	v_mov_b32_e32 v24, v11
	v_mov_b32_e32 v23, v10
	s_and_saveexec_b32 s20, s4
; %bb.1447:                             ;   in Loop: Header=BB378_998 Depth=1
	v_ffbh_u32_e32 v17, v10
	v_min_u32_e32 v17, 32, v17
	v_subrev_nc_u32_e32 v23, 28, v17
	v_sub_nc_u32_e32 v29, 29, v17
	v_lshlrev_b64 v[23:24], v23, v[10:11]
	v_and_b32_e32 v23, 7, v23
; %bb.1448:                             ;   in Loop: Header=BB378_998 Depth=1
	s_or_b32 exec_lo, exec_lo, s20
	v_mov_b32_e32 v10, 24
	v_lshlrev_b32_e32 v17, 20, v23
	v_lshl_add_u32 v23, v29, 23, 0x3c000000
	v_lshlrev_b32_sdwa v10, v10, v21 dst_sel:DWORD dst_unused:UNUSED_PAD src0_sel:DWORD src1_sel:WORD_1
	v_and_b32_e32 v10, 0x80000000, v10
	v_or3_b32 v29, v17, v10, v23
.LBB378_1449:                           ;   in Loop: Header=BB378_998 Depth=1
	s_or_b32 exec_lo, exec_lo, s18
.LBB378_1450:                           ;   in Loop: Header=BB378_998 Depth=1
	s_or_b32 exec_lo, exec_lo, s17
.LBB378_1451:                           ;   in Loop: Header=BB378_998 Depth=1
	s_or_b32 exec_lo, exec_lo, s16
	s_mov_b32 s16, exec_lo
	v_cmpx_lt_u64_e64 s[12:13], v[20:21]
	s_cbranch_execz .LBB378_1459
; %bb.1452:                             ;   in Loop: Header=BB378_998 Depth=1
	v_cmp_ne_u32_sdwa s4, v21, v81 src0_sel:BYTE_3 src1_sel:DWORD
	v_bfrev_b32_e32 v28, 1
	s_and_saveexec_b32 s17, s4
	s_cbranch_execz .LBB378_1458
; %bb.1453:                             ;   in Loop: Header=BB378_998 Depth=1
	v_bfe_u32 v23, v21, 24, 7
	v_mov_b32_e32 v28, 0x7f800001
	s_mov_b32 s18, exec_lo
	v_cmpx_ne_u32_e32 0x7f, v23
	s_cbranch_execz .LBB378_1457
; %bb.1454:                             ;   in Loop: Header=BB378_998 Depth=1
	v_mov_b32_e32 v10, 7
	v_lshrrev_b32_e32 v20, 3, v23
	v_cmp_gt_u32_e64 s4, 8, v23
	v_and_b32_sdwa v10, v21, v10 dst_sel:DWORD dst_unused:UNUSED_PAD src0_sel:BYTE_3 src1_sel:DWORD
	v_mov_b32_e32 v24, v11
	v_mov_b32_e32 v23, v10
	s_and_saveexec_b32 s20, s4
; %bb.1455:                             ;   in Loop: Header=BB378_998 Depth=1
	v_ffbh_u32_e32 v17, v10
	v_min_u32_e32 v17, 32, v17
	v_subrev_nc_u32_e32 v20, 28, v17
	v_lshlrev_b64 v[23:24], v20, v[10:11]
	v_sub_nc_u32_e32 v20, 29, v17
	v_and_b32_e32 v23, 7, v23
; %bb.1456:                             ;   in Loop: Header=BB378_998 Depth=1
	s_or_b32 exec_lo, exec_lo, s20
	v_mov_b32_e32 v10, 24
	v_lshlrev_b32_e32 v17, 20, v23
	v_lshl_add_u32 v20, v20, 23, 0x3c000000
	v_lshlrev_b32_sdwa v10, v10, v21 dst_sel:DWORD dst_unused:UNUSED_PAD src0_sel:DWORD src1_sel:BYTE_3
	v_and_b32_e32 v10, 0x80000000, v10
	v_or3_b32 v28, v17, v10, v20
.LBB378_1457:                           ;   in Loop: Header=BB378_998 Depth=1
	s_or_b32 exec_lo, exec_lo, s18
.LBB378_1458:                           ;   in Loop: Header=BB378_998 Depth=1
	s_or_b32 exec_lo, exec_lo, s17
.LBB378_1459:                           ;   in Loop: Header=BB378_998 Depth=1
	s_or_b32 exec_lo, exec_lo, s16
	v_mul_f32_e32 v10, v57, v32
	v_bfe_u32 v17, v10, 16, 1
	v_or_b32_e32 v20, 0x400000, v10
	v_cmp_u_f32_e64 s4, v10, v10
	v_add3_u32 v17, v17, v10, 0x7fff
	v_cndmask_b32_e64 v10, v17, v20, s4
	v_lshrrev_b32_e32 v106, 16, v10
	v_mul_f32_e32 v10, v57, v31
	v_bfe_u32 v17, v10, 16, 1
	v_or_b32_e32 v20, 0x400000, v10
	v_cmp_u_f32_e64 s4, v10, v10
	v_add3_u32 v17, v17, v10, 0x7fff
	v_cndmask_b32_e64 v10, v17, v20, s4
	v_lshrrev_b32_e32 v107, 16, v10
	;; [unrolled: 7-line block ×8, first 2 shown]
	s_and_saveexec_b32 s16, vcc_lo
	s_cbranch_execz .LBB378_1461
; %bb.1460:                             ;   in Loop: Header=BB378_998 Depth=1
	v_cmp_lt_i32_e64 s4, v74, v38
	v_cndmask_b32_e64 v120, 0, v120, s4
	v_cmp_lt_i32_e64 s4, v89, v38
	v_cndmask_b32_e64 v111, 0, v111, s4
	;; [unrolled: 2-line block ×8, first 2 shown]
.LBB378_1461:                           ;   in Loop: Header=BB378_998 Depth=1
	s_or_b32 exec_lo, exec_lo, s16
	flat_load_dwordx2 v[20:21], v[18:19] offset:1792
	v_mov_b32_e32 v13, 0
	v_mov_b32_e32 v12, 0
	s_waitcnt vmcnt(0) lgkmcnt(0)
	v_cmp_ne_u16_sdwa s4, v20, v11 src0_sel:BYTE_0 src1_sel:DWORD
	s_and_saveexec_b32 s16, s4
	s_cbranch_execz .LBB378_1469
; %bb.1462:                             ;   in Loop: Header=BB378_998 Depth=1
	v_cmp_ne_u16_sdwa s4, v20, v81 src0_sel:BYTE_0 src1_sel:DWORD
	v_bfrev_b32_e32 v12, 1
	s_and_saveexec_b32 s17, s4
	s_cbranch_execz .LBB378_1468
; %bb.1463:                             ;   in Loop: Header=BB378_998 Depth=1
	v_and_b32_e32 v16, 0x7f, v20
	v_mov_b32_e32 v12, 0x7f800001
	s_mov_b32 s18, exec_lo
	v_cmpx_ne_u32_e32 0x7f, v16
	s_cbranch_execz .LBB378_1467
; %bb.1464:                             ;   in Loop: Header=BB378_998 Depth=1
	v_mov_b32_e32 v24, v21
	v_lshrrev_b32_e32 v10, 3, v16
	v_mov_b32_e32 v23, v20
	s_mov_b32 s20, exec_lo
	v_cmpx_gt_u32_e32 8, v16
; %bb.1465:                             ;   in Loop: Header=BB378_998 Depth=1
	v_and_b32_e32 v10, 7, v20
	v_ffbh_u32_e32 v10, v10
	v_min_u32_e32 v10, 32, v10
	v_subrev_nc_u32_e32 v12, 28, v10
	v_sub_nc_u32_e32 v10, 29, v10
	v_lshlrev_b64 v[23:24], v12, v[20:21]
; %bb.1466:                             ;   in Loop: Header=BB378_998 Depth=1
	s_or_b32 exec_lo, exec_lo, s20
	v_lshlrev_b32_e32 v12, 20, v23
	v_lshlrev_b32_e32 v16, 24, v20
	v_lshl_add_u32 v10, v10, 23, 0x3c000000
	v_and_b32_e32 v12, 0x700000, v12
	v_and_b32_e32 v16, 0x80000000, v16
	v_or3_b32 v12, v12, v16, v10
.LBB378_1467:                           ;   in Loop: Header=BB378_998 Depth=1
	s_or_b32 exec_lo, exec_lo, s18
.LBB378_1468:                           ;   in Loop: Header=BB378_998 Depth=1
	s_or_b32 exec_lo, exec_lo, s17
.LBB378_1469:                           ;   in Loop: Header=BB378_998 Depth=1
	s_or_b32 exec_lo, exec_lo, s16
	v_cmp_ne_u16_sdwa s4, v20, v11 src0_sel:BYTE_1 src1_sel:DWORD
	s_and_saveexec_b32 s16, s4
	s_cbranch_execz .LBB378_1477
; %bb.1470:                             ;   in Loop: Header=BB378_998 Depth=1
	v_cmp_ne_u16_sdwa s4, v20, v81 src0_sel:BYTE_1 src1_sel:DWORD
	v_bfrev_b32_e32 v13, 1
	s_and_saveexec_b32 s17, s4
	s_cbranch_execz .LBB378_1476
; %bb.1471:                             ;   in Loop: Header=BB378_998 Depth=1
	v_mov_b32_e32 v10, 0xffff
	v_mov_b32_e32 v13, 0x7f800001
	s_mov_b32 s18, exec_lo
	v_and_b32_sdwa v10, v10, v20 dst_sel:DWORD dst_unused:UNUSED_PAD src0_sel:DWORD src1_sel:BYTE_1
	v_and_b32_e32 v16, 0x7f, v10
	v_cmpx_ne_u32_e32 0x7f, v16
	s_cbranch_execz .LBB378_1475
; %bb.1472:                             ;   in Loop: Header=BB378_998 Depth=1
	v_and_b32_e32 v10, 7, v10
	v_mov_b32_e32 v24, v11
	v_lshrrev_b32_e32 v13, 3, v16
	s_mov_b32 s20, exec_lo
	v_mov_b32_e32 v23, v10
	v_cmpx_gt_u32_e32 8, v16
; %bb.1473:                             ;   in Loop: Header=BB378_998 Depth=1
	v_ffbh_u32_e32 v13, v10
	v_min_u32_e32 v13, 32, v13
	v_subrev_nc_u32_e32 v16, 28, v13
	v_sub_nc_u32_e32 v13, 29, v13
	v_lshlrev_b64 v[23:24], v16, v[10:11]
	v_and_b32_e32 v23, 7, v23
; %bb.1474:                             ;   in Loop: Header=BB378_998 Depth=1
	s_or_b32 exec_lo, exec_lo, s20
	v_lshlrev_b32_e32 v10, 16, v20
	v_lshlrev_b32_e32 v16, 20, v23
	v_lshl_add_u32 v13, v13, 23, 0x3c000000
	v_and_b32_e32 v10, 0x80000000, v10
	v_or3_b32 v13, v16, v10, v13
.LBB378_1475:                           ;   in Loop: Header=BB378_998 Depth=1
	s_or_b32 exec_lo, exec_lo, s18
.LBB378_1476:                           ;   in Loop: Header=BB378_998 Depth=1
	s_or_b32 exec_lo, exec_lo, s17
.LBB378_1477:                           ;   in Loop: Header=BB378_998 Depth=1
	s_or_b32 exec_lo, exec_lo, s16
	v_and_b32_sdwa v10, v20, v83 dst_sel:DWORD dst_unused:UNUSED_PAD src0_sel:WORD_1 src1_sel:DWORD
	v_mov_b32_e32 v25, 0
	v_mov_b32_e32 v16, 0
	s_mov_b32 s16, exec_lo
	v_cmpx_ne_u16_e32 0, v10
	s_cbranch_execz .LBB378_1485
; %bb.1478:                             ;   in Loop: Header=BB378_998 Depth=1
	v_bfrev_b32_e32 v16, 1
	s_mov_b32 s17, exec_lo
	v_cmpx_ne_u16_e32 0x80, v10
	s_cbranch_execz .LBB378_1484
; %bb.1479:                             ;   in Loop: Header=BB378_998 Depth=1
	v_bfe_u32 v23, v20, 16, 7
	v_mov_b32_e32 v16, 0x7f800001
	s_mov_b32 s18, exec_lo
	v_cmpx_ne_u32_e32 0x7f, v23
	s_cbranch_execz .LBB378_1483
; %bb.1480:                             ;   in Loop: Header=BB378_998 Depth=1
	v_mov_b32_e32 v10, 7
	v_lshrrev_b32_e32 v16, 3, v23
	v_cmp_gt_u32_e64 s4, 8, v23
	v_and_b32_sdwa v10, v20, v10 dst_sel:DWORD dst_unused:UNUSED_PAD src0_sel:WORD_1 src1_sel:DWORD
	v_mov_b32_e32 v24, v11
	v_mov_b32_e32 v23, v10
	s_and_saveexec_b32 s20, s4
; %bb.1481:                             ;   in Loop: Header=BB378_998 Depth=1
	v_ffbh_u32_e32 v16, v10
	v_min_u32_e32 v16, 32, v16
	v_subrev_nc_u32_e32 v17, 28, v16
	v_sub_nc_u32_e32 v16, 29, v16
	v_lshlrev_b64 v[23:24], v17, v[10:11]
	v_and_b32_e32 v23, 7, v23
; %bb.1482:                             ;   in Loop: Header=BB378_998 Depth=1
	s_or_b32 exec_lo, exec_lo, s20
	v_mov_b32_e32 v10, 24
	v_lshlrev_b32_e32 v17, 20, v23
	v_lshl_add_u32 v16, v16, 23, 0x3c000000
	v_lshlrev_b32_sdwa v10, v10, v20 dst_sel:DWORD dst_unused:UNUSED_PAD src0_sel:DWORD src1_sel:WORD_1
	v_and_b32_e32 v10, 0x80000000, v10
	v_or3_b32 v16, v17, v10, v16
.LBB378_1483:                           ;   in Loop: Header=BB378_998 Depth=1
	s_or_b32 exec_lo, exec_lo, s18
.LBB378_1484:                           ;   in Loop: Header=BB378_998 Depth=1
	s_or_b32 exec_lo, exec_lo, s17
.LBB378_1485:                           ;   in Loop: Header=BB378_998 Depth=1
	s_or_b32 exec_lo, exec_lo, s16
	s_mov_b32 s16, exec_lo
	v_cmpx_lt_u32_e32 0xffffff, v20
	s_cbranch_execz .LBB378_1493
; %bb.1486:                             ;   in Loop: Header=BB378_998 Depth=1
	v_cmp_ne_u32_sdwa s4, v20, v81 src0_sel:BYTE_3 src1_sel:DWORD
	v_bfrev_b32_e32 v25, 1
	s_and_saveexec_b32 s17, s4
	s_cbranch_execz .LBB378_1492
; %bb.1487:                             ;   in Loop: Header=BB378_998 Depth=1
	v_bfe_u32 v23, v20, 24, 7
	v_mov_b32_e32 v25, 0x7f800001
	s_mov_b32 s18, exec_lo
	v_cmpx_ne_u32_e32 0x7f, v23
	s_cbranch_execz .LBB378_1491
; %bb.1488:                             ;   in Loop: Header=BB378_998 Depth=1
	v_mov_b32_e32 v10, 7
	v_lshrrev_b32_e32 v25, 3, v23
	v_cmp_gt_u32_e64 s4, 8, v23
	v_and_b32_sdwa v10, v20, v10 dst_sel:DWORD dst_unused:UNUSED_PAD src0_sel:BYTE_3 src1_sel:DWORD
	v_mov_b32_e32 v24, v11
	v_mov_b32_e32 v23, v10
	s_and_saveexec_b32 s20, s4
; %bb.1489:                             ;   in Loop: Header=BB378_998 Depth=1
	v_ffbh_u32_e32 v17, v10
	v_min_u32_e32 v17, 32, v17
	v_subrev_nc_u32_e32 v23, 28, v17
	v_sub_nc_u32_e32 v25, 29, v17
	v_lshlrev_b64 v[23:24], v23, v[10:11]
	v_and_b32_e32 v23, 7, v23
; %bb.1490:                             ;   in Loop: Header=BB378_998 Depth=1
	s_or_b32 exec_lo, exec_lo, s20
	v_mov_b32_e32 v10, 24
	v_lshlrev_b32_e32 v17, 20, v23
	v_lshl_add_u32 v23, v25, 23, 0x3c000000
	v_lshlrev_b32_sdwa v10, v10, v20 dst_sel:DWORD dst_unused:UNUSED_PAD src0_sel:DWORD src1_sel:BYTE_3
	v_and_b32_e32 v10, 0x80000000, v10
	v_or3_b32 v25, v17, v10, v23
.LBB378_1491:                           ;   in Loop: Header=BB378_998 Depth=1
	s_or_b32 exec_lo, exec_lo, s18
.LBB378_1492:                           ;   in Loop: Header=BB378_998 Depth=1
	s_or_b32 exec_lo, exec_lo, s17
.LBB378_1493:                           ;   in Loop: Header=BB378_998 Depth=1
	s_or_b32 exec_lo, exec_lo, s16
	v_mov_b32_e32 v10, v21
	v_cmp_ne_u16_sdwa s4, v21, v11 src0_sel:BYTE_0 src1_sel:DWORD
	v_mov_b32_e32 v32, 0
	v_mov_b32_e32 v29, 0
	s_and_saveexec_b32 s16, s4
	s_cbranch_execz .LBB378_1501
; %bb.1494:                             ;   in Loop: Header=BB378_998 Depth=1
	v_cmp_ne_u16_sdwa s4, v21, v81 src0_sel:BYTE_0 src1_sel:DWORD
	v_bfrev_b32_e32 v29, 1
	s_and_saveexec_b32 s17, s4
	s_cbranch_execz .LBB378_1500
; %bb.1495:                             ;   in Loop: Header=BB378_998 Depth=1
	v_and_b32_e32 v23, 0x7f, v21
	v_mov_b32_e32 v29, 0x7f800001
	s_mov_b32 s18, exec_lo
	v_cmpx_ne_u32_e32 0x7f, v23
	s_cbranch_execz .LBB378_1499
; %bb.1496:                             ;   in Loop: Header=BB378_998 Depth=1
	v_lshrrev_b32_e32 v28, 3, v23
	v_cmp_gt_u32_e64 s4, 8, v23
	v_mov_b32_e32 v24, v11
	v_mov_b32_e32 v23, v10
	s_and_saveexec_b32 s20, s4
; %bb.1497:                             ;   in Loop: Header=BB378_998 Depth=1
	v_and_b32_e32 v17, 7, v21
	v_ffbh_u32_e32 v17, v17
	v_min_u32_e32 v17, 32, v17
	v_subrev_nc_u32_e32 v23, 28, v17
	v_sub_nc_u32_e32 v28, 29, v17
	v_lshlrev_b64 v[23:24], v23, v[10:11]
; %bb.1498:                             ;   in Loop: Header=BB378_998 Depth=1
	s_or_b32 exec_lo, exec_lo, s20
	v_lshlrev_b32_e32 v17, 20, v23
	v_lshlrev_b32_e32 v23, 24, v10
	v_lshl_add_u32 v24, v28, 23, 0x3c000000
	v_and_b32_e32 v17, 0x700000, v17
	v_and_b32_e32 v23, 0x80000000, v23
	v_or3_b32 v29, v17, v23, v24
.LBB378_1499:                           ;   in Loop: Header=BB378_998 Depth=1
	s_or_b32 exec_lo, exec_lo, s18
.LBB378_1500:                           ;   in Loop: Header=BB378_998 Depth=1
	s_or_b32 exec_lo, exec_lo, s17
.LBB378_1501:                           ;   in Loop: Header=BB378_998 Depth=1
	s_or_b32 exec_lo, exec_lo, s16
	v_cmp_ne_u16_sdwa s4, v10, v11 src0_sel:BYTE_1 src1_sel:DWORD
	s_and_saveexec_b32 s16, s4
	s_cbranch_execz .LBB378_1509
; %bb.1502:                             ;   in Loop: Header=BB378_998 Depth=1
	v_cmp_ne_u16_sdwa s4, v10, v81 src0_sel:BYTE_1 src1_sel:DWORD
	v_bfrev_b32_e32 v32, 1
	s_and_saveexec_b32 s17, s4
	s_cbranch_execz .LBB378_1508
; %bb.1503:                             ;   in Loop: Header=BB378_998 Depth=1
	v_mov_b32_e32 v17, 0xffff
	v_mov_b32_e32 v32, 0x7f800001
	s_mov_b32 s18, exec_lo
	v_and_b32_sdwa v23, v17, v10 dst_sel:DWORD dst_unused:UNUSED_PAD src0_sel:DWORD src1_sel:BYTE_1
	v_and_b32_e32 v31, 0x7f, v23
	v_cmpx_ne_u32_e32 0x7f, v31
	s_cbranch_execz .LBB378_1507
; %bb.1504:                             ;   in Loop: Header=BB378_998 Depth=1
	v_and_b32_e32 v23, 7, v23
	v_mov_b32_e32 v24, v11
	v_lshrrev_b32_e32 v28, 3, v31
	s_mov_b32 s20, exec_lo
	v_cmpx_gt_u32_e32 8, v31
; %bb.1505:                             ;   in Loop: Header=BB378_998 Depth=1
	v_ffbh_u32_e32 v17, v23
	v_min_u32_e32 v17, 32, v17
	v_subrev_nc_u32_e32 v28, 28, v17
	v_lshlrev_b64 v[23:24], v28, v[23:24]
	v_sub_nc_u32_e32 v28, 29, v17
	v_and_b32_e32 v23, 7, v23
; %bb.1506:                             ;   in Loop: Header=BB378_998 Depth=1
	s_or_b32 exec_lo, exec_lo, s20
	v_lshlrev_b32_e32 v10, 16, v10
	v_lshlrev_b32_e32 v17, 20, v23
	v_lshl_add_u32 v23, v28, 23, 0x3c000000
	v_and_b32_e32 v10, 0x80000000, v10
	v_or3_b32 v32, v17, v10, v23
.LBB378_1507:                           ;   in Loop: Header=BB378_998 Depth=1
	s_or_b32 exec_lo, exec_lo, s18
.LBB378_1508:                           ;   in Loop: Header=BB378_998 Depth=1
	s_or_b32 exec_lo, exec_lo, s17
.LBB378_1509:                           ;   in Loop: Header=BB378_998 Depth=1
	s_or_b32 exec_lo, exec_lo, s16
	v_and_b32_sdwa v10, v21, v83 dst_sel:DWORD dst_unused:UNUSED_PAD src0_sel:WORD_1 src1_sel:DWORD
	v_mov_b32_e32 v28, 0
	v_mov_b32_e32 v31, 0
	s_mov_b32 s16, exec_lo
	v_cmpx_ne_u16_e32 0, v10
	s_cbranch_execz .LBB378_1517
; %bb.1510:                             ;   in Loop: Header=BB378_998 Depth=1
	v_bfrev_b32_e32 v31, 1
	s_mov_b32 s17, exec_lo
	v_cmpx_ne_u16_e32 0x80, v10
	s_cbranch_execz .LBB378_1516
; %bb.1511:                             ;   in Loop: Header=BB378_998 Depth=1
	v_bfe_u32 v23, v21, 16, 7
	v_mov_b32_e32 v31, 0x7f800001
	s_mov_b32 s18, exec_lo
	v_cmpx_ne_u32_e32 0x7f, v23
	s_cbranch_execz .LBB378_1515
; %bb.1512:                             ;   in Loop: Header=BB378_998 Depth=1
	v_mov_b32_e32 v10, 7
	v_lshrrev_b32_e32 v31, 3, v23
	v_cmp_gt_u32_e64 s4, 8, v23
	v_and_b32_sdwa v10, v21, v10 dst_sel:DWORD dst_unused:UNUSED_PAD src0_sel:WORD_1 src1_sel:DWORD
	v_mov_b32_e32 v24, v11
	v_mov_b32_e32 v23, v10
	s_and_saveexec_b32 s20, s4
; %bb.1513:                             ;   in Loop: Header=BB378_998 Depth=1
	v_ffbh_u32_e32 v17, v10
	v_min_u32_e32 v17, 32, v17
	v_subrev_nc_u32_e32 v23, 28, v17
	v_sub_nc_u32_e32 v31, 29, v17
	v_lshlrev_b64 v[23:24], v23, v[10:11]
	v_and_b32_e32 v23, 7, v23
; %bb.1514:                             ;   in Loop: Header=BB378_998 Depth=1
	s_or_b32 exec_lo, exec_lo, s20
	v_mov_b32_e32 v10, 24
	v_lshlrev_b32_e32 v17, 20, v23
	v_lshl_add_u32 v23, v31, 23, 0x3c000000
	v_lshlrev_b32_sdwa v10, v10, v21 dst_sel:DWORD dst_unused:UNUSED_PAD src0_sel:DWORD src1_sel:WORD_1
	v_and_b32_e32 v10, 0x80000000, v10
	v_or3_b32 v31, v17, v10, v23
.LBB378_1515:                           ;   in Loop: Header=BB378_998 Depth=1
	s_or_b32 exec_lo, exec_lo, s18
.LBB378_1516:                           ;   in Loop: Header=BB378_998 Depth=1
	s_or_b32 exec_lo, exec_lo, s17
.LBB378_1517:                           ;   in Loop: Header=BB378_998 Depth=1
	s_or_b32 exec_lo, exec_lo, s16
	s_mov_b32 s16, exec_lo
	v_cmpx_lt_u64_e64 s[12:13], v[20:21]
	s_cbranch_execz .LBB378_1525
; %bb.1518:                             ;   in Loop: Header=BB378_998 Depth=1
	v_cmp_ne_u32_sdwa s4, v21, v81 src0_sel:BYTE_3 src1_sel:DWORD
	v_bfrev_b32_e32 v28, 1
	s_and_saveexec_b32 s17, s4
	s_cbranch_execz .LBB378_1524
; %bb.1519:                             ;   in Loop: Header=BB378_998 Depth=1
	v_bfe_u32 v23, v21, 24, 7
	v_mov_b32_e32 v28, 0x7f800001
	s_mov_b32 s18, exec_lo
	v_cmpx_ne_u32_e32 0x7f, v23
	s_cbranch_execz .LBB378_1523
; %bb.1520:                             ;   in Loop: Header=BB378_998 Depth=1
	v_mov_b32_e32 v10, 7
	v_lshrrev_b32_e32 v20, 3, v23
	v_cmp_gt_u32_e64 s4, 8, v23
	v_and_b32_sdwa v10, v21, v10 dst_sel:DWORD dst_unused:UNUSED_PAD src0_sel:BYTE_3 src1_sel:DWORD
	v_mov_b32_e32 v24, v11
	v_mov_b32_e32 v23, v10
	s_and_saveexec_b32 s20, s4
; %bb.1521:                             ;   in Loop: Header=BB378_998 Depth=1
	v_ffbh_u32_e32 v17, v10
	v_min_u32_e32 v17, 32, v17
	v_subrev_nc_u32_e32 v20, 28, v17
	v_lshlrev_b64 v[23:24], v20, v[10:11]
	v_sub_nc_u32_e32 v20, 29, v17
	v_and_b32_e32 v23, 7, v23
; %bb.1522:                             ;   in Loop: Header=BB378_998 Depth=1
	s_or_b32 exec_lo, exec_lo, s20
	v_mov_b32_e32 v10, 24
	v_lshlrev_b32_e32 v17, 20, v23
	v_lshl_add_u32 v20, v20, 23, 0x3c000000
	v_lshlrev_b32_sdwa v10, v10, v21 dst_sel:DWORD dst_unused:UNUSED_PAD src0_sel:DWORD src1_sel:BYTE_3
	v_and_b32_e32 v10, 0x80000000, v10
	v_or3_b32 v28, v17, v10, v20
.LBB378_1523:                           ;   in Loop: Header=BB378_998 Depth=1
	s_or_b32 exec_lo, exec_lo, s18
.LBB378_1524:                           ;   in Loop: Header=BB378_998 Depth=1
	s_or_b32 exec_lo, exec_lo, s17
.LBB378_1525:                           ;   in Loop: Header=BB378_998 Depth=1
	s_or_b32 exec_lo, exec_lo, s16
	v_mul_f32_e32 v10, v57, v32
	v_bfe_u32 v17, v10, 16, 1
	v_or_b32_e32 v20, 0x400000, v10
	v_cmp_u_f32_e64 s4, v10, v10
	v_add3_u32 v17, v17, v10, 0x7fff
	v_cndmask_b32_e64 v10, v17, v20, s4
	v_lshrrev_b32_e32 v122, 16, v10
	v_mul_f32_e32 v10, v57, v29
	v_bfe_u32 v17, v10, 16, 1
	v_or_b32_e32 v20, 0x400000, v10
	v_cmp_u_f32_e64 s4, v10, v10
	v_add3_u32 v17, v17, v10, 0x7fff
	v_cndmask_b32_e64 v10, v17, v20, s4
	v_lshrrev_b32_e32 v123, 16, v10
	;; [unrolled: 7-line block ×8, first 2 shown]
	s_and_saveexec_b32 s16, vcc_lo
	s_cbranch_execz .LBB378_1527
; %bb.1526:                             ;   in Loop: Header=BB378_998 Depth=1
	v_cmp_lt_i32_e64 s4, v74, v38
	v_cndmask_b32_e64 v29, 0, v29, s4
	v_cmp_lt_i32_e64 s4, v89, v38
	v_cndmask_b32_e64 v127, 0, v127, s4
	;; [unrolled: 2-line block ×8, first 2 shown]
.LBB378_1527:                           ;   in Loop: Header=BB378_998 Depth=1
	s_or_b32 exec_lo, exec_lo, s16
	v_add_co_u32 v18, s4, 0x800, v18
	v_add_co_ci_u32_e64 v19, null, 0, v19, s4
	v_mov_b32_e32 v25, 0
	v_mov_b32_e32 v16, 0
	flat_load_dwordx2 v[20:21], v[18:19]
	s_waitcnt vmcnt(0) lgkmcnt(0)
	v_cmp_ne_u16_sdwa s4, v20, v11 src0_sel:BYTE_0 src1_sel:DWORD
	s_and_saveexec_b32 s16, s4
	s_cbranch_execz .LBB378_1535
; %bb.1528:                             ;   in Loop: Header=BB378_998 Depth=1
	v_cmp_ne_u16_sdwa s4, v20, v81 src0_sel:BYTE_0 src1_sel:DWORD
	v_bfrev_b32_e32 v16, 1
	s_and_saveexec_b32 s17, s4
	s_cbranch_execz .LBB378_1534
; %bb.1529:                             ;   in Loop: Header=BB378_998 Depth=1
	v_and_b32_e32 v12, 0x7f, v20
	v_mov_b32_e32 v16, 0x7f800001
	s_mov_b32 s18, exec_lo
	v_cmpx_ne_u32_e32 0x7f, v12
	s_cbranch_execz .LBB378_1533
; %bb.1530:                             ;   in Loop: Header=BB378_998 Depth=1
	v_mov_b32_e32 v24, v21
	v_lshrrev_b32_e32 v10, 3, v12
	v_mov_b32_e32 v23, v20
	s_mov_b32 s20, exec_lo
	v_cmpx_gt_u32_e32 8, v12
; %bb.1531:                             ;   in Loop: Header=BB378_998 Depth=1
	v_and_b32_e32 v10, 7, v20
	v_ffbh_u32_e32 v10, v10
	v_min_u32_e32 v10, 32, v10
	v_subrev_nc_u32_e32 v12, 28, v10
	v_sub_nc_u32_e32 v10, 29, v10
	v_lshlrev_b64 v[23:24], v12, v[20:21]
; %bb.1532:                             ;   in Loop: Header=BB378_998 Depth=1
	s_or_b32 exec_lo, exec_lo, s20
	v_lshlrev_b32_e32 v12, 20, v23
	v_lshlrev_b32_e32 v13, 24, v20
	v_lshl_add_u32 v10, v10, 23, 0x3c000000
	v_and_b32_e32 v12, 0x700000, v12
	v_and_b32_e32 v13, 0x80000000, v13
	v_or3_b32 v16, v12, v13, v10
.LBB378_1533:                           ;   in Loop: Header=BB378_998 Depth=1
	s_or_b32 exec_lo, exec_lo, s18
.LBB378_1534:                           ;   in Loop: Header=BB378_998 Depth=1
	s_or_b32 exec_lo, exec_lo, s17
.LBB378_1535:                           ;   in Loop: Header=BB378_998 Depth=1
	s_or_b32 exec_lo, exec_lo, s16
	v_cmp_ne_u16_sdwa s4, v20, v11 src0_sel:BYTE_1 src1_sel:DWORD
	s_and_saveexec_b32 s16, s4
	s_cbranch_execz .LBB378_1543
; %bb.1536:                             ;   in Loop: Header=BB378_998 Depth=1
	v_cmp_ne_u16_sdwa s4, v20, v81 src0_sel:BYTE_1 src1_sel:DWORD
	v_bfrev_b32_e32 v25, 1
	s_and_saveexec_b32 s17, s4
	s_cbranch_execz .LBB378_1542
; %bb.1537:                             ;   in Loop: Header=BB378_998 Depth=1
	v_mov_b32_e32 v10, 0xffff
	v_mov_b32_e32 v25, 0x7f800001
	s_mov_b32 s18, exec_lo
	v_and_b32_sdwa v10, v10, v20 dst_sel:DWORD dst_unused:UNUSED_PAD src0_sel:DWORD src1_sel:BYTE_1
	v_and_b32_e32 v13, 0x7f, v10
	v_cmpx_ne_u32_e32 0x7f, v13
	s_cbranch_execz .LBB378_1541
; %bb.1538:                             ;   in Loop: Header=BB378_998 Depth=1
	v_and_b32_e32 v10, 7, v10
	v_mov_b32_e32 v24, v11
	v_lshrrev_b32_e32 v12, 3, v13
	s_mov_b32 s20, exec_lo
	v_mov_b32_e32 v23, v10
	v_cmpx_gt_u32_e32 8, v13
; %bb.1539:                             ;   in Loop: Header=BB378_998 Depth=1
	v_ffbh_u32_e32 v12, v10
	v_min_u32_e32 v12, 32, v12
	v_subrev_nc_u32_e32 v13, 28, v12
	v_sub_nc_u32_e32 v12, 29, v12
	v_lshlrev_b64 v[23:24], v13, v[10:11]
	v_and_b32_e32 v23, 7, v23
; %bb.1540:                             ;   in Loop: Header=BB378_998 Depth=1
	s_or_b32 exec_lo, exec_lo, s20
	v_lshlrev_b32_e32 v10, 16, v20
	v_lshlrev_b32_e32 v13, 20, v23
	v_lshl_add_u32 v12, v12, 23, 0x3c000000
	v_and_b32_e32 v10, 0x80000000, v10
	v_or3_b32 v25, v13, v10, v12
.LBB378_1541:                           ;   in Loop: Header=BB378_998 Depth=1
	s_or_b32 exec_lo, exec_lo, s18
.LBB378_1542:                           ;   in Loop: Header=BB378_998 Depth=1
	s_or_b32 exec_lo, exec_lo, s17
.LBB378_1543:                           ;   in Loop: Header=BB378_998 Depth=1
	s_or_b32 exec_lo, exec_lo, s16
	v_and_b32_sdwa v10, v20, v83 dst_sel:DWORD dst_unused:UNUSED_PAD src0_sel:WORD_1 src1_sel:DWORD
	v_mov_b32_e32 v13, 0
	v_mov_b32_e32 v28, 0
	s_mov_b32 s16, exec_lo
	v_cmpx_ne_u16_e32 0, v10
	s_cbranch_execz .LBB378_1551
; %bb.1544:                             ;   in Loop: Header=BB378_998 Depth=1
	v_bfrev_b32_e32 v28, 1
	s_mov_b32 s17, exec_lo
	v_cmpx_ne_u16_e32 0x80, v10
	s_cbranch_execz .LBB378_1550
; %bb.1545:                             ;   in Loop: Header=BB378_998 Depth=1
	v_bfe_u32 v23, v20, 16, 7
	v_mov_b32_e32 v28, 0x7f800001
	s_mov_b32 s18, exec_lo
	v_cmpx_ne_u32_e32 0x7f, v23
	s_cbranch_execz .LBB378_1549
; %bb.1546:                             ;   in Loop: Header=BB378_998 Depth=1
	v_mov_b32_e32 v10, 7
	v_lshrrev_b32_e32 v12, 3, v23
	v_cmp_gt_u32_e64 s4, 8, v23
	v_and_b32_sdwa v10, v20, v10 dst_sel:DWORD dst_unused:UNUSED_PAD src0_sel:WORD_1 src1_sel:DWORD
	v_mov_b32_e32 v24, v11
	v_mov_b32_e32 v23, v10
	s_and_saveexec_b32 s20, s4
; %bb.1547:                             ;   in Loop: Header=BB378_998 Depth=1
	v_ffbh_u32_e32 v12, v10
	v_min_u32_e32 v12, 32, v12
	v_subrev_nc_u32_e32 v17, 28, v12
	v_sub_nc_u32_e32 v12, 29, v12
	v_lshlrev_b64 v[23:24], v17, v[10:11]
	v_and_b32_e32 v23, 7, v23
; %bb.1548:                             ;   in Loop: Header=BB378_998 Depth=1
	s_or_b32 exec_lo, exec_lo, s20
	v_mov_b32_e32 v10, 24
	v_lshlrev_b32_e32 v17, 20, v23
	v_lshl_add_u32 v12, v12, 23, 0x3c000000
	v_lshlrev_b32_sdwa v10, v10, v20 dst_sel:DWORD dst_unused:UNUSED_PAD src0_sel:DWORD src1_sel:WORD_1
	v_and_b32_e32 v10, 0x80000000, v10
	v_or3_b32 v28, v17, v10, v12
.LBB378_1549:                           ;   in Loop: Header=BB378_998 Depth=1
	s_or_b32 exec_lo, exec_lo, s18
.LBB378_1550:                           ;   in Loop: Header=BB378_998 Depth=1
	s_or_b32 exec_lo, exec_lo, s17
.LBB378_1551:                           ;   in Loop: Header=BB378_998 Depth=1
	s_or_b32 exec_lo, exec_lo, s16
	s_mov_b32 s16, exec_lo
	v_cmpx_lt_u32_e32 0xffffff, v20
	s_cbranch_execz .LBB378_1559
; %bb.1552:                             ;   in Loop: Header=BB378_998 Depth=1
	v_cmp_ne_u32_sdwa s4, v20, v81 src0_sel:BYTE_3 src1_sel:DWORD
	v_bfrev_b32_e32 v13, 1
	s_and_saveexec_b32 s17, s4
	s_cbranch_execz .LBB378_1558
; %bb.1553:                             ;   in Loop: Header=BB378_998 Depth=1
	v_bfe_u32 v23, v20, 24, 7
	v_mov_b32_e32 v13, 0x7f800001
	s_mov_b32 s18, exec_lo
	v_cmpx_ne_u32_e32 0x7f, v23
	s_cbranch_execz .LBB378_1557
; %bb.1554:                             ;   in Loop: Header=BB378_998 Depth=1
	v_mov_b32_e32 v10, 7
	v_lshrrev_b32_e32 v12, 3, v23
	v_cmp_gt_u32_e64 s4, 8, v23
	v_and_b32_sdwa v10, v20, v10 dst_sel:DWORD dst_unused:UNUSED_PAD src0_sel:BYTE_3 src1_sel:DWORD
	v_mov_b32_e32 v24, v11
	v_mov_b32_e32 v23, v10
	s_and_saveexec_b32 s20, s4
; %bb.1555:                             ;   in Loop: Header=BB378_998 Depth=1
	v_ffbh_u32_e32 v12, v10
	v_min_u32_e32 v12, 32, v12
	v_subrev_nc_u32_e32 v13, 28, v12
	v_sub_nc_u32_e32 v12, 29, v12
	v_lshlrev_b64 v[23:24], v13, v[10:11]
	v_and_b32_e32 v23, 7, v23
; %bb.1556:                             ;   in Loop: Header=BB378_998 Depth=1
	s_or_b32 exec_lo, exec_lo, s20
	v_mov_b32_e32 v10, 24
	v_lshlrev_b32_e32 v13, 20, v23
	v_lshl_add_u32 v12, v12, 23, 0x3c000000
	v_lshlrev_b32_sdwa v10, v10, v20 dst_sel:DWORD dst_unused:UNUSED_PAD src0_sel:DWORD src1_sel:BYTE_3
	v_and_b32_e32 v10, 0x80000000, v10
	v_or3_b32 v13, v13, v10, v12
.LBB378_1557:                           ;   in Loop: Header=BB378_998 Depth=1
	s_or_b32 exec_lo, exec_lo, s18
.LBB378_1558:                           ;   in Loop: Header=BB378_998 Depth=1
	s_or_b32 exec_lo, exec_lo, s17
.LBB378_1559:                           ;   in Loop: Header=BB378_998 Depth=1
	s_or_b32 exec_lo, exec_lo, s16
	v_mov_b32_e32 v10, v21
	v_cmp_ne_u16_sdwa s4, v21, v11 src0_sel:BYTE_0 src1_sel:DWORD
	v_mov_b32_e32 v32, 0
	v_mov_b32_e32 v12, 0
	s_and_saveexec_b32 s16, s4
	s_cbranch_execz .LBB378_1567
; %bb.1560:                             ;   in Loop: Header=BB378_998 Depth=1
	v_cmp_ne_u16_sdwa s4, v21, v81 src0_sel:BYTE_0 src1_sel:DWORD
	v_bfrev_b32_e32 v12, 1
	s_and_saveexec_b32 s17, s4
	s_cbranch_execz .LBB378_1566
; %bb.1561:                             ;   in Loop: Header=BB378_998 Depth=1
	v_and_b32_e32 v23, 0x7f, v21
	v_mov_b32_e32 v12, 0x7f800001
	s_mov_b32 s18, exec_lo
	v_cmpx_ne_u32_e32 0x7f, v23
	s_cbranch_execz .LBB378_1565
; %bb.1562:                             ;   in Loop: Header=BB378_998 Depth=1
	v_lshrrev_b32_e32 v12, 3, v23
	v_cmp_gt_u32_e64 s4, 8, v23
	v_mov_b32_e32 v24, v11
	v_mov_b32_e32 v23, v10
	s_and_saveexec_b32 s20, s4
; %bb.1563:                             ;   in Loop: Header=BB378_998 Depth=1
	v_and_b32_e32 v12, 7, v21
	v_ffbh_u32_e32 v12, v12
	v_min_u32_e32 v12, 32, v12
	v_subrev_nc_u32_e32 v17, 28, v12
	v_sub_nc_u32_e32 v12, 29, v12
	v_lshlrev_b64 v[23:24], v17, v[10:11]
; %bb.1564:                             ;   in Loop: Header=BB378_998 Depth=1
	s_or_b32 exec_lo, exec_lo, s20
	v_lshlrev_b32_e32 v17, 20, v23
	v_lshlrev_b32_e32 v23, 24, v10
	v_lshl_add_u32 v12, v12, 23, 0x3c000000
	v_and_b32_e32 v17, 0x700000, v17
	v_and_b32_e32 v23, 0x80000000, v23
	v_or3_b32 v12, v17, v23, v12
.LBB378_1565:                           ;   in Loop: Header=BB378_998 Depth=1
	s_or_b32 exec_lo, exec_lo, s18
.LBB378_1566:                           ;   in Loop: Header=BB378_998 Depth=1
	s_or_b32 exec_lo, exec_lo, s17
.LBB378_1567:                           ;   in Loop: Header=BB378_998 Depth=1
	s_or_b32 exec_lo, exec_lo, s16
	v_cmp_ne_u16_sdwa s4, v10, v11 src0_sel:BYTE_1 src1_sel:DWORD
	s_and_saveexec_b32 s16, s4
	s_cbranch_execz .LBB378_1575
; %bb.1568:                             ;   in Loop: Header=BB378_998 Depth=1
	v_cmp_ne_u16_sdwa s4, v10, v81 src0_sel:BYTE_1 src1_sel:DWORD
	v_bfrev_b32_e32 v32, 1
	s_and_saveexec_b32 s17, s4
	s_cbranch_execz .LBB378_1574
; %bb.1569:                             ;   in Loop: Header=BB378_998 Depth=1
	v_mov_b32_e32 v17, 0xffff
	v_mov_b32_e32 v32, 0x7f800001
	s_mov_b32 s18, exec_lo
	v_and_b32_sdwa v23, v17, v10 dst_sel:DWORD dst_unused:UNUSED_PAD src0_sel:DWORD src1_sel:BYTE_1
	v_and_b32_e32 v33, 0x7f, v23
	v_cmpx_ne_u32_e32 0x7f, v33
	s_cbranch_execz .LBB378_1573
; %bb.1570:                             ;   in Loop: Header=BB378_998 Depth=1
	v_and_b32_e32 v23, 7, v23
	v_mov_b32_e32 v24, v11
	v_lshrrev_b32_e32 v31, 3, v33
	s_mov_b32 s20, exec_lo
	v_cmpx_gt_u32_e32 8, v33
; %bb.1571:                             ;   in Loop: Header=BB378_998 Depth=1
	v_ffbh_u32_e32 v17, v23
	v_min_u32_e32 v17, 32, v17
	v_subrev_nc_u32_e32 v31, 28, v17
	v_lshlrev_b64 v[23:24], v31, v[23:24]
	v_sub_nc_u32_e32 v31, 29, v17
	v_and_b32_e32 v23, 7, v23
; %bb.1572:                             ;   in Loop: Header=BB378_998 Depth=1
	s_or_b32 exec_lo, exec_lo, s20
	v_lshlrev_b32_e32 v10, 16, v10
	v_lshlrev_b32_e32 v17, 20, v23
	v_lshl_add_u32 v23, v31, 23, 0x3c000000
	v_and_b32_e32 v10, 0x80000000, v10
	v_or3_b32 v32, v17, v10, v23
.LBB378_1573:                           ;   in Loop: Header=BB378_998 Depth=1
	s_or_b32 exec_lo, exec_lo, s18
.LBB378_1574:                           ;   in Loop: Header=BB378_998 Depth=1
	s_or_b32 exec_lo, exec_lo, s17
.LBB378_1575:                           ;   in Loop: Header=BB378_998 Depth=1
	s_or_b32 exec_lo, exec_lo, s16
	v_and_b32_sdwa v10, v21, v83 dst_sel:DWORD dst_unused:UNUSED_PAD src0_sel:WORD_1 src1_sel:DWORD
	v_mov_b32_e32 v34, 0
	v_mov_b32_e32 v31, 0
	s_mov_b32 s16, exec_lo
	v_cmpx_ne_u16_e32 0, v10
	s_cbranch_execz .LBB378_1583
; %bb.1576:                             ;   in Loop: Header=BB378_998 Depth=1
	v_bfrev_b32_e32 v31, 1
	s_mov_b32 s17, exec_lo
	v_cmpx_ne_u16_e32 0x80, v10
	s_cbranch_execz .LBB378_1582
; %bb.1577:                             ;   in Loop: Header=BB378_998 Depth=1
	v_bfe_u32 v23, v21, 16, 7
	v_mov_b32_e32 v31, 0x7f800001
	s_mov_b32 s18, exec_lo
	v_cmpx_ne_u32_e32 0x7f, v23
	s_cbranch_execz .LBB378_1581
; %bb.1578:                             ;   in Loop: Header=BB378_998 Depth=1
	v_mov_b32_e32 v10, 7
	v_lshrrev_b32_e32 v31, 3, v23
	v_cmp_gt_u32_e64 s4, 8, v23
	v_and_b32_sdwa v10, v21, v10 dst_sel:DWORD dst_unused:UNUSED_PAD src0_sel:WORD_1 src1_sel:DWORD
	v_mov_b32_e32 v24, v11
	v_mov_b32_e32 v23, v10
	s_and_saveexec_b32 s20, s4
; %bb.1579:                             ;   in Loop: Header=BB378_998 Depth=1
	v_ffbh_u32_e32 v17, v10
	v_min_u32_e32 v17, 32, v17
	v_subrev_nc_u32_e32 v23, 28, v17
	v_sub_nc_u32_e32 v31, 29, v17
	v_lshlrev_b64 v[23:24], v23, v[10:11]
	v_and_b32_e32 v23, 7, v23
; %bb.1580:                             ;   in Loop: Header=BB378_998 Depth=1
	s_or_b32 exec_lo, exec_lo, s20
	v_mov_b32_e32 v10, 24
	v_lshlrev_b32_e32 v17, 20, v23
	v_lshl_add_u32 v23, v31, 23, 0x3c000000
	v_lshlrev_b32_sdwa v10, v10, v21 dst_sel:DWORD dst_unused:UNUSED_PAD src0_sel:DWORD src1_sel:WORD_1
	v_and_b32_e32 v10, 0x80000000, v10
	v_or3_b32 v31, v17, v10, v23
.LBB378_1581:                           ;   in Loop: Header=BB378_998 Depth=1
	s_or_b32 exec_lo, exec_lo, s18
.LBB378_1582:                           ;   in Loop: Header=BB378_998 Depth=1
	s_or_b32 exec_lo, exec_lo, s17
.LBB378_1583:                           ;   in Loop: Header=BB378_998 Depth=1
	s_or_b32 exec_lo, exec_lo, s16
	s_mov_b32 s16, exec_lo
	v_cmpx_lt_u64_e64 s[12:13], v[20:21]
	s_cbranch_execz .LBB378_1591
; %bb.1584:                             ;   in Loop: Header=BB378_998 Depth=1
	v_cmp_ne_u32_sdwa s4, v21, v81 src0_sel:BYTE_3 src1_sel:DWORD
	v_bfrev_b32_e32 v34, 1
	s_and_saveexec_b32 s17, s4
	s_cbranch_execz .LBB378_1590
; %bb.1585:                             ;   in Loop: Header=BB378_998 Depth=1
	v_bfe_u32 v23, v21, 24, 7
	v_mov_b32_e32 v34, 0x7f800001
	s_mov_b32 s18, exec_lo
	v_cmpx_ne_u32_e32 0x7f, v23
	s_cbranch_execz .LBB378_1589
; %bb.1586:                             ;   in Loop: Header=BB378_998 Depth=1
	v_mov_b32_e32 v10, 7
	v_lshrrev_b32_e32 v20, 3, v23
	v_cmp_gt_u32_e64 s4, 8, v23
	v_and_b32_sdwa v10, v21, v10 dst_sel:DWORD dst_unused:UNUSED_PAD src0_sel:BYTE_3 src1_sel:DWORD
	v_mov_b32_e32 v24, v11
	v_mov_b32_e32 v23, v10
	s_and_saveexec_b32 s20, s4
; %bb.1587:                             ;   in Loop: Header=BB378_998 Depth=1
	v_ffbh_u32_e32 v17, v10
	v_min_u32_e32 v17, 32, v17
	v_subrev_nc_u32_e32 v20, 28, v17
	v_lshlrev_b64 v[23:24], v20, v[10:11]
	v_sub_nc_u32_e32 v20, 29, v17
	v_and_b32_e32 v23, 7, v23
; %bb.1588:                             ;   in Loop: Header=BB378_998 Depth=1
	s_or_b32 exec_lo, exec_lo, s20
	v_mov_b32_e32 v10, 24
	v_lshlrev_b32_e32 v17, 20, v23
	v_lshl_add_u32 v20, v20, 23, 0x3c000000
	v_lshlrev_b32_sdwa v10, v10, v21 dst_sel:DWORD dst_unused:UNUSED_PAD src0_sel:DWORD src1_sel:BYTE_3
	v_and_b32_e32 v10, 0x80000000, v10
	v_or3_b32 v34, v17, v10, v20
.LBB378_1589:                           ;   in Loop: Header=BB378_998 Depth=1
	s_or_b32 exec_lo, exec_lo, s18
.LBB378_1590:                           ;   in Loop: Header=BB378_998 Depth=1
	s_or_b32 exec_lo, exec_lo, s17
.LBB378_1591:                           ;   in Loop: Header=BB378_998 Depth=1
	s_or_b32 exec_lo, exec_lo, s16
	v_mul_f32_e32 v10, v57, v32
	v_bfe_u32 v17, v10, 16, 1
	v_or_b32_e32 v20, 0x400000, v10
	v_cmp_u_f32_e64 s4, v10, v10
	v_add3_u32 v17, v17, v10, 0x7fff
	v_cndmask_b32_e64 v10, v17, v20, s4
	v_lshrrev_b32_e32 v86, 16, v10
	v_mul_f32_e32 v10, v57, v12
	v_bfe_u32 v12, v10, 16, 1
	v_or_b32_e32 v17, 0x400000, v10
	v_cmp_u_f32_e64 s4, v10, v10
	v_add3_u32 v12, v12, v10, 0x7fff
	v_cndmask_b32_e64 v10, v12, v17, s4
	v_lshrrev_b32_e32 v12, 16, v10
	;; [unrolled: 7-line block ×8, first 2 shown]
	s_and_saveexec_b32 s16, vcc_lo
	s_cbranch_execz .LBB378_1593
; %bb.1592:                             ;   in Loop: Header=BB378_998 Depth=1
	v_cmp_lt_i32_e64 s4, v74, v38
	v_cndmask_b32_e64 v33, 0, v33, s4
	v_cmp_lt_i32_e64 s4, v89, v38
	v_cndmask_b32_e64 v32, 0, v32, s4
	;; [unrolled: 2-line block ×8, first 2 shown]
.LBB378_1593:                           ;   in Loop: Header=BB378_998 Depth=1
	s_or_b32 exec_lo, exec_lo, s16
	flat_load_dwordx2 v[20:21], v[18:19] offset:256
	v_mov_b32_e32 v25, 0
	v_mov_b32_e32 v16, 0
	s_waitcnt vmcnt(0) lgkmcnt(0)
	v_cmp_ne_u16_sdwa s4, v20, v11 src0_sel:BYTE_0 src1_sel:DWORD
	s_and_saveexec_b32 s16, s4
	s_cbranch_execz .LBB378_1601
; %bb.1594:                             ;   in Loop: Header=BB378_998 Depth=1
	v_cmp_ne_u16_sdwa s4, v20, v81 src0_sel:BYTE_0 src1_sel:DWORD
	v_bfrev_b32_e32 v16, 1
	s_and_saveexec_b32 s17, s4
	s_cbranch_execz .LBB378_1600
; %bb.1595:                             ;   in Loop: Header=BB378_998 Depth=1
	v_and_b32_e32 v23, 0x7f, v20
	v_mov_b32_e32 v16, 0x7f800001
	s_mov_b32 s18, exec_lo
	v_cmpx_ne_u32_e32 0x7f, v23
	s_cbranch_execz .LBB378_1599
; %bb.1596:                             ;   in Loop: Header=BB378_998 Depth=1
	v_lshrrev_b32_e32 v10, 3, v23
	v_cmp_gt_u32_e64 s4, 8, v23
	v_mov_b32_e32 v24, v21
	v_mov_b32_e32 v23, v20
	s_and_saveexec_b32 s20, s4
; %bb.1597:                             ;   in Loop: Header=BB378_998 Depth=1
	v_and_b32_e32 v10, 7, v20
	v_ffbh_u32_e32 v10, v10
	v_min_u32_e32 v10, 32, v10
	v_subrev_nc_u32_e32 v16, 28, v10
	v_sub_nc_u32_e32 v10, 29, v10
	v_lshlrev_b64 v[23:24], v16, v[20:21]
; %bb.1598:                             ;   in Loop: Header=BB378_998 Depth=1
	s_or_b32 exec_lo, exec_lo, s20
	v_lshlrev_b32_e32 v16, 20, v23
	v_lshlrev_b32_e32 v17, 24, v20
	v_lshl_add_u32 v10, v10, 23, 0x3c000000
	v_and_b32_e32 v16, 0x700000, v16
	v_and_b32_e32 v17, 0x80000000, v17
	v_or3_b32 v16, v16, v17, v10
.LBB378_1599:                           ;   in Loop: Header=BB378_998 Depth=1
	s_or_b32 exec_lo, exec_lo, s18
.LBB378_1600:                           ;   in Loop: Header=BB378_998 Depth=1
	s_or_b32 exec_lo, exec_lo, s17
.LBB378_1601:                           ;   in Loop: Header=BB378_998 Depth=1
	s_or_b32 exec_lo, exec_lo, s16
	v_cmp_ne_u16_sdwa s4, v20, v11 src0_sel:BYTE_1 src1_sel:DWORD
	s_and_saveexec_b32 s16, s4
	s_cbranch_execz .LBB378_1609
; %bb.1602:                             ;   in Loop: Header=BB378_998 Depth=1
	v_cmp_ne_u16_sdwa s4, v20, v81 src0_sel:BYTE_1 src1_sel:DWORD
	v_bfrev_b32_e32 v25, 1
	s_and_saveexec_b32 s17, s4
	s_cbranch_execz .LBB378_1608
; %bb.1603:                             ;   in Loop: Header=BB378_998 Depth=1
	v_mov_b32_e32 v10, 0xffff
	v_mov_b32_e32 v25, 0x7f800001
	s_mov_b32 s18, exec_lo
	v_and_b32_sdwa v10, v10, v20 dst_sel:DWORD dst_unused:UNUSED_PAD src0_sel:DWORD src1_sel:BYTE_1
	v_and_b32_e32 v23, 0x7f, v10
	v_cmpx_ne_u32_e32 0x7f, v23
	s_cbranch_execz .LBB378_1607
; %bb.1604:                             ;   in Loop: Header=BB378_998 Depth=1
	v_and_b32_e32 v10, 7, v10
	v_lshrrev_b32_e32 v25, 3, v23
	v_cmp_gt_u32_e64 s4, 8, v23
	v_mov_b32_e32 v24, v11
	v_mov_b32_e32 v23, v10
	s_and_saveexec_b32 s20, s4
; %bb.1605:                             ;   in Loop: Header=BB378_998 Depth=1
	v_ffbh_u32_e32 v17, v10
	v_min_u32_e32 v17, 32, v17
	v_subrev_nc_u32_e32 v23, 28, v17
	v_sub_nc_u32_e32 v25, 29, v17
	v_lshlrev_b64 v[23:24], v23, v[10:11]
	v_and_b32_e32 v23, 7, v23
; %bb.1606:                             ;   in Loop: Header=BB378_998 Depth=1
	s_or_b32 exec_lo, exec_lo, s20
	v_lshlrev_b32_e32 v10, 16, v20
	v_lshlrev_b32_e32 v17, 20, v23
	v_lshl_add_u32 v23, v25, 23, 0x3c000000
	v_and_b32_e32 v10, 0x80000000, v10
	v_or3_b32 v25, v17, v10, v23
.LBB378_1607:                           ;   in Loop: Header=BB378_998 Depth=1
	s_or_b32 exec_lo, exec_lo, s18
.LBB378_1608:                           ;   in Loop: Header=BB378_998 Depth=1
	s_or_b32 exec_lo, exec_lo, s17
.LBB378_1609:                           ;   in Loop: Header=BB378_998 Depth=1
	s_or_b32 exec_lo, exec_lo, s16
	v_and_b32_sdwa v10, v20, v83 dst_sel:DWORD dst_unused:UNUSED_PAD src0_sel:WORD_1 src1_sel:DWORD
	v_mov_b32_e32 v50, 0
	v_mov_b32_e32 v28, 0
	s_mov_b32 s16, exec_lo
	v_cmpx_ne_u16_e32 0, v10
	s_cbranch_execz .LBB378_1617
; %bb.1610:                             ;   in Loop: Header=BB378_998 Depth=1
	v_bfrev_b32_e32 v28, 1
	s_mov_b32 s17, exec_lo
	v_cmpx_ne_u16_e32 0x80, v10
	s_cbranch_execz .LBB378_1616
; %bb.1611:                             ;   in Loop: Header=BB378_998 Depth=1
	v_bfe_u32 v23, v20, 16, 7
	v_mov_b32_e32 v28, 0x7f800001
	s_mov_b32 s18, exec_lo
	v_cmpx_ne_u32_e32 0x7f, v23
	s_cbranch_execz .LBB378_1615
; %bb.1612:                             ;   in Loop: Header=BB378_998 Depth=1
	v_mov_b32_e32 v10, 7
	v_lshrrev_b32_e32 v28, 3, v23
	v_cmp_gt_u32_e64 s4, 8, v23
	v_and_b32_sdwa v10, v20, v10 dst_sel:DWORD dst_unused:UNUSED_PAD src0_sel:WORD_1 src1_sel:DWORD
	v_mov_b32_e32 v24, v11
	v_mov_b32_e32 v23, v10
	s_and_saveexec_b32 s20, s4
; %bb.1613:                             ;   in Loop: Header=BB378_998 Depth=1
	v_ffbh_u32_e32 v17, v10
	v_min_u32_e32 v17, 32, v17
	v_subrev_nc_u32_e32 v23, 28, v17
	v_sub_nc_u32_e32 v28, 29, v17
	v_lshlrev_b64 v[23:24], v23, v[10:11]
	v_and_b32_e32 v23, 7, v23
; %bb.1614:                             ;   in Loop: Header=BB378_998 Depth=1
	s_or_b32 exec_lo, exec_lo, s20
	v_mov_b32_e32 v10, 24
	v_lshlrev_b32_e32 v17, 20, v23
	v_lshl_add_u32 v23, v28, 23, 0x3c000000
	v_lshlrev_b32_sdwa v10, v10, v20 dst_sel:DWORD dst_unused:UNUSED_PAD src0_sel:DWORD src1_sel:WORD_1
	v_and_b32_e32 v10, 0x80000000, v10
	v_or3_b32 v28, v17, v10, v23
.LBB378_1615:                           ;   in Loop: Header=BB378_998 Depth=1
	s_or_b32 exec_lo, exec_lo, s18
.LBB378_1616:                           ;   in Loop: Header=BB378_998 Depth=1
	s_or_b32 exec_lo, exec_lo, s17
.LBB378_1617:                           ;   in Loop: Header=BB378_998 Depth=1
	s_or_b32 exec_lo, exec_lo, s16
	s_mov_b32 s16, exec_lo
	v_cmpx_lt_u32_e32 0xffffff, v20
	s_cbranch_execz .LBB378_1625
; %bb.1618:                             ;   in Loop: Header=BB378_998 Depth=1
	v_cmp_ne_u32_sdwa s4, v20, v81 src0_sel:BYTE_3 src1_sel:DWORD
	v_bfrev_b32_e32 v50, 1
	s_and_saveexec_b32 s17, s4
	s_cbranch_execz .LBB378_1624
; %bb.1619:                             ;   in Loop: Header=BB378_998 Depth=1
	v_bfe_u32 v23, v20, 24, 7
	v_mov_b32_e32 v50, 0x7f800001
	s_mov_b32 s18, exec_lo
	v_cmpx_ne_u32_e32 0x7f, v23
	s_cbranch_execz .LBB378_1623
; %bb.1620:                             ;   in Loop: Header=BB378_998 Depth=1
	v_mov_b32_e32 v10, 7
	v_lshrrev_b32_e32 v35, 3, v23
	v_cmp_gt_u32_e64 s4, 8, v23
	v_and_b32_sdwa v10, v20, v10 dst_sel:DWORD dst_unused:UNUSED_PAD src0_sel:BYTE_3 src1_sel:DWORD
	v_mov_b32_e32 v24, v11
	v_mov_b32_e32 v23, v10
	s_and_saveexec_b32 s20, s4
; %bb.1621:                             ;   in Loop: Header=BB378_998 Depth=1
	v_ffbh_u32_e32 v17, v10
	v_min_u32_e32 v17, 32, v17
	v_subrev_nc_u32_e32 v23, 28, v17
	v_sub_nc_u32_e32 v35, 29, v17
	v_lshlrev_b64 v[23:24], v23, v[10:11]
	v_and_b32_e32 v23, 7, v23
; %bb.1622:                             ;   in Loop: Header=BB378_998 Depth=1
	s_or_b32 exec_lo, exec_lo, s20
	v_mov_b32_e32 v10, 24
	v_lshlrev_b32_e32 v17, 20, v23
	v_lshl_add_u32 v23, v35, 23, 0x3c000000
	v_lshlrev_b32_sdwa v10, v10, v20 dst_sel:DWORD dst_unused:UNUSED_PAD src0_sel:DWORD src1_sel:BYTE_3
	v_and_b32_e32 v10, 0x80000000, v10
	v_or3_b32 v50, v17, v10, v23
.LBB378_1623:                           ;   in Loop: Header=BB378_998 Depth=1
	s_or_b32 exec_lo, exec_lo, s18
.LBB378_1624:                           ;   in Loop: Header=BB378_998 Depth=1
	s_or_b32 exec_lo, exec_lo, s17
.LBB378_1625:                           ;   in Loop: Header=BB378_998 Depth=1
	s_or_b32 exec_lo, exec_lo, s16
	v_mov_b32_e32 v10, v21
	v_cmp_ne_u16_sdwa s4, v21, v11 src0_sel:BYTE_0 src1_sel:DWORD
	v_mov_b32_e32 v35, 0
	v_mov_b32_e32 v36, 0
	s_and_saveexec_b32 s16, s4
	s_cbranch_execz .LBB378_1633
; %bb.1626:                             ;   in Loop: Header=BB378_998 Depth=1
	v_cmp_ne_u16_sdwa s4, v21, v81 src0_sel:BYTE_0 src1_sel:DWORD
	v_bfrev_b32_e32 v36, 1
	s_and_saveexec_b32 s17, s4
	s_cbranch_execz .LBB378_1632
; %bb.1627:                             ;   in Loop: Header=BB378_998 Depth=1
	v_and_b32_e32 v23, 0x7f, v21
	v_mov_b32_e32 v36, 0x7f800001
	s_mov_b32 s18, exec_lo
	v_cmpx_ne_u32_e32 0x7f, v23
	s_cbranch_execz .LBB378_1631
; %bb.1628:                             ;   in Loop: Header=BB378_998 Depth=1
	v_lshrrev_b32_e32 v36, 3, v23
	v_cmp_gt_u32_e64 s4, 8, v23
	v_mov_b32_e32 v24, v11
	v_mov_b32_e32 v23, v10
	s_and_saveexec_b32 s20, s4
; %bb.1629:                             ;   in Loop: Header=BB378_998 Depth=1
	v_and_b32_e32 v17, 7, v21
	v_ffbh_u32_e32 v17, v17
	v_min_u32_e32 v17, 32, v17
	v_subrev_nc_u32_e32 v23, 28, v17
	v_sub_nc_u32_e32 v36, 29, v17
	v_lshlrev_b64 v[23:24], v23, v[10:11]
; %bb.1630:                             ;   in Loop: Header=BB378_998 Depth=1
	s_or_b32 exec_lo, exec_lo, s20
	v_lshlrev_b32_e32 v17, 20, v23
	v_lshlrev_b32_e32 v23, 24, v10
	v_lshl_add_u32 v24, v36, 23, 0x3c000000
	v_and_b32_e32 v17, 0x700000, v17
	v_and_b32_e32 v23, 0x80000000, v23
	v_or3_b32 v36, v17, v23, v24
.LBB378_1631:                           ;   in Loop: Header=BB378_998 Depth=1
	s_or_b32 exec_lo, exec_lo, s18
.LBB378_1632:                           ;   in Loop: Header=BB378_998 Depth=1
	s_or_b32 exec_lo, exec_lo, s17
.LBB378_1633:                           ;   in Loop: Header=BB378_998 Depth=1
	s_or_b32 exec_lo, exec_lo, s16
	v_cmp_ne_u16_sdwa s4, v10, v11 src0_sel:BYTE_1 src1_sel:DWORD
	s_and_saveexec_b32 s16, s4
	s_cbranch_execz .LBB378_1641
; %bb.1634:                             ;   in Loop: Header=BB378_998 Depth=1
	v_cmp_ne_u16_sdwa s4, v10, v81 src0_sel:BYTE_1 src1_sel:DWORD
	v_bfrev_b32_e32 v35, 1
	s_and_saveexec_b32 s17, s4
	s_cbranch_execz .LBB378_1640
; %bb.1635:                             ;   in Loop: Header=BB378_998 Depth=1
	v_mov_b32_e32 v17, 0xffff
	v_mov_b32_e32 v35, 0x7f800001
	s_mov_b32 s18, exec_lo
	v_and_b32_sdwa v23, v17, v10 dst_sel:DWORD dst_unused:UNUSED_PAD src0_sel:DWORD src1_sel:BYTE_1
	v_and_b32_e32 v51, 0x7f, v23
	v_cmpx_ne_u32_e32 0x7f, v51
	s_cbranch_execz .LBB378_1639
; %bb.1636:                             ;   in Loop: Header=BB378_998 Depth=1
	v_and_b32_e32 v23, 7, v23
	v_mov_b32_e32 v24, v11
	v_lshrrev_b32_e32 v35, 3, v51
	s_mov_b32 s20, exec_lo
	v_cmpx_gt_u32_e32 8, v51
; %bb.1637:                             ;   in Loop: Header=BB378_998 Depth=1
	v_ffbh_u32_e32 v17, v23
	v_min_u32_e32 v17, 32, v17
	v_subrev_nc_u32_e32 v35, 28, v17
	v_lshlrev_b64 v[23:24], v35, v[23:24]
	v_sub_nc_u32_e32 v35, 29, v17
	v_and_b32_e32 v23, 7, v23
; %bb.1638:                             ;   in Loop: Header=BB378_998 Depth=1
	s_or_b32 exec_lo, exec_lo, s20
	v_lshlrev_b32_e32 v10, 16, v10
	v_lshlrev_b32_e32 v17, 20, v23
	v_lshl_add_u32 v23, v35, 23, 0x3c000000
	v_and_b32_e32 v10, 0x80000000, v10
	v_or3_b32 v35, v17, v10, v23
.LBB378_1639:                           ;   in Loop: Header=BB378_998 Depth=1
	s_or_b32 exec_lo, exec_lo, s18
.LBB378_1640:                           ;   in Loop: Header=BB378_998 Depth=1
	s_or_b32 exec_lo, exec_lo, s17
.LBB378_1641:                           ;   in Loop: Header=BB378_998 Depth=1
	s_or_b32 exec_lo, exec_lo, s16
	v_and_b32_sdwa v10, v21, v83 dst_sel:DWORD dst_unused:UNUSED_PAD src0_sel:WORD_1 src1_sel:DWORD
	v_mov_b32_e32 v51, 0
	v_mov_b32_e32 v53, 0
	s_mov_b32 s16, exec_lo
	v_cmpx_ne_u16_e32 0, v10
	s_cbranch_execz .LBB378_1649
; %bb.1642:                             ;   in Loop: Header=BB378_998 Depth=1
	v_bfrev_b32_e32 v53, 1
	s_mov_b32 s17, exec_lo
	v_cmpx_ne_u16_e32 0x80, v10
	s_cbranch_execz .LBB378_1648
; %bb.1643:                             ;   in Loop: Header=BB378_998 Depth=1
	v_bfe_u32 v23, v21, 16, 7
	v_mov_b32_e32 v53, 0x7f800001
	s_mov_b32 s18, exec_lo
	v_cmpx_ne_u32_e32 0x7f, v23
	s_cbranch_execz .LBB378_1647
; %bb.1644:                             ;   in Loop: Header=BB378_998 Depth=1
	v_mov_b32_e32 v10, 7
	v_lshrrev_b32_e32 v53, 3, v23
	v_cmp_gt_u32_e64 s4, 8, v23
	v_and_b32_sdwa v10, v21, v10 dst_sel:DWORD dst_unused:UNUSED_PAD src0_sel:WORD_1 src1_sel:DWORD
	v_mov_b32_e32 v24, v11
	v_mov_b32_e32 v23, v10
	s_and_saveexec_b32 s20, s4
; %bb.1645:                             ;   in Loop: Header=BB378_998 Depth=1
	v_ffbh_u32_e32 v17, v10
	v_min_u32_e32 v17, 32, v17
	v_subrev_nc_u32_e32 v23, 28, v17
	v_sub_nc_u32_e32 v53, 29, v17
	v_lshlrev_b64 v[23:24], v23, v[10:11]
	v_and_b32_e32 v23, 7, v23
; %bb.1646:                             ;   in Loop: Header=BB378_998 Depth=1
	s_or_b32 exec_lo, exec_lo, s20
	v_mov_b32_e32 v10, 24
	v_lshlrev_b32_e32 v17, 20, v23
	v_lshl_add_u32 v23, v53, 23, 0x3c000000
	v_lshlrev_b32_sdwa v10, v10, v21 dst_sel:DWORD dst_unused:UNUSED_PAD src0_sel:DWORD src1_sel:WORD_1
	v_and_b32_e32 v10, 0x80000000, v10
	v_or3_b32 v53, v17, v10, v23
.LBB378_1647:                           ;   in Loop: Header=BB378_998 Depth=1
	s_or_b32 exec_lo, exec_lo, s18
.LBB378_1648:                           ;   in Loop: Header=BB378_998 Depth=1
	s_or_b32 exec_lo, exec_lo, s17
.LBB378_1649:                           ;   in Loop: Header=BB378_998 Depth=1
	s_or_b32 exec_lo, exec_lo, s16
	s_mov_b32 s16, exec_lo
	v_cmpx_lt_u64_e64 s[12:13], v[20:21]
	s_cbranch_execz .LBB378_1657
; %bb.1650:                             ;   in Loop: Header=BB378_998 Depth=1
	v_cmp_ne_u32_sdwa s4, v21, v81 src0_sel:BYTE_3 src1_sel:DWORD
	v_bfrev_b32_e32 v51, 1
	s_and_saveexec_b32 s17, s4
	s_cbranch_execz .LBB378_1656
; %bb.1651:                             ;   in Loop: Header=BB378_998 Depth=1
	v_bfe_u32 v23, v21, 24, 7
	v_mov_b32_e32 v51, 0x7f800001
	s_mov_b32 s18, exec_lo
	v_cmpx_ne_u32_e32 0x7f, v23
	s_cbranch_execz .LBB378_1655
; %bb.1652:                             ;   in Loop: Header=BB378_998 Depth=1
	v_mov_b32_e32 v10, 7
	v_lshrrev_b32_e32 v20, 3, v23
	v_cmp_gt_u32_e64 s4, 8, v23
	v_and_b32_sdwa v10, v21, v10 dst_sel:DWORD dst_unused:UNUSED_PAD src0_sel:BYTE_3 src1_sel:DWORD
	v_mov_b32_e32 v24, v11
	v_mov_b32_e32 v23, v10
	s_and_saveexec_b32 s20, s4
; %bb.1653:                             ;   in Loop: Header=BB378_998 Depth=1
	v_ffbh_u32_e32 v17, v10
	v_min_u32_e32 v17, 32, v17
	v_subrev_nc_u32_e32 v20, 28, v17
	v_lshlrev_b64 v[23:24], v20, v[10:11]
	v_sub_nc_u32_e32 v20, 29, v17
	v_and_b32_e32 v23, 7, v23
; %bb.1654:                             ;   in Loop: Header=BB378_998 Depth=1
	s_or_b32 exec_lo, exec_lo, s20
	v_mov_b32_e32 v10, 24
	v_lshlrev_b32_e32 v17, 20, v23
	v_lshl_add_u32 v20, v20, 23, 0x3c000000
	v_lshlrev_b32_sdwa v10, v10, v21 dst_sel:DWORD dst_unused:UNUSED_PAD src0_sel:DWORD src1_sel:BYTE_3
	v_and_b32_e32 v10, 0x80000000, v10
	v_or3_b32 v51, v17, v10, v20
.LBB378_1655:                           ;   in Loop: Header=BB378_998 Depth=1
	s_or_b32 exec_lo, exec_lo, s18
.LBB378_1656:                           ;   in Loop: Header=BB378_998 Depth=1
	s_or_b32 exec_lo, exec_lo, s17
.LBB378_1657:                           ;   in Loop: Header=BB378_998 Depth=1
	s_or_b32 exec_lo, exec_lo, s16
	v_mul_f32_e32 v10, v57, v35
	v_bfe_u32 v17, v10, 16, 1
	v_or_b32_e32 v20, 0x400000, v10
	v_cmp_u_f32_e64 s4, v10, v10
	v_add3_u32 v17, v17, v10, 0x7fff
	v_cndmask_b32_e64 v10, v17, v20, s4
	v_lshrrev_b32_e32 v35, 16, v10
	v_mul_f32_e32 v10, v57, v36
	v_bfe_u32 v17, v10, 16, 1
	v_or_b32_e32 v20, 0x400000, v10
	v_cmp_u_f32_e64 s4, v10, v10
	v_add3_u32 v17, v17, v10, 0x7fff
	v_cndmask_b32_e64 v10, v17, v20, s4
	v_lshrrev_b32_e32 v36, 16, v10
	;; [unrolled: 7-line block ×8, first 2 shown]
	s_and_saveexec_b32 s16, vcc_lo
	s_cbranch_execz .LBB378_1659
; %bb.1658:                             ;   in Loop: Header=BB378_998 Depth=1
	v_cmp_lt_i32_e64 s4, v74, v38
	v_cndmask_b32_e64 v67, 0, v67, s4
	v_cmp_lt_i32_e64 s4, v89, v38
	v_cndmask_b32_e64 v66, 0, v66, s4
	v_cmp_lt_i32_e64 s4, v88, v38
	v_cndmask_b32_e64 v64, 0, v64, s4
	v_cmp_lt_i32_e64 s4, v79, v38
	v_cndmask_b32_e64 v55, 0, v55, s4
	v_cmp_lt_i32_e64 s4, v78, v38
	v_cndmask_b32_e64 v36, 0, v36, s4
	v_cmp_lt_i32_e64 s4, v77, v38
	v_cndmask_b32_e64 v35, 0, v35, s4
	v_cmp_lt_i32_e64 s4, v76, v38
	v_cndmask_b32_e64 v65, 0, v65, s4
	v_cmp_lt_i32_e64 s4, v75, v38
	v_cndmask_b32_e64 v68, 0, v68, s4
.LBB378_1659:                           ;   in Loop: Header=BB378_998 Depth=1
	s_or_b32 exec_lo, exec_lo, s16
	flat_load_dwordx2 v[20:21], v[18:19] offset:512
	v_mov_b32_e32 v16, 0
	v_mov_b32_e32 v28, 0
	s_waitcnt vmcnt(0) lgkmcnt(0)
	v_cmp_ne_u16_sdwa s4, v20, v11 src0_sel:BYTE_0 src1_sel:DWORD
	s_and_saveexec_b32 s16, s4
	s_cbranch_execz .LBB378_1667
; %bb.1660:                             ;   in Loop: Header=BB378_998 Depth=1
	v_cmp_ne_u16_sdwa s4, v20, v81 src0_sel:BYTE_0 src1_sel:DWORD
	v_bfrev_b32_e32 v28, 1
	s_and_saveexec_b32 s17, s4
	s_cbranch_execz .LBB378_1666
; %bb.1661:                             ;   in Loop: Header=BB378_998 Depth=1
	v_and_b32_e32 v23, 0x7f, v20
	v_mov_b32_e32 v28, 0x7f800001
	s_mov_b32 s18, exec_lo
	v_cmpx_ne_u32_e32 0x7f, v23
	s_cbranch_execz .LBB378_1665
; %bb.1662:                             ;   in Loop: Header=BB378_998 Depth=1
	v_lshrrev_b32_e32 v10, 3, v23
	v_cmp_gt_u32_e64 s4, 8, v23
	v_mov_b32_e32 v24, v21
	v_mov_b32_e32 v23, v20
	s_and_saveexec_b32 s20, s4
; %bb.1663:                             ;   in Loop: Header=BB378_998 Depth=1
	v_and_b32_e32 v10, 7, v20
	v_ffbh_u32_e32 v10, v10
	v_min_u32_e32 v10, 32, v10
	v_subrev_nc_u32_e32 v17, 28, v10
	v_sub_nc_u32_e32 v10, 29, v10
	v_lshlrev_b64 v[23:24], v17, v[20:21]
; %bb.1664:                             ;   in Loop: Header=BB378_998 Depth=1
	s_or_b32 exec_lo, exec_lo, s20
	v_lshlrev_b32_e32 v17, 20, v23
	v_lshlrev_b32_e32 v23, 24, v20
	v_lshl_add_u32 v10, v10, 23, 0x3c000000
	v_and_b32_e32 v17, 0x700000, v17
	v_and_b32_e32 v23, 0x80000000, v23
	v_or3_b32 v28, v17, v23, v10
.LBB378_1665:                           ;   in Loop: Header=BB378_998 Depth=1
	s_or_b32 exec_lo, exec_lo, s18
.LBB378_1666:                           ;   in Loop: Header=BB378_998 Depth=1
	s_or_b32 exec_lo, exec_lo, s17
.LBB378_1667:                           ;   in Loop: Header=BB378_998 Depth=1
	s_or_b32 exec_lo, exec_lo, s16
	v_cmp_ne_u16_sdwa s4, v20, v11 src0_sel:BYTE_1 src1_sel:DWORD
	s_and_saveexec_b32 s16, s4
	s_cbranch_execz .LBB378_1675
; %bb.1668:                             ;   in Loop: Header=BB378_998 Depth=1
	v_cmp_ne_u16_sdwa s4, v20, v81 src0_sel:BYTE_1 src1_sel:DWORD
	v_bfrev_b32_e32 v16, 1
	s_and_saveexec_b32 s17, s4
	s_cbranch_execz .LBB378_1674
; %bb.1669:                             ;   in Loop: Header=BB378_998 Depth=1
	v_mov_b32_e32 v10, 0xffff
	v_mov_b32_e32 v16, 0x7f800001
	s_mov_b32 s18, exec_lo
	v_and_b32_sdwa v10, v10, v20 dst_sel:DWORD dst_unused:UNUSED_PAD src0_sel:DWORD src1_sel:BYTE_1
	v_and_b32_e32 v23, 0x7f, v10
	v_cmpx_ne_u32_e32 0x7f, v23
	s_cbranch_execz .LBB378_1673
; %bb.1670:                             ;   in Loop: Header=BB378_998 Depth=1
	v_and_b32_e32 v10, 7, v10
	v_lshrrev_b32_e32 v16, 3, v23
	v_cmp_gt_u32_e64 s4, 8, v23
	v_mov_b32_e32 v24, v11
	v_mov_b32_e32 v23, v10
	s_and_saveexec_b32 s20, s4
; %bb.1671:                             ;   in Loop: Header=BB378_998 Depth=1
	v_ffbh_u32_e32 v16, v10
	v_min_u32_e32 v16, 32, v16
	v_subrev_nc_u32_e32 v17, 28, v16
	v_sub_nc_u32_e32 v16, 29, v16
	v_lshlrev_b64 v[23:24], v17, v[10:11]
	v_and_b32_e32 v23, 7, v23
; %bb.1672:                             ;   in Loop: Header=BB378_998 Depth=1
	s_or_b32 exec_lo, exec_lo, s20
	v_lshlrev_b32_e32 v10, 16, v20
	v_lshlrev_b32_e32 v17, 20, v23
	v_lshl_add_u32 v16, v16, 23, 0x3c000000
	v_and_b32_e32 v10, 0x80000000, v10
	v_or3_b32 v16, v17, v10, v16
.LBB378_1673:                           ;   in Loop: Header=BB378_998 Depth=1
	s_or_b32 exec_lo, exec_lo, s18
.LBB378_1674:                           ;   in Loop: Header=BB378_998 Depth=1
	s_or_b32 exec_lo, exec_lo, s17
.LBB378_1675:                           ;   in Loop: Header=BB378_998 Depth=1
	s_or_b32 exec_lo, exec_lo, s16
	v_and_b32_sdwa v10, v20, v83 dst_sel:DWORD dst_unused:UNUSED_PAD src0_sel:WORD_1 src1_sel:DWORD
	v_mov_b32_e32 v50, 0
	v_mov_b32_e32 v25, 0
	s_mov_b32 s16, exec_lo
	v_cmpx_ne_u16_e32 0, v10
	s_cbranch_execz .LBB378_1683
; %bb.1676:                             ;   in Loop: Header=BB378_998 Depth=1
	v_bfrev_b32_e32 v25, 1
	s_mov_b32 s17, exec_lo
	v_cmpx_ne_u16_e32 0x80, v10
	s_cbranch_execz .LBB378_1682
; %bb.1677:                             ;   in Loop: Header=BB378_998 Depth=1
	v_bfe_u32 v23, v20, 16, 7
	v_mov_b32_e32 v25, 0x7f800001
	s_mov_b32 s18, exec_lo
	v_cmpx_ne_u32_e32 0x7f, v23
	s_cbranch_execz .LBB378_1681
; %bb.1678:                             ;   in Loop: Header=BB378_998 Depth=1
	v_mov_b32_e32 v10, 7
	v_lshrrev_b32_e32 v25, 3, v23
	v_cmp_gt_u32_e64 s4, 8, v23
	v_and_b32_sdwa v10, v20, v10 dst_sel:DWORD dst_unused:UNUSED_PAD src0_sel:WORD_1 src1_sel:DWORD
	v_mov_b32_e32 v24, v11
	v_mov_b32_e32 v23, v10
	s_and_saveexec_b32 s20, s4
; %bb.1679:                             ;   in Loop: Header=BB378_998 Depth=1
	v_ffbh_u32_e32 v17, v10
	v_min_u32_e32 v17, 32, v17
	v_subrev_nc_u32_e32 v23, 28, v17
	v_sub_nc_u32_e32 v25, 29, v17
	v_lshlrev_b64 v[23:24], v23, v[10:11]
	v_and_b32_e32 v23, 7, v23
; %bb.1680:                             ;   in Loop: Header=BB378_998 Depth=1
	s_or_b32 exec_lo, exec_lo, s20
	v_mov_b32_e32 v10, 24
	v_lshlrev_b32_e32 v17, 20, v23
	v_lshl_add_u32 v23, v25, 23, 0x3c000000
	v_lshlrev_b32_sdwa v10, v10, v20 dst_sel:DWORD dst_unused:UNUSED_PAD src0_sel:DWORD src1_sel:WORD_1
	v_and_b32_e32 v10, 0x80000000, v10
	v_or3_b32 v25, v17, v10, v23
.LBB378_1681:                           ;   in Loop: Header=BB378_998 Depth=1
	s_or_b32 exec_lo, exec_lo, s18
.LBB378_1682:                           ;   in Loop: Header=BB378_998 Depth=1
	s_or_b32 exec_lo, exec_lo, s17
.LBB378_1683:                           ;   in Loop: Header=BB378_998 Depth=1
	s_or_b32 exec_lo, exec_lo, s16
	s_mov_b32 s16, exec_lo
	v_cmpx_lt_u32_e32 0xffffff, v20
	s_cbranch_execz .LBB378_1691
; %bb.1684:                             ;   in Loop: Header=BB378_998 Depth=1
	v_cmp_ne_u32_sdwa s4, v20, v81 src0_sel:BYTE_3 src1_sel:DWORD
	v_bfrev_b32_e32 v50, 1
	s_and_saveexec_b32 s17, s4
	s_cbranch_execz .LBB378_1690
; %bb.1685:                             ;   in Loop: Header=BB378_998 Depth=1
	v_bfe_u32 v23, v20, 24, 7
	v_mov_b32_e32 v50, 0x7f800001
	s_mov_b32 s18, exec_lo
	v_cmpx_ne_u32_e32 0x7f, v23
	s_cbranch_execz .LBB378_1689
; %bb.1686:                             ;   in Loop: Header=BB378_998 Depth=1
	v_mov_b32_e32 v10, 7
	v_lshrrev_b32_e32 v50, 3, v23
	v_cmp_gt_u32_e64 s4, 8, v23
	v_and_b32_sdwa v10, v20, v10 dst_sel:DWORD dst_unused:UNUSED_PAD src0_sel:BYTE_3 src1_sel:DWORD
	v_mov_b32_e32 v24, v11
	v_mov_b32_e32 v23, v10
	s_and_saveexec_b32 s20, s4
; %bb.1687:                             ;   in Loop: Header=BB378_998 Depth=1
	v_ffbh_u32_e32 v17, v10
	v_min_u32_e32 v17, 32, v17
	v_subrev_nc_u32_e32 v23, 28, v17
	v_sub_nc_u32_e32 v50, 29, v17
	v_lshlrev_b64 v[23:24], v23, v[10:11]
	v_and_b32_e32 v23, 7, v23
; %bb.1688:                             ;   in Loop: Header=BB378_998 Depth=1
	s_or_b32 exec_lo, exec_lo, s20
	v_mov_b32_e32 v10, 24
	v_lshlrev_b32_e32 v17, 20, v23
	v_lshl_add_u32 v23, v50, 23, 0x3c000000
	v_lshlrev_b32_sdwa v10, v10, v20 dst_sel:DWORD dst_unused:UNUSED_PAD src0_sel:DWORD src1_sel:BYTE_3
	v_and_b32_e32 v10, 0x80000000, v10
	v_or3_b32 v50, v17, v10, v23
.LBB378_1689:                           ;   in Loop: Header=BB378_998 Depth=1
	s_or_b32 exec_lo, exec_lo, s18
.LBB378_1690:                           ;   in Loop: Header=BB378_998 Depth=1
	s_or_b32 exec_lo, exec_lo, s17
.LBB378_1691:                           ;   in Loop: Header=BB378_998 Depth=1
	s_or_b32 exec_lo, exec_lo, s16
	v_mov_b32_e32 v10, v21
	v_cmp_ne_u16_sdwa s4, v21, v11 src0_sel:BYTE_0 src1_sel:DWORD
	v_mov_b32_e32 v69, 0
	v_mov_b32_e32 v54, 0
	s_and_saveexec_b32 s16, s4
	s_cbranch_execz .LBB378_1699
; %bb.1692:                             ;   in Loop: Header=BB378_998 Depth=1
	v_cmp_ne_u16_sdwa s4, v21, v81 src0_sel:BYTE_0 src1_sel:DWORD
	v_bfrev_b32_e32 v54, 1
	s_and_saveexec_b32 s17, s4
	s_cbranch_execz .LBB378_1698
; %bb.1693:                             ;   in Loop: Header=BB378_998 Depth=1
	v_and_b32_e32 v23, 0x7f, v21
	v_mov_b32_e32 v54, 0x7f800001
	s_mov_b32 s18, exec_lo
	v_cmpx_ne_u32_e32 0x7f, v23
	s_cbranch_execz .LBB378_1697
; %bb.1694:                             ;   in Loop: Header=BB378_998 Depth=1
	v_lshrrev_b32_e32 v51, 3, v23
	v_cmp_gt_u32_e64 s4, 8, v23
	v_mov_b32_e32 v24, v11
	v_mov_b32_e32 v23, v10
	s_and_saveexec_b32 s20, s4
; %bb.1695:                             ;   in Loop: Header=BB378_998 Depth=1
	v_and_b32_e32 v17, 7, v21
	v_ffbh_u32_e32 v17, v17
	v_min_u32_e32 v17, 32, v17
	v_subrev_nc_u32_e32 v23, 28, v17
	v_sub_nc_u32_e32 v51, 29, v17
	v_lshlrev_b64 v[23:24], v23, v[10:11]
; %bb.1696:                             ;   in Loop: Header=BB378_998 Depth=1
	s_or_b32 exec_lo, exec_lo, s20
	v_lshlrev_b32_e32 v17, 20, v23
	v_lshlrev_b32_e32 v23, 24, v10
	v_lshl_add_u32 v24, v51, 23, 0x3c000000
	v_and_b32_e32 v17, 0x700000, v17
	v_and_b32_e32 v23, 0x80000000, v23
	v_or3_b32 v54, v17, v23, v24
.LBB378_1697:                           ;   in Loop: Header=BB378_998 Depth=1
	s_or_b32 exec_lo, exec_lo, s18
.LBB378_1698:                           ;   in Loop: Header=BB378_998 Depth=1
	s_or_b32 exec_lo, exec_lo, s17
.LBB378_1699:                           ;   in Loop: Header=BB378_998 Depth=1
	s_or_b32 exec_lo, exec_lo, s16
	v_cmp_ne_u16_sdwa s4, v10, v11 src0_sel:BYTE_1 src1_sel:DWORD
	s_and_saveexec_b32 s16, s4
	s_cbranch_execz .LBB378_1707
; %bb.1700:                             ;   in Loop: Header=BB378_998 Depth=1
	v_cmp_ne_u16_sdwa s4, v10, v81 src0_sel:BYTE_1 src1_sel:DWORD
	v_bfrev_b32_e32 v69, 1
	s_and_saveexec_b32 s17, s4
	s_cbranch_execz .LBB378_1706
; %bb.1701:                             ;   in Loop: Header=BB378_998 Depth=1
	v_mov_b32_e32 v17, 0xffff
	v_mov_b32_e32 v69, 0x7f800001
	s_mov_b32 s18, exec_lo
	v_and_b32_sdwa v23, v17, v10 dst_sel:DWORD dst_unused:UNUSED_PAD src0_sel:DWORD src1_sel:BYTE_1
	v_and_b32_e32 v53, 0x7f, v23
	v_cmpx_ne_u32_e32 0x7f, v53
	s_cbranch_execz .LBB378_1705
; %bb.1702:                             ;   in Loop: Header=BB378_998 Depth=1
	v_and_b32_e32 v23, 7, v23
	v_mov_b32_e32 v24, v11
	v_lshrrev_b32_e32 v51, 3, v53
	s_mov_b32 s20, exec_lo
	v_cmpx_gt_u32_e32 8, v53
; %bb.1703:                             ;   in Loop: Header=BB378_998 Depth=1
	v_ffbh_u32_e32 v17, v23
	v_min_u32_e32 v17, 32, v17
	v_subrev_nc_u32_e32 v49, 28, v17
	v_sub_nc_u32_e32 v51, 29, v17
	v_lshlrev_b64 v[23:24], v49, v[23:24]
	v_and_b32_e32 v23, 7, v23
; %bb.1704:                             ;   in Loop: Header=BB378_998 Depth=1
	s_or_b32 exec_lo, exec_lo, s20
	v_lshlrev_b32_e32 v10, 16, v10
	v_lshlrev_b32_e32 v17, 20, v23
	v_lshl_add_u32 v23, v51, 23, 0x3c000000
	v_and_b32_e32 v10, 0x80000000, v10
	v_or3_b32 v69, v17, v10, v23
.LBB378_1705:                           ;   in Loop: Header=BB378_998 Depth=1
	s_or_b32 exec_lo, exec_lo, s18
.LBB378_1706:                           ;   in Loop: Header=BB378_998 Depth=1
	s_or_b32 exec_lo, exec_lo, s17
.LBB378_1707:                           ;   in Loop: Header=BB378_998 Depth=1
	s_or_b32 exec_lo, exec_lo, s16
	v_and_b32_sdwa v10, v21, v83 dst_sel:DWORD dst_unused:UNUSED_PAD src0_sel:WORD_1 src1_sel:DWORD
	v_mov_b32_e32 v51, 0
	v_mov_b32_e32 v53, 0
	s_mov_b32 s16, exec_lo
	v_cmpx_ne_u16_e32 0, v10
	s_cbranch_execz .LBB378_1715
; %bb.1708:                             ;   in Loop: Header=BB378_998 Depth=1
	v_bfrev_b32_e32 v53, 1
	s_mov_b32 s17, exec_lo
	v_cmpx_ne_u16_e32 0x80, v10
	s_cbranch_execz .LBB378_1714
; %bb.1709:                             ;   in Loop: Header=BB378_998 Depth=1
	v_bfe_u32 v23, v21, 16, 7
	v_mov_b32_e32 v53, 0x7f800001
	s_mov_b32 s18, exec_lo
	v_cmpx_ne_u32_e32 0x7f, v23
	s_cbranch_execz .LBB378_1713
; %bb.1710:                             ;   in Loop: Header=BB378_998 Depth=1
	v_mov_b32_e32 v10, 7
	v_lshrrev_b32_e32 v53, 3, v23
	v_cmp_gt_u32_e64 s4, 8, v23
	v_and_b32_sdwa v10, v21, v10 dst_sel:DWORD dst_unused:UNUSED_PAD src0_sel:WORD_1 src1_sel:DWORD
	v_mov_b32_e32 v24, v11
	v_mov_b32_e32 v23, v10
	s_and_saveexec_b32 s20, s4
; %bb.1711:                             ;   in Loop: Header=BB378_998 Depth=1
	v_ffbh_u32_e32 v17, v10
	v_min_u32_e32 v17, 32, v17
	v_subrev_nc_u32_e32 v23, 28, v17
	v_sub_nc_u32_e32 v53, 29, v17
	v_lshlrev_b64 v[23:24], v23, v[10:11]
	v_and_b32_e32 v23, 7, v23
; %bb.1712:                             ;   in Loop: Header=BB378_998 Depth=1
	s_or_b32 exec_lo, exec_lo, s20
	v_mov_b32_e32 v10, 24
	v_lshlrev_b32_e32 v17, 20, v23
	v_lshl_add_u32 v23, v53, 23, 0x3c000000
	v_lshlrev_b32_sdwa v10, v10, v21 dst_sel:DWORD dst_unused:UNUSED_PAD src0_sel:DWORD src1_sel:WORD_1
	v_and_b32_e32 v10, 0x80000000, v10
	v_or3_b32 v53, v17, v10, v23
.LBB378_1713:                           ;   in Loop: Header=BB378_998 Depth=1
	s_or_b32 exec_lo, exec_lo, s18
.LBB378_1714:                           ;   in Loop: Header=BB378_998 Depth=1
	s_or_b32 exec_lo, exec_lo, s17
.LBB378_1715:                           ;   in Loop: Header=BB378_998 Depth=1
	s_or_b32 exec_lo, exec_lo, s16
	s_mov_b32 s16, exec_lo
	v_cmpx_lt_u64_e64 s[12:13], v[20:21]
	s_cbranch_execz .LBB378_1723
; %bb.1716:                             ;   in Loop: Header=BB378_998 Depth=1
	v_cmp_ne_u32_sdwa s4, v21, v81 src0_sel:BYTE_3 src1_sel:DWORD
	v_bfrev_b32_e32 v51, 1
	s_and_saveexec_b32 s17, s4
	s_cbranch_execz .LBB378_1722
; %bb.1717:                             ;   in Loop: Header=BB378_998 Depth=1
	v_bfe_u32 v23, v21, 24, 7
	v_mov_b32_e32 v51, 0x7f800001
	s_mov_b32 s18, exec_lo
	v_cmpx_ne_u32_e32 0x7f, v23
	s_cbranch_execz .LBB378_1721
; %bb.1718:                             ;   in Loop: Header=BB378_998 Depth=1
	v_mov_b32_e32 v10, 7
	v_lshrrev_b32_e32 v20, 3, v23
	v_cmp_gt_u32_e64 s4, 8, v23
	v_and_b32_sdwa v10, v21, v10 dst_sel:DWORD dst_unused:UNUSED_PAD src0_sel:BYTE_3 src1_sel:DWORD
	v_mov_b32_e32 v24, v11
	v_mov_b32_e32 v23, v10
	s_and_saveexec_b32 s20, s4
; %bb.1719:                             ;   in Loop: Header=BB378_998 Depth=1
	v_ffbh_u32_e32 v17, v10
	v_min_u32_e32 v17, 32, v17
	v_subrev_nc_u32_e32 v20, 28, v17
	v_lshlrev_b64 v[23:24], v20, v[10:11]
	v_sub_nc_u32_e32 v20, 29, v17
	v_and_b32_e32 v23, 7, v23
; %bb.1720:                             ;   in Loop: Header=BB378_998 Depth=1
	s_or_b32 exec_lo, exec_lo, s20
	v_mov_b32_e32 v10, 24
	v_lshlrev_b32_e32 v17, 20, v23
	v_lshl_add_u32 v20, v20, 23, 0x3c000000
	v_lshlrev_b32_sdwa v10, v10, v21 dst_sel:DWORD dst_unused:UNUSED_PAD src0_sel:DWORD src1_sel:BYTE_3
	v_and_b32_e32 v10, 0x80000000, v10
	v_or3_b32 v51, v17, v10, v20
.LBB378_1721:                           ;   in Loop: Header=BB378_998 Depth=1
	s_or_b32 exec_lo, exec_lo, s18
.LBB378_1722:                           ;   in Loop: Header=BB378_998 Depth=1
	s_or_b32 exec_lo, exec_lo, s17
.LBB378_1723:                           ;   in Loop: Header=BB378_998 Depth=1
	s_or_b32 exec_lo, exec_lo, s16
	v_mul_f32_e32 v10, v57, v69
	v_bfe_u32 v17, v10, 16, 1
	v_or_b32_e32 v20, 0x400000, v10
	v_cmp_u_f32_e64 s4, v10, v10
	v_add3_u32 v17, v17, v10, 0x7fff
	v_cndmask_b32_e64 v10, v17, v20, s4
	v_lshrrev_b32_e32 v69, 16, v10
	v_mul_f32_e32 v10, v57, v54
	v_bfe_u32 v17, v10, 16, 1
	v_or_b32_e32 v20, 0x400000, v10
	v_cmp_u_f32_e64 s4, v10, v10
	v_add3_u32 v17, v17, v10, 0x7fff
	v_cndmask_b32_e64 v10, v17, v20, s4
	v_lshrrev_b32_e32 v70, 16, v10
	;; [unrolled: 7-line block ×8, first 2 shown]
	s_and_saveexec_b32 s16, vcc_lo
	s_cbranch_execz .LBB378_1725
; %bb.1724:                             ;   in Loop: Header=BB378_998 Depth=1
	v_cmp_lt_i32_e64 s4, v74, v38
	v_cndmask_b32_e64 v54, 0, v54, s4
	v_cmp_lt_i32_e64 s4, v89, v38
	v_cndmask_b32_e64 v16, 0, v16, s4
	;; [unrolled: 2-line block ×8, first 2 shown]
.LBB378_1725:                           ;   in Loop: Header=BB378_998 Depth=1
	s_or_b32 exec_lo, exec_lo, s16
	flat_load_dwordx2 v[20:21], v[18:19] offset:768
	v_mov_b32_e32 v82, 0
	v_mov_b32_e32 v51, 0
	s_waitcnt vmcnt(0) lgkmcnt(0)
	v_cmp_ne_u16_sdwa s4, v20, v11 src0_sel:BYTE_0 src1_sel:DWORD
	s_and_saveexec_b32 s16, s4
	s_cbranch_execz .LBB378_1733
; %bb.1726:                             ;   in Loop: Header=BB378_998 Depth=1
	v_cmp_ne_u16_sdwa s4, v20, v81 src0_sel:BYTE_0 src1_sel:DWORD
	v_bfrev_b32_e32 v51, 1
	s_and_saveexec_b32 s17, s4
	s_cbranch_execz .LBB378_1732
; %bb.1727:                             ;   in Loop: Header=BB378_998 Depth=1
	v_and_b32_e32 v23, 0x7f, v20
	v_mov_b32_e32 v51, 0x7f800001
	s_mov_b32 s18, exec_lo
	v_cmpx_ne_u32_e32 0x7f, v23
	s_cbranch_execz .LBB378_1731
; %bb.1728:                             ;   in Loop: Header=BB378_998 Depth=1
	v_lshrrev_b32_e32 v10, 3, v23
	v_cmp_gt_u32_e64 s4, 8, v23
	v_mov_b32_e32 v24, v21
	v_mov_b32_e32 v23, v20
	s_and_saveexec_b32 s20, s4
; %bb.1729:                             ;   in Loop: Header=BB378_998 Depth=1
	v_and_b32_e32 v10, 7, v20
	v_ffbh_u32_e32 v10, v10
	v_min_u32_e32 v10, 32, v10
	v_subrev_nc_u32_e32 v17, 28, v10
	v_sub_nc_u32_e32 v10, 29, v10
	v_lshlrev_b64 v[23:24], v17, v[20:21]
; %bb.1730:                             ;   in Loop: Header=BB378_998 Depth=1
	s_or_b32 exec_lo, exec_lo, s20
	v_lshlrev_b32_e32 v17, 20, v23
	v_lshlrev_b32_e32 v23, 24, v20
	v_lshl_add_u32 v10, v10, 23, 0x3c000000
	v_and_b32_e32 v17, 0x700000, v17
	v_and_b32_e32 v23, 0x80000000, v23
	v_or3_b32 v51, v17, v23, v10
.LBB378_1731:                           ;   in Loop: Header=BB378_998 Depth=1
	s_or_b32 exec_lo, exec_lo, s18
.LBB378_1732:                           ;   in Loop: Header=BB378_998 Depth=1
	s_or_b32 exec_lo, exec_lo, s17
.LBB378_1733:                           ;   in Loop: Header=BB378_998 Depth=1
	s_or_b32 exec_lo, exec_lo, s16
	v_cmp_ne_u16_sdwa s4, v20, v11 src0_sel:BYTE_1 src1_sel:DWORD
	s_and_saveexec_b32 s16, s4
	s_cbranch_execz .LBB378_1741
; %bb.1734:                             ;   in Loop: Header=BB378_998 Depth=1
	v_cmp_ne_u16_sdwa s4, v20, v81 src0_sel:BYTE_1 src1_sel:DWORD
	v_bfrev_b32_e32 v82, 1
	s_and_saveexec_b32 s17, s4
	s_cbranch_execz .LBB378_1740
; %bb.1735:                             ;   in Loop: Header=BB378_998 Depth=1
	v_mov_b32_e32 v10, 0xffff
	v_mov_b32_e32 v82, 0x7f800001
	s_mov_b32 s18, exec_lo
	v_and_b32_sdwa v10, v10, v20 dst_sel:DWORD dst_unused:UNUSED_PAD src0_sel:DWORD src1_sel:BYTE_1
	v_and_b32_e32 v23, 0x7f, v10
	v_cmpx_ne_u32_e32 0x7f, v23
	s_cbranch_execz .LBB378_1739
; %bb.1736:                             ;   in Loop: Header=BB378_998 Depth=1
	v_and_b32_e32 v10, 7, v10
	v_lshrrev_b32_e32 v53, 3, v23
	v_cmp_gt_u32_e64 s4, 8, v23
	v_mov_b32_e32 v24, v11
	v_mov_b32_e32 v23, v10
	s_and_saveexec_b32 s20, s4
; %bb.1737:                             ;   in Loop: Header=BB378_998 Depth=1
	v_ffbh_u32_e32 v17, v10
	v_min_u32_e32 v17, 32, v17
	v_subrev_nc_u32_e32 v23, 28, v17
	v_sub_nc_u32_e32 v53, 29, v17
	v_lshlrev_b64 v[23:24], v23, v[10:11]
	v_and_b32_e32 v23, 7, v23
; %bb.1738:                             ;   in Loop: Header=BB378_998 Depth=1
	s_or_b32 exec_lo, exec_lo, s20
	v_lshlrev_b32_e32 v10, 16, v20
	v_lshlrev_b32_e32 v17, 20, v23
	v_lshl_add_u32 v23, v53, 23, 0x3c000000
	v_and_b32_e32 v10, 0x80000000, v10
	v_or3_b32 v82, v17, v10, v23
.LBB378_1739:                           ;   in Loop: Header=BB378_998 Depth=1
	s_or_b32 exec_lo, exec_lo, s18
.LBB378_1740:                           ;   in Loop: Header=BB378_998 Depth=1
	s_or_b32 exec_lo, exec_lo, s17
.LBB378_1741:                           ;   in Loop: Header=BB378_998 Depth=1
	s_or_b32 exec_lo, exec_lo, s16
	v_and_b32_sdwa v10, v20, v83 dst_sel:DWORD dst_unused:UNUSED_PAD src0_sel:WORD_1 src1_sel:DWORD
	v_mov_b32_e32 v85, 0
	v_mov_b32_e32 v84, 0
	s_mov_b32 s16, exec_lo
	v_cmpx_ne_u16_e32 0, v10
	s_cbranch_execz .LBB378_1749
; %bb.1742:                             ;   in Loop: Header=BB378_998 Depth=1
	v_bfrev_b32_e32 v84, 1
	s_mov_b32 s17, exec_lo
	v_cmpx_ne_u16_e32 0x80, v10
	s_cbranch_execz .LBB378_1748
; %bb.1743:                             ;   in Loop: Header=BB378_998 Depth=1
	v_bfe_u32 v23, v20, 16, 7
	v_mov_b32_e32 v84, 0x7f800001
	s_mov_b32 s18, exec_lo
	v_cmpx_ne_u32_e32 0x7f, v23
	s_cbranch_execz .LBB378_1747
; %bb.1744:                             ;   in Loop: Header=BB378_998 Depth=1
	v_mov_b32_e32 v10, 7
	v_lshrrev_b32_e32 v53, 3, v23
	v_cmp_gt_u32_e64 s4, 8, v23
	v_and_b32_sdwa v10, v20, v10 dst_sel:DWORD dst_unused:UNUSED_PAD src0_sel:WORD_1 src1_sel:DWORD
	v_mov_b32_e32 v24, v11
	v_mov_b32_e32 v23, v10
	s_and_saveexec_b32 s20, s4
; %bb.1745:                             ;   in Loop: Header=BB378_998 Depth=1
	v_ffbh_u32_e32 v17, v10
	v_min_u32_e32 v17, 32, v17
	v_subrev_nc_u32_e32 v23, 28, v17
	v_sub_nc_u32_e32 v53, 29, v17
	v_lshlrev_b64 v[23:24], v23, v[10:11]
	v_and_b32_e32 v23, 7, v23
; %bb.1746:                             ;   in Loop: Header=BB378_998 Depth=1
	s_or_b32 exec_lo, exec_lo, s20
	v_mov_b32_e32 v10, 24
	v_lshlrev_b32_e32 v17, 20, v23
	v_lshl_add_u32 v23, v53, 23, 0x3c000000
	v_lshlrev_b32_sdwa v10, v10, v20 dst_sel:DWORD dst_unused:UNUSED_PAD src0_sel:DWORD src1_sel:WORD_1
	v_and_b32_e32 v10, 0x80000000, v10
	v_or3_b32 v84, v17, v10, v23
.LBB378_1747:                           ;   in Loop: Header=BB378_998 Depth=1
	s_or_b32 exec_lo, exec_lo, s18
.LBB378_1748:                           ;   in Loop: Header=BB378_998 Depth=1
	s_or_b32 exec_lo, exec_lo, s17
.LBB378_1749:                           ;   in Loop: Header=BB378_998 Depth=1
	s_or_b32 exec_lo, exec_lo, s16
	s_mov_b32 s16, exec_lo
	v_cmpx_lt_u32_e32 0xffffff, v20
	s_cbranch_execz .LBB378_1757
; %bb.1750:                             ;   in Loop: Header=BB378_998 Depth=1
	v_cmp_ne_u32_sdwa s4, v20, v81 src0_sel:BYTE_3 src1_sel:DWORD
	v_bfrev_b32_e32 v85, 1
	s_and_saveexec_b32 s17, s4
	s_cbranch_execz .LBB378_1756
; %bb.1751:                             ;   in Loop: Header=BB378_998 Depth=1
	v_bfe_u32 v23, v20, 24, 7
	v_mov_b32_e32 v85, 0x7f800001
	s_mov_b32 s18, exec_lo
	v_cmpx_ne_u32_e32 0x7f, v23
	s_cbranch_execz .LBB378_1755
; %bb.1752:                             ;   in Loop: Header=BB378_998 Depth=1
	v_mov_b32_e32 v10, 7
	v_lshrrev_b32_e32 v53, 3, v23
	v_cmp_gt_u32_e64 s4, 8, v23
	v_and_b32_sdwa v10, v20, v10 dst_sel:DWORD dst_unused:UNUSED_PAD src0_sel:BYTE_3 src1_sel:DWORD
	v_mov_b32_e32 v24, v11
	v_mov_b32_e32 v23, v10
	s_and_saveexec_b32 s20, s4
; %bb.1753:                             ;   in Loop: Header=BB378_998 Depth=1
	v_ffbh_u32_e32 v17, v10
	v_min_u32_e32 v17, 32, v17
	v_subrev_nc_u32_e32 v23, 28, v17
	v_sub_nc_u32_e32 v53, 29, v17
	v_lshlrev_b64 v[23:24], v23, v[10:11]
	v_and_b32_e32 v23, 7, v23
; %bb.1754:                             ;   in Loop: Header=BB378_998 Depth=1
	s_or_b32 exec_lo, exec_lo, s20
	v_mov_b32_e32 v10, 24
	v_lshlrev_b32_e32 v17, 20, v23
	v_lshl_add_u32 v23, v53, 23, 0x3c000000
	v_lshlrev_b32_sdwa v10, v10, v20 dst_sel:DWORD dst_unused:UNUSED_PAD src0_sel:DWORD src1_sel:BYTE_3
	v_and_b32_e32 v10, 0x80000000, v10
	v_or3_b32 v85, v17, v10, v23
.LBB378_1755:                           ;   in Loop: Header=BB378_998 Depth=1
	s_or_b32 exec_lo, exec_lo, s18
.LBB378_1756:                           ;   in Loop: Header=BB378_998 Depth=1
	s_or_b32 exec_lo, exec_lo, s17
.LBB378_1757:                           ;   in Loop: Header=BB378_998 Depth=1
	s_or_b32 exec_lo, exec_lo, s16
	v_mov_b32_e32 v10, v21
	v_cmp_ne_u16_sdwa s4, v21, v11 src0_sel:BYTE_0 src1_sel:DWORD
	v_mov_b32_e32 v53, 0
	v_mov_b32_e32 v97, 0
	s_and_saveexec_b32 s16, s4
	s_cbranch_execz .LBB378_1765
; %bb.1758:                             ;   in Loop: Header=BB378_998 Depth=1
	v_cmp_ne_u16_sdwa s4, v21, v81 src0_sel:BYTE_0 src1_sel:DWORD
	v_bfrev_b32_e32 v97, 1
	s_and_saveexec_b32 s17, s4
	s_cbranch_execz .LBB378_1764
; %bb.1759:                             ;   in Loop: Header=BB378_998 Depth=1
	v_and_b32_e32 v23, 0x7f, v21
	v_mov_b32_e32 v97, 0x7f800001
	s_mov_b32 s18, exec_lo
	v_cmpx_ne_u32_e32 0x7f, v23
	s_cbranch_execz .LBB378_1763
; %bb.1760:                             ;   in Loop: Header=BB378_998 Depth=1
	v_lshrrev_b32_e32 v97, 3, v23
	v_cmp_gt_u32_e64 s4, 8, v23
	v_mov_b32_e32 v24, v11
	v_mov_b32_e32 v23, v10
	s_and_saveexec_b32 s20, s4
; %bb.1761:                             ;   in Loop: Header=BB378_998 Depth=1
	v_and_b32_e32 v17, 7, v21
	v_ffbh_u32_e32 v17, v17
	v_min_u32_e32 v17, 32, v17
	v_subrev_nc_u32_e32 v23, 28, v17
	v_sub_nc_u32_e32 v97, 29, v17
	v_lshlrev_b64 v[23:24], v23, v[10:11]
; %bb.1762:                             ;   in Loop: Header=BB378_998 Depth=1
	s_or_b32 exec_lo, exec_lo, s20
	v_lshlrev_b32_e32 v17, 20, v23
	v_lshlrev_b32_e32 v23, 24, v10
	v_lshl_add_u32 v24, v97, 23, 0x3c000000
	v_and_b32_e32 v17, 0x700000, v17
	v_and_b32_e32 v23, 0x80000000, v23
	v_or3_b32 v97, v17, v23, v24
.LBB378_1763:                           ;   in Loop: Header=BB378_998 Depth=1
	s_or_b32 exec_lo, exec_lo, s18
.LBB378_1764:                           ;   in Loop: Header=BB378_998 Depth=1
	s_or_b32 exec_lo, exec_lo, s17
.LBB378_1765:                           ;   in Loop: Header=BB378_998 Depth=1
	s_or_b32 exec_lo, exec_lo, s16
	v_cmp_ne_u16_sdwa s4, v10, v11 src0_sel:BYTE_1 src1_sel:DWORD
	s_and_saveexec_b32 s16, s4
	s_cbranch_execz .LBB378_1773
; %bb.1766:                             ;   in Loop: Header=BB378_998 Depth=1
	v_cmp_ne_u16_sdwa s4, v10, v81 src0_sel:BYTE_1 src1_sel:DWORD
	v_bfrev_b32_e32 v53, 1
	s_and_saveexec_b32 s17, s4
	s_cbranch_execz .LBB378_1772
; %bb.1767:                             ;   in Loop: Header=BB378_998 Depth=1
	v_mov_b32_e32 v17, 0xffff
	v_mov_b32_e32 v53, 0x7f800001
	s_mov_b32 s18, exec_lo
	v_and_b32_sdwa v23, v17, v10 dst_sel:DWORD dst_unused:UNUSED_PAD src0_sel:DWORD src1_sel:BYTE_1
	v_and_b32_e32 v98, 0x7f, v23
	v_cmpx_ne_u32_e32 0x7f, v98
	s_cbranch_execz .LBB378_1771
; %bb.1768:                             ;   in Loop: Header=BB378_998 Depth=1
	v_and_b32_e32 v23, 7, v23
	v_mov_b32_e32 v24, v11
	v_lshrrev_b32_e32 v53, 3, v98
	s_mov_b32 s20, exec_lo
	v_cmpx_gt_u32_e32 8, v98
; %bb.1769:                             ;   in Loop: Header=BB378_998 Depth=1
	v_ffbh_u32_e32 v17, v23
	v_min_u32_e32 v17, 32, v17
	v_subrev_nc_u32_e32 v49, 28, v17
	v_sub_nc_u32_e32 v53, 29, v17
	v_lshlrev_b64 v[23:24], v49, v[23:24]
	v_and_b32_e32 v23, 7, v23
; %bb.1770:                             ;   in Loop: Header=BB378_998 Depth=1
	s_or_b32 exec_lo, exec_lo, s20
	v_lshlrev_b32_e32 v10, 16, v10
	v_lshlrev_b32_e32 v17, 20, v23
	v_lshl_add_u32 v23, v53, 23, 0x3c000000
	v_and_b32_e32 v10, 0x80000000, v10
	v_or3_b32 v53, v17, v10, v23
.LBB378_1771:                           ;   in Loop: Header=BB378_998 Depth=1
	s_or_b32 exec_lo, exec_lo, s18
.LBB378_1772:                           ;   in Loop: Header=BB378_998 Depth=1
	s_or_b32 exec_lo, exec_lo, s17
.LBB378_1773:                           ;   in Loop: Header=BB378_998 Depth=1
	s_or_b32 exec_lo, exec_lo, s16
	v_and_b32_sdwa v10, v21, v83 dst_sel:DWORD dst_unused:UNUSED_PAD src0_sel:WORD_1 src1_sel:DWORD
	v_mov_b32_e32 v103, 0
	v_mov_b32_e32 v100, 0
	s_mov_b32 s16, exec_lo
	v_cmpx_ne_u16_e32 0, v10
	s_cbranch_execz .LBB378_1781
; %bb.1774:                             ;   in Loop: Header=BB378_998 Depth=1
	v_bfrev_b32_e32 v100, 1
	s_mov_b32 s17, exec_lo
	v_cmpx_ne_u16_e32 0x80, v10
	s_cbranch_execz .LBB378_1780
; %bb.1775:                             ;   in Loop: Header=BB378_998 Depth=1
	v_bfe_u32 v23, v21, 16, 7
	v_mov_b32_e32 v100, 0x7f800001
	s_mov_b32 s18, exec_lo
	v_cmpx_ne_u32_e32 0x7f, v23
	s_cbranch_execz .LBB378_1779
; %bb.1776:                             ;   in Loop: Header=BB378_998 Depth=1
	v_mov_b32_e32 v10, 7
	v_lshrrev_b32_e32 v98, 3, v23
	v_cmp_gt_u32_e64 s4, 8, v23
	v_and_b32_sdwa v10, v21, v10 dst_sel:DWORD dst_unused:UNUSED_PAD src0_sel:WORD_1 src1_sel:DWORD
	v_mov_b32_e32 v24, v11
	v_mov_b32_e32 v23, v10
	s_and_saveexec_b32 s20, s4
; %bb.1777:                             ;   in Loop: Header=BB378_998 Depth=1
	v_ffbh_u32_e32 v17, v10
	v_min_u32_e32 v17, 32, v17
	v_subrev_nc_u32_e32 v23, 28, v17
	v_sub_nc_u32_e32 v98, 29, v17
	v_lshlrev_b64 v[23:24], v23, v[10:11]
	v_and_b32_e32 v23, 7, v23
; %bb.1778:                             ;   in Loop: Header=BB378_998 Depth=1
	s_or_b32 exec_lo, exec_lo, s20
	v_mov_b32_e32 v10, 24
	v_lshlrev_b32_e32 v17, 20, v23
	v_lshl_add_u32 v23, v98, 23, 0x3c000000
	v_lshlrev_b32_sdwa v10, v10, v21 dst_sel:DWORD dst_unused:UNUSED_PAD src0_sel:DWORD src1_sel:WORD_1
	v_and_b32_e32 v10, 0x80000000, v10
	v_or3_b32 v100, v17, v10, v23
.LBB378_1779:                           ;   in Loop: Header=BB378_998 Depth=1
	s_or_b32 exec_lo, exec_lo, s18
.LBB378_1780:                           ;   in Loop: Header=BB378_998 Depth=1
	s_or_b32 exec_lo, exec_lo, s17
.LBB378_1781:                           ;   in Loop: Header=BB378_998 Depth=1
	s_or_b32 exec_lo, exec_lo, s16
	s_mov_b32 s16, exec_lo
	v_cmpx_lt_u64_e64 s[12:13], v[20:21]
	s_cbranch_execz .LBB378_1789
; %bb.1782:                             ;   in Loop: Header=BB378_998 Depth=1
	v_cmp_ne_u32_sdwa s4, v21, v81 src0_sel:BYTE_3 src1_sel:DWORD
	v_bfrev_b32_e32 v103, 1
	s_and_saveexec_b32 s17, s4
	s_cbranch_execz .LBB378_1788
; %bb.1783:                             ;   in Loop: Header=BB378_998 Depth=1
	v_bfe_u32 v23, v21, 24, 7
	v_mov_b32_e32 v103, 0x7f800001
	s_mov_b32 s18, exec_lo
	v_cmpx_ne_u32_e32 0x7f, v23
	s_cbranch_execz .LBB378_1787
; %bb.1784:                             ;   in Loop: Header=BB378_998 Depth=1
	v_mov_b32_e32 v10, 7
	v_lshrrev_b32_e32 v20, 3, v23
	v_cmp_gt_u32_e64 s4, 8, v23
	v_and_b32_sdwa v10, v21, v10 dst_sel:DWORD dst_unused:UNUSED_PAD src0_sel:BYTE_3 src1_sel:DWORD
	v_mov_b32_e32 v24, v11
	v_mov_b32_e32 v23, v10
	s_and_saveexec_b32 s20, s4
; %bb.1785:                             ;   in Loop: Header=BB378_998 Depth=1
	v_ffbh_u32_e32 v17, v10
	v_min_u32_e32 v17, 32, v17
	v_subrev_nc_u32_e32 v20, 28, v17
	v_lshlrev_b64 v[23:24], v20, v[10:11]
	v_sub_nc_u32_e32 v20, 29, v17
	v_and_b32_e32 v23, 7, v23
; %bb.1786:                             ;   in Loop: Header=BB378_998 Depth=1
	s_or_b32 exec_lo, exec_lo, s20
	v_mov_b32_e32 v10, 24
	v_lshlrev_b32_e32 v17, 20, v23
	v_lshl_add_u32 v20, v20, 23, 0x3c000000
	v_lshlrev_b32_sdwa v10, v10, v21 dst_sel:DWORD dst_unused:UNUSED_PAD src0_sel:DWORD src1_sel:BYTE_3
	v_and_b32_e32 v10, 0x80000000, v10
	v_or3_b32 v103, v17, v10, v20
.LBB378_1787:                           ;   in Loop: Header=BB378_998 Depth=1
	s_or_b32 exec_lo, exec_lo, s18
.LBB378_1788:                           ;   in Loop: Header=BB378_998 Depth=1
	s_or_b32 exec_lo, exec_lo, s17
.LBB378_1789:                           ;   in Loop: Header=BB378_998 Depth=1
	s_or_b32 exec_lo, exec_lo, s16
	v_mul_f32_e32 v10, v57, v53
	v_bfe_u32 v17, v10, 16, 1
	v_or_b32_e32 v20, 0x400000, v10
	v_cmp_u_f32_e64 s4, v10, v10
	v_add3_u32 v17, v17, v10, 0x7fff
	v_cndmask_b32_e64 v10, v17, v20, s4
	v_lshrrev_b32_e32 v53, 16, v10
	v_mul_f32_e32 v10, v57, v97
	v_bfe_u32 v17, v10, 16, 1
	v_or_b32_e32 v20, 0x400000, v10
	v_cmp_u_f32_e64 s4, v10, v10
	v_add3_u32 v17, v17, v10, 0x7fff
	v_cndmask_b32_e64 v10, v17, v20, s4
	v_lshrrev_b32_e32 v97, 16, v10
	;; [unrolled: 7-line block ×8, first 2 shown]
	s_and_saveexec_b32 s16, vcc_lo
	s_cbranch_execz .LBB378_1791
; %bb.1790:                             ;   in Loop: Header=BB378_998 Depth=1
	v_cmp_lt_i32_e64 s4, v74, v38
	v_cndmask_b32_e64 v102, 0, v102, s4
	v_cmp_lt_i32_e64 s4, v89, v38
	v_cndmask_b32_e64 v101, 0, v101, s4
	v_cmp_lt_i32_e64 s4, v88, v38
	v_cndmask_b32_e64 v99, 0, v99, s4
	v_cmp_lt_i32_e64 s4, v79, v38
	v_cndmask_b32_e64 v98, 0, v98, s4
	v_cmp_lt_i32_e64 s4, v78, v38
	v_cndmask_b32_e64 v97, 0, v97, s4
	v_cmp_lt_i32_e64 s4, v77, v38
	v_cndmask_b32_e64 v53, 0, v53, s4
	v_cmp_lt_i32_e64 s4, v76, v38
	v_cndmask_b32_e64 v100, 0, v100, s4
	v_cmp_lt_i32_e64 s4, v75, v38
	v_cndmask_b32_e64 v103, 0, v103, s4
.LBB378_1791:                           ;   in Loop: Header=BB378_998 Depth=1
	s_or_b32 exec_lo, exec_lo, s16
	flat_load_dwordx2 v[20:21], v[18:19] offset:1024
	v_mov_b32_e32 v82, 0
	v_mov_b32_e32 v51, 0
	s_waitcnt vmcnt(0) lgkmcnt(0)
	v_cmp_ne_u16_sdwa s4, v20, v11 src0_sel:BYTE_0 src1_sel:DWORD
	s_and_saveexec_b32 s16, s4
	s_cbranch_execz .LBB378_1799
; %bb.1792:                             ;   in Loop: Header=BB378_998 Depth=1
	v_cmp_ne_u16_sdwa s4, v20, v81 src0_sel:BYTE_0 src1_sel:DWORD
	v_bfrev_b32_e32 v51, 1
	s_and_saveexec_b32 s17, s4
	s_cbranch_execz .LBB378_1798
; %bb.1793:                             ;   in Loop: Header=BB378_998 Depth=1
	v_and_b32_e32 v23, 0x7f, v20
	v_mov_b32_e32 v51, 0x7f800001
	s_mov_b32 s18, exec_lo
	v_cmpx_ne_u32_e32 0x7f, v23
	s_cbranch_execz .LBB378_1797
; %bb.1794:                             ;   in Loop: Header=BB378_998 Depth=1
	v_lshrrev_b32_e32 v10, 3, v23
	v_cmp_gt_u32_e64 s4, 8, v23
	v_mov_b32_e32 v24, v21
	v_mov_b32_e32 v23, v20
	s_and_saveexec_b32 s20, s4
; %bb.1795:                             ;   in Loop: Header=BB378_998 Depth=1
	v_and_b32_e32 v10, 7, v20
	v_ffbh_u32_e32 v10, v10
	v_min_u32_e32 v10, 32, v10
	v_subrev_nc_u32_e32 v17, 28, v10
	v_sub_nc_u32_e32 v10, 29, v10
	v_lshlrev_b64 v[23:24], v17, v[20:21]
; %bb.1796:                             ;   in Loop: Header=BB378_998 Depth=1
	s_or_b32 exec_lo, exec_lo, s20
	v_lshlrev_b32_e32 v17, 20, v23
	v_lshlrev_b32_e32 v23, 24, v20
	v_lshl_add_u32 v10, v10, 23, 0x3c000000
	v_and_b32_e32 v17, 0x700000, v17
	v_and_b32_e32 v23, 0x80000000, v23
	v_or3_b32 v51, v17, v23, v10
.LBB378_1797:                           ;   in Loop: Header=BB378_998 Depth=1
	s_or_b32 exec_lo, exec_lo, s18
.LBB378_1798:                           ;   in Loop: Header=BB378_998 Depth=1
	s_or_b32 exec_lo, exec_lo, s17
.LBB378_1799:                           ;   in Loop: Header=BB378_998 Depth=1
	s_or_b32 exec_lo, exec_lo, s16
	v_cmp_ne_u16_sdwa s4, v20, v11 src0_sel:BYTE_1 src1_sel:DWORD
	s_and_saveexec_b32 s16, s4
	s_cbranch_execz .LBB378_1807
; %bb.1800:                             ;   in Loop: Header=BB378_998 Depth=1
	v_cmp_ne_u16_sdwa s4, v20, v81 src0_sel:BYTE_1 src1_sel:DWORD
	v_bfrev_b32_e32 v82, 1
	s_and_saveexec_b32 s17, s4
	s_cbranch_execz .LBB378_1806
; %bb.1801:                             ;   in Loop: Header=BB378_998 Depth=1
	v_mov_b32_e32 v10, 0xffff
	v_mov_b32_e32 v82, 0x7f800001
	s_mov_b32 s18, exec_lo
	v_and_b32_sdwa v10, v10, v20 dst_sel:DWORD dst_unused:UNUSED_PAD src0_sel:DWORD src1_sel:BYTE_1
	v_and_b32_e32 v23, 0x7f, v10
	v_cmpx_ne_u32_e32 0x7f, v23
	s_cbranch_execz .LBB378_1805
; %bb.1802:                             ;   in Loop: Header=BB378_998 Depth=1
	v_and_b32_e32 v10, 7, v10
	v_lshrrev_b32_e32 v82, 3, v23
	v_cmp_gt_u32_e64 s4, 8, v23
	v_mov_b32_e32 v24, v11
	v_mov_b32_e32 v23, v10
	s_and_saveexec_b32 s20, s4
; %bb.1803:                             ;   in Loop: Header=BB378_998 Depth=1
	v_ffbh_u32_e32 v17, v10
	v_min_u32_e32 v17, 32, v17
	v_subrev_nc_u32_e32 v23, 28, v17
	v_sub_nc_u32_e32 v82, 29, v17
	v_lshlrev_b64 v[23:24], v23, v[10:11]
	v_and_b32_e32 v23, 7, v23
; %bb.1804:                             ;   in Loop: Header=BB378_998 Depth=1
	s_or_b32 exec_lo, exec_lo, s20
	v_lshlrev_b32_e32 v10, 16, v20
	v_lshlrev_b32_e32 v17, 20, v23
	v_lshl_add_u32 v23, v82, 23, 0x3c000000
	v_and_b32_e32 v10, 0x80000000, v10
	v_or3_b32 v82, v17, v10, v23
.LBB378_1805:                           ;   in Loop: Header=BB378_998 Depth=1
	s_or_b32 exec_lo, exec_lo, s18
.LBB378_1806:                           ;   in Loop: Header=BB378_998 Depth=1
	s_or_b32 exec_lo, exec_lo, s17
.LBB378_1807:                           ;   in Loop: Header=BB378_998 Depth=1
	s_or_b32 exec_lo, exec_lo, s16
	v_and_b32_sdwa v10, v20, v83 dst_sel:DWORD dst_unused:UNUSED_PAD src0_sel:WORD_1 src1_sel:DWORD
	v_mov_b32_e32 v85, 0
	v_mov_b32_e32 v84, 0
	s_mov_b32 s16, exec_lo
	v_cmpx_ne_u16_e32 0, v10
	s_cbranch_execz .LBB378_1815
; %bb.1808:                             ;   in Loop: Header=BB378_998 Depth=1
	v_bfrev_b32_e32 v84, 1
	s_mov_b32 s17, exec_lo
	v_cmpx_ne_u16_e32 0x80, v10
	s_cbranch_execz .LBB378_1814
; %bb.1809:                             ;   in Loop: Header=BB378_998 Depth=1
	v_bfe_u32 v23, v20, 16, 7
	v_mov_b32_e32 v84, 0x7f800001
	s_mov_b32 s18, exec_lo
	v_cmpx_ne_u32_e32 0x7f, v23
	s_cbranch_execz .LBB378_1813
; %bb.1810:                             ;   in Loop: Header=BB378_998 Depth=1
	v_mov_b32_e32 v10, 7
	v_lshrrev_b32_e32 v84, 3, v23
	v_cmp_gt_u32_e64 s4, 8, v23
	v_and_b32_sdwa v10, v20, v10 dst_sel:DWORD dst_unused:UNUSED_PAD src0_sel:WORD_1 src1_sel:DWORD
	v_mov_b32_e32 v24, v11
	v_mov_b32_e32 v23, v10
	s_and_saveexec_b32 s20, s4
; %bb.1811:                             ;   in Loop: Header=BB378_998 Depth=1
	v_ffbh_u32_e32 v17, v10
	v_min_u32_e32 v17, 32, v17
	v_subrev_nc_u32_e32 v23, 28, v17
	v_sub_nc_u32_e32 v84, 29, v17
	v_lshlrev_b64 v[23:24], v23, v[10:11]
	v_and_b32_e32 v23, 7, v23
; %bb.1812:                             ;   in Loop: Header=BB378_998 Depth=1
	s_or_b32 exec_lo, exec_lo, s20
	v_mov_b32_e32 v10, 24
	v_lshlrev_b32_e32 v17, 20, v23
	v_lshl_add_u32 v23, v84, 23, 0x3c000000
	v_lshlrev_b32_sdwa v10, v10, v20 dst_sel:DWORD dst_unused:UNUSED_PAD src0_sel:DWORD src1_sel:WORD_1
	v_and_b32_e32 v10, 0x80000000, v10
	v_or3_b32 v84, v17, v10, v23
.LBB378_1813:                           ;   in Loop: Header=BB378_998 Depth=1
	s_or_b32 exec_lo, exec_lo, s18
.LBB378_1814:                           ;   in Loop: Header=BB378_998 Depth=1
	s_or_b32 exec_lo, exec_lo, s17
.LBB378_1815:                           ;   in Loop: Header=BB378_998 Depth=1
	s_or_b32 exec_lo, exec_lo, s16
	s_mov_b32 s16, exec_lo
	v_cmpx_lt_u32_e32 0xffffff, v20
	s_cbranch_execz .LBB378_1823
; %bb.1816:                             ;   in Loop: Header=BB378_998 Depth=1
	v_cmp_ne_u32_sdwa s4, v20, v81 src0_sel:BYTE_3 src1_sel:DWORD
	v_bfrev_b32_e32 v85, 1
	s_and_saveexec_b32 s17, s4
	s_cbranch_execz .LBB378_1822
; %bb.1817:                             ;   in Loop: Header=BB378_998 Depth=1
	v_bfe_u32 v23, v20, 24, 7
	v_mov_b32_e32 v85, 0x7f800001
	s_mov_b32 s18, exec_lo
	v_cmpx_ne_u32_e32 0x7f, v23
	s_cbranch_execz .LBB378_1821
; %bb.1818:                             ;   in Loop: Header=BB378_998 Depth=1
	v_mov_b32_e32 v10, 7
	v_lshrrev_b32_e32 v85, 3, v23
	v_cmp_gt_u32_e64 s4, 8, v23
	v_and_b32_sdwa v10, v20, v10 dst_sel:DWORD dst_unused:UNUSED_PAD src0_sel:BYTE_3 src1_sel:DWORD
	v_mov_b32_e32 v24, v11
	v_mov_b32_e32 v23, v10
	s_and_saveexec_b32 s20, s4
; %bb.1819:                             ;   in Loop: Header=BB378_998 Depth=1
	v_ffbh_u32_e32 v17, v10
	v_min_u32_e32 v17, 32, v17
	v_subrev_nc_u32_e32 v23, 28, v17
	v_sub_nc_u32_e32 v85, 29, v17
	v_lshlrev_b64 v[23:24], v23, v[10:11]
	v_and_b32_e32 v23, 7, v23
; %bb.1820:                             ;   in Loop: Header=BB378_998 Depth=1
	s_or_b32 exec_lo, exec_lo, s20
	v_mov_b32_e32 v10, 24
	v_lshlrev_b32_e32 v17, 20, v23
	v_lshl_add_u32 v23, v85, 23, 0x3c000000
	v_lshlrev_b32_sdwa v10, v10, v20 dst_sel:DWORD dst_unused:UNUSED_PAD src0_sel:DWORD src1_sel:BYTE_3
	v_and_b32_e32 v10, 0x80000000, v10
	v_or3_b32 v85, v17, v10, v23
.LBB378_1821:                           ;   in Loop: Header=BB378_998 Depth=1
	s_or_b32 exec_lo, exec_lo, s18
.LBB378_1822:                           ;   in Loop: Header=BB378_998 Depth=1
	s_or_b32 exec_lo, exec_lo, s17
.LBB378_1823:                           ;   in Loop: Header=BB378_998 Depth=1
	s_or_b32 exec_lo, exec_lo, s16
	v_mov_b32_e32 v10, v21
	v_cmp_ne_u16_sdwa s4, v21, v11 src0_sel:BYTE_0 src1_sel:DWORD
	v_mov_b32_e32 v112, 0
	v_mov_b32_e32 v113, 0
	s_and_saveexec_b32 s16, s4
	s_cbranch_execz .LBB378_1831
; %bb.1824:                             ;   in Loop: Header=BB378_998 Depth=1
	v_cmp_ne_u16_sdwa s4, v21, v81 src0_sel:BYTE_0 src1_sel:DWORD
	v_bfrev_b32_e32 v113, 1
	s_and_saveexec_b32 s17, s4
	s_cbranch_execz .LBB378_1830
; %bb.1825:                             ;   in Loop: Header=BB378_998 Depth=1
	v_and_b32_e32 v23, 0x7f, v21
	v_mov_b32_e32 v113, 0x7f800001
	s_mov_b32 s18, exec_lo
	v_cmpx_ne_u32_e32 0x7f, v23
	s_cbranch_execz .LBB378_1829
; %bb.1826:                             ;   in Loop: Header=BB378_998 Depth=1
	v_lshrrev_b32_e32 v113, 3, v23
	v_cmp_gt_u32_e64 s4, 8, v23
	v_mov_b32_e32 v24, v11
	v_mov_b32_e32 v23, v10
	s_and_saveexec_b32 s20, s4
; %bb.1827:                             ;   in Loop: Header=BB378_998 Depth=1
	v_and_b32_e32 v17, 7, v21
	v_ffbh_u32_e32 v17, v17
	v_min_u32_e32 v17, 32, v17
	v_subrev_nc_u32_e32 v23, 28, v17
	v_sub_nc_u32_e32 v113, 29, v17
	v_lshlrev_b64 v[23:24], v23, v[10:11]
; %bb.1828:                             ;   in Loop: Header=BB378_998 Depth=1
	s_or_b32 exec_lo, exec_lo, s20
	v_lshlrev_b32_e32 v17, 20, v23
	v_lshlrev_b32_e32 v23, 24, v10
	v_lshl_add_u32 v24, v113, 23, 0x3c000000
	v_and_b32_e32 v17, 0x700000, v17
	v_and_b32_e32 v23, 0x80000000, v23
	v_or3_b32 v113, v17, v23, v24
.LBB378_1829:                           ;   in Loop: Header=BB378_998 Depth=1
	s_or_b32 exec_lo, exec_lo, s18
.LBB378_1830:                           ;   in Loop: Header=BB378_998 Depth=1
	s_or_b32 exec_lo, exec_lo, s17
.LBB378_1831:                           ;   in Loop: Header=BB378_998 Depth=1
	s_or_b32 exec_lo, exec_lo, s16
	v_cmp_ne_u16_sdwa s4, v10, v11 src0_sel:BYTE_1 src1_sel:DWORD
	s_and_saveexec_b32 s16, s4
	s_cbranch_execz .LBB378_1839
; %bb.1832:                             ;   in Loop: Header=BB378_998 Depth=1
	v_cmp_ne_u16_sdwa s4, v10, v81 src0_sel:BYTE_1 src1_sel:DWORD
	v_bfrev_b32_e32 v112, 1
	s_and_saveexec_b32 s17, s4
	s_cbranch_execz .LBB378_1838
; %bb.1833:                             ;   in Loop: Header=BB378_998 Depth=1
	v_mov_b32_e32 v17, 0xffff
	v_mov_b32_e32 v112, 0x7f800001
	s_mov_b32 s18, exec_lo
	v_and_b32_sdwa v23, v17, v10 dst_sel:DWORD dst_unused:UNUSED_PAD src0_sel:DWORD src1_sel:BYTE_1
	v_and_b32_e32 v114, 0x7f, v23
	v_cmpx_ne_u32_e32 0x7f, v114
	s_cbranch_execz .LBB378_1837
; %bb.1834:                             ;   in Loop: Header=BB378_998 Depth=1
	v_and_b32_e32 v23, 7, v23
	v_mov_b32_e32 v24, v11
	v_lshrrev_b32_e32 v112, 3, v114
	s_mov_b32 s20, exec_lo
	v_cmpx_gt_u32_e32 8, v114
; %bb.1835:                             ;   in Loop: Header=BB378_998 Depth=1
	v_ffbh_u32_e32 v17, v23
	v_min_u32_e32 v17, 32, v17
	v_subrev_nc_u32_e32 v49, 28, v17
	v_sub_nc_u32_e32 v112, 29, v17
	v_lshlrev_b64 v[23:24], v49, v[23:24]
	v_and_b32_e32 v23, 7, v23
; %bb.1836:                             ;   in Loop: Header=BB378_998 Depth=1
	s_or_b32 exec_lo, exec_lo, s20
	v_lshlrev_b32_e32 v10, 16, v10
	v_lshlrev_b32_e32 v17, 20, v23
	v_lshl_add_u32 v23, v112, 23, 0x3c000000
	v_and_b32_e32 v10, 0x80000000, v10
	v_or3_b32 v112, v17, v10, v23
.LBB378_1837:                           ;   in Loop: Header=BB378_998 Depth=1
	s_or_b32 exec_lo, exec_lo, s18
.LBB378_1838:                           ;   in Loop: Header=BB378_998 Depth=1
	s_or_b32 exec_lo, exec_lo, s17
.LBB378_1839:                           ;   in Loop: Header=BB378_998 Depth=1
	s_or_b32 exec_lo, exec_lo, s16
	v_and_b32_sdwa v10, v21, v83 dst_sel:DWORD dst_unused:UNUSED_PAD src0_sel:WORD_1 src1_sel:DWORD
	v_mov_b32_e32 v119, 0
	v_mov_b32_e32 v116, 0
	s_mov_b32 s16, exec_lo
	v_cmpx_ne_u16_e32 0, v10
	s_cbranch_execz .LBB378_1847
; %bb.1840:                             ;   in Loop: Header=BB378_998 Depth=1
	v_bfrev_b32_e32 v116, 1
	s_mov_b32 s17, exec_lo
	v_cmpx_ne_u16_e32 0x80, v10
	s_cbranch_execz .LBB378_1846
; %bb.1841:                             ;   in Loop: Header=BB378_998 Depth=1
	v_bfe_u32 v23, v21, 16, 7
	v_mov_b32_e32 v116, 0x7f800001
	s_mov_b32 s18, exec_lo
	v_cmpx_ne_u32_e32 0x7f, v23
	s_cbranch_execz .LBB378_1845
; %bb.1842:                             ;   in Loop: Header=BB378_998 Depth=1
	v_mov_b32_e32 v10, 7
	v_lshrrev_b32_e32 v114, 3, v23
	v_cmp_gt_u32_e64 s4, 8, v23
	v_and_b32_sdwa v10, v21, v10 dst_sel:DWORD dst_unused:UNUSED_PAD src0_sel:WORD_1 src1_sel:DWORD
	v_mov_b32_e32 v24, v11
	v_mov_b32_e32 v23, v10
	s_and_saveexec_b32 s20, s4
; %bb.1843:                             ;   in Loop: Header=BB378_998 Depth=1
	v_ffbh_u32_e32 v17, v10
	v_min_u32_e32 v17, 32, v17
	v_subrev_nc_u32_e32 v23, 28, v17
	v_sub_nc_u32_e32 v114, 29, v17
	v_lshlrev_b64 v[23:24], v23, v[10:11]
	v_and_b32_e32 v23, 7, v23
; %bb.1844:                             ;   in Loop: Header=BB378_998 Depth=1
	s_or_b32 exec_lo, exec_lo, s20
	v_mov_b32_e32 v10, 24
	v_lshlrev_b32_e32 v17, 20, v23
	v_lshl_add_u32 v23, v114, 23, 0x3c000000
	v_lshlrev_b32_sdwa v10, v10, v21 dst_sel:DWORD dst_unused:UNUSED_PAD src0_sel:DWORD src1_sel:WORD_1
	v_and_b32_e32 v10, 0x80000000, v10
	v_or3_b32 v116, v17, v10, v23
.LBB378_1845:                           ;   in Loop: Header=BB378_998 Depth=1
	s_or_b32 exec_lo, exec_lo, s18
.LBB378_1846:                           ;   in Loop: Header=BB378_998 Depth=1
	s_or_b32 exec_lo, exec_lo, s17
.LBB378_1847:                           ;   in Loop: Header=BB378_998 Depth=1
	s_or_b32 exec_lo, exec_lo, s16
	s_mov_b32 s16, exec_lo
	v_cmpx_lt_u64_e64 s[12:13], v[20:21]
	s_cbranch_execz .LBB378_1855
; %bb.1848:                             ;   in Loop: Header=BB378_998 Depth=1
	v_cmp_ne_u32_sdwa s4, v21, v81 src0_sel:BYTE_3 src1_sel:DWORD
	v_bfrev_b32_e32 v119, 1
	s_and_saveexec_b32 s17, s4
	s_cbranch_execz .LBB378_1854
; %bb.1849:                             ;   in Loop: Header=BB378_998 Depth=1
	v_bfe_u32 v23, v21, 24, 7
	v_mov_b32_e32 v119, 0x7f800001
	s_mov_b32 s18, exec_lo
	v_cmpx_ne_u32_e32 0x7f, v23
	s_cbranch_execz .LBB378_1853
; %bb.1850:                             ;   in Loop: Header=BB378_998 Depth=1
	v_mov_b32_e32 v10, 7
	v_lshrrev_b32_e32 v20, 3, v23
	v_cmp_gt_u32_e64 s4, 8, v23
	v_and_b32_sdwa v10, v21, v10 dst_sel:DWORD dst_unused:UNUSED_PAD src0_sel:BYTE_3 src1_sel:DWORD
	v_mov_b32_e32 v24, v11
	v_mov_b32_e32 v23, v10
	s_and_saveexec_b32 s20, s4
; %bb.1851:                             ;   in Loop: Header=BB378_998 Depth=1
	v_ffbh_u32_e32 v17, v10
	v_min_u32_e32 v17, 32, v17
	v_subrev_nc_u32_e32 v20, 28, v17
	v_lshlrev_b64 v[23:24], v20, v[10:11]
	v_sub_nc_u32_e32 v20, 29, v17
	v_and_b32_e32 v23, 7, v23
; %bb.1852:                             ;   in Loop: Header=BB378_998 Depth=1
	s_or_b32 exec_lo, exec_lo, s20
	v_mov_b32_e32 v10, 24
	v_lshlrev_b32_e32 v17, 20, v23
	v_lshl_add_u32 v20, v20, 23, 0x3c000000
	v_lshlrev_b32_sdwa v10, v10, v21 dst_sel:DWORD dst_unused:UNUSED_PAD src0_sel:DWORD src1_sel:BYTE_3
	v_and_b32_e32 v10, 0x80000000, v10
	v_or3_b32 v119, v17, v10, v20
.LBB378_1853:                           ;   in Loop: Header=BB378_998 Depth=1
	s_or_b32 exec_lo, exec_lo, s18
.LBB378_1854:                           ;   in Loop: Header=BB378_998 Depth=1
	s_or_b32 exec_lo, exec_lo, s17
.LBB378_1855:                           ;   in Loop: Header=BB378_998 Depth=1
	s_or_b32 exec_lo, exec_lo, s16
	v_mul_f32_e32 v10, v57, v112
	v_bfe_u32 v17, v10, 16, 1
	v_or_b32_e32 v20, 0x400000, v10
	v_cmp_u_f32_e64 s4, v10, v10
	v_add3_u32 v17, v17, v10, 0x7fff
	v_cndmask_b32_e64 v10, v17, v20, s4
	v_lshrrev_b32_e32 v112, 16, v10
	v_mul_f32_e32 v10, v57, v113
	v_bfe_u32 v17, v10, 16, 1
	v_or_b32_e32 v20, 0x400000, v10
	v_cmp_u_f32_e64 s4, v10, v10
	v_add3_u32 v17, v17, v10, 0x7fff
	v_cndmask_b32_e64 v10, v17, v20, s4
	v_lshrrev_b32_e32 v113, 16, v10
	;; [unrolled: 7-line block ×8, first 2 shown]
	s_and_saveexec_b32 s16, vcc_lo
	s_cbranch_execz .LBB378_1857
; %bb.1856:                             ;   in Loop: Header=BB378_998 Depth=1
	v_cmp_lt_i32_e64 s4, v74, v38
	v_cndmask_b32_e64 v118, 0, v118, s4
	v_cmp_lt_i32_e64 s4, v89, v38
	v_cndmask_b32_e64 v117, 0, v117, s4
	;; [unrolled: 2-line block ×8, first 2 shown]
.LBB378_1857:                           ;   in Loop: Header=BB378_998 Depth=1
	s_or_b32 exec_lo, exec_lo, s16
	flat_load_dwordx2 v[20:21], v[18:19] offset:1280
	v_mov_b32_e32 v41, 0
	v_mov_b32_e32 v51, 0
	s_waitcnt vmcnt(0) lgkmcnt(0)
	v_cmp_ne_u16_sdwa s4, v20, v11 src0_sel:BYTE_0 src1_sel:DWORD
	s_and_saveexec_b32 s16, s4
	s_cbranch_execz .LBB378_1865
; %bb.1858:                             ;   in Loop: Header=BB378_998 Depth=1
	v_cmp_ne_u16_sdwa s4, v20, v81 src0_sel:BYTE_0 src1_sel:DWORD
	v_bfrev_b32_e32 v51, 1
	s_and_saveexec_b32 s17, s4
	s_cbranch_execz .LBB378_1864
; %bb.1859:                             ;   in Loop: Header=BB378_998 Depth=1
	v_and_b32_e32 v23, 0x7f, v20
	v_mov_b32_e32 v51, 0x7f800001
	s_mov_b32 s18, exec_lo
	v_cmpx_ne_u32_e32 0x7f, v23
	s_cbranch_execz .LBB378_1863
; %bb.1860:                             ;   in Loop: Header=BB378_998 Depth=1
	v_lshrrev_b32_e32 v10, 3, v23
	v_cmp_gt_u32_e64 s4, 8, v23
	v_mov_b32_e32 v24, v21
	v_mov_b32_e32 v23, v20
	s_and_saveexec_b32 s20, s4
; %bb.1861:                             ;   in Loop: Header=BB378_998 Depth=1
	v_and_b32_e32 v10, 7, v20
	v_ffbh_u32_e32 v10, v10
	v_min_u32_e32 v10, 32, v10
	v_subrev_nc_u32_e32 v17, 28, v10
	v_sub_nc_u32_e32 v10, 29, v10
	v_lshlrev_b64 v[23:24], v17, v[20:21]
; %bb.1862:                             ;   in Loop: Header=BB378_998 Depth=1
	s_or_b32 exec_lo, exec_lo, s20
	v_lshlrev_b32_e32 v17, 20, v23
	v_lshlrev_b32_e32 v23, 24, v20
	v_lshl_add_u32 v10, v10, 23, 0x3c000000
	v_and_b32_e32 v17, 0x700000, v17
	v_and_b32_e32 v23, 0x80000000, v23
	v_or3_b32 v51, v17, v23, v10
.LBB378_1863:                           ;   in Loop: Header=BB378_998 Depth=1
	s_or_b32 exec_lo, exec_lo, s18
.LBB378_1864:                           ;   in Loop: Header=BB378_998 Depth=1
	s_or_b32 exec_lo, exec_lo, s17
.LBB378_1865:                           ;   in Loop: Header=BB378_998 Depth=1
	s_or_b32 exec_lo, exec_lo, s16
	v_cmp_ne_u16_sdwa s4, v20, v11 src0_sel:BYTE_1 src1_sel:DWORD
	s_and_saveexec_b32 s16, s4
	s_cbranch_execz .LBB378_1873
; %bb.1866:                             ;   in Loop: Header=BB378_998 Depth=1
	v_cmp_ne_u16_sdwa s4, v20, v81 src0_sel:BYTE_1 src1_sel:DWORD
	v_bfrev_b32_e32 v41, 1
	s_and_saveexec_b32 s17, s4
	s_cbranch_execz .LBB378_1872
; %bb.1867:                             ;   in Loop: Header=BB378_998 Depth=1
	v_mov_b32_e32 v10, 0xffff
	v_mov_b32_e32 v41, 0x7f800001
	s_mov_b32 s18, exec_lo
	v_and_b32_sdwa v10, v10, v20 dst_sel:DWORD dst_unused:UNUSED_PAD src0_sel:DWORD src1_sel:BYTE_1
	v_and_b32_e32 v23, 0x7f, v10
	v_cmpx_ne_u32_e32 0x7f, v23
	s_cbranch_execz .LBB378_1871
; %bb.1868:                             ;   in Loop: Header=BB378_998 Depth=1
	v_and_b32_e32 v10, 7, v10
	v_lshrrev_b32_e32 v82, 3, v23
	v_cmp_gt_u32_e64 s4, 8, v23
	v_mov_b32_e32 v24, v11
	v_mov_b32_e32 v23, v10
	s_and_saveexec_b32 s20, s4
; %bb.1869:                             ;   in Loop: Header=BB378_998 Depth=1
	v_ffbh_u32_e32 v17, v10
	v_min_u32_e32 v17, 32, v17
	v_subrev_nc_u32_e32 v23, 28, v17
	v_sub_nc_u32_e32 v82, 29, v17
	v_lshlrev_b64 v[23:24], v23, v[10:11]
	v_and_b32_e32 v23, 7, v23
; %bb.1870:                             ;   in Loop: Header=BB378_998 Depth=1
	s_or_b32 exec_lo, exec_lo, s20
	v_lshlrev_b32_e32 v10, 16, v20
	v_lshlrev_b32_e32 v17, 20, v23
	v_lshl_add_u32 v23, v82, 23, 0x3c000000
	v_and_b32_e32 v10, 0x80000000, v10
	v_or3_b32 v41, v17, v10, v23
.LBB378_1871:                           ;   in Loop: Header=BB378_998 Depth=1
	s_or_b32 exec_lo, exec_lo, s18
.LBB378_1872:                           ;   in Loop: Header=BB378_998 Depth=1
	s_or_b32 exec_lo, exec_lo, s17
.LBB378_1873:                           ;   in Loop: Header=BB378_998 Depth=1
	s_or_b32 exec_lo, exec_lo, s16
	v_and_b32_sdwa v10, v20, v83 dst_sel:DWORD dst_unused:UNUSED_PAD src0_sel:WORD_1 src1_sel:DWORD
	v_mov_b32_e32 v84, 0
	v_mov_b32_e32 v85, 0
	s_mov_b32 s16, exec_lo
	v_cmpx_ne_u16_e32 0, v10
	s_cbranch_execz .LBB378_1881
; %bb.1874:                             ;   in Loop: Header=BB378_998 Depth=1
	v_bfrev_b32_e32 v85, 1
	s_mov_b32 s17, exec_lo
	v_cmpx_ne_u16_e32 0x80, v10
	s_cbranch_execz .LBB378_1880
; %bb.1875:                             ;   in Loop: Header=BB378_998 Depth=1
	v_bfe_u32 v23, v20, 16, 7
	v_mov_b32_e32 v85, 0x7f800001
	s_mov_b32 s18, exec_lo
	v_cmpx_ne_u32_e32 0x7f, v23
	s_cbranch_execz .LBB378_1879
; %bb.1876:                             ;   in Loop: Header=BB378_998 Depth=1
	v_mov_b32_e32 v10, 7
	v_lshrrev_b32_e32 v82, 3, v23
	v_cmp_gt_u32_e64 s4, 8, v23
	v_and_b32_sdwa v10, v20, v10 dst_sel:DWORD dst_unused:UNUSED_PAD src0_sel:WORD_1 src1_sel:DWORD
	v_mov_b32_e32 v24, v11
	v_mov_b32_e32 v23, v10
	s_and_saveexec_b32 s20, s4
; %bb.1877:                             ;   in Loop: Header=BB378_998 Depth=1
	v_ffbh_u32_e32 v17, v10
	v_min_u32_e32 v17, 32, v17
	v_subrev_nc_u32_e32 v23, 28, v17
	v_sub_nc_u32_e32 v82, 29, v17
	v_lshlrev_b64 v[23:24], v23, v[10:11]
	v_and_b32_e32 v23, 7, v23
; %bb.1878:                             ;   in Loop: Header=BB378_998 Depth=1
	s_or_b32 exec_lo, exec_lo, s20
	v_mov_b32_e32 v10, 24
	v_lshlrev_b32_e32 v17, 20, v23
	v_lshl_add_u32 v23, v82, 23, 0x3c000000
	v_lshlrev_b32_sdwa v10, v10, v20 dst_sel:DWORD dst_unused:UNUSED_PAD src0_sel:DWORD src1_sel:WORD_1
	v_and_b32_e32 v10, 0x80000000, v10
	v_or3_b32 v85, v17, v10, v23
.LBB378_1879:                           ;   in Loop: Header=BB378_998 Depth=1
	s_or_b32 exec_lo, exec_lo, s18
.LBB378_1880:                           ;   in Loop: Header=BB378_998 Depth=1
	s_or_b32 exec_lo, exec_lo, s17
.LBB378_1881:                           ;   in Loop: Header=BB378_998 Depth=1
	s_or_b32 exec_lo, exec_lo, s16
	s_mov_b32 s16, exec_lo
	v_cmpx_lt_u32_e32 0xffffff, v20
	s_cbranch_execz .LBB378_1889
; %bb.1882:                             ;   in Loop: Header=BB378_998 Depth=1
	v_cmp_ne_u32_sdwa s4, v20, v81 src0_sel:BYTE_3 src1_sel:DWORD
	v_bfrev_b32_e32 v84, 1
	s_and_saveexec_b32 s17, s4
	s_cbranch_execz .LBB378_1888
; %bb.1883:                             ;   in Loop: Header=BB378_998 Depth=1
	v_bfe_u32 v23, v20, 24, 7
	v_mov_b32_e32 v84, 0x7f800001
	s_mov_b32 s18, exec_lo
	v_cmpx_ne_u32_e32 0x7f, v23
	s_cbranch_execz .LBB378_1887
; %bb.1884:                             ;   in Loop: Header=BB378_998 Depth=1
	v_mov_b32_e32 v10, 7
	v_lshrrev_b32_e32 v82, 3, v23
	v_cmp_gt_u32_e64 s4, 8, v23
	v_and_b32_sdwa v10, v20, v10 dst_sel:DWORD dst_unused:UNUSED_PAD src0_sel:BYTE_3 src1_sel:DWORD
	v_mov_b32_e32 v24, v11
	v_mov_b32_e32 v23, v10
	s_and_saveexec_b32 s20, s4
; %bb.1885:                             ;   in Loop: Header=BB378_998 Depth=1
	v_ffbh_u32_e32 v17, v10
	v_min_u32_e32 v17, 32, v17
	v_subrev_nc_u32_e32 v23, 28, v17
	v_sub_nc_u32_e32 v82, 29, v17
	v_lshlrev_b64 v[23:24], v23, v[10:11]
	v_and_b32_e32 v23, 7, v23
; %bb.1886:                             ;   in Loop: Header=BB378_998 Depth=1
	s_or_b32 exec_lo, exec_lo, s20
	v_mov_b32_e32 v10, 24
	v_lshlrev_b32_e32 v17, 20, v23
	v_lshl_add_u32 v23, v82, 23, 0x3c000000
	v_lshlrev_b32_sdwa v10, v10, v20 dst_sel:DWORD dst_unused:UNUSED_PAD src0_sel:DWORD src1_sel:BYTE_3
	v_and_b32_e32 v10, 0x80000000, v10
	v_or3_b32 v84, v17, v10, v23
.LBB378_1887:                           ;   in Loop: Header=BB378_998 Depth=1
	s_or_b32 exec_lo, exec_lo, s18
.LBB378_1888:                           ;   in Loop: Header=BB378_998 Depth=1
	s_or_b32 exec_lo, exec_lo, s17
.LBB378_1889:                           ;   in Loop: Header=BB378_998 Depth=1
	s_or_b32 exec_lo, exec_lo, s16
	v_mov_b32_e32 v10, v21
	v_cmp_ne_u16_sdwa s4, v21, v11 src0_sel:BYTE_0 src1_sel:DWORD
	v_mov_b32_e32 v40, 0
	v_mov_b32_e32 v82, 0
	s_and_saveexec_b32 s16, s4
	s_cbranch_execz .LBB378_1897
; %bb.1890:                             ;   in Loop: Header=BB378_998 Depth=1
	v_cmp_ne_u16_sdwa s4, v21, v81 src0_sel:BYTE_0 src1_sel:DWORD
	v_bfrev_b32_e32 v82, 1
	s_and_saveexec_b32 s17, s4
	s_cbranch_execz .LBB378_1896
; %bb.1891:                             ;   in Loop: Header=BB378_998 Depth=1
	v_and_b32_e32 v23, 0x7f, v21
	v_mov_b32_e32 v82, 0x7f800001
	s_mov_b32 s18, exec_lo
	v_cmpx_ne_u32_e32 0x7f, v23
	s_cbranch_execz .LBB378_1895
; %bb.1892:                             ;   in Loop: Header=BB378_998 Depth=1
	v_lshrrev_b32_e32 v82, 3, v23
	v_cmp_gt_u32_e64 s4, 8, v23
	v_mov_b32_e32 v24, v11
	v_mov_b32_e32 v23, v10
	s_and_saveexec_b32 s20, s4
; %bb.1893:                             ;   in Loop: Header=BB378_998 Depth=1
	v_and_b32_e32 v17, 7, v21
	v_ffbh_u32_e32 v17, v17
	v_min_u32_e32 v17, 32, v17
	v_subrev_nc_u32_e32 v23, 28, v17
	v_sub_nc_u32_e32 v82, 29, v17
	v_lshlrev_b64 v[23:24], v23, v[10:11]
; %bb.1894:                             ;   in Loop: Header=BB378_998 Depth=1
	s_or_b32 exec_lo, exec_lo, s20
	v_lshlrev_b32_e32 v17, 20, v23
	v_lshlrev_b32_e32 v23, 24, v10
	v_lshl_add_u32 v24, v82, 23, 0x3c000000
	v_and_b32_e32 v17, 0x700000, v17
	v_and_b32_e32 v23, 0x80000000, v23
	v_or3_b32 v82, v17, v23, v24
.LBB378_1895:                           ;   in Loop: Header=BB378_998 Depth=1
	s_or_b32 exec_lo, exec_lo, s18
.LBB378_1896:                           ;   in Loop: Header=BB378_998 Depth=1
	s_or_b32 exec_lo, exec_lo, s17
.LBB378_1897:                           ;   in Loop: Header=BB378_998 Depth=1
	s_or_b32 exec_lo, exec_lo, s16
	v_cmp_ne_u16_sdwa s4, v10, v11 src0_sel:BYTE_1 src1_sel:DWORD
	s_and_saveexec_b32 s16, s4
	s_cbranch_execz .LBB378_1905
; %bb.1898:                             ;   in Loop: Header=BB378_998 Depth=1
	v_cmp_ne_u16_sdwa s4, v10, v81 src0_sel:BYTE_1 src1_sel:DWORD
	v_bfrev_b32_e32 v40, 1
	s_and_saveexec_b32 s17, s4
	s_cbranch_execz .LBB378_1904
; %bb.1899:                             ;   in Loop: Header=BB378_998 Depth=1
	v_mov_b32_e32 v17, 0xffff
	v_mov_b32_e32 v40, 0x7f800001
	s_mov_b32 s18, exec_lo
	v_and_b32_sdwa v23, v17, v10 dst_sel:DWORD dst_unused:UNUSED_PAD src0_sel:DWORD src1_sel:BYTE_1
	v_and_b32_e32 v42, 0x7f, v23
	v_cmpx_ne_u32_e32 0x7f, v42
	s_cbranch_execz .LBB378_1903
; %bb.1900:                             ;   in Loop: Header=BB378_998 Depth=1
	v_and_b32_e32 v23, 7, v23
	v_mov_b32_e32 v24, v11
	v_lshrrev_b32_e32 v40, 3, v42
	s_mov_b32 s20, exec_lo
	v_cmpx_gt_u32_e32 8, v42
; %bb.1901:                             ;   in Loop: Header=BB378_998 Depth=1
	v_ffbh_u32_e32 v17, v23
	v_min_u32_e32 v17, 32, v17
	v_subrev_nc_u32_e32 v49, 28, v17
	v_sub_nc_u32_e32 v40, 29, v17
	v_lshlrev_b64 v[23:24], v49, v[23:24]
	v_and_b32_e32 v23, 7, v23
; %bb.1902:                             ;   in Loop: Header=BB378_998 Depth=1
	s_or_b32 exec_lo, exec_lo, s20
	v_lshlrev_b32_e32 v10, 16, v10
	v_lshlrev_b32_e32 v17, 20, v23
	v_lshl_add_u32 v23, v40, 23, 0x3c000000
	v_and_b32_e32 v10, 0x80000000, v10
	v_or3_b32 v40, v17, v10, v23
.LBB378_1903:                           ;   in Loop: Header=BB378_998 Depth=1
	s_or_b32 exec_lo, exec_lo, s18
.LBB378_1904:                           ;   in Loop: Header=BB378_998 Depth=1
	s_or_b32 exec_lo, exec_lo, s17
.LBB378_1905:                           ;   in Loop: Header=BB378_998 Depth=1
	s_or_b32 exec_lo, exec_lo, s16
	v_and_b32_sdwa v10, v21, v83 dst_sel:DWORD dst_unused:UNUSED_PAD src0_sel:WORD_1 src1_sel:DWORD
	v_mov_b32_e32 v44, 0
	v_mov_b32_e32 v45, 0
	s_mov_b32 s16, exec_lo
	v_cmpx_ne_u16_e32 0, v10
	s_cbranch_execz .LBB378_1913
; %bb.1906:                             ;   in Loop: Header=BB378_998 Depth=1
	v_bfrev_b32_e32 v45, 1
	s_mov_b32 s17, exec_lo
	v_cmpx_ne_u16_e32 0x80, v10
	s_cbranch_execz .LBB378_1912
; %bb.1907:                             ;   in Loop: Header=BB378_998 Depth=1
	v_bfe_u32 v23, v21, 16, 7
	v_mov_b32_e32 v45, 0x7f800001
	s_mov_b32 s18, exec_lo
	v_cmpx_ne_u32_e32 0x7f, v23
	s_cbranch_execz .LBB378_1911
; %bb.1908:                             ;   in Loop: Header=BB378_998 Depth=1
	v_mov_b32_e32 v10, 7
	v_lshrrev_b32_e32 v42, 3, v23
	v_cmp_gt_u32_e64 s4, 8, v23
	v_and_b32_sdwa v10, v21, v10 dst_sel:DWORD dst_unused:UNUSED_PAD src0_sel:WORD_1 src1_sel:DWORD
	v_mov_b32_e32 v24, v11
	v_mov_b32_e32 v23, v10
	s_and_saveexec_b32 s20, s4
; %bb.1909:                             ;   in Loop: Header=BB378_998 Depth=1
	v_ffbh_u32_e32 v17, v10
	v_min_u32_e32 v17, 32, v17
	v_subrev_nc_u32_e32 v23, 28, v17
	v_sub_nc_u32_e32 v42, 29, v17
	v_lshlrev_b64 v[23:24], v23, v[10:11]
	v_and_b32_e32 v23, 7, v23
; %bb.1910:                             ;   in Loop: Header=BB378_998 Depth=1
	s_or_b32 exec_lo, exec_lo, s20
	v_mov_b32_e32 v10, 24
	v_lshlrev_b32_e32 v17, 20, v23
	v_lshl_add_u32 v23, v42, 23, 0x3c000000
	v_lshlrev_b32_sdwa v10, v10, v21 dst_sel:DWORD dst_unused:UNUSED_PAD src0_sel:DWORD src1_sel:WORD_1
	v_and_b32_e32 v10, 0x80000000, v10
	v_or3_b32 v45, v17, v10, v23
.LBB378_1911:                           ;   in Loop: Header=BB378_998 Depth=1
	s_or_b32 exec_lo, exec_lo, s18
.LBB378_1912:                           ;   in Loop: Header=BB378_998 Depth=1
	s_or_b32 exec_lo, exec_lo, s17
.LBB378_1913:                           ;   in Loop: Header=BB378_998 Depth=1
	s_or_b32 exec_lo, exec_lo, s16
	s_mov_b32 s16, exec_lo
	v_cmpx_lt_u64_e64 s[12:13], v[20:21]
	s_cbranch_execz .LBB378_1921
; %bb.1914:                             ;   in Loop: Header=BB378_998 Depth=1
	v_cmp_ne_u32_sdwa s4, v21, v81 src0_sel:BYTE_3 src1_sel:DWORD
	v_bfrev_b32_e32 v44, 1
	s_and_saveexec_b32 s17, s4
	s_cbranch_execz .LBB378_1920
; %bb.1915:                             ;   in Loop: Header=BB378_998 Depth=1
	v_bfe_u32 v23, v21, 24, 7
	v_mov_b32_e32 v44, 0x7f800001
	s_mov_b32 s18, exec_lo
	v_cmpx_ne_u32_e32 0x7f, v23
	s_cbranch_execz .LBB378_1919
; %bb.1916:                             ;   in Loop: Header=BB378_998 Depth=1
	v_mov_b32_e32 v10, 7
	v_lshrrev_b32_e32 v20, 3, v23
	v_cmp_gt_u32_e64 s4, 8, v23
	v_and_b32_sdwa v10, v21, v10 dst_sel:DWORD dst_unused:UNUSED_PAD src0_sel:BYTE_3 src1_sel:DWORD
	v_mov_b32_e32 v24, v11
	v_mov_b32_e32 v23, v10
	s_and_saveexec_b32 s20, s4
; %bb.1917:                             ;   in Loop: Header=BB378_998 Depth=1
	v_ffbh_u32_e32 v17, v10
	v_min_u32_e32 v17, 32, v17
	v_subrev_nc_u32_e32 v20, 28, v17
	v_lshlrev_b64 v[23:24], v20, v[10:11]
	v_sub_nc_u32_e32 v20, 29, v17
	v_and_b32_e32 v23, 7, v23
; %bb.1918:                             ;   in Loop: Header=BB378_998 Depth=1
	s_or_b32 exec_lo, exec_lo, s20
	v_mov_b32_e32 v10, 24
	v_lshlrev_b32_e32 v17, 20, v23
	v_lshl_add_u32 v20, v20, 23, 0x3c000000
	v_lshlrev_b32_sdwa v10, v10, v21 dst_sel:DWORD dst_unused:UNUSED_PAD src0_sel:DWORD src1_sel:BYTE_3
	v_and_b32_e32 v10, 0x80000000, v10
	v_or3_b32 v44, v17, v10, v20
.LBB378_1919:                           ;   in Loop: Header=BB378_998 Depth=1
	s_or_b32 exec_lo, exec_lo, s18
.LBB378_1920:                           ;   in Loop: Header=BB378_998 Depth=1
	s_or_b32 exec_lo, exec_lo, s17
.LBB378_1921:                           ;   in Loop: Header=BB378_998 Depth=1
	s_or_b32 exec_lo, exec_lo, s16
	v_mul_f32_e32 v10, v57, v40
	v_bfe_u32 v17, v10, 16, 1
	v_or_b32_e32 v20, 0x400000, v10
	v_cmp_u_f32_e64 s4, v10, v10
	v_add3_u32 v17, v17, v10, 0x7fff
	v_cndmask_b32_e64 v10, v17, v20, s4
	v_lshrrev_b32_e32 v40, 16, v10
	v_mul_f32_e32 v10, v57, v82
	v_bfe_u32 v17, v10, 16, 1
	v_or_b32_e32 v20, 0x400000, v10
	v_cmp_u_f32_e64 s4, v10, v10
	v_add3_u32 v17, v17, v10, 0x7fff
	v_cndmask_b32_e64 v10, v17, v20, s4
	v_lshrrev_b32_e32 v82, 16, v10
	;; [unrolled: 7-line block ×8, first 2 shown]
	s_and_saveexec_b32 s16, vcc_lo
	s_cbranch_execz .LBB378_1923
; %bb.1922:                             ;   in Loop: Header=BB378_998 Depth=1
	v_cmp_lt_i32_e64 s4, v74, v38
	v_cndmask_b32_e64 v43, 0, v43, s4
	v_cmp_lt_i32_e64 s4, v89, v38
	v_cndmask_b32_e64 v42, 0, v42, s4
	;; [unrolled: 2-line block ×8, first 2 shown]
.LBB378_1923:                           ;   in Loop: Header=BB378_998 Depth=1
	s_or_b32 exec_lo, exec_lo, s16
	flat_load_dwordx2 v[18:19], v[18:19] offset:1536
	v_mov_b32_e32 v24, 0
	v_mov_b32_e32 v23, 0
	s_waitcnt vmcnt(0) lgkmcnt(0)
	v_cmp_ne_u16_sdwa s4, v18, v11 src0_sel:BYTE_0 src1_sel:DWORD
	s_and_saveexec_b32 s16, s4
	s_cbranch_execz .LBB378_1931
; %bb.1924:                             ;   in Loop: Header=BB378_998 Depth=1
	v_cmp_ne_u16_sdwa s4, v18, v81 src0_sel:BYTE_0 src1_sel:DWORD
	v_bfrev_b32_e32 v23, 1
	s_and_saveexec_b32 s17, s4
	s_cbranch_execz .LBB378_1930
; %bb.1925:                             ;   in Loop: Header=BB378_998 Depth=1
	v_and_b32_e32 v20, 0x7f, v18
	v_mov_b32_e32 v23, 0x7f800001
	s_mov_b32 s18, exec_lo
	v_cmpx_ne_u32_e32 0x7f, v20
	s_cbranch_execz .LBB378_1929
; %bb.1926:                             ;   in Loop: Header=BB378_998 Depth=1
	v_lshrrev_b32_e32 v10, 3, v20
	v_cmp_gt_u32_e64 s4, 8, v20
	v_mov_b32_e32 v21, v19
	v_mov_b32_e32 v20, v18
	s_and_saveexec_b32 s20, s4
; %bb.1927:                             ;   in Loop: Header=BB378_998 Depth=1
	v_and_b32_e32 v10, 7, v18
	v_ffbh_u32_e32 v10, v10
	v_min_u32_e32 v10, 32, v10
	v_subrev_nc_u32_e32 v17, 28, v10
	v_sub_nc_u32_e32 v10, 29, v10
	v_lshlrev_b64 v[20:21], v17, v[18:19]
; %bb.1928:                             ;   in Loop: Header=BB378_998 Depth=1
	s_or_b32 exec_lo, exec_lo, s20
	v_lshlrev_b32_e32 v17, 20, v20
	v_lshlrev_b32_e32 v20, 24, v18
	v_lshl_add_u32 v10, v10, 23, 0x3c000000
	v_and_b32_e32 v17, 0x700000, v17
	v_and_b32_e32 v20, 0x80000000, v20
	v_or3_b32 v23, v17, v20, v10
.LBB378_1929:                           ;   in Loop: Header=BB378_998 Depth=1
	s_or_b32 exec_lo, exec_lo, s18
.LBB378_1930:                           ;   in Loop: Header=BB378_998 Depth=1
	s_or_b32 exec_lo, exec_lo, s17
.LBB378_1931:                           ;   in Loop: Header=BB378_998 Depth=1
	s_or_b32 exec_lo, exec_lo, s16
	v_cmp_ne_u16_sdwa s4, v18, v11 src0_sel:BYTE_1 src1_sel:DWORD
	s_and_saveexec_b32 s16, s4
	s_cbranch_execz .LBB378_1939
; %bb.1932:                             ;   in Loop: Header=BB378_998 Depth=1
	v_cmp_ne_u16_sdwa s4, v18, v81 src0_sel:BYTE_1 src1_sel:DWORD
	v_bfrev_b32_e32 v24, 1
	s_and_saveexec_b32 s17, s4
	s_cbranch_execz .LBB378_1938
; %bb.1933:                             ;   in Loop: Header=BB378_998 Depth=1
	v_mov_b32_e32 v10, 0xffff
	v_mov_b32_e32 v24, 0x7f800001
	s_mov_b32 s18, exec_lo
	v_and_b32_sdwa v10, v10, v18 dst_sel:DWORD dst_unused:UNUSED_PAD src0_sel:DWORD src1_sel:BYTE_1
	v_and_b32_e32 v20, 0x7f, v10
	v_cmpx_ne_u32_e32 0x7f, v20
	s_cbranch_execz .LBB378_1937
; %bb.1934:                             ;   in Loop: Header=BB378_998 Depth=1
	v_and_b32_e32 v10, 7, v10
	v_lshrrev_b32_e32 v24, 3, v20
	v_cmp_gt_u32_e64 s4, 8, v20
	v_mov_b32_e32 v21, v11
	v_mov_b32_e32 v20, v10
	s_and_saveexec_b32 s20, s4
; %bb.1935:                             ;   in Loop: Header=BB378_998 Depth=1
	v_ffbh_u32_e32 v17, v10
	v_min_u32_e32 v17, 32, v17
	v_subrev_nc_u32_e32 v20, 28, v17
	v_sub_nc_u32_e32 v24, 29, v17
	v_lshlrev_b64 v[20:21], v20, v[10:11]
	v_and_b32_e32 v20, 7, v20
; %bb.1936:                             ;   in Loop: Header=BB378_998 Depth=1
	s_or_b32 exec_lo, exec_lo, s20
	v_lshlrev_b32_e32 v10, 16, v18
	v_lshlrev_b32_e32 v17, 20, v20
	v_lshl_add_u32 v20, v24, 23, 0x3c000000
	v_and_b32_e32 v10, 0x80000000, v10
	v_or3_b32 v24, v17, v10, v20
.LBB378_1937:                           ;   in Loop: Header=BB378_998 Depth=1
	s_or_b32 exec_lo, exec_lo, s18
.LBB378_1938:                           ;   in Loop: Header=BB378_998 Depth=1
	s_or_b32 exec_lo, exec_lo, s17
.LBB378_1939:                           ;   in Loop: Header=BB378_998 Depth=1
	s_or_b32 exec_lo, exec_lo, s16
	v_and_b32_sdwa v10, v18, v83 dst_sel:DWORD dst_unused:UNUSED_PAD src0_sel:WORD_1 src1_sel:DWORD
	v_mov_b32_e32 v45, 0
	v_mov_b32_e32 v51, 0
	s_mov_b32 s16, exec_lo
	v_cmpx_ne_u16_e32 0, v10
	s_cbranch_execz .LBB378_1947
; %bb.1940:                             ;   in Loop: Header=BB378_998 Depth=1
	v_bfrev_b32_e32 v51, 1
	s_mov_b32 s17, exec_lo
	v_cmpx_ne_u16_e32 0x80, v10
	s_cbranch_execz .LBB378_1946
; %bb.1941:                             ;   in Loop: Header=BB378_998 Depth=1
	v_bfe_u32 v20, v18, 16, 7
	v_mov_b32_e32 v51, 0x7f800001
	s_mov_b32 s18, exec_lo
	v_cmpx_ne_u32_e32 0x7f, v20
	s_cbranch_execz .LBB378_1945
; %bb.1942:                             ;   in Loop: Header=BB378_998 Depth=1
	v_mov_b32_e32 v10, 7
	v_lshrrev_b32_e32 v51, 3, v20
	v_cmp_gt_u32_e64 s4, 8, v20
	v_and_b32_sdwa v10, v18, v10 dst_sel:DWORD dst_unused:UNUSED_PAD src0_sel:WORD_1 src1_sel:DWORD
	v_mov_b32_e32 v21, v11
	v_mov_b32_e32 v20, v10
	s_and_saveexec_b32 s20, s4
; %bb.1943:                             ;   in Loop: Header=BB378_998 Depth=1
	v_ffbh_u32_e32 v17, v10
	v_min_u32_e32 v17, 32, v17
	v_subrev_nc_u32_e32 v20, 28, v17
	v_sub_nc_u32_e32 v51, 29, v17
	v_lshlrev_b64 v[20:21], v20, v[10:11]
	v_and_b32_e32 v20, 7, v20
; %bb.1944:                             ;   in Loop: Header=BB378_998 Depth=1
	s_or_b32 exec_lo, exec_lo, s20
	v_mov_b32_e32 v10, 24
	v_lshlrev_b32_e32 v17, 20, v20
	v_lshl_add_u32 v20, v51, 23, 0x3c000000
	v_lshlrev_b32_sdwa v10, v10, v18 dst_sel:DWORD dst_unused:UNUSED_PAD src0_sel:DWORD src1_sel:WORD_1
	v_and_b32_e32 v10, 0x80000000, v10
	v_or3_b32 v51, v17, v10, v20
.LBB378_1945:                           ;   in Loop: Header=BB378_998 Depth=1
	s_or_b32 exec_lo, exec_lo, s18
.LBB378_1946:                           ;   in Loop: Header=BB378_998 Depth=1
	s_or_b32 exec_lo, exec_lo, s17
.LBB378_1947:                           ;   in Loop: Header=BB378_998 Depth=1
	s_or_b32 exec_lo, exec_lo, s16
	s_mov_b32 s16, exec_lo
	v_cmpx_lt_u32_e32 0xffffff, v18
	s_cbranch_execz .LBB378_1955
; %bb.1948:                             ;   in Loop: Header=BB378_998 Depth=1
	v_cmp_ne_u32_sdwa s4, v18, v81 src0_sel:BYTE_3 src1_sel:DWORD
	v_bfrev_b32_e32 v45, 1
	s_and_saveexec_b32 s17, s4
	s_cbranch_execz .LBB378_1954
; %bb.1949:                             ;   in Loop: Header=BB378_998 Depth=1
	v_bfe_u32 v20, v18, 24, 7
	v_mov_b32_e32 v45, 0x7f800001
	s_mov_b32 s18, exec_lo
	v_cmpx_ne_u32_e32 0x7f, v20
	s_cbranch_execz .LBB378_1953
; %bb.1950:                             ;   in Loop: Header=BB378_998 Depth=1
	v_mov_b32_e32 v10, 7
	v_lshrrev_b32_e32 v45, 3, v20
	v_cmp_gt_u32_e64 s4, 8, v20
	v_and_b32_sdwa v10, v18, v10 dst_sel:DWORD dst_unused:UNUSED_PAD src0_sel:BYTE_3 src1_sel:DWORD
	v_mov_b32_e32 v21, v11
	v_mov_b32_e32 v20, v10
	s_and_saveexec_b32 s20, s4
; %bb.1951:                             ;   in Loop: Header=BB378_998 Depth=1
	v_ffbh_u32_e32 v17, v10
	v_min_u32_e32 v17, 32, v17
	v_subrev_nc_u32_e32 v20, 28, v17
	v_sub_nc_u32_e32 v45, 29, v17
	v_lshlrev_b64 v[20:21], v20, v[10:11]
	v_and_b32_e32 v20, 7, v20
; %bb.1952:                             ;   in Loop: Header=BB378_998 Depth=1
	s_or_b32 exec_lo, exec_lo, s20
	v_mov_b32_e32 v10, 24
	v_lshlrev_b32_e32 v17, 20, v20
	v_lshl_add_u32 v20, v45, 23, 0x3c000000
	v_lshlrev_b32_sdwa v10, v10, v18 dst_sel:DWORD dst_unused:UNUSED_PAD src0_sel:DWORD src1_sel:BYTE_3
	v_and_b32_e32 v10, 0x80000000, v10
	v_or3_b32 v45, v17, v10, v20
.LBB378_1953:                           ;   in Loop: Header=BB378_998 Depth=1
	s_or_b32 exec_lo, exec_lo, s18
.LBB378_1954:                           ;   in Loop: Header=BB378_998 Depth=1
	s_or_b32 exec_lo, exec_lo, s17
.LBB378_1955:                           ;   in Loop: Header=BB378_998 Depth=1
	s_or_b32 exec_lo, exec_lo, s16
	v_mov_b32_e32 v10, v19
	v_cmp_ne_u16_sdwa s4, v19, v11 src0_sel:BYTE_0 src1_sel:DWORD
	v_mov_b32_e32 v58, 0
	v_mov_b32_e32 v56, 0
	s_and_saveexec_b32 s16, s4
	s_cbranch_execz .LBB378_1963
; %bb.1956:                             ;   in Loop: Header=BB378_998 Depth=1
	v_cmp_ne_u16_sdwa s4, v19, v81 src0_sel:BYTE_0 src1_sel:DWORD
	v_bfrev_b32_e32 v56, 1
	s_and_saveexec_b32 s17, s4
	s_cbranch_execz .LBB378_1962
; %bb.1957:                             ;   in Loop: Header=BB378_998 Depth=1
	v_and_b32_e32 v20, 0x7f, v19
	v_mov_b32_e32 v56, 0x7f800001
	s_mov_b32 s18, exec_lo
	v_cmpx_ne_u32_e32 0x7f, v20
	s_cbranch_execz .LBB378_1961
; %bb.1958:                             ;   in Loop: Header=BB378_998 Depth=1
	v_lshrrev_b32_e32 v46, 3, v20
	v_cmp_gt_u32_e64 s4, 8, v20
	v_mov_b32_e32 v21, v11
	v_mov_b32_e32 v20, v10
	s_and_saveexec_b32 s20, s4
; %bb.1959:                             ;   in Loop: Header=BB378_998 Depth=1
	v_and_b32_e32 v17, 7, v19
	v_ffbh_u32_e32 v17, v17
	v_min_u32_e32 v17, 32, v17
	v_subrev_nc_u32_e32 v20, 28, v17
	v_sub_nc_u32_e32 v46, 29, v17
	v_lshlrev_b64 v[20:21], v20, v[10:11]
; %bb.1960:                             ;   in Loop: Header=BB378_998 Depth=1
	s_or_b32 exec_lo, exec_lo, s20
	v_lshlrev_b32_e32 v17, 20, v20
	v_lshlrev_b32_e32 v20, 24, v10
	v_lshl_add_u32 v21, v46, 23, 0x3c000000
	v_and_b32_e32 v17, 0x700000, v17
	v_and_b32_e32 v20, 0x80000000, v20
	v_or3_b32 v56, v17, v20, v21
.LBB378_1961:                           ;   in Loop: Header=BB378_998 Depth=1
	s_or_b32 exec_lo, exec_lo, s18
.LBB378_1962:                           ;   in Loop: Header=BB378_998 Depth=1
	s_or_b32 exec_lo, exec_lo, s17
.LBB378_1963:                           ;   in Loop: Header=BB378_998 Depth=1
	s_or_b32 exec_lo, exec_lo, s16
	v_cmp_ne_u16_sdwa s4, v10, v11 src0_sel:BYTE_1 src1_sel:DWORD
	s_and_saveexec_b32 s16, s4
	s_cbranch_execz .LBB378_1971
; %bb.1964:                             ;   in Loop: Header=BB378_998 Depth=1
	v_cmp_ne_u16_sdwa s4, v10, v81 src0_sel:BYTE_1 src1_sel:DWORD
	v_bfrev_b32_e32 v58, 1
	s_and_saveexec_b32 s17, s4
	s_cbranch_execz .LBB378_1970
; %bb.1965:                             ;   in Loop: Header=BB378_998 Depth=1
	v_mov_b32_e32 v17, 0xffff
	v_mov_b32_e32 v58, 0x7f800001
	s_mov_b32 s18, exec_lo
	v_and_b32_sdwa v20, v17, v10 dst_sel:DWORD dst_unused:UNUSED_PAD src0_sel:DWORD src1_sel:BYTE_1
	v_and_b32_e32 v47, 0x7f, v20
	v_cmpx_ne_u32_e32 0x7f, v47
	s_cbranch_execz .LBB378_1969
; %bb.1966:                             ;   in Loop: Header=BB378_998 Depth=1
	v_and_b32_e32 v20, 7, v20
	v_mov_b32_e32 v21, v11
	v_lshrrev_b32_e32 v46, 3, v47
	s_mov_b32 s20, exec_lo
	v_cmpx_gt_u32_e32 8, v47
; %bb.1967:                             ;   in Loop: Header=BB378_998 Depth=1
	v_ffbh_u32_e32 v17, v20
	v_min_u32_e32 v17, 32, v17
	v_subrev_nc_u32_e32 v49, 28, v17
	v_sub_nc_u32_e32 v46, 29, v17
	v_lshlrev_b64 v[20:21], v49, v[20:21]
	v_and_b32_e32 v20, 7, v20
; %bb.1968:                             ;   in Loop: Header=BB378_998 Depth=1
	s_or_b32 exec_lo, exec_lo, s20
	v_lshlrev_b32_e32 v10, 16, v10
	v_lshlrev_b32_e32 v17, 20, v20
	v_lshl_add_u32 v20, v46, 23, 0x3c000000
	v_and_b32_e32 v10, 0x80000000, v10
	v_or3_b32 v58, v17, v10, v20
.LBB378_1969:                           ;   in Loop: Header=BB378_998 Depth=1
	s_or_b32 exec_lo, exec_lo, s18
.LBB378_1970:                           ;   in Loop: Header=BB378_998 Depth=1
	s_or_b32 exec_lo, exec_lo, s17
.LBB378_1971:                           ;   in Loop: Header=BB378_998 Depth=1
	s_or_b32 exec_lo, exec_lo, s16
	v_and_b32_sdwa v10, v19, v83 dst_sel:DWORD dst_unused:UNUSED_PAD src0_sel:WORD_1 src1_sel:DWORD
	v_mov_b32_e32 v46, 0
	v_mov_b32_e32 v47, 0
	s_mov_b32 s16, exec_lo
	v_cmpx_ne_u16_e32 0, v10
	s_cbranch_execz .LBB378_1979
; %bb.1972:                             ;   in Loop: Header=BB378_998 Depth=1
	v_bfrev_b32_e32 v47, 1
	s_mov_b32 s17, exec_lo
	v_cmpx_ne_u16_e32 0x80, v10
	s_cbranch_execz .LBB378_1978
; %bb.1973:                             ;   in Loop: Header=BB378_998 Depth=1
	v_bfe_u32 v20, v19, 16, 7
	v_mov_b32_e32 v47, 0x7f800001
	s_mov_b32 s18, exec_lo
	v_cmpx_ne_u32_e32 0x7f, v20
	s_cbranch_execz .LBB378_1977
; %bb.1974:                             ;   in Loop: Header=BB378_998 Depth=1
	v_mov_b32_e32 v10, 7
	v_lshrrev_b32_e32 v47, 3, v20
	v_cmp_gt_u32_e64 s4, 8, v20
	v_and_b32_sdwa v10, v19, v10 dst_sel:DWORD dst_unused:UNUSED_PAD src0_sel:WORD_1 src1_sel:DWORD
	v_mov_b32_e32 v21, v11
	v_mov_b32_e32 v20, v10
	s_and_saveexec_b32 s20, s4
; %bb.1975:                             ;   in Loop: Header=BB378_998 Depth=1
	v_ffbh_u32_e32 v17, v10
	v_min_u32_e32 v17, 32, v17
	v_subrev_nc_u32_e32 v20, 28, v17
	v_sub_nc_u32_e32 v47, 29, v17
	v_lshlrev_b64 v[20:21], v20, v[10:11]
	v_and_b32_e32 v20, 7, v20
; %bb.1976:                             ;   in Loop: Header=BB378_998 Depth=1
	s_or_b32 exec_lo, exec_lo, s20
	v_mov_b32_e32 v10, 24
	v_lshlrev_b32_e32 v17, 20, v20
	v_lshl_add_u32 v20, v47, 23, 0x3c000000
	v_lshlrev_b32_sdwa v10, v10, v19 dst_sel:DWORD dst_unused:UNUSED_PAD src0_sel:DWORD src1_sel:WORD_1
	v_and_b32_e32 v10, 0x80000000, v10
	v_or3_b32 v47, v17, v10, v20
.LBB378_1977:                           ;   in Loop: Header=BB378_998 Depth=1
	s_or_b32 exec_lo, exec_lo, s18
.LBB378_1978:                           ;   in Loop: Header=BB378_998 Depth=1
	s_or_b32 exec_lo, exec_lo, s17
.LBB378_1979:                           ;   in Loop: Header=BB378_998 Depth=1
	s_or_b32 exec_lo, exec_lo, s16
	s_mov_b32 s16, exec_lo
	v_cmpx_lt_u64_e64 s[12:13], v[18:19]
	s_cbranch_execz .LBB378_1987
; %bb.1980:                             ;   in Loop: Header=BB378_998 Depth=1
	v_cmp_ne_u32_sdwa s4, v19, v81 src0_sel:BYTE_3 src1_sel:DWORD
	v_bfrev_b32_e32 v46, 1
	s_and_saveexec_b32 s17, s4
	s_cbranch_execz .LBB378_1986
; %bb.1981:                             ;   in Loop: Header=BB378_998 Depth=1
	v_bfe_u32 v20, v19, 24, 7
	v_mov_b32_e32 v46, 0x7f800001
	s_mov_b32 s18, exec_lo
	v_cmpx_ne_u32_e32 0x7f, v20
	s_cbranch_execz .LBB378_1985
; %bb.1982:                             ;   in Loop: Header=BB378_998 Depth=1
	v_mov_b32_e32 v10, 7
	v_lshrrev_b32_e32 v18, 3, v20
	v_cmp_gt_u32_e64 s4, 8, v20
	v_and_b32_sdwa v10, v19, v10 dst_sel:DWORD dst_unused:UNUSED_PAD src0_sel:BYTE_3 src1_sel:DWORD
	v_mov_b32_e32 v21, v11
	v_mov_b32_e32 v20, v10
	s_and_saveexec_b32 s20, s4
; %bb.1983:                             ;   in Loop: Header=BB378_998 Depth=1
	v_ffbh_u32_e32 v17, v10
	v_min_u32_e32 v17, 32, v17
	v_subrev_nc_u32_e32 v18, 28, v17
	v_lshlrev_b64 v[20:21], v18, v[10:11]
	v_sub_nc_u32_e32 v18, 29, v17
	v_and_b32_e32 v20, 7, v20
; %bb.1984:                             ;   in Loop: Header=BB378_998 Depth=1
	s_or_b32 exec_lo, exec_lo, s20
	v_mov_b32_e32 v10, 24
	v_lshlrev_b32_e32 v17, 20, v20
	v_lshl_add_u32 v18, v18, 23, 0x3c000000
	v_lshlrev_b32_sdwa v10, v10, v19 dst_sel:DWORD dst_unused:UNUSED_PAD src0_sel:DWORD src1_sel:BYTE_3
	v_and_b32_e32 v10, 0x80000000, v10
	v_or3_b32 v46, v17, v10, v18
.LBB378_1985:                           ;   in Loop: Header=BB378_998 Depth=1
	s_or_b32 exec_lo, exec_lo, s18
.LBB378_1986:                           ;   in Loop: Header=BB378_998 Depth=1
	s_or_b32 exec_lo, exec_lo, s17
.LBB378_1987:                           ;   in Loop: Header=BB378_998 Depth=1
	s_or_b32 exec_lo, exec_lo, s16
	v_mul_f32_e32 v10, v57, v58
	v_bfe_u32 v17, v10, 16, 1
	v_or_b32_e32 v18, 0x400000, v10
	v_cmp_u_f32_e64 s4, v10, v10
	v_add3_u32 v17, v17, v10, 0x7fff
	v_cndmask_b32_e64 v10, v17, v18, s4
	v_mul_f32_e32 v17, v57, v56
	v_lshrrev_b32_e32 v10, 16, v10
	v_bfe_u32 v18, v17, 16, 1
	v_or_b32_e32 v19, 0x400000, v17
	v_cmp_u_f32_e64 s4, v17, v17
	v_add3_u32 v18, v18, v17, 0x7fff
	v_cndmask_b32_e64 v17, v18, v19, s4
	v_lshrrev_b32_e32 v18, 16, v17
	v_mul_f32_e32 v17, v57, v45
	v_bfe_u32 v19, v17, 16, 1
	v_or_b32_e32 v20, 0x400000, v17
	v_cmp_u_f32_e64 s4, v17, v17
	v_add3_u32 v19, v19, v17, 0x7fff
	v_cndmask_b32_e64 v17, v19, v20, s4
	v_lshrrev_b32_e32 v19, 16, v17
	v_mul_f32_e32 v17, v57, v51
	;; [unrolled: 7-line block ×6, first 2 shown]
	v_bfe_u32 v23, v17, 16, 1
	v_or_b32_e32 v49, 0x400000, v17
	v_cmp_u_f32_e64 s4, v17, v17
	v_add3_u32 v23, v23, v17, 0x7fff
	v_cndmask_b32_e64 v17, v23, v49, s4
	v_lshrrev_b32_e32 v23, 16, v17
	s_and_saveexec_b32 s4, vcc_lo
	s_cbranch_execz .LBB378_996
; %bb.1988:                             ;   in Loop: Header=BB378_998 Depth=1
	v_cmp_lt_i32_e32 vcc_lo, v74, v38
	v_cndmask_b32_e32 v51, 0, v51, vcc_lo
	v_cmp_lt_i32_e32 vcc_lo, v89, v38
	v_cndmask_b32_e32 v24, 0, v24, vcc_lo
	;; [unrolled: 2-line block ×8, first 2 shown]
	s_branch .LBB378_996
.LBB378_1989:
	s_or_b32 exec_lo, exec_lo, s11
	s_clause 0x10
	buffer_load_dword v35, off, s[0:3], s32 offset:444
	buffer_load_dword v31, off, s[0:3], s32 offset:448
	;; [unrolled: 1-line block ×17, first 2 shown]
.LBB378_1990:
	s_or_b32 exec_lo, exec_lo, s7
	s_waitcnt vmcnt(1)
	ds_bpermute_b32 v0, v31, v19
	ds_bpermute_b32 v2, v31, v18
	;; [unrolled: 1-line block ×5, first 2 shown]
	s_waitcnt vmcnt(0) lgkmcnt(0)
	s_waitcnt_vscnt null, 0x0
	s_barrier
	buffer_gl0_inv
	ds_bpermute_b32 v1, v31, v24
	ds_bpermute_b32 v4, v31, v16
	;; [unrolled: 1-line block ×10, first 2 shown]
	s_load_dword s4, s[8:9], 0x0
	s_mov_b32 s7, exec_lo
	v_add_f32_e32 v0, v19, v0
	v_add_f32_e32 v2, v18, v2
	;; [unrolled: 1-line block ×5, first 2 shown]
	ds_bpermute_b32 v15, v35, v0
	ds_bpermute_b32 v17, v35, v2
	;; [unrolled: 1-line block ×3, first 2 shown]
	s_waitcnt lgkmcnt(0)
	v_add_f32_e32 v1, v24, v1
	v_add_f32_e32 v4, v16, v4
	;; [unrolled: 1-line block ×5, first 2 shown]
	ds_bpermute_b32 v16, v35, v1
	v_add_f32_e32 v20, v20, v8
	v_add_f32_e32 v21, v21, v9
	;; [unrolled: 1-line block ×5, first 2 shown]
	ds_bpermute_b32 v19, v35, v4
	ds_bpermute_b32 v8, v35, v5
	;; [unrolled: 1-line block ×6, first 2 shown]
	v_add_f32_e32 v14, v0, v15
	buffer_load_dword v15, off, s[0:3], s32 offset:412 ; 4-byte Folded Reload
	v_add_f32_e32 v12, v2, v17
	s_clause 0x1
	buffer_load_dword v2, off, s[0:3], s32 offset:416
	buffer_load_dword v17, off, s[0:3], s32 offset:824
	ds_bpermute_b32 v31, v35, v26
	ds_bpermute_b32 v32, v35, v27
	;; [unrolled: 1-line block ×5, first 2 shown]
	s_waitcnt lgkmcnt(11)
	v_add_f32_e32 v13, v1, v16
	v_add_f32_e32 v11, v3, v18
	s_waitcnt lgkmcnt(10)
	v_add_f32_e32 v10, v4, v19
	s_waitcnt lgkmcnt(9)
	;; [unrolled: 2-line block ×10, first 2 shown]
	v_add_f32_e32 v1, v29, v34
	s_waitcnt vmcnt(2)
	v_and_b32_e32 v16, 28, v15
	v_lshrrev_b32_e32 v15, 2, v15
	s_waitcnt vmcnt(1)
	v_and_b32_e32 v18, 0x3c3, v2
	s_waitcnt lgkmcnt(0)
	v_add_f32_e32 v2, v30, v35
	s_waitcnt vmcnt(0)
	v_mul_u32_u24_e32 v17, 0x1e0, v17
	v_add_nc_u32_e32 v16, s4, v16
	v_cmpx_eq_u32_e32 64, v18
	s_cbranch_execz .LBB378_1992
; %bb.1991:
	v_add_nc_u32_e32 v18, v16, v17
	v_add_nc_u32_e32 v19, 0xfffffc40, v18
	v_add_nc_u32_e32 v20, 0xfffffc60, v18
	v_add_nc_u32_e32 v21, 0xfffffc80, v18
	v_add_nc_u32_e32 v22, 0xfffffca0, v18
	v_add_nc_u32_e32 v23, 0xfffffcc0, v18
	ds_write_b32 v19, v14
	ds_write_b32 v20, v13
	;; [unrolled: 1-line block ×5, first 2 shown]
	v_add_nc_u32_e32 v19, 0xfffffce0, v18
	v_add_nc_u32_e32 v20, 0xfffffd00, v18
	;; [unrolled: 1-line block ×5, first 2 shown]
	ds_write_b32 v19, v9
	ds_write_b32 v20, v8
	ds_write_b32 v21, v7
	ds_write_b32 v22, v6
	ds_write_b32 v23, v5
	v_add_nc_u32_e32 v19, 0xfffffd80, v18
	v_add_nc_u32_e32 v20, 0xfffffda0, v18
	v_add_nc_u32_e32 v21, 0xfffffdc0, v18
	v_add_nc_u32_e32 v22, 0xfffffde0, v18
	v_add_nc_u32_e32 v18, 0xfffffe00, v18
	ds_write_b32 v19, v4
	ds_write_b32 v20, v3
	;; [unrolled: 1-line block ×5, first 2 shown]
.LBB378_1992:
	s_or_b32 exec_lo, exec_lo, s7
	v_lshlrev_b32_e32 v15, 2, v15
	s_mov_b32 s7, exec_lo
	v_cmp_eq_u32_e32 vcc_lo, 0, v36
	v_add3_u32 v15, s4, v17, v15
	buffer_load_dword v17, off, s[0:3], s32 offset:416 ; 4-byte Folded Reload
	s_waitcnt vmcnt(0) lgkmcnt(0)
	s_barrier
	buffer_gl0_inv
	v_cmpx_gt_u32_e32 64, v17
	s_cbranch_execz .LBB378_2010
; %bb.1993:
	s_and_saveexec_b32 s4, vcc_lo
	s_cbranch_execnz .LBB378_2033
; %bb.1994:
	s_or_b32 exec_lo, exec_lo, s4
	s_and_saveexec_b32 s4, vcc_lo
	s_cbranch_execnz .LBB378_2034
.LBB378_1995:
	s_or_b32 exec_lo, exec_lo, s4
	s_and_saveexec_b32 s4, vcc_lo
	s_cbranch_execnz .LBB378_2035
.LBB378_1996:
	s_or_b32 exec_lo, exec_lo, s4
	s_and_saveexec_b32 s4, vcc_lo
	s_cbranch_execnz .LBB378_2036
.LBB378_1997:
	s_or_b32 exec_lo, exec_lo, s4
	s_and_saveexec_b32 s4, vcc_lo
	s_cbranch_execnz .LBB378_2037
.LBB378_1998:
	s_or_b32 exec_lo, exec_lo, s4
	s_and_saveexec_b32 s4, vcc_lo
	s_cbranch_execnz .LBB378_2038
.LBB378_1999:
	s_or_b32 exec_lo, exec_lo, s4
	s_and_saveexec_b32 s4, vcc_lo
	s_cbranch_execnz .LBB378_2039
.LBB378_2000:
	s_or_b32 exec_lo, exec_lo, s4
	s_and_saveexec_b32 s4, vcc_lo
	s_cbranch_execnz .LBB378_2040
.LBB378_2001:
	s_or_b32 exec_lo, exec_lo, s4
	s_and_saveexec_b32 s4, vcc_lo
	s_cbranch_execnz .LBB378_2041
.LBB378_2002:
	s_or_b32 exec_lo, exec_lo, s4
	s_and_saveexec_b32 s4, vcc_lo
	s_cbranch_execnz .LBB378_2042
.LBB378_2003:
	s_or_b32 exec_lo, exec_lo, s4
	s_and_saveexec_b32 s4, vcc_lo
	s_cbranch_execnz .LBB378_2043
.LBB378_2004:
	s_or_b32 exec_lo, exec_lo, s4
	s_and_saveexec_b32 s4, vcc_lo
	s_cbranch_execnz .LBB378_2044
.LBB378_2005:
	s_or_b32 exec_lo, exec_lo, s4
	s_and_saveexec_b32 s4, vcc_lo
	s_cbranch_execnz .LBB378_2045
.LBB378_2006:
	s_or_b32 exec_lo, exec_lo, s4
	s_and_saveexec_b32 s4, vcc_lo
	s_cbranch_execnz .LBB378_2046
.LBB378_2007:
	s_or_b32 exec_lo, exec_lo, s4
	s_and_saveexec_b32 s4, vcc_lo
	s_cbranch_execz .LBB378_2009
.LBB378_2008:
	ds_read_b32 v17, v15 offset:448
	s_waitcnt lgkmcnt(0)
	v_add_f32_e32 v2, v17, v2
.LBB378_2009:
	s_or_b32 exec_lo, exec_lo, s4
.LBB378_2010:
	s_or_b32 exec_lo, exec_lo, s7
	buffer_load_dword v17, off, s[0:3], s32 offset:416 ; 4-byte Folded Reload
	s_mov_b32 s7, exec_lo
	s_waitcnt vmcnt(0)
	s_barrier
	buffer_gl0_inv
	v_and_b32_e32 v17, 0x3e3, v17
	v_cmpx_eq_u32_e32 32, v17
	s_cbranch_execz .LBB378_2012
; %bb.2011:
	ds_write2_b32 v16, v14, v13 offset1:8
	ds_write2_b32 v16, v12, v11 offset0:16 offset1:24
	ds_write2_b32 v16, v10, v9 offset0:32 offset1:40
	;; [unrolled: 1-line block ×6, first 2 shown]
	ds_write_b32 v16, v2 offset:448
.LBB378_2012:
	s_or_b32 exec_lo, exec_lo, s7
	buffer_load_dword v16, off, s[0:3], s32 offset:416 ; 4-byte Folded Reload
	s_mov_b32 s7, exec_lo
	s_waitcnt vmcnt(0) lgkmcnt(0)
	s_barrier
	buffer_gl0_inv
	v_cmpx_gt_u32_e32 32, v16
	s_cbranch_execz .LBB378_2030
; %bb.2013:
	s_and_saveexec_b32 s4, vcc_lo
	s_cbranch_execnz .LBB378_2047
; %bb.2014:
	s_or_b32 exec_lo, exec_lo, s4
	s_and_saveexec_b32 s4, vcc_lo
	s_cbranch_execnz .LBB378_2048
.LBB378_2015:
	s_or_b32 exec_lo, exec_lo, s4
	s_and_saveexec_b32 s4, vcc_lo
	s_cbranch_execnz .LBB378_2049
.LBB378_2016:
	s_or_b32 exec_lo, exec_lo, s4
	s_and_saveexec_b32 s4, vcc_lo
	s_cbranch_execnz .LBB378_2050
.LBB378_2017:
	s_or_b32 exec_lo, exec_lo, s4
	s_and_saveexec_b32 s4, vcc_lo
	s_cbranch_execnz .LBB378_2051
.LBB378_2018:
	s_or_b32 exec_lo, exec_lo, s4
	s_and_saveexec_b32 s4, vcc_lo
	s_cbranch_execnz .LBB378_2052
.LBB378_2019:
	s_or_b32 exec_lo, exec_lo, s4
	s_and_saveexec_b32 s4, vcc_lo
	s_cbranch_execnz .LBB378_2053
.LBB378_2020:
	s_or_b32 exec_lo, exec_lo, s4
	s_and_saveexec_b32 s4, vcc_lo
	s_cbranch_execnz .LBB378_2054
.LBB378_2021:
	s_or_b32 exec_lo, exec_lo, s4
	s_and_saveexec_b32 s4, vcc_lo
	s_cbranch_execnz .LBB378_2055
.LBB378_2022:
	s_or_b32 exec_lo, exec_lo, s4
	s_and_saveexec_b32 s4, vcc_lo
	s_cbranch_execnz .LBB378_2056
.LBB378_2023:
	s_or_b32 exec_lo, exec_lo, s4
	s_and_saveexec_b32 s4, vcc_lo
	s_cbranch_execnz .LBB378_2057
.LBB378_2024:
	s_or_b32 exec_lo, exec_lo, s4
	s_and_saveexec_b32 s4, vcc_lo
	s_cbranch_execnz .LBB378_2058
.LBB378_2025:
	s_or_b32 exec_lo, exec_lo, s4
	s_and_saveexec_b32 s4, vcc_lo
	s_cbranch_execnz .LBB378_2059
.LBB378_2026:
	s_or_b32 exec_lo, exec_lo, s4
	s_and_saveexec_b32 s4, vcc_lo
	s_cbranch_execnz .LBB378_2060
.LBB378_2027:
	s_or_b32 exec_lo, exec_lo, s4
	s_and_saveexec_b32 s4, vcc_lo
	s_cbranch_execz .LBB378_2029
.LBB378_2028:
	ds_read_b32 v15, v15 offset:448
	s_waitcnt lgkmcnt(0)
	v_add_f32_e32 v2, v15, v2
.LBB378_2029:
	s_or_b32 exec_lo, exec_lo, s4
.LBB378_2030:
	s_or_b32 exec_lo, exec_lo, s7
	v_cmp_eq_u32_e32 vcc_lo, 0, v17
	s_barrier
	buffer_gl0_inv
	s_and_b32 exec_lo, exec_lo, vcc_lo
	s_cbranch_execz .LBB378_2032
; %bb.2031:
	s_clause 0x2
	buffer_load_dword v15, off, s[0:3], s32 offset:832
	buffer_load_dword v16, off, s[0:3], s32 offset:828
	;; [unrolled: 1-line block ×3, first 2 shown]
	s_mulk_i32 s6, 0x78
	s_mul_i32 s4, s10, s5
	s_ashr_i32 s7, s6, 31
	s_ashr_i32 s5, s4, 31
	s_lshl_b64 s[6:7], s[6:7], 1
	s_lshl_b64 s[4:5], s[4:5], 1
	v_bfe_u32 v17, v14, 16, 1
	v_or_b32_e32 v19, 0x400000, v14
	v_bfe_u32 v20, v13, 16, 1
	v_add3_u32 v17, v17, v14, 0x7fff
	s_waitcnt vmcnt(2)
	v_add_co_u32 v15, vcc_lo, v15, s6
	s_waitcnt vmcnt(1)
	v_add_co_ci_u32_e64 v16, null, s7, v16, vcc_lo
	s_mul_i32 s6, s14, 0x78
	v_add_co_u32 v15, vcc_lo, v15, s4
	s_ashr_i32 s7, s6, 31
	v_add_co_ci_u32_e64 v16, null, s5, v16, vcc_lo
	s_lshl_b64 s[4:5], s[6:7], 1
	s_waitcnt vmcnt(0)
	v_lshrrev_b32_e32 v18, 1, v18
	v_add_co_u32 v15, vcc_lo, v15, s4
	v_add_co_ci_u32_e64 v16, null, s5, v16, vcc_lo
	v_add_co_u32 v15, vcc_lo, v15, v18
	v_add_co_ci_u32_e64 v16, null, 0, v16, vcc_lo
	v_cmp_u_f32_e32 vcc_lo, v14, v14
	v_add3_u32 v18, v20, v13, 0x7fff
	v_or_b32_e32 v20, 0x400000, v13
	v_cndmask_b32_e32 v14, v17, v19, vcc_lo
	v_bfe_u32 v17, v12, 16, 1
	v_cmp_u_f32_e32 vcc_lo, v13, v13
	flat_store_short_d16_hi v[15:16], v14
	v_add3_u32 v14, v17, v12, 0x7fff
	v_cndmask_b32_e32 v13, v18, v20, vcc_lo
	v_bfe_u32 v18, v11, 16, 1
	v_or_b32_e32 v17, 0x400000, v12
	v_cmp_u_f32_e32 vcc_lo, v12, v12
	flat_store_short_d16_hi v[15:16], v13 offset:16
	v_add3_u32 v13, v18, v11, 0x7fff
	v_or_b32_e32 v18, 0x400000, v11
	v_cndmask_b32_e32 v12, v14, v17, vcc_lo
	v_bfe_u32 v14, v10, 16, 1
	v_cmp_u_f32_e32 vcc_lo, v11, v11
	flat_store_short_d16_hi v[15:16], v12 offset:32
	v_add3_u32 v12, v14, v10, 0x7fff
	v_cndmask_b32_e32 v11, v13, v18, vcc_lo
	v_bfe_u32 v13, v9, 16, 1
	v_or_b32_e32 v14, 0x400000, v10
	v_cmp_u_f32_e32 vcc_lo, v10, v10
	flat_store_short_d16_hi v[15:16], v11 offset:48
	v_add3_u32 v11, v13, v9, 0x7fff
	v_or_b32_e32 v13, 0x400000, v9
	v_cndmask_b32_e32 v10, v12, v14, vcc_lo
	v_bfe_u32 v12, v8, 16, 1
	v_cmp_u_f32_e32 vcc_lo, v9, v9
	flat_store_short_d16_hi v[15:16], v10 offset:64
	;; [unrolled: 12-line block ×3, first 2 shown]
	v_add3_u32 v8, v10, v6, 0x7fff
	v_cndmask_b32_e32 v7, v9, v11, vcc_lo
	v_bfe_u32 v9, v5, 16, 1
	v_or_b32_e32 v10, 0x400000, v6
	v_cmp_u_f32_e32 vcc_lo, v6, v6
	flat_store_short_d16_hi v[15:16], v7 offset:112
	v_add3_u32 v7, v9, v5, 0x7fff
	v_or_b32_e32 v9, 0x400000, v5
	v_cndmask_b32_e32 v6, v8, v10, vcc_lo
	v_bfe_u32 v8, v4, 16, 1
	v_cmp_u_f32_e32 vcc_lo, v5, v5
	v_or_b32_e32 v10, 0x400000, v2
	flat_store_short_d16_hi v[15:16], v6 offset:128
	v_add3_u32 v6, v8, v4, 0x7fff
	v_cndmask_b32_e32 v5, v7, v9, vcc_lo
	v_bfe_u32 v7, v3, 16, 1
	v_or_b32_e32 v8, 0x400000, v4
	v_cmp_u_f32_e32 vcc_lo, v4, v4
	v_or_b32_e32 v9, 0x400000, v1
	flat_store_short_d16_hi v[15:16], v5 offset:144
	v_add3_u32 v5, v7, v3, 0x7fff
	v_or_b32_e32 v7, 0x400000, v3
	v_cndmask_b32_e32 v4, v6, v8, vcc_lo
	v_bfe_u32 v6, v0, 16, 1
	v_cmp_u_f32_e32 vcc_lo, v3, v3
	v_bfe_u32 v8, v1, 16, 1
	v_add3_u32 v6, v6, v0, 0x7fff
	v_cndmask_b32_e32 v3, v5, v7, vcc_lo
	v_or_b32_e32 v7, 0x400000, v0
	v_cmp_u_f32_e32 vcc_lo, v0, v0
	v_bfe_u32 v5, v2, 16, 1
	v_add3_u32 v8, v8, v1, 0x7fff
	v_cndmask_b32_e32 v0, v6, v7, vcc_lo
	v_cmp_u_f32_e32 vcc_lo, v1, v1
	v_add3_u32 v5, v5, v2, 0x7fff
	v_cndmask_b32_e32 v1, v8, v9, vcc_lo
	v_cmp_u_f32_e32 vcc_lo, v2, v2
	v_cndmask_b32_e32 v2, v5, v10, vcc_lo
	flat_store_short_d16_hi v[15:16], v4 offset:160
	flat_store_short_d16_hi v[15:16], v3 offset:176
	;; [unrolled: 1-line block ×5, first 2 shown]
.LBB378_2032:
	s_or_b32 exec_lo, exec_lo, s19
	s_clause 0x2f
	buffer_load_dword v127, off, s[0:3], s32 offset:8
	buffer_load_dword v126, off, s[0:3], s32 offset:12
	buffer_load_dword v125, off, s[0:3], s32 offset:16
	buffer_load_dword v124, off, s[0:3], s32 offset:20
	buffer_load_dword v123, off, s[0:3], s32 offset:24
	buffer_load_dword v122, off, s[0:3], s32 offset:28
	buffer_load_dword v121, off, s[0:3], s32 offset:32
	buffer_load_dword v120, off, s[0:3], s32 offset:36
	buffer_load_dword v111, off, s[0:3], s32 offset:40
	buffer_load_dword v110, off, s[0:3], s32 offset:44
	buffer_load_dword v109, off, s[0:3], s32 offset:48
	buffer_load_dword v108, off, s[0:3], s32 offset:52
	buffer_load_dword v107, off, s[0:3], s32 offset:56
	buffer_load_dword v106, off, s[0:3], s32 offset:60
	buffer_load_dword v105, off, s[0:3], s32 offset:64
	buffer_load_dword v104, off, s[0:3], s32 offset:68
	buffer_load_dword v95, off, s[0:3], s32 offset:72
	buffer_load_dword v94, off, s[0:3], s32 offset:76
	buffer_load_dword v93, off, s[0:3], s32 offset:80
	buffer_load_dword v92, off, s[0:3], s32 offset:84
	buffer_load_dword v91, off, s[0:3], s32 offset:88
	buffer_load_dword v90, off, s[0:3], s32 offset:92
	buffer_load_dword v89, off, s[0:3], s32 offset:96
	buffer_load_dword v88, off, s[0:3], s32 offset:100
	buffer_load_dword v79, off, s[0:3], s32 offset:104
	buffer_load_dword v78, off, s[0:3], s32 offset:108
	buffer_load_dword v77, off, s[0:3], s32 offset:112
	buffer_load_dword v76, off, s[0:3], s32 offset:116
	buffer_load_dword v75, off, s[0:3], s32 offset:120
	buffer_load_dword v74, off, s[0:3], s32 offset:124
	buffer_load_dword v73, off, s[0:3], s32 offset:128
	buffer_load_dword v72, off, s[0:3], s32 offset:132
	buffer_load_dword v63, off, s[0:3], s32 offset:136
	buffer_load_dword v62, off, s[0:3], s32 offset:140
	buffer_load_dword v61, off, s[0:3], s32 offset:144
	buffer_load_dword v60, off, s[0:3], s32 offset:148
	buffer_load_dword v59, off, s[0:3], s32 offset:152
	buffer_load_dword v58, off, s[0:3], s32 offset:156
	buffer_load_dword v57, off, s[0:3], s32 offset:160
	buffer_load_dword v56, off, s[0:3], s32 offset:164
	buffer_load_dword v47, off, s[0:3], s32 offset:168
	buffer_load_dword v46, off, s[0:3], s32 offset:172
	buffer_load_dword v45, off, s[0:3], s32 offset:176
	buffer_load_dword v44, off, s[0:3], s32 offset:180
	buffer_load_dword v43, off, s[0:3], s32 offset:184
	buffer_load_dword v42, off, s[0:3], s32 offset:188
	buffer_load_dword v41, off, s[0:3], s32 offset:192
	buffer_load_dword v40, off, s[0:3], s32 offset:196
	s_waitcnt vmcnt(0) lgkmcnt(0)
	s_setpc_b64 s[30:31]
.LBB378_2033:
	ds_read_b32 v17, v15
	s_waitcnt lgkmcnt(0)
	v_add_f32_e32 v14, v17, v14
	s_or_b32 exec_lo, exec_lo, s4
	s_and_saveexec_b32 s4, vcc_lo
	s_cbranch_execz .LBB378_1995
.LBB378_2034:
	ds_read_b32 v17, v15 offset:32
	s_waitcnt lgkmcnt(0)
	v_add_f32_e32 v13, v17, v13
	s_or_b32 exec_lo, exec_lo, s4
	s_and_saveexec_b32 s4, vcc_lo
	s_cbranch_execz .LBB378_1996
.LBB378_2035:
	ds_read_b32 v17, v15 offset:64
	s_waitcnt lgkmcnt(0)
	v_add_f32_e32 v12, v17, v12
	s_or_b32 exec_lo, exec_lo, s4
	s_and_saveexec_b32 s4, vcc_lo
	s_cbranch_execz .LBB378_1997
.LBB378_2036:
	ds_read_b32 v17, v15 offset:96
	s_waitcnt lgkmcnt(0)
	v_add_f32_e32 v11, v17, v11
	s_or_b32 exec_lo, exec_lo, s4
	s_and_saveexec_b32 s4, vcc_lo
	s_cbranch_execz .LBB378_1998
.LBB378_2037:
	ds_read_b32 v17, v15 offset:128
	s_waitcnt lgkmcnt(0)
	v_add_f32_e32 v10, v17, v10
	s_or_b32 exec_lo, exec_lo, s4
	s_and_saveexec_b32 s4, vcc_lo
	s_cbranch_execz .LBB378_1999
.LBB378_2038:
	ds_read_b32 v17, v15 offset:160
	s_waitcnt lgkmcnt(0)
	v_add_f32_e32 v9, v17, v9
	s_or_b32 exec_lo, exec_lo, s4
	s_and_saveexec_b32 s4, vcc_lo
	s_cbranch_execz .LBB378_2000
.LBB378_2039:
	ds_read_b32 v17, v15 offset:192
	s_waitcnt lgkmcnt(0)
	v_add_f32_e32 v8, v17, v8
	s_or_b32 exec_lo, exec_lo, s4
	s_and_saveexec_b32 s4, vcc_lo
	s_cbranch_execz .LBB378_2001
.LBB378_2040:
	ds_read_b32 v17, v15 offset:224
	s_waitcnt lgkmcnt(0)
	v_add_f32_e32 v7, v17, v7
	s_or_b32 exec_lo, exec_lo, s4
	s_and_saveexec_b32 s4, vcc_lo
	s_cbranch_execz .LBB378_2002
.LBB378_2041:
	ds_read_b32 v17, v15 offset:256
	s_waitcnt lgkmcnt(0)
	v_add_f32_e32 v6, v17, v6
	s_or_b32 exec_lo, exec_lo, s4
	s_and_saveexec_b32 s4, vcc_lo
	s_cbranch_execz .LBB378_2003
.LBB378_2042:
	ds_read_b32 v17, v15 offset:288
	s_waitcnt lgkmcnt(0)
	v_add_f32_e32 v5, v17, v5
	s_or_b32 exec_lo, exec_lo, s4
	s_and_saveexec_b32 s4, vcc_lo
	s_cbranch_execz .LBB378_2004
.LBB378_2043:
	ds_read_b32 v17, v15 offset:320
	s_waitcnt lgkmcnt(0)
	v_add_f32_e32 v4, v17, v4
	s_or_b32 exec_lo, exec_lo, s4
	s_and_saveexec_b32 s4, vcc_lo
	s_cbranch_execz .LBB378_2005
.LBB378_2044:
	ds_read_b32 v17, v15 offset:352
	s_waitcnt lgkmcnt(0)
	v_add_f32_e32 v3, v17, v3
	s_or_b32 exec_lo, exec_lo, s4
	s_and_saveexec_b32 s4, vcc_lo
	s_cbranch_execz .LBB378_2006
.LBB378_2045:
	ds_read_b32 v17, v15 offset:384
	s_waitcnt lgkmcnt(0)
	v_add_f32_e32 v0, v17, v0
	s_or_b32 exec_lo, exec_lo, s4
	s_and_saveexec_b32 s4, vcc_lo
	s_cbranch_execz .LBB378_2007
.LBB378_2046:
	ds_read_b32 v17, v15 offset:416
	s_waitcnt lgkmcnt(0)
	v_add_f32_e32 v1, v17, v1
	s_or_b32 exec_lo, exec_lo, s4
	s_and_saveexec_b32 s4, vcc_lo
	s_cbranch_execnz .LBB378_2008
	s_branch .LBB378_2009
.LBB378_2047:
	ds_read_b32 v16, v15
	s_waitcnt lgkmcnt(0)
	v_add_f32_e32 v14, v16, v14
	s_or_b32 exec_lo, exec_lo, s4
	s_and_saveexec_b32 s4, vcc_lo
	s_cbranch_execz .LBB378_2015
.LBB378_2048:
	ds_read_b32 v16, v15 offset:32
	s_waitcnt lgkmcnt(0)
	v_add_f32_e32 v13, v16, v13
	s_or_b32 exec_lo, exec_lo, s4
	s_and_saveexec_b32 s4, vcc_lo
	s_cbranch_execz .LBB378_2016
.LBB378_2049:
	ds_read_b32 v16, v15 offset:64
	s_waitcnt lgkmcnt(0)
	v_add_f32_e32 v12, v16, v12
	s_or_b32 exec_lo, exec_lo, s4
	s_and_saveexec_b32 s4, vcc_lo
	s_cbranch_execz .LBB378_2017
.LBB378_2050:
	ds_read_b32 v16, v15 offset:96
	s_waitcnt lgkmcnt(0)
	v_add_f32_e32 v11, v16, v11
	s_or_b32 exec_lo, exec_lo, s4
	s_and_saveexec_b32 s4, vcc_lo
	s_cbranch_execz .LBB378_2018
.LBB378_2051:
	ds_read_b32 v16, v15 offset:128
	s_waitcnt lgkmcnt(0)
	v_add_f32_e32 v10, v16, v10
	s_or_b32 exec_lo, exec_lo, s4
	s_and_saveexec_b32 s4, vcc_lo
	s_cbranch_execz .LBB378_2019
.LBB378_2052:
	ds_read_b32 v16, v15 offset:160
	s_waitcnt lgkmcnt(0)
	v_add_f32_e32 v9, v16, v9
	s_or_b32 exec_lo, exec_lo, s4
	s_and_saveexec_b32 s4, vcc_lo
	s_cbranch_execz .LBB378_2020
.LBB378_2053:
	ds_read_b32 v16, v15 offset:192
	s_waitcnt lgkmcnt(0)
	v_add_f32_e32 v8, v16, v8
	s_or_b32 exec_lo, exec_lo, s4
	s_and_saveexec_b32 s4, vcc_lo
	s_cbranch_execz .LBB378_2021
.LBB378_2054:
	ds_read_b32 v16, v15 offset:224
	s_waitcnt lgkmcnt(0)
	v_add_f32_e32 v7, v16, v7
	s_or_b32 exec_lo, exec_lo, s4
	s_and_saveexec_b32 s4, vcc_lo
	s_cbranch_execz .LBB378_2022
.LBB378_2055:
	ds_read_b32 v16, v15 offset:256
	s_waitcnt lgkmcnt(0)
	v_add_f32_e32 v6, v16, v6
	s_or_b32 exec_lo, exec_lo, s4
	s_and_saveexec_b32 s4, vcc_lo
	s_cbranch_execz .LBB378_2023
.LBB378_2056:
	ds_read_b32 v16, v15 offset:288
	s_waitcnt lgkmcnt(0)
	v_add_f32_e32 v5, v16, v5
	s_or_b32 exec_lo, exec_lo, s4
	s_and_saveexec_b32 s4, vcc_lo
	s_cbranch_execz .LBB378_2024
.LBB378_2057:
	ds_read_b32 v16, v15 offset:320
	s_waitcnt lgkmcnt(0)
	v_add_f32_e32 v4, v16, v4
	s_or_b32 exec_lo, exec_lo, s4
	s_and_saveexec_b32 s4, vcc_lo
	s_cbranch_execz .LBB378_2025
.LBB378_2058:
	ds_read_b32 v16, v15 offset:352
	s_waitcnt lgkmcnt(0)
	v_add_f32_e32 v3, v16, v3
	s_or_b32 exec_lo, exec_lo, s4
	s_and_saveexec_b32 s4, vcc_lo
	s_cbranch_execz .LBB378_2026
.LBB378_2059:
	ds_read_b32 v16, v15 offset:384
	s_waitcnt lgkmcnt(0)
	v_add_f32_e32 v0, v16, v0
	s_or_b32 exec_lo, exec_lo, s4
	s_and_saveexec_b32 s4, vcc_lo
	s_cbranch_execz .LBB378_2027
.LBB378_2060:
	ds_read_b32 v16, v15 offset:416
	s_waitcnt lgkmcnt(0)
	v_add_f32_e32 v1, v16, v1
	s_or_b32 exec_lo, exec_lo, s4
	s_and_saveexec_b32 s4, vcc_lo
	s_cbranch_execnz .LBB378_2028
	s_branch .LBB378_2029
.Lfunc_end378:
	.size	_ZN4vllm22paged_attention_kernelI14__hip_bfloat16hLi120ELi32ELi128ELNS_18Fp8KVCacheDataTypeE1ELb1ELi512EEEvPfS3_PT_PKS4_PKT0_SA_ifPKiSC_iPKfiiiSE_SE_iiiii, .Lfunc_end378-_ZN4vllm22paged_attention_kernelI14__hip_bfloat16hLi120ELi32ELi128ELNS_18Fp8KVCacheDataTypeE1ELb1ELi512EEEvPfS3_PT_PKS4_PKT0_SA_ifPKiSC_iPKfiiiSE_SE_iiiii
                                        ; -- End function
	.set .L_ZN4vllm22paged_attention_kernelI14__hip_bfloat16hLi120ELi32ELi128ELNS_18Fp8KVCacheDataTypeE1ELb1ELi512EEEvPfS3_PT_PKS4_PKT0_SA_ifPKiSC_iPKfiiiSE_SE_iiiii.num_vgpr, 128
	.set .L_ZN4vllm22paged_attention_kernelI14__hip_bfloat16hLi120ELi32ELi128ELNS_18Fp8KVCacheDataTypeE1ELb1ELi512EEEvPfS3_PT_PKS4_PKT0_SA_ifPKiSC_iPKfiiiSE_SE_iiiii.num_agpr, 0
	.set .L_ZN4vllm22paged_attention_kernelI14__hip_bfloat16hLi120ELi32ELi128ELNS_18Fp8KVCacheDataTypeE1ELb1ELi512EEEvPfS3_PT_PKS4_PKT0_SA_ifPKiSC_iPKfiiiSE_SE_iiiii.numbered_sgpr, 33
	.set .L_ZN4vllm22paged_attention_kernelI14__hip_bfloat16hLi120ELi32ELi128ELNS_18Fp8KVCacheDataTypeE1ELb1ELi512EEEvPfS3_PT_PKS4_PKT0_SA_ifPKiSC_iPKfiiiSE_SE_iiiii.num_named_barrier, 0
	.set .L_ZN4vllm22paged_attention_kernelI14__hip_bfloat16hLi120ELi32ELi128ELNS_18Fp8KVCacheDataTypeE1ELb1ELi512EEEvPfS3_PT_PKS4_PKT0_SA_ifPKiSC_iPKfiiiSE_SE_iiiii.private_seg_size, 908
	.set .L_ZN4vllm22paged_attention_kernelI14__hip_bfloat16hLi120ELi32ELi128ELNS_18Fp8KVCacheDataTypeE1ELb1ELi512EEEvPfS3_PT_PKS4_PKT0_SA_ifPKiSC_iPKfiiiSE_SE_iiiii.uses_vcc, 1
	.set .L_ZN4vllm22paged_attention_kernelI14__hip_bfloat16hLi120ELi32ELi128ELNS_18Fp8KVCacheDataTypeE1ELb1ELi512EEEvPfS3_PT_PKS4_PKT0_SA_ifPKiSC_iPKfiiiSE_SE_iiiii.uses_flat_scratch, 0
	.set .L_ZN4vllm22paged_attention_kernelI14__hip_bfloat16hLi120ELi32ELi128ELNS_18Fp8KVCacheDataTypeE1ELb1ELi512EEEvPfS3_PT_PKS4_PKT0_SA_ifPKiSC_iPKfiiiSE_SE_iiiii.has_dyn_sized_stack, 0
	.set .L_ZN4vllm22paged_attention_kernelI14__hip_bfloat16hLi120ELi32ELi128ELNS_18Fp8KVCacheDataTypeE1ELb1ELi512EEEvPfS3_PT_PKS4_PKT0_SA_ifPKiSC_iPKfiiiSE_SE_iiiii.has_recursion, 0
	.set .L_ZN4vllm22paged_attention_kernelI14__hip_bfloat16hLi120ELi32ELi128ELNS_18Fp8KVCacheDataTypeE1ELb1ELi512EEEvPfS3_PT_PKS4_PKT0_SA_ifPKiSC_iPKfiiiSE_SE_iiiii.has_indirect_call, 0
	.section	.AMDGPU.csdata,"",@progbits
; Function info:
; codeLenInByte = 83068
; TotalNumSgprs: 35
; NumVgprs: 128
; ScratchSize: 908
; MemoryBound: 0
	.section	.text._ZN4vllm25paged_attention_v2_kernelI14__hip_bfloat16hLi120ELi32ELi128ELNS_18Fp8KVCacheDataTypeE1ELb1ELi512EEEvPfS3_PT_PKS4_PKT0_SA_ifPKiSC_iPKfiiiSE_SE_iiiii,"axG",@progbits,_ZN4vllm25paged_attention_v2_kernelI14__hip_bfloat16hLi120ELi32ELi128ELNS_18Fp8KVCacheDataTypeE1ELb1ELi512EEEvPfS3_PT_PKS4_PKT0_SA_ifPKiSC_iPKfiiiSE_SE_iiiii,comdat
	.protected	_ZN4vllm25paged_attention_v2_kernelI14__hip_bfloat16hLi120ELi32ELi128ELNS_18Fp8KVCacheDataTypeE1ELb1ELi512EEEvPfS3_PT_PKS4_PKT0_SA_ifPKiSC_iPKfiiiSE_SE_iiiii ; -- Begin function _ZN4vllm25paged_attention_v2_kernelI14__hip_bfloat16hLi120ELi32ELi128ELNS_18Fp8KVCacheDataTypeE1ELb1ELi512EEEvPfS3_PT_PKS4_PKT0_SA_ifPKiSC_iPKfiiiSE_SE_iiiii
	.globl	_ZN4vllm25paged_attention_v2_kernelI14__hip_bfloat16hLi120ELi32ELi128ELNS_18Fp8KVCacheDataTypeE1ELb1ELi512EEEvPfS3_PT_PKS4_PKT0_SA_ifPKiSC_iPKfiiiSE_SE_iiiii
	.p2align	8
	.type	_ZN4vllm25paged_attention_v2_kernelI14__hip_bfloat16hLi120ELi32ELi128ELNS_18Fp8KVCacheDataTypeE1ELb1ELi512EEEvPfS3_PT_PKS4_PKT0_SA_ifPKiSC_iPKfiiiSE_SE_iiiii,@function
_ZN4vllm25paged_attention_v2_kernelI14__hip_bfloat16hLi120ELi32ELi128ELNS_18Fp8KVCacheDataTypeE1ELb1ELi512EEEvPfS3_PT_PKS4_PKT0_SA_ifPKiSC_iPKfiiiSE_SE_iiiii: ; @_ZN4vllm25paged_attention_v2_kernelI14__hip_bfloat16hLi120ELi32ELi128ELNS_18Fp8KVCacheDataTypeE1ELb1ELi512EEEvPfS3_PT_PKS4_PKT0_SA_ifPKiSC_iPKfiiiSE_SE_iiiii
; %bb.0:
	s_mov_b32 s14, s8
	s_clause 0x7
	s_load_dwordx4 s[36:39], s[4:5], 0x78
	s_load_dword s8, s[4:5], 0x88
	s_load_dwordx8 s[40:47], s[4:5], 0x0
	s_load_dwordx8 s[24:31], s[4:5], 0x20
	s_load_dwordx2 s[10:11], s[4:5], 0x40
	s_load_dwordx2 s[34:35], s[4:5], 0x50
	s_load_dword s13, s[4:5], 0x48
	s_load_dwordx8 s[16:23], s[4:5], 0x58
	s_add_u32 s0, s0, s9
	s_mov_b32 s32, 0
	s_addc_u32 s1, s1, 0
	v_mov_b32_e32 v31, v0
	s_mov_b32 s12, s6
	s_mov_b32 s15, 3
	s_waitcnt lgkmcnt(0)
	v_mov_b32_e32 v1, s39
	v_mov_b32_e32 v2, s8
	;; [unrolled: 1-line block ×4, first 2 shown]
	buffer_store_dword v1, off, s[0:3], s32
	buffer_store_dword v2, off, s[0:3], s32 offset:4
	v_mov_b32_e32 v1, s41
	v_mov_b32_e32 v2, s42
	;; [unrolled: 1-line block ×29, first 2 shown]
	s_add_u32 s8, s4, 0x90
	s_addc_u32 s9, s5, 0
	s_getpc_b64 s[4:5]
	s_add_u32 s4, s4, _ZN4vllm22paged_attention_kernelI14__hip_bfloat16hLi120ELi32ELi128ELNS_18Fp8KVCacheDataTypeE1ELb1ELi512EEEvPfS3_PT_PKS4_PKT0_SA_ifPKiSC_iPKfiiiSE_SE_iiiii@rel32@lo+4
	s_addc_u32 s5, s5, _ZN4vllm22paged_attention_kernelI14__hip_bfloat16hLi120ELi32ELi128ELNS_18Fp8KVCacheDataTypeE1ELb1ELi512EEEvPfS3_PT_PKS4_PKT0_SA_ifPKiSC_iPKfiiiSE_SE_iiiii@rel32@hi+12
	s_mov_b32 s13, s7
	s_swappc_b64 s[30:31], s[4:5]
	s_endpgm
	.section	.rodata,"a",@progbits
	.p2align	6, 0x0
	.amdhsa_kernel _ZN4vllm25paged_attention_v2_kernelI14__hip_bfloat16hLi120ELi32ELi128ELNS_18Fp8KVCacheDataTypeE1ELb1ELi512EEEvPfS3_PT_PKS4_PKT0_SA_ifPKiSC_iPKfiiiSE_SE_iiiii
		.amdhsa_group_segment_fixed_size 272
		.amdhsa_private_segment_fixed_size 908
		.amdhsa_kernarg_size 400
		.amdhsa_user_sgpr_count 6
		.amdhsa_user_sgpr_private_segment_buffer 1
		.amdhsa_user_sgpr_dispatch_ptr 0
		.amdhsa_user_sgpr_queue_ptr 0
		.amdhsa_user_sgpr_kernarg_segment_ptr 1
		.amdhsa_user_sgpr_dispatch_id 0
		.amdhsa_user_sgpr_flat_scratch_init 0
		.amdhsa_user_sgpr_private_segment_size 0
		.amdhsa_wavefront_size32 1
		.amdhsa_uses_dynamic_stack 0
		.amdhsa_system_sgpr_private_segment_wavefront_offset 1
		.amdhsa_system_sgpr_workgroup_id_x 1
		.amdhsa_system_sgpr_workgroup_id_y 1
		.amdhsa_system_sgpr_workgroup_id_z 1
		.amdhsa_system_sgpr_workgroup_info 0
		.amdhsa_system_vgpr_workitem_id 0
		.amdhsa_next_free_vgpr 128
		.amdhsa_next_free_sgpr 48
		.amdhsa_reserve_vcc 1
		.amdhsa_reserve_flat_scratch 0
		.amdhsa_float_round_mode_32 0
		.amdhsa_float_round_mode_16_64 0
		.amdhsa_float_denorm_mode_32 3
		.amdhsa_float_denorm_mode_16_64 3
		.amdhsa_dx10_clamp 1
		.amdhsa_ieee_mode 1
		.amdhsa_fp16_overflow 0
		.amdhsa_workgroup_processor_mode 1
		.amdhsa_memory_ordered 1
		.amdhsa_forward_progress 1
		.amdhsa_shared_vgpr_count 0
		.amdhsa_exception_fp_ieee_invalid_op 0
		.amdhsa_exception_fp_denorm_src 0
		.amdhsa_exception_fp_ieee_div_zero 0
		.amdhsa_exception_fp_ieee_overflow 0
		.amdhsa_exception_fp_ieee_underflow 0
		.amdhsa_exception_fp_ieee_inexact 0
		.amdhsa_exception_int_div_zero 0
	.end_amdhsa_kernel
	.section	.text._ZN4vllm25paged_attention_v2_kernelI14__hip_bfloat16hLi120ELi32ELi128ELNS_18Fp8KVCacheDataTypeE1ELb1ELi512EEEvPfS3_PT_PKS4_PKT0_SA_ifPKiSC_iPKfiiiSE_SE_iiiii,"axG",@progbits,_ZN4vllm25paged_attention_v2_kernelI14__hip_bfloat16hLi120ELi32ELi128ELNS_18Fp8KVCacheDataTypeE1ELb1ELi512EEEvPfS3_PT_PKS4_PKT0_SA_ifPKiSC_iPKfiiiSE_SE_iiiii,comdat
.Lfunc_end379:
	.size	_ZN4vllm25paged_attention_v2_kernelI14__hip_bfloat16hLi120ELi32ELi128ELNS_18Fp8KVCacheDataTypeE1ELb1ELi512EEEvPfS3_PT_PKS4_PKT0_SA_ifPKiSC_iPKfiiiSE_SE_iiiii, .Lfunc_end379-_ZN4vllm25paged_attention_v2_kernelI14__hip_bfloat16hLi120ELi32ELi128ELNS_18Fp8KVCacheDataTypeE1ELb1ELi512EEEvPfS3_PT_PKS4_PKT0_SA_ifPKiSC_iPKfiiiSE_SE_iiiii
                                        ; -- End function
	.set _ZN4vllm25paged_attention_v2_kernelI14__hip_bfloat16hLi120ELi32ELi128ELNS_18Fp8KVCacheDataTypeE1ELb1ELi512EEEvPfS3_PT_PKS4_PKT0_SA_ifPKiSC_iPKfiiiSE_SE_iiiii.num_vgpr, max(32, .L_ZN4vllm22paged_attention_kernelI14__hip_bfloat16hLi120ELi32ELi128ELNS_18Fp8KVCacheDataTypeE1ELb1ELi512EEEvPfS3_PT_PKS4_PKT0_SA_ifPKiSC_iPKfiiiSE_SE_iiiii.num_vgpr)
	.set _ZN4vllm25paged_attention_v2_kernelI14__hip_bfloat16hLi120ELi32ELi128ELNS_18Fp8KVCacheDataTypeE1ELb1ELi512EEEvPfS3_PT_PKS4_PKT0_SA_ifPKiSC_iPKfiiiSE_SE_iiiii.num_agpr, max(0, .L_ZN4vllm22paged_attention_kernelI14__hip_bfloat16hLi120ELi32ELi128ELNS_18Fp8KVCacheDataTypeE1ELb1ELi512EEEvPfS3_PT_PKS4_PKT0_SA_ifPKiSC_iPKfiiiSE_SE_iiiii.num_agpr)
	.set _ZN4vllm25paged_attention_v2_kernelI14__hip_bfloat16hLi120ELi32ELi128ELNS_18Fp8KVCacheDataTypeE1ELb1ELi512EEEvPfS3_PT_PKS4_PKT0_SA_ifPKiSC_iPKfiiiSE_SE_iiiii.numbered_sgpr, max(48, .L_ZN4vllm22paged_attention_kernelI14__hip_bfloat16hLi120ELi32ELi128ELNS_18Fp8KVCacheDataTypeE1ELb1ELi512EEEvPfS3_PT_PKS4_PKT0_SA_ifPKiSC_iPKfiiiSE_SE_iiiii.numbered_sgpr)
	.set _ZN4vllm25paged_attention_v2_kernelI14__hip_bfloat16hLi120ELi32ELi128ELNS_18Fp8KVCacheDataTypeE1ELb1ELi512EEEvPfS3_PT_PKS4_PKT0_SA_ifPKiSC_iPKfiiiSE_SE_iiiii.num_named_barrier, max(0, .L_ZN4vllm22paged_attention_kernelI14__hip_bfloat16hLi120ELi32ELi128ELNS_18Fp8KVCacheDataTypeE1ELb1ELi512EEEvPfS3_PT_PKS4_PKT0_SA_ifPKiSC_iPKfiiiSE_SE_iiiii.num_named_barrier)
	.set _ZN4vllm25paged_attention_v2_kernelI14__hip_bfloat16hLi120ELi32ELi128ELNS_18Fp8KVCacheDataTypeE1ELb1ELi512EEEvPfS3_PT_PKS4_PKT0_SA_ifPKiSC_iPKfiiiSE_SE_iiiii.private_seg_size, 0+max(.L_ZN4vllm22paged_attention_kernelI14__hip_bfloat16hLi120ELi32ELi128ELNS_18Fp8KVCacheDataTypeE1ELb1ELi512EEEvPfS3_PT_PKS4_PKT0_SA_ifPKiSC_iPKfiiiSE_SE_iiiii.private_seg_size)
	.set _ZN4vllm25paged_attention_v2_kernelI14__hip_bfloat16hLi120ELi32ELi128ELNS_18Fp8KVCacheDataTypeE1ELb1ELi512EEEvPfS3_PT_PKS4_PKT0_SA_ifPKiSC_iPKfiiiSE_SE_iiiii.uses_vcc, or(1, .L_ZN4vllm22paged_attention_kernelI14__hip_bfloat16hLi120ELi32ELi128ELNS_18Fp8KVCacheDataTypeE1ELb1ELi512EEEvPfS3_PT_PKS4_PKT0_SA_ifPKiSC_iPKfiiiSE_SE_iiiii.uses_vcc)
	.set _ZN4vllm25paged_attention_v2_kernelI14__hip_bfloat16hLi120ELi32ELi128ELNS_18Fp8KVCacheDataTypeE1ELb1ELi512EEEvPfS3_PT_PKS4_PKT0_SA_ifPKiSC_iPKfiiiSE_SE_iiiii.uses_flat_scratch, or(0, .L_ZN4vllm22paged_attention_kernelI14__hip_bfloat16hLi120ELi32ELi128ELNS_18Fp8KVCacheDataTypeE1ELb1ELi512EEEvPfS3_PT_PKS4_PKT0_SA_ifPKiSC_iPKfiiiSE_SE_iiiii.uses_flat_scratch)
	.set _ZN4vllm25paged_attention_v2_kernelI14__hip_bfloat16hLi120ELi32ELi128ELNS_18Fp8KVCacheDataTypeE1ELb1ELi512EEEvPfS3_PT_PKS4_PKT0_SA_ifPKiSC_iPKfiiiSE_SE_iiiii.has_dyn_sized_stack, or(0, .L_ZN4vllm22paged_attention_kernelI14__hip_bfloat16hLi120ELi32ELi128ELNS_18Fp8KVCacheDataTypeE1ELb1ELi512EEEvPfS3_PT_PKS4_PKT0_SA_ifPKiSC_iPKfiiiSE_SE_iiiii.has_dyn_sized_stack)
	.set _ZN4vllm25paged_attention_v2_kernelI14__hip_bfloat16hLi120ELi32ELi128ELNS_18Fp8KVCacheDataTypeE1ELb1ELi512EEEvPfS3_PT_PKS4_PKT0_SA_ifPKiSC_iPKfiiiSE_SE_iiiii.has_recursion, or(0, .L_ZN4vllm22paged_attention_kernelI14__hip_bfloat16hLi120ELi32ELi128ELNS_18Fp8KVCacheDataTypeE1ELb1ELi512EEEvPfS3_PT_PKS4_PKT0_SA_ifPKiSC_iPKfiiiSE_SE_iiiii.has_recursion)
	.set _ZN4vllm25paged_attention_v2_kernelI14__hip_bfloat16hLi120ELi32ELi128ELNS_18Fp8KVCacheDataTypeE1ELb1ELi512EEEvPfS3_PT_PKS4_PKT0_SA_ifPKiSC_iPKfiiiSE_SE_iiiii.has_indirect_call, or(0, .L_ZN4vllm22paged_attention_kernelI14__hip_bfloat16hLi120ELi32ELi128ELNS_18Fp8KVCacheDataTypeE1ELb1ELi512EEEvPfS3_PT_PKS4_PKT0_SA_ifPKiSC_iPKfiiiSE_SE_iiiii.has_indirect_call)
	.section	.AMDGPU.csdata,"",@progbits
; Kernel info:
; codeLenInByte = 292
; TotalNumSgprs: 50
; NumVgprs: 128
; ScratchSize: 908
; MemoryBound: 0
; FloatMode: 240
; IeeeMode: 1
; LDSByteSize: 272 bytes/workgroup (compile time only)
; SGPRBlocks: 0
; VGPRBlocks: 15
; NumSGPRsForWavesPerEU: 50
; NumVGPRsForWavesPerEU: 128
; Occupancy: 8
; WaveLimiterHint : 1
; COMPUTE_PGM_RSRC2:SCRATCH_EN: 1
; COMPUTE_PGM_RSRC2:USER_SGPR: 6
; COMPUTE_PGM_RSRC2:TRAP_HANDLER: 0
; COMPUTE_PGM_RSRC2:TGID_X_EN: 1
; COMPUTE_PGM_RSRC2:TGID_Y_EN: 1
; COMPUTE_PGM_RSRC2:TGID_Z_EN: 1
; COMPUTE_PGM_RSRC2:TIDIG_COMP_CNT: 0
	.text
	.p2align	2                               ; -- Begin function _ZN4vllm22paged_attention_kernelI14__hip_bfloat16hLi128ELi32ELi128ELNS_18Fp8KVCacheDataTypeE1ELb1ELi512EEEvPfS3_PT_PKS4_PKT0_SA_ifPKiSC_iPKfiiiSE_SE_iiiii
	.type	_ZN4vllm22paged_attention_kernelI14__hip_bfloat16hLi128ELi32ELi128ELNS_18Fp8KVCacheDataTypeE1ELb1ELi512EEEvPfS3_PT_PKS4_PKT0_SA_ifPKiSC_iPKfiiiSE_SE_iiiii,@function
_ZN4vllm22paged_attention_kernelI14__hip_bfloat16hLi128ELi32ELi128ELNS_18Fp8KVCacheDataTypeE1ELb1ELi512EEEvPfS3_PT_PKS4_PKT0_SA_ifPKiSC_iPKfiiiSE_SE_iiiii: ; @_ZN4vllm22paged_attention_kernelI14__hip_bfloat16hLi128ELi32ELi128ELNS_18Fp8KVCacheDataTypeE1ELb1ELi512EEEvPfS3_PT_PKS4_PKT0_SA_ifPKiSC_iPKfiiiSE_SE_iiiii
; %bb.0:
	s_waitcnt vmcnt(0) expcnt(0) lgkmcnt(0)
	buffer_store_dword v40, off, s[0:3], s32 offset:196 ; 4-byte Folded Spill
	buffer_store_dword v41, off, s[0:3], s32 offset:192 ; 4-byte Folded Spill
	;; [unrolled: 1-line block ×48, first 2 shown]
	s_mov_b32 s18, s13
	s_ashr_i32 s19, s13, 31
	buffer_store_dword v26, off, s[0:3], s32 offset:452 ; 4-byte Folded Spill
	buffer_store_dword v27, off, s[0:3], s32 offset:456 ; 4-byte Folded Spill
	;; [unrolled: 1-line block ×6, first 2 shown]
	s_lshl_b64 s[4:5], s[18:19], 2
	v_mov_b32_e32 v25, v0
	v_add_co_u32 v0, vcc_lo, v16, s4
	v_mov_b32_e32 v24, v1
	v_add_co_ci_u32_e64 v1, null, s5, v17, vcc_lo
	buffer_store_dword v5, off, s[0:3], s32 offset:928 ; 4-byte Folded Spill
	buffer_store_dword v4, off, s[0:3], s32 offset:932 ; 4-byte Folded Spill
	v_mov_b32_e32 v22, v10
	v_mov_b32_e32 v26, v3
	flat_load_dword v38, v[0:1]
	s_clause 0x1
	buffer_load_dword v0, off, s[0:3], s32 offset:4
	buffer_load_dword v1, off, s[0:3], s32
	v_mov_b32_e32 v27, v2
	s_lshl_b32 s7, s14, 9
	s_mov_b32 s19, exec_lo
	s_waitcnt vmcnt(2) lgkmcnt(0)
	v_cmpx_lt_i32_e64 s7, v38
	s_cbranch_execz .LBB380_2164
; %bb.1:
	v_sub_nc_u32_e32 v2, 0, v12
	s_clause 0x1
	s_load_dword s4, s[8:9], 0x10
	s_load_dword s5, s[8:9], 0x0
	s_mov_b32 s16, s15
	v_max_i32_e32 v2, v12, v2
	v_cvt_f32_u32_e32 v3, v2
	v_sub_nc_u32_e32 v4, 0, v2
	v_rcp_iflag_f32_e32 v3, v3
	s_waitcnt lgkmcnt(0)
	s_lshr_b32 s4, s4, 16
	s_cmp_lg_u32 s4, 0
	s_cselect_b32 s4, -1, 0
	v_mul_f32_e32 v3, 0x4f7ffffe, v3
	s_cmp_lg_u32 s4, 0
	s_addc_u32 s15, s5, 0
	s_mov_b32 s5, exec_lo
	v_cvt_u32_f32_e32 v3, v3
	s_abs_i32 s4, s15
	v_mul_lo_u32 v4, v4, v3
	v_mul_hi_u32 v4, v3, v4
	v_add_nc_u32_e32 v3, v3, v4
	v_mul_hi_u32 v3, s4, v3
	v_mul_lo_u32 v4, v3, v2
	v_add_nc_u32_e32 v5, 1, v3
	v_sub_nc_u32_e32 v4, s4, v4
	s_abs_i32 s4, s12
	v_sub_nc_u32_e32 v10, v4, v2
	v_cmp_ge_u32_e32 vcc_lo, v4, v2
	v_cndmask_b32_e32 v3, v3, v5, vcc_lo
	v_cndmask_b32_e32 v4, v4, v10, vcc_lo
	v_xor_b32_e32 v5, s15, v12
	v_add_nc_u32_e32 v10, 1, v3
	v_cmp_ge_u32_e32 vcc_lo, v4, v2
	v_ashrrev_i32_e32 v5, 31, v5
	v_cndmask_b32_e32 v2, v3, v10, vcc_lo
	v_xor_b32_e32 v2, v2, v5
	v_sub_nc_u32_e32 v3, v2, v5
	v_sub_nc_u32_e32 v2, 0, v3
	v_max_i32_e32 v2, v3, v2
	v_cvt_f32_u32_e32 v4, v2
	v_sub_nc_u32_e32 v5, 0, v2
	v_rcp_iflag_f32_e32 v4, v4
	v_mul_f32_e32 v4, 0x4f7ffffe, v4
	v_cvt_u32_f32_e32 v4, v4
	v_mul_lo_u32 v5, v5, v4
	v_mul_hi_u32 v5, v4, v5
	v_add_nc_u32_e32 v4, v4, v5
	v_mad_u64_u32 v[16:17], null, s4, v4, 0
	v_mov_b32_e32 v4, 0
	buffer_store_dword v4, off, s[0:3], s32 offset:376 ; 4-byte Folded Spill
	v_cmpx_ne_u64_e32 0, v[19:20]
	s_cbranch_execz .LBB380_3
; %bb.2:
	s_ashr_i32 s13, s12, 31
	s_lshl_b64 s[10:11], s[12:13], 2
	v_add_co_u32 v4, vcc_lo, v19, s10
	v_add_co_ci_u32_e64 v5, null, s11, v20, vcc_lo
	flat_load_dword v4, v[4:5]
	s_waitcnt vmcnt(0) lgkmcnt(0)
	buffer_store_dword v4, off, s[0:3], s32 offset:376 ; 4-byte Folded Spill
.LBB380_3:
	s_or_b32 exec_lo, exec_lo, s5
	v_and_b32_e32 v4, 0x3ff, v31
	v_ashrrev_i32_e32 v3, 31, v3
	s_ashr_i32 s5, s12, 31
	s_lshl_b32 s10, s12, 7
	s_mov_b32 s6, exec_lo
	buffer_store_dword v4, off, s[0:3], s32 offset:448 ; 4-byte Folded Spill
	v_cmpx_gt_u32_e32 16, v4
	s_cbranch_execz .LBB380_5
; %bb.4:
	buffer_load_dword v10, off, s[0:3], s32 offset:448 ; 4-byte Folded Reload
	v_mul_lo_u32 v4, v21, s18
	s_ashr_i32 s11, s10, 31
	s_lshl_b64 s[20:21], s[10:11], 1
	v_ashrrev_i32_e32 v5, 31, v4
	v_lshlrev_b64 v[4:5], 1, v[4:5]
	v_add_co_u32 v4, vcc_lo, v6, v4
	v_add_co_ci_u32_e64 v5, null, v7, v5, vcc_lo
	v_add_co_u32 v4, vcc_lo, v4, s20
	v_add_co_ci_u32_e64 v5, null, s21, v5, vcc_lo
	s_waitcnt vmcnt(0)
	v_lshlrev_b32_e32 v10, 4, v10
	v_add_co_u32 v4, vcc_lo, v4, v10
	v_add_co_ci_u32_e64 v5, null, 0, v5, vcc_lo
	flat_load_dwordx4 v[4:7], v[4:5]
	s_waitcnt vmcnt(0) lgkmcnt(0)
	ds_write_b128 v10, v[4:7]
.LBB380_5:
	s_or_b32 exec_lo, exec_lo, s6
	s_waitcnt vmcnt(0)
	v_sub_nc_u32_e32 v4, 0, v1
	v_mul_lo_u32 v5, v17, v2
	v_xor_b32_e32 v3, s5, v3
	v_max_i32_e32 v7, v1, v4
	v_sub_nc_u32_e32 v5, s4, v5
	v_cvt_f32_u32_e32 v4, v7
	buffer_store_dword v7, off, s[0:3], s32 offset:208 ; 4-byte Folded Spill
	s_mov_b32 s4, exec_lo
	v_sub_nc_u32_e32 v10, v5, v2
	v_rcp_iflag_f32_e32 v4, v4
	v_cmp_ge_u32_e32 vcc_lo, v5, v2
	v_cndmask_b32_e32 v5, v5, v10, vcc_lo
	v_mul_f32_e32 v4, 0x4f7ffffe, v4
	v_cvt_u32_f32_e32 v6, v4
	v_sub_nc_u32_e32 v4, 0, v7
	v_add_nc_u32_e32 v7, 1, v17
	v_mul_lo_u32 v13, v4, v6
	v_cndmask_b32_e32 v7, v17, v7, vcc_lo
	v_add_nc_u32_e32 v4, -1, v38
	v_cmp_ge_u32_e32 vcc_lo, v5, v2
	v_add_nc_u32_e32 v10, 1, v7
	v_mul_hi_u32 v16, v6, v13
	v_sub_nc_u32_e32 v13, 0, v4
	v_cndmask_b32_e32 v5, v7, v10, vcc_lo
	v_max_i32_e32 v2, v4, v13
	v_add_nc_u32_e32 v6, v6, v16
	v_xor_b32_e32 v5, v5, v3
	buffer_store_dword v6, off, s[0:3], s32 offset:228 ; 4-byte Folded Spill
	v_mad_u64_u32 v[6:7], null, v2, v6, 0
	v_sub_nc_u32_e32 v6, v5, v3
                                        ; implicit-def: $vgpr3
	s_waitcnt lgkmcnt(0)
	s_waitcnt_vscnt null, 0x0
	s_barrier
	buffer_gl0_inv
	buffer_store_dword v3, off, s[0:3], s32 offset:212 ; 4-byte Folded Spill
	buffer_store_dword v4, off, s[0:3], s32 offset:216 ; 4-byte Folded Spill
	v_cmpx_gt_i32_e32 0, v0
	s_xor_b32 s4, exec_lo, s4
	s_cbranch_execz .LBB380_7
; %bb.6:
	v_mad_u64_u32 v[12:13], null, v28, v12, v[6:7]
                                        ; implicit-def: $vgpr28
	v_mul_lo_u32 v0, v12, v0
	v_sub_nc_u32_e32 v0, 1, v0
	buffer_store_dword v0, off, s[0:3], s32 offset:212 ; 4-byte Folded Spill
	buffer_store_dword v1, off, s[0:3], s32 offset:216 ; 4-byte Folded Spill
                                        ; implicit-def: $vgpr0
.LBB380_7:
	s_or_saveexec_b32 s4, s4
	v_ashrrev_i32_e32 v3, 31, v4
	v_ashrrev_i32_e32 v1, 31, v1
	buffer_store_dword v1, off, s[0:3], s32 offset:220 ; 4-byte Folded Spill
	s_xor_b32 exec_lo, exec_lo, s4
	s_cbranch_execz .LBB380_9
; %bb.8:
	v_mad_u64_u32 v[4:5], null, s15, v28, s[12:13]
	v_mad_u64_u32 v[0:1], null, v4, v0, 1
	buffer_store_dword v0, off, s[0:3], s32 offset:212 ; 4-byte Folded Spill
	buffer_store_dword v1, off, s[0:3], s32 offset:216 ; 4-byte Folded Spill
.LBB380_9:
	s_or_b32 exec_lo, exec_lo, s4
	buffer_load_dword v13, off, s[0:3], s32 offset:208 ; 4-byte Folded Reload
	s_clause 0x1
	s_load_dword s22, s[8:9], 0x14
	s_load_dword s11, s[8:9], 0x8
	s_clause 0x1
	buffer_load_dword v5, off, s[0:3], s32 offset:220
	buffer_load_dword v16, off, s[0:3], s32 offset:448
	v_add_nc_u32_e32 v1, 31, v38
	v_add_nc_u32_e32 v4, 1, v7
	s_lshl_b32 s13, s14, 4
	v_mul_lo_u32 v21, v6, v23
	s_add_i32 s4, s13, 16
	v_mov_b32_e32 v17, 0xff7fffff
	v_sub_nc_u32_e32 v23, 0, v30
	v_ashrrev_i32_e32 v50, 31, v21
	s_waitcnt vmcnt(2)
	v_mul_lo_u32 v0, v7, v13
	s_waitcnt vmcnt(1)
	v_xor_b32_e32 v3, v3, v5
	v_ashrrev_i32_e32 v5, 31, v1
	s_waitcnt vmcnt(0)
	v_lshrrev_b32_e32 v12, 5, v16
	v_lshrrev_b32_e32 v5, 27, v5
	v_sub_nc_u32_e32 v2, v2, v0
	buffer_store_dword v12, off, s[0:3], s32 offset:924 ; 4-byte Folded Spill
	v_mul_lo_u32 v0, v18, s18
	v_add_nc_u32_e32 v1, v1, v5
	v_sub_nc_u32_e32 v10, v2, v13
	v_cmp_ge_u32_e32 vcc_lo, v2, v13
	v_cndmask_b32_e32 v4, v7, v4, vcc_lo
	v_cndmask_b32_e32 v2, v2, v10, vcc_lo
	v_and_b32_e32 v10, 31, v16
	v_add_nc_u32_e32 v7, 1, v4
	v_cmp_ge_u32_e32 vcc_lo, v2, v13
	v_ashrrev_i32_e32 v13, 5, v1
	v_lshl_add_u32 v1, v12, 5, s7
	v_lshlrev_b32_e32 v16, 2, v10
	v_cndmask_b32_e32 v2, v4, v7, vcc_lo
	v_add_nc_u32_e32 v4, s13, v12
	v_min_i32_e32 v6, s4, v13
	buffer_store_dword v1, off, s[0:3], s32 offset:936 ; 4-byte Folded Spill
	v_ashrrev_i32_e32 v1, 31, v0
	v_xor_b32_e32 v2, v2, v3
	v_ashrrev_i32_e32 v5, 31, v4
	buffer_store_dword v4, off, s[0:3], s32 offset:200 ; 4-byte Folded Spill
	buffer_store_dword v5, off, s[0:3], s32 offset:204 ; 4-byte Folded Spill
	;; [unrolled: 1-line block ×3, first 2 shown]
	v_sub_nc_u32_e32 v2, v2, v3
	v_lshlrev_b64 v[18:19], 2, v[0:1]
	v_sub_nc_u32_e32 v0, v2, v29
	buffer_store_dword v0, off, s[0:3], s32 offset:232 ; 4-byte Folded Spill
	buffer_store_dword v10, off, s[0:3], s32 offset:444 ; 4-byte Folded Spill
	v_cmp_lt_i32_e64 s4, v4, v6
	s_and_saveexec_b32 s23, s4
	s_cbranch_execz .LBB380_1041
; %bb.10:
	v_mov_b32_e32 v20, 0
	buffer_store_dword v13, off, s[0:3], s32 offset:988 ; 4-byte Folded Spill
	buffer_store_dword v27, off, s[0:3], s32 offset:972 ; 4-byte Folded Spill
	;; [unrolled: 1-line block ×7, first 2 shown]
	s_getpc_b64 s[8:9]
	s_add_u32 s8, s8, llvm.amdgcn.dynlds.offset.table@rel32@lo+4
	s_addc_u32 s9, s9, llvm.amdgcn.dynlds.offset.table@rel32@hi+12
	s_ashr_i32 s17, s16, 31
	v_mov_b32_e32 v42, 0x80
	ds_read_b128 v[0:3], v20
	ds_read_b128 v[4:7], v20 offset:16
	ds_read_b128 v[10:13], v20 offset:32
	s_lshl_b64 s[20:21], s[16:17], 2
	s_mov_b32 s17, 0
	s_add_u32 s8, s8, s20
	s_addc_u32 s9, s9, s21
	s_mov_b32 s20, -1
	s_mov_b32 s21, 0xffffff
	s_waitcnt lgkmcnt(0)
	v_lshlrev_b32_e32 v17, 16, v0
	v_and_b32_e32 v0, 0xffff0000, v0
	buffer_store_dword v17, off, s[0:3], s32 offset:380 ; 4-byte Folded Spill
	buffer_store_dword v0, off, s[0:3], s32 offset:384 ; 4-byte Folded Spill
	v_lshlrev_b32_e32 v0, 16, v1
	v_mov_b32_e32 v17, 0xff7fffff
	buffer_store_dword v0, off, s[0:3], s32 offset:388 ; 4-byte Folded Spill
	v_and_b32_e32 v0, 0xffff0000, v1
	buffer_store_dword v0, off, s[0:3], s32 offset:392 ; 4-byte Folded Spill
	v_lshlrev_b32_e32 v0, 16, v2
	buffer_store_dword v0, off, s[0:3], s32 offset:396 ; 4-byte Folded Spill
	v_and_b32_e32 v0, 0xffff0000, v2
	buffer_store_dword v0, off, s[0:3], s32 offset:400 ; 4-byte Folded Spill
	v_lshlrev_b32_e32 v0, 16, v3
	;; [unrolled: 4-line block ×3, first 2 shown]
	buffer_store_dword v0, off, s[0:3], s32 offset:412 ; 4-byte Folded Spill
	v_and_b32_e32 v0, 0xffff0000, v4
	v_lshlrev_b32_e32 v4, 16, v10
	buffer_store_dword v0, off, s[0:3], s32 offset:416 ; 4-byte Folded Spill
	v_lshlrev_b32_e32 v0, 16, v5
	buffer_store_dword v4, off, s[0:3], s32 offset:460 ; 4-byte Folded Spill
	v_and_b32_e32 v4, 0xffff0000, v10
	buffer_store_dword v0, off, s[0:3], s32 offset:420 ; 4-byte Folded Spill
	v_and_b32_e32 v0, 0xffff0000, v5
	buffer_store_dword v4, off, s[0:3], s32 offset:464 ; 4-byte Folded Spill
	v_lshlrev_b32_e32 v4, 16, v11
	buffer_store_dword v0, off, s[0:3], s32 offset:424 ; 4-byte Folded Spill
	v_lshlrev_b32_e32 v0, 16, v6
	buffer_store_dword v4, off, s[0:3], s32 offset:468 ; 4-byte Folded Spill
	v_and_b32_e32 v4, 0xffff0000, v11
	buffer_store_dword v0, off, s[0:3], s32 offset:428 ; 4-byte Folded Spill
	v_and_b32_e32 v0, 0xffff0000, v6
	buffer_store_dword v4, off, s[0:3], s32 offset:476 ; 4-byte Folded Spill
	;; [unrolled: 8-line block ×3, first 2 shown]
	v_lshlrev_b32_e32 v4, 16, v13
	buffer_store_dword v0, off, s[0:3], s32 offset:440 ; 4-byte Folded Spill
	ds_read_b128 v[0:3], v20 offset:48
	buffer_store_dword v4, off, s[0:3], s32 offset:488 ; 4-byte Folded Spill
	v_and_b32_e32 v4, 0xffff0000, v13
	buffer_store_dword v4, off, s[0:3], s32 offset:492 ; 4-byte Folded Spill
	s_waitcnt lgkmcnt(0)
	v_lshlrev_b32_e32 v4, 16, v0
	v_and_b32_e32 v0, 0xffff0000, v0
	buffer_store_dword v4, off, s[0:3], s32 offset:496 ; 4-byte Folded Spill
	buffer_store_dword v0, off, s[0:3], s32 offset:500 ; 4-byte Folded Spill
	v_lshlrev_b32_e32 v0, 16, v1
	buffer_store_dword v0, off, s[0:3], s32 offset:504 ; 4-byte Folded Spill
	v_and_b32_e32 v0, 0xffff0000, v1
	buffer_store_dword v0, off, s[0:3], s32 offset:508 ; 4-byte Folded Spill
	v_lshlrev_b32_e32 v0, 16, v2
	buffer_store_dword v0, off, s[0:3], s32 offset:512 ; 4-byte Folded Spill
	v_and_b32_e32 v0, 0xffff0000, v2
	buffer_store_dword v0, off, s[0:3], s32 offset:516 ; 4-byte Folded Spill
	v_lshlrev_b32_e32 v0, 16, v3
	buffer_store_dword v0, off, s[0:3], s32 offset:520 ; 4-byte Folded Spill
	v_and_b32_e32 v0, 0xffff0000, v3
	buffer_store_dword v0, off, s[0:3], s32 offset:524 ; 4-byte Folded Spill
	ds_read_b128 v[0:3], v20 offset:64
	ds_read_b128 v[4:7], v20 offset:80
	s_waitcnt lgkmcnt(1)
	v_lshlrev_b32_e32 v10, 16, v0
	v_and_b32_e32 v0, 0xffff0000, v0
	buffer_store_dword v10, off, s[0:3], s32 offset:528 ; 4-byte Folded Spill
	buffer_store_dword v0, off, s[0:3], s32 offset:532 ; 4-byte Folded Spill
	v_lshlrev_b32_e32 v0, 16, v1
	buffer_store_dword v0, off, s[0:3], s32 offset:536 ; 4-byte Folded Spill
	v_and_b32_e32 v0, 0xffff0000, v1
	buffer_store_dword v0, off, s[0:3], s32 offset:540 ; 4-byte Folded Spill
	v_lshlrev_b32_e32 v0, 16, v2
	buffer_store_dword v0, off, s[0:3], s32 offset:544 ; 4-byte Folded Spill
	v_and_b32_e32 v0, 0xffff0000, v2
	buffer_store_dword v0, off, s[0:3], s32 offset:548 ; 4-byte Folded Spill
	v_lshlrev_b32_e32 v0, 16, v3
	buffer_store_dword v0, off, s[0:3], s32 offset:552 ; 4-byte Folded Spill
	v_and_b32_e32 v0, 0xffff0000, v3
	buffer_store_dword v0, off, s[0:3], s32 offset:556 ; 4-byte Folded Spill
	s_waitcnt lgkmcnt(0)
	v_lshlrev_b32_e32 v0, 16, v4
	buffer_store_dword v0, off, s[0:3], s32 offset:560 ; 4-byte Folded Spill
	v_and_b32_e32 v0, 0xffff0000, v4
	buffer_store_dword v0, off, s[0:3], s32 offset:564 ; 4-byte Folded Spill
	v_lshlrev_b32_e32 v0, 16, v5
	buffer_store_dword v0, off, s[0:3], s32 offset:568 ; 4-byte Folded Spill
	v_and_b32_e32 v0, 0xffff0000, v5
	buffer_store_dword v0, off, s[0:3], s32 offset:572 ; 4-byte Folded Spill
	v_lshlrev_b32_e32 v0, 16, v6
	buffer_store_dword v0, off, s[0:3], s32 offset:576 ; 4-byte Folded Spill
	v_and_b32_e32 v0, 0xffff0000, v6
	buffer_store_dword v0, off, s[0:3], s32 offset:580 ; 4-byte Folded Spill
	v_lshlrev_b32_e32 v0, 16, v7
	buffer_store_dword v0, off, s[0:3], s32 offset:584 ; 4-byte Folded Spill
	v_and_b32_e32 v0, 0xffff0000, v7
	buffer_store_dword v0, off, s[0:3], s32 offset:588 ; 4-byte Folded Spill
	ds_read_b128 v[0:3], v20 offset:96
	ds_read_b128 v[4:7], v20 offset:112
	s_waitcnt lgkmcnt(1)
	v_lshlrev_b32_e32 v10, 16, v0
	v_and_b32_e32 v0, 0xffff0000, v0
	buffer_store_dword v10, off, s[0:3], s32 offset:592 ; 4-byte Folded Spill
	buffer_store_dword v0, off, s[0:3], s32 offset:596 ; 4-byte Folded Spill
	v_lshlrev_b32_e32 v0, 16, v1
	buffer_store_dword v0, off, s[0:3], s32 offset:600 ; 4-byte Folded Spill
	v_and_b32_e32 v0, 0xffff0000, v1
	buffer_store_dword v0, off, s[0:3], s32 offset:604 ; 4-byte Folded Spill
	v_lshlrev_b32_e32 v0, 16, v2
	buffer_store_dword v0, off, s[0:3], s32 offset:608 ; 4-byte Folded Spill
	v_and_b32_e32 v0, 0xffff0000, v2
	buffer_store_dword v0, off, s[0:3], s32 offset:612 ; 4-byte Folded Spill
	v_lshlrev_b32_e32 v0, 16, v3
	buffer_store_dword v0, off, s[0:3], s32 offset:616 ; 4-byte Folded Spill
	v_and_b32_e32 v0, 0xffff0000, v3
	buffer_store_dword v0, off, s[0:3], s32 offset:620 ; 4-byte Folded Spill
	s_waitcnt lgkmcnt(0)
	v_lshlrev_b32_e32 v0, 16, v4
	buffer_store_dword v0, off, s[0:3], s32 offset:624 ; 4-byte Folded Spill
	v_and_b32_e32 v0, 0xffff0000, v4
	buffer_store_dword v0, off, s[0:3], s32 offset:628 ; 4-byte Folded Spill
	v_lshlrev_b32_e32 v0, 16, v5
	buffer_store_dword v0, off, s[0:3], s32 offset:632 ; 4-byte Folded Spill
	v_and_b32_e32 v0, 0xffff0000, v5
	buffer_store_dword v0, off, s[0:3], s32 offset:636 ; 4-byte Folded Spill
	v_lshlrev_b32_e32 v0, 16, v6
	buffer_store_dword v0, off, s[0:3], s32 offset:640 ; 4-byte Folded Spill
	v_and_b32_e32 v0, 0xffff0000, v6
	buffer_store_dword v0, off, s[0:3], s32 offset:644 ; 4-byte Folded Spill
	v_lshlrev_b32_e32 v0, 16, v7
	buffer_store_dword v0, off, s[0:3], s32 offset:648 ; 4-byte Folded Spill
	v_and_b32_e32 v0, 0xffff0000, v7
	buffer_store_dword v0, off, s[0:3], s32 offset:652 ; 4-byte Folded Spill
	ds_read_b128 v[0:3], v20 offset:128
	ds_read_b128 v[4:7], v20 offset:144
	s_waitcnt lgkmcnt(1)
	v_lshlrev_b32_e32 v10, 16, v0
	v_and_b32_e32 v0, 0xffff0000, v0
	buffer_store_dword v10, off, s[0:3], s32 offset:656 ; 4-byte Folded Spill
	buffer_store_dword v0, off, s[0:3], s32 offset:660 ; 4-byte Folded Spill
	v_lshlrev_b32_e32 v0, 16, v1
	buffer_store_dword v0, off, s[0:3], s32 offset:664 ; 4-byte Folded Spill
	v_and_b32_e32 v0, 0xffff0000, v1
	buffer_store_dword v0, off, s[0:3], s32 offset:668 ; 4-byte Folded Spill
	v_lshlrev_b32_e32 v0, 16, v2
	buffer_store_dword v0, off, s[0:3], s32 offset:672 ; 4-byte Folded Spill
	v_and_b32_e32 v0, 0xffff0000, v2
	buffer_store_dword v0, off, s[0:3], s32 offset:676 ; 4-byte Folded Spill
	v_lshlrev_b32_e32 v0, 16, v3
	buffer_store_dword v0, off, s[0:3], s32 offset:680 ; 4-byte Folded Spill
	v_and_b32_e32 v0, 0xffff0000, v3
	buffer_store_dword v0, off, s[0:3], s32 offset:684 ; 4-byte Folded Spill
	s_waitcnt lgkmcnt(0)
	v_lshlrev_b32_e32 v0, 16, v4
	buffer_store_dword v0, off, s[0:3], s32 offset:688 ; 4-byte Folded Spill
	v_and_b32_e32 v0, 0xffff0000, v4
	buffer_store_dword v0, off, s[0:3], s32 offset:692 ; 4-byte Folded Spill
	v_lshlrev_b32_e32 v0, 16, v5
	buffer_store_dword v0, off, s[0:3], s32 offset:696 ; 4-byte Folded Spill
	v_and_b32_e32 v0, 0xffff0000, v5
	buffer_store_dword v0, off, s[0:3], s32 offset:700 ; 4-byte Folded Spill
	v_lshlrev_b32_e32 v0, 16, v6
	buffer_store_dword v0, off, s[0:3], s32 offset:704 ; 4-byte Folded Spill
	v_and_b32_e32 v0, 0xffff0000, v6
	buffer_store_dword v0, off, s[0:3], s32 offset:708 ; 4-byte Folded Spill
	v_lshlrev_b32_e32 v0, 16, v7
	buffer_store_dword v0, off, s[0:3], s32 offset:712 ; 4-byte Folded Spill
	v_and_b32_e32 v0, 0xffff0000, v7
	buffer_store_dword v0, off, s[0:3], s32 offset:716 ; 4-byte Folded Spill
	ds_read_b128 v[0:3], v20 offset:160
	ds_read_b128 v[4:7], v20 offset:176
	s_waitcnt lgkmcnt(1)
	v_lshlrev_b32_e32 v10, 16, v0
	v_and_b32_e32 v0, 0xffff0000, v0
	buffer_store_dword v10, off, s[0:3], s32 offset:720 ; 4-byte Folded Spill
	buffer_store_dword v0, off, s[0:3], s32 offset:724 ; 4-byte Folded Spill
	v_lshlrev_b32_e32 v0, 16, v1
	buffer_store_dword v0, off, s[0:3], s32 offset:728 ; 4-byte Folded Spill
	v_and_b32_e32 v0, 0xffff0000, v1
	buffer_store_dword v0, off, s[0:3], s32 offset:732 ; 4-byte Folded Spill
	v_lshlrev_b32_e32 v0, 16, v2
	buffer_store_dword v0, off, s[0:3], s32 offset:736 ; 4-byte Folded Spill
	v_and_b32_e32 v0, 0xffff0000, v2
	buffer_store_dword v0, off, s[0:3], s32 offset:740 ; 4-byte Folded Spill
	v_lshlrev_b32_e32 v0, 16, v3
	buffer_store_dword v0, off, s[0:3], s32 offset:744 ; 4-byte Folded Spill
	v_and_b32_e32 v0, 0xffff0000, v3
	buffer_store_dword v0, off, s[0:3], s32 offset:748 ; 4-byte Folded Spill
	s_waitcnt lgkmcnt(0)
	v_lshlrev_b32_e32 v0, 16, v4
	buffer_store_dword v0, off, s[0:3], s32 offset:752 ; 4-byte Folded Spill
	v_and_b32_e32 v0, 0xffff0000, v4
	buffer_store_dword v0, off, s[0:3], s32 offset:756 ; 4-byte Folded Spill
	v_lshlrev_b32_e32 v0, 16, v5
	buffer_store_dword v0, off, s[0:3], s32 offset:760 ; 4-byte Folded Spill
	v_and_b32_e32 v0, 0xffff0000, v5
	buffer_store_dword v0, off, s[0:3], s32 offset:764 ; 4-byte Folded Spill
	v_lshlrev_b32_e32 v0, 16, v6
	buffer_store_dword v0, off, s[0:3], s32 offset:768 ; 4-byte Folded Spill
	v_and_b32_e32 v0, 0xffff0000, v6
	buffer_store_dword v0, off, s[0:3], s32 offset:772 ; 4-byte Folded Spill
	v_lshlrev_b32_e32 v0, 16, v7
	buffer_store_dword v0, off, s[0:3], s32 offset:776 ; 4-byte Folded Spill
	v_and_b32_e32 v0, 0xffff0000, v7
	buffer_store_dword v0, off, s[0:3], s32 offset:780 ; 4-byte Folded Spill
	ds_read_b128 v[0:3], v20 offset:192
	ds_read_b128 v[4:7], v20 offset:208
	s_waitcnt lgkmcnt(1)
	v_lshlrev_b32_e32 v10, 16, v0
	v_and_b32_e32 v0, 0xffff0000, v0
	buffer_store_dword v10, off, s[0:3], s32 offset:784 ; 4-byte Folded Spill
	buffer_store_dword v0, off, s[0:3], s32 offset:788 ; 4-byte Folded Spill
	v_lshlrev_b32_e32 v0, 16, v1
	buffer_store_dword v0, off, s[0:3], s32 offset:792 ; 4-byte Folded Spill
	v_and_b32_e32 v0, 0xffff0000, v1
	buffer_store_dword v0, off, s[0:3], s32 offset:796 ; 4-byte Folded Spill
	v_lshlrev_b32_e32 v0, 16, v2
	buffer_store_dword v0, off, s[0:3], s32 offset:800 ; 4-byte Folded Spill
	v_and_b32_e32 v0, 0xffff0000, v2
	buffer_store_dword v0, off, s[0:3], s32 offset:804 ; 4-byte Folded Spill
	v_lshlrev_b32_e32 v0, 16, v3
	buffer_store_dword v0, off, s[0:3], s32 offset:808 ; 4-byte Folded Spill
	v_and_b32_e32 v0, 0xffff0000, v3
	buffer_store_dword v0, off, s[0:3], s32 offset:812 ; 4-byte Folded Spill
	s_waitcnt lgkmcnt(0)
	v_lshlrev_b32_e32 v0, 16, v4
	buffer_store_dword v0, off, s[0:3], s32 offset:816 ; 4-byte Folded Spill
	v_and_b32_e32 v0, 0xffff0000, v4
	buffer_store_dword v0, off, s[0:3], s32 offset:820 ; 4-byte Folded Spill
	v_lshlrev_b32_e32 v0, 16, v5
	buffer_store_dword v0, off, s[0:3], s32 offset:824 ; 4-byte Folded Spill
	v_and_b32_e32 v0, 0xffff0000, v5
	buffer_store_dword v0, off, s[0:3], s32 offset:828 ; 4-byte Folded Spill
	v_lshlrev_b32_e32 v0, 16, v6
	buffer_store_dword v0, off, s[0:3], s32 offset:832 ; 4-byte Folded Spill
	v_and_b32_e32 v0, 0xffff0000, v6
	;; [unrolled: 4-line block ×3, first 2 shown]
	buffer_store_dword v0, off, s[0:3], s32 offset:844 ; 4-byte Folded Spill
	ds_read_b128 v[0:3], v20 offset:224
	ds_read_b128 v[4:7], v20 offset:240
	s_waitcnt lgkmcnt(1)
	v_lshlrev_b32_e32 v10, 16, v0
	v_and_b32_e32 v0, 0xffff0000, v0
	buffer_store_dword v10, off, s[0:3], s32 offset:848 ; 4-byte Folded Spill
	buffer_store_dword v0, off, s[0:3], s32 offset:852 ; 4-byte Folded Spill
	v_lshlrev_b32_e32 v0, 16, v1
	buffer_store_dword v0, off, s[0:3], s32 offset:856 ; 4-byte Folded Spill
	v_and_b32_e32 v0, 0xffff0000, v1
	buffer_store_dword v0, off, s[0:3], s32 offset:860 ; 4-byte Folded Spill
	v_lshlrev_b32_e32 v0, 16, v2
	buffer_store_dword v0, off, s[0:3], s32 offset:864 ; 4-byte Folded Spill
	v_and_b32_e32 v0, 0xffff0000, v2
	;; [unrolled: 4-line block ×3, first 2 shown]
	v_max_i32_e32 v3, v30, v23
	buffer_store_dword v0, off, s[0:3], s32 offset:876 ; 4-byte Folded Spill
	s_waitcnt lgkmcnt(0)
	v_lshlrev_b32_e32 v0, 16, v4
	buffer_store_dword v0, off, s[0:3], s32 offset:880 ; 4-byte Folded Spill
	v_and_b32_e32 v0, 0xffff0000, v4
	buffer_store_dword v0, off, s[0:3], s32 offset:884 ; 4-byte Folded Spill
	v_lshlrev_b32_e32 v0, 16, v5
	buffer_store_dword v0, off, s[0:3], s32 offset:888 ; 4-byte Folded Spill
	v_and_b32_e32 v0, 0xffff0000, v5
	buffer_store_dword v0, off, s[0:3], s32 offset:892 ; 4-byte Folded Spill
	;; [unrolled: 4-line block ×4, first 2 shown]
	buffer_store_dword v21, off, s[0:3], s32 offset:984 ; 4-byte Folded Spill
	buffer_load_dword v4, off, s[0:3], s32 offset:444 ; 4-byte Folded Reload
	v_add_co_u32 v0, vcc_lo, v8, v21
	v_add_co_ci_u32_e64 v1, null, v9, v50, vcc_lo
	buffer_store_dword v50, off, s[0:3], s32 offset:996 ; 4-byte Folded Spill
	s_waitcnt vmcnt(0)
	v_lshlrev_b32_e32 v2, 4, v4
	v_add_co_u32 v0, vcc_lo, v0, v2
	v_add_co_ci_u32_e64 v1, null, 0, v1, vcc_lo
	buffer_store_dword v0, off, s[0:3], s32 offset:912 ; 4-byte Folded Spill
	buffer_store_dword v1, off, s[0:3], s32 offset:916 ; 4-byte Folded Spill
	s_clause 0x1
	buffer_load_dword v5, off, s[0:3], s32 offset:200
	buffer_load_dword v6, off, s[0:3], s32 offset:204
	v_cvt_f32_u32_e32 v2, v3
	v_rcp_iflag_f32_e32 v2, v2
	v_mul_f32_e32 v2, 0x4f7ffffe, v2
	v_cvt_u32_f32_e32 v2, v2
	s_waitcnt vmcnt(0)
	v_lshlrev_b64 v[0:1], 2, v[5:6]
	v_add_co_u32 v0, vcc_lo, v18, v0
	buffer_store_dword v18, off, s[0:3], s32 offset:976 ; 4-byte Folded Spill
	buffer_store_dword v19, off, s[0:3], s32 offset:980 ; 4-byte Folded Spill
	;; [unrolled: 1-line block ×5, first 2 shown]
	v_sub_nc_u32_e32 v3, 0, v3
	v_mul_lo_u32 v3, v3, v2
	v_mul_hi_u32 v3, v2, v3
	v_add_nc_u32_e32 v2, v2, v3
	buffer_store_dword v2, off, s[0:3], s32 offset:308 ; 4-byte Folded Spill
	buffer_store_dword v14, off, s[0:3], s32 offset:944 ; 4-byte Folded Spill
	s_load_dword s24, s[8:9], 0x0
	buffer_store_dword v15, off, s[0:3], s32 offset:940 ; 4-byte Folded Spill
	buffer_store_dword v16, off, s[0:3], s32 offset:1000 ; 4-byte Folded Spill
	v_add_co_ci_u32_e64 v1, null, v19, v1, vcc_lo
	v_add_co_u32 v28, vcc_lo, v14, v0
	buffer_load_dword v0, off, s[0:3], s32 offset:376 ; 4-byte Folded Reload
	v_add_co_ci_u32_e64 v29, null, v15, v1, vcc_lo
	v_mov_b32_e32 v1, v5
	s_waitcnt vmcnt(0)
	v_cmp_neq_f32_e32 vcc_lo, 0, v0
	v_sub_nc_u32_e32 v0, v4, v38
	v_add_nc_u32_e32 v0, 1, v0
	buffer_store_dword v0, off, s[0:3], s32 offset:920 ; 4-byte Folded Spill
	buffer_load_dword v0, off, s[0:3], s32 offset:924 ; 4-byte Folded Reload
	s_waitcnt vmcnt(0)
	v_lshl_add_u32 v114, v0, 5, s7
	v_lshl_or_b32 v6, v0, 7, v16
	s_branch .LBB380_16
.LBB380_11:                             ;   in Loop: Header=BB380_16 Depth=1
	s_or_b32 exec_lo, exec_lo, s28
	v_mov_b32_e32 v18, 24
	v_lshlrev_b32_e32 v19, 20, v33
	v_lshl_add_u32 v17, v17, 23, 0x3c000000
	v_lshlrev_b32_sdwa v18, v18, v32 dst_sel:DWORD dst_unused:UNUSED_PAD src0_sel:DWORD src1_sel:BYTE_3
	v_and_b32_e32 v18, 0x80000000, v18
	v_or3_b32 v90, v19, v18, v17
.LBB380_12:                             ;   in Loop: Header=BB380_16 Depth=1
	s_or_b32 exec_lo, exec_lo, s27
.LBB380_13:                             ;   in Loop: Header=BB380_16 Depth=1
	s_or_b32 exec_lo, exec_lo, s26
.LBB380_14:                             ;   in Loop: Header=BB380_16 Depth=1
	s_or_b32 exec_lo, exec_lo, s25
	v_mul_f32_e32 v17, v56, v93
	v_mul_f32_e32 v13, v56, v13
	;; [unrolled: 1-line block ×5, first 2 shown]
	v_bfe_u32 v18, v17, 16, 1
	v_or_b32_e32 v19, 0x400000, v17
	v_cmp_u_f32_e64 s5, v17, v17
	v_mul_f32_e32 v15, v56, v15
	v_mul_f32_e32 v6, v56, v6
	v_add3_u32 v18, v18, v17, 0x7fff
	v_mul_f32_e32 v2, v56, v2
	v_mul_f32_e32 v3, v56, v3
	;; [unrolled: 1-line block ×4, first 2 shown]
	v_cndmask_b32_e64 v17, v18, v19, s5
	v_mul_f32_e32 v76, v56, v76
	v_mul_f32_e32 v75, v56, v75
	;; [unrolled: 1-line block ×4, first 2 shown]
	buffer_store_dword v17, off, s[0:3], s32 offset:320 ; 4-byte Folded Spill
	v_mul_f32_e32 v17, v56, v92
	s_load_dword s25, s[8:9], 0x0
	v_bfe_u32 v18, v17, 16, 1
	v_or_b32_e32 v31, 0x400000, v17
	v_cmp_u_f32_e64 s5, v17, v17
	v_add3_u32 v18, v18, v17, 0x7fff
	v_cndmask_b32_e64 v17, v18, v31, s5
	buffer_store_dword v17, off, s[0:3], s32 offset:324 ; 4-byte Folded Spill
	v_mul_f32_e32 v17, v56, v79
	v_bfe_u32 v18, v17, 16, 1
	v_or_b32_e32 v32, 0x400000, v17
	v_cmp_u_f32_e64 s5, v17, v17
	v_add3_u32 v18, v18, v17, 0x7fff
	v_cndmask_b32_e64 v17, v18, v32, s5
	buffer_store_dword v17, off, s[0:3], s32 offset:328 ; 4-byte Folded Spill
	v_mul_f32_e32 v17, v56, v78
	;; [unrolled: 7-line block ×9, first 2 shown]
	v_bfe_u32 v18, v17, 16, 1
	v_or_b32_e32 v49, 0x400000, v17
	v_cmp_u_f32_e64 s5, v17, v17
	v_add3_u32 v18, v18, v17, 0x7fff
	v_mul_f32_e32 v17, v56, v40
	v_cndmask_b32_e64 v78, v18, v49, s5
	v_bfe_u32 v18, v17, 16, 1
	v_or_b32_e32 v49, 0x400000, v17
	v_cmp_u_f32_e64 s5, v17, v17
	v_add3_u32 v18, v18, v17, 0x7fff
	v_mul_f32_e32 v17, v56, v117
	v_cndmask_b32_e64 v77, v18, v49, s5
	;; [unrolled: 6-line block ×7, first 2 shown]
	v_bfe_u32 v18, v17, 16, 1
	v_or_b32_e32 v25, 0x400000, v17
	v_cmp_u_f32_e64 s5, v17, v17
	v_add3_u32 v18, v18, v17, 0x7fff
	v_bfe_u32 v17, v13, 16, 1
	v_cndmask_b32_e64 v34, v18, v25, s5
	v_add3_u32 v17, v17, v13, 0x7fff
	v_or_b32_e32 v18, 0x400000, v13
	v_cmp_u_f32_e64 s5, v13, v13
	v_cndmask_b32_e64 v33, v17, v18, s5
	v_mul_f32_e32 v17, v56, v43
	v_bfe_u32 v18, v17, 16, 1
	v_or_b32_e32 v49, 0x400000, v17
	v_cmp_u_f32_e64 s5, v17, v17
	v_add3_u32 v18, v18, v17, 0x7fff
	v_mul_f32_e32 v17, v56, v118
	v_cndmask_b32_e64 v32, v18, v49, s5
	v_bfe_u32 v18, v17, 16, 1
	v_or_b32_e32 v49, 0x400000, v17
	v_cmp_u_f32_e64 s5, v17, v17
	v_add3_u32 v18, v18, v17, 0x7fff
	v_bfe_u32 v17, v9, 16, 1
	v_cndmask_b32_e64 v25, v18, v49, s5
	v_add3_u32 v17, v17, v9, 0x7fff
	v_or_b32_e32 v18, 0x400000, v9
	v_cmp_u_f32_e64 s5, v9, v9
	v_mul_f32_e32 v9, v56, v58
	v_cndmask_b32_e64 v74, v17, v18, s5
	v_bfe_u32 v17, v9, 16, 1
	v_or_b32_e32 v18, 0x400000, v9
	v_cmp_u_f32_e64 s5, v9, v9
	v_add3_u32 v17, v17, v9, 0x7fff
	v_cndmask_b32_e64 v31, v17, v18, s5
	v_mul_f32_e32 v17, v56, v55
	v_bfe_u32 v18, v17, 16, 1
	v_or_b32_e32 v49, 0x400000, v17
	v_cmp_u_f32_e64 s5, v17, v17
	v_add3_u32 v18, v18, v17, 0x7fff
	v_mul_f32_e32 v17, v56, v44
	v_cndmask_b32_e64 v24, v18, v49, s5
	v_bfe_u32 v18, v17, 16, 1
	v_or_b32_e32 v49, 0x400000, v17
	v_cmp_u_f32_e64 s5, v17, v17
	v_add3_u32 v18, v18, v17, 0x7fff
	v_mul_f32_e32 v17, v56, v46
	v_cndmask_b32_e64 v19, v18, v49, s5
	;; [unrolled: 6-line block ×6, first 2 shown]
	v_bfe_u32 v18, v17, 16, 1
	v_or_b32_e32 v49, 0x400000, v17
	v_cmp_u_f32_e64 s5, v17, v17
	v_add3_u32 v18, v18, v17, 0x7fff
	v_bfe_u32 v17, v8, 16, 1
	v_cndmask_b32_e64 v58, v18, v49, s5
	v_add3_u32 v17, v17, v8, 0x7fff
	v_or_b32_e32 v18, 0x400000, v8
	v_cmp_u_f32_e64 s5, v8, v8
	v_cndmask_b32_e64 v8, v17, v18, s5
	v_mul_f32_e32 v17, v56, v119
	v_bfe_u32 v18, v17, 16, 1
	v_or_b32_e32 v49, 0x400000, v17
	v_cmp_u_f32_e64 s5, v17, v17
	v_add3_u32 v18, v18, v17, 0x7fff
	v_mul_f32_e32 v17, v56, v99
	v_cndmask_b32_e64 v102, v18, v49, s5
	v_bfe_u32 v18, v17, 16, 1
	v_or_b32_e32 v49, 0x400000, v17
	v_cmp_u_f32_e64 s5, v17, v17
	v_add3_u32 v18, v18, v17, 0x7fff
	v_mul_f32_e32 v17, v56, v98
	v_cndmask_b32_e64 v99, v18, v49, s5
	v_bfe_u32 v18, v17, 16, 1
	v_or_b32_e32 v49, 0x400000, v17
	v_cmp_u_f32_e64 s5, v17, v17
	v_add3_u32 v18, v18, v17, 0x7fff
	v_mul_f32_e32 v17, v56, v97
	v_cndmask_b32_e64 v98, v18, v49, s5
	v_bfe_u32 v18, v17, 16, 1
	v_or_b32_e32 v49, 0x400000, v17
	v_cmp_u_f32_e64 s5, v17, v17
	v_add3_u32 v18, v18, v17, 0x7fff
	v_mul_f32_e32 v17, v56, v96
	v_cndmask_b32_e64 v97, v18, v49, s5
	v_bfe_u32 v18, v17, 16, 1
	v_or_b32_e32 v49, 0x400000, v17
	v_cmp_u_f32_e64 s5, v17, v17
	v_add3_u32 v18, v18, v17, 0x7fff
	v_mul_f32_e32 v17, v56, v87
	v_cndmask_b32_e64 v96, v18, v49, s5
	v_bfe_u32 v18, v17, 16, 1
	v_or_b32_e32 v49, 0x400000, v17
	v_cmp_u_f32_e64 s5, v17, v17
	v_add3_u32 v18, v18, v17, 0x7fff
	v_mul_f32_e32 v17, v56, v86
	v_cndmask_b32_e64 v87, v18, v49, s5
	v_bfe_u32 v18, v17, 16, 1
	v_or_b32_e32 v49, 0x400000, v17
	v_cmp_u_f32_e64 s5, v17, v17
	v_add3_u32 v18, v18, v17, 0x7fff
	v_mul_f32_e32 v17, v56, v101
	v_cndmask_b32_e64 v119, v18, v49, s5
	v_bfe_u32 v18, v17, 16, 1
	v_or_b32_e32 v49, 0x400000, v17
	v_cmp_u_f32_e64 s5, v17, v17
	v_add3_u32 v18, v18, v17, 0x7fff
	v_mul_f32_e32 v17, v56, v100
	v_cndmask_b32_e64 v86, v18, v49, s5
	v_bfe_u32 v18, v17, 16, 1
	v_or_b32_e32 v49, 0x400000, v17
	v_cmp_u_f32_e64 s5, v17, v17
	v_add3_u32 v18, v18, v17, 0x7fff
	v_mul_f32_e32 v17, v56, v83
	v_cndmask_b32_e64 v100, v18, v49, s5
	v_bfe_u32 v18, v17, 16, 1
	v_or_b32_e32 v49, 0x400000, v17
	v_cmp_u_f32_e64 s5, v17, v17
	v_add3_u32 v18, v18, v17, 0x7fff
	v_mul_f32_e32 v17, v56, v82
	v_cndmask_b32_e64 v83, v18, v49, s5
	v_bfe_u32 v18, v17, 16, 1
	v_or_b32_e32 v49, 0x400000, v17
	v_cmp_u_f32_e64 s5, v17, v17
	v_add3_u32 v18, v18, v17, 0x7fff
	v_mul_f32_e32 v17, v56, v80
	v_cndmask_b32_e64 v82, v18, v49, s5
	v_bfe_u32 v18, v17, 16, 1
	v_or_b32_e32 v49, 0x400000, v17
	v_cmp_u_f32_e64 s5, v17, v17
	v_add3_u32 v18, v18, v17, 0x7fff
	v_mul_f32_e32 v17, v56, v71
	v_cndmask_b32_e64 v80, v18, v49, s5
	v_bfe_u32 v18, v17, 16, 1
	v_or_b32_e32 v49, 0x400000, v17
	v_cmp_u_f32_e64 s5, v17, v17
	v_add3_u32 v18, v18, v17, 0x7fff
	v_mul_f32_e32 v17, v56, v70
	v_cndmask_b32_e64 v71, v18, v49, s5
	v_bfe_u32 v18, v17, 16, 1
	v_or_b32_e32 v49, 0x400000, v17
	v_cmp_u_f32_e64 s5, v17, v17
	v_add3_u32 v18, v18, v17, 0x7fff
	v_mul_f32_e32 v17, v56, v69
	v_cndmask_b32_e64 v70, v18, v49, s5
	v_bfe_u32 v18, v17, 16, 1
	v_or_b32_e32 v49, 0x400000, v17
	v_cmp_u_f32_e64 s5, v17, v17
	v_add3_u32 v18, v18, v17, 0x7fff
	v_mul_f32_e32 v17, v56, v85
	v_cndmask_b32_e64 v101, v18, v49, s5
	v_bfe_u32 v18, v17, 16, 1
	v_or_b32_e32 v49, 0x400000, v17
	v_cmp_u_f32_e64 s5, v17, v17
	v_add3_u32 v18, v18, v17, 0x7fff
	v_mul_f32_e32 v17, v56, v84
	v_cndmask_b32_e64 v69, v18, v49, s5
	v_bfe_u32 v18, v17, 16, 1
	v_or_b32_e32 v49, 0x400000, v17
	v_cmp_u_f32_e64 s5, v17, v17
	v_add3_u32 v18, v18, v17, 0x7fff
	v_mul_f32_e32 v17, v56, v51
	v_cndmask_b32_e64 v84, v18, v49, s5
	v_bfe_u32 v18, v17, 16, 1
	v_or_b32_e32 v49, 0x400000, v17
	v_cmp_u_f32_e64 s5, v17, v17
	v_add3_u32 v18, v18, v17, 0x7fff
	v_mul_f32_e32 v17, v56, v67
	v_cndmask_b32_e64 v51, v18, v49, s5
	v_bfe_u32 v18, v17, 16, 1
	v_or_b32_e32 v49, 0x400000, v17
	v_cmp_u_f32_e64 s5, v17, v17
	v_add3_u32 v18, v18, v17, 0x7fff
	v_mul_f32_e32 v17, v56, v66
	v_cndmask_b32_e64 v67, v18, v49, s5
	v_bfe_u32 v18, v17, 16, 1
	v_or_b32_e32 v49, 0x400000, v17
	v_cmp_u_f32_e64 s5, v17, v17
	v_add3_u32 v18, v18, v17, 0x7fff
	v_mul_f32_e32 v17, v56, v22
	v_cndmask_b32_e64 v66, v18, v49, s5
	v_bfe_u32 v18, v17, 16, 1
	v_or_b32_e32 v22, 0x400000, v17
	v_cmp_u_f32_e64 s5, v17, v17
	v_add3_u32 v18, v18, v17, 0x7fff
	v_mul_f32_e32 v17, v56, v30
	v_cndmask_b32_e64 v22, v18, v22, s5
	v_bfe_u32 v18, v17, 16, 1
	v_or_b32_e32 v30, 0x400000, v17
	v_cmp_u_f32_e64 s5, v17, v17
	v_add3_u32 v18, v18, v17, 0x7fff
	v_mul_f32_e32 v17, v56, v65
	v_cndmask_b32_e64 v85, v18, v30, s5
	v_bfe_u32 v18, v17, 16, 1
	v_or_b32_e32 v30, 0x400000, v17
	v_cmp_u_f32_e64 s5, v17, v17
	v_add3_u32 v18, v18, v17, 0x7fff
	v_mul_f32_e32 v17, v56, v68
	v_cndmask_b32_e64 v65, v18, v30, s5
	v_bfe_u32 v18, v17, 16, 1
	v_or_b32_e32 v30, 0x400000, v17
	v_cmp_u_f32_e64 s5, v17, v17
	v_add3_u32 v18, v18, v17, 0x7fff
	v_mul_f32_e32 v17, v56, v53
	v_cndmask_b32_e64 v30, v18, v30, s5
	v_bfe_u32 v18, v17, 16, 1
	v_or_b32_e32 v49, 0x400000, v17
	v_cmp_u_f32_e64 s5, v17, v17
	v_add3_u32 v18, v18, v17, 0x7fff
	v_mul_f32_e32 v17, v56, v37
	v_cndmask_b32_e64 v53, v18, v49, s5
	v_bfe_u32 v18, v17, 16, 1
	v_or_b32_e32 v37, 0x400000, v17
	v_cmp_u_f32_e64 s5, v17, v17
	v_add3_u32 v18, v18, v17, 0x7fff
	v_bfe_u32 v17, v12, 16, 1
	v_cndmask_b32_e64 v37, v18, v37, s5
	v_add3_u32 v17, v17, v12, 0x7fff
	v_or_b32_e32 v18, 0x400000, v12
	v_cmp_u_f32_e64 s5, v12, v12
	v_cndmask_b32_e64 v12, v17, v18, s5
	v_mul_f32_e32 v17, v56, v54
	v_bfe_u32 v18, v17, 16, 1
	v_or_b32_e32 v49, 0x400000, v17
	v_cmp_u_f32_e64 s5, v17, v17
	v_add3_u32 v18, v18, v17, 0x7fff
	v_mul_f32_e32 v17, v56, v50
	v_cndmask_b32_e64 v54, v18, v49, s5
	v_bfe_u32 v18, v17, 16, 1
	v_or_b32_e32 v49, 0x400000, v17
	v_cmp_u_f32_e64 s5, v17, v17
	v_add3_u32 v18, v18, v17, 0x7fff
	v_bfe_u32 v17, v15, 16, 1
	v_cndmask_b32_e64 v50, v18, v49, s5
	v_add3_u32 v17, v17, v15, 0x7fff
	v_or_b32_e32 v18, 0x400000, v15
	v_cmp_u_f32_e64 s5, v15, v15
	v_mul_f32_e32 v15, v56, v16
	v_cndmask_b32_e64 v68, v17, v18, s5
	v_bfe_u32 v16, v15, 16, 1
	v_or_b32_e32 v17, 0x400000, v15
	v_cmp_u_f32_e64 s5, v15, v15
	v_add3_u32 v16, v16, v15, 0x7fff
	v_mul_f32_e32 v15, v56, v26
	v_cndmask_b32_e64 v92, v16, v17, s5
	v_bfe_u32 v16, v15, 16, 1
	v_or_b32_e32 v17, 0x400000, v15
	v_cmp_u_f32_e64 s5, v15, v15
	v_add3_u32 v16, v16, v15, 0x7fff
	v_cndmask_b32_e64 v15, v16, v17, s5
	v_mul_f32_e32 v16, v56, v27
	v_bfe_u32 v17, v16, 16, 1
	v_or_b32_e32 v18, 0x400000, v16
	v_cmp_u_f32_e64 s5, v16, v16
	v_add3_u32 v17, v17, v16, 0x7fff
	v_cndmask_b32_e64 v16, v17, v18, s5
	v_bfe_u32 v17, v6, 16, 1
	v_or_b32_e32 v18, 0x400000, v6
	v_cmp_u_f32_e64 s5, v6, v6
	v_add3_u32 v17, v17, v6, 0x7fff
	v_cndmask_b32_e64 v6, v17, v18, s5
	v_mul_f32_e32 v17, v56, v48
	v_bfe_u32 v18, v17, 16, 1
	v_or_b32_e32 v26, 0x400000, v17
	v_cmp_u_f32_e64 s5, v17, v17
	v_add3_u32 v18, v18, v17, 0x7fff
	v_bfe_u32 v17, v2, 16, 1
	v_cndmask_b32_e64 v26, v18, v26, s5
	v_add3_u32 v17, v17, v2, 0x7fff
	v_or_b32_e32 v18, 0x400000, v2
	v_cmp_u_f32_e64 s5, v2, v2
	v_cndmask_b32_e64 v2, v17, v18, s5
	v_bfe_u32 v17, v3, 16, 1
	v_or_b32_e32 v18, 0x400000, v3
	v_cmp_u_f32_e64 s5, v3, v3
	v_and_b32_e32 v2, 0xffff0000, v2
	v_add3_u32 v17, v17, v3, 0x7fff
	v_cndmask_b32_e64 v3, v17, v18, s5
	v_bfe_u32 v17, v0, 16, 1
	v_or_b32_e32 v18, 0x400000, v0
	v_cmp_u_f32_e64 s5, v0, v0
	v_and_b32_e32 v3, 0xffff0000, v3
	v_add3_u32 v17, v17, v0, 0x7fff
	v_mul_f32_e32 v0, v56, v1
	v_cndmask_b32_e64 v27, v17, v18, s5
	v_bfe_u32 v1, v0, 16, 1
	v_or_b32_e32 v17, 0x400000, v0
	v_cmp_u_f32_e64 s5, v0, v0
	v_add3_u32 v1, v1, v0, 0x7fff
	v_mul_f32_e32 v0, v56, v14
	v_cndmask_b32_e64 v48, v1, v17, s5
	v_bfe_u32 v1, v0, 16, 1
	v_or_b32_e32 v14, 0x400000, v0
	v_cmp_u_f32_e64 s5, v0, v0
	v_add3_u32 v1, v1, v0, 0x7fff
	v_cndmask_b32_e64 v0, v1, v14, s5
	v_mul_f32_e32 v1, v56, v7
	v_and_b32_e32 v0, 0xffff0000, v0
	v_bfe_u32 v7, v1, 16, 1
	v_or_b32_e32 v14, 0x400000, v1
	v_cmp_u_f32_e64 s5, v1, v1
	v_add3_u32 v7, v7, v1, 0x7fff
	v_cndmask_b32_e64 v1, v7, v14, s5
	v_mul_f32_e32 v7, v56, v21
	v_bfe_u32 v14, v7, 16, 1
	v_or_b32_e32 v17, 0x400000, v7
	v_cmp_u_f32_e64 s5, v7, v7
	v_add3_u32 v14, v14, v7, 0x7fff
	v_cndmask_b32_e64 v7, v14, v17, s5
	v_mul_f32_e32 v14, v56, v81
	v_and_b32_e32 v7, 0xffff0000, v7
	v_bfe_u32 v17, v14, 16, 1
	v_or_b32_e32 v18, 0x400000, v14
	v_cmp_u_f32_e64 s5, v14, v14
	v_add3_u32 v17, v17, v14, 0x7fff
	v_cndmask_b32_e64 v14, v17, v18, s5
	v_mul_f32_e32 v17, v56, v39
	v_bfe_u32 v18, v17, 16, 1
	v_or_b32_e32 v21, 0x400000, v17
	v_cmp_u_f32_e64 s5, v17, v17
	v_add3_u32 v18, v18, v17, 0x7fff
	v_mul_f32_e32 v17, v56, v64
	v_cndmask_b32_e64 v21, v18, v21, s5
	v_bfe_u32 v18, v17, 16, 1
	v_or_b32_e32 v39, 0x400000, v17
	v_cmp_u_f32_e64 s5, v17, v17
	v_add3_u32 v18, v18, v17, 0x7fff
	v_bfe_u32 v17, v4, 16, 1
	v_cndmask_b32_e64 v39, v18, v39, s5
	v_add3_u32 v17, v17, v4, 0x7fff
	v_or_b32_e32 v18, 0x400000, v4
	v_cmp_u_f32_e64 s5, v4, v4
	v_mul_f32_e32 v4, v56, v5
	v_cndmask_b32_e64 v64, v17, v18, s5
	v_bfe_u32 v5, v4, 16, 1
	v_or_b32_e32 v17, 0x400000, v4
	v_cmp_u_f32_e64 s5, v4, v4
	v_add3_u32 v5, v5, v4, 0x7fff
	v_mul_f32_e32 v4, v56, v10
	v_cndmask_b32_e64 v81, v5, v17, s5
	v_bfe_u32 v5, v4, 16, 1
	v_or_b32_e32 v10, 0x400000, v4
	v_cmp_u_f32_e64 s5, v4, v4
	v_add3_u32 v5, v5, v4, 0x7fff
	v_cndmask_b32_e64 v4, v5, v10, s5
	v_mul_f32_e32 v5, v56, v11
	v_and_b32_e32 v4, 0xffff0000, v4
	v_bfe_u32 v10, v5, 16, 1
	v_or_b32_e32 v11, 0x400000, v5
	v_cmp_u_f32_e64 s5, v5, v5
	v_add3_u32 v10, v10, v5, 0x7fff
	v_cndmask_b32_e64 v5, v10, v11, s5
	v_mul_f32_e32 v10, v56, v126
	v_bfe_u32 v11, v10, 16, 1
	v_or_b32_e32 v17, 0x400000, v10
	v_cmp_u_f32_e64 s5, v10, v10
	v_add3_u32 v11, v11, v10, 0x7fff
	v_cndmask_b32_e64 v10, v11, v17, s5
	v_mul_f32_e32 v11, v56, v125
	v_and_b32_e32 v10, 0xffff0000, v10
	v_bfe_u32 v17, v11, 16, 1
	v_or_b32_e32 v18, 0x400000, v11
	v_cmp_u_f32_e64 s5, v11, v11
	v_add3_u32 v17, v17, v11, 0x7fff
	v_mul_f32_e32 v11, v56, v124
	v_cndmask_b32_e64 v93, v17, v18, s5
	v_bfe_u32 v17, v11, 16, 1
	v_or_b32_e32 v18, 0x400000, v11
	v_cmp_u_f32_e64 s5, v11, v11
	v_add3_u32 v17, v17, v11, 0x7fff
	v_mul_f32_e32 v11, v56, v123
	v_cndmask_b32_e64 v94, v17, v18, s5
	;; [unrolled: 6-line block ×14, first 2 shown]
	v_bfe_u32 v17, v11, 16, 1
	v_or_b32_e32 v18, 0x400000, v11
	v_cmp_u_f32_e64 s5, v11, v11
	v_add3_u32 v17, v17, v11, 0x7fff
	buffer_load_dword v11, off, s[0:3], s32 offset:280 ; 4-byte Folded Reload
	v_cndmask_b32_e64 v111, v17, v18, s5
	s_waitcnt vmcnt(0)
	v_mul_f32_e32 v11, v56, v11
	v_bfe_u32 v17, v11, 16, 1
	v_or_b32_e32 v18, 0x400000, v11
	v_cmp_u_f32_e64 s5, v11, v11
	v_add3_u32 v17, v17, v11, 0x7fff
	buffer_load_dword v11, off, s[0:3], s32 offset:276 ; 4-byte Folded Reload
	v_cndmask_b32_e64 v45, v17, v18, s5
	s_waitcnt vmcnt(0)
	v_mul_f32_e32 v11, v56, v11
	;; [unrolled: 8-line block ×3, first 2 shown]
	v_bfe_u32 v17, v11, 16, 1
	v_or_b32_e32 v18, 0x400000, v11
	v_cmp_u_f32_e64 s5, v11, v11
	v_add3_u32 v17, v17, v11, 0x7fff
	v_mul_f32_e32 v11, v56, v62
	v_cndmask_b32_e64 v117, v17, v18, s5
	v_bfe_u32 v17, v11, 16, 1
	v_or_b32_e32 v18, 0x400000, v11
	v_cmp_u_f32_e64 s5, v11, v11
	v_add3_u32 v17, v17, v11, 0x7fff
	buffer_load_dword v11, off, s[0:3], s32 offset:268 ; 4-byte Folded Reload
	v_cndmask_b32_e64 v17, v17, v18, s5
	v_and_b32_e32 v17, 0xffff0000, v17
	s_waitcnt vmcnt(0)
	v_mul_f32_e32 v11, v56, v11
	v_bfe_u32 v18, v11, 16, 1
	v_or_b32_e32 v23, 0x400000, v11
	v_cmp_u_f32_e64 s5, v11, v11
	v_add3_u32 v18, v18, v11, 0x7fff
	buffer_load_dword v11, off, s[0:3], s32 offset:264 ; 4-byte Folded Reload
	v_cndmask_b32_e64 v49, v18, v23, s5
	v_and_b32_e32 v49, 0xffff0000, v49
	s_waitcnt vmcnt(0)
	v_mul_f32_e32 v11, v56, v11
	v_bfe_u32 v18, v11, 16, 1
	v_or_b32_e32 v23, 0x400000, v11
	v_cmp_u_f32_e64 s5, v11, v11
	v_add3_u32 v18, v18, v11, 0x7fff
	v_mul_f32_e32 v11, v56, v104
	v_cndmask_b32_e64 v41, v18, v23, s5
	v_bfe_u32 v18, v11, 16, 1
	v_or_b32_e32 v23, 0x400000, v11
	v_cmp_u_f32_e64 s5, v11, v11
	v_add3_u32 v18, v18, v11, 0x7fff
	buffer_load_dword v11, off, s[0:3], s32 offset:284 ; 4-byte Folded Reload
	v_cndmask_b32_e64 v18, v18, v23, s5
	s_waitcnt vmcnt(0)
	v_mul_f32_e32 v11, v56, v11
	v_bfe_u32 v23, v11, 16, 1
	v_or_b32_e32 v52, 0x400000, v11
	v_cmp_u_f32_e64 s5, v11, v11
	v_add3_u32 v23, v23, v11, 0x7fff
	buffer_load_dword v11, off, s[0:3], s32 offset:256 ; 4-byte Folded Reload
	v_cndmask_b32_e64 v52, v23, v52, s5
	s_waitcnt vmcnt(0)
	v_mul_f32_e32 v11, v56, v11
	;; [unrolled: 8-line block ×7, first 2 shown]
	v_bfe_u32 v23, v11, 16, 1
	v_or_b32_e32 v47, 0x400000, v11
	v_cmp_u_f32_e64 s5, v11, v11
	v_add3_u32 v23, v23, v11, 0x7fff
	buffer_load_dword v11, off, s[0:3], s32 offset:296 ; 4-byte Folded Reload
	v_cndmask_b32_e64 v47, v23, v47, s5
	v_and_b32_e32 v47, 0xffff0000, v47
	s_waitcnt vmcnt(0)
	v_mul_f32_e32 v11, v56, v11
	v_bfe_u32 v23, v11, 16, 1
	v_or_b32_e32 v44, 0x400000, v11
	v_cmp_u_f32_e64 s5, v11, v11
	v_add3_u32 v23, v23, v11, 0x7fff
	buffer_load_dword v11, off, s[0:3], s32 offset:260 ; 4-byte Folded Reload
	v_cndmask_b32_e64 v44, v23, v44, s5
	s_waitcnt vmcnt(0)
	v_mul_f32_e32 v11, v56, v11
	v_bfe_u32 v23, v11, 16, 1
	v_or_b32_e32 v40, 0x400000, v11
	v_cmp_u_f32_e64 s5, v11, v11
	v_add3_u32 v23, v23, v11, 0x7fff
	v_mul_f32_e32 v11, v56, v59
	v_cndmask_b32_e64 v40, v23, v40, s5
	v_bfe_u32 v23, v11, 16, 1
	v_or_b32_e32 v59, 0x400000, v11
	v_cmp_u_f32_e64 s5, v11, v11
	v_add3_u32 v23, v23, v11, 0x7fff
	v_mul_f32_e32 v11, v56, v60
	v_cndmask_b32_e64 v59, v23, v59, s5
	;; [unrolled: 6-line block ×3, first 2 shown]
	v_bfe_u32 v23, v11, 16, 1
	v_or_b32_e32 v61, 0x400000, v11
	v_cmp_u_f32_e64 s5, v11, v11
	v_add3_u32 v23, v23, v11, 0x7fff
	buffer_load_dword v11, off, s[0:3], s32 offset:300 ; 4-byte Folded Reload
	v_cndmask_b32_e64 v61, v23, v61, s5
	s_waitcnt vmcnt(0)
	v_mul_f32_e32 v11, v56, v11
	v_bfe_u32 v23, v11, 16, 1
	v_or_b32_e32 v62, 0x400000, v11
	v_cmp_u_f32_e64 s5, v11, v11
	v_add3_u32 v23, v23, v11, 0x7fff
	v_mul_f32_e32 v11, v56, v57
	v_cndmask_b32_e64 v62, v23, v62, s5
	v_bfe_u32 v23, v11, 16, 1
	v_or_b32_e32 v118, 0x400000, v11
	v_cmp_u_f32_e64 s5, v11, v11
	v_add3_u32 v23, v23, v11, 0x7fff
	v_mul_f32_e32 v11, v56, v115
	v_cndmask_b32_e64 v118, v23, v118, s5
	v_bfe_u32 v23, v11, 16, 1
	v_or_b32_e32 v55, 0x400000, v11
	v_cmp_u_f32_e64 s5, v11, v11
	v_and_b32_e32 v118, 0xffff0000, v118
	v_add3_u32 v23, v23, v11, 0x7fff
	buffer_load_dword v11, off, s[0:3], s32 offset:288 ; 4-byte Folded Reload
	v_cndmask_b32_e64 v55, v23, v55, s5
	v_and_b32_e32 v55, 0xffff0000, v55
	s_waitcnt vmcnt(0)
	v_mul_f32_e32 v11, v56, v11
	v_bfe_u32 v23, v11, 16, 1
	v_or_b32_e32 v57, 0x400000, v11
	v_cmp_u_f32_e64 s5, v11, v11
	v_add3_u32 v23, v23, v11, 0x7fff
	v_mul_f32_e32 v11, v56, v113
	v_cndmask_b32_e64 v57, v23, v57, s5
	v_bfe_u32 v23, v11, 16, 1
	v_or_b32_e32 v115, 0x400000, v11
	v_cmp_u_f32_e64 s5, v11, v11
	v_add3_u32 v23, v23, v11, 0x7fff
	v_mul_f32_e32 v11, v56, v89
	v_cndmask_b32_e64 v115, v23, v115, s5
	v_bfe_u32 v23, v11, 16, 1
	v_or_b32_e32 v89, 0x400000, v11
	v_cmp_u_f32_e64 s5, v11, v11
	v_and_b32_e32 v115, 0xffff0000, v115
	v_add3_u32 v23, v23, v11, 0x7fff
	v_cndmask_b32_e64 v11, v23, v89, s5
	v_mul_f32_e32 v23, v56, v88
	v_bfe_u32 v88, v23, 16, 1
	v_or_b32_e32 v89, 0x400000, v23
	v_cmp_u_f32_e64 s5, v23, v23
	v_add3_u32 v88, v88, v23, 0x7fff
	v_cndmask_b32_e64 v23, v88, v89, s5
	v_bfe_u32 v88, v76, 16, 1
	v_or_b32_e32 v89, 0x400000, v76
	v_cmp_u_f32_e64 s5, v76, v76
	v_add3_u32 v88, v88, v76, 0x7fff
	v_cndmask_b32_e64 v76, v88, v89, s5
	;; [unrolled: 5-line block ×3, first 2 shown]
	v_bfe_u32 v88, v36, 16, 1
	v_or_b32_e32 v89, 0x400000, v36
	v_cmp_u_f32_e64 s5, v36, v36
	v_add3_u32 v88, v88, v36, 0x7fff
	v_bfe_u32 v36, v35, 16, 1
	v_cndmask_b32_e64 v88, v88, v89, s5
	v_add3_u32 v36, v36, v35, 0x7fff
	v_or_b32_e32 v89, 0x400000, v35
	v_cmp_u_f32_e64 s5, v35, v35
	v_mul_f32_e32 v35, v56, v91
	v_cndmask_b32_e64 v89, v36, v89, s5
	v_mul_f32_e32 v36, v56, v90
	v_bfe_u32 v56, v35, 16, 1
	v_or_b32_e32 v90, 0x400000, v35
	v_cmp_u_f32_e64 s5, v35, v35
	v_add3_u32 v56, v56, v35, 0x7fff
	v_cndmask_b32_e64 v35, v56, v90, s5
	v_bfe_u32 v56, v36, 16, 1
	v_or_b32_e32 v90, 0x400000, v36
	v_cmp_u_f32_e64 s5, v36, v36
	v_add3_u32 v56, v56, v36, 0x7fff
	v_cndmask_b32_e64 v36, v56, v90, s5
	buffer_load_dword v56, off, s[0:3], s32 offset:412 ; 4-byte Folded Reload
	s_waitcnt vmcnt(0)
	v_mul_f32_e32 v56, v56, v47
	buffer_load_dword v47, off, s[0:3], s32 offset:380 ; 4-byte Folded Reload
	s_waitcnt vmcnt(0)
	v_fmac_f32_e32 v56, v47, v55
	buffer_load_dword v47, off, s[0:3], s32 offset:416 ; 4-byte Folded Reload
	v_and_b32_e32 v55, 0xffff0000, v108
	s_waitcnt vmcnt(0)
	v_mul_f32_e32 v90, v47, v55
	s_clause 0x1
	buffer_load_dword v55, off, s[0:3], s32 offset:384
	buffer_load_dword v47, off, s[0:3], s32 offset:420
	s_waitcnt vmcnt(1)
	v_fmac_f32_e32 v90, v55, v118
	v_and_b32_e32 v55, 0xffff0000, v107
	v_and_b32_e32 v118, 0xffff0000, v62
	s_waitcnt vmcnt(0)
	v_mul_f32_e32 v91, v47, v55
	s_clause 0x1
	buffer_load_dword v55, off, s[0:3], s32 offset:388
	buffer_load_dword v47, off, s[0:3], s32 offset:424
	s_waitcnt vmcnt(1)
	v_fmac_f32_e32 v91, v55, v118
	v_and_b32_e32 v55, 0xffff0000, v104
	;; [unrolled: 9-line block ×4, first 2 shown]
	v_and_b32_e32 v118, 0xffff0000, v59
	s_waitcnt vmcnt(0)
	v_mul_f32_e32 v106, v47, v55
	buffer_load_dword v55, off, s[0:3], s32 offset:400 ; 4-byte Folded Reload
	s_waitcnt vmcnt(0)
	v_fmac_f32_e32 v106, v55, v118
	v_and_b32_e32 v55, 0xffff0000, v44
	buffer_load_dword v44, off, s[0:3], s32 offset:436 ; 4-byte Folded Reload
	v_and_b32_e32 v118, 0xffff0000, v57
	s_waitcnt vmcnt(0)
	v_mul_f32_e32 v107, v44, v55
	buffer_load_dword v55, off, s[0:3], s32 offset:404 ; 4-byte Folded Reload
	s_waitcnt vmcnt(0)
	v_fmac_f32_e32 v107, v55, v118
	buffer_load_dword v118, off, s[0:3], s32 offset:440 ; 4-byte Folded Reload
	v_and_b32_e32 v55, 0xffff0000, v40
	s_waitcnt vmcnt(0)
	v_mul_f32_e32 v108, v118, v55
	buffer_load_dword v55, off, s[0:3], s32 offset:408 ; 4-byte Folded Reload
	s_waitcnt vmcnt(0)
	v_fmac_f32_e32 v108, v55, v115
	buffer_load_dword v115, off, s[0:3], s32 offset:460 ; 4-byte Folded Reload
	v_and_b32_e32 v55, 0xffff0000, v41
	s_waitcnt vmcnt(0)
	v_fmac_f32_e32 v56, v115, v55
	buffer_load_dword v55, off, s[0:3], s32 offset:464 ; 4-byte Folded Reload
	s_waitcnt vmcnt(0)
	v_fmac_f32_e32 v90, v55, v49
	buffer_load_dword v49, off, s[0:3], s32 offset:468 ; 4-byte Folded Reload
	;; [unrolled: 3-line block ×3, first 2 shown]
	v_and_b32_e32 v17, 0xffff0000, v117
	s_waitcnt vmcnt(0)
	v_fmac_f32_e32 v104, v49, v17
	buffer_load_dword v49, off, s[0:3], s32 offset:480 ; 4-byte Folded Reload
	v_and_b32_e32 v17, 0xffff0000, v46
	s_waitcnt vmcnt(0)
	v_fmac_f32_e32 v105, v49, v17
	buffer_load_dword v49, off, s[0:3], s32 offset:484 ; 4-byte Folded Reload
	v_and_b32_e32 v17, 0xffff0000, v45
	s_waitcnt vmcnt(0)
	v_fmac_f32_e32 v106, v49, v17
	v_and_b32_e32 v17, 0xffff0000, v18
	buffer_load_dword v18, off, s[0:3], s32 offset:488 ; 4-byte Folded Reload
	s_waitcnt vmcnt(0)
	v_fmac_f32_e32 v107, v18, v17
	buffer_load_dword v18, off, s[0:3], s32 offset:492 ; 4-byte Folded Reload
	v_and_b32_e32 v17, 0xffff0000, v52
	s_waitcnt vmcnt(0)
	v_fmac_f32_e32 v108, v18, v17
	buffer_load_dword v18, off, s[0:3], s32 offset:496 ; 4-byte Folded Reload
	v_and_b32_e32 v17, 0xffff0000, v43
	;; [unrolled: 4-line block ×14, first 2 shown]
	s_waitcnt vmcnt(0)
	v_fmac_f32_e32 v105, v18, v17
	buffer_load_dword v17, off, s[0:3], s32 offset:548 ; 4-byte Folded Reload
	s_waitcnt vmcnt(0)
	v_fmac_f32_e32 v106, v17, v10
	buffer_load_dword v17, off, s[0:3], s32 offset:552 ; 4-byte Folded Reload
	v_and_b32_e32 v10, 0xffff0000, v121
	s_waitcnt vmcnt(0)
	v_fmac_f32_e32 v107, v17, v10
	buffer_load_dword v17, off, s[0:3], s32 offset:556 ; 4-byte Folded Reload
	v_and_b32_e32 v10, 0xffff0000, v123
	;; [unrolled: 4-line block ×6, first 2 shown]
	s_waitcnt vmcnt(0)
	v_fmac_f32_e32 v104, v17, v10
	v_and_b32_e32 v10, 0xffff0000, v14
	s_clause 0x1
	buffer_load_dword v14, off, s[0:3], s32 offset:576
	buffer_load_dword v17, off, s[0:3], s32 offset:312
	s_waitcnt vmcnt(1)
	v_fmac_f32_e32 v105, v14, v10
	buffer_load_dword v10, off, s[0:3], s32 offset:580 ; 4-byte Folded Reload
	s_waitcnt vmcnt(0)
	v_fmac_f32_e32 v106, v10, v7
	buffer_load_dword v7, off, s[0:3], s32 offset:584 ; 4-byte Folded Reload
	s_waitcnt vmcnt(0)
	v_fmac_f32_e32 v107, v7, v4
	v_and_b32_e32 v4, 0xffff0000, v5
	buffer_load_dword v5, off, s[0:3], s32 offset:588 ; 4-byte Folded Reload
	s_waitcnt vmcnt(0)
	v_fmac_f32_e32 v108, v5, v4
	buffer_load_dword v5, off, s[0:3], s32 offset:592 ; 4-byte Folded Reload
	v_and_b32_e32 v4, 0xffff0000, v48
	s_waitcnt vmcnt(0)
	v_fmac_f32_e32 v56, v5, v4
	buffer_load_dword v5, off, s[0:3], s32 offset:596 ; 4-byte Folded Reload
	v_and_b32_e32 v4, 0xffff0000, v27
	s_waitcnt vmcnt(0)
	v_fmac_f32_e32 v90, v5, v4
	buffer_load_dword v4, off, s[0:3], s32 offset:600 ; 4-byte Folded Reload
	s_waitcnt vmcnt(0)
	v_fmac_f32_e32 v91, v4, v3
	buffer_load_dword v3, off, s[0:3], s32 offset:604 ; 4-byte Folded Reload
	;; [unrolled: 3-line block ×3, first 2 shown]
	v_and_b32_e32 v2, 0xffff0000, v26
	s_waitcnt vmcnt(0)
	v_fmac_f32_e32 v105, v3, v2
	buffer_load_dword v3, off, s[0:3], s32 offset:612 ; 4-byte Folded Reload
	v_and_b32_e32 v2, 0xffff0000, v6
	s_waitcnt vmcnt(0)
	v_fmac_f32_e32 v106, v3, v2
	buffer_load_dword v2, off, s[0:3], s32 offset:616 ; 4-byte Folded Reload
	s_waitcnt vmcnt(0)
	v_fmac_f32_e32 v107, v2, v0
	v_and_b32_e32 v0, 0xffff0000, v1
	s_clause 0x1
	buffer_load_dword v1, off, s[0:3], s32 offset:620
	buffer_load_dword v2, off, s[0:3], s32 offset:892
	s_waitcnt vmcnt(1)
	v_fmac_f32_e32 v108, v1, v0
	buffer_load_dword v1, off, s[0:3], s32 offset:624 ; 4-byte Folded Reload
	v_and_b32_e32 v0, 0xffff0000, v92
	s_waitcnt vmcnt(0)
	v_fmac_f32_e32 v56, v1, v0
	buffer_load_dword v1, off, s[0:3], s32 offset:628 ; 4-byte Folded Reload
	v_and_b32_e32 v0, 0xffff0000, v68
	;; [unrolled: 4-line block ×52, first 2 shown]
	s_waitcnt vmcnt(0)
	v_fmac_f32_e32 v104, v1, v0
	s_clause 0x1
	buffer_load_dword v0, off, s[0:3], s32 offset:356
	buffer_load_dword v1, off, s[0:3], s32 offset:832
	s_waitcnt vmcnt(1)
	v_and_b32_e32 v0, 0xffff0000, v0
	s_waitcnt vmcnt(0)
	v_fmac_f32_e32 v105, v1, v0
	s_clause 0x1
	buffer_load_dword v0, off, s[0:3], s32 offset:352
	buffer_load_dword v1, off, s[0:3], s32 offset:836
	s_waitcnt vmcnt(1)
	v_and_b32_e32 v0, 0xffff0000, v0
	s_waitcnt vmcnt(0)
	v_fmac_f32_e32 v106, v1, v0
	buffer_load_dword v1, off, s[0:3], s32 offset:840 ; 4-byte Folded Reload
	v_and_b32_e32 v0, 0xffff0000, v72
	s_waitcnt vmcnt(0)
	v_fmac_f32_e32 v107, v1, v0
	buffer_load_dword v1, off, s[0:3], s32 offset:844 ; 4-byte Folded Reload
	v_and_b32_e32 v0, 0xffff0000, v73
	s_waitcnt vmcnt(0)
	v_fmac_f32_e32 v108, v1, v0
	s_clause 0x1
	buffer_load_dword v0, off, s[0:3], s32 offset:348
	buffer_load_dword v1, off, s[0:3], s32 offset:848
	s_waitcnt vmcnt(1)
	v_and_b32_e32 v0, 0xffff0000, v0
	s_waitcnt vmcnt(0)
	v_fmac_f32_e32 v56, v1, v0
	s_clause 0x1
	buffer_load_dword v0, off, s[0:3], s32 offset:340
	buffer_load_dword v1, off, s[0:3], s32 offset:852
	s_waitcnt vmcnt(1)
	;; [unrolled: 7-line block ×5, first 2 shown]
	v_and_b32_e32 v0, 0xffff0000, v0
	s_waitcnt vmcnt(0)
	v_fmac_f32_e32 v105, v1, v0
	s_clause 0x2
	buffer_load_dword v0, off, s[0:3], s32 offset:320
	buffer_load_dword v1, off, s[0:3], s32 offset:868
	;; [unrolled: 1-line block ×3, first 2 shown]
	s_waitcnt vmcnt(2)
	v_and_b32_e32 v0, 0xffff0000, v0
	s_waitcnt vmcnt(1)
	v_fmac_f32_e32 v106, v1, v0
	s_clause 0x1
	buffer_load_dword v0, off, s[0:3], s32 offset:336
	buffer_load_dword v1, off, s[0:3], s32 offset:872
	s_waitcnt vmcnt(1)
	v_and_b32_e32 v0, 0xffff0000, v0
	s_waitcnt vmcnt(0)
	v_fmac_f32_e32 v107, v1, v0
	s_clause 0x1
	buffer_load_dword v0, off, s[0:3], s32 offset:344
	buffer_load_dword v1, off, s[0:3], s32 offset:876
	s_waitcnt vmcnt(1)
	v_and_b32_e32 v0, 0xffff0000, v0
	s_waitcnt vmcnt(0)
	v_fmac_f32_e32 v108, v1, v0
	buffer_load_dword v1, off, s[0:3], s32 offset:880 ; 4-byte Folded Reload
	v_and_b32_e32 v0, 0xffff0000, v89
	s_waitcnt vmcnt(0)
	v_fmac_f32_e32 v56, v1, v0
	buffer_load_dword v1, off, s[0:3], s32 offset:884 ; 4-byte Folded Reload
	;; [unrolled: 4-line block ×3, first 2 shown]
	v_and_b32_e32 v0, 0xffff0000, v75
	s_waitcnt vmcnt(0)
	v_fmac_f32_e32 v91, v1, v0
	v_and_b32_e32 v1, 0xffff0000, v76
	v_add_f32_e32 v0, v56, v90
	v_fmac_f32_e32 v104, v2, v1
	buffer_load_dword v2, off, s[0:3], s32 offset:896 ; 4-byte Folded Reload
	v_and_b32_e32 v1, 0xffff0000, v23
	v_add_f32_e32 v0, v0, v91
	v_add_f32_e32 v0, v104, v0
	s_waitcnt vmcnt(0)
	v_fmac_f32_e32 v105, v2, v1
	buffer_load_dword v2, off, s[0:3], s32 offset:900 ; 4-byte Folded Reload
	v_and_b32_e32 v1, 0xffff0000, v11
	v_add_f32_e32 v0, v105, v0
	s_waitcnt vmcnt(0)
	v_fmac_f32_e32 v106, v2, v1
	buffer_load_dword v2, off, s[0:3], s32 offset:904 ; 4-byte Folded Reload
	v_and_b32_e32 v1, 0xffff0000, v35
	;; [unrolled: 5-line block ×3, first 2 shown]
	v_add_f32_e32 v0, v107, v0
	s_waitcnt vmcnt(0)
	v_fmac_f32_e32 v108, v2, v1
	s_clause 0x1
	buffer_load_dword v1, off, s[0:3], s32 offset:920
	buffer_load_dword v2, off, s[0:3], s32 offset:376
	v_add_f32_e32 v0, v108, v0
	s_waitcnt vmcnt(1)
	v_add_nc_u32_e32 v1, v1, v114
	v_cvt_f32_i32_e32 v1, v1
	s_waitcnt vmcnt(0)
	v_mul_f32_e32 v1, v2, v1
	buffer_load_dword v2, off, s[0:3], s32 offset:368 ; 4-byte Folded Reload
	v_cndmask_b32_e32 v1, 0, v1, vcc_lo
	s_waitcnt vmcnt(0)
	v_fmac_f32_e32 v1, v2, v0
	buffer_load_dword v0, off, s[0:3], s32 offset:444 ; 4-byte Folded Reload
	s_waitcnt vmcnt(0)
	v_add_nc_u32_e32 v0, v0, v114
	v_cmp_lt_i32_e64 s5, v0, v38
	s_waitcnt lgkmcnt(0)
	v_add_nc_u32_e32 v0, s25, v6
	v_cndmask_b32_e64 v2, 0, v1, s5
	ds_write_b32 v0, v2
	v_max_f32_e32 v0, v17, v17
	v_max_f32_e32 v0, v0, v1
	v_cndmask_b32_e64 v17, v17, v0, s5
.LBB380_15:                             ;   in Loop: Header=BB380_16 Depth=1
	s_or_b32 exec_lo, exec_lo, s6
	s_clause 0x1
	buffer_load_dword v1, off, s[0:3], s32 offset:236
	buffer_load_dword v0, off, s[0:3], s32 offset:224
	v_add_co_u32 v28, s5, v28, 16
	v_add_co_ci_u32_e64 v29, null, 0, v29, s5
	v_add_nc_u32_e32 v114, 0x80, v114
	v_add_nc_u32_e32 v6, 0x200, v6
	s_waitcnt vmcnt(1)
	v_add_nc_u32_e32 v1, 4, v1
	s_waitcnt vmcnt(0)
	v_cmp_ge_i32_e64 s5, v1, v0
	s_or_b32 s17, s5, s17
	s_andn2_b32 exec_lo, exec_lo, s17
	s_cbranch_execz .LBB380_1040
.LBB380_16:                             ; =>This Inner Loop Header: Depth=1
	buffer_store_dword v1, off, s[0:3], s32 offset:236 ; 4-byte Folded Spill
	s_clause 0x2
	buffer_load_dword v1, off, s[0:3], s32 offset:228
	buffer_load_dword v4, off, s[0:3], s32 offset:208
	;; [unrolled: 1-line block ×3, first 2 shown]
	v_sub_nc_u32_e32 v0, 0, v114
	v_max_i32_e32 v0, v114, v0
	s_waitcnt vmcnt(2)
	v_mul_hi_u32 v1, v0, v1
	s_waitcnt vmcnt(1)
	v_mul_lo_u32 v2, v1, v4
	v_sub_nc_u32_e32 v0, v0, v2
	v_add_nc_u32_e32 v2, 1, v1
	v_sub_nc_u32_e32 v3, v0, v4
	v_cmp_ge_u32_e64 s5, v0, v4
	v_cndmask_b32_e64 v1, v1, v2, s5
	v_cndmask_b32_e64 v0, v0, v3, s5
	v_ashrrev_i32_e32 v2, 31, v114
	v_add_nc_u32_e32 v3, 1, v1
	v_cmp_ge_u32_e64 s5, v0, v4
	s_waitcnt vmcnt(0)
	v_xor_b32_e32 v2, v2, v5
	v_cndmask_b32_e64 v0, v1, v3, s5
	v_xor_b32_e32 v0, v0, v2
	v_sub_nc_u32_e32 v0, v0, v2
	s_clause 0x3
	buffer_load_dword v1, off, s[0:3], s32 offset:212
	buffer_load_dword v2, off, s[0:3], s32 offset:216
	;; [unrolled: 1-line block ×4, first 2 shown]
	s_waitcnt vmcnt(3)
	v_add_nc_u32_e32 v1, v0, v1
	s_waitcnt vmcnt(2)
	v_sub_nc_u32_e32 v2, 0, v1
	v_max_i32_e32 v2, v1, v2
	v_ashrrev_i32_e32 v1, 31, v1
	s_waitcnt vmcnt(1)
	v_mul_hi_u32 v3, v2, v3
	s_waitcnt vmcnt(0)
	v_mul_lo_u32 v3, v3, v4
	v_sub_nc_u32_e32 v2, v2, v3
	v_sub_nc_u32_e32 v3, v2, v4
	v_cmp_ge_u32_e64 s5, v2, v4
	v_cndmask_b32_e64 v2, v2, v3, s5
	v_sub_nc_u32_e32 v3, v2, v4
	v_cmp_ge_u32_e64 s5, v2, v4
	v_cndmask_b32_e64 v2, v2, v3, s5
	v_xor_b32_e32 v2, v2, v1
	v_sub_nc_u32_e32 v1, v2, v1
	v_cmp_ne_u32_e64 s5, 0, v1
	buffer_load_dword v1, off, s[0:3], s32 offset:232 ; 4-byte Folded Reload
	s_waitcnt vmcnt(0)
	v_cmp_le_i32_e64 s6, v0, v1
	s_and_b32 s5, s5, s6
	s_and_saveexec_b32 s6, s5
	s_xor_b32 s5, exec_lo, s6
	s_cbranch_execz .LBB380_18
; %bb.17:                               ;   in Loop: Header=BB380_16 Depth=1
	s_waitcnt lgkmcnt(0)
	v_add_nc_u32_e32 v0, s24, v6
	v_mov_b32_e32 v1, 0xff7fffff
	ds_write_b32 v0, v1
.LBB380_18:                             ;   in Loop: Header=BB380_16 Depth=1
	s_andn2_saveexec_b32 s6, s5
	s_cbranch_execz .LBB380_15
; %bb.19:                               ;   in Loop: Header=BB380_16 Depth=1
	buffer_store_dword v6, off, s[0:3], s32 offset:316 ; 4-byte Folded Spill
	buffer_store_dword v17, off, s[0:3], s32 offset:312 ; 4-byte Folded Spill
	flat_load_dword v0, v[28:29]
	s_clause 0x2
	buffer_load_dword v1, off, s[0:3], s32 offset:372
	buffer_load_dword v2, off, s[0:3], s32 offset:912
	;; [unrolled: 1-line block ×3, first 2 shown]
	v_mov_b32_e32 v57, 0
	v_mov_b32_e32 v45, 0
	s_waitcnt vmcnt(0) lgkmcnt(0)
	v_mad_i64_i32 v[31:32], null, v0, v1, v[2:3]
	flat_load_dwordx2 v[33:34], v[31:32]
	s_clause 0x1
	buffer_load_dword v0, off, s[0:3], s32 offset:360
	buffer_load_dword v1, off, s[0:3], s32 offset:364
	s_waitcnt vmcnt(2) lgkmcnt(0)
	v_cmp_ne_u16_sdwa s5, v33, v20 src0_sel:BYTE_0 src1_sel:DWORD
	s_waitcnt vmcnt(0)
	flat_load_dword v56, v[0:1]
	s_and_saveexec_b32 s25, s5
	s_cbranch_execz .LBB380_27
; %bb.20:                               ;   in Loop: Header=BB380_16 Depth=1
	v_cmp_ne_u16_sdwa s5, v33, v42 src0_sel:BYTE_0 src1_sel:DWORD
	v_bfrev_b32_e32 v45, 1
	s_and_saveexec_b32 s26, s5
	s_cbranch_execz .LBB380_26
; %bb.21:                               ;   in Loop: Header=BB380_16 Depth=1
	v_and_b32_e32 v1, 0x7f, v33
	v_mov_b32_e32 v45, 0x7f800001
	s_mov_b32 s27, exec_lo
	v_cmpx_ne_u32_e32 0x7f, v1
	s_cbranch_execz .LBB380_25
; %bb.22:                               ;   in Loop: Header=BB380_16 Depth=1
	v_mov_b32_e32 v36, v34
	v_lshrrev_b32_e32 v0, 3, v1
	v_mov_b32_e32 v35, v33
	s_mov_b32 s28, exec_lo
	v_cmpx_gt_u32_e32 8, v1
; %bb.23:                               ;   in Loop: Header=BB380_16 Depth=1
	v_and_b32_e32 v0, 7, v33
	v_ffbh_u32_e32 v0, v0
	v_min_u32_e32 v0, 32, v0
	v_subrev_nc_u32_e32 v1, 28, v0
	v_sub_nc_u32_e32 v0, 29, v0
	v_lshlrev_b64 v[35:36], v1, v[33:34]
; %bb.24:                               ;   in Loop: Header=BB380_16 Depth=1
	s_or_b32 exec_lo, exec_lo, s28
	v_lshlrev_b32_e32 v1, 20, v35
	v_lshlrev_b32_e32 v2, 24, v33
	v_lshl_add_u32 v0, v0, 23, 0x3c000000
	v_and_b32_e32 v1, 0x700000, v1
	v_and_b32_e32 v2, 0x80000000, v2
	v_or3_b32 v45, v1, v2, v0
.LBB380_25:                             ;   in Loop: Header=BB380_16 Depth=1
	s_or_b32 exec_lo, exec_lo, s27
.LBB380_26:                             ;   in Loop: Header=BB380_16 Depth=1
	s_or_b32 exec_lo, exec_lo, s26
.LBB380_27:                             ;   in Loop: Header=BB380_16 Depth=1
	s_or_b32 exec_lo, exec_lo, s25
	v_cmp_ne_u16_sdwa s5, v33, v20 src0_sel:BYTE_1 src1_sel:DWORD
	s_and_saveexec_b32 s25, s5
	s_cbranch_execz .LBB380_35
; %bb.28:                               ;   in Loop: Header=BB380_16 Depth=1
	v_cmp_ne_u16_sdwa s5, v33, v42 src0_sel:BYTE_1 src1_sel:DWORD
	v_bfrev_b32_e32 v57, 1
	s_and_saveexec_b32 s26, s5
	s_cbranch_execz .LBB380_34
; %bb.29:                               ;   in Loop: Header=BB380_16 Depth=1
	v_mov_b32_e32 v0, 0xffff
	v_mov_b32_e32 v57, 0x7f800001
	s_mov_b32 s27, exec_lo
	v_and_b32_sdwa v0, v0, v33 dst_sel:DWORD dst_unused:UNUSED_PAD src0_sel:DWORD src1_sel:BYTE_1
	v_and_b32_e32 v1, 0x7f, v0
	v_cmpx_ne_u32_e32 0x7f, v1
	s_cbranch_execz .LBB380_33
; %bb.30:                               ;   in Loop: Header=BB380_16 Depth=1
	v_and_b32_e32 v19, 7, v0
	v_mov_b32_e32 v36, v20
	v_lshrrev_b32_e32 v0, 3, v1
	s_mov_b32 s28, exec_lo
	v_mov_b32_e32 v35, v19
	v_cmpx_gt_u32_e32 8, v1
; %bb.31:                               ;   in Loop: Header=BB380_16 Depth=1
	v_ffbh_u32_e32 v0, v19
	v_min_u32_e32 v0, 32, v0
	v_subrev_nc_u32_e32 v1, 28, v0
	v_sub_nc_u32_e32 v0, 29, v0
	v_lshlrev_b64 v[1:2], v1, v[19:20]
	v_and_b32_e32 v35, 7, v1
; %bb.32:                               ;   in Loop: Header=BB380_16 Depth=1
	s_or_b32 exec_lo, exec_lo, s28
	v_lshlrev_b32_e32 v1, 16, v33
	v_lshlrev_b32_e32 v2, 20, v35
	v_lshl_add_u32 v0, v0, 23, 0x3c000000
	v_and_b32_e32 v1, 0x80000000, v1
	v_or3_b32 v57, v2, v1, v0
.LBB380_33:                             ;   in Loop: Header=BB380_16 Depth=1
	s_or_b32 exec_lo, exec_lo, s27
.LBB380_34:                             ;   in Loop: Header=BB380_16 Depth=1
	s_or_b32 exec_lo, exec_lo, s26
.LBB380_35:                             ;   in Loop: Header=BB380_16 Depth=1
	s_or_b32 exec_lo, exec_lo, s25
	v_mov_b32_e32 v0, 0xff
	v_mov_b32_e32 v61, 0
	;; [unrolled: 1-line block ×3, first 2 shown]
	s_mov_b32 s25, exec_lo
	v_and_b32_sdwa v0, v33, v0 dst_sel:DWORD dst_unused:UNUSED_PAD src0_sel:WORD_1 src1_sel:DWORD
	buffer_store_dword v1, off, s[0:3], s32 offset:300 ; 4-byte Folded Spill
	v_cmpx_ne_u16_e32 0, v0
	s_cbranch_execz .LBB380_43
; %bb.36:                               ;   in Loop: Header=BB380_16 Depth=1
	v_cmp_ne_u16_e64 s5, 0x80, v0
	v_bfrev_b32_e32 v0, 1
	s_and_saveexec_b32 s26, s5
	s_cbranch_execz .LBB380_42
; %bb.37:                               ;   in Loop: Header=BB380_16 Depth=1
	v_bfe_u32 v1, v33, 16, 7
	v_mov_b32_e32 v0, 0x7f800001
	s_mov_b32 s27, exec_lo
	v_cmpx_ne_u32_e32 0x7f, v1
	s_cbranch_execz .LBB380_41
; %bb.38:                               ;   in Loop: Header=BB380_16 Depth=1
	v_mov_b32_e32 v0, 7
	s_mov_b32 s28, exec_lo
	v_and_b32_sdwa v19, v33, v0 dst_sel:DWORD dst_unused:UNUSED_PAD src0_sel:WORD_1 src1_sel:DWORD
	v_mov_b32_e32 v36, v20
	v_lshrrev_b32_e32 v0, 3, v1
	v_mov_b32_e32 v35, v19
	v_cmpx_gt_u32_e32 8, v1
; %bb.39:                               ;   in Loop: Header=BB380_16 Depth=1
	v_ffbh_u32_e32 v0, v19
	v_min_u32_e32 v0, 32, v0
	v_subrev_nc_u32_e32 v1, 28, v0
	v_sub_nc_u32_e32 v0, 29, v0
	v_lshlrev_b64 v[1:2], v1, v[19:20]
	v_and_b32_e32 v35, 7, v1
; %bb.40:                               ;   in Loop: Header=BB380_16 Depth=1
	s_or_b32 exec_lo, exec_lo, s28
	v_mov_b32_e32 v1, 24
	v_lshlrev_b32_e32 v2, 20, v35
	v_lshl_add_u32 v0, v0, 23, 0x3c000000
	v_lshlrev_b32_sdwa v1, v1, v33 dst_sel:DWORD dst_unused:UNUSED_PAD src0_sel:DWORD src1_sel:WORD_1
	v_and_b32_e32 v1, 0x80000000, v1
	v_or3_b32 v0, v2, v1, v0
.LBB380_41:                             ;   in Loop: Header=BB380_16 Depth=1
	s_or_b32 exec_lo, exec_lo, s27
.LBB380_42:                             ;   in Loop: Header=BB380_16 Depth=1
	s_or_b32 exec_lo, exec_lo, s26
	buffer_store_dword v0, off, s[0:3], s32 offset:300 ; 4-byte Folded Spill
.LBB380_43:                             ;   in Loop: Header=BB380_16 Depth=1
	s_or_b32 exec_lo, exec_lo, s25
	s_mov_b32 s25, exec_lo
	v_cmpx_lt_u32_e32 0xffffff, v33
	s_cbranch_execz .LBB380_51
; %bb.44:                               ;   in Loop: Header=BB380_16 Depth=1
	v_cmp_ne_u32_sdwa s5, v33, v42 src0_sel:BYTE_3 src1_sel:DWORD
	v_bfrev_b32_e32 v61, 1
	s_and_saveexec_b32 s26, s5
	s_cbranch_execz .LBB380_50
; %bb.45:                               ;   in Loop: Header=BB380_16 Depth=1
	v_bfe_u32 v1, v33, 24, 7
	v_mov_b32_e32 v61, 0x7f800001
	s_mov_b32 s27, exec_lo
	v_cmpx_ne_u32_e32 0x7f, v1
	s_cbranch_execz .LBB380_49
; %bb.46:                               ;   in Loop: Header=BB380_16 Depth=1
	v_mov_b32_e32 v0, 7
	s_mov_b32 s28, exec_lo
	v_and_b32_sdwa v19, v33, v0 dst_sel:DWORD dst_unused:UNUSED_PAD src0_sel:BYTE_3 src1_sel:DWORD
	v_mov_b32_e32 v36, v20
	v_lshrrev_b32_e32 v0, 3, v1
	v_mov_b32_e32 v35, v19
	v_cmpx_gt_u32_e32 8, v1
; %bb.47:                               ;   in Loop: Header=BB380_16 Depth=1
	v_ffbh_u32_e32 v0, v19
	v_min_u32_e32 v0, 32, v0
	v_subrev_nc_u32_e32 v1, 28, v0
	v_sub_nc_u32_e32 v0, 29, v0
	v_lshlrev_b64 v[1:2], v1, v[19:20]
	v_and_b32_e32 v35, 7, v1
; %bb.48:                               ;   in Loop: Header=BB380_16 Depth=1
	s_or_b32 exec_lo, exec_lo, s28
	v_mov_b32_e32 v1, 24
	v_lshlrev_b32_e32 v2, 20, v35
	v_lshl_add_u32 v0, v0, 23, 0x3c000000
	v_lshlrev_b32_sdwa v1, v1, v33 dst_sel:DWORD dst_unused:UNUSED_PAD src0_sel:DWORD src1_sel:BYTE_3
	v_and_b32_e32 v1, 0x80000000, v1
	v_or3_b32 v61, v2, v1, v0
.LBB380_49:                             ;   in Loop: Header=BB380_16 Depth=1
	s_or_b32 exec_lo, exec_lo, s27
.LBB380_50:                             ;   in Loop: Header=BB380_16 Depth=1
	s_or_b32 exec_lo, exec_lo, s26
.LBB380_51:                             ;   in Loop: Header=BB380_16 Depth=1
	s_or_b32 exec_lo, exec_lo, s25
	v_mov_b32_e32 v19, v34
	v_cmp_ne_u16_sdwa s5, v34, v20 src0_sel:BYTE_0 src1_sel:DWORD
	v_mov_b32_e32 v59, 0
	v_mov_b32_e32 v60, 0
	s_and_saveexec_b32 s25, s5
	s_cbranch_execz .LBB380_59
; %bb.52:                               ;   in Loop: Header=BB380_16 Depth=1
	v_cmp_ne_u16_sdwa s5, v34, v42 src0_sel:BYTE_0 src1_sel:DWORD
	v_bfrev_b32_e32 v60, 1
	s_and_saveexec_b32 s26, s5
	s_cbranch_execz .LBB380_58
; %bb.53:                               ;   in Loop: Header=BB380_16 Depth=1
	v_and_b32_e32 v1, 0x7f, v34
	v_mov_b32_e32 v60, 0x7f800001
	s_mov_b32 s27, exec_lo
	v_cmpx_ne_u32_e32 0x7f, v1
	s_cbranch_execz .LBB380_57
; %bb.54:                               ;   in Loop: Header=BB380_16 Depth=1
	v_mov_b32_e32 v36, v20
	v_lshrrev_b32_e32 v0, 3, v1
	v_mov_b32_e32 v35, v19
	s_mov_b32 s28, exec_lo
	v_cmpx_gt_u32_e32 8, v1
; %bb.55:                               ;   in Loop: Header=BB380_16 Depth=1
	v_and_b32_e32 v0, 7, v34
	v_ffbh_u32_e32 v0, v0
	v_min_u32_e32 v0, 32, v0
	v_subrev_nc_u32_e32 v1, 28, v0
	v_sub_nc_u32_e32 v0, 29, v0
	v_lshlrev_b64 v[35:36], v1, v[19:20]
; %bb.56:                               ;   in Loop: Header=BB380_16 Depth=1
	s_or_b32 exec_lo, exec_lo, s28
	v_lshlrev_b32_e32 v1, 20, v35
	v_lshlrev_b32_e32 v2, 24, v19
	v_lshl_add_u32 v0, v0, 23, 0x3c000000
	v_and_b32_e32 v1, 0x700000, v1
	v_and_b32_e32 v2, 0x80000000, v2
	v_or3_b32 v60, v1, v2, v0
.LBB380_57:                             ;   in Loop: Header=BB380_16 Depth=1
	s_or_b32 exec_lo, exec_lo, s27
.LBB380_58:                             ;   in Loop: Header=BB380_16 Depth=1
	s_or_b32 exec_lo, exec_lo, s26
.LBB380_59:                             ;   in Loop: Header=BB380_16 Depth=1
	s_or_b32 exec_lo, exec_lo, s25
	v_cmp_ne_u16_sdwa s5, v19, v20 src0_sel:BYTE_1 src1_sel:DWORD
	s_and_saveexec_b32 s25, s5
	s_cbranch_execz .LBB380_67
; %bb.60:                               ;   in Loop: Header=BB380_16 Depth=1
	v_cmp_ne_u16_sdwa s5, v19, v42 src0_sel:BYTE_1 src1_sel:DWORD
	v_bfrev_b32_e32 v59, 1
	s_and_saveexec_b32 s26, s5
	s_cbranch_execz .LBB380_66
; %bb.61:                               ;   in Loop: Header=BB380_16 Depth=1
	v_mov_b32_e32 v0, 0xffff
	v_mov_b32_e32 v59, 0x7f800001
	s_mov_b32 s27, exec_lo
	v_and_b32_sdwa v0, v0, v19 dst_sel:DWORD dst_unused:UNUSED_PAD src0_sel:DWORD src1_sel:BYTE_1
	v_and_b32_e32 v1, 0x7f, v0
	v_cmpx_ne_u32_e32 0x7f, v1
	s_cbranch_execz .LBB380_65
; %bb.62:                               ;   in Loop: Header=BB380_16 Depth=1
	v_and_b32_e32 v35, 7, v0
	v_mov_b32_e32 v36, v20
	v_lshrrev_b32_e32 v0, 3, v1
	s_mov_b32 s28, exec_lo
	v_cmpx_gt_u32_e32 8, v1
; %bb.63:                               ;   in Loop: Header=BB380_16 Depth=1
	v_ffbh_u32_e32 v0, v35
	v_min_u32_e32 v0, 32, v0
	v_subrev_nc_u32_e32 v1, 28, v0
	v_sub_nc_u32_e32 v0, 29, v0
	v_lshlrev_b64 v[1:2], v1, v[35:36]
	v_and_b32_e32 v35, 7, v1
; %bb.64:                               ;   in Loop: Header=BB380_16 Depth=1
	s_or_b32 exec_lo, exec_lo, s28
	v_lshlrev_b32_e32 v1, 16, v19
	v_lshlrev_b32_e32 v2, 20, v35
	v_lshl_add_u32 v0, v0, 23, 0x3c000000
	v_and_b32_e32 v1, 0x80000000, v1
	v_or3_b32 v59, v2, v1, v0
.LBB380_65:                             ;   in Loop: Header=BB380_16 Depth=1
	s_or_b32 exec_lo, exec_lo, s27
.LBB380_66:                             ;   in Loop: Header=BB380_16 Depth=1
	s_or_b32 exec_lo, exec_lo, s26
.LBB380_67:                             ;   in Loop: Header=BB380_16 Depth=1
	s_or_b32 exec_lo, exec_lo, s25
	v_mov_b32_e32 v0, 0xff
	v_mov_b32_e32 v113, 0
	;; [unrolled: 1-line block ×3, first 2 shown]
	s_mov_b32 s25, exec_lo
	v_and_b32_sdwa v0, v34, v0 dst_sel:DWORD dst_unused:UNUSED_PAD src0_sel:WORD_1 src1_sel:DWORD
	buffer_store_dword v1, off, s[0:3], s32 offset:288 ; 4-byte Folded Spill
	v_cmpx_ne_u16_e32 0, v0
	s_cbranch_execz .LBB380_75
; %bb.68:                               ;   in Loop: Header=BB380_16 Depth=1
	v_cmp_ne_u16_e64 s5, 0x80, v0
	v_bfrev_b32_e32 v0, 1
	s_and_saveexec_b32 s26, s5
	s_cbranch_execz .LBB380_74
; %bb.69:                               ;   in Loop: Header=BB380_16 Depth=1
	v_bfe_u32 v1, v34, 16, 7
	v_mov_b32_e32 v0, 0x7f800001
	s_mov_b32 s27, exec_lo
	v_cmpx_ne_u32_e32 0x7f, v1
	s_cbranch_execz .LBB380_73
; %bb.70:                               ;   in Loop: Header=BB380_16 Depth=1
	v_mov_b32_e32 v0, 7
	s_mov_b32 s28, exec_lo
	v_and_b32_sdwa v19, v34, v0 dst_sel:DWORD dst_unused:UNUSED_PAD src0_sel:WORD_1 src1_sel:DWORD
	v_mov_b32_e32 v36, v20
	v_lshrrev_b32_e32 v0, 3, v1
	v_mov_b32_e32 v35, v19
	v_cmpx_gt_u32_e32 8, v1
; %bb.71:                               ;   in Loop: Header=BB380_16 Depth=1
	v_ffbh_u32_e32 v0, v19
	v_min_u32_e32 v0, 32, v0
	v_subrev_nc_u32_e32 v1, 28, v0
	v_sub_nc_u32_e32 v0, 29, v0
	v_lshlrev_b64 v[1:2], v1, v[19:20]
	v_and_b32_e32 v35, 7, v1
; %bb.72:                               ;   in Loop: Header=BB380_16 Depth=1
	s_or_b32 exec_lo, exec_lo, s28
	v_mov_b32_e32 v1, 24
	v_lshlrev_b32_e32 v2, 20, v35
	v_lshl_add_u32 v0, v0, 23, 0x3c000000
	v_lshlrev_b32_sdwa v1, v1, v34 dst_sel:DWORD dst_unused:UNUSED_PAD src0_sel:DWORD src1_sel:WORD_1
	v_and_b32_e32 v1, 0x80000000, v1
	v_or3_b32 v0, v2, v1, v0
.LBB380_73:                             ;   in Loop: Header=BB380_16 Depth=1
	s_or_b32 exec_lo, exec_lo, s27
.LBB380_74:                             ;   in Loop: Header=BB380_16 Depth=1
	s_or_b32 exec_lo, exec_lo, s26
	buffer_store_dword v0, off, s[0:3], s32 offset:288 ; 4-byte Folded Spill
.LBB380_75:                             ;   in Loop: Header=BB380_16 Depth=1
	s_or_b32 exec_lo, exec_lo, s25
	s_mov_b32 s25, exec_lo
	v_cmpx_lt_u64_e64 s[20:21], v[33:34]
	s_cbranch_execz .LBB380_83
; %bb.76:                               ;   in Loop: Header=BB380_16 Depth=1
	v_cmp_ne_u32_sdwa s5, v34, v42 src0_sel:BYTE_3 src1_sel:DWORD
	v_bfrev_b32_e32 v113, 1
	s_and_saveexec_b32 s26, s5
	s_cbranch_execz .LBB380_82
; %bb.77:                               ;   in Loop: Header=BB380_16 Depth=1
	v_bfe_u32 v1, v34, 24, 7
	v_mov_b32_e32 v113, 0x7f800001
	s_mov_b32 s27, exec_lo
	v_cmpx_ne_u32_e32 0x7f, v1
	s_cbranch_execz .LBB380_81
; %bb.78:                               ;   in Loop: Header=BB380_16 Depth=1
	v_mov_b32_e32 v0, 7
	s_mov_b32 s28, exec_lo
	v_and_b32_sdwa v19, v34, v0 dst_sel:DWORD dst_unused:UNUSED_PAD src0_sel:BYTE_3 src1_sel:DWORD
	v_mov_b32_e32 v36, v20
	v_lshrrev_b32_e32 v0, 3, v1
	v_mov_b32_e32 v35, v19
	v_cmpx_gt_u32_e32 8, v1
; %bb.79:                               ;   in Loop: Header=BB380_16 Depth=1
	v_ffbh_u32_e32 v0, v19
	v_min_u32_e32 v0, 32, v0
	v_subrev_nc_u32_e32 v1, 28, v0
	v_sub_nc_u32_e32 v0, 29, v0
	v_lshlrev_b64 v[1:2], v1, v[19:20]
	v_and_b32_e32 v35, 7, v1
; %bb.80:                               ;   in Loop: Header=BB380_16 Depth=1
	s_or_b32 exec_lo, exec_lo, s28
	v_mov_b32_e32 v1, 24
	v_lshlrev_b32_e32 v2, 20, v35
	v_lshl_add_u32 v0, v0, 23, 0x3c000000
	v_lshlrev_b32_sdwa v1, v1, v34 dst_sel:DWORD dst_unused:UNUSED_PAD src0_sel:DWORD src1_sel:BYTE_3
	v_and_b32_e32 v1, 0x80000000, v1
	v_or3_b32 v113, v2, v1, v0
.LBB380_81:                             ;   in Loop: Header=BB380_16 Depth=1
	s_or_b32 exec_lo, exec_lo, s27
.LBB380_82:                             ;   in Loop: Header=BB380_16 Depth=1
	s_or_b32 exec_lo, exec_lo, s26
.LBB380_83:                             ;   in Loop: Header=BB380_16 Depth=1
	s_or_b32 exec_lo, exec_lo, s25
	flat_load_dwordx2 v[33:34], v[31:32] offset:8
	v_mov_b32_e32 v0, 0
	buffer_store_dword v0, off, s[0:3], s32 offset:244 ; 4-byte Folded Spill
	v_mov_b32_e32 v0, 0
	buffer_store_dword v0, off, s[0:3], s32 offset:240 ; 4-byte Folded Spill
	s_waitcnt vmcnt(0) lgkmcnt(0)
	v_cmp_ne_u16_sdwa s5, v33, v20 src0_sel:BYTE_0 src1_sel:DWORD
	s_and_saveexec_b32 s25, s5
	s_cbranch_execz .LBB380_91
; %bb.84:                               ;   in Loop: Header=BB380_16 Depth=1
	v_cmp_ne_u16_sdwa s5, v33, v42 src0_sel:BYTE_0 src1_sel:DWORD
	v_bfrev_b32_e32 v0, 1
	buffer_store_dword v0, off, s[0:3], s32 offset:240 ; 4-byte Folded Spill
	s_and_saveexec_b32 s26, s5
	s_cbranch_execz .LBB380_90
; %bb.85:                               ;   in Loop: Header=BB380_16 Depth=1
	v_and_b32_e32 v1, 0x7f, v33
	v_mov_b32_e32 v0, 0x7f800001
	s_mov_b32 s27, exec_lo
	buffer_store_dword v0, off, s[0:3], s32 offset:240 ; 4-byte Folded Spill
	v_cmpx_ne_u32_e32 0x7f, v1
	s_cbranch_execz .LBB380_89
; %bb.86:                               ;   in Loop: Header=BB380_16 Depth=1
	v_mov_b32_e32 v36, v34
	v_lshrrev_b32_e32 v0, 3, v1
	v_mov_b32_e32 v35, v33
	s_mov_b32 s28, exec_lo
	v_cmpx_gt_u32_e32 8, v1
; %bb.87:                               ;   in Loop: Header=BB380_16 Depth=1
	v_and_b32_e32 v0, 7, v33
	v_ffbh_u32_e32 v0, v0
	v_min_u32_e32 v0, 32, v0
	v_subrev_nc_u32_e32 v1, 28, v0
	v_sub_nc_u32_e32 v0, 29, v0
	v_lshlrev_b64 v[35:36], v1, v[33:34]
; %bb.88:                               ;   in Loop: Header=BB380_16 Depth=1
	s_or_b32 exec_lo, exec_lo, s28
	v_lshlrev_b32_e32 v1, 20, v35
	v_lshlrev_b32_e32 v2, 24, v33
	v_lshl_add_u32 v0, v0, 23, 0x3c000000
	v_and_b32_e32 v1, 0x700000, v1
	v_and_b32_e32 v2, 0x80000000, v2
	v_or3_b32 v0, v1, v2, v0
	buffer_store_dword v0, off, s[0:3], s32 offset:240 ; 4-byte Folded Spill
.LBB380_89:                             ;   in Loop: Header=BB380_16 Depth=1
	s_or_b32 exec_lo, exec_lo, s27
.LBB380_90:                             ;   in Loop: Header=BB380_16 Depth=1
	s_or_b32 exec_lo, exec_lo, s26
.LBB380_91:                             ;   in Loop: Header=BB380_16 Depth=1
	s_or_b32 exec_lo, exec_lo, s25
	v_cmp_ne_u16_sdwa s5, v33, v20 src0_sel:BYTE_1 src1_sel:DWORD
	s_and_saveexec_b32 s25, s5
	s_cbranch_execz .LBB380_99
; %bb.92:                               ;   in Loop: Header=BB380_16 Depth=1
	v_cmp_ne_u16_sdwa s5, v33, v42 src0_sel:BYTE_1 src1_sel:DWORD
	v_bfrev_b32_e32 v0, 1
	buffer_store_dword v0, off, s[0:3], s32 offset:244 ; 4-byte Folded Spill
	s_and_saveexec_b32 s26, s5
	s_cbranch_execz .LBB380_98
; %bb.93:                               ;   in Loop: Header=BB380_16 Depth=1
	v_mov_b32_e32 v0, 0xffff
	v_mov_b32_e32 v2, 0x7f800001
	s_mov_b32 s27, exec_lo
	v_and_b32_sdwa v0, v0, v33 dst_sel:DWORD dst_unused:UNUSED_PAD src0_sel:DWORD src1_sel:BYTE_1
	buffer_store_dword v2, off, s[0:3], s32 offset:244 ; 4-byte Folded Spill
	v_and_b32_e32 v1, 0x7f, v0
	v_cmpx_ne_u32_e32 0x7f, v1
	s_cbranch_execz .LBB380_97
; %bb.94:                               ;   in Loop: Header=BB380_16 Depth=1
	v_and_b32_e32 v19, 7, v0
	v_mov_b32_e32 v36, v20
	v_lshrrev_b32_e32 v0, 3, v1
	s_mov_b32 s28, exec_lo
	v_mov_b32_e32 v35, v19
	v_cmpx_gt_u32_e32 8, v1
; %bb.95:                               ;   in Loop: Header=BB380_16 Depth=1
	v_ffbh_u32_e32 v0, v19
	v_min_u32_e32 v0, 32, v0
	v_subrev_nc_u32_e32 v1, 28, v0
	v_sub_nc_u32_e32 v0, 29, v0
	v_lshlrev_b64 v[1:2], v1, v[19:20]
	v_and_b32_e32 v35, 7, v1
; %bb.96:                               ;   in Loop: Header=BB380_16 Depth=1
	s_or_b32 exec_lo, exec_lo, s28
	v_lshlrev_b32_e32 v1, 16, v33
	v_lshlrev_b32_e32 v2, 20, v35
	v_lshl_add_u32 v0, v0, 23, 0x3c000000
	v_and_b32_e32 v1, 0x80000000, v1
	v_or3_b32 v0, v2, v1, v0
	buffer_store_dword v0, off, s[0:3], s32 offset:244 ; 4-byte Folded Spill
.LBB380_97:                             ;   in Loop: Header=BB380_16 Depth=1
	s_or_b32 exec_lo, exec_lo, s27
.LBB380_98:                             ;   in Loop: Header=BB380_16 Depth=1
	s_or_b32 exec_lo, exec_lo, s26
.LBB380_99:                             ;   in Loop: Header=BB380_16 Depth=1
	s_or_b32 exec_lo, exec_lo, s25
	v_mov_b32_e32 v0, 0xff
	v_mov_b32_e32 v1, 0
	s_mov_b32 s25, exec_lo
	v_and_b32_sdwa v0, v33, v0 dst_sel:DWORD dst_unused:UNUSED_PAD src0_sel:WORD_1 src1_sel:DWORD
	buffer_store_dword v1, off, s[0:3], s32 offset:248 ; 4-byte Folded Spill
	v_mov_b32_e32 v1, 0
	buffer_store_dword v1, off, s[0:3], s32 offset:292 ; 4-byte Folded Spill
	v_cmpx_ne_u16_e32 0, v0
	s_cbranch_execz .LBB380_107
; %bb.100:                              ;   in Loop: Header=BB380_16 Depth=1
	v_cmp_ne_u16_e64 s5, 0x80, v0
	v_bfrev_b32_e32 v0, 1
	s_and_saveexec_b32 s26, s5
	s_cbranch_execz .LBB380_106
; %bb.101:                              ;   in Loop: Header=BB380_16 Depth=1
	v_bfe_u32 v1, v33, 16, 7
	v_mov_b32_e32 v0, 0x7f800001
	s_mov_b32 s27, exec_lo
	v_cmpx_ne_u32_e32 0x7f, v1
	s_cbranch_execz .LBB380_105
; %bb.102:                              ;   in Loop: Header=BB380_16 Depth=1
	v_mov_b32_e32 v0, 7
	s_mov_b32 s28, exec_lo
	v_and_b32_sdwa v19, v33, v0 dst_sel:DWORD dst_unused:UNUSED_PAD src0_sel:WORD_1 src1_sel:DWORD
	v_mov_b32_e32 v36, v20
	v_lshrrev_b32_e32 v0, 3, v1
	v_mov_b32_e32 v35, v19
	v_cmpx_gt_u32_e32 8, v1
; %bb.103:                              ;   in Loop: Header=BB380_16 Depth=1
	v_ffbh_u32_e32 v0, v19
	v_min_u32_e32 v0, 32, v0
	v_subrev_nc_u32_e32 v1, 28, v0
	v_sub_nc_u32_e32 v0, 29, v0
	v_lshlrev_b64 v[1:2], v1, v[19:20]
	v_and_b32_e32 v35, 7, v1
; %bb.104:                              ;   in Loop: Header=BB380_16 Depth=1
	s_or_b32 exec_lo, exec_lo, s28
	v_mov_b32_e32 v1, 24
	v_lshlrev_b32_e32 v2, 20, v35
	v_lshl_add_u32 v0, v0, 23, 0x3c000000
	v_lshlrev_b32_sdwa v1, v1, v33 dst_sel:DWORD dst_unused:UNUSED_PAD src0_sel:DWORD src1_sel:WORD_1
	v_and_b32_e32 v1, 0x80000000, v1
	v_or3_b32 v0, v2, v1, v0
.LBB380_105:                            ;   in Loop: Header=BB380_16 Depth=1
	s_or_b32 exec_lo, exec_lo, s27
.LBB380_106:                            ;   in Loop: Header=BB380_16 Depth=1
	s_or_b32 exec_lo, exec_lo, s26
	buffer_store_dword v0, off, s[0:3], s32 offset:292 ; 4-byte Folded Spill
.LBB380_107:                            ;   in Loop: Header=BB380_16 Depth=1
	s_or_b32 exec_lo, exec_lo, s25
	s_mov_b32 s25, exec_lo
	v_cmpx_lt_u32_e32 0xffffff, v33
	s_cbranch_execz .LBB380_115
; %bb.108:                              ;   in Loop: Header=BB380_16 Depth=1
	v_cmp_ne_u32_sdwa s5, v33, v42 src0_sel:BYTE_3 src1_sel:DWORD
	v_bfrev_b32_e32 v0, 1
	buffer_store_dword v0, off, s[0:3], s32 offset:248 ; 4-byte Folded Spill
	s_and_saveexec_b32 s26, s5
	s_cbranch_execz .LBB380_114
; %bb.109:                              ;   in Loop: Header=BB380_16 Depth=1
	v_bfe_u32 v1, v33, 24, 7
	v_mov_b32_e32 v0, 0x7f800001
	s_mov_b32 s27, exec_lo
	buffer_store_dword v0, off, s[0:3], s32 offset:248 ; 4-byte Folded Spill
	v_cmpx_ne_u32_e32 0x7f, v1
	s_cbranch_execz .LBB380_113
; %bb.110:                              ;   in Loop: Header=BB380_16 Depth=1
	v_mov_b32_e32 v0, 7
	s_mov_b32 s28, exec_lo
	v_and_b32_sdwa v19, v33, v0 dst_sel:DWORD dst_unused:UNUSED_PAD src0_sel:BYTE_3 src1_sel:DWORD
	v_mov_b32_e32 v36, v20
	v_lshrrev_b32_e32 v0, 3, v1
	v_mov_b32_e32 v35, v19
	v_cmpx_gt_u32_e32 8, v1
; %bb.111:                              ;   in Loop: Header=BB380_16 Depth=1
	v_ffbh_u32_e32 v0, v19
	v_min_u32_e32 v0, 32, v0
	v_subrev_nc_u32_e32 v1, 28, v0
	v_sub_nc_u32_e32 v0, 29, v0
	v_lshlrev_b64 v[1:2], v1, v[19:20]
	v_and_b32_e32 v35, 7, v1
; %bb.112:                              ;   in Loop: Header=BB380_16 Depth=1
	s_or_b32 exec_lo, exec_lo, s28
	v_mov_b32_e32 v1, 24
	v_lshlrev_b32_e32 v2, 20, v35
	v_lshl_add_u32 v0, v0, 23, 0x3c000000
	v_lshlrev_b32_sdwa v1, v1, v33 dst_sel:DWORD dst_unused:UNUSED_PAD src0_sel:DWORD src1_sel:BYTE_3
	v_and_b32_e32 v1, 0x80000000, v1
	v_or3_b32 v0, v2, v1, v0
	buffer_store_dword v0, off, s[0:3], s32 offset:248 ; 4-byte Folded Spill
.LBB380_113:                            ;   in Loop: Header=BB380_16 Depth=1
	s_or_b32 exec_lo, exec_lo, s27
.LBB380_114:                            ;   in Loop: Header=BB380_16 Depth=1
	s_or_b32 exec_lo, exec_lo, s26
.LBB380_115:                            ;   in Loop: Header=BB380_16 Depth=1
	s_or_b32 exec_lo, exec_lo, s25
	v_mov_b32_e32 v0, 0
	v_mov_b32_e32 v19, v34
	v_cmp_ne_u16_sdwa s5, v34, v20 src0_sel:BYTE_0 src1_sel:DWORD
	buffer_store_dword v0, off, s[0:3], s32 offset:256 ; 4-byte Folded Spill
	v_mov_b32_e32 v0, 0
	buffer_store_dword v0, off, s[0:3], s32 offset:252 ; 4-byte Folded Spill
	s_and_saveexec_b32 s25, s5
	s_cbranch_execz .LBB380_123
; %bb.116:                              ;   in Loop: Header=BB380_16 Depth=1
	v_cmp_ne_u16_sdwa s5, v34, v42 src0_sel:BYTE_0 src1_sel:DWORD
	v_bfrev_b32_e32 v0, 1
	buffer_store_dword v0, off, s[0:3], s32 offset:252 ; 4-byte Folded Spill
	s_and_saveexec_b32 s26, s5
	s_cbranch_execz .LBB380_122
; %bb.117:                              ;   in Loop: Header=BB380_16 Depth=1
	v_and_b32_e32 v1, 0x7f, v34
	v_mov_b32_e32 v0, 0x7f800001
	s_mov_b32 s27, exec_lo
	buffer_store_dword v0, off, s[0:3], s32 offset:252 ; 4-byte Folded Spill
	v_cmpx_ne_u32_e32 0x7f, v1
	s_cbranch_execz .LBB380_121
; %bb.118:                              ;   in Loop: Header=BB380_16 Depth=1
	v_mov_b32_e32 v36, v20
	v_lshrrev_b32_e32 v0, 3, v1
	v_mov_b32_e32 v35, v19
	s_mov_b32 s28, exec_lo
	v_cmpx_gt_u32_e32 8, v1
; %bb.119:                              ;   in Loop: Header=BB380_16 Depth=1
	v_and_b32_e32 v0, 7, v34
	v_ffbh_u32_e32 v0, v0
	v_min_u32_e32 v0, 32, v0
	v_subrev_nc_u32_e32 v1, 28, v0
	v_sub_nc_u32_e32 v0, 29, v0
	v_lshlrev_b64 v[35:36], v1, v[19:20]
; %bb.120:                              ;   in Loop: Header=BB380_16 Depth=1
	s_or_b32 exec_lo, exec_lo, s28
	v_lshlrev_b32_e32 v1, 20, v35
	v_lshlrev_b32_e32 v2, 24, v19
	v_lshl_add_u32 v0, v0, 23, 0x3c000000
	v_and_b32_e32 v1, 0x700000, v1
	v_and_b32_e32 v2, 0x80000000, v2
	v_or3_b32 v0, v1, v2, v0
	buffer_store_dword v0, off, s[0:3], s32 offset:252 ; 4-byte Folded Spill
.LBB380_121:                            ;   in Loop: Header=BB380_16 Depth=1
	s_or_b32 exec_lo, exec_lo, s27
.LBB380_122:                            ;   in Loop: Header=BB380_16 Depth=1
	s_or_b32 exec_lo, exec_lo, s26
.LBB380_123:                            ;   in Loop: Header=BB380_16 Depth=1
	s_or_b32 exec_lo, exec_lo, s25
	v_cmp_ne_u16_sdwa s5, v19, v20 src0_sel:BYTE_1 src1_sel:DWORD
	s_and_saveexec_b32 s25, s5
	s_cbranch_execz .LBB380_131
; %bb.124:                              ;   in Loop: Header=BB380_16 Depth=1
	v_cmp_ne_u16_sdwa s5, v19, v42 src0_sel:BYTE_1 src1_sel:DWORD
	v_bfrev_b32_e32 v0, 1
	buffer_store_dword v0, off, s[0:3], s32 offset:256 ; 4-byte Folded Spill
	s_and_saveexec_b32 s26, s5
	s_cbranch_execz .LBB380_130
; %bb.125:                              ;   in Loop: Header=BB380_16 Depth=1
	v_mov_b32_e32 v0, 0xffff
	v_mov_b32_e32 v2, 0x7f800001
	s_mov_b32 s27, exec_lo
	v_and_b32_sdwa v0, v0, v19 dst_sel:DWORD dst_unused:UNUSED_PAD src0_sel:DWORD src1_sel:BYTE_1
	buffer_store_dword v2, off, s[0:3], s32 offset:256 ; 4-byte Folded Spill
	v_and_b32_e32 v1, 0x7f, v0
	v_cmpx_ne_u32_e32 0x7f, v1
	s_cbranch_execz .LBB380_129
; %bb.126:                              ;   in Loop: Header=BB380_16 Depth=1
	v_and_b32_e32 v35, 7, v0
	v_mov_b32_e32 v36, v20
	v_lshrrev_b32_e32 v0, 3, v1
	s_mov_b32 s28, exec_lo
	v_cmpx_gt_u32_e32 8, v1
; %bb.127:                              ;   in Loop: Header=BB380_16 Depth=1
	v_ffbh_u32_e32 v0, v35
	v_min_u32_e32 v0, 32, v0
	v_subrev_nc_u32_e32 v1, 28, v0
	v_sub_nc_u32_e32 v0, 29, v0
	v_lshlrev_b64 v[1:2], v1, v[35:36]
	v_and_b32_e32 v35, 7, v1
; %bb.128:                              ;   in Loop: Header=BB380_16 Depth=1
	s_or_b32 exec_lo, exec_lo, s28
	v_lshlrev_b32_e32 v1, 16, v19
	v_lshlrev_b32_e32 v2, 20, v35
	v_lshl_add_u32 v0, v0, 23, 0x3c000000
	v_and_b32_e32 v1, 0x80000000, v1
	v_or3_b32 v0, v2, v1, v0
	buffer_store_dword v0, off, s[0:3], s32 offset:256 ; 4-byte Folded Spill
.LBB380_129:                            ;   in Loop: Header=BB380_16 Depth=1
	s_or_b32 exec_lo, exec_lo, s27
.LBB380_130:                            ;   in Loop: Header=BB380_16 Depth=1
	s_or_b32 exec_lo, exec_lo, s26
.LBB380_131:                            ;   in Loop: Header=BB380_16 Depth=1
	s_or_b32 exec_lo, exec_lo, s25
	v_mov_b32_e32 v0, 0xff
	v_mov_b32_e32 v1, 0
	s_mov_b32 s25, exec_lo
	v_and_b32_sdwa v0, v34, v0 dst_sel:DWORD dst_unused:UNUSED_PAD src0_sel:WORD_1 src1_sel:DWORD
	buffer_store_dword v1, off, s[0:3], s32 offset:260 ; 4-byte Folded Spill
	v_mov_b32_e32 v1, 0
	buffer_store_dword v1, off, s[0:3], s32 offset:296 ; 4-byte Folded Spill
	v_cmpx_ne_u16_e32 0, v0
	s_cbranch_execz .LBB380_139
; %bb.132:                              ;   in Loop: Header=BB380_16 Depth=1
	v_cmp_ne_u16_e64 s5, 0x80, v0
	v_bfrev_b32_e32 v0, 1
	s_and_saveexec_b32 s26, s5
	s_cbranch_execz .LBB380_138
; %bb.133:                              ;   in Loop: Header=BB380_16 Depth=1
	v_bfe_u32 v1, v34, 16, 7
	v_mov_b32_e32 v0, 0x7f800001
	s_mov_b32 s27, exec_lo
	v_cmpx_ne_u32_e32 0x7f, v1
	s_cbranch_execz .LBB380_137
; %bb.134:                              ;   in Loop: Header=BB380_16 Depth=1
	v_mov_b32_e32 v0, 7
	s_mov_b32 s28, exec_lo
	v_and_b32_sdwa v19, v34, v0 dst_sel:DWORD dst_unused:UNUSED_PAD src0_sel:WORD_1 src1_sel:DWORD
	v_mov_b32_e32 v36, v20
	v_lshrrev_b32_e32 v0, 3, v1
	v_mov_b32_e32 v35, v19
	v_cmpx_gt_u32_e32 8, v1
; %bb.135:                              ;   in Loop: Header=BB380_16 Depth=1
	v_ffbh_u32_e32 v0, v19
	v_min_u32_e32 v0, 32, v0
	v_subrev_nc_u32_e32 v1, 28, v0
	v_sub_nc_u32_e32 v0, 29, v0
	v_lshlrev_b64 v[1:2], v1, v[19:20]
	v_and_b32_e32 v35, 7, v1
; %bb.136:                              ;   in Loop: Header=BB380_16 Depth=1
	s_or_b32 exec_lo, exec_lo, s28
	v_mov_b32_e32 v1, 24
	v_lshlrev_b32_e32 v2, 20, v35
	v_lshl_add_u32 v0, v0, 23, 0x3c000000
	v_lshlrev_b32_sdwa v1, v1, v34 dst_sel:DWORD dst_unused:UNUSED_PAD src0_sel:DWORD src1_sel:WORD_1
	v_and_b32_e32 v1, 0x80000000, v1
	v_or3_b32 v0, v2, v1, v0
.LBB380_137:                            ;   in Loop: Header=BB380_16 Depth=1
	s_or_b32 exec_lo, exec_lo, s27
.LBB380_138:                            ;   in Loop: Header=BB380_16 Depth=1
	s_or_b32 exec_lo, exec_lo, s26
	buffer_store_dword v0, off, s[0:3], s32 offset:296 ; 4-byte Folded Spill
.LBB380_139:                            ;   in Loop: Header=BB380_16 Depth=1
	s_or_b32 exec_lo, exec_lo, s25
	s_mov_b32 s25, exec_lo
	v_cmpx_lt_u64_e64 s[20:21], v[33:34]
	s_cbranch_execz .LBB380_147
; %bb.140:                              ;   in Loop: Header=BB380_16 Depth=1
	v_cmp_ne_u32_sdwa s5, v34, v42 src0_sel:BYTE_3 src1_sel:DWORD
	v_bfrev_b32_e32 v0, 1
	buffer_store_dword v0, off, s[0:3], s32 offset:260 ; 4-byte Folded Spill
	s_and_saveexec_b32 s26, s5
	s_cbranch_execz .LBB380_146
; %bb.141:                              ;   in Loop: Header=BB380_16 Depth=1
	v_bfe_u32 v1, v34, 24, 7
	v_mov_b32_e32 v0, 0x7f800001
	s_mov_b32 s27, exec_lo
	buffer_store_dword v0, off, s[0:3], s32 offset:260 ; 4-byte Folded Spill
	v_cmpx_ne_u32_e32 0x7f, v1
	s_cbranch_execz .LBB380_145
; %bb.142:                              ;   in Loop: Header=BB380_16 Depth=1
	v_mov_b32_e32 v0, 7
	s_mov_b32 s28, exec_lo
	v_and_b32_sdwa v19, v34, v0 dst_sel:DWORD dst_unused:UNUSED_PAD src0_sel:BYTE_3 src1_sel:DWORD
	v_mov_b32_e32 v36, v20
	v_lshrrev_b32_e32 v0, 3, v1
	v_mov_b32_e32 v35, v19
	v_cmpx_gt_u32_e32 8, v1
; %bb.143:                              ;   in Loop: Header=BB380_16 Depth=1
	v_ffbh_u32_e32 v0, v19
	v_min_u32_e32 v0, 32, v0
	v_subrev_nc_u32_e32 v1, 28, v0
	v_sub_nc_u32_e32 v0, 29, v0
	v_lshlrev_b64 v[1:2], v1, v[19:20]
	v_and_b32_e32 v35, 7, v1
; %bb.144:                              ;   in Loop: Header=BB380_16 Depth=1
	s_or_b32 exec_lo, exec_lo, s28
	v_mov_b32_e32 v1, 24
	v_lshlrev_b32_e32 v2, 20, v35
	v_lshl_add_u32 v0, v0, 23, 0x3c000000
	v_lshlrev_b32_sdwa v1, v1, v34 dst_sel:DWORD dst_unused:UNUSED_PAD src0_sel:DWORD src1_sel:BYTE_3
	v_and_b32_e32 v1, 0x80000000, v1
	v_or3_b32 v0, v2, v1, v0
	buffer_store_dword v0, off, s[0:3], s32 offset:260 ; 4-byte Folded Spill
.LBB380_145:                            ;   in Loop: Header=BB380_16 Depth=1
	s_or_b32 exec_lo, exec_lo, s27
.LBB380_146:                            ;   in Loop: Header=BB380_16 Depth=1
	s_or_b32 exec_lo, exec_lo, s26
.LBB380_147:                            ;   in Loop: Header=BB380_16 Depth=1
	s_or_b32 exec_lo, exec_lo, s25
	flat_load_dwordx2 v[33:34], v[31:32] offset:512
	v_mov_b32_e32 v0, 0
	buffer_store_dword v0, off, s[0:3], s32 offset:268 ; 4-byte Folded Spill
	v_mov_b32_e32 v0, 0
	buffer_store_dword v0, off, s[0:3], s32 offset:264 ; 4-byte Folded Spill
	s_waitcnt vmcnt(0) lgkmcnt(0)
	v_cmp_ne_u16_sdwa s5, v33, v20 src0_sel:BYTE_0 src1_sel:DWORD
	s_and_saveexec_b32 s25, s5
	s_cbranch_execz .LBB380_155
; %bb.148:                              ;   in Loop: Header=BB380_16 Depth=1
	v_cmp_ne_u16_sdwa s5, v33, v42 src0_sel:BYTE_0 src1_sel:DWORD
	v_bfrev_b32_e32 v0, 1
	buffer_store_dword v0, off, s[0:3], s32 offset:264 ; 4-byte Folded Spill
	s_and_saveexec_b32 s26, s5
	s_cbranch_execz .LBB380_154
; %bb.149:                              ;   in Loop: Header=BB380_16 Depth=1
	v_and_b32_e32 v1, 0x7f, v33
	v_mov_b32_e32 v0, 0x7f800001
	s_mov_b32 s27, exec_lo
	buffer_store_dword v0, off, s[0:3], s32 offset:264 ; 4-byte Folded Spill
	v_cmpx_ne_u32_e32 0x7f, v1
	s_cbranch_execz .LBB380_153
; %bb.150:                              ;   in Loop: Header=BB380_16 Depth=1
	v_mov_b32_e32 v36, v34
	v_lshrrev_b32_e32 v0, 3, v1
	v_mov_b32_e32 v35, v33
	s_mov_b32 s28, exec_lo
	v_cmpx_gt_u32_e32 8, v1
; %bb.151:                              ;   in Loop: Header=BB380_16 Depth=1
	v_and_b32_e32 v0, 7, v33
	v_ffbh_u32_e32 v0, v0
	v_min_u32_e32 v0, 32, v0
	v_subrev_nc_u32_e32 v1, 28, v0
	v_sub_nc_u32_e32 v0, 29, v0
	v_lshlrev_b64 v[35:36], v1, v[33:34]
; %bb.152:                              ;   in Loop: Header=BB380_16 Depth=1
	s_or_b32 exec_lo, exec_lo, s28
	v_lshlrev_b32_e32 v1, 20, v35
	v_lshlrev_b32_e32 v2, 24, v33
	v_lshl_add_u32 v0, v0, 23, 0x3c000000
	v_and_b32_e32 v1, 0x700000, v1
	v_and_b32_e32 v2, 0x80000000, v2
	v_or3_b32 v0, v1, v2, v0
	buffer_store_dword v0, off, s[0:3], s32 offset:264 ; 4-byte Folded Spill
.LBB380_153:                            ;   in Loop: Header=BB380_16 Depth=1
	s_or_b32 exec_lo, exec_lo, s27
.LBB380_154:                            ;   in Loop: Header=BB380_16 Depth=1
	s_or_b32 exec_lo, exec_lo, s26
.LBB380_155:                            ;   in Loop: Header=BB380_16 Depth=1
	s_or_b32 exec_lo, exec_lo, s25
	v_cmp_ne_u16_sdwa s5, v33, v20 src0_sel:BYTE_1 src1_sel:DWORD
	s_and_saveexec_b32 s25, s5
	s_cbranch_execz .LBB380_163
; %bb.156:                              ;   in Loop: Header=BB380_16 Depth=1
	v_cmp_ne_u16_sdwa s5, v33, v42 src0_sel:BYTE_1 src1_sel:DWORD
	v_bfrev_b32_e32 v0, 1
	buffer_store_dword v0, off, s[0:3], s32 offset:268 ; 4-byte Folded Spill
	s_and_saveexec_b32 s26, s5
	s_cbranch_execz .LBB380_162
; %bb.157:                              ;   in Loop: Header=BB380_16 Depth=1
	v_mov_b32_e32 v0, 0xffff
	v_mov_b32_e32 v2, 0x7f800001
	s_mov_b32 s27, exec_lo
	v_and_b32_sdwa v0, v0, v33 dst_sel:DWORD dst_unused:UNUSED_PAD src0_sel:DWORD src1_sel:BYTE_1
	buffer_store_dword v2, off, s[0:3], s32 offset:268 ; 4-byte Folded Spill
	v_and_b32_e32 v1, 0x7f, v0
	v_cmpx_ne_u32_e32 0x7f, v1
	s_cbranch_execz .LBB380_161
; %bb.158:                              ;   in Loop: Header=BB380_16 Depth=1
	v_and_b32_e32 v19, 7, v0
	v_mov_b32_e32 v36, v20
	v_lshrrev_b32_e32 v0, 3, v1
	s_mov_b32 s28, exec_lo
	v_mov_b32_e32 v35, v19
	v_cmpx_gt_u32_e32 8, v1
; %bb.159:                              ;   in Loop: Header=BB380_16 Depth=1
	v_ffbh_u32_e32 v0, v19
	v_min_u32_e32 v0, 32, v0
	v_subrev_nc_u32_e32 v1, 28, v0
	v_sub_nc_u32_e32 v0, 29, v0
	v_lshlrev_b64 v[1:2], v1, v[19:20]
	v_and_b32_e32 v35, 7, v1
; %bb.160:                              ;   in Loop: Header=BB380_16 Depth=1
	s_or_b32 exec_lo, exec_lo, s28
	v_lshlrev_b32_e32 v1, 16, v33
	v_lshlrev_b32_e32 v2, 20, v35
	v_lshl_add_u32 v0, v0, 23, 0x3c000000
	v_and_b32_e32 v1, 0x80000000, v1
	v_or3_b32 v0, v2, v1, v0
	buffer_store_dword v0, off, s[0:3], s32 offset:268 ; 4-byte Folded Spill
.LBB380_161:                            ;   in Loop: Header=BB380_16 Depth=1
	s_or_b32 exec_lo, exec_lo, s27
.LBB380_162:                            ;   in Loop: Header=BB380_16 Depth=1
	s_or_b32 exec_lo, exec_lo, s26
.LBB380_163:                            ;   in Loop: Header=BB380_16 Depth=1
	s_or_b32 exec_lo, exec_lo, s25
	v_mov_b32_e32 v0, 0xff
	v_mov_b32_e32 v1, 0
	;; [unrolled: 1-line block ×3, first 2 shown]
	s_mov_b32 s25, exec_lo
	v_and_b32_sdwa v0, v33, v0 dst_sel:DWORD dst_unused:UNUSED_PAD src0_sel:WORD_1 src1_sel:DWORD
	buffer_store_dword v1, off, s[0:3], s32 offset:272 ; 4-byte Folded Spill
	v_cmpx_ne_u16_e32 0, v0
	s_cbranch_execz .LBB380_171
; %bb.164:                              ;   in Loop: Header=BB380_16 Depth=1
	v_bfrev_b32_e32 v62, 1
	s_mov_b32 s26, exec_lo
	v_cmpx_ne_u16_e32 0x80, v0
	s_cbranch_execz .LBB380_170
; %bb.165:                              ;   in Loop: Header=BB380_16 Depth=1
	v_bfe_u32 v1, v33, 16, 7
	v_mov_b32_e32 v62, 0x7f800001
	s_mov_b32 s27, exec_lo
	v_cmpx_ne_u32_e32 0x7f, v1
	s_cbranch_execz .LBB380_169
; %bb.166:                              ;   in Loop: Header=BB380_16 Depth=1
	v_mov_b32_e32 v0, 7
	s_mov_b32 s28, exec_lo
	v_and_b32_sdwa v19, v33, v0 dst_sel:DWORD dst_unused:UNUSED_PAD src0_sel:WORD_1 src1_sel:DWORD
	v_mov_b32_e32 v36, v20
	v_lshrrev_b32_e32 v0, 3, v1
	v_mov_b32_e32 v35, v19
	v_cmpx_gt_u32_e32 8, v1
; %bb.167:                              ;   in Loop: Header=BB380_16 Depth=1
	v_ffbh_u32_e32 v0, v19
	v_min_u32_e32 v0, 32, v0
	v_subrev_nc_u32_e32 v1, 28, v0
	v_sub_nc_u32_e32 v0, 29, v0
	v_lshlrev_b64 v[1:2], v1, v[19:20]
	v_and_b32_e32 v35, 7, v1
; %bb.168:                              ;   in Loop: Header=BB380_16 Depth=1
	s_or_b32 exec_lo, exec_lo, s28
	v_mov_b32_e32 v1, 24
	v_lshlrev_b32_e32 v2, 20, v35
	v_lshl_add_u32 v0, v0, 23, 0x3c000000
	v_lshlrev_b32_sdwa v1, v1, v33 dst_sel:DWORD dst_unused:UNUSED_PAD src0_sel:DWORD src1_sel:WORD_1
	v_and_b32_e32 v1, 0x80000000, v1
	v_or3_b32 v62, v2, v1, v0
.LBB380_169:                            ;   in Loop: Header=BB380_16 Depth=1
	s_or_b32 exec_lo, exec_lo, s27
.LBB380_170:                            ;   in Loop: Header=BB380_16 Depth=1
	s_or_b32 exec_lo, exec_lo, s26
.LBB380_171:                            ;   in Loop: Header=BB380_16 Depth=1
	s_or_b32 exec_lo, exec_lo, s25
	s_mov_b32 s25, exec_lo
	v_cmpx_lt_u32_e32 0xffffff, v33
	s_cbranch_execz .LBB380_179
; %bb.172:                              ;   in Loop: Header=BB380_16 Depth=1
	v_cmp_ne_u32_sdwa s5, v33, v42 src0_sel:BYTE_3 src1_sel:DWORD
	v_bfrev_b32_e32 v0, 1
	buffer_store_dword v0, off, s[0:3], s32 offset:272 ; 4-byte Folded Spill
	s_and_saveexec_b32 s26, s5
	s_cbranch_execz .LBB380_178
; %bb.173:                              ;   in Loop: Header=BB380_16 Depth=1
	v_bfe_u32 v1, v33, 24, 7
	v_mov_b32_e32 v0, 0x7f800001
	s_mov_b32 s27, exec_lo
	buffer_store_dword v0, off, s[0:3], s32 offset:272 ; 4-byte Folded Spill
	v_cmpx_ne_u32_e32 0x7f, v1
	s_cbranch_execz .LBB380_177
; %bb.174:                              ;   in Loop: Header=BB380_16 Depth=1
	v_mov_b32_e32 v0, 7
	s_mov_b32 s28, exec_lo
	v_and_b32_sdwa v19, v33, v0 dst_sel:DWORD dst_unused:UNUSED_PAD src0_sel:BYTE_3 src1_sel:DWORD
	v_mov_b32_e32 v36, v20
	v_lshrrev_b32_e32 v0, 3, v1
	v_mov_b32_e32 v35, v19
	v_cmpx_gt_u32_e32 8, v1
; %bb.175:                              ;   in Loop: Header=BB380_16 Depth=1
	v_ffbh_u32_e32 v0, v19
	v_min_u32_e32 v0, 32, v0
	v_subrev_nc_u32_e32 v1, 28, v0
	v_sub_nc_u32_e32 v0, 29, v0
	v_lshlrev_b64 v[1:2], v1, v[19:20]
	v_and_b32_e32 v35, 7, v1
; %bb.176:                              ;   in Loop: Header=BB380_16 Depth=1
	s_or_b32 exec_lo, exec_lo, s28
	v_mov_b32_e32 v1, 24
	v_lshlrev_b32_e32 v2, 20, v35
	v_lshl_add_u32 v0, v0, 23, 0x3c000000
	v_lshlrev_b32_sdwa v1, v1, v33 dst_sel:DWORD dst_unused:UNUSED_PAD src0_sel:DWORD src1_sel:BYTE_3
	v_and_b32_e32 v1, 0x80000000, v1
	v_or3_b32 v0, v2, v1, v0
	buffer_store_dword v0, off, s[0:3], s32 offset:272 ; 4-byte Folded Spill
.LBB380_177:                            ;   in Loop: Header=BB380_16 Depth=1
	s_or_b32 exec_lo, exec_lo, s27
.LBB380_178:                            ;   in Loop: Header=BB380_16 Depth=1
	s_or_b32 exec_lo, exec_lo, s26
.LBB380_179:                            ;   in Loop: Header=BB380_16 Depth=1
	s_or_b32 exec_lo, exec_lo, s25
	v_mov_b32_e32 v0, 0
	v_mov_b32_e32 v19, v34
	v_cmp_ne_u16_sdwa s5, v34, v20 src0_sel:BYTE_0 src1_sel:DWORD
	buffer_store_dword v0, off, s[0:3], s32 offset:280 ; 4-byte Folded Spill
	v_mov_b32_e32 v0, 0
	buffer_store_dword v0, off, s[0:3], s32 offset:276 ; 4-byte Folded Spill
	s_and_saveexec_b32 s25, s5
	s_cbranch_execz .LBB380_187
; %bb.180:                              ;   in Loop: Header=BB380_16 Depth=1
	v_cmp_ne_u16_sdwa s5, v34, v42 src0_sel:BYTE_0 src1_sel:DWORD
	v_bfrev_b32_e32 v0, 1
	buffer_store_dword v0, off, s[0:3], s32 offset:276 ; 4-byte Folded Spill
	s_and_saveexec_b32 s26, s5
	s_cbranch_execz .LBB380_186
; %bb.181:                              ;   in Loop: Header=BB380_16 Depth=1
	v_and_b32_e32 v1, 0x7f, v34
	v_mov_b32_e32 v0, 0x7f800001
	s_mov_b32 s27, exec_lo
	buffer_store_dword v0, off, s[0:3], s32 offset:276 ; 4-byte Folded Spill
	v_cmpx_ne_u32_e32 0x7f, v1
	s_cbranch_execz .LBB380_185
; %bb.182:                              ;   in Loop: Header=BB380_16 Depth=1
	v_mov_b32_e32 v36, v20
	v_lshrrev_b32_e32 v0, 3, v1
	v_mov_b32_e32 v35, v19
	s_mov_b32 s28, exec_lo
	v_cmpx_gt_u32_e32 8, v1
; %bb.183:                              ;   in Loop: Header=BB380_16 Depth=1
	v_and_b32_e32 v0, 7, v34
	v_ffbh_u32_e32 v0, v0
	v_min_u32_e32 v0, 32, v0
	v_subrev_nc_u32_e32 v1, 28, v0
	v_sub_nc_u32_e32 v0, 29, v0
	v_lshlrev_b64 v[35:36], v1, v[19:20]
; %bb.184:                              ;   in Loop: Header=BB380_16 Depth=1
	s_or_b32 exec_lo, exec_lo, s28
	v_lshlrev_b32_e32 v1, 20, v35
	v_lshlrev_b32_e32 v2, 24, v19
	v_lshl_add_u32 v0, v0, 23, 0x3c000000
	v_and_b32_e32 v1, 0x700000, v1
	v_and_b32_e32 v2, 0x80000000, v2
	v_or3_b32 v0, v1, v2, v0
	buffer_store_dword v0, off, s[0:3], s32 offset:276 ; 4-byte Folded Spill
.LBB380_185:                            ;   in Loop: Header=BB380_16 Depth=1
	s_or_b32 exec_lo, exec_lo, s27
.LBB380_186:                            ;   in Loop: Header=BB380_16 Depth=1
	s_or_b32 exec_lo, exec_lo, s26
.LBB380_187:                            ;   in Loop: Header=BB380_16 Depth=1
	s_or_b32 exec_lo, exec_lo, s25
	v_cmp_ne_u16_sdwa s5, v19, v20 src0_sel:BYTE_1 src1_sel:DWORD
	s_and_saveexec_b32 s25, s5
	s_cbranch_execz .LBB380_195
; %bb.188:                              ;   in Loop: Header=BB380_16 Depth=1
	v_cmp_ne_u16_sdwa s5, v19, v42 src0_sel:BYTE_1 src1_sel:DWORD
	v_bfrev_b32_e32 v0, 1
	buffer_store_dword v0, off, s[0:3], s32 offset:280 ; 4-byte Folded Spill
	s_and_saveexec_b32 s26, s5
	s_cbranch_execz .LBB380_194
; %bb.189:                              ;   in Loop: Header=BB380_16 Depth=1
	v_mov_b32_e32 v0, 0xffff
	v_mov_b32_e32 v2, 0x7f800001
	s_mov_b32 s27, exec_lo
	v_and_b32_sdwa v0, v0, v19 dst_sel:DWORD dst_unused:UNUSED_PAD src0_sel:DWORD src1_sel:BYTE_1
	buffer_store_dword v2, off, s[0:3], s32 offset:280 ; 4-byte Folded Spill
	v_and_b32_e32 v1, 0x7f, v0
	v_cmpx_ne_u32_e32 0x7f, v1
	s_cbranch_execz .LBB380_193
; %bb.190:                              ;   in Loop: Header=BB380_16 Depth=1
	v_and_b32_e32 v35, 7, v0
	v_mov_b32_e32 v36, v20
	v_lshrrev_b32_e32 v0, 3, v1
	s_mov_b32 s28, exec_lo
	v_cmpx_gt_u32_e32 8, v1
; %bb.191:                              ;   in Loop: Header=BB380_16 Depth=1
	v_ffbh_u32_e32 v0, v35
	v_min_u32_e32 v0, 32, v0
	v_subrev_nc_u32_e32 v1, 28, v0
	v_sub_nc_u32_e32 v0, 29, v0
	v_lshlrev_b64 v[1:2], v1, v[35:36]
	v_and_b32_e32 v35, 7, v1
; %bb.192:                              ;   in Loop: Header=BB380_16 Depth=1
	s_or_b32 exec_lo, exec_lo, s28
	v_lshlrev_b32_e32 v1, 16, v19
	v_lshlrev_b32_e32 v2, 20, v35
	v_lshl_add_u32 v0, v0, 23, 0x3c000000
	v_and_b32_e32 v1, 0x80000000, v1
	v_or3_b32 v0, v2, v1, v0
	buffer_store_dword v0, off, s[0:3], s32 offset:280 ; 4-byte Folded Spill
.LBB380_193:                            ;   in Loop: Header=BB380_16 Depth=1
	s_or_b32 exec_lo, exec_lo, s27
.LBB380_194:                            ;   in Loop: Header=BB380_16 Depth=1
	s_or_b32 exec_lo, exec_lo, s26
.LBB380_195:                            ;   in Loop: Header=BB380_16 Depth=1
	s_or_b32 exec_lo, exec_lo, s25
	v_mov_b32_e32 v0, 0xff
	v_mov_b32_e32 v1, 0
	;; [unrolled: 1-line block ×3, first 2 shown]
	s_mov_b32 s25, exec_lo
	v_and_b32_sdwa v0, v34, v0 dst_sel:DWORD dst_unused:UNUSED_PAD src0_sel:WORD_1 src1_sel:DWORD
	buffer_store_dword v1, off, s[0:3], s32 offset:284 ; 4-byte Folded Spill
	v_cmpx_ne_u16_e32 0, v0
	s_cbranch_execz .LBB380_203
; %bb.196:                              ;   in Loop: Header=BB380_16 Depth=1
	v_bfrev_b32_e32 v104, 1
	s_mov_b32 s26, exec_lo
	v_cmpx_ne_u16_e32 0x80, v0
	s_cbranch_execz .LBB380_202
; %bb.197:                              ;   in Loop: Header=BB380_16 Depth=1
	v_bfe_u32 v1, v34, 16, 7
	v_mov_b32_e32 v104, 0x7f800001
	s_mov_b32 s27, exec_lo
	v_cmpx_ne_u32_e32 0x7f, v1
	s_cbranch_execz .LBB380_201
; %bb.198:                              ;   in Loop: Header=BB380_16 Depth=1
	v_mov_b32_e32 v0, 7
	s_mov_b32 s28, exec_lo
	v_and_b32_sdwa v19, v34, v0 dst_sel:DWORD dst_unused:UNUSED_PAD src0_sel:WORD_1 src1_sel:DWORD
	v_mov_b32_e32 v36, v20
	v_lshrrev_b32_e32 v0, 3, v1
	v_mov_b32_e32 v35, v19
	v_cmpx_gt_u32_e32 8, v1
; %bb.199:                              ;   in Loop: Header=BB380_16 Depth=1
	v_ffbh_u32_e32 v0, v19
	v_min_u32_e32 v0, 32, v0
	v_subrev_nc_u32_e32 v1, 28, v0
	v_sub_nc_u32_e32 v0, 29, v0
	v_lshlrev_b64 v[1:2], v1, v[19:20]
	v_and_b32_e32 v35, 7, v1
; %bb.200:                              ;   in Loop: Header=BB380_16 Depth=1
	s_or_b32 exec_lo, exec_lo, s28
	v_mov_b32_e32 v1, 24
	v_lshlrev_b32_e32 v2, 20, v35
	v_lshl_add_u32 v0, v0, 23, 0x3c000000
	v_lshlrev_b32_sdwa v1, v1, v34 dst_sel:DWORD dst_unused:UNUSED_PAD src0_sel:DWORD src1_sel:WORD_1
	v_and_b32_e32 v1, 0x80000000, v1
	v_or3_b32 v104, v2, v1, v0
.LBB380_201:                            ;   in Loop: Header=BB380_16 Depth=1
	s_or_b32 exec_lo, exec_lo, s27
.LBB380_202:                            ;   in Loop: Header=BB380_16 Depth=1
	s_or_b32 exec_lo, exec_lo, s26
.LBB380_203:                            ;   in Loop: Header=BB380_16 Depth=1
	s_or_b32 exec_lo, exec_lo, s25
	s_mov_b32 s25, exec_lo
	v_cmpx_lt_u64_e64 s[20:21], v[33:34]
	s_cbranch_execz .LBB380_211
; %bb.204:                              ;   in Loop: Header=BB380_16 Depth=1
	v_cmp_ne_u32_sdwa s5, v34, v42 src0_sel:BYTE_3 src1_sel:DWORD
	v_bfrev_b32_e32 v0, 1
	buffer_store_dword v0, off, s[0:3], s32 offset:284 ; 4-byte Folded Spill
	s_and_saveexec_b32 s26, s5
	s_cbranch_execz .LBB380_210
; %bb.205:                              ;   in Loop: Header=BB380_16 Depth=1
	v_bfe_u32 v1, v34, 24, 7
	v_mov_b32_e32 v0, 0x7f800001
	s_mov_b32 s27, exec_lo
	buffer_store_dword v0, off, s[0:3], s32 offset:284 ; 4-byte Folded Spill
	v_cmpx_ne_u32_e32 0x7f, v1
	s_cbranch_execz .LBB380_209
; %bb.206:                              ;   in Loop: Header=BB380_16 Depth=1
	v_mov_b32_e32 v0, 7
	s_mov_b32 s28, exec_lo
	v_and_b32_sdwa v19, v34, v0 dst_sel:DWORD dst_unused:UNUSED_PAD src0_sel:BYTE_3 src1_sel:DWORD
	v_mov_b32_e32 v36, v20
	v_lshrrev_b32_e32 v0, 3, v1
	v_mov_b32_e32 v35, v19
	v_cmpx_gt_u32_e32 8, v1
; %bb.207:                              ;   in Loop: Header=BB380_16 Depth=1
	v_ffbh_u32_e32 v0, v19
	v_min_u32_e32 v0, 32, v0
	v_subrev_nc_u32_e32 v1, 28, v0
	v_sub_nc_u32_e32 v0, 29, v0
	v_lshlrev_b64 v[1:2], v1, v[19:20]
	v_and_b32_e32 v35, 7, v1
; %bb.208:                              ;   in Loop: Header=BB380_16 Depth=1
	s_or_b32 exec_lo, exec_lo, s28
	v_mov_b32_e32 v1, 24
	v_lshlrev_b32_e32 v2, 20, v35
	v_lshl_add_u32 v0, v0, 23, 0x3c000000
	v_lshlrev_b32_sdwa v1, v1, v34 dst_sel:DWORD dst_unused:UNUSED_PAD src0_sel:DWORD src1_sel:BYTE_3
	v_and_b32_e32 v1, 0x80000000, v1
	v_or3_b32 v0, v2, v1, v0
	buffer_store_dword v0, off, s[0:3], s32 offset:284 ; 4-byte Folded Spill
.LBB380_209:                            ;   in Loop: Header=BB380_16 Depth=1
	s_or_b32 exec_lo, exec_lo, s27
.LBB380_210:                            ;   in Loop: Header=BB380_16 Depth=1
	s_or_b32 exec_lo, exec_lo, s26
.LBB380_211:                            ;   in Loop: Header=BB380_16 Depth=1
	s_or_b32 exec_lo, exec_lo, s25
	flat_load_dwordx2 v[33:34], v[31:32] offset:520
	v_mov_b32_e32 v106, 0
	v_mov_b32_e32 v105, 0
	s_waitcnt vmcnt(0) lgkmcnt(0)
	v_cmp_ne_u16_sdwa s5, v33, v20 src0_sel:BYTE_0 src1_sel:DWORD
	s_and_saveexec_b32 s25, s5
	s_cbranch_execz .LBB380_219
; %bb.212:                              ;   in Loop: Header=BB380_16 Depth=1
	v_cmp_ne_u16_sdwa s5, v33, v42 src0_sel:BYTE_0 src1_sel:DWORD
	v_bfrev_b32_e32 v105, 1
	s_and_saveexec_b32 s26, s5
	s_cbranch_execz .LBB380_218
; %bb.213:                              ;   in Loop: Header=BB380_16 Depth=1
	v_and_b32_e32 v1, 0x7f, v33
	v_mov_b32_e32 v105, 0x7f800001
	s_mov_b32 s27, exec_lo
	v_cmpx_ne_u32_e32 0x7f, v1
	s_cbranch_execz .LBB380_217
; %bb.214:                              ;   in Loop: Header=BB380_16 Depth=1
	v_mov_b32_e32 v36, v34
	v_lshrrev_b32_e32 v0, 3, v1
	v_mov_b32_e32 v35, v33
	s_mov_b32 s28, exec_lo
	v_cmpx_gt_u32_e32 8, v1
; %bb.215:                              ;   in Loop: Header=BB380_16 Depth=1
	v_and_b32_e32 v0, 7, v33
	v_ffbh_u32_e32 v0, v0
	v_min_u32_e32 v0, 32, v0
	v_subrev_nc_u32_e32 v1, 28, v0
	v_sub_nc_u32_e32 v0, 29, v0
	v_lshlrev_b64 v[35:36], v1, v[33:34]
; %bb.216:                              ;   in Loop: Header=BB380_16 Depth=1
	s_or_b32 exec_lo, exec_lo, s28
	v_lshlrev_b32_e32 v1, 20, v35
	v_lshlrev_b32_e32 v2, 24, v33
	v_lshl_add_u32 v0, v0, 23, 0x3c000000
	v_and_b32_e32 v1, 0x700000, v1
	v_and_b32_e32 v2, 0x80000000, v2
	v_or3_b32 v105, v1, v2, v0
.LBB380_217:                            ;   in Loop: Header=BB380_16 Depth=1
	s_or_b32 exec_lo, exec_lo, s27
.LBB380_218:                            ;   in Loop: Header=BB380_16 Depth=1
	s_or_b32 exec_lo, exec_lo, s26
.LBB380_219:                            ;   in Loop: Header=BB380_16 Depth=1
	s_or_b32 exec_lo, exec_lo, s25
	v_cmp_ne_u16_sdwa s5, v33, v20 src0_sel:BYTE_1 src1_sel:DWORD
	s_and_saveexec_b32 s25, s5
	s_cbranch_execz .LBB380_227
; %bb.220:                              ;   in Loop: Header=BB380_16 Depth=1
	v_cmp_ne_u16_sdwa s5, v33, v42 src0_sel:BYTE_1 src1_sel:DWORD
	v_bfrev_b32_e32 v106, 1
	s_and_saveexec_b32 s26, s5
	s_cbranch_execz .LBB380_226
; %bb.221:                              ;   in Loop: Header=BB380_16 Depth=1
	v_mov_b32_e32 v0, 0xffff
	v_mov_b32_e32 v106, 0x7f800001
	s_mov_b32 s27, exec_lo
	v_and_b32_sdwa v0, v0, v33 dst_sel:DWORD dst_unused:UNUSED_PAD src0_sel:DWORD src1_sel:BYTE_1
	v_and_b32_e32 v1, 0x7f, v0
	v_cmpx_ne_u32_e32 0x7f, v1
	s_cbranch_execz .LBB380_225
; %bb.222:                              ;   in Loop: Header=BB380_16 Depth=1
	v_and_b32_e32 v19, 7, v0
	v_mov_b32_e32 v36, v20
	v_lshrrev_b32_e32 v0, 3, v1
	s_mov_b32 s28, exec_lo
	v_mov_b32_e32 v35, v19
	v_cmpx_gt_u32_e32 8, v1
; %bb.223:                              ;   in Loop: Header=BB380_16 Depth=1
	v_ffbh_u32_e32 v0, v19
	v_min_u32_e32 v0, 32, v0
	v_subrev_nc_u32_e32 v1, 28, v0
	v_sub_nc_u32_e32 v0, 29, v0
	v_lshlrev_b64 v[1:2], v1, v[19:20]
	v_and_b32_e32 v35, 7, v1
; %bb.224:                              ;   in Loop: Header=BB380_16 Depth=1
	s_or_b32 exec_lo, exec_lo, s28
	v_lshlrev_b32_e32 v1, 16, v33
	v_lshlrev_b32_e32 v2, 20, v35
	v_lshl_add_u32 v0, v0, 23, 0x3c000000
	v_and_b32_e32 v1, 0x80000000, v1
	v_or3_b32 v106, v2, v1, v0
.LBB380_225:                            ;   in Loop: Header=BB380_16 Depth=1
	s_or_b32 exec_lo, exec_lo, s27
.LBB380_226:                            ;   in Loop: Header=BB380_16 Depth=1
	s_or_b32 exec_lo, exec_lo, s26
.LBB380_227:                            ;   in Loop: Header=BB380_16 Depth=1
	s_or_b32 exec_lo, exec_lo, s25
	v_mov_b32_e32 v0, 0xff
	v_mov_b32_e32 v108, 0
	;; [unrolled: 1-line block ×3, first 2 shown]
	s_mov_b32 s25, exec_lo
	v_and_b32_sdwa v0, v33, v0 dst_sel:DWORD dst_unused:UNUSED_PAD src0_sel:WORD_1 src1_sel:DWORD
	v_cmpx_ne_u16_e32 0, v0
	s_cbranch_execz .LBB380_235
; %bb.228:                              ;   in Loop: Header=BB380_16 Depth=1
	v_bfrev_b32_e32 v107, 1
	s_mov_b32 s26, exec_lo
	v_cmpx_ne_u16_e32 0x80, v0
	s_cbranch_execz .LBB380_234
; %bb.229:                              ;   in Loop: Header=BB380_16 Depth=1
	v_bfe_u32 v1, v33, 16, 7
	v_mov_b32_e32 v107, 0x7f800001
	s_mov_b32 s27, exec_lo
	v_cmpx_ne_u32_e32 0x7f, v1
	s_cbranch_execz .LBB380_233
; %bb.230:                              ;   in Loop: Header=BB380_16 Depth=1
	v_mov_b32_e32 v0, 7
	s_mov_b32 s28, exec_lo
	v_and_b32_sdwa v19, v33, v0 dst_sel:DWORD dst_unused:UNUSED_PAD src0_sel:WORD_1 src1_sel:DWORD
	v_mov_b32_e32 v36, v20
	v_lshrrev_b32_e32 v0, 3, v1
	v_mov_b32_e32 v35, v19
	v_cmpx_gt_u32_e32 8, v1
; %bb.231:                              ;   in Loop: Header=BB380_16 Depth=1
	v_ffbh_u32_e32 v0, v19
	v_min_u32_e32 v0, 32, v0
	v_subrev_nc_u32_e32 v1, 28, v0
	v_sub_nc_u32_e32 v0, 29, v0
	v_lshlrev_b64 v[1:2], v1, v[19:20]
	v_and_b32_e32 v35, 7, v1
; %bb.232:                              ;   in Loop: Header=BB380_16 Depth=1
	s_or_b32 exec_lo, exec_lo, s28
	v_mov_b32_e32 v1, 24
	v_lshlrev_b32_e32 v2, 20, v35
	v_lshl_add_u32 v0, v0, 23, 0x3c000000
	v_lshlrev_b32_sdwa v1, v1, v33 dst_sel:DWORD dst_unused:UNUSED_PAD src0_sel:DWORD src1_sel:WORD_1
	v_and_b32_e32 v1, 0x80000000, v1
	v_or3_b32 v107, v2, v1, v0
.LBB380_233:                            ;   in Loop: Header=BB380_16 Depth=1
	s_or_b32 exec_lo, exec_lo, s27
.LBB380_234:                            ;   in Loop: Header=BB380_16 Depth=1
	s_or_b32 exec_lo, exec_lo, s26
.LBB380_235:                            ;   in Loop: Header=BB380_16 Depth=1
	s_or_b32 exec_lo, exec_lo, s25
	s_mov_b32 s25, exec_lo
	v_cmpx_lt_u32_e32 0xffffff, v33
	s_cbranch_execz .LBB380_243
; %bb.236:                              ;   in Loop: Header=BB380_16 Depth=1
	v_cmp_ne_u32_sdwa s5, v33, v42 src0_sel:BYTE_3 src1_sel:DWORD
	v_bfrev_b32_e32 v108, 1
	s_and_saveexec_b32 s26, s5
	s_cbranch_execz .LBB380_242
; %bb.237:                              ;   in Loop: Header=BB380_16 Depth=1
	v_bfe_u32 v1, v33, 24, 7
	v_mov_b32_e32 v108, 0x7f800001
	s_mov_b32 s27, exec_lo
	v_cmpx_ne_u32_e32 0x7f, v1
	s_cbranch_execz .LBB380_241
; %bb.238:                              ;   in Loop: Header=BB380_16 Depth=1
	v_mov_b32_e32 v0, 7
	s_mov_b32 s28, exec_lo
	v_and_b32_sdwa v19, v33, v0 dst_sel:DWORD dst_unused:UNUSED_PAD src0_sel:BYTE_3 src1_sel:DWORD
	v_mov_b32_e32 v36, v20
	v_lshrrev_b32_e32 v0, 3, v1
	v_mov_b32_e32 v35, v19
	v_cmpx_gt_u32_e32 8, v1
; %bb.239:                              ;   in Loop: Header=BB380_16 Depth=1
	v_ffbh_u32_e32 v0, v19
	v_min_u32_e32 v0, 32, v0
	v_subrev_nc_u32_e32 v1, 28, v0
	v_sub_nc_u32_e32 v0, 29, v0
	v_lshlrev_b64 v[1:2], v1, v[19:20]
	v_and_b32_e32 v35, 7, v1
; %bb.240:                              ;   in Loop: Header=BB380_16 Depth=1
	s_or_b32 exec_lo, exec_lo, s28
	v_mov_b32_e32 v1, 24
	v_lshlrev_b32_e32 v2, 20, v35
	v_lshl_add_u32 v0, v0, 23, 0x3c000000
	v_lshlrev_b32_sdwa v1, v1, v33 dst_sel:DWORD dst_unused:UNUSED_PAD src0_sel:DWORD src1_sel:BYTE_3
	v_and_b32_e32 v1, 0x80000000, v1
	v_or3_b32 v108, v2, v1, v0
.LBB380_241:                            ;   in Loop: Header=BB380_16 Depth=1
	s_or_b32 exec_lo, exec_lo, s27
.LBB380_242:                            ;   in Loop: Header=BB380_16 Depth=1
	s_or_b32 exec_lo, exec_lo, s26
.LBB380_243:                            ;   in Loop: Header=BB380_16 Depth=1
	s_or_b32 exec_lo, exec_lo, s25
	v_mov_b32_e32 v19, v34
	v_cmp_ne_u16_sdwa s5, v34, v20 src0_sel:BYTE_0 src1_sel:DWORD
	v_mov_b32_e32 v110, 0
	v_mov_b32_e32 v109, 0
	s_and_saveexec_b32 s25, s5
	s_cbranch_execz .LBB380_251
; %bb.244:                              ;   in Loop: Header=BB380_16 Depth=1
	v_cmp_ne_u16_sdwa s5, v34, v42 src0_sel:BYTE_0 src1_sel:DWORD
	v_bfrev_b32_e32 v109, 1
	s_and_saveexec_b32 s26, s5
	s_cbranch_execz .LBB380_250
; %bb.245:                              ;   in Loop: Header=BB380_16 Depth=1
	v_and_b32_e32 v1, 0x7f, v34
	v_mov_b32_e32 v109, 0x7f800001
	s_mov_b32 s27, exec_lo
	v_cmpx_ne_u32_e32 0x7f, v1
	s_cbranch_execz .LBB380_249
; %bb.246:                              ;   in Loop: Header=BB380_16 Depth=1
	v_mov_b32_e32 v36, v20
	v_lshrrev_b32_e32 v0, 3, v1
	v_mov_b32_e32 v35, v19
	s_mov_b32 s28, exec_lo
	v_cmpx_gt_u32_e32 8, v1
; %bb.247:                              ;   in Loop: Header=BB380_16 Depth=1
	v_and_b32_e32 v0, 7, v34
	v_ffbh_u32_e32 v0, v0
	v_min_u32_e32 v0, 32, v0
	v_subrev_nc_u32_e32 v1, 28, v0
	v_sub_nc_u32_e32 v0, 29, v0
	v_lshlrev_b64 v[35:36], v1, v[19:20]
; %bb.248:                              ;   in Loop: Header=BB380_16 Depth=1
	s_or_b32 exec_lo, exec_lo, s28
	v_lshlrev_b32_e32 v1, 20, v35
	v_lshlrev_b32_e32 v2, 24, v19
	v_lshl_add_u32 v0, v0, 23, 0x3c000000
	v_and_b32_e32 v1, 0x700000, v1
	v_and_b32_e32 v2, 0x80000000, v2
	v_or3_b32 v109, v1, v2, v0
.LBB380_249:                            ;   in Loop: Header=BB380_16 Depth=1
	s_or_b32 exec_lo, exec_lo, s27
.LBB380_250:                            ;   in Loop: Header=BB380_16 Depth=1
	s_or_b32 exec_lo, exec_lo, s26
.LBB380_251:                            ;   in Loop: Header=BB380_16 Depth=1
	s_or_b32 exec_lo, exec_lo, s25
	v_cmp_ne_u16_sdwa s5, v19, v20 src0_sel:BYTE_1 src1_sel:DWORD
	s_and_saveexec_b32 s25, s5
	s_cbranch_execz .LBB380_259
; %bb.252:                              ;   in Loop: Header=BB380_16 Depth=1
	v_cmp_ne_u16_sdwa s5, v19, v42 src0_sel:BYTE_1 src1_sel:DWORD
	v_bfrev_b32_e32 v110, 1
	s_and_saveexec_b32 s26, s5
	s_cbranch_execz .LBB380_258
; %bb.253:                              ;   in Loop: Header=BB380_16 Depth=1
	v_mov_b32_e32 v0, 0xffff
	v_mov_b32_e32 v110, 0x7f800001
	s_mov_b32 s27, exec_lo
	v_and_b32_sdwa v0, v0, v19 dst_sel:DWORD dst_unused:UNUSED_PAD src0_sel:DWORD src1_sel:BYTE_1
	v_and_b32_e32 v1, 0x7f, v0
	v_cmpx_ne_u32_e32 0x7f, v1
	s_cbranch_execz .LBB380_257
; %bb.254:                              ;   in Loop: Header=BB380_16 Depth=1
	v_and_b32_e32 v35, 7, v0
	v_mov_b32_e32 v36, v20
	v_lshrrev_b32_e32 v0, 3, v1
	s_mov_b32 s28, exec_lo
	v_cmpx_gt_u32_e32 8, v1
; %bb.255:                              ;   in Loop: Header=BB380_16 Depth=1
	v_ffbh_u32_e32 v0, v35
	v_min_u32_e32 v0, 32, v0
	v_subrev_nc_u32_e32 v1, 28, v0
	v_sub_nc_u32_e32 v0, 29, v0
	v_lshlrev_b64 v[1:2], v1, v[35:36]
	v_and_b32_e32 v35, 7, v1
; %bb.256:                              ;   in Loop: Header=BB380_16 Depth=1
	s_or_b32 exec_lo, exec_lo, s28
	v_lshlrev_b32_e32 v1, 16, v19
	v_lshlrev_b32_e32 v2, 20, v35
	v_lshl_add_u32 v0, v0, 23, 0x3c000000
	v_and_b32_e32 v1, 0x80000000, v1
	v_or3_b32 v110, v2, v1, v0
.LBB380_257:                            ;   in Loop: Header=BB380_16 Depth=1
	s_or_b32 exec_lo, exec_lo, s27
.LBB380_258:                            ;   in Loop: Header=BB380_16 Depth=1
	s_or_b32 exec_lo, exec_lo, s26
.LBB380_259:                            ;   in Loop: Header=BB380_16 Depth=1
	s_or_b32 exec_lo, exec_lo, s25
	v_mov_b32_e32 v0, 0xff
	v_mov_b32_e32 v111, 0
	;; [unrolled: 1-line block ×3, first 2 shown]
	s_mov_b32 s25, exec_lo
	v_and_b32_sdwa v0, v34, v0 dst_sel:DWORD dst_unused:UNUSED_PAD src0_sel:WORD_1 src1_sel:DWORD
	v_cmpx_ne_u16_e32 0, v0
	s_cbranch_execz .LBB380_267
; %bb.260:                              ;   in Loop: Header=BB380_16 Depth=1
	v_bfrev_b32_e32 v120, 1
	s_mov_b32 s26, exec_lo
	v_cmpx_ne_u16_e32 0x80, v0
	s_cbranch_execz .LBB380_266
; %bb.261:                              ;   in Loop: Header=BB380_16 Depth=1
	v_bfe_u32 v1, v34, 16, 7
	v_mov_b32_e32 v120, 0x7f800001
	s_mov_b32 s27, exec_lo
	v_cmpx_ne_u32_e32 0x7f, v1
	s_cbranch_execz .LBB380_265
; %bb.262:                              ;   in Loop: Header=BB380_16 Depth=1
	v_mov_b32_e32 v0, 7
	s_mov_b32 s28, exec_lo
	v_and_b32_sdwa v19, v34, v0 dst_sel:DWORD dst_unused:UNUSED_PAD src0_sel:WORD_1 src1_sel:DWORD
	v_mov_b32_e32 v36, v20
	v_lshrrev_b32_e32 v0, 3, v1
	v_mov_b32_e32 v35, v19
	v_cmpx_gt_u32_e32 8, v1
; %bb.263:                              ;   in Loop: Header=BB380_16 Depth=1
	v_ffbh_u32_e32 v0, v19
	v_min_u32_e32 v0, 32, v0
	v_subrev_nc_u32_e32 v1, 28, v0
	v_sub_nc_u32_e32 v0, 29, v0
	v_lshlrev_b64 v[1:2], v1, v[19:20]
	v_and_b32_e32 v35, 7, v1
; %bb.264:                              ;   in Loop: Header=BB380_16 Depth=1
	s_or_b32 exec_lo, exec_lo, s28
	v_mov_b32_e32 v1, 24
	v_lshlrev_b32_e32 v2, 20, v35
	v_lshl_add_u32 v0, v0, 23, 0x3c000000
	v_lshlrev_b32_sdwa v1, v1, v34 dst_sel:DWORD dst_unused:UNUSED_PAD src0_sel:DWORD src1_sel:WORD_1
	v_and_b32_e32 v1, 0x80000000, v1
	v_or3_b32 v120, v2, v1, v0
.LBB380_265:                            ;   in Loop: Header=BB380_16 Depth=1
	s_or_b32 exec_lo, exec_lo, s27
.LBB380_266:                            ;   in Loop: Header=BB380_16 Depth=1
	s_or_b32 exec_lo, exec_lo, s26
.LBB380_267:                            ;   in Loop: Header=BB380_16 Depth=1
	s_or_b32 exec_lo, exec_lo, s25
	s_mov_b32 s25, exec_lo
	v_cmpx_lt_u64_e64 s[20:21], v[33:34]
	s_cbranch_execz .LBB380_275
; %bb.268:                              ;   in Loop: Header=BB380_16 Depth=1
	v_cmp_ne_u32_sdwa s5, v34, v42 src0_sel:BYTE_3 src1_sel:DWORD
	v_bfrev_b32_e32 v111, 1
	s_and_saveexec_b32 s26, s5
	s_cbranch_execz .LBB380_274
; %bb.269:                              ;   in Loop: Header=BB380_16 Depth=1
	v_bfe_u32 v1, v34, 24, 7
	v_mov_b32_e32 v111, 0x7f800001
	s_mov_b32 s27, exec_lo
	v_cmpx_ne_u32_e32 0x7f, v1
	s_cbranch_execz .LBB380_273
; %bb.270:                              ;   in Loop: Header=BB380_16 Depth=1
	v_mov_b32_e32 v0, 7
	s_mov_b32 s28, exec_lo
	v_and_b32_sdwa v19, v34, v0 dst_sel:DWORD dst_unused:UNUSED_PAD src0_sel:BYTE_3 src1_sel:DWORD
	v_mov_b32_e32 v36, v20
	v_lshrrev_b32_e32 v0, 3, v1
	v_mov_b32_e32 v35, v19
	v_cmpx_gt_u32_e32 8, v1
; %bb.271:                              ;   in Loop: Header=BB380_16 Depth=1
	v_ffbh_u32_e32 v0, v19
	v_min_u32_e32 v0, 32, v0
	v_subrev_nc_u32_e32 v1, 28, v0
	v_sub_nc_u32_e32 v0, 29, v0
	v_lshlrev_b64 v[1:2], v1, v[19:20]
	v_and_b32_e32 v35, 7, v1
; %bb.272:                              ;   in Loop: Header=BB380_16 Depth=1
	s_or_b32 exec_lo, exec_lo, s28
	v_mov_b32_e32 v1, 24
	v_lshlrev_b32_e32 v2, 20, v35
	v_lshl_add_u32 v0, v0, 23, 0x3c000000
	v_lshlrev_b32_sdwa v1, v1, v34 dst_sel:DWORD dst_unused:UNUSED_PAD src0_sel:DWORD src1_sel:BYTE_3
	v_and_b32_e32 v1, 0x80000000, v1
	v_or3_b32 v111, v2, v1, v0
.LBB380_273:                            ;   in Loop: Header=BB380_16 Depth=1
	s_or_b32 exec_lo, exec_lo, s27
.LBB380_274:                            ;   in Loop: Header=BB380_16 Depth=1
	s_or_b32 exec_lo, exec_lo, s26
.LBB380_275:                            ;   in Loop: Header=BB380_16 Depth=1
	s_or_b32 exec_lo, exec_lo, s25
	flat_load_dwordx2 v[33:34], v[31:32] offset:1024
	v_mov_b32_e32 v122, 0
	v_mov_b32_e32 v121, 0
	s_waitcnt vmcnt(0) lgkmcnt(0)
	v_cmp_ne_u16_sdwa s5, v33, v20 src0_sel:BYTE_0 src1_sel:DWORD
	s_and_saveexec_b32 s25, s5
	s_cbranch_execz .LBB380_283
; %bb.276:                              ;   in Loop: Header=BB380_16 Depth=1
	v_cmp_ne_u16_sdwa s5, v33, v42 src0_sel:BYTE_0 src1_sel:DWORD
	v_bfrev_b32_e32 v121, 1
	s_and_saveexec_b32 s26, s5
	s_cbranch_execz .LBB380_282
; %bb.277:                              ;   in Loop: Header=BB380_16 Depth=1
	v_and_b32_e32 v1, 0x7f, v33
	v_mov_b32_e32 v121, 0x7f800001
	s_mov_b32 s27, exec_lo
	v_cmpx_ne_u32_e32 0x7f, v1
	s_cbranch_execz .LBB380_281
; %bb.278:                              ;   in Loop: Header=BB380_16 Depth=1
	v_mov_b32_e32 v36, v34
	v_lshrrev_b32_e32 v0, 3, v1
	v_mov_b32_e32 v35, v33
	s_mov_b32 s28, exec_lo
	v_cmpx_gt_u32_e32 8, v1
; %bb.279:                              ;   in Loop: Header=BB380_16 Depth=1
	v_and_b32_e32 v0, 7, v33
	v_ffbh_u32_e32 v0, v0
	v_min_u32_e32 v0, 32, v0
	v_subrev_nc_u32_e32 v1, 28, v0
	v_sub_nc_u32_e32 v0, 29, v0
	v_lshlrev_b64 v[35:36], v1, v[33:34]
; %bb.280:                              ;   in Loop: Header=BB380_16 Depth=1
	s_or_b32 exec_lo, exec_lo, s28
	v_lshlrev_b32_e32 v1, 20, v35
	v_lshlrev_b32_e32 v2, 24, v33
	v_lshl_add_u32 v0, v0, 23, 0x3c000000
	v_and_b32_e32 v1, 0x700000, v1
	v_and_b32_e32 v2, 0x80000000, v2
	v_or3_b32 v121, v1, v2, v0
.LBB380_281:                            ;   in Loop: Header=BB380_16 Depth=1
	s_or_b32 exec_lo, exec_lo, s27
.LBB380_282:                            ;   in Loop: Header=BB380_16 Depth=1
	s_or_b32 exec_lo, exec_lo, s26
.LBB380_283:                            ;   in Loop: Header=BB380_16 Depth=1
	s_or_b32 exec_lo, exec_lo, s25
	v_cmp_ne_u16_sdwa s5, v33, v20 src0_sel:BYTE_1 src1_sel:DWORD
	s_and_saveexec_b32 s25, s5
	s_cbranch_execz .LBB380_291
; %bb.284:                              ;   in Loop: Header=BB380_16 Depth=1
	v_cmp_ne_u16_sdwa s5, v33, v42 src0_sel:BYTE_1 src1_sel:DWORD
	v_bfrev_b32_e32 v122, 1
	s_and_saveexec_b32 s26, s5
	s_cbranch_execz .LBB380_290
; %bb.285:                              ;   in Loop: Header=BB380_16 Depth=1
	v_mov_b32_e32 v0, 0xffff
	v_mov_b32_e32 v122, 0x7f800001
	s_mov_b32 s27, exec_lo
	v_and_b32_sdwa v0, v0, v33 dst_sel:DWORD dst_unused:UNUSED_PAD src0_sel:DWORD src1_sel:BYTE_1
	v_and_b32_e32 v1, 0x7f, v0
	v_cmpx_ne_u32_e32 0x7f, v1
	s_cbranch_execz .LBB380_289
; %bb.286:                              ;   in Loop: Header=BB380_16 Depth=1
	v_and_b32_e32 v19, 7, v0
	v_mov_b32_e32 v36, v20
	v_lshrrev_b32_e32 v0, 3, v1
	s_mov_b32 s28, exec_lo
	v_mov_b32_e32 v35, v19
	v_cmpx_gt_u32_e32 8, v1
; %bb.287:                              ;   in Loop: Header=BB380_16 Depth=1
	v_ffbh_u32_e32 v0, v19
	v_min_u32_e32 v0, 32, v0
	v_subrev_nc_u32_e32 v1, 28, v0
	v_sub_nc_u32_e32 v0, 29, v0
	v_lshlrev_b64 v[1:2], v1, v[19:20]
	v_and_b32_e32 v35, 7, v1
; %bb.288:                              ;   in Loop: Header=BB380_16 Depth=1
	s_or_b32 exec_lo, exec_lo, s28
	v_lshlrev_b32_e32 v1, 16, v33
	v_lshlrev_b32_e32 v2, 20, v35
	v_lshl_add_u32 v0, v0, 23, 0x3c000000
	v_and_b32_e32 v1, 0x80000000, v1
	v_or3_b32 v122, v2, v1, v0
.LBB380_289:                            ;   in Loop: Header=BB380_16 Depth=1
	s_or_b32 exec_lo, exec_lo, s27
.LBB380_290:                            ;   in Loop: Header=BB380_16 Depth=1
	s_or_b32 exec_lo, exec_lo, s26
.LBB380_291:                            ;   in Loop: Header=BB380_16 Depth=1
	s_or_b32 exec_lo, exec_lo, s25
	v_mov_b32_e32 v0, 0xff
	v_mov_b32_e32 v124, 0
	;; [unrolled: 1-line block ×3, first 2 shown]
	s_mov_b32 s25, exec_lo
	v_and_b32_sdwa v0, v33, v0 dst_sel:DWORD dst_unused:UNUSED_PAD src0_sel:WORD_1 src1_sel:DWORD
	v_cmpx_ne_u16_e32 0, v0
	s_cbranch_execz .LBB380_299
; %bb.292:                              ;   in Loop: Header=BB380_16 Depth=1
	v_bfrev_b32_e32 v123, 1
	s_mov_b32 s26, exec_lo
	v_cmpx_ne_u16_e32 0x80, v0
	s_cbranch_execz .LBB380_298
; %bb.293:                              ;   in Loop: Header=BB380_16 Depth=1
	v_bfe_u32 v1, v33, 16, 7
	v_mov_b32_e32 v123, 0x7f800001
	s_mov_b32 s27, exec_lo
	v_cmpx_ne_u32_e32 0x7f, v1
	s_cbranch_execz .LBB380_297
; %bb.294:                              ;   in Loop: Header=BB380_16 Depth=1
	v_mov_b32_e32 v0, 7
	s_mov_b32 s28, exec_lo
	v_and_b32_sdwa v19, v33, v0 dst_sel:DWORD dst_unused:UNUSED_PAD src0_sel:WORD_1 src1_sel:DWORD
	v_mov_b32_e32 v36, v20
	v_lshrrev_b32_e32 v0, 3, v1
	v_mov_b32_e32 v35, v19
	v_cmpx_gt_u32_e32 8, v1
; %bb.295:                              ;   in Loop: Header=BB380_16 Depth=1
	v_ffbh_u32_e32 v0, v19
	v_min_u32_e32 v0, 32, v0
	v_subrev_nc_u32_e32 v1, 28, v0
	v_sub_nc_u32_e32 v0, 29, v0
	v_lshlrev_b64 v[1:2], v1, v[19:20]
	v_and_b32_e32 v35, 7, v1
; %bb.296:                              ;   in Loop: Header=BB380_16 Depth=1
	s_or_b32 exec_lo, exec_lo, s28
	v_mov_b32_e32 v1, 24
	v_lshlrev_b32_e32 v2, 20, v35
	v_lshl_add_u32 v0, v0, 23, 0x3c000000
	v_lshlrev_b32_sdwa v1, v1, v33 dst_sel:DWORD dst_unused:UNUSED_PAD src0_sel:DWORD src1_sel:WORD_1
	v_and_b32_e32 v1, 0x80000000, v1
	v_or3_b32 v123, v2, v1, v0
.LBB380_297:                            ;   in Loop: Header=BB380_16 Depth=1
	s_or_b32 exec_lo, exec_lo, s27
.LBB380_298:                            ;   in Loop: Header=BB380_16 Depth=1
	s_or_b32 exec_lo, exec_lo, s26
.LBB380_299:                            ;   in Loop: Header=BB380_16 Depth=1
	s_or_b32 exec_lo, exec_lo, s25
	s_mov_b32 s25, exec_lo
	v_cmpx_lt_u32_e32 0xffffff, v33
	s_cbranch_execz .LBB380_307
; %bb.300:                              ;   in Loop: Header=BB380_16 Depth=1
	v_cmp_ne_u32_sdwa s5, v33, v42 src0_sel:BYTE_3 src1_sel:DWORD
	v_bfrev_b32_e32 v124, 1
	s_and_saveexec_b32 s26, s5
	s_cbranch_execz .LBB380_306
; %bb.301:                              ;   in Loop: Header=BB380_16 Depth=1
	v_bfe_u32 v1, v33, 24, 7
	v_mov_b32_e32 v124, 0x7f800001
	s_mov_b32 s27, exec_lo
	v_cmpx_ne_u32_e32 0x7f, v1
	s_cbranch_execz .LBB380_305
; %bb.302:                              ;   in Loop: Header=BB380_16 Depth=1
	v_mov_b32_e32 v0, 7
	s_mov_b32 s28, exec_lo
	v_and_b32_sdwa v19, v33, v0 dst_sel:DWORD dst_unused:UNUSED_PAD src0_sel:BYTE_3 src1_sel:DWORD
	v_mov_b32_e32 v36, v20
	v_lshrrev_b32_e32 v0, 3, v1
	v_mov_b32_e32 v35, v19
	v_cmpx_gt_u32_e32 8, v1
; %bb.303:                              ;   in Loop: Header=BB380_16 Depth=1
	v_ffbh_u32_e32 v0, v19
	v_min_u32_e32 v0, 32, v0
	v_subrev_nc_u32_e32 v1, 28, v0
	v_sub_nc_u32_e32 v0, 29, v0
	v_lshlrev_b64 v[1:2], v1, v[19:20]
	v_and_b32_e32 v35, 7, v1
; %bb.304:                              ;   in Loop: Header=BB380_16 Depth=1
	s_or_b32 exec_lo, exec_lo, s28
	v_mov_b32_e32 v1, 24
	v_lshlrev_b32_e32 v2, 20, v35
	v_lshl_add_u32 v0, v0, 23, 0x3c000000
	v_lshlrev_b32_sdwa v1, v1, v33 dst_sel:DWORD dst_unused:UNUSED_PAD src0_sel:DWORD src1_sel:BYTE_3
	v_and_b32_e32 v1, 0x80000000, v1
	v_or3_b32 v124, v2, v1, v0
.LBB380_305:                            ;   in Loop: Header=BB380_16 Depth=1
	s_or_b32 exec_lo, exec_lo, s27
.LBB380_306:                            ;   in Loop: Header=BB380_16 Depth=1
	s_or_b32 exec_lo, exec_lo, s26
.LBB380_307:                            ;   in Loop: Header=BB380_16 Depth=1
	s_or_b32 exec_lo, exec_lo, s25
	v_mov_b32_e32 v19, v34
	v_cmp_ne_u16_sdwa s5, v34, v20 src0_sel:BYTE_0 src1_sel:DWORD
	v_mov_b32_e32 v126, 0
	v_mov_b32_e32 v125, 0
	s_and_saveexec_b32 s25, s5
	s_cbranch_execz .LBB380_315
; %bb.308:                              ;   in Loop: Header=BB380_16 Depth=1
	v_cmp_ne_u16_sdwa s5, v34, v42 src0_sel:BYTE_0 src1_sel:DWORD
	v_bfrev_b32_e32 v125, 1
	s_and_saveexec_b32 s26, s5
	s_cbranch_execz .LBB380_314
; %bb.309:                              ;   in Loop: Header=BB380_16 Depth=1
	v_and_b32_e32 v1, 0x7f, v34
	v_mov_b32_e32 v125, 0x7f800001
	s_mov_b32 s27, exec_lo
	v_cmpx_ne_u32_e32 0x7f, v1
	s_cbranch_execz .LBB380_313
; %bb.310:                              ;   in Loop: Header=BB380_16 Depth=1
	v_mov_b32_e32 v36, v20
	v_lshrrev_b32_e32 v0, 3, v1
	v_mov_b32_e32 v35, v19
	s_mov_b32 s28, exec_lo
	v_cmpx_gt_u32_e32 8, v1
; %bb.311:                              ;   in Loop: Header=BB380_16 Depth=1
	v_and_b32_e32 v0, 7, v34
	v_ffbh_u32_e32 v0, v0
	v_min_u32_e32 v0, 32, v0
	v_subrev_nc_u32_e32 v1, 28, v0
	v_sub_nc_u32_e32 v0, 29, v0
	v_lshlrev_b64 v[35:36], v1, v[19:20]
; %bb.312:                              ;   in Loop: Header=BB380_16 Depth=1
	s_or_b32 exec_lo, exec_lo, s28
	v_lshlrev_b32_e32 v1, 20, v35
	v_lshlrev_b32_e32 v2, 24, v19
	v_lshl_add_u32 v0, v0, 23, 0x3c000000
	v_and_b32_e32 v1, 0x700000, v1
	v_and_b32_e32 v2, 0x80000000, v2
	v_or3_b32 v125, v1, v2, v0
.LBB380_313:                            ;   in Loop: Header=BB380_16 Depth=1
	s_or_b32 exec_lo, exec_lo, s27
.LBB380_314:                            ;   in Loop: Header=BB380_16 Depth=1
	s_or_b32 exec_lo, exec_lo, s26
.LBB380_315:                            ;   in Loop: Header=BB380_16 Depth=1
	s_or_b32 exec_lo, exec_lo, s25
	v_cmp_ne_u16_sdwa s5, v19, v20 src0_sel:BYTE_1 src1_sel:DWORD
	s_and_saveexec_b32 s25, s5
	s_cbranch_execz .LBB380_323
; %bb.316:                              ;   in Loop: Header=BB380_16 Depth=1
	v_cmp_ne_u16_sdwa s5, v19, v42 src0_sel:BYTE_1 src1_sel:DWORD
	v_bfrev_b32_e32 v126, 1
	s_and_saveexec_b32 s26, s5
	s_cbranch_execz .LBB380_322
; %bb.317:                              ;   in Loop: Header=BB380_16 Depth=1
	v_mov_b32_e32 v0, 0xffff
	v_mov_b32_e32 v126, 0x7f800001
	s_mov_b32 s27, exec_lo
	v_and_b32_sdwa v0, v0, v19 dst_sel:DWORD dst_unused:UNUSED_PAD src0_sel:DWORD src1_sel:BYTE_1
	v_and_b32_e32 v1, 0x7f, v0
	v_cmpx_ne_u32_e32 0x7f, v1
	s_cbranch_execz .LBB380_321
; %bb.318:                              ;   in Loop: Header=BB380_16 Depth=1
	v_and_b32_e32 v35, 7, v0
	v_mov_b32_e32 v36, v20
	v_lshrrev_b32_e32 v0, 3, v1
	s_mov_b32 s28, exec_lo
	v_cmpx_gt_u32_e32 8, v1
; %bb.319:                              ;   in Loop: Header=BB380_16 Depth=1
	v_ffbh_u32_e32 v0, v35
	v_min_u32_e32 v0, 32, v0
	v_subrev_nc_u32_e32 v1, 28, v0
	v_sub_nc_u32_e32 v0, 29, v0
	v_lshlrev_b64 v[1:2], v1, v[35:36]
	v_and_b32_e32 v35, 7, v1
; %bb.320:                              ;   in Loop: Header=BB380_16 Depth=1
	s_or_b32 exec_lo, exec_lo, s28
	v_lshlrev_b32_e32 v1, 16, v19
	v_lshlrev_b32_e32 v2, 20, v35
	v_lshl_add_u32 v0, v0, 23, 0x3c000000
	v_and_b32_e32 v1, 0x80000000, v1
	v_or3_b32 v126, v2, v1, v0
.LBB380_321:                            ;   in Loop: Header=BB380_16 Depth=1
	s_or_b32 exec_lo, exec_lo, s27
.LBB380_322:                            ;   in Loop: Header=BB380_16 Depth=1
	s_or_b32 exec_lo, exec_lo, s26
.LBB380_323:                            ;   in Loop: Header=BB380_16 Depth=1
	s_or_b32 exec_lo, exec_lo, s25
	v_mov_b32_e32 v0, 0xff
	v_mov_b32_e32 v127, 0
	;; [unrolled: 1-line block ×3, first 2 shown]
	s_mov_b32 s25, exec_lo
	v_and_b32_sdwa v0, v34, v0 dst_sel:DWORD dst_unused:UNUSED_PAD src0_sel:WORD_1 src1_sel:DWORD
	v_cmpx_ne_u16_e32 0, v0
	s_cbranch_execz .LBB380_331
; %bb.324:                              ;   in Loop: Header=BB380_16 Depth=1
	v_bfrev_b32_e32 v23, 1
	s_mov_b32 s26, exec_lo
	v_cmpx_ne_u16_e32 0x80, v0
	s_cbranch_execz .LBB380_330
; %bb.325:                              ;   in Loop: Header=BB380_16 Depth=1
	v_bfe_u32 v1, v34, 16, 7
	v_mov_b32_e32 v23, 0x7f800001
	s_mov_b32 s27, exec_lo
	v_cmpx_ne_u32_e32 0x7f, v1
	s_cbranch_execz .LBB380_329
; %bb.326:                              ;   in Loop: Header=BB380_16 Depth=1
	v_mov_b32_e32 v0, 7
	s_mov_b32 s28, exec_lo
	v_and_b32_sdwa v19, v34, v0 dst_sel:DWORD dst_unused:UNUSED_PAD src0_sel:WORD_1 src1_sel:DWORD
	v_mov_b32_e32 v36, v20
	v_lshrrev_b32_e32 v0, 3, v1
	v_mov_b32_e32 v35, v19
	v_cmpx_gt_u32_e32 8, v1
; %bb.327:                              ;   in Loop: Header=BB380_16 Depth=1
	v_ffbh_u32_e32 v0, v19
	v_min_u32_e32 v0, 32, v0
	v_subrev_nc_u32_e32 v1, 28, v0
	v_sub_nc_u32_e32 v0, 29, v0
	v_lshlrev_b64 v[1:2], v1, v[19:20]
	v_and_b32_e32 v35, 7, v1
; %bb.328:                              ;   in Loop: Header=BB380_16 Depth=1
	s_or_b32 exec_lo, exec_lo, s28
	v_mov_b32_e32 v1, 24
	v_lshlrev_b32_e32 v2, 20, v35
	v_lshl_add_u32 v0, v0, 23, 0x3c000000
	v_lshlrev_b32_sdwa v1, v1, v34 dst_sel:DWORD dst_unused:UNUSED_PAD src0_sel:DWORD src1_sel:WORD_1
	v_and_b32_e32 v1, 0x80000000, v1
	v_or3_b32 v23, v2, v1, v0
.LBB380_329:                            ;   in Loop: Header=BB380_16 Depth=1
	s_or_b32 exec_lo, exec_lo, s27
.LBB380_330:                            ;   in Loop: Header=BB380_16 Depth=1
	s_or_b32 exec_lo, exec_lo, s26
.LBB380_331:                            ;   in Loop: Header=BB380_16 Depth=1
	s_or_b32 exec_lo, exec_lo, s25
	s_mov_b32 s25, exec_lo
	v_cmpx_lt_u64_e64 s[20:21], v[33:34]
	s_cbranch_execz .LBB380_339
; %bb.332:                              ;   in Loop: Header=BB380_16 Depth=1
	v_cmp_ne_u32_sdwa s5, v34, v42 src0_sel:BYTE_3 src1_sel:DWORD
	v_bfrev_b32_e32 v127, 1
	s_and_saveexec_b32 s26, s5
	s_cbranch_execz .LBB380_338
; %bb.333:                              ;   in Loop: Header=BB380_16 Depth=1
	v_bfe_u32 v1, v34, 24, 7
	v_mov_b32_e32 v127, 0x7f800001
	s_mov_b32 s27, exec_lo
	v_cmpx_ne_u32_e32 0x7f, v1
	s_cbranch_execz .LBB380_337
; %bb.334:                              ;   in Loop: Header=BB380_16 Depth=1
	v_mov_b32_e32 v0, 7
	s_mov_b32 s28, exec_lo
	v_and_b32_sdwa v19, v34, v0 dst_sel:DWORD dst_unused:UNUSED_PAD src0_sel:BYTE_3 src1_sel:DWORD
	v_mov_b32_e32 v36, v20
	v_lshrrev_b32_e32 v0, 3, v1
	v_mov_b32_e32 v35, v19
	v_cmpx_gt_u32_e32 8, v1
; %bb.335:                              ;   in Loop: Header=BB380_16 Depth=1
	v_ffbh_u32_e32 v0, v19
	v_min_u32_e32 v0, 32, v0
	v_subrev_nc_u32_e32 v1, 28, v0
	v_sub_nc_u32_e32 v0, 29, v0
	v_lshlrev_b64 v[1:2], v1, v[19:20]
	v_and_b32_e32 v35, 7, v1
; %bb.336:                              ;   in Loop: Header=BB380_16 Depth=1
	s_or_b32 exec_lo, exec_lo, s28
	v_mov_b32_e32 v1, 24
	v_lshlrev_b32_e32 v2, 20, v35
	v_lshl_add_u32 v0, v0, 23, 0x3c000000
	v_lshlrev_b32_sdwa v1, v1, v34 dst_sel:DWORD dst_unused:UNUSED_PAD src0_sel:DWORD src1_sel:BYTE_3
	v_and_b32_e32 v1, 0x80000000, v1
	v_or3_b32 v127, v2, v1, v0
.LBB380_337:                            ;   in Loop: Header=BB380_16 Depth=1
	s_or_b32 exec_lo, exec_lo, s27
.LBB380_338:                            ;   in Loop: Header=BB380_16 Depth=1
	s_or_b32 exec_lo, exec_lo, s26
.LBB380_339:                            ;   in Loop: Header=BB380_16 Depth=1
	s_or_b32 exec_lo, exec_lo, s25
	flat_load_dwordx2 v[33:34], v[31:32] offset:1032
	v_mov_b32_e32 v4, 0
	v_mov_b32_e32 v5, 0
	s_waitcnt vmcnt(0) lgkmcnt(0)
	v_cmp_ne_u16_sdwa s5, v33, v20 src0_sel:BYTE_0 src1_sel:DWORD
	s_and_saveexec_b32 s25, s5
	s_cbranch_execz .LBB380_347
; %bb.340:                              ;   in Loop: Header=BB380_16 Depth=1
	v_cmp_ne_u16_sdwa s5, v33, v42 src0_sel:BYTE_0 src1_sel:DWORD
	v_bfrev_b32_e32 v5, 1
	s_and_saveexec_b32 s26, s5
	s_cbranch_execz .LBB380_346
; %bb.341:                              ;   in Loop: Header=BB380_16 Depth=1
	v_and_b32_e32 v1, 0x7f, v33
	v_mov_b32_e32 v5, 0x7f800001
	s_mov_b32 s27, exec_lo
	v_cmpx_ne_u32_e32 0x7f, v1
	s_cbranch_execz .LBB380_345
; %bb.342:                              ;   in Loop: Header=BB380_16 Depth=1
	v_mov_b32_e32 v36, v34
	v_lshrrev_b32_e32 v0, 3, v1
	v_mov_b32_e32 v35, v33
	s_mov_b32 s28, exec_lo
	v_cmpx_gt_u32_e32 8, v1
; %bb.343:                              ;   in Loop: Header=BB380_16 Depth=1
	v_and_b32_e32 v0, 7, v33
	v_ffbh_u32_e32 v0, v0
	v_min_u32_e32 v0, 32, v0
	v_subrev_nc_u32_e32 v1, 28, v0
	v_sub_nc_u32_e32 v0, 29, v0
	v_lshlrev_b64 v[35:36], v1, v[33:34]
; %bb.344:                              ;   in Loop: Header=BB380_16 Depth=1
	s_or_b32 exec_lo, exec_lo, s28
	v_lshlrev_b32_e32 v1, 20, v35
	v_lshlrev_b32_e32 v2, 24, v33
	v_lshl_add_u32 v0, v0, 23, 0x3c000000
	v_and_b32_e32 v1, 0x700000, v1
	v_and_b32_e32 v2, 0x80000000, v2
	v_or3_b32 v5, v1, v2, v0
.LBB380_345:                            ;   in Loop: Header=BB380_16 Depth=1
	s_or_b32 exec_lo, exec_lo, s27
.LBB380_346:                            ;   in Loop: Header=BB380_16 Depth=1
	s_or_b32 exec_lo, exec_lo, s26
.LBB380_347:                            ;   in Loop: Header=BB380_16 Depth=1
	s_or_b32 exec_lo, exec_lo, s25
	v_cmp_ne_u16_sdwa s5, v33, v20 src0_sel:BYTE_1 src1_sel:DWORD
	s_and_saveexec_b32 s25, s5
	s_cbranch_execz .LBB380_355
; %bb.348:                              ;   in Loop: Header=BB380_16 Depth=1
	v_cmp_ne_u16_sdwa s5, v33, v42 src0_sel:BYTE_1 src1_sel:DWORD
	v_bfrev_b32_e32 v4, 1
	s_and_saveexec_b32 s26, s5
	s_cbranch_execz .LBB380_354
; %bb.349:                              ;   in Loop: Header=BB380_16 Depth=1
	v_mov_b32_e32 v0, 0xffff
	v_mov_b32_e32 v4, 0x7f800001
	s_mov_b32 s27, exec_lo
	v_and_b32_sdwa v0, v0, v33 dst_sel:DWORD dst_unused:UNUSED_PAD src0_sel:DWORD src1_sel:BYTE_1
	v_and_b32_e32 v1, 0x7f, v0
	v_cmpx_ne_u32_e32 0x7f, v1
	s_cbranch_execz .LBB380_353
; %bb.350:                              ;   in Loop: Header=BB380_16 Depth=1
	v_and_b32_e32 v19, 7, v0
	v_mov_b32_e32 v36, v20
	v_lshrrev_b32_e32 v0, 3, v1
	s_mov_b32 s28, exec_lo
	v_mov_b32_e32 v35, v19
	v_cmpx_gt_u32_e32 8, v1
; %bb.351:                              ;   in Loop: Header=BB380_16 Depth=1
	v_ffbh_u32_e32 v0, v19
	v_min_u32_e32 v0, 32, v0
	v_subrev_nc_u32_e32 v1, 28, v0
	v_sub_nc_u32_e32 v0, 29, v0
	v_lshlrev_b64 v[1:2], v1, v[19:20]
	v_and_b32_e32 v35, 7, v1
; %bb.352:                              ;   in Loop: Header=BB380_16 Depth=1
	s_or_b32 exec_lo, exec_lo, s28
	v_lshlrev_b32_e32 v1, 16, v33
	v_lshlrev_b32_e32 v2, 20, v35
	v_lshl_add_u32 v0, v0, 23, 0x3c000000
	v_and_b32_e32 v1, 0x80000000, v1
	v_or3_b32 v4, v2, v1, v0
.LBB380_353:                            ;   in Loop: Header=BB380_16 Depth=1
	s_or_b32 exec_lo, exec_lo, s27
.LBB380_354:                            ;   in Loop: Header=BB380_16 Depth=1
	s_or_b32 exec_lo, exec_lo, s26
.LBB380_355:                            ;   in Loop: Header=BB380_16 Depth=1
	s_or_b32 exec_lo, exec_lo, s25
	v_mov_b32_e32 v0, 0xff
	v_mov_b32_e32 v39, 0
	v_mov_b32_e32 v64, 0
	s_mov_b32 s25, exec_lo
	v_and_b32_sdwa v0, v33, v0 dst_sel:DWORD dst_unused:UNUSED_PAD src0_sel:WORD_1 src1_sel:DWORD
	v_cmpx_ne_u16_e32 0, v0
	s_cbranch_execz .LBB380_363
; %bb.356:                              ;   in Loop: Header=BB380_16 Depth=1
	v_bfrev_b32_e32 v64, 1
	s_mov_b32 s26, exec_lo
	v_cmpx_ne_u16_e32 0x80, v0
	s_cbranch_execz .LBB380_362
; %bb.357:                              ;   in Loop: Header=BB380_16 Depth=1
	v_bfe_u32 v1, v33, 16, 7
	v_mov_b32_e32 v64, 0x7f800001
	s_mov_b32 s27, exec_lo
	v_cmpx_ne_u32_e32 0x7f, v1
	s_cbranch_execz .LBB380_361
; %bb.358:                              ;   in Loop: Header=BB380_16 Depth=1
	v_mov_b32_e32 v0, 7
	s_mov_b32 s28, exec_lo
	v_and_b32_sdwa v19, v33, v0 dst_sel:DWORD dst_unused:UNUSED_PAD src0_sel:WORD_1 src1_sel:DWORD
	v_mov_b32_e32 v36, v20
	v_lshrrev_b32_e32 v0, 3, v1
	v_mov_b32_e32 v35, v19
	v_cmpx_gt_u32_e32 8, v1
; %bb.359:                              ;   in Loop: Header=BB380_16 Depth=1
	v_ffbh_u32_e32 v0, v19
	v_min_u32_e32 v0, 32, v0
	v_subrev_nc_u32_e32 v1, 28, v0
	v_sub_nc_u32_e32 v0, 29, v0
	v_lshlrev_b64 v[1:2], v1, v[19:20]
	v_and_b32_e32 v35, 7, v1
; %bb.360:                              ;   in Loop: Header=BB380_16 Depth=1
	s_or_b32 exec_lo, exec_lo, s28
	v_mov_b32_e32 v1, 24
	v_lshlrev_b32_e32 v2, 20, v35
	v_lshl_add_u32 v0, v0, 23, 0x3c000000
	v_lshlrev_b32_sdwa v1, v1, v33 dst_sel:DWORD dst_unused:UNUSED_PAD src0_sel:DWORD src1_sel:WORD_1
	v_and_b32_e32 v1, 0x80000000, v1
	v_or3_b32 v64, v2, v1, v0
.LBB380_361:                            ;   in Loop: Header=BB380_16 Depth=1
	s_or_b32 exec_lo, exec_lo, s27
.LBB380_362:                            ;   in Loop: Header=BB380_16 Depth=1
	s_or_b32 exec_lo, exec_lo, s26
.LBB380_363:                            ;   in Loop: Header=BB380_16 Depth=1
	s_or_b32 exec_lo, exec_lo, s25
	s_mov_b32 s25, exec_lo
	v_cmpx_lt_u32_e32 0xffffff, v33
	s_cbranch_execz .LBB380_371
; %bb.364:                              ;   in Loop: Header=BB380_16 Depth=1
	v_cmp_ne_u32_sdwa s5, v33, v42 src0_sel:BYTE_3 src1_sel:DWORD
	v_bfrev_b32_e32 v39, 1
	s_and_saveexec_b32 s26, s5
	s_cbranch_execz .LBB380_370
; %bb.365:                              ;   in Loop: Header=BB380_16 Depth=1
	v_bfe_u32 v1, v33, 24, 7
	v_mov_b32_e32 v39, 0x7f800001
	s_mov_b32 s27, exec_lo
	v_cmpx_ne_u32_e32 0x7f, v1
	s_cbranch_execz .LBB380_369
; %bb.366:                              ;   in Loop: Header=BB380_16 Depth=1
	v_mov_b32_e32 v0, 7
	s_mov_b32 s28, exec_lo
	v_and_b32_sdwa v19, v33, v0 dst_sel:DWORD dst_unused:UNUSED_PAD src0_sel:BYTE_3 src1_sel:DWORD
	v_mov_b32_e32 v36, v20
	v_lshrrev_b32_e32 v0, 3, v1
	v_mov_b32_e32 v35, v19
	v_cmpx_gt_u32_e32 8, v1
; %bb.367:                              ;   in Loop: Header=BB380_16 Depth=1
	v_ffbh_u32_e32 v0, v19
	v_min_u32_e32 v0, 32, v0
	v_subrev_nc_u32_e32 v1, 28, v0
	v_sub_nc_u32_e32 v0, 29, v0
	v_lshlrev_b64 v[1:2], v1, v[19:20]
	v_and_b32_e32 v35, 7, v1
; %bb.368:                              ;   in Loop: Header=BB380_16 Depth=1
	s_or_b32 exec_lo, exec_lo, s28
	v_mov_b32_e32 v1, 24
	v_lshlrev_b32_e32 v2, 20, v35
	v_lshl_add_u32 v0, v0, 23, 0x3c000000
	v_lshlrev_b32_sdwa v1, v1, v33 dst_sel:DWORD dst_unused:UNUSED_PAD src0_sel:DWORD src1_sel:BYTE_3
	v_and_b32_e32 v1, 0x80000000, v1
	v_or3_b32 v39, v2, v1, v0
.LBB380_369:                            ;   in Loop: Header=BB380_16 Depth=1
	s_or_b32 exec_lo, exec_lo, s27
.LBB380_370:                            ;   in Loop: Header=BB380_16 Depth=1
	s_or_b32 exec_lo, exec_lo, s26
.LBB380_371:                            ;   in Loop: Header=BB380_16 Depth=1
	s_or_b32 exec_lo, exec_lo, s25
	v_mov_b32_e32 v19, v34
	v_cmp_ne_u16_sdwa s5, v34, v20 src0_sel:BYTE_0 src1_sel:DWORD
	v_mov_b32_e32 v21, 0
	v_mov_b32_e32 v81, 0
	s_and_saveexec_b32 s25, s5
	s_cbranch_execz .LBB380_379
; %bb.372:                              ;   in Loop: Header=BB380_16 Depth=1
	v_cmp_ne_u16_sdwa s5, v34, v42 src0_sel:BYTE_0 src1_sel:DWORD
	v_bfrev_b32_e32 v81, 1
	s_and_saveexec_b32 s26, s5
	s_cbranch_execz .LBB380_378
; %bb.373:                              ;   in Loop: Header=BB380_16 Depth=1
	v_and_b32_e32 v1, 0x7f, v34
	v_mov_b32_e32 v81, 0x7f800001
	s_mov_b32 s27, exec_lo
	v_cmpx_ne_u32_e32 0x7f, v1
	s_cbranch_execz .LBB380_377
; %bb.374:                              ;   in Loop: Header=BB380_16 Depth=1
	v_mov_b32_e32 v36, v20
	v_lshrrev_b32_e32 v0, 3, v1
	v_mov_b32_e32 v35, v19
	s_mov_b32 s28, exec_lo
	v_cmpx_gt_u32_e32 8, v1
; %bb.375:                              ;   in Loop: Header=BB380_16 Depth=1
	v_and_b32_e32 v0, 7, v34
	v_ffbh_u32_e32 v0, v0
	v_min_u32_e32 v0, 32, v0
	v_subrev_nc_u32_e32 v1, 28, v0
	v_sub_nc_u32_e32 v0, 29, v0
	v_lshlrev_b64 v[35:36], v1, v[19:20]
; %bb.376:                              ;   in Loop: Header=BB380_16 Depth=1
	s_or_b32 exec_lo, exec_lo, s28
	v_lshlrev_b32_e32 v1, 20, v35
	v_lshlrev_b32_e32 v2, 24, v19
	v_lshl_add_u32 v0, v0, 23, 0x3c000000
	v_and_b32_e32 v1, 0x700000, v1
	v_and_b32_e32 v2, 0x80000000, v2
	v_or3_b32 v81, v1, v2, v0
.LBB380_377:                            ;   in Loop: Header=BB380_16 Depth=1
	s_or_b32 exec_lo, exec_lo, s27
.LBB380_378:                            ;   in Loop: Header=BB380_16 Depth=1
	s_or_b32 exec_lo, exec_lo, s26
.LBB380_379:                            ;   in Loop: Header=BB380_16 Depth=1
	s_or_b32 exec_lo, exec_lo, s25
	v_cmp_ne_u16_sdwa s5, v19, v20 src0_sel:BYTE_1 src1_sel:DWORD
	s_and_saveexec_b32 s25, s5
	s_cbranch_execz .LBB380_387
; %bb.380:                              ;   in Loop: Header=BB380_16 Depth=1
	v_cmp_ne_u16_sdwa s5, v19, v42 src0_sel:BYTE_1 src1_sel:DWORD
	v_bfrev_b32_e32 v21, 1
	s_and_saveexec_b32 s26, s5
	s_cbranch_execz .LBB380_386
; %bb.381:                              ;   in Loop: Header=BB380_16 Depth=1
	v_mov_b32_e32 v0, 0xffff
	v_mov_b32_e32 v21, 0x7f800001
	s_mov_b32 s27, exec_lo
	v_and_b32_sdwa v0, v0, v19 dst_sel:DWORD dst_unused:UNUSED_PAD src0_sel:DWORD src1_sel:BYTE_1
	v_and_b32_e32 v1, 0x7f, v0
	v_cmpx_ne_u32_e32 0x7f, v1
	s_cbranch_execz .LBB380_385
; %bb.382:                              ;   in Loop: Header=BB380_16 Depth=1
	v_and_b32_e32 v35, 7, v0
	v_mov_b32_e32 v36, v20
	v_lshrrev_b32_e32 v0, 3, v1
	s_mov_b32 s28, exec_lo
	v_cmpx_gt_u32_e32 8, v1
; %bb.383:                              ;   in Loop: Header=BB380_16 Depth=1
	v_ffbh_u32_e32 v0, v35
	v_min_u32_e32 v0, 32, v0
	v_subrev_nc_u32_e32 v1, 28, v0
	v_sub_nc_u32_e32 v0, 29, v0
	v_lshlrev_b64 v[1:2], v1, v[35:36]
	v_and_b32_e32 v35, 7, v1
; %bb.384:                              ;   in Loop: Header=BB380_16 Depth=1
	s_or_b32 exec_lo, exec_lo, s28
	v_lshlrev_b32_e32 v1, 16, v19
	v_lshlrev_b32_e32 v2, 20, v35
	v_lshl_add_u32 v0, v0, 23, 0x3c000000
	v_and_b32_e32 v1, 0x80000000, v1
	v_or3_b32 v21, v2, v1, v0
.LBB380_385:                            ;   in Loop: Header=BB380_16 Depth=1
	s_or_b32 exec_lo, exec_lo, s27
.LBB380_386:                            ;   in Loop: Header=BB380_16 Depth=1
	s_or_b32 exec_lo, exec_lo, s26
.LBB380_387:                            ;   in Loop: Header=BB380_16 Depth=1
	s_or_b32 exec_lo, exec_lo, s25
	v_mov_b32_e32 v0, 0xff
	v_mov_b32_e32 v11, 0
	;; [unrolled: 1-line block ×3, first 2 shown]
	s_mov_b32 s25, exec_lo
	v_and_b32_sdwa v0, v34, v0 dst_sel:DWORD dst_unused:UNUSED_PAD src0_sel:WORD_1 src1_sel:DWORD
	v_cmpx_ne_u16_e32 0, v0
	s_cbranch_execz .LBB380_395
; %bb.388:                              ;   in Loop: Header=BB380_16 Depth=1
	v_bfrev_b32_e32 v10, 1
	s_mov_b32 s26, exec_lo
	v_cmpx_ne_u16_e32 0x80, v0
	s_cbranch_execz .LBB380_394
; %bb.389:                              ;   in Loop: Header=BB380_16 Depth=1
	v_bfe_u32 v1, v34, 16, 7
	v_mov_b32_e32 v10, 0x7f800001
	s_mov_b32 s27, exec_lo
	v_cmpx_ne_u32_e32 0x7f, v1
	s_cbranch_execz .LBB380_393
; %bb.390:                              ;   in Loop: Header=BB380_16 Depth=1
	v_mov_b32_e32 v0, 7
	s_mov_b32 s28, exec_lo
	v_and_b32_sdwa v19, v34, v0 dst_sel:DWORD dst_unused:UNUSED_PAD src0_sel:WORD_1 src1_sel:DWORD
	v_mov_b32_e32 v36, v20
	v_lshrrev_b32_e32 v0, 3, v1
	v_mov_b32_e32 v35, v19
	v_cmpx_gt_u32_e32 8, v1
; %bb.391:                              ;   in Loop: Header=BB380_16 Depth=1
	v_ffbh_u32_e32 v0, v19
	v_min_u32_e32 v0, 32, v0
	v_subrev_nc_u32_e32 v1, 28, v0
	v_sub_nc_u32_e32 v0, 29, v0
	v_lshlrev_b64 v[1:2], v1, v[19:20]
	v_and_b32_e32 v35, 7, v1
; %bb.392:                              ;   in Loop: Header=BB380_16 Depth=1
	s_or_b32 exec_lo, exec_lo, s28
	v_mov_b32_e32 v1, 24
	v_lshlrev_b32_e32 v2, 20, v35
	v_lshl_add_u32 v0, v0, 23, 0x3c000000
	v_lshlrev_b32_sdwa v1, v1, v34 dst_sel:DWORD dst_unused:UNUSED_PAD src0_sel:DWORD src1_sel:WORD_1
	v_and_b32_e32 v1, 0x80000000, v1
	v_or3_b32 v10, v2, v1, v0
.LBB380_393:                            ;   in Loop: Header=BB380_16 Depth=1
	s_or_b32 exec_lo, exec_lo, s27
.LBB380_394:                            ;   in Loop: Header=BB380_16 Depth=1
	s_or_b32 exec_lo, exec_lo, s26
.LBB380_395:                            ;   in Loop: Header=BB380_16 Depth=1
	s_or_b32 exec_lo, exec_lo, s25
	s_mov_b32 s25, exec_lo
	v_cmpx_lt_u64_e64 s[20:21], v[33:34]
	s_cbranch_execz .LBB380_403
; %bb.396:                              ;   in Loop: Header=BB380_16 Depth=1
	v_cmp_ne_u32_sdwa s5, v34, v42 src0_sel:BYTE_3 src1_sel:DWORD
	v_bfrev_b32_e32 v11, 1
	s_and_saveexec_b32 s26, s5
	s_cbranch_execz .LBB380_402
; %bb.397:                              ;   in Loop: Header=BB380_16 Depth=1
	v_bfe_u32 v1, v34, 24, 7
	v_mov_b32_e32 v11, 0x7f800001
	s_mov_b32 s27, exec_lo
	v_cmpx_ne_u32_e32 0x7f, v1
	s_cbranch_execz .LBB380_401
; %bb.398:                              ;   in Loop: Header=BB380_16 Depth=1
	v_mov_b32_e32 v0, 7
	s_mov_b32 s28, exec_lo
	v_and_b32_sdwa v19, v34, v0 dst_sel:DWORD dst_unused:UNUSED_PAD src0_sel:BYTE_3 src1_sel:DWORD
	v_mov_b32_e32 v36, v20
	v_lshrrev_b32_e32 v0, 3, v1
	v_mov_b32_e32 v35, v19
	v_cmpx_gt_u32_e32 8, v1
; %bb.399:                              ;   in Loop: Header=BB380_16 Depth=1
	v_ffbh_u32_e32 v0, v19
	v_min_u32_e32 v0, 32, v0
	v_subrev_nc_u32_e32 v1, 28, v0
	v_sub_nc_u32_e32 v0, 29, v0
	v_lshlrev_b64 v[1:2], v1, v[19:20]
	v_and_b32_e32 v35, 7, v1
; %bb.400:                              ;   in Loop: Header=BB380_16 Depth=1
	s_or_b32 exec_lo, exec_lo, s28
	v_mov_b32_e32 v1, 24
	v_lshlrev_b32_e32 v2, 20, v35
	v_lshl_add_u32 v0, v0, 23, 0x3c000000
	v_lshlrev_b32_sdwa v1, v1, v34 dst_sel:DWORD dst_unused:UNUSED_PAD src0_sel:DWORD src1_sel:BYTE_3
	v_and_b32_e32 v1, 0x80000000, v1
	v_or3_b32 v11, v2, v1, v0
.LBB380_401:                            ;   in Loop: Header=BB380_16 Depth=1
	s_or_b32 exec_lo, exec_lo, s27
.LBB380_402:                            ;   in Loop: Header=BB380_16 Depth=1
	s_or_b32 exec_lo, exec_lo, s26
.LBB380_403:                            ;   in Loop: Header=BB380_16 Depth=1
	s_or_b32 exec_lo, exec_lo, s25
	flat_load_dwordx2 v[33:34], v[31:32] offset:1536
	v_mov_b32_e32 v0, 0
	v_mov_b32_e32 v1, 0
	s_waitcnt vmcnt(0) lgkmcnt(0)
	v_cmp_ne_u16_sdwa s5, v33, v20 src0_sel:BYTE_0 src1_sel:DWORD
	s_and_saveexec_b32 s25, s5
	s_cbranch_execz .LBB380_411
; %bb.404:                              ;   in Loop: Header=BB380_16 Depth=1
	v_cmp_ne_u16_sdwa s5, v33, v42 src0_sel:BYTE_0 src1_sel:DWORD
	v_bfrev_b32_e32 v1, 1
	s_and_saveexec_b32 s26, s5
	s_cbranch_execz .LBB380_410
; %bb.405:                              ;   in Loop: Header=BB380_16 Depth=1
	v_and_b32_e32 v2, 0x7f, v33
	v_mov_b32_e32 v1, 0x7f800001
	s_mov_b32 s27, exec_lo
	v_cmpx_ne_u32_e32 0x7f, v2
	s_cbranch_execz .LBB380_409
; %bb.406:                              ;   in Loop: Header=BB380_16 Depth=1
	v_mov_b32_e32 v36, v34
	v_lshrrev_b32_e32 v1, 3, v2
	v_mov_b32_e32 v35, v33
	s_mov_b32 s28, exec_lo
	v_cmpx_gt_u32_e32 8, v2
; %bb.407:                              ;   in Loop: Header=BB380_16 Depth=1
	v_and_b32_e32 v1, 7, v33
	v_ffbh_u32_e32 v1, v1
	v_min_u32_e32 v1, 32, v1
	v_subrev_nc_u32_e32 v2, 28, v1
	v_sub_nc_u32_e32 v1, 29, v1
	v_lshlrev_b64 v[35:36], v2, v[33:34]
; %bb.408:                              ;   in Loop: Header=BB380_16 Depth=1
	s_or_b32 exec_lo, exec_lo, s28
	v_lshlrev_b32_e32 v2, 20, v35
	v_lshlrev_b32_e32 v3, 24, v33
	v_lshl_add_u32 v1, v1, 23, 0x3c000000
	v_and_b32_e32 v2, 0x700000, v2
	v_and_b32_e32 v3, 0x80000000, v3
	v_or3_b32 v1, v2, v3, v1
.LBB380_409:                            ;   in Loop: Header=BB380_16 Depth=1
	s_or_b32 exec_lo, exec_lo, s27
.LBB380_410:                            ;   in Loop: Header=BB380_16 Depth=1
	s_or_b32 exec_lo, exec_lo, s26
.LBB380_411:                            ;   in Loop: Header=BB380_16 Depth=1
	s_or_b32 exec_lo, exec_lo, s25
	v_cmp_ne_u16_sdwa s5, v33, v20 src0_sel:BYTE_1 src1_sel:DWORD
	s_and_saveexec_b32 s25, s5
	s_cbranch_execz .LBB380_419
; %bb.412:                              ;   in Loop: Header=BB380_16 Depth=1
	v_cmp_ne_u16_sdwa s5, v33, v42 src0_sel:BYTE_1 src1_sel:DWORD
	v_bfrev_b32_e32 v0, 1
	s_and_saveexec_b32 s26, s5
	s_cbranch_execz .LBB380_418
; %bb.413:                              ;   in Loop: Header=BB380_16 Depth=1
	v_mov_b32_e32 v0, 0xffff
	s_mov_b32 s27, exec_lo
	v_and_b32_sdwa v3, v0, v33 dst_sel:DWORD dst_unused:UNUSED_PAD src0_sel:DWORD src1_sel:BYTE_1
	v_mov_b32_e32 v0, 0x7f800001
	v_and_b32_e32 v2, 0x7f, v3
	v_cmpx_ne_u32_e32 0x7f, v2
	s_cbranch_execz .LBB380_417
; %bb.414:                              ;   in Loop: Header=BB380_16 Depth=1
	v_and_b32_e32 v19, 7, v3
	v_mov_b32_e32 v36, v20
	v_lshrrev_b32_e32 v0, 3, v2
	s_mov_b32 s28, exec_lo
	v_mov_b32_e32 v35, v19
	v_cmpx_gt_u32_e32 8, v2
; %bb.415:                              ;   in Loop: Header=BB380_16 Depth=1
	v_ffbh_u32_e32 v0, v19
	v_min_u32_e32 v0, 32, v0
	v_subrev_nc_u32_e32 v2, 28, v0
	v_sub_nc_u32_e32 v0, 29, v0
	v_lshlrev_b64 v[2:3], v2, v[19:20]
	v_and_b32_e32 v35, 7, v2
; %bb.416:                              ;   in Loop: Header=BB380_16 Depth=1
	s_or_b32 exec_lo, exec_lo, s28
	v_lshlrev_b32_e32 v2, 16, v33
	v_lshlrev_b32_e32 v3, 20, v35
	v_lshl_add_u32 v0, v0, 23, 0x3c000000
	v_and_b32_e32 v2, 0x80000000, v2
	v_or3_b32 v0, v3, v2, v0
.LBB380_417:                            ;   in Loop: Header=BB380_16 Depth=1
	s_or_b32 exec_lo, exec_lo, s27
.LBB380_418:                            ;   in Loop: Header=BB380_16 Depth=1
	s_or_b32 exec_lo, exec_lo, s26
.LBB380_419:                            ;   in Loop: Header=BB380_16 Depth=1
	s_or_b32 exec_lo, exec_lo, s25
	v_mov_b32_e32 v2, 0xff
	v_mov_b32_e32 v3, 0
	s_mov_b32 s25, exec_lo
	v_and_b32_sdwa v6, v33, v2 dst_sel:DWORD dst_unused:UNUSED_PAD src0_sel:WORD_1 src1_sel:DWORD
	v_mov_b32_e32 v2, 0
	v_cmpx_ne_u16_e32 0, v6
	s_cbranch_execz .LBB380_427
; %bb.420:                              ;   in Loop: Header=BB380_16 Depth=1
	v_bfrev_b32_e32 v3, 1
	s_mov_b32 s26, exec_lo
	v_cmpx_ne_u16_e32 0x80, v6
	s_cbranch_execz .LBB380_426
; %bb.421:                              ;   in Loop: Header=BB380_16 Depth=1
	v_bfe_u32 v6, v33, 16, 7
	v_mov_b32_e32 v3, 0x7f800001
	s_mov_b32 s27, exec_lo
	v_cmpx_ne_u32_e32 0x7f, v6
	s_cbranch_execz .LBB380_425
; %bb.422:                              ;   in Loop: Header=BB380_16 Depth=1
	v_mov_b32_e32 v3, 7
	s_mov_b32 s28, exec_lo
	v_and_b32_sdwa v19, v33, v3 dst_sel:DWORD dst_unused:UNUSED_PAD src0_sel:WORD_1 src1_sel:DWORD
	v_mov_b32_e32 v36, v20
	v_lshrrev_b32_e32 v3, 3, v6
	v_mov_b32_e32 v35, v19
	v_cmpx_gt_u32_e32 8, v6
; %bb.423:                              ;   in Loop: Header=BB380_16 Depth=1
	v_ffbh_u32_e32 v3, v19
	v_min_u32_e32 v3, 32, v3
	v_subrev_nc_u32_e32 v6, 28, v3
	v_sub_nc_u32_e32 v3, 29, v3
	v_lshlrev_b64 v[6:7], v6, v[19:20]
	v_and_b32_e32 v35, 7, v6
; %bb.424:                              ;   in Loop: Header=BB380_16 Depth=1
	s_or_b32 exec_lo, exec_lo, s28
	v_mov_b32_e32 v6, 24
	v_lshlrev_b32_e32 v7, 20, v35
	v_lshl_add_u32 v3, v3, 23, 0x3c000000
	v_lshlrev_b32_sdwa v6, v6, v33 dst_sel:DWORD dst_unused:UNUSED_PAD src0_sel:DWORD src1_sel:WORD_1
	v_and_b32_e32 v6, 0x80000000, v6
	v_or3_b32 v3, v7, v6, v3
.LBB380_425:                            ;   in Loop: Header=BB380_16 Depth=1
	s_or_b32 exec_lo, exec_lo, s27
.LBB380_426:                            ;   in Loop: Header=BB380_16 Depth=1
	s_or_b32 exec_lo, exec_lo, s26
.LBB380_427:                            ;   in Loop: Header=BB380_16 Depth=1
	s_or_b32 exec_lo, exec_lo, s25
	s_mov_b32 s25, exec_lo
	v_cmpx_lt_u32_e32 0xffffff, v33
	s_cbranch_execz .LBB380_435
; %bb.428:                              ;   in Loop: Header=BB380_16 Depth=1
	v_cmp_ne_u32_sdwa s5, v33, v42 src0_sel:BYTE_3 src1_sel:DWORD
	v_bfrev_b32_e32 v2, 1
	s_and_saveexec_b32 s26, s5
	s_cbranch_execz .LBB380_434
; %bb.429:                              ;   in Loop: Header=BB380_16 Depth=1
	v_bfe_u32 v6, v33, 24, 7
	v_mov_b32_e32 v2, 0x7f800001
	s_mov_b32 s27, exec_lo
	v_cmpx_ne_u32_e32 0x7f, v6
	s_cbranch_execz .LBB380_433
; %bb.430:                              ;   in Loop: Header=BB380_16 Depth=1
	v_mov_b32_e32 v2, 7
	s_mov_b32 s28, exec_lo
	v_and_b32_sdwa v19, v33, v2 dst_sel:DWORD dst_unused:UNUSED_PAD src0_sel:BYTE_3 src1_sel:DWORD
	v_mov_b32_e32 v36, v20
	v_lshrrev_b32_e32 v2, 3, v6
	v_mov_b32_e32 v35, v19
	v_cmpx_gt_u32_e32 8, v6
; %bb.431:                              ;   in Loop: Header=BB380_16 Depth=1
	v_ffbh_u32_e32 v2, v19
	v_min_u32_e32 v2, 32, v2
	v_subrev_nc_u32_e32 v6, 28, v2
	v_sub_nc_u32_e32 v2, 29, v2
	v_lshlrev_b64 v[6:7], v6, v[19:20]
	v_and_b32_e32 v35, 7, v6
; %bb.432:                              ;   in Loop: Header=BB380_16 Depth=1
	s_or_b32 exec_lo, exec_lo, s28
	v_mov_b32_e32 v6, 24
	v_lshlrev_b32_e32 v7, 20, v35
	v_lshl_add_u32 v2, v2, 23, 0x3c000000
	v_lshlrev_b32_sdwa v6, v6, v33 dst_sel:DWORD dst_unused:UNUSED_PAD src0_sel:DWORD src1_sel:BYTE_3
	v_and_b32_e32 v6, 0x80000000, v6
	v_or3_b32 v2, v7, v6, v2
.LBB380_433:                            ;   in Loop: Header=BB380_16 Depth=1
	s_or_b32 exec_lo, exec_lo, s27
.LBB380_434:                            ;   in Loop: Header=BB380_16 Depth=1
	s_or_b32 exec_lo, exec_lo, s26
.LBB380_435:                            ;   in Loop: Header=BB380_16 Depth=1
	s_or_b32 exec_lo, exec_lo, s25
	v_mov_b32_e32 v19, v34
	v_cmp_ne_u16_sdwa s5, v34, v20 src0_sel:BYTE_0 src1_sel:DWORD
	v_mov_b32_e32 v6, 0
	v_mov_b32_e32 v48, 0
	s_and_saveexec_b32 s25, s5
	s_cbranch_execz .LBB380_443
; %bb.436:                              ;   in Loop: Header=BB380_16 Depth=1
	v_cmp_ne_u16_sdwa s5, v34, v42 src0_sel:BYTE_0 src1_sel:DWORD
	v_bfrev_b32_e32 v48, 1
	s_and_saveexec_b32 s26, s5
	s_cbranch_execz .LBB380_442
; %bb.437:                              ;   in Loop: Header=BB380_16 Depth=1
	v_and_b32_e32 v8, 0x7f, v34
	v_mov_b32_e32 v48, 0x7f800001
	s_mov_b32 s27, exec_lo
	v_cmpx_ne_u32_e32 0x7f, v8
	s_cbranch_execz .LBB380_441
; %bb.438:                              ;   in Loop: Header=BB380_16 Depth=1
	v_mov_b32_e32 v36, v20
	v_lshrrev_b32_e32 v7, 3, v8
	v_mov_b32_e32 v35, v19
	s_mov_b32 s28, exec_lo
	v_cmpx_gt_u32_e32 8, v8
; %bb.439:                              ;   in Loop: Header=BB380_16 Depth=1
	v_and_b32_e32 v7, 7, v34
	v_ffbh_u32_e32 v7, v7
	v_min_u32_e32 v7, 32, v7
	v_subrev_nc_u32_e32 v8, 28, v7
	v_sub_nc_u32_e32 v7, 29, v7
	v_lshlrev_b64 v[35:36], v8, v[19:20]
; %bb.440:                              ;   in Loop: Header=BB380_16 Depth=1
	s_or_b32 exec_lo, exec_lo, s28
	v_lshlrev_b32_e32 v8, 20, v35
	v_lshlrev_b32_e32 v9, 24, v19
	v_lshl_add_u32 v7, v7, 23, 0x3c000000
	v_and_b32_e32 v8, 0x700000, v8
	v_and_b32_e32 v9, 0x80000000, v9
	v_or3_b32 v48, v8, v9, v7
.LBB380_441:                            ;   in Loop: Header=BB380_16 Depth=1
	s_or_b32 exec_lo, exec_lo, s27
.LBB380_442:                            ;   in Loop: Header=BB380_16 Depth=1
	s_or_b32 exec_lo, exec_lo, s26
.LBB380_443:                            ;   in Loop: Header=BB380_16 Depth=1
	s_or_b32 exec_lo, exec_lo, s25
	v_cmp_ne_u16_sdwa s5, v19, v20 src0_sel:BYTE_1 src1_sel:DWORD
	s_and_saveexec_b32 s25, s5
	s_cbranch_execz .LBB380_451
; %bb.444:                              ;   in Loop: Header=BB380_16 Depth=1
	v_cmp_ne_u16_sdwa s5, v19, v42 src0_sel:BYTE_1 src1_sel:DWORD
	v_bfrev_b32_e32 v6, 1
	s_and_saveexec_b32 s26, s5
	s_cbranch_execz .LBB380_450
; %bb.445:                              ;   in Loop: Header=BB380_16 Depth=1
	v_mov_b32_e32 v6, 0xffff
	s_mov_b32 s27, exec_lo
	v_and_b32_sdwa v8, v6, v19 dst_sel:DWORD dst_unused:UNUSED_PAD src0_sel:DWORD src1_sel:BYTE_1
	v_mov_b32_e32 v6, 0x7f800001
	v_and_b32_e32 v7, 0x7f, v8
	v_cmpx_ne_u32_e32 0x7f, v7
	s_cbranch_execz .LBB380_449
; %bb.446:                              ;   in Loop: Header=BB380_16 Depth=1
	v_and_b32_e32 v35, 7, v8
	v_mov_b32_e32 v36, v20
	v_lshrrev_b32_e32 v6, 3, v7
	s_mov_b32 s28, exec_lo
	v_cmpx_gt_u32_e32 8, v7
; %bb.447:                              ;   in Loop: Header=BB380_16 Depth=1
	v_ffbh_u32_e32 v6, v35
	v_min_u32_e32 v6, 32, v6
	v_subrev_nc_u32_e32 v7, 28, v6
	v_sub_nc_u32_e32 v6, 29, v6
	v_lshlrev_b64 v[7:8], v7, v[35:36]
	v_and_b32_e32 v35, 7, v7
; %bb.448:                              ;   in Loop: Header=BB380_16 Depth=1
	s_or_b32 exec_lo, exec_lo, s28
	v_lshlrev_b32_e32 v7, 16, v19
	v_lshlrev_b32_e32 v8, 20, v35
	v_lshl_add_u32 v6, v6, 23, 0x3c000000
	v_and_b32_e32 v7, 0x80000000, v7
	v_or3_b32 v6, v8, v7, v6
.LBB380_449:                            ;   in Loop: Header=BB380_16 Depth=1
	s_or_b32 exec_lo, exec_lo, s27
.LBB380_450:                            ;   in Loop: Header=BB380_16 Depth=1
	s_or_b32 exec_lo, exec_lo, s26
.LBB380_451:                            ;   in Loop: Header=BB380_16 Depth=1
	s_or_b32 exec_lo, exec_lo, s25
	v_mov_b32_e32 v7, 0xff
	v_mov_b32_e32 v14, 0
	s_mov_b32 s25, exec_lo
	v_and_b32_sdwa v8, v34, v7 dst_sel:DWORD dst_unused:UNUSED_PAD src0_sel:WORD_1 src1_sel:DWORD
	v_mov_b32_e32 v7, 0
	v_cmpx_ne_u16_e32 0, v8
	s_cbranch_execz .LBB380_459
; %bb.452:                              ;   in Loop: Header=BB380_16 Depth=1
	v_bfrev_b32_e32 v14, 1
	s_mov_b32 s26, exec_lo
	v_cmpx_ne_u16_e32 0x80, v8
	s_cbranch_execz .LBB380_458
; %bb.453:                              ;   in Loop: Header=BB380_16 Depth=1
	v_bfe_u32 v9, v34, 16, 7
	v_mov_b32_e32 v14, 0x7f800001
	s_mov_b32 s27, exec_lo
	v_cmpx_ne_u32_e32 0x7f, v9
	s_cbranch_execz .LBB380_457
; %bb.454:                              ;   in Loop: Header=BB380_16 Depth=1
	v_mov_b32_e32 v8, 7
	s_mov_b32 s28, exec_lo
	v_and_b32_sdwa v19, v34, v8 dst_sel:DWORD dst_unused:UNUSED_PAD src0_sel:WORD_1 src1_sel:DWORD
	v_mov_b32_e32 v36, v20
	v_lshrrev_b32_e32 v8, 3, v9
	v_mov_b32_e32 v35, v19
	v_cmpx_gt_u32_e32 8, v9
; %bb.455:                              ;   in Loop: Header=BB380_16 Depth=1
	v_ffbh_u32_e32 v8, v19
	v_min_u32_e32 v8, 32, v8
	v_subrev_nc_u32_e32 v9, 28, v8
	v_sub_nc_u32_e32 v8, 29, v8
	v_lshlrev_b64 v[12:13], v9, v[19:20]
	v_and_b32_e32 v35, 7, v12
; %bb.456:                              ;   in Loop: Header=BB380_16 Depth=1
	s_or_b32 exec_lo, exec_lo, s28
	v_mov_b32_e32 v9, 24
	v_lshlrev_b32_e32 v12, 20, v35
	v_lshl_add_u32 v8, v8, 23, 0x3c000000
	v_lshlrev_b32_sdwa v9, v9, v34 dst_sel:DWORD dst_unused:UNUSED_PAD src0_sel:DWORD src1_sel:WORD_1
	v_and_b32_e32 v9, 0x80000000, v9
	v_or3_b32 v14, v12, v9, v8
.LBB380_457:                            ;   in Loop: Header=BB380_16 Depth=1
	s_or_b32 exec_lo, exec_lo, s27
.LBB380_458:                            ;   in Loop: Header=BB380_16 Depth=1
	s_or_b32 exec_lo, exec_lo, s26
.LBB380_459:                            ;   in Loop: Header=BB380_16 Depth=1
	s_or_b32 exec_lo, exec_lo, s25
	s_mov_b32 s25, exec_lo
	v_cmpx_lt_u64_e64 s[20:21], v[33:34]
	s_cbranch_execz .LBB380_467
; %bb.460:                              ;   in Loop: Header=BB380_16 Depth=1
	v_cmp_ne_u32_sdwa s5, v34, v42 src0_sel:BYTE_3 src1_sel:DWORD
	v_bfrev_b32_e32 v7, 1
	s_and_saveexec_b32 s26, s5
	s_cbranch_execz .LBB380_466
; %bb.461:                              ;   in Loop: Header=BB380_16 Depth=1
	v_bfe_u32 v8, v34, 24, 7
	v_mov_b32_e32 v7, 0x7f800001
	s_mov_b32 s27, exec_lo
	v_cmpx_ne_u32_e32 0x7f, v8
	s_cbranch_execz .LBB380_465
; %bb.462:                              ;   in Loop: Header=BB380_16 Depth=1
	v_mov_b32_e32 v7, 7
	s_mov_b32 s28, exec_lo
	v_and_b32_sdwa v19, v34, v7 dst_sel:DWORD dst_unused:UNUSED_PAD src0_sel:BYTE_3 src1_sel:DWORD
	v_mov_b32_e32 v36, v20
	v_lshrrev_b32_e32 v7, 3, v8
	v_mov_b32_e32 v35, v19
	v_cmpx_gt_u32_e32 8, v8
; %bb.463:                              ;   in Loop: Header=BB380_16 Depth=1
	v_ffbh_u32_e32 v7, v19
	v_min_u32_e32 v7, 32, v7
	v_subrev_nc_u32_e32 v8, 28, v7
	v_sub_nc_u32_e32 v7, 29, v7
	v_lshlrev_b64 v[8:9], v8, v[19:20]
	v_and_b32_e32 v35, 7, v8
; %bb.464:                              ;   in Loop: Header=BB380_16 Depth=1
	s_or_b32 exec_lo, exec_lo, s28
	v_mov_b32_e32 v8, 24
	v_lshlrev_b32_e32 v9, 20, v35
	v_lshl_add_u32 v7, v7, 23, 0x3c000000
	v_lshlrev_b32_sdwa v8, v8, v34 dst_sel:DWORD dst_unused:UNUSED_PAD src0_sel:DWORD src1_sel:BYTE_3
	v_and_b32_e32 v8, 0x80000000, v8
	v_or3_b32 v7, v9, v8, v7
.LBB380_465:                            ;   in Loop: Header=BB380_16 Depth=1
	s_or_b32 exec_lo, exec_lo, s27
.LBB380_466:                            ;   in Loop: Header=BB380_16 Depth=1
	s_or_b32 exec_lo, exec_lo, s26
.LBB380_467:                            ;   in Loop: Header=BB380_16 Depth=1
	s_or_b32 exec_lo, exec_lo, s25
	flat_load_dwordx2 v[33:34], v[31:32] offset:1544
	v_mov_b32_e32 v15, 0
	v_mov_b32_e32 v16, 0
	s_waitcnt vmcnt(0) lgkmcnt(0)
	v_cmp_ne_u16_sdwa s5, v33, v20 src0_sel:BYTE_0 src1_sel:DWORD
	s_and_saveexec_b32 s25, s5
	s_cbranch_execz .LBB380_475
; %bb.468:                              ;   in Loop: Header=BB380_16 Depth=1
	v_cmp_ne_u16_sdwa s5, v33, v42 src0_sel:BYTE_0 src1_sel:DWORD
	v_bfrev_b32_e32 v16, 1
	s_and_saveexec_b32 s26, s5
	s_cbranch_execz .LBB380_474
; %bb.469:                              ;   in Loop: Header=BB380_16 Depth=1
	v_and_b32_e32 v9, 0x7f, v33
	v_mov_b32_e32 v16, 0x7f800001
	s_mov_b32 s27, exec_lo
	v_cmpx_ne_u32_e32 0x7f, v9
	s_cbranch_execz .LBB380_473
; %bb.470:                              ;   in Loop: Header=BB380_16 Depth=1
	v_mov_b32_e32 v36, v34
	v_lshrrev_b32_e32 v8, 3, v9
	v_mov_b32_e32 v35, v33
	s_mov_b32 s28, exec_lo
	v_cmpx_gt_u32_e32 8, v9
; %bb.471:                              ;   in Loop: Header=BB380_16 Depth=1
	v_and_b32_e32 v8, 7, v33
	v_ffbh_u32_e32 v8, v8
	v_min_u32_e32 v8, 32, v8
	v_subrev_nc_u32_e32 v9, 28, v8
	v_sub_nc_u32_e32 v8, 29, v8
	v_lshlrev_b64 v[35:36], v9, v[33:34]
; %bb.472:                              ;   in Loop: Header=BB380_16 Depth=1
	s_or_b32 exec_lo, exec_lo, s28
	v_lshlrev_b32_e32 v9, 20, v35
	v_lshlrev_b32_e32 v12, 24, v33
	v_lshl_add_u32 v8, v8, 23, 0x3c000000
	v_and_b32_e32 v9, 0x700000, v9
	v_and_b32_e32 v12, 0x80000000, v12
	v_or3_b32 v16, v9, v12, v8
.LBB380_473:                            ;   in Loop: Header=BB380_16 Depth=1
	s_or_b32 exec_lo, exec_lo, s27
.LBB380_474:                            ;   in Loop: Header=BB380_16 Depth=1
	s_or_b32 exec_lo, exec_lo, s26
.LBB380_475:                            ;   in Loop: Header=BB380_16 Depth=1
	s_or_b32 exec_lo, exec_lo, s25
	v_cmp_ne_u16_sdwa s5, v33, v20 src0_sel:BYTE_1 src1_sel:DWORD
	s_and_saveexec_b32 s25, s5
	s_cbranch_execz .LBB380_483
; %bb.476:                              ;   in Loop: Header=BB380_16 Depth=1
	v_cmp_ne_u16_sdwa s5, v33, v42 src0_sel:BYTE_1 src1_sel:DWORD
	v_bfrev_b32_e32 v15, 1
	s_and_saveexec_b32 s26, s5
	s_cbranch_execz .LBB380_482
; %bb.477:                              ;   in Loop: Header=BB380_16 Depth=1
	v_mov_b32_e32 v8, 0xffff
	v_mov_b32_e32 v15, 0x7f800001
	s_mov_b32 s27, exec_lo
	v_and_b32_sdwa v8, v8, v33 dst_sel:DWORD dst_unused:UNUSED_PAD src0_sel:DWORD src1_sel:BYTE_1
	v_and_b32_e32 v9, 0x7f, v8
	v_cmpx_ne_u32_e32 0x7f, v9
	s_cbranch_execz .LBB380_481
; %bb.478:                              ;   in Loop: Header=BB380_16 Depth=1
	v_and_b32_e32 v19, 7, v8
	v_mov_b32_e32 v36, v20
	v_lshrrev_b32_e32 v8, 3, v9
	s_mov_b32 s28, exec_lo
	v_mov_b32_e32 v35, v19
	v_cmpx_gt_u32_e32 8, v9
; %bb.479:                              ;   in Loop: Header=BB380_16 Depth=1
	v_ffbh_u32_e32 v8, v19
	v_min_u32_e32 v8, 32, v8
	v_subrev_nc_u32_e32 v9, 28, v8
	v_sub_nc_u32_e32 v8, 29, v8
	v_lshlrev_b64 v[12:13], v9, v[19:20]
	v_and_b32_e32 v35, 7, v12
; %bb.480:                              ;   in Loop: Header=BB380_16 Depth=1
	s_or_b32 exec_lo, exec_lo, s28
	v_lshlrev_b32_e32 v9, 16, v33
	v_lshlrev_b32_e32 v12, 20, v35
	v_lshl_add_u32 v8, v8, 23, 0x3c000000
	v_and_b32_e32 v9, 0x80000000, v9
	v_or3_b32 v15, v12, v9, v8
.LBB380_481:                            ;   in Loop: Header=BB380_16 Depth=1
	s_or_b32 exec_lo, exec_lo, s27
.LBB380_482:                            ;   in Loop: Header=BB380_16 Depth=1
	s_or_b32 exec_lo, exec_lo, s26
.LBB380_483:                            ;   in Loop: Header=BB380_16 Depth=1
	s_or_b32 exec_lo, exec_lo, s25
	v_mov_b32_e32 v8, 0xff
	v_mov_b32_e32 v54, 0
	;; [unrolled: 1-line block ×3, first 2 shown]
	s_mov_b32 s25, exec_lo
	v_and_b32_sdwa v8, v33, v8 dst_sel:DWORD dst_unused:UNUSED_PAD src0_sel:WORD_1 src1_sel:DWORD
	v_cmpx_ne_u16_e32 0, v8
	s_cbranch_execz .LBB380_491
; %bb.484:                              ;   in Loop: Header=BB380_16 Depth=1
	v_bfrev_b32_e32 v50, 1
	s_mov_b32 s26, exec_lo
	v_cmpx_ne_u16_e32 0x80, v8
	s_cbranch_execz .LBB380_490
; %bb.485:                              ;   in Loop: Header=BB380_16 Depth=1
	v_bfe_u32 v9, v33, 16, 7
	v_mov_b32_e32 v50, 0x7f800001
	s_mov_b32 s27, exec_lo
	v_cmpx_ne_u32_e32 0x7f, v9
	s_cbranch_execz .LBB380_489
; %bb.486:                              ;   in Loop: Header=BB380_16 Depth=1
	v_mov_b32_e32 v8, 7
	s_mov_b32 s28, exec_lo
	v_and_b32_sdwa v19, v33, v8 dst_sel:DWORD dst_unused:UNUSED_PAD src0_sel:WORD_1 src1_sel:DWORD
	v_mov_b32_e32 v36, v20
	v_lshrrev_b32_e32 v8, 3, v9
	v_mov_b32_e32 v35, v19
	v_cmpx_gt_u32_e32 8, v9
; %bb.487:                              ;   in Loop: Header=BB380_16 Depth=1
	v_ffbh_u32_e32 v8, v19
	v_min_u32_e32 v8, 32, v8
	v_subrev_nc_u32_e32 v9, 28, v8
	v_sub_nc_u32_e32 v8, 29, v8
	v_lshlrev_b64 v[12:13], v9, v[19:20]
	v_and_b32_e32 v35, 7, v12
; %bb.488:                              ;   in Loop: Header=BB380_16 Depth=1
	s_or_b32 exec_lo, exec_lo, s28
	v_mov_b32_e32 v9, 24
	v_lshlrev_b32_e32 v12, 20, v35
	v_lshl_add_u32 v8, v8, 23, 0x3c000000
	v_lshlrev_b32_sdwa v9, v9, v33 dst_sel:DWORD dst_unused:UNUSED_PAD src0_sel:DWORD src1_sel:WORD_1
	v_and_b32_e32 v9, 0x80000000, v9
	v_or3_b32 v50, v12, v9, v8
.LBB380_489:                            ;   in Loop: Header=BB380_16 Depth=1
	s_or_b32 exec_lo, exec_lo, s27
.LBB380_490:                            ;   in Loop: Header=BB380_16 Depth=1
	s_or_b32 exec_lo, exec_lo, s26
.LBB380_491:                            ;   in Loop: Header=BB380_16 Depth=1
	s_or_b32 exec_lo, exec_lo, s25
	s_mov_b32 s25, exec_lo
	v_cmpx_lt_u32_e32 0xffffff, v33
	s_cbranch_execz .LBB380_499
; %bb.492:                              ;   in Loop: Header=BB380_16 Depth=1
	v_cmp_ne_u32_sdwa s5, v33, v42 src0_sel:BYTE_3 src1_sel:DWORD
	v_bfrev_b32_e32 v54, 1
	s_and_saveexec_b32 s26, s5
	s_cbranch_execz .LBB380_498
; %bb.493:                              ;   in Loop: Header=BB380_16 Depth=1
	v_bfe_u32 v9, v33, 24, 7
	v_mov_b32_e32 v54, 0x7f800001
	s_mov_b32 s27, exec_lo
	v_cmpx_ne_u32_e32 0x7f, v9
	s_cbranch_execz .LBB380_497
; %bb.494:                              ;   in Loop: Header=BB380_16 Depth=1
	v_mov_b32_e32 v8, 7
	s_mov_b32 s28, exec_lo
	v_and_b32_sdwa v19, v33, v8 dst_sel:DWORD dst_unused:UNUSED_PAD src0_sel:BYTE_3 src1_sel:DWORD
	v_mov_b32_e32 v36, v20
	v_lshrrev_b32_e32 v8, 3, v9
	v_mov_b32_e32 v35, v19
	v_cmpx_gt_u32_e32 8, v9
; %bb.495:                              ;   in Loop: Header=BB380_16 Depth=1
	v_ffbh_u32_e32 v8, v19
	v_min_u32_e32 v8, 32, v8
	v_subrev_nc_u32_e32 v9, 28, v8
	v_sub_nc_u32_e32 v8, 29, v8
	v_lshlrev_b64 v[12:13], v9, v[19:20]
	v_and_b32_e32 v35, 7, v12
; %bb.496:                              ;   in Loop: Header=BB380_16 Depth=1
	s_or_b32 exec_lo, exec_lo, s28
	v_mov_b32_e32 v9, 24
	v_lshlrev_b32_e32 v12, 20, v35
	v_lshl_add_u32 v8, v8, 23, 0x3c000000
	v_lshlrev_b32_sdwa v9, v9, v33 dst_sel:DWORD dst_unused:UNUSED_PAD src0_sel:DWORD src1_sel:BYTE_3
	v_and_b32_e32 v9, 0x80000000, v9
	v_or3_b32 v54, v12, v9, v8
.LBB380_497:                            ;   in Loop: Header=BB380_16 Depth=1
	s_or_b32 exec_lo, exec_lo, s27
.LBB380_498:                            ;   in Loop: Header=BB380_16 Depth=1
	s_or_b32 exec_lo, exec_lo, s26
.LBB380_499:                            ;   in Loop: Header=BB380_16 Depth=1
	s_or_b32 exec_lo, exec_lo, s25
	v_mov_b32_e32 v19, v34
	v_cmp_ne_u16_sdwa s5, v34, v20 src0_sel:BYTE_0 src1_sel:DWORD
	v_mov_b32_e32 v37, 0
	v_mov_b32_e32 v12, 0
	s_and_saveexec_b32 s25, s5
	s_cbranch_execz .LBB380_507
; %bb.500:                              ;   in Loop: Header=BB380_16 Depth=1
	v_cmp_ne_u16_sdwa s5, v34, v42 src0_sel:BYTE_0 src1_sel:DWORD
	v_bfrev_b32_e32 v12, 1
	s_and_saveexec_b32 s26, s5
	s_cbranch_execz .LBB380_506
; %bb.501:                              ;   in Loop: Header=BB380_16 Depth=1
	v_and_b32_e32 v9, 0x7f, v34
	v_mov_b32_e32 v12, 0x7f800001
	s_mov_b32 s27, exec_lo
	v_cmpx_ne_u32_e32 0x7f, v9
	s_cbranch_execz .LBB380_505
; %bb.502:                              ;   in Loop: Header=BB380_16 Depth=1
	v_mov_b32_e32 v36, v20
	v_lshrrev_b32_e32 v8, 3, v9
	v_mov_b32_e32 v35, v19
	s_mov_b32 s28, exec_lo
	v_cmpx_gt_u32_e32 8, v9
; %bb.503:                              ;   in Loop: Header=BB380_16 Depth=1
	v_and_b32_e32 v8, 7, v34
	v_ffbh_u32_e32 v8, v8
	v_min_u32_e32 v8, 32, v8
	v_subrev_nc_u32_e32 v9, 28, v8
	v_sub_nc_u32_e32 v8, 29, v8
	v_lshlrev_b64 v[35:36], v9, v[19:20]
; %bb.504:                              ;   in Loop: Header=BB380_16 Depth=1
	s_or_b32 exec_lo, exec_lo, s28
	v_lshlrev_b32_e32 v9, 20, v35
	v_lshlrev_b32_e32 v12, 24, v19
	v_lshl_add_u32 v8, v8, 23, 0x3c000000
	v_and_b32_e32 v9, 0x700000, v9
	v_and_b32_e32 v12, 0x80000000, v12
	v_or3_b32 v12, v9, v12, v8
.LBB380_505:                            ;   in Loop: Header=BB380_16 Depth=1
	s_or_b32 exec_lo, exec_lo, s27
.LBB380_506:                            ;   in Loop: Header=BB380_16 Depth=1
	s_or_b32 exec_lo, exec_lo, s26
.LBB380_507:                            ;   in Loop: Header=BB380_16 Depth=1
	s_or_b32 exec_lo, exec_lo, s25
	v_cmp_ne_u16_sdwa s5, v19, v20 src0_sel:BYTE_1 src1_sel:DWORD
	s_and_saveexec_b32 s25, s5
	s_cbranch_execz .LBB380_515
; %bb.508:                              ;   in Loop: Header=BB380_16 Depth=1
	v_cmp_ne_u16_sdwa s5, v19, v42 src0_sel:BYTE_1 src1_sel:DWORD
	v_bfrev_b32_e32 v37, 1
	s_and_saveexec_b32 s26, s5
	s_cbranch_execz .LBB380_514
; %bb.509:                              ;   in Loop: Header=BB380_16 Depth=1
	v_mov_b32_e32 v8, 0xffff
	v_mov_b32_e32 v37, 0x7f800001
	s_mov_b32 s27, exec_lo
	v_and_b32_sdwa v8, v8, v19 dst_sel:DWORD dst_unused:UNUSED_PAD src0_sel:DWORD src1_sel:BYTE_1
	v_and_b32_e32 v9, 0x7f, v8
	v_cmpx_ne_u32_e32 0x7f, v9
	s_cbranch_execz .LBB380_513
; %bb.510:                              ;   in Loop: Header=BB380_16 Depth=1
	v_and_b32_e32 v35, 7, v8
	v_mov_b32_e32 v36, v20
	v_lshrrev_b32_e32 v8, 3, v9
	s_mov_b32 s28, exec_lo
	v_cmpx_gt_u32_e32 8, v9
; %bb.511:                              ;   in Loop: Header=BB380_16 Depth=1
	v_ffbh_u32_e32 v8, v35
	v_min_u32_e32 v8, 32, v8
	v_subrev_nc_u32_e32 v9, 28, v8
	v_sub_nc_u32_e32 v8, 29, v8
	v_lshlrev_b64 v[17:18], v9, v[35:36]
	v_and_b32_e32 v35, 7, v17
; %bb.512:                              ;   in Loop: Header=BB380_16 Depth=1
	s_or_b32 exec_lo, exec_lo, s28
	v_lshlrev_b32_e32 v9, 16, v19
	v_lshlrev_b32_e32 v13, 20, v35
	v_lshl_add_u32 v8, v8, 23, 0x3c000000
	v_and_b32_e32 v9, 0x80000000, v9
	v_or3_b32 v37, v13, v9, v8
.LBB380_513:                            ;   in Loop: Header=BB380_16 Depth=1
	s_or_b32 exec_lo, exec_lo, s27
.LBB380_514:                            ;   in Loop: Header=BB380_16 Depth=1
	s_or_b32 exec_lo, exec_lo, s26
.LBB380_515:                            ;   in Loop: Header=BB380_16 Depth=1
	s_or_b32 exec_lo, exec_lo, s25
	v_mov_b32_e32 v8, 0xff
	v_mov_b32_e32 v27, 0
	;; [unrolled: 1-line block ×3, first 2 shown]
	s_mov_b32 s25, exec_lo
	v_and_b32_sdwa v8, v34, v8 dst_sel:DWORD dst_unused:UNUSED_PAD src0_sel:WORD_1 src1_sel:DWORD
	v_cmpx_ne_u16_e32 0, v8
	s_cbranch_execz .LBB380_523
; %bb.516:                              ;   in Loop: Header=BB380_16 Depth=1
	v_bfrev_b32_e32 v26, 1
	s_mov_b32 s26, exec_lo
	v_cmpx_ne_u16_e32 0x80, v8
	s_cbranch_execz .LBB380_522
; %bb.517:                              ;   in Loop: Header=BB380_16 Depth=1
	v_bfe_u32 v9, v34, 16, 7
	v_mov_b32_e32 v26, 0x7f800001
	s_mov_b32 s27, exec_lo
	v_cmpx_ne_u32_e32 0x7f, v9
	s_cbranch_execz .LBB380_521
; %bb.518:                              ;   in Loop: Header=BB380_16 Depth=1
	v_mov_b32_e32 v8, 7
	s_mov_b32 s28, exec_lo
	v_and_b32_sdwa v19, v34, v8 dst_sel:DWORD dst_unused:UNUSED_PAD src0_sel:WORD_1 src1_sel:DWORD
	v_mov_b32_e32 v36, v20
	v_lshrrev_b32_e32 v8, 3, v9
	v_mov_b32_e32 v35, v19
	v_cmpx_gt_u32_e32 8, v9
; %bb.519:                              ;   in Loop: Header=BB380_16 Depth=1
	v_ffbh_u32_e32 v8, v19
	v_min_u32_e32 v8, 32, v8
	v_subrev_nc_u32_e32 v9, 28, v8
	v_sub_nc_u32_e32 v8, 29, v8
	v_lshlrev_b64 v[17:18], v9, v[19:20]
	v_and_b32_e32 v35, 7, v17
; %bb.520:                              ;   in Loop: Header=BB380_16 Depth=1
	s_or_b32 exec_lo, exec_lo, s28
	v_mov_b32_e32 v9, 24
	v_lshlrev_b32_e32 v13, 20, v35
	v_lshl_add_u32 v8, v8, 23, 0x3c000000
	v_lshlrev_b32_sdwa v9, v9, v34 dst_sel:DWORD dst_unused:UNUSED_PAD src0_sel:DWORD src1_sel:WORD_1
	v_and_b32_e32 v9, 0x80000000, v9
	v_or3_b32 v26, v13, v9, v8
.LBB380_521:                            ;   in Loop: Header=BB380_16 Depth=1
	s_or_b32 exec_lo, exec_lo, s27
.LBB380_522:                            ;   in Loop: Header=BB380_16 Depth=1
	s_or_b32 exec_lo, exec_lo, s26
.LBB380_523:                            ;   in Loop: Header=BB380_16 Depth=1
	s_or_b32 exec_lo, exec_lo, s25
	s_mov_b32 s25, exec_lo
	v_cmpx_lt_u64_e64 s[20:21], v[33:34]
	s_cbranch_execz .LBB380_531
; %bb.524:                              ;   in Loop: Header=BB380_16 Depth=1
	v_cmp_ne_u32_sdwa s5, v34, v42 src0_sel:BYTE_3 src1_sel:DWORD
	v_bfrev_b32_e32 v27, 1
	s_and_saveexec_b32 s26, s5
	s_cbranch_execz .LBB380_530
; %bb.525:                              ;   in Loop: Header=BB380_16 Depth=1
	v_bfe_u32 v9, v34, 24, 7
	v_mov_b32_e32 v27, 0x7f800001
	s_mov_b32 s27, exec_lo
	v_cmpx_ne_u32_e32 0x7f, v9
	s_cbranch_execz .LBB380_529
; %bb.526:                              ;   in Loop: Header=BB380_16 Depth=1
	v_mov_b32_e32 v8, 7
	s_mov_b32 s28, exec_lo
	v_and_b32_sdwa v19, v34, v8 dst_sel:DWORD dst_unused:UNUSED_PAD src0_sel:BYTE_3 src1_sel:DWORD
	v_mov_b32_e32 v36, v20
	v_lshrrev_b32_e32 v8, 3, v9
	v_mov_b32_e32 v35, v19
	v_cmpx_gt_u32_e32 8, v9
; %bb.527:                              ;   in Loop: Header=BB380_16 Depth=1
	v_ffbh_u32_e32 v8, v19
	v_min_u32_e32 v8, 32, v8
	v_subrev_nc_u32_e32 v9, 28, v8
	v_sub_nc_u32_e32 v8, 29, v8
	v_lshlrev_b64 v[17:18], v9, v[19:20]
	v_and_b32_e32 v35, 7, v17
; %bb.528:                              ;   in Loop: Header=BB380_16 Depth=1
	s_or_b32 exec_lo, exec_lo, s28
	v_mov_b32_e32 v9, 24
	v_lshlrev_b32_e32 v13, 20, v35
	v_lshl_add_u32 v8, v8, 23, 0x3c000000
	v_lshlrev_b32_sdwa v9, v9, v34 dst_sel:DWORD dst_unused:UNUSED_PAD src0_sel:DWORD src1_sel:BYTE_3
	v_and_b32_e32 v9, 0x80000000, v9
	v_or3_b32 v27, v13, v9, v8
.LBB380_529:                            ;   in Loop: Header=BB380_16 Depth=1
	s_or_b32 exec_lo, exec_lo, s27
.LBB380_530:                            ;   in Loop: Header=BB380_16 Depth=1
	s_or_b32 exec_lo, exec_lo, s26
.LBB380_531:                            ;   in Loop: Header=BB380_16 Depth=1
	s_or_b32 exec_lo, exec_lo, s25
	v_add_co_u32 v31, s5, 0x800, v31
	v_add_co_ci_u32_e64 v32, null, 0, v32, s5
	v_mov_b32_e32 v30, 0
	v_mov_b32_e32 v65, 0
	flat_load_dwordx2 v[33:34], v[31:32]
	s_waitcnt vmcnt(0) lgkmcnt(0)
	v_cmp_ne_u16_sdwa s5, v33, v20 src0_sel:BYTE_0 src1_sel:DWORD
	s_and_saveexec_b32 s25, s5
	s_cbranch_execz .LBB380_539
; %bb.532:                              ;   in Loop: Header=BB380_16 Depth=1
	v_cmp_ne_u16_sdwa s5, v33, v42 src0_sel:BYTE_0 src1_sel:DWORD
	v_bfrev_b32_e32 v65, 1
	s_and_saveexec_b32 s26, s5
	s_cbranch_execz .LBB380_538
; %bb.533:                              ;   in Loop: Header=BB380_16 Depth=1
	v_and_b32_e32 v9, 0x7f, v33
	v_mov_b32_e32 v65, 0x7f800001
	s_mov_b32 s27, exec_lo
	v_cmpx_ne_u32_e32 0x7f, v9
	s_cbranch_execz .LBB380_537
; %bb.534:                              ;   in Loop: Header=BB380_16 Depth=1
	v_mov_b32_e32 v36, v34
	v_lshrrev_b32_e32 v8, 3, v9
	v_mov_b32_e32 v35, v33
	s_mov_b32 s28, exec_lo
	v_cmpx_gt_u32_e32 8, v9
; %bb.535:                              ;   in Loop: Header=BB380_16 Depth=1
	v_and_b32_e32 v8, 7, v33
	v_ffbh_u32_e32 v8, v8
	v_min_u32_e32 v8, 32, v8
	v_subrev_nc_u32_e32 v9, 28, v8
	v_sub_nc_u32_e32 v8, 29, v8
	v_lshlrev_b64 v[35:36], v9, v[33:34]
; %bb.536:                              ;   in Loop: Header=BB380_16 Depth=1
	s_or_b32 exec_lo, exec_lo, s28
	v_lshlrev_b32_e32 v9, 20, v35
	v_lshlrev_b32_e32 v13, 24, v33
	v_lshl_add_u32 v8, v8, 23, 0x3c000000
	v_and_b32_e32 v9, 0x700000, v9
	v_and_b32_e32 v13, 0x80000000, v13
	v_or3_b32 v65, v9, v13, v8
.LBB380_537:                            ;   in Loop: Header=BB380_16 Depth=1
	s_or_b32 exec_lo, exec_lo, s27
.LBB380_538:                            ;   in Loop: Header=BB380_16 Depth=1
	s_or_b32 exec_lo, exec_lo, s26
.LBB380_539:                            ;   in Loop: Header=BB380_16 Depth=1
	s_or_b32 exec_lo, exec_lo, s25
	v_cmp_ne_u16_sdwa s5, v33, v20 src0_sel:BYTE_1 src1_sel:DWORD
	s_and_saveexec_b32 s25, s5
	s_cbranch_execz .LBB380_547
; %bb.540:                              ;   in Loop: Header=BB380_16 Depth=1
	v_cmp_ne_u16_sdwa s5, v33, v42 src0_sel:BYTE_1 src1_sel:DWORD
	v_bfrev_b32_e32 v30, 1
	s_and_saveexec_b32 s26, s5
	s_cbranch_execz .LBB380_546
; %bb.541:                              ;   in Loop: Header=BB380_16 Depth=1
	v_mov_b32_e32 v8, 0xffff
	v_mov_b32_e32 v30, 0x7f800001
	s_mov_b32 s27, exec_lo
	v_and_b32_sdwa v8, v8, v33 dst_sel:DWORD dst_unused:UNUSED_PAD src0_sel:DWORD src1_sel:BYTE_1
	v_and_b32_e32 v9, 0x7f, v8
	v_cmpx_ne_u32_e32 0x7f, v9
	s_cbranch_execz .LBB380_545
; %bb.542:                              ;   in Loop: Header=BB380_16 Depth=1
	v_and_b32_e32 v19, 7, v8
	v_mov_b32_e32 v36, v20
	v_lshrrev_b32_e32 v8, 3, v9
	s_mov_b32 s28, exec_lo
	v_mov_b32_e32 v35, v19
	v_cmpx_gt_u32_e32 8, v9
; %bb.543:                              ;   in Loop: Header=BB380_16 Depth=1
	v_ffbh_u32_e32 v8, v19
	v_min_u32_e32 v8, 32, v8
	v_subrev_nc_u32_e32 v9, 28, v8
	v_sub_nc_u32_e32 v8, 29, v8
	v_lshlrev_b64 v[17:18], v9, v[19:20]
	v_and_b32_e32 v35, 7, v17
; %bb.544:                              ;   in Loop: Header=BB380_16 Depth=1
	s_or_b32 exec_lo, exec_lo, s28
	v_lshlrev_b32_e32 v9, 16, v33
	v_lshlrev_b32_e32 v13, 20, v35
	v_lshl_add_u32 v8, v8, 23, 0x3c000000
	v_and_b32_e32 v9, 0x80000000, v9
	v_or3_b32 v30, v13, v9, v8
.LBB380_545:                            ;   in Loop: Header=BB380_16 Depth=1
	s_or_b32 exec_lo, exec_lo, s27
.LBB380_546:                            ;   in Loop: Header=BB380_16 Depth=1
	s_or_b32 exec_lo, exec_lo, s26
.LBB380_547:                            ;   in Loop: Header=BB380_16 Depth=1
	s_or_b32 exec_lo, exec_lo, s25
	v_mov_b32_e32 v8, 0xff
	v_mov_b32_e32 v66, 0
	v_mov_b32_e32 v22, 0
	s_mov_b32 s25, exec_lo
	v_and_b32_sdwa v8, v33, v8 dst_sel:DWORD dst_unused:UNUSED_PAD src0_sel:WORD_1 src1_sel:DWORD
	v_cmpx_ne_u16_e32 0, v8
	s_cbranch_execz .LBB380_555
; %bb.548:                              ;   in Loop: Header=BB380_16 Depth=1
	v_bfrev_b32_e32 v22, 1
	s_mov_b32 s26, exec_lo
	v_cmpx_ne_u16_e32 0x80, v8
	s_cbranch_execz .LBB380_554
; %bb.549:                              ;   in Loop: Header=BB380_16 Depth=1
	v_bfe_u32 v9, v33, 16, 7
	v_mov_b32_e32 v22, 0x7f800001
	s_mov_b32 s27, exec_lo
	v_cmpx_ne_u32_e32 0x7f, v9
	s_cbranch_execz .LBB380_553
; %bb.550:                              ;   in Loop: Header=BB380_16 Depth=1
	v_mov_b32_e32 v8, 7
	s_mov_b32 s28, exec_lo
	v_and_b32_sdwa v19, v33, v8 dst_sel:DWORD dst_unused:UNUSED_PAD src0_sel:WORD_1 src1_sel:DWORD
	v_mov_b32_e32 v36, v20
	v_lshrrev_b32_e32 v8, 3, v9
	v_mov_b32_e32 v35, v19
	v_cmpx_gt_u32_e32 8, v9
; %bb.551:                              ;   in Loop: Header=BB380_16 Depth=1
	v_ffbh_u32_e32 v8, v19
	v_min_u32_e32 v8, 32, v8
	v_subrev_nc_u32_e32 v9, 28, v8
	v_sub_nc_u32_e32 v8, 29, v8
	v_lshlrev_b64 v[17:18], v9, v[19:20]
	v_and_b32_e32 v35, 7, v17
; %bb.552:                              ;   in Loop: Header=BB380_16 Depth=1
	s_or_b32 exec_lo, exec_lo, s28
	v_mov_b32_e32 v9, 24
	v_lshlrev_b32_e32 v13, 20, v35
	v_lshl_add_u32 v8, v8, 23, 0x3c000000
	v_lshlrev_b32_sdwa v9, v9, v33 dst_sel:DWORD dst_unused:UNUSED_PAD src0_sel:DWORD src1_sel:WORD_1
	v_and_b32_e32 v9, 0x80000000, v9
	v_or3_b32 v22, v13, v9, v8
.LBB380_553:                            ;   in Loop: Header=BB380_16 Depth=1
	s_or_b32 exec_lo, exec_lo, s27
.LBB380_554:                            ;   in Loop: Header=BB380_16 Depth=1
	s_or_b32 exec_lo, exec_lo, s26
.LBB380_555:                            ;   in Loop: Header=BB380_16 Depth=1
	s_or_b32 exec_lo, exec_lo, s25
	s_mov_b32 s25, exec_lo
	v_cmpx_lt_u32_e32 0xffffff, v33
	s_cbranch_execz .LBB380_563
; %bb.556:                              ;   in Loop: Header=BB380_16 Depth=1
	v_cmp_ne_u32_sdwa s5, v33, v42 src0_sel:BYTE_3 src1_sel:DWORD
	v_bfrev_b32_e32 v66, 1
	s_and_saveexec_b32 s26, s5
	s_cbranch_execz .LBB380_562
; %bb.557:                              ;   in Loop: Header=BB380_16 Depth=1
	v_bfe_u32 v9, v33, 24, 7
	v_mov_b32_e32 v66, 0x7f800001
	s_mov_b32 s27, exec_lo
	v_cmpx_ne_u32_e32 0x7f, v9
	s_cbranch_execz .LBB380_561
; %bb.558:                              ;   in Loop: Header=BB380_16 Depth=1
	v_mov_b32_e32 v8, 7
	s_mov_b32 s28, exec_lo
	v_and_b32_sdwa v19, v33, v8 dst_sel:DWORD dst_unused:UNUSED_PAD src0_sel:BYTE_3 src1_sel:DWORD
	v_mov_b32_e32 v36, v20
	v_lshrrev_b32_e32 v8, 3, v9
	v_mov_b32_e32 v35, v19
	v_cmpx_gt_u32_e32 8, v9
; %bb.559:                              ;   in Loop: Header=BB380_16 Depth=1
	v_ffbh_u32_e32 v8, v19
	v_min_u32_e32 v8, 32, v8
	v_subrev_nc_u32_e32 v9, 28, v8
	v_sub_nc_u32_e32 v8, 29, v8
	v_lshlrev_b64 v[17:18], v9, v[19:20]
	v_and_b32_e32 v35, 7, v17
; %bb.560:                              ;   in Loop: Header=BB380_16 Depth=1
	s_or_b32 exec_lo, exec_lo, s28
	v_mov_b32_e32 v9, 24
	v_lshlrev_b32_e32 v13, 20, v35
	v_lshl_add_u32 v8, v8, 23, 0x3c000000
	v_lshlrev_b32_sdwa v9, v9, v33 dst_sel:DWORD dst_unused:UNUSED_PAD src0_sel:DWORD src1_sel:BYTE_3
	v_and_b32_e32 v9, 0x80000000, v9
	v_or3_b32 v66, v13, v9, v8
.LBB380_561:                            ;   in Loop: Header=BB380_16 Depth=1
	s_or_b32 exec_lo, exec_lo, s27
.LBB380_562:                            ;   in Loop: Header=BB380_16 Depth=1
	s_or_b32 exec_lo, exec_lo, s26
.LBB380_563:                            ;   in Loop: Header=BB380_16 Depth=1
	s_or_b32 exec_lo, exec_lo, s25
	v_mov_b32_e32 v19, v34
	v_cmp_ne_u16_sdwa s5, v34, v20 src0_sel:BYTE_0 src1_sel:DWORD
	v_mov_b32_e32 v51, 0
	v_mov_b32_e32 v67, 0
	s_and_saveexec_b32 s25, s5
	s_cbranch_execz .LBB380_571
; %bb.564:                              ;   in Loop: Header=BB380_16 Depth=1
	v_cmp_ne_u16_sdwa s5, v34, v42 src0_sel:BYTE_0 src1_sel:DWORD
	v_bfrev_b32_e32 v67, 1
	s_and_saveexec_b32 s26, s5
	s_cbranch_execz .LBB380_570
; %bb.565:                              ;   in Loop: Header=BB380_16 Depth=1
	v_and_b32_e32 v9, 0x7f, v34
	v_mov_b32_e32 v67, 0x7f800001
	s_mov_b32 s27, exec_lo
	v_cmpx_ne_u32_e32 0x7f, v9
	s_cbranch_execz .LBB380_569
; %bb.566:                              ;   in Loop: Header=BB380_16 Depth=1
	v_mov_b32_e32 v36, v20
	v_lshrrev_b32_e32 v8, 3, v9
	v_mov_b32_e32 v35, v19
	s_mov_b32 s28, exec_lo
	v_cmpx_gt_u32_e32 8, v9
; %bb.567:                              ;   in Loop: Header=BB380_16 Depth=1
	v_and_b32_e32 v8, 7, v34
	v_ffbh_u32_e32 v8, v8
	v_min_u32_e32 v8, 32, v8
	v_subrev_nc_u32_e32 v9, 28, v8
	v_sub_nc_u32_e32 v8, 29, v8
	v_lshlrev_b64 v[35:36], v9, v[19:20]
; %bb.568:                              ;   in Loop: Header=BB380_16 Depth=1
	s_or_b32 exec_lo, exec_lo, s28
	v_lshlrev_b32_e32 v9, 20, v35
	v_lshlrev_b32_e32 v13, 24, v19
	v_lshl_add_u32 v8, v8, 23, 0x3c000000
	v_and_b32_e32 v9, 0x700000, v9
	v_and_b32_e32 v13, 0x80000000, v13
	v_or3_b32 v67, v9, v13, v8
.LBB380_569:                            ;   in Loop: Header=BB380_16 Depth=1
	s_or_b32 exec_lo, exec_lo, s27
.LBB380_570:                            ;   in Loop: Header=BB380_16 Depth=1
	s_or_b32 exec_lo, exec_lo, s26
.LBB380_571:                            ;   in Loop: Header=BB380_16 Depth=1
	s_or_b32 exec_lo, exec_lo, s25
	v_cmp_ne_u16_sdwa s5, v19, v20 src0_sel:BYTE_1 src1_sel:DWORD
	s_and_saveexec_b32 s25, s5
	s_cbranch_execz .LBB380_579
; %bb.572:                              ;   in Loop: Header=BB380_16 Depth=1
	v_cmp_ne_u16_sdwa s5, v19, v42 src0_sel:BYTE_1 src1_sel:DWORD
	v_bfrev_b32_e32 v51, 1
	s_and_saveexec_b32 s26, s5
	s_cbranch_execz .LBB380_578
; %bb.573:                              ;   in Loop: Header=BB380_16 Depth=1
	v_mov_b32_e32 v8, 0xffff
	v_mov_b32_e32 v51, 0x7f800001
	s_mov_b32 s27, exec_lo
	v_and_b32_sdwa v8, v8, v19 dst_sel:DWORD dst_unused:UNUSED_PAD src0_sel:DWORD src1_sel:BYTE_1
	v_and_b32_e32 v9, 0x7f, v8
	v_cmpx_ne_u32_e32 0x7f, v9
	s_cbranch_execz .LBB380_577
; %bb.574:                              ;   in Loop: Header=BB380_16 Depth=1
	v_and_b32_e32 v35, 7, v8
	v_mov_b32_e32 v36, v20
	v_lshrrev_b32_e32 v8, 3, v9
	s_mov_b32 s28, exec_lo
	v_cmpx_gt_u32_e32 8, v9
; %bb.575:                              ;   in Loop: Header=BB380_16 Depth=1
	v_ffbh_u32_e32 v8, v35
	v_min_u32_e32 v8, 32, v8
	v_subrev_nc_u32_e32 v9, 28, v8
	v_sub_nc_u32_e32 v8, 29, v8
	v_lshlrev_b64 v[17:18], v9, v[35:36]
	v_and_b32_e32 v35, 7, v17
; %bb.576:                              ;   in Loop: Header=BB380_16 Depth=1
	s_or_b32 exec_lo, exec_lo, s28
	v_lshlrev_b32_e32 v9, 16, v19
	v_lshlrev_b32_e32 v13, 20, v35
	v_lshl_add_u32 v8, v8, 23, 0x3c000000
	v_and_b32_e32 v9, 0x80000000, v9
	v_or3_b32 v51, v13, v9, v8
.LBB380_577:                            ;   in Loop: Header=BB380_16 Depth=1
	s_or_b32 exec_lo, exec_lo, s27
.LBB380_578:                            ;   in Loop: Header=BB380_16 Depth=1
	s_or_b32 exec_lo, exec_lo, s26
.LBB380_579:                            ;   in Loop: Header=BB380_16 Depth=1
	s_or_b32 exec_lo, exec_lo, s25
	v_mov_b32_e32 v8, 0xff
	v_mov_b32_e32 v53, 0
	;; [unrolled: 1-line block ×3, first 2 shown]
	s_mov_b32 s25, exec_lo
	v_and_b32_sdwa v8, v34, v8 dst_sel:DWORD dst_unused:UNUSED_PAD src0_sel:WORD_1 src1_sel:DWORD
	v_cmpx_ne_u16_e32 0, v8
	s_cbranch_execz .LBB380_587
; %bb.580:                              ;   in Loop: Header=BB380_16 Depth=1
	v_bfrev_b32_e32 v68, 1
	s_mov_b32 s26, exec_lo
	v_cmpx_ne_u16_e32 0x80, v8
	s_cbranch_execz .LBB380_586
; %bb.581:                              ;   in Loop: Header=BB380_16 Depth=1
	v_bfe_u32 v9, v34, 16, 7
	v_mov_b32_e32 v68, 0x7f800001
	s_mov_b32 s27, exec_lo
	v_cmpx_ne_u32_e32 0x7f, v9
	s_cbranch_execz .LBB380_585
; %bb.582:                              ;   in Loop: Header=BB380_16 Depth=1
	v_mov_b32_e32 v8, 7
	s_mov_b32 s28, exec_lo
	v_and_b32_sdwa v19, v34, v8 dst_sel:DWORD dst_unused:UNUSED_PAD src0_sel:WORD_1 src1_sel:DWORD
	v_mov_b32_e32 v36, v20
	v_lshrrev_b32_e32 v8, 3, v9
	v_mov_b32_e32 v35, v19
	v_cmpx_gt_u32_e32 8, v9
; %bb.583:                              ;   in Loop: Header=BB380_16 Depth=1
	v_ffbh_u32_e32 v8, v19
	v_min_u32_e32 v8, 32, v8
	v_subrev_nc_u32_e32 v9, 28, v8
	v_sub_nc_u32_e32 v8, 29, v8
	v_lshlrev_b64 v[17:18], v9, v[19:20]
	v_and_b32_e32 v35, 7, v17
; %bb.584:                              ;   in Loop: Header=BB380_16 Depth=1
	s_or_b32 exec_lo, exec_lo, s28
	v_mov_b32_e32 v9, 24
	v_lshlrev_b32_e32 v13, 20, v35
	v_lshl_add_u32 v8, v8, 23, 0x3c000000
	v_lshlrev_b32_sdwa v9, v9, v34 dst_sel:DWORD dst_unused:UNUSED_PAD src0_sel:DWORD src1_sel:WORD_1
	v_and_b32_e32 v9, 0x80000000, v9
	v_or3_b32 v68, v13, v9, v8
.LBB380_585:                            ;   in Loop: Header=BB380_16 Depth=1
	s_or_b32 exec_lo, exec_lo, s27
.LBB380_586:                            ;   in Loop: Header=BB380_16 Depth=1
	s_or_b32 exec_lo, exec_lo, s26
.LBB380_587:                            ;   in Loop: Header=BB380_16 Depth=1
	s_or_b32 exec_lo, exec_lo, s25
	s_mov_b32 s25, exec_lo
	v_cmpx_lt_u64_e64 s[20:21], v[33:34]
	s_cbranch_execz .LBB380_595
; %bb.588:                              ;   in Loop: Header=BB380_16 Depth=1
	v_cmp_ne_u32_sdwa s5, v34, v42 src0_sel:BYTE_3 src1_sel:DWORD
	v_bfrev_b32_e32 v53, 1
	s_and_saveexec_b32 s26, s5
	s_cbranch_execz .LBB380_594
; %bb.589:                              ;   in Loop: Header=BB380_16 Depth=1
	v_bfe_u32 v9, v34, 24, 7
	v_mov_b32_e32 v53, 0x7f800001
	s_mov_b32 s27, exec_lo
	v_cmpx_ne_u32_e32 0x7f, v9
	s_cbranch_execz .LBB380_593
; %bb.590:                              ;   in Loop: Header=BB380_16 Depth=1
	v_mov_b32_e32 v8, 7
	s_mov_b32 s28, exec_lo
	v_and_b32_sdwa v19, v34, v8 dst_sel:DWORD dst_unused:UNUSED_PAD src0_sel:BYTE_3 src1_sel:DWORD
	v_mov_b32_e32 v36, v20
	v_lshrrev_b32_e32 v8, 3, v9
	v_mov_b32_e32 v35, v19
	v_cmpx_gt_u32_e32 8, v9
; %bb.591:                              ;   in Loop: Header=BB380_16 Depth=1
	v_ffbh_u32_e32 v8, v19
	v_min_u32_e32 v8, 32, v8
	v_subrev_nc_u32_e32 v9, 28, v8
	v_sub_nc_u32_e32 v8, 29, v8
	v_lshlrev_b64 v[17:18], v9, v[19:20]
	v_and_b32_e32 v35, 7, v17
; %bb.592:                              ;   in Loop: Header=BB380_16 Depth=1
	s_or_b32 exec_lo, exec_lo, s28
	v_mov_b32_e32 v9, 24
	v_lshlrev_b32_e32 v13, 20, v35
	v_lshl_add_u32 v8, v8, 23, 0x3c000000
	v_lshlrev_b32_sdwa v9, v9, v34 dst_sel:DWORD dst_unused:UNUSED_PAD src0_sel:DWORD src1_sel:BYTE_3
	v_and_b32_e32 v9, 0x80000000, v9
	v_or3_b32 v53, v13, v9, v8
.LBB380_593:                            ;   in Loop: Header=BB380_16 Depth=1
	s_or_b32 exec_lo, exec_lo, s27
.LBB380_594:                            ;   in Loop: Header=BB380_16 Depth=1
	s_or_b32 exec_lo, exec_lo, s26
.LBB380_595:                            ;   in Loop: Header=BB380_16 Depth=1
	s_or_b32 exec_lo, exec_lo, s25
	flat_load_dwordx2 v[33:34], v[31:32] offset:8
	v_mov_b32_e32 v70, 0
	v_mov_b32_e32 v69, 0
	s_waitcnt vmcnt(0) lgkmcnt(0)
	v_cmp_ne_u16_sdwa s5, v33, v20 src0_sel:BYTE_0 src1_sel:DWORD
	s_and_saveexec_b32 s25, s5
	s_cbranch_execz .LBB380_603
; %bb.596:                              ;   in Loop: Header=BB380_16 Depth=1
	v_cmp_ne_u16_sdwa s5, v33, v42 src0_sel:BYTE_0 src1_sel:DWORD
	v_bfrev_b32_e32 v69, 1
	s_and_saveexec_b32 s26, s5
	s_cbranch_execz .LBB380_602
; %bb.597:                              ;   in Loop: Header=BB380_16 Depth=1
	v_and_b32_e32 v9, 0x7f, v33
	v_mov_b32_e32 v69, 0x7f800001
	s_mov_b32 s27, exec_lo
	v_cmpx_ne_u32_e32 0x7f, v9
	s_cbranch_execz .LBB380_601
; %bb.598:                              ;   in Loop: Header=BB380_16 Depth=1
	v_mov_b32_e32 v36, v34
	v_lshrrev_b32_e32 v8, 3, v9
	v_mov_b32_e32 v35, v33
	s_mov_b32 s28, exec_lo
	v_cmpx_gt_u32_e32 8, v9
; %bb.599:                              ;   in Loop: Header=BB380_16 Depth=1
	v_and_b32_e32 v8, 7, v33
	v_ffbh_u32_e32 v8, v8
	v_min_u32_e32 v8, 32, v8
	v_subrev_nc_u32_e32 v9, 28, v8
	v_sub_nc_u32_e32 v8, 29, v8
	v_lshlrev_b64 v[35:36], v9, v[33:34]
; %bb.600:                              ;   in Loop: Header=BB380_16 Depth=1
	s_or_b32 exec_lo, exec_lo, s28
	v_lshlrev_b32_e32 v9, 20, v35
	v_lshlrev_b32_e32 v13, 24, v33
	v_lshl_add_u32 v8, v8, 23, 0x3c000000
	v_and_b32_e32 v9, 0x700000, v9
	v_and_b32_e32 v13, 0x80000000, v13
	v_or3_b32 v69, v9, v13, v8
.LBB380_601:                            ;   in Loop: Header=BB380_16 Depth=1
	s_or_b32 exec_lo, exec_lo, s27
.LBB380_602:                            ;   in Loop: Header=BB380_16 Depth=1
	s_or_b32 exec_lo, exec_lo, s26
.LBB380_603:                            ;   in Loop: Header=BB380_16 Depth=1
	s_or_b32 exec_lo, exec_lo, s25
	v_cmp_ne_u16_sdwa s5, v33, v20 src0_sel:BYTE_1 src1_sel:DWORD
	s_and_saveexec_b32 s25, s5
	s_cbranch_execz .LBB380_611
; %bb.604:                              ;   in Loop: Header=BB380_16 Depth=1
	v_cmp_ne_u16_sdwa s5, v33, v42 src0_sel:BYTE_1 src1_sel:DWORD
	v_bfrev_b32_e32 v70, 1
	s_and_saveexec_b32 s26, s5
	s_cbranch_execz .LBB380_610
; %bb.605:                              ;   in Loop: Header=BB380_16 Depth=1
	v_mov_b32_e32 v8, 0xffff
	v_mov_b32_e32 v70, 0x7f800001
	s_mov_b32 s27, exec_lo
	v_and_b32_sdwa v8, v8, v33 dst_sel:DWORD dst_unused:UNUSED_PAD src0_sel:DWORD src1_sel:BYTE_1
	v_and_b32_e32 v9, 0x7f, v8
	v_cmpx_ne_u32_e32 0x7f, v9
	s_cbranch_execz .LBB380_609
; %bb.606:                              ;   in Loop: Header=BB380_16 Depth=1
	v_and_b32_e32 v19, 7, v8
	v_mov_b32_e32 v36, v20
	v_lshrrev_b32_e32 v8, 3, v9
	s_mov_b32 s28, exec_lo
	v_mov_b32_e32 v35, v19
	v_cmpx_gt_u32_e32 8, v9
; %bb.607:                              ;   in Loop: Header=BB380_16 Depth=1
	v_ffbh_u32_e32 v8, v19
	v_min_u32_e32 v8, 32, v8
	v_subrev_nc_u32_e32 v9, 28, v8
	v_sub_nc_u32_e32 v8, 29, v8
	v_lshlrev_b64 v[17:18], v9, v[19:20]
	v_and_b32_e32 v35, 7, v17
; %bb.608:                              ;   in Loop: Header=BB380_16 Depth=1
	s_or_b32 exec_lo, exec_lo, s28
	v_lshlrev_b32_e32 v9, 16, v33
	v_lshlrev_b32_e32 v13, 20, v35
	v_lshl_add_u32 v8, v8, 23, 0x3c000000
	v_and_b32_e32 v9, 0x80000000, v9
	v_or3_b32 v70, v13, v9, v8
.LBB380_609:                            ;   in Loop: Header=BB380_16 Depth=1
	s_or_b32 exec_lo, exec_lo, s27
.LBB380_610:                            ;   in Loop: Header=BB380_16 Depth=1
	s_or_b32 exec_lo, exec_lo, s26
.LBB380_611:                            ;   in Loop: Header=BB380_16 Depth=1
	s_or_b32 exec_lo, exec_lo, s25
	v_mov_b32_e32 v8, 0xff
	v_mov_b32_e32 v80, 0
	;; [unrolled: 1-line block ×3, first 2 shown]
	s_mov_b32 s25, exec_lo
	v_and_b32_sdwa v8, v33, v8 dst_sel:DWORD dst_unused:UNUSED_PAD src0_sel:WORD_1 src1_sel:DWORD
	v_cmpx_ne_u16_e32 0, v8
	s_cbranch_execz .LBB380_619
; %bb.612:                              ;   in Loop: Header=BB380_16 Depth=1
	v_bfrev_b32_e32 v71, 1
	s_mov_b32 s26, exec_lo
	v_cmpx_ne_u16_e32 0x80, v8
	s_cbranch_execz .LBB380_618
; %bb.613:                              ;   in Loop: Header=BB380_16 Depth=1
	v_bfe_u32 v9, v33, 16, 7
	v_mov_b32_e32 v71, 0x7f800001
	s_mov_b32 s27, exec_lo
	v_cmpx_ne_u32_e32 0x7f, v9
	s_cbranch_execz .LBB380_617
; %bb.614:                              ;   in Loop: Header=BB380_16 Depth=1
	v_mov_b32_e32 v8, 7
	s_mov_b32 s28, exec_lo
	v_and_b32_sdwa v19, v33, v8 dst_sel:DWORD dst_unused:UNUSED_PAD src0_sel:WORD_1 src1_sel:DWORD
	v_mov_b32_e32 v36, v20
	v_lshrrev_b32_e32 v8, 3, v9
	v_mov_b32_e32 v35, v19
	v_cmpx_gt_u32_e32 8, v9
; %bb.615:                              ;   in Loop: Header=BB380_16 Depth=1
	v_ffbh_u32_e32 v8, v19
	v_min_u32_e32 v8, 32, v8
	v_subrev_nc_u32_e32 v9, 28, v8
	v_sub_nc_u32_e32 v8, 29, v8
	v_lshlrev_b64 v[17:18], v9, v[19:20]
	v_and_b32_e32 v35, 7, v17
; %bb.616:                              ;   in Loop: Header=BB380_16 Depth=1
	s_or_b32 exec_lo, exec_lo, s28
	v_mov_b32_e32 v9, 24
	v_lshlrev_b32_e32 v13, 20, v35
	v_lshl_add_u32 v8, v8, 23, 0x3c000000
	v_lshlrev_b32_sdwa v9, v9, v33 dst_sel:DWORD dst_unused:UNUSED_PAD src0_sel:DWORD src1_sel:WORD_1
	v_and_b32_e32 v9, 0x80000000, v9
	v_or3_b32 v71, v13, v9, v8
.LBB380_617:                            ;   in Loop: Header=BB380_16 Depth=1
	s_or_b32 exec_lo, exec_lo, s27
.LBB380_618:                            ;   in Loop: Header=BB380_16 Depth=1
	s_or_b32 exec_lo, exec_lo, s26
.LBB380_619:                            ;   in Loop: Header=BB380_16 Depth=1
	s_or_b32 exec_lo, exec_lo, s25
	s_mov_b32 s25, exec_lo
	v_cmpx_lt_u32_e32 0xffffff, v33
	s_cbranch_execz .LBB380_627
; %bb.620:                              ;   in Loop: Header=BB380_16 Depth=1
	v_cmp_ne_u32_sdwa s5, v33, v42 src0_sel:BYTE_3 src1_sel:DWORD
	v_bfrev_b32_e32 v80, 1
	s_and_saveexec_b32 s26, s5
	s_cbranch_execz .LBB380_626
; %bb.621:                              ;   in Loop: Header=BB380_16 Depth=1
	v_bfe_u32 v9, v33, 24, 7
	v_mov_b32_e32 v80, 0x7f800001
	s_mov_b32 s27, exec_lo
	v_cmpx_ne_u32_e32 0x7f, v9
	s_cbranch_execz .LBB380_625
; %bb.622:                              ;   in Loop: Header=BB380_16 Depth=1
	v_mov_b32_e32 v8, 7
	s_mov_b32 s28, exec_lo
	v_and_b32_sdwa v19, v33, v8 dst_sel:DWORD dst_unused:UNUSED_PAD src0_sel:BYTE_3 src1_sel:DWORD
	v_mov_b32_e32 v36, v20
	v_lshrrev_b32_e32 v8, 3, v9
	v_mov_b32_e32 v35, v19
	v_cmpx_gt_u32_e32 8, v9
; %bb.623:                              ;   in Loop: Header=BB380_16 Depth=1
	v_ffbh_u32_e32 v8, v19
	v_min_u32_e32 v8, 32, v8
	v_subrev_nc_u32_e32 v9, 28, v8
	v_sub_nc_u32_e32 v8, 29, v8
	v_lshlrev_b64 v[17:18], v9, v[19:20]
	v_and_b32_e32 v35, 7, v17
; %bb.624:                              ;   in Loop: Header=BB380_16 Depth=1
	s_or_b32 exec_lo, exec_lo, s28
	v_mov_b32_e32 v9, 24
	v_lshlrev_b32_e32 v13, 20, v35
	v_lshl_add_u32 v8, v8, 23, 0x3c000000
	v_lshlrev_b32_sdwa v9, v9, v33 dst_sel:DWORD dst_unused:UNUSED_PAD src0_sel:DWORD src1_sel:BYTE_3
	v_and_b32_e32 v9, 0x80000000, v9
	v_or3_b32 v80, v13, v9, v8
.LBB380_625:                            ;   in Loop: Header=BB380_16 Depth=1
	s_or_b32 exec_lo, exec_lo, s27
.LBB380_626:                            ;   in Loop: Header=BB380_16 Depth=1
	s_or_b32 exec_lo, exec_lo, s26
.LBB380_627:                            ;   in Loop: Header=BB380_16 Depth=1
	s_or_b32 exec_lo, exec_lo, s25
	v_mov_b32_e32 v19, v34
	v_cmp_ne_u16_sdwa s5, v34, v20 src0_sel:BYTE_0 src1_sel:DWORD
	v_mov_b32_e32 v83, 0
	v_mov_b32_e32 v82, 0
	s_and_saveexec_b32 s25, s5
	s_cbranch_execz .LBB380_635
; %bb.628:                              ;   in Loop: Header=BB380_16 Depth=1
	v_cmp_ne_u16_sdwa s5, v34, v42 src0_sel:BYTE_0 src1_sel:DWORD
	v_bfrev_b32_e32 v82, 1
	s_and_saveexec_b32 s26, s5
	s_cbranch_execz .LBB380_634
; %bb.629:                              ;   in Loop: Header=BB380_16 Depth=1
	v_and_b32_e32 v9, 0x7f, v34
	v_mov_b32_e32 v82, 0x7f800001
	s_mov_b32 s27, exec_lo
	v_cmpx_ne_u32_e32 0x7f, v9
	s_cbranch_execz .LBB380_633
; %bb.630:                              ;   in Loop: Header=BB380_16 Depth=1
	v_mov_b32_e32 v36, v20
	v_lshrrev_b32_e32 v8, 3, v9
	v_mov_b32_e32 v35, v19
	s_mov_b32 s28, exec_lo
	v_cmpx_gt_u32_e32 8, v9
; %bb.631:                              ;   in Loop: Header=BB380_16 Depth=1
	v_and_b32_e32 v8, 7, v34
	v_ffbh_u32_e32 v8, v8
	v_min_u32_e32 v8, 32, v8
	v_subrev_nc_u32_e32 v9, 28, v8
	v_sub_nc_u32_e32 v8, 29, v8
	v_lshlrev_b64 v[35:36], v9, v[19:20]
; %bb.632:                              ;   in Loop: Header=BB380_16 Depth=1
	s_or_b32 exec_lo, exec_lo, s28
	v_lshlrev_b32_e32 v9, 20, v35
	v_lshlrev_b32_e32 v13, 24, v19
	v_lshl_add_u32 v8, v8, 23, 0x3c000000
	v_and_b32_e32 v9, 0x700000, v9
	v_and_b32_e32 v13, 0x80000000, v13
	v_or3_b32 v82, v9, v13, v8
.LBB380_633:                            ;   in Loop: Header=BB380_16 Depth=1
	s_or_b32 exec_lo, exec_lo, s27
.LBB380_634:                            ;   in Loop: Header=BB380_16 Depth=1
	s_or_b32 exec_lo, exec_lo, s26
.LBB380_635:                            ;   in Loop: Header=BB380_16 Depth=1
	s_or_b32 exec_lo, exec_lo, s25
	v_cmp_ne_u16_sdwa s5, v19, v20 src0_sel:BYTE_1 src1_sel:DWORD
	s_and_saveexec_b32 s25, s5
	s_cbranch_execz .LBB380_643
; %bb.636:                              ;   in Loop: Header=BB380_16 Depth=1
	v_cmp_ne_u16_sdwa s5, v19, v42 src0_sel:BYTE_1 src1_sel:DWORD
	v_bfrev_b32_e32 v83, 1
	s_and_saveexec_b32 s26, s5
	s_cbranch_execz .LBB380_642
; %bb.637:                              ;   in Loop: Header=BB380_16 Depth=1
	v_mov_b32_e32 v8, 0xffff
	v_mov_b32_e32 v83, 0x7f800001
	s_mov_b32 s27, exec_lo
	v_and_b32_sdwa v8, v8, v19 dst_sel:DWORD dst_unused:UNUSED_PAD src0_sel:DWORD src1_sel:BYTE_1
	v_and_b32_e32 v9, 0x7f, v8
	v_cmpx_ne_u32_e32 0x7f, v9
	s_cbranch_execz .LBB380_641
; %bb.638:                              ;   in Loop: Header=BB380_16 Depth=1
	v_and_b32_e32 v35, 7, v8
	v_mov_b32_e32 v36, v20
	v_lshrrev_b32_e32 v8, 3, v9
	s_mov_b32 s28, exec_lo
	v_cmpx_gt_u32_e32 8, v9
; %bb.639:                              ;   in Loop: Header=BB380_16 Depth=1
	v_ffbh_u32_e32 v8, v35
	v_min_u32_e32 v8, 32, v8
	v_subrev_nc_u32_e32 v9, 28, v8
	v_sub_nc_u32_e32 v8, 29, v8
	v_lshlrev_b64 v[17:18], v9, v[35:36]
	v_and_b32_e32 v35, 7, v17
; %bb.640:                              ;   in Loop: Header=BB380_16 Depth=1
	s_or_b32 exec_lo, exec_lo, s28
	v_lshlrev_b32_e32 v9, 16, v19
	v_lshlrev_b32_e32 v13, 20, v35
	v_lshl_add_u32 v8, v8, 23, 0x3c000000
	v_and_b32_e32 v9, 0x80000000, v9
	v_or3_b32 v83, v13, v9, v8
.LBB380_641:                            ;   in Loop: Header=BB380_16 Depth=1
	s_or_b32 exec_lo, exec_lo, s27
.LBB380_642:                            ;   in Loop: Header=BB380_16 Depth=1
	s_or_b32 exec_lo, exec_lo, s26
.LBB380_643:                            ;   in Loop: Header=BB380_16 Depth=1
	s_or_b32 exec_lo, exec_lo, s25
	v_mov_b32_e32 v8, 0xff
	v_mov_b32_e32 v84, 0
	;; [unrolled: 1-line block ×3, first 2 shown]
	s_mov_b32 s25, exec_lo
	v_and_b32_sdwa v8, v34, v8 dst_sel:DWORD dst_unused:UNUSED_PAD src0_sel:WORD_1 src1_sel:DWORD
	v_cmpx_ne_u16_e32 0, v8
	s_cbranch_execz .LBB380_651
; %bb.644:                              ;   in Loop: Header=BB380_16 Depth=1
	v_bfrev_b32_e32 v85, 1
	s_mov_b32 s26, exec_lo
	v_cmpx_ne_u16_e32 0x80, v8
	s_cbranch_execz .LBB380_650
; %bb.645:                              ;   in Loop: Header=BB380_16 Depth=1
	v_bfe_u32 v9, v34, 16, 7
	v_mov_b32_e32 v85, 0x7f800001
	s_mov_b32 s27, exec_lo
	v_cmpx_ne_u32_e32 0x7f, v9
	s_cbranch_execz .LBB380_649
; %bb.646:                              ;   in Loop: Header=BB380_16 Depth=1
	v_mov_b32_e32 v8, 7
	s_mov_b32 s28, exec_lo
	v_and_b32_sdwa v19, v34, v8 dst_sel:DWORD dst_unused:UNUSED_PAD src0_sel:WORD_1 src1_sel:DWORD
	v_mov_b32_e32 v36, v20
	v_lshrrev_b32_e32 v8, 3, v9
	v_mov_b32_e32 v35, v19
	v_cmpx_gt_u32_e32 8, v9
; %bb.647:                              ;   in Loop: Header=BB380_16 Depth=1
	v_ffbh_u32_e32 v8, v19
	v_min_u32_e32 v8, 32, v8
	v_subrev_nc_u32_e32 v9, 28, v8
	v_sub_nc_u32_e32 v8, 29, v8
	v_lshlrev_b64 v[17:18], v9, v[19:20]
	v_and_b32_e32 v35, 7, v17
; %bb.648:                              ;   in Loop: Header=BB380_16 Depth=1
	s_or_b32 exec_lo, exec_lo, s28
	v_mov_b32_e32 v9, 24
	v_lshlrev_b32_e32 v13, 20, v35
	v_lshl_add_u32 v8, v8, 23, 0x3c000000
	v_lshlrev_b32_sdwa v9, v9, v34 dst_sel:DWORD dst_unused:UNUSED_PAD src0_sel:DWORD src1_sel:WORD_1
	v_and_b32_e32 v9, 0x80000000, v9
	v_or3_b32 v85, v13, v9, v8
.LBB380_649:                            ;   in Loop: Header=BB380_16 Depth=1
	s_or_b32 exec_lo, exec_lo, s27
.LBB380_650:                            ;   in Loop: Header=BB380_16 Depth=1
	s_or_b32 exec_lo, exec_lo, s26
.LBB380_651:                            ;   in Loop: Header=BB380_16 Depth=1
	s_or_b32 exec_lo, exec_lo, s25
	s_mov_b32 s25, exec_lo
	v_cmpx_lt_u64_e64 s[20:21], v[33:34]
	s_cbranch_execz .LBB380_659
; %bb.652:                              ;   in Loop: Header=BB380_16 Depth=1
	v_cmp_ne_u32_sdwa s5, v34, v42 src0_sel:BYTE_3 src1_sel:DWORD
	v_bfrev_b32_e32 v84, 1
	s_and_saveexec_b32 s26, s5
	s_cbranch_execz .LBB380_658
; %bb.653:                              ;   in Loop: Header=BB380_16 Depth=1
	v_bfe_u32 v9, v34, 24, 7
	v_mov_b32_e32 v84, 0x7f800001
	s_mov_b32 s27, exec_lo
	v_cmpx_ne_u32_e32 0x7f, v9
	s_cbranch_execz .LBB380_657
; %bb.654:                              ;   in Loop: Header=BB380_16 Depth=1
	v_mov_b32_e32 v8, 7
	s_mov_b32 s28, exec_lo
	v_and_b32_sdwa v19, v34, v8 dst_sel:DWORD dst_unused:UNUSED_PAD src0_sel:BYTE_3 src1_sel:DWORD
	v_mov_b32_e32 v36, v20
	v_lshrrev_b32_e32 v8, 3, v9
	v_mov_b32_e32 v35, v19
	v_cmpx_gt_u32_e32 8, v9
; %bb.655:                              ;   in Loop: Header=BB380_16 Depth=1
	v_ffbh_u32_e32 v8, v19
	v_min_u32_e32 v8, 32, v8
	v_subrev_nc_u32_e32 v9, 28, v8
	v_sub_nc_u32_e32 v8, 29, v8
	v_lshlrev_b64 v[17:18], v9, v[19:20]
	v_and_b32_e32 v35, 7, v17
; %bb.656:                              ;   in Loop: Header=BB380_16 Depth=1
	s_or_b32 exec_lo, exec_lo, s28
	v_mov_b32_e32 v9, 24
	v_lshlrev_b32_e32 v13, 20, v35
	v_lshl_add_u32 v8, v8, 23, 0x3c000000
	v_lshlrev_b32_sdwa v9, v9, v34 dst_sel:DWORD dst_unused:UNUSED_PAD src0_sel:DWORD src1_sel:BYTE_3
	v_and_b32_e32 v9, 0x80000000, v9
	v_or3_b32 v84, v13, v9, v8
.LBB380_657:                            ;   in Loop: Header=BB380_16 Depth=1
	s_or_b32 exec_lo, exec_lo, s27
.LBB380_658:                            ;   in Loop: Header=BB380_16 Depth=1
	s_or_b32 exec_lo, exec_lo, s26
.LBB380_659:                            ;   in Loop: Header=BB380_16 Depth=1
	s_or_b32 exec_lo, exec_lo, s25
	flat_load_dwordx2 v[33:34], v[31:32] offset:512
	v_mov_b32_e32 v87, 0
	v_mov_b32_e32 v86, 0
	s_waitcnt vmcnt(0) lgkmcnt(0)
	v_cmp_ne_u16_sdwa s5, v33, v20 src0_sel:BYTE_0 src1_sel:DWORD
	s_and_saveexec_b32 s25, s5
	s_cbranch_execz .LBB380_667
; %bb.660:                              ;   in Loop: Header=BB380_16 Depth=1
	v_cmp_ne_u16_sdwa s5, v33, v42 src0_sel:BYTE_0 src1_sel:DWORD
	v_bfrev_b32_e32 v86, 1
	s_and_saveexec_b32 s26, s5
	s_cbranch_execz .LBB380_666
; %bb.661:                              ;   in Loop: Header=BB380_16 Depth=1
	v_and_b32_e32 v9, 0x7f, v33
	v_mov_b32_e32 v86, 0x7f800001
	s_mov_b32 s27, exec_lo
	v_cmpx_ne_u32_e32 0x7f, v9
	s_cbranch_execz .LBB380_665
; %bb.662:                              ;   in Loop: Header=BB380_16 Depth=1
	v_mov_b32_e32 v36, v34
	v_lshrrev_b32_e32 v8, 3, v9
	v_mov_b32_e32 v35, v33
	s_mov_b32 s28, exec_lo
	v_cmpx_gt_u32_e32 8, v9
; %bb.663:                              ;   in Loop: Header=BB380_16 Depth=1
	v_and_b32_e32 v8, 7, v33
	v_ffbh_u32_e32 v8, v8
	v_min_u32_e32 v8, 32, v8
	v_subrev_nc_u32_e32 v9, 28, v8
	v_sub_nc_u32_e32 v8, 29, v8
	v_lshlrev_b64 v[35:36], v9, v[33:34]
; %bb.664:                              ;   in Loop: Header=BB380_16 Depth=1
	s_or_b32 exec_lo, exec_lo, s28
	v_lshlrev_b32_e32 v9, 20, v35
	v_lshlrev_b32_e32 v13, 24, v33
	v_lshl_add_u32 v8, v8, 23, 0x3c000000
	v_and_b32_e32 v9, 0x700000, v9
	v_and_b32_e32 v13, 0x80000000, v13
	v_or3_b32 v86, v9, v13, v8
.LBB380_665:                            ;   in Loop: Header=BB380_16 Depth=1
	s_or_b32 exec_lo, exec_lo, s27
.LBB380_666:                            ;   in Loop: Header=BB380_16 Depth=1
	s_or_b32 exec_lo, exec_lo, s26
.LBB380_667:                            ;   in Loop: Header=BB380_16 Depth=1
	s_or_b32 exec_lo, exec_lo, s25
	v_cmp_ne_u16_sdwa s5, v33, v20 src0_sel:BYTE_1 src1_sel:DWORD
	s_and_saveexec_b32 s25, s5
	s_cbranch_execz .LBB380_675
; %bb.668:                              ;   in Loop: Header=BB380_16 Depth=1
	v_cmp_ne_u16_sdwa s5, v33, v42 src0_sel:BYTE_1 src1_sel:DWORD
	v_bfrev_b32_e32 v87, 1
	s_and_saveexec_b32 s26, s5
	s_cbranch_execz .LBB380_674
; %bb.669:                              ;   in Loop: Header=BB380_16 Depth=1
	v_mov_b32_e32 v8, 0xffff
	v_mov_b32_e32 v87, 0x7f800001
	s_mov_b32 s27, exec_lo
	v_and_b32_sdwa v8, v8, v33 dst_sel:DWORD dst_unused:UNUSED_PAD src0_sel:DWORD src1_sel:BYTE_1
	v_and_b32_e32 v9, 0x7f, v8
	v_cmpx_ne_u32_e32 0x7f, v9
	s_cbranch_execz .LBB380_673
; %bb.670:                              ;   in Loop: Header=BB380_16 Depth=1
	v_and_b32_e32 v19, 7, v8
	v_mov_b32_e32 v36, v20
	v_lshrrev_b32_e32 v8, 3, v9
	s_mov_b32 s28, exec_lo
	v_mov_b32_e32 v35, v19
	v_cmpx_gt_u32_e32 8, v9
; %bb.671:                              ;   in Loop: Header=BB380_16 Depth=1
	v_ffbh_u32_e32 v8, v19
	v_min_u32_e32 v8, 32, v8
	v_subrev_nc_u32_e32 v9, 28, v8
	v_sub_nc_u32_e32 v8, 29, v8
	v_lshlrev_b64 v[17:18], v9, v[19:20]
	v_and_b32_e32 v35, 7, v17
; %bb.672:                              ;   in Loop: Header=BB380_16 Depth=1
	s_or_b32 exec_lo, exec_lo, s28
	v_lshlrev_b32_e32 v9, 16, v33
	v_lshlrev_b32_e32 v13, 20, v35
	v_lshl_add_u32 v8, v8, 23, 0x3c000000
	v_and_b32_e32 v9, 0x80000000, v9
	v_or3_b32 v87, v13, v9, v8
.LBB380_673:                            ;   in Loop: Header=BB380_16 Depth=1
	s_or_b32 exec_lo, exec_lo, s27
.LBB380_674:                            ;   in Loop: Header=BB380_16 Depth=1
	s_or_b32 exec_lo, exec_lo, s26
.LBB380_675:                            ;   in Loop: Header=BB380_16 Depth=1
	s_or_b32 exec_lo, exec_lo, s25
	v_mov_b32_e32 v8, 0xff
	v_mov_b32_e32 v97, 0
	;; [unrolled: 1-line block ×3, first 2 shown]
	s_mov_b32 s25, exec_lo
	v_and_b32_sdwa v8, v33, v8 dst_sel:DWORD dst_unused:UNUSED_PAD src0_sel:WORD_1 src1_sel:DWORD
	v_cmpx_ne_u16_e32 0, v8
	s_cbranch_execz .LBB380_683
; %bb.676:                              ;   in Loop: Header=BB380_16 Depth=1
	v_bfrev_b32_e32 v96, 1
	s_mov_b32 s26, exec_lo
	v_cmpx_ne_u16_e32 0x80, v8
	s_cbranch_execz .LBB380_682
; %bb.677:                              ;   in Loop: Header=BB380_16 Depth=1
	v_bfe_u32 v9, v33, 16, 7
	v_mov_b32_e32 v96, 0x7f800001
	s_mov_b32 s27, exec_lo
	v_cmpx_ne_u32_e32 0x7f, v9
	s_cbranch_execz .LBB380_681
; %bb.678:                              ;   in Loop: Header=BB380_16 Depth=1
	v_mov_b32_e32 v8, 7
	s_mov_b32 s28, exec_lo
	v_and_b32_sdwa v19, v33, v8 dst_sel:DWORD dst_unused:UNUSED_PAD src0_sel:WORD_1 src1_sel:DWORD
	v_mov_b32_e32 v36, v20
	v_lshrrev_b32_e32 v8, 3, v9
	v_mov_b32_e32 v35, v19
	v_cmpx_gt_u32_e32 8, v9
; %bb.679:                              ;   in Loop: Header=BB380_16 Depth=1
	v_ffbh_u32_e32 v8, v19
	v_min_u32_e32 v8, 32, v8
	v_subrev_nc_u32_e32 v9, 28, v8
	v_sub_nc_u32_e32 v8, 29, v8
	v_lshlrev_b64 v[17:18], v9, v[19:20]
	v_and_b32_e32 v35, 7, v17
; %bb.680:                              ;   in Loop: Header=BB380_16 Depth=1
	s_or_b32 exec_lo, exec_lo, s28
	v_mov_b32_e32 v9, 24
	v_lshlrev_b32_e32 v13, 20, v35
	v_lshl_add_u32 v8, v8, 23, 0x3c000000
	v_lshlrev_b32_sdwa v9, v9, v33 dst_sel:DWORD dst_unused:UNUSED_PAD src0_sel:DWORD src1_sel:WORD_1
	v_and_b32_e32 v9, 0x80000000, v9
	v_or3_b32 v96, v13, v9, v8
.LBB380_681:                            ;   in Loop: Header=BB380_16 Depth=1
	s_or_b32 exec_lo, exec_lo, s27
.LBB380_682:                            ;   in Loop: Header=BB380_16 Depth=1
	s_or_b32 exec_lo, exec_lo, s26
.LBB380_683:                            ;   in Loop: Header=BB380_16 Depth=1
	s_or_b32 exec_lo, exec_lo, s25
	s_mov_b32 s25, exec_lo
	v_cmpx_lt_u32_e32 0xffffff, v33
	s_cbranch_execz .LBB380_691
; %bb.684:                              ;   in Loop: Header=BB380_16 Depth=1
	v_cmp_ne_u32_sdwa s5, v33, v42 src0_sel:BYTE_3 src1_sel:DWORD
	v_bfrev_b32_e32 v97, 1
	s_and_saveexec_b32 s26, s5
	s_cbranch_execz .LBB380_690
; %bb.685:                              ;   in Loop: Header=BB380_16 Depth=1
	v_bfe_u32 v9, v33, 24, 7
	v_mov_b32_e32 v97, 0x7f800001
	s_mov_b32 s27, exec_lo
	v_cmpx_ne_u32_e32 0x7f, v9
	s_cbranch_execz .LBB380_689
; %bb.686:                              ;   in Loop: Header=BB380_16 Depth=1
	v_mov_b32_e32 v8, 7
	s_mov_b32 s28, exec_lo
	v_and_b32_sdwa v19, v33, v8 dst_sel:DWORD dst_unused:UNUSED_PAD src0_sel:BYTE_3 src1_sel:DWORD
	v_mov_b32_e32 v36, v20
	v_lshrrev_b32_e32 v8, 3, v9
	v_mov_b32_e32 v35, v19
	v_cmpx_gt_u32_e32 8, v9
; %bb.687:                              ;   in Loop: Header=BB380_16 Depth=1
	v_ffbh_u32_e32 v8, v19
	v_min_u32_e32 v8, 32, v8
	v_subrev_nc_u32_e32 v9, 28, v8
	v_sub_nc_u32_e32 v8, 29, v8
	v_lshlrev_b64 v[17:18], v9, v[19:20]
	v_and_b32_e32 v35, 7, v17
; %bb.688:                              ;   in Loop: Header=BB380_16 Depth=1
	s_or_b32 exec_lo, exec_lo, s28
	v_mov_b32_e32 v9, 24
	v_lshlrev_b32_e32 v13, 20, v35
	v_lshl_add_u32 v8, v8, 23, 0x3c000000
	v_lshlrev_b32_sdwa v9, v9, v33 dst_sel:DWORD dst_unused:UNUSED_PAD src0_sel:DWORD src1_sel:BYTE_3
	v_and_b32_e32 v9, 0x80000000, v9
	v_or3_b32 v97, v13, v9, v8
.LBB380_689:                            ;   in Loop: Header=BB380_16 Depth=1
	s_or_b32 exec_lo, exec_lo, s27
.LBB380_690:                            ;   in Loop: Header=BB380_16 Depth=1
	s_or_b32 exec_lo, exec_lo, s26
.LBB380_691:                            ;   in Loop: Header=BB380_16 Depth=1
	s_or_b32 exec_lo, exec_lo, s25
	v_mov_b32_e32 v19, v34
	v_cmp_ne_u16_sdwa s5, v34, v20 src0_sel:BYTE_0 src1_sel:DWORD
	v_mov_b32_e32 v99, 0
	v_mov_b32_e32 v98, 0
	s_and_saveexec_b32 s25, s5
	s_cbranch_execz .LBB380_699
; %bb.692:                              ;   in Loop: Header=BB380_16 Depth=1
	v_cmp_ne_u16_sdwa s5, v34, v42 src0_sel:BYTE_0 src1_sel:DWORD
	v_bfrev_b32_e32 v98, 1
	s_and_saveexec_b32 s26, s5
	s_cbranch_execz .LBB380_698
; %bb.693:                              ;   in Loop: Header=BB380_16 Depth=1
	v_and_b32_e32 v9, 0x7f, v34
	v_mov_b32_e32 v98, 0x7f800001
	s_mov_b32 s27, exec_lo
	v_cmpx_ne_u32_e32 0x7f, v9
	s_cbranch_execz .LBB380_697
; %bb.694:                              ;   in Loop: Header=BB380_16 Depth=1
	v_mov_b32_e32 v36, v20
	v_lshrrev_b32_e32 v8, 3, v9
	v_mov_b32_e32 v35, v19
	s_mov_b32 s28, exec_lo
	v_cmpx_gt_u32_e32 8, v9
; %bb.695:                              ;   in Loop: Header=BB380_16 Depth=1
	v_and_b32_e32 v8, 7, v34
	v_ffbh_u32_e32 v8, v8
	v_min_u32_e32 v8, 32, v8
	v_subrev_nc_u32_e32 v9, 28, v8
	v_sub_nc_u32_e32 v8, 29, v8
	v_lshlrev_b64 v[35:36], v9, v[19:20]
; %bb.696:                              ;   in Loop: Header=BB380_16 Depth=1
	s_or_b32 exec_lo, exec_lo, s28
	v_lshlrev_b32_e32 v9, 20, v35
	v_lshlrev_b32_e32 v13, 24, v19
	v_lshl_add_u32 v8, v8, 23, 0x3c000000
	v_and_b32_e32 v9, 0x700000, v9
	v_and_b32_e32 v13, 0x80000000, v13
	v_or3_b32 v98, v9, v13, v8
.LBB380_697:                            ;   in Loop: Header=BB380_16 Depth=1
	s_or_b32 exec_lo, exec_lo, s27
.LBB380_698:                            ;   in Loop: Header=BB380_16 Depth=1
	s_or_b32 exec_lo, exec_lo, s26
.LBB380_699:                            ;   in Loop: Header=BB380_16 Depth=1
	s_or_b32 exec_lo, exec_lo, s25
	v_cmp_ne_u16_sdwa s5, v19, v20 src0_sel:BYTE_1 src1_sel:DWORD
	s_and_saveexec_b32 s25, s5
	s_cbranch_execz .LBB380_707
; %bb.700:                              ;   in Loop: Header=BB380_16 Depth=1
	v_cmp_ne_u16_sdwa s5, v19, v42 src0_sel:BYTE_1 src1_sel:DWORD
	v_bfrev_b32_e32 v99, 1
	s_and_saveexec_b32 s26, s5
	s_cbranch_execz .LBB380_706
; %bb.701:                              ;   in Loop: Header=BB380_16 Depth=1
	v_mov_b32_e32 v8, 0xffff
	v_mov_b32_e32 v99, 0x7f800001
	s_mov_b32 s27, exec_lo
	v_and_b32_sdwa v8, v8, v19 dst_sel:DWORD dst_unused:UNUSED_PAD src0_sel:DWORD src1_sel:BYTE_1
	v_and_b32_e32 v9, 0x7f, v8
	v_cmpx_ne_u32_e32 0x7f, v9
	s_cbranch_execz .LBB380_705
; %bb.702:                              ;   in Loop: Header=BB380_16 Depth=1
	v_and_b32_e32 v35, 7, v8
	v_mov_b32_e32 v36, v20
	v_lshrrev_b32_e32 v8, 3, v9
	s_mov_b32 s28, exec_lo
	v_cmpx_gt_u32_e32 8, v9
; %bb.703:                              ;   in Loop: Header=BB380_16 Depth=1
	v_ffbh_u32_e32 v8, v35
	v_min_u32_e32 v8, 32, v8
	v_subrev_nc_u32_e32 v9, 28, v8
	v_sub_nc_u32_e32 v8, 29, v8
	v_lshlrev_b64 v[17:18], v9, v[35:36]
	v_and_b32_e32 v35, 7, v17
; %bb.704:                              ;   in Loop: Header=BB380_16 Depth=1
	s_or_b32 exec_lo, exec_lo, s28
	v_lshlrev_b32_e32 v9, 16, v19
	v_lshlrev_b32_e32 v13, 20, v35
	v_lshl_add_u32 v8, v8, 23, 0x3c000000
	v_and_b32_e32 v9, 0x80000000, v9
	v_or3_b32 v99, v13, v9, v8
.LBB380_705:                            ;   in Loop: Header=BB380_16 Depth=1
	s_or_b32 exec_lo, exec_lo, s27
.LBB380_706:                            ;   in Loop: Header=BB380_16 Depth=1
	s_or_b32 exec_lo, exec_lo, s26
.LBB380_707:                            ;   in Loop: Header=BB380_16 Depth=1
	s_or_b32 exec_lo, exec_lo, s25
	v_mov_b32_e32 v8, 0xff
	v_mov_b32_e32 v100, 0
	;; [unrolled: 1-line block ×3, first 2 shown]
	s_mov_b32 s25, exec_lo
	v_and_b32_sdwa v8, v34, v8 dst_sel:DWORD dst_unused:UNUSED_PAD src0_sel:WORD_1 src1_sel:DWORD
	v_cmpx_ne_u16_e32 0, v8
	s_cbranch_execz .LBB380_715
; %bb.708:                              ;   in Loop: Header=BB380_16 Depth=1
	v_bfrev_b32_e32 v101, 1
	s_mov_b32 s26, exec_lo
	v_cmpx_ne_u16_e32 0x80, v8
	s_cbranch_execz .LBB380_714
; %bb.709:                              ;   in Loop: Header=BB380_16 Depth=1
	v_bfe_u32 v9, v34, 16, 7
	v_mov_b32_e32 v101, 0x7f800001
	s_mov_b32 s27, exec_lo
	v_cmpx_ne_u32_e32 0x7f, v9
	s_cbranch_execz .LBB380_713
; %bb.710:                              ;   in Loop: Header=BB380_16 Depth=1
	v_mov_b32_e32 v8, 7
	s_mov_b32 s28, exec_lo
	v_and_b32_sdwa v19, v34, v8 dst_sel:DWORD dst_unused:UNUSED_PAD src0_sel:WORD_1 src1_sel:DWORD
	v_mov_b32_e32 v36, v20
	v_lshrrev_b32_e32 v8, 3, v9
	v_mov_b32_e32 v35, v19
	v_cmpx_gt_u32_e32 8, v9
; %bb.711:                              ;   in Loop: Header=BB380_16 Depth=1
	v_ffbh_u32_e32 v8, v19
	v_min_u32_e32 v8, 32, v8
	v_subrev_nc_u32_e32 v9, 28, v8
	v_sub_nc_u32_e32 v8, 29, v8
	v_lshlrev_b64 v[17:18], v9, v[19:20]
	v_and_b32_e32 v35, 7, v17
; %bb.712:                              ;   in Loop: Header=BB380_16 Depth=1
	s_or_b32 exec_lo, exec_lo, s28
	v_mov_b32_e32 v9, 24
	v_lshlrev_b32_e32 v13, 20, v35
	v_lshl_add_u32 v8, v8, 23, 0x3c000000
	v_lshlrev_b32_sdwa v9, v9, v34 dst_sel:DWORD dst_unused:UNUSED_PAD src0_sel:DWORD src1_sel:WORD_1
	v_and_b32_e32 v9, 0x80000000, v9
	v_or3_b32 v101, v13, v9, v8
.LBB380_713:                            ;   in Loop: Header=BB380_16 Depth=1
	s_or_b32 exec_lo, exec_lo, s27
.LBB380_714:                            ;   in Loop: Header=BB380_16 Depth=1
	s_or_b32 exec_lo, exec_lo, s26
.LBB380_715:                            ;   in Loop: Header=BB380_16 Depth=1
	s_or_b32 exec_lo, exec_lo, s25
	s_mov_b32 s25, exec_lo
	v_cmpx_lt_u64_e64 s[20:21], v[33:34]
	s_cbranch_execz .LBB380_723
; %bb.716:                              ;   in Loop: Header=BB380_16 Depth=1
	v_cmp_ne_u32_sdwa s5, v34, v42 src0_sel:BYTE_3 src1_sel:DWORD
	v_bfrev_b32_e32 v100, 1
	s_and_saveexec_b32 s26, s5
	s_cbranch_execz .LBB380_722
; %bb.717:                              ;   in Loop: Header=BB380_16 Depth=1
	v_bfe_u32 v9, v34, 24, 7
	v_mov_b32_e32 v100, 0x7f800001
	s_mov_b32 s27, exec_lo
	v_cmpx_ne_u32_e32 0x7f, v9
	s_cbranch_execz .LBB380_721
; %bb.718:                              ;   in Loop: Header=BB380_16 Depth=1
	v_mov_b32_e32 v8, 7
	s_mov_b32 s28, exec_lo
	v_and_b32_sdwa v19, v34, v8 dst_sel:DWORD dst_unused:UNUSED_PAD src0_sel:BYTE_3 src1_sel:DWORD
	v_mov_b32_e32 v36, v20
	v_lshrrev_b32_e32 v8, 3, v9
	v_mov_b32_e32 v35, v19
	v_cmpx_gt_u32_e32 8, v9
; %bb.719:                              ;   in Loop: Header=BB380_16 Depth=1
	v_ffbh_u32_e32 v8, v19
	v_min_u32_e32 v8, 32, v8
	v_subrev_nc_u32_e32 v9, 28, v8
	v_sub_nc_u32_e32 v8, 29, v8
	v_lshlrev_b64 v[17:18], v9, v[19:20]
	v_and_b32_e32 v35, 7, v17
; %bb.720:                              ;   in Loop: Header=BB380_16 Depth=1
	s_or_b32 exec_lo, exec_lo, s28
	v_mov_b32_e32 v9, 24
	v_lshlrev_b32_e32 v13, 20, v35
	v_lshl_add_u32 v8, v8, 23, 0x3c000000
	v_lshlrev_b32_sdwa v9, v9, v34 dst_sel:DWORD dst_unused:UNUSED_PAD src0_sel:DWORD src1_sel:BYTE_3
	v_and_b32_e32 v9, 0x80000000, v9
	v_or3_b32 v100, v13, v9, v8
.LBB380_721:                            ;   in Loop: Header=BB380_16 Depth=1
	s_or_b32 exec_lo, exec_lo, s27
.LBB380_722:                            ;   in Loop: Header=BB380_16 Depth=1
	s_or_b32 exec_lo, exec_lo, s26
.LBB380_723:                            ;   in Loop: Header=BB380_16 Depth=1
	s_or_b32 exec_lo, exec_lo, s25
	flat_load_dwordx2 v[33:34], v[31:32] offset:520
	v_mov_b32_e32 v103, 0
	v_mov_b32_e32 v102, 0
	s_waitcnt vmcnt(0) lgkmcnt(0)
	v_cmp_ne_u16_sdwa s5, v33, v20 src0_sel:BYTE_0 src1_sel:DWORD
	s_and_saveexec_b32 s25, s5
	s_cbranch_execz .LBB380_731
; %bb.724:                              ;   in Loop: Header=BB380_16 Depth=1
	v_cmp_ne_u16_sdwa s5, v33, v42 src0_sel:BYTE_0 src1_sel:DWORD
	v_bfrev_b32_e32 v102, 1
	s_and_saveexec_b32 s26, s5
	s_cbranch_execz .LBB380_730
; %bb.725:                              ;   in Loop: Header=BB380_16 Depth=1
	v_and_b32_e32 v9, 0x7f, v33
	v_mov_b32_e32 v102, 0x7f800001
	s_mov_b32 s27, exec_lo
	v_cmpx_ne_u32_e32 0x7f, v9
	s_cbranch_execz .LBB380_729
; %bb.726:                              ;   in Loop: Header=BB380_16 Depth=1
	v_mov_b32_e32 v36, v34
	v_lshrrev_b32_e32 v8, 3, v9
	v_mov_b32_e32 v35, v33
	s_mov_b32 s28, exec_lo
	v_cmpx_gt_u32_e32 8, v9
; %bb.727:                              ;   in Loop: Header=BB380_16 Depth=1
	v_and_b32_e32 v8, 7, v33
	v_ffbh_u32_e32 v8, v8
	v_min_u32_e32 v8, 32, v8
	v_subrev_nc_u32_e32 v9, 28, v8
	v_sub_nc_u32_e32 v8, 29, v8
	v_lshlrev_b64 v[35:36], v9, v[33:34]
; %bb.728:                              ;   in Loop: Header=BB380_16 Depth=1
	s_or_b32 exec_lo, exec_lo, s28
	v_lshlrev_b32_e32 v9, 20, v35
	v_lshlrev_b32_e32 v13, 24, v33
	v_lshl_add_u32 v8, v8, 23, 0x3c000000
	v_and_b32_e32 v9, 0x700000, v9
	v_and_b32_e32 v13, 0x80000000, v13
	v_or3_b32 v102, v9, v13, v8
.LBB380_729:                            ;   in Loop: Header=BB380_16 Depth=1
	s_or_b32 exec_lo, exec_lo, s27
.LBB380_730:                            ;   in Loop: Header=BB380_16 Depth=1
	s_or_b32 exec_lo, exec_lo, s26
.LBB380_731:                            ;   in Loop: Header=BB380_16 Depth=1
	s_or_b32 exec_lo, exec_lo, s25
	v_cmp_ne_u16_sdwa s5, v33, v20 src0_sel:BYTE_1 src1_sel:DWORD
	s_and_saveexec_b32 s25, s5
	s_cbranch_execz .LBB380_739
; %bb.732:                              ;   in Loop: Header=BB380_16 Depth=1
	v_cmp_ne_u16_sdwa s5, v33, v42 src0_sel:BYTE_1 src1_sel:DWORD
	v_bfrev_b32_e32 v103, 1
	s_and_saveexec_b32 s26, s5
	s_cbranch_execz .LBB380_738
; %bb.733:                              ;   in Loop: Header=BB380_16 Depth=1
	v_mov_b32_e32 v8, 0xffff
	v_mov_b32_e32 v103, 0x7f800001
	s_mov_b32 s27, exec_lo
	v_and_b32_sdwa v8, v8, v33 dst_sel:DWORD dst_unused:UNUSED_PAD src0_sel:DWORD src1_sel:BYTE_1
	v_and_b32_e32 v9, 0x7f, v8
	v_cmpx_ne_u32_e32 0x7f, v9
	s_cbranch_execz .LBB380_737
; %bb.734:                              ;   in Loop: Header=BB380_16 Depth=1
	v_and_b32_e32 v19, 7, v8
	v_mov_b32_e32 v36, v20
	v_lshrrev_b32_e32 v8, 3, v9
	s_mov_b32 s28, exec_lo
	v_mov_b32_e32 v35, v19
	v_cmpx_gt_u32_e32 8, v9
; %bb.735:                              ;   in Loop: Header=BB380_16 Depth=1
	v_ffbh_u32_e32 v8, v19
	v_min_u32_e32 v8, 32, v8
	v_subrev_nc_u32_e32 v9, 28, v8
	v_sub_nc_u32_e32 v8, 29, v8
	v_lshlrev_b64 v[17:18], v9, v[19:20]
	v_and_b32_e32 v35, 7, v17
; %bb.736:                              ;   in Loop: Header=BB380_16 Depth=1
	s_or_b32 exec_lo, exec_lo, s28
	v_lshlrev_b32_e32 v9, 16, v33
	v_lshlrev_b32_e32 v13, 20, v35
	v_lshl_add_u32 v8, v8, 23, 0x3c000000
	v_and_b32_e32 v9, 0x80000000, v9
	v_or3_b32 v103, v13, v9, v8
.LBB380_737:                            ;   in Loop: Header=BB380_16 Depth=1
	s_or_b32 exec_lo, exec_lo, s27
.LBB380_738:                            ;   in Loop: Header=BB380_16 Depth=1
	s_or_b32 exec_lo, exec_lo, s26
.LBB380_739:                            ;   in Loop: Header=BB380_16 Depth=1
	s_or_b32 exec_lo, exec_lo, s25
	v_mov_b32_e32 v8, 0xff
	v_mov_b32_e32 v47, 0
	;; [unrolled: 1-line block ×3, first 2 shown]
	s_mov_b32 s25, exec_lo
	v_and_b32_sdwa v8, v33, v8 dst_sel:DWORD dst_unused:UNUSED_PAD src0_sel:WORD_1 src1_sel:DWORD
	v_cmpx_ne_u16_e32 0, v8
	s_cbranch_execz .LBB380_747
; %bb.740:                              ;   in Loop: Header=BB380_16 Depth=1
	v_bfrev_b32_e32 v112, 1
	s_mov_b32 s26, exec_lo
	v_cmpx_ne_u16_e32 0x80, v8
	s_cbranch_execz .LBB380_746
; %bb.741:                              ;   in Loop: Header=BB380_16 Depth=1
	v_bfe_u32 v9, v33, 16, 7
	v_mov_b32_e32 v112, 0x7f800001
	s_mov_b32 s27, exec_lo
	v_cmpx_ne_u32_e32 0x7f, v9
	s_cbranch_execz .LBB380_745
; %bb.742:                              ;   in Loop: Header=BB380_16 Depth=1
	v_mov_b32_e32 v8, 7
	s_mov_b32 s28, exec_lo
	v_and_b32_sdwa v19, v33, v8 dst_sel:DWORD dst_unused:UNUSED_PAD src0_sel:WORD_1 src1_sel:DWORD
	v_mov_b32_e32 v36, v20
	v_lshrrev_b32_e32 v8, 3, v9
	v_mov_b32_e32 v35, v19
	v_cmpx_gt_u32_e32 8, v9
; %bb.743:                              ;   in Loop: Header=BB380_16 Depth=1
	v_ffbh_u32_e32 v8, v19
	v_min_u32_e32 v8, 32, v8
	v_subrev_nc_u32_e32 v9, 28, v8
	v_sub_nc_u32_e32 v8, 29, v8
	v_lshlrev_b64 v[17:18], v9, v[19:20]
	v_and_b32_e32 v35, 7, v17
; %bb.744:                              ;   in Loop: Header=BB380_16 Depth=1
	s_or_b32 exec_lo, exec_lo, s28
	v_mov_b32_e32 v9, 24
	v_lshlrev_b32_e32 v13, 20, v35
	v_lshl_add_u32 v8, v8, 23, 0x3c000000
	v_lshlrev_b32_sdwa v9, v9, v33 dst_sel:DWORD dst_unused:UNUSED_PAD src0_sel:DWORD src1_sel:WORD_1
	v_and_b32_e32 v9, 0x80000000, v9
	v_or3_b32 v112, v13, v9, v8
.LBB380_745:                            ;   in Loop: Header=BB380_16 Depth=1
	s_or_b32 exec_lo, exec_lo, s27
.LBB380_746:                            ;   in Loop: Header=BB380_16 Depth=1
	s_or_b32 exec_lo, exec_lo, s26
.LBB380_747:                            ;   in Loop: Header=BB380_16 Depth=1
	s_or_b32 exec_lo, exec_lo, s25
	s_mov_b32 s25, exec_lo
	v_cmpx_lt_u32_e32 0xffffff, v33
	s_cbranch_execz .LBB380_755
; %bb.748:                              ;   in Loop: Header=BB380_16 Depth=1
	v_cmp_ne_u32_sdwa s5, v33, v42 src0_sel:BYTE_3 src1_sel:DWORD
	v_bfrev_b32_e32 v47, 1
	s_and_saveexec_b32 s26, s5
	s_cbranch_execz .LBB380_754
; %bb.749:                              ;   in Loop: Header=BB380_16 Depth=1
	v_bfe_u32 v9, v33, 24, 7
	v_mov_b32_e32 v47, 0x7f800001
	s_mov_b32 s27, exec_lo
	v_cmpx_ne_u32_e32 0x7f, v9
	s_cbranch_execz .LBB380_753
; %bb.750:                              ;   in Loop: Header=BB380_16 Depth=1
	v_mov_b32_e32 v8, 7
	s_mov_b32 s28, exec_lo
	v_and_b32_sdwa v19, v33, v8 dst_sel:DWORD dst_unused:UNUSED_PAD src0_sel:BYTE_3 src1_sel:DWORD
	v_mov_b32_e32 v36, v20
	v_lshrrev_b32_e32 v8, 3, v9
	v_mov_b32_e32 v35, v19
	v_cmpx_gt_u32_e32 8, v9
; %bb.751:                              ;   in Loop: Header=BB380_16 Depth=1
	v_ffbh_u32_e32 v8, v19
	v_min_u32_e32 v8, 32, v8
	v_subrev_nc_u32_e32 v9, 28, v8
	v_sub_nc_u32_e32 v8, 29, v8
	v_lshlrev_b64 v[17:18], v9, v[19:20]
	v_and_b32_e32 v35, 7, v17
; %bb.752:                              ;   in Loop: Header=BB380_16 Depth=1
	s_or_b32 exec_lo, exec_lo, s28
	v_mov_b32_e32 v9, 24
	v_lshlrev_b32_e32 v13, 20, v35
	v_lshl_add_u32 v8, v8, 23, 0x3c000000
	v_lshlrev_b32_sdwa v9, v9, v33 dst_sel:DWORD dst_unused:UNUSED_PAD src0_sel:DWORD src1_sel:BYTE_3
	v_and_b32_e32 v9, 0x80000000, v9
	v_or3_b32 v47, v13, v9, v8
.LBB380_753:                            ;   in Loop: Header=BB380_16 Depth=1
	s_or_b32 exec_lo, exec_lo, s27
.LBB380_754:                            ;   in Loop: Header=BB380_16 Depth=1
	s_or_b32 exec_lo, exec_lo, s26
.LBB380_755:                            ;   in Loop: Header=BB380_16 Depth=1
	s_or_b32 exec_lo, exec_lo, s25
	v_mov_b32_e32 v19, v34
	v_cmp_ne_u16_sdwa s5, v34, v20 src0_sel:BYTE_0 src1_sel:DWORD
	v_mov_b32_e32 v44, 0
	v_mov_b32_e32 v46, 0
	s_and_saveexec_b32 s25, s5
	s_cbranch_execz .LBB380_763
; %bb.756:                              ;   in Loop: Header=BB380_16 Depth=1
	v_cmp_ne_u16_sdwa s5, v34, v42 src0_sel:BYTE_0 src1_sel:DWORD
	v_bfrev_b32_e32 v46, 1
	s_and_saveexec_b32 s26, s5
	s_cbranch_execz .LBB380_762
; %bb.757:                              ;   in Loop: Header=BB380_16 Depth=1
	v_and_b32_e32 v9, 0x7f, v34
	v_mov_b32_e32 v46, 0x7f800001
	s_mov_b32 s27, exec_lo
	v_cmpx_ne_u32_e32 0x7f, v9
	s_cbranch_execz .LBB380_761
; %bb.758:                              ;   in Loop: Header=BB380_16 Depth=1
	v_mov_b32_e32 v36, v20
	v_lshrrev_b32_e32 v8, 3, v9
	v_mov_b32_e32 v35, v19
	s_mov_b32 s28, exec_lo
	v_cmpx_gt_u32_e32 8, v9
; %bb.759:                              ;   in Loop: Header=BB380_16 Depth=1
	v_and_b32_e32 v8, 7, v34
	v_ffbh_u32_e32 v8, v8
	v_min_u32_e32 v8, 32, v8
	v_subrev_nc_u32_e32 v9, 28, v8
	v_sub_nc_u32_e32 v8, 29, v8
	v_lshlrev_b64 v[35:36], v9, v[19:20]
; %bb.760:                              ;   in Loop: Header=BB380_16 Depth=1
	s_or_b32 exec_lo, exec_lo, s28
	v_lshlrev_b32_e32 v9, 20, v35
	v_lshlrev_b32_e32 v13, 24, v19
	v_lshl_add_u32 v8, v8, 23, 0x3c000000
	v_and_b32_e32 v9, 0x700000, v9
	v_and_b32_e32 v13, 0x80000000, v13
	v_or3_b32 v46, v9, v13, v8
.LBB380_761:                            ;   in Loop: Header=BB380_16 Depth=1
	s_or_b32 exec_lo, exec_lo, s27
.LBB380_762:                            ;   in Loop: Header=BB380_16 Depth=1
	s_or_b32 exec_lo, exec_lo, s26
.LBB380_763:                            ;   in Loop: Header=BB380_16 Depth=1
	s_or_b32 exec_lo, exec_lo, s25
	v_cmp_ne_u16_sdwa s5, v19, v20 src0_sel:BYTE_1 src1_sel:DWORD
	s_and_saveexec_b32 s25, s5
	s_cbranch_execz .LBB380_771
; %bb.764:                              ;   in Loop: Header=BB380_16 Depth=1
	v_cmp_ne_u16_sdwa s5, v19, v42 src0_sel:BYTE_1 src1_sel:DWORD
	v_bfrev_b32_e32 v44, 1
	s_and_saveexec_b32 s26, s5
	s_cbranch_execz .LBB380_770
; %bb.765:                              ;   in Loop: Header=BB380_16 Depth=1
	v_mov_b32_e32 v8, 0xffff
	v_mov_b32_e32 v44, 0x7f800001
	s_mov_b32 s27, exec_lo
	v_and_b32_sdwa v8, v8, v19 dst_sel:DWORD dst_unused:UNUSED_PAD src0_sel:DWORD src1_sel:BYTE_1
	v_and_b32_e32 v9, 0x7f, v8
	v_cmpx_ne_u32_e32 0x7f, v9
	s_cbranch_execz .LBB380_769
; %bb.766:                              ;   in Loop: Header=BB380_16 Depth=1
	v_and_b32_e32 v35, 7, v8
	v_mov_b32_e32 v36, v20
	v_lshrrev_b32_e32 v8, 3, v9
	s_mov_b32 s28, exec_lo
	v_cmpx_gt_u32_e32 8, v9
; %bb.767:                              ;   in Loop: Header=BB380_16 Depth=1
	v_ffbh_u32_e32 v8, v35
	v_min_u32_e32 v8, 32, v8
	v_subrev_nc_u32_e32 v9, 28, v8
	v_sub_nc_u32_e32 v8, 29, v8
	v_lshlrev_b64 v[17:18], v9, v[35:36]
	v_and_b32_e32 v35, 7, v17
; %bb.768:                              ;   in Loop: Header=BB380_16 Depth=1
	s_or_b32 exec_lo, exec_lo, s28
	v_lshlrev_b32_e32 v9, 16, v19
	v_lshlrev_b32_e32 v13, 20, v35
	v_lshl_add_u32 v8, v8, 23, 0x3c000000
	v_and_b32_e32 v9, 0x80000000, v9
	v_or3_b32 v44, v13, v9, v8
.LBB380_769:                            ;   in Loop: Header=BB380_16 Depth=1
	s_or_b32 exec_lo, exec_lo, s27
.LBB380_770:                            ;   in Loop: Header=BB380_16 Depth=1
	s_or_b32 exec_lo, exec_lo, s26
.LBB380_771:                            ;   in Loop: Header=BB380_16 Depth=1
	s_or_b32 exec_lo, exec_lo, s25
	v_mov_b32_e32 v8, 0xff
	v_mov_b32_e32 v119, 0
	s_mov_b32 s25, exec_lo
	v_and_b32_sdwa v9, v34, v8 dst_sel:DWORD dst_unused:UNUSED_PAD src0_sel:WORD_1 src1_sel:DWORD
	v_mov_b32_e32 v8, 0
	v_cmpx_ne_u16_e32 0, v9
	s_cbranch_execz .LBB380_779
; %bb.772:                              ;   in Loop: Header=BB380_16 Depth=1
	v_bfrev_b32_e32 v8, 1
	s_mov_b32 s26, exec_lo
	v_cmpx_ne_u16_e32 0x80, v9
	s_cbranch_execz .LBB380_778
; %bb.773:                              ;   in Loop: Header=BB380_16 Depth=1
	v_bfe_u32 v9, v34, 16, 7
	v_mov_b32_e32 v8, 0x7f800001
	s_mov_b32 s27, exec_lo
	v_cmpx_ne_u32_e32 0x7f, v9
	s_cbranch_execz .LBB380_777
; %bb.774:                              ;   in Loop: Header=BB380_16 Depth=1
	v_mov_b32_e32 v8, 7
	s_mov_b32 s28, exec_lo
	v_and_b32_sdwa v19, v34, v8 dst_sel:DWORD dst_unused:UNUSED_PAD src0_sel:WORD_1 src1_sel:DWORD
	v_mov_b32_e32 v36, v20
	v_lshrrev_b32_e32 v8, 3, v9
	v_mov_b32_e32 v35, v19
	v_cmpx_gt_u32_e32 8, v9
; %bb.775:                              ;   in Loop: Header=BB380_16 Depth=1
	v_ffbh_u32_e32 v8, v19
	v_min_u32_e32 v8, 32, v8
	v_subrev_nc_u32_e32 v9, 28, v8
	v_sub_nc_u32_e32 v8, 29, v8
	v_lshlrev_b64 v[17:18], v9, v[19:20]
	v_and_b32_e32 v35, 7, v17
; %bb.776:                              ;   in Loop: Header=BB380_16 Depth=1
	s_or_b32 exec_lo, exec_lo, s28
	v_mov_b32_e32 v9, 24
	v_lshlrev_b32_e32 v13, 20, v35
	v_lshl_add_u32 v8, v8, 23, 0x3c000000
	v_lshlrev_b32_sdwa v9, v9, v34 dst_sel:DWORD dst_unused:UNUSED_PAD src0_sel:DWORD src1_sel:WORD_1
	v_and_b32_e32 v9, 0x80000000, v9
	v_or3_b32 v8, v13, v9, v8
.LBB380_777:                            ;   in Loop: Header=BB380_16 Depth=1
	s_or_b32 exec_lo, exec_lo, s27
.LBB380_778:                            ;   in Loop: Header=BB380_16 Depth=1
	s_or_b32 exec_lo, exec_lo, s26
.LBB380_779:                            ;   in Loop: Header=BB380_16 Depth=1
	s_or_b32 exec_lo, exec_lo, s25
	s_mov_b32 s25, exec_lo
	v_cmpx_lt_u64_e64 s[20:21], v[33:34]
	s_cbranch_execz .LBB380_787
; %bb.780:                              ;   in Loop: Header=BB380_16 Depth=1
	v_cmp_ne_u32_sdwa s5, v34, v42 src0_sel:BYTE_3 src1_sel:DWORD
	v_bfrev_b32_e32 v119, 1
	s_and_saveexec_b32 s26, s5
	s_cbranch_execz .LBB380_786
; %bb.781:                              ;   in Loop: Header=BB380_16 Depth=1
	v_bfe_u32 v13, v34, 24, 7
	v_mov_b32_e32 v119, 0x7f800001
	s_mov_b32 s27, exec_lo
	v_cmpx_ne_u32_e32 0x7f, v13
	s_cbranch_execz .LBB380_785
; %bb.782:                              ;   in Loop: Header=BB380_16 Depth=1
	v_mov_b32_e32 v9, 7
	s_mov_b32 s28, exec_lo
	v_and_b32_sdwa v19, v34, v9 dst_sel:DWORD dst_unused:UNUSED_PAD src0_sel:BYTE_3 src1_sel:DWORD
	v_mov_b32_e32 v36, v20
	v_lshrrev_b32_e32 v9, 3, v13
	v_mov_b32_e32 v35, v19
	v_cmpx_gt_u32_e32 8, v13
; %bb.783:                              ;   in Loop: Header=BB380_16 Depth=1
	v_ffbh_u32_e32 v9, v19
	v_min_u32_e32 v9, 32, v9
	v_subrev_nc_u32_e32 v13, 28, v9
	v_sub_nc_u32_e32 v9, 29, v9
	v_lshlrev_b64 v[17:18], v13, v[19:20]
	v_and_b32_e32 v35, 7, v17
; %bb.784:                              ;   in Loop: Header=BB380_16 Depth=1
	s_or_b32 exec_lo, exec_lo, s28
	v_mov_b32_e32 v13, 24
	v_lshlrev_b32_e32 v17, 20, v35
	v_lshl_add_u32 v9, v9, 23, 0x3c000000
	v_lshlrev_b32_sdwa v13, v13, v34 dst_sel:DWORD dst_unused:UNUSED_PAD src0_sel:DWORD src1_sel:BYTE_3
	v_and_b32_e32 v13, 0x80000000, v13
	v_or3_b32 v119, v17, v13, v9
.LBB380_785:                            ;   in Loop: Header=BB380_16 Depth=1
	s_or_b32 exec_lo, exec_lo, s27
.LBB380_786:                            ;   in Loop: Header=BB380_16 Depth=1
	s_or_b32 exec_lo, exec_lo, s26
.LBB380_787:                            ;   in Loop: Header=BB380_16 Depth=1
	s_or_b32 exec_lo, exec_lo, s25
	flat_load_dwordx2 v[33:34], v[31:32] offset:1024
	v_mov_b32_e32 v118, 0
	v_mov_b32_e32 v9, 0
	s_waitcnt vmcnt(0) lgkmcnt(0)
	v_cmp_ne_u16_sdwa s5, v33, v20 src0_sel:BYTE_0 src1_sel:DWORD
	s_and_saveexec_b32 s25, s5
	s_cbranch_execz .LBB380_795
; %bb.788:                              ;   in Loop: Header=BB380_16 Depth=1
	v_cmp_ne_u16_sdwa s5, v33, v42 src0_sel:BYTE_0 src1_sel:DWORD
	v_bfrev_b32_e32 v9, 1
	s_and_saveexec_b32 s26, s5
	s_cbranch_execz .LBB380_794
; %bb.789:                              ;   in Loop: Header=BB380_16 Depth=1
	v_and_b32_e32 v13, 0x7f, v33
	v_mov_b32_e32 v9, 0x7f800001
	s_mov_b32 s27, exec_lo
	v_cmpx_ne_u32_e32 0x7f, v13
	s_cbranch_execz .LBB380_793
; %bb.790:                              ;   in Loop: Header=BB380_16 Depth=1
	v_mov_b32_e32 v36, v34
	v_lshrrev_b32_e32 v9, 3, v13
	v_mov_b32_e32 v35, v33
	s_mov_b32 s28, exec_lo
	v_cmpx_gt_u32_e32 8, v13
; %bb.791:                              ;   in Loop: Header=BB380_16 Depth=1
	v_and_b32_e32 v9, 7, v33
	v_ffbh_u32_e32 v9, v9
	v_min_u32_e32 v9, 32, v9
	v_subrev_nc_u32_e32 v13, 28, v9
	v_sub_nc_u32_e32 v9, 29, v9
	v_lshlrev_b64 v[35:36], v13, v[33:34]
; %bb.792:                              ;   in Loop: Header=BB380_16 Depth=1
	s_or_b32 exec_lo, exec_lo, s28
	v_lshlrev_b32_e32 v13, 20, v35
	v_lshlrev_b32_e32 v17, 24, v33
	v_lshl_add_u32 v9, v9, 23, 0x3c000000
	v_and_b32_e32 v13, 0x700000, v13
	v_and_b32_e32 v17, 0x80000000, v17
	v_or3_b32 v9, v13, v17, v9
.LBB380_793:                            ;   in Loop: Header=BB380_16 Depth=1
	s_or_b32 exec_lo, exec_lo, s27
.LBB380_794:                            ;   in Loop: Header=BB380_16 Depth=1
	s_or_b32 exec_lo, exec_lo, s26
.LBB380_795:                            ;   in Loop: Header=BB380_16 Depth=1
	s_or_b32 exec_lo, exec_lo, s25
	v_cmp_ne_u16_sdwa s5, v33, v20 src0_sel:BYTE_1 src1_sel:DWORD
	s_and_saveexec_b32 s25, s5
	s_cbranch_execz .LBB380_803
; %bb.796:                              ;   in Loop: Header=BB380_16 Depth=1
	v_cmp_ne_u16_sdwa s5, v33, v42 src0_sel:BYTE_1 src1_sel:DWORD
	v_bfrev_b32_e32 v118, 1
	s_and_saveexec_b32 s26, s5
	s_cbranch_execz .LBB380_802
; %bb.797:                              ;   in Loop: Header=BB380_16 Depth=1
	v_mov_b32_e32 v13, 0xffff
	v_mov_b32_e32 v118, 0x7f800001
	s_mov_b32 s27, exec_lo
	v_and_b32_sdwa v13, v13, v33 dst_sel:DWORD dst_unused:UNUSED_PAD src0_sel:DWORD src1_sel:BYTE_1
	v_and_b32_e32 v17, 0x7f, v13
	v_cmpx_ne_u32_e32 0x7f, v17
	s_cbranch_execz .LBB380_801
; %bb.798:                              ;   in Loop: Header=BB380_16 Depth=1
	v_and_b32_e32 v19, 7, v13
	v_mov_b32_e32 v36, v20
	v_lshrrev_b32_e32 v13, 3, v17
	s_mov_b32 s28, exec_lo
	v_mov_b32_e32 v35, v19
	v_cmpx_gt_u32_e32 8, v17
; %bb.799:                              ;   in Loop: Header=BB380_16 Depth=1
	v_ffbh_u32_e32 v13, v19
	v_min_u32_e32 v13, 32, v13
	v_subrev_nc_u32_e32 v17, 28, v13
	v_sub_nc_u32_e32 v13, 29, v13
	v_lshlrev_b64 v[17:18], v17, v[19:20]
	v_and_b32_e32 v35, 7, v17
; %bb.800:                              ;   in Loop: Header=BB380_16 Depth=1
	s_or_b32 exec_lo, exec_lo, s28
	v_lshlrev_b32_e32 v17, 16, v33
	v_lshlrev_b32_e32 v18, 20, v35
	v_lshl_add_u32 v13, v13, 23, 0x3c000000
	v_and_b32_e32 v17, 0x80000000, v17
	v_or3_b32 v118, v18, v17, v13
.LBB380_801:                            ;   in Loop: Header=BB380_16 Depth=1
	s_or_b32 exec_lo, exec_lo, s27
.LBB380_802:                            ;   in Loop: Header=BB380_16 Depth=1
	s_or_b32 exec_lo, exec_lo, s26
.LBB380_803:                            ;   in Loop: Header=BB380_16 Depth=1
	s_or_b32 exec_lo, exec_lo, s25
	v_mov_b32_e32 v13, 0xff
	v_mov_b32_e32 v43, 0
	s_mov_b32 s25, exec_lo
	v_and_b32_sdwa v17, v33, v13 dst_sel:DWORD dst_unused:UNUSED_PAD src0_sel:WORD_1 src1_sel:DWORD
	v_mov_b32_e32 v13, 0
	v_cmpx_ne_u16_e32 0, v17
	s_cbranch_execz .LBB380_811
; %bb.804:                              ;   in Loop: Header=BB380_16 Depth=1
	v_bfrev_b32_e32 v43, 1
	s_mov_b32 s26, exec_lo
	v_cmpx_ne_u16_e32 0x80, v17
	s_cbranch_execz .LBB380_810
; %bb.805:                              ;   in Loop: Header=BB380_16 Depth=1
	v_bfe_u32 v18, v33, 16, 7
	v_mov_b32_e32 v43, 0x7f800001
	s_mov_b32 s27, exec_lo
	v_cmpx_ne_u32_e32 0x7f, v18
	s_cbranch_execz .LBB380_809
; %bb.806:                              ;   in Loop: Header=BB380_16 Depth=1
	v_mov_b32_e32 v17, 7
	s_mov_b32 s28, exec_lo
	v_and_b32_sdwa v19, v33, v17 dst_sel:DWORD dst_unused:UNUSED_PAD src0_sel:WORD_1 src1_sel:DWORD
	v_mov_b32_e32 v36, v20
	v_lshrrev_b32_e32 v17, 3, v18
	v_mov_b32_e32 v35, v19
	v_cmpx_gt_u32_e32 8, v18
; %bb.807:                              ;   in Loop: Header=BB380_16 Depth=1
	v_ffbh_u32_e32 v17, v19
	v_min_u32_e32 v17, 32, v17
	v_subrev_nc_u32_e32 v18, 28, v17
	v_sub_nc_u32_e32 v17, 29, v17
	v_lshlrev_b64 v[18:19], v18, v[19:20]
	v_and_b32_e32 v35, 7, v18
; %bb.808:                              ;   in Loop: Header=BB380_16 Depth=1
	s_or_b32 exec_lo, exec_lo, s28
	v_mov_b32_e32 v18, 24
	v_lshlrev_b32_e32 v19, 20, v35
	v_lshl_add_u32 v17, v17, 23, 0x3c000000
	v_lshlrev_b32_sdwa v18, v18, v33 dst_sel:DWORD dst_unused:UNUSED_PAD src0_sel:DWORD src1_sel:WORD_1
	v_and_b32_e32 v18, 0x80000000, v18
	v_or3_b32 v43, v19, v18, v17
.LBB380_809:                            ;   in Loop: Header=BB380_16 Depth=1
	s_or_b32 exec_lo, exec_lo, s27
.LBB380_810:                            ;   in Loop: Header=BB380_16 Depth=1
	s_or_b32 exec_lo, exec_lo, s26
.LBB380_811:                            ;   in Loop: Header=BB380_16 Depth=1
	s_or_b32 exec_lo, exec_lo, s25
	s_mov_b32 s25, exec_lo
	v_cmpx_lt_u32_e32 0xffffff, v33
	s_cbranch_execz .LBB380_819
; %bb.812:                              ;   in Loop: Header=BB380_16 Depth=1
	v_cmp_ne_u32_sdwa s5, v33, v42 src0_sel:BYTE_3 src1_sel:DWORD
	v_bfrev_b32_e32 v13, 1
	s_and_saveexec_b32 s26, s5
	s_cbranch_execz .LBB380_818
; %bb.813:                              ;   in Loop: Header=BB380_16 Depth=1
	v_bfe_u32 v17, v33, 24, 7
	v_mov_b32_e32 v13, 0x7f800001
	s_mov_b32 s27, exec_lo
	v_cmpx_ne_u32_e32 0x7f, v17
	s_cbranch_execz .LBB380_817
; %bb.814:                              ;   in Loop: Header=BB380_16 Depth=1
	v_mov_b32_e32 v13, 7
	s_mov_b32 s28, exec_lo
	v_and_b32_sdwa v19, v33, v13 dst_sel:DWORD dst_unused:UNUSED_PAD src0_sel:BYTE_3 src1_sel:DWORD
	v_mov_b32_e32 v36, v20
	v_lshrrev_b32_e32 v13, 3, v17
	v_mov_b32_e32 v35, v19
	v_cmpx_gt_u32_e32 8, v17
; %bb.815:                              ;   in Loop: Header=BB380_16 Depth=1
	v_ffbh_u32_e32 v13, v19
	v_min_u32_e32 v13, 32, v13
	v_subrev_nc_u32_e32 v17, 28, v13
	v_sub_nc_u32_e32 v13, 29, v13
	v_lshlrev_b64 v[17:18], v17, v[19:20]
	v_and_b32_e32 v35, 7, v17
; %bb.816:                              ;   in Loop: Header=BB380_16 Depth=1
	s_or_b32 exec_lo, exec_lo, s28
	v_mov_b32_e32 v17, 24
	v_lshlrev_b32_e32 v18, 20, v35
	v_lshl_add_u32 v13, v13, 23, 0x3c000000
	v_lshlrev_b32_sdwa v17, v17, v33 dst_sel:DWORD dst_unused:UNUSED_PAD src0_sel:DWORD src1_sel:BYTE_3
	v_and_b32_e32 v17, 0x80000000, v17
	v_or3_b32 v13, v18, v17, v13
.LBB380_817:                            ;   in Loop: Header=BB380_16 Depth=1
	s_or_b32 exec_lo, exec_lo, s27
.LBB380_818:                            ;   in Loop: Header=BB380_16 Depth=1
	s_or_b32 exec_lo, exec_lo, s26
.LBB380_819:                            ;   in Loop: Header=BB380_16 Depth=1
	s_or_b32 exec_lo, exec_lo, s25
	v_mov_b32_e32 v19, v34
	v_cmp_ne_u16_sdwa s5, v34, v20 src0_sel:BYTE_0 src1_sel:DWORD
	v_mov_b32_e32 v24, 0
	v_mov_b32_e32 v25, 0
	s_and_saveexec_b32 s25, s5
	s_cbranch_execz .LBB380_827
; %bb.820:                              ;   in Loop: Header=BB380_16 Depth=1
	v_cmp_ne_u16_sdwa s5, v34, v42 src0_sel:BYTE_0 src1_sel:DWORD
	v_bfrev_b32_e32 v25, 1
	s_and_saveexec_b32 s26, s5
	s_cbranch_execz .LBB380_826
; %bb.821:                              ;   in Loop: Header=BB380_16 Depth=1
	v_and_b32_e32 v18, 0x7f, v34
	v_mov_b32_e32 v25, 0x7f800001
	s_mov_b32 s27, exec_lo
	v_cmpx_ne_u32_e32 0x7f, v18
	s_cbranch_execz .LBB380_825
; %bb.822:                              ;   in Loop: Header=BB380_16 Depth=1
	v_mov_b32_e32 v36, v20
	v_lshrrev_b32_e32 v17, 3, v18
	v_mov_b32_e32 v35, v19
	s_mov_b32 s28, exec_lo
	v_cmpx_gt_u32_e32 8, v18
; %bb.823:                              ;   in Loop: Header=BB380_16 Depth=1
	v_and_b32_e32 v17, 7, v34
	v_ffbh_u32_e32 v17, v17
	v_min_u32_e32 v17, 32, v17
	v_subrev_nc_u32_e32 v18, 28, v17
	v_sub_nc_u32_e32 v17, 29, v17
	v_lshlrev_b64 v[35:36], v18, v[19:20]
; %bb.824:                              ;   in Loop: Header=BB380_16 Depth=1
	s_or_b32 exec_lo, exec_lo, s28
	v_lshlrev_b32_e32 v18, 20, v35
	v_lshlrev_b32_e32 v25, 24, v19
	v_lshl_add_u32 v17, v17, 23, 0x3c000000
	v_and_b32_e32 v18, 0x700000, v18
	v_and_b32_e32 v25, 0x80000000, v25
	v_or3_b32 v25, v18, v25, v17
.LBB380_825:                            ;   in Loop: Header=BB380_16 Depth=1
	s_or_b32 exec_lo, exec_lo, s27
.LBB380_826:                            ;   in Loop: Header=BB380_16 Depth=1
	s_or_b32 exec_lo, exec_lo, s26
.LBB380_827:                            ;   in Loop: Header=BB380_16 Depth=1
	s_or_b32 exec_lo, exec_lo, s25
	v_cmp_ne_u16_sdwa s5, v19, v20 src0_sel:BYTE_1 src1_sel:DWORD
	s_and_saveexec_b32 s25, s5
	s_cbranch_execz .LBB380_835
; %bb.828:                              ;   in Loop: Header=BB380_16 Depth=1
	v_cmp_ne_u16_sdwa s5, v19, v42 src0_sel:BYTE_1 src1_sel:DWORD
	v_bfrev_b32_e32 v24, 1
	s_and_saveexec_b32 s26, s5
	s_cbranch_execz .LBB380_834
; %bb.829:                              ;   in Loop: Header=BB380_16 Depth=1
	v_mov_b32_e32 v17, 0xffff
	v_mov_b32_e32 v24, 0x7f800001
	s_mov_b32 s27, exec_lo
	v_and_b32_sdwa v17, v17, v19 dst_sel:DWORD dst_unused:UNUSED_PAD src0_sel:DWORD src1_sel:BYTE_1
	v_and_b32_e32 v18, 0x7f, v17
	v_cmpx_ne_u32_e32 0x7f, v18
	s_cbranch_execz .LBB380_833
; %bb.830:                              ;   in Loop: Header=BB380_16 Depth=1
	v_and_b32_e32 v35, 7, v17
	v_mov_b32_e32 v36, v20
	v_lshrrev_b32_e32 v17, 3, v18
	s_mov_b32 s28, exec_lo
	v_cmpx_gt_u32_e32 8, v18
; %bb.831:                              ;   in Loop: Header=BB380_16 Depth=1
	v_ffbh_u32_e32 v17, v35
	v_min_u32_e32 v17, 32, v17
	v_subrev_nc_u32_e32 v18, 28, v17
	v_sub_nc_u32_e32 v17, 29, v17
	v_lshlrev_b64 v[35:36], v18, v[35:36]
	v_and_b32_e32 v35, 7, v35
; %bb.832:                              ;   in Loop: Header=BB380_16 Depth=1
	s_or_b32 exec_lo, exec_lo, s28
	v_lshlrev_b32_e32 v18, 16, v19
	v_lshlrev_b32_e32 v19, 20, v35
	v_lshl_add_u32 v17, v17, 23, 0x3c000000
	v_and_b32_e32 v18, 0x80000000, v18
	v_or3_b32 v24, v19, v18, v17
.LBB380_833:                            ;   in Loop: Header=BB380_16 Depth=1
	s_or_b32 exec_lo, exec_lo, s27
.LBB380_834:                            ;   in Loop: Header=BB380_16 Depth=1
	s_or_b32 exec_lo, exec_lo, s26
.LBB380_835:                            ;   in Loop: Header=BB380_16 Depth=1
	s_or_b32 exec_lo, exec_lo, s25
	v_mov_b32_e32 v17, 0xff
	v_mov_b32_e32 v55, 0
	;; [unrolled: 1-line block ×3, first 2 shown]
	s_mov_b32 s25, exec_lo
	v_and_b32_sdwa v17, v34, v17 dst_sel:DWORD dst_unused:UNUSED_PAD src0_sel:WORD_1 src1_sel:DWORD
	v_cmpx_ne_u16_e32 0, v17
	s_cbranch_execz .LBB380_843
; %bb.836:                              ;   in Loop: Header=BB380_16 Depth=1
	v_bfrev_b32_e32 v58, 1
	s_mov_b32 s26, exec_lo
	v_cmpx_ne_u16_e32 0x80, v17
	s_cbranch_execz .LBB380_842
; %bb.837:                              ;   in Loop: Header=BB380_16 Depth=1
	v_bfe_u32 v18, v34, 16, 7
	v_mov_b32_e32 v58, 0x7f800001
	s_mov_b32 s27, exec_lo
	v_cmpx_ne_u32_e32 0x7f, v18
	s_cbranch_execz .LBB380_841
; %bb.838:                              ;   in Loop: Header=BB380_16 Depth=1
	v_mov_b32_e32 v17, 7
	s_mov_b32 s28, exec_lo
	v_and_b32_sdwa v19, v34, v17 dst_sel:DWORD dst_unused:UNUSED_PAD src0_sel:WORD_1 src1_sel:DWORD
	v_mov_b32_e32 v36, v20
	v_lshrrev_b32_e32 v17, 3, v18
	v_mov_b32_e32 v35, v19
	v_cmpx_gt_u32_e32 8, v18
; %bb.839:                              ;   in Loop: Header=BB380_16 Depth=1
	v_ffbh_u32_e32 v17, v19
	v_min_u32_e32 v17, 32, v17
	v_subrev_nc_u32_e32 v18, 28, v17
	v_sub_nc_u32_e32 v17, 29, v17
	v_lshlrev_b64 v[18:19], v18, v[19:20]
	v_and_b32_e32 v35, 7, v18
; %bb.840:                              ;   in Loop: Header=BB380_16 Depth=1
	s_or_b32 exec_lo, exec_lo, s28
	v_mov_b32_e32 v18, 24
	v_lshlrev_b32_e32 v19, 20, v35
	v_lshl_add_u32 v17, v17, 23, 0x3c000000
	v_lshlrev_b32_sdwa v18, v18, v34 dst_sel:DWORD dst_unused:UNUSED_PAD src0_sel:DWORD src1_sel:WORD_1
	v_and_b32_e32 v18, 0x80000000, v18
	v_or3_b32 v58, v19, v18, v17
.LBB380_841:                            ;   in Loop: Header=BB380_16 Depth=1
	s_or_b32 exec_lo, exec_lo, s27
.LBB380_842:                            ;   in Loop: Header=BB380_16 Depth=1
	s_or_b32 exec_lo, exec_lo, s26
.LBB380_843:                            ;   in Loop: Header=BB380_16 Depth=1
	s_or_b32 exec_lo, exec_lo, s25
	s_mov_b32 s25, exec_lo
	v_cmpx_lt_u64_e64 s[20:21], v[33:34]
	s_cbranch_execz .LBB380_851
; %bb.844:                              ;   in Loop: Header=BB380_16 Depth=1
	v_cmp_ne_u32_sdwa s5, v34, v42 src0_sel:BYTE_3 src1_sel:DWORD
	v_bfrev_b32_e32 v55, 1
	s_and_saveexec_b32 s26, s5
	s_cbranch_execz .LBB380_850
; %bb.845:                              ;   in Loop: Header=BB380_16 Depth=1
	v_bfe_u32 v18, v34, 24, 7
	v_mov_b32_e32 v55, 0x7f800001
	s_mov_b32 s27, exec_lo
	v_cmpx_ne_u32_e32 0x7f, v18
	s_cbranch_execz .LBB380_849
; %bb.846:                              ;   in Loop: Header=BB380_16 Depth=1
	v_mov_b32_e32 v17, 7
	s_mov_b32 s28, exec_lo
	v_and_b32_sdwa v19, v34, v17 dst_sel:DWORD dst_unused:UNUSED_PAD src0_sel:BYTE_3 src1_sel:DWORD
	v_mov_b32_e32 v36, v20
	v_lshrrev_b32_e32 v17, 3, v18
	v_mov_b32_e32 v35, v19
	v_cmpx_gt_u32_e32 8, v18
; %bb.847:                              ;   in Loop: Header=BB380_16 Depth=1
	v_ffbh_u32_e32 v17, v19
	v_min_u32_e32 v17, 32, v17
	v_subrev_nc_u32_e32 v18, 28, v17
	v_sub_nc_u32_e32 v17, 29, v17
	v_lshlrev_b64 v[18:19], v18, v[19:20]
	v_and_b32_e32 v35, 7, v18
; %bb.848:                              ;   in Loop: Header=BB380_16 Depth=1
	s_or_b32 exec_lo, exec_lo, s28
	v_mov_b32_e32 v18, 24
	v_lshlrev_b32_e32 v19, 20, v35
	v_lshl_add_u32 v17, v17, 23, 0x3c000000
	v_lshlrev_b32_sdwa v18, v18, v34 dst_sel:DWORD dst_unused:UNUSED_PAD src0_sel:DWORD src1_sel:BYTE_3
	v_and_b32_e32 v18, 0x80000000, v18
	v_or3_b32 v55, v19, v18, v17
.LBB380_849:                            ;   in Loop: Header=BB380_16 Depth=1
	s_or_b32 exec_lo, exec_lo, s27
.LBB380_850:                            ;   in Loop: Header=BB380_16 Depth=1
	s_or_b32 exec_lo, exec_lo, s26
.LBB380_851:                            ;   in Loop: Header=BB380_16 Depth=1
	s_or_b32 exec_lo, exec_lo, s25
	flat_load_dwordx2 v[33:34], v[31:32] offset:1032
	v_mov_b32_e32 v117, 0
	v_mov_b32_e32 v52, 0
	s_waitcnt vmcnt(0) lgkmcnt(0)
	v_cmp_ne_u16_sdwa s5, v33, v20 src0_sel:BYTE_0 src1_sel:DWORD
	s_and_saveexec_b32 s25, s5
	s_cbranch_execz .LBB380_859
; %bb.852:                              ;   in Loop: Header=BB380_16 Depth=1
	v_cmp_ne_u16_sdwa s5, v33, v42 src0_sel:BYTE_0 src1_sel:DWORD
	v_bfrev_b32_e32 v52, 1
	s_and_saveexec_b32 s26, s5
	s_cbranch_execz .LBB380_858
; %bb.853:                              ;   in Loop: Header=BB380_16 Depth=1
	v_and_b32_e32 v18, 0x7f, v33
	v_mov_b32_e32 v52, 0x7f800001
	s_mov_b32 s27, exec_lo
	v_cmpx_ne_u32_e32 0x7f, v18
	s_cbranch_execz .LBB380_857
; %bb.854:                              ;   in Loop: Header=BB380_16 Depth=1
	v_mov_b32_e32 v36, v34
	v_lshrrev_b32_e32 v17, 3, v18
	v_mov_b32_e32 v35, v33
	s_mov_b32 s28, exec_lo
	v_cmpx_gt_u32_e32 8, v18
; %bb.855:                              ;   in Loop: Header=BB380_16 Depth=1
	v_and_b32_e32 v17, 7, v33
	v_ffbh_u32_e32 v17, v17
	v_min_u32_e32 v17, 32, v17
	v_subrev_nc_u32_e32 v18, 28, v17
	v_sub_nc_u32_e32 v17, 29, v17
	v_lshlrev_b64 v[35:36], v18, v[33:34]
; %bb.856:                              ;   in Loop: Header=BB380_16 Depth=1
	s_or_b32 exec_lo, exec_lo, s28
	v_lshlrev_b32_e32 v18, 20, v35
	v_lshlrev_b32_e32 v19, 24, v33
	v_lshl_add_u32 v17, v17, 23, 0x3c000000
	v_and_b32_e32 v18, 0x700000, v18
	v_and_b32_e32 v19, 0x80000000, v19
	v_or3_b32 v52, v18, v19, v17
.LBB380_857:                            ;   in Loop: Header=BB380_16 Depth=1
	s_or_b32 exec_lo, exec_lo, s27
.LBB380_858:                            ;   in Loop: Header=BB380_16 Depth=1
	s_or_b32 exec_lo, exec_lo, s26
.LBB380_859:                            ;   in Loop: Header=BB380_16 Depth=1
	s_or_b32 exec_lo, exec_lo, s25
	v_cmp_ne_u16_sdwa s5, v33, v20 src0_sel:BYTE_1 src1_sel:DWORD
	s_and_saveexec_b32 s25, s5
	s_cbranch_execz .LBB380_867
; %bb.860:                              ;   in Loop: Header=BB380_16 Depth=1
	v_cmp_ne_u16_sdwa s5, v33, v42 src0_sel:BYTE_1 src1_sel:DWORD
	v_bfrev_b32_e32 v117, 1
	s_and_saveexec_b32 s26, s5
	s_cbranch_execz .LBB380_866
; %bb.861:                              ;   in Loop: Header=BB380_16 Depth=1
	v_mov_b32_e32 v17, 0xffff
	v_mov_b32_e32 v117, 0x7f800001
	s_mov_b32 s27, exec_lo
	v_and_b32_sdwa v17, v17, v33 dst_sel:DWORD dst_unused:UNUSED_PAD src0_sel:DWORD src1_sel:BYTE_1
	v_and_b32_e32 v18, 0x7f, v17
	v_cmpx_ne_u32_e32 0x7f, v18
	s_cbranch_execz .LBB380_865
; %bb.862:                              ;   in Loop: Header=BB380_16 Depth=1
	v_and_b32_e32 v19, 7, v17
	v_mov_b32_e32 v36, v20
	v_lshrrev_b32_e32 v17, 3, v18
	s_mov_b32 s28, exec_lo
	v_mov_b32_e32 v35, v19
	v_cmpx_gt_u32_e32 8, v18
; %bb.863:                              ;   in Loop: Header=BB380_16 Depth=1
	v_ffbh_u32_e32 v17, v19
	v_min_u32_e32 v17, 32, v17
	v_subrev_nc_u32_e32 v18, 28, v17
	v_sub_nc_u32_e32 v17, 29, v17
	v_lshlrev_b64 v[18:19], v18, v[19:20]
	v_and_b32_e32 v35, 7, v18
; %bb.864:                              ;   in Loop: Header=BB380_16 Depth=1
	s_or_b32 exec_lo, exec_lo, s28
	v_lshlrev_b32_e32 v18, 16, v33
	v_lshlrev_b32_e32 v19, 20, v35
	v_lshl_add_u32 v17, v17, 23, 0x3c000000
	v_and_b32_e32 v18, 0x80000000, v18
	v_or3_b32 v117, v19, v18, v17
.LBB380_865:                            ;   in Loop: Header=BB380_16 Depth=1
	s_or_b32 exec_lo, exec_lo, s27
.LBB380_866:                            ;   in Loop: Header=BB380_16 Depth=1
	s_or_b32 exec_lo, exec_lo, s26
.LBB380_867:                            ;   in Loop: Header=BB380_16 Depth=1
	s_or_b32 exec_lo, exec_lo, s25
	v_mov_b32_e32 v17, 0xff
	v_mov_b32_e32 v41, 0
	;; [unrolled: 1-line block ×3, first 2 shown]
	s_mov_b32 s25, exec_lo
	v_and_b32_sdwa v17, v33, v17 dst_sel:DWORD dst_unused:UNUSED_PAD src0_sel:WORD_1 src1_sel:DWORD
	v_cmpx_ne_u16_e32 0, v17
	s_cbranch_execz .LBB380_875
; %bb.868:                              ;   in Loop: Header=BB380_16 Depth=1
	v_bfrev_b32_e32 v40, 1
	s_mov_b32 s26, exec_lo
	v_cmpx_ne_u16_e32 0x80, v17
	s_cbranch_execz .LBB380_874
; %bb.869:                              ;   in Loop: Header=BB380_16 Depth=1
	v_bfe_u32 v18, v33, 16, 7
	v_mov_b32_e32 v40, 0x7f800001
	s_mov_b32 s27, exec_lo
	v_cmpx_ne_u32_e32 0x7f, v18
	s_cbranch_execz .LBB380_873
; %bb.870:                              ;   in Loop: Header=BB380_16 Depth=1
	v_mov_b32_e32 v17, 7
	s_mov_b32 s28, exec_lo
	v_and_b32_sdwa v19, v33, v17 dst_sel:DWORD dst_unused:UNUSED_PAD src0_sel:WORD_1 src1_sel:DWORD
	v_mov_b32_e32 v36, v20
	v_lshrrev_b32_e32 v17, 3, v18
	v_mov_b32_e32 v35, v19
	v_cmpx_gt_u32_e32 8, v18
; %bb.871:                              ;   in Loop: Header=BB380_16 Depth=1
	v_ffbh_u32_e32 v17, v19
	v_min_u32_e32 v17, 32, v17
	v_subrev_nc_u32_e32 v18, 28, v17
	v_sub_nc_u32_e32 v17, 29, v17
	v_lshlrev_b64 v[18:19], v18, v[19:20]
	v_and_b32_e32 v35, 7, v18
; %bb.872:                              ;   in Loop: Header=BB380_16 Depth=1
	s_or_b32 exec_lo, exec_lo, s28
	v_mov_b32_e32 v18, 24
	v_lshlrev_b32_e32 v19, 20, v35
	v_lshl_add_u32 v17, v17, 23, 0x3c000000
	v_lshlrev_b32_sdwa v18, v18, v33 dst_sel:DWORD dst_unused:UNUSED_PAD src0_sel:DWORD src1_sel:WORD_1
	v_and_b32_e32 v18, 0x80000000, v18
	v_or3_b32 v40, v19, v18, v17
.LBB380_873:                            ;   in Loop: Header=BB380_16 Depth=1
	s_or_b32 exec_lo, exec_lo, s27
.LBB380_874:                            ;   in Loop: Header=BB380_16 Depth=1
	s_or_b32 exec_lo, exec_lo, s26
.LBB380_875:                            ;   in Loop: Header=BB380_16 Depth=1
	s_or_b32 exec_lo, exec_lo, s25
	s_mov_b32 s25, exec_lo
	v_cmpx_lt_u32_e32 0xffffff, v33
	s_cbranch_execz .LBB380_883
; %bb.876:                              ;   in Loop: Header=BB380_16 Depth=1
	v_cmp_ne_u32_sdwa s5, v33, v42 src0_sel:BYTE_3 src1_sel:DWORD
	v_bfrev_b32_e32 v41, 1
	s_and_saveexec_b32 s26, s5
	s_cbranch_execz .LBB380_882
; %bb.877:                              ;   in Loop: Header=BB380_16 Depth=1
	v_bfe_u32 v18, v33, 24, 7
	v_mov_b32_e32 v41, 0x7f800001
	s_mov_b32 s27, exec_lo
	v_cmpx_ne_u32_e32 0x7f, v18
	s_cbranch_execz .LBB380_881
; %bb.878:                              ;   in Loop: Header=BB380_16 Depth=1
	v_mov_b32_e32 v17, 7
	s_mov_b32 s28, exec_lo
	v_and_b32_sdwa v19, v33, v17 dst_sel:DWORD dst_unused:UNUSED_PAD src0_sel:BYTE_3 src1_sel:DWORD
	v_mov_b32_e32 v36, v20
	v_lshrrev_b32_e32 v17, 3, v18
	v_mov_b32_e32 v35, v19
	v_cmpx_gt_u32_e32 8, v18
; %bb.879:                              ;   in Loop: Header=BB380_16 Depth=1
	v_ffbh_u32_e32 v17, v19
	v_min_u32_e32 v17, 32, v17
	v_subrev_nc_u32_e32 v18, 28, v17
	v_sub_nc_u32_e32 v17, 29, v17
	v_lshlrev_b64 v[18:19], v18, v[19:20]
	v_and_b32_e32 v35, 7, v18
; %bb.880:                              ;   in Loop: Header=BB380_16 Depth=1
	s_or_b32 exec_lo, exec_lo, s28
	v_mov_b32_e32 v18, 24
	v_lshlrev_b32_e32 v19, 20, v35
	v_lshl_add_u32 v17, v17, 23, 0x3c000000
	v_lshlrev_b32_sdwa v18, v18, v33 dst_sel:DWORD dst_unused:UNUSED_PAD src0_sel:DWORD src1_sel:BYTE_3
	v_and_b32_e32 v18, 0x80000000, v18
	v_or3_b32 v41, v19, v18, v17
.LBB380_881:                            ;   in Loop: Header=BB380_16 Depth=1
	s_or_b32 exec_lo, exec_lo, s27
.LBB380_882:                            ;   in Loop: Header=BB380_16 Depth=1
	s_or_b32 exec_lo, exec_lo, s26
.LBB380_883:                            ;   in Loop: Header=BB380_16 Depth=1
	s_or_b32 exec_lo, exec_lo, s25
	v_mov_b32_e32 v19, v34
	v_cmp_ne_u16_sdwa s5, v34, v20 src0_sel:BYTE_0 src1_sel:DWORD
	v_mov_b32_e32 v72, 0
	v_mov_b32_e32 v63, 0
	s_and_saveexec_b32 s25, s5
	s_cbranch_execz .LBB380_891
; %bb.884:                              ;   in Loop: Header=BB380_16 Depth=1
	v_cmp_ne_u16_sdwa s5, v34, v42 src0_sel:BYTE_0 src1_sel:DWORD
	v_bfrev_b32_e32 v63, 1
	s_and_saveexec_b32 s26, s5
	s_cbranch_execz .LBB380_890
; %bb.885:                              ;   in Loop: Header=BB380_16 Depth=1
	v_and_b32_e32 v18, 0x7f, v34
	v_mov_b32_e32 v63, 0x7f800001
	s_mov_b32 s27, exec_lo
	v_cmpx_ne_u32_e32 0x7f, v18
	s_cbranch_execz .LBB380_889
; %bb.886:                              ;   in Loop: Header=BB380_16 Depth=1
	v_mov_b32_e32 v36, v20
	v_lshrrev_b32_e32 v17, 3, v18
	v_mov_b32_e32 v35, v19
	s_mov_b32 s28, exec_lo
	v_cmpx_gt_u32_e32 8, v18
; %bb.887:                              ;   in Loop: Header=BB380_16 Depth=1
	v_and_b32_e32 v17, 7, v34
	v_ffbh_u32_e32 v17, v17
	v_min_u32_e32 v17, 32, v17
	v_subrev_nc_u32_e32 v18, 28, v17
	v_sub_nc_u32_e32 v17, 29, v17
	v_lshlrev_b64 v[35:36], v18, v[19:20]
; %bb.888:                              ;   in Loop: Header=BB380_16 Depth=1
	s_or_b32 exec_lo, exec_lo, s28
	v_lshlrev_b32_e32 v18, 20, v35
	v_lshlrev_b32_e32 v35, 24, v19
	v_lshl_add_u32 v17, v17, 23, 0x3c000000
	v_and_b32_e32 v18, 0x700000, v18
	v_and_b32_e32 v35, 0x80000000, v35
	v_or3_b32 v63, v18, v35, v17
.LBB380_889:                            ;   in Loop: Header=BB380_16 Depth=1
	s_or_b32 exec_lo, exec_lo, s27
.LBB380_890:                            ;   in Loop: Header=BB380_16 Depth=1
	s_or_b32 exec_lo, exec_lo, s26
.LBB380_891:                            ;   in Loop: Header=BB380_16 Depth=1
	s_or_b32 exec_lo, exec_lo, s25
	v_cmp_ne_u16_sdwa s5, v19, v20 src0_sel:BYTE_1 src1_sel:DWORD
	s_and_saveexec_b32 s25, s5
	s_cbranch_execz .LBB380_899
; %bb.892:                              ;   in Loop: Header=BB380_16 Depth=1
	v_cmp_ne_u16_sdwa s5, v19, v42 src0_sel:BYTE_1 src1_sel:DWORD
	v_bfrev_b32_e32 v72, 1
	s_and_saveexec_b32 s26, s5
	s_cbranch_execz .LBB380_898
; %bb.893:                              ;   in Loop: Header=BB380_16 Depth=1
	v_mov_b32_e32 v17, 0xffff
	v_mov_b32_e32 v72, 0x7f800001
	s_mov_b32 s27, exec_lo
	v_and_b32_sdwa v17, v17, v19 dst_sel:DWORD dst_unused:UNUSED_PAD src0_sel:DWORD src1_sel:BYTE_1
	v_and_b32_e32 v18, 0x7f, v17
	v_cmpx_ne_u32_e32 0x7f, v18
	s_cbranch_execz .LBB380_897
; %bb.894:                              ;   in Loop: Header=BB380_16 Depth=1
	v_and_b32_e32 v35, 7, v17
	v_mov_b32_e32 v36, v20
	v_lshrrev_b32_e32 v17, 3, v18
	s_mov_b32 s28, exec_lo
	v_cmpx_gt_u32_e32 8, v18
; %bb.895:                              ;   in Loop: Header=BB380_16 Depth=1
	v_ffbh_u32_e32 v17, v35
	v_min_u32_e32 v17, 32, v17
	v_subrev_nc_u32_e32 v18, 28, v17
	v_sub_nc_u32_e32 v17, 29, v17
	v_lshlrev_b64 v[35:36], v18, v[35:36]
	v_and_b32_e32 v35, 7, v35
; %bb.896:                              ;   in Loop: Header=BB380_16 Depth=1
	s_or_b32 exec_lo, exec_lo, s28
	v_lshlrev_b32_e32 v18, 16, v19
	v_lshlrev_b32_e32 v19, 20, v35
	v_lshl_add_u32 v17, v17, 23, 0x3c000000
	v_and_b32_e32 v18, 0x80000000, v18
	v_or3_b32 v72, v19, v18, v17
.LBB380_897:                            ;   in Loop: Header=BB380_16 Depth=1
	s_or_b32 exec_lo, exec_lo, s27
.LBB380_898:                            ;   in Loop: Header=BB380_16 Depth=1
	s_or_b32 exec_lo, exec_lo, s26
.LBB380_899:                            ;   in Loop: Header=BB380_16 Depth=1
	s_or_b32 exec_lo, exec_lo, s25
	v_mov_b32_e32 v17, 0xff
	v_mov_b32_e32 v73, 0
	;; [unrolled: 1-line block ×3, first 2 shown]
	s_mov_b32 s25, exec_lo
	v_and_b32_sdwa v17, v34, v17 dst_sel:DWORD dst_unused:UNUSED_PAD src0_sel:WORD_1 src1_sel:DWORD
	v_cmpx_ne_u16_e32 0, v17
	s_cbranch_execz .LBB380_907
; %bb.900:                              ;   in Loop: Header=BB380_16 Depth=1
	v_bfrev_b32_e32 v74, 1
	s_mov_b32 s26, exec_lo
	v_cmpx_ne_u16_e32 0x80, v17
	s_cbranch_execz .LBB380_906
; %bb.901:                              ;   in Loop: Header=BB380_16 Depth=1
	v_bfe_u32 v18, v34, 16, 7
	v_mov_b32_e32 v74, 0x7f800001
	s_mov_b32 s27, exec_lo
	v_cmpx_ne_u32_e32 0x7f, v18
	s_cbranch_execz .LBB380_905
; %bb.902:                              ;   in Loop: Header=BB380_16 Depth=1
	v_mov_b32_e32 v17, 7
	s_mov_b32 s28, exec_lo
	v_and_b32_sdwa v19, v34, v17 dst_sel:DWORD dst_unused:UNUSED_PAD src0_sel:WORD_1 src1_sel:DWORD
	v_mov_b32_e32 v36, v20
	v_lshrrev_b32_e32 v17, 3, v18
	v_mov_b32_e32 v35, v19
	v_cmpx_gt_u32_e32 8, v18
; %bb.903:                              ;   in Loop: Header=BB380_16 Depth=1
	v_ffbh_u32_e32 v17, v19
	v_min_u32_e32 v17, 32, v17
	v_subrev_nc_u32_e32 v18, 28, v17
	v_sub_nc_u32_e32 v17, 29, v17
	v_lshlrev_b64 v[18:19], v18, v[19:20]
	v_and_b32_e32 v35, 7, v18
; %bb.904:                              ;   in Loop: Header=BB380_16 Depth=1
	s_or_b32 exec_lo, exec_lo, s28
	v_mov_b32_e32 v18, 24
	v_lshlrev_b32_e32 v19, 20, v35
	v_lshl_add_u32 v17, v17, 23, 0x3c000000
	v_lshlrev_b32_sdwa v18, v18, v34 dst_sel:DWORD dst_unused:UNUSED_PAD src0_sel:DWORD src1_sel:WORD_1
	v_and_b32_e32 v18, 0x80000000, v18
	v_or3_b32 v74, v19, v18, v17
.LBB380_905:                            ;   in Loop: Header=BB380_16 Depth=1
	s_or_b32 exec_lo, exec_lo, s27
.LBB380_906:                            ;   in Loop: Header=BB380_16 Depth=1
	s_or_b32 exec_lo, exec_lo, s26
.LBB380_907:                            ;   in Loop: Header=BB380_16 Depth=1
	s_or_b32 exec_lo, exec_lo, s25
	s_mov_b32 s25, exec_lo
	v_cmpx_lt_u64_e64 s[20:21], v[33:34]
	s_cbranch_execz .LBB380_915
; %bb.908:                              ;   in Loop: Header=BB380_16 Depth=1
	v_cmp_ne_u32_sdwa s5, v34, v42 src0_sel:BYTE_3 src1_sel:DWORD
	v_bfrev_b32_e32 v73, 1
	s_and_saveexec_b32 s26, s5
	s_cbranch_execz .LBB380_914
; %bb.909:                              ;   in Loop: Header=BB380_16 Depth=1
	v_bfe_u32 v18, v34, 24, 7
	v_mov_b32_e32 v73, 0x7f800001
	s_mov_b32 s27, exec_lo
	v_cmpx_ne_u32_e32 0x7f, v18
	s_cbranch_execz .LBB380_913
; %bb.910:                              ;   in Loop: Header=BB380_16 Depth=1
	v_mov_b32_e32 v17, 7
	s_mov_b32 s28, exec_lo
	v_and_b32_sdwa v19, v34, v17 dst_sel:DWORD dst_unused:UNUSED_PAD src0_sel:BYTE_3 src1_sel:DWORD
	v_mov_b32_e32 v36, v20
	v_lshrrev_b32_e32 v17, 3, v18
	v_mov_b32_e32 v35, v19
	v_cmpx_gt_u32_e32 8, v18
; %bb.911:                              ;   in Loop: Header=BB380_16 Depth=1
	v_ffbh_u32_e32 v17, v19
	v_min_u32_e32 v17, 32, v17
	v_subrev_nc_u32_e32 v18, 28, v17
	v_sub_nc_u32_e32 v17, 29, v17
	v_lshlrev_b64 v[18:19], v18, v[19:20]
	v_and_b32_e32 v35, 7, v18
; %bb.912:                              ;   in Loop: Header=BB380_16 Depth=1
	s_or_b32 exec_lo, exec_lo, s28
	v_mov_b32_e32 v18, 24
	v_lshlrev_b32_e32 v19, 20, v35
	v_lshl_add_u32 v17, v17, 23, 0x3c000000
	v_lshlrev_b32_sdwa v18, v18, v34 dst_sel:DWORD dst_unused:UNUSED_PAD src0_sel:DWORD src1_sel:BYTE_3
	v_and_b32_e32 v18, 0x80000000, v18
	v_or3_b32 v73, v19, v18, v17
.LBB380_913:                            ;   in Loop: Header=BB380_16 Depth=1
	s_or_b32 exec_lo, exec_lo, s27
.LBB380_914:                            ;   in Loop: Header=BB380_16 Depth=1
	s_or_b32 exec_lo, exec_lo, s26
.LBB380_915:                            ;   in Loop: Header=BB380_16 Depth=1
	s_or_b32 exec_lo, exec_lo, s25
	flat_load_dwordx2 v[33:34], v[31:32] offset:1536
	v_mov_b32_e32 v77, 0
	v_mov_b32_e32 v116, 0
	s_waitcnt vmcnt(0) lgkmcnt(0)
	v_cmp_ne_u16_sdwa s5, v33, v20 src0_sel:BYTE_0 src1_sel:DWORD
	s_and_saveexec_b32 s25, s5
	s_cbranch_execz .LBB380_923
; %bb.916:                              ;   in Loop: Header=BB380_16 Depth=1
	v_cmp_ne_u16_sdwa s5, v33, v42 src0_sel:BYTE_0 src1_sel:DWORD
	v_bfrev_b32_e32 v116, 1
	s_and_saveexec_b32 s26, s5
	s_cbranch_execz .LBB380_922
; %bb.917:                              ;   in Loop: Header=BB380_16 Depth=1
	v_and_b32_e32 v18, 0x7f, v33
	v_mov_b32_e32 v116, 0x7f800001
	s_mov_b32 s27, exec_lo
	v_cmpx_ne_u32_e32 0x7f, v18
	s_cbranch_execz .LBB380_921
; %bb.918:                              ;   in Loop: Header=BB380_16 Depth=1
	v_mov_b32_e32 v36, v34
	v_lshrrev_b32_e32 v17, 3, v18
	v_mov_b32_e32 v35, v33
	s_mov_b32 s28, exec_lo
	v_cmpx_gt_u32_e32 8, v18
; %bb.919:                              ;   in Loop: Header=BB380_16 Depth=1
	v_and_b32_e32 v17, 7, v33
	v_ffbh_u32_e32 v17, v17
	v_min_u32_e32 v17, 32, v17
	v_subrev_nc_u32_e32 v18, 28, v17
	v_sub_nc_u32_e32 v17, 29, v17
	v_lshlrev_b64 v[35:36], v18, v[33:34]
; %bb.920:                              ;   in Loop: Header=BB380_16 Depth=1
	s_or_b32 exec_lo, exec_lo, s28
	v_lshlrev_b32_e32 v18, 20, v35
	v_lshlrev_b32_e32 v19, 24, v33
	v_lshl_add_u32 v17, v17, 23, 0x3c000000
	v_and_b32_e32 v18, 0x700000, v18
	v_and_b32_e32 v19, 0x80000000, v19
	v_or3_b32 v116, v18, v19, v17
.LBB380_921:                            ;   in Loop: Header=BB380_16 Depth=1
	s_or_b32 exec_lo, exec_lo, s27
.LBB380_922:                            ;   in Loop: Header=BB380_16 Depth=1
	s_or_b32 exec_lo, exec_lo, s26
.LBB380_923:                            ;   in Loop: Header=BB380_16 Depth=1
	s_or_b32 exec_lo, exec_lo, s25
	v_cmp_ne_u16_sdwa s5, v33, v20 src0_sel:BYTE_1 src1_sel:DWORD
	s_and_saveexec_b32 s25, s5
	s_cbranch_execz .LBB380_931
; %bb.924:                              ;   in Loop: Header=BB380_16 Depth=1
	v_cmp_ne_u16_sdwa s5, v33, v42 src0_sel:BYTE_1 src1_sel:DWORD
	v_bfrev_b32_e32 v77, 1
	s_and_saveexec_b32 s26, s5
	s_cbranch_execz .LBB380_930
; %bb.925:                              ;   in Loop: Header=BB380_16 Depth=1
	v_mov_b32_e32 v17, 0xffff
	v_mov_b32_e32 v77, 0x7f800001
	s_mov_b32 s27, exec_lo
	v_and_b32_sdwa v17, v17, v33 dst_sel:DWORD dst_unused:UNUSED_PAD src0_sel:DWORD src1_sel:BYTE_1
	v_and_b32_e32 v18, 0x7f, v17
	v_cmpx_ne_u32_e32 0x7f, v18
	s_cbranch_execz .LBB380_929
; %bb.926:                              ;   in Loop: Header=BB380_16 Depth=1
	v_and_b32_e32 v19, 7, v17
	v_mov_b32_e32 v36, v20
	v_lshrrev_b32_e32 v17, 3, v18
	s_mov_b32 s28, exec_lo
	v_mov_b32_e32 v35, v19
	v_cmpx_gt_u32_e32 8, v18
; %bb.927:                              ;   in Loop: Header=BB380_16 Depth=1
	v_ffbh_u32_e32 v17, v19
	v_min_u32_e32 v17, 32, v17
	v_subrev_nc_u32_e32 v18, 28, v17
	v_sub_nc_u32_e32 v17, 29, v17
	v_lshlrev_b64 v[18:19], v18, v[19:20]
	v_and_b32_e32 v35, 7, v18
; %bb.928:                              ;   in Loop: Header=BB380_16 Depth=1
	s_or_b32 exec_lo, exec_lo, s28
	v_lshlrev_b32_e32 v18, 16, v33
	v_lshlrev_b32_e32 v19, 20, v35
	v_lshl_add_u32 v17, v17, 23, 0x3c000000
	v_and_b32_e32 v18, 0x80000000, v18
	v_or3_b32 v77, v19, v18, v17
.LBB380_929:                            ;   in Loop: Header=BB380_16 Depth=1
	s_or_b32 exec_lo, exec_lo, s27
.LBB380_930:                            ;   in Loop: Header=BB380_16 Depth=1
	s_or_b32 exec_lo, exec_lo, s26
.LBB380_931:                            ;   in Loop: Header=BB380_16 Depth=1
	s_or_b32 exec_lo, exec_lo, s25
	v_mov_b32_e32 v17, 0xff
	v_mov_b32_e32 v79, 0
	;; [unrolled: 1-line block ×3, first 2 shown]
	s_mov_b32 s25, exec_lo
	v_and_b32_sdwa v17, v33, v17 dst_sel:DWORD dst_unused:UNUSED_PAD src0_sel:WORD_1 src1_sel:DWORD
	v_cmpx_ne_u16_e32 0, v17
	s_cbranch_execz .LBB380_939
; %bb.932:                              ;   in Loop: Header=BB380_16 Depth=1
	v_bfrev_b32_e32 v78, 1
	s_mov_b32 s26, exec_lo
	v_cmpx_ne_u16_e32 0x80, v17
	s_cbranch_execz .LBB380_938
; %bb.933:                              ;   in Loop: Header=BB380_16 Depth=1
	v_bfe_u32 v18, v33, 16, 7
	v_mov_b32_e32 v78, 0x7f800001
	s_mov_b32 s27, exec_lo
	v_cmpx_ne_u32_e32 0x7f, v18
	s_cbranch_execz .LBB380_937
; %bb.934:                              ;   in Loop: Header=BB380_16 Depth=1
	v_mov_b32_e32 v17, 7
	s_mov_b32 s28, exec_lo
	v_and_b32_sdwa v19, v33, v17 dst_sel:DWORD dst_unused:UNUSED_PAD src0_sel:WORD_1 src1_sel:DWORD
	v_mov_b32_e32 v36, v20
	v_lshrrev_b32_e32 v17, 3, v18
	v_mov_b32_e32 v35, v19
	v_cmpx_gt_u32_e32 8, v18
; %bb.935:                              ;   in Loop: Header=BB380_16 Depth=1
	v_ffbh_u32_e32 v17, v19
	v_min_u32_e32 v17, 32, v17
	v_subrev_nc_u32_e32 v18, 28, v17
	v_sub_nc_u32_e32 v17, 29, v17
	v_lshlrev_b64 v[18:19], v18, v[19:20]
	v_and_b32_e32 v35, 7, v18
; %bb.936:                              ;   in Loop: Header=BB380_16 Depth=1
	s_or_b32 exec_lo, exec_lo, s28
	v_mov_b32_e32 v18, 24
	v_lshlrev_b32_e32 v19, 20, v35
	v_lshl_add_u32 v17, v17, 23, 0x3c000000
	v_lshlrev_b32_sdwa v18, v18, v33 dst_sel:DWORD dst_unused:UNUSED_PAD src0_sel:DWORD src1_sel:WORD_1
	v_and_b32_e32 v18, 0x80000000, v18
	v_or3_b32 v78, v19, v18, v17
.LBB380_937:                            ;   in Loop: Header=BB380_16 Depth=1
	s_or_b32 exec_lo, exec_lo, s27
.LBB380_938:                            ;   in Loop: Header=BB380_16 Depth=1
	s_or_b32 exec_lo, exec_lo, s26
.LBB380_939:                            ;   in Loop: Header=BB380_16 Depth=1
	s_or_b32 exec_lo, exec_lo, s25
	s_mov_b32 s25, exec_lo
	v_cmpx_lt_u32_e32 0xffffff, v33
	s_cbranch_execz .LBB380_947
; %bb.940:                              ;   in Loop: Header=BB380_16 Depth=1
	v_cmp_ne_u32_sdwa s5, v33, v42 src0_sel:BYTE_3 src1_sel:DWORD
	v_bfrev_b32_e32 v79, 1
	s_and_saveexec_b32 s26, s5
	s_cbranch_execz .LBB380_946
; %bb.941:                              ;   in Loop: Header=BB380_16 Depth=1
	v_bfe_u32 v18, v33, 24, 7
	v_mov_b32_e32 v79, 0x7f800001
	s_mov_b32 s27, exec_lo
	v_cmpx_ne_u32_e32 0x7f, v18
	s_cbranch_execz .LBB380_945
; %bb.942:                              ;   in Loop: Header=BB380_16 Depth=1
	v_mov_b32_e32 v17, 7
	s_mov_b32 s28, exec_lo
	v_and_b32_sdwa v19, v33, v17 dst_sel:DWORD dst_unused:UNUSED_PAD src0_sel:BYTE_3 src1_sel:DWORD
	v_mov_b32_e32 v36, v20
	v_lshrrev_b32_e32 v17, 3, v18
	v_mov_b32_e32 v35, v19
	v_cmpx_gt_u32_e32 8, v18
; %bb.943:                              ;   in Loop: Header=BB380_16 Depth=1
	v_ffbh_u32_e32 v17, v19
	v_min_u32_e32 v17, 32, v17
	v_subrev_nc_u32_e32 v18, 28, v17
	v_sub_nc_u32_e32 v17, 29, v17
	v_lshlrev_b64 v[18:19], v18, v[19:20]
	v_and_b32_e32 v35, 7, v18
; %bb.944:                              ;   in Loop: Header=BB380_16 Depth=1
	s_or_b32 exec_lo, exec_lo, s28
	v_mov_b32_e32 v18, 24
	v_lshlrev_b32_e32 v19, 20, v35
	v_lshl_add_u32 v17, v17, 23, 0x3c000000
	v_lshlrev_b32_sdwa v18, v18, v33 dst_sel:DWORD dst_unused:UNUSED_PAD src0_sel:DWORD src1_sel:BYTE_3
	v_and_b32_e32 v18, 0x80000000, v18
	v_or3_b32 v79, v19, v18, v17
.LBB380_945:                            ;   in Loop: Header=BB380_16 Depth=1
	s_or_b32 exec_lo, exec_lo, s27
.LBB380_946:                            ;   in Loop: Header=BB380_16 Depth=1
	s_or_b32 exec_lo, exec_lo, s26
.LBB380_947:                            ;   in Loop: Header=BB380_16 Depth=1
	s_or_b32 exec_lo, exec_lo, s25
	v_mov_b32_e32 v19, v34
	v_cmp_ne_u16_sdwa s5, v34, v20 src0_sel:BYTE_0 src1_sel:DWORD
	v_mov_b32_e32 v93, 0
	v_mov_b32_e32 v92, 0
	s_and_saveexec_b32 s25, s5
	s_cbranch_execz .LBB380_955
; %bb.948:                              ;   in Loop: Header=BB380_16 Depth=1
	v_cmp_ne_u16_sdwa s5, v34, v42 src0_sel:BYTE_0 src1_sel:DWORD
	v_bfrev_b32_e32 v92, 1
	s_and_saveexec_b32 s26, s5
	s_cbranch_execz .LBB380_954
; %bb.949:                              ;   in Loop: Header=BB380_16 Depth=1
	v_and_b32_e32 v18, 0x7f, v34
	v_mov_b32_e32 v92, 0x7f800001
	s_mov_b32 s27, exec_lo
	v_cmpx_ne_u32_e32 0x7f, v18
	s_cbranch_execz .LBB380_953
; %bb.950:                              ;   in Loop: Header=BB380_16 Depth=1
	v_mov_b32_e32 v36, v20
	v_lshrrev_b32_e32 v17, 3, v18
	v_mov_b32_e32 v35, v19
	s_mov_b32 s28, exec_lo
	v_cmpx_gt_u32_e32 8, v18
; %bb.951:                              ;   in Loop: Header=BB380_16 Depth=1
	v_and_b32_e32 v17, 7, v34
	v_ffbh_u32_e32 v17, v17
	v_min_u32_e32 v17, 32, v17
	v_subrev_nc_u32_e32 v18, 28, v17
	v_sub_nc_u32_e32 v17, 29, v17
	v_lshlrev_b64 v[35:36], v18, v[19:20]
; %bb.952:                              ;   in Loop: Header=BB380_16 Depth=1
	s_or_b32 exec_lo, exec_lo, s28
	v_lshlrev_b32_e32 v18, 20, v35
	v_lshlrev_b32_e32 v35, 24, v19
	v_lshl_add_u32 v17, v17, 23, 0x3c000000
	v_and_b32_e32 v18, 0x700000, v18
	v_and_b32_e32 v35, 0x80000000, v35
	v_or3_b32 v92, v18, v35, v17
.LBB380_953:                            ;   in Loop: Header=BB380_16 Depth=1
	s_or_b32 exec_lo, exec_lo, s27
.LBB380_954:                            ;   in Loop: Header=BB380_16 Depth=1
	s_or_b32 exec_lo, exec_lo, s26
.LBB380_955:                            ;   in Loop: Header=BB380_16 Depth=1
	s_or_b32 exec_lo, exec_lo, s25
	v_cmp_ne_u16_sdwa s5, v19, v20 src0_sel:BYTE_1 src1_sel:DWORD
	s_and_saveexec_b32 s25, s5
	s_cbranch_execz .LBB380_963
; %bb.956:                              ;   in Loop: Header=BB380_16 Depth=1
	v_cmp_ne_u16_sdwa s5, v19, v42 src0_sel:BYTE_1 src1_sel:DWORD
	v_bfrev_b32_e32 v93, 1
	s_and_saveexec_b32 s26, s5
	s_cbranch_execz .LBB380_962
; %bb.957:                              ;   in Loop: Header=BB380_16 Depth=1
	v_mov_b32_e32 v17, 0xffff
	v_mov_b32_e32 v93, 0x7f800001
	s_mov_b32 s27, exec_lo
	v_and_b32_sdwa v17, v17, v19 dst_sel:DWORD dst_unused:UNUSED_PAD src0_sel:DWORD src1_sel:BYTE_1
	v_and_b32_e32 v18, 0x7f, v17
	v_cmpx_ne_u32_e32 0x7f, v18
	s_cbranch_execz .LBB380_961
; %bb.958:                              ;   in Loop: Header=BB380_16 Depth=1
	v_and_b32_e32 v35, 7, v17
	v_mov_b32_e32 v36, v20
	v_lshrrev_b32_e32 v17, 3, v18
	s_mov_b32 s28, exec_lo
	v_cmpx_gt_u32_e32 8, v18
; %bb.959:                              ;   in Loop: Header=BB380_16 Depth=1
	v_ffbh_u32_e32 v17, v35
	v_min_u32_e32 v17, 32, v17
	v_subrev_nc_u32_e32 v18, 28, v17
	v_sub_nc_u32_e32 v17, 29, v17
	v_lshlrev_b64 v[35:36], v18, v[35:36]
	v_and_b32_e32 v35, 7, v35
; %bb.960:                              ;   in Loop: Header=BB380_16 Depth=1
	s_or_b32 exec_lo, exec_lo, s28
	v_lshlrev_b32_e32 v18, 16, v19
	v_lshlrev_b32_e32 v19, 20, v35
	v_lshl_add_u32 v17, v17, 23, 0x3c000000
	v_and_b32_e32 v18, 0x80000000, v18
	v_or3_b32 v93, v19, v18, v17
.LBB380_961:                            ;   in Loop: Header=BB380_16 Depth=1
	s_or_b32 exec_lo, exec_lo, s27
.LBB380_962:                            ;   in Loop: Header=BB380_16 Depth=1
	s_or_b32 exec_lo, exec_lo, s26
.LBB380_963:                            ;   in Loop: Header=BB380_16 Depth=1
	s_or_b32 exec_lo, exec_lo, s25
	v_mov_b32_e32 v17, 0xff
	v_mov_b32_e32 v94, 0
	;; [unrolled: 1-line block ×3, first 2 shown]
	s_mov_b32 s25, exec_lo
	v_and_b32_sdwa v17, v34, v17 dst_sel:DWORD dst_unused:UNUSED_PAD src0_sel:WORD_1 src1_sel:DWORD
	v_cmpx_ne_u16_e32 0, v17
	s_cbranch_execz .LBB380_971
; %bb.964:                              ;   in Loop: Header=BB380_16 Depth=1
	v_bfrev_b32_e32 v95, 1
	s_mov_b32 s26, exec_lo
	v_cmpx_ne_u16_e32 0x80, v17
	s_cbranch_execz .LBB380_970
; %bb.965:                              ;   in Loop: Header=BB380_16 Depth=1
	v_bfe_u32 v18, v34, 16, 7
	v_mov_b32_e32 v95, 0x7f800001
	s_mov_b32 s27, exec_lo
	v_cmpx_ne_u32_e32 0x7f, v18
	s_cbranch_execz .LBB380_969
; %bb.966:                              ;   in Loop: Header=BB380_16 Depth=1
	v_mov_b32_e32 v17, 7
	s_mov_b32 s28, exec_lo
	v_and_b32_sdwa v19, v34, v17 dst_sel:DWORD dst_unused:UNUSED_PAD src0_sel:WORD_1 src1_sel:DWORD
	v_mov_b32_e32 v36, v20
	v_lshrrev_b32_e32 v17, 3, v18
	v_mov_b32_e32 v35, v19
	v_cmpx_gt_u32_e32 8, v18
; %bb.967:                              ;   in Loop: Header=BB380_16 Depth=1
	v_ffbh_u32_e32 v17, v19
	v_min_u32_e32 v17, 32, v17
	v_subrev_nc_u32_e32 v18, 28, v17
	v_sub_nc_u32_e32 v17, 29, v17
	v_lshlrev_b64 v[18:19], v18, v[19:20]
	v_and_b32_e32 v35, 7, v18
; %bb.968:                              ;   in Loop: Header=BB380_16 Depth=1
	s_or_b32 exec_lo, exec_lo, s28
	v_mov_b32_e32 v18, 24
	v_lshlrev_b32_e32 v19, 20, v35
	v_lshl_add_u32 v17, v17, 23, 0x3c000000
	v_lshlrev_b32_sdwa v18, v18, v34 dst_sel:DWORD dst_unused:UNUSED_PAD src0_sel:DWORD src1_sel:WORD_1
	v_and_b32_e32 v18, 0x80000000, v18
	v_or3_b32 v95, v19, v18, v17
.LBB380_969:                            ;   in Loop: Header=BB380_16 Depth=1
	s_or_b32 exec_lo, exec_lo, s27
.LBB380_970:                            ;   in Loop: Header=BB380_16 Depth=1
	s_or_b32 exec_lo, exec_lo, s26
.LBB380_971:                            ;   in Loop: Header=BB380_16 Depth=1
	s_or_b32 exec_lo, exec_lo, s25
	s_mov_b32 s25, exec_lo
	v_cmpx_lt_u64_e64 s[20:21], v[33:34]
	s_cbranch_execz .LBB380_979
; %bb.972:                              ;   in Loop: Header=BB380_16 Depth=1
	v_cmp_ne_u32_sdwa s5, v34, v42 src0_sel:BYTE_3 src1_sel:DWORD
	v_bfrev_b32_e32 v94, 1
	s_and_saveexec_b32 s26, s5
	s_cbranch_execz .LBB380_978
; %bb.973:                              ;   in Loop: Header=BB380_16 Depth=1
	v_bfe_u32 v18, v34, 24, 7
	v_mov_b32_e32 v94, 0x7f800001
	s_mov_b32 s27, exec_lo
	v_cmpx_ne_u32_e32 0x7f, v18
	s_cbranch_execz .LBB380_977
; %bb.974:                              ;   in Loop: Header=BB380_16 Depth=1
	v_mov_b32_e32 v17, 7
	s_mov_b32 s28, exec_lo
	v_and_b32_sdwa v19, v34, v17 dst_sel:DWORD dst_unused:UNUSED_PAD src0_sel:BYTE_3 src1_sel:DWORD
	v_mov_b32_e32 v36, v20
	v_lshrrev_b32_e32 v17, 3, v18
	v_mov_b32_e32 v35, v19
	v_cmpx_gt_u32_e32 8, v18
; %bb.975:                              ;   in Loop: Header=BB380_16 Depth=1
	v_ffbh_u32_e32 v17, v19
	v_min_u32_e32 v17, 32, v17
	v_subrev_nc_u32_e32 v18, 28, v17
	v_sub_nc_u32_e32 v17, 29, v17
	v_lshlrev_b64 v[18:19], v18, v[19:20]
	v_and_b32_e32 v35, 7, v18
; %bb.976:                              ;   in Loop: Header=BB380_16 Depth=1
	s_or_b32 exec_lo, exec_lo, s28
	v_mov_b32_e32 v18, 24
	v_lshlrev_b32_e32 v19, 20, v35
	v_lshl_add_u32 v17, v17, 23, 0x3c000000
	v_lshlrev_b32_sdwa v18, v18, v34 dst_sel:DWORD dst_unused:UNUSED_PAD src0_sel:DWORD src1_sel:BYTE_3
	v_and_b32_e32 v18, 0x80000000, v18
	v_or3_b32 v94, v19, v18, v17
.LBB380_977:                            ;   in Loop: Header=BB380_16 Depth=1
	s_or_b32 exec_lo, exec_lo, s27
.LBB380_978:                            ;   in Loop: Header=BB380_16 Depth=1
	s_or_b32 exec_lo, exec_lo, s26
.LBB380_979:                            ;   in Loop: Header=BB380_16 Depth=1
	s_or_b32 exec_lo, exec_lo, s25
	flat_load_dwordx2 v[31:32], v[31:32] offset:1544
	v_mov_b32_e32 v36, 0
	v_mov_b32_e32 v35, 0
	s_waitcnt vmcnt(0) lgkmcnt(0)
	v_cmp_ne_u16_sdwa s5, v31, v20 src0_sel:BYTE_0 src1_sel:DWORD
	s_and_saveexec_b32 s25, s5
	s_cbranch_execz .LBB380_987
; %bb.980:                              ;   in Loop: Header=BB380_16 Depth=1
	v_cmp_ne_u16_sdwa s5, v31, v42 src0_sel:BYTE_0 src1_sel:DWORD
	v_bfrev_b32_e32 v35, 1
	s_and_saveexec_b32 s26, s5
	s_cbranch_execz .LBB380_986
; %bb.981:                              ;   in Loop: Header=BB380_16 Depth=1
	v_and_b32_e32 v18, 0x7f, v31
	v_mov_b32_e32 v35, 0x7f800001
	s_mov_b32 s27, exec_lo
	v_cmpx_ne_u32_e32 0x7f, v18
	s_cbranch_execz .LBB380_985
; %bb.982:                              ;   in Loop: Header=BB380_16 Depth=1
	v_mov_b32_e32 v34, v32
	v_lshrrev_b32_e32 v17, 3, v18
	v_mov_b32_e32 v33, v31
	s_mov_b32 s28, exec_lo
	v_cmpx_gt_u32_e32 8, v18
; %bb.983:                              ;   in Loop: Header=BB380_16 Depth=1
	v_and_b32_e32 v17, 7, v31
	v_ffbh_u32_e32 v17, v17
	v_min_u32_e32 v17, 32, v17
	v_subrev_nc_u32_e32 v18, 28, v17
	v_sub_nc_u32_e32 v17, 29, v17
	v_lshlrev_b64 v[33:34], v18, v[31:32]
; %bb.984:                              ;   in Loop: Header=BB380_16 Depth=1
	s_or_b32 exec_lo, exec_lo, s28
	v_lshlrev_b32_e32 v18, 20, v33
	v_lshlrev_b32_e32 v19, 24, v31
	v_lshl_add_u32 v17, v17, 23, 0x3c000000
	v_and_b32_e32 v18, 0x700000, v18
	v_and_b32_e32 v19, 0x80000000, v19
	v_or3_b32 v35, v18, v19, v17
.LBB380_985:                            ;   in Loop: Header=BB380_16 Depth=1
	s_or_b32 exec_lo, exec_lo, s27
.LBB380_986:                            ;   in Loop: Header=BB380_16 Depth=1
	s_or_b32 exec_lo, exec_lo, s26
.LBB380_987:                            ;   in Loop: Header=BB380_16 Depth=1
	s_or_b32 exec_lo, exec_lo, s25
	v_cmp_ne_u16_sdwa s5, v31, v20 src0_sel:BYTE_1 src1_sel:DWORD
	s_and_saveexec_b32 s25, s5
	s_cbranch_execz .LBB380_995
; %bb.988:                              ;   in Loop: Header=BB380_16 Depth=1
	v_cmp_ne_u16_sdwa s5, v31, v42 src0_sel:BYTE_1 src1_sel:DWORD
	v_bfrev_b32_e32 v36, 1
	s_and_saveexec_b32 s26, s5
	s_cbranch_execz .LBB380_994
; %bb.989:                              ;   in Loop: Header=BB380_16 Depth=1
	v_mov_b32_e32 v17, 0xffff
	v_mov_b32_e32 v36, 0x7f800001
	s_mov_b32 s27, exec_lo
	v_and_b32_sdwa v17, v17, v31 dst_sel:DWORD dst_unused:UNUSED_PAD src0_sel:DWORD src1_sel:BYTE_1
	v_and_b32_e32 v18, 0x7f, v17
	v_cmpx_ne_u32_e32 0x7f, v18
	s_cbranch_execz .LBB380_993
; %bb.990:                              ;   in Loop: Header=BB380_16 Depth=1
	v_and_b32_e32 v19, 7, v17
	v_mov_b32_e32 v34, v20
	v_lshrrev_b32_e32 v17, 3, v18
	s_mov_b32 s28, exec_lo
	v_mov_b32_e32 v33, v19
	v_cmpx_gt_u32_e32 8, v18
; %bb.991:                              ;   in Loop: Header=BB380_16 Depth=1
	v_ffbh_u32_e32 v17, v19
	v_min_u32_e32 v17, 32, v17
	v_subrev_nc_u32_e32 v18, 28, v17
	v_sub_nc_u32_e32 v17, 29, v17
	v_lshlrev_b64 v[18:19], v18, v[19:20]
	v_and_b32_e32 v33, 7, v18
; %bb.992:                              ;   in Loop: Header=BB380_16 Depth=1
	s_or_b32 exec_lo, exec_lo, s28
	v_lshlrev_b32_e32 v18, 16, v31
	v_lshlrev_b32_e32 v19, 20, v33
	v_lshl_add_u32 v17, v17, 23, 0x3c000000
	v_and_b32_e32 v18, 0x80000000, v18
	v_or3_b32 v36, v19, v18, v17
.LBB380_993:                            ;   in Loop: Header=BB380_16 Depth=1
	s_or_b32 exec_lo, exec_lo, s27
.LBB380_994:                            ;   in Loop: Header=BB380_16 Depth=1
	s_or_b32 exec_lo, exec_lo, s26
.LBB380_995:                            ;   in Loop: Header=BB380_16 Depth=1
	s_or_b32 exec_lo, exec_lo, s25
	v_mov_b32_e32 v17, 0xff
	v_mov_b32_e32 v76, 0
	;; [unrolled: 1-line block ×3, first 2 shown]
	s_mov_b32 s25, exec_lo
	v_and_b32_sdwa v17, v31, v17 dst_sel:DWORD dst_unused:UNUSED_PAD src0_sel:WORD_1 src1_sel:DWORD
	v_cmpx_ne_u16_e32 0, v17
	s_cbranch_execz .LBB380_1003
; %bb.996:                              ;   in Loop: Header=BB380_16 Depth=1
	v_bfrev_b32_e32 v75, 1
	s_mov_b32 s26, exec_lo
	v_cmpx_ne_u16_e32 0x80, v17
	s_cbranch_execz .LBB380_1002
; %bb.997:                              ;   in Loop: Header=BB380_16 Depth=1
	v_bfe_u32 v18, v31, 16, 7
	v_mov_b32_e32 v75, 0x7f800001
	s_mov_b32 s27, exec_lo
	v_cmpx_ne_u32_e32 0x7f, v18
	s_cbranch_execz .LBB380_1001
; %bb.998:                              ;   in Loop: Header=BB380_16 Depth=1
	v_mov_b32_e32 v17, 7
	s_mov_b32 s28, exec_lo
	v_and_b32_sdwa v19, v31, v17 dst_sel:DWORD dst_unused:UNUSED_PAD src0_sel:WORD_1 src1_sel:DWORD
	v_mov_b32_e32 v34, v20
	v_lshrrev_b32_e32 v17, 3, v18
	v_mov_b32_e32 v33, v19
	v_cmpx_gt_u32_e32 8, v18
; %bb.999:                              ;   in Loop: Header=BB380_16 Depth=1
	v_ffbh_u32_e32 v17, v19
	v_min_u32_e32 v17, 32, v17
	v_subrev_nc_u32_e32 v18, 28, v17
	v_sub_nc_u32_e32 v17, 29, v17
	v_lshlrev_b64 v[18:19], v18, v[19:20]
	v_and_b32_e32 v33, 7, v18
; %bb.1000:                             ;   in Loop: Header=BB380_16 Depth=1
	s_or_b32 exec_lo, exec_lo, s28
	v_mov_b32_e32 v18, 24
	v_lshlrev_b32_e32 v19, 20, v33
	v_lshl_add_u32 v17, v17, 23, 0x3c000000
	v_lshlrev_b32_sdwa v18, v18, v31 dst_sel:DWORD dst_unused:UNUSED_PAD src0_sel:DWORD src1_sel:WORD_1
	v_and_b32_e32 v18, 0x80000000, v18
	v_or3_b32 v75, v19, v18, v17
.LBB380_1001:                           ;   in Loop: Header=BB380_16 Depth=1
	s_or_b32 exec_lo, exec_lo, s27
.LBB380_1002:                           ;   in Loop: Header=BB380_16 Depth=1
	s_or_b32 exec_lo, exec_lo, s26
.LBB380_1003:                           ;   in Loop: Header=BB380_16 Depth=1
	s_or_b32 exec_lo, exec_lo, s25
	s_mov_b32 s25, exec_lo
	v_cmpx_lt_u32_e32 0xffffff, v31
	s_cbranch_execz .LBB380_1011
; %bb.1004:                             ;   in Loop: Header=BB380_16 Depth=1
	v_cmp_ne_u32_sdwa s5, v31, v42 src0_sel:BYTE_3 src1_sel:DWORD
	v_bfrev_b32_e32 v76, 1
	s_and_saveexec_b32 s26, s5
	s_cbranch_execz .LBB380_1010
; %bb.1005:                             ;   in Loop: Header=BB380_16 Depth=1
	v_bfe_u32 v18, v31, 24, 7
	v_mov_b32_e32 v76, 0x7f800001
	s_mov_b32 s27, exec_lo
	v_cmpx_ne_u32_e32 0x7f, v18
	s_cbranch_execz .LBB380_1009
; %bb.1006:                             ;   in Loop: Header=BB380_16 Depth=1
	v_mov_b32_e32 v17, 7
	s_mov_b32 s28, exec_lo
	v_and_b32_sdwa v19, v31, v17 dst_sel:DWORD dst_unused:UNUSED_PAD src0_sel:BYTE_3 src1_sel:DWORD
	v_mov_b32_e32 v34, v20
	v_lshrrev_b32_e32 v17, 3, v18
	v_mov_b32_e32 v33, v19
	v_cmpx_gt_u32_e32 8, v18
; %bb.1007:                             ;   in Loop: Header=BB380_16 Depth=1
	v_ffbh_u32_e32 v17, v19
	v_min_u32_e32 v17, 32, v17
	v_subrev_nc_u32_e32 v18, 28, v17
	v_sub_nc_u32_e32 v17, 29, v17
	v_lshlrev_b64 v[18:19], v18, v[19:20]
	v_and_b32_e32 v33, 7, v18
; %bb.1008:                             ;   in Loop: Header=BB380_16 Depth=1
	s_or_b32 exec_lo, exec_lo, s28
	v_mov_b32_e32 v18, 24
	v_lshlrev_b32_e32 v19, 20, v33
	v_lshl_add_u32 v17, v17, 23, 0x3c000000
	v_lshlrev_b32_sdwa v18, v18, v31 dst_sel:DWORD dst_unused:UNUSED_PAD src0_sel:DWORD src1_sel:BYTE_3
	v_and_b32_e32 v18, 0x80000000, v18
	v_or3_b32 v76, v19, v18, v17
.LBB380_1009:                           ;   in Loop: Header=BB380_16 Depth=1
	s_or_b32 exec_lo, exec_lo, s27
.LBB380_1010:                           ;   in Loop: Header=BB380_16 Depth=1
	s_or_b32 exec_lo, exec_lo, s26
.LBB380_1011:                           ;   in Loop: Header=BB380_16 Depth=1
	s_or_b32 exec_lo, exec_lo, s25
	v_mov_b32_e32 v19, v32
	v_cmp_ne_u16_sdwa s5, v32, v20 src0_sel:BYTE_0 src1_sel:DWORD
	v_mov_b32_e32 v89, 0
	v_mov_b32_e32 v88, 0
	s_and_saveexec_b32 s25, s5
	s_cbranch_execz .LBB380_1019
; %bb.1012:                             ;   in Loop: Header=BB380_16 Depth=1
	v_cmp_ne_u16_sdwa s5, v32, v42 src0_sel:BYTE_0 src1_sel:DWORD
	v_bfrev_b32_e32 v88, 1
	s_and_saveexec_b32 s26, s5
	s_cbranch_execz .LBB380_1018
; %bb.1013:                             ;   in Loop: Header=BB380_16 Depth=1
	v_and_b32_e32 v18, 0x7f, v32
	v_mov_b32_e32 v88, 0x7f800001
	s_mov_b32 s27, exec_lo
	v_cmpx_ne_u32_e32 0x7f, v18
	s_cbranch_execz .LBB380_1017
; %bb.1014:                             ;   in Loop: Header=BB380_16 Depth=1
	v_mov_b32_e32 v34, v20
	v_mov_b32_e32 v33, v19
	v_lshrrev_b32_e32 v17, 3, v18
	s_mov_b32 s28, exec_lo
	v_cmpx_gt_u32_e32 8, v18
; %bb.1015:                             ;   in Loop: Header=BB380_16 Depth=1
	v_and_b32_e32 v17, 7, v32
	v_ffbh_u32_e32 v17, v17
	v_min_u32_e32 v17, 32, v17
	v_subrev_nc_u32_e32 v18, 28, v17
	v_sub_nc_u32_e32 v17, 29, v17
	v_lshlrev_b64 v[33:34], v18, v[19:20]
; %bb.1016:                             ;   in Loop: Header=BB380_16 Depth=1
	s_or_b32 exec_lo, exec_lo, s28
	v_lshlrev_b32_e32 v18, 20, v33
	v_lshlrev_b32_e32 v33, 24, v19
	v_lshl_add_u32 v17, v17, 23, 0x3c000000
	v_and_b32_e32 v18, 0x700000, v18
	v_and_b32_e32 v33, 0x80000000, v33
	v_or3_b32 v88, v18, v33, v17
.LBB380_1017:                           ;   in Loop: Header=BB380_16 Depth=1
	s_or_b32 exec_lo, exec_lo, s27
.LBB380_1018:                           ;   in Loop: Header=BB380_16 Depth=1
	s_or_b32 exec_lo, exec_lo, s26
.LBB380_1019:                           ;   in Loop: Header=BB380_16 Depth=1
	s_or_b32 exec_lo, exec_lo, s25
	v_cmp_ne_u16_sdwa s5, v19, v20 src0_sel:BYTE_1 src1_sel:DWORD
	s_and_saveexec_b32 s25, s5
	s_cbranch_execz .LBB380_1027
; %bb.1020:                             ;   in Loop: Header=BB380_16 Depth=1
	v_cmp_ne_u16_sdwa s5, v19, v42 src0_sel:BYTE_1 src1_sel:DWORD
	v_bfrev_b32_e32 v89, 1
	s_and_saveexec_b32 s26, s5
	s_cbranch_execz .LBB380_1026
; %bb.1021:                             ;   in Loop: Header=BB380_16 Depth=1
	v_mov_b32_e32 v17, 0xffff
	v_mov_b32_e32 v89, 0x7f800001
	s_mov_b32 s27, exec_lo
	v_and_b32_sdwa v17, v17, v19 dst_sel:DWORD dst_unused:UNUSED_PAD src0_sel:DWORD src1_sel:BYTE_1
	v_and_b32_e32 v18, 0x7f, v17
	v_cmpx_ne_u32_e32 0x7f, v18
	s_cbranch_execz .LBB380_1025
; %bb.1022:                             ;   in Loop: Header=BB380_16 Depth=1
	v_and_b32_e32 v33, 7, v17
	v_mov_b32_e32 v34, v20
	v_lshrrev_b32_e32 v17, 3, v18
	s_mov_b32 s28, exec_lo
	v_cmpx_gt_u32_e32 8, v18
; %bb.1023:                             ;   in Loop: Header=BB380_16 Depth=1
	v_ffbh_u32_e32 v17, v33
	v_min_u32_e32 v17, 32, v17
	v_subrev_nc_u32_e32 v18, 28, v17
	v_sub_nc_u32_e32 v17, 29, v17
	v_lshlrev_b64 v[33:34], v18, v[33:34]
	v_and_b32_e32 v33, 7, v33
; %bb.1024:                             ;   in Loop: Header=BB380_16 Depth=1
	s_or_b32 exec_lo, exec_lo, s28
	v_lshlrev_b32_e32 v18, 16, v19
	v_lshlrev_b32_e32 v19, 20, v33
	v_lshl_add_u32 v17, v17, 23, 0x3c000000
	v_and_b32_e32 v18, 0x80000000, v18
	v_or3_b32 v89, v19, v18, v17
.LBB380_1025:                           ;   in Loop: Header=BB380_16 Depth=1
	s_or_b32 exec_lo, exec_lo, s27
.LBB380_1026:                           ;   in Loop: Header=BB380_16 Depth=1
	s_or_b32 exec_lo, exec_lo, s26
.LBB380_1027:                           ;   in Loop: Header=BB380_16 Depth=1
	s_or_b32 exec_lo, exec_lo, s25
	v_mov_b32_e32 v17, 0xff
	v_mov_b32_e32 v90, 0
	;; [unrolled: 1-line block ×3, first 2 shown]
	s_mov_b32 s25, exec_lo
	v_and_b32_sdwa v17, v32, v17 dst_sel:DWORD dst_unused:UNUSED_PAD src0_sel:WORD_1 src1_sel:DWORD
	v_cmpx_ne_u16_e32 0, v17
	s_cbranch_execz .LBB380_1035
; %bb.1028:                             ;   in Loop: Header=BB380_16 Depth=1
	v_bfrev_b32_e32 v91, 1
	s_mov_b32 s26, exec_lo
	v_cmpx_ne_u16_e32 0x80, v17
	s_cbranch_execz .LBB380_1034
; %bb.1029:                             ;   in Loop: Header=BB380_16 Depth=1
	v_bfe_u32 v18, v32, 16, 7
	v_mov_b32_e32 v91, 0x7f800001
	s_mov_b32 s27, exec_lo
	v_cmpx_ne_u32_e32 0x7f, v18
	s_cbranch_execz .LBB380_1033
; %bb.1030:                             ;   in Loop: Header=BB380_16 Depth=1
	v_mov_b32_e32 v17, 7
	s_mov_b32 s28, exec_lo
	v_and_b32_sdwa v19, v32, v17 dst_sel:DWORD dst_unused:UNUSED_PAD src0_sel:WORD_1 src1_sel:DWORD
	v_mov_b32_e32 v34, v20
	v_lshrrev_b32_e32 v17, 3, v18
	v_mov_b32_e32 v33, v19
	v_cmpx_gt_u32_e32 8, v18
; %bb.1031:                             ;   in Loop: Header=BB380_16 Depth=1
	v_ffbh_u32_e32 v17, v19
	v_min_u32_e32 v17, 32, v17
	v_subrev_nc_u32_e32 v18, 28, v17
	v_sub_nc_u32_e32 v17, 29, v17
	v_lshlrev_b64 v[18:19], v18, v[19:20]
	v_and_b32_e32 v33, 7, v18
; %bb.1032:                             ;   in Loop: Header=BB380_16 Depth=1
	s_or_b32 exec_lo, exec_lo, s28
	v_mov_b32_e32 v18, 24
	v_lshlrev_b32_e32 v19, 20, v33
	v_lshl_add_u32 v17, v17, 23, 0x3c000000
	v_lshlrev_b32_sdwa v18, v18, v32 dst_sel:DWORD dst_unused:UNUSED_PAD src0_sel:DWORD src1_sel:WORD_1
	v_and_b32_e32 v18, 0x80000000, v18
	v_or3_b32 v91, v19, v18, v17
.LBB380_1033:                           ;   in Loop: Header=BB380_16 Depth=1
	s_or_b32 exec_lo, exec_lo, s27
.LBB380_1034:                           ;   in Loop: Header=BB380_16 Depth=1
	s_or_b32 exec_lo, exec_lo, s26
.LBB380_1035:                           ;   in Loop: Header=BB380_16 Depth=1
	s_or_b32 exec_lo, exec_lo, s25
	v_mov_b32_e32 v115, v45
	s_mov_b32 s25, exec_lo
	v_cmpx_lt_u64_e64 s[20:21], v[31:32]
	s_cbranch_execz .LBB380_14
; %bb.1036:                             ;   in Loop: Header=BB380_16 Depth=1
	v_cmp_ne_u32_sdwa s5, v32, v42 src0_sel:BYTE_3 src1_sel:DWORD
	v_bfrev_b32_e32 v90, 1
	s_and_saveexec_b32 s26, s5
	s_cbranch_execz .LBB380_13
; %bb.1037:                             ;   in Loop: Header=BB380_16 Depth=1
	v_bfe_u32 v18, v32, 24, 7
	v_mov_b32_e32 v90, 0x7f800001
	s_mov_b32 s27, exec_lo
	v_cmpx_ne_u32_e32 0x7f, v18
	s_cbranch_execz .LBB380_12
; %bb.1038:                             ;   in Loop: Header=BB380_16 Depth=1
	v_mov_b32_e32 v17, 7
	s_mov_b32 s28, exec_lo
	v_and_b32_sdwa v19, v32, v17 dst_sel:DWORD dst_unused:UNUSED_PAD src0_sel:BYTE_3 src1_sel:DWORD
	v_mov_b32_e32 v34, v20
	v_lshrrev_b32_e32 v17, 3, v18
	v_mov_b32_e32 v33, v19
	v_cmpx_gt_u32_e32 8, v18
	s_cbranch_execz .LBB380_11
; %bb.1039:                             ;   in Loop: Header=BB380_16 Depth=1
	v_ffbh_u32_e32 v17, v19
	v_min_u32_e32 v17, 32, v17
	v_subrev_nc_u32_e32 v18, 28, v17
	v_sub_nc_u32_e32 v17, 29, v17
	v_lshlrev_b64 v[18:19], v18, v[19:20]
	v_and_b32_e32 v33, 7, v18
	s_branch .LBB380_11
.LBB380_1040:
	s_or_b32 exec_lo, exec_lo, s17
	s_clause 0xf
	buffer_load_dword v15, off, s[0:3], s32 offset:940
	buffer_load_dword v14, off, s[0:3], s32 offset:944
	;; [unrolled: 1-line block ×16, first 2 shown]
.LBB380_1041:
	s_or_b32 exec_lo, exec_lo, s23
	v_mbcnt_lo_u32_b32 v0, -1, 0
	v_max_f32_e32 v4, v17, v17
	s_waitcnt lgkmcnt(0)
	s_lshr_b32 s8, s22, 16
	v_xor_b32_e32 v1, 16, v0
	v_xor_b32_e32 v3, 8, v0
	;; [unrolled: 1-line block ×3, first 2 shown]
	v_cmp_gt_i32_e32 vcc_lo, 32, v1
	v_cndmask_b32_e32 v1, v0, v1, vcc_lo
	v_cmp_gt_i32_e32 vcc_lo, 32, v3
	v_lshlrev_b32_e32 v2, 2, v1
	v_cndmask_b32_e32 v3, v0, v3, vcc_lo
	v_cmp_gt_i32_e32 vcc_lo, 32, v5
	ds_bpermute_b32 v1, v2, v17
	v_lshlrev_b32_e32 v3, 2, v3
	v_cndmask_b32_e32 v5, v0, v5, vcc_lo
	s_waitcnt lgkmcnt(0)
	v_max_f32_e32 v1, v1, v1
	v_max_f32_e32 v1, v4, v1
	ds_bpermute_b32 v4, v3, v1
	s_waitcnt lgkmcnt(0)
	v_max_f32_e32 v6, v4, v4
	v_lshlrev_b32_e32 v4, 2, v5
	v_max_f32_e32 v1, v1, v6
	v_xor_b32_e32 v6, 2, v0
	ds_bpermute_b32 v5, v4, v1
	v_cmp_gt_i32_e32 vcc_lo, 32, v6
	v_cndmask_b32_e32 v6, v0, v6, vcc_lo
	v_lshlrev_b32_e32 v17, 2, v6
	v_xor_b32_e32 v6, 1, v0
	v_cmp_gt_i32_e32 vcc_lo, 32, v6
	s_waitcnt lgkmcnt(0)
	v_max_f32_e32 v5, v5, v5
	v_cndmask_b32_e32 v6, v0, v6, vcc_lo
	v_max_f32_e32 v1, v1, v5
	v_lshlrev_b32_e32 v39, 2, v6
	ds_bpermute_b32 v5, v17, v1
	s_waitcnt lgkmcnt(0)
	v_max_f32_e32 v5, v5, v5
	v_max_f32_e32 v0, v1, v5
	buffer_load_dword v5, off, s[0:3], s32 offset:444 ; 4-byte Folded Reload
	ds_bpermute_b32 v1, v39, v0
	s_waitcnt vmcnt(0)
	v_cmp_eq_u32_e32 vcc_lo, 0, v5
	buffer_load_dword v5, off, s[0:3], s32 offset:924 ; 4-byte Folded Reload
	s_waitcnt vmcnt(0)
	v_lshlrev_b32_e32 v5, 2, v5
	s_and_saveexec_b32 s5, vcc_lo
	s_cbranch_execz .LBB380_1043
; %bb.1042:
	s_waitcnt lgkmcnt(0)
	v_max_f32_e32 v1, v1, v1
	v_max_f32_e32 v0, v0, v0
	;; [unrolled: 1-line block ×3, first 2 shown]
	ds_write_b32 v5, v0 offset:256
.LBB380_1043:
	s_or_b32 exec_lo, exec_lo, s5
	buffer_load_dword v0, off, s[0:3], s32 offset:444 ; 4-byte Folded Reload
	s_waitcnt vmcnt(0) lgkmcnt(0)
	s_waitcnt_vscnt null, 0x0
	s_barrier
	buffer_gl0_inv
	v_cmp_gt_u32_e64 s5, 4, v0
	v_mov_b32_e32 v0, 0xff7fffff
	s_and_saveexec_b32 s6, s5
; %bb.1044:
	ds_read_b32 v0, v16 offset:256
; %bb.1045:
	s_or_b32 exec_lo, exec_lo, s6
	buffer_load_dword v6, off, s[0:3], s32 offset:224 ; 4-byte Folded Reload
	s_waitcnt lgkmcnt(0)
	ds_bpermute_b32 v1, v17, v0
	v_max_f32_e32 v0, v0, v0
	s_waitcnt lgkmcnt(0)
	v_max_f32_e32 v1, v1, v1
	v_max_f32_e32 v0, v0, v1
	ds_bpermute_b32 v1, v39, v0
	s_waitcnt lgkmcnt(0)
	v_max_f32_e32 v1, v1, v1
	v_max_f32_e32 v0, v0, v1
	s_waitcnt vmcnt(0)
	v_subrev_nc_u32_e32 v7, s13, v6
	v_mov_b32_e32 v6, 0
	v_lshl_add_u32 v1, v7, 5, s7
	buffer_load_dword v7, off, s[0:3], s32 offset:448 ; 4-byte Folded Reload
	ds_bpermute_b32 v0, v6, v0
	v_min_i32_e32 v1, v1, v38
	v_subrev_nc_u32_e32 v1, s7, v1
	s_waitcnt vmcnt(0)
	v_cmp_lt_i32_e64 s6, v7, v1
	s_and_saveexec_b32 s9, s6
	s_cbranch_execz .LBB380_1049
; %bb.1046:
	buffer_load_dword v8, off, s[0:3], s32 offset:448 ; 4-byte Folded Reload
	s_getpc_b64 s[20:21]
	s_add_u32 s20, s20, llvm.amdgcn.dynlds.offset.table@rel32@lo+4
	s_addc_u32 s21, s21, llvm.amdgcn.dynlds.offset.table@rel32@hi+12
	s_ashr_i32 s17, s16, 31
	v_mov_b32_e32 v6, 0
	s_lshl_b64 s[22:23], s[16:17], 2
	s_mov_b32 s13, 0
	s_add_u32 s20, s20, s22
	s_addc_u32 s21, s21, s23
	s_load_dword s7, s[20:21], 0x0
	s_waitcnt vmcnt(0) lgkmcnt(0)
	v_lshl_add_u32 v7, v8, 2, s7
	.p2align	6
.LBB380_1047:                           ; =>This Inner Loop Header: Depth=1
	ds_read_b32 v9, v7
	v_add_nc_u32_e32 v8, 0x80, v8
	v_cmp_ge_i32_e64 s7, v8, v1
	s_or_b32 s13, s7, s13
	s_waitcnt lgkmcnt(0)
	v_sub_f32_e32 v9, v9, v0
	v_mul_f32_e32 v9, 0x3fb8aa3b, v9
	v_exp_f32_e32 v9, v9
	ds_write_b32 v7, v9
	v_add_f32_e32 v6, v6, v9
	v_add_nc_u32_e32 v7, 0x200, v7
	s_andn2_b32 exec_lo, exec_lo, s13
	s_cbranch_execnz .LBB380_1047
; %bb.1048:
	s_or_b32 exec_lo, exec_lo, s13
.LBB380_1049:
	s_or_b32 exec_lo, exec_lo, s9
	ds_bpermute_b32 v2, v2, v6
	s_waitcnt lgkmcnt(0)
	v_add_f32_e32 v2, v6, v2
	ds_bpermute_b32 v3, v3, v2
	s_waitcnt lgkmcnt(0)
	v_add_f32_e32 v2, v2, v3
	;; [unrolled: 3-line block ×5, first 2 shown]
	s_and_saveexec_b32 s7, vcc_lo
; %bb.1050:
	ds_write_b32 v5, v2 offset:272
; %bb.1051:
	s_or_b32 exec_lo, exec_lo, s7
	s_waitcnt lgkmcnt(0)
	s_barrier
	buffer_gl0_inv
	s_and_saveexec_b32 s7, s5
; %bb.1052:
	ds_read_b32 v2, v16 offset:272
; %bb.1053:
	s_or_b32 exec_lo, exec_lo, s7
	s_waitcnt lgkmcnt(0)
	ds_bpermute_b32 v3, v17, v2
	s_waitcnt lgkmcnt(0)
	v_add_f32_e32 v2, v2, v3
	ds_bpermute_b32 v3, v39, v2
	s_waitcnt lgkmcnt(0)
	v_add_f32_e32 v2, v2, v3
	v_mov_b32_e32 v3, 0
	ds_bpermute_b32 v2, v3, v2
	s_and_saveexec_b32 s5, s6
	s_cbranch_execz .LBB380_1056
; %bb.1054:
	s_waitcnt lgkmcnt(0)
	v_add_f32_e32 v4, 0x358637bd, v2
	s_getpc_b64 s[6:7]
	s_add_u32 s6, s6, llvm.amdgcn.dynlds.offset.table@rel32@lo+4
	s_addc_u32 s7, s7, llvm.amdgcn.dynlds.offset.table@rel32@hi+12
	s_ashr_i32 s17, s16, 31
	s_lshl_b64 s[20:21], s[16:17], 2
	v_div_scale_f32 v3, null, v4, v4, 1.0
	v_div_scale_f32 v7, vcc_lo, 1.0, v4, 1.0
	s_add_u32 s6, s6, s20
	v_rcp_f32_e32 v5, v3
	s_addc_u32 s7, s7, s21
	s_load_dword s6, s[6:7], 0x0
	v_fma_f32 v6, -v3, v5, 1.0
	v_fmac_f32_e32 v5, v6, v5
	v_mul_f32_e32 v6, v7, v5
	v_fma_f32 v8, -v3, v6, v7
	v_fmac_f32_e32 v6, v8, v5
	v_fma_f32 v3, -v3, v6, v7
	v_div_fmas_f32 v5, v3, v5, v6
	buffer_load_dword v6, off, s[0:3], s32 offset:448 ; 4-byte Folded Reload
	v_div_fixup_f32 v4, v5, v4, 1.0
	s_waitcnt vmcnt(0) lgkmcnt(0)
	v_lshl_add_u32 v3, v6, 2, s6
	v_mov_b32_e32 v5, v6
	s_mov_b32 s6, 0
.LBB380_1055:                           ; =>This Inner Loop Header: Depth=1
	ds_read_b32 v6, v3
	v_add_nc_u32_e32 v5, 0x80, v5
	v_cmp_ge_i32_e32 vcc_lo, v5, v1
	s_or_b32 s6, vcc_lo, s6
	s_waitcnt lgkmcnt(0)
	v_mul_f32_e32 v6, v4, v6
	ds_write_b32 v3, v6
	v_add_nc_u32_e32 v3, 0x200, v3
	s_andn2_b32 exec_lo, exec_lo, s6
	s_cbranch_execnz .LBB380_1055
.LBB380_1056:
	s_or_b32 exec_lo, exec_lo, s5
	s_waitcnt lgkmcnt(0)
	buffer_load_dword v1, off, s[0:3], s32 offset:448 ; 4-byte Folded Reload
	s_and_b32 s5, 0xffff, s8
	s_mov_b32 s8, exec_lo
	s_cmp_lg_u32 s5, 0
	s_barrier
	s_cselect_b32 s5, -1, 0
	s_waitcnt vmcnt(0)
	buffer_gl0_inv
	s_cmp_lg_u32 s5, 0
	s_addc_u32 s5, s11, 0
	s_mul_i32 s6, s5, s18
	s_mul_i32 s6, s6, s15
	v_cmpx_eq_u32_e32 0, v1
	s_cbranch_execz .LBB380_1058
; %bb.1057:
	s_ashr_i32 s7, s6, 31
	s_mul_i32 s12, s5, s12
	s_lshl_b64 s[20:21], s[6:7], 2
	s_ashr_i32 s13, s12, 31
	v_add_co_u32 v1, vcc_lo, v27, s20
	v_add_co_ci_u32_e64 v3, null, s21, v26, vcc_lo
	s_lshl_b64 s[12:13], s[12:13], 2
	s_ashr_i32 s15, s14, 31
	v_add_co_u32 v1, vcc_lo, v1, s12
	v_add_co_ci_u32_e64 v4, null, s13, v3, vcc_lo
	v_add_co_u32 v3, vcc_lo, v25, s20
	v_add_co_ci_u32_e64 v5, null, s21, v24, vcc_lo
	s_lshl_b64 s[20:21], s[14:15], 2
	v_add_co_u32 v6, vcc_lo, v3, s12
	v_add_co_ci_u32_e64 v7, null, s13, v5, vcc_lo
	v_add_co_u32 v3, vcc_lo, v1, s20
	v_add_co_ci_u32_e64 v4, null, s21, v4, vcc_lo
	;; [unrolled: 2-line block ×3, first 2 shown]
	flat_store_dword v[3:4], v0
	flat_store_dword v[5:6], v2
.LBB380_1058:
	s_or_b32 exec_lo, exec_lo, s8
	buffer_load_dword v0, off, s[0:3], s32 offset:448 ; 4-byte Folded Reload
	s_ashr_i32 s17, s16, 31
	s_getpc_b64 s[8:9]
	s_add_u32 s8, s8, llvm.amdgcn.dynlds.offset.table@rel32@lo+4
	s_addc_u32 s9, s9, llvm.amdgcn.dynlds.offset.table@rel32@hi+12
	s_lshl_b64 s[12:13], s[16:17], 2
	v_mov_b32_e32 v16, 0
	v_mov_b32_e32 v49, 0
	v_mov_b32_e32 v37, 0
	v_mov_b32_e32 v35, 0
	v_mov_b32_e32 v32, 0
	v_mov_b32_e32 v31, 0
	v_mov_b32_e32 v29, 0
	v_mov_b32_e32 v28, 0
	v_mov_b32_e32 v34, 0
	v_mov_b32_e32 v36, 0
	v_mov_b32_e32 v54, 0
	v_mov_b32_e32 v83, 0
	v_mov_b32_e32 v113, 0
	v_mov_b32_e32 v41, 0
	v_mov_b32_e32 v57, 0
	v_mov_b32_e32 v33, 0
	s_add_u32 s8, s8, s12
	s_addc_u32 s9, s9, s13
	s_waitcnt vmcnt(0)
	v_and_b32_e32 v48, 3, v0
	s_and_saveexec_b32 s7, s4
	s_cbranch_execz .LBB380_2120
; %bb.1059:
	buffer_store_dword v17, off, s[0:3], s32 offset:480 ; 4-byte Folded Spill
	buffer_store_dword v39, off, s[0:3], s32 offset:476 ; 4-byte Folded Spill
	buffer_load_dword v0, off, s[0:3], s32 offset:448 ; 4-byte Folded Reload
	v_max_i32_e32 v30, v30, v23
	s_load_dword s4, s[8:9], 0x0
	v_add_co_u32 v3, vcc_lo, v22, v21
	v_add_co_ci_u32_e64 v4, null, v11, v50, vcc_lo
	v_sub_nc_u32_e32 v7, 0, v30
	v_lshlrev_b32_e32 v6, 5, v48
	v_mov_b32_e32 v11, 0
	v_mov_b32_e32 v82, 0x80
	;; [unrolled: 1-line block ×19, first 2 shown]
	s_mov_b32 s12, -1
	s_mov_b32 s13, 0xffffff
	s_mov_b32 s11, 0
	s_waitcnt vmcnt(0)
	v_lshlrev_b32_e32 v2, 3, v0
	v_cvt_f32_u32_e32 v0, v30
	v_and_b32_e32 v8, 24, v2
	v_rcp_iflag_f32_e32 v5, v0
	v_add_nc_u32_e32 v0, -1, v13
	v_and_b32_e32 v2, 0xf8, v2
	buffer_store_dword v0, off, s[0:3], s32 offset:460 ; 4-byte Folded Spill
	s_clause 0x1
	buffer_load_dword v0, off, s[0:3], s32 offset:200
	buffer_load_dword v1, off, s[0:3], s32 offset:204
	buffer_store_dword v8, off, s[0:3], s32 offset:464 ; 4-byte Folded Spill
	buffer_load_dword v8, off, s[0:3], s32 offset:924 ; 4-byte Folded Reload
	v_mul_f32_e32 v5, 0x4f7ffffe, v5
	buffer_store_dword v48, off, s[0:3], s32 offset:484 ; 4-byte Folded Spill
	v_cvt_u32_f32_e32 v5, v5
	v_mul_lo_u32 v7, v7, v5
	v_mul_hi_u32 v7, v5, v7
	s_waitcnt vmcnt(1)
	v_lshlrev_b64 v[0:1], 2, v[0:1]
	s_waitcnt vmcnt(0)
	v_lshl_or_b32 v6, v8, 7, v6
	v_add_co_u32 v0, vcc_lo, v18, v0
	v_add_co_ci_u32_e64 v1, null, v19, v1, vcc_lo
	v_add_co_u32 v2, vcc_lo, v3, v2
	v_add_co_ci_u32_e64 v3, null, 0, v4, vcc_lo
	buffer_store_dword v2, off, s[0:3], s32 offset:468 ; 4-byte Folded Spill
	buffer_store_dword v3, off, s[0:3], s32 offset:472 ; 4-byte Folded Spill
	v_add_co_u32 v14, vcc_lo, v14, v0
	v_add_nc_u32_e32 v0, v5, v7
	buffer_load_dword v5, off, s[0:3], s32 offset:936 ; 4-byte Folded Reload
	v_add_co_ci_u32_e64 v15, null, v15, v1, vcc_lo
	s_waitcnt lgkmcnt(0)
	v_add_nc_u32_e32 v96, s4, v6
	buffer_store_dword v0, off, s[0:3], s32 offset:376 ; 4-byte Folded Spill
	s_branch .LBB380_1062
.LBB380_1060:                           ;   in Loop: Header=BB380_1062 Depth=1
	s_or_b32 exec_lo, exec_lo, s4
	v_bfe_u32 v17, v6, 16, 1
	v_or_b32_e32 v49, 0x400000, v6
	v_cmp_u_f32_e32 vcc_lo, v6, v6
	v_lshlrev_b32_e32 v85, 16, v85
	v_lshlrev_b32_e32 v51, 16, v51
	v_add3_u32 v17, v17, v6, 0x7fff
	v_lshlrev_b32_e32 v53, 16, v53
	v_lshlrev_b32_e32 v16, 16, v16
	v_lshlrev_b32_e32 v50, 16, v50
	v_lshlrev_b32_e32 v36, 16, v36
	v_cndmask_b32_e32 v6, v17, v49, vcc_lo
	v_bfe_u32 v17, v7, 16, 1
	v_or_b32_e32 v49, 0x400000, v7
	v_cmp_u_f32_e32 vcc_lo, v7, v7
	v_lshlrev_b32_e32 v12, 16, v12
	v_lshlrev_b32_e32 v13, 16, v13
	v_add3_u32 v17, v17, v7, 0x7fff
	v_lshlrev_b32_e32 v32, 16, v32
	v_lshlrev_b32_e32 v4, 16, v4
	;; [unrolled: 1-line block ×3, first 2 shown]
	v_cndmask_b32_e32 v7, v17, v49, vcc_lo
	v_bfe_u32 v17, v8, 16, 1
	v_or_b32_e32 v49, 0x400000, v8
	v_cmp_u_f32_e32 vcc_lo, v8, v8
	v_add3_u32 v17, v17, v8, 0x7fff
	v_bfe_u32 v8, v9, 16, 1
	v_cndmask_b32_e32 v17, v17, v49, vcc_lo
	v_add3_u32 v8, v8, v9, 0x7fff
	v_or_b32_e32 v49, 0x400000, v9
	v_cmp_u_f32_e32 vcc_lo, v9, v9
	v_or_b32_e32 v9, 0x400000, v0
	v_cndmask_b32_e32 v49, v8, v49, vcc_lo
	v_bfe_u32 v8, v0, 16, 1
	v_cmp_u_f32_e32 vcc_lo, v0, v0
	v_add3_u32 v8, v8, v0, 0x7fff
	v_cndmask_b32_e32 v0, v8, v9, vcc_lo
	v_bfe_u32 v8, v1, 16, 1
	v_or_b32_e32 v9, 0x400000, v1
	v_cmp_u_f32_e32 vcc_lo, v1, v1
	v_add3_u32 v8, v8, v1, 0x7fff
	v_cndmask_b32_e32 v1, v8, v9, vcc_lo
	v_bfe_u32 v8, v2, 16, 1
	v_or_b32_e32 v9, 0x400000, v2
	v_cmp_u_f32_e32 vcc_lo, v2, v2
	v_and_b32_e32 v1, 0xffff0000, v1
	v_add3_u32 v8, v8, v2, 0x7fff
	v_mul_f32_e32 v51, v1, v51
	v_cndmask_b32_e32 v2, v8, v9, vcc_lo
	v_bfe_u32 v8, v3, 16, 1
	v_or_b32_e32 v9, 0x400000, v3
	v_cmp_u_f32_e32 vcc_lo, v3, v3
	v_mul_f32_e32 v36, v1, v36
	v_and_b32_e32 v2, 0xffff0000, v2
	v_add3_u32 v8, v8, v3, 0x7fff
	v_lshlrev_b32_e32 v3, 16, v86
	v_mul_f32_e32 v12, v1, v12
	v_mul_f32_e32 v4, v1, v4
	;; [unrolled: 1-line block ×3, first 2 shown]
	v_cndmask_b32_e32 v52, v8, v9, vcc_lo
	v_and_b32_e32 v8, 0xffff0000, v7
	v_mul_f32_e32 v32, v2, v32
	v_mul_f32_e32 v3, v8, v3
	v_bfe_u32 v7, v3, 16, 1
	v_or_b32_e32 v9, 0x400000, v3
	v_cmp_u_f32_e32 vcc_lo, v3, v3
	v_add3_u32 v7, v7, v3, 0x7fff
	v_lshlrev_b32_e32 v3, 16, v61
	v_cndmask_b32_e32 v86, v7, v9, vcc_lo
	v_and_b32_e32 v9, 0xffff0000, v6
	v_and_b32_e32 v86, 0xffff0000, v86
	v_mul_f32_e32 v3, v9, v3
	v_bfe_u32 v6, v3, 16, 1
	v_or_b32_e32 v7, 0x400000, v3
	v_cmp_u_f32_e32 vcc_lo, v3, v3
	v_add3_u32 v6, v6, v3, 0x7fff
	v_and_b32_e32 v3, 0xffff0000, v49
	v_cndmask_b32_e32 v58, v6, v7, vcc_lo
	v_lshlrev_b32_e32 v6, 16, v83
	v_and_b32_e32 v58, 0xffff0000, v58
	v_mul_f32_e32 v6, v3, v6
	v_add_f32_e32 v86, v58, v86
	v_bfe_u32 v7, v6, 16, 1
	v_or_b32_e32 v49, 0x400000, v6
	v_cmp_u_f32_e32 vcc_lo, v6, v6
	v_add3_u32 v7, v7, v6, 0x7fff
	v_lshlrev_b32_e32 v6, 16, v60
	v_cndmask_b32_e32 v49, v7, v49, vcc_lo
	v_and_b32_e32 v7, 0xffff0000, v17
	v_and_b32_e32 v49, 0xffff0000, v49
	v_mul_f32_e32 v6, v7, v6
	v_mul_f32_e32 v16, v7, v16
	v_bfe_u32 v17, v6, 16, 1
	v_or_b32_e32 v83, 0x400000, v6
	v_cmp_u_f32_e32 vcc_lo, v6, v6
	v_add3_u32 v17, v17, v6, 0x7fff
	v_lshlrev_b32_e32 v6, 16, v57
	v_cndmask_b32_e32 v17, v17, v83, vcc_lo
	v_mul_f32_e32 v6, v1, v6
	v_and_b32_e32 v17, 0xffff0000, v17
	v_bfe_u32 v83, v6, 16, 1
	v_or_b32_e32 v57, 0x400000, v6
	v_cmp_u_f32_e32 vcc_lo, v6, v6
	v_add_f32_e32 v17, v17, v49
	v_add3_u32 v83, v83, v6, 0x7fff
	v_and_b32_e32 v6, 0xffff0000, v0
	v_lshlrev_b32_e32 v0, 16, v59
	v_add_f32_e32 v17, v86, v17
	v_cndmask_b32_e32 v83, v83, v57, vcc_lo
	v_mul_f32_e32 v53, v6, v53
	v_mul_f32_e32 v0, v6, v0
	;; [unrolled: 1-line block ×4, first 2 shown]
	v_and_b32_e32 v83, 0xffff0000, v83
	v_bfe_u32 v57, v0, 16, 1
	v_or_b32_e32 v59, 0x400000, v0
	v_cmp_u_f32_e32 vcc_lo, v0, v0
	v_add3_u32 v57, v57, v0, 0x7fff
	v_and_b32_e32 v0, 0xffff0000, v52
	v_lshlrev_b32_e32 v52, 16, v62
	v_cndmask_b32_e32 v57, v57, v59, vcc_lo
	v_mul_f32_e32 v50, v0, v50
	v_mul_f32_e32 v52, v0, v52
	v_and_b32_e32 v49, 0xffff0000, v57
	buffer_load_dword v57, off, s[0:3], s32 offset:384 ; 4-byte Folded Reload
	v_bfe_u32 v59, v52, 16, 1
	v_or_b32_e32 v60, 0x400000, v52
	v_cmp_u_f32_e32 vcc_lo, v52, v52
	v_add_f32_e32 v49, v49, v83
	v_add3_u32 v59, v59, v52, 0x7fff
	v_add_f32_e32 v17, v17, v49
	v_cndmask_b32_e32 v52, v59, v60, vcc_lo
	v_bfe_u32 v59, v85, 16, 1
	v_or_b32_e32 v60, 0x400000, v85
	v_cmp_u_f32_e32 vcc_lo, v85, v85
	v_and_b32_e32 v52, 0xffff0000, v52
	v_add3_u32 v59, v59, v85, 0x7fff
	v_cndmask_b32_e32 v85, v59, v60, vcc_lo
	v_and_b32_e32 v49, 0xffff0000, v85
	v_add_f32_e32 v49, v49, v52
	v_add_f32_e32 v17, v17, v49
	s_waitcnt vmcnt(0)
	v_add_f32_e32 v57, v57, v17
	v_lshlrev_b32_e32 v17, 16, v46
	v_mul_f32_e32 v17, v8, v17
	v_bfe_u32 v49, v17, 16, 1
	v_or_b32_e32 v52, 0x400000, v17
	v_cmp_u_f32_e32 vcc_lo, v17, v17
	v_add3_u32 v49, v49, v17, 0x7fff
	v_cndmask_b32_e32 v17, v49, v52, vcc_lo
	v_lshlrev_b32_e32 v49, 16, v47
	v_and_b32_e32 v17, 0xffff0000, v17
	v_mul_f32_e32 v49, v9, v49
	v_bfe_u32 v52, v49, 16, 1
	v_or_b32_e32 v83, 0x400000, v49
	v_cmp_u_f32_e32 vcc_lo, v49, v49
	v_add3_u32 v52, v52, v49, 0x7fff
	v_cndmask_b32_e32 v49, v52, v83, vcc_lo
	v_lshlrev_b32_e32 v52, 16, v43
	v_and_b32_e32 v49, 0xffff0000, v49
	v_mul_f32_e32 v52, v3, v52
	v_add_f32_e32 v17, v49, v17
	v_bfe_u32 v83, v52, 16, 1
	v_or_b32_e32 v85, 0x400000, v52
	v_cmp_u_f32_e32 vcc_lo, v52, v52
	v_add3_u32 v83, v83, v52, 0x7fff
	v_cndmask_b32_e32 v52, v83, v85, vcc_lo
	v_lshlrev_b32_e32 v83, 16, v44
	v_and_b32_e32 v52, 0xffff0000, v52
	v_mul_f32_e32 v83, v7, v83
	v_bfe_u32 v85, v83, 16, 1
	v_or_b32_e32 v86, 0x400000, v83
	v_cmp_u_f32_e32 vcc_lo, v83, v83
	v_add3_u32 v85, v85, v83, 0x7fff
	v_cndmask_b32_e32 v83, v85, v86, vcc_lo
	v_lshlrev_b32_e32 v85, 16, v41
	v_and_b32_e32 v49, 0xffff0000, v83
	v_mul_f32_e32 v85, v1, v85
	v_add_f32_e32 v49, v49, v52
	v_bfe_u32 v86, v85, 16, 1
	v_or_b32_e32 v41, 0x400000, v85
	v_cmp_u_f32_e32 vcc_lo, v85, v85
	v_add_f32_e32 v17, v17, v49
	v_add3_u32 v86, v86, v85, 0x7fff
	v_cndmask_b32_e32 v85, v86, v41, vcc_lo
	v_lshlrev_b32_e32 v86, 16, v42
	v_and_b32_e32 v52, 0xffff0000, v85
	v_mul_f32_e32 v86, v6, v86
	v_bfe_u32 v41, v86, 16, 1
	v_or_b32_e32 v42, 0x400000, v86
	v_cmp_u_f32_e32 vcc_lo, v86, v86
	v_add3_u32 v41, v41, v86, 0x7fff
	v_cndmask_b32_e32 v86, v41, v42, vcc_lo
	v_lshlrev_b32_e32 v41, 16, v56
	v_and_b32_e32 v49, 0xffff0000, v86
	v_mul_f32_e32 v41, v0, v41
	v_add_f32_e32 v49, v49, v52
	v_bfe_u32 v42, v41, 16, 1
	v_or_b32_e32 v43, 0x400000, v41
	v_cmp_u_f32_e32 vcc_lo, v41, v41
	v_add_f32_e32 v17, v17, v49
	v_add3_u32 v42, v42, v41, 0x7fff
	v_cndmask_b32_e32 v41, v42, v43, vcc_lo
	v_lshlrev_b32_e32 v42, 16, v45
	v_and_b32_e32 v52, 0xffff0000, v41
	buffer_load_dword v41, off, s[0:3], s32 offset:388 ; 4-byte Folded Reload
	v_mul_f32_e32 v42, v2, v42
	v_bfe_u32 v43, v42, 16, 1
	v_or_b32_e32 v44, 0x400000, v42
	v_cmp_u_f32_e32 vcc_lo, v42, v42
	v_add3_u32 v43, v43, v42, 0x7fff
	v_cndmask_b32_e32 v42, v43, v44, vcc_lo
	v_and_b32_e32 v49, 0xffff0000, v42
	v_add_f32_e32 v49, v49, v52
	v_add_f32_e32 v17, v17, v49
	s_waitcnt vmcnt(0)
	v_add_f32_e32 v41, v41, v17
	v_lshlrev_b32_e32 v17, 16, v118
	v_mul_f32_e32 v17, v8, v17
	v_bfe_u32 v49, v17, 16, 1
	v_or_b32_e32 v52, 0x400000, v17
	v_cmp_u_f32_e32 vcc_lo, v17, v17
	v_add3_u32 v49, v49, v17, 0x7fff
	v_cndmask_b32_e32 v17, v49, v52, vcc_lo
	v_lshlrev_b32_e32 v49, 16, v119
	v_and_b32_e32 v17, 0xffff0000, v17
	v_mul_f32_e32 v49, v9, v49
	v_bfe_u32 v52, v49, 16, 1
	v_or_b32_e32 v83, 0x400000, v49
	v_cmp_u_f32_e32 vcc_lo, v49, v49
	v_add3_u32 v52, v52, v49, 0x7fff
	v_cndmask_b32_e32 v49, v52, v83, vcc_lo
	v_lshlrev_b32_e32 v52, 16, v115
	v_and_b32_e32 v49, 0xffff0000, v49
	v_mul_f32_e32 v52, v3, v52
	v_add_f32_e32 v17, v49, v17
	v_bfe_u32 v83, v52, 16, 1
	v_or_b32_e32 v85, 0x400000, v52
	v_cmp_u_f32_e32 vcc_lo, v52, v52
	v_add3_u32 v83, v83, v52, 0x7fff
	v_cndmask_b32_e32 v52, v83, v85, vcc_lo
	v_lshlrev_b32_e32 v83, 16, v116
	v_and_b32_e32 v52, 0xffff0000, v52
	v_mul_f32_e32 v83, v7, v83
	v_bfe_u32 v85, v83, 16, 1
	v_or_b32_e32 v86, 0x400000, v83
	v_cmp_u_f32_e32 vcc_lo, v83, v83
	v_add3_u32 v85, v85, v83, 0x7fff
	v_cndmask_b32_e32 v83, v85, v86, vcc_lo
	v_lshlrev_b32_e32 v85, 16, v113
	v_and_b32_e32 v49, 0xffff0000, v83
	v_mul_f32_e32 v85, v1, v85
	v_add_f32_e32 v49, v49, v52
	v_bfe_u32 v86, v85, 16, 1
	v_or_b32_e32 v113, 0x400000, v85
	v_cmp_u_f32_e32 vcc_lo, v85, v85
	v_add_f32_e32 v17, v17, v49
	v_add3_u32 v86, v86, v85, 0x7fff
	v_cndmask_b32_e32 v85, v86, v113, vcc_lo
	v_lshlrev_b32_e32 v86, 16, v114
	v_and_b32_e32 v52, 0xffff0000, v85
	v_mul_f32_e32 v86, v6, v86
	v_bfe_u32 v113, v86, 16, 1
	v_or_b32_e32 v114, 0x400000, v86
	v_cmp_u_f32_e32 vcc_lo, v86, v86
	v_add3_u32 v113, v113, v86, 0x7fff
	v_cndmask_b32_e32 v86, v113, v114, vcc_lo
	v_lshlrev_b32_e32 v113, 16, v40
	v_and_b32_e32 v49, 0xffff0000, v86
	v_mul_f32_e32 v113, v0, v113
	v_add_f32_e32 v49, v49, v52
	v_bfe_u32 v114, v113, 16, 1
	v_or_b32_e32 v115, 0x400000, v113
	v_cmp_u_f32_e32 vcc_lo, v113, v113
	v_add_f32_e32 v17, v17, v49
	v_add3_u32 v114, v114, v113, 0x7fff
	v_cndmask_b32_e32 v113, v114, v115, vcc_lo
	v_lshlrev_b32_e32 v114, 16, v117
	v_and_b32_e32 v52, 0xffff0000, v113
	buffer_load_dword v113, off, s[0:3], s32 offset:392 ; 4-byte Folded Reload
	v_mul_f32_e32 v114, v2, v114
	v_bfe_u32 v115, v114, 16, 1
	v_or_b32_e32 v116, 0x400000, v114
	v_cmp_u_f32_e32 vcc_lo, v114, v114
	v_add3_u32 v115, v115, v114, 0x7fff
	v_cndmask_b32_e32 v114, v115, v116, vcc_lo
	v_and_b32_e32 v49, 0xffff0000, v114
	v_add_f32_e32 v49, v49, v52
	v_add_f32_e32 v17, v17, v49
	s_waitcnt vmcnt(0)
	v_add_f32_e32 v113, v113, v17
	v_lshlrev_b32_e32 v17, 16, v101
	v_mul_f32_e32 v17, v8, v17
	v_bfe_u32 v49, v17, 16, 1
	v_or_b32_e32 v52, 0x400000, v17
	v_cmp_u_f32_e32 vcc_lo, v17, v17
	v_add3_u32 v49, v49, v17, 0x7fff
	v_cndmask_b32_e32 v17, v49, v52, vcc_lo
	v_lshlrev_b32_e32 v49, 16, v102
	v_and_b32_e32 v17, 0xffff0000, v17
	v_mul_f32_e32 v49, v9, v49
	v_bfe_u32 v52, v49, 16, 1
	v_or_b32_e32 v83, 0x400000, v49
	v_cmp_u_f32_e32 vcc_lo, v49, v49
	v_add3_u32 v52, v52, v49, 0x7fff
	v_cndmask_b32_e32 v49, v52, v83, vcc_lo
	v_lshlrev_b32_e32 v52, 16, v98
	v_and_b32_e32 v49, 0xffff0000, v49
	v_mul_f32_e32 v52, v3, v52
	v_add_f32_e32 v17, v49, v17
	v_bfe_u32 v83, v52, 16, 1
	v_or_b32_e32 v85, 0x400000, v52
	v_cmp_u_f32_e32 vcc_lo, v52, v52
	v_add3_u32 v83, v83, v52, 0x7fff
	v_cndmask_b32_e32 v52, v83, v85, vcc_lo
	v_lshlrev_b32_e32 v83, 16, v99
	v_and_b32_e32 v52, 0xffff0000, v52
	v_mul_f32_e32 v83, v7, v83
	v_bfe_u32 v85, v83, 16, 1
	v_or_b32_e32 v86, 0x400000, v83
	v_cmp_u_f32_e32 vcc_lo, v83, v83
	v_add3_u32 v85, v85, v83, 0x7fff
	v_cndmask_b32_e32 v83, v85, v86, vcc_lo
	v_bfe_u32 v85, v51, 16, 1
	v_or_b32_e32 v86, 0x400000, v51
	v_cmp_u_f32_e32 vcc_lo, v51, v51
	v_and_b32_e32 v49, 0xffff0000, v83
	buffer_load_dword v83, off, s[0:3], s32 offset:396 ; 4-byte Folded Reload
	v_add3_u32 v85, v85, v51, 0x7fff
	v_add_f32_e32 v49, v49, v52
	v_cndmask_b32_e32 v51, v85, v86, vcc_lo
	v_bfe_u32 v85, v53, 16, 1
	v_or_b32_e32 v86, 0x400000, v53
	v_cmp_u_f32_e32 vcc_lo, v53, v53
	v_add_f32_e32 v17, v17, v49
	v_and_b32_e32 v51, 0xffff0000, v51
	v_add3_u32 v85, v85, v53, 0x7fff
	v_cndmask_b32_e32 v53, v85, v86, vcc_lo
	v_lshlrev_b32_e32 v85, 16, v103
	v_and_b32_e32 v49, 0xffff0000, v53
	v_mul_f32_e32 v85, v0, v85
	v_add_f32_e32 v49, v49, v51
	v_bfe_u32 v86, v85, 16, 1
	v_or_b32_e32 v98, 0x400000, v85
	v_cmp_u_f32_e32 vcc_lo, v85, v85
	v_add_f32_e32 v17, v17, v49
	v_add3_u32 v86, v86, v85, 0x7fff
	v_cndmask_b32_e32 v85, v86, v98, vcc_lo
	v_lshlrev_b32_e32 v86, 16, v100
	v_and_b32_e32 v51, 0xffff0000, v85
	v_mul_f32_e32 v86, v2, v86
	v_bfe_u32 v98, v86, 16, 1
	v_or_b32_e32 v99, 0x400000, v86
	v_cmp_u_f32_e32 vcc_lo, v86, v86
	v_add3_u32 v98, v98, v86, 0x7fff
	v_cndmask_b32_e32 v86, v98, v99, vcc_lo
	v_and_b32_e32 v49, 0xffff0000, v86
	v_add_f32_e32 v49, v49, v51
	v_add_f32_e32 v17, v17, v49
	s_waitcnt vmcnt(0)
	v_add_f32_e32 v83, v83, v17
	v_lshlrev_b32_e32 v17, 16, v25
	v_mul_f32_e32 v17, v8, v17
	v_bfe_u32 v25, v17, 16, 1
	v_or_b32_e32 v49, 0x400000, v17
	v_cmp_u_f32_e32 vcc_lo, v17, v17
	v_add3_u32 v25, v25, v17, 0x7fff
	v_cndmask_b32_e32 v17, v25, v49, vcc_lo
	v_lshlrev_b32_e32 v25, 16, v28
	v_and_b32_e32 v17, 0xffff0000, v17
	v_mul_f32_e32 v25, v9, v25
	v_bfe_u32 v28, v25, 16, 1
	v_or_b32_e32 v49, 0x400000, v25
	v_cmp_u_f32_e32 vcc_lo, v25, v25
	v_add3_u32 v28, v28, v25, 0x7fff
	v_cndmask_b32_e32 v25, v28, v49, vcc_lo
	v_lshlrev_b32_e32 v28, 16, v80
	v_and_b32_e32 v25, 0xffff0000, v25
	v_mul_f32_e32 v28, v3, v28
	v_add_f32_e32 v17, v25, v17
	v_bfe_u32 v49, v28, 16, 1
	v_or_b32_e32 v51, 0x400000, v28
	v_cmp_u_f32_e32 vcc_lo, v28, v28
	v_add3_u32 v49, v49, v28, 0x7fff
	v_cndmask_b32_e32 v28, v49, v51, vcc_lo
	v_bfe_u32 v49, v16, 16, 1
	v_or_b32_e32 v51, 0x400000, v16
	v_cmp_u_f32_e32 vcc_lo, v16, v16
	v_and_b32_e32 v25, 0xffff0000, v28
	v_add3_u32 v49, v49, v16, 0x7fff
	v_cndmask_b32_e32 v16, v49, v51, vcc_lo
	v_lshlrev_b32_e32 v49, 16, v70
	v_and_b32_e32 v16, 0xffff0000, v16
	v_mul_f32_e32 v49, v1, v49
	v_add_f32_e32 v16, v16, v25
	v_bfe_u32 v51, v49, 16, 1
	v_or_b32_e32 v52, 0x400000, v49
	v_cmp_u_f32_e32 vcc_lo, v49, v49
	v_add_f32_e32 v16, v17, v16
	v_add3_u32 v51, v51, v49, 0x7fff
	v_cndmask_b32_e32 v49, v51, v52, vcc_lo
	v_lshlrev_b32_e32 v51, 16, v71
	v_and_b32_e32 v25, 0xffff0000, v49
	v_mul_f32_e32 v51, v6, v51
	v_bfe_u32 v52, v51, 16, 1
	v_or_b32_e32 v53, 0x400000, v51
	v_cmp_u_f32_e32 vcc_lo, v51, v51
	v_add3_u32 v52, v52, v51, 0x7fff
	v_cndmask_b32_e32 v51, v52, v53, vcc_lo
	v_bfe_u32 v52, v50, 16, 1
	v_or_b32_e32 v53, 0x400000, v50
	v_cmp_u_f32_e32 vcc_lo, v50, v50
	v_and_b32_e32 v17, 0xffff0000, v51
	v_add3_u32 v52, v52, v50, 0x7fff
	v_add_f32_e32 v17, v17, v25
	v_cndmask_b32_e32 v50, v52, v53, vcc_lo
	v_lshlrev_b32_e32 v52, 16, v54
	v_add_f32_e32 v16, v16, v17
	v_and_b32_e32 v25, 0xffff0000, v50
	v_mul_f32_e32 v52, v2, v52
	v_bfe_u32 v53, v52, 16, 1
	v_or_b32_e32 v54, 0x400000, v52
	v_cmp_u_f32_e32 vcc_lo, v52, v52
	v_add3_u32 v53, v53, v52, 0x7fff
	v_cndmask_b32_e32 v52, v53, v54, vcc_lo
	buffer_load_dword v54, off, s[0:3], s32 offset:400 ; 4-byte Folded Reload
	v_and_b32_e32 v17, 0xffff0000, v52
	v_add_f32_e32 v17, v17, v25
	v_add_f32_e32 v16, v16, v17
	s_waitcnt vmcnt(0)
	v_add_f32_e32 v54, v54, v16
	v_lshlrev_b32_e32 v16, 16, v67
	v_mul_f32_e32 v16, v8, v16
	v_bfe_u32 v17, v16, 16, 1
	v_or_b32_e32 v25, 0x400000, v16
	v_cmp_u_f32_e32 vcc_lo, v16, v16
	v_add3_u32 v17, v17, v16, 0x7fff
	v_cndmask_b32_e32 v16, v17, v25, vcc_lo
	v_lshlrev_b32_e32 v17, 16, v68
	v_and_b32_e32 v16, 0xffff0000, v16
	v_mul_f32_e32 v17, v9, v17
	v_bfe_u32 v25, v17, 16, 1
	v_or_b32_e32 v28, 0x400000, v17
	v_cmp_u_f32_e32 vcc_lo, v17, v17
	v_add3_u32 v25, v25, v17, 0x7fff
	v_cndmask_b32_e32 v17, v25, v28, vcc_lo
	v_lshlrev_b32_e32 v25, 16, v64
	v_and_b32_e32 v17, 0xffff0000, v17
	v_mul_f32_e32 v25, v3, v25
	v_add_f32_e32 v16, v17, v16
	v_bfe_u32 v28, v25, 16, 1
	v_or_b32_e32 v49, 0x400000, v25
	v_cmp_u_f32_e32 vcc_lo, v25, v25
	v_add3_u32 v28, v28, v25, 0x7fff
	v_cndmask_b32_e32 v25, v28, v49, vcc_lo
	v_lshlrev_b32_e32 v28, 16, v65
	v_and_b32_e32 v25, 0xffff0000, v25
	v_mul_f32_e32 v28, v7, v28
	v_bfe_u32 v49, v28, 16, 1
	v_or_b32_e32 v50, 0x400000, v28
	v_cmp_u_f32_e32 vcc_lo, v28, v28
	v_add3_u32 v49, v49, v28, 0x7fff
	v_cndmask_b32_e32 v28, v49, v50, vcc_lo
	v_bfe_u32 v49, v36, 16, 1
	v_or_b32_e32 v50, 0x400000, v36
	v_cmp_u_f32_e32 vcc_lo, v36, v36
	v_and_b32_e32 v17, 0xffff0000, v28
	v_add3_u32 v49, v49, v36, 0x7fff
	v_add_f32_e32 v17, v17, v25
	v_cndmask_b32_e32 v36, v49, v50, vcc_lo
	v_lshlrev_b32_e32 v49, 16, v55
	v_add_f32_e32 v16, v16, v17
	v_and_b32_e32 v25, 0xffff0000, v36
	buffer_load_dword v36, off, s[0:3], s32 offset:404 ; 4-byte Folded Reload
	v_mul_f32_e32 v49, v6, v49
	v_bfe_u32 v50, v49, 16, 1
	v_or_b32_e32 v51, 0x400000, v49
	v_cmp_u_f32_e32 vcc_lo, v49, v49
	v_add3_u32 v50, v50, v49, 0x7fff
	v_cndmask_b32_e32 v49, v50, v51, vcc_lo
	v_lshlrev_b32_e32 v50, 16, v69
	v_and_b32_e32 v17, 0xffff0000, v49
	v_mul_f32_e32 v50, v0, v50
	buffer_load_dword v49, off, s[0:3], s32 offset:440 ; 4-byte Folded Reload
	v_add_f32_e32 v17, v17, v25
	v_bfe_u32 v51, v50, 16, 1
	v_or_b32_e32 v52, 0x400000, v50
	v_cmp_u_f32_e32 vcc_lo, v50, v50
	v_add_f32_e32 v16, v16, v17
	v_add3_u32 v51, v51, v50, 0x7fff
	v_cndmask_b32_e32 v50, v51, v52, vcc_lo
	v_lshlrev_b32_e32 v51, 16, v66
	v_and_b32_e32 v25, 0xffff0000, v50
	v_mul_f32_e32 v51, v2, v51
	v_bfe_u32 v52, v51, 16, 1
	v_or_b32_e32 v53, 0x400000, v51
	v_cmp_u_f32_e32 vcc_lo, v51, v51
	v_add3_u32 v52, v52, v51, 0x7fff
	v_cndmask_b32_e32 v51, v52, v53, vcc_lo
	v_and_b32_e32 v17, 0xffff0000, v51
	v_add_f32_e32 v17, v17, v25
	v_add_f32_e32 v16, v16, v17
	s_waitcnt vmcnt(1)
	v_add_f32_e32 v36, v36, v16
	v_lshlrev_b32_e32 v16, 16, v33
	v_mul_f32_e32 v16, v8, v16
	v_bfe_u32 v17, v16, 16, 1
	v_or_b32_e32 v25, 0x400000, v16
	v_cmp_u_f32_e32 vcc_lo, v16, v16
	v_add3_u32 v17, v17, v16, 0x7fff
	v_cndmask_b32_e32 v16, v17, v25, vcc_lo
	v_lshlrev_b32_e32 v17, 16, v34
	v_and_b32_e32 v16, 0xffff0000, v16
	v_mul_f32_e32 v17, v9, v17
	v_bfe_u32 v25, v17, 16, 1
	v_or_b32_e32 v28, 0x400000, v17
	v_cmp_u_f32_e32 vcc_lo, v17, v17
	v_add3_u32 v25, v25, v17, 0x7fff
	v_cndmask_b32_e32 v17, v25, v28, vcc_lo
	v_lshlrev_b32_e32 v25, 16, v97
	v_and_b32_e32 v17, 0xffff0000, v17
	v_mul_f32_e32 v25, v3, v25
	v_add_f32_e32 v16, v17, v16
	v_bfe_u32 v28, v25, 16, 1
	v_or_b32_e32 v33, 0x400000, v25
	v_cmp_u_f32_e32 vcc_lo, v25, v25
	v_add3_u32 v28, v28, v25, 0x7fff
	v_cndmask_b32_e32 v25, v28, v33, vcc_lo
	v_lshlrev_b32_e32 v28, 16, v31
	v_and_b32_e32 v25, 0xffff0000, v25
	v_mul_f32_e32 v28, v7, v28
	v_bfe_u32 v31, v28, 16, 1
	v_or_b32_e32 v33, 0x400000, v28
	v_cmp_u_f32_e32 vcc_lo, v28, v28
	v_add3_u32 v31, v31, v28, 0x7fff
	v_cndmask_b32_e32 v28, v31, v33, vcc_lo
	v_bfe_u32 v31, v12, 16, 1
	v_or_b32_e32 v33, 0x400000, v12
	v_cmp_u_f32_e32 vcc_lo, v12, v12
	v_and_b32_e32 v17, 0xffff0000, v28
	v_add3_u32 v31, v31, v12, 0x7fff
	v_add_f32_e32 v17, v17, v25
	v_cndmask_b32_e32 v12, v31, v33, vcc_lo
	v_bfe_u32 v31, v13, 16, 1
	v_or_b32_e32 v33, 0x400000, v13
	v_cmp_u_f32_e32 vcc_lo, v13, v13
	v_add_f32_e32 v16, v16, v17
	v_and_b32_e32 v12, 0xffff0000, v12
	v_add3_u32 v31, v31, v13, 0x7fff
	v_cndmask_b32_e32 v13, v31, v33, vcc_lo
	v_lshlrev_b32_e32 v31, 16, v35
	buffer_load_dword v35, off, s[0:3], s32 offset:428 ; 4-byte Folded Reload
	v_and_b32_e32 v13, 0xffff0000, v13
	v_mul_f32_e32 v31, v0, v31
	v_add_f32_e32 v12, v13, v12
	v_bfe_u32 v33, v31, 16, 1
	v_or_b32_e32 v34, 0x400000, v31
	v_cmp_u_f32_e32 vcc_lo, v31, v31
	v_add_f32_e32 v12, v16, v12
	v_add3_u32 v33, v33, v31, 0x7fff
	v_cndmask_b32_e32 v31, v33, v34, vcc_lo
	v_bfe_u32 v33, v32, 16, 1
	v_or_b32_e32 v34, 0x400000, v32
	v_cmp_u_f32_e32 vcc_lo, v32, v32
	v_and_b32_e32 v16, 0xffff0000, v31
	v_add3_u32 v33, v33, v32, 0x7fff
	v_cndmask_b32_e32 v32, v33, v34, vcc_lo
	buffer_load_dword v34, off, s[0:3], s32 offset:408 ; 4-byte Folded Reload
	v_and_b32_e32 v13, 0xffff0000, v32
	v_add_f32_e32 v13, v13, v16
	v_add_f32_e32 v12, v12, v13
	s_waitcnt vmcnt(0)
	v_add_f32_e32 v34, v34, v12
	v_lshlrev_b32_e32 v12, 16, v29
	v_mul_f32_e32 v12, v8, v12
	v_bfe_u32 v13, v12, 16, 1
	v_or_b32_e32 v16, 0x400000, v12
	v_cmp_u_f32_e32 vcc_lo, v12, v12
	v_add3_u32 v13, v13, v12, 0x7fff
	v_cndmask_b32_e32 v12, v13, v16, vcc_lo
	v_lshlrev_b32_e32 v13, 16, v81
	v_and_b32_e32 v12, 0xffff0000, v12
	v_mul_f32_e32 v13, v9, v13
	v_bfe_u32 v16, v13, 16, 1
	v_or_b32_e32 v17, 0x400000, v13
	v_cmp_u_f32_e32 vcc_lo, v13, v13
	v_add3_u32 v16, v16, v13, 0x7fff
	v_cndmask_b32_e32 v13, v16, v17, vcc_lo
	v_lshlrev_b32_e32 v16, 16, v125
	v_and_b32_e32 v13, 0xffff0000, v13
	v_mul_f32_e32 v16, v3, v16
	v_add_f32_e32 v12, v13, v12
	v_bfe_u32 v17, v16, 16, 1
	v_or_b32_e32 v25, 0x400000, v16
	v_cmp_u_f32_e32 vcc_lo, v16, v16
	v_add3_u32 v17, v17, v16, 0x7fff
	v_cndmask_b32_e32 v16, v17, v25, vcc_lo
	v_lshlrev_b32_e32 v17, 16, v126
	v_and_b32_e32 v16, 0xffff0000, v16
	v_mul_f32_e32 v17, v7, v17
	v_bfe_u32 v25, v17, 16, 1
	v_or_b32_e32 v28, 0x400000, v17
	v_cmp_u_f32_e32 vcc_lo, v17, v17
	v_add3_u32 v25, v25, v17, 0x7fff
	v_cndmask_b32_e32 v17, v25, v28, vcc_lo
	v_lshlrev_b32_e32 v25, 16, v123
	v_and_b32_e32 v13, 0xffff0000, v17
	v_mul_f32_e32 v25, v1, v25
	v_add_f32_e32 v13, v13, v16
	v_bfe_u32 v28, v25, 16, 1
	v_or_b32_e32 v29, 0x400000, v25
	v_cmp_u_f32_e32 vcc_lo, v25, v25
	v_add_f32_e32 v12, v12, v13
	v_add3_u32 v28, v28, v25, 0x7fff
	v_cndmask_b32_e32 v25, v28, v29, vcc_lo
	v_lshlrev_b32_e32 v28, 16, v124
	v_and_b32_e32 v16, 0xffff0000, v25
	v_mul_f32_e32 v28, v6, v28
	v_bfe_u32 v29, v28, 16, 1
	v_or_b32_e32 v31, 0x400000, v28
	v_cmp_u_f32_e32 vcc_lo, v28, v28
	v_add3_u32 v29, v29, v28, 0x7fff
	v_cndmask_b32_e32 v28, v29, v31, vcc_lo
	v_lshlrev_b32_e32 v29, 16, v87
	v_and_b32_e32 v13, 0xffff0000, v28
	buffer_load_dword v28, off, s[0:3], s32 offset:412 ; 4-byte Folded Reload
	v_mul_f32_e32 v29, v0, v29
	v_add_f32_e32 v13, v13, v16
	v_bfe_u32 v31, v29, 16, 1
	v_or_b32_e32 v32, 0x400000, v29
	v_cmp_u_f32_e32 vcc_lo, v29, v29
	v_add_f32_e32 v12, v12, v13
	v_add3_u32 v31, v31, v29, 0x7fff
	v_cndmask_b32_e32 v29, v31, v32, vcc_lo
	v_lshlrev_b32_e32 v31, 16, v127
	v_and_b32_e32 v16, 0xffff0000, v29
	buffer_load_dword v29, off, s[0:3], s32 offset:416 ; 4-byte Folded Reload
	v_mul_f32_e32 v31, v2, v31
	v_bfe_u32 v32, v31, 16, 1
	v_or_b32_e32 v33, 0x400000, v31
	v_cmp_u_f32_e32 vcc_lo, v31, v31
	v_add3_u32 v32, v32, v31, 0x7fff
	v_cndmask_b32_e32 v31, v32, v33, vcc_lo
	s_clause 0x1
	buffer_load_dword v32, off, s[0:3], s32 offset:424
	buffer_load_dword v33, off, s[0:3], s32 offset:380
	v_and_b32_e32 v13, 0xffff0000, v31
	buffer_load_dword v31, off, s[0:3], s32 offset:420 ; 4-byte Folded Reload
	v_add_f32_e32 v13, v13, v16
	v_add_f32_e32 v12, v12, v13
	s_waitcnt vmcnt(4)
	v_add_f32_e32 v28, v28, v12
	v_lshlrev_b32_e32 v12, 16, v37
	buffer_load_dword v37, off, s[0:3], s32 offset:432 ; 4-byte Folded Reload
	v_mul_f32_e32 v12, v8, v12
	v_bfe_u32 v13, v12, 16, 1
	v_or_b32_e32 v16, 0x400000, v12
	v_cmp_u_f32_e32 vcc_lo, v12, v12
	v_add3_u32 v13, v13, v12, 0x7fff
	v_cndmask_b32_e32 v12, v13, v16, vcc_lo
	v_lshlrev_b32_e32 v13, 16, v39
	v_and_b32_e32 v12, 0xffff0000, v12
	v_mul_f32_e32 v13, v9, v13
	v_bfe_u32 v16, v13, 16, 1
	v_or_b32_e32 v17, 0x400000, v13
	v_cmp_u_f32_e32 vcc_lo, v13, v13
	v_add3_u32 v16, v16, v13, 0x7fff
	v_cndmask_b32_e32 v13, v16, v17, vcc_lo
	v_lshlrev_b32_e32 v16, 16, v22
	v_and_b32_e32 v13, 0xffff0000, v13
	v_mul_f32_e32 v16, v3, v16
	v_add_f32_e32 v12, v13, v12
	v_bfe_u32 v17, v16, 16, 1
	v_or_b32_e32 v22, 0x400000, v16
	v_cmp_u_f32_e32 vcc_lo, v16, v16
	v_add3_u32 v17, v17, v16, 0x7fff
	v_cndmask_b32_e32 v16, v17, v22, vcc_lo
	v_lshlrev_b32_e32 v17, 16, v26
	v_and_b32_e32 v16, 0xffff0000, v16
	v_mul_f32_e32 v17, v7, v17
	v_bfe_u32 v22, v17, 16, 1
	v_or_b32_e32 v25, 0x400000, v17
	v_cmp_u_f32_e32 vcc_lo, v17, v17
	v_add3_u32 v22, v22, v17, 0x7fff
	v_cndmask_b32_e32 v17, v22, v25, vcc_lo
	v_bfe_u32 v22, v4, 16, 1
	v_or_b32_e32 v25, 0x400000, v4
	v_cmp_u_f32_e32 vcc_lo, v4, v4
	v_and_b32_e32 v13, 0xffff0000, v17
	v_add3_u32 v22, v22, v4, 0x7fff
	v_add_f32_e32 v13, v13, v16
	v_cndmask_b32_e32 v4, v22, v25, vcc_lo
	v_bfe_u32 v22, v5, 16, 1
	v_or_b32_e32 v25, 0x400000, v5
	v_cmp_u_f32_e32 vcc_lo, v5, v5
	v_add_f32_e32 v12, v12, v13
	v_and_b32_e32 v4, 0xffff0000, v4
	v_add3_u32 v22, v22, v5, 0x7fff
	v_cndmask_b32_e32 v5, v22, v25, vcc_lo
	v_lshlrev_b32_e32 v22, 16, v48
	v_and_b32_e32 v5, 0xffff0000, v5
	v_mul_f32_e32 v22, v0, v22
	v_add_f32_e32 v4, v5, v4
	v_bfe_u32 v25, v22, 16, 1
	v_or_b32_e32 v26, 0x400000, v22
	v_cmp_u_f32_e32 vcc_lo, v22, v22
	v_add_f32_e32 v4, v12, v4
	v_add3_u32 v25, v25, v22, 0x7fff
	v_cndmask_b32_e32 v22, v25, v26, vcc_lo
	v_lshlrev_b32_e32 v25, 16, v27
	v_and_b32_e32 v12, 0xffff0000, v22
	v_mul_f32_e32 v25, v2, v25
	v_bfe_u32 v26, v25, 16, 1
	v_or_b32_e32 v27, 0x400000, v25
	v_cmp_u_f32_e32 vcc_lo, v25, v25
	v_add3_u32 v26, v26, v25, 0x7fff
	v_cndmask_b32_e32 v25, v26, v27, vcc_lo
	v_and_b32_e32 v5, 0xffff0000, v25
	v_add_f32_e32 v5, v5, v12
	v_add_f32_e32 v4, v4, v5
	s_waitcnt vmcnt(4)
	v_add_f32_e32 v29, v29, v4
	v_lshlrev_b32_e32 v4, 16, v122
	v_mul_f32_e32 v4, v8, v4
	v_bfe_u32 v5, v4, 16, 1
	v_or_b32_e32 v12, 0x400000, v4
	v_cmp_u_f32_e32 vcc_lo, v4, v4
	v_add3_u32 v5, v5, v4, 0x7fff
	v_cndmask_b32_e32 v4, v5, v12, vcc_lo
	v_lshlrev_b32_e32 v5, 16, v121
	v_and_b32_e32 v4, 0xffff0000, v4
	v_mul_f32_e32 v5, v9, v5
	v_bfe_u32 v12, v5, 16, 1
	v_or_b32_e32 v13, 0x400000, v5
	v_cmp_u_f32_e32 vcc_lo, v5, v5
	v_add3_u32 v12, v12, v5, 0x7fff
	v_cndmask_b32_e32 v5, v12, v13, vcc_lo
	v_lshlrev_b32_e32 v12, 16, v111
	v_and_b32_e32 v5, 0xffff0000, v5
	v_mul_f32_e32 v12, v3, v12
	v_add_f32_e32 v4, v5, v4
	v_bfe_u32 v13, v12, 16, 1
	v_or_b32_e32 v16, 0x400000, v12
	v_cmp_u_f32_e32 vcc_lo, v12, v12
	v_add3_u32 v13, v13, v12, 0x7fff
	v_cndmask_b32_e32 v12, v13, v16, vcc_lo
	v_lshlrev_b32_e32 v13, 16, v120
	v_and_b32_e32 v12, 0xffff0000, v12
	v_mul_f32_e32 v13, v7, v13
	v_bfe_u32 v16, v13, 16, 1
	v_or_b32_e32 v17, 0x400000, v13
	v_cmp_u_f32_e32 vcc_lo, v13, v13
	v_add3_u32 v16, v16, v13, 0x7fff
	v_cndmask_b32_e32 v13, v16, v17, vcc_lo
	v_lshlrev_b32_e32 v16, 16, v108
	v_and_b32_e32 v5, 0xffff0000, v13
	v_mul_f32_e32 v16, v1, v16
	v_add_f32_e32 v5, v5, v12
	v_bfe_u32 v17, v16, 16, 1
	v_or_b32_e32 v22, 0x400000, v16
	v_cmp_u_f32_e32 vcc_lo, v16, v16
	v_add_f32_e32 v4, v4, v5
	v_add3_u32 v17, v17, v16, 0x7fff
	v_cndmask_b32_e32 v16, v17, v22, vcc_lo
	v_lshlrev_b32_e32 v17, 16, v107
	v_and_b32_e32 v12, 0xffff0000, v16
	v_mul_f32_e32 v17, v6, v17
	v_bfe_u32 v22, v17, 16, 1
	v_or_b32_e32 v25, 0x400000, v17
	v_cmp_u_f32_e32 vcc_lo, v17, v17
	v_add3_u32 v22, v22, v17, 0x7fff
	v_cndmask_b32_e32 v17, v22, v25, vcc_lo
	v_lshlrev_b32_e32 v22, 16, v110
	v_and_b32_e32 v5, 0xffff0000, v17
	v_mul_f32_e32 v22, v0, v22
	v_add_f32_e32 v5, v5, v12
	v_bfe_u32 v25, v22, 16, 1
	v_or_b32_e32 v26, 0x400000, v22
	v_cmp_u_f32_e32 vcc_lo, v22, v22
	v_add_f32_e32 v4, v4, v5
	v_add3_u32 v25, v25, v22, 0x7fff
	v_cndmask_b32_e32 v22, v25, v26, vcc_lo
	v_lshlrev_b32_e32 v25, 16, v109
	v_and_b32_e32 v12, 0xffff0000, v22
	v_mul_f32_e32 v25, v2, v25
	v_bfe_u32 v26, v25, 16, 1
	v_or_b32_e32 v27, 0x400000, v25
	v_cmp_u_f32_e32 vcc_lo, v25, v25
	v_add3_u32 v26, v26, v25, 0x7fff
	v_cndmask_b32_e32 v25, v26, v27, vcc_lo
	v_and_b32_e32 v5, 0xffff0000, v25
	v_add_f32_e32 v5, v5, v12
	v_add_f32_e32 v4, v4, v5
	s_waitcnt vmcnt(1)
	v_add_f32_e32 v31, v31, v4
	v_lshlrev_b32_e32 v4, 16, v106
	v_mul_f32_e32 v4, v8, v4
	v_bfe_u32 v5, v4, 16, 1
	v_or_b32_e32 v12, 0x400000, v4
	v_cmp_u_f32_e32 vcc_lo, v4, v4
	v_add3_u32 v5, v5, v4, 0x7fff
	v_cndmask_b32_e32 v4, v5, v12, vcc_lo
	v_lshlrev_b32_e32 v5, 16, v105
	v_and_b32_e32 v4, 0xffff0000, v4
	v_mul_f32_e32 v5, v9, v5
	v_bfe_u32 v12, v5, 16, 1
	v_or_b32_e32 v13, 0x400000, v5
	v_cmp_u_f32_e32 vcc_lo, v5, v5
	v_add3_u32 v12, v12, v5, 0x7fff
	v_cndmask_b32_e32 v5, v12, v13, vcc_lo
	v_lshlrev_b32_e32 v12, 16, v95
	v_and_b32_e32 v5, 0xffff0000, v5
	v_mul_f32_e32 v12, v3, v12
	v_add_f32_e32 v4, v5, v4
	v_bfe_u32 v13, v12, 16, 1
	v_or_b32_e32 v16, 0x400000, v12
	v_cmp_u_f32_e32 vcc_lo, v12, v12
	v_add3_u32 v13, v13, v12, 0x7fff
	v_cndmask_b32_e32 v12, v13, v16, vcc_lo
	v_lshlrev_b32_e32 v13, 16, v104
	v_and_b32_e32 v12, 0xffff0000, v12
	v_mul_f32_e32 v13, v7, v13
	v_bfe_u32 v16, v13, 16, 1
	v_or_b32_e32 v17, 0x400000, v13
	v_cmp_u_f32_e32 vcc_lo, v13, v13
	v_add3_u32 v16, v16, v13, 0x7fff
	v_cndmask_b32_e32 v13, v16, v17, vcc_lo
	v_lshlrev_b32_e32 v16, 16, v92
	v_and_b32_e32 v5, 0xffff0000, v13
	v_mul_f32_e32 v16, v1, v16
	v_add_f32_e32 v5, v5, v12
	v_bfe_u32 v17, v16, 16, 1
	v_or_b32_e32 v22, 0x400000, v16
	v_cmp_u_f32_e32 vcc_lo, v16, v16
	v_add_f32_e32 v4, v4, v5
	v_add3_u32 v17, v17, v16, 0x7fff
	v_cndmask_b32_e32 v16, v17, v22, vcc_lo
	buffer_load_dword v17, off, s[0:3], s32 offset:368 ; 4-byte Folded Reload
	v_and_b32_e32 v12, 0xffff0000, v16
	s_waitcnt vmcnt(0)
	v_lshlrev_b32_e32 v17, 16, v17
	v_mul_f32_e32 v17, v6, v17
	v_bfe_u32 v22, v17, 16, 1
	v_or_b32_e32 v25, 0x400000, v17
	v_cmp_u_f32_e32 vcc_lo, v17, v17
	v_add3_u32 v22, v22, v17, 0x7fff
	v_cndmask_b32_e32 v17, v22, v25, vcc_lo
	v_lshlrev_b32_e32 v22, 16, v94
	v_and_b32_e32 v5, 0xffff0000, v17
	v_mul_f32_e32 v22, v0, v22
	v_add_f32_e32 v5, v5, v12
	v_bfe_u32 v25, v22, 16, 1
	v_or_b32_e32 v26, 0x400000, v22
	v_cmp_u_f32_e32 vcc_lo, v22, v22
	v_add_f32_e32 v4, v4, v5
	v_add3_u32 v25, v25, v22, 0x7fff
	v_cndmask_b32_e32 v22, v25, v26, vcc_lo
	v_lshlrev_b32_e32 v25, 16, v93
	v_and_b32_e32 v12, 0xffff0000, v22
	v_mul_f32_e32 v25, v2, v25
	v_bfe_u32 v26, v25, 16, 1
	v_or_b32_e32 v27, 0x400000, v25
	v_cmp_u_f32_e32 vcc_lo, v25, v25
	v_add3_u32 v26, v26, v25, 0x7fff
	v_cndmask_b32_e32 v25, v26, v27, vcc_lo
	v_and_b32_e32 v5, 0xffff0000, v25
	v_add_f32_e32 v5, v5, v12
	v_add_f32_e32 v4, v4, v5
	;; [unrolled: 1-line block ×3, first 2 shown]
	buffer_load_dword v4, off, s[0:3], s32 offset:360 ; 4-byte Folded Reload
	s_waitcnt vmcnt(0)
	v_lshlrev_b32_e32 v4, 16, v4
	v_mul_f32_e32 v4, v8, v4
	v_bfe_u32 v5, v4, 16, 1
	v_or_b32_e32 v12, 0x400000, v4
	v_cmp_u_f32_e32 vcc_lo, v4, v4
	v_add3_u32 v5, v5, v4, 0x7fff
	v_cndmask_b32_e32 v4, v5, v12, vcc_lo
	buffer_load_dword v5, off, s[0:3], s32 offset:356 ; 4-byte Folded Reload
	v_and_b32_e32 v4, 0xffff0000, v4
	s_waitcnt vmcnt(0)
	v_lshlrev_b32_e32 v5, 16, v5
	v_mul_f32_e32 v5, v9, v5
	v_bfe_u32 v12, v5, 16, 1
	v_or_b32_e32 v13, 0x400000, v5
	v_cmp_u_f32_e32 vcc_lo, v5, v5
	v_add3_u32 v12, v12, v5, 0x7fff
	v_cndmask_b32_e32 v5, v12, v13, vcc_lo
	buffer_load_dword v12, off, s[0:3], s32 offset:348 ; 4-byte Folded Reload
	v_and_b32_e32 v5, 0xffff0000, v5
	v_add_f32_e32 v4, v5, v4
	s_waitcnt vmcnt(0)
	v_lshlrev_b32_e32 v12, 16, v12
	v_mul_f32_e32 v12, v3, v12
	v_bfe_u32 v13, v12, 16, 1
	v_or_b32_e32 v16, 0x400000, v12
	v_cmp_u_f32_e32 vcc_lo, v12, v12
	v_add3_u32 v13, v13, v12, 0x7fff
	v_cndmask_b32_e32 v12, v13, v16, vcc_lo
	buffer_load_dword v13, off, s[0:3], s32 offset:352 ; 4-byte Folded Reload
	v_and_b32_e32 v12, 0xffff0000, v12
	s_waitcnt vmcnt(0)
	v_lshlrev_b32_e32 v13, 16, v13
	v_mul_f32_e32 v13, v7, v13
	v_bfe_u32 v16, v13, 16, 1
	v_or_b32_e32 v17, 0x400000, v13
	v_cmp_u_f32_e32 vcc_lo, v13, v13
	v_add3_u32 v16, v16, v13, 0x7fff
	v_cndmask_b32_e32 v13, v16, v17, vcc_lo
	buffer_load_dword v16, off, s[0:3], s32 offset:344 ; 4-byte Folded Reload
	v_and_b32_e32 v5, 0xffff0000, v13
	v_add_f32_e32 v5, v5, v12
	v_add_f32_e32 v4, v4, v5
	s_waitcnt vmcnt(0)
	v_lshlrev_b32_e32 v16, 16, v16
	v_mul_f32_e32 v16, v1, v16
	v_bfe_u32 v17, v16, 16, 1
	v_or_b32_e32 v22, 0x400000, v16
	v_cmp_u_f32_e32 vcc_lo, v16, v16
	v_add3_u32 v17, v17, v16, 0x7fff
	v_cndmask_b32_e32 v16, v17, v22, vcc_lo
	buffer_load_dword v17, off, s[0:3], s32 offset:336 ; 4-byte Folded Reload
	v_and_b32_e32 v12, 0xffff0000, v16
	s_waitcnt vmcnt(0)
	v_lshlrev_b32_e32 v17, 16, v17
	v_mul_f32_e32 v17, v6, v17
	v_bfe_u32 v22, v17, 16, 1
	v_or_b32_e32 v25, 0x400000, v17
	v_cmp_u_f32_e32 vcc_lo, v17, v17
	v_add3_u32 v22, v22, v17, 0x7fff
	v_cndmask_b32_e32 v17, v22, v25, vcc_lo
	buffer_load_dword v22, off, s[0:3], s32 offset:340 ; 4-byte Folded Reload
	v_and_b32_e32 v5, 0xffff0000, v17
	v_add_f32_e32 v5, v5, v12
	v_add_f32_e32 v4, v4, v5
	s_waitcnt vmcnt(0)
	v_lshlrev_b32_e32 v22, 16, v22
	v_mul_f32_e32 v22, v0, v22
	v_bfe_u32 v25, v22, 16, 1
	v_or_b32_e32 v26, 0x400000, v22
	v_cmp_u_f32_e32 vcc_lo, v22, v22
	v_add3_u32 v25, v25, v22, 0x7fff
	v_cndmask_b32_e32 v22, v25, v26, vcc_lo
	buffer_load_dword v25, off, s[0:3], s32 offset:332 ; 4-byte Folded Reload
	v_and_b32_e32 v12, 0xffff0000, v22
	s_waitcnt vmcnt(0)
	v_lshlrev_b32_e32 v25, 16, v25
	v_mul_f32_e32 v25, v2, v25
	v_bfe_u32 v26, v25, 16, 1
	v_or_b32_e32 v27, 0x400000, v25
	v_cmp_u_f32_e32 vcc_lo, v25, v25
	v_add3_u32 v26, v26, v25, 0x7fff
	v_cndmask_b32_e32 v25, v26, v27, vcc_lo
	v_and_b32_e32 v5, 0xffff0000, v25
	v_add_f32_e32 v5, v5, v12
	v_add_f32_e32 v4, v4, v5
	;; [unrolled: 1-line block ×3, first 2 shown]
	buffer_load_dword v4, off, s[0:3], s32 offset:328 ; 4-byte Folded Reload
	s_waitcnt vmcnt(0)
	v_lshlrev_b32_e32 v4, 16, v4
	v_mul_f32_e32 v4, v8, v4
	v_bfe_u32 v5, v4, 16, 1
	v_or_b32_e32 v12, 0x400000, v4
	v_cmp_u_f32_e32 vcc_lo, v4, v4
	v_add3_u32 v5, v5, v4, 0x7fff
	v_cndmask_b32_e32 v4, v5, v12, vcc_lo
	buffer_load_dword v5, off, s[0:3], s32 offset:324 ; 4-byte Folded Reload
	v_and_b32_e32 v4, 0xffff0000, v4
	s_waitcnt vmcnt(0)
	v_lshlrev_b32_e32 v5, 16, v5
	v_mul_f32_e32 v5, v9, v5
	v_bfe_u32 v12, v5, 16, 1
	v_or_b32_e32 v13, 0x400000, v5
	v_cmp_u_f32_e32 vcc_lo, v5, v5
	v_add3_u32 v12, v12, v5, 0x7fff
	v_cndmask_b32_e32 v5, v12, v13, vcc_lo
	buffer_load_dword v12, off, s[0:3], s32 offset:316 ; 4-byte Folded Reload
	v_and_b32_e32 v5, 0xffff0000, v5
	v_add_f32_e32 v4, v5, v4
	s_waitcnt vmcnt(0)
	v_lshlrev_b32_e32 v12, 16, v12
	v_mul_f32_e32 v12, v3, v12
	v_bfe_u32 v13, v12, 16, 1
	v_or_b32_e32 v16, 0x400000, v12
	v_cmp_u_f32_e32 vcc_lo, v12, v12
	v_add3_u32 v13, v13, v12, 0x7fff
	v_cndmask_b32_e32 v12, v13, v16, vcc_lo
	buffer_load_dword v13, off, s[0:3], s32 offset:320 ; 4-byte Folded Reload
	v_and_b32_e32 v12, 0xffff0000, v12
	s_waitcnt vmcnt(0)
	v_lshlrev_b32_e32 v13, 16, v13
	v_mul_f32_e32 v13, v7, v13
	v_bfe_u32 v16, v13, 16, 1
	v_or_b32_e32 v17, 0x400000, v13
	v_cmp_u_f32_e32 vcc_lo, v13, v13
	v_add3_u32 v16, v16, v13, 0x7fff
	v_cndmask_b32_e32 v13, v16, v17, vcc_lo
	buffer_load_dword v16, off, s[0:3], s32 offset:312 ; 4-byte Folded Reload
	v_and_b32_e32 v5, 0xffff0000, v13
	v_add_f32_e32 v5, v5, v12
	v_add_f32_e32 v4, v4, v5
	s_waitcnt vmcnt(0)
	v_lshlrev_b32_e32 v16, 16, v16
	v_mul_f32_e32 v16, v1, v16
	v_bfe_u32 v17, v16, 16, 1
	v_or_b32_e32 v22, 0x400000, v16
	v_cmp_u_f32_e32 vcc_lo, v16, v16
	v_add3_u32 v17, v17, v16, 0x7fff
	v_cndmask_b32_e32 v16, v17, v22, vcc_lo
	buffer_load_dword v17, off, s[0:3], s32 offset:304 ; 4-byte Folded Reload
	v_and_b32_e32 v12, 0xffff0000, v16
	s_waitcnt vmcnt(0)
	v_lshlrev_b32_e32 v17, 16, v17
	v_mul_f32_e32 v17, v6, v17
	v_bfe_u32 v22, v17, 16, 1
	v_or_b32_e32 v25, 0x400000, v17
	v_cmp_u_f32_e32 vcc_lo, v17, v17
	v_add3_u32 v22, v22, v17, 0x7fff
	v_cndmask_b32_e32 v17, v22, v25, vcc_lo
	buffer_load_dword v22, off, s[0:3], s32 offset:308 ; 4-byte Folded Reload
	v_and_b32_e32 v5, 0xffff0000, v17
	v_add_f32_e32 v5, v5, v12
	v_add_f32_e32 v4, v4, v5
	s_waitcnt vmcnt(0)
	v_lshlrev_b32_e32 v22, 16, v22
	v_mul_f32_e32 v22, v0, v22
	v_bfe_u32 v25, v22, 16, 1
	v_or_b32_e32 v26, 0x400000, v22
	v_cmp_u_f32_e32 vcc_lo, v22, v22
	v_add3_u32 v25, v25, v22, 0x7fff
	v_cndmask_b32_e32 v22, v25, v26, vcc_lo
	buffer_load_dword v25, off, s[0:3], s32 offset:300 ; 4-byte Folded Reload
	v_and_b32_e32 v12, 0xffff0000, v22
	s_waitcnt vmcnt(0)
	v_lshlrev_b32_e32 v25, 16, v25
	v_mul_f32_e32 v25, v2, v25
	v_bfe_u32 v26, v25, 16, 1
	v_or_b32_e32 v27, 0x400000, v25
	v_cmp_u_f32_e32 vcc_lo, v25, v25
	v_add3_u32 v26, v26, v25, 0x7fff
	v_cndmask_b32_e32 v25, v26, v27, vcc_lo
	v_and_b32_e32 v5, 0xffff0000, v25
	v_add_f32_e32 v5, v5, v12
	v_add_f32_e32 v4, v4, v5
	;; [unrolled: 1-line block ×3, first 2 shown]
	buffer_load_dword v4, off, s[0:3], s32 offset:296 ; 4-byte Folded Reload
	s_waitcnt vmcnt(0)
	v_lshlrev_b32_e32 v4, 16, v4
	v_mul_f32_e32 v4, v8, v4
	v_bfe_u32 v5, v4, 16, 1
	v_or_b32_e32 v12, 0x400000, v4
	v_cmp_u_f32_e32 vcc_lo, v4, v4
	v_add3_u32 v5, v5, v4, 0x7fff
	v_cndmask_b32_e32 v4, v5, v12, vcc_lo
	buffer_load_dword v5, off, s[0:3], s32 offset:292 ; 4-byte Folded Reload
	v_and_b32_e32 v4, 0xffff0000, v4
	s_waitcnt vmcnt(0)
	v_lshlrev_b32_e32 v5, 16, v5
	v_mul_f32_e32 v5, v9, v5
	v_bfe_u32 v12, v5, 16, 1
	v_or_b32_e32 v13, 0x400000, v5
	v_cmp_u_f32_e32 vcc_lo, v5, v5
	v_add3_u32 v12, v12, v5, 0x7fff
	v_cndmask_b32_e32 v5, v12, v13, vcc_lo
	buffer_load_dword v12, off, s[0:3], s32 offset:284 ; 4-byte Folded Reload
	v_and_b32_e32 v5, 0xffff0000, v5
	v_add_f32_e32 v4, v5, v4
	s_waitcnt vmcnt(0)
	v_lshlrev_b32_e32 v12, 16, v12
	v_mul_f32_e32 v12, v3, v12
	v_bfe_u32 v13, v12, 16, 1
	v_or_b32_e32 v16, 0x400000, v12
	v_cmp_u_f32_e32 vcc_lo, v12, v12
	v_add3_u32 v13, v13, v12, 0x7fff
	v_cndmask_b32_e32 v12, v13, v16, vcc_lo
	buffer_load_dword v13, off, s[0:3], s32 offset:288 ; 4-byte Folded Reload
	v_and_b32_e32 v12, 0xffff0000, v12
	s_waitcnt vmcnt(0)
	v_lshlrev_b32_e32 v13, 16, v13
	v_mul_f32_e32 v13, v7, v13
	v_bfe_u32 v16, v13, 16, 1
	v_or_b32_e32 v17, 0x400000, v13
	v_cmp_u_f32_e32 vcc_lo, v13, v13
	v_add3_u32 v16, v16, v13, 0x7fff
	v_cndmask_b32_e32 v13, v16, v17, vcc_lo
	buffer_load_dword v16, off, s[0:3], s32 offset:280 ; 4-byte Folded Reload
	v_and_b32_e32 v5, 0xffff0000, v13
	v_add_f32_e32 v5, v5, v12
	v_add_f32_e32 v4, v4, v5
	s_waitcnt vmcnt(0)
	v_lshlrev_b32_e32 v16, 16, v16
	v_mul_f32_e32 v16, v1, v16
	v_bfe_u32 v17, v16, 16, 1
	v_or_b32_e32 v22, 0x400000, v16
	v_cmp_u_f32_e32 vcc_lo, v16, v16
	v_add3_u32 v17, v17, v16, 0x7fff
	v_cndmask_b32_e32 v16, v17, v22, vcc_lo
	buffer_load_dword v17, off, s[0:3], s32 offset:272 ; 4-byte Folded Reload
	v_and_b32_e32 v12, 0xffff0000, v16
	s_waitcnt vmcnt(0)
	v_lshlrev_b32_e32 v17, 16, v17
	v_mul_f32_e32 v17, v6, v17
	v_bfe_u32 v22, v17, 16, 1
	v_or_b32_e32 v25, 0x400000, v17
	v_cmp_u_f32_e32 vcc_lo, v17, v17
	v_add3_u32 v22, v22, v17, 0x7fff
	v_cndmask_b32_e32 v17, v22, v25, vcc_lo
	buffer_load_dword v22, off, s[0:3], s32 offset:276 ; 4-byte Folded Reload
	v_and_b32_e32 v5, 0xffff0000, v17
	v_add_f32_e32 v5, v5, v12
	v_add_f32_e32 v4, v4, v5
	s_waitcnt vmcnt(0)
	v_lshlrev_b32_e32 v22, 16, v22
	v_mul_f32_e32 v22, v0, v22
	v_bfe_u32 v25, v22, 16, 1
	v_or_b32_e32 v26, 0x400000, v22
	v_cmp_u_f32_e32 vcc_lo, v22, v22
	v_add3_u32 v25, v25, v22, 0x7fff
	v_cndmask_b32_e32 v22, v25, v26, vcc_lo
	buffer_load_dword v25, off, s[0:3], s32 offset:268 ; 4-byte Folded Reload
	v_and_b32_e32 v12, 0xffff0000, v22
	s_waitcnt vmcnt(0)
	v_lshlrev_b32_e32 v25, 16, v25
	v_mul_f32_e32 v25, v2, v25
	v_bfe_u32 v26, v25, 16, 1
	v_or_b32_e32 v27, 0x400000, v25
	v_cmp_u_f32_e32 vcc_lo, v25, v25
	v_add3_u32 v26, v26, v25, 0x7fff
	v_cndmask_b32_e32 v25, v26, v27, vcc_lo
	v_and_b32_e32 v5, 0xffff0000, v25
	v_add_f32_e32 v5, v5, v12
	v_add_f32_e32 v4, v4, v5
	v_add_f32_e32 v49, v49, v4
	buffer_load_dword v4, off, s[0:3], s32 offset:264 ; 4-byte Folded Reload
	s_waitcnt vmcnt(0)
	v_lshlrev_b32_e32 v4, 16, v4
	v_mul_f32_e32 v4, v8, v4
	v_bfe_u32 v5, v4, 16, 1
	v_or_b32_e32 v12, 0x400000, v4
	v_cmp_u_f32_e32 vcc_lo, v4, v4
	v_add3_u32 v5, v5, v4, 0x7fff
	v_cndmask_b32_e32 v4, v5, v12, vcc_lo
	buffer_load_dword v5, off, s[0:3], s32 offset:260 ; 4-byte Folded Reload
	v_and_b32_e32 v4, 0xffff0000, v4
	s_waitcnt vmcnt(0)
	v_lshlrev_b32_e32 v5, 16, v5
	v_mul_f32_e32 v5, v9, v5
	v_bfe_u32 v12, v5, 16, 1
	v_or_b32_e32 v13, 0x400000, v5
	v_cmp_u_f32_e32 vcc_lo, v5, v5
	v_add3_u32 v12, v12, v5, 0x7fff
	v_cndmask_b32_e32 v5, v12, v13, vcc_lo
	buffer_load_dword v12, off, s[0:3], s32 offset:252 ; 4-byte Folded Reload
	v_and_b32_e32 v5, 0xffff0000, v5
	v_add_f32_e32 v4, v5, v4
	s_waitcnt vmcnt(0)
	v_lshlrev_b32_e32 v12, 16, v12
	v_mul_f32_e32 v12, v3, v12
	v_bfe_u32 v13, v12, 16, 1
	v_or_b32_e32 v16, 0x400000, v12
	v_cmp_u_f32_e32 vcc_lo, v12, v12
	v_add3_u32 v13, v13, v12, 0x7fff
	v_cndmask_b32_e32 v12, v13, v16, vcc_lo
	buffer_load_dword v13, off, s[0:3], s32 offset:256 ; 4-byte Folded Reload
	v_and_b32_e32 v12, 0xffff0000, v12
	s_waitcnt vmcnt(0)
	v_lshlrev_b32_e32 v13, 16, v13
	v_mul_f32_e32 v13, v7, v13
	v_bfe_u32 v16, v13, 16, 1
	v_or_b32_e32 v17, 0x400000, v13
	v_cmp_u_f32_e32 vcc_lo, v13, v13
	v_add3_u32 v16, v16, v13, 0x7fff
	v_cndmask_b32_e32 v13, v16, v17, vcc_lo
	buffer_load_dword v16, off, s[0:3], s32 offset:248 ; 4-byte Folded Reload
	v_and_b32_e32 v5, 0xffff0000, v13
	v_add_f32_e32 v5, v5, v12
	v_add_f32_e32 v4, v4, v5
	s_waitcnt vmcnt(0)
	v_lshlrev_b32_e32 v16, 16, v16
	v_mul_f32_e32 v16, v1, v16
	v_bfe_u32 v17, v16, 16, 1
	v_or_b32_e32 v22, 0x400000, v16
	v_cmp_u_f32_e32 vcc_lo, v16, v16
	v_add3_u32 v17, v17, v16, 0x7fff
	v_cndmask_b32_e32 v16, v17, v22, vcc_lo
	buffer_load_dword v17, off, s[0:3], s32 offset:240 ; 4-byte Folded Reload
	v_and_b32_e32 v12, 0xffff0000, v16
	buffer_load_dword v16, off, s[0:3], s32 offset:436 ; 4-byte Folded Reload
	s_waitcnt vmcnt(1)
	v_lshlrev_b32_e32 v17, 16, v17
	v_mul_f32_e32 v17, v6, v17
	v_bfe_u32 v22, v17, 16, 1
	v_or_b32_e32 v25, 0x400000, v17
	v_cmp_u_f32_e32 vcc_lo, v17, v17
	v_add3_u32 v22, v22, v17, 0x7fff
	v_cndmask_b32_e32 v17, v22, v25, vcc_lo
	buffer_load_dword v22, off, s[0:3], s32 offset:244 ; 4-byte Folded Reload
	v_and_b32_e32 v5, 0xffff0000, v17
	v_add_f32_e32 v5, v5, v12
	v_add_f32_e32 v4, v4, v5
	s_waitcnt vmcnt(0)
	v_lshlrev_b32_e32 v22, 16, v22
	v_mul_f32_e32 v22, v0, v22
	v_bfe_u32 v25, v22, 16, 1
	v_or_b32_e32 v26, 0x400000, v22
	v_cmp_u_f32_e32 vcc_lo, v22, v22
	v_add3_u32 v25, v25, v22, 0x7fff
	v_cndmask_b32_e32 v22, v25, v26, vcc_lo
	buffer_load_dword v25, off, s[0:3], s32 offset:236 ; 4-byte Folded Reload
	v_and_b32_e32 v12, 0xffff0000, v22
	s_waitcnt vmcnt(0)
	v_lshlrev_b32_e32 v25, 16, v25
	v_mul_f32_e32 v25, v2, v25
	v_bfe_u32 v26, v25, 16, 1
	v_or_b32_e32 v27, 0x400000, v25
	v_cmp_u_f32_e32 vcc_lo, v25, v25
	v_add3_u32 v26, v26, v25, 0x7fff
	v_cndmask_b32_e32 v25, v26, v27, vcc_lo
	v_and_b32_e32 v5, 0xffff0000, v25
	v_add_f32_e32 v5, v5, v12
	v_add_f32_e32 v4, v4, v5
	;; [unrolled: 1-line block ×3, first 2 shown]
	v_lshlrev_b32_e32 v4, 16, v112
	v_mul_f32_e32 v4, v9, v4
	v_bfe_u32 v5, v4, 16, 1
	v_or_b32_e32 v9, 0x400000, v4
	v_cmp_u_f32_e32 vcc_lo, v4, v4
	v_add3_u32 v5, v5, v4, 0x7fff
	v_cndmask_b32_e32 v4, v5, v9, vcc_lo
	v_lshlrev_b32_e32 v5, 16, v24
	v_and_b32_e32 v4, 0xffff0000, v4
	v_mul_f32_e32 v5, v8, v5
	v_bfe_u32 v8, v5, 16, 1
	v_or_b32_e32 v9, 0x400000, v5
	v_cmp_u_f32_e32 vcc_lo, v5, v5
	v_add3_u32 v8, v8, v5, 0x7fff
	v_cndmask_b32_e32 v5, v8, v9, vcc_lo
	v_lshlrev_b32_e32 v8, 16, v21
	v_and_b32_e32 v5, 0xffff0000, v5
	v_mul_f32_e32 v7, v7, v8
	v_add_f32_e32 v4, v4, v5
	v_bfe_u32 v8, v7, 16, 1
	v_or_b32_e32 v9, 0x400000, v7
	v_cmp_u_f32_e32 vcc_lo, v7, v7
	v_add3_u32 v8, v8, v7, 0x7fff
	v_cndmask_b32_e32 v7, v8, v9, vcc_lo
	v_lshlrev_b32_e32 v8, 16, v19
	v_and_b32_e32 v5, 0xffff0000, v7
	v_mul_f32_e32 v3, v3, v8
	v_bfe_u32 v8, v3, 16, 1
	v_or_b32_e32 v9, 0x400000, v3
	v_cmp_u_f32_e32 vcc_lo, v3, v3
	v_add3_u32 v8, v8, v3, 0x7fff
	v_cndmask_b32_e32 v3, v8, v9, vcc_lo
	v_lshlrev_b32_e32 v8, 16, v18
	v_and_b32_e32 v3, 0xffff0000, v3
	v_mul_f32_e32 v6, v6, v8
	v_add_f32_e32 v3, v5, v3
	v_bfe_u32 v8, v6, 16, 1
	v_or_b32_e32 v9, 0x400000, v6
	v_cmp_u_f32_e32 vcc_lo, v6, v6
	v_add_f32_e32 v3, v4, v3
	v_add3_u32 v8, v8, v6, 0x7fff
	v_cndmask_b32_e32 v6, v8, v9, vcc_lo
	v_lshlrev_b32_e32 v8, 16, v10
	v_and_b32_e32 v4, 0xffff0000, v6
	v_mul_f32_e32 v1, v1, v8
	v_bfe_u32 v8, v1, 16, 1
	v_or_b32_e32 v9, 0x400000, v1
	v_cmp_u_f32_e32 vcc_lo, v1, v1
	v_add3_u32 v8, v8, v1, 0x7fff
	v_cndmask_b32_e32 v1, v8, v9, vcc_lo
	v_lshlrev_b32_e32 v8, 16, v20
	v_and_b32_e32 v1, 0xffff0000, v1
	v_mul_f32_e32 v2, v2, v8
	v_add_f32_e32 v1, v4, v1
	v_bfe_u32 v8, v2, 16, 1
	v_or_b32_e32 v9, 0x400000, v2
	v_cmp_u_f32_e32 vcc_lo, v2, v2
	v_add_f32_e32 v1, v3, v1
	v_add3_u32 v8, v8, v2, 0x7fff
	v_cndmask_b32_e32 v2, v8, v9, vcc_lo
	v_lshlrev_b32_e32 v8, 16, v23
	v_and_b32_e32 v2, 0xffff0000, v2
	v_mul_f32_e32 v0, v0, v8
	v_bfe_u32 v8, v0, 16, 1
	v_or_b32_e32 v9, 0x400000, v0
	v_cmp_u_f32_e32 vcc_lo, v0, v0
	v_add3_u32 v8, v8, v0, 0x7fff
	v_cndmask_b32_e32 v0, v8, v9, vcc_lo
	v_and_b32_e32 v0, 0xffff0000, v0
	v_add_f32_e32 v0, v2, v0
	v_add_f32_e32 v0, v1, v0
	v_add_f32_e32 v33, v33, v0
.LBB380_1061:                           ;   in Loop: Header=BB380_1062 Depth=1
	s_or_b32 exec_lo, exec_lo, s15
	s_clause 0x1
	buffer_load_dword v0, off, s[0:3], s32 offset:200
	buffer_load_dword v1, off, s[0:3], s32 offset:204
	v_mov_b32_e32 v5, v91
	v_add_co_u32 v14, s4, v14, 16
	v_add_co_ci_u32_e64 v15, null, 0, v15, s4
	v_add_nc_u32_e32 v5, 0x80, v5
	v_add_nc_u32_e32 v96, 0x200, v96
	s_waitcnt vmcnt(0)
	v_mov_b32_e32 v1, v0
	v_add_nc_u32_e32 v1, 4, v1
	v_mov_b32_e32 v0, v1
	buffer_store_dword v0, off, s[0:3], s32 offset:200 ; 4-byte Folded Spill
	buffer_store_dword v1, off, s[0:3], s32 offset:204 ; 4-byte Folded Spill
	buffer_load_dword v0, off, s[0:3], s32 offset:224 ; 4-byte Folded Reload
	s_waitcnt vmcnt(0)
	v_cmp_ge_i32_e32 vcc_lo, v1, v0
	s_or_b32 s11, vcc_lo, s11
	s_andn2_b32 exec_lo, exec_lo, s11
	s_cbranch_execz .LBB380_2119
.LBB380_1062:                           ; =>This Inner Loop Header: Depth=1
	s_clause 0x1
	buffer_load_dword v1, off, s[0:3], s32 offset:228
	buffer_load_dword v4, off, s[0:3], s32 offset:208
	s_waitcnt vmcnt(2)
	v_sub_nc_u32_e32 v0, 0, v5
	v_mov_b32_e32 v91, v5
	v_max_i32_e32 v0, v5, v0
	s_waitcnt vmcnt(1)
	v_mul_hi_u32 v1, v0, v1
	s_waitcnt vmcnt(0)
	v_mul_lo_u32 v2, v1, v4
	v_sub_nc_u32_e32 v0, v0, v2
	v_add_nc_u32_e32 v2, 1, v1
	v_cmp_ge_u32_e32 vcc_lo, v0, v4
	v_sub_nc_u32_e32 v3, v0, v4
	v_cndmask_b32_e32 v1, v1, v2, vcc_lo
	v_ashrrev_i32_e32 v2, 31, v5
	buffer_load_dword v5, off, s[0:3], s32 offset:220 ; 4-byte Folded Reload
	v_cndmask_b32_e32 v0, v0, v3, vcc_lo
	v_add_nc_u32_e32 v3, 1, v1
	v_cmp_ge_u32_e32 vcc_lo, v0, v4
	v_cndmask_b32_e32 v0, v1, v3, vcc_lo
	s_waitcnt vmcnt(0)
	v_xor_b32_e32 v2, v2, v5
	v_xor_b32_e32 v0, v0, v2
	v_sub_nc_u32_e32 v0, v0, v2
	s_clause 0x2
	buffer_load_dword v1, off, s[0:3], s32 offset:212
	buffer_load_dword v2, off, s[0:3], s32 offset:216
	buffer_load_dword v3, off, s[0:3], s32 offset:376
	s_waitcnt vmcnt(2)
	v_add_nc_u32_e32 v1, v0, v1
	s_waitcnt vmcnt(1)
	v_sub_nc_u32_e32 v2, 0, v1
	v_max_i32_e32 v2, v1, v2
	v_ashrrev_i32_e32 v1, 31, v1
	s_waitcnt vmcnt(0)
	v_mul_hi_u32 v3, v2, v3
	v_mul_lo_u32 v3, v3, v30
	v_sub_nc_u32_e32 v2, v2, v3
	v_sub_nc_u32_e32 v3, v2, v30
	v_cmp_ge_u32_e32 vcc_lo, v2, v30
	v_cndmask_b32_e32 v2, v2, v3, vcc_lo
	v_sub_nc_u32_e32 v3, v2, v30
	v_cmp_ge_u32_e32 vcc_lo, v2, v30
	v_cndmask_b32_e32 v2, v2, v3, vcc_lo
	v_xor_b32_e32 v2, v2, v1
	v_sub_nc_u32_e32 v1, v2, v1
	v_cmp_eq_u32_e32 vcc_lo, 0, v1
	buffer_load_dword v1, off, s[0:3], s32 offset:232 ; 4-byte Folded Reload
	s_waitcnt vmcnt(0)
	v_cmp_gt_i32_e64 s4, v0, v1
	s_or_b32 s4, vcc_lo, s4
	s_and_saveexec_b32 s15, s4
	s_cbranch_execz .LBB380_1061
; %bb.1063:                             ;   in Loop: Header=BB380_1062 Depth=1
	buffer_store_dword v49, off, s[0:3], s32 offset:440 ; 4-byte Folded Spill
	buffer_store_dword v16, off, s[0:3], s32 offset:436 ; 4-byte Folded Spill
	;; [unrolled: 1-line block ×16, first 2 shown]
	flat_load_dword v0, v[14:15]
	s_clause 0x2
	buffer_load_dword v1, off, s[0:3], s32 offset:372
	buffer_load_dword v2, off, s[0:3], s32 offset:468
	;; [unrolled: 1-line block ×3, first 2 shown]
	v_mov_b32_e32 v5, 0
	v_mov_b32_e32 v4, 0
	s_waitcnt vmcnt(0) lgkmcnt(0)
	v_mad_i64_i32 v[18:19], null, v0, v1, v[2:3]
	flat_load_dwordx2 v[20:21], v[18:19]
	s_clause 0x1
	buffer_load_dword v0, off, s[0:3], s32 offset:452
	buffer_load_dword v1, off, s[0:3], s32 offset:456
	s_waitcnt vmcnt(2) lgkmcnt(0)
	v_cmp_ne_u16_sdwa s16, v20, v11 src0_sel:BYTE_0 src1_sel:DWORD
	s_waitcnt vmcnt(0)
	flat_load_dword v58, v[0:1]
	ds_read2_b64 v[6:9], v96 offset1:1
	ds_read2_b64 v[0:3], v96 offset0:2 offset1:3
	s_and_saveexec_b32 s4, s16
	s_cbranch_execz .LBB380_1071
; %bb.1064:                             ;   in Loop: Header=BB380_1062 Depth=1
	v_cmp_ne_u16_sdwa s17, v20, v82 src0_sel:BYTE_0 src1_sel:DWORD
	v_bfrev_b32_e32 v4, 1
	s_and_saveexec_b32 s16, s17
	s_cbranch_execz .LBB380_1070
; %bb.1065:                             ;   in Loop: Header=BB380_1062 Depth=1
	v_and_b32_e32 v10, 0x7f, v20
	v_mov_b32_e32 v4, 0x7f800001
	s_mov_b32 s17, exec_lo
	v_cmpx_ne_u32_e32 0x7f, v10
	s_cbranch_execz .LBB380_1069
; %bb.1066:                             ;   in Loop: Header=BB380_1062 Depth=1
	v_mov_b32_e32 v24, v21
	v_lshrrev_b32_e32 v4, 3, v10
	v_mov_b32_e32 v23, v20
	s_mov_b32 s18, exec_lo
	v_cmpx_gt_u32_e32 8, v10
; %bb.1067:                             ;   in Loop: Header=BB380_1062 Depth=1
	v_and_b32_e32 v4, 7, v20
	v_ffbh_u32_e32 v4, v4
	v_min_u32_e32 v4, 32, v4
	v_subrev_nc_u32_e32 v10, 28, v4
	v_sub_nc_u32_e32 v4, 29, v4
	v_lshlrev_b64 v[23:24], v10, v[20:21]
; %bb.1068:                             ;   in Loop: Header=BB380_1062 Depth=1
	s_or_b32 exec_lo, exec_lo, s18
	v_lshlrev_b32_e32 v10, 20, v23
	v_lshlrev_b32_e32 v12, 24, v20
	v_lshl_add_u32 v4, v4, 23, 0x3c000000
	v_and_b32_e32 v10, 0x700000, v10
	v_and_b32_e32 v12, 0x80000000, v12
	v_or3_b32 v4, v10, v12, v4
.LBB380_1069:                           ;   in Loop: Header=BB380_1062 Depth=1
	s_or_b32 exec_lo, exec_lo, s17
.LBB380_1070:                           ;   in Loop: Header=BB380_1062 Depth=1
	s_or_b32 exec_lo, exec_lo, s16
.LBB380_1071:                           ;   in Loop: Header=BB380_1062 Depth=1
	s_or_b32 exec_lo, exec_lo, s4
	v_cmp_ne_u16_sdwa s16, v20, v11 src0_sel:BYTE_1 src1_sel:DWORD
	s_and_saveexec_b32 s4, s16
	s_cbranch_execz .LBB380_1079
; %bb.1072:                             ;   in Loop: Header=BB380_1062 Depth=1
	v_cmp_ne_u16_sdwa s17, v20, v82 src0_sel:BYTE_1 src1_sel:DWORD
	v_bfrev_b32_e32 v5, 1
	s_and_saveexec_b32 s16, s17
	s_cbranch_execz .LBB380_1078
; %bb.1073:                             ;   in Loop: Header=BB380_1062 Depth=1
	v_mov_b32_e32 v5, 0xffff
	s_mov_b32 s17, exec_lo
	v_and_b32_sdwa v10, v5, v20 dst_sel:DWORD dst_unused:UNUSED_PAD src0_sel:DWORD src1_sel:BYTE_1
	v_mov_b32_e32 v5, 0x7f800001
	v_and_b32_e32 v12, 0x7f, v10
	v_cmpx_ne_u32_e32 0x7f, v12
	s_cbranch_execz .LBB380_1077
; %bb.1074:                             ;   in Loop: Header=BB380_1062 Depth=1
	v_and_b32_e32 v10, 7, v10
	v_mov_b32_e32 v24, v11
	v_lshrrev_b32_e32 v5, 3, v12
	s_mov_b32 s18, exec_lo
	v_mov_b32_e32 v23, v10
	v_cmpx_gt_u32_e32 8, v12
; %bb.1075:                             ;   in Loop: Header=BB380_1062 Depth=1
	v_ffbh_u32_e32 v5, v10
	v_min_u32_e32 v5, 32, v5
	v_subrev_nc_u32_e32 v12, 28, v5
	v_sub_nc_u32_e32 v5, 29, v5
	v_lshlrev_b64 v[12:13], v12, v[10:11]
	v_and_b32_e32 v23, 7, v12
; %bb.1076:                             ;   in Loop: Header=BB380_1062 Depth=1
	s_or_b32 exec_lo, exec_lo, s18
	v_lshlrev_b32_e32 v10, 16, v20
	v_lshlrev_b32_e32 v12, 20, v23
	v_lshl_add_u32 v5, v5, 23, 0x3c000000
	v_and_b32_e32 v10, 0x80000000, v10
	v_or3_b32 v5, v12, v10, v5
.LBB380_1077:                           ;   in Loop: Header=BB380_1062 Depth=1
	s_or_b32 exec_lo, exec_lo, s17
.LBB380_1078:                           ;   in Loop: Header=BB380_1062 Depth=1
	s_or_b32 exec_lo, exec_lo, s16
.LBB380_1079:                           ;   in Loop: Header=BB380_1062 Depth=1
	s_or_b32 exec_lo, exec_lo, s4
	v_and_b32_sdwa v10, v20, v84 dst_sel:DWORD dst_unused:UNUSED_PAD src0_sel:WORD_1 src1_sel:DWORD
	v_mov_b32_e32 v13, 0
	v_mov_b32_e32 v12, 0
	s_mov_b32 s4, exec_lo
	v_cmpx_ne_u16_e32 0, v10
	s_cbranch_execz .LBB380_1087
; %bb.1080:                             ;   in Loop: Header=BB380_1062 Depth=1
	v_bfrev_b32_e32 v12, 1
	s_mov_b32 s16, exec_lo
	v_cmpx_ne_u16_e32 0x80, v10
	s_cbranch_execz .LBB380_1086
; %bb.1081:                             ;   in Loop: Header=BB380_1062 Depth=1
	v_bfe_u32 v16, v20, 16, 7
	v_mov_b32_e32 v12, 0x7f800001
	s_mov_b32 s17, exec_lo
	v_cmpx_ne_u32_e32 0x7f, v16
	s_cbranch_execz .LBB380_1085
; %bb.1082:                             ;   in Loop: Header=BB380_1062 Depth=1
	v_mov_b32_e32 v10, 7
	v_lshrrev_b32_e32 v12, 3, v16
	s_mov_b32 s18, exec_lo
	v_and_b32_sdwa v10, v20, v10 dst_sel:DWORD dst_unused:UNUSED_PAD src0_sel:WORD_1 src1_sel:DWORD
	v_mov_b32_e32 v24, v11
	v_mov_b32_e32 v23, v10
	v_cmpx_gt_u32_e32 8, v16
; %bb.1083:                             ;   in Loop: Header=BB380_1062 Depth=1
	v_ffbh_u32_e32 v12, v10
	v_min_u32_e32 v12, 32, v12
	v_subrev_nc_u32_e32 v16, 28, v12
	v_sub_nc_u32_e32 v12, 29, v12
	v_lshlrev_b64 v[16:17], v16, v[10:11]
	v_and_b32_e32 v23, 7, v16
; %bb.1084:                             ;   in Loop: Header=BB380_1062 Depth=1
	s_or_b32 exec_lo, exec_lo, s18
	v_mov_b32_e32 v10, 24
	v_lshlrev_b32_e32 v16, 20, v23
	v_lshl_add_u32 v12, v12, 23, 0x3c000000
	v_lshlrev_b32_sdwa v10, v10, v20 dst_sel:DWORD dst_unused:UNUSED_PAD src0_sel:DWORD src1_sel:WORD_1
	v_and_b32_e32 v10, 0x80000000, v10
	v_or3_b32 v12, v16, v10, v12
.LBB380_1085:                           ;   in Loop: Header=BB380_1062 Depth=1
	s_or_b32 exec_lo, exec_lo, s17
.LBB380_1086:                           ;   in Loop: Header=BB380_1062 Depth=1
	s_or_b32 exec_lo, exec_lo, s16
.LBB380_1087:                           ;   in Loop: Header=BB380_1062 Depth=1
	s_or_b32 exec_lo, exec_lo, s4
	s_mov_b32 s4, exec_lo
	v_cmpx_lt_u32_e32 0xffffff, v20
	s_cbranch_execz .LBB380_1095
; %bb.1088:                             ;   in Loop: Header=BB380_1062 Depth=1
	v_cmp_ne_u32_sdwa s17, v20, v82 src0_sel:BYTE_3 src1_sel:DWORD
	v_bfrev_b32_e32 v13, 1
	s_and_saveexec_b32 s16, s17
	s_cbranch_execz .LBB380_1094
; %bb.1089:                             ;   in Loop: Header=BB380_1062 Depth=1
	v_bfe_u32 v16, v20, 24, 7
	v_mov_b32_e32 v13, 0x7f800001
	s_mov_b32 s17, exec_lo
	v_cmpx_ne_u32_e32 0x7f, v16
	s_cbranch_execz .LBB380_1093
; %bb.1090:                             ;   in Loop: Header=BB380_1062 Depth=1
	v_mov_b32_e32 v10, 7
	v_lshrrev_b32_e32 v13, 3, v16
	s_mov_b32 s18, exec_lo
	v_and_b32_sdwa v10, v20, v10 dst_sel:DWORD dst_unused:UNUSED_PAD src0_sel:BYTE_3 src1_sel:DWORD
	v_mov_b32_e32 v24, v11
	v_mov_b32_e32 v23, v10
	v_cmpx_gt_u32_e32 8, v16
; %bb.1091:                             ;   in Loop: Header=BB380_1062 Depth=1
	v_ffbh_u32_e32 v13, v10
	v_min_u32_e32 v13, 32, v13
	v_subrev_nc_u32_e32 v16, 28, v13
	v_sub_nc_u32_e32 v13, 29, v13
	v_lshlrev_b64 v[16:17], v16, v[10:11]
	v_and_b32_e32 v23, 7, v16
; %bb.1092:                             ;   in Loop: Header=BB380_1062 Depth=1
	s_or_b32 exec_lo, exec_lo, s18
	v_mov_b32_e32 v10, 24
	v_lshlrev_b32_e32 v16, 20, v23
	v_lshl_add_u32 v13, v13, 23, 0x3c000000
	v_lshlrev_b32_sdwa v10, v10, v20 dst_sel:DWORD dst_unused:UNUSED_PAD src0_sel:DWORD src1_sel:BYTE_3
	v_and_b32_e32 v10, 0x80000000, v10
	v_or3_b32 v13, v16, v10, v13
.LBB380_1093:                           ;   in Loop: Header=BB380_1062 Depth=1
	s_or_b32 exec_lo, exec_lo, s17
.LBB380_1094:                           ;   in Loop: Header=BB380_1062 Depth=1
	s_or_b32 exec_lo, exec_lo, s16
.LBB380_1095:                           ;   in Loop: Header=BB380_1062 Depth=1
	s_or_b32 exec_lo, exec_lo, s4
	v_mov_b32_e32 v10, v21
	v_cmp_ne_u16_sdwa s16, v21, v11 src0_sel:BYTE_0 src1_sel:DWORD
	v_mov_b32_e32 v17, 0
	v_mov_b32_e32 v16, 0
	s_and_saveexec_b32 s4, s16
	s_cbranch_execz .LBB380_1103
; %bb.1096:                             ;   in Loop: Header=BB380_1062 Depth=1
	v_cmp_ne_u16_sdwa s17, v21, v82 src0_sel:BYTE_0 src1_sel:DWORD
	v_bfrev_b32_e32 v16, 1
	s_and_saveexec_b32 s16, s17
	s_cbranch_execz .LBB380_1102
; %bb.1097:                             ;   in Loop: Header=BB380_1062 Depth=1
	v_and_b32_e32 v22, 0x7f, v21
	v_mov_b32_e32 v16, 0x7f800001
	s_mov_b32 s17, exec_lo
	v_cmpx_ne_u32_e32 0x7f, v22
	s_cbranch_execz .LBB380_1101
; %bb.1098:                             ;   in Loop: Header=BB380_1062 Depth=1
	v_mov_b32_e32 v24, v11
	v_lshrrev_b32_e32 v16, 3, v22
	v_mov_b32_e32 v23, v10
	s_mov_b32 s18, exec_lo
	v_cmpx_gt_u32_e32 8, v22
; %bb.1099:                             ;   in Loop: Header=BB380_1062 Depth=1
	v_and_b32_e32 v16, 7, v21
	v_ffbh_u32_e32 v16, v16
	v_min_u32_e32 v16, 32, v16
	v_subrev_nc_u32_e32 v22, 28, v16
	v_sub_nc_u32_e32 v16, 29, v16
	v_lshlrev_b64 v[23:24], v22, v[10:11]
; %bb.1100:                             ;   in Loop: Header=BB380_1062 Depth=1
	s_or_b32 exec_lo, exec_lo, s18
	v_lshlrev_b32_e32 v22, 20, v23
	v_lshlrev_b32_e32 v23, 24, v10
	v_lshl_add_u32 v16, v16, 23, 0x3c000000
	v_and_b32_e32 v22, 0x700000, v22
	v_and_b32_e32 v23, 0x80000000, v23
	v_or3_b32 v16, v22, v23, v16
.LBB380_1101:                           ;   in Loop: Header=BB380_1062 Depth=1
	s_or_b32 exec_lo, exec_lo, s17
.LBB380_1102:                           ;   in Loop: Header=BB380_1062 Depth=1
	s_or_b32 exec_lo, exec_lo, s16
.LBB380_1103:                           ;   in Loop: Header=BB380_1062 Depth=1
	s_or_b32 exec_lo, exec_lo, s4
	v_cmp_ne_u16_sdwa s16, v10, v11 src0_sel:BYTE_1 src1_sel:DWORD
	s_and_saveexec_b32 s4, s16
	s_cbranch_execz .LBB380_1111
; %bb.1104:                             ;   in Loop: Header=BB380_1062 Depth=1
	v_cmp_ne_u16_sdwa s17, v10, v82 src0_sel:BYTE_1 src1_sel:DWORD
	v_bfrev_b32_e32 v17, 1
	s_and_saveexec_b32 s16, s17
	s_cbranch_execz .LBB380_1110
; %bb.1105:                             ;   in Loop: Header=BB380_1062 Depth=1
	v_mov_b32_e32 v17, 0xffff
	s_mov_b32 s17, exec_lo
	v_and_b32_sdwa v23, v17, v10 dst_sel:DWORD dst_unused:UNUSED_PAD src0_sel:DWORD src1_sel:BYTE_1
	v_mov_b32_e32 v17, 0x7f800001
	v_and_b32_e32 v22, 0x7f, v23
	v_cmpx_ne_u32_e32 0x7f, v22
	s_cbranch_execz .LBB380_1109
; %bb.1106:                             ;   in Loop: Header=BB380_1062 Depth=1
	v_and_b32_e32 v23, 7, v23
	v_mov_b32_e32 v24, v11
	v_lshrrev_b32_e32 v17, 3, v22
	s_mov_b32 s18, exec_lo
	v_cmpx_gt_u32_e32 8, v22
; %bb.1107:                             ;   in Loop: Header=BB380_1062 Depth=1
	v_ffbh_u32_e32 v17, v23
	v_min_u32_e32 v17, 32, v17
	v_subrev_nc_u32_e32 v22, 28, v17
	v_sub_nc_u32_e32 v17, 29, v17
	v_lshlrev_b64 v[22:23], v22, v[23:24]
	v_and_b32_e32 v23, 7, v22
; %bb.1108:                             ;   in Loop: Header=BB380_1062 Depth=1
	s_or_b32 exec_lo, exec_lo, s18
	v_lshlrev_b32_e32 v10, 16, v10
	v_lshlrev_b32_e32 v22, 20, v23
	v_lshl_add_u32 v17, v17, 23, 0x3c000000
	v_and_b32_e32 v10, 0x80000000, v10
	v_or3_b32 v17, v22, v10, v17
.LBB380_1109:                           ;   in Loop: Header=BB380_1062 Depth=1
	s_or_b32 exec_lo, exec_lo, s17
.LBB380_1110:                           ;   in Loop: Header=BB380_1062 Depth=1
	s_or_b32 exec_lo, exec_lo, s16
.LBB380_1111:                           ;   in Loop: Header=BB380_1062 Depth=1
	s_or_b32 exec_lo, exec_lo, s4
	v_and_b32_sdwa v10, v21, v84 dst_sel:DWORD dst_unused:UNUSED_PAD src0_sel:WORD_1 src1_sel:DWORD
	v_mov_b32_e32 v22, 0
	v_mov_b32_e32 v25, 0
	s_mov_b32 s4, exec_lo
	v_cmpx_ne_u16_e32 0, v10
	s_cbranch_execz .LBB380_1119
; %bb.1112:                             ;   in Loop: Header=BB380_1062 Depth=1
	v_bfrev_b32_e32 v25, 1
	s_mov_b32 s16, exec_lo
	v_cmpx_ne_u16_e32 0x80, v10
	s_cbranch_execz .LBB380_1118
; %bb.1113:                             ;   in Loop: Header=BB380_1062 Depth=1
	v_bfe_u32 v23, v21, 16, 7
	v_mov_b32_e32 v25, 0x7f800001
	s_mov_b32 s17, exec_lo
	v_cmpx_ne_u32_e32 0x7f, v23
	s_cbranch_execz .LBB380_1117
; %bb.1114:                             ;   in Loop: Header=BB380_1062 Depth=1
	v_mov_b32_e32 v10, 7
	v_lshrrev_b32_e32 v25, 3, v23
	v_cmp_gt_u32_e32 vcc_lo, 8, v23
	v_and_b32_sdwa v10, v21, v10 dst_sel:DWORD dst_unused:UNUSED_PAD src0_sel:WORD_1 src1_sel:DWORD
	v_mov_b32_e32 v24, v11
	v_mov_b32_e32 v23, v10
	s_and_saveexec_b32 s18, vcc_lo
; %bb.1115:                             ;   in Loop: Header=BB380_1062 Depth=1
	v_ffbh_u32_e32 v23, v10
	v_min_u32_e32 v25, 32, v23
	v_subrev_nc_u32_e32 v23, 28, v25
	v_sub_nc_u32_e32 v25, 29, v25
	v_lshlrev_b64 v[23:24], v23, v[10:11]
	v_and_b32_e32 v23, 7, v23
; %bb.1116:                             ;   in Loop: Header=BB380_1062 Depth=1
	s_or_b32 exec_lo, exec_lo, s18
	v_mov_b32_e32 v10, 24
	v_lshlrev_b32_e32 v23, 20, v23
	v_lshl_add_u32 v24, v25, 23, 0x3c000000
	v_lshlrev_b32_sdwa v10, v10, v21 dst_sel:DWORD dst_unused:UNUSED_PAD src0_sel:DWORD src1_sel:WORD_1
	v_and_b32_e32 v10, 0x80000000, v10
	v_or3_b32 v25, v23, v10, v24
.LBB380_1117:                           ;   in Loop: Header=BB380_1062 Depth=1
	s_or_b32 exec_lo, exec_lo, s17
.LBB380_1118:                           ;   in Loop: Header=BB380_1062 Depth=1
	s_or_b32 exec_lo, exec_lo, s16
.LBB380_1119:                           ;   in Loop: Header=BB380_1062 Depth=1
	s_or_b32 exec_lo, exec_lo, s4
	s_mov_b32 s4, exec_lo
	v_cmpx_lt_u64_e64 s[12:13], v[20:21]
	s_cbranch_execz .LBB380_1127
; %bb.1120:                             ;   in Loop: Header=BB380_1062 Depth=1
	v_cmp_ne_u32_sdwa s17, v21, v82 src0_sel:BYTE_3 src1_sel:DWORD
	v_bfrev_b32_e32 v22, 1
	s_and_saveexec_b32 s16, s17
	s_cbranch_execz .LBB380_1126
; %bb.1121:                             ;   in Loop: Header=BB380_1062 Depth=1
	v_bfe_u32 v23, v21, 24, 7
	v_mov_b32_e32 v22, 0x7f800001
	s_mov_b32 s17, exec_lo
	v_cmpx_ne_u32_e32 0x7f, v23
	s_cbranch_execz .LBB380_1125
; %bb.1122:                             ;   in Loop: Header=BB380_1062 Depth=1
	v_mov_b32_e32 v10, 7
	v_lshrrev_b32_e32 v20, 3, v23
	v_cmp_gt_u32_e32 vcc_lo, 8, v23
	v_and_b32_sdwa v10, v21, v10 dst_sel:DWORD dst_unused:UNUSED_PAD src0_sel:BYTE_3 src1_sel:DWORD
	v_mov_b32_e32 v24, v11
	v_mov_b32_e32 v23, v10
	s_and_saveexec_b32 s18, vcc_lo
; %bb.1123:                             ;   in Loop: Header=BB380_1062 Depth=1
	v_ffbh_u32_e32 v20, v10
	v_min_u32_e32 v20, 32, v20
	v_subrev_nc_u32_e32 v22, 28, v20
	v_sub_nc_u32_e32 v20, 29, v20
	v_lshlrev_b64 v[22:23], v22, v[10:11]
	v_and_b32_e32 v23, 7, v22
; %bb.1124:                             ;   in Loop: Header=BB380_1062 Depth=1
	s_or_b32 exec_lo, exec_lo, s18
	v_mov_b32_e32 v10, 24
	v_lshl_add_u32 v20, v20, 23, 0x3c000000
	v_lshlrev_b32_sdwa v10, v10, v21 dst_sel:DWORD dst_unused:UNUSED_PAD src0_sel:DWORD src1_sel:BYTE_3
	v_lshlrev_b32_e32 v21, 20, v23
	v_and_b32_e32 v10, 0x80000000, v10
	v_or3_b32 v22, v21, v10, v20
.LBB380_1125:                           ;   in Loop: Header=BB380_1062 Depth=1
	s_or_b32 exec_lo, exec_lo, s17
.LBB380_1126:                           ;   in Loop: Header=BB380_1062 Depth=1
	s_or_b32 exec_lo, exec_lo, s16
.LBB380_1127:                           ;   in Loop: Header=BB380_1062 Depth=1
	s_or_b32 exec_lo, exec_lo, s4
	s_waitcnt vmcnt(0) lgkmcnt(2)
	v_mul_f32_e32 v10, v58, v17
	buffer_load_dword v17, off, s[0:3], s32 offset:464 ; 4-byte Folded Reload
	v_mul_f32_e32 v16, v58, v16
	v_mul_f32_e32 v13, v58, v13
	;; [unrolled: 1-line block ×3, first 2 shown]
	v_cmp_u_f32_e64 s4, v10, v10
	v_mul_f32_e32 v5, v58, v5
	v_or_b32_e32 v23, 0x400000, v16
	v_bfe_u32 v24, v13, 16, 1
	v_or_b32_e32 v26, 0x400000, v13
	v_mul_f32_e32 v4, v58, v4
	s_waitcnt vmcnt(0)
	v_add_nc_u32_e32 v75, v17, v91
	s_clause 0x2
	buffer_load_dword v20, off, s[0:3], s32 offset:200
	buffer_load_dword v21, off, s[0:3], s32 offset:204
	buffer_load_dword v17, off, s[0:3], s32 offset:460
	s_waitcnt vmcnt(1)
	v_bfe_u32 v21, v16, 16, 1
	v_add_nc_u32_e32 v90, 1, v75
	v_add_nc_u32_e32 v89, 2, v75
	v_add3_u32 v21, v21, v16, 0x7fff
	v_add_nc_u32_e32 v88, 3, v75
	v_add_nc_u32_e32 v79, 4, v75
	;; [unrolled: 1-line block ×5, first 2 shown]
	s_waitcnt vmcnt(0)
	v_cmp_eq_u32_e32 vcc_lo, v17, v20
	v_bfe_u32 v17, v10, 16, 1
	v_or_b32_e32 v20, 0x400000, v10
	v_add3_u32 v17, v17, v10, 0x7fff
	v_cndmask_b32_e64 v10, v17, v20, s4
	v_cmp_u_f32_e64 s4, v16, v16
	v_add3_u32 v20, v24, v13, 0x7fff
	v_bfe_u32 v17, v12, 16, 1
	v_lshrrev_b32_e32 v10, 16, v10
	v_cndmask_b32_e64 v16, v21, v23, s4
	v_cmp_u_f32_e64 s4, v13, v13
	v_add3_u32 v13, v17, v12, 0x7fff
	v_or_b32_e32 v17, 0x400000, v12
	buffer_store_dword v10, off, s[0:3], s32 offset:248 ; 4-byte Folded Spill
	v_lshrrev_b32_e32 v16, 16, v16
	v_cndmask_b32_e64 v10, v20, v26, s4
	v_cmp_u_f32_e64 s4, v12, v12
	v_bfe_u32 v20, v4, 16, 1
	buffer_store_dword v16, off, s[0:3], s32 offset:240 ; 4-byte Folded Spill
	v_lshrrev_b32_e32 v10, 16, v10
	v_cndmask_b32_e64 v12, v13, v17, s4
	v_mul_f32_e32 v13, v58, v25
	v_or_b32_e32 v16, 0x400000, v5
	v_cmp_u_f32_e64 s4, v5, v5
	buffer_store_dword v10, off, s[0:3], s32 offset:252 ; 4-byte Folded Spill
	v_bfe_u32 v10, v5, 16, 1
	v_mul_f32_e32 v17, v58, v22
	v_bfe_u32 v21, v13, 16, 1
	v_or_b32_e32 v22, 0x400000, v13
	v_lshrrev_b32_e32 v12, 16, v12
	v_add3_u32 v10, v10, v5, 0x7fff
	v_or_b32_e32 v23, 0x400000, v17
	v_add3_u32 v21, v21, v13, 0x7fff
	buffer_store_dword v12, off, s[0:3], s32 offset:256 ; 4-byte Folded Spill
	v_cndmask_b32_e64 v5, v10, v16, s4
	v_add3_u32 v16, v20, v4, 0x7fff
	v_or_b32_e32 v20, 0x400000, v4
	v_cmp_u_f32_e64 s4, v4, v4
	v_bfe_u32 v10, v17, 16, 1
	v_lshrrev_b32_e32 v5, 16, v5
	v_cndmask_b32_e64 v4, v16, v20, s4
	v_cmp_u_f32_e64 s4, v13, v13
	v_add3_u32 v10, v10, v17, 0x7fff
	buffer_store_dword v5, off, s[0:3], s32 offset:264 ; 4-byte Folded Spill
	v_lshrrev_b32_e32 v4, 16, v4
	v_cndmask_b32_e64 v13, v21, v22, s4
	v_cmp_u_f32_e64 s4, v17, v17
	buffer_store_dword v4, off, s[0:3], s32 offset:260 ; 4-byte Folded Spill
	v_lshrrev_b32_e32 v4, 16, v13
	v_cndmask_b32_e64 v10, v10, v23, s4
	buffer_store_dword v4, off, s[0:3], s32 offset:236 ; 4-byte Folded Spill
	v_lshrrev_b32_e32 v4, 16, v10
	buffer_store_dword v4, off, s[0:3], s32 offset:244 ; 4-byte Folded Spill
	s_and_saveexec_b32 s16, vcc_lo
	s_cbranch_execz .LBB380_1129
; %bb.1128:                             ;   in Loop: Header=BB380_1062 Depth=1
	buffer_load_dword v4, off, s[0:3], s32 offset:260 ; 4-byte Folded Reload
	v_cmp_lt_i32_e64 s4, v75, v38
	s_waitcnt vmcnt(0)
	v_cndmask_b32_e64 v4, 0, v4, s4
	v_cmp_lt_i32_e64 s4, v90, v38
	buffer_store_dword v4, off, s[0:3], s32 offset:260 ; 4-byte Folded Spill
	buffer_load_dword v4, off, s[0:3], s32 offset:264 ; 4-byte Folded Reload
	s_waitcnt vmcnt(0)
	v_cndmask_b32_e64 v4, 0, v4, s4
	v_cmp_lt_i32_e64 s4, v89, v38
	buffer_store_dword v4, off, s[0:3], s32 offset:264 ; 4-byte Folded Spill
	buffer_load_dword v4, off, s[0:3], s32 offset:256 ; 4-byte Folded Reload
	;; [unrolled: 5-line block ×7, first 2 shown]
	s_waitcnt vmcnt(0)
	v_cndmask_b32_e64 v4, 0, v4, s4
	buffer_store_dword v4, off, s[0:3], s32 offset:244 ; 4-byte Folded Spill
.LBB380_1129:                           ;   in Loop: Header=BB380_1062 Depth=1
	s_or_b32 exec_lo, exec_lo, s16
	flat_load_dwordx2 v[20:21], v[18:19] offset:256
	v_mov_b32_e32 v5, 0
	v_mov_b32_e32 v4, 0
	s_waitcnt vmcnt(0) lgkmcnt(0)
	v_cmp_ne_u16_sdwa s4, v20, v11 src0_sel:BYTE_0 src1_sel:DWORD
	s_and_saveexec_b32 s16, s4
	s_cbranch_execz .LBB380_1137
; %bb.1130:                             ;   in Loop: Header=BB380_1062 Depth=1
	v_cmp_ne_u16_sdwa s4, v20, v82 src0_sel:BYTE_0 src1_sel:DWORD
	v_bfrev_b32_e32 v4, 1
	s_and_saveexec_b32 s17, s4
	s_cbranch_execz .LBB380_1136
; %bb.1131:                             ;   in Loop: Header=BB380_1062 Depth=1
	v_and_b32_e32 v10, 0x7f, v20
	v_mov_b32_e32 v4, 0x7f800001
	s_mov_b32 s18, exec_lo
	v_cmpx_ne_u32_e32 0x7f, v10
	s_cbranch_execz .LBB380_1135
; %bb.1132:                             ;   in Loop: Header=BB380_1062 Depth=1
	v_mov_b32_e32 v24, v21
	v_lshrrev_b32_e32 v4, 3, v10
	v_mov_b32_e32 v23, v20
	s_mov_b32 s20, exec_lo
	v_cmpx_gt_u32_e32 8, v10
; %bb.1133:                             ;   in Loop: Header=BB380_1062 Depth=1
	v_and_b32_e32 v4, 7, v20
	v_ffbh_u32_e32 v4, v4
	v_min_u32_e32 v4, 32, v4
	v_subrev_nc_u32_e32 v10, 28, v4
	v_sub_nc_u32_e32 v4, 29, v4
	v_lshlrev_b64 v[23:24], v10, v[20:21]
; %bb.1134:                             ;   in Loop: Header=BB380_1062 Depth=1
	s_or_b32 exec_lo, exec_lo, s20
	v_lshlrev_b32_e32 v10, 20, v23
	v_lshlrev_b32_e32 v12, 24, v20
	v_lshl_add_u32 v4, v4, 23, 0x3c000000
	v_and_b32_e32 v10, 0x700000, v10
	v_and_b32_e32 v12, 0x80000000, v12
	v_or3_b32 v4, v10, v12, v4
.LBB380_1135:                           ;   in Loop: Header=BB380_1062 Depth=1
	s_or_b32 exec_lo, exec_lo, s18
.LBB380_1136:                           ;   in Loop: Header=BB380_1062 Depth=1
	s_or_b32 exec_lo, exec_lo, s17
.LBB380_1137:                           ;   in Loop: Header=BB380_1062 Depth=1
	s_or_b32 exec_lo, exec_lo, s16
	v_cmp_ne_u16_sdwa s4, v20, v11 src0_sel:BYTE_1 src1_sel:DWORD
	s_and_saveexec_b32 s16, s4
	s_cbranch_execz .LBB380_1145
; %bb.1138:                             ;   in Loop: Header=BB380_1062 Depth=1
	v_cmp_ne_u16_sdwa s4, v20, v82 src0_sel:BYTE_1 src1_sel:DWORD
	v_bfrev_b32_e32 v5, 1
	s_and_saveexec_b32 s17, s4
	s_cbranch_execz .LBB380_1144
; %bb.1139:                             ;   in Loop: Header=BB380_1062 Depth=1
	v_mov_b32_e32 v5, 0xffff
	s_mov_b32 s18, exec_lo
	v_and_b32_sdwa v10, v5, v20 dst_sel:DWORD dst_unused:UNUSED_PAD src0_sel:DWORD src1_sel:BYTE_1
	v_mov_b32_e32 v5, 0x7f800001
	v_and_b32_e32 v12, 0x7f, v10
	v_cmpx_ne_u32_e32 0x7f, v12
	s_cbranch_execz .LBB380_1143
; %bb.1140:                             ;   in Loop: Header=BB380_1062 Depth=1
	v_and_b32_e32 v10, 7, v10
	v_mov_b32_e32 v24, v11
	v_lshrrev_b32_e32 v5, 3, v12
	s_mov_b32 s20, exec_lo
	v_mov_b32_e32 v23, v10
	v_cmpx_gt_u32_e32 8, v12
; %bb.1141:                             ;   in Loop: Header=BB380_1062 Depth=1
	v_ffbh_u32_e32 v5, v10
	v_min_u32_e32 v5, 32, v5
	v_subrev_nc_u32_e32 v12, 28, v5
	v_sub_nc_u32_e32 v5, 29, v5
	v_lshlrev_b64 v[12:13], v12, v[10:11]
	v_and_b32_e32 v23, 7, v12
; %bb.1142:                             ;   in Loop: Header=BB380_1062 Depth=1
	s_or_b32 exec_lo, exec_lo, s20
	v_lshlrev_b32_e32 v10, 16, v20
	v_lshlrev_b32_e32 v12, 20, v23
	v_lshl_add_u32 v5, v5, 23, 0x3c000000
	v_and_b32_e32 v10, 0x80000000, v10
	v_or3_b32 v5, v12, v10, v5
.LBB380_1143:                           ;   in Loop: Header=BB380_1062 Depth=1
	s_or_b32 exec_lo, exec_lo, s18
.LBB380_1144:                           ;   in Loop: Header=BB380_1062 Depth=1
	s_or_b32 exec_lo, exec_lo, s17
.LBB380_1145:                           ;   in Loop: Header=BB380_1062 Depth=1
	s_or_b32 exec_lo, exec_lo, s16
	v_and_b32_sdwa v10, v20, v84 dst_sel:DWORD dst_unused:UNUSED_PAD src0_sel:WORD_1 src1_sel:DWORD
	v_mov_b32_e32 v13, 0
	v_mov_b32_e32 v12, 0
	s_mov_b32 s16, exec_lo
	v_cmpx_ne_u16_e32 0, v10
	s_cbranch_execz .LBB380_1153
; %bb.1146:                             ;   in Loop: Header=BB380_1062 Depth=1
	v_bfrev_b32_e32 v12, 1
	s_mov_b32 s17, exec_lo
	v_cmpx_ne_u16_e32 0x80, v10
	s_cbranch_execz .LBB380_1152
; %bb.1147:                             ;   in Loop: Header=BB380_1062 Depth=1
	v_bfe_u32 v16, v20, 16, 7
	v_mov_b32_e32 v12, 0x7f800001
	s_mov_b32 s18, exec_lo
	v_cmpx_ne_u32_e32 0x7f, v16
	s_cbranch_execz .LBB380_1151
; %bb.1148:                             ;   in Loop: Header=BB380_1062 Depth=1
	v_mov_b32_e32 v10, 7
	v_lshrrev_b32_e32 v12, 3, v16
	s_mov_b32 s20, exec_lo
	v_and_b32_sdwa v10, v20, v10 dst_sel:DWORD dst_unused:UNUSED_PAD src0_sel:WORD_1 src1_sel:DWORD
	v_mov_b32_e32 v24, v11
	v_mov_b32_e32 v23, v10
	v_cmpx_gt_u32_e32 8, v16
; %bb.1149:                             ;   in Loop: Header=BB380_1062 Depth=1
	v_ffbh_u32_e32 v12, v10
	v_min_u32_e32 v12, 32, v12
	v_subrev_nc_u32_e32 v16, 28, v12
	v_sub_nc_u32_e32 v12, 29, v12
	v_lshlrev_b64 v[16:17], v16, v[10:11]
	v_and_b32_e32 v23, 7, v16
; %bb.1150:                             ;   in Loop: Header=BB380_1062 Depth=1
	s_or_b32 exec_lo, exec_lo, s20
	v_mov_b32_e32 v10, 24
	v_lshlrev_b32_e32 v16, 20, v23
	v_lshl_add_u32 v12, v12, 23, 0x3c000000
	v_lshlrev_b32_sdwa v10, v10, v20 dst_sel:DWORD dst_unused:UNUSED_PAD src0_sel:DWORD src1_sel:WORD_1
	v_and_b32_e32 v10, 0x80000000, v10
	v_or3_b32 v12, v16, v10, v12
.LBB380_1151:                           ;   in Loop: Header=BB380_1062 Depth=1
	s_or_b32 exec_lo, exec_lo, s18
.LBB380_1152:                           ;   in Loop: Header=BB380_1062 Depth=1
	s_or_b32 exec_lo, exec_lo, s17
.LBB380_1153:                           ;   in Loop: Header=BB380_1062 Depth=1
	s_or_b32 exec_lo, exec_lo, s16
	s_mov_b32 s16, exec_lo
	v_cmpx_lt_u32_e32 0xffffff, v20
	s_cbranch_execz .LBB380_1161
; %bb.1154:                             ;   in Loop: Header=BB380_1062 Depth=1
	v_cmp_ne_u32_sdwa s4, v20, v82 src0_sel:BYTE_3 src1_sel:DWORD
	v_bfrev_b32_e32 v13, 1
	s_and_saveexec_b32 s17, s4
	s_cbranch_execz .LBB380_1160
; %bb.1155:                             ;   in Loop: Header=BB380_1062 Depth=1
	v_bfe_u32 v16, v20, 24, 7
	v_mov_b32_e32 v13, 0x7f800001
	s_mov_b32 s18, exec_lo
	v_cmpx_ne_u32_e32 0x7f, v16
	s_cbranch_execz .LBB380_1159
; %bb.1156:                             ;   in Loop: Header=BB380_1062 Depth=1
	v_mov_b32_e32 v10, 7
	v_lshrrev_b32_e32 v13, 3, v16
	s_mov_b32 s20, exec_lo
	v_and_b32_sdwa v10, v20, v10 dst_sel:DWORD dst_unused:UNUSED_PAD src0_sel:BYTE_3 src1_sel:DWORD
	v_mov_b32_e32 v24, v11
	v_mov_b32_e32 v23, v10
	v_cmpx_gt_u32_e32 8, v16
; %bb.1157:                             ;   in Loop: Header=BB380_1062 Depth=1
	v_ffbh_u32_e32 v13, v10
	v_min_u32_e32 v13, 32, v13
	v_subrev_nc_u32_e32 v16, 28, v13
	v_sub_nc_u32_e32 v13, 29, v13
	v_lshlrev_b64 v[16:17], v16, v[10:11]
	v_and_b32_e32 v23, 7, v16
; %bb.1158:                             ;   in Loop: Header=BB380_1062 Depth=1
	s_or_b32 exec_lo, exec_lo, s20
	v_mov_b32_e32 v10, 24
	v_lshlrev_b32_e32 v16, 20, v23
	v_lshl_add_u32 v13, v13, 23, 0x3c000000
	v_lshlrev_b32_sdwa v10, v10, v20 dst_sel:DWORD dst_unused:UNUSED_PAD src0_sel:DWORD src1_sel:BYTE_3
	v_and_b32_e32 v10, 0x80000000, v10
	v_or3_b32 v13, v16, v10, v13
.LBB380_1159:                           ;   in Loop: Header=BB380_1062 Depth=1
	s_or_b32 exec_lo, exec_lo, s18
.LBB380_1160:                           ;   in Loop: Header=BB380_1062 Depth=1
	s_or_b32 exec_lo, exec_lo, s17
.LBB380_1161:                           ;   in Loop: Header=BB380_1062 Depth=1
	s_or_b32 exec_lo, exec_lo, s16
	v_mov_b32_e32 v10, v21
	v_cmp_ne_u16_sdwa s4, v21, v11 src0_sel:BYTE_0 src1_sel:DWORD
	v_mov_b32_e32 v17, 0
	v_mov_b32_e32 v16, 0
	s_and_saveexec_b32 s16, s4
	s_cbranch_execz .LBB380_1169
; %bb.1162:                             ;   in Loop: Header=BB380_1062 Depth=1
	v_cmp_ne_u16_sdwa s4, v21, v82 src0_sel:BYTE_0 src1_sel:DWORD
	v_bfrev_b32_e32 v16, 1
	s_and_saveexec_b32 s17, s4
	s_cbranch_execz .LBB380_1168
; %bb.1163:                             ;   in Loop: Header=BB380_1062 Depth=1
	v_and_b32_e32 v22, 0x7f, v21
	v_mov_b32_e32 v16, 0x7f800001
	s_mov_b32 s18, exec_lo
	v_cmpx_ne_u32_e32 0x7f, v22
	s_cbranch_execz .LBB380_1167
; %bb.1164:                             ;   in Loop: Header=BB380_1062 Depth=1
	v_mov_b32_e32 v24, v11
	v_lshrrev_b32_e32 v16, 3, v22
	v_mov_b32_e32 v23, v10
	s_mov_b32 s20, exec_lo
	v_cmpx_gt_u32_e32 8, v22
; %bb.1165:                             ;   in Loop: Header=BB380_1062 Depth=1
	v_and_b32_e32 v16, 7, v21
	v_ffbh_u32_e32 v16, v16
	v_min_u32_e32 v16, 32, v16
	v_subrev_nc_u32_e32 v22, 28, v16
	v_sub_nc_u32_e32 v16, 29, v16
	v_lshlrev_b64 v[23:24], v22, v[10:11]
; %bb.1166:                             ;   in Loop: Header=BB380_1062 Depth=1
	s_or_b32 exec_lo, exec_lo, s20
	v_lshlrev_b32_e32 v22, 20, v23
	v_lshlrev_b32_e32 v23, 24, v10
	v_lshl_add_u32 v16, v16, 23, 0x3c000000
	v_and_b32_e32 v22, 0x700000, v22
	v_and_b32_e32 v23, 0x80000000, v23
	v_or3_b32 v16, v22, v23, v16
.LBB380_1167:                           ;   in Loop: Header=BB380_1062 Depth=1
	s_or_b32 exec_lo, exec_lo, s18
.LBB380_1168:                           ;   in Loop: Header=BB380_1062 Depth=1
	s_or_b32 exec_lo, exec_lo, s17
.LBB380_1169:                           ;   in Loop: Header=BB380_1062 Depth=1
	s_or_b32 exec_lo, exec_lo, s16
	v_cmp_ne_u16_sdwa s4, v10, v11 src0_sel:BYTE_1 src1_sel:DWORD
	s_and_saveexec_b32 s16, s4
	s_cbranch_execz .LBB380_1177
; %bb.1170:                             ;   in Loop: Header=BB380_1062 Depth=1
	v_cmp_ne_u16_sdwa s4, v10, v82 src0_sel:BYTE_1 src1_sel:DWORD
	v_bfrev_b32_e32 v17, 1
	s_and_saveexec_b32 s17, s4
	s_cbranch_execz .LBB380_1176
; %bb.1171:                             ;   in Loop: Header=BB380_1062 Depth=1
	v_mov_b32_e32 v17, 0xffff
	s_mov_b32 s18, exec_lo
	v_and_b32_sdwa v23, v17, v10 dst_sel:DWORD dst_unused:UNUSED_PAD src0_sel:DWORD src1_sel:BYTE_1
	v_mov_b32_e32 v17, 0x7f800001
	v_and_b32_e32 v22, 0x7f, v23
	v_cmpx_ne_u32_e32 0x7f, v22
	s_cbranch_execz .LBB380_1175
; %bb.1172:                             ;   in Loop: Header=BB380_1062 Depth=1
	v_and_b32_e32 v23, 7, v23
	v_mov_b32_e32 v24, v11
	v_lshrrev_b32_e32 v17, 3, v22
	s_mov_b32 s20, exec_lo
	v_cmpx_gt_u32_e32 8, v22
; %bb.1173:                             ;   in Loop: Header=BB380_1062 Depth=1
	v_ffbh_u32_e32 v17, v23
	v_min_u32_e32 v17, 32, v17
	v_subrev_nc_u32_e32 v22, 28, v17
	v_sub_nc_u32_e32 v17, 29, v17
	v_lshlrev_b64 v[22:23], v22, v[23:24]
	v_and_b32_e32 v23, 7, v22
; %bb.1174:                             ;   in Loop: Header=BB380_1062 Depth=1
	s_or_b32 exec_lo, exec_lo, s20
	v_lshlrev_b32_e32 v10, 16, v10
	v_lshlrev_b32_e32 v22, 20, v23
	v_lshl_add_u32 v17, v17, 23, 0x3c000000
	v_and_b32_e32 v10, 0x80000000, v10
	v_or3_b32 v17, v22, v10, v17
.LBB380_1175:                           ;   in Loop: Header=BB380_1062 Depth=1
	s_or_b32 exec_lo, exec_lo, s18
.LBB380_1176:                           ;   in Loop: Header=BB380_1062 Depth=1
	s_or_b32 exec_lo, exec_lo, s17
.LBB380_1177:                           ;   in Loop: Header=BB380_1062 Depth=1
	s_or_b32 exec_lo, exec_lo, s16
	v_and_b32_sdwa v10, v21, v84 dst_sel:DWORD dst_unused:UNUSED_PAD src0_sel:WORD_1 src1_sel:DWORD
	v_mov_b32_e32 v22, 0
	v_mov_b32_e32 v25, 0
	s_mov_b32 s16, exec_lo
	v_cmpx_ne_u16_e32 0, v10
	s_cbranch_execz .LBB380_1185
; %bb.1178:                             ;   in Loop: Header=BB380_1062 Depth=1
	v_bfrev_b32_e32 v25, 1
	s_mov_b32 s17, exec_lo
	v_cmpx_ne_u16_e32 0x80, v10
	s_cbranch_execz .LBB380_1184
; %bb.1179:                             ;   in Loop: Header=BB380_1062 Depth=1
	v_bfe_u32 v23, v21, 16, 7
	v_mov_b32_e32 v25, 0x7f800001
	s_mov_b32 s18, exec_lo
	v_cmpx_ne_u32_e32 0x7f, v23
	s_cbranch_execz .LBB380_1183
; %bb.1180:                             ;   in Loop: Header=BB380_1062 Depth=1
	v_mov_b32_e32 v10, 7
	v_lshrrev_b32_e32 v25, 3, v23
	v_cmp_gt_u32_e64 s4, 8, v23
	v_and_b32_sdwa v10, v21, v10 dst_sel:DWORD dst_unused:UNUSED_PAD src0_sel:WORD_1 src1_sel:DWORD
	v_mov_b32_e32 v24, v11
	v_mov_b32_e32 v23, v10
	s_and_saveexec_b32 s20, s4
; %bb.1181:                             ;   in Loop: Header=BB380_1062 Depth=1
	v_ffbh_u32_e32 v23, v10
	v_min_u32_e32 v25, 32, v23
	v_subrev_nc_u32_e32 v23, 28, v25
	v_sub_nc_u32_e32 v25, 29, v25
	v_lshlrev_b64 v[23:24], v23, v[10:11]
	v_and_b32_e32 v23, 7, v23
; %bb.1182:                             ;   in Loop: Header=BB380_1062 Depth=1
	s_or_b32 exec_lo, exec_lo, s20
	v_mov_b32_e32 v10, 24
	v_lshlrev_b32_e32 v23, 20, v23
	v_lshl_add_u32 v24, v25, 23, 0x3c000000
	v_lshlrev_b32_sdwa v10, v10, v21 dst_sel:DWORD dst_unused:UNUSED_PAD src0_sel:DWORD src1_sel:WORD_1
	v_and_b32_e32 v10, 0x80000000, v10
	v_or3_b32 v25, v23, v10, v24
.LBB380_1183:                           ;   in Loop: Header=BB380_1062 Depth=1
	s_or_b32 exec_lo, exec_lo, s18
.LBB380_1184:                           ;   in Loop: Header=BB380_1062 Depth=1
	s_or_b32 exec_lo, exec_lo, s17
.LBB380_1185:                           ;   in Loop: Header=BB380_1062 Depth=1
	s_or_b32 exec_lo, exec_lo, s16
	s_mov_b32 s16, exec_lo
	v_cmpx_lt_u64_e64 s[12:13], v[20:21]
	s_cbranch_execz .LBB380_1193
; %bb.1186:                             ;   in Loop: Header=BB380_1062 Depth=1
	v_cmp_ne_u32_sdwa s4, v21, v82 src0_sel:BYTE_3 src1_sel:DWORD
	v_bfrev_b32_e32 v22, 1
	s_and_saveexec_b32 s17, s4
	s_cbranch_execz .LBB380_1192
; %bb.1187:                             ;   in Loop: Header=BB380_1062 Depth=1
	v_bfe_u32 v23, v21, 24, 7
	v_mov_b32_e32 v22, 0x7f800001
	s_mov_b32 s18, exec_lo
	v_cmpx_ne_u32_e32 0x7f, v23
	s_cbranch_execz .LBB380_1191
; %bb.1188:                             ;   in Loop: Header=BB380_1062 Depth=1
	v_mov_b32_e32 v10, 7
	v_lshrrev_b32_e32 v20, 3, v23
	v_cmp_gt_u32_e64 s4, 8, v23
	v_and_b32_sdwa v10, v21, v10 dst_sel:DWORD dst_unused:UNUSED_PAD src0_sel:BYTE_3 src1_sel:DWORD
	v_mov_b32_e32 v24, v11
	v_mov_b32_e32 v23, v10
	s_and_saveexec_b32 s20, s4
; %bb.1189:                             ;   in Loop: Header=BB380_1062 Depth=1
	v_ffbh_u32_e32 v20, v10
	v_min_u32_e32 v20, 32, v20
	v_subrev_nc_u32_e32 v22, 28, v20
	v_sub_nc_u32_e32 v20, 29, v20
	v_lshlrev_b64 v[22:23], v22, v[10:11]
	v_and_b32_e32 v23, 7, v22
; %bb.1190:                             ;   in Loop: Header=BB380_1062 Depth=1
	s_or_b32 exec_lo, exec_lo, s20
	v_mov_b32_e32 v10, 24
	v_lshl_add_u32 v20, v20, 23, 0x3c000000
	v_lshlrev_b32_sdwa v10, v10, v21 dst_sel:DWORD dst_unused:UNUSED_PAD src0_sel:DWORD src1_sel:BYTE_3
	v_lshlrev_b32_e32 v21, 20, v23
	v_and_b32_e32 v10, 0x80000000, v10
	v_or3_b32 v22, v21, v10, v20
.LBB380_1191:                           ;   in Loop: Header=BB380_1062 Depth=1
	s_or_b32 exec_lo, exec_lo, s18
.LBB380_1192:                           ;   in Loop: Header=BB380_1062 Depth=1
	s_or_b32 exec_lo, exec_lo, s17
.LBB380_1193:                           ;   in Loop: Header=BB380_1062 Depth=1
	s_or_b32 exec_lo, exec_lo, s16
	v_mul_f32_e32 v10, v58, v17
	v_mul_f32_e32 v16, v58, v16
	;; [unrolled: 1-line block ×5, first 2 shown]
	v_bfe_u32 v17, v10, 16, 1
	v_or_b32_e32 v20, 0x400000, v10
	v_bfe_u32 v21, v16, 16, 1
	v_cmp_u_f32_e64 s4, v10, v10
	v_or_b32_e32 v23, 0x400000, v16
	v_add3_u32 v17, v17, v10, 0x7fff
	v_bfe_u32 v24, v13, 16, 1
	v_add3_u32 v21, v21, v16, 0x7fff
	v_or_b32_e32 v26, 0x400000, v13
	v_bfe_u32 v27, v12, 16, 1
	v_cndmask_b32_e64 v10, v17, v20, s4
	v_cmp_u_f32_e64 s4, v16, v16
	v_add3_u32 v24, v24, v13, 0x7fff
	v_or_b32_e32 v17, 0x400000, v12
	v_mul_f32_e32 v4, v58, v4
	v_lshrrev_b32_e32 v10, 16, v10
	v_cndmask_b32_e64 v16, v21, v23, s4
	v_cmp_u_f32_e64 s4, v13, v13
	v_bfe_u32 v20, v4, 16, 1
	buffer_store_dword v10, off, s[0:3], s32 offset:280 ; 4-byte Folded Spill
	v_add3_u32 v10, v27, v12, 0x7fff
	v_cndmask_b32_e64 v13, v24, v26, s4
	v_lshrrev_b32_e32 v16, 16, v16
	v_cmp_u_f32_e64 s4, v12, v12
	v_mul_f32_e32 v12, v58, v25
	v_lshrrev_b32_e32 v13, 16, v13
	buffer_store_dword v16, off, s[0:3], s32 offset:272 ; 4-byte Folded Spill
	v_cndmask_b32_e64 v10, v10, v17, s4
	v_or_b32_e32 v16, 0x400000, v5
	v_cmp_u_f32_e64 s4, v5, v5
	buffer_store_dword v13, off, s[0:3], s32 offset:284 ; 4-byte Folded Spill
	v_bfe_u32 v13, v5, 16, 1
	v_mul_f32_e32 v17, v58, v22
	v_bfe_u32 v21, v12, 16, 1
	v_or_b32_e32 v22, 0x400000, v12
	v_lshrrev_b32_e32 v10, 16, v10
	v_add3_u32 v13, v13, v5, 0x7fff
	v_or_b32_e32 v23, 0x400000, v17
	v_add3_u32 v21, v21, v12, 0x7fff
	buffer_store_dword v10, off, s[0:3], s32 offset:288 ; 4-byte Folded Spill
	v_cndmask_b32_e64 v5, v13, v16, s4
	v_add3_u32 v16, v20, v4, 0x7fff
	v_or_b32_e32 v20, 0x400000, v4
	v_cmp_u_f32_e64 s4, v4, v4
	v_bfe_u32 v13, v17, 16, 1
	v_lshrrev_b32_e32 v5, 16, v5
	v_cndmask_b32_e64 v4, v16, v20, s4
	v_cmp_u_f32_e64 s4, v12, v12
	v_add3_u32 v13, v13, v17, 0x7fff
	buffer_store_dword v5, off, s[0:3], s32 offset:296 ; 4-byte Folded Spill
	v_lshrrev_b32_e32 v4, 16, v4
	v_cndmask_b32_e64 v12, v21, v22, s4
	v_cmp_u_f32_e64 s4, v17, v17
	buffer_store_dword v4, off, s[0:3], s32 offset:292 ; 4-byte Folded Spill
	v_lshrrev_b32_e32 v4, 16, v12
	v_cndmask_b32_e64 v13, v13, v23, s4
	buffer_store_dword v4, off, s[0:3], s32 offset:268 ; 4-byte Folded Spill
	v_lshrrev_b32_e32 v4, 16, v13
	buffer_store_dword v4, off, s[0:3], s32 offset:276 ; 4-byte Folded Spill
	s_and_saveexec_b32 s16, vcc_lo
	s_cbranch_execz .LBB380_1195
; %bb.1194:                             ;   in Loop: Header=BB380_1062 Depth=1
	buffer_load_dword v4, off, s[0:3], s32 offset:292 ; 4-byte Folded Reload
	v_cmp_lt_i32_e64 s4, v75, v38
	s_waitcnt vmcnt(0)
	v_cndmask_b32_e64 v4, 0, v4, s4
	v_cmp_lt_i32_e64 s4, v90, v38
	buffer_store_dword v4, off, s[0:3], s32 offset:292 ; 4-byte Folded Spill
	buffer_load_dword v4, off, s[0:3], s32 offset:296 ; 4-byte Folded Reload
	s_waitcnt vmcnt(0)
	v_cndmask_b32_e64 v4, 0, v4, s4
	v_cmp_lt_i32_e64 s4, v89, v38
	buffer_store_dword v4, off, s[0:3], s32 offset:296 ; 4-byte Folded Spill
	buffer_load_dword v4, off, s[0:3], s32 offset:288 ; 4-byte Folded Reload
	;; [unrolled: 5-line block ×7, first 2 shown]
	s_waitcnt vmcnt(0)
	v_cndmask_b32_e64 v4, 0, v4, s4
	buffer_store_dword v4, off, s[0:3], s32 offset:276 ; 4-byte Folded Spill
.LBB380_1195:                           ;   in Loop: Header=BB380_1062 Depth=1
	s_or_b32 exec_lo, exec_lo, s16
	flat_load_dwordx2 v[20:21], v[18:19] offset:512
	v_mov_b32_e32 v5, 0
	v_mov_b32_e32 v4, 0
	s_waitcnt vmcnt(0) lgkmcnt(0)
	v_cmp_ne_u16_sdwa s4, v20, v11 src0_sel:BYTE_0 src1_sel:DWORD
	s_and_saveexec_b32 s16, s4
	s_cbranch_execz .LBB380_1203
; %bb.1196:                             ;   in Loop: Header=BB380_1062 Depth=1
	v_cmp_ne_u16_sdwa s4, v20, v82 src0_sel:BYTE_0 src1_sel:DWORD
	v_bfrev_b32_e32 v4, 1
	s_and_saveexec_b32 s17, s4
	s_cbranch_execz .LBB380_1202
; %bb.1197:                             ;   in Loop: Header=BB380_1062 Depth=1
	v_and_b32_e32 v10, 0x7f, v20
	v_mov_b32_e32 v4, 0x7f800001
	s_mov_b32 s18, exec_lo
	v_cmpx_ne_u32_e32 0x7f, v10
	s_cbranch_execz .LBB380_1201
; %bb.1198:                             ;   in Loop: Header=BB380_1062 Depth=1
	v_mov_b32_e32 v24, v21
	v_lshrrev_b32_e32 v4, 3, v10
	v_mov_b32_e32 v23, v20
	s_mov_b32 s20, exec_lo
	v_cmpx_gt_u32_e32 8, v10
; %bb.1199:                             ;   in Loop: Header=BB380_1062 Depth=1
	v_and_b32_e32 v4, 7, v20
	v_ffbh_u32_e32 v4, v4
	v_min_u32_e32 v4, 32, v4
	v_subrev_nc_u32_e32 v10, 28, v4
	v_sub_nc_u32_e32 v4, 29, v4
	v_lshlrev_b64 v[23:24], v10, v[20:21]
; %bb.1200:                             ;   in Loop: Header=BB380_1062 Depth=1
	s_or_b32 exec_lo, exec_lo, s20
	v_lshlrev_b32_e32 v10, 20, v23
	v_lshlrev_b32_e32 v12, 24, v20
	v_lshl_add_u32 v4, v4, 23, 0x3c000000
	v_and_b32_e32 v10, 0x700000, v10
	v_and_b32_e32 v12, 0x80000000, v12
	v_or3_b32 v4, v10, v12, v4
.LBB380_1201:                           ;   in Loop: Header=BB380_1062 Depth=1
	s_or_b32 exec_lo, exec_lo, s18
.LBB380_1202:                           ;   in Loop: Header=BB380_1062 Depth=1
	s_or_b32 exec_lo, exec_lo, s17
.LBB380_1203:                           ;   in Loop: Header=BB380_1062 Depth=1
	s_or_b32 exec_lo, exec_lo, s16
	v_cmp_ne_u16_sdwa s4, v20, v11 src0_sel:BYTE_1 src1_sel:DWORD
	s_and_saveexec_b32 s16, s4
	s_cbranch_execz .LBB380_1211
; %bb.1204:                             ;   in Loop: Header=BB380_1062 Depth=1
	v_cmp_ne_u16_sdwa s4, v20, v82 src0_sel:BYTE_1 src1_sel:DWORD
	v_bfrev_b32_e32 v5, 1
	s_and_saveexec_b32 s17, s4
	s_cbranch_execz .LBB380_1210
; %bb.1205:                             ;   in Loop: Header=BB380_1062 Depth=1
	v_mov_b32_e32 v5, 0xffff
	s_mov_b32 s18, exec_lo
	v_and_b32_sdwa v10, v5, v20 dst_sel:DWORD dst_unused:UNUSED_PAD src0_sel:DWORD src1_sel:BYTE_1
	v_mov_b32_e32 v5, 0x7f800001
	v_and_b32_e32 v12, 0x7f, v10
	v_cmpx_ne_u32_e32 0x7f, v12
	s_cbranch_execz .LBB380_1209
; %bb.1206:                             ;   in Loop: Header=BB380_1062 Depth=1
	v_and_b32_e32 v10, 7, v10
	v_mov_b32_e32 v24, v11
	v_lshrrev_b32_e32 v5, 3, v12
	s_mov_b32 s20, exec_lo
	v_mov_b32_e32 v23, v10
	v_cmpx_gt_u32_e32 8, v12
; %bb.1207:                             ;   in Loop: Header=BB380_1062 Depth=1
	v_ffbh_u32_e32 v5, v10
	v_min_u32_e32 v5, 32, v5
	v_subrev_nc_u32_e32 v12, 28, v5
	v_sub_nc_u32_e32 v5, 29, v5
	v_lshlrev_b64 v[12:13], v12, v[10:11]
	v_and_b32_e32 v23, 7, v12
; %bb.1208:                             ;   in Loop: Header=BB380_1062 Depth=1
	s_or_b32 exec_lo, exec_lo, s20
	v_lshlrev_b32_e32 v10, 16, v20
	v_lshlrev_b32_e32 v12, 20, v23
	v_lshl_add_u32 v5, v5, 23, 0x3c000000
	v_and_b32_e32 v10, 0x80000000, v10
	v_or3_b32 v5, v12, v10, v5
.LBB380_1209:                           ;   in Loop: Header=BB380_1062 Depth=1
	s_or_b32 exec_lo, exec_lo, s18
.LBB380_1210:                           ;   in Loop: Header=BB380_1062 Depth=1
	s_or_b32 exec_lo, exec_lo, s17
.LBB380_1211:                           ;   in Loop: Header=BB380_1062 Depth=1
	s_or_b32 exec_lo, exec_lo, s16
	v_and_b32_sdwa v10, v20, v84 dst_sel:DWORD dst_unused:UNUSED_PAD src0_sel:WORD_1 src1_sel:DWORD
	v_mov_b32_e32 v13, 0
	v_mov_b32_e32 v12, 0
	s_mov_b32 s16, exec_lo
	v_cmpx_ne_u16_e32 0, v10
	s_cbranch_execz .LBB380_1219
; %bb.1212:                             ;   in Loop: Header=BB380_1062 Depth=1
	v_bfrev_b32_e32 v12, 1
	s_mov_b32 s17, exec_lo
	v_cmpx_ne_u16_e32 0x80, v10
	s_cbranch_execz .LBB380_1218
; %bb.1213:                             ;   in Loop: Header=BB380_1062 Depth=1
	v_bfe_u32 v16, v20, 16, 7
	v_mov_b32_e32 v12, 0x7f800001
	s_mov_b32 s18, exec_lo
	v_cmpx_ne_u32_e32 0x7f, v16
	s_cbranch_execz .LBB380_1217
; %bb.1214:                             ;   in Loop: Header=BB380_1062 Depth=1
	v_mov_b32_e32 v10, 7
	v_lshrrev_b32_e32 v12, 3, v16
	s_mov_b32 s20, exec_lo
	v_and_b32_sdwa v10, v20, v10 dst_sel:DWORD dst_unused:UNUSED_PAD src0_sel:WORD_1 src1_sel:DWORD
	v_mov_b32_e32 v24, v11
	v_mov_b32_e32 v23, v10
	v_cmpx_gt_u32_e32 8, v16
; %bb.1215:                             ;   in Loop: Header=BB380_1062 Depth=1
	v_ffbh_u32_e32 v12, v10
	v_min_u32_e32 v12, 32, v12
	v_subrev_nc_u32_e32 v16, 28, v12
	v_sub_nc_u32_e32 v12, 29, v12
	v_lshlrev_b64 v[16:17], v16, v[10:11]
	v_and_b32_e32 v23, 7, v16
; %bb.1216:                             ;   in Loop: Header=BB380_1062 Depth=1
	s_or_b32 exec_lo, exec_lo, s20
	v_mov_b32_e32 v10, 24
	v_lshlrev_b32_e32 v16, 20, v23
	v_lshl_add_u32 v12, v12, 23, 0x3c000000
	v_lshlrev_b32_sdwa v10, v10, v20 dst_sel:DWORD dst_unused:UNUSED_PAD src0_sel:DWORD src1_sel:WORD_1
	v_and_b32_e32 v10, 0x80000000, v10
	v_or3_b32 v12, v16, v10, v12
.LBB380_1217:                           ;   in Loop: Header=BB380_1062 Depth=1
	s_or_b32 exec_lo, exec_lo, s18
.LBB380_1218:                           ;   in Loop: Header=BB380_1062 Depth=1
	s_or_b32 exec_lo, exec_lo, s17
.LBB380_1219:                           ;   in Loop: Header=BB380_1062 Depth=1
	s_or_b32 exec_lo, exec_lo, s16
	s_mov_b32 s16, exec_lo
	v_cmpx_lt_u32_e32 0xffffff, v20
	s_cbranch_execz .LBB380_1227
; %bb.1220:                             ;   in Loop: Header=BB380_1062 Depth=1
	v_cmp_ne_u32_sdwa s4, v20, v82 src0_sel:BYTE_3 src1_sel:DWORD
	v_bfrev_b32_e32 v13, 1
	s_and_saveexec_b32 s17, s4
	s_cbranch_execz .LBB380_1226
; %bb.1221:                             ;   in Loop: Header=BB380_1062 Depth=1
	v_bfe_u32 v16, v20, 24, 7
	v_mov_b32_e32 v13, 0x7f800001
	s_mov_b32 s18, exec_lo
	v_cmpx_ne_u32_e32 0x7f, v16
	s_cbranch_execz .LBB380_1225
; %bb.1222:                             ;   in Loop: Header=BB380_1062 Depth=1
	v_mov_b32_e32 v10, 7
	v_lshrrev_b32_e32 v13, 3, v16
	s_mov_b32 s20, exec_lo
	v_and_b32_sdwa v10, v20, v10 dst_sel:DWORD dst_unused:UNUSED_PAD src0_sel:BYTE_3 src1_sel:DWORD
	v_mov_b32_e32 v24, v11
	v_mov_b32_e32 v23, v10
	v_cmpx_gt_u32_e32 8, v16
; %bb.1223:                             ;   in Loop: Header=BB380_1062 Depth=1
	v_ffbh_u32_e32 v13, v10
	v_min_u32_e32 v13, 32, v13
	v_subrev_nc_u32_e32 v16, 28, v13
	v_sub_nc_u32_e32 v13, 29, v13
	v_lshlrev_b64 v[16:17], v16, v[10:11]
	v_and_b32_e32 v23, 7, v16
; %bb.1224:                             ;   in Loop: Header=BB380_1062 Depth=1
	s_or_b32 exec_lo, exec_lo, s20
	v_mov_b32_e32 v10, 24
	v_lshlrev_b32_e32 v16, 20, v23
	v_lshl_add_u32 v13, v13, 23, 0x3c000000
	v_lshlrev_b32_sdwa v10, v10, v20 dst_sel:DWORD dst_unused:UNUSED_PAD src0_sel:DWORD src1_sel:BYTE_3
	v_and_b32_e32 v10, 0x80000000, v10
	v_or3_b32 v13, v16, v10, v13
.LBB380_1225:                           ;   in Loop: Header=BB380_1062 Depth=1
	s_or_b32 exec_lo, exec_lo, s18
.LBB380_1226:                           ;   in Loop: Header=BB380_1062 Depth=1
	s_or_b32 exec_lo, exec_lo, s17
.LBB380_1227:                           ;   in Loop: Header=BB380_1062 Depth=1
	s_or_b32 exec_lo, exec_lo, s16
	v_mov_b32_e32 v10, v21
	v_cmp_ne_u16_sdwa s4, v21, v11 src0_sel:BYTE_0 src1_sel:DWORD
	v_mov_b32_e32 v17, 0
	v_mov_b32_e32 v16, 0
	s_and_saveexec_b32 s16, s4
	s_cbranch_execz .LBB380_1235
; %bb.1228:                             ;   in Loop: Header=BB380_1062 Depth=1
	v_cmp_ne_u16_sdwa s4, v21, v82 src0_sel:BYTE_0 src1_sel:DWORD
	v_bfrev_b32_e32 v16, 1
	s_and_saveexec_b32 s17, s4
	s_cbranch_execz .LBB380_1234
; %bb.1229:                             ;   in Loop: Header=BB380_1062 Depth=1
	v_and_b32_e32 v22, 0x7f, v21
	v_mov_b32_e32 v16, 0x7f800001
	s_mov_b32 s18, exec_lo
	v_cmpx_ne_u32_e32 0x7f, v22
	s_cbranch_execz .LBB380_1233
; %bb.1230:                             ;   in Loop: Header=BB380_1062 Depth=1
	v_mov_b32_e32 v24, v11
	v_lshrrev_b32_e32 v16, 3, v22
	v_mov_b32_e32 v23, v10
	s_mov_b32 s20, exec_lo
	v_cmpx_gt_u32_e32 8, v22
; %bb.1231:                             ;   in Loop: Header=BB380_1062 Depth=1
	v_and_b32_e32 v16, 7, v21
	v_ffbh_u32_e32 v16, v16
	v_min_u32_e32 v16, 32, v16
	v_subrev_nc_u32_e32 v22, 28, v16
	v_sub_nc_u32_e32 v16, 29, v16
	v_lshlrev_b64 v[23:24], v22, v[10:11]
; %bb.1232:                             ;   in Loop: Header=BB380_1062 Depth=1
	s_or_b32 exec_lo, exec_lo, s20
	v_lshlrev_b32_e32 v22, 20, v23
	v_lshlrev_b32_e32 v23, 24, v10
	v_lshl_add_u32 v16, v16, 23, 0x3c000000
	v_and_b32_e32 v22, 0x700000, v22
	v_and_b32_e32 v23, 0x80000000, v23
	v_or3_b32 v16, v22, v23, v16
.LBB380_1233:                           ;   in Loop: Header=BB380_1062 Depth=1
	s_or_b32 exec_lo, exec_lo, s18
.LBB380_1234:                           ;   in Loop: Header=BB380_1062 Depth=1
	s_or_b32 exec_lo, exec_lo, s17
.LBB380_1235:                           ;   in Loop: Header=BB380_1062 Depth=1
	s_or_b32 exec_lo, exec_lo, s16
	v_cmp_ne_u16_sdwa s4, v10, v11 src0_sel:BYTE_1 src1_sel:DWORD
	s_and_saveexec_b32 s16, s4
	s_cbranch_execz .LBB380_1243
; %bb.1236:                             ;   in Loop: Header=BB380_1062 Depth=1
	v_cmp_ne_u16_sdwa s4, v10, v82 src0_sel:BYTE_1 src1_sel:DWORD
	v_bfrev_b32_e32 v17, 1
	s_and_saveexec_b32 s17, s4
	s_cbranch_execz .LBB380_1242
; %bb.1237:                             ;   in Loop: Header=BB380_1062 Depth=1
	v_mov_b32_e32 v17, 0xffff
	s_mov_b32 s18, exec_lo
	v_and_b32_sdwa v23, v17, v10 dst_sel:DWORD dst_unused:UNUSED_PAD src0_sel:DWORD src1_sel:BYTE_1
	v_mov_b32_e32 v17, 0x7f800001
	v_and_b32_e32 v22, 0x7f, v23
	v_cmpx_ne_u32_e32 0x7f, v22
	s_cbranch_execz .LBB380_1241
; %bb.1238:                             ;   in Loop: Header=BB380_1062 Depth=1
	v_and_b32_e32 v23, 7, v23
	v_mov_b32_e32 v24, v11
	v_lshrrev_b32_e32 v17, 3, v22
	s_mov_b32 s20, exec_lo
	v_cmpx_gt_u32_e32 8, v22
; %bb.1239:                             ;   in Loop: Header=BB380_1062 Depth=1
	v_ffbh_u32_e32 v17, v23
	v_min_u32_e32 v17, 32, v17
	v_subrev_nc_u32_e32 v22, 28, v17
	v_sub_nc_u32_e32 v17, 29, v17
	v_lshlrev_b64 v[22:23], v22, v[23:24]
	v_and_b32_e32 v23, 7, v22
; %bb.1240:                             ;   in Loop: Header=BB380_1062 Depth=1
	s_or_b32 exec_lo, exec_lo, s20
	v_lshlrev_b32_e32 v10, 16, v10
	v_lshlrev_b32_e32 v22, 20, v23
	v_lshl_add_u32 v17, v17, 23, 0x3c000000
	v_and_b32_e32 v10, 0x80000000, v10
	v_or3_b32 v17, v22, v10, v17
.LBB380_1241:                           ;   in Loop: Header=BB380_1062 Depth=1
	s_or_b32 exec_lo, exec_lo, s18
.LBB380_1242:                           ;   in Loop: Header=BB380_1062 Depth=1
	s_or_b32 exec_lo, exec_lo, s17
.LBB380_1243:                           ;   in Loop: Header=BB380_1062 Depth=1
	s_or_b32 exec_lo, exec_lo, s16
	v_and_b32_sdwa v10, v21, v84 dst_sel:DWORD dst_unused:UNUSED_PAD src0_sel:WORD_1 src1_sel:DWORD
	v_mov_b32_e32 v22, 0
	v_mov_b32_e32 v25, 0
	s_mov_b32 s16, exec_lo
	v_cmpx_ne_u16_e32 0, v10
	s_cbranch_execz .LBB380_1251
; %bb.1244:                             ;   in Loop: Header=BB380_1062 Depth=1
	v_bfrev_b32_e32 v25, 1
	s_mov_b32 s17, exec_lo
	v_cmpx_ne_u16_e32 0x80, v10
	s_cbranch_execz .LBB380_1250
; %bb.1245:                             ;   in Loop: Header=BB380_1062 Depth=1
	v_bfe_u32 v23, v21, 16, 7
	v_mov_b32_e32 v25, 0x7f800001
	s_mov_b32 s18, exec_lo
	v_cmpx_ne_u32_e32 0x7f, v23
	s_cbranch_execz .LBB380_1249
; %bb.1246:                             ;   in Loop: Header=BB380_1062 Depth=1
	v_mov_b32_e32 v10, 7
	v_lshrrev_b32_e32 v25, 3, v23
	v_cmp_gt_u32_e64 s4, 8, v23
	v_and_b32_sdwa v10, v21, v10 dst_sel:DWORD dst_unused:UNUSED_PAD src0_sel:WORD_1 src1_sel:DWORD
	v_mov_b32_e32 v24, v11
	v_mov_b32_e32 v23, v10
	s_and_saveexec_b32 s20, s4
; %bb.1247:                             ;   in Loop: Header=BB380_1062 Depth=1
	v_ffbh_u32_e32 v23, v10
	v_min_u32_e32 v25, 32, v23
	v_subrev_nc_u32_e32 v23, 28, v25
	v_sub_nc_u32_e32 v25, 29, v25
	v_lshlrev_b64 v[23:24], v23, v[10:11]
	v_and_b32_e32 v23, 7, v23
; %bb.1248:                             ;   in Loop: Header=BB380_1062 Depth=1
	s_or_b32 exec_lo, exec_lo, s20
	v_mov_b32_e32 v10, 24
	v_lshlrev_b32_e32 v23, 20, v23
	v_lshl_add_u32 v24, v25, 23, 0x3c000000
	v_lshlrev_b32_sdwa v10, v10, v21 dst_sel:DWORD dst_unused:UNUSED_PAD src0_sel:DWORD src1_sel:WORD_1
	v_and_b32_e32 v10, 0x80000000, v10
	v_or3_b32 v25, v23, v10, v24
.LBB380_1249:                           ;   in Loop: Header=BB380_1062 Depth=1
	s_or_b32 exec_lo, exec_lo, s18
.LBB380_1250:                           ;   in Loop: Header=BB380_1062 Depth=1
	s_or_b32 exec_lo, exec_lo, s17
.LBB380_1251:                           ;   in Loop: Header=BB380_1062 Depth=1
	s_or_b32 exec_lo, exec_lo, s16
	s_mov_b32 s16, exec_lo
	v_cmpx_lt_u64_e64 s[12:13], v[20:21]
	s_cbranch_execz .LBB380_1259
; %bb.1252:                             ;   in Loop: Header=BB380_1062 Depth=1
	v_cmp_ne_u32_sdwa s4, v21, v82 src0_sel:BYTE_3 src1_sel:DWORD
	v_bfrev_b32_e32 v22, 1
	s_and_saveexec_b32 s17, s4
	s_cbranch_execz .LBB380_1258
; %bb.1253:                             ;   in Loop: Header=BB380_1062 Depth=1
	v_bfe_u32 v23, v21, 24, 7
	v_mov_b32_e32 v22, 0x7f800001
	s_mov_b32 s18, exec_lo
	v_cmpx_ne_u32_e32 0x7f, v23
	s_cbranch_execz .LBB380_1257
; %bb.1254:                             ;   in Loop: Header=BB380_1062 Depth=1
	v_mov_b32_e32 v10, 7
	v_lshrrev_b32_e32 v20, 3, v23
	v_cmp_gt_u32_e64 s4, 8, v23
	v_and_b32_sdwa v10, v21, v10 dst_sel:DWORD dst_unused:UNUSED_PAD src0_sel:BYTE_3 src1_sel:DWORD
	v_mov_b32_e32 v24, v11
	v_mov_b32_e32 v23, v10
	s_and_saveexec_b32 s20, s4
; %bb.1255:                             ;   in Loop: Header=BB380_1062 Depth=1
	v_ffbh_u32_e32 v20, v10
	v_min_u32_e32 v20, 32, v20
	v_subrev_nc_u32_e32 v22, 28, v20
	v_sub_nc_u32_e32 v20, 29, v20
	v_lshlrev_b64 v[22:23], v22, v[10:11]
	v_and_b32_e32 v23, 7, v22
; %bb.1256:                             ;   in Loop: Header=BB380_1062 Depth=1
	s_or_b32 exec_lo, exec_lo, s20
	v_mov_b32_e32 v10, 24
	v_lshl_add_u32 v20, v20, 23, 0x3c000000
	v_lshlrev_b32_sdwa v10, v10, v21 dst_sel:DWORD dst_unused:UNUSED_PAD src0_sel:DWORD src1_sel:BYTE_3
	v_lshlrev_b32_e32 v21, 20, v23
	v_and_b32_e32 v10, 0x80000000, v10
	v_or3_b32 v22, v21, v10, v20
.LBB380_1257:                           ;   in Loop: Header=BB380_1062 Depth=1
	s_or_b32 exec_lo, exec_lo, s18
.LBB380_1258:                           ;   in Loop: Header=BB380_1062 Depth=1
	s_or_b32 exec_lo, exec_lo, s17
.LBB380_1259:                           ;   in Loop: Header=BB380_1062 Depth=1
	s_or_b32 exec_lo, exec_lo, s16
	v_mul_f32_e32 v10, v58, v17
	v_mul_f32_e32 v16, v58, v16
	;; [unrolled: 1-line block ×5, first 2 shown]
	v_bfe_u32 v17, v10, 16, 1
	v_or_b32_e32 v20, 0x400000, v10
	v_bfe_u32 v21, v16, 16, 1
	v_cmp_u_f32_e64 s4, v10, v10
	v_or_b32_e32 v23, 0x400000, v16
	v_add3_u32 v17, v17, v10, 0x7fff
	v_bfe_u32 v24, v13, 16, 1
	v_add3_u32 v21, v21, v16, 0x7fff
	v_or_b32_e32 v26, 0x400000, v13
	v_bfe_u32 v27, v12, 16, 1
	v_cndmask_b32_e64 v10, v17, v20, s4
	v_cmp_u_f32_e64 s4, v16, v16
	v_add3_u32 v24, v24, v13, 0x7fff
	v_or_b32_e32 v17, 0x400000, v12
	v_mul_f32_e32 v4, v58, v4
	v_lshrrev_b32_e32 v10, 16, v10
	v_cndmask_b32_e64 v16, v21, v23, s4
	v_cmp_u_f32_e64 s4, v13, v13
	v_bfe_u32 v20, v4, 16, 1
	buffer_store_dword v10, off, s[0:3], s32 offset:312 ; 4-byte Folded Spill
	v_add3_u32 v10, v27, v12, 0x7fff
	v_cndmask_b32_e64 v13, v24, v26, s4
	v_lshrrev_b32_e32 v16, 16, v16
	v_cmp_u_f32_e64 s4, v12, v12
	v_mul_f32_e32 v12, v58, v25
	v_lshrrev_b32_e32 v13, 16, v13
	buffer_store_dword v16, off, s[0:3], s32 offset:304 ; 4-byte Folded Spill
	v_cndmask_b32_e64 v10, v10, v17, s4
	v_or_b32_e32 v16, 0x400000, v5
	v_cmp_u_f32_e64 s4, v5, v5
	buffer_store_dword v13, off, s[0:3], s32 offset:316 ; 4-byte Folded Spill
	v_bfe_u32 v13, v5, 16, 1
	v_mul_f32_e32 v17, v58, v22
	v_bfe_u32 v21, v12, 16, 1
	v_or_b32_e32 v22, 0x400000, v12
	v_lshrrev_b32_e32 v10, 16, v10
	v_add3_u32 v13, v13, v5, 0x7fff
	v_or_b32_e32 v23, 0x400000, v17
	v_add3_u32 v21, v21, v12, 0x7fff
	buffer_store_dword v10, off, s[0:3], s32 offset:320 ; 4-byte Folded Spill
	v_cndmask_b32_e64 v5, v13, v16, s4
	v_add3_u32 v16, v20, v4, 0x7fff
	v_or_b32_e32 v20, 0x400000, v4
	v_cmp_u_f32_e64 s4, v4, v4
	v_bfe_u32 v13, v17, 16, 1
	v_lshrrev_b32_e32 v5, 16, v5
	v_cndmask_b32_e64 v4, v16, v20, s4
	v_cmp_u_f32_e64 s4, v12, v12
	v_add3_u32 v13, v13, v17, 0x7fff
	buffer_store_dword v5, off, s[0:3], s32 offset:328 ; 4-byte Folded Spill
	v_lshrrev_b32_e32 v4, 16, v4
	v_cndmask_b32_e64 v12, v21, v22, s4
	v_cmp_u_f32_e64 s4, v17, v17
	buffer_store_dword v4, off, s[0:3], s32 offset:324 ; 4-byte Folded Spill
	v_lshrrev_b32_e32 v4, 16, v12
	v_cndmask_b32_e64 v13, v13, v23, s4
	buffer_store_dword v4, off, s[0:3], s32 offset:300 ; 4-byte Folded Spill
	v_lshrrev_b32_e32 v4, 16, v13
	buffer_store_dword v4, off, s[0:3], s32 offset:308 ; 4-byte Folded Spill
	s_and_saveexec_b32 s16, vcc_lo
	s_cbranch_execz .LBB380_1261
; %bb.1260:                             ;   in Loop: Header=BB380_1062 Depth=1
	buffer_load_dword v4, off, s[0:3], s32 offset:324 ; 4-byte Folded Reload
	v_cmp_lt_i32_e64 s4, v75, v38
	s_waitcnt vmcnt(0)
	v_cndmask_b32_e64 v4, 0, v4, s4
	v_cmp_lt_i32_e64 s4, v90, v38
	buffer_store_dword v4, off, s[0:3], s32 offset:324 ; 4-byte Folded Spill
	buffer_load_dword v4, off, s[0:3], s32 offset:328 ; 4-byte Folded Reload
	s_waitcnt vmcnt(0)
	v_cndmask_b32_e64 v4, 0, v4, s4
	v_cmp_lt_i32_e64 s4, v89, v38
	buffer_store_dword v4, off, s[0:3], s32 offset:328 ; 4-byte Folded Spill
	buffer_load_dword v4, off, s[0:3], s32 offset:320 ; 4-byte Folded Reload
	;; [unrolled: 5-line block ×7, first 2 shown]
	s_waitcnt vmcnt(0)
	v_cndmask_b32_e64 v4, 0, v4, s4
	buffer_store_dword v4, off, s[0:3], s32 offset:308 ; 4-byte Folded Spill
.LBB380_1261:                           ;   in Loop: Header=BB380_1062 Depth=1
	s_or_b32 exec_lo, exec_lo, s16
	flat_load_dwordx2 v[20:21], v[18:19] offset:768
	v_mov_b32_e32 v5, 0
	v_mov_b32_e32 v4, 0
	s_waitcnt vmcnt(0) lgkmcnt(0)
	v_cmp_ne_u16_sdwa s4, v20, v11 src0_sel:BYTE_0 src1_sel:DWORD
	s_and_saveexec_b32 s16, s4
	s_cbranch_execz .LBB380_1269
; %bb.1262:                             ;   in Loop: Header=BB380_1062 Depth=1
	v_cmp_ne_u16_sdwa s4, v20, v82 src0_sel:BYTE_0 src1_sel:DWORD
	v_bfrev_b32_e32 v4, 1
	s_and_saveexec_b32 s17, s4
	s_cbranch_execz .LBB380_1268
; %bb.1263:                             ;   in Loop: Header=BB380_1062 Depth=1
	v_and_b32_e32 v10, 0x7f, v20
	v_mov_b32_e32 v4, 0x7f800001
	s_mov_b32 s18, exec_lo
	v_cmpx_ne_u32_e32 0x7f, v10
	s_cbranch_execz .LBB380_1267
; %bb.1264:                             ;   in Loop: Header=BB380_1062 Depth=1
	v_mov_b32_e32 v24, v21
	v_lshrrev_b32_e32 v4, 3, v10
	v_mov_b32_e32 v23, v20
	s_mov_b32 s20, exec_lo
	v_cmpx_gt_u32_e32 8, v10
; %bb.1265:                             ;   in Loop: Header=BB380_1062 Depth=1
	v_and_b32_e32 v4, 7, v20
	v_ffbh_u32_e32 v4, v4
	v_min_u32_e32 v4, 32, v4
	v_subrev_nc_u32_e32 v10, 28, v4
	v_sub_nc_u32_e32 v4, 29, v4
	v_lshlrev_b64 v[23:24], v10, v[20:21]
; %bb.1266:                             ;   in Loop: Header=BB380_1062 Depth=1
	s_or_b32 exec_lo, exec_lo, s20
	v_lshlrev_b32_e32 v10, 20, v23
	v_lshlrev_b32_e32 v12, 24, v20
	v_lshl_add_u32 v4, v4, 23, 0x3c000000
	v_and_b32_e32 v10, 0x700000, v10
	v_and_b32_e32 v12, 0x80000000, v12
	v_or3_b32 v4, v10, v12, v4
.LBB380_1267:                           ;   in Loop: Header=BB380_1062 Depth=1
	s_or_b32 exec_lo, exec_lo, s18
.LBB380_1268:                           ;   in Loop: Header=BB380_1062 Depth=1
	s_or_b32 exec_lo, exec_lo, s17
.LBB380_1269:                           ;   in Loop: Header=BB380_1062 Depth=1
	s_or_b32 exec_lo, exec_lo, s16
	v_cmp_ne_u16_sdwa s4, v20, v11 src0_sel:BYTE_1 src1_sel:DWORD
	s_and_saveexec_b32 s16, s4
	s_cbranch_execz .LBB380_1277
; %bb.1270:                             ;   in Loop: Header=BB380_1062 Depth=1
	v_cmp_ne_u16_sdwa s4, v20, v82 src0_sel:BYTE_1 src1_sel:DWORD
	v_bfrev_b32_e32 v5, 1
	s_and_saveexec_b32 s17, s4
	s_cbranch_execz .LBB380_1276
; %bb.1271:                             ;   in Loop: Header=BB380_1062 Depth=1
	v_mov_b32_e32 v5, 0xffff
	s_mov_b32 s18, exec_lo
	v_and_b32_sdwa v10, v5, v20 dst_sel:DWORD dst_unused:UNUSED_PAD src0_sel:DWORD src1_sel:BYTE_1
	v_mov_b32_e32 v5, 0x7f800001
	v_and_b32_e32 v12, 0x7f, v10
	v_cmpx_ne_u32_e32 0x7f, v12
	s_cbranch_execz .LBB380_1275
; %bb.1272:                             ;   in Loop: Header=BB380_1062 Depth=1
	v_and_b32_e32 v10, 7, v10
	v_mov_b32_e32 v24, v11
	v_lshrrev_b32_e32 v5, 3, v12
	s_mov_b32 s20, exec_lo
	v_mov_b32_e32 v23, v10
	v_cmpx_gt_u32_e32 8, v12
; %bb.1273:                             ;   in Loop: Header=BB380_1062 Depth=1
	v_ffbh_u32_e32 v5, v10
	v_min_u32_e32 v5, 32, v5
	v_subrev_nc_u32_e32 v12, 28, v5
	v_sub_nc_u32_e32 v5, 29, v5
	v_lshlrev_b64 v[12:13], v12, v[10:11]
	v_and_b32_e32 v23, 7, v12
; %bb.1274:                             ;   in Loop: Header=BB380_1062 Depth=1
	s_or_b32 exec_lo, exec_lo, s20
	v_lshlrev_b32_e32 v10, 16, v20
	v_lshlrev_b32_e32 v12, 20, v23
	v_lshl_add_u32 v5, v5, 23, 0x3c000000
	v_and_b32_e32 v10, 0x80000000, v10
	v_or3_b32 v5, v12, v10, v5
.LBB380_1275:                           ;   in Loop: Header=BB380_1062 Depth=1
	s_or_b32 exec_lo, exec_lo, s18
.LBB380_1276:                           ;   in Loop: Header=BB380_1062 Depth=1
	s_or_b32 exec_lo, exec_lo, s17
.LBB380_1277:                           ;   in Loop: Header=BB380_1062 Depth=1
	s_or_b32 exec_lo, exec_lo, s16
	v_and_b32_sdwa v10, v20, v84 dst_sel:DWORD dst_unused:UNUSED_PAD src0_sel:WORD_1 src1_sel:DWORD
	v_mov_b32_e32 v13, 0
	v_mov_b32_e32 v12, 0
	s_mov_b32 s16, exec_lo
	v_cmpx_ne_u16_e32 0, v10
	s_cbranch_execz .LBB380_1285
; %bb.1278:                             ;   in Loop: Header=BB380_1062 Depth=1
	v_bfrev_b32_e32 v12, 1
	s_mov_b32 s17, exec_lo
	v_cmpx_ne_u16_e32 0x80, v10
	s_cbranch_execz .LBB380_1284
; %bb.1279:                             ;   in Loop: Header=BB380_1062 Depth=1
	v_bfe_u32 v16, v20, 16, 7
	v_mov_b32_e32 v12, 0x7f800001
	s_mov_b32 s18, exec_lo
	v_cmpx_ne_u32_e32 0x7f, v16
	s_cbranch_execz .LBB380_1283
; %bb.1280:                             ;   in Loop: Header=BB380_1062 Depth=1
	v_mov_b32_e32 v10, 7
	v_lshrrev_b32_e32 v12, 3, v16
	s_mov_b32 s20, exec_lo
	v_and_b32_sdwa v10, v20, v10 dst_sel:DWORD dst_unused:UNUSED_PAD src0_sel:WORD_1 src1_sel:DWORD
	v_mov_b32_e32 v24, v11
	v_mov_b32_e32 v23, v10
	v_cmpx_gt_u32_e32 8, v16
; %bb.1281:                             ;   in Loop: Header=BB380_1062 Depth=1
	v_ffbh_u32_e32 v12, v10
	v_min_u32_e32 v12, 32, v12
	v_subrev_nc_u32_e32 v16, 28, v12
	v_sub_nc_u32_e32 v12, 29, v12
	v_lshlrev_b64 v[16:17], v16, v[10:11]
	v_and_b32_e32 v23, 7, v16
; %bb.1282:                             ;   in Loop: Header=BB380_1062 Depth=1
	s_or_b32 exec_lo, exec_lo, s20
	v_mov_b32_e32 v10, 24
	v_lshlrev_b32_e32 v16, 20, v23
	v_lshl_add_u32 v12, v12, 23, 0x3c000000
	v_lshlrev_b32_sdwa v10, v10, v20 dst_sel:DWORD dst_unused:UNUSED_PAD src0_sel:DWORD src1_sel:WORD_1
	v_and_b32_e32 v10, 0x80000000, v10
	v_or3_b32 v12, v16, v10, v12
.LBB380_1283:                           ;   in Loop: Header=BB380_1062 Depth=1
	s_or_b32 exec_lo, exec_lo, s18
.LBB380_1284:                           ;   in Loop: Header=BB380_1062 Depth=1
	s_or_b32 exec_lo, exec_lo, s17
.LBB380_1285:                           ;   in Loop: Header=BB380_1062 Depth=1
	s_or_b32 exec_lo, exec_lo, s16
	s_mov_b32 s16, exec_lo
	v_cmpx_lt_u32_e32 0xffffff, v20
	s_cbranch_execz .LBB380_1293
; %bb.1286:                             ;   in Loop: Header=BB380_1062 Depth=1
	v_cmp_ne_u32_sdwa s4, v20, v82 src0_sel:BYTE_3 src1_sel:DWORD
	v_bfrev_b32_e32 v13, 1
	s_and_saveexec_b32 s17, s4
	s_cbranch_execz .LBB380_1292
; %bb.1287:                             ;   in Loop: Header=BB380_1062 Depth=1
	v_bfe_u32 v16, v20, 24, 7
	v_mov_b32_e32 v13, 0x7f800001
	s_mov_b32 s18, exec_lo
	v_cmpx_ne_u32_e32 0x7f, v16
	s_cbranch_execz .LBB380_1291
; %bb.1288:                             ;   in Loop: Header=BB380_1062 Depth=1
	v_mov_b32_e32 v10, 7
	v_lshrrev_b32_e32 v13, 3, v16
	s_mov_b32 s20, exec_lo
	v_and_b32_sdwa v10, v20, v10 dst_sel:DWORD dst_unused:UNUSED_PAD src0_sel:BYTE_3 src1_sel:DWORD
	v_mov_b32_e32 v24, v11
	v_mov_b32_e32 v23, v10
	v_cmpx_gt_u32_e32 8, v16
; %bb.1289:                             ;   in Loop: Header=BB380_1062 Depth=1
	v_ffbh_u32_e32 v13, v10
	v_min_u32_e32 v13, 32, v13
	v_subrev_nc_u32_e32 v16, 28, v13
	v_sub_nc_u32_e32 v13, 29, v13
	v_lshlrev_b64 v[16:17], v16, v[10:11]
	v_and_b32_e32 v23, 7, v16
; %bb.1290:                             ;   in Loop: Header=BB380_1062 Depth=1
	s_or_b32 exec_lo, exec_lo, s20
	v_mov_b32_e32 v10, 24
	v_lshlrev_b32_e32 v16, 20, v23
	v_lshl_add_u32 v13, v13, 23, 0x3c000000
	v_lshlrev_b32_sdwa v10, v10, v20 dst_sel:DWORD dst_unused:UNUSED_PAD src0_sel:DWORD src1_sel:BYTE_3
	v_and_b32_e32 v10, 0x80000000, v10
	v_or3_b32 v13, v16, v10, v13
.LBB380_1291:                           ;   in Loop: Header=BB380_1062 Depth=1
	s_or_b32 exec_lo, exec_lo, s18
.LBB380_1292:                           ;   in Loop: Header=BB380_1062 Depth=1
	s_or_b32 exec_lo, exec_lo, s17
.LBB380_1293:                           ;   in Loop: Header=BB380_1062 Depth=1
	s_or_b32 exec_lo, exec_lo, s16
	v_mov_b32_e32 v10, v21
	v_cmp_ne_u16_sdwa s4, v21, v11 src0_sel:BYTE_0 src1_sel:DWORD
	v_mov_b32_e32 v17, 0
	v_mov_b32_e32 v16, 0
	s_and_saveexec_b32 s16, s4
	s_cbranch_execz .LBB380_1301
; %bb.1294:                             ;   in Loop: Header=BB380_1062 Depth=1
	v_cmp_ne_u16_sdwa s4, v21, v82 src0_sel:BYTE_0 src1_sel:DWORD
	v_bfrev_b32_e32 v16, 1
	s_and_saveexec_b32 s17, s4
	s_cbranch_execz .LBB380_1300
; %bb.1295:                             ;   in Loop: Header=BB380_1062 Depth=1
	v_and_b32_e32 v22, 0x7f, v21
	v_mov_b32_e32 v16, 0x7f800001
	s_mov_b32 s18, exec_lo
	v_cmpx_ne_u32_e32 0x7f, v22
	s_cbranch_execz .LBB380_1299
; %bb.1296:                             ;   in Loop: Header=BB380_1062 Depth=1
	v_mov_b32_e32 v24, v11
	v_lshrrev_b32_e32 v16, 3, v22
	v_mov_b32_e32 v23, v10
	s_mov_b32 s20, exec_lo
	v_cmpx_gt_u32_e32 8, v22
; %bb.1297:                             ;   in Loop: Header=BB380_1062 Depth=1
	v_and_b32_e32 v16, 7, v21
	v_ffbh_u32_e32 v16, v16
	v_min_u32_e32 v16, 32, v16
	v_subrev_nc_u32_e32 v22, 28, v16
	v_sub_nc_u32_e32 v16, 29, v16
	v_lshlrev_b64 v[23:24], v22, v[10:11]
; %bb.1298:                             ;   in Loop: Header=BB380_1062 Depth=1
	s_or_b32 exec_lo, exec_lo, s20
	v_lshlrev_b32_e32 v22, 20, v23
	v_lshlrev_b32_e32 v23, 24, v10
	v_lshl_add_u32 v16, v16, 23, 0x3c000000
	v_and_b32_e32 v22, 0x700000, v22
	v_and_b32_e32 v23, 0x80000000, v23
	v_or3_b32 v16, v22, v23, v16
.LBB380_1299:                           ;   in Loop: Header=BB380_1062 Depth=1
	s_or_b32 exec_lo, exec_lo, s18
.LBB380_1300:                           ;   in Loop: Header=BB380_1062 Depth=1
	s_or_b32 exec_lo, exec_lo, s17
.LBB380_1301:                           ;   in Loop: Header=BB380_1062 Depth=1
	s_or_b32 exec_lo, exec_lo, s16
	v_cmp_ne_u16_sdwa s4, v10, v11 src0_sel:BYTE_1 src1_sel:DWORD
	s_and_saveexec_b32 s16, s4
	s_cbranch_execz .LBB380_1309
; %bb.1302:                             ;   in Loop: Header=BB380_1062 Depth=1
	v_cmp_ne_u16_sdwa s4, v10, v82 src0_sel:BYTE_1 src1_sel:DWORD
	v_bfrev_b32_e32 v17, 1
	s_and_saveexec_b32 s17, s4
	s_cbranch_execz .LBB380_1308
; %bb.1303:                             ;   in Loop: Header=BB380_1062 Depth=1
	v_mov_b32_e32 v17, 0xffff
	s_mov_b32 s18, exec_lo
	v_and_b32_sdwa v23, v17, v10 dst_sel:DWORD dst_unused:UNUSED_PAD src0_sel:DWORD src1_sel:BYTE_1
	v_mov_b32_e32 v17, 0x7f800001
	v_and_b32_e32 v22, 0x7f, v23
	v_cmpx_ne_u32_e32 0x7f, v22
	s_cbranch_execz .LBB380_1307
; %bb.1304:                             ;   in Loop: Header=BB380_1062 Depth=1
	v_and_b32_e32 v23, 7, v23
	v_mov_b32_e32 v24, v11
	v_lshrrev_b32_e32 v17, 3, v22
	s_mov_b32 s20, exec_lo
	v_cmpx_gt_u32_e32 8, v22
; %bb.1305:                             ;   in Loop: Header=BB380_1062 Depth=1
	v_ffbh_u32_e32 v17, v23
	v_min_u32_e32 v17, 32, v17
	v_subrev_nc_u32_e32 v22, 28, v17
	v_sub_nc_u32_e32 v17, 29, v17
	v_lshlrev_b64 v[22:23], v22, v[23:24]
	v_and_b32_e32 v23, 7, v22
; %bb.1306:                             ;   in Loop: Header=BB380_1062 Depth=1
	s_or_b32 exec_lo, exec_lo, s20
	v_lshlrev_b32_e32 v10, 16, v10
	v_lshlrev_b32_e32 v22, 20, v23
	v_lshl_add_u32 v17, v17, 23, 0x3c000000
	v_and_b32_e32 v10, 0x80000000, v10
	v_or3_b32 v17, v22, v10, v17
.LBB380_1307:                           ;   in Loop: Header=BB380_1062 Depth=1
	s_or_b32 exec_lo, exec_lo, s18
.LBB380_1308:                           ;   in Loop: Header=BB380_1062 Depth=1
	s_or_b32 exec_lo, exec_lo, s17
.LBB380_1309:                           ;   in Loop: Header=BB380_1062 Depth=1
	s_or_b32 exec_lo, exec_lo, s16
	v_and_b32_sdwa v10, v21, v84 dst_sel:DWORD dst_unused:UNUSED_PAD src0_sel:WORD_1 src1_sel:DWORD
	v_mov_b32_e32 v22, 0
	v_mov_b32_e32 v25, 0
	s_mov_b32 s16, exec_lo
	v_cmpx_ne_u16_e32 0, v10
	s_cbranch_execz .LBB380_1317
; %bb.1310:                             ;   in Loop: Header=BB380_1062 Depth=1
	v_bfrev_b32_e32 v25, 1
	s_mov_b32 s17, exec_lo
	v_cmpx_ne_u16_e32 0x80, v10
	s_cbranch_execz .LBB380_1316
; %bb.1311:                             ;   in Loop: Header=BB380_1062 Depth=1
	v_bfe_u32 v23, v21, 16, 7
	v_mov_b32_e32 v25, 0x7f800001
	s_mov_b32 s18, exec_lo
	v_cmpx_ne_u32_e32 0x7f, v23
	s_cbranch_execz .LBB380_1315
; %bb.1312:                             ;   in Loop: Header=BB380_1062 Depth=1
	v_mov_b32_e32 v10, 7
	v_lshrrev_b32_e32 v25, 3, v23
	v_cmp_gt_u32_e64 s4, 8, v23
	v_and_b32_sdwa v10, v21, v10 dst_sel:DWORD dst_unused:UNUSED_PAD src0_sel:WORD_1 src1_sel:DWORD
	v_mov_b32_e32 v24, v11
	v_mov_b32_e32 v23, v10
	s_and_saveexec_b32 s20, s4
; %bb.1313:                             ;   in Loop: Header=BB380_1062 Depth=1
	v_ffbh_u32_e32 v23, v10
	v_min_u32_e32 v25, 32, v23
	v_subrev_nc_u32_e32 v23, 28, v25
	v_sub_nc_u32_e32 v25, 29, v25
	v_lshlrev_b64 v[23:24], v23, v[10:11]
	v_and_b32_e32 v23, 7, v23
; %bb.1314:                             ;   in Loop: Header=BB380_1062 Depth=1
	s_or_b32 exec_lo, exec_lo, s20
	v_mov_b32_e32 v10, 24
	v_lshlrev_b32_e32 v23, 20, v23
	v_lshl_add_u32 v24, v25, 23, 0x3c000000
	v_lshlrev_b32_sdwa v10, v10, v21 dst_sel:DWORD dst_unused:UNUSED_PAD src0_sel:DWORD src1_sel:WORD_1
	v_and_b32_e32 v10, 0x80000000, v10
	v_or3_b32 v25, v23, v10, v24
.LBB380_1315:                           ;   in Loop: Header=BB380_1062 Depth=1
	s_or_b32 exec_lo, exec_lo, s18
.LBB380_1316:                           ;   in Loop: Header=BB380_1062 Depth=1
	s_or_b32 exec_lo, exec_lo, s17
.LBB380_1317:                           ;   in Loop: Header=BB380_1062 Depth=1
	s_or_b32 exec_lo, exec_lo, s16
	s_mov_b32 s16, exec_lo
	v_cmpx_lt_u64_e64 s[12:13], v[20:21]
	s_cbranch_execz .LBB380_1325
; %bb.1318:                             ;   in Loop: Header=BB380_1062 Depth=1
	v_cmp_ne_u32_sdwa s4, v21, v82 src0_sel:BYTE_3 src1_sel:DWORD
	v_bfrev_b32_e32 v22, 1
	s_and_saveexec_b32 s17, s4
	s_cbranch_execz .LBB380_1324
; %bb.1319:                             ;   in Loop: Header=BB380_1062 Depth=1
	v_bfe_u32 v23, v21, 24, 7
	v_mov_b32_e32 v22, 0x7f800001
	s_mov_b32 s18, exec_lo
	v_cmpx_ne_u32_e32 0x7f, v23
	s_cbranch_execz .LBB380_1323
; %bb.1320:                             ;   in Loop: Header=BB380_1062 Depth=1
	v_mov_b32_e32 v10, 7
	v_lshrrev_b32_e32 v20, 3, v23
	v_cmp_gt_u32_e64 s4, 8, v23
	v_and_b32_sdwa v10, v21, v10 dst_sel:DWORD dst_unused:UNUSED_PAD src0_sel:BYTE_3 src1_sel:DWORD
	v_mov_b32_e32 v24, v11
	v_mov_b32_e32 v23, v10
	s_and_saveexec_b32 s20, s4
; %bb.1321:                             ;   in Loop: Header=BB380_1062 Depth=1
	v_ffbh_u32_e32 v20, v10
	v_min_u32_e32 v20, 32, v20
	v_subrev_nc_u32_e32 v22, 28, v20
	v_sub_nc_u32_e32 v20, 29, v20
	v_lshlrev_b64 v[22:23], v22, v[10:11]
	v_and_b32_e32 v23, 7, v22
; %bb.1322:                             ;   in Loop: Header=BB380_1062 Depth=1
	s_or_b32 exec_lo, exec_lo, s20
	v_mov_b32_e32 v10, 24
	v_lshl_add_u32 v20, v20, 23, 0x3c000000
	v_lshlrev_b32_sdwa v10, v10, v21 dst_sel:DWORD dst_unused:UNUSED_PAD src0_sel:DWORD src1_sel:BYTE_3
	v_lshlrev_b32_e32 v21, 20, v23
	v_and_b32_e32 v10, 0x80000000, v10
	v_or3_b32 v22, v21, v10, v20
.LBB380_1323:                           ;   in Loop: Header=BB380_1062 Depth=1
	s_or_b32 exec_lo, exec_lo, s18
.LBB380_1324:                           ;   in Loop: Header=BB380_1062 Depth=1
	s_or_b32 exec_lo, exec_lo, s17
.LBB380_1325:                           ;   in Loop: Header=BB380_1062 Depth=1
	s_or_b32 exec_lo, exec_lo, s16
	v_mul_f32_e32 v10, v58, v17
	v_mul_f32_e32 v16, v58, v16
	;; [unrolled: 1-line block ×5, first 2 shown]
	v_bfe_u32 v17, v10, 16, 1
	v_or_b32_e32 v20, 0x400000, v10
	v_bfe_u32 v21, v16, 16, 1
	v_cmp_u_f32_e64 s4, v10, v10
	v_or_b32_e32 v23, 0x400000, v16
	v_add3_u32 v17, v17, v10, 0x7fff
	v_bfe_u32 v24, v13, 16, 1
	v_add3_u32 v21, v21, v16, 0x7fff
	v_or_b32_e32 v26, 0x400000, v13
	v_bfe_u32 v27, v12, 16, 1
	v_cndmask_b32_e64 v10, v17, v20, s4
	v_cmp_u_f32_e64 s4, v16, v16
	v_add3_u32 v24, v24, v13, 0x7fff
	v_or_b32_e32 v17, 0x400000, v12
	v_mul_f32_e32 v4, v58, v4
	v_lshrrev_b32_e32 v10, 16, v10
	v_cndmask_b32_e64 v16, v21, v23, s4
	v_cmp_u_f32_e64 s4, v13, v13
	v_bfe_u32 v20, v4, 16, 1
	buffer_store_dword v10, off, s[0:3], s32 offset:344 ; 4-byte Folded Spill
	v_add3_u32 v10, v27, v12, 0x7fff
	v_cndmask_b32_e64 v13, v24, v26, s4
	v_lshrrev_b32_e32 v16, 16, v16
	v_cmp_u_f32_e64 s4, v12, v12
	v_mul_f32_e32 v12, v58, v25
	v_lshrrev_b32_e32 v13, 16, v13
	buffer_store_dword v16, off, s[0:3], s32 offset:336 ; 4-byte Folded Spill
	v_cndmask_b32_e64 v10, v10, v17, s4
	v_or_b32_e32 v16, 0x400000, v5
	v_cmp_u_f32_e64 s4, v5, v5
	buffer_store_dword v13, off, s[0:3], s32 offset:348 ; 4-byte Folded Spill
	v_bfe_u32 v13, v5, 16, 1
	v_mul_f32_e32 v17, v58, v22
	v_bfe_u32 v21, v12, 16, 1
	v_or_b32_e32 v22, 0x400000, v12
	v_lshrrev_b32_e32 v10, 16, v10
	v_add3_u32 v13, v13, v5, 0x7fff
	v_or_b32_e32 v23, 0x400000, v17
	v_add3_u32 v21, v21, v12, 0x7fff
	buffer_store_dword v10, off, s[0:3], s32 offset:352 ; 4-byte Folded Spill
	v_cndmask_b32_e64 v5, v13, v16, s4
	v_add3_u32 v16, v20, v4, 0x7fff
	v_or_b32_e32 v20, 0x400000, v4
	v_cmp_u_f32_e64 s4, v4, v4
	v_bfe_u32 v13, v17, 16, 1
	v_lshrrev_b32_e32 v5, 16, v5
	v_cndmask_b32_e64 v4, v16, v20, s4
	v_cmp_u_f32_e64 s4, v12, v12
	v_add3_u32 v13, v13, v17, 0x7fff
	buffer_store_dword v5, off, s[0:3], s32 offset:360 ; 4-byte Folded Spill
	v_lshrrev_b32_e32 v4, 16, v4
	v_cndmask_b32_e64 v12, v21, v22, s4
	v_cmp_u_f32_e64 s4, v17, v17
	buffer_store_dword v4, off, s[0:3], s32 offset:356 ; 4-byte Folded Spill
	v_lshrrev_b32_e32 v4, 16, v12
	v_cndmask_b32_e64 v13, v13, v23, s4
	buffer_store_dword v4, off, s[0:3], s32 offset:332 ; 4-byte Folded Spill
	v_lshrrev_b32_e32 v4, 16, v13
	buffer_store_dword v4, off, s[0:3], s32 offset:340 ; 4-byte Folded Spill
	s_and_saveexec_b32 s16, vcc_lo
	s_cbranch_execz .LBB380_1327
; %bb.1326:                             ;   in Loop: Header=BB380_1062 Depth=1
	buffer_load_dword v4, off, s[0:3], s32 offset:356 ; 4-byte Folded Reload
	v_cmp_lt_i32_e64 s4, v75, v38
	s_waitcnt vmcnt(0)
	v_cndmask_b32_e64 v4, 0, v4, s4
	v_cmp_lt_i32_e64 s4, v90, v38
	buffer_store_dword v4, off, s[0:3], s32 offset:356 ; 4-byte Folded Spill
	buffer_load_dword v4, off, s[0:3], s32 offset:360 ; 4-byte Folded Reload
	s_waitcnt vmcnt(0)
	v_cndmask_b32_e64 v4, 0, v4, s4
	v_cmp_lt_i32_e64 s4, v89, v38
	buffer_store_dword v4, off, s[0:3], s32 offset:360 ; 4-byte Folded Spill
	buffer_load_dword v4, off, s[0:3], s32 offset:352 ; 4-byte Folded Reload
	;; [unrolled: 5-line block ×7, first 2 shown]
	s_waitcnt vmcnt(0)
	v_cndmask_b32_e64 v4, 0, v4, s4
	buffer_store_dword v4, off, s[0:3], s32 offset:340 ; 4-byte Folded Spill
.LBB380_1327:                           ;   in Loop: Header=BB380_1062 Depth=1
	s_or_b32 exec_lo, exec_lo, s16
	flat_load_dwordx2 v[20:21], v[18:19] offset:1024
	v_mov_b32_e32 v5, 0
	v_mov_b32_e32 v4, 0
	s_waitcnt vmcnt(0) lgkmcnt(0)
	v_cmp_ne_u16_sdwa s4, v20, v11 src0_sel:BYTE_0 src1_sel:DWORD
	s_and_saveexec_b32 s16, s4
	s_cbranch_execz .LBB380_1335
; %bb.1328:                             ;   in Loop: Header=BB380_1062 Depth=1
	v_cmp_ne_u16_sdwa s4, v20, v82 src0_sel:BYTE_0 src1_sel:DWORD
	v_bfrev_b32_e32 v4, 1
	s_and_saveexec_b32 s17, s4
	s_cbranch_execz .LBB380_1334
; %bb.1329:                             ;   in Loop: Header=BB380_1062 Depth=1
	v_and_b32_e32 v10, 0x7f, v20
	v_mov_b32_e32 v4, 0x7f800001
	s_mov_b32 s18, exec_lo
	v_cmpx_ne_u32_e32 0x7f, v10
	s_cbranch_execz .LBB380_1333
; %bb.1330:                             ;   in Loop: Header=BB380_1062 Depth=1
	v_mov_b32_e32 v24, v21
	v_lshrrev_b32_e32 v4, 3, v10
	v_mov_b32_e32 v23, v20
	s_mov_b32 s20, exec_lo
	v_cmpx_gt_u32_e32 8, v10
; %bb.1331:                             ;   in Loop: Header=BB380_1062 Depth=1
	v_and_b32_e32 v4, 7, v20
	v_ffbh_u32_e32 v4, v4
	v_min_u32_e32 v4, 32, v4
	v_subrev_nc_u32_e32 v10, 28, v4
	v_sub_nc_u32_e32 v4, 29, v4
	v_lshlrev_b64 v[23:24], v10, v[20:21]
; %bb.1332:                             ;   in Loop: Header=BB380_1062 Depth=1
	s_or_b32 exec_lo, exec_lo, s20
	v_lshlrev_b32_e32 v10, 20, v23
	v_lshlrev_b32_e32 v12, 24, v20
	v_lshl_add_u32 v4, v4, 23, 0x3c000000
	v_and_b32_e32 v10, 0x700000, v10
	v_and_b32_e32 v12, 0x80000000, v12
	v_or3_b32 v4, v10, v12, v4
.LBB380_1333:                           ;   in Loop: Header=BB380_1062 Depth=1
	s_or_b32 exec_lo, exec_lo, s18
.LBB380_1334:                           ;   in Loop: Header=BB380_1062 Depth=1
	s_or_b32 exec_lo, exec_lo, s17
.LBB380_1335:                           ;   in Loop: Header=BB380_1062 Depth=1
	s_or_b32 exec_lo, exec_lo, s16
	v_cmp_ne_u16_sdwa s4, v20, v11 src0_sel:BYTE_1 src1_sel:DWORD
	s_and_saveexec_b32 s16, s4
	s_cbranch_execz .LBB380_1343
; %bb.1336:                             ;   in Loop: Header=BB380_1062 Depth=1
	v_cmp_ne_u16_sdwa s4, v20, v82 src0_sel:BYTE_1 src1_sel:DWORD
	v_bfrev_b32_e32 v5, 1
	s_and_saveexec_b32 s17, s4
	s_cbranch_execz .LBB380_1342
; %bb.1337:                             ;   in Loop: Header=BB380_1062 Depth=1
	v_mov_b32_e32 v5, 0xffff
	s_mov_b32 s18, exec_lo
	v_and_b32_sdwa v10, v5, v20 dst_sel:DWORD dst_unused:UNUSED_PAD src0_sel:DWORD src1_sel:BYTE_1
	v_mov_b32_e32 v5, 0x7f800001
	v_and_b32_e32 v12, 0x7f, v10
	v_cmpx_ne_u32_e32 0x7f, v12
	s_cbranch_execz .LBB380_1341
; %bb.1338:                             ;   in Loop: Header=BB380_1062 Depth=1
	v_and_b32_e32 v10, 7, v10
	v_mov_b32_e32 v24, v11
	v_lshrrev_b32_e32 v5, 3, v12
	s_mov_b32 s20, exec_lo
	v_mov_b32_e32 v23, v10
	v_cmpx_gt_u32_e32 8, v12
; %bb.1339:                             ;   in Loop: Header=BB380_1062 Depth=1
	v_ffbh_u32_e32 v5, v10
	v_min_u32_e32 v5, 32, v5
	v_subrev_nc_u32_e32 v12, 28, v5
	v_sub_nc_u32_e32 v5, 29, v5
	v_lshlrev_b64 v[12:13], v12, v[10:11]
	v_and_b32_e32 v23, 7, v12
; %bb.1340:                             ;   in Loop: Header=BB380_1062 Depth=1
	s_or_b32 exec_lo, exec_lo, s20
	v_lshlrev_b32_e32 v10, 16, v20
	v_lshlrev_b32_e32 v12, 20, v23
	v_lshl_add_u32 v5, v5, 23, 0x3c000000
	v_and_b32_e32 v10, 0x80000000, v10
	v_or3_b32 v5, v12, v10, v5
.LBB380_1341:                           ;   in Loop: Header=BB380_1062 Depth=1
	s_or_b32 exec_lo, exec_lo, s18
.LBB380_1342:                           ;   in Loop: Header=BB380_1062 Depth=1
	s_or_b32 exec_lo, exec_lo, s17
.LBB380_1343:                           ;   in Loop: Header=BB380_1062 Depth=1
	s_or_b32 exec_lo, exec_lo, s16
	v_and_b32_sdwa v10, v20, v84 dst_sel:DWORD dst_unused:UNUSED_PAD src0_sel:WORD_1 src1_sel:DWORD
	v_mov_b32_e32 v13, 0
	v_mov_b32_e32 v12, 0
	s_mov_b32 s16, exec_lo
	v_cmpx_ne_u16_e32 0, v10
	s_cbranch_execz .LBB380_1351
; %bb.1344:                             ;   in Loop: Header=BB380_1062 Depth=1
	v_bfrev_b32_e32 v12, 1
	s_mov_b32 s17, exec_lo
	v_cmpx_ne_u16_e32 0x80, v10
	s_cbranch_execz .LBB380_1350
; %bb.1345:                             ;   in Loop: Header=BB380_1062 Depth=1
	v_bfe_u32 v16, v20, 16, 7
	v_mov_b32_e32 v12, 0x7f800001
	s_mov_b32 s18, exec_lo
	v_cmpx_ne_u32_e32 0x7f, v16
	s_cbranch_execz .LBB380_1349
; %bb.1346:                             ;   in Loop: Header=BB380_1062 Depth=1
	v_mov_b32_e32 v10, 7
	v_lshrrev_b32_e32 v12, 3, v16
	s_mov_b32 s20, exec_lo
	v_and_b32_sdwa v10, v20, v10 dst_sel:DWORD dst_unused:UNUSED_PAD src0_sel:WORD_1 src1_sel:DWORD
	v_mov_b32_e32 v24, v11
	v_mov_b32_e32 v23, v10
	v_cmpx_gt_u32_e32 8, v16
; %bb.1347:                             ;   in Loop: Header=BB380_1062 Depth=1
	v_ffbh_u32_e32 v12, v10
	v_min_u32_e32 v12, 32, v12
	v_subrev_nc_u32_e32 v16, 28, v12
	v_sub_nc_u32_e32 v12, 29, v12
	v_lshlrev_b64 v[16:17], v16, v[10:11]
	v_and_b32_e32 v23, 7, v16
; %bb.1348:                             ;   in Loop: Header=BB380_1062 Depth=1
	s_or_b32 exec_lo, exec_lo, s20
	v_mov_b32_e32 v10, 24
	v_lshlrev_b32_e32 v16, 20, v23
	v_lshl_add_u32 v12, v12, 23, 0x3c000000
	v_lshlrev_b32_sdwa v10, v10, v20 dst_sel:DWORD dst_unused:UNUSED_PAD src0_sel:DWORD src1_sel:WORD_1
	v_and_b32_e32 v10, 0x80000000, v10
	v_or3_b32 v12, v16, v10, v12
.LBB380_1349:                           ;   in Loop: Header=BB380_1062 Depth=1
	s_or_b32 exec_lo, exec_lo, s18
.LBB380_1350:                           ;   in Loop: Header=BB380_1062 Depth=1
	s_or_b32 exec_lo, exec_lo, s17
.LBB380_1351:                           ;   in Loop: Header=BB380_1062 Depth=1
	s_or_b32 exec_lo, exec_lo, s16
	s_mov_b32 s16, exec_lo
	v_cmpx_lt_u32_e32 0xffffff, v20
	s_cbranch_execz .LBB380_1359
; %bb.1352:                             ;   in Loop: Header=BB380_1062 Depth=1
	v_cmp_ne_u32_sdwa s4, v20, v82 src0_sel:BYTE_3 src1_sel:DWORD
	v_bfrev_b32_e32 v13, 1
	s_and_saveexec_b32 s17, s4
	s_cbranch_execz .LBB380_1358
; %bb.1353:                             ;   in Loop: Header=BB380_1062 Depth=1
	v_bfe_u32 v16, v20, 24, 7
	v_mov_b32_e32 v13, 0x7f800001
	s_mov_b32 s18, exec_lo
	v_cmpx_ne_u32_e32 0x7f, v16
	s_cbranch_execz .LBB380_1357
; %bb.1354:                             ;   in Loop: Header=BB380_1062 Depth=1
	v_mov_b32_e32 v10, 7
	v_lshrrev_b32_e32 v13, 3, v16
	s_mov_b32 s20, exec_lo
	v_and_b32_sdwa v10, v20, v10 dst_sel:DWORD dst_unused:UNUSED_PAD src0_sel:BYTE_3 src1_sel:DWORD
	v_mov_b32_e32 v24, v11
	v_mov_b32_e32 v23, v10
	v_cmpx_gt_u32_e32 8, v16
; %bb.1355:                             ;   in Loop: Header=BB380_1062 Depth=1
	v_ffbh_u32_e32 v13, v10
	v_min_u32_e32 v13, 32, v13
	v_subrev_nc_u32_e32 v16, 28, v13
	v_sub_nc_u32_e32 v13, 29, v13
	v_lshlrev_b64 v[16:17], v16, v[10:11]
	v_and_b32_e32 v23, 7, v16
; %bb.1356:                             ;   in Loop: Header=BB380_1062 Depth=1
	s_or_b32 exec_lo, exec_lo, s20
	v_mov_b32_e32 v10, 24
	v_lshlrev_b32_e32 v16, 20, v23
	v_lshl_add_u32 v13, v13, 23, 0x3c000000
	v_lshlrev_b32_sdwa v10, v10, v20 dst_sel:DWORD dst_unused:UNUSED_PAD src0_sel:DWORD src1_sel:BYTE_3
	v_and_b32_e32 v10, 0x80000000, v10
	v_or3_b32 v13, v16, v10, v13
.LBB380_1357:                           ;   in Loop: Header=BB380_1062 Depth=1
	s_or_b32 exec_lo, exec_lo, s18
.LBB380_1358:                           ;   in Loop: Header=BB380_1062 Depth=1
	s_or_b32 exec_lo, exec_lo, s17
.LBB380_1359:                           ;   in Loop: Header=BB380_1062 Depth=1
	s_or_b32 exec_lo, exec_lo, s16
	v_mov_b32_e32 v10, v21
	v_cmp_ne_u16_sdwa s4, v21, v11 src0_sel:BYTE_0 src1_sel:DWORD
	v_mov_b32_e32 v17, 0
	v_mov_b32_e32 v16, 0
	s_and_saveexec_b32 s16, s4
	s_cbranch_execz .LBB380_1367
; %bb.1360:                             ;   in Loop: Header=BB380_1062 Depth=1
	v_cmp_ne_u16_sdwa s4, v21, v82 src0_sel:BYTE_0 src1_sel:DWORD
	v_bfrev_b32_e32 v16, 1
	s_and_saveexec_b32 s17, s4
	s_cbranch_execz .LBB380_1366
; %bb.1361:                             ;   in Loop: Header=BB380_1062 Depth=1
	v_and_b32_e32 v22, 0x7f, v21
	v_mov_b32_e32 v16, 0x7f800001
	s_mov_b32 s18, exec_lo
	v_cmpx_ne_u32_e32 0x7f, v22
	s_cbranch_execz .LBB380_1365
; %bb.1362:                             ;   in Loop: Header=BB380_1062 Depth=1
	v_mov_b32_e32 v24, v11
	v_lshrrev_b32_e32 v16, 3, v22
	v_mov_b32_e32 v23, v10
	s_mov_b32 s20, exec_lo
	v_cmpx_gt_u32_e32 8, v22
; %bb.1363:                             ;   in Loop: Header=BB380_1062 Depth=1
	v_and_b32_e32 v16, 7, v21
	v_ffbh_u32_e32 v16, v16
	v_min_u32_e32 v16, 32, v16
	v_subrev_nc_u32_e32 v22, 28, v16
	v_sub_nc_u32_e32 v16, 29, v16
	v_lshlrev_b64 v[23:24], v22, v[10:11]
; %bb.1364:                             ;   in Loop: Header=BB380_1062 Depth=1
	s_or_b32 exec_lo, exec_lo, s20
	v_lshlrev_b32_e32 v22, 20, v23
	v_lshlrev_b32_e32 v23, 24, v10
	v_lshl_add_u32 v16, v16, 23, 0x3c000000
	v_and_b32_e32 v22, 0x700000, v22
	v_and_b32_e32 v23, 0x80000000, v23
	v_or3_b32 v16, v22, v23, v16
.LBB380_1365:                           ;   in Loop: Header=BB380_1062 Depth=1
	s_or_b32 exec_lo, exec_lo, s18
.LBB380_1366:                           ;   in Loop: Header=BB380_1062 Depth=1
	s_or_b32 exec_lo, exec_lo, s17
.LBB380_1367:                           ;   in Loop: Header=BB380_1062 Depth=1
	s_or_b32 exec_lo, exec_lo, s16
	v_cmp_ne_u16_sdwa s4, v10, v11 src0_sel:BYTE_1 src1_sel:DWORD
	s_and_saveexec_b32 s16, s4
	s_cbranch_execz .LBB380_1375
; %bb.1368:                             ;   in Loop: Header=BB380_1062 Depth=1
	v_cmp_ne_u16_sdwa s4, v10, v82 src0_sel:BYTE_1 src1_sel:DWORD
	v_bfrev_b32_e32 v17, 1
	s_and_saveexec_b32 s17, s4
	s_cbranch_execz .LBB380_1374
; %bb.1369:                             ;   in Loop: Header=BB380_1062 Depth=1
	v_mov_b32_e32 v17, 0xffff
	s_mov_b32 s18, exec_lo
	v_and_b32_sdwa v23, v17, v10 dst_sel:DWORD dst_unused:UNUSED_PAD src0_sel:DWORD src1_sel:BYTE_1
	v_mov_b32_e32 v17, 0x7f800001
	v_and_b32_e32 v22, 0x7f, v23
	v_cmpx_ne_u32_e32 0x7f, v22
	s_cbranch_execz .LBB380_1373
; %bb.1370:                             ;   in Loop: Header=BB380_1062 Depth=1
	v_and_b32_e32 v23, 7, v23
	v_mov_b32_e32 v24, v11
	v_lshrrev_b32_e32 v17, 3, v22
	s_mov_b32 s20, exec_lo
	v_cmpx_gt_u32_e32 8, v22
; %bb.1371:                             ;   in Loop: Header=BB380_1062 Depth=1
	v_ffbh_u32_e32 v17, v23
	v_min_u32_e32 v17, 32, v17
	v_subrev_nc_u32_e32 v22, 28, v17
	v_sub_nc_u32_e32 v17, 29, v17
	v_lshlrev_b64 v[22:23], v22, v[23:24]
	v_and_b32_e32 v23, 7, v22
; %bb.1372:                             ;   in Loop: Header=BB380_1062 Depth=1
	s_or_b32 exec_lo, exec_lo, s20
	v_lshlrev_b32_e32 v10, 16, v10
	v_lshlrev_b32_e32 v22, 20, v23
	v_lshl_add_u32 v17, v17, 23, 0x3c000000
	v_and_b32_e32 v10, 0x80000000, v10
	v_or3_b32 v17, v22, v10, v17
.LBB380_1373:                           ;   in Loop: Header=BB380_1062 Depth=1
	s_or_b32 exec_lo, exec_lo, s18
.LBB380_1374:                           ;   in Loop: Header=BB380_1062 Depth=1
	s_or_b32 exec_lo, exec_lo, s17
.LBB380_1375:                           ;   in Loop: Header=BB380_1062 Depth=1
	s_or_b32 exec_lo, exec_lo, s16
	v_and_b32_sdwa v10, v21, v84 dst_sel:DWORD dst_unused:UNUSED_PAD src0_sel:WORD_1 src1_sel:DWORD
	v_mov_b32_e32 v22, 0
	v_mov_b32_e32 v25, 0
	s_mov_b32 s16, exec_lo
	v_cmpx_ne_u16_e32 0, v10
	s_cbranch_execz .LBB380_1383
; %bb.1376:                             ;   in Loop: Header=BB380_1062 Depth=1
	v_bfrev_b32_e32 v25, 1
	s_mov_b32 s17, exec_lo
	v_cmpx_ne_u16_e32 0x80, v10
	s_cbranch_execz .LBB380_1382
; %bb.1377:                             ;   in Loop: Header=BB380_1062 Depth=1
	v_bfe_u32 v23, v21, 16, 7
	v_mov_b32_e32 v25, 0x7f800001
	s_mov_b32 s18, exec_lo
	v_cmpx_ne_u32_e32 0x7f, v23
	s_cbranch_execz .LBB380_1381
; %bb.1378:                             ;   in Loop: Header=BB380_1062 Depth=1
	v_mov_b32_e32 v10, 7
	v_lshrrev_b32_e32 v25, 3, v23
	v_cmp_gt_u32_e64 s4, 8, v23
	v_and_b32_sdwa v10, v21, v10 dst_sel:DWORD dst_unused:UNUSED_PAD src0_sel:WORD_1 src1_sel:DWORD
	v_mov_b32_e32 v24, v11
	v_mov_b32_e32 v23, v10
	s_and_saveexec_b32 s20, s4
; %bb.1379:                             ;   in Loop: Header=BB380_1062 Depth=1
	v_ffbh_u32_e32 v23, v10
	v_min_u32_e32 v25, 32, v23
	v_subrev_nc_u32_e32 v23, 28, v25
	v_sub_nc_u32_e32 v25, 29, v25
	v_lshlrev_b64 v[23:24], v23, v[10:11]
	v_and_b32_e32 v23, 7, v23
; %bb.1380:                             ;   in Loop: Header=BB380_1062 Depth=1
	s_or_b32 exec_lo, exec_lo, s20
	v_mov_b32_e32 v10, 24
	v_lshlrev_b32_e32 v23, 20, v23
	v_lshl_add_u32 v24, v25, 23, 0x3c000000
	v_lshlrev_b32_sdwa v10, v10, v21 dst_sel:DWORD dst_unused:UNUSED_PAD src0_sel:DWORD src1_sel:WORD_1
	v_and_b32_e32 v10, 0x80000000, v10
	v_or3_b32 v25, v23, v10, v24
.LBB380_1381:                           ;   in Loop: Header=BB380_1062 Depth=1
	s_or_b32 exec_lo, exec_lo, s18
.LBB380_1382:                           ;   in Loop: Header=BB380_1062 Depth=1
	s_or_b32 exec_lo, exec_lo, s17
.LBB380_1383:                           ;   in Loop: Header=BB380_1062 Depth=1
	s_or_b32 exec_lo, exec_lo, s16
	s_mov_b32 s16, exec_lo
	v_cmpx_lt_u64_e64 s[12:13], v[20:21]
	s_cbranch_execz .LBB380_1391
; %bb.1384:                             ;   in Loop: Header=BB380_1062 Depth=1
	v_cmp_ne_u32_sdwa s4, v21, v82 src0_sel:BYTE_3 src1_sel:DWORD
	v_bfrev_b32_e32 v22, 1
	s_and_saveexec_b32 s17, s4
	s_cbranch_execz .LBB380_1390
; %bb.1385:                             ;   in Loop: Header=BB380_1062 Depth=1
	v_bfe_u32 v23, v21, 24, 7
	v_mov_b32_e32 v22, 0x7f800001
	s_mov_b32 s18, exec_lo
	v_cmpx_ne_u32_e32 0x7f, v23
	s_cbranch_execz .LBB380_1389
; %bb.1386:                             ;   in Loop: Header=BB380_1062 Depth=1
	v_mov_b32_e32 v10, 7
	v_lshrrev_b32_e32 v20, 3, v23
	v_cmp_gt_u32_e64 s4, 8, v23
	v_and_b32_sdwa v10, v21, v10 dst_sel:DWORD dst_unused:UNUSED_PAD src0_sel:BYTE_3 src1_sel:DWORD
	v_mov_b32_e32 v24, v11
	v_mov_b32_e32 v23, v10
	s_and_saveexec_b32 s20, s4
; %bb.1387:                             ;   in Loop: Header=BB380_1062 Depth=1
	v_ffbh_u32_e32 v20, v10
	v_min_u32_e32 v20, 32, v20
	v_subrev_nc_u32_e32 v22, 28, v20
	v_sub_nc_u32_e32 v20, 29, v20
	v_lshlrev_b64 v[22:23], v22, v[10:11]
	v_and_b32_e32 v23, 7, v22
; %bb.1388:                             ;   in Loop: Header=BB380_1062 Depth=1
	s_or_b32 exec_lo, exec_lo, s20
	v_mov_b32_e32 v10, 24
	v_lshl_add_u32 v20, v20, 23, 0x3c000000
	v_lshlrev_b32_sdwa v10, v10, v21 dst_sel:DWORD dst_unused:UNUSED_PAD src0_sel:DWORD src1_sel:BYTE_3
	v_lshlrev_b32_e32 v21, 20, v23
	v_and_b32_e32 v10, 0x80000000, v10
	v_or3_b32 v22, v21, v10, v20
.LBB380_1389:                           ;   in Loop: Header=BB380_1062 Depth=1
	s_or_b32 exec_lo, exec_lo, s18
.LBB380_1390:                           ;   in Loop: Header=BB380_1062 Depth=1
	s_or_b32 exec_lo, exec_lo, s17
.LBB380_1391:                           ;   in Loop: Header=BB380_1062 Depth=1
	s_or_b32 exec_lo, exec_lo, s16
	v_mul_f32_e32 v10, v58, v17
	v_mul_f32_e32 v16, v58, v16
	;; [unrolled: 1-line block ×5, first 2 shown]
	v_bfe_u32 v17, v10, 16, 1
	v_or_b32_e32 v20, 0x400000, v10
	v_bfe_u32 v21, v16, 16, 1
	v_cmp_u_f32_e64 s4, v10, v10
	v_or_b32_e32 v23, 0x400000, v16
	v_add3_u32 v17, v17, v10, 0x7fff
	v_bfe_u32 v24, v13, 16, 1
	v_add3_u32 v21, v21, v16, 0x7fff
	v_or_b32_e32 v26, 0x400000, v13
	v_bfe_u32 v27, v12, 16, 1
	v_cndmask_b32_e64 v10, v17, v20, s4
	v_cmp_u_f32_e64 s4, v16, v16
	v_add3_u32 v24, v24, v13, 0x7fff
	v_or_b32_e32 v17, 0x400000, v12
	v_mul_f32_e32 v4, v58, v4
	v_lshrrev_b32_e32 v92, 16, v10
	v_cndmask_b32_e64 v16, v21, v23, s4
	v_cmp_u_f32_e64 s4, v13, v13
	v_add3_u32 v10, v27, v12, 0x7fff
	v_bfe_u32 v20, v4, 16, 1
	v_lshrrev_b32_e32 v16, 16, v16
	v_cndmask_b32_e64 v13, v24, v26, s4
	v_cmp_u_f32_e64 s4, v12, v12
	v_mul_f32_e32 v12, v58, v25
	buffer_store_dword v16, off, s[0:3], s32 offset:368 ; 4-byte Folded Spill
	v_lshrrev_b32_e32 v95, 16, v13
	v_bfe_u32 v13, v5, 16, 1
	v_cndmask_b32_e64 v10, v10, v17, s4
	v_or_b32_e32 v16, 0x400000, v5
	v_cmp_u_f32_e64 s4, v5, v5
	v_mul_f32_e32 v17, v58, v22
	v_add3_u32 v13, v13, v5, 0x7fff
	v_bfe_u32 v21, v12, 16, 1
	v_or_b32_e32 v22, 0x400000, v12
	v_lshrrev_b32_e32 v104, 16, v10
	v_or_b32_e32 v23, 0x400000, v17
	v_cndmask_b32_e64 v5, v13, v16, s4
	v_add3_u32 v16, v20, v4, 0x7fff
	v_or_b32_e32 v20, 0x400000, v4
	v_cmp_u_f32_e64 s4, v4, v4
	v_bfe_u32 v13, v17, 16, 1
	v_add3_u32 v21, v21, v12, 0x7fff
	v_lshrrev_b32_e32 v106, 16, v5
	v_cndmask_b32_e64 v4, v16, v20, s4
	v_cmp_u_f32_e64 s4, v12, v12
	v_add3_u32 v13, v13, v17, 0x7fff
	v_lshrrev_b32_e32 v105, 16, v4
	v_cndmask_b32_e64 v12, v21, v22, s4
	v_cmp_u_f32_e64 s4, v17, v17
	v_lshrrev_b32_e32 v93, 16, v12
	v_cndmask_b32_e64 v13, v13, v23, s4
	v_lshrrev_b32_e32 v94, 16, v13
	s_and_saveexec_b32 s16, vcc_lo
	s_cbranch_execz .LBB380_1393
; %bb.1392:                             ;   in Loop: Header=BB380_1062 Depth=1
	buffer_load_dword v4, off, s[0:3], s32 offset:368 ; 4-byte Folded Reload
	v_cmp_lt_i32_e64 s4, v75, v38
	v_cndmask_b32_e64 v105, 0, v105, s4
	v_cmp_lt_i32_e64 s4, v90, v38
	v_cndmask_b32_e64 v106, 0, v106, s4
	;; [unrolled: 2-line block ×4, first 2 shown]
	v_cmp_lt_i32_e64 s4, v79, v38
	s_waitcnt vmcnt(0)
	v_cndmask_b32_e64 v4, 0, v4, s4
	v_cmp_lt_i32_e64 s4, v78, v38
	buffer_store_dword v4, off, s[0:3], s32 offset:368 ; 4-byte Folded Spill
	v_cndmask_b32_e64 v92, 0, v92, s4
	v_cmp_lt_i32_e64 s4, v77, v38
	v_cndmask_b32_e64 v93, 0, v93, s4
	v_cmp_lt_i32_e64 s4, v76, v38
	v_cndmask_b32_e64 v94, 0, v94, s4
.LBB380_1393:                           ;   in Loop: Header=BB380_1062 Depth=1
	s_or_b32 exec_lo, exec_lo, s16
	flat_load_dwordx2 v[20:21], v[18:19] offset:1280
	v_mov_b32_e32 v5, 0
	v_mov_b32_e32 v4, 0
	s_waitcnt vmcnt(0) lgkmcnt(0)
	v_cmp_ne_u16_sdwa s4, v20, v11 src0_sel:BYTE_0 src1_sel:DWORD
	s_and_saveexec_b32 s16, s4
	s_cbranch_execz .LBB380_1401
; %bb.1394:                             ;   in Loop: Header=BB380_1062 Depth=1
	v_cmp_ne_u16_sdwa s4, v20, v82 src0_sel:BYTE_0 src1_sel:DWORD
	v_bfrev_b32_e32 v4, 1
	s_and_saveexec_b32 s17, s4
	s_cbranch_execz .LBB380_1400
; %bb.1395:                             ;   in Loop: Header=BB380_1062 Depth=1
	v_and_b32_e32 v10, 0x7f, v20
	v_mov_b32_e32 v4, 0x7f800001
	s_mov_b32 s18, exec_lo
	v_cmpx_ne_u32_e32 0x7f, v10
	s_cbranch_execz .LBB380_1399
; %bb.1396:                             ;   in Loop: Header=BB380_1062 Depth=1
	v_mov_b32_e32 v24, v21
	v_lshrrev_b32_e32 v4, 3, v10
	v_mov_b32_e32 v23, v20
	s_mov_b32 s20, exec_lo
	v_cmpx_gt_u32_e32 8, v10
; %bb.1397:                             ;   in Loop: Header=BB380_1062 Depth=1
	v_and_b32_e32 v4, 7, v20
	v_ffbh_u32_e32 v4, v4
	v_min_u32_e32 v4, 32, v4
	v_subrev_nc_u32_e32 v10, 28, v4
	v_sub_nc_u32_e32 v4, 29, v4
	v_lshlrev_b64 v[23:24], v10, v[20:21]
; %bb.1398:                             ;   in Loop: Header=BB380_1062 Depth=1
	s_or_b32 exec_lo, exec_lo, s20
	v_lshlrev_b32_e32 v10, 20, v23
	v_lshlrev_b32_e32 v12, 24, v20
	v_lshl_add_u32 v4, v4, 23, 0x3c000000
	v_and_b32_e32 v10, 0x700000, v10
	v_and_b32_e32 v12, 0x80000000, v12
	v_or3_b32 v4, v10, v12, v4
.LBB380_1399:                           ;   in Loop: Header=BB380_1062 Depth=1
	s_or_b32 exec_lo, exec_lo, s18
.LBB380_1400:                           ;   in Loop: Header=BB380_1062 Depth=1
	s_or_b32 exec_lo, exec_lo, s17
.LBB380_1401:                           ;   in Loop: Header=BB380_1062 Depth=1
	s_or_b32 exec_lo, exec_lo, s16
	v_cmp_ne_u16_sdwa s4, v20, v11 src0_sel:BYTE_1 src1_sel:DWORD
	s_and_saveexec_b32 s16, s4
	s_cbranch_execz .LBB380_1409
; %bb.1402:                             ;   in Loop: Header=BB380_1062 Depth=1
	v_cmp_ne_u16_sdwa s4, v20, v82 src0_sel:BYTE_1 src1_sel:DWORD
	v_bfrev_b32_e32 v5, 1
	s_and_saveexec_b32 s17, s4
	s_cbranch_execz .LBB380_1408
; %bb.1403:                             ;   in Loop: Header=BB380_1062 Depth=1
	v_mov_b32_e32 v5, 0xffff
	s_mov_b32 s18, exec_lo
	v_and_b32_sdwa v10, v5, v20 dst_sel:DWORD dst_unused:UNUSED_PAD src0_sel:DWORD src1_sel:BYTE_1
	v_mov_b32_e32 v5, 0x7f800001
	v_and_b32_e32 v12, 0x7f, v10
	v_cmpx_ne_u32_e32 0x7f, v12
	s_cbranch_execz .LBB380_1407
; %bb.1404:                             ;   in Loop: Header=BB380_1062 Depth=1
	v_and_b32_e32 v10, 7, v10
	v_mov_b32_e32 v24, v11
	v_lshrrev_b32_e32 v5, 3, v12
	s_mov_b32 s20, exec_lo
	v_mov_b32_e32 v23, v10
	v_cmpx_gt_u32_e32 8, v12
; %bb.1405:                             ;   in Loop: Header=BB380_1062 Depth=1
	v_ffbh_u32_e32 v5, v10
	v_min_u32_e32 v5, 32, v5
	v_subrev_nc_u32_e32 v12, 28, v5
	v_sub_nc_u32_e32 v5, 29, v5
	v_lshlrev_b64 v[12:13], v12, v[10:11]
	v_and_b32_e32 v23, 7, v12
; %bb.1406:                             ;   in Loop: Header=BB380_1062 Depth=1
	s_or_b32 exec_lo, exec_lo, s20
	v_lshlrev_b32_e32 v10, 16, v20
	v_lshlrev_b32_e32 v12, 20, v23
	v_lshl_add_u32 v5, v5, 23, 0x3c000000
	v_and_b32_e32 v10, 0x80000000, v10
	v_or3_b32 v5, v12, v10, v5
.LBB380_1407:                           ;   in Loop: Header=BB380_1062 Depth=1
	s_or_b32 exec_lo, exec_lo, s18
.LBB380_1408:                           ;   in Loop: Header=BB380_1062 Depth=1
	s_or_b32 exec_lo, exec_lo, s17
.LBB380_1409:                           ;   in Loop: Header=BB380_1062 Depth=1
	s_or_b32 exec_lo, exec_lo, s16
	v_and_b32_sdwa v10, v20, v84 dst_sel:DWORD dst_unused:UNUSED_PAD src0_sel:WORD_1 src1_sel:DWORD
	v_mov_b32_e32 v13, 0
	v_mov_b32_e32 v12, 0
	s_mov_b32 s16, exec_lo
	v_cmpx_ne_u16_e32 0, v10
	s_cbranch_execz .LBB380_1417
; %bb.1410:                             ;   in Loop: Header=BB380_1062 Depth=1
	v_bfrev_b32_e32 v12, 1
	s_mov_b32 s17, exec_lo
	v_cmpx_ne_u16_e32 0x80, v10
	s_cbranch_execz .LBB380_1416
; %bb.1411:                             ;   in Loop: Header=BB380_1062 Depth=1
	v_bfe_u32 v16, v20, 16, 7
	v_mov_b32_e32 v12, 0x7f800001
	s_mov_b32 s18, exec_lo
	v_cmpx_ne_u32_e32 0x7f, v16
	s_cbranch_execz .LBB380_1415
; %bb.1412:                             ;   in Loop: Header=BB380_1062 Depth=1
	v_mov_b32_e32 v10, 7
	v_lshrrev_b32_e32 v12, 3, v16
	s_mov_b32 s20, exec_lo
	v_and_b32_sdwa v10, v20, v10 dst_sel:DWORD dst_unused:UNUSED_PAD src0_sel:WORD_1 src1_sel:DWORD
	v_mov_b32_e32 v24, v11
	v_mov_b32_e32 v23, v10
	v_cmpx_gt_u32_e32 8, v16
; %bb.1413:                             ;   in Loop: Header=BB380_1062 Depth=1
	v_ffbh_u32_e32 v12, v10
	v_min_u32_e32 v12, 32, v12
	v_subrev_nc_u32_e32 v16, 28, v12
	v_sub_nc_u32_e32 v12, 29, v12
	v_lshlrev_b64 v[16:17], v16, v[10:11]
	v_and_b32_e32 v23, 7, v16
; %bb.1414:                             ;   in Loop: Header=BB380_1062 Depth=1
	s_or_b32 exec_lo, exec_lo, s20
	v_mov_b32_e32 v10, 24
	v_lshlrev_b32_e32 v16, 20, v23
	v_lshl_add_u32 v12, v12, 23, 0x3c000000
	v_lshlrev_b32_sdwa v10, v10, v20 dst_sel:DWORD dst_unused:UNUSED_PAD src0_sel:DWORD src1_sel:WORD_1
	v_and_b32_e32 v10, 0x80000000, v10
	v_or3_b32 v12, v16, v10, v12
.LBB380_1415:                           ;   in Loop: Header=BB380_1062 Depth=1
	s_or_b32 exec_lo, exec_lo, s18
.LBB380_1416:                           ;   in Loop: Header=BB380_1062 Depth=1
	s_or_b32 exec_lo, exec_lo, s17
.LBB380_1417:                           ;   in Loop: Header=BB380_1062 Depth=1
	s_or_b32 exec_lo, exec_lo, s16
	s_mov_b32 s16, exec_lo
	v_cmpx_lt_u32_e32 0xffffff, v20
	s_cbranch_execz .LBB380_1425
; %bb.1418:                             ;   in Loop: Header=BB380_1062 Depth=1
	v_cmp_ne_u32_sdwa s4, v20, v82 src0_sel:BYTE_3 src1_sel:DWORD
	v_bfrev_b32_e32 v13, 1
	s_and_saveexec_b32 s17, s4
	s_cbranch_execz .LBB380_1424
; %bb.1419:                             ;   in Loop: Header=BB380_1062 Depth=1
	v_bfe_u32 v16, v20, 24, 7
	v_mov_b32_e32 v13, 0x7f800001
	s_mov_b32 s18, exec_lo
	v_cmpx_ne_u32_e32 0x7f, v16
	s_cbranch_execz .LBB380_1423
; %bb.1420:                             ;   in Loop: Header=BB380_1062 Depth=1
	v_mov_b32_e32 v10, 7
	v_lshrrev_b32_e32 v13, 3, v16
	s_mov_b32 s20, exec_lo
	v_and_b32_sdwa v10, v20, v10 dst_sel:DWORD dst_unused:UNUSED_PAD src0_sel:BYTE_3 src1_sel:DWORD
	v_mov_b32_e32 v24, v11
	v_mov_b32_e32 v23, v10
	v_cmpx_gt_u32_e32 8, v16
; %bb.1421:                             ;   in Loop: Header=BB380_1062 Depth=1
	v_ffbh_u32_e32 v13, v10
	v_min_u32_e32 v13, 32, v13
	v_subrev_nc_u32_e32 v16, 28, v13
	v_sub_nc_u32_e32 v13, 29, v13
	v_lshlrev_b64 v[16:17], v16, v[10:11]
	v_and_b32_e32 v23, 7, v16
; %bb.1422:                             ;   in Loop: Header=BB380_1062 Depth=1
	s_or_b32 exec_lo, exec_lo, s20
	v_mov_b32_e32 v10, 24
	v_lshlrev_b32_e32 v16, 20, v23
	v_lshl_add_u32 v13, v13, 23, 0x3c000000
	v_lshlrev_b32_sdwa v10, v10, v20 dst_sel:DWORD dst_unused:UNUSED_PAD src0_sel:DWORD src1_sel:BYTE_3
	v_and_b32_e32 v10, 0x80000000, v10
	v_or3_b32 v13, v16, v10, v13
.LBB380_1423:                           ;   in Loop: Header=BB380_1062 Depth=1
	s_or_b32 exec_lo, exec_lo, s18
.LBB380_1424:                           ;   in Loop: Header=BB380_1062 Depth=1
	s_or_b32 exec_lo, exec_lo, s17
.LBB380_1425:                           ;   in Loop: Header=BB380_1062 Depth=1
	s_or_b32 exec_lo, exec_lo, s16
	v_mov_b32_e32 v10, v21
	v_cmp_ne_u16_sdwa s4, v21, v11 src0_sel:BYTE_0 src1_sel:DWORD
	v_mov_b32_e32 v17, 0
	v_mov_b32_e32 v16, 0
	s_and_saveexec_b32 s16, s4
	s_cbranch_execz .LBB380_1433
; %bb.1426:                             ;   in Loop: Header=BB380_1062 Depth=1
	v_cmp_ne_u16_sdwa s4, v21, v82 src0_sel:BYTE_0 src1_sel:DWORD
	v_bfrev_b32_e32 v16, 1
	s_and_saveexec_b32 s17, s4
	s_cbranch_execz .LBB380_1432
; %bb.1427:                             ;   in Loop: Header=BB380_1062 Depth=1
	v_and_b32_e32 v22, 0x7f, v21
	v_mov_b32_e32 v16, 0x7f800001
	s_mov_b32 s18, exec_lo
	v_cmpx_ne_u32_e32 0x7f, v22
	s_cbranch_execz .LBB380_1431
; %bb.1428:                             ;   in Loop: Header=BB380_1062 Depth=1
	v_mov_b32_e32 v24, v11
	v_lshrrev_b32_e32 v16, 3, v22
	v_mov_b32_e32 v23, v10
	s_mov_b32 s20, exec_lo
	v_cmpx_gt_u32_e32 8, v22
; %bb.1429:                             ;   in Loop: Header=BB380_1062 Depth=1
	v_and_b32_e32 v16, 7, v21
	v_ffbh_u32_e32 v16, v16
	v_min_u32_e32 v16, 32, v16
	v_subrev_nc_u32_e32 v22, 28, v16
	v_sub_nc_u32_e32 v16, 29, v16
	v_lshlrev_b64 v[23:24], v22, v[10:11]
; %bb.1430:                             ;   in Loop: Header=BB380_1062 Depth=1
	s_or_b32 exec_lo, exec_lo, s20
	v_lshlrev_b32_e32 v22, 20, v23
	v_lshlrev_b32_e32 v23, 24, v10
	v_lshl_add_u32 v16, v16, 23, 0x3c000000
	v_and_b32_e32 v22, 0x700000, v22
	v_and_b32_e32 v23, 0x80000000, v23
	v_or3_b32 v16, v22, v23, v16
.LBB380_1431:                           ;   in Loop: Header=BB380_1062 Depth=1
	s_or_b32 exec_lo, exec_lo, s18
.LBB380_1432:                           ;   in Loop: Header=BB380_1062 Depth=1
	s_or_b32 exec_lo, exec_lo, s17
.LBB380_1433:                           ;   in Loop: Header=BB380_1062 Depth=1
	s_or_b32 exec_lo, exec_lo, s16
	v_cmp_ne_u16_sdwa s4, v10, v11 src0_sel:BYTE_1 src1_sel:DWORD
	s_and_saveexec_b32 s16, s4
	s_cbranch_execz .LBB380_1441
; %bb.1434:                             ;   in Loop: Header=BB380_1062 Depth=1
	v_cmp_ne_u16_sdwa s4, v10, v82 src0_sel:BYTE_1 src1_sel:DWORD
	v_bfrev_b32_e32 v17, 1
	s_and_saveexec_b32 s17, s4
	s_cbranch_execz .LBB380_1440
; %bb.1435:                             ;   in Loop: Header=BB380_1062 Depth=1
	v_mov_b32_e32 v17, 0xffff
	s_mov_b32 s18, exec_lo
	v_and_b32_sdwa v23, v17, v10 dst_sel:DWORD dst_unused:UNUSED_PAD src0_sel:DWORD src1_sel:BYTE_1
	v_mov_b32_e32 v17, 0x7f800001
	v_and_b32_e32 v22, 0x7f, v23
	v_cmpx_ne_u32_e32 0x7f, v22
	s_cbranch_execz .LBB380_1439
; %bb.1436:                             ;   in Loop: Header=BB380_1062 Depth=1
	v_and_b32_e32 v23, 7, v23
	v_mov_b32_e32 v24, v11
	v_lshrrev_b32_e32 v17, 3, v22
	s_mov_b32 s20, exec_lo
	v_cmpx_gt_u32_e32 8, v22
; %bb.1437:                             ;   in Loop: Header=BB380_1062 Depth=1
	v_ffbh_u32_e32 v17, v23
	v_min_u32_e32 v17, 32, v17
	v_subrev_nc_u32_e32 v22, 28, v17
	v_sub_nc_u32_e32 v17, 29, v17
	v_lshlrev_b64 v[22:23], v22, v[23:24]
	v_and_b32_e32 v23, 7, v22
; %bb.1438:                             ;   in Loop: Header=BB380_1062 Depth=1
	s_or_b32 exec_lo, exec_lo, s20
	v_lshlrev_b32_e32 v10, 16, v10
	v_lshlrev_b32_e32 v22, 20, v23
	v_lshl_add_u32 v17, v17, 23, 0x3c000000
	v_and_b32_e32 v10, 0x80000000, v10
	v_or3_b32 v17, v22, v10, v17
.LBB380_1439:                           ;   in Loop: Header=BB380_1062 Depth=1
	s_or_b32 exec_lo, exec_lo, s18
.LBB380_1440:                           ;   in Loop: Header=BB380_1062 Depth=1
	s_or_b32 exec_lo, exec_lo, s17
.LBB380_1441:                           ;   in Loop: Header=BB380_1062 Depth=1
	s_or_b32 exec_lo, exec_lo, s16
	v_and_b32_sdwa v10, v21, v84 dst_sel:DWORD dst_unused:UNUSED_PAD src0_sel:WORD_1 src1_sel:DWORD
	v_mov_b32_e32 v22, 0
	v_mov_b32_e32 v25, 0
	s_mov_b32 s16, exec_lo
	v_cmpx_ne_u16_e32 0, v10
	s_cbranch_execz .LBB380_1449
; %bb.1442:                             ;   in Loop: Header=BB380_1062 Depth=1
	v_bfrev_b32_e32 v25, 1
	s_mov_b32 s17, exec_lo
	v_cmpx_ne_u16_e32 0x80, v10
	s_cbranch_execz .LBB380_1448
; %bb.1443:                             ;   in Loop: Header=BB380_1062 Depth=1
	v_bfe_u32 v23, v21, 16, 7
	v_mov_b32_e32 v25, 0x7f800001
	s_mov_b32 s18, exec_lo
	v_cmpx_ne_u32_e32 0x7f, v23
	s_cbranch_execz .LBB380_1447
; %bb.1444:                             ;   in Loop: Header=BB380_1062 Depth=1
	v_mov_b32_e32 v10, 7
	v_lshrrev_b32_e32 v25, 3, v23
	v_cmp_gt_u32_e64 s4, 8, v23
	v_and_b32_sdwa v10, v21, v10 dst_sel:DWORD dst_unused:UNUSED_PAD src0_sel:WORD_1 src1_sel:DWORD
	v_mov_b32_e32 v24, v11
	v_mov_b32_e32 v23, v10
	s_and_saveexec_b32 s20, s4
; %bb.1445:                             ;   in Loop: Header=BB380_1062 Depth=1
	v_ffbh_u32_e32 v23, v10
	v_min_u32_e32 v25, 32, v23
	v_subrev_nc_u32_e32 v23, 28, v25
	v_sub_nc_u32_e32 v25, 29, v25
	v_lshlrev_b64 v[23:24], v23, v[10:11]
	v_and_b32_e32 v23, 7, v23
; %bb.1446:                             ;   in Loop: Header=BB380_1062 Depth=1
	s_or_b32 exec_lo, exec_lo, s20
	v_mov_b32_e32 v10, 24
	v_lshlrev_b32_e32 v23, 20, v23
	v_lshl_add_u32 v24, v25, 23, 0x3c000000
	v_lshlrev_b32_sdwa v10, v10, v21 dst_sel:DWORD dst_unused:UNUSED_PAD src0_sel:DWORD src1_sel:WORD_1
	v_and_b32_e32 v10, 0x80000000, v10
	v_or3_b32 v25, v23, v10, v24
.LBB380_1447:                           ;   in Loop: Header=BB380_1062 Depth=1
	s_or_b32 exec_lo, exec_lo, s18
.LBB380_1448:                           ;   in Loop: Header=BB380_1062 Depth=1
	s_or_b32 exec_lo, exec_lo, s17
.LBB380_1449:                           ;   in Loop: Header=BB380_1062 Depth=1
	s_or_b32 exec_lo, exec_lo, s16
	s_mov_b32 s16, exec_lo
	v_cmpx_lt_u64_e64 s[12:13], v[20:21]
	s_cbranch_execz .LBB380_1457
; %bb.1450:                             ;   in Loop: Header=BB380_1062 Depth=1
	v_cmp_ne_u32_sdwa s4, v21, v82 src0_sel:BYTE_3 src1_sel:DWORD
	v_bfrev_b32_e32 v22, 1
	s_and_saveexec_b32 s17, s4
	s_cbranch_execz .LBB380_1456
; %bb.1451:                             ;   in Loop: Header=BB380_1062 Depth=1
	v_bfe_u32 v23, v21, 24, 7
	v_mov_b32_e32 v22, 0x7f800001
	s_mov_b32 s18, exec_lo
	v_cmpx_ne_u32_e32 0x7f, v23
	s_cbranch_execz .LBB380_1455
; %bb.1452:                             ;   in Loop: Header=BB380_1062 Depth=1
	v_mov_b32_e32 v10, 7
	v_lshrrev_b32_e32 v20, 3, v23
	v_cmp_gt_u32_e64 s4, 8, v23
	v_and_b32_sdwa v10, v21, v10 dst_sel:DWORD dst_unused:UNUSED_PAD src0_sel:BYTE_3 src1_sel:DWORD
	v_mov_b32_e32 v24, v11
	v_mov_b32_e32 v23, v10
	s_and_saveexec_b32 s20, s4
; %bb.1453:                             ;   in Loop: Header=BB380_1062 Depth=1
	v_ffbh_u32_e32 v20, v10
	v_min_u32_e32 v20, 32, v20
	v_subrev_nc_u32_e32 v22, 28, v20
	v_sub_nc_u32_e32 v20, 29, v20
	v_lshlrev_b64 v[22:23], v22, v[10:11]
	v_and_b32_e32 v23, 7, v22
; %bb.1454:                             ;   in Loop: Header=BB380_1062 Depth=1
	s_or_b32 exec_lo, exec_lo, s20
	v_mov_b32_e32 v10, 24
	v_lshl_add_u32 v20, v20, 23, 0x3c000000
	v_lshlrev_b32_sdwa v10, v10, v21 dst_sel:DWORD dst_unused:UNUSED_PAD src0_sel:DWORD src1_sel:BYTE_3
	v_lshlrev_b32_e32 v21, 20, v23
	v_and_b32_e32 v10, 0x80000000, v10
	v_or3_b32 v22, v21, v10, v20
.LBB380_1455:                           ;   in Loop: Header=BB380_1062 Depth=1
	s_or_b32 exec_lo, exec_lo, s18
.LBB380_1456:                           ;   in Loop: Header=BB380_1062 Depth=1
	s_or_b32 exec_lo, exec_lo, s17
.LBB380_1457:                           ;   in Loop: Header=BB380_1062 Depth=1
	s_or_b32 exec_lo, exec_lo, s16
	v_mul_f32_e32 v10, v58, v17
	v_mul_f32_e32 v16, v58, v16
	;; [unrolled: 1-line block ×5, first 2 shown]
	v_bfe_u32 v17, v10, 16, 1
	v_or_b32_e32 v20, 0x400000, v10
	v_bfe_u32 v21, v16, 16, 1
	v_cmp_u_f32_e64 s4, v10, v10
	v_or_b32_e32 v23, 0x400000, v16
	v_add3_u32 v17, v17, v10, 0x7fff
	v_bfe_u32 v24, v13, 16, 1
	v_add3_u32 v21, v21, v16, 0x7fff
	v_or_b32_e32 v26, 0x400000, v13
	v_bfe_u32 v27, v12, 16, 1
	v_cndmask_b32_e64 v10, v17, v20, s4
	v_cmp_u_f32_e64 s4, v16, v16
	v_add3_u32 v24, v24, v13, 0x7fff
	v_or_b32_e32 v17, 0x400000, v12
	v_mul_f32_e32 v4, v58, v4
	v_lshrrev_b32_e32 v108, 16, v10
	v_cndmask_b32_e64 v16, v21, v23, s4
	v_cmp_u_f32_e64 s4, v13, v13
	v_add3_u32 v10, v27, v12, 0x7fff
	v_bfe_u32 v20, v4, 16, 1
	v_lshrrev_b32_e32 v107, 16, v16
	v_cndmask_b32_e64 v13, v24, v26, s4
	v_cmp_u_f32_e64 s4, v12, v12
	v_mul_f32_e32 v12, v58, v25
	v_or_b32_e32 v16, 0x400000, v5
	v_lshrrev_b32_e32 v111, 16, v13
	v_bfe_u32 v13, v5, 16, 1
	v_cndmask_b32_e64 v10, v10, v17, s4
	v_cmp_u_f32_e64 s4, v5, v5
	v_mul_f32_e32 v17, v58, v22
	v_bfe_u32 v21, v12, 16, 1
	v_add3_u32 v13, v13, v5, 0x7fff
	v_or_b32_e32 v22, 0x400000, v12
	v_lshrrev_b32_e32 v120, 16, v10
	v_or_b32_e32 v23, 0x400000, v17
	v_add3_u32 v21, v21, v12, 0x7fff
	v_cndmask_b32_e64 v5, v13, v16, s4
	v_add3_u32 v16, v20, v4, 0x7fff
	v_or_b32_e32 v20, 0x400000, v4
	v_cmp_u_f32_e64 s4, v4, v4
	v_bfe_u32 v13, v17, 16, 1
	v_lshrrev_b32_e32 v122, 16, v5
	v_cndmask_b32_e64 v4, v16, v20, s4
	v_cmp_u_f32_e64 s4, v12, v12
	v_add3_u32 v13, v13, v17, 0x7fff
	v_lshrrev_b32_e32 v121, 16, v4
	v_cndmask_b32_e64 v12, v21, v22, s4
	v_cmp_u_f32_e64 s4, v17, v17
	v_lshrrev_b32_e32 v109, 16, v12
	v_cndmask_b32_e64 v13, v13, v23, s4
	v_lshrrev_b32_e32 v110, 16, v13
	s_and_saveexec_b32 s16, vcc_lo
	s_cbranch_execz .LBB380_1459
; %bb.1458:                             ;   in Loop: Header=BB380_1062 Depth=1
	v_cmp_lt_i32_e64 s4, v75, v38
	v_cndmask_b32_e64 v121, 0, v121, s4
	v_cmp_lt_i32_e64 s4, v90, v38
	v_cndmask_b32_e64 v122, 0, v122, s4
	;; [unrolled: 2-line block ×8, first 2 shown]
.LBB380_1459:                           ;   in Loop: Header=BB380_1062 Depth=1
	s_or_b32 exec_lo, exec_lo, s16
	flat_load_dwordx2 v[20:21], v[18:19] offset:1536
	v_mov_b32_e32 v13, 0
	v_mov_b32_e32 v12, 0
	s_waitcnt vmcnt(0) lgkmcnt(0)
	v_cmp_ne_u16_sdwa s4, v20, v11 src0_sel:BYTE_0 src1_sel:DWORD
	s_and_saveexec_b32 s16, s4
	s_cbranch_execz .LBB380_1467
; %bb.1460:                             ;   in Loop: Header=BB380_1062 Depth=1
	v_cmp_ne_u16_sdwa s4, v20, v82 src0_sel:BYTE_0 src1_sel:DWORD
	v_bfrev_b32_e32 v12, 1
	s_and_saveexec_b32 s17, s4
	s_cbranch_execz .LBB380_1466
; %bb.1461:                             ;   in Loop: Header=BB380_1062 Depth=1
	v_and_b32_e32 v5, 0x7f, v20
	v_mov_b32_e32 v12, 0x7f800001
	s_mov_b32 s18, exec_lo
	v_cmpx_ne_u32_e32 0x7f, v5
	s_cbranch_execz .LBB380_1465
; %bb.1462:                             ;   in Loop: Header=BB380_1062 Depth=1
	v_mov_b32_e32 v24, v21
	v_lshrrev_b32_e32 v4, 3, v5
	v_mov_b32_e32 v23, v20
	s_mov_b32 s20, exec_lo
	v_cmpx_gt_u32_e32 8, v5
; %bb.1463:                             ;   in Loop: Header=BB380_1062 Depth=1
	v_and_b32_e32 v4, 7, v20
	v_ffbh_u32_e32 v4, v4
	v_min_u32_e32 v4, 32, v4
	v_subrev_nc_u32_e32 v5, 28, v4
	v_sub_nc_u32_e32 v4, 29, v4
	v_lshlrev_b64 v[23:24], v5, v[20:21]
; %bb.1464:                             ;   in Loop: Header=BB380_1062 Depth=1
	s_or_b32 exec_lo, exec_lo, s20
	v_lshlrev_b32_e32 v5, 20, v23
	v_lshlrev_b32_e32 v10, 24, v20
	v_lshl_add_u32 v4, v4, 23, 0x3c000000
	v_and_b32_e32 v5, 0x700000, v5
	v_and_b32_e32 v10, 0x80000000, v10
	v_or3_b32 v12, v5, v10, v4
.LBB380_1465:                           ;   in Loop: Header=BB380_1062 Depth=1
	s_or_b32 exec_lo, exec_lo, s18
.LBB380_1466:                           ;   in Loop: Header=BB380_1062 Depth=1
	s_or_b32 exec_lo, exec_lo, s17
.LBB380_1467:                           ;   in Loop: Header=BB380_1062 Depth=1
	s_or_b32 exec_lo, exec_lo, s16
	v_cmp_ne_u16_sdwa s4, v20, v11 src0_sel:BYTE_1 src1_sel:DWORD
	s_and_saveexec_b32 s16, s4
	s_cbranch_execz .LBB380_1475
; %bb.1468:                             ;   in Loop: Header=BB380_1062 Depth=1
	v_cmp_ne_u16_sdwa s4, v20, v82 src0_sel:BYTE_1 src1_sel:DWORD
	v_bfrev_b32_e32 v13, 1
	s_and_saveexec_b32 s17, s4
	s_cbranch_execz .LBB380_1474
; %bb.1469:                             ;   in Loop: Header=BB380_1062 Depth=1
	v_mov_b32_e32 v4, 0xffff
	v_mov_b32_e32 v13, 0x7f800001
	s_mov_b32 s18, exec_lo
	v_and_b32_sdwa v4, v4, v20 dst_sel:DWORD dst_unused:UNUSED_PAD src0_sel:DWORD src1_sel:BYTE_1
	v_and_b32_e32 v5, 0x7f, v4
	v_cmpx_ne_u32_e32 0x7f, v5
	s_cbranch_execz .LBB380_1473
; %bb.1470:                             ;   in Loop: Header=BB380_1062 Depth=1
	v_and_b32_e32 v10, 7, v4
	v_mov_b32_e32 v24, v11
	v_lshrrev_b32_e32 v4, 3, v5
	s_mov_b32 s20, exec_lo
	v_mov_b32_e32 v23, v10
	v_cmpx_gt_u32_e32 8, v5
; %bb.1471:                             ;   in Loop: Header=BB380_1062 Depth=1
	v_ffbh_u32_e32 v4, v10
	v_min_u32_e32 v4, 32, v4
	v_subrev_nc_u32_e32 v5, 28, v4
	v_sub_nc_u32_e32 v4, 29, v4
	v_lshlrev_b64 v[16:17], v5, v[10:11]
	v_and_b32_e32 v23, 7, v16
; %bb.1472:                             ;   in Loop: Header=BB380_1062 Depth=1
	s_or_b32 exec_lo, exec_lo, s20
	v_lshlrev_b32_e32 v5, 16, v20
	v_lshlrev_b32_e32 v10, 20, v23
	v_lshl_add_u32 v4, v4, 23, 0x3c000000
	v_and_b32_e32 v5, 0x80000000, v5
	v_or3_b32 v13, v10, v5, v4
.LBB380_1473:                           ;   in Loop: Header=BB380_1062 Depth=1
	s_or_b32 exec_lo, exec_lo, s18
.LBB380_1474:                           ;   in Loop: Header=BB380_1062 Depth=1
	s_or_b32 exec_lo, exec_lo, s17
.LBB380_1475:                           ;   in Loop: Header=BB380_1062 Depth=1
	s_or_b32 exec_lo, exec_lo, s16
	v_and_b32_sdwa v4, v20, v84 dst_sel:DWORD dst_unused:UNUSED_PAD src0_sel:WORD_1 src1_sel:DWORD
	v_mov_b32_e32 v22, 0
	v_mov_b32_e32 v16, 0
	s_mov_b32 s16, exec_lo
	v_cmpx_ne_u16_e32 0, v4
	s_cbranch_execz .LBB380_1483
; %bb.1476:                             ;   in Loop: Header=BB380_1062 Depth=1
	v_bfrev_b32_e32 v16, 1
	s_mov_b32 s17, exec_lo
	v_cmpx_ne_u16_e32 0x80, v4
	s_cbranch_execz .LBB380_1482
; %bb.1477:                             ;   in Loop: Header=BB380_1062 Depth=1
	v_bfe_u32 v5, v20, 16, 7
	v_mov_b32_e32 v16, 0x7f800001
	s_mov_b32 s18, exec_lo
	v_cmpx_ne_u32_e32 0x7f, v5
	s_cbranch_execz .LBB380_1481
; %bb.1478:                             ;   in Loop: Header=BB380_1062 Depth=1
	v_mov_b32_e32 v4, 7
	s_mov_b32 s20, exec_lo
	v_and_b32_sdwa v10, v20, v4 dst_sel:DWORD dst_unused:UNUSED_PAD src0_sel:WORD_1 src1_sel:DWORD
	v_mov_b32_e32 v24, v11
	v_lshrrev_b32_e32 v4, 3, v5
	v_mov_b32_e32 v23, v10
	v_cmpx_gt_u32_e32 8, v5
; %bb.1479:                             ;   in Loop: Header=BB380_1062 Depth=1
	v_ffbh_u32_e32 v4, v10
	v_min_u32_e32 v4, 32, v4
	v_subrev_nc_u32_e32 v5, 28, v4
	v_sub_nc_u32_e32 v4, 29, v4
	v_lshlrev_b64 v[16:17], v5, v[10:11]
	v_and_b32_e32 v23, 7, v16
; %bb.1480:                             ;   in Loop: Header=BB380_1062 Depth=1
	s_or_b32 exec_lo, exec_lo, s20
	v_mov_b32_e32 v5, 24
	v_lshlrev_b32_e32 v10, 20, v23
	v_lshl_add_u32 v4, v4, 23, 0x3c000000
	v_lshlrev_b32_sdwa v5, v5, v20 dst_sel:DWORD dst_unused:UNUSED_PAD src0_sel:DWORD src1_sel:WORD_1
	v_and_b32_e32 v5, 0x80000000, v5
	v_or3_b32 v16, v10, v5, v4
.LBB380_1481:                           ;   in Loop: Header=BB380_1062 Depth=1
	s_or_b32 exec_lo, exec_lo, s18
.LBB380_1482:                           ;   in Loop: Header=BB380_1062 Depth=1
	s_or_b32 exec_lo, exec_lo, s17
.LBB380_1483:                           ;   in Loop: Header=BB380_1062 Depth=1
	s_or_b32 exec_lo, exec_lo, s16
	s_mov_b32 s16, exec_lo
	v_cmpx_lt_u32_e32 0xffffff, v20
	s_cbranch_execz .LBB380_1491
; %bb.1484:                             ;   in Loop: Header=BB380_1062 Depth=1
	v_cmp_ne_u32_sdwa s4, v20, v82 src0_sel:BYTE_3 src1_sel:DWORD
	v_bfrev_b32_e32 v22, 1
	s_and_saveexec_b32 s17, s4
	s_cbranch_execz .LBB380_1490
; %bb.1485:                             ;   in Loop: Header=BB380_1062 Depth=1
	v_bfe_u32 v5, v20, 24, 7
	v_mov_b32_e32 v22, 0x7f800001
	s_mov_b32 s18, exec_lo
	v_cmpx_ne_u32_e32 0x7f, v5
	s_cbranch_execz .LBB380_1489
; %bb.1486:                             ;   in Loop: Header=BB380_1062 Depth=1
	v_mov_b32_e32 v4, 7
	s_mov_b32 s20, exec_lo
	v_and_b32_sdwa v10, v20, v4 dst_sel:DWORD dst_unused:UNUSED_PAD src0_sel:BYTE_3 src1_sel:DWORD
	v_mov_b32_e32 v24, v11
	v_lshrrev_b32_e32 v4, 3, v5
	v_mov_b32_e32 v23, v10
	v_cmpx_gt_u32_e32 8, v5
; %bb.1487:                             ;   in Loop: Header=BB380_1062 Depth=1
	v_ffbh_u32_e32 v4, v10
	v_min_u32_e32 v4, 32, v4
	v_subrev_nc_u32_e32 v5, 28, v4
	v_sub_nc_u32_e32 v4, 29, v4
	v_lshlrev_b64 v[22:23], v5, v[10:11]
	v_and_b32_e32 v23, 7, v22
; %bb.1488:                             ;   in Loop: Header=BB380_1062 Depth=1
	s_or_b32 exec_lo, exec_lo, s20
	v_mov_b32_e32 v5, 24
	v_lshlrev_b32_e32 v10, 20, v23
	v_lshl_add_u32 v4, v4, 23, 0x3c000000
	v_lshlrev_b32_sdwa v5, v5, v20 dst_sel:DWORD dst_unused:UNUSED_PAD src0_sel:DWORD src1_sel:BYTE_3
	v_and_b32_e32 v5, 0x80000000, v5
	v_or3_b32 v22, v10, v5, v4
.LBB380_1489:                           ;   in Loop: Header=BB380_1062 Depth=1
	s_or_b32 exec_lo, exec_lo, s18
.LBB380_1490:                           ;   in Loop: Header=BB380_1062 Depth=1
	s_or_b32 exec_lo, exec_lo, s17
.LBB380_1491:                           ;   in Loop: Header=BB380_1062 Depth=1
	s_or_b32 exec_lo, exec_lo, s16
	v_mov_b32_e32 v10, v21
	v_cmp_ne_u16_sdwa s4, v21, v11 src0_sel:BYTE_0 src1_sel:DWORD
	v_mov_b32_e32 v4, 0
	v_mov_b32_e32 v5, 0
	s_and_saveexec_b32 s16, s4
	s_cbranch_execz .LBB380_1499
; %bb.1492:                             ;   in Loop: Header=BB380_1062 Depth=1
	v_cmp_ne_u16_sdwa s4, v21, v82 src0_sel:BYTE_0 src1_sel:DWORD
	v_bfrev_b32_e32 v5, 1
	s_and_saveexec_b32 s17, s4
	s_cbranch_execz .LBB380_1498
; %bb.1493:                             ;   in Loop: Header=BB380_1062 Depth=1
	v_and_b32_e32 v17, 0x7f, v21
	v_mov_b32_e32 v5, 0x7f800001
	s_mov_b32 s18, exec_lo
	v_cmpx_ne_u32_e32 0x7f, v17
	s_cbranch_execz .LBB380_1497
; %bb.1494:                             ;   in Loop: Header=BB380_1062 Depth=1
	v_mov_b32_e32 v24, v11
	v_lshrrev_b32_e32 v5, 3, v17
	v_mov_b32_e32 v23, v10
	s_mov_b32 s20, exec_lo
	v_cmpx_gt_u32_e32 8, v17
; %bb.1495:                             ;   in Loop: Header=BB380_1062 Depth=1
	v_and_b32_e32 v5, 7, v21
	v_ffbh_u32_e32 v5, v5
	v_min_u32_e32 v5, 32, v5
	v_subrev_nc_u32_e32 v17, 28, v5
	v_sub_nc_u32_e32 v5, 29, v5
	v_lshlrev_b64 v[23:24], v17, v[10:11]
; %bb.1496:                             ;   in Loop: Header=BB380_1062 Depth=1
	s_or_b32 exec_lo, exec_lo, s20
	v_lshlrev_b32_e32 v17, 20, v23
	v_lshlrev_b32_e32 v23, 24, v10
	v_lshl_add_u32 v5, v5, 23, 0x3c000000
	v_and_b32_e32 v17, 0x700000, v17
	v_and_b32_e32 v23, 0x80000000, v23
	v_or3_b32 v5, v17, v23, v5
.LBB380_1497:                           ;   in Loop: Header=BB380_1062 Depth=1
	s_or_b32 exec_lo, exec_lo, s18
.LBB380_1498:                           ;   in Loop: Header=BB380_1062 Depth=1
	s_or_b32 exec_lo, exec_lo, s17
.LBB380_1499:                           ;   in Loop: Header=BB380_1062 Depth=1
	s_or_b32 exec_lo, exec_lo, s16
	v_cmp_ne_u16_sdwa s4, v10, v11 src0_sel:BYTE_1 src1_sel:DWORD
	s_and_saveexec_b32 s16, s4
	s_cbranch_execz .LBB380_1507
; %bb.1500:                             ;   in Loop: Header=BB380_1062 Depth=1
	v_cmp_ne_u16_sdwa s4, v10, v82 src0_sel:BYTE_1 src1_sel:DWORD
	v_bfrev_b32_e32 v4, 1
	s_and_saveexec_b32 s17, s4
	s_cbranch_execz .LBB380_1506
; %bb.1501:                             ;   in Loop: Header=BB380_1062 Depth=1
	v_mov_b32_e32 v4, 0xffff
	s_mov_b32 s18, exec_lo
	v_and_b32_sdwa v23, v4, v10 dst_sel:DWORD dst_unused:UNUSED_PAD src0_sel:DWORD src1_sel:BYTE_1
	v_mov_b32_e32 v4, 0x7f800001
	v_and_b32_e32 v17, 0x7f, v23
	v_cmpx_ne_u32_e32 0x7f, v17
	s_cbranch_execz .LBB380_1505
; %bb.1502:                             ;   in Loop: Header=BB380_1062 Depth=1
	v_and_b32_e32 v23, 7, v23
	v_mov_b32_e32 v24, v11
	v_lshrrev_b32_e32 v4, 3, v17
	s_mov_b32 s20, exec_lo
	v_cmpx_gt_u32_e32 8, v17
; %bb.1503:                             ;   in Loop: Header=BB380_1062 Depth=1
	v_ffbh_u32_e32 v4, v23
	v_min_u32_e32 v4, 32, v4
	v_subrev_nc_u32_e32 v17, 28, v4
	v_sub_nc_u32_e32 v4, 29, v4
	v_lshlrev_b64 v[23:24], v17, v[23:24]
	v_and_b32_e32 v23, 7, v23
; %bb.1504:                             ;   in Loop: Header=BB380_1062 Depth=1
	s_or_b32 exec_lo, exec_lo, s20
	v_lshlrev_b32_e32 v10, 16, v10
	v_lshlrev_b32_e32 v17, 20, v23
	v_lshl_add_u32 v4, v4, 23, 0x3c000000
	v_and_b32_e32 v10, 0x80000000, v10
	v_or3_b32 v4, v17, v10, v4
.LBB380_1505:                           ;   in Loop: Header=BB380_1062 Depth=1
	s_or_b32 exec_lo, exec_lo, s18
.LBB380_1506:                           ;   in Loop: Header=BB380_1062 Depth=1
	s_or_b32 exec_lo, exec_lo, s17
.LBB380_1507:                           ;   in Loop: Header=BB380_1062 Depth=1
	s_or_b32 exec_lo, exec_lo, s16
	v_and_b32_sdwa v10, v21, v84 dst_sel:DWORD dst_unused:UNUSED_PAD src0_sel:WORD_1 src1_sel:DWORD
	v_mov_b32_e32 v25, 0
	v_mov_b32_e32 v27, 0
	s_mov_b32 s16, exec_lo
	v_cmpx_ne_u16_e32 0, v10
	s_cbranch_execz .LBB380_1515
; %bb.1508:                             ;   in Loop: Header=BB380_1062 Depth=1
	v_bfrev_b32_e32 v27, 1
	s_mov_b32 s17, exec_lo
	v_cmpx_ne_u16_e32 0x80, v10
	s_cbranch_execz .LBB380_1514
; %bb.1509:                             ;   in Loop: Header=BB380_1062 Depth=1
	v_bfe_u32 v23, v21, 16, 7
	v_mov_b32_e32 v27, 0x7f800001
	s_mov_b32 s18, exec_lo
	v_cmpx_ne_u32_e32 0x7f, v23
	s_cbranch_execz .LBB380_1513
; %bb.1510:                             ;   in Loop: Header=BB380_1062 Depth=1
	v_mov_b32_e32 v10, 7
	v_lshrrev_b32_e32 v17, 3, v23
	v_cmp_gt_u32_e64 s4, 8, v23
	v_and_b32_sdwa v10, v21, v10 dst_sel:DWORD dst_unused:UNUSED_PAD src0_sel:WORD_1 src1_sel:DWORD
	v_mov_b32_e32 v24, v11
	v_mov_b32_e32 v23, v10
	s_and_saveexec_b32 s20, s4
; %bb.1511:                             ;   in Loop: Header=BB380_1062 Depth=1
	v_ffbh_u32_e32 v17, v10
	v_min_u32_e32 v17, 32, v17
	v_subrev_nc_u32_e32 v23, 28, v17
	v_sub_nc_u32_e32 v17, 29, v17
	v_lshlrev_b64 v[23:24], v23, v[10:11]
	v_and_b32_e32 v23, 7, v23
; %bb.1512:                             ;   in Loop: Header=BB380_1062 Depth=1
	s_or_b32 exec_lo, exec_lo, s20
	v_mov_b32_e32 v10, 24
	v_lshlrev_b32_e32 v23, 20, v23
	v_lshl_add_u32 v17, v17, 23, 0x3c000000
	v_lshlrev_b32_sdwa v10, v10, v21 dst_sel:DWORD dst_unused:UNUSED_PAD src0_sel:DWORD src1_sel:WORD_1
	v_and_b32_e32 v10, 0x80000000, v10
	v_or3_b32 v27, v23, v10, v17
.LBB380_1513:                           ;   in Loop: Header=BB380_1062 Depth=1
	s_or_b32 exec_lo, exec_lo, s18
.LBB380_1514:                           ;   in Loop: Header=BB380_1062 Depth=1
	s_or_b32 exec_lo, exec_lo, s17
.LBB380_1515:                           ;   in Loop: Header=BB380_1062 Depth=1
	s_or_b32 exec_lo, exec_lo, s16
	s_mov_b32 s16, exec_lo
	v_cmpx_lt_u64_e64 s[12:13], v[20:21]
	s_cbranch_execz .LBB380_1523
; %bb.1516:                             ;   in Loop: Header=BB380_1062 Depth=1
	v_cmp_ne_u32_sdwa s4, v21, v82 src0_sel:BYTE_3 src1_sel:DWORD
	v_bfrev_b32_e32 v25, 1
	s_and_saveexec_b32 s17, s4
	s_cbranch_execz .LBB380_1522
; %bb.1517:                             ;   in Loop: Header=BB380_1062 Depth=1
	v_bfe_u32 v20, v21, 24, 7
	v_mov_b32_e32 v25, 0x7f800001
	s_mov_b32 s18, exec_lo
	v_cmpx_ne_u32_e32 0x7f, v20
	s_cbranch_execz .LBB380_1521
; %bb.1518:                             ;   in Loop: Header=BB380_1062 Depth=1
	v_mov_b32_e32 v10, 7
	v_lshrrev_b32_e32 v17, 3, v20
	s_mov_b32 s20, exec_lo
	v_and_b32_sdwa v10, v21, v10 dst_sel:DWORD dst_unused:UNUSED_PAD src0_sel:BYTE_3 src1_sel:DWORD
	v_mov_b32_e32 v24, v11
	v_mov_b32_e32 v23, v10
	v_cmpx_gt_u32_e32 8, v20
; %bb.1519:                             ;   in Loop: Header=BB380_1062 Depth=1
	v_ffbh_u32_e32 v17, v10
	v_min_u32_e32 v17, 32, v17
	v_subrev_nc_u32_e32 v20, 28, v17
	v_sub_nc_u32_e32 v17, 29, v17
	v_lshlrev_b64 v[23:24], v20, v[10:11]
	v_and_b32_e32 v23, 7, v23
; %bb.1520:                             ;   in Loop: Header=BB380_1062 Depth=1
	s_or_b32 exec_lo, exec_lo, s20
	v_mov_b32_e32 v10, 24
	v_lshlrev_b32_e32 v20, 20, v23
	v_lshl_add_u32 v17, v17, 23, 0x3c000000
	v_lshlrev_b32_sdwa v10, v10, v21 dst_sel:DWORD dst_unused:UNUSED_PAD src0_sel:DWORD src1_sel:BYTE_3
	v_and_b32_e32 v10, 0x80000000, v10
	v_or3_b32 v25, v20, v10, v17
.LBB380_1521:                           ;   in Loop: Header=BB380_1062 Depth=1
	s_or_b32 exec_lo, exec_lo, s18
.LBB380_1522:                           ;   in Loop: Header=BB380_1062 Depth=1
	s_or_b32 exec_lo, exec_lo, s17
.LBB380_1523:                           ;   in Loop: Header=BB380_1062 Depth=1
	s_or_b32 exec_lo, exec_lo, s16
	v_mul_f32_e32 v4, v58, v4
	v_mul_f32_e32 v5, v58, v5
	v_bfe_u32 v10, v4, 16, 1
	v_or_b32_e32 v17, 0x400000, v4
	v_cmp_u_f32_e64 s4, v4, v4
	v_add3_u32 v10, v10, v4, 0x7fff
	v_cndmask_b32_e64 v4, v10, v17, s4
	v_bfe_u32 v10, v5, 16, 1
	v_or_b32_e32 v17, 0x400000, v5
	v_cmp_u_f32_e64 s4, v5, v5
	v_lshrrev_b32_e32 v4, 16, v4
	v_add3_u32 v10, v10, v5, 0x7fff
	v_cndmask_b32_e64 v5, v10, v17, s4
	v_mul_f32_e32 v10, v58, v22
	v_lshrrev_b32_e32 v5, 16, v5
	v_bfe_u32 v17, v10, 16, 1
	v_or_b32_e32 v20, 0x400000, v10
	v_cmp_u_f32_e64 s4, v10, v10
	v_add3_u32 v17, v17, v10, 0x7fff
	v_cndmask_b32_e64 v10, v17, v20, s4
	v_lshrrev_b32_e32 v22, 16, v10
	v_mul_f32_e32 v10, v58, v16
	v_bfe_u32 v16, v10, 16, 1
	v_or_b32_e32 v17, 0x400000, v10
	v_cmp_u_f32_e64 s4, v10, v10
	v_add3_u32 v16, v16, v10, 0x7fff
	v_cndmask_b32_e64 v10, v16, v17, s4
	v_lshrrev_b32_e32 v26, 16, v10
	v_mul_f32_e32 v10, v58, v13
	;; [unrolled: 7-line block ×5, first 2 shown]
	v_bfe_u32 v12, v10, 16, 1
	v_or_b32_e32 v13, 0x400000, v10
	v_cmp_u_f32_e64 s4, v10, v10
	v_add3_u32 v12, v12, v10, 0x7fff
	v_cndmask_b32_e64 v10, v12, v13, s4
	v_lshrrev_b32_e32 v48, 16, v10
	s_and_saveexec_b32 s16, vcc_lo
	s_cbranch_execz .LBB380_1525
; %bb.1524:                             ;   in Loop: Header=BB380_1062 Depth=1
	v_cmp_lt_i32_e64 s4, v75, v38
	v_cndmask_b32_e64 v39, 0, v39, s4
	v_cmp_lt_i32_e64 s4, v90, v38
	v_cndmask_b32_e64 v37, 0, v37, s4
	;; [unrolled: 2-line block ×8, first 2 shown]
.LBB380_1525:                           ;   in Loop: Header=BB380_1062 Depth=1
	s_or_b32 exec_lo, exec_lo, s16
	flat_load_dwordx2 v[20:21], v[18:19] offset:1792
	v_mov_b32_e32 v13, 0
	v_mov_b32_e32 v12, 0
	s_waitcnt vmcnt(0) lgkmcnt(0)
	v_cmp_ne_u16_sdwa s4, v20, v11 src0_sel:BYTE_0 src1_sel:DWORD
	s_and_saveexec_b32 s16, s4
	s_cbranch_execz .LBB380_1533
; %bb.1526:                             ;   in Loop: Header=BB380_1062 Depth=1
	v_cmp_ne_u16_sdwa s4, v20, v82 src0_sel:BYTE_0 src1_sel:DWORD
	v_bfrev_b32_e32 v12, 1
	s_and_saveexec_b32 s17, s4
	s_cbranch_execz .LBB380_1532
; %bb.1527:                             ;   in Loop: Header=BB380_1062 Depth=1
	v_and_b32_e32 v16, 0x7f, v20
	v_mov_b32_e32 v12, 0x7f800001
	s_mov_b32 s18, exec_lo
	v_cmpx_ne_u32_e32 0x7f, v16
	s_cbranch_execz .LBB380_1531
; %bb.1528:                             ;   in Loop: Header=BB380_1062 Depth=1
	v_mov_b32_e32 v24, v21
	v_lshrrev_b32_e32 v10, 3, v16
	v_mov_b32_e32 v23, v20
	s_mov_b32 s20, exec_lo
	v_cmpx_gt_u32_e32 8, v16
; %bb.1529:                             ;   in Loop: Header=BB380_1062 Depth=1
	v_and_b32_e32 v10, 7, v20
	v_ffbh_u32_e32 v10, v10
	v_min_u32_e32 v10, 32, v10
	v_subrev_nc_u32_e32 v12, 28, v10
	v_sub_nc_u32_e32 v10, 29, v10
	v_lshlrev_b64 v[23:24], v12, v[20:21]
; %bb.1530:                             ;   in Loop: Header=BB380_1062 Depth=1
	s_or_b32 exec_lo, exec_lo, s20
	v_lshlrev_b32_e32 v12, 20, v23
	v_lshlrev_b32_e32 v16, 24, v20
	v_lshl_add_u32 v10, v10, 23, 0x3c000000
	v_and_b32_e32 v12, 0x700000, v12
	v_and_b32_e32 v16, 0x80000000, v16
	v_or3_b32 v12, v12, v16, v10
.LBB380_1531:                           ;   in Loop: Header=BB380_1062 Depth=1
	s_or_b32 exec_lo, exec_lo, s18
.LBB380_1532:                           ;   in Loop: Header=BB380_1062 Depth=1
	s_or_b32 exec_lo, exec_lo, s17
.LBB380_1533:                           ;   in Loop: Header=BB380_1062 Depth=1
	s_or_b32 exec_lo, exec_lo, s16
	v_cmp_ne_u16_sdwa s4, v20, v11 src0_sel:BYTE_1 src1_sel:DWORD
	s_and_saveexec_b32 s16, s4
	s_cbranch_execz .LBB380_1541
; %bb.1534:                             ;   in Loop: Header=BB380_1062 Depth=1
	v_cmp_ne_u16_sdwa s4, v20, v82 src0_sel:BYTE_1 src1_sel:DWORD
	v_bfrev_b32_e32 v13, 1
	s_and_saveexec_b32 s17, s4
	s_cbranch_execz .LBB380_1540
; %bb.1535:                             ;   in Loop: Header=BB380_1062 Depth=1
	v_mov_b32_e32 v10, 0xffff
	v_mov_b32_e32 v13, 0x7f800001
	s_mov_b32 s18, exec_lo
	v_and_b32_sdwa v10, v10, v20 dst_sel:DWORD dst_unused:UNUSED_PAD src0_sel:DWORD src1_sel:BYTE_1
	v_and_b32_e32 v16, 0x7f, v10
	v_cmpx_ne_u32_e32 0x7f, v16
	s_cbranch_execz .LBB380_1539
; %bb.1536:                             ;   in Loop: Header=BB380_1062 Depth=1
	v_and_b32_e32 v10, 7, v10
	v_mov_b32_e32 v24, v11
	v_lshrrev_b32_e32 v13, 3, v16
	s_mov_b32 s20, exec_lo
	v_mov_b32_e32 v23, v10
	v_cmpx_gt_u32_e32 8, v16
; %bb.1537:                             ;   in Loop: Header=BB380_1062 Depth=1
	v_ffbh_u32_e32 v13, v10
	v_min_u32_e32 v13, 32, v13
	v_subrev_nc_u32_e32 v16, 28, v13
	v_sub_nc_u32_e32 v13, 29, v13
	v_lshlrev_b64 v[16:17], v16, v[10:11]
	v_and_b32_e32 v23, 7, v16
; %bb.1538:                             ;   in Loop: Header=BB380_1062 Depth=1
	s_or_b32 exec_lo, exec_lo, s20
	v_lshlrev_b32_e32 v10, 16, v20
	v_lshlrev_b32_e32 v16, 20, v23
	v_lshl_add_u32 v13, v13, 23, 0x3c000000
	v_and_b32_e32 v10, 0x80000000, v10
	v_or3_b32 v13, v16, v10, v13
.LBB380_1539:                           ;   in Loop: Header=BB380_1062 Depth=1
	s_or_b32 exec_lo, exec_lo, s18
.LBB380_1540:                           ;   in Loop: Header=BB380_1062 Depth=1
	s_or_b32 exec_lo, exec_lo, s17
.LBB380_1541:                           ;   in Loop: Header=BB380_1062 Depth=1
	s_or_b32 exec_lo, exec_lo, s16
	v_and_b32_sdwa v10, v20, v84 dst_sel:DWORD dst_unused:UNUSED_PAD src0_sel:WORD_1 src1_sel:DWORD
	v_mov_b32_e32 v25, 0
	v_mov_b32_e32 v16, 0
	s_mov_b32 s16, exec_lo
	v_cmpx_ne_u16_e32 0, v10
	s_cbranch_execz .LBB380_1549
; %bb.1542:                             ;   in Loop: Header=BB380_1062 Depth=1
	v_bfrev_b32_e32 v16, 1
	s_mov_b32 s17, exec_lo
	v_cmpx_ne_u16_e32 0x80, v10
	s_cbranch_execz .LBB380_1548
; %bb.1543:                             ;   in Loop: Header=BB380_1062 Depth=1
	v_bfe_u32 v17, v20, 16, 7
	v_mov_b32_e32 v16, 0x7f800001
	s_mov_b32 s18, exec_lo
	v_cmpx_ne_u32_e32 0x7f, v17
	s_cbranch_execz .LBB380_1547
; %bb.1544:                             ;   in Loop: Header=BB380_1062 Depth=1
	v_mov_b32_e32 v10, 7
	v_lshrrev_b32_e32 v16, 3, v17
	s_mov_b32 s20, exec_lo
	v_and_b32_sdwa v10, v20, v10 dst_sel:DWORD dst_unused:UNUSED_PAD src0_sel:WORD_1 src1_sel:DWORD
	v_mov_b32_e32 v24, v11
	v_mov_b32_e32 v23, v10
	v_cmpx_gt_u32_e32 8, v17
; %bb.1545:                             ;   in Loop: Header=BB380_1062 Depth=1
	v_ffbh_u32_e32 v16, v10
	v_min_u32_e32 v16, 32, v16
	v_subrev_nc_u32_e32 v17, 28, v16
	v_sub_nc_u32_e32 v16, 29, v16
	v_lshlrev_b64 v[23:24], v17, v[10:11]
	v_and_b32_e32 v23, 7, v23
; %bb.1546:                             ;   in Loop: Header=BB380_1062 Depth=1
	s_or_b32 exec_lo, exec_lo, s20
	v_mov_b32_e32 v10, 24
	v_lshlrev_b32_e32 v17, 20, v23
	v_lshl_add_u32 v16, v16, 23, 0x3c000000
	v_lshlrev_b32_sdwa v10, v10, v20 dst_sel:DWORD dst_unused:UNUSED_PAD src0_sel:DWORD src1_sel:WORD_1
	v_and_b32_e32 v10, 0x80000000, v10
	v_or3_b32 v16, v17, v10, v16
.LBB380_1547:                           ;   in Loop: Header=BB380_1062 Depth=1
	s_or_b32 exec_lo, exec_lo, s18
.LBB380_1548:                           ;   in Loop: Header=BB380_1062 Depth=1
	s_or_b32 exec_lo, exec_lo, s17
.LBB380_1549:                           ;   in Loop: Header=BB380_1062 Depth=1
	s_or_b32 exec_lo, exec_lo, s16
	s_mov_b32 s16, exec_lo
	v_cmpx_lt_u32_e32 0xffffff, v20
	s_cbranch_execz .LBB380_1557
; %bb.1550:                             ;   in Loop: Header=BB380_1062 Depth=1
	v_cmp_ne_u32_sdwa s4, v20, v82 src0_sel:BYTE_3 src1_sel:DWORD
	v_bfrev_b32_e32 v25, 1
	s_and_saveexec_b32 s17, s4
	s_cbranch_execz .LBB380_1556
; %bb.1551:                             ;   in Loop: Header=BB380_1062 Depth=1
	v_bfe_u32 v23, v20, 24, 7
	v_mov_b32_e32 v25, 0x7f800001
	s_mov_b32 s18, exec_lo
	v_cmpx_ne_u32_e32 0x7f, v23
	s_cbranch_execz .LBB380_1555
; %bb.1552:                             ;   in Loop: Header=BB380_1062 Depth=1
	v_mov_b32_e32 v10, 7
	v_lshrrev_b32_e32 v17, 3, v23
	v_cmp_gt_u32_e64 s4, 8, v23
	v_and_b32_sdwa v10, v20, v10 dst_sel:DWORD dst_unused:UNUSED_PAD src0_sel:BYTE_3 src1_sel:DWORD
	v_mov_b32_e32 v24, v11
	v_mov_b32_e32 v23, v10
	s_and_saveexec_b32 s20, s4
; %bb.1553:                             ;   in Loop: Header=BB380_1062 Depth=1
	v_ffbh_u32_e32 v17, v10
	v_min_u32_e32 v17, 32, v17
	v_subrev_nc_u32_e32 v23, 28, v17
	v_sub_nc_u32_e32 v17, 29, v17
	v_lshlrev_b64 v[23:24], v23, v[10:11]
	v_and_b32_e32 v23, 7, v23
; %bb.1554:                             ;   in Loop: Header=BB380_1062 Depth=1
	s_or_b32 exec_lo, exec_lo, s20
	v_mov_b32_e32 v10, 24
	v_lshlrev_b32_e32 v23, 20, v23
	v_lshl_add_u32 v17, v17, 23, 0x3c000000
	v_lshlrev_b32_sdwa v10, v10, v20 dst_sel:DWORD dst_unused:UNUSED_PAD src0_sel:DWORD src1_sel:BYTE_3
	v_and_b32_e32 v10, 0x80000000, v10
	v_or3_b32 v25, v23, v10, v17
.LBB380_1555:                           ;   in Loop: Header=BB380_1062 Depth=1
	s_or_b32 exec_lo, exec_lo, s18
.LBB380_1556:                           ;   in Loop: Header=BB380_1062 Depth=1
	s_or_b32 exec_lo, exec_lo, s17
.LBB380_1557:                           ;   in Loop: Header=BB380_1062 Depth=1
	s_or_b32 exec_lo, exec_lo, s16
	v_mov_b32_e32 v10, v21
	v_cmp_ne_u16_sdwa s4, v21, v11 src0_sel:BYTE_0 src1_sel:DWORD
	v_mov_b32_e32 v29, 0
	v_mov_b32_e32 v17, 0
	s_and_saveexec_b32 s16, s4
	s_cbranch_execz .LBB380_1565
; %bb.1558:                             ;   in Loop: Header=BB380_1062 Depth=1
	v_cmp_ne_u16_sdwa s4, v21, v82 src0_sel:BYTE_0 src1_sel:DWORD
	v_bfrev_b32_e32 v17, 1
	s_and_saveexec_b32 s17, s4
	s_cbranch_execz .LBB380_1564
; %bb.1559:                             ;   in Loop: Header=BB380_1062 Depth=1
	v_and_b32_e32 v23, 0x7f, v21
	v_mov_b32_e32 v17, 0x7f800001
	s_mov_b32 s18, exec_lo
	v_cmpx_ne_u32_e32 0x7f, v23
	s_cbranch_execz .LBB380_1563
; %bb.1560:                             ;   in Loop: Header=BB380_1062 Depth=1
	v_lshrrev_b32_e32 v17, 3, v23
	v_cmp_gt_u32_e64 s4, 8, v23
	v_mov_b32_e32 v24, v11
	v_mov_b32_e32 v23, v10
	s_and_saveexec_b32 s20, s4
; %bb.1561:                             ;   in Loop: Header=BB380_1062 Depth=1
	v_and_b32_e32 v17, 7, v21
	v_ffbh_u32_e32 v17, v17
	v_min_u32_e32 v17, 32, v17
	v_subrev_nc_u32_e32 v23, 28, v17
	v_sub_nc_u32_e32 v17, 29, v17
	v_lshlrev_b64 v[23:24], v23, v[10:11]
; %bb.1562:                             ;   in Loop: Header=BB380_1062 Depth=1
	s_or_b32 exec_lo, exec_lo, s20
	v_lshlrev_b32_e32 v23, 20, v23
	v_lshlrev_b32_e32 v24, 24, v10
	v_lshl_add_u32 v17, v17, 23, 0x3c000000
	v_and_b32_e32 v23, 0x700000, v23
	v_and_b32_e32 v24, 0x80000000, v24
	v_or3_b32 v17, v23, v24, v17
.LBB380_1563:                           ;   in Loop: Header=BB380_1062 Depth=1
	s_or_b32 exec_lo, exec_lo, s18
.LBB380_1564:                           ;   in Loop: Header=BB380_1062 Depth=1
	s_or_b32 exec_lo, exec_lo, s17
.LBB380_1565:                           ;   in Loop: Header=BB380_1062 Depth=1
	s_or_b32 exec_lo, exec_lo, s16
	v_cmp_ne_u16_sdwa s4, v10, v11 src0_sel:BYTE_1 src1_sel:DWORD
	s_and_saveexec_b32 s16, s4
	s_cbranch_execz .LBB380_1573
; %bb.1566:                             ;   in Loop: Header=BB380_1062 Depth=1
	v_cmp_ne_u16_sdwa s4, v10, v82 src0_sel:BYTE_1 src1_sel:DWORD
	v_bfrev_b32_e32 v29, 1
	s_and_saveexec_b32 s17, s4
	s_cbranch_execz .LBB380_1572
; %bb.1567:                             ;   in Loop: Header=BB380_1062 Depth=1
	v_mov_b32_e32 v23, 0xffff
	v_mov_b32_e32 v29, 0x7f800001
	s_mov_b32 s18, exec_lo
	v_and_b32_sdwa v23, v23, v10 dst_sel:DWORD dst_unused:UNUSED_PAD src0_sel:DWORD src1_sel:BYTE_1
	v_and_b32_e32 v31, 0x7f, v23
	v_cmpx_ne_u32_e32 0x7f, v31
	s_cbranch_execz .LBB380_1571
; %bb.1568:                             ;   in Loop: Header=BB380_1062 Depth=1
	v_and_b32_e32 v23, 7, v23
	v_mov_b32_e32 v24, v11
	v_lshrrev_b32_e32 v28, 3, v31
	s_mov_b32 s20, exec_lo
	v_cmpx_gt_u32_e32 8, v31
; %bb.1569:                             ;   in Loop: Header=BB380_1062 Depth=1
	v_ffbh_u32_e32 v28, v23
	v_min_u32_e32 v28, 32, v28
	v_subrev_nc_u32_e32 v29, 28, v28
	v_sub_nc_u32_e32 v28, 29, v28
	v_lshlrev_b64 v[23:24], v29, v[23:24]
	v_and_b32_e32 v23, 7, v23
; %bb.1570:                             ;   in Loop: Header=BB380_1062 Depth=1
	s_or_b32 exec_lo, exec_lo, s20
	v_lshlrev_b32_e32 v10, 16, v10
	v_lshlrev_b32_e32 v23, 20, v23
	v_lshl_add_u32 v24, v28, 23, 0x3c000000
	v_and_b32_e32 v10, 0x80000000, v10
	v_or3_b32 v29, v23, v10, v24
.LBB380_1571:                           ;   in Loop: Header=BB380_1062 Depth=1
	s_or_b32 exec_lo, exec_lo, s18
.LBB380_1572:                           ;   in Loop: Header=BB380_1062 Depth=1
	s_or_b32 exec_lo, exec_lo, s17
.LBB380_1573:                           ;   in Loop: Header=BB380_1062 Depth=1
	s_or_b32 exec_lo, exec_lo, s16
	v_and_b32_sdwa v10, v21, v84 dst_sel:DWORD dst_unused:UNUSED_PAD src0_sel:WORD_1 src1_sel:DWORD
	v_mov_b32_e32 v28, 0
	v_mov_b32_e32 v31, 0
	s_mov_b32 s16, exec_lo
	v_cmpx_ne_u16_e32 0, v10
	s_cbranch_execz .LBB380_1581
; %bb.1574:                             ;   in Loop: Header=BB380_1062 Depth=1
	v_bfrev_b32_e32 v31, 1
	s_mov_b32 s17, exec_lo
	v_cmpx_ne_u16_e32 0x80, v10
	s_cbranch_execz .LBB380_1580
; %bb.1575:                             ;   in Loop: Header=BB380_1062 Depth=1
	v_bfe_u32 v23, v21, 16, 7
	v_mov_b32_e32 v31, 0x7f800001
	s_mov_b32 s18, exec_lo
	v_cmpx_ne_u32_e32 0x7f, v23
	s_cbranch_execz .LBB380_1579
; %bb.1576:                             ;   in Loop: Header=BB380_1062 Depth=1
	v_mov_b32_e32 v10, 7
	v_lshrrev_b32_e32 v31, 3, v23
	v_cmp_gt_u32_e64 s4, 8, v23
	v_and_b32_sdwa v10, v21, v10 dst_sel:DWORD dst_unused:UNUSED_PAD src0_sel:WORD_1 src1_sel:DWORD
	v_mov_b32_e32 v24, v11
	v_mov_b32_e32 v23, v10
	s_and_saveexec_b32 s20, s4
; %bb.1577:                             ;   in Loop: Header=BB380_1062 Depth=1
	v_ffbh_u32_e32 v23, v10
	v_min_u32_e32 v31, 32, v23
	v_subrev_nc_u32_e32 v23, 28, v31
	v_sub_nc_u32_e32 v31, 29, v31
	v_lshlrev_b64 v[23:24], v23, v[10:11]
	v_and_b32_e32 v23, 7, v23
; %bb.1578:                             ;   in Loop: Header=BB380_1062 Depth=1
	s_or_b32 exec_lo, exec_lo, s20
	v_mov_b32_e32 v10, 24
	v_lshlrev_b32_e32 v23, 20, v23
	v_lshl_add_u32 v24, v31, 23, 0x3c000000
	v_lshlrev_b32_sdwa v10, v10, v21 dst_sel:DWORD dst_unused:UNUSED_PAD src0_sel:DWORD src1_sel:WORD_1
	v_and_b32_e32 v10, 0x80000000, v10
	v_or3_b32 v31, v23, v10, v24
.LBB380_1579:                           ;   in Loop: Header=BB380_1062 Depth=1
	s_or_b32 exec_lo, exec_lo, s18
.LBB380_1580:                           ;   in Loop: Header=BB380_1062 Depth=1
	s_or_b32 exec_lo, exec_lo, s17
.LBB380_1581:                           ;   in Loop: Header=BB380_1062 Depth=1
	s_or_b32 exec_lo, exec_lo, s16
	s_mov_b32 s16, exec_lo
	v_cmpx_lt_u64_e64 s[12:13], v[20:21]
	s_cbranch_execz .LBB380_1589
; %bb.1582:                             ;   in Loop: Header=BB380_1062 Depth=1
	v_cmp_ne_u32_sdwa s4, v21, v82 src0_sel:BYTE_3 src1_sel:DWORD
	v_bfrev_b32_e32 v28, 1
	s_and_saveexec_b32 s17, s4
	s_cbranch_execz .LBB380_1588
; %bb.1583:                             ;   in Loop: Header=BB380_1062 Depth=1
	v_bfe_u32 v23, v21, 24, 7
	v_mov_b32_e32 v28, 0x7f800001
	s_mov_b32 s18, exec_lo
	v_cmpx_ne_u32_e32 0x7f, v23
	s_cbranch_execz .LBB380_1587
; %bb.1584:                             ;   in Loop: Header=BB380_1062 Depth=1
	v_mov_b32_e32 v10, 7
	v_lshrrev_b32_e32 v20, 3, v23
	v_cmp_gt_u32_e64 s4, 8, v23
	v_and_b32_sdwa v10, v21, v10 dst_sel:DWORD dst_unused:UNUSED_PAD src0_sel:BYTE_3 src1_sel:DWORD
	v_mov_b32_e32 v24, v11
	v_mov_b32_e32 v23, v10
	s_and_saveexec_b32 s20, s4
; %bb.1585:                             ;   in Loop: Header=BB380_1062 Depth=1
	v_ffbh_u32_e32 v20, v10
	v_min_u32_e32 v20, 32, v20
	v_subrev_nc_u32_e32 v23, 28, v20
	v_sub_nc_u32_e32 v20, 29, v20
	v_lshlrev_b64 v[23:24], v23, v[10:11]
	v_and_b32_e32 v23, 7, v23
; %bb.1586:                             ;   in Loop: Header=BB380_1062 Depth=1
	s_or_b32 exec_lo, exec_lo, s20
	v_mov_b32_e32 v10, 24
	v_lshl_add_u32 v20, v20, 23, 0x3c000000
	v_lshlrev_b32_sdwa v10, v10, v21 dst_sel:DWORD dst_unused:UNUSED_PAD src0_sel:DWORD src1_sel:BYTE_3
	v_lshlrev_b32_e32 v21, 20, v23
	v_and_b32_e32 v10, 0x80000000, v10
	v_or3_b32 v28, v21, v10, v20
.LBB380_1587:                           ;   in Loop: Header=BB380_1062 Depth=1
	s_or_b32 exec_lo, exec_lo, s18
.LBB380_1588:                           ;   in Loop: Header=BB380_1062 Depth=1
	s_or_b32 exec_lo, exec_lo, s17
.LBB380_1589:                           ;   in Loop: Header=BB380_1062 Depth=1
	s_or_b32 exec_lo, exec_lo, s16
	v_mul_f32_e32 v10, v58, v29
	v_bfe_u32 v20, v10, 16, 1
	v_or_b32_e32 v21, 0x400000, v10
	v_cmp_u_f32_e64 s4, v10, v10
	v_add3_u32 v20, v20, v10, 0x7fff
	v_cndmask_b32_e64 v10, v20, v21, s4
	v_lshrrev_b32_e32 v123, 16, v10
	v_mul_f32_e32 v10, v58, v17
	v_bfe_u32 v17, v10, 16, 1
	v_or_b32_e32 v20, 0x400000, v10
	v_cmp_u_f32_e64 s4, v10, v10
	v_add3_u32 v17, v17, v10, 0x7fff
	v_cndmask_b32_e64 v10, v17, v20, s4
	v_lshrrev_b32_e32 v124, 16, v10
	;; [unrolled: 7-line block ×8, first 2 shown]
	s_and_saveexec_b32 s16, vcc_lo
	s_cbranch_execz .LBB380_1591
; %bb.1590:                             ;   in Loop: Header=BB380_1062 Depth=1
	v_cmp_lt_i32_e64 s4, v75, v38
	v_cndmask_b32_e64 v81, 0, v81, s4
	v_cmp_lt_i32_e64 s4, v90, v38
	v_cndmask_b32_e64 v29, 0, v29, s4
	;; [unrolled: 2-line block ×8, first 2 shown]
.LBB380_1591:                           ;   in Loop: Header=BB380_1062 Depth=1
	s_or_b32 exec_lo, exec_lo, s16
	v_add_co_u32 v18, s4, 0x800, v18
	v_add_co_ci_u32_e64 v19, null, 0, v19, s4
	v_mov_b32_e32 v25, 0
	v_mov_b32_e32 v16, 0
	flat_load_dwordx2 v[20:21], v[18:19]
	s_waitcnt vmcnt(0) lgkmcnt(0)
	v_cmp_ne_u16_sdwa s4, v20, v11 src0_sel:BYTE_0 src1_sel:DWORD
	s_and_saveexec_b32 s16, s4
	s_cbranch_execz .LBB380_1599
; %bb.1592:                             ;   in Loop: Header=BB380_1062 Depth=1
	v_cmp_ne_u16_sdwa s4, v20, v82 src0_sel:BYTE_0 src1_sel:DWORD
	v_bfrev_b32_e32 v16, 1
	s_and_saveexec_b32 s17, s4
	s_cbranch_execz .LBB380_1598
; %bb.1593:                             ;   in Loop: Header=BB380_1062 Depth=1
	v_and_b32_e32 v12, 0x7f, v20
	v_mov_b32_e32 v16, 0x7f800001
	s_mov_b32 s18, exec_lo
	v_cmpx_ne_u32_e32 0x7f, v12
	s_cbranch_execz .LBB380_1597
; %bb.1594:                             ;   in Loop: Header=BB380_1062 Depth=1
	v_mov_b32_e32 v24, v21
	v_lshrrev_b32_e32 v10, 3, v12
	v_mov_b32_e32 v23, v20
	s_mov_b32 s20, exec_lo
	v_cmpx_gt_u32_e32 8, v12
; %bb.1595:                             ;   in Loop: Header=BB380_1062 Depth=1
	v_and_b32_e32 v10, 7, v20
	v_ffbh_u32_e32 v10, v10
	v_min_u32_e32 v10, 32, v10
	v_subrev_nc_u32_e32 v12, 28, v10
	v_sub_nc_u32_e32 v10, 29, v10
	v_lshlrev_b64 v[23:24], v12, v[20:21]
; %bb.1596:                             ;   in Loop: Header=BB380_1062 Depth=1
	s_or_b32 exec_lo, exec_lo, s20
	v_lshlrev_b32_e32 v12, 20, v23
	v_lshlrev_b32_e32 v13, 24, v20
	v_lshl_add_u32 v10, v10, 23, 0x3c000000
	v_and_b32_e32 v12, 0x700000, v12
	v_and_b32_e32 v13, 0x80000000, v13
	v_or3_b32 v16, v12, v13, v10
.LBB380_1597:                           ;   in Loop: Header=BB380_1062 Depth=1
	s_or_b32 exec_lo, exec_lo, s18
.LBB380_1598:                           ;   in Loop: Header=BB380_1062 Depth=1
	s_or_b32 exec_lo, exec_lo, s17
.LBB380_1599:                           ;   in Loop: Header=BB380_1062 Depth=1
	s_or_b32 exec_lo, exec_lo, s16
	v_cmp_ne_u16_sdwa s4, v20, v11 src0_sel:BYTE_1 src1_sel:DWORD
	s_and_saveexec_b32 s16, s4
	s_cbranch_execz .LBB380_1607
; %bb.1600:                             ;   in Loop: Header=BB380_1062 Depth=1
	v_cmp_ne_u16_sdwa s4, v20, v82 src0_sel:BYTE_1 src1_sel:DWORD
	v_bfrev_b32_e32 v25, 1
	s_and_saveexec_b32 s17, s4
	s_cbranch_execz .LBB380_1606
; %bb.1601:                             ;   in Loop: Header=BB380_1062 Depth=1
	v_mov_b32_e32 v10, 0xffff
	v_mov_b32_e32 v25, 0x7f800001
	s_mov_b32 s18, exec_lo
	v_and_b32_sdwa v10, v10, v20 dst_sel:DWORD dst_unused:UNUSED_PAD src0_sel:DWORD src1_sel:BYTE_1
	v_and_b32_e32 v13, 0x7f, v10
	v_cmpx_ne_u32_e32 0x7f, v13
	s_cbranch_execz .LBB380_1605
; %bb.1602:                             ;   in Loop: Header=BB380_1062 Depth=1
	v_and_b32_e32 v10, 7, v10
	v_mov_b32_e32 v24, v11
	v_lshrrev_b32_e32 v12, 3, v13
	s_mov_b32 s20, exec_lo
	v_mov_b32_e32 v23, v10
	v_cmpx_gt_u32_e32 8, v13
; %bb.1603:                             ;   in Loop: Header=BB380_1062 Depth=1
	v_ffbh_u32_e32 v12, v10
	v_min_u32_e32 v12, 32, v12
	v_subrev_nc_u32_e32 v13, 28, v12
	v_sub_nc_u32_e32 v12, 29, v12
	v_lshlrev_b64 v[23:24], v13, v[10:11]
	v_and_b32_e32 v23, 7, v23
; %bb.1604:                             ;   in Loop: Header=BB380_1062 Depth=1
	s_or_b32 exec_lo, exec_lo, s20
	v_lshlrev_b32_e32 v10, 16, v20
	v_lshlrev_b32_e32 v13, 20, v23
	v_lshl_add_u32 v12, v12, 23, 0x3c000000
	v_and_b32_e32 v10, 0x80000000, v10
	v_or3_b32 v25, v13, v10, v12
.LBB380_1605:                           ;   in Loop: Header=BB380_1062 Depth=1
	s_or_b32 exec_lo, exec_lo, s18
.LBB380_1606:                           ;   in Loop: Header=BB380_1062 Depth=1
	s_or_b32 exec_lo, exec_lo, s17
.LBB380_1607:                           ;   in Loop: Header=BB380_1062 Depth=1
	s_or_b32 exec_lo, exec_lo, s16
	v_and_b32_sdwa v10, v20, v84 dst_sel:DWORD dst_unused:UNUSED_PAD src0_sel:WORD_1 src1_sel:DWORD
	v_mov_b32_e32 v31, 0
	v_mov_b32_e32 v28, 0
	s_mov_b32 s16, exec_lo
	v_cmpx_ne_u16_e32 0, v10
	s_cbranch_execz .LBB380_1615
; %bb.1608:                             ;   in Loop: Header=BB380_1062 Depth=1
	v_bfrev_b32_e32 v28, 1
	s_mov_b32 s17, exec_lo
	v_cmpx_ne_u16_e32 0x80, v10
	s_cbranch_execz .LBB380_1614
; %bb.1609:                             ;   in Loop: Header=BB380_1062 Depth=1
	v_bfe_u32 v13, v20, 16, 7
	v_mov_b32_e32 v28, 0x7f800001
	s_mov_b32 s18, exec_lo
	v_cmpx_ne_u32_e32 0x7f, v13
	s_cbranch_execz .LBB380_1613
; %bb.1610:                             ;   in Loop: Header=BB380_1062 Depth=1
	v_mov_b32_e32 v10, 7
	v_lshrrev_b32_e32 v12, 3, v13
	s_mov_b32 s20, exec_lo
	v_and_b32_sdwa v10, v20, v10 dst_sel:DWORD dst_unused:UNUSED_PAD src0_sel:WORD_1 src1_sel:DWORD
	v_mov_b32_e32 v24, v11
	v_mov_b32_e32 v23, v10
	v_cmpx_gt_u32_e32 8, v13
; %bb.1611:                             ;   in Loop: Header=BB380_1062 Depth=1
	v_ffbh_u32_e32 v12, v10
	v_min_u32_e32 v12, 32, v12
	v_subrev_nc_u32_e32 v13, 28, v12
	v_sub_nc_u32_e32 v12, 29, v12
	v_lshlrev_b64 v[23:24], v13, v[10:11]
	v_and_b32_e32 v23, 7, v23
; %bb.1612:                             ;   in Loop: Header=BB380_1062 Depth=1
	s_or_b32 exec_lo, exec_lo, s20
	v_mov_b32_e32 v10, 24
	v_lshlrev_b32_e32 v13, 20, v23
	v_lshl_add_u32 v12, v12, 23, 0x3c000000
	v_lshlrev_b32_sdwa v10, v10, v20 dst_sel:DWORD dst_unused:UNUSED_PAD src0_sel:DWORD src1_sel:WORD_1
	v_and_b32_e32 v10, 0x80000000, v10
	v_or3_b32 v28, v13, v10, v12
.LBB380_1613:                           ;   in Loop: Header=BB380_1062 Depth=1
	s_or_b32 exec_lo, exec_lo, s18
.LBB380_1614:                           ;   in Loop: Header=BB380_1062 Depth=1
	s_or_b32 exec_lo, exec_lo, s17
.LBB380_1615:                           ;   in Loop: Header=BB380_1062 Depth=1
	s_or_b32 exec_lo, exec_lo, s16
	s_mov_b32 s16, exec_lo
	v_cmpx_lt_u32_e32 0xffffff, v20
	s_cbranch_execz .LBB380_1623
; %bb.1616:                             ;   in Loop: Header=BB380_1062 Depth=1
	v_cmp_ne_u32_sdwa s4, v20, v82 src0_sel:BYTE_3 src1_sel:DWORD
	v_bfrev_b32_e32 v31, 1
	s_and_saveexec_b32 s17, s4
	s_cbranch_execz .LBB380_1622
; %bb.1617:                             ;   in Loop: Header=BB380_1062 Depth=1
	v_bfe_u32 v13, v20, 24, 7
	v_mov_b32_e32 v31, 0x7f800001
	s_mov_b32 s18, exec_lo
	v_cmpx_ne_u32_e32 0x7f, v13
	s_cbranch_execz .LBB380_1621
; %bb.1618:                             ;   in Loop: Header=BB380_1062 Depth=1
	v_mov_b32_e32 v10, 7
	v_lshrrev_b32_e32 v12, 3, v13
	s_mov_b32 s20, exec_lo
	v_and_b32_sdwa v10, v20, v10 dst_sel:DWORD dst_unused:UNUSED_PAD src0_sel:BYTE_3 src1_sel:DWORD
	v_mov_b32_e32 v24, v11
	v_mov_b32_e32 v23, v10
	v_cmpx_gt_u32_e32 8, v13
; %bb.1619:                             ;   in Loop: Header=BB380_1062 Depth=1
	v_ffbh_u32_e32 v12, v10
	v_min_u32_e32 v12, 32, v12
	v_subrev_nc_u32_e32 v13, 28, v12
	v_sub_nc_u32_e32 v12, 29, v12
	v_lshlrev_b64 v[23:24], v13, v[10:11]
	v_and_b32_e32 v23, 7, v23
; %bb.1620:                             ;   in Loop: Header=BB380_1062 Depth=1
	s_or_b32 exec_lo, exec_lo, s20
	v_mov_b32_e32 v10, 24
	v_lshlrev_b32_e32 v13, 20, v23
	v_lshl_add_u32 v12, v12, 23, 0x3c000000
	v_lshlrev_b32_sdwa v10, v10, v20 dst_sel:DWORD dst_unused:UNUSED_PAD src0_sel:DWORD src1_sel:BYTE_3
	v_and_b32_e32 v10, 0x80000000, v10
	v_or3_b32 v31, v13, v10, v12
.LBB380_1621:                           ;   in Loop: Header=BB380_1062 Depth=1
	s_or_b32 exec_lo, exec_lo, s18
.LBB380_1622:                           ;   in Loop: Header=BB380_1062 Depth=1
	s_or_b32 exec_lo, exec_lo, s17
.LBB380_1623:                           ;   in Loop: Header=BB380_1062 Depth=1
	s_or_b32 exec_lo, exec_lo, s16
	v_mov_b32_e32 v10, v21
	v_cmp_ne_u16_sdwa s4, v21, v11 src0_sel:BYTE_0 src1_sel:DWORD
	v_mov_b32_e32 v12, 0
	v_mov_b32_e32 v13, 0
	s_and_saveexec_b32 s16, s4
	s_cbranch_execz .LBB380_1631
; %bb.1624:                             ;   in Loop: Header=BB380_1062 Depth=1
	v_cmp_ne_u16_sdwa s4, v21, v82 src0_sel:BYTE_0 src1_sel:DWORD
	v_bfrev_b32_e32 v13, 1
	s_and_saveexec_b32 s17, s4
	s_cbranch_execz .LBB380_1630
; %bb.1625:                             ;   in Loop: Header=BB380_1062 Depth=1
	v_and_b32_e32 v17, 0x7f, v21
	v_mov_b32_e32 v13, 0x7f800001
	s_mov_b32 s18, exec_lo
	v_cmpx_ne_u32_e32 0x7f, v17
	s_cbranch_execz .LBB380_1629
; %bb.1626:                             ;   in Loop: Header=BB380_1062 Depth=1
	v_mov_b32_e32 v24, v11
	v_lshrrev_b32_e32 v13, 3, v17
	v_mov_b32_e32 v23, v10
	s_mov_b32 s20, exec_lo
	v_cmpx_gt_u32_e32 8, v17
; %bb.1627:                             ;   in Loop: Header=BB380_1062 Depth=1
	v_and_b32_e32 v13, 7, v21
	v_ffbh_u32_e32 v13, v13
	v_min_u32_e32 v13, 32, v13
	v_subrev_nc_u32_e32 v17, 28, v13
	v_sub_nc_u32_e32 v13, 29, v13
	v_lshlrev_b64 v[23:24], v17, v[10:11]
; %bb.1628:                             ;   in Loop: Header=BB380_1062 Depth=1
	s_or_b32 exec_lo, exec_lo, s20
	v_lshlrev_b32_e32 v17, 20, v23
	v_lshlrev_b32_e32 v23, 24, v10
	v_lshl_add_u32 v13, v13, 23, 0x3c000000
	v_and_b32_e32 v17, 0x700000, v17
	v_and_b32_e32 v23, 0x80000000, v23
	v_or3_b32 v13, v17, v23, v13
.LBB380_1629:                           ;   in Loop: Header=BB380_1062 Depth=1
	s_or_b32 exec_lo, exec_lo, s18
.LBB380_1630:                           ;   in Loop: Header=BB380_1062 Depth=1
	s_or_b32 exec_lo, exec_lo, s17
.LBB380_1631:                           ;   in Loop: Header=BB380_1062 Depth=1
	s_or_b32 exec_lo, exec_lo, s16
	v_cmp_ne_u16_sdwa s4, v10, v11 src0_sel:BYTE_1 src1_sel:DWORD
	s_and_saveexec_b32 s16, s4
	s_cbranch_execz .LBB380_1639
; %bb.1632:                             ;   in Loop: Header=BB380_1062 Depth=1
	v_cmp_ne_u16_sdwa s4, v10, v82 src0_sel:BYTE_1 src1_sel:DWORD
	v_bfrev_b32_e32 v12, 1
	s_and_saveexec_b32 s17, s4
	s_cbranch_execz .LBB380_1638
; %bb.1633:                             ;   in Loop: Header=BB380_1062 Depth=1
	v_mov_b32_e32 v12, 0xffff
	s_mov_b32 s18, exec_lo
	v_and_b32_sdwa v23, v12, v10 dst_sel:DWORD dst_unused:UNUSED_PAD src0_sel:DWORD src1_sel:BYTE_1
	v_mov_b32_e32 v12, 0x7f800001
	v_and_b32_e32 v17, 0x7f, v23
	v_cmpx_ne_u32_e32 0x7f, v17
	s_cbranch_execz .LBB380_1637
; %bb.1634:                             ;   in Loop: Header=BB380_1062 Depth=1
	v_and_b32_e32 v23, 7, v23
	v_mov_b32_e32 v24, v11
	v_lshrrev_b32_e32 v12, 3, v17
	s_mov_b32 s20, exec_lo
	v_cmpx_gt_u32_e32 8, v17
; %bb.1635:                             ;   in Loop: Header=BB380_1062 Depth=1
	v_ffbh_u32_e32 v12, v23
	v_min_u32_e32 v12, 32, v12
	v_subrev_nc_u32_e32 v17, 28, v12
	v_sub_nc_u32_e32 v12, 29, v12
	v_lshlrev_b64 v[23:24], v17, v[23:24]
	v_and_b32_e32 v23, 7, v23
; %bb.1636:                             ;   in Loop: Header=BB380_1062 Depth=1
	s_or_b32 exec_lo, exec_lo, s20
	v_lshlrev_b32_e32 v10, 16, v10
	v_lshlrev_b32_e32 v17, 20, v23
	v_lshl_add_u32 v12, v12, 23, 0x3c000000
	v_and_b32_e32 v10, 0x80000000, v10
	v_or3_b32 v12, v17, v10, v12
.LBB380_1637:                           ;   in Loop: Header=BB380_1062 Depth=1
	s_or_b32 exec_lo, exec_lo, s18
.LBB380_1638:                           ;   in Loop: Header=BB380_1062 Depth=1
	s_or_b32 exec_lo, exec_lo, s17
.LBB380_1639:                           ;   in Loop: Header=BB380_1062 Depth=1
	s_or_b32 exec_lo, exec_lo, s16
	v_and_b32_sdwa v10, v21, v84 dst_sel:DWORD dst_unused:UNUSED_PAD src0_sel:WORD_1 src1_sel:DWORD
	v_mov_b32_e32 v35, 0
	v_mov_b32_e32 v32, 0
	s_mov_b32 s16, exec_lo
	v_cmpx_ne_u16_e32 0, v10
	s_cbranch_execz .LBB380_1647
; %bb.1640:                             ;   in Loop: Header=BB380_1062 Depth=1
	v_bfrev_b32_e32 v32, 1
	s_mov_b32 s17, exec_lo
	v_cmpx_ne_u16_e32 0x80, v10
	s_cbranch_execz .LBB380_1646
; %bb.1641:                             ;   in Loop: Header=BB380_1062 Depth=1
	v_bfe_u32 v23, v21, 16, 7
	v_mov_b32_e32 v32, 0x7f800001
	s_mov_b32 s18, exec_lo
	v_cmpx_ne_u32_e32 0x7f, v23
	s_cbranch_execz .LBB380_1645
; %bb.1642:                             ;   in Loop: Header=BB380_1062 Depth=1
	v_mov_b32_e32 v10, 7
	v_lshrrev_b32_e32 v17, 3, v23
	v_cmp_gt_u32_e64 s4, 8, v23
	v_and_b32_sdwa v10, v21, v10 dst_sel:DWORD dst_unused:UNUSED_PAD src0_sel:WORD_1 src1_sel:DWORD
	v_mov_b32_e32 v24, v11
	v_mov_b32_e32 v23, v10
	s_and_saveexec_b32 s20, s4
; %bb.1643:                             ;   in Loop: Header=BB380_1062 Depth=1
	v_ffbh_u32_e32 v17, v10
	v_min_u32_e32 v17, 32, v17
	v_subrev_nc_u32_e32 v23, 28, v17
	v_sub_nc_u32_e32 v17, 29, v17
	v_lshlrev_b64 v[23:24], v23, v[10:11]
	v_and_b32_e32 v23, 7, v23
; %bb.1644:                             ;   in Loop: Header=BB380_1062 Depth=1
	s_or_b32 exec_lo, exec_lo, s20
	v_mov_b32_e32 v10, 24
	v_lshlrev_b32_e32 v23, 20, v23
	v_lshl_add_u32 v17, v17, 23, 0x3c000000
	v_lshlrev_b32_sdwa v10, v10, v21 dst_sel:DWORD dst_unused:UNUSED_PAD src0_sel:DWORD src1_sel:WORD_1
	v_and_b32_e32 v10, 0x80000000, v10
	v_or3_b32 v32, v23, v10, v17
.LBB380_1645:                           ;   in Loop: Header=BB380_1062 Depth=1
	s_or_b32 exec_lo, exec_lo, s18
.LBB380_1646:                           ;   in Loop: Header=BB380_1062 Depth=1
	s_or_b32 exec_lo, exec_lo, s17
.LBB380_1647:                           ;   in Loop: Header=BB380_1062 Depth=1
	s_or_b32 exec_lo, exec_lo, s16
	s_mov_b32 s16, exec_lo
	v_cmpx_lt_u64_e64 s[12:13], v[20:21]
	s_cbranch_execz .LBB380_1655
; %bb.1648:                             ;   in Loop: Header=BB380_1062 Depth=1
	v_cmp_ne_u32_sdwa s4, v21, v82 src0_sel:BYTE_3 src1_sel:DWORD
	v_bfrev_b32_e32 v35, 1
	s_and_saveexec_b32 s17, s4
	s_cbranch_execz .LBB380_1654
; %bb.1649:                             ;   in Loop: Header=BB380_1062 Depth=1
	v_bfe_u32 v20, v21, 24, 7
	v_mov_b32_e32 v35, 0x7f800001
	s_mov_b32 s18, exec_lo
	v_cmpx_ne_u32_e32 0x7f, v20
	s_cbranch_execz .LBB380_1653
; %bb.1650:                             ;   in Loop: Header=BB380_1062 Depth=1
	v_mov_b32_e32 v10, 7
	v_lshrrev_b32_e32 v17, 3, v20
	s_mov_b32 s20, exec_lo
	v_and_b32_sdwa v10, v21, v10 dst_sel:DWORD dst_unused:UNUSED_PAD src0_sel:BYTE_3 src1_sel:DWORD
	v_mov_b32_e32 v24, v11
	v_mov_b32_e32 v23, v10
	v_cmpx_gt_u32_e32 8, v20
; %bb.1651:                             ;   in Loop: Header=BB380_1062 Depth=1
	v_ffbh_u32_e32 v17, v10
	v_min_u32_e32 v17, 32, v17
	v_subrev_nc_u32_e32 v20, 28, v17
	v_sub_nc_u32_e32 v17, 29, v17
	v_lshlrev_b64 v[23:24], v20, v[10:11]
	v_and_b32_e32 v23, 7, v23
; %bb.1652:                             ;   in Loop: Header=BB380_1062 Depth=1
	s_or_b32 exec_lo, exec_lo, s20
	v_mov_b32_e32 v10, 24
	v_lshlrev_b32_e32 v20, 20, v23
	v_lshl_add_u32 v17, v17, 23, 0x3c000000
	v_lshlrev_b32_sdwa v10, v10, v21 dst_sel:DWORD dst_unused:UNUSED_PAD src0_sel:DWORD src1_sel:BYTE_3
	v_and_b32_e32 v10, 0x80000000, v10
	v_or3_b32 v35, v20, v10, v17
.LBB380_1653:                           ;   in Loop: Header=BB380_1062 Depth=1
	s_or_b32 exec_lo, exec_lo, s18
.LBB380_1654:                           ;   in Loop: Header=BB380_1062 Depth=1
	s_or_b32 exec_lo, exec_lo, s17
.LBB380_1655:                           ;   in Loop: Header=BB380_1062 Depth=1
	s_or_b32 exec_lo, exec_lo, s16
	v_mul_f32_e32 v10, v58, v12
	v_bfe_u32 v12, v10, 16, 1
	v_or_b32_e32 v17, 0x400000, v10
	v_cmp_u_f32_e64 s4, v10, v10
	v_add3_u32 v12, v12, v10, 0x7fff
	v_cndmask_b32_e64 v10, v12, v17, s4
	v_lshrrev_b32_e32 v12, 16, v10
	v_mul_f32_e32 v10, v58, v13
	v_bfe_u32 v13, v10, 16, 1
	v_or_b32_e32 v17, 0x400000, v10
	v_cmp_u_f32_e64 s4, v10, v10
	v_add3_u32 v13, v13, v10, 0x7fff
	v_cndmask_b32_e64 v10, v13, v17, s4
	v_lshrrev_b32_e32 v13, 16, v10
	;; [unrolled: 7-line block ×8, first 2 shown]
	s_and_saveexec_b32 s16, vcc_lo
	s_cbranch_execz .LBB380_1657
; %bb.1656:                             ;   in Loop: Header=BB380_1062 Depth=1
	v_cmp_lt_i32_e64 s4, v75, v38
	v_cndmask_b32_e64 v34, 0, v34, s4
	v_cmp_lt_i32_e64 s4, v90, v38
	v_cndmask_b32_e64 v33, 0, v33, s4
	;; [unrolled: 2-line block ×8, first 2 shown]
.LBB380_1657:                           ;   in Loop: Header=BB380_1062 Depth=1
	s_or_b32 exec_lo, exec_lo, s16
	flat_load_dwordx2 v[20:21], v[18:19] offset:256
	v_mov_b32_e32 v25, 0
	v_mov_b32_e32 v16, 0
	s_waitcnt vmcnt(0) lgkmcnt(0)
	v_cmp_ne_u16_sdwa s4, v20, v11 src0_sel:BYTE_0 src1_sel:DWORD
	s_and_saveexec_b32 s16, s4
	s_cbranch_execz .LBB380_1665
; %bb.1658:                             ;   in Loop: Header=BB380_1062 Depth=1
	v_cmp_ne_u16_sdwa s4, v20, v82 src0_sel:BYTE_0 src1_sel:DWORD
	v_bfrev_b32_e32 v16, 1
	s_and_saveexec_b32 s17, s4
	s_cbranch_execz .LBB380_1664
; %bb.1659:                             ;   in Loop: Header=BB380_1062 Depth=1
	v_and_b32_e32 v17, 0x7f, v20
	v_mov_b32_e32 v16, 0x7f800001
	s_mov_b32 s18, exec_lo
	v_cmpx_ne_u32_e32 0x7f, v17
	s_cbranch_execz .LBB380_1663
; %bb.1660:                             ;   in Loop: Header=BB380_1062 Depth=1
	v_mov_b32_e32 v24, v21
	v_lshrrev_b32_e32 v10, 3, v17
	v_mov_b32_e32 v23, v20
	s_mov_b32 s20, exec_lo
	v_cmpx_gt_u32_e32 8, v17
; %bb.1661:                             ;   in Loop: Header=BB380_1062 Depth=1
	v_and_b32_e32 v10, 7, v20
	v_ffbh_u32_e32 v10, v10
	v_min_u32_e32 v10, 32, v10
	v_subrev_nc_u32_e32 v16, 28, v10
	v_sub_nc_u32_e32 v10, 29, v10
	v_lshlrev_b64 v[23:24], v16, v[20:21]
; %bb.1662:                             ;   in Loop: Header=BB380_1062 Depth=1
	s_or_b32 exec_lo, exec_lo, s20
	v_lshlrev_b32_e32 v16, 20, v23
	v_lshlrev_b32_e32 v17, 24, v20
	v_lshl_add_u32 v10, v10, 23, 0x3c000000
	v_and_b32_e32 v16, 0x700000, v16
	v_and_b32_e32 v17, 0x80000000, v17
	v_or3_b32 v16, v16, v17, v10
.LBB380_1663:                           ;   in Loop: Header=BB380_1062 Depth=1
	s_or_b32 exec_lo, exec_lo, s18
.LBB380_1664:                           ;   in Loop: Header=BB380_1062 Depth=1
	s_or_b32 exec_lo, exec_lo, s17
.LBB380_1665:                           ;   in Loop: Header=BB380_1062 Depth=1
	s_or_b32 exec_lo, exec_lo, s16
	v_cmp_ne_u16_sdwa s4, v20, v11 src0_sel:BYTE_1 src1_sel:DWORD
	s_and_saveexec_b32 s16, s4
	s_cbranch_execz .LBB380_1673
; %bb.1666:                             ;   in Loop: Header=BB380_1062 Depth=1
	v_cmp_ne_u16_sdwa s4, v20, v82 src0_sel:BYTE_1 src1_sel:DWORD
	v_bfrev_b32_e32 v25, 1
	s_and_saveexec_b32 s17, s4
	s_cbranch_execz .LBB380_1672
; %bb.1667:                             ;   in Loop: Header=BB380_1062 Depth=1
	v_mov_b32_e32 v10, 0xffff
	v_mov_b32_e32 v25, 0x7f800001
	s_mov_b32 s18, exec_lo
	v_and_b32_sdwa v10, v10, v20 dst_sel:DWORD dst_unused:UNUSED_PAD src0_sel:DWORD src1_sel:BYTE_1
	v_and_b32_e32 v23, 0x7f, v10
	v_cmpx_ne_u32_e32 0x7f, v23
	s_cbranch_execz .LBB380_1671
; %bb.1668:                             ;   in Loop: Header=BB380_1062 Depth=1
	v_and_b32_e32 v10, 7, v10
	v_lshrrev_b32_e32 v17, 3, v23
	v_cmp_gt_u32_e64 s4, 8, v23
	v_mov_b32_e32 v24, v11
	v_mov_b32_e32 v23, v10
	s_and_saveexec_b32 s20, s4
; %bb.1669:                             ;   in Loop: Header=BB380_1062 Depth=1
	v_ffbh_u32_e32 v17, v10
	v_min_u32_e32 v17, 32, v17
	v_subrev_nc_u32_e32 v23, 28, v17
	v_sub_nc_u32_e32 v17, 29, v17
	v_lshlrev_b64 v[23:24], v23, v[10:11]
	v_and_b32_e32 v23, 7, v23
; %bb.1670:                             ;   in Loop: Header=BB380_1062 Depth=1
	s_or_b32 exec_lo, exec_lo, s20
	v_lshlrev_b32_e32 v10, 16, v20
	v_lshlrev_b32_e32 v23, 20, v23
	v_lshl_add_u32 v17, v17, 23, 0x3c000000
	v_and_b32_e32 v10, 0x80000000, v10
	v_or3_b32 v25, v23, v10, v17
.LBB380_1671:                           ;   in Loop: Header=BB380_1062 Depth=1
	s_or_b32 exec_lo, exec_lo, s18
.LBB380_1672:                           ;   in Loop: Header=BB380_1062 Depth=1
	s_or_b32 exec_lo, exec_lo, s17
.LBB380_1673:                           ;   in Loop: Header=BB380_1062 Depth=1
	s_or_b32 exec_lo, exec_lo, s16
	v_and_b32_sdwa v10, v20, v84 dst_sel:DWORD dst_unused:UNUSED_PAD src0_sel:WORD_1 src1_sel:DWORD
	v_mov_b32_e32 v50, 0
	v_mov_b32_e32 v28, 0
	s_mov_b32 s16, exec_lo
	v_cmpx_ne_u16_e32 0, v10
	s_cbranch_execz .LBB380_1681
; %bb.1674:                             ;   in Loop: Header=BB380_1062 Depth=1
	v_bfrev_b32_e32 v28, 1
	s_mov_b32 s17, exec_lo
	v_cmpx_ne_u16_e32 0x80, v10
	s_cbranch_execz .LBB380_1680
; %bb.1675:                             ;   in Loop: Header=BB380_1062 Depth=1
	v_bfe_u32 v23, v20, 16, 7
	v_mov_b32_e32 v28, 0x7f800001
	s_mov_b32 s18, exec_lo
	v_cmpx_ne_u32_e32 0x7f, v23
	s_cbranch_execz .LBB380_1679
; %bb.1676:                             ;   in Loop: Header=BB380_1062 Depth=1
	v_mov_b32_e32 v10, 7
	v_lshrrev_b32_e32 v17, 3, v23
	v_cmp_gt_u32_e64 s4, 8, v23
	v_and_b32_sdwa v10, v20, v10 dst_sel:DWORD dst_unused:UNUSED_PAD src0_sel:WORD_1 src1_sel:DWORD
	v_mov_b32_e32 v24, v11
	v_mov_b32_e32 v23, v10
	s_and_saveexec_b32 s20, s4
; %bb.1677:                             ;   in Loop: Header=BB380_1062 Depth=1
	v_ffbh_u32_e32 v17, v10
	v_min_u32_e32 v17, 32, v17
	v_subrev_nc_u32_e32 v23, 28, v17
	v_sub_nc_u32_e32 v17, 29, v17
	v_lshlrev_b64 v[23:24], v23, v[10:11]
	v_and_b32_e32 v23, 7, v23
; %bb.1678:                             ;   in Loop: Header=BB380_1062 Depth=1
	s_or_b32 exec_lo, exec_lo, s20
	v_mov_b32_e32 v10, 24
	v_lshlrev_b32_e32 v23, 20, v23
	v_lshl_add_u32 v17, v17, 23, 0x3c000000
	v_lshlrev_b32_sdwa v10, v10, v20 dst_sel:DWORD dst_unused:UNUSED_PAD src0_sel:DWORD src1_sel:WORD_1
	v_and_b32_e32 v10, 0x80000000, v10
	v_or3_b32 v28, v23, v10, v17
.LBB380_1679:                           ;   in Loop: Header=BB380_1062 Depth=1
	s_or_b32 exec_lo, exec_lo, s18
.LBB380_1680:                           ;   in Loop: Header=BB380_1062 Depth=1
	s_or_b32 exec_lo, exec_lo, s17
.LBB380_1681:                           ;   in Loop: Header=BB380_1062 Depth=1
	s_or_b32 exec_lo, exec_lo, s16
	s_mov_b32 s16, exec_lo
	v_cmpx_lt_u32_e32 0xffffff, v20
	s_cbranch_execz .LBB380_1689
; %bb.1682:                             ;   in Loop: Header=BB380_1062 Depth=1
	v_cmp_ne_u32_sdwa s4, v20, v82 src0_sel:BYTE_3 src1_sel:DWORD
	v_bfrev_b32_e32 v50, 1
	s_and_saveexec_b32 s17, s4
	s_cbranch_execz .LBB380_1688
; %bb.1683:                             ;   in Loop: Header=BB380_1062 Depth=1
	v_bfe_u32 v23, v20, 24, 7
	v_mov_b32_e32 v50, 0x7f800001
	s_mov_b32 s18, exec_lo
	v_cmpx_ne_u32_e32 0x7f, v23
	s_cbranch_execz .LBB380_1687
; %bb.1684:                             ;   in Loop: Header=BB380_1062 Depth=1
	v_mov_b32_e32 v10, 7
	v_lshrrev_b32_e32 v17, 3, v23
	v_cmp_gt_u32_e64 s4, 8, v23
	v_and_b32_sdwa v10, v20, v10 dst_sel:DWORD dst_unused:UNUSED_PAD src0_sel:BYTE_3 src1_sel:DWORD
	v_mov_b32_e32 v24, v11
	v_mov_b32_e32 v23, v10
	s_and_saveexec_b32 s20, s4
; %bb.1685:                             ;   in Loop: Header=BB380_1062 Depth=1
	v_ffbh_u32_e32 v17, v10
	v_min_u32_e32 v17, 32, v17
	v_subrev_nc_u32_e32 v23, 28, v17
	v_sub_nc_u32_e32 v17, 29, v17
	v_lshlrev_b64 v[23:24], v23, v[10:11]
	v_and_b32_e32 v23, 7, v23
; %bb.1686:                             ;   in Loop: Header=BB380_1062 Depth=1
	s_or_b32 exec_lo, exec_lo, s20
	v_mov_b32_e32 v10, 24
	v_lshlrev_b32_e32 v23, 20, v23
	v_lshl_add_u32 v17, v17, 23, 0x3c000000
	v_lshlrev_b32_sdwa v10, v10, v20 dst_sel:DWORD dst_unused:UNUSED_PAD src0_sel:DWORD src1_sel:BYTE_3
	v_and_b32_e32 v10, 0x80000000, v10
	v_or3_b32 v50, v23, v10, v17
.LBB380_1687:                           ;   in Loop: Header=BB380_1062 Depth=1
	s_or_b32 exec_lo, exec_lo, s18
.LBB380_1688:                           ;   in Loop: Header=BB380_1062 Depth=1
	s_or_b32 exec_lo, exec_lo, s17
.LBB380_1689:                           ;   in Loop: Header=BB380_1062 Depth=1
	s_or_b32 exec_lo, exec_lo, s16
	v_mov_b32_e32 v10, v21
	v_cmp_ne_u16_sdwa s4, v21, v11 src0_sel:BYTE_0 src1_sel:DWORD
	v_mov_b32_e32 v36, 0
	v_mov_b32_e32 v17, 0
	s_and_saveexec_b32 s16, s4
	s_cbranch_execz .LBB380_1697
; %bb.1690:                             ;   in Loop: Header=BB380_1062 Depth=1
	v_cmp_ne_u16_sdwa s4, v21, v82 src0_sel:BYTE_0 src1_sel:DWORD
	v_bfrev_b32_e32 v17, 1
	s_and_saveexec_b32 s17, s4
	s_cbranch_execz .LBB380_1696
; %bb.1691:                             ;   in Loop: Header=BB380_1062 Depth=1
	v_and_b32_e32 v23, 0x7f, v21
	v_mov_b32_e32 v17, 0x7f800001
	s_mov_b32 s18, exec_lo
	v_cmpx_ne_u32_e32 0x7f, v23
	s_cbranch_execz .LBB380_1695
; %bb.1692:                             ;   in Loop: Header=BB380_1062 Depth=1
	v_lshrrev_b32_e32 v17, 3, v23
	v_cmp_gt_u32_e64 s4, 8, v23
	v_mov_b32_e32 v24, v11
	v_mov_b32_e32 v23, v10
	s_and_saveexec_b32 s20, s4
; %bb.1693:                             ;   in Loop: Header=BB380_1062 Depth=1
	v_and_b32_e32 v17, 7, v21
	v_ffbh_u32_e32 v17, v17
	v_min_u32_e32 v17, 32, v17
	v_subrev_nc_u32_e32 v23, 28, v17
	v_sub_nc_u32_e32 v17, 29, v17
	v_lshlrev_b64 v[23:24], v23, v[10:11]
; %bb.1694:                             ;   in Loop: Header=BB380_1062 Depth=1
	s_or_b32 exec_lo, exec_lo, s20
	v_lshlrev_b32_e32 v23, 20, v23
	v_lshlrev_b32_e32 v24, 24, v10
	v_lshl_add_u32 v17, v17, 23, 0x3c000000
	v_and_b32_e32 v23, 0x700000, v23
	v_and_b32_e32 v24, 0x80000000, v24
	v_or3_b32 v17, v23, v24, v17
.LBB380_1695:                           ;   in Loop: Header=BB380_1062 Depth=1
	s_or_b32 exec_lo, exec_lo, s18
.LBB380_1696:                           ;   in Loop: Header=BB380_1062 Depth=1
	s_or_b32 exec_lo, exec_lo, s17
.LBB380_1697:                           ;   in Loop: Header=BB380_1062 Depth=1
	s_or_b32 exec_lo, exec_lo, s16
	v_cmp_ne_u16_sdwa s4, v10, v11 src0_sel:BYTE_1 src1_sel:DWORD
	s_and_saveexec_b32 s16, s4
	s_cbranch_execz .LBB380_1705
; %bb.1698:                             ;   in Loop: Header=BB380_1062 Depth=1
	v_cmp_ne_u16_sdwa s4, v10, v82 src0_sel:BYTE_1 src1_sel:DWORD
	v_bfrev_b32_e32 v36, 1
	s_and_saveexec_b32 s17, s4
	s_cbranch_execz .LBB380_1704
; %bb.1699:                             ;   in Loop: Header=BB380_1062 Depth=1
	v_mov_b32_e32 v23, 0xffff
	v_mov_b32_e32 v36, 0x7f800001
	s_mov_b32 s18, exec_lo
	v_and_b32_sdwa v23, v23, v10 dst_sel:DWORD dst_unused:UNUSED_PAD src0_sel:DWORD src1_sel:BYTE_1
	v_and_b32_e32 v49, 0x7f, v23
	v_cmpx_ne_u32_e32 0x7f, v49
	s_cbranch_execz .LBB380_1703
; %bb.1700:                             ;   in Loop: Header=BB380_1062 Depth=1
	v_and_b32_e32 v23, 7, v23
	v_mov_b32_e32 v24, v11
	v_lshrrev_b32_e32 v36, 3, v49
	s_mov_b32 s20, exec_lo
	v_cmpx_gt_u32_e32 8, v49
; %bb.1701:                             ;   in Loop: Header=BB380_1062 Depth=1
	v_ffbh_u32_e32 v36, v23
	v_min_u32_e32 v36, 32, v36
	v_subrev_nc_u32_e32 v49, 28, v36
	v_sub_nc_u32_e32 v36, 29, v36
	v_lshlrev_b64 v[23:24], v49, v[23:24]
	v_and_b32_e32 v23, 7, v23
; %bb.1702:                             ;   in Loop: Header=BB380_1062 Depth=1
	s_or_b32 exec_lo, exec_lo, s20
	v_lshlrev_b32_e32 v10, 16, v10
	v_lshlrev_b32_e32 v23, 20, v23
	v_lshl_add_u32 v24, v36, 23, 0x3c000000
	v_and_b32_e32 v10, 0x80000000, v10
	v_or3_b32 v36, v23, v10, v24
.LBB380_1703:                           ;   in Loop: Header=BB380_1062 Depth=1
	s_or_b32 exec_lo, exec_lo, s18
.LBB380_1704:                           ;   in Loop: Header=BB380_1062 Depth=1
	s_or_b32 exec_lo, exec_lo, s17
.LBB380_1705:                           ;   in Loop: Header=BB380_1062 Depth=1
	s_or_b32 exec_lo, exec_lo, s16
	v_and_b32_sdwa v10, v21, v84 dst_sel:DWORD dst_unused:UNUSED_PAD src0_sel:WORD_1 src1_sel:DWORD
	v_mov_b32_e32 v51, 0
	v_mov_b32_e32 v53, 0
	s_mov_b32 s16, exec_lo
	v_cmpx_ne_u16_e32 0, v10
	s_cbranch_execz .LBB380_1713
; %bb.1706:                             ;   in Loop: Header=BB380_1062 Depth=1
	v_bfrev_b32_e32 v53, 1
	s_mov_b32 s17, exec_lo
	v_cmpx_ne_u16_e32 0x80, v10
	s_cbranch_execz .LBB380_1712
; %bb.1707:                             ;   in Loop: Header=BB380_1062 Depth=1
	v_bfe_u32 v23, v21, 16, 7
	v_mov_b32_e32 v53, 0x7f800001
	s_mov_b32 s18, exec_lo
	v_cmpx_ne_u32_e32 0x7f, v23
	s_cbranch_execz .LBB380_1711
; %bb.1708:                             ;   in Loop: Header=BB380_1062 Depth=1
	v_mov_b32_e32 v10, 7
	v_lshrrev_b32_e32 v49, 3, v23
	v_cmp_gt_u32_e64 s4, 8, v23
	v_and_b32_sdwa v10, v21, v10 dst_sel:DWORD dst_unused:UNUSED_PAD src0_sel:WORD_1 src1_sel:DWORD
	v_mov_b32_e32 v24, v11
	v_mov_b32_e32 v23, v10
	s_and_saveexec_b32 s20, s4
; %bb.1709:                             ;   in Loop: Header=BB380_1062 Depth=1
	v_ffbh_u32_e32 v23, v10
	v_min_u32_e32 v49, 32, v23
	v_subrev_nc_u32_e32 v23, 28, v49
	v_sub_nc_u32_e32 v49, 29, v49
	v_lshlrev_b64 v[23:24], v23, v[10:11]
	v_and_b32_e32 v23, 7, v23
; %bb.1710:                             ;   in Loop: Header=BB380_1062 Depth=1
	s_or_b32 exec_lo, exec_lo, s20
	v_mov_b32_e32 v10, 24
	v_lshlrev_b32_e32 v23, 20, v23
	v_lshl_add_u32 v24, v49, 23, 0x3c000000
	v_lshlrev_b32_sdwa v10, v10, v21 dst_sel:DWORD dst_unused:UNUSED_PAD src0_sel:DWORD src1_sel:WORD_1
	v_and_b32_e32 v10, 0x80000000, v10
	v_or3_b32 v53, v23, v10, v24
.LBB380_1711:                           ;   in Loop: Header=BB380_1062 Depth=1
	s_or_b32 exec_lo, exec_lo, s18
.LBB380_1712:                           ;   in Loop: Header=BB380_1062 Depth=1
	s_or_b32 exec_lo, exec_lo, s17
.LBB380_1713:                           ;   in Loop: Header=BB380_1062 Depth=1
	s_or_b32 exec_lo, exec_lo, s16
	s_mov_b32 s16, exec_lo
	v_cmpx_lt_u64_e64 s[12:13], v[20:21]
	s_cbranch_execz .LBB380_1721
; %bb.1714:                             ;   in Loop: Header=BB380_1062 Depth=1
	v_cmp_ne_u32_sdwa s4, v21, v82 src0_sel:BYTE_3 src1_sel:DWORD
	v_bfrev_b32_e32 v51, 1
	s_and_saveexec_b32 s17, s4
	s_cbranch_execz .LBB380_1720
; %bb.1715:                             ;   in Loop: Header=BB380_1062 Depth=1
	v_bfe_u32 v23, v21, 24, 7
	v_mov_b32_e32 v51, 0x7f800001
	s_mov_b32 s18, exec_lo
	v_cmpx_ne_u32_e32 0x7f, v23
	s_cbranch_execz .LBB380_1719
; %bb.1716:                             ;   in Loop: Header=BB380_1062 Depth=1
	v_mov_b32_e32 v10, 7
	v_lshrrev_b32_e32 v20, 3, v23
	v_cmp_gt_u32_e64 s4, 8, v23
	v_and_b32_sdwa v10, v21, v10 dst_sel:DWORD dst_unused:UNUSED_PAD src0_sel:BYTE_3 src1_sel:DWORD
	v_mov_b32_e32 v24, v11
	v_mov_b32_e32 v23, v10
	s_and_saveexec_b32 s20, s4
; %bb.1717:                             ;   in Loop: Header=BB380_1062 Depth=1
	v_ffbh_u32_e32 v20, v10
	v_min_u32_e32 v20, 32, v20
	v_subrev_nc_u32_e32 v23, 28, v20
	v_sub_nc_u32_e32 v20, 29, v20
	v_lshlrev_b64 v[23:24], v23, v[10:11]
	v_and_b32_e32 v23, 7, v23
; %bb.1718:                             ;   in Loop: Header=BB380_1062 Depth=1
	s_or_b32 exec_lo, exec_lo, s20
	v_mov_b32_e32 v10, 24
	v_lshl_add_u32 v20, v20, 23, 0x3c000000
	v_lshlrev_b32_sdwa v10, v10, v21 dst_sel:DWORD dst_unused:UNUSED_PAD src0_sel:DWORD src1_sel:BYTE_3
	v_lshlrev_b32_e32 v21, 20, v23
	v_and_b32_e32 v10, 0x80000000, v10
	v_or3_b32 v51, v21, v10, v20
.LBB380_1719:                           ;   in Loop: Header=BB380_1062 Depth=1
	s_or_b32 exec_lo, exec_lo, s18
.LBB380_1720:                           ;   in Loop: Header=BB380_1062 Depth=1
	s_or_b32 exec_lo, exec_lo, s17
.LBB380_1721:                           ;   in Loop: Header=BB380_1062 Depth=1
	s_or_b32 exec_lo, exec_lo, s16
	v_mul_f32_e32 v10, v58, v36
	v_bfe_u32 v20, v10, 16, 1
	v_or_b32_e32 v21, 0x400000, v10
	v_cmp_u_f32_e64 s4, v10, v10
	v_add3_u32 v20, v20, v10, 0x7fff
	v_cndmask_b32_e64 v10, v20, v21, s4
	v_lshrrev_b32_e32 v36, 16, v10
	v_mul_f32_e32 v10, v58, v17
	v_bfe_u32 v17, v10, 16, 1
	v_or_b32_e32 v20, 0x400000, v10
	v_cmp_u_f32_e64 s4, v10, v10
	v_add3_u32 v17, v17, v10, 0x7fff
	v_cndmask_b32_e64 v10, v17, v20, s4
	v_lshrrev_b32_e32 v55, 16, v10
	;; [unrolled: 7-line block ×8, first 2 shown]
	s_and_saveexec_b32 s16, vcc_lo
	s_cbranch_execz .LBB380_1723
; %bb.1722:                             ;   in Loop: Header=BB380_1062 Depth=1
	v_cmp_lt_i32_e64 s4, v75, v38
	v_cndmask_b32_e64 v68, 0, v68, s4
	v_cmp_lt_i32_e64 s4, v90, v38
	v_cndmask_b32_e64 v67, 0, v67, s4
	;; [unrolled: 2-line block ×8, first 2 shown]
.LBB380_1723:                           ;   in Loop: Header=BB380_1062 Depth=1
	s_or_b32 exec_lo, exec_lo, s16
	flat_load_dwordx2 v[20:21], v[18:19] offset:512
	v_mov_b32_e32 v25, 0
	v_mov_b32_e32 v28, 0
	s_waitcnt vmcnt(0) lgkmcnt(0)
	v_cmp_ne_u16_sdwa s4, v20, v11 src0_sel:BYTE_0 src1_sel:DWORD
	s_and_saveexec_b32 s16, s4
	s_cbranch_execz .LBB380_1731
; %bb.1724:                             ;   in Loop: Header=BB380_1062 Depth=1
	v_cmp_ne_u16_sdwa s4, v20, v82 src0_sel:BYTE_0 src1_sel:DWORD
	v_bfrev_b32_e32 v28, 1
	s_and_saveexec_b32 s17, s4
	s_cbranch_execz .LBB380_1730
; %bb.1725:                             ;   in Loop: Header=BB380_1062 Depth=1
	v_and_b32_e32 v16, 0x7f, v20
	v_mov_b32_e32 v28, 0x7f800001
	s_mov_b32 s18, exec_lo
	v_cmpx_ne_u32_e32 0x7f, v16
	s_cbranch_execz .LBB380_1729
; %bb.1726:                             ;   in Loop: Header=BB380_1062 Depth=1
	v_mov_b32_e32 v24, v21
	v_lshrrev_b32_e32 v10, 3, v16
	v_mov_b32_e32 v23, v20
	s_mov_b32 s20, exec_lo
	v_cmpx_gt_u32_e32 8, v16
; %bb.1727:                             ;   in Loop: Header=BB380_1062 Depth=1
	v_and_b32_e32 v10, 7, v20
	v_ffbh_u32_e32 v10, v10
	v_min_u32_e32 v10, 32, v10
	v_subrev_nc_u32_e32 v16, 28, v10
	v_sub_nc_u32_e32 v10, 29, v10
	v_lshlrev_b64 v[23:24], v16, v[20:21]
; %bb.1728:                             ;   in Loop: Header=BB380_1062 Depth=1
	s_or_b32 exec_lo, exec_lo, s20
	v_lshlrev_b32_e32 v16, 20, v23
	v_lshlrev_b32_e32 v17, 24, v20
	v_lshl_add_u32 v10, v10, 23, 0x3c000000
	v_and_b32_e32 v16, 0x700000, v16
	v_and_b32_e32 v17, 0x80000000, v17
	v_or3_b32 v28, v16, v17, v10
.LBB380_1729:                           ;   in Loop: Header=BB380_1062 Depth=1
	s_or_b32 exec_lo, exec_lo, s18
.LBB380_1730:                           ;   in Loop: Header=BB380_1062 Depth=1
	s_or_b32 exec_lo, exec_lo, s17
.LBB380_1731:                           ;   in Loop: Header=BB380_1062 Depth=1
	s_or_b32 exec_lo, exec_lo, s16
	v_cmp_ne_u16_sdwa s4, v20, v11 src0_sel:BYTE_1 src1_sel:DWORD
	s_and_saveexec_b32 s16, s4
	s_cbranch_execz .LBB380_1739
; %bb.1732:                             ;   in Loop: Header=BB380_1062 Depth=1
	v_cmp_ne_u16_sdwa s4, v20, v82 src0_sel:BYTE_1 src1_sel:DWORD
	v_bfrev_b32_e32 v25, 1
	s_and_saveexec_b32 s17, s4
	s_cbranch_execz .LBB380_1738
; %bb.1733:                             ;   in Loop: Header=BB380_1062 Depth=1
	v_mov_b32_e32 v10, 0xffff
	v_mov_b32_e32 v25, 0x7f800001
	s_mov_b32 s18, exec_lo
	v_and_b32_sdwa v10, v10, v20 dst_sel:DWORD dst_unused:UNUSED_PAD src0_sel:DWORD src1_sel:BYTE_1
	v_and_b32_e32 v17, 0x7f, v10
	v_cmpx_ne_u32_e32 0x7f, v17
	s_cbranch_execz .LBB380_1737
; %bb.1734:                             ;   in Loop: Header=BB380_1062 Depth=1
	v_and_b32_e32 v10, 7, v10
	v_mov_b32_e32 v24, v11
	v_lshrrev_b32_e32 v16, 3, v17
	s_mov_b32 s20, exec_lo
	v_mov_b32_e32 v23, v10
	v_cmpx_gt_u32_e32 8, v17
; %bb.1735:                             ;   in Loop: Header=BB380_1062 Depth=1
	v_ffbh_u32_e32 v16, v10
	v_min_u32_e32 v16, 32, v16
	v_subrev_nc_u32_e32 v17, 28, v16
	v_sub_nc_u32_e32 v16, 29, v16
	v_lshlrev_b64 v[23:24], v17, v[10:11]
	v_and_b32_e32 v23, 7, v23
; %bb.1736:                             ;   in Loop: Header=BB380_1062 Depth=1
	s_or_b32 exec_lo, exec_lo, s20
	v_lshlrev_b32_e32 v10, 16, v20
	v_lshlrev_b32_e32 v17, 20, v23
	v_lshl_add_u32 v16, v16, 23, 0x3c000000
	v_and_b32_e32 v10, 0x80000000, v10
	v_or3_b32 v25, v17, v10, v16
.LBB380_1737:                           ;   in Loop: Header=BB380_1062 Depth=1
	s_or_b32 exec_lo, exec_lo, s18
.LBB380_1738:                           ;   in Loop: Header=BB380_1062 Depth=1
	s_or_b32 exec_lo, exec_lo, s17
.LBB380_1739:                           ;   in Loop: Header=BB380_1062 Depth=1
	s_or_b32 exec_lo, exec_lo, s16
	v_and_b32_sdwa v10, v20, v84 dst_sel:DWORD dst_unused:UNUSED_PAD src0_sel:WORD_1 src1_sel:DWORD
	v_mov_b32_e32 v50, 0
	v_mov_b32_e32 v16, 0
	s_mov_b32 s16, exec_lo
	v_cmpx_ne_u16_e32 0, v10
	s_cbranch_execz .LBB380_1747
; %bb.1740:                             ;   in Loop: Header=BB380_1062 Depth=1
	v_bfrev_b32_e32 v16, 1
	s_mov_b32 s17, exec_lo
	v_cmpx_ne_u16_e32 0x80, v10
	s_cbranch_execz .LBB380_1746
; %bb.1741:                             ;   in Loop: Header=BB380_1062 Depth=1
	v_bfe_u32 v17, v20, 16, 7
	v_mov_b32_e32 v16, 0x7f800001
	s_mov_b32 s18, exec_lo
	v_cmpx_ne_u32_e32 0x7f, v17
	s_cbranch_execz .LBB380_1745
; %bb.1742:                             ;   in Loop: Header=BB380_1062 Depth=1
	v_mov_b32_e32 v10, 7
	v_lshrrev_b32_e32 v16, 3, v17
	s_mov_b32 s20, exec_lo
	v_and_b32_sdwa v10, v20, v10 dst_sel:DWORD dst_unused:UNUSED_PAD src0_sel:WORD_1 src1_sel:DWORD
	v_mov_b32_e32 v24, v11
	v_mov_b32_e32 v23, v10
	v_cmpx_gt_u32_e32 8, v17
; %bb.1743:                             ;   in Loop: Header=BB380_1062 Depth=1
	v_ffbh_u32_e32 v16, v10
	v_min_u32_e32 v16, 32, v16
	v_subrev_nc_u32_e32 v17, 28, v16
	v_sub_nc_u32_e32 v16, 29, v16
	v_lshlrev_b64 v[23:24], v17, v[10:11]
	v_and_b32_e32 v23, 7, v23
; %bb.1744:                             ;   in Loop: Header=BB380_1062 Depth=1
	s_or_b32 exec_lo, exec_lo, s20
	v_mov_b32_e32 v10, 24
	v_lshlrev_b32_e32 v17, 20, v23
	v_lshl_add_u32 v16, v16, 23, 0x3c000000
	v_lshlrev_b32_sdwa v10, v10, v20 dst_sel:DWORD dst_unused:UNUSED_PAD src0_sel:DWORD src1_sel:WORD_1
	v_and_b32_e32 v10, 0x80000000, v10
	v_or3_b32 v16, v17, v10, v16
.LBB380_1745:                           ;   in Loop: Header=BB380_1062 Depth=1
	s_or_b32 exec_lo, exec_lo, s18
.LBB380_1746:                           ;   in Loop: Header=BB380_1062 Depth=1
	s_or_b32 exec_lo, exec_lo, s17
.LBB380_1747:                           ;   in Loop: Header=BB380_1062 Depth=1
	s_or_b32 exec_lo, exec_lo, s16
	s_mov_b32 s16, exec_lo
	v_cmpx_lt_u32_e32 0xffffff, v20
	s_cbranch_execz .LBB380_1755
; %bb.1748:                             ;   in Loop: Header=BB380_1062 Depth=1
	v_cmp_ne_u32_sdwa s4, v20, v82 src0_sel:BYTE_3 src1_sel:DWORD
	v_bfrev_b32_e32 v50, 1
	s_and_saveexec_b32 s17, s4
	s_cbranch_execz .LBB380_1754
; %bb.1749:                             ;   in Loop: Header=BB380_1062 Depth=1
	v_bfe_u32 v23, v20, 24, 7
	v_mov_b32_e32 v50, 0x7f800001
	s_mov_b32 s18, exec_lo
	v_cmpx_ne_u32_e32 0x7f, v23
	s_cbranch_execz .LBB380_1753
; %bb.1750:                             ;   in Loop: Header=BB380_1062 Depth=1
	v_mov_b32_e32 v10, 7
	v_lshrrev_b32_e32 v17, 3, v23
	v_cmp_gt_u32_e64 s4, 8, v23
	v_and_b32_sdwa v10, v20, v10 dst_sel:DWORD dst_unused:UNUSED_PAD src0_sel:BYTE_3 src1_sel:DWORD
	v_mov_b32_e32 v24, v11
	v_mov_b32_e32 v23, v10
	s_and_saveexec_b32 s20, s4
; %bb.1751:                             ;   in Loop: Header=BB380_1062 Depth=1
	v_ffbh_u32_e32 v17, v10
	v_min_u32_e32 v17, 32, v17
	v_subrev_nc_u32_e32 v23, 28, v17
	v_sub_nc_u32_e32 v17, 29, v17
	v_lshlrev_b64 v[23:24], v23, v[10:11]
	v_and_b32_e32 v23, 7, v23
; %bb.1752:                             ;   in Loop: Header=BB380_1062 Depth=1
	s_or_b32 exec_lo, exec_lo, s20
	v_mov_b32_e32 v10, 24
	v_lshlrev_b32_e32 v23, 20, v23
	v_lshl_add_u32 v17, v17, 23, 0x3c000000
	v_lshlrev_b32_sdwa v10, v10, v20 dst_sel:DWORD dst_unused:UNUSED_PAD src0_sel:DWORD src1_sel:BYTE_3
	v_and_b32_e32 v10, 0x80000000, v10
	v_or3_b32 v50, v23, v10, v17
.LBB380_1753:                           ;   in Loop: Header=BB380_1062 Depth=1
	s_or_b32 exec_lo, exec_lo, s18
.LBB380_1754:                           ;   in Loop: Header=BB380_1062 Depth=1
	s_or_b32 exec_lo, exec_lo, s17
.LBB380_1755:                           ;   in Loop: Header=BB380_1062 Depth=1
	s_or_b32 exec_lo, exec_lo, s16
	v_mov_b32_e32 v10, v21
	v_cmp_ne_u16_sdwa s4, v21, v11 src0_sel:BYTE_0 src1_sel:DWORD
	v_mov_b32_e32 v49, 0
	v_mov_b32_e32 v17, 0
	s_and_saveexec_b32 s16, s4
	s_cbranch_execz .LBB380_1763
; %bb.1756:                             ;   in Loop: Header=BB380_1062 Depth=1
	v_cmp_ne_u16_sdwa s4, v21, v82 src0_sel:BYTE_0 src1_sel:DWORD
	v_bfrev_b32_e32 v17, 1
	s_and_saveexec_b32 s17, s4
	s_cbranch_execz .LBB380_1762
; %bb.1757:                             ;   in Loop: Header=BB380_1062 Depth=1
	v_and_b32_e32 v23, 0x7f, v21
	v_mov_b32_e32 v17, 0x7f800001
	s_mov_b32 s18, exec_lo
	v_cmpx_ne_u32_e32 0x7f, v23
	s_cbranch_execz .LBB380_1761
; %bb.1758:                             ;   in Loop: Header=BB380_1062 Depth=1
	v_lshrrev_b32_e32 v17, 3, v23
	v_cmp_gt_u32_e64 s4, 8, v23
	v_mov_b32_e32 v24, v11
	v_mov_b32_e32 v23, v10
	s_and_saveexec_b32 s20, s4
; %bb.1759:                             ;   in Loop: Header=BB380_1062 Depth=1
	v_and_b32_e32 v17, 7, v21
	v_ffbh_u32_e32 v17, v17
	v_min_u32_e32 v17, 32, v17
	v_subrev_nc_u32_e32 v23, 28, v17
	v_sub_nc_u32_e32 v17, 29, v17
	v_lshlrev_b64 v[23:24], v23, v[10:11]
; %bb.1760:                             ;   in Loop: Header=BB380_1062 Depth=1
	s_or_b32 exec_lo, exec_lo, s20
	v_lshlrev_b32_e32 v23, 20, v23
	v_lshlrev_b32_e32 v24, 24, v10
	v_lshl_add_u32 v17, v17, 23, 0x3c000000
	v_and_b32_e32 v23, 0x700000, v23
	v_and_b32_e32 v24, 0x80000000, v24
	v_or3_b32 v17, v23, v24, v17
.LBB380_1761:                           ;   in Loop: Header=BB380_1062 Depth=1
	s_or_b32 exec_lo, exec_lo, s18
.LBB380_1762:                           ;   in Loop: Header=BB380_1062 Depth=1
	s_or_b32 exec_lo, exec_lo, s17
.LBB380_1763:                           ;   in Loop: Header=BB380_1062 Depth=1
	s_or_b32 exec_lo, exec_lo, s16
	v_cmp_ne_u16_sdwa s4, v10, v11 src0_sel:BYTE_1 src1_sel:DWORD
	s_and_saveexec_b32 s16, s4
	s_cbranch_execz .LBB380_1771
; %bb.1764:                             ;   in Loop: Header=BB380_1062 Depth=1
	v_cmp_ne_u16_sdwa s4, v10, v82 src0_sel:BYTE_1 src1_sel:DWORD
	v_bfrev_b32_e32 v49, 1
	s_and_saveexec_b32 s17, s4
	s_cbranch_execz .LBB380_1770
; %bb.1765:                             ;   in Loop: Header=BB380_1062 Depth=1
	v_mov_b32_e32 v23, 0xffff
	v_mov_b32_e32 v49, 0x7f800001
	s_mov_b32 s18, exec_lo
	v_and_b32_sdwa v23, v23, v10 dst_sel:DWORD dst_unused:UNUSED_PAD src0_sel:DWORD src1_sel:BYTE_1
	v_and_b32_e32 v51, 0x7f, v23
	v_cmpx_ne_u32_e32 0x7f, v51
	s_cbranch_execz .LBB380_1769
; %bb.1766:                             ;   in Loop: Header=BB380_1062 Depth=1
	v_and_b32_e32 v23, 7, v23
	v_mov_b32_e32 v24, v11
	v_lshrrev_b32_e32 v49, 3, v51
	s_mov_b32 s20, exec_lo
	v_cmpx_gt_u32_e32 8, v51
; %bb.1767:                             ;   in Loop: Header=BB380_1062 Depth=1
	v_ffbh_u32_e32 v49, v23
	v_min_u32_e32 v49, 32, v49
	v_subrev_nc_u32_e32 v51, 28, v49
	v_sub_nc_u32_e32 v49, 29, v49
	v_lshlrev_b64 v[23:24], v51, v[23:24]
	v_and_b32_e32 v23, 7, v23
; %bb.1768:                             ;   in Loop: Header=BB380_1062 Depth=1
	s_or_b32 exec_lo, exec_lo, s20
	v_lshlrev_b32_e32 v10, 16, v10
	v_lshlrev_b32_e32 v23, 20, v23
	v_lshl_add_u32 v24, v49, 23, 0x3c000000
	v_and_b32_e32 v10, 0x80000000, v10
	v_or3_b32 v49, v23, v10, v24
.LBB380_1769:                           ;   in Loop: Header=BB380_1062 Depth=1
	s_or_b32 exec_lo, exec_lo, s18
.LBB380_1770:                           ;   in Loop: Header=BB380_1062 Depth=1
	s_or_b32 exec_lo, exec_lo, s17
.LBB380_1771:                           ;   in Loop: Header=BB380_1062 Depth=1
	s_or_b32 exec_lo, exec_lo, s16
	v_and_b32_sdwa v10, v21, v84 dst_sel:DWORD dst_unused:UNUSED_PAD src0_sel:WORD_1 src1_sel:DWORD
	v_mov_b32_e32 v51, 0
	v_mov_b32_e32 v53, 0
	s_mov_b32 s16, exec_lo
	v_cmpx_ne_u16_e32 0, v10
	s_cbranch_execz .LBB380_1779
; %bb.1772:                             ;   in Loop: Header=BB380_1062 Depth=1
	v_bfrev_b32_e32 v53, 1
	s_mov_b32 s17, exec_lo
	v_cmpx_ne_u16_e32 0x80, v10
	s_cbranch_execz .LBB380_1778
; %bb.1773:                             ;   in Loop: Header=BB380_1062 Depth=1
	v_bfe_u32 v23, v21, 16, 7
	v_mov_b32_e32 v53, 0x7f800001
	s_mov_b32 s18, exec_lo
	v_cmpx_ne_u32_e32 0x7f, v23
	s_cbranch_execz .LBB380_1777
; %bb.1774:                             ;   in Loop: Header=BB380_1062 Depth=1
	v_mov_b32_e32 v10, 7
	v_lshrrev_b32_e32 v52, 3, v23
	v_cmp_gt_u32_e64 s4, 8, v23
	v_and_b32_sdwa v10, v21, v10 dst_sel:DWORD dst_unused:UNUSED_PAD src0_sel:WORD_1 src1_sel:DWORD
	v_mov_b32_e32 v24, v11
	v_mov_b32_e32 v23, v10
	s_and_saveexec_b32 s20, s4
; %bb.1775:                             ;   in Loop: Header=BB380_1062 Depth=1
	v_ffbh_u32_e32 v23, v10
	v_min_u32_e32 v52, 32, v23
	v_subrev_nc_u32_e32 v23, 28, v52
	v_sub_nc_u32_e32 v52, 29, v52
	v_lshlrev_b64 v[23:24], v23, v[10:11]
	v_and_b32_e32 v23, 7, v23
; %bb.1776:                             ;   in Loop: Header=BB380_1062 Depth=1
	s_or_b32 exec_lo, exec_lo, s20
	v_mov_b32_e32 v10, 24
	v_lshlrev_b32_e32 v23, 20, v23
	v_lshl_add_u32 v24, v52, 23, 0x3c000000
	v_lshlrev_b32_sdwa v10, v10, v21 dst_sel:DWORD dst_unused:UNUSED_PAD src0_sel:DWORD src1_sel:WORD_1
	v_and_b32_e32 v10, 0x80000000, v10
	v_or3_b32 v53, v23, v10, v24
.LBB380_1777:                           ;   in Loop: Header=BB380_1062 Depth=1
	s_or_b32 exec_lo, exec_lo, s18
.LBB380_1778:                           ;   in Loop: Header=BB380_1062 Depth=1
	s_or_b32 exec_lo, exec_lo, s17
.LBB380_1779:                           ;   in Loop: Header=BB380_1062 Depth=1
	s_or_b32 exec_lo, exec_lo, s16
	s_mov_b32 s16, exec_lo
	v_cmpx_lt_u64_e64 s[12:13], v[20:21]
	s_cbranch_execz .LBB380_1787
; %bb.1780:                             ;   in Loop: Header=BB380_1062 Depth=1
	v_cmp_ne_u32_sdwa s4, v21, v82 src0_sel:BYTE_3 src1_sel:DWORD
	v_bfrev_b32_e32 v51, 1
	s_and_saveexec_b32 s17, s4
	s_cbranch_execz .LBB380_1786
; %bb.1781:                             ;   in Loop: Header=BB380_1062 Depth=1
	v_bfe_u32 v23, v21, 24, 7
	v_mov_b32_e32 v51, 0x7f800001
	s_mov_b32 s18, exec_lo
	v_cmpx_ne_u32_e32 0x7f, v23
	s_cbranch_execz .LBB380_1785
; %bb.1782:                             ;   in Loop: Header=BB380_1062 Depth=1
	v_mov_b32_e32 v10, 7
	v_lshrrev_b32_e32 v20, 3, v23
	v_cmp_gt_u32_e64 s4, 8, v23
	v_and_b32_sdwa v10, v21, v10 dst_sel:DWORD dst_unused:UNUSED_PAD src0_sel:BYTE_3 src1_sel:DWORD
	v_mov_b32_e32 v24, v11
	v_mov_b32_e32 v23, v10
	s_and_saveexec_b32 s20, s4
; %bb.1783:                             ;   in Loop: Header=BB380_1062 Depth=1
	v_ffbh_u32_e32 v20, v10
	v_min_u32_e32 v20, 32, v20
	v_subrev_nc_u32_e32 v23, 28, v20
	v_sub_nc_u32_e32 v20, 29, v20
	v_lshlrev_b64 v[23:24], v23, v[10:11]
	v_and_b32_e32 v23, 7, v23
; %bb.1784:                             ;   in Loop: Header=BB380_1062 Depth=1
	s_or_b32 exec_lo, exec_lo, s20
	v_mov_b32_e32 v10, 24
	v_lshl_add_u32 v20, v20, 23, 0x3c000000
	v_lshlrev_b32_sdwa v10, v10, v21 dst_sel:DWORD dst_unused:UNUSED_PAD src0_sel:DWORD src1_sel:BYTE_3
	v_lshlrev_b32_e32 v21, 20, v23
	v_and_b32_e32 v10, 0x80000000, v10
	v_or3_b32 v51, v21, v10, v20
.LBB380_1785:                           ;   in Loop: Header=BB380_1062 Depth=1
	s_or_b32 exec_lo, exec_lo, s18
.LBB380_1786:                           ;   in Loop: Header=BB380_1062 Depth=1
	s_or_b32 exec_lo, exec_lo, s17
.LBB380_1787:                           ;   in Loop: Header=BB380_1062 Depth=1
	s_or_b32 exec_lo, exec_lo, s16
	v_mul_f32_e32 v10, v58, v49
	v_bfe_u32 v20, v10, 16, 1
	v_or_b32_e32 v21, 0x400000, v10
	v_cmp_u_f32_e64 s4, v10, v10
	v_add3_u32 v20, v20, v10, 0x7fff
	v_cndmask_b32_e64 v10, v20, v21, s4
	v_lshrrev_b32_e32 v70, 16, v10
	v_mul_f32_e32 v10, v58, v17
	v_bfe_u32 v17, v10, 16, 1
	v_or_b32_e32 v20, 0x400000, v10
	v_cmp_u_f32_e64 s4, v10, v10
	v_add3_u32 v17, v17, v10, 0x7fff
	v_cndmask_b32_e64 v10, v17, v20, s4
	v_lshrrev_b32_e32 v71, 16, v10
	;; [unrolled: 7-line block ×8, first 2 shown]
	s_and_saveexec_b32 s16, vcc_lo
	s_cbranch_execz .LBB380_1789
; %bb.1788:                             ;   in Loop: Header=BB380_1062 Depth=1
	v_cmp_lt_i32_e64 s4, v75, v38
	v_cndmask_b32_e64 v28, 0, v28, s4
	v_cmp_lt_i32_e64 s4, v90, v38
	v_cndmask_b32_e64 v25, 0, v25, s4
	;; [unrolled: 2-line block ×8, first 2 shown]
.LBB380_1789:                           ;   in Loop: Header=BB380_1062 Depth=1
	s_or_b32 exec_lo, exec_lo, s16
	flat_load_dwordx2 v[20:21], v[18:19] offset:768
	v_mov_b32_e32 v85, 0
	v_mov_b32_e32 v83, 0
	s_waitcnt vmcnt(0) lgkmcnt(0)
	v_cmp_ne_u16_sdwa s4, v20, v11 src0_sel:BYTE_0 src1_sel:DWORD
	s_and_saveexec_b32 s16, s4
	s_cbranch_execz .LBB380_1797
; %bb.1790:                             ;   in Loop: Header=BB380_1062 Depth=1
	v_cmp_ne_u16_sdwa s4, v20, v82 src0_sel:BYTE_0 src1_sel:DWORD
	v_bfrev_b32_e32 v83, 1
	s_and_saveexec_b32 s17, s4
	s_cbranch_execz .LBB380_1796
; %bb.1791:                             ;   in Loop: Header=BB380_1062 Depth=1
	v_and_b32_e32 v17, 0x7f, v20
	v_mov_b32_e32 v83, 0x7f800001
	s_mov_b32 s18, exec_lo
	v_cmpx_ne_u32_e32 0x7f, v17
	s_cbranch_execz .LBB380_1795
; %bb.1792:                             ;   in Loop: Header=BB380_1062 Depth=1
	v_mov_b32_e32 v24, v21
	v_lshrrev_b32_e32 v10, 3, v17
	v_mov_b32_e32 v23, v20
	s_mov_b32 s20, exec_lo
	v_cmpx_gt_u32_e32 8, v17
; %bb.1793:                             ;   in Loop: Header=BB380_1062 Depth=1
	v_and_b32_e32 v10, 7, v20
	v_ffbh_u32_e32 v10, v10
	v_min_u32_e32 v10, 32, v10
	v_subrev_nc_u32_e32 v17, 28, v10
	v_sub_nc_u32_e32 v10, 29, v10
	v_lshlrev_b64 v[23:24], v17, v[20:21]
; %bb.1794:                             ;   in Loop: Header=BB380_1062 Depth=1
	s_or_b32 exec_lo, exec_lo, s20
	v_lshlrev_b32_e32 v17, 20, v23
	v_lshlrev_b32_e32 v23, 24, v20
	v_lshl_add_u32 v10, v10, 23, 0x3c000000
	v_and_b32_e32 v17, 0x700000, v17
	v_and_b32_e32 v23, 0x80000000, v23
	v_or3_b32 v83, v17, v23, v10
.LBB380_1795:                           ;   in Loop: Header=BB380_1062 Depth=1
	s_or_b32 exec_lo, exec_lo, s18
.LBB380_1796:                           ;   in Loop: Header=BB380_1062 Depth=1
	s_or_b32 exec_lo, exec_lo, s17
.LBB380_1797:                           ;   in Loop: Header=BB380_1062 Depth=1
	s_or_b32 exec_lo, exec_lo, s16
	v_cmp_ne_u16_sdwa s4, v20, v11 src0_sel:BYTE_1 src1_sel:DWORD
	s_and_saveexec_b32 s16, s4
	s_cbranch_execz .LBB380_1805
; %bb.1798:                             ;   in Loop: Header=BB380_1062 Depth=1
	v_cmp_ne_u16_sdwa s4, v20, v82 src0_sel:BYTE_1 src1_sel:DWORD
	v_bfrev_b32_e32 v85, 1
	s_and_saveexec_b32 s17, s4
	s_cbranch_execz .LBB380_1804
; %bb.1799:                             ;   in Loop: Header=BB380_1062 Depth=1
	v_mov_b32_e32 v10, 0xffff
	v_mov_b32_e32 v85, 0x7f800001
	s_mov_b32 s18, exec_lo
	v_and_b32_sdwa v10, v10, v20 dst_sel:DWORD dst_unused:UNUSED_PAD src0_sel:DWORD src1_sel:BYTE_1
	v_and_b32_e32 v23, 0x7f, v10
	v_cmpx_ne_u32_e32 0x7f, v23
	s_cbranch_execz .LBB380_1803
; %bb.1800:                             ;   in Loop: Header=BB380_1062 Depth=1
	v_and_b32_e32 v10, 7, v10
	v_lshrrev_b32_e32 v17, 3, v23
	v_cmp_gt_u32_e64 s4, 8, v23
	v_mov_b32_e32 v24, v11
	v_mov_b32_e32 v23, v10
	s_and_saveexec_b32 s20, s4
; %bb.1801:                             ;   in Loop: Header=BB380_1062 Depth=1
	v_ffbh_u32_e32 v17, v10
	v_min_u32_e32 v17, 32, v17
	v_subrev_nc_u32_e32 v23, 28, v17
	v_sub_nc_u32_e32 v17, 29, v17
	v_lshlrev_b64 v[23:24], v23, v[10:11]
	v_and_b32_e32 v23, 7, v23
; %bb.1802:                             ;   in Loop: Header=BB380_1062 Depth=1
	s_or_b32 exec_lo, exec_lo, s20
	v_lshlrev_b32_e32 v10, 16, v20
	v_lshlrev_b32_e32 v23, 20, v23
	v_lshl_add_u32 v17, v17, 23, 0x3c000000
	v_and_b32_e32 v10, 0x80000000, v10
	v_or3_b32 v85, v23, v10, v17
.LBB380_1803:                           ;   in Loop: Header=BB380_1062 Depth=1
	s_or_b32 exec_lo, exec_lo, s18
.LBB380_1804:                           ;   in Loop: Header=BB380_1062 Depth=1
	s_or_b32 exec_lo, exec_lo, s17
.LBB380_1805:                           ;   in Loop: Header=BB380_1062 Depth=1
	s_or_b32 exec_lo, exec_lo, s16
	v_and_b32_sdwa v10, v20, v84 dst_sel:DWORD dst_unused:UNUSED_PAD src0_sel:WORD_1 src1_sel:DWORD
	v_mov_b32_e32 v98, 0
	v_mov_b32_e32 v86, 0
	s_mov_b32 s16, exec_lo
	v_cmpx_ne_u16_e32 0, v10
	s_cbranch_execz .LBB380_1813
; %bb.1806:                             ;   in Loop: Header=BB380_1062 Depth=1
	v_bfrev_b32_e32 v86, 1
	s_mov_b32 s17, exec_lo
	v_cmpx_ne_u16_e32 0x80, v10
	s_cbranch_execz .LBB380_1812
; %bb.1807:                             ;   in Loop: Header=BB380_1062 Depth=1
	v_bfe_u32 v23, v20, 16, 7
	v_mov_b32_e32 v86, 0x7f800001
	s_mov_b32 s18, exec_lo
	v_cmpx_ne_u32_e32 0x7f, v23
	s_cbranch_execz .LBB380_1811
; %bb.1808:                             ;   in Loop: Header=BB380_1062 Depth=1
	v_mov_b32_e32 v10, 7
	v_lshrrev_b32_e32 v17, 3, v23
	v_cmp_gt_u32_e64 s4, 8, v23
	v_and_b32_sdwa v10, v20, v10 dst_sel:DWORD dst_unused:UNUSED_PAD src0_sel:WORD_1 src1_sel:DWORD
	v_mov_b32_e32 v24, v11
	v_mov_b32_e32 v23, v10
	s_and_saveexec_b32 s20, s4
; %bb.1809:                             ;   in Loop: Header=BB380_1062 Depth=1
	v_ffbh_u32_e32 v17, v10
	v_min_u32_e32 v17, 32, v17
	v_subrev_nc_u32_e32 v23, 28, v17
	v_sub_nc_u32_e32 v17, 29, v17
	v_lshlrev_b64 v[23:24], v23, v[10:11]
	v_and_b32_e32 v23, 7, v23
; %bb.1810:                             ;   in Loop: Header=BB380_1062 Depth=1
	s_or_b32 exec_lo, exec_lo, s20
	v_mov_b32_e32 v10, 24
	v_lshlrev_b32_e32 v23, 20, v23
	v_lshl_add_u32 v17, v17, 23, 0x3c000000
	v_lshlrev_b32_sdwa v10, v10, v20 dst_sel:DWORD dst_unused:UNUSED_PAD src0_sel:DWORD src1_sel:WORD_1
	v_and_b32_e32 v10, 0x80000000, v10
	v_or3_b32 v86, v23, v10, v17
.LBB380_1811:                           ;   in Loop: Header=BB380_1062 Depth=1
	s_or_b32 exec_lo, exec_lo, s18
.LBB380_1812:                           ;   in Loop: Header=BB380_1062 Depth=1
	s_or_b32 exec_lo, exec_lo, s17
.LBB380_1813:                           ;   in Loop: Header=BB380_1062 Depth=1
	s_or_b32 exec_lo, exec_lo, s16
	s_mov_b32 s16, exec_lo
	v_cmpx_lt_u32_e32 0xffffff, v20
	s_cbranch_execz .LBB380_1821
; %bb.1814:                             ;   in Loop: Header=BB380_1062 Depth=1
	v_cmp_ne_u32_sdwa s4, v20, v82 src0_sel:BYTE_3 src1_sel:DWORD
	v_bfrev_b32_e32 v98, 1
	s_and_saveexec_b32 s17, s4
	s_cbranch_execz .LBB380_1820
; %bb.1815:                             ;   in Loop: Header=BB380_1062 Depth=1
	v_bfe_u32 v23, v20, 24, 7
	v_mov_b32_e32 v98, 0x7f800001
	s_mov_b32 s18, exec_lo
	v_cmpx_ne_u32_e32 0x7f, v23
	s_cbranch_execz .LBB380_1819
; %bb.1816:                             ;   in Loop: Header=BB380_1062 Depth=1
	v_mov_b32_e32 v10, 7
	v_lshrrev_b32_e32 v17, 3, v23
	v_cmp_gt_u32_e64 s4, 8, v23
	v_and_b32_sdwa v10, v20, v10 dst_sel:DWORD dst_unused:UNUSED_PAD src0_sel:BYTE_3 src1_sel:DWORD
	v_mov_b32_e32 v24, v11
	v_mov_b32_e32 v23, v10
	s_and_saveexec_b32 s20, s4
; %bb.1817:                             ;   in Loop: Header=BB380_1062 Depth=1
	v_ffbh_u32_e32 v17, v10
	v_min_u32_e32 v17, 32, v17
	v_subrev_nc_u32_e32 v23, 28, v17
	v_sub_nc_u32_e32 v17, 29, v17
	v_lshlrev_b64 v[23:24], v23, v[10:11]
	v_and_b32_e32 v23, 7, v23
; %bb.1818:                             ;   in Loop: Header=BB380_1062 Depth=1
	s_or_b32 exec_lo, exec_lo, s20
	v_mov_b32_e32 v10, 24
	v_lshlrev_b32_e32 v23, 20, v23
	v_lshl_add_u32 v17, v17, 23, 0x3c000000
	v_lshlrev_b32_sdwa v10, v10, v20 dst_sel:DWORD dst_unused:UNUSED_PAD src0_sel:DWORD src1_sel:BYTE_3
	v_and_b32_e32 v10, 0x80000000, v10
	v_or3_b32 v98, v23, v10, v17
.LBB380_1819:                           ;   in Loop: Header=BB380_1062 Depth=1
	s_or_b32 exec_lo, exec_lo, s18
.LBB380_1820:                           ;   in Loop: Header=BB380_1062 Depth=1
	s_or_b32 exec_lo, exec_lo, s17
.LBB380_1821:                           ;   in Loop: Header=BB380_1062 Depth=1
	s_or_b32 exec_lo, exec_lo, s16
	v_mov_b32_e32 v10, v21
	v_cmp_ne_u16_sdwa s4, v21, v11 src0_sel:BYTE_0 src1_sel:DWORD
	v_mov_b32_e32 v49, 0
	v_mov_b32_e32 v17, 0
	s_and_saveexec_b32 s16, s4
	s_cbranch_execz .LBB380_1829
; %bb.1822:                             ;   in Loop: Header=BB380_1062 Depth=1
	v_cmp_ne_u16_sdwa s4, v21, v82 src0_sel:BYTE_0 src1_sel:DWORD
	v_bfrev_b32_e32 v17, 1
	s_and_saveexec_b32 s17, s4
	s_cbranch_execz .LBB380_1828
; %bb.1823:                             ;   in Loop: Header=BB380_1062 Depth=1
	v_and_b32_e32 v23, 0x7f, v21
	v_mov_b32_e32 v17, 0x7f800001
	s_mov_b32 s18, exec_lo
	v_cmpx_ne_u32_e32 0x7f, v23
	s_cbranch_execz .LBB380_1827
; %bb.1824:                             ;   in Loop: Header=BB380_1062 Depth=1
	v_lshrrev_b32_e32 v17, 3, v23
	v_cmp_gt_u32_e64 s4, 8, v23
	v_mov_b32_e32 v24, v11
	v_mov_b32_e32 v23, v10
	s_and_saveexec_b32 s20, s4
; %bb.1825:                             ;   in Loop: Header=BB380_1062 Depth=1
	v_and_b32_e32 v17, 7, v21
	v_ffbh_u32_e32 v17, v17
	v_min_u32_e32 v17, 32, v17
	v_subrev_nc_u32_e32 v23, 28, v17
	v_sub_nc_u32_e32 v17, 29, v17
	v_lshlrev_b64 v[23:24], v23, v[10:11]
; %bb.1826:                             ;   in Loop: Header=BB380_1062 Depth=1
	s_or_b32 exec_lo, exec_lo, s20
	v_lshlrev_b32_e32 v23, 20, v23
	v_lshlrev_b32_e32 v24, 24, v10
	v_lshl_add_u32 v17, v17, 23, 0x3c000000
	v_and_b32_e32 v23, 0x700000, v23
	v_and_b32_e32 v24, 0x80000000, v24
	v_or3_b32 v17, v23, v24, v17
.LBB380_1827:                           ;   in Loop: Header=BB380_1062 Depth=1
	s_or_b32 exec_lo, exec_lo, s18
.LBB380_1828:                           ;   in Loop: Header=BB380_1062 Depth=1
	s_or_b32 exec_lo, exec_lo, s17
.LBB380_1829:                           ;   in Loop: Header=BB380_1062 Depth=1
	s_or_b32 exec_lo, exec_lo, s16
	v_cmp_ne_u16_sdwa s4, v10, v11 src0_sel:BYTE_1 src1_sel:DWORD
	s_and_saveexec_b32 s16, s4
	s_cbranch_execz .LBB380_1837
; %bb.1830:                             ;   in Loop: Header=BB380_1062 Depth=1
	v_cmp_ne_u16_sdwa s4, v10, v82 src0_sel:BYTE_1 src1_sel:DWORD
	v_bfrev_b32_e32 v49, 1
	s_and_saveexec_b32 s17, s4
	s_cbranch_execz .LBB380_1836
; %bb.1831:                             ;   in Loop: Header=BB380_1062 Depth=1
	v_mov_b32_e32 v23, 0xffff
	v_mov_b32_e32 v49, 0x7f800001
	s_mov_b32 s18, exec_lo
	v_and_b32_sdwa v23, v23, v10 dst_sel:DWORD dst_unused:UNUSED_PAD src0_sel:DWORD src1_sel:BYTE_1
	v_and_b32_e32 v51, 0x7f, v23
	v_cmpx_ne_u32_e32 0x7f, v51
	s_cbranch_execz .LBB380_1835
; %bb.1832:                             ;   in Loop: Header=BB380_1062 Depth=1
	v_and_b32_e32 v23, 7, v23
	v_mov_b32_e32 v24, v11
	v_lshrrev_b32_e32 v49, 3, v51
	s_mov_b32 s20, exec_lo
	v_cmpx_gt_u32_e32 8, v51
; %bb.1833:                             ;   in Loop: Header=BB380_1062 Depth=1
	v_ffbh_u32_e32 v49, v23
	v_min_u32_e32 v49, 32, v49
	v_subrev_nc_u32_e32 v51, 28, v49
	v_sub_nc_u32_e32 v49, 29, v49
	v_lshlrev_b64 v[23:24], v51, v[23:24]
	v_and_b32_e32 v23, 7, v23
; %bb.1834:                             ;   in Loop: Header=BB380_1062 Depth=1
	s_or_b32 exec_lo, exec_lo, s20
	v_lshlrev_b32_e32 v10, 16, v10
	v_lshlrev_b32_e32 v23, 20, v23
	v_lshl_add_u32 v24, v49, 23, 0x3c000000
	v_and_b32_e32 v10, 0x80000000, v10
	v_or3_b32 v49, v23, v10, v24
.LBB380_1835:                           ;   in Loop: Header=BB380_1062 Depth=1
	s_or_b32 exec_lo, exec_lo, s18
.LBB380_1836:                           ;   in Loop: Header=BB380_1062 Depth=1
	s_or_b32 exec_lo, exec_lo, s17
.LBB380_1837:                           ;   in Loop: Header=BB380_1062 Depth=1
	s_or_b32 exec_lo, exec_lo, s16
	v_and_b32_sdwa v10, v21, v84 dst_sel:DWORD dst_unused:UNUSED_PAD src0_sel:WORD_1 src1_sel:DWORD
	v_mov_b32_e32 v103, 0
	v_mov_b32_e32 v100, 0
	s_mov_b32 s16, exec_lo
	v_cmpx_ne_u16_e32 0, v10
	s_cbranch_execz .LBB380_1845
; %bb.1838:                             ;   in Loop: Header=BB380_1062 Depth=1
	v_bfrev_b32_e32 v100, 1
	s_mov_b32 s17, exec_lo
	v_cmpx_ne_u16_e32 0x80, v10
	s_cbranch_execz .LBB380_1844
; %bb.1839:                             ;   in Loop: Header=BB380_1062 Depth=1
	v_bfe_u32 v23, v21, 16, 7
	v_mov_b32_e32 v100, 0x7f800001
	s_mov_b32 s18, exec_lo
	v_cmpx_ne_u32_e32 0x7f, v23
	s_cbranch_execz .LBB380_1843
; %bb.1840:                             ;   in Loop: Header=BB380_1062 Depth=1
	v_mov_b32_e32 v10, 7
	v_lshrrev_b32_e32 v51, 3, v23
	v_cmp_gt_u32_e64 s4, 8, v23
	v_and_b32_sdwa v10, v21, v10 dst_sel:DWORD dst_unused:UNUSED_PAD src0_sel:WORD_1 src1_sel:DWORD
	v_mov_b32_e32 v24, v11
	v_mov_b32_e32 v23, v10
	s_and_saveexec_b32 s20, s4
; %bb.1841:                             ;   in Loop: Header=BB380_1062 Depth=1
	v_ffbh_u32_e32 v23, v10
	v_min_u32_e32 v51, 32, v23
	v_subrev_nc_u32_e32 v23, 28, v51
	v_sub_nc_u32_e32 v51, 29, v51
	v_lshlrev_b64 v[23:24], v23, v[10:11]
	v_and_b32_e32 v23, 7, v23
; %bb.1842:                             ;   in Loop: Header=BB380_1062 Depth=1
	s_or_b32 exec_lo, exec_lo, s20
	v_mov_b32_e32 v10, 24
	v_lshlrev_b32_e32 v23, 20, v23
	v_lshl_add_u32 v24, v51, 23, 0x3c000000
	v_lshlrev_b32_sdwa v10, v10, v21 dst_sel:DWORD dst_unused:UNUSED_PAD src0_sel:DWORD src1_sel:WORD_1
	v_and_b32_e32 v10, 0x80000000, v10
	v_or3_b32 v100, v23, v10, v24
.LBB380_1843:                           ;   in Loop: Header=BB380_1062 Depth=1
	s_or_b32 exec_lo, exec_lo, s18
.LBB380_1844:                           ;   in Loop: Header=BB380_1062 Depth=1
	s_or_b32 exec_lo, exec_lo, s17
.LBB380_1845:                           ;   in Loop: Header=BB380_1062 Depth=1
	s_or_b32 exec_lo, exec_lo, s16
	s_mov_b32 s16, exec_lo
	v_cmpx_lt_u64_e64 s[12:13], v[20:21]
	s_cbranch_execz .LBB380_1853
; %bb.1846:                             ;   in Loop: Header=BB380_1062 Depth=1
	v_cmp_ne_u32_sdwa s4, v21, v82 src0_sel:BYTE_3 src1_sel:DWORD
	v_bfrev_b32_e32 v103, 1
	s_and_saveexec_b32 s17, s4
	s_cbranch_execz .LBB380_1852
; %bb.1847:                             ;   in Loop: Header=BB380_1062 Depth=1
	v_bfe_u32 v23, v21, 24, 7
	v_mov_b32_e32 v103, 0x7f800001
	s_mov_b32 s18, exec_lo
	v_cmpx_ne_u32_e32 0x7f, v23
	s_cbranch_execz .LBB380_1851
; %bb.1848:                             ;   in Loop: Header=BB380_1062 Depth=1
	v_mov_b32_e32 v10, 7
	v_lshrrev_b32_e32 v20, 3, v23
	v_cmp_gt_u32_e64 s4, 8, v23
	v_and_b32_sdwa v10, v21, v10 dst_sel:DWORD dst_unused:UNUSED_PAD src0_sel:BYTE_3 src1_sel:DWORD
	v_mov_b32_e32 v24, v11
	v_mov_b32_e32 v23, v10
	s_and_saveexec_b32 s20, s4
; %bb.1849:                             ;   in Loop: Header=BB380_1062 Depth=1
	v_ffbh_u32_e32 v20, v10
	v_min_u32_e32 v20, 32, v20
	v_subrev_nc_u32_e32 v23, 28, v20
	v_sub_nc_u32_e32 v20, 29, v20
	v_lshlrev_b64 v[23:24], v23, v[10:11]
	v_and_b32_e32 v23, 7, v23
; %bb.1850:                             ;   in Loop: Header=BB380_1062 Depth=1
	s_or_b32 exec_lo, exec_lo, s20
	v_mov_b32_e32 v10, 24
	v_lshl_add_u32 v20, v20, 23, 0x3c000000
	v_lshlrev_b32_sdwa v10, v10, v21 dst_sel:DWORD dst_unused:UNUSED_PAD src0_sel:DWORD src1_sel:BYTE_3
	v_lshlrev_b32_e32 v21, 20, v23
	v_and_b32_e32 v10, 0x80000000, v10
	v_or3_b32 v103, v21, v10, v20
.LBB380_1851:                           ;   in Loop: Header=BB380_1062 Depth=1
	s_or_b32 exec_lo, exec_lo, s18
.LBB380_1852:                           ;   in Loop: Header=BB380_1062 Depth=1
	s_or_b32 exec_lo, exec_lo, s17
.LBB380_1853:                           ;   in Loop: Header=BB380_1062 Depth=1
	s_or_b32 exec_lo, exec_lo, s16
	v_mul_f32_e32 v10, v58, v49
	v_bfe_u32 v20, v10, 16, 1
	v_or_b32_e32 v21, 0x400000, v10
	v_cmp_u_f32_e64 s4, v10, v10
	v_add3_u32 v20, v20, v10, 0x7fff
	v_cndmask_b32_e64 v10, v20, v21, s4
	v_lshrrev_b32_e32 v51, 16, v10
	v_mul_f32_e32 v10, v58, v17
	v_bfe_u32 v17, v10, 16, 1
	v_or_b32_e32 v20, 0x400000, v10
	v_cmp_u_f32_e64 s4, v10, v10
	v_add3_u32 v17, v17, v10, 0x7fff
	v_cndmask_b32_e64 v10, v17, v20, s4
	v_lshrrev_b32_e32 v53, 16, v10
	;; [unrolled: 7-line block ×8, first 2 shown]
	s_and_saveexec_b32 s16, vcc_lo
	s_cbranch_execz .LBB380_1855
; %bb.1854:                             ;   in Loop: Header=BB380_1062 Depth=1
	v_cmp_lt_i32_e64 s4, v75, v38
	v_cndmask_b32_e64 v102, 0, v102, s4
	v_cmp_lt_i32_e64 s4, v90, v38
	v_cndmask_b32_e64 v101, 0, v101, s4
	;; [unrolled: 2-line block ×8, first 2 shown]
.LBB380_1855:                           ;   in Loop: Header=BB380_1062 Depth=1
	s_or_b32 exec_lo, exec_lo, s16
	flat_load_dwordx2 v[20:21], v[18:19] offset:1024
	v_mov_b32_e32 v85, 0
	v_mov_b32_e32 v83, 0
	s_waitcnt vmcnt(0) lgkmcnt(0)
	v_cmp_ne_u16_sdwa s4, v20, v11 src0_sel:BYTE_0 src1_sel:DWORD
	s_and_saveexec_b32 s16, s4
	s_cbranch_execz .LBB380_1863
; %bb.1856:                             ;   in Loop: Header=BB380_1062 Depth=1
	v_cmp_ne_u16_sdwa s4, v20, v82 src0_sel:BYTE_0 src1_sel:DWORD
	v_bfrev_b32_e32 v83, 1
	s_and_saveexec_b32 s17, s4
	s_cbranch_execz .LBB380_1862
; %bb.1857:                             ;   in Loop: Header=BB380_1062 Depth=1
	v_and_b32_e32 v17, 0x7f, v20
	v_mov_b32_e32 v83, 0x7f800001
	s_mov_b32 s18, exec_lo
	v_cmpx_ne_u32_e32 0x7f, v17
	s_cbranch_execz .LBB380_1861
; %bb.1858:                             ;   in Loop: Header=BB380_1062 Depth=1
	v_mov_b32_e32 v24, v21
	v_lshrrev_b32_e32 v10, 3, v17
	v_mov_b32_e32 v23, v20
	s_mov_b32 s20, exec_lo
	v_cmpx_gt_u32_e32 8, v17
; %bb.1859:                             ;   in Loop: Header=BB380_1062 Depth=1
	v_and_b32_e32 v10, 7, v20
	v_ffbh_u32_e32 v10, v10
	v_min_u32_e32 v10, 32, v10
	v_subrev_nc_u32_e32 v17, 28, v10
	v_sub_nc_u32_e32 v10, 29, v10
	v_lshlrev_b64 v[23:24], v17, v[20:21]
; %bb.1860:                             ;   in Loop: Header=BB380_1062 Depth=1
	s_or_b32 exec_lo, exec_lo, s20
	v_lshlrev_b32_e32 v17, 20, v23
	v_lshlrev_b32_e32 v23, 24, v20
	v_lshl_add_u32 v10, v10, 23, 0x3c000000
	v_and_b32_e32 v17, 0x700000, v17
	v_and_b32_e32 v23, 0x80000000, v23
	v_or3_b32 v83, v17, v23, v10
.LBB380_1861:                           ;   in Loop: Header=BB380_1062 Depth=1
	s_or_b32 exec_lo, exec_lo, s18
.LBB380_1862:                           ;   in Loop: Header=BB380_1062 Depth=1
	s_or_b32 exec_lo, exec_lo, s17
.LBB380_1863:                           ;   in Loop: Header=BB380_1062 Depth=1
	s_or_b32 exec_lo, exec_lo, s16
	v_cmp_ne_u16_sdwa s4, v20, v11 src0_sel:BYTE_1 src1_sel:DWORD
	s_and_saveexec_b32 s16, s4
	s_cbranch_execz .LBB380_1871
; %bb.1864:                             ;   in Loop: Header=BB380_1062 Depth=1
	v_cmp_ne_u16_sdwa s4, v20, v82 src0_sel:BYTE_1 src1_sel:DWORD
	v_bfrev_b32_e32 v85, 1
	s_and_saveexec_b32 s17, s4
	s_cbranch_execz .LBB380_1870
; %bb.1865:                             ;   in Loop: Header=BB380_1062 Depth=1
	v_mov_b32_e32 v10, 0xffff
	v_mov_b32_e32 v85, 0x7f800001
	s_mov_b32 s18, exec_lo
	v_and_b32_sdwa v10, v10, v20 dst_sel:DWORD dst_unused:UNUSED_PAD src0_sel:DWORD src1_sel:BYTE_1
	v_and_b32_e32 v23, 0x7f, v10
	v_cmpx_ne_u32_e32 0x7f, v23
	s_cbranch_execz .LBB380_1869
; %bb.1866:                             ;   in Loop: Header=BB380_1062 Depth=1
	v_and_b32_e32 v10, 7, v10
	v_lshrrev_b32_e32 v17, 3, v23
	v_cmp_gt_u32_e64 s4, 8, v23
	v_mov_b32_e32 v24, v11
	v_mov_b32_e32 v23, v10
	s_and_saveexec_b32 s20, s4
; %bb.1867:                             ;   in Loop: Header=BB380_1062 Depth=1
	v_ffbh_u32_e32 v17, v10
	v_min_u32_e32 v17, 32, v17
	v_subrev_nc_u32_e32 v23, 28, v17
	v_sub_nc_u32_e32 v17, 29, v17
	v_lshlrev_b64 v[23:24], v23, v[10:11]
	v_and_b32_e32 v23, 7, v23
; %bb.1868:                             ;   in Loop: Header=BB380_1062 Depth=1
	s_or_b32 exec_lo, exec_lo, s20
	v_lshlrev_b32_e32 v10, 16, v20
	v_lshlrev_b32_e32 v23, 20, v23
	v_lshl_add_u32 v17, v17, 23, 0x3c000000
	v_and_b32_e32 v10, 0x80000000, v10
	v_or3_b32 v85, v23, v10, v17
.LBB380_1869:                           ;   in Loop: Header=BB380_1062 Depth=1
	s_or_b32 exec_lo, exec_lo, s18
.LBB380_1870:                           ;   in Loop: Header=BB380_1062 Depth=1
	s_or_b32 exec_lo, exec_lo, s17
.LBB380_1871:                           ;   in Loop: Header=BB380_1062 Depth=1
	s_or_b32 exec_lo, exec_lo, s16
	v_and_b32_sdwa v10, v20, v84 dst_sel:DWORD dst_unused:UNUSED_PAD src0_sel:WORD_1 src1_sel:DWORD
	v_mov_b32_e32 v112, 0
	v_mov_b32_e32 v86, 0
	s_mov_b32 s16, exec_lo
	v_cmpx_ne_u16_e32 0, v10
	s_cbranch_execz .LBB380_1879
; %bb.1872:                             ;   in Loop: Header=BB380_1062 Depth=1
	v_bfrev_b32_e32 v86, 1
	s_mov_b32 s17, exec_lo
	v_cmpx_ne_u16_e32 0x80, v10
	s_cbranch_execz .LBB380_1878
; %bb.1873:                             ;   in Loop: Header=BB380_1062 Depth=1
	v_bfe_u32 v23, v20, 16, 7
	v_mov_b32_e32 v86, 0x7f800001
	s_mov_b32 s18, exec_lo
	v_cmpx_ne_u32_e32 0x7f, v23
	s_cbranch_execz .LBB380_1877
; %bb.1874:                             ;   in Loop: Header=BB380_1062 Depth=1
	v_mov_b32_e32 v10, 7
	v_lshrrev_b32_e32 v17, 3, v23
	v_cmp_gt_u32_e64 s4, 8, v23
	v_and_b32_sdwa v10, v20, v10 dst_sel:DWORD dst_unused:UNUSED_PAD src0_sel:WORD_1 src1_sel:DWORD
	v_mov_b32_e32 v24, v11
	v_mov_b32_e32 v23, v10
	s_and_saveexec_b32 s20, s4
; %bb.1875:                             ;   in Loop: Header=BB380_1062 Depth=1
	v_ffbh_u32_e32 v17, v10
	v_min_u32_e32 v17, 32, v17
	v_subrev_nc_u32_e32 v23, 28, v17
	v_sub_nc_u32_e32 v17, 29, v17
	v_lshlrev_b64 v[23:24], v23, v[10:11]
	v_and_b32_e32 v23, 7, v23
; %bb.1876:                             ;   in Loop: Header=BB380_1062 Depth=1
	s_or_b32 exec_lo, exec_lo, s20
	v_mov_b32_e32 v10, 24
	v_lshlrev_b32_e32 v23, 20, v23
	v_lshl_add_u32 v17, v17, 23, 0x3c000000
	v_lshlrev_b32_sdwa v10, v10, v20 dst_sel:DWORD dst_unused:UNUSED_PAD src0_sel:DWORD src1_sel:WORD_1
	v_and_b32_e32 v10, 0x80000000, v10
	v_or3_b32 v86, v23, v10, v17
.LBB380_1877:                           ;   in Loop: Header=BB380_1062 Depth=1
	s_or_b32 exec_lo, exec_lo, s18
.LBB380_1878:                           ;   in Loop: Header=BB380_1062 Depth=1
	s_or_b32 exec_lo, exec_lo, s17
.LBB380_1879:                           ;   in Loop: Header=BB380_1062 Depth=1
	s_or_b32 exec_lo, exec_lo, s16
	s_mov_b32 s16, exec_lo
	v_cmpx_lt_u32_e32 0xffffff, v20
	s_cbranch_execz .LBB380_1887
; %bb.1880:                             ;   in Loop: Header=BB380_1062 Depth=1
	v_cmp_ne_u32_sdwa s4, v20, v82 src0_sel:BYTE_3 src1_sel:DWORD
	v_bfrev_b32_e32 v112, 1
	s_and_saveexec_b32 s17, s4
	s_cbranch_execz .LBB380_1886
; %bb.1881:                             ;   in Loop: Header=BB380_1062 Depth=1
	v_bfe_u32 v23, v20, 24, 7
	v_mov_b32_e32 v112, 0x7f800001
	s_mov_b32 s18, exec_lo
	v_cmpx_ne_u32_e32 0x7f, v23
	s_cbranch_execz .LBB380_1885
; %bb.1882:                             ;   in Loop: Header=BB380_1062 Depth=1
	v_mov_b32_e32 v10, 7
	v_lshrrev_b32_e32 v17, 3, v23
	v_cmp_gt_u32_e64 s4, 8, v23
	v_and_b32_sdwa v10, v20, v10 dst_sel:DWORD dst_unused:UNUSED_PAD src0_sel:BYTE_3 src1_sel:DWORD
	v_mov_b32_e32 v24, v11
	v_mov_b32_e32 v23, v10
	s_and_saveexec_b32 s20, s4
; %bb.1883:                             ;   in Loop: Header=BB380_1062 Depth=1
	v_ffbh_u32_e32 v17, v10
	v_min_u32_e32 v17, 32, v17
	v_subrev_nc_u32_e32 v23, 28, v17
	v_sub_nc_u32_e32 v17, 29, v17
	v_lshlrev_b64 v[23:24], v23, v[10:11]
	v_and_b32_e32 v23, 7, v23
; %bb.1884:                             ;   in Loop: Header=BB380_1062 Depth=1
	s_or_b32 exec_lo, exec_lo, s20
	v_mov_b32_e32 v10, 24
	v_lshlrev_b32_e32 v23, 20, v23
	v_lshl_add_u32 v17, v17, 23, 0x3c000000
	v_lshlrev_b32_sdwa v10, v10, v20 dst_sel:DWORD dst_unused:UNUSED_PAD src0_sel:DWORD src1_sel:BYTE_3
	v_and_b32_e32 v10, 0x80000000, v10
	v_or3_b32 v112, v23, v10, v17
.LBB380_1885:                           ;   in Loop: Header=BB380_1062 Depth=1
	s_or_b32 exec_lo, exec_lo, s18
.LBB380_1886:                           ;   in Loop: Header=BB380_1062 Depth=1
	s_or_b32 exec_lo, exec_lo, s17
.LBB380_1887:                           ;   in Loop: Header=BB380_1062 Depth=1
	s_or_b32 exec_lo, exec_lo, s16
	v_mov_b32_e32 v10, v21
	v_cmp_ne_u16_sdwa s4, v21, v11 src0_sel:BYTE_0 src1_sel:DWORD
	v_mov_b32_e32 v49, 0
	v_mov_b32_e32 v17, 0
	s_and_saveexec_b32 s16, s4
	s_cbranch_execz .LBB380_1895
; %bb.1888:                             ;   in Loop: Header=BB380_1062 Depth=1
	v_cmp_ne_u16_sdwa s4, v21, v82 src0_sel:BYTE_0 src1_sel:DWORD
	v_bfrev_b32_e32 v17, 1
	s_and_saveexec_b32 s17, s4
	s_cbranch_execz .LBB380_1894
; %bb.1889:                             ;   in Loop: Header=BB380_1062 Depth=1
	v_and_b32_e32 v23, 0x7f, v21
	v_mov_b32_e32 v17, 0x7f800001
	s_mov_b32 s18, exec_lo
	v_cmpx_ne_u32_e32 0x7f, v23
	s_cbranch_execz .LBB380_1893
; %bb.1890:                             ;   in Loop: Header=BB380_1062 Depth=1
	v_lshrrev_b32_e32 v17, 3, v23
	v_cmp_gt_u32_e64 s4, 8, v23
	v_mov_b32_e32 v24, v11
	v_mov_b32_e32 v23, v10
	s_and_saveexec_b32 s20, s4
; %bb.1891:                             ;   in Loop: Header=BB380_1062 Depth=1
	v_and_b32_e32 v17, 7, v21
	v_ffbh_u32_e32 v17, v17
	v_min_u32_e32 v17, 32, v17
	v_subrev_nc_u32_e32 v23, 28, v17
	v_sub_nc_u32_e32 v17, 29, v17
	v_lshlrev_b64 v[23:24], v23, v[10:11]
; %bb.1892:                             ;   in Loop: Header=BB380_1062 Depth=1
	s_or_b32 exec_lo, exec_lo, s20
	v_lshlrev_b32_e32 v23, 20, v23
	v_lshlrev_b32_e32 v24, 24, v10
	v_lshl_add_u32 v17, v17, 23, 0x3c000000
	v_and_b32_e32 v23, 0x700000, v23
	v_and_b32_e32 v24, 0x80000000, v24
	v_or3_b32 v17, v23, v24, v17
.LBB380_1893:                           ;   in Loop: Header=BB380_1062 Depth=1
	s_or_b32 exec_lo, exec_lo, s18
.LBB380_1894:                           ;   in Loop: Header=BB380_1062 Depth=1
	s_or_b32 exec_lo, exec_lo, s17
.LBB380_1895:                           ;   in Loop: Header=BB380_1062 Depth=1
	s_or_b32 exec_lo, exec_lo, s16
	v_cmp_ne_u16_sdwa s4, v10, v11 src0_sel:BYTE_1 src1_sel:DWORD
	s_and_saveexec_b32 s16, s4
	s_cbranch_execz .LBB380_1903
; %bb.1896:                             ;   in Loop: Header=BB380_1062 Depth=1
	v_cmp_ne_u16_sdwa s4, v10, v82 src0_sel:BYTE_1 src1_sel:DWORD
	v_bfrev_b32_e32 v49, 1
	s_and_saveexec_b32 s17, s4
	s_cbranch_execz .LBB380_1902
; %bb.1897:                             ;   in Loop: Header=BB380_1062 Depth=1
	v_mov_b32_e32 v23, 0xffff
	v_mov_b32_e32 v49, 0x7f800001
	s_mov_b32 s18, exec_lo
	v_and_b32_sdwa v23, v23, v10 dst_sel:DWORD dst_unused:UNUSED_PAD src0_sel:DWORD src1_sel:BYTE_1
	v_and_b32_e32 v52, 0x7f, v23
	v_cmpx_ne_u32_e32 0x7f, v52
	s_cbranch_execz .LBB380_1901
; %bb.1898:                             ;   in Loop: Header=BB380_1062 Depth=1
	v_and_b32_e32 v23, 7, v23
	v_mov_b32_e32 v24, v11
	v_lshrrev_b32_e32 v49, 3, v52
	s_mov_b32 s20, exec_lo
	v_cmpx_gt_u32_e32 8, v52
; %bb.1899:                             ;   in Loop: Header=BB380_1062 Depth=1
	v_ffbh_u32_e32 v49, v23
	v_min_u32_e32 v49, 32, v49
	v_subrev_nc_u32_e32 v52, 28, v49
	v_sub_nc_u32_e32 v49, 29, v49
	v_lshlrev_b64 v[23:24], v52, v[23:24]
	v_and_b32_e32 v23, 7, v23
; %bb.1900:                             ;   in Loop: Header=BB380_1062 Depth=1
	s_or_b32 exec_lo, exec_lo, s20
	v_lshlrev_b32_e32 v10, 16, v10
	v_lshlrev_b32_e32 v23, 20, v23
	v_lshl_add_u32 v24, v49, 23, 0x3c000000
	v_and_b32_e32 v10, 0x80000000, v10
	v_or3_b32 v49, v23, v10, v24
.LBB380_1901:                           ;   in Loop: Header=BB380_1062 Depth=1
	s_or_b32 exec_lo, exec_lo, s18
.LBB380_1902:                           ;   in Loop: Header=BB380_1062 Depth=1
	s_or_b32 exec_lo, exec_lo, s17
.LBB380_1903:                           ;   in Loop: Header=BB380_1062 Depth=1
	s_or_b32 exec_lo, exec_lo, s16
	v_and_b32_sdwa v10, v21, v84 dst_sel:DWORD dst_unused:UNUSED_PAD src0_sel:WORD_1 src1_sel:DWORD
	v_mov_b32_e32 v40, 0
	v_mov_b32_e32 v117, 0
	s_mov_b32 s16, exec_lo
	v_cmpx_ne_u16_e32 0, v10
	s_cbranch_execz .LBB380_1911
; %bb.1904:                             ;   in Loop: Header=BB380_1062 Depth=1
	v_bfrev_b32_e32 v117, 1
	s_mov_b32 s17, exec_lo
	v_cmpx_ne_u16_e32 0x80, v10
	s_cbranch_execz .LBB380_1910
; %bb.1905:                             ;   in Loop: Header=BB380_1062 Depth=1
	v_bfe_u32 v23, v21, 16, 7
	v_mov_b32_e32 v117, 0x7f800001
	s_mov_b32 s18, exec_lo
	v_cmpx_ne_u32_e32 0x7f, v23
	s_cbranch_execz .LBB380_1909
; %bb.1906:                             ;   in Loop: Header=BB380_1062 Depth=1
	v_mov_b32_e32 v10, 7
	v_lshrrev_b32_e32 v52, 3, v23
	v_cmp_gt_u32_e64 s4, 8, v23
	v_and_b32_sdwa v10, v21, v10 dst_sel:DWORD dst_unused:UNUSED_PAD src0_sel:WORD_1 src1_sel:DWORD
	v_mov_b32_e32 v24, v11
	v_mov_b32_e32 v23, v10
	s_and_saveexec_b32 s20, s4
; %bb.1907:                             ;   in Loop: Header=BB380_1062 Depth=1
	v_ffbh_u32_e32 v23, v10
	v_min_u32_e32 v52, 32, v23
	v_subrev_nc_u32_e32 v23, 28, v52
	v_sub_nc_u32_e32 v52, 29, v52
	v_lshlrev_b64 v[23:24], v23, v[10:11]
	v_and_b32_e32 v23, 7, v23
; %bb.1908:                             ;   in Loop: Header=BB380_1062 Depth=1
	s_or_b32 exec_lo, exec_lo, s20
	v_mov_b32_e32 v10, 24
	v_lshlrev_b32_e32 v23, 20, v23
	v_lshl_add_u32 v24, v52, 23, 0x3c000000
	v_lshlrev_b32_sdwa v10, v10, v21 dst_sel:DWORD dst_unused:UNUSED_PAD src0_sel:DWORD src1_sel:WORD_1
	v_and_b32_e32 v10, 0x80000000, v10
	v_or3_b32 v117, v23, v10, v24
.LBB380_1909:                           ;   in Loop: Header=BB380_1062 Depth=1
	s_or_b32 exec_lo, exec_lo, s18
.LBB380_1910:                           ;   in Loop: Header=BB380_1062 Depth=1
	s_or_b32 exec_lo, exec_lo, s17
.LBB380_1911:                           ;   in Loop: Header=BB380_1062 Depth=1
	s_or_b32 exec_lo, exec_lo, s16
	s_mov_b32 s16, exec_lo
	v_cmpx_lt_u64_e64 s[12:13], v[20:21]
	s_cbranch_execz .LBB380_1919
; %bb.1912:                             ;   in Loop: Header=BB380_1062 Depth=1
	v_cmp_ne_u32_sdwa s4, v21, v82 src0_sel:BYTE_3 src1_sel:DWORD
	v_bfrev_b32_e32 v40, 1
	s_and_saveexec_b32 s17, s4
	s_cbranch_execz .LBB380_1918
; %bb.1913:                             ;   in Loop: Header=BB380_1062 Depth=1
	v_bfe_u32 v23, v21, 24, 7
	v_mov_b32_e32 v40, 0x7f800001
	s_mov_b32 s18, exec_lo
	v_cmpx_ne_u32_e32 0x7f, v23
	s_cbranch_execz .LBB380_1917
; %bb.1914:                             ;   in Loop: Header=BB380_1062 Depth=1
	v_mov_b32_e32 v10, 7
	v_lshrrev_b32_e32 v20, 3, v23
	v_cmp_gt_u32_e64 s4, 8, v23
	v_and_b32_sdwa v10, v21, v10 dst_sel:DWORD dst_unused:UNUSED_PAD src0_sel:BYTE_3 src1_sel:DWORD
	v_mov_b32_e32 v24, v11
	v_mov_b32_e32 v23, v10
	s_and_saveexec_b32 s20, s4
; %bb.1915:                             ;   in Loop: Header=BB380_1062 Depth=1
	v_ffbh_u32_e32 v20, v10
	v_min_u32_e32 v20, 32, v20
	v_subrev_nc_u32_e32 v23, 28, v20
	v_sub_nc_u32_e32 v20, 29, v20
	v_lshlrev_b64 v[23:24], v23, v[10:11]
	v_and_b32_e32 v23, 7, v23
; %bb.1916:                             ;   in Loop: Header=BB380_1062 Depth=1
	s_or_b32 exec_lo, exec_lo, s20
	v_mov_b32_e32 v10, 24
	v_lshl_add_u32 v20, v20, 23, 0x3c000000
	v_lshlrev_b32_sdwa v10, v10, v21 dst_sel:DWORD dst_unused:UNUSED_PAD src0_sel:DWORD src1_sel:BYTE_3
	v_lshlrev_b32_e32 v21, 20, v23
	v_and_b32_e32 v10, 0x80000000, v10
	v_or3_b32 v40, v21, v10, v20
.LBB380_1917:                           ;   in Loop: Header=BB380_1062 Depth=1
	s_or_b32 exec_lo, exec_lo, s18
.LBB380_1918:                           ;   in Loop: Header=BB380_1062 Depth=1
	s_or_b32 exec_lo, exec_lo, s17
.LBB380_1919:                           ;   in Loop: Header=BB380_1062 Depth=1
	s_or_b32 exec_lo, exec_lo, s16
	v_mul_f32_e32 v10, v58, v49
	v_bfe_u32 v20, v10, 16, 1
	v_or_b32_e32 v21, 0x400000, v10
	v_cmp_u_f32_e64 s4, v10, v10
	v_add3_u32 v20, v20, v10, 0x7fff
	v_cndmask_b32_e64 v10, v20, v21, s4
	v_lshrrev_b32_e32 v113, 16, v10
	v_mul_f32_e32 v10, v58, v17
	v_bfe_u32 v17, v10, 16, 1
	v_or_b32_e32 v20, 0x400000, v10
	v_cmp_u_f32_e64 s4, v10, v10
	v_add3_u32 v17, v17, v10, 0x7fff
	v_cndmask_b32_e64 v10, v17, v20, s4
	v_lshrrev_b32_e32 v114, 16, v10
	;; [unrolled: 7-line block ×8, first 2 shown]
	s_and_saveexec_b32 s16, vcc_lo
	s_cbranch_execz .LBB380_1921
; %bb.1920:                             ;   in Loop: Header=BB380_1062 Depth=1
	v_cmp_lt_i32_e64 s4, v75, v38
	v_cndmask_b32_e64 v119, 0, v119, s4
	v_cmp_lt_i32_e64 s4, v90, v38
	v_cndmask_b32_e64 v118, 0, v118, s4
	;; [unrolled: 2-line block ×8, first 2 shown]
.LBB380_1921:                           ;   in Loop: Header=BB380_1062 Depth=1
	s_or_b32 exec_lo, exec_lo, s16
	flat_load_dwordx2 v[20:21], v[18:19] offset:1280
	v_mov_b32_e32 v85, 0
	v_mov_b32_e32 v83, 0
	s_waitcnt vmcnt(0) lgkmcnt(0)
	v_cmp_ne_u16_sdwa s4, v20, v11 src0_sel:BYTE_0 src1_sel:DWORD
	s_and_saveexec_b32 s16, s4
	s_cbranch_execz .LBB380_1929
; %bb.1922:                             ;   in Loop: Header=BB380_1062 Depth=1
	v_cmp_ne_u16_sdwa s4, v20, v82 src0_sel:BYTE_0 src1_sel:DWORD
	v_bfrev_b32_e32 v83, 1
	s_and_saveexec_b32 s17, s4
	s_cbranch_execz .LBB380_1928
; %bb.1923:                             ;   in Loop: Header=BB380_1062 Depth=1
	v_and_b32_e32 v17, 0x7f, v20
	v_mov_b32_e32 v83, 0x7f800001
	s_mov_b32 s18, exec_lo
	v_cmpx_ne_u32_e32 0x7f, v17
	s_cbranch_execz .LBB380_1927
; %bb.1924:                             ;   in Loop: Header=BB380_1062 Depth=1
	v_mov_b32_e32 v24, v21
	v_lshrrev_b32_e32 v10, 3, v17
	v_mov_b32_e32 v23, v20
	s_mov_b32 s20, exec_lo
	v_cmpx_gt_u32_e32 8, v17
; %bb.1925:                             ;   in Loop: Header=BB380_1062 Depth=1
	v_and_b32_e32 v10, 7, v20
	v_ffbh_u32_e32 v10, v10
	v_min_u32_e32 v10, 32, v10
	v_subrev_nc_u32_e32 v17, 28, v10
	v_sub_nc_u32_e32 v10, 29, v10
	v_lshlrev_b64 v[23:24], v17, v[20:21]
; %bb.1926:                             ;   in Loop: Header=BB380_1062 Depth=1
	s_or_b32 exec_lo, exec_lo, s20
	v_lshlrev_b32_e32 v17, 20, v23
	v_lshlrev_b32_e32 v23, 24, v20
	v_lshl_add_u32 v10, v10, 23, 0x3c000000
	v_and_b32_e32 v17, 0x700000, v17
	v_and_b32_e32 v23, 0x80000000, v23
	v_or3_b32 v83, v17, v23, v10
.LBB380_1927:                           ;   in Loop: Header=BB380_1062 Depth=1
	s_or_b32 exec_lo, exec_lo, s18
.LBB380_1928:                           ;   in Loop: Header=BB380_1062 Depth=1
	s_or_b32 exec_lo, exec_lo, s17
.LBB380_1929:                           ;   in Loop: Header=BB380_1062 Depth=1
	s_or_b32 exec_lo, exec_lo, s16
	v_cmp_ne_u16_sdwa s4, v20, v11 src0_sel:BYTE_1 src1_sel:DWORD
	s_and_saveexec_b32 s16, s4
	s_cbranch_execz .LBB380_1937
; %bb.1930:                             ;   in Loop: Header=BB380_1062 Depth=1
	v_cmp_ne_u16_sdwa s4, v20, v82 src0_sel:BYTE_1 src1_sel:DWORD
	v_bfrev_b32_e32 v85, 1
	s_and_saveexec_b32 s17, s4
	s_cbranch_execz .LBB380_1936
; %bb.1931:                             ;   in Loop: Header=BB380_1062 Depth=1
	v_mov_b32_e32 v10, 0xffff
	v_mov_b32_e32 v85, 0x7f800001
	s_mov_b32 s18, exec_lo
	v_and_b32_sdwa v10, v10, v20 dst_sel:DWORD dst_unused:UNUSED_PAD src0_sel:DWORD src1_sel:BYTE_1
	v_and_b32_e32 v23, 0x7f, v10
	v_cmpx_ne_u32_e32 0x7f, v23
	s_cbranch_execz .LBB380_1935
; %bb.1932:                             ;   in Loop: Header=BB380_1062 Depth=1
	v_and_b32_e32 v10, 7, v10
	v_lshrrev_b32_e32 v17, 3, v23
	v_cmp_gt_u32_e64 s4, 8, v23
	v_mov_b32_e32 v24, v11
	v_mov_b32_e32 v23, v10
	s_and_saveexec_b32 s20, s4
; %bb.1933:                             ;   in Loop: Header=BB380_1062 Depth=1
	v_ffbh_u32_e32 v17, v10
	v_min_u32_e32 v17, 32, v17
	v_subrev_nc_u32_e32 v23, 28, v17
	v_sub_nc_u32_e32 v17, 29, v17
	v_lshlrev_b64 v[23:24], v23, v[10:11]
	v_and_b32_e32 v23, 7, v23
; %bb.1934:                             ;   in Loop: Header=BB380_1062 Depth=1
	s_or_b32 exec_lo, exec_lo, s20
	v_lshlrev_b32_e32 v10, 16, v20
	v_lshlrev_b32_e32 v23, 20, v23
	v_lshl_add_u32 v17, v17, 23, 0x3c000000
	v_and_b32_e32 v10, 0x80000000, v10
	v_or3_b32 v85, v23, v10, v17
.LBB380_1935:                           ;   in Loop: Header=BB380_1062 Depth=1
	s_or_b32 exec_lo, exec_lo, s18
.LBB380_1936:                           ;   in Loop: Header=BB380_1062 Depth=1
	s_or_b32 exec_lo, exec_lo, s17
.LBB380_1937:                           ;   in Loop: Header=BB380_1062 Depth=1
	s_or_b32 exec_lo, exec_lo, s16
	v_and_b32_sdwa v10, v20, v84 dst_sel:DWORD dst_unused:UNUSED_PAD src0_sel:WORD_1 src1_sel:DWORD
	v_mov_b32_e32 v112, 0
	v_mov_b32_e32 v86, 0
	s_mov_b32 s16, exec_lo
	v_cmpx_ne_u16_e32 0, v10
	s_cbranch_execz .LBB380_1945
; %bb.1938:                             ;   in Loop: Header=BB380_1062 Depth=1
	v_bfrev_b32_e32 v86, 1
	s_mov_b32 s17, exec_lo
	v_cmpx_ne_u16_e32 0x80, v10
	s_cbranch_execz .LBB380_1944
; %bb.1939:                             ;   in Loop: Header=BB380_1062 Depth=1
	v_bfe_u32 v23, v20, 16, 7
	v_mov_b32_e32 v86, 0x7f800001
	s_mov_b32 s18, exec_lo
	v_cmpx_ne_u32_e32 0x7f, v23
	s_cbranch_execz .LBB380_1943
; %bb.1940:                             ;   in Loop: Header=BB380_1062 Depth=1
	v_mov_b32_e32 v10, 7
	v_lshrrev_b32_e32 v17, 3, v23
	v_cmp_gt_u32_e64 s4, 8, v23
	v_and_b32_sdwa v10, v20, v10 dst_sel:DWORD dst_unused:UNUSED_PAD src0_sel:WORD_1 src1_sel:DWORD
	v_mov_b32_e32 v24, v11
	v_mov_b32_e32 v23, v10
	s_and_saveexec_b32 s20, s4
; %bb.1941:                             ;   in Loop: Header=BB380_1062 Depth=1
	v_ffbh_u32_e32 v17, v10
	v_min_u32_e32 v17, 32, v17
	v_subrev_nc_u32_e32 v23, 28, v17
	v_sub_nc_u32_e32 v17, 29, v17
	v_lshlrev_b64 v[23:24], v23, v[10:11]
	v_and_b32_e32 v23, 7, v23
; %bb.1942:                             ;   in Loop: Header=BB380_1062 Depth=1
	s_or_b32 exec_lo, exec_lo, s20
	v_mov_b32_e32 v10, 24
	v_lshlrev_b32_e32 v23, 20, v23
	v_lshl_add_u32 v17, v17, 23, 0x3c000000
	v_lshlrev_b32_sdwa v10, v10, v20 dst_sel:DWORD dst_unused:UNUSED_PAD src0_sel:DWORD src1_sel:WORD_1
	v_and_b32_e32 v10, 0x80000000, v10
	v_or3_b32 v86, v23, v10, v17
.LBB380_1943:                           ;   in Loop: Header=BB380_1062 Depth=1
	s_or_b32 exec_lo, exec_lo, s18
.LBB380_1944:                           ;   in Loop: Header=BB380_1062 Depth=1
	s_or_b32 exec_lo, exec_lo, s17
.LBB380_1945:                           ;   in Loop: Header=BB380_1062 Depth=1
	s_or_b32 exec_lo, exec_lo, s16
	s_mov_b32 s16, exec_lo
	v_cmpx_lt_u32_e32 0xffffff, v20
	s_cbranch_execz .LBB380_1953
; %bb.1946:                             ;   in Loop: Header=BB380_1062 Depth=1
	v_cmp_ne_u32_sdwa s4, v20, v82 src0_sel:BYTE_3 src1_sel:DWORD
	v_bfrev_b32_e32 v112, 1
	s_and_saveexec_b32 s17, s4
	s_cbranch_execz .LBB380_1952
; %bb.1947:                             ;   in Loop: Header=BB380_1062 Depth=1
	v_bfe_u32 v23, v20, 24, 7
	v_mov_b32_e32 v112, 0x7f800001
	s_mov_b32 s18, exec_lo
	v_cmpx_ne_u32_e32 0x7f, v23
	s_cbranch_execz .LBB380_1951
; %bb.1948:                             ;   in Loop: Header=BB380_1062 Depth=1
	v_mov_b32_e32 v10, 7
	v_lshrrev_b32_e32 v17, 3, v23
	v_cmp_gt_u32_e64 s4, 8, v23
	v_and_b32_sdwa v10, v20, v10 dst_sel:DWORD dst_unused:UNUSED_PAD src0_sel:BYTE_3 src1_sel:DWORD
	v_mov_b32_e32 v24, v11
	v_mov_b32_e32 v23, v10
	s_and_saveexec_b32 s20, s4
; %bb.1949:                             ;   in Loop: Header=BB380_1062 Depth=1
	v_ffbh_u32_e32 v17, v10
	v_min_u32_e32 v17, 32, v17
	v_subrev_nc_u32_e32 v23, 28, v17
	v_sub_nc_u32_e32 v17, 29, v17
	v_lshlrev_b64 v[23:24], v23, v[10:11]
	v_and_b32_e32 v23, 7, v23
; %bb.1950:                             ;   in Loop: Header=BB380_1062 Depth=1
	s_or_b32 exec_lo, exec_lo, s20
	v_mov_b32_e32 v10, 24
	v_lshlrev_b32_e32 v23, 20, v23
	v_lshl_add_u32 v17, v17, 23, 0x3c000000
	v_lshlrev_b32_sdwa v10, v10, v20 dst_sel:DWORD dst_unused:UNUSED_PAD src0_sel:DWORD src1_sel:BYTE_3
	v_and_b32_e32 v10, 0x80000000, v10
	v_or3_b32 v112, v23, v10, v17
.LBB380_1951:                           ;   in Loop: Header=BB380_1062 Depth=1
	s_or_b32 exec_lo, exec_lo, s18
.LBB380_1952:                           ;   in Loop: Header=BB380_1062 Depth=1
	s_or_b32 exec_lo, exec_lo, s17
.LBB380_1953:                           ;   in Loop: Header=BB380_1062 Depth=1
	s_or_b32 exec_lo, exec_lo, s16
	v_mov_b32_e32 v10, v21
	v_cmp_ne_u16_sdwa s4, v21, v11 src0_sel:BYTE_0 src1_sel:DWORD
	v_mov_b32_e32 v49, 0
	v_mov_b32_e32 v17, 0
	s_and_saveexec_b32 s16, s4
	s_cbranch_execz .LBB380_1961
; %bb.1954:                             ;   in Loop: Header=BB380_1062 Depth=1
	v_cmp_ne_u16_sdwa s4, v21, v82 src0_sel:BYTE_0 src1_sel:DWORD
	v_bfrev_b32_e32 v17, 1
	s_and_saveexec_b32 s17, s4
	s_cbranch_execz .LBB380_1960
; %bb.1955:                             ;   in Loop: Header=BB380_1062 Depth=1
	v_and_b32_e32 v23, 0x7f, v21
	v_mov_b32_e32 v17, 0x7f800001
	s_mov_b32 s18, exec_lo
	v_cmpx_ne_u32_e32 0x7f, v23
	s_cbranch_execz .LBB380_1959
; %bb.1956:                             ;   in Loop: Header=BB380_1062 Depth=1
	v_lshrrev_b32_e32 v17, 3, v23
	v_cmp_gt_u32_e64 s4, 8, v23
	v_mov_b32_e32 v24, v11
	v_mov_b32_e32 v23, v10
	s_and_saveexec_b32 s20, s4
; %bb.1957:                             ;   in Loop: Header=BB380_1062 Depth=1
	v_and_b32_e32 v17, 7, v21
	v_ffbh_u32_e32 v17, v17
	v_min_u32_e32 v17, 32, v17
	v_subrev_nc_u32_e32 v23, 28, v17
	v_sub_nc_u32_e32 v17, 29, v17
	v_lshlrev_b64 v[23:24], v23, v[10:11]
; %bb.1958:                             ;   in Loop: Header=BB380_1062 Depth=1
	s_or_b32 exec_lo, exec_lo, s20
	v_lshlrev_b32_e32 v23, 20, v23
	v_lshlrev_b32_e32 v24, 24, v10
	v_lshl_add_u32 v17, v17, 23, 0x3c000000
	v_and_b32_e32 v23, 0x700000, v23
	v_and_b32_e32 v24, 0x80000000, v24
	v_or3_b32 v17, v23, v24, v17
.LBB380_1959:                           ;   in Loop: Header=BB380_1062 Depth=1
	s_or_b32 exec_lo, exec_lo, s18
.LBB380_1960:                           ;   in Loop: Header=BB380_1062 Depth=1
	s_or_b32 exec_lo, exec_lo, s17
.LBB380_1961:                           ;   in Loop: Header=BB380_1062 Depth=1
	s_or_b32 exec_lo, exec_lo, s16
	v_cmp_ne_u16_sdwa s4, v10, v11 src0_sel:BYTE_1 src1_sel:DWORD
	s_and_saveexec_b32 s16, s4
	s_cbranch_execz .LBB380_1969
; %bb.1962:                             ;   in Loop: Header=BB380_1062 Depth=1
	v_cmp_ne_u16_sdwa s4, v10, v82 src0_sel:BYTE_1 src1_sel:DWORD
	v_bfrev_b32_e32 v49, 1
	s_and_saveexec_b32 s17, s4
	s_cbranch_execz .LBB380_1968
; %bb.1963:                             ;   in Loop: Header=BB380_1062 Depth=1
	v_mov_b32_e32 v23, 0xffff
	v_mov_b32_e32 v49, 0x7f800001
	s_mov_b32 s18, exec_lo
	v_and_b32_sdwa v23, v23, v10 dst_sel:DWORD dst_unused:UNUSED_PAD src0_sel:DWORD src1_sel:BYTE_1
	v_and_b32_e32 v52, 0x7f, v23
	v_cmpx_ne_u32_e32 0x7f, v52
	s_cbranch_execz .LBB380_1967
; %bb.1964:                             ;   in Loop: Header=BB380_1062 Depth=1
	v_and_b32_e32 v23, 7, v23
	v_mov_b32_e32 v24, v11
	v_lshrrev_b32_e32 v49, 3, v52
	s_mov_b32 s20, exec_lo
	v_cmpx_gt_u32_e32 8, v52
; %bb.1965:                             ;   in Loop: Header=BB380_1062 Depth=1
	v_ffbh_u32_e32 v49, v23
	v_min_u32_e32 v49, 32, v49
	v_subrev_nc_u32_e32 v52, 28, v49
	v_sub_nc_u32_e32 v49, 29, v49
	v_lshlrev_b64 v[23:24], v52, v[23:24]
	v_and_b32_e32 v23, 7, v23
; %bb.1966:                             ;   in Loop: Header=BB380_1062 Depth=1
	s_or_b32 exec_lo, exec_lo, s20
	v_lshlrev_b32_e32 v10, 16, v10
	v_lshlrev_b32_e32 v23, 20, v23
	v_lshl_add_u32 v24, v49, 23, 0x3c000000
	v_and_b32_e32 v10, 0x80000000, v10
	v_or3_b32 v49, v23, v10, v24
.LBB380_1967:                           ;   in Loop: Header=BB380_1062 Depth=1
	s_or_b32 exec_lo, exec_lo, s18
.LBB380_1968:                           ;   in Loop: Header=BB380_1062 Depth=1
	s_or_b32 exec_lo, exec_lo, s17
.LBB380_1969:                           ;   in Loop: Header=BB380_1062 Depth=1
	s_or_b32 exec_lo, exec_lo, s16
	v_and_b32_sdwa v10, v21, v84 dst_sel:DWORD dst_unused:UNUSED_PAD src0_sel:WORD_1 src1_sel:DWORD
	v_mov_b32_e32 v56, 0
	v_mov_b32_e32 v45, 0
	s_mov_b32 s16, exec_lo
	v_cmpx_ne_u16_e32 0, v10
	s_cbranch_execz .LBB380_1977
; %bb.1970:                             ;   in Loop: Header=BB380_1062 Depth=1
	v_bfrev_b32_e32 v45, 1
	s_mov_b32 s17, exec_lo
	v_cmpx_ne_u16_e32 0x80, v10
	s_cbranch_execz .LBB380_1976
; %bb.1971:                             ;   in Loop: Header=BB380_1062 Depth=1
	v_bfe_u32 v23, v21, 16, 7
	v_mov_b32_e32 v45, 0x7f800001
	s_mov_b32 s18, exec_lo
	v_cmpx_ne_u32_e32 0x7f, v23
	s_cbranch_execz .LBB380_1975
; %bb.1972:                             ;   in Loop: Header=BB380_1062 Depth=1
	v_mov_b32_e32 v10, 7
	v_lshrrev_b32_e32 v52, 3, v23
	v_cmp_gt_u32_e64 s4, 8, v23
	v_and_b32_sdwa v10, v21, v10 dst_sel:DWORD dst_unused:UNUSED_PAD src0_sel:WORD_1 src1_sel:DWORD
	v_mov_b32_e32 v24, v11
	v_mov_b32_e32 v23, v10
	s_and_saveexec_b32 s20, s4
; %bb.1973:                             ;   in Loop: Header=BB380_1062 Depth=1
	v_ffbh_u32_e32 v23, v10
	v_min_u32_e32 v52, 32, v23
	v_subrev_nc_u32_e32 v23, 28, v52
	v_sub_nc_u32_e32 v52, 29, v52
	v_lshlrev_b64 v[23:24], v23, v[10:11]
	v_and_b32_e32 v23, 7, v23
; %bb.1974:                             ;   in Loop: Header=BB380_1062 Depth=1
	s_or_b32 exec_lo, exec_lo, s20
	v_mov_b32_e32 v10, 24
	v_lshlrev_b32_e32 v23, 20, v23
	v_lshl_add_u32 v24, v52, 23, 0x3c000000
	v_lshlrev_b32_sdwa v10, v10, v21 dst_sel:DWORD dst_unused:UNUSED_PAD src0_sel:DWORD src1_sel:WORD_1
	v_and_b32_e32 v10, 0x80000000, v10
	v_or3_b32 v45, v23, v10, v24
.LBB380_1975:                           ;   in Loop: Header=BB380_1062 Depth=1
	s_or_b32 exec_lo, exec_lo, s18
.LBB380_1976:                           ;   in Loop: Header=BB380_1062 Depth=1
	s_or_b32 exec_lo, exec_lo, s17
.LBB380_1977:                           ;   in Loop: Header=BB380_1062 Depth=1
	s_or_b32 exec_lo, exec_lo, s16
	s_mov_b32 s16, exec_lo
	v_cmpx_lt_u64_e64 s[12:13], v[20:21]
	s_cbranch_execz .LBB380_1985
; %bb.1978:                             ;   in Loop: Header=BB380_1062 Depth=1
	v_cmp_ne_u32_sdwa s4, v21, v82 src0_sel:BYTE_3 src1_sel:DWORD
	v_bfrev_b32_e32 v56, 1
	s_and_saveexec_b32 s17, s4
	s_cbranch_execz .LBB380_1984
; %bb.1979:                             ;   in Loop: Header=BB380_1062 Depth=1
	v_bfe_u32 v23, v21, 24, 7
	v_mov_b32_e32 v56, 0x7f800001
	s_mov_b32 s18, exec_lo
	v_cmpx_ne_u32_e32 0x7f, v23
	s_cbranch_execz .LBB380_1983
; %bb.1980:                             ;   in Loop: Header=BB380_1062 Depth=1
	v_mov_b32_e32 v10, 7
	v_lshrrev_b32_e32 v20, 3, v23
	v_cmp_gt_u32_e64 s4, 8, v23
	v_and_b32_sdwa v10, v21, v10 dst_sel:DWORD dst_unused:UNUSED_PAD src0_sel:BYTE_3 src1_sel:DWORD
	v_mov_b32_e32 v24, v11
	v_mov_b32_e32 v23, v10
	s_and_saveexec_b32 s20, s4
; %bb.1981:                             ;   in Loop: Header=BB380_1062 Depth=1
	v_ffbh_u32_e32 v20, v10
	v_min_u32_e32 v20, 32, v20
	v_subrev_nc_u32_e32 v23, 28, v20
	v_sub_nc_u32_e32 v20, 29, v20
	v_lshlrev_b64 v[23:24], v23, v[10:11]
	v_and_b32_e32 v23, 7, v23
; %bb.1982:                             ;   in Loop: Header=BB380_1062 Depth=1
	s_or_b32 exec_lo, exec_lo, s20
	v_mov_b32_e32 v10, 24
	v_lshl_add_u32 v20, v20, 23, 0x3c000000
	v_lshlrev_b32_sdwa v10, v10, v21 dst_sel:DWORD dst_unused:UNUSED_PAD src0_sel:DWORD src1_sel:BYTE_3
	v_lshlrev_b32_e32 v21, 20, v23
	v_and_b32_e32 v10, 0x80000000, v10
	v_or3_b32 v56, v21, v10, v20
.LBB380_1983:                           ;   in Loop: Header=BB380_1062 Depth=1
	s_or_b32 exec_lo, exec_lo, s18
.LBB380_1984:                           ;   in Loop: Header=BB380_1062 Depth=1
	s_or_b32 exec_lo, exec_lo, s17
.LBB380_1985:                           ;   in Loop: Header=BB380_1062 Depth=1
	s_or_b32 exec_lo, exec_lo, s16
	v_mul_f32_e32 v10, v58, v49
	v_bfe_u32 v20, v10, 16, 1
	v_or_b32_e32 v21, 0x400000, v10
	v_cmp_u_f32_e64 s4, v10, v10
	v_add3_u32 v20, v20, v10, 0x7fff
	v_cndmask_b32_e64 v10, v20, v21, s4
	v_lshrrev_b32_e32 v41, 16, v10
	v_mul_f32_e32 v10, v58, v17
	v_bfe_u32 v17, v10, 16, 1
	v_or_b32_e32 v20, 0x400000, v10
	v_cmp_u_f32_e64 s4, v10, v10
	v_add3_u32 v17, v17, v10, 0x7fff
	v_cndmask_b32_e64 v10, v17, v20, s4
	v_lshrrev_b32_e32 v42, 16, v10
	;; [unrolled: 7-line block ×8, first 2 shown]
	s_and_saveexec_b32 s16, vcc_lo
	s_cbranch_execz .LBB380_1987
; %bb.1986:                             ;   in Loop: Header=BB380_1062 Depth=1
	v_cmp_lt_i32_e64 s4, v75, v38
	v_cndmask_b32_e64 v47, 0, v47, s4
	v_cmp_lt_i32_e64 s4, v90, v38
	v_cndmask_b32_e64 v46, 0, v46, s4
	;; [unrolled: 2-line block ×8, first 2 shown]
.LBB380_1987:                           ;   in Loop: Header=BB380_1062 Depth=1
	s_or_b32 exec_lo, exec_lo, s16
	flat_load_dwordx2 v[20:21], v[18:19] offset:1536
	v_mov_b32_e32 v86, 0
	v_mov_b32_e32 v85, 0
	s_waitcnt vmcnt(0) lgkmcnt(0)
	v_cmp_ne_u16_sdwa s4, v20, v11 src0_sel:BYTE_0 src1_sel:DWORD
	s_and_saveexec_b32 s16, s4
	s_cbranch_execz .LBB380_1995
; %bb.1988:                             ;   in Loop: Header=BB380_1062 Depth=1
	v_cmp_ne_u16_sdwa s4, v20, v82 src0_sel:BYTE_0 src1_sel:DWORD
	v_bfrev_b32_e32 v85, 1
	s_and_saveexec_b32 s17, s4
	s_cbranch_execz .LBB380_1994
; %bb.1989:                             ;   in Loop: Header=BB380_1062 Depth=1
	v_and_b32_e32 v17, 0x7f, v20
	v_mov_b32_e32 v85, 0x7f800001
	s_mov_b32 s18, exec_lo
	v_cmpx_ne_u32_e32 0x7f, v17
	s_cbranch_execz .LBB380_1993
; %bb.1990:                             ;   in Loop: Header=BB380_1062 Depth=1
	v_mov_b32_e32 v24, v21
	v_lshrrev_b32_e32 v10, 3, v17
	v_mov_b32_e32 v23, v20
	s_mov_b32 s20, exec_lo
	v_cmpx_gt_u32_e32 8, v17
; %bb.1991:                             ;   in Loop: Header=BB380_1062 Depth=1
	v_and_b32_e32 v10, 7, v20
	v_ffbh_u32_e32 v10, v10
	v_min_u32_e32 v10, 32, v10
	v_subrev_nc_u32_e32 v17, 28, v10
	v_sub_nc_u32_e32 v10, 29, v10
	v_lshlrev_b64 v[23:24], v17, v[20:21]
; %bb.1992:                             ;   in Loop: Header=BB380_1062 Depth=1
	s_or_b32 exec_lo, exec_lo, s20
	v_lshlrev_b32_e32 v17, 20, v23
	v_lshlrev_b32_e32 v23, 24, v20
	v_lshl_add_u32 v10, v10, 23, 0x3c000000
	v_and_b32_e32 v17, 0x700000, v17
	v_and_b32_e32 v23, 0x80000000, v23
	v_or3_b32 v85, v17, v23, v10
.LBB380_1993:                           ;   in Loop: Header=BB380_1062 Depth=1
	s_or_b32 exec_lo, exec_lo, s18
.LBB380_1994:                           ;   in Loop: Header=BB380_1062 Depth=1
	s_or_b32 exec_lo, exec_lo, s17
.LBB380_1995:                           ;   in Loop: Header=BB380_1062 Depth=1
	s_or_b32 exec_lo, exec_lo, s16
	v_cmp_ne_u16_sdwa s4, v20, v11 src0_sel:BYTE_1 src1_sel:DWORD
	s_and_saveexec_b32 s16, s4
	s_cbranch_execz .LBB380_2003
; %bb.1996:                             ;   in Loop: Header=BB380_1062 Depth=1
	v_cmp_ne_u16_sdwa s4, v20, v82 src0_sel:BYTE_1 src1_sel:DWORD
	v_bfrev_b32_e32 v86, 1
	s_and_saveexec_b32 s17, s4
	s_cbranch_execz .LBB380_2002
; %bb.1997:                             ;   in Loop: Header=BB380_1062 Depth=1
	v_mov_b32_e32 v10, 0xffff
	v_mov_b32_e32 v86, 0x7f800001
	s_mov_b32 s18, exec_lo
	v_and_b32_sdwa v10, v10, v20 dst_sel:DWORD dst_unused:UNUSED_PAD src0_sel:DWORD src1_sel:BYTE_1
	v_and_b32_e32 v23, 0x7f, v10
	v_cmpx_ne_u32_e32 0x7f, v23
	s_cbranch_execz .LBB380_2001
; %bb.1998:                             ;   in Loop: Header=BB380_1062 Depth=1
	v_and_b32_e32 v10, 7, v10
	v_lshrrev_b32_e32 v17, 3, v23
	v_cmp_gt_u32_e64 s4, 8, v23
	v_mov_b32_e32 v24, v11
	v_mov_b32_e32 v23, v10
	s_and_saveexec_b32 s20, s4
; %bb.1999:                             ;   in Loop: Header=BB380_1062 Depth=1
	v_ffbh_u32_e32 v17, v10
	v_min_u32_e32 v17, 32, v17
	v_subrev_nc_u32_e32 v23, 28, v17
	v_sub_nc_u32_e32 v17, 29, v17
	v_lshlrev_b64 v[23:24], v23, v[10:11]
	v_and_b32_e32 v23, 7, v23
; %bb.2000:                             ;   in Loop: Header=BB380_1062 Depth=1
	s_or_b32 exec_lo, exec_lo, s20
	v_lshlrev_b32_e32 v10, 16, v20
	v_lshlrev_b32_e32 v23, 20, v23
	v_lshl_add_u32 v17, v17, 23, 0x3c000000
	v_and_b32_e32 v10, 0x80000000, v10
	v_or3_b32 v86, v23, v10, v17
.LBB380_2001:                           ;   in Loop: Header=BB380_1062 Depth=1
	s_or_b32 exec_lo, exec_lo, s18
.LBB380_2002:                           ;   in Loop: Header=BB380_1062 Depth=1
	s_or_b32 exec_lo, exec_lo, s17
.LBB380_2003:                           ;   in Loop: Header=BB380_1062 Depth=1
	s_or_b32 exec_lo, exec_lo, s16
	v_and_b32_sdwa v10, v20, v84 dst_sel:DWORD dst_unused:UNUSED_PAD src0_sel:WORD_1 src1_sel:DWORD
	v_mov_b32_e32 v83, 0
	v_mov_b32_e32 v112, 0
	s_mov_b32 s16, exec_lo
	v_cmpx_ne_u16_e32 0, v10
	s_cbranch_execz .LBB380_2011
; %bb.2004:                             ;   in Loop: Header=BB380_1062 Depth=1
	v_bfrev_b32_e32 v112, 1
	s_mov_b32 s17, exec_lo
	v_cmpx_ne_u16_e32 0x80, v10
	s_cbranch_execz .LBB380_2010
; %bb.2005:                             ;   in Loop: Header=BB380_1062 Depth=1
	v_bfe_u32 v23, v20, 16, 7
	v_mov_b32_e32 v112, 0x7f800001
	s_mov_b32 s18, exec_lo
	v_cmpx_ne_u32_e32 0x7f, v23
	s_cbranch_execz .LBB380_2009
; %bb.2006:                             ;   in Loop: Header=BB380_1062 Depth=1
	v_mov_b32_e32 v10, 7
	v_lshrrev_b32_e32 v17, 3, v23
	v_cmp_gt_u32_e64 s4, 8, v23
	v_and_b32_sdwa v10, v20, v10 dst_sel:DWORD dst_unused:UNUSED_PAD src0_sel:WORD_1 src1_sel:DWORD
	v_mov_b32_e32 v24, v11
	v_mov_b32_e32 v23, v10
	s_and_saveexec_b32 s20, s4
; %bb.2007:                             ;   in Loop: Header=BB380_1062 Depth=1
	v_ffbh_u32_e32 v17, v10
	v_min_u32_e32 v17, 32, v17
	v_subrev_nc_u32_e32 v23, 28, v17
	v_sub_nc_u32_e32 v17, 29, v17
	v_lshlrev_b64 v[23:24], v23, v[10:11]
	v_and_b32_e32 v23, 7, v23
; %bb.2008:                             ;   in Loop: Header=BB380_1062 Depth=1
	s_or_b32 exec_lo, exec_lo, s20
	v_mov_b32_e32 v10, 24
	v_lshlrev_b32_e32 v23, 20, v23
	v_lshl_add_u32 v17, v17, 23, 0x3c000000
	v_lshlrev_b32_sdwa v10, v10, v20 dst_sel:DWORD dst_unused:UNUSED_PAD src0_sel:DWORD src1_sel:WORD_1
	v_and_b32_e32 v10, 0x80000000, v10
	v_or3_b32 v112, v23, v10, v17
.LBB380_2009:                           ;   in Loop: Header=BB380_1062 Depth=1
	s_or_b32 exec_lo, exec_lo, s18
.LBB380_2010:                           ;   in Loop: Header=BB380_1062 Depth=1
	s_or_b32 exec_lo, exec_lo, s17
.LBB380_2011:                           ;   in Loop: Header=BB380_1062 Depth=1
	s_or_b32 exec_lo, exec_lo, s16
	s_mov_b32 s16, exec_lo
	v_cmpx_lt_u32_e32 0xffffff, v20
	s_cbranch_execz .LBB380_2019
; %bb.2012:                             ;   in Loop: Header=BB380_1062 Depth=1
	v_cmp_ne_u32_sdwa s4, v20, v82 src0_sel:BYTE_3 src1_sel:DWORD
	v_bfrev_b32_e32 v83, 1
	s_and_saveexec_b32 s17, s4
	s_cbranch_execz .LBB380_2018
; %bb.2013:                             ;   in Loop: Header=BB380_1062 Depth=1
	v_bfe_u32 v23, v20, 24, 7
	v_mov_b32_e32 v83, 0x7f800001
	s_mov_b32 s18, exec_lo
	v_cmpx_ne_u32_e32 0x7f, v23
	s_cbranch_execz .LBB380_2017
; %bb.2014:                             ;   in Loop: Header=BB380_1062 Depth=1
	v_mov_b32_e32 v10, 7
	v_lshrrev_b32_e32 v17, 3, v23
	v_cmp_gt_u32_e64 s4, 8, v23
	v_and_b32_sdwa v10, v20, v10 dst_sel:DWORD dst_unused:UNUSED_PAD src0_sel:BYTE_3 src1_sel:DWORD
	v_mov_b32_e32 v24, v11
	v_mov_b32_e32 v23, v10
	s_and_saveexec_b32 s20, s4
; %bb.2015:                             ;   in Loop: Header=BB380_1062 Depth=1
	v_ffbh_u32_e32 v17, v10
	v_min_u32_e32 v17, 32, v17
	v_subrev_nc_u32_e32 v23, 28, v17
	v_sub_nc_u32_e32 v17, 29, v17
	v_lshlrev_b64 v[23:24], v23, v[10:11]
	v_and_b32_e32 v23, 7, v23
; %bb.2016:                             ;   in Loop: Header=BB380_1062 Depth=1
	s_or_b32 exec_lo, exec_lo, s20
	v_mov_b32_e32 v10, 24
	v_lshlrev_b32_e32 v23, 20, v23
	v_lshl_add_u32 v17, v17, 23, 0x3c000000
	v_lshlrev_b32_sdwa v10, v10, v20 dst_sel:DWORD dst_unused:UNUSED_PAD src0_sel:DWORD src1_sel:BYTE_3
	v_and_b32_e32 v10, 0x80000000, v10
	v_or3_b32 v83, v23, v10, v17
.LBB380_2017:                           ;   in Loop: Header=BB380_1062 Depth=1
	s_or_b32 exec_lo, exec_lo, s18
.LBB380_2018:                           ;   in Loop: Header=BB380_1062 Depth=1
	s_or_b32 exec_lo, exec_lo, s17
.LBB380_2019:                           ;   in Loop: Header=BB380_1062 Depth=1
	s_or_b32 exec_lo, exec_lo, s16
	v_mov_b32_e32 v10, v21
	v_cmp_ne_u16_sdwa s4, v21, v11 src0_sel:BYTE_0 src1_sel:DWORD
	v_mov_b32_e32 v49, 0
	v_mov_b32_e32 v17, 0
	s_and_saveexec_b32 s16, s4
	s_cbranch_execz .LBB380_2027
; %bb.2020:                             ;   in Loop: Header=BB380_1062 Depth=1
	v_cmp_ne_u16_sdwa s4, v21, v82 src0_sel:BYTE_0 src1_sel:DWORD
	v_bfrev_b32_e32 v17, 1
	s_and_saveexec_b32 s17, s4
	s_cbranch_execz .LBB380_2026
; %bb.2021:                             ;   in Loop: Header=BB380_1062 Depth=1
	v_and_b32_e32 v23, 0x7f, v21
	v_mov_b32_e32 v17, 0x7f800001
	s_mov_b32 s18, exec_lo
	v_cmpx_ne_u32_e32 0x7f, v23
	s_cbranch_execz .LBB380_2025
; %bb.2022:                             ;   in Loop: Header=BB380_1062 Depth=1
	v_lshrrev_b32_e32 v17, 3, v23
	v_cmp_gt_u32_e64 s4, 8, v23
	v_mov_b32_e32 v24, v11
	v_mov_b32_e32 v23, v10
	s_and_saveexec_b32 s20, s4
; %bb.2023:                             ;   in Loop: Header=BB380_1062 Depth=1
	v_and_b32_e32 v17, 7, v21
	v_ffbh_u32_e32 v17, v17
	v_min_u32_e32 v17, 32, v17
	v_subrev_nc_u32_e32 v23, 28, v17
	v_sub_nc_u32_e32 v17, 29, v17
	v_lshlrev_b64 v[23:24], v23, v[10:11]
; %bb.2024:                             ;   in Loop: Header=BB380_1062 Depth=1
	s_or_b32 exec_lo, exec_lo, s20
	v_lshlrev_b32_e32 v23, 20, v23
	v_lshlrev_b32_e32 v24, 24, v10
	v_lshl_add_u32 v17, v17, 23, 0x3c000000
	v_and_b32_e32 v23, 0x700000, v23
	v_and_b32_e32 v24, 0x80000000, v24
	v_or3_b32 v17, v23, v24, v17
.LBB380_2025:                           ;   in Loop: Header=BB380_1062 Depth=1
	s_or_b32 exec_lo, exec_lo, s18
.LBB380_2026:                           ;   in Loop: Header=BB380_1062 Depth=1
	s_or_b32 exec_lo, exec_lo, s17
.LBB380_2027:                           ;   in Loop: Header=BB380_1062 Depth=1
	s_or_b32 exec_lo, exec_lo, s16
	v_cmp_ne_u16_sdwa s4, v10, v11 src0_sel:BYTE_1 src1_sel:DWORD
	s_and_saveexec_b32 s16, s4
	s_cbranch_execz .LBB380_2035
; %bb.2028:                             ;   in Loop: Header=BB380_1062 Depth=1
	v_cmp_ne_u16_sdwa s4, v10, v82 src0_sel:BYTE_1 src1_sel:DWORD
	v_bfrev_b32_e32 v49, 1
	s_and_saveexec_b32 s17, s4
	s_cbranch_execz .LBB380_2034
; %bb.2029:                             ;   in Loop: Header=BB380_1062 Depth=1
	v_mov_b32_e32 v23, 0xffff
	v_mov_b32_e32 v49, 0x7f800001
	s_mov_b32 s18, exec_lo
	v_and_b32_sdwa v23, v23, v10 dst_sel:DWORD dst_unused:UNUSED_PAD src0_sel:DWORD src1_sel:BYTE_1
	v_and_b32_e32 v52, 0x7f, v23
	v_cmpx_ne_u32_e32 0x7f, v52
	s_cbranch_execz .LBB380_2033
; %bb.2030:                             ;   in Loop: Header=BB380_1062 Depth=1
	v_and_b32_e32 v23, 7, v23
	v_mov_b32_e32 v24, v11
	v_lshrrev_b32_e32 v49, 3, v52
	s_mov_b32 s20, exec_lo
	v_cmpx_gt_u32_e32 8, v52
; %bb.2031:                             ;   in Loop: Header=BB380_1062 Depth=1
	v_ffbh_u32_e32 v49, v23
	v_min_u32_e32 v49, 32, v49
	v_subrev_nc_u32_e32 v52, 28, v49
	v_sub_nc_u32_e32 v49, 29, v49
	v_lshlrev_b64 v[23:24], v52, v[23:24]
	v_and_b32_e32 v23, 7, v23
; %bb.2032:                             ;   in Loop: Header=BB380_1062 Depth=1
	s_or_b32 exec_lo, exec_lo, s20
	v_lshlrev_b32_e32 v10, 16, v10
	v_lshlrev_b32_e32 v23, 20, v23
	v_lshl_add_u32 v24, v49, 23, 0x3c000000
	v_and_b32_e32 v10, 0x80000000, v10
	v_or3_b32 v49, v23, v10, v24
.LBB380_2033:                           ;   in Loop: Header=BB380_1062 Depth=1
	s_or_b32 exec_lo, exec_lo, s18
.LBB380_2034:                           ;   in Loop: Header=BB380_1062 Depth=1
	s_or_b32 exec_lo, exec_lo, s17
.LBB380_2035:                           ;   in Loop: Header=BB380_1062 Depth=1
	s_or_b32 exec_lo, exec_lo, s16
	v_and_b32_sdwa v10, v21, v84 dst_sel:DWORD dst_unused:UNUSED_PAD src0_sel:WORD_1 src1_sel:DWORD
	v_mov_b32_e32 v62, 0
	v_mov_b32_e32 v63, 0
	s_mov_b32 s16, exec_lo
	v_cmpx_ne_u16_e32 0, v10
	s_cbranch_execz .LBB380_2043
; %bb.2036:                             ;   in Loop: Header=BB380_1062 Depth=1
	v_bfrev_b32_e32 v63, 1
	s_mov_b32 s17, exec_lo
	v_cmpx_ne_u16_e32 0x80, v10
	s_cbranch_execz .LBB380_2042
; %bb.2037:                             ;   in Loop: Header=BB380_1062 Depth=1
	v_bfe_u32 v23, v21, 16, 7
	v_mov_b32_e32 v63, 0x7f800001
	s_mov_b32 s18, exec_lo
	v_cmpx_ne_u32_e32 0x7f, v23
	s_cbranch_execz .LBB380_2041
; %bb.2038:                             ;   in Loop: Header=BB380_1062 Depth=1
	v_mov_b32_e32 v10, 7
	v_lshrrev_b32_e32 v52, 3, v23
	v_cmp_gt_u32_e64 s4, 8, v23
	v_and_b32_sdwa v10, v21, v10 dst_sel:DWORD dst_unused:UNUSED_PAD src0_sel:WORD_1 src1_sel:DWORD
	v_mov_b32_e32 v24, v11
	v_mov_b32_e32 v23, v10
	s_and_saveexec_b32 s20, s4
; %bb.2039:                             ;   in Loop: Header=BB380_1062 Depth=1
	v_ffbh_u32_e32 v23, v10
	v_min_u32_e32 v52, 32, v23
	v_subrev_nc_u32_e32 v23, 28, v52
	v_sub_nc_u32_e32 v52, 29, v52
	v_lshlrev_b64 v[23:24], v23, v[10:11]
	v_and_b32_e32 v23, 7, v23
; %bb.2040:                             ;   in Loop: Header=BB380_1062 Depth=1
	s_or_b32 exec_lo, exec_lo, s20
	v_mov_b32_e32 v10, 24
	v_lshlrev_b32_e32 v23, 20, v23
	v_lshl_add_u32 v24, v52, 23, 0x3c000000
	v_lshlrev_b32_sdwa v10, v10, v21 dst_sel:DWORD dst_unused:UNUSED_PAD src0_sel:DWORD src1_sel:WORD_1
	v_and_b32_e32 v10, 0x80000000, v10
	v_or3_b32 v63, v23, v10, v24
.LBB380_2041:                           ;   in Loop: Header=BB380_1062 Depth=1
	s_or_b32 exec_lo, exec_lo, s18
.LBB380_2042:                           ;   in Loop: Header=BB380_1062 Depth=1
	s_or_b32 exec_lo, exec_lo, s17
.LBB380_2043:                           ;   in Loop: Header=BB380_1062 Depth=1
	s_or_b32 exec_lo, exec_lo, s16
	s_mov_b32 s16, exec_lo
	v_cmpx_lt_u64_e64 s[12:13], v[20:21]
	s_cbranch_execz .LBB380_2051
; %bb.2044:                             ;   in Loop: Header=BB380_1062 Depth=1
	v_cmp_ne_u32_sdwa s4, v21, v82 src0_sel:BYTE_3 src1_sel:DWORD
	v_bfrev_b32_e32 v62, 1
	s_and_saveexec_b32 s17, s4
	s_cbranch_execz .LBB380_2050
; %bb.2045:                             ;   in Loop: Header=BB380_1062 Depth=1
	v_bfe_u32 v23, v21, 24, 7
	v_mov_b32_e32 v62, 0x7f800001
	s_mov_b32 s18, exec_lo
	v_cmpx_ne_u32_e32 0x7f, v23
	s_cbranch_execz .LBB380_2049
; %bb.2046:                             ;   in Loop: Header=BB380_1062 Depth=1
	v_mov_b32_e32 v10, 7
	v_lshrrev_b32_e32 v20, 3, v23
	v_cmp_gt_u32_e64 s4, 8, v23
	v_and_b32_sdwa v10, v21, v10 dst_sel:DWORD dst_unused:UNUSED_PAD src0_sel:BYTE_3 src1_sel:DWORD
	v_mov_b32_e32 v24, v11
	v_mov_b32_e32 v23, v10
	s_and_saveexec_b32 s20, s4
; %bb.2047:                             ;   in Loop: Header=BB380_1062 Depth=1
	v_ffbh_u32_e32 v20, v10
	v_min_u32_e32 v20, 32, v20
	v_subrev_nc_u32_e32 v23, 28, v20
	v_sub_nc_u32_e32 v20, 29, v20
	v_lshlrev_b64 v[23:24], v23, v[10:11]
	v_and_b32_e32 v23, 7, v23
; %bb.2048:                             ;   in Loop: Header=BB380_1062 Depth=1
	s_or_b32 exec_lo, exec_lo, s20
	v_mov_b32_e32 v10, 24
	v_lshl_add_u32 v20, v20, 23, 0x3c000000
	v_lshlrev_b32_sdwa v10, v10, v21 dst_sel:DWORD dst_unused:UNUSED_PAD src0_sel:DWORD src1_sel:BYTE_3
	v_lshlrev_b32_e32 v21, 20, v23
	v_and_b32_e32 v10, 0x80000000, v10
	v_or3_b32 v62, v21, v10, v20
.LBB380_2049:                           ;   in Loop: Header=BB380_1062 Depth=1
	s_or_b32 exec_lo, exec_lo, s18
.LBB380_2050:                           ;   in Loop: Header=BB380_1062 Depth=1
	s_or_b32 exec_lo, exec_lo, s17
.LBB380_2051:                           ;   in Loop: Header=BB380_1062 Depth=1
	s_or_b32 exec_lo, exec_lo, s16
	v_mul_f32_e32 v10, v58, v49
	v_bfe_u32 v20, v10, 16, 1
	v_or_b32_e32 v21, 0x400000, v10
	v_cmp_u_f32_e64 s4, v10, v10
	v_add3_u32 v20, v20, v10, 0x7fff
	v_cndmask_b32_e64 v10, v20, v21, s4
	v_lshrrev_b32_e32 v57, 16, v10
	v_mul_f32_e32 v10, v58, v17
	v_bfe_u32 v17, v10, 16, 1
	v_or_b32_e32 v20, 0x400000, v10
	v_cmp_u_f32_e64 s4, v10, v10
	v_add3_u32 v17, v17, v10, 0x7fff
	v_cndmask_b32_e64 v10, v17, v20, s4
	v_lshrrev_b32_e32 v59, 16, v10
	;; [unrolled: 7-line block ×8, first 2 shown]
	s_and_saveexec_b32 s16, vcc_lo
	s_cbranch_execz .LBB380_2053
; %bb.2052:                             ;   in Loop: Header=BB380_1062 Depth=1
	v_cmp_lt_i32_e64 s4, v75, v38
	v_cndmask_b32_e64 v61, 0, v61, s4
	v_cmp_lt_i32_e64 s4, v90, v38
	v_cndmask_b32_e64 v86, 0, v86, s4
	;; [unrolled: 2-line block ×8, first 2 shown]
.LBB380_2053:                           ;   in Loop: Header=BB380_1062 Depth=1
	s_or_b32 exec_lo, exec_lo, s16
	flat_load_dwordx2 v[18:19], v[18:19] offset:1792
	v_mov_b32_e32 v24, 0
	v_mov_b32_e32 v23, 0
	s_waitcnt vmcnt(0) lgkmcnt(0)
	v_cmp_ne_u16_sdwa s4, v18, v11 src0_sel:BYTE_0 src1_sel:DWORD
	s_and_saveexec_b32 s16, s4
	s_cbranch_execz .LBB380_2061
; %bb.2054:                             ;   in Loop: Header=BB380_1062 Depth=1
	v_cmp_ne_u16_sdwa s4, v18, v82 src0_sel:BYTE_0 src1_sel:DWORD
	v_bfrev_b32_e32 v23, 1
	s_and_saveexec_b32 s17, s4
	s_cbranch_execz .LBB380_2060
; %bb.2055:                             ;   in Loop: Header=BB380_1062 Depth=1
	v_and_b32_e32 v17, 0x7f, v18
	v_mov_b32_e32 v23, 0x7f800001
	s_mov_b32 s18, exec_lo
	v_cmpx_ne_u32_e32 0x7f, v17
	s_cbranch_execz .LBB380_2059
; %bb.2056:                             ;   in Loop: Header=BB380_1062 Depth=1
	v_mov_b32_e32 v21, v19
	v_lshrrev_b32_e32 v10, 3, v17
	v_mov_b32_e32 v20, v18
	s_mov_b32 s20, exec_lo
	v_cmpx_gt_u32_e32 8, v17
; %bb.2057:                             ;   in Loop: Header=BB380_1062 Depth=1
	v_and_b32_e32 v10, 7, v18
	v_ffbh_u32_e32 v10, v10
	v_min_u32_e32 v10, 32, v10
	v_subrev_nc_u32_e32 v17, 28, v10
	v_sub_nc_u32_e32 v10, 29, v10
	v_lshlrev_b64 v[20:21], v17, v[18:19]
; %bb.2058:                             ;   in Loop: Header=BB380_1062 Depth=1
	s_or_b32 exec_lo, exec_lo, s20
	v_lshlrev_b32_e32 v17, 20, v20
	v_lshlrev_b32_e32 v20, 24, v18
	v_lshl_add_u32 v10, v10, 23, 0x3c000000
	v_and_b32_e32 v17, 0x700000, v17
	v_and_b32_e32 v20, 0x80000000, v20
	v_or3_b32 v23, v17, v20, v10
.LBB380_2059:                           ;   in Loop: Header=BB380_1062 Depth=1
	s_or_b32 exec_lo, exec_lo, s18
.LBB380_2060:                           ;   in Loop: Header=BB380_1062 Depth=1
	s_or_b32 exec_lo, exec_lo, s17
.LBB380_2061:                           ;   in Loop: Header=BB380_1062 Depth=1
	s_or_b32 exec_lo, exec_lo, s16
	v_cmp_ne_u16_sdwa s4, v18, v11 src0_sel:BYTE_1 src1_sel:DWORD
	s_and_saveexec_b32 s16, s4
	s_cbranch_execz .LBB380_2069
; %bb.2062:                             ;   in Loop: Header=BB380_1062 Depth=1
	v_cmp_ne_u16_sdwa s4, v18, v82 src0_sel:BYTE_1 src1_sel:DWORD
	v_bfrev_b32_e32 v24, 1
	s_and_saveexec_b32 s17, s4
	s_cbranch_execz .LBB380_2068
; %bb.2063:                             ;   in Loop: Header=BB380_1062 Depth=1
	v_mov_b32_e32 v10, 0xffff
	v_mov_b32_e32 v24, 0x7f800001
	s_mov_b32 s18, exec_lo
	v_and_b32_sdwa v10, v10, v18 dst_sel:DWORD dst_unused:UNUSED_PAD src0_sel:DWORD src1_sel:BYTE_1
	v_and_b32_e32 v49, 0x7f, v10
	v_cmpx_ne_u32_e32 0x7f, v49
	s_cbranch_execz .LBB380_2067
; %bb.2064:                             ;   in Loop: Header=BB380_1062 Depth=1
	v_and_b32_e32 v10, 7, v10
	v_mov_b32_e32 v21, v11
	v_lshrrev_b32_e32 v17, 3, v49
	s_mov_b32 s20, exec_lo
	v_mov_b32_e32 v20, v10
	v_cmpx_gt_u32_e32 8, v49
; %bb.2065:                             ;   in Loop: Header=BB380_1062 Depth=1
	v_ffbh_u32_e32 v17, v10
	v_min_u32_e32 v17, 32, v17
	v_subrev_nc_u32_e32 v20, 28, v17
	v_sub_nc_u32_e32 v17, 29, v17
	v_lshlrev_b64 v[20:21], v20, v[10:11]
	v_and_b32_e32 v20, 7, v20
; %bb.2066:                             ;   in Loop: Header=BB380_1062 Depth=1
	s_or_b32 exec_lo, exec_lo, s20
	v_lshlrev_b32_e32 v10, 16, v18
	v_lshlrev_b32_e32 v20, 20, v20
	v_lshl_add_u32 v17, v17, 23, 0x3c000000
	v_and_b32_e32 v10, 0x80000000, v10
	v_or3_b32 v24, v20, v10, v17
.LBB380_2067:                           ;   in Loop: Header=BB380_1062 Depth=1
	s_or_b32 exec_lo, exec_lo, s18
.LBB380_2068:                           ;   in Loop: Header=BB380_1062 Depth=1
	s_or_b32 exec_lo, exec_lo, s17
.LBB380_2069:                           ;   in Loop: Header=BB380_1062 Depth=1
	s_or_b32 exec_lo, exec_lo, s16
	v_and_b32_sdwa v10, v18, v84 dst_sel:DWORD dst_unused:UNUSED_PAD src0_sel:WORD_1 src1_sel:DWORD
	v_mov_b32_e32 v63, 0
	v_mov_b32_e32 v112, 0
	s_mov_b32 s16, exec_lo
	v_cmpx_ne_u16_e32 0, v10
	s_cbranch_execz .LBB380_2077
; %bb.2070:                             ;   in Loop: Header=BB380_1062 Depth=1
	v_bfrev_b32_e32 v112, 1
	s_mov_b32 s17, exec_lo
	v_cmpx_ne_u16_e32 0x80, v10
	s_cbranch_execz .LBB380_2076
; %bb.2071:                             ;   in Loop: Header=BB380_1062 Depth=1
	v_bfe_u32 v49, v18, 16, 7
	v_mov_b32_e32 v112, 0x7f800001
	s_mov_b32 s18, exec_lo
	v_cmpx_ne_u32_e32 0x7f, v49
	s_cbranch_execz .LBB380_2075
; %bb.2072:                             ;   in Loop: Header=BB380_1062 Depth=1
	v_mov_b32_e32 v10, 7
	v_lshrrev_b32_e32 v17, 3, v49
	s_mov_b32 s20, exec_lo
	v_and_b32_sdwa v10, v18, v10 dst_sel:DWORD dst_unused:UNUSED_PAD src0_sel:WORD_1 src1_sel:DWORD
	v_mov_b32_e32 v21, v11
	v_mov_b32_e32 v20, v10
	v_cmpx_gt_u32_e32 8, v49
; %bb.2073:                             ;   in Loop: Header=BB380_1062 Depth=1
	v_ffbh_u32_e32 v17, v10
	v_min_u32_e32 v17, 32, v17
	v_subrev_nc_u32_e32 v20, 28, v17
	v_sub_nc_u32_e32 v17, 29, v17
	v_lshlrev_b64 v[20:21], v20, v[10:11]
	v_and_b32_e32 v20, 7, v20
; %bb.2074:                             ;   in Loop: Header=BB380_1062 Depth=1
	s_or_b32 exec_lo, exec_lo, s20
	v_mov_b32_e32 v10, 24
	v_lshlrev_b32_e32 v20, 20, v20
	v_lshl_add_u32 v17, v17, 23, 0x3c000000
	v_lshlrev_b32_sdwa v10, v10, v18 dst_sel:DWORD dst_unused:UNUSED_PAD src0_sel:DWORD src1_sel:WORD_1
	v_and_b32_e32 v10, 0x80000000, v10
	v_or3_b32 v112, v20, v10, v17
.LBB380_2075:                           ;   in Loop: Header=BB380_1062 Depth=1
	s_or_b32 exec_lo, exec_lo, s18
.LBB380_2076:                           ;   in Loop: Header=BB380_1062 Depth=1
	s_or_b32 exec_lo, exec_lo, s17
.LBB380_2077:                           ;   in Loop: Header=BB380_1062 Depth=1
	s_or_b32 exec_lo, exec_lo, s16
	s_mov_b32 s16, exec_lo
	v_cmpx_lt_u32_e32 0xffffff, v18
	s_cbranch_execz .LBB380_2085
; %bb.2078:                             ;   in Loop: Header=BB380_1062 Depth=1
	v_cmp_ne_u32_sdwa s4, v18, v82 src0_sel:BYTE_3 src1_sel:DWORD
	v_bfrev_b32_e32 v63, 1
	s_and_saveexec_b32 s17, s4
	s_cbranch_execz .LBB380_2084
; %bb.2079:                             ;   in Loop: Header=BB380_1062 Depth=1
	v_bfe_u32 v49, v18, 24, 7
	v_mov_b32_e32 v63, 0x7f800001
	s_mov_b32 s18, exec_lo
	v_cmpx_ne_u32_e32 0x7f, v49
	s_cbranch_execz .LBB380_2083
; %bb.2080:                             ;   in Loop: Header=BB380_1062 Depth=1
	v_mov_b32_e32 v10, 7
	v_lshrrev_b32_e32 v17, 3, v49
	s_mov_b32 s20, exec_lo
	v_and_b32_sdwa v10, v18, v10 dst_sel:DWORD dst_unused:UNUSED_PAD src0_sel:BYTE_3 src1_sel:DWORD
	v_mov_b32_e32 v21, v11
	v_mov_b32_e32 v20, v10
	v_cmpx_gt_u32_e32 8, v49
; %bb.2081:                             ;   in Loop: Header=BB380_1062 Depth=1
	v_ffbh_u32_e32 v17, v10
	v_min_u32_e32 v17, 32, v17
	v_subrev_nc_u32_e32 v20, 28, v17
	v_sub_nc_u32_e32 v17, 29, v17
	v_lshlrev_b64 v[20:21], v20, v[10:11]
	v_and_b32_e32 v20, 7, v20
; %bb.2082:                             ;   in Loop: Header=BB380_1062 Depth=1
	s_or_b32 exec_lo, exec_lo, s20
	v_mov_b32_e32 v10, 24
	v_lshlrev_b32_e32 v20, 20, v20
	v_lshl_add_u32 v17, v17, 23, 0x3c000000
	v_lshlrev_b32_sdwa v10, v10, v18 dst_sel:DWORD dst_unused:UNUSED_PAD src0_sel:DWORD src1_sel:BYTE_3
	v_and_b32_e32 v10, 0x80000000, v10
	v_or3_b32 v63, v20, v10, v17
.LBB380_2083:                           ;   in Loop: Header=BB380_1062 Depth=1
	s_or_b32 exec_lo, exec_lo, s18
.LBB380_2084:                           ;   in Loop: Header=BB380_1062 Depth=1
	s_or_b32 exec_lo, exec_lo, s17
.LBB380_2085:                           ;   in Loop: Header=BB380_1062 Depth=1
	s_or_b32 exec_lo, exec_lo, s16
	v_mov_b32_e32 v10, v19
	v_cmp_ne_u16_sdwa s4, v19, v11 src0_sel:BYTE_0 src1_sel:DWORD
	v_mov_b32_e32 v17, 0
	v_mov_b32_e32 v74, 0
	s_and_saveexec_b32 s16, s4
	s_cbranch_execz .LBB380_2093
; %bb.2086:                             ;   in Loop: Header=BB380_1062 Depth=1
	v_cmp_ne_u16_sdwa s4, v19, v82 src0_sel:BYTE_0 src1_sel:DWORD
	v_bfrev_b32_e32 v74, 1
	s_and_saveexec_b32 s17, s4
	s_cbranch_execz .LBB380_2092
; %bb.2087:                             ;   in Loop: Header=BB380_1062 Depth=1
	v_and_b32_e32 v49, 0x7f, v19
	v_mov_b32_e32 v74, 0x7f800001
	s_mov_b32 s18, exec_lo
	v_cmpx_ne_u32_e32 0x7f, v49
	s_cbranch_execz .LBB380_2091
; %bb.2088:                             ;   in Loop: Header=BB380_1062 Depth=1
	v_mov_b32_e32 v21, v11
	v_mov_b32_e32 v20, v10
	v_lshrrev_b32_e32 v21, 3, v49
	s_mov_b32 s20, exec_lo
	v_cmpx_gt_u32_e32 8, v49
; %bb.2089:                             ;   in Loop: Header=BB380_1062 Depth=1
	v_and_b32_e32 v20, 7, v19
	v_ffbh_u32_e32 v20, v20
	v_min_u32_e32 v49, 32, v20
	v_subrev_nc_u32_e32 v20, 28, v49
	v_lshlrev_b64 v[20:21], v20, v[10:11]
	v_sub_nc_u32_e32 v21, 29, v49
; %bb.2090:                             ;   in Loop: Header=BB380_1062 Depth=1
	s_or_b32 exec_lo, exec_lo, s20
	v_lshlrev_b32_e32 v20, 20, v20
	v_lshlrev_b32_e32 v49, 24, v10
	v_lshl_add_u32 v21, v21, 23, 0x3c000000
	v_and_b32_e32 v20, 0x700000, v20
	v_and_b32_e32 v49, 0x80000000, v49
	v_or3_b32 v74, v20, v49, v21
.LBB380_2091:                           ;   in Loop: Header=BB380_1062 Depth=1
	s_or_b32 exec_lo, exec_lo, s18
.LBB380_2092:                           ;   in Loop: Header=BB380_1062 Depth=1
	s_or_b32 exec_lo, exec_lo, s17
.LBB380_2093:                           ;   in Loop: Header=BB380_1062 Depth=1
	s_or_b32 exec_lo, exec_lo, s16
	v_cmp_ne_u16_sdwa s4, v10, v11 src0_sel:BYTE_1 src1_sel:DWORD
	s_and_saveexec_b32 s16, s4
	s_cbranch_execz .LBB380_2101
; %bb.2094:                             ;   in Loop: Header=BB380_1062 Depth=1
	v_cmp_ne_u16_sdwa s4, v10, v82 src0_sel:BYTE_1 src1_sel:DWORD
	v_bfrev_b32_e32 v17, 1
	s_and_saveexec_b32 s17, s4
	s_cbranch_execz .LBB380_2100
; %bb.2095:                             ;   in Loop: Header=BB380_1062 Depth=1
	v_mov_b32_e32 v17, 0xffff
	s_mov_b32 s18, exec_lo
	v_and_b32_sdwa v20, v17, v10 dst_sel:DWORD dst_unused:UNUSED_PAD src0_sel:DWORD src1_sel:BYTE_1
	v_mov_b32_e32 v17, 0x7f800001
	v_and_b32_e32 v49, 0x7f, v20
	v_cmpx_ne_u32_e32 0x7f, v49
	s_cbranch_execz .LBB380_2099
; %bb.2096:                             ;   in Loop: Header=BB380_1062 Depth=1
	v_and_b32_e32 v20, 7, v20
	v_mov_b32_e32 v21, v11
	v_lshrrev_b32_e32 v17, 3, v49
	s_mov_b32 s20, exec_lo
	v_cmpx_gt_u32_e32 8, v49
; %bb.2097:                             ;   in Loop: Header=BB380_1062 Depth=1
	v_ffbh_u32_e32 v17, v20
	v_min_u32_e32 v17, 32, v17
	v_subrev_nc_u32_e32 v49, 28, v17
	v_sub_nc_u32_e32 v17, 29, v17
	v_lshlrev_b64 v[20:21], v49, v[20:21]
	v_and_b32_e32 v20, 7, v20
; %bb.2098:                             ;   in Loop: Header=BB380_1062 Depth=1
	s_or_b32 exec_lo, exec_lo, s20
	v_lshlrev_b32_e32 v10, 16, v10
	v_lshlrev_b32_e32 v20, 20, v20
	v_lshl_add_u32 v17, v17, 23, 0x3c000000
	v_and_b32_e32 v10, 0x80000000, v10
	v_or3_b32 v17, v20, v10, v17
.LBB380_2099:                           ;   in Loop: Header=BB380_1062 Depth=1
	s_or_b32 exec_lo, exec_lo, s18
.LBB380_2100:                           ;   in Loop: Header=BB380_1062 Depth=1
	s_or_b32 exec_lo, exec_lo, s17
.LBB380_2101:                           ;   in Loop: Header=BB380_1062 Depth=1
	s_or_b32 exec_lo, exec_lo, s16
	v_and_b32_sdwa v10, v19, v84 dst_sel:DWORD dst_unused:UNUSED_PAD src0_sel:WORD_1 src1_sel:DWORD
	v_mov_b32_e32 v72, 0
	v_mov_b32_e32 v73, 0
	s_mov_b32 s16, exec_lo
	v_cmpx_ne_u16_e32 0, v10
	s_cbranch_execz .LBB380_2109
; %bb.2102:                             ;   in Loop: Header=BB380_1062 Depth=1
	v_bfrev_b32_e32 v73, 1
	s_mov_b32 s17, exec_lo
	v_cmpx_ne_u16_e32 0x80, v10
	s_cbranch_execz .LBB380_2108
; %bb.2103:                             ;   in Loop: Header=BB380_1062 Depth=1
	v_bfe_u32 v49, v19, 16, 7
	v_mov_b32_e32 v73, 0x7f800001
	s_mov_b32 s18, exec_lo
	v_cmpx_ne_u32_e32 0x7f, v49
	s_cbranch_execz .LBB380_2107
; %bb.2104:                             ;   in Loop: Header=BB380_1062 Depth=1
	v_mov_b32_e32 v10, 7
	s_mov_b32 s20, exec_lo
	v_and_b32_sdwa v10, v19, v10 dst_sel:DWORD dst_unused:UNUSED_PAD src0_sel:WORD_1 src1_sel:DWORD
	v_mov_b32_e32 v21, v11
	v_lshrrev_b32_e32 v21, 3, v49
	v_mov_b32_e32 v20, v10
	v_cmpx_gt_u32_e32 8, v49
; %bb.2105:                             ;   in Loop: Header=BB380_1062 Depth=1
	v_ffbh_u32_e32 v20, v10
	v_min_u32_e32 v49, 32, v20
	v_subrev_nc_u32_e32 v20, 28, v49
	v_lshlrev_b64 v[20:21], v20, v[10:11]
	v_sub_nc_u32_e32 v21, 29, v49
	v_and_b32_e32 v20, 7, v20
; %bb.2106:                             ;   in Loop: Header=BB380_1062 Depth=1
	s_or_b32 exec_lo, exec_lo, s20
	v_mov_b32_e32 v10, 24
	v_lshlrev_b32_e32 v20, 20, v20
	v_lshl_add_u32 v21, v21, 23, 0x3c000000
	v_lshlrev_b32_sdwa v10, v10, v19 dst_sel:DWORD dst_unused:UNUSED_PAD src0_sel:DWORD src1_sel:WORD_1
	v_and_b32_e32 v10, 0x80000000, v10
	v_or3_b32 v73, v20, v10, v21
.LBB380_2107:                           ;   in Loop: Header=BB380_1062 Depth=1
	s_or_b32 exec_lo, exec_lo, s18
.LBB380_2108:                           ;   in Loop: Header=BB380_1062 Depth=1
	s_or_b32 exec_lo, exec_lo, s17
.LBB380_2109:                           ;   in Loop: Header=BB380_1062 Depth=1
	s_or_b32 exec_lo, exec_lo, s16
	s_mov_b32 s16, exec_lo
	v_cmpx_lt_u64_e64 s[12:13], v[18:19]
	s_cbranch_execz .LBB380_2117
; %bb.2110:                             ;   in Loop: Header=BB380_1062 Depth=1
	v_cmp_ne_u32_sdwa s4, v19, v82 src0_sel:BYTE_3 src1_sel:DWORD
	v_bfrev_b32_e32 v72, 1
	s_and_saveexec_b32 s17, s4
	s_cbranch_execz .LBB380_2116
; %bb.2111:                             ;   in Loop: Header=BB380_1062 Depth=1
	v_bfe_u32 v49, v19, 24, 7
	v_mov_b32_e32 v72, 0x7f800001
	s_mov_b32 s18, exec_lo
	v_cmpx_ne_u32_e32 0x7f, v49
	s_cbranch_execz .LBB380_2115
; %bb.2112:                             ;   in Loop: Header=BB380_1062 Depth=1
	v_mov_b32_e32 v10, 7
	v_lshrrev_b32_e32 v18, 3, v49
	s_mov_b32 s20, exec_lo
	v_and_b32_sdwa v10, v19, v10 dst_sel:DWORD dst_unused:UNUSED_PAD src0_sel:BYTE_3 src1_sel:DWORD
	v_mov_b32_e32 v21, v11
	v_mov_b32_e32 v20, v10
	v_cmpx_gt_u32_e32 8, v49
; %bb.2113:                             ;   in Loop: Header=BB380_1062 Depth=1
	v_ffbh_u32_e32 v18, v10
	v_min_u32_e32 v18, 32, v18
	v_subrev_nc_u32_e32 v20, 28, v18
	v_sub_nc_u32_e32 v18, 29, v18
	v_lshlrev_b64 v[20:21], v20, v[10:11]
	v_and_b32_e32 v20, 7, v20
; %bb.2114:                             ;   in Loop: Header=BB380_1062 Depth=1
	s_or_b32 exec_lo, exec_lo, s20
	v_mov_b32_e32 v10, 24
	v_lshl_add_u32 v18, v18, 23, 0x3c000000
	v_lshlrev_b32_sdwa v10, v10, v19 dst_sel:DWORD dst_unused:UNUSED_PAD src0_sel:DWORD src1_sel:BYTE_3
	v_lshlrev_b32_e32 v19, 20, v20
	v_and_b32_e32 v10, 0x80000000, v10
	v_or3_b32 v72, v19, v10, v18
.LBB380_2115:                           ;   in Loop: Header=BB380_1062 Depth=1
	s_or_b32 exec_lo, exec_lo, s18
.LBB380_2116:                           ;   in Loop: Header=BB380_1062 Depth=1
	s_or_b32 exec_lo, exec_lo, s17
.LBB380_2117:                           ;   in Loop: Header=BB380_1062 Depth=1
	s_or_b32 exec_lo, exec_lo, s16
	v_mul_f32_e32 v10, v58, v17
	v_bfe_u32 v17, v10, 16, 1
	v_or_b32_e32 v18, 0x400000, v10
	v_cmp_u_f32_e64 s4, v10, v10
	v_add3_u32 v17, v17, v10, 0x7fff
	v_cndmask_b32_e64 v10, v17, v18, s4
	v_mul_f32_e32 v17, v58, v74
	v_lshrrev_b32_e32 v10, 16, v10
	v_bfe_u32 v18, v17, 16, 1
	v_or_b32_e32 v19, 0x400000, v17
	v_cmp_u_f32_e64 s4, v17, v17
	v_add3_u32 v18, v18, v17, 0x7fff
	v_cndmask_b32_e64 v17, v18, v19, s4
	v_lshrrev_b32_e32 v18, 16, v17
	v_mul_f32_e32 v17, v58, v63
	v_bfe_u32 v19, v17, 16, 1
	v_or_b32_e32 v20, 0x400000, v17
	v_cmp_u_f32_e64 s4, v17, v17
	v_add3_u32 v19, v19, v17, 0x7fff
	v_cndmask_b32_e64 v17, v19, v20, s4
	v_lshrrev_b32_e32 v19, 16, v17
	v_mul_f32_e32 v17, v58, v112
	;; [unrolled: 7-line block ×6, first 2 shown]
	v_bfe_u32 v23, v17, 16, 1
	v_or_b32_e32 v49, 0x400000, v17
	v_cmp_u_f32_e64 s4, v17, v17
	v_add3_u32 v23, v23, v17, 0x7fff
	v_cndmask_b32_e64 v17, v23, v49, s4
	v_lshrrev_b32_e32 v23, 16, v17
	s_and_saveexec_b32 s4, vcc_lo
	s_cbranch_execz .LBB380_1060
; %bb.2118:                             ;   in Loop: Header=BB380_1062 Depth=1
	v_cmp_lt_i32_e32 vcc_lo, v75, v38
	v_cndmask_b32_e32 v112, 0, v112, vcc_lo
	v_cmp_lt_i32_e32 vcc_lo, v90, v38
	v_cndmask_b32_e32 v24, 0, v24, vcc_lo
	;; [unrolled: 2-line block ×8, first 2 shown]
	s_branch .LBB380_1060
.LBB380_2119:
	s_or_b32 exec_lo, exec_lo, s11
	s_clause 0x2
	buffer_load_dword v39, off, s[0:3], s32 offset:476
	buffer_load_dword v17, off, s[0:3], s32 offset:480
	;; [unrolled: 1-line block ×3, first 2 shown]
.LBB380_2120:
	s_or_b32 exec_lo, exec_lo, s7
	s_waitcnt vmcnt(1)
	ds_bpermute_b32 v0, v17, v16
	ds_bpermute_b32 v2, v17, v37
	;; [unrolled: 1-line block ×5, first 2 shown]
	s_waitcnt vmcnt(0) lgkmcnt(0)
	s_waitcnt_vscnt null, 0x0
	s_barrier
	buffer_gl0_inv
	ds_bpermute_b32 v1, v17, v49
	ds_bpermute_b32 v3, v17, v35
	;; [unrolled: 1-line block ×11, first 2 shown]
	s_load_dword s4, s[8:9], 0x0
	v_add_f32_e32 v0, v16, v0
	v_add_f32_e32 v2, v37, v2
	;; [unrolled: 1-line block ×5, first 2 shown]
	ds_bpermute_b32 v16, v39, v0
	ds_bpermute_b32 v18, v39, v2
	;; [unrolled: 1-line block ×3, first 2 shown]
	s_waitcnt lgkmcnt(0)
	v_add_f32_e32 v1, v49, v1
	v_add_f32_e32 v3, v35, v3
	v_add_f32_e32 v4, v32, v4
	v_add_f32_e32 v6, v29, v6
	v_add_f32_e32 v7, v28, v7
	ds_bpermute_b32 v17, v39, v1
	v_add_f32_e32 v22, v34, v8
	v_add_f32_e32 v23, v36, v9
	;; [unrolled: 1-line block ×6, first 2 shown]
	ds_bpermute_b32 v19, v39, v3
	ds_bpermute_b32 v20, v39, v4
	;; [unrolled: 1-line block ×5, first 2 shown]
	v_add_f32_e32 v15, v0, v16
	buffer_load_dword v16, off, s[0:3], s32 offset:444 ; 4-byte Folded Reload
	v_add_f32_e32 v13, v2, v18
	s_clause 0x1
	buffer_load_dword v2, off, s[0:3], s32 offset:448
	buffer_load_dword v18, off, s[0:3], s32 offset:924
	ds_bpermute_b32 v26, v39, v22
	ds_bpermute_b32 v27, v39, v23
	;; [unrolled: 1-line block ×7, first 2 shown]
	s_waitcnt lgkmcnt(12)
	v_add_f32_e32 v14, v1, v17
	s_mov_b32 s7, exec_lo
	s_waitcnt lgkmcnt(11)
	v_add_f32_e32 v12, v3, v19
	s_waitcnt lgkmcnt(10)
	v_add_f32_e32 v11, v4, v20
	;; [unrolled: 2-line block ×12, first 2 shown]
	s_waitcnt vmcnt(2)
	v_and_b32_e32 v17, 28, v16
	v_lshrrev_b32_e32 v16, 2, v16
	s_waitcnt vmcnt(1)
	v_and_b32_e32 v19, 0x3c3, v2
	v_add_f32_e32 v2, v33, v38
	s_waitcnt vmcnt(0)
	v_lshlrev_b32_e32 v18, 9, v18
	v_add_nc_u32_e32 v17, s4, v17
	v_cmpx_eq_u32_e32 64, v19
	s_cbranch_execz .LBB380_2122
; %bb.2121:
	v_add_nc_u32_e32 v19, v17, v18
	v_add_nc_u32_e32 v20, 0xfffffc00, v19
	;; [unrolled: 1-line block ×7, first 2 shown]
	ds_write_b32 v20, v15
	ds_write_b32 v21, v14
	;; [unrolled: 1-line block ×6, first 2 shown]
	v_add_nc_u32_e32 v20, 0xfffffcc0, v19
	v_add_nc_u32_e32 v21, 0xfffffce0, v19
	;; [unrolled: 1-line block ×5, first 2 shown]
	ds_write_b32 v20, v9
	ds_write_b32 v21, v8
	;; [unrolled: 1-line block ×5, first 2 shown]
	v_add_nc_u32_e32 v20, 0xfffffd60, v19
	v_add_nc_u32_e32 v21, 0xfffffd80, v19
	;; [unrolled: 1-line block ×5, first 2 shown]
	ds_write_b32 v20, v4
	ds_write_b32 v21, v3
	;; [unrolled: 1-line block ×5, first 2 shown]
.LBB380_2122:
	s_or_b32 exec_lo, exec_lo, s7
	v_lshlrev_b32_e32 v16, 2, v16
	s_mov_b32 s7, exec_lo
	v_cmp_eq_u32_e32 vcc_lo, 0, v48
	v_add3_u32 v16, s4, v18, v16
	buffer_load_dword v18, off, s[0:3], s32 offset:448 ; 4-byte Folded Reload
	s_waitcnt vmcnt(0) lgkmcnt(0)
	s_barrier
	buffer_gl0_inv
	v_cmpx_gt_u32_e32 64, v18
	s_cbranch_execz .LBB380_2141
; %bb.2123:
	s_and_saveexec_b32 s4, vcc_lo
	s_cbranch_execnz .LBB380_2165
; %bb.2124:
	s_or_b32 exec_lo, exec_lo, s4
	s_and_saveexec_b32 s4, vcc_lo
	s_cbranch_execnz .LBB380_2166
.LBB380_2125:
	s_or_b32 exec_lo, exec_lo, s4
	s_and_saveexec_b32 s4, vcc_lo
	s_cbranch_execnz .LBB380_2167
.LBB380_2126:
	s_or_b32 exec_lo, exec_lo, s4
	s_and_saveexec_b32 s4, vcc_lo
	s_cbranch_execnz .LBB380_2168
.LBB380_2127:
	s_or_b32 exec_lo, exec_lo, s4
	s_and_saveexec_b32 s4, vcc_lo
	s_cbranch_execnz .LBB380_2169
.LBB380_2128:
	s_or_b32 exec_lo, exec_lo, s4
	s_and_saveexec_b32 s4, vcc_lo
	s_cbranch_execnz .LBB380_2170
.LBB380_2129:
	s_or_b32 exec_lo, exec_lo, s4
	s_and_saveexec_b32 s4, vcc_lo
	s_cbranch_execnz .LBB380_2171
.LBB380_2130:
	s_or_b32 exec_lo, exec_lo, s4
	s_and_saveexec_b32 s4, vcc_lo
	s_cbranch_execnz .LBB380_2172
.LBB380_2131:
	s_or_b32 exec_lo, exec_lo, s4
	s_and_saveexec_b32 s4, vcc_lo
	s_cbranch_execnz .LBB380_2173
.LBB380_2132:
	s_or_b32 exec_lo, exec_lo, s4
	s_and_saveexec_b32 s4, vcc_lo
	s_cbranch_execnz .LBB380_2174
.LBB380_2133:
	s_or_b32 exec_lo, exec_lo, s4
	s_and_saveexec_b32 s4, vcc_lo
	s_cbranch_execnz .LBB380_2175
.LBB380_2134:
	s_or_b32 exec_lo, exec_lo, s4
	s_and_saveexec_b32 s4, vcc_lo
	s_cbranch_execnz .LBB380_2176
.LBB380_2135:
	s_or_b32 exec_lo, exec_lo, s4
	s_and_saveexec_b32 s4, vcc_lo
	s_cbranch_execnz .LBB380_2177
.LBB380_2136:
	s_or_b32 exec_lo, exec_lo, s4
	s_and_saveexec_b32 s4, vcc_lo
	s_cbranch_execnz .LBB380_2178
.LBB380_2137:
	s_or_b32 exec_lo, exec_lo, s4
	s_and_saveexec_b32 s4, vcc_lo
	s_cbranch_execnz .LBB380_2179
.LBB380_2138:
	s_or_b32 exec_lo, exec_lo, s4
	s_and_saveexec_b32 s4, vcc_lo
	s_cbranch_execz .LBB380_2140
.LBB380_2139:
	ds_read_b32 v18, v16 offset:480
	s_waitcnt lgkmcnt(0)
	v_add_f32_e32 v2, v18, v2
.LBB380_2140:
	s_or_b32 exec_lo, exec_lo, s4
.LBB380_2141:
	s_or_b32 exec_lo, exec_lo, s7
	buffer_load_dword v18, off, s[0:3], s32 offset:448 ; 4-byte Folded Reload
	s_mov_b32 s7, exec_lo
	s_waitcnt vmcnt(0)
	s_barrier
	buffer_gl0_inv
	v_and_b32_e32 v18, 0x3e3, v18
	v_cmpx_eq_u32_e32 32, v18
	s_cbranch_execz .LBB380_2143
; %bb.2142:
	ds_write2_b32 v17, v15, v14 offset1:8
	ds_write2_b32 v17, v13, v12 offset0:16 offset1:24
	ds_write2_b32 v17, v11, v10 offset0:32 offset1:40
	;; [unrolled: 1-line block ×7, first 2 shown]
.LBB380_2143:
	s_or_b32 exec_lo, exec_lo, s7
	buffer_load_dword v17, off, s[0:3], s32 offset:448 ; 4-byte Folded Reload
	s_mov_b32 s7, exec_lo
	s_waitcnt vmcnt(0) lgkmcnt(0)
	s_barrier
	buffer_gl0_inv
	v_cmpx_gt_u32_e32 32, v17
	s_cbranch_execz .LBB380_2162
; %bb.2144:
	s_and_saveexec_b32 s4, vcc_lo
	s_cbranch_execnz .LBB380_2180
; %bb.2145:
	s_or_b32 exec_lo, exec_lo, s4
	s_and_saveexec_b32 s4, vcc_lo
	s_cbranch_execnz .LBB380_2181
.LBB380_2146:
	s_or_b32 exec_lo, exec_lo, s4
	s_and_saveexec_b32 s4, vcc_lo
	s_cbranch_execnz .LBB380_2182
.LBB380_2147:
	s_or_b32 exec_lo, exec_lo, s4
	s_and_saveexec_b32 s4, vcc_lo
	s_cbranch_execnz .LBB380_2183
.LBB380_2148:
	s_or_b32 exec_lo, exec_lo, s4
	s_and_saveexec_b32 s4, vcc_lo
	s_cbranch_execnz .LBB380_2184
.LBB380_2149:
	s_or_b32 exec_lo, exec_lo, s4
	s_and_saveexec_b32 s4, vcc_lo
	s_cbranch_execnz .LBB380_2185
.LBB380_2150:
	s_or_b32 exec_lo, exec_lo, s4
	s_and_saveexec_b32 s4, vcc_lo
	s_cbranch_execnz .LBB380_2186
.LBB380_2151:
	s_or_b32 exec_lo, exec_lo, s4
	s_and_saveexec_b32 s4, vcc_lo
	s_cbranch_execnz .LBB380_2187
.LBB380_2152:
	s_or_b32 exec_lo, exec_lo, s4
	s_and_saveexec_b32 s4, vcc_lo
	s_cbranch_execnz .LBB380_2188
.LBB380_2153:
	s_or_b32 exec_lo, exec_lo, s4
	s_and_saveexec_b32 s4, vcc_lo
	s_cbranch_execnz .LBB380_2189
.LBB380_2154:
	s_or_b32 exec_lo, exec_lo, s4
	s_and_saveexec_b32 s4, vcc_lo
	s_cbranch_execnz .LBB380_2190
.LBB380_2155:
	s_or_b32 exec_lo, exec_lo, s4
	s_and_saveexec_b32 s4, vcc_lo
	s_cbranch_execnz .LBB380_2191
.LBB380_2156:
	s_or_b32 exec_lo, exec_lo, s4
	s_and_saveexec_b32 s4, vcc_lo
	s_cbranch_execnz .LBB380_2192
.LBB380_2157:
	s_or_b32 exec_lo, exec_lo, s4
	s_and_saveexec_b32 s4, vcc_lo
	s_cbranch_execnz .LBB380_2193
.LBB380_2158:
	s_or_b32 exec_lo, exec_lo, s4
	s_and_saveexec_b32 s4, vcc_lo
	s_cbranch_execnz .LBB380_2194
.LBB380_2159:
	s_or_b32 exec_lo, exec_lo, s4
	s_and_saveexec_b32 s4, vcc_lo
	s_cbranch_execz .LBB380_2161
.LBB380_2160:
	ds_read_b32 v16, v16 offset:480
	s_waitcnt lgkmcnt(0)
	v_add_f32_e32 v2, v16, v2
.LBB380_2161:
	s_or_b32 exec_lo, exec_lo, s4
.LBB380_2162:
	s_or_b32 exec_lo, exec_lo, s7
	v_cmp_eq_u32_e32 vcc_lo, 0, v18
	s_barrier
	buffer_gl0_inv
	s_and_b32 exec_lo, exec_lo, vcc_lo
	s_cbranch_execz .LBB380_2164
; %bb.2163:
	s_clause 0x2
	buffer_load_dword v16, off, s[0:3], s32 offset:932
	buffer_load_dword v17, off, s[0:3], s32 offset:928
	;; [unrolled: 1-line block ×3, first 2 shown]
	s_lshl_b32 s6, s6, 7
	s_mul_i32 s4, s10, s5
	s_ashr_i32 s7, s6, 31
	s_ashr_i32 s5, s4, 31
	s_lshl_b64 s[6:7], s[6:7], 1
	s_lshl_b64 s[4:5], s[4:5], 1
	v_bfe_u32 v19, v15, 16, 1
	v_or_b32_e32 v20, 0x400000, v15
	v_add3_u32 v19, v19, v15, 0x7fff
	s_waitcnt vmcnt(2)
	v_add_co_u32 v16, vcc_lo, v16, s6
	s_waitcnt vmcnt(1)
	v_add_co_ci_u32_e64 v17, null, s7, v17, vcc_lo
	s_lshl_b32 s6, s14, 7
	v_add_co_u32 v16, vcc_lo, v16, s4
	s_ashr_i32 s7, s6, 31
	v_add_co_ci_u32_e64 v17, null, s5, v17, vcc_lo
	s_lshl_b64 s[4:5], s[6:7], 1
	s_waitcnt vmcnt(0)
	v_lshrrev_b32_e32 v18, 1, v18
	v_add_co_u32 v16, vcc_lo, v16, s4
	v_add_co_ci_u32_e64 v17, null, s5, v17, vcc_lo
	v_add_co_u32 v16, vcc_lo, v16, v18
	v_add_co_ci_u32_e64 v17, null, 0, v17, vcc_lo
	v_bfe_u32 v18, v14, 16, 1
	v_cmp_u_f32_e32 vcc_lo, v15, v15
	v_add3_u32 v18, v18, v14, 0x7fff
	v_cndmask_b32_e32 v15, v19, v20, vcc_lo
	v_bfe_u32 v19, v13, 16, 1
	v_or_b32_e32 v20, 0x400000, v14
	v_cmp_u_f32_e32 vcc_lo, v14, v14
	flat_store_short_d16_hi v[16:17], v15
	v_add3_u32 v15, v19, v13, 0x7fff
	v_or_b32_e32 v19, 0x400000, v13
	v_cndmask_b32_e32 v14, v18, v20, vcc_lo
	v_bfe_u32 v18, v12, 16, 1
	v_cmp_u_f32_e32 vcc_lo, v13, v13
	flat_store_short_d16_hi v[16:17], v14 offset:16
	v_add3_u32 v14, v18, v12, 0x7fff
	v_cndmask_b32_e32 v13, v15, v19, vcc_lo
	v_bfe_u32 v15, v11, 16, 1
	v_or_b32_e32 v18, 0x400000, v12
	v_cmp_u_f32_e32 vcc_lo, v12, v12
	flat_store_short_d16_hi v[16:17], v13 offset:32
	v_add3_u32 v13, v15, v11, 0x7fff
	v_or_b32_e32 v15, 0x400000, v11
	v_cndmask_b32_e32 v12, v14, v18, vcc_lo
	v_bfe_u32 v14, v10, 16, 1
	v_cmp_u_f32_e32 vcc_lo, v11, v11
	flat_store_short_d16_hi v[16:17], v12 offset:48
	v_add3_u32 v12, v14, v10, 0x7fff
	v_cndmask_b32_e32 v11, v13, v15, vcc_lo
	v_bfe_u32 v13, v9, 16, 1
	v_or_b32_e32 v14, 0x400000, v10
	v_cmp_u_f32_e32 vcc_lo, v10, v10
	flat_store_short_d16_hi v[16:17], v11 offset:64
	;; [unrolled: 12-line block ×4, first 2 shown]
	v_add3_u32 v7, v9, v5, 0x7fff
	v_or_b32_e32 v9, 0x400000, v5
	v_cndmask_b32_e32 v6, v8, v10, vcc_lo
	v_bfe_u32 v8, v4, 16, 1
	v_cmp_u_f32_e32 vcc_lo, v5, v5
	v_or_b32_e32 v10, 0x400000, v2
	flat_store_short_d16_hi v[16:17], v6 offset:144
	v_add3_u32 v6, v8, v4, 0x7fff
	v_cndmask_b32_e32 v5, v7, v9, vcc_lo
	v_bfe_u32 v7, v3, 16, 1
	v_or_b32_e32 v8, 0x400000, v4
	v_cmp_u_f32_e32 vcc_lo, v4, v4
	v_or_b32_e32 v9, 0x400000, v1
	flat_store_short_d16_hi v[16:17], v5 offset:160
	v_add3_u32 v5, v7, v3, 0x7fff
	v_or_b32_e32 v7, 0x400000, v3
	v_cndmask_b32_e32 v4, v6, v8, vcc_lo
	v_bfe_u32 v6, v0, 16, 1
	v_cmp_u_f32_e32 vcc_lo, v3, v3
	v_bfe_u32 v8, v1, 16, 1
	v_add3_u32 v6, v6, v0, 0x7fff
	v_cndmask_b32_e32 v3, v5, v7, vcc_lo
	v_or_b32_e32 v7, 0x400000, v0
	v_cmp_u_f32_e32 vcc_lo, v0, v0
	v_bfe_u32 v5, v2, 16, 1
	v_add3_u32 v8, v8, v1, 0x7fff
	v_cndmask_b32_e32 v0, v6, v7, vcc_lo
	v_cmp_u_f32_e32 vcc_lo, v1, v1
	v_add3_u32 v5, v5, v2, 0x7fff
	v_cndmask_b32_e32 v1, v8, v9, vcc_lo
	v_cmp_u_f32_e32 vcc_lo, v2, v2
	v_cndmask_b32_e32 v2, v5, v10, vcc_lo
	flat_store_short_d16_hi v[16:17], v4 offset:176
	flat_store_short_d16_hi v[16:17], v3 offset:192
	;; [unrolled: 1-line block ×5, first 2 shown]
.LBB380_2164:
	s_or_b32 exec_lo, exec_lo, s19
	s_clause 0x2f
	buffer_load_dword v127, off, s[0:3], s32 offset:8
	buffer_load_dword v126, off, s[0:3], s32 offset:12
	;; [unrolled: 1-line block ×48, first 2 shown]
	s_waitcnt vmcnt(0) lgkmcnt(0)
	s_setpc_b64 s[30:31]
.LBB380_2165:
	ds_read_b32 v18, v16
	s_waitcnt lgkmcnt(0)
	v_add_f32_e32 v15, v18, v15
	s_or_b32 exec_lo, exec_lo, s4
	s_and_saveexec_b32 s4, vcc_lo
	s_cbranch_execz .LBB380_2125
.LBB380_2166:
	ds_read_b32 v18, v16 offset:32
	s_waitcnt lgkmcnt(0)
	v_add_f32_e32 v14, v18, v14
	s_or_b32 exec_lo, exec_lo, s4
	s_and_saveexec_b32 s4, vcc_lo
	s_cbranch_execz .LBB380_2126
.LBB380_2167:
	ds_read_b32 v18, v16 offset:64
	s_waitcnt lgkmcnt(0)
	v_add_f32_e32 v13, v18, v13
	s_or_b32 exec_lo, exec_lo, s4
	s_and_saveexec_b32 s4, vcc_lo
	s_cbranch_execz .LBB380_2127
.LBB380_2168:
	ds_read_b32 v18, v16 offset:96
	s_waitcnt lgkmcnt(0)
	v_add_f32_e32 v12, v18, v12
	s_or_b32 exec_lo, exec_lo, s4
	s_and_saveexec_b32 s4, vcc_lo
	s_cbranch_execz .LBB380_2128
.LBB380_2169:
	ds_read_b32 v18, v16 offset:128
	s_waitcnt lgkmcnt(0)
	v_add_f32_e32 v11, v18, v11
	s_or_b32 exec_lo, exec_lo, s4
	s_and_saveexec_b32 s4, vcc_lo
	s_cbranch_execz .LBB380_2129
.LBB380_2170:
	ds_read_b32 v18, v16 offset:160
	s_waitcnt lgkmcnt(0)
	v_add_f32_e32 v10, v18, v10
	s_or_b32 exec_lo, exec_lo, s4
	s_and_saveexec_b32 s4, vcc_lo
	s_cbranch_execz .LBB380_2130
.LBB380_2171:
	ds_read_b32 v18, v16 offset:192
	s_waitcnt lgkmcnt(0)
	v_add_f32_e32 v9, v18, v9
	s_or_b32 exec_lo, exec_lo, s4
	s_and_saveexec_b32 s4, vcc_lo
	s_cbranch_execz .LBB380_2131
.LBB380_2172:
	ds_read_b32 v18, v16 offset:224
	s_waitcnt lgkmcnt(0)
	v_add_f32_e32 v8, v18, v8
	s_or_b32 exec_lo, exec_lo, s4
	s_and_saveexec_b32 s4, vcc_lo
	s_cbranch_execz .LBB380_2132
.LBB380_2173:
	ds_read_b32 v18, v16 offset:256
	s_waitcnt lgkmcnt(0)
	v_add_f32_e32 v7, v18, v7
	s_or_b32 exec_lo, exec_lo, s4
	s_and_saveexec_b32 s4, vcc_lo
	s_cbranch_execz .LBB380_2133
.LBB380_2174:
	ds_read_b32 v18, v16 offset:288
	s_waitcnt lgkmcnt(0)
	v_add_f32_e32 v6, v18, v6
	s_or_b32 exec_lo, exec_lo, s4
	s_and_saveexec_b32 s4, vcc_lo
	s_cbranch_execz .LBB380_2134
.LBB380_2175:
	ds_read_b32 v18, v16 offset:320
	s_waitcnt lgkmcnt(0)
	v_add_f32_e32 v5, v18, v5
	s_or_b32 exec_lo, exec_lo, s4
	s_and_saveexec_b32 s4, vcc_lo
	s_cbranch_execz .LBB380_2135
.LBB380_2176:
	ds_read_b32 v18, v16 offset:352
	s_waitcnt lgkmcnt(0)
	v_add_f32_e32 v4, v18, v4
	s_or_b32 exec_lo, exec_lo, s4
	s_and_saveexec_b32 s4, vcc_lo
	s_cbranch_execz .LBB380_2136
.LBB380_2177:
	ds_read_b32 v18, v16 offset:384
	s_waitcnt lgkmcnt(0)
	v_add_f32_e32 v3, v18, v3
	s_or_b32 exec_lo, exec_lo, s4
	s_and_saveexec_b32 s4, vcc_lo
	s_cbranch_execz .LBB380_2137
.LBB380_2178:
	ds_read_b32 v18, v16 offset:416
	s_waitcnt lgkmcnt(0)
	v_add_f32_e32 v0, v18, v0
	s_or_b32 exec_lo, exec_lo, s4
	s_and_saveexec_b32 s4, vcc_lo
	s_cbranch_execz .LBB380_2138
.LBB380_2179:
	ds_read_b32 v18, v16 offset:448
	s_waitcnt lgkmcnt(0)
	v_add_f32_e32 v1, v18, v1
	s_or_b32 exec_lo, exec_lo, s4
	s_and_saveexec_b32 s4, vcc_lo
	s_cbranch_execnz .LBB380_2139
	s_branch .LBB380_2140
.LBB380_2180:
	ds_read_b32 v17, v16
	s_waitcnt lgkmcnt(0)
	v_add_f32_e32 v15, v17, v15
	s_or_b32 exec_lo, exec_lo, s4
	s_and_saveexec_b32 s4, vcc_lo
	s_cbranch_execz .LBB380_2146
.LBB380_2181:
	ds_read_b32 v17, v16 offset:32
	s_waitcnt lgkmcnt(0)
	v_add_f32_e32 v14, v17, v14
	s_or_b32 exec_lo, exec_lo, s4
	s_and_saveexec_b32 s4, vcc_lo
	s_cbranch_execz .LBB380_2147
.LBB380_2182:
	ds_read_b32 v17, v16 offset:64
	s_waitcnt lgkmcnt(0)
	v_add_f32_e32 v13, v17, v13
	s_or_b32 exec_lo, exec_lo, s4
	s_and_saveexec_b32 s4, vcc_lo
	s_cbranch_execz .LBB380_2148
.LBB380_2183:
	ds_read_b32 v17, v16 offset:96
	s_waitcnt lgkmcnt(0)
	v_add_f32_e32 v12, v17, v12
	s_or_b32 exec_lo, exec_lo, s4
	s_and_saveexec_b32 s4, vcc_lo
	s_cbranch_execz .LBB380_2149
.LBB380_2184:
	ds_read_b32 v17, v16 offset:128
	s_waitcnt lgkmcnt(0)
	v_add_f32_e32 v11, v17, v11
	s_or_b32 exec_lo, exec_lo, s4
	s_and_saveexec_b32 s4, vcc_lo
	s_cbranch_execz .LBB380_2150
.LBB380_2185:
	ds_read_b32 v17, v16 offset:160
	s_waitcnt lgkmcnt(0)
	v_add_f32_e32 v10, v17, v10
	s_or_b32 exec_lo, exec_lo, s4
	s_and_saveexec_b32 s4, vcc_lo
	s_cbranch_execz .LBB380_2151
.LBB380_2186:
	ds_read_b32 v17, v16 offset:192
	s_waitcnt lgkmcnt(0)
	v_add_f32_e32 v9, v17, v9
	s_or_b32 exec_lo, exec_lo, s4
	s_and_saveexec_b32 s4, vcc_lo
	s_cbranch_execz .LBB380_2152
.LBB380_2187:
	ds_read_b32 v17, v16 offset:224
	s_waitcnt lgkmcnt(0)
	v_add_f32_e32 v8, v17, v8
	s_or_b32 exec_lo, exec_lo, s4
	s_and_saveexec_b32 s4, vcc_lo
	s_cbranch_execz .LBB380_2153
.LBB380_2188:
	ds_read_b32 v17, v16 offset:256
	s_waitcnt lgkmcnt(0)
	v_add_f32_e32 v7, v17, v7
	s_or_b32 exec_lo, exec_lo, s4
	s_and_saveexec_b32 s4, vcc_lo
	s_cbranch_execz .LBB380_2154
.LBB380_2189:
	ds_read_b32 v17, v16 offset:288
	s_waitcnt lgkmcnt(0)
	v_add_f32_e32 v6, v17, v6
	s_or_b32 exec_lo, exec_lo, s4
	s_and_saveexec_b32 s4, vcc_lo
	s_cbranch_execz .LBB380_2155
.LBB380_2190:
	ds_read_b32 v17, v16 offset:320
	s_waitcnt lgkmcnt(0)
	v_add_f32_e32 v5, v17, v5
	s_or_b32 exec_lo, exec_lo, s4
	s_and_saveexec_b32 s4, vcc_lo
	s_cbranch_execz .LBB380_2156
.LBB380_2191:
	ds_read_b32 v17, v16 offset:352
	s_waitcnt lgkmcnt(0)
	v_add_f32_e32 v4, v17, v4
	s_or_b32 exec_lo, exec_lo, s4
	s_and_saveexec_b32 s4, vcc_lo
	s_cbranch_execz .LBB380_2157
.LBB380_2192:
	ds_read_b32 v17, v16 offset:384
	s_waitcnt lgkmcnt(0)
	v_add_f32_e32 v3, v17, v3
	s_or_b32 exec_lo, exec_lo, s4
	s_and_saveexec_b32 s4, vcc_lo
	s_cbranch_execz .LBB380_2158
.LBB380_2193:
	ds_read_b32 v17, v16 offset:416
	s_waitcnt lgkmcnt(0)
	v_add_f32_e32 v0, v17, v0
	s_or_b32 exec_lo, exec_lo, s4
	s_and_saveexec_b32 s4, vcc_lo
	s_cbranch_execz .LBB380_2159
.LBB380_2194:
	ds_read_b32 v17, v16 offset:448
	s_waitcnt lgkmcnt(0)
	v_add_f32_e32 v1, v17, v1
	s_or_b32 exec_lo, exec_lo, s4
	s_and_saveexec_b32 s4, vcc_lo
	s_cbranch_execnz .LBB380_2160
	s_branch .LBB380_2161
.Lfunc_end380:
	.size	_ZN4vllm22paged_attention_kernelI14__hip_bfloat16hLi128ELi32ELi128ELNS_18Fp8KVCacheDataTypeE1ELb1ELi512EEEvPfS3_PT_PKS4_PKT0_SA_ifPKiSC_iPKfiiiSE_SE_iiiii, .Lfunc_end380-_ZN4vllm22paged_attention_kernelI14__hip_bfloat16hLi128ELi32ELi128ELNS_18Fp8KVCacheDataTypeE1ELb1ELi512EEEvPfS3_PT_PKS4_PKT0_SA_ifPKiSC_iPKfiiiSE_SE_iiiii
                                        ; -- End function
	.set .L_ZN4vllm22paged_attention_kernelI14__hip_bfloat16hLi128ELi32ELi128ELNS_18Fp8KVCacheDataTypeE1ELb1ELi512EEEvPfS3_PT_PKS4_PKT0_SA_ifPKiSC_iPKfiiiSE_SE_iiiii.num_vgpr, 128
	.set .L_ZN4vllm22paged_attention_kernelI14__hip_bfloat16hLi128ELi32ELi128ELNS_18Fp8KVCacheDataTypeE1ELb1ELi512EEEvPfS3_PT_PKS4_PKT0_SA_ifPKiSC_iPKfiiiSE_SE_iiiii.num_agpr, 0
	.set .L_ZN4vllm22paged_attention_kernelI14__hip_bfloat16hLi128ELi32ELi128ELNS_18Fp8KVCacheDataTypeE1ELb1ELi512EEEvPfS3_PT_PKS4_PKT0_SA_ifPKiSC_iPKfiiiSE_SE_iiiii.numbered_sgpr, 33
	.set .L_ZN4vllm22paged_attention_kernelI14__hip_bfloat16hLi128ELi32ELi128ELNS_18Fp8KVCacheDataTypeE1ELb1ELi512EEEvPfS3_PT_PKS4_PKT0_SA_ifPKiSC_iPKfiiiSE_SE_iiiii.num_named_barrier, 0
	.set .L_ZN4vllm22paged_attention_kernelI14__hip_bfloat16hLi128ELi32ELi128ELNS_18Fp8KVCacheDataTypeE1ELb1ELi512EEEvPfS3_PT_PKS4_PKT0_SA_ifPKiSC_iPKfiiiSE_SE_iiiii.private_seg_size, 1008
	.set .L_ZN4vllm22paged_attention_kernelI14__hip_bfloat16hLi128ELi32ELi128ELNS_18Fp8KVCacheDataTypeE1ELb1ELi512EEEvPfS3_PT_PKS4_PKT0_SA_ifPKiSC_iPKfiiiSE_SE_iiiii.uses_vcc, 1
	.set .L_ZN4vllm22paged_attention_kernelI14__hip_bfloat16hLi128ELi32ELi128ELNS_18Fp8KVCacheDataTypeE1ELb1ELi512EEEvPfS3_PT_PKS4_PKT0_SA_ifPKiSC_iPKfiiiSE_SE_iiiii.uses_flat_scratch, 0
	.set .L_ZN4vllm22paged_attention_kernelI14__hip_bfloat16hLi128ELi32ELi128ELNS_18Fp8KVCacheDataTypeE1ELb1ELi512EEEvPfS3_PT_PKS4_PKT0_SA_ifPKiSC_iPKfiiiSE_SE_iiiii.has_dyn_sized_stack, 0
	.set .L_ZN4vllm22paged_attention_kernelI14__hip_bfloat16hLi128ELi32ELi128ELNS_18Fp8KVCacheDataTypeE1ELb1ELi512EEEvPfS3_PT_PKS4_PKT0_SA_ifPKiSC_iPKfiiiSE_SE_iiiii.has_recursion, 0
	.set .L_ZN4vllm22paged_attention_kernelI14__hip_bfloat16hLi128ELi32ELi128ELNS_18Fp8KVCacheDataTypeE1ELb1ELi512EEEvPfS3_PT_PKS4_PKT0_SA_ifPKiSC_iPKfiiiSE_SE_iiiii.has_indirect_call, 0
	.section	.AMDGPU.csdata,"",@progbits
; Function info:
; codeLenInByte = 88472
; TotalNumSgprs: 35
; NumVgprs: 128
; ScratchSize: 1008
; MemoryBound: 0
	.section	.text._ZN4vllm25paged_attention_v2_kernelI14__hip_bfloat16hLi128ELi32ELi128ELNS_18Fp8KVCacheDataTypeE1ELb1ELi512EEEvPfS3_PT_PKS4_PKT0_SA_ifPKiSC_iPKfiiiSE_SE_iiiii,"axG",@progbits,_ZN4vllm25paged_attention_v2_kernelI14__hip_bfloat16hLi128ELi32ELi128ELNS_18Fp8KVCacheDataTypeE1ELb1ELi512EEEvPfS3_PT_PKS4_PKT0_SA_ifPKiSC_iPKfiiiSE_SE_iiiii,comdat
	.protected	_ZN4vllm25paged_attention_v2_kernelI14__hip_bfloat16hLi128ELi32ELi128ELNS_18Fp8KVCacheDataTypeE1ELb1ELi512EEEvPfS3_PT_PKS4_PKT0_SA_ifPKiSC_iPKfiiiSE_SE_iiiii ; -- Begin function _ZN4vllm25paged_attention_v2_kernelI14__hip_bfloat16hLi128ELi32ELi128ELNS_18Fp8KVCacheDataTypeE1ELb1ELi512EEEvPfS3_PT_PKS4_PKT0_SA_ifPKiSC_iPKfiiiSE_SE_iiiii
	.globl	_ZN4vllm25paged_attention_v2_kernelI14__hip_bfloat16hLi128ELi32ELi128ELNS_18Fp8KVCacheDataTypeE1ELb1ELi512EEEvPfS3_PT_PKS4_PKT0_SA_ifPKiSC_iPKfiiiSE_SE_iiiii
	.p2align	8
	.type	_ZN4vllm25paged_attention_v2_kernelI14__hip_bfloat16hLi128ELi32ELi128ELNS_18Fp8KVCacheDataTypeE1ELb1ELi512EEEvPfS3_PT_PKS4_PKT0_SA_ifPKiSC_iPKfiiiSE_SE_iiiii,@function
_ZN4vllm25paged_attention_v2_kernelI14__hip_bfloat16hLi128ELi32ELi128ELNS_18Fp8KVCacheDataTypeE1ELb1ELi512EEEvPfS3_PT_PKS4_PKT0_SA_ifPKiSC_iPKfiiiSE_SE_iiiii: ; @_ZN4vllm25paged_attention_v2_kernelI14__hip_bfloat16hLi128ELi32ELi128ELNS_18Fp8KVCacheDataTypeE1ELb1ELi512EEEvPfS3_PT_PKS4_PKT0_SA_ifPKiSC_iPKfiiiSE_SE_iiiii
; %bb.0:
	s_mov_b32 s14, s8
	s_clause 0x7
	s_load_dwordx4 s[36:39], s[4:5], 0x78
	s_load_dword s8, s[4:5], 0x88
	s_load_dwordx8 s[40:47], s[4:5], 0x0
	s_load_dwordx8 s[24:31], s[4:5], 0x20
	s_load_dwordx2 s[10:11], s[4:5], 0x40
	s_load_dwordx2 s[34:35], s[4:5], 0x50
	s_load_dword s13, s[4:5], 0x48
	s_load_dwordx8 s[16:23], s[4:5], 0x58
	s_add_u32 s0, s0, s9
	s_mov_b32 s32, 0
	s_addc_u32 s1, s1, 0
	v_mov_b32_e32 v31, v0
	s_mov_b32 s12, s6
	s_mov_b32 s15, 5
	s_waitcnt lgkmcnt(0)
	v_mov_b32_e32 v1, s39
	v_mov_b32_e32 v2, s8
	;; [unrolled: 1-line block ×4, first 2 shown]
	buffer_store_dword v1, off, s[0:3], s32
	buffer_store_dword v2, off, s[0:3], s32 offset:4
	v_mov_b32_e32 v1, s41
	v_mov_b32_e32 v2, s42
	;; [unrolled: 1-line block ×29, first 2 shown]
	s_add_u32 s8, s4, 0x90
	s_addc_u32 s9, s5, 0
	s_getpc_b64 s[4:5]
	s_add_u32 s4, s4, _ZN4vllm22paged_attention_kernelI14__hip_bfloat16hLi128ELi32ELi128ELNS_18Fp8KVCacheDataTypeE1ELb1ELi512EEEvPfS3_PT_PKS4_PKT0_SA_ifPKiSC_iPKfiiiSE_SE_iiiii@rel32@lo+4
	s_addc_u32 s5, s5, _ZN4vllm22paged_attention_kernelI14__hip_bfloat16hLi128ELi32ELi128ELNS_18Fp8KVCacheDataTypeE1ELb1ELi512EEEvPfS3_PT_PKS4_PKT0_SA_ifPKiSC_iPKfiiiSE_SE_iiiii@rel32@hi+12
	s_mov_b32 s13, s7
	s_swappc_b64 s[30:31], s[4:5]
	s_endpgm
	.section	.rodata,"a",@progbits
	.p2align	6, 0x0
	.amdhsa_kernel _ZN4vllm25paged_attention_v2_kernelI14__hip_bfloat16hLi128ELi32ELi128ELNS_18Fp8KVCacheDataTypeE1ELb1ELi512EEEvPfS3_PT_PKS4_PKT0_SA_ifPKiSC_iPKfiiiSE_SE_iiiii
		.amdhsa_group_segment_fixed_size 288
		.amdhsa_private_segment_fixed_size 1008
		.amdhsa_kernarg_size 400
		.amdhsa_user_sgpr_count 6
		.amdhsa_user_sgpr_private_segment_buffer 1
		.amdhsa_user_sgpr_dispatch_ptr 0
		.amdhsa_user_sgpr_queue_ptr 0
		.amdhsa_user_sgpr_kernarg_segment_ptr 1
		.amdhsa_user_sgpr_dispatch_id 0
		.amdhsa_user_sgpr_flat_scratch_init 0
		.amdhsa_user_sgpr_private_segment_size 0
		.amdhsa_wavefront_size32 1
		.amdhsa_uses_dynamic_stack 0
		.amdhsa_system_sgpr_private_segment_wavefront_offset 1
		.amdhsa_system_sgpr_workgroup_id_x 1
		.amdhsa_system_sgpr_workgroup_id_y 1
		.amdhsa_system_sgpr_workgroup_id_z 1
		.amdhsa_system_sgpr_workgroup_info 0
		.amdhsa_system_vgpr_workitem_id 0
		.amdhsa_next_free_vgpr 128
		.amdhsa_next_free_sgpr 48
		.amdhsa_reserve_vcc 1
		.amdhsa_reserve_flat_scratch 0
		.amdhsa_float_round_mode_32 0
		.amdhsa_float_round_mode_16_64 0
		.amdhsa_float_denorm_mode_32 3
		.amdhsa_float_denorm_mode_16_64 3
		.amdhsa_dx10_clamp 1
		.amdhsa_ieee_mode 1
		.amdhsa_fp16_overflow 0
		.amdhsa_workgroup_processor_mode 1
		.amdhsa_memory_ordered 1
		.amdhsa_forward_progress 1
		.amdhsa_shared_vgpr_count 0
		.amdhsa_exception_fp_ieee_invalid_op 0
		.amdhsa_exception_fp_denorm_src 0
		.amdhsa_exception_fp_ieee_div_zero 0
		.amdhsa_exception_fp_ieee_overflow 0
		.amdhsa_exception_fp_ieee_underflow 0
		.amdhsa_exception_fp_ieee_inexact 0
		.amdhsa_exception_int_div_zero 0
	.end_amdhsa_kernel
	.section	.text._ZN4vllm25paged_attention_v2_kernelI14__hip_bfloat16hLi128ELi32ELi128ELNS_18Fp8KVCacheDataTypeE1ELb1ELi512EEEvPfS3_PT_PKS4_PKT0_SA_ifPKiSC_iPKfiiiSE_SE_iiiii,"axG",@progbits,_ZN4vllm25paged_attention_v2_kernelI14__hip_bfloat16hLi128ELi32ELi128ELNS_18Fp8KVCacheDataTypeE1ELb1ELi512EEEvPfS3_PT_PKS4_PKT0_SA_ifPKiSC_iPKfiiiSE_SE_iiiii,comdat
.Lfunc_end381:
	.size	_ZN4vllm25paged_attention_v2_kernelI14__hip_bfloat16hLi128ELi32ELi128ELNS_18Fp8KVCacheDataTypeE1ELb1ELi512EEEvPfS3_PT_PKS4_PKT0_SA_ifPKiSC_iPKfiiiSE_SE_iiiii, .Lfunc_end381-_ZN4vllm25paged_attention_v2_kernelI14__hip_bfloat16hLi128ELi32ELi128ELNS_18Fp8KVCacheDataTypeE1ELb1ELi512EEEvPfS3_PT_PKS4_PKT0_SA_ifPKiSC_iPKfiiiSE_SE_iiiii
                                        ; -- End function
	.set _ZN4vllm25paged_attention_v2_kernelI14__hip_bfloat16hLi128ELi32ELi128ELNS_18Fp8KVCacheDataTypeE1ELb1ELi512EEEvPfS3_PT_PKS4_PKT0_SA_ifPKiSC_iPKfiiiSE_SE_iiiii.num_vgpr, max(32, .L_ZN4vllm22paged_attention_kernelI14__hip_bfloat16hLi128ELi32ELi128ELNS_18Fp8KVCacheDataTypeE1ELb1ELi512EEEvPfS3_PT_PKS4_PKT0_SA_ifPKiSC_iPKfiiiSE_SE_iiiii.num_vgpr)
	.set _ZN4vllm25paged_attention_v2_kernelI14__hip_bfloat16hLi128ELi32ELi128ELNS_18Fp8KVCacheDataTypeE1ELb1ELi512EEEvPfS3_PT_PKS4_PKT0_SA_ifPKiSC_iPKfiiiSE_SE_iiiii.num_agpr, max(0, .L_ZN4vllm22paged_attention_kernelI14__hip_bfloat16hLi128ELi32ELi128ELNS_18Fp8KVCacheDataTypeE1ELb1ELi512EEEvPfS3_PT_PKS4_PKT0_SA_ifPKiSC_iPKfiiiSE_SE_iiiii.num_agpr)
	.set _ZN4vllm25paged_attention_v2_kernelI14__hip_bfloat16hLi128ELi32ELi128ELNS_18Fp8KVCacheDataTypeE1ELb1ELi512EEEvPfS3_PT_PKS4_PKT0_SA_ifPKiSC_iPKfiiiSE_SE_iiiii.numbered_sgpr, max(48, .L_ZN4vllm22paged_attention_kernelI14__hip_bfloat16hLi128ELi32ELi128ELNS_18Fp8KVCacheDataTypeE1ELb1ELi512EEEvPfS3_PT_PKS4_PKT0_SA_ifPKiSC_iPKfiiiSE_SE_iiiii.numbered_sgpr)
	.set _ZN4vllm25paged_attention_v2_kernelI14__hip_bfloat16hLi128ELi32ELi128ELNS_18Fp8KVCacheDataTypeE1ELb1ELi512EEEvPfS3_PT_PKS4_PKT0_SA_ifPKiSC_iPKfiiiSE_SE_iiiii.num_named_barrier, max(0, .L_ZN4vllm22paged_attention_kernelI14__hip_bfloat16hLi128ELi32ELi128ELNS_18Fp8KVCacheDataTypeE1ELb1ELi512EEEvPfS3_PT_PKS4_PKT0_SA_ifPKiSC_iPKfiiiSE_SE_iiiii.num_named_barrier)
	.set _ZN4vllm25paged_attention_v2_kernelI14__hip_bfloat16hLi128ELi32ELi128ELNS_18Fp8KVCacheDataTypeE1ELb1ELi512EEEvPfS3_PT_PKS4_PKT0_SA_ifPKiSC_iPKfiiiSE_SE_iiiii.private_seg_size, 0+max(.L_ZN4vllm22paged_attention_kernelI14__hip_bfloat16hLi128ELi32ELi128ELNS_18Fp8KVCacheDataTypeE1ELb1ELi512EEEvPfS3_PT_PKS4_PKT0_SA_ifPKiSC_iPKfiiiSE_SE_iiiii.private_seg_size)
	.set _ZN4vllm25paged_attention_v2_kernelI14__hip_bfloat16hLi128ELi32ELi128ELNS_18Fp8KVCacheDataTypeE1ELb1ELi512EEEvPfS3_PT_PKS4_PKT0_SA_ifPKiSC_iPKfiiiSE_SE_iiiii.uses_vcc, or(1, .L_ZN4vllm22paged_attention_kernelI14__hip_bfloat16hLi128ELi32ELi128ELNS_18Fp8KVCacheDataTypeE1ELb1ELi512EEEvPfS3_PT_PKS4_PKT0_SA_ifPKiSC_iPKfiiiSE_SE_iiiii.uses_vcc)
	.set _ZN4vllm25paged_attention_v2_kernelI14__hip_bfloat16hLi128ELi32ELi128ELNS_18Fp8KVCacheDataTypeE1ELb1ELi512EEEvPfS3_PT_PKS4_PKT0_SA_ifPKiSC_iPKfiiiSE_SE_iiiii.uses_flat_scratch, or(0, .L_ZN4vllm22paged_attention_kernelI14__hip_bfloat16hLi128ELi32ELi128ELNS_18Fp8KVCacheDataTypeE1ELb1ELi512EEEvPfS3_PT_PKS4_PKT0_SA_ifPKiSC_iPKfiiiSE_SE_iiiii.uses_flat_scratch)
	.set _ZN4vllm25paged_attention_v2_kernelI14__hip_bfloat16hLi128ELi32ELi128ELNS_18Fp8KVCacheDataTypeE1ELb1ELi512EEEvPfS3_PT_PKS4_PKT0_SA_ifPKiSC_iPKfiiiSE_SE_iiiii.has_dyn_sized_stack, or(0, .L_ZN4vllm22paged_attention_kernelI14__hip_bfloat16hLi128ELi32ELi128ELNS_18Fp8KVCacheDataTypeE1ELb1ELi512EEEvPfS3_PT_PKS4_PKT0_SA_ifPKiSC_iPKfiiiSE_SE_iiiii.has_dyn_sized_stack)
	.set _ZN4vllm25paged_attention_v2_kernelI14__hip_bfloat16hLi128ELi32ELi128ELNS_18Fp8KVCacheDataTypeE1ELb1ELi512EEEvPfS3_PT_PKS4_PKT0_SA_ifPKiSC_iPKfiiiSE_SE_iiiii.has_recursion, or(0, .L_ZN4vllm22paged_attention_kernelI14__hip_bfloat16hLi128ELi32ELi128ELNS_18Fp8KVCacheDataTypeE1ELb1ELi512EEEvPfS3_PT_PKS4_PKT0_SA_ifPKiSC_iPKfiiiSE_SE_iiiii.has_recursion)
	.set _ZN4vllm25paged_attention_v2_kernelI14__hip_bfloat16hLi128ELi32ELi128ELNS_18Fp8KVCacheDataTypeE1ELb1ELi512EEEvPfS3_PT_PKS4_PKT0_SA_ifPKiSC_iPKfiiiSE_SE_iiiii.has_indirect_call, or(0, .L_ZN4vllm22paged_attention_kernelI14__hip_bfloat16hLi128ELi32ELi128ELNS_18Fp8KVCacheDataTypeE1ELb1ELi512EEEvPfS3_PT_PKS4_PKT0_SA_ifPKiSC_iPKfiiiSE_SE_iiiii.has_indirect_call)
	.section	.AMDGPU.csdata,"",@progbits
; Kernel info:
; codeLenInByte = 292
; TotalNumSgprs: 50
; NumVgprs: 128
; ScratchSize: 1008
; MemoryBound: 0
; FloatMode: 240
; IeeeMode: 1
; LDSByteSize: 288 bytes/workgroup (compile time only)
; SGPRBlocks: 0
; VGPRBlocks: 15
; NumSGPRsForWavesPerEU: 50
; NumVGPRsForWavesPerEU: 128
; Occupancy: 8
; WaveLimiterHint : 1
; COMPUTE_PGM_RSRC2:SCRATCH_EN: 1
; COMPUTE_PGM_RSRC2:USER_SGPR: 6
; COMPUTE_PGM_RSRC2:TRAP_HANDLER: 0
; COMPUTE_PGM_RSRC2:TGID_X_EN: 1
; COMPUTE_PGM_RSRC2:TGID_Y_EN: 1
; COMPUTE_PGM_RSRC2:TGID_Z_EN: 1
; COMPUTE_PGM_RSRC2:TIDIG_COMP_CNT: 0
	.text
	.p2align	2                               ; -- Begin function _ZN4vllm22paged_attention_kernelI14__hip_bfloat16hLi192ELi32ELi128ELNS_18Fp8KVCacheDataTypeE1ELb1ELi512EEEvPfS3_PT_PKS4_PKT0_SA_ifPKiSC_iPKfiiiSE_SE_iiiii
	.type	_ZN4vllm22paged_attention_kernelI14__hip_bfloat16hLi192ELi32ELi128ELNS_18Fp8KVCacheDataTypeE1ELb1ELi512EEEvPfS3_PT_PKS4_PKT0_SA_ifPKiSC_iPKfiiiSE_SE_iiiii,@function
_ZN4vllm22paged_attention_kernelI14__hip_bfloat16hLi192ELi32ELi128ELNS_18Fp8KVCacheDataTypeE1ELb1ELi512EEEvPfS3_PT_PKS4_PKT0_SA_ifPKiSC_iPKfiiiSE_SE_iiiii: ; @_ZN4vllm22paged_attention_kernelI14__hip_bfloat16hLi192ELi32ELi128ELNS_18Fp8KVCacheDataTypeE1ELb1ELi512EEEvPfS3_PT_PKS4_PKT0_SA_ifPKiSC_iPKfiiiSE_SE_iiiii
; %bb.0:
	s_waitcnt vmcnt(0) expcnt(0) lgkmcnt(0)
	buffer_store_dword v40, off, s[0:3], s32 offset:196 ; 4-byte Folded Spill
	buffer_store_dword v41, off, s[0:3], s32 offset:192 ; 4-byte Folded Spill
	;; [unrolled: 1-line block ×48, first 2 shown]
	s_mov_b32 s18, s13
	s_ashr_i32 s19, s13, 31
	buffer_store_dword v30, off, s[0:3], s32 offset:1668 ; 4-byte Folded Spill
	buffer_store_dword v26, off, s[0:3], s32 offset:864 ; 4-byte Folded Spill
	;; [unrolled: 1-line block ×13, first 2 shown]
	s_lshl_b64 s[4:5], s[18:19], 2
	v_mov_b32_e32 v15, v0
	v_add_co_u32 v0, vcc_lo, v16, s4
	v_mov_b32_e32 v14, v1
	v_add_co_ci_u32_e64 v1, null, s5, v17, vcc_lo
	s_lshl_b32 s22, s14, 9
	s_mov_b32 s19, exec_lo
	flat_load_dword v92, v[0:1]
	s_clause 0x1
	buffer_load_dword v0, off, s[0:3], s32 offset:4
	buffer_load_dword v1, off, s[0:3], s32
	s_waitcnt vmcnt(2) lgkmcnt(0)
	v_cmpx_lt_i32_e64 s22, v92
	s_cbranch_execnz .LBB382_1
; %bb.3267:
	s_getpc_b64 s[30:31]
.Lpost_getpc4:
	s_add_u32 s30, s30, (.LBB382_3220-.Lpost_getpc4)&4294967295
	s_addc_u32 s31, s31, (.LBB382_3220-.Lpost_getpc4)>>32
	s_setpc_b64 s[30:31]
.LBB382_1:
	buffer_store_dword v2, off, s[0:3], s32 offset:1732 ; 4-byte Folded Spill
	buffer_store_dword v3, off, s[0:3], s32 offset:1708 ; 4-byte Folded Spill
	v_sub_nc_u32_e32 v2, 0, v12
	s_clause 0x1
	s_load_dword s4, s[8:9], 0x10
	s_load_dword s5, s[8:9], 0x0
	s_mov_b32 s16, s15
	v_max_i32_e32 v2, v12, v2
	v_cvt_f32_u32_e32 v3, v2
	v_sub_nc_u32_e32 v4, 0, v2
	v_rcp_iflag_f32_e32 v3, v3
	s_waitcnt lgkmcnt(0)
	s_lshr_b32 s4, s4, 16
	s_cmp_lg_u32 s4, 0
	v_mul_f32_e32 v3, 0x4f7ffffe, v3
	s_cselect_b32 s4, -1, 0
	s_cmp_lg_u32 s4, 0
	v_cvt_u32_f32_e32 v3, v3
	s_addc_u32 s15, s5, 0
	s_mov_b32 s5, exec_lo
	s_abs_i32 s4, s15
	v_mul_lo_u32 v4, v4, v3
	v_mul_hi_u32 v4, v3, v4
	v_add_nc_u32_e32 v3, v3, v4
	v_mul_hi_u32 v3, s4, v3
	v_mul_lo_u32 v4, v3, v2
	v_add_nc_u32_e32 v5, 1, v3
	v_sub_nc_u32_e32 v4, s4, v4
	s_abs_i32 s4, s12
	v_sub_nc_u32_e32 v10, v4, v2
	v_cmp_ge_u32_e32 vcc_lo, v4, v2
	v_cndmask_b32_e32 v3, v3, v5, vcc_lo
	v_cndmask_b32_e32 v4, v4, v10, vcc_lo
	v_xor_b32_e32 v5, s15, v12
	v_add_nc_u32_e32 v10, 1, v3
	v_cmp_ge_u32_e32 vcc_lo, v4, v2
	v_ashrrev_i32_e32 v5, 31, v5
	v_cndmask_b32_e32 v2, v3, v10, vcc_lo
	v_xor_b32_e32 v2, v2, v5
	v_sub_nc_u32_e32 v3, v2, v5
	v_sub_nc_u32_e32 v2, 0, v3
	v_max_i32_e32 v2, v3, v2
	v_cvt_f32_u32_e32 v4, v2
	v_sub_nc_u32_e32 v5, 0, v2
	v_rcp_iflag_f32_e32 v4, v4
	v_mul_f32_e32 v4, 0x4f7ffffe, v4
	v_cvt_u32_f32_e32 v4, v4
	v_mul_lo_u32 v5, v5, v4
	v_mul_hi_u32 v5, v4, v5
	v_add_nc_u32_e32 v4, v4, v5
	v_mad_u64_u32 v[16:17], null, s4, v4, 0
	v_mov_b32_e32 v4, 0
	buffer_store_dword v4, off, s[0:3], s32 offset:884 ; 4-byte Folded Spill
	v_cmpx_ne_u64_e32 0, v[19:20]
	s_cbranch_execz .LBB382_3
; %bb.2:
	s_ashr_i32 s13, s12, 31
	s_lshl_b64 s[6:7], s[12:13], 2
	v_add_co_u32 v4, vcc_lo, v19, s6
	v_add_co_ci_u32_e64 v5, null, s7, v20, vcc_lo
	flat_load_dword v4, v[4:5]
	s_waitcnt vmcnt(0) lgkmcnt(0)
	buffer_store_dword v4, off, s[0:3], s32 offset:884 ; 4-byte Folded Spill
.LBB382_3:
	s_or_b32 exec_lo, exec_lo, s5
	v_and_b32_e32 v4, 0x3ff, v31
	v_ashrrev_i32_e32 v3, 31, v3
	s_ashr_i32 s5, s12, 31
	s_mul_i32 s10, s12, 0xc0
	s_mov_b32 s6, exec_lo
	buffer_store_dword v4, off, s[0:3], s32 offset:860 ; 4-byte Folded Spill
	v_cmpx_gt_u32_e32 24, v4
	s_cbranch_execz .LBB382_5
; %bb.4:
	buffer_load_dword v10, off, s[0:3], s32 offset:860 ; 4-byte Folded Reload
	v_mul_lo_u32 v4, v21, s18
	s_ashr_i32 s11, s10, 31
	s_lshl_b64 s[20:21], s[10:11], 1
	v_ashrrev_i32_e32 v5, 31, v4
	v_lshlrev_b64 v[4:5], 1, v[4:5]
	v_add_co_u32 v4, vcc_lo, v6, v4
	v_add_co_ci_u32_e64 v5, null, v7, v5, vcc_lo
	v_add_co_u32 v4, vcc_lo, v4, s20
	v_add_co_ci_u32_e64 v5, null, s21, v5, vcc_lo
	s_waitcnt vmcnt(0)
	v_lshlrev_b32_e32 v10, 4, v10
	v_add_co_u32 v4, vcc_lo, v4, v10
	v_add_co_ci_u32_e64 v5, null, 0, v5, vcc_lo
	flat_load_dwordx4 v[4:7], v[4:5]
	s_waitcnt vmcnt(0) lgkmcnt(0)
	ds_write_b128 v10, v[4:7]
.LBB382_5:
	s_or_b32 exec_lo, exec_lo, s6
	s_waitcnt vmcnt(0)
	v_sub_nc_u32_e32 v4, 0, v1
	v_mul_lo_u32 v5, v17, v2
	v_xor_b32_e32 v3, s5, v3
	v_max_i32_e32 v7, v1, v4
	v_sub_nc_u32_e32 v5, s4, v5
	v_cvt_f32_u32_e32 v4, v7
	buffer_store_dword v7, off, s[0:3], s32 offset:208 ; 4-byte Folded Spill
	s_mov_b32 s4, exec_lo
	v_sub_nc_u32_e32 v10, v5, v2
	v_rcp_iflag_f32_e32 v4, v4
	v_cmp_ge_u32_e32 vcc_lo, v5, v2
	v_cndmask_b32_e32 v5, v5, v10, vcc_lo
	v_mul_f32_e32 v4, 0x4f7ffffe, v4
	v_cvt_u32_f32_e32 v6, v4
	v_sub_nc_u32_e32 v4, 0, v7
	v_add_nc_u32_e32 v7, 1, v17
	v_mul_lo_u32 v11, v4, v6
	v_cndmask_b32_e32 v7, v17, v7, vcc_lo
	v_add_nc_u32_e32 v4, -1, v92
	v_cmp_ge_u32_e32 vcc_lo, v5, v2
	v_add_nc_u32_e32 v10, 1, v7
	v_sub_nc_u32_e32 v13, 0, v4
	v_mul_hi_u32 v11, v6, v11
	v_cndmask_b32_e32 v5, v7, v10, vcc_lo
	v_max_i32_e32 v2, v4, v13
	v_xor_b32_e32 v5, v5, v3
	v_add_nc_u32_e32 v6, v6, v11
	buffer_store_dword v6, off, s[0:3], s32 offset:228 ; 4-byte Folded Spill
	v_mad_u64_u32 v[6:7], null, v2, v6, 0
	v_sub_nc_u32_e32 v6, v5, v3
                                        ; implicit-def: $vgpr3
	s_waitcnt lgkmcnt(0)
	s_waitcnt_vscnt null, 0x0
	s_barrier
	buffer_gl0_inv
	buffer_store_dword v3, off, s[0:3], s32 offset:212 ; 4-byte Folded Spill
	buffer_store_dword v4, off, s[0:3], s32 offset:216 ; 4-byte Folded Spill
	v_cmpx_gt_i32_e32 0, v0
	s_xor_b32 s4, exec_lo, s4
	s_cbranch_execz .LBB382_7
; %bb.6:
	v_mad_u64_u32 v[10:11], null, v28, v12, v[6:7]
                                        ; implicit-def: $vgpr28
	v_mul_lo_u32 v0, v10, v0
	v_sub_nc_u32_e32 v0, 1, v0
	buffer_store_dword v0, off, s[0:3], s32 offset:212 ; 4-byte Folded Spill
	buffer_store_dword v1, off, s[0:3], s32 offset:216 ; 4-byte Folded Spill
                                        ; implicit-def: $vgpr0
.LBB382_7:
	s_or_saveexec_b32 s4, s4
	v_ashrrev_i32_e32 v3, 31, v4
	v_ashrrev_i32_e32 v1, 31, v1
	buffer_store_dword v1, off, s[0:3], s32 offset:220 ; 4-byte Folded Spill
	s_xor_b32 exec_lo, exec_lo, s4
	s_cbranch_execz .LBB382_9
; %bb.8:
	v_mad_u64_u32 v[4:5], null, s15, v28, s[12:13]
	v_mad_u64_u32 v[0:1], null, v4, v0, 1
	buffer_store_dword v0, off, s[0:3], s32 offset:212 ; 4-byte Folded Spill
	buffer_store_dword v1, off, s[0:3], s32 offset:216 ; 4-byte Folded Spill
.LBB382_9:
	s_or_b32 exec_lo, exec_lo, s4
	buffer_load_dword v12, off, s[0:3], s32 offset:208 ; 4-byte Folded Reload
	s_clause 0x1
	s_load_dword s13, s[8:9], 0x14
	s_load_dword s11, s[8:9], 0x8
	buffer_load_dword v10, off, s[0:3], s32 offset:220 ; 4-byte Folded Reload
	v_add_nc_u32_e32 v1, 31, v92
	s_lshl_b32 s7, s14, 4
	s_add_i32 s4, s7, 16
	v_ashrrev_i32_e32 v4, 31, v1
	v_lshrrev_b32_e32 v4, 27, v4
	v_add_nc_u32_e32 v1, v1, v4
	s_waitcnt vmcnt(1)
	v_mul_lo_u32 v0, v7, v12
	s_waitcnt vmcnt(0)
	v_xor_b32_e32 v3, v3, v10
	buffer_load_dword v10, off, s[0:3], s32 offset:860 ; 4-byte Folded Reload
	v_sub_nc_u32_e32 v2, v2, v0
	v_add_nc_u32_e32 v0, 1, v7
	v_sub_nc_u32_e32 v5, v2, v12
	v_cmp_ge_u32_e32 vcc_lo, v2, v12
	v_cndmask_b32_e32 v7, v7, v0, vcc_lo
	v_cndmask_b32_e32 v2, v2, v5, vcc_lo
	v_mul_lo_u32 v0, v18, s18
	v_add_nc_u32_e32 v5, 1, v7
	v_cmp_ge_u32_e32 vcc_lo, v2, v12
	v_cndmask_b32_e32 v2, v7, v5, vcc_lo
	v_mul_lo_u32 v7, v6, v23
	v_ashrrev_i32_e32 v6, 5, v1
	v_ashrrev_i32_e32 v1, 31, v0
	v_xor_b32_e32 v2, v2, v3
	buffer_store_dword v6, off, s[0:3], s32 offset:1736 ; 4-byte Folded Spill
	v_lshlrev_b64 v[0:1], 2, v[0:1]
	v_min_i32_e32 v6, s4, v6
	v_sub_nc_u32_e32 v2, v2, v3
	buffer_load_dword v3, off, s[0:3], s32 offset:1668 ; 4-byte Folded Reload
	s_waitcnt vmcnt(1)
	v_lshrrev_b32_e32 v11, 5, v10
	v_and_b32_e32 v4, 31, v10
	v_mov_b32_e32 v10, 0xff7fffff
	buffer_store_dword v11, off, s[0:3], s32 offset:1672 ; 4-byte Folded Spill
	v_add_nc_u32_e32 v5, s7, v11
	v_lshlrev_b32_e32 v18, 2, v4
	v_cmp_lt_i32_e64 s4, v5, v6
	s_waitcnt vmcnt(0)
	v_sub_nc_u32_e32 v3, 0, v3
	buffer_store_dword v3, off, s[0:3], s32 offset:1728 ; 4-byte Folded Spill
	buffer_store_dword v7, off, s[0:3], s32 offset:1712 ; 4-byte Folded Spill
	v_ashrrev_i32_e32 v3, 31, v7
	buffer_store_dword v3, off, s[0:3], s32 offset:1716 ; 4-byte Folded Spill
	buffer_store_dword v0, off, s[0:3], s32 offset:1720 ; 4-byte Folded Spill
	;; [unrolled: 1-line block ×3, first 2 shown]
	v_mov_b32_e32 v0, v5
	buffer_store_dword v0, off, s[0:3], s32 offset:1692 ; 4-byte Folded Spill
	buffer_store_dword v1, off, s[0:3], s32 offset:1696 ; 4-byte Folded Spill
	;; [unrolled: 1-line block ×3, first 2 shown]
	v_sub_nc_u32_e32 v0, v2, v29
	buffer_store_dword v0, off, s[0:3], s32 offset:232 ; 4-byte Folded Spill
	buffer_store_dword v4, off, s[0:3], s32 offset:856 ; 4-byte Folded Spill
	s_and_saveexec_b32 s23, s4
	s_cbranch_execz .LBB382_1553
; %bb.10:
	v_mov_b32_e32 v19, 0
	buffer_store_dword v15, off, s[0:3], s32 offset:1744 ; 4-byte Folded Spill
	buffer_store_dword v14, off, s[0:3], s32 offset:1740 ; 4-byte Folded Spill
	s_getpc_b64 s[8:9]
	s_add_u32 s8, s8, llvm.amdgcn.dynlds.offset.table@rel32@lo+4
	s_addc_u32 s9, s9, llvm.amdgcn.dynlds.offset.table@rel32@hi+12
	s_ashr_i32 s17, s16, 31
	ds_read_b128 v[0:3], v19
	ds_read_b128 v[4:7], v19 offset:16
	ds_read_b128 v[10:13], v19 offset:32
	;; [unrolled: 1-line block ×3, first 2 shown]
	s_lshl_b64 s[20:21], s[16:17], 2
	s_mov_b32 s17, 0
	s_add_u32 s8, s8, s20
	s_addc_u32 s9, s9, s21
	s_mov_b32 s20, -1
	s_mov_b32 s21, 0xffffff
	s_waitcnt lgkmcnt(0)
	v_lshlrev_b32_e32 v20, 16, v0
	v_and_b32_e32 v0, 0xffff0000, v0
	buffer_store_dword v20, off, s[0:3], s32 offset:888 ; 4-byte Folded Spill
	buffer_store_dword v0, off, s[0:3], s32 offset:892 ; 4-byte Folded Spill
	v_lshlrev_b32_e32 v0, 16, v1
	buffer_store_dword v0, off, s[0:3], s32 offset:896 ; 4-byte Folded Spill
	v_and_b32_e32 v0, 0xffff0000, v1
	buffer_store_dword v0, off, s[0:3], s32 offset:900 ; 4-byte Folded Spill
	v_lshlrev_b32_e32 v0, 16, v2
	buffer_store_dword v0, off, s[0:3], s32 offset:904 ; 4-byte Folded Spill
	v_and_b32_e32 v0, 0xffff0000, v2
	buffer_store_dword v0, off, s[0:3], s32 offset:908 ; 4-byte Folded Spill
	v_lshlrev_b32_e32 v0, 16, v3
	buffer_store_dword v0, off, s[0:3], s32 offset:912 ; 4-byte Folded Spill
	v_and_b32_e32 v0, 0xffff0000, v3
	buffer_store_dword v0, off, s[0:3], s32 offset:916 ; 4-byte Folded Spill
	v_lshlrev_b32_e32 v0, 16, v4
	buffer_store_dword v0, off, s[0:3], s32 offset:920 ; 4-byte Folded Spill
	v_and_b32_e32 v0, 0xffff0000, v4
	v_and_b32_e32 v4, 0xffff0000, v14
	buffer_store_dword v0, off, s[0:3], s32 offset:924 ; 4-byte Folded Spill
	v_lshlrev_b32_e32 v0, 16, v5
	buffer_store_dword v4, off, s[0:3], s32 offset:988 ; 4-byte Folded Spill
	v_lshlrev_b32_e32 v4, 16, v15
	buffer_store_dword v0, off, s[0:3], s32 offset:928 ; 4-byte Folded Spill
	v_and_b32_e32 v0, 0xffff0000, v5
	buffer_store_dword v4, off, s[0:3], s32 offset:992 ; 4-byte Folded Spill
	v_and_b32_e32 v4, 0xffff0000, v15
	buffer_store_dword v0, off, s[0:3], s32 offset:932 ; 4-byte Folded Spill
	v_lshlrev_b32_e32 v0, 16, v6
	buffer_store_dword v4, off, s[0:3], s32 offset:996 ; 4-byte Folded Spill
	v_lshlrev_b32_e32 v4, 16, v16
	buffer_store_dword v0, off, s[0:3], s32 offset:936 ; 4-byte Folded Spill
	v_and_b32_e32 v0, 0xffff0000, v6
	buffer_store_dword v4, off, s[0:3], s32 offset:1000 ; 4-byte Folded Spill
	v_and_b32_e32 v4, 0xffff0000, v16
	buffer_store_dword v0, off, s[0:3], s32 offset:940 ; 4-byte Folded Spill
	v_lshlrev_b32_e32 v0, 16, v7
	buffer_store_dword v4, off, s[0:3], s32 offset:1004 ; 4-byte Folded Spill
	v_lshlrev_b32_e32 v4, 16, v17
	buffer_store_dword v0, off, s[0:3], s32 offset:944 ; 4-byte Folded Spill
	v_and_b32_e32 v0, 0xffff0000, v7
	buffer_store_dword v4, off, s[0:3], s32 offset:1008 ; 4-byte Folded Spill
	v_and_b32_e32 v4, 0xffff0000, v17
	buffer_store_dword v0, off, s[0:3], s32 offset:948 ; 4-byte Folded Spill
	v_lshlrev_b32_e32 v0, 16, v10
	buffer_store_dword v4, off, s[0:3], s32 offset:1012 ; 4-byte Folded Spill
	ds_read_b128 v[4:7], v19 offset:80
	buffer_store_dword v0, off, s[0:3], s32 offset:952 ; 4-byte Folded Spill
	v_and_b32_e32 v0, 0xffff0000, v10
	buffer_store_dword v0, off, s[0:3], s32 offset:956 ; 4-byte Folded Spill
	v_lshlrev_b32_e32 v0, 16, v11
	buffer_store_dword v0, off, s[0:3], s32 offset:960 ; 4-byte Folded Spill
	v_and_b32_e32 v0, 0xffff0000, v11
	buffer_store_dword v0, off, s[0:3], s32 offset:964 ; 4-byte Folded Spill
	v_lshlrev_b32_e32 v0, 16, v12
	;; [unrolled: 4-line block ×4, first 2 shown]
	buffer_store_dword v0, off, s[0:3], s32 offset:984 ; 4-byte Folded Spill
	ds_read_b128 v[0:3], v19 offset:64
	s_waitcnt lgkmcnt(0)
	v_lshlrev_b32_e32 v10, 16, v0
	v_and_b32_e32 v0, 0xffff0000, v0
	buffer_store_dword v10, off, s[0:3], s32 offset:1016 ; 4-byte Folded Spill
	buffer_store_dword v0, off, s[0:3], s32 offset:1020 ; 4-byte Folded Spill
	v_lshlrev_b32_e32 v0, 16, v1
	buffer_store_dword v0, off, s[0:3], s32 offset:1024 ; 4-byte Folded Spill
	v_and_b32_e32 v0, 0xffff0000, v1
	buffer_store_dword v0, off, s[0:3], s32 offset:1028 ; 4-byte Folded Spill
	v_lshlrev_b32_e32 v0, 16, v2
	buffer_store_dword v0, off, s[0:3], s32 offset:1032 ; 4-byte Folded Spill
	v_and_b32_e32 v0, 0xffff0000, v2
	;; [unrolled: 4-line block ×7, first 2 shown]
	buffer_store_dword v0, off, s[0:3], s32 offset:1076 ; 4-byte Folded Spill
	ds_read_b128 v[0:3], v19 offset:96
	ds_read_b128 v[4:7], v19 offset:112
	s_waitcnt lgkmcnt(1)
	v_lshlrev_b32_e32 v10, 16, v0
	v_and_b32_e32 v0, 0xffff0000, v0
	buffer_store_dword v10, off, s[0:3], s32 offset:1080 ; 4-byte Folded Spill
	buffer_store_dword v0, off, s[0:3], s32 offset:1084 ; 4-byte Folded Spill
	v_lshlrev_b32_e32 v0, 16, v1
	buffer_store_dword v0, off, s[0:3], s32 offset:1088 ; 4-byte Folded Spill
	v_and_b32_e32 v0, 0xffff0000, v1
	buffer_store_dword v0, off, s[0:3], s32 offset:1092 ; 4-byte Folded Spill
	v_lshlrev_b32_e32 v0, 16, v2
	buffer_store_dword v0, off, s[0:3], s32 offset:1096 ; 4-byte Folded Spill
	v_and_b32_e32 v0, 0xffff0000, v2
	buffer_store_dword v0, off, s[0:3], s32 offset:1100 ; 4-byte Folded Spill
	v_lshlrev_b32_e32 v0, 16, v3
	buffer_store_dword v0, off, s[0:3], s32 offset:1104 ; 4-byte Folded Spill
	v_and_b32_e32 v0, 0xffff0000, v3
	buffer_store_dword v0, off, s[0:3], s32 offset:1108 ; 4-byte Folded Spill
	s_waitcnt lgkmcnt(0)
	v_lshlrev_b32_e32 v0, 16, v4
	buffer_store_dword v0, off, s[0:3], s32 offset:1112 ; 4-byte Folded Spill
	v_and_b32_e32 v0, 0xffff0000, v4
	buffer_store_dword v0, off, s[0:3], s32 offset:1116 ; 4-byte Folded Spill
	v_lshlrev_b32_e32 v0, 16, v5
	buffer_store_dword v0, off, s[0:3], s32 offset:1120 ; 4-byte Folded Spill
	v_and_b32_e32 v0, 0xffff0000, v5
	buffer_store_dword v0, off, s[0:3], s32 offset:1124 ; 4-byte Folded Spill
	v_lshlrev_b32_e32 v0, 16, v6
	buffer_store_dword v0, off, s[0:3], s32 offset:1128 ; 4-byte Folded Spill
	v_and_b32_e32 v0, 0xffff0000, v6
	buffer_store_dword v0, off, s[0:3], s32 offset:1132 ; 4-byte Folded Spill
	v_lshlrev_b32_e32 v0, 16, v7
	buffer_store_dword v0, off, s[0:3], s32 offset:1136 ; 4-byte Folded Spill
	v_and_b32_e32 v0, 0xffff0000, v7
	buffer_store_dword v0, off, s[0:3], s32 offset:1140 ; 4-byte Folded Spill
	ds_read_b128 v[0:3], v19 offset:128
	ds_read_b128 v[4:7], v19 offset:144
	s_waitcnt lgkmcnt(1)
	v_lshlrev_b32_e32 v10, 16, v0
	v_and_b32_e32 v0, 0xffff0000, v0
	buffer_store_dword v10, off, s[0:3], s32 offset:1144 ; 4-byte Folded Spill
	buffer_store_dword v0, off, s[0:3], s32 offset:1148 ; 4-byte Folded Spill
	v_lshlrev_b32_e32 v0, 16, v1
	buffer_store_dword v0, off, s[0:3], s32 offset:1152 ; 4-byte Folded Spill
	v_and_b32_e32 v0, 0xffff0000, v1
	buffer_store_dword v0, off, s[0:3], s32 offset:1156 ; 4-byte Folded Spill
	v_lshlrev_b32_e32 v0, 16, v2
	buffer_store_dword v0, off, s[0:3], s32 offset:1160 ; 4-byte Folded Spill
	v_and_b32_e32 v0, 0xffff0000, v2
	buffer_store_dword v0, off, s[0:3], s32 offset:1164 ; 4-byte Folded Spill
	v_lshlrev_b32_e32 v0, 16, v3
	buffer_store_dword v0, off, s[0:3], s32 offset:1168 ; 4-byte Folded Spill
	v_and_b32_e32 v0, 0xffff0000, v3
	buffer_store_dword v0, off, s[0:3], s32 offset:1172 ; 4-byte Folded Spill
	s_waitcnt lgkmcnt(0)
	v_lshlrev_b32_e32 v0, 16, v4
	buffer_store_dword v0, off, s[0:3], s32 offset:1176 ; 4-byte Folded Spill
	v_and_b32_e32 v0, 0xffff0000, v4
	buffer_store_dword v0, off, s[0:3], s32 offset:1180 ; 4-byte Folded Spill
	v_lshlrev_b32_e32 v0, 16, v5
	buffer_store_dword v0, off, s[0:3], s32 offset:1184 ; 4-byte Folded Spill
	v_and_b32_e32 v0, 0xffff0000, v5
	buffer_store_dword v0, off, s[0:3], s32 offset:1188 ; 4-byte Folded Spill
	v_lshlrev_b32_e32 v0, 16, v6
	buffer_store_dword v0, off, s[0:3], s32 offset:1192 ; 4-byte Folded Spill
	v_and_b32_e32 v0, 0xffff0000, v6
	buffer_store_dword v0, off, s[0:3], s32 offset:1196 ; 4-byte Folded Spill
	v_lshlrev_b32_e32 v0, 16, v7
	buffer_store_dword v0, off, s[0:3], s32 offset:1200 ; 4-byte Folded Spill
	v_and_b32_e32 v0, 0xffff0000, v7
	;; [unrolled: 36-line block ×8, first 2 shown]
	buffer_store_dword v0, off, s[0:3], s32 offset:1588 ; 4-byte Folded Spill
	ds_read_b128 v[0:3], v19 offset:352
	ds_read_b128 v[4:7], v19 offset:368
	s_waitcnt lgkmcnt(1)
	v_lshlrev_b32_e32 v10, 16, v0
	v_and_b32_e32 v0, 0xffff0000, v0
	buffer_store_dword v10, off, s[0:3], s32 offset:1592 ; 4-byte Folded Spill
	buffer_store_dword v0, off, s[0:3], s32 offset:1596 ; 4-byte Folded Spill
	v_lshlrev_b32_e32 v0, 16, v1
	v_mov_b32_e32 v10, 0xff7fffff
	buffer_store_dword v0, off, s[0:3], s32 offset:1600 ; 4-byte Folded Spill
	v_and_b32_e32 v0, 0xffff0000, v1
	buffer_load_dword v1, off, s[0:3], s32 offset:1716 ; 4-byte Folded Reload
	buffer_store_dword v0, off, s[0:3], s32 offset:1604 ; 4-byte Folded Spill
	v_lshlrev_b32_e32 v0, 16, v2
	buffer_store_dword v0, off, s[0:3], s32 offset:1608 ; 4-byte Folded Spill
	v_and_b32_e32 v0, 0xffff0000, v2
	buffer_store_dword v0, off, s[0:3], s32 offset:1612 ; 4-byte Folded Spill
	v_lshlrev_b32_e32 v0, 16, v3
	buffer_store_dword v0, off, s[0:3], s32 offset:1616 ; 4-byte Folded Spill
	v_and_b32_e32 v0, 0xffff0000, v3
	buffer_store_dword v0, off, s[0:3], s32 offset:1620 ; 4-byte Folded Spill
	s_waitcnt lgkmcnt(0)
	v_lshlrev_b32_e32 v0, 16, v4
	buffer_store_dword v0, off, s[0:3], s32 offset:1624 ; 4-byte Folded Spill
	v_and_b32_e32 v0, 0xffff0000, v4
	buffer_load_dword v4, off, s[0:3], s32 offset:856 ; 4-byte Folded Reload
	buffer_store_dword v0, off, s[0:3], s32 offset:1628 ; 4-byte Folded Spill
	v_lshlrev_b32_e32 v0, 16, v5
	buffer_store_dword v0, off, s[0:3], s32 offset:1632 ; 4-byte Folded Spill
	v_and_b32_e32 v0, 0xffff0000, v5
	v_mov_b32_e32 v5, 0x80
	buffer_store_dword v0, off, s[0:3], s32 offset:1636 ; 4-byte Folded Spill
	v_lshlrev_b32_e32 v0, 16, v6
	buffer_store_dword v0, off, s[0:3], s32 offset:1640 ; 4-byte Folded Spill
	v_and_b32_e32 v0, 0xffff0000, v6
	buffer_store_dword v0, off, s[0:3], s32 offset:1644 ; 4-byte Folded Spill
	v_lshlrev_b32_e32 v0, 16, v7
	buffer_store_dword v0, off, s[0:3], s32 offset:1648 ; 4-byte Folded Spill
	v_and_b32_e32 v0, 0xffff0000, v7
	buffer_store_dword v0, off, s[0:3], s32 offset:1652 ; 4-byte Folded Spill
	buffer_load_dword v0, off, s[0:3], s32 offset:1712 ; 4-byte Folded Reload
	s_waitcnt vmcnt(1)
	v_lshlrev_b32_e32 v2, 4, v4
	s_waitcnt vmcnt(0)
	v_add_co_u32 v0, vcc_lo, v8, v0
	v_add_co_ci_u32_e64 v1, null, v9, v1, vcc_lo
	v_add_co_u32 v0, vcc_lo, v0, v2
	v_add_co_ci_u32_e64 v1, null, 0, v1, vcc_lo
	buffer_store_dword v0, off, s[0:3], s32 offset:1656 ; 4-byte Folded Spill
	buffer_store_dword v1, off, s[0:3], s32 offset:1660 ; 4-byte Folded Spill
	s_clause 0x3
	buffer_load_dword v0, off, s[0:3], s32 offset:1692
	buffer_load_dword v1, off, s[0:3], s32 offset:1696
	;; [unrolled: 1-line block ×4, first 2 shown]
	s_waitcnt vmcnt(3)
	v_mov_b32_e32 v6, v0
	v_ashrrev_i32_e32 v7, 31, v6
	s_waitcnt vmcnt(2)
	v_lshlrev_b64 v[0:1], 2, v[6:7]
	s_waitcnt vmcnt(1)
	v_add_co_u32 v0, vcc_lo, v2, v0
	s_waitcnt vmcnt(0)
	v_add_co_ci_u32_e64 v1, null, v3, v1, vcc_lo
	s_clause 0x1
	buffer_load_dword v2, off, s[0:3], s32 offset:1668
	buffer_load_dword v3, off, s[0:3], s32 offset:1728
	s_waitcnt vmcnt(0)
	v_max_i32_e32 v3, v2, v3
	v_cvt_f32_u32_e32 v2, v3
	buffer_store_dword v3, off, s[0:3], s32 offset:532 ; 4-byte Folded Spill
	v_sub_nc_u32_e32 v3, 0, v3
	v_rcp_iflag_f32_e32 v2, v2
	v_mul_f32_e32 v2, 0x4f7ffffe, v2
	v_cvt_u32_f32_e32 v2, v2
	v_mul_lo_u32 v3, v3, v2
	v_mul_hi_u32 v3, v2, v3
	v_add_nc_u32_e32 v2, v2, v3
	buffer_store_dword v2, off, s[0:3], s32 offset:536 ; 4-byte Folded Spill
	buffer_load_dword v2, off, s[0:3], s32 offset:1680 ; 4-byte Folded Reload
	s_waitcnt vmcnt(0)
	v_add_co_u32 v2, vcc_lo, v2, v0
	buffer_load_dword v0, off, s[0:3], s32 offset:1676 ; 4-byte Folded Reload
	s_waitcnt vmcnt(0)
	v_add_co_ci_u32_e64 v3, null, v0, v1, vcc_lo
	buffer_store_dword v2, off, s[0:3], s32 offset:200 ; 4-byte Folded Spill
	buffer_store_dword v3, off, s[0:3], s32 offset:204 ; 4-byte Folded Spill
	buffer_load_dword v0, off, s[0:3], s32 offset:884 ; 4-byte Folded Reload
	s_load_dword s24, s[8:9], 0x0
	v_mov_b32_e32 v2, v6
	buffer_store_dword v18, off, s[0:3], s32 offset:1748 ; 4-byte Folded Spill
	s_waitcnt vmcnt(0)
	v_cmp_neq_f32_e32 vcc_lo, 0, v0
	v_sub_nc_u32_e32 v0, v4, v92
	v_add_nc_u32_e32 v0, 1, v0
	buffer_store_dword v0, off, s[0:3], s32 offset:1664 ; 4-byte Folded Spill
	buffer_load_dword v0, off, s[0:3], s32 offset:1672 ; 4-byte Folded Reload
	s_waitcnt vmcnt(0)
	v_lshl_add_u32 v7, v0, 5, s22
	v_lshl_or_b32 v8, v0, 7, v18
	v_mov_b32_e32 v0, v6
	buffer_store_dword v0, off, s[0:3], s32 offset:1692 ; 4-byte Folded Spill
	buffer_store_dword v1, off, s[0:3], s32 offset:1696 ; 4-byte Folded Spill
	s_branch .LBB382_16
.LBB382_11:                             ;   in Loop: Header=BB382_16 Depth=1
	s_or_b32 exec_lo, exec_lo, s28
	v_mov_b32_e32 v16, 24
	v_lshl_add_u32 v28, v28, 23, 0x3c000000
	v_lshlrev_b32_sdwa v18, v16, v29 dst_sel:DWORD dst_unused:UNUSED_PAD src0_sel:DWORD src1_sel:BYTE_3
	v_lshlrev_b32_e32 v29, 20, v31
	v_and_b32_e32 v18, 0x80000000, v18
	v_or3_b32 v16, v29, v18, v28
.LBB382_12:                             ;   in Loop: Header=BB382_16 Depth=1
	s_or_b32 exec_lo, exec_lo, s27
.LBB382_13:                             ;   in Loop: Header=BB382_16 Depth=1
	s_or_b32 exec_lo, exec_lo, s26
.LBB382_14:                             ;   in Loop: Header=BB382_16 Depth=1
	s_or_b32 exec_lo, exec_lo, s25
	v_mul_f32_e32 v6, v30, v6
	v_mul_f32_e32 v3, v30, v3
	;; [unrolled: 1-line block ×5, first 2 shown]
	v_bfe_u32 v18, v6, 16, 1
	v_or_b32_e32 v28, 0x400000, v6
	v_cmp_u_f32_e64 s5, v6, v6
	v_mul_f32_e32 v10, v30, v10
	v_mul_f32_e32 v16, v30, v16
	v_add3_u32 v18, v18, v6, 0x7fff
	v_cndmask_b32_e64 v6, v18, v28, s5
	buffer_store_dword v6, off, s[0:3], s32 offset:556 ; 4-byte Folded Spill
	v_mul_f32_e32 v6, v30, v15
	v_bfe_u32 v15, v6, 16, 1
	v_or_b32_e32 v18, 0x400000, v6
	v_cmp_u_f32_e64 s5, v6, v6
	v_add3_u32 v15, v15, v6, 0x7fff
	v_cndmask_b32_e64 v6, v15, v18, s5
	buffer_store_dword v6, off, s[0:3], s32 offset:560 ; 4-byte Folded Spill
	v_mul_f32_e32 v6, v30, v110
	v_bfe_u32 v15, v6, 16, 1
	v_or_b32_e32 v18, 0x400000, v6
	v_cmp_u_f32_e64 s5, v6, v6
	;; [unrolled: 7-line block ×9, first 2 shown]
	v_add3_u32 v15, v15, v6, 0x7fff
	v_cndmask_b32_e64 v6, v15, v18, s5
	buffer_store_dword v6, off, s[0:3], s32 offset:600 ; 4-byte Folded Spill
	v_mul_f32_e32 v6, v30, v21
	buffer_load_dword v21, off, s[0:3], s32 offset:304 ; 4-byte Folded Reload
	v_bfe_u32 v15, v6, 16, 1
	v_or_b32_e32 v18, 0x400000, v6
	v_cmp_u_f32_e64 s5, v6, v6
	v_add3_u32 v15, v15, v6, 0x7fff
	v_cndmask_b32_e64 v6, v15, v18, s5
	buffer_store_dword v6, off, s[0:3], s32 offset:604 ; 4-byte Folded Spill
	v_mul_f32_e32 v6, v30, v67
	v_bfe_u32 v15, v6, 16, 1
	v_or_b32_e32 v18, 0x400000, v6
	v_cmp_u_f32_e64 s5, v6, v6
	v_add3_u32 v15, v15, v6, 0x7fff
	v_cndmask_b32_e64 v6, v15, v18, s5
	buffer_store_dword v6, off, s[0:3], s32 offset:612 ; 4-byte Folded Spill
	v_mul_f32_e32 v6, v30, v71
	;; [unrolled: 7-line block ×9, first 2 shown]
	v_bfe_u32 v15, v6, 16, 1
	v_or_b32_e32 v18, 0x400000, v6
	v_cmp_u_f32_e64 s5, v6, v6
	v_add3_u32 v15, v15, v6, 0x7fff
	v_cndmask_b32_e64 v6, v15, v18, s5
	v_or_b32_e32 v15, 0x400000, v3
	v_cmp_u_f32_e64 s5, v3, v3
	buffer_store_dword v6, off, s[0:3], s32 offset:648 ; 4-byte Folded Spill
	v_bfe_u32 v6, v3, 16, 1
	v_add3_u32 v6, v6, v3, 0x7fff
	v_cndmask_b32_e64 v3, v6, v15, s5
	v_or_b32_e32 v6, 0x400000, v2
	v_cmp_u_f32_e64 s5, v2, v2
	buffer_store_dword v3, off, s[0:3], s32 offset:656 ; 4-byte Folded Spill
	v_bfe_u32 v3, v2, 16, 1
	v_add3_u32 v3, v3, v2, 0x7fff
	v_cndmask_b32_e64 v2, v3, v6, s5
	buffer_store_dword v2, off, s[0:3], s32 offset:664 ; 4-byte Folded Spill
	v_mul_f32_e32 v2, v30, v97
	v_bfe_u32 v3, v2, 16, 1
	v_or_b32_e32 v6, 0x400000, v2
	v_cmp_u_f32_e64 s5, v2, v2
	v_add3_u32 v3, v3, v2, 0x7fff
	v_cndmask_b32_e64 v2, v3, v6, s5
	buffer_store_dword v2, off, s[0:3], s32 offset:652 ; 4-byte Folded Spill
	v_mul_f32_e32 v2, v30, v51
	v_bfe_u32 v3, v2, 16, 1
	v_or_b32_e32 v6, 0x400000, v2
	v_cmp_u_f32_e64 s5, v2, v2
	v_add3_u32 v3, v3, v2, 0x7fff
	v_cndmask_b32_e64 v2, v3, v6, s5
	buffer_store_dword v2, off, s[0:3], s32 offset:660 ; 4-byte Folded Spill
	v_mul_f32_e32 v2, v30, v7
	v_bfe_u32 v3, v2, 16, 1
	v_or_b32_e32 v6, 0x400000, v2
	v_cmp_u_f32_e64 s5, v2, v2
	v_add3_u32 v3, v3, v2, 0x7fff
	v_cndmask_b32_e64 v2, v3, v6, s5
	buffer_store_dword v2, off, s[0:3], s32 offset:668 ; 4-byte Folded Spill
	v_mul_f32_e32 v2, v30, v17
	v_bfe_u32 v3, v2, 16, 1
	v_or_b32_e32 v6, 0x400000, v2
	v_cmp_u_f32_e64 s5, v2, v2
	v_add3_u32 v3, v3, v2, 0x7fff
	v_cndmask_b32_e64 v2, v3, v6, s5
	buffer_store_dword v2, off, s[0:3], s32 offset:672 ; 4-byte Folded Spill
	v_mul_f32_e32 v2, v30, v49
	v_bfe_u32 v3, v2, 16, 1
	v_or_b32_e32 v6, 0x400000, v2
	v_cmp_u_f32_e64 s5, v2, v2
	v_add3_u32 v3, v3, v2, 0x7fff
	v_cndmask_b32_e64 v2, v3, v6, s5
	buffer_store_dword v2, off, s[0:3], s32 offset:676 ; 4-byte Folded Spill
	v_mul_f32_e32 v2, v30, v56
	v_bfe_u32 v3, v2, 16, 1
	v_or_b32_e32 v6, 0x400000, v2
	v_cmp_u_f32_e64 s5, v2, v2
	v_add3_u32 v3, v3, v2, 0x7fff
	v_cndmask_b32_e64 v2, v3, v6, s5
	buffer_store_dword v2, off, s[0:3], s32 offset:680 ; 4-byte Folded Spill
	v_mul_f32_e32 v2, v30, v45
	v_bfe_u32 v3, v2, 16, 1
	v_or_b32_e32 v6, 0x400000, v2
	v_cmp_u_f32_e64 s5, v2, v2
	v_add3_u32 v3, v3, v2, 0x7fff
	v_cndmask_b32_e64 v2, v3, v6, s5
	buffer_store_dword v2, off, s[0:3], s32 offset:688 ; 4-byte Folded Spill
	v_mul_f32_e32 v2, v30, v47
	v_bfe_u32 v3, v2, 16, 1
	v_or_b32_e32 v6, 0x400000, v2
	v_cmp_u_f32_e64 s5, v2, v2
	v_add3_u32 v3, v3, v2, 0x7fff
	v_cndmask_b32_e64 v2, v3, v6, s5
	buffer_store_dword v2, off, s[0:3], s32 offset:696 ; 4-byte Folded Spill
	v_mul_f32_e32 v2, v30, v43
	v_bfe_u32 v3, v2, 16, 1
	v_or_b32_e32 v6, 0x400000, v2
	v_cmp_u_f32_e64 s5, v2, v2
	v_add3_u32 v3, v3, v2, 0x7fff
	v_cndmask_b32_e64 v2, v3, v6, s5
	buffer_store_dword v2, off, s[0:3], s32 offset:684 ; 4-byte Folded Spill
	v_mul_f32_e32 v2, v30, v46
	v_bfe_u32 v3, v2, 16, 1
	v_or_b32_e32 v6, 0x400000, v2
	v_cmp_u_f32_e64 s5, v2, v2
	v_add3_u32 v3, v3, v2, 0x7fff
	v_cndmask_b32_e64 v2, v3, v6, s5
	buffer_store_dword v2, off, s[0:3], s32 offset:692 ; 4-byte Folded Spill
	v_mul_f32_e32 v2, v30, v58
	v_bfe_u32 v3, v2, 16, 1
	v_or_b32_e32 v6, 0x400000, v2
	v_cmp_u_f32_e64 s5, v2, v2
	v_add3_u32 v3, v3, v2, 0x7fff
	v_cndmask_b32_e64 v2, v3, v6, s5
	buffer_store_dword v2, off, s[0:3], s32 offset:700 ; 4-byte Folded Spill
	v_mul_f32_e32 v2, v30, v42
	v_bfe_u32 v3, v2, 16, 1
	v_or_b32_e32 v6, 0x400000, v2
	v_cmp_u_f32_e64 s5, v2, v2
	v_add3_u32 v3, v3, v2, 0x7fff
	v_cndmask_b32_e64 v2, v3, v6, s5
	buffer_store_dword v2, off, s[0:3], s32 offset:704 ; 4-byte Folded Spill
	v_mul_f32_e32 v2, v30, v61
	v_bfe_u32 v3, v2, 16, 1
	v_or_b32_e32 v6, 0x400000, v2
	v_cmp_u_f32_e64 s5, v2, v2
	v_add3_u32 v3, v3, v2, 0x7fff
	v_cndmask_b32_e64 v2, v3, v6, s5
	buffer_store_dword v2, off, s[0:3], s32 offset:708 ; 4-byte Folded Spill
	v_mul_f32_e32 v2, v30, v40
	v_bfe_u32 v3, v2, 16, 1
	v_or_b32_e32 v6, 0x400000, v2
	v_cmp_u_f32_e64 s5, v2, v2
	v_add3_u32 v3, v3, v2, 0x7fff
	v_cndmask_b32_e64 v2, v3, v6, s5
	buffer_store_dword v2, off, s[0:3], s32 offset:712 ; 4-byte Folded Spill
	v_mul_f32_e32 v2, v30, v117
	v_bfe_u32 v3, v2, 16, 1
	v_or_b32_e32 v6, 0x400000, v2
	v_cmp_u_f32_e64 s5, v2, v2
	v_add3_u32 v3, v3, v2, 0x7fff
	v_cndmask_b32_e64 v2, v3, v6, s5
	buffer_store_dword v2, off, s[0:3], s32 offset:720 ; 4-byte Folded Spill
	v_mul_f32_e32 v2, v30, v119
	v_bfe_u32 v3, v2, 16, 1
	v_or_b32_e32 v6, 0x400000, v2
	v_cmp_u_f32_e64 s5, v2, v2
	v_add3_u32 v3, v3, v2, 0x7fff
	v_cndmask_b32_e64 v2, v3, v6, s5
	buffer_store_dword v2, off, s[0:3], s32 offset:732 ; 4-byte Folded Spill
	v_mul_f32_e32 v2, v30, v62
	v_bfe_u32 v3, v2, 16, 1
	v_or_b32_e32 v6, 0x400000, v2
	v_cmp_u_f32_e64 s5, v2, v2
	v_add3_u32 v3, v3, v2, 0x7fff
	v_cndmask_b32_e64 v2, v3, v6, s5
	buffer_store_dword v2, off, s[0:3], s32 offset:716 ; 4-byte Folded Spill
	v_mul_f32_e32 v2, v30, v118
	v_bfe_u32 v3, v2, 16, 1
	v_or_b32_e32 v6, 0x400000, v2
	v_cmp_u_f32_e64 s5, v2, v2
	v_add3_u32 v3, v3, v2, 0x7fff
	v_cndmask_b32_e64 v2, v3, v6, s5
	buffer_store_dword v2, off, s[0:3], s32 offset:724 ; 4-byte Folded Spill
	v_mul_f32_e32 v2, v30, v14
	v_bfe_u32 v3, v2, 16, 1
	v_or_b32_e32 v6, 0x400000, v2
	v_cmp_u_f32_e64 s5, v2, v2
	v_add3_u32 v3, v3, v2, 0x7fff
	v_cndmask_b32_e64 v2, v3, v6, s5
	buffer_store_dword v2, off, s[0:3], s32 offset:736 ; 4-byte Folded Spill
	v_mul_f32_e32 v2, v30, v114
	v_bfe_u32 v3, v2, 16, 1
	v_or_b32_e32 v6, 0x400000, v2
	v_cmp_u_f32_e64 s5, v2, v2
	v_add3_u32 v3, v3, v2, 0x7fff
	v_cndmask_b32_e64 v2, v3, v6, s5
	buffer_store_dword v2, off, s[0:3], s32 offset:740 ; 4-byte Folded Spill
	v_mul_f32_e32 v2, v30, v113
	v_bfe_u32 v3, v2, 16, 1
	v_or_b32_e32 v6, 0x400000, v2
	v_cmp_u_f32_e64 s5, v2, v2
	v_add3_u32 v3, v3, v2, 0x7fff
	v_cndmask_b32_e64 v2, v3, v6, s5
	buffer_store_dword v2, off, s[0:3], s32 offset:744 ; 4-byte Folded Spill
	v_mul_f32_e32 v2, v30, v112
	v_bfe_u32 v3, v2, 16, 1
	v_or_b32_e32 v6, 0x400000, v2
	v_cmp_u_f32_e64 s5, v2, v2
	v_add3_u32 v3, v3, v2, 0x7fff
	v_cndmask_b32_e64 v2, v3, v6, s5
	buffer_store_dword v2, off, s[0:3], s32 offset:748 ; 4-byte Folded Spill
	v_mul_f32_e32 v2, v30, v101
	v_bfe_u32 v3, v2, 16, 1
	v_or_b32_e32 v6, 0x400000, v2
	v_cmp_u_f32_e64 s5, v2, v2
	v_add3_u32 v3, v3, v2, 0x7fff
	v_cndmask_b32_e64 v2, v3, v6, s5
	buffer_store_dword v2, off, s[0:3], s32 offset:756 ; 4-byte Folded Spill
	v_mul_f32_e32 v2, v30, v103
	v_bfe_u32 v3, v2, 16, 1
	v_or_b32_e32 v6, 0x400000, v2
	v_cmp_u_f32_e64 s5, v2, v2
	v_add3_u32 v3, v3, v2, 0x7fff
	v_cndmask_b32_e64 v2, v3, v6, s5
	buffer_store_dword v2, off, s[0:3], s32 offset:764 ; 4-byte Folded Spill
	v_mul_f32_e32 v2, v30, v99
	v_bfe_u32 v3, v2, 16, 1
	v_or_b32_e32 v6, 0x400000, v2
	v_cmp_u_f32_e64 s5, v2, v2
	v_add3_u32 v3, v3, v2, 0x7fff
	v_cndmask_b32_e64 v2, v3, v6, s5
	buffer_store_dword v2, off, s[0:3], s32 offset:752 ; 4-byte Folded Spill
	v_mul_f32_e32 v2, v30, v60
	v_bfe_u32 v3, v2, 16, 1
	v_or_b32_e32 v6, 0x400000, v2
	v_cmp_u_f32_e64 s5, v2, v2
	v_add3_u32 v3, v3, v2, 0x7fff
	v_cndmask_b32_e64 v2, v3, v6, s5
	buffer_store_dword v2, off, s[0:3], s32 offset:760 ; 4-byte Folded Spill
	v_mul_f32_e32 v2, v30, v44
	v_bfe_u32 v3, v2, 16, 1
	v_or_b32_e32 v6, 0x400000, v2
	v_cmp_u_f32_e64 s5, v2, v2
	v_add3_u32 v3, v3, v2, 0x7fff
	v_cndmask_b32_e64 v2, v3, v6, s5
	buffer_store_dword v2, off, s[0:3], s32 offset:768 ; 4-byte Folded Spill
	v_mul_f32_e32 v2, v30, v98
	v_bfe_u32 v3, v2, 16, 1
	v_or_b32_e32 v6, 0x400000, v2
	v_cmp_u_f32_e64 s5, v2, v2
	v_add3_u32 v3, v3, v2, 0x7fff
	v_cndmask_b32_e64 v2, v3, v6, s5
	buffer_store_dword v2, off, s[0:3], s32 offset:772 ; 4-byte Folded Spill
	v_mul_f32_e32 v2, v30, v52
	v_bfe_u32 v3, v2, 16, 1
	v_or_b32_e32 v6, 0x400000, v2
	v_cmp_u_f32_e64 s5, v2, v2
	v_add3_u32 v3, v3, v2, 0x7fff
	v_cndmask_b32_e64 v2, v3, v6, s5
	buffer_store_dword v2, off, s[0:3], s32 offset:776 ; 4-byte Folded Spill
	v_mul_f32_e32 v2, v30, v63
	v_bfe_u32 v3, v2, 16, 1
	v_or_b32_e32 v6, 0x400000, v2
	v_cmp_u_f32_e64 s5, v2, v2
	v_add3_u32 v3, v3, v2, 0x7fff
	v_cndmask_b32_e64 v2, v3, v6, s5
	buffer_store_dword v2, off, s[0:3], s32 offset:780 ; 4-byte Folded Spill
	v_mul_f32_e32 v2, v30, v11
	v_bfe_u32 v3, v2, 16, 1
	v_or_b32_e32 v6, 0x400000, v2
	v_cmp_u_f32_e64 s5, v2, v2
	v_add3_u32 v3, v3, v2, 0x7fff
	v_cndmask_b32_e64 v2, v3, v6, s5
	buffer_store_dword v2, off, s[0:3], s32 offset:788 ; 4-byte Folded Spill
	v_mul_f32_e32 v2, v30, v72
	v_bfe_u32 v3, v2, 16, 1
	v_or_b32_e32 v6, 0x400000, v2
	v_cmp_u_f32_e64 s5, v2, v2
	v_add3_u32 v3, v3, v2, 0x7fff
	v_cndmask_b32_e64 v2, v3, v6, s5
	buffer_store_dword v2, off, s[0:3], s32 offset:796 ; 4-byte Folded Spill
	v_mul_f32_e32 v2, v30, v86
	v_bfe_u32 v3, v2, 16, 1
	v_or_b32_e32 v6, 0x400000, v2
	v_cmp_u_f32_e64 s5, v2, v2
	v_add3_u32 v3, v3, v2, 0x7fff
	v_cndmask_b32_e64 v2, v3, v6, s5
	buffer_store_dword v2, off, s[0:3], s32 offset:784 ; 4-byte Folded Spill
	v_mul_f32_e32 v2, v30, v96
	v_bfe_u32 v3, v2, 16, 1
	v_or_b32_e32 v6, 0x400000, v2
	v_cmp_u_f32_e64 s5, v2, v2
	v_add3_u32 v3, v3, v2, 0x7fff
	v_cndmask_b32_e64 v2, v3, v6, s5
	buffer_store_dword v2, off, s[0:3], s32 offset:792 ; 4-byte Folded Spill
	v_mul_f32_e32 v2, v30, v116
	v_bfe_u32 v3, v2, 16, 1
	v_or_b32_e32 v6, 0x400000, v2
	v_cmp_u_f32_e64 s5, v2, v2
	v_add3_u32 v3, v3, v2, 0x7fff
	v_cndmask_b32_e64 v2, v3, v6, s5
	buffer_store_dword v2, off, s[0:3], s32 offset:800 ; 4-byte Folded Spill
	v_mul_f32_e32 v2, v30, v85
	v_bfe_u32 v3, v2, 16, 1
	v_or_b32_e32 v6, 0x400000, v2
	v_cmp_u_f32_e64 s5, v2, v2
	v_add3_u32 v3, v3, v2, 0x7fff
	v_cndmask_b32_e64 v2, v3, v6, s5
	buffer_store_dword v2, off, s[0:3], s32 offset:804 ; 4-byte Folded Spill
	v_mul_f32_e32 v2, v30, v84
	v_bfe_u32 v3, v2, 16, 1
	v_or_b32_e32 v6, 0x400000, v2
	v_cmp_u_f32_e64 s5, v2, v2
	v_add3_u32 v3, v3, v2, 0x7fff
	v_cndmask_b32_e64 v2, v3, v6, s5
	buffer_store_dword v2, off, s[0:3], s32 offset:808 ; 4-byte Folded Spill
	v_mul_f32_e32 v2, v30, v83
	v_bfe_u32 v3, v2, 16, 1
	v_or_b32_e32 v6, 0x400000, v2
	v_cmp_u_f32_e64 s5, v2, v2
	v_add3_u32 v3, v3, v2, 0x7fff
	v_cndmask_b32_e64 v2, v3, v6, s5
	buffer_store_dword v2, off, s[0:3], s32 offset:812 ; 4-byte Folded Spill
	v_mul_f32_e32 v2, v30, v50
	v_bfe_u32 v3, v2, 16, 1
	v_or_b32_e32 v6, 0x400000, v2
	v_cmp_u_f32_e64 s5, v2, v2
	v_add3_u32 v3, v3, v2, 0x7fff
	v_cndmask_b32_e64 v2, v3, v6, s5
	buffer_store_dword v2, off, s[0:3], s32 offset:820 ; 4-byte Folded Spill
	v_mul_f32_e32 v2, v30, v36
	v_bfe_u32 v3, v2, 16, 1
	v_or_b32_e32 v6, 0x400000, v2
	v_cmp_u_f32_e64 s5, v2, v2
	v_add3_u32 v3, v3, v2, 0x7fff
	v_cndmask_b32_e64 v2, v3, v6, s5
	buffer_store_dword v2, off, s[0:3], s32 offset:828 ; 4-byte Folded Spill
	v_mul_f32_e32 v2, v30, v35
	v_bfe_u32 v3, v2, 16, 1
	v_or_b32_e32 v6, 0x400000, v2
	v_cmp_u_f32_e64 s5, v2, v2
	v_add3_u32 v3, v3, v2, 0x7fff
	v_cndmask_b32_e64 v2, v3, v6, s5
	buffer_store_dword v2, off, s[0:3], s32 offset:816 ; 4-byte Folded Spill
	v_mul_f32_e32 v2, v30, v53
	v_bfe_u32 v3, v2, 16, 1
	v_or_b32_e32 v6, 0x400000, v2
	v_cmp_u_f32_e64 s5, v2, v2
	v_add3_u32 v3, v3, v2, 0x7fff
	v_cndmask_b32_e64 v2, v3, v6, s5
	buffer_store_dword v2, off, s[0:3], s32 offset:824 ; 4-byte Folded Spill
	v_mul_f32_e32 v2, v30, v93
	v_bfe_u32 v3, v2, 16, 1
	v_or_b32_e32 v6, 0x400000, v2
	v_cmp_u_f32_e64 s5, v2, v2
	v_add3_u32 v3, v3, v2, 0x7fff
	v_cndmask_b32_e64 v2, v3, v6, s5
	buffer_store_dword v2, off, s[0:3], s32 offset:832 ; 4-byte Folded Spill
	v_mul_f32_e32 v2, v30, v20
	v_bfe_u32 v3, v2, 16, 1
	v_or_b32_e32 v6, 0x400000, v2
	v_cmp_u_f32_e64 s5, v2, v2
	v_add3_u32 v3, v3, v2, 0x7fff
	v_cndmask_b32_e64 v2, v3, v6, s5
	buffer_store_dword v2, off, s[0:3], s32 offset:836 ; 4-byte Folded Spill
	v_mul_f32_e32 v2, v30, v70
	v_bfe_u32 v3, v2, 16, 1
	v_or_b32_e32 v6, 0x400000, v2
	v_cmp_u_f32_e64 s5, v2, v2
	v_add3_u32 v3, v3, v2, 0x7fff
	v_cndmask_b32_e64 v2, v3, v6, s5
	buffer_store_dword v2, off, s[0:3], s32 offset:840 ; 4-byte Folded Spill
	v_mul_f32_e32 v2, v30, v80
	v_bfe_u32 v3, v2, 16, 1
	v_or_b32_e32 v6, 0x400000, v2
	v_cmp_u_f32_e64 s5, v2, v2
	v_add3_u32 v3, v3, v2, 0x7fff
	v_cndmask_b32_e64 v2, v3, v6, s5
	buffer_store_dword v2, off, s[0:3], s32 offset:844 ; 4-byte Folded Spill
	v_mul_f32_e32 v2, v30, v81
	v_bfe_u32 v3, v2, 16, 1
	v_or_b32_e32 v6, 0x400000, v2
	v_cmp_u_f32_e64 s5, v2, v2
	v_add3_u32 v3, v3, v2, 0x7fff
	v_cndmask_b32_e64 v2, v3, v6, s5
	buffer_store_dword v2, off, s[0:3], s32 offset:852 ; 4-byte Folded Spill
	v_mul_f32_e32 v2, v30, v82
	v_bfe_u32 v3, v2, 16, 1
	v_or_b32_e32 v6, 0x400000, v2
	v_cmp_u_f32_e64 s5, v2, v2
	v_add3_u32 v3, v3, v2, 0x7fff
	v_mul_f32_e32 v2, v30, v73
	v_cndmask_b32_e64 v95, v3, v6, s5
	v_bfe_u32 v3, v2, 16, 1
	v_or_b32_e32 v6, 0x400000, v2
	v_cmp_u_f32_e64 s5, v2, v2
	v_add3_u32 v3, v3, v2, 0x7fff
	v_cndmask_b32_e64 v2, v3, v6, s5
	buffer_store_dword v2, off, s[0:3], s32 offset:848 ; 4-byte Folded Spill
	v_mul_f32_e32 v2, v30, v104
	v_bfe_u32 v3, v2, 16, 1
	v_or_b32_e32 v6, 0x400000, v2
	v_cmp_u_f32_e64 s5, v2, v2
	v_add3_u32 v3, v3, v2, 0x7fff
	v_mul_f32_e32 v2, v30, v69
	v_cndmask_b32_e64 v106, v3, v6, s5
	v_bfe_u32 v3, v2, 16, 1
	v_or_b32_e32 v6, 0x400000, v2
	v_cmp_u_f32_e64 s5, v2, v2
	v_add3_u32 v3, v3, v2, 0x7fff
	v_mul_f32_e32 v2, v30, v66
	v_cndmask_b32_e64 v94, v3, v6, s5
	;; [unrolled: 6-line block ×11, first 2 shown]
	v_bfe_u32 v3, v2, 16, 1
	v_or_b32_e32 v6, 0x400000, v2
	v_cmp_u_f32_e64 s5, v2, v2
	v_add3_u32 v3, v3, v2, 0x7fff
	v_bfe_u32 v2, v1, 16, 1
	v_cndmask_b32_e64 v18, v3, v6, s5
	v_add3_u32 v2, v2, v1, 0x7fff
	v_or_b32_e32 v3, 0x400000, v1
	v_cmp_u_f32_e64 s5, v1, v1
	v_mul_f32_e32 v1, v30, v26
	v_cndmask_b32_e64 v13, v2, v3, s5
	v_bfe_u32 v2, v1, 16, 1
	v_or_b32_e32 v3, 0x400000, v1
	v_cmp_u_f32_e64 s5, v1, v1
	v_add3_u32 v2, v2, v1, 0x7fff
	v_mul_f32_e32 v1, v30, v9
	v_cndmask_b32_e64 v26, v2, v3, s5
	v_bfe_u32 v2, v1, 16, 1
	v_or_b32_e32 v3, 0x400000, v1
	v_cmp_u_f32_e64 s5, v1, v1
	v_add3_u32 v2, v2, v1, 0x7fff
	;; [unrolled: 6-line block ×11, first 2 shown]
	v_bfe_u32 v1, v0, 16, 1
	v_cndmask_b32_e64 v8, v2, v3, s5
	v_add3_u32 v1, v1, v0, 0x7fff
	v_or_b32_e32 v2, 0x400000, v0
	v_cmp_u_f32_e64 s5, v0, v0
	v_mul_f32_e32 v0, v30, v123
	v_cndmask_b32_e64 v1, v1, v2, s5
	v_bfe_u32 v2, v0, 16, 1
	v_or_b32_e32 v3, 0x400000, v0
	v_cmp_u_f32_e64 s5, v0, v0
	v_add3_u32 v2, v2, v0, 0x7fff
	v_mul_f32_e32 v0, v30, v122
	v_cndmask_b32_e64 v123, v2, v3, s5
	v_bfe_u32 v2, v0, 16, 1
	v_or_b32_e32 v3, 0x400000, v0
	v_cmp_u_f32_e64 s5, v0, v0
	v_add3_u32 v2, v2, v0, 0x7fff
	v_mul_f32_e32 v0, v30, v121
	v_cndmask_b32_e64 v122, v2, v3, s5
	v_bfe_u32 v2, v0, 16, 1
	v_or_b32_e32 v3, 0x400000, v0
	v_cmp_u_f32_e64 s5, v0, v0
	v_add3_u32 v2, v2, v0, 0x7fff
	v_mul_f32_e32 v0, v30, v120
	v_cndmask_b32_e64 v121, v2, v3, s5
	v_bfe_u32 v2, v0, 16, 1
	v_or_b32_e32 v3, 0x400000, v0
	v_cmp_u_f32_e64 s5, v0, v0
	v_add3_u32 v2, v2, v0, 0x7fff
	v_mul_f32_e32 v0, v30, v111
	v_cndmask_b32_e64 v120, v2, v3, s5
	v_bfe_u32 v2, v0, 16, 1
	v_or_b32_e32 v3, 0x400000, v0
	v_cmp_u_f32_e64 s5, v0, v0
	v_add3_u32 v2, v2, v0, 0x7fff
	buffer_load_dword v0, off, s[0:3], s32 offset:456 ; 4-byte Folded Reload
	v_cndmask_b32_e64 v126, v2, v3, s5
	s_waitcnt vmcnt(0)
	v_mul_f32_e32 v0, v30, v0
	v_bfe_u32 v2, v0, 16, 1
	v_or_b32_e32 v3, 0x400000, v0
	v_cmp_u_f32_e64 s5, v0, v0
	v_add3_u32 v2, v2, v0, 0x7fff
	v_mul_f32_e32 v0, v30, v125
	v_cndmask_b32_e64 v127, v2, v3, s5
	v_bfe_u32 v2, v0, 16, 1
	v_or_b32_e32 v3, 0x400000, v0
	v_cmp_u_f32_e64 s5, v0, v0
	v_add3_u32 v2, v2, v0, 0x7fff
	v_mul_f32_e32 v0, v30, v124
	v_cndmask_b32_e64 v111, v2, v3, s5
	v_bfe_u32 v2, v0, 16, 1
	v_or_b32_e32 v3, 0x400000, v0
	v_cmp_u_f32_e64 s5, v0, v0
	v_add3_u32 v2, v2, v0, 0x7fff
	buffer_load_dword v0, off, s[0:3], s32 offset:448 ; 4-byte Folded Reload
	v_cndmask_b32_e64 v124, v2, v3, s5
	s_waitcnt vmcnt(0)
	v_mul_f32_e32 v0, v30, v0
	v_bfe_u32 v2, v0, 16, 1
	v_or_b32_e32 v3, 0x400000, v0
	v_cmp_u_f32_e64 s5, v0, v0
	v_add3_u32 v2, v2, v0, 0x7fff
	buffer_load_dword v0, off, s[0:3], s32 offset:444 ; 4-byte Folded Reload
	v_cndmask_b32_e64 v125, v2, v3, s5
	s_waitcnt vmcnt(0)
	v_mul_f32_e32 v0, v30, v0
	;; [unrolled: 8-line block ×6, first 2 shown]
	v_bfe_u32 v2, v0, 16, 1
	v_or_b32_e32 v3, 0x400000, v0
	v_cmp_u_f32_e64 s5, v0, v0
	v_add3_u32 v2, v2, v0, 0x7fff
	v_mul_f32_e32 v0, v30, v75
	v_cndmask_b32_e64 v27, v2, v3, s5
	v_bfe_u32 v2, v0, 16, 1
	v_or_b32_e32 v3, 0x400000, v0
	v_cmp_u_f32_e64 s5, v0, v0
	v_add3_u32 v2, v2, v0, 0x7fff
	buffer_load_dword v0, off, s[0:3], s32 offset:452 ; 4-byte Folded Reload
	v_cndmask_b32_e64 v49, v2, v3, s5
	s_waitcnt vmcnt(0)
	v_mul_f32_e32 v0, v30, v0
	v_bfe_u32 v2, v0, 16, 1
	v_or_b32_e32 v3, 0x400000, v0
	v_cmp_u_f32_e64 s5, v0, v0
	v_add3_u32 v2, v2, v0, 0x7fff
	buffer_load_dword v0, off, s[0:3], s32 offset:424 ; 4-byte Folded Reload
	v_cndmask_b32_e64 v2, v2, v3, s5
	s_waitcnt vmcnt(0)
	v_mul_f32_e32 v0, v30, v0
	v_bfe_u32 v3, v0, 16, 1
	v_or_b32_e32 v11, 0x400000, v0
	v_cmp_u_f32_e64 s5, v0, v0
	v_add3_u32 v3, v3, v0, 0x7fff
	buffer_load_dword v0, off, s[0:3], s32 offset:420 ; 4-byte Folded Reload
	v_cndmask_b32_e64 v3, v3, v11, s5
	s_waitcnt vmcnt(0)
	v_mul_f32_e32 v0, v30, v0
	v_bfe_u32 v11, v0, 16, 1
	v_or_b32_e32 v14, 0x400000, v0
	v_cmp_u_f32_e64 s5, v0, v0
	v_add3_u32 v11, v11, v0, 0x7fff
	buffer_load_dword v0, off, s[0:3], s32 offset:416 ; 4-byte Folded Reload
	v_cndmask_b32_e64 v61, v11, v14, s5
	s_waitcnt vmcnt(0)
	v_mul_f32_e32 v0, v30, v0
	v_bfe_u32 v11, v0, 16, 1
	v_or_b32_e32 v14, 0x400000, v0
	v_cmp_u_f32_e64 s5, v0, v0
	v_add3_u32 v11, v11, v0, 0x7fff
	buffer_load_dword v0, off, s[0:3], s32 offset:520 ; 4-byte Folded Reload
	v_cndmask_b32_e64 v62, v11, v14, s5
	s_waitcnt vmcnt(0)
	v_mul_f32_e32 v0, v30, v0
	v_bfe_u32 v11, v0, 16, 1
	v_or_b32_e32 v14, 0x400000, v0
	v_cmp_u_f32_e64 s5, v0, v0
	v_add3_u32 v11, v11, v0, 0x7fff
	buffer_load_dword v0, off, s[0:3], s32 offset:412 ; 4-byte Folded Reload
	v_cndmask_b32_e64 v58, v11, v14, s5
	s_waitcnt vmcnt(0)
	v_mul_f32_e32 v0, v30, v0
	v_bfe_u32 v11, v0, 16, 1
	v_or_b32_e32 v14, 0x400000, v0
	v_cmp_u_f32_e64 s5, v0, v0
	v_add3_u32 v11, v11, v0, 0x7fff
	buffer_load_dword v0, off, s[0:3], s32 offset:408 ; 4-byte Folded Reload
	v_cndmask_b32_e64 v56, v11, v14, s5
	s_waitcnt vmcnt(0)
	v_mul_f32_e32 v0, v30, v0
	v_bfe_u32 v11, v0, 16, 1
	v_or_b32_e32 v14, 0x400000, v0
	v_cmp_u_f32_e64 s5, v0, v0
	v_add3_u32 v11, v11, v0, 0x7fff
	buffer_load_dword v0, off, s[0:3], s32 offset:524 ; 4-byte Folded Reload
	v_cndmask_b32_e64 v45, v11, v14, s5
	s_waitcnt vmcnt(0)
	v_mul_f32_e32 v0, v30, v0
	v_bfe_u32 v11, v0, 16, 1
	v_or_b32_e32 v14, 0x400000, v0
	v_cmp_u_f32_e64 s5, v0, v0
	v_add3_u32 v11, v11, v0, 0x7fff
	buffer_load_dword v0, off, s[0:3], s32 offset:428 ; 4-byte Folded Reload
	v_cndmask_b32_e64 v57, v11, v14, s5
	s_waitcnt vmcnt(0)
	v_mul_f32_e32 v0, v30, v0
	v_bfe_u32 v11, v0, 16, 1
	v_or_b32_e32 v14, 0x400000, v0
	v_cmp_u_f32_e64 s5, v0, v0
	v_add3_u32 v11, v11, v0, 0x7fff
	buffer_load_dword v0, off, s[0:3], s32 offset:400 ; 4-byte Folded Reload
	v_cndmask_b32_e64 v47, v11, v14, s5
	s_waitcnt vmcnt(0)
	v_mul_f32_e32 v0, v30, v0
	v_bfe_u32 v11, v0, 16, 1
	v_or_b32_e32 v14, 0x400000, v0
	v_cmp_u_f32_e64 s5, v0, v0
	v_add3_u32 v11, v11, v0, 0x7fff
	buffer_load_dword v0, off, s[0:3], s32 offset:396 ; 4-byte Folded Reload
	v_cndmask_b32_e64 v46, v11, v14, s5
	s_waitcnt vmcnt(0)
	v_mul_f32_e32 v0, v30, v0
	v_bfe_u32 v11, v0, 16, 1
	v_or_b32_e32 v14, 0x400000, v0
	v_cmp_u_f32_e64 s5, v0, v0
	v_add3_u32 v11, v11, v0, 0x7fff
	buffer_load_dword v0, off, s[0:3], s32 offset:392 ; 4-byte Folded Reload
	v_cndmask_b32_e64 v59, v11, v14, s5
	s_waitcnt vmcnt(0)
	v_mul_f32_e32 v0, v30, v0
	v_bfe_u32 v11, v0, 16, 1
	v_or_b32_e32 v14, 0x400000, v0
	v_cmp_u_f32_e64 s5, v0, v0
	v_add3_u32 v11, v11, v0, 0x7fff
	buffer_load_dword v0, off, s[0:3], s32 offset:512 ; 4-byte Folded Reload
	v_cndmask_b32_e64 v42, v11, v14, s5
	s_waitcnt vmcnt(0)
	v_mul_f32_e32 v0, v30, v0
	v_bfe_u32 v11, v0, 16, 1
	v_or_b32_e32 v14, 0x400000, v0
	v_cmp_u_f32_e64 s5, v0, v0
	v_add3_u32 v11, v11, v0, 0x7fff
	buffer_load_dword v0, off, s[0:3], s32 offset:388 ; 4-byte Folded Reload
	v_cndmask_b32_e64 v41, v11, v14, s5
	s_waitcnt vmcnt(0)
	v_mul_f32_e32 v0, v30, v0
	v_bfe_u32 v11, v0, 16, 1
	v_or_b32_e32 v14, 0x400000, v0
	v_cmp_u_f32_e64 s5, v0, v0
	v_add3_u32 v11, v11, v0, 0x7fff
	buffer_load_dword v0, off, s[0:3], s32 offset:384 ; 4-byte Folded Reload
	v_cndmask_b32_e64 v72, v11, v14, s5
	s_waitcnt vmcnt(0)
	v_mul_f32_e32 v0, v30, v0
	v_bfe_u32 v11, v0, 16, 1
	v_or_b32_e32 v14, 0x400000, v0
	v_cmp_u_f32_e64 s5, v0, v0
	v_add3_u32 v11, v11, v0, 0x7fff
	buffer_load_dword v0, off, s[0:3], s32 offset:516 ; 4-byte Folded Reload
	v_cndmask_b32_e64 v119, v11, v14, s5
	s_waitcnt vmcnt(0)
	v_mul_f32_e32 v0, v30, v0
	v_bfe_u32 v11, v0, 16, 1
	v_or_b32_e32 v14, 0x400000, v0
	v_cmp_u_f32_e64 s5, v0, v0
	v_add3_u32 v11, v11, v0, 0x7fff
	buffer_load_dword v0, off, s[0:3], s32 offset:404 ; 4-byte Folded Reload
	v_cndmask_b32_e64 v63, v11, v14, s5
	s_waitcnt vmcnt(0)
	v_mul_f32_e32 v0, v30, v0
	v_bfe_u32 v11, v0, 16, 1
	v_or_b32_e32 v14, 0x400000, v0
	v_cmp_u_f32_e64 s5, v0, v0
	v_add3_u32 v11, v11, v0, 0x7fff
	buffer_load_dword v0, off, s[0:3], s32 offset:376 ; 4-byte Folded Reload
	v_cndmask_b32_e64 v40, v11, v14, s5
	s_waitcnt vmcnt(0)
	v_mul_f32_e32 v0, v30, v0
	v_bfe_u32 v11, v0, 16, 1
	v_or_b32_e32 v14, 0x400000, v0
	v_cmp_u_f32_e64 s5, v0, v0
	v_add3_u32 v11, v11, v0, 0x7fff
	buffer_load_dword v0, off, s[0:3], s32 offset:372 ; 4-byte Folded Reload
	v_cndmask_b32_e64 v117, v11, v14, s5
	s_waitcnt vmcnt(0)
	v_mul_f32_e32 v0, v30, v0
	v_bfe_u32 v11, v0, 16, 1
	v_or_b32_e32 v14, 0x400000, v0
	v_cmp_u_f32_e64 s5, v0, v0
	v_add3_u32 v11, v11, v0, 0x7fff
	buffer_load_dword v0, off, s[0:3], s32 offset:368 ; 4-byte Folded Reload
	v_cndmask_b32_e64 v118, v11, v14, s5
	s_waitcnt vmcnt(0)
	v_mul_f32_e32 v0, v30, v0
	v_bfe_u32 v11, v0, 16, 1
	v_or_b32_e32 v14, 0x400000, v0
	v_cmp_u_f32_e64 s5, v0, v0
	v_add3_u32 v11, v11, v0, 0x7fff
	buffer_load_dword v0, off, s[0:3], s32 offset:504 ; 4-byte Folded Reload
	v_cndmask_b32_e64 v43, v11, v14, s5
	s_waitcnt vmcnt(0)
	v_mul_f32_e32 v0, v30, v0
	v_bfe_u32 v11, v0, 16, 1
	v_or_b32_e32 v14, 0x400000, v0
	v_cmp_u_f32_e64 s5, v0, v0
	v_add3_u32 v11, v11, v0, 0x7fff
	buffer_load_dword v0, off, s[0:3], s32 offset:360 ; 4-byte Folded Reload
	v_cndmask_b32_e64 v60, v11, v14, s5
	s_waitcnt vmcnt(0)
	v_mul_f32_e32 v0, v30, v0
	v_bfe_u32 v11, v0, 16, 1
	v_or_b32_e32 v14, 0x400000, v0
	v_cmp_u_f32_e64 s5, v0, v0
	v_add3_u32 v11, v11, v0, 0x7fff
	buffer_load_dword v0, off, s[0:3], s32 offset:356 ; 4-byte Folded Reload
	v_cndmask_b32_e64 v114, v11, v14, s5
	s_waitcnt vmcnt(0)
	v_mul_f32_e32 v0, v30, v0
	v_bfe_u32 v11, v0, 16, 1
	v_or_b32_e32 v14, 0x400000, v0
	v_cmp_u_f32_e64 s5, v0, v0
	v_add3_u32 v11, v11, v0, 0x7fff
	buffer_load_dword v0, off, s[0:3], s32 offset:508 ; 4-byte Folded Reload
	v_cndmask_b32_e64 v102, v11, v14, s5
	s_waitcnt vmcnt(0)
	v_mul_f32_e32 v0, v30, v0
	v_bfe_u32 v11, v0, 16, 1
	v_or_b32_e32 v14, 0x400000, v0
	v_cmp_u_f32_e64 s5, v0, v0
	v_add3_u32 v11, v11, v0, 0x7fff
	buffer_load_dword v0, off, s[0:3], s32 offset:380 ; 4-byte Folded Reload
	v_cndmask_b32_e64 v14, v11, v14, s5
	s_waitcnt vmcnt(0)
	v_mul_f32_e32 v0, v30, v0
	v_bfe_u32 v11, v0, 16, 1
	v_or_b32_e32 v20, 0x400000, v0
	v_cmp_u_f32_e64 s5, v0, v0
	v_add3_u32 v11, v11, v0, 0x7fff
	buffer_load_dword v0, off, s[0:3], s32 offset:348 ; 4-byte Folded Reload
	v_cndmask_b32_e64 v113, v11, v20, s5
	s_waitcnt vmcnt(0)
	v_mul_f32_e32 v0, v30, v0
	v_bfe_u32 v11, v0, 16, 1
	v_or_b32_e32 v20, 0x400000, v0
	v_cmp_u_f32_e64 s5, v0, v0
	v_add3_u32 v11, v11, v0, 0x7fff
	buffer_load_dword v0, off, s[0:3], s32 offset:344 ; 4-byte Folded Reload
	v_cndmask_b32_e64 v98, v11, v20, s5
	s_waitcnt vmcnt(0)
	v_mul_f32_e32 v0, v30, v0
	v_bfe_u32 v11, v0, 16, 1
	v_or_b32_e32 v20, 0x400000, v0
	v_cmp_u_f32_e64 s5, v0, v0
	v_add3_u32 v11, v11, v0, 0x7fff
	buffer_load_dword v0, off, s[0:3], s32 offset:340 ; 4-byte Folded Reload
	v_cndmask_b32_e64 v52, v11, v20, s5
	s_waitcnt vmcnt(0)
	v_mul_f32_e32 v0, v30, v0
	v_bfe_u32 v11, v0, 16, 1
	v_or_b32_e32 v20, 0x400000, v0
	v_cmp_u_f32_e64 s5, v0, v0
	v_add3_u32 v11, v11, v0, 0x7fff
	buffer_load_dword v0, off, s[0:3], s32 offset:496 ; 4-byte Folded Reload
	v_cndmask_b32_e64 v51, v11, v20, s5
	s_waitcnt vmcnt(0)
	v_mul_f32_e32 v0, v30, v0
	v_bfe_u32 v11, v0, 16, 1
	v_or_b32_e32 v20, 0x400000, v0
	v_cmp_u_f32_e64 s5, v0, v0
	v_add3_u32 v11, v11, v0, 0x7fff
	buffer_load_dword v0, off, s[0:3], s32 offset:336 ; 4-byte Folded Reload
	v_cndmask_b32_e64 v75, v11, v20, s5
	s_waitcnt vmcnt(0)
	v_mul_f32_e32 v0, v30, v0
	v_bfe_u32 v11, v0, 16, 1
	v_or_b32_e32 v20, 0x400000, v0
	v_cmp_u_f32_e64 s5, v0, v0
	v_add3_u32 v11, v11, v0, 0x7fff
	buffer_load_dword v0, off, s[0:3], s32 offset:332 ; 4-byte Folded Reload
	v_cndmask_b32_e64 v76, v11, v20, s5
	s_waitcnt vmcnt(0)
	v_mul_f32_e32 v0, v30, v0
	v_bfe_u32 v11, v0, 16, 1
	v_or_b32_e32 v20, 0x400000, v0
	v_cmp_u_f32_e64 s5, v0, v0
	v_add3_u32 v11, v11, v0, 0x7fff
	buffer_load_dword v0, off, s[0:3], s32 offset:500 ; 4-byte Folded Reload
	v_cndmask_b32_e64 v96, v11, v20, s5
	s_waitcnt vmcnt(0)
	v_mul_f32_e32 v0, v30, v0
	v_bfe_u32 v11, v0, 16, 1
	v_or_b32_e32 v20, 0x400000, v0
	v_cmp_u_f32_e64 s5, v0, v0
	v_add3_u32 v11, v11, v0, 0x7fff
	buffer_load_dword v0, off, s[0:3], s32 offset:352 ; 4-byte Folded Reload
	v_cndmask_b32_e64 v97, v11, v20, s5
	s_waitcnt vmcnt(0)
	v_mul_f32_e32 v0, v30, v0
	v_bfe_u32 v11, v0, 16, 1
	v_or_b32_e32 v20, 0x400000, v0
	v_cmp_u_f32_e64 s5, v0, v0
	v_add3_u32 v11, v11, v0, 0x7fff
	buffer_load_dword v0, off, s[0:3], s32 offset:324 ; 4-byte Folded Reload
	v_cndmask_b32_e64 v11, v11, v20, s5
	s_waitcnt vmcnt(0)
	v_mul_f32_e32 v0, v30, v0
	v_bfe_u32 v20, v0, 16, 1
	v_or_b32_e32 v38, 0x400000, v0
	v_cmp_u_f32_e64 s5, v0, v0
	v_add3_u32 v20, v20, v0, 0x7fff
	buffer_load_dword v0, off, s[0:3], s32 offset:320 ; 4-byte Folded Reload
	v_cndmask_b32_e64 v99, v20, v38, s5
	s_waitcnt vmcnt(0)
	v_mul_f32_e32 v0, v30, v0
	v_bfe_u32 v20, v0, 16, 1
	v_or_b32_e32 v38, 0x400000, v0
	v_cmp_u_f32_e64 s5, v0, v0
	v_add3_u32 v20, v20, v0, 0x7fff
	buffer_load_dword v0, off, s[0:3], s32 offset:316 ; 4-byte Folded Reload
	v_cndmask_b32_e64 v116, v20, v38, s5
	s_waitcnt vmcnt(0)
	v_mul_f32_e32 v0, v30, v0
	v_bfe_u32 v20, v0, 16, 1
	v_or_b32_e32 v38, 0x400000, v0
	v_cmp_u_f32_e64 s5, v0, v0
	v_add3_u32 v20, v20, v0, 0x7fff
	buffer_load_dword v0, off, s[0:3], s32 offset:488 ; 4-byte Folded Reload
	v_cndmask_b32_e64 v85, v20, v38, s5
	s_waitcnt vmcnt(0)
	v_mul_f32_e32 v0, v30, v0
	v_bfe_u32 v20, v0, 16, 1
	v_or_b32_e32 v38, 0x400000, v0
	v_cmp_u_f32_e64 s5, v0, v0
	v_add3_u32 v20, v20, v0, 0x7fff
	buffer_load_dword v0, off, s[0:3], s32 offset:312 ; 4-byte Folded Reload
	v_cndmask_b32_e64 v84, v20, v38, s5
	s_waitcnt vmcnt(0)
	v_mul_f32_e32 v0, v30, v0
	v_bfe_u32 v20, v0, 16, 1
	v_or_b32_e32 v38, 0x400000, v0
	v_cmp_u_f32_e64 s5, v0, v0
	v_add3_u32 v20, v20, v0, 0x7fff
	buffer_load_dword v0, off, s[0:3], s32 offset:308 ; 4-byte Folded Reload
	v_cndmask_b32_e64 v53, v20, v38, s5
	s_waitcnt vmcnt(0)
	v_mul_f32_e32 v0, v30, v0
	v_bfe_u32 v20, v0, 16, 1
	v_or_b32_e32 v38, 0x400000, v0
	v_cmp_u_f32_e64 s5, v0, v0
	v_add3_u32 v20, v20, v0, 0x7fff
	buffer_load_dword v0, off, s[0:3], s32 offset:492 ; 4-byte Folded Reload
	v_cndmask_b32_e64 v100, v20, v38, s5
	s_waitcnt vmcnt(0)
	v_mul_f32_e32 v0, v30, v0
	v_bfe_u32 v20, v0, 16, 1
	v_or_b32_e32 v38, 0x400000, v0
	v_cmp_u_f32_e64 s5, v0, v0
	v_add3_u32 v20, v20, v0, 0x7fff
	buffer_load_dword v0, off, s[0:3], s32 offset:328 ; 4-byte Folded Reload
	v_cndmask_b32_e64 v83, v20, v38, s5
	s_waitcnt vmcnt(0)
	v_mul_f32_e32 v0, v30, v0
	v_bfe_u32 v20, v0, 16, 1
	v_or_b32_e32 v38, 0x400000, v0
	v_cmp_u_f32_e64 s5, v0, v0
	v_add3_u32 v20, v20, v0, 0x7fff
	buffer_load_dword v0, off, s[0:3], s32 offset:300 ; 4-byte Folded Reload
	v_cndmask_b32_e64 v86, v20, v38, s5
	s_waitcnt vmcnt(0)
	v_mul_f32_e32 v0, v30, v0
	v_bfe_u32 v20, v0, 16, 1
	v_or_b32_e32 v38, 0x400000, v0
	v_cmp_u_f32_e64 s5, v0, v0
	v_add3_u32 v20, v20, v0, 0x7fff
	buffer_load_dword v0, off, s[0:3], s32 offset:296 ; 4-byte Folded Reload
	v_cndmask_b32_e64 v20, v20, v38, s5
	s_waitcnt vmcnt(0)
	v_mul_f32_e32 v0, v30, v0
	v_bfe_u32 v38, v0, 16, 1
	v_or_b32_e32 v48, 0x400000, v0
	v_cmp_u_f32_e64 s5, v0, v0
	v_add3_u32 v38, v38, v0, 0x7fff
	buffer_load_dword v0, off, s[0:3], s32 offset:292 ; 4-byte Folded Reload
	v_cndmask_b32_e64 v81, v38, v48, s5
	s_waitcnt vmcnt(0)
	v_mul_f32_e32 v0, v30, v0
	v_bfe_u32 v38, v0, 16, 1
	v_or_b32_e32 v48, 0x400000, v0
	v_cmp_u_f32_e64 s5, v0, v0
	v_add3_u32 v38, v38, v0, 0x7fff
	buffer_load_dword v0, off, s[0:3], s32 offset:480 ; 4-byte Folded Reload
	v_cndmask_b32_e64 v70, v38, v48, s5
	s_waitcnt vmcnt(0)
	v_mul_f32_e32 v0, v30, v0
	v_bfe_u32 v38, v0, 16, 1
	v_or_b32_e32 v48, 0x400000, v0
	v_cmp_u_f32_e64 s5, v0, v0
	v_add3_u32 v38, v38, v0, 0x7fff
	buffer_load_dword v0, off, s[0:3], s32 offset:288 ; 4-byte Folded Reload
	v_cndmask_b32_e64 v71, v38, v48, s5
	s_waitcnt vmcnt(0)
	v_mul_f32_e32 v0, v30, v0
	v_bfe_u32 v38, v0, 16, 1
	v_or_b32_e32 v48, 0x400000, v0
	v_cmp_u_f32_e64 s5, v0, v0
	v_add3_u32 v38, v38, v0, 0x7fff
	buffer_load_dword v0, off, s[0:3], s32 offset:284 ; 4-byte Folded Reload
	v_cndmask_b32_e64 v38, v38, v48, s5
	s_waitcnt vmcnt(0)
	v_mul_f32_e32 v0, v30, v0
	v_bfe_u32 v48, v0, 16, 1
	v_or_b32_e32 v55, 0x400000, v0
	v_cmp_u_f32_e64 s5, v0, v0
	v_add3_u32 v48, v48, v0, 0x7fff
	buffer_load_dword v0, off, s[0:3], s32 offset:484 ; 4-byte Folded Reload
	v_cndmask_b32_e64 v80, v48, v55, s5
	s_waitcnt vmcnt(0)
	v_mul_f32_e32 v0, v30, v0
	v_bfe_u32 v48, v0, 16, 1
	v_or_b32_e32 v55, 0x400000, v0
	v_cmp_u_f32_e64 s5, v0, v0
	v_add3_u32 v48, v48, v0, 0x7fff
	v_cndmask_b32_e64 v0, v48, v55, s5
	v_mul_f32_e32 v48, v30, v21
	buffer_load_dword v21, off, s[0:3], s32 offset:276 ; 4-byte Folded Reload
	v_and_b32_e32 v0, 0xffff0000, v0
	v_bfe_u32 v55, v48, 16, 1
	v_or_b32_e32 v64, 0x400000, v48
	v_cmp_u_f32_e64 s5, v48, v48
	v_add3_u32 v55, v55, v48, 0x7fff
	v_cndmask_b32_e64 v91, v55, v64, s5
	s_waitcnt vmcnt(0)
	v_mul_f32_e32 v48, v30, v21
	buffer_load_dword v21, off, s[0:3], s32 offset:272 ; 4-byte Folded Reload
	v_bfe_u32 v55, v48, 16, 1
	v_or_b32_e32 v64, 0x400000, v48
	v_cmp_u_f32_e64 s5, v48, v48
	v_add3_u32 v55, v55, v48, 0x7fff
	v_cndmask_b32_e64 v93, v55, v64, s5
	s_waitcnt vmcnt(0)
	v_mul_f32_e32 v48, v30, v21
	buffer_load_dword v21, off, s[0:3], s32 offset:268 ; 4-byte Folded Reload
	;; [unrolled: 8-line block ×13, first 2 shown]
	v_bfe_u32 v73, v112, 16, 1
	v_or_b32_e32 v74, 0x400000, v112
	v_cmp_u_f32_e64 s5, v112, v112
	v_add3_u32 v73, v73, v112, 0x7fff
	v_cndmask_b32_e64 v112, v73, v74, s5
	v_mul_f32_e32 v73, v30, v77
	v_bfe_u32 v74, v73, 16, 1
	v_or_b32_e32 v33, 0x400000, v73
	v_cmp_u_f32_e64 s5, v73, v73
	v_add3_u32 v74, v74, v73, 0x7fff
	v_cndmask_b32_e64 v73, v74, v33, s5
	s_waitcnt vmcnt(0)
	v_mul_f32_e32 v33, v30, v21
	buffer_load_dword v21, off, s[0:3], s32 offset:256 ; 4-byte Folded Reload
	v_bfe_u32 v74, v33, 16, 1
	v_or_b32_e32 v77, 0x400000, v33
	v_cmp_u_f32_e64 s5, v33, v33
	v_add3_u32 v74, v74, v33, 0x7fff
	v_cndmask_b32_e64 v74, v74, v77, s5
	s_waitcnt vmcnt(0)
	v_mul_f32_e32 v33, v30, v21
	buffer_load_dword v21, off, s[0:3], s32 offset:460 ; 4-byte Folded Reload
	v_bfe_u32 v77, v33, 16, 1
	v_or_b32_e32 v104, 0x400000, v33
	v_cmp_u_f32_e64 s5, v33, v33
	v_add3_u32 v77, v77, v33, 0x7fff
	v_mul_f32_e32 v33, v30, v54
	v_cndmask_b32_e64 v50, v77, v104, s5
	v_bfe_u32 v77, v33, 16, 1
	v_or_b32_e32 v104, 0x400000, v33
	v_cmp_u_f32_e64 s5, v33, v33
	v_add3_u32 v77, v77, v33, 0x7fff
	v_mul_f32_e32 v33, v30, v87
	v_cndmask_b32_e64 v36, v77, v104, s5
	v_bfe_u32 v77, v33, 16, 1
	v_or_b32_e32 v104, 0x400000, v33
	v_cmp_u_f32_e64 s5, v33, v33
	v_add3_u32 v77, v77, v33, 0x7fff
	v_mul_f32_e32 v33, v30, v24
	buffer_load_dword v24, off, s[0:3], s32 offset:552 ; 4-byte Folded Reload
	v_cndmask_b32_e64 v35, v77, v104, s5
	v_bfe_u32 v77, v33, 16, 1
	v_or_b32_e32 v104, 0x400000, v33
	v_cmp_u_f32_e64 s5, v33, v33
	v_add3_u32 v77, v77, v33, 0x7fff
	v_mul_f32_e32 v33, v30, v90
	v_cndmask_b32_e64 v54, v77, v104, s5
	v_bfe_u32 v77, v33, 16, 1
	v_or_b32_e32 v104, 0x400000, v33
	v_cmp_u_f32_e64 s5, v33, v33
	v_add3_u32 v77, v77, v33, 0x7fff
	v_mul_f32_e32 v33, v30, v25
	;; [unrolled: 6-line block ×3, first 2 shown]
	v_cndmask_b32_e64 v87, v77, v104, s5
	v_bfe_u32 v77, v33, 16, 1
	v_or_b32_e32 v104, 0x400000, v33
	v_cmp_u_f32_e64 s5, v33, v33
	v_add3_u32 v77, v77, v33, 0x7fff
	v_cndmask_b32_e64 v109, v77, v104, s5
	s_waitcnt vmcnt(1)
	v_mul_f32_e32 v33, v30, v21
	v_bfe_u32 v77, v33, 16, 1
	v_or_b32_e32 v104, 0x400000, v33
	v_cmp_u_f32_e64 s5, v33, v33
	v_add3_u32 v77, v77, v33, 0x7fff
	v_cndmask_b32_e64 v21, v77, v104, s5
	v_and_b32_e32 v21, 0xffff0000, v21
	s_waitcnt vmcnt(0)
	v_mul_f32_e32 v33, v30, v24
	buffer_load_dword v24, off, s[0:3], s32 offset:644 ; 4-byte Folded Reload
	v_bfe_u32 v77, v33, 16, 1
	v_or_b32_e32 v104, 0x400000, v33
	v_cmp_u_f32_e64 s5, v33, v33
	v_add3_u32 v77, v77, v33, 0x7fff
	v_mul_f32_e32 v33, v30, v108
	v_cndmask_b32_e64 v90, v77, v104, s5
	v_bfe_u32 v77, v33, 16, 1
	v_or_b32_e32 v104, 0x400000, v33
	v_cmp_u_f32_e64 s5, v33, v33
	v_add3_u32 v77, v77, v33, 0x7fff
	v_mul_f32_e32 v33, v30, v107
	v_cndmask_b32_e64 v108, v77, v104, s5
	;; [unrolled: 6-line block ×3, first 2 shown]
	v_bfe_u32 v77, v33, 16, 1
	v_or_b32_e32 v104, 0x400000, v33
	v_cmp_u_f32_e64 s5, v33, v33
	v_add3_u32 v77, v77, v33, 0x7fff
	v_cndmask_b32_e64 v105, v77, v104, s5
	s_waitcnt vmcnt(0)
	v_mul_f32_e32 v33, v30, v24
	buffer_load_dword v24, off, s[0:3], s32 offset:584 ; 4-byte Folded Reload
	v_bfe_u32 v77, v33, 16, 1
	v_or_b32_e32 v104, 0x400000, v33
	v_cmp_u_f32_e64 s5, v33, v33
	v_add3_u32 v77, v77, v33, 0x7fff
	v_cndmask_b32_e64 v104, v77, v104, s5
	s_waitcnt vmcnt(0)
	v_mul_f32_e32 v33, v30, v24
	v_bfe_u32 v77, v33, 16, 1
	v_or_b32_e32 v24, 0x400000, v33
	v_cmp_u_f32_e64 s5, v33, v33
	v_add3_u32 v77, v77, v33, 0x7fff
	v_cndmask_b32_e64 v77, v77, v24, s5
	buffer_load_dword v24, off, s[0:3], s32 offset:568 ; 4-byte Folded Reload
	s_waitcnt vmcnt(0)
	v_mul_f32_e32 v24, v30, v24
	v_bfe_u32 v33, v24, 16, 1
	v_or_b32_e32 v25, 0x400000, v24
	v_cmp_u_f32_e64 s5, v24, v24
	v_add3_u32 v33, v33, v24, 0x7fff
	v_bfe_u32 v24, v10, 16, 1
	v_cndmask_b32_e64 v33, v33, v25, s5
	v_add3_u32 v24, v24, v10, 0x7fff
	v_or_b32_e32 v25, 0x400000, v10
	v_cmp_u_f32_e64 s5, v10, v10
	v_cndmask_b32_e64 v10, v24, v25, s5
	v_bfe_u32 v24, v16, 16, 1
	v_or_b32_e32 v25, 0x400000, v16
	v_cmp_u_f32_e64 s5, v16, v16
	v_add3_u32 v24, v24, v16, 0x7fff
	v_and_b32_e32 v16, 0xffff0000, v73
	v_cndmask_b32_e64 v30, v24, v25, s5
	buffer_load_dword v25, off, s[0:3], s32 offset:920 ; 4-byte Folded Reload
	v_and_b32_e32 v24, 0xffff0000, v109
	s_waitcnt vmcnt(0)
	v_mul_f32_e32 v109, v25, v16
	s_clause 0x1
	buffer_load_dword v16, off, s[0:3], s32 offset:888
	buffer_load_dword v25, off, s[0:3], s32 offset:924
	s_waitcnt vmcnt(1)
	v_fmac_f32_e32 v109, v16, v24
	v_and_b32_e32 v16, 0xffff0000, v112
	v_and_b32_e32 v24, 0xffff0000, v87
	s_waitcnt vmcnt(0)
	v_mul_f32_e32 v112, v25, v16
	s_clause 0x1
	buffer_load_dword v16, off, s[0:3], s32 offset:892
	buffer_load_dword v25, off, s[0:3], s32 offset:928
	s_waitcnt vmcnt(1)
	v_fmac_f32_e32 v112, v16, v24
	v_and_b32_e32 v16, 0xffff0000, v103
	;; [unrolled: 9-line block ×5, first 2 shown]
	v_and_b32_e32 v24, 0xffff0000, v36
	s_waitcnt vmcnt(0)
	v_mul_f32_e32 v115, v25, v16
	buffer_load_dword v16, off, s[0:3], s32 offset:908 ; 4-byte Folded Reload
	s_waitcnt vmcnt(0)
	v_fmac_f32_e32 v115, v16, v24
	buffer_load_dword v24, off, s[0:3], s32 offset:944 ; 4-byte Folded Reload
	v_and_b32_e32 v16, 0xffff0000, v74
	s_waitcnt vmcnt(0)
	v_mul_f32_e32 v74, v24, v16
	s_clause 0x1
	buffer_load_dword v16, off, s[0:3], s32 offset:912
	buffer_load_dword v24, off, s[0:3], s32 offset:948
	s_waitcnt vmcnt(1)
	v_fmac_f32_e32 v74, v16, v21
	v_and_b32_e32 v16, 0xffff0000, v50
	v_and_b32_e32 v21, 0xffff0000, v90
	s_waitcnt vmcnt(0)
	v_mul_f32_e32 v44, v24, v16
	buffer_load_dword v16, off, s[0:3], s32 offset:916 ; 4-byte Folded Reload
	s_waitcnt vmcnt(0)
	v_fmac_f32_e32 v44, v16, v21
	buffer_load_dword v21, off, s[0:3], s32 offset:952 ; 4-byte Folded Reload
	v_and_b32_e32 v16, 0xffff0000, v48
	s_waitcnt vmcnt(0)
	v_fmac_f32_e32 v109, v21, v16
	buffer_load_dword v21, off, s[0:3], s32 offset:956 ; 4-byte Folded Reload
	v_and_b32_e32 v16, 0xffff0000, v64
	;; [unrolled: 4-line block ×13, first 2 shown]
	s_waitcnt vmcnt(0)
	v_fmac_f32_e32 v73, v21, v16
	v_and_b32_e32 v16, 0xffff0000, v20
	buffer_load_dword v20, off, s[0:3], s32 offset:1004 ; 4-byte Folded Reload
	s_waitcnt vmcnt(0)
	v_fmac_f32_e32 v115, v20, v16
	buffer_load_dword v16, off, s[0:3], s32 offset:1008 ; 4-byte Folded Reload
	s_waitcnt vmcnt(0)
	v_fmac_f32_e32 v74, v16, v0
	buffer_load_dword v16, off, s[0:3], s32 offset:1012 ; 4-byte Folded Reload
	v_and_b32_e32 v0, 0xffff0000, v91
	s_waitcnt vmcnt(0)
	v_fmac_f32_e32 v44, v16, v0
	buffer_load_dword v16, off, s[0:3], s32 offset:1016 ; 4-byte Folded Reload
	v_and_b32_e32 v0, 0xffff0000, v100
	;; [unrolled: 4-line block ×16, first 2 shown]
	s_waitcnt vmcnt(0)
	v_fmac_f32_e32 v74, v16, v0
	v_and_b32_e32 v0, 0xffff0000, v11
	buffer_load_dword v11, off, s[0:3], s32 offset:1076 ; 4-byte Folded Reload
	s_waitcnt vmcnt(0)
	v_fmac_f32_e32 v44, v11, v0
	buffer_load_dword v11, off, s[0:3], s32 offset:1080 ; 4-byte Folded Reload
	v_and_b32_e32 v0, 0xffff0000, v102
	s_waitcnt vmcnt(0)
	v_fmac_f32_e32 v109, v11, v0
	buffer_load_dword v11, off, s[0:3], s32 offset:1084 ; 4-byte Folded Reload
	v_and_b32_e32 v0, 0xffff0000, v114
	;; [unrolled: 4-line block ×21, first 2 shown]
	s_waitcnt vmcnt(0)
	v_fmac_f32_e32 v73, v11, v0
	v_and_b32_e32 v0, 0xffff0000, v3
	buffer_load_dword v3, off, s[0:3], s32 offset:1164 ; 4-byte Folded Reload
	s_waitcnt vmcnt(0)
	v_fmac_f32_e32 v115, v3, v0
	buffer_load_dword v3, off, s[0:3], s32 offset:1168 ; 4-byte Folded Reload
	v_and_b32_e32 v0, 0xffff0000, v57
	s_waitcnt vmcnt(0)
	v_fmac_f32_e32 v74, v3, v0
	buffer_load_dword v3, off, s[0:3], s32 offset:1172 ; 4-byte Folded Reload
	v_and_b32_e32 v0, 0xffff0000, v47
	;; [unrolled: 4-line block ×9, first 2 shown]
	s_waitcnt vmcnt(0)
	v_fmac_f32_e32 v74, v3, v0
	v_and_b32_e32 v0, 0xffff0000, v2
	buffer_load_dword v2, off, s[0:3], s32 offset:1204 ; 4-byte Folded Reload
	s_waitcnt vmcnt(0)
	v_fmac_f32_e32 v44, v2, v0
	buffer_load_dword v2, off, s[0:3], s32 offset:1208 ; 4-byte Folded Reload
	v_and_b32_e32 v0, 0xffff0000, v127
	s_waitcnt vmcnt(0)
	v_fmac_f32_e32 v109, v2, v0
	buffer_load_dword v2, off, s[0:3], s32 offset:1212 ; 4-byte Folded Reload
	v_and_b32_e32 v0, 0xffff0000, v126
	;; [unrolled: 4-line block ×15, first 2 shown]
	s_waitcnt vmcnt(0)
	v_fmac_f32_e32 v74, v2, v0
	v_and_b32_e32 v0, 0xffff0000, v1
	s_clause 0x1
	buffer_load_dword v1, off, s[0:3], s32 offset:1268
	buffer_load_dword v2, off, s[0:3], s32 offset:1636
	s_waitcnt vmcnt(1)
	v_fmac_f32_e32 v44, v1, v0
	buffer_load_dword v1, off, s[0:3], s32 offset:1272 ; 4-byte Folded Reload
	v_and_b32_e32 v0, 0xffff0000, v68
	s_waitcnt vmcnt(0)
	v_fmac_f32_e32 v109, v1, v0
	buffer_load_dword v1, off, s[0:3], s32 offset:1276 ; 4-byte Folded Reload
	v_and_b32_e32 v0, 0xffff0000, v26
	;; [unrolled: 4-line block ×17, first 2 shown]
	s_waitcnt vmcnt(0)
	v_fmac_f32_e32 v109, v1, v0
	s_clause 0x1
	buffer_load_dword v0, off, s[0:3], s32 offset:852
	buffer_load_dword v1, off, s[0:3], s32 offset:1340
	s_waitcnt vmcnt(1)
	v_and_b32_e32 v0, 0xffff0000, v0
	s_waitcnt vmcnt(0)
	v_fmac_f32_e32 v112, v1, v0
	s_clause 0x1
	buffer_load_dword v0, off, s[0:3], s32 offset:844
	buffer_load_dword v1, off, s[0:3], s32 offset:1344
	s_waitcnt vmcnt(1)
	v_and_b32_e32 v0, 0xffff0000, v0
	;; [unrolled: 7-line block ×6, first 2 shown]
	s_waitcnt vmcnt(0)
	v_fmac_f32_e32 v74, v1, v0
	buffer_load_dword v1, off, s[0:3], s32 offset:1364 ; 4-byte Folded Reload
	v_and_b32_e32 v0, 0xffff0000, v106
	s_waitcnt vmcnt(0)
	v_fmac_f32_e32 v44, v1, v0
	s_clause 0x1
	buffer_load_dword v0, off, s[0:3], s32 offset:828
	buffer_load_dword v1, off, s[0:3], s32 offset:1368
	s_waitcnt vmcnt(1)
	v_and_b32_e32 v0, 0xffff0000, v0
	s_waitcnt vmcnt(0)
	v_fmac_f32_e32 v109, v1, v0
	s_clause 0x1
	buffer_load_dword v0, off, s[0:3], s32 offset:820
	buffer_load_dword v1, off, s[0:3], s32 offset:1372
	s_waitcnt vmcnt(1)
	;; [unrolled: 7-line block ×64, first 2 shown]
	v_and_b32_e32 v0, 0xffff0000, v0
	s_waitcnt vmcnt(0)
	v_fmac_f32_e32 v44, v1, v0
	buffer_load_dword v1, off, s[0:3], s32 offset:1624 ; 4-byte Folded Reload
	v_and_b32_e32 v0, 0xffff0000, v33
	s_waitcnt vmcnt(0)
	v_fmac_f32_e32 v109, v1, v0
	buffer_load_dword v1, off, s[0:3], s32 offset:1628 ; 4-byte Folded Reload
	;; [unrolled: 4-line block ×3, first 2 shown]
	v_and_b32_e32 v0, 0xffff0000, v104
	s_waitcnt vmcnt(0)
	v_fmac_f32_e32 v103, v1, v0
	v_and_b32_e32 v1, 0xffff0000, v105
	v_add_f32_e32 v0, v109, v112
	v_fmac_f32_e32 v101, v2, v1
	buffer_load_dword v2, off, s[0:3], s32 offset:1640 ; 4-byte Folded Reload
	v_and_b32_e32 v1, 0xffff0000, v107
	v_add_f32_e32 v0, v0, v103
	v_add_f32_e32 v0, v101, v0
	s_waitcnt vmcnt(0)
	v_fmac_f32_e32 v73, v2, v1
	buffer_load_dword v2, off, s[0:3], s32 offset:1644 ; 4-byte Folded Reload
	v_and_b32_e32 v1, 0xffff0000, v108
	v_add_f32_e32 v0, v73, v0
	s_waitcnt vmcnt(0)
	v_fmac_f32_e32 v115, v2, v1
	buffer_load_dword v2, off, s[0:3], s32 offset:1648 ; 4-byte Folded Reload
	v_and_b32_e32 v1, 0xffff0000, v10
	;; [unrolled: 5-line block ×3, first 2 shown]
	v_add_f32_e32 v0, v74, v0
	s_waitcnt vmcnt(0)
	v_fmac_f32_e32 v44, v2, v1
	s_clause 0x2
	buffer_load_dword v1, off, s[0:3], s32 offset:1664
	buffer_load_dword v7, off, s[0:3], s32 offset:544
	buffer_load_dword v2, off, s[0:3], s32 offset:884
	s_load_dword s25, s[8:9], 0x0
	s_clause 0x1
	buffer_load_dword v8, off, s[0:3], s32 offset:548
	buffer_load_dword v10, off, s[0:3], s32 offset:540
	v_add_f32_e32 v0, v44, v0
	s_waitcnt vmcnt(3)
	v_add_nc_u32_e32 v1, v1, v7
	v_cvt_f32_i32_e32 v1, v1
	s_waitcnt vmcnt(2)
	v_mul_f32_e32 v1, v2, v1
	buffer_load_dword v2, off, s[0:3], s32 offset:880 ; 4-byte Folded Reload
	v_cndmask_b32_e32 v1, 0, v1, vcc_lo
	s_waitcnt vmcnt(0)
	v_fmac_f32_e32 v1, v2, v0
	buffer_load_dword v0, off, s[0:3], s32 offset:856 ; 4-byte Folded Reload
	s_waitcnt vmcnt(0)
	v_add_nc_u32_e32 v0, v0, v7
	v_cmp_lt_i32_e64 s5, v0, v92
	s_waitcnt lgkmcnt(0)
	v_add_nc_u32_e32 v0, s25, v8
	v_cndmask_b32_e64 v2, 0, v1, s5
	ds_write_b32 v0, v2
	v_max_f32_e32 v0, v10, v10
	v_max_f32_e32 v0, v0, v1
	v_cndmask_b32_e64 v10, v10, v0, s5
.LBB382_15:                             ;   in Loop: Header=BB382_16 Depth=1
	s_or_b32 exec_lo, exec_lo, s6
	s_clause 0x2
	buffer_load_dword v2, off, s[0:3], s32 offset:236
	buffer_load_dword v0, off, s[0:3], s32 offset:200
	;; [unrolled: 1-line block ×3, first 2 shown]
	v_add_nc_u32_e32 v7, 0x80, v7
	v_add_nc_u32_e32 v8, 0x200, v8
	s_waitcnt vmcnt(1)
	v_add_co_u32 v0, s5, v0, 16
	s_waitcnt vmcnt(0)
	v_add_co_ci_u32_e64 v1, null, 0, v1, s5
	v_add_nc_u32_e32 v2, 4, v2
	buffer_store_dword v0, off, s[0:3], s32 offset:200 ; 4-byte Folded Spill
	buffer_store_dword v1, off, s[0:3], s32 offset:204 ; 4-byte Folded Spill
	buffer_load_dword v0, off, s[0:3], s32 offset:224 ; 4-byte Folded Reload
	s_waitcnt vmcnt(0)
	v_cmp_ge_i32_e64 s5, v2, v0
	s_or_b32 s17, s5, s17
	s_andn2_b32 exec_lo, exec_lo, s17
	s_cbranch_execz .LBB382_1552
.LBB382_16:                             ; =>This Inner Loop Header: Depth=1
	s_clause 0x2
	buffer_load_dword v1, off, s[0:3], s32 offset:228
	buffer_load_dword v4, off, s[0:3], s32 offset:208
	;; [unrolled: 1-line block ×3, first 2 shown]
	v_sub_nc_u32_e32 v0, 0, v7
	buffer_store_dword v2, off, s[0:3], s32 offset:236 ; 4-byte Folded Spill
	v_max_i32_e32 v0, v7, v0
	s_waitcnt vmcnt(2)
	v_mul_hi_u32 v1, v0, v1
	s_waitcnt vmcnt(1)
	v_mul_lo_u32 v2, v1, v4
	v_sub_nc_u32_e32 v0, v0, v2
	v_add_nc_u32_e32 v2, 1, v1
	v_sub_nc_u32_e32 v3, v0, v4
	v_cmp_ge_u32_e64 s5, v0, v4
	v_cndmask_b32_e64 v1, v1, v2, s5
	v_cndmask_b32_e64 v0, v0, v3, s5
	v_ashrrev_i32_e32 v2, 31, v7
	v_add_nc_u32_e32 v3, 1, v1
	v_cmp_ge_u32_e64 s5, v0, v4
	s_waitcnt vmcnt(0)
	v_xor_b32_e32 v2, v2, v6
	v_cndmask_b32_e64 v0, v1, v3, s5
	v_xor_b32_e32 v0, v0, v2
	v_sub_nc_u32_e32 v0, v0, v2
	s_clause 0x3
	buffer_load_dword v1, off, s[0:3], s32 offset:212
	buffer_load_dword v2, off, s[0:3], s32 offset:216
	;; [unrolled: 1-line block ×4, first 2 shown]
	s_waitcnt vmcnt(3)
	v_add_nc_u32_e32 v1, v0, v1
	s_waitcnt vmcnt(2)
	v_sub_nc_u32_e32 v2, 0, v1
	v_max_i32_e32 v2, v1, v2
	v_ashrrev_i32_e32 v1, 31, v1
	s_waitcnt vmcnt(1)
	v_mul_hi_u32 v3, v2, v3
	s_waitcnt vmcnt(0)
	v_mul_lo_u32 v3, v3, v4
	v_sub_nc_u32_e32 v2, v2, v3
	v_sub_nc_u32_e32 v3, v2, v4
	v_cmp_ge_u32_e64 s5, v2, v4
	v_cndmask_b32_e64 v2, v2, v3, s5
	v_sub_nc_u32_e32 v3, v2, v4
	v_cmp_ge_u32_e64 s5, v2, v4
	v_cndmask_b32_e64 v2, v2, v3, s5
	v_xor_b32_e32 v2, v2, v1
	v_sub_nc_u32_e32 v1, v2, v1
	v_cmp_ne_u32_e64 s5, 0, v1
	buffer_load_dword v1, off, s[0:3], s32 offset:232 ; 4-byte Folded Reload
	s_waitcnt vmcnt(0)
	v_cmp_le_i32_e64 s6, v0, v1
	s_and_b32 s5, s5, s6
	s_and_saveexec_b32 s6, s5
	s_xor_b32 s5, exec_lo, s6
	s_cbranch_execz .LBB382_18
; %bb.17:                               ;   in Loop: Header=BB382_16 Depth=1
	s_waitcnt lgkmcnt(0)
	v_add_nc_u32_e32 v0, s24, v8
	v_mov_b32_e32 v1, 0xff7fffff
	ds_write_b32 v0, v1
.LBB382_18:                             ;   in Loop: Header=BB382_16 Depth=1
	s_andn2_saveexec_b32 s6, s5
	s_cbranch_execz .LBB382_15
; %bb.19:                               ;   in Loop: Header=BB382_16 Depth=1
	buffer_store_dword v8, off, s[0:3], s32 offset:548 ; 4-byte Folded Spill
	buffer_store_dword v7, off, s[0:3], s32 offset:544 ; 4-byte Folded Spill
	;; [unrolled: 1-line block ×3, first 2 shown]
	s_clause 0x1
	buffer_load_dword v0, off, s[0:3], s32 offset:200
	buffer_load_dword v1, off, s[0:3], s32 offset:204
	v_mov_b32_e32 v109, 0
	s_waitcnt vmcnt(0)
	flat_load_dword v0, v[0:1]
	s_clause 0x2
	buffer_load_dword v1, off, s[0:3], s32 offset:608
	buffer_load_dword v2, off, s[0:3], s32 offset:1656
	;; [unrolled: 1-line block ×3, first 2 shown]
	s_waitcnt vmcnt(0) lgkmcnt(0)
	v_mad_i64_i32 v[28:29], null, v0, v1, v[2:3]
	flat_load_dwordx2 v[31:32], v[28:29]
	s_clause 0x1
	buffer_load_dword v0, off, s[0:3], s32 offset:872
	buffer_load_dword v1, off, s[0:3], s32 offset:876
	s_waitcnt vmcnt(2) lgkmcnt(0)
	v_cmp_ne_u16_sdwa s5, v31, v19 src0_sel:BYTE_0 src1_sel:DWORD
	s_waitcnt vmcnt(0)
	flat_load_dword v30, v[0:1]
	v_mov_b32_e32 v0, 0
	buffer_store_dword v0, off, s[0:3], s32 offset:364 ; 4-byte Folded Spill
	s_and_saveexec_b32 s25, s5
	s_cbranch_execz .LBB382_27
; %bb.20:                               ;   in Loop: Header=BB382_16 Depth=1
	v_cmp_ne_u16_sdwa s5, v31, v5 src0_sel:BYTE_0 src1_sel:DWORD
	v_bfrev_b32_e32 v0, 1
	buffer_store_dword v0, off, s[0:3], s32 offset:364 ; 4-byte Folded Spill
	s_and_saveexec_b32 s26, s5
	s_cbranch_execz .LBB382_26
; %bb.21:                               ;   in Loop: Header=BB382_16 Depth=1
	v_and_b32_e32 v1, 0x7f, v31
	v_mov_b32_e32 v0, 0x7f800001
	s_mov_b32 s27, exec_lo
	buffer_store_dword v0, off, s[0:3], s32 offset:364 ; 4-byte Folded Spill
	v_cmpx_ne_u32_e32 0x7f, v1
	s_cbranch_execz .LBB382_25
; %bb.22:                               ;   in Loop: Header=BB382_16 Depth=1
	v_mov_b32_e32 v34, v32
	v_lshrrev_b32_e32 v0, 3, v1
	v_mov_b32_e32 v33, v31
	s_mov_b32 s28, exec_lo
	v_cmpx_gt_u32_e32 8, v1
; %bb.23:                               ;   in Loop: Header=BB382_16 Depth=1
	v_and_b32_e32 v0, 7, v31
	v_ffbh_u32_e32 v0, v0
	v_min_u32_e32 v0, 32, v0
	v_subrev_nc_u32_e32 v1, 28, v0
	v_sub_nc_u32_e32 v0, 29, v0
	v_lshlrev_b64 v[33:34], v1, v[31:32]
; %bb.24:                               ;   in Loop: Header=BB382_16 Depth=1
	s_or_b32 exec_lo, exec_lo, s28
	v_lshlrev_b32_e32 v1, 20, v33
	v_lshlrev_b32_e32 v2, 24, v31
	v_lshl_add_u32 v0, v0, 23, 0x3c000000
	v_and_b32_e32 v1, 0x700000, v1
	v_and_b32_e32 v2, 0x80000000, v2
	v_or3_b32 v0, v1, v2, v0
	buffer_store_dword v0, off, s[0:3], s32 offset:364 ; 4-byte Folded Spill
.LBB382_25:                             ;   in Loop: Header=BB382_16 Depth=1
	s_or_b32 exec_lo, exec_lo, s27
.LBB382_26:                             ;   in Loop: Header=BB382_16 Depth=1
	s_or_b32 exec_lo, exec_lo, s26
.LBB382_27:                             ;   in Loop: Header=BB382_16 Depth=1
	s_or_b32 exec_lo, exec_lo, s25
	v_cmp_ne_u16_sdwa s5, v31, v19 src0_sel:BYTE_1 src1_sel:DWORD
	s_and_saveexec_b32 s25, s5
	s_cbranch_execz .LBB382_35
; %bb.28:                               ;   in Loop: Header=BB382_16 Depth=1
	v_cmp_ne_u16_sdwa s5, v31, v5 src0_sel:BYTE_1 src1_sel:DWORD
	v_bfrev_b32_e32 v109, 1
	s_and_saveexec_b32 s26, s5
	s_cbranch_execz .LBB382_34
; %bb.29:                               ;   in Loop: Header=BB382_16 Depth=1
	v_mov_b32_e32 v0, 0xffff
	v_mov_b32_e32 v109, 0x7f800001
	s_mov_b32 s27, exec_lo
	v_and_b32_sdwa v0, v0, v31 dst_sel:DWORD dst_unused:UNUSED_PAD src0_sel:DWORD src1_sel:BYTE_1
	v_and_b32_e32 v1, 0x7f, v0
	v_cmpx_ne_u32_e32 0x7f, v1
	s_cbranch_execz .LBB382_33
; %bb.30:                               ;   in Loop: Header=BB382_16 Depth=1
	v_and_b32_e32 v18, 7, v0
	v_mov_b32_e32 v34, v19
	v_lshrrev_b32_e32 v0, 3, v1
	s_mov_b32 s28, exec_lo
	v_mov_b32_e32 v33, v18
	v_cmpx_gt_u32_e32 8, v1
; %bb.31:                               ;   in Loop: Header=BB382_16 Depth=1
	v_ffbh_u32_e32 v0, v18
	v_min_u32_e32 v0, 32, v0
	v_subrev_nc_u32_e32 v1, 28, v0
	v_sub_nc_u32_e32 v0, 29, v0
	v_lshlrev_b64 v[1:2], v1, v[18:19]
	v_and_b32_e32 v33, 7, v1
; %bb.32:                               ;   in Loop: Header=BB382_16 Depth=1
	s_or_b32 exec_lo, exec_lo, s28
	v_lshlrev_b32_e32 v1, 16, v31
	v_lshlrev_b32_e32 v2, 20, v33
	v_lshl_add_u32 v0, v0, 23, 0x3c000000
	v_and_b32_e32 v1, 0x80000000, v1
	v_or3_b32 v109, v2, v1, v0
.LBB382_33:                             ;   in Loop: Header=BB382_16 Depth=1
	s_or_b32 exec_lo, exec_lo, s27
.LBB382_34:                             ;   in Loop: Header=BB382_16 Depth=1
	s_or_b32 exec_lo, exec_lo, s26
.LBB382_35:                             ;   in Loop: Header=BB382_16 Depth=1
	s_or_b32 exec_lo, exec_lo, s25
	v_mov_b32_e32 v0, 0xff
	v_mov_b32_e32 v24, 0
	;; [unrolled: 1-line block ×3, first 2 shown]
	s_mov_b32 s25, exec_lo
	v_and_b32_sdwa v0, v31, v0 dst_sel:DWORD dst_unused:UNUSED_PAD src0_sel:WORD_1 src1_sel:DWORD
	v_cmpx_ne_u16_e32 0, v0
	s_cbranch_execz .LBB382_43
; %bb.36:                               ;   in Loop: Header=BB382_16 Depth=1
	v_bfrev_b32_e32 v90, 1
	s_mov_b32 s26, exec_lo
	v_cmpx_ne_u16_e32 0x80, v0
	s_cbranch_execz .LBB382_42
; %bb.37:                               ;   in Loop: Header=BB382_16 Depth=1
	v_bfe_u32 v1, v31, 16, 7
	v_mov_b32_e32 v90, 0x7f800001
	s_mov_b32 s27, exec_lo
	v_cmpx_ne_u32_e32 0x7f, v1
	s_cbranch_execz .LBB382_41
; %bb.38:                               ;   in Loop: Header=BB382_16 Depth=1
	v_mov_b32_e32 v0, 7
	s_mov_b32 s28, exec_lo
	v_and_b32_sdwa v18, v31, v0 dst_sel:DWORD dst_unused:UNUSED_PAD src0_sel:WORD_1 src1_sel:DWORD
	v_mov_b32_e32 v34, v19
	v_lshrrev_b32_e32 v0, 3, v1
	v_mov_b32_e32 v33, v18
	v_cmpx_gt_u32_e32 8, v1
; %bb.39:                               ;   in Loop: Header=BB382_16 Depth=1
	v_ffbh_u32_e32 v0, v18
	v_min_u32_e32 v0, 32, v0
	v_subrev_nc_u32_e32 v1, 28, v0
	v_sub_nc_u32_e32 v0, 29, v0
	v_lshlrev_b64 v[1:2], v1, v[18:19]
	v_and_b32_e32 v33, 7, v1
; %bb.40:                               ;   in Loop: Header=BB382_16 Depth=1
	s_or_b32 exec_lo, exec_lo, s28
	v_mov_b32_e32 v1, 24
	v_lshlrev_b32_e32 v2, 20, v33
	v_lshl_add_u32 v0, v0, 23, 0x3c000000
	v_lshlrev_b32_sdwa v1, v1, v31 dst_sel:DWORD dst_unused:UNUSED_PAD src0_sel:DWORD src1_sel:WORD_1
	v_and_b32_e32 v1, 0x80000000, v1
	v_or3_b32 v90, v2, v1, v0
.LBB382_41:                             ;   in Loop: Header=BB382_16 Depth=1
	s_or_b32 exec_lo, exec_lo, s27
.LBB382_42:                             ;   in Loop: Header=BB382_16 Depth=1
	s_or_b32 exec_lo, exec_lo, s26
.LBB382_43:                             ;   in Loop: Header=BB382_16 Depth=1
	s_or_b32 exec_lo, exec_lo, s25
	s_mov_b32 s25, exec_lo
	v_cmpx_lt_u32_e32 0xffffff, v31
	s_cbranch_execz .LBB382_51
; %bb.44:                               ;   in Loop: Header=BB382_16 Depth=1
	v_cmp_ne_u32_sdwa s5, v31, v5 src0_sel:BYTE_3 src1_sel:DWORD
	v_bfrev_b32_e32 v24, 1
	s_and_saveexec_b32 s26, s5
	s_cbranch_execz .LBB382_50
; %bb.45:                               ;   in Loop: Header=BB382_16 Depth=1
	v_bfe_u32 v1, v31, 24, 7
	v_mov_b32_e32 v24, 0x7f800001
	s_mov_b32 s27, exec_lo
	v_cmpx_ne_u32_e32 0x7f, v1
	s_cbranch_execz .LBB382_49
; %bb.46:                               ;   in Loop: Header=BB382_16 Depth=1
	v_mov_b32_e32 v0, 7
	s_mov_b32 s28, exec_lo
	v_and_b32_sdwa v18, v31, v0 dst_sel:DWORD dst_unused:UNUSED_PAD src0_sel:BYTE_3 src1_sel:DWORD
	v_mov_b32_e32 v34, v19
	v_lshrrev_b32_e32 v0, 3, v1
	v_mov_b32_e32 v33, v18
	v_cmpx_gt_u32_e32 8, v1
; %bb.47:                               ;   in Loop: Header=BB382_16 Depth=1
	v_ffbh_u32_e32 v0, v18
	v_min_u32_e32 v0, 32, v0
	v_subrev_nc_u32_e32 v1, 28, v0
	v_sub_nc_u32_e32 v0, 29, v0
	v_lshlrev_b64 v[1:2], v1, v[18:19]
	v_and_b32_e32 v33, 7, v1
; %bb.48:                               ;   in Loop: Header=BB382_16 Depth=1
	s_or_b32 exec_lo, exec_lo, s28
	v_mov_b32_e32 v1, 24
	v_lshlrev_b32_e32 v2, 20, v33
	v_lshl_add_u32 v0, v0, 23, 0x3c000000
	v_lshlrev_b32_sdwa v1, v1, v31 dst_sel:DWORD dst_unused:UNUSED_PAD src0_sel:DWORD src1_sel:BYTE_3
	v_and_b32_e32 v1, 0x80000000, v1
	v_or3_b32 v24, v2, v1, v0
.LBB382_49:                             ;   in Loop: Header=BB382_16 Depth=1
	s_or_b32 exec_lo, exec_lo, s27
.LBB382_50:                             ;   in Loop: Header=BB382_16 Depth=1
	s_or_b32 exec_lo, exec_lo, s26
.LBB382_51:                             ;   in Loop: Header=BB382_16 Depth=1
	s_or_b32 exec_lo, exec_lo, s25
	v_mov_b32_e32 v18, v32
	v_cmp_ne_u16_sdwa s5, v32, v19 src0_sel:BYTE_0 src1_sel:DWORD
	v_mov_b32_e32 v54, 0
	v_mov_b32_e32 v87, 0
	s_and_saveexec_b32 s25, s5
	s_cbranch_execz .LBB382_59
; %bb.52:                               ;   in Loop: Header=BB382_16 Depth=1
	v_cmp_ne_u16_sdwa s5, v32, v5 src0_sel:BYTE_0 src1_sel:DWORD
	v_bfrev_b32_e32 v87, 1
	s_and_saveexec_b32 s26, s5
	s_cbranch_execz .LBB382_58
; %bb.53:                               ;   in Loop: Header=BB382_16 Depth=1
	v_and_b32_e32 v1, 0x7f, v32
	v_mov_b32_e32 v87, 0x7f800001
	s_mov_b32 s27, exec_lo
	v_cmpx_ne_u32_e32 0x7f, v1
	s_cbranch_execz .LBB382_57
; %bb.54:                               ;   in Loop: Header=BB382_16 Depth=1
	v_mov_b32_e32 v34, v19
	v_lshrrev_b32_e32 v0, 3, v1
	v_mov_b32_e32 v33, v18
	s_mov_b32 s28, exec_lo
	v_cmpx_gt_u32_e32 8, v1
; %bb.55:                               ;   in Loop: Header=BB382_16 Depth=1
	v_and_b32_e32 v0, 7, v32
	v_ffbh_u32_e32 v0, v0
	v_min_u32_e32 v0, 32, v0
	v_subrev_nc_u32_e32 v1, 28, v0
	v_sub_nc_u32_e32 v0, 29, v0
	v_lshlrev_b64 v[33:34], v1, v[18:19]
; %bb.56:                               ;   in Loop: Header=BB382_16 Depth=1
	s_or_b32 exec_lo, exec_lo, s28
	v_lshlrev_b32_e32 v1, 20, v33
	v_lshlrev_b32_e32 v2, 24, v18
	v_lshl_add_u32 v0, v0, 23, 0x3c000000
	v_and_b32_e32 v1, 0x700000, v1
	v_and_b32_e32 v2, 0x80000000, v2
	v_or3_b32 v87, v1, v2, v0
.LBB382_57:                             ;   in Loop: Header=BB382_16 Depth=1
	s_or_b32 exec_lo, exec_lo, s27
.LBB382_58:                             ;   in Loop: Header=BB382_16 Depth=1
	s_or_b32 exec_lo, exec_lo, s26
.LBB382_59:                             ;   in Loop: Header=BB382_16 Depth=1
	s_or_b32 exec_lo, exec_lo, s25
	v_cmp_ne_u16_sdwa s5, v18, v19 src0_sel:BYTE_1 src1_sel:DWORD
	s_and_saveexec_b32 s25, s5
	s_cbranch_execz .LBB382_67
; %bb.60:                               ;   in Loop: Header=BB382_16 Depth=1
	v_cmp_ne_u16_sdwa s5, v18, v5 src0_sel:BYTE_1 src1_sel:DWORD
	v_bfrev_b32_e32 v54, 1
	s_and_saveexec_b32 s26, s5
	s_cbranch_execz .LBB382_66
; %bb.61:                               ;   in Loop: Header=BB382_16 Depth=1
	v_mov_b32_e32 v0, 0xffff
	v_mov_b32_e32 v54, 0x7f800001
	s_mov_b32 s27, exec_lo
	v_and_b32_sdwa v0, v0, v18 dst_sel:DWORD dst_unused:UNUSED_PAD src0_sel:DWORD src1_sel:BYTE_1
	v_and_b32_e32 v1, 0x7f, v0
	v_cmpx_ne_u32_e32 0x7f, v1
	s_cbranch_execz .LBB382_65
; %bb.62:                               ;   in Loop: Header=BB382_16 Depth=1
	v_and_b32_e32 v33, 7, v0
	v_mov_b32_e32 v34, v19
	v_lshrrev_b32_e32 v0, 3, v1
	s_mov_b32 s28, exec_lo
	v_cmpx_gt_u32_e32 8, v1
; %bb.63:                               ;   in Loop: Header=BB382_16 Depth=1
	v_ffbh_u32_e32 v0, v33
	v_min_u32_e32 v0, 32, v0
	v_subrev_nc_u32_e32 v1, 28, v0
	v_sub_nc_u32_e32 v0, 29, v0
	v_lshlrev_b64 v[1:2], v1, v[33:34]
	v_and_b32_e32 v33, 7, v1
; %bb.64:                               ;   in Loop: Header=BB382_16 Depth=1
	s_or_b32 exec_lo, exec_lo, s28
	v_lshlrev_b32_e32 v1, 16, v18
	v_lshlrev_b32_e32 v2, 20, v33
	v_lshl_add_u32 v0, v0, 23, 0x3c000000
	v_and_b32_e32 v1, 0x80000000, v1
	v_or3_b32 v54, v2, v1, v0
.LBB382_65:                             ;   in Loop: Header=BB382_16 Depth=1
	s_or_b32 exec_lo, exec_lo, s27
.LBB382_66:                             ;   in Loop: Header=BB382_16 Depth=1
	s_or_b32 exec_lo, exec_lo, s26
.LBB382_67:                             ;   in Loop: Header=BB382_16 Depth=1
	s_or_b32 exec_lo, exec_lo, s25
	v_mov_b32_e32 v0, 0xff
	v_mov_b32_e32 v25, 0
	;; [unrolled: 1-line block ×3, first 2 shown]
	s_mov_b32 s25, exec_lo
	v_and_b32_sdwa v0, v32, v0 dst_sel:DWORD dst_unused:UNUSED_PAD src0_sel:WORD_1 src1_sel:DWORD
	buffer_store_dword v1, off, s[0:3], s32 offset:460 ; 4-byte Folded Spill
	v_cmpx_ne_u16_e32 0, v0
	s_cbranch_execz .LBB382_75
; %bb.68:                               ;   in Loop: Header=BB382_16 Depth=1
	v_cmp_ne_u16_e64 s5, 0x80, v0
	v_bfrev_b32_e32 v0, 1
	s_and_saveexec_b32 s26, s5
	s_cbranch_execz .LBB382_74
; %bb.69:                               ;   in Loop: Header=BB382_16 Depth=1
	v_bfe_u32 v1, v32, 16, 7
	v_mov_b32_e32 v0, 0x7f800001
	s_mov_b32 s27, exec_lo
	v_cmpx_ne_u32_e32 0x7f, v1
	s_cbranch_execz .LBB382_73
; %bb.70:                               ;   in Loop: Header=BB382_16 Depth=1
	v_mov_b32_e32 v0, 7
	s_mov_b32 s28, exec_lo
	v_and_b32_sdwa v18, v32, v0 dst_sel:DWORD dst_unused:UNUSED_PAD src0_sel:WORD_1 src1_sel:DWORD
	v_mov_b32_e32 v34, v19
	v_lshrrev_b32_e32 v0, 3, v1
	v_mov_b32_e32 v33, v18
	v_cmpx_gt_u32_e32 8, v1
; %bb.71:                               ;   in Loop: Header=BB382_16 Depth=1
	v_ffbh_u32_e32 v0, v18
	v_min_u32_e32 v0, 32, v0
	v_subrev_nc_u32_e32 v1, 28, v0
	v_sub_nc_u32_e32 v0, 29, v0
	v_lshlrev_b64 v[1:2], v1, v[18:19]
	v_and_b32_e32 v33, 7, v1
; %bb.72:                               ;   in Loop: Header=BB382_16 Depth=1
	s_or_b32 exec_lo, exec_lo, s28
	v_mov_b32_e32 v1, 24
	v_lshlrev_b32_e32 v2, 20, v33
	v_lshl_add_u32 v0, v0, 23, 0x3c000000
	v_lshlrev_b32_sdwa v1, v1, v32 dst_sel:DWORD dst_unused:UNUSED_PAD src0_sel:DWORD src1_sel:WORD_1
	v_and_b32_e32 v1, 0x80000000, v1
	v_or3_b32 v0, v2, v1, v0
.LBB382_73:                             ;   in Loop: Header=BB382_16 Depth=1
	s_or_b32 exec_lo, exec_lo, s27
.LBB382_74:                             ;   in Loop: Header=BB382_16 Depth=1
	s_or_b32 exec_lo, exec_lo, s26
	buffer_store_dword v0, off, s[0:3], s32 offset:460 ; 4-byte Folded Spill
.LBB382_75:                             ;   in Loop: Header=BB382_16 Depth=1
	s_or_b32 exec_lo, exec_lo, s25
	s_mov_b32 s25, exec_lo
	v_cmpx_lt_u64_e64 s[20:21], v[31:32]
	s_cbranch_execz .LBB382_83
; %bb.76:                               ;   in Loop: Header=BB382_16 Depth=1
	v_cmp_ne_u32_sdwa s5, v32, v5 src0_sel:BYTE_3 src1_sel:DWORD
	v_bfrev_b32_e32 v25, 1
	s_and_saveexec_b32 s26, s5
	s_cbranch_execz .LBB382_82
; %bb.77:                               ;   in Loop: Header=BB382_16 Depth=1
	v_bfe_u32 v1, v32, 24, 7
	v_mov_b32_e32 v25, 0x7f800001
	s_mov_b32 s27, exec_lo
	v_cmpx_ne_u32_e32 0x7f, v1
	s_cbranch_execz .LBB382_81
; %bb.78:                               ;   in Loop: Header=BB382_16 Depth=1
	v_mov_b32_e32 v0, 7
	s_mov_b32 s28, exec_lo
	v_and_b32_sdwa v18, v32, v0 dst_sel:DWORD dst_unused:UNUSED_PAD src0_sel:BYTE_3 src1_sel:DWORD
	v_mov_b32_e32 v34, v19
	v_lshrrev_b32_e32 v0, 3, v1
	v_mov_b32_e32 v33, v18
	v_cmpx_gt_u32_e32 8, v1
; %bb.79:                               ;   in Loop: Header=BB382_16 Depth=1
	v_ffbh_u32_e32 v0, v18
	v_min_u32_e32 v0, 32, v0
	v_subrev_nc_u32_e32 v1, 28, v0
	v_sub_nc_u32_e32 v0, 29, v0
	v_lshlrev_b64 v[1:2], v1, v[18:19]
	v_and_b32_e32 v33, 7, v1
; %bb.80:                               ;   in Loop: Header=BB382_16 Depth=1
	s_or_b32 exec_lo, exec_lo, s28
	v_mov_b32_e32 v1, 24
	v_lshlrev_b32_e32 v2, 20, v33
	v_lshl_add_u32 v0, v0, 23, 0x3c000000
	v_lshlrev_b32_sdwa v1, v1, v32 dst_sel:DWORD dst_unused:UNUSED_PAD src0_sel:DWORD src1_sel:BYTE_3
	v_and_b32_e32 v1, 0x80000000, v1
	v_or3_b32 v25, v2, v1, v0
.LBB382_81:                             ;   in Loop: Header=BB382_16 Depth=1
	s_or_b32 exec_lo, exec_lo, s27
.LBB382_82:                             ;   in Loop: Header=BB382_16 Depth=1
	s_or_b32 exec_lo, exec_lo, s26
.LBB382_83:                             ;   in Loop: Header=BB382_16 Depth=1
	s_or_b32 exec_lo, exec_lo, s25
	flat_load_dwordx2 v[31:32], v[28:29] offset:8
	v_mov_b32_e32 v0, 0
	v_mov_b32_e32 v77, 0
	buffer_store_dword v0, off, s[0:3], s32 offset:240 ; 4-byte Folded Spill
	s_waitcnt vmcnt(0) lgkmcnt(0)
	v_cmp_ne_u16_sdwa s5, v31, v19 src0_sel:BYTE_0 src1_sel:DWORD
	s_and_saveexec_b32 s25, s5
	s_cbranch_execz .LBB382_91
; %bb.84:                               ;   in Loop: Header=BB382_16 Depth=1
	v_cmp_ne_u16_sdwa s5, v31, v5 src0_sel:BYTE_0 src1_sel:DWORD
	v_bfrev_b32_e32 v77, 1
	s_and_saveexec_b32 s26, s5
	s_cbranch_execz .LBB382_90
; %bb.85:                               ;   in Loop: Header=BB382_16 Depth=1
	v_and_b32_e32 v1, 0x7f, v31
	v_mov_b32_e32 v77, 0x7f800001
	s_mov_b32 s27, exec_lo
	v_cmpx_ne_u32_e32 0x7f, v1
	s_cbranch_execz .LBB382_89
; %bb.86:                               ;   in Loop: Header=BB382_16 Depth=1
	v_mov_b32_e32 v34, v32
	v_lshrrev_b32_e32 v0, 3, v1
	v_mov_b32_e32 v33, v31
	s_mov_b32 s28, exec_lo
	v_cmpx_gt_u32_e32 8, v1
; %bb.87:                               ;   in Loop: Header=BB382_16 Depth=1
	v_and_b32_e32 v0, 7, v31
	v_ffbh_u32_e32 v0, v0
	v_min_u32_e32 v0, 32, v0
	v_subrev_nc_u32_e32 v1, 28, v0
	v_sub_nc_u32_e32 v0, 29, v0
	v_lshlrev_b64 v[33:34], v1, v[31:32]
; %bb.88:                               ;   in Loop: Header=BB382_16 Depth=1
	s_or_b32 exec_lo, exec_lo, s28
	v_lshlrev_b32_e32 v1, 20, v33
	v_lshlrev_b32_e32 v2, 24, v31
	v_lshl_add_u32 v0, v0, 23, 0x3c000000
	v_and_b32_e32 v1, 0x700000, v1
	v_and_b32_e32 v2, 0x80000000, v2
	v_or3_b32 v77, v1, v2, v0
.LBB382_89:                             ;   in Loop: Header=BB382_16 Depth=1
	s_or_b32 exec_lo, exec_lo, s27
.LBB382_90:                             ;   in Loop: Header=BB382_16 Depth=1
	s_or_b32 exec_lo, exec_lo, s26
.LBB382_91:                             ;   in Loop: Header=BB382_16 Depth=1
	s_or_b32 exec_lo, exec_lo, s25
	v_cmp_ne_u16_sdwa s5, v31, v19 src0_sel:BYTE_1 src1_sel:DWORD
	s_and_saveexec_b32 s25, s5
	s_cbranch_execz .LBB382_99
; %bb.92:                               ;   in Loop: Header=BB382_16 Depth=1
	v_cmp_ne_u16_sdwa s5, v31, v5 src0_sel:BYTE_1 src1_sel:DWORD
	v_bfrev_b32_e32 v0, 1
	buffer_store_dword v0, off, s[0:3], s32 offset:240 ; 4-byte Folded Spill
	s_and_saveexec_b32 s26, s5
	s_cbranch_execz .LBB382_98
; %bb.93:                               ;   in Loop: Header=BB382_16 Depth=1
	v_mov_b32_e32 v0, 0xffff
	v_mov_b32_e32 v2, 0x7f800001
	s_mov_b32 s27, exec_lo
	v_and_b32_sdwa v0, v0, v31 dst_sel:DWORD dst_unused:UNUSED_PAD src0_sel:DWORD src1_sel:BYTE_1
	buffer_store_dword v2, off, s[0:3], s32 offset:240 ; 4-byte Folded Spill
	v_and_b32_e32 v1, 0x7f, v0
	v_cmpx_ne_u32_e32 0x7f, v1
	s_cbranch_execz .LBB382_97
; %bb.94:                               ;   in Loop: Header=BB382_16 Depth=1
	v_and_b32_e32 v18, 7, v0
	v_mov_b32_e32 v34, v19
	v_lshrrev_b32_e32 v0, 3, v1
	s_mov_b32 s28, exec_lo
	v_mov_b32_e32 v33, v18
	v_cmpx_gt_u32_e32 8, v1
; %bb.95:                               ;   in Loop: Header=BB382_16 Depth=1
	v_ffbh_u32_e32 v0, v18
	v_min_u32_e32 v0, 32, v0
	v_subrev_nc_u32_e32 v1, 28, v0
	v_sub_nc_u32_e32 v0, 29, v0
	v_lshlrev_b64 v[1:2], v1, v[18:19]
	v_and_b32_e32 v33, 7, v1
; %bb.96:                               ;   in Loop: Header=BB382_16 Depth=1
	s_or_b32 exec_lo, exec_lo, s28
	v_lshlrev_b32_e32 v1, 16, v31
	v_lshlrev_b32_e32 v2, 20, v33
	v_lshl_add_u32 v0, v0, 23, 0x3c000000
	v_and_b32_e32 v1, 0x80000000, v1
	v_or3_b32 v0, v2, v1, v0
	buffer_store_dword v0, off, s[0:3], s32 offset:240 ; 4-byte Folded Spill
.LBB382_97:                             ;   in Loop: Header=BB382_16 Depth=1
	s_or_b32 exec_lo, exec_lo, s27
.LBB382_98:                             ;   in Loop: Header=BB382_16 Depth=1
	s_or_b32 exec_lo, exec_lo, s26
.LBB382_99:                             ;   in Loop: Header=BB382_16 Depth=1
	s_or_b32 exec_lo, exec_lo, s25
	v_mov_b32_e32 v0, 0xff
	v_mov_b32_e32 v1, 0
	s_mov_b32 s25, exec_lo
	v_and_b32_sdwa v0, v31, v0 dst_sel:DWORD dst_unused:UNUSED_PAD src0_sel:WORD_1 src1_sel:DWORD
	buffer_store_dword v1, off, s[0:3], s32 offset:244 ; 4-byte Folded Spill
	v_mov_b32_e32 v1, 0
	buffer_store_dword v1, off, s[0:3], s32 offset:464 ; 4-byte Folded Spill
	v_cmpx_ne_u16_e32 0, v0
	s_cbranch_execz .LBB382_107
; %bb.100:                              ;   in Loop: Header=BB382_16 Depth=1
	v_cmp_ne_u16_e64 s5, 0x80, v0
	v_bfrev_b32_e32 v0, 1
	s_and_saveexec_b32 s26, s5
	s_cbranch_execz .LBB382_106
; %bb.101:                              ;   in Loop: Header=BB382_16 Depth=1
	v_bfe_u32 v1, v31, 16, 7
	v_mov_b32_e32 v0, 0x7f800001
	s_mov_b32 s27, exec_lo
	v_cmpx_ne_u32_e32 0x7f, v1
	s_cbranch_execz .LBB382_105
; %bb.102:                              ;   in Loop: Header=BB382_16 Depth=1
	v_mov_b32_e32 v0, 7
	s_mov_b32 s28, exec_lo
	v_and_b32_sdwa v18, v31, v0 dst_sel:DWORD dst_unused:UNUSED_PAD src0_sel:WORD_1 src1_sel:DWORD
	v_mov_b32_e32 v34, v19
	v_lshrrev_b32_e32 v0, 3, v1
	v_mov_b32_e32 v33, v18
	v_cmpx_gt_u32_e32 8, v1
; %bb.103:                              ;   in Loop: Header=BB382_16 Depth=1
	v_ffbh_u32_e32 v0, v18
	v_min_u32_e32 v0, 32, v0
	v_subrev_nc_u32_e32 v1, 28, v0
	v_sub_nc_u32_e32 v0, 29, v0
	v_lshlrev_b64 v[1:2], v1, v[18:19]
	v_and_b32_e32 v33, 7, v1
; %bb.104:                              ;   in Loop: Header=BB382_16 Depth=1
	s_or_b32 exec_lo, exec_lo, s28
	v_mov_b32_e32 v1, 24
	v_lshlrev_b32_e32 v2, 20, v33
	v_lshl_add_u32 v0, v0, 23, 0x3c000000
	v_lshlrev_b32_sdwa v1, v1, v31 dst_sel:DWORD dst_unused:UNUSED_PAD src0_sel:DWORD src1_sel:WORD_1
	v_and_b32_e32 v1, 0x80000000, v1
	v_or3_b32 v0, v2, v1, v0
.LBB382_105:                            ;   in Loop: Header=BB382_16 Depth=1
	s_or_b32 exec_lo, exec_lo, s27
.LBB382_106:                            ;   in Loop: Header=BB382_16 Depth=1
	s_or_b32 exec_lo, exec_lo, s26
	buffer_store_dword v0, off, s[0:3], s32 offset:464 ; 4-byte Folded Spill
.LBB382_107:                            ;   in Loop: Header=BB382_16 Depth=1
	s_or_b32 exec_lo, exec_lo, s25
	s_mov_b32 s25, exec_lo
	v_cmpx_lt_u32_e32 0xffffff, v31
	s_cbranch_execz .LBB382_115
; %bb.108:                              ;   in Loop: Header=BB382_16 Depth=1
	v_cmp_ne_u32_sdwa s5, v31, v5 src0_sel:BYTE_3 src1_sel:DWORD
	v_bfrev_b32_e32 v0, 1
	buffer_store_dword v0, off, s[0:3], s32 offset:244 ; 4-byte Folded Spill
	s_and_saveexec_b32 s26, s5
	s_cbranch_execz .LBB382_114
; %bb.109:                              ;   in Loop: Header=BB382_16 Depth=1
	v_bfe_u32 v1, v31, 24, 7
	v_mov_b32_e32 v0, 0x7f800001
	s_mov_b32 s27, exec_lo
	buffer_store_dword v0, off, s[0:3], s32 offset:244 ; 4-byte Folded Spill
	v_cmpx_ne_u32_e32 0x7f, v1
	s_cbranch_execz .LBB382_113
; %bb.110:                              ;   in Loop: Header=BB382_16 Depth=1
	v_mov_b32_e32 v0, 7
	s_mov_b32 s28, exec_lo
	v_and_b32_sdwa v18, v31, v0 dst_sel:DWORD dst_unused:UNUSED_PAD src0_sel:BYTE_3 src1_sel:DWORD
	v_mov_b32_e32 v34, v19
	v_lshrrev_b32_e32 v0, 3, v1
	v_mov_b32_e32 v33, v18
	v_cmpx_gt_u32_e32 8, v1
; %bb.111:                              ;   in Loop: Header=BB382_16 Depth=1
	v_ffbh_u32_e32 v0, v18
	v_min_u32_e32 v0, 32, v0
	v_subrev_nc_u32_e32 v1, 28, v0
	v_sub_nc_u32_e32 v0, 29, v0
	v_lshlrev_b64 v[1:2], v1, v[18:19]
	v_and_b32_e32 v33, 7, v1
; %bb.112:                              ;   in Loop: Header=BB382_16 Depth=1
	s_or_b32 exec_lo, exec_lo, s28
	v_mov_b32_e32 v1, 24
	v_lshlrev_b32_e32 v2, 20, v33
	v_lshl_add_u32 v0, v0, 23, 0x3c000000
	v_lshlrev_b32_sdwa v1, v1, v31 dst_sel:DWORD dst_unused:UNUSED_PAD src0_sel:DWORD src1_sel:BYTE_3
	v_and_b32_e32 v1, 0x80000000, v1
	v_or3_b32 v0, v2, v1, v0
	buffer_store_dword v0, off, s[0:3], s32 offset:244 ; 4-byte Folded Spill
.LBB382_113:                            ;   in Loop: Header=BB382_16 Depth=1
	s_or_b32 exec_lo, exec_lo, s27
.LBB382_114:                            ;   in Loop: Header=BB382_16 Depth=1
	s_or_b32 exec_lo, exec_lo, s26
.LBB382_115:                            ;   in Loop: Header=BB382_16 Depth=1
	s_or_b32 exec_lo, exec_lo, s25
	v_mov_b32_e32 v0, 0
	v_mov_b32_e32 v18, v32
	v_cmp_ne_u16_sdwa s5, v32, v19 src0_sel:BYTE_0 src1_sel:DWORD
	buffer_store_dword v0, off, s[0:3], s32 offset:252 ; 4-byte Folded Spill
	v_mov_b32_e32 v0, 0
	buffer_store_dword v0, off, s[0:3], s32 offset:248 ; 4-byte Folded Spill
	s_and_saveexec_b32 s25, s5
	s_cbranch_execz .LBB382_123
; %bb.116:                              ;   in Loop: Header=BB382_16 Depth=1
	v_cmp_ne_u16_sdwa s5, v32, v5 src0_sel:BYTE_0 src1_sel:DWORD
	v_bfrev_b32_e32 v0, 1
	buffer_store_dword v0, off, s[0:3], s32 offset:248 ; 4-byte Folded Spill
	s_and_saveexec_b32 s26, s5
	s_cbranch_execz .LBB382_122
; %bb.117:                              ;   in Loop: Header=BB382_16 Depth=1
	v_and_b32_e32 v1, 0x7f, v32
	v_mov_b32_e32 v0, 0x7f800001
	s_mov_b32 s27, exec_lo
	buffer_store_dword v0, off, s[0:3], s32 offset:248 ; 4-byte Folded Spill
	v_cmpx_ne_u32_e32 0x7f, v1
	s_cbranch_execz .LBB382_121
; %bb.118:                              ;   in Loop: Header=BB382_16 Depth=1
	v_mov_b32_e32 v34, v19
	v_lshrrev_b32_e32 v0, 3, v1
	v_mov_b32_e32 v33, v18
	s_mov_b32 s28, exec_lo
	v_cmpx_gt_u32_e32 8, v1
; %bb.119:                              ;   in Loop: Header=BB382_16 Depth=1
	v_and_b32_e32 v0, 7, v32
	v_ffbh_u32_e32 v0, v0
	v_min_u32_e32 v0, 32, v0
	v_subrev_nc_u32_e32 v1, 28, v0
	v_sub_nc_u32_e32 v0, 29, v0
	v_lshlrev_b64 v[33:34], v1, v[18:19]
; %bb.120:                              ;   in Loop: Header=BB382_16 Depth=1
	s_or_b32 exec_lo, exec_lo, s28
	v_lshlrev_b32_e32 v1, 20, v33
	v_lshlrev_b32_e32 v2, 24, v18
	v_lshl_add_u32 v0, v0, 23, 0x3c000000
	v_and_b32_e32 v1, 0x700000, v1
	v_and_b32_e32 v2, 0x80000000, v2
	v_or3_b32 v0, v1, v2, v0
	buffer_store_dword v0, off, s[0:3], s32 offset:248 ; 4-byte Folded Spill
.LBB382_121:                            ;   in Loop: Header=BB382_16 Depth=1
	s_or_b32 exec_lo, exec_lo, s27
.LBB382_122:                            ;   in Loop: Header=BB382_16 Depth=1
	s_or_b32 exec_lo, exec_lo, s26
.LBB382_123:                            ;   in Loop: Header=BB382_16 Depth=1
	s_or_b32 exec_lo, exec_lo, s25
	v_cmp_ne_u16_sdwa s5, v18, v19 src0_sel:BYTE_1 src1_sel:DWORD
	s_and_saveexec_b32 s25, s5
	s_cbranch_execz .LBB382_131
; %bb.124:                              ;   in Loop: Header=BB382_16 Depth=1
	v_cmp_ne_u16_sdwa s5, v18, v5 src0_sel:BYTE_1 src1_sel:DWORD
	v_bfrev_b32_e32 v0, 1
	buffer_store_dword v0, off, s[0:3], s32 offset:252 ; 4-byte Folded Spill
	s_and_saveexec_b32 s26, s5
	s_cbranch_execz .LBB382_130
; %bb.125:                              ;   in Loop: Header=BB382_16 Depth=1
	v_mov_b32_e32 v0, 0xffff
	v_mov_b32_e32 v2, 0x7f800001
	s_mov_b32 s27, exec_lo
	v_and_b32_sdwa v0, v0, v18 dst_sel:DWORD dst_unused:UNUSED_PAD src0_sel:DWORD src1_sel:BYTE_1
	buffer_store_dword v2, off, s[0:3], s32 offset:252 ; 4-byte Folded Spill
	v_and_b32_e32 v1, 0x7f, v0
	v_cmpx_ne_u32_e32 0x7f, v1
	s_cbranch_execz .LBB382_129
; %bb.126:                              ;   in Loop: Header=BB382_16 Depth=1
	v_and_b32_e32 v33, 7, v0
	v_mov_b32_e32 v34, v19
	v_lshrrev_b32_e32 v0, 3, v1
	s_mov_b32 s28, exec_lo
	v_cmpx_gt_u32_e32 8, v1
; %bb.127:                              ;   in Loop: Header=BB382_16 Depth=1
	v_ffbh_u32_e32 v0, v33
	v_min_u32_e32 v0, 32, v0
	v_subrev_nc_u32_e32 v1, 28, v0
	v_sub_nc_u32_e32 v0, 29, v0
	v_lshlrev_b64 v[1:2], v1, v[33:34]
	v_and_b32_e32 v33, 7, v1
; %bb.128:                              ;   in Loop: Header=BB382_16 Depth=1
	s_or_b32 exec_lo, exec_lo, s28
	v_lshlrev_b32_e32 v1, 16, v18
	v_lshlrev_b32_e32 v2, 20, v33
	v_lshl_add_u32 v0, v0, 23, 0x3c000000
	v_and_b32_e32 v1, 0x80000000, v1
	v_or3_b32 v0, v2, v1, v0
	buffer_store_dword v0, off, s[0:3], s32 offset:252 ; 4-byte Folded Spill
.LBB382_129:                            ;   in Loop: Header=BB382_16 Depth=1
	s_or_b32 exec_lo, exec_lo, s27
.LBB382_130:                            ;   in Loop: Header=BB382_16 Depth=1
	s_or_b32 exec_lo, exec_lo, s26
.LBB382_131:                            ;   in Loop: Header=BB382_16 Depth=1
	s_or_b32 exec_lo, exec_lo, s25
	v_mov_b32_e32 v0, 0xff
	v_mov_b32_e32 v1, 0
	s_mov_b32 s25, exec_lo
	v_and_b32_sdwa v0, v32, v0 dst_sel:DWORD dst_unused:UNUSED_PAD src0_sel:WORD_1 src1_sel:DWORD
	buffer_store_dword v1, off, s[0:3], s32 offset:256 ; 4-byte Folded Spill
	v_mov_b32_e32 v1, 0
	buffer_store_dword v1, off, s[0:3], s32 offset:468 ; 4-byte Folded Spill
	v_cmpx_ne_u16_e32 0, v0
	s_cbranch_execz .LBB382_139
; %bb.132:                              ;   in Loop: Header=BB382_16 Depth=1
	v_cmp_ne_u16_e64 s5, 0x80, v0
	v_bfrev_b32_e32 v0, 1
	s_and_saveexec_b32 s26, s5
	s_cbranch_execz .LBB382_138
; %bb.133:                              ;   in Loop: Header=BB382_16 Depth=1
	v_bfe_u32 v1, v32, 16, 7
	v_mov_b32_e32 v0, 0x7f800001
	s_mov_b32 s27, exec_lo
	v_cmpx_ne_u32_e32 0x7f, v1
	s_cbranch_execz .LBB382_137
; %bb.134:                              ;   in Loop: Header=BB382_16 Depth=1
	v_mov_b32_e32 v0, 7
	s_mov_b32 s28, exec_lo
	v_and_b32_sdwa v18, v32, v0 dst_sel:DWORD dst_unused:UNUSED_PAD src0_sel:WORD_1 src1_sel:DWORD
	v_mov_b32_e32 v34, v19
	v_lshrrev_b32_e32 v0, 3, v1
	v_mov_b32_e32 v33, v18
	v_cmpx_gt_u32_e32 8, v1
; %bb.135:                              ;   in Loop: Header=BB382_16 Depth=1
	v_ffbh_u32_e32 v0, v18
	v_min_u32_e32 v0, 32, v0
	v_subrev_nc_u32_e32 v1, 28, v0
	v_sub_nc_u32_e32 v0, 29, v0
	v_lshlrev_b64 v[1:2], v1, v[18:19]
	v_and_b32_e32 v33, 7, v1
; %bb.136:                              ;   in Loop: Header=BB382_16 Depth=1
	s_or_b32 exec_lo, exec_lo, s28
	v_mov_b32_e32 v1, 24
	v_lshlrev_b32_e32 v2, 20, v33
	v_lshl_add_u32 v0, v0, 23, 0x3c000000
	v_lshlrev_b32_sdwa v1, v1, v32 dst_sel:DWORD dst_unused:UNUSED_PAD src0_sel:DWORD src1_sel:WORD_1
	v_and_b32_e32 v1, 0x80000000, v1
	v_or3_b32 v0, v2, v1, v0
.LBB382_137:                            ;   in Loop: Header=BB382_16 Depth=1
	s_or_b32 exec_lo, exec_lo, s27
.LBB382_138:                            ;   in Loop: Header=BB382_16 Depth=1
	s_or_b32 exec_lo, exec_lo, s26
	buffer_store_dword v0, off, s[0:3], s32 offset:468 ; 4-byte Folded Spill
.LBB382_139:                            ;   in Loop: Header=BB382_16 Depth=1
	s_or_b32 exec_lo, exec_lo, s25
	s_mov_b32 s25, exec_lo
	v_cmpx_lt_u64_e64 s[20:21], v[31:32]
	s_cbranch_execz .LBB382_147
; %bb.140:                              ;   in Loop: Header=BB382_16 Depth=1
	v_cmp_ne_u32_sdwa s5, v32, v5 src0_sel:BYTE_3 src1_sel:DWORD
	v_bfrev_b32_e32 v0, 1
	buffer_store_dword v0, off, s[0:3], s32 offset:256 ; 4-byte Folded Spill
	s_and_saveexec_b32 s26, s5
	s_cbranch_execz .LBB382_146
; %bb.141:                              ;   in Loop: Header=BB382_16 Depth=1
	v_bfe_u32 v1, v32, 24, 7
	v_mov_b32_e32 v0, 0x7f800001
	s_mov_b32 s27, exec_lo
	buffer_store_dword v0, off, s[0:3], s32 offset:256 ; 4-byte Folded Spill
	v_cmpx_ne_u32_e32 0x7f, v1
	s_cbranch_execz .LBB382_145
; %bb.142:                              ;   in Loop: Header=BB382_16 Depth=1
	v_mov_b32_e32 v0, 7
	s_mov_b32 s28, exec_lo
	v_and_b32_sdwa v18, v32, v0 dst_sel:DWORD dst_unused:UNUSED_PAD src0_sel:BYTE_3 src1_sel:DWORD
	v_mov_b32_e32 v34, v19
	v_lshrrev_b32_e32 v0, 3, v1
	v_mov_b32_e32 v33, v18
	v_cmpx_gt_u32_e32 8, v1
; %bb.143:                              ;   in Loop: Header=BB382_16 Depth=1
	v_ffbh_u32_e32 v0, v18
	v_min_u32_e32 v0, 32, v0
	v_subrev_nc_u32_e32 v1, 28, v0
	v_sub_nc_u32_e32 v0, 29, v0
	v_lshlrev_b64 v[1:2], v1, v[18:19]
	v_and_b32_e32 v33, 7, v1
; %bb.144:                              ;   in Loop: Header=BB382_16 Depth=1
	s_or_b32 exec_lo, exec_lo, s28
	v_mov_b32_e32 v1, 24
	v_lshlrev_b32_e32 v2, 20, v33
	v_lshl_add_u32 v0, v0, 23, 0x3c000000
	v_lshlrev_b32_sdwa v1, v1, v32 dst_sel:DWORD dst_unused:UNUSED_PAD src0_sel:DWORD src1_sel:BYTE_3
	v_and_b32_e32 v1, 0x80000000, v1
	v_or3_b32 v0, v2, v1, v0
	buffer_store_dword v0, off, s[0:3], s32 offset:256 ; 4-byte Folded Spill
.LBB382_145:                            ;   in Loop: Header=BB382_16 Depth=1
	s_or_b32 exec_lo, exec_lo, s27
.LBB382_146:                            ;   in Loop: Header=BB382_16 Depth=1
	s_or_b32 exec_lo, exec_lo, s26
.LBB382_147:                            ;   in Loop: Header=BB382_16 Depth=1
	s_or_b32 exec_lo, exec_lo, s25
	flat_load_dwordx2 v[31:32], v[28:29] offset:512
	v_mov_b32_e32 v0, 0
	buffer_store_dword v0, off, s[0:3], s32 offset:264 ; 4-byte Folded Spill
	v_mov_b32_e32 v0, 0
	buffer_store_dword v0, off, s[0:3], s32 offset:260 ; 4-byte Folded Spill
	s_waitcnt vmcnt(0) lgkmcnt(0)
	v_cmp_ne_u16_sdwa s5, v31, v19 src0_sel:BYTE_0 src1_sel:DWORD
	s_and_saveexec_b32 s25, s5
	s_cbranch_execz .LBB382_155
; %bb.148:                              ;   in Loop: Header=BB382_16 Depth=1
	v_cmp_ne_u16_sdwa s5, v31, v5 src0_sel:BYTE_0 src1_sel:DWORD
	v_bfrev_b32_e32 v0, 1
	buffer_store_dword v0, off, s[0:3], s32 offset:260 ; 4-byte Folded Spill
	s_and_saveexec_b32 s26, s5
	s_cbranch_execz .LBB382_154
; %bb.149:                              ;   in Loop: Header=BB382_16 Depth=1
	v_and_b32_e32 v1, 0x7f, v31
	v_mov_b32_e32 v0, 0x7f800001
	s_mov_b32 s27, exec_lo
	buffer_store_dword v0, off, s[0:3], s32 offset:260 ; 4-byte Folded Spill
	v_cmpx_ne_u32_e32 0x7f, v1
	s_cbranch_execz .LBB382_153
; %bb.150:                              ;   in Loop: Header=BB382_16 Depth=1
	v_mov_b32_e32 v34, v32
	v_lshrrev_b32_e32 v0, 3, v1
	v_mov_b32_e32 v33, v31
	s_mov_b32 s28, exec_lo
	v_cmpx_gt_u32_e32 8, v1
; %bb.151:                              ;   in Loop: Header=BB382_16 Depth=1
	v_and_b32_e32 v0, 7, v31
	v_ffbh_u32_e32 v0, v0
	v_min_u32_e32 v0, 32, v0
	v_subrev_nc_u32_e32 v1, 28, v0
	v_sub_nc_u32_e32 v0, 29, v0
	v_lshlrev_b64 v[33:34], v1, v[31:32]
; %bb.152:                              ;   in Loop: Header=BB382_16 Depth=1
	s_or_b32 exec_lo, exec_lo, s28
	v_lshlrev_b32_e32 v1, 20, v33
	v_lshlrev_b32_e32 v2, 24, v31
	v_lshl_add_u32 v0, v0, 23, 0x3c000000
	v_and_b32_e32 v1, 0x700000, v1
	v_and_b32_e32 v2, 0x80000000, v2
	v_or3_b32 v0, v1, v2, v0
	buffer_store_dword v0, off, s[0:3], s32 offset:260 ; 4-byte Folded Spill
.LBB382_153:                            ;   in Loop: Header=BB382_16 Depth=1
	s_or_b32 exec_lo, exec_lo, s27
.LBB382_154:                            ;   in Loop: Header=BB382_16 Depth=1
	s_or_b32 exec_lo, exec_lo, s26
.LBB382_155:                            ;   in Loop: Header=BB382_16 Depth=1
	s_or_b32 exec_lo, exec_lo, s25
	v_cmp_ne_u16_sdwa s5, v31, v19 src0_sel:BYTE_1 src1_sel:DWORD
	s_and_saveexec_b32 s25, s5
	s_cbranch_execz .LBB382_163
; %bb.156:                              ;   in Loop: Header=BB382_16 Depth=1
	v_cmp_ne_u16_sdwa s5, v31, v5 src0_sel:BYTE_1 src1_sel:DWORD
	v_bfrev_b32_e32 v0, 1
	buffer_store_dword v0, off, s[0:3], s32 offset:264 ; 4-byte Folded Spill
	s_and_saveexec_b32 s26, s5
	s_cbranch_execz .LBB382_162
; %bb.157:                              ;   in Loop: Header=BB382_16 Depth=1
	v_mov_b32_e32 v0, 0xffff
	v_mov_b32_e32 v2, 0x7f800001
	s_mov_b32 s27, exec_lo
	v_and_b32_sdwa v0, v0, v31 dst_sel:DWORD dst_unused:UNUSED_PAD src0_sel:DWORD src1_sel:BYTE_1
	buffer_store_dword v2, off, s[0:3], s32 offset:264 ; 4-byte Folded Spill
	v_and_b32_e32 v1, 0x7f, v0
	v_cmpx_ne_u32_e32 0x7f, v1
	s_cbranch_execz .LBB382_161
; %bb.158:                              ;   in Loop: Header=BB382_16 Depth=1
	v_and_b32_e32 v18, 7, v0
	v_mov_b32_e32 v34, v19
	v_lshrrev_b32_e32 v0, 3, v1
	s_mov_b32 s28, exec_lo
	v_mov_b32_e32 v33, v18
	v_cmpx_gt_u32_e32 8, v1
; %bb.159:                              ;   in Loop: Header=BB382_16 Depth=1
	v_ffbh_u32_e32 v0, v18
	v_min_u32_e32 v0, 32, v0
	v_subrev_nc_u32_e32 v1, 28, v0
	v_sub_nc_u32_e32 v0, 29, v0
	v_lshlrev_b64 v[1:2], v1, v[18:19]
	v_and_b32_e32 v33, 7, v1
; %bb.160:                              ;   in Loop: Header=BB382_16 Depth=1
	s_or_b32 exec_lo, exec_lo, s28
	v_lshlrev_b32_e32 v1, 16, v31
	v_lshlrev_b32_e32 v2, 20, v33
	v_lshl_add_u32 v0, v0, 23, 0x3c000000
	v_and_b32_e32 v1, 0x80000000, v1
	v_or3_b32 v0, v2, v1, v0
	buffer_store_dword v0, off, s[0:3], s32 offset:264 ; 4-byte Folded Spill
.LBB382_161:                            ;   in Loop: Header=BB382_16 Depth=1
	s_or_b32 exec_lo, exec_lo, s27
.LBB382_162:                            ;   in Loop: Header=BB382_16 Depth=1
	s_or_b32 exec_lo, exec_lo, s26
.LBB382_163:                            ;   in Loop: Header=BB382_16 Depth=1
	s_or_b32 exec_lo, exec_lo, s25
	v_mov_b32_e32 v0, 0xff
	v_mov_b32_e32 v1, 0
	s_mov_b32 s25, exec_lo
	v_and_b32_sdwa v0, v31, v0 dst_sel:DWORD dst_unused:UNUSED_PAD src0_sel:WORD_1 src1_sel:DWORD
	buffer_store_dword v1, off, s[0:3], s32 offset:268 ; 4-byte Folded Spill
	v_mov_b32_e32 v1, 0
	buffer_store_dword v1, off, s[0:3], s32 offset:472 ; 4-byte Folded Spill
	v_cmpx_ne_u16_e32 0, v0
	s_cbranch_execz .LBB382_171
; %bb.164:                              ;   in Loop: Header=BB382_16 Depth=1
	v_cmp_ne_u16_e64 s5, 0x80, v0
	v_bfrev_b32_e32 v0, 1
	s_and_saveexec_b32 s26, s5
	s_cbranch_execz .LBB382_170
; %bb.165:                              ;   in Loop: Header=BB382_16 Depth=1
	v_bfe_u32 v1, v31, 16, 7
	v_mov_b32_e32 v0, 0x7f800001
	s_mov_b32 s27, exec_lo
	v_cmpx_ne_u32_e32 0x7f, v1
	s_cbranch_execz .LBB382_169
; %bb.166:                              ;   in Loop: Header=BB382_16 Depth=1
	v_mov_b32_e32 v0, 7
	s_mov_b32 s28, exec_lo
	v_and_b32_sdwa v18, v31, v0 dst_sel:DWORD dst_unused:UNUSED_PAD src0_sel:WORD_1 src1_sel:DWORD
	v_mov_b32_e32 v34, v19
	v_lshrrev_b32_e32 v0, 3, v1
	v_mov_b32_e32 v33, v18
	v_cmpx_gt_u32_e32 8, v1
; %bb.167:                              ;   in Loop: Header=BB382_16 Depth=1
	v_ffbh_u32_e32 v0, v18
	v_min_u32_e32 v0, 32, v0
	v_subrev_nc_u32_e32 v1, 28, v0
	v_sub_nc_u32_e32 v0, 29, v0
	v_lshlrev_b64 v[1:2], v1, v[18:19]
	v_and_b32_e32 v33, 7, v1
; %bb.168:                              ;   in Loop: Header=BB382_16 Depth=1
	s_or_b32 exec_lo, exec_lo, s28
	v_mov_b32_e32 v1, 24
	v_lshlrev_b32_e32 v2, 20, v33
	v_lshl_add_u32 v0, v0, 23, 0x3c000000
	v_lshlrev_b32_sdwa v1, v1, v31 dst_sel:DWORD dst_unused:UNUSED_PAD src0_sel:DWORD src1_sel:WORD_1
	v_and_b32_e32 v1, 0x80000000, v1
	v_or3_b32 v0, v2, v1, v0
.LBB382_169:                            ;   in Loop: Header=BB382_16 Depth=1
	s_or_b32 exec_lo, exec_lo, s27
.LBB382_170:                            ;   in Loop: Header=BB382_16 Depth=1
	s_or_b32 exec_lo, exec_lo, s26
	buffer_store_dword v0, off, s[0:3], s32 offset:472 ; 4-byte Folded Spill
.LBB382_171:                            ;   in Loop: Header=BB382_16 Depth=1
	s_or_b32 exec_lo, exec_lo, s25
	s_mov_b32 s25, exec_lo
	v_cmpx_lt_u32_e32 0xffffff, v31
	s_cbranch_execz .LBB382_179
; %bb.172:                              ;   in Loop: Header=BB382_16 Depth=1
	v_cmp_ne_u32_sdwa s5, v31, v5 src0_sel:BYTE_3 src1_sel:DWORD
	v_bfrev_b32_e32 v0, 1
	buffer_store_dword v0, off, s[0:3], s32 offset:268 ; 4-byte Folded Spill
	s_and_saveexec_b32 s26, s5
	s_cbranch_execz .LBB382_178
; %bb.173:                              ;   in Loop: Header=BB382_16 Depth=1
	v_bfe_u32 v1, v31, 24, 7
	v_mov_b32_e32 v0, 0x7f800001
	s_mov_b32 s27, exec_lo
	buffer_store_dword v0, off, s[0:3], s32 offset:268 ; 4-byte Folded Spill
	v_cmpx_ne_u32_e32 0x7f, v1
	s_cbranch_execz .LBB382_177
; %bb.174:                              ;   in Loop: Header=BB382_16 Depth=1
	v_mov_b32_e32 v0, 7
	s_mov_b32 s28, exec_lo
	v_and_b32_sdwa v18, v31, v0 dst_sel:DWORD dst_unused:UNUSED_PAD src0_sel:BYTE_3 src1_sel:DWORD
	v_mov_b32_e32 v34, v19
	v_lshrrev_b32_e32 v0, 3, v1
	v_mov_b32_e32 v33, v18
	v_cmpx_gt_u32_e32 8, v1
; %bb.175:                              ;   in Loop: Header=BB382_16 Depth=1
	v_ffbh_u32_e32 v0, v18
	v_min_u32_e32 v0, 32, v0
	v_subrev_nc_u32_e32 v1, 28, v0
	v_sub_nc_u32_e32 v0, 29, v0
	v_lshlrev_b64 v[1:2], v1, v[18:19]
	v_and_b32_e32 v33, 7, v1
; %bb.176:                              ;   in Loop: Header=BB382_16 Depth=1
	s_or_b32 exec_lo, exec_lo, s28
	v_mov_b32_e32 v1, 24
	v_lshlrev_b32_e32 v2, 20, v33
	v_lshl_add_u32 v0, v0, 23, 0x3c000000
	v_lshlrev_b32_sdwa v1, v1, v31 dst_sel:DWORD dst_unused:UNUSED_PAD src0_sel:DWORD src1_sel:BYTE_3
	v_and_b32_e32 v1, 0x80000000, v1
	v_or3_b32 v0, v2, v1, v0
	buffer_store_dword v0, off, s[0:3], s32 offset:268 ; 4-byte Folded Spill
.LBB382_177:                            ;   in Loop: Header=BB382_16 Depth=1
	s_or_b32 exec_lo, exec_lo, s27
.LBB382_178:                            ;   in Loop: Header=BB382_16 Depth=1
	s_or_b32 exec_lo, exec_lo, s26
.LBB382_179:                            ;   in Loop: Header=BB382_16 Depth=1
	s_or_b32 exec_lo, exec_lo, s25
	v_mov_b32_e32 v0, 0
	v_mov_b32_e32 v18, v32
	v_cmp_ne_u16_sdwa s5, v32, v19 src0_sel:BYTE_0 src1_sel:DWORD
	buffer_store_dword v0, off, s[0:3], s32 offset:276 ; 4-byte Folded Spill
	v_mov_b32_e32 v0, 0
	buffer_store_dword v0, off, s[0:3], s32 offset:272 ; 4-byte Folded Spill
	s_and_saveexec_b32 s25, s5
	s_cbranch_execz .LBB382_187
; %bb.180:                              ;   in Loop: Header=BB382_16 Depth=1
	v_cmp_ne_u16_sdwa s5, v32, v5 src0_sel:BYTE_0 src1_sel:DWORD
	v_bfrev_b32_e32 v0, 1
	buffer_store_dword v0, off, s[0:3], s32 offset:272 ; 4-byte Folded Spill
	s_and_saveexec_b32 s26, s5
	s_cbranch_execz .LBB382_186
; %bb.181:                              ;   in Loop: Header=BB382_16 Depth=1
	v_and_b32_e32 v1, 0x7f, v32
	v_mov_b32_e32 v0, 0x7f800001
	s_mov_b32 s27, exec_lo
	buffer_store_dword v0, off, s[0:3], s32 offset:272 ; 4-byte Folded Spill
	v_cmpx_ne_u32_e32 0x7f, v1
	s_cbranch_execz .LBB382_185
; %bb.182:                              ;   in Loop: Header=BB382_16 Depth=1
	v_mov_b32_e32 v34, v19
	v_lshrrev_b32_e32 v0, 3, v1
	v_mov_b32_e32 v33, v18
	s_mov_b32 s28, exec_lo
	v_cmpx_gt_u32_e32 8, v1
; %bb.183:                              ;   in Loop: Header=BB382_16 Depth=1
	v_and_b32_e32 v0, 7, v32
	v_ffbh_u32_e32 v0, v0
	v_min_u32_e32 v0, 32, v0
	v_subrev_nc_u32_e32 v1, 28, v0
	v_sub_nc_u32_e32 v0, 29, v0
	v_lshlrev_b64 v[33:34], v1, v[18:19]
; %bb.184:                              ;   in Loop: Header=BB382_16 Depth=1
	s_or_b32 exec_lo, exec_lo, s28
	v_lshlrev_b32_e32 v1, 20, v33
	v_lshlrev_b32_e32 v2, 24, v18
	v_lshl_add_u32 v0, v0, 23, 0x3c000000
	v_and_b32_e32 v1, 0x700000, v1
	v_and_b32_e32 v2, 0x80000000, v2
	v_or3_b32 v0, v1, v2, v0
	buffer_store_dword v0, off, s[0:3], s32 offset:272 ; 4-byte Folded Spill
.LBB382_185:                            ;   in Loop: Header=BB382_16 Depth=1
	s_or_b32 exec_lo, exec_lo, s27
.LBB382_186:                            ;   in Loop: Header=BB382_16 Depth=1
	s_or_b32 exec_lo, exec_lo, s26
.LBB382_187:                            ;   in Loop: Header=BB382_16 Depth=1
	s_or_b32 exec_lo, exec_lo, s25
	v_cmp_ne_u16_sdwa s5, v18, v19 src0_sel:BYTE_1 src1_sel:DWORD
	s_and_saveexec_b32 s25, s5
	s_cbranch_execz .LBB382_195
; %bb.188:                              ;   in Loop: Header=BB382_16 Depth=1
	v_cmp_ne_u16_sdwa s5, v18, v5 src0_sel:BYTE_1 src1_sel:DWORD
	v_bfrev_b32_e32 v0, 1
	buffer_store_dword v0, off, s[0:3], s32 offset:276 ; 4-byte Folded Spill
	s_and_saveexec_b32 s26, s5
	s_cbranch_execz .LBB382_194
; %bb.189:                              ;   in Loop: Header=BB382_16 Depth=1
	v_mov_b32_e32 v0, 0xffff
	v_mov_b32_e32 v2, 0x7f800001
	s_mov_b32 s27, exec_lo
	v_and_b32_sdwa v0, v0, v18 dst_sel:DWORD dst_unused:UNUSED_PAD src0_sel:DWORD src1_sel:BYTE_1
	buffer_store_dword v2, off, s[0:3], s32 offset:276 ; 4-byte Folded Spill
	v_and_b32_e32 v1, 0x7f, v0
	v_cmpx_ne_u32_e32 0x7f, v1
	s_cbranch_execz .LBB382_193
; %bb.190:                              ;   in Loop: Header=BB382_16 Depth=1
	v_and_b32_e32 v33, 7, v0
	v_mov_b32_e32 v34, v19
	v_lshrrev_b32_e32 v0, 3, v1
	s_mov_b32 s28, exec_lo
	v_cmpx_gt_u32_e32 8, v1
; %bb.191:                              ;   in Loop: Header=BB382_16 Depth=1
	v_ffbh_u32_e32 v0, v33
	v_min_u32_e32 v0, 32, v0
	v_subrev_nc_u32_e32 v1, 28, v0
	v_sub_nc_u32_e32 v0, 29, v0
	v_lshlrev_b64 v[1:2], v1, v[33:34]
	v_and_b32_e32 v33, 7, v1
; %bb.192:                              ;   in Loop: Header=BB382_16 Depth=1
	s_or_b32 exec_lo, exec_lo, s28
	v_lshlrev_b32_e32 v1, 16, v18
	v_lshlrev_b32_e32 v2, 20, v33
	v_lshl_add_u32 v0, v0, 23, 0x3c000000
	v_and_b32_e32 v1, 0x80000000, v1
	v_or3_b32 v0, v2, v1, v0
	buffer_store_dword v0, off, s[0:3], s32 offset:276 ; 4-byte Folded Spill
.LBB382_193:                            ;   in Loop: Header=BB382_16 Depth=1
	s_or_b32 exec_lo, exec_lo, s27
.LBB382_194:                            ;   in Loop: Header=BB382_16 Depth=1
	s_or_b32 exec_lo, exec_lo, s26
.LBB382_195:                            ;   in Loop: Header=BB382_16 Depth=1
	s_or_b32 exec_lo, exec_lo, s25
	v_mov_b32_e32 v0, 0xff
	v_mov_b32_e32 v1, 0
	s_mov_b32 s25, exec_lo
	v_and_b32_sdwa v0, v32, v0 dst_sel:DWORD dst_unused:UNUSED_PAD src0_sel:WORD_1 src1_sel:DWORD
	buffer_store_dword v1, off, s[0:3], s32 offset:280 ; 4-byte Folded Spill
	v_mov_b32_e32 v1, 0
	buffer_store_dword v1, off, s[0:3], s32 offset:476 ; 4-byte Folded Spill
	v_cmpx_ne_u16_e32 0, v0
	s_cbranch_execz .LBB382_203
; %bb.196:                              ;   in Loop: Header=BB382_16 Depth=1
	v_cmp_ne_u16_e64 s5, 0x80, v0
	v_bfrev_b32_e32 v0, 1
	s_and_saveexec_b32 s26, s5
	s_cbranch_execz .LBB382_202
; %bb.197:                              ;   in Loop: Header=BB382_16 Depth=1
	v_bfe_u32 v1, v32, 16, 7
	v_mov_b32_e32 v0, 0x7f800001
	s_mov_b32 s27, exec_lo
	v_cmpx_ne_u32_e32 0x7f, v1
	s_cbranch_execz .LBB382_201
; %bb.198:                              ;   in Loop: Header=BB382_16 Depth=1
	v_mov_b32_e32 v0, 7
	s_mov_b32 s28, exec_lo
	v_and_b32_sdwa v18, v32, v0 dst_sel:DWORD dst_unused:UNUSED_PAD src0_sel:WORD_1 src1_sel:DWORD
	v_mov_b32_e32 v34, v19
	v_lshrrev_b32_e32 v0, 3, v1
	v_mov_b32_e32 v33, v18
	v_cmpx_gt_u32_e32 8, v1
; %bb.199:                              ;   in Loop: Header=BB382_16 Depth=1
	v_ffbh_u32_e32 v0, v18
	v_min_u32_e32 v0, 32, v0
	v_subrev_nc_u32_e32 v1, 28, v0
	v_sub_nc_u32_e32 v0, 29, v0
	v_lshlrev_b64 v[1:2], v1, v[18:19]
	v_and_b32_e32 v33, 7, v1
; %bb.200:                              ;   in Loop: Header=BB382_16 Depth=1
	s_or_b32 exec_lo, exec_lo, s28
	v_mov_b32_e32 v1, 24
	v_lshlrev_b32_e32 v2, 20, v33
	v_lshl_add_u32 v0, v0, 23, 0x3c000000
	v_lshlrev_b32_sdwa v1, v1, v32 dst_sel:DWORD dst_unused:UNUSED_PAD src0_sel:DWORD src1_sel:WORD_1
	v_and_b32_e32 v1, 0x80000000, v1
	v_or3_b32 v0, v2, v1, v0
.LBB382_201:                            ;   in Loop: Header=BB382_16 Depth=1
	s_or_b32 exec_lo, exec_lo, s27
.LBB382_202:                            ;   in Loop: Header=BB382_16 Depth=1
	s_or_b32 exec_lo, exec_lo, s26
	buffer_store_dword v0, off, s[0:3], s32 offset:476 ; 4-byte Folded Spill
.LBB382_203:                            ;   in Loop: Header=BB382_16 Depth=1
	s_or_b32 exec_lo, exec_lo, s25
	s_mov_b32 s25, exec_lo
	v_cmpx_lt_u64_e64 s[20:21], v[31:32]
	s_cbranch_execz .LBB382_211
; %bb.204:                              ;   in Loop: Header=BB382_16 Depth=1
	v_cmp_ne_u32_sdwa s5, v32, v5 src0_sel:BYTE_3 src1_sel:DWORD
	v_bfrev_b32_e32 v0, 1
	buffer_store_dword v0, off, s[0:3], s32 offset:280 ; 4-byte Folded Spill
	s_and_saveexec_b32 s26, s5
	s_cbranch_execz .LBB382_210
; %bb.205:                              ;   in Loop: Header=BB382_16 Depth=1
	v_bfe_u32 v1, v32, 24, 7
	v_mov_b32_e32 v0, 0x7f800001
	s_mov_b32 s27, exec_lo
	buffer_store_dword v0, off, s[0:3], s32 offset:280 ; 4-byte Folded Spill
	v_cmpx_ne_u32_e32 0x7f, v1
	s_cbranch_execz .LBB382_209
; %bb.206:                              ;   in Loop: Header=BB382_16 Depth=1
	v_mov_b32_e32 v0, 7
	s_mov_b32 s28, exec_lo
	v_and_b32_sdwa v18, v32, v0 dst_sel:DWORD dst_unused:UNUSED_PAD src0_sel:BYTE_3 src1_sel:DWORD
	v_mov_b32_e32 v34, v19
	v_lshrrev_b32_e32 v0, 3, v1
	v_mov_b32_e32 v33, v18
	v_cmpx_gt_u32_e32 8, v1
; %bb.207:                              ;   in Loop: Header=BB382_16 Depth=1
	v_ffbh_u32_e32 v0, v18
	v_min_u32_e32 v0, 32, v0
	v_subrev_nc_u32_e32 v1, 28, v0
	v_sub_nc_u32_e32 v0, 29, v0
	v_lshlrev_b64 v[1:2], v1, v[18:19]
	v_and_b32_e32 v33, 7, v1
; %bb.208:                              ;   in Loop: Header=BB382_16 Depth=1
	s_or_b32 exec_lo, exec_lo, s28
	v_mov_b32_e32 v1, 24
	v_lshlrev_b32_e32 v2, 20, v33
	v_lshl_add_u32 v0, v0, 23, 0x3c000000
	v_lshlrev_b32_sdwa v1, v1, v32 dst_sel:DWORD dst_unused:UNUSED_PAD src0_sel:DWORD src1_sel:BYTE_3
	v_and_b32_e32 v1, 0x80000000, v1
	v_or3_b32 v0, v2, v1, v0
	buffer_store_dword v0, off, s[0:3], s32 offset:280 ; 4-byte Folded Spill
.LBB382_209:                            ;   in Loop: Header=BB382_16 Depth=1
	s_or_b32 exec_lo, exec_lo, s27
.LBB382_210:                            ;   in Loop: Header=BB382_16 Depth=1
	s_or_b32 exec_lo, exec_lo, s26
.LBB382_211:                            ;   in Loop: Header=BB382_16 Depth=1
	s_or_b32 exec_lo, exec_lo, s25
	flat_load_dwordx2 v[31:32], v[28:29] offset:520
	v_mov_b32_e32 v0, 0
	buffer_store_dword v0, off, s[0:3], s32 offset:288 ; 4-byte Folded Spill
	v_mov_b32_e32 v0, 0
	buffer_store_dword v0, off, s[0:3], s32 offset:284 ; 4-byte Folded Spill
	s_waitcnt vmcnt(0) lgkmcnt(0)
	v_cmp_ne_u16_sdwa s5, v31, v19 src0_sel:BYTE_0 src1_sel:DWORD
	s_and_saveexec_b32 s25, s5
	s_cbranch_execz .LBB382_219
; %bb.212:                              ;   in Loop: Header=BB382_16 Depth=1
	v_cmp_ne_u16_sdwa s5, v31, v5 src0_sel:BYTE_0 src1_sel:DWORD
	v_bfrev_b32_e32 v0, 1
	buffer_store_dword v0, off, s[0:3], s32 offset:284 ; 4-byte Folded Spill
	s_and_saveexec_b32 s26, s5
	s_cbranch_execz .LBB382_218
; %bb.213:                              ;   in Loop: Header=BB382_16 Depth=1
	v_and_b32_e32 v1, 0x7f, v31
	v_mov_b32_e32 v0, 0x7f800001
	s_mov_b32 s27, exec_lo
	buffer_store_dword v0, off, s[0:3], s32 offset:284 ; 4-byte Folded Spill
	v_cmpx_ne_u32_e32 0x7f, v1
	s_cbranch_execz .LBB382_217
; %bb.214:                              ;   in Loop: Header=BB382_16 Depth=1
	v_mov_b32_e32 v34, v32
	v_lshrrev_b32_e32 v0, 3, v1
	v_mov_b32_e32 v33, v31
	s_mov_b32 s28, exec_lo
	v_cmpx_gt_u32_e32 8, v1
; %bb.215:                              ;   in Loop: Header=BB382_16 Depth=1
	v_and_b32_e32 v0, 7, v31
	v_ffbh_u32_e32 v0, v0
	v_min_u32_e32 v0, 32, v0
	v_subrev_nc_u32_e32 v1, 28, v0
	v_sub_nc_u32_e32 v0, 29, v0
	v_lshlrev_b64 v[33:34], v1, v[31:32]
; %bb.216:                              ;   in Loop: Header=BB382_16 Depth=1
	s_or_b32 exec_lo, exec_lo, s28
	v_lshlrev_b32_e32 v1, 20, v33
	v_lshlrev_b32_e32 v2, 24, v31
	v_lshl_add_u32 v0, v0, 23, 0x3c000000
	v_and_b32_e32 v1, 0x700000, v1
	v_and_b32_e32 v2, 0x80000000, v2
	v_or3_b32 v0, v1, v2, v0
	buffer_store_dword v0, off, s[0:3], s32 offset:284 ; 4-byte Folded Spill
.LBB382_217:                            ;   in Loop: Header=BB382_16 Depth=1
	s_or_b32 exec_lo, exec_lo, s27
.LBB382_218:                            ;   in Loop: Header=BB382_16 Depth=1
	s_or_b32 exec_lo, exec_lo, s26
.LBB382_219:                            ;   in Loop: Header=BB382_16 Depth=1
	s_or_b32 exec_lo, exec_lo, s25
	v_cmp_ne_u16_sdwa s5, v31, v19 src0_sel:BYTE_1 src1_sel:DWORD
	s_and_saveexec_b32 s25, s5
	s_cbranch_execz .LBB382_227
; %bb.220:                              ;   in Loop: Header=BB382_16 Depth=1
	v_cmp_ne_u16_sdwa s5, v31, v5 src0_sel:BYTE_1 src1_sel:DWORD
	v_bfrev_b32_e32 v0, 1
	buffer_store_dword v0, off, s[0:3], s32 offset:288 ; 4-byte Folded Spill
	s_and_saveexec_b32 s26, s5
	s_cbranch_execz .LBB382_226
; %bb.221:                              ;   in Loop: Header=BB382_16 Depth=1
	v_mov_b32_e32 v0, 0xffff
	v_mov_b32_e32 v2, 0x7f800001
	s_mov_b32 s27, exec_lo
	v_and_b32_sdwa v0, v0, v31 dst_sel:DWORD dst_unused:UNUSED_PAD src0_sel:DWORD src1_sel:BYTE_1
	buffer_store_dword v2, off, s[0:3], s32 offset:288 ; 4-byte Folded Spill
	v_and_b32_e32 v1, 0x7f, v0
	v_cmpx_ne_u32_e32 0x7f, v1
	s_cbranch_execz .LBB382_225
; %bb.222:                              ;   in Loop: Header=BB382_16 Depth=1
	v_and_b32_e32 v18, 7, v0
	v_mov_b32_e32 v34, v19
	v_lshrrev_b32_e32 v0, 3, v1
	s_mov_b32 s28, exec_lo
	v_mov_b32_e32 v33, v18
	v_cmpx_gt_u32_e32 8, v1
; %bb.223:                              ;   in Loop: Header=BB382_16 Depth=1
	v_ffbh_u32_e32 v0, v18
	v_min_u32_e32 v0, 32, v0
	v_subrev_nc_u32_e32 v1, 28, v0
	v_sub_nc_u32_e32 v0, 29, v0
	v_lshlrev_b64 v[1:2], v1, v[18:19]
	v_and_b32_e32 v33, 7, v1
; %bb.224:                              ;   in Loop: Header=BB382_16 Depth=1
	s_or_b32 exec_lo, exec_lo, s28
	v_lshlrev_b32_e32 v1, 16, v31
	v_lshlrev_b32_e32 v2, 20, v33
	v_lshl_add_u32 v0, v0, 23, 0x3c000000
	v_and_b32_e32 v1, 0x80000000, v1
	v_or3_b32 v0, v2, v1, v0
	buffer_store_dword v0, off, s[0:3], s32 offset:288 ; 4-byte Folded Spill
.LBB382_225:                            ;   in Loop: Header=BB382_16 Depth=1
	s_or_b32 exec_lo, exec_lo, s27
.LBB382_226:                            ;   in Loop: Header=BB382_16 Depth=1
	s_or_b32 exec_lo, exec_lo, s26
.LBB382_227:                            ;   in Loop: Header=BB382_16 Depth=1
	s_or_b32 exec_lo, exec_lo, s25
	v_mov_b32_e32 v0, 0xff
	v_mov_b32_e32 v1, 0
	s_mov_b32 s25, exec_lo
	v_and_b32_sdwa v0, v31, v0 dst_sel:DWORD dst_unused:UNUSED_PAD src0_sel:WORD_1 src1_sel:DWORD
	buffer_store_dword v1, off, s[0:3], s32 offset:292 ; 4-byte Folded Spill
	v_mov_b32_e32 v1, 0
	buffer_store_dword v1, off, s[0:3], s32 offset:480 ; 4-byte Folded Spill
	v_cmpx_ne_u16_e32 0, v0
	s_cbranch_execz .LBB382_235
; %bb.228:                              ;   in Loop: Header=BB382_16 Depth=1
	v_cmp_ne_u16_e64 s5, 0x80, v0
	v_bfrev_b32_e32 v0, 1
	s_and_saveexec_b32 s26, s5
	s_cbranch_execz .LBB382_234
; %bb.229:                              ;   in Loop: Header=BB382_16 Depth=1
	v_bfe_u32 v1, v31, 16, 7
	v_mov_b32_e32 v0, 0x7f800001
	s_mov_b32 s27, exec_lo
	v_cmpx_ne_u32_e32 0x7f, v1
	s_cbranch_execz .LBB382_233
; %bb.230:                              ;   in Loop: Header=BB382_16 Depth=1
	v_mov_b32_e32 v0, 7
	s_mov_b32 s28, exec_lo
	v_and_b32_sdwa v18, v31, v0 dst_sel:DWORD dst_unused:UNUSED_PAD src0_sel:WORD_1 src1_sel:DWORD
	v_mov_b32_e32 v34, v19
	v_lshrrev_b32_e32 v0, 3, v1
	v_mov_b32_e32 v33, v18
	v_cmpx_gt_u32_e32 8, v1
; %bb.231:                              ;   in Loop: Header=BB382_16 Depth=1
	v_ffbh_u32_e32 v0, v18
	v_min_u32_e32 v0, 32, v0
	v_subrev_nc_u32_e32 v1, 28, v0
	v_sub_nc_u32_e32 v0, 29, v0
	v_lshlrev_b64 v[1:2], v1, v[18:19]
	v_and_b32_e32 v33, 7, v1
; %bb.232:                              ;   in Loop: Header=BB382_16 Depth=1
	s_or_b32 exec_lo, exec_lo, s28
	v_mov_b32_e32 v1, 24
	v_lshlrev_b32_e32 v2, 20, v33
	v_lshl_add_u32 v0, v0, 23, 0x3c000000
	v_lshlrev_b32_sdwa v1, v1, v31 dst_sel:DWORD dst_unused:UNUSED_PAD src0_sel:DWORD src1_sel:WORD_1
	v_and_b32_e32 v1, 0x80000000, v1
	v_or3_b32 v0, v2, v1, v0
.LBB382_233:                            ;   in Loop: Header=BB382_16 Depth=1
	s_or_b32 exec_lo, exec_lo, s27
.LBB382_234:                            ;   in Loop: Header=BB382_16 Depth=1
	s_or_b32 exec_lo, exec_lo, s26
	buffer_store_dword v0, off, s[0:3], s32 offset:480 ; 4-byte Folded Spill
.LBB382_235:                            ;   in Loop: Header=BB382_16 Depth=1
	s_or_b32 exec_lo, exec_lo, s25
	s_mov_b32 s25, exec_lo
	v_cmpx_lt_u32_e32 0xffffff, v31
	s_cbranch_execz .LBB382_243
; %bb.236:                              ;   in Loop: Header=BB382_16 Depth=1
	v_cmp_ne_u32_sdwa s5, v31, v5 src0_sel:BYTE_3 src1_sel:DWORD
	v_bfrev_b32_e32 v0, 1
	buffer_store_dword v0, off, s[0:3], s32 offset:292 ; 4-byte Folded Spill
	s_and_saveexec_b32 s26, s5
	s_cbranch_execz .LBB382_242
; %bb.237:                              ;   in Loop: Header=BB382_16 Depth=1
	v_bfe_u32 v1, v31, 24, 7
	v_mov_b32_e32 v0, 0x7f800001
	s_mov_b32 s27, exec_lo
	buffer_store_dword v0, off, s[0:3], s32 offset:292 ; 4-byte Folded Spill
	v_cmpx_ne_u32_e32 0x7f, v1
	s_cbranch_execz .LBB382_241
; %bb.238:                              ;   in Loop: Header=BB382_16 Depth=1
	v_mov_b32_e32 v0, 7
	s_mov_b32 s28, exec_lo
	v_and_b32_sdwa v18, v31, v0 dst_sel:DWORD dst_unused:UNUSED_PAD src0_sel:BYTE_3 src1_sel:DWORD
	v_mov_b32_e32 v34, v19
	v_lshrrev_b32_e32 v0, 3, v1
	v_mov_b32_e32 v33, v18
	v_cmpx_gt_u32_e32 8, v1
; %bb.239:                              ;   in Loop: Header=BB382_16 Depth=1
	v_ffbh_u32_e32 v0, v18
	v_min_u32_e32 v0, 32, v0
	v_subrev_nc_u32_e32 v1, 28, v0
	v_sub_nc_u32_e32 v0, 29, v0
	v_lshlrev_b64 v[1:2], v1, v[18:19]
	v_and_b32_e32 v33, 7, v1
; %bb.240:                              ;   in Loop: Header=BB382_16 Depth=1
	s_or_b32 exec_lo, exec_lo, s28
	v_mov_b32_e32 v1, 24
	v_lshlrev_b32_e32 v2, 20, v33
	v_lshl_add_u32 v0, v0, 23, 0x3c000000
	v_lshlrev_b32_sdwa v1, v1, v31 dst_sel:DWORD dst_unused:UNUSED_PAD src0_sel:DWORD src1_sel:BYTE_3
	v_and_b32_e32 v1, 0x80000000, v1
	v_or3_b32 v0, v2, v1, v0
	buffer_store_dword v0, off, s[0:3], s32 offset:292 ; 4-byte Folded Spill
.LBB382_241:                            ;   in Loop: Header=BB382_16 Depth=1
	s_or_b32 exec_lo, exec_lo, s27
.LBB382_242:                            ;   in Loop: Header=BB382_16 Depth=1
	s_or_b32 exec_lo, exec_lo, s26
.LBB382_243:                            ;   in Loop: Header=BB382_16 Depth=1
	s_or_b32 exec_lo, exec_lo, s25
	v_mov_b32_e32 v0, 0
	v_mov_b32_e32 v18, v32
	v_cmp_ne_u16_sdwa s5, v32, v19 src0_sel:BYTE_0 src1_sel:DWORD
	buffer_store_dword v0, off, s[0:3], s32 offset:300 ; 4-byte Folded Spill
	v_mov_b32_e32 v0, 0
	buffer_store_dword v0, off, s[0:3], s32 offset:296 ; 4-byte Folded Spill
	s_and_saveexec_b32 s25, s5
	s_cbranch_execz .LBB382_251
; %bb.244:                              ;   in Loop: Header=BB382_16 Depth=1
	v_cmp_ne_u16_sdwa s5, v32, v5 src0_sel:BYTE_0 src1_sel:DWORD
	v_bfrev_b32_e32 v0, 1
	buffer_store_dword v0, off, s[0:3], s32 offset:296 ; 4-byte Folded Spill
	s_and_saveexec_b32 s26, s5
	s_cbranch_execz .LBB382_250
; %bb.245:                              ;   in Loop: Header=BB382_16 Depth=1
	v_and_b32_e32 v1, 0x7f, v32
	v_mov_b32_e32 v0, 0x7f800001
	s_mov_b32 s27, exec_lo
	buffer_store_dword v0, off, s[0:3], s32 offset:296 ; 4-byte Folded Spill
	v_cmpx_ne_u32_e32 0x7f, v1
	s_cbranch_execz .LBB382_249
; %bb.246:                              ;   in Loop: Header=BB382_16 Depth=1
	v_mov_b32_e32 v34, v19
	v_lshrrev_b32_e32 v0, 3, v1
	v_mov_b32_e32 v33, v18
	s_mov_b32 s28, exec_lo
	v_cmpx_gt_u32_e32 8, v1
; %bb.247:                              ;   in Loop: Header=BB382_16 Depth=1
	v_and_b32_e32 v0, 7, v32
	v_ffbh_u32_e32 v0, v0
	v_min_u32_e32 v0, 32, v0
	v_subrev_nc_u32_e32 v1, 28, v0
	v_sub_nc_u32_e32 v0, 29, v0
	v_lshlrev_b64 v[33:34], v1, v[18:19]
; %bb.248:                              ;   in Loop: Header=BB382_16 Depth=1
	s_or_b32 exec_lo, exec_lo, s28
	v_lshlrev_b32_e32 v1, 20, v33
	v_lshlrev_b32_e32 v2, 24, v18
	v_lshl_add_u32 v0, v0, 23, 0x3c000000
	v_and_b32_e32 v1, 0x700000, v1
	v_and_b32_e32 v2, 0x80000000, v2
	v_or3_b32 v0, v1, v2, v0
	buffer_store_dword v0, off, s[0:3], s32 offset:296 ; 4-byte Folded Spill
.LBB382_249:                            ;   in Loop: Header=BB382_16 Depth=1
	s_or_b32 exec_lo, exec_lo, s27
.LBB382_250:                            ;   in Loop: Header=BB382_16 Depth=1
	s_or_b32 exec_lo, exec_lo, s26
.LBB382_251:                            ;   in Loop: Header=BB382_16 Depth=1
	s_or_b32 exec_lo, exec_lo, s25
	v_cmp_ne_u16_sdwa s5, v18, v19 src0_sel:BYTE_1 src1_sel:DWORD
	s_and_saveexec_b32 s25, s5
	s_cbranch_execz .LBB382_259
; %bb.252:                              ;   in Loop: Header=BB382_16 Depth=1
	v_cmp_ne_u16_sdwa s5, v18, v5 src0_sel:BYTE_1 src1_sel:DWORD
	v_bfrev_b32_e32 v0, 1
	buffer_store_dword v0, off, s[0:3], s32 offset:300 ; 4-byte Folded Spill
	s_and_saveexec_b32 s26, s5
	s_cbranch_execz .LBB382_258
; %bb.253:                              ;   in Loop: Header=BB382_16 Depth=1
	v_mov_b32_e32 v0, 0xffff
	v_mov_b32_e32 v2, 0x7f800001
	s_mov_b32 s27, exec_lo
	v_and_b32_sdwa v0, v0, v18 dst_sel:DWORD dst_unused:UNUSED_PAD src0_sel:DWORD src1_sel:BYTE_1
	buffer_store_dword v2, off, s[0:3], s32 offset:300 ; 4-byte Folded Spill
	v_and_b32_e32 v1, 0x7f, v0
	v_cmpx_ne_u32_e32 0x7f, v1
	s_cbranch_execz .LBB382_257
; %bb.254:                              ;   in Loop: Header=BB382_16 Depth=1
	v_and_b32_e32 v33, 7, v0
	v_mov_b32_e32 v34, v19
	v_lshrrev_b32_e32 v0, 3, v1
	s_mov_b32 s28, exec_lo
	v_cmpx_gt_u32_e32 8, v1
; %bb.255:                              ;   in Loop: Header=BB382_16 Depth=1
	v_ffbh_u32_e32 v0, v33
	v_min_u32_e32 v0, 32, v0
	v_subrev_nc_u32_e32 v1, 28, v0
	v_sub_nc_u32_e32 v0, 29, v0
	v_lshlrev_b64 v[1:2], v1, v[33:34]
	v_and_b32_e32 v33, 7, v1
; %bb.256:                              ;   in Loop: Header=BB382_16 Depth=1
	s_or_b32 exec_lo, exec_lo, s28
	v_lshlrev_b32_e32 v1, 16, v18
	v_lshlrev_b32_e32 v2, 20, v33
	v_lshl_add_u32 v0, v0, 23, 0x3c000000
	v_and_b32_e32 v1, 0x80000000, v1
	v_or3_b32 v0, v2, v1, v0
	buffer_store_dword v0, off, s[0:3], s32 offset:300 ; 4-byte Folded Spill
.LBB382_257:                            ;   in Loop: Header=BB382_16 Depth=1
	s_or_b32 exec_lo, exec_lo, s27
.LBB382_258:                            ;   in Loop: Header=BB382_16 Depth=1
	s_or_b32 exec_lo, exec_lo, s26
.LBB382_259:                            ;   in Loop: Header=BB382_16 Depth=1
	s_or_b32 exec_lo, exec_lo, s25
	v_mov_b32_e32 v0, 0xff
	v_mov_b32_e32 v1, 0
	s_mov_b32 s25, exec_lo
	v_and_b32_sdwa v0, v32, v0 dst_sel:DWORD dst_unused:UNUSED_PAD src0_sel:WORD_1 src1_sel:DWORD
	buffer_store_dword v1, off, s[0:3], s32 offset:304 ; 4-byte Folded Spill
	v_mov_b32_e32 v1, 0
	buffer_store_dword v1, off, s[0:3], s32 offset:484 ; 4-byte Folded Spill
	v_cmpx_ne_u16_e32 0, v0
	s_cbranch_execz .LBB382_267
; %bb.260:                              ;   in Loop: Header=BB382_16 Depth=1
	v_cmp_ne_u16_e64 s5, 0x80, v0
	v_bfrev_b32_e32 v0, 1
	s_and_saveexec_b32 s26, s5
	s_cbranch_execz .LBB382_266
; %bb.261:                              ;   in Loop: Header=BB382_16 Depth=1
	v_bfe_u32 v1, v32, 16, 7
	v_mov_b32_e32 v0, 0x7f800001
	s_mov_b32 s27, exec_lo
	v_cmpx_ne_u32_e32 0x7f, v1
	s_cbranch_execz .LBB382_265
; %bb.262:                              ;   in Loop: Header=BB382_16 Depth=1
	v_mov_b32_e32 v0, 7
	s_mov_b32 s28, exec_lo
	v_and_b32_sdwa v18, v32, v0 dst_sel:DWORD dst_unused:UNUSED_PAD src0_sel:WORD_1 src1_sel:DWORD
	v_mov_b32_e32 v34, v19
	v_lshrrev_b32_e32 v0, 3, v1
	v_mov_b32_e32 v33, v18
	v_cmpx_gt_u32_e32 8, v1
; %bb.263:                              ;   in Loop: Header=BB382_16 Depth=1
	v_ffbh_u32_e32 v0, v18
	v_min_u32_e32 v0, 32, v0
	v_subrev_nc_u32_e32 v1, 28, v0
	v_sub_nc_u32_e32 v0, 29, v0
	v_lshlrev_b64 v[1:2], v1, v[18:19]
	v_and_b32_e32 v33, 7, v1
; %bb.264:                              ;   in Loop: Header=BB382_16 Depth=1
	s_or_b32 exec_lo, exec_lo, s28
	v_mov_b32_e32 v1, 24
	v_lshlrev_b32_e32 v2, 20, v33
	v_lshl_add_u32 v0, v0, 23, 0x3c000000
	v_lshlrev_b32_sdwa v1, v1, v32 dst_sel:DWORD dst_unused:UNUSED_PAD src0_sel:DWORD src1_sel:WORD_1
	v_and_b32_e32 v1, 0x80000000, v1
	v_or3_b32 v0, v2, v1, v0
.LBB382_265:                            ;   in Loop: Header=BB382_16 Depth=1
	s_or_b32 exec_lo, exec_lo, s27
.LBB382_266:                            ;   in Loop: Header=BB382_16 Depth=1
	s_or_b32 exec_lo, exec_lo, s26
	buffer_store_dword v0, off, s[0:3], s32 offset:484 ; 4-byte Folded Spill
.LBB382_267:                            ;   in Loop: Header=BB382_16 Depth=1
	s_or_b32 exec_lo, exec_lo, s25
	s_mov_b32 s25, exec_lo
	v_cmpx_lt_u64_e64 s[20:21], v[31:32]
	s_cbranch_execz .LBB382_275
; %bb.268:                              ;   in Loop: Header=BB382_16 Depth=1
	v_cmp_ne_u32_sdwa s5, v32, v5 src0_sel:BYTE_3 src1_sel:DWORD
	v_bfrev_b32_e32 v0, 1
	buffer_store_dword v0, off, s[0:3], s32 offset:304 ; 4-byte Folded Spill
	s_and_saveexec_b32 s26, s5
	s_cbranch_execz .LBB382_274
; %bb.269:                              ;   in Loop: Header=BB382_16 Depth=1
	v_bfe_u32 v1, v32, 24, 7
	v_mov_b32_e32 v0, 0x7f800001
	s_mov_b32 s27, exec_lo
	buffer_store_dword v0, off, s[0:3], s32 offset:304 ; 4-byte Folded Spill
	v_cmpx_ne_u32_e32 0x7f, v1
	s_cbranch_execz .LBB382_273
; %bb.270:                              ;   in Loop: Header=BB382_16 Depth=1
	v_mov_b32_e32 v0, 7
	s_mov_b32 s28, exec_lo
	v_and_b32_sdwa v18, v32, v0 dst_sel:DWORD dst_unused:UNUSED_PAD src0_sel:BYTE_3 src1_sel:DWORD
	v_mov_b32_e32 v34, v19
	v_lshrrev_b32_e32 v0, 3, v1
	v_mov_b32_e32 v33, v18
	v_cmpx_gt_u32_e32 8, v1
; %bb.271:                              ;   in Loop: Header=BB382_16 Depth=1
	v_ffbh_u32_e32 v0, v18
	v_min_u32_e32 v0, 32, v0
	v_subrev_nc_u32_e32 v1, 28, v0
	v_sub_nc_u32_e32 v0, 29, v0
	v_lshlrev_b64 v[1:2], v1, v[18:19]
	v_and_b32_e32 v33, 7, v1
; %bb.272:                              ;   in Loop: Header=BB382_16 Depth=1
	s_or_b32 exec_lo, exec_lo, s28
	v_mov_b32_e32 v1, 24
	v_lshlrev_b32_e32 v2, 20, v33
	v_lshl_add_u32 v0, v0, 23, 0x3c000000
	v_lshlrev_b32_sdwa v1, v1, v32 dst_sel:DWORD dst_unused:UNUSED_PAD src0_sel:DWORD src1_sel:BYTE_3
	v_and_b32_e32 v1, 0x80000000, v1
	v_or3_b32 v0, v2, v1, v0
	buffer_store_dword v0, off, s[0:3], s32 offset:304 ; 4-byte Folded Spill
.LBB382_273:                            ;   in Loop: Header=BB382_16 Depth=1
	s_or_b32 exec_lo, exec_lo, s27
.LBB382_274:                            ;   in Loop: Header=BB382_16 Depth=1
	s_or_b32 exec_lo, exec_lo, s26
.LBB382_275:                            ;   in Loop: Header=BB382_16 Depth=1
	s_or_b32 exec_lo, exec_lo, s25
	flat_load_dwordx2 v[31:32], v[28:29] offset:1024
	v_mov_b32_e32 v0, 0
	buffer_store_dword v0, off, s[0:3], s32 offset:312 ; 4-byte Folded Spill
	v_mov_b32_e32 v0, 0
	buffer_store_dword v0, off, s[0:3], s32 offset:308 ; 4-byte Folded Spill
	s_waitcnt vmcnt(0) lgkmcnt(0)
	v_cmp_ne_u16_sdwa s5, v31, v19 src0_sel:BYTE_0 src1_sel:DWORD
	s_and_saveexec_b32 s25, s5
	s_cbranch_execz .LBB382_283
; %bb.276:                              ;   in Loop: Header=BB382_16 Depth=1
	v_cmp_ne_u16_sdwa s5, v31, v5 src0_sel:BYTE_0 src1_sel:DWORD
	v_bfrev_b32_e32 v0, 1
	buffer_store_dword v0, off, s[0:3], s32 offset:308 ; 4-byte Folded Spill
	s_and_saveexec_b32 s26, s5
	s_cbranch_execz .LBB382_282
; %bb.277:                              ;   in Loop: Header=BB382_16 Depth=1
	v_and_b32_e32 v1, 0x7f, v31
	v_mov_b32_e32 v0, 0x7f800001
	s_mov_b32 s27, exec_lo
	buffer_store_dword v0, off, s[0:3], s32 offset:308 ; 4-byte Folded Spill
	v_cmpx_ne_u32_e32 0x7f, v1
	s_cbranch_execz .LBB382_281
; %bb.278:                              ;   in Loop: Header=BB382_16 Depth=1
	v_mov_b32_e32 v34, v32
	v_lshrrev_b32_e32 v0, 3, v1
	v_mov_b32_e32 v33, v31
	s_mov_b32 s28, exec_lo
	v_cmpx_gt_u32_e32 8, v1
; %bb.279:                              ;   in Loop: Header=BB382_16 Depth=1
	v_and_b32_e32 v0, 7, v31
	v_ffbh_u32_e32 v0, v0
	v_min_u32_e32 v0, 32, v0
	v_subrev_nc_u32_e32 v1, 28, v0
	v_sub_nc_u32_e32 v0, 29, v0
	v_lshlrev_b64 v[33:34], v1, v[31:32]
; %bb.280:                              ;   in Loop: Header=BB382_16 Depth=1
	s_or_b32 exec_lo, exec_lo, s28
	v_lshlrev_b32_e32 v1, 20, v33
	v_lshlrev_b32_e32 v2, 24, v31
	v_lshl_add_u32 v0, v0, 23, 0x3c000000
	v_and_b32_e32 v1, 0x700000, v1
	v_and_b32_e32 v2, 0x80000000, v2
	v_or3_b32 v0, v1, v2, v0
	buffer_store_dword v0, off, s[0:3], s32 offset:308 ; 4-byte Folded Spill
.LBB382_281:                            ;   in Loop: Header=BB382_16 Depth=1
	s_or_b32 exec_lo, exec_lo, s27
.LBB382_282:                            ;   in Loop: Header=BB382_16 Depth=1
	s_or_b32 exec_lo, exec_lo, s26
.LBB382_283:                            ;   in Loop: Header=BB382_16 Depth=1
	s_or_b32 exec_lo, exec_lo, s25
	v_cmp_ne_u16_sdwa s5, v31, v19 src0_sel:BYTE_1 src1_sel:DWORD
	s_and_saveexec_b32 s25, s5
	s_cbranch_execz .LBB382_291
; %bb.284:                              ;   in Loop: Header=BB382_16 Depth=1
	v_cmp_ne_u16_sdwa s5, v31, v5 src0_sel:BYTE_1 src1_sel:DWORD
	v_bfrev_b32_e32 v0, 1
	buffer_store_dword v0, off, s[0:3], s32 offset:312 ; 4-byte Folded Spill
	s_and_saveexec_b32 s26, s5
	s_cbranch_execz .LBB382_290
; %bb.285:                              ;   in Loop: Header=BB382_16 Depth=1
	v_mov_b32_e32 v0, 0xffff
	v_mov_b32_e32 v2, 0x7f800001
	s_mov_b32 s27, exec_lo
	v_and_b32_sdwa v0, v0, v31 dst_sel:DWORD dst_unused:UNUSED_PAD src0_sel:DWORD src1_sel:BYTE_1
	buffer_store_dword v2, off, s[0:3], s32 offset:312 ; 4-byte Folded Spill
	v_and_b32_e32 v1, 0x7f, v0
	v_cmpx_ne_u32_e32 0x7f, v1
	s_cbranch_execz .LBB382_289
; %bb.286:                              ;   in Loop: Header=BB382_16 Depth=1
	v_and_b32_e32 v18, 7, v0
	v_mov_b32_e32 v34, v19
	v_lshrrev_b32_e32 v0, 3, v1
	s_mov_b32 s28, exec_lo
	v_mov_b32_e32 v33, v18
	v_cmpx_gt_u32_e32 8, v1
; %bb.287:                              ;   in Loop: Header=BB382_16 Depth=1
	v_ffbh_u32_e32 v0, v18
	v_min_u32_e32 v0, 32, v0
	v_subrev_nc_u32_e32 v1, 28, v0
	v_sub_nc_u32_e32 v0, 29, v0
	v_lshlrev_b64 v[1:2], v1, v[18:19]
	v_and_b32_e32 v33, 7, v1
; %bb.288:                              ;   in Loop: Header=BB382_16 Depth=1
	s_or_b32 exec_lo, exec_lo, s28
	v_lshlrev_b32_e32 v1, 16, v31
	v_lshlrev_b32_e32 v2, 20, v33
	v_lshl_add_u32 v0, v0, 23, 0x3c000000
	v_and_b32_e32 v1, 0x80000000, v1
	v_or3_b32 v0, v2, v1, v0
	buffer_store_dword v0, off, s[0:3], s32 offset:312 ; 4-byte Folded Spill
.LBB382_289:                            ;   in Loop: Header=BB382_16 Depth=1
	s_or_b32 exec_lo, exec_lo, s27
.LBB382_290:                            ;   in Loop: Header=BB382_16 Depth=1
	s_or_b32 exec_lo, exec_lo, s26
.LBB382_291:                            ;   in Loop: Header=BB382_16 Depth=1
	s_or_b32 exec_lo, exec_lo, s25
	v_mov_b32_e32 v0, 0xff
	v_mov_b32_e32 v1, 0
	s_mov_b32 s25, exec_lo
	v_and_b32_sdwa v0, v31, v0 dst_sel:DWORD dst_unused:UNUSED_PAD src0_sel:WORD_1 src1_sel:DWORD
	buffer_store_dword v1, off, s[0:3], s32 offset:316 ; 4-byte Folded Spill
	v_mov_b32_e32 v1, 0
	buffer_store_dword v1, off, s[0:3], s32 offset:488 ; 4-byte Folded Spill
	v_cmpx_ne_u16_e32 0, v0
	s_cbranch_execz .LBB382_299
; %bb.292:                              ;   in Loop: Header=BB382_16 Depth=1
	v_cmp_ne_u16_e64 s5, 0x80, v0
	v_bfrev_b32_e32 v0, 1
	s_and_saveexec_b32 s26, s5
	s_cbranch_execz .LBB382_298
; %bb.293:                              ;   in Loop: Header=BB382_16 Depth=1
	v_bfe_u32 v1, v31, 16, 7
	v_mov_b32_e32 v0, 0x7f800001
	s_mov_b32 s27, exec_lo
	v_cmpx_ne_u32_e32 0x7f, v1
	s_cbranch_execz .LBB382_297
; %bb.294:                              ;   in Loop: Header=BB382_16 Depth=1
	v_mov_b32_e32 v0, 7
	s_mov_b32 s28, exec_lo
	v_and_b32_sdwa v18, v31, v0 dst_sel:DWORD dst_unused:UNUSED_PAD src0_sel:WORD_1 src1_sel:DWORD
	v_mov_b32_e32 v34, v19
	v_lshrrev_b32_e32 v0, 3, v1
	v_mov_b32_e32 v33, v18
	v_cmpx_gt_u32_e32 8, v1
; %bb.295:                              ;   in Loop: Header=BB382_16 Depth=1
	v_ffbh_u32_e32 v0, v18
	v_min_u32_e32 v0, 32, v0
	v_subrev_nc_u32_e32 v1, 28, v0
	v_sub_nc_u32_e32 v0, 29, v0
	v_lshlrev_b64 v[1:2], v1, v[18:19]
	v_and_b32_e32 v33, 7, v1
; %bb.296:                              ;   in Loop: Header=BB382_16 Depth=1
	s_or_b32 exec_lo, exec_lo, s28
	v_mov_b32_e32 v1, 24
	v_lshlrev_b32_e32 v2, 20, v33
	v_lshl_add_u32 v0, v0, 23, 0x3c000000
	v_lshlrev_b32_sdwa v1, v1, v31 dst_sel:DWORD dst_unused:UNUSED_PAD src0_sel:DWORD src1_sel:WORD_1
	v_and_b32_e32 v1, 0x80000000, v1
	v_or3_b32 v0, v2, v1, v0
.LBB382_297:                            ;   in Loop: Header=BB382_16 Depth=1
	s_or_b32 exec_lo, exec_lo, s27
.LBB382_298:                            ;   in Loop: Header=BB382_16 Depth=1
	s_or_b32 exec_lo, exec_lo, s26
	buffer_store_dword v0, off, s[0:3], s32 offset:488 ; 4-byte Folded Spill
.LBB382_299:                            ;   in Loop: Header=BB382_16 Depth=1
	s_or_b32 exec_lo, exec_lo, s25
	s_mov_b32 s25, exec_lo
	v_cmpx_lt_u32_e32 0xffffff, v31
	s_cbranch_execz .LBB382_307
; %bb.300:                              ;   in Loop: Header=BB382_16 Depth=1
	v_cmp_ne_u32_sdwa s5, v31, v5 src0_sel:BYTE_3 src1_sel:DWORD
	v_bfrev_b32_e32 v0, 1
	buffer_store_dword v0, off, s[0:3], s32 offset:316 ; 4-byte Folded Spill
	s_and_saveexec_b32 s26, s5
	s_cbranch_execz .LBB382_306
; %bb.301:                              ;   in Loop: Header=BB382_16 Depth=1
	v_bfe_u32 v1, v31, 24, 7
	v_mov_b32_e32 v0, 0x7f800001
	s_mov_b32 s27, exec_lo
	buffer_store_dword v0, off, s[0:3], s32 offset:316 ; 4-byte Folded Spill
	v_cmpx_ne_u32_e32 0x7f, v1
	s_cbranch_execz .LBB382_305
; %bb.302:                              ;   in Loop: Header=BB382_16 Depth=1
	v_mov_b32_e32 v0, 7
	s_mov_b32 s28, exec_lo
	v_and_b32_sdwa v18, v31, v0 dst_sel:DWORD dst_unused:UNUSED_PAD src0_sel:BYTE_3 src1_sel:DWORD
	v_mov_b32_e32 v34, v19
	v_lshrrev_b32_e32 v0, 3, v1
	v_mov_b32_e32 v33, v18
	v_cmpx_gt_u32_e32 8, v1
; %bb.303:                              ;   in Loop: Header=BB382_16 Depth=1
	v_ffbh_u32_e32 v0, v18
	v_min_u32_e32 v0, 32, v0
	v_subrev_nc_u32_e32 v1, 28, v0
	v_sub_nc_u32_e32 v0, 29, v0
	v_lshlrev_b64 v[1:2], v1, v[18:19]
	v_and_b32_e32 v33, 7, v1
; %bb.304:                              ;   in Loop: Header=BB382_16 Depth=1
	s_or_b32 exec_lo, exec_lo, s28
	v_mov_b32_e32 v1, 24
	v_lshlrev_b32_e32 v2, 20, v33
	v_lshl_add_u32 v0, v0, 23, 0x3c000000
	v_lshlrev_b32_sdwa v1, v1, v31 dst_sel:DWORD dst_unused:UNUSED_PAD src0_sel:DWORD src1_sel:BYTE_3
	v_and_b32_e32 v1, 0x80000000, v1
	v_or3_b32 v0, v2, v1, v0
	buffer_store_dword v0, off, s[0:3], s32 offset:316 ; 4-byte Folded Spill
.LBB382_305:                            ;   in Loop: Header=BB382_16 Depth=1
	s_or_b32 exec_lo, exec_lo, s27
.LBB382_306:                            ;   in Loop: Header=BB382_16 Depth=1
	s_or_b32 exec_lo, exec_lo, s26
.LBB382_307:                            ;   in Loop: Header=BB382_16 Depth=1
	s_or_b32 exec_lo, exec_lo, s25
	v_mov_b32_e32 v0, 0
	v_mov_b32_e32 v18, v32
	v_cmp_ne_u16_sdwa s5, v32, v19 src0_sel:BYTE_0 src1_sel:DWORD
	buffer_store_dword v0, off, s[0:3], s32 offset:324 ; 4-byte Folded Spill
	v_mov_b32_e32 v0, 0
	buffer_store_dword v0, off, s[0:3], s32 offset:320 ; 4-byte Folded Spill
	s_and_saveexec_b32 s25, s5
	s_cbranch_execz .LBB382_315
; %bb.308:                              ;   in Loop: Header=BB382_16 Depth=1
	v_cmp_ne_u16_sdwa s5, v32, v5 src0_sel:BYTE_0 src1_sel:DWORD
	v_bfrev_b32_e32 v0, 1
	buffer_store_dword v0, off, s[0:3], s32 offset:320 ; 4-byte Folded Spill
	s_and_saveexec_b32 s26, s5
	s_cbranch_execz .LBB382_314
; %bb.309:                              ;   in Loop: Header=BB382_16 Depth=1
	v_and_b32_e32 v1, 0x7f, v32
	v_mov_b32_e32 v0, 0x7f800001
	s_mov_b32 s27, exec_lo
	buffer_store_dword v0, off, s[0:3], s32 offset:320 ; 4-byte Folded Spill
	v_cmpx_ne_u32_e32 0x7f, v1
	s_cbranch_execz .LBB382_313
; %bb.310:                              ;   in Loop: Header=BB382_16 Depth=1
	v_mov_b32_e32 v34, v19
	v_lshrrev_b32_e32 v0, 3, v1
	v_mov_b32_e32 v33, v18
	s_mov_b32 s28, exec_lo
	v_cmpx_gt_u32_e32 8, v1
; %bb.311:                              ;   in Loop: Header=BB382_16 Depth=1
	v_and_b32_e32 v0, 7, v32
	v_ffbh_u32_e32 v0, v0
	v_min_u32_e32 v0, 32, v0
	v_subrev_nc_u32_e32 v1, 28, v0
	v_sub_nc_u32_e32 v0, 29, v0
	v_lshlrev_b64 v[33:34], v1, v[18:19]
; %bb.312:                              ;   in Loop: Header=BB382_16 Depth=1
	s_or_b32 exec_lo, exec_lo, s28
	v_lshlrev_b32_e32 v1, 20, v33
	v_lshlrev_b32_e32 v2, 24, v18
	v_lshl_add_u32 v0, v0, 23, 0x3c000000
	v_and_b32_e32 v1, 0x700000, v1
	v_and_b32_e32 v2, 0x80000000, v2
	v_or3_b32 v0, v1, v2, v0
	buffer_store_dword v0, off, s[0:3], s32 offset:320 ; 4-byte Folded Spill
.LBB382_313:                            ;   in Loop: Header=BB382_16 Depth=1
	s_or_b32 exec_lo, exec_lo, s27
.LBB382_314:                            ;   in Loop: Header=BB382_16 Depth=1
	s_or_b32 exec_lo, exec_lo, s26
.LBB382_315:                            ;   in Loop: Header=BB382_16 Depth=1
	s_or_b32 exec_lo, exec_lo, s25
	v_cmp_ne_u16_sdwa s5, v18, v19 src0_sel:BYTE_1 src1_sel:DWORD
	s_and_saveexec_b32 s25, s5
	s_cbranch_execz .LBB382_323
; %bb.316:                              ;   in Loop: Header=BB382_16 Depth=1
	v_cmp_ne_u16_sdwa s5, v18, v5 src0_sel:BYTE_1 src1_sel:DWORD
	v_bfrev_b32_e32 v0, 1
	buffer_store_dword v0, off, s[0:3], s32 offset:324 ; 4-byte Folded Spill
	s_and_saveexec_b32 s26, s5
	s_cbranch_execz .LBB382_322
; %bb.317:                              ;   in Loop: Header=BB382_16 Depth=1
	v_mov_b32_e32 v0, 0xffff
	v_mov_b32_e32 v2, 0x7f800001
	s_mov_b32 s27, exec_lo
	v_and_b32_sdwa v0, v0, v18 dst_sel:DWORD dst_unused:UNUSED_PAD src0_sel:DWORD src1_sel:BYTE_1
	buffer_store_dword v2, off, s[0:3], s32 offset:324 ; 4-byte Folded Spill
	v_and_b32_e32 v1, 0x7f, v0
	v_cmpx_ne_u32_e32 0x7f, v1
	s_cbranch_execz .LBB382_321
; %bb.318:                              ;   in Loop: Header=BB382_16 Depth=1
	v_and_b32_e32 v33, 7, v0
	v_mov_b32_e32 v34, v19
	v_lshrrev_b32_e32 v0, 3, v1
	s_mov_b32 s28, exec_lo
	v_cmpx_gt_u32_e32 8, v1
; %bb.319:                              ;   in Loop: Header=BB382_16 Depth=1
	v_ffbh_u32_e32 v0, v33
	v_min_u32_e32 v0, 32, v0
	v_subrev_nc_u32_e32 v1, 28, v0
	v_sub_nc_u32_e32 v0, 29, v0
	v_lshlrev_b64 v[1:2], v1, v[33:34]
	v_and_b32_e32 v33, 7, v1
; %bb.320:                              ;   in Loop: Header=BB382_16 Depth=1
	s_or_b32 exec_lo, exec_lo, s28
	v_lshlrev_b32_e32 v1, 16, v18
	v_lshlrev_b32_e32 v2, 20, v33
	v_lshl_add_u32 v0, v0, 23, 0x3c000000
	v_and_b32_e32 v1, 0x80000000, v1
	v_or3_b32 v0, v2, v1, v0
	buffer_store_dword v0, off, s[0:3], s32 offset:324 ; 4-byte Folded Spill
.LBB382_321:                            ;   in Loop: Header=BB382_16 Depth=1
	s_or_b32 exec_lo, exec_lo, s27
.LBB382_322:                            ;   in Loop: Header=BB382_16 Depth=1
	s_or_b32 exec_lo, exec_lo, s26
.LBB382_323:                            ;   in Loop: Header=BB382_16 Depth=1
	s_or_b32 exec_lo, exec_lo, s25
	v_mov_b32_e32 v0, 0xff
	v_mov_b32_e32 v1, 0
	s_mov_b32 s25, exec_lo
	v_and_b32_sdwa v0, v32, v0 dst_sel:DWORD dst_unused:UNUSED_PAD src0_sel:WORD_1 src1_sel:DWORD
	buffer_store_dword v1, off, s[0:3], s32 offset:328 ; 4-byte Folded Spill
	v_mov_b32_e32 v1, 0
	buffer_store_dword v1, off, s[0:3], s32 offset:492 ; 4-byte Folded Spill
	v_cmpx_ne_u16_e32 0, v0
	s_cbranch_execz .LBB382_331
; %bb.324:                              ;   in Loop: Header=BB382_16 Depth=1
	v_cmp_ne_u16_e64 s5, 0x80, v0
	v_bfrev_b32_e32 v0, 1
	s_and_saveexec_b32 s26, s5
	s_cbranch_execz .LBB382_330
; %bb.325:                              ;   in Loop: Header=BB382_16 Depth=1
	v_bfe_u32 v1, v32, 16, 7
	v_mov_b32_e32 v0, 0x7f800001
	s_mov_b32 s27, exec_lo
	v_cmpx_ne_u32_e32 0x7f, v1
	s_cbranch_execz .LBB382_329
; %bb.326:                              ;   in Loop: Header=BB382_16 Depth=1
	v_mov_b32_e32 v0, 7
	s_mov_b32 s28, exec_lo
	v_and_b32_sdwa v18, v32, v0 dst_sel:DWORD dst_unused:UNUSED_PAD src0_sel:WORD_1 src1_sel:DWORD
	v_mov_b32_e32 v34, v19
	v_lshrrev_b32_e32 v0, 3, v1
	v_mov_b32_e32 v33, v18
	v_cmpx_gt_u32_e32 8, v1
; %bb.327:                              ;   in Loop: Header=BB382_16 Depth=1
	v_ffbh_u32_e32 v0, v18
	v_min_u32_e32 v0, 32, v0
	v_subrev_nc_u32_e32 v1, 28, v0
	v_sub_nc_u32_e32 v0, 29, v0
	v_lshlrev_b64 v[1:2], v1, v[18:19]
	v_and_b32_e32 v33, 7, v1
; %bb.328:                              ;   in Loop: Header=BB382_16 Depth=1
	s_or_b32 exec_lo, exec_lo, s28
	v_mov_b32_e32 v1, 24
	v_lshlrev_b32_e32 v2, 20, v33
	v_lshl_add_u32 v0, v0, 23, 0x3c000000
	v_lshlrev_b32_sdwa v1, v1, v32 dst_sel:DWORD dst_unused:UNUSED_PAD src0_sel:DWORD src1_sel:WORD_1
	v_and_b32_e32 v1, 0x80000000, v1
	v_or3_b32 v0, v2, v1, v0
.LBB382_329:                            ;   in Loop: Header=BB382_16 Depth=1
	s_or_b32 exec_lo, exec_lo, s27
.LBB382_330:                            ;   in Loop: Header=BB382_16 Depth=1
	s_or_b32 exec_lo, exec_lo, s26
	buffer_store_dword v0, off, s[0:3], s32 offset:492 ; 4-byte Folded Spill
.LBB382_331:                            ;   in Loop: Header=BB382_16 Depth=1
	s_or_b32 exec_lo, exec_lo, s25
	s_mov_b32 s25, exec_lo
	v_cmpx_lt_u64_e64 s[20:21], v[31:32]
	s_cbranch_execz .LBB382_339
; %bb.332:                              ;   in Loop: Header=BB382_16 Depth=1
	v_cmp_ne_u32_sdwa s5, v32, v5 src0_sel:BYTE_3 src1_sel:DWORD
	v_bfrev_b32_e32 v0, 1
	buffer_store_dword v0, off, s[0:3], s32 offset:328 ; 4-byte Folded Spill
	s_and_saveexec_b32 s26, s5
	s_cbranch_execz .LBB382_338
; %bb.333:                              ;   in Loop: Header=BB382_16 Depth=1
	v_bfe_u32 v1, v32, 24, 7
	v_mov_b32_e32 v0, 0x7f800001
	s_mov_b32 s27, exec_lo
	buffer_store_dword v0, off, s[0:3], s32 offset:328 ; 4-byte Folded Spill
	v_cmpx_ne_u32_e32 0x7f, v1
	s_cbranch_execz .LBB382_337
; %bb.334:                              ;   in Loop: Header=BB382_16 Depth=1
	v_mov_b32_e32 v0, 7
	s_mov_b32 s28, exec_lo
	v_and_b32_sdwa v18, v32, v0 dst_sel:DWORD dst_unused:UNUSED_PAD src0_sel:BYTE_3 src1_sel:DWORD
	v_mov_b32_e32 v34, v19
	v_lshrrev_b32_e32 v0, 3, v1
	v_mov_b32_e32 v33, v18
	v_cmpx_gt_u32_e32 8, v1
; %bb.335:                              ;   in Loop: Header=BB382_16 Depth=1
	v_ffbh_u32_e32 v0, v18
	v_min_u32_e32 v0, 32, v0
	v_subrev_nc_u32_e32 v1, 28, v0
	v_sub_nc_u32_e32 v0, 29, v0
	v_lshlrev_b64 v[1:2], v1, v[18:19]
	v_and_b32_e32 v33, 7, v1
; %bb.336:                              ;   in Loop: Header=BB382_16 Depth=1
	s_or_b32 exec_lo, exec_lo, s28
	v_mov_b32_e32 v1, 24
	v_lshlrev_b32_e32 v2, 20, v33
	v_lshl_add_u32 v0, v0, 23, 0x3c000000
	v_lshlrev_b32_sdwa v1, v1, v32 dst_sel:DWORD dst_unused:UNUSED_PAD src0_sel:DWORD src1_sel:BYTE_3
	v_and_b32_e32 v1, 0x80000000, v1
	v_or3_b32 v0, v2, v1, v0
	buffer_store_dword v0, off, s[0:3], s32 offset:328 ; 4-byte Folded Spill
.LBB382_337:                            ;   in Loop: Header=BB382_16 Depth=1
	s_or_b32 exec_lo, exec_lo, s27
.LBB382_338:                            ;   in Loop: Header=BB382_16 Depth=1
	s_or_b32 exec_lo, exec_lo, s26
.LBB382_339:                            ;   in Loop: Header=BB382_16 Depth=1
	s_or_b32 exec_lo, exec_lo, s25
	flat_load_dwordx2 v[31:32], v[28:29] offset:1032
	v_mov_b32_e32 v0, 0
	buffer_store_dword v0, off, s[0:3], s32 offset:336 ; 4-byte Folded Spill
	v_mov_b32_e32 v0, 0
	buffer_store_dword v0, off, s[0:3], s32 offset:332 ; 4-byte Folded Spill
	s_waitcnt vmcnt(0) lgkmcnt(0)
	v_cmp_ne_u16_sdwa s5, v31, v19 src0_sel:BYTE_0 src1_sel:DWORD
	s_and_saveexec_b32 s25, s5
	s_cbranch_execz .LBB382_347
; %bb.340:                              ;   in Loop: Header=BB382_16 Depth=1
	v_cmp_ne_u16_sdwa s5, v31, v5 src0_sel:BYTE_0 src1_sel:DWORD
	v_bfrev_b32_e32 v0, 1
	buffer_store_dword v0, off, s[0:3], s32 offset:332 ; 4-byte Folded Spill
	s_and_saveexec_b32 s26, s5
	s_cbranch_execz .LBB382_346
; %bb.341:                              ;   in Loop: Header=BB382_16 Depth=1
	v_and_b32_e32 v1, 0x7f, v31
	v_mov_b32_e32 v0, 0x7f800001
	s_mov_b32 s27, exec_lo
	buffer_store_dword v0, off, s[0:3], s32 offset:332 ; 4-byte Folded Spill
	v_cmpx_ne_u32_e32 0x7f, v1
	s_cbranch_execz .LBB382_345
; %bb.342:                              ;   in Loop: Header=BB382_16 Depth=1
	v_mov_b32_e32 v34, v32
	v_lshrrev_b32_e32 v0, 3, v1
	v_mov_b32_e32 v33, v31
	s_mov_b32 s28, exec_lo
	v_cmpx_gt_u32_e32 8, v1
; %bb.343:                              ;   in Loop: Header=BB382_16 Depth=1
	v_and_b32_e32 v0, 7, v31
	v_ffbh_u32_e32 v0, v0
	v_min_u32_e32 v0, 32, v0
	v_subrev_nc_u32_e32 v1, 28, v0
	v_sub_nc_u32_e32 v0, 29, v0
	v_lshlrev_b64 v[33:34], v1, v[31:32]
; %bb.344:                              ;   in Loop: Header=BB382_16 Depth=1
	s_or_b32 exec_lo, exec_lo, s28
	v_lshlrev_b32_e32 v1, 20, v33
	v_lshlrev_b32_e32 v2, 24, v31
	v_lshl_add_u32 v0, v0, 23, 0x3c000000
	v_and_b32_e32 v1, 0x700000, v1
	v_and_b32_e32 v2, 0x80000000, v2
	v_or3_b32 v0, v1, v2, v0
	buffer_store_dword v0, off, s[0:3], s32 offset:332 ; 4-byte Folded Spill
.LBB382_345:                            ;   in Loop: Header=BB382_16 Depth=1
	s_or_b32 exec_lo, exec_lo, s27
.LBB382_346:                            ;   in Loop: Header=BB382_16 Depth=1
	s_or_b32 exec_lo, exec_lo, s26
.LBB382_347:                            ;   in Loop: Header=BB382_16 Depth=1
	s_or_b32 exec_lo, exec_lo, s25
	v_cmp_ne_u16_sdwa s5, v31, v19 src0_sel:BYTE_1 src1_sel:DWORD
	s_and_saveexec_b32 s25, s5
	s_cbranch_execz .LBB382_355
; %bb.348:                              ;   in Loop: Header=BB382_16 Depth=1
	v_cmp_ne_u16_sdwa s5, v31, v5 src0_sel:BYTE_1 src1_sel:DWORD
	v_bfrev_b32_e32 v0, 1
	buffer_store_dword v0, off, s[0:3], s32 offset:336 ; 4-byte Folded Spill
	s_and_saveexec_b32 s26, s5
	s_cbranch_execz .LBB382_354
; %bb.349:                              ;   in Loop: Header=BB382_16 Depth=1
	v_mov_b32_e32 v0, 0xffff
	v_mov_b32_e32 v2, 0x7f800001
	s_mov_b32 s27, exec_lo
	v_and_b32_sdwa v0, v0, v31 dst_sel:DWORD dst_unused:UNUSED_PAD src0_sel:DWORD src1_sel:BYTE_1
	buffer_store_dword v2, off, s[0:3], s32 offset:336 ; 4-byte Folded Spill
	v_and_b32_e32 v1, 0x7f, v0
	v_cmpx_ne_u32_e32 0x7f, v1
	s_cbranch_execz .LBB382_353
; %bb.350:                              ;   in Loop: Header=BB382_16 Depth=1
	v_and_b32_e32 v18, 7, v0
	v_mov_b32_e32 v34, v19
	v_lshrrev_b32_e32 v0, 3, v1
	s_mov_b32 s28, exec_lo
	v_mov_b32_e32 v33, v18
	v_cmpx_gt_u32_e32 8, v1
; %bb.351:                              ;   in Loop: Header=BB382_16 Depth=1
	v_ffbh_u32_e32 v0, v18
	v_min_u32_e32 v0, 32, v0
	v_subrev_nc_u32_e32 v1, 28, v0
	v_sub_nc_u32_e32 v0, 29, v0
	v_lshlrev_b64 v[1:2], v1, v[18:19]
	v_and_b32_e32 v33, 7, v1
; %bb.352:                              ;   in Loop: Header=BB382_16 Depth=1
	s_or_b32 exec_lo, exec_lo, s28
	v_lshlrev_b32_e32 v1, 16, v31
	v_lshlrev_b32_e32 v2, 20, v33
	v_lshl_add_u32 v0, v0, 23, 0x3c000000
	v_and_b32_e32 v1, 0x80000000, v1
	v_or3_b32 v0, v2, v1, v0
	buffer_store_dword v0, off, s[0:3], s32 offset:336 ; 4-byte Folded Spill
.LBB382_353:                            ;   in Loop: Header=BB382_16 Depth=1
	s_or_b32 exec_lo, exec_lo, s27
.LBB382_354:                            ;   in Loop: Header=BB382_16 Depth=1
	s_or_b32 exec_lo, exec_lo, s26
.LBB382_355:                            ;   in Loop: Header=BB382_16 Depth=1
	s_or_b32 exec_lo, exec_lo, s25
	v_mov_b32_e32 v0, 0xff
	v_mov_b32_e32 v1, 0
	s_mov_b32 s25, exec_lo
	v_and_b32_sdwa v0, v31, v0 dst_sel:DWORD dst_unused:UNUSED_PAD src0_sel:WORD_1 src1_sel:DWORD
	buffer_store_dword v1, off, s[0:3], s32 offset:340 ; 4-byte Folded Spill
	v_mov_b32_e32 v1, 0
	buffer_store_dword v1, off, s[0:3], s32 offset:496 ; 4-byte Folded Spill
	v_cmpx_ne_u16_e32 0, v0
	s_cbranch_execz .LBB382_363
; %bb.356:                              ;   in Loop: Header=BB382_16 Depth=1
	v_cmp_ne_u16_e64 s5, 0x80, v0
	v_bfrev_b32_e32 v0, 1
	s_and_saveexec_b32 s26, s5
	s_cbranch_execz .LBB382_362
; %bb.357:                              ;   in Loop: Header=BB382_16 Depth=1
	v_bfe_u32 v1, v31, 16, 7
	v_mov_b32_e32 v0, 0x7f800001
	s_mov_b32 s27, exec_lo
	v_cmpx_ne_u32_e32 0x7f, v1
	s_cbranch_execz .LBB382_361
; %bb.358:                              ;   in Loop: Header=BB382_16 Depth=1
	v_mov_b32_e32 v0, 7
	s_mov_b32 s28, exec_lo
	v_and_b32_sdwa v18, v31, v0 dst_sel:DWORD dst_unused:UNUSED_PAD src0_sel:WORD_1 src1_sel:DWORD
	v_mov_b32_e32 v34, v19
	v_lshrrev_b32_e32 v0, 3, v1
	v_mov_b32_e32 v33, v18
	v_cmpx_gt_u32_e32 8, v1
; %bb.359:                              ;   in Loop: Header=BB382_16 Depth=1
	v_ffbh_u32_e32 v0, v18
	v_min_u32_e32 v0, 32, v0
	v_subrev_nc_u32_e32 v1, 28, v0
	v_sub_nc_u32_e32 v0, 29, v0
	v_lshlrev_b64 v[1:2], v1, v[18:19]
	v_and_b32_e32 v33, 7, v1
; %bb.360:                              ;   in Loop: Header=BB382_16 Depth=1
	s_or_b32 exec_lo, exec_lo, s28
	v_mov_b32_e32 v1, 24
	v_lshlrev_b32_e32 v2, 20, v33
	v_lshl_add_u32 v0, v0, 23, 0x3c000000
	v_lshlrev_b32_sdwa v1, v1, v31 dst_sel:DWORD dst_unused:UNUSED_PAD src0_sel:DWORD src1_sel:WORD_1
	v_and_b32_e32 v1, 0x80000000, v1
	v_or3_b32 v0, v2, v1, v0
.LBB382_361:                            ;   in Loop: Header=BB382_16 Depth=1
	s_or_b32 exec_lo, exec_lo, s27
.LBB382_362:                            ;   in Loop: Header=BB382_16 Depth=1
	s_or_b32 exec_lo, exec_lo, s26
	buffer_store_dword v0, off, s[0:3], s32 offset:496 ; 4-byte Folded Spill
.LBB382_363:                            ;   in Loop: Header=BB382_16 Depth=1
	s_or_b32 exec_lo, exec_lo, s25
	s_mov_b32 s25, exec_lo
	v_cmpx_lt_u32_e32 0xffffff, v31
	s_cbranch_execz .LBB382_371
; %bb.364:                              ;   in Loop: Header=BB382_16 Depth=1
	v_cmp_ne_u32_sdwa s5, v31, v5 src0_sel:BYTE_3 src1_sel:DWORD
	v_bfrev_b32_e32 v0, 1
	buffer_store_dword v0, off, s[0:3], s32 offset:340 ; 4-byte Folded Spill
	s_and_saveexec_b32 s26, s5
	s_cbranch_execz .LBB382_370
; %bb.365:                              ;   in Loop: Header=BB382_16 Depth=1
	v_bfe_u32 v1, v31, 24, 7
	v_mov_b32_e32 v0, 0x7f800001
	s_mov_b32 s27, exec_lo
	buffer_store_dword v0, off, s[0:3], s32 offset:340 ; 4-byte Folded Spill
	v_cmpx_ne_u32_e32 0x7f, v1
	s_cbranch_execz .LBB382_369
; %bb.366:                              ;   in Loop: Header=BB382_16 Depth=1
	v_mov_b32_e32 v0, 7
	s_mov_b32 s28, exec_lo
	v_and_b32_sdwa v18, v31, v0 dst_sel:DWORD dst_unused:UNUSED_PAD src0_sel:BYTE_3 src1_sel:DWORD
	v_mov_b32_e32 v34, v19
	v_lshrrev_b32_e32 v0, 3, v1
	v_mov_b32_e32 v33, v18
	v_cmpx_gt_u32_e32 8, v1
; %bb.367:                              ;   in Loop: Header=BB382_16 Depth=1
	v_ffbh_u32_e32 v0, v18
	v_min_u32_e32 v0, 32, v0
	v_subrev_nc_u32_e32 v1, 28, v0
	v_sub_nc_u32_e32 v0, 29, v0
	v_lshlrev_b64 v[1:2], v1, v[18:19]
	v_and_b32_e32 v33, 7, v1
; %bb.368:                              ;   in Loop: Header=BB382_16 Depth=1
	s_or_b32 exec_lo, exec_lo, s28
	v_mov_b32_e32 v1, 24
	v_lshlrev_b32_e32 v2, 20, v33
	v_lshl_add_u32 v0, v0, 23, 0x3c000000
	v_lshlrev_b32_sdwa v1, v1, v31 dst_sel:DWORD dst_unused:UNUSED_PAD src0_sel:DWORD src1_sel:BYTE_3
	v_and_b32_e32 v1, 0x80000000, v1
	v_or3_b32 v0, v2, v1, v0
	buffer_store_dword v0, off, s[0:3], s32 offset:340 ; 4-byte Folded Spill
.LBB382_369:                            ;   in Loop: Header=BB382_16 Depth=1
	s_or_b32 exec_lo, exec_lo, s27
.LBB382_370:                            ;   in Loop: Header=BB382_16 Depth=1
	s_or_b32 exec_lo, exec_lo, s26
.LBB382_371:                            ;   in Loop: Header=BB382_16 Depth=1
	s_or_b32 exec_lo, exec_lo, s25
	v_mov_b32_e32 v0, 0
	v_mov_b32_e32 v18, v32
	v_cmp_ne_u16_sdwa s5, v32, v19 src0_sel:BYTE_0 src1_sel:DWORD
	buffer_store_dword v0, off, s[0:3], s32 offset:348 ; 4-byte Folded Spill
	v_mov_b32_e32 v0, 0
	buffer_store_dword v0, off, s[0:3], s32 offset:344 ; 4-byte Folded Spill
	s_and_saveexec_b32 s25, s5
	s_cbranch_execz .LBB382_379
; %bb.372:                              ;   in Loop: Header=BB382_16 Depth=1
	v_cmp_ne_u16_sdwa s5, v32, v5 src0_sel:BYTE_0 src1_sel:DWORD
	v_bfrev_b32_e32 v0, 1
	buffer_store_dword v0, off, s[0:3], s32 offset:344 ; 4-byte Folded Spill
	s_and_saveexec_b32 s26, s5
	s_cbranch_execz .LBB382_378
; %bb.373:                              ;   in Loop: Header=BB382_16 Depth=1
	v_and_b32_e32 v1, 0x7f, v32
	v_mov_b32_e32 v0, 0x7f800001
	s_mov_b32 s27, exec_lo
	buffer_store_dword v0, off, s[0:3], s32 offset:344 ; 4-byte Folded Spill
	v_cmpx_ne_u32_e32 0x7f, v1
	s_cbranch_execz .LBB382_377
; %bb.374:                              ;   in Loop: Header=BB382_16 Depth=1
	v_mov_b32_e32 v34, v19
	v_lshrrev_b32_e32 v0, 3, v1
	v_mov_b32_e32 v33, v18
	s_mov_b32 s28, exec_lo
	v_cmpx_gt_u32_e32 8, v1
; %bb.375:                              ;   in Loop: Header=BB382_16 Depth=1
	v_and_b32_e32 v0, 7, v32
	v_ffbh_u32_e32 v0, v0
	v_min_u32_e32 v0, 32, v0
	v_subrev_nc_u32_e32 v1, 28, v0
	v_sub_nc_u32_e32 v0, 29, v0
	v_lshlrev_b64 v[33:34], v1, v[18:19]
; %bb.376:                              ;   in Loop: Header=BB382_16 Depth=1
	s_or_b32 exec_lo, exec_lo, s28
	v_lshlrev_b32_e32 v1, 20, v33
	v_lshlrev_b32_e32 v2, 24, v18
	v_lshl_add_u32 v0, v0, 23, 0x3c000000
	v_and_b32_e32 v1, 0x700000, v1
	v_and_b32_e32 v2, 0x80000000, v2
	v_or3_b32 v0, v1, v2, v0
	buffer_store_dword v0, off, s[0:3], s32 offset:344 ; 4-byte Folded Spill
.LBB382_377:                            ;   in Loop: Header=BB382_16 Depth=1
	s_or_b32 exec_lo, exec_lo, s27
.LBB382_378:                            ;   in Loop: Header=BB382_16 Depth=1
	s_or_b32 exec_lo, exec_lo, s26
.LBB382_379:                            ;   in Loop: Header=BB382_16 Depth=1
	s_or_b32 exec_lo, exec_lo, s25
	v_cmp_ne_u16_sdwa s5, v18, v19 src0_sel:BYTE_1 src1_sel:DWORD
	s_and_saveexec_b32 s25, s5
	s_cbranch_execz .LBB382_387
; %bb.380:                              ;   in Loop: Header=BB382_16 Depth=1
	v_cmp_ne_u16_sdwa s5, v18, v5 src0_sel:BYTE_1 src1_sel:DWORD
	v_bfrev_b32_e32 v0, 1
	buffer_store_dword v0, off, s[0:3], s32 offset:348 ; 4-byte Folded Spill
	s_and_saveexec_b32 s26, s5
	s_cbranch_execz .LBB382_386
; %bb.381:                              ;   in Loop: Header=BB382_16 Depth=1
	v_mov_b32_e32 v0, 0xffff
	v_mov_b32_e32 v2, 0x7f800001
	s_mov_b32 s27, exec_lo
	v_and_b32_sdwa v0, v0, v18 dst_sel:DWORD dst_unused:UNUSED_PAD src0_sel:DWORD src1_sel:BYTE_1
	buffer_store_dword v2, off, s[0:3], s32 offset:348 ; 4-byte Folded Spill
	v_and_b32_e32 v1, 0x7f, v0
	v_cmpx_ne_u32_e32 0x7f, v1
	s_cbranch_execz .LBB382_385
; %bb.382:                              ;   in Loop: Header=BB382_16 Depth=1
	v_and_b32_e32 v33, 7, v0
	v_mov_b32_e32 v34, v19
	v_lshrrev_b32_e32 v0, 3, v1
	s_mov_b32 s28, exec_lo
	v_cmpx_gt_u32_e32 8, v1
; %bb.383:                              ;   in Loop: Header=BB382_16 Depth=1
	v_ffbh_u32_e32 v0, v33
	v_min_u32_e32 v0, 32, v0
	v_subrev_nc_u32_e32 v1, 28, v0
	v_sub_nc_u32_e32 v0, 29, v0
	v_lshlrev_b64 v[1:2], v1, v[33:34]
	v_and_b32_e32 v33, 7, v1
; %bb.384:                              ;   in Loop: Header=BB382_16 Depth=1
	s_or_b32 exec_lo, exec_lo, s28
	v_lshlrev_b32_e32 v1, 16, v18
	v_lshlrev_b32_e32 v2, 20, v33
	v_lshl_add_u32 v0, v0, 23, 0x3c000000
	v_and_b32_e32 v1, 0x80000000, v1
	v_or3_b32 v0, v2, v1, v0
	buffer_store_dword v0, off, s[0:3], s32 offset:348 ; 4-byte Folded Spill
.LBB382_385:                            ;   in Loop: Header=BB382_16 Depth=1
	s_or_b32 exec_lo, exec_lo, s27
.LBB382_386:                            ;   in Loop: Header=BB382_16 Depth=1
	s_or_b32 exec_lo, exec_lo, s26
.LBB382_387:                            ;   in Loop: Header=BB382_16 Depth=1
	s_or_b32 exec_lo, exec_lo, s25
	v_mov_b32_e32 v0, 0xff
	v_mov_b32_e32 v1, 0
	s_mov_b32 s25, exec_lo
	v_and_b32_sdwa v0, v32, v0 dst_sel:DWORD dst_unused:UNUSED_PAD src0_sel:WORD_1 src1_sel:DWORD
	buffer_store_dword v1, off, s[0:3], s32 offset:352 ; 4-byte Folded Spill
	v_mov_b32_e32 v1, 0
	buffer_store_dword v1, off, s[0:3], s32 offset:500 ; 4-byte Folded Spill
	v_cmpx_ne_u16_e32 0, v0
	s_cbranch_execz .LBB382_395
; %bb.388:                              ;   in Loop: Header=BB382_16 Depth=1
	v_cmp_ne_u16_e64 s5, 0x80, v0
	v_bfrev_b32_e32 v0, 1
	s_and_saveexec_b32 s26, s5
	s_cbranch_execz .LBB382_394
; %bb.389:                              ;   in Loop: Header=BB382_16 Depth=1
	v_bfe_u32 v1, v32, 16, 7
	v_mov_b32_e32 v0, 0x7f800001
	s_mov_b32 s27, exec_lo
	v_cmpx_ne_u32_e32 0x7f, v1
	s_cbranch_execz .LBB382_393
; %bb.390:                              ;   in Loop: Header=BB382_16 Depth=1
	v_mov_b32_e32 v0, 7
	s_mov_b32 s28, exec_lo
	v_and_b32_sdwa v18, v32, v0 dst_sel:DWORD dst_unused:UNUSED_PAD src0_sel:WORD_1 src1_sel:DWORD
	v_mov_b32_e32 v34, v19
	v_lshrrev_b32_e32 v0, 3, v1
	v_mov_b32_e32 v33, v18
	v_cmpx_gt_u32_e32 8, v1
; %bb.391:                              ;   in Loop: Header=BB382_16 Depth=1
	v_ffbh_u32_e32 v0, v18
	v_min_u32_e32 v0, 32, v0
	v_subrev_nc_u32_e32 v1, 28, v0
	v_sub_nc_u32_e32 v0, 29, v0
	v_lshlrev_b64 v[1:2], v1, v[18:19]
	v_and_b32_e32 v33, 7, v1
; %bb.392:                              ;   in Loop: Header=BB382_16 Depth=1
	s_or_b32 exec_lo, exec_lo, s28
	v_mov_b32_e32 v1, 24
	v_lshlrev_b32_e32 v2, 20, v33
	v_lshl_add_u32 v0, v0, 23, 0x3c000000
	v_lshlrev_b32_sdwa v1, v1, v32 dst_sel:DWORD dst_unused:UNUSED_PAD src0_sel:DWORD src1_sel:WORD_1
	v_and_b32_e32 v1, 0x80000000, v1
	v_or3_b32 v0, v2, v1, v0
.LBB382_393:                            ;   in Loop: Header=BB382_16 Depth=1
	s_or_b32 exec_lo, exec_lo, s27
.LBB382_394:                            ;   in Loop: Header=BB382_16 Depth=1
	s_or_b32 exec_lo, exec_lo, s26
	buffer_store_dword v0, off, s[0:3], s32 offset:500 ; 4-byte Folded Spill
.LBB382_395:                            ;   in Loop: Header=BB382_16 Depth=1
	s_or_b32 exec_lo, exec_lo, s25
	s_mov_b32 s25, exec_lo
	v_cmpx_lt_u64_e64 s[20:21], v[31:32]
	s_cbranch_execz .LBB382_403
; %bb.396:                              ;   in Loop: Header=BB382_16 Depth=1
	v_cmp_ne_u32_sdwa s5, v32, v5 src0_sel:BYTE_3 src1_sel:DWORD
	v_bfrev_b32_e32 v0, 1
	buffer_store_dword v0, off, s[0:3], s32 offset:352 ; 4-byte Folded Spill
	s_and_saveexec_b32 s26, s5
	s_cbranch_execz .LBB382_402
; %bb.397:                              ;   in Loop: Header=BB382_16 Depth=1
	v_bfe_u32 v1, v32, 24, 7
	v_mov_b32_e32 v0, 0x7f800001
	s_mov_b32 s27, exec_lo
	buffer_store_dword v0, off, s[0:3], s32 offset:352 ; 4-byte Folded Spill
	v_cmpx_ne_u32_e32 0x7f, v1
	s_cbranch_execz .LBB382_401
; %bb.398:                              ;   in Loop: Header=BB382_16 Depth=1
	v_mov_b32_e32 v0, 7
	s_mov_b32 s28, exec_lo
	v_and_b32_sdwa v18, v32, v0 dst_sel:DWORD dst_unused:UNUSED_PAD src0_sel:BYTE_3 src1_sel:DWORD
	v_mov_b32_e32 v34, v19
	v_lshrrev_b32_e32 v0, 3, v1
	v_mov_b32_e32 v33, v18
	v_cmpx_gt_u32_e32 8, v1
; %bb.399:                              ;   in Loop: Header=BB382_16 Depth=1
	v_ffbh_u32_e32 v0, v18
	v_min_u32_e32 v0, 32, v0
	v_subrev_nc_u32_e32 v1, 28, v0
	v_sub_nc_u32_e32 v0, 29, v0
	v_lshlrev_b64 v[1:2], v1, v[18:19]
	v_and_b32_e32 v33, 7, v1
; %bb.400:                              ;   in Loop: Header=BB382_16 Depth=1
	s_or_b32 exec_lo, exec_lo, s28
	v_mov_b32_e32 v1, 24
	v_lshlrev_b32_e32 v2, 20, v33
	v_lshl_add_u32 v0, v0, 23, 0x3c000000
	v_lshlrev_b32_sdwa v1, v1, v32 dst_sel:DWORD dst_unused:UNUSED_PAD src0_sel:DWORD src1_sel:BYTE_3
	v_and_b32_e32 v1, 0x80000000, v1
	v_or3_b32 v0, v2, v1, v0
	buffer_store_dword v0, off, s[0:3], s32 offset:352 ; 4-byte Folded Spill
.LBB382_401:                            ;   in Loop: Header=BB382_16 Depth=1
	s_or_b32 exec_lo, exec_lo, s27
.LBB382_402:                            ;   in Loop: Header=BB382_16 Depth=1
	s_or_b32 exec_lo, exec_lo, s26
.LBB382_403:                            ;   in Loop: Header=BB382_16 Depth=1
	s_or_b32 exec_lo, exec_lo, s25
	flat_load_dwordx2 v[31:32], v[28:29] offset:1536
	v_mov_b32_e32 v0, 0
	buffer_store_dword v0, off, s[0:3], s32 offset:360 ; 4-byte Folded Spill
	v_mov_b32_e32 v0, 0
	buffer_store_dword v0, off, s[0:3], s32 offset:356 ; 4-byte Folded Spill
	s_waitcnt vmcnt(0) lgkmcnt(0)
	v_cmp_ne_u16_sdwa s5, v31, v19 src0_sel:BYTE_0 src1_sel:DWORD
	s_and_saveexec_b32 s25, s5
	s_cbranch_execz .LBB382_411
; %bb.404:                              ;   in Loop: Header=BB382_16 Depth=1
	v_cmp_ne_u16_sdwa s5, v31, v5 src0_sel:BYTE_0 src1_sel:DWORD
	v_bfrev_b32_e32 v0, 1
	buffer_store_dword v0, off, s[0:3], s32 offset:356 ; 4-byte Folded Spill
	s_and_saveexec_b32 s26, s5
	s_cbranch_execz .LBB382_410
; %bb.405:                              ;   in Loop: Header=BB382_16 Depth=1
	v_and_b32_e32 v1, 0x7f, v31
	v_mov_b32_e32 v0, 0x7f800001
	s_mov_b32 s27, exec_lo
	buffer_store_dword v0, off, s[0:3], s32 offset:356 ; 4-byte Folded Spill
	v_cmpx_ne_u32_e32 0x7f, v1
	s_cbranch_execz .LBB382_409
; %bb.406:                              ;   in Loop: Header=BB382_16 Depth=1
	v_mov_b32_e32 v34, v32
	v_lshrrev_b32_e32 v0, 3, v1
	v_mov_b32_e32 v33, v31
	s_mov_b32 s28, exec_lo
	v_cmpx_gt_u32_e32 8, v1
; %bb.407:                              ;   in Loop: Header=BB382_16 Depth=1
	v_and_b32_e32 v0, 7, v31
	v_ffbh_u32_e32 v0, v0
	v_min_u32_e32 v0, 32, v0
	v_subrev_nc_u32_e32 v1, 28, v0
	v_sub_nc_u32_e32 v0, 29, v0
	v_lshlrev_b64 v[33:34], v1, v[31:32]
; %bb.408:                              ;   in Loop: Header=BB382_16 Depth=1
	s_or_b32 exec_lo, exec_lo, s28
	v_lshlrev_b32_e32 v1, 20, v33
	v_lshlrev_b32_e32 v2, 24, v31
	v_lshl_add_u32 v0, v0, 23, 0x3c000000
	v_and_b32_e32 v1, 0x700000, v1
	v_and_b32_e32 v2, 0x80000000, v2
	v_or3_b32 v0, v1, v2, v0
	buffer_store_dword v0, off, s[0:3], s32 offset:356 ; 4-byte Folded Spill
.LBB382_409:                            ;   in Loop: Header=BB382_16 Depth=1
	s_or_b32 exec_lo, exec_lo, s27
.LBB382_410:                            ;   in Loop: Header=BB382_16 Depth=1
	s_or_b32 exec_lo, exec_lo, s26
.LBB382_411:                            ;   in Loop: Header=BB382_16 Depth=1
	s_or_b32 exec_lo, exec_lo, s25
	v_cmp_ne_u16_sdwa s5, v31, v19 src0_sel:BYTE_1 src1_sel:DWORD
	s_and_saveexec_b32 s25, s5
	s_cbranch_execz .LBB382_419
; %bb.412:                              ;   in Loop: Header=BB382_16 Depth=1
	v_cmp_ne_u16_sdwa s5, v31, v5 src0_sel:BYTE_1 src1_sel:DWORD
	v_bfrev_b32_e32 v0, 1
	buffer_store_dword v0, off, s[0:3], s32 offset:360 ; 4-byte Folded Spill
	s_and_saveexec_b32 s26, s5
	s_cbranch_execz .LBB382_418
; %bb.413:                              ;   in Loop: Header=BB382_16 Depth=1
	v_mov_b32_e32 v0, 0xffff
	v_mov_b32_e32 v2, 0x7f800001
	s_mov_b32 s27, exec_lo
	v_and_b32_sdwa v0, v0, v31 dst_sel:DWORD dst_unused:UNUSED_PAD src0_sel:DWORD src1_sel:BYTE_1
	buffer_store_dword v2, off, s[0:3], s32 offset:360 ; 4-byte Folded Spill
	v_and_b32_e32 v1, 0x7f, v0
	v_cmpx_ne_u32_e32 0x7f, v1
	s_cbranch_execz .LBB382_417
; %bb.414:                              ;   in Loop: Header=BB382_16 Depth=1
	v_and_b32_e32 v18, 7, v0
	v_mov_b32_e32 v34, v19
	v_lshrrev_b32_e32 v0, 3, v1
	s_mov_b32 s28, exec_lo
	v_mov_b32_e32 v33, v18
	v_cmpx_gt_u32_e32 8, v1
; %bb.415:                              ;   in Loop: Header=BB382_16 Depth=1
	v_ffbh_u32_e32 v0, v18
	v_min_u32_e32 v0, 32, v0
	v_subrev_nc_u32_e32 v1, 28, v0
	v_sub_nc_u32_e32 v0, 29, v0
	v_lshlrev_b64 v[1:2], v1, v[18:19]
	v_and_b32_e32 v33, 7, v1
; %bb.416:                              ;   in Loop: Header=BB382_16 Depth=1
	s_or_b32 exec_lo, exec_lo, s28
	v_lshlrev_b32_e32 v1, 16, v31
	v_lshlrev_b32_e32 v2, 20, v33
	v_lshl_add_u32 v0, v0, 23, 0x3c000000
	v_and_b32_e32 v1, 0x80000000, v1
	v_or3_b32 v0, v2, v1, v0
	buffer_store_dword v0, off, s[0:3], s32 offset:360 ; 4-byte Folded Spill
.LBB382_417:                            ;   in Loop: Header=BB382_16 Depth=1
	s_or_b32 exec_lo, exec_lo, s27
.LBB382_418:                            ;   in Loop: Header=BB382_16 Depth=1
	s_or_b32 exec_lo, exec_lo, s26
.LBB382_419:                            ;   in Loop: Header=BB382_16 Depth=1
	s_or_b32 exec_lo, exec_lo, s25
	v_mov_b32_e32 v0, 0xff
	v_mov_b32_e32 v1, 0
	s_mov_b32 s25, exec_lo
	v_and_b32_sdwa v0, v31, v0 dst_sel:DWORD dst_unused:UNUSED_PAD src0_sel:WORD_1 src1_sel:DWORD
	buffer_store_dword v1, off, s[0:3], s32 offset:368 ; 4-byte Folded Spill
	v_mov_b32_e32 v1, 0
	buffer_store_dword v1, off, s[0:3], s32 offset:504 ; 4-byte Folded Spill
	v_cmpx_ne_u16_e32 0, v0
	s_cbranch_execz .LBB382_427
; %bb.420:                              ;   in Loop: Header=BB382_16 Depth=1
	v_cmp_ne_u16_e64 s5, 0x80, v0
	v_bfrev_b32_e32 v0, 1
	s_and_saveexec_b32 s26, s5
	s_cbranch_execz .LBB382_426
; %bb.421:                              ;   in Loop: Header=BB382_16 Depth=1
	v_bfe_u32 v1, v31, 16, 7
	v_mov_b32_e32 v0, 0x7f800001
	s_mov_b32 s27, exec_lo
	v_cmpx_ne_u32_e32 0x7f, v1
	s_cbranch_execz .LBB382_425
; %bb.422:                              ;   in Loop: Header=BB382_16 Depth=1
	v_mov_b32_e32 v0, 7
	s_mov_b32 s28, exec_lo
	v_and_b32_sdwa v18, v31, v0 dst_sel:DWORD dst_unused:UNUSED_PAD src0_sel:WORD_1 src1_sel:DWORD
	v_mov_b32_e32 v34, v19
	v_lshrrev_b32_e32 v0, 3, v1
	v_mov_b32_e32 v33, v18
	v_cmpx_gt_u32_e32 8, v1
; %bb.423:                              ;   in Loop: Header=BB382_16 Depth=1
	v_ffbh_u32_e32 v0, v18
	v_min_u32_e32 v0, 32, v0
	v_subrev_nc_u32_e32 v1, 28, v0
	v_sub_nc_u32_e32 v0, 29, v0
	v_lshlrev_b64 v[1:2], v1, v[18:19]
	v_and_b32_e32 v33, 7, v1
; %bb.424:                              ;   in Loop: Header=BB382_16 Depth=1
	s_or_b32 exec_lo, exec_lo, s28
	v_mov_b32_e32 v1, 24
	v_lshlrev_b32_e32 v2, 20, v33
	v_lshl_add_u32 v0, v0, 23, 0x3c000000
	v_lshlrev_b32_sdwa v1, v1, v31 dst_sel:DWORD dst_unused:UNUSED_PAD src0_sel:DWORD src1_sel:WORD_1
	v_and_b32_e32 v1, 0x80000000, v1
	v_or3_b32 v0, v2, v1, v0
.LBB382_425:                            ;   in Loop: Header=BB382_16 Depth=1
	s_or_b32 exec_lo, exec_lo, s27
.LBB382_426:                            ;   in Loop: Header=BB382_16 Depth=1
	s_or_b32 exec_lo, exec_lo, s26
	buffer_store_dword v0, off, s[0:3], s32 offset:504 ; 4-byte Folded Spill
.LBB382_427:                            ;   in Loop: Header=BB382_16 Depth=1
	s_or_b32 exec_lo, exec_lo, s25
	s_mov_b32 s25, exec_lo
	v_cmpx_lt_u32_e32 0xffffff, v31
	s_cbranch_execz .LBB382_435
; %bb.428:                              ;   in Loop: Header=BB382_16 Depth=1
	v_cmp_ne_u32_sdwa s5, v31, v5 src0_sel:BYTE_3 src1_sel:DWORD
	v_bfrev_b32_e32 v0, 1
	buffer_store_dword v0, off, s[0:3], s32 offset:368 ; 4-byte Folded Spill
	s_and_saveexec_b32 s26, s5
	s_cbranch_execz .LBB382_434
; %bb.429:                              ;   in Loop: Header=BB382_16 Depth=1
	v_bfe_u32 v1, v31, 24, 7
	v_mov_b32_e32 v0, 0x7f800001
	s_mov_b32 s27, exec_lo
	buffer_store_dword v0, off, s[0:3], s32 offset:368 ; 4-byte Folded Spill
	v_cmpx_ne_u32_e32 0x7f, v1
	s_cbranch_execz .LBB382_433
; %bb.430:                              ;   in Loop: Header=BB382_16 Depth=1
	v_mov_b32_e32 v0, 7
	s_mov_b32 s28, exec_lo
	v_and_b32_sdwa v18, v31, v0 dst_sel:DWORD dst_unused:UNUSED_PAD src0_sel:BYTE_3 src1_sel:DWORD
	v_mov_b32_e32 v34, v19
	v_lshrrev_b32_e32 v0, 3, v1
	v_mov_b32_e32 v33, v18
	v_cmpx_gt_u32_e32 8, v1
; %bb.431:                              ;   in Loop: Header=BB382_16 Depth=1
	v_ffbh_u32_e32 v0, v18
	v_min_u32_e32 v0, 32, v0
	v_subrev_nc_u32_e32 v1, 28, v0
	v_sub_nc_u32_e32 v0, 29, v0
	v_lshlrev_b64 v[1:2], v1, v[18:19]
	v_and_b32_e32 v33, 7, v1
; %bb.432:                              ;   in Loop: Header=BB382_16 Depth=1
	s_or_b32 exec_lo, exec_lo, s28
	v_mov_b32_e32 v1, 24
	v_lshlrev_b32_e32 v2, 20, v33
	v_lshl_add_u32 v0, v0, 23, 0x3c000000
	v_lshlrev_b32_sdwa v1, v1, v31 dst_sel:DWORD dst_unused:UNUSED_PAD src0_sel:DWORD src1_sel:BYTE_3
	v_and_b32_e32 v1, 0x80000000, v1
	v_or3_b32 v0, v2, v1, v0
	buffer_store_dword v0, off, s[0:3], s32 offset:368 ; 4-byte Folded Spill
.LBB382_433:                            ;   in Loop: Header=BB382_16 Depth=1
	s_or_b32 exec_lo, exec_lo, s27
.LBB382_434:                            ;   in Loop: Header=BB382_16 Depth=1
	s_or_b32 exec_lo, exec_lo, s26
.LBB382_435:                            ;   in Loop: Header=BB382_16 Depth=1
	s_or_b32 exec_lo, exec_lo, s25
	v_mov_b32_e32 v0, 0
	v_mov_b32_e32 v18, v32
	v_cmp_ne_u16_sdwa s5, v32, v19 src0_sel:BYTE_0 src1_sel:DWORD
	buffer_store_dword v0, off, s[0:3], s32 offset:376 ; 4-byte Folded Spill
	v_mov_b32_e32 v0, 0
	buffer_store_dword v0, off, s[0:3], s32 offset:372 ; 4-byte Folded Spill
	s_and_saveexec_b32 s25, s5
	s_cbranch_execz .LBB382_443
; %bb.436:                              ;   in Loop: Header=BB382_16 Depth=1
	v_cmp_ne_u16_sdwa s5, v32, v5 src0_sel:BYTE_0 src1_sel:DWORD
	v_bfrev_b32_e32 v0, 1
	buffer_store_dword v0, off, s[0:3], s32 offset:372 ; 4-byte Folded Spill
	s_and_saveexec_b32 s26, s5
	s_cbranch_execz .LBB382_442
; %bb.437:                              ;   in Loop: Header=BB382_16 Depth=1
	v_and_b32_e32 v1, 0x7f, v32
	v_mov_b32_e32 v0, 0x7f800001
	s_mov_b32 s27, exec_lo
	buffer_store_dword v0, off, s[0:3], s32 offset:372 ; 4-byte Folded Spill
	v_cmpx_ne_u32_e32 0x7f, v1
	s_cbranch_execz .LBB382_441
; %bb.438:                              ;   in Loop: Header=BB382_16 Depth=1
	v_mov_b32_e32 v34, v19
	v_lshrrev_b32_e32 v0, 3, v1
	v_mov_b32_e32 v33, v18
	s_mov_b32 s28, exec_lo
	v_cmpx_gt_u32_e32 8, v1
; %bb.439:                              ;   in Loop: Header=BB382_16 Depth=1
	v_and_b32_e32 v0, 7, v32
	v_ffbh_u32_e32 v0, v0
	v_min_u32_e32 v0, 32, v0
	v_subrev_nc_u32_e32 v1, 28, v0
	v_sub_nc_u32_e32 v0, 29, v0
	v_lshlrev_b64 v[33:34], v1, v[18:19]
; %bb.440:                              ;   in Loop: Header=BB382_16 Depth=1
	s_or_b32 exec_lo, exec_lo, s28
	v_lshlrev_b32_e32 v1, 20, v33
	v_lshlrev_b32_e32 v2, 24, v18
	v_lshl_add_u32 v0, v0, 23, 0x3c000000
	v_and_b32_e32 v1, 0x700000, v1
	v_and_b32_e32 v2, 0x80000000, v2
	v_or3_b32 v0, v1, v2, v0
	buffer_store_dword v0, off, s[0:3], s32 offset:372 ; 4-byte Folded Spill
.LBB382_441:                            ;   in Loop: Header=BB382_16 Depth=1
	s_or_b32 exec_lo, exec_lo, s27
.LBB382_442:                            ;   in Loop: Header=BB382_16 Depth=1
	s_or_b32 exec_lo, exec_lo, s26
.LBB382_443:                            ;   in Loop: Header=BB382_16 Depth=1
	s_or_b32 exec_lo, exec_lo, s25
	v_cmp_ne_u16_sdwa s5, v18, v19 src0_sel:BYTE_1 src1_sel:DWORD
	s_and_saveexec_b32 s25, s5
	s_cbranch_execz .LBB382_451
; %bb.444:                              ;   in Loop: Header=BB382_16 Depth=1
	v_cmp_ne_u16_sdwa s5, v18, v5 src0_sel:BYTE_1 src1_sel:DWORD
	v_bfrev_b32_e32 v0, 1
	buffer_store_dword v0, off, s[0:3], s32 offset:376 ; 4-byte Folded Spill
	s_and_saveexec_b32 s26, s5
	s_cbranch_execz .LBB382_450
; %bb.445:                              ;   in Loop: Header=BB382_16 Depth=1
	v_mov_b32_e32 v0, 0xffff
	v_mov_b32_e32 v2, 0x7f800001
	s_mov_b32 s27, exec_lo
	v_and_b32_sdwa v0, v0, v18 dst_sel:DWORD dst_unused:UNUSED_PAD src0_sel:DWORD src1_sel:BYTE_1
	buffer_store_dword v2, off, s[0:3], s32 offset:376 ; 4-byte Folded Spill
	v_and_b32_e32 v1, 0x7f, v0
	v_cmpx_ne_u32_e32 0x7f, v1
	s_cbranch_execz .LBB382_449
; %bb.446:                              ;   in Loop: Header=BB382_16 Depth=1
	v_and_b32_e32 v33, 7, v0
	v_mov_b32_e32 v34, v19
	v_lshrrev_b32_e32 v0, 3, v1
	s_mov_b32 s28, exec_lo
	v_cmpx_gt_u32_e32 8, v1
; %bb.447:                              ;   in Loop: Header=BB382_16 Depth=1
	v_ffbh_u32_e32 v0, v33
	v_min_u32_e32 v0, 32, v0
	v_subrev_nc_u32_e32 v1, 28, v0
	v_sub_nc_u32_e32 v0, 29, v0
	v_lshlrev_b64 v[1:2], v1, v[33:34]
	v_and_b32_e32 v33, 7, v1
; %bb.448:                              ;   in Loop: Header=BB382_16 Depth=1
	s_or_b32 exec_lo, exec_lo, s28
	v_lshlrev_b32_e32 v1, 16, v18
	v_lshlrev_b32_e32 v2, 20, v33
	v_lshl_add_u32 v0, v0, 23, 0x3c000000
	v_and_b32_e32 v1, 0x80000000, v1
	v_or3_b32 v0, v2, v1, v0
	buffer_store_dword v0, off, s[0:3], s32 offset:376 ; 4-byte Folded Spill
.LBB382_449:                            ;   in Loop: Header=BB382_16 Depth=1
	s_or_b32 exec_lo, exec_lo, s27
.LBB382_450:                            ;   in Loop: Header=BB382_16 Depth=1
	s_or_b32 exec_lo, exec_lo, s26
.LBB382_451:                            ;   in Loop: Header=BB382_16 Depth=1
	s_or_b32 exec_lo, exec_lo, s25
	v_mov_b32_e32 v0, 0xff
	v_mov_b32_e32 v1, 0
	s_mov_b32 s25, exec_lo
	v_and_b32_sdwa v0, v32, v0 dst_sel:DWORD dst_unused:UNUSED_PAD src0_sel:WORD_1 src1_sel:DWORD
	buffer_store_dword v1, off, s[0:3], s32 offset:380 ; 4-byte Folded Spill
	v_mov_b32_e32 v1, 0
	buffer_store_dword v1, off, s[0:3], s32 offset:508 ; 4-byte Folded Spill
	v_cmpx_ne_u16_e32 0, v0
	s_cbranch_execz .LBB382_459
; %bb.452:                              ;   in Loop: Header=BB382_16 Depth=1
	v_cmp_ne_u16_e64 s5, 0x80, v0
	v_bfrev_b32_e32 v0, 1
	s_and_saveexec_b32 s26, s5
	s_cbranch_execz .LBB382_458
; %bb.453:                              ;   in Loop: Header=BB382_16 Depth=1
	v_bfe_u32 v1, v32, 16, 7
	v_mov_b32_e32 v0, 0x7f800001
	s_mov_b32 s27, exec_lo
	v_cmpx_ne_u32_e32 0x7f, v1
	s_cbranch_execz .LBB382_457
; %bb.454:                              ;   in Loop: Header=BB382_16 Depth=1
	v_mov_b32_e32 v0, 7
	s_mov_b32 s28, exec_lo
	v_and_b32_sdwa v18, v32, v0 dst_sel:DWORD dst_unused:UNUSED_PAD src0_sel:WORD_1 src1_sel:DWORD
	v_mov_b32_e32 v34, v19
	v_lshrrev_b32_e32 v0, 3, v1
	v_mov_b32_e32 v33, v18
	v_cmpx_gt_u32_e32 8, v1
; %bb.455:                              ;   in Loop: Header=BB382_16 Depth=1
	v_ffbh_u32_e32 v0, v18
	v_min_u32_e32 v0, 32, v0
	v_subrev_nc_u32_e32 v1, 28, v0
	v_sub_nc_u32_e32 v0, 29, v0
	v_lshlrev_b64 v[1:2], v1, v[18:19]
	v_and_b32_e32 v33, 7, v1
; %bb.456:                              ;   in Loop: Header=BB382_16 Depth=1
	s_or_b32 exec_lo, exec_lo, s28
	v_mov_b32_e32 v1, 24
	v_lshlrev_b32_e32 v2, 20, v33
	v_lshl_add_u32 v0, v0, 23, 0x3c000000
	v_lshlrev_b32_sdwa v1, v1, v32 dst_sel:DWORD dst_unused:UNUSED_PAD src0_sel:DWORD src1_sel:WORD_1
	v_and_b32_e32 v1, 0x80000000, v1
	v_or3_b32 v0, v2, v1, v0
.LBB382_457:                            ;   in Loop: Header=BB382_16 Depth=1
	s_or_b32 exec_lo, exec_lo, s27
.LBB382_458:                            ;   in Loop: Header=BB382_16 Depth=1
	s_or_b32 exec_lo, exec_lo, s26
	buffer_store_dword v0, off, s[0:3], s32 offset:508 ; 4-byte Folded Spill
.LBB382_459:                            ;   in Loop: Header=BB382_16 Depth=1
	s_or_b32 exec_lo, exec_lo, s25
	s_mov_b32 s25, exec_lo
	v_cmpx_lt_u64_e64 s[20:21], v[31:32]
	s_cbranch_execz .LBB382_467
; %bb.460:                              ;   in Loop: Header=BB382_16 Depth=1
	v_cmp_ne_u32_sdwa s5, v32, v5 src0_sel:BYTE_3 src1_sel:DWORD
	v_bfrev_b32_e32 v0, 1
	buffer_store_dword v0, off, s[0:3], s32 offset:380 ; 4-byte Folded Spill
	s_and_saveexec_b32 s26, s5
	s_cbranch_execz .LBB382_466
; %bb.461:                              ;   in Loop: Header=BB382_16 Depth=1
	v_bfe_u32 v1, v32, 24, 7
	v_mov_b32_e32 v0, 0x7f800001
	s_mov_b32 s27, exec_lo
	buffer_store_dword v0, off, s[0:3], s32 offset:380 ; 4-byte Folded Spill
	v_cmpx_ne_u32_e32 0x7f, v1
	s_cbranch_execz .LBB382_465
; %bb.462:                              ;   in Loop: Header=BB382_16 Depth=1
	v_mov_b32_e32 v0, 7
	s_mov_b32 s28, exec_lo
	v_and_b32_sdwa v18, v32, v0 dst_sel:DWORD dst_unused:UNUSED_PAD src0_sel:BYTE_3 src1_sel:DWORD
	v_mov_b32_e32 v34, v19
	v_lshrrev_b32_e32 v0, 3, v1
	v_mov_b32_e32 v33, v18
	v_cmpx_gt_u32_e32 8, v1
; %bb.463:                              ;   in Loop: Header=BB382_16 Depth=1
	v_ffbh_u32_e32 v0, v18
	v_min_u32_e32 v0, 32, v0
	v_subrev_nc_u32_e32 v1, 28, v0
	v_sub_nc_u32_e32 v0, 29, v0
	v_lshlrev_b64 v[1:2], v1, v[18:19]
	v_and_b32_e32 v33, 7, v1
; %bb.464:                              ;   in Loop: Header=BB382_16 Depth=1
	s_or_b32 exec_lo, exec_lo, s28
	v_mov_b32_e32 v1, 24
	v_lshlrev_b32_e32 v2, 20, v33
	v_lshl_add_u32 v0, v0, 23, 0x3c000000
	v_lshlrev_b32_sdwa v1, v1, v32 dst_sel:DWORD dst_unused:UNUSED_PAD src0_sel:DWORD src1_sel:BYTE_3
	v_and_b32_e32 v1, 0x80000000, v1
	v_or3_b32 v0, v2, v1, v0
	buffer_store_dword v0, off, s[0:3], s32 offset:380 ; 4-byte Folded Spill
.LBB382_465:                            ;   in Loop: Header=BB382_16 Depth=1
	s_or_b32 exec_lo, exec_lo, s27
.LBB382_466:                            ;   in Loop: Header=BB382_16 Depth=1
	s_or_b32 exec_lo, exec_lo, s26
.LBB382_467:                            ;   in Loop: Header=BB382_16 Depth=1
	s_or_b32 exec_lo, exec_lo, s25
	flat_load_dwordx2 v[31:32], v[28:29] offset:1544
	v_mov_b32_e32 v0, 0
	buffer_store_dword v0, off, s[0:3], s32 offset:388 ; 4-byte Folded Spill
	v_mov_b32_e32 v0, 0
	buffer_store_dword v0, off, s[0:3], s32 offset:384 ; 4-byte Folded Spill
	s_waitcnt vmcnt(0) lgkmcnt(0)
	v_cmp_ne_u16_sdwa s5, v31, v19 src0_sel:BYTE_0 src1_sel:DWORD
	s_and_saveexec_b32 s25, s5
	s_cbranch_execz .LBB382_475
; %bb.468:                              ;   in Loop: Header=BB382_16 Depth=1
	v_cmp_ne_u16_sdwa s5, v31, v5 src0_sel:BYTE_0 src1_sel:DWORD
	v_bfrev_b32_e32 v0, 1
	buffer_store_dword v0, off, s[0:3], s32 offset:384 ; 4-byte Folded Spill
	s_and_saveexec_b32 s26, s5
	s_cbranch_execz .LBB382_474
; %bb.469:                              ;   in Loop: Header=BB382_16 Depth=1
	v_and_b32_e32 v1, 0x7f, v31
	v_mov_b32_e32 v0, 0x7f800001
	s_mov_b32 s27, exec_lo
	buffer_store_dword v0, off, s[0:3], s32 offset:384 ; 4-byte Folded Spill
	v_cmpx_ne_u32_e32 0x7f, v1
	s_cbranch_execz .LBB382_473
; %bb.470:                              ;   in Loop: Header=BB382_16 Depth=1
	v_mov_b32_e32 v34, v32
	v_lshrrev_b32_e32 v0, 3, v1
	v_mov_b32_e32 v33, v31
	s_mov_b32 s28, exec_lo
	v_cmpx_gt_u32_e32 8, v1
; %bb.471:                              ;   in Loop: Header=BB382_16 Depth=1
	v_and_b32_e32 v0, 7, v31
	v_ffbh_u32_e32 v0, v0
	v_min_u32_e32 v0, 32, v0
	v_subrev_nc_u32_e32 v1, 28, v0
	v_sub_nc_u32_e32 v0, 29, v0
	v_lshlrev_b64 v[33:34], v1, v[31:32]
; %bb.472:                              ;   in Loop: Header=BB382_16 Depth=1
	s_or_b32 exec_lo, exec_lo, s28
	v_lshlrev_b32_e32 v1, 20, v33
	v_lshlrev_b32_e32 v2, 24, v31
	v_lshl_add_u32 v0, v0, 23, 0x3c000000
	v_and_b32_e32 v1, 0x700000, v1
	v_and_b32_e32 v2, 0x80000000, v2
	v_or3_b32 v0, v1, v2, v0
	buffer_store_dword v0, off, s[0:3], s32 offset:384 ; 4-byte Folded Spill
.LBB382_473:                            ;   in Loop: Header=BB382_16 Depth=1
	s_or_b32 exec_lo, exec_lo, s27
.LBB382_474:                            ;   in Loop: Header=BB382_16 Depth=1
	s_or_b32 exec_lo, exec_lo, s26
.LBB382_475:                            ;   in Loop: Header=BB382_16 Depth=1
	s_or_b32 exec_lo, exec_lo, s25
	v_cmp_ne_u16_sdwa s5, v31, v19 src0_sel:BYTE_1 src1_sel:DWORD
	s_and_saveexec_b32 s25, s5
	s_cbranch_execz .LBB382_483
; %bb.476:                              ;   in Loop: Header=BB382_16 Depth=1
	v_cmp_ne_u16_sdwa s5, v31, v5 src0_sel:BYTE_1 src1_sel:DWORD
	v_bfrev_b32_e32 v0, 1
	buffer_store_dword v0, off, s[0:3], s32 offset:388 ; 4-byte Folded Spill
	s_and_saveexec_b32 s26, s5
	s_cbranch_execz .LBB382_482
; %bb.477:                              ;   in Loop: Header=BB382_16 Depth=1
	v_mov_b32_e32 v0, 0xffff
	v_mov_b32_e32 v2, 0x7f800001
	s_mov_b32 s27, exec_lo
	v_and_b32_sdwa v0, v0, v31 dst_sel:DWORD dst_unused:UNUSED_PAD src0_sel:DWORD src1_sel:BYTE_1
	buffer_store_dword v2, off, s[0:3], s32 offset:388 ; 4-byte Folded Spill
	v_and_b32_e32 v1, 0x7f, v0
	v_cmpx_ne_u32_e32 0x7f, v1
	s_cbranch_execz .LBB382_481
; %bb.478:                              ;   in Loop: Header=BB382_16 Depth=1
	v_and_b32_e32 v18, 7, v0
	v_mov_b32_e32 v34, v19
	v_lshrrev_b32_e32 v0, 3, v1
	s_mov_b32 s28, exec_lo
	v_mov_b32_e32 v33, v18
	v_cmpx_gt_u32_e32 8, v1
; %bb.479:                              ;   in Loop: Header=BB382_16 Depth=1
	v_ffbh_u32_e32 v0, v18
	v_min_u32_e32 v0, 32, v0
	v_subrev_nc_u32_e32 v1, 28, v0
	v_sub_nc_u32_e32 v0, 29, v0
	v_lshlrev_b64 v[1:2], v1, v[18:19]
	v_and_b32_e32 v33, 7, v1
; %bb.480:                              ;   in Loop: Header=BB382_16 Depth=1
	s_or_b32 exec_lo, exec_lo, s28
	v_lshlrev_b32_e32 v1, 16, v31
	v_lshlrev_b32_e32 v2, 20, v33
	v_lshl_add_u32 v0, v0, 23, 0x3c000000
	v_and_b32_e32 v1, 0x80000000, v1
	v_or3_b32 v0, v2, v1, v0
	buffer_store_dword v0, off, s[0:3], s32 offset:388 ; 4-byte Folded Spill
.LBB382_481:                            ;   in Loop: Header=BB382_16 Depth=1
	s_or_b32 exec_lo, exec_lo, s27
.LBB382_482:                            ;   in Loop: Header=BB382_16 Depth=1
	s_or_b32 exec_lo, exec_lo, s26
.LBB382_483:                            ;   in Loop: Header=BB382_16 Depth=1
	s_or_b32 exec_lo, exec_lo, s25
	v_mov_b32_e32 v0, 0xff
	v_mov_b32_e32 v1, 0
	s_mov_b32 s25, exec_lo
	v_and_b32_sdwa v0, v31, v0 dst_sel:DWORD dst_unused:UNUSED_PAD src0_sel:WORD_1 src1_sel:DWORD
	buffer_store_dword v1, off, s[0:3], s32 offset:392 ; 4-byte Folded Spill
	v_mov_b32_e32 v1, 0
	buffer_store_dword v1, off, s[0:3], s32 offset:512 ; 4-byte Folded Spill
	v_cmpx_ne_u16_e32 0, v0
	s_cbranch_execz .LBB382_491
; %bb.484:                              ;   in Loop: Header=BB382_16 Depth=1
	v_cmp_ne_u16_e64 s5, 0x80, v0
	v_bfrev_b32_e32 v0, 1
	s_and_saveexec_b32 s26, s5
	s_cbranch_execz .LBB382_490
; %bb.485:                              ;   in Loop: Header=BB382_16 Depth=1
	v_bfe_u32 v1, v31, 16, 7
	v_mov_b32_e32 v0, 0x7f800001
	s_mov_b32 s27, exec_lo
	v_cmpx_ne_u32_e32 0x7f, v1
	s_cbranch_execz .LBB382_489
; %bb.486:                              ;   in Loop: Header=BB382_16 Depth=1
	v_mov_b32_e32 v0, 7
	s_mov_b32 s28, exec_lo
	v_and_b32_sdwa v18, v31, v0 dst_sel:DWORD dst_unused:UNUSED_PAD src0_sel:WORD_1 src1_sel:DWORD
	v_mov_b32_e32 v34, v19
	v_lshrrev_b32_e32 v0, 3, v1
	v_mov_b32_e32 v33, v18
	v_cmpx_gt_u32_e32 8, v1
; %bb.487:                              ;   in Loop: Header=BB382_16 Depth=1
	v_ffbh_u32_e32 v0, v18
	v_min_u32_e32 v0, 32, v0
	v_subrev_nc_u32_e32 v1, 28, v0
	v_sub_nc_u32_e32 v0, 29, v0
	v_lshlrev_b64 v[1:2], v1, v[18:19]
	v_and_b32_e32 v33, 7, v1
; %bb.488:                              ;   in Loop: Header=BB382_16 Depth=1
	s_or_b32 exec_lo, exec_lo, s28
	v_mov_b32_e32 v1, 24
	v_lshlrev_b32_e32 v2, 20, v33
	v_lshl_add_u32 v0, v0, 23, 0x3c000000
	v_lshlrev_b32_sdwa v1, v1, v31 dst_sel:DWORD dst_unused:UNUSED_PAD src0_sel:DWORD src1_sel:WORD_1
	v_and_b32_e32 v1, 0x80000000, v1
	v_or3_b32 v0, v2, v1, v0
.LBB382_489:                            ;   in Loop: Header=BB382_16 Depth=1
	s_or_b32 exec_lo, exec_lo, s27
.LBB382_490:                            ;   in Loop: Header=BB382_16 Depth=1
	s_or_b32 exec_lo, exec_lo, s26
	buffer_store_dword v0, off, s[0:3], s32 offset:512 ; 4-byte Folded Spill
.LBB382_491:                            ;   in Loop: Header=BB382_16 Depth=1
	s_or_b32 exec_lo, exec_lo, s25
	s_mov_b32 s25, exec_lo
	v_cmpx_lt_u32_e32 0xffffff, v31
	s_cbranch_execz .LBB382_499
; %bb.492:                              ;   in Loop: Header=BB382_16 Depth=1
	v_cmp_ne_u32_sdwa s5, v31, v5 src0_sel:BYTE_3 src1_sel:DWORD
	v_bfrev_b32_e32 v0, 1
	buffer_store_dword v0, off, s[0:3], s32 offset:392 ; 4-byte Folded Spill
	s_and_saveexec_b32 s26, s5
	s_cbranch_execz .LBB382_498
; %bb.493:                              ;   in Loop: Header=BB382_16 Depth=1
	v_bfe_u32 v1, v31, 24, 7
	v_mov_b32_e32 v0, 0x7f800001
	s_mov_b32 s27, exec_lo
	buffer_store_dword v0, off, s[0:3], s32 offset:392 ; 4-byte Folded Spill
	v_cmpx_ne_u32_e32 0x7f, v1
	s_cbranch_execz .LBB382_497
; %bb.494:                              ;   in Loop: Header=BB382_16 Depth=1
	v_mov_b32_e32 v0, 7
	s_mov_b32 s28, exec_lo
	v_and_b32_sdwa v18, v31, v0 dst_sel:DWORD dst_unused:UNUSED_PAD src0_sel:BYTE_3 src1_sel:DWORD
	v_mov_b32_e32 v34, v19
	v_lshrrev_b32_e32 v0, 3, v1
	v_mov_b32_e32 v33, v18
	v_cmpx_gt_u32_e32 8, v1
; %bb.495:                              ;   in Loop: Header=BB382_16 Depth=1
	v_ffbh_u32_e32 v0, v18
	v_min_u32_e32 v0, 32, v0
	v_subrev_nc_u32_e32 v1, 28, v0
	v_sub_nc_u32_e32 v0, 29, v0
	v_lshlrev_b64 v[1:2], v1, v[18:19]
	v_and_b32_e32 v33, 7, v1
; %bb.496:                              ;   in Loop: Header=BB382_16 Depth=1
	s_or_b32 exec_lo, exec_lo, s28
	v_mov_b32_e32 v1, 24
	v_lshlrev_b32_e32 v2, 20, v33
	v_lshl_add_u32 v0, v0, 23, 0x3c000000
	v_lshlrev_b32_sdwa v1, v1, v31 dst_sel:DWORD dst_unused:UNUSED_PAD src0_sel:DWORD src1_sel:BYTE_3
	v_and_b32_e32 v1, 0x80000000, v1
	v_or3_b32 v0, v2, v1, v0
	buffer_store_dword v0, off, s[0:3], s32 offset:392 ; 4-byte Folded Spill
.LBB382_497:                            ;   in Loop: Header=BB382_16 Depth=1
	s_or_b32 exec_lo, exec_lo, s27
.LBB382_498:                            ;   in Loop: Header=BB382_16 Depth=1
	s_or_b32 exec_lo, exec_lo, s26
.LBB382_499:                            ;   in Loop: Header=BB382_16 Depth=1
	s_or_b32 exec_lo, exec_lo, s25
	v_mov_b32_e32 v0, 0
	v_mov_b32_e32 v18, v32
	v_cmp_ne_u16_sdwa s5, v32, v19 src0_sel:BYTE_0 src1_sel:DWORD
	buffer_store_dword v0, off, s[0:3], s32 offset:400 ; 4-byte Folded Spill
	v_mov_b32_e32 v0, 0
	buffer_store_dword v0, off, s[0:3], s32 offset:396 ; 4-byte Folded Spill
	s_and_saveexec_b32 s25, s5
	s_cbranch_execz .LBB382_507
; %bb.500:                              ;   in Loop: Header=BB382_16 Depth=1
	v_cmp_ne_u16_sdwa s5, v32, v5 src0_sel:BYTE_0 src1_sel:DWORD
	v_bfrev_b32_e32 v0, 1
	buffer_store_dword v0, off, s[0:3], s32 offset:396 ; 4-byte Folded Spill
	s_and_saveexec_b32 s26, s5
	s_cbranch_execz .LBB382_506
; %bb.501:                              ;   in Loop: Header=BB382_16 Depth=1
	v_and_b32_e32 v1, 0x7f, v32
	v_mov_b32_e32 v0, 0x7f800001
	s_mov_b32 s27, exec_lo
	buffer_store_dword v0, off, s[0:3], s32 offset:396 ; 4-byte Folded Spill
	v_cmpx_ne_u32_e32 0x7f, v1
	s_cbranch_execz .LBB382_505
; %bb.502:                              ;   in Loop: Header=BB382_16 Depth=1
	v_mov_b32_e32 v34, v19
	v_lshrrev_b32_e32 v0, 3, v1
	v_mov_b32_e32 v33, v18
	s_mov_b32 s28, exec_lo
	v_cmpx_gt_u32_e32 8, v1
; %bb.503:                              ;   in Loop: Header=BB382_16 Depth=1
	v_and_b32_e32 v0, 7, v32
	v_ffbh_u32_e32 v0, v0
	v_min_u32_e32 v0, 32, v0
	v_subrev_nc_u32_e32 v1, 28, v0
	v_sub_nc_u32_e32 v0, 29, v0
	v_lshlrev_b64 v[33:34], v1, v[18:19]
; %bb.504:                              ;   in Loop: Header=BB382_16 Depth=1
	s_or_b32 exec_lo, exec_lo, s28
	v_lshlrev_b32_e32 v1, 20, v33
	v_lshlrev_b32_e32 v2, 24, v18
	v_lshl_add_u32 v0, v0, 23, 0x3c000000
	v_and_b32_e32 v1, 0x700000, v1
	v_and_b32_e32 v2, 0x80000000, v2
	v_or3_b32 v0, v1, v2, v0
	buffer_store_dword v0, off, s[0:3], s32 offset:396 ; 4-byte Folded Spill
.LBB382_505:                            ;   in Loop: Header=BB382_16 Depth=1
	s_or_b32 exec_lo, exec_lo, s27
.LBB382_506:                            ;   in Loop: Header=BB382_16 Depth=1
	s_or_b32 exec_lo, exec_lo, s26
.LBB382_507:                            ;   in Loop: Header=BB382_16 Depth=1
	s_or_b32 exec_lo, exec_lo, s25
	v_cmp_ne_u16_sdwa s5, v18, v19 src0_sel:BYTE_1 src1_sel:DWORD
	s_and_saveexec_b32 s25, s5
	s_cbranch_execz .LBB382_515
; %bb.508:                              ;   in Loop: Header=BB382_16 Depth=1
	v_cmp_ne_u16_sdwa s5, v18, v5 src0_sel:BYTE_1 src1_sel:DWORD
	v_bfrev_b32_e32 v0, 1
	buffer_store_dword v0, off, s[0:3], s32 offset:400 ; 4-byte Folded Spill
	s_and_saveexec_b32 s26, s5
	s_cbranch_execz .LBB382_514
; %bb.509:                              ;   in Loop: Header=BB382_16 Depth=1
	v_mov_b32_e32 v0, 0xffff
	v_mov_b32_e32 v2, 0x7f800001
	s_mov_b32 s27, exec_lo
	v_and_b32_sdwa v0, v0, v18 dst_sel:DWORD dst_unused:UNUSED_PAD src0_sel:DWORD src1_sel:BYTE_1
	buffer_store_dword v2, off, s[0:3], s32 offset:400 ; 4-byte Folded Spill
	v_and_b32_e32 v1, 0x7f, v0
	v_cmpx_ne_u32_e32 0x7f, v1
	s_cbranch_execz .LBB382_513
; %bb.510:                              ;   in Loop: Header=BB382_16 Depth=1
	v_and_b32_e32 v33, 7, v0
	v_mov_b32_e32 v34, v19
	v_lshrrev_b32_e32 v0, 3, v1
	s_mov_b32 s28, exec_lo
	v_cmpx_gt_u32_e32 8, v1
; %bb.511:                              ;   in Loop: Header=BB382_16 Depth=1
	v_ffbh_u32_e32 v0, v33
	v_min_u32_e32 v0, 32, v0
	v_subrev_nc_u32_e32 v1, 28, v0
	v_sub_nc_u32_e32 v0, 29, v0
	v_lshlrev_b64 v[1:2], v1, v[33:34]
	v_and_b32_e32 v33, 7, v1
; %bb.512:                              ;   in Loop: Header=BB382_16 Depth=1
	s_or_b32 exec_lo, exec_lo, s28
	v_lshlrev_b32_e32 v1, 16, v18
	v_lshlrev_b32_e32 v2, 20, v33
	v_lshl_add_u32 v0, v0, 23, 0x3c000000
	v_and_b32_e32 v1, 0x80000000, v1
	v_or3_b32 v0, v2, v1, v0
	buffer_store_dword v0, off, s[0:3], s32 offset:400 ; 4-byte Folded Spill
.LBB382_513:                            ;   in Loop: Header=BB382_16 Depth=1
	s_or_b32 exec_lo, exec_lo, s27
.LBB382_514:                            ;   in Loop: Header=BB382_16 Depth=1
	s_or_b32 exec_lo, exec_lo, s26
.LBB382_515:                            ;   in Loop: Header=BB382_16 Depth=1
	s_or_b32 exec_lo, exec_lo, s25
	v_mov_b32_e32 v0, 0xff
	v_mov_b32_e32 v1, 0
	s_mov_b32 s25, exec_lo
	v_and_b32_sdwa v0, v32, v0 dst_sel:DWORD dst_unused:UNUSED_PAD src0_sel:WORD_1 src1_sel:DWORD
	buffer_store_dword v1, off, s[0:3], s32 offset:404 ; 4-byte Folded Spill
	v_mov_b32_e32 v1, 0
	buffer_store_dword v1, off, s[0:3], s32 offset:516 ; 4-byte Folded Spill
	v_cmpx_ne_u16_e32 0, v0
	s_cbranch_execz .LBB382_523
; %bb.516:                              ;   in Loop: Header=BB382_16 Depth=1
	v_cmp_ne_u16_e64 s5, 0x80, v0
	v_bfrev_b32_e32 v0, 1
	s_and_saveexec_b32 s26, s5
	s_cbranch_execz .LBB382_522
; %bb.517:                              ;   in Loop: Header=BB382_16 Depth=1
	v_bfe_u32 v1, v32, 16, 7
	v_mov_b32_e32 v0, 0x7f800001
	s_mov_b32 s27, exec_lo
	v_cmpx_ne_u32_e32 0x7f, v1
	s_cbranch_execz .LBB382_521
; %bb.518:                              ;   in Loop: Header=BB382_16 Depth=1
	v_mov_b32_e32 v0, 7
	s_mov_b32 s28, exec_lo
	v_and_b32_sdwa v18, v32, v0 dst_sel:DWORD dst_unused:UNUSED_PAD src0_sel:WORD_1 src1_sel:DWORD
	v_mov_b32_e32 v34, v19
	v_lshrrev_b32_e32 v0, 3, v1
	v_mov_b32_e32 v33, v18
	v_cmpx_gt_u32_e32 8, v1
; %bb.519:                              ;   in Loop: Header=BB382_16 Depth=1
	v_ffbh_u32_e32 v0, v18
	v_min_u32_e32 v0, 32, v0
	v_subrev_nc_u32_e32 v1, 28, v0
	v_sub_nc_u32_e32 v0, 29, v0
	v_lshlrev_b64 v[1:2], v1, v[18:19]
	v_and_b32_e32 v33, 7, v1
; %bb.520:                              ;   in Loop: Header=BB382_16 Depth=1
	s_or_b32 exec_lo, exec_lo, s28
	v_mov_b32_e32 v1, 24
	v_lshlrev_b32_e32 v2, 20, v33
	v_lshl_add_u32 v0, v0, 23, 0x3c000000
	v_lshlrev_b32_sdwa v1, v1, v32 dst_sel:DWORD dst_unused:UNUSED_PAD src0_sel:DWORD src1_sel:WORD_1
	v_and_b32_e32 v1, 0x80000000, v1
	v_or3_b32 v0, v2, v1, v0
.LBB382_521:                            ;   in Loop: Header=BB382_16 Depth=1
	s_or_b32 exec_lo, exec_lo, s27
.LBB382_522:                            ;   in Loop: Header=BB382_16 Depth=1
	s_or_b32 exec_lo, exec_lo, s26
	buffer_store_dword v0, off, s[0:3], s32 offset:516 ; 4-byte Folded Spill
.LBB382_523:                            ;   in Loop: Header=BB382_16 Depth=1
	s_or_b32 exec_lo, exec_lo, s25
	s_mov_b32 s25, exec_lo
	v_cmpx_lt_u64_e64 s[20:21], v[31:32]
	s_cbranch_execz .LBB382_531
; %bb.524:                              ;   in Loop: Header=BB382_16 Depth=1
	v_cmp_ne_u32_sdwa s5, v32, v5 src0_sel:BYTE_3 src1_sel:DWORD
	v_bfrev_b32_e32 v0, 1
	buffer_store_dword v0, off, s[0:3], s32 offset:404 ; 4-byte Folded Spill
	s_and_saveexec_b32 s26, s5
	s_cbranch_execz .LBB382_530
; %bb.525:                              ;   in Loop: Header=BB382_16 Depth=1
	v_bfe_u32 v1, v32, 24, 7
	v_mov_b32_e32 v0, 0x7f800001
	s_mov_b32 s27, exec_lo
	buffer_store_dword v0, off, s[0:3], s32 offset:404 ; 4-byte Folded Spill
	v_cmpx_ne_u32_e32 0x7f, v1
	s_cbranch_execz .LBB382_529
; %bb.526:                              ;   in Loop: Header=BB382_16 Depth=1
	v_mov_b32_e32 v0, 7
	s_mov_b32 s28, exec_lo
	v_and_b32_sdwa v18, v32, v0 dst_sel:DWORD dst_unused:UNUSED_PAD src0_sel:BYTE_3 src1_sel:DWORD
	v_mov_b32_e32 v34, v19
	v_lshrrev_b32_e32 v0, 3, v1
	v_mov_b32_e32 v33, v18
	v_cmpx_gt_u32_e32 8, v1
; %bb.527:                              ;   in Loop: Header=BB382_16 Depth=1
	v_ffbh_u32_e32 v0, v18
	v_min_u32_e32 v0, 32, v0
	v_subrev_nc_u32_e32 v1, 28, v0
	v_sub_nc_u32_e32 v0, 29, v0
	v_lshlrev_b64 v[1:2], v1, v[18:19]
	v_and_b32_e32 v33, 7, v1
; %bb.528:                              ;   in Loop: Header=BB382_16 Depth=1
	s_or_b32 exec_lo, exec_lo, s28
	v_mov_b32_e32 v1, 24
	v_lshlrev_b32_e32 v2, 20, v33
	v_lshl_add_u32 v0, v0, 23, 0x3c000000
	v_lshlrev_b32_sdwa v1, v1, v32 dst_sel:DWORD dst_unused:UNUSED_PAD src0_sel:DWORD src1_sel:BYTE_3
	v_and_b32_e32 v1, 0x80000000, v1
	v_or3_b32 v0, v2, v1, v0
	buffer_store_dword v0, off, s[0:3], s32 offset:404 ; 4-byte Folded Spill
.LBB382_529:                            ;   in Loop: Header=BB382_16 Depth=1
	s_or_b32 exec_lo, exec_lo, s27
.LBB382_530:                            ;   in Loop: Header=BB382_16 Depth=1
	s_or_b32 exec_lo, exec_lo, s26
.LBB382_531:                            ;   in Loop: Header=BB382_16 Depth=1
	s_or_b32 exec_lo, exec_lo, s25
	v_add_co_u32 v31, s5, 0x800, v28
	v_add_co_ci_u32_e64 v32, null, 0, v29, s5
	v_mov_b32_e32 v0, 0
	flat_load_dwordx2 v[33:34], v[31:32]
	buffer_store_dword v0, off, s[0:3], s32 offset:412 ; 4-byte Folded Spill
	v_mov_b32_e32 v0, 0
	buffer_store_dword v0, off, s[0:3], s32 offset:408 ; 4-byte Folded Spill
	s_waitcnt vmcnt(0) lgkmcnt(0)
	v_cmp_ne_u16_sdwa s5, v33, v19 src0_sel:BYTE_0 src1_sel:DWORD
	s_and_saveexec_b32 s25, s5
	s_cbranch_execz .LBB382_539
; %bb.532:                              ;   in Loop: Header=BB382_16 Depth=1
	v_cmp_ne_u16_sdwa s5, v33, v5 src0_sel:BYTE_0 src1_sel:DWORD
	v_bfrev_b32_e32 v0, 1
	buffer_store_dword v0, off, s[0:3], s32 offset:408 ; 4-byte Folded Spill
	s_and_saveexec_b32 s26, s5
	s_cbranch_execz .LBB382_538
; %bb.533:                              ;   in Loop: Header=BB382_16 Depth=1
	v_and_b32_e32 v1, 0x7f, v33
	v_mov_b32_e32 v0, 0x7f800001
	s_mov_b32 s27, exec_lo
	buffer_store_dword v0, off, s[0:3], s32 offset:408 ; 4-byte Folded Spill
	v_cmpx_ne_u32_e32 0x7f, v1
	s_cbranch_execz .LBB382_537
; %bb.534:                              ;   in Loop: Header=BB382_16 Depth=1
	v_mov_b32_e32 v36, v34
	v_lshrrev_b32_e32 v0, 3, v1
	v_mov_b32_e32 v35, v33
	s_mov_b32 s28, exec_lo
	v_cmpx_gt_u32_e32 8, v1
; %bb.535:                              ;   in Loop: Header=BB382_16 Depth=1
	v_and_b32_e32 v0, 7, v33
	v_ffbh_u32_e32 v0, v0
	v_min_u32_e32 v0, 32, v0
	v_subrev_nc_u32_e32 v1, 28, v0
	v_sub_nc_u32_e32 v0, 29, v0
	v_lshlrev_b64 v[35:36], v1, v[33:34]
; %bb.536:                              ;   in Loop: Header=BB382_16 Depth=1
	s_or_b32 exec_lo, exec_lo, s28
	v_lshlrev_b32_e32 v1, 20, v35
	v_lshlrev_b32_e32 v2, 24, v33
	v_lshl_add_u32 v0, v0, 23, 0x3c000000
	v_and_b32_e32 v1, 0x700000, v1
	v_and_b32_e32 v2, 0x80000000, v2
	v_or3_b32 v0, v1, v2, v0
	buffer_store_dword v0, off, s[0:3], s32 offset:408 ; 4-byte Folded Spill
.LBB382_537:                            ;   in Loop: Header=BB382_16 Depth=1
	s_or_b32 exec_lo, exec_lo, s27
.LBB382_538:                            ;   in Loop: Header=BB382_16 Depth=1
	s_or_b32 exec_lo, exec_lo, s26
.LBB382_539:                            ;   in Loop: Header=BB382_16 Depth=1
	s_or_b32 exec_lo, exec_lo, s25
	v_cmp_ne_u16_sdwa s5, v33, v19 src0_sel:BYTE_1 src1_sel:DWORD
	s_and_saveexec_b32 s25, s5
	s_cbranch_execz .LBB382_547
; %bb.540:                              ;   in Loop: Header=BB382_16 Depth=1
	v_cmp_ne_u16_sdwa s5, v33, v5 src0_sel:BYTE_1 src1_sel:DWORD
	v_bfrev_b32_e32 v0, 1
	buffer_store_dword v0, off, s[0:3], s32 offset:412 ; 4-byte Folded Spill
	s_and_saveexec_b32 s26, s5
	s_cbranch_execz .LBB382_546
; %bb.541:                              ;   in Loop: Header=BB382_16 Depth=1
	v_mov_b32_e32 v0, 0xffff
	v_mov_b32_e32 v2, 0x7f800001
	s_mov_b32 s27, exec_lo
	v_and_b32_sdwa v0, v0, v33 dst_sel:DWORD dst_unused:UNUSED_PAD src0_sel:DWORD src1_sel:BYTE_1
	buffer_store_dword v2, off, s[0:3], s32 offset:412 ; 4-byte Folded Spill
	v_and_b32_e32 v1, 0x7f, v0
	v_cmpx_ne_u32_e32 0x7f, v1
	s_cbranch_execz .LBB382_545
; %bb.542:                              ;   in Loop: Header=BB382_16 Depth=1
	v_and_b32_e32 v18, 7, v0
	v_mov_b32_e32 v36, v19
	v_lshrrev_b32_e32 v0, 3, v1
	s_mov_b32 s28, exec_lo
	v_mov_b32_e32 v35, v18
	v_cmpx_gt_u32_e32 8, v1
; %bb.543:                              ;   in Loop: Header=BB382_16 Depth=1
	v_ffbh_u32_e32 v0, v18
	v_min_u32_e32 v0, 32, v0
	v_subrev_nc_u32_e32 v1, 28, v0
	v_sub_nc_u32_e32 v0, 29, v0
	v_lshlrev_b64 v[1:2], v1, v[18:19]
	v_and_b32_e32 v35, 7, v1
; %bb.544:                              ;   in Loop: Header=BB382_16 Depth=1
	s_or_b32 exec_lo, exec_lo, s28
	v_lshlrev_b32_e32 v1, 16, v33
	v_lshlrev_b32_e32 v2, 20, v35
	v_lshl_add_u32 v0, v0, 23, 0x3c000000
	v_and_b32_e32 v1, 0x80000000, v1
	v_or3_b32 v0, v2, v1, v0
	buffer_store_dword v0, off, s[0:3], s32 offset:412 ; 4-byte Folded Spill
.LBB382_545:                            ;   in Loop: Header=BB382_16 Depth=1
	s_or_b32 exec_lo, exec_lo, s27
.LBB382_546:                            ;   in Loop: Header=BB382_16 Depth=1
	s_or_b32 exec_lo, exec_lo, s26
.LBB382_547:                            ;   in Loop: Header=BB382_16 Depth=1
	s_or_b32 exec_lo, exec_lo, s25
	v_mov_b32_e32 v0, 0xff
	v_mov_b32_e32 v1, 0
	s_mov_b32 s25, exec_lo
	v_and_b32_sdwa v0, v33, v0 dst_sel:DWORD dst_unused:UNUSED_PAD src0_sel:WORD_1 src1_sel:DWORD
	buffer_store_dword v1, off, s[0:3], s32 offset:416 ; 4-byte Folded Spill
	v_mov_b32_e32 v1, 0
	buffer_store_dword v1, off, s[0:3], s32 offset:520 ; 4-byte Folded Spill
	v_cmpx_ne_u16_e32 0, v0
	s_cbranch_execz .LBB382_555
; %bb.548:                              ;   in Loop: Header=BB382_16 Depth=1
	v_cmp_ne_u16_e64 s5, 0x80, v0
	v_bfrev_b32_e32 v0, 1
	s_and_saveexec_b32 s26, s5
	s_cbranch_execz .LBB382_554
; %bb.549:                              ;   in Loop: Header=BB382_16 Depth=1
	v_bfe_u32 v1, v33, 16, 7
	v_mov_b32_e32 v0, 0x7f800001
	s_mov_b32 s27, exec_lo
	v_cmpx_ne_u32_e32 0x7f, v1
	s_cbranch_execz .LBB382_553
; %bb.550:                              ;   in Loop: Header=BB382_16 Depth=1
	v_mov_b32_e32 v0, 7
	s_mov_b32 s28, exec_lo
	v_and_b32_sdwa v18, v33, v0 dst_sel:DWORD dst_unused:UNUSED_PAD src0_sel:WORD_1 src1_sel:DWORD
	v_mov_b32_e32 v36, v19
	v_lshrrev_b32_e32 v0, 3, v1
	v_mov_b32_e32 v35, v18
	v_cmpx_gt_u32_e32 8, v1
; %bb.551:                              ;   in Loop: Header=BB382_16 Depth=1
	v_ffbh_u32_e32 v0, v18
	v_min_u32_e32 v0, 32, v0
	v_subrev_nc_u32_e32 v1, 28, v0
	v_sub_nc_u32_e32 v0, 29, v0
	v_lshlrev_b64 v[1:2], v1, v[18:19]
	v_and_b32_e32 v35, 7, v1
; %bb.552:                              ;   in Loop: Header=BB382_16 Depth=1
	s_or_b32 exec_lo, exec_lo, s28
	v_mov_b32_e32 v1, 24
	v_lshlrev_b32_e32 v2, 20, v35
	v_lshl_add_u32 v0, v0, 23, 0x3c000000
	v_lshlrev_b32_sdwa v1, v1, v33 dst_sel:DWORD dst_unused:UNUSED_PAD src0_sel:DWORD src1_sel:WORD_1
	v_and_b32_e32 v1, 0x80000000, v1
	v_or3_b32 v0, v2, v1, v0
.LBB382_553:                            ;   in Loop: Header=BB382_16 Depth=1
	s_or_b32 exec_lo, exec_lo, s27
.LBB382_554:                            ;   in Loop: Header=BB382_16 Depth=1
	s_or_b32 exec_lo, exec_lo, s26
	buffer_store_dword v0, off, s[0:3], s32 offset:520 ; 4-byte Folded Spill
.LBB382_555:                            ;   in Loop: Header=BB382_16 Depth=1
	s_or_b32 exec_lo, exec_lo, s25
	s_mov_b32 s25, exec_lo
	v_cmpx_lt_u32_e32 0xffffff, v33
	s_cbranch_execz .LBB382_563
; %bb.556:                              ;   in Loop: Header=BB382_16 Depth=1
	v_cmp_ne_u32_sdwa s5, v33, v5 src0_sel:BYTE_3 src1_sel:DWORD
	v_bfrev_b32_e32 v0, 1
	buffer_store_dword v0, off, s[0:3], s32 offset:416 ; 4-byte Folded Spill
	s_and_saveexec_b32 s26, s5
	s_cbranch_execz .LBB382_562
; %bb.557:                              ;   in Loop: Header=BB382_16 Depth=1
	v_bfe_u32 v1, v33, 24, 7
	v_mov_b32_e32 v0, 0x7f800001
	s_mov_b32 s27, exec_lo
	buffer_store_dword v0, off, s[0:3], s32 offset:416 ; 4-byte Folded Spill
	v_cmpx_ne_u32_e32 0x7f, v1
	s_cbranch_execz .LBB382_561
; %bb.558:                              ;   in Loop: Header=BB382_16 Depth=1
	v_mov_b32_e32 v0, 7
	s_mov_b32 s28, exec_lo
	v_and_b32_sdwa v18, v33, v0 dst_sel:DWORD dst_unused:UNUSED_PAD src0_sel:BYTE_3 src1_sel:DWORD
	v_mov_b32_e32 v36, v19
	v_lshrrev_b32_e32 v0, 3, v1
	v_mov_b32_e32 v35, v18
	v_cmpx_gt_u32_e32 8, v1
; %bb.559:                              ;   in Loop: Header=BB382_16 Depth=1
	v_ffbh_u32_e32 v0, v18
	v_min_u32_e32 v0, 32, v0
	v_subrev_nc_u32_e32 v1, 28, v0
	v_sub_nc_u32_e32 v0, 29, v0
	v_lshlrev_b64 v[1:2], v1, v[18:19]
	v_and_b32_e32 v35, 7, v1
; %bb.560:                              ;   in Loop: Header=BB382_16 Depth=1
	s_or_b32 exec_lo, exec_lo, s28
	v_mov_b32_e32 v1, 24
	v_lshlrev_b32_e32 v2, 20, v35
	v_lshl_add_u32 v0, v0, 23, 0x3c000000
	v_lshlrev_b32_sdwa v1, v1, v33 dst_sel:DWORD dst_unused:UNUSED_PAD src0_sel:DWORD src1_sel:BYTE_3
	v_and_b32_e32 v1, 0x80000000, v1
	v_or3_b32 v0, v2, v1, v0
	buffer_store_dword v0, off, s[0:3], s32 offset:416 ; 4-byte Folded Spill
.LBB382_561:                            ;   in Loop: Header=BB382_16 Depth=1
	s_or_b32 exec_lo, exec_lo, s27
.LBB382_562:                            ;   in Loop: Header=BB382_16 Depth=1
	s_or_b32 exec_lo, exec_lo, s26
.LBB382_563:                            ;   in Loop: Header=BB382_16 Depth=1
	s_or_b32 exec_lo, exec_lo, s25
	v_mov_b32_e32 v0, 0
	v_mov_b32_e32 v18, v34
	v_cmp_ne_u16_sdwa s5, v34, v19 src0_sel:BYTE_0 src1_sel:DWORD
	buffer_store_dword v0, off, s[0:3], s32 offset:424 ; 4-byte Folded Spill
	v_mov_b32_e32 v0, 0
	buffer_store_dword v0, off, s[0:3], s32 offset:420 ; 4-byte Folded Spill
	s_and_saveexec_b32 s25, s5
	s_cbranch_execz .LBB382_571
; %bb.564:                              ;   in Loop: Header=BB382_16 Depth=1
	v_cmp_ne_u16_sdwa s5, v34, v5 src0_sel:BYTE_0 src1_sel:DWORD
	v_bfrev_b32_e32 v0, 1
	buffer_store_dword v0, off, s[0:3], s32 offset:420 ; 4-byte Folded Spill
	s_and_saveexec_b32 s26, s5
	s_cbranch_execz .LBB382_570
; %bb.565:                              ;   in Loop: Header=BB382_16 Depth=1
	v_and_b32_e32 v1, 0x7f, v34
	v_mov_b32_e32 v0, 0x7f800001
	s_mov_b32 s27, exec_lo
	buffer_store_dword v0, off, s[0:3], s32 offset:420 ; 4-byte Folded Spill
	v_cmpx_ne_u32_e32 0x7f, v1
	s_cbranch_execz .LBB382_569
; %bb.566:                              ;   in Loop: Header=BB382_16 Depth=1
	v_mov_b32_e32 v36, v19
	v_lshrrev_b32_e32 v0, 3, v1
	v_mov_b32_e32 v35, v18
	s_mov_b32 s28, exec_lo
	v_cmpx_gt_u32_e32 8, v1
; %bb.567:                              ;   in Loop: Header=BB382_16 Depth=1
	v_and_b32_e32 v0, 7, v34
	v_ffbh_u32_e32 v0, v0
	v_min_u32_e32 v0, 32, v0
	v_subrev_nc_u32_e32 v1, 28, v0
	v_sub_nc_u32_e32 v0, 29, v0
	v_lshlrev_b64 v[35:36], v1, v[18:19]
; %bb.568:                              ;   in Loop: Header=BB382_16 Depth=1
	s_or_b32 exec_lo, exec_lo, s28
	v_lshlrev_b32_e32 v1, 20, v35
	v_lshlrev_b32_e32 v2, 24, v18
	v_lshl_add_u32 v0, v0, 23, 0x3c000000
	v_and_b32_e32 v1, 0x700000, v1
	v_and_b32_e32 v2, 0x80000000, v2
	v_or3_b32 v0, v1, v2, v0
	buffer_store_dword v0, off, s[0:3], s32 offset:420 ; 4-byte Folded Spill
.LBB382_569:                            ;   in Loop: Header=BB382_16 Depth=1
	s_or_b32 exec_lo, exec_lo, s27
.LBB382_570:                            ;   in Loop: Header=BB382_16 Depth=1
	s_or_b32 exec_lo, exec_lo, s26
.LBB382_571:                            ;   in Loop: Header=BB382_16 Depth=1
	s_or_b32 exec_lo, exec_lo, s25
	v_cmp_ne_u16_sdwa s5, v18, v19 src0_sel:BYTE_1 src1_sel:DWORD
	s_and_saveexec_b32 s25, s5
	s_cbranch_execz .LBB382_579
; %bb.572:                              ;   in Loop: Header=BB382_16 Depth=1
	v_cmp_ne_u16_sdwa s5, v18, v5 src0_sel:BYTE_1 src1_sel:DWORD
	v_bfrev_b32_e32 v0, 1
	buffer_store_dword v0, off, s[0:3], s32 offset:424 ; 4-byte Folded Spill
	s_and_saveexec_b32 s26, s5
	s_cbranch_execz .LBB382_578
; %bb.573:                              ;   in Loop: Header=BB382_16 Depth=1
	v_mov_b32_e32 v0, 0xffff
	v_mov_b32_e32 v2, 0x7f800001
	s_mov_b32 s27, exec_lo
	v_and_b32_sdwa v0, v0, v18 dst_sel:DWORD dst_unused:UNUSED_PAD src0_sel:DWORD src1_sel:BYTE_1
	buffer_store_dword v2, off, s[0:3], s32 offset:424 ; 4-byte Folded Spill
	v_and_b32_e32 v1, 0x7f, v0
	v_cmpx_ne_u32_e32 0x7f, v1
	s_cbranch_execz .LBB382_577
; %bb.574:                              ;   in Loop: Header=BB382_16 Depth=1
	v_and_b32_e32 v35, 7, v0
	v_mov_b32_e32 v36, v19
	v_lshrrev_b32_e32 v0, 3, v1
	s_mov_b32 s28, exec_lo
	v_cmpx_gt_u32_e32 8, v1
; %bb.575:                              ;   in Loop: Header=BB382_16 Depth=1
	v_ffbh_u32_e32 v0, v35
	v_min_u32_e32 v0, 32, v0
	v_subrev_nc_u32_e32 v1, 28, v0
	v_sub_nc_u32_e32 v0, 29, v0
	v_lshlrev_b64 v[1:2], v1, v[35:36]
	v_and_b32_e32 v35, 7, v1
; %bb.576:                              ;   in Loop: Header=BB382_16 Depth=1
	s_or_b32 exec_lo, exec_lo, s28
	v_lshlrev_b32_e32 v1, 16, v18
	v_lshlrev_b32_e32 v2, 20, v35
	v_lshl_add_u32 v0, v0, 23, 0x3c000000
	v_and_b32_e32 v1, 0x80000000, v1
	v_or3_b32 v0, v2, v1, v0
	buffer_store_dword v0, off, s[0:3], s32 offset:424 ; 4-byte Folded Spill
.LBB382_577:                            ;   in Loop: Header=BB382_16 Depth=1
	s_or_b32 exec_lo, exec_lo, s27
.LBB382_578:                            ;   in Loop: Header=BB382_16 Depth=1
	s_or_b32 exec_lo, exec_lo, s26
.LBB382_579:                            ;   in Loop: Header=BB382_16 Depth=1
	s_or_b32 exec_lo, exec_lo, s25
	v_mov_b32_e32 v0, 0xff
	v_mov_b32_e32 v1, 0
	s_mov_b32 s25, exec_lo
	v_and_b32_sdwa v0, v34, v0 dst_sel:DWORD dst_unused:UNUSED_PAD src0_sel:WORD_1 src1_sel:DWORD
	buffer_store_dword v1, off, s[0:3], s32 offset:428 ; 4-byte Folded Spill
	v_mov_b32_e32 v1, 0
	buffer_store_dword v1, off, s[0:3], s32 offset:524 ; 4-byte Folded Spill
	v_cmpx_ne_u16_e32 0, v0
	s_cbranch_execz .LBB382_587
; %bb.580:                              ;   in Loop: Header=BB382_16 Depth=1
	v_cmp_ne_u16_e64 s5, 0x80, v0
	v_bfrev_b32_e32 v0, 1
	s_and_saveexec_b32 s26, s5
	s_cbranch_execz .LBB382_586
; %bb.581:                              ;   in Loop: Header=BB382_16 Depth=1
	v_bfe_u32 v1, v34, 16, 7
	v_mov_b32_e32 v0, 0x7f800001
	s_mov_b32 s27, exec_lo
	v_cmpx_ne_u32_e32 0x7f, v1
	s_cbranch_execz .LBB382_585
; %bb.582:                              ;   in Loop: Header=BB382_16 Depth=1
	v_mov_b32_e32 v0, 7
	s_mov_b32 s28, exec_lo
	v_and_b32_sdwa v18, v34, v0 dst_sel:DWORD dst_unused:UNUSED_PAD src0_sel:WORD_1 src1_sel:DWORD
	v_mov_b32_e32 v36, v19
	v_lshrrev_b32_e32 v0, 3, v1
	v_mov_b32_e32 v35, v18
	v_cmpx_gt_u32_e32 8, v1
; %bb.583:                              ;   in Loop: Header=BB382_16 Depth=1
	v_ffbh_u32_e32 v0, v18
	v_min_u32_e32 v0, 32, v0
	v_subrev_nc_u32_e32 v1, 28, v0
	v_sub_nc_u32_e32 v0, 29, v0
	v_lshlrev_b64 v[1:2], v1, v[18:19]
	v_and_b32_e32 v35, 7, v1
; %bb.584:                              ;   in Loop: Header=BB382_16 Depth=1
	s_or_b32 exec_lo, exec_lo, s28
	v_mov_b32_e32 v1, 24
	v_lshlrev_b32_e32 v2, 20, v35
	v_lshl_add_u32 v0, v0, 23, 0x3c000000
	v_lshlrev_b32_sdwa v1, v1, v34 dst_sel:DWORD dst_unused:UNUSED_PAD src0_sel:DWORD src1_sel:WORD_1
	v_and_b32_e32 v1, 0x80000000, v1
	v_or3_b32 v0, v2, v1, v0
.LBB382_585:                            ;   in Loop: Header=BB382_16 Depth=1
	s_or_b32 exec_lo, exec_lo, s27
.LBB382_586:                            ;   in Loop: Header=BB382_16 Depth=1
	s_or_b32 exec_lo, exec_lo, s26
	buffer_store_dword v0, off, s[0:3], s32 offset:524 ; 4-byte Folded Spill
.LBB382_587:                            ;   in Loop: Header=BB382_16 Depth=1
	s_or_b32 exec_lo, exec_lo, s25
	s_mov_b32 s25, exec_lo
	v_cmpx_lt_u64_e64 s[20:21], v[33:34]
	s_cbranch_execz .LBB382_595
; %bb.588:                              ;   in Loop: Header=BB382_16 Depth=1
	v_cmp_ne_u32_sdwa s5, v34, v5 src0_sel:BYTE_3 src1_sel:DWORD
	v_bfrev_b32_e32 v0, 1
	buffer_store_dword v0, off, s[0:3], s32 offset:428 ; 4-byte Folded Spill
	s_and_saveexec_b32 s26, s5
	s_cbranch_execz .LBB382_594
; %bb.589:                              ;   in Loop: Header=BB382_16 Depth=1
	v_bfe_u32 v1, v34, 24, 7
	v_mov_b32_e32 v0, 0x7f800001
	s_mov_b32 s27, exec_lo
	buffer_store_dword v0, off, s[0:3], s32 offset:428 ; 4-byte Folded Spill
	v_cmpx_ne_u32_e32 0x7f, v1
	s_cbranch_execz .LBB382_593
; %bb.590:                              ;   in Loop: Header=BB382_16 Depth=1
	v_mov_b32_e32 v0, 7
	s_mov_b32 s28, exec_lo
	v_and_b32_sdwa v18, v34, v0 dst_sel:DWORD dst_unused:UNUSED_PAD src0_sel:BYTE_3 src1_sel:DWORD
	v_mov_b32_e32 v36, v19
	v_lshrrev_b32_e32 v0, 3, v1
	v_mov_b32_e32 v35, v18
	v_cmpx_gt_u32_e32 8, v1
; %bb.591:                              ;   in Loop: Header=BB382_16 Depth=1
	v_ffbh_u32_e32 v0, v18
	v_min_u32_e32 v0, 32, v0
	v_subrev_nc_u32_e32 v1, 28, v0
	v_sub_nc_u32_e32 v0, 29, v0
	v_lshlrev_b64 v[1:2], v1, v[18:19]
	v_and_b32_e32 v35, 7, v1
; %bb.592:                              ;   in Loop: Header=BB382_16 Depth=1
	s_or_b32 exec_lo, exec_lo, s28
	v_mov_b32_e32 v1, 24
	v_lshlrev_b32_e32 v2, 20, v35
	v_lshl_add_u32 v0, v0, 23, 0x3c000000
	v_lshlrev_b32_sdwa v1, v1, v34 dst_sel:DWORD dst_unused:UNUSED_PAD src0_sel:DWORD src1_sel:BYTE_3
	v_and_b32_e32 v1, 0x80000000, v1
	v_or3_b32 v0, v2, v1, v0
	buffer_store_dword v0, off, s[0:3], s32 offset:428 ; 4-byte Folded Spill
.LBB382_593:                            ;   in Loop: Header=BB382_16 Depth=1
	s_or_b32 exec_lo, exec_lo, s27
.LBB382_594:                            ;   in Loop: Header=BB382_16 Depth=1
	s_or_b32 exec_lo, exec_lo, s26
.LBB382_595:                            ;   in Loop: Header=BB382_16 Depth=1
	s_or_b32 exec_lo, exec_lo, s25
	flat_load_dwordx2 v[33:34], v[31:32] offset:8
	v_mov_b32_e32 v0, 0
	buffer_store_dword v0, off, s[0:3], s32 offset:436 ; 4-byte Folded Spill
	v_mov_b32_e32 v0, 0
	buffer_store_dword v0, off, s[0:3], s32 offset:432 ; 4-byte Folded Spill
	s_waitcnt vmcnt(0) lgkmcnt(0)
	v_cmp_ne_u16_sdwa s5, v33, v19 src0_sel:BYTE_0 src1_sel:DWORD
	s_and_saveexec_b32 s25, s5
	s_cbranch_execz .LBB382_603
; %bb.596:                              ;   in Loop: Header=BB382_16 Depth=1
	v_cmp_ne_u16_sdwa s5, v33, v5 src0_sel:BYTE_0 src1_sel:DWORD
	v_bfrev_b32_e32 v0, 1
	buffer_store_dword v0, off, s[0:3], s32 offset:432 ; 4-byte Folded Spill
	s_and_saveexec_b32 s26, s5
	s_cbranch_execz .LBB382_602
; %bb.597:                              ;   in Loop: Header=BB382_16 Depth=1
	v_and_b32_e32 v1, 0x7f, v33
	v_mov_b32_e32 v0, 0x7f800001
	s_mov_b32 s27, exec_lo
	buffer_store_dword v0, off, s[0:3], s32 offset:432 ; 4-byte Folded Spill
	v_cmpx_ne_u32_e32 0x7f, v1
	s_cbranch_execz .LBB382_601
; %bb.598:                              ;   in Loop: Header=BB382_16 Depth=1
	v_mov_b32_e32 v36, v34
	v_lshrrev_b32_e32 v0, 3, v1
	v_mov_b32_e32 v35, v33
	s_mov_b32 s28, exec_lo
	v_cmpx_gt_u32_e32 8, v1
; %bb.599:                              ;   in Loop: Header=BB382_16 Depth=1
	v_and_b32_e32 v0, 7, v33
	v_ffbh_u32_e32 v0, v0
	v_min_u32_e32 v0, 32, v0
	v_subrev_nc_u32_e32 v1, 28, v0
	v_sub_nc_u32_e32 v0, 29, v0
	v_lshlrev_b64 v[35:36], v1, v[33:34]
; %bb.600:                              ;   in Loop: Header=BB382_16 Depth=1
	s_or_b32 exec_lo, exec_lo, s28
	v_lshlrev_b32_e32 v1, 20, v35
	v_lshlrev_b32_e32 v2, 24, v33
	v_lshl_add_u32 v0, v0, 23, 0x3c000000
	v_and_b32_e32 v1, 0x700000, v1
	v_and_b32_e32 v2, 0x80000000, v2
	v_or3_b32 v0, v1, v2, v0
	buffer_store_dword v0, off, s[0:3], s32 offset:432 ; 4-byte Folded Spill
.LBB382_601:                            ;   in Loop: Header=BB382_16 Depth=1
	s_or_b32 exec_lo, exec_lo, s27
.LBB382_602:                            ;   in Loop: Header=BB382_16 Depth=1
	s_or_b32 exec_lo, exec_lo, s26
.LBB382_603:                            ;   in Loop: Header=BB382_16 Depth=1
	s_or_b32 exec_lo, exec_lo, s25
	v_cmp_ne_u16_sdwa s5, v33, v19 src0_sel:BYTE_1 src1_sel:DWORD
	s_and_saveexec_b32 s25, s5
	s_cbranch_execz .LBB382_611
; %bb.604:                              ;   in Loop: Header=BB382_16 Depth=1
	v_cmp_ne_u16_sdwa s5, v33, v5 src0_sel:BYTE_1 src1_sel:DWORD
	v_bfrev_b32_e32 v0, 1
	buffer_store_dword v0, off, s[0:3], s32 offset:436 ; 4-byte Folded Spill
	s_and_saveexec_b32 s26, s5
	s_cbranch_execz .LBB382_610
; %bb.605:                              ;   in Loop: Header=BB382_16 Depth=1
	v_mov_b32_e32 v0, 0xffff
	v_mov_b32_e32 v2, 0x7f800001
	s_mov_b32 s27, exec_lo
	v_and_b32_sdwa v0, v0, v33 dst_sel:DWORD dst_unused:UNUSED_PAD src0_sel:DWORD src1_sel:BYTE_1
	buffer_store_dword v2, off, s[0:3], s32 offset:436 ; 4-byte Folded Spill
	v_and_b32_e32 v1, 0x7f, v0
	v_cmpx_ne_u32_e32 0x7f, v1
	s_cbranch_execz .LBB382_609
; %bb.606:                              ;   in Loop: Header=BB382_16 Depth=1
	v_and_b32_e32 v18, 7, v0
	v_mov_b32_e32 v36, v19
	v_lshrrev_b32_e32 v0, 3, v1
	s_mov_b32 s28, exec_lo
	v_mov_b32_e32 v35, v18
	v_cmpx_gt_u32_e32 8, v1
; %bb.607:                              ;   in Loop: Header=BB382_16 Depth=1
	v_ffbh_u32_e32 v0, v18
	v_min_u32_e32 v0, 32, v0
	v_subrev_nc_u32_e32 v1, 28, v0
	v_sub_nc_u32_e32 v0, 29, v0
	v_lshlrev_b64 v[1:2], v1, v[18:19]
	v_and_b32_e32 v35, 7, v1
; %bb.608:                              ;   in Loop: Header=BB382_16 Depth=1
	s_or_b32 exec_lo, exec_lo, s28
	v_lshlrev_b32_e32 v1, 16, v33
	v_lshlrev_b32_e32 v2, 20, v35
	v_lshl_add_u32 v0, v0, 23, 0x3c000000
	v_and_b32_e32 v1, 0x80000000, v1
	v_or3_b32 v0, v2, v1, v0
	buffer_store_dword v0, off, s[0:3], s32 offset:436 ; 4-byte Folded Spill
.LBB382_609:                            ;   in Loop: Header=BB382_16 Depth=1
	s_or_b32 exec_lo, exec_lo, s27
.LBB382_610:                            ;   in Loop: Header=BB382_16 Depth=1
	s_or_b32 exec_lo, exec_lo, s26
.LBB382_611:                            ;   in Loop: Header=BB382_16 Depth=1
	s_or_b32 exec_lo, exec_lo, s25
	v_mov_b32_e32 v0, 0xff
	v_mov_b32_e32 v1, 0
	s_mov_b32 s25, exec_lo
	v_and_b32_sdwa v0, v33, v0 dst_sel:DWORD dst_unused:UNUSED_PAD src0_sel:WORD_1 src1_sel:DWORD
	buffer_store_dword v1, off, s[0:3], s32 offset:440 ; 4-byte Folded Spill
	v_mov_b32_e32 v1, 0
	buffer_store_dword v1, off, s[0:3], s32 offset:528 ; 4-byte Folded Spill
	v_cmpx_ne_u16_e32 0, v0
	s_cbranch_execz .LBB382_619
; %bb.612:                              ;   in Loop: Header=BB382_16 Depth=1
	v_cmp_ne_u16_e64 s5, 0x80, v0
	v_bfrev_b32_e32 v0, 1
	s_and_saveexec_b32 s26, s5
	s_cbranch_execz .LBB382_618
; %bb.613:                              ;   in Loop: Header=BB382_16 Depth=1
	v_bfe_u32 v1, v33, 16, 7
	v_mov_b32_e32 v0, 0x7f800001
	s_mov_b32 s27, exec_lo
	v_cmpx_ne_u32_e32 0x7f, v1
	s_cbranch_execz .LBB382_617
; %bb.614:                              ;   in Loop: Header=BB382_16 Depth=1
	v_mov_b32_e32 v0, 7
	s_mov_b32 s28, exec_lo
	v_and_b32_sdwa v18, v33, v0 dst_sel:DWORD dst_unused:UNUSED_PAD src0_sel:WORD_1 src1_sel:DWORD
	v_mov_b32_e32 v36, v19
	v_lshrrev_b32_e32 v0, 3, v1
	v_mov_b32_e32 v35, v18
	v_cmpx_gt_u32_e32 8, v1
; %bb.615:                              ;   in Loop: Header=BB382_16 Depth=1
	v_ffbh_u32_e32 v0, v18
	v_min_u32_e32 v0, 32, v0
	v_subrev_nc_u32_e32 v1, 28, v0
	v_sub_nc_u32_e32 v0, 29, v0
	v_lshlrev_b64 v[1:2], v1, v[18:19]
	v_and_b32_e32 v35, 7, v1
; %bb.616:                              ;   in Loop: Header=BB382_16 Depth=1
	s_or_b32 exec_lo, exec_lo, s28
	v_mov_b32_e32 v1, 24
	v_lshlrev_b32_e32 v2, 20, v35
	v_lshl_add_u32 v0, v0, 23, 0x3c000000
	v_lshlrev_b32_sdwa v1, v1, v33 dst_sel:DWORD dst_unused:UNUSED_PAD src0_sel:DWORD src1_sel:WORD_1
	v_and_b32_e32 v1, 0x80000000, v1
	v_or3_b32 v0, v2, v1, v0
.LBB382_617:                            ;   in Loop: Header=BB382_16 Depth=1
	s_or_b32 exec_lo, exec_lo, s27
.LBB382_618:                            ;   in Loop: Header=BB382_16 Depth=1
	s_or_b32 exec_lo, exec_lo, s26
	buffer_store_dword v0, off, s[0:3], s32 offset:528 ; 4-byte Folded Spill
.LBB382_619:                            ;   in Loop: Header=BB382_16 Depth=1
	s_or_b32 exec_lo, exec_lo, s25
	s_mov_b32 s25, exec_lo
	v_cmpx_lt_u32_e32 0xffffff, v33
	s_cbranch_execz .LBB382_627
; %bb.620:                              ;   in Loop: Header=BB382_16 Depth=1
	v_cmp_ne_u32_sdwa s5, v33, v5 src0_sel:BYTE_3 src1_sel:DWORD
	v_bfrev_b32_e32 v0, 1
	buffer_store_dword v0, off, s[0:3], s32 offset:440 ; 4-byte Folded Spill
	s_and_saveexec_b32 s26, s5
	s_cbranch_execz .LBB382_626
; %bb.621:                              ;   in Loop: Header=BB382_16 Depth=1
	v_bfe_u32 v1, v33, 24, 7
	v_mov_b32_e32 v0, 0x7f800001
	s_mov_b32 s27, exec_lo
	buffer_store_dword v0, off, s[0:3], s32 offset:440 ; 4-byte Folded Spill
	v_cmpx_ne_u32_e32 0x7f, v1
	s_cbranch_execz .LBB382_625
; %bb.622:                              ;   in Loop: Header=BB382_16 Depth=1
	v_mov_b32_e32 v0, 7
	s_mov_b32 s28, exec_lo
	v_and_b32_sdwa v18, v33, v0 dst_sel:DWORD dst_unused:UNUSED_PAD src0_sel:BYTE_3 src1_sel:DWORD
	v_mov_b32_e32 v36, v19
	v_lshrrev_b32_e32 v0, 3, v1
	v_mov_b32_e32 v35, v18
	v_cmpx_gt_u32_e32 8, v1
; %bb.623:                              ;   in Loop: Header=BB382_16 Depth=1
	v_ffbh_u32_e32 v0, v18
	v_min_u32_e32 v0, 32, v0
	v_subrev_nc_u32_e32 v1, 28, v0
	v_sub_nc_u32_e32 v0, 29, v0
	v_lshlrev_b64 v[1:2], v1, v[18:19]
	v_and_b32_e32 v35, 7, v1
; %bb.624:                              ;   in Loop: Header=BB382_16 Depth=1
	s_or_b32 exec_lo, exec_lo, s28
	v_mov_b32_e32 v1, 24
	v_lshlrev_b32_e32 v2, 20, v35
	v_lshl_add_u32 v0, v0, 23, 0x3c000000
	v_lshlrev_b32_sdwa v1, v1, v33 dst_sel:DWORD dst_unused:UNUSED_PAD src0_sel:DWORD src1_sel:BYTE_3
	v_and_b32_e32 v1, 0x80000000, v1
	v_or3_b32 v0, v2, v1, v0
	buffer_store_dword v0, off, s[0:3], s32 offset:440 ; 4-byte Folded Spill
.LBB382_625:                            ;   in Loop: Header=BB382_16 Depth=1
	s_or_b32 exec_lo, exec_lo, s27
.LBB382_626:                            ;   in Loop: Header=BB382_16 Depth=1
	s_or_b32 exec_lo, exec_lo, s26
.LBB382_627:                            ;   in Loop: Header=BB382_16 Depth=1
	s_or_b32 exec_lo, exec_lo, s25
	v_mov_b32_e32 v0, 0
	v_mov_b32_e32 v18, v34
	v_cmp_ne_u16_sdwa s5, v34, v19 src0_sel:BYTE_0 src1_sel:DWORD
	buffer_store_dword v0, off, s[0:3], s32 offset:448 ; 4-byte Folded Spill
	v_mov_b32_e32 v0, 0
	buffer_store_dword v0, off, s[0:3], s32 offset:444 ; 4-byte Folded Spill
	s_and_saveexec_b32 s25, s5
	s_cbranch_execz .LBB382_635
; %bb.628:                              ;   in Loop: Header=BB382_16 Depth=1
	v_cmp_ne_u16_sdwa s5, v34, v5 src0_sel:BYTE_0 src1_sel:DWORD
	v_bfrev_b32_e32 v0, 1
	buffer_store_dword v0, off, s[0:3], s32 offset:444 ; 4-byte Folded Spill
	s_and_saveexec_b32 s26, s5
	s_cbranch_execz .LBB382_634
; %bb.629:                              ;   in Loop: Header=BB382_16 Depth=1
	v_and_b32_e32 v1, 0x7f, v34
	v_mov_b32_e32 v0, 0x7f800001
	s_mov_b32 s27, exec_lo
	buffer_store_dword v0, off, s[0:3], s32 offset:444 ; 4-byte Folded Spill
	v_cmpx_ne_u32_e32 0x7f, v1
	s_cbranch_execz .LBB382_633
; %bb.630:                              ;   in Loop: Header=BB382_16 Depth=1
	v_mov_b32_e32 v36, v19
	v_lshrrev_b32_e32 v0, 3, v1
	v_mov_b32_e32 v35, v18
	s_mov_b32 s28, exec_lo
	v_cmpx_gt_u32_e32 8, v1
; %bb.631:                              ;   in Loop: Header=BB382_16 Depth=1
	v_and_b32_e32 v0, 7, v34
	v_ffbh_u32_e32 v0, v0
	v_min_u32_e32 v0, 32, v0
	v_subrev_nc_u32_e32 v1, 28, v0
	v_sub_nc_u32_e32 v0, 29, v0
	v_lshlrev_b64 v[35:36], v1, v[18:19]
; %bb.632:                              ;   in Loop: Header=BB382_16 Depth=1
	s_or_b32 exec_lo, exec_lo, s28
	v_lshlrev_b32_e32 v1, 20, v35
	v_lshlrev_b32_e32 v2, 24, v18
	v_lshl_add_u32 v0, v0, 23, 0x3c000000
	v_and_b32_e32 v1, 0x700000, v1
	v_and_b32_e32 v2, 0x80000000, v2
	v_or3_b32 v0, v1, v2, v0
	buffer_store_dword v0, off, s[0:3], s32 offset:444 ; 4-byte Folded Spill
.LBB382_633:                            ;   in Loop: Header=BB382_16 Depth=1
	s_or_b32 exec_lo, exec_lo, s27
.LBB382_634:                            ;   in Loop: Header=BB382_16 Depth=1
	s_or_b32 exec_lo, exec_lo, s26
.LBB382_635:                            ;   in Loop: Header=BB382_16 Depth=1
	s_or_b32 exec_lo, exec_lo, s25
	v_cmp_ne_u16_sdwa s5, v18, v19 src0_sel:BYTE_1 src1_sel:DWORD
	s_and_saveexec_b32 s25, s5
	s_cbranch_execz .LBB382_643
; %bb.636:                              ;   in Loop: Header=BB382_16 Depth=1
	v_cmp_ne_u16_sdwa s5, v18, v5 src0_sel:BYTE_1 src1_sel:DWORD
	v_bfrev_b32_e32 v0, 1
	buffer_store_dword v0, off, s[0:3], s32 offset:448 ; 4-byte Folded Spill
	s_and_saveexec_b32 s26, s5
	s_cbranch_execz .LBB382_642
; %bb.637:                              ;   in Loop: Header=BB382_16 Depth=1
	v_mov_b32_e32 v0, 0xffff
	v_mov_b32_e32 v2, 0x7f800001
	s_mov_b32 s27, exec_lo
	v_and_b32_sdwa v0, v0, v18 dst_sel:DWORD dst_unused:UNUSED_PAD src0_sel:DWORD src1_sel:BYTE_1
	buffer_store_dword v2, off, s[0:3], s32 offset:448 ; 4-byte Folded Spill
	v_and_b32_e32 v1, 0x7f, v0
	v_cmpx_ne_u32_e32 0x7f, v1
	s_cbranch_execz .LBB382_641
; %bb.638:                              ;   in Loop: Header=BB382_16 Depth=1
	v_and_b32_e32 v35, 7, v0
	v_mov_b32_e32 v36, v19
	v_lshrrev_b32_e32 v0, 3, v1
	s_mov_b32 s28, exec_lo
	v_cmpx_gt_u32_e32 8, v1
; %bb.639:                              ;   in Loop: Header=BB382_16 Depth=1
	v_ffbh_u32_e32 v0, v35
	v_min_u32_e32 v0, 32, v0
	v_subrev_nc_u32_e32 v1, 28, v0
	v_sub_nc_u32_e32 v0, 29, v0
	v_lshlrev_b64 v[1:2], v1, v[35:36]
	v_and_b32_e32 v35, 7, v1
; %bb.640:                              ;   in Loop: Header=BB382_16 Depth=1
	s_or_b32 exec_lo, exec_lo, s28
	v_lshlrev_b32_e32 v1, 16, v18
	v_lshlrev_b32_e32 v2, 20, v35
	v_lshl_add_u32 v0, v0, 23, 0x3c000000
	v_and_b32_e32 v1, 0x80000000, v1
	v_or3_b32 v0, v2, v1, v0
	buffer_store_dword v0, off, s[0:3], s32 offset:448 ; 4-byte Folded Spill
.LBB382_641:                            ;   in Loop: Header=BB382_16 Depth=1
	s_or_b32 exec_lo, exec_lo, s27
.LBB382_642:                            ;   in Loop: Header=BB382_16 Depth=1
	s_or_b32 exec_lo, exec_lo, s26
.LBB382_643:                            ;   in Loop: Header=BB382_16 Depth=1
	s_or_b32 exec_lo, exec_lo, s25
	v_mov_b32_e32 v0, 0xff
	v_mov_b32_e32 v1, 0
	;; [unrolled: 1-line block ×3, first 2 shown]
	s_mov_b32 s25, exec_lo
	v_and_b32_sdwa v0, v34, v0 dst_sel:DWORD dst_unused:UNUSED_PAD src0_sel:WORD_1 src1_sel:DWORD
	buffer_store_dword v1, off, s[0:3], s32 offset:452 ; 4-byte Folded Spill
	v_cmpx_ne_u16_e32 0, v0
	s_cbranch_execz .LBB382_651
; %bb.644:                              ;   in Loop: Header=BB382_16 Depth=1
	v_bfrev_b32_e32 v75, 1
	s_mov_b32 s26, exec_lo
	v_cmpx_ne_u16_e32 0x80, v0
	s_cbranch_execz .LBB382_650
; %bb.645:                              ;   in Loop: Header=BB382_16 Depth=1
	v_bfe_u32 v1, v34, 16, 7
	v_mov_b32_e32 v75, 0x7f800001
	s_mov_b32 s27, exec_lo
	v_cmpx_ne_u32_e32 0x7f, v1
	s_cbranch_execz .LBB382_649
; %bb.646:                              ;   in Loop: Header=BB382_16 Depth=1
	v_mov_b32_e32 v0, 7
	s_mov_b32 s28, exec_lo
	v_and_b32_sdwa v18, v34, v0 dst_sel:DWORD dst_unused:UNUSED_PAD src0_sel:WORD_1 src1_sel:DWORD
	v_mov_b32_e32 v36, v19
	v_lshrrev_b32_e32 v0, 3, v1
	v_mov_b32_e32 v35, v18
	v_cmpx_gt_u32_e32 8, v1
; %bb.647:                              ;   in Loop: Header=BB382_16 Depth=1
	v_ffbh_u32_e32 v0, v18
	v_min_u32_e32 v0, 32, v0
	v_subrev_nc_u32_e32 v1, 28, v0
	v_sub_nc_u32_e32 v0, 29, v0
	v_lshlrev_b64 v[1:2], v1, v[18:19]
	v_and_b32_e32 v35, 7, v1
; %bb.648:                              ;   in Loop: Header=BB382_16 Depth=1
	s_or_b32 exec_lo, exec_lo, s28
	v_mov_b32_e32 v1, 24
	v_lshlrev_b32_e32 v2, 20, v35
	v_lshl_add_u32 v0, v0, 23, 0x3c000000
	v_lshlrev_b32_sdwa v1, v1, v34 dst_sel:DWORD dst_unused:UNUSED_PAD src0_sel:DWORD src1_sel:WORD_1
	v_and_b32_e32 v1, 0x80000000, v1
	v_or3_b32 v75, v2, v1, v0
.LBB382_649:                            ;   in Loop: Header=BB382_16 Depth=1
	s_or_b32 exec_lo, exec_lo, s27
.LBB382_650:                            ;   in Loop: Header=BB382_16 Depth=1
	s_or_b32 exec_lo, exec_lo, s26
.LBB382_651:                            ;   in Loop: Header=BB382_16 Depth=1
	s_or_b32 exec_lo, exec_lo, s25
	s_mov_b32 s25, exec_lo
	v_cmpx_lt_u64_e64 s[20:21], v[33:34]
	s_cbranch_execz .LBB382_659
; %bb.652:                              ;   in Loop: Header=BB382_16 Depth=1
	v_cmp_ne_u32_sdwa s5, v34, v5 src0_sel:BYTE_3 src1_sel:DWORD
	v_bfrev_b32_e32 v0, 1
	buffer_store_dword v0, off, s[0:3], s32 offset:452 ; 4-byte Folded Spill
	s_and_saveexec_b32 s26, s5
	s_cbranch_execz .LBB382_658
; %bb.653:                              ;   in Loop: Header=BB382_16 Depth=1
	v_bfe_u32 v1, v34, 24, 7
	v_mov_b32_e32 v0, 0x7f800001
	s_mov_b32 s27, exec_lo
	buffer_store_dword v0, off, s[0:3], s32 offset:452 ; 4-byte Folded Spill
	v_cmpx_ne_u32_e32 0x7f, v1
	s_cbranch_execz .LBB382_657
; %bb.654:                              ;   in Loop: Header=BB382_16 Depth=1
	v_mov_b32_e32 v0, 7
	s_mov_b32 s28, exec_lo
	v_and_b32_sdwa v18, v34, v0 dst_sel:DWORD dst_unused:UNUSED_PAD src0_sel:BYTE_3 src1_sel:DWORD
	v_mov_b32_e32 v36, v19
	v_lshrrev_b32_e32 v0, 3, v1
	v_mov_b32_e32 v35, v18
	v_cmpx_gt_u32_e32 8, v1
; %bb.655:                              ;   in Loop: Header=BB382_16 Depth=1
	v_ffbh_u32_e32 v0, v18
	v_min_u32_e32 v0, 32, v0
	v_subrev_nc_u32_e32 v1, 28, v0
	v_sub_nc_u32_e32 v0, 29, v0
	v_lshlrev_b64 v[1:2], v1, v[18:19]
	v_and_b32_e32 v35, 7, v1
; %bb.656:                              ;   in Loop: Header=BB382_16 Depth=1
	s_or_b32 exec_lo, exec_lo, s28
	v_mov_b32_e32 v1, 24
	v_lshlrev_b32_e32 v2, 20, v35
	v_lshl_add_u32 v0, v0, 23, 0x3c000000
	v_lshlrev_b32_sdwa v1, v1, v34 dst_sel:DWORD dst_unused:UNUSED_PAD src0_sel:DWORD src1_sel:BYTE_3
	v_and_b32_e32 v1, 0x80000000, v1
	v_or3_b32 v0, v2, v1, v0
	buffer_store_dword v0, off, s[0:3], s32 offset:452 ; 4-byte Folded Spill
.LBB382_657:                            ;   in Loop: Header=BB382_16 Depth=1
	s_or_b32 exec_lo, exec_lo, s27
.LBB382_658:                            ;   in Loop: Header=BB382_16 Depth=1
	s_or_b32 exec_lo, exec_lo, s26
.LBB382_659:                            ;   in Loop: Header=BB382_16 Depth=1
	s_or_b32 exec_lo, exec_lo, s25
	flat_load_dwordx2 v[33:34], v[31:32] offset:512
	v_mov_b32_e32 v111, 0
	v_mov_b32_e32 v0, 0
	buffer_store_dword v0, off, s[0:3], s32 offset:456 ; 4-byte Folded Spill
	s_waitcnt vmcnt(0) lgkmcnt(0)
	v_cmp_ne_u16_sdwa s5, v33, v19 src0_sel:BYTE_0 src1_sel:DWORD
	s_and_saveexec_b32 s25, s5
	s_cbranch_execz .LBB382_667
; %bb.660:                              ;   in Loop: Header=BB382_16 Depth=1
	v_cmp_ne_u16_sdwa s5, v33, v5 src0_sel:BYTE_0 src1_sel:DWORD
	v_bfrev_b32_e32 v0, 1
	buffer_store_dword v0, off, s[0:3], s32 offset:456 ; 4-byte Folded Spill
	s_and_saveexec_b32 s26, s5
	s_cbranch_execz .LBB382_666
; %bb.661:                              ;   in Loop: Header=BB382_16 Depth=1
	v_and_b32_e32 v1, 0x7f, v33
	v_mov_b32_e32 v0, 0x7f800001
	s_mov_b32 s27, exec_lo
	buffer_store_dword v0, off, s[0:3], s32 offset:456 ; 4-byte Folded Spill
	v_cmpx_ne_u32_e32 0x7f, v1
	s_cbranch_execz .LBB382_665
; %bb.662:                              ;   in Loop: Header=BB382_16 Depth=1
	v_mov_b32_e32 v36, v34
	v_lshrrev_b32_e32 v0, 3, v1
	v_mov_b32_e32 v35, v33
	s_mov_b32 s28, exec_lo
	v_cmpx_gt_u32_e32 8, v1
; %bb.663:                              ;   in Loop: Header=BB382_16 Depth=1
	v_and_b32_e32 v0, 7, v33
	v_ffbh_u32_e32 v0, v0
	v_min_u32_e32 v0, 32, v0
	v_subrev_nc_u32_e32 v1, 28, v0
	v_sub_nc_u32_e32 v0, 29, v0
	v_lshlrev_b64 v[35:36], v1, v[33:34]
; %bb.664:                              ;   in Loop: Header=BB382_16 Depth=1
	s_or_b32 exec_lo, exec_lo, s28
	v_lshlrev_b32_e32 v1, 20, v35
	v_lshlrev_b32_e32 v2, 24, v33
	v_lshl_add_u32 v0, v0, 23, 0x3c000000
	v_and_b32_e32 v1, 0x700000, v1
	v_and_b32_e32 v2, 0x80000000, v2
	v_or3_b32 v0, v1, v2, v0
	buffer_store_dword v0, off, s[0:3], s32 offset:456 ; 4-byte Folded Spill
.LBB382_665:                            ;   in Loop: Header=BB382_16 Depth=1
	s_or_b32 exec_lo, exec_lo, s27
.LBB382_666:                            ;   in Loop: Header=BB382_16 Depth=1
	s_or_b32 exec_lo, exec_lo, s26
.LBB382_667:                            ;   in Loop: Header=BB382_16 Depth=1
	s_or_b32 exec_lo, exec_lo, s25
	v_cmp_ne_u16_sdwa s5, v33, v19 src0_sel:BYTE_1 src1_sel:DWORD
	s_and_saveexec_b32 s25, s5
	s_cbranch_execz .LBB382_675
; %bb.668:                              ;   in Loop: Header=BB382_16 Depth=1
	v_cmp_ne_u16_sdwa s5, v33, v5 src0_sel:BYTE_1 src1_sel:DWORD
	v_bfrev_b32_e32 v111, 1
	s_and_saveexec_b32 s26, s5
	s_cbranch_execz .LBB382_674
; %bb.669:                              ;   in Loop: Header=BB382_16 Depth=1
	v_mov_b32_e32 v0, 0xffff
	v_mov_b32_e32 v111, 0x7f800001
	s_mov_b32 s27, exec_lo
	v_and_b32_sdwa v0, v0, v33 dst_sel:DWORD dst_unused:UNUSED_PAD src0_sel:DWORD src1_sel:BYTE_1
	v_and_b32_e32 v1, 0x7f, v0
	v_cmpx_ne_u32_e32 0x7f, v1
	s_cbranch_execz .LBB382_673
; %bb.670:                              ;   in Loop: Header=BB382_16 Depth=1
	v_and_b32_e32 v18, 7, v0
	v_mov_b32_e32 v36, v19
	v_lshrrev_b32_e32 v0, 3, v1
	s_mov_b32 s28, exec_lo
	v_mov_b32_e32 v35, v18
	v_cmpx_gt_u32_e32 8, v1
; %bb.671:                              ;   in Loop: Header=BB382_16 Depth=1
	v_ffbh_u32_e32 v0, v18
	v_min_u32_e32 v0, 32, v0
	v_subrev_nc_u32_e32 v1, 28, v0
	v_sub_nc_u32_e32 v0, 29, v0
	v_lshlrev_b64 v[1:2], v1, v[18:19]
	v_and_b32_e32 v35, 7, v1
; %bb.672:                              ;   in Loop: Header=BB382_16 Depth=1
	s_or_b32 exec_lo, exec_lo, s28
	v_lshlrev_b32_e32 v1, 16, v33
	v_lshlrev_b32_e32 v2, 20, v35
	v_lshl_add_u32 v0, v0, 23, 0x3c000000
	v_and_b32_e32 v1, 0x80000000, v1
	v_or3_b32 v111, v2, v1, v0
.LBB382_673:                            ;   in Loop: Header=BB382_16 Depth=1
	s_or_b32 exec_lo, exec_lo, s27
.LBB382_674:                            ;   in Loop: Header=BB382_16 Depth=1
	s_or_b32 exec_lo, exec_lo, s26
.LBB382_675:                            ;   in Loop: Header=BB382_16 Depth=1
	s_or_b32 exec_lo, exec_lo, s25
	v_mov_b32_e32 v0, 0xff
	v_mov_b32_e32 v121, 0
	;; [unrolled: 1-line block ×3, first 2 shown]
	s_mov_b32 s25, exec_lo
	v_and_b32_sdwa v0, v33, v0 dst_sel:DWORD dst_unused:UNUSED_PAD src0_sel:WORD_1 src1_sel:DWORD
	v_cmpx_ne_u16_e32 0, v0
	s_cbranch_execz .LBB382_683
; %bb.676:                              ;   in Loop: Header=BB382_16 Depth=1
	v_bfrev_b32_e32 v120, 1
	s_mov_b32 s26, exec_lo
	v_cmpx_ne_u16_e32 0x80, v0
	s_cbranch_execz .LBB382_682
; %bb.677:                              ;   in Loop: Header=BB382_16 Depth=1
	v_bfe_u32 v1, v33, 16, 7
	v_mov_b32_e32 v120, 0x7f800001
	s_mov_b32 s27, exec_lo
	v_cmpx_ne_u32_e32 0x7f, v1
	s_cbranch_execz .LBB382_681
; %bb.678:                              ;   in Loop: Header=BB382_16 Depth=1
	v_mov_b32_e32 v0, 7
	s_mov_b32 s28, exec_lo
	v_and_b32_sdwa v18, v33, v0 dst_sel:DWORD dst_unused:UNUSED_PAD src0_sel:WORD_1 src1_sel:DWORD
	v_mov_b32_e32 v36, v19
	v_lshrrev_b32_e32 v0, 3, v1
	v_mov_b32_e32 v35, v18
	v_cmpx_gt_u32_e32 8, v1
; %bb.679:                              ;   in Loop: Header=BB382_16 Depth=1
	v_ffbh_u32_e32 v0, v18
	v_min_u32_e32 v0, 32, v0
	v_subrev_nc_u32_e32 v1, 28, v0
	v_sub_nc_u32_e32 v0, 29, v0
	v_lshlrev_b64 v[1:2], v1, v[18:19]
	v_and_b32_e32 v35, 7, v1
; %bb.680:                              ;   in Loop: Header=BB382_16 Depth=1
	s_or_b32 exec_lo, exec_lo, s28
	v_mov_b32_e32 v1, 24
	v_lshlrev_b32_e32 v2, 20, v35
	v_lshl_add_u32 v0, v0, 23, 0x3c000000
	v_lshlrev_b32_sdwa v1, v1, v33 dst_sel:DWORD dst_unused:UNUSED_PAD src0_sel:DWORD src1_sel:WORD_1
	v_and_b32_e32 v1, 0x80000000, v1
	v_or3_b32 v120, v2, v1, v0
.LBB382_681:                            ;   in Loop: Header=BB382_16 Depth=1
	s_or_b32 exec_lo, exec_lo, s27
.LBB382_682:                            ;   in Loop: Header=BB382_16 Depth=1
	s_or_b32 exec_lo, exec_lo, s26
.LBB382_683:                            ;   in Loop: Header=BB382_16 Depth=1
	s_or_b32 exec_lo, exec_lo, s25
	s_mov_b32 s25, exec_lo
	v_cmpx_lt_u32_e32 0xffffff, v33
	s_cbranch_execz .LBB382_691
; %bb.684:                              ;   in Loop: Header=BB382_16 Depth=1
	v_cmp_ne_u32_sdwa s5, v33, v5 src0_sel:BYTE_3 src1_sel:DWORD
	v_bfrev_b32_e32 v121, 1
	s_and_saveexec_b32 s26, s5
	s_cbranch_execz .LBB382_690
; %bb.685:                              ;   in Loop: Header=BB382_16 Depth=1
	v_bfe_u32 v1, v33, 24, 7
	v_mov_b32_e32 v121, 0x7f800001
	s_mov_b32 s27, exec_lo
	v_cmpx_ne_u32_e32 0x7f, v1
	s_cbranch_execz .LBB382_689
; %bb.686:                              ;   in Loop: Header=BB382_16 Depth=1
	v_mov_b32_e32 v0, 7
	s_mov_b32 s28, exec_lo
	v_and_b32_sdwa v18, v33, v0 dst_sel:DWORD dst_unused:UNUSED_PAD src0_sel:BYTE_3 src1_sel:DWORD
	v_mov_b32_e32 v36, v19
	v_lshrrev_b32_e32 v0, 3, v1
	v_mov_b32_e32 v35, v18
	v_cmpx_gt_u32_e32 8, v1
; %bb.687:                              ;   in Loop: Header=BB382_16 Depth=1
	v_ffbh_u32_e32 v0, v18
	v_min_u32_e32 v0, 32, v0
	v_subrev_nc_u32_e32 v1, 28, v0
	v_sub_nc_u32_e32 v0, 29, v0
	v_lshlrev_b64 v[1:2], v1, v[18:19]
	v_and_b32_e32 v35, 7, v1
; %bb.688:                              ;   in Loop: Header=BB382_16 Depth=1
	s_or_b32 exec_lo, exec_lo, s28
	v_mov_b32_e32 v1, 24
	v_lshlrev_b32_e32 v2, 20, v35
	v_lshl_add_u32 v0, v0, 23, 0x3c000000
	v_lshlrev_b32_sdwa v1, v1, v33 dst_sel:DWORD dst_unused:UNUSED_PAD src0_sel:DWORD src1_sel:BYTE_3
	v_and_b32_e32 v1, 0x80000000, v1
	v_or3_b32 v121, v2, v1, v0
.LBB382_689:                            ;   in Loop: Header=BB382_16 Depth=1
	s_or_b32 exec_lo, exec_lo, s27
.LBB382_690:                            ;   in Loop: Header=BB382_16 Depth=1
	s_or_b32 exec_lo, exec_lo, s26
.LBB382_691:                            ;   in Loop: Header=BB382_16 Depth=1
	s_or_b32 exec_lo, exec_lo, s25
	v_mov_b32_e32 v18, v34
	v_cmp_ne_u16_sdwa s5, v34, v19 src0_sel:BYTE_0 src1_sel:DWORD
	v_mov_b32_e32 v123, 0
	v_mov_b32_e32 v122, 0
	s_and_saveexec_b32 s25, s5
	s_cbranch_execz .LBB382_699
; %bb.692:                              ;   in Loop: Header=BB382_16 Depth=1
	v_cmp_ne_u16_sdwa s5, v34, v5 src0_sel:BYTE_0 src1_sel:DWORD
	v_bfrev_b32_e32 v122, 1
	s_and_saveexec_b32 s26, s5
	s_cbranch_execz .LBB382_698
; %bb.693:                              ;   in Loop: Header=BB382_16 Depth=1
	v_and_b32_e32 v1, 0x7f, v34
	v_mov_b32_e32 v122, 0x7f800001
	s_mov_b32 s27, exec_lo
	v_cmpx_ne_u32_e32 0x7f, v1
	s_cbranch_execz .LBB382_697
; %bb.694:                              ;   in Loop: Header=BB382_16 Depth=1
	v_mov_b32_e32 v36, v19
	v_lshrrev_b32_e32 v0, 3, v1
	v_mov_b32_e32 v35, v18
	s_mov_b32 s28, exec_lo
	v_cmpx_gt_u32_e32 8, v1
; %bb.695:                              ;   in Loop: Header=BB382_16 Depth=1
	v_and_b32_e32 v0, 7, v34
	v_ffbh_u32_e32 v0, v0
	v_min_u32_e32 v0, 32, v0
	v_subrev_nc_u32_e32 v1, 28, v0
	v_sub_nc_u32_e32 v0, 29, v0
	v_lshlrev_b64 v[35:36], v1, v[18:19]
; %bb.696:                              ;   in Loop: Header=BB382_16 Depth=1
	s_or_b32 exec_lo, exec_lo, s28
	v_lshlrev_b32_e32 v1, 20, v35
	v_lshlrev_b32_e32 v2, 24, v18
	v_lshl_add_u32 v0, v0, 23, 0x3c000000
	v_and_b32_e32 v1, 0x700000, v1
	v_and_b32_e32 v2, 0x80000000, v2
	v_or3_b32 v122, v1, v2, v0
.LBB382_697:                            ;   in Loop: Header=BB382_16 Depth=1
	s_or_b32 exec_lo, exec_lo, s27
.LBB382_698:                            ;   in Loop: Header=BB382_16 Depth=1
	s_or_b32 exec_lo, exec_lo, s26
.LBB382_699:                            ;   in Loop: Header=BB382_16 Depth=1
	s_or_b32 exec_lo, exec_lo, s25
	v_cmp_ne_u16_sdwa s5, v18, v19 src0_sel:BYTE_1 src1_sel:DWORD
	s_and_saveexec_b32 s25, s5
	s_cbranch_execz .LBB382_707
; %bb.700:                              ;   in Loop: Header=BB382_16 Depth=1
	v_cmp_ne_u16_sdwa s5, v18, v5 src0_sel:BYTE_1 src1_sel:DWORD
	v_bfrev_b32_e32 v123, 1
	s_and_saveexec_b32 s26, s5
	s_cbranch_execz .LBB382_706
; %bb.701:                              ;   in Loop: Header=BB382_16 Depth=1
	v_mov_b32_e32 v0, 0xffff
	v_mov_b32_e32 v123, 0x7f800001
	s_mov_b32 s27, exec_lo
	v_and_b32_sdwa v0, v0, v18 dst_sel:DWORD dst_unused:UNUSED_PAD src0_sel:DWORD src1_sel:BYTE_1
	v_and_b32_e32 v1, 0x7f, v0
	v_cmpx_ne_u32_e32 0x7f, v1
	s_cbranch_execz .LBB382_705
; %bb.702:                              ;   in Loop: Header=BB382_16 Depth=1
	v_and_b32_e32 v35, 7, v0
	v_mov_b32_e32 v36, v19
	v_lshrrev_b32_e32 v0, 3, v1
	s_mov_b32 s28, exec_lo
	v_cmpx_gt_u32_e32 8, v1
; %bb.703:                              ;   in Loop: Header=BB382_16 Depth=1
	v_ffbh_u32_e32 v0, v35
	v_min_u32_e32 v0, 32, v0
	v_subrev_nc_u32_e32 v1, 28, v0
	v_sub_nc_u32_e32 v0, 29, v0
	v_lshlrev_b64 v[1:2], v1, v[35:36]
	v_and_b32_e32 v35, 7, v1
; %bb.704:                              ;   in Loop: Header=BB382_16 Depth=1
	s_or_b32 exec_lo, exec_lo, s28
	v_lshlrev_b32_e32 v1, 16, v18
	v_lshlrev_b32_e32 v2, 20, v35
	v_lshl_add_u32 v0, v0, 23, 0x3c000000
	v_and_b32_e32 v1, 0x80000000, v1
	v_or3_b32 v123, v2, v1, v0
.LBB382_705:                            ;   in Loop: Header=BB382_16 Depth=1
	s_or_b32 exec_lo, exec_lo, s27
.LBB382_706:                            ;   in Loop: Header=BB382_16 Depth=1
	s_or_b32 exec_lo, exec_lo, s26
.LBB382_707:                            ;   in Loop: Header=BB382_16 Depth=1
	s_or_b32 exec_lo, exec_lo, s25
	v_mov_b32_e32 v0, 0xff
	v_mov_b32_e32 v124, 0
	;; [unrolled: 1-line block ×3, first 2 shown]
	s_mov_b32 s25, exec_lo
	v_and_b32_sdwa v0, v34, v0 dst_sel:DWORD dst_unused:UNUSED_PAD src0_sel:WORD_1 src1_sel:DWORD
	v_cmpx_ne_u16_e32 0, v0
	s_cbranch_execz .LBB382_715
; %bb.708:                              ;   in Loop: Header=BB382_16 Depth=1
	v_bfrev_b32_e32 v125, 1
	s_mov_b32 s26, exec_lo
	v_cmpx_ne_u16_e32 0x80, v0
	s_cbranch_execz .LBB382_714
; %bb.709:                              ;   in Loop: Header=BB382_16 Depth=1
	v_bfe_u32 v1, v34, 16, 7
	v_mov_b32_e32 v125, 0x7f800001
	s_mov_b32 s27, exec_lo
	v_cmpx_ne_u32_e32 0x7f, v1
	s_cbranch_execz .LBB382_713
; %bb.710:                              ;   in Loop: Header=BB382_16 Depth=1
	v_mov_b32_e32 v0, 7
	s_mov_b32 s28, exec_lo
	v_and_b32_sdwa v18, v34, v0 dst_sel:DWORD dst_unused:UNUSED_PAD src0_sel:WORD_1 src1_sel:DWORD
	v_mov_b32_e32 v36, v19
	v_lshrrev_b32_e32 v0, 3, v1
	v_mov_b32_e32 v35, v18
	v_cmpx_gt_u32_e32 8, v1
; %bb.711:                              ;   in Loop: Header=BB382_16 Depth=1
	v_ffbh_u32_e32 v0, v18
	v_min_u32_e32 v0, 32, v0
	v_subrev_nc_u32_e32 v1, 28, v0
	v_sub_nc_u32_e32 v0, 29, v0
	v_lshlrev_b64 v[1:2], v1, v[18:19]
	v_and_b32_e32 v35, 7, v1
; %bb.712:                              ;   in Loop: Header=BB382_16 Depth=1
	s_or_b32 exec_lo, exec_lo, s28
	v_mov_b32_e32 v1, 24
	v_lshlrev_b32_e32 v2, 20, v35
	v_lshl_add_u32 v0, v0, 23, 0x3c000000
	v_lshlrev_b32_sdwa v1, v1, v34 dst_sel:DWORD dst_unused:UNUSED_PAD src0_sel:DWORD src1_sel:WORD_1
	v_and_b32_e32 v1, 0x80000000, v1
	v_or3_b32 v125, v2, v1, v0
.LBB382_713:                            ;   in Loop: Header=BB382_16 Depth=1
	s_or_b32 exec_lo, exec_lo, s27
.LBB382_714:                            ;   in Loop: Header=BB382_16 Depth=1
	s_or_b32 exec_lo, exec_lo, s26
.LBB382_715:                            ;   in Loop: Header=BB382_16 Depth=1
	s_or_b32 exec_lo, exec_lo, s25
	s_mov_b32 s25, exec_lo
	v_cmpx_lt_u64_e64 s[20:21], v[33:34]
	s_cbranch_execz .LBB382_723
; %bb.716:                              ;   in Loop: Header=BB382_16 Depth=1
	v_cmp_ne_u32_sdwa s5, v34, v5 src0_sel:BYTE_3 src1_sel:DWORD
	v_bfrev_b32_e32 v124, 1
	s_and_saveexec_b32 s26, s5
	s_cbranch_execz .LBB382_722
; %bb.717:                              ;   in Loop: Header=BB382_16 Depth=1
	v_bfe_u32 v1, v34, 24, 7
	v_mov_b32_e32 v124, 0x7f800001
	s_mov_b32 s27, exec_lo
	v_cmpx_ne_u32_e32 0x7f, v1
	s_cbranch_execz .LBB382_721
; %bb.718:                              ;   in Loop: Header=BB382_16 Depth=1
	v_mov_b32_e32 v0, 7
	s_mov_b32 s28, exec_lo
	v_and_b32_sdwa v18, v34, v0 dst_sel:DWORD dst_unused:UNUSED_PAD src0_sel:BYTE_3 src1_sel:DWORD
	v_mov_b32_e32 v36, v19
	v_lshrrev_b32_e32 v0, 3, v1
	v_mov_b32_e32 v35, v18
	v_cmpx_gt_u32_e32 8, v1
; %bb.719:                              ;   in Loop: Header=BB382_16 Depth=1
	v_ffbh_u32_e32 v0, v18
	v_min_u32_e32 v0, 32, v0
	v_subrev_nc_u32_e32 v1, 28, v0
	v_sub_nc_u32_e32 v0, 29, v0
	v_lshlrev_b64 v[1:2], v1, v[18:19]
	v_and_b32_e32 v35, 7, v1
; %bb.720:                              ;   in Loop: Header=BB382_16 Depth=1
	s_or_b32 exec_lo, exec_lo, s28
	v_mov_b32_e32 v1, 24
	v_lshlrev_b32_e32 v2, 20, v35
	v_lshl_add_u32 v0, v0, 23, 0x3c000000
	v_lshlrev_b32_sdwa v1, v1, v34 dst_sel:DWORD dst_unused:UNUSED_PAD src0_sel:DWORD src1_sel:BYTE_3
	v_and_b32_e32 v1, 0x80000000, v1
	v_or3_b32 v124, v2, v1, v0
.LBB382_721:                            ;   in Loop: Header=BB382_16 Depth=1
	s_or_b32 exec_lo, exec_lo, s27
.LBB382_722:                            ;   in Loop: Header=BB382_16 Depth=1
	s_or_b32 exec_lo, exec_lo, s26
.LBB382_723:                            ;   in Loop: Header=BB382_16 Depth=1
	s_or_b32 exec_lo, exec_lo, s25
	flat_load_dwordx2 v[33:34], v[31:32] offset:520
	v_mov_b32_e32 v127, 0
	v_mov_b32_e32 v126, 0
	s_waitcnt vmcnt(0) lgkmcnt(0)
	v_cmp_ne_u16_sdwa s5, v33, v19 src0_sel:BYTE_0 src1_sel:DWORD
	s_and_saveexec_b32 s25, s5
	s_cbranch_execz .LBB382_731
; %bb.724:                              ;   in Loop: Header=BB382_16 Depth=1
	v_cmp_ne_u16_sdwa s5, v33, v5 src0_sel:BYTE_0 src1_sel:DWORD
	v_bfrev_b32_e32 v126, 1
	s_and_saveexec_b32 s26, s5
	s_cbranch_execz .LBB382_730
; %bb.725:                              ;   in Loop: Header=BB382_16 Depth=1
	v_and_b32_e32 v1, 0x7f, v33
	v_mov_b32_e32 v126, 0x7f800001
	s_mov_b32 s27, exec_lo
	v_cmpx_ne_u32_e32 0x7f, v1
	s_cbranch_execz .LBB382_729
; %bb.726:                              ;   in Loop: Header=BB382_16 Depth=1
	v_mov_b32_e32 v36, v34
	v_lshrrev_b32_e32 v0, 3, v1
	v_mov_b32_e32 v35, v33
	s_mov_b32 s28, exec_lo
	v_cmpx_gt_u32_e32 8, v1
; %bb.727:                              ;   in Loop: Header=BB382_16 Depth=1
	v_and_b32_e32 v0, 7, v33
	v_ffbh_u32_e32 v0, v0
	v_min_u32_e32 v0, 32, v0
	v_subrev_nc_u32_e32 v1, 28, v0
	v_sub_nc_u32_e32 v0, 29, v0
	v_lshlrev_b64 v[35:36], v1, v[33:34]
; %bb.728:                              ;   in Loop: Header=BB382_16 Depth=1
	s_or_b32 exec_lo, exec_lo, s28
	v_lshlrev_b32_e32 v1, 20, v35
	v_lshlrev_b32_e32 v2, 24, v33
	v_lshl_add_u32 v0, v0, 23, 0x3c000000
	v_and_b32_e32 v1, 0x700000, v1
	v_and_b32_e32 v2, 0x80000000, v2
	v_or3_b32 v126, v1, v2, v0
.LBB382_729:                            ;   in Loop: Header=BB382_16 Depth=1
	s_or_b32 exec_lo, exec_lo, s27
.LBB382_730:                            ;   in Loop: Header=BB382_16 Depth=1
	s_or_b32 exec_lo, exec_lo, s26
.LBB382_731:                            ;   in Loop: Header=BB382_16 Depth=1
	s_or_b32 exec_lo, exec_lo, s25
	v_cmp_ne_u16_sdwa s5, v33, v19 src0_sel:BYTE_1 src1_sel:DWORD
	s_and_saveexec_b32 s25, s5
	s_cbranch_execz .LBB382_739
; %bb.732:                              ;   in Loop: Header=BB382_16 Depth=1
	v_cmp_ne_u16_sdwa s5, v33, v5 src0_sel:BYTE_1 src1_sel:DWORD
	v_bfrev_b32_e32 v127, 1
	s_and_saveexec_b32 s26, s5
	s_cbranch_execz .LBB382_738
; %bb.733:                              ;   in Loop: Header=BB382_16 Depth=1
	v_mov_b32_e32 v0, 0xffff
	v_mov_b32_e32 v127, 0x7f800001
	s_mov_b32 s27, exec_lo
	v_and_b32_sdwa v0, v0, v33 dst_sel:DWORD dst_unused:UNUSED_PAD src0_sel:DWORD src1_sel:BYTE_1
	v_and_b32_e32 v1, 0x7f, v0
	v_cmpx_ne_u32_e32 0x7f, v1
	s_cbranch_execz .LBB382_737
; %bb.734:                              ;   in Loop: Header=BB382_16 Depth=1
	v_and_b32_e32 v18, 7, v0
	v_mov_b32_e32 v36, v19
	v_lshrrev_b32_e32 v0, 3, v1
	s_mov_b32 s28, exec_lo
	v_mov_b32_e32 v35, v18
	v_cmpx_gt_u32_e32 8, v1
; %bb.735:                              ;   in Loop: Header=BB382_16 Depth=1
	v_ffbh_u32_e32 v0, v18
	v_min_u32_e32 v0, 32, v0
	v_subrev_nc_u32_e32 v1, 28, v0
	v_sub_nc_u32_e32 v0, 29, v0
	v_lshlrev_b64 v[1:2], v1, v[18:19]
	v_and_b32_e32 v35, 7, v1
; %bb.736:                              ;   in Loop: Header=BB382_16 Depth=1
	s_or_b32 exec_lo, exec_lo, s28
	v_lshlrev_b32_e32 v1, 16, v33
	v_lshlrev_b32_e32 v2, 20, v35
	v_lshl_add_u32 v0, v0, 23, 0x3c000000
	v_and_b32_e32 v1, 0x80000000, v1
	v_or3_b32 v127, v2, v1, v0
.LBB382_737:                            ;   in Loop: Header=BB382_16 Depth=1
	s_or_b32 exec_lo, exec_lo, s27
.LBB382_738:                            ;   in Loop: Header=BB382_16 Depth=1
	s_or_b32 exec_lo, exec_lo, s26
.LBB382_739:                            ;   in Loop: Header=BB382_16 Depth=1
	s_or_b32 exec_lo, exec_lo, s25
	v_mov_b32_e32 v0, 0xff
	v_mov_b32_e32 v23, 0
	;; [unrolled: 1-line block ×3, first 2 shown]
	s_mov_b32 s25, exec_lo
	v_and_b32_sdwa v0, v33, v0 dst_sel:DWORD dst_unused:UNUSED_PAD src0_sel:WORD_1 src1_sel:DWORD
	v_cmpx_ne_u16_e32 0, v0
	s_cbranch_execz .LBB382_747
; %bb.740:                              ;   in Loop: Header=BB382_16 Depth=1
	v_bfrev_b32_e32 v22, 1
	s_mov_b32 s26, exec_lo
	v_cmpx_ne_u16_e32 0x80, v0
	s_cbranch_execz .LBB382_746
; %bb.741:                              ;   in Loop: Header=BB382_16 Depth=1
	v_bfe_u32 v1, v33, 16, 7
	v_mov_b32_e32 v22, 0x7f800001
	s_mov_b32 s27, exec_lo
	v_cmpx_ne_u32_e32 0x7f, v1
	s_cbranch_execz .LBB382_745
; %bb.742:                              ;   in Loop: Header=BB382_16 Depth=1
	v_mov_b32_e32 v0, 7
	s_mov_b32 s28, exec_lo
	v_and_b32_sdwa v18, v33, v0 dst_sel:DWORD dst_unused:UNUSED_PAD src0_sel:WORD_1 src1_sel:DWORD
	v_mov_b32_e32 v36, v19
	v_lshrrev_b32_e32 v0, 3, v1
	v_mov_b32_e32 v35, v18
	v_cmpx_gt_u32_e32 8, v1
; %bb.743:                              ;   in Loop: Header=BB382_16 Depth=1
	v_ffbh_u32_e32 v0, v18
	v_min_u32_e32 v0, 32, v0
	v_subrev_nc_u32_e32 v1, 28, v0
	v_sub_nc_u32_e32 v0, 29, v0
	v_lshlrev_b64 v[1:2], v1, v[18:19]
	v_and_b32_e32 v35, 7, v1
; %bb.744:                              ;   in Loop: Header=BB382_16 Depth=1
	s_or_b32 exec_lo, exec_lo, s28
	v_mov_b32_e32 v1, 24
	v_lshlrev_b32_e32 v2, 20, v35
	v_lshl_add_u32 v0, v0, 23, 0x3c000000
	v_lshlrev_b32_sdwa v1, v1, v33 dst_sel:DWORD dst_unused:UNUSED_PAD src0_sel:DWORD src1_sel:WORD_1
	v_and_b32_e32 v1, 0x80000000, v1
	v_or3_b32 v22, v2, v1, v0
.LBB382_745:                            ;   in Loop: Header=BB382_16 Depth=1
	s_or_b32 exec_lo, exec_lo, s27
.LBB382_746:                            ;   in Loop: Header=BB382_16 Depth=1
	s_or_b32 exec_lo, exec_lo, s26
.LBB382_747:                            ;   in Loop: Header=BB382_16 Depth=1
	s_or_b32 exec_lo, exec_lo, s25
	s_mov_b32 s25, exec_lo
	v_cmpx_lt_u32_e32 0xffffff, v33
	s_cbranch_execz .LBB382_755
; %bb.748:                              ;   in Loop: Header=BB382_16 Depth=1
	v_cmp_ne_u32_sdwa s5, v33, v5 src0_sel:BYTE_3 src1_sel:DWORD
	v_bfrev_b32_e32 v23, 1
	s_and_saveexec_b32 s26, s5
	s_cbranch_execz .LBB382_754
; %bb.749:                              ;   in Loop: Header=BB382_16 Depth=1
	v_bfe_u32 v1, v33, 24, 7
	v_mov_b32_e32 v23, 0x7f800001
	s_mov_b32 s27, exec_lo
	v_cmpx_ne_u32_e32 0x7f, v1
	s_cbranch_execz .LBB382_753
; %bb.750:                              ;   in Loop: Header=BB382_16 Depth=1
	v_mov_b32_e32 v0, 7
	s_mov_b32 s28, exec_lo
	v_and_b32_sdwa v18, v33, v0 dst_sel:DWORD dst_unused:UNUSED_PAD src0_sel:BYTE_3 src1_sel:DWORD
	v_mov_b32_e32 v36, v19
	v_lshrrev_b32_e32 v0, 3, v1
	v_mov_b32_e32 v35, v18
	v_cmpx_gt_u32_e32 8, v1
; %bb.751:                              ;   in Loop: Header=BB382_16 Depth=1
	v_ffbh_u32_e32 v0, v18
	v_min_u32_e32 v0, 32, v0
	v_subrev_nc_u32_e32 v1, 28, v0
	v_sub_nc_u32_e32 v0, 29, v0
	v_lshlrev_b64 v[1:2], v1, v[18:19]
	v_and_b32_e32 v35, 7, v1
; %bb.752:                              ;   in Loop: Header=BB382_16 Depth=1
	s_or_b32 exec_lo, exec_lo, s28
	v_mov_b32_e32 v1, 24
	v_lshlrev_b32_e32 v2, 20, v35
	v_lshl_add_u32 v0, v0, 23, 0x3c000000
	v_lshlrev_b32_sdwa v1, v1, v33 dst_sel:DWORD dst_unused:UNUSED_PAD src0_sel:DWORD src1_sel:BYTE_3
	v_and_b32_e32 v1, 0x80000000, v1
	v_or3_b32 v23, v2, v1, v0
.LBB382_753:                            ;   in Loop: Header=BB382_16 Depth=1
	s_or_b32 exec_lo, exec_lo, s27
.LBB382_754:                            ;   in Loop: Header=BB382_16 Depth=1
	s_or_b32 exec_lo, exec_lo, s26
.LBB382_755:                            ;   in Loop: Header=BB382_16 Depth=1
	s_or_b32 exec_lo, exec_lo, s25
	v_mov_b32_e32 v18, v34
	v_cmp_ne_u16_sdwa s5, v34, v19 src0_sel:BYTE_0 src1_sel:DWORD
	v_mov_b32_e32 v4, 0
	v_mov_b32_e32 v12, 0
	s_and_saveexec_b32 s25, s5
	s_cbranch_execz .LBB382_763
; %bb.756:                              ;   in Loop: Header=BB382_16 Depth=1
	v_cmp_ne_u16_sdwa s5, v34, v5 src0_sel:BYTE_0 src1_sel:DWORD
	v_bfrev_b32_e32 v12, 1
	s_and_saveexec_b32 s26, s5
	s_cbranch_execz .LBB382_762
; %bb.757:                              ;   in Loop: Header=BB382_16 Depth=1
	v_and_b32_e32 v1, 0x7f, v34
	v_mov_b32_e32 v12, 0x7f800001
	s_mov_b32 s27, exec_lo
	v_cmpx_ne_u32_e32 0x7f, v1
	s_cbranch_execz .LBB382_761
; %bb.758:                              ;   in Loop: Header=BB382_16 Depth=1
	v_mov_b32_e32 v36, v19
	v_lshrrev_b32_e32 v0, 3, v1
	v_mov_b32_e32 v35, v18
	s_mov_b32 s28, exec_lo
	v_cmpx_gt_u32_e32 8, v1
; %bb.759:                              ;   in Loop: Header=BB382_16 Depth=1
	v_and_b32_e32 v0, 7, v34
	v_ffbh_u32_e32 v0, v0
	v_min_u32_e32 v0, 32, v0
	v_subrev_nc_u32_e32 v1, 28, v0
	v_sub_nc_u32_e32 v0, 29, v0
	v_lshlrev_b64 v[35:36], v1, v[18:19]
; %bb.760:                              ;   in Loop: Header=BB382_16 Depth=1
	s_or_b32 exec_lo, exec_lo, s28
	v_lshlrev_b32_e32 v1, 20, v35
	v_lshlrev_b32_e32 v2, 24, v18
	v_lshl_add_u32 v0, v0, 23, 0x3c000000
	v_and_b32_e32 v1, 0x700000, v1
	v_and_b32_e32 v2, 0x80000000, v2
	v_or3_b32 v12, v1, v2, v0
.LBB382_761:                            ;   in Loop: Header=BB382_16 Depth=1
	s_or_b32 exec_lo, exec_lo, s27
.LBB382_762:                            ;   in Loop: Header=BB382_16 Depth=1
	s_or_b32 exec_lo, exec_lo, s26
.LBB382_763:                            ;   in Loop: Header=BB382_16 Depth=1
	s_or_b32 exec_lo, exec_lo, s25
	v_cmp_ne_u16_sdwa s5, v18, v19 src0_sel:BYTE_1 src1_sel:DWORD
	s_and_saveexec_b32 s25, s5
	s_cbranch_execz .LBB382_771
; %bb.764:                              ;   in Loop: Header=BB382_16 Depth=1
	v_cmp_ne_u16_sdwa s5, v18, v5 src0_sel:BYTE_1 src1_sel:DWORD
	v_bfrev_b32_e32 v4, 1
	s_and_saveexec_b32 s26, s5
	s_cbranch_execz .LBB382_770
; %bb.765:                              ;   in Loop: Header=BB382_16 Depth=1
	v_mov_b32_e32 v0, 0xffff
	v_mov_b32_e32 v4, 0x7f800001
	s_mov_b32 s27, exec_lo
	v_and_b32_sdwa v0, v0, v18 dst_sel:DWORD dst_unused:UNUSED_PAD src0_sel:DWORD src1_sel:BYTE_1
	v_and_b32_e32 v1, 0x7f, v0
	v_cmpx_ne_u32_e32 0x7f, v1
	s_cbranch_execz .LBB382_769
; %bb.766:                              ;   in Loop: Header=BB382_16 Depth=1
	v_and_b32_e32 v35, 7, v0
	v_mov_b32_e32 v36, v19
	v_lshrrev_b32_e32 v0, 3, v1
	s_mov_b32 s28, exec_lo
	v_cmpx_gt_u32_e32 8, v1
; %bb.767:                              ;   in Loop: Header=BB382_16 Depth=1
	v_ffbh_u32_e32 v0, v35
	v_min_u32_e32 v0, 32, v0
	v_subrev_nc_u32_e32 v1, 28, v0
	v_sub_nc_u32_e32 v0, 29, v0
	v_lshlrev_b64 v[1:2], v1, v[35:36]
	v_and_b32_e32 v35, 7, v1
; %bb.768:                              ;   in Loop: Header=BB382_16 Depth=1
	s_or_b32 exec_lo, exec_lo, s28
	v_lshlrev_b32_e32 v1, 16, v18
	v_lshlrev_b32_e32 v2, 20, v35
	v_lshl_add_u32 v0, v0, 23, 0x3c000000
	v_and_b32_e32 v1, 0x80000000, v1
	v_or3_b32 v4, v2, v1, v0
.LBB382_769:                            ;   in Loop: Header=BB382_16 Depth=1
	s_or_b32 exec_lo, exec_lo, s27
.LBB382_770:                            ;   in Loop: Header=BB382_16 Depth=1
	s_or_b32 exec_lo, exec_lo, s26
.LBB382_771:                            ;   in Loop: Header=BB382_16 Depth=1
	s_or_b32 exec_lo, exec_lo, s25
	v_mov_b32_e32 v0, 0xff
	v_mov_b32_e32 v8, 0
	s_mov_b32 s25, exec_lo
	v_and_b32_sdwa v1, v34, v0 dst_sel:DWORD dst_unused:UNUSED_PAD src0_sel:WORD_1 src1_sel:DWORD
	v_mov_b32_e32 v0, 0
	v_cmpx_ne_u16_e32 0, v1
	s_cbranch_execz .LBB382_779
; %bb.772:                              ;   in Loop: Header=BB382_16 Depth=1
	v_bfrev_b32_e32 v8, 1
	s_mov_b32 s26, exec_lo
	v_cmpx_ne_u16_e32 0x80, v1
	s_cbranch_execz .LBB382_778
; %bb.773:                              ;   in Loop: Header=BB382_16 Depth=1
	v_bfe_u32 v2, v34, 16, 7
	v_mov_b32_e32 v8, 0x7f800001
	s_mov_b32 s27, exec_lo
	v_cmpx_ne_u32_e32 0x7f, v2
	s_cbranch_execz .LBB382_777
; %bb.774:                              ;   in Loop: Header=BB382_16 Depth=1
	v_mov_b32_e32 v1, 7
	s_mov_b32 s28, exec_lo
	v_and_b32_sdwa v18, v34, v1 dst_sel:DWORD dst_unused:UNUSED_PAD src0_sel:WORD_1 src1_sel:DWORD
	v_mov_b32_e32 v36, v19
	v_lshrrev_b32_e32 v1, 3, v2
	v_mov_b32_e32 v35, v18
	v_cmpx_gt_u32_e32 8, v2
; %bb.775:                              ;   in Loop: Header=BB382_16 Depth=1
	v_ffbh_u32_e32 v1, v18
	v_min_u32_e32 v1, 32, v1
	v_subrev_nc_u32_e32 v2, 28, v1
	v_sub_nc_u32_e32 v1, 29, v1
	v_lshlrev_b64 v[2:3], v2, v[18:19]
	v_and_b32_e32 v35, 7, v2
; %bb.776:                              ;   in Loop: Header=BB382_16 Depth=1
	s_or_b32 exec_lo, exec_lo, s28
	v_mov_b32_e32 v2, 24
	v_lshlrev_b32_e32 v3, 20, v35
	v_lshl_add_u32 v1, v1, 23, 0x3c000000
	v_lshlrev_b32_sdwa v2, v2, v34 dst_sel:DWORD dst_unused:UNUSED_PAD src0_sel:DWORD src1_sel:WORD_1
	v_and_b32_e32 v2, 0x80000000, v2
	v_or3_b32 v8, v3, v2, v1
.LBB382_777:                            ;   in Loop: Header=BB382_16 Depth=1
	s_or_b32 exec_lo, exec_lo, s27
.LBB382_778:                            ;   in Loop: Header=BB382_16 Depth=1
	s_or_b32 exec_lo, exec_lo, s26
.LBB382_779:                            ;   in Loop: Header=BB382_16 Depth=1
	s_or_b32 exec_lo, exec_lo, s25
	s_mov_b32 s25, exec_lo
	v_cmpx_lt_u64_e64 s[20:21], v[33:34]
	s_cbranch_execz .LBB382_787
; %bb.780:                              ;   in Loop: Header=BB382_16 Depth=1
	v_cmp_ne_u32_sdwa s5, v34, v5 src0_sel:BYTE_3 src1_sel:DWORD
	v_bfrev_b32_e32 v0, 1
	s_and_saveexec_b32 s26, s5
	s_cbranch_execz .LBB382_786
; %bb.781:                              ;   in Loop: Header=BB382_16 Depth=1
	v_bfe_u32 v1, v34, 24, 7
	v_mov_b32_e32 v0, 0x7f800001
	s_mov_b32 s27, exec_lo
	v_cmpx_ne_u32_e32 0x7f, v1
	s_cbranch_execz .LBB382_785
; %bb.782:                              ;   in Loop: Header=BB382_16 Depth=1
	v_mov_b32_e32 v0, 7
	s_mov_b32 s28, exec_lo
	v_and_b32_sdwa v18, v34, v0 dst_sel:DWORD dst_unused:UNUSED_PAD src0_sel:BYTE_3 src1_sel:DWORD
	v_mov_b32_e32 v36, v19
	v_lshrrev_b32_e32 v0, 3, v1
	v_mov_b32_e32 v35, v18
	v_cmpx_gt_u32_e32 8, v1
; %bb.783:                              ;   in Loop: Header=BB382_16 Depth=1
	v_ffbh_u32_e32 v0, v18
	v_min_u32_e32 v0, 32, v0
	v_subrev_nc_u32_e32 v1, 28, v0
	v_sub_nc_u32_e32 v0, 29, v0
	v_lshlrev_b64 v[1:2], v1, v[18:19]
	v_and_b32_e32 v35, 7, v1
; %bb.784:                              ;   in Loop: Header=BB382_16 Depth=1
	s_or_b32 exec_lo, exec_lo, s28
	v_mov_b32_e32 v1, 24
	v_lshlrev_b32_e32 v2, 20, v35
	v_lshl_add_u32 v0, v0, 23, 0x3c000000
	v_lshlrev_b32_sdwa v1, v1, v34 dst_sel:DWORD dst_unused:UNUSED_PAD src0_sel:DWORD src1_sel:BYTE_3
	v_and_b32_e32 v1, 0x80000000, v1
	v_or3_b32 v0, v2, v1, v0
.LBB382_785:                            ;   in Loop: Header=BB382_16 Depth=1
	s_or_b32 exec_lo, exec_lo, s27
.LBB382_786:                            ;   in Loop: Header=BB382_16 Depth=1
	s_or_b32 exec_lo, exec_lo, s26
.LBB382_787:                            ;   in Loop: Header=BB382_16 Depth=1
	s_or_b32 exec_lo, exec_lo, s25
	flat_load_dwordx2 v[33:34], v[31:32] offset:1024
	v_mov_b32_e32 v26, 0
	v_mov_b32_e32 v9, 0
	s_waitcnt vmcnt(0) lgkmcnt(0)
	v_cmp_ne_u16_sdwa s5, v33, v19 src0_sel:BYTE_0 src1_sel:DWORD
	s_and_saveexec_b32 s25, s5
	s_cbranch_execz .LBB382_795
; %bb.788:                              ;   in Loop: Header=BB382_16 Depth=1
	v_cmp_ne_u16_sdwa s5, v33, v5 src0_sel:BYTE_0 src1_sel:DWORD
	v_bfrev_b32_e32 v9, 1
	s_and_saveexec_b32 s26, s5
	s_cbranch_execz .LBB382_794
; %bb.789:                              ;   in Loop: Header=BB382_16 Depth=1
	v_and_b32_e32 v2, 0x7f, v33
	v_mov_b32_e32 v9, 0x7f800001
	s_mov_b32 s27, exec_lo
	v_cmpx_ne_u32_e32 0x7f, v2
	s_cbranch_execz .LBB382_793
; %bb.790:                              ;   in Loop: Header=BB382_16 Depth=1
	v_mov_b32_e32 v36, v34
	v_lshrrev_b32_e32 v1, 3, v2
	v_mov_b32_e32 v35, v33
	s_mov_b32 s28, exec_lo
	v_cmpx_gt_u32_e32 8, v2
; %bb.791:                              ;   in Loop: Header=BB382_16 Depth=1
	v_and_b32_e32 v1, 7, v33
	v_ffbh_u32_e32 v1, v1
	v_min_u32_e32 v1, 32, v1
	v_subrev_nc_u32_e32 v2, 28, v1
	v_sub_nc_u32_e32 v1, 29, v1
	v_lshlrev_b64 v[35:36], v2, v[33:34]
; %bb.792:                              ;   in Loop: Header=BB382_16 Depth=1
	s_or_b32 exec_lo, exec_lo, s28
	v_lshlrev_b32_e32 v2, 20, v35
	v_lshlrev_b32_e32 v3, 24, v33
	v_lshl_add_u32 v1, v1, 23, 0x3c000000
	v_and_b32_e32 v2, 0x700000, v2
	v_and_b32_e32 v3, 0x80000000, v3
	v_or3_b32 v9, v2, v3, v1
.LBB382_793:                            ;   in Loop: Header=BB382_16 Depth=1
	s_or_b32 exec_lo, exec_lo, s27
.LBB382_794:                            ;   in Loop: Header=BB382_16 Depth=1
	s_or_b32 exec_lo, exec_lo, s26
.LBB382_795:                            ;   in Loop: Header=BB382_16 Depth=1
	s_or_b32 exec_lo, exec_lo, s25
	v_cmp_ne_u16_sdwa s5, v33, v19 src0_sel:BYTE_1 src1_sel:DWORD
	s_and_saveexec_b32 s25, s5
	s_cbranch_execz .LBB382_803
; %bb.796:                              ;   in Loop: Header=BB382_16 Depth=1
	v_cmp_ne_u16_sdwa s5, v33, v5 src0_sel:BYTE_1 src1_sel:DWORD
	v_bfrev_b32_e32 v26, 1
	s_and_saveexec_b32 s26, s5
	s_cbranch_execz .LBB382_802
; %bb.797:                              ;   in Loop: Header=BB382_16 Depth=1
	v_mov_b32_e32 v1, 0xffff
	v_mov_b32_e32 v26, 0x7f800001
	s_mov_b32 s27, exec_lo
	v_and_b32_sdwa v1, v1, v33 dst_sel:DWORD dst_unused:UNUSED_PAD src0_sel:DWORD src1_sel:BYTE_1
	v_and_b32_e32 v2, 0x7f, v1
	v_cmpx_ne_u32_e32 0x7f, v2
	s_cbranch_execz .LBB382_801
; %bb.798:                              ;   in Loop: Header=BB382_16 Depth=1
	v_and_b32_e32 v18, 7, v1
	v_mov_b32_e32 v36, v19
	v_lshrrev_b32_e32 v1, 3, v2
	s_mov_b32 s28, exec_lo
	v_mov_b32_e32 v35, v18
	v_cmpx_gt_u32_e32 8, v2
; %bb.799:                              ;   in Loop: Header=BB382_16 Depth=1
	v_ffbh_u32_e32 v1, v18
	v_min_u32_e32 v1, 32, v1
	v_subrev_nc_u32_e32 v2, 28, v1
	v_sub_nc_u32_e32 v1, 29, v1
	v_lshlrev_b64 v[2:3], v2, v[18:19]
	v_and_b32_e32 v35, 7, v2
; %bb.800:                              ;   in Loop: Header=BB382_16 Depth=1
	s_or_b32 exec_lo, exec_lo, s28
	v_lshlrev_b32_e32 v2, 16, v33
	v_lshlrev_b32_e32 v3, 20, v35
	v_lshl_add_u32 v1, v1, 23, 0x3c000000
	v_and_b32_e32 v2, 0x80000000, v2
	v_or3_b32 v26, v3, v2, v1
.LBB382_801:                            ;   in Loop: Header=BB382_16 Depth=1
	s_or_b32 exec_lo, exec_lo, s27
.LBB382_802:                            ;   in Loop: Header=BB382_16 Depth=1
	s_or_b32 exec_lo, exec_lo, s26
.LBB382_803:                            ;   in Loop: Header=BB382_16 Depth=1
	s_or_b32 exec_lo, exec_lo, s25
	v_mov_b32_e32 v1, 0xff
	v_mov_b32_e32 v13, 0
	s_mov_b32 s25, exec_lo
	v_and_b32_sdwa v2, v33, v1 dst_sel:DWORD dst_unused:UNUSED_PAD src0_sel:WORD_1 src1_sel:DWORD
	v_mov_b32_e32 v1, 0
	v_cmpx_ne_u16_e32 0, v2
	s_cbranch_execz .LBB382_811
; %bb.804:                              ;   in Loop: Header=BB382_16 Depth=1
	v_bfrev_b32_e32 v1, 1
	s_mov_b32 s26, exec_lo
	v_cmpx_ne_u16_e32 0x80, v2
	s_cbranch_execz .LBB382_810
; %bb.805:                              ;   in Loop: Header=BB382_16 Depth=1
	v_bfe_u32 v2, v33, 16, 7
	v_mov_b32_e32 v1, 0x7f800001
	s_mov_b32 s27, exec_lo
	v_cmpx_ne_u32_e32 0x7f, v2
	s_cbranch_execz .LBB382_809
; %bb.806:                              ;   in Loop: Header=BB382_16 Depth=1
	v_mov_b32_e32 v1, 7
	s_mov_b32 s28, exec_lo
	v_and_b32_sdwa v18, v33, v1 dst_sel:DWORD dst_unused:UNUSED_PAD src0_sel:WORD_1 src1_sel:DWORD
	v_mov_b32_e32 v36, v19
	v_lshrrev_b32_e32 v1, 3, v2
	v_mov_b32_e32 v35, v18
	v_cmpx_gt_u32_e32 8, v2
; %bb.807:                              ;   in Loop: Header=BB382_16 Depth=1
	v_ffbh_u32_e32 v1, v18
	v_min_u32_e32 v1, 32, v1
	v_subrev_nc_u32_e32 v2, 28, v1
	v_sub_nc_u32_e32 v1, 29, v1
	v_lshlrev_b64 v[2:3], v2, v[18:19]
	v_and_b32_e32 v35, 7, v2
; %bb.808:                              ;   in Loop: Header=BB382_16 Depth=1
	s_or_b32 exec_lo, exec_lo, s28
	v_mov_b32_e32 v2, 24
	v_lshlrev_b32_e32 v3, 20, v35
	v_lshl_add_u32 v1, v1, 23, 0x3c000000
	v_lshlrev_b32_sdwa v2, v2, v33 dst_sel:DWORD dst_unused:UNUSED_PAD src0_sel:DWORD src1_sel:WORD_1
	v_and_b32_e32 v2, 0x80000000, v2
	v_or3_b32 v1, v3, v2, v1
.LBB382_809:                            ;   in Loop: Header=BB382_16 Depth=1
	s_or_b32 exec_lo, exec_lo, s27
.LBB382_810:                            ;   in Loop: Header=BB382_16 Depth=1
	s_or_b32 exec_lo, exec_lo, s26
.LBB382_811:                            ;   in Loop: Header=BB382_16 Depth=1
	s_or_b32 exec_lo, exec_lo, s25
	s_mov_b32 s25, exec_lo
	v_cmpx_lt_u32_e32 0xffffff, v33
	s_cbranch_execz .LBB382_819
; %bb.812:                              ;   in Loop: Header=BB382_16 Depth=1
	v_cmp_ne_u32_sdwa s5, v33, v5 src0_sel:BYTE_3 src1_sel:DWORD
	v_bfrev_b32_e32 v13, 1
	s_and_saveexec_b32 s26, s5
	s_cbranch_execz .LBB382_818
; %bb.813:                              ;   in Loop: Header=BB382_16 Depth=1
	v_bfe_u32 v3, v33, 24, 7
	v_mov_b32_e32 v13, 0x7f800001
	s_mov_b32 s27, exec_lo
	v_cmpx_ne_u32_e32 0x7f, v3
	s_cbranch_execz .LBB382_817
; %bb.814:                              ;   in Loop: Header=BB382_16 Depth=1
	v_mov_b32_e32 v2, 7
	s_mov_b32 s28, exec_lo
	v_and_b32_sdwa v18, v33, v2 dst_sel:DWORD dst_unused:UNUSED_PAD src0_sel:BYTE_3 src1_sel:DWORD
	v_mov_b32_e32 v36, v19
	v_lshrrev_b32_e32 v2, 3, v3
	v_mov_b32_e32 v35, v18
	v_cmpx_gt_u32_e32 8, v3
; %bb.815:                              ;   in Loop: Header=BB382_16 Depth=1
	v_ffbh_u32_e32 v2, v18
	v_min_u32_e32 v2, 32, v2
	v_subrev_nc_u32_e32 v3, 28, v2
	v_sub_nc_u32_e32 v2, 29, v2
	v_lshlrev_b64 v[6:7], v3, v[18:19]
	v_and_b32_e32 v35, 7, v6
; %bb.816:                              ;   in Loop: Header=BB382_16 Depth=1
	s_or_b32 exec_lo, exec_lo, s28
	v_mov_b32_e32 v3, 24
	v_lshlrev_b32_e32 v6, 20, v35
	v_lshl_add_u32 v2, v2, 23, 0x3c000000
	v_lshlrev_b32_sdwa v3, v3, v33 dst_sel:DWORD dst_unused:UNUSED_PAD src0_sel:DWORD src1_sel:BYTE_3
	v_and_b32_e32 v3, 0x80000000, v3
	v_or3_b32 v13, v6, v3, v2
.LBB382_817:                            ;   in Loop: Header=BB382_16 Depth=1
	s_or_b32 exec_lo, exec_lo, s27
.LBB382_818:                            ;   in Loop: Header=BB382_16 Depth=1
	s_or_b32 exec_lo, exec_lo, s26
.LBB382_819:                            ;   in Loop: Header=BB382_16 Depth=1
	s_or_b32 exec_lo, exec_lo, s25
	v_mov_b32_e32 v18, v34
	v_cmp_ne_u16_sdwa s5, v34, v19 src0_sel:BYTE_0 src1_sel:DWORD
	v_mov_b32_e32 v74, 0
	v_mov_b32_e32 v91, 0
	s_and_saveexec_b32 s25, s5
	s_cbranch_execz .LBB382_827
; %bb.820:                              ;   in Loop: Header=BB382_16 Depth=1
	v_cmp_ne_u16_sdwa s5, v34, v5 src0_sel:BYTE_0 src1_sel:DWORD
	v_bfrev_b32_e32 v91, 1
	s_and_saveexec_b32 s26, s5
	s_cbranch_execz .LBB382_826
; %bb.821:                              ;   in Loop: Header=BB382_16 Depth=1
	v_and_b32_e32 v3, 0x7f, v34
	v_mov_b32_e32 v91, 0x7f800001
	s_mov_b32 s27, exec_lo
	v_cmpx_ne_u32_e32 0x7f, v3
	s_cbranch_execz .LBB382_825
; %bb.822:                              ;   in Loop: Header=BB382_16 Depth=1
	v_mov_b32_e32 v36, v19
	v_lshrrev_b32_e32 v2, 3, v3
	v_mov_b32_e32 v35, v18
	s_mov_b32 s28, exec_lo
	v_cmpx_gt_u32_e32 8, v3
; %bb.823:                              ;   in Loop: Header=BB382_16 Depth=1
	v_and_b32_e32 v2, 7, v34
	v_ffbh_u32_e32 v2, v2
	v_min_u32_e32 v2, 32, v2
	v_subrev_nc_u32_e32 v3, 28, v2
	v_sub_nc_u32_e32 v2, 29, v2
	v_lshlrev_b64 v[35:36], v3, v[18:19]
; %bb.824:                              ;   in Loop: Header=BB382_16 Depth=1
	s_or_b32 exec_lo, exec_lo, s28
	v_lshlrev_b32_e32 v3, 20, v35
	v_lshlrev_b32_e32 v6, 24, v18
	v_lshl_add_u32 v2, v2, 23, 0x3c000000
	v_and_b32_e32 v3, 0x700000, v3
	v_and_b32_e32 v6, 0x80000000, v6
	v_or3_b32 v91, v3, v6, v2
.LBB382_825:                            ;   in Loop: Header=BB382_16 Depth=1
	s_or_b32 exec_lo, exec_lo, s27
.LBB382_826:                            ;   in Loop: Header=BB382_16 Depth=1
	s_or_b32 exec_lo, exec_lo, s26
.LBB382_827:                            ;   in Loop: Header=BB382_16 Depth=1
	s_or_b32 exec_lo, exec_lo, s25
	v_cmp_ne_u16_sdwa s5, v18, v19 src0_sel:BYTE_1 src1_sel:DWORD
	s_and_saveexec_b32 s25, s5
	s_cbranch_execz .LBB382_835
; %bb.828:                              ;   in Loop: Header=BB382_16 Depth=1
	v_cmp_ne_u16_sdwa s5, v18, v5 src0_sel:BYTE_1 src1_sel:DWORD
	v_bfrev_b32_e32 v74, 1
	s_and_saveexec_b32 s26, s5
	s_cbranch_execz .LBB382_834
; %bb.829:                              ;   in Loop: Header=BB382_16 Depth=1
	v_mov_b32_e32 v2, 0xffff
	v_mov_b32_e32 v74, 0x7f800001
	s_mov_b32 s27, exec_lo
	v_and_b32_sdwa v2, v2, v18 dst_sel:DWORD dst_unused:UNUSED_PAD src0_sel:DWORD src1_sel:BYTE_1
	v_and_b32_e32 v3, 0x7f, v2
	v_cmpx_ne_u32_e32 0x7f, v3
	s_cbranch_execz .LBB382_833
; %bb.830:                              ;   in Loop: Header=BB382_16 Depth=1
	v_and_b32_e32 v35, 7, v2
	v_mov_b32_e32 v36, v19
	v_lshrrev_b32_e32 v2, 3, v3
	s_mov_b32 s28, exec_lo
	v_cmpx_gt_u32_e32 8, v3
; %bb.831:                              ;   in Loop: Header=BB382_16 Depth=1
	v_ffbh_u32_e32 v2, v35
	v_min_u32_e32 v2, 32, v2
	v_subrev_nc_u32_e32 v3, 28, v2
	v_sub_nc_u32_e32 v2, 29, v2
	v_lshlrev_b64 v[6:7], v3, v[35:36]
	v_and_b32_e32 v35, 7, v6
; %bb.832:                              ;   in Loop: Header=BB382_16 Depth=1
	s_or_b32 exec_lo, exec_lo, s28
	v_lshlrev_b32_e32 v3, 16, v18
	v_lshlrev_b32_e32 v6, 20, v35
	v_lshl_add_u32 v2, v2, 23, 0x3c000000
	v_and_b32_e32 v3, 0x80000000, v3
	v_or3_b32 v74, v6, v3, v2
.LBB382_833:                            ;   in Loop: Header=BB382_16 Depth=1
	s_or_b32 exec_lo, exec_lo, s27
.LBB382_834:                            ;   in Loop: Header=BB382_16 Depth=1
	s_or_b32 exec_lo, exec_lo, s26
.LBB382_835:                            ;   in Loop: Header=BB382_16 Depth=1
	s_or_b32 exec_lo, exec_lo, s25
	v_mov_b32_e32 v2, 0xff
	v_mov_b32_e32 v37, 0
	v_mov_b32_e32 v39, 0
	s_mov_b32 s25, exec_lo
	v_and_b32_sdwa v2, v34, v2 dst_sel:DWORD dst_unused:UNUSED_PAD src0_sel:WORD_1 src1_sel:DWORD
	v_cmpx_ne_u16_e32 0, v2
	s_cbranch_execz .LBB382_843
; %bb.836:                              ;   in Loop: Header=BB382_16 Depth=1
	v_bfrev_b32_e32 v39, 1
	s_mov_b32 s26, exec_lo
	v_cmpx_ne_u16_e32 0x80, v2
	s_cbranch_execz .LBB382_842
; %bb.837:                              ;   in Loop: Header=BB382_16 Depth=1
	v_bfe_u32 v3, v34, 16, 7
	v_mov_b32_e32 v39, 0x7f800001
	s_mov_b32 s27, exec_lo
	v_cmpx_ne_u32_e32 0x7f, v3
	s_cbranch_execz .LBB382_841
; %bb.838:                              ;   in Loop: Header=BB382_16 Depth=1
	v_mov_b32_e32 v2, 7
	s_mov_b32 s28, exec_lo
	v_and_b32_sdwa v18, v34, v2 dst_sel:DWORD dst_unused:UNUSED_PAD src0_sel:WORD_1 src1_sel:DWORD
	v_mov_b32_e32 v36, v19
	v_lshrrev_b32_e32 v2, 3, v3
	v_mov_b32_e32 v35, v18
	v_cmpx_gt_u32_e32 8, v3
; %bb.839:                              ;   in Loop: Header=BB382_16 Depth=1
	v_ffbh_u32_e32 v2, v18
	v_min_u32_e32 v2, 32, v2
	v_subrev_nc_u32_e32 v3, 28, v2
	v_sub_nc_u32_e32 v2, 29, v2
	v_lshlrev_b64 v[6:7], v3, v[18:19]
	v_and_b32_e32 v35, 7, v6
; %bb.840:                              ;   in Loop: Header=BB382_16 Depth=1
	s_or_b32 exec_lo, exec_lo, s28
	v_mov_b32_e32 v3, 24
	v_lshlrev_b32_e32 v6, 20, v35
	v_lshl_add_u32 v2, v2, 23, 0x3c000000
	v_lshlrev_b32_sdwa v3, v3, v34 dst_sel:DWORD dst_unused:UNUSED_PAD src0_sel:DWORD src1_sel:WORD_1
	v_and_b32_e32 v3, 0x80000000, v3
	v_or3_b32 v39, v6, v3, v2
.LBB382_841:                            ;   in Loop: Header=BB382_16 Depth=1
	s_or_b32 exec_lo, exec_lo, s27
.LBB382_842:                            ;   in Loop: Header=BB382_16 Depth=1
	s_or_b32 exec_lo, exec_lo, s26
.LBB382_843:                            ;   in Loop: Header=BB382_16 Depth=1
	s_or_b32 exec_lo, exec_lo, s25
	s_mov_b32 s25, exec_lo
	v_cmpx_lt_u64_e64 s[20:21], v[33:34]
	s_cbranch_execz .LBB382_851
; %bb.844:                              ;   in Loop: Header=BB382_16 Depth=1
	v_cmp_ne_u32_sdwa s5, v34, v5 src0_sel:BYTE_3 src1_sel:DWORD
	v_bfrev_b32_e32 v37, 1
	s_and_saveexec_b32 s26, s5
	s_cbranch_execz .LBB382_850
; %bb.845:                              ;   in Loop: Header=BB382_16 Depth=1
	v_bfe_u32 v3, v34, 24, 7
	v_mov_b32_e32 v37, 0x7f800001
	s_mov_b32 s27, exec_lo
	v_cmpx_ne_u32_e32 0x7f, v3
	s_cbranch_execz .LBB382_849
; %bb.846:                              ;   in Loop: Header=BB382_16 Depth=1
	v_mov_b32_e32 v2, 7
	s_mov_b32 s28, exec_lo
	v_and_b32_sdwa v18, v34, v2 dst_sel:DWORD dst_unused:UNUSED_PAD src0_sel:BYTE_3 src1_sel:DWORD
	v_mov_b32_e32 v36, v19
	v_lshrrev_b32_e32 v2, 3, v3
	v_mov_b32_e32 v35, v18
	v_cmpx_gt_u32_e32 8, v3
; %bb.847:                              ;   in Loop: Header=BB382_16 Depth=1
	v_ffbh_u32_e32 v2, v18
	v_min_u32_e32 v2, 32, v2
	v_subrev_nc_u32_e32 v3, 28, v2
	v_sub_nc_u32_e32 v2, 29, v2
	v_lshlrev_b64 v[6:7], v3, v[18:19]
	v_and_b32_e32 v35, 7, v6
; %bb.848:                              ;   in Loop: Header=BB382_16 Depth=1
	s_or_b32 exec_lo, exec_lo, s28
	v_mov_b32_e32 v3, 24
	v_lshlrev_b32_e32 v6, 20, v35
	v_lshl_add_u32 v2, v2, 23, 0x3c000000
	v_lshlrev_b32_sdwa v3, v3, v34 dst_sel:DWORD dst_unused:UNUSED_PAD src0_sel:DWORD src1_sel:BYTE_3
	v_and_b32_e32 v3, 0x80000000, v3
	v_or3_b32 v37, v6, v3, v2
.LBB382_849:                            ;   in Loop: Header=BB382_16 Depth=1
	s_or_b32 exec_lo, exec_lo, s27
.LBB382_850:                            ;   in Loop: Header=BB382_16 Depth=1
	s_or_b32 exec_lo, exec_lo, s26
.LBB382_851:                            ;   in Loop: Header=BB382_16 Depth=1
	s_or_b32 exec_lo, exec_lo, s25
	flat_load_dwordx2 v[33:34], v[31:32] offset:1032
	v_mov_b32_e32 v48, 0
	v_mov_b32_e32 v55, 0
	s_waitcnt vmcnt(0) lgkmcnt(0)
	v_cmp_ne_u16_sdwa s5, v33, v19 src0_sel:BYTE_0 src1_sel:DWORD
	s_and_saveexec_b32 s25, s5
	s_cbranch_execz .LBB382_859
; %bb.852:                              ;   in Loop: Header=BB382_16 Depth=1
	v_cmp_ne_u16_sdwa s5, v33, v5 src0_sel:BYTE_0 src1_sel:DWORD
	v_bfrev_b32_e32 v55, 1
	s_and_saveexec_b32 s26, s5
	s_cbranch_execz .LBB382_858
; %bb.853:                              ;   in Loop: Header=BB382_16 Depth=1
	v_and_b32_e32 v3, 0x7f, v33
	v_mov_b32_e32 v55, 0x7f800001
	s_mov_b32 s27, exec_lo
	v_cmpx_ne_u32_e32 0x7f, v3
	s_cbranch_execz .LBB382_857
; %bb.854:                              ;   in Loop: Header=BB382_16 Depth=1
	v_mov_b32_e32 v36, v34
	v_lshrrev_b32_e32 v2, 3, v3
	v_mov_b32_e32 v35, v33
	s_mov_b32 s28, exec_lo
	v_cmpx_gt_u32_e32 8, v3
; %bb.855:                              ;   in Loop: Header=BB382_16 Depth=1
	v_and_b32_e32 v2, 7, v33
	v_ffbh_u32_e32 v2, v2
	v_min_u32_e32 v2, 32, v2
	v_subrev_nc_u32_e32 v3, 28, v2
	v_sub_nc_u32_e32 v2, 29, v2
	v_lshlrev_b64 v[35:36], v3, v[33:34]
; %bb.856:                              ;   in Loop: Header=BB382_16 Depth=1
	s_or_b32 exec_lo, exec_lo, s28
	v_lshlrev_b32_e32 v3, 20, v35
	v_lshlrev_b32_e32 v6, 24, v33
	v_lshl_add_u32 v2, v2, 23, 0x3c000000
	v_and_b32_e32 v3, 0x700000, v3
	v_and_b32_e32 v6, 0x80000000, v6
	v_or3_b32 v55, v3, v6, v2
.LBB382_857:                            ;   in Loop: Header=BB382_16 Depth=1
	s_or_b32 exec_lo, exec_lo, s27
.LBB382_858:                            ;   in Loop: Header=BB382_16 Depth=1
	s_or_b32 exec_lo, exec_lo, s26
.LBB382_859:                            ;   in Loop: Header=BB382_16 Depth=1
	s_or_b32 exec_lo, exec_lo, s25
	v_cmp_ne_u16_sdwa s5, v33, v19 src0_sel:BYTE_1 src1_sel:DWORD
	s_and_saveexec_b32 s25, s5
	s_cbranch_execz .LBB382_867
; %bb.860:                              ;   in Loop: Header=BB382_16 Depth=1
	v_cmp_ne_u16_sdwa s5, v33, v5 src0_sel:BYTE_1 src1_sel:DWORD
	v_bfrev_b32_e32 v48, 1
	s_and_saveexec_b32 s26, s5
	s_cbranch_execz .LBB382_866
; %bb.861:                              ;   in Loop: Header=BB382_16 Depth=1
	v_mov_b32_e32 v2, 0xffff
	v_mov_b32_e32 v48, 0x7f800001
	s_mov_b32 s27, exec_lo
	v_and_b32_sdwa v2, v2, v33 dst_sel:DWORD dst_unused:UNUSED_PAD src0_sel:DWORD src1_sel:BYTE_1
	v_and_b32_e32 v3, 0x7f, v2
	v_cmpx_ne_u32_e32 0x7f, v3
	s_cbranch_execz .LBB382_865
; %bb.862:                              ;   in Loop: Header=BB382_16 Depth=1
	v_and_b32_e32 v18, 7, v2
	v_mov_b32_e32 v36, v19
	v_lshrrev_b32_e32 v2, 3, v3
	s_mov_b32 s28, exec_lo
	v_mov_b32_e32 v35, v18
	v_cmpx_gt_u32_e32 8, v3
; %bb.863:                              ;   in Loop: Header=BB382_16 Depth=1
	v_ffbh_u32_e32 v2, v18
	v_min_u32_e32 v2, 32, v2
	v_subrev_nc_u32_e32 v3, 28, v2
	v_sub_nc_u32_e32 v2, 29, v2
	v_lshlrev_b64 v[6:7], v3, v[18:19]
	v_and_b32_e32 v35, 7, v6
; %bb.864:                              ;   in Loop: Header=BB382_16 Depth=1
	s_or_b32 exec_lo, exec_lo, s28
	v_lshlrev_b32_e32 v3, 16, v33
	v_lshlrev_b32_e32 v6, 20, v35
	v_lshl_add_u32 v2, v2, 23, 0x3c000000
	v_and_b32_e32 v3, 0x80000000, v3
	v_or3_b32 v48, v6, v3, v2
.LBB382_865:                            ;   in Loop: Header=BB382_16 Depth=1
	s_or_b32 exec_lo, exec_lo, s27
.LBB382_866:                            ;   in Loop: Header=BB382_16 Depth=1
	s_or_b32 exec_lo, exec_lo, s26
.LBB382_867:                            ;   in Loop: Header=BB382_16 Depth=1
	s_or_b32 exec_lo, exec_lo, s25
	v_mov_b32_e32 v2, 0xff
	v_mov_b32_e32 v65, 0
	;; [unrolled: 1-line block ×3, first 2 shown]
	s_mov_b32 s25, exec_lo
	v_and_b32_sdwa v2, v33, v2 dst_sel:DWORD dst_unused:UNUSED_PAD src0_sel:WORD_1 src1_sel:DWORD
	v_cmpx_ne_u16_e32 0, v2
	s_cbranch_execz .LBB382_875
; %bb.868:                              ;   in Loop: Header=BB382_16 Depth=1
	v_bfrev_b32_e32 v64, 1
	s_mov_b32 s26, exec_lo
	v_cmpx_ne_u16_e32 0x80, v2
	s_cbranch_execz .LBB382_874
; %bb.869:                              ;   in Loop: Header=BB382_16 Depth=1
	v_bfe_u32 v3, v33, 16, 7
	v_mov_b32_e32 v64, 0x7f800001
	s_mov_b32 s27, exec_lo
	v_cmpx_ne_u32_e32 0x7f, v3
	s_cbranch_execz .LBB382_873
; %bb.870:                              ;   in Loop: Header=BB382_16 Depth=1
	v_mov_b32_e32 v2, 7
	s_mov_b32 s28, exec_lo
	v_and_b32_sdwa v18, v33, v2 dst_sel:DWORD dst_unused:UNUSED_PAD src0_sel:WORD_1 src1_sel:DWORD
	v_mov_b32_e32 v36, v19
	v_lshrrev_b32_e32 v2, 3, v3
	v_mov_b32_e32 v35, v18
	v_cmpx_gt_u32_e32 8, v3
; %bb.871:                              ;   in Loop: Header=BB382_16 Depth=1
	v_ffbh_u32_e32 v2, v18
	v_min_u32_e32 v2, 32, v2
	v_subrev_nc_u32_e32 v3, 28, v2
	v_sub_nc_u32_e32 v2, 29, v2
	v_lshlrev_b64 v[6:7], v3, v[18:19]
	v_and_b32_e32 v35, 7, v6
; %bb.872:                              ;   in Loop: Header=BB382_16 Depth=1
	s_or_b32 exec_lo, exec_lo, s28
	v_mov_b32_e32 v3, 24
	v_lshlrev_b32_e32 v6, 20, v35
	v_lshl_add_u32 v2, v2, 23, 0x3c000000
	v_lshlrev_b32_sdwa v3, v3, v33 dst_sel:DWORD dst_unused:UNUSED_PAD src0_sel:DWORD src1_sel:WORD_1
	v_and_b32_e32 v3, 0x80000000, v3
	v_or3_b32 v64, v6, v3, v2
.LBB382_873:                            ;   in Loop: Header=BB382_16 Depth=1
	s_or_b32 exec_lo, exec_lo, s27
.LBB382_874:                            ;   in Loop: Header=BB382_16 Depth=1
	s_or_b32 exec_lo, exec_lo, s26
.LBB382_875:                            ;   in Loop: Header=BB382_16 Depth=1
	s_or_b32 exec_lo, exec_lo, s25
	s_mov_b32 s25, exec_lo
	v_cmpx_lt_u32_e32 0xffffff, v33
	s_cbranch_execz .LBB382_883
; %bb.876:                              ;   in Loop: Header=BB382_16 Depth=1
	v_cmp_ne_u32_sdwa s5, v33, v5 src0_sel:BYTE_3 src1_sel:DWORD
	v_bfrev_b32_e32 v65, 1
	s_and_saveexec_b32 s26, s5
	s_cbranch_execz .LBB382_882
; %bb.877:                              ;   in Loop: Header=BB382_16 Depth=1
	v_bfe_u32 v3, v33, 24, 7
	v_mov_b32_e32 v65, 0x7f800001
	s_mov_b32 s27, exec_lo
	v_cmpx_ne_u32_e32 0x7f, v3
	s_cbranch_execz .LBB382_881
; %bb.878:                              ;   in Loop: Header=BB382_16 Depth=1
	v_mov_b32_e32 v2, 7
	s_mov_b32 s28, exec_lo
	v_and_b32_sdwa v18, v33, v2 dst_sel:DWORD dst_unused:UNUSED_PAD src0_sel:BYTE_3 src1_sel:DWORD
	v_mov_b32_e32 v36, v19
	v_lshrrev_b32_e32 v2, 3, v3
	v_mov_b32_e32 v35, v18
	v_cmpx_gt_u32_e32 8, v3
; %bb.879:                              ;   in Loop: Header=BB382_16 Depth=1
	v_ffbh_u32_e32 v2, v18
	v_min_u32_e32 v2, 32, v2
	v_subrev_nc_u32_e32 v3, 28, v2
	v_sub_nc_u32_e32 v2, 29, v2
	v_lshlrev_b64 v[6:7], v3, v[18:19]
	v_and_b32_e32 v35, 7, v6
; %bb.880:                              ;   in Loop: Header=BB382_16 Depth=1
	s_or_b32 exec_lo, exec_lo, s28
	v_mov_b32_e32 v3, 24
	v_lshlrev_b32_e32 v6, 20, v35
	v_lshl_add_u32 v2, v2, 23, 0x3c000000
	v_lshlrev_b32_sdwa v3, v3, v33 dst_sel:DWORD dst_unused:UNUSED_PAD src0_sel:DWORD src1_sel:BYTE_3
	v_and_b32_e32 v3, 0x80000000, v3
	v_or3_b32 v65, v6, v3, v2
.LBB382_881:                            ;   in Loop: Header=BB382_16 Depth=1
	s_or_b32 exec_lo, exec_lo, s27
.LBB382_882:                            ;   in Loop: Header=BB382_16 Depth=1
	s_or_b32 exec_lo, exec_lo, s26
.LBB382_883:                            ;   in Loop: Header=BB382_16 Depth=1
	s_or_b32 exec_lo, exec_lo, s25
	v_mov_b32_e32 v18, v34
	v_cmp_ne_u16_sdwa s5, v34, v19 src0_sel:BYTE_0 src1_sel:DWORD
	v_mov_b32_e32 v69, 0
	v_mov_b32_e32 v66, 0
	s_and_saveexec_b32 s25, s5
	s_cbranch_execz .LBB382_891
; %bb.884:                              ;   in Loop: Header=BB382_16 Depth=1
	v_cmp_ne_u16_sdwa s5, v34, v5 src0_sel:BYTE_0 src1_sel:DWORD
	v_bfrev_b32_e32 v66, 1
	s_and_saveexec_b32 s26, s5
	s_cbranch_execz .LBB382_890
; %bb.885:                              ;   in Loop: Header=BB382_16 Depth=1
	v_and_b32_e32 v3, 0x7f, v34
	v_mov_b32_e32 v66, 0x7f800001
	s_mov_b32 s27, exec_lo
	v_cmpx_ne_u32_e32 0x7f, v3
	s_cbranch_execz .LBB382_889
; %bb.886:                              ;   in Loop: Header=BB382_16 Depth=1
	v_mov_b32_e32 v36, v19
	v_lshrrev_b32_e32 v2, 3, v3
	v_mov_b32_e32 v35, v18
	s_mov_b32 s28, exec_lo
	v_cmpx_gt_u32_e32 8, v3
; %bb.887:                              ;   in Loop: Header=BB382_16 Depth=1
	v_and_b32_e32 v2, 7, v34
	v_ffbh_u32_e32 v2, v2
	v_min_u32_e32 v2, 32, v2
	v_subrev_nc_u32_e32 v3, 28, v2
	v_sub_nc_u32_e32 v2, 29, v2
	v_lshlrev_b64 v[35:36], v3, v[18:19]
; %bb.888:                              ;   in Loop: Header=BB382_16 Depth=1
	s_or_b32 exec_lo, exec_lo, s28
	v_lshlrev_b32_e32 v3, 20, v35
	v_lshlrev_b32_e32 v6, 24, v18
	v_lshl_add_u32 v2, v2, 23, 0x3c000000
	v_and_b32_e32 v3, 0x700000, v3
	v_and_b32_e32 v6, 0x80000000, v6
	v_or3_b32 v66, v3, v6, v2
.LBB382_889:                            ;   in Loop: Header=BB382_16 Depth=1
	s_or_b32 exec_lo, exec_lo, s27
.LBB382_890:                            ;   in Loop: Header=BB382_16 Depth=1
	s_or_b32 exec_lo, exec_lo, s26
.LBB382_891:                            ;   in Loop: Header=BB382_16 Depth=1
	s_or_b32 exec_lo, exec_lo, s25
	v_cmp_ne_u16_sdwa s5, v18, v19 src0_sel:BYTE_1 src1_sel:DWORD
	s_and_saveexec_b32 s25, s5
	s_cbranch_execz .LBB382_899
; %bb.892:                              ;   in Loop: Header=BB382_16 Depth=1
	v_cmp_ne_u16_sdwa s5, v18, v5 src0_sel:BYTE_1 src1_sel:DWORD
	v_bfrev_b32_e32 v69, 1
	s_and_saveexec_b32 s26, s5
	s_cbranch_execz .LBB382_898
; %bb.893:                              ;   in Loop: Header=BB382_16 Depth=1
	v_mov_b32_e32 v2, 0xffff
	v_mov_b32_e32 v69, 0x7f800001
	s_mov_b32 s27, exec_lo
	v_and_b32_sdwa v2, v2, v18 dst_sel:DWORD dst_unused:UNUSED_PAD src0_sel:DWORD src1_sel:BYTE_1
	v_and_b32_e32 v3, 0x7f, v2
	v_cmpx_ne_u32_e32 0x7f, v3
	s_cbranch_execz .LBB382_897
; %bb.894:                              ;   in Loop: Header=BB382_16 Depth=1
	v_and_b32_e32 v35, 7, v2
	v_mov_b32_e32 v36, v19
	v_lshrrev_b32_e32 v2, 3, v3
	s_mov_b32 s28, exec_lo
	v_cmpx_gt_u32_e32 8, v3
; %bb.895:                              ;   in Loop: Header=BB382_16 Depth=1
	v_ffbh_u32_e32 v2, v35
	v_min_u32_e32 v2, 32, v2
	v_subrev_nc_u32_e32 v3, 28, v2
	v_sub_nc_u32_e32 v2, 29, v2
	v_lshlrev_b64 v[6:7], v3, v[35:36]
	v_and_b32_e32 v35, 7, v6
; %bb.896:                              ;   in Loop: Header=BB382_16 Depth=1
	s_or_b32 exec_lo, exec_lo, s28
	v_lshlrev_b32_e32 v3, 16, v18
	v_lshlrev_b32_e32 v6, 20, v35
	v_lshl_add_u32 v2, v2, 23, 0x3c000000
	v_and_b32_e32 v3, 0x80000000, v3
	v_or3_b32 v69, v6, v3, v2
.LBB382_897:                            ;   in Loop: Header=BB382_16 Depth=1
	s_or_b32 exec_lo, exec_lo, s27
.LBB382_898:                            ;   in Loop: Header=BB382_16 Depth=1
	s_or_b32 exec_lo, exec_lo, s26
.LBB382_899:                            ;   in Loop: Header=BB382_16 Depth=1
	s_or_b32 exec_lo, exec_lo, s25
	v_mov_b32_e32 v2, 0xff
	v_mov_b32_e32 v76, 0
	;; [unrolled: 1-line block ×3, first 2 shown]
	s_mov_b32 s25, exec_lo
	v_and_b32_sdwa v2, v34, v2 dst_sel:DWORD dst_unused:UNUSED_PAD src0_sel:WORD_1 src1_sel:DWORD
	v_cmpx_ne_u16_e32 0, v2
	s_cbranch_execz .LBB382_907
; %bb.900:                              ;   in Loop: Header=BB382_16 Depth=1
	v_bfrev_b32_e32 v68, 1
	s_mov_b32 s26, exec_lo
	v_cmpx_ne_u16_e32 0x80, v2
	s_cbranch_execz .LBB382_906
; %bb.901:                              ;   in Loop: Header=BB382_16 Depth=1
	v_bfe_u32 v3, v34, 16, 7
	v_mov_b32_e32 v68, 0x7f800001
	s_mov_b32 s27, exec_lo
	v_cmpx_ne_u32_e32 0x7f, v3
	s_cbranch_execz .LBB382_905
; %bb.902:                              ;   in Loop: Header=BB382_16 Depth=1
	v_mov_b32_e32 v2, 7
	s_mov_b32 s28, exec_lo
	v_and_b32_sdwa v18, v34, v2 dst_sel:DWORD dst_unused:UNUSED_PAD src0_sel:WORD_1 src1_sel:DWORD
	v_mov_b32_e32 v36, v19
	v_lshrrev_b32_e32 v2, 3, v3
	v_mov_b32_e32 v35, v18
	v_cmpx_gt_u32_e32 8, v3
; %bb.903:                              ;   in Loop: Header=BB382_16 Depth=1
	v_ffbh_u32_e32 v2, v18
	v_min_u32_e32 v2, 32, v2
	v_subrev_nc_u32_e32 v3, 28, v2
	v_sub_nc_u32_e32 v2, 29, v2
	v_lshlrev_b64 v[6:7], v3, v[18:19]
	v_and_b32_e32 v35, 7, v6
; %bb.904:                              ;   in Loop: Header=BB382_16 Depth=1
	s_or_b32 exec_lo, exec_lo, s28
	v_mov_b32_e32 v3, 24
	v_lshlrev_b32_e32 v6, 20, v35
	v_lshl_add_u32 v2, v2, 23, 0x3c000000
	v_lshlrev_b32_sdwa v3, v3, v34 dst_sel:DWORD dst_unused:UNUSED_PAD src0_sel:DWORD src1_sel:WORD_1
	v_and_b32_e32 v3, 0x80000000, v3
	v_or3_b32 v68, v6, v3, v2
.LBB382_905:                            ;   in Loop: Header=BB382_16 Depth=1
	s_or_b32 exec_lo, exec_lo, s27
.LBB382_906:                            ;   in Loop: Header=BB382_16 Depth=1
	s_or_b32 exec_lo, exec_lo, s26
.LBB382_907:                            ;   in Loop: Header=BB382_16 Depth=1
	s_or_b32 exec_lo, exec_lo, s25
	s_mov_b32 s25, exec_lo
	v_cmpx_lt_u64_e64 s[20:21], v[33:34]
	s_cbranch_execz .LBB382_915
; %bb.908:                              ;   in Loop: Header=BB382_16 Depth=1
	v_cmp_ne_u32_sdwa s5, v34, v5 src0_sel:BYTE_3 src1_sel:DWORD
	v_bfrev_b32_e32 v76, 1
	s_and_saveexec_b32 s26, s5
	s_cbranch_execz .LBB382_914
; %bb.909:                              ;   in Loop: Header=BB382_16 Depth=1
	v_bfe_u32 v3, v34, 24, 7
	v_mov_b32_e32 v76, 0x7f800001
	s_mov_b32 s27, exec_lo
	v_cmpx_ne_u32_e32 0x7f, v3
	s_cbranch_execz .LBB382_913
; %bb.910:                              ;   in Loop: Header=BB382_16 Depth=1
	v_mov_b32_e32 v2, 7
	s_mov_b32 s28, exec_lo
	v_and_b32_sdwa v18, v34, v2 dst_sel:DWORD dst_unused:UNUSED_PAD src0_sel:BYTE_3 src1_sel:DWORD
	v_mov_b32_e32 v36, v19
	v_lshrrev_b32_e32 v2, 3, v3
	v_mov_b32_e32 v35, v18
	v_cmpx_gt_u32_e32 8, v3
; %bb.911:                              ;   in Loop: Header=BB382_16 Depth=1
	v_ffbh_u32_e32 v2, v18
	v_min_u32_e32 v2, 32, v2
	v_subrev_nc_u32_e32 v3, 28, v2
	v_sub_nc_u32_e32 v2, 29, v2
	v_lshlrev_b64 v[6:7], v3, v[18:19]
	v_and_b32_e32 v35, 7, v6
; %bb.912:                              ;   in Loop: Header=BB382_16 Depth=1
	s_or_b32 exec_lo, exec_lo, s28
	v_mov_b32_e32 v3, 24
	v_lshlrev_b32_e32 v6, 20, v35
	v_lshl_add_u32 v2, v2, 23, 0x3c000000
	v_lshlrev_b32_sdwa v3, v3, v34 dst_sel:DWORD dst_unused:UNUSED_PAD src0_sel:DWORD src1_sel:BYTE_3
	v_and_b32_e32 v3, 0x80000000, v3
	v_or3_b32 v76, v6, v3, v2
.LBB382_913:                            ;   in Loop: Header=BB382_16 Depth=1
	s_or_b32 exec_lo, exec_lo, s27
.LBB382_914:                            ;   in Loop: Header=BB382_16 Depth=1
	s_or_b32 exec_lo, exec_lo, s26
.LBB382_915:                            ;   in Loop: Header=BB382_16 Depth=1
	s_or_b32 exec_lo, exec_lo, s25
	flat_load_dwordx2 v[33:34], v[31:32] offset:1536
	v_mov_b32_e32 v81, 0
	v_mov_b32_e32 v82, 0
	s_waitcnt vmcnt(0) lgkmcnt(0)
	v_cmp_ne_u16_sdwa s5, v33, v19 src0_sel:BYTE_0 src1_sel:DWORD
	s_and_saveexec_b32 s25, s5
	s_cbranch_execz .LBB382_923
; %bb.916:                              ;   in Loop: Header=BB382_16 Depth=1
	v_cmp_ne_u16_sdwa s5, v33, v5 src0_sel:BYTE_0 src1_sel:DWORD
	v_bfrev_b32_e32 v82, 1
	s_and_saveexec_b32 s26, s5
	s_cbranch_execz .LBB382_922
; %bb.917:                              ;   in Loop: Header=BB382_16 Depth=1
	v_and_b32_e32 v3, 0x7f, v33
	v_mov_b32_e32 v82, 0x7f800001
	s_mov_b32 s27, exec_lo
	v_cmpx_ne_u32_e32 0x7f, v3
	s_cbranch_execz .LBB382_921
; %bb.918:                              ;   in Loop: Header=BB382_16 Depth=1
	v_mov_b32_e32 v36, v34
	v_lshrrev_b32_e32 v2, 3, v3
	v_mov_b32_e32 v35, v33
	s_mov_b32 s28, exec_lo
	v_cmpx_gt_u32_e32 8, v3
; %bb.919:                              ;   in Loop: Header=BB382_16 Depth=1
	v_and_b32_e32 v2, 7, v33
	v_ffbh_u32_e32 v2, v2
	v_min_u32_e32 v2, 32, v2
	v_subrev_nc_u32_e32 v3, 28, v2
	v_sub_nc_u32_e32 v2, 29, v2
	v_lshlrev_b64 v[35:36], v3, v[33:34]
; %bb.920:                              ;   in Loop: Header=BB382_16 Depth=1
	s_or_b32 exec_lo, exec_lo, s28
	v_lshlrev_b32_e32 v3, 20, v35
	v_lshlrev_b32_e32 v6, 24, v33
	v_lshl_add_u32 v2, v2, 23, 0x3c000000
	v_and_b32_e32 v3, 0x700000, v3
	v_and_b32_e32 v6, 0x80000000, v6
	v_or3_b32 v82, v3, v6, v2
.LBB382_921:                            ;   in Loop: Header=BB382_16 Depth=1
	s_or_b32 exec_lo, exec_lo, s27
.LBB382_922:                            ;   in Loop: Header=BB382_16 Depth=1
	s_or_b32 exec_lo, exec_lo, s26
.LBB382_923:                            ;   in Loop: Header=BB382_16 Depth=1
	s_or_b32 exec_lo, exec_lo, s25
	v_cmp_ne_u16_sdwa s5, v33, v19 src0_sel:BYTE_1 src1_sel:DWORD
	s_and_saveexec_b32 s25, s5
	s_cbranch_execz .LBB382_931
; %bb.924:                              ;   in Loop: Header=BB382_16 Depth=1
	v_cmp_ne_u16_sdwa s5, v33, v5 src0_sel:BYTE_1 src1_sel:DWORD
	v_bfrev_b32_e32 v81, 1
	s_and_saveexec_b32 s26, s5
	s_cbranch_execz .LBB382_930
; %bb.925:                              ;   in Loop: Header=BB382_16 Depth=1
	v_mov_b32_e32 v2, 0xffff
	v_mov_b32_e32 v81, 0x7f800001
	s_mov_b32 s27, exec_lo
	v_and_b32_sdwa v2, v2, v33 dst_sel:DWORD dst_unused:UNUSED_PAD src0_sel:DWORD src1_sel:BYTE_1
	v_and_b32_e32 v3, 0x7f, v2
	v_cmpx_ne_u32_e32 0x7f, v3
	s_cbranch_execz .LBB382_929
; %bb.926:                              ;   in Loop: Header=BB382_16 Depth=1
	v_and_b32_e32 v18, 7, v2
	v_mov_b32_e32 v36, v19
	v_lshrrev_b32_e32 v2, 3, v3
	s_mov_b32 s28, exec_lo
	v_mov_b32_e32 v35, v18
	v_cmpx_gt_u32_e32 8, v3
; %bb.927:                              ;   in Loop: Header=BB382_16 Depth=1
	v_ffbh_u32_e32 v2, v18
	v_min_u32_e32 v2, 32, v2
	v_subrev_nc_u32_e32 v3, 28, v2
	v_sub_nc_u32_e32 v2, 29, v2
	v_lshlrev_b64 v[6:7], v3, v[18:19]
	v_and_b32_e32 v35, 7, v6
; %bb.928:                              ;   in Loop: Header=BB382_16 Depth=1
	s_or_b32 exec_lo, exec_lo, s28
	v_lshlrev_b32_e32 v3, 16, v33
	v_lshlrev_b32_e32 v6, 20, v35
	v_lshl_add_u32 v2, v2, 23, 0x3c000000
	v_and_b32_e32 v3, 0x80000000, v3
	v_or3_b32 v81, v6, v3, v2
.LBB382_929:                            ;   in Loop: Header=BB382_16 Depth=1
	s_or_b32 exec_lo, exec_lo, s27
.LBB382_930:                            ;   in Loop: Header=BB382_16 Depth=1
	s_or_b32 exec_lo, exec_lo, s26
.LBB382_931:                            ;   in Loop: Header=BB382_16 Depth=1
	s_or_b32 exec_lo, exec_lo, s25
	v_mov_b32_e32 v2, 0xff
	v_mov_b32_e32 v70, 0
	;; [unrolled: 1-line block ×3, first 2 shown]
	s_mov_b32 s25, exec_lo
	v_and_b32_sdwa v2, v33, v2 dst_sel:DWORD dst_unused:UNUSED_PAD src0_sel:WORD_1 src1_sel:DWORD
	v_cmpx_ne_u16_e32 0, v2
	s_cbranch_execz .LBB382_939
; %bb.932:                              ;   in Loop: Header=BB382_16 Depth=1
	v_bfrev_b32_e32 v80, 1
	s_mov_b32 s26, exec_lo
	v_cmpx_ne_u16_e32 0x80, v2
	s_cbranch_execz .LBB382_938
; %bb.933:                              ;   in Loop: Header=BB382_16 Depth=1
	v_bfe_u32 v3, v33, 16, 7
	v_mov_b32_e32 v80, 0x7f800001
	s_mov_b32 s27, exec_lo
	v_cmpx_ne_u32_e32 0x7f, v3
	s_cbranch_execz .LBB382_937
; %bb.934:                              ;   in Loop: Header=BB382_16 Depth=1
	v_mov_b32_e32 v2, 7
	s_mov_b32 s28, exec_lo
	v_and_b32_sdwa v18, v33, v2 dst_sel:DWORD dst_unused:UNUSED_PAD src0_sel:WORD_1 src1_sel:DWORD
	v_mov_b32_e32 v36, v19
	v_lshrrev_b32_e32 v2, 3, v3
	v_mov_b32_e32 v35, v18
	v_cmpx_gt_u32_e32 8, v3
; %bb.935:                              ;   in Loop: Header=BB382_16 Depth=1
	v_ffbh_u32_e32 v2, v18
	v_min_u32_e32 v2, 32, v2
	v_subrev_nc_u32_e32 v3, 28, v2
	v_sub_nc_u32_e32 v2, 29, v2
	v_lshlrev_b64 v[6:7], v3, v[18:19]
	v_and_b32_e32 v35, 7, v6
; %bb.936:                              ;   in Loop: Header=BB382_16 Depth=1
	s_or_b32 exec_lo, exec_lo, s28
	v_mov_b32_e32 v3, 24
	v_lshlrev_b32_e32 v6, 20, v35
	v_lshl_add_u32 v2, v2, 23, 0x3c000000
	v_lshlrev_b32_sdwa v3, v3, v33 dst_sel:DWORD dst_unused:UNUSED_PAD src0_sel:DWORD src1_sel:WORD_1
	v_and_b32_e32 v3, 0x80000000, v3
	v_or3_b32 v80, v6, v3, v2
.LBB382_937:                            ;   in Loop: Header=BB382_16 Depth=1
	s_or_b32 exec_lo, exec_lo, s27
.LBB382_938:                            ;   in Loop: Header=BB382_16 Depth=1
	s_or_b32 exec_lo, exec_lo, s26
.LBB382_939:                            ;   in Loop: Header=BB382_16 Depth=1
	s_or_b32 exec_lo, exec_lo, s25
	s_mov_b32 s25, exec_lo
	v_cmpx_lt_u32_e32 0xffffff, v33
	s_cbranch_execz .LBB382_947
; %bb.940:                              ;   in Loop: Header=BB382_16 Depth=1
	v_cmp_ne_u32_sdwa s5, v33, v5 src0_sel:BYTE_3 src1_sel:DWORD
	v_bfrev_b32_e32 v70, 1
	s_and_saveexec_b32 s26, s5
	s_cbranch_execz .LBB382_946
; %bb.941:                              ;   in Loop: Header=BB382_16 Depth=1
	v_bfe_u32 v3, v33, 24, 7
	v_mov_b32_e32 v70, 0x7f800001
	s_mov_b32 s27, exec_lo
	v_cmpx_ne_u32_e32 0x7f, v3
	s_cbranch_execz .LBB382_945
; %bb.942:                              ;   in Loop: Header=BB382_16 Depth=1
	v_mov_b32_e32 v2, 7
	s_mov_b32 s28, exec_lo
	v_and_b32_sdwa v18, v33, v2 dst_sel:DWORD dst_unused:UNUSED_PAD src0_sel:BYTE_3 src1_sel:DWORD
	v_mov_b32_e32 v36, v19
	v_lshrrev_b32_e32 v2, 3, v3
	v_mov_b32_e32 v35, v18
	v_cmpx_gt_u32_e32 8, v3
; %bb.943:                              ;   in Loop: Header=BB382_16 Depth=1
	v_ffbh_u32_e32 v2, v18
	v_min_u32_e32 v2, 32, v2
	v_subrev_nc_u32_e32 v3, 28, v2
	v_sub_nc_u32_e32 v2, 29, v2
	v_lshlrev_b64 v[6:7], v3, v[18:19]
	v_and_b32_e32 v35, 7, v6
; %bb.944:                              ;   in Loop: Header=BB382_16 Depth=1
	s_or_b32 exec_lo, exec_lo, s28
	v_mov_b32_e32 v3, 24
	v_lshlrev_b32_e32 v6, 20, v35
	v_lshl_add_u32 v2, v2, 23, 0x3c000000
	v_lshlrev_b32_sdwa v3, v3, v33 dst_sel:DWORD dst_unused:UNUSED_PAD src0_sel:DWORD src1_sel:BYTE_3
	v_and_b32_e32 v3, 0x80000000, v3
	v_or3_b32 v70, v6, v3, v2
.LBB382_945:                            ;   in Loop: Header=BB382_16 Depth=1
	s_or_b32 exec_lo, exec_lo, s27
.LBB382_946:                            ;   in Loop: Header=BB382_16 Depth=1
	s_or_b32 exec_lo, exec_lo, s26
.LBB382_947:                            ;   in Loop: Header=BB382_16 Depth=1
	s_or_b32 exec_lo, exec_lo, s25
	v_mov_b32_e32 v18, v34
	v_cmp_ne_u16_sdwa s5, v34, v19 src0_sel:BYTE_0 src1_sel:DWORD
	v_mov_b32_e32 v93, 0
	v_mov_b32_e32 v20, 0
	s_and_saveexec_b32 s25, s5
	s_cbranch_execz .LBB382_955
; %bb.948:                              ;   in Loop: Header=BB382_16 Depth=1
	v_cmp_ne_u16_sdwa s5, v34, v5 src0_sel:BYTE_0 src1_sel:DWORD
	v_bfrev_b32_e32 v20, 1
	s_and_saveexec_b32 s26, s5
	s_cbranch_execz .LBB382_954
; %bb.949:                              ;   in Loop: Header=BB382_16 Depth=1
	v_and_b32_e32 v3, 0x7f, v34
	v_mov_b32_e32 v20, 0x7f800001
	s_mov_b32 s27, exec_lo
	v_cmpx_ne_u32_e32 0x7f, v3
	s_cbranch_execz .LBB382_953
; %bb.950:                              ;   in Loop: Header=BB382_16 Depth=1
	v_mov_b32_e32 v36, v19
	v_lshrrev_b32_e32 v2, 3, v3
	v_mov_b32_e32 v35, v18
	s_mov_b32 s28, exec_lo
	v_cmpx_gt_u32_e32 8, v3
; %bb.951:                              ;   in Loop: Header=BB382_16 Depth=1
	v_and_b32_e32 v2, 7, v34
	v_ffbh_u32_e32 v2, v2
	v_min_u32_e32 v2, 32, v2
	v_subrev_nc_u32_e32 v3, 28, v2
	v_sub_nc_u32_e32 v2, 29, v2
	v_lshlrev_b64 v[35:36], v3, v[18:19]
; %bb.952:                              ;   in Loop: Header=BB382_16 Depth=1
	s_or_b32 exec_lo, exec_lo, s28
	v_lshlrev_b32_e32 v3, 20, v35
	v_lshlrev_b32_e32 v6, 24, v18
	v_lshl_add_u32 v2, v2, 23, 0x3c000000
	v_and_b32_e32 v3, 0x700000, v3
	v_and_b32_e32 v6, 0x80000000, v6
	v_or3_b32 v20, v3, v6, v2
.LBB382_953:                            ;   in Loop: Header=BB382_16 Depth=1
	s_or_b32 exec_lo, exec_lo, s27
.LBB382_954:                            ;   in Loop: Header=BB382_16 Depth=1
	s_or_b32 exec_lo, exec_lo, s26
.LBB382_955:                            ;   in Loop: Header=BB382_16 Depth=1
	s_or_b32 exec_lo, exec_lo, s25
	v_cmp_ne_u16_sdwa s5, v18, v19 src0_sel:BYTE_1 src1_sel:DWORD
	s_and_saveexec_b32 s25, s5
	s_cbranch_execz .LBB382_963
; %bb.956:                              ;   in Loop: Header=BB382_16 Depth=1
	v_cmp_ne_u16_sdwa s5, v18, v5 src0_sel:BYTE_1 src1_sel:DWORD
	v_bfrev_b32_e32 v93, 1
	s_and_saveexec_b32 s26, s5
	s_cbranch_execz .LBB382_962
; %bb.957:                              ;   in Loop: Header=BB382_16 Depth=1
	v_mov_b32_e32 v2, 0xffff
	v_mov_b32_e32 v93, 0x7f800001
	s_mov_b32 s27, exec_lo
	v_and_b32_sdwa v2, v2, v18 dst_sel:DWORD dst_unused:UNUSED_PAD src0_sel:DWORD src1_sel:BYTE_1
	v_and_b32_e32 v3, 0x7f, v2
	v_cmpx_ne_u32_e32 0x7f, v3
	s_cbranch_execz .LBB382_961
; %bb.958:                              ;   in Loop: Header=BB382_16 Depth=1
	v_and_b32_e32 v35, 7, v2
	v_mov_b32_e32 v36, v19
	v_lshrrev_b32_e32 v2, 3, v3
	s_mov_b32 s28, exec_lo
	v_cmpx_gt_u32_e32 8, v3
; %bb.959:                              ;   in Loop: Header=BB382_16 Depth=1
	v_ffbh_u32_e32 v2, v35
	v_min_u32_e32 v2, 32, v2
	v_subrev_nc_u32_e32 v3, 28, v2
	v_sub_nc_u32_e32 v2, 29, v2
	v_lshlrev_b64 v[6:7], v3, v[35:36]
	v_and_b32_e32 v35, 7, v6
; %bb.960:                              ;   in Loop: Header=BB382_16 Depth=1
	s_or_b32 exec_lo, exec_lo, s28
	v_lshlrev_b32_e32 v3, 16, v18
	v_lshlrev_b32_e32 v6, 20, v35
	v_lshl_add_u32 v2, v2, 23, 0x3c000000
	v_and_b32_e32 v3, 0x80000000, v3
	v_or3_b32 v93, v6, v3, v2
.LBB382_961:                            ;   in Loop: Header=BB382_16 Depth=1
	s_or_b32 exec_lo, exec_lo, s27
.LBB382_962:                            ;   in Loop: Header=BB382_16 Depth=1
	s_or_b32 exec_lo, exec_lo, s26
.LBB382_963:                            ;   in Loop: Header=BB382_16 Depth=1
	s_or_b32 exec_lo, exec_lo, s25
	v_mov_b32_e32 v2, 0xff
	v_mov_b32_e32 v104, 0
	;; [unrolled: 1-line block ×3, first 2 shown]
	s_mov_b32 s25, exec_lo
	v_and_b32_sdwa v2, v34, v2 dst_sel:DWORD dst_unused:UNUSED_PAD src0_sel:WORD_1 src1_sel:DWORD
	v_cmpx_ne_u16_e32 0, v2
	s_cbranch_execz .LBB382_971
; %bb.964:                              ;   in Loop: Header=BB382_16 Depth=1
	v_bfrev_b32_e32 v73, 1
	s_mov_b32 s26, exec_lo
	v_cmpx_ne_u16_e32 0x80, v2
	s_cbranch_execz .LBB382_970
; %bb.965:                              ;   in Loop: Header=BB382_16 Depth=1
	v_bfe_u32 v3, v34, 16, 7
	v_mov_b32_e32 v73, 0x7f800001
	s_mov_b32 s27, exec_lo
	v_cmpx_ne_u32_e32 0x7f, v3
	s_cbranch_execz .LBB382_969
; %bb.966:                              ;   in Loop: Header=BB382_16 Depth=1
	v_mov_b32_e32 v2, 7
	s_mov_b32 s28, exec_lo
	v_and_b32_sdwa v18, v34, v2 dst_sel:DWORD dst_unused:UNUSED_PAD src0_sel:WORD_1 src1_sel:DWORD
	v_mov_b32_e32 v36, v19
	v_lshrrev_b32_e32 v2, 3, v3
	v_mov_b32_e32 v35, v18
	v_cmpx_gt_u32_e32 8, v3
; %bb.967:                              ;   in Loop: Header=BB382_16 Depth=1
	v_ffbh_u32_e32 v2, v18
	v_min_u32_e32 v2, 32, v2
	v_subrev_nc_u32_e32 v3, 28, v2
	v_sub_nc_u32_e32 v2, 29, v2
	v_lshlrev_b64 v[6:7], v3, v[18:19]
	v_and_b32_e32 v35, 7, v6
; %bb.968:                              ;   in Loop: Header=BB382_16 Depth=1
	s_or_b32 exec_lo, exec_lo, s28
	v_mov_b32_e32 v3, 24
	v_lshlrev_b32_e32 v6, 20, v35
	v_lshl_add_u32 v2, v2, 23, 0x3c000000
	v_lshlrev_b32_sdwa v3, v3, v34 dst_sel:DWORD dst_unused:UNUSED_PAD src0_sel:DWORD src1_sel:WORD_1
	v_and_b32_e32 v3, 0x80000000, v3
	v_or3_b32 v73, v6, v3, v2
.LBB382_969:                            ;   in Loop: Header=BB382_16 Depth=1
	s_or_b32 exec_lo, exec_lo, s27
.LBB382_970:                            ;   in Loop: Header=BB382_16 Depth=1
	s_or_b32 exec_lo, exec_lo, s26
.LBB382_971:                            ;   in Loop: Header=BB382_16 Depth=1
	s_or_b32 exec_lo, exec_lo, s25
	s_mov_b32 s25, exec_lo
	v_cmpx_lt_u64_e64 s[20:21], v[33:34]
	s_cbranch_execz .LBB382_979
; %bb.972:                              ;   in Loop: Header=BB382_16 Depth=1
	v_cmp_ne_u32_sdwa s5, v34, v5 src0_sel:BYTE_3 src1_sel:DWORD
	v_bfrev_b32_e32 v104, 1
	s_and_saveexec_b32 s26, s5
	s_cbranch_execz .LBB382_978
; %bb.973:                              ;   in Loop: Header=BB382_16 Depth=1
	v_bfe_u32 v3, v34, 24, 7
	v_mov_b32_e32 v104, 0x7f800001
	s_mov_b32 s27, exec_lo
	v_cmpx_ne_u32_e32 0x7f, v3
	s_cbranch_execz .LBB382_977
; %bb.974:                              ;   in Loop: Header=BB382_16 Depth=1
	v_mov_b32_e32 v2, 7
	s_mov_b32 s28, exec_lo
	v_and_b32_sdwa v18, v34, v2 dst_sel:DWORD dst_unused:UNUSED_PAD src0_sel:BYTE_3 src1_sel:DWORD
	v_mov_b32_e32 v36, v19
	v_lshrrev_b32_e32 v2, 3, v3
	v_mov_b32_e32 v35, v18
	v_cmpx_gt_u32_e32 8, v3
; %bb.975:                              ;   in Loop: Header=BB382_16 Depth=1
	v_ffbh_u32_e32 v2, v18
	v_min_u32_e32 v2, 32, v2
	v_subrev_nc_u32_e32 v3, 28, v2
	v_sub_nc_u32_e32 v2, 29, v2
	v_lshlrev_b64 v[6:7], v3, v[18:19]
	v_and_b32_e32 v35, 7, v6
; %bb.976:                              ;   in Loop: Header=BB382_16 Depth=1
	s_or_b32 exec_lo, exec_lo, s28
	v_mov_b32_e32 v3, 24
	v_lshlrev_b32_e32 v6, 20, v35
	v_lshl_add_u32 v2, v2, 23, 0x3c000000
	v_lshlrev_b32_sdwa v3, v3, v34 dst_sel:DWORD dst_unused:UNUSED_PAD src0_sel:DWORD src1_sel:BYTE_3
	v_and_b32_e32 v3, 0x80000000, v3
	v_or3_b32 v104, v6, v3, v2
.LBB382_977:                            ;   in Loop: Header=BB382_16 Depth=1
	s_or_b32 exec_lo, exec_lo, s27
.LBB382_978:                            ;   in Loop: Header=BB382_16 Depth=1
	s_or_b32 exec_lo, exec_lo, s26
.LBB382_979:                            ;   in Loop: Header=BB382_16 Depth=1
	s_or_b32 exec_lo, exec_lo, s25
	flat_load_dwordx2 v[31:32], v[31:32] offset:1544
	v_mov_b32_e32 v50, 0
	v_mov_b32_e32 v36, 0
	s_waitcnt vmcnt(0) lgkmcnt(0)
	v_cmp_ne_u16_sdwa s5, v31, v19 src0_sel:BYTE_0 src1_sel:DWORD
	s_and_saveexec_b32 s25, s5
	s_cbranch_execz .LBB382_987
; %bb.980:                              ;   in Loop: Header=BB382_16 Depth=1
	v_cmp_ne_u16_sdwa s5, v31, v5 src0_sel:BYTE_0 src1_sel:DWORD
	v_bfrev_b32_e32 v36, 1
	s_and_saveexec_b32 s26, s5
	s_cbranch_execz .LBB382_986
; %bb.981:                              ;   in Loop: Header=BB382_16 Depth=1
	v_and_b32_e32 v3, 0x7f, v31
	v_mov_b32_e32 v36, 0x7f800001
	s_mov_b32 s27, exec_lo
	v_cmpx_ne_u32_e32 0x7f, v3
	s_cbranch_execz .LBB382_985
; %bb.982:                              ;   in Loop: Header=BB382_16 Depth=1
	v_mov_b32_e32 v34, v32
	v_lshrrev_b32_e32 v2, 3, v3
	v_mov_b32_e32 v33, v31
	s_mov_b32 s28, exec_lo
	v_cmpx_gt_u32_e32 8, v3
; %bb.983:                              ;   in Loop: Header=BB382_16 Depth=1
	v_and_b32_e32 v2, 7, v31
	v_ffbh_u32_e32 v2, v2
	v_min_u32_e32 v2, 32, v2
	v_subrev_nc_u32_e32 v3, 28, v2
	v_sub_nc_u32_e32 v2, 29, v2
	v_lshlrev_b64 v[33:34], v3, v[31:32]
; %bb.984:                              ;   in Loop: Header=BB382_16 Depth=1
	s_or_b32 exec_lo, exec_lo, s28
	v_lshlrev_b32_e32 v3, 20, v33
	v_lshlrev_b32_e32 v6, 24, v31
	v_lshl_add_u32 v2, v2, 23, 0x3c000000
	v_and_b32_e32 v3, 0x700000, v3
	v_and_b32_e32 v6, 0x80000000, v6
	v_or3_b32 v36, v3, v6, v2
.LBB382_985:                            ;   in Loop: Header=BB382_16 Depth=1
	s_or_b32 exec_lo, exec_lo, s27
.LBB382_986:                            ;   in Loop: Header=BB382_16 Depth=1
	s_or_b32 exec_lo, exec_lo, s26
.LBB382_987:                            ;   in Loop: Header=BB382_16 Depth=1
	s_or_b32 exec_lo, exec_lo, s25
	v_cmp_ne_u16_sdwa s5, v31, v19 src0_sel:BYTE_1 src1_sel:DWORD
	s_and_saveexec_b32 s25, s5
	s_cbranch_execz .LBB382_995
; %bb.988:                              ;   in Loop: Header=BB382_16 Depth=1
	v_cmp_ne_u16_sdwa s5, v31, v5 src0_sel:BYTE_1 src1_sel:DWORD
	v_bfrev_b32_e32 v50, 1
	s_and_saveexec_b32 s26, s5
	s_cbranch_execz .LBB382_994
; %bb.989:                              ;   in Loop: Header=BB382_16 Depth=1
	v_mov_b32_e32 v2, 0xffff
	v_mov_b32_e32 v50, 0x7f800001
	s_mov_b32 s27, exec_lo
	v_and_b32_sdwa v2, v2, v31 dst_sel:DWORD dst_unused:UNUSED_PAD src0_sel:DWORD src1_sel:BYTE_1
	v_and_b32_e32 v3, 0x7f, v2
	v_cmpx_ne_u32_e32 0x7f, v3
	s_cbranch_execz .LBB382_993
; %bb.990:                              ;   in Loop: Header=BB382_16 Depth=1
	v_and_b32_e32 v18, 7, v2
	v_mov_b32_e32 v34, v19
	v_lshrrev_b32_e32 v2, 3, v3
	s_mov_b32 s28, exec_lo
	v_mov_b32_e32 v33, v18
	v_cmpx_gt_u32_e32 8, v3
; %bb.991:                              ;   in Loop: Header=BB382_16 Depth=1
	v_ffbh_u32_e32 v2, v18
	v_min_u32_e32 v2, 32, v2
	v_subrev_nc_u32_e32 v3, 28, v2
	v_sub_nc_u32_e32 v2, 29, v2
	v_lshlrev_b64 v[6:7], v3, v[18:19]
	v_and_b32_e32 v33, 7, v6
; %bb.992:                              ;   in Loop: Header=BB382_16 Depth=1
	s_or_b32 exec_lo, exec_lo, s28
	v_lshlrev_b32_e32 v3, 16, v31
	v_lshlrev_b32_e32 v6, 20, v33
	v_lshl_add_u32 v2, v2, 23, 0x3c000000
	v_and_b32_e32 v3, 0x80000000, v3
	v_or3_b32 v50, v6, v3, v2
.LBB382_993:                            ;   in Loop: Header=BB382_16 Depth=1
	s_or_b32 exec_lo, exec_lo, s27
.LBB382_994:                            ;   in Loop: Header=BB382_16 Depth=1
	s_or_b32 exec_lo, exec_lo, s26
.LBB382_995:                            ;   in Loop: Header=BB382_16 Depth=1
	s_or_b32 exec_lo, exec_lo, s25
	v_mov_b32_e32 v2, 0xff
	v_mov_b32_e32 v84, 0
	;; [unrolled: 1-line block ×3, first 2 shown]
	s_mov_b32 s25, exec_lo
	v_and_b32_sdwa v2, v31, v2 dst_sel:DWORD dst_unused:UNUSED_PAD src0_sel:WORD_1 src1_sel:DWORD
	v_cmpx_ne_u16_e32 0, v2
	s_cbranch_execz .LBB382_1003
; %bb.996:                              ;   in Loop: Header=BB382_16 Depth=1
	v_bfrev_b32_e32 v83, 1
	s_mov_b32 s26, exec_lo
	v_cmpx_ne_u16_e32 0x80, v2
	s_cbranch_execz .LBB382_1002
; %bb.997:                              ;   in Loop: Header=BB382_16 Depth=1
	v_bfe_u32 v3, v31, 16, 7
	v_mov_b32_e32 v83, 0x7f800001
	s_mov_b32 s27, exec_lo
	v_cmpx_ne_u32_e32 0x7f, v3
	s_cbranch_execz .LBB382_1001
; %bb.998:                              ;   in Loop: Header=BB382_16 Depth=1
	v_mov_b32_e32 v2, 7
	s_mov_b32 s28, exec_lo
	v_and_b32_sdwa v18, v31, v2 dst_sel:DWORD dst_unused:UNUSED_PAD src0_sel:WORD_1 src1_sel:DWORD
	v_mov_b32_e32 v34, v19
	v_lshrrev_b32_e32 v2, 3, v3
	v_mov_b32_e32 v33, v18
	v_cmpx_gt_u32_e32 8, v3
; %bb.999:                              ;   in Loop: Header=BB382_16 Depth=1
	v_ffbh_u32_e32 v2, v18
	v_min_u32_e32 v2, 32, v2
	v_subrev_nc_u32_e32 v3, 28, v2
	v_sub_nc_u32_e32 v2, 29, v2
	v_lshlrev_b64 v[6:7], v3, v[18:19]
	v_and_b32_e32 v33, 7, v6
; %bb.1000:                             ;   in Loop: Header=BB382_16 Depth=1
	s_or_b32 exec_lo, exec_lo, s28
	v_mov_b32_e32 v3, 24
	v_lshlrev_b32_e32 v6, 20, v33
	v_lshl_add_u32 v2, v2, 23, 0x3c000000
	v_lshlrev_b32_sdwa v3, v3, v31 dst_sel:DWORD dst_unused:UNUSED_PAD src0_sel:DWORD src1_sel:WORD_1
	v_and_b32_e32 v3, 0x80000000, v3
	v_or3_b32 v83, v6, v3, v2
.LBB382_1001:                           ;   in Loop: Header=BB382_16 Depth=1
	s_or_b32 exec_lo, exec_lo, s27
.LBB382_1002:                           ;   in Loop: Header=BB382_16 Depth=1
	s_or_b32 exec_lo, exec_lo, s26
.LBB382_1003:                           ;   in Loop: Header=BB382_16 Depth=1
	s_or_b32 exec_lo, exec_lo, s25
	s_mov_b32 s25, exec_lo
	v_cmpx_lt_u32_e32 0xffffff, v31
	s_cbranch_execz .LBB382_1011
; %bb.1004:                             ;   in Loop: Header=BB382_16 Depth=1
	v_cmp_ne_u32_sdwa s5, v31, v5 src0_sel:BYTE_3 src1_sel:DWORD
	v_bfrev_b32_e32 v84, 1
	s_and_saveexec_b32 s26, s5
	s_cbranch_execz .LBB382_1010
; %bb.1005:                             ;   in Loop: Header=BB382_16 Depth=1
	v_bfe_u32 v3, v31, 24, 7
	v_mov_b32_e32 v84, 0x7f800001
	s_mov_b32 s27, exec_lo
	v_cmpx_ne_u32_e32 0x7f, v3
	s_cbranch_execz .LBB382_1009
; %bb.1006:                             ;   in Loop: Header=BB382_16 Depth=1
	v_mov_b32_e32 v2, 7
	s_mov_b32 s28, exec_lo
	v_and_b32_sdwa v18, v31, v2 dst_sel:DWORD dst_unused:UNUSED_PAD src0_sel:BYTE_3 src1_sel:DWORD
	v_mov_b32_e32 v34, v19
	v_lshrrev_b32_e32 v2, 3, v3
	v_mov_b32_e32 v33, v18
	v_cmpx_gt_u32_e32 8, v3
; %bb.1007:                             ;   in Loop: Header=BB382_16 Depth=1
	v_ffbh_u32_e32 v2, v18
	v_min_u32_e32 v2, 32, v2
	v_subrev_nc_u32_e32 v3, 28, v2
	v_sub_nc_u32_e32 v2, 29, v2
	v_lshlrev_b64 v[6:7], v3, v[18:19]
	v_and_b32_e32 v33, 7, v6
; %bb.1008:                             ;   in Loop: Header=BB382_16 Depth=1
	s_or_b32 exec_lo, exec_lo, s28
	v_mov_b32_e32 v3, 24
	v_lshlrev_b32_e32 v6, 20, v33
	v_lshl_add_u32 v2, v2, 23, 0x3c000000
	v_lshlrev_b32_sdwa v3, v3, v31 dst_sel:DWORD dst_unused:UNUSED_PAD src0_sel:DWORD src1_sel:BYTE_3
	v_and_b32_e32 v3, 0x80000000, v3
	v_or3_b32 v84, v6, v3, v2
.LBB382_1009:                           ;   in Loop: Header=BB382_16 Depth=1
	s_or_b32 exec_lo, exec_lo, s27
.LBB382_1010:                           ;   in Loop: Header=BB382_16 Depth=1
	s_or_b32 exec_lo, exec_lo, s26
.LBB382_1011:                           ;   in Loop: Header=BB382_16 Depth=1
	s_or_b32 exec_lo, exec_lo, s25
	v_mov_b32_e32 v18, v32
	v_cmp_ne_u16_sdwa s5, v32, v19 src0_sel:BYTE_0 src1_sel:DWORD
	v_mov_b32_e32 v116, 0
	v_mov_b32_e32 v85, 0
	s_and_saveexec_b32 s25, s5
	s_cbranch_execz .LBB382_1019
; %bb.1012:                             ;   in Loop: Header=BB382_16 Depth=1
	v_cmp_ne_u16_sdwa s5, v32, v5 src0_sel:BYTE_0 src1_sel:DWORD
	v_bfrev_b32_e32 v85, 1
	s_and_saveexec_b32 s26, s5
	s_cbranch_execz .LBB382_1018
; %bb.1013:                             ;   in Loop: Header=BB382_16 Depth=1
	v_and_b32_e32 v3, 0x7f, v32
	v_mov_b32_e32 v85, 0x7f800001
	s_mov_b32 s27, exec_lo
	v_cmpx_ne_u32_e32 0x7f, v3
	s_cbranch_execz .LBB382_1017
; %bb.1014:                             ;   in Loop: Header=BB382_16 Depth=1
	v_mov_b32_e32 v34, v19
	v_mov_b32_e32 v33, v18
	v_lshrrev_b32_e32 v2, 3, v3
	s_mov_b32 s28, exec_lo
	v_cmpx_gt_u32_e32 8, v3
; %bb.1015:                             ;   in Loop: Header=BB382_16 Depth=1
	v_and_b32_e32 v2, 7, v32
	v_ffbh_u32_e32 v2, v2
	v_min_u32_e32 v2, 32, v2
	v_subrev_nc_u32_e32 v3, 28, v2
	v_sub_nc_u32_e32 v2, 29, v2
	v_lshlrev_b64 v[33:34], v3, v[18:19]
; %bb.1016:                             ;   in Loop: Header=BB382_16 Depth=1
	s_or_b32 exec_lo, exec_lo, s28
	v_lshlrev_b32_e32 v3, 20, v33
	v_lshlrev_b32_e32 v6, 24, v18
	v_lshl_add_u32 v2, v2, 23, 0x3c000000
	v_and_b32_e32 v3, 0x700000, v3
	v_and_b32_e32 v6, 0x80000000, v6
	v_or3_b32 v85, v3, v6, v2
.LBB382_1017:                           ;   in Loop: Header=BB382_16 Depth=1
	s_or_b32 exec_lo, exec_lo, s27
.LBB382_1018:                           ;   in Loop: Header=BB382_16 Depth=1
	s_or_b32 exec_lo, exec_lo, s26
.LBB382_1019:                           ;   in Loop: Header=BB382_16 Depth=1
	s_or_b32 exec_lo, exec_lo, s25
	v_cmp_ne_u16_sdwa s5, v18, v19 src0_sel:BYTE_1 src1_sel:DWORD
	s_and_saveexec_b32 s25, s5
	s_cbranch_execz .LBB382_1027
; %bb.1020:                             ;   in Loop: Header=BB382_16 Depth=1
	v_cmp_ne_u16_sdwa s5, v18, v5 src0_sel:BYTE_1 src1_sel:DWORD
	v_bfrev_b32_e32 v116, 1
	s_and_saveexec_b32 s26, s5
	s_cbranch_execz .LBB382_1026
; %bb.1021:                             ;   in Loop: Header=BB382_16 Depth=1
	v_mov_b32_e32 v2, 0xffff
	v_mov_b32_e32 v116, 0x7f800001
	s_mov_b32 s27, exec_lo
	v_and_b32_sdwa v2, v2, v18 dst_sel:DWORD dst_unused:UNUSED_PAD src0_sel:DWORD src1_sel:BYTE_1
	v_and_b32_e32 v3, 0x7f, v2
	v_cmpx_ne_u32_e32 0x7f, v3
	s_cbranch_execz .LBB382_1025
; %bb.1022:                             ;   in Loop: Header=BB382_16 Depth=1
	v_and_b32_e32 v33, 7, v2
	v_mov_b32_e32 v34, v19
	v_lshrrev_b32_e32 v2, 3, v3
	s_mov_b32 s28, exec_lo
	v_cmpx_gt_u32_e32 8, v3
; %bb.1023:                             ;   in Loop: Header=BB382_16 Depth=1
	v_ffbh_u32_e32 v2, v33
	v_min_u32_e32 v2, 32, v2
	v_subrev_nc_u32_e32 v3, 28, v2
	v_sub_nc_u32_e32 v2, 29, v2
	v_lshlrev_b64 v[6:7], v3, v[33:34]
	v_and_b32_e32 v33, 7, v6
; %bb.1024:                             ;   in Loop: Header=BB382_16 Depth=1
	s_or_b32 exec_lo, exec_lo, s28
	v_lshlrev_b32_e32 v3, 16, v18
	v_lshlrev_b32_e32 v6, 20, v33
	v_lshl_add_u32 v2, v2, 23, 0x3c000000
	v_and_b32_e32 v3, 0x80000000, v3
	v_or3_b32 v116, v6, v3, v2
.LBB382_1025:                           ;   in Loop: Header=BB382_16 Depth=1
	s_or_b32 exec_lo, exec_lo, s27
.LBB382_1026:                           ;   in Loop: Header=BB382_16 Depth=1
	s_or_b32 exec_lo, exec_lo, s26
.LBB382_1027:                           ;   in Loop: Header=BB382_16 Depth=1
	s_or_b32 exec_lo, exec_lo, s25
	v_mov_b32_e32 v2, 0xff
	v_mov_b32_e32 v53, 0
	;; [unrolled: 1-line block ×3, first 2 shown]
	s_mov_b32 s25, exec_lo
	v_and_b32_sdwa v2, v32, v2 dst_sel:DWORD dst_unused:UNUSED_PAD src0_sel:WORD_1 src1_sel:DWORD
	v_cmpx_ne_u16_e32 0, v2
	s_cbranch_execz .LBB382_1035
; %bb.1028:                             ;   in Loop: Header=BB382_16 Depth=1
	v_bfrev_b32_e32 v35, 1
	s_mov_b32 s26, exec_lo
	v_cmpx_ne_u16_e32 0x80, v2
	s_cbranch_execz .LBB382_1034
; %bb.1029:                             ;   in Loop: Header=BB382_16 Depth=1
	v_bfe_u32 v3, v32, 16, 7
	v_mov_b32_e32 v35, 0x7f800001
	s_mov_b32 s27, exec_lo
	v_cmpx_ne_u32_e32 0x7f, v3
	s_cbranch_execz .LBB382_1033
; %bb.1030:                             ;   in Loop: Header=BB382_16 Depth=1
	v_mov_b32_e32 v2, 7
	s_mov_b32 s28, exec_lo
	v_and_b32_sdwa v18, v32, v2 dst_sel:DWORD dst_unused:UNUSED_PAD src0_sel:WORD_1 src1_sel:DWORD
	v_mov_b32_e32 v34, v19
	v_lshrrev_b32_e32 v2, 3, v3
	v_mov_b32_e32 v33, v18
	v_cmpx_gt_u32_e32 8, v3
; %bb.1031:                             ;   in Loop: Header=BB382_16 Depth=1
	v_ffbh_u32_e32 v2, v18
	v_min_u32_e32 v2, 32, v2
	v_subrev_nc_u32_e32 v3, 28, v2
	v_sub_nc_u32_e32 v2, 29, v2
	v_lshlrev_b64 v[6:7], v3, v[18:19]
	v_and_b32_e32 v33, 7, v6
; %bb.1032:                             ;   in Loop: Header=BB382_16 Depth=1
	s_or_b32 exec_lo, exec_lo, s28
	v_mov_b32_e32 v3, 24
	v_lshlrev_b32_e32 v6, 20, v33
	v_lshl_add_u32 v2, v2, 23, 0x3c000000
	v_lshlrev_b32_sdwa v3, v3, v32 dst_sel:DWORD dst_unused:UNUSED_PAD src0_sel:DWORD src1_sel:WORD_1
	v_and_b32_e32 v3, 0x80000000, v3
	v_or3_b32 v35, v6, v3, v2
.LBB382_1033:                           ;   in Loop: Header=BB382_16 Depth=1
	s_or_b32 exec_lo, exec_lo, s27
.LBB382_1034:                           ;   in Loop: Header=BB382_16 Depth=1
	s_or_b32 exec_lo, exec_lo, s26
.LBB382_1035:                           ;   in Loop: Header=BB382_16 Depth=1
	s_or_b32 exec_lo, exec_lo, s25
	s_mov_b32 s25, exec_lo
	v_cmpx_lt_u64_e64 s[20:21], v[31:32]
	s_cbranch_execz .LBB382_1043
; %bb.1036:                             ;   in Loop: Header=BB382_16 Depth=1
	v_cmp_ne_u32_sdwa s5, v32, v5 src0_sel:BYTE_3 src1_sel:DWORD
	v_bfrev_b32_e32 v53, 1
	s_and_saveexec_b32 s26, s5
	s_cbranch_execz .LBB382_1042
; %bb.1037:                             ;   in Loop: Header=BB382_16 Depth=1
	v_bfe_u32 v3, v32, 24, 7
	v_mov_b32_e32 v53, 0x7f800001
	s_mov_b32 s27, exec_lo
	v_cmpx_ne_u32_e32 0x7f, v3
	s_cbranch_execz .LBB382_1041
; %bb.1038:                             ;   in Loop: Header=BB382_16 Depth=1
	v_mov_b32_e32 v2, 7
	s_mov_b32 s28, exec_lo
	v_and_b32_sdwa v18, v32, v2 dst_sel:DWORD dst_unused:UNUSED_PAD src0_sel:BYTE_3 src1_sel:DWORD
	v_mov_b32_e32 v34, v19
	v_lshrrev_b32_e32 v2, 3, v3
	v_mov_b32_e32 v33, v18
	v_cmpx_gt_u32_e32 8, v3
; %bb.1039:                             ;   in Loop: Header=BB382_16 Depth=1
	v_ffbh_u32_e32 v2, v18
	v_min_u32_e32 v2, 32, v2
	v_subrev_nc_u32_e32 v3, 28, v2
	v_sub_nc_u32_e32 v2, 29, v2
	v_lshlrev_b64 v[6:7], v3, v[18:19]
	v_and_b32_e32 v33, 7, v6
; %bb.1040:                             ;   in Loop: Header=BB382_16 Depth=1
	s_or_b32 exec_lo, exec_lo, s28
	v_mov_b32_e32 v3, 24
	v_lshlrev_b32_e32 v6, 20, v33
	v_lshl_add_u32 v2, v2, 23, 0x3c000000
	v_lshlrev_b32_sdwa v3, v3, v32 dst_sel:DWORD dst_unused:UNUSED_PAD src0_sel:DWORD src1_sel:BYTE_3
	v_and_b32_e32 v3, 0x80000000, v3
	v_or3_b32 v53, v6, v3, v2
.LBB382_1041:                           ;   in Loop: Header=BB382_16 Depth=1
	s_or_b32 exec_lo, exec_lo, s27
.LBB382_1042:                           ;   in Loop: Header=BB382_16 Depth=1
	s_or_b32 exec_lo, exec_lo, s26
.LBB382_1043:                           ;   in Loop: Header=BB382_16 Depth=1
	s_or_b32 exec_lo, exec_lo, s25
	v_add_co_u32 v28, s5, 0x1000, v28
	v_add_co_ci_u32_e64 v29, null, 0, v29, s5
	v_mov_b32_e32 v11, 0
	v_mov_b32_e32 v72, 0
	flat_load_dwordx2 v[31:32], v[28:29]
	s_waitcnt vmcnt(0) lgkmcnt(0)
	v_cmp_ne_u16_sdwa s5, v31, v19 src0_sel:BYTE_0 src1_sel:DWORD
	s_and_saveexec_b32 s25, s5
	s_cbranch_execz .LBB382_1051
; %bb.1044:                             ;   in Loop: Header=BB382_16 Depth=1
	v_cmp_ne_u16_sdwa s5, v31, v5 src0_sel:BYTE_0 src1_sel:DWORD
	v_bfrev_b32_e32 v72, 1
	s_and_saveexec_b32 s26, s5
	s_cbranch_execz .LBB382_1050
; %bb.1045:                             ;   in Loop: Header=BB382_16 Depth=1
	v_and_b32_e32 v3, 0x7f, v31
	v_mov_b32_e32 v72, 0x7f800001
	s_mov_b32 s27, exec_lo
	v_cmpx_ne_u32_e32 0x7f, v3
	s_cbranch_execz .LBB382_1049
; %bb.1046:                             ;   in Loop: Header=BB382_16 Depth=1
	v_mov_b32_e32 v34, v32
	v_lshrrev_b32_e32 v2, 3, v3
	v_mov_b32_e32 v33, v31
	s_mov_b32 s28, exec_lo
	v_cmpx_gt_u32_e32 8, v3
; %bb.1047:                             ;   in Loop: Header=BB382_16 Depth=1
	v_and_b32_e32 v2, 7, v31
	v_ffbh_u32_e32 v2, v2
	v_min_u32_e32 v2, 32, v2
	v_subrev_nc_u32_e32 v3, 28, v2
	v_sub_nc_u32_e32 v2, 29, v2
	v_lshlrev_b64 v[33:34], v3, v[31:32]
; %bb.1048:                             ;   in Loop: Header=BB382_16 Depth=1
	s_or_b32 exec_lo, exec_lo, s28
	v_lshlrev_b32_e32 v3, 20, v33
	v_lshlrev_b32_e32 v6, 24, v31
	v_lshl_add_u32 v2, v2, 23, 0x3c000000
	v_and_b32_e32 v3, 0x700000, v3
	v_and_b32_e32 v6, 0x80000000, v6
	v_or3_b32 v72, v3, v6, v2
.LBB382_1049:                           ;   in Loop: Header=BB382_16 Depth=1
	s_or_b32 exec_lo, exec_lo, s27
.LBB382_1050:                           ;   in Loop: Header=BB382_16 Depth=1
	s_or_b32 exec_lo, exec_lo, s26
.LBB382_1051:                           ;   in Loop: Header=BB382_16 Depth=1
	s_or_b32 exec_lo, exec_lo, s25
	v_cmp_ne_u16_sdwa s5, v31, v19 src0_sel:BYTE_1 src1_sel:DWORD
	s_and_saveexec_b32 s25, s5
	s_cbranch_execz .LBB382_1059
; %bb.1052:                             ;   in Loop: Header=BB382_16 Depth=1
	v_cmp_ne_u16_sdwa s5, v31, v5 src0_sel:BYTE_1 src1_sel:DWORD
	v_bfrev_b32_e32 v11, 1
	s_and_saveexec_b32 s26, s5
	s_cbranch_execz .LBB382_1058
; %bb.1053:                             ;   in Loop: Header=BB382_16 Depth=1
	v_mov_b32_e32 v2, 0xffff
	v_mov_b32_e32 v11, 0x7f800001
	s_mov_b32 s27, exec_lo
	v_and_b32_sdwa v2, v2, v31 dst_sel:DWORD dst_unused:UNUSED_PAD src0_sel:DWORD src1_sel:BYTE_1
	v_and_b32_e32 v3, 0x7f, v2
	v_cmpx_ne_u32_e32 0x7f, v3
	s_cbranch_execz .LBB382_1057
; %bb.1054:                             ;   in Loop: Header=BB382_16 Depth=1
	v_and_b32_e32 v18, 7, v2
	v_mov_b32_e32 v34, v19
	v_lshrrev_b32_e32 v2, 3, v3
	s_mov_b32 s28, exec_lo
	v_mov_b32_e32 v33, v18
	v_cmpx_gt_u32_e32 8, v3
; %bb.1055:                             ;   in Loop: Header=BB382_16 Depth=1
	v_ffbh_u32_e32 v2, v18
	v_min_u32_e32 v2, 32, v2
	v_subrev_nc_u32_e32 v3, 28, v2
	v_sub_nc_u32_e32 v2, 29, v2
	v_lshlrev_b64 v[6:7], v3, v[18:19]
	v_and_b32_e32 v33, 7, v6
; %bb.1056:                             ;   in Loop: Header=BB382_16 Depth=1
	s_or_b32 exec_lo, exec_lo, s28
	v_lshlrev_b32_e32 v3, 16, v31
	v_lshlrev_b32_e32 v6, 20, v33
	v_lshl_add_u32 v2, v2, 23, 0x3c000000
	v_and_b32_e32 v3, 0x80000000, v3
	v_or3_b32 v11, v6, v3, v2
.LBB382_1057:                           ;   in Loop: Header=BB382_16 Depth=1
	s_or_b32 exec_lo, exec_lo, s27
.LBB382_1058:                           ;   in Loop: Header=BB382_16 Depth=1
	s_or_b32 exec_lo, exec_lo, s26
.LBB382_1059:                           ;   in Loop: Header=BB382_16 Depth=1
	s_or_b32 exec_lo, exec_lo, s25
	v_mov_b32_e32 v2, 0xff
	v_mov_b32_e32 v52, 0
	v_mov_b32_e32 v63, 0
	s_mov_b32 s25, exec_lo
	v_and_b32_sdwa v2, v31, v2 dst_sel:DWORD dst_unused:UNUSED_PAD src0_sel:WORD_1 src1_sel:DWORD
	v_cmpx_ne_u16_e32 0, v2
	s_cbranch_execz .LBB382_1067
; %bb.1060:                             ;   in Loop: Header=BB382_16 Depth=1
	v_bfrev_b32_e32 v63, 1
	s_mov_b32 s26, exec_lo
	v_cmpx_ne_u16_e32 0x80, v2
	s_cbranch_execz .LBB382_1066
; %bb.1061:                             ;   in Loop: Header=BB382_16 Depth=1
	v_bfe_u32 v3, v31, 16, 7
	v_mov_b32_e32 v63, 0x7f800001
	s_mov_b32 s27, exec_lo
	v_cmpx_ne_u32_e32 0x7f, v3
	s_cbranch_execz .LBB382_1065
; %bb.1062:                             ;   in Loop: Header=BB382_16 Depth=1
	v_mov_b32_e32 v2, 7
	s_mov_b32 s28, exec_lo
	v_and_b32_sdwa v18, v31, v2 dst_sel:DWORD dst_unused:UNUSED_PAD src0_sel:WORD_1 src1_sel:DWORD
	v_mov_b32_e32 v34, v19
	v_lshrrev_b32_e32 v2, 3, v3
	v_mov_b32_e32 v33, v18
	v_cmpx_gt_u32_e32 8, v3
; %bb.1063:                             ;   in Loop: Header=BB382_16 Depth=1
	v_ffbh_u32_e32 v2, v18
	v_min_u32_e32 v2, 32, v2
	v_subrev_nc_u32_e32 v3, 28, v2
	v_sub_nc_u32_e32 v2, 29, v2
	v_lshlrev_b64 v[6:7], v3, v[18:19]
	v_and_b32_e32 v33, 7, v6
; %bb.1064:                             ;   in Loop: Header=BB382_16 Depth=1
	s_or_b32 exec_lo, exec_lo, s28
	v_mov_b32_e32 v3, 24
	v_lshlrev_b32_e32 v6, 20, v33
	v_lshl_add_u32 v2, v2, 23, 0x3c000000
	v_lshlrev_b32_sdwa v3, v3, v31 dst_sel:DWORD dst_unused:UNUSED_PAD src0_sel:DWORD src1_sel:WORD_1
	v_and_b32_e32 v3, 0x80000000, v3
	v_or3_b32 v63, v6, v3, v2
.LBB382_1065:                           ;   in Loop: Header=BB382_16 Depth=1
	s_or_b32 exec_lo, exec_lo, s27
.LBB382_1066:                           ;   in Loop: Header=BB382_16 Depth=1
	s_or_b32 exec_lo, exec_lo, s26
.LBB382_1067:                           ;   in Loop: Header=BB382_16 Depth=1
	s_or_b32 exec_lo, exec_lo, s25
	s_mov_b32 s25, exec_lo
	v_cmpx_lt_u32_e32 0xffffff, v31
	s_cbranch_execz .LBB382_1075
; %bb.1068:                             ;   in Loop: Header=BB382_16 Depth=1
	v_cmp_ne_u32_sdwa s5, v31, v5 src0_sel:BYTE_3 src1_sel:DWORD
	v_bfrev_b32_e32 v52, 1
	s_and_saveexec_b32 s26, s5
	s_cbranch_execz .LBB382_1074
; %bb.1069:                             ;   in Loop: Header=BB382_16 Depth=1
	v_bfe_u32 v3, v31, 24, 7
	v_mov_b32_e32 v52, 0x7f800001
	s_mov_b32 s27, exec_lo
	v_cmpx_ne_u32_e32 0x7f, v3
	s_cbranch_execz .LBB382_1073
; %bb.1070:                             ;   in Loop: Header=BB382_16 Depth=1
	v_mov_b32_e32 v2, 7
	s_mov_b32 s28, exec_lo
	v_and_b32_sdwa v18, v31, v2 dst_sel:DWORD dst_unused:UNUSED_PAD src0_sel:BYTE_3 src1_sel:DWORD
	v_mov_b32_e32 v34, v19
	v_lshrrev_b32_e32 v2, 3, v3
	v_mov_b32_e32 v33, v18
	v_cmpx_gt_u32_e32 8, v3
; %bb.1071:                             ;   in Loop: Header=BB382_16 Depth=1
	v_ffbh_u32_e32 v2, v18
	v_min_u32_e32 v2, 32, v2
	v_subrev_nc_u32_e32 v3, 28, v2
	v_sub_nc_u32_e32 v2, 29, v2
	v_lshlrev_b64 v[6:7], v3, v[18:19]
	v_and_b32_e32 v33, 7, v6
; %bb.1072:                             ;   in Loop: Header=BB382_16 Depth=1
	s_or_b32 exec_lo, exec_lo, s28
	v_mov_b32_e32 v3, 24
	v_lshlrev_b32_e32 v6, 20, v33
	v_lshl_add_u32 v2, v2, 23, 0x3c000000
	v_lshlrev_b32_sdwa v3, v3, v31 dst_sel:DWORD dst_unused:UNUSED_PAD src0_sel:DWORD src1_sel:BYTE_3
	v_and_b32_e32 v3, 0x80000000, v3
	v_or3_b32 v52, v6, v3, v2
.LBB382_1073:                           ;   in Loop: Header=BB382_16 Depth=1
	s_or_b32 exec_lo, exec_lo, s27
.LBB382_1074:                           ;   in Loop: Header=BB382_16 Depth=1
	s_or_b32 exec_lo, exec_lo, s26
.LBB382_1075:                           ;   in Loop: Header=BB382_16 Depth=1
	s_or_b32 exec_lo, exec_lo, s25
	v_mov_b32_e32 v18, v32
	v_cmp_ne_u16_sdwa s5, v32, v19 src0_sel:BYTE_0 src1_sel:DWORD
	v_mov_b32_e32 v44, 0
	v_mov_b32_e32 v98, 0
	s_and_saveexec_b32 s25, s5
	s_cbranch_execz .LBB382_1083
; %bb.1076:                             ;   in Loop: Header=BB382_16 Depth=1
	v_cmp_ne_u16_sdwa s5, v32, v5 src0_sel:BYTE_0 src1_sel:DWORD
	v_bfrev_b32_e32 v98, 1
	s_and_saveexec_b32 s26, s5
	s_cbranch_execz .LBB382_1082
; %bb.1077:                             ;   in Loop: Header=BB382_16 Depth=1
	v_and_b32_e32 v3, 0x7f, v32
	v_mov_b32_e32 v98, 0x7f800001
	s_mov_b32 s27, exec_lo
	v_cmpx_ne_u32_e32 0x7f, v3
	s_cbranch_execz .LBB382_1081
; %bb.1078:                             ;   in Loop: Header=BB382_16 Depth=1
	v_mov_b32_e32 v34, v19
	v_mov_b32_e32 v33, v18
	v_lshrrev_b32_e32 v2, 3, v3
	s_mov_b32 s28, exec_lo
	v_cmpx_gt_u32_e32 8, v3
; %bb.1079:                             ;   in Loop: Header=BB382_16 Depth=1
	v_and_b32_e32 v2, 7, v32
	v_ffbh_u32_e32 v2, v2
	v_min_u32_e32 v2, 32, v2
	v_subrev_nc_u32_e32 v3, 28, v2
	v_sub_nc_u32_e32 v2, 29, v2
	v_lshlrev_b64 v[33:34], v3, v[18:19]
; %bb.1080:                             ;   in Loop: Header=BB382_16 Depth=1
	s_or_b32 exec_lo, exec_lo, s28
	v_lshlrev_b32_e32 v3, 20, v33
	v_lshlrev_b32_e32 v6, 24, v18
	v_lshl_add_u32 v2, v2, 23, 0x3c000000
	v_and_b32_e32 v3, 0x700000, v3
	v_and_b32_e32 v6, 0x80000000, v6
	v_or3_b32 v98, v3, v6, v2
.LBB382_1081:                           ;   in Loop: Header=BB382_16 Depth=1
	s_or_b32 exec_lo, exec_lo, s27
.LBB382_1082:                           ;   in Loop: Header=BB382_16 Depth=1
	s_or_b32 exec_lo, exec_lo, s26
.LBB382_1083:                           ;   in Loop: Header=BB382_16 Depth=1
	s_or_b32 exec_lo, exec_lo, s25
	v_cmp_ne_u16_sdwa s5, v18, v19 src0_sel:BYTE_1 src1_sel:DWORD
	s_and_saveexec_b32 s25, s5
	s_cbranch_execz .LBB382_1091
; %bb.1084:                             ;   in Loop: Header=BB382_16 Depth=1
	v_cmp_ne_u16_sdwa s5, v18, v5 src0_sel:BYTE_1 src1_sel:DWORD
	v_bfrev_b32_e32 v44, 1
	s_and_saveexec_b32 s26, s5
	s_cbranch_execz .LBB382_1090
; %bb.1085:                             ;   in Loop: Header=BB382_16 Depth=1
	v_mov_b32_e32 v2, 0xffff
	v_mov_b32_e32 v44, 0x7f800001
	s_mov_b32 s27, exec_lo
	v_and_b32_sdwa v2, v2, v18 dst_sel:DWORD dst_unused:UNUSED_PAD src0_sel:DWORD src1_sel:BYTE_1
	v_and_b32_e32 v3, 0x7f, v2
	v_cmpx_ne_u32_e32 0x7f, v3
	s_cbranch_execz .LBB382_1089
; %bb.1086:                             ;   in Loop: Header=BB382_16 Depth=1
	v_and_b32_e32 v33, 7, v2
	v_mov_b32_e32 v34, v19
	v_lshrrev_b32_e32 v2, 3, v3
	s_mov_b32 s28, exec_lo
	v_cmpx_gt_u32_e32 8, v3
; %bb.1087:                             ;   in Loop: Header=BB382_16 Depth=1
	v_ffbh_u32_e32 v2, v33
	v_min_u32_e32 v2, 32, v2
	v_subrev_nc_u32_e32 v3, 28, v2
	v_sub_nc_u32_e32 v2, 29, v2
	v_lshlrev_b64 v[6:7], v3, v[33:34]
	v_and_b32_e32 v33, 7, v6
; %bb.1088:                             ;   in Loop: Header=BB382_16 Depth=1
	s_or_b32 exec_lo, exec_lo, s28
	v_lshlrev_b32_e32 v3, 16, v18
	v_lshlrev_b32_e32 v6, 20, v33
	v_lshl_add_u32 v2, v2, 23, 0x3c000000
	v_and_b32_e32 v3, 0x80000000, v3
	v_or3_b32 v44, v6, v3, v2
.LBB382_1089:                           ;   in Loop: Header=BB382_16 Depth=1
	s_or_b32 exec_lo, exec_lo, s27
.LBB382_1090:                           ;   in Loop: Header=BB382_16 Depth=1
	s_or_b32 exec_lo, exec_lo, s26
.LBB382_1091:                           ;   in Loop: Header=BB382_16 Depth=1
	s_or_b32 exec_lo, exec_lo, s25
	v_mov_b32_e32 v2, 0xff
	v_mov_b32_e32 v96, 0
	;; [unrolled: 1-line block ×3, first 2 shown]
	s_mov_b32 s25, exec_lo
	v_and_b32_sdwa v2, v32, v2 dst_sel:DWORD dst_unused:UNUSED_PAD src0_sel:WORD_1 src1_sel:DWORD
	v_cmpx_ne_u16_e32 0, v2
	s_cbranch_execz .LBB382_1099
; %bb.1092:                             ;   in Loop: Header=BB382_16 Depth=1
	v_bfrev_b32_e32 v86, 1
	s_mov_b32 s26, exec_lo
	v_cmpx_ne_u16_e32 0x80, v2
	s_cbranch_execz .LBB382_1098
; %bb.1093:                             ;   in Loop: Header=BB382_16 Depth=1
	v_bfe_u32 v3, v32, 16, 7
	v_mov_b32_e32 v86, 0x7f800001
	s_mov_b32 s27, exec_lo
	v_cmpx_ne_u32_e32 0x7f, v3
	s_cbranch_execz .LBB382_1097
; %bb.1094:                             ;   in Loop: Header=BB382_16 Depth=1
	v_mov_b32_e32 v2, 7
	s_mov_b32 s28, exec_lo
	v_and_b32_sdwa v18, v32, v2 dst_sel:DWORD dst_unused:UNUSED_PAD src0_sel:WORD_1 src1_sel:DWORD
	v_mov_b32_e32 v34, v19
	v_lshrrev_b32_e32 v2, 3, v3
	v_mov_b32_e32 v33, v18
	v_cmpx_gt_u32_e32 8, v3
; %bb.1095:                             ;   in Loop: Header=BB382_16 Depth=1
	v_ffbh_u32_e32 v2, v18
	v_min_u32_e32 v2, 32, v2
	v_subrev_nc_u32_e32 v3, 28, v2
	v_sub_nc_u32_e32 v2, 29, v2
	v_lshlrev_b64 v[6:7], v3, v[18:19]
	v_and_b32_e32 v33, 7, v6
; %bb.1096:                             ;   in Loop: Header=BB382_16 Depth=1
	s_or_b32 exec_lo, exec_lo, s28
	v_mov_b32_e32 v3, 24
	v_lshlrev_b32_e32 v6, 20, v33
	v_lshl_add_u32 v2, v2, 23, 0x3c000000
	v_lshlrev_b32_sdwa v3, v3, v32 dst_sel:DWORD dst_unused:UNUSED_PAD src0_sel:DWORD src1_sel:WORD_1
	v_and_b32_e32 v3, 0x80000000, v3
	v_or3_b32 v86, v6, v3, v2
.LBB382_1097:                           ;   in Loop: Header=BB382_16 Depth=1
	s_or_b32 exec_lo, exec_lo, s27
.LBB382_1098:                           ;   in Loop: Header=BB382_16 Depth=1
	s_or_b32 exec_lo, exec_lo, s26
.LBB382_1099:                           ;   in Loop: Header=BB382_16 Depth=1
	s_or_b32 exec_lo, exec_lo, s25
	s_mov_b32 s25, exec_lo
	v_cmpx_lt_u64_e64 s[20:21], v[31:32]
	s_cbranch_execz .LBB382_1107
; %bb.1100:                             ;   in Loop: Header=BB382_16 Depth=1
	v_cmp_ne_u32_sdwa s5, v32, v5 src0_sel:BYTE_3 src1_sel:DWORD
	v_bfrev_b32_e32 v96, 1
	s_and_saveexec_b32 s26, s5
	s_cbranch_execz .LBB382_1106
; %bb.1101:                             ;   in Loop: Header=BB382_16 Depth=1
	v_bfe_u32 v3, v32, 24, 7
	v_mov_b32_e32 v96, 0x7f800001
	s_mov_b32 s27, exec_lo
	v_cmpx_ne_u32_e32 0x7f, v3
	s_cbranch_execz .LBB382_1105
; %bb.1102:                             ;   in Loop: Header=BB382_16 Depth=1
	v_mov_b32_e32 v2, 7
	s_mov_b32 s28, exec_lo
	v_and_b32_sdwa v18, v32, v2 dst_sel:DWORD dst_unused:UNUSED_PAD src0_sel:BYTE_3 src1_sel:DWORD
	v_mov_b32_e32 v34, v19
	v_lshrrev_b32_e32 v2, 3, v3
	v_mov_b32_e32 v33, v18
	v_cmpx_gt_u32_e32 8, v3
; %bb.1103:                             ;   in Loop: Header=BB382_16 Depth=1
	v_ffbh_u32_e32 v2, v18
	v_min_u32_e32 v2, 32, v2
	v_subrev_nc_u32_e32 v3, 28, v2
	v_sub_nc_u32_e32 v2, 29, v2
	v_lshlrev_b64 v[6:7], v3, v[18:19]
	v_and_b32_e32 v33, 7, v6
; %bb.1104:                             ;   in Loop: Header=BB382_16 Depth=1
	s_or_b32 exec_lo, exec_lo, s28
	v_mov_b32_e32 v3, 24
	v_lshlrev_b32_e32 v6, 20, v33
	v_lshl_add_u32 v2, v2, 23, 0x3c000000
	v_lshlrev_b32_sdwa v3, v3, v32 dst_sel:DWORD dst_unused:UNUSED_PAD src0_sel:DWORD src1_sel:BYTE_3
	v_and_b32_e32 v3, 0x80000000, v3
	v_or3_b32 v96, v6, v3, v2
.LBB382_1105:                           ;   in Loop: Header=BB382_16 Depth=1
	s_or_b32 exec_lo, exec_lo, s27
.LBB382_1106:                           ;   in Loop: Header=BB382_16 Depth=1
	s_or_b32 exec_lo, exec_lo, s26
.LBB382_1107:                           ;   in Loop: Header=BB382_16 Depth=1
	s_or_b32 exec_lo, exec_lo, s25
	flat_load_dwordx2 v[31:32], v[28:29] offset:8
	v_mov_b32_e32 v101, 0
	v_mov_b32_e32 v103, 0
	s_waitcnt vmcnt(0) lgkmcnt(0)
	v_cmp_ne_u16_sdwa s5, v31, v19 src0_sel:BYTE_0 src1_sel:DWORD
	s_and_saveexec_b32 s25, s5
	s_cbranch_execz .LBB382_1115
; %bb.1108:                             ;   in Loop: Header=BB382_16 Depth=1
	v_cmp_ne_u16_sdwa s5, v31, v5 src0_sel:BYTE_0 src1_sel:DWORD
	v_bfrev_b32_e32 v103, 1
	s_and_saveexec_b32 s26, s5
	s_cbranch_execz .LBB382_1114
; %bb.1109:                             ;   in Loop: Header=BB382_16 Depth=1
	v_and_b32_e32 v3, 0x7f, v31
	v_mov_b32_e32 v103, 0x7f800001
	s_mov_b32 s27, exec_lo
	v_cmpx_ne_u32_e32 0x7f, v3
	s_cbranch_execz .LBB382_1113
; %bb.1110:                             ;   in Loop: Header=BB382_16 Depth=1
	v_mov_b32_e32 v34, v32
	v_lshrrev_b32_e32 v2, 3, v3
	v_mov_b32_e32 v33, v31
	s_mov_b32 s28, exec_lo
	v_cmpx_gt_u32_e32 8, v3
; %bb.1111:                             ;   in Loop: Header=BB382_16 Depth=1
	v_and_b32_e32 v2, 7, v31
	v_ffbh_u32_e32 v2, v2
	v_min_u32_e32 v2, 32, v2
	v_subrev_nc_u32_e32 v3, 28, v2
	v_sub_nc_u32_e32 v2, 29, v2
	v_lshlrev_b64 v[33:34], v3, v[31:32]
; %bb.1112:                             ;   in Loop: Header=BB382_16 Depth=1
	s_or_b32 exec_lo, exec_lo, s28
	v_lshlrev_b32_e32 v3, 20, v33
	v_lshlrev_b32_e32 v6, 24, v31
	v_lshl_add_u32 v2, v2, 23, 0x3c000000
	v_and_b32_e32 v3, 0x700000, v3
	v_and_b32_e32 v6, 0x80000000, v6
	v_or3_b32 v103, v3, v6, v2
.LBB382_1113:                           ;   in Loop: Header=BB382_16 Depth=1
	s_or_b32 exec_lo, exec_lo, s27
.LBB382_1114:                           ;   in Loop: Header=BB382_16 Depth=1
	s_or_b32 exec_lo, exec_lo, s26
.LBB382_1115:                           ;   in Loop: Header=BB382_16 Depth=1
	s_or_b32 exec_lo, exec_lo, s25
	v_cmp_ne_u16_sdwa s5, v31, v19 src0_sel:BYTE_1 src1_sel:DWORD
	s_and_saveexec_b32 s25, s5
	s_cbranch_execz .LBB382_1123
; %bb.1116:                             ;   in Loop: Header=BB382_16 Depth=1
	v_cmp_ne_u16_sdwa s5, v31, v5 src0_sel:BYTE_1 src1_sel:DWORD
	v_bfrev_b32_e32 v101, 1
	s_and_saveexec_b32 s26, s5
	s_cbranch_execz .LBB382_1122
; %bb.1117:                             ;   in Loop: Header=BB382_16 Depth=1
	v_mov_b32_e32 v2, 0xffff
	v_mov_b32_e32 v101, 0x7f800001
	s_mov_b32 s27, exec_lo
	v_and_b32_sdwa v2, v2, v31 dst_sel:DWORD dst_unused:UNUSED_PAD src0_sel:DWORD src1_sel:BYTE_1
	v_and_b32_e32 v3, 0x7f, v2
	v_cmpx_ne_u32_e32 0x7f, v3
	s_cbranch_execz .LBB382_1121
; %bb.1118:                             ;   in Loop: Header=BB382_16 Depth=1
	v_and_b32_e32 v18, 7, v2
	v_mov_b32_e32 v34, v19
	v_lshrrev_b32_e32 v2, 3, v3
	s_mov_b32 s28, exec_lo
	v_mov_b32_e32 v33, v18
	v_cmpx_gt_u32_e32 8, v3
; %bb.1119:                             ;   in Loop: Header=BB382_16 Depth=1
	v_ffbh_u32_e32 v2, v18
	v_min_u32_e32 v2, 32, v2
	v_subrev_nc_u32_e32 v3, 28, v2
	v_sub_nc_u32_e32 v2, 29, v2
	v_lshlrev_b64 v[6:7], v3, v[18:19]
	v_and_b32_e32 v33, 7, v6
; %bb.1120:                             ;   in Loop: Header=BB382_16 Depth=1
	s_or_b32 exec_lo, exec_lo, s28
	v_lshlrev_b32_e32 v3, 16, v31
	v_lshlrev_b32_e32 v6, 20, v33
	v_lshl_add_u32 v2, v2, 23, 0x3c000000
	v_and_b32_e32 v3, 0x80000000, v3
	v_or3_b32 v101, v6, v3, v2
.LBB382_1121:                           ;   in Loop: Header=BB382_16 Depth=1
	s_or_b32 exec_lo, exec_lo, s27
.LBB382_1122:                           ;   in Loop: Header=BB382_16 Depth=1
	s_or_b32 exec_lo, exec_lo, s26
.LBB382_1123:                           ;   in Loop: Header=BB382_16 Depth=1
	s_or_b32 exec_lo, exec_lo, s25
	v_mov_b32_e32 v2, 0xff
	v_mov_b32_e32 v113, 0
	v_mov_b32_e32 v112, 0
	s_mov_b32 s25, exec_lo
	v_and_b32_sdwa v2, v31, v2 dst_sel:DWORD dst_unused:UNUSED_PAD src0_sel:WORD_1 src1_sel:DWORD
	v_cmpx_ne_u16_e32 0, v2
	s_cbranch_execz .LBB382_1131
; %bb.1124:                             ;   in Loop: Header=BB382_16 Depth=1
	v_bfrev_b32_e32 v112, 1
	s_mov_b32 s26, exec_lo
	v_cmpx_ne_u16_e32 0x80, v2
	s_cbranch_execz .LBB382_1130
; %bb.1125:                             ;   in Loop: Header=BB382_16 Depth=1
	v_bfe_u32 v3, v31, 16, 7
	v_mov_b32_e32 v112, 0x7f800001
	s_mov_b32 s27, exec_lo
	v_cmpx_ne_u32_e32 0x7f, v3
	s_cbranch_execz .LBB382_1129
; %bb.1126:                             ;   in Loop: Header=BB382_16 Depth=1
	v_mov_b32_e32 v2, 7
	s_mov_b32 s28, exec_lo
	v_and_b32_sdwa v18, v31, v2 dst_sel:DWORD dst_unused:UNUSED_PAD src0_sel:WORD_1 src1_sel:DWORD
	v_mov_b32_e32 v34, v19
	v_lshrrev_b32_e32 v2, 3, v3
	v_mov_b32_e32 v33, v18
	v_cmpx_gt_u32_e32 8, v3
; %bb.1127:                             ;   in Loop: Header=BB382_16 Depth=1
	v_ffbh_u32_e32 v2, v18
	v_min_u32_e32 v2, 32, v2
	v_subrev_nc_u32_e32 v3, 28, v2
	v_sub_nc_u32_e32 v2, 29, v2
	v_lshlrev_b64 v[6:7], v3, v[18:19]
	v_and_b32_e32 v33, 7, v6
; %bb.1128:                             ;   in Loop: Header=BB382_16 Depth=1
	s_or_b32 exec_lo, exec_lo, s28
	v_mov_b32_e32 v3, 24
	v_lshlrev_b32_e32 v6, 20, v33
	v_lshl_add_u32 v2, v2, 23, 0x3c000000
	v_lshlrev_b32_sdwa v3, v3, v31 dst_sel:DWORD dst_unused:UNUSED_PAD src0_sel:DWORD src1_sel:WORD_1
	v_and_b32_e32 v3, 0x80000000, v3
	v_or3_b32 v112, v6, v3, v2
.LBB382_1129:                           ;   in Loop: Header=BB382_16 Depth=1
	s_or_b32 exec_lo, exec_lo, s27
.LBB382_1130:                           ;   in Loop: Header=BB382_16 Depth=1
	s_or_b32 exec_lo, exec_lo, s26
.LBB382_1131:                           ;   in Loop: Header=BB382_16 Depth=1
	s_or_b32 exec_lo, exec_lo, s25
	s_mov_b32 s25, exec_lo
	v_cmpx_lt_u32_e32 0xffffff, v31
	s_cbranch_execz .LBB382_1139
; %bb.1132:                             ;   in Loop: Header=BB382_16 Depth=1
	v_cmp_ne_u32_sdwa s5, v31, v5 src0_sel:BYTE_3 src1_sel:DWORD
	v_bfrev_b32_e32 v113, 1
	s_and_saveexec_b32 s26, s5
	s_cbranch_execz .LBB382_1138
; %bb.1133:                             ;   in Loop: Header=BB382_16 Depth=1
	v_bfe_u32 v3, v31, 24, 7
	v_mov_b32_e32 v113, 0x7f800001
	s_mov_b32 s27, exec_lo
	v_cmpx_ne_u32_e32 0x7f, v3
	s_cbranch_execz .LBB382_1137
; %bb.1134:                             ;   in Loop: Header=BB382_16 Depth=1
	v_mov_b32_e32 v2, 7
	s_mov_b32 s28, exec_lo
	v_and_b32_sdwa v18, v31, v2 dst_sel:DWORD dst_unused:UNUSED_PAD src0_sel:BYTE_3 src1_sel:DWORD
	v_mov_b32_e32 v34, v19
	v_lshrrev_b32_e32 v2, 3, v3
	v_mov_b32_e32 v33, v18
	v_cmpx_gt_u32_e32 8, v3
; %bb.1135:                             ;   in Loop: Header=BB382_16 Depth=1
	v_ffbh_u32_e32 v2, v18
	v_min_u32_e32 v2, 32, v2
	v_subrev_nc_u32_e32 v3, 28, v2
	v_sub_nc_u32_e32 v2, 29, v2
	v_lshlrev_b64 v[6:7], v3, v[18:19]
	v_and_b32_e32 v33, 7, v6
; %bb.1136:                             ;   in Loop: Header=BB382_16 Depth=1
	s_or_b32 exec_lo, exec_lo, s28
	v_mov_b32_e32 v3, 24
	v_lshlrev_b32_e32 v6, 20, v33
	v_lshl_add_u32 v2, v2, 23, 0x3c000000
	v_lshlrev_b32_sdwa v3, v3, v31 dst_sel:DWORD dst_unused:UNUSED_PAD src0_sel:DWORD src1_sel:BYTE_3
	v_and_b32_e32 v3, 0x80000000, v3
	v_or3_b32 v113, v6, v3, v2
.LBB382_1137:                           ;   in Loop: Header=BB382_16 Depth=1
	s_or_b32 exec_lo, exec_lo, s27
.LBB382_1138:                           ;   in Loop: Header=BB382_16 Depth=1
	s_or_b32 exec_lo, exec_lo, s26
.LBB382_1139:                           ;   in Loop: Header=BB382_16 Depth=1
	s_or_b32 exec_lo, exec_lo, s25
	v_mov_b32_e32 v18, v32
	v_cmp_ne_u16_sdwa s5, v32, v19 src0_sel:BYTE_0 src1_sel:DWORD
	v_mov_b32_e32 v14, 0
	v_mov_b32_e32 v114, 0
	s_and_saveexec_b32 s25, s5
	s_cbranch_execz .LBB382_1147
; %bb.1140:                             ;   in Loop: Header=BB382_16 Depth=1
	v_cmp_ne_u16_sdwa s5, v32, v5 src0_sel:BYTE_0 src1_sel:DWORD
	v_bfrev_b32_e32 v114, 1
	s_and_saveexec_b32 s26, s5
	s_cbranch_execz .LBB382_1146
; %bb.1141:                             ;   in Loop: Header=BB382_16 Depth=1
	v_and_b32_e32 v3, 0x7f, v32
	v_mov_b32_e32 v114, 0x7f800001
	s_mov_b32 s27, exec_lo
	v_cmpx_ne_u32_e32 0x7f, v3
	s_cbranch_execz .LBB382_1145
; %bb.1142:                             ;   in Loop: Header=BB382_16 Depth=1
	v_mov_b32_e32 v34, v19
	v_mov_b32_e32 v33, v18
	v_lshrrev_b32_e32 v2, 3, v3
	s_mov_b32 s28, exec_lo
	v_cmpx_gt_u32_e32 8, v3
; %bb.1143:                             ;   in Loop: Header=BB382_16 Depth=1
	v_and_b32_e32 v2, 7, v32
	v_ffbh_u32_e32 v2, v2
	v_min_u32_e32 v2, 32, v2
	v_subrev_nc_u32_e32 v3, 28, v2
	v_sub_nc_u32_e32 v2, 29, v2
	v_lshlrev_b64 v[33:34], v3, v[18:19]
; %bb.1144:                             ;   in Loop: Header=BB382_16 Depth=1
	s_or_b32 exec_lo, exec_lo, s28
	v_lshlrev_b32_e32 v3, 20, v33
	v_lshlrev_b32_e32 v6, 24, v18
	v_lshl_add_u32 v2, v2, 23, 0x3c000000
	v_and_b32_e32 v3, 0x700000, v3
	v_and_b32_e32 v6, 0x80000000, v6
	v_or3_b32 v114, v3, v6, v2
.LBB382_1145:                           ;   in Loop: Header=BB382_16 Depth=1
	s_or_b32 exec_lo, exec_lo, s27
.LBB382_1146:                           ;   in Loop: Header=BB382_16 Depth=1
	s_or_b32 exec_lo, exec_lo, s26
.LBB382_1147:                           ;   in Loop: Header=BB382_16 Depth=1
	s_or_b32 exec_lo, exec_lo, s25
	v_cmp_ne_u16_sdwa s5, v18, v19 src0_sel:BYTE_1 src1_sel:DWORD
	s_and_saveexec_b32 s25, s5
	s_cbranch_execz .LBB382_1155
; %bb.1148:                             ;   in Loop: Header=BB382_16 Depth=1
	v_cmp_ne_u16_sdwa s5, v18, v5 src0_sel:BYTE_1 src1_sel:DWORD
	v_bfrev_b32_e32 v14, 1
	s_and_saveexec_b32 s26, s5
	s_cbranch_execz .LBB382_1154
; %bb.1149:                             ;   in Loop: Header=BB382_16 Depth=1
	v_mov_b32_e32 v2, 0xffff
	v_mov_b32_e32 v14, 0x7f800001
	s_mov_b32 s27, exec_lo
	v_and_b32_sdwa v2, v2, v18 dst_sel:DWORD dst_unused:UNUSED_PAD src0_sel:DWORD src1_sel:BYTE_1
	v_and_b32_e32 v3, 0x7f, v2
	v_cmpx_ne_u32_e32 0x7f, v3
	s_cbranch_execz .LBB382_1153
; %bb.1150:                             ;   in Loop: Header=BB382_16 Depth=1
	v_and_b32_e32 v33, 7, v2
	v_mov_b32_e32 v34, v19
	v_lshrrev_b32_e32 v2, 3, v3
	s_mov_b32 s28, exec_lo
	v_cmpx_gt_u32_e32 8, v3
; %bb.1151:                             ;   in Loop: Header=BB382_16 Depth=1
	v_ffbh_u32_e32 v2, v33
	v_min_u32_e32 v2, 32, v2
	v_subrev_nc_u32_e32 v3, 28, v2
	v_sub_nc_u32_e32 v2, 29, v2
	v_lshlrev_b64 v[6:7], v3, v[33:34]
	v_and_b32_e32 v33, 7, v6
; %bb.1152:                             ;   in Loop: Header=BB382_16 Depth=1
	s_or_b32 exec_lo, exec_lo, s28
	v_lshlrev_b32_e32 v3, 16, v18
	v_lshlrev_b32_e32 v6, 20, v33
	v_lshl_add_u32 v2, v2, 23, 0x3c000000
	v_and_b32_e32 v3, 0x80000000, v3
	v_or3_b32 v14, v6, v3, v2
.LBB382_1153:                           ;   in Loop: Header=BB382_16 Depth=1
	s_or_b32 exec_lo, exec_lo, s27
.LBB382_1154:                           ;   in Loop: Header=BB382_16 Depth=1
	s_or_b32 exec_lo, exec_lo, s26
.LBB382_1155:                           ;   in Loop: Header=BB382_16 Depth=1
	s_or_b32 exec_lo, exec_lo, s25
	v_mov_b32_e32 v2, 0xff
	v_mov_b32_e32 v60, 0
	;; [unrolled: 1-line block ×3, first 2 shown]
	s_mov_b32 s25, exec_lo
	v_and_b32_sdwa v2, v32, v2 dst_sel:DWORD dst_unused:UNUSED_PAD src0_sel:WORD_1 src1_sel:DWORD
	v_cmpx_ne_u16_e32 0, v2
	s_cbranch_execz .LBB382_1163
; %bb.1156:                             ;   in Loop: Header=BB382_16 Depth=1
	v_bfrev_b32_e32 v99, 1
	s_mov_b32 s26, exec_lo
	v_cmpx_ne_u16_e32 0x80, v2
	s_cbranch_execz .LBB382_1162
; %bb.1157:                             ;   in Loop: Header=BB382_16 Depth=1
	v_bfe_u32 v3, v32, 16, 7
	v_mov_b32_e32 v99, 0x7f800001
	s_mov_b32 s27, exec_lo
	v_cmpx_ne_u32_e32 0x7f, v3
	s_cbranch_execz .LBB382_1161
; %bb.1158:                             ;   in Loop: Header=BB382_16 Depth=1
	v_mov_b32_e32 v2, 7
	s_mov_b32 s28, exec_lo
	v_and_b32_sdwa v18, v32, v2 dst_sel:DWORD dst_unused:UNUSED_PAD src0_sel:WORD_1 src1_sel:DWORD
	v_mov_b32_e32 v34, v19
	v_lshrrev_b32_e32 v2, 3, v3
	v_mov_b32_e32 v33, v18
	v_cmpx_gt_u32_e32 8, v3
; %bb.1159:                             ;   in Loop: Header=BB382_16 Depth=1
	v_ffbh_u32_e32 v2, v18
	v_min_u32_e32 v2, 32, v2
	v_subrev_nc_u32_e32 v3, 28, v2
	v_sub_nc_u32_e32 v2, 29, v2
	v_lshlrev_b64 v[6:7], v3, v[18:19]
	v_and_b32_e32 v33, 7, v6
; %bb.1160:                             ;   in Loop: Header=BB382_16 Depth=1
	s_or_b32 exec_lo, exec_lo, s28
	v_mov_b32_e32 v3, 24
	v_lshlrev_b32_e32 v6, 20, v33
	v_lshl_add_u32 v2, v2, 23, 0x3c000000
	v_lshlrev_b32_sdwa v3, v3, v32 dst_sel:DWORD dst_unused:UNUSED_PAD src0_sel:DWORD src1_sel:WORD_1
	v_and_b32_e32 v3, 0x80000000, v3
	v_or3_b32 v99, v6, v3, v2
.LBB382_1161:                           ;   in Loop: Header=BB382_16 Depth=1
	s_or_b32 exec_lo, exec_lo, s27
.LBB382_1162:                           ;   in Loop: Header=BB382_16 Depth=1
	s_or_b32 exec_lo, exec_lo, s26
.LBB382_1163:                           ;   in Loop: Header=BB382_16 Depth=1
	s_or_b32 exec_lo, exec_lo, s25
	s_mov_b32 s25, exec_lo
	v_cmpx_lt_u64_e64 s[20:21], v[31:32]
	s_cbranch_execz .LBB382_1171
; %bb.1164:                             ;   in Loop: Header=BB382_16 Depth=1
	v_cmp_ne_u32_sdwa s5, v32, v5 src0_sel:BYTE_3 src1_sel:DWORD
	v_bfrev_b32_e32 v60, 1
	s_and_saveexec_b32 s26, s5
	s_cbranch_execz .LBB382_1170
; %bb.1165:                             ;   in Loop: Header=BB382_16 Depth=1
	v_bfe_u32 v3, v32, 24, 7
	v_mov_b32_e32 v60, 0x7f800001
	s_mov_b32 s27, exec_lo
	v_cmpx_ne_u32_e32 0x7f, v3
	s_cbranch_execz .LBB382_1169
; %bb.1166:                             ;   in Loop: Header=BB382_16 Depth=1
	v_mov_b32_e32 v2, 7
	s_mov_b32 s28, exec_lo
	v_and_b32_sdwa v18, v32, v2 dst_sel:DWORD dst_unused:UNUSED_PAD src0_sel:BYTE_3 src1_sel:DWORD
	v_mov_b32_e32 v34, v19
	v_lshrrev_b32_e32 v2, 3, v3
	v_mov_b32_e32 v33, v18
	v_cmpx_gt_u32_e32 8, v3
; %bb.1167:                             ;   in Loop: Header=BB382_16 Depth=1
	v_ffbh_u32_e32 v2, v18
	v_min_u32_e32 v2, 32, v2
	v_subrev_nc_u32_e32 v3, 28, v2
	v_sub_nc_u32_e32 v2, 29, v2
	v_lshlrev_b64 v[6:7], v3, v[18:19]
	v_and_b32_e32 v33, 7, v6
; %bb.1168:                             ;   in Loop: Header=BB382_16 Depth=1
	s_or_b32 exec_lo, exec_lo, s28
	v_mov_b32_e32 v3, 24
	v_lshlrev_b32_e32 v6, 20, v33
	v_lshl_add_u32 v2, v2, 23, 0x3c000000
	v_lshlrev_b32_sdwa v3, v3, v32 dst_sel:DWORD dst_unused:UNUSED_PAD src0_sel:DWORD src1_sel:BYTE_3
	v_and_b32_e32 v3, 0x80000000, v3
	v_or3_b32 v60, v6, v3, v2
.LBB382_1169:                           ;   in Loop: Header=BB382_16 Depth=1
	s_or_b32 exec_lo, exec_lo, s27
.LBB382_1170:                           ;   in Loop: Header=BB382_16 Depth=1
	s_or_b32 exec_lo, exec_lo, s26
.LBB382_1171:                           ;   in Loop: Header=BB382_16 Depth=1
	s_or_b32 exec_lo, exec_lo, s25
	flat_load_dwordx2 v[31:32], v[28:29] offset:512
	v_mov_b32_e32 v117, 0
	v_mov_b32_e32 v119, 0
	s_waitcnt vmcnt(0) lgkmcnt(0)
	v_cmp_ne_u16_sdwa s5, v31, v19 src0_sel:BYTE_0 src1_sel:DWORD
	s_and_saveexec_b32 s25, s5
	s_cbranch_execz .LBB382_1179
; %bb.1172:                             ;   in Loop: Header=BB382_16 Depth=1
	v_cmp_ne_u16_sdwa s5, v31, v5 src0_sel:BYTE_0 src1_sel:DWORD
	v_bfrev_b32_e32 v119, 1
	s_and_saveexec_b32 s26, s5
	s_cbranch_execz .LBB382_1178
; %bb.1173:                             ;   in Loop: Header=BB382_16 Depth=1
	v_and_b32_e32 v3, 0x7f, v31
	v_mov_b32_e32 v119, 0x7f800001
	s_mov_b32 s27, exec_lo
	v_cmpx_ne_u32_e32 0x7f, v3
	s_cbranch_execz .LBB382_1177
; %bb.1174:                             ;   in Loop: Header=BB382_16 Depth=1
	v_mov_b32_e32 v34, v32
	v_lshrrev_b32_e32 v2, 3, v3
	v_mov_b32_e32 v33, v31
	s_mov_b32 s28, exec_lo
	v_cmpx_gt_u32_e32 8, v3
; %bb.1175:                             ;   in Loop: Header=BB382_16 Depth=1
	v_and_b32_e32 v2, 7, v31
	v_ffbh_u32_e32 v2, v2
	v_min_u32_e32 v2, 32, v2
	v_subrev_nc_u32_e32 v3, 28, v2
	v_sub_nc_u32_e32 v2, 29, v2
	v_lshlrev_b64 v[33:34], v3, v[31:32]
; %bb.1176:                             ;   in Loop: Header=BB382_16 Depth=1
	s_or_b32 exec_lo, exec_lo, s28
	v_lshlrev_b32_e32 v3, 20, v33
	v_lshlrev_b32_e32 v6, 24, v31
	v_lshl_add_u32 v2, v2, 23, 0x3c000000
	v_and_b32_e32 v3, 0x700000, v3
	v_and_b32_e32 v6, 0x80000000, v6
	v_or3_b32 v119, v3, v6, v2
.LBB382_1177:                           ;   in Loop: Header=BB382_16 Depth=1
	s_or_b32 exec_lo, exec_lo, s27
.LBB382_1178:                           ;   in Loop: Header=BB382_16 Depth=1
	s_or_b32 exec_lo, exec_lo, s26
.LBB382_1179:                           ;   in Loop: Header=BB382_16 Depth=1
	s_or_b32 exec_lo, exec_lo, s25
	v_cmp_ne_u16_sdwa s5, v31, v19 src0_sel:BYTE_1 src1_sel:DWORD
	s_and_saveexec_b32 s25, s5
	s_cbranch_execz .LBB382_1187
; %bb.1180:                             ;   in Loop: Header=BB382_16 Depth=1
	v_cmp_ne_u16_sdwa s5, v31, v5 src0_sel:BYTE_1 src1_sel:DWORD
	v_bfrev_b32_e32 v117, 1
	s_and_saveexec_b32 s26, s5
	s_cbranch_execz .LBB382_1186
; %bb.1181:                             ;   in Loop: Header=BB382_16 Depth=1
	v_mov_b32_e32 v2, 0xffff
	v_mov_b32_e32 v117, 0x7f800001
	s_mov_b32 s27, exec_lo
	v_and_b32_sdwa v2, v2, v31 dst_sel:DWORD dst_unused:UNUSED_PAD src0_sel:DWORD src1_sel:BYTE_1
	v_and_b32_e32 v3, 0x7f, v2
	v_cmpx_ne_u32_e32 0x7f, v3
	s_cbranch_execz .LBB382_1185
; %bb.1182:                             ;   in Loop: Header=BB382_16 Depth=1
	v_and_b32_e32 v18, 7, v2
	v_mov_b32_e32 v34, v19
	v_lshrrev_b32_e32 v2, 3, v3
	s_mov_b32 s28, exec_lo
	v_mov_b32_e32 v33, v18
	v_cmpx_gt_u32_e32 8, v3
; %bb.1183:                             ;   in Loop: Header=BB382_16 Depth=1
	v_ffbh_u32_e32 v2, v18
	v_min_u32_e32 v2, 32, v2
	v_subrev_nc_u32_e32 v3, 28, v2
	v_sub_nc_u32_e32 v2, 29, v2
	v_lshlrev_b64 v[6:7], v3, v[18:19]
	v_and_b32_e32 v33, 7, v6
; %bb.1184:                             ;   in Loop: Header=BB382_16 Depth=1
	s_or_b32 exec_lo, exec_lo, s28
	v_lshlrev_b32_e32 v3, 16, v31
	v_lshlrev_b32_e32 v6, 20, v33
	v_lshl_add_u32 v2, v2, 23, 0x3c000000
	v_and_b32_e32 v3, 0x80000000, v3
	v_or3_b32 v117, v6, v3, v2
.LBB382_1185:                           ;   in Loop: Header=BB382_16 Depth=1
	s_or_b32 exec_lo, exec_lo, s27
.LBB382_1186:                           ;   in Loop: Header=BB382_16 Depth=1
	s_or_b32 exec_lo, exec_lo, s26
.LBB382_1187:                           ;   in Loop: Header=BB382_16 Depth=1
	s_or_b32 exec_lo, exec_lo, s25
	v_mov_b32_e32 v2, 0xff
	v_mov_b32_e32 v61, 0
	;; [unrolled: 1-line block ×3, first 2 shown]
	s_mov_b32 s25, exec_lo
	v_and_b32_sdwa v2, v31, v2 dst_sel:DWORD dst_unused:UNUSED_PAD src0_sel:WORD_1 src1_sel:DWORD
	v_cmpx_ne_u16_e32 0, v2
	s_cbranch_execz .LBB382_1195
; %bb.1188:                             ;   in Loop: Header=BB382_16 Depth=1
	v_bfrev_b32_e32 v40, 1
	s_mov_b32 s26, exec_lo
	v_cmpx_ne_u16_e32 0x80, v2
	s_cbranch_execz .LBB382_1194
; %bb.1189:                             ;   in Loop: Header=BB382_16 Depth=1
	v_bfe_u32 v3, v31, 16, 7
	v_mov_b32_e32 v40, 0x7f800001
	s_mov_b32 s27, exec_lo
	v_cmpx_ne_u32_e32 0x7f, v3
	s_cbranch_execz .LBB382_1193
; %bb.1190:                             ;   in Loop: Header=BB382_16 Depth=1
	v_mov_b32_e32 v2, 7
	s_mov_b32 s28, exec_lo
	v_and_b32_sdwa v18, v31, v2 dst_sel:DWORD dst_unused:UNUSED_PAD src0_sel:WORD_1 src1_sel:DWORD
	v_mov_b32_e32 v34, v19
	v_lshrrev_b32_e32 v2, 3, v3
	v_mov_b32_e32 v33, v18
	v_cmpx_gt_u32_e32 8, v3
; %bb.1191:                             ;   in Loop: Header=BB382_16 Depth=1
	v_ffbh_u32_e32 v2, v18
	v_min_u32_e32 v2, 32, v2
	v_subrev_nc_u32_e32 v3, 28, v2
	v_sub_nc_u32_e32 v2, 29, v2
	v_lshlrev_b64 v[6:7], v3, v[18:19]
	v_and_b32_e32 v33, 7, v6
; %bb.1192:                             ;   in Loop: Header=BB382_16 Depth=1
	s_or_b32 exec_lo, exec_lo, s28
	v_mov_b32_e32 v3, 24
	v_lshlrev_b32_e32 v6, 20, v33
	v_lshl_add_u32 v2, v2, 23, 0x3c000000
	v_lshlrev_b32_sdwa v3, v3, v31 dst_sel:DWORD dst_unused:UNUSED_PAD src0_sel:DWORD src1_sel:WORD_1
	v_and_b32_e32 v3, 0x80000000, v3
	v_or3_b32 v40, v6, v3, v2
.LBB382_1193:                           ;   in Loop: Header=BB382_16 Depth=1
	s_or_b32 exec_lo, exec_lo, s27
.LBB382_1194:                           ;   in Loop: Header=BB382_16 Depth=1
	s_or_b32 exec_lo, exec_lo, s26
.LBB382_1195:                           ;   in Loop: Header=BB382_16 Depth=1
	s_or_b32 exec_lo, exec_lo, s25
	s_mov_b32 s25, exec_lo
	v_cmpx_lt_u32_e32 0xffffff, v31
	s_cbranch_execz .LBB382_1203
; %bb.1196:                             ;   in Loop: Header=BB382_16 Depth=1
	v_cmp_ne_u32_sdwa s5, v31, v5 src0_sel:BYTE_3 src1_sel:DWORD
	v_bfrev_b32_e32 v61, 1
	s_and_saveexec_b32 s26, s5
	s_cbranch_execz .LBB382_1202
; %bb.1197:                             ;   in Loop: Header=BB382_16 Depth=1
	v_bfe_u32 v3, v31, 24, 7
	v_mov_b32_e32 v61, 0x7f800001
	s_mov_b32 s27, exec_lo
	v_cmpx_ne_u32_e32 0x7f, v3
	s_cbranch_execz .LBB382_1201
; %bb.1198:                             ;   in Loop: Header=BB382_16 Depth=1
	v_mov_b32_e32 v2, 7
	s_mov_b32 s28, exec_lo
	v_and_b32_sdwa v18, v31, v2 dst_sel:DWORD dst_unused:UNUSED_PAD src0_sel:BYTE_3 src1_sel:DWORD
	v_mov_b32_e32 v34, v19
	v_lshrrev_b32_e32 v2, 3, v3
	v_mov_b32_e32 v33, v18
	v_cmpx_gt_u32_e32 8, v3
; %bb.1199:                             ;   in Loop: Header=BB382_16 Depth=1
	v_ffbh_u32_e32 v2, v18
	v_min_u32_e32 v2, 32, v2
	v_subrev_nc_u32_e32 v3, 28, v2
	v_sub_nc_u32_e32 v2, 29, v2
	v_lshlrev_b64 v[6:7], v3, v[18:19]
	v_and_b32_e32 v33, 7, v6
; %bb.1200:                             ;   in Loop: Header=BB382_16 Depth=1
	s_or_b32 exec_lo, exec_lo, s28
	v_mov_b32_e32 v3, 24
	v_lshlrev_b32_e32 v6, 20, v33
	v_lshl_add_u32 v2, v2, 23, 0x3c000000
	v_lshlrev_b32_sdwa v3, v3, v31 dst_sel:DWORD dst_unused:UNUSED_PAD src0_sel:DWORD src1_sel:BYTE_3
	v_and_b32_e32 v3, 0x80000000, v3
	v_or3_b32 v61, v6, v3, v2
.LBB382_1201:                           ;   in Loop: Header=BB382_16 Depth=1
	s_or_b32 exec_lo, exec_lo, s27
.LBB382_1202:                           ;   in Loop: Header=BB382_16 Depth=1
	s_or_b32 exec_lo, exec_lo, s26
.LBB382_1203:                           ;   in Loop: Header=BB382_16 Depth=1
	s_or_b32 exec_lo, exec_lo, s25
	v_mov_b32_e32 v18, v32
	v_cmp_ne_u16_sdwa s5, v32, v19 src0_sel:BYTE_0 src1_sel:DWORD
	v_mov_b32_e32 v58, 0
	v_mov_b32_e32 v42, 0
	s_and_saveexec_b32 s25, s5
	s_cbranch_execz .LBB382_1211
; %bb.1204:                             ;   in Loop: Header=BB382_16 Depth=1
	v_cmp_ne_u16_sdwa s5, v32, v5 src0_sel:BYTE_0 src1_sel:DWORD
	v_bfrev_b32_e32 v42, 1
	s_and_saveexec_b32 s26, s5
	s_cbranch_execz .LBB382_1210
; %bb.1205:                             ;   in Loop: Header=BB382_16 Depth=1
	v_and_b32_e32 v3, 0x7f, v32
	v_mov_b32_e32 v42, 0x7f800001
	s_mov_b32 s27, exec_lo
	v_cmpx_ne_u32_e32 0x7f, v3
	s_cbranch_execz .LBB382_1209
; %bb.1206:                             ;   in Loop: Header=BB382_16 Depth=1
	v_mov_b32_e32 v34, v19
	v_mov_b32_e32 v33, v18
	v_lshrrev_b32_e32 v2, 3, v3
	s_mov_b32 s28, exec_lo
	v_cmpx_gt_u32_e32 8, v3
; %bb.1207:                             ;   in Loop: Header=BB382_16 Depth=1
	v_and_b32_e32 v2, 7, v32
	v_ffbh_u32_e32 v2, v2
	v_min_u32_e32 v2, 32, v2
	v_subrev_nc_u32_e32 v3, 28, v2
	v_sub_nc_u32_e32 v2, 29, v2
	v_lshlrev_b64 v[33:34], v3, v[18:19]
; %bb.1208:                             ;   in Loop: Header=BB382_16 Depth=1
	s_or_b32 exec_lo, exec_lo, s28
	v_lshlrev_b32_e32 v3, 20, v33
	v_lshlrev_b32_e32 v6, 24, v18
	v_lshl_add_u32 v2, v2, 23, 0x3c000000
	v_and_b32_e32 v3, 0x700000, v3
	v_and_b32_e32 v6, 0x80000000, v6
	v_or3_b32 v42, v3, v6, v2
.LBB382_1209:                           ;   in Loop: Header=BB382_16 Depth=1
	s_or_b32 exec_lo, exec_lo, s27
.LBB382_1210:                           ;   in Loop: Header=BB382_16 Depth=1
	s_or_b32 exec_lo, exec_lo, s26
.LBB382_1211:                           ;   in Loop: Header=BB382_16 Depth=1
	s_or_b32 exec_lo, exec_lo, s25
	v_cmp_ne_u16_sdwa s5, v18, v19 src0_sel:BYTE_1 src1_sel:DWORD
	s_and_saveexec_b32 s25, s5
	s_cbranch_execz .LBB382_1219
; %bb.1212:                             ;   in Loop: Header=BB382_16 Depth=1
	v_cmp_ne_u16_sdwa s5, v18, v5 src0_sel:BYTE_1 src1_sel:DWORD
	v_bfrev_b32_e32 v58, 1
	s_and_saveexec_b32 s26, s5
	s_cbranch_execz .LBB382_1218
; %bb.1213:                             ;   in Loop: Header=BB382_16 Depth=1
	v_mov_b32_e32 v2, 0xffff
	v_mov_b32_e32 v58, 0x7f800001
	s_mov_b32 s27, exec_lo
	v_and_b32_sdwa v2, v2, v18 dst_sel:DWORD dst_unused:UNUSED_PAD src0_sel:DWORD src1_sel:BYTE_1
	v_and_b32_e32 v3, 0x7f, v2
	v_cmpx_ne_u32_e32 0x7f, v3
	s_cbranch_execz .LBB382_1217
; %bb.1214:                             ;   in Loop: Header=BB382_16 Depth=1
	v_and_b32_e32 v33, 7, v2
	v_mov_b32_e32 v34, v19
	v_lshrrev_b32_e32 v2, 3, v3
	s_mov_b32 s28, exec_lo
	v_cmpx_gt_u32_e32 8, v3
; %bb.1215:                             ;   in Loop: Header=BB382_16 Depth=1
	v_ffbh_u32_e32 v2, v33
	v_min_u32_e32 v2, 32, v2
	v_subrev_nc_u32_e32 v3, 28, v2
	v_sub_nc_u32_e32 v2, 29, v2
	v_lshlrev_b64 v[6:7], v3, v[33:34]
	v_and_b32_e32 v33, 7, v6
; %bb.1216:                             ;   in Loop: Header=BB382_16 Depth=1
	s_or_b32 exec_lo, exec_lo, s28
	v_lshlrev_b32_e32 v3, 16, v18
	v_lshlrev_b32_e32 v6, 20, v33
	v_lshl_add_u32 v2, v2, 23, 0x3c000000
	v_and_b32_e32 v3, 0x80000000, v3
	v_or3_b32 v58, v6, v3, v2
.LBB382_1217:                           ;   in Loop: Header=BB382_16 Depth=1
	s_or_b32 exec_lo, exec_lo, s27
.LBB382_1218:                           ;   in Loop: Header=BB382_16 Depth=1
	s_or_b32 exec_lo, exec_lo, s26
.LBB382_1219:                           ;   in Loop: Header=BB382_16 Depth=1
	s_or_b32 exec_lo, exec_lo, s25
	v_mov_b32_e32 v2, 0xff
	v_mov_b32_e32 v118, 0
	;; [unrolled: 1-line block ×3, first 2 shown]
	s_mov_b32 s25, exec_lo
	v_and_b32_sdwa v2, v32, v2 dst_sel:DWORD dst_unused:UNUSED_PAD src0_sel:WORD_1 src1_sel:DWORD
	v_cmpx_ne_u16_e32 0, v2
	s_cbranch_execz .LBB382_1227
; %bb.1220:                             ;   in Loop: Header=BB382_16 Depth=1
	v_bfrev_b32_e32 v62, 1
	s_mov_b32 s26, exec_lo
	v_cmpx_ne_u16_e32 0x80, v2
	s_cbranch_execz .LBB382_1226
; %bb.1221:                             ;   in Loop: Header=BB382_16 Depth=1
	v_bfe_u32 v3, v32, 16, 7
	v_mov_b32_e32 v62, 0x7f800001
	s_mov_b32 s27, exec_lo
	v_cmpx_ne_u32_e32 0x7f, v3
	s_cbranch_execz .LBB382_1225
; %bb.1222:                             ;   in Loop: Header=BB382_16 Depth=1
	v_mov_b32_e32 v2, 7
	s_mov_b32 s28, exec_lo
	v_and_b32_sdwa v18, v32, v2 dst_sel:DWORD dst_unused:UNUSED_PAD src0_sel:WORD_1 src1_sel:DWORD
	v_mov_b32_e32 v34, v19
	v_lshrrev_b32_e32 v2, 3, v3
	v_mov_b32_e32 v33, v18
	v_cmpx_gt_u32_e32 8, v3
; %bb.1223:                             ;   in Loop: Header=BB382_16 Depth=1
	v_ffbh_u32_e32 v2, v18
	v_min_u32_e32 v2, 32, v2
	v_subrev_nc_u32_e32 v3, 28, v2
	v_sub_nc_u32_e32 v2, 29, v2
	v_lshlrev_b64 v[6:7], v3, v[18:19]
	v_and_b32_e32 v33, 7, v6
; %bb.1224:                             ;   in Loop: Header=BB382_16 Depth=1
	s_or_b32 exec_lo, exec_lo, s28
	v_mov_b32_e32 v3, 24
	v_lshlrev_b32_e32 v6, 20, v33
	v_lshl_add_u32 v2, v2, 23, 0x3c000000
	v_lshlrev_b32_sdwa v3, v3, v32 dst_sel:DWORD dst_unused:UNUSED_PAD src0_sel:DWORD src1_sel:WORD_1
	v_and_b32_e32 v3, 0x80000000, v3
	v_or3_b32 v62, v6, v3, v2
.LBB382_1225:                           ;   in Loop: Header=BB382_16 Depth=1
	s_or_b32 exec_lo, exec_lo, s27
.LBB382_1226:                           ;   in Loop: Header=BB382_16 Depth=1
	s_or_b32 exec_lo, exec_lo, s26
.LBB382_1227:                           ;   in Loop: Header=BB382_16 Depth=1
	s_or_b32 exec_lo, exec_lo, s25
	s_mov_b32 s25, exec_lo
	v_cmpx_lt_u64_e64 s[20:21], v[31:32]
	s_cbranch_execz .LBB382_1235
; %bb.1228:                             ;   in Loop: Header=BB382_16 Depth=1
	v_cmp_ne_u32_sdwa s5, v32, v5 src0_sel:BYTE_3 src1_sel:DWORD
	v_bfrev_b32_e32 v118, 1
	s_and_saveexec_b32 s26, s5
	s_cbranch_execz .LBB382_1234
; %bb.1229:                             ;   in Loop: Header=BB382_16 Depth=1
	v_bfe_u32 v3, v32, 24, 7
	v_mov_b32_e32 v118, 0x7f800001
	s_mov_b32 s27, exec_lo
	v_cmpx_ne_u32_e32 0x7f, v3
	s_cbranch_execz .LBB382_1233
; %bb.1230:                             ;   in Loop: Header=BB382_16 Depth=1
	v_mov_b32_e32 v2, 7
	s_mov_b32 s28, exec_lo
	v_and_b32_sdwa v18, v32, v2 dst_sel:DWORD dst_unused:UNUSED_PAD src0_sel:BYTE_3 src1_sel:DWORD
	v_mov_b32_e32 v34, v19
	v_lshrrev_b32_e32 v2, 3, v3
	v_mov_b32_e32 v33, v18
	v_cmpx_gt_u32_e32 8, v3
; %bb.1231:                             ;   in Loop: Header=BB382_16 Depth=1
	v_ffbh_u32_e32 v2, v18
	v_min_u32_e32 v2, 32, v2
	v_subrev_nc_u32_e32 v3, 28, v2
	v_sub_nc_u32_e32 v2, 29, v2
	v_lshlrev_b64 v[6:7], v3, v[18:19]
	v_and_b32_e32 v33, 7, v6
; %bb.1232:                             ;   in Loop: Header=BB382_16 Depth=1
	s_or_b32 exec_lo, exec_lo, s28
	v_mov_b32_e32 v3, 24
	v_lshlrev_b32_e32 v6, 20, v33
	v_lshl_add_u32 v2, v2, 23, 0x3c000000
	v_lshlrev_b32_sdwa v3, v3, v32 dst_sel:DWORD dst_unused:UNUSED_PAD src0_sel:DWORD src1_sel:BYTE_3
	v_and_b32_e32 v3, 0x80000000, v3
	v_or3_b32 v118, v6, v3, v2
.LBB382_1233:                           ;   in Loop: Header=BB382_16 Depth=1
	s_or_b32 exec_lo, exec_lo, s27
.LBB382_1234:                           ;   in Loop: Header=BB382_16 Depth=1
	s_or_b32 exec_lo, exec_lo, s26
.LBB382_1235:                           ;   in Loop: Header=BB382_16 Depth=1
	s_or_b32 exec_lo, exec_lo, s25
	flat_load_dwordx2 v[31:32], v[28:29] offset:520
	v_mov_b32_e32 v45, 0
	v_mov_b32_e32 v47, 0
	s_waitcnt vmcnt(0) lgkmcnt(0)
	v_cmp_ne_u16_sdwa s5, v31, v19 src0_sel:BYTE_0 src1_sel:DWORD
	s_and_saveexec_b32 s25, s5
	s_cbranch_execz .LBB382_1243
; %bb.1236:                             ;   in Loop: Header=BB382_16 Depth=1
	v_cmp_ne_u16_sdwa s5, v31, v5 src0_sel:BYTE_0 src1_sel:DWORD
	v_bfrev_b32_e32 v47, 1
	s_and_saveexec_b32 s26, s5
	s_cbranch_execz .LBB382_1242
; %bb.1237:                             ;   in Loop: Header=BB382_16 Depth=1
	v_and_b32_e32 v3, 0x7f, v31
	v_mov_b32_e32 v47, 0x7f800001
	s_mov_b32 s27, exec_lo
	v_cmpx_ne_u32_e32 0x7f, v3
	s_cbranch_execz .LBB382_1241
; %bb.1238:                             ;   in Loop: Header=BB382_16 Depth=1
	v_mov_b32_e32 v34, v32
	v_lshrrev_b32_e32 v2, 3, v3
	v_mov_b32_e32 v33, v31
	s_mov_b32 s28, exec_lo
	v_cmpx_gt_u32_e32 8, v3
; %bb.1239:                             ;   in Loop: Header=BB382_16 Depth=1
	v_and_b32_e32 v2, 7, v31
	v_ffbh_u32_e32 v2, v2
	v_min_u32_e32 v2, 32, v2
	v_subrev_nc_u32_e32 v3, 28, v2
	v_sub_nc_u32_e32 v2, 29, v2
	v_lshlrev_b64 v[33:34], v3, v[31:32]
; %bb.1240:                             ;   in Loop: Header=BB382_16 Depth=1
	s_or_b32 exec_lo, exec_lo, s28
	v_lshlrev_b32_e32 v3, 20, v33
	v_lshlrev_b32_e32 v6, 24, v31
	v_lshl_add_u32 v2, v2, 23, 0x3c000000
	v_and_b32_e32 v3, 0x700000, v3
	v_and_b32_e32 v6, 0x80000000, v6
	v_or3_b32 v47, v3, v6, v2
.LBB382_1241:                           ;   in Loop: Header=BB382_16 Depth=1
	s_or_b32 exec_lo, exec_lo, s27
.LBB382_1242:                           ;   in Loop: Header=BB382_16 Depth=1
	s_or_b32 exec_lo, exec_lo, s26
.LBB382_1243:                           ;   in Loop: Header=BB382_16 Depth=1
	s_or_b32 exec_lo, exec_lo, s25
	v_cmp_ne_u16_sdwa s5, v31, v19 src0_sel:BYTE_1 src1_sel:DWORD
	s_and_saveexec_b32 s25, s5
	s_cbranch_execz .LBB382_1251
; %bb.1244:                             ;   in Loop: Header=BB382_16 Depth=1
	v_cmp_ne_u16_sdwa s5, v31, v5 src0_sel:BYTE_1 src1_sel:DWORD
	v_bfrev_b32_e32 v45, 1
	s_and_saveexec_b32 s26, s5
	s_cbranch_execz .LBB382_1250
; %bb.1245:                             ;   in Loop: Header=BB382_16 Depth=1
	v_mov_b32_e32 v2, 0xffff
	v_mov_b32_e32 v45, 0x7f800001
	s_mov_b32 s27, exec_lo
	v_and_b32_sdwa v2, v2, v31 dst_sel:DWORD dst_unused:UNUSED_PAD src0_sel:DWORD src1_sel:BYTE_1
	v_and_b32_e32 v3, 0x7f, v2
	v_cmpx_ne_u32_e32 0x7f, v3
	s_cbranch_execz .LBB382_1249
; %bb.1246:                             ;   in Loop: Header=BB382_16 Depth=1
	v_and_b32_e32 v18, 7, v2
	v_mov_b32_e32 v34, v19
	v_lshrrev_b32_e32 v2, 3, v3
	s_mov_b32 s28, exec_lo
	v_mov_b32_e32 v33, v18
	v_cmpx_gt_u32_e32 8, v3
; %bb.1247:                             ;   in Loop: Header=BB382_16 Depth=1
	v_ffbh_u32_e32 v2, v18
	v_min_u32_e32 v2, 32, v2
	v_subrev_nc_u32_e32 v3, 28, v2
	v_sub_nc_u32_e32 v2, 29, v2
	v_lshlrev_b64 v[6:7], v3, v[18:19]
	v_and_b32_e32 v33, 7, v6
; %bb.1248:                             ;   in Loop: Header=BB382_16 Depth=1
	s_or_b32 exec_lo, exec_lo, s28
	v_lshlrev_b32_e32 v3, 16, v31
	v_lshlrev_b32_e32 v6, 20, v33
	v_lshl_add_u32 v2, v2, 23, 0x3c000000
	v_and_b32_e32 v3, 0x80000000, v3
	v_or3_b32 v45, v6, v3, v2
.LBB382_1249:                           ;   in Loop: Header=BB382_16 Depth=1
	s_or_b32 exec_lo, exec_lo, s27
.LBB382_1250:                           ;   in Loop: Header=BB382_16 Depth=1
	s_or_b32 exec_lo, exec_lo, s26
.LBB382_1251:                           ;   in Loop: Header=BB382_16 Depth=1
	s_or_b32 exec_lo, exec_lo, s25
	v_mov_b32_e32 v2, 0xff
	v_mov_b32_e32 v49, 0
	;; [unrolled: 1-line block ×3, first 2 shown]
	s_mov_b32 s25, exec_lo
	v_and_b32_sdwa v2, v31, v2 dst_sel:DWORD dst_unused:UNUSED_PAD src0_sel:WORD_1 src1_sel:DWORD
	v_cmpx_ne_u16_e32 0, v2
	s_cbranch_execz .LBB382_1259
; %bb.1252:                             ;   in Loop: Header=BB382_16 Depth=1
	v_bfrev_b32_e32 v56, 1
	s_mov_b32 s26, exec_lo
	v_cmpx_ne_u16_e32 0x80, v2
	s_cbranch_execz .LBB382_1258
; %bb.1253:                             ;   in Loop: Header=BB382_16 Depth=1
	v_bfe_u32 v3, v31, 16, 7
	v_mov_b32_e32 v56, 0x7f800001
	s_mov_b32 s27, exec_lo
	v_cmpx_ne_u32_e32 0x7f, v3
	s_cbranch_execz .LBB382_1257
; %bb.1254:                             ;   in Loop: Header=BB382_16 Depth=1
	v_mov_b32_e32 v2, 7
	s_mov_b32 s28, exec_lo
	v_and_b32_sdwa v18, v31, v2 dst_sel:DWORD dst_unused:UNUSED_PAD src0_sel:WORD_1 src1_sel:DWORD
	v_mov_b32_e32 v34, v19
	v_lshrrev_b32_e32 v2, 3, v3
	v_mov_b32_e32 v33, v18
	v_cmpx_gt_u32_e32 8, v3
; %bb.1255:                             ;   in Loop: Header=BB382_16 Depth=1
	v_ffbh_u32_e32 v2, v18
	v_min_u32_e32 v2, 32, v2
	v_subrev_nc_u32_e32 v3, 28, v2
	v_sub_nc_u32_e32 v2, 29, v2
	v_lshlrev_b64 v[6:7], v3, v[18:19]
	v_and_b32_e32 v33, 7, v6
; %bb.1256:                             ;   in Loop: Header=BB382_16 Depth=1
	s_or_b32 exec_lo, exec_lo, s28
	v_mov_b32_e32 v3, 24
	v_lshlrev_b32_e32 v6, 20, v33
	v_lshl_add_u32 v2, v2, 23, 0x3c000000
	v_lshlrev_b32_sdwa v3, v3, v31 dst_sel:DWORD dst_unused:UNUSED_PAD src0_sel:DWORD src1_sel:WORD_1
	v_and_b32_e32 v3, 0x80000000, v3
	v_or3_b32 v56, v6, v3, v2
.LBB382_1257:                           ;   in Loop: Header=BB382_16 Depth=1
	s_or_b32 exec_lo, exec_lo, s27
.LBB382_1258:                           ;   in Loop: Header=BB382_16 Depth=1
	s_or_b32 exec_lo, exec_lo, s26
.LBB382_1259:                           ;   in Loop: Header=BB382_16 Depth=1
	s_or_b32 exec_lo, exec_lo, s25
	s_mov_b32 s25, exec_lo
	v_cmpx_lt_u32_e32 0xffffff, v31
	s_cbranch_execz .LBB382_1267
; %bb.1260:                             ;   in Loop: Header=BB382_16 Depth=1
	v_cmp_ne_u32_sdwa s5, v31, v5 src0_sel:BYTE_3 src1_sel:DWORD
	v_bfrev_b32_e32 v49, 1
	s_and_saveexec_b32 s26, s5
	s_cbranch_execz .LBB382_1266
; %bb.1261:                             ;   in Loop: Header=BB382_16 Depth=1
	v_bfe_u32 v3, v31, 24, 7
	v_mov_b32_e32 v49, 0x7f800001
	s_mov_b32 s27, exec_lo
	v_cmpx_ne_u32_e32 0x7f, v3
	s_cbranch_execz .LBB382_1265
; %bb.1262:                             ;   in Loop: Header=BB382_16 Depth=1
	v_mov_b32_e32 v2, 7
	s_mov_b32 s28, exec_lo
	v_and_b32_sdwa v18, v31, v2 dst_sel:DWORD dst_unused:UNUSED_PAD src0_sel:BYTE_3 src1_sel:DWORD
	v_mov_b32_e32 v34, v19
	v_lshrrev_b32_e32 v2, 3, v3
	v_mov_b32_e32 v33, v18
	v_cmpx_gt_u32_e32 8, v3
; %bb.1263:                             ;   in Loop: Header=BB382_16 Depth=1
	v_ffbh_u32_e32 v2, v18
	v_min_u32_e32 v2, 32, v2
	v_subrev_nc_u32_e32 v3, 28, v2
	v_sub_nc_u32_e32 v2, 29, v2
	v_lshlrev_b64 v[6:7], v3, v[18:19]
	v_and_b32_e32 v33, 7, v6
; %bb.1264:                             ;   in Loop: Header=BB382_16 Depth=1
	s_or_b32 exec_lo, exec_lo, s28
	v_mov_b32_e32 v3, 24
	v_lshlrev_b32_e32 v6, 20, v33
	v_lshl_add_u32 v2, v2, 23, 0x3c000000
	v_lshlrev_b32_sdwa v3, v3, v31 dst_sel:DWORD dst_unused:UNUSED_PAD src0_sel:DWORD src1_sel:BYTE_3
	v_and_b32_e32 v3, 0x80000000, v3
	v_or3_b32 v49, v6, v3, v2
.LBB382_1265:                           ;   in Loop: Header=BB382_16 Depth=1
	s_or_b32 exec_lo, exec_lo, s27
.LBB382_1266:                           ;   in Loop: Header=BB382_16 Depth=1
	s_or_b32 exec_lo, exec_lo, s26
.LBB382_1267:                           ;   in Loop: Header=BB382_16 Depth=1
	s_or_b32 exec_lo, exec_lo, s25
	v_mov_b32_e32 v18, v32
	v_cmp_ne_u16_sdwa s5, v32, v19 src0_sel:BYTE_0 src1_sel:DWORD
	v_mov_b32_e32 v7, 0
	v_mov_b32_e32 v17, 0
	s_and_saveexec_b32 s25, s5
	s_cbranch_execz .LBB382_1275
; %bb.1268:                             ;   in Loop: Header=BB382_16 Depth=1
	v_cmp_ne_u16_sdwa s5, v32, v5 src0_sel:BYTE_0 src1_sel:DWORD
	v_bfrev_b32_e32 v17, 1
	s_and_saveexec_b32 s26, s5
	s_cbranch_execz .LBB382_1274
; %bb.1269:                             ;   in Loop: Header=BB382_16 Depth=1
	v_and_b32_e32 v3, 0x7f, v32
	v_mov_b32_e32 v17, 0x7f800001
	s_mov_b32 s27, exec_lo
	v_cmpx_ne_u32_e32 0x7f, v3
	s_cbranch_execz .LBB382_1273
; %bb.1270:                             ;   in Loop: Header=BB382_16 Depth=1
	v_mov_b32_e32 v34, v19
	v_mov_b32_e32 v33, v18
	v_lshrrev_b32_e32 v2, 3, v3
	s_mov_b32 s28, exec_lo
	v_cmpx_gt_u32_e32 8, v3
; %bb.1271:                             ;   in Loop: Header=BB382_16 Depth=1
	v_and_b32_e32 v2, 7, v32
	v_ffbh_u32_e32 v2, v2
	v_min_u32_e32 v2, 32, v2
	v_subrev_nc_u32_e32 v3, 28, v2
	v_sub_nc_u32_e32 v2, 29, v2
	v_lshlrev_b64 v[33:34], v3, v[18:19]
; %bb.1272:                             ;   in Loop: Header=BB382_16 Depth=1
	s_or_b32 exec_lo, exec_lo, s28
	v_lshlrev_b32_e32 v3, 20, v33
	v_lshlrev_b32_e32 v6, 24, v18
	v_lshl_add_u32 v2, v2, 23, 0x3c000000
	v_and_b32_e32 v3, 0x700000, v3
	v_and_b32_e32 v6, 0x80000000, v6
	v_or3_b32 v17, v3, v6, v2
.LBB382_1273:                           ;   in Loop: Header=BB382_16 Depth=1
	s_or_b32 exec_lo, exec_lo, s27
.LBB382_1274:                           ;   in Loop: Header=BB382_16 Depth=1
	s_or_b32 exec_lo, exec_lo, s26
.LBB382_1275:                           ;   in Loop: Header=BB382_16 Depth=1
	s_or_b32 exec_lo, exec_lo, s25
	v_cmp_ne_u16_sdwa s5, v18, v19 src0_sel:BYTE_1 src1_sel:DWORD
	s_and_saveexec_b32 s25, s5
	s_cbranch_execz .LBB382_1283
; %bb.1276:                             ;   in Loop: Header=BB382_16 Depth=1
	v_cmp_ne_u16_sdwa s5, v18, v5 src0_sel:BYTE_1 src1_sel:DWORD
	v_bfrev_b32_e32 v7, 1
	s_and_saveexec_b32 s26, s5
	s_cbranch_execz .LBB382_1282
; %bb.1277:                             ;   in Loop: Header=BB382_16 Depth=1
	v_mov_b32_e32 v2, 0xffff
	v_mov_b32_e32 v7, 0x7f800001
	s_mov_b32 s27, exec_lo
	v_and_b32_sdwa v2, v2, v18 dst_sel:DWORD dst_unused:UNUSED_PAD src0_sel:DWORD src1_sel:BYTE_1
	v_and_b32_e32 v3, 0x7f, v2
	v_cmpx_ne_u32_e32 0x7f, v3
	s_cbranch_execz .LBB382_1281
; %bb.1278:                             ;   in Loop: Header=BB382_16 Depth=1
	v_and_b32_e32 v33, 7, v2
	v_mov_b32_e32 v34, v19
	v_lshrrev_b32_e32 v2, 3, v3
	s_mov_b32 s28, exec_lo
	v_cmpx_gt_u32_e32 8, v3
; %bb.1279:                             ;   in Loop: Header=BB382_16 Depth=1
	v_ffbh_u32_e32 v2, v33
	v_min_u32_e32 v2, 32, v2
	v_subrev_nc_u32_e32 v3, 28, v2
	v_sub_nc_u32_e32 v2, 29, v2
	v_lshlrev_b64 v[6:7], v3, v[33:34]
	v_and_b32_e32 v33, 7, v6
; %bb.1280:                             ;   in Loop: Header=BB382_16 Depth=1
	s_or_b32 exec_lo, exec_lo, s28
	v_lshlrev_b32_e32 v3, 16, v18
	v_lshlrev_b32_e32 v6, 20, v33
	v_lshl_add_u32 v2, v2, 23, 0x3c000000
	v_and_b32_e32 v3, 0x80000000, v3
	v_or3_b32 v7, v6, v3, v2
.LBB382_1281:                           ;   in Loop: Header=BB382_16 Depth=1
	s_or_b32 exec_lo, exec_lo, s27
.LBB382_1282:                           ;   in Loop: Header=BB382_16 Depth=1
	s_or_b32 exec_lo, exec_lo, s26
.LBB382_1283:                           ;   in Loop: Header=BB382_16 Depth=1
	s_or_b32 exec_lo, exec_lo, s25
	v_mov_b32_e32 v2, 0xff
	v_mov_b32_e32 v46, 0
	;; [unrolled: 1-line block ×3, first 2 shown]
	s_mov_b32 s25, exec_lo
	v_and_b32_sdwa v2, v32, v2 dst_sel:DWORD dst_unused:UNUSED_PAD src0_sel:WORD_1 src1_sel:DWORD
	v_cmpx_ne_u16_e32 0, v2
	s_cbranch_execz .LBB382_1291
; %bb.1284:                             ;   in Loop: Header=BB382_16 Depth=1
	v_bfrev_b32_e32 v43, 1
	s_mov_b32 s26, exec_lo
	v_cmpx_ne_u16_e32 0x80, v2
	s_cbranch_execz .LBB382_1290
; %bb.1285:                             ;   in Loop: Header=BB382_16 Depth=1
	v_bfe_u32 v3, v32, 16, 7
	v_mov_b32_e32 v43, 0x7f800001
	s_mov_b32 s27, exec_lo
	v_cmpx_ne_u32_e32 0x7f, v3
	s_cbranch_execz .LBB382_1289
; %bb.1286:                             ;   in Loop: Header=BB382_16 Depth=1
	v_mov_b32_e32 v2, 7
	s_mov_b32 s28, exec_lo
	v_and_b32_sdwa v18, v32, v2 dst_sel:DWORD dst_unused:UNUSED_PAD src0_sel:WORD_1 src1_sel:DWORD
	v_mov_b32_e32 v34, v19
	v_lshrrev_b32_e32 v2, 3, v3
	v_mov_b32_e32 v33, v18
	v_cmpx_gt_u32_e32 8, v3
; %bb.1287:                             ;   in Loop: Header=BB382_16 Depth=1
	v_ffbh_u32_e32 v2, v18
	v_min_u32_e32 v2, 32, v2
	v_subrev_nc_u32_e32 v3, 28, v2
	v_sub_nc_u32_e32 v2, 29, v2
	v_lshlrev_b64 v[33:34], v3, v[18:19]
	v_and_b32_e32 v33, 7, v33
; %bb.1288:                             ;   in Loop: Header=BB382_16 Depth=1
	s_or_b32 exec_lo, exec_lo, s28
	v_mov_b32_e32 v3, 24
	v_lshlrev_b32_e32 v6, 20, v33
	v_lshl_add_u32 v2, v2, 23, 0x3c000000
	v_lshlrev_b32_sdwa v3, v3, v32 dst_sel:DWORD dst_unused:UNUSED_PAD src0_sel:DWORD src1_sel:WORD_1
	v_and_b32_e32 v3, 0x80000000, v3
	v_or3_b32 v43, v6, v3, v2
.LBB382_1289:                           ;   in Loop: Header=BB382_16 Depth=1
	s_or_b32 exec_lo, exec_lo, s27
.LBB382_1290:                           ;   in Loop: Header=BB382_16 Depth=1
	s_or_b32 exec_lo, exec_lo, s26
.LBB382_1291:                           ;   in Loop: Header=BB382_16 Depth=1
	s_or_b32 exec_lo, exec_lo, s25
	s_mov_b32 s25, exec_lo
	v_cmpx_lt_u64_e64 s[20:21], v[31:32]
	s_cbranch_execz .LBB382_1299
; %bb.1292:                             ;   in Loop: Header=BB382_16 Depth=1
	v_cmp_ne_u32_sdwa s5, v32, v5 src0_sel:BYTE_3 src1_sel:DWORD
	v_bfrev_b32_e32 v46, 1
	s_and_saveexec_b32 s26, s5
	s_cbranch_execz .LBB382_1298
; %bb.1293:                             ;   in Loop: Header=BB382_16 Depth=1
	v_bfe_u32 v3, v32, 24, 7
	v_mov_b32_e32 v46, 0x7f800001
	s_mov_b32 s27, exec_lo
	v_cmpx_ne_u32_e32 0x7f, v3
	s_cbranch_execz .LBB382_1297
; %bb.1294:                             ;   in Loop: Header=BB382_16 Depth=1
	v_mov_b32_e32 v2, 7
	s_mov_b32 s28, exec_lo
	v_and_b32_sdwa v18, v32, v2 dst_sel:DWORD dst_unused:UNUSED_PAD src0_sel:BYTE_3 src1_sel:DWORD
	v_mov_b32_e32 v34, v19
	v_lshrrev_b32_e32 v2, 3, v3
	v_mov_b32_e32 v33, v18
	v_cmpx_gt_u32_e32 8, v3
; %bb.1295:                             ;   in Loop: Header=BB382_16 Depth=1
	v_ffbh_u32_e32 v2, v18
	v_min_u32_e32 v2, 32, v2
	v_subrev_nc_u32_e32 v3, 28, v2
	v_sub_nc_u32_e32 v2, 29, v2
	v_lshlrev_b64 v[33:34], v3, v[18:19]
	v_and_b32_e32 v33, 7, v33
; %bb.1296:                             ;   in Loop: Header=BB382_16 Depth=1
	s_or_b32 exec_lo, exec_lo, s28
	v_mov_b32_e32 v3, 24
	v_lshlrev_b32_e32 v6, 20, v33
	v_lshl_add_u32 v2, v2, 23, 0x3c000000
	v_lshlrev_b32_sdwa v3, v3, v32 dst_sel:DWORD dst_unused:UNUSED_PAD src0_sel:DWORD src1_sel:BYTE_3
	v_and_b32_e32 v3, 0x80000000, v3
	v_or3_b32 v46, v6, v3, v2
.LBB382_1297:                           ;   in Loop: Header=BB382_16 Depth=1
	s_or_b32 exec_lo, exec_lo, s27
.LBB382_1298:                           ;   in Loop: Header=BB382_16 Depth=1
	s_or_b32 exec_lo, exec_lo, s26
.LBB382_1299:                           ;   in Loop: Header=BB382_16 Depth=1
	s_or_b32 exec_lo, exec_lo, s25
	flat_load_dwordx2 v[31:32], v[28:29] offset:1024
	v_mov_b32_e32 v3, 0
	v_mov_b32_e32 v2, 0
	s_waitcnt vmcnt(0) lgkmcnt(0)
	v_cmp_ne_u16_sdwa s5, v31, v19 src0_sel:BYTE_0 src1_sel:DWORD
	s_and_saveexec_b32 s25, s5
	s_cbranch_execz .LBB382_1307
; %bb.1300:                             ;   in Loop: Header=BB382_16 Depth=1
	v_cmp_ne_u16_sdwa s5, v31, v5 src0_sel:BYTE_0 src1_sel:DWORD
	v_bfrev_b32_e32 v2, 1
	s_and_saveexec_b32 s26, s5
	s_cbranch_execz .LBB382_1306
; %bb.1301:                             ;   in Loop: Header=BB382_16 Depth=1
	v_and_b32_e32 v6, 0x7f, v31
	v_mov_b32_e32 v2, 0x7f800001
	s_mov_b32 s27, exec_lo
	v_cmpx_ne_u32_e32 0x7f, v6
	s_cbranch_execz .LBB382_1305
; %bb.1302:                             ;   in Loop: Header=BB382_16 Depth=1
	v_mov_b32_e32 v34, v32
	v_lshrrev_b32_e32 v2, 3, v6
	v_mov_b32_e32 v33, v31
	s_mov_b32 s28, exec_lo
	v_cmpx_gt_u32_e32 8, v6
; %bb.1303:                             ;   in Loop: Header=BB382_16 Depth=1
	v_and_b32_e32 v2, 7, v31
	v_ffbh_u32_e32 v2, v2
	v_min_u32_e32 v2, 32, v2
	v_subrev_nc_u32_e32 v6, 28, v2
	v_sub_nc_u32_e32 v2, 29, v2
	v_lshlrev_b64 v[33:34], v6, v[31:32]
; %bb.1304:                             ;   in Loop: Header=BB382_16 Depth=1
	s_or_b32 exec_lo, exec_lo, s28
	v_lshlrev_b32_e32 v6, 20, v33
	v_lshlrev_b32_e32 v10, 24, v31
	v_lshl_add_u32 v2, v2, 23, 0x3c000000
	v_and_b32_e32 v6, 0x700000, v6
	v_and_b32_e32 v10, 0x80000000, v10
	v_or3_b32 v2, v6, v10, v2
.LBB382_1305:                           ;   in Loop: Header=BB382_16 Depth=1
	s_or_b32 exec_lo, exec_lo, s27
.LBB382_1306:                           ;   in Loop: Header=BB382_16 Depth=1
	s_or_b32 exec_lo, exec_lo, s26
.LBB382_1307:                           ;   in Loop: Header=BB382_16 Depth=1
	s_or_b32 exec_lo, exec_lo, s25
	v_cmp_ne_u16_sdwa s5, v31, v19 src0_sel:BYTE_1 src1_sel:DWORD
	s_and_saveexec_b32 s25, s5
	s_cbranch_execz .LBB382_1315
; %bb.1308:                             ;   in Loop: Header=BB382_16 Depth=1
	v_cmp_ne_u16_sdwa s5, v31, v5 src0_sel:BYTE_1 src1_sel:DWORD
	v_bfrev_b32_e32 v3, 1
	s_and_saveexec_b32 s26, s5
	s_cbranch_execz .LBB382_1314
; %bb.1309:                             ;   in Loop: Header=BB382_16 Depth=1
	v_mov_b32_e32 v3, 0xffff
	s_mov_b32 s27, exec_lo
	v_and_b32_sdwa v10, v3, v31 dst_sel:DWORD dst_unused:UNUSED_PAD src0_sel:DWORD src1_sel:BYTE_1
	v_mov_b32_e32 v3, 0x7f800001
	v_and_b32_e32 v6, 0x7f, v10
	v_cmpx_ne_u32_e32 0x7f, v6
	s_cbranch_execz .LBB382_1313
; %bb.1310:                             ;   in Loop: Header=BB382_16 Depth=1
	v_and_b32_e32 v18, 7, v10
	v_mov_b32_e32 v34, v19
	v_lshrrev_b32_e32 v3, 3, v6
	s_mov_b32 s28, exec_lo
	v_mov_b32_e32 v33, v18
	v_cmpx_gt_u32_e32 8, v6
; %bb.1311:                             ;   in Loop: Header=BB382_16 Depth=1
	v_ffbh_u32_e32 v3, v18
	v_min_u32_e32 v3, 32, v3
	v_subrev_nc_u32_e32 v6, 28, v3
	v_sub_nc_u32_e32 v3, 29, v3
	v_lshlrev_b64 v[33:34], v6, v[18:19]
	v_and_b32_e32 v33, 7, v33
; %bb.1312:                             ;   in Loop: Header=BB382_16 Depth=1
	s_or_b32 exec_lo, exec_lo, s28
	v_lshlrev_b32_e32 v6, 16, v31
	v_lshlrev_b32_e32 v10, 20, v33
	v_lshl_add_u32 v3, v3, 23, 0x3c000000
	v_and_b32_e32 v6, 0x80000000, v6
	v_or3_b32 v3, v10, v6, v3
.LBB382_1313:                           ;   in Loop: Header=BB382_16 Depth=1
	s_or_b32 exec_lo, exec_lo, s27
.LBB382_1314:                           ;   in Loop: Header=BB382_16 Depth=1
	s_or_b32 exec_lo, exec_lo, s26
.LBB382_1315:                           ;   in Loop: Header=BB382_16 Depth=1
	s_or_b32 exec_lo, exec_lo, s25
	v_mov_b32_e32 v6, 0xff
	v_mov_b32_e32 v59, 0
	;; [unrolled: 1-line block ×3, first 2 shown]
	s_mov_b32 s25, exec_lo
	v_and_b32_sdwa v6, v31, v6 dst_sel:DWORD dst_unused:UNUSED_PAD src0_sel:WORD_1 src1_sel:DWORD
	v_cmpx_ne_u16_e32 0, v6
	s_cbranch_execz .LBB382_1323
; %bb.1316:                             ;   in Loop: Header=BB382_16 Depth=1
	v_bfrev_b32_e32 v41, 1
	s_mov_b32 s26, exec_lo
	v_cmpx_ne_u16_e32 0x80, v6
	s_cbranch_execz .LBB382_1322
; %bb.1317:                             ;   in Loop: Header=BB382_16 Depth=1
	v_bfe_u32 v10, v31, 16, 7
	v_mov_b32_e32 v41, 0x7f800001
	s_mov_b32 s27, exec_lo
	v_cmpx_ne_u32_e32 0x7f, v10
	s_cbranch_execz .LBB382_1321
; %bb.1318:                             ;   in Loop: Header=BB382_16 Depth=1
	v_mov_b32_e32 v6, 7
	s_mov_b32 s28, exec_lo
	v_and_b32_sdwa v18, v31, v6 dst_sel:DWORD dst_unused:UNUSED_PAD src0_sel:WORD_1 src1_sel:DWORD
	v_mov_b32_e32 v34, v19
	v_lshrrev_b32_e32 v6, 3, v10
	v_mov_b32_e32 v33, v18
	v_cmpx_gt_u32_e32 8, v10
; %bb.1319:                             ;   in Loop: Header=BB382_16 Depth=1
	v_ffbh_u32_e32 v6, v18
	v_min_u32_e32 v6, 32, v6
	v_subrev_nc_u32_e32 v10, 28, v6
	v_sub_nc_u32_e32 v6, 29, v6
	v_lshlrev_b64 v[33:34], v10, v[18:19]
	v_and_b32_e32 v33, 7, v33
; %bb.1320:                             ;   in Loop: Header=BB382_16 Depth=1
	s_or_b32 exec_lo, exec_lo, s28
	v_mov_b32_e32 v10, 24
	v_lshlrev_b32_e32 v15, 20, v33
	v_lshl_add_u32 v6, v6, 23, 0x3c000000
	v_lshlrev_b32_sdwa v10, v10, v31 dst_sel:DWORD dst_unused:UNUSED_PAD src0_sel:DWORD src1_sel:WORD_1
	v_and_b32_e32 v10, 0x80000000, v10
	v_or3_b32 v41, v15, v10, v6
.LBB382_1321:                           ;   in Loop: Header=BB382_16 Depth=1
	s_or_b32 exec_lo, exec_lo, s27
.LBB382_1322:                           ;   in Loop: Header=BB382_16 Depth=1
	s_or_b32 exec_lo, exec_lo, s26
.LBB382_1323:                           ;   in Loop: Header=BB382_16 Depth=1
	s_or_b32 exec_lo, exec_lo, s25
	s_mov_b32 s25, exec_lo
	v_cmpx_lt_u32_e32 0xffffff, v31
	s_cbranch_execz .LBB382_1331
; %bb.1324:                             ;   in Loop: Header=BB382_16 Depth=1
	v_cmp_ne_u32_sdwa s5, v31, v5 src0_sel:BYTE_3 src1_sel:DWORD
	v_bfrev_b32_e32 v59, 1
	s_and_saveexec_b32 s26, s5
	s_cbranch_execz .LBB382_1330
; %bb.1325:                             ;   in Loop: Header=BB382_16 Depth=1
	v_bfe_u32 v10, v31, 24, 7
	v_mov_b32_e32 v59, 0x7f800001
	s_mov_b32 s27, exec_lo
	v_cmpx_ne_u32_e32 0x7f, v10
	s_cbranch_execz .LBB382_1329
; %bb.1326:                             ;   in Loop: Header=BB382_16 Depth=1
	v_mov_b32_e32 v6, 7
	s_mov_b32 s28, exec_lo
	v_and_b32_sdwa v18, v31, v6 dst_sel:DWORD dst_unused:UNUSED_PAD src0_sel:BYTE_3 src1_sel:DWORD
	v_mov_b32_e32 v34, v19
	v_lshrrev_b32_e32 v6, 3, v10
	v_mov_b32_e32 v33, v18
	v_cmpx_gt_u32_e32 8, v10
; %bb.1327:                             ;   in Loop: Header=BB382_16 Depth=1
	v_ffbh_u32_e32 v6, v18
	v_min_u32_e32 v6, 32, v6
	v_subrev_nc_u32_e32 v10, 28, v6
	v_sub_nc_u32_e32 v6, 29, v6
	v_lshlrev_b64 v[33:34], v10, v[18:19]
	v_and_b32_e32 v33, 7, v33
; %bb.1328:                             ;   in Loop: Header=BB382_16 Depth=1
	s_or_b32 exec_lo, exec_lo, s28
	v_mov_b32_e32 v10, 24
	v_lshlrev_b32_e32 v15, 20, v33
	v_lshl_add_u32 v6, v6, 23, 0x3c000000
	v_lshlrev_b32_sdwa v10, v10, v31 dst_sel:DWORD dst_unused:UNUSED_PAD src0_sel:DWORD src1_sel:BYTE_3
	v_and_b32_e32 v10, 0x80000000, v10
	v_or3_b32 v59, v15, v10, v6
.LBB382_1329:                           ;   in Loop: Header=BB382_16 Depth=1
	s_or_b32 exec_lo, exec_lo, s27
.LBB382_1330:                           ;   in Loop: Header=BB382_16 Depth=1
	s_or_b32 exec_lo, exec_lo, s26
.LBB382_1331:                           ;   in Loop: Header=BB382_16 Depth=1
	s_or_b32 exec_lo, exec_lo, s25
	v_mov_b32_e32 v18, v32
	v_cmp_ne_u16_sdwa s5, v32, v19 src0_sel:BYTE_0 src1_sel:DWORD
	v_mov_b32_e32 v115, 0
	v_mov_b32_e32 v102, 0
	s_and_saveexec_b32 s25, s5
	s_cbranch_execz .LBB382_1339
; %bb.1332:                             ;   in Loop: Header=BB382_16 Depth=1
	v_cmp_ne_u16_sdwa s5, v32, v5 src0_sel:BYTE_0 src1_sel:DWORD
	v_bfrev_b32_e32 v102, 1
	s_and_saveexec_b32 s26, s5
	s_cbranch_execz .LBB382_1338
; %bb.1333:                             ;   in Loop: Header=BB382_16 Depth=1
	v_and_b32_e32 v10, 0x7f, v32
	v_mov_b32_e32 v102, 0x7f800001
	s_mov_b32 s27, exec_lo
	v_cmpx_ne_u32_e32 0x7f, v10
	s_cbranch_execz .LBB382_1337
; %bb.1334:                             ;   in Loop: Header=BB382_16 Depth=1
	v_mov_b32_e32 v34, v19
	v_mov_b32_e32 v33, v18
	v_lshrrev_b32_e32 v6, 3, v10
	s_mov_b32 s28, exec_lo
	v_cmpx_gt_u32_e32 8, v10
; %bb.1335:                             ;   in Loop: Header=BB382_16 Depth=1
	v_and_b32_e32 v6, 7, v32
	v_ffbh_u32_e32 v6, v6
	v_min_u32_e32 v6, 32, v6
	v_subrev_nc_u32_e32 v10, 28, v6
	v_sub_nc_u32_e32 v6, 29, v6
	v_lshlrev_b64 v[33:34], v10, v[18:19]
; %bb.1336:                             ;   in Loop: Header=BB382_16 Depth=1
	s_or_b32 exec_lo, exec_lo, s28
	v_lshlrev_b32_e32 v10, 20, v33
	v_lshlrev_b32_e32 v15, 24, v18
	v_lshl_add_u32 v6, v6, 23, 0x3c000000
	v_and_b32_e32 v10, 0x700000, v10
	v_and_b32_e32 v15, 0x80000000, v15
	v_or3_b32 v102, v10, v15, v6
.LBB382_1337:                           ;   in Loop: Header=BB382_16 Depth=1
	s_or_b32 exec_lo, exec_lo, s27
.LBB382_1338:                           ;   in Loop: Header=BB382_16 Depth=1
	s_or_b32 exec_lo, exec_lo, s26
.LBB382_1339:                           ;   in Loop: Header=BB382_16 Depth=1
	s_or_b32 exec_lo, exec_lo, s25
	v_cmp_ne_u16_sdwa s5, v18, v19 src0_sel:BYTE_1 src1_sel:DWORD
	s_and_saveexec_b32 s25, s5
	s_cbranch_execz .LBB382_1347
; %bb.1340:                             ;   in Loop: Header=BB382_16 Depth=1
	v_cmp_ne_u16_sdwa s5, v18, v5 src0_sel:BYTE_1 src1_sel:DWORD
	v_bfrev_b32_e32 v115, 1
	s_and_saveexec_b32 s26, s5
	s_cbranch_execz .LBB382_1346
; %bb.1341:                             ;   in Loop: Header=BB382_16 Depth=1
	v_mov_b32_e32 v6, 0xffff
	v_mov_b32_e32 v115, 0x7f800001
	s_mov_b32 s27, exec_lo
	v_and_b32_sdwa v6, v6, v18 dst_sel:DWORD dst_unused:UNUSED_PAD src0_sel:DWORD src1_sel:BYTE_1
	v_and_b32_e32 v10, 0x7f, v6
	v_cmpx_ne_u32_e32 0x7f, v10
	s_cbranch_execz .LBB382_1345
; %bb.1342:                             ;   in Loop: Header=BB382_16 Depth=1
	v_and_b32_e32 v33, 7, v6
	v_mov_b32_e32 v34, v19
	v_lshrrev_b32_e32 v6, 3, v10
	s_mov_b32 s28, exec_lo
	v_cmpx_gt_u32_e32 8, v10
; %bb.1343:                             ;   in Loop: Header=BB382_16 Depth=1
	v_ffbh_u32_e32 v6, v33
	v_min_u32_e32 v6, 32, v6
	v_subrev_nc_u32_e32 v10, 28, v6
	v_sub_nc_u32_e32 v6, 29, v6
	v_lshlrev_b64 v[33:34], v10, v[33:34]
	v_and_b32_e32 v33, 7, v33
; %bb.1344:                             ;   in Loop: Header=BB382_16 Depth=1
	s_or_b32 exec_lo, exec_lo, s28
	v_lshlrev_b32_e32 v10, 16, v18
	v_lshlrev_b32_e32 v15, 20, v33
	v_lshl_add_u32 v6, v6, 23, 0x3c000000
	v_and_b32_e32 v10, 0x80000000, v10
	v_or3_b32 v115, v15, v10, v6
.LBB382_1345:                           ;   in Loop: Header=BB382_16 Depth=1
	s_or_b32 exec_lo, exec_lo, s27
.LBB382_1346:                           ;   in Loop: Header=BB382_16 Depth=1
	s_or_b32 exec_lo, exec_lo, s26
.LBB382_1347:                           ;   in Loop: Header=BB382_16 Depth=1
	s_or_b32 exec_lo, exec_lo, s25
	v_mov_b32_e32 v6, 0xff
	v_mov_b32_e32 v51, 0
	;; [unrolled: 1-line block ×3, first 2 shown]
	s_mov_b32 s25, exec_lo
	v_and_b32_sdwa v6, v32, v6 dst_sel:DWORD dst_unused:UNUSED_PAD src0_sel:WORD_1 src1_sel:DWORD
	v_cmpx_ne_u16_e32 0, v6
	s_cbranch_execz .LBB382_1355
; %bb.1348:                             ;   in Loop: Header=BB382_16 Depth=1
	v_bfrev_b32_e32 v97, 1
	s_mov_b32 s26, exec_lo
	v_cmpx_ne_u16_e32 0x80, v6
	s_cbranch_execz .LBB382_1354
; %bb.1349:                             ;   in Loop: Header=BB382_16 Depth=1
	v_bfe_u32 v10, v32, 16, 7
	v_mov_b32_e32 v97, 0x7f800001
	s_mov_b32 s27, exec_lo
	v_cmpx_ne_u32_e32 0x7f, v10
	s_cbranch_execz .LBB382_1353
; %bb.1350:                             ;   in Loop: Header=BB382_16 Depth=1
	v_mov_b32_e32 v6, 7
	s_mov_b32 s28, exec_lo
	v_and_b32_sdwa v18, v32, v6 dst_sel:DWORD dst_unused:UNUSED_PAD src0_sel:WORD_1 src1_sel:DWORD
	v_mov_b32_e32 v34, v19
	v_lshrrev_b32_e32 v6, 3, v10
	v_mov_b32_e32 v33, v18
	v_cmpx_gt_u32_e32 8, v10
; %bb.1351:                             ;   in Loop: Header=BB382_16 Depth=1
	v_ffbh_u32_e32 v6, v18
	v_min_u32_e32 v6, 32, v6
	v_subrev_nc_u32_e32 v10, 28, v6
	v_sub_nc_u32_e32 v6, 29, v6
	v_lshlrev_b64 v[33:34], v10, v[18:19]
	v_and_b32_e32 v33, 7, v33
; %bb.1352:                             ;   in Loop: Header=BB382_16 Depth=1
	s_or_b32 exec_lo, exec_lo, s28
	v_mov_b32_e32 v10, 24
	v_lshlrev_b32_e32 v15, 20, v33
	v_lshl_add_u32 v6, v6, 23, 0x3c000000
	v_lshlrev_b32_sdwa v10, v10, v32 dst_sel:DWORD dst_unused:UNUSED_PAD src0_sel:DWORD src1_sel:WORD_1
	v_and_b32_e32 v10, 0x80000000, v10
	v_or3_b32 v97, v15, v10, v6
.LBB382_1353:                           ;   in Loop: Header=BB382_16 Depth=1
	s_or_b32 exec_lo, exec_lo, s27
.LBB382_1354:                           ;   in Loop: Header=BB382_16 Depth=1
	s_or_b32 exec_lo, exec_lo, s26
.LBB382_1355:                           ;   in Loop: Header=BB382_16 Depth=1
	s_or_b32 exec_lo, exec_lo, s25
	s_mov_b32 s25, exec_lo
	v_cmpx_lt_u64_e64 s[20:21], v[31:32]
	s_cbranch_execz .LBB382_1363
; %bb.1356:                             ;   in Loop: Header=BB382_16 Depth=1
	v_cmp_ne_u32_sdwa s5, v32, v5 src0_sel:BYTE_3 src1_sel:DWORD
	v_bfrev_b32_e32 v51, 1
	s_and_saveexec_b32 s26, s5
	s_cbranch_execz .LBB382_1362
; %bb.1357:                             ;   in Loop: Header=BB382_16 Depth=1
	v_bfe_u32 v10, v32, 24, 7
	v_mov_b32_e32 v51, 0x7f800001
	s_mov_b32 s27, exec_lo
	v_cmpx_ne_u32_e32 0x7f, v10
	s_cbranch_execz .LBB382_1361
; %bb.1358:                             ;   in Loop: Header=BB382_16 Depth=1
	v_mov_b32_e32 v6, 7
	s_mov_b32 s28, exec_lo
	v_and_b32_sdwa v18, v32, v6 dst_sel:DWORD dst_unused:UNUSED_PAD src0_sel:BYTE_3 src1_sel:DWORD
	v_mov_b32_e32 v34, v19
	v_lshrrev_b32_e32 v6, 3, v10
	v_mov_b32_e32 v33, v18
	v_cmpx_gt_u32_e32 8, v10
; %bb.1359:                             ;   in Loop: Header=BB382_16 Depth=1
	v_ffbh_u32_e32 v6, v18
	v_min_u32_e32 v6, 32, v6
	v_subrev_nc_u32_e32 v10, 28, v6
	v_sub_nc_u32_e32 v6, 29, v6
	v_lshlrev_b64 v[33:34], v10, v[18:19]
	v_and_b32_e32 v33, 7, v33
; %bb.1360:                             ;   in Loop: Header=BB382_16 Depth=1
	s_or_b32 exec_lo, exec_lo, s28
	v_mov_b32_e32 v10, 24
	v_lshlrev_b32_e32 v15, 20, v33
	v_lshl_add_u32 v6, v6, 23, 0x3c000000
	v_lshlrev_b32_sdwa v10, v10, v32 dst_sel:DWORD dst_unused:UNUSED_PAD src0_sel:DWORD src1_sel:BYTE_3
	v_and_b32_e32 v10, 0x80000000, v10
	v_or3_b32 v51, v15, v10, v6
.LBB382_1361:                           ;   in Loop: Header=BB382_16 Depth=1
	s_or_b32 exec_lo, exec_lo, s27
.LBB382_1362:                           ;   in Loop: Header=BB382_16 Depth=1
	s_or_b32 exec_lo, exec_lo, s26
.LBB382_1363:                           ;   in Loop: Header=BB382_16 Depth=1
	s_or_b32 exec_lo, exec_lo, s25
	flat_load_dwordx2 v[31:32], v[28:29] offset:1032
	v_mov_b32_e32 v71, 0
	v_mov_b32_e32 v38, 0
	s_waitcnt vmcnt(0) lgkmcnt(0)
	v_cmp_ne_u16_sdwa s5, v31, v19 src0_sel:BYTE_0 src1_sel:DWORD
	s_and_saveexec_b32 s25, s5
	s_cbranch_execz .LBB382_1371
; %bb.1364:                             ;   in Loop: Header=BB382_16 Depth=1
	v_cmp_ne_u16_sdwa s5, v31, v5 src0_sel:BYTE_0 src1_sel:DWORD
	v_bfrev_b32_e32 v38, 1
	s_and_saveexec_b32 s26, s5
	s_cbranch_execz .LBB382_1370
; %bb.1365:                             ;   in Loop: Header=BB382_16 Depth=1
	v_and_b32_e32 v10, 0x7f, v31
	v_mov_b32_e32 v38, 0x7f800001
	s_mov_b32 s27, exec_lo
	v_cmpx_ne_u32_e32 0x7f, v10
	s_cbranch_execz .LBB382_1369
; %bb.1366:                             ;   in Loop: Header=BB382_16 Depth=1
	v_mov_b32_e32 v34, v32
	v_lshrrev_b32_e32 v6, 3, v10
	v_mov_b32_e32 v33, v31
	s_mov_b32 s28, exec_lo
	v_cmpx_gt_u32_e32 8, v10
; %bb.1367:                             ;   in Loop: Header=BB382_16 Depth=1
	v_and_b32_e32 v6, 7, v31
	v_ffbh_u32_e32 v6, v6
	v_min_u32_e32 v6, 32, v6
	v_subrev_nc_u32_e32 v10, 28, v6
	v_sub_nc_u32_e32 v6, 29, v6
	v_lshlrev_b64 v[33:34], v10, v[31:32]
; %bb.1368:                             ;   in Loop: Header=BB382_16 Depth=1
	s_or_b32 exec_lo, exec_lo, s28
	v_lshlrev_b32_e32 v10, 20, v33
	v_lshlrev_b32_e32 v15, 24, v31
	v_lshl_add_u32 v6, v6, 23, 0x3c000000
	v_and_b32_e32 v10, 0x700000, v10
	v_and_b32_e32 v15, 0x80000000, v15
	v_or3_b32 v38, v10, v15, v6
.LBB382_1369:                           ;   in Loop: Header=BB382_16 Depth=1
	s_or_b32 exec_lo, exec_lo, s27
.LBB382_1370:                           ;   in Loop: Header=BB382_16 Depth=1
	s_or_b32 exec_lo, exec_lo, s26
.LBB382_1371:                           ;   in Loop: Header=BB382_16 Depth=1
	s_or_b32 exec_lo, exec_lo, s25
	v_cmp_ne_u16_sdwa s5, v31, v19 src0_sel:BYTE_1 src1_sel:DWORD
	s_and_saveexec_b32 s25, s5
	s_cbranch_execz .LBB382_1379
; %bb.1372:                             ;   in Loop: Header=BB382_16 Depth=1
	v_cmp_ne_u16_sdwa s5, v31, v5 src0_sel:BYTE_1 src1_sel:DWORD
	v_bfrev_b32_e32 v71, 1
	s_and_saveexec_b32 s26, s5
	s_cbranch_execz .LBB382_1378
; %bb.1373:                             ;   in Loop: Header=BB382_16 Depth=1
	v_mov_b32_e32 v6, 0xffff
	v_mov_b32_e32 v71, 0x7f800001
	s_mov_b32 s27, exec_lo
	v_and_b32_sdwa v6, v6, v31 dst_sel:DWORD dst_unused:UNUSED_PAD src0_sel:DWORD src1_sel:BYTE_1
	v_and_b32_e32 v10, 0x7f, v6
	v_cmpx_ne_u32_e32 0x7f, v10
	s_cbranch_execz .LBB382_1377
; %bb.1374:                             ;   in Loop: Header=BB382_16 Depth=1
	v_and_b32_e32 v18, 7, v6
	v_mov_b32_e32 v34, v19
	v_lshrrev_b32_e32 v6, 3, v10
	s_mov_b32 s28, exec_lo
	v_mov_b32_e32 v33, v18
	v_cmpx_gt_u32_e32 8, v10
; %bb.1375:                             ;   in Loop: Header=BB382_16 Depth=1
	v_ffbh_u32_e32 v6, v18
	v_min_u32_e32 v6, 32, v6
	v_subrev_nc_u32_e32 v10, 28, v6
	v_sub_nc_u32_e32 v6, 29, v6
	v_lshlrev_b64 v[33:34], v10, v[18:19]
	v_and_b32_e32 v33, 7, v33
; %bb.1376:                             ;   in Loop: Header=BB382_16 Depth=1
	s_or_b32 exec_lo, exec_lo, s28
	v_lshlrev_b32_e32 v10, 16, v31
	v_lshlrev_b32_e32 v15, 20, v33
	v_lshl_add_u32 v6, v6, 23, 0x3c000000
	v_and_b32_e32 v10, 0x80000000, v10
	v_or3_b32 v71, v15, v10, v6
.LBB382_1377:                           ;   in Loop: Header=BB382_16 Depth=1
	s_or_b32 exec_lo, exec_lo, s27
.LBB382_1378:                           ;   in Loop: Header=BB382_16 Depth=1
	s_or_b32 exec_lo, exec_lo, s26
.LBB382_1379:                           ;   in Loop: Header=BB382_16 Depth=1
	s_or_b32 exec_lo, exec_lo, s25
	v_mov_b32_e32 v6, 0xff
	v_mov_b32_e32 v21, 0
	;; [unrolled: 1-line block ×3, first 2 shown]
	s_mov_b32 s25, exec_lo
	v_and_b32_sdwa v6, v31, v6 dst_sel:DWORD dst_unused:UNUSED_PAD src0_sel:WORD_1 src1_sel:DWORD
	v_cmpx_ne_u16_e32 0, v6
	s_cbranch_execz .LBB382_1387
; %bb.1380:                             ;   in Loop: Header=BB382_16 Depth=1
	v_bfrev_b32_e32 v67, 1
	s_mov_b32 s26, exec_lo
	v_cmpx_ne_u16_e32 0x80, v6
	s_cbranch_execz .LBB382_1386
; %bb.1381:                             ;   in Loop: Header=BB382_16 Depth=1
	v_bfe_u32 v10, v31, 16, 7
	v_mov_b32_e32 v67, 0x7f800001
	s_mov_b32 s27, exec_lo
	v_cmpx_ne_u32_e32 0x7f, v10
	s_cbranch_execz .LBB382_1385
; %bb.1382:                             ;   in Loop: Header=BB382_16 Depth=1
	v_mov_b32_e32 v6, 7
	s_mov_b32 s28, exec_lo
	v_and_b32_sdwa v18, v31, v6 dst_sel:DWORD dst_unused:UNUSED_PAD src0_sel:WORD_1 src1_sel:DWORD
	v_mov_b32_e32 v34, v19
	v_lshrrev_b32_e32 v6, 3, v10
	v_mov_b32_e32 v33, v18
	v_cmpx_gt_u32_e32 8, v10
; %bb.1383:                             ;   in Loop: Header=BB382_16 Depth=1
	v_ffbh_u32_e32 v6, v18
	v_min_u32_e32 v6, 32, v6
	v_subrev_nc_u32_e32 v10, 28, v6
	v_sub_nc_u32_e32 v6, 29, v6
	v_lshlrev_b64 v[33:34], v10, v[18:19]
	v_and_b32_e32 v33, 7, v33
; %bb.1384:                             ;   in Loop: Header=BB382_16 Depth=1
	s_or_b32 exec_lo, exec_lo, s28
	v_mov_b32_e32 v10, 24
	v_lshlrev_b32_e32 v15, 20, v33
	v_lshl_add_u32 v6, v6, 23, 0x3c000000
	v_lshlrev_b32_sdwa v10, v10, v31 dst_sel:DWORD dst_unused:UNUSED_PAD src0_sel:DWORD src1_sel:WORD_1
	v_and_b32_e32 v10, 0x80000000, v10
	v_or3_b32 v67, v15, v10, v6
.LBB382_1385:                           ;   in Loop: Header=BB382_16 Depth=1
	s_or_b32 exec_lo, exec_lo, s27
.LBB382_1386:                           ;   in Loop: Header=BB382_16 Depth=1
	s_or_b32 exec_lo, exec_lo, s26
.LBB382_1387:                           ;   in Loop: Header=BB382_16 Depth=1
	s_or_b32 exec_lo, exec_lo, s25
	s_mov_b32 s25, exec_lo
	v_cmpx_lt_u32_e32 0xffffff, v31
	s_cbranch_execz .LBB382_1395
; %bb.1388:                             ;   in Loop: Header=BB382_16 Depth=1
	v_cmp_ne_u32_sdwa s5, v31, v5 src0_sel:BYTE_3 src1_sel:DWORD
	v_bfrev_b32_e32 v21, 1
	s_and_saveexec_b32 s26, s5
	s_cbranch_execz .LBB382_1394
; %bb.1389:                             ;   in Loop: Header=BB382_16 Depth=1
	v_bfe_u32 v10, v31, 24, 7
	v_mov_b32_e32 v21, 0x7f800001
	s_mov_b32 s27, exec_lo
	v_cmpx_ne_u32_e32 0x7f, v10
	s_cbranch_execz .LBB382_1393
; %bb.1390:                             ;   in Loop: Header=BB382_16 Depth=1
	v_mov_b32_e32 v6, 7
	s_mov_b32 s28, exec_lo
	v_and_b32_sdwa v18, v31, v6 dst_sel:DWORD dst_unused:UNUSED_PAD src0_sel:BYTE_3 src1_sel:DWORD
	v_mov_b32_e32 v34, v19
	v_lshrrev_b32_e32 v6, 3, v10
	v_mov_b32_e32 v33, v18
	v_cmpx_gt_u32_e32 8, v10
; %bb.1391:                             ;   in Loop: Header=BB382_16 Depth=1
	v_ffbh_u32_e32 v6, v18
	v_min_u32_e32 v6, 32, v6
	v_subrev_nc_u32_e32 v10, 28, v6
	v_sub_nc_u32_e32 v6, 29, v6
	v_lshlrev_b64 v[33:34], v10, v[18:19]
	v_and_b32_e32 v33, 7, v33
; %bb.1392:                             ;   in Loop: Header=BB382_16 Depth=1
	s_or_b32 exec_lo, exec_lo, s28
	v_mov_b32_e32 v10, 24
	v_lshlrev_b32_e32 v15, 20, v33
	v_lshl_add_u32 v6, v6, 23, 0x3c000000
	v_lshlrev_b32_sdwa v10, v10, v31 dst_sel:DWORD dst_unused:UNUSED_PAD src0_sel:DWORD src1_sel:BYTE_3
	v_and_b32_e32 v10, 0x80000000, v10
	v_or3_b32 v21, v15, v10, v6
.LBB382_1393:                           ;   in Loop: Header=BB382_16 Depth=1
	s_or_b32 exec_lo, exec_lo, s27
.LBB382_1394:                           ;   in Loop: Header=BB382_16 Depth=1
	s_or_b32 exec_lo, exec_lo, s26
.LBB382_1395:                           ;   in Loop: Header=BB382_16 Depth=1
	s_or_b32 exec_lo, exec_lo, s25
	v_mov_b32_e32 v18, v32
	v_cmp_ne_u16_sdwa s5, v32, v19 src0_sel:BYTE_0 src1_sel:DWORD
	v_mov_b32_e32 v88, 0
	v_mov_b32_e32 v89, 0
	s_and_saveexec_b32 s25, s5
	s_cbranch_execz .LBB382_1403
; %bb.1396:                             ;   in Loop: Header=BB382_16 Depth=1
	v_cmp_ne_u16_sdwa s5, v32, v5 src0_sel:BYTE_0 src1_sel:DWORD
	v_bfrev_b32_e32 v89, 1
	s_and_saveexec_b32 s26, s5
	s_cbranch_execz .LBB382_1402
; %bb.1397:                             ;   in Loop: Header=BB382_16 Depth=1
	v_and_b32_e32 v10, 0x7f, v32
	v_mov_b32_e32 v89, 0x7f800001
	s_mov_b32 s27, exec_lo
	v_cmpx_ne_u32_e32 0x7f, v10
	s_cbranch_execz .LBB382_1401
; %bb.1398:                             ;   in Loop: Header=BB382_16 Depth=1
	v_mov_b32_e32 v34, v19
	v_mov_b32_e32 v33, v18
	v_lshrrev_b32_e32 v6, 3, v10
	s_mov_b32 s28, exec_lo
	v_cmpx_gt_u32_e32 8, v10
; %bb.1399:                             ;   in Loop: Header=BB382_16 Depth=1
	v_and_b32_e32 v6, 7, v32
	v_ffbh_u32_e32 v6, v6
	v_min_u32_e32 v6, 32, v6
	v_subrev_nc_u32_e32 v10, 28, v6
	v_sub_nc_u32_e32 v6, 29, v6
	v_lshlrev_b64 v[33:34], v10, v[18:19]
; %bb.1400:                             ;   in Loop: Header=BB382_16 Depth=1
	s_or_b32 exec_lo, exec_lo, s28
	v_lshlrev_b32_e32 v10, 20, v33
	v_lshlrev_b32_e32 v15, 24, v18
	v_lshl_add_u32 v6, v6, 23, 0x3c000000
	v_and_b32_e32 v10, 0x700000, v10
	v_and_b32_e32 v15, 0x80000000, v15
	v_or3_b32 v89, v10, v15, v6
.LBB382_1401:                           ;   in Loop: Header=BB382_16 Depth=1
	s_or_b32 exec_lo, exec_lo, s27
.LBB382_1402:                           ;   in Loop: Header=BB382_16 Depth=1
	s_or_b32 exec_lo, exec_lo, s26
.LBB382_1403:                           ;   in Loop: Header=BB382_16 Depth=1
	s_or_b32 exec_lo, exec_lo, s25
	v_cmp_ne_u16_sdwa s5, v18, v19 src0_sel:BYTE_1 src1_sel:DWORD
	s_and_saveexec_b32 s25, s5
	s_cbranch_execz .LBB382_1411
; %bb.1404:                             ;   in Loop: Header=BB382_16 Depth=1
	v_cmp_ne_u16_sdwa s5, v18, v5 src0_sel:BYTE_1 src1_sel:DWORD
	v_bfrev_b32_e32 v88, 1
	s_and_saveexec_b32 s26, s5
	s_cbranch_execz .LBB382_1410
; %bb.1405:                             ;   in Loop: Header=BB382_16 Depth=1
	v_mov_b32_e32 v6, 0xffff
	v_mov_b32_e32 v88, 0x7f800001
	s_mov_b32 s27, exec_lo
	v_and_b32_sdwa v6, v6, v18 dst_sel:DWORD dst_unused:UNUSED_PAD src0_sel:DWORD src1_sel:BYTE_1
	v_and_b32_e32 v10, 0x7f, v6
	v_cmpx_ne_u32_e32 0x7f, v10
	s_cbranch_execz .LBB382_1409
; %bb.1406:                             ;   in Loop: Header=BB382_16 Depth=1
	v_and_b32_e32 v33, 7, v6
	v_mov_b32_e32 v34, v19
	v_lshrrev_b32_e32 v6, 3, v10
	s_mov_b32 s28, exec_lo
	v_cmpx_gt_u32_e32 8, v10
; %bb.1407:                             ;   in Loop: Header=BB382_16 Depth=1
	v_ffbh_u32_e32 v6, v33
	v_min_u32_e32 v6, 32, v6
	v_subrev_nc_u32_e32 v10, 28, v6
	v_sub_nc_u32_e32 v6, 29, v6
	v_lshlrev_b64 v[33:34], v10, v[33:34]
	v_and_b32_e32 v33, 7, v33
; %bb.1408:                             ;   in Loop: Header=BB382_16 Depth=1
	s_or_b32 exec_lo, exec_lo, s28
	v_lshlrev_b32_e32 v10, 16, v18
	v_lshlrev_b32_e32 v15, 20, v33
	v_lshl_add_u32 v6, v6, 23, 0x3c000000
	v_and_b32_e32 v10, 0x80000000, v10
	v_or3_b32 v88, v15, v10, v6
.LBB382_1409:                           ;   in Loop: Header=BB382_16 Depth=1
	s_or_b32 exec_lo, exec_lo, s27
.LBB382_1410:                           ;   in Loop: Header=BB382_16 Depth=1
	s_or_b32 exec_lo, exec_lo, s26
.LBB382_1411:                           ;   in Loop: Header=BB382_16 Depth=1
	s_or_b32 exec_lo, exec_lo, s25
	v_mov_b32_e32 v6, 0xff
	v_mov_b32_e32 v94, 0
	;; [unrolled: 1-line block ×3, first 2 shown]
	s_mov_b32 s25, exec_lo
	v_and_b32_sdwa v6, v32, v6 dst_sel:DWORD dst_unused:UNUSED_PAD src0_sel:WORD_1 src1_sel:DWORD
	v_cmpx_ne_u16_e32 0, v6
	s_cbranch_execz .LBB382_1419
; %bb.1412:                             ;   in Loop: Header=BB382_16 Depth=1
	v_bfrev_b32_e32 v106, 1
	s_mov_b32 s26, exec_lo
	v_cmpx_ne_u16_e32 0x80, v6
	s_cbranch_execz .LBB382_1418
; %bb.1413:                             ;   in Loop: Header=BB382_16 Depth=1
	v_bfe_u32 v10, v32, 16, 7
	v_mov_b32_e32 v106, 0x7f800001
	s_mov_b32 s27, exec_lo
	v_cmpx_ne_u32_e32 0x7f, v10
	s_cbranch_execz .LBB382_1417
; %bb.1414:                             ;   in Loop: Header=BB382_16 Depth=1
	v_mov_b32_e32 v6, 7
	s_mov_b32 s28, exec_lo
	v_and_b32_sdwa v18, v32, v6 dst_sel:DWORD dst_unused:UNUSED_PAD src0_sel:WORD_1 src1_sel:DWORD
	v_mov_b32_e32 v34, v19
	v_lshrrev_b32_e32 v6, 3, v10
	v_mov_b32_e32 v33, v18
	v_cmpx_gt_u32_e32 8, v10
; %bb.1415:                             ;   in Loop: Header=BB382_16 Depth=1
	v_ffbh_u32_e32 v6, v18
	v_min_u32_e32 v6, 32, v6
	v_subrev_nc_u32_e32 v10, 28, v6
	v_sub_nc_u32_e32 v6, 29, v6
	v_lshlrev_b64 v[33:34], v10, v[18:19]
	v_and_b32_e32 v33, 7, v33
; %bb.1416:                             ;   in Loop: Header=BB382_16 Depth=1
	s_or_b32 exec_lo, exec_lo, s28
	v_mov_b32_e32 v10, 24
	v_lshlrev_b32_e32 v15, 20, v33
	v_lshl_add_u32 v6, v6, 23, 0x3c000000
	v_lshlrev_b32_sdwa v10, v10, v32 dst_sel:DWORD dst_unused:UNUSED_PAD src0_sel:DWORD src1_sel:WORD_1
	v_and_b32_e32 v10, 0x80000000, v10
	v_or3_b32 v106, v15, v10, v6
.LBB382_1417:                           ;   in Loop: Header=BB382_16 Depth=1
	s_or_b32 exec_lo, exec_lo, s27
.LBB382_1418:                           ;   in Loop: Header=BB382_16 Depth=1
	s_or_b32 exec_lo, exec_lo, s26
.LBB382_1419:                           ;   in Loop: Header=BB382_16 Depth=1
	s_or_b32 exec_lo, exec_lo, s25
	s_mov_b32 s25, exec_lo
	v_cmpx_lt_u64_e64 s[20:21], v[31:32]
	s_cbranch_execz .LBB382_1427
; %bb.1420:                             ;   in Loop: Header=BB382_16 Depth=1
	v_cmp_ne_u32_sdwa s5, v32, v5 src0_sel:BYTE_3 src1_sel:DWORD
	v_bfrev_b32_e32 v94, 1
	s_and_saveexec_b32 s26, s5
	s_cbranch_execz .LBB382_1426
; %bb.1421:                             ;   in Loop: Header=BB382_16 Depth=1
	v_bfe_u32 v10, v32, 24, 7
	v_mov_b32_e32 v94, 0x7f800001
	s_mov_b32 s27, exec_lo
	v_cmpx_ne_u32_e32 0x7f, v10
	s_cbranch_execz .LBB382_1425
; %bb.1422:                             ;   in Loop: Header=BB382_16 Depth=1
	v_mov_b32_e32 v6, 7
	s_mov_b32 s28, exec_lo
	v_and_b32_sdwa v18, v32, v6 dst_sel:DWORD dst_unused:UNUSED_PAD src0_sel:BYTE_3 src1_sel:DWORD
	v_mov_b32_e32 v34, v19
	v_lshrrev_b32_e32 v6, 3, v10
	v_mov_b32_e32 v33, v18
	v_cmpx_gt_u32_e32 8, v10
; %bb.1423:                             ;   in Loop: Header=BB382_16 Depth=1
	v_ffbh_u32_e32 v6, v18
	v_min_u32_e32 v6, 32, v6
	v_subrev_nc_u32_e32 v10, 28, v6
	v_sub_nc_u32_e32 v6, 29, v6
	v_lshlrev_b64 v[33:34], v10, v[18:19]
	v_and_b32_e32 v33, 7, v33
; %bb.1424:                             ;   in Loop: Header=BB382_16 Depth=1
	s_or_b32 exec_lo, exec_lo, s28
	v_mov_b32_e32 v10, 24
	v_lshlrev_b32_e32 v15, 20, v33
	v_lshl_add_u32 v6, v6, 23, 0x3c000000
	v_lshlrev_b32_sdwa v10, v10, v32 dst_sel:DWORD dst_unused:UNUSED_PAD src0_sel:DWORD src1_sel:BYTE_3
	v_and_b32_e32 v10, 0x80000000, v10
	v_or3_b32 v94, v15, v10, v6
.LBB382_1425:                           ;   in Loop: Header=BB382_16 Depth=1
	s_or_b32 exec_lo, exec_lo, s27
.LBB382_1426:                           ;   in Loop: Header=BB382_16 Depth=1
	s_or_b32 exec_lo, exec_lo, s26
.LBB382_1427:                           ;   in Loop: Header=BB382_16 Depth=1
	s_or_b32 exec_lo, exec_lo, s25
	flat_load_dwordx2 v[31:32], v[28:29] offset:1536
	v_mov_b32_e32 v79, 0
	v_mov_b32_e32 v78, 0
	s_waitcnt vmcnt(0) lgkmcnt(0)
	v_cmp_ne_u16_sdwa s5, v31, v19 src0_sel:BYTE_0 src1_sel:DWORD
	s_and_saveexec_b32 s25, s5
	s_cbranch_execz .LBB382_1435
; %bb.1428:                             ;   in Loop: Header=BB382_16 Depth=1
	v_cmp_ne_u16_sdwa s5, v31, v5 src0_sel:BYTE_0 src1_sel:DWORD
	v_bfrev_b32_e32 v78, 1
	s_and_saveexec_b32 s26, s5
	s_cbranch_execz .LBB382_1434
; %bb.1429:                             ;   in Loop: Header=BB382_16 Depth=1
	v_and_b32_e32 v10, 0x7f, v31
	v_mov_b32_e32 v78, 0x7f800001
	s_mov_b32 s27, exec_lo
	v_cmpx_ne_u32_e32 0x7f, v10
	s_cbranch_execz .LBB382_1433
; %bb.1430:                             ;   in Loop: Header=BB382_16 Depth=1
	v_mov_b32_e32 v34, v32
	v_lshrrev_b32_e32 v6, 3, v10
	v_mov_b32_e32 v33, v31
	s_mov_b32 s28, exec_lo
	v_cmpx_gt_u32_e32 8, v10
; %bb.1431:                             ;   in Loop: Header=BB382_16 Depth=1
	v_and_b32_e32 v6, 7, v31
	v_ffbh_u32_e32 v6, v6
	v_min_u32_e32 v6, 32, v6
	v_subrev_nc_u32_e32 v10, 28, v6
	v_sub_nc_u32_e32 v6, 29, v6
	v_lshlrev_b64 v[33:34], v10, v[31:32]
; %bb.1432:                             ;   in Loop: Header=BB382_16 Depth=1
	s_or_b32 exec_lo, exec_lo, s28
	v_lshlrev_b32_e32 v10, 20, v33
	v_lshlrev_b32_e32 v15, 24, v31
	v_lshl_add_u32 v6, v6, 23, 0x3c000000
	v_and_b32_e32 v10, 0x700000, v10
	v_and_b32_e32 v15, 0x80000000, v15
	v_or3_b32 v78, v10, v15, v6
.LBB382_1433:                           ;   in Loop: Header=BB382_16 Depth=1
	s_or_b32 exec_lo, exec_lo, s27
.LBB382_1434:                           ;   in Loop: Header=BB382_16 Depth=1
	s_or_b32 exec_lo, exec_lo, s26
.LBB382_1435:                           ;   in Loop: Header=BB382_16 Depth=1
	s_or_b32 exec_lo, exec_lo, s25
	v_cmp_ne_u16_sdwa s5, v31, v19 src0_sel:BYTE_1 src1_sel:DWORD
	s_and_saveexec_b32 s25, s5
	s_cbranch_execz .LBB382_1443
; %bb.1436:                             ;   in Loop: Header=BB382_16 Depth=1
	v_cmp_ne_u16_sdwa s5, v31, v5 src0_sel:BYTE_1 src1_sel:DWORD
	v_bfrev_b32_e32 v79, 1
	s_and_saveexec_b32 s26, s5
	s_cbranch_execz .LBB382_1442
; %bb.1437:                             ;   in Loop: Header=BB382_16 Depth=1
	v_mov_b32_e32 v6, 0xffff
	v_mov_b32_e32 v79, 0x7f800001
	s_mov_b32 s27, exec_lo
	v_and_b32_sdwa v6, v6, v31 dst_sel:DWORD dst_unused:UNUSED_PAD src0_sel:DWORD src1_sel:BYTE_1
	v_and_b32_e32 v10, 0x7f, v6
	v_cmpx_ne_u32_e32 0x7f, v10
	s_cbranch_execz .LBB382_1441
; %bb.1438:                             ;   in Loop: Header=BB382_16 Depth=1
	v_and_b32_e32 v18, 7, v6
	v_mov_b32_e32 v34, v19
	v_lshrrev_b32_e32 v6, 3, v10
	s_mov_b32 s28, exec_lo
	v_mov_b32_e32 v33, v18
	v_cmpx_gt_u32_e32 8, v10
; %bb.1439:                             ;   in Loop: Header=BB382_16 Depth=1
	v_ffbh_u32_e32 v6, v18
	v_min_u32_e32 v6, 32, v6
	v_subrev_nc_u32_e32 v10, 28, v6
	v_sub_nc_u32_e32 v6, 29, v6
	v_lshlrev_b64 v[33:34], v10, v[18:19]
	v_and_b32_e32 v33, 7, v33
; %bb.1440:                             ;   in Loop: Header=BB382_16 Depth=1
	s_or_b32 exec_lo, exec_lo, s28
	v_lshlrev_b32_e32 v10, 16, v31
	v_lshlrev_b32_e32 v15, 20, v33
	v_lshl_add_u32 v6, v6, 23, 0x3c000000
	v_and_b32_e32 v10, 0x80000000, v10
	v_or3_b32 v79, v15, v10, v6
.LBB382_1441:                           ;   in Loop: Header=BB382_16 Depth=1
	s_or_b32 exec_lo, exec_lo, s27
.LBB382_1442:                           ;   in Loop: Header=BB382_16 Depth=1
	s_or_b32 exec_lo, exec_lo, s26
.LBB382_1443:                           ;   in Loop: Header=BB382_16 Depth=1
	s_or_b32 exec_lo, exec_lo, s25
	v_mov_b32_e32 v6, 0xff
	v_mov_b32_e32 v110, 0
	v_mov_b32_e32 v95, 0
	s_mov_b32 s25, exec_lo
	v_and_b32_sdwa v6, v31, v6 dst_sel:DWORD dst_unused:UNUSED_PAD src0_sel:WORD_1 src1_sel:DWORD
	v_cmpx_ne_u16_e32 0, v6
	s_cbranch_execz .LBB382_1451
; %bb.1444:                             ;   in Loop: Header=BB382_16 Depth=1
	v_bfrev_b32_e32 v95, 1
	s_mov_b32 s26, exec_lo
	v_cmpx_ne_u16_e32 0x80, v6
	s_cbranch_execz .LBB382_1450
; %bb.1445:                             ;   in Loop: Header=BB382_16 Depth=1
	v_bfe_u32 v10, v31, 16, 7
	v_mov_b32_e32 v95, 0x7f800001
	s_mov_b32 s27, exec_lo
	v_cmpx_ne_u32_e32 0x7f, v10
	s_cbranch_execz .LBB382_1449
; %bb.1446:                             ;   in Loop: Header=BB382_16 Depth=1
	v_mov_b32_e32 v6, 7
	s_mov_b32 s28, exec_lo
	v_and_b32_sdwa v18, v31, v6 dst_sel:DWORD dst_unused:UNUSED_PAD src0_sel:WORD_1 src1_sel:DWORD
	v_mov_b32_e32 v34, v19
	v_lshrrev_b32_e32 v6, 3, v10
	v_mov_b32_e32 v33, v18
	v_cmpx_gt_u32_e32 8, v10
; %bb.1447:                             ;   in Loop: Header=BB382_16 Depth=1
	v_ffbh_u32_e32 v6, v18
	v_min_u32_e32 v6, 32, v6
	v_subrev_nc_u32_e32 v10, 28, v6
	v_sub_nc_u32_e32 v6, 29, v6
	v_lshlrev_b64 v[33:34], v10, v[18:19]
	v_and_b32_e32 v33, 7, v33
; %bb.1448:                             ;   in Loop: Header=BB382_16 Depth=1
	s_or_b32 exec_lo, exec_lo, s28
	v_mov_b32_e32 v10, 24
	v_lshlrev_b32_e32 v15, 20, v33
	v_lshl_add_u32 v6, v6, 23, 0x3c000000
	v_lshlrev_b32_sdwa v10, v10, v31 dst_sel:DWORD dst_unused:UNUSED_PAD src0_sel:DWORD src1_sel:WORD_1
	v_and_b32_e32 v10, 0x80000000, v10
	v_or3_b32 v95, v15, v10, v6
.LBB382_1449:                           ;   in Loop: Header=BB382_16 Depth=1
	s_or_b32 exec_lo, exec_lo, s27
.LBB382_1450:                           ;   in Loop: Header=BB382_16 Depth=1
	s_or_b32 exec_lo, exec_lo, s26
.LBB382_1451:                           ;   in Loop: Header=BB382_16 Depth=1
	s_or_b32 exec_lo, exec_lo, s25
	s_mov_b32 s25, exec_lo
	v_cmpx_lt_u32_e32 0xffffff, v31
	s_cbranch_execz .LBB382_1459
; %bb.1452:                             ;   in Loop: Header=BB382_16 Depth=1
	v_cmp_ne_u32_sdwa s5, v31, v5 src0_sel:BYTE_3 src1_sel:DWORD
	v_bfrev_b32_e32 v110, 1
	s_and_saveexec_b32 s26, s5
	s_cbranch_execz .LBB382_1458
; %bb.1453:                             ;   in Loop: Header=BB382_16 Depth=1
	v_bfe_u32 v10, v31, 24, 7
	v_mov_b32_e32 v110, 0x7f800001
	s_mov_b32 s27, exec_lo
	v_cmpx_ne_u32_e32 0x7f, v10
	s_cbranch_execz .LBB382_1457
; %bb.1454:                             ;   in Loop: Header=BB382_16 Depth=1
	v_mov_b32_e32 v6, 7
	s_mov_b32 s28, exec_lo
	v_and_b32_sdwa v18, v31, v6 dst_sel:DWORD dst_unused:UNUSED_PAD src0_sel:BYTE_3 src1_sel:DWORD
	v_mov_b32_e32 v34, v19
	v_lshrrev_b32_e32 v6, 3, v10
	v_mov_b32_e32 v33, v18
	v_cmpx_gt_u32_e32 8, v10
; %bb.1455:                             ;   in Loop: Header=BB382_16 Depth=1
	v_ffbh_u32_e32 v6, v18
	v_min_u32_e32 v6, 32, v6
	v_subrev_nc_u32_e32 v10, 28, v6
	v_sub_nc_u32_e32 v6, 29, v6
	v_lshlrev_b64 v[33:34], v10, v[18:19]
	v_and_b32_e32 v33, 7, v33
; %bb.1456:                             ;   in Loop: Header=BB382_16 Depth=1
	s_or_b32 exec_lo, exec_lo, s28
	v_mov_b32_e32 v10, 24
	v_lshlrev_b32_e32 v15, 20, v33
	v_lshl_add_u32 v6, v6, 23, 0x3c000000
	v_lshlrev_b32_sdwa v10, v10, v31 dst_sel:DWORD dst_unused:UNUSED_PAD src0_sel:DWORD src1_sel:BYTE_3
	v_and_b32_e32 v10, 0x80000000, v10
	v_or3_b32 v110, v15, v10, v6
.LBB382_1457:                           ;   in Loop: Header=BB382_16 Depth=1
	s_or_b32 exec_lo, exec_lo, s27
.LBB382_1458:                           ;   in Loop: Header=BB382_16 Depth=1
	s_or_b32 exec_lo, exec_lo, s26
.LBB382_1459:                           ;   in Loop: Header=BB382_16 Depth=1
	s_or_b32 exec_lo, exec_lo, s25
	v_mov_b32_e32 v18, v32
	v_cmp_ne_u16_sdwa s5, v32, v19 src0_sel:BYTE_0 src1_sel:DWORD
	v_mov_b32_e32 v6, 0
	v_mov_b32_e32 v15, 0
	s_and_saveexec_b32 s25, s5
	s_cbranch_execz .LBB382_1467
; %bb.1460:                             ;   in Loop: Header=BB382_16 Depth=1
	v_cmp_ne_u16_sdwa s5, v32, v5 src0_sel:BYTE_0 src1_sel:DWORD
	v_bfrev_b32_e32 v15, 1
	s_and_saveexec_b32 s26, s5
	s_cbranch_execz .LBB382_1466
; %bb.1461:                             ;   in Loop: Header=BB382_16 Depth=1
	v_and_b32_e32 v27, 0x7f, v32
	v_mov_b32_e32 v15, 0x7f800001
	s_mov_b32 s27, exec_lo
	v_cmpx_ne_u32_e32 0x7f, v27
	s_cbranch_execz .LBB382_1465
; %bb.1462:                             ;   in Loop: Header=BB382_16 Depth=1
	v_mov_b32_e32 v34, v19
	v_mov_b32_e32 v33, v18
	v_lshrrev_b32_e32 v10, 3, v27
	s_mov_b32 s28, exec_lo
	v_cmpx_gt_u32_e32 8, v27
; %bb.1463:                             ;   in Loop: Header=BB382_16 Depth=1
	v_and_b32_e32 v10, 7, v32
	v_ffbh_u32_e32 v10, v10
	v_min_u32_e32 v10, 32, v10
	v_subrev_nc_u32_e32 v15, 28, v10
	v_sub_nc_u32_e32 v10, 29, v10
	v_lshlrev_b64 v[33:34], v15, v[18:19]
; %bb.1464:                             ;   in Loop: Header=BB382_16 Depth=1
	s_or_b32 exec_lo, exec_lo, s28
	v_lshlrev_b32_e32 v15, 20, v33
	v_lshlrev_b32_e32 v27, 24, v18
	v_lshl_add_u32 v10, v10, 23, 0x3c000000
	v_and_b32_e32 v15, 0x700000, v15
	v_and_b32_e32 v27, 0x80000000, v27
	v_or3_b32 v15, v15, v27, v10
.LBB382_1465:                           ;   in Loop: Header=BB382_16 Depth=1
	s_or_b32 exec_lo, exec_lo, s27
.LBB382_1466:                           ;   in Loop: Header=BB382_16 Depth=1
	s_or_b32 exec_lo, exec_lo, s26
.LBB382_1467:                           ;   in Loop: Header=BB382_16 Depth=1
	s_or_b32 exec_lo, exec_lo, s25
	v_cmp_ne_u16_sdwa s5, v18, v19 src0_sel:BYTE_1 src1_sel:DWORD
	s_and_saveexec_b32 s25, s5
	s_cbranch_execz .LBB382_1475
; %bb.1468:                             ;   in Loop: Header=BB382_16 Depth=1
	v_cmp_ne_u16_sdwa s5, v18, v5 src0_sel:BYTE_1 src1_sel:DWORD
	v_bfrev_b32_e32 v6, 1
	s_and_saveexec_b32 s26, s5
	s_cbranch_execz .LBB382_1474
; %bb.1469:                             ;   in Loop: Header=BB382_16 Depth=1
	v_mov_b32_e32 v6, 0xffff
	s_mov_b32 s27, exec_lo
	v_and_b32_sdwa v27, v6, v18 dst_sel:DWORD dst_unused:UNUSED_PAD src0_sel:DWORD src1_sel:BYTE_1
	v_mov_b32_e32 v6, 0x7f800001
	v_and_b32_e32 v10, 0x7f, v27
	v_cmpx_ne_u32_e32 0x7f, v10
	s_cbranch_execz .LBB382_1473
; %bb.1470:                             ;   in Loop: Header=BB382_16 Depth=1
	v_and_b32_e32 v33, 7, v27
	v_mov_b32_e32 v34, v19
	v_lshrrev_b32_e32 v6, 3, v10
	s_mov_b32 s28, exec_lo
	v_cmpx_gt_u32_e32 8, v10
; %bb.1471:                             ;   in Loop: Header=BB382_16 Depth=1
	v_ffbh_u32_e32 v6, v33
	v_min_u32_e32 v6, 32, v6
	v_subrev_nc_u32_e32 v10, 28, v6
	v_sub_nc_u32_e32 v6, 29, v6
	v_lshlrev_b64 v[33:34], v10, v[33:34]
	v_and_b32_e32 v33, 7, v33
; %bb.1472:                             ;   in Loop: Header=BB382_16 Depth=1
	s_or_b32 exec_lo, exec_lo, s28
	v_lshlrev_b32_e32 v10, 16, v18
	v_lshlrev_b32_e32 v18, 20, v33
	v_lshl_add_u32 v6, v6, 23, 0x3c000000
	v_and_b32_e32 v10, 0x80000000, v10
	v_or3_b32 v6, v18, v10, v6
.LBB382_1473:                           ;   in Loop: Header=BB382_16 Depth=1
	s_or_b32 exec_lo, exec_lo, s27
.LBB382_1474:                           ;   in Loop: Header=BB382_16 Depth=1
	s_or_b32 exec_lo, exec_lo, s26
.LBB382_1475:                           ;   in Loop: Header=BB382_16 Depth=1
	s_or_b32 exec_lo, exec_lo, s25
	v_mov_b32_e32 v10, 0xff
	v_mov_b32_e32 v27, 0
	;; [unrolled: 1-line block ×3, first 2 shown]
	v_and_b32_sdwa v10, v32, v10 dst_sel:DWORD dst_unused:UNUSED_PAD src0_sel:WORD_1 src1_sel:DWORD
	v_cmp_ne_u16_e64 s5, 0, v10
	s_mov_b32 s25, exec_lo
	s_and_b32 s5, s25, s5
	buffer_store_dword v25, off, s[0:3], s32 offset:552 ; 4-byte Folded Spill
	s_mov_b32 exec_lo, s5
	s_cbranch_execz .LBB382_1483
; %bb.1476:                             ;   in Loop: Header=BB382_16 Depth=1
	v_bfrev_b32_e32 v57, 1
	s_mov_b32 s26, exec_lo
	v_cmpx_ne_u16_e32 0x80, v10
	s_cbranch_execz .LBB382_1482
; %bb.1477:                             ;   in Loop: Header=BB382_16 Depth=1
	v_bfe_u32 v100, v32, 16, 7
	v_mov_b32_e32 v57, 0x7f800001
	s_mov_b32 s27, exec_lo
	v_cmpx_ne_u32_e32 0x7f, v100
	s_cbranch_execz .LBB382_1481
; %bb.1478:                             ;   in Loop: Header=BB382_16 Depth=1
	v_mov_b32_e32 v10, 7
	s_mov_b32 s28, exec_lo
	v_and_b32_sdwa v18, v32, v10 dst_sel:DWORD dst_unused:UNUSED_PAD src0_sel:WORD_1 src1_sel:DWORD
	v_mov_b32_e32 v34, v19
	v_lshrrev_b32_e32 v10, 3, v100
	v_mov_b32_e32 v33, v18
	v_cmpx_gt_u32_e32 8, v100
; %bb.1479:                             ;   in Loop: Header=BB382_16 Depth=1
	v_ffbh_u32_e32 v10, v18
	v_min_u32_e32 v10, 32, v10
	v_subrev_nc_u32_e32 v33, 28, v10
	v_sub_nc_u32_e32 v10, 29, v10
	v_lshlrev_b64 v[33:34], v33, v[18:19]
	v_and_b32_e32 v33, 7, v33
; %bb.1480:                             ;   in Loop: Header=BB382_16 Depth=1
	s_or_b32 exec_lo, exec_lo, s28
	v_mov_b32_e32 v16, 24
	v_lshlrev_b32_e32 v33, 20, v33
	v_lshl_add_u32 v10, v10, 23, 0x3c000000
	v_lshlrev_b32_sdwa v18, v16, v32 dst_sel:DWORD dst_unused:UNUSED_PAD src0_sel:DWORD src1_sel:WORD_1
	v_and_b32_e32 v18, 0x80000000, v18
	v_or3_b32 v57, v33, v18, v10
.LBB382_1481:                           ;   in Loop: Header=BB382_16 Depth=1
	s_or_b32 exec_lo, exec_lo, s27
.LBB382_1482:                           ;   in Loop: Header=BB382_16 Depth=1
	s_or_b32 exec_lo, exec_lo, s26
.LBB382_1483:                           ;   in Loop: Header=BB382_16 Depth=1
	s_or_b32 exec_lo, exec_lo, s25
	s_mov_b32 s25, exec_lo
	v_cmpx_lt_u64_e64 s[20:21], v[31:32]
	s_cbranch_execz .LBB382_1491
; %bb.1484:                             ;   in Loop: Header=BB382_16 Depth=1
	v_cmp_ne_u32_sdwa s5, v32, v5 src0_sel:BYTE_3 src1_sel:DWORD
	v_bfrev_b32_e32 v27, 1
	s_and_saveexec_b32 s26, s5
	s_cbranch_execz .LBB382_1490
; %bb.1485:                             ;   in Loop: Header=BB382_16 Depth=1
	v_bfe_u32 v31, v32, 24, 7
	v_mov_b32_e32 v27, 0x7f800001
	s_mov_b32 s27, exec_lo
	v_cmpx_ne_u32_e32 0x7f, v31
	s_cbranch_execz .LBB382_1489
; %bb.1486:                             ;   in Loop: Header=BB382_16 Depth=1
	v_mov_b32_e32 v10, 7
	s_mov_b32 s28, exec_lo
	v_and_b32_sdwa v18, v32, v10 dst_sel:DWORD dst_unused:UNUSED_PAD src0_sel:BYTE_3 src1_sel:DWORD
	v_mov_b32_e32 v34, v19
	v_lshrrev_b32_e32 v10, 3, v31
	v_mov_b32_e32 v33, v18
	v_cmpx_gt_u32_e32 8, v31
; %bb.1487:                             ;   in Loop: Header=BB382_16 Depth=1
	v_ffbh_u32_e32 v10, v18
	v_min_u32_e32 v10, 32, v10
	v_subrev_nc_u32_e32 v27, 28, v10
	v_sub_nc_u32_e32 v10, 29, v10
	v_lshlrev_b64 v[33:34], v27, v[18:19]
	v_and_b32_e32 v33, 7, v33
; %bb.1488:                             ;   in Loop: Header=BB382_16 Depth=1
	s_or_b32 exec_lo, exec_lo, s28
	v_mov_b32_e32 v16, 24
	v_lshlrev_b32_e32 v27, 20, v33
	v_lshl_add_u32 v10, v10, 23, 0x3c000000
	v_lshlrev_b32_sdwa v18, v16, v32 dst_sel:DWORD dst_unused:UNUSED_PAD src0_sel:DWORD src1_sel:BYTE_3
	v_and_b32_e32 v18, 0x80000000, v18
	v_or3_b32 v27, v27, v18, v10
.LBB382_1489:                           ;   in Loop: Header=BB382_16 Depth=1
	s_or_b32 exec_lo, exec_lo, s27
.LBB382_1490:                           ;   in Loop: Header=BB382_16 Depth=1
	s_or_b32 exec_lo, exec_lo, s26
.LBB382_1491:                           ;   in Loop: Header=BB382_16 Depth=1
	s_or_b32 exec_lo, exec_lo, s25
	flat_load_dwordx2 v[28:29], v[28:29] offset:1544
	v_mov_b32_e32 v33, 0
	v_mov_b32_e32 v25, 0
	s_waitcnt vmcnt(0) lgkmcnt(0)
	v_cmp_ne_u16_sdwa s5, v28, v19 src0_sel:BYTE_0 src1_sel:DWORD
	s_and_saveexec_b32 s25, s5
	s_cbranch_execz .LBB382_1499
; %bb.1492:                             ;   in Loop: Header=BB382_16 Depth=1
	v_cmp_ne_u16_sdwa s5, v28, v5 src0_sel:BYTE_0 src1_sel:DWORD
	v_bfrev_b32_e32 v25, 1
	s_and_saveexec_b32 s26, s5
	s_cbranch_execz .LBB382_1498
; %bb.1493:                             ;   in Loop: Header=BB382_16 Depth=1
	v_and_b32_e32 v18, 0x7f, v28
	v_mov_b32_e32 v25, 0x7f800001
	s_mov_b32 s27, exec_lo
	v_cmpx_ne_u32_e32 0x7f, v18
	s_cbranch_execz .LBB382_1497
; %bb.1494:                             ;   in Loop: Header=BB382_16 Depth=1
	v_mov_b32_e32 v32, v29
	v_lshrrev_b32_e32 v10, 3, v18
	v_mov_b32_e32 v31, v28
	s_mov_b32 s28, exec_lo
	v_cmpx_gt_u32_e32 8, v18
; %bb.1495:                             ;   in Loop: Header=BB382_16 Depth=1
	v_and_b32_e32 v10, 7, v28
	v_ffbh_u32_e32 v10, v10
	v_min_u32_e32 v10, 32, v10
	v_subrev_nc_u32_e32 v18, 28, v10
	v_sub_nc_u32_e32 v10, 29, v10
	v_lshlrev_b64 v[31:32], v18, v[28:29]
; %bb.1496:                             ;   in Loop: Header=BB382_16 Depth=1
	s_or_b32 exec_lo, exec_lo, s28
	v_lshlrev_b32_e32 v18, 20, v31
	v_lshlrev_b32_e32 v31, 24, v28
	v_lshl_add_u32 v10, v10, 23, 0x3c000000
	v_and_b32_e32 v18, 0x700000, v18
	v_and_b32_e32 v31, 0x80000000, v31
	v_or3_b32 v25, v18, v31, v10
.LBB382_1497:                           ;   in Loop: Header=BB382_16 Depth=1
	s_or_b32 exec_lo, exec_lo, s27
.LBB382_1498:                           ;   in Loop: Header=BB382_16 Depth=1
	s_or_b32 exec_lo, exec_lo, s26
.LBB382_1499:                           ;   in Loop: Header=BB382_16 Depth=1
	s_or_b32 exec_lo, exec_lo, s25
	v_cmp_ne_u16_sdwa s5, v28, v19 src0_sel:BYTE_1 src1_sel:DWORD
	s_and_saveexec_b32 s25, s5
	s_cbranch_execz .LBB382_1507
; %bb.1500:                             ;   in Loop: Header=BB382_16 Depth=1
	v_cmp_ne_u16_sdwa s5, v28, v5 src0_sel:BYTE_1 src1_sel:DWORD
	v_bfrev_b32_e32 v33, 1
	s_and_saveexec_b32 s26, s5
	s_cbranch_execz .LBB382_1506
; %bb.1501:                             ;   in Loop: Header=BB382_16 Depth=1
	v_mov_b32_e32 v10, 0xffff
	v_mov_b32_e32 v33, 0x7f800001
	s_mov_b32 s27, exec_lo
	v_and_b32_sdwa v10, v10, v28 dst_sel:DWORD dst_unused:UNUSED_PAD src0_sel:DWORD src1_sel:BYTE_1
	v_and_b32_e32 v34, 0x7f, v10
	v_cmpx_ne_u32_e32 0x7f, v34
	s_cbranch_execz .LBB382_1505
; %bb.1502:                             ;   in Loop: Header=BB382_16 Depth=1
	v_and_b32_e32 v18, 7, v10
	v_mov_b32_e32 v32, v19
	v_lshrrev_b32_e32 v10, 3, v34
	s_mov_b32 s28, exec_lo
	v_mov_b32_e32 v31, v18
	v_cmpx_gt_u32_e32 8, v34
; %bb.1503:                             ;   in Loop: Header=BB382_16 Depth=1
	v_ffbh_u32_e32 v10, v18
	v_min_u32_e32 v10, 32, v10
	v_subrev_nc_u32_e32 v31, 28, v10
	v_sub_nc_u32_e32 v10, 29, v10
	v_lshlrev_b64 v[31:32], v31, v[18:19]
	v_and_b32_e32 v31, 7, v31
; %bb.1504:                             ;   in Loop: Header=BB382_16 Depth=1
	s_or_b32 exec_lo, exec_lo, s28
	v_lshlrev_b32_e32 v18, 16, v28
	v_lshlrev_b32_e32 v31, 20, v31
	v_lshl_add_u32 v10, v10, 23, 0x3c000000
	v_and_b32_e32 v18, 0x80000000, v18
	v_or3_b32 v33, v31, v18, v10
.LBB382_1505:                           ;   in Loop: Header=BB382_16 Depth=1
	s_or_b32 exec_lo, exec_lo, s27
.LBB382_1506:                           ;   in Loop: Header=BB382_16 Depth=1
	s_or_b32 exec_lo, exec_lo, s26
.LBB382_1507:                           ;   in Loop: Header=BB382_16 Depth=1
	s_or_b32 exec_lo, exec_lo, s25
	v_mov_b32_e32 v10, 0xff
	v_mov_b32_e32 v105, 0
	;; [unrolled: 1-line block ×3, first 2 shown]
	s_mov_b32 s25, exec_lo
	v_and_b32_sdwa v10, v28, v10 dst_sel:DWORD dst_unused:UNUSED_PAD src0_sel:WORD_1 src1_sel:DWORD
	v_cmpx_ne_u16_e32 0, v10
	s_cbranch_execz .LBB382_1515
; %bb.1508:                             ;   in Loop: Header=BB382_16 Depth=1
	v_bfrev_b32_e32 v100, 1
	s_mov_b32 s26, exec_lo
	v_cmpx_ne_u16_e32 0x80, v10
	s_cbranch_execz .LBB382_1514
; %bb.1509:                             ;   in Loop: Header=BB382_16 Depth=1
	v_bfe_u32 v34, v28, 16, 7
	v_mov_b32_e32 v100, 0x7f800001
	s_mov_b32 s27, exec_lo
	v_cmpx_ne_u32_e32 0x7f, v34
	s_cbranch_execz .LBB382_1513
; %bb.1510:                             ;   in Loop: Header=BB382_16 Depth=1
	v_mov_b32_e32 v10, 7
	s_mov_b32 s28, exec_lo
	v_and_b32_sdwa v18, v28, v10 dst_sel:DWORD dst_unused:UNUSED_PAD src0_sel:WORD_1 src1_sel:DWORD
	v_mov_b32_e32 v32, v19
	v_lshrrev_b32_e32 v10, 3, v34
	v_mov_b32_e32 v31, v18
	v_cmpx_gt_u32_e32 8, v34
; %bb.1511:                             ;   in Loop: Header=BB382_16 Depth=1
	v_ffbh_u32_e32 v10, v18
	v_min_u32_e32 v10, 32, v10
	v_subrev_nc_u32_e32 v31, 28, v10
	v_sub_nc_u32_e32 v10, 29, v10
	v_lshlrev_b64 v[31:32], v31, v[18:19]
	v_and_b32_e32 v31, 7, v31
; %bb.1512:                             ;   in Loop: Header=BB382_16 Depth=1
	s_or_b32 exec_lo, exec_lo, s28
	v_mov_b32_e32 v16, 24
	v_lshlrev_b32_e32 v31, 20, v31
	v_lshl_add_u32 v10, v10, 23, 0x3c000000
	v_lshlrev_b32_sdwa v18, v16, v28 dst_sel:DWORD dst_unused:UNUSED_PAD src0_sel:DWORD src1_sel:WORD_1
	v_and_b32_e32 v18, 0x80000000, v18
	v_or3_b32 v100, v31, v18, v10
.LBB382_1513:                           ;   in Loop: Header=BB382_16 Depth=1
	s_or_b32 exec_lo, exec_lo, s27
.LBB382_1514:                           ;   in Loop: Header=BB382_16 Depth=1
	s_or_b32 exec_lo, exec_lo, s26
.LBB382_1515:                           ;   in Loop: Header=BB382_16 Depth=1
	s_or_b32 exec_lo, exec_lo, s25
	s_mov_b32 s25, exec_lo
	v_cmpx_lt_u32_e32 0xffffff, v28
	s_cbranch_execz .LBB382_1523
; %bb.1516:                             ;   in Loop: Header=BB382_16 Depth=1
	v_cmp_ne_u32_sdwa s5, v28, v5 src0_sel:BYTE_3 src1_sel:DWORD
	v_bfrev_b32_e32 v105, 1
	s_and_saveexec_b32 s26, s5
	s_cbranch_execz .LBB382_1522
; %bb.1517:                             ;   in Loop: Header=BB382_16 Depth=1
	v_bfe_u32 v34, v28, 24, 7
	v_mov_b32_e32 v105, 0x7f800001
	s_mov_b32 s27, exec_lo
	v_cmpx_ne_u32_e32 0x7f, v34
	s_cbranch_execz .LBB382_1521
; %bb.1518:                             ;   in Loop: Header=BB382_16 Depth=1
	v_mov_b32_e32 v10, 7
	s_mov_b32 s28, exec_lo
	v_and_b32_sdwa v18, v28, v10 dst_sel:DWORD dst_unused:UNUSED_PAD src0_sel:BYTE_3 src1_sel:DWORD
	v_mov_b32_e32 v32, v19
	v_lshrrev_b32_e32 v10, 3, v34
	v_mov_b32_e32 v31, v18
	v_cmpx_gt_u32_e32 8, v34
; %bb.1519:                             ;   in Loop: Header=BB382_16 Depth=1
	v_ffbh_u32_e32 v10, v18
	v_min_u32_e32 v10, 32, v10
	v_subrev_nc_u32_e32 v31, 28, v10
	v_sub_nc_u32_e32 v10, 29, v10
	v_lshlrev_b64 v[31:32], v31, v[18:19]
	v_and_b32_e32 v31, 7, v31
; %bb.1520:                             ;   in Loop: Header=BB382_16 Depth=1
	s_or_b32 exec_lo, exec_lo, s28
	v_mov_b32_e32 v16, 24
	v_lshlrev_b32_e32 v31, 20, v31
	v_lshl_add_u32 v10, v10, 23, 0x3c000000
	v_lshlrev_b32_sdwa v18, v16, v28 dst_sel:DWORD dst_unused:UNUSED_PAD src0_sel:DWORD src1_sel:BYTE_3
	v_and_b32_e32 v18, 0x80000000, v18
	v_or3_b32 v105, v31, v18, v10
.LBB382_1521:                           ;   in Loop: Header=BB382_16 Depth=1
	s_or_b32 exec_lo, exec_lo, s27
.LBB382_1522:                           ;   in Loop: Header=BB382_16 Depth=1
	s_or_b32 exec_lo, exec_lo, s26
.LBB382_1523:                           ;   in Loop: Header=BB382_16 Depth=1
	s_or_b32 exec_lo, exec_lo, s25
	v_mov_b32_e32 v18, v29
	v_cmp_ne_u16_sdwa s5, v29, v19 src0_sel:BYTE_0 src1_sel:DWORD
	v_mov_b32_e32 v108, 0
	v_mov_b32_e32 v107, 0
	s_and_saveexec_b32 s25, s5
	s_cbranch_execz .LBB382_1531
; %bb.1524:                             ;   in Loop: Header=BB382_16 Depth=1
	v_cmp_ne_u16_sdwa s5, v29, v5 src0_sel:BYTE_0 src1_sel:DWORD
	v_bfrev_b32_e32 v107, 1
	s_and_saveexec_b32 s26, s5
	s_cbranch_execz .LBB382_1530
; %bb.1525:                             ;   in Loop: Header=BB382_16 Depth=1
	v_and_b32_e32 v34, 0x7f, v29
	v_mov_b32_e32 v107, 0x7f800001
	s_mov_b32 s27, exec_lo
	v_cmpx_ne_u32_e32 0x7f, v34
	s_cbranch_execz .LBB382_1529
; %bb.1526:                             ;   in Loop: Header=BB382_16 Depth=1
	v_mov_b32_e32 v32, v19
	v_mov_b32_e32 v31, v18
	v_lshrrev_b32_e32 v10, 3, v34
	s_mov_b32 s28, exec_lo
	v_cmpx_gt_u32_e32 8, v34
; %bb.1527:                             ;   in Loop: Header=BB382_16 Depth=1
	v_and_b32_e32 v10, 7, v29
	v_ffbh_u32_e32 v10, v10
	v_min_u32_e32 v10, 32, v10
	v_subrev_nc_u32_e32 v31, 28, v10
	v_sub_nc_u32_e32 v10, 29, v10
	v_lshlrev_b64 v[31:32], v31, v[18:19]
; %bb.1528:                             ;   in Loop: Header=BB382_16 Depth=1
	s_or_b32 exec_lo, exec_lo, s28
	v_lshlrev_b32_e32 v31, 20, v31
	v_lshlrev_b32_e32 v32, 24, v18
	v_lshl_add_u32 v10, v10, 23, 0x3c000000
	v_and_b32_e32 v31, 0x700000, v31
	v_and_b32_e32 v32, 0x80000000, v32
	v_or3_b32 v107, v31, v32, v10
.LBB382_1529:                           ;   in Loop: Header=BB382_16 Depth=1
	s_or_b32 exec_lo, exec_lo, s27
.LBB382_1530:                           ;   in Loop: Header=BB382_16 Depth=1
	s_or_b32 exec_lo, exec_lo, s26
.LBB382_1531:                           ;   in Loop: Header=BB382_16 Depth=1
	s_or_b32 exec_lo, exec_lo, s25
	v_cmp_ne_u16_sdwa s5, v18, v19 src0_sel:BYTE_1 src1_sel:DWORD
	s_and_saveexec_b32 s25, s5
	s_cbranch_execz .LBB382_1539
; %bb.1532:                             ;   in Loop: Header=BB382_16 Depth=1
	v_cmp_ne_u16_sdwa s5, v18, v5 src0_sel:BYTE_1 src1_sel:DWORD
	v_bfrev_b32_e32 v108, 1
	s_and_saveexec_b32 s26, s5
	s_cbranch_execz .LBB382_1538
; %bb.1533:                             ;   in Loop: Header=BB382_16 Depth=1
	v_mov_b32_e32 v10, 0xffff
	v_mov_b32_e32 v108, 0x7f800001
	s_mov_b32 s27, exec_lo
	v_and_b32_sdwa v10, v10, v18 dst_sel:DWORD dst_unused:UNUSED_PAD src0_sel:DWORD src1_sel:BYTE_1
	v_and_b32_e32 v34, 0x7f, v10
	v_cmpx_ne_u32_e32 0x7f, v34
	s_cbranch_execz .LBB382_1537
; %bb.1534:                             ;   in Loop: Header=BB382_16 Depth=1
	v_and_b32_e32 v31, 7, v10
	v_mov_b32_e32 v32, v19
	v_lshrrev_b32_e32 v10, 3, v34
	s_mov_b32 s28, exec_lo
	v_cmpx_gt_u32_e32 8, v34
; %bb.1535:                             ;   in Loop: Header=BB382_16 Depth=1
	v_ffbh_u32_e32 v10, v31
	v_min_u32_e32 v10, 32, v10
	v_subrev_nc_u32_e32 v34, 28, v10
	v_sub_nc_u32_e32 v10, 29, v10
	v_lshlrev_b64 v[31:32], v34, v[31:32]
	v_and_b32_e32 v31, 7, v31
; %bb.1536:                             ;   in Loop: Header=BB382_16 Depth=1
	s_or_b32 exec_lo, exec_lo, s28
	v_lshlrev_b32_e32 v18, 16, v18
	v_lshlrev_b32_e32 v31, 20, v31
	v_lshl_add_u32 v10, v10, 23, 0x3c000000
	v_and_b32_e32 v18, 0x80000000, v18
	v_or3_b32 v108, v31, v18, v10
.LBB382_1537:                           ;   in Loop: Header=BB382_16 Depth=1
	s_or_b32 exec_lo, exec_lo, s27
.LBB382_1538:                           ;   in Loop: Header=BB382_16 Depth=1
	s_or_b32 exec_lo, exec_lo, s26
.LBB382_1539:                           ;   in Loop: Header=BB382_16 Depth=1
	s_or_b32 exec_lo, exec_lo, s25
	v_mov_b32_e32 v10, 0xff
	v_mov_b32_e32 v16, 0
	s_mov_b32 s25, exec_lo
	v_and_b32_sdwa v18, v29, v10 dst_sel:DWORD dst_unused:UNUSED_PAD src0_sel:WORD_1 src1_sel:DWORD
	v_mov_b32_e32 v10, 0
	v_cmpx_ne_u16_e32 0, v18
	s_cbranch_execz .LBB382_1547
; %bb.1540:                             ;   in Loop: Header=BB382_16 Depth=1
	v_bfrev_b32_e32 v10, 1
	s_mov_b32 s26, exec_lo
	v_cmpx_ne_u16_e32 0x80, v18
	s_cbranch_execz .LBB382_1546
; %bb.1541:                             ;   in Loop: Header=BB382_16 Depth=1
	v_bfe_u32 v34, v29, 16, 7
	v_mov_b32_e32 v10, 0x7f800001
	s_mov_b32 s27, exec_lo
	v_cmpx_ne_u32_e32 0x7f, v34
	s_cbranch_execz .LBB382_1545
; %bb.1542:                             ;   in Loop: Header=BB382_16 Depth=1
	v_mov_b32_e32 v10, 7
	s_mov_b32 s28, exec_lo
	v_and_b32_sdwa v18, v29, v10 dst_sel:DWORD dst_unused:UNUSED_PAD src0_sel:WORD_1 src1_sel:DWORD
	v_mov_b32_e32 v32, v19
	v_lshrrev_b32_e32 v10, 3, v34
	v_mov_b32_e32 v31, v18
	v_cmpx_gt_u32_e32 8, v34
; %bb.1543:                             ;   in Loop: Header=BB382_16 Depth=1
	v_ffbh_u32_e32 v10, v18
	v_min_u32_e32 v10, 32, v10
	v_subrev_nc_u32_e32 v31, 28, v10
	v_sub_nc_u32_e32 v10, 29, v10
	v_lshlrev_b64 v[31:32], v31, v[18:19]
	v_and_b32_e32 v31, 7, v31
; %bb.1544:                             ;   in Loop: Header=BB382_16 Depth=1
	s_or_b32 exec_lo, exec_lo, s28
	v_mov_b32_e32 v18, 24
	v_lshlrev_b32_e32 v31, 20, v31
	v_lshl_add_u32 v10, v10, 23, 0x3c000000
	v_lshlrev_b32_sdwa v18, v18, v29 dst_sel:DWORD dst_unused:UNUSED_PAD src0_sel:DWORD src1_sel:WORD_1
	v_and_b32_e32 v18, 0x80000000, v18
	v_or3_b32 v10, v31, v18, v10
.LBB382_1545:                           ;   in Loop: Header=BB382_16 Depth=1
	s_or_b32 exec_lo, exec_lo, s27
.LBB382_1546:                           ;   in Loop: Header=BB382_16 Depth=1
	s_or_b32 exec_lo, exec_lo, s26
.LBB382_1547:                           ;   in Loop: Header=BB382_16 Depth=1
	s_or_b32 exec_lo, exec_lo, s25
	buffer_store_dword v100, off, s[0:3], s32 offset:644 ; 4-byte Folded Spill
	buffer_store_dword v33, off, s[0:3], s32 offset:584 ; 4-byte Folded Spill
	;; [unrolled: 1-line block ×3, first 2 shown]
	v_mov_b32_e32 v25, v109
	buffer_load_dword v109, off, s[0:3], s32 offset:364 ; 4-byte Folded Reload
	s_mov_b32 s25, exec_lo
	v_cmpx_lt_u64_e64 s[20:21], v[28:29]
	s_cbranch_execz .LBB382_14
; %bb.1548:                             ;   in Loop: Header=BB382_16 Depth=1
	v_cmp_ne_u32_sdwa s5, v29, v5 src0_sel:BYTE_3 src1_sel:DWORD
	v_bfrev_b32_e32 v16, 1
	s_and_saveexec_b32 s26, s5
	s_cbranch_execz .LBB382_13
; %bb.1549:                             ;   in Loop: Header=BB382_16 Depth=1
	v_bfe_u32 v34, v29, 24, 7
	v_mov_b32_e32 v16, 0x7f800001
	s_mov_b32 s27, exec_lo
	v_cmpx_ne_u32_e32 0x7f, v34
	s_cbranch_execz .LBB382_12
; %bb.1550:                             ;   in Loop: Header=BB382_16 Depth=1
	v_mov_b32_e32 v16, 7
	v_lshrrev_b32_e32 v28, 3, v34
	s_mov_b32 s28, exec_lo
	v_and_b32_sdwa v18, v29, v16 dst_sel:DWORD dst_unused:UNUSED_PAD src0_sel:BYTE_3 src1_sel:DWORD
	v_mov_b32_e32 v32, v19
	v_mov_b32_e32 v31, v18
	v_cmpx_gt_u32_e32 8, v34
	s_cbranch_execz .LBB382_11
; %bb.1551:                             ;   in Loop: Header=BB382_16 Depth=1
	v_ffbh_u32_e32 v28, v18
	v_min_u32_e32 v28, 32, v28
	v_subrev_nc_u32_e32 v31, 28, v28
	v_sub_nc_u32_e32 v28, 29, v28
	v_lshlrev_b64 v[31:32], v31, v[18:19]
	v_and_b32_e32 v31, 7, v31
	s_branch .LBB382_11
.LBB382_1552:
	s_or_b32 exec_lo, exec_lo, s17
	s_clause 0x2
	buffer_load_dword v14, off, s[0:3], s32 offset:1740
	buffer_load_dword v15, off, s[0:3], s32 offset:1744
	;; [unrolled: 1-line block ×3, first 2 shown]
.LBB382_1553:
	s_or_b32 exec_lo, exec_lo, s23
	v_mbcnt_lo_u32_b32 v0, -1, 0
	v_max_f32_e32 v4, v10, v10
	s_waitcnt lgkmcnt(0)
	s_lshr_b32 s8, s13, 16
	v_xor_b32_e32 v1, 16, v0
	v_xor_b32_e32 v3, 8, v0
	;; [unrolled: 1-line block ×3, first 2 shown]
	v_cmp_gt_i32_e32 vcc_lo, 32, v1
	v_cndmask_b32_e32 v1, v0, v1, vcc_lo
	v_cmp_gt_i32_e32 vcc_lo, 32, v3
	v_lshlrev_b32_e32 v2, 2, v1
	v_cndmask_b32_e32 v3, v0, v3, vcc_lo
	v_cmp_gt_i32_e32 vcc_lo, 32, v5
	ds_bpermute_b32 v1, v2, v10
	v_lshlrev_b32_e32 v3, 2, v3
	v_cndmask_b32_e32 v5, v0, v5, vcc_lo
	s_waitcnt lgkmcnt(0)
	v_max_f32_e32 v1, v1, v1
	v_max_f32_e32 v1, v4, v1
	ds_bpermute_b32 v4, v3, v1
	s_waitcnt lgkmcnt(0)
	v_max_f32_e32 v6, v4, v4
	v_lshlrev_b32_e32 v4, 2, v5
	v_max_f32_e32 v1, v1, v6
	v_xor_b32_e32 v6, 2, v0
	ds_bpermute_b32 v5, v4, v1
	v_cmp_gt_i32_e32 vcc_lo, 32, v6
	v_cndmask_b32_e32 v6, v0, v6, vcc_lo
	v_lshlrev_b32_e32 v33, 2, v6
	v_xor_b32_e32 v6, 1, v0
	v_cmp_gt_i32_e32 vcc_lo, 32, v6
	s_waitcnt lgkmcnt(0)
	v_max_f32_e32 v5, v5, v5
	v_cndmask_b32_e32 v6, v0, v6, vcc_lo
	v_max_f32_e32 v1, v1, v5
	v_lshlrev_b32_e32 v54, 2, v6
	ds_bpermute_b32 v5, v33, v1
	s_waitcnt lgkmcnt(0)
	v_max_f32_e32 v5, v5, v5
	v_max_f32_e32 v0, v1, v5
	buffer_load_dword v5, off, s[0:3], s32 offset:856 ; 4-byte Folded Reload
	ds_bpermute_b32 v1, v54, v0
	s_waitcnt vmcnt(0)
	v_cmp_eq_u32_e32 vcc_lo, 0, v5
	buffer_load_dword v5, off, s[0:3], s32 offset:1672 ; 4-byte Folded Reload
	s_waitcnt vmcnt(0)
	v_lshlrev_b32_e32 v5, 2, v5
	s_and_saveexec_b32 s5, vcc_lo
	s_cbranch_execz .LBB382_1555
; %bb.1554:
	s_waitcnt lgkmcnt(0)
	v_max_f32_e32 v1, v1, v1
	v_max_f32_e32 v0, v0, v0
	;; [unrolled: 1-line block ×3, first 2 shown]
	ds_write_b32 v5, v0 offset:384
.LBB382_1555:
	s_or_b32 exec_lo, exec_lo, s5
	buffer_load_dword v0, off, s[0:3], s32 offset:856 ; 4-byte Folded Reload
	s_waitcnt vmcnt(0) lgkmcnt(0)
	s_waitcnt_vscnt null, 0x0
	s_barrier
	buffer_gl0_inv
	v_cmp_gt_u32_e64 s5, 4, v0
	v_mov_b32_e32 v0, 0xff7fffff
	s_and_saveexec_b32 s6, s5
; %bb.1556:
	ds_read_b32 v0, v18 offset:384
; %bb.1557:
	s_or_b32 exec_lo, exec_lo, s6
	buffer_load_dword v6, off, s[0:3], s32 offset:224 ; 4-byte Folded Reload
	s_waitcnt lgkmcnt(0)
	ds_bpermute_b32 v1, v33, v0
	v_max_f32_e32 v0, v0, v0
	s_waitcnt lgkmcnt(0)
	v_max_f32_e32 v1, v1, v1
	v_max_f32_e32 v0, v0, v1
	ds_bpermute_b32 v1, v54, v0
	s_waitcnt lgkmcnt(0)
	v_max_f32_e32 v1, v1, v1
	v_max_f32_e32 v0, v0, v1
	s_waitcnt vmcnt(0)
	v_subrev_nc_u32_e32 v7, s7, v6
	v_mov_b32_e32 v6, 0
	v_lshl_add_u32 v1, v7, 5, s22
	buffer_load_dword v7, off, s[0:3], s32 offset:860 ; 4-byte Folded Reload
	ds_bpermute_b32 v0, v6, v0
	v_min_i32_e32 v1, v1, v92
	v_subrev_nc_u32_e32 v1, s22, v1
	s_waitcnt vmcnt(0)
	v_cmp_lt_i32_e64 s6, v7, v1
	s_and_saveexec_b32 s9, s6
	s_cbranch_execz .LBB382_1561
; %bb.1558:
	buffer_load_dword v8, off, s[0:3], s32 offset:860 ; 4-byte Folded Reload
	s_getpc_b64 s[20:21]
	s_add_u32 s20, s20, llvm.amdgcn.dynlds.offset.table@rel32@lo+4
	s_addc_u32 s21, s21, llvm.amdgcn.dynlds.offset.table@rel32@hi+12
	s_ashr_i32 s17, s16, 31
	v_mov_b32_e32 v6, 0
	s_lshl_b64 s[24:25], s[16:17], 2
	s_mov_b32 s13, 0
	s_add_u32 s20, s20, s24
	s_addc_u32 s21, s21, s25
	s_load_dword s7, s[20:21], 0x0
	s_waitcnt vmcnt(0) lgkmcnt(0)
	v_lshl_add_u32 v7, v8, 2, s7
	.p2align	6
.LBB382_1559:                           ; =>This Inner Loop Header: Depth=1
	ds_read_b32 v9, v7
	v_add_nc_u32_e32 v8, 0x80, v8
	v_cmp_ge_i32_e64 s7, v8, v1
	s_or_b32 s13, s7, s13
	s_waitcnt lgkmcnt(0)
	v_sub_f32_e32 v9, v9, v0
	v_mul_f32_e32 v9, 0x3fb8aa3b, v9
	v_exp_f32_e32 v9, v9
	ds_write_b32 v7, v9
	v_add_f32_e32 v6, v6, v9
	v_add_nc_u32_e32 v7, 0x200, v7
	s_andn2_b32 exec_lo, exec_lo, s13
	s_cbranch_execnz .LBB382_1559
; %bb.1560:
	s_or_b32 exec_lo, exec_lo, s13
.LBB382_1561:
	s_or_b32 exec_lo, exec_lo, s9
	ds_bpermute_b32 v2, v2, v6
	s_waitcnt lgkmcnt(0)
	v_add_f32_e32 v2, v6, v2
	ds_bpermute_b32 v3, v3, v2
	s_waitcnt lgkmcnt(0)
	v_add_f32_e32 v2, v2, v3
	;; [unrolled: 3-line block ×5, first 2 shown]
	s_and_saveexec_b32 s7, vcc_lo
; %bb.1562:
	ds_write_b32 v5, v2 offset:400
; %bb.1563:
	s_or_b32 exec_lo, exec_lo, s7
	s_waitcnt lgkmcnt(0)
	s_barrier
	buffer_gl0_inv
	s_and_saveexec_b32 s7, s5
; %bb.1564:
	ds_read_b32 v2, v18 offset:400
; %bb.1565:
	s_or_b32 exec_lo, exec_lo, s7
	s_waitcnt lgkmcnt(0)
	ds_bpermute_b32 v3, v33, v2
	s_waitcnt lgkmcnt(0)
	v_add_f32_e32 v2, v2, v3
	ds_bpermute_b32 v3, v54, v2
	s_waitcnt lgkmcnt(0)
	v_add_f32_e32 v2, v2, v3
	v_mov_b32_e32 v3, 0
	ds_bpermute_b32 v2, v3, v2
	s_and_saveexec_b32 s5, s6
	s_cbranch_execz .LBB382_1568
; %bb.1566:
	s_waitcnt lgkmcnt(0)
	v_add_f32_e32 v4, 0x358637bd, v2
	s_getpc_b64 s[6:7]
	s_add_u32 s6, s6, llvm.amdgcn.dynlds.offset.table@rel32@lo+4
	s_addc_u32 s7, s7, llvm.amdgcn.dynlds.offset.table@rel32@hi+12
	s_ashr_i32 s17, s16, 31
	s_lshl_b64 s[20:21], s[16:17], 2
	v_div_scale_f32 v3, null, v4, v4, 1.0
	v_div_scale_f32 v7, vcc_lo, 1.0, v4, 1.0
	s_add_u32 s6, s6, s20
	v_rcp_f32_e32 v5, v3
	s_addc_u32 s7, s7, s21
	s_load_dword s6, s[6:7], 0x0
	v_fma_f32 v6, -v3, v5, 1.0
	v_fmac_f32_e32 v5, v6, v5
	v_mul_f32_e32 v6, v7, v5
	v_fma_f32 v8, -v3, v6, v7
	v_fmac_f32_e32 v6, v8, v5
	v_fma_f32 v3, -v3, v6, v7
	v_div_fmas_f32 v5, v3, v5, v6
	buffer_load_dword v6, off, s[0:3], s32 offset:860 ; 4-byte Folded Reload
	v_div_fixup_f32 v4, v5, v4, 1.0
	s_waitcnt vmcnt(0) lgkmcnt(0)
	v_lshl_add_u32 v3, v6, 2, s6
	v_mov_b32_e32 v5, v6
	s_mov_b32 s6, 0
.LBB382_1567:                           ; =>This Inner Loop Header: Depth=1
	ds_read_b32 v6, v3
	v_add_nc_u32_e32 v5, 0x80, v5
	v_cmp_ge_i32_e32 vcc_lo, v5, v1
	s_or_b32 s6, vcc_lo, s6
	s_waitcnt lgkmcnt(0)
	v_mul_f32_e32 v6, v4, v6
	ds_write_b32 v3, v6
	v_add_nc_u32_e32 v3, 0x200, v3
	s_andn2_b32 exec_lo, exec_lo, s6
	s_cbranch_execnz .LBB382_1567
.LBB382_1568:
	s_or_b32 exec_lo, exec_lo, s5
	s_waitcnt lgkmcnt(0)
	buffer_load_dword v1, off, s[0:3], s32 offset:860 ; 4-byte Folded Reload
	s_and_b32 s5, 0xffff, s8
	s_barrier
	s_cmp_lg_u32 s5, 0
	s_waitcnt vmcnt(0)
	buffer_gl0_inv
	s_cselect_b32 s5, -1, 0
	s_cmp_lg_u32 s5, 0
	s_addc_u32 s5, s11, 0
	s_mul_i32 s6, s5, s18
	s_mul_i32 s6, s6, s15
	v_cmp_eq_u32_e32 vcc_lo, 0, v1
	s_mov_b32 s8, exec_lo
	buffer_load_dword v3, off, s[0:3], s32 offset:1708 ; 4-byte Folded Reload
	s_and_b32 s7, s8, vcc_lo
	s_mov_b32 exec_lo, s7
	s_cbranch_execz .LBB382_1570
; %bb.1569:
	buffer_load_dword v1, off, s[0:3], s32 offset:1732 ; 4-byte Folded Reload
	s_ashr_i32 s7, s6, 31
	s_mul_i32 s12, s5, s12
	s_lshl_b64 s[20:21], s[6:7], 2
	s_ashr_i32 s13, s12, 31
	s_ashr_i32 s15, s14, 31
	s_lshl_b64 s[12:13], s[12:13], 2
	s_waitcnt vmcnt(0)
	v_add_co_u32 v1, vcc_lo, v1, s20
	v_add_co_ci_u32_e64 v3, null, s21, v3, vcc_lo
	v_add_co_u32 v1, vcc_lo, v1, s12
	v_add_co_ci_u32_e64 v4, null, s13, v3, vcc_lo
	;; [unrolled: 2-line block ×3, first 2 shown]
	s_lshl_b64 s[20:21], s[14:15], 2
	v_add_co_u32 v6, vcc_lo, v3, s12
	v_add_co_ci_u32_e64 v7, null, s13, v5, vcc_lo
	v_add_co_u32 v3, vcc_lo, v1, s20
	v_add_co_ci_u32_e64 v4, null, s21, v4, vcc_lo
	;; [unrolled: 2-line block ×3, first 2 shown]
	flat_store_dword v[3:4], v0
	flat_store_dword v[5:6], v2
.LBB382_1570:
	s_or_b32 exec_lo, exec_lo, s8
	s_ashr_i32 s17, s16, 31
	s_getpc_b64 s[8:9]
	s_add_u32 s8, s8, llvm.amdgcn.dynlds.offset.table@rel32@lo+4
	s_addc_u32 s9, s9, llvm.amdgcn.dynlds.offset.table@rel32@hi+12
	s_lshl_b64 s[12:13], s[16:17], 2
	v_mov_b32_e32 v19, 0
	v_mov_b32_e32 v17, 0
	;; [unrolled: 1-line block ×24, first 2 shown]
	s_add_u32 s8, s8, s12
	s_addc_u32 s9, s9, s13
	s_and_saveexec_b32 s7, s4
	s_cbranch_execz .LBB382_3160
; %bb.1571:
	buffer_store_dword v33, off, s[0:3], s32 offset:736 ; 4-byte Folded Spill
	buffer_store_dword v54, off, s[0:3], s32 offset:732 ; 4-byte Folded Spill
	s_clause 0x1
	buffer_load_dword v0, off, s[0:3], s32 offset:1668
	buffer_load_dword v1, off, s[0:3], s32 offset:1728
	s_load_dword s4, s[8:9], 0x0
	v_mov_b32_e32 v5, 0
	v_mov_b32_e32 v6, 0
	;; [unrolled: 1-line block ×6, first 2 shown]
	s_lshl_b32 s11, s22, 2
	s_mov_b32 s12, -1
	s_mov_b32 s13, 0xffffff
	s_mov_b32 s15, 0
	s_waitcnt lgkmcnt(0)
	s_sub_i32 s11, s4, s11
	s_waitcnt vmcnt(0)
	v_max_i32_e32 v30, v0, v1
	s_clause 0x2
	buffer_load_dword v1, off, s[0:3], s32 offset:1680
	buffer_load_dword v2, off, s[0:3], s32 offset:1720
	;; [unrolled: 1-line block ×3, first 2 shown]
	v_cvt_f32_u32_e32 v0, v30
	v_rcp_iflag_f32_e32 v0, v0
	v_mul_f32_e32 v0, 0x4f7ffffe, v0
	v_cvt_u32_f32_e32 v0, v0
	s_waitcnt vmcnt(1)
	v_add_co_u32 v1, vcc_lo, v1, v2
	buffer_store_dword v1, off, s[0:3], s32 offset:708 ; 4-byte Folded Spill
	buffer_load_dword v1, off, s[0:3], s32 offset:1676 ; 4-byte Folded Reload
	s_waitcnt vmcnt(0)
	v_add_co_ci_u32_e64 v1, null, v1, v3, vcc_lo
	buffer_store_dword v1, off, s[0:3], s32 offset:712 ; 4-byte Folded Spill
	s_clause 0x2
	buffer_load_dword v1, off, s[0:3], s32 offset:860
	buffer_load_dword v2, off, s[0:3], s32 offset:1704
	;; [unrolled: 1-line block ×3, first 2 shown]
	s_waitcnt vmcnt(2)
	v_lshlrev_b32_e32 v1, 3, v1
	s_waitcnt vmcnt(0)
	v_add_co_u32 v2, vcc_lo, v2, v3
	s_clause 0x1
	buffer_load_dword v3, off, s[0:3], s32 offset:1700
	buffer_load_dword v4, off, s[0:3], s32 offset:1716
	buffer_store_dword v5, off, s[0:3], s32 offset:616 ; 4-byte Folded Spill
	v_mov_b32_e32 v5, 0
	buffer_store_dword v6, off, s[0:3], s32 offset:656 ; 4-byte Folded Spill
	buffer_store_dword v5, off, s[0:3], s32 offset:620 ; 4-byte Folded Spill
	v_mov_b32_e32 v5, 0
	buffer_store_dword v5, off, s[0:3], s32 offset:624 ; 4-byte Folded Spill
	v_mov_b32_e32 v5, 0
	;; [unrolled: 2-line block ×8, first 2 shown]
	buffer_store_dword v5, off, s[0:3], s32 offset:652 ; 4-byte Folded Spill
	v_and_b32_e32 v5, 0xf8, v1
	v_and_b32_e32 v1, 24, v1
	buffer_store_dword v1, off, s[0:3], s32 offset:720 ; 4-byte Folded Spill
	s_waitcnt vmcnt(0)
	v_add_co_ci_u32_e64 v3, null, v3, v4, vcc_lo
	buffer_load_dword v4, off, s[0:3], s32 offset:1736 ; 4-byte Folded Reload
	v_add_co_u32 v1, vcc_lo, v2, v5
	v_add_co_ci_u32_e64 v2, null, 0, v3, vcc_lo
	s_waitcnt vmcnt(0)
	v_add_nc_u32_e32 v4, -1, v4
	buffer_store_dword v4, off, s[0:3], s32 offset:716 ; 4-byte Folded Spill
	v_mov_b32_e32 v4, 0
	buffer_store_dword v4, off, s[0:3], s32 offset:612 ; 4-byte Folded Spill
	v_sub_nc_u32_e32 v4, 0, v30
	buffer_store_dword v1, off, s[0:3], s32 offset:724 ; 4-byte Folded Spill
	buffer_store_dword v2, off, s[0:3], s32 offset:728 ; 4-byte Folded Spill
	v_mul_lo_u32 v4, v4, v0
	v_mul_hi_u32 v4, v0, v4
	v_add_nc_u32_e32 v0, v0, v4
	buffer_store_dword v0, off, s[0:3], s32 offset:704 ; 4-byte Folded Spill
	v_mov_b32_e32 v0, 0
	buffer_store_dword v0, off, s[0:3], s32 offset:660 ; 4-byte Folded Spill
	v_mov_b32_e32 v0, 0
	;; [unrolled: 2-line block ×11, first 2 shown]
	buffer_store_dword v0, off, s[0:3], s32 offset:700 ; 4-byte Folded Spill
	s_clause 0x1
	buffer_load_dword v0, off, s[0:3], s32 offset:1692
	buffer_load_dword v1, off, s[0:3], s32 offset:1696
	s_branch .LBB382_1574
.LBB382_1572:                           ;   in Loop: Header=BB382_1574 Depth=1
	s_or_b32 exec_lo, exec_lo, s4
	v_bfe_u32 v17, v6, 16, 1
	v_or_b32_e32 v49, 0x400000, v6
	v_cmp_u_f32_e32 vcc_lo, v6, v6
	v_lshlrev_b32_e32 v50, 16, v50
	v_lshlrev_b32_e32 v36, 16, v36
	v_add3_u32 v17, v17, v6, 0x7fff
	v_lshlrev_b32_e32 v48, 16, v48
	v_lshlrev_b32_e32 v29, 16, v29
	;; [unrolled: 1-line block ×4, first 2 shown]
	v_cndmask_b32_e32 v6, v17, v49, vcc_lo
	v_bfe_u32 v17, v7, 16, 1
	v_or_b32_e32 v49, 0x400000, v7
	v_cmp_u_f32_e32 vcc_lo, v7, v7
	v_lshlrev_b32_e32 v32, 16, v32
	v_lshlrev_b32_e32 v13, 16, v13
	v_add3_u32 v17, v17, v7, 0x7fff
	v_lshlrev_b32_e32 v5, 16, v5
	v_lshlrev_b32_e32 v4, 16, v4
	v_cndmask_b32_e32 v7, v17, v49, vcc_lo
	v_bfe_u32 v17, v8, 16, 1
	v_or_b32_e32 v49, 0x400000, v8
	v_cmp_u_f32_e32 vcc_lo, v8, v8
	v_add3_u32 v17, v17, v8, 0x7fff
	v_bfe_u32 v8, v9, 16, 1
	v_cndmask_b32_e32 v17, v17, v49, vcc_lo
	v_add3_u32 v8, v8, v9, 0x7fff
	v_or_b32_e32 v49, 0x400000, v9
	v_cmp_u_f32_e32 vcc_lo, v9, v9
	v_or_b32_e32 v9, 0x400000, v0
	v_cndmask_b32_e32 v49, v8, v49, vcc_lo
	v_bfe_u32 v8, v0, 16, 1
	v_cmp_u_f32_e32 vcc_lo, v0, v0
	v_add3_u32 v8, v8, v0, 0x7fff
	v_cndmask_b32_e32 v0, v8, v9, vcc_lo
	v_bfe_u32 v8, v1, 16, 1
	v_or_b32_e32 v9, 0x400000, v1
	v_cmp_u_f32_e32 vcc_lo, v1, v1
	v_add3_u32 v8, v8, v1, 0x7fff
	v_cndmask_b32_e32 v1, v8, v9, vcc_lo
	v_bfe_u32 v8, v2, 16, 1
	v_or_b32_e32 v9, 0x400000, v2
	v_cmp_u_f32_e32 vcc_lo, v2, v2
	v_and_b32_e32 v1, 0xffff0000, v1
	v_add3_u32 v8, v8, v2, 0x7fff
	v_mul_f32_e32 v36, v1, v36
	v_cndmask_b32_e32 v2, v8, v9, vcc_lo
	v_bfe_u32 v8, v3, 16, 1
	v_or_b32_e32 v9, 0x400000, v3
	v_cmp_u_f32_e32 vcc_lo, v3, v3
	v_and_b32_e32 v2, 0xffff0000, v2
	v_add3_u32 v8, v8, v3, 0x7fff
	v_lshlrev_b32_e32 v3, 16, v99
	v_mul_f32_e32 v50, v2, v50
	v_cndmask_b32_e32 v51, v8, v9, vcc_lo
	v_and_b32_e32 v8, 0xffff0000, v7
	v_mul_f32_e32 v32, v2, v32
	v_mul_f32_e32 v3, v8, v3
	;; [unrolled: 1-line block ×3, first 2 shown]
	v_bfe_u32 v7, v3, 16, 1
	v_or_b32_e32 v9, 0x400000, v3
	v_cmp_u_f32_e32 vcc_lo, v3, v3
	v_add3_u32 v7, v7, v3, 0x7fff
	v_lshlrev_b32_e32 v3, 16, v101
	v_cndmask_b32_e32 v52, v7, v9, vcc_lo
	v_and_b32_e32 v9, 0xffff0000, v6
	v_and_b32_e32 v52, 0xffff0000, v52
	v_mul_f32_e32 v3, v9, v3
	v_mul_f32_e32 v4, v9, v4
	v_bfe_u32 v6, v3, 16, 1
	v_or_b32_e32 v7, 0x400000, v3
	v_cmp_u_f32_e32 vcc_lo, v3, v3
	v_add3_u32 v6, v6, v3, 0x7fff
	v_and_b32_e32 v3, 0xffff0000, v49
	v_cndmask_b32_e32 v99, v6, v7, vcc_lo
	v_lshlrev_b32_e32 v6, 16, v16
	v_mul_f32_e32 v29, v3, v29
	v_mul_f32_e32 v6, v3, v6
	v_bfe_u32 v7, v6, 16, 1
	v_or_b32_e32 v16, 0x400000, v6
	v_cmp_u_f32_e32 vcc_lo, v6, v6
	v_add3_u32 v7, v7, v6, 0x7fff
	v_lshlrev_b32_e32 v6, 16, v53
	v_cndmask_b32_e32 v16, v7, v16, vcc_lo
	v_and_b32_e32 v7, 0xffff0000, v17
	v_and_b32_e32 v16, 0xffff0000, v16
	v_mul_f32_e32 v6, v7, v6
	v_mul_f32_e32 v31, v7, v31
	v_bfe_u32 v17, v6, 16, 1
	v_or_b32_e32 v49, 0x400000, v6
	v_cmp_u_f32_e32 vcc_lo, v6, v6
	v_add3_u32 v17, v17, v6, 0x7fff
	v_lshlrev_b32_e32 v6, 16, v85
	v_cndmask_b32_e32 v17, v17, v49, vcc_lo
	v_mul_f32_e32 v6, v1, v6
	v_and_b32_e32 v17, 0xffff0000, v17
	v_bfe_u32 v49, v6, 16, 1
	v_or_b32_e32 v53, 0x400000, v6
	v_cmp_u_f32_e32 vcc_lo, v6, v6
	v_add_f32_e32 v16, v17, v16
	v_add3_u32 v49, v49, v6, 0x7fff
	v_and_b32_e32 v6, 0xffff0000, v0
	v_lshlrev_b32_e32 v0, 16, v86
	v_cndmask_b32_e32 v49, v49, v53, vcc_lo
	v_mul_f32_e32 v48, v6, v48
	v_mul_f32_e32 v0, v6, v0
	;; [unrolled: 1-line block ×3, first 2 shown]
	v_and_b32_e32 v49, 0xffff0000, v49
	v_bfe_u32 v53, v0, 16, 1
	v_or_b32_e32 v85, 0x400000, v0
	v_cmp_u_f32_e32 vcc_lo, v0, v0
	v_add3_u32 v53, v53, v0, 0x7fff
	v_and_b32_e32 v0, 0xffff0000, v51
	v_lshlrev_b32_e32 v51, 16, v102
	v_cndmask_b32_e32 v53, v53, v85, vcc_lo
	v_mul_f32_e32 v13, v0, v13
	v_mul_f32_e32 v51, v0, v51
	v_and_b32_e32 v17, 0xffff0000, v53
	v_bfe_u32 v85, v51, 16, 1
	v_or_b32_e32 v86, 0x400000, v51
	v_cmp_u_f32_e32 vcc_lo, v51, v51
	v_add_f32_e32 v17, v17, v49
	v_add3_u32 v85, v85, v51, 0x7fff
	v_cndmask_b32_e32 v51, v85, v86, vcc_lo
	v_bfe_u32 v85, v50, 16, 1
	v_or_b32_e32 v86, 0x400000, v50
	v_cmp_u_f32_e32 vcc_lo, v50, v50
	v_and_b32_e32 v49, 0xffff0000, v51
	v_add3_u32 v85, v85, v50, 0x7fff
	v_cndmask_b32_e32 v50, v85, v86, vcc_lo
	v_and_b32_e32 v85, 0xffff0000, v99
	v_add_f32_e32 v52, v85, v52
	v_add_f32_e32 v16, v52, v16
	;; [unrolled: 1-line block ×3, first 2 shown]
	v_and_b32_e32 v17, 0xffff0000, v50
	v_add_f32_e32 v17, v17, v49
	v_add_f32_e32 v16, v16, v17
	buffer_load_dword v17, off, s[0:3], s32 offset:612 ; 4-byte Folded Reload
	s_waitcnt vmcnt(0)
	v_add_f32_e32 v17, v17, v16
	v_lshlrev_b32_e32 v16, 16, v93
	buffer_store_dword v17, off, s[0:3], s32 offset:612 ; 4-byte Folded Spill
	v_mul_f32_e32 v16, v8, v16
	v_bfe_u32 v17, v16, 16, 1
	v_or_b32_e32 v49, 0x400000, v16
	v_cmp_u_f32_e32 vcc_lo, v16, v16
	v_add3_u32 v17, v17, v16, 0x7fff
	v_cndmask_b32_e32 v16, v17, v49, vcc_lo
	v_lshlrev_b32_e32 v17, 16, v83
	v_and_b32_e32 v16, 0xffff0000, v16
	v_mul_f32_e32 v17, v9, v17
	v_bfe_u32 v49, v17, 16, 1
	v_or_b32_e32 v50, 0x400000, v17
	v_cmp_u_f32_e32 vcc_lo, v17, v17
	v_add3_u32 v49, v49, v17, 0x7fff
	v_cndmask_b32_e32 v17, v49, v50, vcc_lo
	v_lshlrev_b32_e32 v49, 16, v71
	v_and_b32_e32 v17, 0xffff0000, v17
	v_mul_f32_e32 v49, v3, v49
	v_add_f32_e32 v16, v17, v16
	v_bfe_u32 v50, v49, 16, 1
	v_or_b32_e32 v51, 0x400000, v49
	v_cmp_u_f32_e32 vcc_lo, v49, v49
	v_add3_u32 v50, v50, v49, 0x7fff
	v_cndmask_b32_e32 v49, v50, v51, vcc_lo
	v_lshlrev_b32_e32 v50, 16, v91
	v_and_b32_e32 v49, 0xffff0000, v49
	v_mul_f32_e32 v50, v7, v50
	v_bfe_u32 v51, v50, 16, 1
	v_or_b32_e32 v52, 0x400000, v50
	v_cmp_u_f32_e32 vcc_lo, v50, v50
	v_add3_u32 v51, v51, v50, 0x7fff
	v_cndmask_b32_e32 v50, v51, v52, vcc_lo
	v_lshlrev_b32_e32 v51, 16, v82
	v_and_b32_e32 v17, 0xffff0000, v50
	v_mul_f32_e32 v51, v1, v51
	v_add_f32_e32 v17, v17, v49
	v_bfe_u32 v52, v51, 16, 1
	v_or_b32_e32 v53, 0x400000, v51
	v_cmp_u_f32_e32 vcc_lo, v51, v51
	v_add_f32_e32 v16, v16, v17
	v_add3_u32 v52, v52, v51, 0x7fff
	v_cndmask_b32_e32 v51, v52, v53, vcc_lo
	v_lshlrev_b32_e32 v52, 16, v70
	v_and_b32_e32 v49, 0xffff0000, v51
	v_mul_f32_e32 v52, v6, v52
	v_bfe_u32 v53, v52, 16, 1
	v_or_b32_e32 v70, 0x400000, v52
	v_cmp_u_f32_e32 vcc_lo, v52, v52
	v_add3_u32 v53, v53, v52, 0x7fff
	v_cndmask_b32_e32 v52, v53, v70, vcc_lo
	v_lshlrev_b32_e32 v53, 16, v84
	v_and_b32_e32 v17, 0xffff0000, v52
	v_mul_f32_e32 v53, v0, v53
	v_add_f32_e32 v17, v17, v49
	v_bfe_u32 v70, v53, 16, 1
	v_or_b32_e32 v71, 0x400000, v53
	v_cmp_u_f32_e32 vcc_lo, v53, v53
	v_add_f32_e32 v16, v16, v17
	v_add3_u32 v70, v70, v53, 0x7fff
	v_cndmask_b32_e32 v53, v70, v71, vcc_lo
	v_lshlrev_b32_e32 v70, 16, v81
	v_and_b32_e32 v49, 0xffff0000, v53
	v_mul_f32_e32 v70, v2, v70
	v_bfe_u32 v71, v70, 16, 1
	v_or_b32_e32 v81, 0x400000, v70
	v_cmp_u_f32_e32 vcc_lo, v70, v70
	v_add3_u32 v71, v71, v70, 0x7fff
	v_cndmask_b32_e32 v70, v71, v81, vcc_lo
	v_and_b32_e32 v17, 0xffff0000, v70
	v_add_f32_e32 v17, v17, v49
	v_add_f32_e32 v16, v16, v17
	buffer_load_dword v17, off, s[0:3], s32 offset:616 ; 4-byte Folded Reload
	s_waitcnt vmcnt(0)
	v_add_f32_e32 v17, v17, v16
	v_lshlrev_b32_e32 v16, 16, v69
	buffer_store_dword v17, off, s[0:3], s32 offset:616 ; 4-byte Folded Spill
	v_mul_f32_e32 v16, v8, v16
	v_bfe_u32 v17, v16, 16, 1
	v_or_b32_e32 v49, 0x400000, v16
	v_cmp_u_f32_e32 vcc_lo, v16, v16
	v_add3_u32 v17, v17, v16, 0x7fff
	v_cndmask_b32_e32 v16, v17, v49, vcc_lo
	v_lshlrev_b32_e32 v17, 16, v54
	v_and_b32_e32 v16, 0xffff0000, v16
	v_mul_f32_e32 v17, v9, v17
	v_bfe_u32 v49, v17, 16, 1
	v_or_b32_e32 v50, 0x400000, v17
	v_cmp_u_f32_e32 vcc_lo, v17, v17
	v_add3_u32 v49, v49, v17, 0x7fff
	v_cndmask_b32_e32 v17, v49, v50, vcc_lo
	v_lshlrev_b32_e32 v49, 16, v64
	v_and_b32_e32 v17, 0xffff0000, v17
	v_mul_f32_e32 v49, v3, v49
	v_add_f32_e32 v16, v17, v16
	v_bfe_u32 v50, v49, 16, 1
	v_or_b32_e32 v51, 0x400000, v49
	v_cmp_u_f32_e32 vcc_lo, v49, v49
	v_add3_u32 v50, v50, v49, 0x7fff
	v_cndmask_b32_e32 v49, v50, v51, vcc_lo
	v_lshlrev_b32_e32 v50, 16, v65
	v_and_b32_e32 v49, 0xffff0000, v49
	v_mul_f32_e32 v50, v7, v50
	v_bfe_u32 v51, v50, 16, 1
	v_or_b32_e32 v52, 0x400000, v50
	v_cmp_u_f32_e32 vcc_lo, v50, v50
	v_add3_u32 v51, v51, v50, 0x7fff
	v_cndmask_b32_e32 v50, v51, v52, vcc_lo
	v_bfe_u32 v51, v36, 16, 1
	v_or_b32_e32 v52, 0x400000, v36
	v_cmp_u_f32_e32 vcc_lo, v36, v36
	v_and_b32_e32 v17, 0xffff0000, v50
	v_add3_u32 v51, v51, v36, 0x7fff
	v_add_f32_e32 v17, v17, v49
	v_cndmask_b32_e32 v36, v51, v52, vcc_lo
	v_bfe_u32 v51, v48, 16, 1
	v_or_b32_e32 v52, 0x400000, v48
	v_cmp_u_f32_e32 vcc_lo, v48, v48
	v_add_f32_e32 v16, v16, v17
	v_and_b32_e32 v36, 0xffff0000, v36
	v_add3_u32 v51, v51, v48, 0x7fff
	v_cndmask_b32_e32 v48, v51, v52, vcc_lo
	v_lshlrev_b32_e32 v51, 16, v68
	v_and_b32_e32 v17, 0xffff0000, v48
	v_mul_f32_e32 v51, v0, v51
	v_add_f32_e32 v17, v17, v36
	v_bfe_u32 v52, v51, 16, 1
	v_or_b32_e32 v53, 0x400000, v51
	v_cmp_u_f32_e32 vcc_lo, v51, v51
	v_add_f32_e32 v16, v16, v17
	v_add3_u32 v52, v52, v51, 0x7fff
	v_cndmask_b32_e32 v51, v52, v53, vcc_lo
	v_lshlrev_b32_e32 v52, 16, v66
	v_and_b32_e32 v36, 0xffff0000, v51
	v_mul_f32_e32 v52, v2, v52
	v_bfe_u32 v53, v52, 16, 1
	v_or_b32_e32 v54, 0x400000, v52
	v_cmp_u_f32_e32 vcc_lo, v52, v52
	v_add3_u32 v53, v53, v52, 0x7fff
	v_cndmask_b32_e32 v52, v53, v54, vcc_lo
	v_and_b32_e32 v17, 0xffff0000, v52
	v_add_f32_e32 v17, v17, v36
	v_add_f32_e32 v16, v16, v17
	buffer_load_dword v17, off, s[0:3], s32 offset:620 ; 4-byte Folded Reload
	s_waitcnt vmcnt(0)
	v_add_f32_e32 v17, v17, v16
	v_lshlrev_b32_e32 v16, 16, v33
	buffer_store_dword v17, off, s[0:3], s32 offset:620 ; 4-byte Folded Spill
	v_mul_f32_e32 v16, v8, v16
	v_bfe_u32 v17, v16, 16, 1
	v_or_b32_e32 v33, 0x400000, v16
	v_cmp_u_f32_e32 vcc_lo, v16, v16
	v_add3_u32 v17, v17, v16, 0x7fff
	v_cndmask_b32_e32 v16, v17, v33, vcc_lo
	v_lshlrev_b32_e32 v17, 16, v34
	v_and_b32_e32 v16, 0xffff0000, v16
	v_mul_f32_e32 v17, v9, v17
	v_bfe_u32 v33, v17, 16, 1
	v_or_b32_e32 v34, 0x400000, v17
	v_cmp_u_f32_e32 vcc_lo, v17, v17
	v_add3_u32 v33, v33, v17, 0x7fff
	v_cndmask_b32_e32 v17, v33, v34, vcc_lo
	v_bfe_u32 v33, v29, 16, 1
	v_or_b32_e32 v34, 0x400000, v29
	v_cmp_u_f32_e32 vcc_lo, v29, v29
	v_and_b32_e32 v17, 0xffff0000, v17
	v_add3_u32 v33, v33, v29, 0x7fff
	v_add_f32_e32 v16, v17, v16
	v_cndmask_b32_e32 v29, v33, v34, vcc_lo
	v_bfe_u32 v33, v31, 16, 1
	v_or_b32_e32 v34, 0x400000, v31
	v_cmp_u_f32_e32 vcc_lo, v31, v31
	v_and_b32_e32 v29, 0xffff0000, v29
	v_add3_u32 v33, v33, v31, 0x7fff
	v_cndmask_b32_e32 v31, v33, v34, vcc_lo
	v_lshlrev_b32_e32 v33, 16, v112
	v_and_b32_e32 v17, 0xffff0000, v31
	v_mul_f32_e32 v33, v1, v33
	v_add_f32_e32 v17, v17, v29
	v_bfe_u32 v34, v33, 16, 1
	v_or_b32_e32 v36, 0x400000, v33
	v_cmp_u_f32_e32 vcc_lo, v33, v33
	v_add_f32_e32 v16, v16, v17
	v_add3_u32 v34, v34, v33, 0x7fff
	v_cndmask_b32_e32 v33, v34, v36, vcc_lo
	v_bfe_u32 v34, v22, 16, 1
	v_or_b32_e32 v36, 0x400000, v22
	v_cmp_u_f32_e32 vcc_lo, v22, v22
	v_add3_u32 v34, v34, v22, 0x7fff
	v_cndmask_b32_e32 v22, v34, v36, vcc_lo
	v_lshlrev_b32_e32 v34, 16, v35
	v_and_b32_e32 v17, 0xffff0000, v22
	v_mul_f32_e32 v34, v0, v34
	v_and_b32_e32 v22, 0xffff0000, v33
	v_bfe_u32 v35, v34, 16, 1
	v_or_b32_e32 v36, 0x400000, v34
	v_cmp_u_f32_e32 vcc_lo, v34, v34
	v_add_f32_e32 v17, v17, v22
	v_add3_u32 v35, v35, v34, 0x7fff
	v_add_f32_e32 v16, v16, v17
	v_cndmask_b32_e32 v34, v35, v36, vcc_lo
	v_bfe_u32 v35, v32, 16, 1
	v_or_b32_e32 v36, 0x400000, v32
	v_cmp_u_f32_e32 vcc_lo, v32, v32
	v_and_b32_e32 v22, 0xffff0000, v34
	v_add3_u32 v35, v35, v32, 0x7fff
	v_cndmask_b32_e32 v32, v35, v36, vcc_lo
	v_and_b32_e32 v17, 0xffff0000, v32
	v_add_f32_e32 v17, v17, v22
	v_add_f32_e32 v16, v16, v17
	buffer_load_dword v17, off, s[0:3], s32 offset:624 ; 4-byte Folded Reload
	s_waitcnt vmcnt(0)
	v_add_f32_e32 v17, v17, v16
	v_lshlrev_b32_e32 v16, 16, v27
	buffer_store_dword v17, off, s[0:3], s32 offset:624 ; 4-byte Folded Spill
	v_mul_f32_e32 v16, v8, v16
	v_bfe_u32 v17, v16, 16, 1
	v_or_b32_e32 v22, 0x400000, v16
	v_cmp_u_f32_e32 vcc_lo, v16, v16
	v_add3_u32 v17, v17, v16, 0x7fff
	v_cndmask_b32_e32 v16, v17, v22, vcc_lo
	v_lshlrev_b32_e32 v17, 16, v26
	v_and_b32_e32 v16, 0xffff0000, v16
	v_mul_f32_e32 v17, v9, v17
	v_bfe_u32 v22, v17, 16, 1
	v_or_b32_e32 v26, 0x400000, v17
	v_cmp_u_f32_e32 vcc_lo, v17, v17
	v_add3_u32 v22, v22, v17, 0x7fff
	v_cndmask_b32_e32 v17, v22, v26, vcc_lo
	v_lshlrev_b32_e32 v22, 16, v97
	v_and_b32_e32 v17, 0xffff0000, v17
	v_mul_f32_e32 v22, v3, v22
	v_add_f32_e32 v16, v17, v16
	v_bfe_u32 v26, v22, 16, 1
	v_or_b32_e32 v27, 0x400000, v22
	v_cmp_u_f32_e32 vcc_lo, v22, v22
	v_add3_u32 v26, v26, v22, 0x7fff
	v_cndmask_b32_e32 v22, v26, v27, vcc_lo
	v_lshlrev_b32_e32 v26, 16, v103
	v_and_b32_e32 v22, 0xffff0000, v22
	v_mul_f32_e32 v26, v7, v26
	v_bfe_u32 v27, v26, 16, 1
	v_or_b32_e32 v29, 0x400000, v26
	v_cmp_u_f32_e32 vcc_lo, v26, v26
	v_add3_u32 v27, v27, v26, 0x7fff
	v_cndmask_b32_e32 v26, v27, v29, vcc_lo
	v_lshlrev_b32_e32 v27, 16, v67
	v_and_b32_e32 v17, 0xffff0000, v26
	v_mul_f32_e32 v27, v1, v27
	v_add_f32_e32 v17, v17, v22
	v_bfe_u32 v29, v27, 16, 1
	v_or_b32_e32 v31, 0x400000, v27
	v_cmp_u_f32_e32 vcc_lo, v27, v27
	v_add_f32_e32 v16, v16, v17
	v_add3_u32 v29, v29, v27, 0x7fff
	v_cndmask_b32_e32 v27, v29, v31, vcc_lo
	v_lshlrev_b32_e32 v29, 16, v96
	v_and_b32_e32 v22, 0xffff0000, v27
	v_mul_f32_e32 v29, v6, v29
	v_bfe_u32 v31, v29, 16, 1
	v_or_b32_e32 v32, 0x400000, v29
	v_cmp_u_f32_e32 vcc_lo, v29, v29
	v_add3_u32 v31, v31, v29, 0x7fff
	v_cndmask_b32_e32 v29, v31, v32, vcc_lo
	v_bfe_u32 v31, v13, 16, 1
	v_or_b32_e32 v32, 0x400000, v13
	v_cmp_u_f32_e32 vcc_lo, v13, v13
	v_and_b32_e32 v17, 0xffff0000, v29
	v_add3_u32 v31, v31, v13, 0x7fff
	v_add_f32_e32 v17, v17, v22
	v_cndmask_b32_e32 v13, v31, v32, vcc_lo
	v_lshlrev_b32_e32 v31, 16, v37
	v_add_f32_e32 v16, v16, v17
	v_and_b32_e32 v13, 0xffff0000, v13
	v_mul_f32_e32 v31, v2, v31
	v_bfe_u32 v32, v31, 16, 1
	v_or_b32_e32 v33, 0x400000, v31
	v_cmp_u_f32_e32 vcc_lo, v31, v31
	v_add3_u32 v32, v32, v31, 0x7fff
	v_cndmask_b32_e32 v31, v32, v33, vcc_lo
	v_cmp_u_f32_e32 vcc_lo, v5, v5
	v_and_b32_e32 v17, 0xffff0000, v31
	v_add_f32_e32 v13, v17, v13
	v_add_f32_e32 v13, v16, v13
	buffer_load_dword v16, off, s[0:3], s32 offset:628 ; 4-byte Folded Reload
	s_waitcnt vmcnt(0)
	v_add_f32_e32 v16, v16, v13
	v_bfe_u32 v13, v5, 16, 1
	buffer_store_dword v16, off, s[0:3], s32 offset:628 ; 4-byte Folded Spill
	v_add3_u32 v13, v13, v5, 0x7fff
	v_or_b32_e32 v16, 0x400000, v5
	v_cndmask_b32_e32 v5, v13, v16, vcc_lo
	v_bfe_u32 v13, v4, 16, 1
	v_or_b32_e32 v16, 0x400000, v4
	v_cmp_u_f32_e32 vcc_lo, v4, v4
	v_and_b32_e32 v5, 0xffff0000, v5
	v_add3_u32 v13, v13, v4, 0x7fff
	v_cndmask_b32_e32 v4, v13, v16, vcc_lo
	v_lshlrev_b32_e32 v13, 16, v111
	v_and_b32_e32 v4, 0xffff0000, v4
	v_mul_f32_e32 v13, v3, v13
	v_add_f32_e32 v4, v4, v5
	v_bfe_u32 v16, v13, 16, 1
	v_or_b32_e32 v17, 0x400000, v13
	v_cmp_u_f32_e32 vcc_lo, v13, v13
	v_add3_u32 v16, v16, v13, 0x7fff
	v_cndmask_b32_e32 v13, v16, v17, vcc_lo
	v_lshlrev_b32_e32 v16, 16, v127
	v_and_b32_e32 v13, 0xffff0000, v13
	v_mul_f32_e32 v16, v7, v16
	v_bfe_u32 v17, v16, 16, 1
	v_or_b32_e32 v22, 0x400000, v16
	v_cmp_u_f32_e32 vcc_lo, v16, v16
	v_add3_u32 v17, v17, v16, 0x7fff
	v_cndmask_b32_e32 v16, v17, v22, vcc_lo
	v_lshlrev_b32_e32 v17, 16, v109
	v_and_b32_e32 v5, 0xffff0000, v16
	v_mul_f32_e32 v17, v1, v17
	v_add_f32_e32 v5, v5, v13
	v_bfe_u32 v22, v17, 16, 1
	v_or_b32_e32 v26, 0x400000, v17
	v_cmp_u_f32_e32 vcc_lo, v17, v17
	v_add_f32_e32 v4, v4, v5
	v_add3_u32 v22, v22, v17, 0x7fff
	v_cndmask_b32_e32 v17, v22, v26, vcc_lo
	v_lshlrev_b32_e32 v22, 16, v110
	v_and_b32_e32 v13, 0xffff0000, v17
	v_mul_f32_e32 v22, v6, v22
	v_bfe_u32 v26, v22, 16, 1
	v_or_b32_e32 v27, 0x400000, v22
	v_cmp_u_f32_e32 vcc_lo, v22, v22
	v_add3_u32 v26, v26, v22, 0x7fff
	v_cndmask_b32_e32 v22, v26, v27, vcc_lo
	v_lshlrev_b32_e32 v26, 16, v55
	v_and_b32_e32 v5, 0xffff0000, v22
	v_mul_f32_e32 v26, v0, v26
	v_add_f32_e32 v5, v5, v13
	v_bfe_u32 v27, v26, 16, 1
	v_or_b32_e32 v29, 0x400000, v26
	v_cmp_u_f32_e32 vcc_lo, v26, v26
	v_add_f32_e32 v4, v4, v5
	v_add3_u32 v27, v27, v26, 0x7fff
	v_cndmask_b32_e32 v26, v27, v29, vcc_lo
	v_lshlrev_b32_e32 v27, 16, v39
	v_and_b32_e32 v13, 0xffff0000, v26
	v_mul_f32_e32 v27, v2, v27
	v_bfe_u32 v29, v27, 16, 1
	v_or_b32_e32 v31, 0x400000, v27
	v_cmp_u_f32_e32 vcc_lo, v27, v27
	v_add3_u32 v29, v29, v27, 0x7fff
	v_cndmask_b32_e32 v27, v29, v31, vcc_lo
	v_and_b32_e32 v5, 0xffff0000, v27
	v_add_f32_e32 v5, v5, v13
	v_add_f32_e32 v4, v4, v5
	buffer_load_dword v5, off, s[0:3], s32 offset:632 ; 4-byte Folded Reload
	s_waitcnt vmcnt(0)
	v_add_f32_e32 v5, v5, v4
	v_lshlrev_b32_e32 v4, 16, v104
	buffer_store_dword v5, off, s[0:3], s32 offset:632 ; 4-byte Folded Spill
	v_mul_f32_e32 v4, v8, v4
	v_bfe_u32 v5, v4, 16, 1
	v_or_b32_e32 v13, 0x400000, v4
	v_cmp_u_f32_e32 vcc_lo, v4, v4
	v_add3_u32 v5, v5, v4, 0x7fff
	v_cndmask_b32_e32 v4, v5, v13, vcc_lo
	v_lshlrev_b32_e32 v5, 16, v107
	v_and_b32_e32 v4, 0xffff0000, v4
	v_mul_f32_e32 v5, v9, v5
	v_bfe_u32 v13, v5, 16, 1
	v_or_b32_e32 v16, 0x400000, v5
	v_cmp_u_f32_e32 vcc_lo, v5, v5
	v_add3_u32 v13, v13, v5, 0x7fff
	v_cndmask_b32_e32 v5, v13, v16, vcc_lo
	v_lshlrev_b32_e32 v13, 16, v80
	v_and_b32_e32 v5, 0xffff0000, v5
	v_mul_f32_e32 v13, v3, v13
	v_add_f32_e32 v4, v5, v4
	v_bfe_u32 v16, v13, 16, 1
	v_or_b32_e32 v17, 0x400000, v13
	v_cmp_u_f32_e32 vcc_lo, v13, v13
	v_add3_u32 v16, v16, v13, 0x7fff
	v_cndmask_b32_e32 v13, v16, v17, vcc_lo
	v_lshlrev_b32_e32 v16, 16, v94
	v_and_b32_e32 v13, 0xffff0000, v13
	v_mul_f32_e32 v16, v7, v16
	v_bfe_u32 v17, v16, 16, 1
	v_or_b32_e32 v22, 0x400000, v16
	v_cmp_u_f32_e32 vcc_lo, v16, v16
	v_add3_u32 v17, v17, v16, 0x7fff
	v_cndmask_b32_e32 v16, v17, v22, vcc_lo
	v_lshlrev_b32_e32 v17, 16, v38
	v_and_b32_e32 v5, 0xffff0000, v16
	v_mul_f32_e32 v17, v1, v17
	v_add_f32_e32 v5, v5, v13
	v_bfe_u32 v22, v17, 16, 1
	v_or_b32_e32 v26, 0x400000, v17
	v_cmp_u_f32_e32 vcc_lo, v17, v17
	v_add_f32_e32 v4, v4, v5
	v_add3_u32 v22, v22, v17, 0x7fff
	v_cndmask_b32_e32 v17, v22, v26, vcc_lo
	v_lshlrev_b32_e32 v22, 16, v87
	v_and_b32_e32 v13, 0xffff0000, v17
	v_mul_f32_e32 v22, v6, v22
	v_bfe_u32 v26, v22, 16, 1
	v_or_b32_e32 v27, 0x400000, v22
	v_cmp_u_f32_e32 vcc_lo, v22, v22
	v_add3_u32 v26, v26, v22, 0x7fff
	v_cndmask_b32_e32 v22, v26, v27, vcc_lo
	v_lshlrev_b32_e32 v26, 16, v108
	v_and_b32_e32 v5, 0xffff0000, v22
	v_mul_f32_e32 v26, v0, v26
	v_add_f32_e32 v5, v5, v13
	v_bfe_u32 v27, v26, 16, 1
	v_or_b32_e32 v29, 0x400000, v26
	v_cmp_u_f32_e32 vcc_lo, v26, v26
	v_add_f32_e32 v4, v4, v5
	v_add3_u32 v27, v27, v26, 0x7fff
	v_cndmask_b32_e32 v26, v27, v29, vcc_lo
	v_lshlrev_b32_e32 v27, 16, v95
	v_and_b32_e32 v13, 0xffff0000, v26
	v_mul_f32_e32 v27, v2, v27
	v_bfe_u32 v29, v27, 16, 1
	v_or_b32_e32 v31, 0x400000, v27
	v_cmp_u_f32_e32 vcc_lo, v27, v27
	v_add3_u32 v29, v29, v27, 0x7fff
	v_cndmask_b32_e32 v27, v29, v31, vcc_lo
	v_and_b32_e32 v5, 0xffff0000, v27
	v_add_f32_e32 v5, v5, v13
	v_add_f32_e32 v4, v4, v5
	buffer_load_dword v5, off, s[0:3], s32 offset:636 ; 4-byte Folded Reload
	s_waitcnt vmcnt(0)
	v_add_f32_e32 v5, v5, v4
	v_lshlrev_b32_e32 v4, 16, v88
	buffer_store_dword v5, off, s[0:3], s32 offset:636 ; 4-byte Folded Spill
	v_mul_f32_e32 v4, v8, v4
	v_bfe_u32 v5, v4, 16, 1
	v_or_b32_e32 v13, 0x400000, v4
	v_cmp_u_f32_e32 vcc_lo, v4, v4
	v_add3_u32 v5, v5, v4, 0x7fff
	v_cndmask_b32_e32 v4, v5, v13, vcc_lo
	v_lshlrev_b32_e32 v5, 16, v89
	v_and_b32_e32 v4, 0xffff0000, v4
	v_mul_f32_e32 v5, v9, v5
	v_bfe_u32 v13, v5, 16, 1
	v_or_b32_e32 v16, 0x400000, v5
	v_cmp_u_f32_e32 vcc_lo, v5, v5
	v_add3_u32 v13, v13, v5, 0x7fff
	v_cndmask_b32_e32 v5, v13, v16, vcc_lo
	v_lshlrev_b32_e32 v13, 16, v77
	v_and_b32_e32 v5, 0xffff0000, v5
	v_mul_f32_e32 v13, v3, v13
	v_add_f32_e32 v4, v5, v4
	v_bfe_u32 v16, v13, 16, 1
	v_or_b32_e32 v17, 0x400000, v13
	v_cmp_u_f32_e32 vcc_lo, v13, v13
	v_add3_u32 v16, v16, v13, 0x7fff
	v_cndmask_b32_e32 v13, v16, v17, vcc_lo
	v_lshlrev_b32_e32 v16, 16, v78
	v_and_b32_e32 v13, 0xffff0000, v13
	v_mul_f32_e32 v16, v7, v16
	v_bfe_u32 v17, v16, 16, 1
	v_or_b32_e32 v22, 0x400000, v16
	v_cmp_u_f32_e32 vcc_lo, v16, v16
	v_add3_u32 v17, v17, v16, 0x7fff
	v_cndmask_b32_e32 v16, v17, v22, vcc_lo
	v_lshlrev_b32_e32 v17, 16, v75
	v_and_b32_e32 v5, 0xffff0000, v16
	v_mul_f32_e32 v17, v1, v17
	v_add_f32_e32 v5, v5, v13
	v_bfe_u32 v22, v17, 16, 1
	v_or_b32_e32 v26, 0x400000, v17
	v_cmp_u_f32_e32 vcc_lo, v17, v17
	v_add_f32_e32 v4, v4, v5
	v_add3_u32 v22, v22, v17, 0x7fff
	v_cndmask_b32_e32 v17, v22, v26, vcc_lo
	v_lshlrev_b32_e32 v22, 16, v76
	v_and_b32_e32 v13, 0xffff0000, v17
	v_mul_f32_e32 v22, v6, v22
	v_bfe_u32 v26, v22, 16, 1
	v_or_b32_e32 v27, 0x400000, v22
	v_cmp_u_f32_e32 vcc_lo, v22, v22
	v_add3_u32 v26, v26, v22, 0x7fff
	v_cndmask_b32_e32 v22, v26, v27, vcc_lo
	v_lshlrev_b32_e32 v26, 16, v90
	v_and_b32_e32 v5, 0xffff0000, v22
	v_mul_f32_e32 v26, v0, v26
	v_add_f32_e32 v5, v5, v13
	v_bfe_u32 v27, v26, 16, 1
	v_or_b32_e32 v29, 0x400000, v26
	v_cmp_u_f32_e32 vcc_lo, v26, v26
	v_add_f32_e32 v4, v4, v5
	v_add3_u32 v27, v27, v26, 0x7fff
	v_cndmask_b32_e32 v26, v27, v29, vcc_lo
	v_lshlrev_b32_e32 v27, 16, v79
	v_and_b32_e32 v13, 0xffff0000, v26
	v_mul_f32_e32 v27, v2, v27
	v_bfe_u32 v29, v27, 16, 1
	v_or_b32_e32 v31, 0x400000, v27
	v_cmp_u_f32_e32 vcc_lo, v27, v27
	v_add3_u32 v29, v29, v27, 0x7fff
	v_cndmask_b32_e32 v27, v29, v31, vcc_lo
	v_and_b32_e32 v5, 0xffff0000, v27
	v_add_f32_e32 v5, v5, v13
	v_add_f32_e32 v4, v4, v5
	buffer_load_dword v5, off, s[0:3], s32 offset:640 ; 4-byte Folded Reload
	s_waitcnt vmcnt(0)
	v_add_f32_e32 v5, v5, v4
	v_lshlrev_b32_e32 v4, 16, v28
	buffer_store_dword v5, off, s[0:3], s32 offset:640 ; 4-byte Folded Spill
	v_mul_f32_e32 v4, v8, v4
	v_bfe_u32 v5, v4, 16, 1
	v_or_b32_e32 v13, 0x400000, v4
	v_cmp_u_f32_e32 vcc_lo, v4, v4
	v_add3_u32 v5, v5, v4, 0x7fff
	v_cndmask_b32_e32 v4, v5, v13, vcc_lo
	v_lshlrev_b32_e32 v5, 16, v73
	v_and_b32_e32 v4, 0xffff0000, v4
	v_mul_f32_e32 v5, v9, v5
	v_bfe_u32 v13, v5, 16, 1
	v_or_b32_e32 v16, 0x400000, v5
	v_cmp_u_f32_e32 vcc_lo, v5, v5
	v_add3_u32 v13, v13, v5, 0x7fff
	v_cndmask_b32_e32 v5, v13, v16, vcc_lo
	v_lshlrev_b32_e32 v13, 16, v63
	v_and_b32_e32 v5, 0xffff0000, v5
	v_mul_f32_e32 v13, v3, v13
	v_add_f32_e32 v4, v5, v4
	v_bfe_u32 v16, v13, 16, 1
	v_or_b32_e32 v17, 0x400000, v13
	v_cmp_u_f32_e32 vcc_lo, v13, v13
	v_add3_u32 v16, v16, v13, 0x7fff
	v_cndmask_b32_e32 v13, v16, v17, vcc_lo
	v_lshlrev_b32_e32 v16, 16, v72
	v_and_b32_e32 v13, 0xffff0000, v13
	v_mul_f32_e32 v16, v7, v16
	v_bfe_u32 v17, v16, 16, 1
	v_or_b32_e32 v22, 0x400000, v16
	v_cmp_u_f32_e32 vcc_lo, v16, v16
	v_add3_u32 v17, v17, v16, 0x7fff
	v_cndmask_b32_e32 v16, v17, v22, vcc_lo
	v_lshlrev_b32_e32 v17, 16, v23
	v_and_b32_e32 v5, 0xffff0000, v16
	v_mul_f32_e32 v17, v1, v17
	v_add_f32_e32 v5, v5, v13
	v_bfe_u32 v22, v17, 16, 1
	v_or_b32_e32 v23, 0x400000, v17
	v_cmp_u_f32_e32 vcc_lo, v17, v17
	v_add_f32_e32 v4, v4, v5
	v_add3_u32 v22, v22, v17, 0x7fff
	v_cndmask_b32_e32 v17, v22, v23, vcc_lo
	v_lshlrev_b32_e32 v22, 16, v24
	v_and_b32_e32 v13, 0xffff0000, v17
	v_mul_f32_e32 v22, v6, v22
	v_bfe_u32 v23, v22, 16, 1
	v_or_b32_e32 v24, 0x400000, v22
	v_cmp_u_f32_e32 vcc_lo, v22, v22
	v_add3_u32 v23, v23, v22, 0x7fff
	v_cndmask_b32_e32 v22, v23, v24, vcc_lo
	v_lshlrev_b32_e32 v23, 16, v74
	v_and_b32_e32 v5, 0xffff0000, v22
	v_mul_f32_e32 v23, v0, v23
	v_add_f32_e32 v5, v5, v13
	v_bfe_u32 v24, v23, 16, 1
	v_or_b32_e32 v26, 0x400000, v23
	v_cmp_u_f32_e32 vcc_lo, v23, v23
	v_add_f32_e32 v4, v4, v5
	v_add3_u32 v24, v24, v23, 0x7fff
	v_cndmask_b32_e32 v23, v24, v26, vcc_lo
	v_lshlrev_b32_e32 v24, 16, v25
	v_and_b32_e32 v13, 0xffff0000, v23
	v_mul_f32_e32 v24, v2, v24
	v_bfe_u32 v25, v24, 16, 1
	v_or_b32_e32 v26, 0x400000, v24
	v_cmp_u_f32_e32 vcc_lo, v24, v24
	v_add3_u32 v25, v25, v24, 0x7fff
	v_cndmask_b32_e32 v24, v25, v26, vcc_lo
	v_and_b32_e32 v5, 0xffff0000, v24
	v_add_f32_e32 v5, v5, v13
	v_add_f32_e32 v4, v4, v5
	buffer_load_dword v5, off, s[0:3], s32 offset:644 ; 4-byte Folded Reload
	s_waitcnt vmcnt(0)
	v_add_f32_e32 v5, v5, v4
	v_lshlrev_b32_e32 v4, 16, v60
	buffer_store_dword v5, off, s[0:3], s32 offset:644 ; 4-byte Folded Spill
	v_mul_f32_e32 v4, v8, v4
	v_bfe_u32 v5, v4, 16, 1
	v_or_b32_e32 v13, 0x400000, v4
	v_cmp_u_f32_e32 vcc_lo, v4, v4
	v_add3_u32 v5, v5, v4, 0x7fff
	v_cndmask_b32_e32 v4, v5, v13, vcc_lo
	v_lshlrev_b32_e32 v5, 16, v61
	v_and_b32_e32 v4, 0xffff0000, v4
	v_mul_f32_e32 v5, v9, v5
	v_bfe_u32 v13, v5, 16, 1
	v_or_b32_e32 v16, 0x400000, v5
	v_cmp_u_f32_e32 vcc_lo, v5, v5
	v_add3_u32 v13, v13, v5, 0x7fff
	v_cndmask_b32_e32 v5, v13, v16, vcc_lo
	v_lshlrev_b32_e32 v13, 16, v57
	v_and_b32_e32 v5, 0xffff0000, v5
	v_mul_f32_e32 v13, v3, v13
	v_add_f32_e32 v4, v5, v4
	v_bfe_u32 v16, v13, 16, 1
	v_or_b32_e32 v17, 0x400000, v13
	v_cmp_u_f32_e32 vcc_lo, v13, v13
	v_add3_u32 v16, v16, v13, 0x7fff
	v_cndmask_b32_e32 v13, v16, v17, vcc_lo
	v_lshlrev_b32_e32 v16, 16, v58
	v_and_b32_e32 v13, 0xffff0000, v13
	v_mul_f32_e32 v16, v7, v16
	v_bfe_u32 v17, v16, 16, 1
	v_or_b32_e32 v22, 0x400000, v16
	v_cmp_u_f32_e32 vcc_lo, v16, v16
	v_add3_u32 v17, v17, v16, 0x7fff
	v_cndmask_b32_e32 v16, v17, v22, vcc_lo
	v_lshlrev_b32_e32 v17, 16, v47
	v_and_b32_e32 v5, 0xffff0000, v16
	v_mul_f32_e32 v17, v1, v17
	v_add_f32_e32 v5, v5, v13
	v_bfe_u32 v22, v17, 16, 1
	v_or_b32_e32 v23, 0x400000, v17
	v_cmp_u_f32_e32 vcc_lo, v17, v17
	v_add_f32_e32 v4, v4, v5
	v_add3_u32 v22, v22, v17, 0x7fff
	v_cndmask_b32_e32 v17, v22, v23, vcc_lo
	v_lshlrev_b32_e32 v22, 16, v56
	v_and_b32_e32 v13, 0xffff0000, v17
	v_mul_f32_e32 v22, v6, v22
	v_bfe_u32 v23, v22, 16, 1
	v_or_b32_e32 v24, 0x400000, v22
	v_cmp_u_f32_e32 vcc_lo, v22, v22
	v_add3_u32 v23, v23, v22, 0x7fff
	v_cndmask_b32_e32 v22, v23, v24, vcc_lo
	v_lshlrev_b32_e32 v23, 16, v62
	v_and_b32_e32 v5, 0xffff0000, v22
	v_mul_f32_e32 v23, v0, v23
	v_add_f32_e32 v5, v5, v13
	v_bfe_u32 v24, v23, 16, 1
	v_or_b32_e32 v25, 0x400000, v23
	v_cmp_u_f32_e32 vcc_lo, v23, v23
	v_add_f32_e32 v4, v4, v5
	v_add3_u32 v24, v24, v23, 0x7fff
	v_cndmask_b32_e32 v23, v24, v25, vcc_lo
	v_lshlrev_b32_e32 v24, 16, v59
	v_and_b32_e32 v13, 0xffff0000, v23
	v_mul_f32_e32 v24, v2, v24
	v_bfe_u32 v25, v24, 16, 1
	v_or_b32_e32 v26, 0x400000, v24
	v_cmp_u_f32_e32 vcc_lo, v24, v24
	v_add3_u32 v25, v25, v24, 0x7fff
	v_cndmask_b32_e32 v24, v25, v26, vcc_lo
	v_and_b32_e32 v5, 0xffff0000, v24
	v_add_f32_e32 v5, v5, v13
	v_add_f32_e32 v4, v4, v5
	buffer_load_dword v5, off, s[0:3], s32 offset:648 ; 4-byte Folded Reload
	s_waitcnt vmcnt(0)
	v_add_f32_e32 v5, v5, v4
	v_lshlrev_b32_e32 v4, 16, v44
	buffer_store_dword v5, off, s[0:3], s32 offset:648 ; 4-byte Folded Spill
	v_mul_f32_e32 v4, v8, v4
	v_bfe_u32 v5, v4, 16, 1
	v_or_b32_e32 v13, 0x400000, v4
	v_cmp_u_f32_e32 vcc_lo, v4, v4
	v_add3_u32 v5, v5, v4, 0x7fff
	v_cndmask_b32_e32 v4, v5, v13, vcc_lo
	v_lshlrev_b32_e32 v5, 16, v45
	v_and_b32_e32 v4, 0xffff0000, v4
	v_mul_f32_e32 v5, v9, v5
	v_bfe_u32 v13, v5, 16, 1
	v_or_b32_e32 v16, 0x400000, v5
	v_cmp_u_f32_e32 vcc_lo, v5, v5
	v_add3_u32 v13, v13, v5, 0x7fff
	v_cndmask_b32_e32 v5, v13, v16, vcc_lo
	v_lshlrev_b32_e32 v13, 16, v41
	v_and_b32_e32 v5, 0xffff0000, v5
	v_mul_f32_e32 v13, v3, v13
	v_add_f32_e32 v4, v5, v4
	v_bfe_u32 v16, v13, 16, 1
	v_or_b32_e32 v17, 0x400000, v13
	v_cmp_u_f32_e32 vcc_lo, v13, v13
	v_add3_u32 v16, v16, v13, 0x7fff
	v_cndmask_b32_e32 v13, v16, v17, vcc_lo
	v_lshlrev_b32_e32 v16, 16, v42
	v_and_b32_e32 v13, 0xffff0000, v13
	v_mul_f32_e32 v16, v7, v16
	v_bfe_u32 v17, v16, 16, 1
	v_or_b32_e32 v22, 0x400000, v16
	v_cmp_u_f32_e32 vcc_lo, v16, v16
	v_add3_u32 v17, v17, v16, 0x7fff
	v_cndmask_b32_e32 v16, v17, v22, vcc_lo
	v_lshlrev_b32_e32 v17, 16, v119
	v_and_b32_e32 v5, 0xffff0000, v16
	v_mul_f32_e32 v17, v1, v17
	v_add_f32_e32 v5, v5, v13
	v_bfe_u32 v22, v17, 16, 1
	v_or_b32_e32 v23, 0x400000, v17
	v_cmp_u_f32_e32 vcc_lo, v17, v17
	v_add_f32_e32 v4, v4, v5
	v_add3_u32 v22, v22, v17, 0x7fff
	v_cndmask_b32_e32 v17, v22, v23, vcc_lo
	v_lshlrev_b32_e32 v22, 16, v40
	v_and_b32_e32 v13, 0xffff0000, v17
	v_mul_f32_e32 v22, v6, v22
	v_bfe_u32 v23, v22, 16, 1
	v_or_b32_e32 v24, 0x400000, v22
	v_cmp_u_f32_e32 vcc_lo, v22, v22
	v_add3_u32 v23, v23, v22, 0x7fff
	v_cndmask_b32_e32 v22, v23, v24, vcc_lo
	v_lshlrev_b32_e32 v23, 16, v46
	v_and_b32_e32 v5, 0xffff0000, v22
	v_mul_f32_e32 v23, v0, v23
	v_add_f32_e32 v5, v5, v13
	v_bfe_u32 v24, v23, 16, 1
	v_or_b32_e32 v25, 0x400000, v23
	v_cmp_u_f32_e32 vcc_lo, v23, v23
	v_add_f32_e32 v4, v4, v5
	v_add3_u32 v24, v24, v23, 0x7fff
	v_cndmask_b32_e32 v23, v24, v25, vcc_lo
	v_lshlrev_b32_e32 v24, 16, v43
	v_and_b32_e32 v13, 0xffff0000, v23
	v_mul_f32_e32 v24, v2, v24
	v_bfe_u32 v25, v24, 16, 1
	v_or_b32_e32 v26, 0x400000, v24
	v_cmp_u_f32_e32 vcc_lo, v24, v24
	v_add3_u32 v25, v25, v24, 0x7fff
	v_cndmask_b32_e32 v24, v25, v26, vcc_lo
	v_and_b32_e32 v5, 0xffff0000, v24
	v_add_f32_e32 v5, v5, v13
	v_add_f32_e32 v4, v4, v5
	buffer_load_dword v5, off, s[0:3], s32 offset:652 ; 4-byte Folded Reload
	s_waitcnt vmcnt(0)
	v_add_f32_e32 v5, v5, v4
	buffer_load_dword v4, off, s[0:3], s32 offset:604 ; 4-byte Folded Reload
	buffer_store_dword v5, off, s[0:3], s32 offset:652 ; 4-byte Folded Spill
	s_waitcnt vmcnt(0)
	v_lshlrev_b32_e32 v4, 16, v4
	v_mul_f32_e32 v4, v8, v4
	v_bfe_u32 v5, v4, 16, 1
	v_or_b32_e32 v13, 0x400000, v4
	v_cmp_u_f32_e32 vcc_lo, v4, v4
	v_add3_u32 v5, v5, v4, 0x7fff
	v_cndmask_b32_e32 v4, v5, v13, vcc_lo
	v_lshlrev_b32_e32 v5, 16, v117
	v_and_b32_e32 v4, 0xffff0000, v4
	v_mul_f32_e32 v5, v9, v5
	v_bfe_u32 v13, v5, 16, 1
	v_or_b32_e32 v16, 0x400000, v5
	v_cmp_u_f32_e32 vcc_lo, v5, v5
	v_add3_u32 v13, v13, v5, 0x7fff
	v_cndmask_b32_e32 v5, v13, v16, vcc_lo
	buffer_load_dword v13, off, s[0:3], s32 offset:592 ; 4-byte Folded Reload
	v_and_b32_e32 v5, 0xffff0000, v5
	v_add_f32_e32 v4, v5, v4
	s_waitcnt vmcnt(0)
	v_lshlrev_b32_e32 v13, 16, v13
	v_mul_f32_e32 v13, v3, v13
	v_bfe_u32 v16, v13, 16, 1
	v_or_b32_e32 v17, 0x400000, v13
	v_cmp_u_f32_e32 vcc_lo, v13, v13
	v_add3_u32 v16, v16, v13, 0x7fff
	v_cndmask_b32_e32 v13, v16, v17, vcc_lo
	buffer_load_dword v16, off, s[0:3], s32 offset:596 ; 4-byte Folded Reload
	v_and_b32_e32 v13, 0xffff0000, v13
	s_waitcnt vmcnt(0)
	v_lshlrev_b32_e32 v16, 16, v16
	v_mul_f32_e32 v16, v7, v16
	v_bfe_u32 v17, v16, 16, 1
	v_or_b32_e32 v22, 0x400000, v16
	v_cmp_u_f32_e32 vcc_lo, v16, v16
	v_add3_u32 v17, v17, v16, 0x7fff
	v_cndmask_b32_e32 v16, v17, v22, vcc_lo
	buffer_load_dword v17, off, s[0:3], s32 offset:584 ; 4-byte Folded Reload
	v_and_b32_e32 v5, 0xffff0000, v16
	v_add_f32_e32 v5, v5, v13
	v_add_f32_e32 v4, v4, v5
	s_waitcnt vmcnt(0)
	v_lshlrev_b32_e32 v17, 16, v17
	v_mul_f32_e32 v17, v1, v17
	v_bfe_u32 v22, v17, 16, 1
	v_or_b32_e32 v23, 0x400000, v17
	v_cmp_u_f32_e32 vcc_lo, v17, v17
	v_add3_u32 v22, v22, v17, 0x7fff
	v_cndmask_b32_e32 v17, v22, v23, vcc_lo
	buffer_load_dword v22, off, s[0:3], s32 offset:588 ; 4-byte Folded Reload
	v_and_b32_e32 v13, 0xffff0000, v17
	s_waitcnt vmcnt(0)
	v_lshlrev_b32_e32 v22, 16, v22
	v_mul_f32_e32 v22, v6, v22
	v_bfe_u32 v23, v22, 16, 1
	v_or_b32_e32 v24, 0x400000, v22
	v_cmp_u_f32_e32 vcc_lo, v22, v22
	v_add3_u32 v23, v23, v22, 0x7fff
	v_cndmask_b32_e32 v22, v23, v24, vcc_lo
	v_lshlrev_b32_e32 v23, 16, v118
	v_and_b32_e32 v5, 0xffff0000, v22
	v_mul_f32_e32 v23, v0, v23
	v_add_f32_e32 v5, v5, v13
	v_bfe_u32 v24, v23, 16, 1
	v_or_b32_e32 v25, 0x400000, v23
	v_cmp_u_f32_e32 vcc_lo, v23, v23
	v_add_f32_e32 v4, v4, v5
	v_add3_u32 v24, v24, v23, 0x7fff
	v_cndmask_b32_e32 v23, v24, v25, vcc_lo
	buffer_load_dword v24, off, s[0:3], s32 offset:600 ; 4-byte Folded Reload
	v_and_b32_e32 v13, 0xffff0000, v23
	s_waitcnt vmcnt(0)
	v_lshlrev_b32_e32 v24, 16, v24
	v_mul_f32_e32 v24, v2, v24
	v_bfe_u32 v25, v24, 16, 1
	v_or_b32_e32 v26, 0x400000, v24
	v_cmp_u_f32_e32 vcc_lo, v24, v24
	v_add3_u32 v25, v25, v24, 0x7fff
	v_cndmask_b32_e32 v24, v25, v26, vcc_lo
	v_and_b32_e32 v5, 0xffff0000, v24
	v_add_f32_e32 v5, v5, v13
	v_add_f32_e32 v4, v4, v5
	buffer_load_dword v5, off, s[0:3], s32 offset:656 ; 4-byte Folded Reload
	s_waitcnt vmcnt(0)
	v_add_f32_e32 v5, v5, v4
	buffer_load_dword v4, off, s[0:3], s32 offset:572 ; 4-byte Folded Reload
	buffer_store_dword v5, off, s[0:3], s32 offset:656 ; 4-byte Folded Spill
	s_waitcnt vmcnt(0)
	v_lshlrev_b32_e32 v4, 16, v4
	v_mul_f32_e32 v4, v8, v4
	v_bfe_u32 v5, v4, 16, 1
	v_or_b32_e32 v13, 0x400000, v4
	v_cmp_u_f32_e32 vcc_lo, v4, v4
	v_add3_u32 v5, v5, v4, 0x7fff
	v_cndmask_b32_e32 v4, v5, v13, vcc_lo
	buffer_load_dword v5, off, s[0:3], s32 offset:576 ; 4-byte Folded Reload
	v_and_b32_e32 v4, 0xffff0000, v4
	s_waitcnt vmcnt(0)
	v_lshlrev_b32_e32 v5, 16, v5
	v_mul_f32_e32 v5, v9, v5
	v_bfe_u32 v13, v5, 16, 1
	v_or_b32_e32 v16, 0x400000, v5
	v_cmp_u_f32_e32 vcc_lo, v5, v5
	v_add3_u32 v13, v13, v5, 0x7fff
	v_cndmask_b32_e32 v5, v13, v16, vcc_lo
	buffer_load_dword v13, off, s[0:3], s32 offset:560 ; 4-byte Folded Reload
	v_and_b32_e32 v5, 0xffff0000, v5
	v_add_f32_e32 v4, v5, v4
	s_waitcnt vmcnt(0)
	v_lshlrev_b32_e32 v13, 16, v13
	v_mul_f32_e32 v13, v3, v13
	v_bfe_u32 v16, v13, 16, 1
	v_or_b32_e32 v17, 0x400000, v13
	v_cmp_u_f32_e32 vcc_lo, v13, v13
	v_add3_u32 v16, v16, v13, 0x7fff
	v_cndmask_b32_e32 v13, v16, v17, vcc_lo
	buffer_load_dword v16, off, s[0:3], s32 offset:564 ; 4-byte Folded Reload
	v_and_b32_e32 v13, 0xffff0000, v13
	s_waitcnt vmcnt(0)
	v_lshlrev_b32_e32 v16, 16, v16
	v_mul_f32_e32 v16, v7, v16
	v_bfe_u32 v17, v16, 16, 1
	v_or_b32_e32 v22, 0x400000, v16
	v_cmp_u_f32_e32 vcc_lo, v16, v16
	v_add3_u32 v17, v17, v16, 0x7fff
	v_cndmask_b32_e32 v16, v17, v22, vcc_lo
	buffer_load_dword v17, off, s[0:3], s32 offset:552 ; 4-byte Folded Reload
	v_and_b32_e32 v5, 0xffff0000, v16
	v_add_f32_e32 v5, v5, v13
	v_add_f32_e32 v4, v4, v5
	s_waitcnt vmcnt(0)
	v_lshlrev_b32_e32 v17, 16, v17
	v_mul_f32_e32 v17, v1, v17
	v_bfe_u32 v22, v17, 16, 1
	v_or_b32_e32 v23, 0x400000, v17
	v_cmp_u_f32_e32 vcc_lo, v17, v17
	v_add3_u32 v22, v22, v17, 0x7fff
	v_cndmask_b32_e32 v17, v22, v23, vcc_lo
	buffer_load_dword v22, off, s[0:3], s32 offset:556 ; 4-byte Folded Reload
	v_and_b32_e32 v13, 0xffff0000, v17
	s_waitcnt vmcnt(0)
	v_lshlrev_b32_e32 v22, 16, v22
	v_mul_f32_e32 v22, v6, v22
	v_bfe_u32 v23, v22, 16, 1
	v_or_b32_e32 v24, 0x400000, v22
	v_cmp_u_f32_e32 vcc_lo, v22, v22
	v_add3_u32 v23, v23, v22, 0x7fff
	v_cndmask_b32_e32 v22, v23, v24, vcc_lo
	buffer_load_dword v23, off, s[0:3], s32 offset:580 ; 4-byte Folded Reload
	v_and_b32_e32 v5, 0xffff0000, v22
	v_add_f32_e32 v5, v5, v13
	v_add_f32_e32 v4, v4, v5
	s_waitcnt vmcnt(0)
	v_lshlrev_b32_e32 v23, 16, v23
	v_mul_f32_e32 v23, v0, v23
	v_bfe_u32 v24, v23, 16, 1
	v_or_b32_e32 v25, 0x400000, v23
	v_cmp_u_f32_e32 vcc_lo, v23, v23
	v_add3_u32 v24, v24, v23, 0x7fff
	v_cndmask_b32_e32 v23, v24, v25, vcc_lo
	buffer_load_dword v24, off, s[0:3], s32 offset:568 ; 4-byte Folded Reload
	v_and_b32_e32 v13, 0xffff0000, v23
	s_waitcnt vmcnt(0)
	v_lshlrev_b32_e32 v24, 16, v24
	v_mul_f32_e32 v24, v2, v24
	v_bfe_u32 v25, v24, 16, 1
	v_or_b32_e32 v26, 0x400000, v24
	v_cmp_u_f32_e32 vcc_lo, v24, v24
	v_add3_u32 v25, v25, v24, 0x7fff
	v_cndmask_b32_e32 v24, v25, v26, vcc_lo
	v_and_b32_e32 v5, 0xffff0000, v24
	v_add_f32_e32 v5, v5, v13
	v_add_f32_e32 v4, v4, v5
	buffer_load_dword v5, off, s[0:3], s32 offset:660 ; 4-byte Folded Reload
	s_waitcnt vmcnt(0)
	v_add_f32_e32 v5, v5, v4
	buffer_load_dword v4, off, s[0:3], s32 offset:544 ; 4-byte Folded Reload
	buffer_store_dword v5, off, s[0:3], s32 offset:660 ; 4-byte Folded Spill
	s_waitcnt vmcnt(0)
	v_lshlrev_b32_e32 v4, 16, v4
	v_mul_f32_e32 v4, v8, v4
	v_bfe_u32 v5, v4, 16, 1
	v_or_b32_e32 v13, 0x400000, v4
	v_cmp_u_f32_e32 vcc_lo, v4, v4
	v_add3_u32 v5, v5, v4, 0x7fff
	v_cndmask_b32_e32 v4, v5, v13, vcc_lo
	buffer_load_dword v5, off, s[0:3], s32 offset:548 ; 4-byte Folded Reload
	v_and_b32_e32 v4, 0xffff0000, v4
	s_waitcnt vmcnt(0)
	v_lshlrev_b32_e32 v5, 16, v5
	v_mul_f32_e32 v5, v9, v5
	v_bfe_u32 v13, v5, 16, 1
	v_or_b32_e32 v16, 0x400000, v5
	v_cmp_u_f32_e32 vcc_lo, v5, v5
	v_add3_u32 v13, v13, v5, 0x7fff
	v_cndmask_b32_e32 v5, v13, v16, vcc_lo
	buffer_load_dword v13, off, s[0:3], s32 offset:528 ; 4-byte Folded Reload
	v_and_b32_e32 v5, 0xffff0000, v5
	v_add_f32_e32 v4, v5, v4
	s_waitcnt vmcnt(0)
	v_lshlrev_b32_e32 v13, 16, v13
	v_mul_f32_e32 v13, v3, v13
	v_bfe_u32 v16, v13, 16, 1
	v_or_b32_e32 v17, 0x400000, v13
	v_cmp_u_f32_e32 vcc_lo, v13, v13
	v_add3_u32 v16, v16, v13, 0x7fff
	v_cndmask_b32_e32 v13, v16, v17, vcc_lo
	buffer_load_dword v16, off, s[0:3], s32 offset:532 ; 4-byte Folded Reload
	v_and_b32_e32 v13, 0xffff0000, v13
	s_waitcnt vmcnt(0)
	v_lshlrev_b32_e32 v16, 16, v16
	v_mul_f32_e32 v16, v7, v16
	v_bfe_u32 v17, v16, 16, 1
	v_or_b32_e32 v22, 0x400000, v16
	v_cmp_u_f32_e32 vcc_lo, v16, v16
	v_add3_u32 v17, v17, v16, 0x7fff
	v_cndmask_b32_e32 v16, v17, v22, vcc_lo
	buffer_load_dword v17, off, s[0:3], s32 offset:524 ; 4-byte Folded Reload
	v_and_b32_e32 v5, 0xffff0000, v16
	v_add_f32_e32 v5, v5, v13
	v_add_f32_e32 v4, v4, v5
	s_waitcnt vmcnt(0)
	v_lshlrev_b32_e32 v17, 16, v17
	v_mul_f32_e32 v17, v1, v17
	v_bfe_u32 v22, v17, 16, 1
	v_or_b32_e32 v23, 0x400000, v17
	v_cmp_u_f32_e32 vcc_lo, v17, v17
	v_add3_u32 v22, v22, v17, 0x7fff
	v_cndmask_b32_e32 v17, v22, v23, vcc_lo
	buffer_load_dword v22, off, s[0:3], s32 offset:520 ; 4-byte Folded Reload
	v_and_b32_e32 v13, 0xffff0000, v17
	s_waitcnt vmcnt(0)
	v_lshlrev_b32_e32 v22, 16, v22
	v_mul_f32_e32 v22, v6, v22
	v_bfe_u32 v23, v22, 16, 1
	v_or_b32_e32 v24, 0x400000, v22
	v_cmp_u_f32_e32 vcc_lo, v22, v22
	v_add3_u32 v23, v23, v22, 0x7fff
	v_cndmask_b32_e32 v22, v23, v24, vcc_lo
	buffer_load_dword v23, off, s[0:3], s32 offset:540 ; 4-byte Folded Reload
	v_and_b32_e32 v5, 0xffff0000, v22
	v_add_f32_e32 v5, v5, v13
	v_add_f32_e32 v4, v4, v5
	s_waitcnt vmcnt(0)
	v_lshlrev_b32_e32 v23, 16, v23
	v_mul_f32_e32 v23, v0, v23
	v_bfe_u32 v24, v23, 16, 1
	v_or_b32_e32 v25, 0x400000, v23
	v_cmp_u_f32_e32 vcc_lo, v23, v23
	v_add3_u32 v24, v24, v23, 0x7fff
	v_cndmask_b32_e32 v23, v24, v25, vcc_lo
	buffer_load_dword v24, off, s[0:3], s32 offset:536 ; 4-byte Folded Reload
	v_and_b32_e32 v13, 0xffff0000, v23
	s_waitcnt vmcnt(0)
	v_lshlrev_b32_e32 v24, 16, v24
	v_mul_f32_e32 v24, v2, v24
	v_bfe_u32 v25, v24, 16, 1
	v_or_b32_e32 v26, 0x400000, v24
	v_cmp_u_f32_e32 vcc_lo, v24, v24
	v_add3_u32 v25, v25, v24, 0x7fff
	v_cndmask_b32_e32 v24, v25, v26, vcc_lo
	v_and_b32_e32 v5, 0xffff0000, v24
	v_add_f32_e32 v5, v5, v13
	v_add_f32_e32 v4, v4, v5
	buffer_load_dword v5, off, s[0:3], s32 offset:664 ; 4-byte Folded Reload
	s_waitcnt vmcnt(0)
	v_add_f32_e32 v5, v5, v4
	buffer_load_dword v4, off, s[0:3], s32 offset:516 ; 4-byte Folded Reload
	buffer_store_dword v5, off, s[0:3], s32 offset:664 ; 4-byte Folded Spill
	s_waitcnt vmcnt(0)
	v_lshlrev_b32_e32 v4, 16, v4
	v_mul_f32_e32 v4, v8, v4
	v_bfe_u32 v5, v4, 16, 1
	v_or_b32_e32 v13, 0x400000, v4
	v_cmp_u_f32_e32 vcc_lo, v4, v4
	v_add3_u32 v5, v5, v4, 0x7fff
	v_cndmask_b32_e32 v4, v5, v13, vcc_lo
	buffer_load_dword v5, off, s[0:3], s32 offset:512 ; 4-byte Folded Reload
	v_and_b32_e32 v4, 0xffff0000, v4
	s_waitcnt vmcnt(0)
	v_lshlrev_b32_e32 v5, 16, v5
	v_mul_f32_e32 v5, v9, v5
	v_bfe_u32 v13, v5, 16, 1
	v_or_b32_e32 v16, 0x400000, v5
	v_cmp_u_f32_e32 vcc_lo, v5, v5
	v_add3_u32 v13, v13, v5, 0x7fff
	v_cndmask_b32_e32 v5, v13, v16, vcc_lo
	buffer_load_dword v13, off, s[0:3], s32 offset:496 ; 4-byte Folded Reload
	v_and_b32_e32 v5, 0xffff0000, v5
	v_add_f32_e32 v4, v5, v4
	s_waitcnt vmcnt(0)
	v_lshlrev_b32_e32 v13, 16, v13
	v_mul_f32_e32 v13, v3, v13
	v_bfe_u32 v16, v13, 16, 1
	v_or_b32_e32 v17, 0x400000, v13
	v_cmp_u_f32_e32 vcc_lo, v13, v13
	v_add3_u32 v16, v16, v13, 0x7fff
	v_cndmask_b32_e32 v13, v16, v17, vcc_lo
	buffer_load_dword v16, off, s[0:3], s32 offset:500 ; 4-byte Folded Reload
	v_and_b32_e32 v13, 0xffff0000, v13
	s_waitcnt vmcnt(0)
	v_lshlrev_b32_e32 v16, 16, v16
	v_mul_f32_e32 v16, v7, v16
	v_bfe_u32 v17, v16, 16, 1
	v_or_b32_e32 v22, 0x400000, v16
	v_cmp_u_f32_e32 vcc_lo, v16, v16
	v_add3_u32 v17, v17, v16, 0x7fff
	v_cndmask_b32_e32 v16, v17, v22, vcc_lo
	buffer_load_dword v17, off, s[0:3], s32 offset:492 ; 4-byte Folded Reload
	v_and_b32_e32 v5, 0xffff0000, v16
	v_add_f32_e32 v5, v5, v13
	v_add_f32_e32 v4, v4, v5
	s_waitcnt vmcnt(0)
	v_lshlrev_b32_e32 v17, 16, v17
	v_mul_f32_e32 v17, v1, v17
	v_bfe_u32 v22, v17, 16, 1
	v_or_b32_e32 v23, 0x400000, v17
	v_cmp_u_f32_e32 vcc_lo, v17, v17
	v_add3_u32 v22, v22, v17, 0x7fff
	v_cndmask_b32_e32 v17, v22, v23, vcc_lo
	buffer_load_dword v22, off, s[0:3], s32 offset:488 ; 4-byte Folded Reload
	v_and_b32_e32 v13, 0xffff0000, v17
	s_waitcnt vmcnt(0)
	v_lshlrev_b32_e32 v22, 16, v22
	v_mul_f32_e32 v22, v6, v22
	v_bfe_u32 v23, v22, 16, 1
	v_or_b32_e32 v24, 0x400000, v22
	v_cmp_u_f32_e32 vcc_lo, v22, v22
	v_add3_u32 v23, v23, v22, 0x7fff
	v_cndmask_b32_e32 v22, v23, v24, vcc_lo
	buffer_load_dword v23, off, s[0:3], s32 offset:508 ; 4-byte Folded Reload
	v_and_b32_e32 v5, 0xffff0000, v22
	v_add_f32_e32 v5, v5, v13
	v_add_f32_e32 v4, v4, v5
	s_waitcnt vmcnt(0)
	v_lshlrev_b32_e32 v23, 16, v23
	v_mul_f32_e32 v23, v0, v23
	v_bfe_u32 v24, v23, 16, 1
	v_or_b32_e32 v25, 0x400000, v23
	v_cmp_u_f32_e32 vcc_lo, v23, v23
	v_add3_u32 v24, v24, v23, 0x7fff
	v_cndmask_b32_e32 v23, v24, v25, vcc_lo
	buffer_load_dword v24, off, s[0:3], s32 offset:504 ; 4-byte Folded Reload
	v_and_b32_e32 v13, 0xffff0000, v23
	s_waitcnt vmcnt(0)
	v_lshlrev_b32_e32 v24, 16, v24
	v_mul_f32_e32 v24, v2, v24
	v_bfe_u32 v25, v24, 16, 1
	v_or_b32_e32 v26, 0x400000, v24
	v_cmp_u_f32_e32 vcc_lo, v24, v24
	v_add3_u32 v25, v25, v24, 0x7fff
	v_cndmask_b32_e32 v24, v25, v26, vcc_lo
	v_and_b32_e32 v5, 0xffff0000, v24
	v_add_f32_e32 v5, v5, v13
	v_add_f32_e32 v4, v4, v5
	buffer_load_dword v5, off, s[0:3], s32 offset:668 ; 4-byte Folded Reload
	s_waitcnt vmcnt(0)
	v_add_f32_e32 v5, v5, v4
	buffer_load_dword v4, off, s[0:3], s32 offset:484 ; 4-byte Folded Reload
	buffer_store_dword v5, off, s[0:3], s32 offset:668 ; 4-byte Folded Spill
	s_waitcnt vmcnt(0)
	v_lshlrev_b32_e32 v4, 16, v4
	v_mul_f32_e32 v4, v8, v4
	v_bfe_u32 v5, v4, 16, 1
	v_or_b32_e32 v13, 0x400000, v4
	v_cmp_u_f32_e32 vcc_lo, v4, v4
	v_add3_u32 v5, v5, v4, 0x7fff
	v_cndmask_b32_e32 v4, v5, v13, vcc_lo
	buffer_load_dword v5, off, s[0:3], s32 offset:480 ; 4-byte Folded Reload
	v_and_b32_e32 v4, 0xffff0000, v4
	s_waitcnt vmcnt(0)
	v_lshlrev_b32_e32 v5, 16, v5
	v_mul_f32_e32 v5, v9, v5
	v_bfe_u32 v13, v5, 16, 1
	v_or_b32_e32 v16, 0x400000, v5
	v_cmp_u_f32_e32 vcc_lo, v5, v5
	v_add3_u32 v13, v13, v5, 0x7fff
	v_cndmask_b32_e32 v5, v13, v16, vcc_lo
	buffer_load_dword v13, off, s[0:3], s32 offset:472 ; 4-byte Folded Reload
	v_and_b32_e32 v5, 0xffff0000, v5
	v_add_f32_e32 v4, v5, v4
	s_waitcnt vmcnt(0)
	v_lshlrev_b32_e32 v13, 16, v13
	v_mul_f32_e32 v13, v3, v13
	v_bfe_u32 v16, v13, 16, 1
	v_or_b32_e32 v17, 0x400000, v13
	v_cmp_u_f32_e32 vcc_lo, v13, v13
	v_add3_u32 v16, v16, v13, 0x7fff
	v_cndmask_b32_e32 v13, v16, v17, vcc_lo
	buffer_load_dword v16, off, s[0:3], s32 offset:468 ; 4-byte Folded Reload
	v_and_b32_e32 v13, 0xffff0000, v13
	s_waitcnt vmcnt(0)
	v_lshlrev_b32_e32 v16, 16, v16
	v_mul_f32_e32 v16, v7, v16
	v_bfe_u32 v17, v16, 16, 1
	v_or_b32_e32 v22, 0x400000, v16
	v_cmp_u_f32_e32 vcc_lo, v16, v16
	v_add3_u32 v17, v17, v16, 0x7fff
	v_cndmask_b32_e32 v16, v17, v22, vcc_lo
	buffer_load_dword v17, off, s[0:3], s32 offset:460 ; 4-byte Folded Reload
	v_and_b32_e32 v5, 0xffff0000, v16
	v_add_f32_e32 v5, v5, v13
	v_add_f32_e32 v4, v4, v5
	s_waitcnt vmcnt(0)
	v_lshlrev_b32_e32 v17, 16, v17
	v_mul_f32_e32 v17, v1, v17
	v_bfe_u32 v22, v17, 16, 1
	v_or_b32_e32 v23, 0x400000, v17
	v_cmp_u_f32_e32 vcc_lo, v17, v17
	v_add3_u32 v22, v22, v17, 0x7fff
	v_cndmask_b32_e32 v17, v22, v23, vcc_lo
	buffer_load_dword v22, off, s[0:3], s32 offset:456 ; 4-byte Folded Reload
	v_and_b32_e32 v13, 0xffff0000, v17
	s_waitcnt vmcnt(0)
	v_lshlrev_b32_e32 v22, 16, v22
	v_mul_f32_e32 v22, v6, v22
	v_bfe_u32 v23, v22, 16, 1
	v_or_b32_e32 v24, 0x400000, v22
	v_cmp_u_f32_e32 vcc_lo, v22, v22
	v_add3_u32 v23, v23, v22, 0x7fff
	v_cndmask_b32_e32 v22, v23, v24, vcc_lo
	buffer_load_dword v23, off, s[0:3], s32 offset:476 ; 4-byte Folded Reload
	v_and_b32_e32 v5, 0xffff0000, v22
	v_add_f32_e32 v5, v5, v13
	v_add_f32_e32 v4, v4, v5
	s_waitcnt vmcnt(0)
	v_lshlrev_b32_e32 v23, 16, v23
	v_mul_f32_e32 v23, v0, v23
	v_bfe_u32 v24, v23, 16, 1
	v_or_b32_e32 v25, 0x400000, v23
	v_cmp_u_f32_e32 vcc_lo, v23, v23
	v_add3_u32 v24, v24, v23, 0x7fff
	v_cndmask_b32_e32 v23, v24, v25, vcc_lo
	buffer_load_dword v24, off, s[0:3], s32 offset:464 ; 4-byte Folded Reload
	v_and_b32_e32 v13, 0xffff0000, v23
	s_waitcnt vmcnt(0)
	v_lshlrev_b32_e32 v24, 16, v24
	v_mul_f32_e32 v24, v2, v24
	v_bfe_u32 v25, v24, 16, 1
	v_or_b32_e32 v26, 0x400000, v24
	v_cmp_u_f32_e32 vcc_lo, v24, v24
	v_add3_u32 v25, v25, v24, 0x7fff
	v_cndmask_b32_e32 v24, v25, v26, vcc_lo
	v_and_b32_e32 v5, 0xffff0000, v24
	v_add_f32_e32 v5, v5, v13
	v_add_f32_e32 v4, v4, v5
	buffer_load_dword v5, off, s[0:3], s32 offset:672 ; 4-byte Folded Reload
	s_waitcnt vmcnt(0)
	v_add_f32_e32 v5, v5, v4
	buffer_load_dword v4, off, s[0:3], s32 offset:452 ; 4-byte Folded Reload
	buffer_store_dword v5, off, s[0:3], s32 offset:672 ; 4-byte Folded Spill
	s_waitcnt vmcnt(0)
	v_lshlrev_b32_e32 v4, 16, v4
	v_mul_f32_e32 v4, v8, v4
	v_bfe_u32 v5, v4, 16, 1
	v_or_b32_e32 v13, 0x400000, v4
	v_cmp_u_f32_e32 vcc_lo, v4, v4
	v_add3_u32 v5, v5, v4, 0x7fff
	v_cndmask_b32_e32 v4, v5, v13, vcc_lo
	buffer_load_dword v5, off, s[0:3], s32 offset:448 ; 4-byte Folded Reload
	v_and_b32_e32 v4, 0xffff0000, v4
	s_waitcnt vmcnt(0)
	v_lshlrev_b32_e32 v5, 16, v5
	v_mul_f32_e32 v5, v9, v5
	v_bfe_u32 v13, v5, 16, 1
	v_or_b32_e32 v16, 0x400000, v5
	v_cmp_u_f32_e32 vcc_lo, v5, v5
	v_add3_u32 v13, v13, v5, 0x7fff
	v_cndmask_b32_e32 v5, v13, v16, vcc_lo
	buffer_load_dword v13, off, s[0:3], s32 offset:436 ; 4-byte Folded Reload
	v_and_b32_e32 v5, 0xffff0000, v5
	v_add_f32_e32 v4, v5, v4
	s_waitcnt vmcnt(0)
	v_lshlrev_b32_e32 v13, 16, v13
	v_mul_f32_e32 v13, v3, v13
	v_bfe_u32 v16, v13, 16, 1
	v_or_b32_e32 v17, 0x400000, v13
	v_cmp_u_f32_e32 vcc_lo, v13, v13
	v_add3_u32 v16, v16, v13, 0x7fff
	v_cndmask_b32_e32 v13, v16, v17, vcc_lo
	buffer_load_dword v16, off, s[0:3], s32 offset:440 ; 4-byte Folded Reload
	v_and_b32_e32 v13, 0xffff0000, v13
	s_waitcnt vmcnt(0)
	v_lshlrev_b32_e32 v16, 16, v16
	v_mul_f32_e32 v16, v7, v16
	v_bfe_u32 v17, v16, 16, 1
	v_or_b32_e32 v22, 0x400000, v16
	v_cmp_u_f32_e32 vcc_lo, v16, v16
	v_add3_u32 v17, v17, v16, 0x7fff
	v_cndmask_b32_e32 v16, v17, v22, vcc_lo
	buffer_load_dword v17, off, s[0:3], s32 offset:428 ; 4-byte Folded Reload
	v_and_b32_e32 v5, 0xffff0000, v16
	v_add_f32_e32 v5, v5, v13
	v_add_f32_e32 v4, v4, v5
	s_waitcnt vmcnt(0)
	v_lshlrev_b32_e32 v17, 16, v17
	v_mul_f32_e32 v17, v1, v17
	v_bfe_u32 v22, v17, 16, 1
	v_or_b32_e32 v23, 0x400000, v17
	v_cmp_u_f32_e32 vcc_lo, v17, v17
	v_add3_u32 v22, v22, v17, 0x7fff
	v_cndmask_b32_e32 v17, v22, v23, vcc_lo
	buffer_load_dword v22, off, s[0:3], s32 offset:424 ; 4-byte Folded Reload
	v_and_b32_e32 v13, 0xffff0000, v17
	s_waitcnt vmcnt(0)
	v_lshlrev_b32_e32 v22, 16, v22
	v_mul_f32_e32 v22, v6, v22
	v_bfe_u32 v23, v22, 16, 1
	v_or_b32_e32 v24, 0x400000, v22
	v_cmp_u_f32_e32 vcc_lo, v22, v22
	v_add3_u32 v23, v23, v22, 0x7fff
	v_cndmask_b32_e32 v22, v23, v24, vcc_lo
	buffer_load_dword v23, off, s[0:3], s32 offset:444 ; 4-byte Folded Reload
	v_and_b32_e32 v5, 0xffff0000, v22
	v_add_f32_e32 v5, v5, v13
	v_add_f32_e32 v4, v4, v5
	s_waitcnt vmcnt(0)
	v_lshlrev_b32_e32 v23, 16, v23
	v_mul_f32_e32 v23, v0, v23
	v_bfe_u32 v24, v23, 16, 1
	v_or_b32_e32 v25, 0x400000, v23
	v_cmp_u_f32_e32 vcc_lo, v23, v23
	v_add3_u32 v24, v24, v23, 0x7fff
	v_cndmask_b32_e32 v23, v24, v25, vcc_lo
	buffer_load_dword v24, off, s[0:3], s32 offset:432 ; 4-byte Folded Reload
	v_and_b32_e32 v13, 0xffff0000, v23
	s_waitcnt vmcnt(0)
	v_lshlrev_b32_e32 v24, 16, v24
	v_mul_f32_e32 v24, v2, v24
	v_bfe_u32 v25, v24, 16, 1
	v_or_b32_e32 v26, 0x400000, v24
	v_cmp_u_f32_e32 vcc_lo, v24, v24
	v_add3_u32 v25, v25, v24, 0x7fff
	v_cndmask_b32_e32 v24, v25, v26, vcc_lo
	v_and_b32_e32 v5, 0xffff0000, v24
	v_add_f32_e32 v5, v5, v13
	v_add_f32_e32 v4, v4, v5
	buffer_load_dword v5, off, s[0:3], s32 offset:676 ; 4-byte Folded Reload
	s_waitcnt vmcnt(0)
	v_add_f32_e32 v5, v5, v4
	buffer_load_dword v4, off, s[0:3], s32 offset:420 ; 4-byte Folded Reload
	buffer_store_dword v5, off, s[0:3], s32 offset:676 ; 4-byte Folded Spill
	s_waitcnt vmcnt(0)
	v_lshlrev_b32_e32 v4, 16, v4
	v_mul_f32_e32 v4, v8, v4
	v_bfe_u32 v5, v4, 16, 1
	v_or_b32_e32 v13, 0x400000, v4
	v_cmp_u_f32_e32 vcc_lo, v4, v4
	v_add3_u32 v5, v5, v4, 0x7fff
	v_cndmask_b32_e32 v4, v5, v13, vcc_lo
	buffer_load_dword v5, off, s[0:3], s32 offset:416 ; 4-byte Folded Reload
	v_and_b32_e32 v4, 0xffff0000, v4
	s_waitcnt vmcnt(0)
	v_lshlrev_b32_e32 v5, 16, v5
	v_mul_f32_e32 v5, v9, v5
	v_bfe_u32 v13, v5, 16, 1
	v_or_b32_e32 v16, 0x400000, v5
	v_cmp_u_f32_e32 vcc_lo, v5, v5
	v_add3_u32 v13, v13, v5, 0x7fff
	v_cndmask_b32_e32 v5, v13, v16, vcc_lo
	buffer_load_dword v13, off, s[0:3], s32 offset:408 ; 4-byte Folded Reload
	v_and_b32_e32 v5, 0xffff0000, v5
	v_add_f32_e32 v4, v5, v4
	s_waitcnt vmcnt(0)
	v_lshlrev_b32_e32 v13, 16, v13
	v_mul_f32_e32 v13, v3, v13
	v_bfe_u32 v16, v13, 16, 1
	v_or_b32_e32 v17, 0x400000, v13
	v_cmp_u_f32_e32 vcc_lo, v13, v13
	v_add3_u32 v16, v16, v13, 0x7fff
	v_cndmask_b32_e32 v13, v16, v17, vcc_lo
	buffer_load_dword v16, off, s[0:3], s32 offset:404 ; 4-byte Folded Reload
	v_and_b32_e32 v13, 0xffff0000, v13
	s_waitcnt vmcnt(0)
	v_lshlrev_b32_e32 v16, 16, v16
	v_mul_f32_e32 v16, v7, v16
	v_bfe_u32 v17, v16, 16, 1
	v_or_b32_e32 v22, 0x400000, v16
	v_cmp_u_f32_e32 vcc_lo, v16, v16
	v_add3_u32 v17, v17, v16, 0x7fff
	v_cndmask_b32_e32 v16, v17, v22, vcc_lo
	buffer_load_dword v17, off, s[0:3], s32 offset:396 ; 4-byte Folded Reload
	v_and_b32_e32 v5, 0xffff0000, v16
	v_add_f32_e32 v5, v5, v13
	v_add_f32_e32 v4, v4, v5
	s_waitcnt vmcnt(0)
	v_lshlrev_b32_e32 v17, 16, v17
	v_mul_f32_e32 v17, v1, v17
	v_bfe_u32 v22, v17, 16, 1
	v_or_b32_e32 v23, 0x400000, v17
	v_cmp_u_f32_e32 vcc_lo, v17, v17
	v_add3_u32 v22, v22, v17, 0x7fff
	v_cndmask_b32_e32 v17, v22, v23, vcc_lo
	buffer_load_dword v22, off, s[0:3], s32 offset:392 ; 4-byte Folded Reload
	v_and_b32_e32 v13, 0xffff0000, v17
	s_waitcnt vmcnt(0)
	v_lshlrev_b32_e32 v22, 16, v22
	v_mul_f32_e32 v22, v6, v22
	v_bfe_u32 v23, v22, 16, 1
	v_or_b32_e32 v24, 0x400000, v22
	v_cmp_u_f32_e32 vcc_lo, v22, v22
	v_add3_u32 v23, v23, v22, 0x7fff
	v_cndmask_b32_e32 v22, v23, v24, vcc_lo
	buffer_load_dword v23, off, s[0:3], s32 offset:412 ; 4-byte Folded Reload
	v_and_b32_e32 v5, 0xffff0000, v22
	v_add_f32_e32 v5, v5, v13
	v_add_f32_e32 v4, v4, v5
	s_waitcnt vmcnt(0)
	v_lshlrev_b32_e32 v23, 16, v23
	v_mul_f32_e32 v23, v0, v23
	v_bfe_u32 v24, v23, 16, 1
	v_or_b32_e32 v25, 0x400000, v23
	v_cmp_u_f32_e32 vcc_lo, v23, v23
	v_add3_u32 v24, v24, v23, 0x7fff
	v_cndmask_b32_e32 v23, v24, v25, vcc_lo
	buffer_load_dword v24, off, s[0:3], s32 offset:400 ; 4-byte Folded Reload
	v_and_b32_e32 v13, 0xffff0000, v23
	s_waitcnt vmcnt(0)
	v_lshlrev_b32_e32 v24, 16, v24
	v_mul_f32_e32 v24, v2, v24
	v_bfe_u32 v25, v24, 16, 1
	v_or_b32_e32 v26, 0x400000, v24
	v_cmp_u_f32_e32 vcc_lo, v24, v24
	v_add3_u32 v25, v25, v24, 0x7fff
	v_cndmask_b32_e32 v24, v25, v26, vcc_lo
	v_and_b32_e32 v5, 0xffff0000, v24
	v_add_f32_e32 v5, v5, v13
	v_add_f32_e32 v4, v4, v5
	buffer_load_dword v5, off, s[0:3], s32 offset:680 ; 4-byte Folded Reload
	s_waitcnt vmcnt(0)
	v_add_f32_e32 v5, v5, v4
	buffer_load_dword v4, off, s[0:3], s32 offset:388 ; 4-byte Folded Reload
	buffer_store_dword v5, off, s[0:3], s32 offset:680 ; 4-byte Folded Spill
	s_waitcnt vmcnt(0)
	v_lshlrev_b32_e32 v4, 16, v4
	v_mul_f32_e32 v4, v8, v4
	v_bfe_u32 v5, v4, 16, 1
	v_or_b32_e32 v13, 0x400000, v4
	v_cmp_u_f32_e32 vcc_lo, v4, v4
	v_add3_u32 v5, v5, v4, 0x7fff
	v_cndmask_b32_e32 v4, v5, v13, vcc_lo
	buffer_load_dword v5, off, s[0:3], s32 offset:384 ; 4-byte Folded Reload
	v_and_b32_e32 v4, 0xffff0000, v4
	s_waitcnt vmcnt(0)
	v_lshlrev_b32_e32 v5, 16, v5
	v_mul_f32_e32 v5, v9, v5
	v_bfe_u32 v13, v5, 16, 1
	v_or_b32_e32 v16, 0x400000, v5
	v_cmp_u_f32_e32 vcc_lo, v5, v5
	v_add3_u32 v13, v13, v5, 0x7fff
	v_cndmask_b32_e32 v5, v13, v16, vcc_lo
	buffer_load_dword v13, off, s[0:3], s32 offset:376 ; 4-byte Folded Reload
	v_and_b32_e32 v5, 0xffff0000, v5
	v_add_f32_e32 v4, v5, v4
	s_waitcnt vmcnt(0)
	v_lshlrev_b32_e32 v13, 16, v13
	v_mul_f32_e32 v13, v3, v13
	v_bfe_u32 v16, v13, 16, 1
	v_or_b32_e32 v17, 0x400000, v13
	v_cmp_u_f32_e32 vcc_lo, v13, v13
	v_add3_u32 v16, v16, v13, 0x7fff
	v_cndmask_b32_e32 v13, v16, v17, vcc_lo
	buffer_load_dword v16, off, s[0:3], s32 offset:380 ; 4-byte Folded Reload
	v_and_b32_e32 v13, 0xffff0000, v13
	s_waitcnt vmcnt(0)
	v_lshlrev_b32_e32 v16, 16, v16
	v_mul_f32_e32 v16, v7, v16
	v_bfe_u32 v17, v16, 16, 1
	v_or_b32_e32 v22, 0x400000, v16
	v_cmp_u_f32_e32 vcc_lo, v16, v16
	v_add3_u32 v17, v17, v16, 0x7fff
	v_cndmask_b32_e32 v16, v17, v22, vcc_lo
	buffer_load_dword v17, off, s[0:3], s32 offset:372 ; 4-byte Folded Reload
	v_and_b32_e32 v5, 0xffff0000, v16
	v_add_f32_e32 v5, v5, v13
	v_add_f32_e32 v4, v4, v5
	s_waitcnt vmcnt(0)
	v_lshlrev_b32_e32 v17, 16, v17
	v_mul_f32_e32 v17, v1, v17
	v_bfe_u32 v22, v17, 16, 1
	v_or_b32_e32 v23, 0x400000, v17
	v_cmp_u_f32_e32 vcc_lo, v17, v17
	v_add3_u32 v22, v22, v17, 0x7fff
	v_cndmask_b32_e32 v17, v22, v23, vcc_lo
	buffer_load_dword v22, off, s[0:3], s32 offset:364 ; 4-byte Folded Reload
	v_and_b32_e32 v13, 0xffff0000, v17
	s_waitcnt vmcnt(0)
	v_lshlrev_b32_e32 v22, 16, v22
	v_mul_f32_e32 v22, v6, v22
	v_bfe_u32 v23, v22, 16, 1
	v_or_b32_e32 v24, 0x400000, v22
	v_cmp_u_f32_e32 vcc_lo, v22, v22
	v_add3_u32 v23, v23, v22, 0x7fff
	v_cndmask_b32_e32 v22, v23, v24, vcc_lo
	buffer_load_dword v23, off, s[0:3], s32 offset:368 ; 4-byte Folded Reload
	v_and_b32_e32 v5, 0xffff0000, v22
	v_add_f32_e32 v5, v5, v13
	v_add_f32_e32 v4, v4, v5
	s_waitcnt vmcnt(0)
	v_lshlrev_b32_e32 v23, 16, v23
	v_mul_f32_e32 v23, v0, v23
	v_bfe_u32 v24, v23, 16, 1
	v_or_b32_e32 v25, 0x400000, v23
	v_cmp_u_f32_e32 vcc_lo, v23, v23
	v_add3_u32 v24, v24, v23, 0x7fff
	v_cndmask_b32_e32 v23, v24, v25, vcc_lo
	buffer_load_dword v24, off, s[0:3], s32 offset:360 ; 4-byte Folded Reload
	v_and_b32_e32 v13, 0xffff0000, v23
	s_waitcnt vmcnt(0)
	v_lshlrev_b32_e32 v24, 16, v24
	v_mul_f32_e32 v24, v2, v24
	v_bfe_u32 v25, v24, 16, 1
	v_or_b32_e32 v26, 0x400000, v24
	v_cmp_u_f32_e32 vcc_lo, v24, v24
	v_add3_u32 v25, v25, v24, 0x7fff
	v_cndmask_b32_e32 v24, v25, v26, vcc_lo
	v_and_b32_e32 v5, 0xffff0000, v24
	v_add_f32_e32 v5, v5, v13
	v_add_f32_e32 v4, v4, v5
	buffer_load_dword v5, off, s[0:3], s32 offset:684 ; 4-byte Folded Reload
	s_waitcnt vmcnt(0)
	v_add_f32_e32 v5, v5, v4
	buffer_load_dword v4, off, s[0:3], s32 offset:356 ; 4-byte Folded Reload
	buffer_store_dword v5, off, s[0:3], s32 offset:684 ; 4-byte Folded Spill
	s_waitcnt vmcnt(0)
	v_lshlrev_b32_e32 v4, 16, v4
	v_mul_f32_e32 v4, v8, v4
	v_bfe_u32 v5, v4, 16, 1
	v_or_b32_e32 v13, 0x400000, v4
	v_cmp_u_f32_e32 vcc_lo, v4, v4
	v_add3_u32 v5, v5, v4, 0x7fff
	v_cndmask_b32_e32 v4, v5, v13, vcc_lo
	buffer_load_dword v5, off, s[0:3], s32 offset:352 ; 4-byte Folded Reload
	v_and_b32_e32 v4, 0xffff0000, v4
	s_waitcnt vmcnt(0)
	v_lshlrev_b32_e32 v5, 16, v5
	v_mul_f32_e32 v5, v9, v5
	v_bfe_u32 v13, v5, 16, 1
	v_or_b32_e32 v16, 0x400000, v5
	v_cmp_u_f32_e32 vcc_lo, v5, v5
	v_add3_u32 v13, v13, v5, 0x7fff
	v_cndmask_b32_e32 v5, v13, v16, vcc_lo
	buffer_load_dword v13, off, s[0:3], s32 offset:344 ; 4-byte Folded Reload
	v_and_b32_e32 v5, 0xffff0000, v5
	v_add_f32_e32 v4, v5, v4
	s_waitcnt vmcnt(0)
	v_lshlrev_b32_e32 v13, 16, v13
	v_mul_f32_e32 v13, v3, v13
	v_bfe_u32 v16, v13, 16, 1
	v_or_b32_e32 v17, 0x400000, v13
	v_cmp_u_f32_e32 vcc_lo, v13, v13
	v_add3_u32 v16, v16, v13, 0x7fff
	v_cndmask_b32_e32 v13, v16, v17, vcc_lo
	buffer_load_dword v16, off, s[0:3], s32 offset:348 ; 4-byte Folded Reload
	v_and_b32_e32 v13, 0xffff0000, v13
	s_waitcnt vmcnt(0)
	v_lshlrev_b32_e32 v16, 16, v16
	v_mul_f32_e32 v16, v7, v16
	v_bfe_u32 v17, v16, 16, 1
	v_or_b32_e32 v22, 0x400000, v16
	v_cmp_u_f32_e32 vcc_lo, v16, v16
	v_add3_u32 v17, v17, v16, 0x7fff
	v_cndmask_b32_e32 v16, v17, v22, vcc_lo
	buffer_load_dword v17, off, s[0:3], s32 offset:340 ; 4-byte Folded Reload
	v_and_b32_e32 v5, 0xffff0000, v16
	v_add_f32_e32 v5, v5, v13
	v_add_f32_e32 v4, v4, v5
	s_waitcnt vmcnt(0)
	v_lshlrev_b32_e32 v17, 16, v17
	v_mul_f32_e32 v17, v1, v17
	v_bfe_u32 v22, v17, 16, 1
	v_or_b32_e32 v23, 0x400000, v17
	v_cmp_u_f32_e32 vcc_lo, v17, v17
	v_add3_u32 v22, v22, v17, 0x7fff
	v_cndmask_b32_e32 v17, v22, v23, vcc_lo
	buffer_load_dword v22, off, s[0:3], s32 offset:332 ; 4-byte Folded Reload
	v_and_b32_e32 v13, 0xffff0000, v17
	s_waitcnt vmcnt(0)
	v_lshlrev_b32_e32 v22, 16, v22
	v_mul_f32_e32 v22, v6, v22
	v_bfe_u32 v23, v22, 16, 1
	v_or_b32_e32 v24, 0x400000, v22
	v_cmp_u_f32_e32 vcc_lo, v22, v22
	v_add3_u32 v23, v23, v22, 0x7fff
	v_cndmask_b32_e32 v22, v23, v24, vcc_lo
	buffer_load_dword v23, off, s[0:3], s32 offset:336 ; 4-byte Folded Reload
	v_and_b32_e32 v5, 0xffff0000, v22
	v_add_f32_e32 v5, v5, v13
	v_add_f32_e32 v4, v4, v5
	s_waitcnt vmcnt(0)
	v_lshlrev_b32_e32 v23, 16, v23
	v_mul_f32_e32 v23, v0, v23
	v_bfe_u32 v24, v23, 16, 1
	v_or_b32_e32 v25, 0x400000, v23
	v_cmp_u_f32_e32 vcc_lo, v23, v23
	v_add3_u32 v24, v24, v23, 0x7fff
	v_cndmask_b32_e32 v23, v24, v25, vcc_lo
	buffer_load_dword v24, off, s[0:3], s32 offset:328 ; 4-byte Folded Reload
	v_and_b32_e32 v13, 0xffff0000, v23
	s_waitcnt vmcnt(0)
	v_lshlrev_b32_e32 v24, 16, v24
	v_mul_f32_e32 v24, v2, v24
	v_bfe_u32 v25, v24, 16, 1
	v_or_b32_e32 v26, 0x400000, v24
	v_cmp_u_f32_e32 vcc_lo, v24, v24
	v_add3_u32 v25, v25, v24, 0x7fff
	v_cndmask_b32_e32 v24, v25, v26, vcc_lo
	v_and_b32_e32 v5, 0xffff0000, v24
	v_add_f32_e32 v5, v5, v13
	v_add_f32_e32 v4, v4, v5
	buffer_load_dword v5, off, s[0:3], s32 offset:688 ; 4-byte Folded Reload
	s_waitcnt vmcnt(0)
	v_add_f32_e32 v5, v5, v4
	buffer_load_dword v4, off, s[0:3], s32 offset:324 ; 4-byte Folded Reload
	buffer_store_dword v5, off, s[0:3], s32 offset:688 ; 4-byte Folded Spill
	s_waitcnt vmcnt(0)
	v_lshlrev_b32_e32 v4, 16, v4
	v_mul_f32_e32 v4, v8, v4
	v_bfe_u32 v5, v4, 16, 1
	v_or_b32_e32 v13, 0x400000, v4
	v_cmp_u_f32_e32 vcc_lo, v4, v4
	v_add3_u32 v5, v5, v4, 0x7fff
	v_cndmask_b32_e32 v4, v5, v13, vcc_lo
	buffer_load_dword v5, off, s[0:3], s32 offset:320 ; 4-byte Folded Reload
	v_and_b32_e32 v4, 0xffff0000, v4
	s_waitcnt vmcnt(0)
	v_lshlrev_b32_e32 v5, 16, v5
	v_mul_f32_e32 v5, v9, v5
	v_bfe_u32 v13, v5, 16, 1
	v_or_b32_e32 v16, 0x400000, v5
	v_cmp_u_f32_e32 vcc_lo, v5, v5
	v_add3_u32 v13, v13, v5, 0x7fff
	v_cndmask_b32_e32 v5, v13, v16, vcc_lo
	buffer_load_dword v13, off, s[0:3], s32 offset:312 ; 4-byte Folded Reload
	v_and_b32_e32 v5, 0xffff0000, v5
	v_add_f32_e32 v4, v5, v4
	s_waitcnt vmcnt(0)
	v_lshlrev_b32_e32 v13, 16, v13
	v_mul_f32_e32 v13, v3, v13
	v_bfe_u32 v16, v13, 16, 1
	v_or_b32_e32 v17, 0x400000, v13
	v_cmp_u_f32_e32 vcc_lo, v13, v13
	v_add3_u32 v16, v16, v13, 0x7fff
	v_cndmask_b32_e32 v13, v16, v17, vcc_lo
	buffer_load_dword v16, off, s[0:3], s32 offset:316 ; 4-byte Folded Reload
	v_and_b32_e32 v13, 0xffff0000, v13
	s_waitcnt vmcnt(0)
	v_lshlrev_b32_e32 v16, 16, v16
	v_mul_f32_e32 v16, v7, v16
	v_bfe_u32 v17, v16, 16, 1
	v_or_b32_e32 v22, 0x400000, v16
	v_cmp_u_f32_e32 vcc_lo, v16, v16
	v_add3_u32 v17, v17, v16, 0x7fff
	v_cndmask_b32_e32 v16, v17, v22, vcc_lo
	buffer_load_dword v17, off, s[0:3], s32 offset:308 ; 4-byte Folded Reload
	v_and_b32_e32 v5, 0xffff0000, v16
	v_add_f32_e32 v5, v5, v13
	v_add_f32_e32 v4, v4, v5
	s_waitcnt vmcnt(0)
	v_lshlrev_b32_e32 v17, 16, v17
	v_mul_f32_e32 v17, v1, v17
	v_bfe_u32 v22, v17, 16, 1
	v_or_b32_e32 v23, 0x400000, v17
	v_cmp_u_f32_e32 vcc_lo, v17, v17
	v_add3_u32 v22, v22, v17, 0x7fff
	v_cndmask_b32_e32 v17, v22, v23, vcc_lo
	buffer_load_dword v22, off, s[0:3], s32 offset:300 ; 4-byte Folded Reload
	v_and_b32_e32 v13, 0xffff0000, v17
	s_waitcnt vmcnt(0)
	v_lshlrev_b32_e32 v22, 16, v22
	v_mul_f32_e32 v22, v6, v22
	v_bfe_u32 v23, v22, 16, 1
	v_or_b32_e32 v24, 0x400000, v22
	v_cmp_u_f32_e32 vcc_lo, v22, v22
	v_add3_u32 v23, v23, v22, 0x7fff
	v_cndmask_b32_e32 v22, v23, v24, vcc_lo
	buffer_load_dword v23, off, s[0:3], s32 offset:304 ; 4-byte Folded Reload
	v_and_b32_e32 v5, 0xffff0000, v22
	v_add_f32_e32 v5, v5, v13
	v_add_f32_e32 v4, v4, v5
	s_waitcnt vmcnt(0)
	v_lshlrev_b32_e32 v23, 16, v23
	v_mul_f32_e32 v23, v0, v23
	v_bfe_u32 v24, v23, 16, 1
	v_or_b32_e32 v25, 0x400000, v23
	v_cmp_u_f32_e32 vcc_lo, v23, v23
	v_add3_u32 v24, v24, v23, 0x7fff
	v_cndmask_b32_e32 v23, v24, v25, vcc_lo
	buffer_load_dword v24, off, s[0:3], s32 offset:296 ; 4-byte Folded Reload
	v_and_b32_e32 v13, 0xffff0000, v23
	s_waitcnt vmcnt(0)
	v_lshlrev_b32_e32 v24, 16, v24
	v_mul_f32_e32 v24, v2, v24
	v_bfe_u32 v25, v24, 16, 1
	v_or_b32_e32 v26, 0x400000, v24
	v_cmp_u_f32_e32 vcc_lo, v24, v24
	v_add3_u32 v25, v25, v24, 0x7fff
	v_cndmask_b32_e32 v24, v25, v26, vcc_lo
	v_and_b32_e32 v5, 0xffff0000, v24
	v_add_f32_e32 v5, v5, v13
	v_add_f32_e32 v4, v4, v5
	buffer_load_dword v5, off, s[0:3], s32 offset:692 ; 4-byte Folded Reload
	s_waitcnt vmcnt(0)
	v_add_f32_e32 v5, v5, v4
	buffer_load_dword v4, off, s[0:3], s32 offset:292 ; 4-byte Folded Reload
	buffer_store_dword v5, off, s[0:3], s32 offset:692 ; 4-byte Folded Spill
	s_waitcnt vmcnt(0)
	v_lshlrev_b32_e32 v4, 16, v4
	v_mul_f32_e32 v4, v8, v4
	v_bfe_u32 v5, v4, 16, 1
	v_or_b32_e32 v13, 0x400000, v4
	v_cmp_u_f32_e32 vcc_lo, v4, v4
	v_add3_u32 v5, v5, v4, 0x7fff
	v_cndmask_b32_e32 v4, v5, v13, vcc_lo
	buffer_load_dword v5, off, s[0:3], s32 offset:288 ; 4-byte Folded Reload
	v_and_b32_e32 v4, 0xffff0000, v4
	s_waitcnt vmcnt(0)
	v_lshlrev_b32_e32 v5, 16, v5
	v_mul_f32_e32 v5, v9, v5
	v_bfe_u32 v13, v5, 16, 1
	v_or_b32_e32 v16, 0x400000, v5
	v_cmp_u_f32_e32 vcc_lo, v5, v5
	v_add3_u32 v13, v13, v5, 0x7fff
	v_cndmask_b32_e32 v5, v13, v16, vcc_lo
	buffer_load_dword v13, off, s[0:3], s32 offset:280 ; 4-byte Folded Reload
	v_and_b32_e32 v5, 0xffff0000, v5
	v_add_f32_e32 v4, v5, v4
	s_waitcnt vmcnt(0)
	v_lshlrev_b32_e32 v13, 16, v13
	v_mul_f32_e32 v13, v3, v13
	v_bfe_u32 v16, v13, 16, 1
	v_or_b32_e32 v17, 0x400000, v13
	v_cmp_u_f32_e32 vcc_lo, v13, v13
	v_add3_u32 v16, v16, v13, 0x7fff
	v_cndmask_b32_e32 v13, v16, v17, vcc_lo
	buffer_load_dword v16, off, s[0:3], s32 offset:284 ; 4-byte Folded Reload
	v_and_b32_e32 v13, 0xffff0000, v13
	s_waitcnt vmcnt(0)
	v_lshlrev_b32_e32 v16, 16, v16
	v_mul_f32_e32 v16, v7, v16
	v_bfe_u32 v17, v16, 16, 1
	v_or_b32_e32 v22, 0x400000, v16
	v_cmp_u_f32_e32 vcc_lo, v16, v16
	v_add3_u32 v17, v17, v16, 0x7fff
	v_cndmask_b32_e32 v16, v17, v22, vcc_lo
	buffer_load_dword v17, off, s[0:3], s32 offset:276 ; 4-byte Folded Reload
	v_and_b32_e32 v5, 0xffff0000, v16
	v_add_f32_e32 v5, v5, v13
	v_add_f32_e32 v4, v4, v5
	s_waitcnt vmcnt(0)
	v_lshlrev_b32_e32 v17, 16, v17
	v_mul_f32_e32 v17, v1, v17
	v_bfe_u32 v22, v17, 16, 1
	v_or_b32_e32 v23, 0x400000, v17
	v_cmp_u_f32_e32 vcc_lo, v17, v17
	v_add3_u32 v22, v22, v17, 0x7fff
	v_cndmask_b32_e32 v17, v22, v23, vcc_lo
	buffer_load_dword v22, off, s[0:3], s32 offset:268 ; 4-byte Folded Reload
	v_and_b32_e32 v13, 0xffff0000, v17
	s_waitcnt vmcnt(0)
	v_lshlrev_b32_e32 v22, 16, v22
	v_mul_f32_e32 v22, v6, v22
	v_bfe_u32 v23, v22, 16, 1
	v_or_b32_e32 v24, 0x400000, v22
	v_cmp_u_f32_e32 vcc_lo, v22, v22
	v_add3_u32 v23, v23, v22, 0x7fff
	v_cndmask_b32_e32 v22, v23, v24, vcc_lo
	buffer_load_dword v23, off, s[0:3], s32 offset:272 ; 4-byte Folded Reload
	v_and_b32_e32 v5, 0xffff0000, v22
	v_add_f32_e32 v5, v5, v13
	v_add_f32_e32 v4, v4, v5
	s_waitcnt vmcnt(0)
	v_lshlrev_b32_e32 v23, 16, v23
	v_mul_f32_e32 v23, v0, v23
	v_bfe_u32 v24, v23, 16, 1
	v_or_b32_e32 v25, 0x400000, v23
	v_cmp_u_f32_e32 vcc_lo, v23, v23
	v_add3_u32 v24, v24, v23, 0x7fff
	v_cndmask_b32_e32 v23, v24, v25, vcc_lo
	buffer_load_dword v24, off, s[0:3], s32 offset:264 ; 4-byte Folded Reload
	v_and_b32_e32 v13, 0xffff0000, v23
	s_waitcnt vmcnt(0)
	v_lshlrev_b32_e32 v24, 16, v24
	v_mul_f32_e32 v24, v2, v24
	v_bfe_u32 v25, v24, 16, 1
	v_or_b32_e32 v26, 0x400000, v24
	v_cmp_u_f32_e32 vcc_lo, v24, v24
	v_add3_u32 v25, v25, v24, 0x7fff
	v_cndmask_b32_e32 v24, v25, v26, vcc_lo
	v_and_b32_e32 v5, 0xffff0000, v24
	v_add_f32_e32 v5, v5, v13
	v_add_f32_e32 v4, v4, v5
	buffer_load_dword v5, off, s[0:3], s32 offset:696 ; 4-byte Folded Reload
	s_waitcnt vmcnt(0)
	v_add_f32_e32 v5, v5, v4
	buffer_load_dword v4, off, s[0:3], s32 offset:260 ; 4-byte Folded Reload
	buffer_store_dword v5, off, s[0:3], s32 offset:696 ; 4-byte Folded Spill
	s_waitcnt vmcnt(0)
	v_lshlrev_b32_e32 v4, 16, v4
	v_mul_f32_e32 v4, v8, v4
	v_bfe_u32 v5, v4, 16, 1
	v_or_b32_e32 v13, 0x400000, v4
	v_cmp_u_f32_e32 vcc_lo, v4, v4
	v_add3_u32 v5, v5, v4, 0x7fff
	v_cndmask_b32_e32 v4, v5, v13, vcc_lo
	buffer_load_dword v5, off, s[0:3], s32 offset:256 ; 4-byte Folded Reload
	v_and_b32_e32 v4, 0xffff0000, v4
	s_waitcnt vmcnt(0)
	v_lshlrev_b32_e32 v5, 16, v5
	v_mul_f32_e32 v5, v9, v5
	v_bfe_u32 v13, v5, 16, 1
	v_or_b32_e32 v16, 0x400000, v5
	v_cmp_u_f32_e32 vcc_lo, v5, v5
	v_add3_u32 v13, v13, v5, 0x7fff
	v_cndmask_b32_e32 v5, v13, v16, vcc_lo
	buffer_load_dword v13, off, s[0:3], s32 offset:248 ; 4-byte Folded Reload
	v_and_b32_e32 v5, 0xffff0000, v5
	v_add_f32_e32 v4, v5, v4
	s_waitcnt vmcnt(0)
	v_lshlrev_b32_e32 v13, 16, v13
	v_mul_f32_e32 v13, v3, v13
	v_bfe_u32 v16, v13, 16, 1
	v_or_b32_e32 v17, 0x400000, v13
	v_cmp_u_f32_e32 vcc_lo, v13, v13
	v_add3_u32 v16, v16, v13, 0x7fff
	v_cndmask_b32_e32 v13, v16, v17, vcc_lo
	buffer_load_dword v16, off, s[0:3], s32 offset:252 ; 4-byte Folded Reload
	v_and_b32_e32 v13, 0xffff0000, v13
	s_waitcnt vmcnt(0)
	v_lshlrev_b32_e32 v16, 16, v16
	v_mul_f32_e32 v16, v7, v16
	v_bfe_u32 v17, v16, 16, 1
	v_or_b32_e32 v22, 0x400000, v16
	v_cmp_u_f32_e32 vcc_lo, v16, v16
	v_add3_u32 v17, v17, v16, 0x7fff
	v_cndmask_b32_e32 v16, v17, v22, vcc_lo
	buffer_load_dword v17, off, s[0:3], s32 offset:244 ; 4-byte Folded Reload
	v_and_b32_e32 v5, 0xffff0000, v16
	v_add_f32_e32 v5, v5, v13
	v_add_f32_e32 v4, v4, v5
	s_waitcnt vmcnt(0)
	v_lshlrev_b32_e32 v17, 16, v17
	v_mul_f32_e32 v17, v1, v17
	v_bfe_u32 v22, v17, 16, 1
	v_or_b32_e32 v23, 0x400000, v17
	v_cmp_u_f32_e32 vcc_lo, v17, v17
	v_add3_u32 v22, v22, v17, 0x7fff
	v_cndmask_b32_e32 v17, v22, v23, vcc_lo
	buffer_load_dword v22, off, s[0:3], s32 offset:236 ; 4-byte Folded Reload
	v_and_b32_e32 v13, 0xffff0000, v17
	s_waitcnt vmcnt(0)
	v_lshlrev_b32_e32 v22, 16, v22
	v_mul_f32_e32 v22, v6, v22
	v_bfe_u32 v23, v22, 16, 1
	v_or_b32_e32 v24, 0x400000, v22
	v_cmp_u_f32_e32 vcc_lo, v22, v22
	v_add3_u32 v23, v23, v22, 0x7fff
	v_cndmask_b32_e32 v22, v23, v24, vcc_lo
	buffer_load_dword v23, off, s[0:3], s32 offset:240 ; 4-byte Folded Reload
	v_and_b32_e32 v5, 0xffff0000, v22
	v_add_f32_e32 v5, v5, v13
	v_add_f32_e32 v4, v4, v5
	s_waitcnt vmcnt(0)
	v_lshlrev_b32_e32 v23, 16, v23
	v_mul_f32_e32 v23, v0, v23
	v_bfe_u32 v24, v23, 16, 1
	v_or_b32_e32 v25, 0x400000, v23
	v_cmp_u_f32_e32 vcc_lo, v23, v23
	v_add3_u32 v24, v24, v23, 0x7fff
	v_cndmask_b32_e32 v23, v24, v25, vcc_lo
	buffer_load_dword v24, off, s[0:3], s32 offset:200 ; 4-byte Folded Reload
	v_and_b32_e32 v13, 0xffff0000, v23
	s_waitcnt vmcnt(0)
	v_lshlrev_b32_e32 v24, 16, v24
	v_mul_f32_e32 v24, v2, v24
	v_bfe_u32 v25, v24, 16, 1
	v_or_b32_e32 v26, 0x400000, v24
	v_cmp_u_f32_e32 vcc_lo, v24, v24
	v_add3_u32 v25, v25, v24, 0x7fff
	v_cndmask_b32_e32 v24, v25, v26, vcc_lo
	v_and_b32_e32 v5, 0xffff0000, v24
	v_add_f32_e32 v5, v5, v13
	v_add_f32_e32 v4, v4, v5
	buffer_load_dword v5, off, s[0:3], s32 offset:700 ; 4-byte Folded Reload
	s_waitcnt vmcnt(0)
	v_add_f32_e32 v5, v5, v4
	v_lshlrev_b32_e32 v4, 16, v12
	buffer_store_dword v5, off, s[0:3], s32 offset:700 ; 4-byte Folded Spill
	v_mul_f32_e32 v4, v9, v4
	v_bfe_u32 v5, v4, 16, 1
	v_or_b32_e32 v9, 0x400000, v4
	v_cmp_u_f32_e32 vcc_lo, v4, v4
	v_add3_u32 v5, v5, v4, 0x7fff
	v_cndmask_b32_e32 v4, v5, v9, vcc_lo
	v_lshlrev_b32_e32 v5, 16, v21
	v_and_b32_e32 v4, 0xffff0000, v4
	v_mul_f32_e32 v5, v8, v5
	v_bfe_u32 v8, v5, 16, 1
	v_or_b32_e32 v9, 0x400000, v5
	v_cmp_u_f32_e32 vcc_lo, v5, v5
	v_add3_u32 v8, v8, v5, 0x7fff
	v_cndmask_b32_e32 v5, v8, v9, vcc_lo
	v_lshlrev_b32_e32 v8, 16, v19
	v_and_b32_e32 v5, 0xffff0000, v5
	v_mul_f32_e32 v7, v7, v8
	v_add_f32_e32 v4, v4, v5
	v_bfe_u32 v8, v7, 16, 1
	v_or_b32_e32 v9, 0x400000, v7
	v_cmp_u_f32_e32 vcc_lo, v7, v7
	v_add3_u32 v8, v8, v7, 0x7fff
	v_cndmask_b32_e32 v7, v8, v9, vcc_lo
	v_lshlrev_b32_e32 v8, 16, v15
	v_and_b32_e32 v5, 0xffff0000, v7
	v_mul_f32_e32 v3, v3, v8
	v_bfe_u32 v8, v3, 16, 1
	v_or_b32_e32 v9, 0x400000, v3
	v_cmp_u_f32_e32 vcc_lo, v3, v3
	v_add3_u32 v8, v8, v3, 0x7fff
	v_cndmask_b32_e32 v3, v8, v9, vcc_lo
	v_lshlrev_b32_e32 v8, 16, v14
	v_and_b32_e32 v3, 0xffff0000, v3
	v_mul_f32_e32 v6, v6, v8
	v_add_f32_e32 v3, v5, v3
	v_bfe_u32 v8, v6, 16, 1
	v_or_b32_e32 v9, 0x400000, v6
	v_cmp_u_f32_e32 vcc_lo, v6, v6
	v_add_f32_e32 v3, v4, v3
	v_add3_u32 v8, v8, v6, 0x7fff
	v_cndmask_b32_e32 v6, v8, v9, vcc_lo
	v_lshlrev_b32_e32 v8, 16, v10
	v_and_b32_e32 v4, 0xffff0000, v6
	v_mul_f32_e32 v1, v1, v8
	v_bfe_u32 v8, v1, 16, 1
	v_or_b32_e32 v9, 0x400000, v1
	v_cmp_u_f32_e32 vcc_lo, v1, v1
	v_add3_u32 v8, v8, v1, 0x7fff
	v_cndmask_b32_e32 v1, v8, v9, vcc_lo
	v_lshlrev_b32_e32 v8, 16, v18
	v_and_b32_e32 v1, 0xffff0000, v1
	v_mul_f32_e32 v2, v2, v8
	v_add_f32_e32 v1, v4, v1
	v_bfe_u32 v8, v2, 16, 1
	v_or_b32_e32 v9, 0x400000, v2
	v_cmp_u_f32_e32 vcc_lo, v2, v2
	v_add_f32_e32 v1, v3, v1
	v_add3_u32 v8, v8, v2, 0x7fff
	v_cndmask_b32_e32 v2, v8, v9, vcc_lo
	v_lshlrev_b32_e32 v8, 16, v20
	v_and_b32_e32 v2, 0xffff0000, v2
	v_mul_f32_e32 v0, v0, v8
	v_bfe_u32 v8, v0, 16, 1
	v_or_b32_e32 v9, 0x400000, v0
	v_cmp_u_f32_e32 vcc_lo, v0, v0
	v_add3_u32 v8, v8, v0, 0x7fff
	v_cndmask_b32_e32 v0, v8, v9, vcc_lo
	v_and_b32_e32 v0, 0xffff0000, v0
	v_add_f32_e32 v0, v2, v0
	v_add_f32_e32 v0, v1, v0
	;; [unrolled: 1-line block ×3, first 2 shown]
.LBB382_1573:                           ;   in Loop: Header=BB382_1574 Depth=1
	s_or_b32 exec_lo, exec_lo, s16
	buffer_load_dword v1, off, s[0:3], s32 offset:224 ; 4-byte Folded Reload
	v_mov_b32_e32 v0, v115
	v_add_nc_u32_e32 v0, 4, v0
	s_waitcnt vmcnt(0)
	v_cmp_ge_i32_e32 vcc_lo, v0, v1
	s_or_b32 s15, vcc_lo, s15
	s_andn2_b32 exec_lo, exec_lo, s15
	s_cbranch_execz .LBB382_3159
.LBB382_1574:                           ; =>This Inner Loop Header: Depth=1
	s_clause 0x2
	buffer_load_dword v2, off, s[0:3], s32 offset:228
	buffer_load_dword v5, off, s[0:3], s32 offset:208
	;; [unrolled: 1-line block ×3, first 2 shown]
	s_waitcnt vmcnt(4)
	v_mov_b32_e32 v115, v0
	v_lshlrev_b32_e32 v0, 5, v0
	s_waitcnt vmcnt(3)
	v_sub_nc_u32_e32 v1, 0, v0
	v_max_i32_e32 v1, v0, v1
	s_waitcnt vmcnt(2)
	v_mul_hi_u32 v2, v1, v2
	s_waitcnt vmcnt(1)
	v_mul_lo_u32 v3, v2, v5
	v_sub_nc_u32_e32 v1, v1, v3
	v_add_nc_u32_e32 v3, 1, v2
	v_sub_nc_u32_e32 v4, v1, v5
	v_cmp_ge_u32_e32 vcc_lo, v1, v5
	v_cndmask_b32_e32 v2, v2, v3, vcc_lo
	v_cndmask_b32_e32 v1, v1, v4, vcc_lo
	v_ashrrev_i32_e32 v3, 31, v0
	v_add_nc_u32_e32 v4, 1, v2
	v_cmp_ge_u32_e32 vcc_lo, v1, v5
	s_waitcnt vmcnt(0)
	v_xor_b32_e32 v3, v3, v6
	v_cndmask_b32_e32 v1, v2, v4, vcc_lo
	v_xor_b32_e32 v1, v1, v3
	v_sub_nc_u32_e32 v1, v1, v3
	s_clause 0x2
	buffer_load_dword v2, off, s[0:3], s32 offset:212
	buffer_load_dword v3, off, s[0:3], s32 offset:216
	;; [unrolled: 1-line block ×3, first 2 shown]
	s_waitcnt vmcnt(2)
	v_add_nc_u32_e32 v2, v1, v2
	s_waitcnt vmcnt(1)
	v_sub_nc_u32_e32 v3, 0, v2
	v_max_i32_e32 v3, v2, v3
	v_ashrrev_i32_e32 v2, 31, v2
	s_waitcnt vmcnt(0)
	v_mul_hi_u32 v4, v3, v4
	v_mul_lo_u32 v4, v4, v30
	v_sub_nc_u32_e32 v3, v3, v4
	v_sub_nc_u32_e32 v4, v3, v30
	v_cmp_ge_u32_e32 vcc_lo, v3, v30
	v_cndmask_b32_e32 v3, v3, v4, vcc_lo
	v_sub_nc_u32_e32 v4, v3, v30
	v_cmp_ge_u32_e32 vcc_lo, v3, v30
	v_cndmask_b32_e32 v3, v3, v4, vcc_lo
	v_xor_b32_e32 v3, v3, v2
	v_sub_nc_u32_e32 v2, v3, v2
	v_cmp_eq_u32_e32 vcc_lo, 0, v2
	buffer_load_dword v2, off, s[0:3], s32 offset:232 ; 4-byte Folded Reload
	s_waitcnt vmcnt(0)
	v_cmp_gt_i32_e64 s4, v1, v2
	s_or_b32 s4, vcc_lo, s4
	s_and_saveexec_b32 s16, s4
	s_cbranch_execz .LBB382_1573
; %bb.1575:                             ;   in Loop: Header=BB382_1574 Depth=1
	buffer_load_dword v3, off, s[0:3], s32 offset:708 ; 4-byte Folded Reload
	v_mov_b32_e32 v1, v115
	v_mov_b32_e32 v5, 0
	v_ashrrev_i32_e32 v2, 31, v1
	v_lshlrev_b64 v[1:2], 2, v[1:2]
	s_waitcnt vmcnt(0)
	v_add_co_u32 v1, vcc_lo, v3, v1
	buffer_load_dword v3, off, s[0:3], s32 offset:712 ; 4-byte Folded Reload
	s_waitcnt vmcnt(0)
	v_add_co_ci_u32_e64 v2, null, v3, v2, vcc_lo
	flat_load_dword v1, v[1:2]
	s_clause 0x2
	buffer_load_dword v2, off, s[0:3], s32 offset:608
	buffer_load_dword v3, off, s[0:3], s32 offset:724
	;; [unrolled: 1-line block ×3, first 2 shown]
	s_waitcnt vmcnt(0) lgkmcnt(0)
	v_mad_i64_i32 v[14:15], null, v1, v2, v[3:4]
	v_mov_b32_e32 v4, 0
	flat_load_dwordx2 v[18:19], v[14:15]
	s_clause 0x1
	buffer_load_dword v1, off, s[0:3], s32 offset:864
	buffer_load_dword v2, off, s[0:3], s32 offset:868
	s_waitcnt vmcnt(2) lgkmcnt(0)
	v_cmp_ne_u16_sdwa s17, v18, v11 src0_sel:BYTE_0 src1_sel:DWORD
	s_waitcnt vmcnt(0)
	flat_load_dword v106, v[1:2]
	buffer_load_dword v1, off, s[0:3], s32 offset:720 ; 4-byte Folded Reload
	s_waitcnt vmcnt(0)
	v_or_b32_e32 v105, v0, v1
	v_lshl_add_u32 v0, v105, 2, s11
	ds_read2_b64 v[6:9], v0 offset1:1
	ds_read2_b64 v[0:3], v0 offset0:2 offset1:3
	s_and_saveexec_b32 s4, s17
	s_cbranch_execz .LBB382_1583
; %bb.1576:                             ;   in Loop: Header=BB382_1574 Depth=1
	v_cmp_ne_u16_sdwa s18, v18, v98 src0_sel:BYTE_0 src1_sel:DWORD
	v_bfrev_b32_e32 v4, 1
	s_and_saveexec_b32 s17, s18
	s_cbranch_execz .LBB382_1582
; %bb.1577:                             ;   in Loop: Header=BB382_1574 Depth=1
	v_and_b32_e32 v10, 0x7f, v18
	v_mov_b32_e32 v4, 0x7f800001
	s_mov_b32 s18, exec_lo
	v_cmpx_ne_u32_e32 0x7f, v10
	s_cbranch_execz .LBB382_1581
; %bb.1578:                             ;   in Loop: Header=BB382_1574 Depth=1
	v_mov_b32_e32 v21, v19
	v_lshrrev_b32_e32 v4, 3, v10
	v_mov_b32_e32 v20, v18
	s_mov_b32 s20, exec_lo
	v_cmpx_gt_u32_e32 8, v10
; %bb.1579:                             ;   in Loop: Header=BB382_1574 Depth=1
	v_and_b32_e32 v4, 7, v18
	v_ffbh_u32_e32 v4, v4
	v_min_u32_e32 v4, 32, v4
	v_subrev_nc_u32_e32 v10, 28, v4
	v_sub_nc_u32_e32 v4, 29, v4
	v_lshlrev_b64 v[20:21], v10, v[18:19]
; %bb.1580:                             ;   in Loop: Header=BB382_1574 Depth=1
	s_or_b32 exec_lo, exec_lo, s20
	v_lshlrev_b32_e32 v10, 20, v20
	v_lshlrev_b32_e32 v12, 24, v18
	v_lshl_add_u32 v4, v4, 23, 0x3c000000
	v_and_b32_e32 v10, 0x700000, v10
	v_and_b32_e32 v12, 0x80000000, v12
	v_or3_b32 v4, v10, v12, v4
.LBB382_1581:                           ;   in Loop: Header=BB382_1574 Depth=1
	s_or_b32 exec_lo, exec_lo, s18
.LBB382_1582:                           ;   in Loop: Header=BB382_1574 Depth=1
	s_or_b32 exec_lo, exec_lo, s17
.LBB382_1583:                           ;   in Loop: Header=BB382_1574 Depth=1
	s_or_b32 exec_lo, exec_lo, s4
	v_cmp_ne_u16_sdwa s17, v18, v11 src0_sel:BYTE_1 src1_sel:DWORD
	s_and_saveexec_b32 s4, s17
	s_cbranch_execz .LBB382_1591
; %bb.1584:                             ;   in Loop: Header=BB382_1574 Depth=1
	v_cmp_ne_u16_sdwa s18, v18, v98 src0_sel:BYTE_1 src1_sel:DWORD
	v_bfrev_b32_e32 v5, 1
	s_and_saveexec_b32 s17, s18
	s_cbranch_execz .LBB382_1590
; %bb.1585:                             ;   in Loop: Header=BB382_1574 Depth=1
	v_mov_b32_e32 v5, 0xffff
	s_mov_b32 s18, exec_lo
	v_and_b32_sdwa v10, v5, v18 dst_sel:DWORD dst_unused:UNUSED_PAD src0_sel:DWORD src1_sel:BYTE_1
	v_mov_b32_e32 v5, 0x7f800001
	v_and_b32_e32 v12, 0x7f, v10
	v_cmpx_ne_u32_e32 0x7f, v12
	s_cbranch_execz .LBB382_1589
; %bb.1586:                             ;   in Loop: Header=BB382_1574 Depth=1
	v_and_b32_e32 v10, 7, v10
	v_mov_b32_e32 v21, v11
	v_lshrrev_b32_e32 v5, 3, v12
	s_mov_b32 s20, exec_lo
	v_mov_b32_e32 v20, v10
	v_cmpx_gt_u32_e32 8, v12
; %bb.1587:                             ;   in Loop: Header=BB382_1574 Depth=1
	v_ffbh_u32_e32 v5, v10
	v_min_u32_e32 v5, 32, v5
	v_subrev_nc_u32_e32 v12, 28, v5
	v_sub_nc_u32_e32 v5, 29, v5
	v_lshlrev_b64 v[12:13], v12, v[10:11]
	v_and_b32_e32 v20, 7, v12
; %bb.1588:                             ;   in Loop: Header=BB382_1574 Depth=1
	s_or_b32 exec_lo, exec_lo, s20
	v_lshlrev_b32_e32 v10, 16, v18
	v_lshlrev_b32_e32 v12, 20, v20
	v_lshl_add_u32 v5, v5, 23, 0x3c000000
	v_and_b32_e32 v10, 0x80000000, v10
	v_or3_b32 v5, v12, v10, v5
.LBB382_1589:                           ;   in Loop: Header=BB382_1574 Depth=1
	s_or_b32 exec_lo, exec_lo, s18
.LBB382_1590:                           ;   in Loop: Header=BB382_1574 Depth=1
	s_or_b32 exec_lo, exec_lo, s17
.LBB382_1591:                           ;   in Loop: Header=BB382_1574 Depth=1
	s_or_b32 exec_lo, exec_lo, s4
	v_and_b32_sdwa v10, v18, v100 dst_sel:DWORD dst_unused:UNUSED_PAD src0_sel:WORD_1 src1_sel:DWORD
	v_mov_b32_e32 v13, 0
	v_mov_b32_e32 v12, 0
	s_mov_b32 s4, exec_lo
	v_cmpx_ne_u16_e32 0, v10
	s_cbranch_execz .LBB382_1599
; %bb.1592:                             ;   in Loop: Header=BB382_1574 Depth=1
	v_bfrev_b32_e32 v12, 1
	s_mov_b32 s17, exec_lo
	v_cmpx_ne_u16_e32 0x80, v10
	s_cbranch_execz .LBB382_1598
; %bb.1593:                             ;   in Loop: Header=BB382_1574 Depth=1
	v_bfe_u32 v16, v18, 16, 7
	v_mov_b32_e32 v12, 0x7f800001
	s_mov_b32 s18, exec_lo
	v_cmpx_ne_u32_e32 0x7f, v16
	s_cbranch_execz .LBB382_1597
; %bb.1594:                             ;   in Loop: Header=BB382_1574 Depth=1
	v_mov_b32_e32 v10, 7
	v_lshrrev_b32_e32 v12, 3, v16
	s_mov_b32 s20, exec_lo
	v_and_b32_sdwa v10, v18, v10 dst_sel:DWORD dst_unused:UNUSED_PAD src0_sel:WORD_1 src1_sel:DWORD
	v_mov_b32_e32 v21, v11
	v_mov_b32_e32 v20, v10
	v_cmpx_gt_u32_e32 8, v16
; %bb.1595:                             ;   in Loop: Header=BB382_1574 Depth=1
	v_ffbh_u32_e32 v12, v10
	v_min_u32_e32 v12, 32, v12
	v_subrev_nc_u32_e32 v16, 28, v12
	v_sub_nc_u32_e32 v12, 29, v12
	v_lshlrev_b64 v[16:17], v16, v[10:11]
	v_and_b32_e32 v20, 7, v16
; %bb.1596:                             ;   in Loop: Header=BB382_1574 Depth=1
	s_or_b32 exec_lo, exec_lo, s20
	v_mov_b32_e32 v10, 24
	v_lshlrev_b32_e32 v16, 20, v20
	v_lshl_add_u32 v12, v12, 23, 0x3c000000
	v_lshlrev_b32_sdwa v10, v10, v18 dst_sel:DWORD dst_unused:UNUSED_PAD src0_sel:DWORD src1_sel:WORD_1
	v_and_b32_e32 v10, 0x80000000, v10
	v_or3_b32 v12, v16, v10, v12
.LBB382_1597:                           ;   in Loop: Header=BB382_1574 Depth=1
	s_or_b32 exec_lo, exec_lo, s18
.LBB382_1598:                           ;   in Loop: Header=BB382_1574 Depth=1
	s_or_b32 exec_lo, exec_lo, s17
.LBB382_1599:                           ;   in Loop: Header=BB382_1574 Depth=1
	s_or_b32 exec_lo, exec_lo, s4
	s_mov_b32 s4, exec_lo
	v_cmpx_lt_u32_e32 0xffffff, v18
	s_cbranch_execz .LBB382_1607
; %bb.1600:                             ;   in Loop: Header=BB382_1574 Depth=1
	v_cmp_ne_u32_sdwa s18, v18, v98 src0_sel:BYTE_3 src1_sel:DWORD
	v_bfrev_b32_e32 v13, 1
	s_and_saveexec_b32 s17, s18
	s_cbranch_execz .LBB382_1606
; %bb.1601:                             ;   in Loop: Header=BB382_1574 Depth=1
	v_bfe_u32 v16, v18, 24, 7
	v_mov_b32_e32 v13, 0x7f800001
	s_mov_b32 s18, exec_lo
	v_cmpx_ne_u32_e32 0x7f, v16
	s_cbranch_execz .LBB382_1605
; %bb.1602:                             ;   in Loop: Header=BB382_1574 Depth=1
	v_mov_b32_e32 v10, 7
	v_lshrrev_b32_e32 v13, 3, v16
	s_mov_b32 s20, exec_lo
	v_and_b32_sdwa v10, v18, v10 dst_sel:DWORD dst_unused:UNUSED_PAD src0_sel:BYTE_3 src1_sel:DWORD
	v_mov_b32_e32 v21, v11
	v_mov_b32_e32 v20, v10
	v_cmpx_gt_u32_e32 8, v16
; %bb.1603:                             ;   in Loop: Header=BB382_1574 Depth=1
	v_ffbh_u32_e32 v13, v10
	v_min_u32_e32 v13, 32, v13
	v_subrev_nc_u32_e32 v16, 28, v13
	v_sub_nc_u32_e32 v13, 29, v13
	v_lshlrev_b64 v[16:17], v16, v[10:11]
	v_and_b32_e32 v20, 7, v16
; %bb.1604:                             ;   in Loop: Header=BB382_1574 Depth=1
	s_or_b32 exec_lo, exec_lo, s20
	v_mov_b32_e32 v10, 24
	v_lshlrev_b32_e32 v16, 20, v20
	v_lshl_add_u32 v13, v13, 23, 0x3c000000
	v_lshlrev_b32_sdwa v10, v10, v18 dst_sel:DWORD dst_unused:UNUSED_PAD src0_sel:DWORD src1_sel:BYTE_3
	v_and_b32_e32 v10, 0x80000000, v10
	v_or3_b32 v13, v16, v10, v13
.LBB382_1605:                           ;   in Loop: Header=BB382_1574 Depth=1
	s_or_b32 exec_lo, exec_lo, s18
.LBB382_1606:                           ;   in Loop: Header=BB382_1574 Depth=1
	s_or_b32 exec_lo, exec_lo, s17
.LBB382_1607:                           ;   in Loop: Header=BB382_1574 Depth=1
	s_or_b32 exec_lo, exec_lo, s4
	v_mov_b32_e32 v10, v19
	v_cmp_ne_u16_sdwa s17, v19, v11 src0_sel:BYTE_0 src1_sel:DWORD
	v_mov_b32_e32 v17, 0
	v_mov_b32_e32 v16, 0
	s_and_saveexec_b32 s4, s17
	s_cbranch_execz .LBB382_1615
; %bb.1608:                             ;   in Loop: Header=BB382_1574 Depth=1
	v_cmp_ne_u16_sdwa s18, v19, v98 src0_sel:BYTE_0 src1_sel:DWORD
	v_bfrev_b32_e32 v16, 1
	s_and_saveexec_b32 s17, s18
	s_cbranch_execz .LBB382_1614
; %bb.1609:                             ;   in Loop: Header=BB382_1574 Depth=1
	v_and_b32_e32 v20, 0x7f, v19
	v_mov_b32_e32 v16, 0x7f800001
	s_mov_b32 s18, exec_lo
	v_cmpx_ne_u32_e32 0x7f, v20
	s_cbranch_execz .LBB382_1613
; %bb.1610:                             ;   in Loop: Header=BB382_1574 Depth=1
	v_lshrrev_b32_e32 v16, 3, v20
	v_cmp_gt_u32_e32 vcc_lo, 8, v20
	v_mov_b32_e32 v21, v11
	v_mov_b32_e32 v20, v10
	s_and_saveexec_b32 s20, vcc_lo
; %bb.1611:                             ;   in Loop: Header=BB382_1574 Depth=1
	v_and_b32_e32 v16, 7, v19
	v_ffbh_u32_e32 v16, v16
	v_min_u32_e32 v16, 32, v16
	v_subrev_nc_u32_e32 v20, 28, v16
	v_sub_nc_u32_e32 v16, 29, v16
	v_lshlrev_b64 v[20:21], v20, v[10:11]
; %bb.1612:                             ;   in Loop: Header=BB382_1574 Depth=1
	s_or_b32 exec_lo, exec_lo, s20
	v_lshlrev_b32_e32 v20, 20, v20
	v_lshlrev_b32_e32 v21, 24, v10
	v_lshl_add_u32 v16, v16, 23, 0x3c000000
	v_and_b32_e32 v20, 0x700000, v20
	v_and_b32_e32 v21, 0x80000000, v21
	v_or3_b32 v16, v20, v21, v16
.LBB382_1613:                           ;   in Loop: Header=BB382_1574 Depth=1
	s_or_b32 exec_lo, exec_lo, s18
.LBB382_1614:                           ;   in Loop: Header=BB382_1574 Depth=1
	s_or_b32 exec_lo, exec_lo, s17
.LBB382_1615:                           ;   in Loop: Header=BB382_1574 Depth=1
	s_or_b32 exec_lo, exec_lo, s4
	v_cmp_ne_u16_sdwa s17, v10, v11 src0_sel:BYTE_1 src1_sel:DWORD
	s_and_saveexec_b32 s4, s17
	s_cbranch_execz .LBB382_1623
; %bb.1616:                             ;   in Loop: Header=BB382_1574 Depth=1
	v_cmp_ne_u16_sdwa s18, v10, v98 src0_sel:BYTE_1 src1_sel:DWORD
	v_bfrev_b32_e32 v17, 1
	s_and_saveexec_b32 s17, s18
	s_cbranch_execz .LBB382_1622
; %bb.1617:                             ;   in Loop: Header=BB382_1574 Depth=1
	v_mov_b32_e32 v17, 0xffff
	s_mov_b32 s18, exec_lo
	v_and_b32_sdwa v20, v17, v10 dst_sel:DWORD dst_unused:UNUSED_PAD src0_sel:DWORD src1_sel:BYTE_1
	v_mov_b32_e32 v17, 0x7f800001
	v_and_b32_e32 v22, 0x7f, v20
	v_cmpx_ne_u32_e32 0x7f, v22
	s_cbranch_execz .LBB382_1621
; %bb.1618:                             ;   in Loop: Header=BB382_1574 Depth=1
	v_and_b32_e32 v20, 7, v20
	v_mov_b32_e32 v21, v11
	v_lshrrev_b32_e32 v17, 3, v22
	s_mov_b32 s20, exec_lo
	v_cmpx_gt_u32_e32 8, v22
; %bb.1619:                             ;   in Loop: Header=BB382_1574 Depth=1
	v_ffbh_u32_e32 v17, v20
	v_min_u32_e32 v17, 32, v17
	v_subrev_nc_u32_e32 v22, 28, v17
	v_sub_nc_u32_e32 v17, 29, v17
	v_lshlrev_b64 v[20:21], v22, v[20:21]
	v_and_b32_e32 v20, 7, v20
; %bb.1620:                             ;   in Loop: Header=BB382_1574 Depth=1
	s_or_b32 exec_lo, exec_lo, s20
	v_lshlrev_b32_e32 v10, 16, v10
	v_lshlrev_b32_e32 v20, 20, v20
	v_lshl_add_u32 v17, v17, 23, 0x3c000000
	v_and_b32_e32 v10, 0x80000000, v10
	v_or3_b32 v17, v20, v10, v17
.LBB382_1621:                           ;   in Loop: Header=BB382_1574 Depth=1
	s_or_b32 exec_lo, exec_lo, s18
.LBB382_1622:                           ;   in Loop: Header=BB382_1574 Depth=1
	s_or_b32 exec_lo, exec_lo, s17
.LBB382_1623:                           ;   in Loop: Header=BB382_1574 Depth=1
	s_or_b32 exec_lo, exec_lo, s4
	v_and_b32_sdwa v10, v19, v100 dst_sel:DWORD dst_unused:UNUSED_PAD src0_sel:WORD_1 src1_sel:DWORD
	v_mov_b32_e32 v22, 0
	v_mov_b32_e32 v23, 0
	s_mov_b32 s4, exec_lo
	v_cmpx_ne_u16_e32 0, v10
	s_cbranch_execz .LBB382_1631
; %bb.1624:                             ;   in Loop: Header=BB382_1574 Depth=1
	v_bfrev_b32_e32 v23, 1
	s_mov_b32 s17, exec_lo
	v_cmpx_ne_u16_e32 0x80, v10
	s_cbranch_execz .LBB382_1630
; %bb.1625:                             ;   in Loop: Header=BB382_1574 Depth=1
	v_bfe_u32 v20, v19, 16, 7
	v_mov_b32_e32 v23, 0x7f800001
	s_mov_b32 s18, exec_lo
	v_cmpx_ne_u32_e32 0x7f, v20
	s_cbranch_execz .LBB382_1629
; %bb.1626:                             ;   in Loop: Header=BB382_1574 Depth=1
	v_mov_b32_e32 v10, 7
	v_lshrrev_b32_e32 v23, 3, v20
	v_cmp_gt_u32_e32 vcc_lo, 8, v20
	v_and_b32_sdwa v10, v19, v10 dst_sel:DWORD dst_unused:UNUSED_PAD src0_sel:WORD_1 src1_sel:DWORD
	v_mov_b32_e32 v21, v11
	v_mov_b32_e32 v20, v10
	s_and_saveexec_b32 s20, vcc_lo
; %bb.1627:                             ;   in Loop: Header=BB382_1574 Depth=1
	v_ffbh_u32_e32 v20, v10
	v_min_u32_e32 v23, 32, v20
	v_subrev_nc_u32_e32 v20, 28, v23
	v_sub_nc_u32_e32 v23, 29, v23
	v_lshlrev_b64 v[20:21], v20, v[10:11]
	v_and_b32_e32 v20, 7, v20
; %bb.1628:                             ;   in Loop: Header=BB382_1574 Depth=1
	s_or_b32 exec_lo, exec_lo, s20
	v_mov_b32_e32 v10, 24
	v_lshlrev_b32_e32 v20, 20, v20
	v_lshl_add_u32 v21, v23, 23, 0x3c000000
	v_lshlrev_b32_sdwa v10, v10, v19 dst_sel:DWORD dst_unused:UNUSED_PAD src0_sel:DWORD src1_sel:WORD_1
	v_and_b32_e32 v10, 0x80000000, v10
	v_or3_b32 v23, v20, v10, v21
.LBB382_1629:                           ;   in Loop: Header=BB382_1574 Depth=1
	s_or_b32 exec_lo, exec_lo, s18
.LBB382_1630:                           ;   in Loop: Header=BB382_1574 Depth=1
	s_or_b32 exec_lo, exec_lo, s17
.LBB382_1631:                           ;   in Loop: Header=BB382_1574 Depth=1
	s_or_b32 exec_lo, exec_lo, s4
	s_mov_b32 s4, exec_lo
	v_cmpx_lt_u64_e64 s[12:13], v[18:19]
	s_cbranch_execz .LBB382_1639
; %bb.1632:                             ;   in Loop: Header=BB382_1574 Depth=1
	v_cmp_ne_u32_sdwa s18, v19, v98 src0_sel:BYTE_3 src1_sel:DWORD
	v_bfrev_b32_e32 v22, 1
	s_and_saveexec_b32 s17, s18
	s_cbranch_execz .LBB382_1638
; %bb.1633:                             ;   in Loop: Header=BB382_1574 Depth=1
	v_bfe_u32 v20, v19, 24, 7
	v_mov_b32_e32 v22, 0x7f800001
	s_mov_b32 s18, exec_lo
	v_cmpx_ne_u32_e32 0x7f, v20
	s_cbranch_execz .LBB382_1637
; %bb.1634:                             ;   in Loop: Header=BB382_1574 Depth=1
	v_mov_b32_e32 v10, 7
	v_lshrrev_b32_e32 v18, 3, v20
	v_cmp_gt_u32_e32 vcc_lo, 8, v20
	v_and_b32_sdwa v10, v19, v10 dst_sel:DWORD dst_unused:UNUSED_PAD src0_sel:BYTE_3 src1_sel:DWORD
	v_mov_b32_e32 v21, v11
	v_mov_b32_e32 v20, v10
	s_and_saveexec_b32 s20, vcc_lo
; %bb.1635:                             ;   in Loop: Header=BB382_1574 Depth=1
	v_ffbh_u32_e32 v18, v10
	v_min_u32_e32 v18, 32, v18
	v_subrev_nc_u32_e32 v20, 28, v18
	v_sub_nc_u32_e32 v18, 29, v18
	v_lshlrev_b64 v[20:21], v20, v[10:11]
	v_and_b32_e32 v20, 7, v20
; %bb.1636:                             ;   in Loop: Header=BB382_1574 Depth=1
	s_or_b32 exec_lo, exec_lo, s20
	v_mov_b32_e32 v10, 24
	v_lshl_add_u32 v18, v18, 23, 0x3c000000
	v_lshlrev_b32_sdwa v10, v10, v19 dst_sel:DWORD dst_unused:UNUSED_PAD src0_sel:DWORD src1_sel:BYTE_3
	v_lshlrev_b32_e32 v19, 20, v20
	v_and_b32_e32 v10, 0x80000000, v10
	v_or3_b32 v22, v19, v10, v18
.LBB382_1637:                           ;   in Loop: Header=BB382_1574 Depth=1
	s_or_b32 exec_lo, exec_lo, s18
.LBB382_1638:                           ;   in Loop: Header=BB382_1574 Depth=1
	s_or_b32 exec_lo, exec_lo, s17
.LBB382_1639:                           ;   in Loop: Header=BB382_1574 Depth=1
	s_or_b32 exec_lo, exec_lo, s4
	s_waitcnt lgkmcnt(2)
	v_mul_f32_e32 v10, v106, v17
	buffer_load_dword v17, off, s[0:3], s32 offset:716 ; 4-byte Folded Reload
	v_mul_f32_e32 v16, v106, v16
	v_mul_f32_e32 v13, v106, v13
	;; [unrolled: 1-line block ×3, first 2 shown]
	v_or_b32_e32 v18, 0x400000, v10
	v_cmp_u_f32_e64 s4, v10, v10
	v_bfe_u32 v19, v16, 16, 1
	v_or_b32_e32 v20, 0x400000, v16
	v_bfe_u32 v21, v13, 16, 1
	v_or_b32_e32 v24, 0x400000, v13
	v_mul_f32_e32 v5, v106, v5
	v_add3_u32 v19, v19, v16, 0x7fff
	v_mul_f32_e32 v4, v106, v4
	v_or_b32_e32 v126, 1, v105
	v_or_b32_e32 v125, 2, v105
	;; [unrolled: 1-line block ×7, first 2 shown]
	s_waitcnt vmcnt(0)
	v_cmp_eq_u32_e32 vcc_lo, v115, v17
	v_bfe_u32 v17, v10, 16, 1
	v_add3_u32 v17, v17, v10, 0x7fff
	v_cndmask_b32_e64 v10, v17, v18, s4
	v_cmp_u_f32_e64 s4, v16, v16
	v_add3_u32 v18, v21, v13, 0x7fff
	v_bfe_u32 v17, v12, 16, 1
	v_lshrrev_b32_e32 v10, 16, v10
	v_cndmask_b32_e64 v16, v19, v20, s4
	v_cmp_u_f32_e64 s4, v13, v13
	v_add3_u32 v13, v17, v12, 0x7fff
	v_or_b32_e32 v17, 0x400000, v12
	buffer_store_dword v10, off, s[0:3], s32 offset:244 ; 4-byte Folded Spill
	v_lshrrev_b32_e32 v16, 16, v16
	v_cndmask_b32_e64 v10, v18, v24, s4
	v_cmp_u_f32_e64 s4, v12, v12
	v_bfe_u32 v18, v4, 16, 1
	buffer_store_dword v16, off, s[0:3], s32 offset:236 ; 4-byte Folded Spill
	v_lshrrev_b32_e32 v10, 16, v10
	v_cndmask_b32_e64 v12, v13, v17, s4
	v_mul_f32_e32 v13, v106, v23
	v_or_b32_e32 v16, 0x400000, v5
	v_cmp_u_f32_e64 s4, v5, v5
	buffer_store_dword v10, off, s[0:3], s32 offset:248 ; 4-byte Folded Spill
	v_bfe_u32 v10, v5, 16, 1
	v_mul_f32_e32 v17, v106, v22
	v_bfe_u32 v19, v13, 16, 1
	v_or_b32_e32 v20, 0x400000, v13
	v_lshrrev_b32_e32 v12, 16, v12
	v_add3_u32 v10, v10, v5, 0x7fff
	v_or_b32_e32 v21, 0x400000, v17
	v_add3_u32 v19, v19, v13, 0x7fff
	buffer_store_dword v12, off, s[0:3], s32 offset:252 ; 4-byte Folded Spill
	v_cndmask_b32_e64 v5, v10, v16, s4
	v_add3_u32 v16, v18, v4, 0x7fff
	v_or_b32_e32 v18, 0x400000, v4
	v_cmp_u_f32_e64 s4, v4, v4
	v_bfe_u32 v10, v17, 16, 1
	v_lshrrev_b32_e32 v5, 16, v5
	v_cndmask_b32_e64 v4, v16, v18, s4
	v_cmp_u_f32_e64 s4, v13, v13
	v_add3_u32 v10, v10, v17, 0x7fff
	buffer_store_dword v5, off, s[0:3], s32 offset:260 ; 4-byte Folded Spill
	v_lshrrev_b32_e32 v4, 16, v4
	v_cndmask_b32_e64 v13, v19, v20, s4
	v_cmp_u_f32_e64 s4, v17, v17
	buffer_store_dword v4, off, s[0:3], s32 offset:256 ; 4-byte Folded Spill
	v_lshrrev_b32_e32 v4, 16, v13
	v_cndmask_b32_e64 v10, v10, v21, s4
	buffer_store_dword v4, off, s[0:3], s32 offset:200 ; 4-byte Folded Spill
	v_lshrrev_b32_e32 v4, 16, v10
	buffer_store_dword v4, off, s[0:3], s32 offset:240 ; 4-byte Folded Spill
	s_and_saveexec_b32 s17, vcc_lo
	s_cbranch_execz .LBB382_1641
; %bb.1640:                             ;   in Loop: Header=BB382_1574 Depth=1
	buffer_load_dword v4, off, s[0:3], s32 offset:256 ; 4-byte Folded Reload
	v_cmp_lt_i32_e64 s4, v105, v92
	s_waitcnt vmcnt(0)
	v_cndmask_b32_e64 v4, 0, v4, s4
	v_cmp_lt_i32_e64 s4, v126, v92
	buffer_store_dword v4, off, s[0:3], s32 offset:256 ; 4-byte Folded Spill
	buffer_load_dword v4, off, s[0:3], s32 offset:260 ; 4-byte Folded Reload
	s_waitcnt vmcnt(0)
	v_cndmask_b32_e64 v4, 0, v4, s4
	v_cmp_lt_i32_e64 s4, v125, v92
	buffer_store_dword v4, off, s[0:3], s32 offset:260 ; 4-byte Folded Spill
	buffer_load_dword v4, off, s[0:3], s32 offset:252 ; 4-byte Folded Reload
	;; [unrolled: 5-line block ×7, first 2 shown]
	s_waitcnt vmcnt(0)
	v_cndmask_b32_e64 v4, 0, v4, s4
	buffer_store_dword v4, off, s[0:3], s32 offset:240 ; 4-byte Folded Spill
.LBB382_1641:                           ;   in Loop: Header=BB382_1574 Depth=1
	s_or_b32 exec_lo, exec_lo, s17
	flat_load_dwordx2 v[18:19], v[14:15] offset:256
	v_mov_b32_e32 v5, 0
	v_mov_b32_e32 v4, 0
	s_waitcnt vmcnt(0) lgkmcnt(0)
	v_cmp_ne_u16_sdwa s4, v18, v11 src0_sel:BYTE_0 src1_sel:DWORD
	s_and_saveexec_b32 s17, s4
	s_cbranch_execz .LBB382_1649
; %bb.1642:                             ;   in Loop: Header=BB382_1574 Depth=1
	v_cmp_ne_u16_sdwa s4, v18, v98 src0_sel:BYTE_0 src1_sel:DWORD
	v_bfrev_b32_e32 v4, 1
	s_and_saveexec_b32 s18, s4
	s_cbranch_execz .LBB382_1648
; %bb.1643:                             ;   in Loop: Header=BB382_1574 Depth=1
	v_and_b32_e32 v10, 0x7f, v18
	v_mov_b32_e32 v4, 0x7f800001
	s_mov_b32 s20, exec_lo
	v_cmpx_ne_u32_e32 0x7f, v10
	s_cbranch_execz .LBB382_1647
; %bb.1644:                             ;   in Loop: Header=BB382_1574 Depth=1
	v_mov_b32_e32 v21, v19
	v_lshrrev_b32_e32 v4, 3, v10
	v_mov_b32_e32 v20, v18
	s_mov_b32 s21, exec_lo
	v_cmpx_gt_u32_e32 8, v10
; %bb.1645:                             ;   in Loop: Header=BB382_1574 Depth=1
	v_and_b32_e32 v4, 7, v18
	v_ffbh_u32_e32 v4, v4
	v_min_u32_e32 v4, 32, v4
	v_subrev_nc_u32_e32 v10, 28, v4
	v_sub_nc_u32_e32 v4, 29, v4
	v_lshlrev_b64 v[20:21], v10, v[18:19]
; %bb.1646:                             ;   in Loop: Header=BB382_1574 Depth=1
	s_or_b32 exec_lo, exec_lo, s21
	v_lshlrev_b32_e32 v10, 20, v20
	v_lshlrev_b32_e32 v12, 24, v18
	v_lshl_add_u32 v4, v4, 23, 0x3c000000
	v_and_b32_e32 v10, 0x700000, v10
	v_and_b32_e32 v12, 0x80000000, v12
	v_or3_b32 v4, v10, v12, v4
.LBB382_1647:                           ;   in Loop: Header=BB382_1574 Depth=1
	s_or_b32 exec_lo, exec_lo, s20
.LBB382_1648:                           ;   in Loop: Header=BB382_1574 Depth=1
	s_or_b32 exec_lo, exec_lo, s18
.LBB382_1649:                           ;   in Loop: Header=BB382_1574 Depth=1
	s_or_b32 exec_lo, exec_lo, s17
	v_cmp_ne_u16_sdwa s4, v18, v11 src0_sel:BYTE_1 src1_sel:DWORD
	s_and_saveexec_b32 s17, s4
	s_cbranch_execz .LBB382_1657
; %bb.1650:                             ;   in Loop: Header=BB382_1574 Depth=1
	v_cmp_ne_u16_sdwa s4, v18, v98 src0_sel:BYTE_1 src1_sel:DWORD
	v_bfrev_b32_e32 v5, 1
	s_and_saveexec_b32 s18, s4
	s_cbranch_execz .LBB382_1656
; %bb.1651:                             ;   in Loop: Header=BB382_1574 Depth=1
	v_mov_b32_e32 v5, 0xffff
	s_mov_b32 s20, exec_lo
	v_and_b32_sdwa v10, v5, v18 dst_sel:DWORD dst_unused:UNUSED_PAD src0_sel:DWORD src1_sel:BYTE_1
	v_mov_b32_e32 v5, 0x7f800001
	v_and_b32_e32 v12, 0x7f, v10
	v_cmpx_ne_u32_e32 0x7f, v12
	s_cbranch_execz .LBB382_1655
; %bb.1652:                             ;   in Loop: Header=BB382_1574 Depth=1
	v_and_b32_e32 v10, 7, v10
	v_mov_b32_e32 v21, v11
	v_lshrrev_b32_e32 v5, 3, v12
	s_mov_b32 s21, exec_lo
	v_mov_b32_e32 v20, v10
	v_cmpx_gt_u32_e32 8, v12
; %bb.1653:                             ;   in Loop: Header=BB382_1574 Depth=1
	v_ffbh_u32_e32 v5, v10
	v_min_u32_e32 v5, 32, v5
	v_subrev_nc_u32_e32 v12, 28, v5
	v_sub_nc_u32_e32 v5, 29, v5
	v_lshlrev_b64 v[12:13], v12, v[10:11]
	v_and_b32_e32 v20, 7, v12
; %bb.1654:                             ;   in Loop: Header=BB382_1574 Depth=1
	s_or_b32 exec_lo, exec_lo, s21
	v_lshlrev_b32_e32 v10, 16, v18
	v_lshlrev_b32_e32 v12, 20, v20
	v_lshl_add_u32 v5, v5, 23, 0x3c000000
	v_and_b32_e32 v10, 0x80000000, v10
	v_or3_b32 v5, v12, v10, v5
.LBB382_1655:                           ;   in Loop: Header=BB382_1574 Depth=1
	s_or_b32 exec_lo, exec_lo, s20
.LBB382_1656:                           ;   in Loop: Header=BB382_1574 Depth=1
	s_or_b32 exec_lo, exec_lo, s18
.LBB382_1657:                           ;   in Loop: Header=BB382_1574 Depth=1
	s_or_b32 exec_lo, exec_lo, s17
	v_and_b32_sdwa v10, v18, v100 dst_sel:DWORD dst_unused:UNUSED_PAD src0_sel:WORD_1 src1_sel:DWORD
	v_mov_b32_e32 v13, 0
	v_mov_b32_e32 v12, 0
	s_mov_b32 s17, exec_lo
	v_cmpx_ne_u16_e32 0, v10
	s_cbranch_execz .LBB382_1665
; %bb.1658:                             ;   in Loop: Header=BB382_1574 Depth=1
	v_bfrev_b32_e32 v12, 1
	s_mov_b32 s18, exec_lo
	v_cmpx_ne_u16_e32 0x80, v10
	s_cbranch_execz .LBB382_1664
; %bb.1659:                             ;   in Loop: Header=BB382_1574 Depth=1
	v_bfe_u32 v16, v18, 16, 7
	v_mov_b32_e32 v12, 0x7f800001
	s_mov_b32 s20, exec_lo
	v_cmpx_ne_u32_e32 0x7f, v16
	s_cbranch_execz .LBB382_1663
; %bb.1660:                             ;   in Loop: Header=BB382_1574 Depth=1
	v_mov_b32_e32 v10, 7
	v_lshrrev_b32_e32 v12, 3, v16
	s_mov_b32 s21, exec_lo
	v_and_b32_sdwa v10, v18, v10 dst_sel:DWORD dst_unused:UNUSED_PAD src0_sel:WORD_1 src1_sel:DWORD
	v_mov_b32_e32 v21, v11
	v_mov_b32_e32 v20, v10
	v_cmpx_gt_u32_e32 8, v16
; %bb.1661:                             ;   in Loop: Header=BB382_1574 Depth=1
	v_ffbh_u32_e32 v12, v10
	v_min_u32_e32 v12, 32, v12
	v_subrev_nc_u32_e32 v16, 28, v12
	v_sub_nc_u32_e32 v12, 29, v12
	v_lshlrev_b64 v[16:17], v16, v[10:11]
	v_and_b32_e32 v20, 7, v16
; %bb.1662:                             ;   in Loop: Header=BB382_1574 Depth=1
	s_or_b32 exec_lo, exec_lo, s21
	v_mov_b32_e32 v10, 24
	v_lshlrev_b32_e32 v16, 20, v20
	v_lshl_add_u32 v12, v12, 23, 0x3c000000
	v_lshlrev_b32_sdwa v10, v10, v18 dst_sel:DWORD dst_unused:UNUSED_PAD src0_sel:DWORD src1_sel:WORD_1
	v_and_b32_e32 v10, 0x80000000, v10
	v_or3_b32 v12, v16, v10, v12
.LBB382_1663:                           ;   in Loop: Header=BB382_1574 Depth=1
	s_or_b32 exec_lo, exec_lo, s20
.LBB382_1664:                           ;   in Loop: Header=BB382_1574 Depth=1
	s_or_b32 exec_lo, exec_lo, s18
.LBB382_1665:                           ;   in Loop: Header=BB382_1574 Depth=1
	s_or_b32 exec_lo, exec_lo, s17
	s_mov_b32 s17, exec_lo
	v_cmpx_lt_u32_e32 0xffffff, v18
	s_cbranch_execz .LBB382_1673
; %bb.1666:                             ;   in Loop: Header=BB382_1574 Depth=1
	v_cmp_ne_u32_sdwa s4, v18, v98 src0_sel:BYTE_3 src1_sel:DWORD
	v_bfrev_b32_e32 v13, 1
	s_and_saveexec_b32 s18, s4
	s_cbranch_execz .LBB382_1672
; %bb.1667:                             ;   in Loop: Header=BB382_1574 Depth=1
	v_bfe_u32 v16, v18, 24, 7
	v_mov_b32_e32 v13, 0x7f800001
	s_mov_b32 s20, exec_lo
	v_cmpx_ne_u32_e32 0x7f, v16
	s_cbranch_execz .LBB382_1671
; %bb.1668:                             ;   in Loop: Header=BB382_1574 Depth=1
	v_mov_b32_e32 v10, 7
	v_lshrrev_b32_e32 v13, 3, v16
	s_mov_b32 s21, exec_lo
	v_and_b32_sdwa v10, v18, v10 dst_sel:DWORD dst_unused:UNUSED_PAD src0_sel:BYTE_3 src1_sel:DWORD
	v_mov_b32_e32 v21, v11
	v_mov_b32_e32 v20, v10
	v_cmpx_gt_u32_e32 8, v16
; %bb.1669:                             ;   in Loop: Header=BB382_1574 Depth=1
	v_ffbh_u32_e32 v13, v10
	v_min_u32_e32 v13, 32, v13
	v_subrev_nc_u32_e32 v16, 28, v13
	v_sub_nc_u32_e32 v13, 29, v13
	v_lshlrev_b64 v[16:17], v16, v[10:11]
	v_and_b32_e32 v20, 7, v16
; %bb.1670:                             ;   in Loop: Header=BB382_1574 Depth=1
	s_or_b32 exec_lo, exec_lo, s21
	v_mov_b32_e32 v10, 24
	v_lshlrev_b32_e32 v16, 20, v20
	v_lshl_add_u32 v13, v13, 23, 0x3c000000
	v_lshlrev_b32_sdwa v10, v10, v18 dst_sel:DWORD dst_unused:UNUSED_PAD src0_sel:DWORD src1_sel:BYTE_3
	v_and_b32_e32 v10, 0x80000000, v10
	v_or3_b32 v13, v16, v10, v13
.LBB382_1671:                           ;   in Loop: Header=BB382_1574 Depth=1
	s_or_b32 exec_lo, exec_lo, s20
.LBB382_1672:                           ;   in Loop: Header=BB382_1574 Depth=1
	s_or_b32 exec_lo, exec_lo, s18
.LBB382_1673:                           ;   in Loop: Header=BB382_1574 Depth=1
	s_or_b32 exec_lo, exec_lo, s17
	v_mov_b32_e32 v10, v19
	v_cmp_ne_u16_sdwa s4, v19, v11 src0_sel:BYTE_0 src1_sel:DWORD
	v_mov_b32_e32 v17, 0
	v_mov_b32_e32 v16, 0
	s_and_saveexec_b32 s17, s4
	s_cbranch_execz .LBB382_1681
; %bb.1674:                             ;   in Loop: Header=BB382_1574 Depth=1
	v_cmp_ne_u16_sdwa s4, v19, v98 src0_sel:BYTE_0 src1_sel:DWORD
	v_bfrev_b32_e32 v16, 1
	s_and_saveexec_b32 s18, s4
	s_cbranch_execz .LBB382_1680
; %bb.1675:                             ;   in Loop: Header=BB382_1574 Depth=1
	v_and_b32_e32 v20, 0x7f, v19
	v_mov_b32_e32 v16, 0x7f800001
	s_mov_b32 s20, exec_lo
	v_cmpx_ne_u32_e32 0x7f, v20
	s_cbranch_execz .LBB382_1679
; %bb.1676:                             ;   in Loop: Header=BB382_1574 Depth=1
	v_lshrrev_b32_e32 v16, 3, v20
	v_cmp_gt_u32_e64 s4, 8, v20
	v_mov_b32_e32 v21, v11
	v_mov_b32_e32 v20, v10
	s_and_saveexec_b32 s21, s4
; %bb.1677:                             ;   in Loop: Header=BB382_1574 Depth=1
	v_and_b32_e32 v16, 7, v19
	v_ffbh_u32_e32 v16, v16
	v_min_u32_e32 v16, 32, v16
	v_subrev_nc_u32_e32 v20, 28, v16
	v_sub_nc_u32_e32 v16, 29, v16
	v_lshlrev_b64 v[20:21], v20, v[10:11]
; %bb.1678:                             ;   in Loop: Header=BB382_1574 Depth=1
	s_or_b32 exec_lo, exec_lo, s21
	v_lshlrev_b32_e32 v20, 20, v20
	v_lshlrev_b32_e32 v21, 24, v10
	v_lshl_add_u32 v16, v16, 23, 0x3c000000
	v_and_b32_e32 v20, 0x700000, v20
	v_and_b32_e32 v21, 0x80000000, v21
	v_or3_b32 v16, v20, v21, v16
.LBB382_1679:                           ;   in Loop: Header=BB382_1574 Depth=1
	s_or_b32 exec_lo, exec_lo, s20
.LBB382_1680:                           ;   in Loop: Header=BB382_1574 Depth=1
	s_or_b32 exec_lo, exec_lo, s18
.LBB382_1681:                           ;   in Loop: Header=BB382_1574 Depth=1
	s_or_b32 exec_lo, exec_lo, s17
	v_cmp_ne_u16_sdwa s4, v10, v11 src0_sel:BYTE_1 src1_sel:DWORD
	s_and_saveexec_b32 s17, s4
	s_cbranch_execz .LBB382_1689
; %bb.1682:                             ;   in Loop: Header=BB382_1574 Depth=1
	v_cmp_ne_u16_sdwa s4, v10, v98 src0_sel:BYTE_1 src1_sel:DWORD
	v_bfrev_b32_e32 v17, 1
	s_and_saveexec_b32 s18, s4
	s_cbranch_execz .LBB382_1688
; %bb.1683:                             ;   in Loop: Header=BB382_1574 Depth=1
	v_mov_b32_e32 v17, 0xffff
	s_mov_b32 s20, exec_lo
	v_and_b32_sdwa v20, v17, v10 dst_sel:DWORD dst_unused:UNUSED_PAD src0_sel:DWORD src1_sel:BYTE_1
	v_mov_b32_e32 v17, 0x7f800001
	v_and_b32_e32 v22, 0x7f, v20
	v_cmpx_ne_u32_e32 0x7f, v22
	s_cbranch_execz .LBB382_1687
; %bb.1684:                             ;   in Loop: Header=BB382_1574 Depth=1
	v_and_b32_e32 v20, 7, v20
	v_mov_b32_e32 v21, v11
	v_lshrrev_b32_e32 v17, 3, v22
	s_mov_b32 s21, exec_lo
	v_cmpx_gt_u32_e32 8, v22
; %bb.1685:                             ;   in Loop: Header=BB382_1574 Depth=1
	v_ffbh_u32_e32 v17, v20
	v_min_u32_e32 v17, 32, v17
	v_subrev_nc_u32_e32 v22, 28, v17
	v_sub_nc_u32_e32 v17, 29, v17
	v_lshlrev_b64 v[20:21], v22, v[20:21]
	v_and_b32_e32 v20, 7, v20
; %bb.1686:                             ;   in Loop: Header=BB382_1574 Depth=1
	s_or_b32 exec_lo, exec_lo, s21
	v_lshlrev_b32_e32 v10, 16, v10
	v_lshlrev_b32_e32 v20, 20, v20
	v_lshl_add_u32 v17, v17, 23, 0x3c000000
	v_and_b32_e32 v10, 0x80000000, v10
	v_or3_b32 v17, v20, v10, v17
.LBB382_1687:                           ;   in Loop: Header=BB382_1574 Depth=1
	s_or_b32 exec_lo, exec_lo, s20
.LBB382_1688:                           ;   in Loop: Header=BB382_1574 Depth=1
	s_or_b32 exec_lo, exec_lo, s18
.LBB382_1689:                           ;   in Loop: Header=BB382_1574 Depth=1
	s_or_b32 exec_lo, exec_lo, s17
	v_and_b32_sdwa v10, v19, v100 dst_sel:DWORD dst_unused:UNUSED_PAD src0_sel:WORD_1 src1_sel:DWORD
	v_mov_b32_e32 v22, 0
	v_mov_b32_e32 v23, 0
	s_mov_b32 s17, exec_lo
	v_cmpx_ne_u16_e32 0, v10
	s_cbranch_execz .LBB382_1697
; %bb.1690:                             ;   in Loop: Header=BB382_1574 Depth=1
	v_bfrev_b32_e32 v23, 1
	s_mov_b32 s18, exec_lo
	v_cmpx_ne_u16_e32 0x80, v10
	s_cbranch_execz .LBB382_1696
; %bb.1691:                             ;   in Loop: Header=BB382_1574 Depth=1
	v_bfe_u32 v20, v19, 16, 7
	v_mov_b32_e32 v23, 0x7f800001
	s_mov_b32 s20, exec_lo
	v_cmpx_ne_u32_e32 0x7f, v20
	s_cbranch_execz .LBB382_1695
; %bb.1692:                             ;   in Loop: Header=BB382_1574 Depth=1
	v_mov_b32_e32 v10, 7
	v_lshrrev_b32_e32 v23, 3, v20
	v_cmp_gt_u32_e64 s4, 8, v20
	v_and_b32_sdwa v10, v19, v10 dst_sel:DWORD dst_unused:UNUSED_PAD src0_sel:WORD_1 src1_sel:DWORD
	v_mov_b32_e32 v21, v11
	v_mov_b32_e32 v20, v10
	s_and_saveexec_b32 s21, s4
; %bb.1693:                             ;   in Loop: Header=BB382_1574 Depth=1
	v_ffbh_u32_e32 v20, v10
	v_min_u32_e32 v23, 32, v20
	v_subrev_nc_u32_e32 v20, 28, v23
	v_sub_nc_u32_e32 v23, 29, v23
	v_lshlrev_b64 v[20:21], v20, v[10:11]
	v_and_b32_e32 v20, 7, v20
; %bb.1694:                             ;   in Loop: Header=BB382_1574 Depth=1
	s_or_b32 exec_lo, exec_lo, s21
	v_mov_b32_e32 v10, 24
	v_lshlrev_b32_e32 v20, 20, v20
	v_lshl_add_u32 v21, v23, 23, 0x3c000000
	v_lshlrev_b32_sdwa v10, v10, v19 dst_sel:DWORD dst_unused:UNUSED_PAD src0_sel:DWORD src1_sel:WORD_1
	v_and_b32_e32 v10, 0x80000000, v10
	v_or3_b32 v23, v20, v10, v21
.LBB382_1695:                           ;   in Loop: Header=BB382_1574 Depth=1
	s_or_b32 exec_lo, exec_lo, s20
.LBB382_1696:                           ;   in Loop: Header=BB382_1574 Depth=1
	s_or_b32 exec_lo, exec_lo, s18
.LBB382_1697:                           ;   in Loop: Header=BB382_1574 Depth=1
	s_or_b32 exec_lo, exec_lo, s17
	s_mov_b32 s17, exec_lo
	v_cmpx_lt_u64_e64 s[12:13], v[18:19]
	s_cbranch_execz .LBB382_1705
; %bb.1698:                             ;   in Loop: Header=BB382_1574 Depth=1
	v_cmp_ne_u32_sdwa s4, v19, v98 src0_sel:BYTE_3 src1_sel:DWORD
	v_bfrev_b32_e32 v22, 1
	s_and_saveexec_b32 s18, s4
	s_cbranch_execz .LBB382_1704
; %bb.1699:                             ;   in Loop: Header=BB382_1574 Depth=1
	v_bfe_u32 v20, v19, 24, 7
	v_mov_b32_e32 v22, 0x7f800001
	s_mov_b32 s20, exec_lo
	v_cmpx_ne_u32_e32 0x7f, v20
	s_cbranch_execz .LBB382_1703
; %bb.1700:                             ;   in Loop: Header=BB382_1574 Depth=1
	v_mov_b32_e32 v10, 7
	v_lshrrev_b32_e32 v18, 3, v20
	v_cmp_gt_u32_e64 s4, 8, v20
	v_and_b32_sdwa v10, v19, v10 dst_sel:DWORD dst_unused:UNUSED_PAD src0_sel:BYTE_3 src1_sel:DWORD
	v_mov_b32_e32 v21, v11
	v_mov_b32_e32 v20, v10
	s_and_saveexec_b32 s21, s4
; %bb.1701:                             ;   in Loop: Header=BB382_1574 Depth=1
	v_ffbh_u32_e32 v18, v10
	v_min_u32_e32 v18, 32, v18
	v_subrev_nc_u32_e32 v20, 28, v18
	v_sub_nc_u32_e32 v18, 29, v18
	v_lshlrev_b64 v[20:21], v20, v[10:11]
	v_and_b32_e32 v20, 7, v20
; %bb.1702:                             ;   in Loop: Header=BB382_1574 Depth=1
	s_or_b32 exec_lo, exec_lo, s21
	v_mov_b32_e32 v10, 24
	v_lshl_add_u32 v18, v18, 23, 0x3c000000
	v_lshlrev_b32_sdwa v10, v10, v19 dst_sel:DWORD dst_unused:UNUSED_PAD src0_sel:DWORD src1_sel:BYTE_3
	v_lshlrev_b32_e32 v19, 20, v20
	v_and_b32_e32 v10, 0x80000000, v10
	v_or3_b32 v22, v19, v10, v18
.LBB382_1703:                           ;   in Loop: Header=BB382_1574 Depth=1
	s_or_b32 exec_lo, exec_lo, s20
.LBB382_1704:                           ;   in Loop: Header=BB382_1574 Depth=1
	s_or_b32 exec_lo, exec_lo, s18
.LBB382_1705:                           ;   in Loop: Header=BB382_1574 Depth=1
	s_or_b32 exec_lo, exec_lo, s17
	v_mul_f32_e32 v10, v106, v17
	v_mul_f32_e32 v16, v106, v16
	;; [unrolled: 1-line block ×5, first 2 shown]
	v_bfe_u32 v17, v10, 16, 1
	v_or_b32_e32 v18, 0x400000, v10
	v_bfe_u32 v19, v16, 16, 1
	v_cmp_u_f32_e64 s4, v10, v10
	v_or_b32_e32 v20, 0x400000, v16
	v_add3_u32 v17, v17, v10, 0x7fff
	v_bfe_u32 v21, v13, 16, 1
	v_add3_u32 v19, v19, v16, 0x7fff
	v_or_b32_e32 v24, 0x400000, v13
	v_bfe_u32 v25, v12, 16, 1
	v_cndmask_b32_e64 v10, v17, v18, s4
	v_cmp_u_f32_e64 s4, v16, v16
	v_add3_u32 v21, v21, v13, 0x7fff
	v_or_b32_e32 v17, 0x400000, v12
	v_mul_f32_e32 v4, v106, v4
	v_lshrrev_b32_e32 v10, 16, v10
	v_cndmask_b32_e64 v16, v19, v20, s4
	v_cmp_u_f32_e64 s4, v13, v13
	v_bfe_u32 v18, v4, 16, 1
	buffer_store_dword v10, off, s[0:3], s32 offset:276 ; 4-byte Folded Spill
	v_add3_u32 v10, v25, v12, 0x7fff
	v_cndmask_b32_e64 v13, v21, v24, s4
	v_lshrrev_b32_e32 v16, 16, v16
	v_cmp_u_f32_e64 s4, v12, v12
	v_mul_f32_e32 v12, v106, v23
	v_lshrrev_b32_e32 v13, 16, v13
	buffer_store_dword v16, off, s[0:3], s32 offset:268 ; 4-byte Folded Spill
	v_cndmask_b32_e64 v10, v10, v17, s4
	v_or_b32_e32 v16, 0x400000, v5
	v_cmp_u_f32_e64 s4, v5, v5
	buffer_store_dword v13, off, s[0:3], s32 offset:280 ; 4-byte Folded Spill
	v_bfe_u32 v13, v5, 16, 1
	v_mul_f32_e32 v17, v106, v22
	v_bfe_u32 v19, v12, 16, 1
	v_or_b32_e32 v20, 0x400000, v12
	v_lshrrev_b32_e32 v10, 16, v10
	v_add3_u32 v13, v13, v5, 0x7fff
	v_or_b32_e32 v21, 0x400000, v17
	v_add3_u32 v19, v19, v12, 0x7fff
	buffer_store_dword v10, off, s[0:3], s32 offset:284 ; 4-byte Folded Spill
	v_cndmask_b32_e64 v5, v13, v16, s4
	v_add3_u32 v16, v18, v4, 0x7fff
	v_or_b32_e32 v18, 0x400000, v4
	v_cmp_u_f32_e64 s4, v4, v4
	v_bfe_u32 v13, v17, 16, 1
	v_lshrrev_b32_e32 v5, 16, v5
	v_cndmask_b32_e64 v4, v16, v18, s4
	v_cmp_u_f32_e64 s4, v12, v12
	v_add3_u32 v13, v13, v17, 0x7fff
	buffer_store_dword v5, off, s[0:3], s32 offset:292 ; 4-byte Folded Spill
	v_lshrrev_b32_e32 v4, 16, v4
	v_cndmask_b32_e64 v12, v19, v20, s4
	v_cmp_u_f32_e64 s4, v17, v17
	buffer_store_dword v4, off, s[0:3], s32 offset:288 ; 4-byte Folded Spill
	v_lshrrev_b32_e32 v4, 16, v12
	v_cndmask_b32_e64 v13, v13, v21, s4
	buffer_store_dword v4, off, s[0:3], s32 offset:264 ; 4-byte Folded Spill
	v_lshrrev_b32_e32 v4, 16, v13
	buffer_store_dword v4, off, s[0:3], s32 offset:272 ; 4-byte Folded Spill
	s_and_saveexec_b32 s17, vcc_lo
	s_cbranch_execz .LBB382_1707
; %bb.1706:                             ;   in Loop: Header=BB382_1574 Depth=1
	buffer_load_dword v4, off, s[0:3], s32 offset:288 ; 4-byte Folded Reload
	v_cmp_lt_i32_e64 s4, v105, v92
	s_waitcnt vmcnt(0)
	v_cndmask_b32_e64 v4, 0, v4, s4
	v_cmp_lt_i32_e64 s4, v126, v92
	buffer_store_dword v4, off, s[0:3], s32 offset:288 ; 4-byte Folded Spill
	buffer_load_dword v4, off, s[0:3], s32 offset:292 ; 4-byte Folded Reload
	s_waitcnt vmcnt(0)
	v_cndmask_b32_e64 v4, 0, v4, s4
	v_cmp_lt_i32_e64 s4, v125, v92
	buffer_store_dword v4, off, s[0:3], s32 offset:292 ; 4-byte Folded Spill
	buffer_load_dword v4, off, s[0:3], s32 offset:284 ; 4-byte Folded Reload
	;; [unrolled: 5-line block ×7, first 2 shown]
	s_waitcnt vmcnt(0)
	v_cndmask_b32_e64 v4, 0, v4, s4
	buffer_store_dword v4, off, s[0:3], s32 offset:272 ; 4-byte Folded Spill
.LBB382_1707:                           ;   in Loop: Header=BB382_1574 Depth=1
	s_or_b32 exec_lo, exec_lo, s17
	flat_load_dwordx2 v[18:19], v[14:15] offset:512
	v_mov_b32_e32 v5, 0
	v_mov_b32_e32 v4, 0
	s_waitcnt vmcnt(0) lgkmcnt(0)
	v_cmp_ne_u16_sdwa s4, v18, v11 src0_sel:BYTE_0 src1_sel:DWORD
	s_and_saveexec_b32 s17, s4
	s_cbranch_execz .LBB382_1715
; %bb.1708:                             ;   in Loop: Header=BB382_1574 Depth=1
	v_cmp_ne_u16_sdwa s4, v18, v98 src0_sel:BYTE_0 src1_sel:DWORD
	v_bfrev_b32_e32 v4, 1
	s_and_saveexec_b32 s18, s4
	s_cbranch_execz .LBB382_1714
; %bb.1709:                             ;   in Loop: Header=BB382_1574 Depth=1
	v_and_b32_e32 v10, 0x7f, v18
	v_mov_b32_e32 v4, 0x7f800001
	s_mov_b32 s20, exec_lo
	v_cmpx_ne_u32_e32 0x7f, v10
	s_cbranch_execz .LBB382_1713
; %bb.1710:                             ;   in Loop: Header=BB382_1574 Depth=1
	v_mov_b32_e32 v21, v19
	v_lshrrev_b32_e32 v4, 3, v10
	v_mov_b32_e32 v20, v18
	s_mov_b32 s21, exec_lo
	v_cmpx_gt_u32_e32 8, v10
; %bb.1711:                             ;   in Loop: Header=BB382_1574 Depth=1
	v_and_b32_e32 v4, 7, v18
	v_ffbh_u32_e32 v4, v4
	v_min_u32_e32 v4, 32, v4
	v_subrev_nc_u32_e32 v10, 28, v4
	v_sub_nc_u32_e32 v4, 29, v4
	v_lshlrev_b64 v[20:21], v10, v[18:19]
; %bb.1712:                             ;   in Loop: Header=BB382_1574 Depth=1
	s_or_b32 exec_lo, exec_lo, s21
	v_lshlrev_b32_e32 v10, 20, v20
	v_lshlrev_b32_e32 v12, 24, v18
	v_lshl_add_u32 v4, v4, 23, 0x3c000000
	v_and_b32_e32 v10, 0x700000, v10
	v_and_b32_e32 v12, 0x80000000, v12
	v_or3_b32 v4, v10, v12, v4
.LBB382_1713:                           ;   in Loop: Header=BB382_1574 Depth=1
	s_or_b32 exec_lo, exec_lo, s20
.LBB382_1714:                           ;   in Loop: Header=BB382_1574 Depth=1
	s_or_b32 exec_lo, exec_lo, s18
.LBB382_1715:                           ;   in Loop: Header=BB382_1574 Depth=1
	s_or_b32 exec_lo, exec_lo, s17
	v_cmp_ne_u16_sdwa s4, v18, v11 src0_sel:BYTE_1 src1_sel:DWORD
	s_and_saveexec_b32 s17, s4
	s_cbranch_execz .LBB382_1723
; %bb.1716:                             ;   in Loop: Header=BB382_1574 Depth=1
	v_cmp_ne_u16_sdwa s4, v18, v98 src0_sel:BYTE_1 src1_sel:DWORD
	v_bfrev_b32_e32 v5, 1
	s_and_saveexec_b32 s18, s4
	s_cbranch_execz .LBB382_1722
; %bb.1717:                             ;   in Loop: Header=BB382_1574 Depth=1
	v_mov_b32_e32 v5, 0xffff
	s_mov_b32 s20, exec_lo
	v_and_b32_sdwa v10, v5, v18 dst_sel:DWORD dst_unused:UNUSED_PAD src0_sel:DWORD src1_sel:BYTE_1
	v_mov_b32_e32 v5, 0x7f800001
	v_and_b32_e32 v12, 0x7f, v10
	v_cmpx_ne_u32_e32 0x7f, v12
	s_cbranch_execz .LBB382_1721
; %bb.1718:                             ;   in Loop: Header=BB382_1574 Depth=1
	v_and_b32_e32 v10, 7, v10
	v_mov_b32_e32 v21, v11
	v_lshrrev_b32_e32 v5, 3, v12
	s_mov_b32 s21, exec_lo
	v_mov_b32_e32 v20, v10
	v_cmpx_gt_u32_e32 8, v12
; %bb.1719:                             ;   in Loop: Header=BB382_1574 Depth=1
	v_ffbh_u32_e32 v5, v10
	v_min_u32_e32 v5, 32, v5
	v_subrev_nc_u32_e32 v12, 28, v5
	v_sub_nc_u32_e32 v5, 29, v5
	v_lshlrev_b64 v[12:13], v12, v[10:11]
	v_and_b32_e32 v20, 7, v12
; %bb.1720:                             ;   in Loop: Header=BB382_1574 Depth=1
	s_or_b32 exec_lo, exec_lo, s21
	v_lshlrev_b32_e32 v10, 16, v18
	v_lshlrev_b32_e32 v12, 20, v20
	v_lshl_add_u32 v5, v5, 23, 0x3c000000
	v_and_b32_e32 v10, 0x80000000, v10
	v_or3_b32 v5, v12, v10, v5
.LBB382_1721:                           ;   in Loop: Header=BB382_1574 Depth=1
	s_or_b32 exec_lo, exec_lo, s20
.LBB382_1722:                           ;   in Loop: Header=BB382_1574 Depth=1
	s_or_b32 exec_lo, exec_lo, s18
.LBB382_1723:                           ;   in Loop: Header=BB382_1574 Depth=1
	s_or_b32 exec_lo, exec_lo, s17
	v_and_b32_sdwa v10, v18, v100 dst_sel:DWORD dst_unused:UNUSED_PAD src0_sel:WORD_1 src1_sel:DWORD
	v_mov_b32_e32 v13, 0
	v_mov_b32_e32 v12, 0
	s_mov_b32 s17, exec_lo
	v_cmpx_ne_u16_e32 0, v10
	s_cbranch_execz .LBB382_1731
; %bb.1724:                             ;   in Loop: Header=BB382_1574 Depth=1
	v_bfrev_b32_e32 v12, 1
	s_mov_b32 s18, exec_lo
	v_cmpx_ne_u16_e32 0x80, v10
	s_cbranch_execz .LBB382_1730
; %bb.1725:                             ;   in Loop: Header=BB382_1574 Depth=1
	v_bfe_u32 v16, v18, 16, 7
	v_mov_b32_e32 v12, 0x7f800001
	s_mov_b32 s20, exec_lo
	v_cmpx_ne_u32_e32 0x7f, v16
	s_cbranch_execz .LBB382_1729
; %bb.1726:                             ;   in Loop: Header=BB382_1574 Depth=1
	v_mov_b32_e32 v10, 7
	v_lshrrev_b32_e32 v12, 3, v16
	s_mov_b32 s21, exec_lo
	v_and_b32_sdwa v10, v18, v10 dst_sel:DWORD dst_unused:UNUSED_PAD src0_sel:WORD_1 src1_sel:DWORD
	v_mov_b32_e32 v21, v11
	v_mov_b32_e32 v20, v10
	v_cmpx_gt_u32_e32 8, v16
; %bb.1727:                             ;   in Loop: Header=BB382_1574 Depth=1
	v_ffbh_u32_e32 v12, v10
	v_min_u32_e32 v12, 32, v12
	v_subrev_nc_u32_e32 v16, 28, v12
	v_sub_nc_u32_e32 v12, 29, v12
	v_lshlrev_b64 v[16:17], v16, v[10:11]
	v_and_b32_e32 v20, 7, v16
; %bb.1728:                             ;   in Loop: Header=BB382_1574 Depth=1
	s_or_b32 exec_lo, exec_lo, s21
	v_mov_b32_e32 v10, 24
	v_lshlrev_b32_e32 v16, 20, v20
	v_lshl_add_u32 v12, v12, 23, 0x3c000000
	v_lshlrev_b32_sdwa v10, v10, v18 dst_sel:DWORD dst_unused:UNUSED_PAD src0_sel:DWORD src1_sel:WORD_1
	v_and_b32_e32 v10, 0x80000000, v10
	v_or3_b32 v12, v16, v10, v12
.LBB382_1729:                           ;   in Loop: Header=BB382_1574 Depth=1
	s_or_b32 exec_lo, exec_lo, s20
.LBB382_1730:                           ;   in Loop: Header=BB382_1574 Depth=1
	s_or_b32 exec_lo, exec_lo, s18
.LBB382_1731:                           ;   in Loop: Header=BB382_1574 Depth=1
	s_or_b32 exec_lo, exec_lo, s17
	s_mov_b32 s17, exec_lo
	v_cmpx_lt_u32_e32 0xffffff, v18
	s_cbranch_execz .LBB382_1739
; %bb.1732:                             ;   in Loop: Header=BB382_1574 Depth=1
	v_cmp_ne_u32_sdwa s4, v18, v98 src0_sel:BYTE_3 src1_sel:DWORD
	v_bfrev_b32_e32 v13, 1
	s_and_saveexec_b32 s18, s4
	s_cbranch_execz .LBB382_1738
; %bb.1733:                             ;   in Loop: Header=BB382_1574 Depth=1
	v_bfe_u32 v16, v18, 24, 7
	v_mov_b32_e32 v13, 0x7f800001
	s_mov_b32 s20, exec_lo
	v_cmpx_ne_u32_e32 0x7f, v16
	s_cbranch_execz .LBB382_1737
; %bb.1734:                             ;   in Loop: Header=BB382_1574 Depth=1
	v_mov_b32_e32 v10, 7
	v_lshrrev_b32_e32 v13, 3, v16
	s_mov_b32 s21, exec_lo
	v_and_b32_sdwa v10, v18, v10 dst_sel:DWORD dst_unused:UNUSED_PAD src0_sel:BYTE_3 src1_sel:DWORD
	v_mov_b32_e32 v21, v11
	v_mov_b32_e32 v20, v10
	v_cmpx_gt_u32_e32 8, v16
; %bb.1735:                             ;   in Loop: Header=BB382_1574 Depth=1
	v_ffbh_u32_e32 v13, v10
	v_min_u32_e32 v13, 32, v13
	v_subrev_nc_u32_e32 v16, 28, v13
	v_sub_nc_u32_e32 v13, 29, v13
	v_lshlrev_b64 v[16:17], v16, v[10:11]
	v_and_b32_e32 v20, 7, v16
; %bb.1736:                             ;   in Loop: Header=BB382_1574 Depth=1
	s_or_b32 exec_lo, exec_lo, s21
	v_mov_b32_e32 v10, 24
	v_lshlrev_b32_e32 v16, 20, v20
	v_lshl_add_u32 v13, v13, 23, 0x3c000000
	v_lshlrev_b32_sdwa v10, v10, v18 dst_sel:DWORD dst_unused:UNUSED_PAD src0_sel:DWORD src1_sel:BYTE_3
	v_and_b32_e32 v10, 0x80000000, v10
	v_or3_b32 v13, v16, v10, v13
.LBB382_1737:                           ;   in Loop: Header=BB382_1574 Depth=1
	s_or_b32 exec_lo, exec_lo, s20
.LBB382_1738:                           ;   in Loop: Header=BB382_1574 Depth=1
	s_or_b32 exec_lo, exec_lo, s18
.LBB382_1739:                           ;   in Loop: Header=BB382_1574 Depth=1
	s_or_b32 exec_lo, exec_lo, s17
	v_mov_b32_e32 v10, v19
	v_cmp_ne_u16_sdwa s4, v19, v11 src0_sel:BYTE_0 src1_sel:DWORD
	v_mov_b32_e32 v17, 0
	v_mov_b32_e32 v16, 0
	s_and_saveexec_b32 s17, s4
	s_cbranch_execz .LBB382_1747
; %bb.1740:                             ;   in Loop: Header=BB382_1574 Depth=1
	v_cmp_ne_u16_sdwa s4, v19, v98 src0_sel:BYTE_0 src1_sel:DWORD
	v_bfrev_b32_e32 v16, 1
	s_and_saveexec_b32 s18, s4
	s_cbranch_execz .LBB382_1746
; %bb.1741:                             ;   in Loop: Header=BB382_1574 Depth=1
	v_and_b32_e32 v20, 0x7f, v19
	v_mov_b32_e32 v16, 0x7f800001
	s_mov_b32 s20, exec_lo
	v_cmpx_ne_u32_e32 0x7f, v20
	s_cbranch_execz .LBB382_1745
; %bb.1742:                             ;   in Loop: Header=BB382_1574 Depth=1
	v_lshrrev_b32_e32 v16, 3, v20
	v_cmp_gt_u32_e64 s4, 8, v20
	v_mov_b32_e32 v21, v11
	v_mov_b32_e32 v20, v10
	s_and_saveexec_b32 s21, s4
; %bb.1743:                             ;   in Loop: Header=BB382_1574 Depth=1
	v_and_b32_e32 v16, 7, v19
	v_ffbh_u32_e32 v16, v16
	v_min_u32_e32 v16, 32, v16
	v_subrev_nc_u32_e32 v20, 28, v16
	v_sub_nc_u32_e32 v16, 29, v16
	v_lshlrev_b64 v[20:21], v20, v[10:11]
; %bb.1744:                             ;   in Loop: Header=BB382_1574 Depth=1
	s_or_b32 exec_lo, exec_lo, s21
	v_lshlrev_b32_e32 v20, 20, v20
	v_lshlrev_b32_e32 v21, 24, v10
	v_lshl_add_u32 v16, v16, 23, 0x3c000000
	v_and_b32_e32 v20, 0x700000, v20
	v_and_b32_e32 v21, 0x80000000, v21
	v_or3_b32 v16, v20, v21, v16
.LBB382_1745:                           ;   in Loop: Header=BB382_1574 Depth=1
	s_or_b32 exec_lo, exec_lo, s20
.LBB382_1746:                           ;   in Loop: Header=BB382_1574 Depth=1
	s_or_b32 exec_lo, exec_lo, s18
.LBB382_1747:                           ;   in Loop: Header=BB382_1574 Depth=1
	s_or_b32 exec_lo, exec_lo, s17
	v_cmp_ne_u16_sdwa s4, v10, v11 src0_sel:BYTE_1 src1_sel:DWORD
	s_and_saveexec_b32 s17, s4
	s_cbranch_execz .LBB382_1755
; %bb.1748:                             ;   in Loop: Header=BB382_1574 Depth=1
	v_cmp_ne_u16_sdwa s4, v10, v98 src0_sel:BYTE_1 src1_sel:DWORD
	v_bfrev_b32_e32 v17, 1
	s_and_saveexec_b32 s18, s4
	s_cbranch_execz .LBB382_1754
; %bb.1749:                             ;   in Loop: Header=BB382_1574 Depth=1
	v_mov_b32_e32 v17, 0xffff
	s_mov_b32 s20, exec_lo
	v_and_b32_sdwa v20, v17, v10 dst_sel:DWORD dst_unused:UNUSED_PAD src0_sel:DWORD src1_sel:BYTE_1
	v_mov_b32_e32 v17, 0x7f800001
	v_and_b32_e32 v22, 0x7f, v20
	v_cmpx_ne_u32_e32 0x7f, v22
	s_cbranch_execz .LBB382_1753
; %bb.1750:                             ;   in Loop: Header=BB382_1574 Depth=1
	v_and_b32_e32 v20, 7, v20
	v_mov_b32_e32 v21, v11
	v_lshrrev_b32_e32 v17, 3, v22
	s_mov_b32 s21, exec_lo
	v_cmpx_gt_u32_e32 8, v22
; %bb.1751:                             ;   in Loop: Header=BB382_1574 Depth=1
	v_ffbh_u32_e32 v17, v20
	v_min_u32_e32 v17, 32, v17
	v_subrev_nc_u32_e32 v22, 28, v17
	v_sub_nc_u32_e32 v17, 29, v17
	v_lshlrev_b64 v[20:21], v22, v[20:21]
	v_and_b32_e32 v20, 7, v20
; %bb.1752:                             ;   in Loop: Header=BB382_1574 Depth=1
	s_or_b32 exec_lo, exec_lo, s21
	v_lshlrev_b32_e32 v10, 16, v10
	v_lshlrev_b32_e32 v20, 20, v20
	v_lshl_add_u32 v17, v17, 23, 0x3c000000
	v_and_b32_e32 v10, 0x80000000, v10
	v_or3_b32 v17, v20, v10, v17
.LBB382_1753:                           ;   in Loop: Header=BB382_1574 Depth=1
	s_or_b32 exec_lo, exec_lo, s20
.LBB382_1754:                           ;   in Loop: Header=BB382_1574 Depth=1
	s_or_b32 exec_lo, exec_lo, s18
.LBB382_1755:                           ;   in Loop: Header=BB382_1574 Depth=1
	s_or_b32 exec_lo, exec_lo, s17
	v_and_b32_sdwa v10, v19, v100 dst_sel:DWORD dst_unused:UNUSED_PAD src0_sel:WORD_1 src1_sel:DWORD
	v_mov_b32_e32 v22, 0
	v_mov_b32_e32 v23, 0
	s_mov_b32 s17, exec_lo
	v_cmpx_ne_u16_e32 0, v10
	s_cbranch_execz .LBB382_1763
; %bb.1756:                             ;   in Loop: Header=BB382_1574 Depth=1
	v_bfrev_b32_e32 v23, 1
	s_mov_b32 s18, exec_lo
	v_cmpx_ne_u16_e32 0x80, v10
	s_cbranch_execz .LBB382_1762
; %bb.1757:                             ;   in Loop: Header=BB382_1574 Depth=1
	v_bfe_u32 v20, v19, 16, 7
	v_mov_b32_e32 v23, 0x7f800001
	s_mov_b32 s20, exec_lo
	v_cmpx_ne_u32_e32 0x7f, v20
	s_cbranch_execz .LBB382_1761
; %bb.1758:                             ;   in Loop: Header=BB382_1574 Depth=1
	v_mov_b32_e32 v10, 7
	v_lshrrev_b32_e32 v23, 3, v20
	v_cmp_gt_u32_e64 s4, 8, v20
	v_and_b32_sdwa v10, v19, v10 dst_sel:DWORD dst_unused:UNUSED_PAD src0_sel:WORD_1 src1_sel:DWORD
	v_mov_b32_e32 v21, v11
	v_mov_b32_e32 v20, v10
	s_and_saveexec_b32 s21, s4
; %bb.1759:                             ;   in Loop: Header=BB382_1574 Depth=1
	v_ffbh_u32_e32 v20, v10
	v_min_u32_e32 v23, 32, v20
	v_subrev_nc_u32_e32 v20, 28, v23
	v_sub_nc_u32_e32 v23, 29, v23
	v_lshlrev_b64 v[20:21], v20, v[10:11]
	v_and_b32_e32 v20, 7, v20
; %bb.1760:                             ;   in Loop: Header=BB382_1574 Depth=1
	s_or_b32 exec_lo, exec_lo, s21
	v_mov_b32_e32 v10, 24
	v_lshlrev_b32_e32 v20, 20, v20
	v_lshl_add_u32 v21, v23, 23, 0x3c000000
	v_lshlrev_b32_sdwa v10, v10, v19 dst_sel:DWORD dst_unused:UNUSED_PAD src0_sel:DWORD src1_sel:WORD_1
	v_and_b32_e32 v10, 0x80000000, v10
	v_or3_b32 v23, v20, v10, v21
.LBB382_1761:                           ;   in Loop: Header=BB382_1574 Depth=1
	s_or_b32 exec_lo, exec_lo, s20
.LBB382_1762:                           ;   in Loop: Header=BB382_1574 Depth=1
	s_or_b32 exec_lo, exec_lo, s18
.LBB382_1763:                           ;   in Loop: Header=BB382_1574 Depth=1
	s_or_b32 exec_lo, exec_lo, s17
	s_mov_b32 s17, exec_lo
	v_cmpx_lt_u64_e64 s[12:13], v[18:19]
	s_cbranch_execz .LBB382_1771
; %bb.1764:                             ;   in Loop: Header=BB382_1574 Depth=1
	v_cmp_ne_u32_sdwa s4, v19, v98 src0_sel:BYTE_3 src1_sel:DWORD
	v_bfrev_b32_e32 v22, 1
	s_and_saveexec_b32 s18, s4
	s_cbranch_execz .LBB382_1770
; %bb.1765:                             ;   in Loop: Header=BB382_1574 Depth=1
	v_bfe_u32 v20, v19, 24, 7
	v_mov_b32_e32 v22, 0x7f800001
	s_mov_b32 s20, exec_lo
	v_cmpx_ne_u32_e32 0x7f, v20
	s_cbranch_execz .LBB382_1769
; %bb.1766:                             ;   in Loop: Header=BB382_1574 Depth=1
	v_mov_b32_e32 v10, 7
	v_lshrrev_b32_e32 v18, 3, v20
	v_cmp_gt_u32_e64 s4, 8, v20
	v_and_b32_sdwa v10, v19, v10 dst_sel:DWORD dst_unused:UNUSED_PAD src0_sel:BYTE_3 src1_sel:DWORD
	v_mov_b32_e32 v21, v11
	v_mov_b32_e32 v20, v10
	s_and_saveexec_b32 s21, s4
; %bb.1767:                             ;   in Loop: Header=BB382_1574 Depth=1
	v_ffbh_u32_e32 v18, v10
	v_min_u32_e32 v18, 32, v18
	v_subrev_nc_u32_e32 v20, 28, v18
	v_sub_nc_u32_e32 v18, 29, v18
	v_lshlrev_b64 v[20:21], v20, v[10:11]
	v_and_b32_e32 v20, 7, v20
; %bb.1768:                             ;   in Loop: Header=BB382_1574 Depth=1
	s_or_b32 exec_lo, exec_lo, s21
	v_mov_b32_e32 v10, 24
	v_lshl_add_u32 v18, v18, 23, 0x3c000000
	v_lshlrev_b32_sdwa v10, v10, v19 dst_sel:DWORD dst_unused:UNUSED_PAD src0_sel:DWORD src1_sel:BYTE_3
	v_lshlrev_b32_e32 v19, 20, v20
	v_and_b32_e32 v10, 0x80000000, v10
	v_or3_b32 v22, v19, v10, v18
.LBB382_1769:                           ;   in Loop: Header=BB382_1574 Depth=1
	s_or_b32 exec_lo, exec_lo, s20
.LBB382_1770:                           ;   in Loop: Header=BB382_1574 Depth=1
	s_or_b32 exec_lo, exec_lo, s18
.LBB382_1771:                           ;   in Loop: Header=BB382_1574 Depth=1
	s_or_b32 exec_lo, exec_lo, s17
	v_mul_f32_e32 v10, v106, v17
	v_mul_f32_e32 v16, v106, v16
	;; [unrolled: 1-line block ×5, first 2 shown]
	v_bfe_u32 v17, v10, 16, 1
	v_or_b32_e32 v18, 0x400000, v10
	v_bfe_u32 v19, v16, 16, 1
	v_cmp_u_f32_e64 s4, v10, v10
	v_or_b32_e32 v20, 0x400000, v16
	v_add3_u32 v17, v17, v10, 0x7fff
	v_bfe_u32 v21, v13, 16, 1
	v_add3_u32 v19, v19, v16, 0x7fff
	v_or_b32_e32 v24, 0x400000, v13
	v_bfe_u32 v25, v12, 16, 1
	v_cndmask_b32_e64 v10, v17, v18, s4
	v_cmp_u_f32_e64 s4, v16, v16
	v_add3_u32 v21, v21, v13, 0x7fff
	v_or_b32_e32 v17, 0x400000, v12
	v_mul_f32_e32 v4, v106, v4
	v_lshrrev_b32_e32 v10, 16, v10
	v_cndmask_b32_e64 v16, v19, v20, s4
	v_cmp_u_f32_e64 s4, v13, v13
	v_bfe_u32 v18, v4, 16, 1
	buffer_store_dword v10, off, s[0:3], s32 offset:308 ; 4-byte Folded Spill
	v_add3_u32 v10, v25, v12, 0x7fff
	v_cndmask_b32_e64 v13, v21, v24, s4
	v_lshrrev_b32_e32 v16, 16, v16
	v_cmp_u_f32_e64 s4, v12, v12
	v_mul_f32_e32 v12, v106, v23
	v_lshrrev_b32_e32 v13, 16, v13
	buffer_store_dword v16, off, s[0:3], s32 offset:300 ; 4-byte Folded Spill
	v_cndmask_b32_e64 v10, v10, v17, s4
	v_or_b32_e32 v16, 0x400000, v5
	v_cmp_u_f32_e64 s4, v5, v5
	buffer_store_dword v13, off, s[0:3], s32 offset:312 ; 4-byte Folded Spill
	v_bfe_u32 v13, v5, 16, 1
	v_mul_f32_e32 v17, v106, v22
	v_bfe_u32 v19, v12, 16, 1
	v_or_b32_e32 v20, 0x400000, v12
	v_lshrrev_b32_e32 v10, 16, v10
	v_add3_u32 v13, v13, v5, 0x7fff
	v_or_b32_e32 v21, 0x400000, v17
	v_add3_u32 v19, v19, v12, 0x7fff
	buffer_store_dword v10, off, s[0:3], s32 offset:316 ; 4-byte Folded Spill
	v_cndmask_b32_e64 v5, v13, v16, s4
	v_add3_u32 v16, v18, v4, 0x7fff
	v_or_b32_e32 v18, 0x400000, v4
	v_cmp_u_f32_e64 s4, v4, v4
	v_bfe_u32 v13, v17, 16, 1
	v_lshrrev_b32_e32 v5, 16, v5
	v_cndmask_b32_e64 v4, v16, v18, s4
	v_cmp_u_f32_e64 s4, v12, v12
	v_add3_u32 v13, v13, v17, 0x7fff
	buffer_store_dword v5, off, s[0:3], s32 offset:324 ; 4-byte Folded Spill
	v_lshrrev_b32_e32 v4, 16, v4
	v_cndmask_b32_e64 v12, v19, v20, s4
	v_cmp_u_f32_e64 s4, v17, v17
	buffer_store_dword v4, off, s[0:3], s32 offset:320 ; 4-byte Folded Spill
	v_lshrrev_b32_e32 v4, 16, v12
	v_cndmask_b32_e64 v13, v13, v21, s4
	buffer_store_dword v4, off, s[0:3], s32 offset:296 ; 4-byte Folded Spill
	v_lshrrev_b32_e32 v4, 16, v13
	buffer_store_dword v4, off, s[0:3], s32 offset:304 ; 4-byte Folded Spill
	s_and_saveexec_b32 s17, vcc_lo
	s_cbranch_execz .LBB382_1773
; %bb.1772:                             ;   in Loop: Header=BB382_1574 Depth=1
	buffer_load_dword v4, off, s[0:3], s32 offset:320 ; 4-byte Folded Reload
	v_cmp_lt_i32_e64 s4, v105, v92
	s_waitcnt vmcnt(0)
	v_cndmask_b32_e64 v4, 0, v4, s4
	v_cmp_lt_i32_e64 s4, v126, v92
	buffer_store_dword v4, off, s[0:3], s32 offset:320 ; 4-byte Folded Spill
	buffer_load_dword v4, off, s[0:3], s32 offset:324 ; 4-byte Folded Reload
	s_waitcnt vmcnt(0)
	v_cndmask_b32_e64 v4, 0, v4, s4
	v_cmp_lt_i32_e64 s4, v125, v92
	buffer_store_dword v4, off, s[0:3], s32 offset:324 ; 4-byte Folded Spill
	buffer_load_dword v4, off, s[0:3], s32 offset:316 ; 4-byte Folded Reload
	;; [unrolled: 5-line block ×7, first 2 shown]
	s_waitcnt vmcnt(0)
	v_cndmask_b32_e64 v4, 0, v4, s4
	buffer_store_dword v4, off, s[0:3], s32 offset:304 ; 4-byte Folded Spill
.LBB382_1773:                           ;   in Loop: Header=BB382_1574 Depth=1
	s_or_b32 exec_lo, exec_lo, s17
	flat_load_dwordx2 v[18:19], v[14:15] offset:768
	v_mov_b32_e32 v5, 0
	v_mov_b32_e32 v4, 0
	s_waitcnt vmcnt(0) lgkmcnt(0)
	v_cmp_ne_u16_sdwa s4, v18, v11 src0_sel:BYTE_0 src1_sel:DWORD
	s_and_saveexec_b32 s17, s4
	s_cbranch_execz .LBB382_1781
; %bb.1774:                             ;   in Loop: Header=BB382_1574 Depth=1
	v_cmp_ne_u16_sdwa s4, v18, v98 src0_sel:BYTE_0 src1_sel:DWORD
	v_bfrev_b32_e32 v4, 1
	s_and_saveexec_b32 s18, s4
	s_cbranch_execz .LBB382_1780
; %bb.1775:                             ;   in Loop: Header=BB382_1574 Depth=1
	v_and_b32_e32 v10, 0x7f, v18
	v_mov_b32_e32 v4, 0x7f800001
	s_mov_b32 s20, exec_lo
	v_cmpx_ne_u32_e32 0x7f, v10
	s_cbranch_execz .LBB382_1779
; %bb.1776:                             ;   in Loop: Header=BB382_1574 Depth=1
	v_mov_b32_e32 v21, v19
	v_lshrrev_b32_e32 v4, 3, v10
	v_mov_b32_e32 v20, v18
	s_mov_b32 s21, exec_lo
	v_cmpx_gt_u32_e32 8, v10
; %bb.1777:                             ;   in Loop: Header=BB382_1574 Depth=1
	v_and_b32_e32 v4, 7, v18
	v_ffbh_u32_e32 v4, v4
	v_min_u32_e32 v4, 32, v4
	v_subrev_nc_u32_e32 v10, 28, v4
	v_sub_nc_u32_e32 v4, 29, v4
	v_lshlrev_b64 v[20:21], v10, v[18:19]
; %bb.1778:                             ;   in Loop: Header=BB382_1574 Depth=1
	s_or_b32 exec_lo, exec_lo, s21
	v_lshlrev_b32_e32 v10, 20, v20
	v_lshlrev_b32_e32 v12, 24, v18
	v_lshl_add_u32 v4, v4, 23, 0x3c000000
	v_and_b32_e32 v10, 0x700000, v10
	v_and_b32_e32 v12, 0x80000000, v12
	v_or3_b32 v4, v10, v12, v4
.LBB382_1779:                           ;   in Loop: Header=BB382_1574 Depth=1
	s_or_b32 exec_lo, exec_lo, s20
.LBB382_1780:                           ;   in Loop: Header=BB382_1574 Depth=1
	s_or_b32 exec_lo, exec_lo, s18
.LBB382_1781:                           ;   in Loop: Header=BB382_1574 Depth=1
	s_or_b32 exec_lo, exec_lo, s17
	v_cmp_ne_u16_sdwa s4, v18, v11 src0_sel:BYTE_1 src1_sel:DWORD
	s_and_saveexec_b32 s17, s4
	s_cbranch_execz .LBB382_1789
; %bb.1782:                             ;   in Loop: Header=BB382_1574 Depth=1
	v_cmp_ne_u16_sdwa s4, v18, v98 src0_sel:BYTE_1 src1_sel:DWORD
	v_bfrev_b32_e32 v5, 1
	s_and_saveexec_b32 s18, s4
	s_cbranch_execz .LBB382_1788
; %bb.1783:                             ;   in Loop: Header=BB382_1574 Depth=1
	v_mov_b32_e32 v5, 0xffff
	s_mov_b32 s20, exec_lo
	v_and_b32_sdwa v10, v5, v18 dst_sel:DWORD dst_unused:UNUSED_PAD src0_sel:DWORD src1_sel:BYTE_1
	v_mov_b32_e32 v5, 0x7f800001
	v_and_b32_e32 v12, 0x7f, v10
	v_cmpx_ne_u32_e32 0x7f, v12
	s_cbranch_execz .LBB382_1787
; %bb.1784:                             ;   in Loop: Header=BB382_1574 Depth=1
	v_and_b32_e32 v10, 7, v10
	v_mov_b32_e32 v21, v11
	v_lshrrev_b32_e32 v5, 3, v12
	s_mov_b32 s21, exec_lo
	v_mov_b32_e32 v20, v10
	v_cmpx_gt_u32_e32 8, v12
; %bb.1785:                             ;   in Loop: Header=BB382_1574 Depth=1
	v_ffbh_u32_e32 v5, v10
	v_min_u32_e32 v5, 32, v5
	v_subrev_nc_u32_e32 v12, 28, v5
	v_sub_nc_u32_e32 v5, 29, v5
	v_lshlrev_b64 v[12:13], v12, v[10:11]
	v_and_b32_e32 v20, 7, v12
; %bb.1786:                             ;   in Loop: Header=BB382_1574 Depth=1
	s_or_b32 exec_lo, exec_lo, s21
	v_lshlrev_b32_e32 v10, 16, v18
	v_lshlrev_b32_e32 v12, 20, v20
	v_lshl_add_u32 v5, v5, 23, 0x3c000000
	v_and_b32_e32 v10, 0x80000000, v10
	v_or3_b32 v5, v12, v10, v5
.LBB382_1787:                           ;   in Loop: Header=BB382_1574 Depth=1
	s_or_b32 exec_lo, exec_lo, s20
.LBB382_1788:                           ;   in Loop: Header=BB382_1574 Depth=1
	s_or_b32 exec_lo, exec_lo, s18
.LBB382_1789:                           ;   in Loop: Header=BB382_1574 Depth=1
	s_or_b32 exec_lo, exec_lo, s17
	v_and_b32_sdwa v10, v18, v100 dst_sel:DWORD dst_unused:UNUSED_PAD src0_sel:WORD_1 src1_sel:DWORD
	v_mov_b32_e32 v13, 0
	v_mov_b32_e32 v12, 0
	s_mov_b32 s17, exec_lo
	v_cmpx_ne_u16_e32 0, v10
	s_cbranch_execz .LBB382_1797
; %bb.1790:                             ;   in Loop: Header=BB382_1574 Depth=1
	v_bfrev_b32_e32 v12, 1
	s_mov_b32 s18, exec_lo
	v_cmpx_ne_u16_e32 0x80, v10
	s_cbranch_execz .LBB382_1796
; %bb.1791:                             ;   in Loop: Header=BB382_1574 Depth=1
	v_bfe_u32 v16, v18, 16, 7
	v_mov_b32_e32 v12, 0x7f800001
	s_mov_b32 s20, exec_lo
	v_cmpx_ne_u32_e32 0x7f, v16
	s_cbranch_execz .LBB382_1795
; %bb.1792:                             ;   in Loop: Header=BB382_1574 Depth=1
	v_mov_b32_e32 v10, 7
	v_lshrrev_b32_e32 v12, 3, v16
	s_mov_b32 s21, exec_lo
	v_and_b32_sdwa v10, v18, v10 dst_sel:DWORD dst_unused:UNUSED_PAD src0_sel:WORD_1 src1_sel:DWORD
	v_mov_b32_e32 v21, v11
	v_mov_b32_e32 v20, v10
	v_cmpx_gt_u32_e32 8, v16
; %bb.1793:                             ;   in Loop: Header=BB382_1574 Depth=1
	v_ffbh_u32_e32 v12, v10
	v_min_u32_e32 v12, 32, v12
	v_subrev_nc_u32_e32 v16, 28, v12
	v_sub_nc_u32_e32 v12, 29, v12
	v_lshlrev_b64 v[16:17], v16, v[10:11]
	v_and_b32_e32 v20, 7, v16
; %bb.1794:                             ;   in Loop: Header=BB382_1574 Depth=1
	s_or_b32 exec_lo, exec_lo, s21
	v_mov_b32_e32 v10, 24
	v_lshlrev_b32_e32 v16, 20, v20
	v_lshl_add_u32 v12, v12, 23, 0x3c000000
	v_lshlrev_b32_sdwa v10, v10, v18 dst_sel:DWORD dst_unused:UNUSED_PAD src0_sel:DWORD src1_sel:WORD_1
	v_and_b32_e32 v10, 0x80000000, v10
	v_or3_b32 v12, v16, v10, v12
.LBB382_1795:                           ;   in Loop: Header=BB382_1574 Depth=1
	s_or_b32 exec_lo, exec_lo, s20
.LBB382_1796:                           ;   in Loop: Header=BB382_1574 Depth=1
	s_or_b32 exec_lo, exec_lo, s18
.LBB382_1797:                           ;   in Loop: Header=BB382_1574 Depth=1
	s_or_b32 exec_lo, exec_lo, s17
	s_mov_b32 s17, exec_lo
	v_cmpx_lt_u32_e32 0xffffff, v18
	s_cbranch_execz .LBB382_1805
; %bb.1798:                             ;   in Loop: Header=BB382_1574 Depth=1
	v_cmp_ne_u32_sdwa s4, v18, v98 src0_sel:BYTE_3 src1_sel:DWORD
	v_bfrev_b32_e32 v13, 1
	s_and_saveexec_b32 s18, s4
	s_cbranch_execz .LBB382_1804
; %bb.1799:                             ;   in Loop: Header=BB382_1574 Depth=1
	v_bfe_u32 v16, v18, 24, 7
	v_mov_b32_e32 v13, 0x7f800001
	s_mov_b32 s20, exec_lo
	v_cmpx_ne_u32_e32 0x7f, v16
	s_cbranch_execz .LBB382_1803
; %bb.1800:                             ;   in Loop: Header=BB382_1574 Depth=1
	v_mov_b32_e32 v10, 7
	v_lshrrev_b32_e32 v13, 3, v16
	s_mov_b32 s21, exec_lo
	v_and_b32_sdwa v10, v18, v10 dst_sel:DWORD dst_unused:UNUSED_PAD src0_sel:BYTE_3 src1_sel:DWORD
	v_mov_b32_e32 v21, v11
	v_mov_b32_e32 v20, v10
	v_cmpx_gt_u32_e32 8, v16
; %bb.1801:                             ;   in Loop: Header=BB382_1574 Depth=1
	v_ffbh_u32_e32 v13, v10
	v_min_u32_e32 v13, 32, v13
	v_subrev_nc_u32_e32 v16, 28, v13
	v_sub_nc_u32_e32 v13, 29, v13
	v_lshlrev_b64 v[16:17], v16, v[10:11]
	v_and_b32_e32 v20, 7, v16
; %bb.1802:                             ;   in Loop: Header=BB382_1574 Depth=1
	s_or_b32 exec_lo, exec_lo, s21
	v_mov_b32_e32 v10, 24
	v_lshlrev_b32_e32 v16, 20, v20
	v_lshl_add_u32 v13, v13, 23, 0x3c000000
	v_lshlrev_b32_sdwa v10, v10, v18 dst_sel:DWORD dst_unused:UNUSED_PAD src0_sel:DWORD src1_sel:BYTE_3
	v_and_b32_e32 v10, 0x80000000, v10
	v_or3_b32 v13, v16, v10, v13
.LBB382_1803:                           ;   in Loop: Header=BB382_1574 Depth=1
	s_or_b32 exec_lo, exec_lo, s20
.LBB382_1804:                           ;   in Loop: Header=BB382_1574 Depth=1
	s_or_b32 exec_lo, exec_lo, s18
.LBB382_1805:                           ;   in Loop: Header=BB382_1574 Depth=1
	s_or_b32 exec_lo, exec_lo, s17
	v_mov_b32_e32 v10, v19
	v_cmp_ne_u16_sdwa s4, v19, v11 src0_sel:BYTE_0 src1_sel:DWORD
	v_mov_b32_e32 v17, 0
	v_mov_b32_e32 v16, 0
	s_and_saveexec_b32 s17, s4
	s_cbranch_execz .LBB382_1813
; %bb.1806:                             ;   in Loop: Header=BB382_1574 Depth=1
	v_cmp_ne_u16_sdwa s4, v19, v98 src0_sel:BYTE_0 src1_sel:DWORD
	v_bfrev_b32_e32 v16, 1
	s_and_saveexec_b32 s18, s4
	s_cbranch_execz .LBB382_1812
; %bb.1807:                             ;   in Loop: Header=BB382_1574 Depth=1
	v_and_b32_e32 v20, 0x7f, v19
	v_mov_b32_e32 v16, 0x7f800001
	s_mov_b32 s20, exec_lo
	v_cmpx_ne_u32_e32 0x7f, v20
	s_cbranch_execz .LBB382_1811
; %bb.1808:                             ;   in Loop: Header=BB382_1574 Depth=1
	v_lshrrev_b32_e32 v16, 3, v20
	v_cmp_gt_u32_e64 s4, 8, v20
	v_mov_b32_e32 v21, v11
	v_mov_b32_e32 v20, v10
	s_and_saveexec_b32 s21, s4
; %bb.1809:                             ;   in Loop: Header=BB382_1574 Depth=1
	v_and_b32_e32 v16, 7, v19
	v_ffbh_u32_e32 v16, v16
	v_min_u32_e32 v16, 32, v16
	v_subrev_nc_u32_e32 v20, 28, v16
	v_sub_nc_u32_e32 v16, 29, v16
	v_lshlrev_b64 v[20:21], v20, v[10:11]
; %bb.1810:                             ;   in Loop: Header=BB382_1574 Depth=1
	s_or_b32 exec_lo, exec_lo, s21
	v_lshlrev_b32_e32 v20, 20, v20
	v_lshlrev_b32_e32 v21, 24, v10
	v_lshl_add_u32 v16, v16, 23, 0x3c000000
	v_and_b32_e32 v20, 0x700000, v20
	v_and_b32_e32 v21, 0x80000000, v21
	v_or3_b32 v16, v20, v21, v16
.LBB382_1811:                           ;   in Loop: Header=BB382_1574 Depth=1
	s_or_b32 exec_lo, exec_lo, s20
.LBB382_1812:                           ;   in Loop: Header=BB382_1574 Depth=1
	s_or_b32 exec_lo, exec_lo, s18
.LBB382_1813:                           ;   in Loop: Header=BB382_1574 Depth=1
	s_or_b32 exec_lo, exec_lo, s17
	v_cmp_ne_u16_sdwa s4, v10, v11 src0_sel:BYTE_1 src1_sel:DWORD
	s_and_saveexec_b32 s17, s4
	s_cbranch_execz .LBB382_1821
; %bb.1814:                             ;   in Loop: Header=BB382_1574 Depth=1
	v_cmp_ne_u16_sdwa s4, v10, v98 src0_sel:BYTE_1 src1_sel:DWORD
	v_bfrev_b32_e32 v17, 1
	s_and_saveexec_b32 s18, s4
	s_cbranch_execz .LBB382_1820
; %bb.1815:                             ;   in Loop: Header=BB382_1574 Depth=1
	v_mov_b32_e32 v17, 0xffff
	s_mov_b32 s20, exec_lo
	v_and_b32_sdwa v20, v17, v10 dst_sel:DWORD dst_unused:UNUSED_PAD src0_sel:DWORD src1_sel:BYTE_1
	v_mov_b32_e32 v17, 0x7f800001
	v_and_b32_e32 v22, 0x7f, v20
	v_cmpx_ne_u32_e32 0x7f, v22
	s_cbranch_execz .LBB382_1819
; %bb.1816:                             ;   in Loop: Header=BB382_1574 Depth=1
	v_and_b32_e32 v20, 7, v20
	v_mov_b32_e32 v21, v11
	v_lshrrev_b32_e32 v17, 3, v22
	s_mov_b32 s21, exec_lo
	v_cmpx_gt_u32_e32 8, v22
; %bb.1817:                             ;   in Loop: Header=BB382_1574 Depth=1
	v_ffbh_u32_e32 v17, v20
	v_min_u32_e32 v17, 32, v17
	v_subrev_nc_u32_e32 v22, 28, v17
	v_sub_nc_u32_e32 v17, 29, v17
	v_lshlrev_b64 v[20:21], v22, v[20:21]
	v_and_b32_e32 v20, 7, v20
; %bb.1818:                             ;   in Loop: Header=BB382_1574 Depth=1
	s_or_b32 exec_lo, exec_lo, s21
	v_lshlrev_b32_e32 v10, 16, v10
	v_lshlrev_b32_e32 v20, 20, v20
	v_lshl_add_u32 v17, v17, 23, 0x3c000000
	v_and_b32_e32 v10, 0x80000000, v10
	v_or3_b32 v17, v20, v10, v17
.LBB382_1819:                           ;   in Loop: Header=BB382_1574 Depth=1
	s_or_b32 exec_lo, exec_lo, s20
.LBB382_1820:                           ;   in Loop: Header=BB382_1574 Depth=1
	s_or_b32 exec_lo, exec_lo, s18
.LBB382_1821:                           ;   in Loop: Header=BB382_1574 Depth=1
	s_or_b32 exec_lo, exec_lo, s17
	v_and_b32_sdwa v10, v19, v100 dst_sel:DWORD dst_unused:UNUSED_PAD src0_sel:WORD_1 src1_sel:DWORD
	v_mov_b32_e32 v22, 0
	v_mov_b32_e32 v23, 0
	s_mov_b32 s17, exec_lo
	v_cmpx_ne_u16_e32 0, v10
	s_cbranch_execz .LBB382_1829
; %bb.1822:                             ;   in Loop: Header=BB382_1574 Depth=1
	v_bfrev_b32_e32 v23, 1
	s_mov_b32 s18, exec_lo
	v_cmpx_ne_u16_e32 0x80, v10
	s_cbranch_execz .LBB382_1828
; %bb.1823:                             ;   in Loop: Header=BB382_1574 Depth=1
	v_bfe_u32 v20, v19, 16, 7
	v_mov_b32_e32 v23, 0x7f800001
	s_mov_b32 s20, exec_lo
	v_cmpx_ne_u32_e32 0x7f, v20
	s_cbranch_execz .LBB382_1827
; %bb.1824:                             ;   in Loop: Header=BB382_1574 Depth=1
	v_mov_b32_e32 v10, 7
	v_lshrrev_b32_e32 v23, 3, v20
	v_cmp_gt_u32_e64 s4, 8, v20
	v_and_b32_sdwa v10, v19, v10 dst_sel:DWORD dst_unused:UNUSED_PAD src0_sel:WORD_1 src1_sel:DWORD
	v_mov_b32_e32 v21, v11
	v_mov_b32_e32 v20, v10
	s_and_saveexec_b32 s21, s4
; %bb.1825:                             ;   in Loop: Header=BB382_1574 Depth=1
	v_ffbh_u32_e32 v20, v10
	v_min_u32_e32 v23, 32, v20
	v_subrev_nc_u32_e32 v20, 28, v23
	v_sub_nc_u32_e32 v23, 29, v23
	v_lshlrev_b64 v[20:21], v20, v[10:11]
	v_and_b32_e32 v20, 7, v20
; %bb.1826:                             ;   in Loop: Header=BB382_1574 Depth=1
	s_or_b32 exec_lo, exec_lo, s21
	v_mov_b32_e32 v10, 24
	v_lshlrev_b32_e32 v20, 20, v20
	v_lshl_add_u32 v21, v23, 23, 0x3c000000
	v_lshlrev_b32_sdwa v10, v10, v19 dst_sel:DWORD dst_unused:UNUSED_PAD src0_sel:DWORD src1_sel:WORD_1
	v_and_b32_e32 v10, 0x80000000, v10
	v_or3_b32 v23, v20, v10, v21
.LBB382_1827:                           ;   in Loop: Header=BB382_1574 Depth=1
	s_or_b32 exec_lo, exec_lo, s20
.LBB382_1828:                           ;   in Loop: Header=BB382_1574 Depth=1
	s_or_b32 exec_lo, exec_lo, s18
.LBB382_1829:                           ;   in Loop: Header=BB382_1574 Depth=1
	s_or_b32 exec_lo, exec_lo, s17
	s_mov_b32 s17, exec_lo
	v_cmpx_lt_u64_e64 s[12:13], v[18:19]
	s_cbranch_execz .LBB382_1837
; %bb.1830:                             ;   in Loop: Header=BB382_1574 Depth=1
	v_cmp_ne_u32_sdwa s4, v19, v98 src0_sel:BYTE_3 src1_sel:DWORD
	v_bfrev_b32_e32 v22, 1
	s_and_saveexec_b32 s18, s4
	s_cbranch_execz .LBB382_1836
; %bb.1831:                             ;   in Loop: Header=BB382_1574 Depth=1
	v_bfe_u32 v20, v19, 24, 7
	v_mov_b32_e32 v22, 0x7f800001
	s_mov_b32 s20, exec_lo
	v_cmpx_ne_u32_e32 0x7f, v20
	s_cbranch_execz .LBB382_1835
; %bb.1832:                             ;   in Loop: Header=BB382_1574 Depth=1
	v_mov_b32_e32 v10, 7
	v_lshrrev_b32_e32 v18, 3, v20
	v_cmp_gt_u32_e64 s4, 8, v20
	v_and_b32_sdwa v10, v19, v10 dst_sel:DWORD dst_unused:UNUSED_PAD src0_sel:BYTE_3 src1_sel:DWORD
	v_mov_b32_e32 v21, v11
	v_mov_b32_e32 v20, v10
	s_and_saveexec_b32 s21, s4
; %bb.1833:                             ;   in Loop: Header=BB382_1574 Depth=1
	v_ffbh_u32_e32 v18, v10
	v_min_u32_e32 v18, 32, v18
	v_subrev_nc_u32_e32 v20, 28, v18
	v_sub_nc_u32_e32 v18, 29, v18
	v_lshlrev_b64 v[20:21], v20, v[10:11]
	v_and_b32_e32 v20, 7, v20
; %bb.1834:                             ;   in Loop: Header=BB382_1574 Depth=1
	s_or_b32 exec_lo, exec_lo, s21
	v_mov_b32_e32 v10, 24
	v_lshl_add_u32 v18, v18, 23, 0x3c000000
	v_lshlrev_b32_sdwa v10, v10, v19 dst_sel:DWORD dst_unused:UNUSED_PAD src0_sel:DWORD src1_sel:BYTE_3
	v_lshlrev_b32_e32 v19, 20, v20
	v_and_b32_e32 v10, 0x80000000, v10
	v_or3_b32 v22, v19, v10, v18
.LBB382_1835:                           ;   in Loop: Header=BB382_1574 Depth=1
	s_or_b32 exec_lo, exec_lo, s20
.LBB382_1836:                           ;   in Loop: Header=BB382_1574 Depth=1
	s_or_b32 exec_lo, exec_lo, s18
.LBB382_1837:                           ;   in Loop: Header=BB382_1574 Depth=1
	s_or_b32 exec_lo, exec_lo, s17
	v_mul_f32_e32 v10, v106, v17
	v_mul_f32_e32 v16, v106, v16
	;; [unrolled: 1-line block ×5, first 2 shown]
	v_bfe_u32 v17, v10, 16, 1
	v_or_b32_e32 v18, 0x400000, v10
	v_bfe_u32 v19, v16, 16, 1
	v_cmp_u_f32_e64 s4, v10, v10
	v_or_b32_e32 v20, 0x400000, v16
	v_add3_u32 v17, v17, v10, 0x7fff
	v_bfe_u32 v21, v13, 16, 1
	v_add3_u32 v19, v19, v16, 0x7fff
	v_or_b32_e32 v24, 0x400000, v13
	v_bfe_u32 v25, v12, 16, 1
	v_cndmask_b32_e64 v10, v17, v18, s4
	v_cmp_u_f32_e64 s4, v16, v16
	v_add3_u32 v21, v21, v13, 0x7fff
	v_or_b32_e32 v17, 0x400000, v12
	v_mul_f32_e32 v4, v106, v4
	v_lshrrev_b32_e32 v10, 16, v10
	v_cndmask_b32_e64 v16, v19, v20, s4
	v_cmp_u_f32_e64 s4, v13, v13
	v_bfe_u32 v18, v4, 16, 1
	buffer_store_dword v10, off, s[0:3], s32 offset:340 ; 4-byte Folded Spill
	v_add3_u32 v10, v25, v12, 0x7fff
	v_cndmask_b32_e64 v13, v21, v24, s4
	v_lshrrev_b32_e32 v16, 16, v16
	v_cmp_u_f32_e64 s4, v12, v12
	v_mul_f32_e32 v12, v106, v23
	v_lshrrev_b32_e32 v13, 16, v13
	buffer_store_dword v16, off, s[0:3], s32 offset:332 ; 4-byte Folded Spill
	v_cndmask_b32_e64 v10, v10, v17, s4
	v_or_b32_e32 v16, 0x400000, v5
	v_cmp_u_f32_e64 s4, v5, v5
	buffer_store_dword v13, off, s[0:3], s32 offset:344 ; 4-byte Folded Spill
	v_bfe_u32 v13, v5, 16, 1
	v_mul_f32_e32 v17, v106, v22
	v_bfe_u32 v19, v12, 16, 1
	v_or_b32_e32 v20, 0x400000, v12
	v_lshrrev_b32_e32 v10, 16, v10
	v_add3_u32 v13, v13, v5, 0x7fff
	v_or_b32_e32 v21, 0x400000, v17
	v_add3_u32 v19, v19, v12, 0x7fff
	buffer_store_dword v10, off, s[0:3], s32 offset:348 ; 4-byte Folded Spill
	v_cndmask_b32_e64 v5, v13, v16, s4
	v_add3_u32 v16, v18, v4, 0x7fff
	v_or_b32_e32 v18, 0x400000, v4
	v_cmp_u_f32_e64 s4, v4, v4
	v_bfe_u32 v13, v17, 16, 1
	v_lshrrev_b32_e32 v5, 16, v5
	v_cndmask_b32_e64 v4, v16, v18, s4
	v_cmp_u_f32_e64 s4, v12, v12
	v_add3_u32 v13, v13, v17, 0x7fff
	buffer_store_dword v5, off, s[0:3], s32 offset:356 ; 4-byte Folded Spill
	v_lshrrev_b32_e32 v4, 16, v4
	v_cndmask_b32_e64 v12, v19, v20, s4
	v_cmp_u_f32_e64 s4, v17, v17
	buffer_store_dword v4, off, s[0:3], s32 offset:352 ; 4-byte Folded Spill
	v_lshrrev_b32_e32 v4, 16, v12
	v_cndmask_b32_e64 v13, v13, v21, s4
	buffer_store_dword v4, off, s[0:3], s32 offset:328 ; 4-byte Folded Spill
	v_lshrrev_b32_e32 v4, 16, v13
	buffer_store_dword v4, off, s[0:3], s32 offset:336 ; 4-byte Folded Spill
	s_and_saveexec_b32 s17, vcc_lo
	s_cbranch_execz .LBB382_1839
; %bb.1838:                             ;   in Loop: Header=BB382_1574 Depth=1
	buffer_load_dword v4, off, s[0:3], s32 offset:352 ; 4-byte Folded Reload
	v_cmp_lt_i32_e64 s4, v105, v92
	s_waitcnt vmcnt(0)
	v_cndmask_b32_e64 v4, 0, v4, s4
	v_cmp_lt_i32_e64 s4, v126, v92
	buffer_store_dword v4, off, s[0:3], s32 offset:352 ; 4-byte Folded Spill
	buffer_load_dword v4, off, s[0:3], s32 offset:356 ; 4-byte Folded Reload
	s_waitcnt vmcnt(0)
	v_cndmask_b32_e64 v4, 0, v4, s4
	v_cmp_lt_i32_e64 s4, v125, v92
	buffer_store_dword v4, off, s[0:3], s32 offset:356 ; 4-byte Folded Spill
	buffer_load_dword v4, off, s[0:3], s32 offset:348 ; 4-byte Folded Reload
	s_waitcnt vmcnt(0)
	v_cndmask_b32_e64 v4, 0, v4, s4
	v_cmp_lt_i32_e64 s4, v124, v92
	buffer_store_dword v4, off, s[0:3], s32 offset:348 ; 4-byte Folded Spill
	buffer_load_dword v4, off, s[0:3], s32 offset:344 ; 4-byte Folded Reload
	s_waitcnt vmcnt(0)
	v_cndmask_b32_e64 v4, 0, v4, s4
	v_cmp_lt_i32_e64 s4, v123, v92
	buffer_store_dword v4, off, s[0:3], s32 offset:344 ; 4-byte Folded Spill
	buffer_load_dword v4, off, s[0:3], s32 offset:332 ; 4-byte Folded Reload
	s_waitcnt vmcnt(0)
	v_cndmask_b32_e64 v4, 0, v4, s4
	v_cmp_lt_i32_e64 s4, v122, v92
	buffer_store_dword v4, off, s[0:3], s32 offset:332 ; 4-byte Folded Spill
	buffer_load_dword v4, off, s[0:3], s32 offset:340 ; 4-byte Folded Reload
	s_waitcnt vmcnt(0)
	v_cndmask_b32_e64 v4, 0, v4, s4
	v_cmp_lt_i32_e64 s4, v121, v92
	buffer_store_dword v4, off, s[0:3], s32 offset:340 ; 4-byte Folded Spill
	buffer_load_dword v4, off, s[0:3], s32 offset:328 ; 4-byte Folded Reload
	s_waitcnt vmcnt(0)
	v_cndmask_b32_e64 v4, 0, v4, s4
	v_cmp_lt_i32_e64 s4, v120, v92
	buffer_store_dword v4, off, s[0:3], s32 offset:328 ; 4-byte Folded Spill
	buffer_load_dword v4, off, s[0:3], s32 offset:336 ; 4-byte Folded Reload
	s_waitcnt vmcnt(0)
	v_cndmask_b32_e64 v4, 0, v4, s4
	buffer_store_dword v4, off, s[0:3], s32 offset:336 ; 4-byte Folded Spill
.LBB382_1839:                           ;   in Loop: Header=BB382_1574 Depth=1
	s_or_b32 exec_lo, exec_lo, s17
	flat_load_dwordx2 v[18:19], v[14:15] offset:1024
	v_mov_b32_e32 v5, 0
	v_mov_b32_e32 v4, 0
	s_waitcnt vmcnt(0) lgkmcnt(0)
	v_cmp_ne_u16_sdwa s4, v18, v11 src0_sel:BYTE_0 src1_sel:DWORD
	s_and_saveexec_b32 s17, s4
	s_cbranch_execz .LBB382_1847
; %bb.1840:                             ;   in Loop: Header=BB382_1574 Depth=1
	v_cmp_ne_u16_sdwa s4, v18, v98 src0_sel:BYTE_0 src1_sel:DWORD
	v_bfrev_b32_e32 v4, 1
	s_and_saveexec_b32 s18, s4
	s_cbranch_execz .LBB382_1846
; %bb.1841:                             ;   in Loop: Header=BB382_1574 Depth=1
	v_and_b32_e32 v10, 0x7f, v18
	v_mov_b32_e32 v4, 0x7f800001
	s_mov_b32 s20, exec_lo
	v_cmpx_ne_u32_e32 0x7f, v10
	s_cbranch_execz .LBB382_1845
; %bb.1842:                             ;   in Loop: Header=BB382_1574 Depth=1
	v_mov_b32_e32 v21, v19
	v_lshrrev_b32_e32 v4, 3, v10
	v_mov_b32_e32 v20, v18
	s_mov_b32 s21, exec_lo
	v_cmpx_gt_u32_e32 8, v10
; %bb.1843:                             ;   in Loop: Header=BB382_1574 Depth=1
	v_and_b32_e32 v4, 7, v18
	v_ffbh_u32_e32 v4, v4
	v_min_u32_e32 v4, 32, v4
	v_subrev_nc_u32_e32 v10, 28, v4
	v_sub_nc_u32_e32 v4, 29, v4
	v_lshlrev_b64 v[20:21], v10, v[18:19]
; %bb.1844:                             ;   in Loop: Header=BB382_1574 Depth=1
	s_or_b32 exec_lo, exec_lo, s21
	v_lshlrev_b32_e32 v10, 20, v20
	v_lshlrev_b32_e32 v12, 24, v18
	v_lshl_add_u32 v4, v4, 23, 0x3c000000
	v_and_b32_e32 v10, 0x700000, v10
	v_and_b32_e32 v12, 0x80000000, v12
	v_or3_b32 v4, v10, v12, v4
.LBB382_1845:                           ;   in Loop: Header=BB382_1574 Depth=1
	s_or_b32 exec_lo, exec_lo, s20
.LBB382_1846:                           ;   in Loop: Header=BB382_1574 Depth=1
	s_or_b32 exec_lo, exec_lo, s18
.LBB382_1847:                           ;   in Loop: Header=BB382_1574 Depth=1
	s_or_b32 exec_lo, exec_lo, s17
	v_cmp_ne_u16_sdwa s4, v18, v11 src0_sel:BYTE_1 src1_sel:DWORD
	s_and_saveexec_b32 s17, s4
	s_cbranch_execz .LBB382_1855
; %bb.1848:                             ;   in Loop: Header=BB382_1574 Depth=1
	v_cmp_ne_u16_sdwa s4, v18, v98 src0_sel:BYTE_1 src1_sel:DWORD
	v_bfrev_b32_e32 v5, 1
	s_and_saveexec_b32 s18, s4
	s_cbranch_execz .LBB382_1854
; %bb.1849:                             ;   in Loop: Header=BB382_1574 Depth=1
	v_mov_b32_e32 v5, 0xffff
	s_mov_b32 s20, exec_lo
	v_and_b32_sdwa v10, v5, v18 dst_sel:DWORD dst_unused:UNUSED_PAD src0_sel:DWORD src1_sel:BYTE_1
	v_mov_b32_e32 v5, 0x7f800001
	v_and_b32_e32 v12, 0x7f, v10
	v_cmpx_ne_u32_e32 0x7f, v12
	s_cbranch_execz .LBB382_1853
; %bb.1850:                             ;   in Loop: Header=BB382_1574 Depth=1
	v_and_b32_e32 v10, 7, v10
	v_mov_b32_e32 v21, v11
	v_lshrrev_b32_e32 v5, 3, v12
	s_mov_b32 s21, exec_lo
	v_mov_b32_e32 v20, v10
	v_cmpx_gt_u32_e32 8, v12
; %bb.1851:                             ;   in Loop: Header=BB382_1574 Depth=1
	v_ffbh_u32_e32 v5, v10
	v_min_u32_e32 v5, 32, v5
	v_subrev_nc_u32_e32 v12, 28, v5
	v_sub_nc_u32_e32 v5, 29, v5
	v_lshlrev_b64 v[12:13], v12, v[10:11]
	v_and_b32_e32 v20, 7, v12
; %bb.1852:                             ;   in Loop: Header=BB382_1574 Depth=1
	s_or_b32 exec_lo, exec_lo, s21
	v_lshlrev_b32_e32 v10, 16, v18
	v_lshlrev_b32_e32 v12, 20, v20
	v_lshl_add_u32 v5, v5, 23, 0x3c000000
	v_and_b32_e32 v10, 0x80000000, v10
	v_or3_b32 v5, v12, v10, v5
.LBB382_1853:                           ;   in Loop: Header=BB382_1574 Depth=1
	s_or_b32 exec_lo, exec_lo, s20
.LBB382_1854:                           ;   in Loop: Header=BB382_1574 Depth=1
	s_or_b32 exec_lo, exec_lo, s18
.LBB382_1855:                           ;   in Loop: Header=BB382_1574 Depth=1
	s_or_b32 exec_lo, exec_lo, s17
	v_and_b32_sdwa v10, v18, v100 dst_sel:DWORD dst_unused:UNUSED_PAD src0_sel:WORD_1 src1_sel:DWORD
	v_mov_b32_e32 v13, 0
	v_mov_b32_e32 v12, 0
	s_mov_b32 s17, exec_lo
	v_cmpx_ne_u16_e32 0, v10
	s_cbranch_execz .LBB382_1863
; %bb.1856:                             ;   in Loop: Header=BB382_1574 Depth=1
	v_bfrev_b32_e32 v12, 1
	s_mov_b32 s18, exec_lo
	v_cmpx_ne_u16_e32 0x80, v10
	s_cbranch_execz .LBB382_1862
; %bb.1857:                             ;   in Loop: Header=BB382_1574 Depth=1
	v_bfe_u32 v16, v18, 16, 7
	v_mov_b32_e32 v12, 0x7f800001
	s_mov_b32 s20, exec_lo
	v_cmpx_ne_u32_e32 0x7f, v16
	s_cbranch_execz .LBB382_1861
; %bb.1858:                             ;   in Loop: Header=BB382_1574 Depth=1
	v_mov_b32_e32 v10, 7
	v_lshrrev_b32_e32 v12, 3, v16
	s_mov_b32 s21, exec_lo
	v_and_b32_sdwa v10, v18, v10 dst_sel:DWORD dst_unused:UNUSED_PAD src0_sel:WORD_1 src1_sel:DWORD
	v_mov_b32_e32 v21, v11
	v_mov_b32_e32 v20, v10
	v_cmpx_gt_u32_e32 8, v16
; %bb.1859:                             ;   in Loop: Header=BB382_1574 Depth=1
	v_ffbh_u32_e32 v12, v10
	v_min_u32_e32 v12, 32, v12
	v_subrev_nc_u32_e32 v16, 28, v12
	v_sub_nc_u32_e32 v12, 29, v12
	v_lshlrev_b64 v[16:17], v16, v[10:11]
	v_and_b32_e32 v20, 7, v16
; %bb.1860:                             ;   in Loop: Header=BB382_1574 Depth=1
	s_or_b32 exec_lo, exec_lo, s21
	v_mov_b32_e32 v10, 24
	v_lshlrev_b32_e32 v16, 20, v20
	v_lshl_add_u32 v12, v12, 23, 0x3c000000
	v_lshlrev_b32_sdwa v10, v10, v18 dst_sel:DWORD dst_unused:UNUSED_PAD src0_sel:DWORD src1_sel:WORD_1
	v_and_b32_e32 v10, 0x80000000, v10
	v_or3_b32 v12, v16, v10, v12
.LBB382_1861:                           ;   in Loop: Header=BB382_1574 Depth=1
	s_or_b32 exec_lo, exec_lo, s20
.LBB382_1862:                           ;   in Loop: Header=BB382_1574 Depth=1
	s_or_b32 exec_lo, exec_lo, s18
.LBB382_1863:                           ;   in Loop: Header=BB382_1574 Depth=1
	s_or_b32 exec_lo, exec_lo, s17
	s_mov_b32 s17, exec_lo
	v_cmpx_lt_u32_e32 0xffffff, v18
	s_cbranch_execz .LBB382_1871
; %bb.1864:                             ;   in Loop: Header=BB382_1574 Depth=1
	v_cmp_ne_u32_sdwa s4, v18, v98 src0_sel:BYTE_3 src1_sel:DWORD
	v_bfrev_b32_e32 v13, 1
	s_and_saveexec_b32 s18, s4
	s_cbranch_execz .LBB382_1870
; %bb.1865:                             ;   in Loop: Header=BB382_1574 Depth=1
	v_bfe_u32 v16, v18, 24, 7
	v_mov_b32_e32 v13, 0x7f800001
	s_mov_b32 s20, exec_lo
	v_cmpx_ne_u32_e32 0x7f, v16
	s_cbranch_execz .LBB382_1869
; %bb.1866:                             ;   in Loop: Header=BB382_1574 Depth=1
	v_mov_b32_e32 v10, 7
	v_lshrrev_b32_e32 v13, 3, v16
	s_mov_b32 s21, exec_lo
	v_and_b32_sdwa v10, v18, v10 dst_sel:DWORD dst_unused:UNUSED_PAD src0_sel:BYTE_3 src1_sel:DWORD
	v_mov_b32_e32 v21, v11
	v_mov_b32_e32 v20, v10
	v_cmpx_gt_u32_e32 8, v16
; %bb.1867:                             ;   in Loop: Header=BB382_1574 Depth=1
	v_ffbh_u32_e32 v13, v10
	v_min_u32_e32 v13, 32, v13
	v_subrev_nc_u32_e32 v16, 28, v13
	v_sub_nc_u32_e32 v13, 29, v13
	v_lshlrev_b64 v[16:17], v16, v[10:11]
	v_and_b32_e32 v20, 7, v16
; %bb.1868:                             ;   in Loop: Header=BB382_1574 Depth=1
	s_or_b32 exec_lo, exec_lo, s21
	v_mov_b32_e32 v10, 24
	v_lshlrev_b32_e32 v16, 20, v20
	v_lshl_add_u32 v13, v13, 23, 0x3c000000
	v_lshlrev_b32_sdwa v10, v10, v18 dst_sel:DWORD dst_unused:UNUSED_PAD src0_sel:DWORD src1_sel:BYTE_3
	v_and_b32_e32 v10, 0x80000000, v10
	v_or3_b32 v13, v16, v10, v13
.LBB382_1869:                           ;   in Loop: Header=BB382_1574 Depth=1
	s_or_b32 exec_lo, exec_lo, s20
.LBB382_1870:                           ;   in Loop: Header=BB382_1574 Depth=1
	s_or_b32 exec_lo, exec_lo, s18
.LBB382_1871:                           ;   in Loop: Header=BB382_1574 Depth=1
	s_or_b32 exec_lo, exec_lo, s17
	v_mov_b32_e32 v10, v19
	v_cmp_ne_u16_sdwa s4, v19, v11 src0_sel:BYTE_0 src1_sel:DWORD
	v_mov_b32_e32 v17, 0
	v_mov_b32_e32 v16, 0
	s_and_saveexec_b32 s17, s4
	s_cbranch_execz .LBB382_1879
; %bb.1872:                             ;   in Loop: Header=BB382_1574 Depth=1
	v_cmp_ne_u16_sdwa s4, v19, v98 src0_sel:BYTE_0 src1_sel:DWORD
	v_bfrev_b32_e32 v16, 1
	s_and_saveexec_b32 s18, s4
	s_cbranch_execz .LBB382_1878
; %bb.1873:                             ;   in Loop: Header=BB382_1574 Depth=1
	v_and_b32_e32 v20, 0x7f, v19
	v_mov_b32_e32 v16, 0x7f800001
	s_mov_b32 s20, exec_lo
	v_cmpx_ne_u32_e32 0x7f, v20
	s_cbranch_execz .LBB382_1877
; %bb.1874:                             ;   in Loop: Header=BB382_1574 Depth=1
	v_lshrrev_b32_e32 v16, 3, v20
	v_cmp_gt_u32_e64 s4, 8, v20
	v_mov_b32_e32 v21, v11
	v_mov_b32_e32 v20, v10
	s_and_saveexec_b32 s21, s4
; %bb.1875:                             ;   in Loop: Header=BB382_1574 Depth=1
	v_and_b32_e32 v16, 7, v19
	v_ffbh_u32_e32 v16, v16
	v_min_u32_e32 v16, 32, v16
	v_subrev_nc_u32_e32 v20, 28, v16
	v_sub_nc_u32_e32 v16, 29, v16
	v_lshlrev_b64 v[20:21], v20, v[10:11]
; %bb.1876:                             ;   in Loop: Header=BB382_1574 Depth=1
	s_or_b32 exec_lo, exec_lo, s21
	v_lshlrev_b32_e32 v20, 20, v20
	v_lshlrev_b32_e32 v21, 24, v10
	v_lshl_add_u32 v16, v16, 23, 0x3c000000
	v_and_b32_e32 v20, 0x700000, v20
	v_and_b32_e32 v21, 0x80000000, v21
	v_or3_b32 v16, v20, v21, v16
.LBB382_1877:                           ;   in Loop: Header=BB382_1574 Depth=1
	s_or_b32 exec_lo, exec_lo, s20
.LBB382_1878:                           ;   in Loop: Header=BB382_1574 Depth=1
	s_or_b32 exec_lo, exec_lo, s18
.LBB382_1879:                           ;   in Loop: Header=BB382_1574 Depth=1
	s_or_b32 exec_lo, exec_lo, s17
	v_cmp_ne_u16_sdwa s4, v10, v11 src0_sel:BYTE_1 src1_sel:DWORD
	s_and_saveexec_b32 s17, s4
	s_cbranch_execz .LBB382_1887
; %bb.1880:                             ;   in Loop: Header=BB382_1574 Depth=1
	v_cmp_ne_u16_sdwa s4, v10, v98 src0_sel:BYTE_1 src1_sel:DWORD
	v_bfrev_b32_e32 v17, 1
	s_and_saveexec_b32 s18, s4
	s_cbranch_execz .LBB382_1886
; %bb.1881:                             ;   in Loop: Header=BB382_1574 Depth=1
	v_mov_b32_e32 v17, 0xffff
	s_mov_b32 s20, exec_lo
	v_and_b32_sdwa v20, v17, v10 dst_sel:DWORD dst_unused:UNUSED_PAD src0_sel:DWORD src1_sel:BYTE_1
	v_mov_b32_e32 v17, 0x7f800001
	v_and_b32_e32 v22, 0x7f, v20
	v_cmpx_ne_u32_e32 0x7f, v22
	s_cbranch_execz .LBB382_1885
; %bb.1882:                             ;   in Loop: Header=BB382_1574 Depth=1
	v_and_b32_e32 v20, 7, v20
	v_mov_b32_e32 v21, v11
	v_lshrrev_b32_e32 v17, 3, v22
	s_mov_b32 s21, exec_lo
	v_cmpx_gt_u32_e32 8, v22
; %bb.1883:                             ;   in Loop: Header=BB382_1574 Depth=1
	v_ffbh_u32_e32 v17, v20
	v_min_u32_e32 v17, 32, v17
	v_subrev_nc_u32_e32 v22, 28, v17
	v_sub_nc_u32_e32 v17, 29, v17
	v_lshlrev_b64 v[20:21], v22, v[20:21]
	v_and_b32_e32 v20, 7, v20
; %bb.1884:                             ;   in Loop: Header=BB382_1574 Depth=1
	s_or_b32 exec_lo, exec_lo, s21
	v_lshlrev_b32_e32 v10, 16, v10
	v_lshlrev_b32_e32 v20, 20, v20
	v_lshl_add_u32 v17, v17, 23, 0x3c000000
	v_and_b32_e32 v10, 0x80000000, v10
	v_or3_b32 v17, v20, v10, v17
.LBB382_1885:                           ;   in Loop: Header=BB382_1574 Depth=1
	s_or_b32 exec_lo, exec_lo, s20
.LBB382_1886:                           ;   in Loop: Header=BB382_1574 Depth=1
	s_or_b32 exec_lo, exec_lo, s18
.LBB382_1887:                           ;   in Loop: Header=BB382_1574 Depth=1
	s_or_b32 exec_lo, exec_lo, s17
	v_and_b32_sdwa v10, v19, v100 dst_sel:DWORD dst_unused:UNUSED_PAD src0_sel:WORD_1 src1_sel:DWORD
	v_mov_b32_e32 v22, 0
	v_mov_b32_e32 v23, 0
	s_mov_b32 s17, exec_lo
	v_cmpx_ne_u16_e32 0, v10
	s_cbranch_execz .LBB382_1895
; %bb.1888:                             ;   in Loop: Header=BB382_1574 Depth=1
	v_bfrev_b32_e32 v23, 1
	s_mov_b32 s18, exec_lo
	v_cmpx_ne_u16_e32 0x80, v10
	s_cbranch_execz .LBB382_1894
; %bb.1889:                             ;   in Loop: Header=BB382_1574 Depth=1
	v_bfe_u32 v20, v19, 16, 7
	v_mov_b32_e32 v23, 0x7f800001
	s_mov_b32 s20, exec_lo
	v_cmpx_ne_u32_e32 0x7f, v20
	s_cbranch_execz .LBB382_1893
; %bb.1890:                             ;   in Loop: Header=BB382_1574 Depth=1
	v_mov_b32_e32 v10, 7
	v_lshrrev_b32_e32 v23, 3, v20
	v_cmp_gt_u32_e64 s4, 8, v20
	v_and_b32_sdwa v10, v19, v10 dst_sel:DWORD dst_unused:UNUSED_PAD src0_sel:WORD_1 src1_sel:DWORD
	v_mov_b32_e32 v21, v11
	v_mov_b32_e32 v20, v10
	s_and_saveexec_b32 s21, s4
; %bb.1891:                             ;   in Loop: Header=BB382_1574 Depth=1
	v_ffbh_u32_e32 v20, v10
	v_min_u32_e32 v23, 32, v20
	v_subrev_nc_u32_e32 v20, 28, v23
	v_sub_nc_u32_e32 v23, 29, v23
	v_lshlrev_b64 v[20:21], v20, v[10:11]
	v_and_b32_e32 v20, 7, v20
; %bb.1892:                             ;   in Loop: Header=BB382_1574 Depth=1
	s_or_b32 exec_lo, exec_lo, s21
	v_mov_b32_e32 v10, 24
	v_lshlrev_b32_e32 v20, 20, v20
	v_lshl_add_u32 v21, v23, 23, 0x3c000000
	v_lshlrev_b32_sdwa v10, v10, v19 dst_sel:DWORD dst_unused:UNUSED_PAD src0_sel:DWORD src1_sel:WORD_1
	v_and_b32_e32 v10, 0x80000000, v10
	v_or3_b32 v23, v20, v10, v21
.LBB382_1893:                           ;   in Loop: Header=BB382_1574 Depth=1
	s_or_b32 exec_lo, exec_lo, s20
.LBB382_1894:                           ;   in Loop: Header=BB382_1574 Depth=1
	s_or_b32 exec_lo, exec_lo, s18
.LBB382_1895:                           ;   in Loop: Header=BB382_1574 Depth=1
	s_or_b32 exec_lo, exec_lo, s17
	s_mov_b32 s17, exec_lo
	v_cmpx_lt_u64_e64 s[12:13], v[18:19]
	s_cbranch_execz .LBB382_1903
; %bb.1896:                             ;   in Loop: Header=BB382_1574 Depth=1
	v_cmp_ne_u32_sdwa s4, v19, v98 src0_sel:BYTE_3 src1_sel:DWORD
	v_bfrev_b32_e32 v22, 1
	s_and_saveexec_b32 s18, s4
	s_cbranch_execz .LBB382_1902
; %bb.1897:                             ;   in Loop: Header=BB382_1574 Depth=1
	v_bfe_u32 v20, v19, 24, 7
	v_mov_b32_e32 v22, 0x7f800001
	s_mov_b32 s20, exec_lo
	v_cmpx_ne_u32_e32 0x7f, v20
	s_cbranch_execz .LBB382_1901
; %bb.1898:                             ;   in Loop: Header=BB382_1574 Depth=1
	v_mov_b32_e32 v10, 7
	v_lshrrev_b32_e32 v18, 3, v20
	v_cmp_gt_u32_e64 s4, 8, v20
	v_and_b32_sdwa v10, v19, v10 dst_sel:DWORD dst_unused:UNUSED_PAD src0_sel:BYTE_3 src1_sel:DWORD
	v_mov_b32_e32 v21, v11
	v_mov_b32_e32 v20, v10
	s_and_saveexec_b32 s21, s4
; %bb.1899:                             ;   in Loop: Header=BB382_1574 Depth=1
	v_ffbh_u32_e32 v18, v10
	v_min_u32_e32 v18, 32, v18
	v_subrev_nc_u32_e32 v20, 28, v18
	v_sub_nc_u32_e32 v18, 29, v18
	v_lshlrev_b64 v[20:21], v20, v[10:11]
	v_and_b32_e32 v20, 7, v20
; %bb.1900:                             ;   in Loop: Header=BB382_1574 Depth=1
	s_or_b32 exec_lo, exec_lo, s21
	v_mov_b32_e32 v10, 24
	v_lshl_add_u32 v18, v18, 23, 0x3c000000
	v_lshlrev_b32_sdwa v10, v10, v19 dst_sel:DWORD dst_unused:UNUSED_PAD src0_sel:DWORD src1_sel:BYTE_3
	v_lshlrev_b32_e32 v19, 20, v20
	v_and_b32_e32 v10, 0x80000000, v10
	v_or3_b32 v22, v19, v10, v18
.LBB382_1901:                           ;   in Loop: Header=BB382_1574 Depth=1
	s_or_b32 exec_lo, exec_lo, s20
.LBB382_1902:                           ;   in Loop: Header=BB382_1574 Depth=1
	s_or_b32 exec_lo, exec_lo, s18
.LBB382_1903:                           ;   in Loop: Header=BB382_1574 Depth=1
	s_or_b32 exec_lo, exec_lo, s17
	v_mul_f32_e32 v10, v106, v17
	v_mul_f32_e32 v16, v106, v16
	;; [unrolled: 1-line block ×5, first 2 shown]
	v_bfe_u32 v17, v10, 16, 1
	v_or_b32_e32 v18, 0x400000, v10
	v_bfe_u32 v19, v16, 16, 1
	v_cmp_u_f32_e64 s4, v10, v10
	v_or_b32_e32 v20, 0x400000, v16
	v_add3_u32 v17, v17, v10, 0x7fff
	v_bfe_u32 v21, v13, 16, 1
	v_add3_u32 v19, v19, v16, 0x7fff
	v_or_b32_e32 v24, 0x400000, v13
	v_bfe_u32 v25, v12, 16, 1
	v_cndmask_b32_e64 v10, v17, v18, s4
	v_cmp_u_f32_e64 s4, v16, v16
	v_add3_u32 v21, v21, v13, 0x7fff
	v_or_b32_e32 v17, 0x400000, v12
	v_mul_f32_e32 v4, v106, v4
	v_lshrrev_b32_e32 v10, 16, v10
	v_cndmask_b32_e64 v16, v19, v20, s4
	v_cmp_u_f32_e64 s4, v13, v13
	v_bfe_u32 v18, v4, 16, 1
	buffer_store_dword v10, off, s[0:3], s32 offset:372 ; 4-byte Folded Spill
	v_add3_u32 v10, v25, v12, 0x7fff
	v_cndmask_b32_e64 v13, v21, v24, s4
	v_lshrrev_b32_e32 v16, 16, v16
	v_cmp_u_f32_e64 s4, v12, v12
	v_mul_f32_e32 v12, v106, v23
	v_lshrrev_b32_e32 v13, 16, v13
	buffer_store_dword v16, off, s[0:3], s32 offset:364 ; 4-byte Folded Spill
	v_cndmask_b32_e64 v10, v10, v17, s4
	v_or_b32_e32 v16, 0x400000, v5
	v_cmp_u_f32_e64 s4, v5, v5
	buffer_store_dword v13, off, s[0:3], s32 offset:376 ; 4-byte Folded Spill
	v_bfe_u32 v13, v5, 16, 1
	v_mul_f32_e32 v17, v106, v22
	v_bfe_u32 v19, v12, 16, 1
	v_or_b32_e32 v20, 0x400000, v12
	v_lshrrev_b32_e32 v10, 16, v10
	v_add3_u32 v13, v13, v5, 0x7fff
	v_or_b32_e32 v21, 0x400000, v17
	v_add3_u32 v19, v19, v12, 0x7fff
	buffer_store_dword v10, off, s[0:3], s32 offset:380 ; 4-byte Folded Spill
	v_cndmask_b32_e64 v5, v13, v16, s4
	v_add3_u32 v16, v18, v4, 0x7fff
	v_or_b32_e32 v18, 0x400000, v4
	v_cmp_u_f32_e64 s4, v4, v4
	v_bfe_u32 v13, v17, 16, 1
	v_lshrrev_b32_e32 v5, 16, v5
	v_cndmask_b32_e64 v4, v16, v18, s4
	v_cmp_u_f32_e64 s4, v12, v12
	v_add3_u32 v13, v13, v17, 0x7fff
	buffer_store_dword v5, off, s[0:3], s32 offset:388 ; 4-byte Folded Spill
	v_lshrrev_b32_e32 v4, 16, v4
	v_cndmask_b32_e64 v12, v19, v20, s4
	v_cmp_u_f32_e64 s4, v17, v17
	buffer_store_dword v4, off, s[0:3], s32 offset:384 ; 4-byte Folded Spill
	v_lshrrev_b32_e32 v4, 16, v12
	v_cndmask_b32_e64 v13, v13, v21, s4
	buffer_store_dword v4, off, s[0:3], s32 offset:360 ; 4-byte Folded Spill
	v_lshrrev_b32_e32 v4, 16, v13
	buffer_store_dword v4, off, s[0:3], s32 offset:368 ; 4-byte Folded Spill
	s_and_saveexec_b32 s17, vcc_lo
	s_cbranch_execz .LBB382_1905
; %bb.1904:                             ;   in Loop: Header=BB382_1574 Depth=1
	buffer_load_dword v4, off, s[0:3], s32 offset:384 ; 4-byte Folded Reload
	v_cmp_lt_i32_e64 s4, v105, v92
	s_waitcnt vmcnt(0)
	v_cndmask_b32_e64 v4, 0, v4, s4
	v_cmp_lt_i32_e64 s4, v126, v92
	buffer_store_dword v4, off, s[0:3], s32 offset:384 ; 4-byte Folded Spill
	buffer_load_dword v4, off, s[0:3], s32 offset:388 ; 4-byte Folded Reload
	s_waitcnt vmcnt(0)
	v_cndmask_b32_e64 v4, 0, v4, s4
	v_cmp_lt_i32_e64 s4, v125, v92
	buffer_store_dword v4, off, s[0:3], s32 offset:388 ; 4-byte Folded Spill
	buffer_load_dword v4, off, s[0:3], s32 offset:380 ; 4-byte Folded Reload
	s_waitcnt vmcnt(0)
	v_cndmask_b32_e64 v4, 0, v4, s4
	v_cmp_lt_i32_e64 s4, v124, v92
	buffer_store_dword v4, off, s[0:3], s32 offset:380 ; 4-byte Folded Spill
	buffer_load_dword v4, off, s[0:3], s32 offset:376 ; 4-byte Folded Reload
	s_waitcnt vmcnt(0)
	v_cndmask_b32_e64 v4, 0, v4, s4
	v_cmp_lt_i32_e64 s4, v123, v92
	buffer_store_dword v4, off, s[0:3], s32 offset:376 ; 4-byte Folded Spill
	buffer_load_dword v4, off, s[0:3], s32 offset:364 ; 4-byte Folded Reload
	s_waitcnt vmcnt(0)
	v_cndmask_b32_e64 v4, 0, v4, s4
	v_cmp_lt_i32_e64 s4, v122, v92
	buffer_store_dword v4, off, s[0:3], s32 offset:364 ; 4-byte Folded Spill
	buffer_load_dword v4, off, s[0:3], s32 offset:372 ; 4-byte Folded Reload
	s_waitcnt vmcnt(0)
	v_cndmask_b32_e64 v4, 0, v4, s4
	v_cmp_lt_i32_e64 s4, v121, v92
	buffer_store_dword v4, off, s[0:3], s32 offset:372 ; 4-byte Folded Spill
	buffer_load_dword v4, off, s[0:3], s32 offset:360 ; 4-byte Folded Reload
	s_waitcnt vmcnt(0)
	v_cndmask_b32_e64 v4, 0, v4, s4
	v_cmp_lt_i32_e64 s4, v120, v92
	buffer_store_dword v4, off, s[0:3], s32 offset:360 ; 4-byte Folded Spill
	buffer_load_dword v4, off, s[0:3], s32 offset:368 ; 4-byte Folded Reload
	s_waitcnt vmcnt(0)
	v_cndmask_b32_e64 v4, 0, v4, s4
	buffer_store_dword v4, off, s[0:3], s32 offset:368 ; 4-byte Folded Spill
.LBB382_1905:                           ;   in Loop: Header=BB382_1574 Depth=1
	s_or_b32 exec_lo, exec_lo, s17
	flat_load_dwordx2 v[18:19], v[14:15] offset:1280
	v_mov_b32_e32 v5, 0
	v_mov_b32_e32 v4, 0
	s_waitcnt vmcnt(0) lgkmcnt(0)
	v_cmp_ne_u16_sdwa s4, v18, v11 src0_sel:BYTE_0 src1_sel:DWORD
	s_and_saveexec_b32 s17, s4
	s_cbranch_execz .LBB382_1913
; %bb.1906:                             ;   in Loop: Header=BB382_1574 Depth=1
	v_cmp_ne_u16_sdwa s4, v18, v98 src0_sel:BYTE_0 src1_sel:DWORD
	v_bfrev_b32_e32 v4, 1
	s_and_saveexec_b32 s18, s4
	s_cbranch_execz .LBB382_1912
; %bb.1907:                             ;   in Loop: Header=BB382_1574 Depth=1
	v_and_b32_e32 v10, 0x7f, v18
	v_mov_b32_e32 v4, 0x7f800001
	s_mov_b32 s20, exec_lo
	v_cmpx_ne_u32_e32 0x7f, v10
	s_cbranch_execz .LBB382_1911
; %bb.1908:                             ;   in Loop: Header=BB382_1574 Depth=1
	v_mov_b32_e32 v21, v19
	v_lshrrev_b32_e32 v4, 3, v10
	v_mov_b32_e32 v20, v18
	s_mov_b32 s21, exec_lo
	v_cmpx_gt_u32_e32 8, v10
; %bb.1909:                             ;   in Loop: Header=BB382_1574 Depth=1
	v_and_b32_e32 v4, 7, v18
	v_ffbh_u32_e32 v4, v4
	v_min_u32_e32 v4, 32, v4
	v_subrev_nc_u32_e32 v10, 28, v4
	v_sub_nc_u32_e32 v4, 29, v4
	v_lshlrev_b64 v[20:21], v10, v[18:19]
; %bb.1910:                             ;   in Loop: Header=BB382_1574 Depth=1
	s_or_b32 exec_lo, exec_lo, s21
	v_lshlrev_b32_e32 v10, 20, v20
	v_lshlrev_b32_e32 v12, 24, v18
	v_lshl_add_u32 v4, v4, 23, 0x3c000000
	v_and_b32_e32 v10, 0x700000, v10
	v_and_b32_e32 v12, 0x80000000, v12
	v_or3_b32 v4, v10, v12, v4
.LBB382_1911:                           ;   in Loop: Header=BB382_1574 Depth=1
	s_or_b32 exec_lo, exec_lo, s20
.LBB382_1912:                           ;   in Loop: Header=BB382_1574 Depth=1
	s_or_b32 exec_lo, exec_lo, s18
.LBB382_1913:                           ;   in Loop: Header=BB382_1574 Depth=1
	s_or_b32 exec_lo, exec_lo, s17
	v_cmp_ne_u16_sdwa s4, v18, v11 src0_sel:BYTE_1 src1_sel:DWORD
	s_and_saveexec_b32 s17, s4
	s_cbranch_execz .LBB382_1921
; %bb.1914:                             ;   in Loop: Header=BB382_1574 Depth=1
	v_cmp_ne_u16_sdwa s4, v18, v98 src0_sel:BYTE_1 src1_sel:DWORD
	v_bfrev_b32_e32 v5, 1
	s_and_saveexec_b32 s18, s4
	s_cbranch_execz .LBB382_1920
; %bb.1915:                             ;   in Loop: Header=BB382_1574 Depth=1
	v_mov_b32_e32 v5, 0xffff
	s_mov_b32 s20, exec_lo
	v_and_b32_sdwa v10, v5, v18 dst_sel:DWORD dst_unused:UNUSED_PAD src0_sel:DWORD src1_sel:BYTE_1
	v_mov_b32_e32 v5, 0x7f800001
	v_and_b32_e32 v12, 0x7f, v10
	v_cmpx_ne_u32_e32 0x7f, v12
	s_cbranch_execz .LBB382_1919
; %bb.1916:                             ;   in Loop: Header=BB382_1574 Depth=1
	v_and_b32_e32 v10, 7, v10
	v_mov_b32_e32 v21, v11
	v_lshrrev_b32_e32 v5, 3, v12
	s_mov_b32 s21, exec_lo
	v_mov_b32_e32 v20, v10
	v_cmpx_gt_u32_e32 8, v12
; %bb.1917:                             ;   in Loop: Header=BB382_1574 Depth=1
	v_ffbh_u32_e32 v5, v10
	v_min_u32_e32 v5, 32, v5
	v_subrev_nc_u32_e32 v12, 28, v5
	v_sub_nc_u32_e32 v5, 29, v5
	v_lshlrev_b64 v[12:13], v12, v[10:11]
	v_and_b32_e32 v20, 7, v12
; %bb.1918:                             ;   in Loop: Header=BB382_1574 Depth=1
	s_or_b32 exec_lo, exec_lo, s21
	v_lshlrev_b32_e32 v10, 16, v18
	v_lshlrev_b32_e32 v12, 20, v20
	v_lshl_add_u32 v5, v5, 23, 0x3c000000
	v_and_b32_e32 v10, 0x80000000, v10
	v_or3_b32 v5, v12, v10, v5
.LBB382_1919:                           ;   in Loop: Header=BB382_1574 Depth=1
	s_or_b32 exec_lo, exec_lo, s20
.LBB382_1920:                           ;   in Loop: Header=BB382_1574 Depth=1
	s_or_b32 exec_lo, exec_lo, s18
.LBB382_1921:                           ;   in Loop: Header=BB382_1574 Depth=1
	s_or_b32 exec_lo, exec_lo, s17
	v_and_b32_sdwa v10, v18, v100 dst_sel:DWORD dst_unused:UNUSED_PAD src0_sel:WORD_1 src1_sel:DWORD
	v_mov_b32_e32 v13, 0
	v_mov_b32_e32 v12, 0
	s_mov_b32 s17, exec_lo
	v_cmpx_ne_u16_e32 0, v10
	s_cbranch_execz .LBB382_1929
; %bb.1922:                             ;   in Loop: Header=BB382_1574 Depth=1
	v_bfrev_b32_e32 v12, 1
	s_mov_b32 s18, exec_lo
	v_cmpx_ne_u16_e32 0x80, v10
	s_cbranch_execz .LBB382_1928
; %bb.1923:                             ;   in Loop: Header=BB382_1574 Depth=1
	v_bfe_u32 v16, v18, 16, 7
	v_mov_b32_e32 v12, 0x7f800001
	s_mov_b32 s20, exec_lo
	v_cmpx_ne_u32_e32 0x7f, v16
	s_cbranch_execz .LBB382_1927
; %bb.1924:                             ;   in Loop: Header=BB382_1574 Depth=1
	v_mov_b32_e32 v10, 7
	v_lshrrev_b32_e32 v12, 3, v16
	s_mov_b32 s21, exec_lo
	v_and_b32_sdwa v10, v18, v10 dst_sel:DWORD dst_unused:UNUSED_PAD src0_sel:WORD_1 src1_sel:DWORD
	v_mov_b32_e32 v21, v11
	v_mov_b32_e32 v20, v10
	v_cmpx_gt_u32_e32 8, v16
; %bb.1925:                             ;   in Loop: Header=BB382_1574 Depth=1
	v_ffbh_u32_e32 v12, v10
	v_min_u32_e32 v12, 32, v12
	v_subrev_nc_u32_e32 v16, 28, v12
	v_sub_nc_u32_e32 v12, 29, v12
	v_lshlrev_b64 v[16:17], v16, v[10:11]
	v_and_b32_e32 v20, 7, v16
; %bb.1926:                             ;   in Loop: Header=BB382_1574 Depth=1
	s_or_b32 exec_lo, exec_lo, s21
	v_mov_b32_e32 v10, 24
	v_lshlrev_b32_e32 v16, 20, v20
	v_lshl_add_u32 v12, v12, 23, 0x3c000000
	v_lshlrev_b32_sdwa v10, v10, v18 dst_sel:DWORD dst_unused:UNUSED_PAD src0_sel:DWORD src1_sel:WORD_1
	v_and_b32_e32 v10, 0x80000000, v10
	v_or3_b32 v12, v16, v10, v12
.LBB382_1927:                           ;   in Loop: Header=BB382_1574 Depth=1
	s_or_b32 exec_lo, exec_lo, s20
.LBB382_1928:                           ;   in Loop: Header=BB382_1574 Depth=1
	s_or_b32 exec_lo, exec_lo, s18
.LBB382_1929:                           ;   in Loop: Header=BB382_1574 Depth=1
	s_or_b32 exec_lo, exec_lo, s17
	s_mov_b32 s17, exec_lo
	v_cmpx_lt_u32_e32 0xffffff, v18
	s_cbranch_execz .LBB382_1937
; %bb.1930:                             ;   in Loop: Header=BB382_1574 Depth=1
	v_cmp_ne_u32_sdwa s4, v18, v98 src0_sel:BYTE_3 src1_sel:DWORD
	v_bfrev_b32_e32 v13, 1
	s_and_saveexec_b32 s18, s4
	s_cbranch_execz .LBB382_1936
; %bb.1931:                             ;   in Loop: Header=BB382_1574 Depth=1
	v_bfe_u32 v16, v18, 24, 7
	v_mov_b32_e32 v13, 0x7f800001
	s_mov_b32 s20, exec_lo
	v_cmpx_ne_u32_e32 0x7f, v16
	s_cbranch_execz .LBB382_1935
; %bb.1932:                             ;   in Loop: Header=BB382_1574 Depth=1
	v_mov_b32_e32 v10, 7
	v_lshrrev_b32_e32 v13, 3, v16
	s_mov_b32 s21, exec_lo
	v_and_b32_sdwa v10, v18, v10 dst_sel:DWORD dst_unused:UNUSED_PAD src0_sel:BYTE_3 src1_sel:DWORD
	v_mov_b32_e32 v21, v11
	v_mov_b32_e32 v20, v10
	v_cmpx_gt_u32_e32 8, v16
; %bb.1933:                             ;   in Loop: Header=BB382_1574 Depth=1
	v_ffbh_u32_e32 v13, v10
	v_min_u32_e32 v13, 32, v13
	v_subrev_nc_u32_e32 v16, 28, v13
	v_sub_nc_u32_e32 v13, 29, v13
	v_lshlrev_b64 v[16:17], v16, v[10:11]
	v_and_b32_e32 v20, 7, v16
; %bb.1934:                             ;   in Loop: Header=BB382_1574 Depth=1
	s_or_b32 exec_lo, exec_lo, s21
	v_mov_b32_e32 v10, 24
	v_lshlrev_b32_e32 v16, 20, v20
	v_lshl_add_u32 v13, v13, 23, 0x3c000000
	v_lshlrev_b32_sdwa v10, v10, v18 dst_sel:DWORD dst_unused:UNUSED_PAD src0_sel:DWORD src1_sel:BYTE_3
	v_and_b32_e32 v10, 0x80000000, v10
	v_or3_b32 v13, v16, v10, v13
.LBB382_1935:                           ;   in Loop: Header=BB382_1574 Depth=1
	s_or_b32 exec_lo, exec_lo, s20
.LBB382_1936:                           ;   in Loop: Header=BB382_1574 Depth=1
	s_or_b32 exec_lo, exec_lo, s18
.LBB382_1937:                           ;   in Loop: Header=BB382_1574 Depth=1
	s_or_b32 exec_lo, exec_lo, s17
	v_mov_b32_e32 v10, v19
	v_cmp_ne_u16_sdwa s4, v19, v11 src0_sel:BYTE_0 src1_sel:DWORD
	v_mov_b32_e32 v23, 0
	v_mov_b32_e32 v22, 0
	s_and_saveexec_b32 s17, s4
	s_cbranch_execz .LBB382_1945
; %bb.1938:                             ;   in Loop: Header=BB382_1574 Depth=1
	v_cmp_ne_u16_sdwa s4, v19, v98 src0_sel:BYTE_0 src1_sel:DWORD
	v_bfrev_b32_e32 v22, 1
	s_and_saveexec_b32 s18, s4
	s_cbranch_execz .LBB382_1944
; %bb.1939:                             ;   in Loop: Header=BB382_1574 Depth=1
	v_and_b32_e32 v17, 0x7f, v19
	v_mov_b32_e32 v22, 0x7f800001
	s_mov_b32 s20, exec_lo
	v_cmpx_ne_u32_e32 0x7f, v17
	s_cbranch_execz .LBB382_1943
; %bb.1940:                             ;   in Loop: Header=BB382_1574 Depth=1
	v_mov_b32_e32 v21, v11
	v_lshrrev_b32_e32 v16, 3, v17
	v_mov_b32_e32 v20, v10
	s_mov_b32 s21, exec_lo
	v_cmpx_gt_u32_e32 8, v17
; %bb.1941:                             ;   in Loop: Header=BB382_1574 Depth=1
	v_and_b32_e32 v16, 7, v19
	v_ffbh_u32_e32 v16, v16
	v_min_u32_e32 v16, 32, v16
	v_subrev_nc_u32_e32 v17, 28, v16
	v_sub_nc_u32_e32 v16, 29, v16
	v_lshlrev_b64 v[20:21], v17, v[10:11]
; %bb.1942:                             ;   in Loop: Header=BB382_1574 Depth=1
	s_or_b32 exec_lo, exec_lo, s21
	v_lshlrev_b32_e32 v17, 20, v20
	v_lshlrev_b32_e32 v20, 24, v10
	v_lshl_add_u32 v16, v16, 23, 0x3c000000
	v_and_b32_e32 v17, 0x700000, v17
	v_and_b32_e32 v20, 0x80000000, v20
	v_or3_b32 v22, v17, v20, v16
.LBB382_1943:                           ;   in Loop: Header=BB382_1574 Depth=1
	s_or_b32 exec_lo, exec_lo, s20
.LBB382_1944:                           ;   in Loop: Header=BB382_1574 Depth=1
	s_or_b32 exec_lo, exec_lo, s18
.LBB382_1945:                           ;   in Loop: Header=BB382_1574 Depth=1
	s_or_b32 exec_lo, exec_lo, s17
	v_cmp_ne_u16_sdwa s4, v10, v11 src0_sel:BYTE_1 src1_sel:DWORD
	s_and_saveexec_b32 s17, s4
	s_cbranch_execz .LBB382_1953
; %bb.1946:                             ;   in Loop: Header=BB382_1574 Depth=1
	v_cmp_ne_u16_sdwa s4, v10, v98 src0_sel:BYTE_1 src1_sel:DWORD
	v_bfrev_b32_e32 v23, 1
	s_and_saveexec_b32 s18, s4
	s_cbranch_execz .LBB382_1952
; %bb.1947:                             ;   in Loop: Header=BB382_1574 Depth=1
	v_mov_b32_e32 v16, 0xffff
	v_mov_b32_e32 v23, 0x7f800001
	s_mov_b32 s20, exec_lo
	v_and_b32_sdwa v16, v16, v10 dst_sel:DWORD dst_unused:UNUSED_PAD src0_sel:DWORD src1_sel:BYTE_1
	v_and_b32_e32 v17, 0x7f, v16
	v_cmpx_ne_u32_e32 0x7f, v17
	s_cbranch_execz .LBB382_1951
; %bb.1948:                             ;   in Loop: Header=BB382_1574 Depth=1
	v_and_b32_e32 v20, 7, v16
	v_mov_b32_e32 v21, v11
	v_lshrrev_b32_e32 v16, 3, v17
	s_mov_b32 s21, exec_lo
	v_cmpx_gt_u32_e32 8, v17
; %bb.1949:                             ;   in Loop: Header=BB382_1574 Depth=1
	v_ffbh_u32_e32 v16, v20
	v_min_u32_e32 v16, 32, v16
	v_subrev_nc_u32_e32 v17, 28, v16
	v_sub_nc_u32_e32 v16, 29, v16
	v_lshlrev_b64 v[20:21], v17, v[20:21]
	v_and_b32_e32 v20, 7, v20
; %bb.1950:                             ;   in Loop: Header=BB382_1574 Depth=1
	s_or_b32 exec_lo, exec_lo, s21
	v_lshlrev_b32_e32 v10, 16, v10
	v_lshlrev_b32_e32 v17, 20, v20
	v_lshl_add_u32 v16, v16, 23, 0x3c000000
	v_and_b32_e32 v10, 0x80000000, v10
	v_or3_b32 v23, v17, v10, v16
.LBB382_1951:                           ;   in Loop: Header=BB382_1574 Depth=1
	s_or_b32 exec_lo, exec_lo, s20
.LBB382_1952:                           ;   in Loop: Header=BB382_1574 Depth=1
	s_or_b32 exec_lo, exec_lo, s18
.LBB382_1953:                           ;   in Loop: Header=BB382_1574 Depth=1
	s_or_b32 exec_lo, exec_lo, s17
	v_and_b32_sdwa v10, v19, v100 dst_sel:DWORD dst_unused:UNUSED_PAD src0_sel:WORD_1 src1_sel:DWORD
	v_mov_b32_e32 v16, 0
	v_mov_b32_e32 v17, 0
	s_mov_b32 s17, exec_lo
	v_cmpx_ne_u16_e32 0, v10
	s_cbranch_execz .LBB382_1961
; %bb.1954:                             ;   in Loop: Header=BB382_1574 Depth=1
	v_bfrev_b32_e32 v17, 1
	s_mov_b32 s18, exec_lo
	v_cmpx_ne_u16_e32 0x80, v10
	s_cbranch_execz .LBB382_1960
; %bb.1955:                             ;   in Loop: Header=BB382_1574 Depth=1
	v_bfe_u32 v20, v19, 16, 7
	v_mov_b32_e32 v17, 0x7f800001
	s_mov_b32 s20, exec_lo
	v_cmpx_ne_u32_e32 0x7f, v20
	s_cbranch_execz .LBB382_1959
; %bb.1956:                             ;   in Loop: Header=BB382_1574 Depth=1
	v_mov_b32_e32 v10, 7
	v_lshrrev_b32_e32 v17, 3, v20
	v_cmp_gt_u32_e64 s4, 8, v20
	v_and_b32_sdwa v10, v19, v10 dst_sel:DWORD dst_unused:UNUSED_PAD src0_sel:WORD_1 src1_sel:DWORD
	v_mov_b32_e32 v21, v11
	v_mov_b32_e32 v20, v10
	s_and_saveexec_b32 s21, s4
; %bb.1957:                             ;   in Loop: Header=BB382_1574 Depth=1
	v_ffbh_u32_e32 v17, v10
	v_min_u32_e32 v17, 32, v17
	v_subrev_nc_u32_e32 v20, 28, v17
	v_sub_nc_u32_e32 v17, 29, v17
	v_lshlrev_b64 v[20:21], v20, v[10:11]
	v_and_b32_e32 v20, 7, v20
; %bb.1958:                             ;   in Loop: Header=BB382_1574 Depth=1
	s_or_b32 exec_lo, exec_lo, s21
	v_mov_b32_e32 v10, 24
	v_lshlrev_b32_e32 v20, 20, v20
	v_lshl_add_u32 v17, v17, 23, 0x3c000000
	v_lshlrev_b32_sdwa v10, v10, v19 dst_sel:DWORD dst_unused:UNUSED_PAD src0_sel:DWORD src1_sel:WORD_1
	v_and_b32_e32 v10, 0x80000000, v10
	v_or3_b32 v17, v20, v10, v17
.LBB382_1959:                           ;   in Loop: Header=BB382_1574 Depth=1
	s_or_b32 exec_lo, exec_lo, s20
.LBB382_1960:                           ;   in Loop: Header=BB382_1574 Depth=1
	s_or_b32 exec_lo, exec_lo, s18
.LBB382_1961:                           ;   in Loop: Header=BB382_1574 Depth=1
	s_or_b32 exec_lo, exec_lo, s17
	s_mov_b32 s17, exec_lo
	v_cmpx_lt_u64_e64 s[12:13], v[18:19]
	s_cbranch_execz .LBB382_1969
; %bb.1962:                             ;   in Loop: Header=BB382_1574 Depth=1
	v_cmp_ne_u32_sdwa s4, v19, v98 src0_sel:BYTE_3 src1_sel:DWORD
	v_bfrev_b32_e32 v16, 1
	s_and_saveexec_b32 s18, s4
	s_cbranch_execz .LBB382_1968
; %bb.1963:                             ;   in Loop: Header=BB382_1574 Depth=1
	v_bfe_u32 v18, v19, 24, 7
	v_mov_b32_e32 v16, 0x7f800001
	s_mov_b32 s20, exec_lo
	v_cmpx_ne_u32_e32 0x7f, v18
	s_cbranch_execz .LBB382_1967
; %bb.1964:                             ;   in Loop: Header=BB382_1574 Depth=1
	v_mov_b32_e32 v10, 7
	v_lshrrev_b32_e32 v16, 3, v18
	s_mov_b32 s21, exec_lo
	v_and_b32_sdwa v10, v19, v10 dst_sel:DWORD dst_unused:UNUSED_PAD src0_sel:BYTE_3 src1_sel:DWORD
	v_mov_b32_e32 v21, v11
	v_mov_b32_e32 v20, v10
	v_cmpx_gt_u32_e32 8, v18
; %bb.1965:                             ;   in Loop: Header=BB382_1574 Depth=1
	v_ffbh_u32_e32 v16, v10
	v_min_u32_e32 v16, 32, v16
	v_subrev_nc_u32_e32 v18, 28, v16
	v_sub_nc_u32_e32 v16, 29, v16
	v_lshlrev_b64 v[20:21], v18, v[10:11]
	v_and_b32_e32 v20, 7, v20
; %bb.1966:                             ;   in Loop: Header=BB382_1574 Depth=1
	s_or_b32 exec_lo, exec_lo, s21
	v_mov_b32_e32 v10, 24
	v_lshlrev_b32_e32 v18, 20, v20
	v_lshl_add_u32 v16, v16, 23, 0x3c000000
	v_lshlrev_b32_sdwa v10, v10, v19 dst_sel:DWORD dst_unused:UNUSED_PAD src0_sel:DWORD src1_sel:BYTE_3
	v_and_b32_e32 v10, 0x80000000, v10
	v_or3_b32 v16, v18, v10, v16
.LBB382_1967:                           ;   in Loop: Header=BB382_1574 Depth=1
	s_or_b32 exec_lo, exec_lo, s20
.LBB382_1968:                           ;   in Loop: Header=BB382_1574 Depth=1
	s_or_b32 exec_lo, exec_lo, s18
.LBB382_1969:                           ;   in Loop: Header=BB382_1574 Depth=1
	s_or_b32 exec_lo, exec_lo, s17
	v_mul_f32_e32 v10, v106, v23
	v_mul_f32_e32 v5, v106, v5
	;; [unrolled: 1-line block ×3, first 2 shown]
	v_bfe_u32 v18, v10, 16, 1
	v_or_b32_e32 v19, 0x400000, v10
	v_cmp_u_f32_e64 s4, v10, v10
	v_add3_u32 v18, v18, v10, 0x7fff
	v_cndmask_b32_e64 v10, v18, v19, s4
	v_lshrrev_b32_e32 v10, 16, v10
	buffer_store_dword v10, off, s[0:3], s32 offset:396 ; 4-byte Folded Spill
	v_mul_f32_e32 v10, v106, v22
	v_bfe_u32 v18, v10, 16, 1
	v_or_b32_e32 v19, 0x400000, v10
	v_cmp_u_f32_e64 s4, v10, v10
	v_add3_u32 v18, v18, v10, 0x7fff
	v_cndmask_b32_e64 v10, v18, v19, s4
	v_lshrrev_b32_e32 v10, 16, v10
	buffer_store_dword v10, off, s[0:3], s32 offset:392 ; 4-byte Folded Spill
	v_mul_f32_e32 v10, v106, v13
	;; [unrolled: 8-line block ×3, first 2 shown]
	v_bfe_u32 v12, v10, 16, 1
	v_or_b32_e32 v13, 0x400000, v10
	v_cmp_u_f32_e64 s4, v10, v10
	v_add3_u32 v12, v12, v10, 0x7fff
	v_cndmask_b32_e64 v10, v12, v13, s4
	v_or_b32_e32 v12, 0x400000, v5
	v_cmp_u_f32_e64 s4, v5, v5
	v_lshrrev_b32_e32 v10, 16, v10
	buffer_store_dword v10, off, s[0:3], s32 offset:404 ; 4-byte Folded Spill
	v_bfe_u32 v10, v5, 16, 1
	v_add3_u32 v10, v10, v5, 0x7fff
	v_cndmask_b32_e64 v5, v10, v12, s4
	v_or_b32_e32 v10, 0x400000, v4
	v_cmp_u_f32_e64 s4, v4, v4
	v_lshrrev_b32_e32 v5, 16, v5
	buffer_store_dword v5, off, s[0:3], s32 offset:420 ; 4-byte Folded Spill
	v_bfe_u32 v5, v4, 16, 1
	v_add3_u32 v5, v5, v4, 0x7fff
	v_cndmask_b32_e64 v4, v5, v10, s4
	v_lshrrev_b32_e32 v4, 16, v4
	buffer_store_dword v4, off, s[0:3], s32 offset:416 ; 4-byte Folded Spill
	v_mul_f32_e32 v4, v106, v17
	v_bfe_u32 v5, v4, 16, 1
	v_or_b32_e32 v10, 0x400000, v4
	v_cmp_u_f32_e64 s4, v4, v4
	v_add3_u32 v5, v5, v4, 0x7fff
	v_cndmask_b32_e64 v4, v5, v10, s4
	v_lshrrev_b32_e32 v4, 16, v4
	buffer_store_dword v4, off, s[0:3], s32 offset:400 ; 4-byte Folded Spill
	v_mul_f32_e32 v4, v106, v16
	v_bfe_u32 v5, v4, 16, 1
	v_or_b32_e32 v10, 0x400000, v4
	v_cmp_u_f32_e64 s4, v4, v4
	v_add3_u32 v5, v5, v4, 0x7fff
	v_cndmask_b32_e64 v4, v5, v10, s4
	v_lshrrev_b32_e32 v4, 16, v4
	buffer_store_dword v4, off, s[0:3], s32 offset:412 ; 4-byte Folded Spill
	s_and_saveexec_b32 s17, vcc_lo
	s_cbranch_execz .LBB382_1971
; %bb.1970:                             ;   in Loop: Header=BB382_1574 Depth=1
	buffer_load_dword v4, off, s[0:3], s32 offset:416 ; 4-byte Folded Reload
	v_cmp_lt_i32_e64 s4, v105, v92
	s_waitcnt vmcnt(0)
	v_cndmask_b32_e64 v4, 0, v4, s4
	v_cmp_lt_i32_e64 s4, v126, v92
	buffer_store_dword v4, off, s[0:3], s32 offset:416 ; 4-byte Folded Spill
	buffer_load_dword v4, off, s[0:3], s32 offset:420 ; 4-byte Folded Reload
	s_waitcnt vmcnt(0)
	v_cndmask_b32_e64 v4, 0, v4, s4
	v_cmp_lt_i32_e64 s4, v125, v92
	buffer_store_dword v4, off, s[0:3], s32 offset:420 ; 4-byte Folded Spill
	buffer_load_dword v4, off, s[0:3], s32 offset:404 ; 4-byte Folded Reload
	;; [unrolled: 5-line block ×7, first 2 shown]
	s_waitcnt vmcnt(0)
	v_cndmask_b32_e64 v4, 0, v4, s4
	buffer_store_dword v4, off, s[0:3], s32 offset:412 ; 4-byte Folded Spill
.LBB382_1971:                           ;   in Loop: Header=BB382_1574 Depth=1
	s_or_b32 exec_lo, exec_lo, s17
	flat_load_dwordx2 v[18:19], v[14:15] offset:1536
	v_mov_b32_e32 v5, 0
	v_mov_b32_e32 v4, 0
	s_waitcnt vmcnt(0) lgkmcnt(0)
	v_cmp_ne_u16_sdwa s4, v18, v11 src0_sel:BYTE_0 src1_sel:DWORD
	s_and_saveexec_b32 s17, s4
	s_cbranch_execz .LBB382_1979
; %bb.1972:                             ;   in Loop: Header=BB382_1574 Depth=1
	v_cmp_ne_u16_sdwa s4, v18, v98 src0_sel:BYTE_0 src1_sel:DWORD
	v_bfrev_b32_e32 v4, 1
	s_and_saveexec_b32 s18, s4
	s_cbranch_execz .LBB382_1978
; %bb.1973:                             ;   in Loop: Header=BB382_1574 Depth=1
	v_and_b32_e32 v10, 0x7f, v18
	v_mov_b32_e32 v4, 0x7f800001
	s_mov_b32 s20, exec_lo
	v_cmpx_ne_u32_e32 0x7f, v10
	s_cbranch_execz .LBB382_1977
; %bb.1974:                             ;   in Loop: Header=BB382_1574 Depth=1
	v_mov_b32_e32 v21, v19
	v_lshrrev_b32_e32 v4, 3, v10
	v_mov_b32_e32 v20, v18
	s_mov_b32 s21, exec_lo
	v_cmpx_gt_u32_e32 8, v10
; %bb.1975:                             ;   in Loop: Header=BB382_1574 Depth=1
	v_and_b32_e32 v4, 7, v18
	v_ffbh_u32_e32 v4, v4
	v_min_u32_e32 v4, 32, v4
	v_subrev_nc_u32_e32 v10, 28, v4
	v_sub_nc_u32_e32 v4, 29, v4
	v_lshlrev_b64 v[20:21], v10, v[18:19]
; %bb.1976:                             ;   in Loop: Header=BB382_1574 Depth=1
	s_or_b32 exec_lo, exec_lo, s21
	v_lshlrev_b32_e32 v10, 20, v20
	v_lshlrev_b32_e32 v12, 24, v18
	v_lshl_add_u32 v4, v4, 23, 0x3c000000
	v_and_b32_e32 v10, 0x700000, v10
	v_and_b32_e32 v12, 0x80000000, v12
	v_or3_b32 v4, v10, v12, v4
.LBB382_1977:                           ;   in Loop: Header=BB382_1574 Depth=1
	s_or_b32 exec_lo, exec_lo, s20
.LBB382_1978:                           ;   in Loop: Header=BB382_1574 Depth=1
	s_or_b32 exec_lo, exec_lo, s18
.LBB382_1979:                           ;   in Loop: Header=BB382_1574 Depth=1
	s_or_b32 exec_lo, exec_lo, s17
	v_cmp_ne_u16_sdwa s4, v18, v11 src0_sel:BYTE_1 src1_sel:DWORD
	s_and_saveexec_b32 s17, s4
	s_cbranch_execz .LBB382_1987
; %bb.1980:                             ;   in Loop: Header=BB382_1574 Depth=1
	v_cmp_ne_u16_sdwa s4, v18, v98 src0_sel:BYTE_1 src1_sel:DWORD
	v_bfrev_b32_e32 v5, 1
	s_and_saveexec_b32 s18, s4
	s_cbranch_execz .LBB382_1986
; %bb.1981:                             ;   in Loop: Header=BB382_1574 Depth=1
	v_mov_b32_e32 v5, 0xffff
	s_mov_b32 s20, exec_lo
	v_and_b32_sdwa v10, v5, v18 dst_sel:DWORD dst_unused:UNUSED_PAD src0_sel:DWORD src1_sel:BYTE_1
	v_mov_b32_e32 v5, 0x7f800001
	v_and_b32_e32 v12, 0x7f, v10
	v_cmpx_ne_u32_e32 0x7f, v12
	s_cbranch_execz .LBB382_1985
; %bb.1982:                             ;   in Loop: Header=BB382_1574 Depth=1
	v_and_b32_e32 v10, 7, v10
	v_mov_b32_e32 v21, v11
	v_lshrrev_b32_e32 v5, 3, v12
	s_mov_b32 s21, exec_lo
	v_mov_b32_e32 v20, v10
	v_cmpx_gt_u32_e32 8, v12
; %bb.1983:                             ;   in Loop: Header=BB382_1574 Depth=1
	v_ffbh_u32_e32 v5, v10
	v_min_u32_e32 v5, 32, v5
	v_subrev_nc_u32_e32 v12, 28, v5
	v_sub_nc_u32_e32 v5, 29, v5
	v_lshlrev_b64 v[12:13], v12, v[10:11]
	v_and_b32_e32 v20, 7, v12
; %bb.1984:                             ;   in Loop: Header=BB382_1574 Depth=1
	s_or_b32 exec_lo, exec_lo, s21
	v_lshlrev_b32_e32 v10, 16, v18
	v_lshlrev_b32_e32 v12, 20, v20
	v_lshl_add_u32 v5, v5, 23, 0x3c000000
	v_and_b32_e32 v10, 0x80000000, v10
	v_or3_b32 v5, v12, v10, v5
.LBB382_1985:                           ;   in Loop: Header=BB382_1574 Depth=1
	s_or_b32 exec_lo, exec_lo, s20
.LBB382_1986:                           ;   in Loop: Header=BB382_1574 Depth=1
	s_or_b32 exec_lo, exec_lo, s18
.LBB382_1987:                           ;   in Loop: Header=BB382_1574 Depth=1
	s_or_b32 exec_lo, exec_lo, s17
	v_and_b32_sdwa v10, v18, v100 dst_sel:DWORD dst_unused:UNUSED_PAD src0_sel:WORD_1 src1_sel:DWORD
	v_mov_b32_e32 v13, 0
	v_mov_b32_e32 v12, 0
	s_mov_b32 s17, exec_lo
	v_cmpx_ne_u16_e32 0, v10
	s_cbranch_execz .LBB382_1995
; %bb.1988:                             ;   in Loop: Header=BB382_1574 Depth=1
	v_bfrev_b32_e32 v12, 1
	s_mov_b32 s18, exec_lo
	v_cmpx_ne_u16_e32 0x80, v10
	s_cbranch_execz .LBB382_1994
; %bb.1989:                             ;   in Loop: Header=BB382_1574 Depth=1
	v_bfe_u32 v16, v18, 16, 7
	v_mov_b32_e32 v12, 0x7f800001
	s_mov_b32 s20, exec_lo
	v_cmpx_ne_u32_e32 0x7f, v16
	s_cbranch_execz .LBB382_1993
; %bb.1990:                             ;   in Loop: Header=BB382_1574 Depth=1
	v_mov_b32_e32 v10, 7
	v_lshrrev_b32_e32 v12, 3, v16
	s_mov_b32 s21, exec_lo
	v_and_b32_sdwa v10, v18, v10 dst_sel:DWORD dst_unused:UNUSED_PAD src0_sel:WORD_1 src1_sel:DWORD
	v_mov_b32_e32 v21, v11
	v_mov_b32_e32 v20, v10
	v_cmpx_gt_u32_e32 8, v16
; %bb.1991:                             ;   in Loop: Header=BB382_1574 Depth=1
	v_ffbh_u32_e32 v12, v10
	v_min_u32_e32 v12, 32, v12
	v_subrev_nc_u32_e32 v16, 28, v12
	v_sub_nc_u32_e32 v12, 29, v12
	v_lshlrev_b64 v[16:17], v16, v[10:11]
	v_and_b32_e32 v20, 7, v16
; %bb.1992:                             ;   in Loop: Header=BB382_1574 Depth=1
	s_or_b32 exec_lo, exec_lo, s21
	v_mov_b32_e32 v10, 24
	v_lshlrev_b32_e32 v16, 20, v20
	v_lshl_add_u32 v12, v12, 23, 0x3c000000
	v_lshlrev_b32_sdwa v10, v10, v18 dst_sel:DWORD dst_unused:UNUSED_PAD src0_sel:DWORD src1_sel:WORD_1
	v_and_b32_e32 v10, 0x80000000, v10
	v_or3_b32 v12, v16, v10, v12
.LBB382_1993:                           ;   in Loop: Header=BB382_1574 Depth=1
	s_or_b32 exec_lo, exec_lo, s20
.LBB382_1994:                           ;   in Loop: Header=BB382_1574 Depth=1
	s_or_b32 exec_lo, exec_lo, s18
.LBB382_1995:                           ;   in Loop: Header=BB382_1574 Depth=1
	s_or_b32 exec_lo, exec_lo, s17
	s_mov_b32 s17, exec_lo
	v_cmpx_lt_u32_e32 0xffffff, v18
	s_cbranch_execz .LBB382_2003
; %bb.1996:                             ;   in Loop: Header=BB382_1574 Depth=1
	v_cmp_ne_u32_sdwa s4, v18, v98 src0_sel:BYTE_3 src1_sel:DWORD
	v_bfrev_b32_e32 v13, 1
	s_and_saveexec_b32 s18, s4
	s_cbranch_execz .LBB382_2002
; %bb.1997:                             ;   in Loop: Header=BB382_1574 Depth=1
	v_bfe_u32 v16, v18, 24, 7
	v_mov_b32_e32 v13, 0x7f800001
	s_mov_b32 s20, exec_lo
	v_cmpx_ne_u32_e32 0x7f, v16
	s_cbranch_execz .LBB382_2001
; %bb.1998:                             ;   in Loop: Header=BB382_1574 Depth=1
	v_mov_b32_e32 v10, 7
	v_lshrrev_b32_e32 v13, 3, v16
	s_mov_b32 s21, exec_lo
	v_and_b32_sdwa v10, v18, v10 dst_sel:DWORD dst_unused:UNUSED_PAD src0_sel:BYTE_3 src1_sel:DWORD
	v_mov_b32_e32 v21, v11
	v_mov_b32_e32 v20, v10
	v_cmpx_gt_u32_e32 8, v16
; %bb.1999:                             ;   in Loop: Header=BB382_1574 Depth=1
	v_ffbh_u32_e32 v13, v10
	v_min_u32_e32 v13, 32, v13
	v_subrev_nc_u32_e32 v16, 28, v13
	v_sub_nc_u32_e32 v13, 29, v13
	v_lshlrev_b64 v[16:17], v16, v[10:11]
	v_and_b32_e32 v20, 7, v16
; %bb.2000:                             ;   in Loop: Header=BB382_1574 Depth=1
	s_or_b32 exec_lo, exec_lo, s21
	v_mov_b32_e32 v10, 24
	v_lshlrev_b32_e32 v16, 20, v20
	v_lshl_add_u32 v13, v13, 23, 0x3c000000
	v_lshlrev_b32_sdwa v10, v10, v18 dst_sel:DWORD dst_unused:UNUSED_PAD src0_sel:DWORD src1_sel:BYTE_3
	v_and_b32_e32 v10, 0x80000000, v10
	v_or3_b32 v13, v16, v10, v13
.LBB382_2001:                           ;   in Loop: Header=BB382_1574 Depth=1
	s_or_b32 exec_lo, exec_lo, s20
.LBB382_2002:                           ;   in Loop: Header=BB382_1574 Depth=1
	s_or_b32 exec_lo, exec_lo, s18
.LBB382_2003:                           ;   in Loop: Header=BB382_1574 Depth=1
	s_or_b32 exec_lo, exec_lo, s17
	v_mov_b32_e32 v10, v19
	v_cmp_ne_u16_sdwa s4, v19, v11 src0_sel:BYTE_0 src1_sel:DWORD
	v_mov_b32_e32 v23, 0
	v_mov_b32_e32 v22, 0
	s_and_saveexec_b32 s17, s4
	s_cbranch_execz .LBB382_2011
; %bb.2004:                             ;   in Loop: Header=BB382_1574 Depth=1
	v_cmp_ne_u16_sdwa s4, v19, v98 src0_sel:BYTE_0 src1_sel:DWORD
	v_bfrev_b32_e32 v22, 1
	s_and_saveexec_b32 s18, s4
	s_cbranch_execz .LBB382_2010
; %bb.2005:                             ;   in Loop: Header=BB382_1574 Depth=1
	v_and_b32_e32 v17, 0x7f, v19
	v_mov_b32_e32 v22, 0x7f800001
	s_mov_b32 s20, exec_lo
	v_cmpx_ne_u32_e32 0x7f, v17
	s_cbranch_execz .LBB382_2009
; %bb.2006:                             ;   in Loop: Header=BB382_1574 Depth=1
	v_mov_b32_e32 v21, v11
	v_lshrrev_b32_e32 v16, 3, v17
	v_mov_b32_e32 v20, v10
	s_mov_b32 s21, exec_lo
	v_cmpx_gt_u32_e32 8, v17
; %bb.2007:                             ;   in Loop: Header=BB382_1574 Depth=1
	v_and_b32_e32 v16, 7, v19
	v_ffbh_u32_e32 v16, v16
	v_min_u32_e32 v16, 32, v16
	v_subrev_nc_u32_e32 v17, 28, v16
	v_sub_nc_u32_e32 v16, 29, v16
	v_lshlrev_b64 v[20:21], v17, v[10:11]
; %bb.2008:                             ;   in Loop: Header=BB382_1574 Depth=1
	s_or_b32 exec_lo, exec_lo, s21
	v_lshlrev_b32_e32 v17, 20, v20
	v_lshlrev_b32_e32 v20, 24, v10
	v_lshl_add_u32 v16, v16, 23, 0x3c000000
	v_and_b32_e32 v17, 0x700000, v17
	v_and_b32_e32 v20, 0x80000000, v20
	v_or3_b32 v22, v17, v20, v16
.LBB382_2009:                           ;   in Loop: Header=BB382_1574 Depth=1
	s_or_b32 exec_lo, exec_lo, s20
.LBB382_2010:                           ;   in Loop: Header=BB382_1574 Depth=1
	s_or_b32 exec_lo, exec_lo, s18
.LBB382_2011:                           ;   in Loop: Header=BB382_1574 Depth=1
	s_or_b32 exec_lo, exec_lo, s17
	v_cmp_ne_u16_sdwa s4, v10, v11 src0_sel:BYTE_1 src1_sel:DWORD
	s_and_saveexec_b32 s17, s4
	s_cbranch_execz .LBB382_2019
; %bb.2012:                             ;   in Loop: Header=BB382_1574 Depth=1
	v_cmp_ne_u16_sdwa s4, v10, v98 src0_sel:BYTE_1 src1_sel:DWORD
	v_bfrev_b32_e32 v23, 1
	s_and_saveexec_b32 s18, s4
	s_cbranch_execz .LBB382_2018
; %bb.2013:                             ;   in Loop: Header=BB382_1574 Depth=1
	v_mov_b32_e32 v16, 0xffff
	v_mov_b32_e32 v23, 0x7f800001
	s_mov_b32 s20, exec_lo
	v_and_b32_sdwa v16, v16, v10 dst_sel:DWORD dst_unused:UNUSED_PAD src0_sel:DWORD src1_sel:BYTE_1
	v_and_b32_e32 v17, 0x7f, v16
	v_cmpx_ne_u32_e32 0x7f, v17
	s_cbranch_execz .LBB382_2017
; %bb.2014:                             ;   in Loop: Header=BB382_1574 Depth=1
	v_and_b32_e32 v20, 7, v16
	v_mov_b32_e32 v21, v11
	v_lshrrev_b32_e32 v16, 3, v17
	s_mov_b32 s21, exec_lo
	v_cmpx_gt_u32_e32 8, v17
; %bb.2015:                             ;   in Loop: Header=BB382_1574 Depth=1
	v_ffbh_u32_e32 v16, v20
	v_min_u32_e32 v16, 32, v16
	v_subrev_nc_u32_e32 v17, 28, v16
	v_sub_nc_u32_e32 v16, 29, v16
	v_lshlrev_b64 v[20:21], v17, v[20:21]
	v_and_b32_e32 v20, 7, v20
; %bb.2016:                             ;   in Loop: Header=BB382_1574 Depth=1
	s_or_b32 exec_lo, exec_lo, s21
	v_lshlrev_b32_e32 v10, 16, v10
	v_lshlrev_b32_e32 v17, 20, v20
	v_lshl_add_u32 v16, v16, 23, 0x3c000000
	v_and_b32_e32 v10, 0x80000000, v10
	v_or3_b32 v23, v17, v10, v16
.LBB382_2017:                           ;   in Loop: Header=BB382_1574 Depth=1
	s_or_b32 exec_lo, exec_lo, s20
.LBB382_2018:                           ;   in Loop: Header=BB382_1574 Depth=1
	s_or_b32 exec_lo, exec_lo, s18
.LBB382_2019:                           ;   in Loop: Header=BB382_1574 Depth=1
	s_or_b32 exec_lo, exec_lo, s17
	v_and_b32_sdwa v10, v19, v100 dst_sel:DWORD dst_unused:UNUSED_PAD src0_sel:WORD_1 src1_sel:DWORD
	v_mov_b32_e32 v16, 0
	v_mov_b32_e32 v17, 0
	s_mov_b32 s17, exec_lo
	v_cmpx_ne_u16_e32 0, v10
	s_cbranch_execz .LBB382_2027
; %bb.2020:                             ;   in Loop: Header=BB382_1574 Depth=1
	v_bfrev_b32_e32 v17, 1
	s_mov_b32 s18, exec_lo
	v_cmpx_ne_u16_e32 0x80, v10
	s_cbranch_execz .LBB382_2026
; %bb.2021:                             ;   in Loop: Header=BB382_1574 Depth=1
	v_bfe_u32 v20, v19, 16, 7
	v_mov_b32_e32 v17, 0x7f800001
	s_mov_b32 s20, exec_lo
	v_cmpx_ne_u32_e32 0x7f, v20
	s_cbranch_execz .LBB382_2025
; %bb.2022:                             ;   in Loop: Header=BB382_1574 Depth=1
	v_mov_b32_e32 v10, 7
	v_lshrrev_b32_e32 v17, 3, v20
	v_cmp_gt_u32_e64 s4, 8, v20
	v_and_b32_sdwa v10, v19, v10 dst_sel:DWORD dst_unused:UNUSED_PAD src0_sel:WORD_1 src1_sel:DWORD
	v_mov_b32_e32 v21, v11
	v_mov_b32_e32 v20, v10
	s_and_saveexec_b32 s21, s4
; %bb.2023:                             ;   in Loop: Header=BB382_1574 Depth=1
	v_ffbh_u32_e32 v17, v10
	v_min_u32_e32 v17, 32, v17
	v_subrev_nc_u32_e32 v20, 28, v17
	v_sub_nc_u32_e32 v17, 29, v17
	v_lshlrev_b64 v[20:21], v20, v[10:11]
	v_and_b32_e32 v20, 7, v20
; %bb.2024:                             ;   in Loop: Header=BB382_1574 Depth=1
	s_or_b32 exec_lo, exec_lo, s21
	v_mov_b32_e32 v10, 24
	v_lshlrev_b32_e32 v20, 20, v20
	v_lshl_add_u32 v17, v17, 23, 0x3c000000
	v_lshlrev_b32_sdwa v10, v10, v19 dst_sel:DWORD dst_unused:UNUSED_PAD src0_sel:DWORD src1_sel:WORD_1
	v_and_b32_e32 v10, 0x80000000, v10
	v_or3_b32 v17, v20, v10, v17
.LBB382_2025:                           ;   in Loop: Header=BB382_1574 Depth=1
	s_or_b32 exec_lo, exec_lo, s20
.LBB382_2026:                           ;   in Loop: Header=BB382_1574 Depth=1
	s_or_b32 exec_lo, exec_lo, s18
.LBB382_2027:                           ;   in Loop: Header=BB382_1574 Depth=1
	s_or_b32 exec_lo, exec_lo, s17
	s_mov_b32 s17, exec_lo
	v_cmpx_lt_u64_e64 s[12:13], v[18:19]
	s_cbranch_execz .LBB382_2035
; %bb.2028:                             ;   in Loop: Header=BB382_1574 Depth=1
	v_cmp_ne_u32_sdwa s4, v19, v98 src0_sel:BYTE_3 src1_sel:DWORD
	v_bfrev_b32_e32 v16, 1
	s_and_saveexec_b32 s18, s4
	s_cbranch_execz .LBB382_2034
; %bb.2029:                             ;   in Loop: Header=BB382_1574 Depth=1
	v_bfe_u32 v18, v19, 24, 7
	v_mov_b32_e32 v16, 0x7f800001
	s_mov_b32 s20, exec_lo
	v_cmpx_ne_u32_e32 0x7f, v18
	s_cbranch_execz .LBB382_2033
; %bb.2030:                             ;   in Loop: Header=BB382_1574 Depth=1
	v_mov_b32_e32 v10, 7
	v_lshrrev_b32_e32 v16, 3, v18
	s_mov_b32 s21, exec_lo
	v_and_b32_sdwa v10, v19, v10 dst_sel:DWORD dst_unused:UNUSED_PAD src0_sel:BYTE_3 src1_sel:DWORD
	v_mov_b32_e32 v21, v11
	v_mov_b32_e32 v20, v10
	v_cmpx_gt_u32_e32 8, v18
; %bb.2031:                             ;   in Loop: Header=BB382_1574 Depth=1
	v_ffbh_u32_e32 v16, v10
	v_min_u32_e32 v16, 32, v16
	v_subrev_nc_u32_e32 v18, 28, v16
	v_sub_nc_u32_e32 v16, 29, v16
	v_lshlrev_b64 v[20:21], v18, v[10:11]
	v_and_b32_e32 v20, 7, v20
; %bb.2032:                             ;   in Loop: Header=BB382_1574 Depth=1
	s_or_b32 exec_lo, exec_lo, s21
	v_mov_b32_e32 v10, 24
	v_lshlrev_b32_e32 v18, 20, v20
	v_lshl_add_u32 v16, v16, 23, 0x3c000000
	v_lshlrev_b32_sdwa v10, v10, v19 dst_sel:DWORD dst_unused:UNUSED_PAD src0_sel:DWORD src1_sel:BYTE_3
	v_and_b32_e32 v10, 0x80000000, v10
	v_or3_b32 v16, v18, v10, v16
.LBB382_2033:                           ;   in Loop: Header=BB382_1574 Depth=1
	s_or_b32 exec_lo, exec_lo, s20
.LBB382_2034:                           ;   in Loop: Header=BB382_1574 Depth=1
	s_or_b32 exec_lo, exec_lo, s18
.LBB382_2035:                           ;   in Loop: Header=BB382_1574 Depth=1
	s_or_b32 exec_lo, exec_lo, s17
	v_mul_f32_e32 v10, v106, v23
	v_mul_f32_e32 v5, v106, v5
	;; [unrolled: 1-line block ×3, first 2 shown]
	v_bfe_u32 v18, v10, 16, 1
	v_or_b32_e32 v19, 0x400000, v10
	v_cmp_u_f32_e64 s4, v10, v10
	v_add3_u32 v18, v18, v10, 0x7fff
	v_cndmask_b32_e64 v10, v18, v19, s4
	v_lshrrev_b32_e32 v10, 16, v10
	buffer_store_dword v10, off, s[0:3], s32 offset:428 ; 4-byte Folded Spill
	v_mul_f32_e32 v10, v106, v22
	v_bfe_u32 v18, v10, 16, 1
	v_or_b32_e32 v19, 0x400000, v10
	v_cmp_u_f32_e64 s4, v10, v10
	v_add3_u32 v18, v18, v10, 0x7fff
	v_cndmask_b32_e64 v10, v18, v19, s4
	v_lshrrev_b32_e32 v10, 16, v10
	buffer_store_dword v10, off, s[0:3], s32 offset:424 ; 4-byte Folded Spill
	v_mul_f32_e32 v10, v106, v13
	;; [unrolled: 8-line block ×3, first 2 shown]
	v_bfe_u32 v12, v10, 16, 1
	v_or_b32_e32 v13, 0x400000, v10
	v_cmp_u_f32_e64 s4, v10, v10
	v_add3_u32 v12, v12, v10, 0x7fff
	v_cndmask_b32_e64 v10, v12, v13, s4
	v_or_b32_e32 v12, 0x400000, v5
	v_cmp_u_f32_e64 s4, v5, v5
	v_lshrrev_b32_e32 v10, 16, v10
	buffer_store_dword v10, off, s[0:3], s32 offset:440 ; 4-byte Folded Spill
	v_bfe_u32 v10, v5, 16, 1
	v_add3_u32 v10, v10, v5, 0x7fff
	v_cndmask_b32_e64 v5, v10, v12, s4
	v_or_b32_e32 v10, 0x400000, v4
	v_cmp_u_f32_e64 s4, v4, v4
	v_lshrrev_b32_e32 v5, 16, v5
	buffer_store_dword v5, off, s[0:3], s32 offset:452 ; 4-byte Folded Spill
	v_bfe_u32 v5, v4, 16, 1
	v_add3_u32 v5, v5, v4, 0x7fff
	v_cndmask_b32_e64 v4, v5, v10, s4
	v_lshrrev_b32_e32 v4, 16, v4
	buffer_store_dword v4, off, s[0:3], s32 offset:448 ; 4-byte Folded Spill
	v_mul_f32_e32 v4, v106, v17
	v_bfe_u32 v5, v4, 16, 1
	v_or_b32_e32 v10, 0x400000, v4
	v_cmp_u_f32_e64 s4, v4, v4
	v_add3_u32 v5, v5, v4, 0x7fff
	v_cndmask_b32_e64 v4, v5, v10, s4
	v_lshrrev_b32_e32 v4, 16, v4
	buffer_store_dword v4, off, s[0:3], s32 offset:432 ; 4-byte Folded Spill
	v_mul_f32_e32 v4, v106, v16
	v_bfe_u32 v5, v4, 16, 1
	v_or_b32_e32 v10, 0x400000, v4
	v_cmp_u_f32_e64 s4, v4, v4
	v_add3_u32 v5, v5, v4, 0x7fff
	v_cndmask_b32_e64 v4, v5, v10, s4
	v_lshrrev_b32_e32 v4, 16, v4
	buffer_store_dword v4, off, s[0:3], s32 offset:444 ; 4-byte Folded Spill
	s_and_saveexec_b32 s17, vcc_lo
	s_cbranch_execz .LBB382_2037
; %bb.2036:                             ;   in Loop: Header=BB382_1574 Depth=1
	buffer_load_dword v4, off, s[0:3], s32 offset:448 ; 4-byte Folded Reload
	v_cmp_lt_i32_e64 s4, v105, v92
	s_waitcnt vmcnt(0)
	v_cndmask_b32_e64 v4, 0, v4, s4
	v_cmp_lt_i32_e64 s4, v126, v92
	buffer_store_dword v4, off, s[0:3], s32 offset:448 ; 4-byte Folded Spill
	buffer_load_dword v4, off, s[0:3], s32 offset:452 ; 4-byte Folded Reload
	s_waitcnt vmcnt(0)
	v_cndmask_b32_e64 v4, 0, v4, s4
	v_cmp_lt_i32_e64 s4, v125, v92
	buffer_store_dword v4, off, s[0:3], s32 offset:452 ; 4-byte Folded Spill
	buffer_load_dword v4, off, s[0:3], s32 offset:440 ; 4-byte Folded Reload
	s_waitcnt vmcnt(0)
	v_cndmask_b32_e64 v4, 0, v4, s4
	v_cmp_lt_i32_e64 s4, v124, v92
	buffer_store_dword v4, off, s[0:3], s32 offset:440 ; 4-byte Folded Spill
	buffer_load_dword v4, off, s[0:3], s32 offset:436 ; 4-byte Folded Reload
	s_waitcnt vmcnt(0)
	v_cndmask_b32_e64 v4, 0, v4, s4
	v_cmp_lt_i32_e64 s4, v123, v92
	buffer_store_dword v4, off, s[0:3], s32 offset:436 ; 4-byte Folded Spill
	buffer_load_dword v4, off, s[0:3], s32 offset:424 ; 4-byte Folded Reload
	s_waitcnt vmcnt(0)
	v_cndmask_b32_e64 v4, 0, v4, s4
	v_cmp_lt_i32_e64 s4, v122, v92
	buffer_store_dword v4, off, s[0:3], s32 offset:424 ; 4-byte Folded Spill
	buffer_load_dword v4, off, s[0:3], s32 offset:428 ; 4-byte Folded Reload
	s_waitcnt vmcnt(0)
	v_cndmask_b32_e64 v4, 0, v4, s4
	v_cmp_lt_i32_e64 s4, v121, v92
	buffer_store_dword v4, off, s[0:3], s32 offset:428 ; 4-byte Folded Spill
	buffer_load_dword v4, off, s[0:3], s32 offset:432 ; 4-byte Folded Reload
	s_waitcnt vmcnt(0)
	v_cndmask_b32_e64 v4, 0, v4, s4
	v_cmp_lt_i32_e64 s4, v120, v92
	buffer_store_dword v4, off, s[0:3], s32 offset:432 ; 4-byte Folded Spill
	buffer_load_dword v4, off, s[0:3], s32 offset:444 ; 4-byte Folded Reload
	s_waitcnt vmcnt(0)
	v_cndmask_b32_e64 v4, 0, v4, s4
	buffer_store_dword v4, off, s[0:3], s32 offset:444 ; 4-byte Folded Spill
.LBB382_2037:                           ;   in Loop: Header=BB382_1574 Depth=1
	s_or_b32 exec_lo, exec_lo, s17
	flat_load_dwordx2 v[18:19], v[14:15] offset:1792
	v_mov_b32_e32 v5, 0
	v_mov_b32_e32 v4, 0
	s_waitcnt vmcnt(0) lgkmcnt(0)
	v_cmp_ne_u16_sdwa s4, v18, v11 src0_sel:BYTE_0 src1_sel:DWORD
	s_and_saveexec_b32 s17, s4
	s_cbranch_execz .LBB382_2045
; %bb.2038:                             ;   in Loop: Header=BB382_1574 Depth=1
	v_cmp_ne_u16_sdwa s4, v18, v98 src0_sel:BYTE_0 src1_sel:DWORD
	v_bfrev_b32_e32 v4, 1
	s_and_saveexec_b32 s18, s4
	s_cbranch_execz .LBB382_2044
; %bb.2039:                             ;   in Loop: Header=BB382_1574 Depth=1
	v_and_b32_e32 v10, 0x7f, v18
	v_mov_b32_e32 v4, 0x7f800001
	s_mov_b32 s20, exec_lo
	v_cmpx_ne_u32_e32 0x7f, v10
	s_cbranch_execz .LBB382_2043
; %bb.2040:                             ;   in Loop: Header=BB382_1574 Depth=1
	v_mov_b32_e32 v21, v19
	v_lshrrev_b32_e32 v4, 3, v10
	v_mov_b32_e32 v20, v18
	s_mov_b32 s21, exec_lo
	v_cmpx_gt_u32_e32 8, v10
; %bb.2041:                             ;   in Loop: Header=BB382_1574 Depth=1
	v_and_b32_e32 v4, 7, v18
	v_ffbh_u32_e32 v4, v4
	v_min_u32_e32 v4, 32, v4
	v_subrev_nc_u32_e32 v10, 28, v4
	v_sub_nc_u32_e32 v4, 29, v4
	v_lshlrev_b64 v[20:21], v10, v[18:19]
; %bb.2042:                             ;   in Loop: Header=BB382_1574 Depth=1
	s_or_b32 exec_lo, exec_lo, s21
	v_lshlrev_b32_e32 v10, 20, v20
	v_lshlrev_b32_e32 v12, 24, v18
	v_lshl_add_u32 v4, v4, 23, 0x3c000000
	v_and_b32_e32 v10, 0x700000, v10
	v_and_b32_e32 v12, 0x80000000, v12
	v_or3_b32 v4, v10, v12, v4
.LBB382_2043:                           ;   in Loop: Header=BB382_1574 Depth=1
	s_or_b32 exec_lo, exec_lo, s20
.LBB382_2044:                           ;   in Loop: Header=BB382_1574 Depth=1
	s_or_b32 exec_lo, exec_lo, s18
.LBB382_2045:                           ;   in Loop: Header=BB382_1574 Depth=1
	s_or_b32 exec_lo, exec_lo, s17
	v_cmp_ne_u16_sdwa s4, v18, v11 src0_sel:BYTE_1 src1_sel:DWORD
	s_and_saveexec_b32 s17, s4
	s_cbranch_execz .LBB382_2053
; %bb.2046:                             ;   in Loop: Header=BB382_1574 Depth=1
	v_cmp_ne_u16_sdwa s4, v18, v98 src0_sel:BYTE_1 src1_sel:DWORD
	v_bfrev_b32_e32 v5, 1
	s_and_saveexec_b32 s18, s4
	s_cbranch_execz .LBB382_2052
; %bb.2047:                             ;   in Loop: Header=BB382_1574 Depth=1
	v_mov_b32_e32 v5, 0xffff
	s_mov_b32 s20, exec_lo
	v_and_b32_sdwa v10, v5, v18 dst_sel:DWORD dst_unused:UNUSED_PAD src0_sel:DWORD src1_sel:BYTE_1
	v_mov_b32_e32 v5, 0x7f800001
	v_and_b32_e32 v12, 0x7f, v10
	v_cmpx_ne_u32_e32 0x7f, v12
	s_cbranch_execz .LBB382_2051
; %bb.2048:                             ;   in Loop: Header=BB382_1574 Depth=1
	v_and_b32_e32 v10, 7, v10
	v_mov_b32_e32 v21, v11
	v_lshrrev_b32_e32 v5, 3, v12
	s_mov_b32 s21, exec_lo
	v_mov_b32_e32 v20, v10
	v_cmpx_gt_u32_e32 8, v12
; %bb.2049:                             ;   in Loop: Header=BB382_1574 Depth=1
	v_ffbh_u32_e32 v5, v10
	v_min_u32_e32 v5, 32, v5
	v_subrev_nc_u32_e32 v12, 28, v5
	v_sub_nc_u32_e32 v5, 29, v5
	v_lshlrev_b64 v[12:13], v12, v[10:11]
	v_and_b32_e32 v20, 7, v12
; %bb.2050:                             ;   in Loop: Header=BB382_1574 Depth=1
	s_or_b32 exec_lo, exec_lo, s21
	v_lshlrev_b32_e32 v10, 16, v18
	v_lshlrev_b32_e32 v12, 20, v20
	v_lshl_add_u32 v5, v5, 23, 0x3c000000
	v_and_b32_e32 v10, 0x80000000, v10
	v_or3_b32 v5, v12, v10, v5
.LBB382_2051:                           ;   in Loop: Header=BB382_1574 Depth=1
	s_or_b32 exec_lo, exec_lo, s20
.LBB382_2052:                           ;   in Loop: Header=BB382_1574 Depth=1
	s_or_b32 exec_lo, exec_lo, s18
.LBB382_2053:                           ;   in Loop: Header=BB382_1574 Depth=1
	s_or_b32 exec_lo, exec_lo, s17
	v_and_b32_sdwa v10, v18, v100 dst_sel:DWORD dst_unused:UNUSED_PAD src0_sel:WORD_1 src1_sel:DWORD
	v_mov_b32_e32 v13, 0
	v_mov_b32_e32 v12, 0
	s_mov_b32 s17, exec_lo
	v_cmpx_ne_u16_e32 0, v10
	s_cbranch_execz .LBB382_2061
; %bb.2054:                             ;   in Loop: Header=BB382_1574 Depth=1
	v_bfrev_b32_e32 v12, 1
	s_mov_b32 s18, exec_lo
	v_cmpx_ne_u16_e32 0x80, v10
	s_cbranch_execz .LBB382_2060
; %bb.2055:                             ;   in Loop: Header=BB382_1574 Depth=1
	v_bfe_u32 v16, v18, 16, 7
	v_mov_b32_e32 v12, 0x7f800001
	s_mov_b32 s20, exec_lo
	v_cmpx_ne_u32_e32 0x7f, v16
	s_cbranch_execz .LBB382_2059
; %bb.2056:                             ;   in Loop: Header=BB382_1574 Depth=1
	v_mov_b32_e32 v10, 7
	v_lshrrev_b32_e32 v12, 3, v16
	s_mov_b32 s21, exec_lo
	v_and_b32_sdwa v10, v18, v10 dst_sel:DWORD dst_unused:UNUSED_PAD src0_sel:WORD_1 src1_sel:DWORD
	v_mov_b32_e32 v21, v11
	v_mov_b32_e32 v20, v10
	v_cmpx_gt_u32_e32 8, v16
; %bb.2057:                             ;   in Loop: Header=BB382_1574 Depth=1
	v_ffbh_u32_e32 v12, v10
	v_min_u32_e32 v12, 32, v12
	v_subrev_nc_u32_e32 v16, 28, v12
	v_sub_nc_u32_e32 v12, 29, v12
	v_lshlrev_b64 v[16:17], v16, v[10:11]
	v_and_b32_e32 v20, 7, v16
; %bb.2058:                             ;   in Loop: Header=BB382_1574 Depth=1
	s_or_b32 exec_lo, exec_lo, s21
	v_mov_b32_e32 v10, 24
	v_lshlrev_b32_e32 v16, 20, v20
	v_lshl_add_u32 v12, v12, 23, 0x3c000000
	v_lshlrev_b32_sdwa v10, v10, v18 dst_sel:DWORD dst_unused:UNUSED_PAD src0_sel:DWORD src1_sel:WORD_1
	v_and_b32_e32 v10, 0x80000000, v10
	v_or3_b32 v12, v16, v10, v12
.LBB382_2059:                           ;   in Loop: Header=BB382_1574 Depth=1
	s_or_b32 exec_lo, exec_lo, s20
.LBB382_2060:                           ;   in Loop: Header=BB382_1574 Depth=1
	s_or_b32 exec_lo, exec_lo, s18
.LBB382_2061:                           ;   in Loop: Header=BB382_1574 Depth=1
	s_or_b32 exec_lo, exec_lo, s17
	s_mov_b32 s17, exec_lo
	v_cmpx_lt_u32_e32 0xffffff, v18
	s_cbranch_execz .LBB382_2069
; %bb.2062:                             ;   in Loop: Header=BB382_1574 Depth=1
	v_cmp_ne_u32_sdwa s4, v18, v98 src0_sel:BYTE_3 src1_sel:DWORD
	v_bfrev_b32_e32 v13, 1
	s_and_saveexec_b32 s18, s4
	s_cbranch_execz .LBB382_2068
; %bb.2063:                             ;   in Loop: Header=BB382_1574 Depth=1
	v_bfe_u32 v16, v18, 24, 7
	v_mov_b32_e32 v13, 0x7f800001
	s_mov_b32 s20, exec_lo
	v_cmpx_ne_u32_e32 0x7f, v16
	s_cbranch_execz .LBB382_2067
; %bb.2064:                             ;   in Loop: Header=BB382_1574 Depth=1
	v_mov_b32_e32 v10, 7
	v_lshrrev_b32_e32 v13, 3, v16
	s_mov_b32 s21, exec_lo
	v_and_b32_sdwa v10, v18, v10 dst_sel:DWORD dst_unused:UNUSED_PAD src0_sel:BYTE_3 src1_sel:DWORD
	v_mov_b32_e32 v21, v11
	v_mov_b32_e32 v20, v10
	v_cmpx_gt_u32_e32 8, v16
; %bb.2065:                             ;   in Loop: Header=BB382_1574 Depth=1
	v_ffbh_u32_e32 v13, v10
	v_min_u32_e32 v13, 32, v13
	v_subrev_nc_u32_e32 v16, 28, v13
	v_sub_nc_u32_e32 v13, 29, v13
	v_lshlrev_b64 v[16:17], v16, v[10:11]
	v_and_b32_e32 v20, 7, v16
; %bb.2066:                             ;   in Loop: Header=BB382_1574 Depth=1
	s_or_b32 exec_lo, exec_lo, s21
	v_mov_b32_e32 v10, 24
	v_lshlrev_b32_e32 v16, 20, v20
	v_lshl_add_u32 v13, v13, 23, 0x3c000000
	v_lshlrev_b32_sdwa v10, v10, v18 dst_sel:DWORD dst_unused:UNUSED_PAD src0_sel:DWORD src1_sel:BYTE_3
	v_and_b32_e32 v10, 0x80000000, v10
	v_or3_b32 v13, v16, v10, v13
.LBB382_2067:                           ;   in Loop: Header=BB382_1574 Depth=1
	s_or_b32 exec_lo, exec_lo, s20
.LBB382_2068:                           ;   in Loop: Header=BB382_1574 Depth=1
	s_or_b32 exec_lo, exec_lo, s18
.LBB382_2069:                           ;   in Loop: Header=BB382_1574 Depth=1
	s_or_b32 exec_lo, exec_lo, s17
	v_mov_b32_e32 v10, v19
	v_cmp_ne_u16_sdwa s4, v19, v11 src0_sel:BYTE_0 src1_sel:DWORD
	v_mov_b32_e32 v23, 0
	v_mov_b32_e32 v22, 0
	s_and_saveexec_b32 s17, s4
	s_cbranch_execz .LBB382_2077
; %bb.2070:                             ;   in Loop: Header=BB382_1574 Depth=1
	v_cmp_ne_u16_sdwa s4, v19, v98 src0_sel:BYTE_0 src1_sel:DWORD
	v_bfrev_b32_e32 v22, 1
	s_and_saveexec_b32 s18, s4
	s_cbranch_execz .LBB382_2076
; %bb.2071:                             ;   in Loop: Header=BB382_1574 Depth=1
	v_and_b32_e32 v17, 0x7f, v19
	v_mov_b32_e32 v22, 0x7f800001
	s_mov_b32 s20, exec_lo
	v_cmpx_ne_u32_e32 0x7f, v17
	s_cbranch_execz .LBB382_2075
; %bb.2072:                             ;   in Loop: Header=BB382_1574 Depth=1
	v_mov_b32_e32 v21, v11
	v_lshrrev_b32_e32 v16, 3, v17
	v_mov_b32_e32 v20, v10
	s_mov_b32 s21, exec_lo
	v_cmpx_gt_u32_e32 8, v17
; %bb.2073:                             ;   in Loop: Header=BB382_1574 Depth=1
	v_and_b32_e32 v16, 7, v19
	v_ffbh_u32_e32 v16, v16
	v_min_u32_e32 v16, 32, v16
	v_subrev_nc_u32_e32 v17, 28, v16
	v_sub_nc_u32_e32 v16, 29, v16
	v_lshlrev_b64 v[20:21], v17, v[10:11]
; %bb.2074:                             ;   in Loop: Header=BB382_1574 Depth=1
	s_or_b32 exec_lo, exec_lo, s21
	v_lshlrev_b32_e32 v17, 20, v20
	v_lshlrev_b32_e32 v20, 24, v10
	v_lshl_add_u32 v16, v16, 23, 0x3c000000
	v_and_b32_e32 v17, 0x700000, v17
	v_and_b32_e32 v20, 0x80000000, v20
	v_or3_b32 v22, v17, v20, v16
.LBB382_2075:                           ;   in Loop: Header=BB382_1574 Depth=1
	s_or_b32 exec_lo, exec_lo, s20
.LBB382_2076:                           ;   in Loop: Header=BB382_1574 Depth=1
	s_or_b32 exec_lo, exec_lo, s18
.LBB382_2077:                           ;   in Loop: Header=BB382_1574 Depth=1
	s_or_b32 exec_lo, exec_lo, s17
	v_cmp_ne_u16_sdwa s4, v10, v11 src0_sel:BYTE_1 src1_sel:DWORD
	s_and_saveexec_b32 s17, s4
	s_cbranch_execz .LBB382_2085
; %bb.2078:                             ;   in Loop: Header=BB382_1574 Depth=1
	v_cmp_ne_u16_sdwa s4, v10, v98 src0_sel:BYTE_1 src1_sel:DWORD
	v_bfrev_b32_e32 v23, 1
	s_and_saveexec_b32 s18, s4
	s_cbranch_execz .LBB382_2084
; %bb.2079:                             ;   in Loop: Header=BB382_1574 Depth=1
	v_mov_b32_e32 v16, 0xffff
	v_mov_b32_e32 v23, 0x7f800001
	s_mov_b32 s20, exec_lo
	v_and_b32_sdwa v16, v16, v10 dst_sel:DWORD dst_unused:UNUSED_PAD src0_sel:DWORD src1_sel:BYTE_1
	v_and_b32_e32 v17, 0x7f, v16
	v_cmpx_ne_u32_e32 0x7f, v17
	s_cbranch_execz .LBB382_2083
; %bb.2080:                             ;   in Loop: Header=BB382_1574 Depth=1
	v_and_b32_e32 v20, 7, v16
	v_mov_b32_e32 v21, v11
	v_lshrrev_b32_e32 v16, 3, v17
	s_mov_b32 s21, exec_lo
	v_cmpx_gt_u32_e32 8, v17
; %bb.2081:                             ;   in Loop: Header=BB382_1574 Depth=1
	v_ffbh_u32_e32 v16, v20
	v_min_u32_e32 v16, 32, v16
	v_subrev_nc_u32_e32 v17, 28, v16
	v_sub_nc_u32_e32 v16, 29, v16
	v_lshlrev_b64 v[20:21], v17, v[20:21]
	v_and_b32_e32 v20, 7, v20
; %bb.2082:                             ;   in Loop: Header=BB382_1574 Depth=1
	s_or_b32 exec_lo, exec_lo, s21
	v_lshlrev_b32_e32 v10, 16, v10
	v_lshlrev_b32_e32 v17, 20, v20
	v_lshl_add_u32 v16, v16, 23, 0x3c000000
	v_and_b32_e32 v10, 0x80000000, v10
	v_or3_b32 v23, v17, v10, v16
.LBB382_2083:                           ;   in Loop: Header=BB382_1574 Depth=1
	s_or_b32 exec_lo, exec_lo, s20
.LBB382_2084:                           ;   in Loop: Header=BB382_1574 Depth=1
	s_or_b32 exec_lo, exec_lo, s18
.LBB382_2085:                           ;   in Loop: Header=BB382_1574 Depth=1
	s_or_b32 exec_lo, exec_lo, s17
	v_and_b32_sdwa v10, v19, v100 dst_sel:DWORD dst_unused:UNUSED_PAD src0_sel:WORD_1 src1_sel:DWORD
	v_mov_b32_e32 v16, 0
	v_mov_b32_e32 v17, 0
	s_mov_b32 s17, exec_lo
	v_cmpx_ne_u16_e32 0, v10
	s_cbranch_execz .LBB382_2093
; %bb.2086:                             ;   in Loop: Header=BB382_1574 Depth=1
	v_bfrev_b32_e32 v17, 1
	s_mov_b32 s18, exec_lo
	v_cmpx_ne_u16_e32 0x80, v10
	s_cbranch_execz .LBB382_2092
; %bb.2087:                             ;   in Loop: Header=BB382_1574 Depth=1
	v_bfe_u32 v20, v19, 16, 7
	v_mov_b32_e32 v17, 0x7f800001
	s_mov_b32 s20, exec_lo
	v_cmpx_ne_u32_e32 0x7f, v20
	s_cbranch_execz .LBB382_2091
; %bb.2088:                             ;   in Loop: Header=BB382_1574 Depth=1
	v_mov_b32_e32 v10, 7
	v_lshrrev_b32_e32 v17, 3, v20
	v_cmp_gt_u32_e64 s4, 8, v20
	v_and_b32_sdwa v10, v19, v10 dst_sel:DWORD dst_unused:UNUSED_PAD src0_sel:WORD_1 src1_sel:DWORD
	v_mov_b32_e32 v21, v11
	v_mov_b32_e32 v20, v10
	s_and_saveexec_b32 s21, s4
; %bb.2089:                             ;   in Loop: Header=BB382_1574 Depth=1
	v_ffbh_u32_e32 v17, v10
	v_min_u32_e32 v17, 32, v17
	v_subrev_nc_u32_e32 v20, 28, v17
	v_sub_nc_u32_e32 v17, 29, v17
	v_lshlrev_b64 v[20:21], v20, v[10:11]
	v_and_b32_e32 v20, 7, v20
; %bb.2090:                             ;   in Loop: Header=BB382_1574 Depth=1
	s_or_b32 exec_lo, exec_lo, s21
	v_mov_b32_e32 v10, 24
	v_lshlrev_b32_e32 v20, 20, v20
	v_lshl_add_u32 v17, v17, 23, 0x3c000000
	v_lshlrev_b32_sdwa v10, v10, v19 dst_sel:DWORD dst_unused:UNUSED_PAD src0_sel:DWORD src1_sel:WORD_1
	v_and_b32_e32 v10, 0x80000000, v10
	v_or3_b32 v17, v20, v10, v17
.LBB382_2091:                           ;   in Loop: Header=BB382_1574 Depth=1
	s_or_b32 exec_lo, exec_lo, s20
.LBB382_2092:                           ;   in Loop: Header=BB382_1574 Depth=1
	s_or_b32 exec_lo, exec_lo, s18
.LBB382_2093:                           ;   in Loop: Header=BB382_1574 Depth=1
	s_or_b32 exec_lo, exec_lo, s17
	s_mov_b32 s17, exec_lo
	v_cmpx_lt_u64_e64 s[12:13], v[18:19]
	s_cbranch_execz .LBB382_2101
; %bb.2094:                             ;   in Loop: Header=BB382_1574 Depth=1
	v_cmp_ne_u32_sdwa s4, v19, v98 src0_sel:BYTE_3 src1_sel:DWORD
	v_bfrev_b32_e32 v16, 1
	s_and_saveexec_b32 s18, s4
	s_cbranch_execz .LBB382_2100
; %bb.2095:                             ;   in Loop: Header=BB382_1574 Depth=1
	v_bfe_u32 v18, v19, 24, 7
	v_mov_b32_e32 v16, 0x7f800001
	s_mov_b32 s20, exec_lo
	v_cmpx_ne_u32_e32 0x7f, v18
	s_cbranch_execz .LBB382_2099
; %bb.2096:                             ;   in Loop: Header=BB382_1574 Depth=1
	v_mov_b32_e32 v10, 7
	v_lshrrev_b32_e32 v16, 3, v18
	s_mov_b32 s21, exec_lo
	v_and_b32_sdwa v10, v19, v10 dst_sel:DWORD dst_unused:UNUSED_PAD src0_sel:BYTE_3 src1_sel:DWORD
	v_mov_b32_e32 v21, v11
	v_mov_b32_e32 v20, v10
	v_cmpx_gt_u32_e32 8, v18
; %bb.2097:                             ;   in Loop: Header=BB382_1574 Depth=1
	v_ffbh_u32_e32 v16, v10
	v_min_u32_e32 v16, 32, v16
	v_subrev_nc_u32_e32 v18, 28, v16
	v_sub_nc_u32_e32 v16, 29, v16
	v_lshlrev_b64 v[20:21], v18, v[10:11]
	v_and_b32_e32 v20, 7, v20
; %bb.2098:                             ;   in Loop: Header=BB382_1574 Depth=1
	s_or_b32 exec_lo, exec_lo, s21
	v_mov_b32_e32 v10, 24
	v_lshlrev_b32_e32 v18, 20, v20
	v_lshl_add_u32 v16, v16, 23, 0x3c000000
	v_lshlrev_b32_sdwa v10, v10, v19 dst_sel:DWORD dst_unused:UNUSED_PAD src0_sel:DWORD src1_sel:BYTE_3
	v_and_b32_e32 v10, 0x80000000, v10
	v_or3_b32 v16, v18, v10, v16
.LBB382_2099:                           ;   in Loop: Header=BB382_1574 Depth=1
	s_or_b32 exec_lo, exec_lo, s20
.LBB382_2100:                           ;   in Loop: Header=BB382_1574 Depth=1
	s_or_b32 exec_lo, exec_lo, s18
.LBB382_2101:                           ;   in Loop: Header=BB382_1574 Depth=1
	s_or_b32 exec_lo, exec_lo, s17
	v_mul_f32_e32 v10, v106, v23
	v_mul_f32_e32 v5, v106, v5
	;; [unrolled: 1-line block ×3, first 2 shown]
	v_bfe_u32 v18, v10, 16, 1
	v_or_b32_e32 v19, 0x400000, v10
	v_cmp_u_f32_e64 s4, v10, v10
	v_add3_u32 v18, v18, v10, 0x7fff
	v_cndmask_b32_e64 v10, v18, v19, s4
	v_lshrrev_b32_e32 v10, 16, v10
	buffer_store_dword v10, off, s[0:3], s32 offset:460 ; 4-byte Folded Spill
	v_mul_f32_e32 v10, v106, v22
	v_bfe_u32 v18, v10, 16, 1
	v_or_b32_e32 v19, 0x400000, v10
	v_cmp_u_f32_e64 s4, v10, v10
	v_add3_u32 v18, v18, v10, 0x7fff
	v_cndmask_b32_e64 v10, v18, v19, s4
	v_lshrrev_b32_e32 v10, 16, v10
	buffer_store_dword v10, off, s[0:3], s32 offset:456 ; 4-byte Folded Spill
	v_mul_f32_e32 v10, v106, v13
	;; [unrolled: 8-line block ×3, first 2 shown]
	v_bfe_u32 v12, v10, 16, 1
	v_or_b32_e32 v13, 0x400000, v10
	v_cmp_u_f32_e64 s4, v10, v10
	v_add3_u32 v12, v12, v10, 0x7fff
	v_cndmask_b32_e64 v10, v12, v13, s4
	v_or_b32_e32 v12, 0x400000, v5
	v_cmp_u_f32_e64 s4, v5, v5
	v_lshrrev_b32_e32 v10, 16, v10
	buffer_store_dword v10, off, s[0:3], s32 offset:468 ; 4-byte Folded Spill
	v_bfe_u32 v10, v5, 16, 1
	v_add3_u32 v10, v10, v5, 0x7fff
	v_cndmask_b32_e64 v5, v10, v12, s4
	v_or_b32_e32 v10, 0x400000, v4
	v_cmp_u_f32_e64 s4, v4, v4
	v_lshrrev_b32_e32 v5, 16, v5
	buffer_store_dword v5, off, s[0:3], s32 offset:484 ; 4-byte Folded Spill
	v_bfe_u32 v5, v4, 16, 1
	v_add3_u32 v5, v5, v4, 0x7fff
	v_cndmask_b32_e64 v4, v5, v10, s4
	v_lshrrev_b32_e32 v4, 16, v4
	buffer_store_dword v4, off, s[0:3], s32 offset:480 ; 4-byte Folded Spill
	v_mul_f32_e32 v4, v106, v17
	v_bfe_u32 v5, v4, 16, 1
	v_or_b32_e32 v10, 0x400000, v4
	v_cmp_u_f32_e64 s4, v4, v4
	v_add3_u32 v5, v5, v4, 0x7fff
	v_cndmask_b32_e64 v4, v5, v10, s4
	v_lshrrev_b32_e32 v4, 16, v4
	buffer_store_dword v4, off, s[0:3], s32 offset:464 ; 4-byte Folded Spill
	v_mul_f32_e32 v4, v106, v16
	v_bfe_u32 v5, v4, 16, 1
	v_or_b32_e32 v10, 0x400000, v4
	v_cmp_u_f32_e64 s4, v4, v4
	v_add3_u32 v5, v5, v4, 0x7fff
	v_cndmask_b32_e64 v4, v5, v10, s4
	v_lshrrev_b32_e32 v4, 16, v4
	buffer_store_dword v4, off, s[0:3], s32 offset:476 ; 4-byte Folded Spill
	s_and_saveexec_b32 s17, vcc_lo
	s_cbranch_execz .LBB382_2103
; %bb.2102:                             ;   in Loop: Header=BB382_1574 Depth=1
	buffer_load_dword v4, off, s[0:3], s32 offset:480 ; 4-byte Folded Reload
	v_cmp_lt_i32_e64 s4, v105, v92
	s_waitcnt vmcnt(0)
	v_cndmask_b32_e64 v4, 0, v4, s4
	v_cmp_lt_i32_e64 s4, v126, v92
	buffer_store_dword v4, off, s[0:3], s32 offset:480 ; 4-byte Folded Spill
	buffer_load_dword v4, off, s[0:3], s32 offset:484 ; 4-byte Folded Reload
	s_waitcnt vmcnt(0)
	v_cndmask_b32_e64 v4, 0, v4, s4
	v_cmp_lt_i32_e64 s4, v125, v92
	buffer_store_dword v4, off, s[0:3], s32 offset:484 ; 4-byte Folded Spill
	buffer_load_dword v4, off, s[0:3], s32 offset:468 ; 4-byte Folded Reload
	;; [unrolled: 5-line block ×7, first 2 shown]
	s_waitcnt vmcnt(0)
	v_cndmask_b32_e64 v4, 0, v4, s4
	buffer_store_dword v4, off, s[0:3], s32 offset:476 ; 4-byte Folded Spill
.LBB382_2103:                           ;   in Loop: Header=BB382_1574 Depth=1
	s_or_b32 exec_lo, exec_lo, s17
	v_add_co_u32 v18, s4, 0x800, v14
	v_add_co_ci_u32_e64 v19, null, 0, v15, s4
	v_mov_b32_e32 v5, 0
	v_mov_b32_e32 v4, 0
	flat_load_dwordx2 v[20:21], v[18:19]
	s_waitcnt vmcnt(0) lgkmcnt(0)
	v_cmp_ne_u16_sdwa s4, v20, v11 src0_sel:BYTE_0 src1_sel:DWORD
	s_and_saveexec_b32 s17, s4
	s_cbranch_execz .LBB382_2111
; %bb.2104:                             ;   in Loop: Header=BB382_1574 Depth=1
	v_cmp_ne_u16_sdwa s4, v20, v98 src0_sel:BYTE_0 src1_sel:DWORD
	v_bfrev_b32_e32 v4, 1
	s_and_saveexec_b32 s18, s4
	s_cbranch_execz .LBB382_2110
; %bb.2105:                             ;   in Loop: Header=BB382_1574 Depth=1
	v_and_b32_e32 v10, 0x7f, v20
	v_mov_b32_e32 v4, 0x7f800001
	s_mov_b32 s20, exec_lo
	v_cmpx_ne_u32_e32 0x7f, v10
	s_cbranch_execz .LBB382_2109
; %bb.2106:                             ;   in Loop: Header=BB382_1574 Depth=1
	v_mov_b32_e32 v24, v21
	v_lshrrev_b32_e32 v4, 3, v10
	v_mov_b32_e32 v23, v20
	s_mov_b32 s21, exec_lo
	v_cmpx_gt_u32_e32 8, v10
; %bb.2107:                             ;   in Loop: Header=BB382_1574 Depth=1
	v_and_b32_e32 v4, 7, v20
	v_ffbh_u32_e32 v4, v4
	v_min_u32_e32 v4, 32, v4
	v_subrev_nc_u32_e32 v10, 28, v4
	v_sub_nc_u32_e32 v4, 29, v4
	v_lshlrev_b64 v[23:24], v10, v[20:21]
; %bb.2108:                             ;   in Loop: Header=BB382_1574 Depth=1
	s_or_b32 exec_lo, exec_lo, s21
	v_lshlrev_b32_e32 v10, 20, v23
	v_lshlrev_b32_e32 v12, 24, v20
	v_lshl_add_u32 v4, v4, 23, 0x3c000000
	v_and_b32_e32 v10, 0x700000, v10
	v_and_b32_e32 v12, 0x80000000, v12
	v_or3_b32 v4, v10, v12, v4
.LBB382_2109:                           ;   in Loop: Header=BB382_1574 Depth=1
	s_or_b32 exec_lo, exec_lo, s20
.LBB382_2110:                           ;   in Loop: Header=BB382_1574 Depth=1
	s_or_b32 exec_lo, exec_lo, s18
.LBB382_2111:                           ;   in Loop: Header=BB382_1574 Depth=1
	s_or_b32 exec_lo, exec_lo, s17
	v_cmp_ne_u16_sdwa s4, v20, v11 src0_sel:BYTE_1 src1_sel:DWORD
	s_and_saveexec_b32 s17, s4
	s_cbranch_execz .LBB382_2119
; %bb.2112:                             ;   in Loop: Header=BB382_1574 Depth=1
	v_cmp_ne_u16_sdwa s4, v20, v98 src0_sel:BYTE_1 src1_sel:DWORD
	v_bfrev_b32_e32 v5, 1
	s_and_saveexec_b32 s18, s4
	s_cbranch_execz .LBB382_2118
; %bb.2113:                             ;   in Loop: Header=BB382_1574 Depth=1
	v_mov_b32_e32 v5, 0xffff
	s_mov_b32 s20, exec_lo
	v_and_b32_sdwa v10, v5, v20 dst_sel:DWORD dst_unused:UNUSED_PAD src0_sel:DWORD src1_sel:BYTE_1
	v_mov_b32_e32 v5, 0x7f800001
	v_and_b32_e32 v12, 0x7f, v10
	v_cmpx_ne_u32_e32 0x7f, v12
	s_cbranch_execz .LBB382_2117
; %bb.2114:                             ;   in Loop: Header=BB382_1574 Depth=1
	v_and_b32_e32 v10, 7, v10
	v_mov_b32_e32 v24, v11
	v_lshrrev_b32_e32 v5, 3, v12
	s_mov_b32 s21, exec_lo
	v_mov_b32_e32 v23, v10
	v_cmpx_gt_u32_e32 8, v12
; %bb.2115:                             ;   in Loop: Header=BB382_1574 Depth=1
	v_ffbh_u32_e32 v5, v10
	v_min_u32_e32 v5, 32, v5
	v_subrev_nc_u32_e32 v12, 28, v5
	v_sub_nc_u32_e32 v5, 29, v5
	v_lshlrev_b64 v[12:13], v12, v[10:11]
	v_and_b32_e32 v23, 7, v12
; %bb.2116:                             ;   in Loop: Header=BB382_1574 Depth=1
	s_or_b32 exec_lo, exec_lo, s21
	v_lshlrev_b32_e32 v10, 16, v20
	v_lshlrev_b32_e32 v12, 20, v23
	v_lshl_add_u32 v5, v5, 23, 0x3c000000
	v_and_b32_e32 v10, 0x80000000, v10
	v_or3_b32 v5, v12, v10, v5
.LBB382_2117:                           ;   in Loop: Header=BB382_1574 Depth=1
	s_or_b32 exec_lo, exec_lo, s20
.LBB382_2118:                           ;   in Loop: Header=BB382_1574 Depth=1
	s_or_b32 exec_lo, exec_lo, s18
.LBB382_2119:                           ;   in Loop: Header=BB382_1574 Depth=1
	s_or_b32 exec_lo, exec_lo, s17
	v_and_b32_sdwa v10, v20, v100 dst_sel:DWORD dst_unused:UNUSED_PAD src0_sel:WORD_1 src1_sel:DWORD
	v_mov_b32_e32 v13, 0
	v_mov_b32_e32 v12, 0
	s_mov_b32 s17, exec_lo
	v_cmpx_ne_u16_e32 0, v10
	s_cbranch_execz .LBB382_2127
; %bb.2120:                             ;   in Loop: Header=BB382_1574 Depth=1
	v_bfrev_b32_e32 v12, 1
	s_mov_b32 s18, exec_lo
	v_cmpx_ne_u16_e32 0x80, v10
	s_cbranch_execz .LBB382_2126
; %bb.2121:                             ;   in Loop: Header=BB382_1574 Depth=1
	v_bfe_u32 v16, v20, 16, 7
	v_mov_b32_e32 v12, 0x7f800001
	s_mov_b32 s20, exec_lo
	v_cmpx_ne_u32_e32 0x7f, v16
	s_cbranch_execz .LBB382_2125
; %bb.2122:                             ;   in Loop: Header=BB382_1574 Depth=1
	v_mov_b32_e32 v10, 7
	v_lshrrev_b32_e32 v12, 3, v16
	s_mov_b32 s21, exec_lo
	v_and_b32_sdwa v10, v20, v10 dst_sel:DWORD dst_unused:UNUSED_PAD src0_sel:WORD_1 src1_sel:DWORD
	v_mov_b32_e32 v24, v11
	v_mov_b32_e32 v23, v10
	v_cmpx_gt_u32_e32 8, v16
; %bb.2123:                             ;   in Loop: Header=BB382_1574 Depth=1
	v_ffbh_u32_e32 v12, v10
	v_min_u32_e32 v12, 32, v12
	v_subrev_nc_u32_e32 v16, 28, v12
	v_sub_nc_u32_e32 v12, 29, v12
	v_lshlrev_b64 v[16:17], v16, v[10:11]
	v_and_b32_e32 v23, 7, v16
; %bb.2124:                             ;   in Loop: Header=BB382_1574 Depth=1
	s_or_b32 exec_lo, exec_lo, s21
	v_mov_b32_e32 v10, 24
	v_lshlrev_b32_e32 v16, 20, v23
	v_lshl_add_u32 v12, v12, 23, 0x3c000000
	v_lshlrev_b32_sdwa v10, v10, v20 dst_sel:DWORD dst_unused:UNUSED_PAD src0_sel:DWORD src1_sel:WORD_1
	v_and_b32_e32 v10, 0x80000000, v10
	v_or3_b32 v12, v16, v10, v12
.LBB382_2125:                           ;   in Loop: Header=BB382_1574 Depth=1
	s_or_b32 exec_lo, exec_lo, s20
.LBB382_2126:                           ;   in Loop: Header=BB382_1574 Depth=1
	s_or_b32 exec_lo, exec_lo, s18
.LBB382_2127:                           ;   in Loop: Header=BB382_1574 Depth=1
	s_or_b32 exec_lo, exec_lo, s17
	s_mov_b32 s17, exec_lo
	v_cmpx_lt_u32_e32 0xffffff, v20
	s_cbranch_execz .LBB382_2135
; %bb.2128:                             ;   in Loop: Header=BB382_1574 Depth=1
	v_cmp_ne_u32_sdwa s4, v20, v98 src0_sel:BYTE_3 src1_sel:DWORD
	v_bfrev_b32_e32 v13, 1
	s_and_saveexec_b32 s18, s4
	s_cbranch_execz .LBB382_2134
; %bb.2129:                             ;   in Loop: Header=BB382_1574 Depth=1
	v_bfe_u32 v16, v20, 24, 7
	v_mov_b32_e32 v13, 0x7f800001
	s_mov_b32 s20, exec_lo
	v_cmpx_ne_u32_e32 0x7f, v16
	s_cbranch_execz .LBB382_2133
; %bb.2130:                             ;   in Loop: Header=BB382_1574 Depth=1
	v_mov_b32_e32 v10, 7
	v_lshrrev_b32_e32 v13, 3, v16
	s_mov_b32 s21, exec_lo
	v_and_b32_sdwa v10, v20, v10 dst_sel:DWORD dst_unused:UNUSED_PAD src0_sel:BYTE_3 src1_sel:DWORD
	v_mov_b32_e32 v24, v11
	v_mov_b32_e32 v23, v10
	v_cmpx_gt_u32_e32 8, v16
; %bb.2131:                             ;   in Loop: Header=BB382_1574 Depth=1
	v_ffbh_u32_e32 v13, v10
	v_min_u32_e32 v13, 32, v13
	v_subrev_nc_u32_e32 v16, 28, v13
	v_sub_nc_u32_e32 v13, 29, v13
	v_lshlrev_b64 v[16:17], v16, v[10:11]
	v_and_b32_e32 v23, 7, v16
; %bb.2132:                             ;   in Loop: Header=BB382_1574 Depth=1
	s_or_b32 exec_lo, exec_lo, s21
	v_mov_b32_e32 v10, 24
	v_lshlrev_b32_e32 v16, 20, v23
	v_lshl_add_u32 v13, v13, 23, 0x3c000000
	v_lshlrev_b32_sdwa v10, v10, v20 dst_sel:DWORD dst_unused:UNUSED_PAD src0_sel:DWORD src1_sel:BYTE_3
	v_and_b32_e32 v10, 0x80000000, v10
	v_or3_b32 v13, v16, v10, v13
.LBB382_2133:                           ;   in Loop: Header=BB382_1574 Depth=1
	s_or_b32 exec_lo, exec_lo, s20
.LBB382_2134:                           ;   in Loop: Header=BB382_1574 Depth=1
	s_or_b32 exec_lo, exec_lo, s18
.LBB382_2135:                           ;   in Loop: Header=BB382_1574 Depth=1
	s_or_b32 exec_lo, exec_lo, s17
	v_mov_b32_e32 v10, v21
	v_cmp_ne_u16_sdwa s4, v21, v11 src0_sel:BYTE_0 src1_sel:DWORD
	v_mov_b32_e32 v25, 0
	v_mov_b32_e32 v22, 0
	s_and_saveexec_b32 s17, s4
	s_cbranch_execz .LBB382_2143
; %bb.2136:                             ;   in Loop: Header=BB382_1574 Depth=1
	v_cmp_ne_u16_sdwa s4, v21, v98 src0_sel:BYTE_0 src1_sel:DWORD
	v_bfrev_b32_e32 v22, 1
	s_and_saveexec_b32 s18, s4
	s_cbranch_execz .LBB382_2142
; %bb.2137:                             ;   in Loop: Header=BB382_1574 Depth=1
	v_and_b32_e32 v17, 0x7f, v21
	v_mov_b32_e32 v22, 0x7f800001
	s_mov_b32 s20, exec_lo
	v_cmpx_ne_u32_e32 0x7f, v17
	s_cbranch_execz .LBB382_2141
; %bb.2138:                             ;   in Loop: Header=BB382_1574 Depth=1
	v_mov_b32_e32 v24, v11
	v_lshrrev_b32_e32 v16, 3, v17
	v_mov_b32_e32 v23, v10
	s_mov_b32 s21, exec_lo
	v_cmpx_gt_u32_e32 8, v17
; %bb.2139:                             ;   in Loop: Header=BB382_1574 Depth=1
	v_and_b32_e32 v16, 7, v21
	v_ffbh_u32_e32 v16, v16
	v_min_u32_e32 v16, 32, v16
	v_subrev_nc_u32_e32 v17, 28, v16
	v_sub_nc_u32_e32 v16, 29, v16
	v_lshlrev_b64 v[23:24], v17, v[10:11]
; %bb.2140:                             ;   in Loop: Header=BB382_1574 Depth=1
	s_or_b32 exec_lo, exec_lo, s21
	v_lshlrev_b32_e32 v17, 20, v23
	v_lshlrev_b32_e32 v22, 24, v10
	v_lshl_add_u32 v16, v16, 23, 0x3c000000
	v_and_b32_e32 v17, 0x700000, v17
	v_and_b32_e32 v22, 0x80000000, v22
	v_or3_b32 v22, v17, v22, v16
.LBB382_2141:                           ;   in Loop: Header=BB382_1574 Depth=1
	s_or_b32 exec_lo, exec_lo, s20
.LBB382_2142:                           ;   in Loop: Header=BB382_1574 Depth=1
	s_or_b32 exec_lo, exec_lo, s18
.LBB382_2143:                           ;   in Loop: Header=BB382_1574 Depth=1
	s_or_b32 exec_lo, exec_lo, s17
	v_cmp_ne_u16_sdwa s4, v10, v11 src0_sel:BYTE_1 src1_sel:DWORD
	s_and_saveexec_b32 s17, s4
	s_cbranch_execz .LBB382_2151
; %bb.2144:                             ;   in Loop: Header=BB382_1574 Depth=1
	v_cmp_ne_u16_sdwa s4, v10, v98 src0_sel:BYTE_1 src1_sel:DWORD
	v_bfrev_b32_e32 v25, 1
	s_and_saveexec_b32 s18, s4
	s_cbranch_execz .LBB382_2150
; %bb.2145:                             ;   in Loop: Header=BB382_1574 Depth=1
	v_mov_b32_e32 v16, 0xffff
	v_mov_b32_e32 v25, 0x7f800001
	s_mov_b32 s20, exec_lo
	v_and_b32_sdwa v16, v16, v10 dst_sel:DWORD dst_unused:UNUSED_PAD src0_sel:DWORD src1_sel:BYTE_1
	v_and_b32_e32 v17, 0x7f, v16
	v_cmpx_ne_u32_e32 0x7f, v17
	s_cbranch_execz .LBB382_2149
; %bb.2146:                             ;   in Loop: Header=BB382_1574 Depth=1
	v_and_b32_e32 v23, 7, v16
	v_mov_b32_e32 v24, v11
	v_lshrrev_b32_e32 v16, 3, v17
	s_mov_b32 s21, exec_lo
	v_cmpx_gt_u32_e32 8, v17
; %bb.2147:                             ;   in Loop: Header=BB382_1574 Depth=1
	v_ffbh_u32_e32 v16, v23
	v_min_u32_e32 v16, 32, v16
	v_subrev_nc_u32_e32 v17, 28, v16
	v_sub_nc_u32_e32 v16, 29, v16
	v_lshlrev_b64 v[23:24], v17, v[23:24]
	v_and_b32_e32 v23, 7, v23
; %bb.2148:                             ;   in Loop: Header=BB382_1574 Depth=1
	s_or_b32 exec_lo, exec_lo, s21
	v_lshlrev_b32_e32 v10, 16, v10
	v_lshlrev_b32_e32 v17, 20, v23
	v_lshl_add_u32 v16, v16, 23, 0x3c000000
	v_and_b32_e32 v10, 0x80000000, v10
	v_or3_b32 v25, v17, v10, v16
.LBB382_2149:                           ;   in Loop: Header=BB382_1574 Depth=1
	s_or_b32 exec_lo, exec_lo, s20
.LBB382_2150:                           ;   in Loop: Header=BB382_1574 Depth=1
	s_or_b32 exec_lo, exec_lo, s18
.LBB382_2151:                           ;   in Loop: Header=BB382_1574 Depth=1
	s_or_b32 exec_lo, exec_lo, s17
	v_and_b32_sdwa v10, v21, v100 dst_sel:DWORD dst_unused:UNUSED_PAD src0_sel:WORD_1 src1_sel:DWORD
	v_mov_b32_e32 v16, 0
	v_mov_b32_e32 v17, 0
	s_mov_b32 s17, exec_lo
	v_cmpx_ne_u16_e32 0, v10
	s_cbranch_execz .LBB382_2159
; %bb.2152:                             ;   in Loop: Header=BB382_1574 Depth=1
	v_bfrev_b32_e32 v17, 1
	s_mov_b32 s18, exec_lo
	v_cmpx_ne_u16_e32 0x80, v10
	s_cbranch_execz .LBB382_2158
; %bb.2153:                             ;   in Loop: Header=BB382_1574 Depth=1
	v_bfe_u32 v23, v21, 16, 7
	v_mov_b32_e32 v17, 0x7f800001
	s_mov_b32 s20, exec_lo
	v_cmpx_ne_u32_e32 0x7f, v23
	s_cbranch_execz .LBB382_2157
; %bb.2154:                             ;   in Loop: Header=BB382_1574 Depth=1
	v_mov_b32_e32 v10, 7
	v_lshrrev_b32_e32 v17, 3, v23
	v_cmp_gt_u32_e64 s4, 8, v23
	v_and_b32_sdwa v10, v21, v10 dst_sel:DWORD dst_unused:UNUSED_PAD src0_sel:WORD_1 src1_sel:DWORD
	v_mov_b32_e32 v24, v11
	v_mov_b32_e32 v23, v10
	s_and_saveexec_b32 s21, s4
; %bb.2155:                             ;   in Loop: Header=BB382_1574 Depth=1
	v_ffbh_u32_e32 v17, v10
	v_min_u32_e32 v17, 32, v17
	v_subrev_nc_u32_e32 v23, 28, v17
	v_sub_nc_u32_e32 v17, 29, v17
	v_lshlrev_b64 v[23:24], v23, v[10:11]
	v_and_b32_e32 v23, 7, v23
; %bb.2156:                             ;   in Loop: Header=BB382_1574 Depth=1
	s_or_b32 exec_lo, exec_lo, s21
	v_mov_b32_e32 v10, 24
	v_lshlrev_b32_e32 v23, 20, v23
	v_lshl_add_u32 v17, v17, 23, 0x3c000000
	v_lshlrev_b32_sdwa v10, v10, v21 dst_sel:DWORD dst_unused:UNUSED_PAD src0_sel:DWORD src1_sel:WORD_1
	v_and_b32_e32 v10, 0x80000000, v10
	v_or3_b32 v17, v23, v10, v17
.LBB382_2157:                           ;   in Loop: Header=BB382_1574 Depth=1
	s_or_b32 exec_lo, exec_lo, s20
.LBB382_2158:                           ;   in Loop: Header=BB382_1574 Depth=1
	s_or_b32 exec_lo, exec_lo, s18
.LBB382_2159:                           ;   in Loop: Header=BB382_1574 Depth=1
	s_or_b32 exec_lo, exec_lo, s17
	s_mov_b32 s17, exec_lo
	v_cmpx_lt_u64_e64 s[12:13], v[20:21]
	s_cbranch_execz .LBB382_2167
; %bb.2160:                             ;   in Loop: Header=BB382_1574 Depth=1
	v_cmp_ne_u32_sdwa s4, v21, v98 src0_sel:BYTE_3 src1_sel:DWORD
	v_bfrev_b32_e32 v16, 1
	s_and_saveexec_b32 s18, s4
	s_cbranch_execz .LBB382_2166
; %bb.2161:                             ;   in Loop: Header=BB382_1574 Depth=1
	v_bfe_u32 v20, v21, 24, 7
	v_mov_b32_e32 v16, 0x7f800001
	s_mov_b32 s20, exec_lo
	v_cmpx_ne_u32_e32 0x7f, v20
	s_cbranch_execz .LBB382_2165
; %bb.2162:                             ;   in Loop: Header=BB382_1574 Depth=1
	v_mov_b32_e32 v10, 7
	v_lshrrev_b32_e32 v16, 3, v20
	s_mov_b32 s21, exec_lo
	v_and_b32_sdwa v10, v21, v10 dst_sel:DWORD dst_unused:UNUSED_PAD src0_sel:BYTE_3 src1_sel:DWORD
	v_mov_b32_e32 v24, v11
	v_mov_b32_e32 v23, v10
	v_cmpx_gt_u32_e32 8, v20
; %bb.2163:                             ;   in Loop: Header=BB382_1574 Depth=1
	v_ffbh_u32_e32 v16, v10
	v_min_u32_e32 v16, 32, v16
	v_subrev_nc_u32_e32 v20, 28, v16
	v_sub_nc_u32_e32 v16, 29, v16
	v_lshlrev_b64 v[23:24], v20, v[10:11]
	v_and_b32_e32 v23, 7, v23
; %bb.2164:                             ;   in Loop: Header=BB382_1574 Depth=1
	s_or_b32 exec_lo, exec_lo, s21
	v_mov_b32_e32 v10, 24
	v_lshlrev_b32_e32 v20, 20, v23
	v_lshl_add_u32 v16, v16, 23, 0x3c000000
	v_lshlrev_b32_sdwa v10, v10, v21 dst_sel:DWORD dst_unused:UNUSED_PAD src0_sel:DWORD src1_sel:BYTE_3
	v_and_b32_e32 v10, 0x80000000, v10
	v_or3_b32 v16, v20, v10, v16
.LBB382_2165:                           ;   in Loop: Header=BB382_1574 Depth=1
	s_or_b32 exec_lo, exec_lo, s20
.LBB382_2166:                           ;   in Loop: Header=BB382_1574 Depth=1
	s_or_b32 exec_lo, exec_lo, s18
.LBB382_2167:                           ;   in Loop: Header=BB382_1574 Depth=1
	s_or_b32 exec_lo, exec_lo, s17
	v_mul_f32_e32 v10, v106, v25
	v_mul_f32_e32 v5, v106, v5
	;; [unrolled: 1-line block ×3, first 2 shown]
	v_bfe_u32 v20, v10, 16, 1
	v_or_b32_e32 v21, 0x400000, v10
	v_cmp_u_f32_e64 s4, v10, v10
	v_add3_u32 v20, v20, v10, 0x7fff
	v_cndmask_b32_e64 v10, v20, v21, s4
	v_lshrrev_b32_e32 v10, 16, v10
	buffer_store_dword v10, off, s[0:3], s32 offset:492 ; 4-byte Folded Spill
	v_mul_f32_e32 v10, v106, v22
	v_bfe_u32 v20, v10, 16, 1
	v_or_b32_e32 v21, 0x400000, v10
	v_cmp_u_f32_e64 s4, v10, v10
	v_add3_u32 v20, v20, v10, 0x7fff
	v_cndmask_b32_e64 v10, v20, v21, s4
	v_lshrrev_b32_e32 v10, 16, v10
	buffer_store_dword v10, off, s[0:3], s32 offset:488 ; 4-byte Folded Spill
	v_mul_f32_e32 v10, v106, v13
	;; [unrolled: 8-line block ×3, first 2 shown]
	v_bfe_u32 v12, v10, 16, 1
	v_or_b32_e32 v13, 0x400000, v10
	v_cmp_u_f32_e64 s4, v10, v10
	v_add3_u32 v12, v12, v10, 0x7fff
	v_cndmask_b32_e64 v10, v12, v13, s4
	v_or_b32_e32 v12, 0x400000, v5
	v_cmp_u_f32_e64 s4, v5, v5
	v_lshrrev_b32_e32 v10, 16, v10
	buffer_store_dword v10, off, s[0:3], s32 offset:500 ; 4-byte Folded Spill
	v_bfe_u32 v10, v5, 16, 1
	v_add3_u32 v10, v10, v5, 0x7fff
	v_cndmask_b32_e64 v5, v10, v12, s4
	v_or_b32_e32 v10, 0x400000, v4
	v_cmp_u_f32_e64 s4, v4, v4
	v_lshrrev_b32_e32 v5, 16, v5
	buffer_store_dword v5, off, s[0:3], s32 offset:516 ; 4-byte Folded Spill
	v_bfe_u32 v5, v4, 16, 1
	v_add3_u32 v5, v5, v4, 0x7fff
	v_cndmask_b32_e64 v4, v5, v10, s4
	v_lshrrev_b32_e32 v4, 16, v4
	buffer_store_dword v4, off, s[0:3], s32 offset:512 ; 4-byte Folded Spill
	v_mul_f32_e32 v4, v106, v17
	v_bfe_u32 v5, v4, 16, 1
	v_or_b32_e32 v10, 0x400000, v4
	v_cmp_u_f32_e64 s4, v4, v4
	v_add3_u32 v5, v5, v4, 0x7fff
	v_cndmask_b32_e64 v4, v5, v10, s4
	v_lshrrev_b32_e32 v4, 16, v4
	buffer_store_dword v4, off, s[0:3], s32 offset:504 ; 4-byte Folded Spill
	v_mul_f32_e32 v4, v106, v16
	v_bfe_u32 v5, v4, 16, 1
	v_or_b32_e32 v10, 0x400000, v4
	v_cmp_u_f32_e64 s4, v4, v4
	v_add3_u32 v5, v5, v4, 0x7fff
	v_cndmask_b32_e64 v4, v5, v10, s4
	v_lshrrev_b32_e32 v4, 16, v4
	buffer_store_dword v4, off, s[0:3], s32 offset:508 ; 4-byte Folded Spill
	s_and_saveexec_b32 s17, vcc_lo
	s_cbranch_execz .LBB382_2169
; %bb.2168:                             ;   in Loop: Header=BB382_1574 Depth=1
	buffer_load_dword v4, off, s[0:3], s32 offset:512 ; 4-byte Folded Reload
	v_cmp_lt_i32_e64 s4, v105, v92
	s_waitcnt vmcnt(0)
	v_cndmask_b32_e64 v4, 0, v4, s4
	v_cmp_lt_i32_e64 s4, v126, v92
	buffer_store_dword v4, off, s[0:3], s32 offset:512 ; 4-byte Folded Spill
	buffer_load_dword v4, off, s[0:3], s32 offset:516 ; 4-byte Folded Reload
	s_waitcnt vmcnt(0)
	v_cndmask_b32_e64 v4, 0, v4, s4
	v_cmp_lt_i32_e64 s4, v125, v92
	buffer_store_dword v4, off, s[0:3], s32 offset:516 ; 4-byte Folded Spill
	buffer_load_dword v4, off, s[0:3], s32 offset:500 ; 4-byte Folded Reload
	;; [unrolled: 5-line block ×7, first 2 shown]
	s_waitcnt vmcnt(0)
	v_cndmask_b32_e64 v4, 0, v4, s4
	buffer_store_dword v4, off, s[0:3], s32 offset:508 ; 4-byte Folded Spill
.LBB382_2169:                           ;   in Loop: Header=BB382_1574 Depth=1
	s_or_b32 exec_lo, exec_lo, s17
	flat_load_dwordx2 v[20:21], v[18:19] offset:256
	v_mov_b32_e32 v5, 0
	v_mov_b32_e32 v4, 0
	s_waitcnt vmcnt(0) lgkmcnt(0)
	v_cmp_ne_u16_sdwa s4, v20, v11 src0_sel:BYTE_0 src1_sel:DWORD
	s_and_saveexec_b32 s17, s4
	s_cbranch_execz .LBB382_2177
; %bb.2170:                             ;   in Loop: Header=BB382_1574 Depth=1
	v_cmp_ne_u16_sdwa s4, v20, v98 src0_sel:BYTE_0 src1_sel:DWORD
	v_bfrev_b32_e32 v4, 1
	s_and_saveexec_b32 s18, s4
	s_cbranch_execz .LBB382_2176
; %bb.2171:                             ;   in Loop: Header=BB382_1574 Depth=1
	v_and_b32_e32 v10, 0x7f, v20
	v_mov_b32_e32 v4, 0x7f800001
	s_mov_b32 s20, exec_lo
	v_cmpx_ne_u32_e32 0x7f, v10
	s_cbranch_execz .LBB382_2175
; %bb.2172:                             ;   in Loop: Header=BB382_1574 Depth=1
	v_mov_b32_e32 v24, v21
	v_lshrrev_b32_e32 v4, 3, v10
	v_mov_b32_e32 v23, v20
	s_mov_b32 s21, exec_lo
	v_cmpx_gt_u32_e32 8, v10
; %bb.2173:                             ;   in Loop: Header=BB382_1574 Depth=1
	v_and_b32_e32 v4, 7, v20
	v_ffbh_u32_e32 v4, v4
	v_min_u32_e32 v4, 32, v4
	v_subrev_nc_u32_e32 v10, 28, v4
	v_sub_nc_u32_e32 v4, 29, v4
	v_lshlrev_b64 v[23:24], v10, v[20:21]
; %bb.2174:                             ;   in Loop: Header=BB382_1574 Depth=1
	s_or_b32 exec_lo, exec_lo, s21
	v_lshlrev_b32_e32 v10, 20, v23
	v_lshlrev_b32_e32 v12, 24, v20
	v_lshl_add_u32 v4, v4, 23, 0x3c000000
	v_and_b32_e32 v10, 0x700000, v10
	v_and_b32_e32 v12, 0x80000000, v12
	v_or3_b32 v4, v10, v12, v4
.LBB382_2175:                           ;   in Loop: Header=BB382_1574 Depth=1
	s_or_b32 exec_lo, exec_lo, s20
.LBB382_2176:                           ;   in Loop: Header=BB382_1574 Depth=1
	s_or_b32 exec_lo, exec_lo, s18
.LBB382_2177:                           ;   in Loop: Header=BB382_1574 Depth=1
	s_or_b32 exec_lo, exec_lo, s17
	v_cmp_ne_u16_sdwa s4, v20, v11 src0_sel:BYTE_1 src1_sel:DWORD
	s_and_saveexec_b32 s17, s4
	s_cbranch_execz .LBB382_2185
; %bb.2178:                             ;   in Loop: Header=BB382_1574 Depth=1
	v_cmp_ne_u16_sdwa s4, v20, v98 src0_sel:BYTE_1 src1_sel:DWORD
	v_bfrev_b32_e32 v5, 1
	s_and_saveexec_b32 s18, s4
	s_cbranch_execz .LBB382_2184
; %bb.2179:                             ;   in Loop: Header=BB382_1574 Depth=1
	v_mov_b32_e32 v5, 0xffff
	s_mov_b32 s20, exec_lo
	v_and_b32_sdwa v10, v5, v20 dst_sel:DWORD dst_unused:UNUSED_PAD src0_sel:DWORD src1_sel:BYTE_1
	v_mov_b32_e32 v5, 0x7f800001
	v_and_b32_e32 v12, 0x7f, v10
	v_cmpx_ne_u32_e32 0x7f, v12
	s_cbranch_execz .LBB382_2183
; %bb.2180:                             ;   in Loop: Header=BB382_1574 Depth=1
	v_and_b32_e32 v10, 7, v10
	v_mov_b32_e32 v24, v11
	v_lshrrev_b32_e32 v5, 3, v12
	s_mov_b32 s21, exec_lo
	v_mov_b32_e32 v23, v10
	v_cmpx_gt_u32_e32 8, v12
; %bb.2181:                             ;   in Loop: Header=BB382_1574 Depth=1
	v_ffbh_u32_e32 v5, v10
	v_min_u32_e32 v5, 32, v5
	v_subrev_nc_u32_e32 v12, 28, v5
	v_sub_nc_u32_e32 v5, 29, v5
	v_lshlrev_b64 v[12:13], v12, v[10:11]
	v_and_b32_e32 v23, 7, v12
; %bb.2182:                             ;   in Loop: Header=BB382_1574 Depth=1
	s_or_b32 exec_lo, exec_lo, s21
	v_lshlrev_b32_e32 v10, 16, v20
	v_lshlrev_b32_e32 v12, 20, v23
	v_lshl_add_u32 v5, v5, 23, 0x3c000000
	v_and_b32_e32 v10, 0x80000000, v10
	v_or3_b32 v5, v12, v10, v5
.LBB382_2183:                           ;   in Loop: Header=BB382_1574 Depth=1
	s_or_b32 exec_lo, exec_lo, s20
.LBB382_2184:                           ;   in Loop: Header=BB382_1574 Depth=1
	s_or_b32 exec_lo, exec_lo, s18
.LBB382_2185:                           ;   in Loop: Header=BB382_1574 Depth=1
	s_or_b32 exec_lo, exec_lo, s17
	v_and_b32_sdwa v10, v20, v100 dst_sel:DWORD dst_unused:UNUSED_PAD src0_sel:WORD_1 src1_sel:DWORD
	v_mov_b32_e32 v13, 0
	v_mov_b32_e32 v12, 0
	s_mov_b32 s17, exec_lo
	v_cmpx_ne_u16_e32 0, v10
	s_cbranch_execz .LBB382_2193
; %bb.2186:                             ;   in Loop: Header=BB382_1574 Depth=1
	v_bfrev_b32_e32 v12, 1
	s_mov_b32 s18, exec_lo
	v_cmpx_ne_u16_e32 0x80, v10
	s_cbranch_execz .LBB382_2192
; %bb.2187:                             ;   in Loop: Header=BB382_1574 Depth=1
	v_bfe_u32 v16, v20, 16, 7
	v_mov_b32_e32 v12, 0x7f800001
	s_mov_b32 s20, exec_lo
	v_cmpx_ne_u32_e32 0x7f, v16
	s_cbranch_execz .LBB382_2191
; %bb.2188:                             ;   in Loop: Header=BB382_1574 Depth=1
	v_mov_b32_e32 v10, 7
	v_lshrrev_b32_e32 v12, 3, v16
	s_mov_b32 s21, exec_lo
	v_and_b32_sdwa v10, v20, v10 dst_sel:DWORD dst_unused:UNUSED_PAD src0_sel:WORD_1 src1_sel:DWORD
	v_mov_b32_e32 v24, v11
	v_mov_b32_e32 v23, v10
	v_cmpx_gt_u32_e32 8, v16
; %bb.2189:                             ;   in Loop: Header=BB382_1574 Depth=1
	v_ffbh_u32_e32 v12, v10
	v_min_u32_e32 v12, 32, v12
	v_subrev_nc_u32_e32 v16, 28, v12
	v_sub_nc_u32_e32 v12, 29, v12
	v_lshlrev_b64 v[16:17], v16, v[10:11]
	v_and_b32_e32 v23, 7, v16
; %bb.2190:                             ;   in Loop: Header=BB382_1574 Depth=1
	s_or_b32 exec_lo, exec_lo, s21
	v_mov_b32_e32 v10, 24
	v_lshlrev_b32_e32 v16, 20, v23
	v_lshl_add_u32 v12, v12, 23, 0x3c000000
	v_lshlrev_b32_sdwa v10, v10, v20 dst_sel:DWORD dst_unused:UNUSED_PAD src0_sel:DWORD src1_sel:WORD_1
	v_and_b32_e32 v10, 0x80000000, v10
	v_or3_b32 v12, v16, v10, v12
.LBB382_2191:                           ;   in Loop: Header=BB382_1574 Depth=1
	s_or_b32 exec_lo, exec_lo, s20
.LBB382_2192:                           ;   in Loop: Header=BB382_1574 Depth=1
	s_or_b32 exec_lo, exec_lo, s18
.LBB382_2193:                           ;   in Loop: Header=BB382_1574 Depth=1
	s_or_b32 exec_lo, exec_lo, s17
	s_mov_b32 s17, exec_lo
	v_cmpx_lt_u32_e32 0xffffff, v20
	s_cbranch_execz .LBB382_2201
; %bb.2194:                             ;   in Loop: Header=BB382_1574 Depth=1
	v_cmp_ne_u32_sdwa s4, v20, v98 src0_sel:BYTE_3 src1_sel:DWORD
	v_bfrev_b32_e32 v13, 1
	s_and_saveexec_b32 s18, s4
	s_cbranch_execz .LBB382_2200
; %bb.2195:                             ;   in Loop: Header=BB382_1574 Depth=1
	v_bfe_u32 v16, v20, 24, 7
	v_mov_b32_e32 v13, 0x7f800001
	s_mov_b32 s20, exec_lo
	v_cmpx_ne_u32_e32 0x7f, v16
	s_cbranch_execz .LBB382_2199
; %bb.2196:                             ;   in Loop: Header=BB382_1574 Depth=1
	v_mov_b32_e32 v10, 7
	v_lshrrev_b32_e32 v13, 3, v16
	s_mov_b32 s21, exec_lo
	v_and_b32_sdwa v10, v20, v10 dst_sel:DWORD dst_unused:UNUSED_PAD src0_sel:BYTE_3 src1_sel:DWORD
	v_mov_b32_e32 v24, v11
	v_mov_b32_e32 v23, v10
	v_cmpx_gt_u32_e32 8, v16
; %bb.2197:                             ;   in Loop: Header=BB382_1574 Depth=1
	v_ffbh_u32_e32 v13, v10
	v_min_u32_e32 v13, 32, v13
	v_subrev_nc_u32_e32 v16, 28, v13
	v_sub_nc_u32_e32 v13, 29, v13
	v_lshlrev_b64 v[16:17], v16, v[10:11]
	v_and_b32_e32 v23, 7, v16
; %bb.2198:                             ;   in Loop: Header=BB382_1574 Depth=1
	s_or_b32 exec_lo, exec_lo, s21
	v_mov_b32_e32 v10, 24
	v_lshlrev_b32_e32 v16, 20, v23
	v_lshl_add_u32 v13, v13, 23, 0x3c000000
	v_lshlrev_b32_sdwa v10, v10, v20 dst_sel:DWORD dst_unused:UNUSED_PAD src0_sel:DWORD src1_sel:BYTE_3
	v_and_b32_e32 v10, 0x80000000, v10
	v_or3_b32 v13, v16, v10, v13
.LBB382_2199:                           ;   in Loop: Header=BB382_1574 Depth=1
	s_or_b32 exec_lo, exec_lo, s20
.LBB382_2200:                           ;   in Loop: Header=BB382_1574 Depth=1
	s_or_b32 exec_lo, exec_lo, s18
.LBB382_2201:                           ;   in Loop: Header=BB382_1574 Depth=1
	s_or_b32 exec_lo, exec_lo, s17
	v_mov_b32_e32 v10, v21
	v_cmp_ne_u16_sdwa s4, v21, v11 src0_sel:BYTE_0 src1_sel:DWORD
	v_mov_b32_e32 v25, 0
	v_mov_b32_e32 v22, 0
	s_and_saveexec_b32 s17, s4
	s_cbranch_execz .LBB382_2209
; %bb.2202:                             ;   in Loop: Header=BB382_1574 Depth=1
	v_cmp_ne_u16_sdwa s4, v21, v98 src0_sel:BYTE_0 src1_sel:DWORD
	v_bfrev_b32_e32 v22, 1
	s_and_saveexec_b32 s18, s4
	s_cbranch_execz .LBB382_2208
; %bb.2203:                             ;   in Loop: Header=BB382_1574 Depth=1
	v_and_b32_e32 v17, 0x7f, v21
	v_mov_b32_e32 v22, 0x7f800001
	s_mov_b32 s20, exec_lo
	v_cmpx_ne_u32_e32 0x7f, v17
	s_cbranch_execz .LBB382_2207
; %bb.2204:                             ;   in Loop: Header=BB382_1574 Depth=1
	v_mov_b32_e32 v24, v11
	v_lshrrev_b32_e32 v16, 3, v17
	v_mov_b32_e32 v23, v10
	s_mov_b32 s21, exec_lo
	v_cmpx_gt_u32_e32 8, v17
; %bb.2205:                             ;   in Loop: Header=BB382_1574 Depth=1
	v_and_b32_e32 v16, 7, v21
	v_ffbh_u32_e32 v16, v16
	v_min_u32_e32 v16, 32, v16
	v_subrev_nc_u32_e32 v17, 28, v16
	v_sub_nc_u32_e32 v16, 29, v16
	v_lshlrev_b64 v[23:24], v17, v[10:11]
; %bb.2206:                             ;   in Loop: Header=BB382_1574 Depth=1
	s_or_b32 exec_lo, exec_lo, s21
	v_lshlrev_b32_e32 v17, 20, v23
	v_lshlrev_b32_e32 v22, 24, v10
	v_lshl_add_u32 v16, v16, 23, 0x3c000000
	v_and_b32_e32 v17, 0x700000, v17
	v_and_b32_e32 v22, 0x80000000, v22
	v_or3_b32 v22, v17, v22, v16
.LBB382_2207:                           ;   in Loop: Header=BB382_1574 Depth=1
	s_or_b32 exec_lo, exec_lo, s20
.LBB382_2208:                           ;   in Loop: Header=BB382_1574 Depth=1
	s_or_b32 exec_lo, exec_lo, s18
.LBB382_2209:                           ;   in Loop: Header=BB382_1574 Depth=1
	s_or_b32 exec_lo, exec_lo, s17
	v_cmp_ne_u16_sdwa s4, v10, v11 src0_sel:BYTE_1 src1_sel:DWORD
	s_and_saveexec_b32 s17, s4
	s_cbranch_execz .LBB382_2217
; %bb.2210:                             ;   in Loop: Header=BB382_1574 Depth=1
	v_cmp_ne_u16_sdwa s4, v10, v98 src0_sel:BYTE_1 src1_sel:DWORD
	v_bfrev_b32_e32 v25, 1
	s_and_saveexec_b32 s18, s4
	s_cbranch_execz .LBB382_2216
; %bb.2211:                             ;   in Loop: Header=BB382_1574 Depth=1
	v_mov_b32_e32 v16, 0xffff
	v_mov_b32_e32 v25, 0x7f800001
	s_mov_b32 s20, exec_lo
	v_and_b32_sdwa v16, v16, v10 dst_sel:DWORD dst_unused:UNUSED_PAD src0_sel:DWORD src1_sel:BYTE_1
	v_and_b32_e32 v17, 0x7f, v16
	v_cmpx_ne_u32_e32 0x7f, v17
	s_cbranch_execz .LBB382_2215
; %bb.2212:                             ;   in Loop: Header=BB382_1574 Depth=1
	v_and_b32_e32 v23, 7, v16
	v_mov_b32_e32 v24, v11
	v_lshrrev_b32_e32 v16, 3, v17
	s_mov_b32 s21, exec_lo
	v_cmpx_gt_u32_e32 8, v17
; %bb.2213:                             ;   in Loop: Header=BB382_1574 Depth=1
	v_ffbh_u32_e32 v16, v23
	v_min_u32_e32 v16, 32, v16
	v_subrev_nc_u32_e32 v17, 28, v16
	v_sub_nc_u32_e32 v16, 29, v16
	v_lshlrev_b64 v[23:24], v17, v[23:24]
	v_and_b32_e32 v23, 7, v23
; %bb.2214:                             ;   in Loop: Header=BB382_1574 Depth=1
	s_or_b32 exec_lo, exec_lo, s21
	v_lshlrev_b32_e32 v10, 16, v10
	v_lshlrev_b32_e32 v17, 20, v23
	v_lshl_add_u32 v16, v16, 23, 0x3c000000
	v_and_b32_e32 v10, 0x80000000, v10
	v_or3_b32 v25, v17, v10, v16
.LBB382_2215:                           ;   in Loop: Header=BB382_1574 Depth=1
	s_or_b32 exec_lo, exec_lo, s20
.LBB382_2216:                           ;   in Loop: Header=BB382_1574 Depth=1
	s_or_b32 exec_lo, exec_lo, s18
.LBB382_2217:                           ;   in Loop: Header=BB382_1574 Depth=1
	s_or_b32 exec_lo, exec_lo, s17
	v_and_b32_sdwa v10, v21, v100 dst_sel:DWORD dst_unused:UNUSED_PAD src0_sel:WORD_1 src1_sel:DWORD
	v_mov_b32_e32 v16, 0
	v_mov_b32_e32 v17, 0
	s_mov_b32 s17, exec_lo
	v_cmpx_ne_u16_e32 0, v10
	s_cbranch_execz .LBB382_2225
; %bb.2218:                             ;   in Loop: Header=BB382_1574 Depth=1
	v_bfrev_b32_e32 v17, 1
	s_mov_b32 s18, exec_lo
	v_cmpx_ne_u16_e32 0x80, v10
	s_cbranch_execz .LBB382_2224
; %bb.2219:                             ;   in Loop: Header=BB382_1574 Depth=1
	v_bfe_u32 v23, v21, 16, 7
	v_mov_b32_e32 v17, 0x7f800001
	s_mov_b32 s20, exec_lo
	v_cmpx_ne_u32_e32 0x7f, v23
	s_cbranch_execz .LBB382_2223
; %bb.2220:                             ;   in Loop: Header=BB382_1574 Depth=1
	v_mov_b32_e32 v10, 7
	v_lshrrev_b32_e32 v17, 3, v23
	v_cmp_gt_u32_e64 s4, 8, v23
	v_and_b32_sdwa v10, v21, v10 dst_sel:DWORD dst_unused:UNUSED_PAD src0_sel:WORD_1 src1_sel:DWORD
	v_mov_b32_e32 v24, v11
	v_mov_b32_e32 v23, v10
	s_and_saveexec_b32 s21, s4
; %bb.2221:                             ;   in Loop: Header=BB382_1574 Depth=1
	v_ffbh_u32_e32 v17, v10
	v_min_u32_e32 v17, 32, v17
	v_subrev_nc_u32_e32 v23, 28, v17
	v_sub_nc_u32_e32 v17, 29, v17
	v_lshlrev_b64 v[23:24], v23, v[10:11]
	v_and_b32_e32 v23, 7, v23
; %bb.2222:                             ;   in Loop: Header=BB382_1574 Depth=1
	s_or_b32 exec_lo, exec_lo, s21
	v_mov_b32_e32 v10, 24
	v_lshlrev_b32_e32 v23, 20, v23
	v_lshl_add_u32 v17, v17, 23, 0x3c000000
	v_lshlrev_b32_sdwa v10, v10, v21 dst_sel:DWORD dst_unused:UNUSED_PAD src0_sel:DWORD src1_sel:WORD_1
	v_and_b32_e32 v10, 0x80000000, v10
	v_or3_b32 v17, v23, v10, v17
.LBB382_2223:                           ;   in Loop: Header=BB382_1574 Depth=1
	s_or_b32 exec_lo, exec_lo, s20
.LBB382_2224:                           ;   in Loop: Header=BB382_1574 Depth=1
	s_or_b32 exec_lo, exec_lo, s18
.LBB382_2225:                           ;   in Loop: Header=BB382_1574 Depth=1
	s_or_b32 exec_lo, exec_lo, s17
	s_mov_b32 s17, exec_lo
	v_cmpx_lt_u64_e64 s[12:13], v[20:21]
	s_cbranch_execz .LBB382_2233
; %bb.2226:                             ;   in Loop: Header=BB382_1574 Depth=1
	v_cmp_ne_u32_sdwa s4, v21, v98 src0_sel:BYTE_3 src1_sel:DWORD
	v_bfrev_b32_e32 v16, 1
	s_and_saveexec_b32 s18, s4
	s_cbranch_execz .LBB382_2232
; %bb.2227:                             ;   in Loop: Header=BB382_1574 Depth=1
	v_bfe_u32 v20, v21, 24, 7
	v_mov_b32_e32 v16, 0x7f800001
	s_mov_b32 s20, exec_lo
	v_cmpx_ne_u32_e32 0x7f, v20
	s_cbranch_execz .LBB382_2231
; %bb.2228:                             ;   in Loop: Header=BB382_1574 Depth=1
	v_mov_b32_e32 v10, 7
	v_lshrrev_b32_e32 v16, 3, v20
	s_mov_b32 s21, exec_lo
	v_and_b32_sdwa v10, v21, v10 dst_sel:DWORD dst_unused:UNUSED_PAD src0_sel:BYTE_3 src1_sel:DWORD
	v_mov_b32_e32 v24, v11
	v_mov_b32_e32 v23, v10
	v_cmpx_gt_u32_e32 8, v20
; %bb.2229:                             ;   in Loop: Header=BB382_1574 Depth=1
	v_ffbh_u32_e32 v16, v10
	v_min_u32_e32 v16, 32, v16
	v_subrev_nc_u32_e32 v20, 28, v16
	v_sub_nc_u32_e32 v16, 29, v16
	v_lshlrev_b64 v[23:24], v20, v[10:11]
	v_and_b32_e32 v23, 7, v23
; %bb.2230:                             ;   in Loop: Header=BB382_1574 Depth=1
	s_or_b32 exec_lo, exec_lo, s21
	v_mov_b32_e32 v10, 24
	v_lshlrev_b32_e32 v20, 20, v23
	v_lshl_add_u32 v16, v16, 23, 0x3c000000
	v_lshlrev_b32_sdwa v10, v10, v21 dst_sel:DWORD dst_unused:UNUSED_PAD src0_sel:DWORD src1_sel:BYTE_3
	v_and_b32_e32 v10, 0x80000000, v10
	v_or3_b32 v16, v20, v10, v16
.LBB382_2231:                           ;   in Loop: Header=BB382_1574 Depth=1
	s_or_b32 exec_lo, exec_lo, s20
.LBB382_2232:                           ;   in Loop: Header=BB382_1574 Depth=1
	s_or_b32 exec_lo, exec_lo, s18
.LBB382_2233:                           ;   in Loop: Header=BB382_1574 Depth=1
	s_or_b32 exec_lo, exec_lo, s17
	v_mul_f32_e32 v10, v106, v25
	v_mul_f32_e32 v5, v106, v5
	v_mul_f32_e32 v4, v106, v4
	v_bfe_u32 v20, v10, 16, 1
	v_or_b32_e32 v21, 0x400000, v10
	v_cmp_u_f32_e64 s4, v10, v10
	v_add3_u32 v20, v20, v10, 0x7fff
	v_cndmask_b32_e64 v10, v20, v21, s4
	v_lshrrev_b32_e32 v10, 16, v10
	buffer_store_dword v10, off, s[0:3], s32 offset:524 ; 4-byte Folded Spill
	v_mul_f32_e32 v10, v106, v22
	v_bfe_u32 v20, v10, 16, 1
	v_or_b32_e32 v21, 0x400000, v10
	v_cmp_u_f32_e64 s4, v10, v10
	v_add3_u32 v20, v20, v10, 0x7fff
	v_cndmask_b32_e64 v10, v20, v21, s4
	v_lshrrev_b32_e32 v10, 16, v10
	buffer_store_dword v10, off, s[0:3], s32 offset:520 ; 4-byte Folded Spill
	v_mul_f32_e32 v10, v106, v13
	;; [unrolled: 8-line block ×3, first 2 shown]
	v_bfe_u32 v12, v10, 16, 1
	v_or_b32_e32 v13, 0x400000, v10
	v_cmp_u_f32_e64 s4, v10, v10
	v_add3_u32 v12, v12, v10, 0x7fff
	v_cndmask_b32_e64 v10, v12, v13, s4
	v_or_b32_e32 v12, 0x400000, v5
	v_cmp_u_f32_e64 s4, v5, v5
	v_lshrrev_b32_e32 v10, 16, v10
	buffer_store_dword v10, off, s[0:3], s32 offset:532 ; 4-byte Folded Spill
	v_bfe_u32 v10, v5, 16, 1
	v_add3_u32 v10, v10, v5, 0x7fff
	v_cndmask_b32_e64 v5, v10, v12, s4
	v_or_b32_e32 v10, 0x400000, v4
	v_cmp_u_f32_e64 s4, v4, v4
	v_lshrrev_b32_e32 v5, 16, v5
	buffer_store_dword v5, off, s[0:3], s32 offset:544 ; 4-byte Folded Spill
	v_bfe_u32 v5, v4, 16, 1
	v_add3_u32 v5, v5, v4, 0x7fff
	v_cndmask_b32_e64 v4, v5, v10, s4
	v_lshrrev_b32_e32 v4, 16, v4
	buffer_store_dword v4, off, s[0:3], s32 offset:548 ; 4-byte Folded Spill
	v_mul_f32_e32 v4, v106, v17
	v_bfe_u32 v5, v4, 16, 1
	v_or_b32_e32 v10, 0x400000, v4
	v_cmp_u_f32_e64 s4, v4, v4
	v_add3_u32 v5, v5, v4, 0x7fff
	v_cndmask_b32_e64 v4, v5, v10, s4
	v_lshrrev_b32_e32 v4, 16, v4
	buffer_store_dword v4, off, s[0:3], s32 offset:536 ; 4-byte Folded Spill
	v_mul_f32_e32 v4, v106, v16
	v_bfe_u32 v5, v4, 16, 1
	v_or_b32_e32 v10, 0x400000, v4
	v_cmp_u_f32_e64 s4, v4, v4
	v_add3_u32 v5, v5, v4, 0x7fff
	v_cndmask_b32_e64 v4, v5, v10, s4
	v_lshrrev_b32_e32 v4, 16, v4
	buffer_store_dword v4, off, s[0:3], s32 offset:540 ; 4-byte Folded Spill
	s_and_saveexec_b32 s17, vcc_lo
	s_cbranch_execz .LBB382_2235
; %bb.2234:                             ;   in Loop: Header=BB382_1574 Depth=1
	buffer_load_dword v4, off, s[0:3], s32 offset:548 ; 4-byte Folded Reload
	v_cmp_lt_i32_e64 s4, v105, v92
	s_waitcnt vmcnt(0)
	v_cndmask_b32_e64 v4, 0, v4, s4
	v_cmp_lt_i32_e64 s4, v126, v92
	buffer_store_dword v4, off, s[0:3], s32 offset:548 ; 4-byte Folded Spill
	buffer_load_dword v4, off, s[0:3], s32 offset:544 ; 4-byte Folded Reload
	s_waitcnt vmcnt(0)
	v_cndmask_b32_e64 v4, 0, v4, s4
	v_cmp_lt_i32_e64 s4, v125, v92
	buffer_store_dword v4, off, s[0:3], s32 offset:544 ; 4-byte Folded Spill
	buffer_load_dword v4, off, s[0:3], s32 offset:532 ; 4-byte Folded Reload
	;; [unrolled: 5-line block ×7, first 2 shown]
	s_waitcnt vmcnt(0)
	v_cndmask_b32_e64 v4, 0, v4, s4
	buffer_store_dword v4, off, s[0:3], s32 offset:540 ; 4-byte Folded Spill
.LBB382_2235:                           ;   in Loop: Header=BB382_1574 Depth=1
	s_or_b32 exec_lo, exec_lo, s17
	flat_load_dwordx2 v[20:21], v[18:19] offset:512
	v_mov_b32_e32 v5, 0
	v_mov_b32_e32 v4, 0
	s_waitcnt vmcnt(0) lgkmcnt(0)
	v_cmp_ne_u16_sdwa s4, v20, v11 src0_sel:BYTE_0 src1_sel:DWORD
	s_and_saveexec_b32 s17, s4
	s_cbranch_execz .LBB382_2243
; %bb.2236:                             ;   in Loop: Header=BB382_1574 Depth=1
	v_cmp_ne_u16_sdwa s4, v20, v98 src0_sel:BYTE_0 src1_sel:DWORD
	v_bfrev_b32_e32 v4, 1
	s_and_saveexec_b32 s18, s4
	s_cbranch_execz .LBB382_2242
; %bb.2237:                             ;   in Loop: Header=BB382_1574 Depth=1
	v_and_b32_e32 v10, 0x7f, v20
	v_mov_b32_e32 v4, 0x7f800001
	s_mov_b32 s20, exec_lo
	v_cmpx_ne_u32_e32 0x7f, v10
	s_cbranch_execz .LBB382_2241
; %bb.2238:                             ;   in Loop: Header=BB382_1574 Depth=1
	v_mov_b32_e32 v24, v21
	v_lshrrev_b32_e32 v4, 3, v10
	v_mov_b32_e32 v23, v20
	s_mov_b32 s21, exec_lo
	v_cmpx_gt_u32_e32 8, v10
; %bb.2239:                             ;   in Loop: Header=BB382_1574 Depth=1
	v_and_b32_e32 v4, 7, v20
	v_ffbh_u32_e32 v4, v4
	v_min_u32_e32 v4, 32, v4
	v_subrev_nc_u32_e32 v10, 28, v4
	v_sub_nc_u32_e32 v4, 29, v4
	v_lshlrev_b64 v[23:24], v10, v[20:21]
; %bb.2240:                             ;   in Loop: Header=BB382_1574 Depth=1
	s_or_b32 exec_lo, exec_lo, s21
	v_lshlrev_b32_e32 v10, 20, v23
	v_lshlrev_b32_e32 v12, 24, v20
	v_lshl_add_u32 v4, v4, 23, 0x3c000000
	v_and_b32_e32 v10, 0x700000, v10
	v_and_b32_e32 v12, 0x80000000, v12
	v_or3_b32 v4, v10, v12, v4
.LBB382_2241:                           ;   in Loop: Header=BB382_1574 Depth=1
	s_or_b32 exec_lo, exec_lo, s20
.LBB382_2242:                           ;   in Loop: Header=BB382_1574 Depth=1
	s_or_b32 exec_lo, exec_lo, s18
.LBB382_2243:                           ;   in Loop: Header=BB382_1574 Depth=1
	s_or_b32 exec_lo, exec_lo, s17
	v_cmp_ne_u16_sdwa s4, v20, v11 src0_sel:BYTE_1 src1_sel:DWORD
	s_and_saveexec_b32 s17, s4
	s_cbranch_execz .LBB382_2251
; %bb.2244:                             ;   in Loop: Header=BB382_1574 Depth=1
	v_cmp_ne_u16_sdwa s4, v20, v98 src0_sel:BYTE_1 src1_sel:DWORD
	v_bfrev_b32_e32 v5, 1
	s_and_saveexec_b32 s18, s4
	s_cbranch_execz .LBB382_2250
; %bb.2245:                             ;   in Loop: Header=BB382_1574 Depth=1
	v_mov_b32_e32 v5, 0xffff
	s_mov_b32 s20, exec_lo
	v_and_b32_sdwa v10, v5, v20 dst_sel:DWORD dst_unused:UNUSED_PAD src0_sel:DWORD src1_sel:BYTE_1
	v_mov_b32_e32 v5, 0x7f800001
	v_and_b32_e32 v12, 0x7f, v10
	v_cmpx_ne_u32_e32 0x7f, v12
	s_cbranch_execz .LBB382_2249
; %bb.2246:                             ;   in Loop: Header=BB382_1574 Depth=1
	v_and_b32_e32 v10, 7, v10
	v_mov_b32_e32 v24, v11
	v_lshrrev_b32_e32 v5, 3, v12
	s_mov_b32 s21, exec_lo
	v_mov_b32_e32 v23, v10
	v_cmpx_gt_u32_e32 8, v12
; %bb.2247:                             ;   in Loop: Header=BB382_1574 Depth=1
	v_ffbh_u32_e32 v5, v10
	v_min_u32_e32 v5, 32, v5
	v_subrev_nc_u32_e32 v12, 28, v5
	v_sub_nc_u32_e32 v5, 29, v5
	v_lshlrev_b64 v[12:13], v12, v[10:11]
	v_and_b32_e32 v23, 7, v12
; %bb.2248:                             ;   in Loop: Header=BB382_1574 Depth=1
	s_or_b32 exec_lo, exec_lo, s21
	v_lshlrev_b32_e32 v10, 16, v20
	v_lshlrev_b32_e32 v12, 20, v23
	v_lshl_add_u32 v5, v5, 23, 0x3c000000
	v_and_b32_e32 v10, 0x80000000, v10
	v_or3_b32 v5, v12, v10, v5
.LBB382_2249:                           ;   in Loop: Header=BB382_1574 Depth=1
	s_or_b32 exec_lo, exec_lo, s20
.LBB382_2250:                           ;   in Loop: Header=BB382_1574 Depth=1
	s_or_b32 exec_lo, exec_lo, s18
.LBB382_2251:                           ;   in Loop: Header=BB382_1574 Depth=1
	s_or_b32 exec_lo, exec_lo, s17
	v_and_b32_sdwa v10, v20, v100 dst_sel:DWORD dst_unused:UNUSED_PAD src0_sel:WORD_1 src1_sel:DWORD
	v_mov_b32_e32 v13, 0
	v_mov_b32_e32 v12, 0
	s_mov_b32 s17, exec_lo
	v_cmpx_ne_u16_e32 0, v10
	s_cbranch_execz .LBB382_2259
; %bb.2252:                             ;   in Loop: Header=BB382_1574 Depth=1
	v_bfrev_b32_e32 v12, 1
	s_mov_b32 s18, exec_lo
	v_cmpx_ne_u16_e32 0x80, v10
	s_cbranch_execz .LBB382_2258
; %bb.2253:                             ;   in Loop: Header=BB382_1574 Depth=1
	v_bfe_u32 v16, v20, 16, 7
	v_mov_b32_e32 v12, 0x7f800001
	s_mov_b32 s20, exec_lo
	v_cmpx_ne_u32_e32 0x7f, v16
	s_cbranch_execz .LBB382_2257
; %bb.2254:                             ;   in Loop: Header=BB382_1574 Depth=1
	v_mov_b32_e32 v10, 7
	v_lshrrev_b32_e32 v12, 3, v16
	s_mov_b32 s21, exec_lo
	v_and_b32_sdwa v10, v20, v10 dst_sel:DWORD dst_unused:UNUSED_PAD src0_sel:WORD_1 src1_sel:DWORD
	v_mov_b32_e32 v24, v11
	v_mov_b32_e32 v23, v10
	v_cmpx_gt_u32_e32 8, v16
; %bb.2255:                             ;   in Loop: Header=BB382_1574 Depth=1
	v_ffbh_u32_e32 v12, v10
	v_min_u32_e32 v12, 32, v12
	v_subrev_nc_u32_e32 v16, 28, v12
	v_sub_nc_u32_e32 v12, 29, v12
	v_lshlrev_b64 v[16:17], v16, v[10:11]
	v_and_b32_e32 v23, 7, v16
; %bb.2256:                             ;   in Loop: Header=BB382_1574 Depth=1
	s_or_b32 exec_lo, exec_lo, s21
	v_mov_b32_e32 v10, 24
	v_lshlrev_b32_e32 v16, 20, v23
	v_lshl_add_u32 v12, v12, 23, 0x3c000000
	v_lshlrev_b32_sdwa v10, v10, v20 dst_sel:DWORD dst_unused:UNUSED_PAD src0_sel:DWORD src1_sel:WORD_1
	v_and_b32_e32 v10, 0x80000000, v10
	v_or3_b32 v12, v16, v10, v12
.LBB382_2257:                           ;   in Loop: Header=BB382_1574 Depth=1
	s_or_b32 exec_lo, exec_lo, s20
.LBB382_2258:                           ;   in Loop: Header=BB382_1574 Depth=1
	s_or_b32 exec_lo, exec_lo, s18
.LBB382_2259:                           ;   in Loop: Header=BB382_1574 Depth=1
	s_or_b32 exec_lo, exec_lo, s17
	s_mov_b32 s17, exec_lo
	v_cmpx_lt_u32_e32 0xffffff, v20
	s_cbranch_execz .LBB382_2267
; %bb.2260:                             ;   in Loop: Header=BB382_1574 Depth=1
	v_cmp_ne_u32_sdwa s4, v20, v98 src0_sel:BYTE_3 src1_sel:DWORD
	v_bfrev_b32_e32 v13, 1
	s_and_saveexec_b32 s18, s4
	s_cbranch_execz .LBB382_2266
; %bb.2261:                             ;   in Loop: Header=BB382_1574 Depth=1
	v_bfe_u32 v16, v20, 24, 7
	v_mov_b32_e32 v13, 0x7f800001
	s_mov_b32 s20, exec_lo
	v_cmpx_ne_u32_e32 0x7f, v16
	s_cbranch_execz .LBB382_2265
; %bb.2262:                             ;   in Loop: Header=BB382_1574 Depth=1
	v_mov_b32_e32 v10, 7
	v_lshrrev_b32_e32 v13, 3, v16
	s_mov_b32 s21, exec_lo
	v_and_b32_sdwa v10, v20, v10 dst_sel:DWORD dst_unused:UNUSED_PAD src0_sel:BYTE_3 src1_sel:DWORD
	v_mov_b32_e32 v24, v11
	v_mov_b32_e32 v23, v10
	v_cmpx_gt_u32_e32 8, v16
; %bb.2263:                             ;   in Loop: Header=BB382_1574 Depth=1
	v_ffbh_u32_e32 v13, v10
	v_min_u32_e32 v13, 32, v13
	v_subrev_nc_u32_e32 v16, 28, v13
	v_sub_nc_u32_e32 v13, 29, v13
	v_lshlrev_b64 v[16:17], v16, v[10:11]
	v_and_b32_e32 v23, 7, v16
; %bb.2264:                             ;   in Loop: Header=BB382_1574 Depth=1
	s_or_b32 exec_lo, exec_lo, s21
	v_mov_b32_e32 v10, 24
	v_lshlrev_b32_e32 v16, 20, v23
	v_lshl_add_u32 v13, v13, 23, 0x3c000000
	v_lshlrev_b32_sdwa v10, v10, v20 dst_sel:DWORD dst_unused:UNUSED_PAD src0_sel:DWORD src1_sel:BYTE_3
	v_and_b32_e32 v10, 0x80000000, v10
	v_or3_b32 v13, v16, v10, v13
.LBB382_2265:                           ;   in Loop: Header=BB382_1574 Depth=1
	s_or_b32 exec_lo, exec_lo, s20
.LBB382_2266:                           ;   in Loop: Header=BB382_1574 Depth=1
	s_or_b32 exec_lo, exec_lo, s18
.LBB382_2267:                           ;   in Loop: Header=BB382_1574 Depth=1
	s_or_b32 exec_lo, exec_lo, s17
	v_mov_b32_e32 v10, v21
	v_cmp_ne_u16_sdwa s4, v21, v11 src0_sel:BYTE_0 src1_sel:DWORD
	v_mov_b32_e32 v25, 0
	v_mov_b32_e32 v22, 0
	s_and_saveexec_b32 s17, s4
	s_cbranch_execz .LBB382_2275
; %bb.2268:                             ;   in Loop: Header=BB382_1574 Depth=1
	v_cmp_ne_u16_sdwa s4, v21, v98 src0_sel:BYTE_0 src1_sel:DWORD
	v_bfrev_b32_e32 v22, 1
	s_and_saveexec_b32 s18, s4
	s_cbranch_execz .LBB382_2274
; %bb.2269:                             ;   in Loop: Header=BB382_1574 Depth=1
	v_and_b32_e32 v17, 0x7f, v21
	v_mov_b32_e32 v22, 0x7f800001
	s_mov_b32 s20, exec_lo
	v_cmpx_ne_u32_e32 0x7f, v17
	s_cbranch_execz .LBB382_2273
; %bb.2270:                             ;   in Loop: Header=BB382_1574 Depth=1
	v_mov_b32_e32 v24, v11
	v_lshrrev_b32_e32 v16, 3, v17
	v_mov_b32_e32 v23, v10
	s_mov_b32 s21, exec_lo
	v_cmpx_gt_u32_e32 8, v17
; %bb.2271:                             ;   in Loop: Header=BB382_1574 Depth=1
	v_and_b32_e32 v16, 7, v21
	v_ffbh_u32_e32 v16, v16
	v_min_u32_e32 v16, 32, v16
	v_subrev_nc_u32_e32 v17, 28, v16
	v_sub_nc_u32_e32 v16, 29, v16
	v_lshlrev_b64 v[23:24], v17, v[10:11]
; %bb.2272:                             ;   in Loop: Header=BB382_1574 Depth=1
	s_or_b32 exec_lo, exec_lo, s21
	v_lshlrev_b32_e32 v17, 20, v23
	v_lshlrev_b32_e32 v22, 24, v10
	v_lshl_add_u32 v16, v16, 23, 0x3c000000
	v_and_b32_e32 v17, 0x700000, v17
	v_and_b32_e32 v22, 0x80000000, v22
	v_or3_b32 v22, v17, v22, v16
.LBB382_2273:                           ;   in Loop: Header=BB382_1574 Depth=1
	s_or_b32 exec_lo, exec_lo, s20
.LBB382_2274:                           ;   in Loop: Header=BB382_1574 Depth=1
	s_or_b32 exec_lo, exec_lo, s18
.LBB382_2275:                           ;   in Loop: Header=BB382_1574 Depth=1
	s_or_b32 exec_lo, exec_lo, s17
	v_cmp_ne_u16_sdwa s4, v10, v11 src0_sel:BYTE_1 src1_sel:DWORD
	s_and_saveexec_b32 s17, s4
	s_cbranch_execz .LBB382_2283
; %bb.2276:                             ;   in Loop: Header=BB382_1574 Depth=1
	v_cmp_ne_u16_sdwa s4, v10, v98 src0_sel:BYTE_1 src1_sel:DWORD
	v_bfrev_b32_e32 v25, 1
	s_and_saveexec_b32 s18, s4
	s_cbranch_execz .LBB382_2282
; %bb.2277:                             ;   in Loop: Header=BB382_1574 Depth=1
	v_mov_b32_e32 v16, 0xffff
	v_mov_b32_e32 v25, 0x7f800001
	s_mov_b32 s20, exec_lo
	v_and_b32_sdwa v16, v16, v10 dst_sel:DWORD dst_unused:UNUSED_PAD src0_sel:DWORD src1_sel:BYTE_1
	v_and_b32_e32 v17, 0x7f, v16
	v_cmpx_ne_u32_e32 0x7f, v17
	s_cbranch_execz .LBB382_2281
; %bb.2278:                             ;   in Loop: Header=BB382_1574 Depth=1
	v_and_b32_e32 v23, 7, v16
	v_mov_b32_e32 v24, v11
	v_lshrrev_b32_e32 v16, 3, v17
	s_mov_b32 s21, exec_lo
	v_cmpx_gt_u32_e32 8, v17
; %bb.2279:                             ;   in Loop: Header=BB382_1574 Depth=1
	v_ffbh_u32_e32 v16, v23
	v_min_u32_e32 v16, 32, v16
	v_subrev_nc_u32_e32 v17, 28, v16
	v_sub_nc_u32_e32 v16, 29, v16
	v_lshlrev_b64 v[23:24], v17, v[23:24]
	v_and_b32_e32 v23, 7, v23
; %bb.2280:                             ;   in Loop: Header=BB382_1574 Depth=1
	s_or_b32 exec_lo, exec_lo, s21
	v_lshlrev_b32_e32 v10, 16, v10
	v_lshlrev_b32_e32 v17, 20, v23
	v_lshl_add_u32 v16, v16, 23, 0x3c000000
	v_and_b32_e32 v10, 0x80000000, v10
	v_or3_b32 v25, v17, v10, v16
.LBB382_2281:                           ;   in Loop: Header=BB382_1574 Depth=1
	s_or_b32 exec_lo, exec_lo, s20
.LBB382_2282:                           ;   in Loop: Header=BB382_1574 Depth=1
	s_or_b32 exec_lo, exec_lo, s18
.LBB382_2283:                           ;   in Loop: Header=BB382_1574 Depth=1
	s_or_b32 exec_lo, exec_lo, s17
	v_and_b32_sdwa v10, v21, v100 dst_sel:DWORD dst_unused:UNUSED_PAD src0_sel:WORD_1 src1_sel:DWORD
	v_mov_b32_e32 v16, 0
	v_mov_b32_e32 v17, 0
	s_mov_b32 s17, exec_lo
	v_cmpx_ne_u16_e32 0, v10
	s_cbranch_execz .LBB382_2291
; %bb.2284:                             ;   in Loop: Header=BB382_1574 Depth=1
	v_bfrev_b32_e32 v17, 1
	s_mov_b32 s18, exec_lo
	v_cmpx_ne_u16_e32 0x80, v10
	s_cbranch_execz .LBB382_2290
; %bb.2285:                             ;   in Loop: Header=BB382_1574 Depth=1
	v_bfe_u32 v23, v21, 16, 7
	v_mov_b32_e32 v17, 0x7f800001
	s_mov_b32 s20, exec_lo
	v_cmpx_ne_u32_e32 0x7f, v23
	s_cbranch_execz .LBB382_2289
; %bb.2286:                             ;   in Loop: Header=BB382_1574 Depth=1
	v_mov_b32_e32 v10, 7
	v_lshrrev_b32_e32 v17, 3, v23
	v_cmp_gt_u32_e64 s4, 8, v23
	v_and_b32_sdwa v10, v21, v10 dst_sel:DWORD dst_unused:UNUSED_PAD src0_sel:WORD_1 src1_sel:DWORD
	v_mov_b32_e32 v24, v11
	v_mov_b32_e32 v23, v10
	s_and_saveexec_b32 s21, s4
; %bb.2287:                             ;   in Loop: Header=BB382_1574 Depth=1
	v_ffbh_u32_e32 v17, v10
	v_min_u32_e32 v17, 32, v17
	v_subrev_nc_u32_e32 v23, 28, v17
	v_sub_nc_u32_e32 v17, 29, v17
	v_lshlrev_b64 v[23:24], v23, v[10:11]
	v_and_b32_e32 v23, 7, v23
; %bb.2288:                             ;   in Loop: Header=BB382_1574 Depth=1
	s_or_b32 exec_lo, exec_lo, s21
	v_mov_b32_e32 v10, 24
	v_lshlrev_b32_e32 v23, 20, v23
	v_lshl_add_u32 v17, v17, 23, 0x3c000000
	v_lshlrev_b32_sdwa v10, v10, v21 dst_sel:DWORD dst_unused:UNUSED_PAD src0_sel:DWORD src1_sel:WORD_1
	v_and_b32_e32 v10, 0x80000000, v10
	v_or3_b32 v17, v23, v10, v17
.LBB382_2289:                           ;   in Loop: Header=BB382_1574 Depth=1
	s_or_b32 exec_lo, exec_lo, s20
.LBB382_2290:                           ;   in Loop: Header=BB382_1574 Depth=1
	s_or_b32 exec_lo, exec_lo, s18
.LBB382_2291:                           ;   in Loop: Header=BB382_1574 Depth=1
	s_or_b32 exec_lo, exec_lo, s17
	s_mov_b32 s17, exec_lo
	v_cmpx_lt_u64_e64 s[12:13], v[20:21]
	s_cbranch_execz .LBB382_2299
; %bb.2292:                             ;   in Loop: Header=BB382_1574 Depth=1
	v_cmp_ne_u32_sdwa s4, v21, v98 src0_sel:BYTE_3 src1_sel:DWORD
	v_bfrev_b32_e32 v16, 1
	s_and_saveexec_b32 s18, s4
	s_cbranch_execz .LBB382_2298
; %bb.2293:                             ;   in Loop: Header=BB382_1574 Depth=1
	v_bfe_u32 v20, v21, 24, 7
	v_mov_b32_e32 v16, 0x7f800001
	s_mov_b32 s20, exec_lo
	v_cmpx_ne_u32_e32 0x7f, v20
	s_cbranch_execz .LBB382_2297
; %bb.2294:                             ;   in Loop: Header=BB382_1574 Depth=1
	v_mov_b32_e32 v10, 7
	v_lshrrev_b32_e32 v16, 3, v20
	s_mov_b32 s21, exec_lo
	v_and_b32_sdwa v10, v21, v10 dst_sel:DWORD dst_unused:UNUSED_PAD src0_sel:BYTE_3 src1_sel:DWORD
	v_mov_b32_e32 v24, v11
	v_mov_b32_e32 v23, v10
	v_cmpx_gt_u32_e32 8, v20
; %bb.2295:                             ;   in Loop: Header=BB382_1574 Depth=1
	v_ffbh_u32_e32 v16, v10
	v_min_u32_e32 v16, 32, v16
	v_subrev_nc_u32_e32 v20, 28, v16
	v_sub_nc_u32_e32 v16, 29, v16
	v_lshlrev_b64 v[23:24], v20, v[10:11]
	v_and_b32_e32 v23, 7, v23
; %bb.2296:                             ;   in Loop: Header=BB382_1574 Depth=1
	s_or_b32 exec_lo, exec_lo, s21
	v_mov_b32_e32 v10, 24
	v_lshlrev_b32_e32 v20, 20, v23
	v_lshl_add_u32 v16, v16, 23, 0x3c000000
	v_lshlrev_b32_sdwa v10, v10, v21 dst_sel:DWORD dst_unused:UNUSED_PAD src0_sel:DWORD src1_sel:BYTE_3
	v_and_b32_e32 v10, 0x80000000, v10
	v_or3_b32 v16, v20, v10, v16
.LBB382_2297:                           ;   in Loop: Header=BB382_1574 Depth=1
	s_or_b32 exec_lo, exec_lo, s20
.LBB382_2298:                           ;   in Loop: Header=BB382_1574 Depth=1
	s_or_b32 exec_lo, exec_lo, s18
.LBB382_2299:                           ;   in Loop: Header=BB382_1574 Depth=1
	s_or_b32 exec_lo, exec_lo, s17
	v_mul_f32_e32 v10, v106, v25
	v_mul_f32_e32 v5, v106, v5
	;; [unrolled: 1-line block ×3, first 2 shown]
	v_bfe_u32 v20, v10, 16, 1
	v_or_b32_e32 v21, 0x400000, v10
	v_cmp_u_f32_e64 s4, v10, v10
	v_add3_u32 v20, v20, v10, 0x7fff
	v_cndmask_b32_e64 v10, v20, v21, s4
	v_lshrrev_b32_e32 v10, 16, v10
	buffer_store_dword v10, off, s[0:3], s32 offset:552 ; 4-byte Folded Spill
	v_mul_f32_e32 v10, v106, v22
	v_bfe_u32 v20, v10, 16, 1
	v_or_b32_e32 v21, 0x400000, v10
	v_cmp_u_f32_e64 s4, v10, v10
	v_add3_u32 v20, v20, v10, 0x7fff
	v_cndmask_b32_e64 v10, v20, v21, s4
	v_lshrrev_b32_e32 v10, 16, v10
	buffer_store_dword v10, off, s[0:3], s32 offset:556 ; 4-byte Folded Spill
	v_mul_f32_e32 v10, v106, v13
	;; [unrolled: 8-line block ×3, first 2 shown]
	v_bfe_u32 v12, v10, 16, 1
	v_or_b32_e32 v13, 0x400000, v10
	v_cmp_u_f32_e64 s4, v10, v10
	v_add3_u32 v12, v12, v10, 0x7fff
	v_cndmask_b32_e64 v10, v12, v13, s4
	v_or_b32_e32 v12, 0x400000, v5
	v_cmp_u_f32_e64 s4, v5, v5
	v_lshrrev_b32_e32 v10, 16, v10
	buffer_store_dword v10, off, s[0:3], s32 offset:564 ; 4-byte Folded Spill
	v_bfe_u32 v10, v5, 16, 1
	v_add3_u32 v10, v10, v5, 0x7fff
	v_cndmask_b32_e64 v5, v10, v12, s4
	v_or_b32_e32 v10, 0x400000, v4
	v_cmp_u_f32_e64 s4, v4, v4
	v_lshrrev_b32_e32 v5, 16, v5
	buffer_store_dword v5, off, s[0:3], s32 offset:572 ; 4-byte Folded Spill
	v_bfe_u32 v5, v4, 16, 1
	v_add3_u32 v5, v5, v4, 0x7fff
	v_cndmask_b32_e64 v4, v5, v10, s4
	v_lshrrev_b32_e32 v4, 16, v4
	buffer_store_dword v4, off, s[0:3], s32 offset:576 ; 4-byte Folded Spill
	v_mul_f32_e32 v4, v106, v17
	v_bfe_u32 v5, v4, 16, 1
	v_or_b32_e32 v10, 0x400000, v4
	v_cmp_u_f32_e64 s4, v4, v4
	v_add3_u32 v5, v5, v4, 0x7fff
	v_cndmask_b32_e64 v4, v5, v10, s4
	v_lshrrev_b32_e32 v4, 16, v4
	buffer_store_dword v4, off, s[0:3], s32 offset:568 ; 4-byte Folded Spill
	v_mul_f32_e32 v4, v106, v16
	v_bfe_u32 v5, v4, 16, 1
	v_or_b32_e32 v10, 0x400000, v4
	v_cmp_u_f32_e64 s4, v4, v4
	v_add3_u32 v5, v5, v4, 0x7fff
	v_cndmask_b32_e64 v4, v5, v10, s4
	v_lshrrev_b32_e32 v4, 16, v4
	buffer_store_dword v4, off, s[0:3], s32 offset:580 ; 4-byte Folded Spill
	s_and_saveexec_b32 s17, vcc_lo
	s_cbranch_execz .LBB382_2301
; %bb.2300:                             ;   in Loop: Header=BB382_1574 Depth=1
	buffer_load_dword v4, off, s[0:3], s32 offset:576 ; 4-byte Folded Reload
	v_cmp_lt_i32_e64 s4, v105, v92
	s_waitcnt vmcnt(0)
	v_cndmask_b32_e64 v4, 0, v4, s4
	v_cmp_lt_i32_e64 s4, v126, v92
	buffer_store_dword v4, off, s[0:3], s32 offset:576 ; 4-byte Folded Spill
	buffer_load_dword v4, off, s[0:3], s32 offset:572 ; 4-byte Folded Reload
	s_waitcnt vmcnt(0)
	v_cndmask_b32_e64 v4, 0, v4, s4
	v_cmp_lt_i32_e64 s4, v125, v92
	buffer_store_dword v4, off, s[0:3], s32 offset:572 ; 4-byte Folded Spill
	buffer_load_dword v4, off, s[0:3], s32 offset:564 ; 4-byte Folded Reload
	;; [unrolled: 5-line block ×7, first 2 shown]
	s_waitcnt vmcnt(0)
	v_cndmask_b32_e64 v4, 0, v4, s4
	buffer_store_dword v4, off, s[0:3], s32 offset:580 ; 4-byte Folded Spill
.LBB382_2301:                           ;   in Loop: Header=BB382_1574 Depth=1
	s_or_b32 exec_lo, exec_lo, s17
	flat_load_dwordx2 v[20:21], v[18:19] offset:768
	v_mov_b32_e32 v5, 0
	v_mov_b32_e32 v4, 0
	s_waitcnt vmcnt(0) lgkmcnt(0)
	v_cmp_ne_u16_sdwa s4, v20, v11 src0_sel:BYTE_0 src1_sel:DWORD
	s_and_saveexec_b32 s17, s4
	s_cbranch_execz .LBB382_2309
; %bb.2302:                             ;   in Loop: Header=BB382_1574 Depth=1
	v_cmp_ne_u16_sdwa s4, v20, v98 src0_sel:BYTE_0 src1_sel:DWORD
	v_bfrev_b32_e32 v4, 1
	s_and_saveexec_b32 s18, s4
	s_cbranch_execz .LBB382_2308
; %bb.2303:                             ;   in Loop: Header=BB382_1574 Depth=1
	v_and_b32_e32 v10, 0x7f, v20
	v_mov_b32_e32 v4, 0x7f800001
	s_mov_b32 s20, exec_lo
	v_cmpx_ne_u32_e32 0x7f, v10
	s_cbranch_execz .LBB382_2307
; %bb.2304:                             ;   in Loop: Header=BB382_1574 Depth=1
	v_mov_b32_e32 v24, v21
	v_lshrrev_b32_e32 v4, 3, v10
	v_mov_b32_e32 v23, v20
	s_mov_b32 s21, exec_lo
	v_cmpx_gt_u32_e32 8, v10
; %bb.2305:                             ;   in Loop: Header=BB382_1574 Depth=1
	v_and_b32_e32 v4, 7, v20
	v_ffbh_u32_e32 v4, v4
	v_min_u32_e32 v4, 32, v4
	v_subrev_nc_u32_e32 v10, 28, v4
	v_sub_nc_u32_e32 v4, 29, v4
	v_lshlrev_b64 v[23:24], v10, v[20:21]
; %bb.2306:                             ;   in Loop: Header=BB382_1574 Depth=1
	s_or_b32 exec_lo, exec_lo, s21
	v_lshlrev_b32_e32 v10, 20, v23
	v_lshlrev_b32_e32 v12, 24, v20
	v_lshl_add_u32 v4, v4, 23, 0x3c000000
	v_and_b32_e32 v10, 0x700000, v10
	v_and_b32_e32 v12, 0x80000000, v12
	v_or3_b32 v4, v10, v12, v4
.LBB382_2307:                           ;   in Loop: Header=BB382_1574 Depth=1
	s_or_b32 exec_lo, exec_lo, s20
.LBB382_2308:                           ;   in Loop: Header=BB382_1574 Depth=1
	s_or_b32 exec_lo, exec_lo, s18
.LBB382_2309:                           ;   in Loop: Header=BB382_1574 Depth=1
	s_or_b32 exec_lo, exec_lo, s17
	v_cmp_ne_u16_sdwa s4, v20, v11 src0_sel:BYTE_1 src1_sel:DWORD
	s_and_saveexec_b32 s17, s4
	s_cbranch_execz .LBB382_2317
; %bb.2310:                             ;   in Loop: Header=BB382_1574 Depth=1
	v_cmp_ne_u16_sdwa s4, v20, v98 src0_sel:BYTE_1 src1_sel:DWORD
	v_bfrev_b32_e32 v5, 1
	s_and_saveexec_b32 s18, s4
	s_cbranch_execz .LBB382_2316
; %bb.2311:                             ;   in Loop: Header=BB382_1574 Depth=1
	v_mov_b32_e32 v5, 0xffff
	s_mov_b32 s20, exec_lo
	v_and_b32_sdwa v10, v5, v20 dst_sel:DWORD dst_unused:UNUSED_PAD src0_sel:DWORD src1_sel:BYTE_1
	v_mov_b32_e32 v5, 0x7f800001
	v_and_b32_e32 v12, 0x7f, v10
	v_cmpx_ne_u32_e32 0x7f, v12
	s_cbranch_execz .LBB382_2315
; %bb.2312:                             ;   in Loop: Header=BB382_1574 Depth=1
	v_and_b32_e32 v10, 7, v10
	v_mov_b32_e32 v24, v11
	v_lshrrev_b32_e32 v5, 3, v12
	s_mov_b32 s21, exec_lo
	v_mov_b32_e32 v23, v10
	v_cmpx_gt_u32_e32 8, v12
; %bb.2313:                             ;   in Loop: Header=BB382_1574 Depth=1
	v_ffbh_u32_e32 v5, v10
	v_min_u32_e32 v5, 32, v5
	v_subrev_nc_u32_e32 v12, 28, v5
	v_sub_nc_u32_e32 v5, 29, v5
	v_lshlrev_b64 v[12:13], v12, v[10:11]
	v_and_b32_e32 v23, 7, v12
; %bb.2314:                             ;   in Loop: Header=BB382_1574 Depth=1
	s_or_b32 exec_lo, exec_lo, s21
	v_lshlrev_b32_e32 v10, 16, v20
	v_lshlrev_b32_e32 v12, 20, v23
	v_lshl_add_u32 v5, v5, 23, 0x3c000000
	v_and_b32_e32 v10, 0x80000000, v10
	v_or3_b32 v5, v12, v10, v5
.LBB382_2315:                           ;   in Loop: Header=BB382_1574 Depth=1
	s_or_b32 exec_lo, exec_lo, s20
.LBB382_2316:                           ;   in Loop: Header=BB382_1574 Depth=1
	s_or_b32 exec_lo, exec_lo, s18
.LBB382_2317:                           ;   in Loop: Header=BB382_1574 Depth=1
	s_or_b32 exec_lo, exec_lo, s17
	v_and_b32_sdwa v10, v20, v100 dst_sel:DWORD dst_unused:UNUSED_PAD src0_sel:WORD_1 src1_sel:DWORD
	v_mov_b32_e32 v13, 0
	v_mov_b32_e32 v12, 0
	s_mov_b32 s17, exec_lo
	v_cmpx_ne_u16_e32 0, v10
	s_cbranch_execz .LBB382_2325
; %bb.2318:                             ;   in Loop: Header=BB382_1574 Depth=1
	v_bfrev_b32_e32 v12, 1
	s_mov_b32 s18, exec_lo
	v_cmpx_ne_u16_e32 0x80, v10
	s_cbranch_execz .LBB382_2324
; %bb.2319:                             ;   in Loop: Header=BB382_1574 Depth=1
	v_bfe_u32 v16, v20, 16, 7
	v_mov_b32_e32 v12, 0x7f800001
	s_mov_b32 s20, exec_lo
	v_cmpx_ne_u32_e32 0x7f, v16
	s_cbranch_execz .LBB382_2323
; %bb.2320:                             ;   in Loop: Header=BB382_1574 Depth=1
	v_mov_b32_e32 v10, 7
	v_lshrrev_b32_e32 v12, 3, v16
	s_mov_b32 s21, exec_lo
	v_and_b32_sdwa v10, v20, v10 dst_sel:DWORD dst_unused:UNUSED_PAD src0_sel:WORD_1 src1_sel:DWORD
	v_mov_b32_e32 v24, v11
	v_mov_b32_e32 v23, v10
	v_cmpx_gt_u32_e32 8, v16
; %bb.2321:                             ;   in Loop: Header=BB382_1574 Depth=1
	v_ffbh_u32_e32 v12, v10
	v_min_u32_e32 v12, 32, v12
	v_subrev_nc_u32_e32 v16, 28, v12
	v_sub_nc_u32_e32 v12, 29, v12
	v_lshlrev_b64 v[16:17], v16, v[10:11]
	v_and_b32_e32 v23, 7, v16
; %bb.2322:                             ;   in Loop: Header=BB382_1574 Depth=1
	s_or_b32 exec_lo, exec_lo, s21
	v_mov_b32_e32 v10, 24
	v_lshlrev_b32_e32 v16, 20, v23
	v_lshl_add_u32 v12, v12, 23, 0x3c000000
	v_lshlrev_b32_sdwa v10, v10, v20 dst_sel:DWORD dst_unused:UNUSED_PAD src0_sel:DWORD src1_sel:WORD_1
	v_and_b32_e32 v10, 0x80000000, v10
	v_or3_b32 v12, v16, v10, v12
.LBB382_2323:                           ;   in Loop: Header=BB382_1574 Depth=1
	s_or_b32 exec_lo, exec_lo, s20
.LBB382_2324:                           ;   in Loop: Header=BB382_1574 Depth=1
	s_or_b32 exec_lo, exec_lo, s18
.LBB382_2325:                           ;   in Loop: Header=BB382_1574 Depth=1
	s_or_b32 exec_lo, exec_lo, s17
	s_mov_b32 s17, exec_lo
	v_cmpx_lt_u32_e32 0xffffff, v20
	s_cbranch_execz .LBB382_2333
; %bb.2326:                             ;   in Loop: Header=BB382_1574 Depth=1
	v_cmp_ne_u32_sdwa s4, v20, v98 src0_sel:BYTE_3 src1_sel:DWORD
	v_bfrev_b32_e32 v13, 1
	s_and_saveexec_b32 s18, s4
	s_cbranch_execz .LBB382_2332
; %bb.2327:                             ;   in Loop: Header=BB382_1574 Depth=1
	v_bfe_u32 v16, v20, 24, 7
	v_mov_b32_e32 v13, 0x7f800001
	s_mov_b32 s20, exec_lo
	v_cmpx_ne_u32_e32 0x7f, v16
	s_cbranch_execz .LBB382_2331
; %bb.2328:                             ;   in Loop: Header=BB382_1574 Depth=1
	v_mov_b32_e32 v10, 7
	v_lshrrev_b32_e32 v13, 3, v16
	s_mov_b32 s21, exec_lo
	v_and_b32_sdwa v10, v20, v10 dst_sel:DWORD dst_unused:UNUSED_PAD src0_sel:BYTE_3 src1_sel:DWORD
	v_mov_b32_e32 v24, v11
	v_mov_b32_e32 v23, v10
	v_cmpx_gt_u32_e32 8, v16
; %bb.2329:                             ;   in Loop: Header=BB382_1574 Depth=1
	v_ffbh_u32_e32 v13, v10
	v_min_u32_e32 v13, 32, v13
	v_subrev_nc_u32_e32 v16, 28, v13
	v_sub_nc_u32_e32 v13, 29, v13
	v_lshlrev_b64 v[16:17], v16, v[10:11]
	v_and_b32_e32 v23, 7, v16
; %bb.2330:                             ;   in Loop: Header=BB382_1574 Depth=1
	s_or_b32 exec_lo, exec_lo, s21
	v_mov_b32_e32 v10, 24
	v_lshlrev_b32_e32 v16, 20, v23
	v_lshl_add_u32 v13, v13, 23, 0x3c000000
	v_lshlrev_b32_sdwa v10, v10, v20 dst_sel:DWORD dst_unused:UNUSED_PAD src0_sel:DWORD src1_sel:BYTE_3
	v_and_b32_e32 v10, 0x80000000, v10
	v_or3_b32 v13, v16, v10, v13
.LBB382_2331:                           ;   in Loop: Header=BB382_1574 Depth=1
	s_or_b32 exec_lo, exec_lo, s20
.LBB382_2332:                           ;   in Loop: Header=BB382_1574 Depth=1
	s_or_b32 exec_lo, exec_lo, s18
.LBB382_2333:                           ;   in Loop: Header=BB382_1574 Depth=1
	s_or_b32 exec_lo, exec_lo, s17
	v_mov_b32_e32 v10, v21
	v_cmp_ne_u16_sdwa s4, v21, v11 src0_sel:BYTE_0 src1_sel:DWORD
	v_mov_b32_e32 v25, 0
	v_mov_b32_e32 v22, 0
	s_and_saveexec_b32 s17, s4
	s_cbranch_execz .LBB382_2341
; %bb.2334:                             ;   in Loop: Header=BB382_1574 Depth=1
	v_cmp_ne_u16_sdwa s4, v21, v98 src0_sel:BYTE_0 src1_sel:DWORD
	v_bfrev_b32_e32 v22, 1
	s_and_saveexec_b32 s18, s4
	s_cbranch_execz .LBB382_2340
; %bb.2335:                             ;   in Loop: Header=BB382_1574 Depth=1
	v_and_b32_e32 v17, 0x7f, v21
	v_mov_b32_e32 v22, 0x7f800001
	s_mov_b32 s20, exec_lo
	v_cmpx_ne_u32_e32 0x7f, v17
	s_cbranch_execz .LBB382_2339
; %bb.2336:                             ;   in Loop: Header=BB382_1574 Depth=1
	v_mov_b32_e32 v24, v11
	v_lshrrev_b32_e32 v16, 3, v17
	v_mov_b32_e32 v23, v10
	s_mov_b32 s21, exec_lo
	v_cmpx_gt_u32_e32 8, v17
; %bb.2337:                             ;   in Loop: Header=BB382_1574 Depth=1
	v_and_b32_e32 v16, 7, v21
	v_ffbh_u32_e32 v16, v16
	v_min_u32_e32 v16, 32, v16
	v_subrev_nc_u32_e32 v17, 28, v16
	v_sub_nc_u32_e32 v16, 29, v16
	v_lshlrev_b64 v[23:24], v17, v[10:11]
; %bb.2338:                             ;   in Loop: Header=BB382_1574 Depth=1
	s_or_b32 exec_lo, exec_lo, s21
	v_lshlrev_b32_e32 v17, 20, v23
	v_lshlrev_b32_e32 v22, 24, v10
	v_lshl_add_u32 v16, v16, 23, 0x3c000000
	v_and_b32_e32 v17, 0x700000, v17
	v_and_b32_e32 v22, 0x80000000, v22
	v_or3_b32 v22, v17, v22, v16
.LBB382_2339:                           ;   in Loop: Header=BB382_1574 Depth=1
	s_or_b32 exec_lo, exec_lo, s20
.LBB382_2340:                           ;   in Loop: Header=BB382_1574 Depth=1
	s_or_b32 exec_lo, exec_lo, s18
.LBB382_2341:                           ;   in Loop: Header=BB382_1574 Depth=1
	s_or_b32 exec_lo, exec_lo, s17
	v_cmp_ne_u16_sdwa s4, v10, v11 src0_sel:BYTE_1 src1_sel:DWORD
	s_and_saveexec_b32 s17, s4
	s_cbranch_execz .LBB382_2349
; %bb.2342:                             ;   in Loop: Header=BB382_1574 Depth=1
	v_cmp_ne_u16_sdwa s4, v10, v98 src0_sel:BYTE_1 src1_sel:DWORD
	v_bfrev_b32_e32 v25, 1
	s_and_saveexec_b32 s18, s4
	s_cbranch_execz .LBB382_2348
; %bb.2343:                             ;   in Loop: Header=BB382_1574 Depth=1
	v_mov_b32_e32 v16, 0xffff
	v_mov_b32_e32 v25, 0x7f800001
	s_mov_b32 s20, exec_lo
	v_and_b32_sdwa v16, v16, v10 dst_sel:DWORD dst_unused:UNUSED_PAD src0_sel:DWORD src1_sel:BYTE_1
	v_and_b32_e32 v17, 0x7f, v16
	v_cmpx_ne_u32_e32 0x7f, v17
	s_cbranch_execz .LBB382_2347
; %bb.2344:                             ;   in Loop: Header=BB382_1574 Depth=1
	v_and_b32_e32 v23, 7, v16
	v_mov_b32_e32 v24, v11
	v_lshrrev_b32_e32 v16, 3, v17
	s_mov_b32 s21, exec_lo
	v_cmpx_gt_u32_e32 8, v17
; %bb.2345:                             ;   in Loop: Header=BB382_1574 Depth=1
	v_ffbh_u32_e32 v16, v23
	v_min_u32_e32 v16, 32, v16
	v_subrev_nc_u32_e32 v17, 28, v16
	v_sub_nc_u32_e32 v16, 29, v16
	v_lshlrev_b64 v[23:24], v17, v[23:24]
	v_and_b32_e32 v23, 7, v23
; %bb.2346:                             ;   in Loop: Header=BB382_1574 Depth=1
	s_or_b32 exec_lo, exec_lo, s21
	v_lshlrev_b32_e32 v10, 16, v10
	v_lshlrev_b32_e32 v17, 20, v23
	v_lshl_add_u32 v16, v16, 23, 0x3c000000
	v_and_b32_e32 v10, 0x80000000, v10
	v_or3_b32 v25, v17, v10, v16
.LBB382_2347:                           ;   in Loop: Header=BB382_1574 Depth=1
	s_or_b32 exec_lo, exec_lo, s20
.LBB382_2348:                           ;   in Loop: Header=BB382_1574 Depth=1
	s_or_b32 exec_lo, exec_lo, s18
.LBB382_2349:                           ;   in Loop: Header=BB382_1574 Depth=1
	s_or_b32 exec_lo, exec_lo, s17
	v_and_b32_sdwa v10, v21, v100 dst_sel:DWORD dst_unused:UNUSED_PAD src0_sel:WORD_1 src1_sel:DWORD
	v_mov_b32_e32 v16, 0
	v_mov_b32_e32 v17, 0
	s_mov_b32 s17, exec_lo
	v_cmpx_ne_u16_e32 0, v10
	s_cbranch_execz .LBB382_2357
; %bb.2350:                             ;   in Loop: Header=BB382_1574 Depth=1
	v_bfrev_b32_e32 v17, 1
	s_mov_b32 s18, exec_lo
	v_cmpx_ne_u16_e32 0x80, v10
	s_cbranch_execz .LBB382_2356
; %bb.2351:                             ;   in Loop: Header=BB382_1574 Depth=1
	v_bfe_u32 v23, v21, 16, 7
	v_mov_b32_e32 v17, 0x7f800001
	s_mov_b32 s20, exec_lo
	v_cmpx_ne_u32_e32 0x7f, v23
	s_cbranch_execz .LBB382_2355
; %bb.2352:                             ;   in Loop: Header=BB382_1574 Depth=1
	v_mov_b32_e32 v10, 7
	v_lshrrev_b32_e32 v17, 3, v23
	v_cmp_gt_u32_e64 s4, 8, v23
	v_and_b32_sdwa v10, v21, v10 dst_sel:DWORD dst_unused:UNUSED_PAD src0_sel:WORD_1 src1_sel:DWORD
	v_mov_b32_e32 v24, v11
	v_mov_b32_e32 v23, v10
	s_and_saveexec_b32 s21, s4
; %bb.2353:                             ;   in Loop: Header=BB382_1574 Depth=1
	v_ffbh_u32_e32 v17, v10
	v_min_u32_e32 v17, 32, v17
	v_subrev_nc_u32_e32 v23, 28, v17
	v_sub_nc_u32_e32 v17, 29, v17
	v_lshlrev_b64 v[23:24], v23, v[10:11]
	v_and_b32_e32 v23, 7, v23
; %bb.2354:                             ;   in Loop: Header=BB382_1574 Depth=1
	s_or_b32 exec_lo, exec_lo, s21
	v_mov_b32_e32 v10, 24
	v_lshlrev_b32_e32 v23, 20, v23
	v_lshl_add_u32 v17, v17, 23, 0x3c000000
	v_lshlrev_b32_sdwa v10, v10, v21 dst_sel:DWORD dst_unused:UNUSED_PAD src0_sel:DWORD src1_sel:WORD_1
	v_and_b32_e32 v10, 0x80000000, v10
	v_or3_b32 v17, v23, v10, v17
.LBB382_2355:                           ;   in Loop: Header=BB382_1574 Depth=1
	s_or_b32 exec_lo, exec_lo, s20
.LBB382_2356:                           ;   in Loop: Header=BB382_1574 Depth=1
	s_or_b32 exec_lo, exec_lo, s18
.LBB382_2357:                           ;   in Loop: Header=BB382_1574 Depth=1
	s_or_b32 exec_lo, exec_lo, s17
	s_mov_b32 s17, exec_lo
	v_cmpx_lt_u64_e64 s[12:13], v[20:21]
	s_cbranch_execz .LBB382_2365
; %bb.2358:                             ;   in Loop: Header=BB382_1574 Depth=1
	v_cmp_ne_u32_sdwa s4, v21, v98 src0_sel:BYTE_3 src1_sel:DWORD
	v_bfrev_b32_e32 v16, 1
	s_and_saveexec_b32 s18, s4
	s_cbranch_execz .LBB382_2364
; %bb.2359:                             ;   in Loop: Header=BB382_1574 Depth=1
	v_bfe_u32 v20, v21, 24, 7
	v_mov_b32_e32 v16, 0x7f800001
	s_mov_b32 s20, exec_lo
	v_cmpx_ne_u32_e32 0x7f, v20
	s_cbranch_execz .LBB382_2363
; %bb.2360:                             ;   in Loop: Header=BB382_1574 Depth=1
	v_mov_b32_e32 v10, 7
	v_lshrrev_b32_e32 v16, 3, v20
	s_mov_b32 s21, exec_lo
	v_and_b32_sdwa v10, v21, v10 dst_sel:DWORD dst_unused:UNUSED_PAD src0_sel:BYTE_3 src1_sel:DWORD
	v_mov_b32_e32 v24, v11
	v_mov_b32_e32 v23, v10
	v_cmpx_gt_u32_e32 8, v20
; %bb.2361:                             ;   in Loop: Header=BB382_1574 Depth=1
	v_ffbh_u32_e32 v16, v10
	v_min_u32_e32 v16, 32, v16
	v_subrev_nc_u32_e32 v20, 28, v16
	v_sub_nc_u32_e32 v16, 29, v16
	v_lshlrev_b64 v[23:24], v20, v[10:11]
	v_and_b32_e32 v23, 7, v23
; %bb.2362:                             ;   in Loop: Header=BB382_1574 Depth=1
	s_or_b32 exec_lo, exec_lo, s21
	v_mov_b32_e32 v10, 24
	v_lshlrev_b32_e32 v20, 20, v23
	v_lshl_add_u32 v16, v16, 23, 0x3c000000
	v_lshlrev_b32_sdwa v10, v10, v21 dst_sel:DWORD dst_unused:UNUSED_PAD src0_sel:DWORD src1_sel:BYTE_3
	v_and_b32_e32 v10, 0x80000000, v10
	v_or3_b32 v16, v20, v10, v16
.LBB382_2363:                           ;   in Loop: Header=BB382_1574 Depth=1
	s_or_b32 exec_lo, exec_lo, s20
.LBB382_2364:                           ;   in Loop: Header=BB382_1574 Depth=1
	s_or_b32 exec_lo, exec_lo, s18
.LBB382_2365:                           ;   in Loop: Header=BB382_1574 Depth=1
	s_or_b32 exec_lo, exec_lo, s17
	v_mul_f32_e32 v10, v106, v25
	v_mul_f32_e32 v5, v106, v5
	;; [unrolled: 1-line block ×3, first 2 shown]
	v_bfe_u32 v20, v10, 16, 1
	v_or_b32_e32 v21, 0x400000, v10
	v_cmp_u_f32_e64 s4, v10, v10
	v_add3_u32 v20, v20, v10, 0x7fff
	v_cndmask_b32_e64 v10, v20, v21, s4
	v_lshrrev_b32_e32 v10, 16, v10
	buffer_store_dword v10, off, s[0:3], s32 offset:584 ; 4-byte Folded Spill
	v_mul_f32_e32 v10, v106, v22
	v_bfe_u32 v20, v10, 16, 1
	v_or_b32_e32 v21, 0x400000, v10
	v_cmp_u_f32_e64 s4, v10, v10
	v_add3_u32 v20, v20, v10, 0x7fff
	v_cndmask_b32_e64 v10, v20, v21, s4
	v_lshrrev_b32_e32 v10, 16, v10
	buffer_store_dword v10, off, s[0:3], s32 offset:588 ; 4-byte Folded Spill
	v_mul_f32_e32 v10, v106, v13
	v_bfe_u32 v13, v10, 16, 1
	v_or_b32_e32 v20, 0x400000, v10
	v_cmp_u_f32_e64 s4, v10, v10
	v_add3_u32 v13, v13, v10, 0x7fff
	v_cndmask_b32_e64 v10, v13, v20, s4
	v_lshrrev_b32_e32 v10, 16, v10
	buffer_store_dword v10, off, s[0:3], s32 offset:592 ; 4-byte Folded Spill
	v_mul_f32_e32 v10, v106, v12
	v_bfe_u32 v12, v10, 16, 1
	v_or_b32_e32 v13, 0x400000, v10
	v_cmp_u_f32_e64 s4, v10, v10
	v_add3_u32 v12, v12, v10, 0x7fff
	v_cndmask_b32_e64 v10, v12, v13, s4
	v_or_b32_e32 v12, 0x400000, v5
	v_cmp_u_f32_e64 s4, v5, v5
	v_lshrrev_b32_e32 v10, 16, v10
	buffer_store_dword v10, off, s[0:3], s32 offset:596 ; 4-byte Folded Spill
	v_bfe_u32 v10, v5, 16, 1
	v_add3_u32 v10, v10, v5, 0x7fff
	v_cndmask_b32_e64 v5, v10, v12, s4
	v_or_b32_e32 v10, 0x400000, v4
	v_cmp_u_f32_e64 s4, v4, v4
	v_lshrrev_b32_e32 v5, 16, v5
	buffer_store_dword v5, off, s[0:3], s32 offset:604 ; 4-byte Folded Spill
	v_bfe_u32 v5, v4, 16, 1
	v_add3_u32 v5, v5, v4, 0x7fff
	v_cndmask_b32_e64 v4, v5, v10, s4
	v_lshrrev_b32_e32 v117, 16, v4
	v_mul_f32_e32 v4, v106, v17
	v_bfe_u32 v5, v4, 16, 1
	v_or_b32_e32 v10, 0x400000, v4
	v_cmp_u_f32_e64 s4, v4, v4
	v_add3_u32 v5, v5, v4, 0x7fff
	v_cndmask_b32_e64 v4, v5, v10, s4
	v_lshrrev_b32_e32 v4, 16, v4
	buffer_store_dword v4, off, s[0:3], s32 offset:600 ; 4-byte Folded Spill
	v_mul_f32_e32 v4, v106, v16
	v_bfe_u32 v5, v4, 16, 1
	v_or_b32_e32 v10, 0x400000, v4
	v_cmp_u_f32_e64 s4, v4, v4
	v_add3_u32 v5, v5, v4, 0x7fff
	v_cndmask_b32_e64 v4, v5, v10, s4
	v_lshrrev_b32_e32 v118, 16, v4
	s_and_saveexec_b32 s17, vcc_lo
	s_cbranch_execz .LBB382_2367
; %bb.2366:                             ;   in Loop: Header=BB382_1574 Depth=1
	buffer_load_dword v4, off, s[0:3], s32 offset:604 ; 4-byte Folded Reload
	v_cmp_lt_i32_e64 s4, v105, v92
	v_cndmask_b32_e64 v117, 0, v117, s4
	v_cmp_lt_i32_e64 s4, v126, v92
	s_waitcnt vmcnt(0)
	v_cndmask_b32_e64 v4, 0, v4, s4
	v_cmp_lt_i32_e64 s4, v125, v92
	buffer_store_dword v4, off, s[0:3], s32 offset:604 ; 4-byte Folded Spill
	buffer_load_dword v4, off, s[0:3], s32 offset:596 ; 4-byte Folded Reload
	s_waitcnt vmcnt(0)
	v_cndmask_b32_e64 v4, 0, v4, s4
	v_cmp_lt_i32_e64 s4, v124, v92
	buffer_store_dword v4, off, s[0:3], s32 offset:596 ; 4-byte Folded Spill
	buffer_load_dword v4, off, s[0:3], s32 offset:592 ; 4-byte Folded Reload
	;; [unrolled: 5-line block ×5, first 2 shown]
	s_waitcnt vmcnt(0)
	v_cndmask_b32_e64 v4, 0, v4, s4
	v_cmp_lt_i32_e64 s4, v120, v92
	buffer_store_dword v4, off, s[0:3], s32 offset:600 ; 4-byte Folded Spill
	v_cndmask_b32_e64 v118, 0, v118, s4
.LBB382_2367:                           ;   in Loop: Header=BB382_1574 Depth=1
	s_or_b32 exec_lo, exec_lo, s17
	flat_load_dwordx2 v[20:21], v[18:19] offset:1024
	v_mov_b32_e32 v5, 0
	v_mov_b32_e32 v4, 0
	s_waitcnt vmcnt(0) lgkmcnt(0)
	v_cmp_ne_u16_sdwa s4, v20, v11 src0_sel:BYTE_0 src1_sel:DWORD
	s_and_saveexec_b32 s17, s4
	s_cbranch_execz .LBB382_2375
; %bb.2368:                             ;   in Loop: Header=BB382_1574 Depth=1
	v_cmp_ne_u16_sdwa s4, v20, v98 src0_sel:BYTE_0 src1_sel:DWORD
	v_bfrev_b32_e32 v4, 1
	s_and_saveexec_b32 s18, s4
	s_cbranch_execz .LBB382_2374
; %bb.2369:                             ;   in Loop: Header=BB382_1574 Depth=1
	v_and_b32_e32 v10, 0x7f, v20
	v_mov_b32_e32 v4, 0x7f800001
	s_mov_b32 s20, exec_lo
	v_cmpx_ne_u32_e32 0x7f, v10
	s_cbranch_execz .LBB382_2373
; %bb.2370:                             ;   in Loop: Header=BB382_1574 Depth=1
	v_mov_b32_e32 v24, v21
	v_lshrrev_b32_e32 v4, 3, v10
	v_mov_b32_e32 v23, v20
	s_mov_b32 s21, exec_lo
	v_cmpx_gt_u32_e32 8, v10
; %bb.2371:                             ;   in Loop: Header=BB382_1574 Depth=1
	v_and_b32_e32 v4, 7, v20
	v_ffbh_u32_e32 v4, v4
	v_min_u32_e32 v4, 32, v4
	v_subrev_nc_u32_e32 v10, 28, v4
	v_sub_nc_u32_e32 v4, 29, v4
	v_lshlrev_b64 v[23:24], v10, v[20:21]
; %bb.2372:                             ;   in Loop: Header=BB382_1574 Depth=1
	s_or_b32 exec_lo, exec_lo, s21
	v_lshlrev_b32_e32 v10, 20, v23
	v_lshlrev_b32_e32 v12, 24, v20
	v_lshl_add_u32 v4, v4, 23, 0x3c000000
	v_and_b32_e32 v10, 0x700000, v10
	v_and_b32_e32 v12, 0x80000000, v12
	v_or3_b32 v4, v10, v12, v4
.LBB382_2373:                           ;   in Loop: Header=BB382_1574 Depth=1
	s_or_b32 exec_lo, exec_lo, s20
.LBB382_2374:                           ;   in Loop: Header=BB382_1574 Depth=1
	s_or_b32 exec_lo, exec_lo, s18
.LBB382_2375:                           ;   in Loop: Header=BB382_1574 Depth=1
	s_or_b32 exec_lo, exec_lo, s17
	v_cmp_ne_u16_sdwa s4, v20, v11 src0_sel:BYTE_1 src1_sel:DWORD
	s_and_saveexec_b32 s17, s4
	s_cbranch_execz .LBB382_2383
; %bb.2376:                             ;   in Loop: Header=BB382_1574 Depth=1
	v_cmp_ne_u16_sdwa s4, v20, v98 src0_sel:BYTE_1 src1_sel:DWORD
	v_bfrev_b32_e32 v5, 1
	s_and_saveexec_b32 s18, s4
	s_cbranch_execz .LBB382_2382
; %bb.2377:                             ;   in Loop: Header=BB382_1574 Depth=1
	v_mov_b32_e32 v5, 0xffff
	s_mov_b32 s20, exec_lo
	v_and_b32_sdwa v10, v5, v20 dst_sel:DWORD dst_unused:UNUSED_PAD src0_sel:DWORD src1_sel:BYTE_1
	v_mov_b32_e32 v5, 0x7f800001
	v_and_b32_e32 v12, 0x7f, v10
	v_cmpx_ne_u32_e32 0x7f, v12
	s_cbranch_execz .LBB382_2381
; %bb.2378:                             ;   in Loop: Header=BB382_1574 Depth=1
	v_and_b32_e32 v10, 7, v10
	v_mov_b32_e32 v24, v11
	v_lshrrev_b32_e32 v5, 3, v12
	s_mov_b32 s21, exec_lo
	v_mov_b32_e32 v23, v10
	v_cmpx_gt_u32_e32 8, v12
; %bb.2379:                             ;   in Loop: Header=BB382_1574 Depth=1
	v_ffbh_u32_e32 v5, v10
	v_min_u32_e32 v5, 32, v5
	v_subrev_nc_u32_e32 v12, 28, v5
	v_sub_nc_u32_e32 v5, 29, v5
	v_lshlrev_b64 v[12:13], v12, v[10:11]
	v_and_b32_e32 v23, 7, v12
; %bb.2380:                             ;   in Loop: Header=BB382_1574 Depth=1
	s_or_b32 exec_lo, exec_lo, s21
	v_lshlrev_b32_e32 v10, 16, v20
	v_lshlrev_b32_e32 v12, 20, v23
	v_lshl_add_u32 v5, v5, 23, 0x3c000000
	v_and_b32_e32 v10, 0x80000000, v10
	v_or3_b32 v5, v12, v10, v5
.LBB382_2381:                           ;   in Loop: Header=BB382_1574 Depth=1
	s_or_b32 exec_lo, exec_lo, s20
.LBB382_2382:                           ;   in Loop: Header=BB382_1574 Depth=1
	s_or_b32 exec_lo, exec_lo, s18
.LBB382_2383:                           ;   in Loop: Header=BB382_1574 Depth=1
	s_or_b32 exec_lo, exec_lo, s17
	v_and_b32_sdwa v10, v20, v100 dst_sel:DWORD dst_unused:UNUSED_PAD src0_sel:WORD_1 src1_sel:DWORD
	v_mov_b32_e32 v13, 0
	v_mov_b32_e32 v12, 0
	s_mov_b32 s17, exec_lo
	v_cmpx_ne_u16_e32 0, v10
	s_cbranch_execz .LBB382_2391
; %bb.2384:                             ;   in Loop: Header=BB382_1574 Depth=1
	v_bfrev_b32_e32 v12, 1
	s_mov_b32 s18, exec_lo
	v_cmpx_ne_u16_e32 0x80, v10
	s_cbranch_execz .LBB382_2390
; %bb.2385:                             ;   in Loop: Header=BB382_1574 Depth=1
	v_bfe_u32 v16, v20, 16, 7
	v_mov_b32_e32 v12, 0x7f800001
	s_mov_b32 s20, exec_lo
	v_cmpx_ne_u32_e32 0x7f, v16
	s_cbranch_execz .LBB382_2389
; %bb.2386:                             ;   in Loop: Header=BB382_1574 Depth=1
	v_mov_b32_e32 v10, 7
	v_lshrrev_b32_e32 v12, 3, v16
	s_mov_b32 s21, exec_lo
	v_and_b32_sdwa v10, v20, v10 dst_sel:DWORD dst_unused:UNUSED_PAD src0_sel:WORD_1 src1_sel:DWORD
	v_mov_b32_e32 v24, v11
	v_mov_b32_e32 v23, v10
	v_cmpx_gt_u32_e32 8, v16
; %bb.2387:                             ;   in Loop: Header=BB382_1574 Depth=1
	v_ffbh_u32_e32 v12, v10
	v_min_u32_e32 v12, 32, v12
	v_subrev_nc_u32_e32 v16, 28, v12
	v_sub_nc_u32_e32 v12, 29, v12
	v_lshlrev_b64 v[16:17], v16, v[10:11]
	v_and_b32_e32 v23, 7, v16
; %bb.2388:                             ;   in Loop: Header=BB382_1574 Depth=1
	s_or_b32 exec_lo, exec_lo, s21
	v_mov_b32_e32 v10, 24
	v_lshlrev_b32_e32 v16, 20, v23
	v_lshl_add_u32 v12, v12, 23, 0x3c000000
	v_lshlrev_b32_sdwa v10, v10, v20 dst_sel:DWORD dst_unused:UNUSED_PAD src0_sel:DWORD src1_sel:WORD_1
	v_and_b32_e32 v10, 0x80000000, v10
	v_or3_b32 v12, v16, v10, v12
.LBB382_2389:                           ;   in Loop: Header=BB382_1574 Depth=1
	s_or_b32 exec_lo, exec_lo, s20
.LBB382_2390:                           ;   in Loop: Header=BB382_1574 Depth=1
	s_or_b32 exec_lo, exec_lo, s18
.LBB382_2391:                           ;   in Loop: Header=BB382_1574 Depth=1
	s_or_b32 exec_lo, exec_lo, s17
	s_mov_b32 s17, exec_lo
	v_cmpx_lt_u32_e32 0xffffff, v20
	s_cbranch_execz .LBB382_2399
; %bb.2392:                             ;   in Loop: Header=BB382_1574 Depth=1
	v_cmp_ne_u32_sdwa s4, v20, v98 src0_sel:BYTE_3 src1_sel:DWORD
	v_bfrev_b32_e32 v13, 1
	s_and_saveexec_b32 s18, s4
	s_cbranch_execz .LBB382_2398
; %bb.2393:                             ;   in Loop: Header=BB382_1574 Depth=1
	v_bfe_u32 v16, v20, 24, 7
	v_mov_b32_e32 v13, 0x7f800001
	s_mov_b32 s20, exec_lo
	v_cmpx_ne_u32_e32 0x7f, v16
	s_cbranch_execz .LBB382_2397
; %bb.2394:                             ;   in Loop: Header=BB382_1574 Depth=1
	v_mov_b32_e32 v10, 7
	v_lshrrev_b32_e32 v13, 3, v16
	s_mov_b32 s21, exec_lo
	v_and_b32_sdwa v10, v20, v10 dst_sel:DWORD dst_unused:UNUSED_PAD src0_sel:BYTE_3 src1_sel:DWORD
	v_mov_b32_e32 v24, v11
	v_mov_b32_e32 v23, v10
	v_cmpx_gt_u32_e32 8, v16
; %bb.2395:                             ;   in Loop: Header=BB382_1574 Depth=1
	v_ffbh_u32_e32 v13, v10
	v_min_u32_e32 v13, 32, v13
	v_subrev_nc_u32_e32 v16, 28, v13
	v_sub_nc_u32_e32 v13, 29, v13
	v_lshlrev_b64 v[16:17], v16, v[10:11]
	v_and_b32_e32 v23, 7, v16
; %bb.2396:                             ;   in Loop: Header=BB382_1574 Depth=1
	s_or_b32 exec_lo, exec_lo, s21
	v_mov_b32_e32 v10, 24
	v_lshlrev_b32_e32 v16, 20, v23
	v_lshl_add_u32 v13, v13, 23, 0x3c000000
	v_lshlrev_b32_sdwa v10, v10, v20 dst_sel:DWORD dst_unused:UNUSED_PAD src0_sel:DWORD src1_sel:BYTE_3
	v_and_b32_e32 v10, 0x80000000, v10
	v_or3_b32 v13, v16, v10, v13
.LBB382_2397:                           ;   in Loop: Header=BB382_1574 Depth=1
	s_or_b32 exec_lo, exec_lo, s20
.LBB382_2398:                           ;   in Loop: Header=BB382_1574 Depth=1
	s_or_b32 exec_lo, exec_lo, s18
.LBB382_2399:                           ;   in Loop: Header=BB382_1574 Depth=1
	s_or_b32 exec_lo, exec_lo, s17
	v_mov_b32_e32 v10, v21
	v_cmp_ne_u16_sdwa s4, v21, v11 src0_sel:BYTE_0 src1_sel:DWORD
	v_mov_b32_e32 v25, 0
	v_mov_b32_e32 v22, 0
	s_and_saveexec_b32 s17, s4
	s_cbranch_execz .LBB382_2407
; %bb.2400:                             ;   in Loop: Header=BB382_1574 Depth=1
	v_cmp_ne_u16_sdwa s4, v21, v98 src0_sel:BYTE_0 src1_sel:DWORD
	v_bfrev_b32_e32 v22, 1
	s_and_saveexec_b32 s18, s4
	s_cbranch_execz .LBB382_2406
; %bb.2401:                             ;   in Loop: Header=BB382_1574 Depth=1
	v_and_b32_e32 v17, 0x7f, v21
	v_mov_b32_e32 v22, 0x7f800001
	s_mov_b32 s20, exec_lo
	v_cmpx_ne_u32_e32 0x7f, v17
	s_cbranch_execz .LBB382_2405
; %bb.2402:                             ;   in Loop: Header=BB382_1574 Depth=1
	v_mov_b32_e32 v24, v11
	v_lshrrev_b32_e32 v16, 3, v17
	v_mov_b32_e32 v23, v10
	s_mov_b32 s21, exec_lo
	v_cmpx_gt_u32_e32 8, v17
; %bb.2403:                             ;   in Loop: Header=BB382_1574 Depth=1
	v_and_b32_e32 v16, 7, v21
	v_ffbh_u32_e32 v16, v16
	v_min_u32_e32 v16, 32, v16
	v_subrev_nc_u32_e32 v17, 28, v16
	v_sub_nc_u32_e32 v16, 29, v16
	v_lshlrev_b64 v[23:24], v17, v[10:11]
; %bb.2404:                             ;   in Loop: Header=BB382_1574 Depth=1
	s_or_b32 exec_lo, exec_lo, s21
	v_lshlrev_b32_e32 v17, 20, v23
	v_lshlrev_b32_e32 v22, 24, v10
	v_lshl_add_u32 v16, v16, 23, 0x3c000000
	v_and_b32_e32 v17, 0x700000, v17
	v_and_b32_e32 v22, 0x80000000, v22
	v_or3_b32 v22, v17, v22, v16
.LBB382_2405:                           ;   in Loop: Header=BB382_1574 Depth=1
	s_or_b32 exec_lo, exec_lo, s20
.LBB382_2406:                           ;   in Loop: Header=BB382_1574 Depth=1
	s_or_b32 exec_lo, exec_lo, s18
.LBB382_2407:                           ;   in Loop: Header=BB382_1574 Depth=1
	s_or_b32 exec_lo, exec_lo, s17
	v_cmp_ne_u16_sdwa s4, v10, v11 src0_sel:BYTE_1 src1_sel:DWORD
	s_and_saveexec_b32 s17, s4
	s_cbranch_execz .LBB382_2415
; %bb.2408:                             ;   in Loop: Header=BB382_1574 Depth=1
	v_cmp_ne_u16_sdwa s4, v10, v98 src0_sel:BYTE_1 src1_sel:DWORD
	v_bfrev_b32_e32 v25, 1
	s_and_saveexec_b32 s18, s4
	s_cbranch_execz .LBB382_2414
; %bb.2409:                             ;   in Loop: Header=BB382_1574 Depth=1
	v_mov_b32_e32 v16, 0xffff
	v_mov_b32_e32 v25, 0x7f800001
	s_mov_b32 s20, exec_lo
	v_and_b32_sdwa v16, v16, v10 dst_sel:DWORD dst_unused:UNUSED_PAD src0_sel:DWORD src1_sel:BYTE_1
	v_and_b32_e32 v17, 0x7f, v16
	v_cmpx_ne_u32_e32 0x7f, v17
	s_cbranch_execz .LBB382_2413
; %bb.2410:                             ;   in Loop: Header=BB382_1574 Depth=1
	v_and_b32_e32 v23, 7, v16
	v_mov_b32_e32 v24, v11
	v_lshrrev_b32_e32 v16, 3, v17
	s_mov_b32 s21, exec_lo
	v_cmpx_gt_u32_e32 8, v17
; %bb.2411:                             ;   in Loop: Header=BB382_1574 Depth=1
	v_ffbh_u32_e32 v16, v23
	v_min_u32_e32 v16, 32, v16
	v_subrev_nc_u32_e32 v17, 28, v16
	v_sub_nc_u32_e32 v16, 29, v16
	v_lshlrev_b64 v[23:24], v17, v[23:24]
	v_and_b32_e32 v23, 7, v23
; %bb.2412:                             ;   in Loop: Header=BB382_1574 Depth=1
	s_or_b32 exec_lo, exec_lo, s21
	v_lshlrev_b32_e32 v10, 16, v10
	v_lshlrev_b32_e32 v17, 20, v23
	v_lshl_add_u32 v16, v16, 23, 0x3c000000
	v_and_b32_e32 v10, 0x80000000, v10
	v_or3_b32 v25, v17, v10, v16
.LBB382_2413:                           ;   in Loop: Header=BB382_1574 Depth=1
	s_or_b32 exec_lo, exec_lo, s20
.LBB382_2414:                           ;   in Loop: Header=BB382_1574 Depth=1
	s_or_b32 exec_lo, exec_lo, s18
.LBB382_2415:                           ;   in Loop: Header=BB382_1574 Depth=1
	s_or_b32 exec_lo, exec_lo, s17
	v_and_b32_sdwa v10, v21, v100 dst_sel:DWORD dst_unused:UNUSED_PAD src0_sel:WORD_1 src1_sel:DWORD
	v_mov_b32_e32 v16, 0
	v_mov_b32_e32 v17, 0
	s_mov_b32 s17, exec_lo
	v_cmpx_ne_u16_e32 0, v10
	s_cbranch_execz .LBB382_2423
; %bb.2416:                             ;   in Loop: Header=BB382_1574 Depth=1
	v_bfrev_b32_e32 v17, 1
	s_mov_b32 s18, exec_lo
	v_cmpx_ne_u16_e32 0x80, v10
	s_cbranch_execz .LBB382_2422
; %bb.2417:                             ;   in Loop: Header=BB382_1574 Depth=1
	v_bfe_u32 v23, v21, 16, 7
	v_mov_b32_e32 v17, 0x7f800001
	s_mov_b32 s20, exec_lo
	v_cmpx_ne_u32_e32 0x7f, v23
	s_cbranch_execz .LBB382_2421
; %bb.2418:                             ;   in Loop: Header=BB382_1574 Depth=1
	v_mov_b32_e32 v10, 7
	v_lshrrev_b32_e32 v17, 3, v23
	v_cmp_gt_u32_e64 s4, 8, v23
	v_and_b32_sdwa v10, v21, v10 dst_sel:DWORD dst_unused:UNUSED_PAD src0_sel:WORD_1 src1_sel:DWORD
	v_mov_b32_e32 v24, v11
	v_mov_b32_e32 v23, v10
	s_and_saveexec_b32 s21, s4
; %bb.2419:                             ;   in Loop: Header=BB382_1574 Depth=1
	v_ffbh_u32_e32 v17, v10
	v_min_u32_e32 v17, 32, v17
	v_subrev_nc_u32_e32 v23, 28, v17
	v_sub_nc_u32_e32 v17, 29, v17
	v_lshlrev_b64 v[23:24], v23, v[10:11]
	v_and_b32_e32 v23, 7, v23
; %bb.2420:                             ;   in Loop: Header=BB382_1574 Depth=1
	s_or_b32 exec_lo, exec_lo, s21
	v_mov_b32_e32 v10, 24
	v_lshlrev_b32_e32 v23, 20, v23
	v_lshl_add_u32 v17, v17, 23, 0x3c000000
	v_lshlrev_b32_sdwa v10, v10, v21 dst_sel:DWORD dst_unused:UNUSED_PAD src0_sel:DWORD src1_sel:WORD_1
	v_and_b32_e32 v10, 0x80000000, v10
	v_or3_b32 v17, v23, v10, v17
.LBB382_2421:                           ;   in Loop: Header=BB382_1574 Depth=1
	s_or_b32 exec_lo, exec_lo, s20
.LBB382_2422:                           ;   in Loop: Header=BB382_1574 Depth=1
	s_or_b32 exec_lo, exec_lo, s18
.LBB382_2423:                           ;   in Loop: Header=BB382_1574 Depth=1
	s_or_b32 exec_lo, exec_lo, s17
	s_mov_b32 s17, exec_lo
	v_cmpx_lt_u64_e64 s[12:13], v[20:21]
	s_cbranch_execz .LBB382_2431
; %bb.2424:                             ;   in Loop: Header=BB382_1574 Depth=1
	v_cmp_ne_u32_sdwa s4, v21, v98 src0_sel:BYTE_3 src1_sel:DWORD
	v_bfrev_b32_e32 v16, 1
	s_and_saveexec_b32 s18, s4
	s_cbranch_execz .LBB382_2430
; %bb.2425:                             ;   in Loop: Header=BB382_1574 Depth=1
	v_bfe_u32 v20, v21, 24, 7
	v_mov_b32_e32 v16, 0x7f800001
	s_mov_b32 s20, exec_lo
	v_cmpx_ne_u32_e32 0x7f, v20
	s_cbranch_execz .LBB382_2429
; %bb.2426:                             ;   in Loop: Header=BB382_1574 Depth=1
	v_mov_b32_e32 v10, 7
	v_lshrrev_b32_e32 v16, 3, v20
	s_mov_b32 s21, exec_lo
	v_and_b32_sdwa v10, v21, v10 dst_sel:DWORD dst_unused:UNUSED_PAD src0_sel:BYTE_3 src1_sel:DWORD
	v_mov_b32_e32 v24, v11
	v_mov_b32_e32 v23, v10
	v_cmpx_gt_u32_e32 8, v20
; %bb.2427:                             ;   in Loop: Header=BB382_1574 Depth=1
	v_ffbh_u32_e32 v16, v10
	v_min_u32_e32 v16, 32, v16
	v_subrev_nc_u32_e32 v20, 28, v16
	v_sub_nc_u32_e32 v16, 29, v16
	v_lshlrev_b64 v[23:24], v20, v[10:11]
	v_and_b32_e32 v23, 7, v23
; %bb.2428:                             ;   in Loop: Header=BB382_1574 Depth=1
	s_or_b32 exec_lo, exec_lo, s21
	v_mov_b32_e32 v10, 24
	v_lshlrev_b32_e32 v20, 20, v23
	v_lshl_add_u32 v16, v16, 23, 0x3c000000
	v_lshlrev_b32_sdwa v10, v10, v21 dst_sel:DWORD dst_unused:UNUSED_PAD src0_sel:DWORD src1_sel:BYTE_3
	v_and_b32_e32 v10, 0x80000000, v10
	v_or3_b32 v16, v20, v10, v16
.LBB382_2429:                           ;   in Loop: Header=BB382_1574 Depth=1
	s_or_b32 exec_lo, exec_lo, s20
.LBB382_2430:                           ;   in Loop: Header=BB382_1574 Depth=1
	s_or_b32 exec_lo, exec_lo, s18
.LBB382_2431:                           ;   in Loop: Header=BB382_1574 Depth=1
	s_or_b32 exec_lo, exec_lo, s17
	v_mul_f32_e32 v10, v106, v25
	v_mul_f32_e32 v5, v106, v5
	;; [unrolled: 1-line block ×3, first 2 shown]
	v_bfe_u32 v20, v10, 16, 1
	v_or_b32_e32 v21, 0x400000, v10
	v_cmp_u_f32_e64 s4, v10, v10
	v_add3_u32 v20, v20, v10, 0x7fff
	v_cndmask_b32_e64 v10, v20, v21, s4
	v_lshrrev_b32_e32 v119, 16, v10
	v_mul_f32_e32 v10, v106, v22
	v_bfe_u32 v20, v10, 16, 1
	v_or_b32_e32 v21, 0x400000, v10
	v_cmp_u_f32_e64 s4, v10, v10
	v_add3_u32 v20, v20, v10, 0x7fff
	v_cndmask_b32_e64 v10, v20, v21, s4
	v_lshrrev_b32_e32 v40, 16, v10
	v_mul_f32_e32 v10, v106, v13
	;; [unrolled: 7-line block ×3, first 2 shown]
	v_bfe_u32 v12, v10, 16, 1
	v_or_b32_e32 v13, 0x400000, v10
	v_cmp_u_f32_e64 s4, v10, v10
	v_add3_u32 v12, v12, v10, 0x7fff
	v_cndmask_b32_e64 v10, v12, v13, s4
	v_or_b32_e32 v12, 0x400000, v5
	v_cmp_u_f32_e64 s4, v5, v5
	v_lshrrev_b32_e32 v42, 16, v10
	v_bfe_u32 v10, v5, 16, 1
	v_add3_u32 v10, v10, v5, 0x7fff
	v_cndmask_b32_e64 v5, v10, v12, s4
	v_or_b32_e32 v10, 0x400000, v4
	v_cmp_u_f32_e64 s4, v4, v4
	v_lshrrev_b32_e32 v44, 16, v5
	v_bfe_u32 v5, v4, 16, 1
	v_add3_u32 v5, v5, v4, 0x7fff
	v_cndmask_b32_e64 v4, v5, v10, s4
	v_lshrrev_b32_e32 v45, 16, v4
	v_mul_f32_e32 v4, v106, v17
	v_bfe_u32 v5, v4, 16, 1
	v_or_b32_e32 v10, 0x400000, v4
	v_cmp_u_f32_e64 s4, v4, v4
	v_add3_u32 v5, v5, v4, 0x7fff
	v_cndmask_b32_e64 v4, v5, v10, s4
	v_lshrrev_b32_e32 v43, 16, v4
	v_mul_f32_e32 v4, v106, v16
	v_bfe_u32 v5, v4, 16, 1
	v_or_b32_e32 v10, 0x400000, v4
	v_cmp_u_f32_e64 s4, v4, v4
	v_add3_u32 v5, v5, v4, 0x7fff
	v_cndmask_b32_e64 v4, v5, v10, s4
	v_lshrrev_b32_e32 v46, 16, v4
	s_and_saveexec_b32 s17, vcc_lo
	s_cbranch_execz .LBB382_2433
; %bb.2432:                             ;   in Loop: Header=BB382_1574 Depth=1
	v_cmp_lt_i32_e64 s4, v105, v92
	v_cndmask_b32_e64 v45, 0, v45, s4
	v_cmp_lt_i32_e64 s4, v126, v92
	v_cndmask_b32_e64 v44, 0, v44, s4
	;; [unrolled: 2-line block ×8, first 2 shown]
.LBB382_2433:                           ;   in Loop: Header=BB382_1574 Depth=1
	s_or_b32 exec_lo, exec_lo, s17
	flat_load_dwordx2 v[20:21], v[18:19] offset:1280
	v_mov_b32_e32 v5, 0
	v_mov_b32_e32 v4, 0
	s_waitcnt vmcnt(0) lgkmcnt(0)
	v_cmp_ne_u16_sdwa s4, v20, v11 src0_sel:BYTE_0 src1_sel:DWORD
	s_and_saveexec_b32 s17, s4
	s_cbranch_execz .LBB382_2441
; %bb.2434:                             ;   in Loop: Header=BB382_1574 Depth=1
	v_cmp_ne_u16_sdwa s4, v20, v98 src0_sel:BYTE_0 src1_sel:DWORD
	v_bfrev_b32_e32 v4, 1
	s_and_saveexec_b32 s18, s4
	s_cbranch_execz .LBB382_2440
; %bb.2435:                             ;   in Loop: Header=BB382_1574 Depth=1
	v_and_b32_e32 v10, 0x7f, v20
	v_mov_b32_e32 v4, 0x7f800001
	s_mov_b32 s20, exec_lo
	v_cmpx_ne_u32_e32 0x7f, v10
	s_cbranch_execz .LBB382_2439
; %bb.2436:                             ;   in Loop: Header=BB382_1574 Depth=1
	v_mov_b32_e32 v24, v21
	v_lshrrev_b32_e32 v4, 3, v10
	v_mov_b32_e32 v23, v20
	s_mov_b32 s21, exec_lo
	v_cmpx_gt_u32_e32 8, v10
; %bb.2437:                             ;   in Loop: Header=BB382_1574 Depth=1
	v_and_b32_e32 v4, 7, v20
	v_ffbh_u32_e32 v4, v4
	v_min_u32_e32 v4, 32, v4
	v_subrev_nc_u32_e32 v10, 28, v4
	v_sub_nc_u32_e32 v4, 29, v4
	v_lshlrev_b64 v[23:24], v10, v[20:21]
; %bb.2438:                             ;   in Loop: Header=BB382_1574 Depth=1
	s_or_b32 exec_lo, exec_lo, s21
	v_lshlrev_b32_e32 v10, 20, v23
	v_lshlrev_b32_e32 v12, 24, v20
	v_lshl_add_u32 v4, v4, 23, 0x3c000000
	v_and_b32_e32 v10, 0x700000, v10
	v_and_b32_e32 v12, 0x80000000, v12
	v_or3_b32 v4, v10, v12, v4
.LBB382_2439:                           ;   in Loop: Header=BB382_1574 Depth=1
	s_or_b32 exec_lo, exec_lo, s20
.LBB382_2440:                           ;   in Loop: Header=BB382_1574 Depth=1
	s_or_b32 exec_lo, exec_lo, s18
.LBB382_2441:                           ;   in Loop: Header=BB382_1574 Depth=1
	s_or_b32 exec_lo, exec_lo, s17
	v_cmp_ne_u16_sdwa s4, v20, v11 src0_sel:BYTE_1 src1_sel:DWORD
	s_and_saveexec_b32 s17, s4
	s_cbranch_execz .LBB382_2449
; %bb.2442:                             ;   in Loop: Header=BB382_1574 Depth=1
	v_cmp_ne_u16_sdwa s4, v20, v98 src0_sel:BYTE_1 src1_sel:DWORD
	v_bfrev_b32_e32 v5, 1
	s_and_saveexec_b32 s18, s4
	s_cbranch_execz .LBB382_2448
; %bb.2443:                             ;   in Loop: Header=BB382_1574 Depth=1
	v_mov_b32_e32 v5, 0xffff
	s_mov_b32 s20, exec_lo
	v_and_b32_sdwa v10, v5, v20 dst_sel:DWORD dst_unused:UNUSED_PAD src0_sel:DWORD src1_sel:BYTE_1
	v_mov_b32_e32 v5, 0x7f800001
	v_and_b32_e32 v12, 0x7f, v10
	v_cmpx_ne_u32_e32 0x7f, v12
	s_cbranch_execz .LBB382_2447
; %bb.2444:                             ;   in Loop: Header=BB382_1574 Depth=1
	v_and_b32_e32 v10, 7, v10
	v_mov_b32_e32 v24, v11
	v_lshrrev_b32_e32 v5, 3, v12
	s_mov_b32 s21, exec_lo
	v_mov_b32_e32 v23, v10
	v_cmpx_gt_u32_e32 8, v12
; %bb.2445:                             ;   in Loop: Header=BB382_1574 Depth=1
	v_ffbh_u32_e32 v5, v10
	v_min_u32_e32 v5, 32, v5
	v_subrev_nc_u32_e32 v12, 28, v5
	v_sub_nc_u32_e32 v5, 29, v5
	v_lshlrev_b64 v[12:13], v12, v[10:11]
	v_and_b32_e32 v23, 7, v12
; %bb.2446:                             ;   in Loop: Header=BB382_1574 Depth=1
	s_or_b32 exec_lo, exec_lo, s21
	v_lshlrev_b32_e32 v10, 16, v20
	v_lshlrev_b32_e32 v12, 20, v23
	v_lshl_add_u32 v5, v5, 23, 0x3c000000
	v_and_b32_e32 v10, 0x80000000, v10
	v_or3_b32 v5, v12, v10, v5
.LBB382_2447:                           ;   in Loop: Header=BB382_1574 Depth=1
	s_or_b32 exec_lo, exec_lo, s20
.LBB382_2448:                           ;   in Loop: Header=BB382_1574 Depth=1
	s_or_b32 exec_lo, exec_lo, s18
.LBB382_2449:                           ;   in Loop: Header=BB382_1574 Depth=1
	s_or_b32 exec_lo, exec_lo, s17
	v_and_b32_sdwa v10, v20, v100 dst_sel:DWORD dst_unused:UNUSED_PAD src0_sel:WORD_1 src1_sel:DWORD
	v_mov_b32_e32 v13, 0
	v_mov_b32_e32 v12, 0
	s_mov_b32 s17, exec_lo
	v_cmpx_ne_u16_e32 0, v10
	s_cbranch_execz .LBB382_2457
; %bb.2450:                             ;   in Loop: Header=BB382_1574 Depth=1
	v_bfrev_b32_e32 v12, 1
	s_mov_b32 s18, exec_lo
	v_cmpx_ne_u16_e32 0x80, v10
	s_cbranch_execz .LBB382_2456
; %bb.2451:                             ;   in Loop: Header=BB382_1574 Depth=1
	v_bfe_u32 v16, v20, 16, 7
	v_mov_b32_e32 v12, 0x7f800001
	s_mov_b32 s20, exec_lo
	v_cmpx_ne_u32_e32 0x7f, v16
	s_cbranch_execz .LBB382_2455
; %bb.2452:                             ;   in Loop: Header=BB382_1574 Depth=1
	v_mov_b32_e32 v10, 7
	v_lshrrev_b32_e32 v12, 3, v16
	s_mov_b32 s21, exec_lo
	v_and_b32_sdwa v10, v20, v10 dst_sel:DWORD dst_unused:UNUSED_PAD src0_sel:WORD_1 src1_sel:DWORD
	v_mov_b32_e32 v24, v11
	v_mov_b32_e32 v23, v10
	v_cmpx_gt_u32_e32 8, v16
; %bb.2453:                             ;   in Loop: Header=BB382_1574 Depth=1
	v_ffbh_u32_e32 v12, v10
	v_min_u32_e32 v12, 32, v12
	v_subrev_nc_u32_e32 v16, 28, v12
	v_sub_nc_u32_e32 v12, 29, v12
	v_lshlrev_b64 v[16:17], v16, v[10:11]
	v_and_b32_e32 v23, 7, v16
; %bb.2454:                             ;   in Loop: Header=BB382_1574 Depth=1
	s_or_b32 exec_lo, exec_lo, s21
	v_mov_b32_e32 v10, 24
	v_lshlrev_b32_e32 v16, 20, v23
	v_lshl_add_u32 v12, v12, 23, 0x3c000000
	v_lshlrev_b32_sdwa v10, v10, v20 dst_sel:DWORD dst_unused:UNUSED_PAD src0_sel:DWORD src1_sel:WORD_1
	v_and_b32_e32 v10, 0x80000000, v10
	v_or3_b32 v12, v16, v10, v12
.LBB382_2455:                           ;   in Loop: Header=BB382_1574 Depth=1
	s_or_b32 exec_lo, exec_lo, s20
.LBB382_2456:                           ;   in Loop: Header=BB382_1574 Depth=1
	s_or_b32 exec_lo, exec_lo, s18
.LBB382_2457:                           ;   in Loop: Header=BB382_1574 Depth=1
	s_or_b32 exec_lo, exec_lo, s17
	s_mov_b32 s17, exec_lo
	v_cmpx_lt_u32_e32 0xffffff, v20
	s_cbranch_execz .LBB382_2465
; %bb.2458:                             ;   in Loop: Header=BB382_1574 Depth=1
	v_cmp_ne_u32_sdwa s4, v20, v98 src0_sel:BYTE_3 src1_sel:DWORD
	v_bfrev_b32_e32 v13, 1
	s_and_saveexec_b32 s18, s4
	s_cbranch_execz .LBB382_2464
; %bb.2459:                             ;   in Loop: Header=BB382_1574 Depth=1
	v_bfe_u32 v16, v20, 24, 7
	v_mov_b32_e32 v13, 0x7f800001
	s_mov_b32 s20, exec_lo
	v_cmpx_ne_u32_e32 0x7f, v16
	s_cbranch_execz .LBB382_2463
; %bb.2460:                             ;   in Loop: Header=BB382_1574 Depth=1
	v_mov_b32_e32 v10, 7
	v_lshrrev_b32_e32 v13, 3, v16
	s_mov_b32 s21, exec_lo
	v_and_b32_sdwa v10, v20, v10 dst_sel:DWORD dst_unused:UNUSED_PAD src0_sel:BYTE_3 src1_sel:DWORD
	v_mov_b32_e32 v24, v11
	v_mov_b32_e32 v23, v10
	v_cmpx_gt_u32_e32 8, v16
; %bb.2461:                             ;   in Loop: Header=BB382_1574 Depth=1
	v_ffbh_u32_e32 v13, v10
	v_min_u32_e32 v13, 32, v13
	v_subrev_nc_u32_e32 v16, 28, v13
	v_sub_nc_u32_e32 v13, 29, v13
	v_lshlrev_b64 v[16:17], v16, v[10:11]
	v_and_b32_e32 v23, 7, v16
; %bb.2462:                             ;   in Loop: Header=BB382_1574 Depth=1
	s_or_b32 exec_lo, exec_lo, s21
	v_mov_b32_e32 v10, 24
	v_lshlrev_b32_e32 v16, 20, v23
	v_lshl_add_u32 v13, v13, 23, 0x3c000000
	v_lshlrev_b32_sdwa v10, v10, v20 dst_sel:DWORD dst_unused:UNUSED_PAD src0_sel:DWORD src1_sel:BYTE_3
	v_and_b32_e32 v10, 0x80000000, v10
	v_or3_b32 v13, v16, v10, v13
.LBB382_2463:                           ;   in Loop: Header=BB382_1574 Depth=1
	s_or_b32 exec_lo, exec_lo, s20
.LBB382_2464:                           ;   in Loop: Header=BB382_1574 Depth=1
	s_or_b32 exec_lo, exec_lo, s18
.LBB382_2465:                           ;   in Loop: Header=BB382_1574 Depth=1
	s_or_b32 exec_lo, exec_lo, s17
	v_mov_b32_e32 v10, v21
	v_cmp_ne_u16_sdwa s4, v21, v11 src0_sel:BYTE_0 src1_sel:DWORD
	v_mov_b32_e32 v25, 0
	v_mov_b32_e32 v22, 0
	s_and_saveexec_b32 s17, s4
	s_cbranch_execz .LBB382_2473
; %bb.2466:                             ;   in Loop: Header=BB382_1574 Depth=1
	v_cmp_ne_u16_sdwa s4, v21, v98 src0_sel:BYTE_0 src1_sel:DWORD
	v_bfrev_b32_e32 v22, 1
	s_and_saveexec_b32 s18, s4
	s_cbranch_execz .LBB382_2472
; %bb.2467:                             ;   in Loop: Header=BB382_1574 Depth=1
	v_and_b32_e32 v17, 0x7f, v21
	v_mov_b32_e32 v22, 0x7f800001
	s_mov_b32 s20, exec_lo
	v_cmpx_ne_u32_e32 0x7f, v17
	s_cbranch_execz .LBB382_2471
; %bb.2468:                             ;   in Loop: Header=BB382_1574 Depth=1
	v_mov_b32_e32 v24, v11
	v_lshrrev_b32_e32 v16, 3, v17
	v_mov_b32_e32 v23, v10
	s_mov_b32 s21, exec_lo
	v_cmpx_gt_u32_e32 8, v17
; %bb.2469:                             ;   in Loop: Header=BB382_1574 Depth=1
	v_and_b32_e32 v16, 7, v21
	v_ffbh_u32_e32 v16, v16
	v_min_u32_e32 v16, 32, v16
	v_subrev_nc_u32_e32 v17, 28, v16
	v_sub_nc_u32_e32 v16, 29, v16
	v_lshlrev_b64 v[23:24], v17, v[10:11]
; %bb.2470:                             ;   in Loop: Header=BB382_1574 Depth=1
	s_or_b32 exec_lo, exec_lo, s21
	v_lshlrev_b32_e32 v17, 20, v23
	v_lshlrev_b32_e32 v22, 24, v10
	v_lshl_add_u32 v16, v16, 23, 0x3c000000
	v_and_b32_e32 v17, 0x700000, v17
	v_and_b32_e32 v22, 0x80000000, v22
	v_or3_b32 v22, v17, v22, v16
.LBB382_2471:                           ;   in Loop: Header=BB382_1574 Depth=1
	s_or_b32 exec_lo, exec_lo, s20
.LBB382_2472:                           ;   in Loop: Header=BB382_1574 Depth=1
	s_or_b32 exec_lo, exec_lo, s18
.LBB382_2473:                           ;   in Loop: Header=BB382_1574 Depth=1
	s_or_b32 exec_lo, exec_lo, s17
	v_cmp_ne_u16_sdwa s4, v10, v11 src0_sel:BYTE_1 src1_sel:DWORD
	s_and_saveexec_b32 s17, s4
	s_cbranch_execz .LBB382_2481
; %bb.2474:                             ;   in Loop: Header=BB382_1574 Depth=1
	v_cmp_ne_u16_sdwa s4, v10, v98 src0_sel:BYTE_1 src1_sel:DWORD
	v_bfrev_b32_e32 v25, 1
	s_and_saveexec_b32 s18, s4
	s_cbranch_execz .LBB382_2480
; %bb.2475:                             ;   in Loop: Header=BB382_1574 Depth=1
	v_mov_b32_e32 v16, 0xffff
	v_mov_b32_e32 v25, 0x7f800001
	s_mov_b32 s20, exec_lo
	v_and_b32_sdwa v16, v16, v10 dst_sel:DWORD dst_unused:UNUSED_PAD src0_sel:DWORD src1_sel:BYTE_1
	v_and_b32_e32 v17, 0x7f, v16
	v_cmpx_ne_u32_e32 0x7f, v17
	s_cbranch_execz .LBB382_2479
; %bb.2476:                             ;   in Loop: Header=BB382_1574 Depth=1
	v_and_b32_e32 v23, 7, v16
	v_mov_b32_e32 v24, v11
	v_lshrrev_b32_e32 v16, 3, v17
	s_mov_b32 s21, exec_lo
	v_cmpx_gt_u32_e32 8, v17
; %bb.2477:                             ;   in Loop: Header=BB382_1574 Depth=1
	v_ffbh_u32_e32 v16, v23
	v_min_u32_e32 v16, 32, v16
	v_subrev_nc_u32_e32 v17, 28, v16
	v_sub_nc_u32_e32 v16, 29, v16
	v_lshlrev_b64 v[23:24], v17, v[23:24]
	v_and_b32_e32 v23, 7, v23
; %bb.2478:                             ;   in Loop: Header=BB382_1574 Depth=1
	s_or_b32 exec_lo, exec_lo, s21
	v_lshlrev_b32_e32 v10, 16, v10
	v_lshlrev_b32_e32 v17, 20, v23
	v_lshl_add_u32 v16, v16, 23, 0x3c000000
	v_and_b32_e32 v10, 0x80000000, v10
	v_or3_b32 v25, v17, v10, v16
.LBB382_2479:                           ;   in Loop: Header=BB382_1574 Depth=1
	s_or_b32 exec_lo, exec_lo, s20
.LBB382_2480:                           ;   in Loop: Header=BB382_1574 Depth=1
	s_or_b32 exec_lo, exec_lo, s18
.LBB382_2481:                           ;   in Loop: Header=BB382_1574 Depth=1
	s_or_b32 exec_lo, exec_lo, s17
	v_and_b32_sdwa v10, v21, v100 dst_sel:DWORD dst_unused:UNUSED_PAD src0_sel:WORD_1 src1_sel:DWORD
	v_mov_b32_e32 v16, 0
	v_mov_b32_e32 v17, 0
	s_mov_b32 s17, exec_lo
	v_cmpx_ne_u16_e32 0, v10
	s_cbranch_execz .LBB382_2489
; %bb.2482:                             ;   in Loop: Header=BB382_1574 Depth=1
	v_bfrev_b32_e32 v17, 1
	s_mov_b32 s18, exec_lo
	v_cmpx_ne_u16_e32 0x80, v10
	s_cbranch_execz .LBB382_2488
; %bb.2483:                             ;   in Loop: Header=BB382_1574 Depth=1
	v_bfe_u32 v23, v21, 16, 7
	v_mov_b32_e32 v17, 0x7f800001
	s_mov_b32 s20, exec_lo
	v_cmpx_ne_u32_e32 0x7f, v23
	s_cbranch_execz .LBB382_2487
; %bb.2484:                             ;   in Loop: Header=BB382_1574 Depth=1
	v_mov_b32_e32 v10, 7
	v_lshrrev_b32_e32 v17, 3, v23
	v_cmp_gt_u32_e64 s4, 8, v23
	v_and_b32_sdwa v10, v21, v10 dst_sel:DWORD dst_unused:UNUSED_PAD src0_sel:WORD_1 src1_sel:DWORD
	v_mov_b32_e32 v24, v11
	v_mov_b32_e32 v23, v10
	s_and_saveexec_b32 s21, s4
; %bb.2485:                             ;   in Loop: Header=BB382_1574 Depth=1
	v_ffbh_u32_e32 v17, v10
	v_min_u32_e32 v17, 32, v17
	v_subrev_nc_u32_e32 v23, 28, v17
	v_sub_nc_u32_e32 v17, 29, v17
	v_lshlrev_b64 v[23:24], v23, v[10:11]
	v_and_b32_e32 v23, 7, v23
; %bb.2486:                             ;   in Loop: Header=BB382_1574 Depth=1
	s_or_b32 exec_lo, exec_lo, s21
	v_mov_b32_e32 v10, 24
	v_lshlrev_b32_e32 v23, 20, v23
	v_lshl_add_u32 v17, v17, 23, 0x3c000000
	v_lshlrev_b32_sdwa v10, v10, v21 dst_sel:DWORD dst_unused:UNUSED_PAD src0_sel:DWORD src1_sel:WORD_1
	v_and_b32_e32 v10, 0x80000000, v10
	v_or3_b32 v17, v23, v10, v17
.LBB382_2487:                           ;   in Loop: Header=BB382_1574 Depth=1
	s_or_b32 exec_lo, exec_lo, s20
.LBB382_2488:                           ;   in Loop: Header=BB382_1574 Depth=1
	s_or_b32 exec_lo, exec_lo, s18
.LBB382_2489:                           ;   in Loop: Header=BB382_1574 Depth=1
	s_or_b32 exec_lo, exec_lo, s17
	s_mov_b32 s17, exec_lo
	v_cmpx_lt_u64_e64 s[12:13], v[20:21]
	s_cbranch_execz .LBB382_2497
; %bb.2490:                             ;   in Loop: Header=BB382_1574 Depth=1
	v_cmp_ne_u32_sdwa s4, v21, v98 src0_sel:BYTE_3 src1_sel:DWORD
	v_bfrev_b32_e32 v16, 1
	s_and_saveexec_b32 s18, s4
	s_cbranch_execz .LBB382_2496
; %bb.2491:                             ;   in Loop: Header=BB382_1574 Depth=1
	v_bfe_u32 v20, v21, 24, 7
	v_mov_b32_e32 v16, 0x7f800001
	s_mov_b32 s20, exec_lo
	v_cmpx_ne_u32_e32 0x7f, v20
	s_cbranch_execz .LBB382_2495
; %bb.2492:                             ;   in Loop: Header=BB382_1574 Depth=1
	v_mov_b32_e32 v10, 7
	v_lshrrev_b32_e32 v16, 3, v20
	s_mov_b32 s21, exec_lo
	v_and_b32_sdwa v10, v21, v10 dst_sel:DWORD dst_unused:UNUSED_PAD src0_sel:BYTE_3 src1_sel:DWORD
	v_mov_b32_e32 v24, v11
	v_mov_b32_e32 v23, v10
	v_cmpx_gt_u32_e32 8, v20
; %bb.2493:                             ;   in Loop: Header=BB382_1574 Depth=1
	v_ffbh_u32_e32 v16, v10
	v_min_u32_e32 v16, 32, v16
	v_subrev_nc_u32_e32 v20, 28, v16
	v_sub_nc_u32_e32 v16, 29, v16
	v_lshlrev_b64 v[23:24], v20, v[10:11]
	v_and_b32_e32 v23, 7, v23
; %bb.2494:                             ;   in Loop: Header=BB382_1574 Depth=1
	s_or_b32 exec_lo, exec_lo, s21
	v_mov_b32_e32 v10, 24
	v_lshlrev_b32_e32 v20, 20, v23
	v_lshl_add_u32 v16, v16, 23, 0x3c000000
	v_lshlrev_b32_sdwa v10, v10, v21 dst_sel:DWORD dst_unused:UNUSED_PAD src0_sel:DWORD src1_sel:BYTE_3
	v_and_b32_e32 v10, 0x80000000, v10
	v_or3_b32 v16, v20, v10, v16
.LBB382_2495:                           ;   in Loop: Header=BB382_1574 Depth=1
	s_or_b32 exec_lo, exec_lo, s20
.LBB382_2496:                           ;   in Loop: Header=BB382_1574 Depth=1
	s_or_b32 exec_lo, exec_lo, s18
.LBB382_2497:                           ;   in Loop: Header=BB382_1574 Depth=1
	s_or_b32 exec_lo, exec_lo, s17
	v_mul_f32_e32 v10, v106, v25
	v_mul_f32_e32 v5, v106, v5
	;; [unrolled: 1-line block ×3, first 2 shown]
	v_bfe_u32 v20, v10, 16, 1
	v_or_b32_e32 v21, 0x400000, v10
	v_cmp_u_f32_e64 s4, v10, v10
	v_add3_u32 v20, v20, v10, 0x7fff
	v_cndmask_b32_e64 v10, v20, v21, s4
	v_lshrrev_b32_e32 v47, 16, v10
	v_mul_f32_e32 v10, v106, v22
	v_bfe_u32 v20, v10, 16, 1
	v_or_b32_e32 v21, 0x400000, v10
	v_cmp_u_f32_e64 s4, v10, v10
	v_add3_u32 v20, v20, v10, 0x7fff
	v_cndmask_b32_e64 v10, v20, v21, s4
	v_lshrrev_b32_e32 v56, 16, v10
	v_mul_f32_e32 v10, v106, v13
	;; [unrolled: 7-line block ×3, first 2 shown]
	v_bfe_u32 v12, v10, 16, 1
	v_or_b32_e32 v13, 0x400000, v10
	v_cmp_u_f32_e64 s4, v10, v10
	v_add3_u32 v12, v12, v10, 0x7fff
	v_cndmask_b32_e64 v10, v12, v13, s4
	v_or_b32_e32 v12, 0x400000, v5
	v_cmp_u_f32_e64 s4, v5, v5
	v_lshrrev_b32_e32 v58, 16, v10
	v_bfe_u32 v10, v5, 16, 1
	v_add3_u32 v10, v10, v5, 0x7fff
	v_cndmask_b32_e64 v5, v10, v12, s4
	v_or_b32_e32 v10, 0x400000, v4
	v_cmp_u_f32_e64 s4, v4, v4
	v_lshrrev_b32_e32 v60, 16, v5
	v_bfe_u32 v5, v4, 16, 1
	v_add3_u32 v5, v5, v4, 0x7fff
	v_cndmask_b32_e64 v4, v5, v10, s4
	v_lshrrev_b32_e32 v61, 16, v4
	v_mul_f32_e32 v4, v106, v17
	v_bfe_u32 v5, v4, 16, 1
	v_or_b32_e32 v10, 0x400000, v4
	v_cmp_u_f32_e64 s4, v4, v4
	v_add3_u32 v5, v5, v4, 0x7fff
	v_cndmask_b32_e64 v4, v5, v10, s4
	v_lshrrev_b32_e32 v59, 16, v4
	v_mul_f32_e32 v4, v106, v16
	v_bfe_u32 v5, v4, 16, 1
	v_or_b32_e32 v10, 0x400000, v4
	v_cmp_u_f32_e64 s4, v4, v4
	v_add3_u32 v5, v5, v4, 0x7fff
	v_cndmask_b32_e64 v4, v5, v10, s4
	v_lshrrev_b32_e32 v62, 16, v4
	s_and_saveexec_b32 s17, vcc_lo
	s_cbranch_execz .LBB382_2499
; %bb.2498:                             ;   in Loop: Header=BB382_1574 Depth=1
	v_cmp_lt_i32_e64 s4, v105, v92
	v_cndmask_b32_e64 v61, 0, v61, s4
	v_cmp_lt_i32_e64 s4, v126, v92
	v_cndmask_b32_e64 v60, 0, v60, s4
	;; [unrolled: 2-line block ×8, first 2 shown]
.LBB382_2499:                           ;   in Loop: Header=BB382_1574 Depth=1
	s_or_b32 exec_lo, exec_lo, s17
	flat_load_dwordx2 v[20:21], v[18:19] offset:1536
	v_mov_b32_e32 v5, 0
	v_mov_b32_e32 v4, 0
	s_waitcnt vmcnt(0) lgkmcnt(0)
	v_cmp_ne_u16_sdwa s4, v20, v11 src0_sel:BYTE_0 src1_sel:DWORD
	s_and_saveexec_b32 s17, s4
	s_cbranch_execz .LBB382_2507
; %bb.2500:                             ;   in Loop: Header=BB382_1574 Depth=1
	v_cmp_ne_u16_sdwa s4, v20, v98 src0_sel:BYTE_0 src1_sel:DWORD
	v_bfrev_b32_e32 v4, 1
	s_and_saveexec_b32 s18, s4
	s_cbranch_execz .LBB382_2506
; %bb.2501:                             ;   in Loop: Header=BB382_1574 Depth=1
	v_and_b32_e32 v10, 0x7f, v20
	v_mov_b32_e32 v4, 0x7f800001
	s_mov_b32 s20, exec_lo
	v_cmpx_ne_u32_e32 0x7f, v10
	s_cbranch_execz .LBB382_2505
; %bb.2502:                             ;   in Loop: Header=BB382_1574 Depth=1
	v_mov_b32_e32 v24, v21
	v_lshrrev_b32_e32 v4, 3, v10
	v_mov_b32_e32 v23, v20
	s_mov_b32 s21, exec_lo
	v_cmpx_gt_u32_e32 8, v10
; %bb.2503:                             ;   in Loop: Header=BB382_1574 Depth=1
	v_and_b32_e32 v4, 7, v20
	v_ffbh_u32_e32 v4, v4
	v_min_u32_e32 v4, 32, v4
	v_subrev_nc_u32_e32 v10, 28, v4
	v_sub_nc_u32_e32 v4, 29, v4
	v_lshlrev_b64 v[23:24], v10, v[20:21]
; %bb.2504:                             ;   in Loop: Header=BB382_1574 Depth=1
	s_or_b32 exec_lo, exec_lo, s21
	v_lshlrev_b32_e32 v10, 20, v23
	v_lshlrev_b32_e32 v12, 24, v20
	v_lshl_add_u32 v4, v4, 23, 0x3c000000
	v_and_b32_e32 v10, 0x700000, v10
	v_and_b32_e32 v12, 0x80000000, v12
	v_or3_b32 v4, v10, v12, v4
.LBB382_2505:                           ;   in Loop: Header=BB382_1574 Depth=1
	s_or_b32 exec_lo, exec_lo, s20
.LBB382_2506:                           ;   in Loop: Header=BB382_1574 Depth=1
	s_or_b32 exec_lo, exec_lo, s18
.LBB382_2507:                           ;   in Loop: Header=BB382_1574 Depth=1
	s_or_b32 exec_lo, exec_lo, s17
	v_cmp_ne_u16_sdwa s4, v20, v11 src0_sel:BYTE_1 src1_sel:DWORD
	s_and_saveexec_b32 s17, s4
	s_cbranch_execz .LBB382_2515
; %bb.2508:                             ;   in Loop: Header=BB382_1574 Depth=1
	v_cmp_ne_u16_sdwa s4, v20, v98 src0_sel:BYTE_1 src1_sel:DWORD
	v_bfrev_b32_e32 v5, 1
	s_and_saveexec_b32 s18, s4
	s_cbranch_execz .LBB382_2514
; %bb.2509:                             ;   in Loop: Header=BB382_1574 Depth=1
	v_mov_b32_e32 v5, 0xffff
	s_mov_b32 s20, exec_lo
	v_and_b32_sdwa v10, v5, v20 dst_sel:DWORD dst_unused:UNUSED_PAD src0_sel:DWORD src1_sel:BYTE_1
	v_mov_b32_e32 v5, 0x7f800001
	v_and_b32_e32 v12, 0x7f, v10
	v_cmpx_ne_u32_e32 0x7f, v12
	s_cbranch_execz .LBB382_2513
; %bb.2510:                             ;   in Loop: Header=BB382_1574 Depth=1
	v_and_b32_e32 v10, 7, v10
	v_mov_b32_e32 v24, v11
	v_lshrrev_b32_e32 v5, 3, v12
	s_mov_b32 s21, exec_lo
	v_mov_b32_e32 v23, v10
	v_cmpx_gt_u32_e32 8, v12
; %bb.2511:                             ;   in Loop: Header=BB382_1574 Depth=1
	v_ffbh_u32_e32 v5, v10
	v_min_u32_e32 v5, 32, v5
	v_subrev_nc_u32_e32 v12, 28, v5
	v_sub_nc_u32_e32 v5, 29, v5
	v_lshlrev_b64 v[12:13], v12, v[10:11]
	v_and_b32_e32 v23, 7, v12
; %bb.2512:                             ;   in Loop: Header=BB382_1574 Depth=1
	s_or_b32 exec_lo, exec_lo, s21
	v_lshlrev_b32_e32 v10, 16, v20
	v_lshlrev_b32_e32 v12, 20, v23
	v_lshl_add_u32 v5, v5, 23, 0x3c000000
	v_and_b32_e32 v10, 0x80000000, v10
	v_or3_b32 v5, v12, v10, v5
.LBB382_2513:                           ;   in Loop: Header=BB382_1574 Depth=1
	s_or_b32 exec_lo, exec_lo, s20
.LBB382_2514:                           ;   in Loop: Header=BB382_1574 Depth=1
	s_or_b32 exec_lo, exec_lo, s18
.LBB382_2515:                           ;   in Loop: Header=BB382_1574 Depth=1
	s_or_b32 exec_lo, exec_lo, s17
	v_and_b32_sdwa v10, v20, v100 dst_sel:DWORD dst_unused:UNUSED_PAD src0_sel:WORD_1 src1_sel:DWORD
	v_mov_b32_e32 v13, 0
	v_mov_b32_e32 v12, 0
	s_mov_b32 s17, exec_lo
	v_cmpx_ne_u16_e32 0, v10
	s_cbranch_execz .LBB382_2523
; %bb.2516:                             ;   in Loop: Header=BB382_1574 Depth=1
	v_bfrev_b32_e32 v12, 1
	s_mov_b32 s18, exec_lo
	v_cmpx_ne_u16_e32 0x80, v10
	s_cbranch_execz .LBB382_2522
; %bb.2517:                             ;   in Loop: Header=BB382_1574 Depth=1
	v_bfe_u32 v16, v20, 16, 7
	v_mov_b32_e32 v12, 0x7f800001
	s_mov_b32 s20, exec_lo
	v_cmpx_ne_u32_e32 0x7f, v16
	s_cbranch_execz .LBB382_2521
; %bb.2518:                             ;   in Loop: Header=BB382_1574 Depth=1
	v_mov_b32_e32 v10, 7
	v_lshrrev_b32_e32 v12, 3, v16
	s_mov_b32 s21, exec_lo
	v_and_b32_sdwa v10, v20, v10 dst_sel:DWORD dst_unused:UNUSED_PAD src0_sel:WORD_1 src1_sel:DWORD
	v_mov_b32_e32 v24, v11
	v_mov_b32_e32 v23, v10
	v_cmpx_gt_u32_e32 8, v16
; %bb.2519:                             ;   in Loop: Header=BB382_1574 Depth=1
	v_ffbh_u32_e32 v12, v10
	v_min_u32_e32 v12, 32, v12
	v_subrev_nc_u32_e32 v16, 28, v12
	v_sub_nc_u32_e32 v12, 29, v12
	v_lshlrev_b64 v[16:17], v16, v[10:11]
	v_and_b32_e32 v23, 7, v16
; %bb.2520:                             ;   in Loop: Header=BB382_1574 Depth=1
	s_or_b32 exec_lo, exec_lo, s21
	v_mov_b32_e32 v10, 24
	v_lshlrev_b32_e32 v16, 20, v23
	v_lshl_add_u32 v12, v12, 23, 0x3c000000
	v_lshlrev_b32_sdwa v10, v10, v20 dst_sel:DWORD dst_unused:UNUSED_PAD src0_sel:DWORD src1_sel:WORD_1
	v_and_b32_e32 v10, 0x80000000, v10
	v_or3_b32 v12, v16, v10, v12
.LBB382_2521:                           ;   in Loop: Header=BB382_1574 Depth=1
	s_or_b32 exec_lo, exec_lo, s20
.LBB382_2522:                           ;   in Loop: Header=BB382_1574 Depth=1
	s_or_b32 exec_lo, exec_lo, s18
.LBB382_2523:                           ;   in Loop: Header=BB382_1574 Depth=1
	s_or_b32 exec_lo, exec_lo, s17
	s_mov_b32 s17, exec_lo
	v_cmpx_lt_u32_e32 0xffffff, v20
	s_cbranch_execz .LBB382_2531
; %bb.2524:                             ;   in Loop: Header=BB382_1574 Depth=1
	v_cmp_ne_u32_sdwa s4, v20, v98 src0_sel:BYTE_3 src1_sel:DWORD
	v_bfrev_b32_e32 v13, 1
	s_and_saveexec_b32 s18, s4
	s_cbranch_execz .LBB382_2530
; %bb.2525:                             ;   in Loop: Header=BB382_1574 Depth=1
	v_bfe_u32 v16, v20, 24, 7
	v_mov_b32_e32 v13, 0x7f800001
	s_mov_b32 s20, exec_lo
	v_cmpx_ne_u32_e32 0x7f, v16
	s_cbranch_execz .LBB382_2529
; %bb.2526:                             ;   in Loop: Header=BB382_1574 Depth=1
	v_mov_b32_e32 v10, 7
	v_lshrrev_b32_e32 v13, 3, v16
	s_mov_b32 s21, exec_lo
	v_and_b32_sdwa v10, v20, v10 dst_sel:DWORD dst_unused:UNUSED_PAD src0_sel:BYTE_3 src1_sel:DWORD
	v_mov_b32_e32 v24, v11
	v_mov_b32_e32 v23, v10
	v_cmpx_gt_u32_e32 8, v16
; %bb.2527:                             ;   in Loop: Header=BB382_1574 Depth=1
	v_ffbh_u32_e32 v13, v10
	v_min_u32_e32 v13, 32, v13
	v_subrev_nc_u32_e32 v16, 28, v13
	v_sub_nc_u32_e32 v13, 29, v13
	v_lshlrev_b64 v[16:17], v16, v[10:11]
	v_and_b32_e32 v23, 7, v16
; %bb.2528:                             ;   in Loop: Header=BB382_1574 Depth=1
	s_or_b32 exec_lo, exec_lo, s21
	v_mov_b32_e32 v10, 24
	v_lshlrev_b32_e32 v16, 20, v23
	v_lshl_add_u32 v13, v13, 23, 0x3c000000
	v_lshlrev_b32_sdwa v10, v10, v20 dst_sel:DWORD dst_unused:UNUSED_PAD src0_sel:DWORD src1_sel:BYTE_3
	v_and_b32_e32 v10, 0x80000000, v10
	v_or3_b32 v13, v16, v10, v13
.LBB382_2529:                           ;   in Loop: Header=BB382_1574 Depth=1
	s_or_b32 exec_lo, exec_lo, s20
.LBB382_2530:                           ;   in Loop: Header=BB382_1574 Depth=1
	s_or_b32 exec_lo, exec_lo, s18
.LBB382_2531:                           ;   in Loop: Header=BB382_1574 Depth=1
	s_or_b32 exec_lo, exec_lo, s17
	v_mov_b32_e32 v10, v21
	v_cmp_ne_u16_sdwa s4, v21, v11 src0_sel:BYTE_0 src1_sel:DWORD
	v_mov_b32_e32 v25, 0
	v_mov_b32_e32 v22, 0
	s_and_saveexec_b32 s17, s4
	s_cbranch_execz .LBB382_2539
; %bb.2532:                             ;   in Loop: Header=BB382_1574 Depth=1
	v_cmp_ne_u16_sdwa s4, v21, v98 src0_sel:BYTE_0 src1_sel:DWORD
	v_bfrev_b32_e32 v22, 1
	s_and_saveexec_b32 s18, s4
	s_cbranch_execz .LBB382_2538
; %bb.2533:                             ;   in Loop: Header=BB382_1574 Depth=1
	v_and_b32_e32 v17, 0x7f, v21
	v_mov_b32_e32 v22, 0x7f800001
	s_mov_b32 s20, exec_lo
	v_cmpx_ne_u32_e32 0x7f, v17
	s_cbranch_execz .LBB382_2537
; %bb.2534:                             ;   in Loop: Header=BB382_1574 Depth=1
	v_mov_b32_e32 v24, v11
	v_lshrrev_b32_e32 v16, 3, v17
	v_mov_b32_e32 v23, v10
	s_mov_b32 s21, exec_lo
	v_cmpx_gt_u32_e32 8, v17
; %bb.2535:                             ;   in Loop: Header=BB382_1574 Depth=1
	v_and_b32_e32 v16, 7, v21
	v_ffbh_u32_e32 v16, v16
	v_min_u32_e32 v16, 32, v16
	v_subrev_nc_u32_e32 v17, 28, v16
	v_sub_nc_u32_e32 v16, 29, v16
	v_lshlrev_b64 v[23:24], v17, v[10:11]
; %bb.2536:                             ;   in Loop: Header=BB382_1574 Depth=1
	s_or_b32 exec_lo, exec_lo, s21
	v_lshlrev_b32_e32 v17, 20, v23
	v_lshlrev_b32_e32 v22, 24, v10
	v_lshl_add_u32 v16, v16, 23, 0x3c000000
	v_and_b32_e32 v17, 0x700000, v17
	v_and_b32_e32 v22, 0x80000000, v22
	v_or3_b32 v22, v17, v22, v16
.LBB382_2537:                           ;   in Loop: Header=BB382_1574 Depth=1
	s_or_b32 exec_lo, exec_lo, s20
.LBB382_2538:                           ;   in Loop: Header=BB382_1574 Depth=1
	s_or_b32 exec_lo, exec_lo, s18
.LBB382_2539:                           ;   in Loop: Header=BB382_1574 Depth=1
	s_or_b32 exec_lo, exec_lo, s17
	v_cmp_ne_u16_sdwa s4, v10, v11 src0_sel:BYTE_1 src1_sel:DWORD
	s_and_saveexec_b32 s17, s4
	s_cbranch_execz .LBB382_2547
; %bb.2540:                             ;   in Loop: Header=BB382_1574 Depth=1
	v_cmp_ne_u16_sdwa s4, v10, v98 src0_sel:BYTE_1 src1_sel:DWORD
	v_bfrev_b32_e32 v25, 1
	s_and_saveexec_b32 s18, s4
	s_cbranch_execz .LBB382_2546
; %bb.2541:                             ;   in Loop: Header=BB382_1574 Depth=1
	v_mov_b32_e32 v16, 0xffff
	v_mov_b32_e32 v25, 0x7f800001
	s_mov_b32 s20, exec_lo
	v_and_b32_sdwa v16, v16, v10 dst_sel:DWORD dst_unused:UNUSED_PAD src0_sel:DWORD src1_sel:BYTE_1
	v_and_b32_e32 v17, 0x7f, v16
	v_cmpx_ne_u32_e32 0x7f, v17
	s_cbranch_execz .LBB382_2545
; %bb.2542:                             ;   in Loop: Header=BB382_1574 Depth=1
	v_and_b32_e32 v23, 7, v16
	v_mov_b32_e32 v24, v11
	v_lshrrev_b32_e32 v16, 3, v17
	s_mov_b32 s21, exec_lo
	v_cmpx_gt_u32_e32 8, v17
; %bb.2543:                             ;   in Loop: Header=BB382_1574 Depth=1
	v_ffbh_u32_e32 v16, v23
	v_min_u32_e32 v16, 32, v16
	v_subrev_nc_u32_e32 v17, 28, v16
	v_sub_nc_u32_e32 v16, 29, v16
	v_lshlrev_b64 v[23:24], v17, v[23:24]
	v_and_b32_e32 v23, 7, v23
; %bb.2544:                             ;   in Loop: Header=BB382_1574 Depth=1
	s_or_b32 exec_lo, exec_lo, s21
	v_lshlrev_b32_e32 v10, 16, v10
	v_lshlrev_b32_e32 v17, 20, v23
	v_lshl_add_u32 v16, v16, 23, 0x3c000000
	v_and_b32_e32 v10, 0x80000000, v10
	v_or3_b32 v25, v17, v10, v16
.LBB382_2545:                           ;   in Loop: Header=BB382_1574 Depth=1
	s_or_b32 exec_lo, exec_lo, s20
.LBB382_2546:                           ;   in Loop: Header=BB382_1574 Depth=1
	s_or_b32 exec_lo, exec_lo, s18
.LBB382_2547:                           ;   in Loop: Header=BB382_1574 Depth=1
	s_or_b32 exec_lo, exec_lo, s17
	v_and_b32_sdwa v10, v21, v100 dst_sel:DWORD dst_unused:UNUSED_PAD src0_sel:WORD_1 src1_sel:DWORD
	v_mov_b32_e32 v16, 0
	v_mov_b32_e32 v17, 0
	s_mov_b32 s17, exec_lo
	v_cmpx_ne_u16_e32 0, v10
	s_cbranch_execz .LBB382_2555
; %bb.2548:                             ;   in Loop: Header=BB382_1574 Depth=1
	v_bfrev_b32_e32 v17, 1
	s_mov_b32 s18, exec_lo
	v_cmpx_ne_u16_e32 0x80, v10
	s_cbranch_execz .LBB382_2554
; %bb.2549:                             ;   in Loop: Header=BB382_1574 Depth=1
	v_bfe_u32 v23, v21, 16, 7
	v_mov_b32_e32 v17, 0x7f800001
	s_mov_b32 s20, exec_lo
	v_cmpx_ne_u32_e32 0x7f, v23
	s_cbranch_execz .LBB382_2553
; %bb.2550:                             ;   in Loop: Header=BB382_1574 Depth=1
	v_mov_b32_e32 v10, 7
	v_lshrrev_b32_e32 v17, 3, v23
	v_cmp_gt_u32_e64 s4, 8, v23
	v_and_b32_sdwa v10, v21, v10 dst_sel:DWORD dst_unused:UNUSED_PAD src0_sel:WORD_1 src1_sel:DWORD
	v_mov_b32_e32 v24, v11
	v_mov_b32_e32 v23, v10
	s_and_saveexec_b32 s21, s4
; %bb.2551:                             ;   in Loop: Header=BB382_1574 Depth=1
	v_ffbh_u32_e32 v17, v10
	v_min_u32_e32 v17, 32, v17
	v_subrev_nc_u32_e32 v23, 28, v17
	v_sub_nc_u32_e32 v17, 29, v17
	v_lshlrev_b64 v[23:24], v23, v[10:11]
	v_and_b32_e32 v23, 7, v23
; %bb.2552:                             ;   in Loop: Header=BB382_1574 Depth=1
	s_or_b32 exec_lo, exec_lo, s21
	v_mov_b32_e32 v10, 24
	v_lshlrev_b32_e32 v23, 20, v23
	v_lshl_add_u32 v17, v17, 23, 0x3c000000
	v_lshlrev_b32_sdwa v10, v10, v21 dst_sel:DWORD dst_unused:UNUSED_PAD src0_sel:DWORD src1_sel:WORD_1
	v_and_b32_e32 v10, 0x80000000, v10
	v_or3_b32 v17, v23, v10, v17
.LBB382_2553:                           ;   in Loop: Header=BB382_1574 Depth=1
	s_or_b32 exec_lo, exec_lo, s20
.LBB382_2554:                           ;   in Loop: Header=BB382_1574 Depth=1
	s_or_b32 exec_lo, exec_lo, s18
.LBB382_2555:                           ;   in Loop: Header=BB382_1574 Depth=1
	s_or_b32 exec_lo, exec_lo, s17
	s_mov_b32 s17, exec_lo
	v_cmpx_lt_u64_e64 s[12:13], v[20:21]
	s_cbranch_execz .LBB382_2563
; %bb.2556:                             ;   in Loop: Header=BB382_1574 Depth=1
	v_cmp_ne_u32_sdwa s4, v21, v98 src0_sel:BYTE_3 src1_sel:DWORD
	v_bfrev_b32_e32 v16, 1
	s_and_saveexec_b32 s18, s4
	s_cbranch_execz .LBB382_2562
; %bb.2557:                             ;   in Loop: Header=BB382_1574 Depth=1
	v_bfe_u32 v20, v21, 24, 7
	v_mov_b32_e32 v16, 0x7f800001
	s_mov_b32 s20, exec_lo
	v_cmpx_ne_u32_e32 0x7f, v20
	s_cbranch_execz .LBB382_2561
; %bb.2558:                             ;   in Loop: Header=BB382_1574 Depth=1
	v_mov_b32_e32 v10, 7
	v_lshrrev_b32_e32 v16, 3, v20
	s_mov_b32 s21, exec_lo
	v_and_b32_sdwa v10, v21, v10 dst_sel:DWORD dst_unused:UNUSED_PAD src0_sel:BYTE_3 src1_sel:DWORD
	v_mov_b32_e32 v24, v11
	v_mov_b32_e32 v23, v10
	v_cmpx_gt_u32_e32 8, v20
; %bb.2559:                             ;   in Loop: Header=BB382_1574 Depth=1
	v_ffbh_u32_e32 v16, v10
	v_min_u32_e32 v16, 32, v16
	v_subrev_nc_u32_e32 v20, 28, v16
	v_sub_nc_u32_e32 v16, 29, v16
	v_lshlrev_b64 v[23:24], v20, v[10:11]
	v_and_b32_e32 v23, 7, v23
; %bb.2560:                             ;   in Loop: Header=BB382_1574 Depth=1
	s_or_b32 exec_lo, exec_lo, s21
	v_mov_b32_e32 v10, 24
	v_lshlrev_b32_e32 v20, 20, v23
	v_lshl_add_u32 v16, v16, 23, 0x3c000000
	v_lshlrev_b32_sdwa v10, v10, v21 dst_sel:DWORD dst_unused:UNUSED_PAD src0_sel:DWORD src1_sel:BYTE_3
	v_and_b32_e32 v10, 0x80000000, v10
	v_or3_b32 v16, v20, v10, v16
.LBB382_2561:                           ;   in Loop: Header=BB382_1574 Depth=1
	s_or_b32 exec_lo, exec_lo, s20
.LBB382_2562:                           ;   in Loop: Header=BB382_1574 Depth=1
	s_or_b32 exec_lo, exec_lo, s18
.LBB382_2563:                           ;   in Loop: Header=BB382_1574 Depth=1
	s_or_b32 exec_lo, exec_lo, s17
	v_mul_f32_e32 v10, v106, v25
	v_mul_f32_e32 v5, v106, v5
	;; [unrolled: 1-line block ×3, first 2 shown]
	v_bfe_u32 v20, v10, 16, 1
	v_or_b32_e32 v21, 0x400000, v10
	v_cmp_u_f32_e64 s4, v10, v10
	v_add3_u32 v20, v20, v10, 0x7fff
	v_cndmask_b32_e64 v10, v20, v21, s4
	v_lshrrev_b32_e32 v23, 16, v10
	v_mul_f32_e32 v10, v106, v22
	v_bfe_u32 v20, v10, 16, 1
	v_or_b32_e32 v21, 0x400000, v10
	v_cmp_u_f32_e64 s4, v10, v10
	v_add3_u32 v20, v20, v10, 0x7fff
	v_cndmask_b32_e64 v10, v20, v21, s4
	v_lshrrev_b32_e32 v24, 16, v10
	v_mul_f32_e32 v10, v106, v13
	;; [unrolled: 7-line block ×3, first 2 shown]
	v_bfe_u32 v12, v10, 16, 1
	v_or_b32_e32 v13, 0x400000, v10
	v_cmp_u_f32_e64 s4, v10, v10
	v_add3_u32 v12, v12, v10, 0x7fff
	v_cndmask_b32_e64 v10, v12, v13, s4
	v_or_b32_e32 v12, 0x400000, v5
	v_cmp_u_f32_e64 s4, v5, v5
	v_lshrrev_b32_e32 v72, 16, v10
	v_bfe_u32 v10, v5, 16, 1
	v_add3_u32 v10, v10, v5, 0x7fff
	v_cndmask_b32_e64 v5, v10, v12, s4
	v_or_b32_e32 v10, 0x400000, v4
	v_cmp_u_f32_e64 s4, v4, v4
	v_lshrrev_b32_e32 v28, 16, v5
	v_bfe_u32 v5, v4, 16, 1
	v_add3_u32 v5, v5, v4, 0x7fff
	v_cndmask_b32_e64 v4, v5, v10, s4
	v_lshrrev_b32_e32 v73, 16, v4
	v_mul_f32_e32 v4, v106, v17
	v_bfe_u32 v5, v4, 16, 1
	v_or_b32_e32 v10, 0x400000, v4
	v_cmp_u_f32_e64 s4, v4, v4
	v_add3_u32 v5, v5, v4, 0x7fff
	v_cndmask_b32_e64 v4, v5, v10, s4
	v_lshrrev_b32_e32 v25, 16, v4
	v_mul_f32_e32 v4, v106, v16
	v_bfe_u32 v5, v4, 16, 1
	v_or_b32_e32 v10, 0x400000, v4
	v_cmp_u_f32_e64 s4, v4, v4
	v_add3_u32 v5, v5, v4, 0x7fff
	v_cndmask_b32_e64 v4, v5, v10, s4
	v_lshrrev_b32_e32 v74, 16, v4
	s_and_saveexec_b32 s17, vcc_lo
	s_cbranch_execz .LBB382_2565
; %bb.2564:                             ;   in Loop: Header=BB382_1574 Depth=1
	v_cmp_lt_i32_e64 s4, v105, v92
	v_cndmask_b32_e64 v73, 0, v73, s4
	v_cmp_lt_i32_e64 s4, v126, v92
	v_cndmask_b32_e64 v28, 0, v28, s4
	;; [unrolled: 2-line block ×8, first 2 shown]
.LBB382_2565:                           ;   in Loop: Header=BB382_1574 Depth=1
	s_or_b32 exec_lo, exec_lo, s17
	flat_load_dwordx2 v[18:19], v[18:19] offset:1792
	v_mov_b32_e32 v5, 0
	v_mov_b32_e32 v4, 0
	s_waitcnt vmcnt(0) lgkmcnt(0)
	v_cmp_ne_u16_sdwa s4, v18, v11 src0_sel:BYTE_0 src1_sel:DWORD
	s_and_saveexec_b32 s17, s4
	s_cbranch_execz .LBB382_2573
; %bb.2566:                             ;   in Loop: Header=BB382_1574 Depth=1
	v_cmp_ne_u16_sdwa s4, v18, v98 src0_sel:BYTE_0 src1_sel:DWORD
	v_bfrev_b32_e32 v4, 1
	s_and_saveexec_b32 s18, s4
	s_cbranch_execz .LBB382_2572
; %bb.2567:                             ;   in Loop: Header=BB382_1574 Depth=1
	v_and_b32_e32 v10, 0x7f, v18
	v_mov_b32_e32 v4, 0x7f800001
	s_mov_b32 s20, exec_lo
	v_cmpx_ne_u32_e32 0x7f, v10
	s_cbranch_execz .LBB382_2571
; %bb.2568:                             ;   in Loop: Header=BB382_1574 Depth=1
	v_mov_b32_e32 v21, v19
	v_lshrrev_b32_e32 v4, 3, v10
	v_mov_b32_e32 v20, v18
	s_mov_b32 s21, exec_lo
	v_cmpx_gt_u32_e32 8, v10
; %bb.2569:                             ;   in Loop: Header=BB382_1574 Depth=1
	v_and_b32_e32 v4, 7, v18
	v_ffbh_u32_e32 v4, v4
	v_min_u32_e32 v4, 32, v4
	v_subrev_nc_u32_e32 v10, 28, v4
	v_sub_nc_u32_e32 v4, 29, v4
	v_lshlrev_b64 v[20:21], v10, v[18:19]
; %bb.2570:                             ;   in Loop: Header=BB382_1574 Depth=1
	s_or_b32 exec_lo, exec_lo, s21
	v_lshlrev_b32_e32 v10, 20, v20
	v_lshlrev_b32_e32 v12, 24, v18
	v_lshl_add_u32 v4, v4, 23, 0x3c000000
	v_and_b32_e32 v10, 0x700000, v10
	v_and_b32_e32 v12, 0x80000000, v12
	v_or3_b32 v4, v10, v12, v4
.LBB382_2571:                           ;   in Loop: Header=BB382_1574 Depth=1
	s_or_b32 exec_lo, exec_lo, s20
.LBB382_2572:                           ;   in Loop: Header=BB382_1574 Depth=1
	s_or_b32 exec_lo, exec_lo, s18
.LBB382_2573:                           ;   in Loop: Header=BB382_1574 Depth=1
	s_or_b32 exec_lo, exec_lo, s17
	v_cmp_ne_u16_sdwa s4, v18, v11 src0_sel:BYTE_1 src1_sel:DWORD
	s_and_saveexec_b32 s17, s4
	s_cbranch_execz .LBB382_2581
; %bb.2574:                             ;   in Loop: Header=BB382_1574 Depth=1
	v_cmp_ne_u16_sdwa s4, v18, v98 src0_sel:BYTE_1 src1_sel:DWORD
	v_bfrev_b32_e32 v5, 1
	s_and_saveexec_b32 s18, s4
	s_cbranch_execz .LBB382_2580
; %bb.2575:                             ;   in Loop: Header=BB382_1574 Depth=1
	v_mov_b32_e32 v5, 0xffff
	s_mov_b32 s20, exec_lo
	v_and_b32_sdwa v10, v5, v18 dst_sel:DWORD dst_unused:UNUSED_PAD src0_sel:DWORD src1_sel:BYTE_1
	v_mov_b32_e32 v5, 0x7f800001
	v_and_b32_e32 v12, 0x7f, v10
	v_cmpx_ne_u32_e32 0x7f, v12
	s_cbranch_execz .LBB382_2579
; %bb.2576:                             ;   in Loop: Header=BB382_1574 Depth=1
	v_and_b32_e32 v10, 7, v10
	v_mov_b32_e32 v21, v11
	v_lshrrev_b32_e32 v5, 3, v12
	s_mov_b32 s21, exec_lo
	v_mov_b32_e32 v20, v10
	v_cmpx_gt_u32_e32 8, v12
; %bb.2577:                             ;   in Loop: Header=BB382_1574 Depth=1
	v_ffbh_u32_e32 v5, v10
	v_min_u32_e32 v5, 32, v5
	v_subrev_nc_u32_e32 v12, 28, v5
	v_sub_nc_u32_e32 v5, 29, v5
	v_lshlrev_b64 v[12:13], v12, v[10:11]
	v_and_b32_e32 v20, 7, v12
; %bb.2578:                             ;   in Loop: Header=BB382_1574 Depth=1
	s_or_b32 exec_lo, exec_lo, s21
	v_lshlrev_b32_e32 v10, 16, v18
	v_lshlrev_b32_e32 v12, 20, v20
	v_lshl_add_u32 v5, v5, 23, 0x3c000000
	v_and_b32_e32 v10, 0x80000000, v10
	v_or3_b32 v5, v12, v10, v5
.LBB382_2579:                           ;   in Loop: Header=BB382_1574 Depth=1
	s_or_b32 exec_lo, exec_lo, s20
.LBB382_2580:                           ;   in Loop: Header=BB382_1574 Depth=1
	s_or_b32 exec_lo, exec_lo, s18
.LBB382_2581:                           ;   in Loop: Header=BB382_1574 Depth=1
	s_or_b32 exec_lo, exec_lo, s17
	v_and_b32_sdwa v10, v18, v100 dst_sel:DWORD dst_unused:UNUSED_PAD src0_sel:WORD_1 src1_sel:DWORD
	v_mov_b32_e32 v13, 0
	v_mov_b32_e32 v12, 0
	s_mov_b32 s17, exec_lo
	v_cmpx_ne_u16_e32 0, v10
	s_cbranch_execz .LBB382_2589
; %bb.2582:                             ;   in Loop: Header=BB382_1574 Depth=1
	v_bfrev_b32_e32 v12, 1
	s_mov_b32 s18, exec_lo
	v_cmpx_ne_u16_e32 0x80, v10
	s_cbranch_execz .LBB382_2588
; %bb.2583:                             ;   in Loop: Header=BB382_1574 Depth=1
	v_bfe_u32 v16, v18, 16, 7
	v_mov_b32_e32 v12, 0x7f800001
	s_mov_b32 s20, exec_lo
	v_cmpx_ne_u32_e32 0x7f, v16
	s_cbranch_execz .LBB382_2587
; %bb.2584:                             ;   in Loop: Header=BB382_1574 Depth=1
	v_mov_b32_e32 v10, 7
	v_lshrrev_b32_e32 v12, 3, v16
	s_mov_b32 s21, exec_lo
	v_and_b32_sdwa v10, v18, v10 dst_sel:DWORD dst_unused:UNUSED_PAD src0_sel:WORD_1 src1_sel:DWORD
	v_mov_b32_e32 v21, v11
	v_mov_b32_e32 v20, v10
	v_cmpx_gt_u32_e32 8, v16
; %bb.2585:                             ;   in Loop: Header=BB382_1574 Depth=1
	v_ffbh_u32_e32 v12, v10
	v_min_u32_e32 v12, 32, v12
	v_subrev_nc_u32_e32 v16, 28, v12
	v_sub_nc_u32_e32 v12, 29, v12
	v_lshlrev_b64 v[16:17], v16, v[10:11]
	v_and_b32_e32 v20, 7, v16
; %bb.2586:                             ;   in Loop: Header=BB382_1574 Depth=1
	s_or_b32 exec_lo, exec_lo, s21
	v_mov_b32_e32 v10, 24
	v_lshlrev_b32_e32 v16, 20, v20
	v_lshl_add_u32 v12, v12, 23, 0x3c000000
	v_lshlrev_b32_sdwa v10, v10, v18 dst_sel:DWORD dst_unused:UNUSED_PAD src0_sel:DWORD src1_sel:WORD_1
	v_and_b32_e32 v10, 0x80000000, v10
	v_or3_b32 v12, v16, v10, v12
.LBB382_2587:                           ;   in Loop: Header=BB382_1574 Depth=1
	s_or_b32 exec_lo, exec_lo, s20
.LBB382_2588:                           ;   in Loop: Header=BB382_1574 Depth=1
	s_or_b32 exec_lo, exec_lo, s18
.LBB382_2589:                           ;   in Loop: Header=BB382_1574 Depth=1
	s_or_b32 exec_lo, exec_lo, s17
	s_mov_b32 s17, exec_lo
	v_cmpx_lt_u32_e32 0xffffff, v18
	s_cbranch_execz .LBB382_2597
; %bb.2590:                             ;   in Loop: Header=BB382_1574 Depth=1
	v_cmp_ne_u32_sdwa s4, v18, v98 src0_sel:BYTE_3 src1_sel:DWORD
	v_bfrev_b32_e32 v13, 1
	s_and_saveexec_b32 s18, s4
	s_cbranch_execz .LBB382_2596
; %bb.2591:                             ;   in Loop: Header=BB382_1574 Depth=1
	v_bfe_u32 v16, v18, 24, 7
	v_mov_b32_e32 v13, 0x7f800001
	s_mov_b32 s20, exec_lo
	v_cmpx_ne_u32_e32 0x7f, v16
	s_cbranch_execz .LBB382_2595
; %bb.2592:                             ;   in Loop: Header=BB382_1574 Depth=1
	v_mov_b32_e32 v10, 7
	v_lshrrev_b32_e32 v13, 3, v16
	s_mov_b32 s21, exec_lo
	v_and_b32_sdwa v10, v18, v10 dst_sel:DWORD dst_unused:UNUSED_PAD src0_sel:BYTE_3 src1_sel:DWORD
	v_mov_b32_e32 v21, v11
	v_mov_b32_e32 v20, v10
	v_cmpx_gt_u32_e32 8, v16
; %bb.2593:                             ;   in Loop: Header=BB382_1574 Depth=1
	v_ffbh_u32_e32 v13, v10
	v_min_u32_e32 v13, 32, v13
	v_subrev_nc_u32_e32 v16, 28, v13
	v_sub_nc_u32_e32 v13, 29, v13
	v_lshlrev_b64 v[16:17], v16, v[10:11]
	v_and_b32_e32 v20, 7, v16
; %bb.2594:                             ;   in Loop: Header=BB382_1574 Depth=1
	s_or_b32 exec_lo, exec_lo, s21
	v_mov_b32_e32 v10, 24
	v_lshlrev_b32_e32 v16, 20, v20
	v_lshl_add_u32 v13, v13, 23, 0x3c000000
	v_lshlrev_b32_sdwa v10, v10, v18 dst_sel:DWORD dst_unused:UNUSED_PAD src0_sel:DWORD src1_sel:BYTE_3
	v_and_b32_e32 v10, 0x80000000, v10
	v_or3_b32 v13, v16, v10, v13
.LBB382_2595:                           ;   in Loop: Header=BB382_1574 Depth=1
	s_or_b32 exec_lo, exec_lo, s20
.LBB382_2596:                           ;   in Loop: Header=BB382_1574 Depth=1
	s_or_b32 exec_lo, exec_lo, s18
.LBB382_2597:                           ;   in Loop: Header=BB382_1574 Depth=1
	s_or_b32 exec_lo, exec_lo, s17
	v_mov_b32_e32 v10, v19
	v_cmp_ne_u16_sdwa s4, v19, v11 src0_sel:BYTE_0 src1_sel:DWORD
	v_mov_b32_e32 v26, 0
	v_mov_b32_e32 v22, 0
	s_and_saveexec_b32 s17, s4
	s_cbranch_execz .LBB382_2605
; %bb.2598:                             ;   in Loop: Header=BB382_1574 Depth=1
	v_cmp_ne_u16_sdwa s4, v19, v98 src0_sel:BYTE_0 src1_sel:DWORD
	v_bfrev_b32_e32 v22, 1
	s_and_saveexec_b32 s18, s4
	s_cbranch_execz .LBB382_2604
; %bb.2599:                             ;   in Loop: Header=BB382_1574 Depth=1
	v_and_b32_e32 v17, 0x7f, v19
	v_mov_b32_e32 v22, 0x7f800001
	s_mov_b32 s20, exec_lo
	v_cmpx_ne_u32_e32 0x7f, v17
	s_cbranch_execz .LBB382_2603
; %bb.2600:                             ;   in Loop: Header=BB382_1574 Depth=1
	v_mov_b32_e32 v21, v11
	v_mov_b32_e32 v20, v10
	v_lshrrev_b32_e32 v16, 3, v17
	s_mov_b32 s21, exec_lo
	v_cmpx_gt_u32_e32 8, v17
; %bb.2601:                             ;   in Loop: Header=BB382_1574 Depth=1
	v_and_b32_e32 v16, 7, v19
	v_ffbh_u32_e32 v16, v16
	v_min_u32_e32 v16, 32, v16
	v_subrev_nc_u32_e32 v17, 28, v16
	v_sub_nc_u32_e32 v16, 29, v16
	v_lshlrev_b64 v[20:21], v17, v[10:11]
; %bb.2602:                             ;   in Loop: Header=BB382_1574 Depth=1
	s_or_b32 exec_lo, exec_lo, s21
	v_lshlrev_b32_e32 v17, 20, v20
	v_lshlrev_b32_e32 v20, 24, v10
	v_lshl_add_u32 v16, v16, 23, 0x3c000000
	v_and_b32_e32 v17, 0x700000, v17
	v_and_b32_e32 v20, 0x80000000, v20
	v_or3_b32 v22, v17, v20, v16
.LBB382_2603:                           ;   in Loop: Header=BB382_1574 Depth=1
	s_or_b32 exec_lo, exec_lo, s20
.LBB382_2604:                           ;   in Loop: Header=BB382_1574 Depth=1
	s_or_b32 exec_lo, exec_lo, s18
.LBB382_2605:                           ;   in Loop: Header=BB382_1574 Depth=1
	s_or_b32 exec_lo, exec_lo, s17
	v_cmp_ne_u16_sdwa s4, v10, v11 src0_sel:BYTE_1 src1_sel:DWORD
	s_and_saveexec_b32 s17, s4
	s_cbranch_execz .LBB382_2613
; %bb.2606:                             ;   in Loop: Header=BB382_1574 Depth=1
	v_cmp_ne_u16_sdwa s4, v10, v98 src0_sel:BYTE_1 src1_sel:DWORD
	v_bfrev_b32_e32 v26, 1
	s_and_saveexec_b32 s18, s4
	s_cbranch_execz .LBB382_2612
; %bb.2607:                             ;   in Loop: Header=BB382_1574 Depth=1
	v_mov_b32_e32 v16, 0xffff
	v_mov_b32_e32 v26, 0x7f800001
	s_mov_b32 s20, exec_lo
	v_and_b32_sdwa v16, v16, v10 dst_sel:DWORD dst_unused:UNUSED_PAD src0_sel:DWORD src1_sel:BYTE_1
	v_and_b32_e32 v17, 0x7f, v16
	v_cmpx_ne_u32_e32 0x7f, v17
	s_cbranch_execz .LBB382_2611
; %bb.2608:                             ;   in Loop: Header=BB382_1574 Depth=1
	v_and_b32_e32 v20, 7, v16
	v_mov_b32_e32 v21, v11
	v_lshrrev_b32_e32 v16, 3, v17
	s_mov_b32 s21, exec_lo
	v_cmpx_gt_u32_e32 8, v17
; %bb.2609:                             ;   in Loop: Header=BB382_1574 Depth=1
	v_ffbh_u32_e32 v16, v20
	v_min_u32_e32 v16, 32, v16
	v_subrev_nc_u32_e32 v17, 28, v16
	v_sub_nc_u32_e32 v16, 29, v16
	v_lshlrev_b64 v[20:21], v17, v[20:21]
	v_and_b32_e32 v20, 7, v20
; %bb.2610:                             ;   in Loop: Header=BB382_1574 Depth=1
	s_or_b32 exec_lo, exec_lo, s21
	v_lshlrev_b32_e32 v10, 16, v10
	v_lshlrev_b32_e32 v17, 20, v20
	v_lshl_add_u32 v16, v16, 23, 0x3c000000
	v_and_b32_e32 v10, 0x80000000, v10
	v_or3_b32 v26, v17, v10, v16
.LBB382_2611:                           ;   in Loop: Header=BB382_1574 Depth=1
	s_or_b32 exec_lo, exec_lo, s20
.LBB382_2612:                           ;   in Loop: Header=BB382_1574 Depth=1
	s_or_b32 exec_lo, exec_lo, s18
.LBB382_2613:                           ;   in Loop: Header=BB382_1574 Depth=1
	s_or_b32 exec_lo, exec_lo, s17
	v_and_b32_sdwa v10, v19, v100 dst_sel:DWORD dst_unused:UNUSED_PAD src0_sel:WORD_1 src1_sel:DWORD
	v_mov_b32_e32 v16, 0
	v_mov_b32_e32 v17, 0
	s_mov_b32 s17, exec_lo
	v_cmpx_ne_u16_e32 0, v10
	s_cbranch_execz .LBB382_2621
; %bb.2614:                             ;   in Loop: Header=BB382_1574 Depth=1
	v_bfrev_b32_e32 v17, 1
	s_mov_b32 s18, exec_lo
	v_cmpx_ne_u16_e32 0x80, v10
	s_cbranch_execz .LBB382_2620
; %bb.2615:                             ;   in Loop: Header=BB382_1574 Depth=1
	v_bfe_u32 v27, v19, 16, 7
	v_mov_b32_e32 v17, 0x7f800001
	s_mov_b32 s20, exec_lo
	v_cmpx_ne_u32_e32 0x7f, v27
	s_cbranch_execz .LBB382_2619
; %bb.2616:                             ;   in Loop: Header=BB382_1574 Depth=1
	v_mov_b32_e32 v10, 7
	v_lshrrev_b32_e32 v17, 3, v27
	s_mov_b32 s21, exec_lo
	v_and_b32_sdwa v10, v19, v10 dst_sel:DWORD dst_unused:UNUSED_PAD src0_sel:WORD_1 src1_sel:DWORD
	v_mov_b32_e32 v21, v11
	v_mov_b32_e32 v20, v10
	v_cmpx_gt_u32_e32 8, v27
; %bb.2617:                             ;   in Loop: Header=BB382_1574 Depth=1
	v_ffbh_u32_e32 v17, v10
	v_min_u32_e32 v17, 32, v17
	v_subrev_nc_u32_e32 v20, 28, v17
	v_sub_nc_u32_e32 v17, 29, v17
	v_lshlrev_b64 v[20:21], v20, v[10:11]
	v_and_b32_e32 v20, 7, v20
; %bb.2618:                             ;   in Loop: Header=BB382_1574 Depth=1
	s_or_b32 exec_lo, exec_lo, s21
	v_mov_b32_e32 v10, 24
	v_lshlrev_b32_e32 v20, 20, v20
	v_lshl_add_u32 v17, v17, 23, 0x3c000000
	v_lshlrev_b32_sdwa v10, v10, v19 dst_sel:DWORD dst_unused:UNUSED_PAD src0_sel:DWORD src1_sel:WORD_1
	v_and_b32_e32 v10, 0x80000000, v10
	v_or3_b32 v17, v20, v10, v17
.LBB382_2619:                           ;   in Loop: Header=BB382_1574 Depth=1
	s_or_b32 exec_lo, exec_lo, s20
.LBB382_2620:                           ;   in Loop: Header=BB382_1574 Depth=1
	s_or_b32 exec_lo, exec_lo, s18
.LBB382_2621:                           ;   in Loop: Header=BB382_1574 Depth=1
	s_or_b32 exec_lo, exec_lo, s17
	s_mov_b32 s17, exec_lo
	v_cmpx_lt_u64_e64 s[12:13], v[18:19]
	s_cbranch_execz .LBB382_2629
; %bb.2622:                             ;   in Loop: Header=BB382_1574 Depth=1
	v_cmp_ne_u32_sdwa s4, v19, v98 src0_sel:BYTE_3 src1_sel:DWORD
	v_bfrev_b32_e32 v16, 1
	s_and_saveexec_b32 s18, s4
	s_cbranch_execz .LBB382_2628
; %bb.2623:                             ;   in Loop: Header=BB382_1574 Depth=1
	v_bfe_u32 v18, v19, 24, 7
	v_mov_b32_e32 v16, 0x7f800001
	s_mov_b32 s20, exec_lo
	v_cmpx_ne_u32_e32 0x7f, v18
	s_cbranch_execz .LBB382_2627
; %bb.2624:                             ;   in Loop: Header=BB382_1574 Depth=1
	v_mov_b32_e32 v10, 7
	v_lshrrev_b32_e32 v16, 3, v18
	s_mov_b32 s21, exec_lo
	v_and_b32_sdwa v10, v19, v10 dst_sel:DWORD dst_unused:UNUSED_PAD src0_sel:BYTE_3 src1_sel:DWORD
	v_mov_b32_e32 v21, v11
	v_mov_b32_e32 v20, v10
	v_cmpx_gt_u32_e32 8, v18
; %bb.2625:                             ;   in Loop: Header=BB382_1574 Depth=1
	v_ffbh_u32_e32 v16, v10
	v_min_u32_e32 v16, 32, v16
	v_subrev_nc_u32_e32 v18, 28, v16
	v_sub_nc_u32_e32 v16, 29, v16
	v_lshlrev_b64 v[20:21], v18, v[10:11]
	v_and_b32_e32 v20, 7, v20
; %bb.2626:                             ;   in Loop: Header=BB382_1574 Depth=1
	s_or_b32 exec_lo, exec_lo, s21
	v_mov_b32_e32 v10, 24
	v_lshlrev_b32_e32 v18, 20, v20
	v_lshl_add_u32 v16, v16, 23, 0x3c000000
	v_lshlrev_b32_sdwa v10, v10, v19 dst_sel:DWORD dst_unused:UNUSED_PAD src0_sel:DWORD src1_sel:BYTE_3
	v_and_b32_e32 v10, 0x80000000, v10
	v_or3_b32 v16, v18, v10, v16
.LBB382_2627:                           ;   in Loop: Header=BB382_1574 Depth=1
	s_or_b32 exec_lo, exec_lo, s20
.LBB382_2628:                           ;   in Loop: Header=BB382_1574 Depth=1
	s_or_b32 exec_lo, exec_lo, s18
.LBB382_2629:                           ;   in Loop: Header=BB382_1574 Depth=1
	s_or_b32 exec_lo, exec_lo, s17
	v_mul_f32_e32 v10, v106, v26
	v_mul_f32_e32 v5, v106, v5
	;; [unrolled: 1-line block ×3, first 2 shown]
	v_bfe_u32 v18, v10, 16, 1
	v_or_b32_e32 v19, 0x400000, v10
	v_cmp_u_f32_e64 s4, v10, v10
	v_add3_u32 v18, v18, v10, 0x7fff
	v_cndmask_b32_e64 v10, v18, v19, s4
	v_lshrrev_b32_e32 v75, 16, v10
	v_mul_f32_e32 v10, v106, v22
	v_bfe_u32 v18, v10, 16, 1
	v_or_b32_e32 v19, 0x400000, v10
	v_cmp_u_f32_e64 s4, v10, v10
	v_add3_u32 v18, v18, v10, 0x7fff
	v_cndmask_b32_e64 v10, v18, v19, s4
	v_lshrrev_b32_e32 v76, 16, v10
	v_mul_f32_e32 v10, v106, v13
	;; [unrolled: 7-line block ×3, first 2 shown]
	v_bfe_u32 v12, v10, 16, 1
	v_or_b32_e32 v13, 0x400000, v10
	v_cmp_u_f32_e64 s4, v10, v10
	v_add3_u32 v12, v12, v10, 0x7fff
	v_cndmask_b32_e64 v10, v12, v13, s4
	v_or_b32_e32 v12, 0x400000, v5
	v_cmp_u_f32_e64 s4, v5, v5
	v_lshrrev_b32_e32 v78, 16, v10
	v_bfe_u32 v10, v5, 16, 1
	v_add3_u32 v10, v10, v5, 0x7fff
	v_cndmask_b32_e64 v5, v10, v12, s4
	v_or_b32_e32 v10, 0x400000, v4
	v_cmp_u_f32_e64 s4, v4, v4
	v_lshrrev_b32_e32 v88, 16, v5
	v_bfe_u32 v5, v4, 16, 1
	v_add3_u32 v5, v5, v4, 0x7fff
	v_cndmask_b32_e64 v4, v5, v10, s4
	v_lshrrev_b32_e32 v89, 16, v4
	v_mul_f32_e32 v4, v106, v17
	v_bfe_u32 v5, v4, 16, 1
	v_or_b32_e32 v10, 0x400000, v4
	v_cmp_u_f32_e64 s4, v4, v4
	v_add3_u32 v5, v5, v4, 0x7fff
	v_cndmask_b32_e64 v4, v5, v10, s4
	v_lshrrev_b32_e32 v79, 16, v4
	v_mul_f32_e32 v4, v106, v16
	v_bfe_u32 v5, v4, 16, 1
	v_or_b32_e32 v10, 0x400000, v4
	v_cmp_u_f32_e64 s4, v4, v4
	v_add3_u32 v5, v5, v4, 0x7fff
	v_cndmask_b32_e64 v4, v5, v10, s4
	v_lshrrev_b32_e32 v90, 16, v4
	s_and_saveexec_b32 s17, vcc_lo
	s_cbranch_execz .LBB382_2631
; %bb.2630:                             ;   in Loop: Header=BB382_1574 Depth=1
	v_cmp_lt_i32_e64 s4, v105, v92
	v_cndmask_b32_e64 v89, 0, v89, s4
	v_cmp_lt_i32_e64 s4, v126, v92
	v_cndmask_b32_e64 v88, 0, v88, s4
	;; [unrolled: 2-line block ×8, first 2 shown]
.LBB382_2631:                           ;   in Loop: Header=BB382_1574 Depth=1
	s_or_b32 exec_lo, exec_lo, s17
	v_add_co_u32 v14, s4, 0x1000, v14
	v_add_co_ci_u32_e64 v15, null, 0, v15, s4
	v_mov_b32_e32 v5, 0
	v_mov_b32_e32 v4, 0
	flat_load_dwordx2 v[18:19], v[14:15]
	s_waitcnt vmcnt(0) lgkmcnt(0)
	v_cmp_ne_u16_sdwa s4, v18, v11 src0_sel:BYTE_0 src1_sel:DWORD
	s_and_saveexec_b32 s17, s4
	s_cbranch_execz .LBB382_2639
; %bb.2632:                             ;   in Loop: Header=BB382_1574 Depth=1
	v_cmp_ne_u16_sdwa s4, v18, v98 src0_sel:BYTE_0 src1_sel:DWORD
	v_bfrev_b32_e32 v4, 1
	s_and_saveexec_b32 s18, s4
	s_cbranch_execz .LBB382_2638
; %bb.2633:                             ;   in Loop: Header=BB382_1574 Depth=1
	v_and_b32_e32 v10, 0x7f, v18
	v_mov_b32_e32 v4, 0x7f800001
	s_mov_b32 s20, exec_lo
	v_cmpx_ne_u32_e32 0x7f, v10
	s_cbranch_execz .LBB382_2637
; %bb.2634:                             ;   in Loop: Header=BB382_1574 Depth=1
	v_mov_b32_e32 v21, v19
	v_lshrrev_b32_e32 v4, 3, v10
	v_mov_b32_e32 v20, v18
	s_mov_b32 s21, exec_lo
	v_cmpx_gt_u32_e32 8, v10
; %bb.2635:                             ;   in Loop: Header=BB382_1574 Depth=1
	v_and_b32_e32 v4, 7, v18
	v_ffbh_u32_e32 v4, v4
	v_min_u32_e32 v4, 32, v4
	v_subrev_nc_u32_e32 v10, 28, v4
	v_sub_nc_u32_e32 v4, 29, v4
	v_lshlrev_b64 v[20:21], v10, v[18:19]
; %bb.2636:                             ;   in Loop: Header=BB382_1574 Depth=1
	s_or_b32 exec_lo, exec_lo, s21
	v_lshlrev_b32_e32 v10, 20, v20
	v_lshlrev_b32_e32 v12, 24, v18
	v_lshl_add_u32 v4, v4, 23, 0x3c000000
	v_and_b32_e32 v10, 0x700000, v10
	v_and_b32_e32 v12, 0x80000000, v12
	v_or3_b32 v4, v10, v12, v4
.LBB382_2637:                           ;   in Loop: Header=BB382_1574 Depth=1
	s_or_b32 exec_lo, exec_lo, s20
.LBB382_2638:                           ;   in Loop: Header=BB382_1574 Depth=1
	s_or_b32 exec_lo, exec_lo, s18
.LBB382_2639:                           ;   in Loop: Header=BB382_1574 Depth=1
	s_or_b32 exec_lo, exec_lo, s17
	v_cmp_ne_u16_sdwa s4, v18, v11 src0_sel:BYTE_1 src1_sel:DWORD
	s_and_saveexec_b32 s17, s4
	s_cbranch_execz .LBB382_2647
; %bb.2640:                             ;   in Loop: Header=BB382_1574 Depth=1
	v_cmp_ne_u16_sdwa s4, v18, v98 src0_sel:BYTE_1 src1_sel:DWORD
	v_bfrev_b32_e32 v5, 1
	s_and_saveexec_b32 s18, s4
	s_cbranch_execz .LBB382_2646
; %bb.2641:                             ;   in Loop: Header=BB382_1574 Depth=1
	v_mov_b32_e32 v5, 0xffff
	s_mov_b32 s20, exec_lo
	v_and_b32_sdwa v10, v5, v18 dst_sel:DWORD dst_unused:UNUSED_PAD src0_sel:DWORD src1_sel:BYTE_1
	v_mov_b32_e32 v5, 0x7f800001
	v_and_b32_e32 v12, 0x7f, v10
	v_cmpx_ne_u32_e32 0x7f, v12
	s_cbranch_execz .LBB382_2645
; %bb.2642:                             ;   in Loop: Header=BB382_1574 Depth=1
	v_and_b32_e32 v10, 7, v10
	v_mov_b32_e32 v21, v11
	v_lshrrev_b32_e32 v5, 3, v12
	s_mov_b32 s21, exec_lo
	v_mov_b32_e32 v20, v10
	v_cmpx_gt_u32_e32 8, v12
; %bb.2643:                             ;   in Loop: Header=BB382_1574 Depth=1
	v_ffbh_u32_e32 v5, v10
	v_min_u32_e32 v5, 32, v5
	v_subrev_nc_u32_e32 v12, 28, v5
	v_sub_nc_u32_e32 v5, 29, v5
	v_lshlrev_b64 v[12:13], v12, v[10:11]
	v_and_b32_e32 v20, 7, v12
; %bb.2644:                             ;   in Loop: Header=BB382_1574 Depth=1
	s_or_b32 exec_lo, exec_lo, s21
	v_lshlrev_b32_e32 v10, 16, v18
	v_lshlrev_b32_e32 v12, 20, v20
	v_lshl_add_u32 v5, v5, 23, 0x3c000000
	v_and_b32_e32 v10, 0x80000000, v10
	v_or3_b32 v5, v12, v10, v5
.LBB382_2645:                           ;   in Loop: Header=BB382_1574 Depth=1
	s_or_b32 exec_lo, exec_lo, s20
.LBB382_2646:                           ;   in Loop: Header=BB382_1574 Depth=1
	s_or_b32 exec_lo, exec_lo, s18
.LBB382_2647:                           ;   in Loop: Header=BB382_1574 Depth=1
	s_or_b32 exec_lo, exec_lo, s17
	v_and_b32_sdwa v10, v18, v100 dst_sel:DWORD dst_unused:UNUSED_PAD src0_sel:WORD_1 src1_sel:DWORD
	v_mov_b32_e32 v13, 0
	v_mov_b32_e32 v12, 0
	s_mov_b32 s17, exec_lo
	v_cmpx_ne_u16_e32 0, v10
	s_cbranch_execz .LBB382_2655
; %bb.2648:                             ;   in Loop: Header=BB382_1574 Depth=1
	v_bfrev_b32_e32 v12, 1
	s_mov_b32 s18, exec_lo
	v_cmpx_ne_u16_e32 0x80, v10
	s_cbranch_execz .LBB382_2654
; %bb.2649:                             ;   in Loop: Header=BB382_1574 Depth=1
	v_bfe_u32 v16, v18, 16, 7
	v_mov_b32_e32 v12, 0x7f800001
	s_mov_b32 s20, exec_lo
	v_cmpx_ne_u32_e32 0x7f, v16
	s_cbranch_execz .LBB382_2653
; %bb.2650:                             ;   in Loop: Header=BB382_1574 Depth=1
	v_mov_b32_e32 v10, 7
	v_lshrrev_b32_e32 v12, 3, v16
	s_mov_b32 s21, exec_lo
	v_and_b32_sdwa v10, v18, v10 dst_sel:DWORD dst_unused:UNUSED_PAD src0_sel:WORD_1 src1_sel:DWORD
	v_mov_b32_e32 v21, v11
	v_mov_b32_e32 v20, v10
	v_cmpx_gt_u32_e32 8, v16
; %bb.2651:                             ;   in Loop: Header=BB382_1574 Depth=1
	v_ffbh_u32_e32 v12, v10
	v_min_u32_e32 v12, 32, v12
	v_subrev_nc_u32_e32 v16, 28, v12
	v_sub_nc_u32_e32 v12, 29, v12
	v_lshlrev_b64 v[16:17], v16, v[10:11]
	v_and_b32_e32 v20, 7, v16
; %bb.2652:                             ;   in Loop: Header=BB382_1574 Depth=1
	s_or_b32 exec_lo, exec_lo, s21
	v_mov_b32_e32 v10, 24
	v_lshlrev_b32_e32 v16, 20, v20
	v_lshl_add_u32 v12, v12, 23, 0x3c000000
	v_lshlrev_b32_sdwa v10, v10, v18 dst_sel:DWORD dst_unused:UNUSED_PAD src0_sel:DWORD src1_sel:WORD_1
	v_and_b32_e32 v10, 0x80000000, v10
	v_or3_b32 v12, v16, v10, v12
.LBB382_2653:                           ;   in Loop: Header=BB382_1574 Depth=1
	s_or_b32 exec_lo, exec_lo, s20
.LBB382_2654:                           ;   in Loop: Header=BB382_1574 Depth=1
	s_or_b32 exec_lo, exec_lo, s18
.LBB382_2655:                           ;   in Loop: Header=BB382_1574 Depth=1
	s_or_b32 exec_lo, exec_lo, s17
	s_mov_b32 s17, exec_lo
	v_cmpx_lt_u32_e32 0xffffff, v18
	s_cbranch_execz .LBB382_2663
; %bb.2656:                             ;   in Loop: Header=BB382_1574 Depth=1
	v_cmp_ne_u32_sdwa s4, v18, v98 src0_sel:BYTE_3 src1_sel:DWORD
	v_bfrev_b32_e32 v13, 1
	s_and_saveexec_b32 s18, s4
	s_cbranch_execz .LBB382_2662
; %bb.2657:                             ;   in Loop: Header=BB382_1574 Depth=1
	v_bfe_u32 v16, v18, 24, 7
	v_mov_b32_e32 v13, 0x7f800001
	s_mov_b32 s20, exec_lo
	v_cmpx_ne_u32_e32 0x7f, v16
	s_cbranch_execz .LBB382_2661
; %bb.2658:                             ;   in Loop: Header=BB382_1574 Depth=1
	v_mov_b32_e32 v10, 7
	v_lshrrev_b32_e32 v13, 3, v16
	s_mov_b32 s21, exec_lo
	v_and_b32_sdwa v10, v18, v10 dst_sel:DWORD dst_unused:UNUSED_PAD src0_sel:BYTE_3 src1_sel:DWORD
	v_mov_b32_e32 v21, v11
	v_mov_b32_e32 v20, v10
	v_cmpx_gt_u32_e32 8, v16
; %bb.2659:                             ;   in Loop: Header=BB382_1574 Depth=1
	v_ffbh_u32_e32 v13, v10
	v_min_u32_e32 v13, 32, v13
	v_subrev_nc_u32_e32 v16, 28, v13
	v_sub_nc_u32_e32 v13, 29, v13
	v_lshlrev_b64 v[16:17], v16, v[10:11]
	v_and_b32_e32 v20, 7, v16
; %bb.2660:                             ;   in Loop: Header=BB382_1574 Depth=1
	s_or_b32 exec_lo, exec_lo, s21
	v_mov_b32_e32 v10, 24
	v_lshlrev_b32_e32 v16, 20, v20
	v_lshl_add_u32 v13, v13, 23, 0x3c000000
	v_lshlrev_b32_sdwa v10, v10, v18 dst_sel:DWORD dst_unused:UNUSED_PAD src0_sel:DWORD src1_sel:BYTE_3
	v_and_b32_e32 v10, 0x80000000, v10
	v_or3_b32 v13, v16, v10, v13
.LBB382_2661:                           ;   in Loop: Header=BB382_1574 Depth=1
	s_or_b32 exec_lo, exec_lo, s20
.LBB382_2662:                           ;   in Loop: Header=BB382_1574 Depth=1
	s_or_b32 exec_lo, exec_lo, s18
.LBB382_2663:                           ;   in Loop: Header=BB382_1574 Depth=1
	s_or_b32 exec_lo, exec_lo, s17
	v_mov_b32_e32 v10, v19
	v_cmp_ne_u16_sdwa s4, v19, v11 src0_sel:BYTE_0 src1_sel:DWORD
	v_mov_b32_e32 v26, 0
	v_mov_b32_e32 v22, 0
	s_and_saveexec_b32 s17, s4
	s_cbranch_execz .LBB382_2671
; %bb.2664:                             ;   in Loop: Header=BB382_1574 Depth=1
	v_cmp_ne_u16_sdwa s4, v19, v98 src0_sel:BYTE_0 src1_sel:DWORD
	v_bfrev_b32_e32 v22, 1
	s_and_saveexec_b32 s18, s4
	s_cbranch_execz .LBB382_2670
; %bb.2665:                             ;   in Loop: Header=BB382_1574 Depth=1
	v_and_b32_e32 v17, 0x7f, v19
	v_mov_b32_e32 v22, 0x7f800001
	s_mov_b32 s20, exec_lo
	v_cmpx_ne_u32_e32 0x7f, v17
	s_cbranch_execz .LBB382_2669
; %bb.2666:                             ;   in Loop: Header=BB382_1574 Depth=1
	v_mov_b32_e32 v21, v11
	v_mov_b32_e32 v20, v10
	v_lshrrev_b32_e32 v16, 3, v17
	s_mov_b32 s21, exec_lo
	v_cmpx_gt_u32_e32 8, v17
; %bb.2667:                             ;   in Loop: Header=BB382_1574 Depth=1
	v_and_b32_e32 v16, 7, v19
	v_ffbh_u32_e32 v16, v16
	v_min_u32_e32 v16, 32, v16
	v_subrev_nc_u32_e32 v17, 28, v16
	v_sub_nc_u32_e32 v16, 29, v16
	v_lshlrev_b64 v[20:21], v17, v[10:11]
; %bb.2668:                             ;   in Loop: Header=BB382_1574 Depth=1
	s_or_b32 exec_lo, exec_lo, s21
	v_lshlrev_b32_e32 v17, 20, v20
	v_lshlrev_b32_e32 v20, 24, v10
	v_lshl_add_u32 v16, v16, 23, 0x3c000000
	v_and_b32_e32 v17, 0x700000, v17
	v_and_b32_e32 v20, 0x80000000, v20
	v_or3_b32 v22, v17, v20, v16
.LBB382_2669:                           ;   in Loop: Header=BB382_1574 Depth=1
	s_or_b32 exec_lo, exec_lo, s20
.LBB382_2670:                           ;   in Loop: Header=BB382_1574 Depth=1
	s_or_b32 exec_lo, exec_lo, s18
.LBB382_2671:                           ;   in Loop: Header=BB382_1574 Depth=1
	s_or_b32 exec_lo, exec_lo, s17
	v_cmp_ne_u16_sdwa s4, v10, v11 src0_sel:BYTE_1 src1_sel:DWORD
	s_and_saveexec_b32 s17, s4
	s_cbranch_execz .LBB382_2679
; %bb.2672:                             ;   in Loop: Header=BB382_1574 Depth=1
	v_cmp_ne_u16_sdwa s4, v10, v98 src0_sel:BYTE_1 src1_sel:DWORD
	v_bfrev_b32_e32 v26, 1
	s_and_saveexec_b32 s18, s4
	s_cbranch_execz .LBB382_2678
; %bb.2673:                             ;   in Loop: Header=BB382_1574 Depth=1
	v_mov_b32_e32 v16, 0xffff
	v_mov_b32_e32 v26, 0x7f800001
	s_mov_b32 s20, exec_lo
	v_and_b32_sdwa v16, v16, v10 dst_sel:DWORD dst_unused:UNUSED_PAD src0_sel:DWORD src1_sel:BYTE_1
	v_and_b32_e32 v17, 0x7f, v16
	v_cmpx_ne_u32_e32 0x7f, v17
	s_cbranch_execz .LBB382_2677
; %bb.2674:                             ;   in Loop: Header=BB382_1574 Depth=1
	v_and_b32_e32 v20, 7, v16
	v_mov_b32_e32 v21, v11
	v_lshrrev_b32_e32 v16, 3, v17
	s_mov_b32 s21, exec_lo
	v_cmpx_gt_u32_e32 8, v17
; %bb.2675:                             ;   in Loop: Header=BB382_1574 Depth=1
	v_ffbh_u32_e32 v16, v20
	v_min_u32_e32 v16, 32, v16
	v_subrev_nc_u32_e32 v17, 28, v16
	v_sub_nc_u32_e32 v16, 29, v16
	v_lshlrev_b64 v[20:21], v17, v[20:21]
	v_and_b32_e32 v20, 7, v20
; %bb.2676:                             ;   in Loop: Header=BB382_1574 Depth=1
	s_or_b32 exec_lo, exec_lo, s21
	v_lshlrev_b32_e32 v10, 16, v10
	v_lshlrev_b32_e32 v17, 20, v20
	v_lshl_add_u32 v16, v16, 23, 0x3c000000
	v_and_b32_e32 v10, 0x80000000, v10
	v_or3_b32 v26, v17, v10, v16
.LBB382_2677:                           ;   in Loop: Header=BB382_1574 Depth=1
	s_or_b32 exec_lo, exec_lo, s20
.LBB382_2678:                           ;   in Loop: Header=BB382_1574 Depth=1
	s_or_b32 exec_lo, exec_lo, s18
.LBB382_2679:                           ;   in Loop: Header=BB382_1574 Depth=1
	s_or_b32 exec_lo, exec_lo, s17
	v_and_b32_sdwa v10, v19, v100 dst_sel:DWORD dst_unused:UNUSED_PAD src0_sel:WORD_1 src1_sel:DWORD
	v_mov_b32_e32 v16, 0
	v_mov_b32_e32 v17, 0
	s_mov_b32 s17, exec_lo
	v_cmpx_ne_u16_e32 0, v10
	s_cbranch_execz .LBB382_2687
; %bb.2680:                             ;   in Loop: Header=BB382_1574 Depth=1
	v_bfrev_b32_e32 v17, 1
	s_mov_b32 s18, exec_lo
	v_cmpx_ne_u16_e32 0x80, v10
	s_cbranch_execz .LBB382_2686
; %bb.2681:                             ;   in Loop: Header=BB382_1574 Depth=1
	v_bfe_u32 v27, v19, 16, 7
	v_mov_b32_e32 v17, 0x7f800001
	s_mov_b32 s20, exec_lo
	v_cmpx_ne_u32_e32 0x7f, v27
	s_cbranch_execz .LBB382_2685
; %bb.2682:                             ;   in Loop: Header=BB382_1574 Depth=1
	v_mov_b32_e32 v10, 7
	v_lshrrev_b32_e32 v17, 3, v27
	s_mov_b32 s21, exec_lo
	v_and_b32_sdwa v10, v19, v10 dst_sel:DWORD dst_unused:UNUSED_PAD src0_sel:WORD_1 src1_sel:DWORD
	v_mov_b32_e32 v21, v11
	v_mov_b32_e32 v20, v10
	v_cmpx_gt_u32_e32 8, v27
; %bb.2683:                             ;   in Loop: Header=BB382_1574 Depth=1
	v_ffbh_u32_e32 v17, v10
	v_min_u32_e32 v17, 32, v17
	v_subrev_nc_u32_e32 v20, 28, v17
	v_sub_nc_u32_e32 v17, 29, v17
	v_lshlrev_b64 v[20:21], v20, v[10:11]
	v_and_b32_e32 v20, 7, v20
; %bb.2684:                             ;   in Loop: Header=BB382_1574 Depth=1
	s_or_b32 exec_lo, exec_lo, s21
	v_mov_b32_e32 v10, 24
	v_lshlrev_b32_e32 v20, 20, v20
	v_lshl_add_u32 v17, v17, 23, 0x3c000000
	v_lshlrev_b32_sdwa v10, v10, v19 dst_sel:DWORD dst_unused:UNUSED_PAD src0_sel:DWORD src1_sel:WORD_1
	v_and_b32_e32 v10, 0x80000000, v10
	v_or3_b32 v17, v20, v10, v17
.LBB382_2685:                           ;   in Loop: Header=BB382_1574 Depth=1
	s_or_b32 exec_lo, exec_lo, s20
.LBB382_2686:                           ;   in Loop: Header=BB382_1574 Depth=1
	s_or_b32 exec_lo, exec_lo, s18
.LBB382_2687:                           ;   in Loop: Header=BB382_1574 Depth=1
	s_or_b32 exec_lo, exec_lo, s17
	s_mov_b32 s17, exec_lo
	v_cmpx_lt_u64_e64 s[12:13], v[18:19]
	s_cbranch_execz .LBB382_2695
; %bb.2688:                             ;   in Loop: Header=BB382_1574 Depth=1
	v_cmp_ne_u32_sdwa s4, v19, v98 src0_sel:BYTE_3 src1_sel:DWORD
	v_bfrev_b32_e32 v16, 1
	s_and_saveexec_b32 s18, s4
	s_cbranch_execz .LBB382_2694
; %bb.2689:                             ;   in Loop: Header=BB382_1574 Depth=1
	v_bfe_u32 v18, v19, 24, 7
	v_mov_b32_e32 v16, 0x7f800001
	s_mov_b32 s20, exec_lo
	v_cmpx_ne_u32_e32 0x7f, v18
	s_cbranch_execz .LBB382_2693
; %bb.2690:                             ;   in Loop: Header=BB382_1574 Depth=1
	v_mov_b32_e32 v10, 7
	v_lshrrev_b32_e32 v16, 3, v18
	s_mov_b32 s21, exec_lo
	v_and_b32_sdwa v10, v19, v10 dst_sel:DWORD dst_unused:UNUSED_PAD src0_sel:BYTE_3 src1_sel:DWORD
	v_mov_b32_e32 v21, v11
	v_mov_b32_e32 v20, v10
	v_cmpx_gt_u32_e32 8, v18
; %bb.2691:                             ;   in Loop: Header=BB382_1574 Depth=1
	v_ffbh_u32_e32 v16, v10
	v_min_u32_e32 v16, 32, v16
	v_subrev_nc_u32_e32 v18, 28, v16
	v_sub_nc_u32_e32 v16, 29, v16
	v_lshlrev_b64 v[20:21], v18, v[10:11]
	v_and_b32_e32 v20, 7, v20
; %bb.2692:                             ;   in Loop: Header=BB382_1574 Depth=1
	s_or_b32 exec_lo, exec_lo, s21
	v_mov_b32_e32 v10, 24
	v_lshlrev_b32_e32 v18, 20, v20
	v_lshl_add_u32 v16, v16, 23, 0x3c000000
	v_lshlrev_b32_sdwa v10, v10, v19 dst_sel:DWORD dst_unused:UNUSED_PAD src0_sel:DWORD src1_sel:BYTE_3
	v_and_b32_e32 v10, 0x80000000, v10
	v_or3_b32 v16, v18, v10, v16
.LBB382_2693:                           ;   in Loop: Header=BB382_1574 Depth=1
	s_or_b32 exec_lo, exec_lo, s20
.LBB382_2694:                           ;   in Loop: Header=BB382_1574 Depth=1
	s_or_b32 exec_lo, exec_lo, s18
.LBB382_2695:                           ;   in Loop: Header=BB382_1574 Depth=1
	s_or_b32 exec_lo, exec_lo, s17
	v_mul_f32_e32 v10, v106, v26
	v_mul_f32_e32 v5, v106, v5
	;; [unrolled: 1-line block ×3, first 2 shown]
	v_bfe_u32 v18, v10, 16, 1
	v_or_b32_e32 v19, 0x400000, v10
	v_cmp_u_f32_e64 s4, v10, v10
	v_add3_u32 v18, v18, v10, 0x7fff
	v_cndmask_b32_e64 v10, v18, v19, s4
	v_lshrrev_b32_e32 v38, 16, v10
	v_mul_f32_e32 v10, v106, v22
	v_bfe_u32 v18, v10, 16, 1
	v_or_b32_e32 v19, 0x400000, v10
	v_cmp_u_f32_e64 s4, v10, v10
	v_add3_u32 v18, v18, v10, 0x7fff
	v_cndmask_b32_e64 v10, v18, v19, s4
	v_lshrrev_b32_e32 v87, 16, v10
	v_mul_f32_e32 v10, v106, v13
	;; [unrolled: 7-line block ×3, first 2 shown]
	v_bfe_u32 v12, v10, 16, 1
	v_or_b32_e32 v13, 0x400000, v10
	v_cmp_u_f32_e64 s4, v10, v10
	v_add3_u32 v12, v12, v10, 0x7fff
	v_cndmask_b32_e64 v10, v12, v13, s4
	v_or_b32_e32 v12, 0x400000, v5
	v_cmp_u_f32_e64 s4, v5, v5
	v_lshrrev_b32_e32 v94, 16, v10
	v_bfe_u32 v10, v5, 16, 1
	v_add3_u32 v10, v10, v5, 0x7fff
	v_cndmask_b32_e64 v5, v10, v12, s4
	v_or_b32_e32 v10, 0x400000, v4
	v_cmp_u_f32_e64 s4, v4, v4
	v_lshrrev_b32_e32 v104, 16, v5
	v_bfe_u32 v5, v4, 16, 1
	v_add3_u32 v5, v5, v4, 0x7fff
	v_cndmask_b32_e64 v4, v5, v10, s4
	v_lshrrev_b32_e32 v107, 16, v4
	v_mul_f32_e32 v4, v106, v17
	v_bfe_u32 v5, v4, 16, 1
	v_or_b32_e32 v10, 0x400000, v4
	v_cmp_u_f32_e64 s4, v4, v4
	v_add3_u32 v5, v5, v4, 0x7fff
	v_cndmask_b32_e64 v4, v5, v10, s4
	v_lshrrev_b32_e32 v95, 16, v4
	v_mul_f32_e32 v4, v106, v16
	v_bfe_u32 v5, v4, 16, 1
	v_or_b32_e32 v10, 0x400000, v4
	v_cmp_u_f32_e64 s4, v4, v4
	v_add3_u32 v5, v5, v4, 0x7fff
	v_cndmask_b32_e64 v4, v5, v10, s4
	v_lshrrev_b32_e32 v108, 16, v4
	s_and_saveexec_b32 s17, vcc_lo
	s_cbranch_execz .LBB382_2697
; %bb.2696:                             ;   in Loop: Header=BB382_1574 Depth=1
	v_cmp_lt_i32_e64 s4, v105, v92
	v_cndmask_b32_e64 v107, 0, v107, s4
	v_cmp_lt_i32_e64 s4, v126, v92
	v_cndmask_b32_e64 v104, 0, v104, s4
	;; [unrolled: 2-line block ×8, first 2 shown]
.LBB382_2697:                           ;   in Loop: Header=BB382_1574 Depth=1
	s_or_b32 exec_lo, exec_lo, s17
	flat_load_dwordx2 v[18:19], v[14:15] offset:256
	v_mov_b32_e32 v5, 0
	v_mov_b32_e32 v4, 0
	s_waitcnt vmcnt(0) lgkmcnt(0)
	v_cmp_ne_u16_sdwa s4, v18, v11 src0_sel:BYTE_0 src1_sel:DWORD
	s_and_saveexec_b32 s17, s4
	s_cbranch_execz .LBB382_2705
; %bb.2698:                             ;   in Loop: Header=BB382_1574 Depth=1
	v_cmp_ne_u16_sdwa s4, v18, v98 src0_sel:BYTE_0 src1_sel:DWORD
	v_bfrev_b32_e32 v4, 1
	s_and_saveexec_b32 s18, s4
	s_cbranch_execz .LBB382_2704
; %bb.2699:                             ;   in Loop: Header=BB382_1574 Depth=1
	v_and_b32_e32 v10, 0x7f, v18
	v_mov_b32_e32 v4, 0x7f800001
	s_mov_b32 s20, exec_lo
	v_cmpx_ne_u32_e32 0x7f, v10
	s_cbranch_execz .LBB382_2703
; %bb.2700:                             ;   in Loop: Header=BB382_1574 Depth=1
	v_mov_b32_e32 v21, v19
	v_lshrrev_b32_e32 v4, 3, v10
	v_mov_b32_e32 v20, v18
	s_mov_b32 s21, exec_lo
	v_cmpx_gt_u32_e32 8, v10
; %bb.2701:                             ;   in Loop: Header=BB382_1574 Depth=1
	v_and_b32_e32 v4, 7, v18
	v_ffbh_u32_e32 v4, v4
	v_min_u32_e32 v4, 32, v4
	v_subrev_nc_u32_e32 v10, 28, v4
	v_sub_nc_u32_e32 v4, 29, v4
	v_lshlrev_b64 v[20:21], v10, v[18:19]
; %bb.2702:                             ;   in Loop: Header=BB382_1574 Depth=1
	s_or_b32 exec_lo, exec_lo, s21
	v_lshlrev_b32_e32 v10, 20, v20
	v_lshlrev_b32_e32 v12, 24, v18
	v_lshl_add_u32 v4, v4, 23, 0x3c000000
	v_and_b32_e32 v10, 0x700000, v10
	v_and_b32_e32 v12, 0x80000000, v12
	v_or3_b32 v4, v10, v12, v4
.LBB382_2703:                           ;   in Loop: Header=BB382_1574 Depth=1
	s_or_b32 exec_lo, exec_lo, s20
.LBB382_2704:                           ;   in Loop: Header=BB382_1574 Depth=1
	s_or_b32 exec_lo, exec_lo, s18
.LBB382_2705:                           ;   in Loop: Header=BB382_1574 Depth=1
	s_or_b32 exec_lo, exec_lo, s17
	v_cmp_ne_u16_sdwa s4, v18, v11 src0_sel:BYTE_1 src1_sel:DWORD
	s_and_saveexec_b32 s17, s4
	s_cbranch_execz .LBB382_2713
; %bb.2706:                             ;   in Loop: Header=BB382_1574 Depth=1
	v_cmp_ne_u16_sdwa s4, v18, v98 src0_sel:BYTE_1 src1_sel:DWORD
	v_bfrev_b32_e32 v5, 1
	s_and_saveexec_b32 s18, s4
	s_cbranch_execz .LBB382_2712
; %bb.2707:                             ;   in Loop: Header=BB382_1574 Depth=1
	v_mov_b32_e32 v5, 0xffff
	s_mov_b32 s20, exec_lo
	v_and_b32_sdwa v10, v5, v18 dst_sel:DWORD dst_unused:UNUSED_PAD src0_sel:DWORD src1_sel:BYTE_1
	v_mov_b32_e32 v5, 0x7f800001
	v_and_b32_e32 v12, 0x7f, v10
	v_cmpx_ne_u32_e32 0x7f, v12
	s_cbranch_execz .LBB382_2711
; %bb.2708:                             ;   in Loop: Header=BB382_1574 Depth=1
	v_and_b32_e32 v10, 7, v10
	v_mov_b32_e32 v21, v11
	v_lshrrev_b32_e32 v5, 3, v12
	s_mov_b32 s21, exec_lo
	v_mov_b32_e32 v20, v10
	v_cmpx_gt_u32_e32 8, v12
; %bb.2709:                             ;   in Loop: Header=BB382_1574 Depth=1
	v_ffbh_u32_e32 v5, v10
	v_min_u32_e32 v5, 32, v5
	v_subrev_nc_u32_e32 v12, 28, v5
	v_sub_nc_u32_e32 v5, 29, v5
	v_lshlrev_b64 v[12:13], v12, v[10:11]
	v_and_b32_e32 v20, 7, v12
; %bb.2710:                             ;   in Loop: Header=BB382_1574 Depth=1
	s_or_b32 exec_lo, exec_lo, s21
	v_lshlrev_b32_e32 v10, 16, v18
	v_lshlrev_b32_e32 v12, 20, v20
	v_lshl_add_u32 v5, v5, 23, 0x3c000000
	v_and_b32_e32 v10, 0x80000000, v10
	v_or3_b32 v5, v12, v10, v5
.LBB382_2711:                           ;   in Loop: Header=BB382_1574 Depth=1
	s_or_b32 exec_lo, exec_lo, s20
.LBB382_2712:                           ;   in Loop: Header=BB382_1574 Depth=1
	s_or_b32 exec_lo, exec_lo, s18
.LBB382_2713:                           ;   in Loop: Header=BB382_1574 Depth=1
	s_or_b32 exec_lo, exec_lo, s17
	v_and_b32_sdwa v10, v18, v100 dst_sel:DWORD dst_unused:UNUSED_PAD src0_sel:WORD_1 src1_sel:DWORD
	v_mov_b32_e32 v13, 0
	v_mov_b32_e32 v12, 0
	s_mov_b32 s17, exec_lo
	v_cmpx_ne_u16_e32 0, v10
	s_cbranch_execz .LBB382_2721
; %bb.2714:                             ;   in Loop: Header=BB382_1574 Depth=1
	v_bfrev_b32_e32 v12, 1
	s_mov_b32 s18, exec_lo
	v_cmpx_ne_u16_e32 0x80, v10
	s_cbranch_execz .LBB382_2720
; %bb.2715:                             ;   in Loop: Header=BB382_1574 Depth=1
	v_bfe_u32 v16, v18, 16, 7
	v_mov_b32_e32 v12, 0x7f800001
	s_mov_b32 s20, exec_lo
	v_cmpx_ne_u32_e32 0x7f, v16
	s_cbranch_execz .LBB382_2719
; %bb.2716:                             ;   in Loop: Header=BB382_1574 Depth=1
	v_mov_b32_e32 v10, 7
	v_lshrrev_b32_e32 v12, 3, v16
	s_mov_b32 s21, exec_lo
	v_and_b32_sdwa v10, v18, v10 dst_sel:DWORD dst_unused:UNUSED_PAD src0_sel:WORD_1 src1_sel:DWORD
	v_mov_b32_e32 v21, v11
	v_mov_b32_e32 v20, v10
	v_cmpx_gt_u32_e32 8, v16
; %bb.2717:                             ;   in Loop: Header=BB382_1574 Depth=1
	v_ffbh_u32_e32 v12, v10
	v_min_u32_e32 v12, 32, v12
	v_subrev_nc_u32_e32 v16, 28, v12
	v_sub_nc_u32_e32 v12, 29, v12
	v_lshlrev_b64 v[16:17], v16, v[10:11]
	v_and_b32_e32 v20, 7, v16
; %bb.2718:                             ;   in Loop: Header=BB382_1574 Depth=1
	s_or_b32 exec_lo, exec_lo, s21
	v_mov_b32_e32 v10, 24
	v_lshlrev_b32_e32 v16, 20, v20
	v_lshl_add_u32 v12, v12, 23, 0x3c000000
	v_lshlrev_b32_sdwa v10, v10, v18 dst_sel:DWORD dst_unused:UNUSED_PAD src0_sel:DWORD src1_sel:WORD_1
	v_and_b32_e32 v10, 0x80000000, v10
	v_or3_b32 v12, v16, v10, v12
.LBB382_2719:                           ;   in Loop: Header=BB382_1574 Depth=1
	s_or_b32 exec_lo, exec_lo, s20
.LBB382_2720:                           ;   in Loop: Header=BB382_1574 Depth=1
	s_or_b32 exec_lo, exec_lo, s18
.LBB382_2721:                           ;   in Loop: Header=BB382_1574 Depth=1
	s_or_b32 exec_lo, exec_lo, s17
	s_mov_b32 s17, exec_lo
	v_cmpx_lt_u32_e32 0xffffff, v18
	s_cbranch_execz .LBB382_2729
; %bb.2722:                             ;   in Loop: Header=BB382_1574 Depth=1
	v_cmp_ne_u32_sdwa s4, v18, v98 src0_sel:BYTE_3 src1_sel:DWORD
	v_bfrev_b32_e32 v13, 1
	s_and_saveexec_b32 s18, s4
	s_cbranch_execz .LBB382_2728
; %bb.2723:                             ;   in Loop: Header=BB382_1574 Depth=1
	v_bfe_u32 v16, v18, 24, 7
	v_mov_b32_e32 v13, 0x7f800001
	s_mov_b32 s20, exec_lo
	v_cmpx_ne_u32_e32 0x7f, v16
	s_cbranch_execz .LBB382_2727
; %bb.2724:                             ;   in Loop: Header=BB382_1574 Depth=1
	v_mov_b32_e32 v10, 7
	v_lshrrev_b32_e32 v13, 3, v16
	s_mov_b32 s21, exec_lo
	v_and_b32_sdwa v10, v18, v10 dst_sel:DWORD dst_unused:UNUSED_PAD src0_sel:BYTE_3 src1_sel:DWORD
	v_mov_b32_e32 v21, v11
	v_mov_b32_e32 v20, v10
	v_cmpx_gt_u32_e32 8, v16
; %bb.2725:                             ;   in Loop: Header=BB382_1574 Depth=1
	v_ffbh_u32_e32 v13, v10
	v_min_u32_e32 v13, 32, v13
	v_subrev_nc_u32_e32 v16, 28, v13
	v_sub_nc_u32_e32 v13, 29, v13
	v_lshlrev_b64 v[16:17], v16, v[10:11]
	v_and_b32_e32 v20, 7, v16
; %bb.2726:                             ;   in Loop: Header=BB382_1574 Depth=1
	s_or_b32 exec_lo, exec_lo, s21
	v_mov_b32_e32 v10, 24
	v_lshlrev_b32_e32 v16, 20, v20
	v_lshl_add_u32 v13, v13, 23, 0x3c000000
	v_lshlrev_b32_sdwa v10, v10, v18 dst_sel:DWORD dst_unused:UNUSED_PAD src0_sel:DWORD src1_sel:BYTE_3
	v_and_b32_e32 v10, 0x80000000, v10
	v_or3_b32 v13, v16, v10, v13
.LBB382_2727:                           ;   in Loop: Header=BB382_1574 Depth=1
	s_or_b32 exec_lo, exec_lo, s20
.LBB382_2728:                           ;   in Loop: Header=BB382_1574 Depth=1
	s_or_b32 exec_lo, exec_lo, s18
.LBB382_2729:                           ;   in Loop: Header=BB382_1574 Depth=1
	s_or_b32 exec_lo, exec_lo, s17
	v_mov_b32_e32 v10, v19
	v_cmp_ne_u16_sdwa s4, v19, v11 src0_sel:BYTE_0 src1_sel:DWORD
	v_mov_b32_e32 v26, 0
	v_mov_b32_e32 v22, 0
	s_and_saveexec_b32 s17, s4
	s_cbranch_execz .LBB382_2737
; %bb.2730:                             ;   in Loop: Header=BB382_1574 Depth=1
	v_cmp_ne_u16_sdwa s4, v19, v98 src0_sel:BYTE_0 src1_sel:DWORD
	v_bfrev_b32_e32 v22, 1
	s_and_saveexec_b32 s18, s4
	s_cbranch_execz .LBB382_2736
; %bb.2731:                             ;   in Loop: Header=BB382_1574 Depth=1
	v_and_b32_e32 v17, 0x7f, v19
	v_mov_b32_e32 v22, 0x7f800001
	s_mov_b32 s20, exec_lo
	v_cmpx_ne_u32_e32 0x7f, v17
	s_cbranch_execz .LBB382_2735
; %bb.2732:                             ;   in Loop: Header=BB382_1574 Depth=1
	v_mov_b32_e32 v21, v11
	v_mov_b32_e32 v20, v10
	v_lshrrev_b32_e32 v16, 3, v17
	s_mov_b32 s21, exec_lo
	v_cmpx_gt_u32_e32 8, v17
; %bb.2733:                             ;   in Loop: Header=BB382_1574 Depth=1
	v_and_b32_e32 v16, 7, v19
	v_ffbh_u32_e32 v16, v16
	v_min_u32_e32 v16, 32, v16
	v_subrev_nc_u32_e32 v17, 28, v16
	v_sub_nc_u32_e32 v16, 29, v16
	v_lshlrev_b64 v[20:21], v17, v[10:11]
; %bb.2734:                             ;   in Loop: Header=BB382_1574 Depth=1
	s_or_b32 exec_lo, exec_lo, s21
	v_lshlrev_b32_e32 v17, 20, v20
	v_lshlrev_b32_e32 v20, 24, v10
	v_lshl_add_u32 v16, v16, 23, 0x3c000000
	v_and_b32_e32 v17, 0x700000, v17
	v_and_b32_e32 v20, 0x80000000, v20
	v_or3_b32 v22, v17, v20, v16
.LBB382_2735:                           ;   in Loop: Header=BB382_1574 Depth=1
	s_or_b32 exec_lo, exec_lo, s20
.LBB382_2736:                           ;   in Loop: Header=BB382_1574 Depth=1
	s_or_b32 exec_lo, exec_lo, s18
.LBB382_2737:                           ;   in Loop: Header=BB382_1574 Depth=1
	s_or_b32 exec_lo, exec_lo, s17
	v_cmp_ne_u16_sdwa s4, v10, v11 src0_sel:BYTE_1 src1_sel:DWORD
	s_and_saveexec_b32 s17, s4
	s_cbranch_execz .LBB382_2745
; %bb.2738:                             ;   in Loop: Header=BB382_1574 Depth=1
	v_cmp_ne_u16_sdwa s4, v10, v98 src0_sel:BYTE_1 src1_sel:DWORD
	v_bfrev_b32_e32 v26, 1
	s_and_saveexec_b32 s18, s4
	s_cbranch_execz .LBB382_2744
; %bb.2739:                             ;   in Loop: Header=BB382_1574 Depth=1
	v_mov_b32_e32 v16, 0xffff
	v_mov_b32_e32 v26, 0x7f800001
	s_mov_b32 s20, exec_lo
	v_and_b32_sdwa v16, v16, v10 dst_sel:DWORD dst_unused:UNUSED_PAD src0_sel:DWORD src1_sel:BYTE_1
	v_and_b32_e32 v17, 0x7f, v16
	v_cmpx_ne_u32_e32 0x7f, v17
	s_cbranch_execz .LBB382_2743
; %bb.2740:                             ;   in Loop: Header=BB382_1574 Depth=1
	v_and_b32_e32 v20, 7, v16
	v_mov_b32_e32 v21, v11
	v_lshrrev_b32_e32 v16, 3, v17
	s_mov_b32 s21, exec_lo
	v_cmpx_gt_u32_e32 8, v17
; %bb.2741:                             ;   in Loop: Header=BB382_1574 Depth=1
	v_ffbh_u32_e32 v16, v20
	v_min_u32_e32 v16, 32, v16
	v_subrev_nc_u32_e32 v17, 28, v16
	v_sub_nc_u32_e32 v16, 29, v16
	v_lshlrev_b64 v[20:21], v17, v[20:21]
	v_and_b32_e32 v20, 7, v20
; %bb.2742:                             ;   in Loop: Header=BB382_1574 Depth=1
	s_or_b32 exec_lo, exec_lo, s21
	v_lshlrev_b32_e32 v10, 16, v10
	v_lshlrev_b32_e32 v17, 20, v20
	v_lshl_add_u32 v16, v16, 23, 0x3c000000
	v_and_b32_e32 v10, 0x80000000, v10
	v_or3_b32 v26, v17, v10, v16
.LBB382_2743:                           ;   in Loop: Header=BB382_1574 Depth=1
	s_or_b32 exec_lo, exec_lo, s20
.LBB382_2744:                           ;   in Loop: Header=BB382_1574 Depth=1
	s_or_b32 exec_lo, exec_lo, s18
.LBB382_2745:                           ;   in Loop: Header=BB382_1574 Depth=1
	s_or_b32 exec_lo, exec_lo, s17
	v_and_b32_sdwa v10, v19, v100 dst_sel:DWORD dst_unused:UNUSED_PAD src0_sel:WORD_1 src1_sel:DWORD
	v_mov_b32_e32 v16, 0
	v_mov_b32_e32 v17, 0
	s_mov_b32 s17, exec_lo
	v_cmpx_ne_u16_e32 0, v10
	s_cbranch_execz .LBB382_2753
; %bb.2746:                             ;   in Loop: Header=BB382_1574 Depth=1
	v_bfrev_b32_e32 v17, 1
	s_mov_b32 s18, exec_lo
	v_cmpx_ne_u16_e32 0x80, v10
	s_cbranch_execz .LBB382_2752
; %bb.2747:                             ;   in Loop: Header=BB382_1574 Depth=1
	v_bfe_u32 v27, v19, 16, 7
	v_mov_b32_e32 v17, 0x7f800001
	s_mov_b32 s20, exec_lo
	v_cmpx_ne_u32_e32 0x7f, v27
	s_cbranch_execz .LBB382_2751
; %bb.2748:                             ;   in Loop: Header=BB382_1574 Depth=1
	v_mov_b32_e32 v10, 7
	v_lshrrev_b32_e32 v17, 3, v27
	s_mov_b32 s21, exec_lo
	v_and_b32_sdwa v10, v19, v10 dst_sel:DWORD dst_unused:UNUSED_PAD src0_sel:WORD_1 src1_sel:DWORD
	v_mov_b32_e32 v21, v11
	v_mov_b32_e32 v20, v10
	v_cmpx_gt_u32_e32 8, v27
; %bb.2749:                             ;   in Loop: Header=BB382_1574 Depth=1
	v_ffbh_u32_e32 v17, v10
	v_min_u32_e32 v17, 32, v17
	v_subrev_nc_u32_e32 v20, 28, v17
	v_sub_nc_u32_e32 v17, 29, v17
	v_lshlrev_b64 v[20:21], v20, v[10:11]
	v_and_b32_e32 v20, 7, v20
; %bb.2750:                             ;   in Loop: Header=BB382_1574 Depth=1
	s_or_b32 exec_lo, exec_lo, s21
	v_mov_b32_e32 v10, 24
	v_lshlrev_b32_e32 v20, 20, v20
	v_lshl_add_u32 v17, v17, 23, 0x3c000000
	v_lshlrev_b32_sdwa v10, v10, v19 dst_sel:DWORD dst_unused:UNUSED_PAD src0_sel:DWORD src1_sel:WORD_1
	v_and_b32_e32 v10, 0x80000000, v10
	v_or3_b32 v17, v20, v10, v17
.LBB382_2751:                           ;   in Loop: Header=BB382_1574 Depth=1
	s_or_b32 exec_lo, exec_lo, s20
.LBB382_2752:                           ;   in Loop: Header=BB382_1574 Depth=1
	s_or_b32 exec_lo, exec_lo, s18
.LBB382_2753:                           ;   in Loop: Header=BB382_1574 Depth=1
	s_or_b32 exec_lo, exec_lo, s17
	s_mov_b32 s17, exec_lo
	v_cmpx_lt_u64_e64 s[12:13], v[18:19]
	s_cbranch_execz .LBB382_2761
; %bb.2754:                             ;   in Loop: Header=BB382_1574 Depth=1
	v_cmp_ne_u32_sdwa s4, v19, v98 src0_sel:BYTE_3 src1_sel:DWORD
	v_bfrev_b32_e32 v16, 1
	s_and_saveexec_b32 s18, s4
	s_cbranch_execz .LBB382_2760
; %bb.2755:                             ;   in Loop: Header=BB382_1574 Depth=1
	v_bfe_u32 v18, v19, 24, 7
	v_mov_b32_e32 v16, 0x7f800001
	s_mov_b32 s20, exec_lo
	v_cmpx_ne_u32_e32 0x7f, v18
	s_cbranch_execz .LBB382_2759
; %bb.2756:                             ;   in Loop: Header=BB382_1574 Depth=1
	v_mov_b32_e32 v10, 7
	v_lshrrev_b32_e32 v16, 3, v18
	s_mov_b32 s21, exec_lo
	v_and_b32_sdwa v10, v19, v10 dst_sel:DWORD dst_unused:UNUSED_PAD src0_sel:BYTE_3 src1_sel:DWORD
	v_mov_b32_e32 v21, v11
	v_mov_b32_e32 v20, v10
	v_cmpx_gt_u32_e32 8, v18
; %bb.2757:                             ;   in Loop: Header=BB382_1574 Depth=1
	v_ffbh_u32_e32 v16, v10
	v_min_u32_e32 v16, 32, v16
	v_subrev_nc_u32_e32 v18, 28, v16
	v_sub_nc_u32_e32 v16, 29, v16
	v_lshlrev_b64 v[20:21], v18, v[10:11]
	v_and_b32_e32 v20, 7, v20
; %bb.2758:                             ;   in Loop: Header=BB382_1574 Depth=1
	s_or_b32 exec_lo, exec_lo, s21
	v_mov_b32_e32 v10, 24
	v_lshlrev_b32_e32 v18, 20, v20
	v_lshl_add_u32 v16, v16, 23, 0x3c000000
	v_lshlrev_b32_sdwa v10, v10, v19 dst_sel:DWORD dst_unused:UNUSED_PAD src0_sel:DWORD src1_sel:BYTE_3
	v_and_b32_e32 v10, 0x80000000, v10
	v_or3_b32 v16, v18, v10, v16
.LBB382_2759:                           ;   in Loop: Header=BB382_1574 Depth=1
	s_or_b32 exec_lo, exec_lo, s20
.LBB382_2760:                           ;   in Loop: Header=BB382_1574 Depth=1
	s_or_b32 exec_lo, exec_lo, s18
.LBB382_2761:                           ;   in Loop: Header=BB382_1574 Depth=1
	s_or_b32 exec_lo, exec_lo, s17
	v_mul_f32_e32 v10, v106, v26
	v_mul_f32_e32 v5, v106, v5
	;; [unrolled: 1-line block ×3, first 2 shown]
	v_bfe_u32 v18, v10, 16, 1
	v_or_b32_e32 v19, 0x400000, v10
	v_cmp_u_f32_e64 s4, v10, v10
	v_add3_u32 v18, v18, v10, 0x7fff
	v_cndmask_b32_e64 v10, v18, v19, s4
	v_lshrrev_b32_e32 v109, 16, v10
	v_mul_f32_e32 v10, v106, v22
	v_bfe_u32 v18, v10, 16, 1
	v_or_b32_e32 v19, 0x400000, v10
	v_cmp_u_f32_e64 s4, v10, v10
	v_add3_u32 v18, v18, v10, 0x7fff
	v_cndmask_b32_e64 v10, v18, v19, s4
	v_lshrrev_b32_e32 v110, 16, v10
	v_mul_f32_e32 v10, v106, v13
	;; [unrolled: 7-line block ×3, first 2 shown]
	v_bfe_u32 v12, v10, 16, 1
	v_or_b32_e32 v13, 0x400000, v10
	v_cmp_u_f32_e64 s4, v10, v10
	v_add3_u32 v12, v12, v10, 0x7fff
	v_cndmask_b32_e64 v10, v12, v13, s4
	v_or_b32_e32 v12, 0x400000, v5
	v_cmp_u_f32_e64 s4, v5, v5
	v_lshrrev_b32_e32 v127, 16, v10
	v_bfe_u32 v10, v5, 16, 1
	v_add3_u32 v10, v10, v5, 0x7fff
	v_cndmask_b32_e64 v5, v10, v12, s4
	v_bfe_u32 v10, v4, 16, 1
	v_or_b32_e32 v12, 0x400000, v4
	v_cmp_u_f32_e64 s4, v4, v4
	v_lshrrev_b32_e32 v5, 16, v5
	v_add3_u32 v10, v10, v4, 0x7fff
	v_cndmask_b32_e64 v4, v10, v12, s4
	v_mul_f32_e32 v10, v106, v17
	v_lshrrev_b32_e32 v4, 16, v4
	v_bfe_u32 v12, v10, 16, 1
	v_or_b32_e32 v13, 0x400000, v10
	v_cmp_u_f32_e64 s4, v10, v10
	v_add3_u32 v12, v12, v10, 0x7fff
	v_cndmask_b32_e64 v10, v12, v13, s4
	v_lshrrev_b32_e32 v39, 16, v10
	v_mul_f32_e32 v10, v106, v16
	v_bfe_u32 v12, v10, 16, 1
	v_or_b32_e32 v13, 0x400000, v10
	v_cmp_u_f32_e64 s4, v10, v10
	v_add3_u32 v12, v12, v10, 0x7fff
	v_cndmask_b32_e64 v10, v12, v13, s4
	v_lshrrev_b32_e32 v55, 16, v10
	s_and_saveexec_b32 s17, vcc_lo
	s_cbranch_execz .LBB382_2763
; %bb.2762:                             ;   in Loop: Header=BB382_1574 Depth=1
	v_cmp_lt_i32_e64 s4, v105, v92
	v_cndmask_b32_e64 v4, 0, v4, s4
	v_cmp_lt_i32_e64 s4, v126, v92
	v_cndmask_b32_e64 v5, 0, v5, s4
	;; [unrolled: 2-line block ×8, first 2 shown]
.LBB382_2763:                           ;   in Loop: Header=BB382_1574 Depth=1
	s_or_b32 exec_lo, exec_lo, s17
	flat_load_dwordx2 v[18:19], v[14:15] offset:512
	v_mov_b32_e32 v13, 0
	v_mov_b32_e32 v12, 0
	s_waitcnt vmcnt(0) lgkmcnt(0)
	v_cmp_ne_u16_sdwa s4, v18, v11 src0_sel:BYTE_0 src1_sel:DWORD
	s_and_saveexec_b32 s17, s4
	s_cbranch_execz .LBB382_2771
; %bb.2764:                             ;   in Loop: Header=BB382_1574 Depth=1
	v_cmp_ne_u16_sdwa s4, v18, v98 src0_sel:BYTE_0 src1_sel:DWORD
	v_bfrev_b32_e32 v12, 1
	s_and_saveexec_b32 s18, s4
	s_cbranch_execz .LBB382_2770
; %bb.2765:                             ;   in Loop: Header=BB382_1574 Depth=1
	v_and_b32_e32 v16, 0x7f, v18
	v_mov_b32_e32 v12, 0x7f800001
	s_mov_b32 s20, exec_lo
	v_cmpx_ne_u32_e32 0x7f, v16
	s_cbranch_execz .LBB382_2769
; %bb.2766:                             ;   in Loop: Header=BB382_1574 Depth=1
	v_mov_b32_e32 v21, v19
	v_lshrrev_b32_e32 v10, 3, v16
	v_mov_b32_e32 v20, v18
	s_mov_b32 s21, exec_lo
	v_cmpx_gt_u32_e32 8, v16
; %bb.2767:                             ;   in Loop: Header=BB382_1574 Depth=1
	v_and_b32_e32 v10, 7, v18
	v_ffbh_u32_e32 v10, v10
	v_min_u32_e32 v10, 32, v10
	v_subrev_nc_u32_e32 v12, 28, v10
	v_sub_nc_u32_e32 v10, 29, v10
	v_lshlrev_b64 v[20:21], v12, v[18:19]
; %bb.2768:                             ;   in Loop: Header=BB382_1574 Depth=1
	s_or_b32 exec_lo, exec_lo, s21
	v_lshlrev_b32_e32 v12, 20, v20
	v_lshlrev_b32_e32 v16, 24, v18
	v_lshl_add_u32 v10, v10, 23, 0x3c000000
	v_and_b32_e32 v12, 0x700000, v12
	v_and_b32_e32 v16, 0x80000000, v16
	v_or3_b32 v12, v12, v16, v10
.LBB382_2769:                           ;   in Loop: Header=BB382_1574 Depth=1
	s_or_b32 exec_lo, exec_lo, s20
.LBB382_2770:                           ;   in Loop: Header=BB382_1574 Depth=1
	s_or_b32 exec_lo, exec_lo, s18
.LBB382_2771:                           ;   in Loop: Header=BB382_1574 Depth=1
	s_or_b32 exec_lo, exec_lo, s17
	v_cmp_ne_u16_sdwa s4, v18, v11 src0_sel:BYTE_1 src1_sel:DWORD
	s_and_saveexec_b32 s17, s4
	s_cbranch_execz .LBB382_2779
; %bb.2772:                             ;   in Loop: Header=BB382_1574 Depth=1
	v_cmp_ne_u16_sdwa s4, v18, v98 src0_sel:BYTE_1 src1_sel:DWORD
	v_bfrev_b32_e32 v13, 1
	s_and_saveexec_b32 s18, s4
	s_cbranch_execz .LBB382_2778
; %bb.2773:                             ;   in Loop: Header=BB382_1574 Depth=1
	v_mov_b32_e32 v10, 0xffff
	v_mov_b32_e32 v13, 0x7f800001
	s_mov_b32 s20, exec_lo
	v_and_b32_sdwa v10, v10, v18 dst_sel:DWORD dst_unused:UNUSED_PAD src0_sel:DWORD src1_sel:BYTE_1
	v_and_b32_e32 v16, 0x7f, v10
	v_cmpx_ne_u32_e32 0x7f, v16
	s_cbranch_execz .LBB382_2777
; %bb.2774:                             ;   in Loop: Header=BB382_1574 Depth=1
	v_and_b32_e32 v10, 7, v10
	v_mov_b32_e32 v21, v11
	v_lshrrev_b32_e32 v13, 3, v16
	s_mov_b32 s21, exec_lo
	v_mov_b32_e32 v20, v10
	v_cmpx_gt_u32_e32 8, v16
; %bb.2775:                             ;   in Loop: Header=BB382_1574 Depth=1
	v_ffbh_u32_e32 v13, v10
	v_min_u32_e32 v13, 32, v13
	v_subrev_nc_u32_e32 v16, 28, v13
	v_sub_nc_u32_e32 v13, 29, v13
	v_lshlrev_b64 v[16:17], v16, v[10:11]
	v_and_b32_e32 v20, 7, v16
; %bb.2776:                             ;   in Loop: Header=BB382_1574 Depth=1
	s_or_b32 exec_lo, exec_lo, s21
	v_lshlrev_b32_e32 v10, 16, v18
	v_lshlrev_b32_e32 v16, 20, v20
	v_lshl_add_u32 v13, v13, 23, 0x3c000000
	v_and_b32_e32 v10, 0x80000000, v10
	v_or3_b32 v13, v16, v10, v13
.LBB382_2777:                           ;   in Loop: Header=BB382_1574 Depth=1
	s_or_b32 exec_lo, exec_lo, s20
.LBB382_2778:                           ;   in Loop: Header=BB382_1574 Depth=1
	s_or_b32 exec_lo, exec_lo, s18
.LBB382_2779:                           ;   in Loop: Header=BB382_1574 Depth=1
	s_or_b32 exec_lo, exec_lo, s17
	v_and_b32_sdwa v10, v18, v100 dst_sel:DWORD dst_unused:UNUSED_PAD src0_sel:WORD_1 src1_sel:DWORD
	v_mov_b32_e32 v17, 0
	v_mov_b32_e32 v16, 0
	s_mov_b32 s17, exec_lo
	v_cmpx_ne_u16_e32 0, v10
	s_cbranch_execz .LBB382_2787
; %bb.2780:                             ;   in Loop: Header=BB382_1574 Depth=1
	v_bfrev_b32_e32 v16, 1
	s_mov_b32 s18, exec_lo
	v_cmpx_ne_u16_e32 0x80, v10
	s_cbranch_execz .LBB382_2786
; %bb.2781:                             ;   in Loop: Header=BB382_1574 Depth=1
	v_bfe_u32 v22, v18, 16, 7
	v_mov_b32_e32 v16, 0x7f800001
	s_mov_b32 s20, exec_lo
	v_cmpx_ne_u32_e32 0x7f, v22
	s_cbranch_execz .LBB382_2785
; %bb.2782:                             ;   in Loop: Header=BB382_1574 Depth=1
	v_mov_b32_e32 v10, 7
	v_lshrrev_b32_e32 v16, 3, v22
	s_mov_b32 s21, exec_lo
	v_and_b32_sdwa v10, v18, v10 dst_sel:DWORD dst_unused:UNUSED_PAD src0_sel:WORD_1 src1_sel:DWORD
	v_mov_b32_e32 v21, v11
	v_mov_b32_e32 v20, v10
	v_cmpx_gt_u32_e32 8, v22
; %bb.2783:                             ;   in Loop: Header=BB382_1574 Depth=1
	v_ffbh_u32_e32 v16, v10
	v_min_u32_e32 v16, 32, v16
	v_subrev_nc_u32_e32 v20, 28, v16
	v_sub_nc_u32_e32 v16, 29, v16
	v_lshlrev_b64 v[20:21], v20, v[10:11]
	v_and_b32_e32 v20, 7, v20
; %bb.2784:                             ;   in Loop: Header=BB382_1574 Depth=1
	s_or_b32 exec_lo, exec_lo, s21
	v_mov_b32_e32 v10, 24
	v_lshlrev_b32_e32 v20, 20, v20
	v_lshl_add_u32 v16, v16, 23, 0x3c000000
	v_lshlrev_b32_sdwa v10, v10, v18 dst_sel:DWORD dst_unused:UNUSED_PAD src0_sel:DWORD src1_sel:WORD_1
	v_and_b32_e32 v10, 0x80000000, v10
	v_or3_b32 v16, v20, v10, v16
.LBB382_2785:                           ;   in Loop: Header=BB382_1574 Depth=1
	s_or_b32 exec_lo, exec_lo, s20
.LBB382_2786:                           ;   in Loop: Header=BB382_1574 Depth=1
	s_or_b32 exec_lo, exec_lo, s18
.LBB382_2787:                           ;   in Loop: Header=BB382_1574 Depth=1
	s_or_b32 exec_lo, exec_lo, s17
	s_mov_b32 s17, exec_lo
	v_cmpx_lt_u32_e32 0xffffff, v18
	s_cbranch_execz .LBB382_2795
; %bb.2788:                             ;   in Loop: Header=BB382_1574 Depth=1
	v_cmp_ne_u32_sdwa s4, v18, v98 src0_sel:BYTE_3 src1_sel:DWORD
	v_bfrev_b32_e32 v17, 1
	s_and_saveexec_b32 s18, s4
	s_cbranch_execz .LBB382_2794
; %bb.2789:                             ;   in Loop: Header=BB382_1574 Depth=1
	v_bfe_u32 v22, v18, 24, 7
	v_mov_b32_e32 v17, 0x7f800001
	s_mov_b32 s20, exec_lo
	v_cmpx_ne_u32_e32 0x7f, v22
	s_cbranch_execz .LBB382_2793
; %bb.2790:                             ;   in Loop: Header=BB382_1574 Depth=1
	v_mov_b32_e32 v10, 7
	v_lshrrev_b32_e32 v17, 3, v22
	s_mov_b32 s21, exec_lo
	v_and_b32_sdwa v10, v18, v10 dst_sel:DWORD dst_unused:UNUSED_PAD src0_sel:BYTE_3 src1_sel:DWORD
	v_mov_b32_e32 v21, v11
	v_mov_b32_e32 v20, v10
	v_cmpx_gt_u32_e32 8, v22
; %bb.2791:                             ;   in Loop: Header=BB382_1574 Depth=1
	v_ffbh_u32_e32 v17, v10
	v_min_u32_e32 v17, 32, v17
	v_subrev_nc_u32_e32 v20, 28, v17
	v_sub_nc_u32_e32 v17, 29, v17
	v_lshlrev_b64 v[20:21], v20, v[10:11]
	v_and_b32_e32 v20, 7, v20
; %bb.2792:                             ;   in Loop: Header=BB382_1574 Depth=1
	s_or_b32 exec_lo, exec_lo, s21
	v_mov_b32_e32 v10, 24
	v_lshlrev_b32_e32 v20, 20, v20
	v_lshl_add_u32 v17, v17, 23, 0x3c000000
	v_lshlrev_b32_sdwa v10, v10, v18 dst_sel:DWORD dst_unused:UNUSED_PAD src0_sel:DWORD src1_sel:BYTE_3
	v_and_b32_e32 v10, 0x80000000, v10
	v_or3_b32 v17, v20, v10, v17
.LBB382_2793:                           ;   in Loop: Header=BB382_1574 Depth=1
	s_or_b32 exec_lo, exec_lo, s20
.LBB382_2794:                           ;   in Loop: Header=BB382_1574 Depth=1
	s_or_b32 exec_lo, exec_lo, s18
.LBB382_2795:                           ;   in Loop: Header=BB382_1574 Depth=1
	s_or_b32 exec_lo, exec_lo, s17
	v_mov_b32_e32 v10, v19
	v_cmp_ne_u16_sdwa s4, v19, v11 src0_sel:BYTE_0 src1_sel:DWORD
	v_mov_b32_e32 v27, 0
	v_mov_b32_e32 v26, 0
	s_and_saveexec_b32 s17, s4
	s_cbranch_execz .LBB382_2803
; %bb.2796:                             ;   in Loop: Header=BB382_1574 Depth=1
	v_cmp_ne_u16_sdwa s4, v19, v98 src0_sel:BYTE_0 src1_sel:DWORD
	v_bfrev_b32_e32 v26, 1
	s_and_saveexec_b32 s18, s4
	s_cbranch_execz .LBB382_2802
; %bb.2797:                             ;   in Loop: Header=BB382_1574 Depth=1
	v_and_b32_e32 v22, 0x7f, v19
	v_mov_b32_e32 v26, 0x7f800001
	s_mov_b32 s20, exec_lo
	v_cmpx_ne_u32_e32 0x7f, v22
	s_cbranch_execz .LBB382_2801
; %bb.2798:                             ;   in Loop: Header=BB382_1574 Depth=1
	v_mov_b32_e32 v21, v11
	v_mov_b32_e32 v20, v10
	v_lshrrev_b32_e32 v21, 3, v22
	s_mov_b32 s21, exec_lo
	v_cmpx_gt_u32_e32 8, v22
; %bb.2799:                             ;   in Loop: Header=BB382_1574 Depth=1
	v_and_b32_e32 v20, 7, v19
	v_ffbh_u32_e32 v20, v20
	v_min_u32_e32 v22, 32, v20
	v_subrev_nc_u32_e32 v20, 28, v22
	v_lshlrev_b64 v[20:21], v20, v[10:11]
	v_sub_nc_u32_e32 v21, 29, v22
; %bb.2800:                             ;   in Loop: Header=BB382_1574 Depth=1
	s_or_b32 exec_lo, exec_lo, s21
	v_lshlrev_b32_e32 v20, 20, v20
	v_lshlrev_b32_e32 v22, 24, v10
	v_lshl_add_u32 v21, v21, 23, 0x3c000000
	v_and_b32_e32 v20, 0x700000, v20
	v_and_b32_e32 v22, 0x80000000, v22
	v_or3_b32 v26, v20, v22, v21
.LBB382_2801:                           ;   in Loop: Header=BB382_1574 Depth=1
	s_or_b32 exec_lo, exec_lo, s20
.LBB382_2802:                           ;   in Loop: Header=BB382_1574 Depth=1
	s_or_b32 exec_lo, exec_lo, s18
.LBB382_2803:                           ;   in Loop: Header=BB382_1574 Depth=1
	s_or_b32 exec_lo, exec_lo, s17
	v_cmp_ne_u16_sdwa s4, v10, v11 src0_sel:BYTE_1 src1_sel:DWORD
	s_and_saveexec_b32 s17, s4
	s_cbranch_execz .LBB382_2811
; %bb.2804:                             ;   in Loop: Header=BB382_1574 Depth=1
	v_cmp_ne_u16_sdwa s4, v10, v98 src0_sel:BYTE_1 src1_sel:DWORD
	v_bfrev_b32_e32 v27, 1
	s_and_saveexec_b32 s18, s4
	s_cbranch_execz .LBB382_2810
; %bb.2805:                             ;   in Loop: Header=BB382_1574 Depth=1
	v_mov_b32_e32 v20, 0xffff
	v_mov_b32_e32 v27, 0x7f800001
	s_mov_b32 s20, exec_lo
	v_and_b32_sdwa v20, v20, v10 dst_sel:DWORD dst_unused:UNUSED_PAD src0_sel:DWORD src1_sel:BYTE_1
	v_and_b32_e32 v29, 0x7f, v20
	v_cmpx_ne_u32_e32 0x7f, v29
	s_cbranch_execz .LBB382_2809
; %bb.2806:                             ;   in Loop: Header=BB382_1574 Depth=1
	v_and_b32_e32 v20, 7, v20
	v_mov_b32_e32 v21, v11
	v_lshrrev_b32_e32 v22, 3, v29
	s_mov_b32 s21, exec_lo
	v_cmpx_gt_u32_e32 8, v29
; %bb.2807:                             ;   in Loop: Header=BB382_1574 Depth=1
	v_ffbh_u32_e32 v22, v20
	v_min_u32_e32 v22, 32, v22
	v_subrev_nc_u32_e32 v27, 28, v22
	v_sub_nc_u32_e32 v22, 29, v22
	v_lshlrev_b64 v[20:21], v27, v[20:21]
	v_and_b32_e32 v20, 7, v20
; %bb.2808:                             ;   in Loop: Header=BB382_1574 Depth=1
	s_or_b32 exec_lo, exec_lo, s21
	v_lshlrev_b32_e32 v10, 16, v10
	v_lshlrev_b32_e32 v20, 20, v20
	v_lshl_add_u32 v21, v22, 23, 0x3c000000
	v_and_b32_e32 v10, 0x80000000, v10
	v_or3_b32 v27, v20, v10, v21
.LBB382_2809:                           ;   in Loop: Header=BB382_1574 Depth=1
	s_or_b32 exec_lo, exec_lo, s20
.LBB382_2810:                           ;   in Loop: Header=BB382_1574 Depth=1
	s_or_b32 exec_lo, exec_lo, s18
.LBB382_2811:                           ;   in Loop: Header=BB382_1574 Depth=1
	s_or_b32 exec_lo, exec_lo, s17
	v_and_b32_sdwa v10, v19, v100 dst_sel:DWORD dst_unused:UNUSED_PAD src0_sel:WORD_1 src1_sel:DWORD
	v_mov_b32_e32 v22, 0
	v_mov_b32_e32 v29, 0
	s_mov_b32 s17, exec_lo
	v_cmpx_ne_u16_e32 0, v10
	s_cbranch_execz .LBB382_2819
; %bb.2812:                             ;   in Loop: Header=BB382_1574 Depth=1
	v_bfrev_b32_e32 v29, 1
	s_mov_b32 s18, exec_lo
	v_cmpx_ne_u16_e32 0x80, v10
	s_cbranch_execz .LBB382_2818
; %bb.2813:                             ;   in Loop: Header=BB382_1574 Depth=1
	v_bfe_u32 v31, v19, 16, 7
	v_mov_b32_e32 v29, 0x7f800001
	s_mov_b32 s20, exec_lo
	v_cmpx_ne_u32_e32 0x7f, v31
	s_cbranch_execz .LBB382_2817
; %bb.2814:                             ;   in Loop: Header=BB382_1574 Depth=1
	v_mov_b32_e32 v10, 7
	s_mov_b32 s21, exec_lo
	v_and_b32_sdwa v10, v19, v10 dst_sel:DWORD dst_unused:UNUSED_PAD src0_sel:WORD_1 src1_sel:DWORD
	v_mov_b32_e32 v21, v11
	v_lshrrev_b32_e32 v21, 3, v31
	v_mov_b32_e32 v20, v10
	v_cmpx_gt_u32_e32 8, v31
; %bb.2815:                             ;   in Loop: Header=BB382_1574 Depth=1
	v_ffbh_u32_e32 v20, v10
	v_min_u32_e32 v29, 32, v20
	v_subrev_nc_u32_e32 v20, 28, v29
	v_lshlrev_b64 v[20:21], v20, v[10:11]
	v_sub_nc_u32_e32 v21, 29, v29
	v_and_b32_e32 v20, 7, v20
; %bb.2816:                             ;   in Loop: Header=BB382_1574 Depth=1
	s_or_b32 exec_lo, exec_lo, s21
	v_mov_b32_e32 v10, 24
	v_lshlrev_b32_e32 v20, 20, v20
	v_lshl_add_u32 v21, v21, 23, 0x3c000000
	v_lshlrev_b32_sdwa v10, v10, v19 dst_sel:DWORD dst_unused:UNUSED_PAD src0_sel:DWORD src1_sel:WORD_1
	v_and_b32_e32 v10, 0x80000000, v10
	v_or3_b32 v29, v20, v10, v21
.LBB382_2817:                           ;   in Loop: Header=BB382_1574 Depth=1
	s_or_b32 exec_lo, exec_lo, s20
.LBB382_2818:                           ;   in Loop: Header=BB382_1574 Depth=1
	s_or_b32 exec_lo, exec_lo, s18
.LBB382_2819:                           ;   in Loop: Header=BB382_1574 Depth=1
	s_or_b32 exec_lo, exec_lo, s17
	s_mov_b32 s17, exec_lo
	v_cmpx_lt_u64_e64 s[12:13], v[18:19]
	s_cbranch_execz .LBB382_2827
; %bb.2820:                             ;   in Loop: Header=BB382_1574 Depth=1
	v_cmp_ne_u32_sdwa s4, v19, v98 src0_sel:BYTE_3 src1_sel:DWORD
	v_bfrev_b32_e32 v22, 1
	s_and_saveexec_b32 s18, s4
	s_cbranch_execz .LBB382_2826
; %bb.2821:                             ;   in Loop: Header=BB382_1574 Depth=1
	v_bfe_u32 v31, v19, 24, 7
	v_mov_b32_e32 v22, 0x7f800001
	s_mov_b32 s20, exec_lo
	v_cmpx_ne_u32_e32 0x7f, v31
	s_cbranch_execz .LBB382_2825
; %bb.2822:                             ;   in Loop: Header=BB382_1574 Depth=1
	v_mov_b32_e32 v10, 7
	v_lshrrev_b32_e32 v18, 3, v31
	s_mov_b32 s21, exec_lo
	v_and_b32_sdwa v10, v19, v10 dst_sel:DWORD dst_unused:UNUSED_PAD src0_sel:BYTE_3 src1_sel:DWORD
	v_mov_b32_e32 v21, v11
	v_mov_b32_e32 v20, v10
	v_cmpx_gt_u32_e32 8, v31
; %bb.2823:                             ;   in Loop: Header=BB382_1574 Depth=1
	v_ffbh_u32_e32 v18, v10
	v_min_u32_e32 v18, 32, v18
	v_subrev_nc_u32_e32 v20, 28, v18
	v_sub_nc_u32_e32 v18, 29, v18
	v_lshlrev_b64 v[20:21], v20, v[10:11]
	v_and_b32_e32 v20, 7, v20
; %bb.2824:                             ;   in Loop: Header=BB382_1574 Depth=1
	s_or_b32 exec_lo, exec_lo, s21
	v_mov_b32_e32 v10, 24
	v_lshl_add_u32 v18, v18, 23, 0x3c000000
	v_lshlrev_b32_sdwa v10, v10, v19 dst_sel:DWORD dst_unused:UNUSED_PAD src0_sel:DWORD src1_sel:BYTE_3
	v_lshlrev_b32_e32 v19, 20, v20
	v_and_b32_e32 v10, 0x80000000, v10
	v_or3_b32 v22, v19, v10, v18
.LBB382_2825:                           ;   in Loop: Header=BB382_1574 Depth=1
	s_or_b32 exec_lo, exec_lo, s20
.LBB382_2826:                           ;   in Loop: Header=BB382_1574 Depth=1
	s_or_b32 exec_lo, exec_lo, s18
.LBB382_2827:                           ;   in Loop: Header=BB382_1574 Depth=1
	s_or_b32 exec_lo, exec_lo, s17
	v_mul_f32_e32 v10, v106, v27
	v_bfe_u32 v18, v10, 16, 1
	v_or_b32_e32 v19, 0x400000, v10
	v_cmp_u_f32_e64 s4, v10, v10
	v_add3_u32 v18, v18, v10, 0x7fff
	v_cndmask_b32_e64 v10, v18, v19, s4
	v_lshrrev_b32_e32 v67, 16, v10
	v_mul_f32_e32 v10, v106, v26
	v_bfe_u32 v18, v10, 16, 1
	v_or_b32_e32 v19, 0x400000, v10
	v_cmp_u_f32_e64 s4, v10, v10
	v_add3_u32 v18, v18, v10, 0x7fff
	v_cndmask_b32_e64 v10, v18, v19, s4
	v_lshrrev_b32_e32 v96, 16, v10
	;; [unrolled: 7-line block ×8, first 2 shown]
	s_and_saveexec_b32 s17, vcc_lo
	s_cbranch_execz .LBB382_2829
; %bb.2828:                             ;   in Loop: Header=BB382_1574 Depth=1
	v_cmp_lt_i32_e64 s4, v105, v92
	v_cndmask_b32_e64 v26, 0, v26, s4
	v_cmp_lt_i32_e64 s4, v126, v92
	v_cndmask_b32_e64 v27, 0, v27, s4
	;; [unrolled: 2-line block ×8, first 2 shown]
.LBB382_2829:                           ;   in Loop: Header=BB382_1574 Depth=1
	s_or_b32 exec_lo, exec_lo, s17
	flat_load_dwordx2 v[18:19], v[14:15] offset:768
	v_mov_b32_e32 v16, 0
	v_mov_b32_e32 v12, 0
	s_waitcnt vmcnt(0) lgkmcnt(0)
	v_cmp_ne_u16_sdwa s4, v18, v11 src0_sel:BYTE_0 src1_sel:DWORD
	s_and_saveexec_b32 s17, s4
	s_cbranch_execz .LBB382_2837
; %bb.2830:                             ;   in Loop: Header=BB382_1574 Depth=1
	v_cmp_ne_u16_sdwa s4, v18, v98 src0_sel:BYTE_0 src1_sel:DWORD
	v_bfrev_b32_e32 v12, 1
	s_and_saveexec_b32 s18, s4
	s_cbranch_execz .LBB382_2836
; %bb.2831:                             ;   in Loop: Header=BB382_1574 Depth=1
	v_and_b32_e32 v17, 0x7f, v18
	v_mov_b32_e32 v12, 0x7f800001
	s_mov_b32 s20, exec_lo
	v_cmpx_ne_u32_e32 0x7f, v17
	s_cbranch_execz .LBB382_2835
; %bb.2832:                             ;   in Loop: Header=BB382_1574 Depth=1
	v_mov_b32_e32 v21, v19
	v_lshrrev_b32_e32 v10, 3, v17
	v_mov_b32_e32 v20, v18
	s_mov_b32 s21, exec_lo
	v_cmpx_gt_u32_e32 8, v17
; %bb.2833:                             ;   in Loop: Header=BB382_1574 Depth=1
	v_and_b32_e32 v10, 7, v18
	v_ffbh_u32_e32 v10, v10
	v_min_u32_e32 v10, 32, v10
	v_subrev_nc_u32_e32 v12, 28, v10
	v_sub_nc_u32_e32 v10, 29, v10
	v_lshlrev_b64 v[20:21], v12, v[18:19]
; %bb.2834:                             ;   in Loop: Header=BB382_1574 Depth=1
	s_or_b32 exec_lo, exec_lo, s21
	v_lshlrev_b32_e32 v12, 20, v20
	v_lshlrev_b32_e32 v17, 24, v18
	v_lshl_add_u32 v10, v10, 23, 0x3c000000
	v_and_b32_e32 v12, 0x700000, v12
	v_and_b32_e32 v17, 0x80000000, v17
	v_or3_b32 v12, v12, v17, v10
.LBB382_2835:                           ;   in Loop: Header=BB382_1574 Depth=1
	s_or_b32 exec_lo, exec_lo, s20
.LBB382_2836:                           ;   in Loop: Header=BB382_1574 Depth=1
	s_or_b32 exec_lo, exec_lo, s18
.LBB382_2837:                           ;   in Loop: Header=BB382_1574 Depth=1
	s_or_b32 exec_lo, exec_lo, s17
	v_cmp_ne_u16_sdwa s4, v18, v11 src0_sel:BYTE_1 src1_sel:DWORD
	s_and_saveexec_b32 s17, s4
	s_cbranch_execz .LBB382_2845
; %bb.2838:                             ;   in Loop: Header=BB382_1574 Depth=1
	v_cmp_ne_u16_sdwa s4, v18, v98 src0_sel:BYTE_1 src1_sel:DWORD
	v_bfrev_b32_e32 v16, 1
	s_and_saveexec_b32 s18, s4
	s_cbranch_execz .LBB382_2844
; %bb.2839:                             ;   in Loop: Header=BB382_1574 Depth=1
	v_mov_b32_e32 v10, 0xffff
	v_mov_b32_e32 v16, 0x7f800001
	s_mov_b32 s20, exec_lo
	v_and_b32_sdwa v10, v10, v18 dst_sel:DWORD dst_unused:UNUSED_PAD src0_sel:DWORD src1_sel:BYTE_1
	v_and_b32_e32 v17, 0x7f, v10
	v_cmpx_ne_u32_e32 0x7f, v17
	s_cbranch_execz .LBB382_2843
; %bb.2840:                             ;   in Loop: Header=BB382_1574 Depth=1
	v_and_b32_e32 v10, 7, v10
	v_mov_b32_e32 v21, v11
	v_lshrrev_b32_e32 v16, 3, v17
	s_mov_b32 s21, exec_lo
	v_mov_b32_e32 v20, v10
	v_cmpx_gt_u32_e32 8, v17
; %bb.2841:                             ;   in Loop: Header=BB382_1574 Depth=1
	v_ffbh_u32_e32 v16, v10
	v_min_u32_e32 v16, 32, v16
	v_subrev_nc_u32_e32 v17, 28, v16
	v_sub_nc_u32_e32 v16, 29, v16
	v_lshlrev_b64 v[20:21], v17, v[10:11]
	v_and_b32_e32 v20, 7, v20
; %bb.2842:                             ;   in Loop: Header=BB382_1574 Depth=1
	s_or_b32 exec_lo, exec_lo, s21
	v_lshlrev_b32_e32 v10, 16, v18
	v_lshlrev_b32_e32 v17, 20, v20
	v_lshl_add_u32 v16, v16, 23, 0x3c000000
	v_and_b32_e32 v10, 0x80000000, v10
	v_or3_b32 v16, v17, v10, v16
.LBB382_2843:                           ;   in Loop: Header=BB382_1574 Depth=1
	s_or_b32 exec_lo, exec_lo, s20
.LBB382_2844:                           ;   in Loop: Header=BB382_1574 Depth=1
	s_or_b32 exec_lo, exec_lo, s18
.LBB382_2845:                           ;   in Loop: Header=BB382_1574 Depth=1
	s_or_b32 exec_lo, exec_lo, s17
	v_and_b32_sdwa v10, v18, v100 dst_sel:DWORD dst_unused:UNUSED_PAD src0_sel:WORD_1 src1_sel:DWORD
	v_mov_b32_e32 v29, 0
	v_mov_b32_e32 v17, 0
	s_mov_b32 s17, exec_lo
	v_cmpx_ne_u16_e32 0, v10
	s_cbranch_execz .LBB382_2853
; %bb.2846:                             ;   in Loop: Header=BB382_1574 Depth=1
	v_bfrev_b32_e32 v17, 1
	s_mov_b32 s18, exec_lo
	v_cmpx_ne_u16_e32 0x80, v10
	s_cbranch_execz .LBB382_2852
; %bb.2847:                             ;   in Loop: Header=BB382_1574 Depth=1
	v_bfe_u32 v22, v18, 16, 7
	v_mov_b32_e32 v17, 0x7f800001
	s_mov_b32 s20, exec_lo
	v_cmpx_ne_u32_e32 0x7f, v22
	s_cbranch_execz .LBB382_2851
; %bb.2848:                             ;   in Loop: Header=BB382_1574 Depth=1
	v_mov_b32_e32 v10, 7
	v_lshrrev_b32_e32 v17, 3, v22
	s_mov_b32 s21, exec_lo
	v_and_b32_sdwa v10, v18, v10 dst_sel:DWORD dst_unused:UNUSED_PAD src0_sel:WORD_1 src1_sel:DWORD
	v_mov_b32_e32 v21, v11
	v_mov_b32_e32 v20, v10
	v_cmpx_gt_u32_e32 8, v22
; %bb.2849:                             ;   in Loop: Header=BB382_1574 Depth=1
	v_ffbh_u32_e32 v17, v10
	v_min_u32_e32 v17, 32, v17
	v_subrev_nc_u32_e32 v20, 28, v17
	v_sub_nc_u32_e32 v17, 29, v17
	v_lshlrev_b64 v[20:21], v20, v[10:11]
	v_and_b32_e32 v20, 7, v20
; %bb.2850:                             ;   in Loop: Header=BB382_1574 Depth=1
	s_or_b32 exec_lo, exec_lo, s21
	v_mov_b32_e32 v10, 24
	v_lshlrev_b32_e32 v20, 20, v20
	v_lshl_add_u32 v17, v17, 23, 0x3c000000
	v_lshlrev_b32_sdwa v10, v10, v18 dst_sel:DWORD dst_unused:UNUSED_PAD src0_sel:DWORD src1_sel:WORD_1
	v_and_b32_e32 v10, 0x80000000, v10
	v_or3_b32 v17, v20, v10, v17
.LBB382_2851:                           ;   in Loop: Header=BB382_1574 Depth=1
	s_or_b32 exec_lo, exec_lo, s20
.LBB382_2852:                           ;   in Loop: Header=BB382_1574 Depth=1
	s_or_b32 exec_lo, exec_lo, s18
.LBB382_2853:                           ;   in Loop: Header=BB382_1574 Depth=1
	s_or_b32 exec_lo, exec_lo, s17
	s_mov_b32 s17, exec_lo
	v_cmpx_lt_u32_e32 0xffffff, v18
	s_cbranch_execz .LBB382_2861
; %bb.2854:                             ;   in Loop: Header=BB382_1574 Depth=1
	v_cmp_ne_u32_sdwa s4, v18, v98 src0_sel:BYTE_3 src1_sel:DWORD
	v_bfrev_b32_e32 v29, 1
	s_and_saveexec_b32 s18, s4
	s_cbranch_execz .LBB382_2860
; %bb.2855:                             ;   in Loop: Header=BB382_1574 Depth=1
	v_bfe_u32 v22, v18, 24, 7
	v_mov_b32_e32 v29, 0x7f800001
	s_mov_b32 s20, exec_lo
	v_cmpx_ne_u32_e32 0x7f, v22
	s_cbranch_execz .LBB382_2859
; %bb.2856:                             ;   in Loop: Header=BB382_1574 Depth=1
	v_mov_b32_e32 v10, 7
	s_mov_b32 s21, exec_lo
	v_and_b32_sdwa v10, v18, v10 dst_sel:DWORD dst_unused:UNUSED_PAD src0_sel:BYTE_3 src1_sel:DWORD
	v_mov_b32_e32 v21, v11
	v_lshrrev_b32_e32 v21, 3, v22
	v_mov_b32_e32 v20, v10
	v_cmpx_gt_u32_e32 8, v22
; %bb.2857:                             ;   in Loop: Header=BB382_1574 Depth=1
	v_ffbh_u32_e32 v20, v10
	v_min_u32_e32 v22, 32, v20
	v_subrev_nc_u32_e32 v20, 28, v22
	v_lshlrev_b64 v[20:21], v20, v[10:11]
	v_sub_nc_u32_e32 v21, 29, v22
	v_and_b32_e32 v20, 7, v20
; %bb.2858:                             ;   in Loop: Header=BB382_1574 Depth=1
	s_or_b32 exec_lo, exec_lo, s21
	v_mov_b32_e32 v10, 24
	v_lshlrev_b32_e32 v20, 20, v20
	v_lshl_add_u32 v21, v21, 23, 0x3c000000
	v_lshlrev_b32_sdwa v10, v10, v18 dst_sel:DWORD dst_unused:UNUSED_PAD src0_sel:DWORD src1_sel:BYTE_3
	v_and_b32_e32 v10, 0x80000000, v10
	v_or3_b32 v29, v20, v10, v21
.LBB382_2859:                           ;   in Loop: Header=BB382_1574 Depth=1
	s_or_b32 exec_lo, exec_lo, s20
.LBB382_2860:                           ;   in Loop: Header=BB382_1574 Depth=1
	s_or_b32 exec_lo, exec_lo, s18
.LBB382_2861:                           ;   in Loop: Header=BB382_1574 Depth=1
	s_or_b32 exec_lo, exec_lo, s17
	v_mov_b32_e32 v10, v19
	v_cmp_ne_u16_sdwa s4, v19, v11 src0_sel:BYTE_0 src1_sel:DWORD
	v_mov_b32_e32 v31, 0
	v_mov_b32_e32 v22, 0
	s_and_saveexec_b32 s17, s4
	s_cbranch_execz .LBB382_2869
; %bb.2862:                             ;   in Loop: Header=BB382_1574 Depth=1
	v_cmp_ne_u16_sdwa s4, v19, v98 src0_sel:BYTE_0 src1_sel:DWORD
	v_bfrev_b32_e32 v22, 1
	s_and_saveexec_b32 s18, s4
	s_cbranch_execz .LBB382_2868
; %bb.2863:                             ;   in Loop: Header=BB382_1574 Depth=1
	v_and_b32_e32 v32, 0x7f, v19
	v_mov_b32_e32 v22, 0x7f800001
	s_mov_b32 s20, exec_lo
	v_cmpx_ne_u32_e32 0x7f, v32
	s_cbranch_execz .LBB382_2867
; %bb.2864:                             ;   in Loop: Header=BB382_1574 Depth=1
	v_mov_b32_e32 v21, v11
	v_mov_b32_e32 v20, v10
	v_lshrrev_b32_e32 v21, 3, v32
	s_mov_b32 s21, exec_lo
	v_cmpx_gt_u32_e32 8, v32
; %bb.2865:                             ;   in Loop: Header=BB382_1574 Depth=1
	v_and_b32_e32 v20, 7, v19
	v_ffbh_u32_e32 v20, v20
	v_min_u32_e32 v22, 32, v20
	v_subrev_nc_u32_e32 v20, 28, v22
	v_lshlrev_b64 v[20:21], v20, v[10:11]
	v_sub_nc_u32_e32 v21, 29, v22
; %bb.2866:                             ;   in Loop: Header=BB382_1574 Depth=1
	s_or_b32 exec_lo, exec_lo, s21
	v_lshlrev_b32_e32 v20, 20, v20
	v_lshlrev_b32_e32 v22, 24, v10
	v_lshl_add_u32 v21, v21, 23, 0x3c000000
	v_and_b32_e32 v20, 0x700000, v20
	v_and_b32_e32 v22, 0x80000000, v22
	v_or3_b32 v22, v20, v22, v21
.LBB382_2867:                           ;   in Loop: Header=BB382_1574 Depth=1
	s_or_b32 exec_lo, exec_lo, s20
.LBB382_2868:                           ;   in Loop: Header=BB382_1574 Depth=1
	s_or_b32 exec_lo, exec_lo, s18
.LBB382_2869:                           ;   in Loop: Header=BB382_1574 Depth=1
	s_or_b32 exec_lo, exec_lo, s17
	v_cmp_ne_u16_sdwa s4, v10, v11 src0_sel:BYTE_1 src1_sel:DWORD
	s_and_saveexec_b32 s17, s4
	s_cbranch_execz .LBB382_2877
; %bb.2870:                             ;   in Loop: Header=BB382_1574 Depth=1
	v_cmp_ne_u16_sdwa s4, v10, v98 src0_sel:BYTE_1 src1_sel:DWORD
	v_bfrev_b32_e32 v31, 1
	s_and_saveexec_b32 s18, s4
	s_cbranch_execz .LBB382_2876
; %bb.2871:                             ;   in Loop: Header=BB382_1574 Depth=1
	v_mov_b32_e32 v20, 0xffff
	v_mov_b32_e32 v31, 0x7f800001
	s_mov_b32 s20, exec_lo
	v_and_b32_sdwa v20, v20, v10 dst_sel:DWORD dst_unused:UNUSED_PAD src0_sel:DWORD src1_sel:BYTE_1
	v_and_b32_e32 v32, 0x7f, v20
	v_cmpx_ne_u32_e32 0x7f, v32
	s_cbranch_execz .LBB382_2875
; %bb.2872:                             ;   in Loop: Header=BB382_1574 Depth=1
	v_and_b32_e32 v20, 7, v20
	v_mov_b32_e32 v21, v11
	v_lshrrev_b32_e32 v31, 3, v32
	s_mov_b32 s21, exec_lo
	v_cmpx_gt_u32_e32 8, v32
; %bb.2873:                             ;   in Loop: Header=BB382_1574 Depth=1
	v_ffbh_u32_e32 v31, v20
	v_min_u32_e32 v31, 32, v31
	v_subrev_nc_u32_e32 v32, 28, v31
	v_sub_nc_u32_e32 v31, 29, v31
	v_lshlrev_b64 v[20:21], v32, v[20:21]
	v_and_b32_e32 v20, 7, v20
; %bb.2874:                             ;   in Loop: Header=BB382_1574 Depth=1
	s_or_b32 exec_lo, exec_lo, s21
	v_lshlrev_b32_e32 v10, 16, v10
	v_lshlrev_b32_e32 v20, 20, v20
	v_lshl_add_u32 v21, v31, 23, 0x3c000000
	v_and_b32_e32 v10, 0x80000000, v10
	v_or3_b32 v31, v20, v10, v21
.LBB382_2875:                           ;   in Loop: Header=BB382_1574 Depth=1
	s_or_b32 exec_lo, exec_lo, s20
.LBB382_2876:                           ;   in Loop: Header=BB382_1574 Depth=1
	s_or_b32 exec_lo, exec_lo, s18
.LBB382_2877:                           ;   in Loop: Header=BB382_1574 Depth=1
	s_or_b32 exec_lo, exec_lo, s17
	v_and_b32_sdwa v10, v19, v100 dst_sel:DWORD dst_unused:UNUSED_PAD src0_sel:WORD_1 src1_sel:DWORD
	v_mov_b32_e32 v35, 0
	v_mov_b32_e32 v32, 0
	s_mov_b32 s17, exec_lo
	v_cmpx_ne_u16_e32 0, v10
	s_cbranch_execz .LBB382_2885
; %bb.2878:                             ;   in Loop: Header=BB382_1574 Depth=1
	v_bfrev_b32_e32 v32, 1
	s_mov_b32 s18, exec_lo
	v_cmpx_ne_u16_e32 0x80, v10
	s_cbranch_execz .LBB382_2884
; %bb.2879:                             ;   in Loop: Header=BB382_1574 Depth=1
	v_bfe_u32 v33, v19, 16, 7
	v_mov_b32_e32 v32, 0x7f800001
	s_mov_b32 s20, exec_lo
	v_cmpx_ne_u32_e32 0x7f, v33
	s_cbranch_execz .LBB382_2883
; %bb.2880:                             ;   in Loop: Header=BB382_1574 Depth=1
	v_mov_b32_e32 v10, 7
	s_mov_b32 s21, exec_lo
	v_and_b32_sdwa v10, v19, v10 dst_sel:DWORD dst_unused:UNUSED_PAD src0_sel:WORD_1 src1_sel:DWORD
	v_mov_b32_e32 v21, v11
	v_lshrrev_b32_e32 v21, 3, v33
	v_mov_b32_e32 v20, v10
	v_cmpx_gt_u32_e32 8, v33
; %bb.2881:                             ;   in Loop: Header=BB382_1574 Depth=1
	v_ffbh_u32_e32 v20, v10
	v_min_u32_e32 v32, 32, v20
	v_subrev_nc_u32_e32 v20, 28, v32
	v_lshlrev_b64 v[20:21], v20, v[10:11]
	v_sub_nc_u32_e32 v21, 29, v32
	v_and_b32_e32 v20, 7, v20
; %bb.2882:                             ;   in Loop: Header=BB382_1574 Depth=1
	s_or_b32 exec_lo, exec_lo, s21
	v_mov_b32_e32 v10, 24
	v_lshlrev_b32_e32 v20, 20, v20
	v_lshl_add_u32 v21, v21, 23, 0x3c000000
	v_lshlrev_b32_sdwa v10, v10, v19 dst_sel:DWORD dst_unused:UNUSED_PAD src0_sel:DWORD src1_sel:WORD_1
	v_and_b32_e32 v10, 0x80000000, v10
	v_or3_b32 v32, v20, v10, v21
.LBB382_2883:                           ;   in Loop: Header=BB382_1574 Depth=1
	s_or_b32 exec_lo, exec_lo, s20
.LBB382_2884:                           ;   in Loop: Header=BB382_1574 Depth=1
	s_or_b32 exec_lo, exec_lo, s18
.LBB382_2885:                           ;   in Loop: Header=BB382_1574 Depth=1
	s_or_b32 exec_lo, exec_lo, s17
	s_mov_b32 s17, exec_lo
	v_cmpx_lt_u64_e64 s[12:13], v[18:19]
	s_cbranch_execz .LBB382_2893
; %bb.2886:                             ;   in Loop: Header=BB382_1574 Depth=1
	v_cmp_ne_u32_sdwa s4, v19, v98 src0_sel:BYTE_3 src1_sel:DWORD
	v_bfrev_b32_e32 v35, 1
	s_and_saveexec_b32 s18, s4
	s_cbranch_execz .LBB382_2892
; %bb.2887:                             ;   in Loop: Header=BB382_1574 Depth=1
	v_bfe_u32 v33, v19, 24, 7
	v_mov_b32_e32 v35, 0x7f800001
	s_mov_b32 s20, exec_lo
	v_cmpx_ne_u32_e32 0x7f, v33
	s_cbranch_execz .LBB382_2891
; %bb.2888:                             ;   in Loop: Header=BB382_1574 Depth=1
	v_mov_b32_e32 v10, 7
	v_lshrrev_b32_e32 v18, 3, v33
	s_mov_b32 s21, exec_lo
	v_and_b32_sdwa v10, v19, v10 dst_sel:DWORD dst_unused:UNUSED_PAD src0_sel:BYTE_3 src1_sel:DWORD
	v_mov_b32_e32 v21, v11
	v_mov_b32_e32 v20, v10
	v_cmpx_gt_u32_e32 8, v33
; %bb.2889:                             ;   in Loop: Header=BB382_1574 Depth=1
	v_ffbh_u32_e32 v18, v10
	v_min_u32_e32 v18, 32, v18
	v_subrev_nc_u32_e32 v20, 28, v18
	v_sub_nc_u32_e32 v18, 29, v18
	v_lshlrev_b64 v[20:21], v20, v[10:11]
	v_and_b32_e32 v20, 7, v20
; %bb.2890:                             ;   in Loop: Header=BB382_1574 Depth=1
	s_or_b32 exec_lo, exec_lo, s21
	v_mov_b32_e32 v10, 24
	v_lshl_add_u32 v18, v18, 23, 0x3c000000
	v_lshlrev_b32_sdwa v10, v10, v19 dst_sel:DWORD dst_unused:UNUSED_PAD src0_sel:DWORD src1_sel:BYTE_3
	v_lshlrev_b32_e32 v19, 20, v20
	v_and_b32_e32 v10, 0x80000000, v10
	v_or3_b32 v35, v19, v10, v18
.LBB382_2891:                           ;   in Loop: Header=BB382_1574 Depth=1
	s_or_b32 exec_lo, exec_lo, s20
.LBB382_2892:                           ;   in Loop: Header=BB382_1574 Depth=1
	s_or_b32 exec_lo, exec_lo, s18
.LBB382_2893:                           ;   in Loop: Header=BB382_1574 Depth=1
	s_or_b32 exec_lo, exec_lo, s17
	v_mul_f32_e32 v10, v106, v31
	v_bfe_u32 v18, v10, 16, 1
	v_or_b32_e32 v19, 0x400000, v10
	v_cmp_u_f32_e64 s4, v10, v10
	v_add3_u32 v18, v18, v10, 0x7fff
	v_cndmask_b32_e64 v10, v18, v19, s4
	v_lshrrev_b32_e32 v112, 16, v10
	v_mul_f32_e32 v10, v106, v22
	v_bfe_u32 v18, v10, 16, 1
	v_or_b32_e32 v19, 0x400000, v10
	v_cmp_u_f32_e64 s4, v10, v10
	v_add3_u32 v18, v18, v10, 0x7fff
	v_cndmask_b32_e64 v10, v18, v19, s4
	v_lshrrev_b32_e32 v22, 16, v10
	;; [unrolled: 7-line block ×8, first 2 shown]
	s_and_saveexec_b32 s17, vcc_lo
	s_cbranch_execz .LBB382_2895
; %bb.2894:                             ;   in Loop: Header=BB382_1574 Depth=1
	v_cmp_lt_i32_e64 s4, v105, v92
	v_cndmask_b32_e64 v34, 0, v34, s4
	v_cmp_lt_i32_e64 s4, v126, v92
	v_cndmask_b32_e64 v33, 0, v33, s4
	v_cmp_lt_i32_e64 s4, v125, v92
	v_cndmask_b32_e64 v31, 0, v31, s4
	v_cmp_lt_i32_e64 s4, v124, v92
	v_cndmask_b32_e64 v29, 0, v29, s4
	v_cmp_lt_i32_e64 s4, v123, v92
	v_cndmask_b32_e64 v22, 0, v22, s4
	v_cmp_lt_i32_e64 s4, v122, v92
	v_cndmask_b32_e64 v112, 0, v112, s4
	v_cmp_lt_i32_e64 s4, v121, v92
	v_cndmask_b32_e64 v32, 0, v32, s4
	v_cmp_lt_i32_e64 s4, v120, v92
	v_cndmask_b32_e64 v35, 0, v35, s4
.LBB382_2895:                           ;   in Loop: Header=BB382_1574 Depth=1
	s_or_b32 exec_lo, exec_lo, s17
	flat_load_dwordx2 v[18:19], v[14:15] offset:1024
	v_mov_b32_e32 v16, 0
	v_mov_b32_e32 v12, 0
	s_waitcnt vmcnt(0) lgkmcnt(0)
	v_cmp_ne_u16_sdwa s4, v18, v11 src0_sel:BYTE_0 src1_sel:DWORD
	s_and_saveexec_b32 s17, s4
	s_cbranch_execz .LBB382_2903
; %bb.2896:                             ;   in Loop: Header=BB382_1574 Depth=1
	v_cmp_ne_u16_sdwa s4, v18, v98 src0_sel:BYTE_0 src1_sel:DWORD
	v_bfrev_b32_e32 v12, 1
	s_and_saveexec_b32 s18, s4
	s_cbranch_execz .LBB382_2902
; %bb.2897:                             ;   in Loop: Header=BB382_1574 Depth=1
	v_and_b32_e32 v17, 0x7f, v18
	v_mov_b32_e32 v12, 0x7f800001
	s_mov_b32 s20, exec_lo
	v_cmpx_ne_u32_e32 0x7f, v17
	s_cbranch_execz .LBB382_2901
; %bb.2898:                             ;   in Loop: Header=BB382_1574 Depth=1
	v_mov_b32_e32 v21, v19
	v_lshrrev_b32_e32 v10, 3, v17
	v_mov_b32_e32 v20, v18
	s_mov_b32 s21, exec_lo
	v_cmpx_gt_u32_e32 8, v17
; %bb.2899:                             ;   in Loop: Header=BB382_1574 Depth=1
	v_and_b32_e32 v10, 7, v18
	v_ffbh_u32_e32 v10, v10
	v_min_u32_e32 v10, 32, v10
	v_subrev_nc_u32_e32 v12, 28, v10
	v_sub_nc_u32_e32 v10, 29, v10
	v_lshlrev_b64 v[20:21], v12, v[18:19]
; %bb.2900:                             ;   in Loop: Header=BB382_1574 Depth=1
	s_or_b32 exec_lo, exec_lo, s21
	v_lshlrev_b32_e32 v12, 20, v20
	v_lshlrev_b32_e32 v17, 24, v18
	v_lshl_add_u32 v10, v10, 23, 0x3c000000
	v_and_b32_e32 v12, 0x700000, v12
	v_and_b32_e32 v17, 0x80000000, v17
	v_or3_b32 v12, v12, v17, v10
.LBB382_2901:                           ;   in Loop: Header=BB382_1574 Depth=1
	s_or_b32 exec_lo, exec_lo, s20
.LBB382_2902:                           ;   in Loop: Header=BB382_1574 Depth=1
	s_or_b32 exec_lo, exec_lo, s18
.LBB382_2903:                           ;   in Loop: Header=BB382_1574 Depth=1
	s_or_b32 exec_lo, exec_lo, s17
	v_cmp_ne_u16_sdwa s4, v18, v11 src0_sel:BYTE_1 src1_sel:DWORD
	s_and_saveexec_b32 s17, s4
	s_cbranch_execz .LBB382_2911
; %bb.2904:                             ;   in Loop: Header=BB382_1574 Depth=1
	v_cmp_ne_u16_sdwa s4, v18, v98 src0_sel:BYTE_1 src1_sel:DWORD
	v_bfrev_b32_e32 v16, 1
	s_and_saveexec_b32 s18, s4
	s_cbranch_execz .LBB382_2910
; %bb.2905:                             ;   in Loop: Header=BB382_1574 Depth=1
	v_mov_b32_e32 v10, 0xffff
	v_mov_b32_e32 v16, 0x7f800001
	s_mov_b32 s20, exec_lo
	v_and_b32_sdwa v10, v10, v18 dst_sel:DWORD dst_unused:UNUSED_PAD src0_sel:DWORD src1_sel:BYTE_1
	v_and_b32_e32 v17, 0x7f, v10
	v_cmpx_ne_u32_e32 0x7f, v17
	s_cbranch_execz .LBB382_2909
; %bb.2906:                             ;   in Loop: Header=BB382_1574 Depth=1
	v_and_b32_e32 v10, 7, v10
	v_mov_b32_e32 v21, v11
	v_lshrrev_b32_e32 v16, 3, v17
	s_mov_b32 s21, exec_lo
	v_mov_b32_e32 v20, v10
	v_cmpx_gt_u32_e32 8, v17
; %bb.2907:                             ;   in Loop: Header=BB382_1574 Depth=1
	v_ffbh_u32_e32 v16, v10
	v_min_u32_e32 v16, 32, v16
	v_subrev_nc_u32_e32 v17, 28, v16
	v_sub_nc_u32_e32 v16, 29, v16
	v_lshlrev_b64 v[20:21], v17, v[10:11]
	v_and_b32_e32 v20, 7, v20
; %bb.2908:                             ;   in Loop: Header=BB382_1574 Depth=1
	s_or_b32 exec_lo, exec_lo, s21
	v_lshlrev_b32_e32 v10, 16, v18
	v_lshlrev_b32_e32 v17, 20, v20
	v_lshl_add_u32 v16, v16, 23, 0x3c000000
	v_and_b32_e32 v10, 0x80000000, v10
	v_or3_b32 v16, v17, v10, v16
.LBB382_2909:                           ;   in Loop: Header=BB382_1574 Depth=1
	s_or_b32 exec_lo, exec_lo, s20
.LBB382_2910:                           ;   in Loop: Header=BB382_1574 Depth=1
	s_or_b32 exec_lo, exec_lo, s18
.LBB382_2911:                           ;   in Loop: Header=BB382_1574 Depth=1
	s_or_b32 exec_lo, exec_lo, s17
	v_and_b32_sdwa v10, v18, v100 dst_sel:DWORD dst_unused:UNUSED_PAD src0_sel:WORD_1 src1_sel:DWORD
	v_mov_b32_e32 v49, 0
	v_mov_b32_e32 v17, 0
	s_mov_b32 s17, exec_lo
	v_cmpx_ne_u16_e32 0, v10
	s_cbranch_execz .LBB382_2919
; %bb.2912:                             ;   in Loop: Header=BB382_1574 Depth=1
	v_bfrev_b32_e32 v17, 1
	s_mov_b32 s18, exec_lo
	v_cmpx_ne_u16_e32 0x80, v10
	s_cbranch_execz .LBB382_2918
; %bb.2913:                             ;   in Loop: Header=BB382_1574 Depth=1
	v_bfe_u32 v36, v18, 16, 7
	v_mov_b32_e32 v17, 0x7f800001
	s_mov_b32 s20, exec_lo
	v_cmpx_ne_u32_e32 0x7f, v36
	s_cbranch_execz .LBB382_2917
; %bb.2914:                             ;   in Loop: Header=BB382_1574 Depth=1
	v_mov_b32_e32 v10, 7
	v_lshrrev_b32_e32 v17, 3, v36
	s_mov_b32 s21, exec_lo
	v_and_b32_sdwa v10, v18, v10 dst_sel:DWORD dst_unused:UNUSED_PAD src0_sel:WORD_1 src1_sel:DWORD
	v_mov_b32_e32 v21, v11
	v_mov_b32_e32 v20, v10
	v_cmpx_gt_u32_e32 8, v36
; %bb.2915:                             ;   in Loop: Header=BB382_1574 Depth=1
	v_ffbh_u32_e32 v17, v10
	v_min_u32_e32 v17, 32, v17
	v_subrev_nc_u32_e32 v20, 28, v17
	v_sub_nc_u32_e32 v17, 29, v17
	v_lshlrev_b64 v[20:21], v20, v[10:11]
	v_and_b32_e32 v20, 7, v20
; %bb.2916:                             ;   in Loop: Header=BB382_1574 Depth=1
	s_or_b32 exec_lo, exec_lo, s21
	v_mov_b32_e32 v10, 24
	v_lshlrev_b32_e32 v20, 20, v20
	v_lshl_add_u32 v17, v17, 23, 0x3c000000
	v_lshlrev_b32_sdwa v10, v10, v18 dst_sel:DWORD dst_unused:UNUSED_PAD src0_sel:DWORD src1_sel:WORD_1
	v_and_b32_e32 v10, 0x80000000, v10
	v_or3_b32 v17, v20, v10, v17
.LBB382_2917:                           ;   in Loop: Header=BB382_1574 Depth=1
	s_or_b32 exec_lo, exec_lo, s20
.LBB382_2918:                           ;   in Loop: Header=BB382_1574 Depth=1
	s_or_b32 exec_lo, exec_lo, s18
.LBB382_2919:                           ;   in Loop: Header=BB382_1574 Depth=1
	s_or_b32 exec_lo, exec_lo, s17
	s_mov_b32 s17, exec_lo
	v_cmpx_lt_u32_e32 0xffffff, v18
	s_cbranch_execz .LBB382_2927
; %bb.2920:                             ;   in Loop: Header=BB382_1574 Depth=1
	v_cmp_ne_u32_sdwa s4, v18, v98 src0_sel:BYTE_3 src1_sel:DWORD
	v_bfrev_b32_e32 v49, 1
	s_and_saveexec_b32 s18, s4
	s_cbranch_execz .LBB382_2926
; %bb.2921:                             ;   in Loop: Header=BB382_1574 Depth=1
	v_bfe_u32 v36, v18, 24, 7
	v_mov_b32_e32 v49, 0x7f800001
	s_mov_b32 s20, exec_lo
	v_cmpx_ne_u32_e32 0x7f, v36
	s_cbranch_execz .LBB382_2925
; %bb.2922:                             ;   in Loop: Header=BB382_1574 Depth=1
	v_mov_b32_e32 v10, 7
	s_mov_b32 s21, exec_lo
	v_and_b32_sdwa v10, v18, v10 dst_sel:DWORD dst_unused:UNUSED_PAD src0_sel:BYTE_3 src1_sel:DWORD
	v_mov_b32_e32 v21, v11
	v_lshrrev_b32_e32 v21, 3, v36
	v_mov_b32_e32 v20, v10
	v_cmpx_gt_u32_e32 8, v36
; %bb.2923:                             ;   in Loop: Header=BB382_1574 Depth=1
	v_ffbh_u32_e32 v20, v10
	v_min_u32_e32 v36, 32, v20
	v_subrev_nc_u32_e32 v20, 28, v36
	v_lshlrev_b64 v[20:21], v20, v[10:11]
	v_sub_nc_u32_e32 v21, 29, v36
	v_and_b32_e32 v20, 7, v20
; %bb.2924:                             ;   in Loop: Header=BB382_1574 Depth=1
	s_or_b32 exec_lo, exec_lo, s21
	v_mov_b32_e32 v10, 24
	v_lshlrev_b32_e32 v20, 20, v20
	v_lshl_add_u32 v21, v21, 23, 0x3c000000
	v_lshlrev_b32_sdwa v10, v10, v18 dst_sel:DWORD dst_unused:UNUSED_PAD src0_sel:DWORD src1_sel:BYTE_3
	v_and_b32_e32 v10, 0x80000000, v10
	v_or3_b32 v49, v20, v10, v21
.LBB382_2925:                           ;   in Loop: Header=BB382_1574 Depth=1
	s_or_b32 exec_lo, exec_lo, s20
.LBB382_2926:                           ;   in Loop: Header=BB382_1574 Depth=1
	s_or_b32 exec_lo, exec_lo, s18
.LBB382_2927:                           ;   in Loop: Header=BB382_1574 Depth=1
	s_or_b32 exec_lo, exec_lo, s17
	v_mov_b32_e32 v10, v19
	v_cmp_ne_u16_sdwa s4, v19, v11 src0_sel:BYTE_0 src1_sel:DWORD
	v_mov_b32_e32 v36, 0
	v_mov_b32_e32 v51, 0
	s_and_saveexec_b32 s17, s4
	s_cbranch_execz .LBB382_2935
; %bb.2928:                             ;   in Loop: Header=BB382_1574 Depth=1
	v_cmp_ne_u16_sdwa s4, v19, v98 src0_sel:BYTE_0 src1_sel:DWORD
	v_bfrev_b32_e32 v51, 1
	s_and_saveexec_b32 s18, s4
	s_cbranch_execz .LBB382_2934
; %bb.2929:                             ;   in Loop: Header=BB382_1574 Depth=1
	v_and_b32_e32 v48, 0x7f, v19
	v_mov_b32_e32 v51, 0x7f800001
	s_mov_b32 s20, exec_lo
	v_cmpx_ne_u32_e32 0x7f, v48
	s_cbranch_execz .LBB382_2933
; %bb.2930:                             ;   in Loop: Header=BB382_1574 Depth=1
	v_mov_b32_e32 v21, v11
	v_mov_b32_e32 v20, v10
	v_lshrrev_b32_e32 v21, 3, v48
	s_mov_b32 s21, exec_lo
	v_cmpx_gt_u32_e32 8, v48
; %bb.2931:                             ;   in Loop: Header=BB382_1574 Depth=1
	v_and_b32_e32 v20, 7, v19
	v_ffbh_u32_e32 v20, v20
	v_min_u32_e32 v48, 32, v20
	v_subrev_nc_u32_e32 v20, 28, v48
	v_lshlrev_b64 v[20:21], v20, v[10:11]
	v_sub_nc_u32_e32 v21, 29, v48
; %bb.2932:                             ;   in Loop: Header=BB382_1574 Depth=1
	s_or_b32 exec_lo, exec_lo, s21
	v_lshlrev_b32_e32 v20, 20, v20
	v_lshlrev_b32_e32 v48, 24, v10
	v_lshl_add_u32 v21, v21, 23, 0x3c000000
	v_and_b32_e32 v20, 0x700000, v20
	v_and_b32_e32 v48, 0x80000000, v48
	v_or3_b32 v51, v20, v48, v21
.LBB382_2933:                           ;   in Loop: Header=BB382_1574 Depth=1
	s_or_b32 exec_lo, exec_lo, s20
.LBB382_2934:                           ;   in Loop: Header=BB382_1574 Depth=1
	s_or_b32 exec_lo, exec_lo, s18
.LBB382_2935:                           ;   in Loop: Header=BB382_1574 Depth=1
	s_or_b32 exec_lo, exec_lo, s17
	v_cmp_ne_u16_sdwa s4, v10, v11 src0_sel:BYTE_1 src1_sel:DWORD
	s_and_saveexec_b32 s17, s4
	s_cbranch_execz .LBB382_2943
; %bb.2936:                             ;   in Loop: Header=BB382_1574 Depth=1
	v_cmp_ne_u16_sdwa s4, v10, v98 src0_sel:BYTE_1 src1_sel:DWORD
	v_bfrev_b32_e32 v36, 1
	s_and_saveexec_b32 s18, s4
	s_cbranch_execz .LBB382_2942
; %bb.2937:                             ;   in Loop: Header=BB382_1574 Depth=1
	v_mov_b32_e32 v20, 0xffff
	v_mov_b32_e32 v36, 0x7f800001
	s_mov_b32 s20, exec_lo
	v_and_b32_sdwa v20, v20, v10 dst_sel:DWORD dst_unused:UNUSED_PAD src0_sel:DWORD src1_sel:BYTE_1
	v_and_b32_e32 v48, 0x7f, v20
	v_cmpx_ne_u32_e32 0x7f, v48
	s_cbranch_execz .LBB382_2941
; %bb.2938:                             ;   in Loop: Header=BB382_1574 Depth=1
	v_and_b32_e32 v20, 7, v20
	v_mov_b32_e32 v21, v11
	v_lshrrev_b32_e32 v36, 3, v48
	s_mov_b32 s21, exec_lo
	v_cmpx_gt_u32_e32 8, v48
; %bb.2939:                             ;   in Loop: Header=BB382_1574 Depth=1
	v_ffbh_u32_e32 v36, v20
	v_min_u32_e32 v36, 32, v36
	v_subrev_nc_u32_e32 v48, 28, v36
	v_sub_nc_u32_e32 v36, 29, v36
	v_lshlrev_b64 v[20:21], v48, v[20:21]
	v_and_b32_e32 v20, 7, v20
; %bb.2940:                             ;   in Loop: Header=BB382_1574 Depth=1
	s_or_b32 exec_lo, exec_lo, s21
	v_lshlrev_b32_e32 v10, 16, v10
	v_lshlrev_b32_e32 v20, 20, v20
	v_lshl_add_u32 v21, v36, 23, 0x3c000000
	v_and_b32_e32 v10, 0x80000000, v10
	v_or3_b32 v36, v20, v10, v21
.LBB382_2941:                           ;   in Loop: Header=BB382_1574 Depth=1
	s_or_b32 exec_lo, exec_lo, s20
.LBB382_2942:                           ;   in Loop: Header=BB382_1574 Depth=1
	s_or_b32 exec_lo, exec_lo, s18
.LBB382_2943:                           ;   in Loop: Header=BB382_1574 Depth=1
	s_or_b32 exec_lo, exec_lo, s17
	v_and_b32_sdwa v10, v19, v100 dst_sel:DWORD dst_unused:UNUSED_PAD src0_sel:WORD_1 src1_sel:DWORD
	v_mov_b32_e32 v50, 0
	v_mov_b32_e32 v53, 0
	s_mov_b32 s17, exec_lo
	v_cmpx_ne_u16_e32 0, v10
	s_cbranch_execz .LBB382_2951
; %bb.2944:                             ;   in Loop: Header=BB382_1574 Depth=1
	v_bfrev_b32_e32 v53, 1
	s_mov_b32 s18, exec_lo
	v_cmpx_ne_u16_e32 0x80, v10
	s_cbranch_execz .LBB382_2950
; %bb.2945:                             ;   in Loop: Header=BB382_1574 Depth=1
	v_bfe_u32 v48, v19, 16, 7
	v_mov_b32_e32 v53, 0x7f800001
	s_mov_b32 s20, exec_lo
	v_cmpx_ne_u32_e32 0x7f, v48
	s_cbranch_execz .LBB382_2949
; %bb.2946:                             ;   in Loop: Header=BB382_1574 Depth=1
	v_mov_b32_e32 v10, 7
	s_mov_b32 s21, exec_lo
	v_and_b32_sdwa v10, v19, v10 dst_sel:DWORD dst_unused:UNUSED_PAD src0_sel:WORD_1 src1_sel:DWORD
	v_mov_b32_e32 v21, v11
	v_lshrrev_b32_e32 v21, 3, v48
	v_mov_b32_e32 v20, v10
	v_cmpx_gt_u32_e32 8, v48
; %bb.2947:                             ;   in Loop: Header=BB382_1574 Depth=1
	v_ffbh_u32_e32 v20, v10
	v_min_u32_e32 v48, 32, v20
	v_subrev_nc_u32_e32 v20, 28, v48
	v_lshlrev_b64 v[20:21], v20, v[10:11]
	v_sub_nc_u32_e32 v21, 29, v48
	v_and_b32_e32 v20, 7, v20
; %bb.2948:                             ;   in Loop: Header=BB382_1574 Depth=1
	s_or_b32 exec_lo, exec_lo, s21
	v_mov_b32_e32 v10, 24
	v_lshlrev_b32_e32 v20, 20, v20
	v_lshl_add_u32 v21, v21, 23, 0x3c000000
	v_lshlrev_b32_sdwa v10, v10, v19 dst_sel:DWORD dst_unused:UNUSED_PAD src0_sel:DWORD src1_sel:WORD_1
	v_and_b32_e32 v10, 0x80000000, v10
	v_or3_b32 v53, v20, v10, v21
.LBB382_2949:                           ;   in Loop: Header=BB382_1574 Depth=1
	s_or_b32 exec_lo, exec_lo, s20
.LBB382_2950:                           ;   in Loop: Header=BB382_1574 Depth=1
	s_or_b32 exec_lo, exec_lo, s18
.LBB382_2951:                           ;   in Loop: Header=BB382_1574 Depth=1
	s_or_b32 exec_lo, exec_lo, s17
	s_mov_b32 s17, exec_lo
	v_cmpx_lt_u64_e64 s[12:13], v[18:19]
	s_cbranch_execz .LBB382_2959
; %bb.2952:                             ;   in Loop: Header=BB382_1574 Depth=1
	v_cmp_ne_u32_sdwa s4, v19, v98 src0_sel:BYTE_3 src1_sel:DWORD
	v_bfrev_b32_e32 v50, 1
	s_and_saveexec_b32 s18, s4
	s_cbranch_execz .LBB382_2958
; %bb.2953:                             ;   in Loop: Header=BB382_1574 Depth=1
	v_bfe_u32 v48, v19, 24, 7
	v_mov_b32_e32 v50, 0x7f800001
	s_mov_b32 s20, exec_lo
	v_cmpx_ne_u32_e32 0x7f, v48
	s_cbranch_execz .LBB382_2957
; %bb.2954:                             ;   in Loop: Header=BB382_1574 Depth=1
	v_mov_b32_e32 v10, 7
	v_lshrrev_b32_e32 v18, 3, v48
	s_mov_b32 s21, exec_lo
	v_and_b32_sdwa v10, v19, v10 dst_sel:DWORD dst_unused:UNUSED_PAD src0_sel:BYTE_3 src1_sel:DWORD
	v_mov_b32_e32 v21, v11
	v_mov_b32_e32 v20, v10
	v_cmpx_gt_u32_e32 8, v48
; %bb.2955:                             ;   in Loop: Header=BB382_1574 Depth=1
	v_ffbh_u32_e32 v18, v10
	v_min_u32_e32 v18, 32, v18
	v_subrev_nc_u32_e32 v20, 28, v18
	v_sub_nc_u32_e32 v18, 29, v18
	v_lshlrev_b64 v[20:21], v20, v[10:11]
	v_and_b32_e32 v20, 7, v20
; %bb.2956:                             ;   in Loop: Header=BB382_1574 Depth=1
	s_or_b32 exec_lo, exec_lo, s21
	v_mov_b32_e32 v10, 24
	v_lshl_add_u32 v18, v18, 23, 0x3c000000
	v_lshlrev_b32_sdwa v10, v10, v19 dst_sel:DWORD dst_unused:UNUSED_PAD src0_sel:DWORD src1_sel:BYTE_3
	v_lshlrev_b32_e32 v19, 20, v20
	v_and_b32_e32 v10, 0x80000000, v10
	v_or3_b32 v50, v19, v10, v18
.LBB382_2957:                           ;   in Loop: Header=BB382_1574 Depth=1
	s_or_b32 exec_lo, exec_lo, s20
.LBB382_2958:                           ;   in Loop: Header=BB382_1574 Depth=1
	s_or_b32 exec_lo, exec_lo, s18
.LBB382_2959:                           ;   in Loop: Header=BB382_1574 Depth=1
	s_or_b32 exec_lo, exec_lo, s17
	v_mul_f32_e32 v10, v106, v36
	v_bfe_u32 v18, v10, 16, 1
	v_or_b32_e32 v19, 0x400000, v10
	v_cmp_u_f32_e64 s4, v10, v10
	v_add3_u32 v18, v18, v10, 0x7fff
	v_cndmask_b32_e64 v10, v18, v19, s4
	v_lshrrev_b32_e32 v36, 16, v10
	v_mul_f32_e32 v10, v106, v51
	v_bfe_u32 v18, v10, 16, 1
	v_or_b32_e32 v19, 0x400000, v10
	v_cmp_u_f32_e64 s4, v10, v10
	v_add3_u32 v18, v18, v10, 0x7fff
	v_cndmask_b32_e64 v10, v18, v19, s4
	v_lshrrev_b32_e32 v48, 16, v10
	;; [unrolled: 7-line block ×8, first 2 shown]
	s_and_saveexec_b32 s17, vcc_lo
	s_cbranch_execz .LBB382_2961
; %bb.2960:                             ;   in Loop: Header=BB382_1574 Depth=1
	v_cmp_lt_i32_e64 s4, v105, v92
	v_cndmask_b32_e64 v54, 0, v54, s4
	v_cmp_lt_i32_e64 s4, v126, v92
	v_cndmask_b32_e64 v69, 0, v69, s4
	;; [unrolled: 2-line block ×8, first 2 shown]
.LBB382_2961:                           ;   in Loop: Header=BB382_1574 Depth=1
	s_or_b32 exec_lo, exec_lo, s17
	flat_load_dwordx2 v[18:19], v[14:15] offset:1280
	v_mov_b32_e32 v16, 0
	v_mov_b32_e32 v12, 0
	s_waitcnt vmcnt(0) lgkmcnt(0)
	v_cmp_ne_u16_sdwa s4, v18, v11 src0_sel:BYTE_0 src1_sel:DWORD
	s_and_saveexec_b32 s17, s4
	s_cbranch_execz .LBB382_2969
; %bb.2962:                             ;   in Loop: Header=BB382_1574 Depth=1
	v_cmp_ne_u16_sdwa s4, v18, v98 src0_sel:BYTE_0 src1_sel:DWORD
	v_bfrev_b32_e32 v12, 1
	s_and_saveexec_b32 s18, s4
	s_cbranch_execz .LBB382_2968
; %bb.2963:                             ;   in Loop: Header=BB382_1574 Depth=1
	v_and_b32_e32 v17, 0x7f, v18
	v_mov_b32_e32 v12, 0x7f800001
	s_mov_b32 s20, exec_lo
	v_cmpx_ne_u32_e32 0x7f, v17
	s_cbranch_execz .LBB382_2967
; %bb.2964:                             ;   in Loop: Header=BB382_1574 Depth=1
	v_mov_b32_e32 v21, v19
	v_lshrrev_b32_e32 v10, 3, v17
	v_mov_b32_e32 v20, v18
	s_mov_b32 s21, exec_lo
	v_cmpx_gt_u32_e32 8, v17
; %bb.2965:                             ;   in Loop: Header=BB382_1574 Depth=1
	v_and_b32_e32 v10, 7, v18
	v_ffbh_u32_e32 v10, v10
	v_min_u32_e32 v10, 32, v10
	v_subrev_nc_u32_e32 v12, 28, v10
	v_sub_nc_u32_e32 v10, 29, v10
	v_lshlrev_b64 v[20:21], v12, v[18:19]
; %bb.2966:                             ;   in Loop: Header=BB382_1574 Depth=1
	s_or_b32 exec_lo, exec_lo, s21
	v_lshlrev_b32_e32 v12, 20, v20
	v_lshlrev_b32_e32 v17, 24, v18
	v_lshl_add_u32 v10, v10, 23, 0x3c000000
	v_and_b32_e32 v12, 0x700000, v12
	v_and_b32_e32 v17, 0x80000000, v17
	v_or3_b32 v12, v12, v17, v10
.LBB382_2967:                           ;   in Loop: Header=BB382_1574 Depth=1
	s_or_b32 exec_lo, exec_lo, s20
.LBB382_2968:                           ;   in Loop: Header=BB382_1574 Depth=1
	s_or_b32 exec_lo, exec_lo, s18
.LBB382_2969:                           ;   in Loop: Header=BB382_1574 Depth=1
	s_or_b32 exec_lo, exec_lo, s17
	v_cmp_ne_u16_sdwa s4, v18, v11 src0_sel:BYTE_1 src1_sel:DWORD
	s_and_saveexec_b32 s17, s4
	s_cbranch_execz .LBB382_2977
; %bb.2970:                             ;   in Loop: Header=BB382_1574 Depth=1
	v_cmp_ne_u16_sdwa s4, v18, v98 src0_sel:BYTE_1 src1_sel:DWORD
	v_bfrev_b32_e32 v16, 1
	s_and_saveexec_b32 s18, s4
	s_cbranch_execz .LBB382_2976
; %bb.2971:                             ;   in Loop: Header=BB382_1574 Depth=1
	v_mov_b32_e32 v10, 0xffff
	v_mov_b32_e32 v16, 0x7f800001
	s_mov_b32 s20, exec_lo
	v_and_b32_sdwa v10, v10, v18 dst_sel:DWORD dst_unused:UNUSED_PAD src0_sel:DWORD src1_sel:BYTE_1
	v_and_b32_e32 v17, 0x7f, v10
	v_cmpx_ne_u32_e32 0x7f, v17
	s_cbranch_execz .LBB382_2975
; %bb.2972:                             ;   in Loop: Header=BB382_1574 Depth=1
	v_and_b32_e32 v10, 7, v10
	v_mov_b32_e32 v21, v11
	v_lshrrev_b32_e32 v16, 3, v17
	s_mov_b32 s21, exec_lo
	v_mov_b32_e32 v20, v10
	v_cmpx_gt_u32_e32 8, v17
; %bb.2973:                             ;   in Loop: Header=BB382_1574 Depth=1
	v_ffbh_u32_e32 v16, v10
	v_min_u32_e32 v16, 32, v16
	v_subrev_nc_u32_e32 v17, 28, v16
	v_sub_nc_u32_e32 v16, 29, v16
	v_lshlrev_b64 v[20:21], v17, v[10:11]
	v_and_b32_e32 v20, 7, v20
; %bb.2974:                             ;   in Loop: Header=BB382_1574 Depth=1
	s_or_b32 exec_lo, exec_lo, s21
	v_lshlrev_b32_e32 v10, 16, v18
	v_lshlrev_b32_e32 v17, 20, v20
	v_lshl_add_u32 v16, v16, 23, 0x3c000000
	v_and_b32_e32 v10, 0x80000000, v10
	v_or3_b32 v16, v17, v10, v16
.LBB382_2975:                           ;   in Loop: Header=BB382_1574 Depth=1
	s_or_b32 exec_lo, exec_lo, s20
.LBB382_2976:                           ;   in Loop: Header=BB382_1574 Depth=1
	s_or_b32 exec_lo, exec_lo, s18
.LBB382_2977:                           ;   in Loop: Header=BB382_1574 Depth=1
	s_or_b32 exec_lo, exec_lo, s17
	v_and_b32_sdwa v10, v18, v100 dst_sel:DWORD dst_unused:UNUSED_PAD src0_sel:WORD_1 src1_sel:DWORD
	v_mov_b32_e32 v49, 0
	v_mov_b32_e32 v17, 0
	s_mov_b32 s17, exec_lo
	v_cmpx_ne_u16_e32 0, v10
	s_cbranch_execz .LBB382_2985
; %bb.2978:                             ;   in Loop: Header=BB382_1574 Depth=1
	v_bfrev_b32_e32 v17, 1
	s_mov_b32 s18, exec_lo
	v_cmpx_ne_u16_e32 0x80, v10
	s_cbranch_execz .LBB382_2984
; %bb.2979:                             ;   in Loop: Header=BB382_1574 Depth=1
	v_bfe_u32 v50, v18, 16, 7
	v_mov_b32_e32 v17, 0x7f800001
	s_mov_b32 s20, exec_lo
	v_cmpx_ne_u32_e32 0x7f, v50
	s_cbranch_execz .LBB382_2983
; %bb.2980:                             ;   in Loop: Header=BB382_1574 Depth=1
	v_mov_b32_e32 v10, 7
	v_lshrrev_b32_e32 v17, 3, v50
	s_mov_b32 s21, exec_lo
	v_and_b32_sdwa v10, v18, v10 dst_sel:DWORD dst_unused:UNUSED_PAD src0_sel:WORD_1 src1_sel:DWORD
	v_mov_b32_e32 v21, v11
	v_mov_b32_e32 v20, v10
	v_cmpx_gt_u32_e32 8, v50
; %bb.2981:                             ;   in Loop: Header=BB382_1574 Depth=1
	v_ffbh_u32_e32 v17, v10
	v_min_u32_e32 v17, 32, v17
	v_subrev_nc_u32_e32 v20, 28, v17
	v_sub_nc_u32_e32 v17, 29, v17
	v_lshlrev_b64 v[20:21], v20, v[10:11]
	v_and_b32_e32 v20, 7, v20
; %bb.2982:                             ;   in Loop: Header=BB382_1574 Depth=1
	s_or_b32 exec_lo, exec_lo, s21
	v_mov_b32_e32 v10, 24
	v_lshlrev_b32_e32 v20, 20, v20
	v_lshl_add_u32 v17, v17, 23, 0x3c000000
	v_lshlrev_b32_sdwa v10, v10, v18 dst_sel:DWORD dst_unused:UNUSED_PAD src0_sel:DWORD src1_sel:WORD_1
	v_and_b32_e32 v10, 0x80000000, v10
	v_or3_b32 v17, v20, v10, v17
.LBB382_2983:                           ;   in Loop: Header=BB382_1574 Depth=1
	s_or_b32 exec_lo, exec_lo, s20
.LBB382_2984:                           ;   in Loop: Header=BB382_1574 Depth=1
	s_or_b32 exec_lo, exec_lo, s18
.LBB382_2985:                           ;   in Loop: Header=BB382_1574 Depth=1
	s_or_b32 exec_lo, exec_lo, s17
	s_mov_b32 s17, exec_lo
	v_cmpx_lt_u32_e32 0xffffff, v18
	s_cbranch_execz .LBB382_2993
; %bb.2986:                             ;   in Loop: Header=BB382_1574 Depth=1
	v_cmp_ne_u32_sdwa s4, v18, v98 src0_sel:BYTE_3 src1_sel:DWORD
	v_bfrev_b32_e32 v49, 1
	s_and_saveexec_b32 s18, s4
	s_cbranch_execz .LBB382_2992
; %bb.2987:                             ;   in Loop: Header=BB382_1574 Depth=1
	v_bfe_u32 v50, v18, 24, 7
	v_mov_b32_e32 v49, 0x7f800001
	s_mov_b32 s20, exec_lo
	v_cmpx_ne_u32_e32 0x7f, v50
	s_cbranch_execz .LBB382_2991
; %bb.2988:                             ;   in Loop: Header=BB382_1574 Depth=1
	v_mov_b32_e32 v10, 7
	s_mov_b32 s21, exec_lo
	v_and_b32_sdwa v10, v18, v10 dst_sel:DWORD dst_unused:UNUSED_PAD src0_sel:BYTE_3 src1_sel:DWORD
	v_mov_b32_e32 v21, v11
	v_lshrrev_b32_e32 v21, 3, v50
	v_mov_b32_e32 v20, v10
	v_cmpx_gt_u32_e32 8, v50
; %bb.2989:                             ;   in Loop: Header=BB382_1574 Depth=1
	v_ffbh_u32_e32 v20, v10
	v_min_u32_e32 v49, 32, v20
	v_subrev_nc_u32_e32 v20, 28, v49
	v_lshlrev_b64 v[20:21], v20, v[10:11]
	v_sub_nc_u32_e32 v21, 29, v49
	v_and_b32_e32 v20, 7, v20
; %bb.2990:                             ;   in Loop: Header=BB382_1574 Depth=1
	s_or_b32 exec_lo, exec_lo, s21
	v_mov_b32_e32 v10, 24
	v_lshlrev_b32_e32 v20, 20, v20
	v_lshl_add_u32 v21, v21, 23, 0x3c000000
	v_lshlrev_b32_sdwa v10, v10, v18 dst_sel:DWORD dst_unused:UNUSED_PAD src0_sel:DWORD src1_sel:BYTE_3
	v_and_b32_e32 v10, 0x80000000, v10
	v_or3_b32 v49, v20, v10, v21
.LBB382_2991:                           ;   in Loop: Header=BB382_1574 Depth=1
	s_or_b32 exec_lo, exec_lo, s20
.LBB382_2992:                           ;   in Loop: Header=BB382_1574 Depth=1
	s_or_b32 exec_lo, exec_lo, s18
.LBB382_2993:                           ;   in Loop: Header=BB382_1574 Depth=1
	s_or_b32 exec_lo, exec_lo, s17
	v_mov_b32_e32 v10, v19
	v_cmp_ne_u16_sdwa s4, v19, v11 src0_sel:BYTE_0 src1_sel:DWORD
	v_mov_b32_e32 v52, 0
	v_mov_b32_e32 v51, 0
	s_and_saveexec_b32 s17, s4
	s_cbranch_execz .LBB382_3001
; %bb.2994:                             ;   in Loop: Header=BB382_1574 Depth=1
	v_cmp_ne_u16_sdwa s4, v19, v98 src0_sel:BYTE_0 src1_sel:DWORD
	v_bfrev_b32_e32 v51, 1
	s_and_saveexec_b32 s18, s4
	s_cbranch_execz .LBB382_3000
; %bb.2995:                             ;   in Loop: Header=BB382_1574 Depth=1
	v_and_b32_e32 v50, 0x7f, v19
	v_mov_b32_e32 v51, 0x7f800001
	s_mov_b32 s20, exec_lo
	v_cmpx_ne_u32_e32 0x7f, v50
	s_cbranch_execz .LBB382_2999
; %bb.2996:                             ;   in Loop: Header=BB382_1574 Depth=1
	v_mov_b32_e32 v21, v11
	v_mov_b32_e32 v20, v10
	v_lshrrev_b32_e32 v21, 3, v50
	s_mov_b32 s21, exec_lo
	v_cmpx_gt_u32_e32 8, v50
; %bb.2997:                             ;   in Loop: Header=BB382_1574 Depth=1
	v_and_b32_e32 v20, 7, v19
	v_ffbh_u32_e32 v20, v20
	v_min_u32_e32 v50, 32, v20
	v_subrev_nc_u32_e32 v20, 28, v50
	v_lshlrev_b64 v[20:21], v20, v[10:11]
	v_sub_nc_u32_e32 v21, 29, v50
; %bb.2998:                             ;   in Loop: Header=BB382_1574 Depth=1
	s_or_b32 exec_lo, exec_lo, s21
	v_lshlrev_b32_e32 v20, 20, v20
	v_lshlrev_b32_e32 v50, 24, v10
	v_lshl_add_u32 v21, v21, 23, 0x3c000000
	v_and_b32_e32 v20, 0x700000, v20
	v_and_b32_e32 v50, 0x80000000, v50
	v_or3_b32 v51, v20, v50, v21
.LBB382_2999:                           ;   in Loop: Header=BB382_1574 Depth=1
	s_or_b32 exec_lo, exec_lo, s20
.LBB382_3000:                           ;   in Loop: Header=BB382_1574 Depth=1
	s_or_b32 exec_lo, exec_lo, s18
.LBB382_3001:                           ;   in Loop: Header=BB382_1574 Depth=1
	s_or_b32 exec_lo, exec_lo, s17
	v_cmp_ne_u16_sdwa s4, v10, v11 src0_sel:BYTE_1 src1_sel:DWORD
	s_and_saveexec_b32 s17, s4
	s_cbranch_execz .LBB382_3009
; %bb.3002:                             ;   in Loop: Header=BB382_1574 Depth=1
	v_cmp_ne_u16_sdwa s4, v10, v98 src0_sel:BYTE_1 src1_sel:DWORD
	v_bfrev_b32_e32 v52, 1
	s_and_saveexec_b32 s18, s4
	s_cbranch_execz .LBB382_3008
; %bb.3003:                             ;   in Loop: Header=BB382_1574 Depth=1
	v_mov_b32_e32 v20, 0xffff
	v_mov_b32_e32 v52, 0x7f800001
	s_mov_b32 s20, exec_lo
	v_and_b32_sdwa v20, v20, v10 dst_sel:DWORD dst_unused:UNUSED_PAD src0_sel:DWORD src1_sel:BYTE_1
	v_and_b32_e32 v53, 0x7f, v20
	v_cmpx_ne_u32_e32 0x7f, v53
	s_cbranch_execz .LBB382_3007
; %bb.3004:                             ;   in Loop: Header=BB382_1574 Depth=1
	v_and_b32_e32 v20, 7, v20
	v_mov_b32_e32 v21, v11
	v_lshrrev_b32_e32 v50, 3, v53
	s_mov_b32 s21, exec_lo
	v_cmpx_gt_u32_e32 8, v53
; %bb.3005:                             ;   in Loop: Header=BB382_1574 Depth=1
	v_ffbh_u32_e32 v50, v20
	v_min_u32_e32 v50, 32, v50
	v_subrev_nc_u32_e32 v52, 28, v50
	v_sub_nc_u32_e32 v50, 29, v50
	v_lshlrev_b64 v[20:21], v52, v[20:21]
	v_and_b32_e32 v20, 7, v20
; %bb.3006:                             ;   in Loop: Header=BB382_1574 Depth=1
	s_or_b32 exec_lo, exec_lo, s21
	v_lshlrev_b32_e32 v10, 16, v10
	v_lshlrev_b32_e32 v20, 20, v20
	v_lshl_add_u32 v21, v50, 23, 0x3c000000
	v_and_b32_e32 v10, 0x80000000, v10
	v_or3_b32 v52, v20, v10, v21
.LBB382_3007:                           ;   in Loop: Header=BB382_1574 Depth=1
	s_or_b32 exec_lo, exec_lo, s20
.LBB382_3008:                           ;   in Loop: Header=BB382_1574 Depth=1
	s_or_b32 exec_lo, exec_lo, s18
.LBB382_3009:                           ;   in Loop: Header=BB382_1574 Depth=1
	s_or_b32 exec_lo, exec_lo, s17
	v_and_b32_sdwa v10, v19, v100 dst_sel:DWORD dst_unused:UNUSED_PAD src0_sel:WORD_1 src1_sel:DWORD
	v_mov_b32_e32 v50, 0
	v_mov_b32_e32 v53, 0
	s_mov_b32 s17, exec_lo
	v_cmpx_ne_u16_e32 0, v10
	s_cbranch_execz .LBB382_3017
; %bb.3010:                             ;   in Loop: Header=BB382_1574 Depth=1
	v_bfrev_b32_e32 v53, 1
	s_mov_b32 s18, exec_lo
	v_cmpx_ne_u16_e32 0x80, v10
	s_cbranch_execz .LBB382_3016
; %bb.3011:                             ;   in Loop: Header=BB382_1574 Depth=1
	v_bfe_u32 v70, v19, 16, 7
	v_mov_b32_e32 v53, 0x7f800001
	s_mov_b32 s20, exec_lo
	v_cmpx_ne_u32_e32 0x7f, v70
	s_cbranch_execz .LBB382_3015
; %bb.3012:                             ;   in Loop: Header=BB382_1574 Depth=1
	v_mov_b32_e32 v10, 7
	s_mov_b32 s21, exec_lo
	v_and_b32_sdwa v10, v19, v10 dst_sel:DWORD dst_unused:UNUSED_PAD src0_sel:WORD_1 src1_sel:DWORD
	v_mov_b32_e32 v21, v11
	v_lshrrev_b32_e32 v21, 3, v70
	v_mov_b32_e32 v20, v10
	v_cmpx_gt_u32_e32 8, v70
; %bb.3013:                             ;   in Loop: Header=BB382_1574 Depth=1
	v_ffbh_u32_e32 v20, v10
	v_min_u32_e32 v53, 32, v20
	v_subrev_nc_u32_e32 v20, 28, v53
	v_lshlrev_b64 v[20:21], v20, v[10:11]
	v_sub_nc_u32_e32 v21, 29, v53
	v_and_b32_e32 v20, 7, v20
; %bb.3014:                             ;   in Loop: Header=BB382_1574 Depth=1
	s_or_b32 exec_lo, exec_lo, s21
	v_mov_b32_e32 v10, 24
	v_lshlrev_b32_e32 v20, 20, v20
	v_lshl_add_u32 v21, v21, 23, 0x3c000000
	v_lshlrev_b32_sdwa v10, v10, v19 dst_sel:DWORD dst_unused:UNUSED_PAD src0_sel:DWORD src1_sel:WORD_1
	v_and_b32_e32 v10, 0x80000000, v10
	v_or3_b32 v53, v20, v10, v21
.LBB382_3015:                           ;   in Loop: Header=BB382_1574 Depth=1
	s_or_b32 exec_lo, exec_lo, s20
.LBB382_3016:                           ;   in Loop: Header=BB382_1574 Depth=1
	s_or_b32 exec_lo, exec_lo, s18
.LBB382_3017:                           ;   in Loop: Header=BB382_1574 Depth=1
	s_or_b32 exec_lo, exec_lo, s17
	s_mov_b32 s17, exec_lo
	v_cmpx_lt_u64_e64 s[12:13], v[18:19]
	s_cbranch_execz .LBB382_3025
; %bb.3018:                             ;   in Loop: Header=BB382_1574 Depth=1
	v_cmp_ne_u32_sdwa s4, v19, v98 src0_sel:BYTE_3 src1_sel:DWORD
	v_bfrev_b32_e32 v50, 1
	s_and_saveexec_b32 s18, s4
	s_cbranch_execz .LBB382_3024
; %bb.3019:                             ;   in Loop: Header=BB382_1574 Depth=1
	v_bfe_u32 v70, v19, 24, 7
	v_mov_b32_e32 v50, 0x7f800001
	s_mov_b32 s20, exec_lo
	v_cmpx_ne_u32_e32 0x7f, v70
	s_cbranch_execz .LBB382_3023
; %bb.3020:                             ;   in Loop: Header=BB382_1574 Depth=1
	v_mov_b32_e32 v10, 7
	v_lshrrev_b32_e32 v18, 3, v70
	s_mov_b32 s21, exec_lo
	v_and_b32_sdwa v10, v19, v10 dst_sel:DWORD dst_unused:UNUSED_PAD src0_sel:BYTE_3 src1_sel:DWORD
	v_mov_b32_e32 v21, v11
	v_mov_b32_e32 v20, v10
	v_cmpx_gt_u32_e32 8, v70
; %bb.3021:                             ;   in Loop: Header=BB382_1574 Depth=1
	v_ffbh_u32_e32 v18, v10
	v_min_u32_e32 v18, 32, v18
	v_subrev_nc_u32_e32 v20, 28, v18
	v_sub_nc_u32_e32 v18, 29, v18
	v_lshlrev_b64 v[20:21], v20, v[10:11]
	v_and_b32_e32 v20, 7, v20
; %bb.3022:                             ;   in Loop: Header=BB382_1574 Depth=1
	s_or_b32 exec_lo, exec_lo, s21
	v_mov_b32_e32 v10, 24
	v_lshl_add_u32 v18, v18, 23, 0x3c000000
	v_lshlrev_b32_sdwa v10, v10, v19 dst_sel:DWORD dst_unused:UNUSED_PAD src0_sel:DWORD src1_sel:BYTE_3
	v_lshlrev_b32_e32 v19, 20, v20
	v_and_b32_e32 v10, 0x80000000, v10
	v_or3_b32 v50, v19, v10, v18
.LBB382_3023:                           ;   in Loop: Header=BB382_1574 Depth=1
	s_or_b32 exec_lo, exec_lo, s20
.LBB382_3024:                           ;   in Loop: Header=BB382_1574 Depth=1
	s_or_b32 exec_lo, exec_lo, s18
.LBB382_3025:                           ;   in Loop: Header=BB382_1574 Depth=1
	s_or_b32 exec_lo, exec_lo, s17
	v_mul_f32_e32 v10, v106, v52
	v_bfe_u32 v18, v10, 16, 1
	v_or_b32_e32 v19, 0x400000, v10
	v_cmp_u_f32_e64 s4, v10, v10
	v_add3_u32 v18, v18, v10, 0x7fff
	v_cndmask_b32_e64 v10, v18, v19, s4
	v_lshrrev_b32_e32 v82, 16, v10
	v_mul_f32_e32 v10, v106, v51
	v_bfe_u32 v18, v10, 16, 1
	v_or_b32_e32 v19, 0x400000, v10
	v_cmp_u_f32_e64 s4, v10, v10
	v_add3_u32 v18, v18, v10, 0x7fff
	v_cndmask_b32_e64 v10, v18, v19, s4
	v_lshrrev_b32_e32 v70, 16, v10
	;; [unrolled: 7-line block ×8, first 2 shown]
	s_and_saveexec_b32 s17, vcc_lo
	s_cbranch_execz .LBB382_3027
; %bb.3026:                             ;   in Loop: Header=BB382_1574 Depth=1
	v_cmp_lt_i32_e64 s4, v105, v92
	v_cndmask_b32_e64 v83, 0, v83, s4
	v_cmp_lt_i32_e64 s4, v126, v92
	v_cndmask_b32_e64 v93, 0, v93, s4
	;; [unrolled: 2-line block ×8, first 2 shown]
.LBB382_3027:                           ;   in Loop: Header=BB382_1574 Depth=1
	s_or_b32 exec_lo, exec_lo, s17
	flat_load_dwordx2 v[18:19], v[14:15] offset:1536
	v_mov_b32_e32 v17, 0
	v_mov_b32_e32 v12, 0
	s_waitcnt vmcnt(0) lgkmcnt(0)
	v_cmp_ne_u16_sdwa s4, v18, v11 src0_sel:BYTE_0 src1_sel:DWORD
	s_and_saveexec_b32 s17, s4
	s_cbranch_execz .LBB382_3035
; %bb.3028:                             ;   in Loop: Header=BB382_1574 Depth=1
	v_cmp_ne_u16_sdwa s4, v18, v98 src0_sel:BYTE_0 src1_sel:DWORD
	v_bfrev_b32_e32 v12, 1
	s_and_saveexec_b32 s18, s4
	s_cbranch_execz .LBB382_3034
; %bb.3029:                             ;   in Loop: Header=BB382_1574 Depth=1
	v_and_b32_e32 v16, 0x7f, v18
	v_mov_b32_e32 v12, 0x7f800001
	s_mov_b32 s20, exec_lo
	v_cmpx_ne_u32_e32 0x7f, v16
	s_cbranch_execz .LBB382_3033
; %bb.3030:                             ;   in Loop: Header=BB382_1574 Depth=1
	v_mov_b32_e32 v21, v19
	v_lshrrev_b32_e32 v10, 3, v16
	v_mov_b32_e32 v20, v18
	s_mov_b32 s21, exec_lo
	v_cmpx_gt_u32_e32 8, v16
; %bb.3031:                             ;   in Loop: Header=BB382_1574 Depth=1
	v_and_b32_e32 v10, 7, v18
	v_ffbh_u32_e32 v10, v10
	v_min_u32_e32 v10, 32, v10
	v_subrev_nc_u32_e32 v12, 28, v10
	v_sub_nc_u32_e32 v10, 29, v10
	v_lshlrev_b64 v[20:21], v12, v[18:19]
; %bb.3032:                             ;   in Loop: Header=BB382_1574 Depth=1
	s_or_b32 exec_lo, exec_lo, s21
	v_lshlrev_b32_e32 v12, 20, v20
	v_lshlrev_b32_e32 v16, 24, v18
	v_lshl_add_u32 v10, v10, 23, 0x3c000000
	v_and_b32_e32 v12, 0x700000, v12
	v_and_b32_e32 v16, 0x80000000, v16
	v_or3_b32 v12, v12, v16, v10
.LBB382_3033:                           ;   in Loop: Header=BB382_1574 Depth=1
	s_or_b32 exec_lo, exec_lo, s20
.LBB382_3034:                           ;   in Loop: Header=BB382_1574 Depth=1
	s_or_b32 exec_lo, exec_lo, s18
.LBB382_3035:                           ;   in Loop: Header=BB382_1574 Depth=1
	s_or_b32 exec_lo, exec_lo, s17
	v_cmp_ne_u16_sdwa s4, v18, v11 src0_sel:BYTE_1 src1_sel:DWORD
	s_and_saveexec_b32 s17, s4
	s_cbranch_execz .LBB382_3043
; %bb.3036:                             ;   in Loop: Header=BB382_1574 Depth=1
	v_cmp_ne_u16_sdwa s4, v18, v98 src0_sel:BYTE_1 src1_sel:DWORD
	v_bfrev_b32_e32 v17, 1
	s_and_saveexec_b32 s18, s4
	s_cbranch_execz .LBB382_3042
; %bb.3037:                             ;   in Loop: Header=BB382_1574 Depth=1
	v_mov_b32_e32 v10, 0xffff
	v_mov_b32_e32 v17, 0x7f800001
	s_mov_b32 s20, exec_lo
	v_and_b32_sdwa v10, v10, v18 dst_sel:DWORD dst_unused:UNUSED_PAD src0_sel:DWORD src1_sel:BYTE_1
	v_and_b32_e32 v49, 0x7f, v10
	v_cmpx_ne_u32_e32 0x7f, v49
	s_cbranch_execz .LBB382_3041
; %bb.3038:                             ;   in Loop: Header=BB382_1574 Depth=1
	v_and_b32_e32 v10, 7, v10
	v_mov_b32_e32 v21, v11
	v_lshrrev_b32_e32 v16, 3, v49
	s_mov_b32 s21, exec_lo
	v_mov_b32_e32 v20, v10
	v_cmpx_gt_u32_e32 8, v49
; %bb.3039:                             ;   in Loop: Header=BB382_1574 Depth=1
	v_ffbh_u32_e32 v16, v10
	v_min_u32_e32 v16, 32, v16
	v_subrev_nc_u32_e32 v17, 28, v16
	v_sub_nc_u32_e32 v16, 29, v16
	v_lshlrev_b64 v[20:21], v17, v[10:11]
	v_and_b32_e32 v20, 7, v20
; %bb.3040:                             ;   in Loop: Header=BB382_1574 Depth=1
	s_or_b32 exec_lo, exec_lo, s21
	v_lshlrev_b32_e32 v10, 16, v18
	v_lshlrev_b32_e32 v17, 20, v20
	v_lshl_add_u32 v16, v16, 23, 0x3c000000
	v_and_b32_e32 v10, 0x80000000, v10
	v_or3_b32 v17, v17, v10, v16
.LBB382_3041:                           ;   in Loop: Header=BB382_1574 Depth=1
	s_or_b32 exec_lo, exec_lo, s20
.LBB382_3042:                           ;   in Loop: Header=BB382_1574 Depth=1
	s_or_b32 exec_lo, exec_lo, s18
.LBB382_3043:                           ;   in Loop: Header=BB382_1574 Depth=1
	s_or_b32 exec_lo, exec_lo, s17
	v_and_b32_sdwa v10, v18, v100 dst_sel:DWORD dst_unused:UNUSED_PAD src0_sel:WORD_1 src1_sel:DWORD
	v_mov_b32_e32 v16, 0
	v_mov_b32_e32 v49, 0
	s_mov_b32 s17, exec_lo
	v_cmpx_ne_u16_e32 0, v10
	s_cbranch_execz .LBB382_3051
; %bb.3044:                             ;   in Loop: Header=BB382_1574 Depth=1
	v_bfrev_b32_e32 v49, 1
	s_mov_b32 s18, exec_lo
	v_cmpx_ne_u16_e32 0x80, v10
	s_cbranch_execz .LBB382_3050
; %bb.3045:                             ;   in Loop: Header=BB382_1574 Depth=1
	v_bfe_u32 v50, v18, 16, 7
	v_mov_b32_e32 v49, 0x7f800001
	s_mov_b32 s20, exec_lo
	v_cmpx_ne_u32_e32 0x7f, v50
	s_cbranch_execz .LBB382_3049
; %bb.3046:                             ;   in Loop: Header=BB382_1574 Depth=1
	v_mov_b32_e32 v10, 7
	s_mov_b32 s21, exec_lo
	v_and_b32_sdwa v10, v18, v10 dst_sel:DWORD dst_unused:UNUSED_PAD src0_sel:WORD_1 src1_sel:DWORD
	v_mov_b32_e32 v21, v11
	v_lshrrev_b32_e32 v21, 3, v50
	v_mov_b32_e32 v20, v10
	v_cmpx_gt_u32_e32 8, v50
; %bb.3047:                             ;   in Loop: Header=BB382_1574 Depth=1
	v_ffbh_u32_e32 v20, v10
	v_min_u32_e32 v49, 32, v20
	v_subrev_nc_u32_e32 v20, 28, v49
	v_lshlrev_b64 v[20:21], v20, v[10:11]
	v_sub_nc_u32_e32 v21, 29, v49
	v_and_b32_e32 v20, 7, v20
; %bb.3048:                             ;   in Loop: Header=BB382_1574 Depth=1
	s_or_b32 exec_lo, exec_lo, s21
	v_mov_b32_e32 v10, 24
	v_lshlrev_b32_e32 v20, 20, v20
	v_lshl_add_u32 v21, v21, 23, 0x3c000000
	v_lshlrev_b32_sdwa v10, v10, v18 dst_sel:DWORD dst_unused:UNUSED_PAD src0_sel:DWORD src1_sel:WORD_1
	v_and_b32_e32 v10, 0x80000000, v10
	v_or3_b32 v49, v20, v10, v21
.LBB382_3049:                           ;   in Loop: Header=BB382_1574 Depth=1
	s_or_b32 exec_lo, exec_lo, s20
.LBB382_3050:                           ;   in Loop: Header=BB382_1574 Depth=1
	s_or_b32 exec_lo, exec_lo, s18
.LBB382_3051:                           ;   in Loop: Header=BB382_1574 Depth=1
	s_or_b32 exec_lo, exec_lo, s17
	s_mov_b32 s17, exec_lo
	v_cmpx_lt_u32_e32 0xffffff, v18
	s_cbranch_execz .LBB382_3059
; %bb.3052:                             ;   in Loop: Header=BB382_1574 Depth=1
	v_cmp_ne_u32_sdwa s4, v18, v98 src0_sel:BYTE_3 src1_sel:DWORD
	v_bfrev_b32_e32 v16, 1
	s_and_saveexec_b32 s18, s4
	s_cbranch_execz .LBB382_3058
; %bb.3053:                             ;   in Loop: Header=BB382_1574 Depth=1
	v_bfe_u32 v50, v18, 24, 7
	v_mov_b32_e32 v16, 0x7f800001
	s_mov_b32 s20, exec_lo
	v_cmpx_ne_u32_e32 0x7f, v50
	s_cbranch_execz .LBB382_3057
; %bb.3054:                             ;   in Loop: Header=BB382_1574 Depth=1
	v_mov_b32_e32 v10, 7
	v_lshrrev_b32_e32 v16, 3, v50
	s_mov_b32 s21, exec_lo
	v_and_b32_sdwa v10, v18, v10 dst_sel:DWORD dst_unused:UNUSED_PAD src0_sel:BYTE_3 src1_sel:DWORD
	v_mov_b32_e32 v21, v11
	v_mov_b32_e32 v20, v10
	v_cmpx_gt_u32_e32 8, v50
; %bb.3055:                             ;   in Loop: Header=BB382_1574 Depth=1
	v_ffbh_u32_e32 v16, v10
	v_min_u32_e32 v16, 32, v16
	v_subrev_nc_u32_e32 v20, 28, v16
	v_sub_nc_u32_e32 v16, 29, v16
	v_lshlrev_b64 v[20:21], v20, v[10:11]
	v_and_b32_e32 v20, 7, v20
; %bb.3056:                             ;   in Loop: Header=BB382_1574 Depth=1
	s_or_b32 exec_lo, exec_lo, s21
	v_mov_b32_e32 v10, 24
	v_lshlrev_b32_e32 v20, 20, v20
	v_lshl_add_u32 v16, v16, 23, 0x3c000000
	v_lshlrev_b32_sdwa v10, v10, v18 dst_sel:DWORD dst_unused:UNUSED_PAD src0_sel:DWORD src1_sel:BYTE_3
	v_and_b32_e32 v10, 0x80000000, v10
	v_or3_b32 v16, v20, v10, v16
.LBB382_3057:                           ;   in Loop: Header=BB382_1574 Depth=1
	s_or_b32 exec_lo, exec_lo, s20
.LBB382_3058:                           ;   in Loop: Header=BB382_1574 Depth=1
	s_or_b32 exec_lo, exec_lo, s18
.LBB382_3059:                           ;   in Loop: Header=BB382_1574 Depth=1
	s_or_b32 exec_lo, exec_lo, s17
	v_mov_b32_e32 v10, v19
	v_cmp_ne_u16_sdwa s4, v19, v11 src0_sel:BYTE_0 src1_sel:DWORD
	v_mov_b32_e32 v52, 0
	v_mov_b32_e32 v51, 0
	s_and_saveexec_b32 s17, s4
	s_cbranch_execz .LBB382_3067
; %bb.3060:                             ;   in Loop: Header=BB382_1574 Depth=1
	v_cmp_ne_u16_sdwa s4, v19, v98 src0_sel:BYTE_0 src1_sel:DWORD
	v_bfrev_b32_e32 v51, 1
	s_and_saveexec_b32 s18, s4
	s_cbranch_execz .LBB382_3066
; %bb.3061:                             ;   in Loop: Header=BB382_1574 Depth=1
	v_and_b32_e32 v50, 0x7f, v19
	v_mov_b32_e32 v51, 0x7f800001
	s_mov_b32 s20, exec_lo
	v_cmpx_ne_u32_e32 0x7f, v50
	s_cbranch_execz .LBB382_3065
; %bb.3062:                             ;   in Loop: Header=BB382_1574 Depth=1
	v_mov_b32_e32 v21, v11
	v_mov_b32_e32 v20, v10
	v_lshrrev_b32_e32 v21, 3, v50
	s_mov_b32 s21, exec_lo
	v_cmpx_gt_u32_e32 8, v50
; %bb.3063:                             ;   in Loop: Header=BB382_1574 Depth=1
	v_and_b32_e32 v20, 7, v19
	v_ffbh_u32_e32 v20, v20
	v_min_u32_e32 v50, 32, v20
	v_subrev_nc_u32_e32 v20, 28, v50
	v_lshlrev_b64 v[20:21], v20, v[10:11]
	v_sub_nc_u32_e32 v21, 29, v50
; %bb.3064:                             ;   in Loop: Header=BB382_1574 Depth=1
	s_or_b32 exec_lo, exec_lo, s21
	v_lshlrev_b32_e32 v20, 20, v20
	v_lshlrev_b32_e32 v50, 24, v10
	v_lshl_add_u32 v21, v21, 23, 0x3c000000
	v_and_b32_e32 v20, 0x700000, v20
	v_and_b32_e32 v50, 0x80000000, v50
	v_or3_b32 v51, v20, v50, v21
.LBB382_3065:                           ;   in Loop: Header=BB382_1574 Depth=1
	s_or_b32 exec_lo, exec_lo, s20
.LBB382_3066:                           ;   in Loop: Header=BB382_1574 Depth=1
	s_or_b32 exec_lo, exec_lo, s18
.LBB382_3067:                           ;   in Loop: Header=BB382_1574 Depth=1
	s_or_b32 exec_lo, exec_lo, s17
	v_cmp_ne_u16_sdwa s4, v10, v11 src0_sel:BYTE_1 src1_sel:DWORD
	s_and_saveexec_b32 s17, s4
	s_cbranch_execz .LBB382_3075
; %bb.3068:                             ;   in Loop: Header=BB382_1574 Depth=1
	v_cmp_ne_u16_sdwa s4, v10, v98 src0_sel:BYTE_1 src1_sel:DWORD
	v_bfrev_b32_e32 v52, 1
	s_and_saveexec_b32 s18, s4
	s_cbranch_execz .LBB382_3074
; %bb.3069:                             ;   in Loop: Header=BB382_1574 Depth=1
	v_mov_b32_e32 v20, 0xffff
	v_mov_b32_e32 v52, 0x7f800001
	s_mov_b32 s20, exec_lo
	v_and_b32_sdwa v20, v20, v10 dst_sel:DWORD dst_unused:UNUSED_PAD src0_sel:DWORD src1_sel:BYTE_1
	v_and_b32_e32 v53, 0x7f, v20
	v_cmpx_ne_u32_e32 0x7f, v53
	s_cbranch_execz .LBB382_3073
; %bb.3070:                             ;   in Loop: Header=BB382_1574 Depth=1
	v_and_b32_e32 v20, 7, v20
	v_mov_b32_e32 v21, v11
	v_lshrrev_b32_e32 v50, 3, v53
	s_mov_b32 s21, exec_lo
	v_cmpx_gt_u32_e32 8, v53
; %bb.3071:                             ;   in Loop: Header=BB382_1574 Depth=1
	v_ffbh_u32_e32 v50, v20
	v_min_u32_e32 v50, 32, v50
	v_subrev_nc_u32_e32 v52, 28, v50
	v_sub_nc_u32_e32 v50, 29, v50
	v_lshlrev_b64 v[20:21], v52, v[20:21]
	v_and_b32_e32 v20, 7, v20
; %bb.3072:                             ;   in Loop: Header=BB382_1574 Depth=1
	s_or_b32 exec_lo, exec_lo, s21
	v_lshlrev_b32_e32 v10, 16, v10
	v_lshlrev_b32_e32 v20, 20, v20
	v_lshl_add_u32 v21, v50, 23, 0x3c000000
	v_and_b32_e32 v10, 0x80000000, v10
	v_or3_b32 v52, v20, v10, v21
.LBB382_3073:                           ;   in Loop: Header=BB382_1574 Depth=1
	s_or_b32 exec_lo, exec_lo, s20
.LBB382_3074:                           ;   in Loop: Header=BB382_1574 Depth=1
	s_or_b32 exec_lo, exec_lo, s18
.LBB382_3075:                           ;   in Loop: Header=BB382_1574 Depth=1
	s_or_b32 exec_lo, exec_lo, s17
	v_and_b32_sdwa v10, v19, v100 dst_sel:DWORD dst_unused:UNUSED_PAD src0_sel:WORD_1 src1_sel:DWORD
	v_mov_b32_e32 v102, 0
	v_mov_b32_e32 v50, 0
	s_mov_b32 s17, exec_lo
	v_cmpx_ne_u16_e32 0, v10
	s_cbranch_execz .LBB382_3083
; %bb.3076:                             ;   in Loop: Header=BB382_1574 Depth=1
	v_bfrev_b32_e32 v50, 1
	s_mov_b32 s18, exec_lo
	v_cmpx_ne_u16_e32 0x80, v10
	s_cbranch_execz .LBB382_3082
; %bb.3077:                             ;   in Loop: Header=BB382_1574 Depth=1
	v_bfe_u32 v53, v19, 16, 7
	v_mov_b32_e32 v50, 0x7f800001
	s_mov_b32 s20, exec_lo
	v_cmpx_ne_u32_e32 0x7f, v53
	s_cbranch_execz .LBB382_3081
; %bb.3078:                             ;   in Loop: Header=BB382_1574 Depth=1
	v_mov_b32_e32 v10, 7
	s_mov_b32 s21, exec_lo
	v_and_b32_sdwa v10, v19, v10 dst_sel:DWORD dst_unused:UNUSED_PAD src0_sel:WORD_1 src1_sel:DWORD
	v_mov_b32_e32 v21, v11
	v_lshrrev_b32_e32 v21, 3, v53
	v_mov_b32_e32 v20, v10
	v_cmpx_gt_u32_e32 8, v53
; %bb.3079:                             ;   in Loop: Header=BB382_1574 Depth=1
	v_ffbh_u32_e32 v20, v10
	v_min_u32_e32 v50, 32, v20
	v_subrev_nc_u32_e32 v20, 28, v50
	v_lshlrev_b64 v[20:21], v20, v[10:11]
	v_sub_nc_u32_e32 v21, 29, v50
	v_and_b32_e32 v20, 7, v20
; %bb.3080:                             ;   in Loop: Header=BB382_1574 Depth=1
	s_or_b32 exec_lo, exec_lo, s21
	v_mov_b32_e32 v10, 24
	v_lshlrev_b32_e32 v20, 20, v20
	v_lshl_add_u32 v21, v21, 23, 0x3c000000
	v_lshlrev_b32_sdwa v10, v10, v19 dst_sel:DWORD dst_unused:UNUSED_PAD src0_sel:DWORD src1_sel:WORD_1
	v_and_b32_e32 v10, 0x80000000, v10
	v_or3_b32 v50, v20, v10, v21
.LBB382_3081:                           ;   in Loop: Header=BB382_1574 Depth=1
	s_or_b32 exec_lo, exec_lo, s20
.LBB382_3082:                           ;   in Loop: Header=BB382_1574 Depth=1
	s_or_b32 exec_lo, exec_lo, s18
.LBB382_3083:                           ;   in Loop: Header=BB382_1574 Depth=1
	s_or_b32 exec_lo, exec_lo, s17
	s_mov_b32 s17, exec_lo
	v_cmpx_lt_u64_e64 s[12:13], v[18:19]
	s_cbranch_execz .LBB382_3091
; %bb.3084:                             ;   in Loop: Header=BB382_1574 Depth=1
	v_cmp_ne_u32_sdwa s4, v19, v98 src0_sel:BYTE_3 src1_sel:DWORD
	v_bfrev_b32_e32 v102, 1
	s_and_saveexec_b32 s18, s4
	s_cbranch_execz .LBB382_3090
; %bb.3085:                             ;   in Loop: Header=BB382_1574 Depth=1
	v_bfe_u32 v53, v19, 24, 7
	v_mov_b32_e32 v102, 0x7f800001
	s_mov_b32 s20, exec_lo
	v_cmpx_ne_u32_e32 0x7f, v53
	s_cbranch_execz .LBB382_3089
; %bb.3086:                             ;   in Loop: Header=BB382_1574 Depth=1
	v_mov_b32_e32 v10, 7
	v_lshrrev_b32_e32 v18, 3, v53
	s_mov_b32 s21, exec_lo
	v_and_b32_sdwa v10, v19, v10 dst_sel:DWORD dst_unused:UNUSED_PAD src0_sel:BYTE_3 src1_sel:DWORD
	v_mov_b32_e32 v21, v11
	v_mov_b32_e32 v20, v10
	v_cmpx_gt_u32_e32 8, v53
; %bb.3087:                             ;   in Loop: Header=BB382_1574 Depth=1
	v_ffbh_u32_e32 v18, v10
	v_min_u32_e32 v18, 32, v18
	v_subrev_nc_u32_e32 v20, 28, v18
	v_sub_nc_u32_e32 v18, 29, v18
	v_lshlrev_b64 v[20:21], v20, v[10:11]
	v_and_b32_e32 v20, 7, v20
; %bb.3088:                             ;   in Loop: Header=BB382_1574 Depth=1
	s_or_b32 exec_lo, exec_lo, s21
	v_mov_b32_e32 v10, 24
	v_lshl_add_u32 v18, v18, 23, 0x3c000000
	v_lshlrev_b32_sdwa v10, v10, v19 dst_sel:DWORD dst_unused:UNUSED_PAD src0_sel:DWORD src1_sel:BYTE_3
	v_lshlrev_b32_e32 v19, 20, v20
	v_and_b32_e32 v10, 0x80000000, v10
	v_or3_b32 v102, v19, v10, v18
.LBB382_3089:                           ;   in Loop: Header=BB382_1574 Depth=1
	s_or_b32 exec_lo, exec_lo, s20
.LBB382_3090:                           ;   in Loop: Header=BB382_1574 Depth=1
	s_or_b32 exec_lo, exec_lo, s18
.LBB382_3091:                           ;   in Loop: Header=BB382_1574 Depth=1
	s_or_b32 exec_lo, exec_lo, s17
	v_mul_f32_e32 v10, v106, v52
	v_bfe_u32 v18, v10, 16, 1
	v_or_b32_e32 v19, 0x400000, v10
	v_cmp_u_f32_e64 s4, v10, v10
	v_add3_u32 v18, v18, v10, 0x7fff
	v_cndmask_b32_e64 v10, v18, v19, s4
	v_lshrrev_b32_e32 v85, 16, v10
	v_mul_f32_e32 v10, v106, v51
	v_bfe_u32 v18, v10, 16, 1
	v_or_b32_e32 v19, 0x400000, v10
	v_cmp_u_f32_e64 s4, v10, v10
	v_add3_u32 v18, v18, v10, 0x7fff
	v_cndmask_b32_e64 v10, v18, v19, s4
	v_lshrrev_b32_e32 v86, 16, v10
	;; [unrolled: 7-line block ×8, first 2 shown]
	s_and_saveexec_b32 s17, vcc_lo
	s_cbranch_execz .LBB382_3093
; %bb.3092:                             ;   in Loop: Header=BB382_1574 Depth=1
	v_cmp_lt_i32_e64 s4, v105, v92
	v_cndmask_b32_e64 v101, 0, v101, s4
	v_cmp_lt_i32_e64 s4, v126, v92
	v_cndmask_b32_e64 v99, 0, v99, s4
	;; [unrolled: 2-line block ×8, first 2 shown]
.LBB382_3093:                           ;   in Loop: Header=BB382_1574 Depth=1
	s_or_b32 exec_lo, exec_lo, s17
	flat_load_dwordx2 v[14:15], v[14:15] offset:1792
	v_mov_b32_e32 v17, 0
	v_mov_b32_e32 v12, 0
	s_waitcnt vmcnt(0) lgkmcnt(0)
	v_cmp_ne_u16_sdwa s4, v14, v11 src0_sel:BYTE_0 src1_sel:DWORD
	s_and_saveexec_b32 s17, s4
	s_cbranch_execz .LBB382_3101
; %bb.3094:                             ;   in Loop: Header=BB382_1574 Depth=1
	v_cmp_ne_u16_sdwa s4, v14, v98 src0_sel:BYTE_0 src1_sel:DWORD
	v_bfrev_b32_e32 v12, 1
	s_and_saveexec_b32 s18, s4
	s_cbranch_execz .LBB382_3100
; %bb.3095:                             ;   in Loop: Header=BB382_1574 Depth=1
	v_and_b32_e32 v18, 0x7f, v14
	v_mov_b32_e32 v12, 0x7f800001
	s_mov_b32 s20, exec_lo
	v_cmpx_ne_u32_e32 0x7f, v18
	s_cbranch_execz .LBB382_3099
; %bb.3096:                             ;   in Loop: Header=BB382_1574 Depth=1
	v_lshrrev_b32_e32 v10, 3, v18
	v_cmp_gt_u32_e64 s4, 8, v18
	v_mov_b32_e32 v19, v15
	v_mov_b32_e32 v18, v14
	s_and_saveexec_b32 s21, s4
; %bb.3097:                             ;   in Loop: Header=BB382_1574 Depth=1
	v_and_b32_e32 v10, 7, v14
	v_ffbh_u32_e32 v10, v10
	v_min_u32_e32 v10, 32, v10
	v_subrev_nc_u32_e32 v12, 28, v10
	v_sub_nc_u32_e32 v10, 29, v10
	v_lshlrev_b64 v[18:19], v12, v[14:15]
; %bb.3098:                             ;   in Loop: Header=BB382_1574 Depth=1
	s_or_b32 exec_lo, exec_lo, s21
	v_lshlrev_b32_e32 v12, 20, v18
	v_lshlrev_b32_e32 v18, 24, v14
	v_lshl_add_u32 v10, v10, 23, 0x3c000000
	v_and_b32_e32 v12, 0x700000, v12
	v_and_b32_e32 v18, 0x80000000, v18
	v_or3_b32 v12, v12, v18, v10
.LBB382_3099:                           ;   in Loop: Header=BB382_1574 Depth=1
	s_or_b32 exec_lo, exec_lo, s20
.LBB382_3100:                           ;   in Loop: Header=BB382_1574 Depth=1
	s_or_b32 exec_lo, exec_lo, s18
.LBB382_3101:                           ;   in Loop: Header=BB382_1574 Depth=1
	s_or_b32 exec_lo, exec_lo, s17
	v_cmp_ne_u16_sdwa s4, v14, v11 src0_sel:BYTE_1 src1_sel:DWORD
	s_and_saveexec_b32 s17, s4
	s_cbranch_execz .LBB382_3109
; %bb.3102:                             ;   in Loop: Header=BB382_1574 Depth=1
	v_cmp_ne_u16_sdwa s4, v14, v98 src0_sel:BYTE_1 src1_sel:DWORD
	v_bfrev_b32_e32 v17, 1
	s_and_saveexec_b32 s18, s4
	s_cbranch_execz .LBB382_3108
; %bb.3103:                             ;   in Loop: Header=BB382_1574 Depth=1
	v_mov_b32_e32 v10, 0xffff
	v_mov_b32_e32 v17, 0x7f800001
	s_mov_b32 s20, exec_lo
	v_and_b32_sdwa v10, v10, v14 dst_sel:DWORD dst_unused:UNUSED_PAD src0_sel:DWORD src1_sel:BYTE_1
	v_and_b32_e32 v20, 0x7f, v10
	v_cmpx_ne_u32_e32 0x7f, v20
	s_cbranch_execz .LBB382_3107
; %bb.3104:                             ;   in Loop: Header=BB382_1574 Depth=1
	v_and_b32_e32 v10, 7, v10
	v_mov_b32_e32 v19, v11
	v_lshrrev_b32_e32 v17, 3, v20
	s_mov_b32 s21, exec_lo
	v_mov_b32_e32 v18, v10
	v_cmpx_gt_u32_e32 8, v20
; %bb.3105:                             ;   in Loop: Header=BB382_1574 Depth=1
	v_ffbh_u32_e32 v17, v10
	v_min_u32_e32 v17, 32, v17
	v_subrev_nc_u32_e32 v18, 28, v17
	v_sub_nc_u32_e32 v17, 29, v17
	v_lshlrev_b64 v[18:19], v18, v[10:11]
	v_and_b32_e32 v18, 7, v18
; %bb.3106:                             ;   in Loop: Header=BB382_1574 Depth=1
	s_or_b32 exec_lo, exec_lo, s21
	v_lshlrev_b32_e32 v10, 16, v14
	v_lshlrev_b32_e32 v18, 20, v18
	v_lshl_add_u32 v17, v17, 23, 0x3c000000
	v_and_b32_e32 v10, 0x80000000, v10
	v_or3_b32 v17, v18, v10, v17
.LBB382_3107:                           ;   in Loop: Header=BB382_1574 Depth=1
	s_or_b32 exec_lo, exec_lo, s20
.LBB382_3108:                           ;   in Loop: Header=BB382_1574 Depth=1
	s_or_b32 exec_lo, exec_lo, s18
.LBB382_3109:                           ;   in Loop: Header=BB382_1574 Depth=1
	s_or_b32 exec_lo, exec_lo, s17
	v_and_b32_sdwa v10, v14, v100 dst_sel:DWORD dst_unused:UNUSED_PAD src0_sel:WORD_1 src1_sel:DWORD
	v_mov_b32_e32 v21, 0
	v_mov_b32_e32 v20, 0
	s_mov_b32 s17, exec_lo
	v_cmpx_ne_u16_e32 0, v10
	s_cbranch_execz .LBB382_3117
; %bb.3110:                             ;   in Loop: Header=BB382_1574 Depth=1
	v_bfrev_b32_e32 v20, 1
	s_mov_b32 s18, exec_lo
	v_cmpx_ne_u16_e32 0x80, v10
	s_cbranch_execz .LBB382_3116
; %bb.3111:                             ;   in Loop: Header=BB382_1574 Depth=1
	v_bfe_u32 v49, v14, 16, 7
	v_mov_b32_e32 v20, 0x7f800001
	s_mov_b32 s20, exec_lo
	v_cmpx_ne_u32_e32 0x7f, v49
	s_cbranch_execz .LBB382_3115
; %bb.3112:                             ;   in Loop: Header=BB382_1574 Depth=1
	v_mov_b32_e32 v10, 7
	s_mov_b32 s21, exec_lo
	v_and_b32_sdwa v10, v14, v10 dst_sel:DWORD dst_unused:UNUSED_PAD src0_sel:WORD_1 src1_sel:DWORD
	v_mov_b32_e32 v19, v11
	v_lshrrev_b32_e32 v19, 3, v49
	v_mov_b32_e32 v18, v10
	v_cmpx_gt_u32_e32 8, v49
; %bb.3113:                             ;   in Loop: Header=BB382_1574 Depth=1
	v_ffbh_u32_e32 v18, v10
	v_min_u32_e32 v20, 32, v18
	v_subrev_nc_u32_e32 v18, 28, v20
	v_lshlrev_b64 v[18:19], v18, v[10:11]
	v_sub_nc_u32_e32 v19, 29, v20
	v_and_b32_e32 v18, 7, v18
; %bb.3114:                             ;   in Loop: Header=BB382_1574 Depth=1
	s_or_b32 exec_lo, exec_lo, s21
	v_mov_b32_e32 v10, 24
	v_lshlrev_b32_e32 v18, 20, v18
	v_lshl_add_u32 v19, v19, 23, 0x3c000000
	v_lshlrev_b32_sdwa v10, v10, v14 dst_sel:DWORD dst_unused:UNUSED_PAD src0_sel:DWORD src1_sel:WORD_1
	v_and_b32_e32 v10, 0x80000000, v10
	v_or3_b32 v20, v18, v10, v19
.LBB382_3115:                           ;   in Loop: Header=BB382_1574 Depth=1
	s_or_b32 exec_lo, exec_lo, s20
.LBB382_3116:                           ;   in Loop: Header=BB382_1574 Depth=1
	s_or_b32 exec_lo, exec_lo, s18
.LBB382_3117:                           ;   in Loop: Header=BB382_1574 Depth=1
	s_or_b32 exec_lo, exec_lo, s17
	s_mov_b32 s17, exec_lo
	v_cmpx_lt_u32_e32 0xffffff, v14
	s_cbranch_execz .LBB382_3125
; %bb.3118:                             ;   in Loop: Header=BB382_1574 Depth=1
	v_cmp_ne_u32_sdwa s4, v14, v98 src0_sel:BYTE_3 src1_sel:DWORD
	v_bfrev_b32_e32 v21, 1
	s_and_saveexec_b32 s18, s4
	s_cbranch_execz .LBB382_3124
; %bb.3119:                             ;   in Loop: Header=BB382_1574 Depth=1
	v_bfe_u32 v49, v14, 24, 7
	v_mov_b32_e32 v21, 0x7f800001
	s_mov_b32 s20, exec_lo
	v_cmpx_ne_u32_e32 0x7f, v49
	s_cbranch_execz .LBB382_3123
; %bb.3120:                             ;   in Loop: Header=BB382_1574 Depth=1
	v_mov_b32_e32 v10, 7
	s_mov_b32 s21, exec_lo
	v_and_b32_sdwa v10, v14, v10 dst_sel:DWORD dst_unused:UNUSED_PAD src0_sel:BYTE_3 src1_sel:DWORD
	v_mov_b32_e32 v19, v11
	v_lshrrev_b32_e32 v19, 3, v49
	v_mov_b32_e32 v18, v10
	v_cmpx_gt_u32_e32 8, v49
; %bb.3121:                             ;   in Loop: Header=BB382_1574 Depth=1
	v_ffbh_u32_e32 v18, v10
	v_min_u32_e32 v21, 32, v18
	v_subrev_nc_u32_e32 v18, 28, v21
	v_lshlrev_b64 v[18:19], v18, v[10:11]
	v_sub_nc_u32_e32 v19, 29, v21
	v_and_b32_e32 v18, 7, v18
; %bb.3122:                             ;   in Loop: Header=BB382_1574 Depth=1
	s_or_b32 exec_lo, exec_lo, s21
	v_mov_b32_e32 v10, 24
	v_lshlrev_b32_e32 v18, 20, v18
	v_lshl_add_u32 v19, v19, 23, 0x3c000000
	v_lshlrev_b32_sdwa v10, v10, v14 dst_sel:DWORD dst_unused:UNUSED_PAD src0_sel:DWORD src1_sel:BYTE_3
	v_and_b32_e32 v10, 0x80000000, v10
	v_or3_b32 v21, v18, v10, v19
.LBB382_3123:                           ;   in Loop: Header=BB382_1574 Depth=1
	s_or_b32 exec_lo, exec_lo, s20
.LBB382_3124:                           ;   in Loop: Header=BB382_1574 Depth=1
	s_or_b32 exec_lo, exec_lo, s18
.LBB382_3125:                           ;   in Loop: Header=BB382_1574 Depth=1
	s_or_b32 exec_lo, exec_lo, s17
	v_mov_b32_e32 v10, v15
	v_cmp_ne_u16_sdwa s4, v15, v11 src0_sel:BYTE_0 src1_sel:DWORD
	v_mov_b32_e32 v113, 0
	v_mov_b32_e32 v52, 0
	s_and_saveexec_b32 s17, s4
	s_cbranch_execz .LBB382_3133
; %bb.3126:                             ;   in Loop: Header=BB382_1574 Depth=1
	v_cmp_ne_u16_sdwa s4, v15, v98 src0_sel:BYTE_0 src1_sel:DWORD
	v_bfrev_b32_e32 v52, 1
	s_and_saveexec_b32 s18, s4
	s_cbranch_execz .LBB382_3132
; %bb.3127:                             ;   in Loop: Header=BB382_1574 Depth=1
	v_and_b32_e32 v49, 0x7f, v15
	v_mov_b32_e32 v52, 0x7f800001
	s_mov_b32 s20, exec_lo
	v_cmpx_ne_u32_e32 0x7f, v49
	s_cbranch_execz .LBB382_3131
; %bb.3128:                             ;   in Loop: Header=BB382_1574 Depth=1
	v_mov_b32_e32 v19, v11
	v_mov_b32_e32 v18, v10
	v_lshrrev_b32_e32 v19, 3, v49
	s_mov_b32 s21, exec_lo
	v_cmpx_gt_u32_e32 8, v49
; %bb.3129:                             ;   in Loop: Header=BB382_1574 Depth=1
	v_and_b32_e32 v18, 7, v15
	v_ffbh_u32_e32 v18, v18
	v_min_u32_e32 v49, 32, v18
	v_subrev_nc_u32_e32 v18, 28, v49
	v_lshlrev_b64 v[18:19], v18, v[10:11]
	v_sub_nc_u32_e32 v19, 29, v49
; %bb.3130:                             ;   in Loop: Header=BB382_1574 Depth=1
	s_or_b32 exec_lo, exec_lo, s21
	v_lshlrev_b32_e32 v18, 20, v18
	v_lshlrev_b32_e32 v49, 24, v10
	v_lshl_add_u32 v19, v19, 23, 0x3c000000
	v_and_b32_e32 v18, 0x700000, v18
	v_and_b32_e32 v49, 0x80000000, v49
	v_or3_b32 v52, v18, v49, v19
.LBB382_3131:                           ;   in Loop: Header=BB382_1574 Depth=1
	s_or_b32 exec_lo, exec_lo, s20
.LBB382_3132:                           ;   in Loop: Header=BB382_1574 Depth=1
	s_or_b32 exec_lo, exec_lo, s18
.LBB382_3133:                           ;   in Loop: Header=BB382_1574 Depth=1
	s_or_b32 exec_lo, exec_lo, s17
	v_cmp_ne_u16_sdwa s4, v10, v11 src0_sel:BYTE_1 src1_sel:DWORD
	s_and_saveexec_b32 s17, s4
	s_cbranch_execz .LBB382_3141
; %bb.3134:                             ;   in Loop: Header=BB382_1574 Depth=1
	v_cmp_ne_u16_sdwa s4, v10, v98 src0_sel:BYTE_1 src1_sel:DWORD
	v_bfrev_b32_e32 v113, 1
	s_and_saveexec_b32 s18, s4
	s_cbranch_execz .LBB382_3140
; %bb.3135:                             ;   in Loop: Header=BB382_1574 Depth=1
	v_mov_b32_e32 v18, 0xffff
	v_mov_b32_e32 v113, 0x7f800001
	s_mov_b32 s20, exec_lo
	v_and_b32_sdwa v18, v18, v10 dst_sel:DWORD dst_unused:UNUSED_PAD src0_sel:DWORD src1_sel:BYTE_1
	v_and_b32_e32 v51, 0x7f, v18
	v_cmpx_ne_u32_e32 0x7f, v51
	s_cbranch_execz .LBB382_3139
; %bb.3136:                             ;   in Loop: Header=BB382_1574 Depth=1
	v_and_b32_e32 v18, 7, v18
	v_mov_b32_e32 v19, v11
	v_lshrrev_b32_e32 v49, 3, v51
	s_mov_b32 s21, exec_lo
	v_cmpx_gt_u32_e32 8, v51
; %bb.3137:                             ;   in Loop: Header=BB382_1574 Depth=1
	v_ffbh_u32_e32 v49, v18
	v_min_u32_e32 v49, 32, v49
	v_subrev_nc_u32_e32 v51, 28, v49
	v_sub_nc_u32_e32 v49, 29, v49
	v_lshlrev_b64 v[18:19], v51, v[18:19]
	v_and_b32_e32 v18, 7, v18
; %bb.3138:                             ;   in Loop: Header=BB382_1574 Depth=1
	s_or_b32 exec_lo, exec_lo, s21
	v_lshlrev_b32_e32 v10, 16, v10
	v_lshlrev_b32_e32 v18, 20, v18
	v_lshl_add_u32 v19, v49, 23, 0x3c000000
	v_and_b32_e32 v10, 0x80000000, v10
	v_or3_b32 v113, v18, v10, v19
.LBB382_3139:                           ;   in Loop: Header=BB382_1574 Depth=1
	s_or_b32 exec_lo, exec_lo, s20
.LBB382_3140:                           ;   in Loop: Header=BB382_1574 Depth=1
	s_or_b32 exec_lo, exec_lo, s18
.LBB382_3141:                           ;   in Loop: Header=BB382_1574 Depth=1
	s_or_b32 exec_lo, exec_lo, s17
	v_and_b32_sdwa v10, v15, v100 dst_sel:DWORD dst_unused:UNUSED_PAD src0_sel:WORD_1 src1_sel:DWORD
	v_mov_b32_e32 v49, 0
	v_mov_b32_e32 v51, 0
	s_mov_b32 s17, exec_lo
	v_cmpx_ne_u16_e32 0, v10
	s_cbranch_execz .LBB382_3149
; %bb.3142:                             ;   in Loop: Header=BB382_1574 Depth=1
	v_bfrev_b32_e32 v51, 1
	s_mov_b32 s18, exec_lo
	v_cmpx_ne_u16_e32 0x80, v10
	s_cbranch_execz .LBB382_3148
; %bb.3143:                             ;   in Loop: Header=BB382_1574 Depth=1
	v_bfe_u32 v114, v15, 16, 7
	v_mov_b32_e32 v51, 0x7f800001
	s_mov_b32 s20, exec_lo
	v_cmpx_ne_u32_e32 0x7f, v114
	s_cbranch_execz .LBB382_3147
; %bb.3144:                             ;   in Loop: Header=BB382_1574 Depth=1
	v_mov_b32_e32 v10, 7
	s_mov_b32 s21, exec_lo
	v_and_b32_sdwa v10, v15, v10 dst_sel:DWORD dst_unused:UNUSED_PAD src0_sel:WORD_1 src1_sel:DWORD
	v_mov_b32_e32 v19, v11
	v_lshrrev_b32_e32 v19, 3, v114
	v_mov_b32_e32 v18, v10
	v_cmpx_gt_u32_e32 8, v114
; %bb.3145:                             ;   in Loop: Header=BB382_1574 Depth=1
	v_ffbh_u32_e32 v18, v10
	v_min_u32_e32 v51, 32, v18
	v_subrev_nc_u32_e32 v18, 28, v51
	v_lshlrev_b64 v[18:19], v18, v[10:11]
	v_sub_nc_u32_e32 v19, 29, v51
	v_and_b32_e32 v18, 7, v18
; %bb.3146:                             ;   in Loop: Header=BB382_1574 Depth=1
	s_or_b32 exec_lo, exec_lo, s21
	v_mov_b32_e32 v10, 24
	v_lshlrev_b32_e32 v18, 20, v18
	v_lshl_add_u32 v19, v19, 23, 0x3c000000
	v_lshlrev_b32_sdwa v10, v10, v15 dst_sel:DWORD dst_unused:UNUSED_PAD src0_sel:DWORD src1_sel:WORD_1
	v_and_b32_e32 v10, 0x80000000, v10
	v_or3_b32 v51, v18, v10, v19
.LBB382_3147:                           ;   in Loop: Header=BB382_1574 Depth=1
	s_or_b32 exec_lo, exec_lo, s20
.LBB382_3148:                           ;   in Loop: Header=BB382_1574 Depth=1
	s_or_b32 exec_lo, exec_lo, s18
.LBB382_3149:                           ;   in Loop: Header=BB382_1574 Depth=1
	s_or_b32 exec_lo, exec_lo, s17
	s_mov_b32 s17, exec_lo
	v_cmpx_lt_u64_e64 s[12:13], v[14:15]
	s_cbranch_execz .LBB382_3157
; %bb.3150:                             ;   in Loop: Header=BB382_1574 Depth=1
	v_cmp_ne_u32_sdwa s4, v15, v98 src0_sel:BYTE_3 src1_sel:DWORD
	v_bfrev_b32_e32 v49, 1
	s_and_saveexec_b32 s18, s4
	s_cbranch_execz .LBB382_3156
; %bb.3151:                             ;   in Loop: Header=BB382_1574 Depth=1
	v_bfe_u32 v114, v15, 24, 7
	v_mov_b32_e32 v49, 0x7f800001
	s_mov_b32 s20, exec_lo
	v_cmpx_ne_u32_e32 0x7f, v114
	s_cbranch_execz .LBB382_3155
; %bb.3152:                             ;   in Loop: Header=BB382_1574 Depth=1
	v_mov_b32_e32 v10, 7
	v_lshrrev_b32_e32 v14, 3, v114
	s_mov_b32 s21, exec_lo
	v_and_b32_sdwa v10, v15, v10 dst_sel:DWORD dst_unused:UNUSED_PAD src0_sel:BYTE_3 src1_sel:DWORD
	v_mov_b32_e32 v19, v11
	v_mov_b32_e32 v18, v10
	v_cmpx_gt_u32_e32 8, v114
; %bb.3153:                             ;   in Loop: Header=BB382_1574 Depth=1
	v_ffbh_u32_e32 v14, v10
	v_min_u32_e32 v14, 32, v14
	v_subrev_nc_u32_e32 v18, 28, v14
	v_sub_nc_u32_e32 v14, 29, v14
	v_lshlrev_b64 v[18:19], v18, v[10:11]
	v_and_b32_e32 v18, 7, v18
; %bb.3154:                             ;   in Loop: Header=BB382_1574 Depth=1
	s_or_b32 exec_lo, exec_lo, s21
	v_mov_b32_e32 v10, 24
	v_lshl_add_u32 v14, v14, 23, 0x3c000000
	v_lshlrev_b32_sdwa v10, v10, v15 dst_sel:DWORD dst_unused:UNUSED_PAD src0_sel:DWORD src1_sel:BYTE_3
	v_lshlrev_b32_e32 v15, 20, v18
	v_and_b32_e32 v10, 0x80000000, v10
	v_or3_b32 v49, v15, v10, v14
.LBB382_3155:                           ;   in Loop: Header=BB382_1574 Depth=1
	s_or_b32 exec_lo, exec_lo, s20
.LBB382_3156:                           ;   in Loop: Header=BB382_1574 Depth=1
	s_or_b32 exec_lo, exec_lo, s18
.LBB382_3157:                           ;   in Loop: Header=BB382_1574 Depth=1
	s_or_b32 exec_lo, exec_lo, s17
	v_mul_f32_e32 v10, v106, v113
	v_mul_f32_e32 v17, v106, v17
	;; [unrolled: 1-line block ×3, first 2 shown]
	v_bfe_u32 v14, v10, 16, 1
	v_or_b32_e32 v15, 0x400000, v10
	v_cmp_u_f32_e64 s4, v10, v10
	v_add3_u32 v14, v14, v10, 0x7fff
	v_cndmask_b32_e64 v10, v14, v15, s4
	v_mul_f32_e32 v14, v106, v52
	v_lshrrev_b32_e32 v10, 16, v10
	v_bfe_u32 v15, v14, 16, 1
	v_or_b32_e32 v18, 0x400000, v14
	v_cmp_u_f32_e64 s4, v14, v14
	v_add3_u32 v15, v15, v14, 0x7fff
	v_cndmask_b32_e64 v14, v15, v18, s4
	v_mul_f32_e32 v15, v106, v21
	v_lshrrev_b32_e32 v14, 16, v14
	;; [unrolled: 7-line block ×3, first 2 shown]
	v_bfe_u32 v19, v18, 16, 1
	v_or_b32_e32 v20, 0x400000, v18
	v_cmp_u_f32_e64 s4, v18, v18
	v_add3_u32 v19, v19, v18, 0x7fff
	v_cndmask_b32_e64 v18, v19, v20, s4
	v_or_b32_e32 v20, 0x400000, v17
	v_cmp_u_f32_e64 s4, v17, v17
	v_lshrrev_b32_e32 v19, 16, v18
	v_bfe_u32 v18, v17, 16, 1
	v_add3_u32 v18, v18, v17, 0x7fff
	v_cndmask_b32_e64 v17, v18, v20, s4
	v_or_b32_e32 v18, 0x400000, v12
	v_cmp_u_f32_e64 s4, v12, v12
	v_lshrrev_b32_e32 v21, 16, v17
	v_bfe_u32 v17, v12, 16, 1
	v_add3_u32 v17, v17, v12, 0x7fff
	v_cndmask_b32_e64 v12, v17, v18, s4
	v_mul_f32_e32 v17, v106, v51
	v_lshrrev_b32_e32 v12, 16, v12
	v_bfe_u32 v18, v17, 16, 1
	v_or_b32_e32 v20, 0x400000, v17
	v_cmp_u_f32_e64 s4, v17, v17
	v_add3_u32 v18, v18, v17, 0x7fff
	v_cndmask_b32_e64 v17, v18, v20, s4
	v_lshrrev_b32_e32 v18, 16, v17
	v_mul_f32_e32 v17, v106, v49
	v_bfe_u32 v20, v17, 16, 1
	v_or_b32_e32 v49, 0x400000, v17
	v_cmp_u_f32_e64 s4, v17, v17
	v_add3_u32 v20, v20, v17, 0x7fff
	v_cndmask_b32_e64 v17, v20, v49, s4
	v_lshrrev_b32_e32 v20, 16, v17
	s_and_saveexec_b32 s4, vcc_lo
	s_cbranch_execz .LBB382_1572
; %bb.3158:                             ;   in Loop: Header=BB382_1574 Depth=1
	v_cmp_lt_i32_e32 vcc_lo, v105, v92
	v_cndmask_b32_e32 v12, 0, v12, vcc_lo
	v_cmp_lt_i32_e32 vcc_lo, v126, v92
	v_cndmask_b32_e32 v21, 0, v21, vcc_lo
	;; [unrolled: 2-line block ×8, first 2 shown]
	s_branch .LBB382_1572
.LBB382_3159:
	s_or_b32 exec_lo, exec_lo, s15
	s_clause 0x18
	buffer_load_dword v54, off, s[0:3], s32 offset:732
	buffer_load_dword v33, off, s[0:3], s32 offset:736
	;; [unrolled: 1-line block ×25, first 2 shown]
.LBB382_3160:
	s_or_b32 exec_lo, exec_lo, s7
	s_waitcnt vmcnt(0)
	ds_bpermute_b32 v0, v33, v19
	ds_bpermute_b32 v1, v33, v17
	;; [unrolled: 1-line block ×14, first 2 shown]
	s_waitcnt lgkmcnt(0)
	s_waitcnt_vscnt null, 0x0
	s_barrier
	buffer_gl0_inv
	ds_bpermute_b32 v27, v33, v50
	ds_bpermute_b32 v28, v33, v37
	;; [unrolled: 1-line block ×3, first 2 shown]
	v_add_f32_e32 v0, v19, v0
	v_add_f32_e32 v1, v17, v1
	;; [unrolled: 1-line block ×8, first 2 shown]
	ds_bpermute_b32 v10, v54, v0
	ds_bpermute_b32 v11, v54, v1
	;; [unrolled: 1-line block ×7, first 2 shown]
	v_add_f32_e32 v8, v18, v8
	v_add_f32_e32 v9, v16, v9
	ds_bpermute_b32 v19, v54, v7
	ds_bpermute_b32 v30, v33, v35
	;; [unrolled: 1-line block ×3, first 2 shown]
	s_waitcnt lgkmcnt(12)
	v_add_f32_e32 v27, v50, v27
	s_waitcnt lgkmcnt(11)
	v_add_f32_e32 v28, v37, v28
	;; [unrolled: 2-line block ×3, first 2 shown]
	ds_bpermute_b32 v32, v54, v8
	s_load_dword s4, s[8:9], 0x0
	s_mov_b32 s7, exec_lo
	s_waitcnt lgkmcnt(0)
	v_add_f32_e32 v23, v0, v10
	v_add_f32_e32 v22, v1, v11
	;; [unrolled: 1-line block ×10, first 2 shown]
	ds_bpermute_b32 v15, v54, v0
	ds_bpermute_b32 v24, v54, v1
	;; [unrolled: 1-line block ×7, first 2 shown]
	v_add_f32_e32 v12, v6, v17
	v_add_f32_e32 v10, v7, v19
	ds_bpermute_b32 v5, v33, v38
	ds_bpermute_b32 v6, v33, v39
	;; [unrolled: 1-line block ×3, first 2 shown]
	v_add_f32_e32 v30, v35, v30
	v_add_f32_e32 v31, v34, v31
	ds_bpermute_b32 v33, v54, v27
	ds_bpermute_b32 v34, v54, v28
	;; [unrolled: 1-line block ×5, first 2 shown]
	v_add_f32_e32 v21, v8, v32
	s_waitcnt lgkmcnt(14)
	v_add_f32_e32 v17, v0, v15
	s_waitcnt lgkmcnt(13)
	v_add_f32_e32 v15, v1, v24
	buffer_load_dword v24, off, s[0:3], s32 offset:856 ; 4-byte Folded Reload
	s_waitcnt lgkmcnt(12)
	v_add_f32_e32 v4, v49, v4
	s_waitcnt lgkmcnt(11)
	v_add_f32_e32 v49, v116, v11
	;; [unrolled: 2-line block ×5, first 2 shown]
	s_clause 0x1
	buffer_load_dword v2, off, s[0:3], s32 offset:860
	buffer_load_dword v26, off, s[0:3], s32 offset:1672
	s_waitcnt lgkmcnt(7)
	v_add_f32_e32 v38, v38, v5
	s_waitcnt lgkmcnt(6)
	v_add_f32_e32 v39, v39, v6
	;; [unrolled: 2-line block ×3, first 2 shown]
	ds_bpermute_b32 v50, v54, v4
	s_waitcnt lgkmcnt(5)
	v_add_f32_e32 v9, v27, v33
	ds_bpermute_b32 v51, v54, v38
	ds_bpermute_b32 v52, v54, v39
	;; [unrolled: 1-line block ×4, first 2 shown]
	s_waitcnt lgkmcnt(8)
	v_add_f32_e32 v8, v28, v34
	s_waitcnt lgkmcnt(7)
	v_add_f32_e32 v7, v29, v35
	;; [unrolled: 2-line block ×8, first 2 shown]
	s_waitcnt vmcnt(2)
	v_and_b32_e32 v25, 28, v24
	v_lshrrev_b32_e32 v24, 2, v24
	v_add_nc_u32_e32 v25, s4, v25
	s_waitcnt vmcnt(1)
	v_and_b32_e32 v27, 0x3c3, v2
	s_waitcnt lgkmcnt(0)
	v_add_f32_e32 v2, v49, v54
	s_waitcnt vmcnt(0)
	v_mul_u32_u24_e32 v26, 0x300, v26
	v_cmpx_eq_u32_e32 64, v27
	s_cbranch_execz .LBB382_3162
; %bb.3161:
	v_add_nc_u32_e32 v27, v25, v26
	v_add_nc_u32_e32 v28, 0xfffffa00, v27
	;; [unrolled: 1-line block ×7, first 2 shown]
	ds_write_b32 v28, v23
	ds_write_b32 v29, v22
	;; [unrolled: 1-line block ×4, first 2 shown]
	v_add_nc_u32_e32 v28, 0xfffffac0, v27
	v_add_nc_u32_e32 v29, 0xfffffae0, v27
	v_add_nc_u32_e32 v30, 0xfffffb00, v27
	ds_write_b32 v32, v16
	ds_write_b32 v33, v14
	ds_write_b32 v28, v12
	ds_write_b32 v29, v10
	ds_write_b32 v30, v21
	v_add_nc_u32_e32 v28, 0xfffffb20, v27
	v_add_nc_u32_e32 v29, 0xfffffb40, v27
	v_add_nc_u32_e32 v30, 0xfffffb60, v27
	v_add_nc_u32_e32 v31, 0xfffffb80, v27
	v_add_nc_u32_e32 v32, 0xfffffba0, v27
	ds_write_b32 v28, v19
	ds_write_b32 v29, v17
	ds_write_b32 v30, v15
	ds_write_b32 v31, v13
	ds_write_b32 v32, v11
	v_add_nc_u32_e32 v28, 0xfffffbc0, v27
	v_add_nc_u32_e32 v29, 0xfffffbe0, v27
	;; [unrolled: 10-line block ×3, first 2 shown]
	v_add_nc_u32_e32 v30, 0xfffffca0, v27
	v_add_nc_u32_e32 v31, 0xfffffcc0, v27
	;; [unrolled: 1-line block ×3, first 2 shown]
	ds_write_b32 v28, v4
	ds_write_b32 v29, v3
	;; [unrolled: 1-line block ×5, first 2 shown]
.LBB382_3162:
	s_or_b32 exec_lo, exec_lo, s7
	buffer_load_dword v28, off, s[0:3], s32 offset:860 ; 4-byte Folded Reload
	v_lshlrev_b32_e32 v24, 2, v24
	s_mov_b32 s7, exec_lo
	s_waitcnt vmcnt(0) lgkmcnt(0)
	s_barrier
	buffer_gl0_inv
	v_add3_u32 v24, s4, v26, v24
	v_and_b32_e32 v27, 3, v28
	v_cmp_eq_u32_e32 vcc_lo, 0, v27
	v_cmpx_gt_u32_e32 64, v28
	s_cbranch_execz .LBB382_3189
; %bb.3163:
	s_and_saveexec_b32 s4, vcc_lo
	s_cbranch_execnz .LBB382_3221
; %bb.3164:
	s_or_b32 exec_lo, exec_lo, s4
	s_and_saveexec_b32 s4, vcc_lo
	s_cbranch_execnz .LBB382_3222
.LBB382_3165:
	s_or_b32 exec_lo, exec_lo, s4
	s_and_saveexec_b32 s4, vcc_lo
	s_cbranch_execnz .LBB382_3223
.LBB382_3166:
	s_or_b32 exec_lo, exec_lo, s4
	s_and_saveexec_b32 s4, vcc_lo
	s_cbranch_execnz .LBB382_3224
.LBB382_3167:
	s_or_b32 exec_lo, exec_lo, s4
	s_and_saveexec_b32 s4, vcc_lo
	s_cbranch_execnz .LBB382_3225
.LBB382_3168:
	s_or_b32 exec_lo, exec_lo, s4
	s_and_saveexec_b32 s4, vcc_lo
	s_cbranch_execnz .LBB382_3226
.LBB382_3169:
	s_or_b32 exec_lo, exec_lo, s4
	s_and_saveexec_b32 s4, vcc_lo
	s_cbranch_execnz .LBB382_3227
.LBB382_3170:
	s_or_b32 exec_lo, exec_lo, s4
	s_and_saveexec_b32 s4, vcc_lo
	s_cbranch_execnz .LBB382_3228
.LBB382_3171:
	s_or_b32 exec_lo, exec_lo, s4
	s_and_saveexec_b32 s4, vcc_lo
	s_cbranch_execnz .LBB382_3229
.LBB382_3172:
	s_or_b32 exec_lo, exec_lo, s4
	s_and_saveexec_b32 s4, vcc_lo
	s_cbranch_execnz .LBB382_3230
.LBB382_3173:
	s_or_b32 exec_lo, exec_lo, s4
	s_and_saveexec_b32 s4, vcc_lo
	s_cbranch_execnz .LBB382_3231
.LBB382_3174:
	s_or_b32 exec_lo, exec_lo, s4
	s_and_saveexec_b32 s4, vcc_lo
	s_cbranch_execnz .LBB382_3232
.LBB382_3175:
	s_or_b32 exec_lo, exec_lo, s4
	s_and_saveexec_b32 s4, vcc_lo
	s_cbranch_execnz .LBB382_3233
.LBB382_3176:
	s_or_b32 exec_lo, exec_lo, s4
	s_and_saveexec_b32 s4, vcc_lo
	s_cbranch_execnz .LBB382_3234
.LBB382_3177:
	s_or_b32 exec_lo, exec_lo, s4
	s_and_saveexec_b32 s4, vcc_lo
	s_cbranch_execnz .LBB382_3235
.LBB382_3178:
	s_or_b32 exec_lo, exec_lo, s4
	s_and_saveexec_b32 s4, vcc_lo
	s_cbranch_execnz .LBB382_3236
.LBB382_3179:
	s_or_b32 exec_lo, exec_lo, s4
	s_and_saveexec_b32 s4, vcc_lo
	s_cbranch_execnz .LBB382_3237
.LBB382_3180:
	s_or_b32 exec_lo, exec_lo, s4
	s_and_saveexec_b32 s4, vcc_lo
	s_cbranch_execnz .LBB382_3238
.LBB382_3181:
	s_or_b32 exec_lo, exec_lo, s4
	s_and_saveexec_b32 s4, vcc_lo
	s_cbranch_execnz .LBB382_3239
.LBB382_3182:
	s_or_b32 exec_lo, exec_lo, s4
	s_and_saveexec_b32 s4, vcc_lo
	s_cbranch_execnz .LBB382_3240
.LBB382_3183:
	s_or_b32 exec_lo, exec_lo, s4
	s_and_saveexec_b32 s4, vcc_lo
	s_cbranch_execnz .LBB382_3241
.LBB382_3184:
	s_or_b32 exec_lo, exec_lo, s4
	s_and_saveexec_b32 s4, vcc_lo
	s_cbranch_execnz .LBB382_3242
.LBB382_3185:
	s_or_b32 exec_lo, exec_lo, s4
	s_and_saveexec_b32 s4, vcc_lo
	s_cbranch_execnz .LBB382_3243
.LBB382_3186:
	s_or_b32 exec_lo, exec_lo, s4
	s_and_saveexec_b32 s4, vcc_lo
	s_cbranch_execz .LBB382_3188
.LBB382_3187:
	ds_read_b32 v26, v24 offset:736
	s_waitcnt lgkmcnt(0)
	v_add_f32_e32 v2, v26, v2
.LBB382_3188:
	s_or_b32 exec_lo, exec_lo, s4
.LBB382_3189:
	s_or_b32 exec_lo, exec_lo, s7
	buffer_load_dword v26, off, s[0:3], s32 offset:860 ; 4-byte Folded Reload
	s_mov_b32 s7, exec_lo
	s_waitcnt vmcnt(0)
	s_barrier
	buffer_gl0_inv
	v_and_b32_e32 v26, 0x3e3, v26
	v_cmpx_eq_u32_e32 32, v26
	s_cbranch_execz .LBB382_3191
; %bb.3190:
	ds_write2_b32 v25, v23, v22 offset1:8
	ds_write2_b32 v25, v20, v18 offset0:16 offset1:24
	ds_write2_b32 v25, v16, v14 offset0:32 offset1:40
	;; [unrolled: 1-line block ×11, first 2 shown]
.LBB382_3191:
	s_or_b32 exec_lo, exec_lo, s7
	buffer_load_dword v25, off, s[0:3], s32 offset:860 ; 4-byte Folded Reload
	s_mov_b32 s7, exec_lo
	s_waitcnt vmcnt(0) lgkmcnt(0)
	s_barrier
	buffer_gl0_inv
	v_cmpx_gt_u32_e32 32, v25
	s_cbranch_execz .LBB382_3218
; %bb.3192:
	s_and_saveexec_b32 s4, vcc_lo
	s_cbranch_execnz .LBB382_3244
; %bb.3193:
	s_or_b32 exec_lo, exec_lo, s4
	s_and_saveexec_b32 s4, vcc_lo
	s_cbranch_execnz .LBB382_3245
.LBB382_3194:
	s_or_b32 exec_lo, exec_lo, s4
	s_and_saveexec_b32 s4, vcc_lo
	s_cbranch_execnz .LBB382_3246
.LBB382_3195:
	s_or_b32 exec_lo, exec_lo, s4
	s_and_saveexec_b32 s4, vcc_lo
	s_cbranch_execnz .LBB382_3247
.LBB382_3196:
	s_or_b32 exec_lo, exec_lo, s4
	s_and_saveexec_b32 s4, vcc_lo
	s_cbranch_execnz .LBB382_3248
.LBB382_3197:
	s_or_b32 exec_lo, exec_lo, s4
	s_and_saveexec_b32 s4, vcc_lo
	s_cbranch_execnz .LBB382_3249
.LBB382_3198:
	s_or_b32 exec_lo, exec_lo, s4
	s_and_saveexec_b32 s4, vcc_lo
	s_cbranch_execnz .LBB382_3250
.LBB382_3199:
	s_or_b32 exec_lo, exec_lo, s4
	s_and_saveexec_b32 s4, vcc_lo
	s_cbranch_execnz .LBB382_3251
.LBB382_3200:
	s_or_b32 exec_lo, exec_lo, s4
	s_and_saveexec_b32 s4, vcc_lo
	s_cbranch_execnz .LBB382_3252
.LBB382_3201:
	s_or_b32 exec_lo, exec_lo, s4
	s_and_saveexec_b32 s4, vcc_lo
	s_cbranch_execnz .LBB382_3253
.LBB382_3202:
	s_or_b32 exec_lo, exec_lo, s4
	s_and_saveexec_b32 s4, vcc_lo
	s_cbranch_execnz .LBB382_3254
.LBB382_3203:
	s_or_b32 exec_lo, exec_lo, s4
	s_and_saveexec_b32 s4, vcc_lo
	s_cbranch_execnz .LBB382_3255
.LBB382_3204:
	s_or_b32 exec_lo, exec_lo, s4
	s_and_saveexec_b32 s4, vcc_lo
	s_cbranch_execnz .LBB382_3256
.LBB382_3205:
	s_or_b32 exec_lo, exec_lo, s4
	s_and_saveexec_b32 s4, vcc_lo
	s_cbranch_execnz .LBB382_3257
.LBB382_3206:
	s_or_b32 exec_lo, exec_lo, s4
	s_and_saveexec_b32 s4, vcc_lo
	s_cbranch_execnz .LBB382_3258
.LBB382_3207:
	s_or_b32 exec_lo, exec_lo, s4
	s_and_saveexec_b32 s4, vcc_lo
	s_cbranch_execnz .LBB382_3259
.LBB382_3208:
	s_or_b32 exec_lo, exec_lo, s4
	s_and_saveexec_b32 s4, vcc_lo
	s_cbranch_execnz .LBB382_3260
.LBB382_3209:
	s_or_b32 exec_lo, exec_lo, s4
	s_and_saveexec_b32 s4, vcc_lo
	s_cbranch_execnz .LBB382_3261
.LBB382_3210:
	s_or_b32 exec_lo, exec_lo, s4
	s_and_saveexec_b32 s4, vcc_lo
	s_cbranch_execnz .LBB382_3262
.LBB382_3211:
	s_or_b32 exec_lo, exec_lo, s4
	s_and_saveexec_b32 s4, vcc_lo
	s_cbranch_execnz .LBB382_3263
.LBB382_3212:
	s_or_b32 exec_lo, exec_lo, s4
	s_and_saveexec_b32 s4, vcc_lo
	s_cbranch_execnz .LBB382_3264
.LBB382_3213:
	s_or_b32 exec_lo, exec_lo, s4
	s_and_saveexec_b32 s4, vcc_lo
	s_cbranch_execnz .LBB382_3265
.LBB382_3214:
	s_or_b32 exec_lo, exec_lo, s4
	s_and_saveexec_b32 s4, vcc_lo
	s_cbranch_execnz .LBB382_3266
.LBB382_3215:
	s_or_b32 exec_lo, exec_lo, s4
	s_and_saveexec_b32 s4, vcc_lo
	s_cbranch_execz .LBB382_3217
.LBB382_3216:
	ds_read_b32 v24, v24 offset:736
	s_waitcnt lgkmcnt(0)
	v_add_f32_e32 v2, v24, v2
.LBB382_3217:
	s_or_b32 exec_lo, exec_lo, s4
.LBB382_3218:
	s_or_b32 exec_lo, exec_lo, s7
	v_cmp_eq_u32_e32 vcc_lo, 0, v26
	s_barrier
	buffer_gl0_inv
	s_and_b32 exec_lo, exec_lo, vcc_lo
	s_cbranch_execz .LBB382_3220
; %bb.3219:
	s_clause 0x2
	buffer_load_dword v24, off, s[0:3], s32 offset:1688
	buffer_load_dword v25, off, s[0:3], s32 offset:1684
	buffer_load_dword v26, off, s[0:3], s32 offset:860
	s_mulk_i32 s6, 0xc0
	s_mul_i32 s4, s10, s5
	s_ashr_i32 s7, s6, 31
	s_ashr_i32 s5, s4, 31
	s_lshl_b64 s[6:7], s[6:7], 1
	s_lshl_b64 s[4:5], s[4:5], 1
	v_bfe_u32 v27, v23, 16, 1
	v_or_b32_e32 v28, 0x400000, v23
	v_add3_u32 v27, v27, v23, 0x7fff
	s_waitcnt vmcnt(2)
	v_add_co_u32 v24, vcc_lo, v24, s6
	s_waitcnt vmcnt(1)
	v_add_co_ci_u32_e64 v25, null, s7, v25, vcc_lo
	s_mul_i32 s6, s14, 0xc0
	v_add_co_u32 v24, vcc_lo, v24, s4
	s_ashr_i32 s7, s6, 31
	v_add_co_ci_u32_e64 v25, null, s5, v25, vcc_lo
	s_lshl_b64 s[4:5], s[6:7], 1
	s_waitcnt vmcnt(0)
	v_lshrrev_b32_e32 v26, 1, v26
	v_add_co_u32 v24, vcc_lo, v24, s4
	v_add_co_ci_u32_e64 v25, null, s5, v25, vcc_lo
	v_add_co_u32 v24, vcc_lo, v24, v26
	v_add_co_ci_u32_e64 v25, null, 0, v25, vcc_lo
	v_bfe_u32 v26, v22, 16, 1
	v_cmp_u_f32_e32 vcc_lo, v23, v23
	v_add3_u32 v26, v26, v22, 0x7fff
	v_cndmask_b32_e32 v23, v27, v28, vcc_lo
	v_bfe_u32 v27, v20, 16, 1
	v_or_b32_e32 v28, 0x400000, v22
	v_cmp_u_f32_e32 vcc_lo, v22, v22
	flat_store_short_d16_hi v[24:25], v23
	v_add3_u32 v23, v27, v20, 0x7fff
	v_or_b32_e32 v27, 0x400000, v20
	v_cndmask_b32_e32 v22, v26, v28, vcc_lo
	v_bfe_u32 v26, v18, 16, 1
	v_cmp_u_f32_e32 vcc_lo, v20, v20
	flat_store_short_d16_hi v[24:25], v22 offset:16
	v_add3_u32 v22, v26, v18, 0x7fff
	v_cndmask_b32_e32 v20, v23, v27, vcc_lo
	v_bfe_u32 v23, v16, 16, 1
	v_or_b32_e32 v26, 0x400000, v18
	v_cmp_u_f32_e32 vcc_lo, v18, v18
	flat_store_short_d16_hi v[24:25], v20 offset:32
	v_add3_u32 v20, v23, v16, 0x7fff
	v_or_b32_e32 v23, 0x400000, v16
	v_cndmask_b32_e32 v18, v22, v26, vcc_lo
	v_bfe_u32 v22, v14, 16, 1
	v_cmp_u_f32_e32 vcc_lo, v16, v16
	flat_store_short_d16_hi v[24:25], v18 offset:48
	v_add3_u32 v18, v22, v14, 0x7fff
	v_cndmask_b32_e32 v16, v20, v23, vcc_lo
	v_bfe_u32 v20, v12, 16, 1
	v_or_b32_e32 v22, 0x400000, v14
	v_cmp_u_f32_e32 vcc_lo, v14, v14
	flat_store_short_d16_hi v[24:25], v16 offset:64
	;; [unrolled: 12-line block ×5, first 2 shown]
	v_add3_u32 v12, v16, v13, 0x7fff
	v_or_b32_e32 v16, 0x400000, v13
	v_cndmask_b32_e32 v10, v10, v14, vcc_lo
	v_bfe_u32 v14, v11, 16, 1
	v_cmp_u_f32_e32 vcc_lo, v13, v13
	v_bfe_u32 v13, v9, 16, 1
	flat_store_short_d16_hi v[24:25], v10 offset:176
	v_add3_u32 v10, v14, v11, 0x7fff
	v_cndmask_b32_e32 v12, v12, v16, vcc_lo
	v_or_b32_e32 v14, 0x400000, v11
	v_cmp_u_f32_e32 vcc_lo, v11, v11
	v_bfe_u32 v11, v8, 16, 1
	flat_store_short_d16_hi v[24:25], v12 offset:192
	v_add3_u32 v12, v13, v9, 0x7fff
	v_or_b32_e32 v13, 0x400000, v9
	v_cndmask_b32_e32 v10, v10, v14, vcc_lo
	v_cmp_u_f32_e32 vcc_lo, v9, v9
	flat_store_short_d16_hi v[24:25], v10 offset:208
	v_cndmask_b32_e32 v9, v12, v13, vcc_lo
	v_bfe_u32 v12, v7, 16, 1
	v_add3_u32 v10, v11, v8, 0x7fff
	v_or_b32_e32 v11, 0x400000, v8
	v_cmp_u_f32_e32 vcc_lo, v8, v8
	flat_store_short_d16_hi v[24:25], v9 offset:224
	v_add3_u32 v9, v12, v7, 0x7fff
	v_or_b32_e32 v12, 0x400000, v7
	v_cndmask_b32_e32 v8, v10, v11, vcc_lo
	v_bfe_u32 v10, v6, 16, 1
	v_cmp_u_f32_e32 vcc_lo, v7, v7
	flat_store_short_d16_hi v[24:25], v8 offset:240
	v_add3_u32 v8, v10, v6, 0x7fff
	v_cndmask_b32_e32 v7, v9, v12, vcc_lo
	v_bfe_u32 v9, v5, 16, 1
	v_or_b32_e32 v10, 0x400000, v6
	v_cmp_u_f32_e32 vcc_lo, v6, v6
	flat_store_short_d16_hi v[24:25], v7 offset:256
	v_add3_u32 v7, v9, v5, 0x7fff
	v_or_b32_e32 v9, 0x400000, v5
	v_cndmask_b32_e32 v6, v8, v10, vcc_lo
	v_bfe_u32 v8, v4, 16, 1
	v_cmp_u_f32_e32 vcc_lo, v5, v5
	v_or_b32_e32 v10, 0x400000, v2
	flat_store_short_d16_hi v[24:25], v6 offset:272
	v_add3_u32 v6, v8, v4, 0x7fff
	v_cndmask_b32_e32 v5, v7, v9, vcc_lo
	v_bfe_u32 v7, v3, 16, 1
	v_or_b32_e32 v8, 0x400000, v4
	v_cmp_u_f32_e32 vcc_lo, v4, v4
	v_or_b32_e32 v9, 0x400000, v1
	flat_store_short_d16_hi v[24:25], v5 offset:288
	v_add3_u32 v5, v7, v3, 0x7fff
	v_or_b32_e32 v7, 0x400000, v3
	v_cndmask_b32_e32 v4, v6, v8, vcc_lo
	v_bfe_u32 v6, v0, 16, 1
	v_cmp_u_f32_e32 vcc_lo, v3, v3
	v_bfe_u32 v8, v1, 16, 1
	v_add3_u32 v6, v6, v0, 0x7fff
	v_cndmask_b32_e32 v3, v5, v7, vcc_lo
	v_or_b32_e32 v7, 0x400000, v0
	v_cmp_u_f32_e32 vcc_lo, v0, v0
	v_bfe_u32 v5, v2, 16, 1
	v_add3_u32 v8, v8, v1, 0x7fff
	v_cndmask_b32_e32 v0, v6, v7, vcc_lo
	v_cmp_u_f32_e32 vcc_lo, v1, v1
	v_add3_u32 v5, v5, v2, 0x7fff
	v_cndmask_b32_e32 v1, v8, v9, vcc_lo
	v_cmp_u_f32_e32 vcc_lo, v2, v2
	v_cndmask_b32_e32 v2, v5, v10, vcc_lo
	flat_store_short_d16_hi v[24:25], v4 offset:304
	flat_store_short_d16_hi v[24:25], v3 offset:320
	;; [unrolled: 1-line block ×5, first 2 shown]
.LBB382_3220:
	s_or_b32 exec_lo, exec_lo, s19
	s_clause 0x2f
	buffer_load_dword v127, off, s[0:3], s32 offset:8
	buffer_load_dword v126, off, s[0:3], s32 offset:12
	;; [unrolled: 1-line block ×48, first 2 shown]
	s_waitcnt vmcnt(0) lgkmcnt(0)
	s_setpc_b64 s[30:31]
.LBB382_3221:
	ds_read_b32 v26, v24
	s_waitcnt lgkmcnt(0)
	v_add_f32_e32 v23, v26, v23
	s_or_b32 exec_lo, exec_lo, s4
	s_and_saveexec_b32 s4, vcc_lo
	s_cbranch_execz .LBB382_3165
.LBB382_3222:
	ds_read_b32 v26, v24 offset:32
	s_waitcnt lgkmcnt(0)
	v_add_f32_e32 v22, v26, v22
	s_or_b32 exec_lo, exec_lo, s4
	s_and_saveexec_b32 s4, vcc_lo
	s_cbranch_execz .LBB382_3166
.LBB382_3223:
	ds_read_b32 v26, v24 offset:64
	s_waitcnt lgkmcnt(0)
	v_add_f32_e32 v20, v26, v20
	s_or_b32 exec_lo, exec_lo, s4
	s_and_saveexec_b32 s4, vcc_lo
	s_cbranch_execz .LBB382_3167
.LBB382_3224:
	ds_read_b32 v26, v24 offset:96
	s_waitcnt lgkmcnt(0)
	v_add_f32_e32 v18, v26, v18
	s_or_b32 exec_lo, exec_lo, s4
	s_and_saveexec_b32 s4, vcc_lo
	s_cbranch_execz .LBB382_3168
.LBB382_3225:
	ds_read_b32 v26, v24 offset:128
	s_waitcnt lgkmcnt(0)
	v_add_f32_e32 v16, v26, v16
	s_or_b32 exec_lo, exec_lo, s4
	s_and_saveexec_b32 s4, vcc_lo
	s_cbranch_execz .LBB382_3169
.LBB382_3226:
	ds_read_b32 v26, v24 offset:160
	s_waitcnt lgkmcnt(0)
	v_add_f32_e32 v14, v26, v14
	s_or_b32 exec_lo, exec_lo, s4
	s_and_saveexec_b32 s4, vcc_lo
	s_cbranch_execz .LBB382_3170
.LBB382_3227:
	ds_read_b32 v26, v24 offset:192
	s_waitcnt lgkmcnt(0)
	v_add_f32_e32 v12, v26, v12
	s_or_b32 exec_lo, exec_lo, s4
	s_and_saveexec_b32 s4, vcc_lo
	s_cbranch_execz .LBB382_3171
.LBB382_3228:
	ds_read_b32 v26, v24 offset:224
	s_waitcnt lgkmcnt(0)
	v_add_f32_e32 v10, v26, v10
	s_or_b32 exec_lo, exec_lo, s4
	s_and_saveexec_b32 s4, vcc_lo
	s_cbranch_execz .LBB382_3172
.LBB382_3229:
	ds_read_b32 v26, v24 offset:256
	s_waitcnt lgkmcnt(0)
	v_add_f32_e32 v21, v26, v21
	s_or_b32 exec_lo, exec_lo, s4
	s_and_saveexec_b32 s4, vcc_lo
	s_cbranch_execz .LBB382_3173
.LBB382_3230:
	ds_read_b32 v26, v24 offset:288
	s_waitcnt lgkmcnt(0)
	v_add_f32_e32 v19, v26, v19
	s_or_b32 exec_lo, exec_lo, s4
	s_and_saveexec_b32 s4, vcc_lo
	s_cbranch_execz .LBB382_3174
.LBB382_3231:
	ds_read_b32 v26, v24 offset:320
	s_waitcnt lgkmcnt(0)
	v_add_f32_e32 v17, v26, v17
	s_or_b32 exec_lo, exec_lo, s4
	s_and_saveexec_b32 s4, vcc_lo
	s_cbranch_execz .LBB382_3175
.LBB382_3232:
	ds_read_b32 v26, v24 offset:352
	s_waitcnt lgkmcnt(0)
	v_add_f32_e32 v15, v26, v15
	s_or_b32 exec_lo, exec_lo, s4
	s_and_saveexec_b32 s4, vcc_lo
	s_cbranch_execz .LBB382_3176
.LBB382_3233:
	ds_read_b32 v26, v24 offset:384
	s_waitcnt lgkmcnt(0)
	v_add_f32_e32 v13, v26, v13
	s_or_b32 exec_lo, exec_lo, s4
	s_and_saveexec_b32 s4, vcc_lo
	s_cbranch_execz .LBB382_3177
.LBB382_3234:
	ds_read_b32 v26, v24 offset:416
	s_waitcnt lgkmcnt(0)
	v_add_f32_e32 v11, v26, v11
	s_or_b32 exec_lo, exec_lo, s4
	s_and_saveexec_b32 s4, vcc_lo
	s_cbranch_execz .LBB382_3178
.LBB382_3235:
	ds_read_b32 v26, v24 offset:448
	s_waitcnt lgkmcnt(0)
	v_add_f32_e32 v9, v26, v9
	s_or_b32 exec_lo, exec_lo, s4
	s_and_saveexec_b32 s4, vcc_lo
	s_cbranch_execz .LBB382_3179
.LBB382_3236:
	ds_read_b32 v26, v24 offset:480
	s_waitcnt lgkmcnt(0)
	v_add_f32_e32 v8, v26, v8
	s_or_b32 exec_lo, exec_lo, s4
	s_and_saveexec_b32 s4, vcc_lo
	s_cbranch_execz .LBB382_3180
.LBB382_3237:
	ds_read_b32 v26, v24 offset:512
	s_waitcnt lgkmcnt(0)
	v_add_f32_e32 v7, v26, v7
	s_or_b32 exec_lo, exec_lo, s4
	s_and_saveexec_b32 s4, vcc_lo
	s_cbranch_execz .LBB382_3181
.LBB382_3238:
	ds_read_b32 v26, v24 offset:544
	s_waitcnt lgkmcnt(0)
	v_add_f32_e32 v6, v26, v6
	s_or_b32 exec_lo, exec_lo, s4
	s_and_saveexec_b32 s4, vcc_lo
	s_cbranch_execz .LBB382_3182
.LBB382_3239:
	ds_read_b32 v26, v24 offset:576
	s_waitcnt lgkmcnt(0)
	v_add_f32_e32 v5, v26, v5
	s_or_b32 exec_lo, exec_lo, s4
	s_and_saveexec_b32 s4, vcc_lo
	s_cbranch_execz .LBB382_3183
.LBB382_3240:
	ds_read_b32 v26, v24 offset:608
	s_waitcnt lgkmcnt(0)
	v_add_f32_e32 v4, v26, v4
	s_or_b32 exec_lo, exec_lo, s4
	s_and_saveexec_b32 s4, vcc_lo
	s_cbranch_execz .LBB382_3184
.LBB382_3241:
	ds_read_b32 v26, v24 offset:640
	s_waitcnt lgkmcnt(0)
	v_add_f32_e32 v3, v26, v3
	s_or_b32 exec_lo, exec_lo, s4
	s_and_saveexec_b32 s4, vcc_lo
	s_cbranch_execz .LBB382_3185
.LBB382_3242:
	ds_read_b32 v26, v24 offset:672
	s_waitcnt lgkmcnt(0)
	v_add_f32_e32 v0, v26, v0
	s_or_b32 exec_lo, exec_lo, s4
	s_and_saveexec_b32 s4, vcc_lo
	s_cbranch_execz .LBB382_3186
.LBB382_3243:
	ds_read_b32 v26, v24 offset:704
	s_waitcnt lgkmcnt(0)
	v_add_f32_e32 v1, v26, v1
	s_or_b32 exec_lo, exec_lo, s4
	s_and_saveexec_b32 s4, vcc_lo
	s_cbranch_execnz .LBB382_3187
	s_branch .LBB382_3188
.LBB382_3244:
	ds_read_b32 v25, v24
	s_waitcnt lgkmcnt(0)
	v_add_f32_e32 v23, v25, v23
	s_or_b32 exec_lo, exec_lo, s4
	s_and_saveexec_b32 s4, vcc_lo
	s_cbranch_execz .LBB382_3194
.LBB382_3245:
	ds_read_b32 v25, v24 offset:32
	s_waitcnt lgkmcnt(0)
	v_add_f32_e32 v22, v25, v22
	s_or_b32 exec_lo, exec_lo, s4
	s_and_saveexec_b32 s4, vcc_lo
	s_cbranch_execz .LBB382_3195
.LBB382_3246:
	ds_read_b32 v25, v24 offset:64
	s_waitcnt lgkmcnt(0)
	v_add_f32_e32 v20, v25, v20
	s_or_b32 exec_lo, exec_lo, s4
	s_and_saveexec_b32 s4, vcc_lo
	s_cbranch_execz .LBB382_3196
.LBB382_3247:
	ds_read_b32 v25, v24 offset:96
	s_waitcnt lgkmcnt(0)
	v_add_f32_e32 v18, v25, v18
	s_or_b32 exec_lo, exec_lo, s4
	s_and_saveexec_b32 s4, vcc_lo
	s_cbranch_execz .LBB382_3197
.LBB382_3248:
	ds_read_b32 v25, v24 offset:128
	s_waitcnt lgkmcnt(0)
	v_add_f32_e32 v16, v25, v16
	s_or_b32 exec_lo, exec_lo, s4
	s_and_saveexec_b32 s4, vcc_lo
	s_cbranch_execz .LBB382_3198
.LBB382_3249:
	ds_read_b32 v25, v24 offset:160
	s_waitcnt lgkmcnt(0)
	v_add_f32_e32 v14, v25, v14
	s_or_b32 exec_lo, exec_lo, s4
	s_and_saveexec_b32 s4, vcc_lo
	s_cbranch_execz .LBB382_3199
.LBB382_3250:
	ds_read_b32 v25, v24 offset:192
	s_waitcnt lgkmcnt(0)
	v_add_f32_e32 v12, v25, v12
	s_or_b32 exec_lo, exec_lo, s4
	s_and_saveexec_b32 s4, vcc_lo
	s_cbranch_execz .LBB382_3200
.LBB382_3251:
	ds_read_b32 v25, v24 offset:224
	s_waitcnt lgkmcnt(0)
	v_add_f32_e32 v10, v25, v10
	s_or_b32 exec_lo, exec_lo, s4
	s_and_saveexec_b32 s4, vcc_lo
	s_cbranch_execz .LBB382_3201
.LBB382_3252:
	ds_read_b32 v25, v24 offset:256
	s_waitcnt lgkmcnt(0)
	v_add_f32_e32 v21, v25, v21
	s_or_b32 exec_lo, exec_lo, s4
	s_and_saveexec_b32 s4, vcc_lo
	s_cbranch_execz .LBB382_3202
.LBB382_3253:
	ds_read_b32 v25, v24 offset:288
	s_waitcnt lgkmcnt(0)
	v_add_f32_e32 v19, v25, v19
	s_or_b32 exec_lo, exec_lo, s4
	s_and_saveexec_b32 s4, vcc_lo
	s_cbranch_execz .LBB382_3203
.LBB382_3254:
	ds_read_b32 v25, v24 offset:320
	s_waitcnt lgkmcnt(0)
	v_add_f32_e32 v17, v25, v17
	s_or_b32 exec_lo, exec_lo, s4
	s_and_saveexec_b32 s4, vcc_lo
	s_cbranch_execz .LBB382_3204
.LBB382_3255:
	ds_read_b32 v25, v24 offset:352
	s_waitcnt lgkmcnt(0)
	v_add_f32_e32 v15, v25, v15
	s_or_b32 exec_lo, exec_lo, s4
	s_and_saveexec_b32 s4, vcc_lo
	s_cbranch_execz .LBB382_3205
.LBB382_3256:
	ds_read_b32 v25, v24 offset:384
	s_waitcnt lgkmcnt(0)
	v_add_f32_e32 v13, v25, v13
	s_or_b32 exec_lo, exec_lo, s4
	s_and_saveexec_b32 s4, vcc_lo
	s_cbranch_execz .LBB382_3206
.LBB382_3257:
	ds_read_b32 v25, v24 offset:416
	s_waitcnt lgkmcnt(0)
	v_add_f32_e32 v11, v25, v11
	s_or_b32 exec_lo, exec_lo, s4
	s_and_saveexec_b32 s4, vcc_lo
	s_cbranch_execz .LBB382_3207
.LBB382_3258:
	ds_read_b32 v25, v24 offset:448
	s_waitcnt lgkmcnt(0)
	v_add_f32_e32 v9, v25, v9
	s_or_b32 exec_lo, exec_lo, s4
	s_and_saveexec_b32 s4, vcc_lo
	s_cbranch_execz .LBB382_3208
.LBB382_3259:
	ds_read_b32 v25, v24 offset:480
	s_waitcnt lgkmcnt(0)
	v_add_f32_e32 v8, v25, v8
	s_or_b32 exec_lo, exec_lo, s4
	s_and_saveexec_b32 s4, vcc_lo
	s_cbranch_execz .LBB382_3209
.LBB382_3260:
	ds_read_b32 v25, v24 offset:512
	s_waitcnt lgkmcnt(0)
	v_add_f32_e32 v7, v25, v7
	s_or_b32 exec_lo, exec_lo, s4
	s_and_saveexec_b32 s4, vcc_lo
	s_cbranch_execz .LBB382_3210
.LBB382_3261:
	ds_read_b32 v25, v24 offset:544
	s_waitcnt lgkmcnt(0)
	v_add_f32_e32 v6, v25, v6
	s_or_b32 exec_lo, exec_lo, s4
	s_and_saveexec_b32 s4, vcc_lo
	s_cbranch_execz .LBB382_3211
.LBB382_3262:
	ds_read_b32 v25, v24 offset:576
	s_waitcnt lgkmcnt(0)
	v_add_f32_e32 v5, v25, v5
	s_or_b32 exec_lo, exec_lo, s4
	s_and_saveexec_b32 s4, vcc_lo
	s_cbranch_execz .LBB382_3212
.LBB382_3263:
	ds_read_b32 v25, v24 offset:608
	s_waitcnt lgkmcnt(0)
	v_add_f32_e32 v4, v25, v4
	s_or_b32 exec_lo, exec_lo, s4
	s_and_saveexec_b32 s4, vcc_lo
	s_cbranch_execz .LBB382_3213
.LBB382_3264:
	ds_read_b32 v25, v24 offset:640
	s_waitcnt lgkmcnt(0)
	v_add_f32_e32 v3, v25, v3
	s_or_b32 exec_lo, exec_lo, s4
	s_and_saveexec_b32 s4, vcc_lo
	s_cbranch_execz .LBB382_3214
.LBB382_3265:
	ds_read_b32 v25, v24 offset:672
	s_waitcnt lgkmcnt(0)
	v_add_f32_e32 v0, v25, v0
	s_or_b32 exec_lo, exec_lo, s4
	s_and_saveexec_b32 s4, vcc_lo
	s_cbranch_execz .LBB382_3215
.LBB382_3266:
	ds_read_b32 v25, v24 offset:704
	s_waitcnt lgkmcnt(0)
	v_add_f32_e32 v1, v25, v1
	s_or_b32 exec_lo, exec_lo, s4
	s_and_saveexec_b32 s4, vcc_lo
	s_cbranch_execnz .LBB382_3216
	s_branch .LBB382_3217
.Lfunc_end382:
	.size	_ZN4vllm22paged_attention_kernelI14__hip_bfloat16hLi192ELi32ELi128ELNS_18Fp8KVCacheDataTypeE1ELb1ELi512EEEvPfS3_PT_PKS4_PKT0_SA_ifPKiSC_iPKfiiiSE_SE_iiiii, .Lfunc_end382-_ZN4vllm22paged_attention_kernelI14__hip_bfloat16hLi192ELi32ELi128ELNS_18Fp8KVCacheDataTypeE1ELb1ELi512EEEvPfS3_PT_PKS4_PKT0_SA_ifPKiSC_iPKfiiiSE_SE_iiiii
                                        ; -- End function
	.set .L_ZN4vllm22paged_attention_kernelI14__hip_bfloat16hLi192ELi32ELi128ELNS_18Fp8KVCacheDataTypeE1ELb1ELi512EEEvPfS3_PT_PKS4_PKT0_SA_ifPKiSC_iPKfiiiSE_SE_iiiii.num_vgpr, 128
	.set .L_ZN4vllm22paged_attention_kernelI14__hip_bfloat16hLi192ELi32ELi128ELNS_18Fp8KVCacheDataTypeE1ELb1ELi512EEEvPfS3_PT_PKS4_PKT0_SA_ifPKiSC_iPKfiiiSE_SE_iiiii.num_agpr, 0
	.set .L_ZN4vllm22paged_attention_kernelI14__hip_bfloat16hLi192ELi32ELi128ELNS_18Fp8KVCacheDataTypeE1ELb1ELi512EEEvPfS3_PT_PKS4_PKT0_SA_ifPKiSC_iPKfiiiSE_SE_iiiii.numbered_sgpr, 33
	.set .L_ZN4vllm22paged_attention_kernelI14__hip_bfloat16hLi192ELi32ELi128ELNS_18Fp8KVCacheDataTypeE1ELb1ELi512EEEvPfS3_PT_PKS4_PKT0_SA_ifPKiSC_iPKfiiiSE_SE_iiiii.num_named_barrier, 0
	.set .L_ZN4vllm22paged_attention_kernelI14__hip_bfloat16hLi192ELi32ELi128ELNS_18Fp8KVCacheDataTypeE1ELb1ELi512EEEvPfS3_PT_PKS4_PKT0_SA_ifPKiSC_iPKfiiiSE_SE_iiiii.private_seg_size, 1756
	.set .L_ZN4vllm22paged_attention_kernelI14__hip_bfloat16hLi192ELi32ELi128ELNS_18Fp8KVCacheDataTypeE1ELb1ELi512EEEvPfS3_PT_PKS4_PKT0_SA_ifPKiSC_iPKfiiiSE_SE_iiiii.uses_vcc, 1
	.set .L_ZN4vllm22paged_attention_kernelI14__hip_bfloat16hLi192ELi32ELi128ELNS_18Fp8KVCacheDataTypeE1ELb1ELi512EEEvPfS3_PT_PKS4_PKT0_SA_ifPKiSC_iPKfiiiSE_SE_iiiii.uses_flat_scratch, 0
	.set .L_ZN4vllm22paged_attention_kernelI14__hip_bfloat16hLi192ELi32ELi128ELNS_18Fp8KVCacheDataTypeE1ELb1ELi512EEEvPfS3_PT_PKS4_PKT0_SA_ifPKiSC_iPKfiiiSE_SE_iiiii.has_dyn_sized_stack, 0
	.set .L_ZN4vllm22paged_attention_kernelI14__hip_bfloat16hLi192ELi32ELi128ELNS_18Fp8KVCacheDataTypeE1ELb1ELi512EEEvPfS3_PT_PKS4_PKT0_SA_ifPKiSC_iPKfiiiSE_SE_iiiii.has_recursion, 0
	.set .L_ZN4vllm22paged_attention_kernelI14__hip_bfloat16hLi192ELi32ELi128ELNS_18Fp8KVCacheDataTypeE1ELb1ELi512EEEvPfS3_PT_PKS4_PKT0_SA_ifPKiSC_iPKfiiiSE_SE_iiiii.has_indirect_call, 0
	.section	.AMDGPU.csdata,"",@progbits
; Function info:
; codeLenInByte = 135168
; TotalNumSgprs: 35
; NumVgprs: 128
; ScratchSize: 1756
; MemoryBound: 0
	.section	.text._ZN4vllm25paged_attention_v2_kernelI14__hip_bfloat16hLi192ELi32ELi128ELNS_18Fp8KVCacheDataTypeE1ELb1ELi512EEEvPfS3_PT_PKS4_PKT0_SA_ifPKiSC_iPKfiiiSE_SE_iiiii,"axG",@progbits,_ZN4vllm25paged_attention_v2_kernelI14__hip_bfloat16hLi192ELi32ELi128ELNS_18Fp8KVCacheDataTypeE1ELb1ELi512EEEvPfS3_PT_PKS4_PKT0_SA_ifPKiSC_iPKfiiiSE_SE_iiiii,comdat
	.protected	_ZN4vllm25paged_attention_v2_kernelI14__hip_bfloat16hLi192ELi32ELi128ELNS_18Fp8KVCacheDataTypeE1ELb1ELi512EEEvPfS3_PT_PKS4_PKT0_SA_ifPKiSC_iPKfiiiSE_SE_iiiii ; -- Begin function _ZN4vllm25paged_attention_v2_kernelI14__hip_bfloat16hLi192ELi32ELi128ELNS_18Fp8KVCacheDataTypeE1ELb1ELi512EEEvPfS3_PT_PKS4_PKT0_SA_ifPKiSC_iPKfiiiSE_SE_iiiii
	.globl	_ZN4vllm25paged_attention_v2_kernelI14__hip_bfloat16hLi192ELi32ELi128ELNS_18Fp8KVCacheDataTypeE1ELb1ELi512EEEvPfS3_PT_PKS4_PKT0_SA_ifPKiSC_iPKfiiiSE_SE_iiiii
	.p2align	8
	.type	_ZN4vllm25paged_attention_v2_kernelI14__hip_bfloat16hLi192ELi32ELi128ELNS_18Fp8KVCacheDataTypeE1ELb1ELi512EEEvPfS3_PT_PKS4_PKT0_SA_ifPKiSC_iPKfiiiSE_SE_iiiii,@function
_ZN4vllm25paged_attention_v2_kernelI14__hip_bfloat16hLi192ELi32ELi128ELNS_18Fp8KVCacheDataTypeE1ELb1ELi512EEEvPfS3_PT_PKS4_PKT0_SA_ifPKiSC_iPKfiiiSE_SE_iiiii: ; @_ZN4vllm25paged_attention_v2_kernelI14__hip_bfloat16hLi192ELi32ELi128ELNS_18Fp8KVCacheDataTypeE1ELb1ELi512EEEvPfS3_PT_PKS4_PKT0_SA_ifPKiSC_iPKfiiiSE_SE_iiiii
; %bb.0:
	s_mov_b32 s14, s8
	s_clause 0x7
	s_load_dwordx4 s[36:39], s[4:5], 0x78
	s_load_dword s8, s[4:5], 0x88
	s_load_dwordx8 s[40:47], s[4:5], 0x0
	s_load_dwordx8 s[24:31], s[4:5], 0x20
	s_load_dwordx2 s[10:11], s[4:5], 0x40
	s_load_dwordx2 s[34:35], s[4:5], 0x50
	s_load_dword s13, s[4:5], 0x48
	s_load_dwordx8 s[16:23], s[4:5], 0x58
	s_add_u32 s0, s0, s9
	s_mov_b32 s32, 0
	s_addc_u32 s1, s1, 0
	v_mov_b32_e32 v31, v0
	s_mov_b32 s12, s6
	s_mov_b32 s15, 9
	s_waitcnt lgkmcnt(0)
	v_mov_b32_e32 v1, s39
	v_mov_b32_e32 v2, s8
	;; [unrolled: 1-line block ×4, first 2 shown]
	buffer_store_dword v1, off, s[0:3], s32
	buffer_store_dword v2, off, s[0:3], s32 offset:4
	v_mov_b32_e32 v1, s41
	v_mov_b32_e32 v2, s42
	;; [unrolled: 1-line block ×29, first 2 shown]
	s_add_u32 s8, s4, 0x90
	s_addc_u32 s9, s5, 0
	s_getpc_b64 s[4:5]
	s_add_u32 s4, s4, _ZN4vllm22paged_attention_kernelI14__hip_bfloat16hLi192ELi32ELi128ELNS_18Fp8KVCacheDataTypeE1ELb1ELi512EEEvPfS3_PT_PKS4_PKT0_SA_ifPKiSC_iPKfiiiSE_SE_iiiii@rel32@lo+4
	s_addc_u32 s5, s5, _ZN4vllm22paged_attention_kernelI14__hip_bfloat16hLi192ELi32ELi128ELNS_18Fp8KVCacheDataTypeE1ELb1ELi512EEEvPfS3_PT_PKS4_PKT0_SA_ifPKiSC_iPKfiiiSE_SE_iiiii@rel32@hi+12
	s_mov_b32 s13, s7
	s_swappc_b64 s[30:31], s[4:5]
	s_endpgm
	.section	.rodata,"a",@progbits
	.p2align	6, 0x0
	.amdhsa_kernel _ZN4vllm25paged_attention_v2_kernelI14__hip_bfloat16hLi192ELi32ELi128ELNS_18Fp8KVCacheDataTypeE1ELb1ELi512EEEvPfS3_PT_PKS4_PKT0_SA_ifPKiSC_iPKfiiiSE_SE_iiiii
		.amdhsa_group_segment_fixed_size 416
		.amdhsa_private_segment_fixed_size 1756
		.amdhsa_kernarg_size 400
		.amdhsa_user_sgpr_count 6
		.amdhsa_user_sgpr_private_segment_buffer 1
		.amdhsa_user_sgpr_dispatch_ptr 0
		.amdhsa_user_sgpr_queue_ptr 0
		.amdhsa_user_sgpr_kernarg_segment_ptr 1
		.amdhsa_user_sgpr_dispatch_id 0
		.amdhsa_user_sgpr_flat_scratch_init 0
		.amdhsa_user_sgpr_private_segment_size 0
		.amdhsa_wavefront_size32 1
		.amdhsa_uses_dynamic_stack 0
		.amdhsa_system_sgpr_private_segment_wavefront_offset 1
		.amdhsa_system_sgpr_workgroup_id_x 1
		.amdhsa_system_sgpr_workgroup_id_y 1
		.amdhsa_system_sgpr_workgroup_id_z 1
		.amdhsa_system_sgpr_workgroup_info 0
		.amdhsa_system_vgpr_workitem_id 0
		.amdhsa_next_free_vgpr 128
		.amdhsa_next_free_sgpr 48
		.amdhsa_reserve_vcc 1
		.amdhsa_reserve_flat_scratch 0
		.amdhsa_float_round_mode_32 0
		.amdhsa_float_round_mode_16_64 0
		.amdhsa_float_denorm_mode_32 3
		.amdhsa_float_denorm_mode_16_64 3
		.amdhsa_dx10_clamp 1
		.amdhsa_ieee_mode 1
		.amdhsa_fp16_overflow 0
		.amdhsa_workgroup_processor_mode 1
		.amdhsa_memory_ordered 1
		.amdhsa_forward_progress 1
		.amdhsa_shared_vgpr_count 0
		.amdhsa_exception_fp_ieee_invalid_op 0
		.amdhsa_exception_fp_denorm_src 0
		.amdhsa_exception_fp_ieee_div_zero 0
		.amdhsa_exception_fp_ieee_overflow 0
		.amdhsa_exception_fp_ieee_underflow 0
		.amdhsa_exception_fp_ieee_inexact 0
		.amdhsa_exception_int_div_zero 0
	.end_amdhsa_kernel
	.section	.text._ZN4vllm25paged_attention_v2_kernelI14__hip_bfloat16hLi192ELi32ELi128ELNS_18Fp8KVCacheDataTypeE1ELb1ELi512EEEvPfS3_PT_PKS4_PKT0_SA_ifPKiSC_iPKfiiiSE_SE_iiiii,"axG",@progbits,_ZN4vllm25paged_attention_v2_kernelI14__hip_bfloat16hLi192ELi32ELi128ELNS_18Fp8KVCacheDataTypeE1ELb1ELi512EEEvPfS3_PT_PKS4_PKT0_SA_ifPKiSC_iPKfiiiSE_SE_iiiii,comdat
.Lfunc_end383:
	.size	_ZN4vllm25paged_attention_v2_kernelI14__hip_bfloat16hLi192ELi32ELi128ELNS_18Fp8KVCacheDataTypeE1ELb1ELi512EEEvPfS3_PT_PKS4_PKT0_SA_ifPKiSC_iPKfiiiSE_SE_iiiii, .Lfunc_end383-_ZN4vllm25paged_attention_v2_kernelI14__hip_bfloat16hLi192ELi32ELi128ELNS_18Fp8KVCacheDataTypeE1ELb1ELi512EEEvPfS3_PT_PKS4_PKT0_SA_ifPKiSC_iPKfiiiSE_SE_iiiii
                                        ; -- End function
	.set _ZN4vllm25paged_attention_v2_kernelI14__hip_bfloat16hLi192ELi32ELi128ELNS_18Fp8KVCacheDataTypeE1ELb1ELi512EEEvPfS3_PT_PKS4_PKT0_SA_ifPKiSC_iPKfiiiSE_SE_iiiii.num_vgpr, max(32, .L_ZN4vllm22paged_attention_kernelI14__hip_bfloat16hLi192ELi32ELi128ELNS_18Fp8KVCacheDataTypeE1ELb1ELi512EEEvPfS3_PT_PKS4_PKT0_SA_ifPKiSC_iPKfiiiSE_SE_iiiii.num_vgpr)
	.set _ZN4vllm25paged_attention_v2_kernelI14__hip_bfloat16hLi192ELi32ELi128ELNS_18Fp8KVCacheDataTypeE1ELb1ELi512EEEvPfS3_PT_PKS4_PKT0_SA_ifPKiSC_iPKfiiiSE_SE_iiiii.num_agpr, max(0, .L_ZN4vllm22paged_attention_kernelI14__hip_bfloat16hLi192ELi32ELi128ELNS_18Fp8KVCacheDataTypeE1ELb1ELi512EEEvPfS3_PT_PKS4_PKT0_SA_ifPKiSC_iPKfiiiSE_SE_iiiii.num_agpr)
	.set _ZN4vllm25paged_attention_v2_kernelI14__hip_bfloat16hLi192ELi32ELi128ELNS_18Fp8KVCacheDataTypeE1ELb1ELi512EEEvPfS3_PT_PKS4_PKT0_SA_ifPKiSC_iPKfiiiSE_SE_iiiii.numbered_sgpr, max(48, .L_ZN4vllm22paged_attention_kernelI14__hip_bfloat16hLi192ELi32ELi128ELNS_18Fp8KVCacheDataTypeE1ELb1ELi512EEEvPfS3_PT_PKS4_PKT0_SA_ifPKiSC_iPKfiiiSE_SE_iiiii.numbered_sgpr)
	.set _ZN4vllm25paged_attention_v2_kernelI14__hip_bfloat16hLi192ELi32ELi128ELNS_18Fp8KVCacheDataTypeE1ELb1ELi512EEEvPfS3_PT_PKS4_PKT0_SA_ifPKiSC_iPKfiiiSE_SE_iiiii.num_named_barrier, max(0, .L_ZN4vllm22paged_attention_kernelI14__hip_bfloat16hLi192ELi32ELi128ELNS_18Fp8KVCacheDataTypeE1ELb1ELi512EEEvPfS3_PT_PKS4_PKT0_SA_ifPKiSC_iPKfiiiSE_SE_iiiii.num_named_barrier)
	.set _ZN4vllm25paged_attention_v2_kernelI14__hip_bfloat16hLi192ELi32ELi128ELNS_18Fp8KVCacheDataTypeE1ELb1ELi512EEEvPfS3_PT_PKS4_PKT0_SA_ifPKiSC_iPKfiiiSE_SE_iiiii.private_seg_size, 0+max(.L_ZN4vllm22paged_attention_kernelI14__hip_bfloat16hLi192ELi32ELi128ELNS_18Fp8KVCacheDataTypeE1ELb1ELi512EEEvPfS3_PT_PKS4_PKT0_SA_ifPKiSC_iPKfiiiSE_SE_iiiii.private_seg_size)
	.set _ZN4vllm25paged_attention_v2_kernelI14__hip_bfloat16hLi192ELi32ELi128ELNS_18Fp8KVCacheDataTypeE1ELb1ELi512EEEvPfS3_PT_PKS4_PKT0_SA_ifPKiSC_iPKfiiiSE_SE_iiiii.uses_vcc, or(1, .L_ZN4vllm22paged_attention_kernelI14__hip_bfloat16hLi192ELi32ELi128ELNS_18Fp8KVCacheDataTypeE1ELb1ELi512EEEvPfS3_PT_PKS4_PKT0_SA_ifPKiSC_iPKfiiiSE_SE_iiiii.uses_vcc)
	.set _ZN4vllm25paged_attention_v2_kernelI14__hip_bfloat16hLi192ELi32ELi128ELNS_18Fp8KVCacheDataTypeE1ELb1ELi512EEEvPfS3_PT_PKS4_PKT0_SA_ifPKiSC_iPKfiiiSE_SE_iiiii.uses_flat_scratch, or(0, .L_ZN4vllm22paged_attention_kernelI14__hip_bfloat16hLi192ELi32ELi128ELNS_18Fp8KVCacheDataTypeE1ELb1ELi512EEEvPfS3_PT_PKS4_PKT0_SA_ifPKiSC_iPKfiiiSE_SE_iiiii.uses_flat_scratch)
	.set _ZN4vllm25paged_attention_v2_kernelI14__hip_bfloat16hLi192ELi32ELi128ELNS_18Fp8KVCacheDataTypeE1ELb1ELi512EEEvPfS3_PT_PKS4_PKT0_SA_ifPKiSC_iPKfiiiSE_SE_iiiii.has_dyn_sized_stack, or(0, .L_ZN4vllm22paged_attention_kernelI14__hip_bfloat16hLi192ELi32ELi128ELNS_18Fp8KVCacheDataTypeE1ELb1ELi512EEEvPfS3_PT_PKS4_PKT0_SA_ifPKiSC_iPKfiiiSE_SE_iiiii.has_dyn_sized_stack)
	.set _ZN4vllm25paged_attention_v2_kernelI14__hip_bfloat16hLi192ELi32ELi128ELNS_18Fp8KVCacheDataTypeE1ELb1ELi512EEEvPfS3_PT_PKS4_PKT0_SA_ifPKiSC_iPKfiiiSE_SE_iiiii.has_recursion, or(0, .L_ZN4vllm22paged_attention_kernelI14__hip_bfloat16hLi192ELi32ELi128ELNS_18Fp8KVCacheDataTypeE1ELb1ELi512EEEvPfS3_PT_PKS4_PKT0_SA_ifPKiSC_iPKfiiiSE_SE_iiiii.has_recursion)
	.set _ZN4vllm25paged_attention_v2_kernelI14__hip_bfloat16hLi192ELi32ELi128ELNS_18Fp8KVCacheDataTypeE1ELb1ELi512EEEvPfS3_PT_PKS4_PKT0_SA_ifPKiSC_iPKfiiiSE_SE_iiiii.has_indirect_call, or(0, .L_ZN4vllm22paged_attention_kernelI14__hip_bfloat16hLi192ELi32ELi128ELNS_18Fp8KVCacheDataTypeE1ELb1ELi512EEEvPfS3_PT_PKS4_PKT0_SA_ifPKiSC_iPKfiiiSE_SE_iiiii.has_indirect_call)
	.section	.AMDGPU.csdata,"",@progbits
; Kernel info:
; codeLenInByte = 292
; TotalNumSgprs: 50
; NumVgprs: 128
; ScratchSize: 1756
; MemoryBound: 0
; FloatMode: 240
; IeeeMode: 1
; LDSByteSize: 416 bytes/workgroup (compile time only)
; SGPRBlocks: 0
; VGPRBlocks: 15
; NumSGPRsForWavesPerEU: 50
; NumVGPRsForWavesPerEU: 128
; Occupancy: 8
; WaveLimiterHint : 1
; COMPUTE_PGM_RSRC2:SCRATCH_EN: 1
; COMPUTE_PGM_RSRC2:USER_SGPR: 6
; COMPUTE_PGM_RSRC2:TRAP_HANDLER: 0
; COMPUTE_PGM_RSRC2:TGID_X_EN: 1
; COMPUTE_PGM_RSRC2:TGID_Y_EN: 1
; COMPUTE_PGM_RSRC2:TGID_Z_EN: 1
; COMPUTE_PGM_RSRC2:TIDIG_COMP_CNT: 0
	.text
	.p2align	2                               ; -- Begin function _ZN4vllm22paged_attention_kernelI14__hip_bfloat16hLi256ELi32ELi128ELNS_18Fp8KVCacheDataTypeE1ELb1ELi512EEEvPfS3_PT_PKS4_PKT0_SA_ifPKiSC_iPKfiiiSE_SE_iiiii
	.type	_ZN4vllm22paged_attention_kernelI14__hip_bfloat16hLi256ELi32ELi128ELNS_18Fp8KVCacheDataTypeE1ELb1ELi512EEEvPfS3_PT_PKS4_PKT0_SA_ifPKiSC_iPKfiiiSE_SE_iiiii,@function
_ZN4vllm22paged_attention_kernelI14__hip_bfloat16hLi256ELi32ELi128ELNS_18Fp8KVCacheDataTypeE1ELb1ELi512EEEvPfS3_PT_PKS4_PKT0_SA_ifPKiSC_iPKfiiiSE_SE_iiiii: ; @_ZN4vllm22paged_attention_kernelI14__hip_bfloat16hLi256ELi32ELi128ELNS_18Fp8KVCacheDataTypeE1ELb1ELi512EEEvPfS3_PT_PKS4_PKT0_SA_ifPKiSC_iPKfiiiSE_SE_iiiii
; %bb.0:
	s_waitcnt vmcnt(0) expcnt(0) lgkmcnt(0)
	buffer_store_dword v40, off, s[0:3], s32 offset:196 ; 4-byte Folded Spill
	buffer_store_dword v41, off, s[0:3], s32 offset:192 ; 4-byte Folded Spill
	;; [unrolled: 1-line block ×48, first 2 shown]
	s_mov_b32 s18, s13
	s_ashr_i32 s19, s13, 31
	buffer_store_dword v26, off, s[0:3], s32 offset:1276 ; 4-byte Folded Spill
	buffer_store_dword v27, off, s[0:3], s32 offset:1280 ; 4-byte Folded Spill
	;; [unrolled: 1-line block ×6, first 2 shown]
	s_lshl_b64 s[4:5], s[18:19], 2
	v_mov_b32_e32 v24, v0
	v_add_co_u32 v0, vcc_lo, v16, s4
	v_mov_b32_e32 v22, v1
	v_add_co_ci_u32_e64 v1, null, s5, v17, vcc_lo
	buffer_store_dword v5, off, s[0:3], s32 offset:2340 ; 4-byte Folded Spill
	buffer_store_dword v4, off, s[0:3], s32 offset:2344 ; 4-byte Folded Spill
	v_mov_b32_e32 v33, v10
	v_mov_b32_e32 v25, v3
	flat_load_dword v48, v[0:1]
	s_clause 0x1
	buffer_load_dword v0, off, s[0:3], s32 offset:4
	buffer_load_dword v1, off, s[0:3], s32
	v_mov_b32_e32 v26, v2
	s_lshl_b32 s22, s14, 9
	s_mov_b32 s19, exec_lo
	s_waitcnt vmcnt(2) lgkmcnt(0)
	v_cmpx_lt_i32_e64 s22, v48
	s_cbranch_execnz .LBB384_1
; %bb.4339:
	s_getpc_b64 s[30:31]
.Lpost_getpc5:
	s_add_u32 s30, s30, (.LBB384_4276-.Lpost_getpc5)&4294967295
	s_addc_u32 s31, s31, (.LBB384_4276-.Lpost_getpc5)>>32
	s_setpc_b64 s[30:31]
.LBB384_1:
	v_sub_nc_u32_e32 v2, 0, v12
	s_clause 0x1
	s_load_dword s4, s[8:9], 0x10
	s_load_dword s5, s[8:9], 0x0
	s_mov_b32 s16, s15
	v_max_i32_e32 v2, v12, v2
	v_cvt_f32_u32_e32 v3, v2
	v_sub_nc_u32_e32 v4, 0, v2
	v_rcp_iflag_f32_e32 v3, v3
	s_waitcnt lgkmcnt(0)
	s_lshr_b32 s4, s4, 16
	s_cmp_lg_u32 s4, 0
	s_cselect_b32 s4, -1, 0
	v_mul_f32_e32 v3, 0x4f7ffffe, v3
	s_cmp_lg_u32 s4, 0
	s_addc_u32 s15, s5, 0
	s_mov_b32 s5, exec_lo
	v_cvt_u32_f32_e32 v3, v3
	s_abs_i32 s4, s15
	v_mul_lo_u32 v4, v4, v3
	v_mul_hi_u32 v4, v3, v4
	v_add_nc_u32_e32 v3, v3, v4
	v_mul_hi_u32 v3, s4, v3
	v_mul_lo_u32 v4, v3, v2
	v_add_nc_u32_e32 v5, 1, v3
	v_sub_nc_u32_e32 v4, s4, v4
	s_abs_i32 s4, s12
	v_sub_nc_u32_e32 v10, v4, v2
	v_cmp_ge_u32_e32 vcc_lo, v4, v2
	v_cndmask_b32_e32 v3, v3, v5, vcc_lo
	v_cndmask_b32_e32 v4, v4, v10, vcc_lo
	v_xor_b32_e32 v5, s15, v12
	v_add_nc_u32_e32 v10, 1, v3
	v_cmp_ge_u32_e32 vcc_lo, v4, v2
	v_ashrrev_i32_e32 v5, 31, v5
	v_cndmask_b32_e32 v2, v3, v10, vcc_lo
	v_xor_b32_e32 v2, v2, v5
	v_sub_nc_u32_e32 v3, v2, v5
	v_sub_nc_u32_e32 v2, 0, v3
	v_max_i32_e32 v2, v3, v2
	v_cvt_f32_u32_e32 v4, v2
	v_sub_nc_u32_e32 v5, 0, v2
	v_rcp_iflag_f32_e32 v4, v4
	v_mul_f32_e32 v4, 0x4f7ffffe, v4
	v_cvt_u32_f32_e32 v4, v4
	v_mul_lo_u32 v5, v5, v4
	v_mul_hi_u32 v5, v4, v5
	v_add_nc_u32_e32 v4, v4, v5
	v_mad_u64_u32 v[16:17], null, s4, v4, 0
	v_mov_b32_e32 v4, 0
	buffer_store_dword v4, off, s[0:3], s32 offset:1296 ; 4-byte Folded Spill
	v_cmpx_ne_u64_e32 0, v[19:20]
	s_cbranch_execz .LBB384_3
; %bb.2:
	s_ashr_i32 s13, s12, 31
	s_lshl_b64 s[6:7], s[12:13], 2
	v_add_co_u32 v4, vcc_lo, v19, s6
	v_add_co_ci_u32_e64 v5, null, s7, v20, vcc_lo
	flat_load_dword v4, v[4:5]
	s_waitcnt vmcnt(0) lgkmcnt(0)
	buffer_store_dword v4, off, s[0:3], s32 offset:1296 ; 4-byte Folded Spill
.LBB384_3:
	s_or_b32 exec_lo, exec_lo, s5
	v_and_b32_e32 v4, 0x3ff, v31
	v_ashrrev_i32_e32 v3, 31, v3
	s_ashr_i32 s5, s12, 31
	s_lshl_b32 s10, s12, 8
	s_mov_b32 s6, exec_lo
	buffer_store_dword v4, off, s[0:3], s32 offset:1272 ; 4-byte Folded Spill
	v_cmpx_gt_u32_e32 32, v4
	s_cbranch_execz .LBB384_5
; %bb.4:
	buffer_load_dword v10, off, s[0:3], s32 offset:1272 ; 4-byte Folded Reload
	v_mul_lo_u32 v4, v21, s18
	s_ashr_i32 s11, s10, 31
	s_lshl_b64 s[20:21], s[10:11], 1
	v_ashrrev_i32_e32 v5, 31, v4
	v_lshlrev_b64 v[4:5], 1, v[4:5]
	v_add_co_u32 v4, vcc_lo, v6, v4
	v_add_co_ci_u32_e64 v5, null, v7, v5, vcc_lo
	v_add_co_u32 v4, vcc_lo, v4, s20
	v_add_co_ci_u32_e64 v5, null, s21, v5, vcc_lo
	s_waitcnt vmcnt(0)
	v_lshlrev_b32_e32 v10, 4, v10
	v_add_co_u32 v4, vcc_lo, v4, v10
	v_add_co_ci_u32_e64 v5, null, 0, v5, vcc_lo
	flat_load_dwordx4 v[4:7], v[4:5]
	s_waitcnt vmcnt(0) lgkmcnt(0)
	ds_write_b128 v10, v[4:7]
.LBB384_5:
	s_or_b32 exec_lo, exec_lo, s6
	s_waitcnt vmcnt(0)
	v_sub_nc_u32_e32 v4, 0, v1
	v_mul_lo_u32 v5, v17, v2
	v_xor_b32_e32 v3, s5, v3
	v_max_i32_e32 v7, v1, v4
	v_sub_nc_u32_e32 v5, s4, v5
	v_cvt_f32_u32_e32 v4, v7
	buffer_store_dword v7, off, s[0:3], s32 offset:216 ; 4-byte Folded Spill
	s_mov_b32 s4, exec_lo
	v_sub_nc_u32_e32 v10, v5, v2
	v_rcp_iflag_f32_e32 v4, v4
	v_cmp_ge_u32_e32 vcc_lo, v5, v2
	v_cndmask_b32_e32 v5, v5, v10, vcc_lo
	v_mul_f32_e32 v4, 0x4f7ffffe, v4
	v_cvt_u32_f32_e32 v6, v4
	v_sub_nc_u32_e32 v4, 0, v7
	v_add_nc_u32_e32 v7, 1, v17
	v_mul_lo_u32 v13, v4, v6
	v_cndmask_b32_e32 v7, v17, v7, vcc_lo
	v_add_nc_u32_e32 v4, -1, v48
	v_cmp_ge_u32_e32 vcc_lo, v5, v2
	v_add_nc_u32_e32 v10, 1, v7
	v_mul_hi_u32 v16, v6, v13
	v_sub_nc_u32_e32 v13, 0, v4
	v_cndmask_b32_e32 v5, v7, v10, vcc_lo
	v_max_i32_e32 v2, v4, v13
	v_add_nc_u32_e32 v6, v6, v16
	v_xor_b32_e32 v5, v5, v3
	buffer_store_dword v6, off, s[0:3], s32 offset:236 ; 4-byte Folded Spill
	v_mad_u64_u32 v[6:7], null, v2, v6, 0
	v_sub_nc_u32_e32 v6, v5, v3
                                        ; implicit-def: $vgpr3
	s_waitcnt lgkmcnt(0)
	s_waitcnt_vscnt null, 0x0
	s_barrier
	buffer_gl0_inv
	buffer_store_dword v3, off, s[0:3], s32 offset:220 ; 4-byte Folded Spill
	buffer_store_dword v4, off, s[0:3], s32 offset:224 ; 4-byte Folded Spill
	v_cmpx_gt_i32_e32 0, v0
	s_xor_b32 s4, exec_lo, s4
	s_cbranch_execz .LBB384_7
; %bb.6:
	v_mad_u64_u32 v[12:13], null, v28, v12, v[6:7]
                                        ; implicit-def: $vgpr28
	v_mul_lo_u32 v0, v12, v0
	v_sub_nc_u32_e32 v0, 1, v0
	buffer_store_dword v0, off, s[0:3], s32 offset:220 ; 4-byte Folded Spill
	buffer_store_dword v1, off, s[0:3], s32 offset:224 ; 4-byte Folded Spill
                                        ; implicit-def: $vgpr0
.LBB384_7:
	s_or_saveexec_b32 s4, s4
	v_ashrrev_i32_e32 v3, 31, v4
	v_ashrrev_i32_e32 v1, 31, v1
	buffer_store_dword v1, off, s[0:3], s32 offset:228 ; 4-byte Folded Spill
	s_xor_b32 exec_lo, exec_lo, s4
	s_cbranch_execz .LBB384_9
; %bb.8:
	v_mad_u64_u32 v[4:5], null, s15, v28, s[12:13]
	v_mad_u64_u32 v[0:1], null, v4, v0, 1
	buffer_store_dword v0, off, s[0:3], s32 offset:220 ; 4-byte Folded Spill
	buffer_store_dword v1, off, s[0:3], s32 offset:224 ; 4-byte Folded Spill
.LBB384_9:
	s_or_b32 exec_lo, exec_lo, s4
	buffer_load_dword v12, off, s[0:3], s32 offset:216 ; 4-byte Folded Reload
	s_clause 0x1
	s_load_dword s13, s[8:9], 0x14
	s_load_dword s11, s[8:9], 0x8
	buffer_load_dword v10, off, s[0:3], s32 offset:228 ; 4-byte Folded Reload
	v_add_nc_u32_e32 v1, 31, v48
	s_lshl_b32 s7, s14, 4
	v_mul_lo_u32 v34, v6, v23
	s_add_i32 s4, s7, 16
	v_sub_nc_u32_e32 v38, 0, v30
	v_ashrrev_i32_e32 v4, 31, v1
	v_ashrrev_i32_e32 v35, 31, v34
	v_lshrrev_b32_e32 v4, 27, v4
	v_add_nc_u32_e32 v1, v1, v4
	s_waitcnt vmcnt(1)
	v_mul_lo_u32 v0, v7, v12
	s_waitcnt vmcnt(0)
	v_xor_b32_e32 v3, v3, v10
	buffer_load_dword v10, off, s[0:3], s32 offset:1272 ; 4-byte Folded Reload
	v_sub_nc_u32_e32 v2, v2, v0
	v_add_nc_u32_e32 v0, 1, v7
	v_sub_nc_u32_e32 v5, v2, v12
	v_cmp_ge_u32_e32 vcc_lo, v2, v12
	v_cndmask_b32_e32 v7, v7, v0, vcc_lo
	v_cndmask_b32_e32 v2, v2, v5, vcc_lo
	v_mul_lo_u32 v0, v18, s18
	v_add_nc_u32_e32 v5, 1, v7
	v_cmp_ge_u32_e32 vcc_lo, v2, v12
	v_cndmask_b32_e32 v2, v7, v5, vcc_lo
	v_mov_b32_e32 v7, 0xff7fffff
	v_xor_b32_e32 v2, v2, v3
	v_sub_nc_u32_e32 v2, v2, v3
	s_waitcnt vmcnt(0)
	v_lshrrev_b32_e32 v13, 5, v10
	v_and_b32_e32 v4, 31, v10
	v_ashrrev_i32_e32 v10, 5, v1
	v_ashrrev_i32_e32 v1, 31, v0
	v_add_nc_u32_e32 v5, s7, v13
	buffer_store_dword v13, off, s[0:3], s32 offset:2336 ; 4-byte Folded Spill
	v_min_i32_e32 v6, s4, v10
	v_lshlrev_b64 v[36:37], 2, v[0:1]
	v_lshlrev_b32_e32 v16, 2, v4
	v_mov_b32_e32 v0, v5
	buffer_store_dword v0, off, s[0:3], s32 offset:200 ; 4-byte Folded Spill
	buffer_store_dword v1, off, s[0:3], s32 offset:204 ; 4-byte Folded Spill
	;; [unrolled: 1-line block ×3, first 2 shown]
	v_cmp_lt_i32_e64 s4, v5, v6
	v_sub_nc_u32_e32 v0, v2, v29
	buffer_store_dword v0, off, s[0:3], s32 offset:240 ; 4-byte Folded Spill
	buffer_store_dword v4, off, s[0:3], s32 offset:1268 ; 4-byte Folded Spill
	s_and_saveexec_b32 s23, s4
	s_cbranch_execz .LBB384_2065
; %bb.10:
	v_mov_b32_e32 v19, 0
	buffer_store_dword v10, off, s[0:3], s32 offset:2384 ; 4-byte Folded Spill
	buffer_store_dword v26, off, s[0:3], s32 offset:2380 ; 4-byte Folded Spill
	;; [unrolled: 1-line block ×7, first 2 shown]
	s_ashr_i32 s17, s16, 31
	v_mov_b32_e32 v87, 0x80
	s_lshl_b64 s[8:9], s[16:17], 2
	ds_read_b128 v[0:3], v19
	ds_read_b128 v[4:7], v19 offset:16
	ds_read_b128 v[10:13], v19 offset:32
	;; [unrolled: 1-line block ×3, first 2 shown]
	s_getpc_b64 s[20:21]
	s_add_u32 s20, s20, llvm.amdgcn.dynlds.offset.table@rel32@lo+4
	s_addc_u32 s21, s21, llvm.amdgcn.dynlds.offset.table@rel32@hi+12
	s_add_u32 s8, s20, s8
	s_addc_u32 s9, s21, s9
	s_mov_b32 s20, -1
	s_mov_b32 s17, 0
	s_mov_b32 s21, 0xffffff
	s_waitcnt lgkmcnt(0)
	v_lshlrev_b32_e32 v17, 16, v0
	v_and_b32_e32 v0, 0xffff0000, v0
	buffer_store_dword v17, off, s[0:3], s32 offset:1300 ; 4-byte Folded Spill
	buffer_store_dword v0, off, s[0:3], s32 offset:1304 ; 4-byte Folded Spill
	v_lshlrev_b32_e32 v0, 16, v1
	buffer_store_dword v0, off, s[0:3], s32 offset:1308 ; 4-byte Folded Spill
	v_and_b32_e32 v0, 0xffff0000, v1
	buffer_store_dword v0, off, s[0:3], s32 offset:1312 ; 4-byte Folded Spill
	v_lshlrev_b32_e32 v0, 16, v2
	buffer_store_dword v0, off, s[0:3], s32 offset:1316 ; 4-byte Folded Spill
	v_and_b32_e32 v0, 0xffff0000, v2
	;; [unrolled: 4-line block ×4, first 2 shown]
	v_and_b32_e32 v4, 0xffff0000, v20
	buffer_store_dword v0, off, s[0:3], s32 offset:1336 ; 4-byte Folded Spill
	v_lshlrev_b32_e32 v0, 16, v5
	buffer_store_dword v4, off, s[0:3], s32 offset:1400 ; 4-byte Folded Spill
	v_lshlrev_b32_e32 v4, 16, v21
	buffer_store_dword v0, off, s[0:3], s32 offset:1340 ; 4-byte Folded Spill
	v_and_b32_e32 v0, 0xffff0000, v5
	buffer_store_dword v4, off, s[0:3], s32 offset:1404 ; 4-byte Folded Spill
	v_and_b32_e32 v4, 0xffff0000, v21
	buffer_store_dword v0, off, s[0:3], s32 offset:1344 ; 4-byte Folded Spill
	v_lshlrev_b32_e32 v0, 16, v6
	buffer_store_dword v4, off, s[0:3], s32 offset:1408 ; 4-byte Folded Spill
	v_lshlrev_b32_e32 v4, 16, v22
	buffer_store_dword v0, off, s[0:3], s32 offset:1348 ; 4-byte Folded Spill
	v_and_b32_e32 v0, 0xffff0000, v6
	buffer_store_dword v4, off, s[0:3], s32 offset:1412 ; 4-byte Folded Spill
	v_and_b32_e32 v4, 0xffff0000, v22
	buffer_store_dword v0, off, s[0:3], s32 offset:1352 ; 4-byte Folded Spill
	v_lshlrev_b32_e32 v0, 16, v7
	buffer_store_dword v4, off, s[0:3], s32 offset:1416 ; 4-byte Folded Spill
	v_lshlrev_b32_e32 v4, 16, v23
	buffer_store_dword v0, off, s[0:3], s32 offset:1356 ; 4-byte Folded Spill
	v_and_b32_e32 v0, 0xffff0000, v7
	buffer_store_dword v4, off, s[0:3], s32 offset:1420 ; 4-byte Folded Spill
	v_and_b32_e32 v4, 0xffff0000, v23
	buffer_store_dword v0, off, s[0:3], s32 offset:1360 ; 4-byte Folded Spill
	v_lshlrev_b32_e32 v0, 16, v10
	buffer_store_dword v4, off, s[0:3], s32 offset:1424 ; 4-byte Folded Spill
	ds_read_b128 v[4:7], v19 offset:80
	buffer_store_dword v0, off, s[0:3], s32 offset:1364 ; 4-byte Folded Spill
	v_and_b32_e32 v0, 0xffff0000, v10
	buffer_store_dword v0, off, s[0:3], s32 offset:1368 ; 4-byte Folded Spill
	v_lshlrev_b32_e32 v0, 16, v11
	buffer_store_dword v0, off, s[0:3], s32 offset:1372 ; 4-byte Folded Spill
	v_and_b32_e32 v0, 0xffff0000, v11
	buffer_store_dword v0, off, s[0:3], s32 offset:1376 ; 4-byte Folded Spill
	v_lshlrev_b32_e32 v0, 16, v12
	;; [unrolled: 4-line block ×4, first 2 shown]
	buffer_store_dword v0, off, s[0:3], s32 offset:1396 ; 4-byte Folded Spill
	ds_read_b128 v[0:3], v19 offset:64
	s_waitcnt lgkmcnt(0)
	v_lshlrev_b32_e32 v10, 16, v0
	v_and_b32_e32 v0, 0xffff0000, v0
	buffer_store_dword v10, off, s[0:3], s32 offset:1428 ; 4-byte Folded Spill
	buffer_store_dword v0, off, s[0:3], s32 offset:1432 ; 4-byte Folded Spill
	v_lshlrev_b32_e32 v0, 16, v1
	buffer_store_dword v0, off, s[0:3], s32 offset:1436 ; 4-byte Folded Spill
	v_and_b32_e32 v0, 0xffff0000, v1
	buffer_store_dword v0, off, s[0:3], s32 offset:1440 ; 4-byte Folded Spill
	v_lshlrev_b32_e32 v0, 16, v2
	buffer_store_dword v0, off, s[0:3], s32 offset:1444 ; 4-byte Folded Spill
	v_and_b32_e32 v0, 0xffff0000, v2
	;; [unrolled: 4-line block ×7, first 2 shown]
	buffer_store_dword v0, off, s[0:3], s32 offset:1488 ; 4-byte Folded Spill
	ds_read_b128 v[0:3], v19 offset:96
	ds_read_b128 v[4:7], v19 offset:112
	s_waitcnt lgkmcnt(1)
	v_lshlrev_b32_e32 v10, 16, v0
	v_and_b32_e32 v0, 0xffff0000, v0
	buffer_store_dword v10, off, s[0:3], s32 offset:1492 ; 4-byte Folded Spill
	buffer_store_dword v0, off, s[0:3], s32 offset:1496 ; 4-byte Folded Spill
	v_lshlrev_b32_e32 v0, 16, v1
	buffer_store_dword v0, off, s[0:3], s32 offset:1500 ; 4-byte Folded Spill
	v_and_b32_e32 v0, 0xffff0000, v1
	buffer_store_dword v0, off, s[0:3], s32 offset:1504 ; 4-byte Folded Spill
	v_lshlrev_b32_e32 v0, 16, v2
	buffer_store_dword v0, off, s[0:3], s32 offset:1508 ; 4-byte Folded Spill
	v_and_b32_e32 v0, 0xffff0000, v2
	buffer_store_dword v0, off, s[0:3], s32 offset:1512 ; 4-byte Folded Spill
	v_lshlrev_b32_e32 v0, 16, v3
	buffer_store_dword v0, off, s[0:3], s32 offset:1516 ; 4-byte Folded Spill
	v_and_b32_e32 v0, 0xffff0000, v3
	buffer_store_dword v0, off, s[0:3], s32 offset:1520 ; 4-byte Folded Spill
	s_waitcnt lgkmcnt(0)
	v_lshlrev_b32_e32 v0, 16, v4
	buffer_store_dword v0, off, s[0:3], s32 offset:1524 ; 4-byte Folded Spill
	v_and_b32_e32 v0, 0xffff0000, v4
	buffer_store_dword v0, off, s[0:3], s32 offset:1528 ; 4-byte Folded Spill
	v_lshlrev_b32_e32 v0, 16, v5
	buffer_store_dword v0, off, s[0:3], s32 offset:1532 ; 4-byte Folded Spill
	v_and_b32_e32 v0, 0xffff0000, v5
	buffer_store_dword v0, off, s[0:3], s32 offset:1536 ; 4-byte Folded Spill
	v_lshlrev_b32_e32 v0, 16, v6
	buffer_store_dword v0, off, s[0:3], s32 offset:1540 ; 4-byte Folded Spill
	v_and_b32_e32 v0, 0xffff0000, v6
	buffer_store_dword v0, off, s[0:3], s32 offset:1544 ; 4-byte Folded Spill
	v_lshlrev_b32_e32 v0, 16, v7
	buffer_store_dword v0, off, s[0:3], s32 offset:1548 ; 4-byte Folded Spill
	v_and_b32_e32 v0, 0xffff0000, v7
	buffer_store_dword v0, off, s[0:3], s32 offset:1552 ; 4-byte Folded Spill
	ds_read_b128 v[0:3], v19 offset:128
	ds_read_b128 v[4:7], v19 offset:144
	s_waitcnt lgkmcnt(1)
	v_lshlrev_b32_e32 v10, 16, v0
	v_and_b32_e32 v0, 0xffff0000, v0
	buffer_store_dword v10, off, s[0:3], s32 offset:1556 ; 4-byte Folded Spill
	buffer_store_dword v0, off, s[0:3], s32 offset:1560 ; 4-byte Folded Spill
	v_lshlrev_b32_e32 v0, 16, v1
	buffer_store_dword v0, off, s[0:3], s32 offset:1564 ; 4-byte Folded Spill
	v_and_b32_e32 v0, 0xffff0000, v1
	buffer_store_dword v0, off, s[0:3], s32 offset:1568 ; 4-byte Folded Spill
	v_lshlrev_b32_e32 v0, 16, v2
	buffer_store_dword v0, off, s[0:3], s32 offset:1572 ; 4-byte Folded Spill
	v_and_b32_e32 v0, 0xffff0000, v2
	buffer_store_dword v0, off, s[0:3], s32 offset:1576 ; 4-byte Folded Spill
	v_lshlrev_b32_e32 v0, 16, v3
	buffer_store_dword v0, off, s[0:3], s32 offset:1580 ; 4-byte Folded Spill
	v_and_b32_e32 v0, 0xffff0000, v3
	buffer_store_dword v0, off, s[0:3], s32 offset:1584 ; 4-byte Folded Spill
	s_waitcnt lgkmcnt(0)
	v_lshlrev_b32_e32 v0, 16, v4
	buffer_store_dword v0, off, s[0:3], s32 offset:1588 ; 4-byte Folded Spill
	v_and_b32_e32 v0, 0xffff0000, v4
	buffer_store_dword v0, off, s[0:3], s32 offset:1592 ; 4-byte Folded Spill
	v_lshlrev_b32_e32 v0, 16, v5
	buffer_store_dword v0, off, s[0:3], s32 offset:1596 ; 4-byte Folded Spill
	v_and_b32_e32 v0, 0xffff0000, v5
	buffer_store_dword v0, off, s[0:3], s32 offset:1600 ; 4-byte Folded Spill
	v_lshlrev_b32_e32 v0, 16, v6
	buffer_store_dword v0, off, s[0:3], s32 offset:1604 ; 4-byte Folded Spill
	v_and_b32_e32 v0, 0xffff0000, v6
	buffer_store_dword v0, off, s[0:3], s32 offset:1608 ; 4-byte Folded Spill
	v_lshlrev_b32_e32 v0, 16, v7
	buffer_store_dword v0, off, s[0:3], s32 offset:1612 ; 4-byte Folded Spill
	v_and_b32_e32 v0, 0xffff0000, v7
	buffer_store_dword v0, off, s[0:3], s32 offset:1616 ; 4-byte Folded Spill
	ds_read_b128 v[0:3], v19 offset:160
	ds_read_b128 v[4:7], v19 offset:176
	s_waitcnt lgkmcnt(1)
	v_lshlrev_b32_e32 v10, 16, v0
	v_and_b32_e32 v0, 0xffff0000, v0
	buffer_store_dword v10, off, s[0:3], s32 offset:1620 ; 4-byte Folded Spill
	buffer_store_dword v0, off, s[0:3], s32 offset:1624 ; 4-byte Folded Spill
	v_lshlrev_b32_e32 v0, 16, v1
	buffer_store_dword v0, off, s[0:3], s32 offset:1628 ; 4-byte Folded Spill
	v_and_b32_e32 v0, 0xffff0000, v1
	buffer_store_dword v0, off, s[0:3], s32 offset:1632 ; 4-byte Folded Spill
	v_lshlrev_b32_e32 v0, 16, v2
	buffer_store_dword v0, off, s[0:3], s32 offset:1636 ; 4-byte Folded Spill
	v_and_b32_e32 v0, 0xffff0000, v2
	buffer_store_dword v0, off, s[0:3], s32 offset:1640 ; 4-byte Folded Spill
	v_lshlrev_b32_e32 v0, 16, v3
	buffer_store_dword v0, off, s[0:3], s32 offset:1644 ; 4-byte Folded Spill
	v_and_b32_e32 v0, 0xffff0000, v3
	buffer_store_dword v0, off, s[0:3], s32 offset:1648 ; 4-byte Folded Spill
	s_waitcnt lgkmcnt(0)
	v_lshlrev_b32_e32 v0, 16, v4
	buffer_store_dword v0, off, s[0:3], s32 offset:1652 ; 4-byte Folded Spill
	v_and_b32_e32 v0, 0xffff0000, v4
	buffer_store_dword v0, off, s[0:3], s32 offset:1656 ; 4-byte Folded Spill
	v_lshlrev_b32_e32 v0, 16, v5
	buffer_store_dword v0, off, s[0:3], s32 offset:1660 ; 4-byte Folded Spill
	v_and_b32_e32 v0, 0xffff0000, v5
	buffer_store_dword v0, off, s[0:3], s32 offset:1664 ; 4-byte Folded Spill
	v_lshlrev_b32_e32 v0, 16, v6
	buffer_store_dword v0, off, s[0:3], s32 offset:1668 ; 4-byte Folded Spill
	v_and_b32_e32 v0, 0xffff0000, v6
	buffer_store_dword v0, off, s[0:3], s32 offset:1672 ; 4-byte Folded Spill
	v_lshlrev_b32_e32 v0, 16, v7
	buffer_store_dword v0, off, s[0:3], s32 offset:1676 ; 4-byte Folded Spill
	v_and_b32_e32 v0, 0xffff0000, v7
	buffer_store_dword v0, off, s[0:3], s32 offset:1680 ; 4-byte Folded Spill
	ds_read_b128 v[0:3], v19 offset:192
	ds_read_b128 v[4:7], v19 offset:208
	s_waitcnt lgkmcnt(1)
	v_lshlrev_b32_e32 v10, 16, v0
	v_and_b32_e32 v0, 0xffff0000, v0
	buffer_store_dword v10, off, s[0:3], s32 offset:1684 ; 4-byte Folded Spill
	buffer_store_dword v0, off, s[0:3], s32 offset:1688 ; 4-byte Folded Spill
	v_lshlrev_b32_e32 v0, 16, v1
	buffer_store_dword v0, off, s[0:3], s32 offset:1692 ; 4-byte Folded Spill
	v_and_b32_e32 v0, 0xffff0000, v1
	buffer_store_dword v0, off, s[0:3], s32 offset:1696 ; 4-byte Folded Spill
	v_lshlrev_b32_e32 v0, 16, v2
	buffer_store_dword v0, off, s[0:3], s32 offset:1700 ; 4-byte Folded Spill
	v_and_b32_e32 v0, 0xffff0000, v2
	buffer_store_dword v0, off, s[0:3], s32 offset:1704 ; 4-byte Folded Spill
	v_lshlrev_b32_e32 v0, 16, v3
	buffer_store_dword v0, off, s[0:3], s32 offset:1708 ; 4-byte Folded Spill
	v_and_b32_e32 v0, 0xffff0000, v3
	buffer_store_dword v0, off, s[0:3], s32 offset:1712 ; 4-byte Folded Spill
	s_waitcnt lgkmcnt(0)
	v_lshlrev_b32_e32 v0, 16, v4
	buffer_store_dword v0, off, s[0:3], s32 offset:1716 ; 4-byte Folded Spill
	v_and_b32_e32 v0, 0xffff0000, v4
	buffer_store_dword v0, off, s[0:3], s32 offset:1720 ; 4-byte Folded Spill
	v_lshlrev_b32_e32 v0, 16, v5
	buffer_store_dword v0, off, s[0:3], s32 offset:1724 ; 4-byte Folded Spill
	v_and_b32_e32 v0, 0xffff0000, v5
	buffer_store_dword v0, off, s[0:3], s32 offset:1728 ; 4-byte Folded Spill
	v_lshlrev_b32_e32 v0, 16, v6
	buffer_store_dword v0, off, s[0:3], s32 offset:1732 ; 4-byte Folded Spill
	v_and_b32_e32 v0, 0xffff0000, v6
	buffer_store_dword v0, off, s[0:3], s32 offset:1736 ; 4-byte Folded Spill
	v_lshlrev_b32_e32 v0, 16, v7
	buffer_store_dword v0, off, s[0:3], s32 offset:1740 ; 4-byte Folded Spill
	v_and_b32_e32 v0, 0xffff0000, v7
	buffer_store_dword v0, off, s[0:3], s32 offset:1744 ; 4-byte Folded Spill
	ds_read_b128 v[0:3], v19 offset:224
	ds_read_b128 v[4:7], v19 offset:240
	s_waitcnt lgkmcnt(1)
	v_lshlrev_b32_e32 v10, 16, v0
	v_and_b32_e32 v0, 0xffff0000, v0
	buffer_store_dword v10, off, s[0:3], s32 offset:1748 ; 4-byte Folded Spill
	buffer_store_dword v0, off, s[0:3], s32 offset:1752 ; 4-byte Folded Spill
	v_lshlrev_b32_e32 v0, 16, v1
	buffer_store_dword v0, off, s[0:3], s32 offset:1756 ; 4-byte Folded Spill
	v_and_b32_e32 v0, 0xffff0000, v1
	buffer_store_dword v0, off, s[0:3], s32 offset:1760 ; 4-byte Folded Spill
	v_lshlrev_b32_e32 v0, 16, v2
	buffer_store_dword v0, off, s[0:3], s32 offset:1764 ; 4-byte Folded Spill
	v_and_b32_e32 v0, 0xffff0000, v2
	buffer_store_dword v0, off, s[0:3], s32 offset:1768 ; 4-byte Folded Spill
	v_lshlrev_b32_e32 v0, 16, v3
	buffer_store_dword v0, off, s[0:3], s32 offset:1772 ; 4-byte Folded Spill
	v_and_b32_e32 v0, 0xffff0000, v3
	buffer_store_dword v0, off, s[0:3], s32 offset:1776 ; 4-byte Folded Spill
	s_waitcnt lgkmcnt(0)
	v_lshlrev_b32_e32 v0, 16, v4
	buffer_store_dword v0, off, s[0:3], s32 offset:1780 ; 4-byte Folded Spill
	v_and_b32_e32 v0, 0xffff0000, v4
	buffer_store_dword v0, off, s[0:3], s32 offset:1784 ; 4-byte Folded Spill
	v_lshlrev_b32_e32 v0, 16, v5
	buffer_store_dword v0, off, s[0:3], s32 offset:1788 ; 4-byte Folded Spill
	v_and_b32_e32 v0, 0xffff0000, v5
	buffer_store_dword v0, off, s[0:3], s32 offset:1792 ; 4-byte Folded Spill
	v_lshlrev_b32_e32 v0, 16, v6
	buffer_store_dword v0, off, s[0:3], s32 offset:1796 ; 4-byte Folded Spill
	v_and_b32_e32 v0, 0xffff0000, v6
	buffer_store_dword v0, off, s[0:3], s32 offset:1800 ; 4-byte Folded Spill
	v_lshlrev_b32_e32 v0, 16, v7
	buffer_store_dword v0, off, s[0:3], s32 offset:1804 ; 4-byte Folded Spill
	v_and_b32_e32 v0, 0xffff0000, v7
	buffer_store_dword v0, off, s[0:3], s32 offset:1808 ; 4-byte Folded Spill
	ds_read_b128 v[0:3], v19 offset:256
	ds_read_b128 v[4:7], v19 offset:272
	s_waitcnt lgkmcnt(1)
	v_lshlrev_b32_e32 v10, 16, v0
	v_and_b32_e32 v0, 0xffff0000, v0
	buffer_store_dword v10, off, s[0:3], s32 offset:1812 ; 4-byte Folded Spill
	buffer_store_dword v0, off, s[0:3], s32 offset:1816 ; 4-byte Folded Spill
	v_lshlrev_b32_e32 v0, 16, v1
	buffer_store_dword v0, off, s[0:3], s32 offset:1820 ; 4-byte Folded Spill
	v_and_b32_e32 v0, 0xffff0000, v1
	buffer_store_dword v0, off, s[0:3], s32 offset:1824 ; 4-byte Folded Spill
	v_lshlrev_b32_e32 v0, 16, v2
	buffer_store_dword v0, off, s[0:3], s32 offset:1828 ; 4-byte Folded Spill
	v_and_b32_e32 v0, 0xffff0000, v2
	buffer_store_dword v0, off, s[0:3], s32 offset:1832 ; 4-byte Folded Spill
	v_lshlrev_b32_e32 v0, 16, v3
	buffer_store_dword v0, off, s[0:3], s32 offset:1836 ; 4-byte Folded Spill
	v_and_b32_e32 v0, 0xffff0000, v3
	buffer_store_dword v0, off, s[0:3], s32 offset:1840 ; 4-byte Folded Spill
	s_waitcnt lgkmcnt(0)
	v_lshlrev_b32_e32 v0, 16, v4
	buffer_store_dword v0, off, s[0:3], s32 offset:1844 ; 4-byte Folded Spill
	v_and_b32_e32 v0, 0xffff0000, v4
	buffer_store_dword v0, off, s[0:3], s32 offset:1848 ; 4-byte Folded Spill
	v_lshlrev_b32_e32 v0, 16, v5
	buffer_store_dword v0, off, s[0:3], s32 offset:1852 ; 4-byte Folded Spill
	v_and_b32_e32 v0, 0xffff0000, v5
	buffer_store_dword v0, off, s[0:3], s32 offset:1856 ; 4-byte Folded Spill
	v_lshlrev_b32_e32 v0, 16, v6
	buffer_store_dword v0, off, s[0:3], s32 offset:1860 ; 4-byte Folded Spill
	v_and_b32_e32 v0, 0xffff0000, v6
	buffer_store_dword v0, off, s[0:3], s32 offset:1864 ; 4-byte Folded Spill
	v_lshlrev_b32_e32 v0, 16, v7
	buffer_store_dword v0, off, s[0:3], s32 offset:1868 ; 4-byte Folded Spill
	v_and_b32_e32 v0, 0xffff0000, v7
	buffer_store_dword v0, off, s[0:3], s32 offset:1872 ; 4-byte Folded Spill
	ds_read_b128 v[0:3], v19 offset:288
	ds_read_b128 v[4:7], v19 offset:304
	s_waitcnt lgkmcnt(1)
	v_lshlrev_b32_e32 v10, 16, v0
	v_and_b32_e32 v0, 0xffff0000, v0
	buffer_store_dword v10, off, s[0:3], s32 offset:1876 ; 4-byte Folded Spill
	buffer_store_dword v0, off, s[0:3], s32 offset:1880 ; 4-byte Folded Spill
	v_lshlrev_b32_e32 v0, 16, v1
	buffer_store_dword v0, off, s[0:3], s32 offset:1884 ; 4-byte Folded Spill
	v_and_b32_e32 v0, 0xffff0000, v1
	buffer_store_dword v0, off, s[0:3], s32 offset:1888 ; 4-byte Folded Spill
	v_lshlrev_b32_e32 v0, 16, v2
	buffer_store_dword v0, off, s[0:3], s32 offset:1892 ; 4-byte Folded Spill
	v_and_b32_e32 v0, 0xffff0000, v2
	buffer_store_dword v0, off, s[0:3], s32 offset:1896 ; 4-byte Folded Spill
	v_lshlrev_b32_e32 v0, 16, v3
	buffer_store_dword v0, off, s[0:3], s32 offset:1900 ; 4-byte Folded Spill
	v_and_b32_e32 v0, 0xffff0000, v3
	buffer_store_dword v0, off, s[0:3], s32 offset:1904 ; 4-byte Folded Spill
	s_waitcnt lgkmcnt(0)
	v_lshlrev_b32_e32 v0, 16, v4
	buffer_store_dword v0, off, s[0:3], s32 offset:1908 ; 4-byte Folded Spill
	v_and_b32_e32 v0, 0xffff0000, v4
	buffer_store_dword v0, off, s[0:3], s32 offset:1912 ; 4-byte Folded Spill
	v_lshlrev_b32_e32 v0, 16, v5
	buffer_store_dword v0, off, s[0:3], s32 offset:1916 ; 4-byte Folded Spill
	v_and_b32_e32 v0, 0xffff0000, v5
	buffer_store_dword v0, off, s[0:3], s32 offset:1920 ; 4-byte Folded Spill
	v_lshlrev_b32_e32 v0, 16, v6
	buffer_store_dword v0, off, s[0:3], s32 offset:1924 ; 4-byte Folded Spill
	v_and_b32_e32 v0, 0xffff0000, v6
	buffer_store_dword v0, off, s[0:3], s32 offset:1928 ; 4-byte Folded Spill
	v_lshlrev_b32_e32 v0, 16, v7
	buffer_store_dword v0, off, s[0:3], s32 offset:1932 ; 4-byte Folded Spill
	v_and_b32_e32 v0, 0xffff0000, v7
	buffer_store_dword v0, off, s[0:3], s32 offset:1936 ; 4-byte Folded Spill
	ds_read_b128 v[0:3], v19 offset:320
	ds_read_b128 v[4:7], v19 offset:336
	s_waitcnt lgkmcnt(1)
	v_lshlrev_b32_e32 v10, 16, v0
	v_and_b32_e32 v0, 0xffff0000, v0
	buffer_store_dword v10, off, s[0:3], s32 offset:1940 ; 4-byte Folded Spill
	buffer_store_dword v0, off, s[0:3], s32 offset:1944 ; 4-byte Folded Spill
	v_lshlrev_b32_e32 v0, 16, v1
	buffer_store_dword v0, off, s[0:3], s32 offset:1948 ; 4-byte Folded Spill
	v_and_b32_e32 v0, 0xffff0000, v1
	buffer_store_dword v0, off, s[0:3], s32 offset:1952 ; 4-byte Folded Spill
	v_lshlrev_b32_e32 v0, 16, v2
	buffer_store_dword v0, off, s[0:3], s32 offset:1956 ; 4-byte Folded Spill
	v_and_b32_e32 v0, 0xffff0000, v2
	buffer_store_dword v0, off, s[0:3], s32 offset:1960 ; 4-byte Folded Spill
	v_lshlrev_b32_e32 v0, 16, v3
	buffer_store_dword v0, off, s[0:3], s32 offset:1964 ; 4-byte Folded Spill
	v_and_b32_e32 v0, 0xffff0000, v3
	buffer_store_dword v0, off, s[0:3], s32 offset:1968 ; 4-byte Folded Spill
	s_waitcnt lgkmcnt(0)
	v_lshlrev_b32_e32 v0, 16, v4
	buffer_store_dword v0, off, s[0:3], s32 offset:1972 ; 4-byte Folded Spill
	v_and_b32_e32 v0, 0xffff0000, v4
	buffer_store_dword v0, off, s[0:3], s32 offset:1976 ; 4-byte Folded Spill
	v_lshlrev_b32_e32 v0, 16, v5
	buffer_store_dword v0, off, s[0:3], s32 offset:1980 ; 4-byte Folded Spill
	v_and_b32_e32 v0, 0xffff0000, v5
	buffer_store_dword v0, off, s[0:3], s32 offset:1984 ; 4-byte Folded Spill
	v_lshlrev_b32_e32 v0, 16, v6
	buffer_store_dword v0, off, s[0:3], s32 offset:1988 ; 4-byte Folded Spill
	v_and_b32_e32 v0, 0xffff0000, v6
	buffer_store_dword v0, off, s[0:3], s32 offset:1992 ; 4-byte Folded Spill
	v_lshlrev_b32_e32 v0, 16, v7
	buffer_store_dword v0, off, s[0:3], s32 offset:1996 ; 4-byte Folded Spill
	v_and_b32_e32 v0, 0xffff0000, v7
	buffer_store_dword v0, off, s[0:3], s32 offset:2000 ; 4-byte Folded Spill
	ds_read_b128 v[0:3], v19 offset:352
	ds_read_b128 v[4:7], v19 offset:368
	s_waitcnt lgkmcnt(1)
	v_lshlrev_b32_e32 v10, 16, v0
	v_and_b32_e32 v0, 0xffff0000, v0
	buffer_store_dword v10, off, s[0:3], s32 offset:2004 ; 4-byte Folded Spill
	buffer_store_dword v0, off, s[0:3], s32 offset:2008 ; 4-byte Folded Spill
	v_lshlrev_b32_e32 v0, 16, v1
	buffer_store_dword v0, off, s[0:3], s32 offset:2012 ; 4-byte Folded Spill
	v_and_b32_e32 v0, 0xffff0000, v1
	buffer_store_dword v0, off, s[0:3], s32 offset:2016 ; 4-byte Folded Spill
	v_lshlrev_b32_e32 v0, 16, v2
	buffer_store_dword v0, off, s[0:3], s32 offset:2020 ; 4-byte Folded Spill
	v_and_b32_e32 v0, 0xffff0000, v2
	buffer_store_dword v0, off, s[0:3], s32 offset:2024 ; 4-byte Folded Spill
	v_lshlrev_b32_e32 v0, 16, v3
	buffer_store_dword v0, off, s[0:3], s32 offset:2028 ; 4-byte Folded Spill
	v_and_b32_e32 v0, 0xffff0000, v3
	buffer_store_dword v0, off, s[0:3], s32 offset:2032 ; 4-byte Folded Spill
	s_waitcnt lgkmcnt(0)
	v_lshlrev_b32_e32 v0, 16, v4
	buffer_store_dword v0, off, s[0:3], s32 offset:2036 ; 4-byte Folded Spill
	v_and_b32_e32 v0, 0xffff0000, v4
	buffer_store_dword v0, off, s[0:3], s32 offset:2040 ; 4-byte Folded Spill
	v_lshlrev_b32_e32 v0, 16, v5
	buffer_store_dword v0, off, s[0:3], s32 offset:2044 ; 4-byte Folded Spill
	v_and_b32_e32 v0, 0xffff0000, v5
	buffer_store_dword v0, off, s[0:3], s32 offset:2048 ; 4-byte Folded Spill
	v_lshlrev_b32_e32 v0, 16, v6
	buffer_store_dword v0, off, s[0:3], s32 offset:2052 ; 4-byte Folded Spill
	v_and_b32_e32 v0, 0xffff0000, v6
	buffer_store_dword v0, off, s[0:3], s32 offset:2056 ; 4-byte Folded Spill
	v_lshlrev_b32_e32 v0, 16, v7
	buffer_store_dword v0, off, s[0:3], s32 offset:2060 ; 4-byte Folded Spill
	v_and_b32_e32 v0, 0xffff0000, v7
	buffer_store_dword v0, off, s[0:3], s32 offset:2064 ; 4-byte Folded Spill
	ds_read_b128 v[0:3], v19 offset:384
	ds_read_b128 v[4:7], v19 offset:400
	s_waitcnt lgkmcnt(1)
	v_lshlrev_b32_e32 v10, 16, v0
	v_and_b32_e32 v0, 0xffff0000, v0
	buffer_store_dword v10, off, s[0:3], s32 offset:2068 ; 4-byte Folded Spill
	buffer_store_dword v0, off, s[0:3], s32 offset:2072 ; 4-byte Folded Spill
	v_lshlrev_b32_e32 v0, 16, v1
	buffer_store_dword v0, off, s[0:3], s32 offset:2076 ; 4-byte Folded Spill
	v_and_b32_e32 v0, 0xffff0000, v1
	buffer_store_dword v0, off, s[0:3], s32 offset:2080 ; 4-byte Folded Spill
	v_lshlrev_b32_e32 v0, 16, v2
	buffer_store_dword v0, off, s[0:3], s32 offset:2084 ; 4-byte Folded Spill
	v_and_b32_e32 v0, 0xffff0000, v2
	buffer_store_dword v0, off, s[0:3], s32 offset:2088 ; 4-byte Folded Spill
	v_lshlrev_b32_e32 v0, 16, v3
	buffer_store_dword v0, off, s[0:3], s32 offset:2092 ; 4-byte Folded Spill
	v_and_b32_e32 v0, 0xffff0000, v3
	buffer_store_dword v0, off, s[0:3], s32 offset:2096 ; 4-byte Folded Spill
	s_waitcnt lgkmcnt(0)
	v_lshlrev_b32_e32 v0, 16, v4
	buffer_store_dword v0, off, s[0:3], s32 offset:2100 ; 4-byte Folded Spill
	v_and_b32_e32 v0, 0xffff0000, v4
	buffer_store_dword v0, off, s[0:3], s32 offset:2104 ; 4-byte Folded Spill
	v_lshlrev_b32_e32 v0, 16, v5
	buffer_store_dword v0, off, s[0:3], s32 offset:2108 ; 4-byte Folded Spill
	v_and_b32_e32 v0, 0xffff0000, v5
	buffer_store_dword v0, off, s[0:3], s32 offset:2112 ; 4-byte Folded Spill
	v_lshlrev_b32_e32 v0, 16, v6
	buffer_store_dword v0, off, s[0:3], s32 offset:2116 ; 4-byte Folded Spill
	v_and_b32_e32 v0, 0xffff0000, v6
	buffer_store_dword v0, off, s[0:3], s32 offset:2120 ; 4-byte Folded Spill
	v_lshlrev_b32_e32 v0, 16, v7
	buffer_store_dword v0, off, s[0:3], s32 offset:2124 ; 4-byte Folded Spill
	v_and_b32_e32 v0, 0xffff0000, v7
	buffer_store_dword v0, off, s[0:3], s32 offset:2128 ; 4-byte Folded Spill
	ds_read_b128 v[0:3], v19 offset:416
	ds_read_b128 v[4:7], v19 offset:432
	s_waitcnt lgkmcnt(1)
	v_lshlrev_b32_e32 v10, 16, v0
	v_and_b32_e32 v0, 0xffff0000, v0
	buffer_store_dword v10, off, s[0:3], s32 offset:2132 ; 4-byte Folded Spill
	buffer_store_dword v0, off, s[0:3], s32 offset:2136 ; 4-byte Folded Spill
	v_lshlrev_b32_e32 v0, 16, v1
	buffer_store_dword v0, off, s[0:3], s32 offset:2140 ; 4-byte Folded Spill
	v_and_b32_e32 v0, 0xffff0000, v1
	buffer_store_dword v0, off, s[0:3], s32 offset:2144 ; 4-byte Folded Spill
	v_lshlrev_b32_e32 v0, 16, v2
	buffer_store_dword v0, off, s[0:3], s32 offset:2148 ; 4-byte Folded Spill
	v_and_b32_e32 v0, 0xffff0000, v2
	buffer_store_dword v0, off, s[0:3], s32 offset:2152 ; 4-byte Folded Spill
	v_lshlrev_b32_e32 v0, 16, v3
	buffer_store_dword v0, off, s[0:3], s32 offset:2156 ; 4-byte Folded Spill
	v_and_b32_e32 v0, 0xffff0000, v3
	buffer_store_dword v0, off, s[0:3], s32 offset:2160 ; 4-byte Folded Spill
	s_waitcnt lgkmcnt(0)
	v_lshlrev_b32_e32 v0, 16, v4
	buffer_store_dword v0, off, s[0:3], s32 offset:2164 ; 4-byte Folded Spill
	v_and_b32_e32 v0, 0xffff0000, v4
	buffer_store_dword v0, off, s[0:3], s32 offset:2168 ; 4-byte Folded Spill
	v_lshlrev_b32_e32 v0, 16, v5
	buffer_store_dword v0, off, s[0:3], s32 offset:2172 ; 4-byte Folded Spill
	v_and_b32_e32 v0, 0xffff0000, v5
	buffer_store_dword v0, off, s[0:3], s32 offset:2176 ; 4-byte Folded Spill
	v_lshlrev_b32_e32 v0, 16, v6
	buffer_store_dword v0, off, s[0:3], s32 offset:2180 ; 4-byte Folded Spill
	v_and_b32_e32 v0, 0xffff0000, v6
	buffer_store_dword v0, off, s[0:3], s32 offset:2184 ; 4-byte Folded Spill
	v_lshlrev_b32_e32 v0, 16, v7
	buffer_store_dword v0, off, s[0:3], s32 offset:2188 ; 4-byte Folded Spill
	v_and_b32_e32 v0, 0xffff0000, v7
	buffer_store_dword v0, off, s[0:3], s32 offset:2192 ; 4-byte Folded Spill
	ds_read_b128 v[0:3], v19 offset:448
	ds_read_b128 v[4:7], v19 offset:464
	s_waitcnt lgkmcnt(1)
	v_lshlrev_b32_e32 v10, 16, v0
	v_and_b32_e32 v0, 0xffff0000, v0
	buffer_store_dword v10, off, s[0:3], s32 offset:2196 ; 4-byte Folded Spill
	buffer_store_dword v0, off, s[0:3], s32 offset:2200 ; 4-byte Folded Spill
	v_lshlrev_b32_e32 v0, 16, v1
	buffer_store_dword v0, off, s[0:3], s32 offset:2204 ; 4-byte Folded Spill
	v_and_b32_e32 v0, 0xffff0000, v1
	buffer_store_dword v0, off, s[0:3], s32 offset:2208 ; 4-byte Folded Spill
	v_lshlrev_b32_e32 v0, 16, v2
	buffer_store_dword v0, off, s[0:3], s32 offset:2212 ; 4-byte Folded Spill
	v_and_b32_e32 v0, 0xffff0000, v2
	buffer_store_dword v0, off, s[0:3], s32 offset:2216 ; 4-byte Folded Spill
	v_lshlrev_b32_e32 v0, 16, v3
	buffer_store_dword v0, off, s[0:3], s32 offset:2220 ; 4-byte Folded Spill
	v_and_b32_e32 v0, 0xffff0000, v3
	buffer_store_dword v0, off, s[0:3], s32 offset:2224 ; 4-byte Folded Spill
	s_waitcnt lgkmcnt(0)
	v_lshlrev_b32_e32 v0, 16, v4
	buffer_store_dword v0, off, s[0:3], s32 offset:2228 ; 4-byte Folded Spill
	v_and_b32_e32 v0, 0xffff0000, v4
	buffer_store_dword v0, off, s[0:3], s32 offset:2232 ; 4-byte Folded Spill
	v_lshlrev_b32_e32 v0, 16, v5
	buffer_store_dword v0, off, s[0:3], s32 offset:2236 ; 4-byte Folded Spill
	v_and_b32_e32 v0, 0xffff0000, v5
	buffer_store_dword v0, off, s[0:3], s32 offset:2240 ; 4-byte Folded Spill
	v_lshlrev_b32_e32 v0, 16, v6
	buffer_store_dword v0, off, s[0:3], s32 offset:2244 ; 4-byte Folded Spill
	v_and_b32_e32 v0, 0xffff0000, v6
	buffer_store_dword v0, off, s[0:3], s32 offset:2248 ; 4-byte Folded Spill
	v_lshlrev_b32_e32 v0, 16, v7
	buffer_store_dword v0, off, s[0:3], s32 offset:2252 ; 4-byte Folded Spill
	v_and_b32_e32 v0, 0xffff0000, v7
	buffer_store_dword v0, off, s[0:3], s32 offset:2256 ; 4-byte Folded Spill
	ds_read_b128 v[0:3], v19 offset:480
	ds_read_b128 v[4:7], v19 offset:496
	s_waitcnt lgkmcnt(1)
	v_lshlrev_b32_e32 v10, 16, v0
	v_and_b32_e32 v0, 0xffff0000, v0
	buffer_store_dword v10, off, s[0:3], s32 offset:2260 ; 4-byte Folded Spill
	buffer_store_dword v0, off, s[0:3], s32 offset:2264 ; 4-byte Folded Spill
	v_lshlrev_b32_e32 v0, 16, v1
	buffer_store_dword v0, off, s[0:3], s32 offset:2268 ; 4-byte Folded Spill
	v_and_b32_e32 v0, 0xffff0000, v1
	buffer_store_dword v0, off, s[0:3], s32 offset:2272 ; 4-byte Folded Spill
	v_lshlrev_b32_e32 v0, 16, v2
	buffer_store_dword v0, off, s[0:3], s32 offset:2276 ; 4-byte Folded Spill
	v_and_b32_e32 v0, 0xffff0000, v2
	s_waitcnt lgkmcnt(0)
	v_lshlrev_b32_e32 v2, 16, v4
	buffer_store_dword v0, off, s[0:3], s32 offset:2280 ; 4-byte Folded Spill
	v_lshlrev_b32_e32 v0, 16, v3
	buffer_store_dword v0, off, s[0:3], s32 offset:2284 ; 4-byte Folded Spill
	v_and_b32_e32 v0, 0xffff0000, v3
	buffer_store_dword v0, off, s[0:3], s32 offset:2288 ; 4-byte Folded Spill
	buffer_store_dword v34, off, s[0:3], s32 offset:2388 ; 4-byte Folded Spill
	;; [unrolled: 1-line block ×3, first 2 shown]
	v_and_b32_e32 v2, 0xffff0000, v4
	buffer_load_dword v4, off, s[0:3], s32 offset:1268 ; 4-byte Folded Reload
	v_add_co_u32 v0, vcc_lo, v8, v34
	v_add_co_ci_u32_e64 v1, null, v9, v35, vcc_lo
	buffer_store_dword v2, off, s[0:3], s32 offset:2296 ; 4-byte Folded Spill
	v_lshlrev_b32_e32 v2, 16, v5
	buffer_store_dword v35, off, s[0:3], s32 offset:2392 ; 4-byte Folded Spill
	v_max_i32_e32 v3, v30, v38
	buffer_store_dword v2, off, s[0:3], s32 offset:2300 ; 4-byte Folded Spill
	v_and_b32_e32 v2, 0xffff0000, v5
	buffer_store_dword v2, off, s[0:3], s32 offset:2304 ; 4-byte Folded Spill
	v_lshlrev_b32_e32 v2, 16, v6
	buffer_store_dword v2, off, s[0:3], s32 offset:2308 ; 4-byte Folded Spill
	v_and_b32_e32 v2, 0xffff0000, v6
	buffer_store_dword v2, off, s[0:3], s32 offset:2312 ; 4-byte Folded Spill
	v_lshlrev_b32_e32 v2, 16, v7
	buffer_store_dword v2, off, s[0:3], s32 offset:2316 ; 4-byte Folded Spill
	v_and_b32_e32 v2, 0xffff0000, v7
	v_mov_b32_e32 v7, 0xff7fffff
	buffer_store_dword v2, off, s[0:3], s32 offset:2320 ; 4-byte Folded Spill
	s_waitcnt vmcnt(0)
	v_lshlrev_b32_e32 v2, 4, v4
	v_add_co_u32 v0, vcc_lo, v0, v2
	v_add_co_ci_u32_e64 v1, null, 0, v1, vcc_lo
	buffer_store_dword v0, off, s[0:3], s32 offset:2324 ; 4-byte Folded Spill
	buffer_store_dword v1, off, s[0:3], s32 offset:2328 ; 4-byte Folded Spill
	;; [unrolled: 1-line block ×4, first 2 shown]
	s_clause 0x1
	buffer_load_dword v0, off, s[0:3], s32 offset:200
	buffer_load_dword v1, off, s[0:3], s32 offset:204
	v_sub_nc_u32_e32 v2, 0, v3
	s_waitcnt vmcnt(1)
	v_mov_b32_e32 v5, v0
	v_ashrrev_i32_e32 v6, 31, v5
	s_waitcnt vmcnt(0)
	v_lshlrev_b64 v[0:1], 2, v[5:6]
	v_add_co_u32 v0, vcc_lo, v36, v0
	buffer_store_dword v36, off, s[0:3], s32 offset:2396 ; 4-byte Folded Spill
	buffer_store_dword v37, off, s[0:3], s32 offset:2400 ; 4-byte Folded Spill
	;; [unrolled: 1-line block ×3, first 2 shown]
	v_cvt_f32_u32_e32 v3, v3
	v_rcp_iflag_f32_e32 v3, v3
	v_mul_f32_e32 v3, 0x4f7ffffe, v3
	v_cvt_u32_f32_e32 v3, v3
	v_mul_lo_u32 v2, v2, v3
	v_mul_hi_u32 v2, v3, v2
	v_add_nc_u32_e32 v2, v3, v2
	buffer_store_dword v2, off, s[0:3], s32 offset:804 ; 4-byte Folded Spill
	buffer_store_dword v14, off, s[0:3], s32 offset:2364 ; 4-byte Folded Spill
	;; [unrolled: 1-line block ×3, first 2 shown]
	v_mov_b32_e32 v2, v5
	v_add_co_ci_u32_e64 v1, null, v37, v1, vcc_lo
	v_add_co_u32 v0, vcc_lo, v14, v0
	v_add_co_ci_u32_e64 v1, null, v15, v1, vcc_lo
	buffer_store_dword v0, off, s[0:3], s32 offset:208 ; 4-byte Folded Spill
	buffer_store_dword v1, off, s[0:3], s32 offset:212 ; 4-byte Folded Spill
	buffer_load_dword v0, off, s[0:3], s32 offset:1296 ; 4-byte Folded Reload
	s_load_dword s24, s[8:9], 0x0
	buffer_store_dword v16, off, s[0:3], s32 offset:2408 ; 4-byte Folded Spill
	s_waitcnt vmcnt(0)
	v_cmp_neq_f32_e32 vcc_lo, 0, v0
	v_sub_nc_u32_e32 v0, v4, v48
	v_add_nc_u32_e32 v0, 1, v0
	buffer_store_dword v0, off, s[0:3], s32 offset:2332 ; 4-byte Folded Spill
	buffer_load_dword v0, off, s[0:3], s32 offset:2336 ; 4-byte Folded Reload
	s_waitcnt vmcnt(0)
	v_lshl_add_u32 v6, v0, 5, s22
	v_lshl_or_b32 v8, v0, 7, v16
	v_mov_b32_e32 v0, v5
	buffer_store_dword v0, off, s[0:3], s32 offset:200 ; 4-byte Folded Spill
	buffer_store_dword v1, off, s[0:3], s32 offset:204 ; 4-byte Folded Spill
	s_branch .LBB384_16
.LBB384_11:                             ;   in Loop: Header=BB384_16 Depth=1
	s_or_b32 exec_lo, exec_lo, s28
	v_mov_b32_e32 v4, 24
	v_lshl_add_u32 v28, v28, 23, 0x3c000000
	v_lshlrev_b32_sdwa v18, v4, v29 dst_sel:DWORD dst_unused:UNUSED_PAD src0_sel:DWORD src1_sel:BYTE_3
	v_lshlrev_b32_e32 v29, 20, v31
	v_and_b32_e32 v18, 0x80000000, v18
	v_or3_b32 v31, v29, v18, v28
.LBB384_12:                             ;   in Loop: Header=BB384_16 Depth=1
	s_or_b32 exec_lo, exec_lo, s27
.LBB384_13:                             ;   in Loop: Header=BB384_16 Depth=1
	s_or_b32 exec_lo, exec_lo, s26
.LBB384_14:                             ;   in Loop: Header=BB384_16 Depth=1
	s_or_b32 exec_lo, exec_lo, s25
	v_mul_f32_e32 v18, v59, v79
	v_mul_f32_e32 v17, v59, v17
	;; [unrolled: 1-line block ×5, first 2 shown]
	v_bfe_u32 v28, v18, 16, 1
	v_or_b32_e32 v29, 0x400000, v18
	v_cmp_u_f32_e64 s5, v18, v18
	v_mul_f32_e32 v8, v59, v8
	v_mul_f32_e32 v6, v59, v6
	v_add3_u32 v28, v28, v18, 0x7fff
	v_mul_f32_e32 v18, v59, v42
	v_mul_f32_e32 v5, v59, v5
	;; [unrolled: 1-line block ×4, first 2 shown]
	v_cndmask_b32_e64 v4, v28, v29, s5
	v_bfe_u32 v28, v18, 16, 1
	v_or_b32_e32 v29, 0x400000, v18
	v_cmp_u_f32_e64 s5, v18, v18
	v_mul_f32_e32 v23, v59, v23
	buffer_store_dword v4, off, s[0:3], s32 offset:828 ; 4-byte Folded Spill
	v_add3_u32 v28, v28, v18, 0x7fff
	v_mul_f32_e32 v18, v59, v83
	v_mul_f32_e32 v22, v59, v22
	v_cndmask_b32_e64 v4, v28, v29, s5
	v_bfe_u32 v28, v18, 16, 1
	v_or_b32_e32 v29, 0x400000, v18
	v_cmp_u_f32_e64 s5, v18, v18
	buffer_store_dword v4, off, s[0:3], s32 offset:832 ; 4-byte Folded Spill
	v_add3_u32 v28, v28, v18, 0x7fff
	v_mul_f32_e32 v18, v59, v67
	v_cndmask_b32_e64 v4, v28, v29, s5
	v_bfe_u32 v28, v18, 16, 1
	v_or_b32_e32 v29, 0x400000, v18
	v_cmp_u_f32_e64 s5, v18, v18
	buffer_store_dword v4, off, s[0:3], s32 offset:836 ; 4-byte Folded Spill
	v_add3_u32 v28, v28, v18, 0x7fff
	;; [unrolled: 7-line block ×6, first 2 shown]
	v_bfe_u32 v18, v17, 16, 1
	v_cndmask_b32_e64 v4, v28, v29, s5
	v_add3_u32 v18, v18, v17, 0x7fff
	v_or_b32_e32 v28, 0x400000, v17
	v_cmp_u_f32_e64 s5, v17, v17
	v_bfe_u32 v17, v11, 16, 1
	buffer_store_dword v4, off, s[0:3], s32 offset:852 ; 4-byte Folded Spill
	v_cndmask_b32_e64 v4, v18, v28, s5
	v_add3_u32 v17, v17, v11, 0x7fff
	v_or_b32_e32 v18, 0x400000, v11
	v_cmp_u_f32_e64 s5, v11, v11
	v_mul_f32_e32 v11, v59, v71
	buffer_store_dword v4, off, s[0:3], s32 offset:860 ; 4-byte Folded Spill
	v_cndmask_b32_e64 v4, v17, v18, s5
	v_bfe_u32 v17, v11, 16, 1
	v_or_b32_e32 v18, 0x400000, v11
	v_cmp_u_f32_e64 s5, v11, v11
	buffer_store_dword v4, off, s[0:3], s32 offset:864 ; 4-byte Folded Spill
	v_add3_u32 v17, v17, v11, 0x7fff
	v_mul_f32_e32 v11, v59, v20
	v_cndmask_b32_e64 v4, v17, v18, s5
	v_bfe_u32 v17, v11, 16, 1
	v_or_b32_e32 v18, 0x400000, v11
	v_cmp_u_f32_e64 s5, v11, v11
	buffer_store_dword v4, off, s[0:3], s32 offset:872 ; 4-byte Folded Spill
	v_add3_u32 v17, v17, v11, 0x7fff
	v_mul_f32_e32 v11, v59, v77
	v_cndmask_b32_e64 v4, v17, v18, s5
	v_bfe_u32 v17, v11, 16, 1
	v_or_b32_e32 v18, 0x400000, v11
	v_cmp_u_f32_e64 s5, v11, v11
	buffer_store_dword v4, off, s[0:3], s32 offset:876 ; 4-byte Folded Spill
	v_add3_u32 v17, v17, v11, 0x7fff
	v_mul_f32_e32 v11, v59, v45
	v_cndmask_b32_e64 v4, v17, v18, s5
	v_bfe_u32 v17, v11, 16, 1
	v_or_b32_e32 v18, 0x400000, v11
	v_cmp_u_f32_e64 s5, v11, v11
	buffer_store_dword v4, off, s[0:3], s32 offset:884 ; 4-byte Folded Spill
	v_add3_u32 v17, v17, v11, 0x7fff
	v_mul_f32_e32 v11, v59, v56
	v_cndmask_b32_e64 v4, v17, v18, s5
	v_bfe_u32 v17, v11, 16, 1
	v_or_b32_e32 v18, 0x400000, v11
	v_cmp_u_f32_e64 s5, v11, v11
	buffer_store_dword v4, off, s[0:3], s32 offset:892 ; 4-byte Folded Spill
	v_add3_u32 v17, v17, v11, 0x7fff
	v_mul_f32_e32 v11, v59, v46
	v_cndmask_b32_e64 v4, v17, v18, s5
	v_bfe_u32 v17, v11, 16, 1
	v_or_b32_e32 v18, 0x400000, v11
	v_cmp_u_f32_e64 s5, v11, v11
	buffer_store_dword v4, off, s[0:3], s32 offset:880 ; 4-byte Folded Spill
	v_add3_u32 v17, v17, v11, 0x7fff
	v_mul_f32_e32 v11, v59, v111
	v_cndmask_b32_e64 v4, v17, v18, s5
	v_bfe_u32 v17, v11, 16, 1
	v_or_b32_e32 v18, 0x400000, v11
	v_cmp_u_f32_e64 s5, v11, v11
	buffer_store_dword v4, off, s[0:3], s32 offset:888 ; 4-byte Folded Spill
	v_add3_u32 v17, v17, v11, 0x7fff
	v_mul_f32_e32 v11, v59, v58
	v_cndmask_b32_e64 v4, v17, v18, s5
	v_bfe_u32 v17, v11, 16, 1
	v_or_b32_e32 v18, 0x400000, v11
	v_cmp_u_f32_e64 s5, v11, v11
	buffer_store_dword v4, off, s[0:3], s32 offset:896 ; 4-byte Folded Spill
	v_add3_u32 v17, v17, v11, 0x7fff
	v_mul_f32_e32 v11, v59, v40
	v_cndmask_b32_e64 v4, v17, v18, s5
	v_bfe_u32 v17, v11, 16, 1
	v_or_b32_e32 v18, 0x400000, v11
	v_cmp_u_f32_e64 s5, v11, v11
	buffer_store_dword v4, off, s[0:3], s32 offset:900 ; 4-byte Folded Spill
	v_add3_u32 v17, v17, v11, 0x7fff
	v_bfe_u32 v11, v10, 16, 1
	v_cndmask_b32_e64 v4, v17, v18, s5
	v_add3_u32 v11, v11, v10, 0x7fff
	v_or_b32_e32 v17, 0x400000, v10
	v_cmp_u_f32_e64 s5, v10, v10
	v_mul_f32_e32 v10, v59, v30
	buffer_store_dword v4, off, s[0:3], s32 offset:904 ; 4-byte Folded Spill
	v_cndmask_b32_e64 v4, v11, v17, s5
	v_bfe_u32 v11, v10, 16, 1
	v_or_b32_e32 v17, 0x400000, v10
	v_cmp_u_f32_e64 s5, v10, v10
	buffer_store_dword v4, off, s[0:3], s32 offset:908 ; 4-byte Folded Spill
	v_add3_u32 v11, v11, v10, 0x7fff
	v_mul_f32_e32 v10, v59, v51
	v_cndmask_b32_e64 v4, v11, v17, s5
	v_bfe_u32 v11, v10, 16, 1
	v_or_b32_e32 v17, 0x400000, v10
	v_cmp_u_f32_e64 s5, v10, v10
	buffer_store_dword v4, off, s[0:3], s32 offset:916 ; 4-byte Folded Spill
	v_add3_u32 v11, v11, v10, 0x7fff
	v_mul_f32_e32 v10, v59, v120
	v_cndmask_b32_e64 v4, v11, v17, s5
	v_bfe_u32 v11, v10, 16, 1
	v_or_b32_e32 v17, 0x400000, v10
	v_cmp_u_f32_e64 s5, v10, v10
	buffer_store_dword v4, off, s[0:3], s32 offset:924 ; 4-byte Folded Spill
	v_add3_u32 v11, v11, v10, 0x7fff
	v_mul_f32_e32 v10, v59, v73
	v_cndmask_b32_e64 v4, v11, v17, s5
	v_bfe_u32 v11, v10, 16, 1
	v_or_b32_e32 v17, 0x400000, v10
	v_cmp_u_f32_e64 s5, v10, v10
	buffer_store_dword v4, off, s[0:3], s32 offset:912 ; 4-byte Folded Spill
	v_add3_u32 v11, v11, v10, 0x7fff
	v_mul_f32_e32 v10, v59, v82
	v_cndmask_b32_e64 v4, v11, v17, s5
	v_bfe_u32 v11, v10, 16, 1
	v_or_b32_e32 v17, 0x400000, v10
	v_cmp_u_f32_e64 s5, v10, v10
	buffer_store_dword v4, off, s[0:3], s32 offset:920 ; 4-byte Folded Spill
	v_add3_u32 v11, v11, v10, 0x7fff
	v_mul_f32_e32 v10, v59, v65
	v_cndmask_b32_e64 v4, v11, v17, s5
	v_bfe_u32 v11, v10, 16, 1
	v_or_b32_e32 v17, 0x400000, v10
	v_cmp_u_f32_e64 s5, v10, v10
	buffer_store_dword v4, off, s[0:3], s32 offset:928 ; 4-byte Folded Spill
	v_add3_u32 v11, v11, v10, 0x7fff
	v_mul_f32_e32 v10, v59, v64
	v_cndmask_b32_e64 v4, v11, v17, s5
	v_bfe_u32 v11, v10, 16, 1
	v_or_b32_e32 v17, 0x400000, v10
	v_cmp_u_f32_e64 s5, v10, v10
	buffer_store_dword v4, off, s[0:3], s32 offset:932 ; 4-byte Folded Spill
	v_add3_u32 v11, v11, v10, 0x7fff
	v_mul_f32_e32 v10, v59, v118
	v_cndmask_b32_e64 v4, v11, v17, s5
	v_bfe_u32 v11, v10, 16, 1
	v_or_b32_e32 v17, 0x400000, v10
	v_cmp_u_f32_e64 s5, v10, v10
	buffer_store_dword v4, off, s[0:3], s32 offset:936 ; 4-byte Folded Spill
	v_add3_u32 v11, v11, v10, 0x7fff
	v_mul_f32_e32 v10, v59, v94
	v_cndmask_b32_e64 v4, v11, v17, s5
	v_bfe_u32 v11, v10, 16, 1
	v_or_b32_e32 v17, 0x400000, v10
	v_cmp_u_f32_e64 s5, v10, v10
	buffer_store_dword v4, off, s[0:3], s32 offset:940 ; 4-byte Folded Spill
	v_add3_u32 v11, v11, v10, 0x7fff
	v_mul_f32_e32 v10, v59, v119
	v_cndmask_b32_e64 v4, v11, v17, s5
	v_bfe_u32 v11, v10, 16, 1
	v_or_b32_e32 v17, 0x400000, v10
	v_cmp_u_f32_e64 s5, v10, v10
	buffer_store_dword v4, off, s[0:3], s32 offset:948 ; 4-byte Folded Spill
	v_add3_u32 v11, v11, v10, 0x7fff
	v_mul_f32_e32 v10, v59, v12
	v_cndmask_b32_e64 v4, v11, v17, s5
	v_bfe_u32 v11, v10, 16, 1
	v_or_b32_e32 v12, 0x400000, v10
	v_cmp_u_f32_e64 s5, v10, v10
	buffer_store_dword v4, off, s[0:3], s32 offset:956 ; 4-byte Folded Spill
	v_add3_u32 v11, v11, v10, 0x7fff
	v_mul_f32_e32 v10, v59, v103
	v_cndmask_b32_e64 v4, v11, v12, s5
	v_bfe_u32 v11, v10, 16, 1
	v_or_b32_e32 v12, 0x400000, v10
	v_cmp_u_f32_e64 s5, v10, v10
	buffer_store_dword v4, off, s[0:3], s32 offset:944 ; 4-byte Folded Spill
	v_add3_u32 v11, v11, v10, 0x7fff
	v_mul_f32_e32 v10, v59, v110
	v_cndmask_b32_e64 v4, v11, v12, s5
	v_bfe_u32 v11, v10, 16, 1
	v_or_b32_e32 v12, 0x400000, v10
	v_cmp_u_f32_e64 s5, v10, v10
	buffer_store_dword v4, off, s[0:3], s32 offset:952 ; 4-byte Folded Spill
	v_add3_u32 v11, v11, v10, 0x7fff
	v_mul_f32_e32 v10, v59, v57
	v_cndmask_b32_e64 v4, v11, v12, s5
	v_bfe_u32 v11, v10, 16, 1
	v_or_b32_e32 v12, 0x400000, v10
	v_cmp_u_f32_e64 s5, v10, v10
	buffer_store_dword v4, off, s[0:3], s32 offset:960 ; 4-byte Folded Spill
	v_add3_u32 v11, v11, v10, 0x7fff
	v_mul_f32_e32 v10, v59, v121
	v_cndmask_b32_e64 v4, v11, v12, s5
	v_bfe_u32 v11, v10, 16, 1
	v_or_b32_e32 v12, 0x400000, v10
	v_cmp_u_f32_e64 s5, v10, v10
	buffer_store_dword v4, off, s[0:3], s32 offset:964 ; 4-byte Folded Spill
	v_add3_u32 v11, v11, v10, 0x7fff
	v_mul_f32_e32 v10, v59, v15
	v_cndmask_b32_e64 v4, v11, v12, s5
	v_bfe_u32 v11, v10, 16, 1
	v_or_b32_e32 v12, 0x400000, v10
	v_cmp_u_f32_e64 s5, v10, v10
	buffer_store_dword v4, off, s[0:3], s32 offset:968 ; 4-byte Folded Spill
	v_add3_u32 v11, v11, v10, 0x7fff
	v_mul_f32_e32 v10, v59, v63
	v_cndmask_b32_e64 v4, v11, v12, s5
	v_bfe_u32 v11, v10, 16, 1
	v_or_b32_e32 v12, 0x400000, v10
	v_cmp_u_f32_e64 s5, v10, v10
	buffer_store_dword v4, off, s[0:3], s32 offset:972 ; 4-byte Folded Spill
	v_add3_u32 v11, v11, v10, 0x7fff
	v_mul_f32_e32 v10, v59, v44
	v_cndmask_b32_e64 v4, v11, v12, s5
	v_bfe_u32 v11, v10, 16, 1
	v_or_b32_e32 v12, 0x400000, v10
	v_cmp_u_f32_e64 s5, v10, v10
	buffer_store_dword v4, off, s[0:3], s32 offset:980 ; 4-byte Folded Spill
	v_add3_u32 v11, v11, v10, 0x7fff
	v_bfe_u32 v10, v9, 16, 1
	v_cndmask_b32_e64 v4, v11, v12, s5
	v_add3_u32 v10, v10, v9, 0x7fff
	v_or_b32_e32 v11, 0x400000, v9
	v_cmp_u_f32_e64 s5, v9, v9
	v_mul_f32_e32 v9, v59, v61
	buffer_store_dword v4, off, s[0:3], s32 offset:988 ; 4-byte Folded Spill
	v_cndmask_b32_e64 v4, v10, v11, s5
	v_bfe_u32 v10, v9, 16, 1
	v_or_b32_e32 v11, 0x400000, v9
	v_cmp_u_f32_e64 s5, v9, v9
	buffer_store_dword v4, off, s[0:3], s32 offset:976 ; 4-byte Folded Spill
	v_add3_u32 v10, v10, v9, 0x7fff
	v_mul_f32_e32 v9, v59, v72
	v_cndmask_b32_e64 v4, v10, v11, s5
	v_bfe_u32 v10, v9, 16, 1
	v_or_b32_e32 v11, 0x400000, v9
	v_cmp_u_f32_e64 s5, v9, v9
	buffer_store_dword v4, off, s[0:3], s32 offset:984 ; 4-byte Folded Spill
	v_add3_u32 v10, v10, v9, 0x7fff
	v_mul_f32_e32 v9, v59, v74
	;; [unrolled: 7-line block ×7, first 2 shown]
	v_cndmask_b32_e64 v4, v10, v11, s5
	v_bfe_u32 v10, v9, 16, 1
	v_or_b32_e32 v11, 0x400000, v9
	v_cmp_u_f32_e64 s5, v9, v9
	buffer_store_dword v4, off, s[0:3], s32 offset:1024 ; 4-byte Folded Spill
	v_add3_u32 v10, v10, v9, 0x7fff
	v_bfe_u32 v9, v8, 16, 1
	v_cndmask_b32_e64 v4, v10, v11, s5
	v_add3_u32 v9, v9, v8, 0x7fff
	v_or_b32_e32 v10, 0x400000, v8
	v_cmp_u_f32_e64 s5, v8, v8
	v_mul_f32_e32 v8, v59, v62
	buffer_store_dword v4, off, s[0:3], s32 offset:1008 ; 4-byte Folded Spill
	v_cndmask_b32_e64 v4, v9, v10, s5
	v_bfe_u32 v9, v8, 16, 1
	v_or_b32_e32 v10, 0x400000, v8
	v_cmp_u_f32_e64 s5, v8, v8
	buffer_store_dword v4, off, s[0:3], s32 offset:1020 ; 4-byte Folded Spill
	v_add3_u32 v9, v9, v8, 0x7fff
	v_mul_f32_e32 v8, v59, v105
	v_cndmask_b32_e64 v4, v9, v10, s5
	v_bfe_u32 v9, v8, 16, 1
	v_or_b32_e32 v10, 0x400000, v8
	v_cmp_u_f32_e64 s5, v8, v8
	buffer_store_dword v4, off, s[0:3], s32 offset:1028 ; 4-byte Folded Spill
	v_add3_u32 v9, v9, v8, 0x7fff
	v_mul_f32_e32 v8, v59, v117
	;; [unrolled: 7-line block ×39, first 2 shown]
	v_cndmask_b32_e64 v4, v9, v10, s5
	v_bfe_u32 v9, v8, 16, 1
	v_or_b32_e32 v10, 0x400000, v8
	v_cmp_u_f32_e64 s5, v8, v8
	buffer_store_dword v4, off, s[0:3], s32 offset:1176 ; 4-byte Folded Spill
	v_add3_u32 v9, v9, v8, 0x7fff
	v_bfe_u32 v8, v6, 16, 1
	v_cndmask_b32_e64 v4, v9, v10, s5
	v_add3_u32 v8, v8, v6, 0x7fff
	v_or_b32_e32 v9, 0x400000, v6
	v_cmp_u_f32_e64 s5, v6, v6
	v_mul_f32_e32 v6, v59, v81
	buffer_store_dword v4, off, s[0:3], s32 offset:1184 ; 4-byte Folded Spill
	v_cndmask_b32_e64 v4, v8, v9, s5
	v_bfe_u32 v8, v6, 16, 1
	v_or_b32_e32 v9, 0x400000, v6
	v_cmp_u_f32_e64 s5, v6, v6
	buffer_store_dword v4, off, s[0:3], s32 offset:1192 ; 4-byte Folded Spill
	v_add3_u32 v8, v8, v6, 0x7fff
	v_mul_f32_e32 v6, v59, v92
	v_cndmask_b32_e64 v4, v8, v9, s5
	v_bfe_u32 v8, v6, 16, 1
	v_or_b32_e32 v9, 0x400000, v6
	v_cmp_u_f32_e64 s5, v6, v6
	buffer_store_dword v4, off, s[0:3], s32 offset:1196 ; 4-byte Folded Spill
	v_add3_u32 v8, v8, v6, 0x7fff
	v_mul_f32_e32 v6, v59, v50
	;; [unrolled: 7-line block ×4, first 2 shown]
	v_cndmask_b32_e64 v4, v8, v9, s5
	v_bfe_u32 v8, v6, 16, 1
	v_or_b32_e32 v9, 0x400000, v6
	v_cmp_u_f32_e64 s5, v6, v6
	buffer_store_dword v4, off, s[0:3], s32 offset:1212 ; 4-byte Folded Spill
	v_add3_u32 v8, v8, v6, 0x7fff
	v_bfe_u32 v6, v5, 16, 1
	v_cndmask_b32_e64 v4, v8, v9, s5
	v_add3_u32 v6, v6, v5, 0x7fff
	v_or_b32_e32 v8, 0x400000, v5
	v_cmp_u_f32_e64 s5, v5, v5
	v_mul_f32_e32 v5, v59, v43
	buffer_store_dword v4, off, s[0:3], s32 offset:1220 ; 4-byte Folded Spill
	v_cndmask_b32_e64 v4, v6, v8, s5
	v_bfe_u32 v6, v5, 16, 1
	v_or_b32_e32 v8, 0x400000, v5
	v_cmp_u_f32_e64 s5, v5, v5
	buffer_store_dword v4, off, s[0:3], s32 offset:1208 ; 4-byte Folded Spill
	v_add3_u32 v6, v6, v5, 0x7fff
	v_bfe_u32 v5, v3, 16, 1
	v_cndmask_b32_e64 v4, v6, v8, s5
	v_add3_u32 v5, v5, v3, 0x7fff
	v_or_b32_e32 v6, 0x400000, v3
	v_cmp_u_f32_e64 s5, v3, v3
	buffer_store_dword v4, off, s[0:3], s32 offset:1216 ; 4-byte Folded Spill
	buffer_load_dword v4, off, s[0:3], s32 offset:396 ; 4-byte Folded Reload
	v_cndmask_b32_e64 v3, v5, v6, s5
	buffer_store_dword v3, off, s[0:3], s32 offset:1224 ; 4-byte Folded Spill
	v_mul_f32_e32 v3, v59, v7
	v_bfe_u32 v5, v3, 16, 1
	v_or_b32_e32 v6, 0x400000, v3
	v_cmp_u_f32_e64 s5, v3, v3
	v_add3_u32 v5, v5, v3, 0x7fff
	v_cndmask_b32_e64 v3, v5, v6, s5
	v_or_b32_e32 v5, 0x400000, v0
	v_cmp_u_f32_e64 s5, v0, v0
	buffer_store_dword v3, off, s[0:3], s32 offset:1228 ; 4-byte Folded Spill
	v_bfe_u32 v3, v0, 16, 1
	v_add3_u32 v3, v3, v0, 0x7fff
	v_cndmask_b32_e64 v0, v3, v5, s5
	buffer_store_dword v0, off, s[0:3], s32 offset:1232 ; 4-byte Folded Spill
	v_mul_f32_e32 v0, v59, v2
	v_bfe_u32 v2, v0, 16, 1
	v_or_b32_e32 v3, 0x400000, v0
	v_cmp_u_f32_e64 s5, v0, v0
	v_add3_u32 v2, v2, v0, 0x7fff
	v_cndmask_b32_e64 v0, v2, v3, s5
	buffer_store_dword v0, off, s[0:3], s32 offset:1236 ; 4-byte Folded Spill
	v_mul_f32_e32 v0, v59, v1
	v_bfe_u32 v1, v0, 16, 1
	v_or_b32_e32 v2, 0x400000, v0
	v_cmp_u_f32_e64 s5, v0, v0
	;; [unrolled: 7-line block ×5, first 2 shown]
	v_add3_u32 v1, v1, v0, 0x7fff
	v_cndmask_b32_e64 v0, v1, v2, s5
	buffer_store_dword v0, off, s[0:3], s32 offset:1248 ; 4-byte Folded Spill
	buffer_load_dword v0, off, s[0:3], s32 offset:656 ; 4-byte Folded Reload
	s_waitcnt vmcnt(0)
	v_mul_f32_e32 v0, v59, v0
	v_bfe_u32 v1, v0, 16, 1
	v_or_b32_e32 v2, 0x400000, v0
	v_cmp_u_f32_e64 s5, v0, v0
	v_add3_u32 v1, v1, v0, 0x7fff
	v_cndmask_b32_e64 v0, v1, v2, s5
	buffer_store_dword v0, off, s[0:3], s32 offset:656 ; 4-byte Folded Spill
	buffer_load_dword v0, off, s[0:3], s32 offset:652 ; 4-byte Folded Reload
	s_waitcnt vmcnt(0)
	v_mul_f32_e32 v0, v59, v0
	v_bfe_u32 v1, v0, 16, 1
	v_or_b32_e32 v2, 0x400000, v0
	v_cmp_u_f32_e64 s5, v0, v0
	;; [unrolled: 9-line block ×3, first 2 shown]
	v_add3_u32 v1, v1, v0, 0x7fff
	v_cndmask_b32_e64 v0, v1, v2, s5
	buffer_store_dword v0, off, s[0:3], s32 offset:648 ; 4-byte Folded Spill
	v_mul_f32_e32 v0, v59, v95
	v_bfe_u32 v1, v0, 16, 1
	v_or_b32_e32 v2, 0x400000, v0
	v_cmp_u_f32_e64 s5, v0, v0
	v_add3_u32 v1, v1, v0, 0x7fff
	v_cndmask_b32_e64 v0, v1, v2, s5
	buffer_store_dword v0, off, s[0:3], s32 offset:1256 ; 4-byte Folded Spill
	buffer_load_dword v0, off, s[0:3], s32 offset:644 ; 4-byte Folded Reload
	s_waitcnt vmcnt(0)
	v_mul_f32_e32 v0, v59, v0
	v_bfe_u32 v1, v0, 16, 1
	v_or_b32_e32 v2, 0x400000, v0
	v_cmp_u_f32_e64 s5, v0, v0
	v_add3_u32 v1, v1, v0, 0x7fff
	v_cndmask_b32_e64 v0, v1, v2, s5
	buffer_store_dword v0, off, s[0:3], s32 offset:644 ; 4-byte Folded Spill
	buffer_load_dword v0, off, s[0:3], s32 offset:640 ; 4-byte Folded Reload
	s_waitcnt vmcnt(0)
	v_mul_f32_e32 v0, v59, v0
	v_bfe_u32 v1, v0, 16, 1
	v_or_b32_e32 v2, 0x400000, v0
	v_cmp_u_f32_e64 s5, v0, v0
	v_add3_u32 v1, v1, v0, 0x7fff
	v_cndmask_b32_e64 v0, v1, v2, s5
	buffer_store_dword v0, off, s[0:3], s32 offset:1260 ; 4-byte Folded Spill
	v_mul_f32_e32 v0, v59, v124
	v_bfe_u32 v1, v0, 16, 1
	v_or_b32_e32 v2, 0x400000, v0
	v_cmp_u_f32_e64 s5, v0, v0
	v_add3_u32 v1, v1, v0, 0x7fff
	v_cndmask_b32_e64 v0, v1, v2, s5
	buffer_store_dword v0, off, s[0:3], s32 offset:640 ; 4-byte Folded Spill
	buffer_load_dword v0, off, s[0:3], s32 offset:660 ; 4-byte Folded Reload
	s_waitcnt vmcnt(0)
	v_mul_f32_e32 v0, v59, v0
	v_bfe_u32 v1, v0, 16, 1
	v_or_b32_e32 v2, 0x400000, v0
	v_cmp_u_f32_e64 s5, v0, v0
	v_add3_u32 v1, v1, v0, 0x7fff
	v_cndmask_b32_e64 v0, v1, v2, s5
	buffer_store_dword v0, off, s[0:3], s32 offset:660 ; 4-byte Folded Spill
	buffer_load_dword v0, off, s[0:3], s32 offset:632 ; 4-byte Folded Reload
	s_waitcnt vmcnt(0)
	;; [unrolled: 9-line block ×23, first 2 shown]
	v_mul_f32_e32 v0, v59, v0
	v_bfe_u32 v1, v0, 16, 1
	v_or_b32_e32 v2, 0x400000, v0
	v_cmp_u_f32_e64 s5, v0, v0
	v_add3_u32 v1, v1, v0, 0x7fff
	buffer_load_dword v0, off, s[0:3], s32 offset:780 ; 4-byte Folded Reload
	v_cndmask_b32_e64 v107, v1, v2, s5
	s_waitcnt vmcnt(0)
	v_mul_f32_e32 v0, v59, v0
	v_bfe_u32 v1, v0, 16, 1
	v_or_b32_e32 v2, 0x400000, v0
	v_cmp_u_f32_e64 s5, v0, v0
	v_add3_u32 v1, v1, v0, 0x7fff
	v_cndmask_b32_e64 v0, v1, v2, s5
	buffer_store_dword v0, off, s[0:3], s32 offset:568 ; 4-byte Folded Spill
	buffer_load_dword v0, off, s[0:3], s32 offset:588 ; 4-byte Folded Reload
	s_waitcnt vmcnt(0)
	v_mul_f32_e32 v0, v59, v0
	v_bfe_u32 v1, v0, 16, 1
	v_or_b32_e32 v2, 0x400000, v0
	v_cmp_u_f32_e64 s5, v0, v0
	v_add3_u32 v1, v1, v0, 0x7fff
	buffer_load_dword v0, off, s[0:3], s32 offset:560 ; 4-byte Folded Reload
	v_cndmask_b32_e64 v108, v1, v2, s5
	s_waitcnt vmcnt(0)
	v_mul_f32_e32 v0, v59, v0
	v_bfe_u32 v1, v0, 16, 1
	v_or_b32_e32 v2, 0x400000, v0
	v_cmp_u_f32_e64 s5, v0, v0
	v_add3_u32 v1, v1, v0, 0x7fff
	buffer_load_dword v0, off, s[0:3], s32 offset:556 ; 4-byte Folded Reload
	v_cndmask_b32_e64 v75, v1, v2, s5
	;; [unrolled: 8-line block ×41, first 2 shown]
	s_waitcnt vmcnt(0)
	v_mul_f32_e32 v0, v59, v0
	v_bfe_u32 v1, v0, 16, 1
	v_or_b32_e32 v2, 0x400000, v0
	v_cmp_u_f32_e64 s5, v0, v0
	v_add3_u32 v1, v1, v0, 0x7fff
	v_cndmask_b32_e64 v0, v1, v2, s5
	buffer_load_dword v1, off, s[0:3], s32 offset:432 ; 4-byte Folded Reload
	v_and_b32_e32 v0, 0xffff0000, v0
	s_waitcnt vmcnt(0)
	v_mul_f32_e32 v1, v59, v1
	v_bfe_u32 v2, v1, 16, 1
	v_or_b32_e32 v3, 0x400000, v1
	v_cmp_u_f32_e64 s5, v1, v1
	v_add3_u32 v2, v2, v1, 0x7fff
	buffer_load_dword v1, off, s[0:3], s32 offset:428 ; 4-byte Folded Reload
	v_cndmask_b32_e64 v12, v2, v3, s5
	s_waitcnt vmcnt(0)
	v_mul_f32_e32 v1, v59, v1
	v_bfe_u32 v2, v1, 16, 1
	v_or_b32_e32 v3, 0x400000, v1
	v_cmp_u_f32_e64 s5, v1, v1
	v_add3_u32 v2, v2, v1, 0x7fff
	buffer_load_dword v1, off, s[0:3], s32 offset:728 ; 4-byte Folded Reload
	v_cndmask_b32_e64 v47, v2, v3, s5
	;; [unrolled: 8-line block ×10, first 2 shown]
	s_waitcnt vmcnt(0)
	v_mul_f32_e32 v1, v59, v1
	v_bfe_u32 v5, v1, 16, 1
	v_or_b32_e32 v8, 0x400000, v1
	v_cmp_u_f32_e64 s5, v1, v1
	v_add3_u32 v5, v5, v1, 0x7fff
	v_cndmask_b32_e64 v1, v5, v8, s5
	v_mul_f32_e32 v5, v59, v4
	buffer_load_dword v4, off, s[0:3], s32 offset:392 ; 4-byte Folded Reload
	v_and_b32_e32 v1, 0xffff0000, v1
	v_bfe_u32 v8, v5, 16, 1
	v_or_b32_e32 v9, 0x400000, v5
	v_cmp_u_f32_e64 s5, v5, v5
	v_add3_u32 v8, v8, v5, 0x7fff
	v_cndmask_b32_e64 v39, v8, v9, s5
	s_waitcnt vmcnt(0)
	v_mul_f32_e32 v5, v59, v4
	buffer_load_dword v4, off, s[0:3], s32 offset:724 ; 4-byte Folded Reload
	v_bfe_u32 v8, v5, 16, 1
	v_or_b32_e32 v9, 0x400000, v5
	v_cmp_u_f32_e64 s5, v5, v5
	v_add3_u32 v8, v8, v5, 0x7fff
	v_cndmask_b32_e64 v40, v8, v9, s5
	s_waitcnt vmcnt(0)
	v_mul_f32_e32 v5, v59, v4
	buffer_load_dword v4, off, s[0:3], s32 offset:412 ; 4-byte Folded Reload
	;; [unrolled: 8-line block ×31, first 2 shown]
	v_bfe_u32 v9, v8, 16, 1
	v_or_b32_e32 v21, 0x400000, v8
	v_cmp_u_f32_e64 s5, v8, v8
	v_add3_u32 v9, v9, v8, 0x7fff
	v_cndmask_b32_e64 v8, v9, v21, s5
	v_and_b32_e32 v8, 0xffff0000, v8
	s_waitcnt vmcnt(0)
	v_mul_f32_e32 v9, v59, v4
	buffer_load_dword v4, off, s[0:3], s32 offset:296 ; 4-byte Folded Reload
	v_bfe_u32 v21, v9, 16, 1
	v_or_b32_e32 v24, 0x400000, v9
	v_cmp_u_f32_e64 s5, v9, v9
	v_add3_u32 v21, v21, v9, 0x7fff
	v_cndmask_b32_e64 v24, v21, v24, s5
	s_waitcnt vmcnt(0)
	v_mul_f32_e32 v9, v59, v4
	buffer_load_dword v4, off, s[0:3], s32 offset:692 ; 4-byte Folded Reload
	v_bfe_u32 v21, v9, 16, 1
	v_or_b32_e32 v27, 0x400000, v9
	v_cmp_u_f32_e64 s5, v9, v9
	v_add3_u32 v21, v21, v9, 0x7fff
	v_cndmask_b32_e64 v105, v21, v27, s5
	;; [unrolled: 8-line block ×13, first 2 shown]
	v_and_b32_e32 v21, 0xffff0000, v21
	s_waitcnt vmcnt(0)
	v_mul_f32_e32 v27, v59, v4
	buffer_load_dword v4, off, s[0:3], s32 offset:256 ; 4-byte Folded Reload
	v_bfe_u32 v30, v27, 16, 1
	v_or_b32_e32 v51, 0x400000, v27
	v_cmp_u_f32_e64 s5, v27, v27
	v_add3_u32 v30, v30, v27, 0x7fff
	v_cndmask_b32_e64 v27, v30, v51, s5
	v_and_b32_e32 v27, 0xffff0000, v27
	s_waitcnt vmcnt(0)
	v_mul_f32_e32 v30, v59, v4
	buffer_load_dword v4, off, s[0:3], s32 offset:672 ; 4-byte Folded Reload
	v_bfe_u32 v51, v30, 16, 1
	v_or_b32_e32 v53, 0x400000, v30
	v_cmp_u_f32_e64 s5, v30, v30
	v_add3_u32 v51, v51, v30, 0x7fff
	v_cndmask_b32_e64 v30, v51, v53, s5
	;; [unrolled: 9-line block ×4, first 2 shown]
	v_mul_f32_e32 v81, v59, v126
	v_and_b32_e32 v53, 0xffff0000, v53
	v_bfe_u32 v109, v81, 16, 1
	v_or_b32_e32 v71, 0x400000, v81
	v_cmp_u_f32_e64 s5, v81, v81
	v_add3_u32 v109, v109, v81, 0x7fff
	v_cndmask_b32_e64 v81, v109, v71, s5
	v_and_b32_e32 v81, 0xffff0000, v81
	s_waitcnt vmcnt(0)
	v_mul_f32_e32 v71, v59, v4
	buffer_load_dword v4, off, s[0:3], s32 offset:268 ; 4-byte Folded Reload
	v_bfe_u32 v109, v71, 16, 1
	v_or_b32_e32 v49, 0x400000, v71
	v_cmp_u_f32_e64 s5, v71, v71
	v_add3_u32 v109, v109, v71, 0x7fff
	v_cndmask_b32_e64 v118, v109, v49, s5
	s_waitcnt vmcnt(0)
	v_mul_f32_e32 v49, v59, v4
	buffer_load_dword v4, off, s[0:3], s32 offset:248 ; 4-byte Folded Reload
	v_bfe_u32 v71, v49, 16, 1
	v_or_b32_e32 v109, 0x400000, v49
	v_cmp_u_f32_e64 s5, v49, v49
	v_add3_u32 v71, v71, v49, 0x7fff
	v_mul_f32_e32 v49, v59, v86
	v_cndmask_b32_e64 v20, v71, v109, s5
	v_bfe_u32 v71, v49, 16, 1
	v_or_b32_e32 v109, 0x400000, v49
	v_cmp_u_f32_e64 s5, v49, v49
	v_and_b32_e32 v20, 0xffff0000, v20
	v_add3_u32 v71, v71, v49, 0x7fff
	v_mul_f32_e32 v49, v59, v101
	v_cndmask_b32_e64 v104, v71, v109, s5
	v_bfe_u32 v71, v49, 16, 1
	v_or_b32_e32 v109, 0x400000, v49
	v_cmp_u_f32_e64 s5, v49, v49
	v_add3_u32 v71, v71, v49, 0x7fff
	v_cndmask_b32_e64 v109, v71, v109, s5
	s_waitcnt vmcnt(0)
	v_mul_f32_e32 v49, v59, v4
	buffer_load_dword v4, off, s[0:3], s32 offset:824 ; 4-byte Folded Reload
	v_bfe_u32 v71, v49, 16, 1
	v_or_b32_e32 v126, 0x400000, v49
	v_cmp_u_f32_e64 s5, v49, v49
	v_add3_u32 v71, v71, v49, 0x7fff
	v_mul_f32_e32 v49, v59, v69
	v_cndmask_b32_e64 v95, v71, v126, s5
	v_bfe_u32 v71, v49, 16, 1
	v_or_b32_e32 v126, 0x400000, v49
	v_cmp_u_f32_e64 s5, v49, v49
	v_add3_u32 v71, v71, v49, 0x7fff
	v_mul_f32_e32 v49, v59, v78
	v_cndmask_b32_e64 v100, v71, v126, s5
	;; [unrolled: 6-line block ×3, first 2 shown]
	v_bfe_u32 v71, v49, 16, 1
	v_or_b32_e32 v126, 0x400000, v49
	v_cmp_u_f32_e64 s5, v49, v49
	v_add3_u32 v71, v71, v49, 0x7fff
	v_cndmask_b32_e64 v98, v71, v126, s5
	s_waitcnt vmcnt(0)
	v_mul_f32_e32 v49, v59, v4
	buffer_load_dword v4, off, s[0:3], s32 offset:820 ; 4-byte Folded Reload
	v_bfe_u32 v71, v49, 16, 1
	v_or_b32_e32 v126, 0x400000, v49
	v_cmp_u_f32_e64 s5, v49, v49
	v_add3_u32 v71, v71, v49, 0x7fff
	v_cndmask_b32_e64 v101, v71, v126, s5
	s_waitcnt vmcnt(0)
	v_mul_f32_e32 v49, v59, v4
	buffer_load_dword v4, off, s[0:3], s32 offset:668 ; 4-byte Folded Reload
	v_bfe_u32 v71, v49, 16, 1
	v_or_b32_e32 v126, 0x400000, v49
	v_cmp_u_f32_e64 s5, v49, v49
	v_add3_u32 v71, v71, v49, 0x7fff
	v_bfe_u32 v49, v23, 16, 1
	v_cndmask_b32_e64 v86, v71, v126, s5
	v_add3_u32 v49, v49, v23, 0x7fff
	v_or_b32_e32 v71, 0x400000, v23
	v_cmp_u_f32_e64 s5, v23, v23
	v_cndmask_b32_e64 v23, v49, v71, s5
	v_bfe_u32 v49, v22, 16, 1
	v_or_b32_e32 v71, 0x400000, v22
	v_cmp_u_f32_e64 s5, v22, v22
	v_add3_u32 v49, v49, v22, 0x7fff
	v_cndmask_b32_e64 v22, v49, v71, s5
	v_mul_f32_e32 v49, v59, v127
	v_bfe_u32 v71, v49, 16, 1
	v_or_b32_e32 v126, 0x400000, v49
	v_cmp_u_f32_e64 s5, v49, v49
	v_add3_u32 v71, v71, v49, 0x7fff
	v_mul_f32_e32 v49, v59, v84
	v_cndmask_b32_e64 v127, v71, v126, s5
	v_bfe_u32 v71, v49, 16, 1
	v_or_b32_e32 v126, 0x400000, v49
	v_cmp_u_f32_e64 s5, v49, v49
	v_add3_u32 v71, v71, v49, 0x7fff
	v_cndmask_b32_e64 v126, v71, v126, s5
	s_waitcnt vmcnt(0)
	v_mul_f32_e32 v49, v59, v4
	buffer_load_dword v4, off, s[0:3], s32 offset:664 ; 4-byte Folded Reload
	v_bfe_u32 v71, v49, 16, 1
	v_or_b32_e32 v69, 0x400000, v49
	v_cmp_u_f32_e64 s5, v49, v49
	v_add3_u32 v71, v71, v49, 0x7fff
	v_cndmask_b32_e64 v49, v71, v69, s5
	s_waitcnt vmcnt(0)
	v_mul_f32_e32 v69, v59, v4
	v_bfe_u32 v71, v69, 16, 1
	v_or_b32_e32 v4, 0x400000, v69
	v_cmp_u_f32_e64 s5, v69, v69
	v_add3_u32 v71, v71, v69, 0x7fff
	v_mul_f32_e32 v69, v59, v31
	v_cndmask_b32_e64 v71, v71, v4, s5
	buffer_load_dword v4, off, s[0:3], s32 offset:1104 ; 4-byte Folded Reload
	s_waitcnt vmcnt(0)
	v_mul_f32_e32 v4, v59, v4
	v_bfe_u32 v59, v4, 16, 1
	v_or_b32_e32 v84, 0x400000, v4
	v_cmp_u_f32_e64 s5, v4, v4
	v_add3_u32 v59, v59, v4, 0x7fff
	v_cndmask_b32_e64 v4, v59, v84, s5
	v_bfe_u32 v84, v69, 16, 1
	v_or_b32_e32 v59, 0x400000, v69
	v_cmp_u_f32_e64 s5, v69, v69
	v_add3_u32 v84, v84, v69, 0x7fff
	v_cndmask_b32_e64 v69, v84, v59, s5
	v_and_b32_e32 v84, 0xffff0000, v98
	buffer_load_dword v98, off, s[0:3], s32 offset:1332 ; 4-byte Folded Reload
	s_waitcnt vmcnt(0)
	v_mul_f32_e32 v59, v98, v81
	buffer_load_dword v81, off, s[0:3], s32 offset:1300 ; 4-byte Folded Reload
	s_waitcnt vmcnt(0)
	v_fmac_f32_e32 v59, v81, v84
	buffer_load_dword v84, off, s[0:3], s32 offset:1336 ; 4-byte Folded Reload
	v_and_b32_e32 v81, 0xffff0000, v78
	s_waitcnt vmcnt(0)
	v_mul_f32_e32 v53, v84, v53
	buffer_load_dword v84, off, s[0:3], s32 offset:1304 ; 4-byte Folded Reload
	s_waitcnt vmcnt(0)
	v_fmac_f32_e32 v53, v84, v81
	buffer_load_dword v81, off, s[0:3], s32 offset:1340 ; 4-byte Folded Reload
	v_and_b32_e32 v84, 0xffff0000, v100
	;; [unrolled: 7-line block ×4, first 2 shown]
	s_waitcnt vmcnt(0)
	v_mul_f32_e32 v109, v84, v27
	buffer_load_dword v27, off, s[0:3], s32 offset:1316 ; 4-byte Folded Reload
	v_and_b32_e32 v84, 0xffff0000, v101
	s_waitcnt vmcnt(0)
	v_fmac_f32_e32 v109, v27, v30
	buffer_load_dword v30, off, s[0:3], s32 offset:1352 ; 4-byte Folded Reload
	v_and_b32_e32 v27, 0xffff0000, v104
	s_waitcnt vmcnt(0)
	v_mul_f32_e32 v30, v30, v21
	buffer_load_dword v21, off, s[0:3], s32 offset:1320 ; 4-byte Folded Reload
	s_waitcnt vmcnt(0)
	v_fmac_f32_e32 v30, v21, v27
	buffer_load_dword v27, off, s[0:3], s32 offset:1356 ; 4-byte Folded Reload
	v_and_b32_e32 v21, 0xffff0000, v118
	s_waitcnt vmcnt(0)
	v_mul_f32_e32 v27, v27, v21
	buffer_load_dword v21, off, s[0:3], s32 offset:1324 ; 4-byte Folded Reload
	;; [unrolled: 7-line block ×3, first 2 shown]
	s_waitcnt vmcnt(0)
	v_fmac_f32_e32 v21, v20, v84
	buffer_load_dword v84, off, s[0:3], s32 offset:1364 ; 4-byte Folded Reload
	v_and_b32_e32 v20, 0xffff0000, v113
	s_waitcnt vmcnt(0)
	v_fmac_f32_e32 v59, v84, v20
	buffer_load_dword v84, off, s[0:3], s32 offset:1368 ; 4-byte Folded Reload
	v_and_b32_e32 v20, 0xffff0000, v114
	s_waitcnt vmcnt(0)
	v_fmac_f32_e32 v53, v84, v20
	buffer_load_dword v84, off, s[0:3], s32 offset:1372 ; 4-byte Folded Reload
	v_and_b32_e32 v20, 0xffff0000, v116
	s_waitcnt vmcnt(0)
	v_fmac_f32_e32 v81, v84, v20
	buffer_load_dword v84, off, s[0:3], s32 offset:1376 ; 4-byte Folded Reload
	v_and_b32_e32 v20, 0xffff0000, v117
	s_waitcnt vmcnt(0)
	v_fmac_f32_e32 v51, v84, v20
	buffer_load_dword v84, off, s[0:3], s32 offset:1380 ; 4-byte Folded Reload
	v_and_b32_e32 v20, 0xffff0000, v106
	s_waitcnt vmcnt(0)
	v_fmac_f32_e32 v109, v84, v20
	buffer_load_dword v84, off, s[0:3], s32 offset:1384 ; 4-byte Folded Reload
	v_and_b32_e32 v20, 0xffff0000, v77
	s_waitcnt vmcnt(0)
	v_fmac_f32_e32 v30, v84, v20
	buffer_load_dword v84, off, s[0:3], s32 offset:1388 ; 4-byte Folded Reload
	v_and_b32_e32 v20, 0xffff0000, v115
	s_waitcnt vmcnt(0)
	v_fmac_f32_e32 v27, v84, v20
	buffer_load_dword v84, off, s[0:3], s32 offset:1392 ; 4-byte Folded Reload
	v_and_b32_e32 v20, 0xffff0000, v112
	s_waitcnt vmcnt(0)
	v_fmac_f32_e32 v21, v84, v20
	buffer_load_dword v84, off, s[0:3], s32 offset:1396 ; 4-byte Folded Reload
	v_and_b32_e32 v20, 0xffff0000, v105
	s_waitcnt vmcnt(0)
	v_fmac_f32_e32 v59, v84, v20
	v_and_b32_e32 v20, 0xffff0000, v24
	buffer_load_dword v24, off, s[0:3], s32 offset:1400 ; 4-byte Folded Reload
	s_waitcnt vmcnt(0)
	v_fmac_f32_e32 v53, v24, v20
	buffer_load_dword v20, off, s[0:3], s32 offset:1404 ; 4-byte Folded Reload
	s_waitcnt vmcnt(0)
	v_fmac_f32_e32 v81, v20, v8
	buffer_load_dword v20, off, s[0:3], s32 offset:1408 ; 4-byte Folded Reload
	v_and_b32_e32 v8, 0xffff0000, v45
	s_waitcnt vmcnt(0)
	v_fmac_f32_e32 v51, v20, v8
	v_and_b32_e32 v8, 0xffff0000, v16
	buffer_load_dword v16, off, s[0:3], s32 offset:1412 ; 4-byte Folded Reload
	s_waitcnt vmcnt(0)
	v_fmac_f32_e32 v109, v16, v8
	buffer_load_dword v16, off, s[0:3], s32 offset:1416 ; 4-byte Folded Reload
	v_and_b32_e32 v8, 0xffff0000, v41
	s_waitcnt vmcnt(0)
	v_fmac_f32_e32 v30, v16, v8
	v_and_b32_e32 v8, 0xffff0000, v9
	buffer_load_dword v9, off, s[0:3], s32 offset:1420 ; 4-byte Folded Reload
	s_waitcnt vmcnt(0)
	v_fmac_f32_e32 v27, v9, v8
	buffer_load_dword v9, off, s[0:3], s32 offset:1424 ; 4-byte Folded Reload
	v_and_b32_e32 v8, 0xffff0000, v76
	s_waitcnt vmcnt(0)
	v_fmac_f32_e32 v21, v9, v8
	buffer_load_dword v9, off, s[0:3], s32 offset:1428 ; 4-byte Folded Reload
	v_and_b32_e32 v8, 0xffff0000, v13
	;; [unrolled: 4-line block ×27, first 2 shown]
	s_waitcnt vmcnt(0)
	v_fmac_f32_e32 v53, v9, v8
	buffer_load_dword v8, off, s[0:3], s32 offset:1532 ; 4-byte Folded Reload
	s_waitcnt vmcnt(0)
	v_fmac_f32_e32 v81, v8, v1
	v_and_b32_e32 v1, 0xffff0000, v2
	buffer_load_dword v2, off, s[0:3], s32 offset:1536 ; 4-byte Folded Reload
	s_waitcnt vmcnt(0)
	v_fmac_f32_e32 v51, v2, v1
	buffer_load_dword v2, off, s[0:3], s32 offset:1540 ; 4-byte Folded Reload
	v_and_b32_e32 v1, 0xffff0000, v3
	s_waitcnt vmcnt(0)
	v_fmac_f32_e32 v109, v2, v1
	buffer_load_dword v2, off, s[0:3], s32 offset:1544 ; 4-byte Folded Reload
	v_and_b32_e32 v1, 0xffff0000, v7
	;; [unrolled: 4-line block ×9, first 2 shown]
	s_waitcnt vmcnt(0)
	v_fmac_f32_e32 v109, v2, v1
	s_clause 0x1
	buffer_load_dword v1, off, s[0:3], s32 offset:1576
	buffer_load_dword v2, off, s[0:3], s32 offset:2304
	s_waitcnt vmcnt(1)
	v_fmac_f32_e32 v30, v1, v0
	buffer_load_dword v1, off, s[0:3], s32 offset:1580 ; 4-byte Folded Reload
	v_and_b32_e32 v0, 0xffff0000, v97
	s_waitcnt vmcnt(0)
	v_fmac_f32_e32 v27, v1, v0
	buffer_load_dword v1, off, s[0:3], s32 offset:1584 ; 4-byte Folded Reload
	v_and_b32_e32 v0, 0xffff0000, v38
	;; [unrolled: 4-line block ×43, first 2 shown]
	s_waitcnt vmcnt(0)
	v_fmac_f32_e32 v59, v1, v0
	s_clause 0x1
	buffer_load_dword v0, off, s[0:3], s32 offset:572
	buffer_load_dword v1, off, s[0:3], s32 offset:1752
	s_waitcnt vmcnt(1)
	v_and_b32_e32 v0, 0xffff0000, v0
	s_waitcnt vmcnt(0)
	v_fmac_f32_e32 v53, v1, v0
	s_clause 0x1
	buffer_load_dword v0, off, s[0:3], s32 offset:776
	buffer_load_dword v1, off, s[0:3], s32 offset:1756
	s_waitcnt vmcnt(1)
	v_and_b32_e32 v0, 0xffff0000, v0
	s_waitcnt vmcnt(0)
	v_fmac_f32_e32 v81, v1, v0
	s_clause 0x1
	buffer_load_dword v0, off, s[0:3], s32 offset:576
	buffer_load_dword v1, off, s[0:3], s32 offset:1760
	s_waitcnt vmcnt(1)
	v_and_b32_e32 v0, 0xffff0000, v0
	s_waitcnt vmcnt(0)
	v_fmac_f32_e32 v51, v1, v0
	s_clause 0x1
	buffer_load_dword v0, off, s[0:3], s32 offset:580
	buffer_load_dword v1, off, s[0:3], s32 offset:1764
	s_waitcnt vmcnt(1)
	v_and_b32_e32 v0, 0xffff0000, v0
	s_waitcnt vmcnt(0)
	v_fmac_f32_e32 v109, v1, v0
	s_clause 0x1
	buffer_load_dword v0, off, s[0:3], s32 offset:584
	buffer_load_dword v1, off, s[0:3], s32 offset:1768
	s_waitcnt vmcnt(1)
	v_and_b32_e32 v0, 0xffff0000, v0
	s_waitcnt vmcnt(0)
	v_fmac_f32_e32 v30, v1, v0
	s_clause 0x1
	buffer_load_dword v0, off, s[0:3], s32 offset:568
	buffer_load_dword v1, off, s[0:3], s32 offset:1772
	s_waitcnt vmcnt(1)
	v_and_b32_e32 v0, 0xffff0000, v0
	s_waitcnt vmcnt(0)
	v_fmac_f32_e32 v27, v1, v0
	buffer_load_dword v1, off, s[0:3], s32 offset:1776 ; 4-byte Folded Reload
	v_and_b32_e32 v0, 0xffff0000, v108
	s_waitcnt vmcnt(0)
	v_fmac_f32_e32 v21, v1, v0
	s_clause 0x1
	buffer_load_dword v0, off, s[0:3], s32 offset:796
	buffer_load_dword v1, off, s[0:3], s32 offset:1780
	s_waitcnt vmcnt(1)
	v_and_b32_e32 v0, 0xffff0000, v0
	s_waitcnt vmcnt(0)
	v_fmac_f32_e32 v59, v1, v0
	s_clause 0x1
	buffer_load_dword v0, off, s[0:3], s32 offset:596
	buffer_load_dword v1, off, s[0:3], s32 offset:1784
	s_waitcnt vmcnt(1)
	;; [unrolled: 7-line block ×128, first 2 shown]
	v_and_b32_e32 v0, 0xffff0000, v0
	s_waitcnt vmcnt(0)
	v_fmac_f32_e32 v21, v1, v0
	buffer_load_dword v1, off, s[0:3], s32 offset:2292 ; 4-byte Folded Reload
	v_and_b32_e32 v0, 0xffff0000, v71
	s_waitcnt vmcnt(0)
	v_fmac_f32_e32 v59, v1, v0
	buffer_load_dword v1, off, s[0:3], s32 offset:2296 ; 4-byte Folded Reload
	;; [unrolled: 4-line block ×3, first 2 shown]
	v_and_b32_e32 v0, 0xffff0000, v126
	s_waitcnt vmcnt(0)
	v_fmac_f32_e32 v81, v1, v0
	v_and_b32_e32 v1, 0xffff0000, v127
	v_add_f32_e32 v0, v59, v53
	v_fmac_f32_e32 v51, v2, v1
	buffer_load_dword v2, off, s[0:3], s32 offset:2308 ; 4-byte Folded Reload
	v_and_b32_e32 v1, 0xffff0000, v22
	v_add_f32_e32 v0, v0, v81
	v_add_f32_e32 v0, v51, v0
	s_waitcnt vmcnt(0)
	v_fmac_f32_e32 v109, v2, v1
	buffer_load_dword v2, off, s[0:3], s32 offset:2312 ; 4-byte Folded Reload
	v_and_b32_e32 v1, 0xffff0000, v23
	v_add_f32_e32 v0, v109, v0
	s_waitcnt vmcnt(0)
	v_fmac_f32_e32 v30, v2, v1
	buffer_load_dword v2, off, s[0:3], s32 offset:2316 ; 4-byte Folded Reload
	v_and_b32_e32 v1, 0xffff0000, v4
	v_add_f32_e32 v0, v30, v0
	s_waitcnt vmcnt(0)
	v_fmac_f32_e32 v27, v2, v1
	buffer_load_dword v2, off, s[0:3], s32 offset:2320 ; 4-byte Folded Reload
	v_and_b32_e32 v1, 0xffff0000, v69
	v_add_f32_e32 v0, v27, v0
	s_waitcnt vmcnt(0)
	v_fmac_f32_e32 v21, v2, v1
	s_clause 0x4
	buffer_load_dword v1, off, s[0:3], s32 offset:2332
	buffer_load_dword v6, off, s[0:3], s32 offset:812
	;; [unrolled: 1-line block ×5, first 2 shown]
	v_add_f32_e32 v0, v21, v0
	s_load_dword s25, s[8:9], 0x0
	s_waitcnt vmcnt(3)
	v_add_nc_u32_e32 v1, v1, v6
	v_cvt_f32_i32_e32 v1, v1
	s_waitcnt vmcnt(2)
	v_mul_f32_e32 v1, v2, v1
	buffer_load_dword v2, off, s[0:3], s32 offset:1292 ; 4-byte Folded Reload
	v_cndmask_b32_e32 v1, 0, v1, vcc_lo
	s_waitcnt vmcnt(0)
	v_fmac_f32_e32 v1, v2, v0
	buffer_load_dword v0, off, s[0:3], s32 offset:1268 ; 4-byte Folded Reload
	s_waitcnt vmcnt(0)
	v_add_nc_u32_e32 v0, v0, v6
	v_cmp_lt_i32_e64 s5, v0, v48
	s_waitcnt lgkmcnt(0)
	v_add_nc_u32_e32 v0, s25, v8
	v_cndmask_b32_e64 v2, 0, v1, s5
	ds_write_b32 v0, v2
	v_max_f32_e32 v0, v7, v7
	v_max_f32_e32 v0, v0, v1
	v_cndmask_b32_e64 v7, v7, v0, s5
.LBB384_15:                             ;   in Loop: Header=BB384_16 Depth=1
	s_or_b32 exec_lo, exec_lo, s6
	s_clause 0x2
	buffer_load_dword v2, off, s[0:3], s32 offset:244
	buffer_load_dword v0, off, s[0:3], s32 offset:208
	;; [unrolled: 1-line block ×3, first 2 shown]
	v_add_nc_u32_e32 v6, 0x80, v6
	v_add_nc_u32_e32 v8, 0x200, v8
	s_waitcnt vmcnt(1)
	v_add_co_u32 v0, s5, v0, 16
	s_waitcnt vmcnt(0)
	v_add_co_ci_u32_e64 v1, null, 0, v1, s5
	v_add_nc_u32_e32 v2, 4, v2
	buffer_store_dword v0, off, s[0:3], s32 offset:208 ; 4-byte Folded Spill
	buffer_store_dword v1, off, s[0:3], s32 offset:212 ; 4-byte Folded Spill
	buffer_load_dword v0, off, s[0:3], s32 offset:232 ; 4-byte Folded Reload
	s_waitcnt vmcnt(0)
	v_cmp_ge_i32_e64 s5, v2, v0
	s_or_b32 s17, s5, s17
	s_andn2_b32 exec_lo, exec_lo, s17
	s_cbranch_execz .LBB384_2064
.LBB384_16:                             ; =>This Inner Loop Header: Depth=1
	s_clause 0x2
	buffer_load_dword v1, off, s[0:3], s32 offset:236
	buffer_load_dword v4, off, s[0:3], s32 offset:216
	;; [unrolled: 1-line block ×3, first 2 shown]
	v_sub_nc_u32_e32 v0, 0, v6
	buffer_store_dword v2, off, s[0:3], s32 offset:244 ; 4-byte Folded Spill
	v_max_i32_e32 v0, v6, v0
	s_waitcnt vmcnt(2)
	v_mul_hi_u32 v1, v0, v1
	s_waitcnt vmcnt(1)
	v_mul_lo_u32 v2, v1, v4
	v_sub_nc_u32_e32 v0, v0, v2
	v_add_nc_u32_e32 v2, 1, v1
	v_sub_nc_u32_e32 v3, v0, v4
	v_cmp_ge_u32_e64 s5, v0, v4
	v_cndmask_b32_e64 v1, v1, v2, s5
	v_cndmask_b32_e64 v0, v0, v3, s5
	v_ashrrev_i32_e32 v2, 31, v6
	v_add_nc_u32_e32 v3, 1, v1
	v_cmp_ge_u32_e64 s5, v0, v4
	s_waitcnt vmcnt(0)
	v_xor_b32_e32 v2, v2, v5
	v_cndmask_b32_e64 v0, v1, v3, s5
	v_xor_b32_e32 v0, v0, v2
	v_sub_nc_u32_e32 v0, v0, v2
	s_clause 0x3
	buffer_load_dword v1, off, s[0:3], s32 offset:220
	buffer_load_dword v2, off, s[0:3], s32 offset:224
	;; [unrolled: 1-line block ×4, first 2 shown]
	s_waitcnt vmcnt(3)
	v_add_nc_u32_e32 v1, v0, v1
	s_waitcnt vmcnt(2)
	v_sub_nc_u32_e32 v2, 0, v1
	v_max_i32_e32 v2, v1, v2
	v_ashrrev_i32_e32 v1, 31, v1
	s_waitcnt vmcnt(1)
	v_mul_hi_u32 v3, v2, v3
	s_waitcnt vmcnt(0)
	v_mul_lo_u32 v3, v3, v4
	v_sub_nc_u32_e32 v2, v2, v3
	v_sub_nc_u32_e32 v3, v2, v4
	v_cmp_ge_u32_e64 s5, v2, v4
	v_cndmask_b32_e64 v2, v2, v3, s5
	v_sub_nc_u32_e32 v3, v2, v4
	v_cmp_ge_u32_e64 s5, v2, v4
	v_cndmask_b32_e64 v2, v2, v3, s5
	v_xor_b32_e32 v2, v2, v1
	v_sub_nc_u32_e32 v1, v2, v1
	v_cmp_ne_u32_e64 s5, 0, v1
	buffer_load_dword v1, off, s[0:3], s32 offset:240 ; 4-byte Folded Reload
	s_waitcnt vmcnt(0)
	v_cmp_le_i32_e64 s6, v0, v1
	s_and_b32 s5, s5, s6
	s_and_saveexec_b32 s6, s5
	s_xor_b32 s5, exec_lo, s6
	s_cbranch_execz .LBB384_18
; %bb.17:                               ;   in Loop: Header=BB384_16 Depth=1
	s_waitcnt lgkmcnt(0)
	v_add_nc_u32_e32 v0, s24, v8
	v_mov_b32_e32 v1, 0xff7fffff
	ds_write_b32 v0, v1
.LBB384_18:                             ;   in Loop: Header=BB384_16 Depth=1
	s_andn2_saveexec_b32 s6, s5
	s_cbranch_execz .LBB384_15
; %bb.19:                               ;   in Loop: Header=BB384_16 Depth=1
	buffer_store_dword v8, off, s[0:3], s32 offset:816 ; 4-byte Folded Spill
	buffer_store_dword v6, off, s[0:3], s32 offset:812 ; 4-byte Folded Spill
	;; [unrolled: 1-line block ×3, first 2 shown]
	s_clause 0x1
	buffer_load_dword v0, off, s[0:3], s32 offset:208
	buffer_load_dword v1, off, s[0:3], s32 offset:212
	s_waitcnt vmcnt(0)
	flat_load_dword v0, v[0:1]
	s_clause 0x2
	buffer_load_dword v1, off, s[0:3], s32 offset:868
	buffer_load_dword v2, off, s[0:3], s32 offset:2324
	buffer_load_dword v3, off, s[0:3], s32 offset:2328
	s_waitcnt vmcnt(0) lgkmcnt(0)
	v_mad_i64_i32 v[28:29], null, v0, v1, v[2:3]
	flat_load_dwordx2 v[31:32], v[28:29]
	s_clause 0x1
	buffer_load_dword v0, off, s[0:3], s32 offset:1284
	buffer_load_dword v1, off, s[0:3], s32 offset:1288
	s_waitcnt vmcnt(2) lgkmcnt(0)
	v_cmp_ne_u16_sdwa s5, v31, v19 src0_sel:BYTE_0 src1_sel:DWORD
	s_waitcnt vmcnt(0)
	flat_load_dword v59, v[0:1]
	v_mov_b32_e32 v0, 0
	buffer_store_dword v0, off, s[0:3], s32 offset:424 ; 4-byte Folded Spill
	v_mov_b32_e32 v0, 0
	buffer_store_dword v0, off, s[0:3], s32 offset:476 ; 4-byte Folded Spill
	s_and_saveexec_b32 s25, s5
	s_cbranch_execz .LBB384_27
; %bb.20:                               ;   in Loop: Header=BB384_16 Depth=1
	v_cmp_ne_u16_sdwa s5, v31, v87 src0_sel:BYTE_0 src1_sel:DWORD
	v_bfrev_b32_e32 v0, 1
	buffer_store_dword v0, off, s[0:3], s32 offset:476 ; 4-byte Folded Spill
	s_and_saveexec_b32 s26, s5
	s_cbranch_execz .LBB384_26
; %bb.21:                               ;   in Loop: Header=BB384_16 Depth=1
	v_and_b32_e32 v1, 0x7f, v31
	v_mov_b32_e32 v0, 0x7f800001
	s_mov_b32 s27, exec_lo
	buffer_store_dword v0, off, s[0:3], s32 offset:476 ; 4-byte Folded Spill
	v_cmpx_ne_u32_e32 0x7f, v1
	s_cbranch_execz .LBB384_25
; %bb.22:                               ;   in Loop: Header=BB384_16 Depth=1
	v_mov_b32_e32 v34, v32
	v_lshrrev_b32_e32 v0, 3, v1
	v_mov_b32_e32 v33, v31
	s_mov_b32 s28, exec_lo
	v_cmpx_gt_u32_e32 8, v1
; %bb.23:                               ;   in Loop: Header=BB384_16 Depth=1
	v_and_b32_e32 v0, 7, v31
	v_ffbh_u32_e32 v0, v0
	v_min_u32_e32 v0, 32, v0
	v_subrev_nc_u32_e32 v1, 28, v0
	v_sub_nc_u32_e32 v0, 29, v0
	v_lshlrev_b64 v[33:34], v1, v[31:32]
; %bb.24:                               ;   in Loop: Header=BB384_16 Depth=1
	s_or_b32 exec_lo, exec_lo, s28
	v_lshlrev_b32_e32 v1, 20, v33
	v_lshlrev_b32_e32 v2, 24, v31
	v_lshl_add_u32 v0, v0, 23, 0x3c000000
	v_and_b32_e32 v1, 0x700000, v1
	v_and_b32_e32 v2, 0x80000000, v2
	v_or3_b32 v0, v1, v2, v0
	buffer_store_dword v0, off, s[0:3], s32 offset:476 ; 4-byte Folded Spill
.LBB384_25:                             ;   in Loop: Header=BB384_16 Depth=1
	s_or_b32 exec_lo, exec_lo, s27
.LBB384_26:                             ;   in Loop: Header=BB384_16 Depth=1
	s_or_b32 exec_lo, exec_lo, s26
.LBB384_27:                             ;   in Loop: Header=BB384_16 Depth=1
	s_or_b32 exec_lo, exec_lo, s25
	v_cmp_ne_u16_sdwa s5, v31, v19 src0_sel:BYTE_1 src1_sel:DWORD
	s_and_saveexec_b32 s25, s5
	s_cbranch_execz .LBB384_35
; %bb.28:                               ;   in Loop: Header=BB384_16 Depth=1
	v_cmp_ne_u16_sdwa s5, v31, v87 src0_sel:BYTE_1 src1_sel:DWORD
	v_bfrev_b32_e32 v0, 1
	buffer_store_dword v0, off, s[0:3], s32 offset:424 ; 4-byte Folded Spill
	s_and_saveexec_b32 s26, s5
	s_cbranch_execz .LBB384_34
; %bb.29:                               ;   in Loop: Header=BB384_16 Depth=1
	v_mov_b32_e32 v0, 0xffff
	v_mov_b32_e32 v2, 0x7f800001
	s_mov_b32 s27, exec_lo
	v_and_b32_sdwa v0, v0, v31 dst_sel:DWORD dst_unused:UNUSED_PAD src0_sel:DWORD src1_sel:BYTE_1
	buffer_store_dword v2, off, s[0:3], s32 offset:424 ; 4-byte Folded Spill
	v_and_b32_e32 v1, 0x7f, v0
	v_cmpx_ne_u32_e32 0x7f, v1
	s_cbranch_execz .LBB384_33
; %bb.30:                               ;   in Loop: Header=BB384_16 Depth=1
	v_and_b32_e32 v18, 7, v0
	v_mov_b32_e32 v34, v19
	v_lshrrev_b32_e32 v0, 3, v1
	s_mov_b32 s28, exec_lo
	v_mov_b32_e32 v33, v18
	v_cmpx_gt_u32_e32 8, v1
; %bb.31:                               ;   in Loop: Header=BB384_16 Depth=1
	v_ffbh_u32_e32 v0, v18
	v_min_u32_e32 v0, 32, v0
	v_subrev_nc_u32_e32 v1, 28, v0
	v_sub_nc_u32_e32 v0, 29, v0
	v_lshlrev_b64 v[1:2], v1, v[18:19]
	v_and_b32_e32 v33, 7, v1
; %bb.32:                               ;   in Loop: Header=BB384_16 Depth=1
	s_or_b32 exec_lo, exec_lo, s28
	v_lshlrev_b32_e32 v1, 16, v31
	v_lshlrev_b32_e32 v2, 20, v33
	v_lshl_add_u32 v0, v0, 23, 0x3c000000
	v_and_b32_e32 v1, 0x80000000, v1
	v_or3_b32 v0, v2, v1, v0
	buffer_store_dword v0, off, s[0:3], s32 offset:424 ; 4-byte Folded Spill
.LBB384_33:                             ;   in Loop: Header=BB384_16 Depth=1
	s_or_b32 exec_lo, exec_lo, s27
.LBB384_34:                             ;   in Loop: Header=BB384_16 Depth=1
	s_or_b32 exec_lo, exec_lo, s26
.LBB384_35:                             ;   in Loop: Header=BB384_16 Depth=1
	s_or_b32 exec_lo, exec_lo, s25
	v_mov_b32_e32 v0, 0xff
	v_mov_b32_e32 v1, 0
	;; [unrolled: 1-line block ×3, first 2 shown]
	s_mov_b32 s25, exec_lo
	v_and_b32_sdwa v0, v31, v0 dst_sel:DWORD dst_unused:UNUSED_PAD src0_sel:WORD_1 src1_sel:DWORD
	buffer_store_dword v1, off, s[0:3], s32 offset:248 ; 4-byte Folded Spill
	v_cmpx_ne_u16_e32 0, v0
	s_cbranch_execz .LBB384_43
; %bb.36:                               ;   in Loop: Header=BB384_16 Depth=1
	v_bfrev_b32_e32 v78, 1
	s_mov_b32 s26, exec_lo
	v_cmpx_ne_u16_e32 0x80, v0
	s_cbranch_execz .LBB384_42
; %bb.37:                               ;   in Loop: Header=BB384_16 Depth=1
	v_bfe_u32 v1, v31, 16, 7
	v_mov_b32_e32 v78, 0x7f800001
	s_mov_b32 s27, exec_lo
	v_cmpx_ne_u32_e32 0x7f, v1
	s_cbranch_execz .LBB384_41
; %bb.38:                               ;   in Loop: Header=BB384_16 Depth=1
	v_mov_b32_e32 v0, 7
	s_mov_b32 s28, exec_lo
	v_and_b32_sdwa v18, v31, v0 dst_sel:DWORD dst_unused:UNUSED_PAD src0_sel:WORD_1 src1_sel:DWORD
	v_mov_b32_e32 v34, v19
	v_lshrrev_b32_e32 v0, 3, v1
	v_mov_b32_e32 v33, v18
	v_cmpx_gt_u32_e32 8, v1
; %bb.39:                               ;   in Loop: Header=BB384_16 Depth=1
	v_ffbh_u32_e32 v0, v18
	v_min_u32_e32 v0, 32, v0
	v_subrev_nc_u32_e32 v1, 28, v0
	v_sub_nc_u32_e32 v0, 29, v0
	v_lshlrev_b64 v[1:2], v1, v[18:19]
	v_and_b32_e32 v33, 7, v1
; %bb.40:                               ;   in Loop: Header=BB384_16 Depth=1
	s_or_b32 exec_lo, exec_lo, s28
	v_mov_b32_e32 v1, 24
	v_lshlrev_b32_e32 v2, 20, v33
	v_lshl_add_u32 v0, v0, 23, 0x3c000000
	v_lshlrev_b32_sdwa v1, v1, v31 dst_sel:DWORD dst_unused:UNUSED_PAD src0_sel:DWORD src1_sel:WORD_1
	v_and_b32_e32 v1, 0x80000000, v1
	v_or3_b32 v78, v2, v1, v0
.LBB384_41:                             ;   in Loop: Header=BB384_16 Depth=1
	s_or_b32 exec_lo, exec_lo, s27
.LBB384_42:                             ;   in Loop: Header=BB384_16 Depth=1
	s_or_b32 exec_lo, exec_lo, s26
.LBB384_43:                             ;   in Loop: Header=BB384_16 Depth=1
	s_or_b32 exec_lo, exec_lo, s25
	s_mov_b32 s25, exec_lo
	v_cmpx_lt_u32_e32 0xffffff, v31
	s_cbranch_execz .LBB384_51
; %bb.44:                               ;   in Loop: Header=BB384_16 Depth=1
	v_cmp_ne_u32_sdwa s5, v31, v87 src0_sel:BYTE_3 src1_sel:DWORD
	v_bfrev_b32_e32 v0, 1
	buffer_store_dword v0, off, s[0:3], s32 offset:248 ; 4-byte Folded Spill
	s_and_saveexec_b32 s26, s5
	s_cbranch_execz .LBB384_50
; %bb.45:                               ;   in Loop: Header=BB384_16 Depth=1
	v_bfe_u32 v1, v31, 24, 7
	v_mov_b32_e32 v0, 0x7f800001
	s_mov_b32 s27, exec_lo
	buffer_store_dword v0, off, s[0:3], s32 offset:248 ; 4-byte Folded Spill
	v_cmpx_ne_u32_e32 0x7f, v1
	s_cbranch_execz .LBB384_49
; %bb.46:                               ;   in Loop: Header=BB384_16 Depth=1
	v_mov_b32_e32 v0, 7
	s_mov_b32 s28, exec_lo
	v_and_b32_sdwa v18, v31, v0 dst_sel:DWORD dst_unused:UNUSED_PAD src0_sel:BYTE_3 src1_sel:DWORD
	v_mov_b32_e32 v34, v19
	v_lshrrev_b32_e32 v0, 3, v1
	v_mov_b32_e32 v33, v18
	v_cmpx_gt_u32_e32 8, v1
; %bb.47:                               ;   in Loop: Header=BB384_16 Depth=1
	v_ffbh_u32_e32 v0, v18
	v_min_u32_e32 v0, 32, v0
	v_subrev_nc_u32_e32 v1, 28, v0
	v_sub_nc_u32_e32 v0, 29, v0
	v_lshlrev_b64 v[1:2], v1, v[18:19]
	v_and_b32_e32 v33, 7, v1
; %bb.48:                               ;   in Loop: Header=BB384_16 Depth=1
	s_or_b32 exec_lo, exec_lo, s28
	v_mov_b32_e32 v1, 24
	v_lshlrev_b32_e32 v2, 20, v33
	v_lshl_add_u32 v0, v0, 23, 0x3c000000
	v_lshlrev_b32_sdwa v1, v1, v31 dst_sel:DWORD dst_unused:UNUSED_PAD src0_sel:DWORD src1_sel:BYTE_3
	v_and_b32_e32 v1, 0x80000000, v1
	v_or3_b32 v0, v2, v1, v0
	buffer_store_dword v0, off, s[0:3], s32 offset:248 ; 4-byte Folded Spill
.LBB384_49:                             ;   in Loop: Header=BB384_16 Depth=1
	s_or_b32 exec_lo, exec_lo, s27
.LBB384_50:                             ;   in Loop: Header=BB384_16 Depth=1
	s_or_b32 exec_lo, exec_lo, s26
.LBB384_51:                             ;   in Loop: Header=BB384_16 Depth=1
	s_or_b32 exec_lo, exec_lo, s25
	v_mov_b32_e32 v18, v32
	v_cmp_ne_u16_sdwa s5, v32, v19 src0_sel:BYTE_0 src1_sel:DWORD
	v_mov_b32_e32 v86, 0
	v_mov_b32_e32 v101, 0
	s_and_saveexec_b32 s25, s5
	s_cbranch_execz .LBB384_59
; %bb.52:                               ;   in Loop: Header=BB384_16 Depth=1
	v_cmp_ne_u16_sdwa s5, v32, v87 src0_sel:BYTE_0 src1_sel:DWORD
	v_bfrev_b32_e32 v101, 1
	s_and_saveexec_b32 s26, s5
	s_cbranch_execz .LBB384_58
; %bb.53:                               ;   in Loop: Header=BB384_16 Depth=1
	v_and_b32_e32 v1, 0x7f, v32
	v_mov_b32_e32 v101, 0x7f800001
	s_mov_b32 s27, exec_lo
	v_cmpx_ne_u32_e32 0x7f, v1
	s_cbranch_execz .LBB384_57
; %bb.54:                               ;   in Loop: Header=BB384_16 Depth=1
	v_mov_b32_e32 v34, v19
	v_lshrrev_b32_e32 v0, 3, v1
	v_mov_b32_e32 v33, v18
	s_mov_b32 s28, exec_lo
	v_cmpx_gt_u32_e32 8, v1
; %bb.55:                               ;   in Loop: Header=BB384_16 Depth=1
	v_and_b32_e32 v0, 7, v32
	v_ffbh_u32_e32 v0, v0
	v_min_u32_e32 v0, 32, v0
	v_subrev_nc_u32_e32 v1, 28, v0
	v_sub_nc_u32_e32 v0, 29, v0
	v_lshlrev_b64 v[33:34], v1, v[18:19]
; %bb.56:                               ;   in Loop: Header=BB384_16 Depth=1
	s_or_b32 exec_lo, exec_lo, s28
	v_lshlrev_b32_e32 v1, 20, v33
	v_lshlrev_b32_e32 v2, 24, v18
	v_lshl_add_u32 v0, v0, 23, 0x3c000000
	v_and_b32_e32 v1, 0x700000, v1
	v_and_b32_e32 v2, 0x80000000, v2
	v_or3_b32 v101, v1, v2, v0
.LBB384_57:                             ;   in Loop: Header=BB384_16 Depth=1
	s_or_b32 exec_lo, exec_lo, s27
.LBB384_58:                             ;   in Loop: Header=BB384_16 Depth=1
	s_or_b32 exec_lo, exec_lo, s26
.LBB384_59:                             ;   in Loop: Header=BB384_16 Depth=1
	s_or_b32 exec_lo, exec_lo, s25
	v_cmp_ne_u16_sdwa s5, v18, v19 src0_sel:BYTE_1 src1_sel:DWORD
	s_and_saveexec_b32 s25, s5
	s_cbranch_execz .LBB384_67
; %bb.60:                               ;   in Loop: Header=BB384_16 Depth=1
	v_cmp_ne_u16_sdwa s5, v18, v87 src0_sel:BYTE_1 src1_sel:DWORD
	v_bfrev_b32_e32 v86, 1
	s_and_saveexec_b32 s26, s5
	s_cbranch_execz .LBB384_66
; %bb.61:                               ;   in Loop: Header=BB384_16 Depth=1
	v_mov_b32_e32 v0, 0xffff
	v_mov_b32_e32 v86, 0x7f800001
	s_mov_b32 s27, exec_lo
	v_and_b32_sdwa v0, v0, v18 dst_sel:DWORD dst_unused:UNUSED_PAD src0_sel:DWORD src1_sel:BYTE_1
	v_and_b32_e32 v1, 0x7f, v0
	v_cmpx_ne_u32_e32 0x7f, v1
	s_cbranch_execz .LBB384_65
; %bb.62:                               ;   in Loop: Header=BB384_16 Depth=1
	v_and_b32_e32 v33, 7, v0
	v_mov_b32_e32 v34, v19
	v_lshrrev_b32_e32 v0, 3, v1
	s_mov_b32 s28, exec_lo
	v_cmpx_gt_u32_e32 8, v1
; %bb.63:                               ;   in Loop: Header=BB384_16 Depth=1
	v_ffbh_u32_e32 v0, v33
	v_min_u32_e32 v0, 32, v0
	v_subrev_nc_u32_e32 v1, 28, v0
	v_sub_nc_u32_e32 v0, 29, v0
	v_lshlrev_b64 v[1:2], v1, v[33:34]
	v_and_b32_e32 v33, 7, v1
; %bb.64:                               ;   in Loop: Header=BB384_16 Depth=1
	s_or_b32 exec_lo, exec_lo, s28
	v_lshlrev_b32_e32 v1, 16, v18
	v_lshlrev_b32_e32 v2, 20, v33
	v_lshl_add_u32 v0, v0, 23, 0x3c000000
	v_and_b32_e32 v1, 0x80000000, v1
	v_or3_b32 v86, v2, v1, v0
.LBB384_65:                             ;   in Loop: Header=BB384_16 Depth=1
	s_or_b32 exec_lo, exec_lo, s27
.LBB384_66:                             ;   in Loop: Header=BB384_16 Depth=1
	s_or_b32 exec_lo, exec_lo, s26
.LBB384_67:                             ;   in Loop: Header=BB384_16 Depth=1
	s_or_b32 exec_lo, exec_lo, s25
	v_mov_b32_e32 v0, 0xff
	v_mov_b32_e32 v69, 0
	;; [unrolled: 1-line block ×3, first 2 shown]
	s_mov_b32 s25, exec_lo
	v_and_b32_sdwa v0, v32, v0 dst_sel:DWORD dst_unused:UNUSED_PAD src0_sel:WORD_1 src1_sel:DWORD
	v_cmpx_ne_u16_e32 0, v0
	s_cbranch_execz .LBB384_75
; %bb.68:                               ;   in Loop: Header=BB384_16 Depth=1
	v_bfrev_b32_e32 v98, 1
	s_mov_b32 s26, exec_lo
	v_cmpx_ne_u16_e32 0x80, v0
	s_cbranch_execz .LBB384_74
; %bb.69:                               ;   in Loop: Header=BB384_16 Depth=1
	v_bfe_u32 v1, v32, 16, 7
	v_mov_b32_e32 v98, 0x7f800001
	s_mov_b32 s27, exec_lo
	v_cmpx_ne_u32_e32 0x7f, v1
	s_cbranch_execz .LBB384_73
; %bb.70:                               ;   in Loop: Header=BB384_16 Depth=1
	v_mov_b32_e32 v0, 7
	s_mov_b32 s28, exec_lo
	v_and_b32_sdwa v18, v32, v0 dst_sel:DWORD dst_unused:UNUSED_PAD src0_sel:WORD_1 src1_sel:DWORD
	v_mov_b32_e32 v34, v19
	v_lshrrev_b32_e32 v0, 3, v1
	v_mov_b32_e32 v33, v18
	v_cmpx_gt_u32_e32 8, v1
; %bb.71:                               ;   in Loop: Header=BB384_16 Depth=1
	v_ffbh_u32_e32 v0, v18
	v_min_u32_e32 v0, 32, v0
	v_subrev_nc_u32_e32 v1, 28, v0
	v_sub_nc_u32_e32 v0, 29, v0
	v_lshlrev_b64 v[1:2], v1, v[18:19]
	v_and_b32_e32 v33, 7, v1
; %bb.72:                               ;   in Loop: Header=BB384_16 Depth=1
	s_or_b32 exec_lo, exec_lo, s28
	v_mov_b32_e32 v1, 24
	v_lshlrev_b32_e32 v2, 20, v33
	v_lshl_add_u32 v0, v0, 23, 0x3c000000
	v_lshlrev_b32_sdwa v1, v1, v32 dst_sel:DWORD dst_unused:UNUSED_PAD src0_sel:DWORD src1_sel:WORD_1
	v_and_b32_e32 v1, 0x80000000, v1
	v_or3_b32 v98, v2, v1, v0
.LBB384_73:                             ;   in Loop: Header=BB384_16 Depth=1
	s_or_b32 exec_lo, exec_lo, s27
.LBB384_74:                             ;   in Loop: Header=BB384_16 Depth=1
	s_or_b32 exec_lo, exec_lo, s26
.LBB384_75:                             ;   in Loop: Header=BB384_16 Depth=1
	s_or_b32 exec_lo, exec_lo, s25
	s_mov_b32 s25, exec_lo
	v_cmpx_lt_u64_e64 s[20:21], v[31:32]
	s_cbranch_execz .LBB384_83
; %bb.76:                               ;   in Loop: Header=BB384_16 Depth=1
	v_cmp_ne_u32_sdwa s5, v32, v87 src0_sel:BYTE_3 src1_sel:DWORD
	v_bfrev_b32_e32 v69, 1
	s_and_saveexec_b32 s26, s5
	s_cbranch_execz .LBB384_82
; %bb.77:                               ;   in Loop: Header=BB384_16 Depth=1
	v_bfe_u32 v1, v32, 24, 7
	v_mov_b32_e32 v69, 0x7f800001
	s_mov_b32 s27, exec_lo
	v_cmpx_ne_u32_e32 0x7f, v1
	s_cbranch_execz .LBB384_81
; %bb.78:                               ;   in Loop: Header=BB384_16 Depth=1
	v_mov_b32_e32 v0, 7
	s_mov_b32 s28, exec_lo
	v_and_b32_sdwa v18, v32, v0 dst_sel:DWORD dst_unused:UNUSED_PAD src0_sel:BYTE_3 src1_sel:DWORD
	v_mov_b32_e32 v34, v19
	v_lshrrev_b32_e32 v0, 3, v1
	v_mov_b32_e32 v33, v18
	v_cmpx_gt_u32_e32 8, v1
; %bb.79:                               ;   in Loop: Header=BB384_16 Depth=1
	v_ffbh_u32_e32 v0, v18
	v_min_u32_e32 v0, 32, v0
	v_subrev_nc_u32_e32 v1, 28, v0
	v_sub_nc_u32_e32 v0, 29, v0
	v_lshlrev_b64 v[1:2], v1, v[18:19]
	v_and_b32_e32 v33, 7, v1
; %bb.80:                               ;   in Loop: Header=BB384_16 Depth=1
	s_or_b32 exec_lo, exec_lo, s28
	v_mov_b32_e32 v1, 24
	v_lshlrev_b32_e32 v2, 20, v33
	v_lshl_add_u32 v0, v0, 23, 0x3c000000
	v_lshlrev_b32_sdwa v1, v1, v32 dst_sel:DWORD dst_unused:UNUSED_PAD src0_sel:DWORD src1_sel:BYTE_3
	v_and_b32_e32 v1, 0x80000000, v1
	v_or3_b32 v69, v2, v1, v0
.LBB384_81:                             ;   in Loop: Header=BB384_16 Depth=1
	s_or_b32 exec_lo, exec_lo, s27
.LBB384_82:                             ;   in Loop: Header=BB384_16 Depth=1
	s_or_b32 exec_lo, exec_lo, s26
.LBB384_83:                             ;   in Loop: Header=BB384_16 Depth=1
	s_or_b32 exec_lo, exec_lo, s25
	flat_load_dwordx2 v[31:32], v[28:29] offset:8
	v_mov_b32_e32 v0, 0
	v_mov_b32_e32 v126, 0
	buffer_store_dword v0, off, s[0:3], s32 offset:252 ; 4-byte Folded Spill
	s_waitcnt vmcnt(0) lgkmcnt(0)
	v_cmp_ne_u16_sdwa s5, v31, v19 src0_sel:BYTE_0 src1_sel:DWORD
	s_and_saveexec_b32 s25, s5
	s_cbranch_execz .LBB384_91
; %bb.84:                               ;   in Loop: Header=BB384_16 Depth=1
	v_cmp_ne_u16_sdwa s5, v31, v87 src0_sel:BYTE_0 src1_sel:DWORD
	v_bfrev_b32_e32 v126, 1
	s_and_saveexec_b32 s26, s5
	s_cbranch_execz .LBB384_90
; %bb.85:                               ;   in Loop: Header=BB384_16 Depth=1
	v_and_b32_e32 v1, 0x7f, v31
	v_mov_b32_e32 v126, 0x7f800001
	s_mov_b32 s27, exec_lo
	v_cmpx_ne_u32_e32 0x7f, v1
	s_cbranch_execz .LBB384_89
; %bb.86:                               ;   in Loop: Header=BB384_16 Depth=1
	v_mov_b32_e32 v34, v32
	v_lshrrev_b32_e32 v0, 3, v1
	v_mov_b32_e32 v33, v31
	s_mov_b32 s28, exec_lo
	v_cmpx_gt_u32_e32 8, v1
; %bb.87:                               ;   in Loop: Header=BB384_16 Depth=1
	v_and_b32_e32 v0, 7, v31
	v_ffbh_u32_e32 v0, v0
	v_min_u32_e32 v0, 32, v0
	v_subrev_nc_u32_e32 v1, 28, v0
	v_sub_nc_u32_e32 v0, 29, v0
	v_lshlrev_b64 v[33:34], v1, v[31:32]
; %bb.88:                               ;   in Loop: Header=BB384_16 Depth=1
	s_or_b32 exec_lo, exec_lo, s28
	v_lshlrev_b32_e32 v1, 20, v33
	v_lshlrev_b32_e32 v2, 24, v31
	v_lshl_add_u32 v0, v0, 23, 0x3c000000
	v_and_b32_e32 v1, 0x700000, v1
	v_and_b32_e32 v2, 0x80000000, v2
	v_or3_b32 v126, v1, v2, v0
.LBB384_89:                             ;   in Loop: Header=BB384_16 Depth=1
	s_or_b32 exec_lo, exec_lo, s27
.LBB384_90:                             ;   in Loop: Header=BB384_16 Depth=1
	s_or_b32 exec_lo, exec_lo, s26
.LBB384_91:                             ;   in Loop: Header=BB384_16 Depth=1
	s_or_b32 exec_lo, exec_lo, s25
	v_cmp_ne_u16_sdwa s5, v31, v19 src0_sel:BYTE_1 src1_sel:DWORD
	s_and_saveexec_b32 s25, s5
	s_cbranch_execz .LBB384_99
; %bb.92:                               ;   in Loop: Header=BB384_16 Depth=1
	v_cmp_ne_u16_sdwa s5, v31, v87 src0_sel:BYTE_1 src1_sel:DWORD
	v_bfrev_b32_e32 v0, 1
	buffer_store_dword v0, off, s[0:3], s32 offset:252 ; 4-byte Folded Spill
	s_and_saveexec_b32 s26, s5
	s_cbranch_execz .LBB384_98
; %bb.93:                               ;   in Loop: Header=BB384_16 Depth=1
	v_mov_b32_e32 v0, 0xffff
	v_mov_b32_e32 v2, 0x7f800001
	s_mov_b32 s27, exec_lo
	v_and_b32_sdwa v0, v0, v31 dst_sel:DWORD dst_unused:UNUSED_PAD src0_sel:DWORD src1_sel:BYTE_1
	buffer_store_dword v2, off, s[0:3], s32 offset:252 ; 4-byte Folded Spill
	v_and_b32_e32 v1, 0x7f, v0
	v_cmpx_ne_u32_e32 0x7f, v1
	s_cbranch_execz .LBB384_97
; %bb.94:                               ;   in Loop: Header=BB384_16 Depth=1
	v_and_b32_e32 v18, 7, v0
	v_mov_b32_e32 v34, v19
	v_lshrrev_b32_e32 v0, 3, v1
	s_mov_b32 s28, exec_lo
	v_mov_b32_e32 v33, v18
	v_cmpx_gt_u32_e32 8, v1
; %bb.95:                               ;   in Loop: Header=BB384_16 Depth=1
	v_ffbh_u32_e32 v0, v18
	v_min_u32_e32 v0, 32, v0
	v_subrev_nc_u32_e32 v1, 28, v0
	v_sub_nc_u32_e32 v0, 29, v0
	v_lshlrev_b64 v[1:2], v1, v[18:19]
	v_and_b32_e32 v33, 7, v1
; %bb.96:                               ;   in Loop: Header=BB384_16 Depth=1
	s_or_b32 exec_lo, exec_lo, s28
	v_lshlrev_b32_e32 v1, 16, v31
	v_lshlrev_b32_e32 v2, 20, v33
	v_lshl_add_u32 v0, v0, 23, 0x3c000000
	v_and_b32_e32 v1, 0x80000000, v1
	v_or3_b32 v0, v2, v1, v0
	buffer_store_dword v0, off, s[0:3], s32 offset:252 ; 4-byte Folded Spill
.LBB384_97:                             ;   in Loop: Header=BB384_16 Depth=1
	s_or_b32 exec_lo, exec_lo, s27
.LBB384_98:                             ;   in Loop: Header=BB384_16 Depth=1
	s_or_b32 exec_lo, exec_lo, s26
.LBB384_99:                             ;   in Loop: Header=BB384_16 Depth=1
	s_or_b32 exec_lo, exec_lo, s25
	v_mov_b32_e32 v0, 0xff
	v_mov_b32_e32 v1, 0
	s_mov_b32 s25, exec_lo
	v_and_b32_sdwa v0, v31, v0 dst_sel:DWORD dst_unused:UNUSED_PAD src0_sel:WORD_1 src1_sel:DWORD
	buffer_store_dword v1, off, s[0:3], s32 offset:256 ; 4-byte Folded Spill
	v_mov_b32_e32 v1, 0
	buffer_store_dword v1, off, s[0:3], s32 offset:672 ; 4-byte Folded Spill
	v_cmpx_ne_u16_e32 0, v0
	s_cbranch_execz .LBB384_107
; %bb.100:                              ;   in Loop: Header=BB384_16 Depth=1
	v_cmp_ne_u16_e64 s5, 0x80, v0
	v_bfrev_b32_e32 v0, 1
	s_and_saveexec_b32 s26, s5
	s_cbranch_execz .LBB384_106
; %bb.101:                              ;   in Loop: Header=BB384_16 Depth=1
	v_bfe_u32 v1, v31, 16, 7
	v_mov_b32_e32 v0, 0x7f800001
	s_mov_b32 s27, exec_lo
	v_cmpx_ne_u32_e32 0x7f, v1
	s_cbranch_execz .LBB384_105
; %bb.102:                              ;   in Loop: Header=BB384_16 Depth=1
	v_mov_b32_e32 v0, 7
	s_mov_b32 s28, exec_lo
	v_and_b32_sdwa v18, v31, v0 dst_sel:DWORD dst_unused:UNUSED_PAD src0_sel:WORD_1 src1_sel:DWORD
	v_mov_b32_e32 v34, v19
	v_lshrrev_b32_e32 v0, 3, v1
	v_mov_b32_e32 v33, v18
	v_cmpx_gt_u32_e32 8, v1
; %bb.103:                              ;   in Loop: Header=BB384_16 Depth=1
	v_ffbh_u32_e32 v0, v18
	v_min_u32_e32 v0, 32, v0
	v_subrev_nc_u32_e32 v1, 28, v0
	v_sub_nc_u32_e32 v0, 29, v0
	v_lshlrev_b64 v[1:2], v1, v[18:19]
	v_and_b32_e32 v33, 7, v1
; %bb.104:                              ;   in Loop: Header=BB384_16 Depth=1
	s_or_b32 exec_lo, exec_lo, s28
	v_mov_b32_e32 v1, 24
	v_lshlrev_b32_e32 v2, 20, v33
	v_lshl_add_u32 v0, v0, 23, 0x3c000000
	v_lshlrev_b32_sdwa v1, v1, v31 dst_sel:DWORD dst_unused:UNUSED_PAD src0_sel:DWORD src1_sel:WORD_1
	v_and_b32_e32 v1, 0x80000000, v1
	v_or3_b32 v0, v2, v1, v0
.LBB384_105:                            ;   in Loop: Header=BB384_16 Depth=1
	s_or_b32 exec_lo, exec_lo, s27
.LBB384_106:                            ;   in Loop: Header=BB384_16 Depth=1
	s_or_b32 exec_lo, exec_lo, s26
	buffer_store_dword v0, off, s[0:3], s32 offset:672 ; 4-byte Folded Spill
.LBB384_107:                            ;   in Loop: Header=BB384_16 Depth=1
	s_or_b32 exec_lo, exec_lo, s25
	s_mov_b32 s25, exec_lo
	v_cmpx_lt_u32_e32 0xffffff, v31
	s_cbranch_execz .LBB384_115
; %bb.108:                              ;   in Loop: Header=BB384_16 Depth=1
	v_cmp_ne_u32_sdwa s5, v31, v87 src0_sel:BYTE_3 src1_sel:DWORD
	v_bfrev_b32_e32 v0, 1
	buffer_store_dword v0, off, s[0:3], s32 offset:256 ; 4-byte Folded Spill
	s_and_saveexec_b32 s26, s5
	s_cbranch_execz .LBB384_114
; %bb.109:                              ;   in Loop: Header=BB384_16 Depth=1
	v_bfe_u32 v1, v31, 24, 7
	v_mov_b32_e32 v0, 0x7f800001
	s_mov_b32 s27, exec_lo
	buffer_store_dword v0, off, s[0:3], s32 offset:256 ; 4-byte Folded Spill
	v_cmpx_ne_u32_e32 0x7f, v1
	s_cbranch_execz .LBB384_113
; %bb.110:                              ;   in Loop: Header=BB384_16 Depth=1
	v_mov_b32_e32 v0, 7
	s_mov_b32 s28, exec_lo
	v_and_b32_sdwa v18, v31, v0 dst_sel:DWORD dst_unused:UNUSED_PAD src0_sel:BYTE_3 src1_sel:DWORD
	v_mov_b32_e32 v34, v19
	v_lshrrev_b32_e32 v0, 3, v1
	v_mov_b32_e32 v33, v18
	v_cmpx_gt_u32_e32 8, v1
; %bb.111:                              ;   in Loop: Header=BB384_16 Depth=1
	v_ffbh_u32_e32 v0, v18
	v_min_u32_e32 v0, 32, v0
	v_subrev_nc_u32_e32 v1, 28, v0
	v_sub_nc_u32_e32 v0, 29, v0
	v_lshlrev_b64 v[1:2], v1, v[18:19]
	v_and_b32_e32 v33, 7, v1
; %bb.112:                              ;   in Loop: Header=BB384_16 Depth=1
	s_or_b32 exec_lo, exec_lo, s28
	v_mov_b32_e32 v1, 24
	v_lshlrev_b32_e32 v2, 20, v33
	v_lshl_add_u32 v0, v0, 23, 0x3c000000
	v_lshlrev_b32_sdwa v1, v1, v31 dst_sel:DWORD dst_unused:UNUSED_PAD src0_sel:DWORD src1_sel:BYTE_3
	v_and_b32_e32 v1, 0x80000000, v1
	v_or3_b32 v0, v2, v1, v0
	buffer_store_dword v0, off, s[0:3], s32 offset:256 ; 4-byte Folded Spill
.LBB384_113:                            ;   in Loop: Header=BB384_16 Depth=1
	s_or_b32 exec_lo, exec_lo, s27
.LBB384_114:                            ;   in Loop: Header=BB384_16 Depth=1
	s_or_b32 exec_lo, exec_lo, s26
.LBB384_115:                            ;   in Loop: Header=BB384_16 Depth=1
	s_or_b32 exec_lo, exec_lo, s25
	v_mov_b32_e32 v0, 0
	v_mov_b32_e32 v18, v32
	v_cmp_ne_u16_sdwa s5, v32, v19 src0_sel:BYTE_0 src1_sel:DWORD
	buffer_store_dword v0, off, s[0:3], s32 offset:264 ; 4-byte Folded Spill
	v_mov_b32_e32 v0, 0
	buffer_store_dword v0, off, s[0:3], s32 offset:260 ; 4-byte Folded Spill
	s_and_saveexec_b32 s25, s5
	s_cbranch_execz .LBB384_123
; %bb.116:                              ;   in Loop: Header=BB384_16 Depth=1
	v_cmp_ne_u16_sdwa s5, v32, v87 src0_sel:BYTE_0 src1_sel:DWORD
	v_bfrev_b32_e32 v0, 1
	buffer_store_dword v0, off, s[0:3], s32 offset:260 ; 4-byte Folded Spill
	s_and_saveexec_b32 s26, s5
	s_cbranch_execz .LBB384_122
; %bb.117:                              ;   in Loop: Header=BB384_16 Depth=1
	v_and_b32_e32 v1, 0x7f, v32
	v_mov_b32_e32 v0, 0x7f800001
	s_mov_b32 s27, exec_lo
	buffer_store_dword v0, off, s[0:3], s32 offset:260 ; 4-byte Folded Spill
	v_cmpx_ne_u32_e32 0x7f, v1
	s_cbranch_execz .LBB384_121
; %bb.118:                              ;   in Loop: Header=BB384_16 Depth=1
	v_mov_b32_e32 v34, v19
	v_lshrrev_b32_e32 v0, 3, v1
	v_mov_b32_e32 v33, v18
	s_mov_b32 s28, exec_lo
	v_cmpx_gt_u32_e32 8, v1
; %bb.119:                              ;   in Loop: Header=BB384_16 Depth=1
	v_and_b32_e32 v0, 7, v32
	v_ffbh_u32_e32 v0, v0
	v_min_u32_e32 v0, 32, v0
	v_subrev_nc_u32_e32 v1, 28, v0
	v_sub_nc_u32_e32 v0, 29, v0
	v_lshlrev_b64 v[33:34], v1, v[18:19]
; %bb.120:                              ;   in Loop: Header=BB384_16 Depth=1
	s_or_b32 exec_lo, exec_lo, s28
	v_lshlrev_b32_e32 v1, 20, v33
	v_lshlrev_b32_e32 v2, 24, v18
	v_lshl_add_u32 v0, v0, 23, 0x3c000000
	v_and_b32_e32 v1, 0x700000, v1
	v_and_b32_e32 v2, 0x80000000, v2
	v_or3_b32 v0, v1, v2, v0
	buffer_store_dword v0, off, s[0:3], s32 offset:260 ; 4-byte Folded Spill
.LBB384_121:                            ;   in Loop: Header=BB384_16 Depth=1
	s_or_b32 exec_lo, exec_lo, s27
.LBB384_122:                            ;   in Loop: Header=BB384_16 Depth=1
	s_or_b32 exec_lo, exec_lo, s26
.LBB384_123:                            ;   in Loop: Header=BB384_16 Depth=1
	s_or_b32 exec_lo, exec_lo, s25
	v_cmp_ne_u16_sdwa s5, v18, v19 src0_sel:BYTE_1 src1_sel:DWORD
	s_and_saveexec_b32 s25, s5
	s_cbranch_execz .LBB384_131
; %bb.124:                              ;   in Loop: Header=BB384_16 Depth=1
	v_cmp_ne_u16_sdwa s5, v18, v87 src0_sel:BYTE_1 src1_sel:DWORD
	v_bfrev_b32_e32 v0, 1
	buffer_store_dword v0, off, s[0:3], s32 offset:264 ; 4-byte Folded Spill
	s_and_saveexec_b32 s26, s5
	s_cbranch_execz .LBB384_130
; %bb.125:                              ;   in Loop: Header=BB384_16 Depth=1
	v_mov_b32_e32 v0, 0xffff
	v_mov_b32_e32 v2, 0x7f800001
	s_mov_b32 s27, exec_lo
	v_and_b32_sdwa v0, v0, v18 dst_sel:DWORD dst_unused:UNUSED_PAD src0_sel:DWORD src1_sel:BYTE_1
	buffer_store_dword v2, off, s[0:3], s32 offset:264 ; 4-byte Folded Spill
	v_and_b32_e32 v1, 0x7f, v0
	v_cmpx_ne_u32_e32 0x7f, v1
	s_cbranch_execz .LBB384_129
; %bb.126:                              ;   in Loop: Header=BB384_16 Depth=1
	v_and_b32_e32 v33, 7, v0
	v_mov_b32_e32 v34, v19
	v_lshrrev_b32_e32 v0, 3, v1
	s_mov_b32 s28, exec_lo
	v_cmpx_gt_u32_e32 8, v1
; %bb.127:                              ;   in Loop: Header=BB384_16 Depth=1
	v_ffbh_u32_e32 v0, v33
	v_min_u32_e32 v0, 32, v0
	v_subrev_nc_u32_e32 v1, 28, v0
	v_sub_nc_u32_e32 v0, 29, v0
	v_lshlrev_b64 v[1:2], v1, v[33:34]
	v_and_b32_e32 v33, 7, v1
; %bb.128:                              ;   in Loop: Header=BB384_16 Depth=1
	s_or_b32 exec_lo, exec_lo, s28
	v_lshlrev_b32_e32 v1, 16, v18
	v_lshlrev_b32_e32 v2, 20, v33
	v_lshl_add_u32 v0, v0, 23, 0x3c000000
	v_and_b32_e32 v1, 0x80000000, v1
	v_or3_b32 v0, v2, v1, v0
	buffer_store_dword v0, off, s[0:3], s32 offset:264 ; 4-byte Folded Spill
.LBB384_129:                            ;   in Loop: Header=BB384_16 Depth=1
	s_or_b32 exec_lo, exec_lo, s27
.LBB384_130:                            ;   in Loop: Header=BB384_16 Depth=1
	s_or_b32 exec_lo, exec_lo, s26
.LBB384_131:                            ;   in Loop: Header=BB384_16 Depth=1
	s_or_b32 exec_lo, exec_lo, s25
	v_mov_b32_e32 v0, 0xff
	v_mov_b32_e32 v1, 0
	s_mov_b32 s25, exec_lo
	v_and_b32_sdwa v0, v32, v0 dst_sel:DWORD dst_unused:UNUSED_PAD src0_sel:WORD_1 src1_sel:DWORD
	buffer_store_dword v1, off, s[0:3], s32 offset:268 ; 4-byte Folded Spill
	v_mov_b32_e32 v1, 0
	buffer_store_dword v1, off, s[0:3], s32 offset:676 ; 4-byte Folded Spill
	v_cmpx_ne_u16_e32 0, v0
	s_cbranch_execz .LBB384_139
; %bb.132:                              ;   in Loop: Header=BB384_16 Depth=1
	v_cmp_ne_u16_e64 s5, 0x80, v0
	v_bfrev_b32_e32 v0, 1
	s_and_saveexec_b32 s26, s5
	s_cbranch_execz .LBB384_138
; %bb.133:                              ;   in Loop: Header=BB384_16 Depth=1
	v_bfe_u32 v1, v32, 16, 7
	v_mov_b32_e32 v0, 0x7f800001
	s_mov_b32 s27, exec_lo
	v_cmpx_ne_u32_e32 0x7f, v1
	s_cbranch_execz .LBB384_137
; %bb.134:                              ;   in Loop: Header=BB384_16 Depth=1
	v_mov_b32_e32 v0, 7
	s_mov_b32 s28, exec_lo
	v_and_b32_sdwa v18, v32, v0 dst_sel:DWORD dst_unused:UNUSED_PAD src0_sel:WORD_1 src1_sel:DWORD
	v_mov_b32_e32 v34, v19
	v_lshrrev_b32_e32 v0, 3, v1
	v_mov_b32_e32 v33, v18
	v_cmpx_gt_u32_e32 8, v1
; %bb.135:                              ;   in Loop: Header=BB384_16 Depth=1
	v_ffbh_u32_e32 v0, v18
	v_min_u32_e32 v0, 32, v0
	v_subrev_nc_u32_e32 v1, 28, v0
	v_sub_nc_u32_e32 v0, 29, v0
	v_lshlrev_b64 v[1:2], v1, v[18:19]
	v_and_b32_e32 v33, 7, v1
; %bb.136:                              ;   in Loop: Header=BB384_16 Depth=1
	s_or_b32 exec_lo, exec_lo, s28
	v_mov_b32_e32 v1, 24
	v_lshlrev_b32_e32 v2, 20, v33
	v_lshl_add_u32 v0, v0, 23, 0x3c000000
	v_lshlrev_b32_sdwa v1, v1, v32 dst_sel:DWORD dst_unused:UNUSED_PAD src0_sel:DWORD src1_sel:WORD_1
	v_and_b32_e32 v1, 0x80000000, v1
	v_or3_b32 v0, v2, v1, v0
.LBB384_137:                            ;   in Loop: Header=BB384_16 Depth=1
	s_or_b32 exec_lo, exec_lo, s27
.LBB384_138:                            ;   in Loop: Header=BB384_16 Depth=1
	s_or_b32 exec_lo, exec_lo, s26
	buffer_store_dword v0, off, s[0:3], s32 offset:676 ; 4-byte Folded Spill
.LBB384_139:                            ;   in Loop: Header=BB384_16 Depth=1
	s_or_b32 exec_lo, exec_lo, s25
	s_mov_b32 s25, exec_lo
	v_cmpx_lt_u64_e64 s[20:21], v[31:32]
	s_cbranch_execz .LBB384_147
; %bb.140:                              ;   in Loop: Header=BB384_16 Depth=1
	v_cmp_ne_u32_sdwa s5, v32, v87 src0_sel:BYTE_3 src1_sel:DWORD
	v_bfrev_b32_e32 v0, 1
	buffer_store_dword v0, off, s[0:3], s32 offset:268 ; 4-byte Folded Spill
	s_and_saveexec_b32 s26, s5
	s_cbranch_execz .LBB384_146
; %bb.141:                              ;   in Loop: Header=BB384_16 Depth=1
	v_bfe_u32 v1, v32, 24, 7
	v_mov_b32_e32 v0, 0x7f800001
	s_mov_b32 s27, exec_lo
	buffer_store_dword v0, off, s[0:3], s32 offset:268 ; 4-byte Folded Spill
	v_cmpx_ne_u32_e32 0x7f, v1
	s_cbranch_execz .LBB384_145
; %bb.142:                              ;   in Loop: Header=BB384_16 Depth=1
	v_mov_b32_e32 v0, 7
	s_mov_b32 s28, exec_lo
	v_and_b32_sdwa v18, v32, v0 dst_sel:DWORD dst_unused:UNUSED_PAD src0_sel:BYTE_3 src1_sel:DWORD
	v_mov_b32_e32 v34, v19
	v_lshrrev_b32_e32 v0, 3, v1
	v_mov_b32_e32 v33, v18
	v_cmpx_gt_u32_e32 8, v1
; %bb.143:                              ;   in Loop: Header=BB384_16 Depth=1
	v_ffbh_u32_e32 v0, v18
	v_min_u32_e32 v0, 32, v0
	v_subrev_nc_u32_e32 v1, 28, v0
	v_sub_nc_u32_e32 v0, 29, v0
	v_lshlrev_b64 v[1:2], v1, v[18:19]
	v_and_b32_e32 v33, 7, v1
; %bb.144:                              ;   in Loop: Header=BB384_16 Depth=1
	s_or_b32 exec_lo, exec_lo, s28
	v_mov_b32_e32 v1, 24
	v_lshlrev_b32_e32 v2, 20, v33
	v_lshl_add_u32 v0, v0, 23, 0x3c000000
	v_lshlrev_b32_sdwa v1, v1, v32 dst_sel:DWORD dst_unused:UNUSED_PAD src0_sel:DWORD src1_sel:BYTE_3
	v_and_b32_e32 v1, 0x80000000, v1
	v_or3_b32 v0, v2, v1, v0
	buffer_store_dword v0, off, s[0:3], s32 offset:268 ; 4-byte Folded Spill
.LBB384_145:                            ;   in Loop: Header=BB384_16 Depth=1
	s_or_b32 exec_lo, exec_lo, s27
.LBB384_146:                            ;   in Loop: Header=BB384_16 Depth=1
	s_or_b32 exec_lo, exec_lo, s26
.LBB384_147:                            ;   in Loop: Header=BB384_16 Depth=1
	s_or_b32 exec_lo, exec_lo, s25
	flat_load_dwordx2 v[31:32], v[28:29] offset:512
	v_mov_b32_e32 v0, 0
	buffer_store_dword v0, off, s[0:3], s32 offset:276 ; 4-byte Folded Spill
	v_mov_b32_e32 v0, 0
	buffer_store_dword v0, off, s[0:3], s32 offset:272 ; 4-byte Folded Spill
	s_waitcnt vmcnt(0) lgkmcnt(0)
	v_cmp_ne_u16_sdwa s5, v31, v19 src0_sel:BYTE_0 src1_sel:DWORD
	s_and_saveexec_b32 s25, s5
	s_cbranch_execz .LBB384_155
; %bb.148:                              ;   in Loop: Header=BB384_16 Depth=1
	v_cmp_ne_u16_sdwa s5, v31, v87 src0_sel:BYTE_0 src1_sel:DWORD
	v_bfrev_b32_e32 v0, 1
	buffer_store_dword v0, off, s[0:3], s32 offset:272 ; 4-byte Folded Spill
	s_and_saveexec_b32 s26, s5
	s_cbranch_execz .LBB384_154
; %bb.149:                              ;   in Loop: Header=BB384_16 Depth=1
	v_and_b32_e32 v1, 0x7f, v31
	v_mov_b32_e32 v0, 0x7f800001
	s_mov_b32 s27, exec_lo
	buffer_store_dword v0, off, s[0:3], s32 offset:272 ; 4-byte Folded Spill
	v_cmpx_ne_u32_e32 0x7f, v1
	s_cbranch_execz .LBB384_153
; %bb.150:                              ;   in Loop: Header=BB384_16 Depth=1
	v_mov_b32_e32 v34, v32
	v_lshrrev_b32_e32 v0, 3, v1
	v_mov_b32_e32 v33, v31
	s_mov_b32 s28, exec_lo
	v_cmpx_gt_u32_e32 8, v1
; %bb.151:                              ;   in Loop: Header=BB384_16 Depth=1
	v_and_b32_e32 v0, 7, v31
	v_ffbh_u32_e32 v0, v0
	v_min_u32_e32 v0, 32, v0
	v_subrev_nc_u32_e32 v1, 28, v0
	v_sub_nc_u32_e32 v0, 29, v0
	v_lshlrev_b64 v[33:34], v1, v[31:32]
; %bb.152:                              ;   in Loop: Header=BB384_16 Depth=1
	s_or_b32 exec_lo, exec_lo, s28
	v_lshlrev_b32_e32 v1, 20, v33
	v_lshlrev_b32_e32 v2, 24, v31
	v_lshl_add_u32 v0, v0, 23, 0x3c000000
	v_and_b32_e32 v1, 0x700000, v1
	v_and_b32_e32 v2, 0x80000000, v2
	v_or3_b32 v0, v1, v2, v0
	buffer_store_dword v0, off, s[0:3], s32 offset:272 ; 4-byte Folded Spill
.LBB384_153:                            ;   in Loop: Header=BB384_16 Depth=1
	s_or_b32 exec_lo, exec_lo, s27
.LBB384_154:                            ;   in Loop: Header=BB384_16 Depth=1
	s_or_b32 exec_lo, exec_lo, s26
.LBB384_155:                            ;   in Loop: Header=BB384_16 Depth=1
	s_or_b32 exec_lo, exec_lo, s25
	v_cmp_ne_u16_sdwa s5, v31, v19 src0_sel:BYTE_1 src1_sel:DWORD
	s_and_saveexec_b32 s25, s5
	s_cbranch_execz .LBB384_163
; %bb.156:                              ;   in Loop: Header=BB384_16 Depth=1
	v_cmp_ne_u16_sdwa s5, v31, v87 src0_sel:BYTE_1 src1_sel:DWORD
	v_bfrev_b32_e32 v0, 1
	buffer_store_dword v0, off, s[0:3], s32 offset:276 ; 4-byte Folded Spill
	s_and_saveexec_b32 s26, s5
	s_cbranch_execz .LBB384_162
; %bb.157:                              ;   in Loop: Header=BB384_16 Depth=1
	v_mov_b32_e32 v0, 0xffff
	v_mov_b32_e32 v2, 0x7f800001
	s_mov_b32 s27, exec_lo
	v_and_b32_sdwa v0, v0, v31 dst_sel:DWORD dst_unused:UNUSED_PAD src0_sel:DWORD src1_sel:BYTE_1
	buffer_store_dword v2, off, s[0:3], s32 offset:276 ; 4-byte Folded Spill
	v_and_b32_e32 v1, 0x7f, v0
	v_cmpx_ne_u32_e32 0x7f, v1
	s_cbranch_execz .LBB384_161
; %bb.158:                              ;   in Loop: Header=BB384_16 Depth=1
	v_and_b32_e32 v18, 7, v0
	v_mov_b32_e32 v34, v19
	v_lshrrev_b32_e32 v0, 3, v1
	s_mov_b32 s28, exec_lo
	v_mov_b32_e32 v33, v18
	v_cmpx_gt_u32_e32 8, v1
; %bb.159:                              ;   in Loop: Header=BB384_16 Depth=1
	v_ffbh_u32_e32 v0, v18
	v_min_u32_e32 v0, 32, v0
	v_subrev_nc_u32_e32 v1, 28, v0
	v_sub_nc_u32_e32 v0, 29, v0
	v_lshlrev_b64 v[1:2], v1, v[18:19]
	v_and_b32_e32 v33, 7, v1
; %bb.160:                              ;   in Loop: Header=BB384_16 Depth=1
	s_or_b32 exec_lo, exec_lo, s28
	v_lshlrev_b32_e32 v1, 16, v31
	v_lshlrev_b32_e32 v2, 20, v33
	v_lshl_add_u32 v0, v0, 23, 0x3c000000
	v_and_b32_e32 v1, 0x80000000, v1
	v_or3_b32 v0, v2, v1, v0
	buffer_store_dword v0, off, s[0:3], s32 offset:276 ; 4-byte Folded Spill
.LBB384_161:                            ;   in Loop: Header=BB384_16 Depth=1
	s_or_b32 exec_lo, exec_lo, s27
.LBB384_162:                            ;   in Loop: Header=BB384_16 Depth=1
	s_or_b32 exec_lo, exec_lo, s26
.LBB384_163:                            ;   in Loop: Header=BB384_16 Depth=1
	s_or_b32 exec_lo, exec_lo, s25
	v_mov_b32_e32 v0, 0xff
	v_mov_b32_e32 v1, 0
	s_mov_b32 s25, exec_lo
	v_and_b32_sdwa v0, v31, v0 dst_sel:DWORD dst_unused:UNUSED_PAD src0_sel:WORD_1 src1_sel:DWORD
	buffer_store_dword v1, off, s[0:3], s32 offset:280 ; 4-byte Folded Spill
	v_mov_b32_e32 v1, 0
	buffer_store_dword v1, off, s[0:3], s32 offset:680 ; 4-byte Folded Spill
	v_cmpx_ne_u16_e32 0, v0
	s_cbranch_execz .LBB384_171
; %bb.164:                              ;   in Loop: Header=BB384_16 Depth=1
	v_cmp_ne_u16_e64 s5, 0x80, v0
	v_bfrev_b32_e32 v0, 1
	s_and_saveexec_b32 s26, s5
	s_cbranch_execz .LBB384_170
; %bb.165:                              ;   in Loop: Header=BB384_16 Depth=1
	v_bfe_u32 v1, v31, 16, 7
	v_mov_b32_e32 v0, 0x7f800001
	s_mov_b32 s27, exec_lo
	v_cmpx_ne_u32_e32 0x7f, v1
	s_cbranch_execz .LBB384_169
; %bb.166:                              ;   in Loop: Header=BB384_16 Depth=1
	v_mov_b32_e32 v0, 7
	s_mov_b32 s28, exec_lo
	v_and_b32_sdwa v18, v31, v0 dst_sel:DWORD dst_unused:UNUSED_PAD src0_sel:WORD_1 src1_sel:DWORD
	v_mov_b32_e32 v34, v19
	v_lshrrev_b32_e32 v0, 3, v1
	v_mov_b32_e32 v33, v18
	v_cmpx_gt_u32_e32 8, v1
; %bb.167:                              ;   in Loop: Header=BB384_16 Depth=1
	v_ffbh_u32_e32 v0, v18
	v_min_u32_e32 v0, 32, v0
	v_subrev_nc_u32_e32 v1, 28, v0
	v_sub_nc_u32_e32 v0, 29, v0
	v_lshlrev_b64 v[1:2], v1, v[18:19]
	v_and_b32_e32 v33, 7, v1
; %bb.168:                              ;   in Loop: Header=BB384_16 Depth=1
	s_or_b32 exec_lo, exec_lo, s28
	v_mov_b32_e32 v1, 24
	v_lshlrev_b32_e32 v2, 20, v33
	v_lshl_add_u32 v0, v0, 23, 0x3c000000
	v_lshlrev_b32_sdwa v1, v1, v31 dst_sel:DWORD dst_unused:UNUSED_PAD src0_sel:DWORD src1_sel:WORD_1
	v_and_b32_e32 v1, 0x80000000, v1
	v_or3_b32 v0, v2, v1, v0
.LBB384_169:                            ;   in Loop: Header=BB384_16 Depth=1
	s_or_b32 exec_lo, exec_lo, s27
.LBB384_170:                            ;   in Loop: Header=BB384_16 Depth=1
	s_or_b32 exec_lo, exec_lo, s26
	buffer_store_dword v0, off, s[0:3], s32 offset:680 ; 4-byte Folded Spill
.LBB384_171:                            ;   in Loop: Header=BB384_16 Depth=1
	s_or_b32 exec_lo, exec_lo, s25
	s_mov_b32 s25, exec_lo
	v_cmpx_lt_u32_e32 0xffffff, v31
	s_cbranch_execz .LBB384_179
; %bb.172:                              ;   in Loop: Header=BB384_16 Depth=1
	v_cmp_ne_u32_sdwa s5, v31, v87 src0_sel:BYTE_3 src1_sel:DWORD
	v_bfrev_b32_e32 v0, 1
	buffer_store_dword v0, off, s[0:3], s32 offset:280 ; 4-byte Folded Spill
	s_and_saveexec_b32 s26, s5
	s_cbranch_execz .LBB384_178
; %bb.173:                              ;   in Loop: Header=BB384_16 Depth=1
	v_bfe_u32 v1, v31, 24, 7
	v_mov_b32_e32 v0, 0x7f800001
	s_mov_b32 s27, exec_lo
	buffer_store_dword v0, off, s[0:3], s32 offset:280 ; 4-byte Folded Spill
	v_cmpx_ne_u32_e32 0x7f, v1
	s_cbranch_execz .LBB384_177
; %bb.174:                              ;   in Loop: Header=BB384_16 Depth=1
	v_mov_b32_e32 v0, 7
	s_mov_b32 s28, exec_lo
	v_and_b32_sdwa v18, v31, v0 dst_sel:DWORD dst_unused:UNUSED_PAD src0_sel:BYTE_3 src1_sel:DWORD
	v_mov_b32_e32 v34, v19
	v_lshrrev_b32_e32 v0, 3, v1
	v_mov_b32_e32 v33, v18
	v_cmpx_gt_u32_e32 8, v1
; %bb.175:                              ;   in Loop: Header=BB384_16 Depth=1
	v_ffbh_u32_e32 v0, v18
	v_min_u32_e32 v0, 32, v0
	v_subrev_nc_u32_e32 v1, 28, v0
	v_sub_nc_u32_e32 v0, 29, v0
	v_lshlrev_b64 v[1:2], v1, v[18:19]
	v_and_b32_e32 v33, 7, v1
; %bb.176:                              ;   in Loop: Header=BB384_16 Depth=1
	s_or_b32 exec_lo, exec_lo, s28
	v_mov_b32_e32 v1, 24
	v_lshlrev_b32_e32 v2, 20, v33
	v_lshl_add_u32 v0, v0, 23, 0x3c000000
	v_lshlrev_b32_sdwa v1, v1, v31 dst_sel:DWORD dst_unused:UNUSED_PAD src0_sel:DWORD src1_sel:BYTE_3
	v_and_b32_e32 v1, 0x80000000, v1
	v_or3_b32 v0, v2, v1, v0
	buffer_store_dword v0, off, s[0:3], s32 offset:280 ; 4-byte Folded Spill
.LBB384_177:                            ;   in Loop: Header=BB384_16 Depth=1
	s_or_b32 exec_lo, exec_lo, s27
.LBB384_178:                            ;   in Loop: Header=BB384_16 Depth=1
	s_or_b32 exec_lo, exec_lo, s26
.LBB384_179:                            ;   in Loop: Header=BB384_16 Depth=1
	s_or_b32 exec_lo, exec_lo, s25
	v_mov_b32_e32 v0, 0
	v_mov_b32_e32 v18, v32
	v_cmp_ne_u16_sdwa s5, v32, v19 src0_sel:BYTE_0 src1_sel:DWORD
	buffer_store_dword v0, off, s[0:3], s32 offset:288 ; 4-byte Folded Spill
	v_mov_b32_e32 v0, 0
	buffer_store_dword v0, off, s[0:3], s32 offset:284 ; 4-byte Folded Spill
	s_and_saveexec_b32 s25, s5
	s_cbranch_execz .LBB384_187
; %bb.180:                              ;   in Loop: Header=BB384_16 Depth=1
	v_cmp_ne_u16_sdwa s5, v32, v87 src0_sel:BYTE_0 src1_sel:DWORD
	v_bfrev_b32_e32 v0, 1
	buffer_store_dword v0, off, s[0:3], s32 offset:284 ; 4-byte Folded Spill
	s_and_saveexec_b32 s26, s5
	s_cbranch_execz .LBB384_186
; %bb.181:                              ;   in Loop: Header=BB384_16 Depth=1
	v_and_b32_e32 v1, 0x7f, v32
	v_mov_b32_e32 v0, 0x7f800001
	s_mov_b32 s27, exec_lo
	buffer_store_dword v0, off, s[0:3], s32 offset:284 ; 4-byte Folded Spill
	v_cmpx_ne_u32_e32 0x7f, v1
	s_cbranch_execz .LBB384_185
; %bb.182:                              ;   in Loop: Header=BB384_16 Depth=1
	v_mov_b32_e32 v34, v19
	v_lshrrev_b32_e32 v0, 3, v1
	v_mov_b32_e32 v33, v18
	s_mov_b32 s28, exec_lo
	v_cmpx_gt_u32_e32 8, v1
; %bb.183:                              ;   in Loop: Header=BB384_16 Depth=1
	v_and_b32_e32 v0, 7, v32
	v_ffbh_u32_e32 v0, v0
	v_min_u32_e32 v0, 32, v0
	v_subrev_nc_u32_e32 v1, 28, v0
	v_sub_nc_u32_e32 v0, 29, v0
	v_lshlrev_b64 v[33:34], v1, v[18:19]
; %bb.184:                              ;   in Loop: Header=BB384_16 Depth=1
	s_or_b32 exec_lo, exec_lo, s28
	v_lshlrev_b32_e32 v1, 20, v33
	v_lshlrev_b32_e32 v2, 24, v18
	v_lshl_add_u32 v0, v0, 23, 0x3c000000
	v_and_b32_e32 v1, 0x700000, v1
	v_and_b32_e32 v2, 0x80000000, v2
	v_or3_b32 v0, v1, v2, v0
	buffer_store_dword v0, off, s[0:3], s32 offset:284 ; 4-byte Folded Spill
.LBB384_185:                            ;   in Loop: Header=BB384_16 Depth=1
	s_or_b32 exec_lo, exec_lo, s27
.LBB384_186:                            ;   in Loop: Header=BB384_16 Depth=1
	s_or_b32 exec_lo, exec_lo, s26
.LBB384_187:                            ;   in Loop: Header=BB384_16 Depth=1
	s_or_b32 exec_lo, exec_lo, s25
	v_cmp_ne_u16_sdwa s5, v18, v19 src0_sel:BYTE_1 src1_sel:DWORD
	s_and_saveexec_b32 s25, s5
	s_cbranch_execz .LBB384_195
; %bb.188:                              ;   in Loop: Header=BB384_16 Depth=1
	v_cmp_ne_u16_sdwa s5, v18, v87 src0_sel:BYTE_1 src1_sel:DWORD
	v_bfrev_b32_e32 v0, 1
	buffer_store_dword v0, off, s[0:3], s32 offset:288 ; 4-byte Folded Spill
	s_and_saveexec_b32 s26, s5
	s_cbranch_execz .LBB384_194
; %bb.189:                              ;   in Loop: Header=BB384_16 Depth=1
	v_mov_b32_e32 v0, 0xffff
	v_mov_b32_e32 v2, 0x7f800001
	s_mov_b32 s27, exec_lo
	v_and_b32_sdwa v0, v0, v18 dst_sel:DWORD dst_unused:UNUSED_PAD src0_sel:DWORD src1_sel:BYTE_1
	buffer_store_dword v2, off, s[0:3], s32 offset:288 ; 4-byte Folded Spill
	v_and_b32_e32 v1, 0x7f, v0
	v_cmpx_ne_u32_e32 0x7f, v1
	s_cbranch_execz .LBB384_193
; %bb.190:                              ;   in Loop: Header=BB384_16 Depth=1
	v_and_b32_e32 v33, 7, v0
	v_mov_b32_e32 v34, v19
	v_lshrrev_b32_e32 v0, 3, v1
	s_mov_b32 s28, exec_lo
	v_cmpx_gt_u32_e32 8, v1
; %bb.191:                              ;   in Loop: Header=BB384_16 Depth=1
	v_ffbh_u32_e32 v0, v33
	v_min_u32_e32 v0, 32, v0
	v_subrev_nc_u32_e32 v1, 28, v0
	v_sub_nc_u32_e32 v0, 29, v0
	v_lshlrev_b64 v[1:2], v1, v[33:34]
	v_and_b32_e32 v33, 7, v1
; %bb.192:                              ;   in Loop: Header=BB384_16 Depth=1
	s_or_b32 exec_lo, exec_lo, s28
	v_lshlrev_b32_e32 v1, 16, v18
	v_lshlrev_b32_e32 v2, 20, v33
	v_lshl_add_u32 v0, v0, 23, 0x3c000000
	v_and_b32_e32 v1, 0x80000000, v1
	v_or3_b32 v0, v2, v1, v0
	buffer_store_dword v0, off, s[0:3], s32 offset:288 ; 4-byte Folded Spill
.LBB384_193:                            ;   in Loop: Header=BB384_16 Depth=1
	s_or_b32 exec_lo, exec_lo, s27
.LBB384_194:                            ;   in Loop: Header=BB384_16 Depth=1
	s_or_b32 exec_lo, exec_lo, s26
.LBB384_195:                            ;   in Loop: Header=BB384_16 Depth=1
	s_or_b32 exec_lo, exec_lo, s25
	v_mov_b32_e32 v0, 0xff
	v_mov_b32_e32 v1, 0
	s_mov_b32 s25, exec_lo
	v_and_b32_sdwa v0, v32, v0 dst_sel:DWORD dst_unused:UNUSED_PAD src0_sel:WORD_1 src1_sel:DWORD
	buffer_store_dword v1, off, s[0:3], s32 offset:292 ; 4-byte Folded Spill
	v_mov_b32_e32 v1, 0
	buffer_store_dword v1, off, s[0:3], s32 offset:684 ; 4-byte Folded Spill
	v_cmpx_ne_u16_e32 0, v0
	s_cbranch_execz .LBB384_203
; %bb.196:                              ;   in Loop: Header=BB384_16 Depth=1
	v_cmp_ne_u16_e64 s5, 0x80, v0
	v_bfrev_b32_e32 v0, 1
	s_and_saveexec_b32 s26, s5
	s_cbranch_execz .LBB384_202
; %bb.197:                              ;   in Loop: Header=BB384_16 Depth=1
	v_bfe_u32 v1, v32, 16, 7
	v_mov_b32_e32 v0, 0x7f800001
	s_mov_b32 s27, exec_lo
	v_cmpx_ne_u32_e32 0x7f, v1
	s_cbranch_execz .LBB384_201
; %bb.198:                              ;   in Loop: Header=BB384_16 Depth=1
	v_mov_b32_e32 v0, 7
	s_mov_b32 s28, exec_lo
	v_and_b32_sdwa v18, v32, v0 dst_sel:DWORD dst_unused:UNUSED_PAD src0_sel:WORD_1 src1_sel:DWORD
	v_mov_b32_e32 v34, v19
	v_lshrrev_b32_e32 v0, 3, v1
	v_mov_b32_e32 v33, v18
	v_cmpx_gt_u32_e32 8, v1
; %bb.199:                              ;   in Loop: Header=BB384_16 Depth=1
	v_ffbh_u32_e32 v0, v18
	v_min_u32_e32 v0, 32, v0
	v_subrev_nc_u32_e32 v1, 28, v0
	v_sub_nc_u32_e32 v0, 29, v0
	v_lshlrev_b64 v[1:2], v1, v[18:19]
	v_and_b32_e32 v33, 7, v1
; %bb.200:                              ;   in Loop: Header=BB384_16 Depth=1
	s_or_b32 exec_lo, exec_lo, s28
	v_mov_b32_e32 v1, 24
	v_lshlrev_b32_e32 v2, 20, v33
	v_lshl_add_u32 v0, v0, 23, 0x3c000000
	v_lshlrev_b32_sdwa v1, v1, v32 dst_sel:DWORD dst_unused:UNUSED_PAD src0_sel:DWORD src1_sel:WORD_1
	v_and_b32_e32 v1, 0x80000000, v1
	v_or3_b32 v0, v2, v1, v0
.LBB384_201:                            ;   in Loop: Header=BB384_16 Depth=1
	s_or_b32 exec_lo, exec_lo, s27
.LBB384_202:                            ;   in Loop: Header=BB384_16 Depth=1
	s_or_b32 exec_lo, exec_lo, s26
	buffer_store_dword v0, off, s[0:3], s32 offset:684 ; 4-byte Folded Spill
.LBB384_203:                            ;   in Loop: Header=BB384_16 Depth=1
	s_or_b32 exec_lo, exec_lo, s25
	s_mov_b32 s25, exec_lo
	v_cmpx_lt_u64_e64 s[20:21], v[31:32]
	s_cbranch_execz .LBB384_211
; %bb.204:                              ;   in Loop: Header=BB384_16 Depth=1
	v_cmp_ne_u32_sdwa s5, v32, v87 src0_sel:BYTE_3 src1_sel:DWORD
	v_bfrev_b32_e32 v0, 1
	buffer_store_dword v0, off, s[0:3], s32 offset:292 ; 4-byte Folded Spill
	s_and_saveexec_b32 s26, s5
	s_cbranch_execz .LBB384_210
; %bb.205:                              ;   in Loop: Header=BB384_16 Depth=1
	v_bfe_u32 v1, v32, 24, 7
	v_mov_b32_e32 v0, 0x7f800001
	s_mov_b32 s27, exec_lo
	buffer_store_dword v0, off, s[0:3], s32 offset:292 ; 4-byte Folded Spill
	v_cmpx_ne_u32_e32 0x7f, v1
	s_cbranch_execz .LBB384_209
; %bb.206:                              ;   in Loop: Header=BB384_16 Depth=1
	v_mov_b32_e32 v0, 7
	s_mov_b32 s28, exec_lo
	v_and_b32_sdwa v18, v32, v0 dst_sel:DWORD dst_unused:UNUSED_PAD src0_sel:BYTE_3 src1_sel:DWORD
	v_mov_b32_e32 v34, v19
	v_lshrrev_b32_e32 v0, 3, v1
	v_mov_b32_e32 v33, v18
	v_cmpx_gt_u32_e32 8, v1
; %bb.207:                              ;   in Loop: Header=BB384_16 Depth=1
	v_ffbh_u32_e32 v0, v18
	v_min_u32_e32 v0, 32, v0
	v_subrev_nc_u32_e32 v1, 28, v0
	v_sub_nc_u32_e32 v0, 29, v0
	v_lshlrev_b64 v[1:2], v1, v[18:19]
	v_and_b32_e32 v33, 7, v1
; %bb.208:                              ;   in Loop: Header=BB384_16 Depth=1
	s_or_b32 exec_lo, exec_lo, s28
	v_mov_b32_e32 v1, 24
	v_lshlrev_b32_e32 v2, 20, v33
	v_lshl_add_u32 v0, v0, 23, 0x3c000000
	v_lshlrev_b32_sdwa v1, v1, v32 dst_sel:DWORD dst_unused:UNUSED_PAD src0_sel:DWORD src1_sel:BYTE_3
	v_and_b32_e32 v1, 0x80000000, v1
	v_or3_b32 v0, v2, v1, v0
	buffer_store_dword v0, off, s[0:3], s32 offset:292 ; 4-byte Folded Spill
.LBB384_209:                            ;   in Loop: Header=BB384_16 Depth=1
	s_or_b32 exec_lo, exec_lo, s27
.LBB384_210:                            ;   in Loop: Header=BB384_16 Depth=1
	s_or_b32 exec_lo, exec_lo, s26
.LBB384_211:                            ;   in Loop: Header=BB384_16 Depth=1
	s_or_b32 exec_lo, exec_lo, s25
	flat_load_dwordx2 v[31:32], v[28:29] offset:520
	v_mov_b32_e32 v0, 0
	buffer_store_dword v0, off, s[0:3], s32 offset:300 ; 4-byte Folded Spill
	v_mov_b32_e32 v0, 0
	buffer_store_dword v0, off, s[0:3], s32 offset:296 ; 4-byte Folded Spill
	s_waitcnt vmcnt(0) lgkmcnt(0)
	v_cmp_ne_u16_sdwa s5, v31, v19 src0_sel:BYTE_0 src1_sel:DWORD
	s_and_saveexec_b32 s25, s5
	s_cbranch_execz .LBB384_219
; %bb.212:                              ;   in Loop: Header=BB384_16 Depth=1
	v_cmp_ne_u16_sdwa s5, v31, v87 src0_sel:BYTE_0 src1_sel:DWORD
	v_bfrev_b32_e32 v0, 1
	buffer_store_dword v0, off, s[0:3], s32 offset:296 ; 4-byte Folded Spill
	s_and_saveexec_b32 s26, s5
	s_cbranch_execz .LBB384_218
; %bb.213:                              ;   in Loop: Header=BB384_16 Depth=1
	v_and_b32_e32 v1, 0x7f, v31
	v_mov_b32_e32 v0, 0x7f800001
	s_mov_b32 s27, exec_lo
	buffer_store_dword v0, off, s[0:3], s32 offset:296 ; 4-byte Folded Spill
	v_cmpx_ne_u32_e32 0x7f, v1
	s_cbranch_execz .LBB384_217
; %bb.214:                              ;   in Loop: Header=BB384_16 Depth=1
	v_mov_b32_e32 v34, v32
	v_lshrrev_b32_e32 v0, 3, v1
	v_mov_b32_e32 v33, v31
	s_mov_b32 s28, exec_lo
	v_cmpx_gt_u32_e32 8, v1
; %bb.215:                              ;   in Loop: Header=BB384_16 Depth=1
	v_and_b32_e32 v0, 7, v31
	v_ffbh_u32_e32 v0, v0
	v_min_u32_e32 v0, 32, v0
	v_subrev_nc_u32_e32 v1, 28, v0
	v_sub_nc_u32_e32 v0, 29, v0
	v_lshlrev_b64 v[33:34], v1, v[31:32]
; %bb.216:                              ;   in Loop: Header=BB384_16 Depth=1
	s_or_b32 exec_lo, exec_lo, s28
	v_lshlrev_b32_e32 v1, 20, v33
	v_lshlrev_b32_e32 v2, 24, v31
	v_lshl_add_u32 v0, v0, 23, 0x3c000000
	v_and_b32_e32 v1, 0x700000, v1
	v_and_b32_e32 v2, 0x80000000, v2
	v_or3_b32 v0, v1, v2, v0
	buffer_store_dword v0, off, s[0:3], s32 offset:296 ; 4-byte Folded Spill
.LBB384_217:                            ;   in Loop: Header=BB384_16 Depth=1
	s_or_b32 exec_lo, exec_lo, s27
.LBB384_218:                            ;   in Loop: Header=BB384_16 Depth=1
	s_or_b32 exec_lo, exec_lo, s26
.LBB384_219:                            ;   in Loop: Header=BB384_16 Depth=1
	s_or_b32 exec_lo, exec_lo, s25
	v_cmp_ne_u16_sdwa s5, v31, v19 src0_sel:BYTE_1 src1_sel:DWORD
	s_and_saveexec_b32 s25, s5
	s_cbranch_execz .LBB384_227
; %bb.220:                              ;   in Loop: Header=BB384_16 Depth=1
	v_cmp_ne_u16_sdwa s5, v31, v87 src0_sel:BYTE_1 src1_sel:DWORD
	v_bfrev_b32_e32 v0, 1
	buffer_store_dword v0, off, s[0:3], s32 offset:300 ; 4-byte Folded Spill
	s_and_saveexec_b32 s26, s5
	s_cbranch_execz .LBB384_226
; %bb.221:                              ;   in Loop: Header=BB384_16 Depth=1
	v_mov_b32_e32 v0, 0xffff
	v_mov_b32_e32 v2, 0x7f800001
	s_mov_b32 s27, exec_lo
	v_and_b32_sdwa v0, v0, v31 dst_sel:DWORD dst_unused:UNUSED_PAD src0_sel:DWORD src1_sel:BYTE_1
	buffer_store_dword v2, off, s[0:3], s32 offset:300 ; 4-byte Folded Spill
	v_and_b32_e32 v1, 0x7f, v0
	v_cmpx_ne_u32_e32 0x7f, v1
	s_cbranch_execz .LBB384_225
; %bb.222:                              ;   in Loop: Header=BB384_16 Depth=1
	v_and_b32_e32 v18, 7, v0
	v_mov_b32_e32 v34, v19
	v_lshrrev_b32_e32 v0, 3, v1
	s_mov_b32 s28, exec_lo
	v_mov_b32_e32 v33, v18
	v_cmpx_gt_u32_e32 8, v1
; %bb.223:                              ;   in Loop: Header=BB384_16 Depth=1
	v_ffbh_u32_e32 v0, v18
	v_min_u32_e32 v0, 32, v0
	v_subrev_nc_u32_e32 v1, 28, v0
	v_sub_nc_u32_e32 v0, 29, v0
	v_lshlrev_b64 v[1:2], v1, v[18:19]
	v_and_b32_e32 v33, 7, v1
; %bb.224:                              ;   in Loop: Header=BB384_16 Depth=1
	s_or_b32 exec_lo, exec_lo, s28
	v_lshlrev_b32_e32 v1, 16, v31
	v_lshlrev_b32_e32 v2, 20, v33
	v_lshl_add_u32 v0, v0, 23, 0x3c000000
	v_and_b32_e32 v1, 0x80000000, v1
	v_or3_b32 v0, v2, v1, v0
	buffer_store_dword v0, off, s[0:3], s32 offset:300 ; 4-byte Folded Spill
.LBB384_225:                            ;   in Loop: Header=BB384_16 Depth=1
	s_or_b32 exec_lo, exec_lo, s27
.LBB384_226:                            ;   in Loop: Header=BB384_16 Depth=1
	s_or_b32 exec_lo, exec_lo, s26
.LBB384_227:                            ;   in Loop: Header=BB384_16 Depth=1
	s_or_b32 exec_lo, exec_lo, s25
	v_mov_b32_e32 v0, 0xff
	v_mov_b32_e32 v1, 0
	s_mov_b32 s25, exec_lo
	v_and_b32_sdwa v0, v31, v0 dst_sel:DWORD dst_unused:UNUSED_PAD src0_sel:WORD_1 src1_sel:DWORD
	buffer_store_dword v1, off, s[0:3], s32 offset:304 ; 4-byte Folded Spill
	v_mov_b32_e32 v1, 0
	buffer_store_dword v1, off, s[0:3], s32 offset:688 ; 4-byte Folded Spill
	v_cmpx_ne_u16_e32 0, v0
	s_cbranch_execz .LBB384_235
; %bb.228:                              ;   in Loop: Header=BB384_16 Depth=1
	v_cmp_ne_u16_e64 s5, 0x80, v0
	v_bfrev_b32_e32 v0, 1
	s_and_saveexec_b32 s26, s5
	s_cbranch_execz .LBB384_234
; %bb.229:                              ;   in Loop: Header=BB384_16 Depth=1
	v_bfe_u32 v1, v31, 16, 7
	v_mov_b32_e32 v0, 0x7f800001
	s_mov_b32 s27, exec_lo
	v_cmpx_ne_u32_e32 0x7f, v1
	s_cbranch_execz .LBB384_233
; %bb.230:                              ;   in Loop: Header=BB384_16 Depth=1
	v_mov_b32_e32 v0, 7
	s_mov_b32 s28, exec_lo
	v_and_b32_sdwa v18, v31, v0 dst_sel:DWORD dst_unused:UNUSED_PAD src0_sel:WORD_1 src1_sel:DWORD
	v_mov_b32_e32 v34, v19
	v_lshrrev_b32_e32 v0, 3, v1
	v_mov_b32_e32 v33, v18
	v_cmpx_gt_u32_e32 8, v1
; %bb.231:                              ;   in Loop: Header=BB384_16 Depth=1
	v_ffbh_u32_e32 v0, v18
	v_min_u32_e32 v0, 32, v0
	v_subrev_nc_u32_e32 v1, 28, v0
	v_sub_nc_u32_e32 v0, 29, v0
	v_lshlrev_b64 v[1:2], v1, v[18:19]
	v_and_b32_e32 v33, 7, v1
; %bb.232:                              ;   in Loop: Header=BB384_16 Depth=1
	s_or_b32 exec_lo, exec_lo, s28
	v_mov_b32_e32 v1, 24
	v_lshlrev_b32_e32 v2, 20, v33
	v_lshl_add_u32 v0, v0, 23, 0x3c000000
	v_lshlrev_b32_sdwa v1, v1, v31 dst_sel:DWORD dst_unused:UNUSED_PAD src0_sel:DWORD src1_sel:WORD_1
	v_and_b32_e32 v1, 0x80000000, v1
	v_or3_b32 v0, v2, v1, v0
.LBB384_233:                            ;   in Loop: Header=BB384_16 Depth=1
	s_or_b32 exec_lo, exec_lo, s27
.LBB384_234:                            ;   in Loop: Header=BB384_16 Depth=1
	s_or_b32 exec_lo, exec_lo, s26
	buffer_store_dword v0, off, s[0:3], s32 offset:688 ; 4-byte Folded Spill
.LBB384_235:                            ;   in Loop: Header=BB384_16 Depth=1
	s_or_b32 exec_lo, exec_lo, s25
	s_mov_b32 s25, exec_lo
	v_cmpx_lt_u32_e32 0xffffff, v31
	s_cbranch_execz .LBB384_243
; %bb.236:                              ;   in Loop: Header=BB384_16 Depth=1
	v_cmp_ne_u32_sdwa s5, v31, v87 src0_sel:BYTE_3 src1_sel:DWORD
	v_bfrev_b32_e32 v0, 1
	buffer_store_dword v0, off, s[0:3], s32 offset:304 ; 4-byte Folded Spill
	s_and_saveexec_b32 s26, s5
	s_cbranch_execz .LBB384_242
; %bb.237:                              ;   in Loop: Header=BB384_16 Depth=1
	v_bfe_u32 v1, v31, 24, 7
	v_mov_b32_e32 v0, 0x7f800001
	s_mov_b32 s27, exec_lo
	buffer_store_dword v0, off, s[0:3], s32 offset:304 ; 4-byte Folded Spill
	v_cmpx_ne_u32_e32 0x7f, v1
	s_cbranch_execz .LBB384_241
; %bb.238:                              ;   in Loop: Header=BB384_16 Depth=1
	v_mov_b32_e32 v0, 7
	s_mov_b32 s28, exec_lo
	v_and_b32_sdwa v18, v31, v0 dst_sel:DWORD dst_unused:UNUSED_PAD src0_sel:BYTE_3 src1_sel:DWORD
	v_mov_b32_e32 v34, v19
	v_lshrrev_b32_e32 v0, 3, v1
	v_mov_b32_e32 v33, v18
	v_cmpx_gt_u32_e32 8, v1
; %bb.239:                              ;   in Loop: Header=BB384_16 Depth=1
	v_ffbh_u32_e32 v0, v18
	v_min_u32_e32 v0, 32, v0
	v_subrev_nc_u32_e32 v1, 28, v0
	v_sub_nc_u32_e32 v0, 29, v0
	v_lshlrev_b64 v[1:2], v1, v[18:19]
	v_and_b32_e32 v33, 7, v1
; %bb.240:                              ;   in Loop: Header=BB384_16 Depth=1
	s_or_b32 exec_lo, exec_lo, s28
	v_mov_b32_e32 v1, 24
	v_lshlrev_b32_e32 v2, 20, v33
	v_lshl_add_u32 v0, v0, 23, 0x3c000000
	v_lshlrev_b32_sdwa v1, v1, v31 dst_sel:DWORD dst_unused:UNUSED_PAD src0_sel:DWORD src1_sel:BYTE_3
	v_and_b32_e32 v1, 0x80000000, v1
	v_or3_b32 v0, v2, v1, v0
	buffer_store_dword v0, off, s[0:3], s32 offset:304 ; 4-byte Folded Spill
.LBB384_241:                            ;   in Loop: Header=BB384_16 Depth=1
	s_or_b32 exec_lo, exec_lo, s27
.LBB384_242:                            ;   in Loop: Header=BB384_16 Depth=1
	s_or_b32 exec_lo, exec_lo, s26
.LBB384_243:                            ;   in Loop: Header=BB384_16 Depth=1
	s_or_b32 exec_lo, exec_lo, s25
	v_mov_b32_e32 v0, 0
	v_mov_b32_e32 v18, v32
	v_cmp_ne_u16_sdwa s5, v32, v19 src0_sel:BYTE_0 src1_sel:DWORD
	buffer_store_dword v0, off, s[0:3], s32 offset:312 ; 4-byte Folded Spill
	v_mov_b32_e32 v0, 0
	buffer_store_dword v0, off, s[0:3], s32 offset:308 ; 4-byte Folded Spill
	s_and_saveexec_b32 s25, s5
	s_cbranch_execz .LBB384_251
; %bb.244:                              ;   in Loop: Header=BB384_16 Depth=1
	v_cmp_ne_u16_sdwa s5, v32, v87 src0_sel:BYTE_0 src1_sel:DWORD
	v_bfrev_b32_e32 v0, 1
	buffer_store_dword v0, off, s[0:3], s32 offset:308 ; 4-byte Folded Spill
	s_and_saveexec_b32 s26, s5
	s_cbranch_execz .LBB384_250
; %bb.245:                              ;   in Loop: Header=BB384_16 Depth=1
	v_and_b32_e32 v1, 0x7f, v32
	v_mov_b32_e32 v0, 0x7f800001
	s_mov_b32 s27, exec_lo
	buffer_store_dword v0, off, s[0:3], s32 offset:308 ; 4-byte Folded Spill
	v_cmpx_ne_u32_e32 0x7f, v1
	s_cbranch_execz .LBB384_249
; %bb.246:                              ;   in Loop: Header=BB384_16 Depth=1
	v_mov_b32_e32 v34, v19
	v_lshrrev_b32_e32 v0, 3, v1
	v_mov_b32_e32 v33, v18
	s_mov_b32 s28, exec_lo
	v_cmpx_gt_u32_e32 8, v1
; %bb.247:                              ;   in Loop: Header=BB384_16 Depth=1
	v_and_b32_e32 v0, 7, v32
	v_ffbh_u32_e32 v0, v0
	v_min_u32_e32 v0, 32, v0
	v_subrev_nc_u32_e32 v1, 28, v0
	v_sub_nc_u32_e32 v0, 29, v0
	v_lshlrev_b64 v[33:34], v1, v[18:19]
; %bb.248:                              ;   in Loop: Header=BB384_16 Depth=1
	s_or_b32 exec_lo, exec_lo, s28
	v_lshlrev_b32_e32 v1, 20, v33
	v_lshlrev_b32_e32 v2, 24, v18
	v_lshl_add_u32 v0, v0, 23, 0x3c000000
	v_and_b32_e32 v1, 0x700000, v1
	v_and_b32_e32 v2, 0x80000000, v2
	v_or3_b32 v0, v1, v2, v0
	buffer_store_dword v0, off, s[0:3], s32 offset:308 ; 4-byte Folded Spill
.LBB384_249:                            ;   in Loop: Header=BB384_16 Depth=1
	s_or_b32 exec_lo, exec_lo, s27
.LBB384_250:                            ;   in Loop: Header=BB384_16 Depth=1
	s_or_b32 exec_lo, exec_lo, s26
.LBB384_251:                            ;   in Loop: Header=BB384_16 Depth=1
	s_or_b32 exec_lo, exec_lo, s25
	v_cmp_ne_u16_sdwa s5, v18, v19 src0_sel:BYTE_1 src1_sel:DWORD
	s_and_saveexec_b32 s25, s5
	s_cbranch_execz .LBB384_259
; %bb.252:                              ;   in Loop: Header=BB384_16 Depth=1
	v_cmp_ne_u16_sdwa s5, v18, v87 src0_sel:BYTE_1 src1_sel:DWORD
	v_bfrev_b32_e32 v0, 1
	buffer_store_dword v0, off, s[0:3], s32 offset:312 ; 4-byte Folded Spill
	s_and_saveexec_b32 s26, s5
	s_cbranch_execz .LBB384_258
; %bb.253:                              ;   in Loop: Header=BB384_16 Depth=1
	v_mov_b32_e32 v0, 0xffff
	v_mov_b32_e32 v2, 0x7f800001
	s_mov_b32 s27, exec_lo
	v_and_b32_sdwa v0, v0, v18 dst_sel:DWORD dst_unused:UNUSED_PAD src0_sel:DWORD src1_sel:BYTE_1
	buffer_store_dword v2, off, s[0:3], s32 offset:312 ; 4-byte Folded Spill
	v_and_b32_e32 v1, 0x7f, v0
	v_cmpx_ne_u32_e32 0x7f, v1
	s_cbranch_execz .LBB384_257
; %bb.254:                              ;   in Loop: Header=BB384_16 Depth=1
	v_and_b32_e32 v33, 7, v0
	v_mov_b32_e32 v34, v19
	v_lshrrev_b32_e32 v0, 3, v1
	s_mov_b32 s28, exec_lo
	v_cmpx_gt_u32_e32 8, v1
; %bb.255:                              ;   in Loop: Header=BB384_16 Depth=1
	v_ffbh_u32_e32 v0, v33
	v_min_u32_e32 v0, 32, v0
	v_subrev_nc_u32_e32 v1, 28, v0
	v_sub_nc_u32_e32 v0, 29, v0
	v_lshlrev_b64 v[1:2], v1, v[33:34]
	v_and_b32_e32 v33, 7, v1
; %bb.256:                              ;   in Loop: Header=BB384_16 Depth=1
	s_or_b32 exec_lo, exec_lo, s28
	v_lshlrev_b32_e32 v1, 16, v18
	v_lshlrev_b32_e32 v2, 20, v33
	v_lshl_add_u32 v0, v0, 23, 0x3c000000
	v_and_b32_e32 v1, 0x80000000, v1
	v_or3_b32 v0, v2, v1, v0
	buffer_store_dword v0, off, s[0:3], s32 offset:312 ; 4-byte Folded Spill
.LBB384_257:                            ;   in Loop: Header=BB384_16 Depth=1
	s_or_b32 exec_lo, exec_lo, s27
.LBB384_258:                            ;   in Loop: Header=BB384_16 Depth=1
	s_or_b32 exec_lo, exec_lo, s26
.LBB384_259:                            ;   in Loop: Header=BB384_16 Depth=1
	s_or_b32 exec_lo, exec_lo, s25
	v_mov_b32_e32 v0, 0xff
	v_mov_b32_e32 v1, 0
	s_mov_b32 s25, exec_lo
	v_and_b32_sdwa v0, v32, v0 dst_sel:DWORD dst_unused:UNUSED_PAD src0_sel:WORD_1 src1_sel:DWORD
	buffer_store_dword v1, off, s[0:3], s32 offset:316 ; 4-byte Folded Spill
	v_mov_b32_e32 v1, 0
	buffer_store_dword v1, off, s[0:3], s32 offset:692 ; 4-byte Folded Spill
	v_cmpx_ne_u16_e32 0, v0
	s_cbranch_execz .LBB384_267
; %bb.260:                              ;   in Loop: Header=BB384_16 Depth=1
	v_cmp_ne_u16_e64 s5, 0x80, v0
	v_bfrev_b32_e32 v0, 1
	s_and_saveexec_b32 s26, s5
	s_cbranch_execz .LBB384_266
; %bb.261:                              ;   in Loop: Header=BB384_16 Depth=1
	v_bfe_u32 v1, v32, 16, 7
	v_mov_b32_e32 v0, 0x7f800001
	s_mov_b32 s27, exec_lo
	v_cmpx_ne_u32_e32 0x7f, v1
	s_cbranch_execz .LBB384_265
; %bb.262:                              ;   in Loop: Header=BB384_16 Depth=1
	v_mov_b32_e32 v0, 7
	s_mov_b32 s28, exec_lo
	v_and_b32_sdwa v18, v32, v0 dst_sel:DWORD dst_unused:UNUSED_PAD src0_sel:WORD_1 src1_sel:DWORD
	v_mov_b32_e32 v34, v19
	v_lshrrev_b32_e32 v0, 3, v1
	v_mov_b32_e32 v33, v18
	v_cmpx_gt_u32_e32 8, v1
; %bb.263:                              ;   in Loop: Header=BB384_16 Depth=1
	v_ffbh_u32_e32 v0, v18
	v_min_u32_e32 v0, 32, v0
	v_subrev_nc_u32_e32 v1, 28, v0
	v_sub_nc_u32_e32 v0, 29, v0
	v_lshlrev_b64 v[1:2], v1, v[18:19]
	v_and_b32_e32 v33, 7, v1
; %bb.264:                              ;   in Loop: Header=BB384_16 Depth=1
	s_or_b32 exec_lo, exec_lo, s28
	v_mov_b32_e32 v1, 24
	v_lshlrev_b32_e32 v2, 20, v33
	v_lshl_add_u32 v0, v0, 23, 0x3c000000
	v_lshlrev_b32_sdwa v1, v1, v32 dst_sel:DWORD dst_unused:UNUSED_PAD src0_sel:DWORD src1_sel:WORD_1
	v_and_b32_e32 v1, 0x80000000, v1
	v_or3_b32 v0, v2, v1, v0
.LBB384_265:                            ;   in Loop: Header=BB384_16 Depth=1
	s_or_b32 exec_lo, exec_lo, s27
.LBB384_266:                            ;   in Loop: Header=BB384_16 Depth=1
	s_or_b32 exec_lo, exec_lo, s26
	buffer_store_dword v0, off, s[0:3], s32 offset:692 ; 4-byte Folded Spill
.LBB384_267:                            ;   in Loop: Header=BB384_16 Depth=1
	s_or_b32 exec_lo, exec_lo, s25
	s_mov_b32 s25, exec_lo
	v_cmpx_lt_u64_e64 s[20:21], v[31:32]
	s_cbranch_execz .LBB384_275
; %bb.268:                              ;   in Loop: Header=BB384_16 Depth=1
	v_cmp_ne_u32_sdwa s5, v32, v87 src0_sel:BYTE_3 src1_sel:DWORD
	v_bfrev_b32_e32 v0, 1
	buffer_store_dword v0, off, s[0:3], s32 offset:316 ; 4-byte Folded Spill
	s_and_saveexec_b32 s26, s5
	s_cbranch_execz .LBB384_274
; %bb.269:                              ;   in Loop: Header=BB384_16 Depth=1
	v_bfe_u32 v1, v32, 24, 7
	v_mov_b32_e32 v0, 0x7f800001
	s_mov_b32 s27, exec_lo
	buffer_store_dword v0, off, s[0:3], s32 offset:316 ; 4-byte Folded Spill
	v_cmpx_ne_u32_e32 0x7f, v1
	s_cbranch_execz .LBB384_273
; %bb.270:                              ;   in Loop: Header=BB384_16 Depth=1
	v_mov_b32_e32 v0, 7
	s_mov_b32 s28, exec_lo
	v_and_b32_sdwa v18, v32, v0 dst_sel:DWORD dst_unused:UNUSED_PAD src0_sel:BYTE_3 src1_sel:DWORD
	v_mov_b32_e32 v34, v19
	v_lshrrev_b32_e32 v0, 3, v1
	v_mov_b32_e32 v33, v18
	v_cmpx_gt_u32_e32 8, v1
; %bb.271:                              ;   in Loop: Header=BB384_16 Depth=1
	v_ffbh_u32_e32 v0, v18
	v_min_u32_e32 v0, 32, v0
	v_subrev_nc_u32_e32 v1, 28, v0
	v_sub_nc_u32_e32 v0, 29, v0
	v_lshlrev_b64 v[1:2], v1, v[18:19]
	v_and_b32_e32 v33, 7, v1
; %bb.272:                              ;   in Loop: Header=BB384_16 Depth=1
	s_or_b32 exec_lo, exec_lo, s28
	v_mov_b32_e32 v1, 24
	v_lshlrev_b32_e32 v2, 20, v33
	v_lshl_add_u32 v0, v0, 23, 0x3c000000
	v_lshlrev_b32_sdwa v1, v1, v32 dst_sel:DWORD dst_unused:UNUSED_PAD src0_sel:DWORD src1_sel:BYTE_3
	v_and_b32_e32 v1, 0x80000000, v1
	v_or3_b32 v0, v2, v1, v0
	buffer_store_dword v0, off, s[0:3], s32 offset:316 ; 4-byte Folded Spill
.LBB384_273:                            ;   in Loop: Header=BB384_16 Depth=1
	s_or_b32 exec_lo, exec_lo, s27
.LBB384_274:                            ;   in Loop: Header=BB384_16 Depth=1
	s_or_b32 exec_lo, exec_lo, s26
.LBB384_275:                            ;   in Loop: Header=BB384_16 Depth=1
	s_or_b32 exec_lo, exec_lo, s25
	flat_load_dwordx2 v[31:32], v[28:29] offset:1024
	v_mov_b32_e32 v0, 0
	buffer_store_dword v0, off, s[0:3], s32 offset:324 ; 4-byte Folded Spill
	v_mov_b32_e32 v0, 0
	buffer_store_dword v0, off, s[0:3], s32 offset:320 ; 4-byte Folded Spill
	s_waitcnt vmcnt(0) lgkmcnt(0)
	v_cmp_ne_u16_sdwa s5, v31, v19 src0_sel:BYTE_0 src1_sel:DWORD
	s_and_saveexec_b32 s25, s5
	s_cbranch_execz .LBB384_283
; %bb.276:                              ;   in Loop: Header=BB384_16 Depth=1
	v_cmp_ne_u16_sdwa s5, v31, v87 src0_sel:BYTE_0 src1_sel:DWORD
	v_bfrev_b32_e32 v0, 1
	buffer_store_dword v0, off, s[0:3], s32 offset:320 ; 4-byte Folded Spill
	s_and_saveexec_b32 s26, s5
	s_cbranch_execz .LBB384_282
; %bb.277:                              ;   in Loop: Header=BB384_16 Depth=1
	v_and_b32_e32 v1, 0x7f, v31
	v_mov_b32_e32 v0, 0x7f800001
	s_mov_b32 s27, exec_lo
	buffer_store_dword v0, off, s[0:3], s32 offset:320 ; 4-byte Folded Spill
	v_cmpx_ne_u32_e32 0x7f, v1
	s_cbranch_execz .LBB384_281
; %bb.278:                              ;   in Loop: Header=BB384_16 Depth=1
	v_mov_b32_e32 v34, v32
	v_lshrrev_b32_e32 v0, 3, v1
	v_mov_b32_e32 v33, v31
	s_mov_b32 s28, exec_lo
	v_cmpx_gt_u32_e32 8, v1
; %bb.279:                              ;   in Loop: Header=BB384_16 Depth=1
	v_and_b32_e32 v0, 7, v31
	v_ffbh_u32_e32 v0, v0
	v_min_u32_e32 v0, 32, v0
	v_subrev_nc_u32_e32 v1, 28, v0
	v_sub_nc_u32_e32 v0, 29, v0
	v_lshlrev_b64 v[33:34], v1, v[31:32]
; %bb.280:                              ;   in Loop: Header=BB384_16 Depth=1
	s_or_b32 exec_lo, exec_lo, s28
	v_lshlrev_b32_e32 v1, 20, v33
	v_lshlrev_b32_e32 v2, 24, v31
	v_lshl_add_u32 v0, v0, 23, 0x3c000000
	v_and_b32_e32 v1, 0x700000, v1
	v_and_b32_e32 v2, 0x80000000, v2
	v_or3_b32 v0, v1, v2, v0
	buffer_store_dword v0, off, s[0:3], s32 offset:320 ; 4-byte Folded Spill
.LBB384_281:                            ;   in Loop: Header=BB384_16 Depth=1
	s_or_b32 exec_lo, exec_lo, s27
.LBB384_282:                            ;   in Loop: Header=BB384_16 Depth=1
	s_or_b32 exec_lo, exec_lo, s26
.LBB384_283:                            ;   in Loop: Header=BB384_16 Depth=1
	s_or_b32 exec_lo, exec_lo, s25
	v_cmp_ne_u16_sdwa s5, v31, v19 src0_sel:BYTE_1 src1_sel:DWORD
	s_and_saveexec_b32 s25, s5
	s_cbranch_execz .LBB384_291
; %bb.284:                              ;   in Loop: Header=BB384_16 Depth=1
	v_cmp_ne_u16_sdwa s5, v31, v87 src0_sel:BYTE_1 src1_sel:DWORD
	v_bfrev_b32_e32 v0, 1
	buffer_store_dword v0, off, s[0:3], s32 offset:324 ; 4-byte Folded Spill
	s_and_saveexec_b32 s26, s5
	s_cbranch_execz .LBB384_290
; %bb.285:                              ;   in Loop: Header=BB384_16 Depth=1
	v_mov_b32_e32 v0, 0xffff
	v_mov_b32_e32 v2, 0x7f800001
	s_mov_b32 s27, exec_lo
	v_and_b32_sdwa v0, v0, v31 dst_sel:DWORD dst_unused:UNUSED_PAD src0_sel:DWORD src1_sel:BYTE_1
	buffer_store_dword v2, off, s[0:3], s32 offset:324 ; 4-byte Folded Spill
	v_and_b32_e32 v1, 0x7f, v0
	v_cmpx_ne_u32_e32 0x7f, v1
	s_cbranch_execz .LBB384_289
; %bb.286:                              ;   in Loop: Header=BB384_16 Depth=1
	v_and_b32_e32 v18, 7, v0
	v_mov_b32_e32 v34, v19
	v_lshrrev_b32_e32 v0, 3, v1
	s_mov_b32 s28, exec_lo
	v_mov_b32_e32 v33, v18
	v_cmpx_gt_u32_e32 8, v1
; %bb.287:                              ;   in Loop: Header=BB384_16 Depth=1
	v_ffbh_u32_e32 v0, v18
	v_min_u32_e32 v0, 32, v0
	v_subrev_nc_u32_e32 v1, 28, v0
	v_sub_nc_u32_e32 v0, 29, v0
	v_lshlrev_b64 v[1:2], v1, v[18:19]
	v_and_b32_e32 v33, 7, v1
; %bb.288:                              ;   in Loop: Header=BB384_16 Depth=1
	s_or_b32 exec_lo, exec_lo, s28
	v_lshlrev_b32_e32 v1, 16, v31
	v_lshlrev_b32_e32 v2, 20, v33
	v_lshl_add_u32 v0, v0, 23, 0x3c000000
	v_and_b32_e32 v1, 0x80000000, v1
	v_or3_b32 v0, v2, v1, v0
	buffer_store_dword v0, off, s[0:3], s32 offset:324 ; 4-byte Folded Spill
.LBB384_289:                            ;   in Loop: Header=BB384_16 Depth=1
	s_or_b32 exec_lo, exec_lo, s27
.LBB384_290:                            ;   in Loop: Header=BB384_16 Depth=1
	s_or_b32 exec_lo, exec_lo, s26
.LBB384_291:                            ;   in Loop: Header=BB384_16 Depth=1
	s_or_b32 exec_lo, exec_lo, s25
	v_mov_b32_e32 v0, 0xff
	v_mov_b32_e32 v1, 0
	s_mov_b32 s25, exec_lo
	v_and_b32_sdwa v0, v31, v0 dst_sel:DWORD dst_unused:UNUSED_PAD src0_sel:WORD_1 src1_sel:DWORD
	buffer_store_dword v1, off, s[0:3], s32 offset:328 ; 4-byte Folded Spill
	v_mov_b32_e32 v1, 0
	buffer_store_dword v1, off, s[0:3], s32 offset:696 ; 4-byte Folded Spill
	v_cmpx_ne_u16_e32 0, v0
	s_cbranch_execz .LBB384_299
; %bb.292:                              ;   in Loop: Header=BB384_16 Depth=1
	v_cmp_ne_u16_e64 s5, 0x80, v0
	v_bfrev_b32_e32 v0, 1
	s_and_saveexec_b32 s26, s5
	s_cbranch_execz .LBB384_298
; %bb.293:                              ;   in Loop: Header=BB384_16 Depth=1
	v_bfe_u32 v1, v31, 16, 7
	v_mov_b32_e32 v0, 0x7f800001
	s_mov_b32 s27, exec_lo
	v_cmpx_ne_u32_e32 0x7f, v1
	s_cbranch_execz .LBB384_297
; %bb.294:                              ;   in Loop: Header=BB384_16 Depth=1
	v_mov_b32_e32 v0, 7
	s_mov_b32 s28, exec_lo
	v_and_b32_sdwa v18, v31, v0 dst_sel:DWORD dst_unused:UNUSED_PAD src0_sel:WORD_1 src1_sel:DWORD
	v_mov_b32_e32 v34, v19
	v_lshrrev_b32_e32 v0, 3, v1
	v_mov_b32_e32 v33, v18
	v_cmpx_gt_u32_e32 8, v1
; %bb.295:                              ;   in Loop: Header=BB384_16 Depth=1
	v_ffbh_u32_e32 v0, v18
	v_min_u32_e32 v0, 32, v0
	v_subrev_nc_u32_e32 v1, 28, v0
	v_sub_nc_u32_e32 v0, 29, v0
	v_lshlrev_b64 v[1:2], v1, v[18:19]
	v_and_b32_e32 v33, 7, v1
; %bb.296:                              ;   in Loop: Header=BB384_16 Depth=1
	s_or_b32 exec_lo, exec_lo, s28
	v_mov_b32_e32 v1, 24
	v_lshlrev_b32_e32 v2, 20, v33
	v_lshl_add_u32 v0, v0, 23, 0x3c000000
	v_lshlrev_b32_sdwa v1, v1, v31 dst_sel:DWORD dst_unused:UNUSED_PAD src0_sel:DWORD src1_sel:WORD_1
	v_and_b32_e32 v1, 0x80000000, v1
	v_or3_b32 v0, v2, v1, v0
.LBB384_297:                            ;   in Loop: Header=BB384_16 Depth=1
	s_or_b32 exec_lo, exec_lo, s27
.LBB384_298:                            ;   in Loop: Header=BB384_16 Depth=1
	s_or_b32 exec_lo, exec_lo, s26
	buffer_store_dword v0, off, s[0:3], s32 offset:696 ; 4-byte Folded Spill
.LBB384_299:                            ;   in Loop: Header=BB384_16 Depth=1
	s_or_b32 exec_lo, exec_lo, s25
	s_mov_b32 s25, exec_lo
	v_cmpx_lt_u32_e32 0xffffff, v31
	s_cbranch_execz .LBB384_307
; %bb.300:                              ;   in Loop: Header=BB384_16 Depth=1
	v_cmp_ne_u32_sdwa s5, v31, v87 src0_sel:BYTE_3 src1_sel:DWORD
	v_bfrev_b32_e32 v0, 1
	buffer_store_dword v0, off, s[0:3], s32 offset:328 ; 4-byte Folded Spill
	s_and_saveexec_b32 s26, s5
	s_cbranch_execz .LBB384_306
; %bb.301:                              ;   in Loop: Header=BB384_16 Depth=1
	v_bfe_u32 v1, v31, 24, 7
	v_mov_b32_e32 v0, 0x7f800001
	s_mov_b32 s27, exec_lo
	buffer_store_dword v0, off, s[0:3], s32 offset:328 ; 4-byte Folded Spill
	v_cmpx_ne_u32_e32 0x7f, v1
	s_cbranch_execz .LBB384_305
; %bb.302:                              ;   in Loop: Header=BB384_16 Depth=1
	v_mov_b32_e32 v0, 7
	s_mov_b32 s28, exec_lo
	v_and_b32_sdwa v18, v31, v0 dst_sel:DWORD dst_unused:UNUSED_PAD src0_sel:BYTE_3 src1_sel:DWORD
	v_mov_b32_e32 v34, v19
	v_lshrrev_b32_e32 v0, 3, v1
	v_mov_b32_e32 v33, v18
	v_cmpx_gt_u32_e32 8, v1
; %bb.303:                              ;   in Loop: Header=BB384_16 Depth=1
	v_ffbh_u32_e32 v0, v18
	v_min_u32_e32 v0, 32, v0
	v_subrev_nc_u32_e32 v1, 28, v0
	v_sub_nc_u32_e32 v0, 29, v0
	v_lshlrev_b64 v[1:2], v1, v[18:19]
	v_and_b32_e32 v33, 7, v1
; %bb.304:                              ;   in Loop: Header=BB384_16 Depth=1
	s_or_b32 exec_lo, exec_lo, s28
	v_mov_b32_e32 v1, 24
	v_lshlrev_b32_e32 v2, 20, v33
	v_lshl_add_u32 v0, v0, 23, 0x3c000000
	v_lshlrev_b32_sdwa v1, v1, v31 dst_sel:DWORD dst_unused:UNUSED_PAD src0_sel:DWORD src1_sel:BYTE_3
	v_and_b32_e32 v1, 0x80000000, v1
	v_or3_b32 v0, v2, v1, v0
	buffer_store_dword v0, off, s[0:3], s32 offset:328 ; 4-byte Folded Spill
.LBB384_305:                            ;   in Loop: Header=BB384_16 Depth=1
	s_or_b32 exec_lo, exec_lo, s27
.LBB384_306:                            ;   in Loop: Header=BB384_16 Depth=1
	s_or_b32 exec_lo, exec_lo, s26
.LBB384_307:                            ;   in Loop: Header=BB384_16 Depth=1
	s_or_b32 exec_lo, exec_lo, s25
	v_mov_b32_e32 v0, 0
	v_mov_b32_e32 v18, v32
	v_cmp_ne_u16_sdwa s5, v32, v19 src0_sel:BYTE_0 src1_sel:DWORD
	buffer_store_dword v0, off, s[0:3], s32 offset:336 ; 4-byte Folded Spill
	v_mov_b32_e32 v0, 0
	buffer_store_dword v0, off, s[0:3], s32 offset:332 ; 4-byte Folded Spill
	s_and_saveexec_b32 s25, s5
	s_cbranch_execz .LBB384_315
; %bb.308:                              ;   in Loop: Header=BB384_16 Depth=1
	v_cmp_ne_u16_sdwa s5, v32, v87 src0_sel:BYTE_0 src1_sel:DWORD
	v_bfrev_b32_e32 v0, 1
	buffer_store_dword v0, off, s[0:3], s32 offset:332 ; 4-byte Folded Spill
	s_and_saveexec_b32 s26, s5
	s_cbranch_execz .LBB384_314
; %bb.309:                              ;   in Loop: Header=BB384_16 Depth=1
	v_and_b32_e32 v1, 0x7f, v32
	v_mov_b32_e32 v0, 0x7f800001
	s_mov_b32 s27, exec_lo
	buffer_store_dword v0, off, s[0:3], s32 offset:332 ; 4-byte Folded Spill
	v_cmpx_ne_u32_e32 0x7f, v1
	s_cbranch_execz .LBB384_313
; %bb.310:                              ;   in Loop: Header=BB384_16 Depth=1
	v_mov_b32_e32 v34, v19
	v_lshrrev_b32_e32 v0, 3, v1
	v_mov_b32_e32 v33, v18
	s_mov_b32 s28, exec_lo
	v_cmpx_gt_u32_e32 8, v1
; %bb.311:                              ;   in Loop: Header=BB384_16 Depth=1
	v_and_b32_e32 v0, 7, v32
	v_ffbh_u32_e32 v0, v0
	v_min_u32_e32 v0, 32, v0
	v_subrev_nc_u32_e32 v1, 28, v0
	v_sub_nc_u32_e32 v0, 29, v0
	v_lshlrev_b64 v[33:34], v1, v[18:19]
; %bb.312:                              ;   in Loop: Header=BB384_16 Depth=1
	s_or_b32 exec_lo, exec_lo, s28
	v_lshlrev_b32_e32 v1, 20, v33
	v_lshlrev_b32_e32 v2, 24, v18
	v_lshl_add_u32 v0, v0, 23, 0x3c000000
	v_and_b32_e32 v1, 0x700000, v1
	v_and_b32_e32 v2, 0x80000000, v2
	v_or3_b32 v0, v1, v2, v0
	buffer_store_dword v0, off, s[0:3], s32 offset:332 ; 4-byte Folded Spill
.LBB384_313:                            ;   in Loop: Header=BB384_16 Depth=1
	s_or_b32 exec_lo, exec_lo, s27
.LBB384_314:                            ;   in Loop: Header=BB384_16 Depth=1
	s_or_b32 exec_lo, exec_lo, s26
.LBB384_315:                            ;   in Loop: Header=BB384_16 Depth=1
	s_or_b32 exec_lo, exec_lo, s25
	v_cmp_ne_u16_sdwa s5, v18, v19 src0_sel:BYTE_1 src1_sel:DWORD
	s_and_saveexec_b32 s25, s5
	s_cbranch_execz .LBB384_323
; %bb.316:                              ;   in Loop: Header=BB384_16 Depth=1
	v_cmp_ne_u16_sdwa s5, v18, v87 src0_sel:BYTE_1 src1_sel:DWORD
	v_bfrev_b32_e32 v0, 1
	buffer_store_dword v0, off, s[0:3], s32 offset:336 ; 4-byte Folded Spill
	s_and_saveexec_b32 s26, s5
	s_cbranch_execz .LBB384_322
; %bb.317:                              ;   in Loop: Header=BB384_16 Depth=1
	v_mov_b32_e32 v0, 0xffff
	v_mov_b32_e32 v2, 0x7f800001
	s_mov_b32 s27, exec_lo
	v_and_b32_sdwa v0, v0, v18 dst_sel:DWORD dst_unused:UNUSED_PAD src0_sel:DWORD src1_sel:BYTE_1
	buffer_store_dword v2, off, s[0:3], s32 offset:336 ; 4-byte Folded Spill
	v_and_b32_e32 v1, 0x7f, v0
	v_cmpx_ne_u32_e32 0x7f, v1
	s_cbranch_execz .LBB384_321
; %bb.318:                              ;   in Loop: Header=BB384_16 Depth=1
	v_and_b32_e32 v33, 7, v0
	v_mov_b32_e32 v34, v19
	v_lshrrev_b32_e32 v0, 3, v1
	s_mov_b32 s28, exec_lo
	v_cmpx_gt_u32_e32 8, v1
; %bb.319:                              ;   in Loop: Header=BB384_16 Depth=1
	v_ffbh_u32_e32 v0, v33
	v_min_u32_e32 v0, 32, v0
	v_subrev_nc_u32_e32 v1, 28, v0
	v_sub_nc_u32_e32 v0, 29, v0
	v_lshlrev_b64 v[1:2], v1, v[33:34]
	v_and_b32_e32 v33, 7, v1
; %bb.320:                              ;   in Loop: Header=BB384_16 Depth=1
	s_or_b32 exec_lo, exec_lo, s28
	v_lshlrev_b32_e32 v1, 16, v18
	v_lshlrev_b32_e32 v2, 20, v33
	v_lshl_add_u32 v0, v0, 23, 0x3c000000
	v_and_b32_e32 v1, 0x80000000, v1
	v_or3_b32 v0, v2, v1, v0
	buffer_store_dword v0, off, s[0:3], s32 offset:336 ; 4-byte Folded Spill
.LBB384_321:                            ;   in Loop: Header=BB384_16 Depth=1
	s_or_b32 exec_lo, exec_lo, s27
.LBB384_322:                            ;   in Loop: Header=BB384_16 Depth=1
	s_or_b32 exec_lo, exec_lo, s26
.LBB384_323:                            ;   in Loop: Header=BB384_16 Depth=1
	s_or_b32 exec_lo, exec_lo, s25
	v_mov_b32_e32 v0, 0xff
	v_mov_b32_e32 v1, 0
	s_mov_b32 s25, exec_lo
	v_and_b32_sdwa v0, v32, v0 dst_sel:DWORD dst_unused:UNUSED_PAD src0_sel:WORD_1 src1_sel:DWORD
	buffer_store_dword v1, off, s[0:3], s32 offset:340 ; 4-byte Folded Spill
	v_mov_b32_e32 v1, 0
	buffer_store_dword v1, off, s[0:3], s32 offset:700 ; 4-byte Folded Spill
	v_cmpx_ne_u16_e32 0, v0
	s_cbranch_execz .LBB384_331
; %bb.324:                              ;   in Loop: Header=BB384_16 Depth=1
	v_cmp_ne_u16_e64 s5, 0x80, v0
	v_bfrev_b32_e32 v0, 1
	s_and_saveexec_b32 s26, s5
	s_cbranch_execz .LBB384_330
; %bb.325:                              ;   in Loop: Header=BB384_16 Depth=1
	v_bfe_u32 v1, v32, 16, 7
	v_mov_b32_e32 v0, 0x7f800001
	s_mov_b32 s27, exec_lo
	v_cmpx_ne_u32_e32 0x7f, v1
	s_cbranch_execz .LBB384_329
; %bb.326:                              ;   in Loop: Header=BB384_16 Depth=1
	v_mov_b32_e32 v0, 7
	s_mov_b32 s28, exec_lo
	v_and_b32_sdwa v18, v32, v0 dst_sel:DWORD dst_unused:UNUSED_PAD src0_sel:WORD_1 src1_sel:DWORD
	v_mov_b32_e32 v34, v19
	v_lshrrev_b32_e32 v0, 3, v1
	v_mov_b32_e32 v33, v18
	v_cmpx_gt_u32_e32 8, v1
; %bb.327:                              ;   in Loop: Header=BB384_16 Depth=1
	v_ffbh_u32_e32 v0, v18
	v_min_u32_e32 v0, 32, v0
	v_subrev_nc_u32_e32 v1, 28, v0
	v_sub_nc_u32_e32 v0, 29, v0
	v_lshlrev_b64 v[1:2], v1, v[18:19]
	v_and_b32_e32 v33, 7, v1
; %bb.328:                              ;   in Loop: Header=BB384_16 Depth=1
	s_or_b32 exec_lo, exec_lo, s28
	v_mov_b32_e32 v1, 24
	v_lshlrev_b32_e32 v2, 20, v33
	v_lshl_add_u32 v0, v0, 23, 0x3c000000
	v_lshlrev_b32_sdwa v1, v1, v32 dst_sel:DWORD dst_unused:UNUSED_PAD src0_sel:DWORD src1_sel:WORD_1
	v_and_b32_e32 v1, 0x80000000, v1
	v_or3_b32 v0, v2, v1, v0
.LBB384_329:                            ;   in Loop: Header=BB384_16 Depth=1
	s_or_b32 exec_lo, exec_lo, s27
.LBB384_330:                            ;   in Loop: Header=BB384_16 Depth=1
	s_or_b32 exec_lo, exec_lo, s26
	buffer_store_dword v0, off, s[0:3], s32 offset:700 ; 4-byte Folded Spill
.LBB384_331:                            ;   in Loop: Header=BB384_16 Depth=1
	s_or_b32 exec_lo, exec_lo, s25
	s_mov_b32 s25, exec_lo
	v_cmpx_lt_u64_e64 s[20:21], v[31:32]
	s_cbranch_execz .LBB384_339
; %bb.332:                              ;   in Loop: Header=BB384_16 Depth=1
	v_cmp_ne_u32_sdwa s5, v32, v87 src0_sel:BYTE_3 src1_sel:DWORD
	v_bfrev_b32_e32 v0, 1
	buffer_store_dword v0, off, s[0:3], s32 offset:340 ; 4-byte Folded Spill
	s_and_saveexec_b32 s26, s5
	s_cbranch_execz .LBB384_338
; %bb.333:                              ;   in Loop: Header=BB384_16 Depth=1
	v_bfe_u32 v1, v32, 24, 7
	v_mov_b32_e32 v0, 0x7f800001
	s_mov_b32 s27, exec_lo
	buffer_store_dword v0, off, s[0:3], s32 offset:340 ; 4-byte Folded Spill
	v_cmpx_ne_u32_e32 0x7f, v1
	s_cbranch_execz .LBB384_337
; %bb.334:                              ;   in Loop: Header=BB384_16 Depth=1
	v_mov_b32_e32 v0, 7
	s_mov_b32 s28, exec_lo
	v_and_b32_sdwa v18, v32, v0 dst_sel:DWORD dst_unused:UNUSED_PAD src0_sel:BYTE_3 src1_sel:DWORD
	v_mov_b32_e32 v34, v19
	v_lshrrev_b32_e32 v0, 3, v1
	v_mov_b32_e32 v33, v18
	v_cmpx_gt_u32_e32 8, v1
; %bb.335:                              ;   in Loop: Header=BB384_16 Depth=1
	v_ffbh_u32_e32 v0, v18
	v_min_u32_e32 v0, 32, v0
	v_subrev_nc_u32_e32 v1, 28, v0
	v_sub_nc_u32_e32 v0, 29, v0
	v_lshlrev_b64 v[1:2], v1, v[18:19]
	v_and_b32_e32 v33, 7, v1
; %bb.336:                              ;   in Loop: Header=BB384_16 Depth=1
	s_or_b32 exec_lo, exec_lo, s28
	v_mov_b32_e32 v1, 24
	v_lshlrev_b32_e32 v2, 20, v33
	v_lshl_add_u32 v0, v0, 23, 0x3c000000
	v_lshlrev_b32_sdwa v1, v1, v32 dst_sel:DWORD dst_unused:UNUSED_PAD src0_sel:DWORD src1_sel:BYTE_3
	v_and_b32_e32 v1, 0x80000000, v1
	v_or3_b32 v0, v2, v1, v0
	buffer_store_dword v0, off, s[0:3], s32 offset:340 ; 4-byte Folded Spill
.LBB384_337:                            ;   in Loop: Header=BB384_16 Depth=1
	s_or_b32 exec_lo, exec_lo, s27
.LBB384_338:                            ;   in Loop: Header=BB384_16 Depth=1
	s_or_b32 exec_lo, exec_lo, s26
.LBB384_339:                            ;   in Loop: Header=BB384_16 Depth=1
	s_or_b32 exec_lo, exec_lo, s25
	flat_load_dwordx2 v[31:32], v[28:29] offset:1032
	v_mov_b32_e32 v0, 0
	buffer_store_dword v0, off, s[0:3], s32 offset:348 ; 4-byte Folded Spill
	v_mov_b32_e32 v0, 0
	buffer_store_dword v0, off, s[0:3], s32 offset:344 ; 4-byte Folded Spill
	s_waitcnt vmcnt(0) lgkmcnt(0)
	v_cmp_ne_u16_sdwa s5, v31, v19 src0_sel:BYTE_0 src1_sel:DWORD
	s_and_saveexec_b32 s25, s5
	s_cbranch_execz .LBB384_347
; %bb.340:                              ;   in Loop: Header=BB384_16 Depth=1
	v_cmp_ne_u16_sdwa s5, v31, v87 src0_sel:BYTE_0 src1_sel:DWORD
	v_bfrev_b32_e32 v0, 1
	buffer_store_dword v0, off, s[0:3], s32 offset:344 ; 4-byte Folded Spill
	s_and_saveexec_b32 s26, s5
	s_cbranch_execz .LBB384_346
; %bb.341:                              ;   in Loop: Header=BB384_16 Depth=1
	v_and_b32_e32 v1, 0x7f, v31
	v_mov_b32_e32 v0, 0x7f800001
	s_mov_b32 s27, exec_lo
	buffer_store_dword v0, off, s[0:3], s32 offset:344 ; 4-byte Folded Spill
	v_cmpx_ne_u32_e32 0x7f, v1
	s_cbranch_execz .LBB384_345
; %bb.342:                              ;   in Loop: Header=BB384_16 Depth=1
	v_mov_b32_e32 v34, v32
	v_lshrrev_b32_e32 v0, 3, v1
	v_mov_b32_e32 v33, v31
	s_mov_b32 s28, exec_lo
	v_cmpx_gt_u32_e32 8, v1
; %bb.343:                              ;   in Loop: Header=BB384_16 Depth=1
	v_and_b32_e32 v0, 7, v31
	v_ffbh_u32_e32 v0, v0
	v_min_u32_e32 v0, 32, v0
	v_subrev_nc_u32_e32 v1, 28, v0
	v_sub_nc_u32_e32 v0, 29, v0
	v_lshlrev_b64 v[33:34], v1, v[31:32]
; %bb.344:                              ;   in Loop: Header=BB384_16 Depth=1
	s_or_b32 exec_lo, exec_lo, s28
	v_lshlrev_b32_e32 v1, 20, v33
	v_lshlrev_b32_e32 v2, 24, v31
	v_lshl_add_u32 v0, v0, 23, 0x3c000000
	v_and_b32_e32 v1, 0x700000, v1
	v_and_b32_e32 v2, 0x80000000, v2
	v_or3_b32 v0, v1, v2, v0
	buffer_store_dword v0, off, s[0:3], s32 offset:344 ; 4-byte Folded Spill
.LBB384_345:                            ;   in Loop: Header=BB384_16 Depth=1
	s_or_b32 exec_lo, exec_lo, s27
.LBB384_346:                            ;   in Loop: Header=BB384_16 Depth=1
	s_or_b32 exec_lo, exec_lo, s26
.LBB384_347:                            ;   in Loop: Header=BB384_16 Depth=1
	s_or_b32 exec_lo, exec_lo, s25
	v_cmp_ne_u16_sdwa s5, v31, v19 src0_sel:BYTE_1 src1_sel:DWORD
	s_and_saveexec_b32 s25, s5
	s_cbranch_execz .LBB384_355
; %bb.348:                              ;   in Loop: Header=BB384_16 Depth=1
	v_cmp_ne_u16_sdwa s5, v31, v87 src0_sel:BYTE_1 src1_sel:DWORD
	v_bfrev_b32_e32 v0, 1
	buffer_store_dword v0, off, s[0:3], s32 offset:348 ; 4-byte Folded Spill
	s_and_saveexec_b32 s26, s5
	s_cbranch_execz .LBB384_354
; %bb.349:                              ;   in Loop: Header=BB384_16 Depth=1
	v_mov_b32_e32 v0, 0xffff
	v_mov_b32_e32 v2, 0x7f800001
	s_mov_b32 s27, exec_lo
	v_and_b32_sdwa v0, v0, v31 dst_sel:DWORD dst_unused:UNUSED_PAD src0_sel:DWORD src1_sel:BYTE_1
	buffer_store_dword v2, off, s[0:3], s32 offset:348 ; 4-byte Folded Spill
	v_and_b32_e32 v1, 0x7f, v0
	v_cmpx_ne_u32_e32 0x7f, v1
	s_cbranch_execz .LBB384_353
; %bb.350:                              ;   in Loop: Header=BB384_16 Depth=1
	v_and_b32_e32 v18, 7, v0
	v_mov_b32_e32 v34, v19
	v_lshrrev_b32_e32 v0, 3, v1
	s_mov_b32 s28, exec_lo
	v_mov_b32_e32 v33, v18
	v_cmpx_gt_u32_e32 8, v1
; %bb.351:                              ;   in Loop: Header=BB384_16 Depth=1
	v_ffbh_u32_e32 v0, v18
	v_min_u32_e32 v0, 32, v0
	v_subrev_nc_u32_e32 v1, 28, v0
	v_sub_nc_u32_e32 v0, 29, v0
	v_lshlrev_b64 v[1:2], v1, v[18:19]
	v_and_b32_e32 v33, 7, v1
; %bb.352:                              ;   in Loop: Header=BB384_16 Depth=1
	s_or_b32 exec_lo, exec_lo, s28
	v_lshlrev_b32_e32 v1, 16, v31
	v_lshlrev_b32_e32 v2, 20, v33
	v_lshl_add_u32 v0, v0, 23, 0x3c000000
	v_and_b32_e32 v1, 0x80000000, v1
	v_or3_b32 v0, v2, v1, v0
	buffer_store_dword v0, off, s[0:3], s32 offset:348 ; 4-byte Folded Spill
.LBB384_353:                            ;   in Loop: Header=BB384_16 Depth=1
	s_or_b32 exec_lo, exec_lo, s27
.LBB384_354:                            ;   in Loop: Header=BB384_16 Depth=1
	s_or_b32 exec_lo, exec_lo, s26
.LBB384_355:                            ;   in Loop: Header=BB384_16 Depth=1
	s_or_b32 exec_lo, exec_lo, s25
	v_mov_b32_e32 v0, 0xff
	v_mov_b32_e32 v1, 0
	s_mov_b32 s25, exec_lo
	v_and_b32_sdwa v0, v31, v0 dst_sel:DWORD dst_unused:UNUSED_PAD src0_sel:WORD_1 src1_sel:DWORD
	buffer_store_dword v1, off, s[0:3], s32 offset:352 ; 4-byte Folded Spill
	v_mov_b32_e32 v1, 0
	buffer_store_dword v1, off, s[0:3], s32 offset:704 ; 4-byte Folded Spill
	v_cmpx_ne_u16_e32 0, v0
	s_cbranch_execz .LBB384_363
; %bb.356:                              ;   in Loop: Header=BB384_16 Depth=1
	v_cmp_ne_u16_e64 s5, 0x80, v0
	v_bfrev_b32_e32 v0, 1
	s_and_saveexec_b32 s26, s5
	s_cbranch_execz .LBB384_362
; %bb.357:                              ;   in Loop: Header=BB384_16 Depth=1
	v_bfe_u32 v1, v31, 16, 7
	v_mov_b32_e32 v0, 0x7f800001
	s_mov_b32 s27, exec_lo
	v_cmpx_ne_u32_e32 0x7f, v1
	s_cbranch_execz .LBB384_361
; %bb.358:                              ;   in Loop: Header=BB384_16 Depth=1
	v_mov_b32_e32 v0, 7
	s_mov_b32 s28, exec_lo
	v_and_b32_sdwa v18, v31, v0 dst_sel:DWORD dst_unused:UNUSED_PAD src0_sel:WORD_1 src1_sel:DWORD
	v_mov_b32_e32 v34, v19
	v_lshrrev_b32_e32 v0, 3, v1
	v_mov_b32_e32 v33, v18
	v_cmpx_gt_u32_e32 8, v1
; %bb.359:                              ;   in Loop: Header=BB384_16 Depth=1
	v_ffbh_u32_e32 v0, v18
	v_min_u32_e32 v0, 32, v0
	v_subrev_nc_u32_e32 v1, 28, v0
	v_sub_nc_u32_e32 v0, 29, v0
	v_lshlrev_b64 v[1:2], v1, v[18:19]
	v_and_b32_e32 v33, 7, v1
; %bb.360:                              ;   in Loop: Header=BB384_16 Depth=1
	s_or_b32 exec_lo, exec_lo, s28
	v_mov_b32_e32 v1, 24
	v_lshlrev_b32_e32 v2, 20, v33
	v_lshl_add_u32 v0, v0, 23, 0x3c000000
	v_lshlrev_b32_sdwa v1, v1, v31 dst_sel:DWORD dst_unused:UNUSED_PAD src0_sel:DWORD src1_sel:WORD_1
	v_and_b32_e32 v1, 0x80000000, v1
	v_or3_b32 v0, v2, v1, v0
.LBB384_361:                            ;   in Loop: Header=BB384_16 Depth=1
	s_or_b32 exec_lo, exec_lo, s27
.LBB384_362:                            ;   in Loop: Header=BB384_16 Depth=1
	s_or_b32 exec_lo, exec_lo, s26
	buffer_store_dword v0, off, s[0:3], s32 offset:704 ; 4-byte Folded Spill
.LBB384_363:                            ;   in Loop: Header=BB384_16 Depth=1
	s_or_b32 exec_lo, exec_lo, s25
	s_mov_b32 s25, exec_lo
	v_cmpx_lt_u32_e32 0xffffff, v31
	s_cbranch_execz .LBB384_371
; %bb.364:                              ;   in Loop: Header=BB384_16 Depth=1
	v_cmp_ne_u32_sdwa s5, v31, v87 src0_sel:BYTE_3 src1_sel:DWORD
	v_bfrev_b32_e32 v0, 1
	buffer_store_dword v0, off, s[0:3], s32 offset:352 ; 4-byte Folded Spill
	s_and_saveexec_b32 s26, s5
	s_cbranch_execz .LBB384_370
; %bb.365:                              ;   in Loop: Header=BB384_16 Depth=1
	v_bfe_u32 v1, v31, 24, 7
	v_mov_b32_e32 v0, 0x7f800001
	s_mov_b32 s27, exec_lo
	buffer_store_dword v0, off, s[0:3], s32 offset:352 ; 4-byte Folded Spill
	v_cmpx_ne_u32_e32 0x7f, v1
	s_cbranch_execz .LBB384_369
; %bb.366:                              ;   in Loop: Header=BB384_16 Depth=1
	v_mov_b32_e32 v0, 7
	s_mov_b32 s28, exec_lo
	v_and_b32_sdwa v18, v31, v0 dst_sel:DWORD dst_unused:UNUSED_PAD src0_sel:BYTE_3 src1_sel:DWORD
	v_mov_b32_e32 v34, v19
	v_lshrrev_b32_e32 v0, 3, v1
	v_mov_b32_e32 v33, v18
	v_cmpx_gt_u32_e32 8, v1
; %bb.367:                              ;   in Loop: Header=BB384_16 Depth=1
	v_ffbh_u32_e32 v0, v18
	v_min_u32_e32 v0, 32, v0
	v_subrev_nc_u32_e32 v1, 28, v0
	v_sub_nc_u32_e32 v0, 29, v0
	v_lshlrev_b64 v[1:2], v1, v[18:19]
	v_and_b32_e32 v33, 7, v1
; %bb.368:                              ;   in Loop: Header=BB384_16 Depth=1
	s_or_b32 exec_lo, exec_lo, s28
	v_mov_b32_e32 v1, 24
	v_lshlrev_b32_e32 v2, 20, v33
	v_lshl_add_u32 v0, v0, 23, 0x3c000000
	v_lshlrev_b32_sdwa v1, v1, v31 dst_sel:DWORD dst_unused:UNUSED_PAD src0_sel:DWORD src1_sel:BYTE_3
	v_and_b32_e32 v1, 0x80000000, v1
	v_or3_b32 v0, v2, v1, v0
	buffer_store_dword v0, off, s[0:3], s32 offset:352 ; 4-byte Folded Spill
.LBB384_369:                            ;   in Loop: Header=BB384_16 Depth=1
	s_or_b32 exec_lo, exec_lo, s27
.LBB384_370:                            ;   in Loop: Header=BB384_16 Depth=1
	s_or_b32 exec_lo, exec_lo, s26
.LBB384_371:                            ;   in Loop: Header=BB384_16 Depth=1
	s_or_b32 exec_lo, exec_lo, s25
	v_mov_b32_e32 v0, 0
	v_mov_b32_e32 v18, v32
	v_cmp_ne_u16_sdwa s5, v32, v19 src0_sel:BYTE_0 src1_sel:DWORD
	buffer_store_dword v0, off, s[0:3], s32 offset:360 ; 4-byte Folded Spill
	v_mov_b32_e32 v0, 0
	buffer_store_dword v0, off, s[0:3], s32 offset:356 ; 4-byte Folded Spill
	s_and_saveexec_b32 s25, s5
	s_cbranch_execz .LBB384_379
; %bb.372:                              ;   in Loop: Header=BB384_16 Depth=1
	v_cmp_ne_u16_sdwa s5, v32, v87 src0_sel:BYTE_0 src1_sel:DWORD
	v_bfrev_b32_e32 v0, 1
	buffer_store_dword v0, off, s[0:3], s32 offset:356 ; 4-byte Folded Spill
	s_and_saveexec_b32 s26, s5
	s_cbranch_execz .LBB384_378
; %bb.373:                              ;   in Loop: Header=BB384_16 Depth=1
	v_and_b32_e32 v1, 0x7f, v32
	v_mov_b32_e32 v0, 0x7f800001
	s_mov_b32 s27, exec_lo
	buffer_store_dword v0, off, s[0:3], s32 offset:356 ; 4-byte Folded Spill
	v_cmpx_ne_u32_e32 0x7f, v1
	s_cbranch_execz .LBB384_377
; %bb.374:                              ;   in Loop: Header=BB384_16 Depth=1
	v_mov_b32_e32 v34, v19
	v_lshrrev_b32_e32 v0, 3, v1
	v_mov_b32_e32 v33, v18
	s_mov_b32 s28, exec_lo
	v_cmpx_gt_u32_e32 8, v1
; %bb.375:                              ;   in Loop: Header=BB384_16 Depth=1
	v_and_b32_e32 v0, 7, v32
	v_ffbh_u32_e32 v0, v0
	v_min_u32_e32 v0, 32, v0
	v_subrev_nc_u32_e32 v1, 28, v0
	v_sub_nc_u32_e32 v0, 29, v0
	v_lshlrev_b64 v[33:34], v1, v[18:19]
; %bb.376:                              ;   in Loop: Header=BB384_16 Depth=1
	s_or_b32 exec_lo, exec_lo, s28
	v_lshlrev_b32_e32 v1, 20, v33
	v_lshlrev_b32_e32 v2, 24, v18
	v_lshl_add_u32 v0, v0, 23, 0x3c000000
	v_and_b32_e32 v1, 0x700000, v1
	v_and_b32_e32 v2, 0x80000000, v2
	v_or3_b32 v0, v1, v2, v0
	buffer_store_dword v0, off, s[0:3], s32 offset:356 ; 4-byte Folded Spill
.LBB384_377:                            ;   in Loop: Header=BB384_16 Depth=1
	s_or_b32 exec_lo, exec_lo, s27
.LBB384_378:                            ;   in Loop: Header=BB384_16 Depth=1
	s_or_b32 exec_lo, exec_lo, s26
.LBB384_379:                            ;   in Loop: Header=BB384_16 Depth=1
	s_or_b32 exec_lo, exec_lo, s25
	v_cmp_ne_u16_sdwa s5, v18, v19 src0_sel:BYTE_1 src1_sel:DWORD
	s_and_saveexec_b32 s25, s5
	s_cbranch_execz .LBB384_387
; %bb.380:                              ;   in Loop: Header=BB384_16 Depth=1
	v_cmp_ne_u16_sdwa s5, v18, v87 src0_sel:BYTE_1 src1_sel:DWORD
	v_bfrev_b32_e32 v0, 1
	buffer_store_dword v0, off, s[0:3], s32 offset:360 ; 4-byte Folded Spill
	s_and_saveexec_b32 s26, s5
	s_cbranch_execz .LBB384_386
; %bb.381:                              ;   in Loop: Header=BB384_16 Depth=1
	v_mov_b32_e32 v0, 0xffff
	v_mov_b32_e32 v2, 0x7f800001
	s_mov_b32 s27, exec_lo
	v_and_b32_sdwa v0, v0, v18 dst_sel:DWORD dst_unused:UNUSED_PAD src0_sel:DWORD src1_sel:BYTE_1
	buffer_store_dword v2, off, s[0:3], s32 offset:360 ; 4-byte Folded Spill
	v_and_b32_e32 v1, 0x7f, v0
	v_cmpx_ne_u32_e32 0x7f, v1
	s_cbranch_execz .LBB384_385
; %bb.382:                              ;   in Loop: Header=BB384_16 Depth=1
	v_and_b32_e32 v33, 7, v0
	v_mov_b32_e32 v34, v19
	v_lshrrev_b32_e32 v0, 3, v1
	s_mov_b32 s28, exec_lo
	v_cmpx_gt_u32_e32 8, v1
; %bb.383:                              ;   in Loop: Header=BB384_16 Depth=1
	v_ffbh_u32_e32 v0, v33
	v_min_u32_e32 v0, 32, v0
	v_subrev_nc_u32_e32 v1, 28, v0
	v_sub_nc_u32_e32 v0, 29, v0
	v_lshlrev_b64 v[1:2], v1, v[33:34]
	v_and_b32_e32 v33, 7, v1
; %bb.384:                              ;   in Loop: Header=BB384_16 Depth=1
	s_or_b32 exec_lo, exec_lo, s28
	v_lshlrev_b32_e32 v1, 16, v18
	v_lshlrev_b32_e32 v2, 20, v33
	v_lshl_add_u32 v0, v0, 23, 0x3c000000
	v_and_b32_e32 v1, 0x80000000, v1
	v_or3_b32 v0, v2, v1, v0
	buffer_store_dword v0, off, s[0:3], s32 offset:360 ; 4-byte Folded Spill
.LBB384_385:                            ;   in Loop: Header=BB384_16 Depth=1
	s_or_b32 exec_lo, exec_lo, s27
.LBB384_386:                            ;   in Loop: Header=BB384_16 Depth=1
	s_or_b32 exec_lo, exec_lo, s26
.LBB384_387:                            ;   in Loop: Header=BB384_16 Depth=1
	s_or_b32 exec_lo, exec_lo, s25
	v_mov_b32_e32 v0, 0xff
	v_mov_b32_e32 v1, 0
	s_mov_b32 s25, exec_lo
	v_and_b32_sdwa v0, v32, v0 dst_sel:DWORD dst_unused:UNUSED_PAD src0_sel:WORD_1 src1_sel:DWORD
	buffer_store_dword v1, off, s[0:3], s32 offset:364 ; 4-byte Folded Spill
	v_mov_b32_e32 v1, 0
	buffer_store_dword v1, off, s[0:3], s32 offset:708 ; 4-byte Folded Spill
	v_cmpx_ne_u16_e32 0, v0
	s_cbranch_execz .LBB384_395
; %bb.388:                              ;   in Loop: Header=BB384_16 Depth=1
	v_cmp_ne_u16_e64 s5, 0x80, v0
	v_bfrev_b32_e32 v0, 1
	s_and_saveexec_b32 s26, s5
	s_cbranch_execz .LBB384_394
; %bb.389:                              ;   in Loop: Header=BB384_16 Depth=1
	v_bfe_u32 v1, v32, 16, 7
	v_mov_b32_e32 v0, 0x7f800001
	s_mov_b32 s27, exec_lo
	v_cmpx_ne_u32_e32 0x7f, v1
	s_cbranch_execz .LBB384_393
; %bb.390:                              ;   in Loop: Header=BB384_16 Depth=1
	v_mov_b32_e32 v0, 7
	s_mov_b32 s28, exec_lo
	v_and_b32_sdwa v18, v32, v0 dst_sel:DWORD dst_unused:UNUSED_PAD src0_sel:WORD_1 src1_sel:DWORD
	v_mov_b32_e32 v34, v19
	v_lshrrev_b32_e32 v0, 3, v1
	v_mov_b32_e32 v33, v18
	v_cmpx_gt_u32_e32 8, v1
; %bb.391:                              ;   in Loop: Header=BB384_16 Depth=1
	v_ffbh_u32_e32 v0, v18
	v_min_u32_e32 v0, 32, v0
	v_subrev_nc_u32_e32 v1, 28, v0
	v_sub_nc_u32_e32 v0, 29, v0
	v_lshlrev_b64 v[1:2], v1, v[18:19]
	v_and_b32_e32 v33, 7, v1
; %bb.392:                              ;   in Loop: Header=BB384_16 Depth=1
	s_or_b32 exec_lo, exec_lo, s28
	v_mov_b32_e32 v1, 24
	v_lshlrev_b32_e32 v2, 20, v33
	v_lshl_add_u32 v0, v0, 23, 0x3c000000
	v_lshlrev_b32_sdwa v1, v1, v32 dst_sel:DWORD dst_unused:UNUSED_PAD src0_sel:DWORD src1_sel:WORD_1
	v_and_b32_e32 v1, 0x80000000, v1
	v_or3_b32 v0, v2, v1, v0
.LBB384_393:                            ;   in Loop: Header=BB384_16 Depth=1
	s_or_b32 exec_lo, exec_lo, s27
.LBB384_394:                            ;   in Loop: Header=BB384_16 Depth=1
	s_or_b32 exec_lo, exec_lo, s26
	buffer_store_dword v0, off, s[0:3], s32 offset:708 ; 4-byte Folded Spill
.LBB384_395:                            ;   in Loop: Header=BB384_16 Depth=1
	s_or_b32 exec_lo, exec_lo, s25
	s_mov_b32 s25, exec_lo
	v_cmpx_lt_u64_e64 s[20:21], v[31:32]
	s_cbranch_execz .LBB384_403
; %bb.396:                              ;   in Loop: Header=BB384_16 Depth=1
	v_cmp_ne_u32_sdwa s5, v32, v87 src0_sel:BYTE_3 src1_sel:DWORD
	v_bfrev_b32_e32 v0, 1
	buffer_store_dword v0, off, s[0:3], s32 offset:364 ; 4-byte Folded Spill
	s_and_saveexec_b32 s26, s5
	s_cbranch_execz .LBB384_402
; %bb.397:                              ;   in Loop: Header=BB384_16 Depth=1
	v_bfe_u32 v1, v32, 24, 7
	v_mov_b32_e32 v0, 0x7f800001
	s_mov_b32 s27, exec_lo
	buffer_store_dword v0, off, s[0:3], s32 offset:364 ; 4-byte Folded Spill
	v_cmpx_ne_u32_e32 0x7f, v1
	s_cbranch_execz .LBB384_401
; %bb.398:                              ;   in Loop: Header=BB384_16 Depth=1
	v_mov_b32_e32 v0, 7
	s_mov_b32 s28, exec_lo
	v_and_b32_sdwa v18, v32, v0 dst_sel:DWORD dst_unused:UNUSED_PAD src0_sel:BYTE_3 src1_sel:DWORD
	v_mov_b32_e32 v34, v19
	v_lshrrev_b32_e32 v0, 3, v1
	v_mov_b32_e32 v33, v18
	v_cmpx_gt_u32_e32 8, v1
; %bb.399:                              ;   in Loop: Header=BB384_16 Depth=1
	v_ffbh_u32_e32 v0, v18
	v_min_u32_e32 v0, 32, v0
	v_subrev_nc_u32_e32 v1, 28, v0
	v_sub_nc_u32_e32 v0, 29, v0
	v_lshlrev_b64 v[1:2], v1, v[18:19]
	v_and_b32_e32 v33, 7, v1
; %bb.400:                              ;   in Loop: Header=BB384_16 Depth=1
	s_or_b32 exec_lo, exec_lo, s28
	v_mov_b32_e32 v1, 24
	v_lshlrev_b32_e32 v2, 20, v33
	v_lshl_add_u32 v0, v0, 23, 0x3c000000
	v_lshlrev_b32_sdwa v1, v1, v32 dst_sel:DWORD dst_unused:UNUSED_PAD src0_sel:DWORD src1_sel:BYTE_3
	v_and_b32_e32 v1, 0x80000000, v1
	v_or3_b32 v0, v2, v1, v0
	buffer_store_dword v0, off, s[0:3], s32 offset:364 ; 4-byte Folded Spill
.LBB384_401:                            ;   in Loop: Header=BB384_16 Depth=1
	s_or_b32 exec_lo, exec_lo, s27
.LBB384_402:                            ;   in Loop: Header=BB384_16 Depth=1
	s_or_b32 exec_lo, exec_lo, s26
.LBB384_403:                            ;   in Loop: Header=BB384_16 Depth=1
	s_or_b32 exec_lo, exec_lo, s25
	flat_load_dwordx2 v[31:32], v[28:29] offset:1536
	v_mov_b32_e32 v0, 0
	buffer_store_dword v0, off, s[0:3], s32 offset:372 ; 4-byte Folded Spill
	v_mov_b32_e32 v0, 0
	buffer_store_dword v0, off, s[0:3], s32 offset:368 ; 4-byte Folded Spill
	s_waitcnt vmcnt(0) lgkmcnt(0)
	v_cmp_ne_u16_sdwa s5, v31, v19 src0_sel:BYTE_0 src1_sel:DWORD
	s_and_saveexec_b32 s25, s5
	s_cbranch_execz .LBB384_411
; %bb.404:                              ;   in Loop: Header=BB384_16 Depth=1
	v_cmp_ne_u16_sdwa s5, v31, v87 src0_sel:BYTE_0 src1_sel:DWORD
	v_bfrev_b32_e32 v0, 1
	buffer_store_dword v0, off, s[0:3], s32 offset:368 ; 4-byte Folded Spill
	s_and_saveexec_b32 s26, s5
	s_cbranch_execz .LBB384_410
; %bb.405:                              ;   in Loop: Header=BB384_16 Depth=1
	v_and_b32_e32 v1, 0x7f, v31
	v_mov_b32_e32 v0, 0x7f800001
	s_mov_b32 s27, exec_lo
	buffer_store_dword v0, off, s[0:3], s32 offset:368 ; 4-byte Folded Spill
	v_cmpx_ne_u32_e32 0x7f, v1
	s_cbranch_execz .LBB384_409
; %bb.406:                              ;   in Loop: Header=BB384_16 Depth=1
	v_mov_b32_e32 v34, v32
	v_lshrrev_b32_e32 v0, 3, v1
	v_mov_b32_e32 v33, v31
	s_mov_b32 s28, exec_lo
	v_cmpx_gt_u32_e32 8, v1
; %bb.407:                              ;   in Loop: Header=BB384_16 Depth=1
	v_and_b32_e32 v0, 7, v31
	v_ffbh_u32_e32 v0, v0
	v_min_u32_e32 v0, 32, v0
	v_subrev_nc_u32_e32 v1, 28, v0
	v_sub_nc_u32_e32 v0, 29, v0
	v_lshlrev_b64 v[33:34], v1, v[31:32]
; %bb.408:                              ;   in Loop: Header=BB384_16 Depth=1
	s_or_b32 exec_lo, exec_lo, s28
	v_lshlrev_b32_e32 v1, 20, v33
	v_lshlrev_b32_e32 v2, 24, v31
	v_lshl_add_u32 v0, v0, 23, 0x3c000000
	v_and_b32_e32 v1, 0x700000, v1
	v_and_b32_e32 v2, 0x80000000, v2
	v_or3_b32 v0, v1, v2, v0
	buffer_store_dword v0, off, s[0:3], s32 offset:368 ; 4-byte Folded Spill
.LBB384_409:                            ;   in Loop: Header=BB384_16 Depth=1
	s_or_b32 exec_lo, exec_lo, s27
.LBB384_410:                            ;   in Loop: Header=BB384_16 Depth=1
	s_or_b32 exec_lo, exec_lo, s26
.LBB384_411:                            ;   in Loop: Header=BB384_16 Depth=1
	s_or_b32 exec_lo, exec_lo, s25
	v_cmp_ne_u16_sdwa s5, v31, v19 src0_sel:BYTE_1 src1_sel:DWORD
	s_and_saveexec_b32 s25, s5
	s_cbranch_execz .LBB384_419
; %bb.412:                              ;   in Loop: Header=BB384_16 Depth=1
	v_cmp_ne_u16_sdwa s5, v31, v87 src0_sel:BYTE_1 src1_sel:DWORD
	v_bfrev_b32_e32 v0, 1
	buffer_store_dword v0, off, s[0:3], s32 offset:372 ; 4-byte Folded Spill
	s_and_saveexec_b32 s26, s5
	s_cbranch_execz .LBB384_418
; %bb.413:                              ;   in Loop: Header=BB384_16 Depth=1
	v_mov_b32_e32 v0, 0xffff
	v_mov_b32_e32 v2, 0x7f800001
	s_mov_b32 s27, exec_lo
	v_and_b32_sdwa v0, v0, v31 dst_sel:DWORD dst_unused:UNUSED_PAD src0_sel:DWORD src1_sel:BYTE_1
	buffer_store_dword v2, off, s[0:3], s32 offset:372 ; 4-byte Folded Spill
	v_and_b32_e32 v1, 0x7f, v0
	v_cmpx_ne_u32_e32 0x7f, v1
	s_cbranch_execz .LBB384_417
; %bb.414:                              ;   in Loop: Header=BB384_16 Depth=1
	v_and_b32_e32 v18, 7, v0
	v_mov_b32_e32 v34, v19
	v_lshrrev_b32_e32 v0, 3, v1
	s_mov_b32 s28, exec_lo
	v_mov_b32_e32 v33, v18
	v_cmpx_gt_u32_e32 8, v1
; %bb.415:                              ;   in Loop: Header=BB384_16 Depth=1
	v_ffbh_u32_e32 v0, v18
	v_min_u32_e32 v0, 32, v0
	v_subrev_nc_u32_e32 v1, 28, v0
	v_sub_nc_u32_e32 v0, 29, v0
	v_lshlrev_b64 v[1:2], v1, v[18:19]
	v_and_b32_e32 v33, 7, v1
; %bb.416:                              ;   in Loop: Header=BB384_16 Depth=1
	s_or_b32 exec_lo, exec_lo, s28
	v_lshlrev_b32_e32 v1, 16, v31
	v_lshlrev_b32_e32 v2, 20, v33
	v_lshl_add_u32 v0, v0, 23, 0x3c000000
	v_and_b32_e32 v1, 0x80000000, v1
	v_or3_b32 v0, v2, v1, v0
	buffer_store_dword v0, off, s[0:3], s32 offset:372 ; 4-byte Folded Spill
.LBB384_417:                            ;   in Loop: Header=BB384_16 Depth=1
	s_or_b32 exec_lo, exec_lo, s27
.LBB384_418:                            ;   in Loop: Header=BB384_16 Depth=1
	s_or_b32 exec_lo, exec_lo, s26
.LBB384_419:                            ;   in Loop: Header=BB384_16 Depth=1
	s_or_b32 exec_lo, exec_lo, s25
	v_mov_b32_e32 v0, 0xff
	v_mov_b32_e32 v1, 0
	s_mov_b32 s25, exec_lo
	v_and_b32_sdwa v0, v31, v0 dst_sel:DWORD dst_unused:UNUSED_PAD src0_sel:WORD_1 src1_sel:DWORD
	buffer_store_dword v1, off, s[0:3], s32 offset:376 ; 4-byte Folded Spill
	v_mov_b32_e32 v1, 0
	buffer_store_dword v1, off, s[0:3], s32 offset:712 ; 4-byte Folded Spill
	v_cmpx_ne_u16_e32 0, v0
	s_cbranch_execz .LBB384_427
; %bb.420:                              ;   in Loop: Header=BB384_16 Depth=1
	v_cmp_ne_u16_e64 s5, 0x80, v0
	v_bfrev_b32_e32 v0, 1
	s_and_saveexec_b32 s26, s5
	s_cbranch_execz .LBB384_426
; %bb.421:                              ;   in Loop: Header=BB384_16 Depth=1
	v_bfe_u32 v1, v31, 16, 7
	v_mov_b32_e32 v0, 0x7f800001
	s_mov_b32 s27, exec_lo
	v_cmpx_ne_u32_e32 0x7f, v1
	s_cbranch_execz .LBB384_425
; %bb.422:                              ;   in Loop: Header=BB384_16 Depth=1
	v_mov_b32_e32 v0, 7
	s_mov_b32 s28, exec_lo
	v_and_b32_sdwa v18, v31, v0 dst_sel:DWORD dst_unused:UNUSED_PAD src0_sel:WORD_1 src1_sel:DWORD
	v_mov_b32_e32 v34, v19
	v_lshrrev_b32_e32 v0, 3, v1
	v_mov_b32_e32 v33, v18
	v_cmpx_gt_u32_e32 8, v1
; %bb.423:                              ;   in Loop: Header=BB384_16 Depth=1
	v_ffbh_u32_e32 v0, v18
	v_min_u32_e32 v0, 32, v0
	v_subrev_nc_u32_e32 v1, 28, v0
	v_sub_nc_u32_e32 v0, 29, v0
	v_lshlrev_b64 v[1:2], v1, v[18:19]
	v_and_b32_e32 v33, 7, v1
; %bb.424:                              ;   in Loop: Header=BB384_16 Depth=1
	s_or_b32 exec_lo, exec_lo, s28
	v_mov_b32_e32 v1, 24
	v_lshlrev_b32_e32 v2, 20, v33
	v_lshl_add_u32 v0, v0, 23, 0x3c000000
	v_lshlrev_b32_sdwa v1, v1, v31 dst_sel:DWORD dst_unused:UNUSED_PAD src0_sel:DWORD src1_sel:WORD_1
	v_and_b32_e32 v1, 0x80000000, v1
	v_or3_b32 v0, v2, v1, v0
.LBB384_425:                            ;   in Loop: Header=BB384_16 Depth=1
	s_or_b32 exec_lo, exec_lo, s27
.LBB384_426:                            ;   in Loop: Header=BB384_16 Depth=1
	s_or_b32 exec_lo, exec_lo, s26
	buffer_store_dword v0, off, s[0:3], s32 offset:712 ; 4-byte Folded Spill
.LBB384_427:                            ;   in Loop: Header=BB384_16 Depth=1
	s_or_b32 exec_lo, exec_lo, s25
	s_mov_b32 s25, exec_lo
	v_cmpx_lt_u32_e32 0xffffff, v31
	s_cbranch_execz .LBB384_435
; %bb.428:                              ;   in Loop: Header=BB384_16 Depth=1
	v_cmp_ne_u32_sdwa s5, v31, v87 src0_sel:BYTE_3 src1_sel:DWORD
	v_bfrev_b32_e32 v0, 1
	buffer_store_dword v0, off, s[0:3], s32 offset:376 ; 4-byte Folded Spill
	s_and_saveexec_b32 s26, s5
	s_cbranch_execz .LBB384_434
; %bb.429:                              ;   in Loop: Header=BB384_16 Depth=1
	v_bfe_u32 v1, v31, 24, 7
	v_mov_b32_e32 v0, 0x7f800001
	s_mov_b32 s27, exec_lo
	buffer_store_dword v0, off, s[0:3], s32 offset:376 ; 4-byte Folded Spill
	v_cmpx_ne_u32_e32 0x7f, v1
	s_cbranch_execz .LBB384_433
; %bb.430:                              ;   in Loop: Header=BB384_16 Depth=1
	v_mov_b32_e32 v0, 7
	s_mov_b32 s28, exec_lo
	v_and_b32_sdwa v18, v31, v0 dst_sel:DWORD dst_unused:UNUSED_PAD src0_sel:BYTE_3 src1_sel:DWORD
	v_mov_b32_e32 v34, v19
	v_lshrrev_b32_e32 v0, 3, v1
	v_mov_b32_e32 v33, v18
	v_cmpx_gt_u32_e32 8, v1
; %bb.431:                              ;   in Loop: Header=BB384_16 Depth=1
	v_ffbh_u32_e32 v0, v18
	v_min_u32_e32 v0, 32, v0
	v_subrev_nc_u32_e32 v1, 28, v0
	v_sub_nc_u32_e32 v0, 29, v0
	v_lshlrev_b64 v[1:2], v1, v[18:19]
	v_and_b32_e32 v33, 7, v1
; %bb.432:                              ;   in Loop: Header=BB384_16 Depth=1
	s_or_b32 exec_lo, exec_lo, s28
	v_mov_b32_e32 v1, 24
	v_lshlrev_b32_e32 v2, 20, v33
	v_lshl_add_u32 v0, v0, 23, 0x3c000000
	v_lshlrev_b32_sdwa v1, v1, v31 dst_sel:DWORD dst_unused:UNUSED_PAD src0_sel:DWORD src1_sel:BYTE_3
	v_and_b32_e32 v1, 0x80000000, v1
	v_or3_b32 v0, v2, v1, v0
	buffer_store_dword v0, off, s[0:3], s32 offset:376 ; 4-byte Folded Spill
.LBB384_433:                            ;   in Loop: Header=BB384_16 Depth=1
	s_or_b32 exec_lo, exec_lo, s27
.LBB384_434:                            ;   in Loop: Header=BB384_16 Depth=1
	s_or_b32 exec_lo, exec_lo, s26
.LBB384_435:                            ;   in Loop: Header=BB384_16 Depth=1
	s_or_b32 exec_lo, exec_lo, s25
	v_mov_b32_e32 v0, 0
	v_mov_b32_e32 v18, v32
	v_cmp_ne_u16_sdwa s5, v32, v19 src0_sel:BYTE_0 src1_sel:DWORD
	buffer_store_dword v0, off, s[0:3], s32 offset:384 ; 4-byte Folded Spill
	v_mov_b32_e32 v0, 0
	buffer_store_dword v0, off, s[0:3], s32 offset:380 ; 4-byte Folded Spill
	s_and_saveexec_b32 s25, s5
	s_cbranch_execz .LBB384_443
; %bb.436:                              ;   in Loop: Header=BB384_16 Depth=1
	v_cmp_ne_u16_sdwa s5, v32, v87 src0_sel:BYTE_0 src1_sel:DWORD
	v_bfrev_b32_e32 v0, 1
	buffer_store_dword v0, off, s[0:3], s32 offset:380 ; 4-byte Folded Spill
	s_and_saveexec_b32 s26, s5
	s_cbranch_execz .LBB384_442
; %bb.437:                              ;   in Loop: Header=BB384_16 Depth=1
	v_and_b32_e32 v1, 0x7f, v32
	v_mov_b32_e32 v0, 0x7f800001
	s_mov_b32 s27, exec_lo
	buffer_store_dword v0, off, s[0:3], s32 offset:380 ; 4-byte Folded Spill
	v_cmpx_ne_u32_e32 0x7f, v1
	s_cbranch_execz .LBB384_441
; %bb.438:                              ;   in Loop: Header=BB384_16 Depth=1
	v_mov_b32_e32 v34, v19
	v_lshrrev_b32_e32 v0, 3, v1
	v_mov_b32_e32 v33, v18
	s_mov_b32 s28, exec_lo
	v_cmpx_gt_u32_e32 8, v1
; %bb.439:                              ;   in Loop: Header=BB384_16 Depth=1
	v_and_b32_e32 v0, 7, v32
	v_ffbh_u32_e32 v0, v0
	v_min_u32_e32 v0, 32, v0
	v_subrev_nc_u32_e32 v1, 28, v0
	v_sub_nc_u32_e32 v0, 29, v0
	v_lshlrev_b64 v[33:34], v1, v[18:19]
; %bb.440:                              ;   in Loop: Header=BB384_16 Depth=1
	s_or_b32 exec_lo, exec_lo, s28
	v_lshlrev_b32_e32 v1, 20, v33
	v_lshlrev_b32_e32 v2, 24, v18
	v_lshl_add_u32 v0, v0, 23, 0x3c000000
	v_and_b32_e32 v1, 0x700000, v1
	v_and_b32_e32 v2, 0x80000000, v2
	v_or3_b32 v0, v1, v2, v0
	buffer_store_dword v0, off, s[0:3], s32 offset:380 ; 4-byte Folded Spill
.LBB384_441:                            ;   in Loop: Header=BB384_16 Depth=1
	s_or_b32 exec_lo, exec_lo, s27
.LBB384_442:                            ;   in Loop: Header=BB384_16 Depth=1
	s_or_b32 exec_lo, exec_lo, s26
.LBB384_443:                            ;   in Loop: Header=BB384_16 Depth=1
	s_or_b32 exec_lo, exec_lo, s25
	v_cmp_ne_u16_sdwa s5, v18, v19 src0_sel:BYTE_1 src1_sel:DWORD
	s_and_saveexec_b32 s25, s5
	s_cbranch_execz .LBB384_451
; %bb.444:                              ;   in Loop: Header=BB384_16 Depth=1
	v_cmp_ne_u16_sdwa s5, v18, v87 src0_sel:BYTE_1 src1_sel:DWORD
	v_bfrev_b32_e32 v0, 1
	buffer_store_dword v0, off, s[0:3], s32 offset:384 ; 4-byte Folded Spill
	s_and_saveexec_b32 s26, s5
	s_cbranch_execz .LBB384_450
; %bb.445:                              ;   in Loop: Header=BB384_16 Depth=1
	v_mov_b32_e32 v0, 0xffff
	v_mov_b32_e32 v2, 0x7f800001
	s_mov_b32 s27, exec_lo
	v_and_b32_sdwa v0, v0, v18 dst_sel:DWORD dst_unused:UNUSED_PAD src0_sel:DWORD src1_sel:BYTE_1
	buffer_store_dword v2, off, s[0:3], s32 offset:384 ; 4-byte Folded Spill
	v_and_b32_e32 v1, 0x7f, v0
	v_cmpx_ne_u32_e32 0x7f, v1
	s_cbranch_execz .LBB384_449
; %bb.446:                              ;   in Loop: Header=BB384_16 Depth=1
	v_and_b32_e32 v33, 7, v0
	v_mov_b32_e32 v34, v19
	v_lshrrev_b32_e32 v0, 3, v1
	s_mov_b32 s28, exec_lo
	v_cmpx_gt_u32_e32 8, v1
; %bb.447:                              ;   in Loop: Header=BB384_16 Depth=1
	v_ffbh_u32_e32 v0, v33
	v_min_u32_e32 v0, 32, v0
	v_subrev_nc_u32_e32 v1, 28, v0
	v_sub_nc_u32_e32 v0, 29, v0
	v_lshlrev_b64 v[1:2], v1, v[33:34]
	v_and_b32_e32 v33, 7, v1
; %bb.448:                              ;   in Loop: Header=BB384_16 Depth=1
	s_or_b32 exec_lo, exec_lo, s28
	v_lshlrev_b32_e32 v1, 16, v18
	v_lshlrev_b32_e32 v2, 20, v33
	v_lshl_add_u32 v0, v0, 23, 0x3c000000
	v_and_b32_e32 v1, 0x80000000, v1
	v_or3_b32 v0, v2, v1, v0
	buffer_store_dword v0, off, s[0:3], s32 offset:384 ; 4-byte Folded Spill
.LBB384_449:                            ;   in Loop: Header=BB384_16 Depth=1
	s_or_b32 exec_lo, exec_lo, s27
.LBB384_450:                            ;   in Loop: Header=BB384_16 Depth=1
	s_or_b32 exec_lo, exec_lo, s26
.LBB384_451:                            ;   in Loop: Header=BB384_16 Depth=1
	s_or_b32 exec_lo, exec_lo, s25
	v_mov_b32_e32 v0, 0xff
	v_mov_b32_e32 v1, 0
	s_mov_b32 s25, exec_lo
	v_and_b32_sdwa v0, v32, v0 dst_sel:DWORD dst_unused:UNUSED_PAD src0_sel:WORD_1 src1_sel:DWORD
	buffer_store_dword v1, off, s[0:3], s32 offset:388 ; 4-byte Folded Spill
	v_mov_b32_e32 v1, 0
	buffer_store_dword v1, off, s[0:3], s32 offset:716 ; 4-byte Folded Spill
	v_cmpx_ne_u16_e32 0, v0
	s_cbranch_execz .LBB384_459
; %bb.452:                              ;   in Loop: Header=BB384_16 Depth=1
	v_cmp_ne_u16_e64 s5, 0x80, v0
	v_bfrev_b32_e32 v0, 1
	s_and_saveexec_b32 s26, s5
	s_cbranch_execz .LBB384_458
; %bb.453:                              ;   in Loop: Header=BB384_16 Depth=1
	v_bfe_u32 v1, v32, 16, 7
	v_mov_b32_e32 v0, 0x7f800001
	s_mov_b32 s27, exec_lo
	v_cmpx_ne_u32_e32 0x7f, v1
	s_cbranch_execz .LBB384_457
; %bb.454:                              ;   in Loop: Header=BB384_16 Depth=1
	v_mov_b32_e32 v0, 7
	s_mov_b32 s28, exec_lo
	v_and_b32_sdwa v18, v32, v0 dst_sel:DWORD dst_unused:UNUSED_PAD src0_sel:WORD_1 src1_sel:DWORD
	v_mov_b32_e32 v34, v19
	v_lshrrev_b32_e32 v0, 3, v1
	v_mov_b32_e32 v33, v18
	v_cmpx_gt_u32_e32 8, v1
; %bb.455:                              ;   in Loop: Header=BB384_16 Depth=1
	v_ffbh_u32_e32 v0, v18
	v_min_u32_e32 v0, 32, v0
	v_subrev_nc_u32_e32 v1, 28, v0
	v_sub_nc_u32_e32 v0, 29, v0
	v_lshlrev_b64 v[1:2], v1, v[18:19]
	v_and_b32_e32 v33, 7, v1
; %bb.456:                              ;   in Loop: Header=BB384_16 Depth=1
	s_or_b32 exec_lo, exec_lo, s28
	v_mov_b32_e32 v1, 24
	v_lshlrev_b32_e32 v2, 20, v33
	v_lshl_add_u32 v0, v0, 23, 0x3c000000
	v_lshlrev_b32_sdwa v1, v1, v32 dst_sel:DWORD dst_unused:UNUSED_PAD src0_sel:DWORD src1_sel:WORD_1
	v_and_b32_e32 v1, 0x80000000, v1
	v_or3_b32 v0, v2, v1, v0
.LBB384_457:                            ;   in Loop: Header=BB384_16 Depth=1
	s_or_b32 exec_lo, exec_lo, s27
.LBB384_458:                            ;   in Loop: Header=BB384_16 Depth=1
	s_or_b32 exec_lo, exec_lo, s26
	buffer_store_dword v0, off, s[0:3], s32 offset:716 ; 4-byte Folded Spill
.LBB384_459:                            ;   in Loop: Header=BB384_16 Depth=1
	s_or_b32 exec_lo, exec_lo, s25
	s_mov_b32 s25, exec_lo
	v_cmpx_lt_u64_e64 s[20:21], v[31:32]
	s_cbranch_execz .LBB384_467
; %bb.460:                              ;   in Loop: Header=BB384_16 Depth=1
	v_cmp_ne_u32_sdwa s5, v32, v87 src0_sel:BYTE_3 src1_sel:DWORD
	v_bfrev_b32_e32 v0, 1
	buffer_store_dword v0, off, s[0:3], s32 offset:388 ; 4-byte Folded Spill
	s_and_saveexec_b32 s26, s5
	s_cbranch_execz .LBB384_466
; %bb.461:                              ;   in Loop: Header=BB384_16 Depth=1
	v_bfe_u32 v1, v32, 24, 7
	v_mov_b32_e32 v0, 0x7f800001
	s_mov_b32 s27, exec_lo
	buffer_store_dword v0, off, s[0:3], s32 offset:388 ; 4-byte Folded Spill
	v_cmpx_ne_u32_e32 0x7f, v1
	s_cbranch_execz .LBB384_465
; %bb.462:                              ;   in Loop: Header=BB384_16 Depth=1
	v_mov_b32_e32 v0, 7
	s_mov_b32 s28, exec_lo
	v_and_b32_sdwa v18, v32, v0 dst_sel:DWORD dst_unused:UNUSED_PAD src0_sel:BYTE_3 src1_sel:DWORD
	v_mov_b32_e32 v34, v19
	v_lshrrev_b32_e32 v0, 3, v1
	v_mov_b32_e32 v33, v18
	v_cmpx_gt_u32_e32 8, v1
; %bb.463:                              ;   in Loop: Header=BB384_16 Depth=1
	v_ffbh_u32_e32 v0, v18
	v_min_u32_e32 v0, 32, v0
	v_subrev_nc_u32_e32 v1, 28, v0
	v_sub_nc_u32_e32 v0, 29, v0
	v_lshlrev_b64 v[1:2], v1, v[18:19]
	v_and_b32_e32 v33, 7, v1
; %bb.464:                              ;   in Loop: Header=BB384_16 Depth=1
	s_or_b32 exec_lo, exec_lo, s28
	v_mov_b32_e32 v1, 24
	v_lshlrev_b32_e32 v2, 20, v33
	v_lshl_add_u32 v0, v0, 23, 0x3c000000
	v_lshlrev_b32_sdwa v1, v1, v32 dst_sel:DWORD dst_unused:UNUSED_PAD src0_sel:DWORD src1_sel:BYTE_3
	v_and_b32_e32 v1, 0x80000000, v1
	v_or3_b32 v0, v2, v1, v0
	buffer_store_dword v0, off, s[0:3], s32 offset:388 ; 4-byte Folded Spill
.LBB384_465:                            ;   in Loop: Header=BB384_16 Depth=1
	s_or_b32 exec_lo, exec_lo, s27
.LBB384_466:                            ;   in Loop: Header=BB384_16 Depth=1
	s_or_b32 exec_lo, exec_lo, s26
.LBB384_467:                            ;   in Loop: Header=BB384_16 Depth=1
	s_or_b32 exec_lo, exec_lo, s25
	flat_load_dwordx2 v[31:32], v[28:29] offset:1544
	v_mov_b32_e32 v0, 0
	buffer_store_dword v0, off, s[0:3], s32 offset:396 ; 4-byte Folded Spill
	v_mov_b32_e32 v0, 0
	buffer_store_dword v0, off, s[0:3], s32 offset:392 ; 4-byte Folded Spill
	s_waitcnt vmcnt(0) lgkmcnt(0)
	v_cmp_ne_u16_sdwa s5, v31, v19 src0_sel:BYTE_0 src1_sel:DWORD
	s_and_saveexec_b32 s25, s5
	s_cbranch_execz .LBB384_475
; %bb.468:                              ;   in Loop: Header=BB384_16 Depth=1
	v_cmp_ne_u16_sdwa s5, v31, v87 src0_sel:BYTE_0 src1_sel:DWORD
	v_bfrev_b32_e32 v0, 1
	buffer_store_dword v0, off, s[0:3], s32 offset:392 ; 4-byte Folded Spill
	s_and_saveexec_b32 s26, s5
	s_cbranch_execz .LBB384_474
; %bb.469:                              ;   in Loop: Header=BB384_16 Depth=1
	v_and_b32_e32 v1, 0x7f, v31
	v_mov_b32_e32 v0, 0x7f800001
	s_mov_b32 s27, exec_lo
	buffer_store_dword v0, off, s[0:3], s32 offset:392 ; 4-byte Folded Spill
	v_cmpx_ne_u32_e32 0x7f, v1
	s_cbranch_execz .LBB384_473
; %bb.470:                              ;   in Loop: Header=BB384_16 Depth=1
	v_mov_b32_e32 v34, v32
	v_lshrrev_b32_e32 v0, 3, v1
	v_mov_b32_e32 v33, v31
	s_mov_b32 s28, exec_lo
	v_cmpx_gt_u32_e32 8, v1
; %bb.471:                              ;   in Loop: Header=BB384_16 Depth=1
	v_and_b32_e32 v0, 7, v31
	v_ffbh_u32_e32 v0, v0
	v_min_u32_e32 v0, 32, v0
	v_subrev_nc_u32_e32 v1, 28, v0
	v_sub_nc_u32_e32 v0, 29, v0
	v_lshlrev_b64 v[33:34], v1, v[31:32]
; %bb.472:                              ;   in Loop: Header=BB384_16 Depth=1
	s_or_b32 exec_lo, exec_lo, s28
	v_lshlrev_b32_e32 v1, 20, v33
	v_lshlrev_b32_e32 v2, 24, v31
	v_lshl_add_u32 v0, v0, 23, 0x3c000000
	v_and_b32_e32 v1, 0x700000, v1
	v_and_b32_e32 v2, 0x80000000, v2
	v_or3_b32 v0, v1, v2, v0
	buffer_store_dword v0, off, s[0:3], s32 offset:392 ; 4-byte Folded Spill
.LBB384_473:                            ;   in Loop: Header=BB384_16 Depth=1
	s_or_b32 exec_lo, exec_lo, s27
.LBB384_474:                            ;   in Loop: Header=BB384_16 Depth=1
	s_or_b32 exec_lo, exec_lo, s26
.LBB384_475:                            ;   in Loop: Header=BB384_16 Depth=1
	s_or_b32 exec_lo, exec_lo, s25
	v_cmp_ne_u16_sdwa s5, v31, v19 src0_sel:BYTE_1 src1_sel:DWORD
	s_and_saveexec_b32 s25, s5
	s_cbranch_execz .LBB384_483
; %bb.476:                              ;   in Loop: Header=BB384_16 Depth=1
	v_cmp_ne_u16_sdwa s5, v31, v87 src0_sel:BYTE_1 src1_sel:DWORD
	v_bfrev_b32_e32 v0, 1
	buffer_store_dword v0, off, s[0:3], s32 offset:396 ; 4-byte Folded Spill
	s_and_saveexec_b32 s26, s5
	s_cbranch_execz .LBB384_482
; %bb.477:                              ;   in Loop: Header=BB384_16 Depth=1
	v_mov_b32_e32 v0, 0xffff
	v_mov_b32_e32 v2, 0x7f800001
	s_mov_b32 s27, exec_lo
	v_and_b32_sdwa v0, v0, v31 dst_sel:DWORD dst_unused:UNUSED_PAD src0_sel:DWORD src1_sel:BYTE_1
	buffer_store_dword v2, off, s[0:3], s32 offset:396 ; 4-byte Folded Spill
	v_and_b32_e32 v1, 0x7f, v0
	v_cmpx_ne_u32_e32 0x7f, v1
	s_cbranch_execz .LBB384_481
; %bb.478:                              ;   in Loop: Header=BB384_16 Depth=1
	v_and_b32_e32 v18, 7, v0
	v_mov_b32_e32 v34, v19
	v_lshrrev_b32_e32 v0, 3, v1
	s_mov_b32 s28, exec_lo
	v_mov_b32_e32 v33, v18
	v_cmpx_gt_u32_e32 8, v1
; %bb.479:                              ;   in Loop: Header=BB384_16 Depth=1
	v_ffbh_u32_e32 v0, v18
	v_min_u32_e32 v0, 32, v0
	v_subrev_nc_u32_e32 v1, 28, v0
	v_sub_nc_u32_e32 v0, 29, v0
	v_lshlrev_b64 v[1:2], v1, v[18:19]
	v_and_b32_e32 v33, 7, v1
; %bb.480:                              ;   in Loop: Header=BB384_16 Depth=1
	s_or_b32 exec_lo, exec_lo, s28
	v_lshlrev_b32_e32 v1, 16, v31
	v_lshlrev_b32_e32 v2, 20, v33
	v_lshl_add_u32 v0, v0, 23, 0x3c000000
	v_and_b32_e32 v1, 0x80000000, v1
	v_or3_b32 v0, v2, v1, v0
	buffer_store_dword v0, off, s[0:3], s32 offset:396 ; 4-byte Folded Spill
.LBB384_481:                            ;   in Loop: Header=BB384_16 Depth=1
	s_or_b32 exec_lo, exec_lo, s27
.LBB384_482:                            ;   in Loop: Header=BB384_16 Depth=1
	s_or_b32 exec_lo, exec_lo, s26
.LBB384_483:                            ;   in Loop: Header=BB384_16 Depth=1
	s_or_b32 exec_lo, exec_lo, s25
	v_mov_b32_e32 v0, 0xff
	v_mov_b32_e32 v1, 0
	s_mov_b32 s25, exec_lo
	v_and_b32_sdwa v0, v31, v0 dst_sel:DWORD dst_unused:UNUSED_PAD src0_sel:WORD_1 src1_sel:DWORD
	buffer_store_dword v1, off, s[0:3], s32 offset:400 ; 4-byte Folded Spill
	v_mov_b32_e32 v1, 0
	buffer_store_dword v1, off, s[0:3], s32 offset:720 ; 4-byte Folded Spill
	v_cmpx_ne_u16_e32 0, v0
	s_cbranch_execz .LBB384_491
; %bb.484:                              ;   in Loop: Header=BB384_16 Depth=1
	v_cmp_ne_u16_e64 s5, 0x80, v0
	v_bfrev_b32_e32 v0, 1
	s_and_saveexec_b32 s26, s5
	s_cbranch_execz .LBB384_490
; %bb.485:                              ;   in Loop: Header=BB384_16 Depth=1
	v_bfe_u32 v1, v31, 16, 7
	v_mov_b32_e32 v0, 0x7f800001
	s_mov_b32 s27, exec_lo
	v_cmpx_ne_u32_e32 0x7f, v1
	s_cbranch_execz .LBB384_489
; %bb.486:                              ;   in Loop: Header=BB384_16 Depth=1
	v_mov_b32_e32 v0, 7
	s_mov_b32 s28, exec_lo
	v_and_b32_sdwa v18, v31, v0 dst_sel:DWORD dst_unused:UNUSED_PAD src0_sel:WORD_1 src1_sel:DWORD
	v_mov_b32_e32 v34, v19
	v_lshrrev_b32_e32 v0, 3, v1
	v_mov_b32_e32 v33, v18
	v_cmpx_gt_u32_e32 8, v1
; %bb.487:                              ;   in Loop: Header=BB384_16 Depth=1
	v_ffbh_u32_e32 v0, v18
	v_min_u32_e32 v0, 32, v0
	v_subrev_nc_u32_e32 v1, 28, v0
	v_sub_nc_u32_e32 v0, 29, v0
	v_lshlrev_b64 v[1:2], v1, v[18:19]
	v_and_b32_e32 v33, 7, v1
; %bb.488:                              ;   in Loop: Header=BB384_16 Depth=1
	s_or_b32 exec_lo, exec_lo, s28
	v_mov_b32_e32 v1, 24
	v_lshlrev_b32_e32 v2, 20, v33
	v_lshl_add_u32 v0, v0, 23, 0x3c000000
	v_lshlrev_b32_sdwa v1, v1, v31 dst_sel:DWORD dst_unused:UNUSED_PAD src0_sel:DWORD src1_sel:WORD_1
	v_and_b32_e32 v1, 0x80000000, v1
	v_or3_b32 v0, v2, v1, v0
.LBB384_489:                            ;   in Loop: Header=BB384_16 Depth=1
	s_or_b32 exec_lo, exec_lo, s27
.LBB384_490:                            ;   in Loop: Header=BB384_16 Depth=1
	s_or_b32 exec_lo, exec_lo, s26
	buffer_store_dword v0, off, s[0:3], s32 offset:720 ; 4-byte Folded Spill
.LBB384_491:                            ;   in Loop: Header=BB384_16 Depth=1
	s_or_b32 exec_lo, exec_lo, s25
	s_mov_b32 s25, exec_lo
	v_cmpx_lt_u32_e32 0xffffff, v31
	s_cbranch_execz .LBB384_499
; %bb.492:                              ;   in Loop: Header=BB384_16 Depth=1
	v_cmp_ne_u32_sdwa s5, v31, v87 src0_sel:BYTE_3 src1_sel:DWORD
	v_bfrev_b32_e32 v0, 1
	buffer_store_dword v0, off, s[0:3], s32 offset:400 ; 4-byte Folded Spill
	s_and_saveexec_b32 s26, s5
	s_cbranch_execz .LBB384_498
; %bb.493:                              ;   in Loop: Header=BB384_16 Depth=1
	v_bfe_u32 v1, v31, 24, 7
	v_mov_b32_e32 v0, 0x7f800001
	s_mov_b32 s27, exec_lo
	buffer_store_dword v0, off, s[0:3], s32 offset:400 ; 4-byte Folded Spill
	v_cmpx_ne_u32_e32 0x7f, v1
	s_cbranch_execz .LBB384_497
; %bb.494:                              ;   in Loop: Header=BB384_16 Depth=1
	v_mov_b32_e32 v0, 7
	s_mov_b32 s28, exec_lo
	v_and_b32_sdwa v18, v31, v0 dst_sel:DWORD dst_unused:UNUSED_PAD src0_sel:BYTE_3 src1_sel:DWORD
	v_mov_b32_e32 v34, v19
	v_lshrrev_b32_e32 v0, 3, v1
	v_mov_b32_e32 v33, v18
	v_cmpx_gt_u32_e32 8, v1
; %bb.495:                              ;   in Loop: Header=BB384_16 Depth=1
	v_ffbh_u32_e32 v0, v18
	v_min_u32_e32 v0, 32, v0
	v_subrev_nc_u32_e32 v1, 28, v0
	v_sub_nc_u32_e32 v0, 29, v0
	v_lshlrev_b64 v[1:2], v1, v[18:19]
	v_and_b32_e32 v33, 7, v1
; %bb.496:                              ;   in Loop: Header=BB384_16 Depth=1
	s_or_b32 exec_lo, exec_lo, s28
	v_mov_b32_e32 v1, 24
	v_lshlrev_b32_e32 v2, 20, v33
	v_lshl_add_u32 v0, v0, 23, 0x3c000000
	v_lshlrev_b32_sdwa v1, v1, v31 dst_sel:DWORD dst_unused:UNUSED_PAD src0_sel:DWORD src1_sel:BYTE_3
	v_and_b32_e32 v1, 0x80000000, v1
	v_or3_b32 v0, v2, v1, v0
	buffer_store_dword v0, off, s[0:3], s32 offset:400 ; 4-byte Folded Spill
.LBB384_497:                            ;   in Loop: Header=BB384_16 Depth=1
	s_or_b32 exec_lo, exec_lo, s27
.LBB384_498:                            ;   in Loop: Header=BB384_16 Depth=1
	s_or_b32 exec_lo, exec_lo, s26
.LBB384_499:                            ;   in Loop: Header=BB384_16 Depth=1
	s_or_b32 exec_lo, exec_lo, s25
	v_mov_b32_e32 v0, 0
	v_mov_b32_e32 v18, v32
	v_cmp_ne_u16_sdwa s5, v32, v19 src0_sel:BYTE_0 src1_sel:DWORD
	buffer_store_dword v0, off, s[0:3], s32 offset:408 ; 4-byte Folded Spill
	v_mov_b32_e32 v0, 0
	buffer_store_dword v0, off, s[0:3], s32 offset:404 ; 4-byte Folded Spill
	s_and_saveexec_b32 s25, s5
	s_cbranch_execz .LBB384_507
; %bb.500:                              ;   in Loop: Header=BB384_16 Depth=1
	v_cmp_ne_u16_sdwa s5, v32, v87 src0_sel:BYTE_0 src1_sel:DWORD
	v_bfrev_b32_e32 v0, 1
	buffer_store_dword v0, off, s[0:3], s32 offset:404 ; 4-byte Folded Spill
	s_and_saveexec_b32 s26, s5
	s_cbranch_execz .LBB384_506
; %bb.501:                              ;   in Loop: Header=BB384_16 Depth=1
	v_and_b32_e32 v1, 0x7f, v32
	v_mov_b32_e32 v0, 0x7f800001
	s_mov_b32 s27, exec_lo
	buffer_store_dword v0, off, s[0:3], s32 offset:404 ; 4-byte Folded Spill
	v_cmpx_ne_u32_e32 0x7f, v1
	s_cbranch_execz .LBB384_505
; %bb.502:                              ;   in Loop: Header=BB384_16 Depth=1
	v_mov_b32_e32 v34, v19
	v_lshrrev_b32_e32 v0, 3, v1
	v_mov_b32_e32 v33, v18
	s_mov_b32 s28, exec_lo
	v_cmpx_gt_u32_e32 8, v1
; %bb.503:                              ;   in Loop: Header=BB384_16 Depth=1
	v_and_b32_e32 v0, 7, v32
	v_ffbh_u32_e32 v0, v0
	v_min_u32_e32 v0, 32, v0
	v_subrev_nc_u32_e32 v1, 28, v0
	v_sub_nc_u32_e32 v0, 29, v0
	v_lshlrev_b64 v[33:34], v1, v[18:19]
; %bb.504:                              ;   in Loop: Header=BB384_16 Depth=1
	s_or_b32 exec_lo, exec_lo, s28
	v_lshlrev_b32_e32 v1, 20, v33
	v_lshlrev_b32_e32 v2, 24, v18
	v_lshl_add_u32 v0, v0, 23, 0x3c000000
	v_and_b32_e32 v1, 0x700000, v1
	v_and_b32_e32 v2, 0x80000000, v2
	v_or3_b32 v0, v1, v2, v0
	buffer_store_dword v0, off, s[0:3], s32 offset:404 ; 4-byte Folded Spill
.LBB384_505:                            ;   in Loop: Header=BB384_16 Depth=1
	s_or_b32 exec_lo, exec_lo, s27
.LBB384_506:                            ;   in Loop: Header=BB384_16 Depth=1
	s_or_b32 exec_lo, exec_lo, s26
.LBB384_507:                            ;   in Loop: Header=BB384_16 Depth=1
	s_or_b32 exec_lo, exec_lo, s25
	v_cmp_ne_u16_sdwa s5, v18, v19 src0_sel:BYTE_1 src1_sel:DWORD
	s_and_saveexec_b32 s25, s5
	s_cbranch_execz .LBB384_515
; %bb.508:                              ;   in Loop: Header=BB384_16 Depth=1
	v_cmp_ne_u16_sdwa s5, v18, v87 src0_sel:BYTE_1 src1_sel:DWORD
	v_bfrev_b32_e32 v0, 1
	buffer_store_dword v0, off, s[0:3], s32 offset:408 ; 4-byte Folded Spill
	s_and_saveexec_b32 s26, s5
	s_cbranch_execz .LBB384_514
; %bb.509:                              ;   in Loop: Header=BB384_16 Depth=1
	v_mov_b32_e32 v0, 0xffff
	v_mov_b32_e32 v2, 0x7f800001
	s_mov_b32 s27, exec_lo
	v_and_b32_sdwa v0, v0, v18 dst_sel:DWORD dst_unused:UNUSED_PAD src0_sel:DWORD src1_sel:BYTE_1
	buffer_store_dword v2, off, s[0:3], s32 offset:408 ; 4-byte Folded Spill
	v_and_b32_e32 v1, 0x7f, v0
	v_cmpx_ne_u32_e32 0x7f, v1
	s_cbranch_execz .LBB384_513
; %bb.510:                              ;   in Loop: Header=BB384_16 Depth=1
	v_and_b32_e32 v33, 7, v0
	v_mov_b32_e32 v34, v19
	v_lshrrev_b32_e32 v0, 3, v1
	s_mov_b32 s28, exec_lo
	v_cmpx_gt_u32_e32 8, v1
; %bb.511:                              ;   in Loop: Header=BB384_16 Depth=1
	v_ffbh_u32_e32 v0, v33
	v_min_u32_e32 v0, 32, v0
	v_subrev_nc_u32_e32 v1, 28, v0
	v_sub_nc_u32_e32 v0, 29, v0
	v_lshlrev_b64 v[1:2], v1, v[33:34]
	v_and_b32_e32 v33, 7, v1
; %bb.512:                              ;   in Loop: Header=BB384_16 Depth=1
	s_or_b32 exec_lo, exec_lo, s28
	v_lshlrev_b32_e32 v1, 16, v18
	v_lshlrev_b32_e32 v2, 20, v33
	v_lshl_add_u32 v0, v0, 23, 0x3c000000
	v_and_b32_e32 v1, 0x80000000, v1
	v_or3_b32 v0, v2, v1, v0
	buffer_store_dword v0, off, s[0:3], s32 offset:408 ; 4-byte Folded Spill
.LBB384_513:                            ;   in Loop: Header=BB384_16 Depth=1
	s_or_b32 exec_lo, exec_lo, s27
.LBB384_514:                            ;   in Loop: Header=BB384_16 Depth=1
	s_or_b32 exec_lo, exec_lo, s26
.LBB384_515:                            ;   in Loop: Header=BB384_16 Depth=1
	s_or_b32 exec_lo, exec_lo, s25
	v_mov_b32_e32 v0, 0xff
	v_mov_b32_e32 v1, 0
	s_mov_b32 s25, exec_lo
	v_and_b32_sdwa v0, v32, v0 dst_sel:DWORD dst_unused:UNUSED_PAD src0_sel:WORD_1 src1_sel:DWORD
	buffer_store_dword v1, off, s[0:3], s32 offset:412 ; 4-byte Folded Spill
	v_mov_b32_e32 v1, 0
	buffer_store_dword v1, off, s[0:3], s32 offset:724 ; 4-byte Folded Spill
	v_cmpx_ne_u16_e32 0, v0
	s_cbranch_execz .LBB384_523
; %bb.516:                              ;   in Loop: Header=BB384_16 Depth=1
	v_cmp_ne_u16_e64 s5, 0x80, v0
	v_bfrev_b32_e32 v0, 1
	s_and_saveexec_b32 s26, s5
	s_cbranch_execz .LBB384_522
; %bb.517:                              ;   in Loop: Header=BB384_16 Depth=1
	v_bfe_u32 v1, v32, 16, 7
	v_mov_b32_e32 v0, 0x7f800001
	s_mov_b32 s27, exec_lo
	v_cmpx_ne_u32_e32 0x7f, v1
	s_cbranch_execz .LBB384_521
; %bb.518:                              ;   in Loop: Header=BB384_16 Depth=1
	v_mov_b32_e32 v0, 7
	s_mov_b32 s28, exec_lo
	v_and_b32_sdwa v18, v32, v0 dst_sel:DWORD dst_unused:UNUSED_PAD src0_sel:WORD_1 src1_sel:DWORD
	v_mov_b32_e32 v34, v19
	v_lshrrev_b32_e32 v0, 3, v1
	v_mov_b32_e32 v33, v18
	v_cmpx_gt_u32_e32 8, v1
; %bb.519:                              ;   in Loop: Header=BB384_16 Depth=1
	v_ffbh_u32_e32 v0, v18
	v_min_u32_e32 v0, 32, v0
	v_subrev_nc_u32_e32 v1, 28, v0
	v_sub_nc_u32_e32 v0, 29, v0
	v_lshlrev_b64 v[1:2], v1, v[18:19]
	v_and_b32_e32 v33, 7, v1
; %bb.520:                              ;   in Loop: Header=BB384_16 Depth=1
	s_or_b32 exec_lo, exec_lo, s28
	v_mov_b32_e32 v1, 24
	v_lshlrev_b32_e32 v2, 20, v33
	v_lshl_add_u32 v0, v0, 23, 0x3c000000
	v_lshlrev_b32_sdwa v1, v1, v32 dst_sel:DWORD dst_unused:UNUSED_PAD src0_sel:DWORD src1_sel:WORD_1
	v_and_b32_e32 v1, 0x80000000, v1
	v_or3_b32 v0, v2, v1, v0
.LBB384_521:                            ;   in Loop: Header=BB384_16 Depth=1
	s_or_b32 exec_lo, exec_lo, s27
.LBB384_522:                            ;   in Loop: Header=BB384_16 Depth=1
	s_or_b32 exec_lo, exec_lo, s26
	buffer_store_dword v0, off, s[0:3], s32 offset:724 ; 4-byte Folded Spill
.LBB384_523:                            ;   in Loop: Header=BB384_16 Depth=1
	s_or_b32 exec_lo, exec_lo, s25
	s_mov_b32 s25, exec_lo
	v_cmpx_lt_u64_e64 s[20:21], v[31:32]
	s_cbranch_execz .LBB384_531
; %bb.524:                              ;   in Loop: Header=BB384_16 Depth=1
	v_cmp_ne_u32_sdwa s5, v32, v87 src0_sel:BYTE_3 src1_sel:DWORD
	v_bfrev_b32_e32 v0, 1
	buffer_store_dword v0, off, s[0:3], s32 offset:412 ; 4-byte Folded Spill
	s_and_saveexec_b32 s26, s5
	s_cbranch_execz .LBB384_530
; %bb.525:                              ;   in Loop: Header=BB384_16 Depth=1
	v_bfe_u32 v1, v32, 24, 7
	v_mov_b32_e32 v0, 0x7f800001
	s_mov_b32 s27, exec_lo
	buffer_store_dword v0, off, s[0:3], s32 offset:412 ; 4-byte Folded Spill
	v_cmpx_ne_u32_e32 0x7f, v1
	s_cbranch_execz .LBB384_529
; %bb.526:                              ;   in Loop: Header=BB384_16 Depth=1
	v_mov_b32_e32 v0, 7
	s_mov_b32 s28, exec_lo
	v_and_b32_sdwa v18, v32, v0 dst_sel:DWORD dst_unused:UNUSED_PAD src0_sel:BYTE_3 src1_sel:DWORD
	v_mov_b32_e32 v34, v19
	v_lshrrev_b32_e32 v0, 3, v1
	v_mov_b32_e32 v33, v18
	v_cmpx_gt_u32_e32 8, v1
; %bb.527:                              ;   in Loop: Header=BB384_16 Depth=1
	v_ffbh_u32_e32 v0, v18
	v_min_u32_e32 v0, 32, v0
	v_subrev_nc_u32_e32 v1, 28, v0
	v_sub_nc_u32_e32 v0, 29, v0
	v_lshlrev_b64 v[1:2], v1, v[18:19]
	v_and_b32_e32 v33, 7, v1
; %bb.528:                              ;   in Loop: Header=BB384_16 Depth=1
	s_or_b32 exec_lo, exec_lo, s28
	v_mov_b32_e32 v1, 24
	v_lshlrev_b32_e32 v2, 20, v33
	v_lshl_add_u32 v0, v0, 23, 0x3c000000
	v_lshlrev_b32_sdwa v1, v1, v32 dst_sel:DWORD dst_unused:UNUSED_PAD src0_sel:DWORD src1_sel:BYTE_3
	v_and_b32_e32 v1, 0x80000000, v1
	v_or3_b32 v0, v2, v1, v0
	buffer_store_dword v0, off, s[0:3], s32 offset:412 ; 4-byte Folded Spill
.LBB384_529:                            ;   in Loop: Header=BB384_16 Depth=1
	s_or_b32 exec_lo, exec_lo, s27
.LBB384_530:                            ;   in Loop: Header=BB384_16 Depth=1
	s_or_b32 exec_lo, exec_lo, s26
.LBB384_531:                            ;   in Loop: Header=BB384_16 Depth=1
	s_or_b32 exec_lo, exec_lo, s25
	v_add_co_u32 v31, s5, 0x800, v28
	v_add_co_ci_u32_e64 v32, null, 0, v29, s5
	v_mov_b32_e32 v0, 0
	flat_load_dwordx2 v[33:34], v[31:32]
	buffer_store_dword v0, off, s[0:3], s32 offset:420 ; 4-byte Folded Spill
	v_mov_b32_e32 v0, 0
	buffer_store_dword v0, off, s[0:3], s32 offset:416 ; 4-byte Folded Spill
	s_waitcnt vmcnt(0) lgkmcnt(0)
	v_cmp_ne_u16_sdwa s5, v33, v19 src0_sel:BYTE_0 src1_sel:DWORD
	s_and_saveexec_b32 s25, s5
	s_cbranch_execz .LBB384_539
; %bb.532:                              ;   in Loop: Header=BB384_16 Depth=1
	v_cmp_ne_u16_sdwa s5, v33, v87 src0_sel:BYTE_0 src1_sel:DWORD
	v_bfrev_b32_e32 v0, 1
	buffer_store_dword v0, off, s[0:3], s32 offset:416 ; 4-byte Folded Spill
	s_and_saveexec_b32 s26, s5
	s_cbranch_execz .LBB384_538
; %bb.533:                              ;   in Loop: Header=BB384_16 Depth=1
	v_and_b32_e32 v1, 0x7f, v33
	v_mov_b32_e32 v0, 0x7f800001
	s_mov_b32 s27, exec_lo
	buffer_store_dword v0, off, s[0:3], s32 offset:416 ; 4-byte Folded Spill
	v_cmpx_ne_u32_e32 0x7f, v1
	s_cbranch_execz .LBB384_537
; %bb.534:                              ;   in Loop: Header=BB384_16 Depth=1
	v_mov_b32_e32 v36, v34
	v_lshrrev_b32_e32 v0, 3, v1
	v_mov_b32_e32 v35, v33
	s_mov_b32 s28, exec_lo
	v_cmpx_gt_u32_e32 8, v1
; %bb.535:                              ;   in Loop: Header=BB384_16 Depth=1
	v_and_b32_e32 v0, 7, v33
	v_ffbh_u32_e32 v0, v0
	v_min_u32_e32 v0, 32, v0
	v_subrev_nc_u32_e32 v1, 28, v0
	v_sub_nc_u32_e32 v0, 29, v0
	v_lshlrev_b64 v[35:36], v1, v[33:34]
; %bb.536:                              ;   in Loop: Header=BB384_16 Depth=1
	s_or_b32 exec_lo, exec_lo, s28
	v_lshlrev_b32_e32 v1, 20, v35
	v_lshlrev_b32_e32 v2, 24, v33
	v_lshl_add_u32 v0, v0, 23, 0x3c000000
	v_and_b32_e32 v1, 0x700000, v1
	v_and_b32_e32 v2, 0x80000000, v2
	v_or3_b32 v0, v1, v2, v0
	buffer_store_dword v0, off, s[0:3], s32 offset:416 ; 4-byte Folded Spill
.LBB384_537:                            ;   in Loop: Header=BB384_16 Depth=1
	s_or_b32 exec_lo, exec_lo, s27
.LBB384_538:                            ;   in Loop: Header=BB384_16 Depth=1
	s_or_b32 exec_lo, exec_lo, s26
.LBB384_539:                            ;   in Loop: Header=BB384_16 Depth=1
	s_or_b32 exec_lo, exec_lo, s25
	v_cmp_ne_u16_sdwa s5, v33, v19 src0_sel:BYTE_1 src1_sel:DWORD
	s_and_saveexec_b32 s25, s5
	s_cbranch_execz .LBB384_547
; %bb.540:                              ;   in Loop: Header=BB384_16 Depth=1
	v_cmp_ne_u16_sdwa s5, v33, v87 src0_sel:BYTE_1 src1_sel:DWORD
	v_bfrev_b32_e32 v0, 1
	buffer_store_dword v0, off, s[0:3], s32 offset:420 ; 4-byte Folded Spill
	s_and_saveexec_b32 s26, s5
	s_cbranch_execz .LBB384_546
; %bb.541:                              ;   in Loop: Header=BB384_16 Depth=1
	v_mov_b32_e32 v0, 0xffff
	v_mov_b32_e32 v2, 0x7f800001
	s_mov_b32 s27, exec_lo
	v_and_b32_sdwa v0, v0, v33 dst_sel:DWORD dst_unused:UNUSED_PAD src0_sel:DWORD src1_sel:BYTE_1
	buffer_store_dword v2, off, s[0:3], s32 offset:420 ; 4-byte Folded Spill
	v_and_b32_e32 v1, 0x7f, v0
	v_cmpx_ne_u32_e32 0x7f, v1
	s_cbranch_execz .LBB384_545
; %bb.542:                              ;   in Loop: Header=BB384_16 Depth=1
	v_and_b32_e32 v18, 7, v0
	v_mov_b32_e32 v36, v19
	v_lshrrev_b32_e32 v0, 3, v1
	s_mov_b32 s28, exec_lo
	v_mov_b32_e32 v35, v18
	v_cmpx_gt_u32_e32 8, v1
; %bb.543:                              ;   in Loop: Header=BB384_16 Depth=1
	v_ffbh_u32_e32 v0, v18
	v_min_u32_e32 v0, 32, v0
	v_subrev_nc_u32_e32 v1, 28, v0
	v_sub_nc_u32_e32 v0, 29, v0
	v_lshlrev_b64 v[1:2], v1, v[18:19]
	v_and_b32_e32 v35, 7, v1
; %bb.544:                              ;   in Loop: Header=BB384_16 Depth=1
	s_or_b32 exec_lo, exec_lo, s28
	v_lshlrev_b32_e32 v1, 16, v33
	v_lshlrev_b32_e32 v2, 20, v35
	v_lshl_add_u32 v0, v0, 23, 0x3c000000
	v_and_b32_e32 v1, 0x80000000, v1
	v_or3_b32 v0, v2, v1, v0
	buffer_store_dword v0, off, s[0:3], s32 offset:420 ; 4-byte Folded Spill
.LBB384_545:                            ;   in Loop: Header=BB384_16 Depth=1
	s_or_b32 exec_lo, exec_lo, s27
.LBB384_546:                            ;   in Loop: Header=BB384_16 Depth=1
	s_or_b32 exec_lo, exec_lo, s26
.LBB384_547:                            ;   in Loop: Header=BB384_16 Depth=1
	s_or_b32 exec_lo, exec_lo, s25
	v_mov_b32_e32 v0, 0xff
	v_mov_b32_e32 v1, 0
	s_mov_b32 s25, exec_lo
	v_and_b32_sdwa v0, v33, v0 dst_sel:DWORD dst_unused:UNUSED_PAD src0_sel:WORD_1 src1_sel:DWORD
	buffer_store_dword v1, off, s[0:3], s32 offset:428 ; 4-byte Folded Spill
	v_mov_b32_e32 v1, 0
	buffer_store_dword v1, off, s[0:3], s32 offset:728 ; 4-byte Folded Spill
	v_cmpx_ne_u16_e32 0, v0
	s_cbranch_execz .LBB384_555
; %bb.548:                              ;   in Loop: Header=BB384_16 Depth=1
	v_cmp_ne_u16_e64 s5, 0x80, v0
	v_bfrev_b32_e32 v0, 1
	s_and_saveexec_b32 s26, s5
	s_cbranch_execz .LBB384_554
; %bb.549:                              ;   in Loop: Header=BB384_16 Depth=1
	v_bfe_u32 v1, v33, 16, 7
	v_mov_b32_e32 v0, 0x7f800001
	s_mov_b32 s27, exec_lo
	v_cmpx_ne_u32_e32 0x7f, v1
	s_cbranch_execz .LBB384_553
; %bb.550:                              ;   in Loop: Header=BB384_16 Depth=1
	v_mov_b32_e32 v0, 7
	s_mov_b32 s28, exec_lo
	v_and_b32_sdwa v18, v33, v0 dst_sel:DWORD dst_unused:UNUSED_PAD src0_sel:WORD_1 src1_sel:DWORD
	v_mov_b32_e32 v36, v19
	v_lshrrev_b32_e32 v0, 3, v1
	v_mov_b32_e32 v35, v18
	v_cmpx_gt_u32_e32 8, v1
; %bb.551:                              ;   in Loop: Header=BB384_16 Depth=1
	v_ffbh_u32_e32 v0, v18
	v_min_u32_e32 v0, 32, v0
	v_subrev_nc_u32_e32 v1, 28, v0
	v_sub_nc_u32_e32 v0, 29, v0
	v_lshlrev_b64 v[1:2], v1, v[18:19]
	v_and_b32_e32 v35, 7, v1
; %bb.552:                              ;   in Loop: Header=BB384_16 Depth=1
	s_or_b32 exec_lo, exec_lo, s28
	v_mov_b32_e32 v1, 24
	v_lshlrev_b32_e32 v2, 20, v35
	v_lshl_add_u32 v0, v0, 23, 0x3c000000
	v_lshlrev_b32_sdwa v1, v1, v33 dst_sel:DWORD dst_unused:UNUSED_PAD src0_sel:DWORD src1_sel:WORD_1
	v_and_b32_e32 v1, 0x80000000, v1
	v_or3_b32 v0, v2, v1, v0
.LBB384_553:                            ;   in Loop: Header=BB384_16 Depth=1
	s_or_b32 exec_lo, exec_lo, s27
.LBB384_554:                            ;   in Loop: Header=BB384_16 Depth=1
	s_or_b32 exec_lo, exec_lo, s26
	buffer_store_dword v0, off, s[0:3], s32 offset:728 ; 4-byte Folded Spill
.LBB384_555:                            ;   in Loop: Header=BB384_16 Depth=1
	s_or_b32 exec_lo, exec_lo, s25
	s_mov_b32 s25, exec_lo
	v_cmpx_lt_u32_e32 0xffffff, v33
	s_cbranch_execz .LBB384_563
; %bb.556:                              ;   in Loop: Header=BB384_16 Depth=1
	v_cmp_ne_u32_sdwa s5, v33, v87 src0_sel:BYTE_3 src1_sel:DWORD
	v_bfrev_b32_e32 v0, 1
	buffer_store_dword v0, off, s[0:3], s32 offset:428 ; 4-byte Folded Spill
	s_and_saveexec_b32 s26, s5
	s_cbranch_execz .LBB384_562
; %bb.557:                              ;   in Loop: Header=BB384_16 Depth=1
	v_bfe_u32 v1, v33, 24, 7
	v_mov_b32_e32 v0, 0x7f800001
	s_mov_b32 s27, exec_lo
	buffer_store_dword v0, off, s[0:3], s32 offset:428 ; 4-byte Folded Spill
	v_cmpx_ne_u32_e32 0x7f, v1
	s_cbranch_execz .LBB384_561
; %bb.558:                              ;   in Loop: Header=BB384_16 Depth=1
	v_mov_b32_e32 v0, 7
	s_mov_b32 s28, exec_lo
	v_and_b32_sdwa v18, v33, v0 dst_sel:DWORD dst_unused:UNUSED_PAD src0_sel:BYTE_3 src1_sel:DWORD
	v_mov_b32_e32 v36, v19
	v_lshrrev_b32_e32 v0, 3, v1
	v_mov_b32_e32 v35, v18
	v_cmpx_gt_u32_e32 8, v1
; %bb.559:                              ;   in Loop: Header=BB384_16 Depth=1
	v_ffbh_u32_e32 v0, v18
	v_min_u32_e32 v0, 32, v0
	v_subrev_nc_u32_e32 v1, 28, v0
	v_sub_nc_u32_e32 v0, 29, v0
	v_lshlrev_b64 v[1:2], v1, v[18:19]
	v_and_b32_e32 v35, 7, v1
; %bb.560:                              ;   in Loop: Header=BB384_16 Depth=1
	s_or_b32 exec_lo, exec_lo, s28
	v_mov_b32_e32 v1, 24
	v_lshlrev_b32_e32 v2, 20, v35
	v_lshl_add_u32 v0, v0, 23, 0x3c000000
	v_lshlrev_b32_sdwa v1, v1, v33 dst_sel:DWORD dst_unused:UNUSED_PAD src0_sel:DWORD src1_sel:BYTE_3
	v_and_b32_e32 v1, 0x80000000, v1
	v_or3_b32 v0, v2, v1, v0
	buffer_store_dword v0, off, s[0:3], s32 offset:428 ; 4-byte Folded Spill
.LBB384_561:                            ;   in Loop: Header=BB384_16 Depth=1
	s_or_b32 exec_lo, exec_lo, s27
.LBB384_562:                            ;   in Loop: Header=BB384_16 Depth=1
	s_or_b32 exec_lo, exec_lo, s26
.LBB384_563:                            ;   in Loop: Header=BB384_16 Depth=1
	s_or_b32 exec_lo, exec_lo, s25
	v_mov_b32_e32 v0, 0
	v_mov_b32_e32 v18, v34
	v_cmp_ne_u16_sdwa s5, v34, v19 src0_sel:BYTE_0 src1_sel:DWORD
	buffer_store_dword v0, off, s[0:3], s32 offset:436 ; 4-byte Folded Spill
	v_mov_b32_e32 v0, 0
	buffer_store_dword v0, off, s[0:3], s32 offset:432 ; 4-byte Folded Spill
	s_and_saveexec_b32 s25, s5
	s_cbranch_execz .LBB384_571
; %bb.564:                              ;   in Loop: Header=BB384_16 Depth=1
	v_cmp_ne_u16_sdwa s5, v34, v87 src0_sel:BYTE_0 src1_sel:DWORD
	v_bfrev_b32_e32 v0, 1
	buffer_store_dword v0, off, s[0:3], s32 offset:432 ; 4-byte Folded Spill
	s_and_saveexec_b32 s26, s5
	s_cbranch_execz .LBB384_570
; %bb.565:                              ;   in Loop: Header=BB384_16 Depth=1
	v_and_b32_e32 v1, 0x7f, v34
	v_mov_b32_e32 v0, 0x7f800001
	s_mov_b32 s27, exec_lo
	buffer_store_dword v0, off, s[0:3], s32 offset:432 ; 4-byte Folded Spill
	v_cmpx_ne_u32_e32 0x7f, v1
	s_cbranch_execz .LBB384_569
; %bb.566:                              ;   in Loop: Header=BB384_16 Depth=1
	v_mov_b32_e32 v36, v19
	v_lshrrev_b32_e32 v0, 3, v1
	v_mov_b32_e32 v35, v18
	s_mov_b32 s28, exec_lo
	v_cmpx_gt_u32_e32 8, v1
; %bb.567:                              ;   in Loop: Header=BB384_16 Depth=1
	v_and_b32_e32 v0, 7, v34
	v_ffbh_u32_e32 v0, v0
	v_min_u32_e32 v0, 32, v0
	v_subrev_nc_u32_e32 v1, 28, v0
	v_sub_nc_u32_e32 v0, 29, v0
	v_lshlrev_b64 v[35:36], v1, v[18:19]
; %bb.568:                              ;   in Loop: Header=BB384_16 Depth=1
	s_or_b32 exec_lo, exec_lo, s28
	v_lshlrev_b32_e32 v1, 20, v35
	v_lshlrev_b32_e32 v2, 24, v18
	v_lshl_add_u32 v0, v0, 23, 0x3c000000
	v_and_b32_e32 v1, 0x700000, v1
	v_and_b32_e32 v2, 0x80000000, v2
	v_or3_b32 v0, v1, v2, v0
	buffer_store_dword v0, off, s[0:3], s32 offset:432 ; 4-byte Folded Spill
.LBB384_569:                            ;   in Loop: Header=BB384_16 Depth=1
	s_or_b32 exec_lo, exec_lo, s27
.LBB384_570:                            ;   in Loop: Header=BB384_16 Depth=1
	s_or_b32 exec_lo, exec_lo, s26
.LBB384_571:                            ;   in Loop: Header=BB384_16 Depth=1
	s_or_b32 exec_lo, exec_lo, s25
	v_cmp_ne_u16_sdwa s5, v18, v19 src0_sel:BYTE_1 src1_sel:DWORD
	s_and_saveexec_b32 s25, s5
	s_cbranch_execz .LBB384_579
; %bb.572:                              ;   in Loop: Header=BB384_16 Depth=1
	v_cmp_ne_u16_sdwa s5, v18, v87 src0_sel:BYTE_1 src1_sel:DWORD
	v_bfrev_b32_e32 v0, 1
	buffer_store_dword v0, off, s[0:3], s32 offset:436 ; 4-byte Folded Spill
	s_and_saveexec_b32 s26, s5
	s_cbranch_execz .LBB384_578
; %bb.573:                              ;   in Loop: Header=BB384_16 Depth=1
	v_mov_b32_e32 v0, 0xffff
	v_mov_b32_e32 v2, 0x7f800001
	s_mov_b32 s27, exec_lo
	v_and_b32_sdwa v0, v0, v18 dst_sel:DWORD dst_unused:UNUSED_PAD src0_sel:DWORD src1_sel:BYTE_1
	buffer_store_dword v2, off, s[0:3], s32 offset:436 ; 4-byte Folded Spill
	v_and_b32_e32 v1, 0x7f, v0
	v_cmpx_ne_u32_e32 0x7f, v1
	s_cbranch_execz .LBB384_577
; %bb.574:                              ;   in Loop: Header=BB384_16 Depth=1
	v_and_b32_e32 v35, 7, v0
	v_mov_b32_e32 v36, v19
	v_lshrrev_b32_e32 v0, 3, v1
	s_mov_b32 s28, exec_lo
	v_cmpx_gt_u32_e32 8, v1
; %bb.575:                              ;   in Loop: Header=BB384_16 Depth=1
	v_ffbh_u32_e32 v0, v35
	v_min_u32_e32 v0, 32, v0
	v_subrev_nc_u32_e32 v1, 28, v0
	v_sub_nc_u32_e32 v0, 29, v0
	v_lshlrev_b64 v[1:2], v1, v[35:36]
	v_and_b32_e32 v35, 7, v1
; %bb.576:                              ;   in Loop: Header=BB384_16 Depth=1
	s_or_b32 exec_lo, exec_lo, s28
	v_lshlrev_b32_e32 v1, 16, v18
	v_lshlrev_b32_e32 v2, 20, v35
	v_lshl_add_u32 v0, v0, 23, 0x3c000000
	v_and_b32_e32 v1, 0x80000000, v1
	v_or3_b32 v0, v2, v1, v0
	buffer_store_dword v0, off, s[0:3], s32 offset:436 ; 4-byte Folded Spill
.LBB384_577:                            ;   in Loop: Header=BB384_16 Depth=1
	s_or_b32 exec_lo, exec_lo, s27
.LBB384_578:                            ;   in Loop: Header=BB384_16 Depth=1
	s_or_b32 exec_lo, exec_lo, s26
.LBB384_579:                            ;   in Loop: Header=BB384_16 Depth=1
	s_or_b32 exec_lo, exec_lo, s25
	v_mov_b32_e32 v0, 0xff
	v_mov_b32_e32 v1, 0
	s_mov_b32 s25, exec_lo
	v_and_b32_sdwa v0, v34, v0 dst_sel:DWORD dst_unused:UNUSED_PAD src0_sel:WORD_1 src1_sel:DWORD
	buffer_store_dword v1, off, s[0:3], s32 offset:440 ; 4-byte Folded Spill
	v_mov_b32_e32 v1, 0
	buffer_store_dword v1, off, s[0:3], s32 offset:732 ; 4-byte Folded Spill
	v_cmpx_ne_u16_e32 0, v0
	s_cbranch_execz .LBB384_587
; %bb.580:                              ;   in Loop: Header=BB384_16 Depth=1
	v_cmp_ne_u16_e64 s5, 0x80, v0
	v_bfrev_b32_e32 v0, 1
	s_and_saveexec_b32 s26, s5
	s_cbranch_execz .LBB384_586
; %bb.581:                              ;   in Loop: Header=BB384_16 Depth=1
	v_bfe_u32 v1, v34, 16, 7
	v_mov_b32_e32 v0, 0x7f800001
	s_mov_b32 s27, exec_lo
	v_cmpx_ne_u32_e32 0x7f, v1
	s_cbranch_execz .LBB384_585
; %bb.582:                              ;   in Loop: Header=BB384_16 Depth=1
	v_mov_b32_e32 v0, 7
	s_mov_b32 s28, exec_lo
	v_and_b32_sdwa v18, v34, v0 dst_sel:DWORD dst_unused:UNUSED_PAD src0_sel:WORD_1 src1_sel:DWORD
	v_mov_b32_e32 v36, v19
	v_lshrrev_b32_e32 v0, 3, v1
	v_mov_b32_e32 v35, v18
	v_cmpx_gt_u32_e32 8, v1
; %bb.583:                              ;   in Loop: Header=BB384_16 Depth=1
	v_ffbh_u32_e32 v0, v18
	v_min_u32_e32 v0, 32, v0
	v_subrev_nc_u32_e32 v1, 28, v0
	v_sub_nc_u32_e32 v0, 29, v0
	v_lshlrev_b64 v[1:2], v1, v[18:19]
	v_and_b32_e32 v35, 7, v1
; %bb.584:                              ;   in Loop: Header=BB384_16 Depth=1
	s_or_b32 exec_lo, exec_lo, s28
	v_mov_b32_e32 v1, 24
	v_lshlrev_b32_e32 v2, 20, v35
	v_lshl_add_u32 v0, v0, 23, 0x3c000000
	v_lshlrev_b32_sdwa v1, v1, v34 dst_sel:DWORD dst_unused:UNUSED_PAD src0_sel:DWORD src1_sel:WORD_1
	v_and_b32_e32 v1, 0x80000000, v1
	v_or3_b32 v0, v2, v1, v0
.LBB384_585:                            ;   in Loop: Header=BB384_16 Depth=1
	s_or_b32 exec_lo, exec_lo, s27
.LBB384_586:                            ;   in Loop: Header=BB384_16 Depth=1
	s_or_b32 exec_lo, exec_lo, s26
	buffer_store_dword v0, off, s[0:3], s32 offset:732 ; 4-byte Folded Spill
.LBB384_587:                            ;   in Loop: Header=BB384_16 Depth=1
	s_or_b32 exec_lo, exec_lo, s25
	s_mov_b32 s25, exec_lo
	v_cmpx_lt_u64_e64 s[20:21], v[33:34]
	s_cbranch_execz .LBB384_595
; %bb.588:                              ;   in Loop: Header=BB384_16 Depth=1
	v_cmp_ne_u32_sdwa s5, v34, v87 src0_sel:BYTE_3 src1_sel:DWORD
	v_bfrev_b32_e32 v0, 1
	buffer_store_dword v0, off, s[0:3], s32 offset:440 ; 4-byte Folded Spill
	s_and_saveexec_b32 s26, s5
	s_cbranch_execz .LBB384_594
; %bb.589:                              ;   in Loop: Header=BB384_16 Depth=1
	v_bfe_u32 v1, v34, 24, 7
	v_mov_b32_e32 v0, 0x7f800001
	s_mov_b32 s27, exec_lo
	buffer_store_dword v0, off, s[0:3], s32 offset:440 ; 4-byte Folded Spill
	v_cmpx_ne_u32_e32 0x7f, v1
	s_cbranch_execz .LBB384_593
; %bb.590:                              ;   in Loop: Header=BB384_16 Depth=1
	v_mov_b32_e32 v0, 7
	s_mov_b32 s28, exec_lo
	v_and_b32_sdwa v18, v34, v0 dst_sel:DWORD dst_unused:UNUSED_PAD src0_sel:BYTE_3 src1_sel:DWORD
	v_mov_b32_e32 v36, v19
	v_lshrrev_b32_e32 v0, 3, v1
	v_mov_b32_e32 v35, v18
	v_cmpx_gt_u32_e32 8, v1
; %bb.591:                              ;   in Loop: Header=BB384_16 Depth=1
	v_ffbh_u32_e32 v0, v18
	v_min_u32_e32 v0, 32, v0
	v_subrev_nc_u32_e32 v1, 28, v0
	v_sub_nc_u32_e32 v0, 29, v0
	v_lshlrev_b64 v[1:2], v1, v[18:19]
	v_and_b32_e32 v35, 7, v1
; %bb.592:                              ;   in Loop: Header=BB384_16 Depth=1
	s_or_b32 exec_lo, exec_lo, s28
	v_mov_b32_e32 v1, 24
	v_lshlrev_b32_e32 v2, 20, v35
	v_lshl_add_u32 v0, v0, 23, 0x3c000000
	v_lshlrev_b32_sdwa v1, v1, v34 dst_sel:DWORD dst_unused:UNUSED_PAD src0_sel:DWORD src1_sel:BYTE_3
	v_and_b32_e32 v1, 0x80000000, v1
	v_or3_b32 v0, v2, v1, v0
	buffer_store_dword v0, off, s[0:3], s32 offset:440 ; 4-byte Folded Spill
.LBB384_593:                            ;   in Loop: Header=BB384_16 Depth=1
	s_or_b32 exec_lo, exec_lo, s27
.LBB384_594:                            ;   in Loop: Header=BB384_16 Depth=1
	s_or_b32 exec_lo, exec_lo, s26
.LBB384_595:                            ;   in Loop: Header=BB384_16 Depth=1
	s_or_b32 exec_lo, exec_lo, s25
	flat_load_dwordx2 v[33:34], v[31:32] offset:8
	v_mov_b32_e32 v0, 0
	buffer_store_dword v0, off, s[0:3], s32 offset:448 ; 4-byte Folded Spill
	v_mov_b32_e32 v0, 0
	buffer_store_dword v0, off, s[0:3], s32 offset:444 ; 4-byte Folded Spill
	s_waitcnt vmcnt(0) lgkmcnt(0)
	v_cmp_ne_u16_sdwa s5, v33, v19 src0_sel:BYTE_0 src1_sel:DWORD
	s_and_saveexec_b32 s25, s5
	s_cbranch_execz .LBB384_603
; %bb.596:                              ;   in Loop: Header=BB384_16 Depth=1
	v_cmp_ne_u16_sdwa s5, v33, v87 src0_sel:BYTE_0 src1_sel:DWORD
	v_bfrev_b32_e32 v0, 1
	buffer_store_dword v0, off, s[0:3], s32 offset:444 ; 4-byte Folded Spill
	s_and_saveexec_b32 s26, s5
	s_cbranch_execz .LBB384_602
; %bb.597:                              ;   in Loop: Header=BB384_16 Depth=1
	v_and_b32_e32 v1, 0x7f, v33
	v_mov_b32_e32 v0, 0x7f800001
	s_mov_b32 s27, exec_lo
	buffer_store_dword v0, off, s[0:3], s32 offset:444 ; 4-byte Folded Spill
	v_cmpx_ne_u32_e32 0x7f, v1
	s_cbranch_execz .LBB384_601
; %bb.598:                              ;   in Loop: Header=BB384_16 Depth=1
	v_mov_b32_e32 v36, v34
	v_lshrrev_b32_e32 v0, 3, v1
	v_mov_b32_e32 v35, v33
	s_mov_b32 s28, exec_lo
	v_cmpx_gt_u32_e32 8, v1
; %bb.599:                              ;   in Loop: Header=BB384_16 Depth=1
	v_and_b32_e32 v0, 7, v33
	v_ffbh_u32_e32 v0, v0
	v_min_u32_e32 v0, 32, v0
	v_subrev_nc_u32_e32 v1, 28, v0
	v_sub_nc_u32_e32 v0, 29, v0
	v_lshlrev_b64 v[35:36], v1, v[33:34]
; %bb.600:                              ;   in Loop: Header=BB384_16 Depth=1
	s_or_b32 exec_lo, exec_lo, s28
	v_lshlrev_b32_e32 v1, 20, v35
	v_lshlrev_b32_e32 v2, 24, v33
	v_lshl_add_u32 v0, v0, 23, 0x3c000000
	v_and_b32_e32 v1, 0x700000, v1
	v_and_b32_e32 v2, 0x80000000, v2
	v_or3_b32 v0, v1, v2, v0
	buffer_store_dword v0, off, s[0:3], s32 offset:444 ; 4-byte Folded Spill
.LBB384_601:                            ;   in Loop: Header=BB384_16 Depth=1
	s_or_b32 exec_lo, exec_lo, s27
.LBB384_602:                            ;   in Loop: Header=BB384_16 Depth=1
	s_or_b32 exec_lo, exec_lo, s26
.LBB384_603:                            ;   in Loop: Header=BB384_16 Depth=1
	s_or_b32 exec_lo, exec_lo, s25
	v_cmp_ne_u16_sdwa s5, v33, v19 src0_sel:BYTE_1 src1_sel:DWORD
	s_and_saveexec_b32 s25, s5
	s_cbranch_execz .LBB384_611
; %bb.604:                              ;   in Loop: Header=BB384_16 Depth=1
	v_cmp_ne_u16_sdwa s5, v33, v87 src0_sel:BYTE_1 src1_sel:DWORD
	v_bfrev_b32_e32 v0, 1
	buffer_store_dword v0, off, s[0:3], s32 offset:448 ; 4-byte Folded Spill
	s_and_saveexec_b32 s26, s5
	s_cbranch_execz .LBB384_610
; %bb.605:                              ;   in Loop: Header=BB384_16 Depth=1
	v_mov_b32_e32 v0, 0xffff
	v_mov_b32_e32 v2, 0x7f800001
	s_mov_b32 s27, exec_lo
	v_and_b32_sdwa v0, v0, v33 dst_sel:DWORD dst_unused:UNUSED_PAD src0_sel:DWORD src1_sel:BYTE_1
	buffer_store_dword v2, off, s[0:3], s32 offset:448 ; 4-byte Folded Spill
	v_and_b32_e32 v1, 0x7f, v0
	v_cmpx_ne_u32_e32 0x7f, v1
	s_cbranch_execz .LBB384_609
; %bb.606:                              ;   in Loop: Header=BB384_16 Depth=1
	v_and_b32_e32 v18, 7, v0
	v_mov_b32_e32 v36, v19
	v_lshrrev_b32_e32 v0, 3, v1
	s_mov_b32 s28, exec_lo
	v_mov_b32_e32 v35, v18
	v_cmpx_gt_u32_e32 8, v1
; %bb.607:                              ;   in Loop: Header=BB384_16 Depth=1
	v_ffbh_u32_e32 v0, v18
	v_min_u32_e32 v0, 32, v0
	v_subrev_nc_u32_e32 v1, 28, v0
	v_sub_nc_u32_e32 v0, 29, v0
	v_lshlrev_b64 v[1:2], v1, v[18:19]
	v_and_b32_e32 v35, 7, v1
; %bb.608:                              ;   in Loop: Header=BB384_16 Depth=1
	s_or_b32 exec_lo, exec_lo, s28
	v_lshlrev_b32_e32 v1, 16, v33
	v_lshlrev_b32_e32 v2, 20, v35
	v_lshl_add_u32 v0, v0, 23, 0x3c000000
	v_and_b32_e32 v1, 0x80000000, v1
	v_or3_b32 v0, v2, v1, v0
	buffer_store_dword v0, off, s[0:3], s32 offset:448 ; 4-byte Folded Spill
.LBB384_609:                            ;   in Loop: Header=BB384_16 Depth=1
	s_or_b32 exec_lo, exec_lo, s27
.LBB384_610:                            ;   in Loop: Header=BB384_16 Depth=1
	s_or_b32 exec_lo, exec_lo, s26
.LBB384_611:                            ;   in Loop: Header=BB384_16 Depth=1
	s_or_b32 exec_lo, exec_lo, s25
	v_mov_b32_e32 v0, 0xff
	v_mov_b32_e32 v1, 0
	s_mov_b32 s25, exec_lo
	v_and_b32_sdwa v0, v33, v0 dst_sel:DWORD dst_unused:UNUSED_PAD src0_sel:WORD_1 src1_sel:DWORD
	buffer_store_dword v1, off, s[0:3], s32 offset:452 ; 4-byte Folded Spill
	v_mov_b32_e32 v1, 0
	buffer_store_dword v1, off, s[0:3], s32 offset:736 ; 4-byte Folded Spill
	v_cmpx_ne_u16_e32 0, v0
	s_cbranch_execz .LBB384_619
; %bb.612:                              ;   in Loop: Header=BB384_16 Depth=1
	v_cmp_ne_u16_e64 s5, 0x80, v0
	v_bfrev_b32_e32 v0, 1
	s_and_saveexec_b32 s26, s5
	s_cbranch_execz .LBB384_618
; %bb.613:                              ;   in Loop: Header=BB384_16 Depth=1
	v_bfe_u32 v1, v33, 16, 7
	v_mov_b32_e32 v0, 0x7f800001
	s_mov_b32 s27, exec_lo
	v_cmpx_ne_u32_e32 0x7f, v1
	s_cbranch_execz .LBB384_617
; %bb.614:                              ;   in Loop: Header=BB384_16 Depth=1
	v_mov_b32_e32 v0, 7
	s_mov_b32 s28, exec_lo
	v_and_b32_sdwa v18, v33, v0 dst_sel:DWORD dst_unused:UNUSED_PAD src0_sel:WORD_1 src1_sel:DWORD
	v_mov_b32_e32 v36, v19
	v_lshrrev_b32_e32 v0, 3, v1
	v_mov_b32_e32 v35, v18
	v_cmpx_gt_u32_e32 8, v1
; %bb.615:                              ;   in Loop: Header=BB384_16 Depth=1
	v_ffbh_u32_e32 v0, v18
	v_min_u32_e32 v0, 32, v0
	v_subrev_nc_u32_e32 v1, 28, v0
	v_sub_nc_u32_e32 v0, 29, v0
	v_lshlrev_b64 v[1:2], v1, v[18:19]
	v_and_b32_e32 v35, 7, v1
; %bb.616:                              ;   in Loop: Header=BB384_16 Depth=1
	s_or_b32 exec_lo, exec_lo, s28
	v_mov_b32_e32 v1, 24
	v_lshlrev_b32_e32 v2, 20, v35
	v_lshl_add_u32 v0, v0, 23, 0x3c000000
	v_lshlrev_b32_sdwa v1, v1, v33 dst_sel:DWORD dst_unused:UNUSED_PAD src0_sel:DWORD src1_sel:WORD_1
	v_and_b32_e32 v1, 0x80000000, v1
	v_or3_b32 v0, v2, v1, v0
.LBB384_617:                            ;   in Loop: Header=BB384_16 Depth=1
	s_or_b32 exec_lo, exec_lo, s27
.LBB384_618:                            ;   in Loop: Header=BB384_16 Depth=1
	s_or_b32 exec_lo, exec_lo, s26
	buffer_store_dword v0, off, s[0:3], s32 offset:736 ; 4-byte Folded Spill
.LBB384_619:                            ;   in Loop: Header=BB384_16 Depth=1
	s_or_b32 exec_lo, exec_lo, s25
	s_mov_b32 s25, exec_lo
	v_cmpx_lt_u32_e32 0xffffff, v33
	s_cbranch_execz .LBB384_627
; %bb.620:                              ;   in Loop: Header=BB384_16 Depth=1
	v_cmp_ne_u32_sdwa s5, v33, v87 src0_sel:BYTE_3 src1_sel:DWORD
	v_bfrev_b32_e32 v0, 1
	buffer_store_dword v0, off, s[0:3], s32 offset:452 ; 4-byte Folded Spill
	s_and_saveexec_b32 s26, s5
	s_cbranch_execz .LBB384_626
; %bb.621:                              ;   in Loop: Header=BB384_16 Depth=1
	v_bfe_u32 v1, v33, 24, 7
	v_mov_b32_e32 v0, 0x7f800001
	s_mov_b32 s27, exec_lo
	buffer_store_dword v0, off, s[0:3], s32 offset:452 ; 4-byte Folded Spill
	v_cmpx_ne_u32_e32 0x7f, v1
	s_cbranch_execz .LBB384_625
; %bb.622:                              ;   in Loop: Header=BB384_16 Depth=1
	v_mov_b32_e32 v0, 7
	s_mov_b32 s28, exec_lo
	v_and_b32_sdwa v18, v33, v0 dst_sel:DWORD dst_unused:UNUSED_PAD src0_sel:BYTE_3 src1_sel:DWORD
	v_mov_b32_e32 v36, v19
	v_lshrrev_b32_e32 v0, 3, v1
	v_mov_b32_e32 v35, v18
	v_cmpx_gt_u32_e32 8, v1
; %bb.623:                              ;   in Loop: Header=BB384_16 Depth=1
	v_ffbh_u32_e32 v0, v18
	v_min_u32_e32 v0, 32, v0
	v_subrev_nc_u32_e32 v1, 28, v0
	v_sub_nc_u32_e32 v0, 29, v0
	v_lshlrev_b64 v[1:2], v1, v[18:19]
	v_and_b32_e32 v35, 7, v1
; %bb.624:                              ;   in Loop: Header=BB384_16 Depth=1
	s_or_b32 exec_lo, exec_lo, s28
	v_mov_b32_e32 v1, 24
	v_lshlrev_b32_e32 v2, 20, v35
	v_lshl_add_u32 v0, v0, 23, 0x3c000000
	v_lshlrev_b32_sdwa v1, v1, v33 dst_sel:DWORD dst_unused:UNUSED_PAD src0_sel:DWORD src1_sel:BYTE_3
	v_and_b32_e32 v1, 0x80000000, v1
	v_or3_b32 v0, v2, v1, v0
	buffer_store_dword v0, off, s[0:3], s32 offset:452 ; 4-byte Folded Spill
.LBB384_625:                            ;   in Loop: Header=BB384_16 Depth=1
	s_or_b32 exec_lo, exec_lo, s27
.LBB384_626:                            ;   in Loop: Header=BB384_16 Depth=1
	s_or_b32 exec_lo, exec_lo, s26
.LBB384_627:                            ;   in Loop: Header=BB384_16 Depth=1
	s_or_b32 exec_lo, exec_lo, s25
	v_mov_b32_e32 v0, 0
	v_mov_b32_e32 v18, v34
	v_cmp_ne_u16_sdwa s5, v34, v19 src0_sel:BYTE_0 src1_sel:DWORD
	buffer_store_dword v0, off, s[0:3], s32 offset:460 ; 4-byte Folded Spill
	v_mov_b32_e32 v0, 0
	buffer_store_dword v0, off, s[0:3], s32 offset:456 ; 4-byte Folded Spill
	s_and_saveexec_b32 s25, s5
	s_cbranch_execz .LBB384_635
; %bb.628:                              ;   in Loop: Header=BB384_16 Depth=1
	v_cmp_ne_u16_sdwa s5, v34, v87 src0_sel:BYTE_0 src1_sel:DWORD
	v_bfrev_b32_e32 v0, 1
	buffer_store_dword v0, off, s[0:3], s32 offset:456 ; 4-byte Folded Spill
	s_and_saveexec_b32 s26, s5
	s_cbranch_execz .LBB384_634
; %bb.629:                              ;   in Loop: Header=BB384_16 Depth=1
	v_and_b32_e32 v1, 0x7f, v34
	v_mov_b32_e32 v0, 0x7f800001
	s_mov_b32 s27, exec_lo
	buffer_store_dword v0, off, s[0:3], s32 offset:456 ; 4-byte Folded Spill
	v_cmpx_ne_u32_e32 0x7f, v1
	s_cbranch_execz .LBB384_633
; %bb.630:                              ;   in Loop: Header=BB384_16 Depth=1
	v_mov_b32_e32 v36, v19
	v_lshrrev_b32_e32 v0, 3, v1
	v_mov_b32_e32 v35, v18
	s_mov_b32 s28, exec_lo
	v_cmpx_gt_u32_e32 8, v1
; %bb.631:                              ;   in Loop: Header=BB384_16 Depth=1
	v_and_b32_e32 v0, 7, v34
	v_ffbh_u32_e32 v0, v0
	v_min_u32_e32 v0, 32, v0
	v_subrev_nc_u32_e32 v1, 28, v0
	v_sub_nc_u32_e32 v0, 29, v0
	v_lshlrev_b64 v[35:36], v1, v[18:19]
; %bb.632:                              ;   in Loop: Header=BB384_16 Depth=1
	s_or_b32 exec_lo, exec_lo, s28
	v_lshlrev_b32_e32 v1, 20, v35
	v_lshlrev_b32_e32 v2, 24, v18
	v_lshl_add_u32 v0, v0, 23, 0x3c000000
	v_and_b32_e32 v1, 0x700000, v1
	v_and_b32_e32 v2, 0x80000000, v2
	v_or3_b32 v0, v1, v2, v0
	buffer_store_dword v0, off, s[0:3], s32 offset:456 ; 4-byte Folded Spill
.LBB384_633:                            ;   in Loop: Header=BB384_16 Depth=1
	s_or_b32 exec_lo, exec_lo, s27
.LBB384_634:                            ;   in Loop: Header=BB384_16 Depth=1
	s_or_b32 exec_lo, exec_lo, s26
.LBB384_635:                            ;   in Loop: Header=BB384_16 Depth=1
	s_or_b32 exec_lo, exec_lo, s25
	v_cmp_ne_u16_sdwa s5, v18, v19 src0_sel:BYTE_1 src1_sel:DWORD
	s_and_saveexec_b32 s25, s5
	s_cbranch_execz .LBB384_643
; %bb.636:                              ;   in Loop: Header=BB384_16 Depth=1
	v_cmp_ne_u16_sdwa s5, v18, v87 src0_sel:BYTE_1 src1_sel:DWORD
	v_bfrev_b32_e32 v0, 1
	buffer_store_dword v0, off, s[0:3], s32 offset:460 ; 4-byte Folded Spill
	s_and_saveexec_b32 s26, s5
	s_cbranch_execz .LBB384_642
; %bb.637:                              ;   in Loop: Header=BB384_16 Depth=1
	v_mov_b32_e32 v0, 0xffff
	v_mov_b32_e32 v2, 0x7f800001
	s_mov_b32 s27, exec_lo
	v_and_b32_sdwa v0, v0, v18 dst_sel:DWORD dst_unused:UNUSED_PAD src0_sel:DWORD src1_sel:BYTE_1
	buffer_store_dword v2, off, s[0:3], s32 offset:460 ; 4-byte Folded Spill
	v_and_b32_e32 v1, 0x7f, v0
	v_cmpx_ne_u32_e32 0x7f, v1
	s_cbranch_execz .LBB384_641
; %bb.638:                              ;   in Loop: Header=BB384_16 Depth=1
	v_and_b32_e32 v35, 7, v0
	v_mov_b32_e32 v36, v19
	v_lshrrev_b32_e32 v0, 3, v1
	s_mov_b32 s28, exec_lo
	v_cmpx_gt_u32_e32 8, v1
; %bb.639:                              ;   in Loop: Header=BB384_16 Depth=1
	v_ffbh_u32_e32 v0, v35
	v_min_u32_e32 v0, 32, v0
	v_subrev_nc_u32_e32 v1, 28, v0
	v_sub_nc_u32_e32 v0, 29, v0
	v_lshlrev_b64 v[1:2], v1, v[35:36]
	v_and_b32_e32 v35, 7, v1
; %bb.640:                              ;   in Loop: Header=BB384_16 Depth=1
	s_or_b32 exec_lo, exec_lo, s28
	v_lshlrev_b32_e32 v1, 16, v18
	v_lshlrev_b32_e32 v2, 20, v35
	v_lshl_add_u32 v0, v0, 23, 0x3c000000
	v_and_b32_e32 v1, 0x80000000, v1
	v_or3_b32 v0, v2, v1, v0
	buffer_store_dword v0, off, s[0:3], s32 offset:460 ; 4-byte Folded Spill
.LBB384_641:                            ;   in Loop: Header=BB384_16 Depth=1
	s_or_b32 exec_lo, exec_lo, s27
.LBB384_642:                            ;   in Loop: Header=BB384_16 Depth=1
	s_or_b32 exec_lo, exec_lo, s26
.LBB384_643:                            ;   in Loop: Header=BB384_16 Depth=1
	s_or_b32 exec_lo, exec_lo, s25
	v_mov_b32_e32 v0, 0xff
	v_mov_b32_e32 v1, 0
	s_mov_b32 s25, exec_lo
	v_and_b32_sdwa v0, v34, v0 dst_sel:DWORD dst_unused:UNUSED_PAD src0_sel:WORD_1 src1_sel:DWORD
	buffer_store_dword v1, off, s[0:3], s32 offset:464 ; 4-byte Folded Spill
	v_mov_b32_e32 v1, 0
	buffer_store_dword v1, off, s[0:3], s32 offset:740 ; 4-byte Folded Spill
	v_cmpx_ne_u16_e32 0, v0
	s_cbranch_execz .LBB384_651
; %bb.644:                              ;   in Loop: Header=BB384_16 Depth=1
	v_cmp_ne_u16_e64 s5, 0x80, v0
	v_bfrev_b32_e32 v0, 1
	s_and_saveexec_b32 s26, s5
	s_cbranch_execz .LBB384_650
; %bb.645:                              ;   in Loop: Header=BB384_16 Depth=1
	v_bfe_u32 v1, v34, 16, 7
	v_mov_b32_e32 v0, 0x7f800001
	s_mov_b32 s27, exec_lo
	v_cmpx_ne_u32_e32 0x7f, v1
	s_cbranch_execz .LBB384_649
; %bb.646:                              ;   in Loop: Header=BB384_16 Depth=1
	v_mov_b32_e32 v0, 7
	s_mov_b32 s28, exec_lo
	v_and_b32_sdwa v18, v34, v0 dst_sel:DWORD dst_unused:UNUSED_PAD src0_sel:WORD_1 src1_sel:DWORD
	v_mov_b32_e32 v36, v19
	v_lshrrev_b32_e32 v0, 3, v1
	v_mov_b32_e32 v35, v18
	v_cmpx_gt_u32_e32 8, v1
; %bb.647:                              ;   in Loop: Header=BB384_16 Depth=1
	v_ffbh_u32_e32 v0, v18
	v_min_u32_e32 v0, 32, v0
	v_subrev_nc_u32_e32 v1, 28, v0
	v_sub_nc_u32_e32 v0, 29, v0
	v_lshlrev_b64 v[1:2], v1, v[18:19]
	v_and_b32_e32 v35, 7, v1
; %bb.648:                              ;   in Loop: Header=BB384_16 Depth=1
	s_or_b32 exec_lo, exec_lo, s28
	v_mov_b32_e32 v1, 24
	v_lshlrev_b32_e32 v2, 20, v35
	v_lshl_add_u32 v0, v0, 23, 0x3c000000
	v_lshlrev_b32_sdwa v1, v1, v34 dst_sel:DWORD dst_unused:UNUSED_PAD src0_sel:DWORD src1_sel:WORD_1
	v_and_b32_e32 v1, 0x80000000, v1
	v_or3_b32 v0, v2, v1, v0
.LBB384_649:                            ;   in Loop: Header=BB384_16 Depth=1
	s_or_b32 exec_lo, exec_lo, s27
.LBB384_650:                            ;   in Loop: Header=BB384_16 Depth=1
	s_or_b32 exec_lo, exec_lo, s26
	buffer_store_dword v0, off, s[0:3], s32 offset:740 ; 4-byte Folded Spill
.LBB384_651:                            ;   in Loop: Header=BB384_16 Depth=1
	s_or_b32 exec_lo, exec_lo, s25
	s_mov_b32 s25, exec_lo
	v_cmpx_lt_u64_e64 s[20:21], v[33:34]
	s_cbranch_execz .LBB384_659
; %bb.652:                              ;   in Loop: Header=BB384_16 Depth=1
	v_cmp_ne_u32_sdwa s5, v34, v87 src0_sel:BYTE_3 src1_sel:DWORD
	v_bfrev_b32_e32 v0, 1
	buffer_store_dword v0, off, s[0:3], s32 offset:464 ; 4-byte Folded Spill
	s_and_saveexec_b32 s26, s5
	s_cbranch_execz .LBB384_658
; %bb.653:                              ;   in Loop: Header=BB384_16 Depth=1
	v_bfe_u32 v1, v34, 24, 7
	v_mov_b32_e32 v0, 0x7f800001
	s_mov_b32 s27, exec_lo
	buffer_store_dword v0, off, s[0:3], s32 offset:464 ; 4-byte Folded Spill
	v_cmpx_ne_u32_e32 0x7f, v1
	s_cbranch_execz .LBB384_657
; %bb.654:                              ;   in Loop: Header=BB384_16 Depth=1
	v_mov_b32_e32 v0, 7
	s_mov_b32 s28, exec_lo
	v_and_b32_sdwa v18, v34, v0 dst_sel:DWORD dst_unused:UNUSED_PAD src0_sel:BYTE_3 src1_sel:DWORD
	v_mov_b32_e32 v36, v19
	v_lshrrev_b32_e32 v0, 3, v1
	v_mov_b32_e32 v35, v18
	v_cmpx_gt_u32_e32 8, v1
; %bb.655:                              ;   in Loop: Header=BB384_16 Depth=1
	v_ffbh_u32_e32 v0, v18
	v_min_u32_e32 v0, 32, v0
	v_subrev_nc_u32_e32 v1, 28, v0
	v_sub_nc_u32_e32 v0, 29, v0
	v_lshlrev_b64 v[1:2], v1, v[18:19]
	v_and_b32_e32 v35, 7, v1
; %bb.656:                              ;   in Loop: Header=BB384_16 Depth=1
	s_or_b32 exec_lo, exec_lo, s28
	v_mov_b32_e32 v1, 24
	v_lshlrev_b32_e32 v2, 20, v35
	v_lshl_add_u32 v0, v0, 23, 0x3c000000
	v_lshlrev_b32_sdwa v1, v1, v34 dst_sel:DWORD dst_unused:UNUSED_PAD src0_sel:DWORD src1_sel:BYTE_3
	v_and_b32_e32 v1, 0x80000000, v1
	v_or3_b32 v0, v2, v1, v0
	buffer_store_dword v0, off, s[0:3], s32 offset:464 ; 4-byte Folded Spill
.LBB384_657:                            ;   in Loop: Header=BB384_16 Depth=1
	s_or_b32 exec_lo, exec_lo, s27
.LBB384_658:                            ;   in Loop: Header=BB384_16 Depth=1
	s_or_b32 exec_lo, exec_lo, s26
.LBB384_659:                            ;   in Loop: Header=BB384_16 Depth=1
	s_or_b32 exec_lo, exec_lo, s25
	flat_load_dwordx2 v[33:34], v[31:32] offset:512
	v_mov_b32_e32 v0, 0
	buffer_store_dword v0, off, s[0:3], s32 offset:472 ; 4-byte Folded Spill
	v_mov_b32_e32 v0, 0
	buffer_store_dword v0, off, s[0:3], s32 offset:468 ; 4-byte Folded Spill
	s_waitcnt vmcnt(0) lgkmcnt(0)
	v_cmp_ne_u16_sdwa s5, v33, v19 src0_sel:BYTE_0 src1_sel:DWORD
	s_and_saveexec_b32 s25, s5
	s_cbranch_execz .LBB384_667
; %bb.660:                              ;   in Loop: Header=BB384_16 Depth=1
	v_cmp_ne_u16_sdwa s5, v33, v87 src0_sel:BYTE_0 src1_sel:DWORD
	v_bfrev_b32_e32 v0, 1
	buffer_store_dword v0, off, s[0:3], s32 offset:468 ; 4-byte Folded Spill
	s_and_saveexec_b32 s26, s5
	s_cbranch_execz .LBB384_666
; %bb.661:                              ;   in Loop: Header=BB384_16 Depth=1
	v_and_b32_e32 v1, 0x7f, v33
	v_mov_b32_e32 v0, 0x7f800001
	s_mov_b32 s27, exec_lo
	buffer_store_dword v0, off, s[0:3], s32 offset:468 ; 4-byte Folded Spill
	v_cmpx_ne_u32_e32 0x7f, v1
	s_cbranch_execz .LBB384_665
; %bb.662:                              ;   in Loop: Header=BB384_16 Depth=1
	v_mov_b32_e32 v36, v34
	v_lshrrev_b32_e32 v0, 3, v1
	v_mov_b32_e32 v35, v33
	s_mov_b32 s28, exec_lo
	v_cmpx_gt_u32_e32 8, v1
; %bb.663:                              ;   in Loop: Header=BB384_16 Depth=1
	v_and_b32_e32 v0, 7, v33
	v_ffbh_u32_e32 v0, v0
	v_min_u32_e32 v0, 32, v0
	v_subrev_nc_u32_e32 v1, 28, v0
	v_sub_nc_u32_e32 v0, 29, v0
	v_lshlrev_b64 v[35:36], v1, v[33:34]
; %bb.664:                              ;   in Loop: Header=BB384_16 Depth=1
	s_or_b32 exec_lo, exec_lo, s28
	v_lshlrev_b32_e32 v1, 20, v35
	v_lshlrev_b32_e32 v2, 24, v33
	v_lshl_add_u32 v0, v0, 23, 0x3c000000
	v_and_b32_e32 v1, 0x700000, v1
	v_and_b32_e32 v2, 0x80000000, v2
	v_or3_b32 v0, v1, v2, v0
	buffer_store_dword v0, off, s[0:3], s32 offset:468 ; 4-byte Folded Spill
.LBB384_665:                            ;   in Loop: Header=BB384_16 Depth=1
	s_or_b32 exec_lo, exec_lo, s27
.LBB384_666:                            ;   in Loop: Header=BB384_16 Depth=1
	s_or_b32 exec_lo, exec_lo, s26
.LBB384_667:                            ;   in Loop: Header=BB384_16 Depth=1
	s_or_b32 exec_lo, exec_lo, s25
	v_cmp_ne_u16_sdwa s5, v33, v19 src0_sel:BYTE_1 src1_sel:DWORD
	s_and_saveexec_b32 s25, s5
	s_cbranch_execz .LBB384_675
; %bb.668:                              ;   in Loop: Header=BB384_16 Depth=1
	v_cmp_ne_u16_sdwa s5, v33, v87 src0_sel:BYTE_1 src1_sel:DWORD
	v_bfrev_b32_e32 v0, 1
	buffer_store_dword v0, off, s[0:3], s32 offset:472 ; 4-byte Folded Spill
	s_and_saveexec_b32 s26, s5
	s_cbranch_execz .LBB384_674
; %bb.669:                              ;   in Loop: Header=BB384_16 Depth=1
	v_mov_b32_e32 v0, 0xffff
	v_mov_b32_e32 v2, 0x7f800001
	s_mov_b32 s27, exec_lo
	v_and_b32_sdwa v0, v0, v33 dst_sel:DWORD dst_unused:UNUSED_PAD src0_sel:DWORD src1_sel:BYTE_1
	buffer_store_dword v2, off, s[0:3], s32 offset:472 ; 4-byte Folded Spill
	v_and_b32_e32 v1, 0x7f, v0
	v_cmpx_ne_u32_e32 0x7f, v1
	s_cbranch_execz .LBB384_673
; %bb.670:                              ;   in Loop: Header=BB384_16 Depth=1
	v_and_b32_e32 v18, 7, v0
	v_mov_b32_e32 v36, v19
	v_lshrrev_b32_e32 v0, 3, v1
	s_mov_b32 s28, exec_lo
	v_mov_b32_e32 v35, v18
	v_cmpx_gt_u32_e32 8, v1
; %bb.671:                              ;   in Loop: Header=BB384_16 Depth=1
	v_ffbh_u32_e32 v0, v18
	v_min_u32_e32 v0, 32, v0
	v_subrev_nc_u32_e32 v1, 28, v0
	v_sub_nc_u32_e32 v0, 29, v0
	v_lshlrev_b64 v[1:2], v1, v[18:19]
	v_and_b32_e32 v35, 7, v1
; %bb.672:                              ;   in Loop: Header=BB384_16 Depth=1
	s_or_b32 exec_lo, exec_lo, s28
	v_lshlrev_b32_e32 v1, 16, v33
	v_lshlrev_b32_e32 v2, 20, v35
	v_lshl_add_u32 v0, v0, 23, 0x3c000000
	v_and_b32_e32 v1, 0x80000000, v1
	v_or3_b32 v0, v2, v1, v0
	buffer_store_dword v0, off, s[0:3], s32 offset:472 ; 4-byte Folded Spill
.LBB384_673:                            ;   in Loop: Header=BB384_16 Depth=1
	s_or_b32 exec_lo, exec_lo, s27
.LBB384_674:                            ;   in Loop: Header=BB384_16 Depth=1
	s_or_b32 exec_lo, exec_lo, s26
.LBB384_675:                            ;   in Loop: Header=BB384_16 Depth=1
	s_or_b32 exec_lo, exec_lo, s25
	v_mov_b32_e32 v0, 0xff
	v_mov_b32_e32 v1, 0
	s_mov_b32 s25, exec_lo
	v_and_b32_sdwa v0, v33, v0 dst_sel:DWORD dst_unused:UNUSED_PAD src0_sel:WORD_1 src1_sel:DWORD
	buffer_store_dword v1, off, s[0:3], s32 offset:480 ; 4-byte Folded Spill
	v_mov_b32_e32 v1, 0
	buffer_store_dword v1, off, s[0:3], s32 offset:744 ; 4-byte Folded Spill
	v_cmpx_ne_u16_e32 0, v0
	s_cbranch_execz .LBB384_683
; %bb.676:                              ;   in Loop: Header=BB384_16 Depth=1
	v_cmp_ne_u16_e64 s5, 0x80, v0
	v_bfrev_b32_e32 v0, 1
	s_and_saveexec_b32 s26, s5
	s_cbranch_execz .LBB384_682
; %bb.677:                              ;   in Loop: Header=BB384_16 Depth=1
	v_bfe_u32 v1, v33, 16, 7
	v_mov_b32_e32 v0, 0x7f800001
	s_mov_b32 s27, exec_lo
	v_cmpx_ne_u32_e32 0x7f, v1
	s_cbranch_execz .LBB384_681
; %bb.678:                              ;   in Loop: Header=BB384_16 Depth=1
	v_mov_b32_e32 v0, 7
	s_mov_b32 s28, exec_lo
	v_and_b32_sdwa v18, v33, v0 dst_sel:DWORD dst_unused:UNUSED_PAD src0_sel:WORD_1 src1_sel:DWORD
	v_mov_b32_e32 v36, v19
	v_lshrrev_b32_e32 v0, 3, v1
	v_mov_b32_e32 v35, v18
	v_cmpx_gt_u32_e32 8, v1
; %bb.679:                              ;   in Loop: Header=BB384_16 Depth=1
	v_ffbh_u32_e32 v0, v18
	v_min_u32_e32 v0, 32, v0
	v_subrev_nc_u32_e32 v1, 28, v0
	v_sub_nc_u32_e32 v0, 29, v0
	v_lshlrev_b64 v[1:2], v1, v[18:19]
	v_and_b32_e32 v35, 7, v1
; %bb.680:                              ;   in Loop: Header=BB384_16 Depth=1
	s_or_b32 exec_lo, exec_lo, s28
	v_mov_b32_e32 v1, 24
	v_lshlrev_b32_e32 v2, 20, v35
	v_lshl_add_u32 v0, v0, 23, 0x3c000000
	v_lshlrev_b32_sdwa v1, v1, v33 dst_sel:DWORD dst_unused:UNUSED_PAD src0_sel:DWORD src1_sel:WORD_1
	v_and_b32_e32 v1, 0x80000000, v1
	v_or3_b32 v0, v2, v1, v0
.LBB384_681:                            ;   in Loop: Header=BB384_16 Depth=1
	s_or_b32 exec_lo, exec_lo, s27
.LBB384_682:                            ;   in Loop: Header=BB384_16 Depth=1
	s_or_b32 exec_lo, exec_lo, s26
	buffer_store_dword v0, off, s[0:3], s32 offset:744 ; 4-byte Folded Spill
.LBB384_683:                            ;   in Loop: Header=BB384_16 Depth=1
	s_or_b32 exec_lo, exec_lo, s25
	s_mov_b32 s25, exec_lo
	v_cmpx_lt_u32_e32 0xffffff, v33
	s_cbranch_execz .LBB384_691
; %bb.684:                              ;   in Loop: Header=BB384_16 Depth=1
	v_cmp_ne_u32_sdwa s5, v33, v87 src0_sel:BYTE_3 src1_sel:DWORD
	v_bfrev_b32_e32 v0, 1
	buffer_store_dword v0, off, s[0:3], s32 offset:480 ; 4-byte Folded Spill
	s_and_saveexec_b32 s26, s5
	s_cbranch_execz .LBB384_690
; %bb.685:                              ;   in Loop: Header=BB384_16 Depth=1
	v_bfe_u32 v1, v33, 24, 7
	v_mov_b32_e32 v0, 0x7f800001
	s_mov_b32 s27, exec_lo
	buffer_store_dword v0, off, s[0:3], s32 offset:480 ; 4-byte Folded Spill
	v_cmpx_ne_u32_e32 0x7f, v1
	s_cbranch_execz .LBB384_689
; %bb.686:                              ;   in Loop: Header=BB384_16 Depth=1
	v_mov_b32_e32 v0, 7
	s_mov_b32 s28, exec_lo
	v_and_b32_sdwa v18, v33, v0 dst_sel:DWORD dst_unused:UNUSED_PAD src0_sel:BYTE_3 src1_sel:DWORD
	v_mov_b32_e32 v36, v19
	v_lshrrev_b32_e32 v0, 3, v1
	v_mov_b32_e32 v35, v18
	v_cmpx_gt_u32_e32 8, v1
; %bb.687:                              ;   in Loop: Header=BB384_16 Depth=1
	v_ffbh_u32_e32 v0, v18
	v_min_u32_e32 v0, 32, v0
	v_subrev_nc_u32_e32 v1, 28, v0
	v_sub_nc_u32_e32 v0, 29, v0
	v_lshlrev_b64 v[1:2], v1, v[18:19]
	v_and_b32_e32 v35, 7, v1
; %bb.688:                              ;   in Loop: Header=BB384_16 Depth=1
	s_or_b32 exec_lo, exec_lo, s28
	v_mov_b32_e32 v1, 24
	v_lshlrev_b32_e32 v2, 20, v35
	v_lshl_add_u32 v0, v0, 23, 0x3c000000
	v_lshlrev_b32_sdwa v1, v1, v33 dst_sel:DWORD dst_unused:UNUSED_PAD src0_sel:DWORD src1_sel:BYTE_3
	v_and_b32_e32 v1, 0x80000000, v1
	v_or3_b32 v0, v2, v1, v0
	buffer_store_dword v0, off, s[0:3], s32 offset:480 ; 4-byte Folded Spill
.LBB384_689:                            ;   in Loop: Header=BB384_16 Depth=1
	s_or_b32 exec_lo, exec_lo, s27
.LBB384_690:                            ;   in Loop: Header=BB384_16 Depth=1
	s_or_b32 exec_lo, exec_lo, s26
.LBB384_691:                            ;   in Loop: Header=BB384_16 Depth=1
	s_or_b32 exec_lo, exec_lo, s25
	v_mov_b32_e32 v0, 0
	v_mov_b32_e32 v18, v34
	v_cmp_ne_u16_sdwa s5, v34, v19 src0_sel:BYTE_0 src1_sel:DWORD
	buffer_store_dword v0, off, s[0:3], s32 offset:488 ; 4-byte Folded Spill
	v_mov_b32_e32 v0, 0
	buffer_store_dword v0, off, s[0:3], s32 offset:484 ; 4-byte Folded Spill
	s_and_saveexec_b32 s25, s5
	s_cbranch_execz .LBB384_699
; %bb.692:                              ;   in Loop: Header=BB384_16 Depth=1
	v_cmp_ne_u16_sdwa s5, v34, v87 src0_sel:BYTE_0 src1_sel:DWORD
	v_bfrev_b32_e32 v0, 1
	buffer_store_dword v0, off, s[0:3], s32 offset:484 ; 4-byte Folded Spill
	s_and_saveexec_b32 s26, s5
	s_cbranch_execz .LBB384_698
; %bb.693:                              ;   in Loop: Header=BB384_16 Depth=1
	v_and_b32_e32 v1, 0x7f, v34
	v_mov_b32_e32 v0, 0x7f800001
	s_mov_b32 s27, exec_lo
	buffer_store_dword v0, off, s[0:3], s32 offset:484 ; 4-byte Folded Spill
	v_cmpx_ne_u32_e32 0x7f, v1
	s_cbranch_execz .LBB384_697
; %bb.694:                              ;   in Loop: Header=BB384_16 Depth=1
	v_mov_b32_e32 v36, v19
	v_lshrrev_b32_e32 v0, 3, v1
	v_mov_b32_e32 v35, v18
	s_mov_b32 s28, exec_lo
	v_cmpx_gt_u32_e32 8, v1
; %bb.695:                              ;   in Loop: Header=BB384_16 Depth=1
	v_and_b32_e32 v0, 7, v34
	v_ffbh_u32_e32 v0, v0
	v_min_u32_e32 v0, 32, v0
	v_subrev_nc_u32_e32 v1, 28, v0
	v_sub_nc_u32_e32 v0, 29, v0
	v_lshlrev_b64 v[35:36], v1, v[18:19]
; %bb.696:                              ;   in Loop: Header=BB384_16 Depth=1
	s_or_b32 exec_lo, exec_lo, s28
	v_lshlrev_b32_e32 v1, 20, v35
	v_lshlrev_b32_e32 v2, 24, v18
	v_lshl_add_u32 v0, v0, 23, 0x3c000000
	v_and_b32_e32 v1, 0x700000, v1
	v_and_b32_e32 v2, 0x80000000, v2
	v_or3_b32 v0, v1, v2, v0
	buffer_store_dword v0, off, s[0:3], s32 offset:484 ; 4-byte Folded Spill
.LBB384_697:                            ;   in Loop: Header=BB384_16 Depth=1
	s_or_b32 exec_lo, exec_lo, s27
.LBB384_698:                            ;   in Loop: Header=BB384_16 Depth=1
	s_or_b32 exec_lo, exec_lo, s26
.LBB384_699:                            ;   in Loop: Header=BB384_16 Depth=1
	s_or_b32 exec_lo, exec_lo, s25
	v_cmp_ne_u16_sdwa s5, v18, v19 src0_sel:BYTE_1 src1_sel:DWORD
	s_and_saveexec_b32 s25, s5
	s_cbranch_execz .LBB384_707
; %bb.700:                              ;   in Loop: Header=BB384_16 Depth=1
	v_cmp_ne_u16_sdwa s5, v18, v87 src0_sel:BYTE_1 src1_sel:DWORD
	v_bfrev_b32_e32 v0, 1
	buffer_store_dword v0, off, s[0:3], s32 offset:488 ; 4-byte Folded Spill
	s_and_saveexec_b32 s26, s5
	s_cbranch_execz .LBB384_706
; %bb.701:                              ;   in Loop: Header=BB384_16 Depth=1
	v_mov_b32_e32 v0, 0xffff
	v_mov_b32_e32 v2, 0x7f800001
	s_mov_b32 s27, exec_lo
	v_and_b32_sdwa v0, v0, v18 dst_sel:DWORD dst_unused:UNUSED_PAD src0_sel:DWORD src1_sel:BYTE_1
	buffer_store_dword v2, off, s[0:3], s32 offset:488 ; 4-byte Folded Spill
	v_and_b32_e32 v1, 0x7f, v0
	v_cmpx_ne_u32_e32 0x7f, v1
	s_cbranch_execz .LBB384_705
; %bb.702:                              ;   in Loop: Header=BB384_16 Depth=1
	v_and_b32_e32 v35, 7, v0
	v_mov_b32_e32 v36, v19
	v_lshrrev_b32_e32 v0, 3, v1
	s_mov_b32 s28, exec_lo
	v_cmpx_gt_u32_e32 8, v1
; %bb.703:                              ;   in Loop: Header=BB384_16 Depth=1
	v_ffbh_u32_e32 v0, v35
	v_min_u32_e32 v0, 32, v0
	v_subrev_nc_u32_e32 v1, 28, v0
	v_sub_nc_u32_e32 v0, 29, v0
	v_lshlrev_b64 v[1:2], v1, v[35:36]
	v_and_b32_e32 v35, 7, v1
; %bb.704:                              ;   in Loop: Header=BB384_16 Depth=1
	s_or_b32 exec_lo, exec_lo, s28
	v_lshlrev_b32_e32 v1, 16, v18
	v_lshlrev_b32_e32 v2, 20, v35
	v_lshl_add_u32 v0, v0, 23, 0x3c000000
	v_and_b32_e32 v1, 0x80000000, v1
	v_or3_b32 v0, v2, v1, v0
	buffer_store_dword v0, off, s[0:3], s32 offset:488 ; 4-byte Folded Spill
.LBB384_705:                            ;   in Loop: Header=BB384_16 Depth=1
	s_or_b32 exec_lo, exec_lo, s27
.LBB384_706:                            ;   in Loop: Header=BB384_16 Depth=1
	s_or_b32 exec_lo, exec_lo, s26
.LBB384_707:                            ;   in Loop: Header=BB384_16 Depth=1
	s_or_b32 exec_lo, exec_lo, s25
	v_mov_b32_e32 v0, 0xff
	v_mov_b32_e32 v1, 0
	s_mov_b32 s25, exec_lo
	v_and_b32_sdwa v0, v34, v0 dst_sel:DWORD dst_unused:UNUSED_PAD src0_sel:WORD_1 src1_sel:DWORD
	buffer_store_dword v1, off, s[0:3], s32 offset:492 ; 4-byte Folded Spill
	v_mov_b32_e32 v1, 0
	buffer_store_dword v1, off, s[0:3], s32 offset:748 ; 4-byte Folded Spill
	v_cmpx_ne_u16_e32 0, v0
	s_cbranch_execz .LBB384_715
; %bb.708:                              ;   in Loop: Header=BB384_16 Depth=1
	v_cmp_ne_u16_e64 s5, 0x80, v0
	v_bfrev_b32_e32 v0, 1
	s_and_saveexec_b32 s26, s5
	s_cbranch_execz .LBB384_714
; %bb.709:                              ;   in Loop: Header=BB384_16 Depth=1
	v_bfe_u32 v1, v34, 16, 7
	v_mov_b32_e32 v0, 0x7f800001
	s_mov_b32 s27, exec_lo
	v_cmpx_ne_u32_e32 0x7f, v1
	s_cbranch_execz .LBB384_713
; %bb.710:                              ;   in Loop: Header=BB384_16 Depth=1
	v_mov_b32_e32 v0, 7
	s_mov_b32 s28, exec_lo
	v_and_b32_sdwa v18, v34, v0 dst_sel:DWORD dst_unused:UNUSED_PAD src0_sel:WORD_1 src1_sel:DWORD
	v_mov_b32_e32 v36, v19
	v_lshrrev_b32_e32 v0, 3, v1
	v_mov_b32_e32 v35, v18
	v_cmpx_gt_u32_e32 8, v1
; %bb.711:                              ;   in Loop: Header=BB384_16 Depth=1
	v_ffbh_u32_e32 v0, v18
	v_min_u32_e32 v0, 32, v0
	v_subrev_nc_u32_e32 v1, 28, v0
	v_sub_nc_u32_e32 v0, 29, v0
	v_lshlrev_b64 v[1:2], v1, v[18:19]
	v_and_b32_e32 v35, 7, v1
; %bb.712:                              ;   in Loop: Header=BB384_16 Depth=1
	s_or_b32 exec_lo, exec_lo, s28
	v_mov_b32_e32 v1, 24
	v_lshlrev_b32_e32 v2, 20, v35
	v_lshl_add_u32 v0, v0, 23, 0x3c000000
	v_lshlrev_b32_sdwa v1, v1, v34 dst_sel:DWORD dst_unused:UNUSED_PAD src0_sel:DWORD src1_sel:WORD_1
	v_and_b32_e32 v1, 0x80000000, v1
	v_or3_b32 v0, v2, v1, v0
.LBB384_713:                            ;   in Loop: Header=BB384_16 Depth=1
	s_or_b32 exec_lo, exec_lo, s27
.LBB384_714:                            ;   in Loop: Header=BB384_16 Depth=1
	s_or_b32 exec_lo, exec_lo, s26
	buffer_store_dword v0, off, s[0:3], s32 offset:748 ; 4-byte Folded Spill
.LBB384_715:                            ;   in Loop: Header=BB384_16 Depth=1
	s_or_b32 exec_lo, exec_lo, s25
	s_mov_b32 s25, exec_lo
	v_cmpx_lt_u64_e64 s[20:21], v[33:34]
	s_cbranch_execz .LBB384_723
; %bb.716:                              ;   in Loop: Header=BB384_16 Depth=1
	v_cmp_ne_u32_sdwa s5, v34, v87 src0_sel:BYTE_3 src1_sel:DWORD
	v_bfrev_b32_e32 v0, 1
	buffer_store_dword v0, off, s[0:3], s32 offset:492 ; 4-byte Folded Spill
	s_and_saveexec_b32 s26, s5
	s_cbranch_execz .LBB384_722
; %bb.717:                              ;   in Loop: Header=BB384_16 Depth=1
	v_bfe_u32 v1, v34, 24, 7
	v_mov_b32_e32 v0, 0x7f800001
	s_mov_b32 s27, exec_lo
	buffer_store_dword v0, off, s[0:3], s32 offset:492 ; 4-byte Folded Spill
	v_cmpx_ne_u32_e32 0x7f, v1
	s_cbranch_execz .LBB384_721
; %bb.718:                              ;   in Loop: Header=BB384_16 Depth=1
	v_mov_b32_e32 v0, 7
	s_mov_b32 s28, exec_lo
	v_and_b32_sdwa v18, v34, v0 dst_sel:DWORD dst_unused:UNUSED_PAD src0_sel:BYTE_3 src1_sel:DWORD
	v_mov_b32_e32 v36, v19
	v_lshrrev_b32_e32 v0, 3, v1
	v_mov_b32_e32 v35, v18
	v_cmpx_gt_u32_e32 8, v1
; %bb.719:                              ;   in Loop: Header=BB384_16 Depth=1
	v_ffbh_u32_e32 v0, v18
	v_min_u32_e32 v0, 32, v0
	v_subrev_nc_u32_e32 v1, 28, v0
	v_sub_nc_u32_e32 v0, 29, v0
	v_lshlrev_b64 v[1:2], v1, v[18:19]
	v_and_b32_e32 v35, 7, v1
; %bb.720:                              ;   in Loop: Header=BB384_16 Depth=1
	s_or_b32 exec_lo, exec_lo, s28
	v_mov_b32_e32 v1, 24
	v_lshlrev_b32_e32 v2, 20, v35
	v_lshl_add_u32 v0, v0, 23, 0x3c000000
	v_lshlrev_b32_sdwa v1, v1, v34 dst_sel:DWORD dst_unused:UNUSED_PAD src0_sel:DWORD src1_sel:BYTE_3
	v_and_b32_e32 v1, 0x80000000, v1
	v_or3_b32 v0, v2, v1, v0
	buffer_store_dword v0, off, s[0:3], s32 offset:492 ; 4-byte Folded Spill
.LBB384_721:                            ;   in Loop: Header=BB384_16 Depth=1
	s_or_b32 exec_lo, exec_lo, s27
.LBB384_722:                            ;   in Loop: Header=BB384_16 Depth=1
	s_or_b32 exec_lo, exec_lo, s26
.LBB384_723:                            ;   in Loop: Header=BB384_16 Depth=1
	s_or_b32 exec_lo, exec_lo, s25
	flat_load_dwordx2 v[33:34], v[31:32] offset:520
	v_mov_b32_e32 v0, 0
	buffer_store_dword v0, off, s[0:3], s32 offset:500 ; 4-byte Folded Spill
	v_mov_b32_e32 v0, 0
	buffer_store_dword v0, off, s[0:3], s32 offset:496 ; 4-byte Folded Spill
	s_waitcnt vmcnt(0) lgkmcnt(0)
	v_cmp_ne_u16_sdwa s5, v33, v19 src0_sel:BYTE_0 src1_sel:DWORD
	s_and_saveexec_b32 s25, s5
	s_cbranch_execz .LBB384_731
; %bb.724:                              ;   in Loop: Header=BB384_16 Depth=1
	v_cmp_ne_u16_sdwa s5, v33, v87 src0_sel:BYTE_0 src1_sel:DWORD
	v_bfrev_b32_e32 v0, 1
	buffer_store_dword v0, off, s[0:3], s32 offset:496 ; 4-byte Folded Spill
	s_and_saveexec_b32 s26, s5
	s_cbranch_execz .LBB384_730
; %bb.725:                              ;   in Loop: Header=BB384_16 Depth=1
	v_and_b32_e32 v1, 0x7f, v33
	v_mov_b32_e32 v0, 0x7f800001
	s_mov_b32 s27, exec_lo
	buffer_store_dword v0, off, s[0:3], s32 offset:496 ; 4-byte Folded Spill
	v_cmpx_ne_u32_e32 0x7f, v1
	s_cbranch_execz .LBB384_729
; %bb.726:                              ;   in Loop: Header=BB384_16 Depth=1
	v_mov_b32_e32 v36, v34
	v_lshrrev_b32_e32 v0, 3, v1
	v_mov_b32_e32 v35, v33
	s_mov_b32 s28, exec_lo
	v_cmpx_gt_u32_e32 8, v1
; %bb.727:                              ;   in Loop: Header=BB384_16 Depth=1
	v_and_b32_e32 v0, 7, v33
	v_ffbh_u32_e32 v0, v0
	v_min_u32_e32 v0, 32, v0
	v_subrev_nc_u32_e32 v1, 28, v0
	v_sub_nc_u32_e32 v0, 29, v0
	v_lshlrev_b64 v[35:36], v1, v[33:34]
; %bb.728:                              ;   in Loop: Header=BB384_16 Depth=1
	s_or_b32 exec_lo, exec_lo, s28
	v_lshlrev_b32_e32 v1, 20, v35
	v_lshlrev_b32_e32 v2, 24, v33
	v_lshl_add_u32 v0, v0, 23, 0x3c000000
	v_and_b32_e32 v1, 0x700000, v1
	v_and_b32_e32 v2, 0x80000000, v2
	v_or3_b32 v0, v1, v2, v0
	buffer_store_dword v0, off, s[0:3], s32 offset:496 ; 4-byte Folded Spill
.LBB384_729:                            ;   in Loop: Header=BB384_16 Depth=1
	s_or_b32 exec_lo, exec_lo, s27
.LBB384_730:                            ;   in Loop: Header=BB384_16 Depth=1
	s_or_b32 exec_lo, exec_lo, s26
.LBB384_731:                            ;   in Loop: Header=BB384_16 Depth=1
	s_or_b32 exec_lo, exec_lo, s25
	v_cmp_ne_u16_sdwa s5, v33, v19 src0_sel:BYTE_1 src1_sel:DWORD
	s_and_saveexec_b32 s25, s5
	s_cbranch_execz .LBB384_739
; %bb.732:                              ;   in Loop: Header=BB384_16 Depth=1
	v_cmp_ne_u16_sdwa s5, v33, v87 src0_sel:BYTE_1 src1_sel:DWORD
	v_bfrev_b32_e32 v0, 1
	buffer_store_dword v0, off, s[0:3], s32 offset:500 ; 4-byte Folded Spill
	s_and_saveexec_b32 s26, s5
	s_cbranch_execz .LBB384_738
; %bb.733:                              ;   in Loop: Header=BB384_16 Depth=1
	v_mov_b32_e32 v0, 0xffff
	v_mov_b32_e32 v2, 0x7f800001
	s_mov_b32 s27, exec_lo
	v_and_b32_sdwa v0, v0, v33 dst_sel:DWORD dst_unused:UNUSED_PAD src0_sel:DWORD src1_sel:BYTE_1
	buffer_store_dword v2, off, s[0:3], s32 offset:500 ; 4-byte Folded Spill
	v_and_b32_e32 v1, 0x7f, v0
	v_cmpx_ne_u32_e32 0x7f, v1
	s_cbranch_execz .LBB384_737
; %bb.734:                              ;   in Loop: Header=BB384_16 Depth=1
	v_and_b32_e32 v18, 7, v0
	v_mov_b32_e32 v36, v19
	v_lshrrev_b32_e32 v0, 3, v1
	s_mov_b32 s28, exec_lo
	v_mov_b32_e32 v35, v18
	v_cmpx_gt_u32_e32 8, v1
; %bb.735:                              ;   in Loop: Header=BB384_16 Depth=1
	v_ffbh_u32_e32 v0, v18
	v_min_u32_e32 v0, 32, v0
	v_subrev_nc_u32_e32 v1, 28, v0
	v_sub_nc_u32_e32 v0, 29, v0
	v_lshlrev_b64 v[1:2], v1, v[18:19]
	v_and_b32_e32 v35, 7, v1
; %bb.736:                              ;   in Loop: Header=BB384_16 Depth=1
	s_or_b32 exec_lo, exec_lo, s28
	v_lshlrev_b32_e32 v1, 16, v33
	v_lshlrev_b32_e32 v2, 20, v35
	v_lshl_add_u32 v0, v0, 23, 0x3c000000
	v_and_b32_e32 v1, 0x80000000, v1
	v_or3_b32 v0, v2, v1, v0
	buffer_store_dword v0, off, s[0:3], s32 offset:500 ; 4-byte Folded Spill
.LBB384_737:                            ;   in Loop: Header=BB384_16 Depth=1
	s_or_b32 exec_lo, exec_lo, s27
.LBB384_738:                            ;   in Loop: Header=BB384_16 Depth=1
	s_or_b32 exec_lo, exec_lo, s26
.LBB384_739:                            ;   in Loop: Header=BB384_16 Depth=1
	s_or_b32 exec_lo, exec_lo, s25
	v_mov_b32_e32 v0, 0xff
	v_mov_b32_e32 v1, 0
	s_mov_b32 s25, exec_lo
	v_and_b32_sdwa v0, v33, v0 dst_sel:DWORD dst_unused:UNUSED_PAD src0_sel:WORD_1 src1_sel:DWORD
	buffer_store_dword v1, off, s[0:3], s32 offset:504 ; 4-byte Folded Spill
	v_mov_b32_e32 v1, 0
	buffer_store_dword v1, off, s[0:3], s32 offset:752 ; 4-byte Folded Spill
	v_cmpx_ne_u16_e32 0, v0
	s_cbranch_execz .LBB384_747
; %bb.740:                              ;   in Loop: Header=BB384_16 Depth=1
	v_cmp_ne_u16_e64 s5, 0x80, v0
	v_bfrev_b32_e32 v0, 1
	s_and_saveexec_b32 s26, s5
	s_cbranch_execz .LBB384_746
; %bb.741:                              ;   in Loop: Header=BB384_16 Depth=1
	v_bfe_u32 v1, v33, 16, 7
	v_mov_b32_e32 v0, 0x7f800001
	s_mov_b32 s27, exec_lo
	v_cmpx_ne_u32_e32 0x7f, v1
	s_cbranch_execz .LBB384_745
; %bb.742:                              ;   in Loop: Header=BB384_16 Depth=1
	v_mov_b32_e32 v0, 7
	s_mov_b32 s28, exec_lo
	v_and_b32_sdwa v18, v33, v0 dst_sel:DWORD dst_unused:UNUSED_PAD src0_sel:WORD_1 src1_sel:DWORD
	v_mov_b32_e32 v36, v19
	v_lshrrev_b32_e32 v0, 3, v1
	v_mov_b32_e32 v35, v18
	v_cmpx_gt_u32_e32 8, v1
; %bb.743:                              ;   in Loop: Header=BB384_16 Depth=1
	v_ffbh_u32_e32 v0, v18
	v_min_u32_e32 v0, 32, v0
	v_subrev_nc_u32_e32 v1, 28, v0
	v_sub_nc_u32_e32 v0, 29, v0
	v_lshlrev_b64 v[1:2], v1, v[18:19]
	v_and_b32_e32 v35, 7, v1
; %bb.744:                              ;   in Loop: Header=BB384_16 Depth=1
	s_or_b32 exec_lo, exec_lo, s28
	v_mov_b32_e32 v1, 24
	v_lshlrev_b32_e32 v2, 20, v35
	v_lshl_add_u32 v0, v0, 23, 0x3c000000
	v_lshlrev_b32_sdwa v1, v1, v33 dst_sel:DWORD dst_unused:UNUSED_PAD src0_sel:DWORD src1_sel:WORD_1
	v_and_b32_e32 v1, 0x80000000, v1
	v_or3_b32 v0, v2, v1, v0
.LBB384_745:                            ;   in Loop: Header=BB384_16 Depth=1
	s_or_b32 exec_lo, exec_lo, s27
.LBB384_746:                            ;   in Loop: Header=BB384_16 Depth=1
	s_or_b32 exec_lo, exec_lo, s26
	buffer_store_dword v0, off, s[0:3], s32 offset:752 ; 4-byte Folded Spill
.LBB384_747:                            ;   in Loop: Header=BB384_16 Depth=1
	s_or_b32 exec_lo, exec_lo, s25
	s_mov_b32 s25, exec_lo
	v_cmpx_lt_u32_e32 0xffffff, v33
	s_cbranch_execz .LBB384_755
; %bb.748:                              ;   in Loop: Header=BB384_16 Depth=1
	v_cmp_ne_u32_sdwa s5, v33, v87 src0_sel:BYTE_3 src1_sel:DWORD
	v_bfrev_b32_e32 v0, 1
	buffer_store_dword v0, off, s[0:3], s32 offset:504 ; 4-byte Folded Spill
	s_and_saveexec_b32 s26, s5
	s_cbranch_execz .LBB384_754
; %bb.749:                              ;   in Loop: Header=BB384_16 Depth=1
	v_bfe_u32 v1, v33, 24, 7
	v_mov_b32_e32 v0, 0x7f800001
	s_mov_b32 s27, exec_lo
	buffer_store_dword v0, off, s[0:3], s32 offset:504 ; 4-byte Folded Spill
	v_cmpx_ne_u32_e32 0x7f, v1
	s_cbranch_execz .LBB384_753
; %bb.750:                              ;   in Loop: Header=BB384_16 Depth=1
	v_mov_b32_e32 v0, 7
	s_mov_b32 s28, exec_lo
	v_and_b32_sdwa v18, v33, v0 dst_sel:DWORD dst_unused:UNUSED_PAD src0_sel:BYTE_3 src1_sel:DWORD
	v_mov_b32_e32 v36, v19
	v_lshrrev_b32_e32 v0, 3, v1
	v_mov_b32_e32 v35, v18
	v_cmpx_gt_u32_e32 8, v1
; %bb.751:                              ;   in Loop: Header=BB384_16 Depth=1
	v_ffbh_u32_e32 v0, v18
	v_min_u32_e32 v0, 32, v0
	v_subrev_nc_u32_e32 v1, 28, v0
	v_sub_nc_u32_e32 v0, 29, v0
	v_lshlrev_b64 v[1:2], v1, v[18:19]
	v_and_b32_e32 v35, 7, v1
; %bb.752:                              ;   in Loop: Header=BB384_16 Depth=1
	s_or_b32 exec_lo, exec_lo, s28
	v_mov_b32_e32 v1, 24
	v_lshlrev_b32_e32 v2, 20, v35
	v_lshl_add_u32 v0, v0, 23, 0x3c000000
	v_lshlrev_b32_sdwa v1, v1, v33 dst_sel:DWORD dst_unused:UNUSED_PAD src0_sel:DWORD src1_sel:BYTE_3
	v_and_b32_e32 v1, 0x80000000, v1
	v_or3_b32 v0, v2, v1, v0
	buffer_store_dword v0, off, s[0:3], s32 offset:504 ; 4-byte Folded Spill
.LBB384_753:                            ;   in Loop: Header=BB384_16 Depth=1
	s_or_b32 exec_lo, exec_lo, s27
.LBB384_754:                            ;   in Loop: Header=BB384_16 Depth=1
	s_or_b32 exec_lo, exec_lo, s26
.LBB384_755:                            ;   in Loop: Header=BB384_16 Depth=1
	s_or_b32 exec_lo, exec_lo, s25
	v_mov_b32_e32 v0, 0
	v_mov_b32_e32 v18, v34
	v_cmp_ne_u16_sdwa s5, v34, v19 src0_sel:BYTE_0 src1_sel:DWORD
	buffer_store_dword v0, off, s[0:3], s32 offset:512 ; 4-byte Folded Spill
	v_mov_b32_e32 v0, 0
	buffer_store_dword v0, off, s[0:3], s32 offset:508 ; 4-byte Folded Spill
	s_and_saveexec_b32 s25, s5
	s_cbranch_execz .LBB384_763
; %bb.756:                              ;   in Loop: Header=BB384_16 Depth=1
	v_cmp_ne_u16_sdwa s5, v34, v87 src0_sel:BYTE_0 src1_sel:DWORD
	v_bfrev_b32_e32 v0, 1
	buffer_store_dword v0, off, s[0:3], s32 offset:508 ; 4-byte Folded Spill
	s_and_saveexec_b32 s26, s5
	s_cbranch_execz .LBB384_762
; %bb.757:                              ;   in Loop: Header=BB384_16 Depth=1
	v_and_b32_e32 v1, 0x7f, v34
	v_mov_b32_e32 v0, 0x7f800001
	s_mov_b32 s27, exec_lo
	buffer_store_dword v0, off, s[0:3], s32 offset:508 ; 4-byte Folded Spill
	v_cmpx_ne_u32_e32 0x7f, v1
	s_cbranch_execz .LBB384_761
; %bb.758:                              ;   in Loop: Header=BB384_16 Depth=1
	v_mov_b32_e32 v36, v19
	v_lshrrev_b32_e32 v0, 3, v1
	v_mov_b32_e32 v35, v18
	s_mov_b32 s28, exec_lo
	v_cmpx_gt_u32_e32 8, v1
; %bb.759:                              ;   in Loop: Header=BB384_16 Depth=1
	v_and_b32_e32 v0, 7, v34
	v_ffbh_u32_e32 v0, v0
	v_min_u32_e32 v0, 32, v0
	v_subrev_nc_u32_e32 v1, 28, v0
	v_sub_nc_u32_e32 v0, 29, v0
	v_lshlrev_b64 v[35:36], v1, v[18:19]
; %bb.760:                              ;   in Loop: Header=BB384_16 Depth=1
	s_or_b32 exec_lo, exec_lo, s28
	v_lshlrev_b32_e32 v1, 20, v35
	v_lshlrev_b32_e32 v2, 24, v18
	v_lshl_add_u32 v0, v0, 23, 0x3c000000
	v_and_b32_e32 v1, 0x700000, v1
	v_and_b32_e32 v2, 0x80000000, v2
	v_or3_b32 v0, v1, v2, v0
	buffer_store_dword v0, off, s[0:3], s32 offset:508 ; 4-byte Folded Spill
.LBB384_761:                            ;   in Loop: Header=BB384_16 Depth=1
	s_or_b32 exec_lo, exec_lo, s27
.LBB384_762:                            ;   in Loop: Header=BB384_16 Depth=1
	s_or_b32 exec_lo, exec_lo, s26
.LBB384_763:                            ;   in Loop: Header=BB384_16 Depth=1
	s_or_b32 exec_lo, exec_lo, s25
	v_cmp_ne_u16_sdwa s5, v18, v19 src0_sel:BYTE_1 src1_sel:DWORD
	s_and_saveexec_b32 s25, s5
	s_cbranch_execz .LBB384_771
; %bb.764:                              ;   in Loop: Header=BB384_16 Depth=1
	v_cmp_ne_u16_sdwa s5, v18, v87 src0_sel:BYTE_1 src1_sel:DWORD
	v_bfrev_b32_e32 v0, 1
	buffer_store_dword v0, off, s[0:3], s32 offset:512 ; 4-byte Folded Spill
	s_and_saveexec_b32 s26, s5
	s_cbranch_execz .LBB384_770
; %bb.765:                              ;   in Loop: Header=BB384_16 Depth=1
	v_mov_b32_e32 v0, 0xffff
	v_mov_b32_e32 v2, 0x7f800001
	s_mov_b32 s27, exec_lo
	v_and_b32_sdwa v0, v0, v18 dst_sel:DWORD dst_unused:UNUSED_PAD src0_sel:DWORD src1_sel:BYTE_1
	buffer_store_dword v2, off, s[0:3], s32 offset:512 ; 4-byte Folded Spill
	v_and_b32_e32 v1, 0x7f, v0
	v_cmpx_ne_u32_e32 0x7f, v1
	s_cbranch_execz .LBB384_769
; %bb.766:                              ;   in Loop: Header=BB384_16 Depth=1
	v_and_b32_e32 v35, 7, v0
	v_mov_b32_e32 v36, v19
	v_lshrrev_b32_e32 v0, 3, v1
	s_mov_b32 s28, exec_lo
	v_cmpx_gt_u32_e32 8, v1
; %bb.767:                              ;   in Loop: Header=BB384_16 Depth=1
	v_ffbh_u32_e32 v0, v35
	v_min_u32_e32 v0, 32, v0
	v_subrev_nc_u32_e32 v1, 28, v0
	v_sub_nc_u32_e32 v0, 29, v0
	v_lshlrev_b64 v[1:2], v1, v[35:36]
	v_and_b32_e32 v35, 7, v1
; %bb.768:                              ;   in Loop: Header=BB384_16 Depth=1
	s_or_b32 exec_lo, exec_lo, s28
	v_lshlrev_b32_e32 v1, 16, v18
	v_lshlrev_b32_e32 v2, 20, v35
	v_lshl_add_u32 v0, v0, 23, 0x3c000000
	v_and_b32_e32 v1, 0x80000000, v1
	v_or3_b32 v0, v2, v1, v0
	buffer_store_dword v0, off, s[0:3], s32 offset:512 ; 4-byte Folded Spill
.LBB384_769:                            ;   in Loop: Header=BB384_16 Depth=1
	s_or_b32 exec_lo, exec_lo, s27
.LBB384_770:                            ;   in Loop: Header=BB384_16 Depth=1
	s_or_b32 exec_lo, exec_lo, s26
.LBB384_771:                            ;   in Loop: Header=BB384_16 Depth=1
	s_or_b32 exec_lo, exec_lo, s25
	v_mov_b32_e32 v0, 0xff
	v_mov_b32_e32 v1, 0
	s_mov_b32 s25, exec_lo
	v_and_b32_sdwa v0, v34, v0 dst_sel:DWORD dst_unused:UNUSED_PAD src0_sel:WORD_1 src1_sel:DWORD
	buffer_store_dword v1, off, s[0:3], s32 offset:516 ; 4-byte Folded Spill
	v_mov_b32_e32 v1, 0
	buffer_store_dword v1, off, s[0:3], s32 offset:756 ; 4-byte Folded Spill
	v_cmpx_ne_u16_e32 0, v0
	s_cbranch_execz .LBB384_779
; %bb.772:                              ;   in Loop: Header=BB384_16 Depth=1
	v_cmp_ne_u16_e64 s5, 0x80, v0
	v_bfrev_b32_e32 v0, 1
	s_and_saveexec_b32 s26, s5
	s_cbranch_execz .LBB384_778
; %bb.773:                              ;   in Loop: Header=BB384_16 Depth=1
	v_bfe_u32 v1, v34, 16, 7
	v_mov_b32_e32 v0, 0x7f800001
	s_mov_b32 s27, exec_lo
	v_cmpx_ne_u32_e32 0x7f, v1
	s_cbranch_execz .LBB384_777
; %bb.774:                              ;   in Loop: Header=BB384_16 Depth=1
	v_mov_b32_e32 v0, 7
	s_mov_b32 s28, exec_lo
	v_and_b32_sdwa v18, v34, v0 dst_sel:DWORD dst_unused:UNUSED_PAD src0_sel:WORD_1 src1_sel:DWORD
	v_mov_b32_e32 v36, v19
	v_lshrrev_b32_e32 v0, 3, v1
	v_mov_b32_e32 v35, v18
	v_cmpx_gt_u32_e32 8, v1
; %bb.775:                              ;   in Loop: Header=BB384_16 Depth=1
	v_ffbh_u32_e32 v0, v18
	v_min_u32_e32 v0, 32, v0
	v_subrev_nc_u32_e32 v1, 28, v0
	v_sub_nc_u32_e32 v0, 29, v0
	v_lshlrev_b64 v[1:2], v1, v[18:19]
	v_and_b32_e32 v35, 7, v1
; %bb.776:                              ;   in Loop: Header=BB384_16 Depth=1
	s_or_b32 exec_lo, exec_lo, s28
	v_mov_b32_e32 v1, 24
	v_lshlrev_b32_e32 v2, 20, v35
	v_lshl_add_u32 v0, v0, 23, 0x3c000000
	v_lshlrev_b32_sdwa v1, v1, v34 dst_sel:DWORD dst_unused:UNUSED_PAD src0_sel:DWORD src1_sel:WORD_1
	v_and_b32_e32 v1, 0x80000000, v1
	v_or3_b32 v0, v2, v1, v0
.LBB384_777:                            ;   in Loop: Header=BB384_16 Depth=1
	s_or_b32 exec_lo, exec_lo, s27
.LBB384_778:                            ;   in Loop: Header=BB384_16 Depth=1
	s_or_b32 exec_lo, exec_lo, s26
	buffer_store_dword v0, off, s[0:3], s32 offset:756 ; 4-byte Folded Spill
.LBB384_779:                            ;   in Loop: Header=BB384_16 Depth=1
	s_or_b32 exec_lo, exec_lo, s25
	s_mov_b32 s25, exec_lo
	v_cmpx_lt_u64_e64 s[20:21], v[33:34]
	s_cbranch_execz .LBB384_787
; %bb.780:                              ;   in Loop: Header=BB384_16 Depth=1
	v_cmp_ne_u32_sdwa s5, v34, v87 src0_sel:BYTE_3 src1_sel:DWORD
	v_bfrev_b32_e32 v0, 1
	buffer_store_dword v0, off, s[0:3], s32 offset:516 ; 4-byte Folded Spill
	s_and_saveexec_b32 s26, s5
	s_cbranch_execz .LBB384_786
; %bb.781:                              ;   in Loop: Header=BB384_16 Depth=1
	v_bfe_u32 v1, v34, 24, 7
	v_mov_b32_e32 v0, 0x7f800001
	s_mov_b32 s27, exec_lo
	buffer_store_dword v0, off, s[0:3], s32 offset:516 ; 4-byte Folded Spill
	v_cmpx_ne_u32_e32 0x7f, v1
	s_cbranch_execz .LBB384_785
; %bb.782:                              ;   in Loop: Header=BB384_16 Depth=1
	v_mov_b32_e32 v0, 7
	s_mov_b32 s28, exec_lo
	v_and_b32_sdwa v18, v34, v0 dst_sel:DWORD dst_unused:UNUSED_PAD src0_sel:BYTE_3 src1_sel:DWORD
	v_mov_b32_e32 v36, v19
	v_lshrrev_b32_e32 v0, 3, v1
	v_mov_b32_e32 v35, v18
	v_cmpx_gt_u32_e32 8, v1
; %bb.783:                              ;   in Loop: Header=BB384_16 Depth=1
	v_ffbh_u32_e32 v0, v18
	v_min_u32_e32 v0, 32, v0
	v_subrev_nc_u32_e32 v1, 28, v0
	v_sub_nc_u32_e32 v0, 29, v0
	v_lshlrev_b64 v[1:2], v1, v[18:19]
	v_and_b32_e32 v35, 7, v1
; %bb.784:                              ;   in Loop: Header=BB384_16 Depth=1
	s_or_b32 exec_lo, exec_lo, s28
	v_mov_b32_e32 v1, 24
	v_lshlrev_b32_e32 v2, 20, v35
	v_lshl_add_u32 v0, v0, 23, 0x3c000000
	v_lshlrev_b32_sdwa v1, v1, v34 dst_sel:DWORD dst_unused:UNUSED_PAD src0_sel:DWORD src1_sel:BYTE_3
	v_and_b32_e32 v1, 0x80000000, v1
	v_or3_b32 v0, v2, v1, v0
	buffer_store_dword v0, off, s[0:3], s32 offset:516 ; 4-byte Folded Spill
.LBB384_785:                            ;   in Loop: Header=BB384_16 Depth=1
	s_or_b32 exec_lo, exec_lo, s27
.LBB384_786:                            ;   in Loop: Header=BB384_16 Depth=1
	s_or_b32 exec_lo, exec_lo, s26
.LBB384_787:                            ;   in Loop: Header=BB384_16 Depth=1
	s_or_b32 exec_lo, exec_lo, s25
	flat_load_dwordx2 v[33:34], v[31:32] offset:1024
	v_mov_b32_e32 v0, 0
	buffer_store_dword v0, off, s[0:3], s32 offset:524 ; 4-byte Folded Spill
	v_mov_b32_e32 v0, 0
	buffer_store_dword v0, off, s[0:3], s32 offset:520 ; 4-byte Folded Spill
	s_waitcnt vmcnt(0) lgkmcnt(0)
	v_cmp_ne_u16_sdwa s5, v33, v19 src0_sel:BYTE_0 src1_sel:DWORD
	s_and_saveexec_b32 s25, s5
	s_cbranch_execz .LBB384_795
; %bb.788:                              ;   in Loop: Header=BB384_16 Depth=1
	v_cmp_ne_u16_sdwa s5, v33, v87 src0_sel:BYTE_0 src1_sel:DWORD
	v_bfrev_b32_e32 v0, 1
	buffer_store_dword v0, off, s[0:3], s32 offset:520 ; 4-byte Folded Spill
	s_and_saveexec_b32 s26, s5
	s_cbranch_execz .LBB384_794
; %bb.789:                              ;   in Loop: Header=BB384_16 Depth=1
	v_and_b32_e32 v1, 0x7f, v33
	v_mov_b32_e32 v0, 0x7f800001
	s_mov_b32 s27, exec_lo
	buffer_store_dword v0, off, s[0:3], s32 offset:520 ; 4-byte Folded Spill
	v_cmpx_ne_u32_e32 0x7f, v1
	s_cbranch_execz .LBB384_793
; %bb.790:                              ;   in Loop: Header=BB384_16 Depth=1
	v_mov_b32_e32 v36, v34
	v_lshrrev_b32_e32 v0, 3, v1
	v_mov_b32_e32 v35, v33
	s_mov_b32 s28, exec_lo
	v_cmpx_gt_u32_e32 8, v1
; %bb.791:                              ;   in Loop: Header=BB384_16 Depth=1
	v_and_b32_e32 v0, 7, v33
	v_ffbh_u32_e32 v0, v0
	v_min_u32_e32 v0, 32, v0
	v_subrev_nc_u32_e32 v1, 28, v0
	v_sub_nc_u32_e32 v0, 29, v0
	v_lshlrev_b64 v[35:36], v1, v[33:34]
; %bb.792:                              ;   in Loop: Header=BB384_16 Depth=1
	s_or_b32 exec_lo, exec_lo, s28
	v_lshlrev_b32_e32 v1, 20, v35
	v_lshlrev_b32_e32 v2, 24, v33
	v_lshl_add_u32 v0, v0, 23, 0x3c000000
	v_and_b32_e32 v1, 0x700000, v1
	v_and_b32_e32 v2, 0x80000000, v2
	v_or3_b32 v0, v1, v2, v0
	buffer_store_dword v0, off, s[0:3], s32 offset:520 ; 4-byte Folded Spill
.LBB384_793:                            ;   in Loop: Header=BB384_16 Depth=1
	s_or_b32 exec_lo, exec_lo, s27
.LBB384_794:                            ;   in Loop: Header=BB384_16 Depth=1
	s_or_b32 exec_lo, exec_lo, s26
.LBB384_795:                            ;   in Loop: Header=BB384_16 Depth=1
	s_or_b32 exec_lo, exec_lo, s25
	v_cmp_ne_u16_sdwa s5, v33, v19 src0_sel:BYTE_1 src1_sel:DWORD
	s_and_saveexec_b32 s25, s5
	s_cbranch_execz .LBB384_803
; %bb.796:                              ;   in Loop: Header=BB384_16 Depth=1
	v_cmp_ne_u16_sdwa s5, v33, v87 src0_sel:BYTE_1 src1_sel:DWORD
	v_bfrev_b32_e32 v0, 1
	buffer_store_dword v0, off, s[0:3], s32 offset:524 ; 4-byte Folded Spill
	s_and_saveexec_b32 s26, s5
	s_cbranch_execz .LBB384_802
; %bb.797:                              ;   in Loop: Header=BB384_16 Depth=1
	v_mov_b32_e32 v0, 0xffff
	v_mov_b32_e32 v2, 0x7f800001
	s_mov_b32 s27, exec_lo
	v_and_b32_sdwa v0, v0, v33 dst_sel:DWORD dst_unused:UNUSED_PAD src0_sel:DWORD src1_sel:BYTE_1
	buffer_store_dword v2, off, s[0:3], s32 offset:524 ; 4-byte Folded Spill
	v_and_b32_e32 v1, 0x7f, v0
	v_cmpx_ne_u32_e32 0x7f, v1
	s_cbranch_execz .LBB384_801
; %bb.798:                              ;   in Loop: Header=BB384_16 Depth=1
	v_and_b32_e32 v18, 7, v0
	v_mov_b32_e32 v36, v19
	v_lshrrev_b32_e32 v0, 3, v1
	s_mov_b32 s28, exec_lo
	v_mov_b32_e32 v35, v18
	v_cmpx_gt_u32_e32 8, v1
; %bb.799:                              ;   in Loop: Header=BB384_16 Depth=1
	v_ffbh_u32_e32 v0, v18
	v_min_u32_e32 v0, 32, v0
	v_subrev_nc_u32_e32 v1, 28, v0
	v_sub_nc_u32_e32 v0, 29, v0
	v_lshlrev_b64 v[1:2], v1, v[18:19]
	v_and_b32_e32 v35, 7, v1
; %bb.800:                              ;   in Loop: Header=BB384_16 Depth=1
	s_or_b32 exec_lo, exec_lo, s28
	v_lshlrev_b32_e32 v1, 16, v33
	v_lshlrev_b32_e32 v2, 20, v35
	v_lshl_add_u32 v0, v0, 23, 0x3c000000
	v_and_b32_e32 v1, 0x80000000, v1
	v_or3_b32 v0, v2, v1, v0
	buffer_store_dword v0, off, s[0:3], s32 offset:524 ; 4-byte Folded Spill
.LBB384_801:                            ;   in Loop: Header=BB384_16 Depth=1
	s_or_b32 exec_lo, exec_lo, s27
.LBB384_802:                            ;   in Loop: Header=BB384_16 Depth=1
	s_or_b32 exec_lo, exec_lo, s26
.LBB384_803:                            ;   in Loop: Header=BB384_16 Depth=1
	s_or_b32 exec_lo, exec_lo, s25
	v_mov_b32_e32 v0, 0xff
	v_mov_b32_e32 v1, 0
	s_mov_b32 s25, exec_lo
	v_and_b32_sdwa v0, v33, v0 dst_sel:DWORD dst_unused:UNUSED_PAD src0_sel:WORD_1 src1_sel:DWORD
	buffer_store_dword v1, off, s[0:3], s32 offset:528 ; 4-byte Folded Spill
	v_mov_b32_e32 v1, 0
	buffer_store_dword v1, off, s[0:3], s32 offset:760 ; 4-byte Folded Spill
	v_cmpx_ne_u16_e32 0, v0
	s_cbranch_execz .LBB384_811
; %bb.804:                              ;   in Loop: Header=BB384_16 Depth=1
	v_cmp_ne_u16_e64 s5, 0x80, v0
	v_bfrev_b32_e32 v0, 1
	s_and_saveexec_b32 s26, s5
	s_cbranch_execz .LBB384_810
; %bb.805:                              ;   in Loop: Header=BB384_16 Depth=1
	v_bfe_u32 v1, v33, 16, 7
	v_mov_b32_e32 v0, 0x7f800001
	s_mov_b32 s27, exec_lo
	v_cmpx_ne_u32_e32 0x7f, v1
	s_cbranch_execz .LBB384_809
; %bb.806:                              ;   in Loop: Header=BB384_16 Depth=1
	v_mov_b32_e32 v0, 7
	s_mov_b32 s28, exec_lo
	v_and_b32_sdwa v18, v33, v0 dst_sel:DWORD dst_unused:UNUSED_PAD src0_sel:WORD_1 src1_sel:DWORD
	v_mov_b32_e32 v36, v19
	v_lshrrev_b32_e32 v0, 3, v1
	v_mov_b32_e32 v35, v18
	v_cmpx_gt_u32_e32 8, v1
; %bb.807:                              ;   in Loop: Header=BB384_16 Depth=1
	v_ffbh_u32_e32 v0, v18
	v_min_u32_e32 v0, 32, v0
	v_subrev_nc_u32_e32 v1, 28, v0
	v_sub_nc_u32_e32 v0, 29, v0
	v_lshlrev_b64 v[1:2], v1, v[18:19]
	v_and_b32_e32 v35, 7, v1
; %bb.808:                              ;   in Loop: Header=BB384_16 Depth=1
	s_or_b32 exec_lo, exec_lo, s28
	v_mov_b32_e32 v1, 24
	v_lshlrev_b32_e32 v2, 20, v35
	v_lshl_add_u32 v0, v0, 23, 0x3c000000
	v_lshlrev_b32_sdwa v1, v1, v33 dst_sel:DWORD dst_unused:UNUSED_PAD src0_sel:DWORD src1_sel:WORD_1
	v_and_b32_e32 v1, 0x80000000, v1
	v_or3_b32 v0, v2, v1, v0
.LBB384_809:                            ;   in Loop: Header=BB384_16 Depth=1
	s_or_b32 exec_lo, exec_lo, s27
.LBB384_810:                            ;   in Loop: Header=BB384_16 Depth=1
	s_or_b32 exec_lo, exec_lo, s26
	buffer_store_dword v0, off, s[0:3], s32 offset:760 ; 4-byte Folded Spill
.LBB384_811:                            ;   in Loop: Header=BB384_16 Depth=1
	s_or_b32 exec_lo, exec_lo, s25
	s_mov_b32 s25, exec_lo
	v_cmpx_lt_u32_e32 0xffffff, v33
	s_cbranch_execz .LBB384_819
; %bb.812:                              ;   in Loop: Header=BB384_16 Depth=1
	v_cmp_ne_u32_sdwa s5, v33, v87 src0_sel:BYTE_3 src1_sel:DWORD
	v_bfrev_b32_e32 v0, 1
	buffer_store_dword v0, off, s[0:3], s32 offset:528 ; 4-byte Folded Spill
	s_and_saveexec_b32 s26, s5
	s_cbranch_execz .LBB384_818
; %bb.813:                              ;   in Loop: Header=BB384_16 Depth=1
	v_bfe_u32 v1, v33, 24, 7
	v_mov_b32_e32 v0, 0x7f800001
	s_mov_b32 s27, exec_lo
	buffer_store_dword v0, off, s[0:3], s32 offset:528 ; 4-byte Folded Spill
	v_cmpx_ne_u32_e32 0x7f, v1
	s_cbranch_execz .LBB384_817
; %bb.814:                              ;   in Loop: Header=BB384_16 Depth=1
	v_mov_b32_e32 v0, 7
	s_mov_b32 s28, exec_lo
	v_and_b32_sdwa v18, v33, v0 dst_sel:DWORD dst_unused:UNUSED_PAD src0_sel:BYTE_3 src1_sel:DWORD
	v_mov_b32_e32 v36, v19
	v_lshrrev_b32_e32 v0, 3, v1
	v_mov_b32_e32 v35, v18
	v_cmpx_gt_u32_e32 8, v1
; %bb.815:                              ;   in Loop: Header=BB384_16 Depth=1
	v_ffbh_u32_e32 v0, v18
	v_min_u32_e32 v0, 32, v0
	v_subrev_nc_u32_e32 v1, 28, v0
	v_sub_nc_u32_e32 v0, 29, v0
	v_lshlrev_b64 v[1:2], v1, v[18:19]
	v_and_b32_e32 v35, 7, v1
; %bb.816:                              ;   in Loop: Header=BB384_16 Depth=1
	s_or_b32 exec_lo, exec_lo, s28
	v_mov_b32_e32 v1, 24
	v_lshlrev_b32_e32 v2, 20, v35
	v_lshl_add_u32 v0, v0, 23, 0x3c000000
	v_lshlrev_b32_sdwa v1, v1, v33 dst_sel:DWORD dst_unused:UNUSED_PAD src0_sel:DWORD src1_sel:BYTE_3
	v_and_b32_e32 v1, 0x80000000, v1
	v_or3_b32 v0, v2, v1, v0
	buffer_store_dword v0, off, s[0:3], s32 offset:528 ; 4-byte Folded Spill
.LBB384_817:                            ;   in Loop: Header=BB384_16 Depth=1
	s_or_b32 exec_lo, exec_lo, s27
.LBB384_818:                            ;   in Loop: Header=BB384_16 Depth=1
	s_or_b32 exec_lo, exec_lo, s26
.LBB384_819:                            ;   in Loop: Header=BB384_16 Depth=1
	s_or_b32 exec_lo, exec_lo, s25
	v_mov_b32_e32 v0, 0
	v_mov_b32_e32 v18, v34
	v_cmp_ne_u16_sdwa s5, v34, v19 src0_sel:BYTE_0 src1_sel:DWORD
	buffer_store_dword v0, off, s[0:3], s32 offset:536 ; 4-byte Folded Spill
	v_mov_b32_e32 v0, 0
	buffer_store_dword v0, off, s[0:3], s32 offset:532 ; 4-byte Folded Spill
	s_and_saveexec_b32 s25, s5
	s_cbranch_execz .LBB384_827
; %bb.820:                              ;   in Loop: Header=BB384_16 Depth=1
	v_cmp_ne_u16_sdwa s5, v34, v87 src0_sel:BYTE_0 src1_sel:DWORD
	v_bfrev_b32_e32 v0, 1
	buffer_store_dword v0, off, s[0:3], s32 offset:532 ; 4-byte Folded Spill
	s_and_saveexec_b32 s26, s5
	s_cbranch_execz .LBB384_826
; %bb.821:                              ;   in Loop: Header=BB384_16 Depth=1
	v_and_b32_e32 v1, 0x7f, v34
	v_mov_b32_e32 v0, 0x7f800001
	s_mov_b32 s27, exec_lo
	buffer_store_dword v0, off, s[0:3], s32 offset:532 ; 4-byte Folded Spill
	v_cmpx_ne_u32_e32 0x7f, v1
	s_cbranch_execz .LBB384_825
; %bb.822:                              ;   in Loop: Header=BB384_16 Depth=1
	v_mov_b32_e32 v36, v19
	v_lshrrev_b32_e32 v0, 3, v1
	v_mov_b32_e32 v35, v18
	s_mov_b32 s28, exec_lo
	v_cmpx_gt_u32_e32 8, v1
; %bb.823:                              ;   in Loop: Header=BB384_16 Depth=1
	v_and_b32_e32 v0, 7, v34
	v_ffbh_u32_e32 v0, v0
	v_min_u32_e32 v0, 32, v0
	v_subrev_nc_u32_e32 v1, 28, v0
	v_sub_nc_u32_e32 v0, 29, v0
	v_lshlrev_b64 v[35:36], v1, v[18:19]
; %bb.824:                              ;   in Loop: Header=BB384_16 Depth=1
	s_or_b32 exec_lo, exec_lo, s28
	v_lshlrev_b32_e32 v1, 20, v35
	v_lshlrev_b32_e32 v2, 24, v18
	v_lshl_add_u32 v0, v0, 23, 0x3c000000
	v_and_b32_e32 v1, 0x700000, v1
	v_and_b32_e32 v2, 0x80000000, v2
	v_or3_b32 v0, v1, v2, v0
	buffer_store_dword v0, off, s[0:3], s32 offset:532 ; 4-byte Folded Spill
.LBB384_825:                            ;   in Loop: Header=BB384_16 Depth=1
	s_or_b32 exec_lo, exec_lo, s27
.LBB384_826:                            ;   in Loop: Header=BB384_16 Depth=1
	s_or_b32 exec_lo, exec_lo, s26
.LBB384_827:                            ;   in Loop: Header=BB384_16 Depth=1
	s_or_b32 exec_lo, exec_lo, s25
	v_cmp_ne_u16_sdwa s5, v18, v19 src0_sel:BYTE_1 src1_sel:DWORD
	s_and_saveexec_b32 s25, s5
	s_cbranch_execz .LBB384_835
; %bb.828:                              ;   in Loop: Header=BB384_16 Depth=1
	v_cmp_ne_u16_sdwa s5, v18, v87 src0_sel:BYTE_1 src1_sel:DWORD
	v_bfrev_b32_e32 v0, 1
	buffer_store_dword v0, off, s[0:3], s32 offset:536 ; 4-byte Folded Spill
	s_and_saveexec_b32 s26, s5
	s_cbranch_execz .LBB384_834
; %bb.829:                              ;   in Loop: Header=BB384_16 Depth=1
	v_mov_b32_e32 v0, 0xffff
	v_mov_b32_e32 v2, 0x7f800001
	s_mov_b32 s27, exec_lo
	v_and_b32_sdwa v0, v0, v18 dst_sel:DWORD dst_unused:UNUSED_PAD src0_sel:DWORD src1_sel:BYTE_1
	buffer_store_dword v2, off, s[0:3], s32 offset:536 ; 4-byte Folded Spill
	v_and_b32_e32 v1, 0x7f, v0
	v_cmpx_ne_u32_e32 0x7f, v1
	s_cbranch_execz .LBB384_833
; %bb.830:                              ;   in Loop: Header=BB384_16 Depth=1
	v_and_b32_e32 v35, 7, v0
	v_mov_b32_e32 v36, v19
	v_lshrrev_b32_e32 v0, 3, v1
	s_mov_b32 s28, exec_lo
	v_cmpx_gt_u32_e32 8, v1
; %bb.831:                              ;   in Loop: Header=BB384_16 Depth=1
	v_ffbh_u32_e32 v0, v35
	v_min_u32_e32 v0, 32, v0
	v_subrev_nc_u32_e32 v1, 28, v0
	v_sub_nc_u32_e32 v0, 29, v0
	v_lshlrev_b64 v[1:2], v1, v[35:36]
	v_and_b32_e32 v35, 7, v1
; %bb.832:                              ;   in Loop: Header=BB384_16 Depth=1
	s_or_b32 exec_lo, exec_lo, s28
	v_lshlrev_b32_e32 v1, 16, v18
	v_lshlrev_b32_e32 v2, 20, v35
	v_lshl_add_u32 v0, v0, 23, 0x3c000000
	v_and_b32_e32 v1, 0x80000000, v1
	v_or3_b32 v0, v2, v1, v0
	buffer_store_dword v0, off, s[0:3], s32 offset:536 ; 4-byte Folded Spill
.LBB384_833:                            ;   in Loop: Header=BB384_16 Depth=1
	s_or_b32 exec_lo, exec_lo, s27
.LBB384_834:                            ;   in Loop: Header=BB384_16 Depth=1
	s_or_b32 exec_lo, exec_lo, s26
.LBB384_835:                            ;   in Loop: Header=BB384_16 Depth=1
	s_or_b32 exec_lo, exec_lo, s25
	v_mov_b32_e32 v0, 0xff
	v_mov_b32_e32 v1, 0
	s_mov_b32 s25, exec_lo
	v_and_b32_sdwa v0, v34, v0 dst_sel:DWORD dst_unused:UNUSED_PAD src0_sel:WORD_1 src1_sel:DWORD
	buffer_store_dword v1, off, s[0:3], s32 offset:540 ; 4-byte Folded Spill
	v_mov_b32_e32 v1, 0
	buffer_store_dword v1, off, s[0:3], s32 offset:764 ; 4-byte Folded Spill
	v_cmpx_ne_u16_e32 0, v0
	s_cbranch_execz .LBB384_843
; %bb.836:                              ;   in Loop: Header=BB384_16 Depth=1
	v_cmp_ne_u16_e64 s5, 0x80, v0
	v_bfrev_b32_e32 v0, 1
	s_and_saveexec_b32 s26, s5
	s_cbranch_execz .LBB384_842
; %bb.837:                              ;   in Loop: Header=BB384_16 Depth=1
	v_bfe_u32 v1, v34, 16, 7
	v_mov_b32_e32 v0, 0x7f800001
	s_mov_b32 s27, exec_lo
	v_cmpx_ne_u32_e32 0x7f, v1
	s_cbranch_execz .LBB384_841
; %bb.838:                              ;   in Loop: Header=BB384_16 Depth=1
	v_mov_b32_e32 v0, 7
	s_mov_b32 s28, exec_lo
	v_and_b32_sdwa v18, v34, v0 dst_sel:DWORD dst_unused:UNUSED_PAD src0_sel:WORD_1 src1_sel:DWORD
	v_mov_b32_e32 v36, v19
	v_lshrrev_b32_e32 v0, 3, v1
	v_mov_b32_e32 v35, v18
	v_cmpx_gt_u32_e32 8, v1
; %bb.839:                              ;   in Loop: Header=BB384_16 Depth=1
	v_ffbh_u32_e32 v0, v18
	v_min_u32_e32 v0, 32, v0
	v_subrev_nc_u32_e32 v1, 28, v0
	v_sub_nc_u32_e32 v0, 29, v0
	v_lshlrev_b64 v[1:2], v1, v[18:19]
	v_and_b32_e32 v35, 7, v1
; %bb.840:                              ;   in Loop: Header=BB384_16 Depth=1
	s_or_b32 exec_lo, exec_lo, s28
	v_mov_b32_e32 v1, 24
	v_lshlrev_b32_e32 v2, 20, v35
	v_lshl_add_u32 v0, v0, 23, 0x3c000000
	v_lshlrev_b32_sdwa v1, v1, v34 dst_sel:DWORD dst_unused:UNUSED_PAD src0_sel:DWORD src1_sel:WORD_1
	v_and_b32_e32 v1, 0x80000000, v1
	v_or3_b32 v0, v2, v1, v0
.LBB384_841:                            ;   in Loop: Header=BB384_16 Depth=1
	s_or_b32 exec_lo, exec_lo, s27
.LBB384_842:                            ;   in Loop: Header=BB384_16 Depth=1
	s_or_b32 exec_lo, exec_lo, s26
	buffer_store_dword v0, off, s[0:3], s32 offset:764 ; 4-byte Folded Spill
.LBB384_843:                            ;   in Loop: Header=BB384_16 Depth=1
	s_or_b32 exec_lo, exec_lo, s25
	s_mov_b32 s25, exec_lo
	v_cmpx_lt_u64_e64 s[20:21], v[33:34]
	s_cbranch_execz .LBB384_851
; %bb.844:                              ;   in Loop: Header=BB384_16 Depth=1
	v_cmp_ne_u32_sdwa s5, v34, v87 src0_sel:BYTE_3 src1_sel:DWORD
	v_bfrev_b32_e32 v0, 1
	buffer_store_dword v0, off, s[0:3], s32 offset:540 ; 4-byte Folded Spill
	s_and_saveexec_b32 s26, s5
	s_cbranch_execz .LBB384_850
; %bb.845:                              ;   in Loop: Header=BB384_16 Depth=1
	v_bfe_u32 v1, v34, 24, 7
	v_mov_b32_e32 v0, 0x7f800001
	s_mov_b32 s27, exec_lo
	buffer_store_dword v0, off, s[0:3], s32 offset:540 ; 4-byte Folded Spill
	v_cmpx_ne_u32_e32 0x7f, v1
	s_cbranch_execz .LBB384_849
; %bb.846:                              ;   in Loop: Header=BB384_16 Depth=1
	v_mov_b32_e32 v0, 7
	s_mov_b32 s28, exec_lo
	v_and_b32_sdwa v18, v34, v0 dst_sel:DWORD dst_unused:UNUSED_PAD src0_sel:BYTE_3 src1_sel:DWORD
	v_mov_b32_e32 v36, v19
	v_lshrrev_b32_e32 v0, 3, v1
	v_mov_b32_e32 v35, v18
	v_cmpx_gt_u32_e32 8, v1
; %bb.847:                              ;   in Loop: Header=BB384_16 Depth=1
	v_ffbh_u32_e32 v0, v18
	v_min_u32_e32 v0, 32, v0
	v_subrev_nc_u32_e32 v1, 28, v0
	v_sub_nc_u32_e32 v0, 29, v0
	v_lshlrev_b64 v[1:2], v1, v[18:19]
	v_and_b32_e32 v35, 7, v1
; %bb.848:                              ;   in Loop: Header=BB384_16 Depth=1
	s_or_b32 exec_lo, exec_lo, s28
	v_mov_b32_e32 v1, 24
	v_lshlrev_b32_e32 v2, 20, v35
	v_lshl_add_u32 v0, v0, 23, 0x3c000000
	v_lshlrev_b32_sdwa v1, v1, v34 dst_sel:DWORD dst_unused:UNUSED_PAD src0_sel:DWORD src1_sel:BYTE_3
	v_and_b32_e32 v1, 0x80000000, v1
	v_or3_b32 v0, v2, v1, v0
	buffer_store_dword v0, off, s[0:3], s32 offset:540 ; 4-byte Folded Spill
.LBB384_849:                            ;   in Loop: Header=BB384_16 Depth=1
	s_or_b32 exec_lo, exec_lo, s27
.LBB384_850:                            ;   in Loop: Header=BB384_16 Depth=1
	s_or_b32 exec_lo, exec_lo, s26
.LBB384_851:                            ;   in Loop: Header=BB384_16 Depth=1
	s_or_b32 exec_lo, exec_lo, s25
	flat_load_dwordx2 v[33:34], v[31:32] offset:1032
	v_mov_b32_e32 v0, 0
	buffer_store_dword v0, off, s[0:3], s32 offset:548 ; 4-byte Folded Spill
	v_mov_b32_e32 v0, 0
	buffer_store_dword v0, off, s[0:3], s32 offset:544 ; 4-byte Folded Spill
	s_waitcnt vmcnt(0) lgkmcnt(0)
	v_cmp_ne_u16_sdwa s5, v33, v19 src0_sel:BYTE_0 src1_sel:DWORD
	s_and_saveexec_b32 s25, s5
	s_cbranch_execz .LBB384_859
; %bb.852:                              ;   in Loop: Header=BB384_16 Depth=1
	v_cmp_ne_u16_sdwa s5, v33, v87 src0_sel:BYTE_0 src1_sel:DWORD
	v_bfrev_b32_e32 v0, 1
	buffer_store_dword v0, off, s[0:3], s32 offset:544 ; 4-byte Folded Spill
	s_and_saveexec_b32 s26, s5
	s_cbranch_execz .LBB384_858
; %bb.853:                              ;   in Loop: Header=BB384_16 Depth=1
	v_and_b32_e32 v1, 0x7f, v33
	v_mov_b32_e32 v0, 0x7f800001
	s_mov_b32 s27, exec_lo
	buffer_store_dword v0, off, s[0:3], s32 offset:544 ; 4-byte Folded Spill
	v_cmpx_ne_u32_e32 0x7f, v1
	s_cbranch_execz .LBB384_857
; %bb.854:                              ;   in Loop: Header=BB384_16 Depth=1
	v_mov_b32_e32 v36, v34
	v_lshrrev_b32_e32 v0, 3, v1
	v_mov_b32_e32 v35, v33
	s_mov_b32 s28, exec_lo
	v_cmpx_gt_u32_e32 8, v1
; %bb.855:                              ;   in Loop: Header=BB384_16 Depth=1
	v_and_b32_e32 v0, 7, v33
	v_ffbh_u32_e32 v0, v0
	v_min_u32_e32 v0, 32, v0
	v_subrev_nc_u32_e32 v1, 28, v0
	v_sub_nc_u32_e32 v0, 29, v0
	v_lshlrev_b64 v[35:36], v1, v[33:34]
; %bb.856:                              ;   in Loop: Header=BB384_16 Depth=1
	s_or_b32 exec_lo, exec_lo, s28
	v_lshlrev_b32_e32 v1, 20, v35
	v_lshlrev_b32_e32 v2, 24, v33
	v_lshl_add_u32 v0, v0, 23, 0x3c000000
	v_and_b32_e32 v1, 0x700000, v1
	v_and_b32_e32 v2, 0x80000000, v2
	v_or3_b32 v0, v1, v2, v0
	buffer_store_dword v0, off, s[0:3], s32 offset:544 ; 4-byte Folded Spill
.LBB384_857:                            ;   in Loop: Header=BB384_16 Depth=1
	s_or_b32 exec_lo, exec_lo, s27
.LBB384_858:                            ;   in Loop: Header=BB384_16 Depth=1
	s_or_b32 exec_lo, exec_lo, s26
.LBB384_859:                            ;   in Loop: Header=BB384_16 Depth=1
	s_or_b32 exec_lo, exec_lo, s25
	v_cmp_ne_u16_sdwa s5, v33, v19 src0_sel:BYTE_1 src1_sel:DWORD
	s_and_saveexec_b32 s25, s5
	s_cbranch_execz .LBB384_867
; %bb.860:                              ;   in Loop: Header=BB384_16 Depth=1
	v_cmp_ne_u16_sdwa s5, v33, v87 src0_sel:BYTE_1 src1_sel:DWORD
	v_bfrev_b32_e32 v0, 1
	buffer_store_dword v0, off, s[0:3], s32 offset:548 ; 4-byte Folded Spill
	s_and_saveexec_b32 s26, s5
	s_cbranch_execz .LBB384_866
; %bb.861:                              ;   in Loop: Header=BB384_16 Depth=1
	v_mov_b32_e32 v0, 0xffff
	v_mov_b32_e32 v2, 0x7f800001
	s_mov_b32 s27, exec_lo
	v_and_b32_sdwa v0, v0, v33 dst_sel:DWORD dst_unused:UNUSED_PAD src0_sel:DWORD src1_sel:BYTE_1
	buffer_store_dword v2, off, s[0:3], s32 offset:548 ; 4-byte Folded Spill
	v_and_b32_e32 v1, 0x7f, v0
	v_cmpx_ne_u32_e32 0x7f, v1
	s_cbranch_execz .LBB384_865
; %bb.862:                              ;   in Loop: Header=BB384_16 Depth=1
	v_and_b32_e32 v18, 7, v0
	v_mov_b32_e32 v36, v19
	v_lshrrev_b32_e32 v0, 3, v1
	s_mov_b32 s28, exec_lo
	v_mov_b32_e32 v35, v18
	v_cmpx_gt_u32_e32 8, v1
; %bb.863:                              ;   in Loop: Header=BB384_16 Depth=1
	v_ffbh_u32_e32 v0, v18
	v_min_u32_e32 v0, 32, v0
	v_subrev_nc_u32_e32 v1, 28, v0
	v_sub_nc_u32_e32 v0, 29, v0
	v_lshlrev_b64 v[1:2], v1, v[18:19]
	v_and_b32_e32 v35, 7, v1
; %bb.864:                              ;   in Loop: Header=BB384_16 Depth=1
	s_or_b32 exec_lo, exec_lo, s28
	v_lshlrev_b32_e32 v1, 16, v33
	v_lshlrev_b32_e32 v2, 20, v35
	v_lshl_add_u32 v0, v0, 23, 0x3c000000
	v_and_b32_e32 v1, 0x80000000, v1
	v_or3_b32 v0, v2, v1, v0
	buffer_store_dword v0, off, s[0:3], s32 offset:548 ; 4-byte Folded Spill
.LBB384_865:                            ;   in Loop: Header=BB384_16 Depth=1
	s_or_b32 exec_lo, exec_lo, s27
.LBB384_866:                            ;   in Loop: Header=BB384_16 Depth=1
	s_or_b32 exec_lo, exec_lo, s26
.LBB384_867:                            ;   in Loop: Header=BB384_16 Depth=1
	s_or_b32 exec_lo, exec_lo, s25
	v_mov_b32_e32 v0, 0xff
	v_mov_b32_e32 v1, 0
	s_mov_b32 s25, exec_lo
	v_and_b32_sdwa v0, v33, v0 dst_sel:DWORD dst_unused:UNUSED_PAD src0_sel:WORD_1 src1_sel:DWORD
	buffer_store_dword v1, off, s[0:3], s32 offset:552 ; 4-byte Folded Spill
	v_mov_b32_e32 v1, 0
	buffer_store_dword v1, off, s[0:3], s32 offset:768 ; 4-byte Folded Spill
	v_cmpx_ne_u16_e32 0, v0
	s_cbranch_execz .LBB384_875
; %bb.868:                              ;   in Loop: Header=BB384_16 Depth=1
	v_cmp_ne_u16_e64 s5, 0x80, v0
	v_bfrev_b32_e32 v0, 1
	s_and_saveexec_b32 s26, s5
	s_cbranch_execz .LBB384_874
; %bb.869:                              ;   in Loop: Header=BB384_16 Depth=1
	v_bfe_u32 v1, v33, 16, 7
	v_mov_b32_e32 v0, 0x7f800001
	s_mov_b32 s27, exec_lo
	v_cmpx_ne_u32_e32 0x7f, v1
	s_cbranch_execz .LBB384_873
; %bb.870:                              ;   in Loop: Header=BB384_16 Depth=1
	v_mov_b32_e32 v0, 7
	s_mov_b32 s28, exec_lo
	v_and_b32_sdwa v18, v33, v0 dst_sel:DWORD dst_unused:UNUSED_PAD src0_sel:WORD_1 src1_sel:DWORD
	v_mov_b32_e32 v36, v19
	v_lshrrev_b32_e32 v0, 3, v1
	v_mov_b32_e32 v35, v18
	v_cmpx_gt_u32_e32 8, v1
; %bb.871:                              ;   in Loop: Header=BB384_16 Depth=1
	v_ffbh_u32_e32 v0, v18
	v_min_u32_e32 v0, 32, v0
	v_subrev_nc_u32_e32 v1, 28, v0
	v_sub_nc_u32_e32 v0, 29, v0
	v_lshlrev_b64 v[1:2], v1, v[18:19]
	v_and_b32_e32 v35, 7, v1
; %bb.872:                              ;   in Loop: Header=BB384_16 Depth=1
	s_or_b32 exec_lo, exec_lo, s28
	v_mov_b32_e32 v1, 24
	v_lshlrev_b32_e32 v2, 20, v35
	v_lshl_add_u32 v0, v0, 23, 0x3c000000
	v_lshlrev_b32_sdwa v1, v1, v33 dst_sel:DWORD dst_unused:UNUSED_PAD src0_sel:DWORD src1_sel:WORD_1
	v_and_b32_e32 v1, 0x80000000, v1
	v_or3_b32 v0, v2, v1, v0
.LBB384_873:                            ;   in Loop: Header=BB384_16 Depth=1
	s_or_b32 exec_lo, exec_lo, s27
.LBB384_874:                            ;   in Loop: Header=BB384_16 Depth=1
	s_or_b32 exec_lo, exec_lo, s26
	buffer_store_dword v0, off, s[0:3], s32 offset:768 ; 4-byte Folded Spill
.LBB384_875:                            ;   in Loop: Header=BB384_16 Depth=1
	s_or_b32 exec_lo, exec_lo, s25
	s_mov_b32 s25, exec_lo
	v_cmpx_lt_u32_e32 0xffffff, v33
	s_cbranch_execz .LBB384_883
; %bb.876:                              ;   in Loop: Header=BB384_16 Depth=1
	v_cmp_ne_u32_sdwa s5, v33, v87 src0_sel:BYTE_3 src1_sel:DWORD
	v_bfrev_b32_e32 v0, 1
	buffer_store_dword v0, off, s[0:3], s32 offset:552 ; 4-byte Folded Spill
	s_and_saveexec_b32 s26, s5
	s_cbranch_execz .LBB384_882
; %bb.877:                              ;   in Loop: Header=BB384_16 Depth=1
	v_bfe_u32 v1, v33, 24, 7
	v_mov_b32_e32 v0, 0x7f800001
	s_mov_b32 s27, exec_lo
	buffer_store_dword v0, off, s[0:3], s32 offset:552 ; 4-byte Folded Spill
	v_cmpx_ne_u32_e32 0x7f, v1
	s_cbranch_execz .LBB384_881
; %bb.878:                              ;   in Loop: Header=BB384_16 Depth=1
	v_mov_b32_e32 v0, 7
	s_mov_b32 s28, exec_lo
	v_and_b32_sdwa v18, v33, v0 dst_sel:DWORD dst_unused:UNUSED_PAD src0_sel:BYTE_3 src1_sel:DWORD
	v_mov_b32_e32 v36, v19
	v_lshrrev_b32_e32 v0, 3, v1
	v_mov_b32_e32 v35, v18
	v_cmpx_gt_u32_e32 8, v1
; %bb.879:                              ;   in Loop: Header=BB384_16 Depth=1
	v_ffbh_u32_e32 v0, v18
	v_min_u32_e32 v0, 32, v0
	v_subrev_nc_u32_e32 v1, 28, v0
	v_sub_nc_u32_e32 v0, 29, v0
	v_lshlrev_b64 v[1:2], v1, v[18:19]
	v_and_b32_e32 v35, 7, v1
; %bb.880:                              ;   in Loop: Header=BB384_16 Depth=1
	s_or_b32 exec_lo, exec_lo, s28
	v_mov_b32_e32 v1, 24
	v_lshlrev_b32_e32 v2, 20, v35
	v_lshl_add_u32 v0, v0, 23, 0x3c000000
	v_lshlrev_b32_sdwa v1, v1, v33 dst_sel:DWORD dst_unused:UNUSED_PAD src0_sel:DWORD src1_sel:BYTE_3
	v_and_b32_e32 v1, 0x80000000, v1
	v_or3_b32 v0, v2, v1, v0
	buffer_store_dword v0, off, s[0:3], s32 offset:552 ; 4-byte Folded Spill
.LBB384_881:                            ;   in Loop: Header=BB384_16 Depth=1
	s_or_b32 exec_lo, exec_lo, s27
.LBB384_882:                            ;   in Loop: Header=BB384_16 Depth=1
	s_or_b32 exec_lo, exec_lo, s26
.LBB384_883:                            ;   in Loop: Header=BB384_16 Depth=1
	s_or_b32 exec_lo, exec_lo, s25
	v_mov_b32_e32 v0, 0
	v_mov_b32_e32 v18, v34
	v_cmp_ne_u16_sdwa s5, v34, v19 src0_sel:BYTE_0 src1_sel:DWORD
	buffer_store_dword v0, off, s[0:3], s32 offset:560 ; 4-byte Folded Spill
	v_mov_b32_e32 v0, 0
	buffer_store_dword v0, off, s[0:3], s32 offset:556 ; 4-byte Folded Spill
	s_and_saveexec_b32 s25, s5
	s_cbranch_execz .LBB384_891
; %bb.884:                              ;   in Loop: Header=BB384_16 Depth=1
	v_cmp_ne_u16_sdwa s5, v34, v87 src0_sel:BYTE_0 src1_sel:DWORD
	v_bfrev_b32_e32 v0, 1
	buffer_store_dword v0, off, s[0:3], s32 offset:556 ; 4-byte Folded Spill
	s_and_saveexec_b32 s26, s5
	s_cbranch_execz .LBB384_890
; %bb.885:                              ;   in Loop: Header=BB384_16 Depth=1
	v_and_b32_e32 v1, 0x7f, v34
	v_mov_b32_e32 v0, 0x7f800001
	s_mov_b32 s27, exec_lo
	buffer_store_dword v0, off, s[0:3], s32 offset:556 ; 4-byte Folded Spill
	v_cmpx_ne_u32_e32 0x7f, v1
	s_cbranch_execz .LBB384_889
; %bb.886:                              ;   in Loop: Header=BB384_16 Depth=1
	v_mov_b32_e32 v36, v19
	v_lshrrev_b32_e32 v0, 3, v1
	v_mov_b32_e32 v35, v18
	s_mov_b32 s28, exec_lo
	v_cmpx_gt_u32_e32 8, v1
; %bb.887:                              ;   in Loop: Header=BB384_16 Depth=1
	v_and_b32_e32 v0, 7, v34
	v_ffbh_u32_e32 v0, v0
	v_min_u32_e32 v0, 32, v0
	v_subrev_nc_u32_e32 v1, 28, v0
	v_sub_nc_u32_e32 v0, 29, v0
	v_lshlrev_b64 v[35:36], v1, v[18:19]
; %bb.888:                              ;   in Loop: Header=BB384_16 Depth=1
	s_or_b32 exec_lo, exec_lo, s28
	v_lshlrev_b32_e32 v1, 20, v35
	v_lshlrev_b32_e32 v2, 24, v18
	v_lshl_add_u32 v0, v0, 23, 0x3c000000
	v_and_b32_e32 v1, 0x700000, v1
	v_and_b32_e32 v2, 0x80000000, v2
	v_or3_b32 v0, v1, v2, v0
	buffer_store_dword v0, off, s[0:3], s32 offset:556 ; 4-byte Folded Spill
.LBB384_889:                            ;   in Loop: Header=BB384_16 Depth=1
	s_or_b32 exec_lo, exec_lo, s27
.LBB384_890:                            ;   in Loop: Header=BB384_16 Depth=1
	s_or_b32 exec_lo, exec_lo, s26
.LBB384_891:                            ;   in Loop: Header=BB384_16 Depth=1
	s_or_b32 exec_lo, exec_lo, s25
	v_cmp_ne_u16_sdwa s5, v18, v19 src0_sel:BYTE_1 src1_sel:DWORD
	s_and_saveexec_b32 s25, s5
	s_cbranch_execz .LBB384_899
; %bb.892:                              ;   in Loop: Header=BB384_16 Depth=1
	v_cmp_ne_u16_sdwa s5, v18, v87 src0_sel:BYTE_1 src1_sel:DWORD
	v_bfrev_b32_e32 v0, 1
	buffer_store_dword v0, off, s[0:3], s32 offset:560 ; 4-byte Folded Spill
	s_and_saveexec_b32 s26, s5
	s_cbranch_execz .LBB384_898
; %bb.893:                              ;   in Loop: Header=BB384_16 Depth=1
	v_mov_b32_e32 v0, 0xffff
	v_mov_b32_e32 v2, 0x7f800001
	s_mov_b32 s27, exec_lo
	v_and_b32_sdwa v0, v0, v18 dst_sel:DWORD dst_unused:UNUSED_PAD src0_sel:DWORD src1_sel:BYTE_1
	buffer_store_dword v2, off, s[0:3], s32 offset:560 ; 4-byte Folded Spill
	v_and_b32_e32 v1, 0x7f, v0
	v_cmpx_ne_u32_e32 0x7f, v1
	s_cbranch_execz .LBB384_897
; %bb.894:                              ;   in Loop: Header=BB384_16 Depth=1
	v_and_b32_e32 v35, 7, v0
	v_mov_b32_e32 v36, v19
	v_lshrrev_b32_e32 v0, 3, v1
	s_mov_b32 s28, exec_lo
	v_cmpx_gt_u32_e32 8, v1
; %bb.895:                              ;   in Loop: Header=BB384_16 Depth=1
	v_ffbh_u32_e32 v0, v35
	v_min_u32_e32 v0, 32, v0
	v_subrev_nc_u32_e32 v1, 28, v0
	v_sub_nc_u32_e32 v0, 29, v0
	v_lshlrev_b64 v[1:2], v1, v[35:36]
	v_and_b32_e32 v35, 7, v1
; %bb.896:                              ;   in Loop: Header=BB384_16 Depth=1
	s_or_b32 exec_lo, exec_lo, s28
	v_lshlrev_b32_e32 v1, 16, v18
	v_lshlrev_b32_e32 v2, 20, v35
	v_lshl_add_u32 v0, v0, 23, 0x3c000000
	v_and_b32_e32 v1, 0x80000000, v1
	v_or3_b32 v0, v2, v1, v0
	buffer_store_dword v0, off, s[0:3], s32 offset:560 ; 4-byte Folded Spill
.LBB384_897:                            ;   in Loop: Header=BB384_16 Depth=1
	s_or_b32 exec_lo, exec_lo, s27
.LBB384_898:                            ;   in Loop: Header=BB384_16 Depth=1
	s_or_b32 exec_lo, exec_lo, s26
.LBB384_899:                            ;   in Loop: Header=BB384_16 Depth=1
	s_or_b32 exec_lo, exec_lo, s25
	v_mov_b32_e32 v0, 0xff
	v_mov_b32_e32 v1, 0
	s_mov_b32 s25, exec_lo
	v_and_b32_sdwa v0, v34, v0 dst_sel:DWORD dst_unused:UNUSED_PAD src0_sel:WORD_1 src1_sel:DWORD
	buffer_store_dword v1, off, s[0:3], s32 offset:564 ; 4-byte Folded Spill
	v_mov_b32_e32 v1, 0
	buffer_store_dword v1, off, s[0:3], s32 offset:772 ; 4-byte Folded Spill
	v_cmpx_ne_u16_e32 0, v0
	s_cbranch_execz .LBB384_907
; %bb.900:                              ;   in Loop: Header=BB384_16 Depth=1
	v_cmp_ne_u16_e64 s5, 0x80, v0
	v_bfrev_b32_e32 v0, 1
	s_and_saveexec_b32 s26, s5
	s_cbranch_execz .LBB384_906
; %bb.901:                              ;   in Loop: Header=BB384_16 Depth=1
	v_bfe_u32 v1, v34, 16, 7
	v_mov_b32_e32 v0, 0x7f800001
	s_mov_b32 s27, exec_lo
	v_cmpx_ne_u32_e32 0x7f, v1
	s_cbranch_execz .LBB384_905
; %bb.902:                              ;   in Loop: Header=BB384_16 Depth=1
	v_mov_b32_e32 v0, 7
	s_mov_b32 s28, exec_lo
	v_and_b32_sdwa v18, v34, v0 dst_sel:DWORD dst_unused:UNUSED_PAD src0_sel:WORD_1 src1_sel:DWORD
	v_mov_b32_e32 v36, v19
	v_lshrrev_b32_e32 v0, 3, v1
	v_mov_b32_e32 v35, v18
	v_cmpx_gt_u32_e32 8, v1
; %bb.903:                              ;   in Loop: Header=BB384_16 Depth=1
	v_ffbh_u32_e32 v0, v18
	v_min_u32_e32 v0, 32, v0
	v_subrev_nc_u32_e32 v1, 28, v0
	v_sub_nc_u32_e32 v0, 29, v0
	v_lshlrev_b64 v[1:2], v1, v[18:19]
	v_and_b32_e32 v35, 7, v1
; %bb.904:                              ;   in Loop: Header=BB384_16 Depth=1
	s_or_b32 exec_lo, exec_lo, s28
	v_mov_b32_e32 v1, 24
	v_lshlrev_b32_e32 v2, 20, v35
	v_lshl_add_u32 v0, v0, 23, 0x3c000000
	v_lshlrev_b32_sdwa v1, v1, v34 dst_sel:DWORD dst_unused:UNUSED_PAD src0_sel:DWORD src1_sel:WORD_1
	v_and_b32_e32 v1, 0x80000000, v1
	v_or3_b32 v0, v2, v1, v0
.LBB384_905:                            ;   in Loop: Header=BB384_16 Depth=1
	s_or_b32 exec_lo, exec_lo, s27
.LBB384_906:                            ;   in Loop: Header=BB384_16 Depth=1
	s_or_b32 exec_lo, exec_lo, s26
	buffer_store_dword v0, off, s[0:3], s32 offset:772 ; 4-byte Folded Spill
.LBB384_907:                            ;   in Loop: Header=BB384_16 Depth=1
	s_or_b32 exec_lo, exec_lo, s25
	s_mov_b32 s25, exec_lo
	v_cmpx_lt_u64_e64 s[20:21], v[33:34]
	s_cbranch_execz .LBB384_915
; %bb.908:                              ;   in Loop: Header=BB384_16 Depth=1
	v_cmp_ne_u32_sdwa s5, v34, v87 src0_sel:BYTE_3 src1_sel:DWORD
	v_bfrev_b32_e32 v0, 1
	buffer_store_dword v0, off, s[0:3], s32 offset:564 ; 4-byte Folded Spill
	s_and_saveexec_b32 s26, s5
	s_cbranch_execz .LBB384_914
; %bb.909:                              ;   in Loop: Header=BB384_16 Depth=1
	v_bfe_u32 v1, v34, 24, 7
	v_mov_b32_e32 v0, 0x7f800001
	s_mov_b32 s27, exec_lo
	buffer_store_dword v0, off, s[0:3], s32 offset:564 ; 4-byte Folded Spill
	v_cmpx_ne_u32_e32 0x7f, v1
	s_cbranch_execz .LBB384_913
; %bb.910:                              ;   in Loop: Header=BB384_16 Depth=1
	v_mov_b32_e32 v0, 7
	s_mov_b32 s28, exec_lo
	v_and_b32_sdwa v18, v34, v0 dst_sel:DWORD dst_unused:UNUSED_PAD src0_sel:BYTE_3 src1_sel:DWORD
	v_mov_b32_e32 v36, v19
	v_lshrrev_b32_e32 v0, 3, v1
	v_mov_b32_e32 v35, v18
	v_cmpx_gt_u32_e32 8, v1
; %bb.911:                              ;   in Loop: Header=BB384_16 Depth=1
	v_ffbh_u32_e32 v0, v18
	v_min_u32_e32 v0, 32, v0
	v_subrev_nc_u32_e32 v1, 28, v0
	v_sub_nc_u32_e32 v0, 29, v0
	v_lshlrev_b64 v[1:2], v1, v[18:19]
	v_and_b32_e32 v35, 7, v1
; %bb.912:                              ;   in Loop: Header=BB384_16 Depth=1
	s_or_b32 exec_lo, exec_lo, s28
	v_mov_b32_e32 v1, 24
	v_lshlrev_b32_e32 v2, 20, v35
	v_lshl_add_u32 v0, v0, 23, 0x3c000000
	v_lshlrev_b32_sdwa v1, v1, v34 dst_sel:DWORD dst_unused:UNUSED_PAD src0_sel:DWORD src1_sel:BYTE_3
	v_and_b32_e32 v1, 0x80000000, v1
	v_or3_b32 v0, v2, v1, v0
	buffer_store_dword v0, off, s[0:3], s32 offset:564 ; 4-byte Folded Spill
.LBB384_913:                            ;   in Loop: Header=BB384_16 Depth=1
	s_or_b32 exec_lo, exec_lo, s27
.LBB384_914:                            ;   in Loop: Header=BB384_16 Depth=1
	s_or_b32 exec_lo, exec_lo, s26
.LBB384_915:                            ;   in Loop: Header=BB384_16 Depth=1
	s_or_b32 exec_lo, exec_lo, s25
	flat_load_dwordx2 v[33:34], v[31:32] offset:1536
	v_mov_b32_e32 v0, 0
	buffer_store_dword v0, off, s[0:3], s32 offset:572 ; 4-byte Folded Spill
	v_mov_b32_e32 v0, 0
	buffer_store_dword v0, off, s[0:3], s32 offset:568 ; 4-byte Folded Spill
	s_waitcnt vmcnt(0) lgkmcnt(0)
	v_cmp_ne_u16_sdwa s5, v33, v19 src0_sel:BYTE_0 src1_sel:DWORD
	s_and_saveexec_b32 s25, s5
	s_cbranch_execz .LBB384_923
; %bb.916:                              ;   in Loop: Header=BB384_16 Depth=1
	v_cmp_ne_u16_sdwa s5, v33, v87 src0_sel:BYTE_0 src1_sel:DWORD
	v_bfrev_b32_e32 v0, 1
	buffer_store_dword v0, off, s[0:3], s32 offset:568 ; 4-byte Folded Spill
	s_and_saveexec_b32 s26, s5
	s_cbranch_execz .LBB384_922
; %bb.917:                              ;   in Loop: Header=BB384_16 Depth=1
	v_and_b32_e32 v1, 0x7f, v33
	v_mov_b32_e32 v0, 0x7f800001
	s_mov_b32 s27, exec_lo
	buffer_store_dword v0, off, s[0:3], s32 offset:568 ; 4-byte Folded Spill
	v_cmpx_ne_u32_e32 0x7f, v1
	s_cbranch_execz .LBB384_921
; %bb.918:                              ;   in Loop: Header=BB384_16 Depth=1
	v_mov_b32_e32 v36, v34
	v_lshrrev_b32_e32 v0, 3, v1
	v_mov_b32_e32 v35, v33
	s_mov_b32 s28, exec_lo
	v_cmpx_gt_u32_e32 8, v1
; %bb.919:                              ;   in Loop: Header=BB384_16 Depth=1
	v_and_b32_e32 v0, 7, v33
	v_ffbh_u32_e32 v0, v0
	v_min_u32_e32 v0, 32, v0
	v_subrev_nc_u32_e32 v1, 28, v0
	v_sub_nc_u32_e32 v0, 29, v0
	v_lshlrev_b64 v[35:36], v1, v[33:34]
; %bb.920:                              ;   in Loop: Header=BB384_16 Depth=1
	s_or_b32 exec_lo, exec_lo, s28
	v_lshlrev_b32_e32 v1, 20, v35
	v_lshlrev_b32_e32 v2, 24, v33
	v_lshl_add_u32 v0, v0, 23, 0x3c000000
	v_and_b32_e32 v1, 0x700000, v1
	v_and_b32_e32 v2, 0x80000000, v2
	v_or3_b32 v0, v1, v2, v0
	buffer_store_dword v0, off, s[0:3], s32 offset:568 ; 4-byte Folded Spill
.LBB384_921:                            ;   in Loop: Header=BB384_16 Depth=1
	s_or_b32 exec_lo, exec_lo, s27
.LBB384_922:                            ;   in Loop: Header=BB384_16 Depth=1
	s_or_b32 exec_lo, exec_lo, s26
.LBB384_923:                            ;   in Loop: Header=BB384_16 Depth=1
	s_or_b32 exec_lo, exec_lo, s25
	v_cmp_ne_u16_sdwa s5, v33, v19 src0_sel:BYTE_1 src1_sel:DWORD
	s_and_saveexec_b32 s25, s5
	s_cbranch_execz .LBB384_931
; %bb.924:                              ;   in Loop: Header=BB384_16 Depth=1
	v_cmp_ne_u16_sdwa s5, v33, v87 src0_sel:BYTE_1 src1_sel:DWORD
	v_bfrev_b32_e32 v0, 1
	buffer_store_dword v0, off, s[0:3], s32 offset:572 ; 4-byte Folded Spill
	s_and_saveexec_b32 s26, s5
	s_cbranch_execz .LBB384_930
; %bb.925:                              ;   in Loop: Header=BB384_16 Depth=1
	v_mov_b32_e32 v0, 0xffff
	v_mov_b32_e32 v2, 0x7f800001
	s_mov_b32 s27, exec_lo
	v_and_b32_sdwa v0, v0, v33 dst_sel:DWORD dst_unused:UNUSED_PAD src0_sel:DWORD src1_sel:BYTE_1
	buffer_store_dword v2, off, s[0:3], s32 offset:572 ; 4-byte Folded Spill
	v_and_b32_e32 v1, 0x7f, v0
	v_cmpx_ne_u32_e32 0x7f, v1
	s_cbranch_execz .LBB384_929
; %bb.926:                              ;   in Loop: Header=BB384_16 Depth=1
	v_and_b32_e32 v18, 7, v0
	v_mov_b32_e32 v36, v19
	v_lshrrev_b32_e32 v0, 3, v1
	s_mov_b32 s28, exec_lo
	v_mov_b32_e32 v35, v18
	v_cmpx_gt_u32_e32 8, v1
; %bb.927:                              ;   in Loop: Header=BB384_16 Depth=1
	v_ffbh_u32_e32 v0, v18
	v_min_u32_e32 v0, 32, v0
	v_subrev_nc_u32_e32 v1, 28, v0
	v_sub_nc_u32_e32 v0, 29, v0
	v_lshlrev_b64 v[1:2], v1, v[18:19]
	v_and_b32_e32 v35, 7, v1
; %bb.928:                              ;   in Loop: Header=BB384_16 Depth=1
	s_or_b32 exec_lo, exec_lo, s28
	v_lshlrev_b32_e32 v1, 16, v33
	v_lshlrev_b32_e32 v2, 20, v35
	v_lshl_add_u32 v0, v0, 23, 0x3c000000
	v_and_b32_e32 v1, 0x80000000, v1
	v_or3_b32 v0, v2, v1, v0
	buffer_store_dword v0, off, s[0:3], s32 offset:572 ; 4-byte Folded Spill
.LBB384_929:                            ;   in Loop: Header=BB384_16 Depth=1
	s_or_b32 exec_lo, exec_lo, s27
.LBB384_930:                            ;   in Loop: Header=BB384_16 Depth=1
	s_or_b32 exec_lo, exec_lo, s26
.LBB384_931:                            ;   in Loop: Header=BB384_16 Depth=1
	s_or_b32 exec_lo, exec_lo, s25
	v_mov_b32_e32 v0, 0xff
	v_mov_b32_e32 v1, 0
	s_mov_b32 s25, exec_lo
	v_and_b32_sdwa v0, v33, v0 dst_sel:DWORD dst_unused:UNUSED_PAD src0_sel:WORD_1 src1_sel:DWORD
	buffer_store_dword v1, off, s[0:3], s32 offset:576 ; 4-byte Folded Spill
	v_mov_b32_e32 v1, 0
	buffer_store_dword v1, off, s[0:3], s32 offset:776 ; 4-byte Folded Spill
	v_cmpx_ne_u16_e32 0, v0
	s_cbranch_execz .LBB384_939
; %bb.932:                              ;   in Loop: Header=BB384_16 Depth=1
	v_cmp_ne_u16_e64 s5, 0x80, v0
	v_bfrev_b32_e32 v0, 1
	s_and_saveexec_b32 s26, s5
	s_cbranch_execz .LBB384_938
; %bb.933:                              ;   in Loop: Header=BB384_16 Depth=1
	v_bfe_u32 v1, v33, 16, 7
	v_mov_b32_e32 v0, 0x7f800001
	s_mov_b32 s27, exec_lo
	v_cmpx_ne_u32_e32 0x7f, v1
	s_cbranch_execz .LBB384_937
; %bb.934:                              ;   in Loop: Header=BB384_16 Depth=1
	v_mov_b32_e32 v0, 7
	s_mov_b32 s28, exec_lo
	v_and_b32_sdwa v18, v33, v0 dst_sel:DWORD dst_unused:UNUSED_PAD src0_sel:WORD_1 src1_sel:DWORD
	v_mov_b32_e32 v36, v19
	v_lshrrev_b32_e32 v0, 3, v1
	v_mov_b32_e32 v35, v18
	v_cmpx_gt_u32_e32 8, v1
; %bb.935:                              ;   in Loop: Header=BB384_16 Depth=1
	v_ffbh_u32_e32 v0, v18
	v_min_u32_e32 v0, 32, v0
	v_subrev_nc_u32_e32 v1, 28, v0
	v_sub_nc_u32_e32 v0, 29, v0
	v_lshlrev_b64 v[1:2], v1, v[18:19]
	v_and_b32_e32 v35, 7, v1
; %bb.936:                              ;   in Loop: Header=BB384_16 Depth=1
	s_or_b32 exec_lo, exec_lo, s28
	v_mov_b32_e32 v1, 24
	v_lshlrev_b32_e32 v2, 20, v35
	v_lshl_add_u32 v0, v0, 23, 0x3c000000
	v_lshlrev_b32_sdwa v1, v1, v33 dst_sel:DWORD dst_unused:UNUSED_PAD src0_sel:DWORD src1_sel:WORD_1
	v_and_b32_e32 v1, 0x80000000, v1
	v_or3_b32 v0, v2, v1, v0
.LBB384_937:                            ;   in Loop: Header=BB384_16 Depth=1
	s_or_b32 exec_lo, exec_lo, s27
.LBB384_938:                            ;   in Loop: Header=BB384_16 Depth=1
	s_or_b32 exec_lo, exec_lo, s26
	buffer_store_dword v0, off, s[0:3], s32 offset:776 ; 4-byte Folded Spill
.LBB384_939:                            ;   in Loop: Header=BB384_16 Depth=1
	s_or_b32 exec_lo, exec_lo, s25
	s_mov_b32 s25, exec_lo
	v_cmpx_lt_u32_e32 0xffffff, v33
	s_cbranch_execz .LBB384_947
; %bb.940:                              ;   in Loop: Header=BB384_16 Depth=1
	v_cmp_ne_u32_sdwa s5, v33, v87 src0_sel:BYTE_3 src1_sel:DWORD
	v_bfrev_b32_e32 v0, 1
	buffer_store_dword v0, off, s[0:3], s32 offset:576 ; 4-byte Folded Spill
	s_and_saveexec_b32 s26, s5
	s_cbranch_execz .LBB384_946
; %bb.941:                              ;   in Loop: Header=BB384_16 Depth=1
	v_bfe_u32 v1, v33, 24, 7
	v_mov_b32_e32 v0, 0x7f800001
	s_mov_b32 s27, exec_lo
	buffer_store_dword v0, off, s[0:3], s32 offset:576 ; 4-byte Folded Spill
	v_cmpx_ne_u32_e32 0x7f, v1
	s_cbranch_execz .LBB384_945
; %bb.942:                              ;   in Loop: Header=BB384_16 Depth=1
	v_mov_b32_e32 v0, 7
	s_mov_b32 s28, exec_lo
	v_and_b32_sdwa v18, v33, v0 dst_sel:DWORD dst_unused:UNUSED_PAD src0_sel:BYTE_3 src1_sel:DWORD
	v_mov_b32_e32 v36, v19
	v_lshrrev_b32_e32 v0, 3, v1
	v_mov_b32_e32 v35, v18
	v_cmpx_gt_u32_e32 8, v1
; %bb.943:                              ;   in Loop: Header=BB384_16 Depth=1
	v_ffbh_u32_e32 v0, v18
	v_min_u32_e32 v0, 32, v0
	v_subrev_nc_u32_e32 v1, 28, v0
	v_sub_nc_u32_e32 v0, 29, v0
	v_lshlrev_b64 v[1:2], v1, v[18:19]
	v_and_b32_e32 v35, 7, v1
; %bb.944:                              ;   in Loop: Header=BB384_16 Depth=1
	s_or_b32 exec_lo, exec_lo, s28
	v_mov_b32_e32 v1, 24
	v_lshlrev_b32_e32 v2, 20, v35
	v_lshl_add_u32 v0, v0, 23, 0x3c000000
	v_lshlrev_b32_sdwa v1, v1, v33 dst_sel:DWORD dst_unused:UNUSED_PAD src0_sel:DWORD src1_sel:BYTE_3
	v_and_b32_e32 v1, 0x80000000, v1
	v_or3_b32 v0, v2, v1, v0
	buffer_store_dword v0, off, s[0:3], s32 offset:576 ; 4-byte Folded Spill
.LBB384_945:                            ;   in Loop: Header=BB384_16 Depth=1
	s_or_b32 exec_lo, exec_lo, s27
.LBB384_946:                            ;   in Loop: Header=BB384_16 Depth=1
	s_or_b32 exec_lo, exec_lo, s26
.LBB384_947:                            ;   in Loop: Header=BB384_16 Depth=1
	s_or_b32 exec_lo, exec_lo, s25
	v_mov_b32_e32 v0, 0
	v_mov_b32_e32 v18, v34
	v_cmp_ne_u16_sdwa s5, v34, v19 src0_sel:BYTE_0 src1_sel:DWORD
	buffer_store_dword v0, off, s[0:3], s32 offset:584 ; 4-byte Folded Spill
	v_mov_b32_e32 v0, 0
	buffer_store_dword v0, off, s[0:3], s32 offset:580 ; 4-byte Folded Spill
	s_and_saveexec_b32 s25, s5
	s_cbranch_execz .LBB384_955
; %bb.948:                              ;   in Loop: Header=BB384_16 Depth=1
	v_cmp_ne_u16_sdwa s5, v34, v87 src0_sel:BYTE_0 src1_sel:DWORD
	v_bfrev_b32_e32 v0, 1
	buffer_store_dword v0, off, s[0:3], s32 offset:580 ; 4-byte Folded Spill
	s_and_saveexec_b32 s26, s5
	s_cbranch_execz .LBB384_954
; %bb.949:                              ;   in Loop: Header=BB384_16 Depth=1
	v_and_b32_e32 v1, 0x7f, v34
	v_mov_b32_e32 v0, 0x7f800001
	s_mov_b32 s27, exec_lo
	buffer_store_dword v0, off, s[0:3], s32 offset:580 ; 4-byte Folded Spill
	v_cmpx_ne_u32_e32 0x7f, v1
	s_cbranch_execz .LBB384_953
; %bb.950:                              ;   in Loop: Header=BB384_16 Depth=1
	v_mov_b32_e32 v36, v19
	v_lshrrev_b32_e32 v0, 3, v1
	v_mov_b32_e32 v35, v18
	s_mov_b32 s28, exec_lo
	v_cmpx_gt_u32_e32 8, v1
; %bb.951:                              ;   in Loop: Header=BB384_16 Depth=1
	v_and_b32_e32 v0, 7, v34
	v_ffbh_u32_e32 v0, v0
	v_min_u32_e32 v0, 32, v0
	v_subrev_nc_u32_e32 v1, 28, v0
	v_sub_nc_u32_e32 v0, 29, v0
	v_lshlrev_b64 v[35:36], v1, v[18:19]
; %bb.952:                              ;   in Loop: Header=BB384_16 Depth=1
	s_or_b32 exec_lo, exec_lo, s28
	v_lshlrev_b32_e32 v1, 20, v35
	v_lshlrev_b32_e32 v2, 24, v18
	v_lshl_add_u32 v0, v0, 23, 0x3c000000
	v_and_b32_e32 v1, 0x700000, v1
	v_and_b32_e32 v2, 0x80000000, v2
	v_or3_b32 v0, v1, v2, v0
	buffer_store_dword v0, off, s[0:3], s32 offset:580 ; 4-byte Folded Spill
.LBB384_953:                            ;   in Loop: Header=BB384_16 Depth=1
	s_or_b32 exec_lo, exec_lo, s27
.LBB384_954:                            ;   in Loop: Header=BB384_16 Depth=1
	s_or_b32 exec_lo, exec_lo, s26
.LBB384_955:                            ;   in Loop: Header=BB384_16 Depth=1
	s_or_b32 exec_lo, exec_lo, s25
	v_cmp_ne_u16_sdwa s5, v18, v19 src0_sel:BYTE_1 src1_sel:DWORD
	s_and_saveexec_b32 s25, s5
	s_cbranch_execz .LBB384_963
; %bb.956:                              ;   in Loop: Header=BB384_16 Depth=1
	v_cmp_ne_u16_sdwa s5, v18, v87 src0_sel:BYTE_1 src1_sel:DWORD
	v_bfrev_b32_e32 v0, 1
	buffer_store_dword v0, off, s[0:3], s32 offset:584 ; 4-byte Folded Spill
	s_and_saveexec_b32 s26, s5
	s_cbranch_execz .LBB384_962
; %bb.957:                              ;   in Loop: Header=BB384_16 Depth=1
	v_mov_b32_e32 v0, 0xffff
	v_mov_b32_e32 v2, 0x7f800001
	s_mov_b32 s27, exec_lo
	v_and_b32_sdwa v0, v0, v18 dst_sel:DWORD dst_unused:UNUSED_PAD src0_sel:DWORD src1_sel:BYTE_1
	buffer_store_dword v2, off, s[0:3], s32 offset:584 ; 4-byte Folded Spill
	v_and_b32_e32 v1, 0x7f, v0
	v_cmpx_ne_u32_e32 0x7f, v1
	s_cbranch_execz .LBB384_961
; %bb.958:                              ;   in Loop: Header=BB384_16 Depth=1
	v_and_b32_e32 v35, 7, v0
	v_mov_b32_e32 v36, v19
	v_lshrrev_b32_e32 v0, 3, v1
	s_mov_b32 s28, exec_lo
	v_cmpx_gt_u32_e32 8, v1
; %bb.959:                              ;   in Loop: Header=BB384_16 Depth=1
	v_ffbh_u32_e32 v0, v35
	v_min_u32_e32 v0, 32, v0
	v_subrev_nc_u32_e32 v1, 28, v0
	v_sub_nc_u32_e32 v0, 29, v0
	v_lshlrev_b64 v[1:2], v1, v[35:36]
	v_and_b32_e32 v35, 7, v1
; %bb.960:                              ;   in Loop: Header=BB384_16 Depth=1
	s_or_b32 exec_lo, exec_lo, s28
	v_lshlrev_b32_e32 v1, 16, v18
	v_lshlrev_b32_e32 v2, 20, v35
	v_lshl_add_u32 v0, v0, 23, 0x3c000000
	v_and_b32_e32 v1, 0x80000000, v1
	v_or3_b32 v0, v2, v1, v0
	buffer_store_dword v0, off, s[0:3], s32 offset:584 ; 4-byte Folded Spill
.LBB384_961:                            ;   in Loop: Header=BB384_16 Depth=1
	s_or_b32 exec_lo, exec_lo, s27
.LBB384_962:                            ;   in Loop: Header=BB384_16 Depth=1
	s_or_b32 exec_lo, exec_lo, s26
.LBB384_963:                            ;   in Loop: Header=BB384_16 Depth=1
	s_or_b32 exec_lo, exec_lo, s25
	v_mov_b32_e32 v0, 0xff
	v_mov_b32_e32 v1, 0
	s_mov_b32 s25, exec_lo
	v_and_b32_sdwa v0, v34, v0 dst_sel:DWORD dst_unused:UNUSED_PAD src0_sel:WORD_1 src1_sel:DWORD
	buffer_store_dword v1, off, s[0:3], s32 offset:588 ; 4-byte Folded Spill
	v_mov_b32_e32 v1, 0
	buffer_store_dword v1, off, s[0:3], s32 offset:780 ; 4-byte Folded Spill
	v_cmpx_ne_u16_e32 0, v0
	s_cbranch_execz .LBB384_971
; %bb.964:                              ;   in Loop: Header=BB384_16 Depth=1
	v_cmp_ne_u16_e64 s5, 0x80, v0
	v_bfrev_b32_e32 v0, 1
	s_and_saveexec_b32 s26, s5
	s_cbranch_execz .LBB384_970
; %bb.965:                              ;   in Loop: Header=BB384_16 Depth=1
	v_bfe_u32 v1, v34, 16, 7
	v_mov_b32_e32 v0, 0x7f800001
	s_mov_b32 s27, exec_lo
	v_cmpx_ne_u32_e32 0x7f, v1
	s_cbranch_execz .LBB384_969
; %bb.966:                              ;   in Loop: Header=BB384_16 Depth=1
	v_mov_b32_e32 v0, 7
	s_mov_b32 s28, exec_lo
	v_and_b32_sdwa v18, v34, v0 dst_sel:DWORD dst_unused:UNUSED_PAD src0_sel:WORD_1 src1_sel:DWORD
	v_mov_b32_e32 v36, v19
	v_lshrrev_b32_e32 v0, 3, v1
	v_mov_b32_e32 v35, v18
	v_cmpx_gt_u32_e32 8, v1
; %bb.967:                              ;   in Loop: Header=BB384_16 Depth=1
	v_ffbh_u32_e32 v0, v18
	v_min_u32_e32 v0, 32, v0
	v_subrev_nc_u32_e32 v1, 28, v0
	v_sub_nc_u32_e32 v0, 29, v0
	v_lshlrev_b64 v[1:2], v1, v[18:19]
	v_and_b32_e32 v35, 7, v1
; %bb.968:                              ;   in Loop: Header=BB384_16 Depth=1
	s_or_b32 exec_lo, exec_lo, s28
	v_mov_b32_e32 v1, 24
	v_lshlrev_b32_e32 v2, 20, v35
	v_lshl_add_u32 v0, v0, 23, 0x3c000000
	v_lshlrev_b32_sdwa v1, v1, v34 dst_sel:DWORD dst_unused:UNUSED_PAD src0_sel:DWORD src1_sel:WORD_1
	v_and_b32_e32 v1, 0x80000000, v1
	v_or3_b32 v0, v2, v1, v0
.LBB384_969:                            ;   in Loop: Header=BB384_16 Depth=1
	s_or_b32 exec_lo, exec_lo, s27
.LBB384_970:                            ;   in Loop: Header=BB384_16 Depth=1
	s_or_b32 exec_lo, exec_lo, s26
	buffer_store_dword v0, off, s[0:3], s32 offset:780 ; 4-byte Folded Spill
.LBB384_971:                            ;   in Loop: Header=BB384_16 Depth=1
	s_or_b32 exec_lo, exec_lo, s25
	s_mov_b32 s25, exec_lo
	v_cmpx_lt_u64_e64 s[20:21], v[33:34]
	s_cbranch_execz .LBB384_979
; %bb.972:                              ;   in Loop: Header=BB384_16 Depth=1
	v_cmp_ne_u32_sdwa s5, v34, v87 src0_sel:BYTE_3 src1_sel:DWORD
	v_bfrev_b32_e32 v0, 1
	buffer_store_dword v0, off, s[0:3], s32 offset:588 ; 4-byte Folded Spill
	s_and_saveexec_b32 s26, s5
	s_cbranch_execz .LBB384_978
; %bb.973:                              ;   in Loop: Header=BB384_16 Depth=1
	v_bfe_u32 v1, v34, 24, 7
	v_mov_b32_e32 v0, 0x7f800001
	s_mov_b32 s27, exec_lo
	buffer_store_dword v0, off, s[0:3], s32 offset:588 ; 4-byte Folded Spill
	v_cmpx_ne_u32_e32 0x7f, v1
	s_cbranch_execz .LBB384_977
; %bb.974:                              ;   in Loop: Header=BB384_16 Depth=1
	v_mov_b32_e32 v0, 7
	s_mov_b32 s28, exec_lo
	v_and_b32_sdwa v18, v34, v0 dst_sel:DWORD dst_unused:UNUSED_PAD src0_sel:BYTE_3 src1_sel:DWORD
	v_mov_b32_e32 v36, v19
	v_lshrrev_b32_e32 v0, 3, v1
	v_mov_b32_e32 v35, v18
	v_cmpx_gt_u32_e32 8, v1
; %bb.975:                              ;   in Loop: Header=BB384_16 Depth=1
	v_ffbh_u32_e32 v0, v18
	v_min_u32_e32 v0, 32, v0
	v_subrev_nc_u32_e32 v1, 28, v0
	v_sub_nc_u32_e32 v0, 29, v0
	v_lshlrev_b64 v[1:2], v1, v[18:19]
	v_and_b32_e32 v35, 7, v1
; %bb.976:                              ;   in Loop: Header=BB384_16 Depth=1
	s_or_b32 exec_lo, exec_lo, s28
	v_mov_b32_e32 v1, 24
	v_lshlrev_b32_e32 v2, 20, v35
	v_lshl_add_u32 v0, v0, 23, 0x3c000000
	v_lshlrev_b32_sdwa v1, v1, v34 dst_sel:DWORD dst_unused:UNUSED_PAD src0_sel:DWORD src1_sel:BYTE_3
	v_and_b32_e32 v1, 0x80000000, v1
	v_or3_b32 v0, v2, v1, v0
	buffer_store_dword v0, off, s[0:3], s32 offset:588 ; 4-byte Folded Spill
.LBB384_977:                            ;   in Loop: Header=BB384_16 Depth=1
	s_or_b32 exec_lo, exec_lo, s27
.LBB384_978:                            ;   in Loop: Header=BB384_16 Depth=1
	s_or_b32 exec_lo, exec_lo, s26
.LBB384_979:                            ;   in Loop: Header=BB384_16 Depth=1
	s_or_b32 exec_lo, exec_lo, s25
	flat_load_dwordx2 v[31:32], v[31:32] offset:1544
	v_mov_b32_e32 v0, 0
	buffer_store_dword v0, off, s[0:3], s32 offset:596 ; 4-byte Folded Spill
	v_mov_b32_e32 v0, 0
	buffer_store_dword v0, off, s[0:3], s32 offset:592 ; 4-byte Folded Spill
	s_waitcnt vmcnt(0) lgkmcnt(0)
	v_cmp_ne_u16_sdwa s5, v31, v19 src0_sel:BYTE_0 src1_sel:DWORD
	s_and_saveexec_b32 s25, s5
	s_cbranch_execz .LBB384_987
; %bb.980:                              ;   in Loop: Header=BB384_16 Depth=1
	v_cmp_ne_u16_sdwa s5, v31, v87 src0_sel:BYTE_0 src1_sel:DWORD
	v_bfrev_b32_e32 v0, 1
	buffer_store_dword v0, off, s[0:3], s32 offset:592 ; 4-byte Folded Spill
	s_and_saveexec_b32 s26, s5
	s_cbranch_execz .LBB384_986
; %bb.981:                              ;   in Loop: Header=BB384_16 Depth=1
	v_and_b32_e32 v1, 0x7f, v31
	v_mov_b32_e32 v0, 0x7f800001
	s_mov_b32 s27, exec_lo
	buffer_store_dword v0, off, s[0:3], s32 offset:592 ; 4-byte Folded Spill
	v_cmpx_ne_u32_e32 0x7f, v1
	s_cbranch_execz .LBB384_985
; %bb.982:                              ;   in Loop: Header=BB384_16 Depth=1
	v_mov_b32_e32 v34, v32
	v_lshrrev_b32_e32 v0, 3, v1
	v_mov_b32_e32 v33, v31
	s_mov_b32 s28, exec_lo
	v_cmpx_gt_u32_e32 8, v1
; %bb.983:                              ;   in Loop: Header=BB384_16 Depth=1
	v_and_b32_e32 v0, 7, v31
	v_ffbh_u32_e32 v0, v0
	v_min_u32_e32 v0, 32, v0
	v_subrev_nc_u32_e32 v1, 28, v0
	v_sub_nc_u32_e32 v0, 29, v0
	v_lshlrev_b64 v[33:34], v1, v[31:32]
; %bb.984:                              ;   in Loop: Header=BB384_16 Depth=1
	s_or_b32 exec_lo, exec_lo, s28
	v_lshlrev_b32_e32 v1, 20, v33
	v_lshlrev_b32_e32 v2, 24, v31
	v_lshl_add_u32 v0, v0, 23, 0x3c000000
	v_and_b32_e32 v1, 0x700000, v1
	v_and_b32_e32 v2, 0x80000000, v2
	v_or3_b32 v0, v1, v2, v0
	buffer_store_dword v0, off, s[0:3], s32 offset:592 ; 4-byte Folded Spill
.LBB384_985:                            ;   in Loop: Header=BB384_16 Depth=1
	s_or_b32 exec_lo, exec_lo, s27
.LBB384_986:                            ;   in Loop: Header=BB384_16 Depth=1
	s_or_b32 exec_lo, exec_lo, s26
.LBB384_987:                            ;   in Loop: Header=BB384_16 Depth=1
	s_or_b32 exec_lo, exec_lo, s25
	v_cmp_ne_u16_sdwa s5, v31, v19 src0_sel:BYTE_1 src1_sel:DWORD
	s_and_saveexec_b32 s25, s5
	s_cbranch_execz .LBB384_995
; %bb.988:                              ;   in Loop: Header=BB384_16 Depth=1
	v_cmp_ne_u16_sdwa s5, v31, v87 src0_sel:BYTE_1 src1_sel:DWORD
	v_bfrev_b32_e32 v0, 1
	buffer_store_dword v0, off, s[0:3], s32 offset:596 ; 4-byte Folded Spill
	s_and_saveexec_b32 s26, s5
	s_cbranch_execz .LBB384_994
; %bb.989:                              ;   in Loop: Header=BB384_16 Depth=1
	v_mov_b32_e32 v0, 0xffff
	v_mov_b32_e32 v2, 0x7f800001
	s_mov_b32 s27, exec_lo
	v_and_b32_sdwa v0, v0, v31 dst_sel:DWORD dst_unused:UNUSED_PAD src0_sel:DWORD src1_sel:BYTE_1
	buffer_store_dword v2, off, s[0:3], s32 offset:596 ; 4-byte Folded Spill
	v_and_b32_e32 v1, 0x7f, v0
	v_cmpx_ne_u32_e32 0x7f, v1
	s_cbranch_execz .LBB384_993
; %bb.990:                              ;   in Loop: Header=BB384_16 Depth=1
	v_and_b32_e32 v18, 7, v0
	v_mov_b32_e32 v34, v19
	v_lshrrev_b32_e32 v0, 3, v1
	s_mov_b32 s28, exec_lo
	v_mov_b32_e32 v33, v18
	v_cmpx_gt_u32_e32 8, v1
; %bb.991:                              ;   in Loop: Header=BB384_16 Depth=1
	v_ffbh_u32_e32 v0, v18
	v_min_u32_e32 v0, 32, v0
	v_subrev_nc_u32_e32 v1, 28, v0
	v_sub_nc_u32_e32 v0, 29, v0
	v_lshlrev_b64 v[1:2], v1, v[18:19]
	v_and_b32_e32 v33, 7, v1
; %bb.992:                              ;   in Loop: Header=BB384_16 Depth=1
	s_or_b32 exec_lo, exec_lo, s28
	v_lshlrev_b32_e32 v1, 16, v31
	v_lshlrev_b32_e32 v2, 20, v33
	v_lshl_add_u32 v0, v0, 23, 0x3c000000
	v_and_b32_e32 v1, 0x80000000, v1
	v_or3_b32 v0, v2, v1, v0
	buffer_store_dword v0, off, s[0:3], s32 offset:596 ; 4-byte Folded Spill
.LBB384_993:                            ;   in Loop: Header=BB384_16 Depth=1
	s_or_b32 exec_lo, exec_lo, s27
.LBB384_994:                            ;   in Loop: Header=BB384_16 Depth=1
	s_or_b32 exec_lo, exec_lo, s26
.LBB384_995:                            ;   in Loop: Header=BB384_16 Depth=1
	s_or_b32 exec_lo, exec_lo, s25
	v_mov_b32_e32 v0, 0xff
	v_mov_b32_e32 v1, 0
	s_mov_b32 s25, exec_lo
	v_and_b32_sdwa v0, v31, v0 dst_sel:DWORD dst_unused:UNUSED_PAD src0_sel:WORD_1 src1_sel:DWORD
	buffer_store_dword v1, off, s[0:3], s32 offset:600 ; 4-byte Folded Spill
	v_mov_b32_e32 v1, 0
	buffer_store_dword v1, off, s[0:3], s32 offset:784 ; 4-byte Folded Spill
	v_cmpx_ne_u16_e32 0, v0
	s_cbranch_execz .LBB384_1003
; %bb.996:                              ;   in Loop: Header=BB384_16 Depth=1
	v_cmp_ne_u16_e64 s5, 0x80, v0
	v_bfrev_b32_e32 v0, 1
	s_and_saveexec_b32 s26, s5
	s_cbranch_execz .LBB384_1002
; %bb.997:                              ;   in Loop: Header=BB384_16 Depth=1
	v_bfe_u32 v1, v31, 16, 7
	v_mov_b32_e32 v0, 0x7f800001
	s_mov_b32 s27, exec_lo
	v_cmpx_ne_u32_e32 0x7f, v1
	s_cbranch_execz .LBB384_1001
; %bb.998:                              ;   in Loop: Header=BB384_16 Depth=1
	v_mov_b32_e32 v0, 7
	s_mov_b32 s28, exec_lo
	v_and_b32_sdwa v18, v31, v0 dst_sel:DWORD dst_unused:UNUSED_PAD src0_sel:WORD_1 src1_sel:DWORD
	v_mov_b32_e32 v34, v19
	v_lshrrev_b32_e32 v0, 3, v1
	v_mov_b32_e32 v33, v18
	v_cmpx_gt_u32_e32 8, v1
; %bb.999:                              ;   in Loop: Header=BB384_16 Depth=1
	v_ffbh_u32_e32 v0, v18
	v_min_u32_e32 v0, 32, v0
	v_subrev_nc_u32_e32 v1, 28, v0
	v_sub_nc_u32_e32 v0, 29, v0
	v_lshlrev_b64 v[1:2], v1, v[18:19]
	v_and_b32_e32 v33, 7, v1
; %bb.1000:                             ;   in Loop: Header=BB384_16 Depth=1
	s_or_b32 exec_lo, exec_lo, s28
	v_mov_b32_e32 v1, 24
	v_lshlrev_b32_e32 v2, 20, v33
	v_lshl_add_u32 v0, v0, 23, 0x3c000000
	v_lshlrev_b32_sdwa v1, v1, v31 dst_sel:DWORD dst_unused:UNUSED_PAD src0_sel:DWORD src1_sel:WORD_1
	v_and_b32_e32 v1, 0x80000000, v1
	v_or3_b32 v0, v2, v1, v0
.LBB384_1001:                           ;   in Loop: Header=BB384_16 Depth=1
	s_or_b32 exec_lo, exec_lo, s27
.LBB384_1002:                           ;   in Loop: Header=BB384_16 Depth=1
	s_or_b32 exec_lo, exec_lo, s26
	buffer_store_dword v0, off, s[0:3], s32 offset:784 ; 4-byte Folded Spill
.LBB384_1003:                           ;   in Loop: Header=BB384_16 Depth=1
	s_or_b32 exec_lo, exec_lo, s25
	s_mov_b32 s25, exec_lo
	v_cmpx_lt_u32_e32 0xffffff, v31
	s_cbranch_execz .LBB384_1011
; %bb.1004:                             ;   in Loop: Header=BB384_16 Depth=1
	v_cmp_ne_u32_sdwa s5, v31, v87 src0_sel:BYTE_3 src1_sel:DWORD
	v_bfrev_b32_e32 v0, 1
	buffer_store_dword v0, off, s[0:3], s32 offset:600 ; 4-byte Folded Spill
	s_and_saveexec_b32 s26, s5
	s_cbranch_execz .LBB384_1010
; %bb.1005:                             ;   in Loop: Header=BB384_16 Depth=1
	v_bfe_u32 v1, v31, 24, 7
	v_mov_b32_e32 v0, 0x7f800001
	s_mov_b32 s27, exec_lo
	buffer_store_dword v0, off, s[0:3], s32 offset:600 ; 4-byte Folded Spill
	v_cmpx_ne_u32_e32 0x7f, v1
	s_cbranch_execz .LBB384_1009
; %bb.1006:                             ;   in Loop: Header=BB384_16 Depth=1
	v_mov_b32_e32 v0, 7
	s_mov_b32 s28, exec_lo
	v_and_b32_sdwa v18, v31, v0 dst_sel:DWORD dst_unused:UNUSED_PAD src0_sel:BYTE_3 src1_sel:DWORD
	v_mov_b32_e32 v34, v19
	v_lshrrev_b32_e32 v0, 3, v1
	v_mov_b32_e32 v33, v18
	v_cmpx_gt_u32_e32 8, v1
; %bb.1007:                             ;   in Loop: Header=BB384_16 Depth=1
	v_ffbh_u32_e32 v0, v18
	v_min_u32_e32 v0, 32, v0
	v_subrev_nc_u32_e32 v1, 28, v0
	v_sub_nc_u32_e32 v0, 29, v0
	v_lshlrev_b64 v[1:2], v1, v[18:19]
	v_and_b32_e32 v33, 7, v1
; %bb.1008:                             ;   in Loop: Header=BB384_16 Depth=1
	s_or_b32 exec_lo, exec_lo, s28
	v_mov_b32_e32 v1, 24
	v_lshlrev_b32_e32 v2, 20, v33
	v_lshl_add_u32 v0, v0, 23, 0x3c000000
	v_lshlrev_b32_sdwa v1, v1, v31 dst_sel:DWORD dst_unused:UNUSED_PAD src0_sel:DWORD src1_sel:BYTE_3
	v_and_b32_e32 v1, 0x80000000, v1
	v_or3_b32 v0, v2, v1, v0
	buffer_store_dword v0, off, s[0:3], s32 offset:600 ; 4-byte Folded Spill
.LBB384_1009:                           ;   in Loop: Header=BB384_16 Depth=1
	s_or_b32 exec_lo, exec_lo, s27
.LBB384_1010:                           ;   in Loop: Header=BB384_16 Depth=1
	s_or_b32 exec_lo, exec_lo, s26
.LBB384_1011:                           ;   in Loop: Header=BB384_16 Depth=1
	s_or_b32 exec_lo, exec_lo, s25
	v_mov_b32_e32 v0, 0
	v_mov_b32_e32 v18, v32
	v_cmp_ne_u16_sdwa s5, v32, v19 src0_sel:BYTE_0 src1_sel:DWORD
	buffer_store_dword v0, off, s[0:3], s32 offset:608 ; 4-byte Folded Spill
	v_mov_b32_e32 v0, 0
	buffer_store_dword v0, off, s[0:3], s32 offset:604 ; 4-byte Folded Spill
	s_and_saveexec_b32 s25, s5
	s_cbranch_execz .LBB384_1019
; %bb.1012:                             ;   in Loop: Header=BB384_16 Depth=1
	v_cmp_ne_u16_sdwa s5, v32, v87 src0_sel:BYTE_0 src1_sel:DWORD
	v_bfrev_b32_e32 v0, 1
	buffer_store_dword v0, off, s[0:3], s32 offset:604 ; 4-byte Folded Spill
	s_and_saveexec_b32 s26, s5
	s_cbranch_execz .LBB384_1018
; %bb.1013:                             ;   in Loop: Header=BB384_16 Depth=1
	v_and_b32_e32 v1, 0x7f, v32
	v_mov_b32_e32 v0, 0x7f800001
	s_mov_b32 s27, exec_lo
	buffer_store_dword v0, off, s[0:3], s32 offset:604 ; 4-byte Folded Spill
	v_cmpx_ne_u32_e32 0x7f, v1
	s_cbranch_execz .LBB384_1017
; %bb.1014:                             ;   in Loop: Header=BB384_16 Depth=1
	v_mov_b32_e32 v34, v19
	v_mov_b32_e32 v33, v18
	v_lshrrev_b32_e32 v0, 3, v1
	s_mov_b32 s28, exec_lo
	v_cmpx_gt_u32_e32 8, v1
; %bb.1015:                             ;   in Loop: Header=BB384_16 Depth=1
	v_and_b32_e32 v0, 7, v32
	v_ffbh_u32_e32 v0, v0
	v_min_u32_e32 v0, 32, v0
	v_subrev_nc_u32_e32 v1, 28, v0
	v_sub_nc_u32_e32 v0, 29, v0
	v_lshlrev_b64 v[33:34], v1, v[18:19]
; %bb.1016:                             ;   in Loop: Header=BB384_16 Depth=1
	s_or_b32 exec_lo, exec_lo, s28
	v_lshlrev_b32_e32 v1, 20, v33
	v_lshlrev_b32_e32 v2, 24, v18
	v_lshl_add_u32 v0, v0, 23, 0x3c000000
	v_and_b32_e32 v1, 0x700000, v1
	v_and_b32_e32 v2, 0x80000000, v2
	v_or3_b32 v0, v1, v2, v0
	buffer_store_dword v0, off, s[0:3], s32 offset:604 ; 4-byte Folded Spill
.LBB384_1017:                           ;   in Loop: Header=BB384_16 Depth=1
	s_or_b32 exec_lo, exec_lo, s27
.LBB384_1018:                           ;   in Loop: Header=BB384_16 Depth=1
	s_or_b32 exec_lo, exec_lo, s26
.LBB384_1019:                           ;   in Loop: Header=BB384_16 Depth=1
	s_or_b32 exec_lo, exec_lo, s25
	v_cmp_ne_u16_sdwa s5, v18, v19 src0_sel:BYTE_1 src1_sel:DWORD
	s_and_saveexec_b32 s25, s5
	s_cbranch_execz .LBB384_1027
; %bb.1020:                             ;   in Loop: Header=BB384_16 Depth=1
	v_cmp_ne_u16_sdwa s5, v18, v87 src0_sel:BYTE_1 src1_sel:DWORD
	v_bfrev_b32_e32 v0, 1
	buffer_store_dword v0, off, s[0:3], s32 offset:608 ; 4-byte Folded Spill
	s_and_saveexec_b32 s26, s5
	s_cbranch_execz .LBB384_1026
; %bb.1021:                             ;   in Loop: Header=BB384_16 Depth=1
	v_mov_b32_e32 v0, 0xffff
	v_mov_b32_e32 v2, 0x7f800001
	s_mov_b32 s27, exec_lo
	v_and_b32_sdwa v0, v0, v18 dst_sel:DWORD dst_unused:UNUSED_PAD src0_sel:DWORD src1_sel:BYTE_1
	buffer_store_dword v2, off, s[0:3], s32 offset:608 ; 4-byte Folded Spill
	v_and_b32_e32 v1, 0x7f, v0
	v_cmpx_ne_u32_e32 0x7f, v1
	s_cbranch_execz .LBB384_1025
; %bb.1022:                             ;   in Loop: Header=BB384_16 Depth=1
	v_and_b32_e32 v33, 7, v0
	v_mov_b32_e32 v34, v19
	v_lshrrev_b32_e32 v0, 3, v1
	s_mov_b32 s28, exec_lo
	v_cmpx_gt_u32_e32 8, v1
; %bb.1023:                             ;   in Loop: Header=BB384_16 Depth=1
	v_ffbh_u32_e32 v0, v33
	v_min_u32_e32 v0, 32, v0
	v_subrev_nc_u32_e32 v1, 28, v0
	v_sub_nc_u32_e32 v0, 29, v0
	v_lshlrev_b64 v[1:2], v1, v[33:34]
	v_and_b32_e32 v33, 7, v1
; %bb.1024:                             ;   in Loop: Header=BB384_16 Depth=1
	s_or_b32 exec_lo, exec_lo, s28
	v_lshlrev_b32_e32 v1, 16, v18
	v_lshlrev_b32_e32 v2, 20, v33
	v_lshl_add_u32 v0, v0, 23, 0x3c000000
	v_and_b32_e32 v1, 0x80000000, v1
	v_or3_b32 v0, v2, v1, v0
	buffer_store_dword v0, off, s[0:3], s32 offset:608 ; 4-byte Folded Spill
.LBB384_1025:                           ;   in Loop: Header=BB384_16 Depth=1
	s_or_b32 exec_lo, exec_lo, s27
.LBB384_1026:                           ;   in Loop: Header=BB384_16 Depth=1
	s_or_b32 exec_lo, exec_lo, s26
.LBB384_1027:                           ;   in Loop: Header=BB384_16 Depth=1
	s_or_b32 exec_lo, exec_lo, s25
	v_mov_b32_e32 v0, 0xff
	v_mov_b32_e32 v1, 0
	s_mov_b32 s25, exec_lo
	v_and_b32_sdwa v0, v32, v0 dst_sel:DWORD dst_unused:UNUSED_PAD src0_sel:WORD_1 src1_sel:DWORD
	buffer_store_dword v1, off, s[0:3], s32 offset:612 ; 4-byte Folded Spill
	v_mov_b32_e32 v1, 0
	buffer_store_dword v1, off, s[0:3], s32 offset:788 ; 4-byte Folded Spill
	v_cmpx_ne_u16_e32 0, v0
	s_cbranch_execz .LBB384_1035
; %bb.1028:                             ;   in Loop: Header=BB384_16 Depth=1
	v_cmp_ne_u16_e64 s5, 0x80, v0
	v_bfrev_b32_e32 v0, 1
	s_and_saveexec_b32 s26, s5
	s_cbranch_execz .LBB384_1034
; %bb.1029:                             ;   in Loop: Header=BB384_16 Depth=1
	v_bfe_u32 v1, v32, 16, 7
	v_mov_b32_e32 v0, 0x7f800001
	s_mov_b32 s27, exec_lo
	v_cmpx_ne_u32_e32 0x7f, v1
	s_cbranch_execz .LBB384_1033
; %bb.1030:                             ;   in Loop: Header=BB384_16 Depth=1
	v_mov_b32_e32 v0, 7
	s_mov_b32 s28, exec_lo
	v_and_b32_sdwa v18, v32, v0 dst_sel:DWORD dst_unused:UNUSED_PAD src0_sel:WORD_1 src1_sel:DWORD
	v_mov_b32_e32 v34, v19
	v_lshrrev_b32_e32 v0, 3, v1
	v_mov_b32_e32 v33, v18
	v_cmpx_gt_u32_e32 8, v1
; %bb.1031:                             ;   in Loop: Header=BB384_16 Depth=1
	v_ffbh_u32_e32 v0, v18
	v_min_u32_e32 v0, 32, v0
	v_subrev_nc_u32_e32 v1, 28, v0
	v_sub_nc_u32_e32 v0, 29, v0
	v_lshlrev_b64 v[1:2], v1, v[18:19]
	v_and_b32_e32 v33, 7, v1
; %bb.1032:                             ;   in Loop: Header=BB384_16 Depth=1
	s_or_b32 exec_lo, exec_lo, s28
	v_mov_b32_e32 v1, 24
	v_lshlrev_b32_e32 v2, 20, v33
	v_lshl_add_u32 v0, v0, 23, 0x3c000000
	v_lshlrev_b32_sdwa v1, v1, v32 dst_sel:DWORD dst_unused:UNUSED_PAD src0_sel:DWORD src1_sel:WORD_1
	v_and_b32_e32 v1, 0x80000000, v1
	v_or3_b32 v0, v2, v1, v0
.LBB384_1033:                           ;   in Loop: Header=BB384_16 Depth=1
	s_or_b32 exec_lo, exec_lo, s27
.LBB384_1034:                           ;   in Loop: Header=BB384_16 Depth=1
	s_or_b32 exec_lo, exec_lo, s26
	buffer_store_dword v0, off, s[0:3], s32 offset:788 ; 4-byte Folded Spill
.LBB384_1035:                           ;   in Loop: Header=BB384_16 Depth=1
	s_or_b32 exec_lo, exec_lo, s25
	s_mov_b32 s25, exec_lo
	v_cmpx_lt_u64_e64 s[20:21], v[31:32]
	s_cbranch_execz .LBB384_1043
; %bb.1036:                             ;   in Loop: Header=BB384_16 Depth=1
	v_cmp_ne_u32_sdwa s5, v32, v87 src0_sel:BYTE_3 src1_sel:DWORD
	v_bfrev_b32_e32 v0, 1
	buffer_store_dword v0, off, s[0:3], s32 offset:612 ; 4-byte Folded Spill
	s_and_saveexec_b32 s26, s5
	s_cbranch_execz .LBB384_1042
; %bb.1037:                             ;   in Loop: Header=BB384_16 Depth=1
	v_bfe_u32 v1, v32, 24, 7
	v_mov_b32_e32 v0, 0x7f800001
	s_mov_b32 s27, exec_lo
	buffer_store_dword v0, off, s[0:3], s32 offset:612 ; 4-byte Folded Spill
	v_cmpx_ne_u32_e32 0x7f, v1
	s_cbranch_execz .LBB384_1041
; %bb.1038:                             ;   in Loop: Header=BB384_16 Depth=1
	v_mov_b32_e32 v0, 7
	s_mov_b32 s28, exec_lo
	v_and_b32_sdwa v18, v32, v0 dst_sel:DWORD dst_unused:UNUSED_PAD src0_sel:BYTE_3 src1_sel:DWORD
	v_mov_b32_e32 v34, v19
	v_lshrrev_b32_e32 v0, 3, v1
	v_mov_b32_e32 v33, v18
	v_cmpx_gt_u32_e32 8, v1
; %bb.1039:                             ;   in Loop: Header=BB384_16 Depth=1
	v_ffbh_u32_e32 v0, v18
	v_min_u32_e32 v0, 32, v0
	v_subrev_nc_u32_e32 v1, 28, v0
	v_sub_nc_u32_e32 v0, 29, v0
	v_lshlrev_b64 v[1:2], v1, v[18:19]
	v_and_b32_e32 v33, 7, v1
; %bb.1040:                             ;   in Loop: Header=BB384_16 Depth=1
	s_or_b32 exec_lo, exec_lo, s28
	v_mov_b32_e32 v1, 24
	v_lshlrev_b32_e32 v2, 20, v33
	v_lshl_add_u32 v0, v0, 23, 0x3c000000
	v_lshlrev_b32_sdwa v1, v1, v32 dst_sel:DWORD dst_unused:UNUSED_PAD src0_sel:DWORD src1_sel:BYTE_3
	v_and_b32_e32 v1, 0x80000000, v1
	v_or3_b32 v0, v2, v1, v0
	buffer_store_dword v0, off, s[0:3], s32 offset:612 ; 4-byte Folded Spill
.LBB384_1041:                           ;   in Loop: Header=BB384_16 Depth=1
	s_or_b32 exec_lo, exec_lo, s27
.LBB384_1042:                           ;   in Loop: Header=BB384_16 Depth=1
	s_or_b32 exec_lo, exec_lo, s26
.LBB384_1043:                           ;   in Loop: Header=BB384_16 Depth=1
	s_or_b32 exec_lo, exec_lo, s25
	v_add_co_u32 v31, s5, 0x1000, v28
	v_add_co_ci_u32_e64 v32, null, 0, v29, s5
	v_mov_b32_e32 v0, 0
	flat_load_dwordx2 v[33:34], v[31:32]
	buffer_store_dword v0, off, s[0:3], s32 offset:620 ; 4-byte Folded Spill
	v_mov_b32_e32 v0, 0
	buffer_store_dword v0, off, s[0:3], s32 offset:616 ; 4-byte Folded Spill
	s_waitcnt vmcnt(0) lgkmcnt(0)
	v_cmp_ne_u16_sdwa s5, v33, v19 src0_sel:BYTE_0 src1_sel:DWORD
	s_and_saveexec_b32 s25, s5
	s_cbranch_execz .LBB384_1051
; %bb.1044:                             ;   in Loop: Header=BB384_16 Depth=1
	v_cmp_ne_u16_sdwa s5, v33, v87 src0_sel:BYTE_0 src1_sel:DWORD
	v_bfrev_b32_e32 v0, 1
	buffer_store_dword v0, off, s[0:3], s32 offset:616 ; 4-byte Folded Spill
	s_and_saveexec_b32 s26, s5
	s_cbranch_execz .LBB384_1050
; %bb.1045:                             ;   in Loop: Header=BB384_16 Depth=1
	v_and_b32_e32 v1, 0x7f, v33
	v_mov_b32_e32 v0, 0x7f800001
	s_mov_b32 s27, exec_lo
	buffer_store_dword v0, off, s[0:3], s32 offset:616 ; 4-byte Folded Spill
	v_cmpx_ne_u32_e32 0x7f, v1
	s_cbranch_execz .LBB384_1049
; %bb.1046:                             ;   in Loop: Header=BB384_16 Depth=1
	v_mov_b32_e32 v36, v34
	v_lshrrev_b32_e32 v0, 3, v1
	v_mov_b32_e32 v35, v33
	s_mov_b32 s28, exec_lo
	v_cmpx_gt_u32_e32 8, v1
; %bb.1047:                             ;   in Loop: Header=BB384_16 Depth=1
	v_and_b32_e32 v0, 7, v33
	v_ffbh_u32_e32 v0, v0
	v_min_u32_e32 v0, 32, v0
	v_subrev_nc_u32_e32 v1, 28, v0
	v_sub_nc_u32_e32 v0, 29, v0
	v_lshlrev_b64 v[35:36], v1, v[33:34]
; %bb.1048:                             ;   in Loop: Header=BB384_16 Depth=1
	s_or_b32 exec_lo, exec_lo, s28
	v_lshlrev_b32_e32 v1, 20, v35
	v_lshlrev_b32_e32 v2, 24, v33
	v_lshl_add_u32 v0, v0, 23, 0x3c000000
	v_and_b32_e32 v1, 0x700000, v1
	v_and_b32_e32 v2, 0x80000000, v2
	v_or3_b32 v0, v1, v2, v0
	buffer_store_dword v0, off, s[0:3], s32 offset:616 ; 4-byte Folded Spill
.LBB384_1049:                           ;   in Loop: Header=BB384_16 Depth=1
	s_or_b32 exec_lo, exec_lo, s27
.LBB384_1050:                           ;   in Loop: Header=BB384_16 Depth=1
	s_or_b32 exec_lo, exec_lo, s26
.LBB384_1051:                           ;   in Loop: Header=BB384_16 Depth=1
	s_or_b32 exec_lo, exec_lo, s25
	v_cmp_ne_u16_sdwa s5, v33, v19 src0_sel:BYTE_1 src1_sel:DWORD
	s_and_saveexec_b32 s25, s5
	s_cbranch_execz .LBB384_1059
; %bb.1052:                             ;   in Loop: Header=BB384_16 Depth=1
	v_cmp_ne_u16_sdwa s5, v33, v87 src0_sel:BYTE_1 src1_sel:DWORD
	v_bfrev_b32_e32 v0, 1
	buffer_store_dword v0, off, s[0:3], s32 offset:620 ; 4-byte Folded Spill
	s_and_saveexec_b32 s26, s5
	s_cbranch_execz .LBB384_1058
; %bb.1053:                             ;   in Loop: Header=BB384_16 Depth=1
	v_mov_b32_e32 v0, 0xffff
	v_mov_b32_e32 v2, 0x7f800001
	s_mov_b32 s27, exec_lo
	v_and_b32_sdwa v0, v0, v33 dst_sel:DWORD dst_unused:UNUSED_PAD src0_sel:DWORD src1_sel:BYTE_1
	buffer_store_dword v2, off, s[0:3], s32 offset:620 ; 4-byte Folded Spill
	v_and_b32_e32 v1, 0x7f, v0
	v_cmpx_ne_u32_e32 0x7f, v1
	s_cbranch_execz .LBB384_1057
; %bb.1054:                             ;   in Loop: Header=BB384_16 Depth=1
	v_and_b32_e32 v18, 7, v0
	v_mov_b32_e32 v36, v19
	v_lshrrev_b32_e32 v0, 3, v1
	s_mov_b32 s28, exec_lo
	v_mov_b32_e32 v35, v18
	v_cmpx_gt_u32_e32 8, v1
; %bb.1055:                             ;   in Loop: Header=BB384_16 Depth=1
	v_ffbh_u32_e32 v0, v18
	v_min_u32_e32 v0, 32, v0
	v_subrev_nc_u32_e32 v1, 28, v0
	v_sub_nc_u32_e32 v0, 29, v0
	v_lshlrev_b64 v[1:2], v1, v[18:19]
	v_and_b32_e32 v35, 7, v1
; %bb.1056:                             ;   in Loop: Header=BB384_16 Depth=1
	s_or_b32 exec_lo, exec_lo, s28
	v_lshlrev_b32_e32 v1, 16, v33
	v_lshlrev_b32_e32 v2, 20, v35
	v_lshl_add_u32 v0, v0, 23, 0x3c000000
	v_and_b32_e32 v1, 0x80000000, v1
	v_or3_b32 v0, v2, v1, v0
	buffer_store_dword v0, off, s[0:3], s32 offset:620 ; 4-byte Folded Spill
.LBB384_1057:                           ;   in Loop: Header=BB384_16 Depth=1
	s_or_b32 exec_lo, exec_lo, s27
.LBB384_1058:                           ;   in Loop: Header=BB384_16 Depth=1
	s_or_b32 exec_lo, exec_lo, s26
.LBB384_1059:                           ;   in Loop: Header=BB384_16 Depth=1
	s_or_b32 exec_lo, exec_lo, s25
	v_mov_b32_e32 v0, 0xff
	v_mov_b32_e32 v1, 0
	s_mov_b32 s25, exec_lo
	v_and_b32_sdwa v0, v33, v0 dst_sel:DWORD dst_unused:UNUSED_PAD src0_sel:WORD_1 src1_sel:DWORD
	buffer_store_dword v1, off, s[0:3], s32 offset:624 ; 4-byte Folded Spill
	v_mov_b32_e32 v1, 0
	buffer_store_dword v1, off, s[0:3], s32 offset:792 ; 4-byte Folded Spill
	v_cmpx_ne_u16_e32 0, v0
	s_cbranch_execz .LBB384_1067
; %bb.1060:                             ;   in Loop: Header=BB384_16 Depth=1
	v_cmp_ne_u16_e64 s5, 0x80, v0
	v_bfrev_b32_e32 v0, 1
	s_and_saveexec_b32 s26, s5
	s_cbranch_execz .LBB384_1066
; %bb.1061:                             ;   in Loop: Header=BB384_16 Depth=1
	v_bfe_u32 v1, v33, 16, 7
	v_mov_b32_e32 v0, 0x7f800001
	s_mov_b32 s27, exec_lo
	v_cmpx_ne_u32_e32 0x7f, v1
	s_cbranch_execz .LBB384_1065
; %bb.1062:                             ;   in Loop: Header=BB384_16 Depth=1
	v_mov_b32_e32 v0, 7
	s_mov_b32 s28, exec_lo
	v_and_b32_sdwa v18, v33, v0 dst_sel:DWORD dst_unused:UNUSED_PAD src0_sel:WORD_1 src1_sel:DWORD
	v_mov_b32_e32 v36, v19
	v_lshrrev_b32_e32 v0, 3, v1
	v_mov_b32_e32 v35, v18
	v_cmpx_gt_u32_e32 8, v1
; %bb.1063:                             ;   in Loop: Header=BB384_16 Depth=1
	v_ffbh_u32_e32 v0, v18
	v_min_u32_e32 v0, 32, v0
	v_subrev_nc_u32_e32 v1, 28, v0
	v_sub_nc_u32_e32 v0, 29, v0
	v_lshlrev_b64 v[1:2], v1, v[18:19]
	v_and_b32_e32 v35, 7, v1
; %bb.1064:                             ;   in Loop: Header=BB384_16 Depth=1
	s_or_b32 exec_lo, exec_lo, s28
	v_mov_b32_e32 v1, 24
	v_lshlrev_b32_e32 v2, 20, v35
	v_lshl_add_u32 v0, v0, 23, 0x3c000000
	v_lshlrev_b32_sdwa v1, v1, v33 dst_sel:DWORD dst_unused:UNUSED_PAD src0_sel:DWORD src1_sel:WORD_1
	v_and_b32_e32 v1, 0x80000000, v1
	v_or3_b32 v0, v2, v1, v0
.LBB384_1065:                           ;   in Loop: Header=BB384_16 Depth=1
	s_or_b32 exec_lo, exec_lo, s27
.LBB384_1066:                           ;   in Loop: Header=BB384_16 Depth=1
	s_or_b32 exec_lo, exec_lo, s26
	buffer_store_dword v0, off, s[0:3], s32 offset:792 ; 4-byte Folded Spill
.LBB384_1067:                           ;   in Loop: Header=BB384_16 Depth=1
	s_or_b32 exec_lo, exec_lo, s25
	s_mov_b32 s25, exec_lo
	v_cmpx_lt_u32_e32 0xffffff, v33
	s_cbranch_execz .LBB384_1075
; %bb.1068:                             ;   in Loop: Header=BB384_16 Depth=1
	v_cmp_ne_u32_sdwa s5, v33, v87 src0_sel:BYTE_3 src1_sel:DWORD
	v_bfrev_b32_e32 v0, 1
	buffer_store_dword v0, off, s[0:3], s32 offset:624 ; 4-byte Folded Spill
	s_and_saveexec_b32 s26, s5
	s_cbranch_execz .LBB384_1074
; %bb.1069:                             ;   in Loop: Header=BB384_16 Depth=1
	v_bfe_u32 v1, v33, 24, 7
	v_mov_b32_e32 v0, 0x7f800001
	s_mov_b32 s27, exec_lo
	buffer_store_dword v0, off, s[0:3], s32 offset:624 ; 4-byte Folded Spill
	v_cmpx_ne_u32_e32 0x7f, v1
	s_cbranch_execz .LBB384_1073
; %bb.1070:                             ;   in Loop: Header=BB384_16 Depth=1
	v_mov_b32_e32 v0, 7
	s_mov_b32 s28, exec_lo
	v_and_b32_sdwa v18, v33, v0 dst_sel:DWORD dst_unused:UNUSED_PAD src0_sel:BYTE_3 src1_sel:DWORD
	v_mov_b32_e32 v36, v19
	v_lshrrev_b32_e32 v0, 3, v1
	v_mov_b32_e32 v35, v18
	v_cmpx_gt_u32_e32 8, v1
; %bb.1071:                             ;   in Loop: Header=BB384_16 Depth=1
	v_ffbh_u32_e32 v0, v18
	v_min_u32_e32 v0, 32, v0
	v_subrev_nc_u32_e32 v1, 28, v0
	v_sub_nc_u32_e32 v0, 29, v0
	v_lshlrev_b64 v[1:2], v1, v[18:19]
	v_and_b32_e32 v35, 7, v1
; %bb.1072:                             ;   in Loop: Header=BB384_16 Depth=1
	s_or_b32 exec_lo, exec_lo, s28
	v_mov_b32_e32 v1, 24
	v_lshlrev_b32_e32 v2, 20, v35
	v_lshl_add_u32 v0, v0, 23, 0x3c000000
	v_lshlrev_b32_sdwa v1, v1, v33 dst_sel:DWORD dst_unused:UNUSED_PAD src0_sel:DWORD src1_sel:BYTE_3
	v_and_b32_e32 v1, 0x80000000, v1
	v_or3_b32 v0, v2, v1, v0
	buffer_store_dword v0, off, s[0:3], s32 offset:624 ; 4-byte Folded Spill
.LBB384_1073:                           ;   in Loop: Header=BB384_16 Depth=1
	s_or_b32 exec_lo, exec_lo, s27
.LBB384_1074:                           ;   in Loop: Header=BB384_16 Depth=1
	s_or_b32 exec_lo, exec_lo, s26
.LBB384_1075:                           ;   in Loop: Header=BB384_16 Depth=1
	s_or_b32 exec_lo, exec_lo, s25
	v_mov_b32_e32 v0, 0
	v_mov_b32_e32 v18, v34
	v_cmp_ne_u16_sdwa s5, v34, v19 src0_sel:BYTE_0 src1_sel:DWORD
	buffer_store_dword v0, off, s[0:3], s32 offset:632 ; 4-byte Folded Spill
	v_mov_b32_e32 v0, 0
	buffer_store_dword v0, off, s[0:3], s32 offset:628 ; 4-byte Folded Spill
	s_and_saveexec_b32 s25, s5
	s_cbranch_execz .LBB384_1083
; %bb.1076:                             ;   in Loop: Header=BB384_16 Depth=1
	v_cmp_ne_u16_sdwa s5, v34, v87 src0_sel:BYTE_0 src1_sel:DWORD
	v_bfrev_b32_e32 v0, 1
	buffer_store_dword v0, off, s[0:3], s32 offset:628 ; 4-byte Folded Spill
	s_and_saveexec_b32 s26, s5
	s_cbranch_execz .LBB384_1082
; %bb.1077:                             ;   in Loop: Header=BB384_16 Depth=1
	v_and_b32_e32 v1, 0x7f, v34
	v_mov_b32_e32 v0, 0x7f800001
	s_mov_b32 s27, exec_lo
	buffer_store_dword v0, off, s[0:3], s32 offset:628 ; 4-byte Folded Spill
	v_cmpx_ne_u32_e32 0x7f, v1
	s_cbranch_execz .LBB384_1081
; %bb.1078:                             ;   in Loop: Header=BB384_16 Depth=1
	v_mov_b32_e32 v36, v19
	v_mov_b32_e32 v35, v18
	v_lshrrev_b32_e32 v0, 3, v1
	s_mov_b32 s28, exec_lo
	v_cmpx_gt_u32_e32 8, v1
; %bb.1079:                             ;   in Loop: Header=BB384_16 Depth=1
	v_and_b32_e32 v0, 7, v34
	v_ffbh_u32_e32 v0, v0
	v_min_u32_e32 v0, 32, v0
	v_subrev_nc_u32_e32 v1, 28, v0
	v_sub_nc_u32_e32 v0, 29, v0
	v_lshlrev_b64 v[35:36], v1, v[18:19]
; %bb.1080:                             ;   in Loop: Header=BB384_16 Depth=1
	s_or_b32 exec_lo, exec_lo, s28
	v_lshlrev_b32_e32 v1, 20, v35
	v_lshlrev_b32_e32 v2, 24, v18
	v_lshl_add_u32 v0, v0, 23, 0x3c000000
	v_and_b32_e32 v1, 0x700000, v1
	v_and_b32_e32 v2, 0x80000000, v2
	v_or3_b32 v0, v1, v2, v0
	buffer_store_dword v0, off, s[0:3], s32 offset:628 ; 4-byte Folded Spill
.LBB384_1081:                           ;   in Loop: Header=BB384_16 Depth=1
	s_or_b32 exec_lo, exec_lo, s27
.LBB384_1082:                           ;   in Loop: Header=BB384_16 Depth=1
	s_or_b32 exec_lo, exec_lo, s26
.LBB384_1083:                           ;   in Loop: Header=BB384_16 Depth=1
	s_or_b32 exec_lo, exec_lo, s25
	v_cmp_ne_u16_sdwa s5, v18, v19 src0_sel:BYTE_1 src1_sel:DWORD
	s_and_saveexec_b32 s25, s5
	s_cbranch_execz .LBB384_1091
; %bb.1084:                             ;   in Loop: Header=BB384_16 Depth=1
	v_cmp_ne_u16_sdwa s5, v18, v87 src0_sel:BYTE_1 src1_sel:DWORD
	v_bfrev_b32_e32 v0, 1
	buffer_store_dword v0, off, s[0:3], s32 offset:632 ; 4-byte Folded Spill
	s_and_saveexec_b32 s26, s5
	s_cbranch_execz .LBB384_1090
; %bb.1085:                             ;   in Loop: Header=BB384_16 Depth=1
	v_mov_b32_e32 v0, 0xffff
	v_mov_b32_e32 v2, 0x7f800001
	s_mov_b32 s27, exec_lo
	v_and_b32_sdwa v0, v0, v18 dst_sel:DWORD dst_unused:UNUSED_PAD src0_sel:DWORD src1_sel:BYTE_1
	buffer_store_dword v2, off, s[0:3], s32 offset:632 ; 4-byte Folded Spill
	v_and_b32_e32 v1, 0x7f, v0
	v_cmpx_ne_u32_e32 0x7f, v1
	s_cbranch_execz .LBB384_1089
; %bb.1086:                             ;   in Loop: Header=BB384_16 Depth=1
	v_and_b32_e32 v35, 7, v0
	v_mov_b32_e32 v36, v19
	v_lshrrev_b32_e32 v0, 3, v1
	s_mov_b32 s28, exec_lo
	v_cmpx_gt_u32_e32 8, v1
; %bb.1087:                             ;   in Loop: Header=BB384_16 Depth=1
	v_ffbh_u32_e32 v0, v35
	v_min_u32_e32 v0, 32, v0
	v_subrev_nc_u32_e32 v1, 28, v0
	v_sub_nc_u32_e32 v0, 29, v0
	v_lshlrev_b64 v[1:2], v1, v[35:36]
	v_and_b32_e32 v35, 7, v1
; %bb.1088:                             ;   in Loop: Header=BB384_16 Depth=1
	s_or_b32 exec_lo, exec_lo, s28
	v_lshlrev_b32_e32 v1, 16, v18
	v_lshlrev_b32_e32 v2, 20, v35
	v_lshl_add_u32 v0, v0, 23, 0x3c000000
	v_and_b32_e32 v1, 0x80000000, v1
	v_or3_b32 v0, v2, v1, v0
	buffer_store_dword v0, off, s[0:3], s32 offset:632 ; 4-byte Folded Spill
.LBB384_1089:                           ;   in Loop: Header=BB384_16 Depth=1
	s_or_b32 exec_lo, exec_lo, s27
.LBB384_1090:                           ;   in Loop: Header=BB384_16 Depth=1
	s_or_b32 exec_lo, exec_lo, s26
.LBB384_1091:                           ;   in Loop: Header=BB384_16 Depth=1
	s_or_b32 exec_lo, exec_lo, s25
	v_mov_b32_e32 v0, 0xff
	v_mov_b32_e32 v1, 0
	s_mov_b32 s25, exec_lo
	v_and_b32_sdwa v0, v34, v0 dst_sel:DWORD dst_unused:UNUSED_PAD src0_sel:WORD_1 src1_sel:DWORD
	buffer_store_dword v1, off, s[0:3], s32 offset:636 ; 4-byte Folded Spill
	v_mov_b32_e32 v1, 0
	buffer_store_dword v1, off, s[0:3], s32 offset:796 ; 4-byte Folded Spill
	v_cmpx_ne_u16_e32 0, v0
	s_cbranch_execz .LBB384_1099
; %bb.1092:                             ;   in Loop: Header=BB384_16 Depth=1
	v_cmp_ne_u16_e64 s5, 0x80, v0
	v_bfrev_b32_e32 v0, 1
	s_and_saveexec_b32 s26, s5
	s_cbranch_execz .LBB384_1098
; %bb.1093:                             ;   in Loop: Header=BB384_16 Depth=1
	v_bfe_u32 v1, v34, 16, 7
	v_mov_b32_e32 v0, 0x7f800001
	s_mov_b32 s27, exec_lo
	v_cmpx_ne_u32_e32 0x7f, v1
	s_cbranch_execz .LBB384_1097
; %bb.1094:                             ;   in Loop: Header=BB384_16 Depth=1
	v_mov_b32_e32 v0, 7
	s_mov_b32 s28, exec_lo
	v_and_b32_sdwa v18, v34, v0 dst_sel:DWORD dst_unused:UNUSED_PAD src0_sel:WORD_1 src1_sel:DWORD
	v_mov_b32_e32 v36, v19
	v_lshrrev_b32_e32 v0, 3, v1
	v_mov_b32_e32 v35, v18
	v_cmpx_gt_u32_e32 8, v1
; %bb.1095:                             ;   in Loop: Header=BB384_16 Depth=1
	v_ffbh_u32_e32 v0, v18
	v_min_u32_e32 v0, 32, v0
	v_subrev_nc_u32_e32 v1, 28, v0
	v_sub_nc_u32_e32 v0, 29, v0
	v_lshlrev_b64 v[1:2], v1, v[18:19]
	v_and_b32_e32 v35, 7, v1
; %bb.1096:                             ;   in Loop: Header=BB384_16 Depth=1
	s_or_b32 exec_lo, exec_lo, s28
	v_mov_b32_e32 v1, 24
	v_lshlrev_b32_e32 v2, 20, v35
	v_lshl_add_u32 v0, v0, 23, 0x3c000000
	v_lshlrev_b32_sdwa v1, v1, v34 dst_sel:DWORD dst_unused:UNUSED_PAD src0_sel:DWORD src1_sel:WORD_1
	v_and_b32_e32 v1, 0x80000000, v1
	v_or3_b32 v0, v2, v1, v0
.LBB384_1097:                           ;   in Loop: Header=BB384_16 Depth=1
	s_or_b32 exec_lo, exec_lo, s27
.LBB384_1098:                           ;   in Loop: Header=BB384_16 Depth=1
	s_or_b32 exec_lo, exec_lo, s26
	buffer_store_dword v0, off, s[0:3], s32 offset:796 ; 4-byte Folded Spill
.LBB384_1099:                           ;   in Loop: Header=BB384_16 Depth=1
	s_or_b32 exec_lo, exec_lo, s25
	s_mov_b32 s25, exec_lo
	v_cmpx_lt_u64_e64 s[20:21], v[33:34]
	s_cbranch_execz .LBB384_1107
; %bb.1100:                             ;   in Loop: Header=BB384_16 Depth=1
	v_cmp_ne_u32_sdwa s5, v34, v87 src0_sel:BYTE_3 src1_sel:DWORD
	v_bfrev_b32_e32 v0, 1
	buffer_store_dword v0, off, s[0:3], s32 offset:636 ; 4-byte Folded Spill
	s_and_saveexec_b32 s26, s5
	s_cbranch_execz .LBB384_1106
; %bb.1101:                             ;   in Loop: Header=BB384_16 Depth=1
	v_bfe_u32 v1, v34, 24, 7
	v_mov_b32_e32 v0, 0x7f800001
	s_mov_b32 s27, exec_lo
	buffer_store_dword v0, off, s[0:3], s32 offset:636 ; 4-byte Folded Spill
	v_cmpx_ne_u32_e32 0x7f, v1
	s_cbranch_execz .LBB384_1105
; %bb.1102:                             ;   in Loop: Header=BB384_16 Depth=1
	v_mov_b32_e32 v0, 7
	s_mov_b32 s28, exec_lo
	v_and_b32_sdwa v18, v34, v0 dst_sel:DWORD dst_unused:UNUSED_PAD src0_sel:BYTE_3 src1_sel:DWORD
	v_mov_b32_e32 v36, v19
	v_lshrrev_b32_e32 v0, 3, v1
	v_mov_b32_e32 v35, v18
	v_cmpx_gt_u32_e32 8, v1
; %bb.1103:                             ;   in Loop: Header=BB384_16 Depth=1
	v_ffbh_u32_e32 v0, v18
	v_min_u32_e32 v0, 32, v0
	v_subrev_nc_u32_e32 v1, 28, v0
	v_sub_nc_u32_e32 v0, 29, v0
	v_lshlrev_b64 v[1:2], v1, v[18:19]
	v_and_b32_e32 v35, 7, v1
; %bb.1104:                             ;   in Loop: Header=BB384_16 Depth=1
	s_or_b32 exec_lo, exec_lo, s28
	v_mov_b32_e32 v1, 24
	v_lshlrev_b32_e32 v2, 20, v35
	v_lshl_add_u32 v0, v0, 23, 0x3c000000
	v_lshlrev_b32_sdwa v1, v1, v34 dst_sel:DWORD dst_unused:UNUSED_PAD src0_sel:DWORD src1_sel:BYTE_3
	v_and_b32_e32 v1, 0x80000000, v1
	v_or3_b32 v0, v2, v1, v0
	buffer_store_dword v0, off, s[0:3], s32 offset:636 ; 4-byte Folded Spill
.LBB384_1105:                           ;   in Loop: Header=BB384_16 Depth=1
	s_or_b32 exec_lo, exec_lo, s27
.LBB384_1106:                           ;   in Loop: Header=BB384_16 Depth=1
	s_or_b32 exec_lo, exec_lo, s26
.LBB384_1107:                           ;   in Loop: Header=BB384_16 Depth=1
	s_or_b32 exec_lo, exec_lo, s25
	flat_load_dwordx2 v[33:34], v[31:32] offset:8
	v_mov_b32_e32 v0, 0
	buffer_store_dword v0, off, s[0:3], s32 offset:644 ; 4-byte Folded Spill
	v_mov_b32_e32 v0, 0
	buffer_store_dword v0, off, s[0:3], s32 offset:640 ; 4-byte Folded Spill
	s_waitcnt vmcnt(0) lgkmcnt(0)
	v_cmp_ne_u16_sdwa s5, v33, v19 src0_sel:BYTE_0 src1_sel:DWORD
	s_and_saveexec_b32 s25, s5
	s_cbranch_execz .LBB384_1115
; %bb.1108:                             ;   in Loop: Header=BB384_16 Depth=1
	v_cmp_ne_u16_sdwa s5, v33, v87 src0_sel:BYTE_0 src1_sel:DWORD
	v_bfrev_b32_e32 v0, 1
	buffer_store_dword v0, off, s[0:3], s32 offset:640 ; 4-byte Folded Spill
	s_and_saveexec_b32 s26, s5
	s_cbranch_execz .LBB384_1114
; %bb.1109:                             ;   in Loop: Header=BB384_16 Depth=1
	v_and_b32_e32 v1, 0x7f, v33
	v_mov_b32_e32 v0, 0x7f800001
	s_mov_b32 s27, exec_lo
	buffer_store_dword v0, off, s[0:3], s32 offset:640 ; 4-byte Folded Spill
	v_cmpx_ne_u32_e32 0x7f, v1
	s_cbranch_execz .LBB384_1113
; %bb.1110:                             ;   in Loop: Header=BB384_16 Depth=1
	v_mov_b32_e32 v36, v34
	v_lshrrev_b32_e32 v0, 3, v1
	v_mov_b32_e32 v35, v33
	s_mov_b32 s28, exec_lo
	v_cmpx_gt_u32_e32 8, v1
; %bb.1111:                             ;   in Loop: Header=BB384_16 Depth=1
	v_and_b32_e32 v0, 7, v33
	v_ffbh_u32_e32 v0, v0
	v_min_u32_e32 v0, 32, v0
	v_subrev_nc_u32_e32 v1, 28, v0
	v_sub_nc_u32_e32 v0, 29, v0
	v_lshlrev_b64 v[35:36], v1, v[33:34]
; %bb.1112:                             ;   in Loop: Header=BB384_16 Depth=1
	s_or_b32 exec_lo, exec_lo, s28
	v_lshlrev_b32_e32 v1, 20, v35
	v_lshlrev_b32_e32 v2, 24, v33
	v_lshl_add_u32 v0, v0, 23, 0x3c000000
	v_and_b32_e32 v1, 0x700000, v1
	v_and_b32_e32 v2, 0x80000000, v2
	v_or3_b32 v0, v1, v2, v0
	buffer_store_dword v0, off, s[0:3], s32 offset:640 ; 4-byte Folded Spill
.LBB384_1113:                           ;   in Loop: Header=BB384_16 Depth=1
	s_or_b32 exec_lo, exec_lo, s27
.LBB384_1114:                           ;   in Loop: Header=BB384_16 Depth=1
	s_or_b32 exec_lo, exec_lo, s26
.LBB384_1115:                           ;   in Loop: Header=BB384_16 Depth=1
	s_or_b32 exec_lo, exec_lo, s25
	v_cmp_ne_u16_sdwa s5, v33, v19 src0_sel:BYTE_1 src1_sel:DWORD
	s_and_saveexec_b32 s25, s5
	s_cbranch_execz .LBB384_1123
; %bb.1116:                             ;   in Loop: Header=BB384_16 Depth=1
	v_cmp_ne_u16_sdwa s5, v33, v87 src0_sel:BYTE_1 src1_sel:DWORD
	v_bfrev_b32_e32 v0, 1
	buffer_store_dword v0, off, s[0:3], s32 offset:644 ; 4-byte Folded Spill
	s_and_saveexec_b32 s26, s5
	s_cbranch_execz .LBB384_1122
; %bb.1117:                             ;   in Loop: Header=BB384_16 Depth=1
	v_mov_b32_e32 v0, 0xffff
	v_mov_b32_e32 v2, 0x7f800001
	s_mov_b32 s27, exec_lo
	v_and_b32_sdwa v0, v0, v33 dst_sel:DWORD dst_unused:UNUSED_PAD src0_sel:DWORD src1_sel:BYTE_1
	buffer_store_dword v2, off, s[0:3], s32 offset:644 ; 4-byte Folded Spill
	v_and_b32_e32 v1, 0x7f, v0
	v_cmpx_ne_u32_e32 0x7f, v1
	s_cbranch_execz .LBB384_1121
; %bb.1118:                             ;   in Loop: Header=BB384_16 Depth=1
	v_and_b32_e32 v18, 7, v0
	v_mov_b32_e32 v36, v19
	v_lshrrev_b32_e32 v0, 3, v1
	s_mov_b32 s28, exec_lo
	v_mov_b32_e32 v35, v18
	v_cmpx_gt_u32_e32 8, v1
; %bb.1119:                             ;   in Loop: Header=BB384_16 Depth=1
	v_ffbh_u32_e32 v0, v18
	v_min_u32_e32 v0, 32, v0
	v_subrev_nc_u32_e32 v1, 28, v0
	v_sub_nc_u32_e32 v0, 29, v0
	v_lshlrev_b64 v[1:2], v1, v[18:19]
	v_and_b32_e32 v35, 7, v1
; %bb.1120:                             ;   in Loop: Header=BB384_16 Depth=1
	s_or_b32 exec_lo, exec_lo, s28
	v_lshlrev_b32_e32 v1, 16, v33
	v_lshlrev_b32_e32 v2, 20, v35
	v_lshl_add_u32 v0, v0, 23, 0x3c000000
	v_and_b32_e32 v1, 0x80000000, v1
	v_or3_b32 v0, v2, v1, v0
	buffer_store_dword v0, off, s[0:3], s32 offset:644 ; 4-byte Folded Spill
.LBB384_1121:                           ;   in Loop: Header=BB384_16 Depth=1
	s_or_b32 exec_lo, exec_lo, s27
.LBB384_1122:                           ;   in Loop: Header=BB384_16 Depth=1
	s_or_b32 exec_lo, exec_lo, s26
.LBB384_1123:                           ;   in Loop: Header=BB384_16 Depth=1
	s_or_b32 exec_lo, exec_lo, s25
	v_mov_b32_e32 v0, 0xff
	v_mov_b32_e32 v1, 0
	;; [unrolled: 1-line block ×3, first 2 shown]
	s_mov_b32 s25, exec_lo
	v_and_b32_sdwa v0, v33, v0 dst_sel:DWORD dst_unused:UNUSED_PAD src0_sel:WORD_1 src1_sel:DWORD
	buffer_store_dword v1, off, s[0:3], s32 offset:648 ; 4-byte Folded Spill
	v_cmpx_ne_u16_e32 0, v0
	s_cbranch_execz .LBB384_1131
; %bb.1124:                             ;   in Loop: Header=BB384_16 Depth=1
	v_bfrev_b32_e32 v95, 1
	s_mov_b32 s26, exec_lo
	v_cmpx_ne_u16_e32 0x80, v0
	s_cbranch_execz .LBB384_1130
; %bb.1125:                             ;   in Loop: Header=BB384_16 Depth=1
	v_bfe_u32 v1, v33, 16, 7
	v_mov_b32_e32 v95, 0x7f800001
	s_mov_b32 s27, exec_lo
	v_cmpx_ne_u32_e32 0x7f, v1
	s_cbranch_execz .LBB384_1129
; %bb.1126:                             ;   in Loop: Header=BB384_16 Depth=1
	v_mov_b32_e32 v0, 7
	s_mov_b32 s28, exec_lo
	v_and_b32_sdwa v18, v33, v0 dst_sel:DWORD dst_unused:UNUSED_PAD src0_sel:WORD_1 src1_sel:DWORD
	v_mov_b32_e32 v36, v19
	v_lshrrev_b32_e32 v0, 3, v1
	v_mov_b32_e32 v35, v18
	v_cmpx_gt_u32_e32 8, v1
; %bb.1127:                             ;   in Loop: Header=BB384_16 Depth=1
	v_ffbh_u32_e32 v0, v18
	v_min_u32_e32 v0, 32, v0
	v_subrev_nc_u32_e32 v1, 28, v0
	v_sub_nc_u32_e32 v0, 29, v0
	v_lshlrev_b64 v[1:2], v1, v[18:19]
	v_and_b32_e32 v35, 7, v1
; %bb.1128:                             ;   in Loop: Header=BB384_16 Depth=1
	s_or_b32 exec_lo, exec_lo, s28
	v_mov_b32_e32 v1, 24
	v_lshlrev_b32_e32 v2, 20, v35
	v_lshl_add_u32 v0, v0, 23, 0x3c000000
	v_lshlrev_b32_sdwa v1, v1, v33 dst_sel:DWORD dst_unused:UNUSED_PAD src0_sel:DWORD src1_sel:WORD_1
	v_and_b32_e32 v1, 0x80000000, v1
	v_or3_b32 v95, v2, v1, v0
.LBB384_1129:                           ;   in Loop: Header=BB384_16 Depth=1
	s_or_b32 exec_lo, exec_lo, s27
.LBB384_1130:                           ;   in Loop: Header=BB384_16 Depth=1
	s_or_b32 exec_lo, exec_lo, s26
.LBB384_1131:                           ;   in Loop: Header=BB384_16 Depth=1
	s_or_b32 exec_lo, exec_lo, s25
	s_mov_b32 s25, exec_lo
	v_cmpx_lt_u32_e32 0xffffff, v33
	s_cbranch_execz .LBB384_1139
; %bb.1132:                             ;   in Loop: Header=BB384_16 Depth=1
	v_cmp_ne_u32_sdwa s5, v33, v87 src0_sel:BYTE_3 src1_sel:DWORD
	v_bfrev_b32_e32 v0, 1
	buffer_store_dword v0, off, s[0:3], s32 offset:648 ; 4-byte Folded Spill
	s_and_saveexec_b32 s26, s5
	s_cbranch_execz .LBB384_1138
; %bb.1133:                             ;   in Loop: Header=BB384_16 Depth=1
	v_bfe_u32 v1, v33, 24, 7
	v_mov_b32_e32 v0, 0x7f800001
	s_mov_b32 s27, exec_lo
	buffer_store_dword v0, off, s[0:3], s32 offset:648 ; 4-byte Folded Spill
	v_cmpx_ne_u32_e32 0x7f, v1
	s_cbranch_execz .LBB384_1137
; %bb.1134:                             ;   in Loop: Header=BB384_16 Depth=1
	v_mov_b32_e32 v0, 7
	s_mov_b32 s28, exec_lo
	v_and_b32_sdwa v18, v33, v0 dst_sel:DWORD dst_unused:UNUSED_PAD src0_sel:BYTE_3 src1_sel:DWORD
	v_mov_b32_e32 v36, v19
	v_lshrrev_b32_e32 v0, 3, v1
	v_mov_b32_e32 v35, v18
	v_cmpx_gt_u32_e32 8, v1
; %bb.1135:                             ;   in Loop: Header=BB384_16 Depth=1
	v_ffbh_u32_e32 v0, v18
	v_min_u32_e32 v0, 32, v0
	v_subrev_nc_u32_e32 v1, 28, v0
	v_sub_nc_u32_e32 v0, 29, v0
	v_lshlrev_b64 v[1:2], v1, v[18:19]
	v_and_b32_e32 v35, 7, v1
; %bb.1136:                             ;   in Loop: Header=BB384_16 Depth=1
	s_or_b32 exec_lo, exec_lo, s28
	v_mov_b32_e32 v1, 24
	v_lshlrev_b32_e32 v2, 20, v35
	v_lshl_add_u32 v0, v0, 23, 0x3c000000
	v_lshlrev_b32_sdwa v1, v1, v33 dst_sel:DWORD dst_unused:UNUSED_PAD src0_sel:DWORD src1_sel:BYTE_3
	v_and_b32_e32 v1, 0x80000000, v1
	v_or3_b32 v0, v2, v1, v0
	buffer_store_dword v0, off, s[0:3], s32 offset:648 ; 4-byte Folded Spill
.LBB384_1137:                           ;   in Loop: Header=BB384_16 Depth=1
	s_or_b32 exec_lo, exec_lo, s27
.LBB384_1138:                           ;   in Loop: Header=BB384_16 Depth=1
	s_or_b32 exec_lo, exec_lo, s26
.LBB384_1139:                           ;   in Loop: Header=BB384_16 Depth=1
	s_or_b32 exec_lo, exec_lo, s25
	v_mov_b32_e32 v0, 0
	v_mov_b32_e32 v18, v34
	v_cmp_ne_u16_sdwa s5, v34, v19 src0_sel:BYTE_0 src1_sel:DWORD
	buffer_store_dword v0, off, s[0:3], s32 offset:656 ; 4-byte Folded Spill
	v_mov_b32_e32 v0, 0
	buffer_store_dword v0, off, s[0:3], s32 offset:652 ; 4-byte Folded Spill
	s_and_saveexec_b32 s25, s5
	s_cbranch_execz .LBB384_1147
; %bb.1140:                             ;   in Loop: Header=BB384_16 Depth=1
	v_cmp_ne_u16_sdwa s5, v34, v87 src0_sel:BYTE_0 src1_sel:DWORD
	v_bfrev_b32_e32 v0, 1
	buffer_store_dword v0, off, s[0:3], s32 offset:652 ; 4-byte Folded Spill
	s_and_saveexec_b32 s26, s5
	s_cbranch_execz .LBB384_1146
; %bb.1141:                             ;   in Loop: Header=BB384_16 Depth=1
	v_and_b32_e32 v1, 0x7f, v34
	v_mov_b32_e32 v0, 0x7f800001
	s_mov_b32 s27, exec_lo
	buffer_store_dword v0, off, s[0:3], s32 offset:652 ; 4-byte Folded Spill
	v_cmpx_ne_u32_e32 0x7f, v1
	s_cbranch_execz .LBB384_1145
; %bb.1142:                             ;   in Loop: Header=BB384_16 Depth=1
	v_mov_b32_e32 v36, v19
	v_mov_b32_e32 v35, v18
	v_lshrrev_b32_e32 v0, 3, v1
	s_mov_b32 s28, exec_lo
	v_cmpx_gt_u32_e32 8, v1
; %bb.1143:                             ;   in Loop: Header=BB384_16 Depth=1
	v_and_b32_e32 v0, 7, v34
	v_ffbh_u32_e32 v0, v0
	v_min_u32_e32 v0, 32, v0
	v_subrev_nc_u32_e32 v1, 28, v0
	v_sub_nc_u32_e32 v0, 29, v0
	v_lshlrev_b64 v[35:36], v1, v[18:19]
; %bb.1144:                             ;   in Loop: Header=BB384_16 Depth=1
	s_or_b32 exec_lo, exec_lo, s28
	v_lshlrev_b32_e32 v1, 20, v35
	v_lshlrev_b32_e32 v2, 24, v18
	v_lshl_add_u32 v0, v0, 23, 0x3c000000
	v_and_b32_e32 v1, 0x700000, v1
	v_and_b32_e32 v2, 0x80000000, v2
	v_or3_b32 v0, v1, v2, v0
	buffer_store_dword v0, off, s[0:3], s32 offset:652 ; 4-byte Folded Spill
.LBB384_1145:                           ;   in Loop: Header=BB384_16 Depth=1
	s_or_b32 exec_lo, exec_lo, s27
.LBB384_1146:                           ;   in Loop: Header=BB384_16 Depth=1
	s_or_b32 exec_lo, exec_lo, s26
.LBB384_1147:                           ;   in Loop: Header=BB384_16 Depth=1
	s_or_b32 exec_lo, exec_lo, s25
	v_cmp_ne_u16_sdwa s5, v18, v19 src0_sel:BYTE_1 src1_sel:DWORD
	s_and_saveexec_b32 s25, s5
	s_cbranch_execz .LBB384_1155
; %bb.1148:                             ;   in Loop: Header=BB384_16 Depth=1
	v_cmp_ne_u16_sdwa s5, v18, v87 src0_sel:BYTE_1 src1_sel:DWORD
	v_bfrev_b32_e32 v0, 1
	buffer_store_dword v0, off, s[0:3], s32 offset:656 ; 4-byte Folded Spill
	s_and_saveexec_b32 s26, s5
	s_cbranch_execz .LBB384_1154
; %bb.1149:                             ;   in Loop: Header=BB384_16 Depth=1
	v_mov_b32_e32 v0, 0xffff
	v_mov_b32_e32 v2, 0x7f800001
	s_mov_b32 s27, exec_lo
	v_and_b32_sdwa v0, v0, v18 dst_sel:DWORD dst_unused:UNUSED_PAD src0_sel:DWORD src1_sel:BYTE_1
	buffer_store_dword v2, off, s[0:3], s32 offset:656 ; 4-byte Folded Spill
	v_and_b32_e32 v1, 0x7f, v0
	v_cmpx_ne_u32_e32 0x7f, v1
	s_cbranch_execz .LBB384_1153
; %bb.1150:                             ;   in Loop: Header=BB384_16 Depth=1
	v_and_b32_e32 v35, 7, v0
	v_mov_b32_e32 v36, v19
	v_lshrrev_b32_e32 v0, 3, v1
	s_mov_b32 s28, exec_lo
	v_cmpx_gt_u32_e32 8, v1
; %bb.1151:                             ;   in Loop: Header=BB384_16 Depth=1
	v_ffbh_u32_e32 v0, v35
	v_min_u32_e32 v0, 32, v0
	v_subrev_nc_u32_e32 v1, 28, v0
	v_sub_nc_u32_e32 v0, 29, v0
	v_lshlrev_b64 v[1:2], v1, v[35:36]
	v_and_b32_e32 v35, 7, v1
; %bb.1152:                             ;   in Loop: Header=BB384_16 Depth=1
	s_or_b32 exec_lo, exec_lo, s28
	v_lshlrev_b32_e32 v1, 16, v18
	v_lshlrev_b32_e32 v2, 20, v35
	v_lshl_add_u32 v0, v0, 23, 0x3c000000
	v_and_b32_e32 v1, 0x80000000, v1
	v_or3_b32 v0, v2, v1, v0
	buffer_store_dword v0, off, s[0:3], s32 offset:656 ; 4-byte Folded Spill
.LBB384_1153:                           ;   in Loop: Header=BB384_16 Depth=1
	s_or_b32 exec_lo, exec_lo, s27
.LBB384_1154:                           ;   in Loop: Header=BB384_16 Depth=1
	s_or_b32 exec_lo, exec_lo, s26
.LBB384_1155:                           ;   in Loop: Header=BB384_16 Depth=1
	s_or_b32 exec_lo, exec_lo, s25
	v_mov_b32_e32 v0, 0xff
	v_mov_b32_e32 v1, 0
	v_mov_b32_e32 v124, 0
	s_mov_b32 s25, exec_lo
	v_and_b32_sdwa v0, v34, v0 dst_sel:DWORD dst_unused:UNUSED_PAD src0_sel:WORD_1 src1_sel:DWORD
	buffer_store_dword v1, off, s[0:3], s32 offset:660 ; 4-byte Folded Spill
	v_cmpx_ne_u16_e32 0, v0
	s_cbranch_execz .LBB384_1163
; %bb.1156:                             ;   in Loop: Header=BB384_16 Depth=1
	v_bfrev_b32_e32 v124, 1
	s_mov_b32 s26, exec_lo
	v_cmpx_ne_u16_e32 0x80, v0
	s_cbranch_execz .LBB384_1162
; %bb.1157:                             ;   in Loop: Header=BB384_16 Depth=1
	v_bfe_u32 v1, v34, 16, 7
	v_mov_b32_e32 v124, 0x7f800001
	s_mov_b32 s27, exec_lo
	v_cmpx_ne_u32_e32 0x7f, v1
	s_cbranch_execz .LBB384_1161
; %bb.1158:                             ;   in Loop: Header=BB384_16 Depth=1
	v_mov_b32_e32 v0, 7
	s_mov_b32 s28, exec_lo
	v_and_b32_sdwa v18, v34, v0 dst_sel:DWORD dst_unused:UNUSED_PAD src0_sel:WORD_1 src1_sel:DWORD
	v_mov_b32_e32 v36, v19
	v_lshrrev_b32_e32 v0, 3, v1
	v_mov_b32_e32 v35, v18
	v_cmpx_gt_u32_e32 8, v1
; %bb.1159:                             ;   in Loop: Header=BB384_16 Depth=1
	v_ffbh_u32_e32 v0, v18
	v_min_u32_e32 v0, 32, v0
	v_subrev_nc_u32_e32 v1, 28, v0
	v_sub_nc_u32_e32 v0, 29, v0
	v_lshlrev_b64 v[1:2], v1, v[18:19]
	v_and_b32_e32 v35, 7, v1
; %bb.1160:                             ;   in Loop: Header=BB384_16 Depth=1
	s_or_b32 exec_lo, exec_lo, s28
	v_mov_b32_e32 v1, 24
	v_lshlrev_b32_e32 v2, 20, v35
	v_lshl_add_u32 v0, v0, 23, 0x3c000000
	v_lshlrev_b32_sdwa v1, v1, v34 dst_sel:DWORD dst_unused:UNUSED_PAD src0_sel:DWORD src1_sel:WORD_1
	v_and_b32_e32 v1, 0x80000000, v1
	v_or3_b32 v124, v2, v1, v0
.LBB384_1161:                           ;   in Loop: Header=BB384_16 Depth=1
	s_or_b32 exec_lo, exec_lo, s27
.LBB384_1162:                           ;   in Loop: Header=BB384_16 Depth=1
	s_or_b32 exec_lo, exec_lo, s26
.LBB384_1163:                           ;   in Loop: Header=BB384_16 Depth=1
	s_or_b32 exec_lo, exec_lo, s25
	s_mov_b32 s25, exec_lo
	v_cmpx_lt_u64_e64 s[20:21], v[33:34]
	s_cbranch_execz .LBB384_1171
; %bb.1164:                             ;   in Loop: Header=BB384_16 Depth=1
	v_cmp_ne_u32_sdwa s5, v34, v87 src0_sel:BYTE_3 src1_sel:DWORD
	v_bfrev_b32_e32 v0, 1
	buffer_store_dword v0, off, s[0:3], s32 offset:660 ; 4-byte Folded Spill
	s_and_saveexec_b32 s26, s5
	s_cbranch_execz .LBB384_1170
; %bb.1165:                             ;   in Loop: Header=BB384_16 Depth=1
	v_bfe_u32 v1, v34, 24, 7
	v_mov_b32_e32 v0, 0x7f800001
	s_mov_b32 s27, exec_lo
	buffer_store_dword v0, off, s[0:3], s32 offset:660 ; 4-byte Folded Spill
	v_cmpx_ne_u32_e32 0x7f, v1
	s_cbranch_execz .LBB384_1169
; %bb.1166:                             ;   in Loop: Header=BB384_16 Depth=1
	v_mov_b32_e32 v0, 7
	s_mov_b32 s28, exec_lo
	v_and_b32_sdwa v18, v34, v0 dst_sel:DWORD dst_unused:UNUSED_PAD src0_sel:BYTE_3 src1_sel:DWORD
	v_mov_b32_e32 v36, v19
	v_lshrrev_b32_e32 v0, 3, v1
	v_mov_b32_e32 v35, v18
	v_cmpx_gt_u32_e32 8, v1
; %bb.1167:                             ;   in Loop: Header=BB384_16 Depth=1
	v_ffbh_u32_e32 v0, v18
	v_min_u32_e32 v0, 32, v0
	v_subrev_nc_u32_e32 v1, 28, v0
	v_sub_nc_u32_e32 v0, 29, v0
	v_lshlrev_b64 v[1:2], v1, v[18:19]
	v_and_b32_e32 v35, 7, v1
; %bb.1168:                             ;   in Loop: Header=BB384_16 Depth=1
	s_or_b32 exec_lo, exec_lo, s28
	v_mov_b32_e32 v1, 24
	v_lshlrev_b32_e32 v2, 20, v35
	v_lshl_add_u32 v0, v0, 23, 0x3c000000
	v_lshlrev_b32_sdwa v1, v1, v34 dst_sel:DWORD dst_unused:UNUSED_PAD src0_sel:DWORD src1_sel:BYTE_3
	v_and_b32_e32 v1, 0x80000000, v1
	v_or3_b32 v0, v2, v1, v0
	buffer_store_dword v0, off, s[0:3], s32 offset:660 ; 4-byte Folded Spill
.LBB384_1169:                           ;   in Loop: Header=BB384_16 Depth=1
	s_or_b32 exec_lo, exec_lo, s27
.LBB384_1170:                           ;   in Loop: Header=BB384_16 Depth=1
	s_or_b32 exec_lo, exec_lo, s26
.LBB384_1171:                           ;   in Loop: Header=BB384_16 Depth=1
	s_or_b32 exec_lo, exec_lo, s25
	flat_load_dwordx2 v[33:34], v[31:32] offset:512
	v_mov_b32_e32 v1, 0
	v_mov_b32_e32 v125, 0
	s_waitcnt vmcnt(0) lgkmcnt(0)
	v_cmp_ne_u16_sdwa s5, v33, v19 src0_sel:BYTE_0 src1_sel:DWORD
	s_and_saveexec_b32 s25, s5
	s_cbranch_execz .LBB384_1179
; %bb.1172:                             ;   in Loop: Header=BB384_16 Depth=1
	v_cmp_ne_u16_sdwa s5, v33, v87 src0_sel:BYTE_0 src1_sel:DWORD
	v_bfrev_b32_e32 v125, 1
	s_and_saveexec_b32 s26, s5
	s_cbranch_execz .LBB384_1178
; %bb.1173:                             ;   in Loop: Header=BB384_16 Depth=1
	v_and_b32_e32 v2, 0x7f, v33
	v_mov_b32_e32 v125, 0x7f800001
	s_mov_b32 s27, exec_lo
	v_cmpx_ne_u32_e32 0x7f, v2
	s_cbranch_execz .LBB384_1177
; %bb.1174:                             ;   in Loop: Header=BB384_16 Depth=1
	v_mov_b32_e32 v36, v34
	v_lshrrev_b32_e32 v0, 3, v2
	v_mov_b32_e32 v35, v33
	s_mov_b32 s28, exec_lo
	v_cmpx_gt_u32_e32 8, v2
; %bb.1175:                             ;   in Loop: Header=BB384_16 Depth=1
	v_and_b32_e32 v0, 7, v33
	v_ffbh_u32_e32 v0, v0
	v_min_u32_e32 v0, 32, v0
	v_subrev_nc_u32_e32 v2, 28, v0
	v_sub_nc_u32_e32 v0, 29, v0
	v_lshlrev_b64 v[35:36], v2, v[33:34]
; %bb.1176:                             ;   in Loop: Header=BB384_16 Depth=1
	s_or_b32 exec_lo, exec_lo, s28
	v_lshlrev_b32_e32 v2, 20, v35
	v_lshlrev_b32_e32 v3, 24, v33
	v_lshl_add_u32 v0, v0, 23, 0x3c000000
	v_and_b32_e32 v2, 0x700000, v2
	v_and_b32_e32 v3, 0x80000000, v3
	v_or3_b32 v125, v2, v3, v0
.LBB384_1177:                           ;   in Loop: Header=BB384_16 Depth=1
	s_or_b32 exec_lo, exec_lo, s27
.LBB384_1178:                           ;   in Loop: Header=BB384_16 Depth=1
	s_or_b32 exec_lo, exec_lo, s26
.LBB384_1179:                           ;   in Loop: Header=BB384_16 Depth=1
	s_or_b32 exec_lo, exec_lo, s25
	v_cmp_ne_u16_sdwa s5, v33, v19 src0_sel:BYTE_1 src1_sel:DWORD
	s_and_saveexec_b32 s25, s5
	s_cbranch_execz .LBB384_1187
; %bb.1180:                             ;   in Loop: Header=BB384_16 Depth=1
	v_cmp_ne_u16_sdwa s5, v33, v87 src0_sel:BYTE_1 src1_sel:DWORD
	v_bfrev_b32_e32 v1, 1
	s_and_saveexec_b32 s26, s5
	s_cbranch_execz .LBB384_1186
; %bb.1181:                             ;   in Loop: Header=BB384_16 Depth=1
	v_mov_b32_e32 v0, 0xffff
	v_mov_b32_e32 v1, 0x7f800001
	s_mov_b32 s27, exec_lo
	v_and_b32_sdwa v0, v0, v33 dst_sel:DWORD dst_unused:UNUSED_PAD src0_sel:DWORD src1_sel:BYTE_1
	v_and_b32_e32 v2, 0x7f, v0
	v_cmpx_ne_u32_e32 0x7f, v2
	s_cbranch_execz .LBB384_1185
; %bb.1182:                             ;   in Loop: Header=BB384_16 Depth=1
	v_and_b32_e32 v18, 7, v0
	v_mov_b32_e32 v36, v19
	v_lshrrev_b32_e32 v0, 3, v2
	s_mov_b32 s28, exec_lo
	v_mov_b32_e32 v35, v18
	v_cmpx_gt_u32_e32 8, v2
; %bb.1183:                             ;   in Loop: Header=BB384_16 Depth=1
	v_ffbh_u32_e32 v0, v18
	v_min_u32_e32 v0, 32, v0
	v_subrev_nc_u32_e32 v1, 28, v0
	v_sub_nc_u32_e32 v0, 29, v0
	v_lshlrev_b64 v[1:2], v1, v[18:19]
	v_and_b32_e32 v35, 7, v1
; %bb.1184:                             ;   in Loop: Header=BB384_16 Depth=1
	s_or_b32 exec_lo, exec_lo, s28
	v_lshlrev_b32_e32 v1, 16, v33
	v_lshlrev_b32_e32 v2, 20, v35
	v_lshl_add_u32 v0, v0, 23, 0x3c000000
	v_and_b32_e32 v1, 0x80000000, v1
	v_or3_b32 v1, v2, v1, v0
.LBB384_1185:                           ;   in Loop: Header=BB384_16 Depth=1
	s_or_b32 exec_lo, exec_lo, s27
.LBB384_1186:                           ;   in Loop: Header=BB384_16 Depth=1
	s_or_b32 exec_lo, exec_lo, s26
.LBB384_1187:                           ;   in Loop: Header=BB384_16 Depth=1
	s_or_b32 exec_lo, exec_lo, s25
	v_mov_b32_e32 v0, 0xff
	v_mov_b32_e32 v2, 0
	s_mov_b32 s25, exec_lo
	v_and_b32_sdwa v3, v33, v0 dst_sel:DWORD dst_unused:UNUSED_PAD src0_sel:WORD_1 src1_sel:DWORD
	v_mov_b32_e32 v0, 0
	v_cmpx_ne_u16_e32 0, v3
	s_cbranch_execz .LBB384_1195
; %bb.1188:                             ;   in Loop: Header=BB384_16 Depth=1
	v_bfrev_b32_e32 v2, 1
	s_mov_b32 s26, exec_lo
	v_cmpx_ne_u16_e32 0x80, v3
	s_cbranch_execz .LBB384_1194
; %bb.1189:                             ;   in Loop: Header=BB384_16 Depth=1
	v_bfe_u32 v3, v33, 16, 7
	v_mov_b32_e32 v2, 0x7f800001
	s_mov_b32 s27, exec_lo
	v_cmpx_ne_u32_e32 0x7f, v3
	s_cbranch_execz .LBB384_1193
; %bb.1190:                             ;   in Loop: Header=BB384_16 Depth=1
	v_mov_b32_e32 v2, 7
	s_mov_b32 s28, exec_lo
	v_and_b32_sdwa v18, v33, v2 dst_sel:DWORD dst_unused:UNUSED_PAD src0_sel:WORD_1 src1_sel:DWORD
	v_mov_b32_e32 v36, v19
	v_lshrrev_b32_e32 v2, 3, v3
	v_mov_b32_e32 v35, v18
	v_cmpx_gt_u32_e32 8, v3
; %bb.1191:                             ;   in Loop: Header=BB384_16 Depth=1
	v_ffbh_u32_e32 v2, v18
	v_min_u32_e32 v2, 32, v2
	v_subrev_nc_u32_e32 v3, 28, v2
	v_sub_nc_u32_e32 v2, 29, v2
	v_lshlrev_b64 v[3:4], v3, v[18:19]
	v_and_b32_e32 v35, 7, v3
; %bb.1192:                             ;   in Loop: Header=BB384_16 Depth=1
	s_or_b32 exec_lo, exec_lo, s28
	v_mov_b32_e32 v3, 24
	v_lshlrev_b32_e32 v4, 20, v35
	v_lshl_add_u32 v2, v2, 23, 0x3c000000
	v_lshlrev_b32_sdwa v3, v3, v33 dst_sel:DWORD dst_unused:UNUSED_PAD src0_sel:DWORD src1_sel:WORD_1
	v_and_b32_e32 v3, 0x80000000, v3
	v_or3_b32 v2, v4, v3, v2
.LBB384_1193:                           ;   in Loop: Header=BB384_16 Depth=1
	s_or_b32 exec_lo, exec_lo, s27
.LBB384_1194:                           ;   in Loop: Header=BB384_16 Depth=1
	s_or_b32 exec_lo, exec_lo, s26
.LBB384_1195:                           ;   in Loop: Header=BB384_16 Depth=1
	s_or_b32 exec_lo, exec_lo, s25
	s_mov_b32 s25, exec_lo
	v_cmpx_lt_u32_e32 0xffffff, v33
	s_cbranch_execz .LBB384_1203
; %bb.1196:                             ;   in Loop: Header=BB384_16 Depth=1
	v_cmp_ne_u32_sdwa s5, v33, v87 src0_sel:BYTE_3 src1_sel:DWORD
	v_bfrev_b32_e32 v0, 1
	s_and_saveexec_b32 s26, s5
	s_cbranch_execz .LBB384_1202
; %bb.1197:                             ;   in Loop: Header=BB384_16 Depth=1
	v_bfe_u32 v3, v33, 24, 7
	v_mov_b32_e32 v0, 0x7f800001
	s_mov_b32 s27, exec_lo
	v_cmpx_ne_u32_e32 0x7f, v3
	s_cbranch_execz .LBB384_1201
; %bb.1198:                             ;   in Loop: Header=BB384_16 Depth=1
	v_mov_b32_e32 v0, 7
	s_mov_b32 s28, exec_lo
	v_and_b32_sdwa v18, v33, v0 dst_sel:DWORD dst_unused:UNUSED_PAD src0_sel:BYTE_3 src1_sel:DWORD
	v_mov_b32_e32 v36, v19
	v_lshrrev_b32_e32 v0, 3, v3
	v_mov_b32_e32 v35, v18
	v_cmpx_gt_u32_e32 8, v3
; %bb.1199:                             ;   in Loop: Header=BB384_16 Depth=1
	v_ffbh_u32_e32 v0, v18
	v_min_u32_e32 v0, 32, v0
	v_subrev_nc_u32_e32 v3, 28, v0
	v_sub_nc_u32_e32 v0, 29, v0
	v_lshlrev_b64 v[3:4], v3, v[18:19]
	v_and_b32_e32 v35, 7, v3
; %bb.1200:                             ;   in Loop: Header=BB384_16 Depth=1
	s_or_b32 exec_lo, exec_lo, s28
	v_mov_b32_e32 v3, 24
	v_lshlrev_b32_e32 v4, 20, v35
	v_lshl_add_u32 v0, v0, 23, 0x3c000000
	v_lshlrev_b32_sdwa v3, v3, v33 dst_sel:DWORD dst_unused:UNUSED_PAD src0_sel:DWORD src1_sel:BYTE_3
	v_and_b32_e32 v3, 0x80000000, v3
	v_or3_b32 v0, v4, v3, v0
.LBB384_1201:                           ;   in Loop: Header=BB384_16 Depth=1
	s_or_b32 exec_lo, exec_lo, s27
.LBB384_1202:                           ;   in Loop: Header=BB384_16 Depth=1
	s_or_b32 exec_lo, exec_lo, s26
.LBB384_1203:                           ;   in Loop: Header=BB384_16 Depth=1
	s_or_b32 exec_lo, exec_lo, s25
	v_mov_b32_e32 v18, v34
	v_cmp_ne_u16_sdwa s5, v34, v19 src0_sel:BYTE_0 src1_sel:DWORD
	v_mov_b32_e32 v3, 0
	v_mov_b32_e32 v7, 0
	s_and_saveexec_b32 s25, s5
	s_cbranch_execz .LBB384_1211
; %bb.1204:                             ;   in Loop: Header=BB384_16 Depth=1
	v_cmp_ne_u16_sdwa s5, v34, v87 src0_sel:BYTE_0 src1_sel:DWORD
	v_bfrev_b32_e32 v7, 1
	s_and_saveexec_b32 s26, s5
	s_cbranch_execz .LBB384_1210
; %bb.1205:                             ;   in Loop: Header=BB384_16 Depth=1
	v_and_b32_e32 v5, 0x7f, v34
	v_mov_b32_e32 v7, 0x7f800001
	s_mov_b32 s27, exec_lo
	v_cmpx_ne_u32_e32 0x7f, v5
	s_cbranch_execz .LBB384_1209
; %bb.1206:                             ;   in Loop: Header=BB384_16 Depth=1
	v_mov_b32_e32 v36, v19
	v_mov_b32_e32 v35, v18
	v_lshrrev_b32_e32 v4, 3, v5
	s_mov_b32 s28, exec_lo
	v_cmpx_gt_u32_e32 8, v5
; %bb.1207:                             ;   in Loop: Header=BB384_16 Depth=1
	v_and_b32_e32 v4, 7, v34
	v_ffbh_u32_e32 v4, v4
	v_min_u32_e32 v4, 32, v4
	v_subrev_nc_u32_e32 v5, 28, v4
	v_sub_nc_u32_e32 v4, 29, v4
	v_lshlrev_b64 v[35:36], v5, v[18:19]
; %bb.1208:                             ;   in Loop: Header=BB384_16 Depth=1
	s_or_b32 exec_lo, exec_lo, s28
	v_lshlrev_b32_e32 v5, 20, v35
	v_lshlrev_b32_e32 v6, 24, v18
	v_lshl_add_u32 v4, v4, 23, 0x3c000000
	v_and_b32_e32 v5, 0x700000, v5
	v_and_b32_e32 v6, 0x80000000, v6
	v_or3_b32 v7, v5, v6, v4
.LBB384_1209:                           ;   in Loop: Header=BB384_16 Depth=1
	s_or_b32 exec_lo, exec_lo, s27
.LBB384_1210:                           ;   in Loop: Header=BB384_16 Depth=1
	s_or_b32 exec_lo, exec_lo, s26
.LBB384_1211:                           ;   in Loop: Header=BB384_16 Depth=1
	s_or_b32 exec_lo, exec_lo, s25
	v_cmp_ne_u16_sdwa s5, v18, v19 src0_sel:BYTE_1 src1_sel:DWORD
	s_and_saveexec_b32 s25, s5
	s_cbranch_execz .LBB384_1219
; %bb.1212:                             ;   in Loop: Header=BB384_16 Depth=1
	v_cmp_ne_u16_sdwa s5, v18, v87 src0_sel:BYTE_1 src1_sel:DWORD
	v_bfrev_b32_e32 v3, 1
	s_and_saveexec_b32 s26, s5
	s_cbranch_execz .LBB384_1218
; %bb.1213:                             ;   in Loop: Header=BB384_16 Depth=1
	v_mov_b32_e32 v3, 0xffff
	s_mov_b32 s27, exec_lo
	v_and_b32_sdwa v5, v3, v18 dst_sel:DWORD dst_unused:UNUSED_PAD src0_sel:DWORD src1_sel:BYTE_1
	v_mov_b32_e32 v3, 0x7f800001
	v_and_b32_e32 v4, 0x7f, v5
	v_cmpx_ne_u32_e32 0x7f, v4
	s_cbranch_execz .LBB384_1217
; %bb.1214:                             ;   in Loop: Header=BB384_16 Depth=1
	v_and_b32_e32 v35, 7, v5
	v_mov_b32_e32 v36, v19
	v_lshrrev_b32_e32 v3, 3, v4
	s_mov_b32 s28, exec_lo
	v_cmpx_gt_u32_e32 8, v4
; %bb.1215:                             ;   in Loop: Header=BB384_16 Depth=1
	v_ffbh_u32_e32 v3, v35
	v_min_u32_e32 v3, 32, v3
	v_subrev_nc_u32_e32 v4, 28, v3
	v_sub_nc_u32_e32 v3, 29, v3
	v_lshlrev_b64 v[4:5], v4, v[35:36]
	v_and_b32_e32 v35, 7, v4
; %bb.1216:                             ;   in Loop: Header=BB384_16 Depth=1
	s_or_b32 exec_lo, exec_lo, s28
	v_lshlrev_b32_e32 v4, 16, v18
	v_lshlrev_b32_e32 v5, 20, v35
	v_lshl_add_u32 v3, v3, 23, 0x3c000000
	v_and_b32_e32 v4, 0x80000000, v4
	v_or3_b32 v3, v5, v4, v3
.LBB384_1217:                           ;   in Loop: Header=BB384_16 Depth=1
	s_or_b32 exec_lo, exec_lo, s27
.LBB384_1218:                           ;   in Loop: Header=BB384_16 Depth=1
	s_or_b32 exec_lo, exec_lo, s26
.LBB384_1219:                           ;   in Loop: Header=BB384_16 Depth=1
	s_or_b32 exec_lo, exec_lo, s25
	v_mov_b32_e32 v4, 0xff
	v_mov_b32_e32 v14, 0
	;; [unrolled: 1-line block ×3, first 2 shown]
	s_mov_b32 s25, exec_lo
	v_and_b32_sdwa v4, v34, v4 dst_sel:DWORD dst_unused:UNUSED_PAD src0_sel:WORD_1 src1_sel:DWORD
	v_cmpx_ne_u16_e32 0, v4
	s_cbranch_execz .LBB384_1227
; %bb.1220:                             ;   in Loop: Header=BB384_16 Depth=1
	v_bfrev_b32_e32 v109, 1
	s_mov_b32 s26, exec_lo
	v_cmpx_ne_u16_e32 0x80, v4
	s_cbranch_execz .LBB384_1226
; %bb.1221:                             ;   in Loop: Header=BB384_16 Depth=1
	v_bfe_u32 v5, v34, 16, 7
	v_mov_b32_e32 v109, 0x7f800001
	s_mov_b32 s27, exec_lo
	v_cmpx_ne_u32_e32 0x7f, v5
	s_cbranch_execz .LBB384_1225
; %bb.1222:                             ;   in Loop: Header=BB384_16 Depth=1
	v_mov_b32_e32 v4, 7
	s_mov_b32 s28, exec_lo
	v_and_b32_sdwa v18, v34, v4 dst_sel:DWORD dst_unused:UNUSED_PAD src0_sel:WORD_1 src1_sel:DWORD
	v_mov_b32_e32 v36, v19
	v_lshrrev_b32_e32 v4, 3, v5
	v_mov_b32_e32 v35, v18
	v_cmpx_gt_u32_e32 8, v5
; %bb.1223:                             ;   in Loop: Header=BB384_16 Depth=1
	v_ffbh_u32_e32 v4, v18
	v_min_u32_e32 v4, 32, v4
	v_subrev_nc_u32_e32 v5, 28, v4
	v_sub_nc_u32_e32 v4, 29, v4
	v_lshlrev_b64 v[5:6], v5, v[18:19]
	v_and_b32_e32 v35, 7, v5
; %bb.1224:                             ;   in Loop: Header=BB384_16 Depth=1
	s_or_b32 exec_lo, exec_lo, s28
	v_mov_b32_e32 v5, 24
	v_lshlrev_b32_e32 v6, 20, v35
	v_lshl_add_u32 v4, v4, 23, 0x3c000000
	v_lshlrev_b32_sdwa v5, v5, v34 dst_sel:DWORD dst_unused:UNUSED_PAD src0_sel:DWORD src1_sel:WORD_1
	v_and_b32_e32 v5, 0x80000000, v5
	v_or3_b32 v109, v6, v5, v4
.LBB384_1225:                           ;   in Loop: Header=BB384_16 Depth=1
	s_or_b32 exec_lo, exec_lo, s27
.LBB384_1226:                           ;   in Loop: Header=BB384_16 Depth=1
	s_or_b32 exec_lo, exec_lo, s26
.LBB384_1227:                           ;   in Loop: Header=BB384_16 Depth=1
	s_or_b32 exec_lo, exec_lo, s25
	s_mov_b32 s25, exec_lo
	v_cmpx_lt_u64_e64 s[20:21], v[33:34]
	s_cbranch_execz .LBB384_1235
; %bb.1228:                             ;   in Loop: Header=BB384_16 Depth=1
	v_cmp_ne_u32_sdwa s5, v34, v87 src0_sel:BYTE_3 src1_sel:DWORD
	v_bfrev_b32_e32 v14, 1
	s_and_saveexec_b32 s26, s5
	s_cbranch_execz .LBB384_1234
; %bb.1229:                             ;   in Loop: Header=BB384_16 Depth=1
	v_bfe_u32 v5, v34, 24, 7
	v_mov_b32_e32 v14, 0x7f800001
	s_mov_b32 s27, exec_lo
	v_cmpx_ne_u32_e32 0x7f, v5
	s_cbranch_execz .LBB384_1233
; %bb.1230:                             ;   in Loop: Header=BB384_16 Depth=1
	v_mov_b32_e32 v4, 7
	s_mov_b32 s28, exec_lo
	v_and_b32_sdwa v18, v34, v4 dst_sel:DWORD dst_unused:UNUSED_PAD src0_sel:BYTE_3 src1_sel:DWORD
	v_mov_b32_e32 v36, v19
	v_lshrrev_b32_e32 v4, 3, v5
	v_mov_b32_e32 v35, v18
	v_cmpx_gt_u32_e32 8, v5
; %bb.1231:                             ;   in Loop: Header=BB384_16 Depth=1
	v_ffbh_u32_e32 v4, v18
	v_min_u32_e32 v4, 32, v4
	v_subrev_nc_u32_e32 v5, 28, v4
	v_sub_nc_u32_e32 v4, 29, v4
	v_lshlrev_b64 v[5:6], v5, v[18:19]
	v_and_b32_e32 v35, 7, v5
; %bb.1232:                             ;   in Loop: Header=BB384_16 Depth=1
	s_or_b32 exec_lo, exec_lo, s28
	v_mov_b32_e32 v5, 24
	v_lshlrev_b32_e32 v6, 20, v35
	v_lshl_add_u32 v4, v4, 23, 0x3c000000
	v_lshlrev_b32_sdwa v5, v5, v34 dst_sel:DWORD dst_unused:UNUSED_PAD src0_sel:DWORD src1_sel:BYTE_3
	v_and_b32_e32 v5, 0x80000000, v5
	v_or3_b32 v14, v6, v5, v4
.LBB384_1233:                           ;   in Loop: Header=BB384_16 Depth=1
	s_or_b32 exec_lo, exec_lo, s27
.LBB384_1234:                           ;   in Loop: Header=BB384_16 Depth=1
	s_or_b32 exec_lo, exec_lo, s26
.LBB384_1235:                           ;   in Loop: Header=BB384_16 Depth=1
	s_or_b32 exec_lo, exec_lo, s25
	flat_load_dwordx2 v[33:34], v[31:32] offset:520
	v_mov_b32_e32 v93, 0
	v_mov_b32_e32 v26, 0
	s_waitcnt vmcnt(0) lgkmcnt(0)
	v_cmp_ne_u16_sdwa s5, v33, v19 src0_sel:BYTE_0 src1_sel:DWORD
	s_and_saveexec_b32 s25, s5
	s_cbranch_execz .LBB384_1243
; %bb.1236:                             ;   in Loop: Header=BB384_16 Depth=1
	v_cmp_ne_u16_sdwa s5, v33, v87 src0_sel:BYTE_0 src1_sel:DWORD
	v_bfrev_b32_e32 v26, 1
	s_and_saveexec_b32 s26, s5
	s_cbranch_execz .LBB384_1242
; %bb.1237:                             ;   in Loop: Header=BB384_16 Depth=1
	v_and_b32_e32 v5, 0x7f, v33
	v_mov_b32_e32 v26, 0x7f800001
	s_mov_b32 s27, exec_lo
	v_cmpx_ne_u32_e32 0x7f, v5
	s_cbranch_execz .LBB384_1241
; %bb.1238:                             ;   in Loop: Header=BB384_16 Depth=1
	v_mov_b32_e32 v36, v34
	v_lshrrev_b32_e32 v4, 3, v5
	v_mov_b32_e32 v35, v33
	s_mov_b32 s28, exec_lo
	v_cmpx_gt_u32_e32 8, v5
; %bb.1239:                             ;   in Loop: Header=BB384_16 Depth=1
	v_and_b32_e32 v4, 7, v33
	v_ffbh_u32_e32 v4, v4
	v_min_u32_e32 v4, 32, v4
	v_subrev_nc_u32_e32 v5, 28, v4
	v_sub_nc_u32_e32 v4, 29, v4
	v_lshlrev_b64 v[35:36], v5, v[33:34]
; %bb.1240:                             ;   in Loop: Header=BB384_16 Depth=1
	s_or_b32 exec_lo, exec_lo, s28
	v_lshlrev_b32_e32 v5, 20, v35
	v_lshlrev_b32_e32 v6, 24, v33
	v_lshl_add_u32 v4, v4, 23, 0x3c000000
	v_and_b32_e32 v5, 0x700000, v5
	v_and_b32_e32 v6, 0x80000000, v6
	v_or3_b32 v26, v5, v6, v4
.LBB384_1241:                           ;   in Loop: Header=BB384_16 Depth=1
	s_or_b32 exec_lo, exec_lo, s27
.LBB384_1242:                           ;   in Loop: Header=BB384_16 Depth=1
	s_or_b32 exec_lo, exec_lo, s26
.LBB384_1243:                           ;   in Loop: Header=BB384_16 Depth=1
	s_or_b32 exec_lo, exec_lo, s25
	v_cmp_ne_u16_sdwa s5, v33, v19 src0_sel:BYTE_1 src1_sel:DWORD
	s_and_saveexec_b32 s25, s5
	s_cbranch_execz .LBB384_1251
; %bb.1244:                             ;   in Loop: Header=BB384_16 Depth=1
	v_cmp_ne_u16_sdwa s5, v33, v87 src0_sel:BYTE_1 src1_sel:DWORD
	v_bfrev_b32_e32 v93, 1
	s_and_saveexec_b32 s26, s5
	s_cbranch_execz .LBB384_1250
; %bb.1245:                             ;   in Loop: Header=BB384_16 Depth=1
	v_mov_b32_e32 v4, 0xffff
	v_mov_b32_e32 v93, 0x7f800001
	s_mov_b32 s27, exec_lo
	v_and_b32_sdwa v4, v4, v33 dst_sel:DWORD dst_unused:UNUSED_PAD src0_sel:DWORD src1_sel:BYTE_1
	v_and_b32_e32 v5, 0x7f, v4
	v_cmpx_ne_u32_e32 0x7f, v5
	s_cbranch_execz .LBB384_1249
; %bb.1246:                             ;   in Loop: Header=BB384_16 Depth=1
	v_and_b32_e32 v18, 7, v4
	v_mov_b32_e32 v36, v19
	v_lshrrev_b32_e32 v4, 3, v5
	s_mov_b32 s28, exec_lo
	v_mov_b32_e32 v35, v18
	v_cmpx_gt_u32_e32 8, v5
; %bb.1247:                             ;   in Loop: Header=BB384_16 Depth=1
	v_ffbh_u32_e32 v4, v18
	v_min_u32_e32 v4, 32, v4
	v_subrev_nc_u32_e32 v5, 28, v4
	v_sub_nc_u32_e32 v4, 29, v4
	v_lshlrev_b64 v[5:6], v5, v[18:19]
	v_and_b32_e32 v35, 7, v5
; %bb.1248:                             ;   in Loop: Header=BB384_16 Depth=1
	s_or_b32 exec_lo, exec_lo, s28
	v_lshlrev_b32_e32 v5, 16, v33
	v_lshlrev_b32_e32 v6, 20, v35
	v_lshl_add_u32 v4, v4, 23, 0x3c000000
	v_and_b32_e32 v5, 0x80000000, v5
	v_or3_b32 v93, v6, v5, v4
.LBB384_1249:                           ;   in Loop: Header=BB384_16 Depth=1
	s_or_b32 exec_lo, exec_lo, s27
.LBB384_1250:                           ;   in Loop: Header=BB384_16 Depth=1
	s_or_b32 exec_lo, exec_lo, s26
.LBB384_1251:                           ;   in Loop: Header=BB384_16 Depth=1
	s_or_b32 exec_lo, exec_lo, s25
	v_mov_b32_e32 v4, 0xff
	v_mov_b32_e32 v92, 0
	;; [unrolled: 1-line block ×3, first 2 shown]
	s_mov_b32 s25, exec_lo
	v_and_b32_sdwa v4, v33, v4 dst_sel:DWORD dst_unused:UNUSED_PAD src0_sel:WORD_1 src1_sel:DWORD
	v_cmpx_ne_u16_e32 0, v4
	s_cbranch_execz .LBB384_1259
; %bb.1252:                             ;   in Loop: Header=BB384_16 Depth=1
	v_bfrev_b32_e32 v50, 1
	s_mov_b32 s26, exec_lo
	v_cmpx_ne_u16_e32 0x80, v4
	s_cbranch_execz .LBB384_1258
; %bb.1253:                             ;   in Loop: Header=BB384_16 Depth=1
	v_bfe_u32 v5, v33, 16, 7
	v_mov_b32_e32 v50, 0x7f800001
	s_mov_b32 s27, exec_lo
	v_cmpx_ne_u32_e32 0x7f, v5
	s_cbranch_execz .LBB384_1257
; %bb.1254:                             ;   in Loop: Header=BB384_16 Depth=1
	v_mov_b32_e32 v4, 7
	s_mov_b32 s28, exec_lo
	v_and_b32_sdwa v18, v33, v4 dst_sel:DWORD dst_unused:UNUSED_PAD src0_sel:WORD_1 src1_sel:DWORD
	v_mov_b32_e32 v36, v19
	v_lshrrev_b32_e32 v4, 3, v5
	v_mov_b32_e32 v35, v18
	v_cmpx_gt_u32_e32 8, v5
; %bb.1255:                             ;   in Loop: Header=BB384_16 Depth=1
	v_ffbh_u32_e32 v4, v18
	v_min_u32_e32 v4, 32, v4
	v_subrev_nc_u32_e32 v5, 28, v4
	v_sub_nc_u32_e32 v4, 29, v4
	v_lshlrev_b64 v[5:6], v5, v[18:19]
	v_and_b32_e32 v35, 7, v5
; %bb.1256:                             ;   in Loop: Header=BB384_16 Depth=1
	s_or_b32 exec_lo, exec_lo, s28
	v_mov_b32_e32 v5, 24
	v_lshlrev_b32_e32 v6, 20, v35
	v_lshl_add_u32 v4, v4, 23, 0x3c000000
	v_lshlrev_b32_sdwa v5, v5, v33 dst_sel:DWORD dst_unused:UNUSED_PAD src0_sel:DWORD src1_sel:WORD_1
	v_and_b32_e32 v5, 0x80000000, v5
	v_or3_b32 v50, v6, v5, v4
.LBB384_1257:                           ;   in Loop: Header=BB384_16 Depth=1
	s_or_b32 exec_lo, exec_lo, s27
.LBB384_1258:                           ;   in Loop: Header=BB384_16 Depth=1
	s_or_b32 exec_lo, exec_lo, s26
.LBB384_1259:                           ;   in Loop: Header=BB384_16 Depth=1
	s_or_b32 exec_lo, exec_lo, s25
	s_mov_b32 s25, exec_lo
	v_cmpx_lt_u32_e32 0xffffff, v33
	s_cbranch_execz .LBB384_1267
; %bb.1260:                             ;   in Loop: Header=BB384_16 Depth=1
	v_cmp_ne_u32_sdwa s5, v33, v87 src0_sel:BYTE_3 src1_sel:DWORD
	v_bfrev_b32_e32 v92, 1
	s_and_saveexec_b32 s26, s5
	s_cbranch_execz .LBB384_1266
; %bb.1261:                             ;   in Loop: Header=BB384_16 Depth=1
	v_bfe_u32 v5, v33, 24, 7
	v_mov_b32_e32 v92, 0x7f800001
	s_mov_b32 s27, exec_lo
	v_cmpx_ne_u32_e32 0x7f, v5
	s_cbranch_execz .LBB384_1265
; %bb.1262:                             ;   in Loop: Header=BB384_16 Depth=1
	v_mov_b32_e32 v4, 7
	s_mov_b32 s28, exec_lo
	v_and_b32_sdwa v18, v33, v4 dst_sel:DWORD dst_unused:UNUSED_PAD src0_sel:BYTE_3 src1_sel:DWORD
	v_mov_b32_e32 v36, v19
	v_lshrrev_b32_e32 v4, 3, v5
	v_mov_b32_e32 v35, v18
	v_cmpx_gt_u32_e32 8, v5
; %bb.1263:                             ;   in Loop: Header=BB384_16 Depth=1
	v_ffbh_u32_e32 v4, v18
	v_min_u32_e32 v4, 32, v4
	v_subrev_nc_u32_e32 v5, 28, v4
	v_sub_nc_u32_e32 v4, 29, v4
	v_lshlrev_b64 v[5:6], v5, v[18:19]
	v_and_b32_e32 v35, 7, v5
; %bb.1264:                             ;   in Loop: Header=BB384_16 Depth=1
	s_or_b32 exec_lo, exec_lo, s28
	v_mov_b32_e32 v5, 24
	v_lshlrev_b32_e32 v6, 20, v35
	v_lshl_add_u32 v4, v4, 23, 0x3c000000
	v_lshlrev_b32_sdwa v5, v5, v33 dst_sel:DWORD dst_unused:UNUSED_PAD src0_sel:DWORD src1_sel:BYTE_3
	v_and_b32_e32 v5, 0x80000000, v5
	v_or3_b32 v92, v6, v5, v4
.LBB384_1265:                           ;   in Loop: Header=BB384_16 Depth=1
	s_or_b32 exec_lo, exec_lo, s27
.LBB384_1266:                           ;   in Loop: Header=BB384_16 Depth=1
	s_or_b32 exec_lo, exec_lo, s26
.LBB384_1267:                           ;   in Loop: Header=BB384_16 Depth=1
	s_or_b32 exec_lo, exec_lo, s25
	v_mov_b32_e32 v18, v34
	v_cmp_ne_u16_sdwa s5, v34, v19 src0_sel:BYTE_0 src1_sel:DWORD
	v_mov_b32_e32 v6, 0
	v_mov_b32_e32 v81, 0
	s_and_saveexec_b32 s25, s5
	s_cbranch_execz .LBB384_1275
; %bb.1268:                             ;   in Loop: Header=BB384_16 Depth=1
	v_cmp_ne_u16_sdwa s5, v34, v87 src0_sel:BYTE_0 src1_sel:DWORD
	v_bfrev_b32_e32 v81, 1
	s_and_saveexec_b32 s26, s5
	s_cbranch_execz .LBB384_1274
; %bb.1269:                             ;   in Loop: Header=BB384_16 Depth=1
	v_and_b32_e32 v5, 0x7f, v34
	v_mov_b32_e32 v81, 0x7f800001
	s_mov_b32 s27, exec_lo
	v_cmpx_ne_u32_e32 0x7f, v5
	s_cbranch_execz .LBB384_1273
; %bb.1270:                             ;   in Loop: Header=BB384_16 Depth=1
	v_mov_b32_e32 v36, v19
	v_mov_b32_e32 v35, v18
	v_lshrrev_b32_e32 v4, 3, v5
	s_mov_b32 s28, exec_lo
	v_cmpx_gt_u32_e32 8, v5
; %bb.1271:                             ;   in Loop: Header=BB384_16 Depth=1
	v_and_b32_e32 v4, 7, v34
	v_ffbh_u32_e32 v4, v4
	v_min_u32_e32 v4, 32, v4
	v_subrev_nc_u32_e32 v5, 28, v4
	v_sub_nc_u32_e32 v4, 29, v4
	v_lshlrev_b64 v[35:36], v5, v[18:19]
; %bb.1272:                             ;   in Loop: Header=BB384_16 Depth=1
	s_or_b32 exec_lo, exec_lo, s28
	v_lshlrev_b32_e32 v5, 20, v35
	v_lshlrev_b32_e32 v8, 24, v18
	v_lshl_add_u32 v4, v4, 23, 0x3c000000
	v_and_b32_e32 v5, 0x700000, v5
	v_and_b32_e32 v8, 0x80000000, v8
	v_or3_b32 v81, v5, v8, v4
.LBB384_1273:                           ;   in Loop: Header=BB384_16 Depth=1
	s_or_b32 exec_lo, exec_lo, s27
.LBB384_1274:                           ;   in Loop: Header=BB384_16 Depth=1
	s_or_b32 exec_lo, exec_lo, s26
.LBB384_1275:                           ;   in Loop: Header=BB384_16 Depth=1
	s_or_b32 exec_lo, exec_lo, s25
	v_cmp_ne_u16_sdwa s5, v18, v19 src0_sel:BYTE_1 src1_sel:DWORD
	s_and_saveexec_b32 s25, s5
	s_cbranch_execz .LBB384_1283
; %bb.1276:                             ;   in Loop: Header=BB384_16 Depth=1
	v_cmp_ne_u16_sdwa s5, v18, v87 src0_sel:BYTE_1 src1_sel:DWORD
	v_bfrev_b32_e32 v6, 1
	s_and_saveexec_b32 s26, s5
	s_cbranch_execz .LBB384_1282
; %bb.1277:                             ;   in Loop: Header=BB384_16 Depth=1
	v_mov_b32_e32 v4, 0xffff
	v_mov_b32_e32 v6, 0x7f800001
	s_mov_b32 s27, exec_lo
	v_and_b32_sdwa v4, v4, v18 dst_sel:DWORD dst_unused:UNUSED_PAD src0_sel:DWORD src1_sel:BYTE_1
	v_and_b32_e32 v5, 0x7f, v4
	v_cmpx_ne_u32_e32 0x7f, v5
	s_cbranch_execz .LBB384_1281
; %bb.1278:                             ;   in Loop: Header=BB384_16 Depth=1
	v_and_b32_e32 v35, 7, v4
	v_mov_b32_e32 v36, v19
	v_lshrrev_b32_e32 v4, 3, v5
	s_mov_b32 s28, exec_lo
	v_cmpx_gt_u32_e32 8, v5
; %bb.1279:                             ;   in Loop: Header=BB384_16 Depth=1
	v_ffbh_u32_e32 v4, v35
	v_min_u32_e32 v4, 32, v4
	v_subrev_nc_u32_e32 v5, 28, v4
	v_sub_nc_u32_e32 v4, 29, v4
	v_lshlrev_b64 v[5:6], v5, v[35:36]
	v_and_b32_e32 v35, 7, v5
; %bb.1280:                             ;   in Loop: Header=BB384_16 Depth=1
	s_or_b32 exec_lo, exec_lo, s28
	v_lshlrev_b32_e32 v5, 16, v18
	v_lshlrev_b32_e32 v6, 20, v35
	v_lshl_add_u32 v4, v4, 23, 0x3c000000
	v_and_b32_e32 v5, 0x80000000, v5
	v_or3_b32 v6, v6, v5, v4
.LBB384_1281:                           ;   in Loop: Header=BB384_16 Depth=1
	s_or_b32 exec_lo, exec_lo, s27
.LBB384_1282:                           ;   in Loop: Header=BB384_16 Depth=1
	s_or_b32 exec_lo, exec_lo, s26
.LBB384_1283:                           ;   in Loop: Header=BB384_16 Depth=1
	s_or_b32 exec_lo, exec_lo, s25
	v_mov_b32_e32 v4, 0xff
	v_mov_b32_e32 v43, 0
	v_mov_b32_e32 v5, 0
	s_mov_b32 s25, exec_lo
	v_and_b32_sdwa v4, v34, v4 dst_sel:DWORD dst_unused:UNUSED_PAD src0_sel:WORD_1 src1_sel:DWORD
	v_cmpx_ne_u16_e32 0, v4
	s_cbranch_execz .LBB384_1291
; %bb.1284:                             ;   in Loop: Header=BB384_16 Depth=1
	v_bfrev_b32_e32 v5, 1
	s_mov_b32 s26, exec_lo
	v_cmpx_ne_u16_e32 0x80, v4
	s_cbranch_execz .LBB384_1290
; %bb.1285:                             ;   in Loop: Header=BB384_16 Depth=1
	v_bfe_u32 v8, v34, 16, 7
	v_mov_b32_e32 v5, 0x7f800001
	s_mov_b32 s27, exec_lo
	v_cmpx_ne_u32_e32 0x7f, v8
	s_cbranch_execz .LBB384_1289
; %bb.1286:                             ;   in Loop: Header=BB384_16 Depth=1
	v_mov_b32_e32 v4, 7
	s_mov_b32 s28, exec_lo
	v_and_b32_sdwa v18, v34, v4 dst_sel:DWORD dst_unused:UNUSED_PAD src0_sel:WORD_1 src1_sel:DWORD
	v_mov_b32_e32 v36, v19
	v_lshrrev_b32_e32 v4, 3, v8
	v_mov_b32_e32 v35, v18
	v_cmpx_gt_u32_e32 8, v8
; %bb.1287:                             ;   in Loop: Header=BB384_16 Depth=1
	v_ffbh_u32_e32 v4, v18
	v_min_u32_e32 v4, 32, v4
	v_subrev_nc_u32_e32 v5, 28, v4
	v_sub_nc_u32_e32 v4, 29, v4
	v_lshlrev_b64 v[8:9], v5, v[18:19]
	v_and_b32_e32 v35, 7, v8
; %bb.1288:                             ;   in Loop: Header=BB384_16 Depth=1
	s_or_b32 exec_lo, exec_lo, s28
	v_mov_b32_e32 v5, 24
	v_lshlrev_b32_e32 v8, 20, v35
	v_lshl_add_u32 v4, v4, 23, 0x3c000000
	v_lshlrev_b32_sdwa v5, v5, v34 dst_sel:DWORD dst_unused:UNUSED_PAD src0_sel:DWORD src1_sel:WORD_1
	v_and_b32_e32 v5, 0x80000000, v5
	v_or3_b32 v5, v8, v5, v4
.LBB384_1289:                           ;   in Loop: Header=BB384_16 Depth=1
	s_or_b32 exec_lo, exec_lo, s27
.LBB384_1290:                           ;   in Loop: Header=BB384_16 Depth=1
	s_or_b32 exec_lo, exec_lo, s26
.LBB384_1291:                           ;   in Loop: Header=BB384_16 Depth=1
	s_or_b32 exec_lo, exec_lo, s25
	s_mov_b32 s25, exec_lo
	v_cmpx_lt_u64_e64 s[20:21], v[33:34]
	s_cbranch_execz .LBB384_1299
; %bb.1292:                             ;   in Loop: Header=BB384_16 Depth=1
	v_cmp_ne_u32_sdwa s5, v34, v87 src0_sel:BYTE_3 src1_sel:DWORD
	v_bfrev_b32_e32 v43, 1
	s_and_saveexec_b32 s26, s5
	s_cbranch_execz .LBB384_1298
; %bb.1293:                             ;   in Loop: Header=BB384_16 Depth=1
	v_bfe_u32 v8, v34, 24, 7
	v_mov_b32_e32 v43, 0x7f800001
	s_mov_b32 s27, exec_lo
	v_cmpx_ne_u32_e32 0x7f, v8
	s_cbranch_execz .LBB384_1297
; %bb.1294:                             ;   in Loop: Header=BB384_16 Depth=1
	v_mov_b32_e32 v4, 7
	s_mov_b32 s28, exec_lo
	v_and_b32_sdwa v18, v34, v4 dst_sel:DWORD dst_unused:UNUSED_PAD src0_sel:BYTE_3 src1_sel:DWORD
	v_mov_b32_e32 v36, v19
	v_lshrrev_b32_e32 v4, 3, v8
	v_mov_b32_e32 v35, v18
	v_cmpx_gt_u32_e32 8, v8
; %bb.1295:                             ;   in Loop: Header=BB384_16 Depth=1
	v_ffbh_u32_e32 v4, v18
	v_min_u32_e32 v4, 32, v4
	v_subrev_nc_u32_e32 v8, 28, v4
	v_sub_nc_u32_e32 v4, 29, v4
	v_lshlrev_b64 v[8:9], v8, v[18:19]
	v_and_b32_e32 v35, 7, v8
; %bb.1296:                             ;   in Loop: Header=BB384_16 Depth=1
	s_or_b32 exec_lo, exec_lo, s28
	v_mov_b32_e32 v8, 24
	v_lshlrev_b32_e32 v9, 20, v35
	v_lshl_add_u32 v4, v4, 23, 0x3c000000
	v_lshlrev_b32_sdwa v8, v8, v34 dst_sel:DWORD dst_unused:UNUSED_PAD src0_sel:DWORD src1_sel:BYTE_3
	v_and_b32_e32 v8, 0x80000000, v8
	v_or3_b32 v43, v9, v8, v4
.LBB384_1297:                           ;   in Loop: Header=BB384_16 Depth=1
	s_or_b32 exec_lo, exec_lo, s27
.LBB384_1298:                           ;   in Loop: Header=BB384_16 Depth=1
	s_or_b32 exec_lo, exec_lo, s26
.LBB384_1299:                           ;   in Loop: Header=BB384_16 Depth=1
	s_or_b32 exec_lo, exec_lo, s25
	flat_load_dwordx2 v[33:34], v[31:32] offset:1024
	v_mov_b32_e32 v55, 0
	v_mov_b32_e32 v52, 0
	s_waitcnt vmcnt(0) lgkmcnt(0)
	v_cmp_ne_u16_sdwa s5, v33, v19 src0_sel:BYTE_0 src1_sel:DWORD
	s_and_saveexec_b32 s25, s5
	s_cbranch_execz .LBB384_1307
; %bb.1300:                             ;   in Loop: Header=BB384_16 Depth=1
	v_cmp_ne_u16_sdwa s5, v33, v87 src0_sel:BYTE_0 src1_sel:DWORD
	v_bfrev_b32_e32 v52, 1
	s_and_saveexec_b32 s26, s5
	s_cbranch_execz .LBB384_1306
; %bb.1301:                             ;   in Loop: Header=BB384_16 Depth=1
	v_and_b32_e32 v8, 0x7f, v33
	v_mov_b32_e32 v52, 0x7f800001
	s_mov_b32 s27, exec_lo
	v_cmpx_ne_u32_e32 0x7f, v8
	s_cbranch_execz .LBB384_1305
; %bb.1302:                             ;   in Loop: Header=BB384_16 Depth=1
	v_mov_b32_e32 v36, v34
	v_lshrrev_b32_e32 v4, 3, v8
	v_mov_b32_e32 v35, v33
	s_mov_b32 s28, exec_lo
	v_cmpx_gt_u32_e32 8, v8
; %bb.1303:                             ;   in Loop: Header=BB384_16 Depth=1
	v_and_b32_e32 v4, 7, v33
	v_ffbh_u32_e32 v4, v4
	v_min_u32_e32 v4, 32, v4
	v_subrev_nc_u32_e32 v8, 28, v4
	v_sub_nc_u32_e32 v4, 29, v4
	v_lshlrev_b64 v[35:36], v8, v[33:34]
; %bb.1304:                             ;   in Loop: Header=BB384_16 Depth=1
	s_or_b32 exec_lo, exec_lo, s28
	v_lshlrev_b32_e32 v8, 20, v35
	v_lshlrev_b32_e32 v9, 24, v33
	v_lshl_add_u32 v4, v4, 23, 0x3c000000
	v_and_b32_e32 v8, 0x700000, v8
	v_and_b32_e32 v9, 0x80000000, v9
	v_or3_b32 v52, v8, v9, v4
.LBB384_1305:                           ;   in Loop: Header=BB384_16 Depth=1
	s_or_b32 exec_lo, exec_lo, s27
.LBB384_1306:                           ;   in Loop: Header=BB384_16 Depth=1
	s_or_b32 exec_lo, exec_lo, s26
.LBB384_1307:                           ;   in Loop: Header=BB384_16 Depth=1
	s_or_b32 exec_lo, exec_lo, s25
	v_cmp_ne_u16_sdwa s5, v33, v19 src0_sel:BYTE_1 src1_sel:DWORD
	s_and_saveexec_b32 s25, s5
	s_cbranch_execz .LBB384_1315
; %bb.1308:                             ;   in Loop: Header=BB384_16 Depth=1
	v_cmp_ne_u16_sdwa s5, v33, v87 src0_sel:BYTE_1 src1_sel:DWORD
	v_bfrev_b32_e32 v55, 1
	s_and_saveexec_b32 s26, s5
	s_cbranch_execz .LBB384_1314
; %bb.1309:                             ;   in Loop: Header=BB384_16 Depth=1
	v_mov_b32_e32 v4, 0xffff
	v_mov_b32_e32 v55, 0x7f800001
	s_mov_b32 s27, exec_lo
	v_and_b32_sdwa v4, v4, v33 dst_sel:DWORD dst_unused:UNUSED_PAD src0_sel:DWORD src1_sel:BYTE_1
	v_and_b32_e32 v8, 0x7f, v4
	v_cmpx_ne_u32_e32 0x7f, v8
	s_cbranch_execz .LBB384_1313
; %bb.1310:                             ;   in Loop: Header=BB384_16 Depth=1
	v_and_b32_e32 v18, 7, v4
	v_mov_b32_e32 v36, v19
	v_lshrrev_b32_e32 v4, 3, v8
	s_mov_b32 s28, exec_lo
	v_mov_b32_e32 v35, v18
	v_cmpx_gt_u32_e32 8, v8
; %bb.1311:                             ;   in Loop: Header=BB384_16 Depth=1
	v_ffbh_u32_e32 v4, v18
	v_min_u32_e32 v4, 32, v4
	v_subrev_nc_u32_e32 v8, 28, v4
	v_sub_nc_u32_e32 v4, 29, v4
	v_lshlrev_b64 v[8:9], v8, v[18:19]
	v_and_b32_e32 v35, 7, v8
; %bb.1312:                             ;   in Loop: Header=BB384_16 Depth=1
	s_or_b32 exec_lo, exec_lo, s28
	v_lshlrev_b32_e32 v8, 16, v33
	v_lshlrev_b32_e32 v9, 20, v35
	v_lshl_add_u32 v4, v4, 23, 0x3c000000
	v_and_b32_e32 v8, 0x80000000, v8
	v_or3_b32 v55, v9, v8, v4
.LBB384_1313:                           ;   in Loop: Header=BB384_16 Depth=1
	s_or_b32 exec_lo, exec_lo, s27
.LBB384_1314:                           ;   in Loop: Header=BB384_16 Depth=1
	s_or_b32 exec_lo, exec_lo, s26
.LBB384_1315:                           ;   in Loop: Header=BB384_16 Depth=1
	s_or_b32 exec_lo, exec_lo, s25
	v_mov_b32_e32 v4, 0xff
	v_mov_b32_e32 v97, 0
	;; [unrolled: 1-line block ×3, first 2 shown]
	s_mov_b32 s25, exec_lo
	v_and_b32_sdwa v4, v33, v4 dst_sel:DWORD dst_unused:UNUSED_PAD src0_sel:WORD_1 src1_sel:DWORD
	v_cmpx_ne_u16_e32 0, v4
	s_cbranch_execz .LBB384_1323
; %bb.1316:                             ;   in Loop: Header=BB384_16 Depth=1
	v_bfrev_b32_e32 v54, 1
	s_mov_b32 s26, exec_lo
	v_cmpx_ne_u16_e32 0x80, v4
	s_cbranch_execz .LBB384_1322
; %bb.1317:                             ;   in Loop: Header=BB384_16 Depth=1
	v_bfe_u32 v8, v33, 16, 7
	v_mov_b32_e32 v54, 0x7f800001
	s_mov_b32 s27, exec_lo
	v_cmpx_ne_u32_e32 0x7f, v8
	s_cbranch_execz .LBB384_1321
; %bb.1318:                             ;   in Loop: Header=BB384_16 Depth=1
	v_mov_b32_e32 v4, 7
	s_mov_b32 s28, exec_lo
	v_and_b32_sdwa v18, v33, v4 dst_sel:DWORD dst_unused:UNUSED_PAD src0_sel:WORD_1 src1_sel:DWORD
	v_mov_b32_e32 v36, v19
	v_lshrrev_b32_e32 v4, 3, v8
	v_mov_b32_e32 v35, v18
	v_cmpx_gt_u32_e32 8, v8
; %bb.1319:                             ;   in Loop: Header=BB384_16 Depth=1
	v_ffbh_u32_e32 v4, v18
	v_min_u32_e32 v4, 32, v4
	v_subrev_nc_u32_e32 v8, 28, v4
	v_sub_nc_u32_e32 v4, 29, v4
	v_lshlrev_b64 v[8:9], v8, v[18:19]
	v_and_b32_e32 v35, 7, v8
; %bb.1320:                             ;   in Loop: Header=BB384_16 Depth=1
	s_or_b32 exec_lo, exec_lo, s28
	v_mov_b32_e32 v8, 24
	v_lshlrev_b32_e32 v9, 20, v35
	v_lshl_add_u32 v4, v4, 23, 0x3c000000
	v_lshlrev_b32_sdwa v8, v8, v33 dst_sel:DWORD dst_unused:UNUSED_PAD src0_sel:DWORD src1_sel:WORD_1
	v_and_b32_e32 v8, 0x80000000, v8
	v_or3_b32 v54, v9, v8, v4
.LBB384_1321:                           ;   in Loop: Header=BB384_16 Depth=1
	s_or_b32 exec_lo, exec_lo, s27
.LBB384_1322:                           ;   in Loop: Header=BB384_16 Depth=1
	s_or_b32 exec_lo, exec_lo, s26
.LBB384_1323:                           ;   in Loop: Header=BB384_16 Depth=1
	s_or_b32 exec_lo, exec_lo, s25
	s_mov_b32 s25, exec_lo
	v_cmpx_lt_u32_e32 0xffffff, v33
	s_cbranch_execz .LBB384_1331
; %bb.1324:                             ;   in Loop: Header=BB384_16 Depth=1
	v_cmp_ne_u32_sdwa s5, v33, v87 src0_sel:BYTE_3 src1_sel:DWORD
	v_bfrev_b32_e32 v97, 1
	s_and_saveexec_b32 s26, s5
	s_cbranch_execz .LBB384_1330
; %bb.1325:                             ;   in Loop: Header=BB384_16 Depth=1
	v_bfe_u32 v8, v33, 24, 7
	v_mov_b32_e32 v97, 0x7f800001
	s_mov_b32 s27, exec_lo
	v_cmpx_ne_u32_e32 0x7f, v8
	s_cbranch_execz .LBB384_1329
; %bb.1326:                             ;   in Loop: Header=BB384_16 Depth=1
	v_mov_b32_e32 v4, 7
	s_mov_b32 s28, exec_lo
	v_and_b32_sdwa v18, v33, v4 dst_sel:DWORD dst_unused:UNUSED_PAD src0_sel:BYTE_3 src1_sel:DWORD
	v_mov_b32_e32 v36, v19
	v_lshrrev_b32_e32 v4, 3, v8
	v_mov_b32_e32 v35, v18
	v_cmpx_gt_u32_e32 8, v8
; %bb.1327:                             ;   in Loop: Header=BB384_16 Depth=1
	v_ffbh_u32_e32 v4, v18
	v_min_u32_e32 v4, 32, v4
	v_subrev_nc_u32_e32 v8, 28, v4
	v_sub_nc_u32_e32 v4, 29, v4
	v_lshlrev_b64 v[8:9], v8, v[18:19]
	v_and_b32_e32 v35, 7, v8
; %bb.1328:                             ;   in Loop: Header=BB384_16 Depth=1
	s_or_b32 exec_lo, exec_lo, s28
	v_mov_b32_e32 v8, 24
	v_lshlrev_b32_e32 v9, 20, v35
	v_lshl_add_u32 v4, v4, 23, 0x3c000000
	v_lshlrev_b32_sdwa v8, v8, v33 dst_sel:DWORD dst_unused:UNUSED_PAD src0_sel:DWORD src1_sel:BYTE_3
	v_and_b32_e32 v8, 0x80000000, v8
	v_or3_b32 v97, v9, v8, v4
.LBB384_1329:                           ;   in Loop: Header=BB384_16 Depth=1
	s_or_b32 exec_lo, exec_lo, s27
.LBB384_1330:                           ;   in Loop: Header=BB384_16 Depth=1
	s_or_b32 exec_lo, exec_lo, s26
.LBB384_1331:                           ;   in Loop: Header=BB384_16 Depth=1
	s_or_b32 exec_lo, exec_lo, s25
	v_mov_b32_e32 v18, v34
	v_cmp_ne_u16_sdwa s5, v34, v19 src0_sel:BYTE_0 src1_sel:DWORD
	v_mov_b32_e32 v91, 0
	v_mov_b32_e32 v96, 0
	s_and_saveexec_b32 s25, s5
	s_cbranch_execz .LBB384_1339
; %bb.1332:                             ;   in Loop: Header=BB384_16 Depth=1
	v_cmp_ne_u16_sdwa s5, v34, v87 src0_sel:BYTE_0 src1_sel:DWORD
	v_bfrev_b32_e32 v96, 1
	s_and_saveexec_b32 s26, s5
	s_cbranch_execz .LBB384_1338
; %bb.1333:                             ;   in Loop: Header=BB384_16 Depth=1
	v_and_b32_e32 v8, 0x7f, v34
	v_mov_b32_e32 v96, 0x7f800001
	s_mov_b32 s27, exec_lo
	v_cmpx_ne_u32_e32 0x7f, v8
	s_cbranch_execz .LBB384_1337
; %bb.1334:                             ;   in Loop: Header=BB384_16 Depth=1
	v_mov_b32_e32 v36, v19
	v_mov_b32_e32 v35, v18
	v_lshrrev_b32_e32 v4, 3, v8
	s_mov_b32 s28, exec_lo
	v_cmpx_gt_u32_e32 8, v8
; %bb.1335:                             ;   in Loop: Header=BB384_16 Depth=1
	v_and_b32_e32 v4, 7, v34
	v_ffbh_u32_e32 v4, v4
	v_min_u32_e32 v4, 32, v4
	v_subrev_nc_u32_e32 v8, 28, v4
	v_sub_nc_u32_e32 v4, 29, v4
	v_lshlrev_b64 v[35:36], v8, v[18:19]
; %bb.1336:                             ;   in Loop: Header=BB384_16 Depth=1
	s_or_b32 exec_lo, exec_lo, s28
	v_lshlrev_b32_e32 v8, 20, v35
	v_lshlrev_b32_e32 v9, 24, v18
	v_lshl_add_u32 v4, v4, 23, 0x3c000000
	v_and_b32_e32 v8, 0x700000, v8
	v_and_b32_e32 v9, 0x80000000, v9
	v_or3_b32 v96, v8, v9, v4
.LBB384_1337:                           ;   in Loop: Header=BB384_16 Depth=1
	s_or_b32 exec_lo, exec_lo, s27
.LBB384_1338:                           ;   in Loop: Header=BB384_16 Depth=1
	s_or_b32 exec_lo, exec_lo, s26
.LBB384_1339:                           ;   in Loop: Header=BB384_16 Depth=1
	s_or_b32 exec_lo, exec_lo, s25
	v_cmp_ne_u16_sdwa s5, v18, v19 src0_sel:BYTE_1 src1_sel:DWORD
	s_and_saveexec_b32 s25, s5
	s_cbranch_execz .LBB384_1347
; %bb.1340:                             ;   in Loop: Header=BB384_16 Depth=1
	v_cmp_ne_u16_sdwa s5, v18, v87 src0_sel:BYTE_1 src1_sel:DWORD
	v_bfrev_b32_e32 v91, 1
	s_and_saveexec_b32 s26, s5
	s_cbranch_execz .LBB384_1346
; %bb.1341:                             ;   in Loop: Header=BB384_16 Depth=1
	v_mov_b32_e32 v4, 0xffff
	v_mov_b32_e32 v91, 0x7f800001
	s_mov_b32 s27, exec_lo
	v_and_b32_sdwa v4, v4, v18 dst_sel:DWORD dst_unused:UNUSED_PAD src0_sel:DWORD src1_sel:BYTE_1
	v_and_b32_e32 v8, 0x7f, v4
	v_cmpx_ne_u32_e32 0x7f, v8
	s_cbranch_execz .LBB384_1345
; %bb.1342:                             ;   in Loop: Header=BB384_16 Depth=1
	v_and_b32_e32 v35, 7, v4
	v_mov_b32_e32 v36, v19
	v_lshrrev_b32_e32 v4, 3, v8
	s_mov_b32 s28, exec_lo
	v_cmpx_gt_u32_e32 8, v8
; %bb.1343:                             ;   in Loop: Header=BB384_16 Depth=1
	v_ffbh_u32_e32 v4, v35
	v_min_u32_e32 v4, 32, v4
	v_subrev_nc_u32_e32 v8, 28, v4
	v_sub_nc_u32_e32 v4, 29, v4
	v_lshlrev_b64 v[8:9], v8, v[35:36]
	v_and_b32_e32 v35, 7, v8
; %bb.1344:                             ;   in Loop: Header=BB384_16 Depth=1
	s_or_b32 exec_lo, exec_lo, s28
	v_lshlrev_b32_e32 v8, 16, v18
	v_lshlrev_b32_e32 v9, 20, v35
	v_lshl_add_u32 v4, v4, 23, 0x3c000000
	v_and_b32_e32 v8, 0x80000000, v8
	v_or3_b32 v91, v9, v8, v4
.LBB384_1345:                           ;   in Loop: Header=BB384_16 Depth=1
	s_or_b32 exec_lo, exec_lo, s27
.LBB384_1346:                           ;   in Loop: Header=BB384_16 Depth=1
	s_or_b32 exec_lo, exec_lo, s26
.LBB384_1347:                           ;   in Loop: Header=BB384_16 Depth=1
	s_or_b32 exec_lo, exec_lo, s25
	v_mov_b32_e32 v4, 0xff
	v_mov_b32_e32 v37, 0
	;; [unrolled: 1-line block ×3, first 2 shown]
	s_mov_b32 s25, exec_lo
	v_and_b32_sdwa v4, v34, v4 dst_sel:DWORD dst_unused:UNUSED_PAD src0_sel:WORD_1 src1_sel:DWORD
	v_cmpx_ne_u16_e32 0, v4
	s_cbranch_execz .LBB384_1355
; %bb.1348:                             ;   in Loop: Header=BB384_16 Depth=1
	v_bfrev_b32_e32 v53, 1
	s_mov_b32 s26, exec_lo
	v_cmpx_ne_u16_e32 0x80, v4
	s_cbranch_execz .LBB384_1354
; %bb.1349:                             ;   in Loop: Header=BB384_16 Depth=1
	v_bfe_u32 v8, v34, 16, 7
	v_mov_b32_e32 v53, 0x7f800001
	s_mov_b32 s27, exec_lo
	v_cmpx_ne_u32_e32 0x7f, v8
	s_cbranch_execz .LBB384_1353
; %bb.1350:                             ;   in Loop: Header=BB384_16 Depth=1
	v_mov_b32_e32 v4, 7
	s_mov_b32 s28, exec_lo
	v_and_b32_sdwa v18, v34, v4 dst_sel:DWORD dst_unused:UNUSED_PAD src0_sel:WORD_1 src1_sel:DWORD
	v_mov_b32_e32 v36, v19
	v_lshrrev_b32_e32 v4, 3, v8
	v_mov_b32_e32 v35, v18
	v_cmpx_gt_u32_e32 8, v8
; %bb.1351:                             ;   in Loop: Header=BB384_16 Depth=1
	v_ffbh_u32_e32 v4, v18
	v_min_u32_e32 v4, 32, v4
	v_subrev_nc_u32_e32 v8, 28, v4
	v_sub_nc_u32_e32 v4, 29, v4
	v_lshlrev_b64 v[8:9], v8, v[18:19]
	v_and_b32_e32 v35, 7, v8
; %bb.1352:                             ;   in Loop: Header=BB384_16 Depth=1
	s_or_b32 exec_lo, exec_lo, s28
	v_mov_b32_e32 v8, 24
	v_lshlrev_b32_e32 v9, 20, v35
	v_lshl_add_u32 v4, v4, 23, 0x3c000000
	v_lshlrev_b32_sdwa v8, v8, v34 dst_sel:DWORD dst_unused:UNUSED_PAD src0_sel:DWORD src1_sel:WORD_1
	v_and_b32_e32 v8, 0x80000000, v8
	v_or3_b32 v53, v9, v8, v4
.LBB384_1353:                           ;   in Loop: Header=BB384_16 Depth=1
	s_or_b32 exec_lo, exec_lo, s27
.LBB384_1354:                           ;   in Loop: Header=BB384_16 Depth=1
	s_or_b32 exec_lo, exec_lo, s26
.LBB384_1355:                           ;   in Loop: Header=BB384_16 Depth=1
	s_or_b32 exec_lo, exec_lo, s25
	s_mov_b32 s25, exec_lo
	v_cmpx_lt_u64_e64 s[20:21], v[33:34]
	s_cbranch_execz .LBB384_1363
; %bb.1356:                             ;   in Loop: Header=BB384_16 Depth=1
	v_cmp_ne_u32_sdwa s5, v34, v87 src0_sel:BYTE_3 src1_sel:DWORD
	v_bfrev_b32_e32 v37, 1
	s_and_saveexec_b32 s26, s5
	s_cbranch_execz .LBB384_1362
; %bb.1357:                             ;   in Loop: Header=BB384_16 Depth=1
	v_bfe_u32 v8, v34, 24, 7
	v_mov_b32_e32 v37, 0x7f800001
	s_mov_b32 s27, exec_lo
	v_cmpx_ne_u32_e32 0x7f, v8
	s_cbranch_execz .LBB384_1361
; %bb.1358:                             ;   in Loop: Header=BB384_16 Depth=1
	v_mov_b32_e32 v4, 7
	s_mov_b32 s28, exec_lo
	v_and_b32_sdwa v18, v34, v4 dst_sel:DWORD dst_unused:UNUSED_PAD src0_sel:BYTE_3 src1_sel:DWORD
	v_mov_b32_e32 v36, v19
	v_lshrrev_b32_e32 v4, 3, v8
	v_mov_b32_e32 v35, v18
	v_cmpx_gt_u32_e32 8, v8
; %bb.1359:                             ;   in Loop: Header=BB384_16 Depth=1
	v_ffbh_u32_e32 v4, v18
	v_min_u32_e32 v4, 32, v4
	v_subrev_nc_u32_e32 v8, 28, v4
	v_sub_nc_u32_e32 v4, 29, v4
	v_lshlrev_b64 v[8:9], v8, v[18:19]
	v_and_b32_e32 v35, 7, v8
; %bb.1360:                             ;   in Loop: Header=BB384_16 Depth=1
	s_or_b32 exec_lo, exec_lo, s28
	v_mov_b32_e32 v8, 24
	v_lshlrev_b32_e32 v9, 20, v35
	v_lshl_add_u32 v4, v4, 23, 0x3c000000
	v_lshlrev_b32_sdwa v8, v8, v34 dst_sel:DWORD dst_unused:UNUSED_PAD src0_sel:DWORD src1_sel:BYTE_3
	v_and_b32_e32 v8, 0x80000000, v8
	v_or3_b32 v37, v9, v8, v4
.LBB384_1361:                           ;   in Loop: Header=BB384_16 Depth=1
	s_or_b32 exec_lo, exec_lo, s27
.LBB384_1362:                           ;   in Loop: Header=BB384_16 Depth=1
	s_or_b32 exec_lo, exec_lo, s26
.LBB384_1363:                           ;   in Loop: Header=BB384_16 Depth=1
	s_or_b32 exec_lo, exec_lo, s25
	flat_load_dwordx2 v[33:34], v[31:32] offset:1032
	v_mov_b32_e32 v47, 0
	v_mov_b32_e32 v90, 0
	s_waitcnt vmcnt(0) lgkmcnt(0)
	v_cmp_ne_u16_sdwa s5, v33, v19 src0_sel:BYTE_0 src1_sel:DWORD
	s_and_saveexec_b32 s25, s5
	s_cbranch_execz .LBB384_1371
; %bb.1364:                             ;   in Loop: Header=BB384_16 Depth=1
	v_cmp_ne_u16_sdwa s5, v33, v87 src0_sel:BYTE_0 src1_sel:DWORD
	v_bfrev_b32_e32 v90, 1
	s_and_saveexec_b32 s26, s5
	s_cbranch_execz .LBB384_1370
; %bb.1365:                             ;   in Loop: Header=BB384_16 Depth=1
	v_and_b32_e32 v8, 0x7f, v33
	v_mov_b32_e32 v90, 0x7f800001
	s_mov_b32 s27, exec_lo
	v_cmpx_ne_u32_e32 0x7f, v8
	s_cbranch_execz .LBB384_1369
; %bb.1366:                             ;   in Loop: Header=BB384_16 Depth=1
	v_mov_b32_e32 v36, v34
	v_lshrrev_b32_e32 v4, 3, v8
	v_mov_b32_e32 v35, v33
	s_mov_b32 s28, exec_lo
	v_cmpx_gt_u32_e32 8, v8
; %bb.1367:                             ;   in Loop: Header=BB384_16 Depth=1
	v_and_b32_e32 v4, 7, v33
	v_ffbh_u32_e32 v4, v4
	v_min_u32_e32 v4, 32, v4
	v_subrev_nc_u32_e32 v8, 28, v4
	v_sub_nc_u32_e32 v4, 29, v4
	v_lshlrev_b64 v[35:36], v8, v[33:34]
; %bb.1368:                             ;   in Loop: Header=BB384_16 Depth=1
	s_or_b32 exec_lo, exec_lo, s28
	v_lshlrev_b32_e32 v8, 20, v35
	v_lshlrev_b32_e32 v9, 24, v33
	v_lshl_add_u32 v4, v4, 23, 0x3c000000
	v_and_b32_e32 v8, 0x700000, v8
	v_and_b32_e32 v9, 0x80000000, v9
	v_or3_b32 v90, v8, v9, v4
.LBB384_1369:                           ;   in Loop: Header=BB384_16 Depth=1
	s_or_b32 exec_lo, exec_lo, s27
.LBB384_1370:                           ;   in Loop: Header=BB384_16 Depth=1
	s_or_b32 exec_lo, exec_lo, s26
.LBB384_1371:                           ;   in Loop: Header=BB384_16 Depth=1
	s_or_b32 exec_lo, exec_lo, s25
	v_cmp_ne_u16_sdwa s5, v33, v19 src0_sel:BYTE_1 src1_sel:DWORD
	s_and_saveexec_b32 s25, s5
	s_cbranch_execz .LBB384_1379
; %bb.1372:                             ;   in Loop: Header=BB384_16 Depth=1
	v_cmp_ne_u16_sdwa s5, v33, v87 src0_sel:BYTE_1 src1_sel:DWORD
	v_bfrev_b32_e32 v47, 1
	s_and_saveexec_b32 s26, s5
	s_cbranch_execz .LBB384_1378
; %bb.1373:                             ;   in Loop: Header=BB384_16 Depth=1
	v_mov_b32_e32 v4, 0xffff
	v_mov_b32_e32 v47, 0x7f800001
	s_mov_b32 s27, exec_lo
	v_and_b32_sdwa v4, v4, v33 dst_sel:DWORD dst_unused:UNUSED_PAD src0_sel:DWORD src1_sel:BYTE_1
	v_and_b32_e32 v8, 0x7f, v4
	v_cmpx_ne_u32_e32 0x7f, v8
	s_cbranch_execz .LBB384_1377
; %bb.1374:                             ;   in Loop: Header=BB384_16 Depth=1
	v_and_b32_e32 v18, 7, v4
	v_mov_b32_e32 v36, v19
	v_lshrrev_b32_e32 v4, 3, v8
	s_mov_b32 s28, exec_lo
	v_mov_b32_e32 v35, v18
	v_cmpx_gt_u32_e32 8, v8
; %bb.1375:                             ;   in Loop: Header=BB384_16 Depth=1
	v_ffbh_u32_e32 v4, v18
	v_min_u32_e32 v4, 32, v4
	v_subrev_nc_u32_e32 v8, 28, v4
	v_sub_nc_u32_e32 v4, 29, v4
	v_lshlrev_b64 v[8:9], v8, v[18:19]
	v_and_b32_e32 v35, 7, v8
; %bb.1376:                             ;   in Loop: Header=BB384_16 Depth=1
	s_or_b32 exec_lo, exec_lo, s28
	v_lshlrev_b32_e32 v8, 16, v33
	v_lshlrev_b32_e32 v9, 20, v35
	v_lshl_add_u32 v4, v4, 23, 0x3c000000
	v_and_b32_e32 v8, 0x80000000, v8
	v_or3_b32 v47, v9, v8, v4
.LBB384_1377:                           ;   in Loop: Header=BB384_16 Depth=1
	s_or_b32 exec_lo, exec_lo, s27
.LBB384_1378:                           ;   in Loop: Header=BB384_16 Depth=1
	s_or_b32 exec_lo, exec_lo, s26
.LBB384_1379:                           ;   in Loop: Header=BB384_16 Depth=1
	s_or_b32 exec_lo, exec_lo, s25
	v_mov_b32_e32 v4, 0xff
	v_mov_b32_e32 v68, 0
	;; [unrolled: 1-line block ×3, first 2 shown]
	s_mov_b32 s25, exec_lo
	v_and_b32_sdwa v4, v33, v4 dst_sel:DWORD dst_unused:UNUSED_PAD src0_sel:WORD_1 src1_sel:DWORD
	v_cmpx_ne_u16_e32 0, v4
	s_cbranch_execz .LBB384_1387
; %bb.1380:                             ;   in Loop: Header=BB384_16 Depth=1
	v_bfrev_b32_e32 v89, 1
	s_mov_b32 s26, exec_lo
	v_cmpx_ne_u16_e32 0x80, v4
	s_cbranch_execz .LBB384_1386
; %bb.1381:                             ;   in Loop: Header=BB384_16 Depth=1
	v_bfe_u32 v8, v33, 16, 7
	v_mov_b32_e32 v89, 0x7f800001
	s_mov_b32 s27, exec_lo
	v_cmpx_ne_u32_e32 0x7f, v8
	s_cbranch_execz .LBB384_1385
; %bb.1382:                             ;   in Loop: Header=BB384_16 Depth=1
	v_mov_b32_e32 v4, 7
	s_mov_b32 s28, exec_lo
	v_and_b32_sdwa v18, v33, v4 dst_sel:DWORD dst_unused:UNUSED_PAD src0_sel:WORD_1 src1_sel:DWORD
	v_mov_b32_e32 v36, v19
	v_lshrrev_b32_e32 v4, 3, v8
	v_mov_b32_e32 v35, v18
	v_cmpx_gt_u32_e32 8, v8
; %bb.1383:                             ;   in Loop: Header=BB384_16 Depth=1
	v_ffbh_u32_e32 v4, v18
	v_min_u32_e32 v4, 32, v4
	v_subrev_nc_u32_e32 v8, 28, v4
	v_sub_nc_u32_e32 v4, 29, v4
	v_lshlrev_b64 v[8:9], v8, v[18:19]
	v_and_b32_e32 v35, 7, v8
; %bb.1384:                             ;   in Loop: Header=BB384_16 Depth=1
	s_or_b32 exec_lo, exec_lo, s28
	v_mov_b32_e32 v8, 24
	v_lshlrev_b32_e32 v9, 20, v35
	v_lshl_add_u32 v4, v4, 23, 0x3c000000
	v_lshlrev_b32_sdwa v8, v8, v33 dst_sel:DWORD dst_unused:UNUSED_PAD src0_sel:DWORD src1_sel:WORD_1
	v_and_b32_e32 v8, 0x80000000, v8
	v_or3_b32 v89, v9, v8, v4
.LBB384_1385:                           ;   in Loop: Header=BB384_16 Depth=1
	s_or_b32 exec_lo, exec_lo, s27
.LBB384_1386:                           ;   in Loop: Header=BB384_16 Depth=1
	s_or_b32 exec_lo, exec_lo, s26
.LBB384_1387:                           ;   in Loop: Header=BB384_16 Depth=1
	s_or_b32 exec_lo, exec_lo, s25
	s_mov_b32 s25, exec_lo
	v_cmpx_lt_u32_e32 0xffffff, v33
	s_cbranch_execz .LBB384_1395
; %bb.1388:                             ;   in Loop: Header=BB384_16 Depth=1
	v_cmp_ne_u32_sdwa s5, v33, v87 src0_sel:BYTE_3 src1_sel:DWORD
	v_bfrev_b32_e32 v68, 1
	s_and_saveexec_b32 s26, s5
	s_cbranch_execz .LBB384_1394
; %bb.1389:                             ;   in Loop: Header=BB384_16 Depth=1
	v_bfe_u32 v8, v33, 24, 7
	v_mov_b32_e32 v68, 0x7f800001
	s_mov_b32 s27, exec_lo
	v_cmpx_ne_u32_e32 0x7f, v8
	s_cbranch_execz .LBB384_1393
; %bb.1390:                             ;   in Loop: Header=BB384_16 Depth=1
	v_mov_b32_e32 v4, 7
	s_mov_b32 s28, exec_lo
	v_and_b32_sdwa v18, v33, v4 dst_sel:DWORD dst_unused:UNUSED_PAD src0_sel:BYTE_3 src1_sel:DWORD
	v_mov_b32_e32 v36, v19
	v_lshrrev_b32_e32 v4, 3, v8
	v_mov_b32_e32 v35, v18
	v_cmpx_gt_u32_e32 8, v8
; %bb.1391:                             ;   in Loop: Header=BB384_16 Depth=1
	v_ffbh_u32_e32 v4, v18
	v_min_u32_e32 v4, 32, v4
	v_subrev_nc_u32_e32 v8, 28, v4
	v_sub_nc_u32_e32 v4, 29, v4
	v_lshlrev_b64 v[8:9], v8, v[18:19]
	v_and_b32_e32 v35, 7, v8
; %bb.1392:                             ;   in Loop: Header=BB384_16 Depth=1
	s_or_b32 exec_lo, exec_lo, s28
	v_mov_b32_e32 v8, 24
	v_lshlrev_b32_e32 v9, 20, v35
	v_lshl_add_u32 v4, v4, 23, 0x3c000000
	v_lshlrev_b32_sdwa v8, v8, v33 dst_sel:DWORD dst_unused:UNUSED_PAD src0_sel:DWORD src1_sel:BYTE_3
	v_and_b32_e32 v8, 0x80000000, v8
	v_or3_b32 v68, v9, v8, v4
.LBB384_1393:                           ;   in Loop: Header=BB384_16 Depth=1
	s_or_b32 exec_lo, exec_lo, s27
.LBB384_1394:                           ;   in Loop: Header=BB384_16 Depth=1
	s_or_b32 exec_lo, exec_lo, s26
.LBB384_1395:                           ;   in Loop: Header=BB384_16 Depth=1
	s_or_b32 exec_lo, exec_lo, s25
	v_mov_b32_e32 v18, v34
	v_cmp_ne_u16_sdwa s5, v34, v19 src0_sel:BYTE_0 src1_sel:DWORD
	v_mov_b32_e32 v99, 0
	v_mov_b32_e32 v102, 0
	s_and_saveexec_b32 s25, s5
	s_cbranch_execz .LBB384_1403
; %bb.1396:                             ;   in Loop: Header=BB384_16 Depth=1
	v_cmp_ne_u16_sdwa s5, v34, v87 src0_sel:BYTE_0 src1_sel:DWORD
	v_bfrev_b32_e32 v102, 1
	s_and_saveexec_b32 s26, s5
	s_cbranch_execz .LBB384_1402
; %bb.1397:                             ;   in Loop: Header=BB384_16 Depth=1
	v_and_b32_e32 v8, 0x7f, v34
	v_mov_b32_e32 v102, 0x7f800001
	s_mov_b32 s27, exec_lo
	v_cmpx_ne_u32_e32 0x7f, v8
	s_cbranch_execz .LBB384_1401
; %bb.1398:                             ;   in Loop: Header=BB384_16 Depth=1
	v_mov_b32_e32 v36, v19
	v_mov_b32_e32 v35, v18
	v_lshrrev_b32_e32 v4, 3, v8
	s_mov_b32 s28, exec_lo
	v_cmpx_gt_u32_e32 8, v8
; %bb.1399:                             ;   in Loop: Header=BB384_16 Depth=1
	v_and_b32_e32 v4, 7, v34
	v_ffbh_u32_e32 v4, v4
	v_min_u32_e32 v4, 32, v4
	v_subrev_nc_u32_e32 v8, 28, v4
	v_sub_nc_u32_e32 v4, 29, v4
	v_lshlrev_b64 v[35:36], v8, v[18:19]
; %bb.1400:                             ;   in Loop: Header=BB384_16 Depth=1
	s_or_b32 exec_lo, exec_lo, s28
	v_lshlrev_b32_e32 v8, 20, v35
	v_lshlrev_b32_e32 v9, 24, v18
	v_lshl_add_u32 v4, v4, 23, 0x3c000000
	v_and_b32_e32 v8, 0x700000, v8
	v_and_b32_e32 v9, 0x80000000, v9
	v_or3_b32 v102, v8, v9, v4
.LBB384_1401:                           ;   in Loop: Header=BB384_16 Depth=1
	s_or_b32 exec_lo, exec_lo, s27
.LBB384_1402:                           ;   in Loop: Header=BB384_16 Depth=1
	s_or_b32 exec_lo, exec_lo, s26
.LBB384_1403:                           ;   in Loop: Header=BB384_16 Depth=1
	s_or_b32 exec_lo, exec_lo, s25
	v_cmp_ne_u16_sdwa s5, v18, v19 src0_sel:BYTE_1 src1_sel:DWORD
	s_and_saveexec_b32 s25, s5
	s_cbranch_execz .LBB384_1411
; %bb.1404:                             ;   in Loop: Header=BB384_16 Depth=1
	v_cmp_ne_u16_sdwa s5, v18, v87 src0_sel:BYTE_1 src1_sel:DWORD
	v_bfrev_b32_e32 v99, 1
	s_and_saveexec_b32 s26, s5
	s_cbranch_execz .LBB384_1410
; %bb.1405:                             ;   in Loop: Header=BB384_16 Depth=1
	v_mov_b32_e32 v4, 0xffff
	v_mov_b32_e32 v99, 0x7f800001
	s_mov_b32 s27, exec_lo
	v_and_b32_sdwa v4, v4, v18 dst_sel:DWORD dst_unused:UNUSED_PAD src0_sel:DWORD src1_sel:BYTE_1
	v_and_b32_e32 v8, 0x7f, v4
	v_cmpx_ne_u32_e32 0x7f, v8
	s_cbranch_execz .LBB384_1409
; %bb.1406:                             ;   in Loop: Header=BB384_16 Depth=1
	v_and_b32_e32 v35, 7, v4
	v_mov_b32_e32 v36, v19
	v_lshrrev_b32_e32 v4, 3, v8
	s_mov_b32 s28, exec_lo
	v_cmpx_gt_u32_e32 8, v8
; %bb.1407:                             ;   in Loop: Header=BB384_16 Depth=1
	v_ffbh_u32_e32 v4, v35
	v_min_u32_e32 v4, 32, v4
	v_subrev_nc_u32_e32 v8, 28, v4
	v_sub_nc_u32_e32 v4, 29, v4
	v_lshlrev_b64 v[8:9], v8, v[35:36]
	v_and_b32_e32 v35, 7, v8
; %bb.1408:                             ;   in Loop: Header=BB384_16 Depth=1
	s_or_b32 exec_lo, exec_lo, s28
	v_lshlrev_b32_e32 v8, 16, v18
	v_lshlrev_b32_e32 v9, 20, v35
	v_lshl_add_u32 v4, v4, 23, 0x3c000000
	v_and_b32_e32 v8, 0x80000000, v8
	v_or3_b32 v99, v9, v8, v4
.LBB384_1409:                           ;   in Loop: Header=BB384_16 Depth=1
	s_or_b32 exec_lo, exec_lo, s27
.LBB384_1410:                           ;   in Loop: Header=BB384_16 Depth=1
	s_or_b32 exec_lo, exec_lo, s26
.LBB384_1411:                           ;   in Loop: Header=BB384_16 Depth=1
	s_or_b32 exec_lo, exec_lo, s25
	v_mov_b32_e32 v4, 0xff
	v_mov_b32_e32 v66, 0
	;; [unrolled: 1-line block ×3, first 2 shown]
	s_mov_b32 s25, exec_lo
	v_and_b32_sdwa v4, v34, v4 dst_sel:DWORD dst_unused:UNUSED_PAD src0_sel:WORD_1 src1_sel:DWORD
	v_cmpx_ne_u16_e32 0, v4
	s_cbranch_execz .LBB384_1419
; %bb.1412:                             ;   in Loop: Header=BB384_16 Depth=1
	v_bfrev_b32_e32 v38, 1
	s_mov_b32 s26, exec_lo
	v_cmpx_ne_u16_e32 0x80, v4
	s_cbranch_execz .LBB384_1418
; %bb.1413:                             ;   in Loop: Header=BB384_16 Depth=1
	v_bfe_u32 v8, v34, 16, 7
	v_mov_b32_e32 v38, 0x7f800001
	s_mov_b32 s27, exec_lo
	v_cmpx_ne_u32_e32 0x7f, v8
	s_cbranch_execz .LBB384_1417
; %bb.1414:                             ;   in Loop: Header=BB384_16 Depth=1
	v_mov_b32_e32 v4, 7
	s_mov_b32 s28, exec_lo
	v_and_b32_sdwa v18, v34, v4 dst_sel:DWORD dst_unused:UNUSED_PAD src0_sel:WORD_1 src1_sel:DWORD
	v_mov_b32_e32 v36, v19
	v_lshrrev_b32_e32 v4, 3, v8
	v_mov_b32_e32 v35, v18
	v_cmpx_gt_u32_e32 8, v8
; %bb.1415:                             ;   in Loop: Header=BB384_16 Depth=1
	v_ffbh_u32_e32 v4, v18
	v_min_u32_e32 v4, 32, v4
	v_subrev_nc_u32_e32 v8, 28, v4
	v_sub_nc_u32_e32 v4, 29, v4
	v_lshlrev_b64 v[8:9], v8, v[18:19]
	v_and_b32_e32 v35, 7, v8
; %bb.1416:                             ;   in Loop: Header=BB384_16 Depth=1
	s_or_b32 exec_lo, exec_lo, s28
	v_mov_b32_e32 v8, 24
	v_lshlrev_b32_e32 v9, 20, v35
	v_lshl_add_u32 v4, v4, 23, 0x3c000000
	v_lshlrev_b32_sdwa v8, v8, v34 dst_sel:DWORD dst_unused:UNUSED_PAD src0_sel:DWORD src1_sel:WORD_1
	v_and_b32_e32 v8, 0x80000000, v8
	v_or3_b32 v38, v9, v8, v4
.LBB384_1417:                           ;   in Loop: Header=BB384_16 Depth=1
	s_or_b32 exec_lo, exec_lo, s27
.LBB384_1418:                           ;   in Loop: Header=BB384_16 Depth=1
	s_or_b32 exec_lo, exec_lo, s26
.LBB384_1419:                           ;   in Loop: Header=BB384_16 Depth=1
	s_or_b32 exec_lo, exec_lo, s25
	s_mov_b32 s25, exec_lo
	v_cmpx_lt_u64_e64 s[20:21], v[33:34]
	s_cbranch_execz .LBB384_1427
; %bb.1420:                             ;   in Loop: Header=BB384_16 Depth=1
	v_cmp_ne_u32_sdwa s5, v34, v87 src0_sel:BYTE_3 src1_sel:DWORD
	v_bfrev_b32_e32 v66, 1
	s_and_saveexec_b32 s26, s5
	s_cbranch_execz .LBB384_1426
; %bb.1421:                             ;   in Loop: Header=BB384_16 Depth=1
	v_bfe_u32 v8, v34, 24, 7
	v_mov_b32_e32 v66, 0x7f800001
	s_mov_b32 s27, exec_lo
	v_cmpx_ne_u32_e32 0x7f, v8
	s_cbranch_execz .LBB384_1425
; %bb.1422:                             ;   in Loop: Header=BB384_16 Depth=1
	v_mov_b32_e32 v4, 7
	s_mov_b32 s28, exec_lo
	v_and_b32_sdwa v18, v34, v4 dst_sel:DWORD dst_unused:UNUSED_PAD src0_sel:BYTE_3 src1_sel:DWORD
	v_mov_b32_e32 v36, v19
	v_lshrrev_b32_e32 v4, 3, v8
	v_mov_b32_e32 v35, v18
	v_cmpx_gt_u32_e32 8, v8
; %bb.1423:                             ;   in Loop: Header=BB384_16 Depth=1
	v_ffbh_u32_e32 v4, v18
	v_min_u32_e32 v4, 32, v4
	v_subrev_nc_u32_e32 v8, 28, v4
	v_sub_nc_u32_e32 v4, 29, v4
	v_lshlrev_b64 v[8:9], v8, v[18:19]
	v_and_b32_e32 v35, 7, v8
; %bb.1424:                             ;   in Loop: Header=BB384_16 Depth=1
	s_or_b32 exec_lo, exec_lo, s28
	v_mov_b32_e32 v8, 24
	v_lshlrev_b32_e32 v9, 20, v35
	v_lshl_add_u32 v4, v4, 23, 0x3c000000
	v_lshlrev_b32_sdwa v8, v8, v34 dst_sel:DWORD dst_unused:UNUSED_PAD src0_sel:DWORD src1_sel:BYTE_3
	v_and_b32_e32 v8, 0x80000000, v8
	v_or3_b32 v66, v9, v8, v4
.LBB384_1425:                           ;   in Loop: Header=BB384_16 Depth=1
	s_or_b32 exec_lo, exec_lo, s27
.LBB384_1426:                           ;   in Loop: Header=BB384_16 Depth=1
	s_or_b32 exec_lo, exec_lo, s26
.LBB384_1427:                           ;   in Loop: Header=BB384_16 Depth=1
	s_or_b32 exec_lo, exec_lo, s25
	flat_load_dwordx2 v[33:34], v[31:32] offset:1536
	v_mov_b32_e32 v100, 0
	v_mov_b32_e32 v104, 0
	s_waitcnt vmcnt(0) lgkmcnt(0)
	v_cmp_ne_u16_sdwa s5, v33, v19 src0_sel:BYTE_0 src1_sel:DWORD
	s_and_saveexec_b32 s25, s5
	s_cbranch_execz .LBB384_1435
; %bb.1428:                             ;   in Loop: Header=BB384_16 Depth=1
	v_cmp_ne_u16_sdwa s5, v33, v87 src0_sel:BYTE_0 src1_sel:DWORD
	v_bfrev_b32_e32 v104, 1
	s_and_saveexec_b32 s26, s5
	s_cbranch_execz .LBB384_1434
; %bb.1429:                             ;   in Loop: Header=BB384_16 Depth=1
	v_and_b32_e32 v8, 0x7f, v33
	v_mov_b32_e32 v104, 0x7f800001
	s_mov_b32 s27, exec_lo
	v_cmpx_ne_u32_e32 0x7f, v8
	s_cbranch_execz .LBB384_1433
; %bb.1430:                             ;   in Loop: Header=BB384_16 Depth=1
	v_mov_b32_e32 v36, v34
	v_lshrrev_b32_e32 v4, 3, v8
	v_mov_b32_e32 v35, v33
	s_mov_b32 s28, exec_lo
	v_cmpx_gt_u32_e32 8, v8
; %bb.1431:                             ;   in Loop: Header=BB384_16 Depth=1
	v_and_b32_e32 v4, 7, v33
	v_ffbh_u32_e32 v4, v4
	v_min_u32_e32 v4, 32, v4
	v_subrev_nc_u32_e32 v8, 28, v4
	v_sub_nc_u32_e32 v4, 29, v4
	v_lshlrev_b64 v[35:36], v8, v[33:34]
; %bb.1432:                             ;   in Loop: Header=BB384_16 Depth=1
	s_or_b32 exec_lo, exec_lo, s28
	v_lshlrev_b32_e32 v8, 20, v35
	v_lshlrev_b32_e32 v9, 24, v33
	v_lshl_add_u32 v4, v4, 23, 0x3c000000
	v_and_b32_e32 v8, 0x700000, v8
	v_and_b32_e32 v9, 0x80000000, v9
	v_or3_b32 v104, v8, v9, v4
.LBB384_1433:                           ;   in Loop: Header=BB384_16 Depth=1
	s_or_b32 exec_lo, exec_lo, s27
.LBB384_1434:                           ;   in Loop: Header=BB384_16 Depth=1
	s_or_b32 exec_lo, exec_lo, s26
.LBB384_1435:                           ;   in Loop: Header=BB384_16 Depth=1
	s_or_b32 exec_lo, exec_lo, s25
	v_cmp_ne_u16_sdwa s5, v33, v19 src0_sel:BYTE_1 src1_sel:DWORD
	s_and_saveexec_b32 s25, s5
	s_cbranch_execz .LBB384_1443
; %bb.1436:                             ;   in Loop: Header=BB384_16 Depth=1
	v_cmp_ne_u16_sdwa s5, v33, v87 src0_sel:BYTE_1 src1_sel:DWORD
	v_bfrev_b32_e32 v100, 1
	s_and_saveexec_b32 s26, s5
	s_cbranch_execz .LBB384_1442
; %bb.1437:                             ;   in Loop: Header=BB384_16 Depth=1
	v_mov_b32_e32 v4, 0xffff
	v_mov_b32_e32 v100, 0x7f800001
	s_mov_b32 s27, exec_lo
	v_and_b32_sdwa v4, v4, v33 dst_sel:DWORD dst_unused:UNUSED_PAD src0_sel:DWORD src1_sel:BYTE_1
	v_and_b32_e32 v8, 0x7f, v4
	v_cmpx_ne_u32_e32 0x7f, v8
	s_cbranch_execz .LBB384_1441
; %bb.1438:                             ;   in Loop: Header=BB384_16 Depth=1
	v_and_b32_e32 v18, 7, v4
	v_mov_b32_e32 v36, v19
	v_lshrrev_b32_e32 v4, 3, v8
	s_mov_b32 s28, exec_lo
	v_mov_b32_e32 v35, v18
	v_cmpx_gt_u32_e32 8, v8
; %bb.1439:                             ;   in Loop: Header=BB384_16 Depth=1
	v_ffbh_u32_e32 v4, v18
	v_min_u32_e32 v4, 32, v4
	v_subrev_nc_u32_e32 v8, 28, v4
	v_sub_nc_u32_e32 v4, 29, v4
	v_lshlrev_b64 v[8:9], v8, v[18:19]
	v_and_b32_e32 v35, 7, v8
; %bb.1440:                             ;   in Loop: Header=BB384_16 Depth=1
	s_or_b32 exec_lo, exec_lo, s28
	v_lshlrev_b32_e32 v8, 16, v33
	v_lshlrev_b32_e32 v9, 20, v35
	v_lshl_add_u32 v4, v4, 23, 0x3c000000
	v_and_b32_e32 v8, 0x80000000, v8
	v_or3_b32 v100, v9, v8, v4
.LBB384_1441:                           ;   in Loop: Header=BB384_16 Depth=1
	s_or_b32 exec_lo, exec_lo, s27
.LBB384_1442:                           ;   in Loop: Header=BB384_16 Depth=1
	s_or_b32 exec_lo, exec_lo, s26
.LBB384_1443:                           ;   in Loop: Header=BB384_16 Depth=1
	s_or_b32 exec_lo, exec_lo, s25
	v_mov_b32_e32 v4, 0xff
	v_mov_b32_e32 v122, 0
	;; [unrolled: 1-line block ×3, first 2 shown]
	s_mov_b32 s25, exec_lo
	v_and_b32_sdwa v4, v33, v4 dst_sel:DWORD dst_unused:UNUSED_PAD src0_sel:WORD_1 src1_sel:DWORD
	v_cmpx_ne_u16_e32 0, v4
	s_cbranch_execz .LBB384_1451
; %bb.1444:                             ;   in Loop: Header=BB384_16 Depth=1
	v_bfrev_b32_e32 v106, 1
	s_mov_b32 s26, exec_lo
	v_cmpx_ne_u16_e32 0x80, v4
	s_cbranch_execz .LBB384_1450
; %bb.1445:                             ;   in Loop: Header=BB384_16 Depth=1
	v_bfe_u32 v8, v33, 16, 7
	v_mov_b32_e32 v106, 0x7f800001
	s_mov_b32 s27, exec_lo
	v_cmpx_ne_u32_e32 0x7f, v8
	s_cbranch_execz .LBB384_1449
; %bb.1446:                             ;   in Loop: Header=BB384_16 Depth=1
	v_mov_b32_e32 v4, 7
	s_mov_b32 s28, exec_lo
	v_and_b32_sdwa v18, v33, v4 dst_sel:DWORD dst_unused:UNUSED_PAD src0_sel:WORD_1 src1_sel:DWORD
	v_mov_b32_e32 v36, v19
	v_lshrrev_b32_e32 v4, 3, v8
	v_mov_b32_e32 v35, v18
	v_cmpx_gt_u32_e32 8, v8
; %bb.1447:                             ;   in Loop: Header=BB384_16 Depth=1
	v_ffbh_u32_e32 v4, v18
	v_min_u32_e32 v4, 32, v4
	v_subrev_nc_u32_e32 v8, 28, v4
	v_sub_nc_u32_e32 v4, 29, v4
	v_lshlrev_b64 v[8:9], v8, v[18:19]
	v_and_b32_e32 v35, 7, v8
; %bb.1448:                             ;   in Loop: Header=BB384_16 Depth=1
	s_or_b32 exec_lo, exec_lo, s28
	v_mov_b32_e32 v8, 24
	v_lshlrev_b32_e32 v9, 20, v35
	v_lshl_add_u32 v4, v4, 23, 0x3c000000
	v_lshlrev_b32_sdwa v8, v8, v33 dst_sel:DWORD dst_unused:UNUSED_PAD src0_sel:DWORD src1_sel:WORD_1
	v_and_b32_e32 v8, 0x80000000, v8
	v_or3_b32 v106, v9, v8, v4
.LBB384_1449:                           ;   in Loop: Header=BB384_16 Depth=1
	s_or_b32 exec_lo, exec_lo, s27
.LBB384_1450:                           ;   in Loop: Header=BB384_16 Depth=1
	s_or_b32 exec_lo, exec_lo, s26
.LBB384_1451:                           ;   in Loop: Header=BB384_16 Depth=1
	s_or_b32 exec_lo, exec_lo, s25
	s_mov_b32 s25, exec_lo
	v_cmpx_lt_u32_e32 0xffffff, v33
	s_cbranch_execz .LBB384_1459
; %bb.1452:                             ;   in Loop: Header=BB384_16 Depth=1
	v_cmp_ne_u32_sdwa s5, v33, v87 src0_sel:BYTE_3 src1_sel:DWORD
	v_bfrev_b32_e32 v122, 1
	s_and_saveexec_b32 s26, s5
	s_cbranch_execz .LBB384_1458
; %bb.1453:                             ;   in Loop: Header=BB384_16 Depth=1
	v_bfe_u32 v8, v33, 24, 7
	v_mov_b32_e32 v122, 0x7f800001
	s_mov_b32 s27, exec_lo
	v_cmpx_ne_u32_e32 0x7f, v8
	s_cbranch_execz .LBB384_1457
; %bb.1454:                             ;   in Loop: Header=BB384_16 Depth=1
	v_mov_b32_e32 v4, 7
	s_mov_b32 s28, exec_lo
	v_and_b32_sdwa v18, v33, v4 dst_sel:DWORD dst_unused:UNUSED_PAD src0_sel:BYTE_3 src1_sel:DWORD
	v_mov_b32_e32 v36, v19
	v_lshrrev_b32_e32 v4, 3, v8
	v_mov_b32_e32 v35, v18
	v_cmpx_gt_u32_e32 8, v8
; %bb.1455:                             ;   in Loop: Header=BB384_16 Depth=1
	v_ffbh_u32_e32 v4, v18
	v_min_u32_e32 v4, 32, v4
	v_subrev_nc_u32_e32 v8, 28, v4
	v_sub_nc_u32_e32 v4, 29, v4
	v_lshlrev_b64 v[8:9], v8, v[18:19]
	v_and_b32_e32 v35, 7, v8
; %bb.1456:                             ;   in Loop: Header=BB384_16 Depth=1
	s_or_b32 exec_lo, exec_lo, s28
	v_mov_b32_e32 v8, 24
	v_lshlrev_b32_e32 v9, 20, v35
	v_lshl_add_u32 v4, v4, 23, 0x3c000000
	v_lshlrev_b32_sdwa v8, v8, v33 dst_sel:DWORD dst_unused:UNUSED_PAD src0_sel:DWORD src1_sel:BYTE_3
	v_and_b32_e32 v8, 0x80000000, v8
	v_or3_b32 v122, v9, v8, v4
.LBB384_1457:                           ;   in Loop: Header=BB384_16 Depth=1
	s_or_b32 exec_lo, exec_lo, s27
.LBB384_1458:                           ;   in Loop: Header=BB384_16 Depth=1
	s_or_b32 exec_lo, exec_lo, s26
.LBB384_1459:                           ;   in Loop: Header=BB384_16 Depth=1
	s_or_b32 exec_lo, exec_lo, s25
	v_mov_b32_e32 v18, v34
	v_cmp_ne_u16_sdwa s5, v34, v19 src0_sel:BYTE_0 src1_sel:DWORD
	v_mov_b32_e32 v88, 0
	v_mov_b32_e32 v123, 0
	s_and_saveexec_b32 s25, s5
	s_cbranch_execz .LBB384_1467
; %bb.1460:                             ;   in Loop: Header=BB384_16 Depth=1
	v_cmp_ne_u16_sdwa s5, v34, v87 src0_sel:BYTE_0 src1_sel:DWORD
	v_bfrev_b32_e32 v123, 1
	s_and_saveexec_b32 s26, s5
	s_cbranch_execz .LBB384_1466
; %bb.1461:                             ;   in Loop: Header=BB384_16 Depth=1
	v_and_b32_e32 v8, 0x7f, v34
	v_mov_b32_e32 v123, 0x7f800001
	s_mov_b32 s27, exec_lo
	v_cmpx_ne_u32_e32 0x7f, v8
	s_cbranch_execz .LBB384_1465
; %bb.1462:                             ;   in Loop: Header=BB384_16 Depth=1
	v_mov_b32_e32 v36, v19
	v_mov_b32_e32 v35, v18
	v_lshrrev_b32_e32 v4, 3, v8
	s_mov_b32 s28, exec_lo
	v_cmpx_gt_u32_e32 8, v8
; %bb.1463:                             ;   in Loop: Header=BB384_16 Depth=1
	v_and_b32_e32 v4, 7, v34
	v_ffbh_u32_e32 v4, v4
	v_min_u32_e32 v4, 32, v4
	v_subrev_nc_u32_e32 v8, 28, v4
	v_sub_nc_u32_e32 v4, 29, v4
	v_lshlrev_b64 v[35:36], v8, v[18:19]
; %bb.1464:                             ;   in Loop: Header=BB384_16 Depth=1
	s_or_b32 exec_lo, exec_lo, s28
	v_lshlrev_b32_e32 v8, 20, v35
	v_lshlrev_b32_e32 v9, 24, v18
	v_lshl_add_u32 v4, v4, 23, 0x3c000000
	v_and_b32_e32 v8, 0x700000, v8
	v_and_b32_e32 v9, 0x80000000, v9
	v_or3_b32 v123, v8, v9, v4
.LBB384_1465:                           ;   in Loop: Header=BB384_16 Depth=1
	s_or_b32 exec_lo, exec_lo, s27
.LBB384_1466:                           ;   in Loop: Header=BB384_16 Depth=1
	s_or_b32 exec_lo, exec_lo, s26
.LBB384_1467:                           ;   in Loop: Header=BB384_16 Depth=1
	s_or_b32 exec_lo, exec_lo, s25
	v_cmp_ne_u16_sdwa s5, v18, v19 src0_sel:BYTE_1 src1_sel:DWORD
	s_and_saveexec_b32 s25, s5
	s_cbranch_execz .LBB384_1475
; %bb.1468:                             ;   in Loop: Header=BB384_16 Depth=1
	v_cmp_ne_u16_sdwa s5, v18, v87 src0_sel:BYTE_1 src1_sel:DWORD
	v_bfrev_b32_e32 v88, 1
	s_and_saveexec_b32 s26, s5
	s_cbranch_execz .LBB384_1474
; %bb.1469:                             ;   in Loop: Header=BB384_16 Depth=1
	v_mov_b32_e32 v4, 0xffff
	v_mov_b32_e32 v88, 0x7f800001
	s_mov_b32 s27, exec_lo
	v_and_b32_sdwa v4, v4, v18 dst_sel:DWORD dst_unused:UNUSED_PAD src0_sel:DWORD src1_sel:BYTE_1
	v_and_b32_e32 v8, 0x7f, v4
	v_cmpx_ne_u32_e32 0x7f, v8
	s_cbranch_execz .LBB384_1473
; %bb.1470:                             ;   in Loop: Header=BB384_16 Depth=1
	v_and_b32_e32 v35, 7, v4
	v_mov_b32_e32 v36, v19
	v_lshrrev_b32_e32 v4, 3, v8
	s_mov_b32 s28, exec_lo
	v_cmpx_gt_u32_e32 8, v8
; %bb.1471:                             ;   in Loop: Header=BB384_16 Depth=1
	v_ffbh_u32_e32 v4, v35
	v_min_u32_e32 v4, 32, v4
	v_subrev_nc_u32_e32 v8, 28, v4
	v_sub_nc_u32_e32 v4, 29, v4
	v_lshlrev_b64 v[8:9], v8, v[35:36]
	v_and_b32_e32 v35, 7, v8
; %bb.1472:                             ;   in Loop: Header=BB384_16 Depth=1
	s_or_b32 exec_lo, exec_lo, s28
	v_lshlrev_b32_e32 v8, 16, v18
	v_lshlrev_b32_e32 v9, 20, v35
	v_lshl_add_u32 v4, v4, 23, 0x3c000000
	v_and_b32_e32 v8, 0x80000000, v8
	v_or3_b32 v88, v9, v8, v4
.LBB384_1473:                           ;   in Loop: Header=BB384_16 Depth=1
	s_or_b32 exec_lo, exec_lo, s27
.LBB384_1474:                           ;   in Loop: Header=BB384_16 Depth=1
	s_or_b32 exec_lo, exec_lo, s26
.LBB384_1475:                           ;   in Loop: Header=BB384_16 Depth=1
	s_or_b32 exec_lo, exec_lo, s25
	v_mov_b32_e32 v4, 0xff
	v_mov_b32_e32 v80, 0
	;; [unrolled: 1-line block ×3, first 2 shown]
	s_mov_b32 s25, exec_lo
	v_and_b32_sdwa v4, v34, v4 dst_sel:DWORD dst_unused:UNUSED_PAD src0_sel:WORD_1 src1_sel:DWORD
	v_cmpx_ne_u16_e32 0, v4
	s_cbranch_execz .LBB384_1483
; %bb.1476:                             ;   in Loop: Header=BB384_16 Depth=1
	v_bfrev_b32_e32 v85, 1
	s_mov_b32 s26, exec_lo
	v_cmpx_ne_u16_e32 0x80, v4
	s_cbranch_execz .LBB384_1482
; %bb.1477:                             ;   in Loop: Header=BB384_16 Depth=1
	v_bfe_u32 v8, v34, 16, 7
	v_mov_b32_e32 v85, 0x7f800001
	s_mov_b32 s27, exec_lo
	v_cmpx_ne_u32_e32 0x7f, v8
	s_cbranch_execz .LBB384_1481
; %bb.1478:                             ;   in Loop: Header=BB384_16 Depth=1
	v_mov_b32_e32 v4, 7
	s_mov_b32 s28, exec_lo
	v_and_b32_sdwa v18, v34, v4 dst_sel:DWORD dst_unused:UNUSED_PAD src0_sel:WORD_1 src1_sel:DWORD
	v_mov_b32_e32 v36, v19
	v_lshrrev_b32_e32 v4, 3, v8
	v_mov_b32_e32 v35, v18
	v_cmpx_gt_u32_e32 8, v8
; %bb.1479:                             ;   in Loop: Header=BB384_16 Depth=1
	v_ffbh_u32_e32 v4, v18
	v_min_u32_e32 v4, 32, v4
	v_subrev_nc_u32_e32 v8, 28, v4
	v_sub_nc_u32_e32 v4, 29, v4
	v_lshlrev_b64 v[8:9], v8, v[18:19]
	v_and_b32_e32 v35, 7, v8
; %bb.1480:                             ;   in Loop: Header=BB384_16 Depth=1
	s_or_b32 exec_lo, exec_lo, s28
	v_mov_b32_e32 v8, 24
	v_lshlrev_b32_e32 v9, 20, v35
	v_lshl_add_u32 v4, v4, 23, 0x3c000000
	v_lshlrev_b32_sdwa v8, v8, v34 dst_sel:DWORD dst_unused:UNUSED_PAD src0_sel:DWORD src1_sel:WORD_1
	v_and_b32_e32 v8, 0x80000000, v8
	v_or3_b32 v85, v9, v8, v4
.LBB384_1481:                           ;   in Loop: Header=BB384_16 Depth=1
	s_or_b32 exec_lo, exec_lo, s27
.LBB384_1482:                           ;   in Loop: Header=BB384_16 Depth=1
	s_or_b32 exec_lo, exec_lo, s26
.LBB384_1483:                           ;   in Loop: Header=BB384_16 Depth=1
	s_or_b32 exec_lo, exec_lo, s25
	s_mov_b32 s25, exec_lo
	v_cmpx_lt_u64_e64 s[20:21], v[33:34]
	s_cbranch_execz .LBB384_1491
; %bb.1484:                             ;   in Loop: Header=BB384_16 Depth=1
	v_cmp_ne_u32_sdwa s5, v34, v87 src0_sel:BYTE_3 src1_sel:DWORD
	v_bfrev_b32_e32 v80, 1
	s_and_saveexec_b32 s26, s5
	s_cbranch_execz .LBB384_1490
; %bb.1485:                             ;   in Loop: Header=BB384_16 Depth=1
	v_bfe_u32 v8, v34, 24, 7
	v_mov_b32_e32 v80, 0x7f800001
	s_mov_b32 s27, exec_lo
	v_cmpx_ne_u32_e32 0x7f, v8
	s_cbranch_execz .LBB384_1489
; %bb.1486:                             ;   in Loop: Header=BB384_16 Depth=1
	v_mov_b32_e32 v4, 7
	s_mov_b32 s28, exec_lo
	v_and_b32_sdwa v18, v34, v4 dst_sel:DWORD dst_unused:UNUSED_PAD src0_sel:BYTE_3 src1_sel:DWORD
	v_mov_b32_e32 v36, v19
	v_lshrrev_b32_e32 v4, 3, v8
	v_mov_b32_e32 v35, v18
	v_cmpx_gt_u32_e32 8, v8
; %bb.1487:                             ;   in Loop: Header=BB384_16 Depth=1
	v_ffbh_u32_e32 v4, v18
	v_min_u32_e32 v4, 32, v4
	v_subrev_nc_u32_e32 v8, 28, v4
	v_sub_nc_u32_e32 v4, 29, v4
	v_lshlrev_b64 v[8:9], v8, v[18:19]
	v_and_b32_e32 v35, 7, v8
; %bb.1488:                             ;   in Loop: Header=BB384_16 Depth=1
	s_or_b32 exec_lo, exec_lo, s28
	v_mov_b32_e32 v8, 24
	v_lshlrev_b32_e32 v9, 20, v35
	v_lshl_add_u32 v4, v4, 23, 0x3c000000
	v_lshlrev_b32_sdwa v8, v8, v34 dst_sel:DWORD dst_unused:UNUSED_PAD src0_sel:DWORD src1_sel:BYTE_3
	v_and_b32_e32 v8, 0x80000000, v8
	v_or3_b32 v80, v9, v8, v4
.LBB384_1489:                           ;   in Loop: Header=BB384_16 Depth=1
	s_or_b32 exec_lo, exec_lo, s27
.LBB384_1490:                           ;   in Loop: Header=BB384_16 Depth=1
	s_or_b32 exec_lo, exec_lo, s26
.LBB384_1491:                           ;   in Loop: Header=BB384_16 Depth=1
	s_or_b32 exec_lo, exec_lo, s25
	flat_load_dwordx2 v[31:32], v[31:32] offset:1544
	v_mov_b32_e32 v36, 0
	v_mov_b32_e32 v35, 0
	s_waitcnt vmcnt(0) lgkmcnt(0)
	v_cmp_ne_u16_sdwa s5, v31, v19 src0_sel:BYTE_0 src1_sel:DWORD
	s_and_saveexec_b32 s25, s5
	s_cbranch_execz .LBB384_1499
; %bb.1492:                             ;   in Loop: Header=BB384_16 Depth=1
	v_cmp_ne_u16_sdwa s5, v31, v87 src0_sel:BYTE_0 src1_sel:DWORD
	v_bfrev_b32_e32 v35, 1
	s_and_saveexec_b32 s26, s5
	s_cbranch_execz .LBB384_1498
; %bb.1493:                             ;   in Loop: Header=BB384_16 Depth=1
	v_and_b32_e32 v8, 0x7f, v31
	v_mov_b32_e32 v35, 0x7f800001
	s_mov_b32 s27, exec_lo
	v_cmpx_ne_u32_e32 0x7f, v8
	s_cbranch_execz .LBB384_1497
; %bb.1494:                             ;   in Loop: Header=BB384_16 Depth=1
	v_mov_b32_e32 v34, v32
	v_lshrrev_b32_e32 v4, 3, v8
	v_mov_b32_e32 v33, v31
	s_mov_b32 s28, exec_lo
	v_cmpx_gt_u32_e32 8, v8
; %bb.1495:                             ;   in Loop: Header=BB384_16 Depth=1
	v_and_b32_e32 v4, 7, v31
	v_ffbh_u32_e32 v4, v4
	v_min_u32_e32 v4, 32, v4
	v_subrev_nc_u32_e32 v8, 28, v4
	v_sub_nc_u32_e32 v4, 29, v4
	v_lshlrev_b64 v[33:34], v8, v[31:32]
; %bb.1496:                             ;   in Loop: Header=BB384_16 Depth=1
	s_or_b32 exec_lo, exec_lo, s28
	v_lshlrev_b32_e32 v8, 20, v33
	v_lshlrev_b32_e32 v9, 24, v31
	v_lshl_add_u32 v4, v4, 23, 0x3c000000
	v_and_b32_e32 v8, 0x700000, v8
	v_and_b32_e32 v9, 0x80000000, v9
	v_or3_b32 v35, v8, v9, v4
.LBB384_1497:                           ;   in Loop: Header=BB384_16 Depth=1
	s_or_b32 exec_lo, exec_lo, s27
.LBB384_1498:                           ;   in Loop: Header=BB384_16 Depth=1
	s_or_b32 exec_lo, exec_lo, s26
.LBB384_1499:                           ;   in Loop: Header=BB384_16 Depth=1
	s_or_b32 exec_lo, exec_lo, s25
	v_cmp_ne_u16_sdwa s5, v31, v19 src0_sel:BYTE_1 src1_sel:DWORD
	s_and_saveexec_b32 s25, s5
	s_cbranch_execz .LBB384_1507
; %bb.1500:                             ;   in Loop: Header=BB384_16 Depth=1
	v_cmp_ne_u16_sdwa s5, v31, v87 src0_sel:BYTE_1 src1_sel:DWORD
	v_bfrev_b32_e32 v36, 1
	s_and_saveexec_b32 s26, s5
	s_cbranch_execz .LBB384_1506
; %bb.1501:                             ;   in Loop: Header=BB384_16 Depth=1
	v_mov_b32_e32 v4, 0xffff
	v_mov_b32_e32 v36, 0x7f800001
	s_mov_b32 s27, exec_lo
	v_and_b32_sdwa v4, v4, v31 dst_sel:DWORD dst_unused:UNUSED_PAD src0_sel:DWORD src1_sel:BYTE_1
	v_and_b32_e32 v8, 0x7f, v4
	v_cmpx_ne_u32_e32 0x7f, v8
	s_cbranch_execz .LBB384_1505
; %bb.1502:                             ;   in Loop: Header=BB384_16 Depth=1
	v_and_b32_e32 v18, 7, v4
	v_mov_b32_e32 v34, v19
	v_lshrrev_b32_e32 v4, 3, v8
	s_mov_b32 s28, exec_lo
	v_mov_b32_e32 v33, v18
	v_cmpx_gt_u32_e32 8, v8
; %bb.1503:                             ;   in Loop: Header=BB384_16 Depth=1
	v_ffbh_u32_e32 v4, v18
	v_min_u32_e32 v4, 32, v4
	v_subrev_nc_u32_e32 v8, 28, v4
	v_sub_nc_u32_e32 v4, 29, v4
	v_lshlrev_b64 v[8:9], v8, v[18:19]
	v_and_b32_e32 v33, 7, v8
; %bb.1504:                             ;   in Loop: Header=BB384_16 Depth=1
	s_or_b32 exec_lo, exec_lo, s28
	v_lshlrev_b32_e32 v8, 16, v31
	v_lshlrev_b32_e32 v9, 20, v33
	v_lshl_add_u32 v4, v4, 23, 0x3c000000
	v_and_b32_e32 v8, 0x80000000, v8
	v_or3_b32 v36, v9, v8, v4
.LBB384_1505:                           ;   in Loop: Header=BB384_16 Depth=1
	s_or_b32 exec_lo, exec_lo, s27
.LBB384_1506:                           ;   in Loop: Header=BB384_16 Depth=1
	s_or_b32 exec_lo, exec_lo, s26
.LBB384_1507:                           ;   in Loop: Header=BB384_16 Depth=1
	s_or_b32 exec_lo, exec_lo, s25
	v_mov_b32_e32 v4, 0xff
	v_mov_b32_e32 v76, 0
	;; [unrolled: 1-line block ×3, first 2 shown]
	s_mov_b32 s25, exec_lo
	v_and_b32_sdwa v4, v31, v4 dst_sel:DWORD dst_unused:UNUSED_PAD src0_sel:WORD_1 src1_sel:DWORD
	v_cmpx_ne_u16_e32 0, v4
	s_cbranch_execz .LBB384_1515
; %bb.1508:                             ;   in Loop: Header=BB384_16 Depth=1
	v_bfrev_b32_e32 v24, 1
	s_mov_b32 s26, exec_lo
	v_cmpx_ne_u16_e32 0x80, v4
	s_cbranch_execz .LBB384_1514
; %bb.1509:                             ;   in Loop: Header=BB384_16 Depth=1
	v_bfe_u32 v8, v31, 16, 7
	v_mov_b32_e32 v24, 0x7f800001
	s_mov_b32 s27, exec_lo
	v_cmpx_ne_u32_e32 0x7f, v8
	s_cbranch_execz .LBB384_1513
; %bb.1510:                             ;   in Loop: Header=BB384_16 Depth=1
	v_mov_b32_e32 v4, 7
	s_mov_b32 s28, exec_lo
	v_and_b32_sdwa v18, v31, v4 dst_sel:DWORD dst_unused:UNUSED_PAD src0_sel:WORD_1 src1_sel:DWORD
	v_mov_b32_e32 v34, v19
	v_lshrrev_b32_e32 v4, 3, v8
	v_mov_b32_e32 v33, v18
	v_cmpx_gt_u32_e32 8, v8
; %bb.1511:                             ;   in Loop: Header=BB384_16 Depth=1
	v_ffbh_u32_e32 v4, v18
	v_min_u32_e32 v4, 32, v4
	v_subrev_nc_u32_e32 v8, 28, v4
	v_sub_nc_u32_e32 v4, 29, v4
	v_lshlrev_b64 v[8:9], v8, v[18:19]
	v_and_b32_e32 v33, 7, v8
; %bb.1512:                             ;   in Loop: Header=BB384_16 Depth=1
	s_or_b32 exec_lo, exec_lo, s28
	v_mov_b32_e32 v8, 24
	v_lshlrev_b32_e32 v9, 20, v33
	v_lshl_add_u32 v4, v4, 23, 0x3c000000
	v_lshlrev_b32_sdwa v8, v8, v31 dst_sel:DWORD dst_unused:UNUSED_PAD src0_sel:DWORD src1_sel:WORD_1
	v_and_b32_e32 v8, 0x80000000, v8
	v_or3_b32 v24, v9, v8, v4
.LBB384_1513:                           ;   in Loop: Header=BB384_16 Depth=1
	s_or_b32 exec_lo, exec_lo, s27
.LBB384_1514:                           ;   in Loop: Header=BB384_16 Depth=1
	s_or_b32 exec_lo, exec_lo, s26
.LBB384_1515:                           ;   in Loop: Header=BB384_16 Depth=1
	s_or_b32 exec_lo, exec_lo, s25
	s_mov_b32 s25, exec_lo
	v_cmpx_lt_u32_e32 0xffffff, v31
	s_cbranch_execz .LBB384_1523
; %bb.1516:                             ;   in Loop: Header=BB384_16 Depth=1
	v_cmp_ne_u32_sdwa s5, v31, v87 src0_sel:BYTE_3 src1_sel:DWORD
	v_bfrev_b32_e32 v76, 1
	s_and_saveexec_b32 s26, s5
	s_cbranch_execz .LBB384_1522
; %bb.1517:                             ;   in Loop: Header=BB384_16 Depth=1
	v_bfe_u32 v8, v31, 24, 7
	v_mov_b32_e32 v76, 0x7f800001
	s_mov_b32 s27, exec_lo
	v_cmpx_ne_u32_e32 0x7f, v8
	s_cbranch_execz .LBB384_1521
; %bb.1518:                             ;   in Loop: Header=BB384_16 Depth=1
	v_mov_b32_e32 v4, 7
	s_mov_b32 s28, exec_lo
	v_and_b32_sdwa v18, v31, v4 dst_sel:DWORD dst_unused:UNUSED_PAD src0_sel:BYTE_3 src1_sel:DWORD
	v_mov_b32_e32 v34, v19
	v_lshrrev_b32_e32 v4, 3, v8
	v_mov_b32_e32 v33, v18
	v_cmpx_gt_u32_e32 8, v8
; %bb.1519:                             ;   in Loop: Header=BB384_16 Depth=1
	v_ffbh_u32_e32 v4, v18
	v_min_u32_e32 v4, 32, v4
	v_subrev_nc_u32_e32 v8, 28, v4
	v_sub_nc_u32_e32 v4, 29, v4
	v_lshlrev_b64 v[8:9], v8, v[18:19]
	v_and_b32_e32 v33, 7, v8
; %bb.1520:                             ;   in Loop: Header=BB384_16 Depth=1
	s_or_b32 exec_lo, exec_lo, s28
	v_mov_b32_e32 v8, 24
	v_lshlrev_b32_e32 v9, 20, v33
	v_lshl_add_u32 v4, v4, 23, 0x3c000000
	v_lshlrev_b32_sdwa v8, v8, v31 dst_sel:DWORD dst_unused:UNUSED_PAD src0_sel:DWORD src1_sel:BYTE_3
	v_and_b32_e32 v8, 0x80000000, v8
	v_or3_b32 v76, v9, v8, v4
.LBB384_1521:                           ;   in Loop: Header=BB384_16 Depth=1
	s_or_b32 exec_lo, exec_lo, s27
.LBB384_1522:                           ;   in Loop: Header=BB384_16 Depth=1
	s_or_b32 exec_lo, exec_lo, s26
.LBB384_1523:                           ;   in Loop: Header=BB384_16 Depth=1
	s_or_b32 exec_lo, exec_lo, s25
	v_mov_b32_e32 v18, v32
	v_cmp_ne_u16_sdwa s5, v32, v19 src0_sel:BYTE_0 src1_sel:DWORD
	v_mov_b32_e32 v27, 0
	v_mov_b32_e32 v49, 0
	s_and_saveexec_b32 s25, s5
	s_cbranch_execz .LBB384_1531
; %bb.1524:                             ;   in Loop: Header=BB384_16 Depth=1
	v_cmp_ne_u16_sdwa s5, v32, v87 src0_sel:BYTE_0 src1_sel:DWORD
	v_bfrev_b32_e32 v49, 1
	s_and_saveexec_b32 s26, s5
	s_cbranch_execz .LBB384_1530
; %bb.1525:                             ;   in Loop: Header=BB384_16 Depth=1
	v_and_b32_e32 v8, 0x7f, v32
	v_mov_b32_e32 v49, 0x7f800001
	s_mov_b32 s27, exec_lo
	v_cmpx_ne_u32_e32 0x7f, v8
	s_cbranch_execz .LBB384_1529
; %bb.1526:                             ;   in Loop: Header=BB384_16 Depth=1
	v_mov_b32_e32 v34, v19
	v_mov_b32_e32 v33, v18
	v_lshrrev_b32_e32 v4, 3, v8
	s_mov_b32 s28, exec_lo
	v_cmpx_gt_u32_e32 8, v8
; %bb.1527:                             ;   in Loop: Header=BB384_16 Depth=1
	v_and_b32_e32 v4, 7, v32
	v_ffbh_u32_e32 v4, v4
	v_min_u32_e32 v4, 32, v4
	v_subrev_nc_u32_e32 v8, 28, v4
	v_sub_nc_u32_e32 v4, 29, v4
	v_lshlrev_b64 v[33:34], v8, v[18:19]
; %bb.1528:                             ;   in Loop: Header=BB384_16 Depth=1
	s_or_b32 exec_lo, exec_lo, s28
	v_lshlrev_b32_e32 v8, 20, v33
	v_lshlrev_b32_e32 v9, 24, v18
	v_lshl_add_u32 v4, v4, 23, 0x3c000000
	v_and_b32_e32 v8, 0x700000, v8
	v_and_b32_e32 v9, 0x80000000, v9
	v_or3_b32 v49, v8, v9, v4
.LBB384_1529:                           ;   in Loop: Header=BB384_16 Depth=1
	s_or_b32 exec_lo, exec_lo, s27
.LBB384_1530:                           ;   in Loop: Header=BB384_16 Depth=1
	s_or_b32 exec_lo, exec_lo, s26
.LBB384_1531:                           ;   in Loop: Header=BB384_16 Depth=1
	s_or_b32 exec_lo, exec_lo, s25
	v_cmp_ne_u16_sdwa s5, v18, v19 src0_sel:BYTE_1 src1_sel:DWORD
	s_and_saveexec_b32 s25, s5
	s_cbranch_execz .LBB384_1539
; %bb.1532:                             ;   in Loop: Header=BB384_16 Depth=1
	v_cmp_ne_u16_sdwa s5, v18, v87 src0_sel:BYTE_1 src1_sel:DWORD
	v_bfrev_b32_e32 v27, 1
	s_and_saveexec_b32 s26, s5
	s_cbranch_execz .LBB384_1538
; %bb.1533:                             ;   in Loop: Header=BB384_16 Depth=1
	v_mov_b32_e32 v4, 0xffff
	v_mov_b32_e32 v27, 0x7f800001
	s_mov_b32 s27, exec_lo
	v_and_b32_sdwa v4, v4, v18 dst_sel:DWORD dst_unused:UNUSED_PAD src0_sel:DWORD src1_sel:BYTE_1
	v_and_b32_e32 v8, 0x7f, v4
	v_cmpx_ne_u32_e32 0x7f, v8
	s_cbranch_execz .LBB384_1537
; %bb.1534:                             ;   in Loop: Header=BB384_16 Depth=1
	v_and_b32_e32 v33, 7, v4
	v_mov_b32_e32 v34, v19
	v_lshrrev_b32_e32 v4, 3, v8
	s_mov_b32 s28, exec_lo
	v_cmpx_gt_u32_e32 8, v8
; %bb.1535:                             ;   in Loop: Header=BB384_16 Depth=1
	v_ffbh_u32_e32 v4, v33
	v_min_u32_e32 v4, 32, v4
	v_subrev_nc_u32_e32 v8, 28, v4
	v_sub_nc_u32_e32 v4, 29, v4
	v_lshlrev_b64 v[8:9], v8, v[33:34]
	v_and_b32_e32 v33, 7, v8
; %bb.1536:                             ;   in Loop: Header=BB384_16 Depth=1
	s_or_b32 exec_lo, exec_lo, s28
	v_lshlrev_b32_e32 v8, 16, v18
	v_lshlrev_b32_e32 v9, 20, v33
	v_lshl_add_u32 v4, v4, 23, 0x3c000000
	v_and_b32_e32 v8, 0x80000000, v8
	v_or3_b32 v27, v9, v8, v4
.LBB384_1537:                           ;   in Loop: Header=BB384_16 Depth=1
	s_or_b32 exec_lo, exec_lo, s27
.LBB384_1538:                           ;   in Loop: Header=BB384_16 Depth=1
	s_or_b32 exec_lo, exec_lo, s26
.LBB384_1539:                           ;   in Loop: Header=BB384_16 Depth=1
	s_or_b32 exec_lo, exec_lo, s25
	v_mov_b32_e32 v4, 0xff
	v_mov_b32_e32 v39, 0
	;; [unrolled: 1-line block ×3, first 2 shown]
	s_mov_b32 s25, exec_lo
	v_and_b32_sdwa v4, v32, v4 dst_sel:DWORD dst_unused:UNUSED_PAD src0_sel:WORD_1 src1_sel:DWORD
	v_cmpx_ne_u16_e32 0, v4
	s_cbranch_execz .LBB384_1547
; %bb.1540:                             ;   in Loop: Header=BB384_16 Depth=1
	v_bfrev_b32_e32 v70, 1
	s_mov_b32 s26, exec_lo
	v_cmpx_ne_u16_e32 0x80, v4
	s_cbranch_execz .LBB384_1546
; %bb.1541:                             ;   in Loop: Header=BB384_16 Depth=1
	v_bfe_u32 v8, v32, 16, 7
	v_mov_b32_e32 v70, 0x7f800001
	s_mov_b32 s27, exec_lo
	v_cmpx_ne_u32_e32 0x7f, v8
	s_cbranch_execz .LBB384_1545
; %bb.1542:                             ;   in Loop: Header=BB384_16 Depth=1
	v_mov_b32_e32 v4, 7
	s_mov_b32 s28, exec_lo
	v_and_b32_sdwa v18, v32, v4 dst_sel:DWORD dst_unused:UNUSED_PAD src0_sel:WORD_1 src1_sel:DWORD
	v_mov_b32_e32 v34, v19
	v_lshrrev_b32_e32 v4, 3, v8
	v_mov_b32_e32 v33, v18
	v_cmpx_gt_u32_e32 8, v8
; %bb.1543:                             ;   in Loop: Header=BB384_16 Depth=1
	v_ffbh_u32_e32 v4, v18
	v_min_u32_e32 v4, 32, v4
	v_subrev_nc_u32_e32 v8, 28, v4
	v_sub_nc_u32_e32 v4, 29, v4
	v_lshlrev_b64 v[8:9], v8, v[18:19]
	v_and_b32_e32 v33, 7, v8
; %bb.1544:                             ;   in Loop: Header=BB384_16 Depth=1
	s_or_b32 exec_lo, exec_lo, s28
	v_mov_b32_e32 v8, 24
	v_lshlrev_b32_e32 v9, 20, v33
	v_lshl_add_u32 v4, v4, 23, 0x3c000000
	v_lshlrev_b32_sdwa v8, v8, v32 dst_sel:DWORD dst_unused:UNUSED_PAD src0_sel:DWORD src1_sel:WORD_1
	v_and_b32_e32 v8, 0x80000000, v8
	v_or3_b32 v70, v9, v8, v4
.LBB384_1545:                           ;   in Loop: Header=BB384_16 Depth=1
	s_or_b32 exec_lo, exec_lo, s27
.LBB384_1546:                           ;   in Loop: Header=BB384_16 Depth=1
	s_or_b32 exec_lo, exec_lo, s26
.LBB384_1547:                           ;   in Loop: Header=BB384_16 Depth=1
	s_or_b32 exec_lo, exec_lo, s25
	s_mov_b32 s25, exec_lo
	v_cmpx_lt_u64_e64 s[20:21], v[31:32]
	s_cbranch_execz .LBB384_1555
; %bb.1548:                             ;   in Loop: Header=BB384_16 Depth=1
	v_cmp_ne_u32_sdwa s5, v32, v87 src0_sel:BYTE_3 src1_sel:DWORD
	v_bfrev_b32_e32 v39, 1
	s_and_saveexec_b32 s26, s5
	s_cbranch_execz .LBB384_1554
; %bb.1549:                             ;   in Loop: Header=BB384_16 Depth=1
	v_bfe_u32 v8, v32, 24, 7
	v_mov_b32_e32 v39, 0x7f800001
	s_mov_b32 s27, exec_lo
	v_cmpx_ne_u32_e32 0x7f, v8
	s_cbranch_execz .LBB384_1553
; %bb.1550:                             ;   in Loop: Header=BB384_16 Depth=1
	v_mov_b32_e32 v4, 7
	s_mov_b32 s28, exec_lo
	v_and_b32_sdwa v18, v32, v4 dst_sel:DWORD dst_unused:UNUSED_PAD src0_sel:BYTE_3 src1_sel:DWORD
	v_mov_b32_e32 v34, v19
	v_lshrrev_b32_e32 v4, 3, v8
	v_mov_b32_e32 v33, v18
	v_cmpx_gt_u32_e32 8, v8
; %bb.1551:                             ;   in Loop: Header=BB384_16 Depth=1
	v_ffbh_u32_e32 v4, v18
	v_min_u32_e32 v4, 32, v4
	v_subrev_nc_u32_e32 v8, 28, v4
	v_sub_nc_u32_e32 v4, 29, v4
	v_lshlrev_b64 v[8:9], v8, v[18:19]
	v_and_b32_e32 v33, 7, v8
; %bb.1552:                             ;   in Loop: Header=BB384_16 Depth=1
	s_or_b32 exec_lo, exec_lo, s28
	v_mov_b32_e32 v8, 24
	v_lshlrev_b32_e32 v9, 20, v33
	v_lshl_add_u32 v4, v4, 23, 0x3c000000
	v_lshlrev_b32_sdwa v8, v8, v32 dst_sel:DWORD dst_unused:UNUSED_PAD src0_sel:DWORD src1_sel:BYTE_3
	v_and_b32_e32 v8, 0x80000000, v8
	v_or3_b32 v39, v9, v8, v4
.LBB384_1553:                           ;   in Loop: Header=BB384_16 Depth=1
	s_or_b32 exec_lo, exec_lo, s27
.LBB384_1554:                           ;   in Loop: Header=BB384_16 Depth=1
	s_or_b32 exec_lo, exec_lo, s26
.LBB384_1555:                           ;   in Loop: Header=BB384_16 Depth=1
	s_or_b32 exec_lo, exec_lo, s25
	v_add_co_u32 v28, s5, 0x1800, v28
	v_add_co_ci_u32_e64 v29, null, 0, v29, s5
	v_mov_b32_e32 v114, 0
	v_mov_b32_e32 v115, 0
	flat_load_dwordx2 v[31:32], v[28:29]
	s_waitcnt vmcnt(0) lgkmcnt(0)
	v_cmp_ne_u16_sdwa s5, v31, v19 src0_sel:BYTE_0 src1_sel:DWORD
	s_and_saveexec_b32 s25, s5
	s_cbranch_execz .LBB384_1563
; %bb.1556:                             ;   in Loop: Header=BB384_16 Depth=1
	v_cmp_ne_u16_sdwa s5, v31, v87 src0_sel:BYTE_0 src1_sel:DWORD
	v_bfrev_b32_e32 v115, 1
	s_and_saveexec_b32 s26, s5
	s_cbranch_execz .LBB384_1562
; %bb.1557:                             ;   in Loop: Header=BB384_16 Depth=1
	v_and_b32_e32 v8, 0x7f, v31
	v_mov_b32_e32 v115, 0x7f800001
	s_mov_b32 s27, exec_lo
	v_cmpx_ne_u32_e32 0x7f, v8
	s_cbranch_execz .LBB384_1561
; %bb.1558:                             ;   in Loop: Header=BB384_16 Depth=1
	v_mov_b32_e32 v34, v32
	v_lshrrev_b32_e32 v4, 3, v8
	v_mov_b32_e32 v33, v31
	s_mov_b32 s28, exec_lo
	v_cmpx_gt_u32_e32 8, v8
; %bb.1559:                             ;   in Loop: Header=BB384_16 Depth=1
	v_and_b32_e32 v4, 7, v31
	v_ffbh_u32_e32 v4, v4
	v_min_u32_e32 v4, 32, v4
	v_subrev_nc_u32_e32 v8, 28, v4
	v_sub_nc_u32_e32 v4, 29, v4
	v_lshlrev_b64 v[33:34], v8, v[31:32]
; %bb.1560:                             ;   in Loop: Header=BB384_16 Depth=1
	s_or_b32 exec_lo, exec_lo, s28
	v_lshlrev_b32_e32 v8, 20, v33
	v_lshlrev_b32_e32 v9, 24, v31
	v_lshl_add_u32 v4, v4, 23, 0x3c000000
	v_and_b32_e32 v8, 0x700000, v8
	v_and_b32_e32 v9, 0x80000000, v9
	v_or3_b32 v115, v8, v9, v4
.LBB384_1561:                           ;   in Loop: Header=BB384_16 Depth=1
	s_or_b32 exec_lo, exec_lo, s27
.LBB384_1562:                           ;   in Loop: Header=BB384_16 Depth=1
	s_or_b32 exec_lo, exec_lo, s26
.LBB384_1563:                           ;   in Loop: Header=BB384_16 Depth=1
	s_or_b32 exec_lo, exec_lo, s25
	v_cmp_ne_u16_sdwa s5, v31, v19 src0_sel:BYTE_1 src1_sel:DWORD
	s_and_saveexec_b32 s25, s5
	s_cbranch_execz .LBB384_1571
; %bb.1564:                             ;   in Loop: Header=BB384_16 Depth=1
	v_cmp_ne_u16_sdwa s5, v31, v87 src0_sel:BYTE_1 src1_sel:DWORD
	v_bfrev_b32_e32 v114, 1
	s_and_saveexec_b32 s26, s5
	s_cbranch_execz .LBB384_1570
; %bb.1565:                             ;   in Loop: Header=BB384_16 Depth=1
	v_mov_b32_e32 v4, 0xffff
	v_mov_b32_e32 v114, 0x7f800001
	s_mov_b32 s27, exec_lo
	v_and_b32_sdwa v4, v4, v31 dst_sel:DWORD dst_unused:UNUSED_PAD src0_sel:DWORD src1_sel:BYTE_1
	v_and_b32_e32 v8, 0x7f, v4
	v_cmpx_ne_u32_e32 0x7f, v8
	s_cbranch_execz .LBB384_1569
; %bb.1566:                             ;   in Loop: Header=BB384_16 Depth=1
	v_and_b32_e32 v18, 7, v4
	v_mov_b32_e32 v34, v19
	v_lshrrev_b32_e32 v4, 3, v8
	s_mov_b32 s28, exec_lo
	v_mov_b32_e32 v33, v18
	v_cmpx_gt_u32_e32 8, v8
; %bb.1567:                             ;   in Loop: Header=BB384_16 Depth=1
	v_ffbh_u32_e32 v4, v18
	v_min_u32_e32 v4, 32, v4
	v_subrev_nc_u32_e32 v8, 28, v4
	v_sub_nc_u32_e32 v4, 29, v4
	v_lshlrev_b64 v[8:9], v8, v[18:19]
	v_and_b32_e32 v33, 7, v8
; %bb.1568:                             ;   in Loop: Header=BB384_16 Depth=1
	s_or_b32 exec_lo, exec_lo, s28
	v_lshlrev_b32_e32 v8, 16, v31
	v_lshlrev_b32_e32 v9, 20, v33
	v_lshl_add_u32 v4, v4, 23, 0x3c000000
	v_and_b32_e32 v8, 0x80000000, v8
	v_or3_b32 v114, v9, v8, v4
.LBB384_1569:                           ;   in Loop: Header=BB384_16 Depth=1
	s_or_b32 exec_lo, exec_lo, s27
.LBB384_1570:                           ;   in Loop: Header=BB384_16 Depth=1
	s_or_b32 exec_lo, exec_lo, s26
.LBB384_1571:                           ;   in Loop: Header=BB384_16 Depth=1
	s_or_b32 exec_lo, exec_lo, s25
	v_mov_b32_e32 v4, 0xff
	v_mov_b32_e32 v117, 0
	;; [unrolled: 1-line block ×3, first 2 shown]
	s_mov_b32 s25, exec_lo
	v_and_b32_sdwa v4, v31, v4 dst_sel:DWORD dst_unused:UNUSED_PAD src0_sel:WORD_1 src1_sel:DWORD
	v_cmpx_ne_u16_e32 0, v4
	s_cbranch_execz .LBB384_1579
; %bb.1572:                             ;   in Loop: Header=BB384_16 Depth=1
	v_bfrev_b32_e32 v116, 1
	s_mov_b32 s26, exec_lo
	v_cmpx_ne_u16_e32 0x80, v4
	s_cbranch_execz .LBB384_1578
; %bb.1573:                             ;   in Loop: Header=BB384_16 Depth=1
	v_bfe_u32 v8, v31, 16, 7
	v_mov_b32_e32 v116, 0x7f800001
	s_mov_b32 s27, exec_lo
	v_cmpx_ne_u32_e32 0x7f, v8
	s_cbranch_execz .LBB384_1577
; %bb.1574:                             ;   in Loop: Header=BB384_16 Depth=1
	v_mov_b32_e32 v4, 7
	s_mov_b32 s28, exec_lo
	v_and_b32_sdwa v18, v31, v4 dst_sel:DWORD dst_unused:UNUSED_PAD src0_sel:WORD_1 src1_sel:DWORD
	v_mov_b32_e32 v34, v19
	v_lshrrev_b32_e32 v4, 3, v8
	v_mov_b32_e32 v33, v18
	v_cmpx_gt_u32_e32 8, v8
; %bb.1575:                             ;   in Loop: Header=BB384_16 Depth=1
	v_ffbh_u32_e32 v4, v18
	v_min_u32_e32 v4, 32, v4
	v_subrev_nc_u32_e32 v8, 28, v4
	v_sub_nc_u32_e32 v4, 29, v4
	v_lshlrev_b64 v[8:9], v8, v[18:19]
	v_and_b32_e32 v33, 7, v8
; %bb.1576:                             ;   in Loop: Header=BB384_16 Depth=1
	s_or_b32 exec_lo, exec_lo, s28
	v_mov_b32_e32 v8, 24
	v_lshlrev_b32_e32 v9, 20, v33
	v_lshl_add_u32 v4, v4, 23, 0x3c000000
	v_lshlrev_b32_sdwa v8, v8, v31 dst_sel:DWORD dst_unused:UNUSED_PAD src0_sel:DWORD src1_sel:WORD_1
	v_and_b32_e32 v8, 0x80000000, v8
	v_or3_b32 v116, v9, v8, v4
.LBB384_1577:                           ;   in Loop: Header=BB384_16 Depth=1
	s_or_b32 exec_lo, exec_lo, s27
.LBB384_1578:                           ;   in Loop: Header=BB384_16 Depth=1
	s_or_b32 exec_lo, exec_lo, s26
.LBB384_1579:                           ;   in Loop: Header=BB384_16 Depth=1
	s_or_b32 exec_lo, exec_lo, s25
	s_mov_b32 s25, exec_lo
	v_cmpx_lt_u32_e32 0xffffff, v31
	s_cbranch_execz .LBB384_1587
; %bb.1580:                             ;   in Loop: Header=BB384_16 Depth=1
	v_cmp_ne_u32_sdwa s5, v31, v87 src0_sel:BYTE_3 src1_sel:DWORD
	v_bfrev_b32_e32 v117, 1
	s_and_saveexec_b32 s26, s5
	s_cbranch_execz .LBB384_1586
; %bb.1581:                             ;   in Loop: Header=BB384_16 Depth=1
	v_bfe_u32 v8, v31, 24, 7
	v_mov_b32_e32 v117, 0x7f800001
	s_mov_b32 s27, exec_lo
	v_cmpx_ne_u32_e32 0x7f, v8
	s_cbranch_execz .LBB384_1585
; %bb.1582:                             ;   in Loop: Header=BB384_16 Depth=1
	v_mov_b32_e32 v4, 7
	s_mov_b32 s28, exec_lo
	v_and_b32_sdwa v18, v31, v4 dst_sel:DWORD dst_unused:UNUSED_PAD src0_sel:BYTE_3 src1_sel:DWORD
	v_mov_b32_e32 v34, v19
	v_lshrrev_b32_e32 v4, 3, v8
	v_mov_b32_e32 v33, v18
	v_cmpx_gt_u32_e32 8, v8
; %bb.1583:                             ;   in Loop: Header=BB384_16 Depth=1
	v_ffbh_u32_e32 v4, v18
	v_min_u32_e32 v4, 32, v4
	v_subrev_nc_u32_e32 v8, 28, v4
	v_sub_nc_u32_e32 v4, 29, v4
	v_lshlrev_b64 v[8:9], v8, v[18:19]
	v_and_b32_e32 v33, 7, v8
; %bb.1584:                             ;   in Loop: Header=BB384_16 Depth=1
	s_or_b32 exec_lo, exec_lo, s28
	v_mov_b32_e32 v8, 24
	v_lshlrev_b32_e32 v9, 20, v33
	v_lshl_add_u32 v4, v4, 23, 0x3c000000
	v_lshlrev_b32_sdwa v8, v8, v31 dst_sel:DWORD dst_unused:UNUSED_PAD src0_sel:DWORD src1_sel:BYTE_3
	v_and_b32_e32 v8, 0x80000000, v8
	v_or3_b32 v117, v9, v8, v4
.LBB384_1585:                           ;   in Loop: Header=BB384_16 Depth=1
	s_or_b32 exec_lo, exec_lo, s27
.LBB384_1586:                           ;   in Loop: Header=BB384_16 Depth=1
	s_or_b32 exec_lo, exec_lo, s26
.LBB384_1587:                           ;   in Loop: Header=BB384_16 Depth=1
	s_or_b32 exec_lo, exec_lo, s25
	v_mov_b32_e32 v18, v32
	v_cmp_ne_u16_sdwa s5, v32, v19 src0_sel:BYTE_0 src1_sel:DWORD
	v_mov_b32_e32 v62, 0
	v_mov_b32_e32 v105, 0
	s_and_saveexec_b32 s25, s5
	s_cbranch_execz .LBB384_1595
; %bb.1588:                             ;   in Loop: Header=BB384_16 Depth=1
	v_cmp_ne_u16_sdwa s5, v32, v87 src0_sel:BYTE_0 src1_sel:DWORD
	v_bfrev_b32_e32 v105, 1
	s_and_saveexec_b32 s26, s5
	s_cbranch_execz .LBB384_1594
; %bb.1589:                             ;   in Loop: Header=BB384_16 Depth=1
	v_and_b32_e32 v8, 0x7f, v32
	v_mov_b32_e32 v105, 0x7f800001
	s_mov_b32 s27, exec_lo
	v_cmpx_ne_u32_e32 0x7f, v8
	s_cbranch_execz .LBB384_1593
; %bb.1590:                             ;   in Loop: Header=BB384_16 Depth=1
	v_mov_b32_e32 v34, v19
	v_mov_b32_e32 v33, v18
	v_lshrrev_b32_e32 v4, 3, v8
	s_mov_b32 s28, exec_lo
	v_cmpx_gt_u32_e32 8, v8
; %bb.1591:                             ;   in Loop: Header=BB384_16 Depth=1
	v_and_b32_e32 v4, 7, v32
	v_ffbh_u32_e32 v4, v4
	v_min_u32_e32 v4, 32, v4
	v_subrev_nc_u32_e32 v8, 28, v4
	v_sub_nc_u32_e32 v4, 29, v4
	v_lshlrev_b64 v[33:34], v8, v[18:19]
; %bb.1592:                             ;   in Loop: Header=BB384_16 Depth=1
	s_or_b32 exec_lo, exec_lo, s28
	v_lshlrev_b32_e32 v8, 20, v33
	v_lshlrev_b32_e32 v9, 24, v18
	v_lshl_add_u32 v4, v4, 23, 0x3c000000
	v_and_b32_e32 v8, 0x700000, v8
	v_and_b32_e32 v9, 0x80000000, v9
	v_or3_b32 v105, v8, v9, v4
.LBB384_1593:                           ;   in Loop: Header=BB384_16 Depth=1
	s_or_b32 exec_lo, exec_lo, s27
.LBB384_1594:                           ;   in Loop: Header=BB384_16 Depth=1
	s_or_b32 exec_lo, exec_lo, s26
.LBB384_1595:                           ;   in Loop: Header=BB384_16 Depth=1
	s_or_b32 exec_lo, exec_lo, s25
	v_cmp_ne_u16_sdwa s5, v18, v19 src0_sel:BYTE_1 src1_sel:DWORD
	s_and_saveexec_b32 s25, s5
	s_cbranch_execz .LBB384_1603
; %bb.1596:                             ;   in Loop: Header=BB384_16 Depth=1
	v_cmp_ne_u16_sdwa s5, v18, v87 src0_sel:BYTE_1 src1_sel:DWORD
	v_bfrev_b32_e32 v62, 1
	s_and_saveexec_b32 s26, s5
	s_cbranch_execz .LBB384_1602
; %bb.1597:                             ;   in Loop: Header=BB384_16 Depth=1
	v_mov_b32_e32 v4, 0xffff
	v_mov_b32_e32 v62, 0x7f800001
	s_mov_b32 s27, exec_lo
	v_and_b32_sdwa v4, v4, v18 dst_sel:DWORD dst_unused:UNUSED_PAD src0_sel:DWORD src1_sel:BYTE_1
	v_and_b32_e32 v8, 0x7f, v4
	v_cmpx_ne_u32_e32 0x7f, v8
	s_cbranch_execz .LBB384_1601
; %bb.1598:                             ;   in Loop: Header=BB384_16 Depth=1
	v_and_b32_e32 v33, 7, v4
	v_mov_b32_e32 v34, v19
	v_lshrrev_b32_e32 v4, 3, v8
	s_mov_b32 s28, exec_lo
	v_cmpx_gt_u32_e32 8, v8
; %bb.1599:                             ;   in Loop: Header=BB384_16 Depth=1
	v_ffbh_u32_e32 v4, v33
	v_min_u32_e32 v4, 32, v4
	v_subrev_nc_u32_e32 v8, 28, v4
	v_sub_nc_u32_e32 v4, 29, v4
	v_lshlrev_b64 v[8:9], v8, v[33:34]
	v_and_b32_e32 v33, 7, v8
; %bb.1600:                             ;   in Loop: Header=BB384_16 Depth=1
	s_or_b32 exec_lo, exec_lo, s28
	v_lshlrev_b32_e32 v8, 16, v18
	v_lshlrev_b32_e32 v9, 20, v33
	v_lshl_add_u32 v4, v4, 23, 0x3c000000
	v_and_b32_e32 v8, 0x80000000, v8
	v_or3_b32 v62, v9, v8, v4
.LBB384_1601:                           ;   in Loop: Header=BB384_16 Depth=1
	s_or_b32 exec_lo, exec_lo, s27
.LBB384_1602:                           ;   in Loop: Header=BB384_16 Depth=1
	s_or_b32 exec_lo, exec_lo, s26
.LBB384_1603:                           ;   in Loop: Header=BB384_16 Depth=1
	s_or_b32 exec_lo, exec_lo, s25
	v_mov_b32_e32 v4, 0xff
	v_mov_b32_e32 v112, 0
	;; [unrolled: 1-line block ×3, first 2 shown]
	s_mov_b32 s25, exec_lo
	v_and_b32_sdwa v4, v32, v4 dst_sel:DWORD dst_unused:UNUSED_PAD src0_sel:WORD_1 src1_sel:DWORD
	v_cmpx_ne_u16_e32 0, v4
	s_cbranch_execz .LBB384_1611
; %bb.1604:                             ;   in Loop: Header=BB384_16 Depth=1
	v_bfrev_b32_e32 v21, 1
	s_mov_b32 s26, exec_lo
	v_cmpx_ne_u16_e32 0x80, v4
	s_cbranch_execz .LBB384_1610
; %bb.1605:                             ;   in Loop: Header=BB384_16 Depth=1
	v_bfe_u32 v8, v32, 16, 7
	v_mov_b32_e32 v21, 0x7f800001
	s_mov_b32 s27, exec_lo
	v_cmpx_ne_u32_e32 0x7f, v8
	s_cbranch_execz .LBB384_1609
; %bb.1606:                             ;   in Loop: Header=BB384_16 Depth=1
	v_mov_b32_e32 v4, 7
	s_mov_b32 s28, exec_lo
	v_and_b32_sdwa v18, v32, v4 dst_sel:DWORD dst_unused:UNUSED_PAD src0_sel:WORD_1 src1_sel:DWORD
	v_mov_b32_e32 v34, v19
	v_lshrrev_b32_e32 v4, 3, v8
	v_mov_b32_e32 v33, v18
	v_cmpx_gt_u32_e32 8, v8
; %bb.1607:                             ;   in Loop: Header=BB384_16 Depth=1
	v_ffbh_u32_e32 v4, v18
	v_min_u32_e32 v4, 32, v4
	v_subrev_nc_u32_e32 v8, 28, v4
	v_sub_nc_u32_e32 v4, 29, v4
	v_lshlrev_b64 v[8:9], v8, v[18:19]
	v_and_b32_e32 v33, 7, v8
; %bb.1608:                             ;   in Loop: Header=BB384_16 Depth=1
	s_or_b32 exec_lo, exec_lo, s28
	v_mov_b32_e32 v8, 24
	v_lshlrev_b32_e32 v9, 20, v33
	v_lshl_add_u32 v4, v4, 23, 0x3c000000
	v_lshlrev_b32_sdwa v8, v8, v32 dst_sel:DWORD dst_unused:UNUSED_PAD src0_sel:DWORD src1_sel:WORD_1
	v_and_b32_e32 v8, 0x80000000, v8
	v_or3_b32 v21, v9, v8, v4
.LBB384_1609:                           ;   in Loop: Header=BB384_16 Depth=1
	s_or_b32 exec_lo, exec_lo, s27
.LBB384_1610:                           ;   in Loop: Header=BB384_16 Depth=1
	s_or_b32 exec_lo, exec_lo, s26
.LBB384_1611:                           ;   in Loop: Header=BB384_16 Depth=1
	s_or_b32 exec_lo, exec_lo, s25
	s_mov_b32 s25, exec_lo
	v_cmpx_lt_u64_e64 s[20:21], v[31:32]
	s_cbranch_execz .LBB384_1619
; %bb.1612:                             ;   in Loop: Header=BB384_16 Depth=1
	v_cmp_ne_u32_sdwa s5, v32, v87 src0_sel:BYTE_3 src1_sel:DWORD
	v_bfrev_b32_e32 v112, 1
	s_and_saveexec_b32 s26, s5
	s_cbranch_execz .LBB384_1618
; %bb.1613:                             ;   in Loop: Header=BB384_16 Depth=1
	v_bfe_u32 v8, v32, 24, 7
	v_mov_b32_e32 v112, 0x7f800001
	s_mov_b32 s27, exec_lo
	v_cmpx_ne_u32_e32 0x7f, v8
	s_cbranch_execz .LBB384_1617
; %bb.1614:                             ;   in Loop: Header=BB384_16 Depth=1
	v_mov_b32_e32 v4, 7
	s_mov_b32 s28, exec_lo
	v_and_b32_sdwa v18, v32, v4 dst_sel:DWORD dst_unused:UNUSED_PAD src0_sel:BYTE_3 src1_sel:DWORD
	v_mov_b32_e32 v34, v19
	v_lshrrev_b32_e32 v4, 3, v8
	v_mov_b32_e32 v33, v18
	v_cmpx_gt_u32_e32 8, v8
; %bb.1615:                             ;   in Loop: Header=BB384_16 Depth=1
	v_ffbh_u32_e32 v4, v18
	v_min_u32_e32 v4, 32, v4
	v_subrev_nc_u32_e32 v8, 28, v4
	v_sub_nc_u32_e32 v4, 29, v4
	v_lshlrev_b64 v[8:9], v8, v[18:19]
	v_and_b32_e32 v33, 7, v8
; %bb.1616:                             ;   in Loop: Header=BB384_16 Depth=1
	s_or_b32 exec_lo, exec_lo, s28
	v_mov_b32_e32 v8, 24
	v_lshlrev_b32_e32 v9, 20, v33
	v_lshl_add_u32 v4, v4, 23, 0x3c000000
	v_lshlrev_b32_sdwa v8, v8, v32 dst_sel:DWORD dst_unused:UNUSED_PAD src0_sel:DWORD src1_sel:BYTE_3
	v_and_b32_e32 v8, 0x80000000, v8
	v_or3_b32 v112, v9, v8, v4
.LBB384_1617:                           ;   in Loop: Header=BB384_16 Depth=1
	s_or_b32 exec_lo, exec_lo, s27
.LBB384_1618:                           ;   in Loop: Header=BB384_16 Depth=1
	s_or_b32 exec_lo, exec_lo, s26
.LBB384_1619:                           ;   in Loop: Header=BB384_16 Depth=1
	s_or_b32 exec_lo, exec_lo, s25
	flat_load_dwordx2 v[31:32], v[28:29] offset:8
	v_mov_b32_e32 v16, 0
	v_mov_b32_e32 v41, 0
	s_waitcnt vmcnt(0) lgkmcnt(0)
	v_cmp_ne_u16_sdwa s5, v31, v19 src0_sel:BYTE_0 src1_sel:DWORD
	s_and_saveexec_b32 s25, s5
	s_cbranch_execz .LBB384_1627
; %bb.1620:                             ;   in Loop: Header=BB384_16 Depth=1
	v_cmp_ne_u16_sdwa s5, v31, v87 src0_sel:BYTE_0 src1_sel:DWORD
	v_bfrev_b32_e32 v41, 1
	s_and_saveexec_b32 s26, s5
	s_cbranch_execz .LBB384_1626
; %bb.1621:                             ;   in Loop: Header=BB384_16 Depth=1
	v_and_b32_e32 v8, 0x7f, v31
	v_mov_b32_e32 v41, 0x7f800001
	s_mov_b32 s27, exec_lo
	v_cmpx_ne_u32_e32 0x7f, v8
	s_cbranch_execz .LBB384_1625
; %bb.1622:                             ;   in Loop: Header=BB384_16 Depth=1
	v_mov_b32_e32 v34, v32
	v_lshrrev_b32_e32 v4, 3, v8
	v_mov_b32_e32 v33, v31
	s_mov_b32 s28, exec_lo
	v_cmpx_gt_u32_e32 8, v8
; %bb.1623:                             ;   in Loop: Header=BB384_16 Depth=1
	v_and_b32_e32 v4, 7, v31
	v_ffbh_u32_e32 v4, v4
	v_min_u32_e32 v4, 32, v4
	v_subrev_nc_u32_e32 v8, 28, v4
	v_sub_nc_u32_e32 v4, 29, v4
	v_lshlrev_b64 v[33:34], v8, v[31:32]
; %bb.1624:                             ;   in Loop: Header=BB384_16 Depth=1
	s_or_b32 exec_lo, exec_lo, s28
	v_lshlrev_b32_e32 v8, 20, v33
	v_lshlrev_b32_e32 v9, 24, v31
	v_lshl_add_u32 v4, v4, 23, 0x3c000000
	v_and_b32_e32 v8, 0x700000, v8
	v_and_b32_e32 v9, 0x80000000, v9
	v_or3_b32 v41, v8, v9, v4
.LBB384_1625:                           ;   in Loop: Header=BB384_16 Depth=1
	s_or_b32 exec_lo, exec_lo, s27
.LBB384_1626:                           ;   in Loop: Header=BB384_16 Depth=1
	s_or_b32 exec_lo, exec_lo, s26
.LBB384_1627:                           ;   in Loop: Header=BB384_16 Depth=1
	s_or_b32 exec_lo, exec_lo, s25
	v_cmp_ne_u16_sdwa s5, v31, v19 src0_sel:BYTE_1 src1_sel:DWORD
	s_and_saveexec_b32 s25, s5
	s_cbranch_execz .LBB384_1635
; %bb.1628:                             ;   in Loop: Header=BB384_16 Depth=1
	v_cmp_ne_u16_sdwa s5, v31, v87 src0_sel:BYTE_1 src1_sel:DWORD
	v_bfrev_b32_e32 v16, 1
	s_and_saveexec_b32 s26, s5
	s_cbranch_execz .LBB384_1634
; %bb.1629:                             ;   in Loop: Header=BB384_16 Depth=1
	v_mov_b32_e32 v4, 0xffff
	v_mov_b32_e32 v16, 0x7f800001
	s_mov_b32 s27, exec_lo
	v_and_b32_sdwa v4, v4, v31 dst_sel:DWORD dst_unused:UNUSED_PAD src0_sel:DWORD src1_sel:BYTE_1
	v_and_b32_e32 v8, 0x7f, v4
	v_cmpx_ne_u32_e32 0x7f, v8
	s_cbranch_execz .LBB384_1633
; %bb.1630:                             ;   in Loop: Header=BB384_16 Depth=1
	v_and_b32_e32 v18, 7, v4
	v_mov_b32_e32 v34, v19
	v_lshrrev_b32_e32 v4, 3, v8
	s_mov_b32 s28, exec_lo
	v_mov_b32_e32 v33, v18
	v_cmpx_gt_u32_e32 8, v8
; %bb.1631:                             ;   in Loop: Header=BB384_16 Depth=1
	v_ffbh_u32_e32 v4, v18
	v_min_u32_e32 v4, 32, v4
	v_subrev_nc_u32_e32 v8, 28, v4
	v_sub_nc_u32_e32 v4, 29, v4
	v_lshlrev_b64 v[8:9], v8, v[18:19]
	v_and_b32_e32 v33, 7, v8
; %bb.1632:                             ;   in Loop: Header=BB384_16 Depth=1
	s_or_b32 exec_lo, exec_lo, s28
	v_lshlrev_b32_e32 v8, 16, v31
	v_lshlrev_b32_e32 v9, 20, v33
	v_lshl_add_u32 v4, v4, 23, 0x3c000000
	v_and_b32_e32 v8, 0x80000000, v8
	v_or3_b32 v16, v9, v8, v4
.LBB384_1633:                           ;   in Loop: Header=BB384_16 Depth=1
	s_or_b32 exec_lo, exec_lo, s27
.LBB384_1634:                           ;   in Loop: Header=BB384_16 Depth=1
	s_or_b32 exec_lo, exec_lo, s26
.LBB384_1635:                           ;   in Loop: Header=BB384_16 Depth=1
	s_or_b32 exec_lo, exec_lo, s25
	v_mov_b32_e32 v4, 0xff
	v_mov_b32_e32 v25, 0
	;; [unrolled: 1-line block ×3, first 2 shown]
	s_mov_b32 s25, exec_lo
	v_and_b32_sdwa v4, v31, v4 dst_sel:DWORD dst_unused:UNUSED_PAD src0_sel:WORD_1 src1_sel:DWORD
	v_cmpx_ne_u16_e32 0, v4
	s_cbranch_execz .LBB384_1643
; %bb.1636:                             ;   in Loop: Header=BB384_16 Depth=1
	v_bfrev_b32_e32 v13, 1
	s_mov_b32 s26, exec_lo
	v_cmpx_ne_u16_e32 0x80, v4
	s_cbranch_execz .LBB384_1642
; %bb.1637:                             ;   in Loop: Header=BB384_16 Depth=1
	v_bfe_u32 v8, v31, 16, 7
	v_mov_b32_e32 v13, 0x7f800001
	s_mov_b32 s27, exec_lo
	v_cmpx_ne_u32_e32 0x7f, v8
	s_cbranch_execz .LBB384_1641
; %bb.1638:                             ;   in Loop: Header=BB384_16 Depth=1
	v_mov_b32_e32 v4, 7
	s_mov_b32 s28, exec_lo
	v_and_b32_sdwa v18, v31, v4 dst_sel:DWORD dst_unused:UNUSED_PAD src0_sel:WORD_1 src1_sel:DWORD
	v_mov_b32_e32 v34, v19
	v_lshrrev_b32_e32 v4, 3, v8
	v_mov_b32_e32 v33, v18
	v_cmpx_gt_u32_e32 8, v8
; %bb.1639:                             ;   in Loop: Header=BB384_16 Depth=1
	v_ffbh_u32_e32 v4, v18
	v_min_u32_e32 v4, 32, v4
	v_subrev_nc_u32_e32 v8, 28, v4
	v_sub_nc_u32_e32 v4, 29, v4
	v_lshlrev_b64 v[8:9], v8, v[18:19]
	v_and_b32_e32 v33, 7, v8
; %bb.1640:                             ;   in Loop: Header=BB384_16 Depth=1
	s_or_b32 exec_lo, exec_lo, s28
	v_mov_b32_e32 v8, 24
	v_lshlrev_b32_e32 v9, 20, v33
	v_lshl_add_u32 v4, v4, 23, 0x3c000000
	v_lshlrev_b32_sdwa v8, v8, v31 dst_sel:DWORD dst_unused:UNUSED_PAD src0_sel:DWORD src1_sel:WORD_1
	v_and_b32_e32 v8, 0x80000000, v8
	v_or3_b32 v13, v9, v8, v4
.LBB384_1641:                           ;   in Loop: Header=BB384_16 Depth=1
	s_or_b32 exec_lo, exec_lo, s27
.LBB384_1642:                           ;   in Loop: Header=BB384_16 Depth=1
	s_or_b32 exec_lo, exec_lo, s26
.LBB384_1643:                           ;   in Loop: Header=BB384_16 Depth=1
	s_or_b32 exec_lo, exec_lo, s25
	s_mov_b32 s25, exec_lo
	v_cmpx_lt_u32_e32 0xffffff, v31
	s_cbranch_execz .LBB384_1651
; %bb.1644:                             ;   in Loop: Header=BB384_16 Depth=1
	v_cmp_ne_u32_sdwa s5, v31, v87 src0_sel:BYTE_3 src1_sel:DWORD
	v_bfrev_b32_e32 v25, 1
	s_and_saveexec_b32 s26, s5
	s_cbranch_execz .LBB384_1650
; %bb.1645:                             ;   in Loop: Header=BB384_16 Depth=1
	v_bfe_u32 v8, v31, 24, 7
	v_mov_b32_e32 v25, 0x7f800001
	s_mov_b32 s27, exec_lo
	v_cmpx_ne_u32_e32 0x7f, v8
	s_cbranch_execz .LBB384_1649
; %bb.1646:                             ;   in Loop: Header=BB384_16 Depth=1
	v_mov_b32_e32 v4, 7
	s_mov_b32 s28, exec_lo
	v_and_b32_sdwa v18, v31, v4 dst_sel:DWORD dst_unused:UNUSED_PAD src0_sel:BYTE_3 src1_sel:DWORD
	v_mov_b32_e32 v34, v19
	v_lshrrev_b32_e32 v4, 3, v8
	v_mov_b32_e32 v33, v18
	v_cmpx_gt_u32_e32 8, v8
; %bb.1647:                             ;   in Loop: Header=BB384_16 Depth=1
	v_ffbh_u32_e32 v4, v18
	v_min_u32_e32 v4, 32, v4
	v_subrev_nc_u32_e32 v8, 28, v4
	v_sub_nc_u32_e32 v4, 29, v4
	v_lshlrev_b64 v[8:9], v8, v[18:19]
	v_and_b32_e32 v33, 7, v8
; %bb.1648:                             ;   in Loop: Header=BB384_16 Depth=1
	s_or_b32 exec_lo, exec_lo, s28
	v_mov_b32_e32 v8, 24
	v_lshlrev_b32_e32 v9, 20, v33
	v_lshl_add_u32 v4, v4, 23, 0x3c000000
	v_lshlrev_b32_sdwa v8, v8, v31 dst_sel:DWORD dst_unused:UNUSED_PAD src0_sel:DWORD src1_sel:BYTE_3
	v_and_b32_e32 v8, 0x80000000, v8
	v_or3_b32 v25, v9, v8, v4
.LBB384_1649:                           ;   in Loop: Header=BB384_16 Depth=1
	s_or_b32 exec_lo, exec_lo, s27
.LBB384_1650:                           ;   in Loop: Header=BB384_16 Depth=1
	s_or_b32 exec_lo, exec_lo, s26
.LBB384_1651:                           ;   in Loop: Header=BB384_16 Depth=1
	s_or_b32 exec_lo, exec_lo, s25
	v_mov_b32_e32 v18, v32
	v_cmp_ne_u16_sdwa s5, v32, v19 src0_sel:BYTE_0 src1_sel:DWORD
	v_mov_b32_e32 v72, 0
	v_mov_b32_e32 v74, 0
	s_and_saveexec_b32 s25, s5
	s_cbranch_execz .LBB384_1659
; %bb.1652:                             ;   in Loop: Header=BB384_16 Depth=1
	v_cmp_ne_u16_sdwa s5, v32, v87 src0_sel:BYTE_0 src1_sel:DWORD
	v_bfrev_b32_e32 v74, 1
	s_and_saveexec_b32 s26, s5
	s_cbranch_execz .LBB384_1658
; %bb.1653:                             ;   in Loop: Header=BB384_16 Depth=1
	v_and_b32_e32 v8, 0x7f, v32
	v_mov_b32_e32 v74, 0x7f800001
	s_mov_b32 s27, exec_lo
	v_cmpx_ne_u32_e32 0x7f, v8
	s_cbranch_execz .LBB384_1657
; %bb.1654:                             ;   in Loop: Header=BB384_16 Depth=1
	v_mov_b32_e32 v34, v19
	v_mov_b32_e32 v33, v18
	v_lshrrev_b32_e32 v4, 3, v8
	s_mov_b32 s28, exec_lo
	v_cmpx_gt_u32_e32 8, v8
; %bb.1655:                             ;   in Loop: Header=BB384_16 Depth=1
	v_and_b32_e32 v4, 7, v32
	v_ffbh_u32_e32 v4, v4
	v_min_u32_e32 v4, 32, v4
	v_subrev_nc_u32_e32 v8, 28, v4
	v_sub_nc_u32_e32 v4, 29, v4
	v_lshlrev_b64 v[33:34], v8, v[18:19]
; %bb.1656:                             ;   in Loop: Header=BB384_16 Depth=1
	s_or_b32 exec_lo, exec_lo, s28
	v_lshlrev_b32_e32 v8, 20, v33
	v_lshlrev_b32_e32 v9, 24, v18
	v_lshl_add_u32 v4, v4, 23, 0x3c000000
	v_and_b32_e32 v8, 0x700000, v8
	v_and_b32_e32 v9, 0x80000000, v9
	v_or3_b32 v74, v8, v9, v4
.LBB384_1657:                           ;   in Loop: Header=BB384_16 Depth=1
	s_or_b32 exec_lo, exec_lo, s27
.LBB384_1658:                           ;   in Loop: Header=BB384_16 Depth=1
	s_or_b32 exec_lo, exec_lo, s26
.LBB384_1659:                           ;   in Loop: Header=BB384_16 Depth=1
	s_or_b32 exec_lo, exec_lo, s25
	v_cmp_ne_u16_sdwa s5, v18, v19 src0_sel:BYTE_1 src1_sel:DWORD
	s_and_saveexec_b32 s25, s5
	s_cbranch_execz .LBB384_1667
; %bb.1660:                             ;   in Loop: Header=BB384_16 Depth=1
	v_cmp_ne_u16_sdwa s5, v18, v87 src0_sel:BYTE_1 src1_sel:DWORD
	v_bfrev_b32_e32 v72, 1
	s_and_saveexec_b32 s26, s5
	s_cbranch_execz .LBB384_1666
; %bb.1661:                             ;   in Loop: Header=BB384_16 Depth=1
	v_mov_b32_e32 v4, 0xffff
	v_mov_b32_e32 v72, 0x7f800001
	s_mov_b32 s27, exec_lo
	v_and_b32_sdwa v4, v4, v18 dst_sel:DWORD dst_unused:UNUSED_PAD src0_sel:DWORD src1_sel:BYTE_1
	v_and_b32_e32 v8, 0x7f, v4
	v_cmpx_ne_u32_e32 0x7f, v8
	s_cbranch_execz .LBB384_1665
; %bb.1662:                             ;   in Loop: Header=BB384_16 Depth=1
	v_and_b32_e32 v33, 7, v4
	v_mov_b32_e32 v34, v19
	v_lshrrev_b32_e32 v4, 3, v8
	s_mov_b32 s28, exec_lo
	v_cmpx_gt_u32_e32 8, v8
; %bb.1663:                             ;   in Loop: Header=BB384_16 Depth=1
	v_ffbh_u32_e32 v4, v33
	v_min_u32_e32 v4, 32, v4
	v_subrev_nc_u32_e32 v8, 28, v4
	v_sub_nc_u32_e32 v4, 29, v4
	v_lshlrev_b64 v[8:9], v8, v[33:34]
	v_and_b32_e32 v33, 7, v8
; %bb.1664:                             ;   in Loop: Header=BB384_16 Depth=1
	s_or_b32 exec_lo, exec_lo, s28
	v_lshlrev_b32_e32 v8, 16, v18
	v_lshlrev_b32_e32 v9, 20, v33
	v_lshl_add_u32 v4, v4, 23, 0x3c000000
	v_and_b32_e32 v8, 0x80000000, v8
	v_or3_b32 v72, v9, v8, v4
.LBB384_1665:                           ;   in Loop: Header=BB384_16 Depth=1
	s_or_b32 exec_lo, exec_lo, s27
.LBB384_1666:                           ;   in Loop: Header=BB384_16 Depth=1
	s_or_b32 exec_lo, exec_lo, s26
.LBB384_1667:                           ;   in Loop: Header=BB384_16 Depth=1
	s_or_b32 exec_lo, exec_lo, s25
	v_mov_b32_e32 v4, 0xff
	v_mov_b32_e32 v8, 0
	;; [unrolled: 1-line block ×3, first 2 shown]
	s_mov_b32 s25, exec_lo
	v_and_b32_sdwa v4, v32, v4 dst_sel:DWORD dst_unused:UNUSED_PAD src0_sel:WORD_1 src1_sel:DWORD
	v_cmpx_ne_u16_e32 0, v4
	s_cbranch_execz .LBB384_1675
; %bb.1668:                             ;   in Loop: Header=BB384_16 Depth=1
	v_bfrev_b32_e32 v113, 1
	s_mov_b32 s26, exec_lo
	v_cmpx_ne_u16_e32 0x80, v4
	s_cbranch_execz .LBB384_1674
; %bb.1669:                             ;   in Loop: Header=BB384_16 Depth=1
	v_bfe_u32 v9, v32, 16, 7
	v_mov_b32_e32 v113, 0x7f800001
	s_mov_b32 s27, exec_lo
	v_cmpx_ne_u32_e32 0x7f, v9
	s_cbranch_execz .LBB384_1673
; %bb.1670:                             ;   in Loop: Header=BB384_16 Depth=1
	v_mov_b32_e32 v4, 7
	s_mov_b32 s28, exec_lo
	v_and_b32_sdwa v18, v32, v4 dst_sel:DWORD dst_unused:UNUSED_PAD src0_sel:WORD_1 src1_sel:DWORD
	v_mov_b32_e32 v34, v19
	v_lshrrev_b32_e32 v4, 3, v9
	v_mov_b32_e32 v33, v18
	v_cmpx_gt_u32_e32 8, v9
; %bb.1671:                             ;   in Loop: Header=BB384_16 Depth=1
	v_ffbh_u32_e32 v4, v18
	v_min_u32_e32 v4, 32, v4
	v_subrev_nc_u32_e32 v9, 28, v4
	v_sub_nc_u32_e32 v4, 29, v4
	v_lshlrev_b64 v[9:10], v9, v[18:19]
	v_and_b32_e32 v33, 7, v9
; %bb.1672:                             ;   in Loop: Header=BB384_16 Depth=1
	s_or_b32 exec_lo, exec_lo, s28
	v_mov_b32_e32 v9, 24
	v_lshlrev_b32_e32 v10, 20, v33
	v_lshl_add_u32 v4, v4, 23, 0x3c000000
	v_lshlrev_b32_sdwa v9, v9, v32 dst_sel:DWORD dst_unused:UNUSED_PAD src0_sel:DWORD src1_sel:WORD_1
	v_and_b32_e32 v9, 0x80000000, v9
	v_or3_b32 v113, v10, v9, v4
.LBB384_1673:                           ;   in Loop: Header=BB384_16 Depth=1
	s_or_b32 exec_lo, exec_lo, s27
.LBB384_1674:                           ;   in Loop: Header=BB384_16 Depth=1
	s_or_b32 exec_lo, exec_lo, s26
.LBB384_1675:                           ;   in Loop: Header=BB384_16 Depth=1
	s_or_b32 exec_lo, exec_lo, s25
	s_mov_b32 s25, exec_lo
	v_cmpx_lt_u64_e64 s[20:21], v[31:32]
	s_cbranch_execz .LBB384_1683
; %bb.1676:                             ;   in Loop: Header=BB384_16 Depth=1
	v_cmp_ne_u32_sdwa s5, v32, v87 src0_sel:BYTE_3 src1_sel:DWORD
	v_bfrev_b32_e32 v8, 1
	s_and_saveexec_b32 s26, s5
	s_cbranch_execz .LBB384_1682
; %bb.1677:                             ;   in Loop: Header=BB384_16 Depth=1
	v_bfe_u32 v9, v32, 24, 7
	v_mov_b32_e32 v8, 0x7f800001
	s_mov_b32 s27, exec_lo
	v_cmpx_ne_u32_e32 0x7f, v9
	s_cbranch_execz .LBB384_1681
; %bb.1678:                             ;   in Loop: Header=BB384_16 Depth=1
	v_mov_b32_e32 v4, 7
	s_mov_b32 s28, exec_lo
	v_and_b32_sdwa v18, v32, v4 dst_sel:DWORD dst_unused:UNUSED_PAD src0_sel:BYTE_3 src1_sel:DWORD
	v_mov_b32_e32 v34, v19
	v_lshrrev_b32_e32 v4, 3, v9
	v_mov_b32_e32 v33, v18
	v_cmpx_gt_u32_e32 8, v9
; %bb.1679:                             ;   in Loop: Header=BB384_16 Depth=1
	v_ffbh_u32_e32 v4, v18
	v_min_u32_e32 v4, 32, v4
	v_subrev_nc_u32_e32 v8, 28, v4
	v_sub_nc_u32_e32 v4, 29, v4
	v_lshlrev_b64 v[8:9], v8, v[18:19]
	v_and_b32_e32 v33, 7, v8
; %bb.1680:                             ;   in Loop: Header=BB384_16 Depth=1
	s_or_b32 exec_lo, exec_lo, s28
	v_mov_b32_e32 v8, 24
	v_lshlrev_b32_e32 v9, 20, v33
	v_lshl_add_u32 v4, v4, 23, 0x3c000000
	v_lshlrev_b32_sdwa v8, v8, v32 dst_sel:DWORD dst_unused:UNUSED_PAD src0_sel:DWORD src1_sel:BYTE_3
	v_and_b32_e32 v8, 0x80000000, v8
	v_or3_b32 v8, v9, v8, v4
.LBB384_1681:                           ;   in Loop: Header=BB384_16 Depth=1
	s_or_b32 exec_lo, exec_lo, s27
.LBB384_1682:                           ;   in Loop: Header=BB384_16 Depth=1
	s_or_b32 exec_lo, exec_lo, s26
.LBB384_1683:                           ;   in Loop: Header=BB384_16 Depth=1
	s_or_b32 exec_lo, exec_lo, s25
	flat_load_dwordx2 v[31:32], v[28:29] offset:512
	v_mov_b32_e32 v63, 0
	v_mov_b32_e32 v44, 0
	s_waitcnt vmcnt(0) lgkmcnt(0)
	v_cmp_ne_u16_sdwa s5, v31, v19 src0_sel:BYTE_0 src1_sel:DWORD
	s_and_saveexec_b32 s25, s5
	s_cbranch_execz .LBB384_1691
; %bb.1684:                             ;   in Loop: Header=BB384_16 Depth=1
	v_cmp_ne_u16_sdwa s5, v31, v87 src0_sel:BYTE_0 src1_sel:DWORD
	v_bfrev_b32_e32 v44, 1
	s_and_saveexec_b32 s26, s5
	s_cbranch_execz .LBB384_1690
; %bb.1685:                             ;   in Loop: Header=BB384_16 Depth=1
	v_and_b32_e32 v9, 0x7f, v31
	v_mov_b32_e32 v44, 0x7f800001
	s_mov_b32 s27, exec_lo
	v_cmpx_ne_u32_e32 0x7f, v9
	s_cbranch_execz .LBB384_1689
; %bb.1686:                             ;   in Loop: Header=BB384_16 Depth=1
	v_mov_b32_e32 v34, v32
	v_lshrrev_b32_e32 v4, 3, v9
	v_mov_b32_e32 v33, v31
	s_mov_b32 s28, exec_lo
	v_cmpx_gt_u32_e32 8, v9
; %bb.1687:                             ;   in Loop: Header=BB384_16 Depth=1
	v_and_b32_e32 v4, 7, v31
	v_ffbh_u32_e32 v4, v4
	v_min_u32_e32 v4, 32, v4
	v_subrev_nc_u32_e32 v9, 28, v4
	v_sub_nc_u32_e32 v4, 29, v4
	v_lshlrev_b64 v[33:34], v9, v[31:32]
; %bb.1688:                             ;   in Loop: Header=BB384_16 Depth=1
	s_or_b32 exec_lo, exec_lo, s28
	v_lshlrev_b32_e32 v9, 20, v33
	v_lshlrev_b32_e32 v10, 24, v31
	v_lshl_add_u32 v4, v4, 23, 0x3c000000
	v_and_b32_e32 v9, 0x700000, v9
	v_and_b32_e32 v10, 0x80000000, v10
	v_or3_b32 v44, v9, v10, v4
.LBB384_1689:                           ;   in Loop: Header=BB384_16 Depth=1
	s_or_b32 exec_lo, exec_lo, s27
.LBB384_1690:                           ;   in Loop: Header=BB384_16 Depth=1
	s_or_b32 exec_lo, exec_lo, s26
.LBB384_1691:                           ;   in Loop: Header=BB384_16 Depth=1
	s_or_b32 exec_lo, exec_lo, s25
	v_cmp_ne_u16_sdwa s5, v31, v19 src0_sel:BYTE_1 src1_sel:DWORD
	s_and_saveexec_b32 s25, s5
	s_cbranch_execz .LBB384_1699
; %bb.1692:                             ;   in Loop: Header=BB384_16 Depth=1
	v_cmp_ne_u16_sdwa s5, v31, v87 src0_sel:BYTE_1 src1_sel:DWORD
	v_bfrev_b32_e32 v63, 1
	s_and_saveexec_b32 s26, s5
	s_cbranch_execz .LBB384_1698
; %bb.1693:                             ;   in Loop: Header=BB384_16 Depth=1
	v_mov_b32_e32 v4, 0xffff
	v_mov_b32_e32 v63, 0x7f800001
	s_mov_b32 s27, exec_lo
	v_and_b32_sdwa v4, v4, v31 dst_sel:DWORD dst_unused:UNUSED_PAD src0_sel:DWORD src1_sel:BYTE_1
	v_and_b32_e32 v9, 0x7f, v4
	v_cmpx_ne_u32_e32 0x7f, v9
	s_cbranch_execz .LBB384_1697
; %bb.1694:                             ;   in Loop: Header=BB384_16 Depth=1
	v_and_b32_e32 v18, 7, v4
	v_mov_b32_e32 v34, v19
	v_lshrrev_b32_e32 v4, 3, v9
	s_mov_b32 s28, exec_lo
	v_mov_b32_e32 v33, v18
	v_cmpx_gt_u32_e32 8, v9
; %bb.1695:                             ;   in Loop: Header=BB384_16 Depth=1
	v_ffbh_u32_e32 v4, v18
	v_min_u32_e32 v4, 32, v4
	v_subrev_nc_u32_e32 v9, 28, v4
	v_sub_nc_u32_e32 v4, 29, v4
	v_lshlrev_b64 v[9:10], v9, v[18:19]
	v_and_b32_e32 v33, 7, v9
; %bb.1696:                             ;   in Loop: Header=BB384_16 Depth=1
	s_or_b32 exec_lo, exec_lo, s28
	v_lshlrev_b32_e32 v9, 16, v31
	v_lshlrev_b32_e32 v10, 20, v33
	v_lshl_add_u32 v4, v4, 23, 0x3c000000
	v_and_b32_e32 v9, 0x80000000, v9
	v_or3_b32 v63, v10, v9, v4
.LBB384_1697:                           ;   in Loop: Header=BB384_16 Depth=1
	s_or_b32 exec_lo, exec_lo, s27
.LBB384_1698:                           ;   in Loop: Header=BB384_16 Depth=1
	s_or_b32 exec_lo, exec_lo, s26
.LBB384_1699:                           ;   in Loop: Header=BB384_16 Depth=1
	s_or_b32 exec_lo, exec_lo, s25
	v_mov_b32_e32 v4, 0xff
	v_mov_b32_e32 v121, 0
	;; [unrolled: 1-line block ×3, first 2 shown]
	s_mov_b32 s25, exec_lo
	v_and_b32_sdwa v4, v31, v4 dst_sel:DWORD dst_unused:UNUSED_PAD src0_sel:WORD_1 src1_sel:DWORD
	v_cmpx_ne_u16_e32 0, v4
	s_cbranch_execz .LBB384_1707
; %bb.1700:                             ;   in Loop: Header=BB384_16 Depth=1
	v_bfrev_b32_e32 v15, 1
	s_mov_b32 s26, exec_lo
	v_cmpx_ne_u16_e32 0x80, v4
	s_cbranch_execz .LBB384_1706
; %bb.1701:                             ;   in Loop: Header=BB384_16 Depth=1
	v_bfe_u32 v9, v31, 16, 7
	v_mov_b32_e32 v15, 0x7f800001
	s_mov_b32 s27, exec_lo
	v_cmpx_ne_u32_e32 0x7f, v9
	s_cbranch_execz .LBB384_1705
; %bb.1702:                             ;   in Loop: Header=BB384_16 Depth=1
	v_mov_b32_e32 v4, 7
	s_mov_b32 s28, exec_lo
	v_and_b32_sdwa v18, v31, v4 dst_sel:DWORD dst_unused:UNUSED_PAD src0_sel:WORD_1 src1_sel:DWORD
	v_mov_b32_e32 v34, v19
	v_lshrrev_b32_e32 v4, 3, v9
	v_mov_b32_e32 v33, v18
	v_cmpx_gt_u32_e32 8, v9
; %bb.1703:                             ;   in Loop: Header=BB384_16 Depth=1
	v_ffbh_u32_e32 v4, v18
	v_min_u32_e32 v4, 32, v4
	v_subrev_nc_u32_e32 v9, 28, v4
	v_sub_nc_u32_e32 v4, 29, v4
	v_lshlrev_b64 v[9:10], v9, v[18:19]
	v_and_b32_e32 v33, 7, v9
; %bb.1704:                             ;   in Loop: Header=BB384_16 Depth=1
	s_or_b32 exec_lo, exec_lo, s28
	v_mov_b32_e32 v9, 24
	v_lshlrev_b32_e32 v10, 20, v33
	v_lshl_add_u32 v4, v4, 23, 0x3c000000
	v_lshlrev_b32_sdwa v9, v9, v31 dst_sel:DWORD dst_unused:UNUSED_PAD src0_sel:DWORD src1_sel:WORD_1
	v_and_b32_e32 v9, 0x80000000, v9
	v_or3_b32 v15, v10, v9, v4
.LBB384_1705:                           ;   in Loop: Header=BB384_16 Depth=1
	s_or_b32 exec_lo, exec_lo, s27
.LBB384_1706:                           ;   in Loop: Header=BB384_16 Depth=1
	s_or_b32 exec_lo, exec_lo, s26
.LBB384_1707:                           ;   in Loop: Header=BB384_16 Depth=1
	s_or_b32 exec_lo, exec_lo, s25
	s_mov_b32 s25, exec_lo
	v_cmpx_lt_u32_e32 0xffffff, v31
	s_cbranch_execz .LBB384_1715
; %bb.1708:                             ;   in Loop: Header=BB384_16 Depth=1
	v_cmp_ne_u32_sdwa s5, v31, v87 src0_sel:BYTE_3 src1_sel:DWORD
	v_bfrev_b32_e32 v121, 1
	s_and_saveexec_b32 s26, s5
	s_cbranch_execz .LBB384_1714
; %bb.1709:                             ;   in Loop: Header=BB384_16 Depth=1
	v_bfe_u32 v9, v31, 24, 7
	v_mov_b32_e32 v121, 0x7f800001
	s_mov_b32 s27, exec_lo
	v_cmpx_ne_u32_e32 0x7f, v9
	s_cbranch_execz .LBB384_1713
; %bb.1710:                             ;   in Loop: Header=BB384_16 Depth=1
	v_mov_b32_e32 v4, 7
	s_mov_b32 s28, exec_lo
	v_and_b32_sdwa v18, v31, v4 dst_sel:DWORD dst_unused:UNUSED_PAD src0_sel:BYTE_3 src1_sel:DWORD
	v_mov_b32_e32 v34, v19
	v_lshrrev_b32_e32 v4, 3, v9
	v_mov_b32_e32 v33, v18
	v_cmpx_gt_u32_e32 8, v9
; %bb.1711:                             ;   in Loop: Header=BB384_16 Depth=1
	v_ffbh_u32_e32 v4, v18
	v_min_u32_e32 v4, 32, v4
	v_subrev_nc_u32_e32 v9, 28, v4
	v_sub_nc_u32_e32 v4, 29, v4
	v_lshlrev_b64 v[9:10], v9, v[18:19]
	v_and_b32_e32 v33, 7, v9
; %bb.1712:                             ;   in Loop: Header=BB384_16 Depth=1
	s_or_b32 exec_lo, exec_lo, s28
	v_mov_b32_e32 v9, 24
	v_lshlrev_b32_e32 v10, 20, v33
	v_lshl_add_u32 v4, v4, 23, 0x3c000000
	v_lshlrev_b32_sdwa v9, v9, v31 dst_sel:DWORD dst_unused:UNUSED_PAD src0_sel:DWORD src1_sel:BYTE_3
	v_and_b32_e32 v9, 0x80000000, v9
	v_or3_b32 v121, v10, v9, v4
.LBB384_1713:                           ;   in Loop: Header=BB384_16 Depth=1
	s_or_b32 exec_lo, exec_lo, s27
.LBB384_1714:                           ;   in Loop: Header=BB384_16 Depth=1
	s_or_b32 exec_lo, exec_lo, s26
.LBB384_1715:                           ;   in Loop: Header=BB384_16 Depth=1
	s_or_b32 exec_lo, exec_lo, s25
	v_mov_b32_e32 v18, v32
	v_cmp_ne_u16_sdwa s5, v32, v19 src0_sel:BYTE_0 src1_sel:DWORD
	v_mov_b32_e32 v110, 0
	v_mov_b32_e32 v57, 0
	s_and_saveexec_b32 s25, s5
	s_cbranch_execz .LBB384_1723
; %bb.1716:                             ;   in Loop: Header=BB384_16 Depth=1
	v_cmp_ne_u16_sdwa s5, v32, v87 src0_sel:BYTE_0 src1_sel:DWORD
	v_bfrev_b32_e32 v57, 1
	s_and_saveexec_b32 s26, s5
	s_cbranch_execz .LBB384_1722
; %bb.1717:                             ;   in Loop: Header=BB384_16 Depth=1
	v_and_b32_e32 v9, 0x7f, v32
	v_mov_b32_e32 v57, 0x7f800001
	s_mov_b32 s27, exec_lo
	v_cmpx_ne_u32_e32 0x7f, v9
	s_cbranch_execz .LBB384_1721
; %bb.1718:                             ;   in Loop: Header=BB384_16 Depth=1
	v_mov_b32_e32 v34, v19
	v_mov_b32_e32 v33, v18
	v_lshrrev_b32_e32 v4, 3, v9
	s_mov_b32 s28, exec_lo
	v_cmpx_gt_u32_e32 8, v9
; %bb.1719:                             ;   in Loop: Header=BB384_16 Depth=1
	v_and_b32_e32 v4, 7, v32
	v_ffbh_u32_e32 v4, v4
	v_min_u32_e32 v4, 32, v4
	v_subrev_nc_u32_e32 v9, 28, v4
	v_sub_nc_u32_e32 v4, 29, v4
	v_lshlrev_b64 v[33:34], v9, v[18:19]
; %bb.1720:                             ;   in Loop: Header=BB384_16 Depth=1
	s_or_b32 exec_lo, exec_lo, s28
	v_lshlrev_b32_e32 v9, 20, v33
	v_lshlrev_b32_e32 v10, 24, v18
	v_lshl_add_u32 v4, v4, 23, 0x3c000000
	v_and_b32_e32 v9, 0x700000, v9
	v_and_b32_e32 v10, 0x80000000, v10
	v_or3_b32 v57, v9, v10, v4
.LBB384_1721:                           ;   in Loop: Header=BB384_16 Depth=1
	s_or_b32 exec_lo, exec_lo, s27
.LBB384_1722:                           ;   in Loop: Header=BB384_16 Depth=1
	s_or_b32 exec_lo, exec_lo, s26
.LBB384_1723:                           ;   in Loop: Header=BB384_16 Depth=1
	s_or_b32 exec_lo, exec_lo, s25
	v_cmp_ne_u16_sdwa s5, v18, v19 src0_sel:BYTE_1 src1_sel:DWORD
	s_and_saveexec_b32 s25, s5
	s_cbranch_execz .LBB384_1731
; %bb.1724:                             ;   in Loop: Header=BB384_16 Depth=1
	v_cmp_ne_u16_sdwa s5, v18, v87 src0_sel:BYTE_1 src1_sel:DWORD
	v_bfrev_b32_e32 v110, 1
	s_and_saveexec_b32 s26, s5
	s_cbranch_execz .LBB384_1730
; %bb.1725:                             ;   in Loop: Header=BB384_16 Depth=1
	v_mov_b32_e32 v4, 0xffff
	v_mov_b32_e32 v110, 0x7f800001
	s_mov_b32 s27, exec_lo
	v_and_b32_sdwa v4, v4, v18 dst_sel:DWORD dst_unused:UNUSED_PAD src0_sel:DWORD src1_sel:BYTE_1
	v_and_b32_e32 v9, 0x7f, v4
	v_cmpx_ne_u32_e32 0x7f, v9
	s_cbranch_execz .LBB384_1729
; %bb.1726:                             ;   in Loop: Header=BB384_16 Depth=1
	v_and_b32_e32 v33, 7, v4
	v_mov_b32_e32 v34, v19
	v_lshrrev_b32_e32 v4, 3, v9
	s_mov_b32 s28, exec_lo
	v_cmpx_gt_u32_e32 8, v9
; %bb.1727:                             ;   in Loop: Header=BB384_16 Depth=1
	v_ffbh_u32_e32 v4, v33
	v_min_u32_e32 v4, 32, v4
	v_subrev_nc_u32_e32 v9, 28, v4
	v_sub_nc_u32_e32 v4, 29, v4
	v_lshlrev_b64 v[9:10], v9, v[33:34]
	v_and_b32_e32 v33, 7, v9
; %bb.1728:                             ;   in Loop: Header=BB384_16 Depth=1
	s_or_b32 exec_lo, exec_lo, s28
	v_lshlrev_b32_e32 v9, 16, v18
	v_lshlrev_b32_e32 v10, 20, v33
	v_lshl_add_u32 v4, v4, 23, 0x3c000000
	v_and_b32_e32 v9, 0x80000000, v9
	v_or3_b32 v110, v10, v9, v4
.LBB384_1729:                           ;   in Loop: Header=BB384_16 Depth=1
	s_or_b32 exec_lo, exec_lo, s27
.LBB384_1730:                           ;   in Loop: Header=BB384_16 Depth=1
	s_or_b32 exec_lo, exec_lo, s26
.LBB384_1731:                           ;   in Loop: Header=BB384_16 Depth=1
	s_or_b32 exec_lo, exec_lo, s25
	v_mov_b32_e32 v4, 0xff
	v_mov_b32_e32 v61, 0
	;; [unrolled: 1-line block ×3, first 2 shown]
	s_mov_b32 s25, exec_lo
	v_and_b32_sdwa v4, v32, v4 dst_sel:DWORD dst_unused:UNUSED_PAD src0_sel:WORD_1 src1_sel:DWORD
	v_cmpx_ne_u16_e32 0, v4
	s_cbranch_execz .LBB384_1739
; %bb.1732:                             ;   in Loop: Header=BB384_16 Depth=1
	v_bfrev_b32_e32 v9, 1
	s_mov_b32 s26, exec_lo
	v_cmpx_ne_u16_e32 0x80, v4
	s_cbranch_execz .LBB384_1738
; %bb.1733:                             ;   in Loop: Header=BB384_16 Depth=1
	v_bfe_u32 v10, v32, 16, 7
	v_mov_b32_e32 v9, 0x7f800001
	s_mov_b32 s27, exec_lo
	v_cmpx_ne_u32_e32 0x7f, v10
	s_cbranch_execz .LBB384_1737
; %bb.1734:                             ;   in Loop: Header=BB384_16 Depth=1
	v_mov_b32_e32 v4, 7
	s_mov_b32 s28, exec_lo
	v_and_b32_sdwa v18, v32, v4 dst_sel:DWORD dst_unused:UNUSED_PAD src0_sel:WORD_1 src1_sel:DWORD
	v_mov_b32_e32 v34, v19
	v_lshrrev_b32_e32 v4, 3, v10
	v_mov_b32_e32 v33, v18
	v_cmpx_gt_u32_e32 8, v10
; %bb.1735:                             ;   in Loop: Header=BB384_16 Depth=1
	v_ffbh_u32_e32 v4, v18
	v_min_u32_e32 v4, 32, v4
	v_subrev_nc_u32_e32 v9, 28, v4
	v_sub_nc_u32_e32 v4, 29, v4
	v_lshlrev_b64 v[9:10], v9, v[18:19]
	v_and_b32_e32 v33, 7, v9
; %bb.1736:                             ;   in Loop: Header=BB384_16 Depth=1
	s_or_b32 exec_lo, exec_lo, s28
	v_mov_b32_e32 v9, 24
	v_lshlrev_b32_e32 v10, 20, v33
	v_lshl_add_u32 v4, v4, 23, 0x3c000000
	v_lshlrev_b32_sdwa v9, v9, v32 dst_sel:DWORD dst_unused:UNUSED_PAD src0_sel:DWORD src1_sel:WORD_1
	v_and_b32_e32 v9, 0x80000000, v9
	v_or3_b32 v9, v10, v9, v4
.LBB384_1737:                           ;   in Loop: Header=BB384_16 Depth=1
	s_or_b32 exec_lo, exec_lo, s27
.LBB384_1738:                           ;   in Loop: Header=BB384_16 Depth=1
	s_or_b32 exec_lo, exec_lo, s26
.LBB384_1739:                           ;   in Loop: Header=BB384_16 Depth=1
	s_or_b32 exec_lo, exec_lo, s25
	s_mov_b32 s25, exec_lo
	v_cmpx_lt_u64_e64 s[20:21], v[31:32]
	s_cbranch_execz .LBB384_1747
; %bb.1740:                             ;   in Loop: Header=BB384_16 Depth=1
	v_cmp_ne_u32_sdwa s5, v32, v87 src0_sel:BYTE_3 src1_sel:DWORD
	v_bfrev_b32_e32 v61, 1
	s_and_saveexec_b32 s26, s5
	s_cbranch_execz .LBB384_1746
; %bb.1741:                             ;   in Loop: Header=BB384_16 Depth=1
	v_bfe_u32 v10, v32, 24, 7
	v_mov_b32_e32 v61, 0x7f800001
	s_mov_b32 s27, exec_lo
	v_cmpx_ne_u32_e32 0x7f, v10
	s_cbranch_execz .LBB384_1745
; %bb.1742:                             ;   in Loop: Header=BB384_16 Depth=1
	v_mov_b32_e32 v4, 7
	s_mov_b32 s28, exec_lo
	v_and_b32_sdwa v18, v32, v4 dst_sel:DWORD dst_unused:UNUSED_PAD src0_sel:BYTE_3 src1_sel:DWORD
	v_mov_b32_e32 v34, v19
	v_lshrrev_b32_e32 v4, 3, v10
	v_mov_b32_e32 v33, v18
	v_cmpx_gt_u32_e32 8, v10
; %bb.1743:                             ;   in Loop: Header=BB384_16 Depth=1
	v_ffbh_u32_e32 v4, v18
	v_min_u32_e32 v4, 32, v4
	v_subrev_nc_u32_e32 v10, 28, v4
	v_sub_nc_u32_e32 v4, 29, v4
	v_lshlrev_b64 v[10:11], v10, v[18:19]
	v_and_b32_e32 v33, 7, v10
; %bb.1744:                             ;   in Loop: Header=BB384_16 Depth=1
	s_or_b32 exec_lo, exec_lo, s28
	v_mov_b32_e32 v10, 24
	v_lshlrev_b32_e32 v11, 20, v33
	v_lshl_add_u32 v4, v4, 23, 0x3c000000
	v_lshlrev_b32_sdwa v10, v10, v32 dst_sel:DWORD dst_unused:UNUSED_PAD src0_sel:DWORD src1_sel:BYTE_3
	v_and_b32_e32 v10, 0x80000000, v10
	v_or3_b32 v61, v11, v10, v4
.LBB384_1745:                           ;   in Loop: Header=BB384_16 Depth=1
	s_or_b32 exec_lo, exec_lo, s27
.LBB384_1746:                           ;   in Loop: Header=BB384_16 Depth=1
	s_or_b32 exec_lo, exec_lo, s26
.LBB384_1747:                           ;   in Loop: Header=BB384_16 Depth=1
	s_or_b32 exec_lo, exec_lo, s25
	flat_load_dwordx2 v[31:32], v[28:29] offset:520
	v_mov_b32_e32 v94, 0
	v_mov_b32_e32 v119, 0
	s_waitcnt vmcnt(0) lgkmcnt(0)
	v_cmp_ne_u16_sdwa s5, v31, v19 src0_sel:BYTE_0 src1_sel:DWORD
	s_and_saveexec_b32 s25, s5
	s_cbranch_execz .LBB384_1755
; %bb.1748:                             ;   in Loop: Header=BB384_16 Depth=1
	v_cmp_ne_u16_sdwa s5, v31, v87 src0_sel:BYTE_0 src1_sel:DWORD
	v_bfrev_b32_e32 v119, 1
	s_and_saveexec_b32 s26, s5
	s_cbranch_execz .LBB384_1754
; %bb.1749:                             ;   in Loop: Header=BB384_16 Depth=1
	v_and_b32_e32 v10, 0x7f, v31
	v_mov_b32_e32 v119, 0x7f800001
	s_mov_b32 s27, exec_lo
	v_cmpx_ne_u32_e32 0x7f, v10
	s_cbranch_execz .LBB384_1753
; %bb.1750:                             ;   in Loop: Header=BB384_16 Depth=1
	v_mov_b32_e32 v34, v32
	v_lshrrev_b32_e32 v4, 3, v10
	v_mov_b32_e32 v33, v31
	s_mov_b32 s28, exec_lo
	v_cmpx_gt_u32_e32 8, v10
; %bb.1751:                             ;   in Loop: Header=BB384_16 Depth=1
	v_and_b32_e32 v4, 7, v31
	v_ffbh_u32_e32 v4, v4
	v_min_u32_e32 v4, 32, v4
	v_subrev_nc_u32_e32 v10, 28, v4
	v_sub_nc_u32_e32 v4, 29, v4
	v_lshlrev_b64 v[33:34], v10, v[31:32]
; %bb.1752:                             ;   in Loop: Header=BB384_16 Depth=1
	s_or_b32 exec_lo, exec_lo, s28
	v_lshlrev_b32_e32 v10, 20, v33
	v_lshlrev_b32_e32 v11, 24, v31
	v_lshl_add_u32 v4, v4, 23, 0x3c000000
	v_and_b32_e32 v10, 0x700000, v10
	v_and_b32_e32 v11, 0x80000000, v11
	v_or3_b32 v119, v10, v11, v4
.LBB384_1753:                           ;   in Loop: Header=BB384_16 Depth=1
	s_or_b32 exec_lo, exec_lo, s27
.LBB384_1754:                           ;   in Loop: Header=BB384_16 Depth=1
	s_or_b32 exec_lo, exec_lo, s26
.LBB384_1755:                           ;   in Loop: Header=BB384_16 Depth=1
	s_or_b32 exec_lo, exec_lo, s25
	v_cmp_ne_u16_sdwa s5, v31, v19 src0_sel:BYTE_1 src1_sel:DWORD
	s_and_saveexec_b32 s25, s5
	s_cbranch_execz .LBB384_1763
; %bb.1756:                             ;   in Loop: Header=BB384_16 Depth=1
	v_cmp_ne_u16_sdwa s5, v31, v87 src0_sel:BYTE_1 src1_sel:DWORD
	v_bfrev_b32_e32 v94, 1
	s_and_saveexec_b32 s26, s5
	s_cbranch_execz .LBB384_1762
; %bb.1757:                             ;   in Loop: Header=BB384_16 Depth=1
	v_mov_b32_e32 v4, 0xffff
	v_mov_b32_e32 v94, 0x7f800001
	s_mov_b32 s27, exec_lo
	v_and_b32_sdwa v4, v4, v31 dst_sel:DWORD dst_unused:UNUSED_PAD src0_sel:DWORD src1_sel:BYTE_1
	v_and_b32_e32 v10, 0x7f, v4
	v_cmpx_ne_u32_e32 0x7f, v10
	s_cbranch_execz .LBB384_1761
; %bb.1758:                             ;   in Loop: Header=BB384_16 Depth=1
	v_and_b32_e32 v18, 7, v4
	v_mov_b32_e32 v34, v19
	v_lshrrev_b32_e32 v4, 3, v10
	s_mov_b32 s28, exec_lo
	v_mov_b32_e32 v33, v18
	v_cmpx_gt_u32_e32 8, v10
; %bb.1759:                             ;   in Loop: Header=BB384_16 Depth=1
	v_ffbh_u32_e32 v4, v18
	v_min_u32_e32 v4, 32, v4
	v_subrev_nc_u32_e32 v10, 28, v4
	v_sub_nc_u32_e32 v4, 29, v4
	v_lshlrev_b64 v[10:11], v10, v[18:19]
	v_and_b32_e32 v33, 7, v10
; %bb.1760:                             ;   in Loop: Header=BB384_16 Depth=1
	s_or_b32 exec_lo, exec_lo, s28
	v_lshlrev_b32_e32 v10, 16, v31
	v_lshlrev_b32_e32 v11, 20, v33
	v_lshl_add_u32 v4, v4, 23, 0x3c000000
	v_and_b32_e32 v10, 0x80000000, v10
	v_or3_b32 v94, v11, v10, v4
.LBB384_1761:                           ;   in Loop: Header=BB384_16 Depth=1
	s_or_b32 exec_lo, exec_lo, s27
.LBB384_1762:                           ;   in Loop: Header=BB384_16 Depth=1
	s_or_b32 exec_lo, exec_lo, s26
.LBB384_1763:                           ;   in Loop: Header=BB384_16 Depth=1
	s_or_b32 exec_lo, exec_lo, s25
	v_mov_b32_e32 v4, 0xff
	v_mov_b32_e32 v64, 0
	;; [unrolled: 1-line block ×3, first 2 shown]
	s_mov_b32 s25, exec_lo
	v_and_b32_sdwa v4, v31, v4 dst_sel:DWORD dst_unused:UNUSED_PAD src0_sel:WORD_1 src1_sel:DWORD
	v_cmpx_ne_u16_e32 0, v4
	s_cbranch_execz .LBB384_1771
; %bb.1764:                             ;   in Loop: Header=BB384_16 Depth=1
	v_bfrev_b32_e32 v118, 1
	s_mov_b32 s26, exec_lo
	v_cmpx_ne_u16_e32 0x80, v4
	s_cbranch_execz .LBB384_1770
; %bb.1765:                             ;   in Loop: Header=BB384_16 Depth=1
	v_bfe_u32 v10, v31, 16, 7
	v_mov_b32_e32 v118, 0x7f800001
	s_mov_b32 s27, exec_lo
	v_cmpx_ne_u32_e32 0x7f, v10
	s_cbranch_execz .LBB384_1769
; %bb.1766:                             ;   in Loop: Header=BB384_16 Depth=1
	v_mov_b32_e32 v4, 7
	s_mov_b32 s28, exec_lo
	v_and_b32_sdwa v18, v31, v4 dst_sel:DWORD dst_unused:UNUSED_PAD src0_sel:WORD_1 src1_sel:DWORD
	v_mov_b32_e32 v34, v19
	v_lshrrev_b32_e32 v4, 3, v10
	v_mov_b32_e32 v33, v18
	v_cmpx_gt_u32_e32 8, v10
; %bb.1767:                             ;   in Loop: Header=BB384_16 Depth=1
	v_ffbh_u32_e32 v4, v18
	v_min_u32_e32 v4, 32, v4
	v_subrev_nc_u32_e32 v10, 28, v4
	v_sub_nc_u32_e32 v4, 29, v4
	v_lshlrev_b64 v[10:11], v10, v[18:19]
	v_and_b32_e32 v33, 7, v10
; %bb.1768:                             ;   in Loop: Header=BB384_16 Depth=1
	s_or_b32 exec_lo, exec_lo, s28
	v_mov_b32_e32 v10, 24
	v_lshlrev_b32_e32 v11, 20, v33
	v_lshl_add_u32 v4, v4, 23, 0x3c000000
	v_lshlrev_b32_sdwa v10, v10, v31 dst_sel:DWORD dst_unused:UNUSED_PAD src0_sel:DWORD src1_sel:WORD_1
	v_and_b32_e32 v10, 0x80000000, v10
	v_or3_b32 v118, v11, v10, v4
.LBB384_1769:                           ;   in Loop: Header=BB384_16 Depth=1
	s_or_b32 exec_lo, exec_lo, s27
.LBB384_1770:                           ;   in Loop: Header=BB384_16 Depth=1
	s_or_b32 exec_lo, exec_lo, s26
.LBB384_1771:                           ;   in Loop: Header=BB384_16 Depth=1
	s_or_b32 exec_lo, exec_lo, s25
	s_mov_b32 s25, exec_lo
	v_cmpx_lt_u32_e32 0xffffff, v31
	s_cbranch_execz .LBB384_1779
; %bb.1772:                             ;   in Loop: Header=BB384_16 Depth=1
	v_cmp_ne_u32_sdwa s5, v31, v87 src0_sel:BYTE_3 src1_sel:DWORD
	v_bfrev_b32_e32 v64, 1
	s_and_saveexec_b32 s26, s5
	s_cbranch_execz .LBB384_1778
; %bb.1773:                             ;   in Loop: Header=BB384_16 Depth=1
	v_bfe_u32 v10, v31, 24, 7
	v_mov_b32_e32 v64, 0x7f800001
	s_mov_b32 s27, exec_lo
	v_cmpx_ne_u32_e32 0x7f, v10
	s_cbranch_execz .LBB384_1777
; %bb.1774:                             ;   in Loop: Header=BB384_16 Depth=1
	v_mov_b32_e32 v4, 7
	s_mov_b32 s28, exec_lo
	v_and_b32_sdwa v18, v31, v4 dst_sel:DWORD dst_unused:UNUSED_PAD src0_sel:BYTE_3 src1_sel:DWORD
	v_mov_b32_e32 v34, v19
	v_lshrrev_b32_e32 v4, 3, v10
	v_mov_b32_e32 v33, v18
	v_cmpx_gt_u32_e32 8, v10
; %bb.1775:                             ;   in Loop: Header=BB384_16 Depth=1
	v_ffbh_u32_e32 v4, v18
	v_min_u32_e32 v4, 32, v4
	v_subrev_nc_u32_e32 v10, 28, v4
	v_sub_nc_u32_e32 v4, 29, v4
	v_lshlrev_b64 v[10:11], v10, v[18:19]
	v_and_b32_e32 v33, 7, v10
; %bb.1776:                             ;   in Loop: Header=BB384_16 Depth=1
	s_or_b32 exec_lo, exec_lo, s28
	v_mov_b32_e32 v10, 24
	v_lshlrev_b32_e32 v11, 20, v33
	v_lshl_add_u32 v4, v4, 23, 0x3c000000
	v_lshlrev_b32_sdwa v10, v10, v31 dst_sel:DWORD dst_unused:UNUSED_PAD src0_sel:DWORD src1_sel:BYTE_3
	v_and_b32_e32 v10, 0x80000000, v10
	v_or3_b32 v64, v11, v10, v4
.LBB384_1777:                           ;   in Loop: Header=BB384_16 Depth=1
	s_or_b32 exec_lo, exec_lo, s27
.LBB384_1778:                           ;   in Loop: Header=BB384_16 Depth=1
	s_or_b32 exec_lo, exec_lo, s26
.LBB384_1779:                           ;   in Loop: Header=BB384_16 Depth=1
	s_or_b32 exec_lo, exec_lo, s25
	v_mov_b32_e32 v18, v32
	v_cmp_ne_u16_sdwa s5, v32, v19 src0_sel:BYTE_0 src1_sel:DWORD
	v_mov_b32_e32 v82, 0
	v_mov_b32_e32 v65, 0
	s_and_saveexec_b32 s25, s5
	s_cbranch_execz .LBB384_1787
; %bb.1780:                             ;   in Loop: Header=BB384_16 Depth=1
	v_cmp_ne_u16_sdwa s5, v32, v87 src0_sel:BYTE_0 src1_sel:DWORD
	v_bfrev_b32_e32 v65, 1
	s_and_saveexec_b32 s26, s5
	s_cbranch_execz .LBB384_1786
; %bb.1781:                             ;   in Loop: Header=BB384_16 Depth=1
	v_and_b32_e32 v10, 0x7f, v32
	v_mov_b32_e32 v65, 0x7f800001
	s_mov_b32 s27, exec_lo
	v_cmpx_ne_u32_e32 0x7f, v10
	s_cbranch_execz .LBB384_1785
; %bb.1782:                             ;   in Loop: Header=BB384_16 Depth=1
	v_mov_b32_e32 v34, v19
	v_mov_b32_e32 v33, v18
	v_lshrrev_b32_e32 v4, 3, v10
	s_mov_b32 s28, exec_lo
	v_cmpx_gt_u32_e32 8, v10
; %bb.1783:                             ;   in Loop: Header=BB384_16 Depth=1
	v_and_b32_e32 v4, 7, v32
	v_ffbh_u32_e32 v4, v4
	v_min_u32_e32 v4, 32, v4
	v_subrev_nc_u32_e32 v10, 28, v4
	v_sub_nc_u32_e32 v4, 29, v4
	v_lshlrev_b64 v[33:34], v10, v[18:19]
; %bb.1784:                             ;   in Loop: Header=BB384_16 Depth=1
	s_or_b32 exec_lo, exec_lo, s28
	v_lshlrev_b32_e32 v10, 20, v33
	v_lshlrev_b32_e32 v11, 24, v18
	v_lshl_add_u32 v4, v4, 23, 0x3c000000
	v_and_b32_e32 v10, 0x700000, v10
	v_and_b32_e32 v11, 0x80000000, v11
	v_or3_b32 v65, v10, v11, v4
.LBB384_1785:                           ;   in Loop: Header=BB384_16 Depth=1
	s_or_b32 exec_lo, exec_lo, s27
.LBB384_1786:                           ;   in Loop: Header=BB384_16 Depth=1
	s_or_b32 exec_lo, exec_lo, s26
.LBB384_1787:                           ;   in Loop: Header=BB384_16 Depth=1
	s_or_b32 exec_lo, exec_lo, s25
	v_cmp_ne_u16_sdwa s5, v18, v19 src0_sel:BYTE_1 src1_sel:DWORD
	s_and_saveexec_b32 s25, s5
	s_cbranch_execz .LBB384_1795
; %bb.1788:                             ;   in Loop: Header=BB384_16 Depth=1
	v_cmp_ne_u16_sdwa s5, v18, v87 src0_sel:BYTE_1 src1_sel:DWORD
	v_bfrev_b32_e32 v82, 1
	s_and_saveexec_b32 s26, s5
	s_cbranch_execz .LBB384_1794
; %bb.1789:                             ;   in Loop: Header=BB384_16 Depth=1
	v_mov_b32_e32 v4, 0xffff
	v_mov_b32_e32 v82, 0x7f800001
	s_mov_b32 s27, exec_lo
	v_and_b32_sdwa v4, v4, v18 dst_sel:DWORD dst_unused:UNUSED_PAD src0_sel:DWORD src1_sel:BYTE_1
	v_and_b32_e32 v10, 0x7f, v4
	v_cmpx_ne_u32_e32 0x7f, v10
	s_cbranch_execz .LBB384_1793
; %bb.1790:                             ;   in Loop: Header=BB384_16 Depth=1
	v_and_b32_e32 v33, 7, v4
	v_mov_b32_e32 v34, v19
	v_lshrrev_b32_e32 v4, 3, v10
	s_mov_b32 s28, exec_lo
	v_cmpx_gt_u32_e32 8, v10
; %bb.1791:                             ;   in Loop: Header=BB384_16 Depth=1
	v_ffbh_u32_e32 v4, v33
	v_min_u32_e32 v4, 32, v4
	v_subrev_nc_u32_e32 v10, 28, v4
	v_sub_nc_u32_e32 v4, 29, v4
	v_lshlrev_b64 v[10:11], v10, v[33:34]
	v_and_b32_e32 v33, 7, v10
; %bb.1792:                             ;   in Loop: Header=BB384_16 Depth=1
	s_or_b32 exec_lo, exec_lo, s28
	v_lshlrev_b32_e32 v10, 16, v18
	v_lshlrev_b32_e32 v11, 20, v33
	v_lshl_add_u32 v4, v4, 23, 0x3c000000
	v_and_b32_e32 v10, 0x80000000, v10
	v_or3_b32 v82, v11, v10, v4
.LBB384_1793:                           ;   in Loop: Header=BB384_16 Depth=1
	s_or_b32 exec_lo, exec_lo, s27
.LBB384_1794:                           ;   in Loop: Header=BB384_16 Depth=1
	s_or_b32 exec_lo, exec_lo, s26
.LBB384_1795:                           ;   in Loop: Header=BB384_16 Depth=1
	s_or_b32 exec_lo, exec_lo, s25
	v_mov_b32_e32 v4, 0xff
	v_mov_b32_e32 v103, 0
	;; [unrolled: 1-line block ×3, first 2 shown]
	s_mov_b32 s25, exec_lo
	v_and_b32_sdwa v4, v32, v4 dst_sel:DWORD dst_unused:UNUSED_PAD src0_sel:WORD_1 src1_sel:DWORD
	v_cmpx_ne_u16_e32 0, v4
	s_cbranch_execz .LBB384_1803
; %bb.1796:                             ;   in Loop: Header=BB384_16 Depth=1
	v_bfrev_b32_e32 v12, 1
	s_mov_b32 s26, exec_lo
	v_cmpx_ne_u16_e32 0x80, v4
	s_cbranch_execz .LBB384_1802
; %bb.1797:                             ;   in Loop: Header=BB384_16 Depth=1
	v_bfe_u32 v10, v32, 16, 7
	v_mov_b32_e32 v12, 0x7f800001
	s_mov_b32 s27, exec_lo
	v_cmpx_ne_u32_e32 0x7f, v10
	s_cbranch_execz .LBB384_1801
; %bb.1798:                             ;   in Loop: Header=BB384_16 Depth=1
	v_mov_b32_e32 v4, 7
	s_mov_b32 s28, exec_lo
	v_and_b32_sdwa v18, v32, v4 dst_sel:DWORD dst_unused:UNUSED_PAD src0_sel:WORD_1 src1_sel:DWORD
	v_mov_b32_e32 v34, v19
	v_lshrrev_b32_e32 v4, 3, v10
	v_mov_b32_e32 v33, v18
	v_cmpx_gt_u32_e32 8, v10
; %bb.1799:                             ;   in Loop: Header=BB384_16 Depth=1
	v_ffbh_u32_e32 v4, v18
	v_min_u32_e32 v4, 32, v4
	v_subrev_nc_u32_e32 v10, 28, v4
	v_sub_nc_u32_e32 v4, 29, v4
	v_lshlrev_b64 v[10:11], v10, v[18:19]
	v_and_b32_e32 v33, 7, v10
; %bb.1800:                             ;   in Loop: Header=BB384_16 Depth=1
	s_or_b32 exec_lo, exec_lo, s28
	v_mov_b32_e32 v10, 24
	v_lshlrev_b32_e32 v11, 20, v33
	v_lshl_add_u32 v4, v4, 23, 0x3c000000
	v_lshlrev_b32_sdwa v10, v10, v32 dst_sel:DWORD dst_unused:UNUSED_PAD src0_sel:DWORD src1_sel:WORD_1
	v_and_b32_e32 v10, 0x80000000, v10
	v_or3_b32 v12, v11, v10, v4
.LBB384_1801:                           ;   in Loop: Header=BB384_16 Depth=1
	s_or_b32 exec_lo, exec_lo, s27
.LBB384_1802:                           ;   in Loop: Header=BB384_16 Depth=1
	s_or_b32 exec_lo, exec_lo, s26
.LBB384_1803:                           ;   in Loop: Header=BB384_16 Depth=1
	s_or_b32 exec_lo, exec_lo, s25
	s_mov_b32 s25, exec_lo
	v_cmpx_lt_u64_e64 s[20:21], v[31:32]
	s_cbranch_execz .LBB384_1811
; %bb.1804:                             ;   in Loop: Header=BB384_16 Depth=1
	v_cmp_ne_u32_sdwa s5, v32, v87 src0_sel:BYTE_3 src1_sel:DWORD
	v_bfrev_b32_e32 v103, 1
	s_and_saveexec_b32 s26, s5
	s_cbranch_execz .LBB384_1810
; %bb.1805:                             ;   in Loop: Header=BB384_16 Depth=1
	v_bfe_u32 v10, v32, 24, 7
	v_mov_b32_e32 v103, 0x7f800001
	s_mov_b32 s27, exec_lo
	v_cmpx_ne_u32_e32 0x7f, v10
	s_cbranch_execz .LBB384_1809
; %bb.1806:                             ;   in Loop: Header=BB384_16 Depth=1
	v_mov_b32_e32 v4, 7
	s_mov_b32 s28, exec_lo
	v_and_b32_sdwa v18, v32, v4 dst_sel:DWORD dst_unused:UNUSED_PAD src0_sel:BYTE_3 src1_sel:DWORD
	v_mov_b32_e32 v34, v19
	v_lshrrev_b32_e32 v4, 3, v10
	v_mov_b32_e32 v33, v18
	v_cmpx_gt_u32_e32 8, v10
; %bb.1807:                             ;   in Loop: Header=BB384_16 Depth=1
	v_ffbh_u32_e32 v4, v18
	v_min_u32_e32 v4, 32, v4
	v_subrev_nc_u32_e32 v10, 28, v4
	v_sub_nc_u32_e32 v4, 29, v4
	v_lshlrev_b64 v[10:11], v10, v[18:19]
	v_and_b32_e32 v33, 7, v10
; %bb.1808:                             ;   in Loop: Header=BB384_16 Depth=1
	s_or_b32 exec_lo, exec_lo, s28
	v_mov_b32_e32 v10, 24
	v_lshlrev_b32_e32 v11, 20, v33
	v_lshl_add_u32 v4, v4, 23, 0x3c000000
	v_lshlrev_b32_sdwa v10, v10, v32 dst_sel:DWORD dst_unused:UNUSED_PAD src0_sel:DWORD src1_sel:BYTE_3
	v_and_b32_e32 v10, 0x80000000, v10
	v_or3_b32 v103, v11, v10, v4
.LBB384_1809:                           ;   in Loop: Header=BB384_16 Depth=1
	s_or_b32 exec_lo, exec_lo, s27
.LBB384_1810:                           ;   in Loop: Header=BB384_16 Depth=1
	s_or_b32 exec_lo, exec_lo, s26
.LBB384_1811:                           ;   in Loop: Header=BB384_16 Depth=1
	s_or_b32 exec_lo, exec_lo, s25
	flat_load_dwordx2 v[31:32], v[28:29] offset:1024
	v_mov_b32_e32 v30, 0
	v_mov_b32_e32 v51, 0
	s_waitcnt vmcnt(0) lgkmcnt(0)
	v_cmp_ne_u16_sdwa s5, v31, v19 src0_sel:BYTE_0 src1_sel:DWORD
	s_and_saveexec_b32 s25, s5
	s_cbranch_execz .LBB384_1819
; %bb.1812:                             ;   in Loop: Header=BB384_16 Depth=1
	v_cmp_ne_u16_sdwa s5, v31, v87 src0_sel:BYTE_0 src1_sel:DWORD
	v_bfrev_b32_e32 v51, 1
	s_and_saveexec_b32 s26, s5
	s_cbranch_execz .LBB384_1818
; %bb.1813:                             ;   in Loop: Header=BB384_16 Depth=1
	v_and_b32_e32 v10, 0x7f, v31
	v_mov_b32_e32 v51, 0x7f800001
	s_mov_b32 s27, exec_lo
	v_cmpx_ne_u32_e32 0x7f, v10
	s_cbranch_execz .LBB384_1817
; %bb.1814:                             ;   in Loop: Header=BB384_16 Depth=1
	v_mov_b32_e32 v34, v32
	v_lshrrev_b32_e32 v4, 3, v10
	v_mov_b32_e32 v33, v31
	s_mov_b32 s28, exec_lo
	v_cmpx_gt_u32_e32 8, v10
; %bb.1815:                             ;   in Loop: Header=BB384_16 Depth=1
	v_and_b32_e32 v4, 7, v31
	v_ffbh_u32_e32 v4, v4
	v_min_u32_e32 v4, 32, v4
	v_subrev_nc_u32_e32 v10, 28, v4
	v_sub_nc_u32_e32 v4, 29, v4
	v_lshlrev_b64 v[33:34], v10, v[31:32]
; %bb.1816:                             ;   in Loop: Header=BB384_16 Depth=1
	s_or_b32 exec_lo, exec_lo, s28
	v_lshlrev_b32_e32 v10, 20, v33
	v_lshlrev_b32_e32 v11, 24, v31
	v_lshl_add_u32 v4, v4, 23, 0x3c000000
	v_and_b32_e32 v10, 0x700000, v10
	v_and_b32_e32 v11, 0x80000000, v11
	v_or3_b32 v51, v10, v11, v4
.LBB384_1817:                           ;   in Loop: Header=BB384_16 Depth=1
	s_or_b32 exec_lo, exec_lo, s27
.LBB384_1818:                           ;   in Loop: Header=BB384_16 Depth=1
	s_or_b32 exec_lo, exec_lo, s26
.LBB384_1819:                           ;   in Loop: Header=BB384_16 Depth=1
	s_or_b32 exec_lo, exec_lo, s25
	v_cmp_ne_u16_sdwa s5, v31, v19 src0_sel:BYTE_1 src1_sel:DWORD
	s_and_saveexec_b32 s25, s5
	s_cbranch_execz .LBB384_1827
; %bb.1820:                             ;   in Loop: Header=BB384_16 Depth=1
	v_cmp_ne_u16_sdwa s5, v31, v87 src0_sel:BYTE_1 src1_sel:DWORD
	v_bfrev_b32_e32 v30, 1
	s_and_saveexec_b32 s26, s5
	s_cbranch_execz .LBB384_1826
; %bb.1821:                             ;   in Loop: Header=BB384_16 Depth=1
	v_mov_b32_e32 v4, 0xffff
	v_mov_b32_e32 v30, 0x7f800001
	s_mov_b32 s27, exec_lo
	v_and_b32_sdwa v4, v4, v31 dst_sel:DWORD dst_unused:UNUSED_PAD src0_sel:DWORD src1_sel:BYTE_1
	v_and_b32_e32 v10, 0x7f, v4
	v_cmpx_ne_u32_e32 0x7f, v10
	s_cbranch_execz .LBB384_1825
; %bb.1822:                             ;   in Loop: Header=BB384_16 Depth=1
	v_and_b32_e32 v18, 7, v4
	v_mov_b32_e32 v34, v19
	v_lshrrev_b32_e32 v4, 3, v10
	s_mov_b32 s28, exec_lo
	v_mov_b32_e32 v33, v18
	v_cmpx_gt_u32_e32 8, v10
; %bb.1823:                             ;   in Loop: Header=BB384_16 Depth=1
	v_ffbh_u32_e32 v4, v18
	v_min_u32_e32 v4, 32, v4
	v_subrev_nc_u32_e32 v10, 28, v4
	v_sub_nc_u32_e32 v4, 29, v4
	v_lshlrev_b64 v[10:11], v10, v[18:19]
	v_and_b32_e32 v33, 7, v10
; %bb.1824:                             ;   in Loop: Header=BB384_16 Depth=1
	s_or_b32 exec_lo, exec_lo, s28
	v_lshlrev_b32_e32 v10, 16, v31
	v_lshlrev_b32_e32 v11, 20, v33
	v_lshl_add_u32 v4, v4, 23, 0x3c000000
	v_and_b32_e32 v10, 0x80000000, v10
	v_or3_b32 v30, v11, v10, v4
.LBB384_1825:                           ;   in Loop: Header=BB384_16 Depth=1
	s_or_b32 exec_lo, exec_lo, s27
.LBB384_1826:                           ;   in Loop: Header=BB384_16 Depth=1
	s_or_b32 exec_lo, exec_lo, s26
.LBB384_1827:                           ;   in Loop: Header=BB384_16 Depth=1
	s_or_b32 exec_lo, exec_lo, s25
	v_mov_b32_e32 v4, 0xff
	v_mov_b32_e32 v40, 0
	;; [unrolled: 1-line block ×3, first 2 shown]
	s_mov_b32 s25, exec_lo
	v_and_b32_sdwa v4, v31, v4 dst_sel:DWORD dst_unused:UNUSED_PAD src0_sel:WORD_1 src1_sel:DWORD
	v_cmpx_ne_u16_e32 0, v4
	s_cbranch_execz .LBB384_1835
; %bb.1828:                             ;   in Loop: Header=BB384_16 Depth=1
	v_bfrev_b32_e32 v10, 1
	s_mov_b32 s26, exec_lo
	v_cmpx_ne_u16_e32 0x80, v4
	s_cbranch_execz .LBB384_1834
; %bb.1829:                             ;   in Loop: Header=BB384_16 Depth=1
	v_bfe_u32 v11, v31, 16, 7
	v_mov_b32_e32 v10, 0x7f800001
	s_mov_b32 s27, exec_lo
	v_cmpx_ne_u32_e32 0x7f, v11
	s_cbranch_execz .LBB384_1833
; %bb.1830:                             ;   in Loop: Header=BB384_16 Depth=1
	v_mov_b32_e32 v4, 7
	s_mov_b32 s28, exec_lo
	v_and_b32_sdwa v18, v31, v4 dst_sel:DWORD dst_unused:UNUSED_PAD src0_sel:WORD_1 src1_sel:DWORD
	v_mov_b32_e32 v34, v19
	v_lshrrev_b32_e32 v4, 3, v11
	v_mov_b32_e32 v33, v18
	v_cmpx_gt_u32_e32 8, v11
; %bb.1831:                             ;   in Loop: Header=BB384_16 Depth=1
	v_ffbh_u32_e32 v4, v18
	v_min_u32_e32 v4, 32, v4
	v_subrev_nc_u32_e32 v10, 28, v4
	v_sub_nc_u32_e32 v4, 29, v4
	v_lshlrev_b64 v[10:11], v10, v[18:19]
	v_and_b32_e32 v33, 7, v10
; %bb.1832:                             ;   in Loop: Header=BB384_16 Depth=1
	s_or_b32 exec_lo, exec_lo, s28
	v_mov_b32_e32 v10, 24
	v_lshlrev_b32_e32 v11, 20, v33
	v_lshl_add_u32 v4, v4, 23, 0x3c000000
	v_lshlrev_b32_sdwa v10, v10, v31 dst_sel:DWORD dst_unused:UNUSED_PAD src0_sel:DWORD src1_sel:WORD_1
	v_and_b32_e32 v10, 0x80000000, v10
	v_or3_b32 v10, v11, v10, v4
.LBB384_1833:                           ;   in Loop: Header=BB384_16 Depth=1
	s_or_b32 exec_lo, exec_lo, s27
.LBB384_1834:                           ;   in Loop: Header=BB384_16 Depth=1
	s_or_b32 exec_lo, exec_lo, s26
.LBB384_1835:                           ;   in Loop: Header=BB384_16 Depth=1
	s_or_b32 exec_lo, exec_lo, s25
	s_mov_b32 s25, exec_lo
	v_cmpx_lt_u32_e32 0xffffff, v31
	s_cbranch_execz .LBB384_1843
; %bb.1836:                             ;   in Loop: Header=BB384_16 Depth=1
	v_cmp_ne_u32_sdwa s5, v31, v87 src0_sel:BYTE_3 src1_sel:DWORD
	v_bfrev_b32_e32 v40, 1
	s_and_saveexec_b32 s26, s5
	s_cbranch_execz .LBB384_1842
; %bb.1837:                             ;   in Loop: Header=BB384_16 Depth=1
	v_bfe_u32 v11, v31, 24, 7
	v_mov_b32_e32 v40, 0x7f800001
	s_mov_b32 s27, exec_lo
	v_cmpx_ne_u32_e32 0x7f, v11
	s_cbranch_execz .LBB384_1841
; %bb.1838:                             ;   in Loop: Header=BB384_16 Depth=1
	v_mov_b32_e32 v4, 7
	s_mov_b32 s28, exec_lo
	v_and_b32_sdwa v18, v31, v4 dst_sel:DWORD dst_unused:UNUSED_PAD src0_sel:BYTE_3 src1_sel:DWORD
	v_mov_b32_e32 v34, v19
	v_lshrrev_b32_e32 v4, 3, v11
	v_mov_b32_e32 v33, v18
	v_cmpx_gt_u32_e32 8, v11
; %bb.1839:                             ;   in Loop: Header=BB384_16 Depth=1
	v_ffbh_u32_e32 v4, v18
	v_min_u32_e32 v4, 32, v4
	v_subrev_nc_u32_e32 v11, 28, v4
	v_sub_nc_u32_e32 v4, 29, v4
	v_lshlrev_b64 v[17:18], v11, v[18:19]
	v_and_b32_e32 v33, 7, v17
; %bb.1840:                             ;   in Loop: Header=BB384_16 Depth=1
	s_or_b32 exec_lo, exec_lo, s28
	v_mov_b32_e32 v11, 24
	v_lshlrev_b32_e32 v17, 20, v33
	v_lshl_add_u32 v4, v4, 23, 0x3c000000
	v_lshlrev_b32_sdwa v11, v11, v31 dst_sel:DWORD dst_unused:UNUSED_PAD src0_sel:DWORD src1_sel:BYTE_3
	v_and_b32_e32 v11, 0x80000000, v11
	v_or3_b32 v40, v17, v11, v4
.LBB384_1841:                           ;   in Loop: Header=BB384_16 Depth=1
	s_or_b32 exec_lo, exec_lo, s27
.LBB384_1842:                           ;   in Loop: Header=BB384_16 Depth=1
	s_or_b32 exec_lo, exec_lo, s26
.LBB384_1843:                           ;   in Loop: Header=BB384_16 Depth=1
	s_or_b32 exec_lo, exec_lo, s25
	v_mov_b32_e32 v18, v32
	v_cmp_ne_u16_sdwa s5, v32, v19 src0_sel:BYTE_0 src1_sel:DWORD
	v_mov_b32_e32 v111, 0
	v_mov_b32_e32 v58, 0
	s_and_saveexec_b32 s25, s5
	s_cbranch_execz .LBB384_1851
; %bb.1844:                             ;   in Loop: Header=BB384_16 Depth=1
	v_cmp_ne_u16_sdwa s5, v32, v87 src0_sel:BYTE_0 src1_sel:DWORD
	v_bfrev_b32_e32 v58, 1
	s_and_saveexec_b32 s26, s5
	s_cbranch_execz .LBB384_1850
; %bb.1845:                             ;   in Loop: Header=BB384_16 Depth=1
	v_and_b32_e32 v11, 0x7f, v32
	v_mov_b32_e32 v58, 0x7f800001
	s_mov_b32 s27, exec_lo
	v_cmpx_ne_u32_e32 0x7f, v11
	s_cbranch_execz .LBB384_1849
; %bb.1846:                             ;   in Loop: Header=BB384_16 Depth=1
	v_mov_b32_e32 v34, v19
	v_mov_b32_e32 v33, v18
	v_lshrrev_b32_e32 v4, 3, v11
	s_mov_b32 s28, exec_lo
	v_cmpx_gt_u32_e32 8, v11
; %bb.1847:                             ;   in Loop: Header=BB384_16 Depth=1
	v_and_b32_e32 v4, 7, v32
	v_ffbh_u32_e32 v4, v4
	v_min_u32_e32 v4, 32, v4
	v_subrev_nc_u32_e32 v11, 28, v4
	v_sub_nc_u32_e32 v4, 29, v4
	v_lshlrev_b64 v[33:34], v11, v[18:19]
; %bb.1848:                             ;   in Loop: Header=BB384_16 Depth=1
	s_or_b32 exec_lo, exec_lo, s28
	v_lshlrev_b32_e32 v11, 20, v33
	v_lshlrev_b32_e32 v17, 24, v18
	v_lshl_add_u32 v4, v4, 23, 0x3c000000
	v_and_b32_e32 v11, 0x700000, v11
	v_and_b32_e32 v17, 0x80000000, v17
	v_or3_b32 v58, v11, v17, v4
.LBB384_1849:                           ;   in Loop: Header=BB384_16 Depth=1
	s_or_b32 exec_lo, exec_lo, s27
.LBB384_1850:                           ;   in Loop: Header=BB384_16 Depth=1
	s_or_b32 exec_lo, exec_lo, s26
.LBB384_1851:                           ;   in Loop: Header=BB384_16 Depth=1
	s_or_b32 exec_lo, exec_lo, s25
	v_cmp_ne_u16_sdwa s5, v18, v19 src0_sel:BYTE_1 src1_sel:DWORD
	s_and_saveexec_b32 s25, s5
	s_cbranch_execz .LBB384_1859
; %bb.1852:                             ;   in Loop: Header=BB384_16 Depth=1
	v_cmp_ne_u16_sdwa s5, v18, v87 src0_sel:BYTE_1 src1_sel:DWORD
	v_bfrev_b32_e32 v111, 1
	s_and_saveexec_b32 s26, s5
	s_cbranch_execz .LBB384_1858
; %bb.1853:                             ;   in Loop: Header=BB384_16 Depth=1
	v_mov_b32_e32 v4, 0xffff
	v_mov_b32_e32 v111, 0x7f800001
	s_mov_b32 s27, exec_lo
	v_and_b32_sdwa v4, v4, v18 dst_sel:DWORD dst_unused:UNUSED_PAD src0_sel:DWORD src1_sel:BYTE_1
	v_and_b32_e32 v11, 0x7f, v4
	v_cmpx_ne_u32_e32 0x7f, v11
	s_cbranch_execz .LBB384_1857
; %bb.1854:                             ;   in Loop: Header=BB384_16 Depth=1
	v_and_b32_e32 v33, 7, v4
	v_mov_b32_e32 v34, v19
	v_lshrrev_b32_e32 v4, 3, v11
	s_mov_b32 s28, exec_lo
	v_cmpx_gt_u32_e32 8, v11
; %bb.1855:                             ;   in Loop: Header=BB384_16 Depth=1
	v_ffbh_u32_e32 v4, v33
	v_min_u32_e32 v4, 32, v4
	v_subrev_nc_u32_e32 v11, 28, v4
	v_sub_nc_u32_e32 v4, 29, v4
	v_lshlrev_b64 v[22:23], v11, v[33:34]
	v_and_b32_e32 v33, 7, v22
; %bb.1856:                             ;   in Loop: Header=BB384_16 Depth=1
	s_or_b32 exec_lo, exec_lo, s28
	v_lshlrev_b32_e32 v11, 16, v18
	v_lshlrev_b32_e32 v17, 20, v33
	v_lshl_add_u32 v4, v4, 23, 0x3c000000
	v_and_b32_e32 v11, 0x80000000, v11
	v_or3_b32 v111, v17, v11, v4
.LBB384_1857:                           ;   in Loop: Header=BB384_16 Depth=1
	s_or_b32 exec_lo, exec_lo, s27
.LBB384_1858:                           ;   in Loop: Header=BB384_16 Depth=1
	s_or_b32 exec_lo, exec_lo, s26
.LBB384_1859:                           ;   in Loop: Header=BB384_16 Depth=1
	s_or_b32 exec_lo, exec_lo, s25
	v_mov_b32_e32 v4, 0xff
	v_mov_b32_e32 v73, 0
	;; [unrolled: 1-line block ×3, first 2 shown]
	s_mov_b32 s25, exec_lo
	v_and_b32_sdwa v4, v32, v4 dst_sel:DWORD dst_unused:UNUSED_PAD src0_sel:WORD_1 src1_sel:DWORD
	v_cmpx_ne_u16_e32 0, v4
	s_cbranch_execz .LBB384_1867
; %bb.1860:                             ;   in Loop: Header=BB384_16 Depth=1
	v_bfrev_b32_e32 v120, 1
	s_mov_b32 s26, exec_lo
	v_cmpx_ne_u16_e32 0x80, v4
	s_cbranch_execz .LBB384_1866
; %bb.1861:                             ;   in Loop: Header=BB384_16 Depth=1
	v_bfe_u32 v11, v32, 16, 7
	v_mov_b32_e32 v120, 0x7f800001
	s_mov_b32 s27, exec_lo
	v_cmpx_ne_u32_e32 0x7f, v11
	s_cbranch_execz .LBB384_1865
; %bb.1862:                             ;   in Loop: Header=BB384_16 Depth=1
	v_mov_b32_e32 v4, 7
	s_mov_b32 s28, exec_lo
	v_and_b32_sdwa v18, v32, v4 dst_sel:DWORD dst_unused:UNUSED_PAD src0_sel:WORD_1 src1_sel:DWORD
	v_mov_b32_e32 v34, v19
	v_lshrrev_b32_e32 v4, 3, v11
	v_mov_b32_e32 v33, v18
	v_cmpx_gt_u32_e32 8, v11
; %bb.1863:                             ;   in Loop: Header=BB384_16 Depth=1
	v_ffbh_u32_e32 v4, v18
	v_min_u32_e32 v4, 32, v4
	v_subrev_nc_u32_e32 v11, 28, v4
	v_sub_nc_u32_e32 v4, 29, v4
	v_lshlrev_b64 v[17:18], v11, v[18:19]
	v_and_b32_e32 v33, 7, v17
; %bb.1864:                             ;   in Loop: Header=BB384_16 Depth=1
	s_or_b32 exec_lo, exec_lo, s28
	v_mov_b32_e32 v11, 24
	v_lshlrev_b32_e32 v17, 20, v33
	v_lshl_add_u32 v4, v4, 23, 0x3c000000
	v_lshlrev_b32_sdwa v11, v11, v32 dst_sel:DWORD dst_unused:UNUSED_PAD src0_sel:DWORD src1_sel:WORD_1
	v_and_b32_e32 v11, 0x80000000, v11
	v_or3_b32 v120, v17, v11, v4
.LBB384_1865:                           ;   in Loop: Header=BB384_16 Depth=1
	s_or_b32 exec_lo, exec_lo, s27
.LBB384_1866:                           ;   in Loop: Header=BB384_16 Depth=1
	s_or_b32 exec_lo, exec_lo, s26
.LBB384_1867:                           ;   in Loop: Header=BB384_16 Depth=1
	s_or_b32 exec_lo, exec_lo, s25
	s_mov_b32 s25, exec_lo
	v_cmpx_lt_u64_e64 s[20:21], v[31:32]
	s_cbranch_execz .LBB384_1875
; %bb.1868:                             ;   in Loop: Header=BB384_16 Depth=1
	v_cmp_ne_u32_sdwa s5, v32, v87 src0_sel:BYTE_3 src1_sel:DWORD
	v_bfrev_b32_e32 v73, 1
	s_and_saveexec_b32 s26, s5
	s_cbranch_execz .LBB384_1874
; %bb.1869:                             ;   in Loop: Header=BB384_16 Depth=1
	v_bfe_u32 v11, v32, 24, 7
	v_mov_b32_e32 v73, 0x7f800001
	s_mov_b32 s27, exec_lo
	v_cmpx_ne_u32_e32 0x7f, v11
	s_cbranch_execz .LBB384_1873
; %bb.1870:                             ;   in Loop: Header=BB384_16 Depth=1
	v_mov_b32_e32 v4, 7
	s_mov_b32 s28, exec_lo
	v_and_b32_sdwa v18, v32, v4 dst_sel:DWORD dst_unused:UNUSED_PAD src0_sel:BYTE_3 src1_sel:DWORD
	v_mov_b32_e32 v34, v19
	v_lshrrev_b32_e32 v4, 3, v11
	v_mov_b32_e32 v33, v18
	v_cmpx_gt_u32_e32 8, v11
; %bb.1871:                             ;   in Loop: Header=BB384_16 Depth=1
	v_ffbh_u32_e32 v4, v18
	v_min_u32_e32 v4, 32, v4
	v_subrev_nc_u32_e32 v11, 28, v4
	v_sub_nc_u32_e32 v4, 29, v4
	v_lshlrev_b64 v[17:18], v11, v[18:19]
	v_and_b32_e32 v33, 7, v17
; %bb.1872:                             ;   in Loop: Header=BB384_16 Depth=1
	s_or_b32 exec_lo, exec_lo, s28
	v_mov_b32_e32 v11, 24
	v_lshlrev_b32_e32 v17, 20, v33
	v_lshl_add_u32 v4, v4, 23, 0x3c000000
	v_lshlrev_b32_sdwa v11, v11, v32 dst_sel:DWORD dst_unused:UNUSED_PAD src0_sel:DWORD src1_sel:BYTE_3
	v_and_b32_e32 v11, 0x80000000, v11
	v_or3_b32 v73, v17, v11, v4
.LBB384_1873:                           ;   in Loop: Header=BB384_16 Depth=1
	s_or_b32 exec_lo, exec_lo, s27
.LBB384_1874:                           ;   in Loop: Header=BB384_16 Depth=1
	s_or_b32 exec_lo, exec_lo, s26
.LBB384_1875:                           ;   in Loop: Header=BB384_16 Depth=1
	s_or_b32 exec_lo, exec_lo, s25
	flat_load_dwordx2 v[31:32], v[28:29] offset:1032
	v_mov_b32_e32 v77, 0
	v_mov_b32_e32 v45, 0
	s_waitcnt vmcnt(0) lgkmcnt(0)
	v_cmp_ne_u16_sdwa s5, v31, v19 src0_sel:BYTE_0 src1_sel:DWORD
	s_and_saveexec_b32 s25, s5
	s_cbranch_execz .LBB384_1883
; %bb.1876:                             ;   in Loop: Header=BB384_16 Depth=1
	v_cmp_ne_u16_sdwa s5, v31, v87 src0_sel:BYTE_0 src1_sel:DWORD
	v_bfrev_b32_e32 v45, 1
	s_and_saveexec_b32 s26, s5
	s_cbranch_execz .LBB384_1882
; %bb.1877:                             ;   in Loop: Header=BB384_16 Depth=1
	v_and_b32_e32 v11, 0x7f, v31
	v_mov_b32_e32 v45, 0x7f800001
	s_mov_b32 s27, exec_lo
	v_cmpx_ne_u32_e32 0x7f, v11
	s_cbranch_execz .LBB384_1881
; %bb.1878:                             ;   in Loop: Header=BB384_16 Depth=1
	v_mov_b32_e32 v34, v32
	v_lshrrev_b32_e32 v4, 3, v11
	v_mov_b32_e32 v33, v31
	s_mov_b32 s28, exec_lo
	v_cmpx_gt_u32_e32 8, v11
; %bb.1879:                             ;   in Loop: Header=BB384_16 Depth=1
	v_and_b32_e32 v4, 7, v31
	v_ffbh_u32_e32 v4, v4
	v_min_u32_e32 v4, 32, v4
	v_subrev_nc_u32_e32 v11, 28, v4
	v_sub_nc_u32_e32 v4, 29, v4
	v_lshlrev_b64 v[33:34], v11, v[31:32]
; %bb.1880:                             ;   in Loop: Header=BB384_16 Depth=1
	s_or_b32 exec_lo, exec_lo, s28
	v_lshlrev_b32_e32 v11, 20, v33
	v_lshlrev_b32_e32 v17, 24, v31
	v_lshl_add_u32 v4, v4, 23, 0x3c000000
	v_and_b32_e32 v11, 0x700000, v11
	v_and_b32_e32 v17, 0x80000000, v17
	v_or3_b32 v45, v11, v17, v4
.LBB384_1881:                           ;   in Loop: Header=BB384_16 Depth=1
	s_or_b32 exec_lo, exec_lo, s27
.LBB384_1882:                           ;   in Loop: Header=BB384_16 Depth=1
	s_or_b32 exec_lo, exec_lo, s26
.LBB384_1883:                           ;   in Loop: Header=BB384_16 Depth=1
	s_or_b32 exec_lo, exec_lo, s25
	v_cmp_ne_u16_sdwa s5, v31, v19 src0_sel:BYTE_1 src1_sel:DWORD
	s_and_saveexec_b32 s25, s5
	s_cbranch_execz .LBB384_1891
; %bb.1884:                             ;   in Loop: Header=BB384_16 Depth=1
	v_cmp_ne_u16_sdwa s5, v31, v87 src0_sel:BYTE_1 src1_sel:DWORD
	v_bfrev_b32_e32 v77, 1
	s_and_saveexec_b32 s26, s5
	s_cbranch_execz .LBB384_1890
; %bb.1885:                             ;   in Loop: Header=BB384_16 Depth=1
	v_mov_b32_e32 v4, 0xffff
	v_mov_b32_e32 v77, 0x7f800001
	s_mov_b32 s27, exec_lo
	v_and_b32_sdwa v4, v4, v31 dst_sel:DWORD dst_unused:UNUSED_PAD src0_sel:DWORD src1_sel:BYTE_1
	v_and_b32_e32 v11, 0x7f, v4
	v_cmpx_ne_u32_e32 0x7f, v11
	s_cbranch_execz .LBB384_1889
; %bb.1886:                             ;   in Loop: Header=BB384_16 Depth=1
	v_and_b32_e32 v18, 7, v4
	v_mov_b32_e32 v34, v19
	v_lshrrev_b32_e32 v4, 3, v11
	s_mov_b32 s28, exec_lo
	v_mov_b32_e32 v33, v18
	v_cmpx_gt_u32_e32 8, v11
; %bb.1887:                             ;   in Loop: Header=BB384_16 Depth=1
	v_ffbh_u32_e32 v4, v18
	v_min_u32_e32 v4, 32, v4
	v_subrev_nc_u32_e32 v11, 28, v4
	v_sub_nc_u32_e32 v4, 29, v4
	v_lshlrev_b64 v[17:18], v11, v[18:19]
	v_and_b32_e32 v33, 7, v17
; %bb.1888:                             ;   in Loop: Header=BB384_16 Depth=1
	s_or_b32 exec_lo, exec_lo, s28
	v_lshlrev_b32_e32 v11, 16, v31
	v_lshlrev_b32_e32 v17, 20, v33
	v_lshl_add_u32 v4, v4, 23, 0x3c000000
	v_and_b32_e32 v11, 0x80000000, v11
	v_or3_b32 v77, v17, v11, v4
.LBB384_1889:                           ;   in Loop: Header=BB384_16 Depth=1
	s_or_b32 exec_lo, exec_lo, s27
.LBB384_1890:                           ;   in Loop: Header=BB384_16 Depth=1
	s_or_b32 exec_lo, exec_lo, s26
.LBB384_1891:                           ;   in Loop: Header=BB384_16 Depth=1
	s_or_b32 exec_lo, exec_lo, s25
	v_mov_b32_e32 v4, 0xff
	v_mov_b32_e32 v71, 0
	;; [unrolled: 1-line block ×3, first 2 shown]
	s_mov_b32 s25, exec_lo
	v_and_b32_sdwa v4, v31, v4 dst_sel:DWORD dst_unused:UNUSED_PAD src0_sel:WORD_1 src1_sel:DWORD
	v_cmpx_ne_u16_e32 0, v4
	s_cbranch_execz .LBB384_1899
; %bb.1892:                             ;   in Loop: Header=BB384_16 Depth=1
	v_bfrev_b32_e32 v20, 1
	s_mov_b32 s26, exec_lo
	v_cmpx_ne_u16_e32 0x80, v4
	s_cbranch_execz .LBB384_1898
; %bb.1893:                             ;   in Loop: Header=BB384_16 Depth=1
	v_bfe_u32 v11, v31, 16, 7
	v_mov_b32_e32 v20, 0x7f800001
	s_mov_b32 s27, exec_lo
	v_cmpx_ne_u32_e32 0x7f, v11
	s_cbranch_execz .LBB384_1897
; %bb.1894:                             ;   in Loop: Header=BB384_16 Depth=1
	v_mov_b32_e32 v4, 7
	s_mov_b32 s28, exec_lo
	v_and_b32_sdwa v18, v31, v4 dst_sel:DWORD dst_unused:UNUSED_PAD src0_sel:WORD_1 src1_sel:DWORD
	v_mov_b32_e32 v34, v19
	v_lshrrev_b32_e32 v4, 3, v11
	v_mov_b32_e32 v33, v18
	v_cmpx_gt_u32_e32 8, v11
; %bb.1895:                             ;   in Loop: Header=BB384_16 Depth=1
	v_ffbh_u32_e32 v4, v18
	v_min_u32_e32 v4, 32, v4
	v_subrev_nc_u32_e32 v11, 28, v4
	v_sub_nc_u32_e32 v4, 29, v4
	v_lshlrev_b64 v[17:18], v11, v[18:19]
	v_and_b32_e32 v33, 7, v17
; %bb.1896:                             ;   in Loop: Header=BB384_16 Depth=1
	s_or_b32 exec_lo, exec_lo, s28
	v_mov_b32_e32 v11, 24
	v_lshlrev_b32_e32 v17, 20, v33
	v_lshl_add_u32 v4, v4, 23, 0x3c000000
	v_lshlrev_b32_sdwa v11, v11, v31 dst_sel:DWORD dst_unused:UNUSED_PAD src0_sel:DWORD src1_sel:WORD_1
	v_and_b32_e32 v11, 0x80000000, v11
	v_or3_b32 v20, v17, v11, v4
.LBB384_1897:                           ;   in Loop: Header=BB384_16 Depth=1
	s_or_b32 exec_lo, exec_lo, s27
.LBB384_1898:                           ;   in Loop: Header=BB384_16 Depth=1
	s_or_b32 exec_lo, exec_lo, s26
.LBB384_1899:                           ;   in Loop: Header=BB384_16 Depth=1
	s_or_b32 exec_lo, exec_lo, s25
	s_mov_b32 s25, exec_lo
	v_cmpx_lt_u32_e32 0xffffff, v31
	s_cbranch_execz .LBB384_1907
; %bb.1900:                             ;   in Loop: Header=BB384_16 Depth=1
	v_cmp_ne_u32_sdwa s5, v31, v87 src0_sel:BYTE_3 src1_sel:DWORD
	v_bfrev_b32_e32 v71, 1
	s_and_saveexec_b32 s26, s5
	s_cbranch_execz .LBB384_1906
; %bb.1901:                             ;   in Loop: Header=BB384_16 Depth=1
	v_bfe_u32 v11, v31, 24, 7
	v_mov_b32_e32 v71, 0x7f800001
	s_mov_b32 s27, exec_lo
	v_cmpx_ne_u32_e32 0x7f, v11
	s_cbranch_execz .LBB384_1905
; %bb.1902:                             ;   in Loop: Header=BB384_16 Depth=1
	v_mov_b32_e32 v4, 7
	s_mov_b32 s28, exec_lo
	v_and_b32_sdwa v18, v31, v4 dst_sel:DWORD dst_unused:UNUSED_PAD src0_sel:BYTE_3 src1_sel:DWORD
	v_mov_b32_e32 v34, v19
	v_lshrrev_b32_e32 v4, 3, v11
	v_mov_b32_e32 v33, v18
	v_cmpx_gt_u32_e32 8, v11
; %bb.1903:                             ;   in Loop: Header=BB384_16 Depth=1
	v_ffbh_u32_e32 v4, v18
	v_min_u32_e32 v4, 32, v4
	v_subrev_nc_u32_e32 v11, 28, v4
	v_sub_nc_u32_e32 v4, 29, v4
	v_lshlrev_b64 v[17:18], v11, v[18:19]
	v_and_b32_e32 v33, 7, v17
; %bb.1904:                             ;   in Loop: Header=BB384_16 Depth=1
	s_or_b32 exec_lo, exec_lo, s28
	v_mov_b32_e32 v11, 24
	v_lshlrev_b32_e32 v17, 20, v33
	v_lshl_add_u32 v4, v4, 23, 0x3c000000
	v_lshlrev_b32_sdwa v11, v11, v31 dst_sel:DWORD dst_unused:UNUSED_PAD src0_sel:DWORD src1_sel:BYTE_3
	v_and_b32_e32 v11, 0x80000000, v11
	v_or3_b32 v71, v17, v11, v4
.LBB384_1905:                           ;   in Loop: Header=BB384_16 Depth=1
	s_or_b32 exec_lo, exec_lo, s27
.LBB384_1906:                           ;   in Loop: Header=BB384_16 Depth=1
	s_or_b32 exec_lo, exec_lo, s26
.LBB384_1907:                           ;   in Loop: Header=BB384_16 Depth=1
	s_or_b32 exec_lo, exec_lo, s25
	v_mov_b32_e32 v18, v32
	v_cmp_ne_u16_sdwa s5, v32, v19 src0_sel:BYTE_0 src1_sel:DWORD
	v_mov_b32_e32 v17, 0
	v_mov_b32_e32 v11, 0
	s_and_saveexec_b32 s25, s5
	s_cbranch_execz .LBB384_1915
; %bb.1908:                             ;   in Loop: Header=BB384_16 Depth=1
	v_cmp_ne_u16_sdwa s5, v32, v87 src0_sel:BYTE_0 src1_sel:DWORD
	v_bfrev_b32_e32 v11, 1
	s_and_saveexec_b32 s26, s5
	s_cbranch_execz .LBB384_1914
; %bb.1909:                             ;   in Loop: Header=BB384_16 Depth=1
	v_and_b32_e32 v22, 0x7f, v32
	v_mov_b32_e32 v11, 0x7f800001
	s_mov_b32 s27, exec_lo
	v_cmpx_ne_u32_e32 0x7f, v22
	s_cbranch_execz .LBB384_1913
; %bb.1910:                             ;   in Loop: Header=BB384_16 Depth=1
	v_mov_b32_e32 v34, v19
	v_mov_b32_e32 v33, v18
	v_lshrrev_b32_e32 v4, 3, v22
	s_mov_b32 s28, exec_lo
	v_cmpx_gt_u32_e32 8, v22
; %bb.1911:                             ;   in Loop: Header=BB384_16 Depth=1
	v_and_b32_e32 v4, 7, v32
	v_ffbh_u32_e32 v4, v4
	v_min_u32_e32 v4, 32, v4
	v_subrev_nc_u32_e32 v11, 28, v4
	v_sub_nc_u32_e32 v4, 29, v4
	v_lshlrev_b64 v[33:34], v11, v[18:19]
; %bb.1912:                             ;   in Loop: Header=BB384_16 Depth=1
	s_or_b32 exec_lo, exec_lo, s28
	v_lshlrev_b32_e32 v11, 20, v33
	v_lshlrev_b32_e32 v22, 24, v18
	v_lshl_add_u32 v4, v4, 23, 0x3c000000
	v_and_b32_e32 v11, 0x700000, v11
	v_and_b32_e32 v22, 0x80000000, v22
	v_or3_b32 v11, v11, v22, v4
.LBB384_1913:                           ;   in Loop: Header=BB384_16 Depth=1
	s_or_b32 exec_lo, exec_lo, s27
.LBB384_1914:                           ;   in Loop: Header=BB384_16 Depth=1
	s_or_b32 exec_lo, exec_lo, s26
.LBB384_1915:                           ;   in Loop: Header=BB384_16 Depth=1
	s_or_b32 exec_lo, exec_lo, s25
	v_cmp_ne_u16_sdwa s5, v18, v19 src0_sel:BYTE_1 src1_sel:DWORD
	s_and_saveexec_b32 s25, s5
	s_cbranch_execz .LBB384_1923
; %bb.1916:                             ;   in Loop: Header=BB384_16 Depth=1
	v_cmp_ne_u16_sdwa s5, v18, v87 src0_sel:BYTE_1 src1_sel:DWORD
	v_bfrev_b32_e32 v17, 1
	s_and_saveexec_b32 s26, s5
	s_cbranch_execz .LBB384_1922
; %bb.1917:                             ;   in Loop: Header=BB384_16 Depth=1
	v_mov_b32_e32 v4, 0xffff
	v_mov_b32_e32 v17, 0x7f800001
	s_mov_b32 s27, exec_lo
	v_and_b32_sdwa v4, v4, v18 dst_sel:DWORD dst_unused:UNUSED_PAD src0_sel:DWORD src1_sel:BYTE_1
	v_and_b32_e32 v22, 0x7f, v4
	v_cmpx_ne_u32_e32 0x7f, v22
	s_cbranch_execz .LBB384_1921
; %bb.1918:                             ;   in Loop: Header=BB384_16 Depth=1
	v_and_b32_e32 v33, 7, v4
	v_mov_b32_e32 v34, v19
	v_lshrrev_b32_e32 v4, 3, v22
	s_mov_b32 s28, exec_lo
	v_cmpx_gt_u32_e32 8, v22
; %bb.1919:                             ;   in Loop: Header=BB384_16 Depth=1
	v_ffbh_u32_e32 v4, v33
	v_min_u32_e32 v4, 32, v4
	v_subrev_nc_u32_e32 v17, 28, v4
	v_sub_nc_u32_e32 v4, 29, v4
	v_lshlrev_b64 v[22:23], v17, v[33:34]
	v_and_b32_e32 v33, 7, v22
; %bb.1920:                             ;   in Loop: Header=BB384_16 Depth=1
	s_or_b32 exec_lo, exec_lo, s28
	v_lshlrev_b32_e32 v17, 16, v18
	v_lshlrev_b32_e32 v18, 20, v33
	v_lshl_add_u32 v4, v4, 23, 0x3c000000
	v_and_b32_e32 v17, 0x80000000, v17
	v_or3_b32 v17, v18, v17, v4
.LBB384_1921:                           ;   in Loop: Header=BB384_16 Depth=1
	s_or_b32 exec_lo, exec_lo, s27
.LBB384_1922:                           ;   in Loop: Header=BB384_16 Depth=1
	s_or_b32 exec_lo, exec_lo, s26
.LBB384_1923:                           ;   in Loop: Header=BB384_16 Depth=1
	s_or_b32 exec_lo, exec_lo, s25
	v_mov_b32_e32 v4, 0xff
	v_mov_b32_e32 v46, 0
	;; [unrolled: 1-line block ×3, first 2 shown]
	s_mov_b32 s25, exec_lo
	v_and_b32_sdwa v4, v32, v4 dst_sel:DWORD dst_unused:UNUSED_PAD src0_sel:WORD_1 src1_sel:DWORD
	v_cmpx_ne_u16_e32 0, v4
	s_cbranch_execz .LBB384_1931
; %bb.1924:                             ;   in Loop: Header=BB384_16 Depth=1
	v_bfrev_b32_e32 v56, 1
	s_mov_b32 s26, exec_lo
	v_cmpx_ne_u16_e32 0x80, v4
	s_cbranch_execz .LBB384_1930
; %bb.1925:                             ;   in Loop: Header=BB384_16 Depth=1
	v_bfe_u32 v22, v32, 16, 7
	v_mov_b32_e32 v56, 0x7f800001
	s_mov_b32 s27, exec_lo
	v_cmpx_ne_u32_e32 0x7f, v22
	s_cbranch_execz .LBB384_1929
; %bb.1926:                             ;   in Loop: Header=BB384_16 Depth=1
	v_mov_b32_e32 v4, 7
	s_mov_b32 s28, exec_lo
	v_and_b32_sdwa v18, v32, v4 dst_sel:DWORD dst_unused:UNUSED_PAD src0_sel:WORD_1 src1_sel:DWORD
	v_mov_b32_e32 v34, v19
	v_lshrrev_b32_e32 v4, 3, v22
	v_mov_b32_e32 v33, v18
	v_cmpx_gt_u32_e32 8, v22
; %bb.1927:                             ;   in Loop: Header=BB384_16 Depth=1
	v_ffbh_u32_e32 v4, v18
	v_min_u32_e32 v4, 32, v4
	v_subrev_nc_u32_e32 v22, 28, v4
	v_sub_nc_u32_e32 v4, 29, v4
	v_lshlrev_b64 v[22:23], v22, v[18:19]
	v_and_b32_e32 v33, 7, v22
; %bb.1928:                             ;   in Loop: Header=BB384_16 Depth=1
	s_or_b32 exec_lo, exec_lo, s28
	v_mov_b32_e32 v18, 24
	v_lshlrev_b32_e32 v22, 20, v33
	v_lshl_add_u32 v4, v4, 23, 0x3c000000
	v_lshlrev_b32_sdwa v18, v18, v32 dst_sel:DWORD dst_unused:UNUSED_PAD src0_sel:DWORD src1_sel:WORD_1
	v_and_b32_e32 v18, 0x80000000, v18
	v_or3_b32 v56, v22, v18, v4
.LBB384_1929:                           ;   in Loop: Header=BB384_16 Depth=1
	s_or_b32 exec_lo, exec_lo, s27
.LBB384_1930:                           ;   in Loop: Header=BB384_16 Depth=1
	s_or_b32 exec_lo, exec_lo, s26
.LBB384_1931:                           ;   in Loop: Header=BB384_16 Depth=1
	s_or_b32 exec_lo, exec_lo, s25
	s_mov_b32 s25, exec_lo
	v_cmpx_lt_u64_e64 s[20:21], v[31:32]
	s_cbranch_execz .LBB384_1939
; %bb.1932:                             ;   in Loop: Header=BB384_16 Depth=1
	v_cmp_ne_u32_sdwa s5, v32, v87 src0_sel:BYTE_3 src1_sel:DWORD
	v_bfrev_b32_e32 v46, 1
	s_and_saveexec_b32 s26, s5
	s_cbranch_execz .LBB384_1938
; %bb.1933:                             ;   in Loop: Header=BB384_16 Depth=1
	v_bfe_u32 v22, v32, 24, 7
	v_mov_b32_e32 v46, 0x7f800001
	s_mov_b32 s27, exec_lo
	v_cmpx_ne_u32_e32 0x7f, v22
	s_cbranch_execz .LBB384_1937
; %bb.1934:                             ;   in Loop: Header=BB384_16 Depth=1
	v_mov_b32_e32 v4, 7
	s_mov_b32 s28, exec_lo
	v_and_b32_sdwa v18, v32, v4 dst_sel:DWORD dst_unused:UNUSED_PAD src0_sel:BYTE_3 src1_sel:DWORD
	v_mov_b32_e32 v34, v19
	v_lshrrev_b32_e32 v4, 3, v22
	v_mov_b32_e32 v33, v18
	v_cmpx_gt_u32_e32 8, v22
; %bb.1935:                             ;   in Loop: Header=BB384_16 Depth=1
	v_ffbh_u32_e32 v4, v18
	v_min_u32_e32 v4, 32, v4
	v_subrev_nc_u32_e32 v22, 28, v4
	v_sub_nc_u32_e32 v4, 29, v4
	v_lshlrev_b64 v[22:23], v22, v[18:19]
	v_and_b32_e32 v33, 7, v22
; %bb.1936:                             ;   in Loop: Header=BB384_16 Depth=1
	s_or_b32 exec_lo, exec_lo, s28
	v_mov_b32_e32 v18, 24
	v_lshlrev_b32_e32 v22, 20, v33
	v_lshl_add_u32 v4, v4, 23, 0x3c000000
	v_lshlrev_b32_sdwa v18, v18, v32 dst_sel:DWORD dst_unused:UNUSED_PAD src0_sel:DWORD src1_sel:BYTE_3
	v_and_b32_e32 v18, 0x80000000, v18
	v_or3_b32 v46, v22, v18, v4
.LBB384_1937:                           ;   in Loop: Header=BB384_16 Depth=1
	s_or_b32 exec_lo, exec_lo, s27
.LBB384_1938:                           ;   in Loop: Header=BB384_16 Depth=1
	s_or_b32 exec_lo, exec_lo, s26
.LBB384_1939:                           ;   in Loop: Header=BB384_16 Depth=1
	s_or_b32 exec_lo, exec_lo, s25
	flat_load_dwordx2 v[31:32], v[28:29] offset:1536
	v_mov_b32_e32 v60, 0
	v_mov_b32_e32 v75, 0
	s_waitcnt vmcnt(0) lgkmcnt(0)
	v_cmp_ne_u16_sdwa s5, v31, v19 src0_sel:BYTE_0 src1_sel:DWORD
	s_and_saveexec_b32 s25, s5
	s_cbranch_execz .LBB384_1947
; %bb.1940:                             ;   in Loop: Header=BB384_16 Depth=1
	v_cmp_ne_u16_sdwa s5, v31, v87 src0_sel:BYTE_0 src1_sel:DWORD
	v_bfrev_b32_e32 v75, 1
	s_and_saveexec_b32 s26, s5
	s_cbranch_execz .LBB384_1946
; %bb.1941:                             ;   in Loop: Header=BB384_16 Depth=1
	v_and_b32_e32 v18, 0x7f, v31
	v_mov_b32_e32 v75, 0x7f800001
	s_mov_b32 s27, exec_lo
	v_cmpx_ne_u32_e32 0x7f, v18
	s_cbranch_execz .LBB384_1945
; %bb.1942:                             ;   in Loop: Header=BB384_16 Depth=1
	v_mov_b32_e32 v34, v32
	v_lshrrev_b32_e32 v4, 3, v18
	v_mov_b32_e32 v33, v31
	s_mov_b32 s28, exec_lo
	v_cmpx_gt_u32_e32 8, v18
; %bb.1943:                             ;   in Loop: Header=BB384_16 Depth=1
	v_and_b32_e32 v4, 7, v31
	v_ffbh_u32_e32 v4, v4
	v_min_u32_e32 v4, 32, v4
	v_subrev_nc_u32_e32 v18, 28, v4
	v_sub_nc_u32_e32 v4, 29, v4
	v_lshlrev_b64 v[33:34], v18, v[31:32]
; %bb.1944:                             ;   in Loop: Header=BB384_16 Depth=1
	s_or_b32 exec_lo, exec_lo, s28
	v_lshlrev_b32_e32 v18, 20, v33
	v_lshlrev_b32_e32 v22, 24, v31
	v_lshl_add_u32 v4, v4, 23, 0x3c000000
	v_and_b32_e32 v18, 0x700000, v18
	v_and_b32_e32 v22, 0x80000000, v22
	v_or3_b32 v75, v18, v22, v4
.LBB384_1945:                           ;   in Loop: Header=BB384_16 Depth=1
	s_or_b32 exec_lo, exec_lo, s27
.LBB384_1946:                           ;   in Loop: Header=BB384_16 Depth=1
	s_or_b32 exec_lo, exec_lo, s26
.LBB384_1947:                           ;   in Loop: Header=BB384_16 Depth=1
	s_or_b32 exec_lo, exec_lo, s25
	v_cmp_ne_u16_sdwa s5, v31, v19 src0_sel:BYTE_1 src1_sel:DWORD
	s_and_saveexec_b32 s25, s5
	s_cbranch_execz .LBB384_1955
; %bb.1948:                             ;   in Loop: Header=BB384_16 Depth=1
	v_cmp_ne_u16_sdwa s5, v31, v87 src0_sel:BYTE_1 src1_sel:DWORD
	v_bfrev_b32_e32 v60, 1
	s_and_saveexec_b32 s26, s5
	s_cbranch_execz .LBB384_1954
; %bb.1949:                             ;   in Loop: Header=BB384_16 Depth=1
	v_mov_b32_e32 v4, 0xffff
	v_mov_b32_e32 v60, 0x7f800001
	s_mov_b32 s27, exec_lo
	v_and_b32_sdwa v4, v4, v31 dst_sel:DWORD dst_unused:UNUSED_PAD src0_sel:DWORD src1_sel:BYTE_1
	v_and_b32_e32 v22, 0x7f, v4
	v_cmpx_ne_u32_e32 0x7f, v22
	s_cbranch_execz .LBB384_1953
; %bb.1950:                             ;   in Loop: Header=BB384_16 Depth=1
	v_and_b32_e32 v18, 7, v4
	v_mov_b32_e32 v34, v19
	v_lshrrev_b32_e32 v4, 3, v22
	s_mov_b32 s28, exec_lo
	v_mov_b32_e32 v33, v18
	v_cmpx_gt_u32_e32 8, v22
; %bb.1951:                             ;   in Loop: Header=BB384_16 Depth=1
	v_ffbh_u32_e32 v4, v18
	v_min_u32_e32 v4, 32, v4
	v_subrev_nc_u32_e32 v22, 28, v4
	v_sub_nc_u32_e32 v4, 29, v4
	v_lshlrev_b64 v[22:23], v22, v[18:19]
	v_and_b32_e32 v33, 7, v22
; %bb.1952:                             ;   in Loop: Header=BB384_16 Depth=1
	s_or_b32 exec_lo, exec_lo, s28
	v_lshlrev_b32_e32 v18, 16, v31
	v_lshlrev_b32_e32 v22, 20, v33
	v_lshl_add_u32 v4, v4, 23, 0x3c000000
	v_and_b32_e32 v18, 0x80000000, v18
	v_or3_b32 v60, v22, v18, v4
.LBB384_1953:                           ;   in Loop: Header=BB384_16 Depth=1
	s_or_b32 exec_lo, exec_lo, s27
.LBB384_1954:                           ;   in Loop: Header=BB384_16 Depth=1
	s_or_b32 exec_lo, exec_lo, s26
.LBB384_1955:                           ;   in Loop: Header=BB384_16 Depth=1
	s_or_b32 exec_lo, exec_lo, s25
	v_mov_b32_e32 v4, 0xff
	v_mov_b32_e32 v83, 0
	;; [unrolled: 1-line block ×3, first 2 shown]
	s_mov_b32 s25, exec_lo
	v_and_b32_sdwa v4, v31, v4 dst_sel:DWORD dst_unused:UNUSED_PAD src0_sel:WORD_1 src1_sel:DWORD
	v_cmpx_ne_u16_e32 0, v4
	s_cbranch_execz .LBB384_1963
; %bb.1956:                             ;   in Loop: Header=BB384_16 Depth=1
	v_bfrev_b32_e32 v67, 1
	s_mov_b32 s26, exec_lo
	v_cmpx_ne_u16_e32 0x80, v4
	s_cbranch_execz .LBB384_1962
; %bb.1957:                             ;   in Loop: Header=BB384_16 Depth=1
	v_bfe_u32 v22, v31, 16, 7
	v_mov_b32_e32 v67, 0x7f800001
	s_mov_b32 s27, exec_lo
	v_cmpx_ne_u32_e32 0x7f, v22
	s_cbranch_execz .LBB384_1961
; %bb.1958:                             ;   in Loop: Header=BB384_16 Depth=1
	v_mov_b32_e32 v4, 7
	s_mov_b32 s28, exec_lo
	v_and_b32_sdwa v18, v31, v4 dst_sel:DWORD dst_unused:UNUSED_PAD src0_sel:WORD_1 src1_sel:DWORD
	v_mov_b32_e32 v34, v19
	v_lshrrev_b32_e32 v4, 3, v22
	v_mov_b32_e32 v33, v18
	v_cmpx_gt_u32_e32 8, v22
; %bb.1959:                             ;   in Loop: Header=BB384_16 Depth=1
	v_ffbh_u32_e32 v4, v18
	v_min_u32_e32 v4, 32, v4
	v_subrev_nc_u32_e32 v22, 28, v4
	v_sub_nc_u32_e32 v4, 29, v4
	v_lshlrev_b64 v[22:23], v22, v[18:19]
	v_and_b32_e32 v33, 7, v22
; %bb.1960:                             ;   in Loop: Header=BB384_16 Depth=1
	s_or_b32 exec_lo, exec_lo, s28
	v_mov_b32_e32 v18, 24
	v_lshlrev_b32_e32 v22, 20, v33
	v_lshl_add_u32 v4, v4, 23, 0x3c000000
	v_lshlrev_b32_sdwa v18, v18, v31 dst_sel:DWORD dst_unused:UNUSED_PAD src0_sel:DWORD src1_sel:WORD_1
	v_and_b32_e32 v18, 0x80000000, v18
	v_or3_b32 v67, v22, v18, v4
.LBB384_1961:                           ;   in Loop: Header=BB384_16 Depth=1
	s_or_b32 exec_lo, exec_lo, s27
.LBB384_1962:                           ;   in Loop: Header=BB384_16 Depth=1
	s_or_b32 exec_lo, exec_lo, s26
.LBB384_1963:                           ;   in Loop: Header=BB384_16 Depth=1
	s_or_b32 exec_lo, exec_lo, s25
	s_mov_b32 s25, exec_lo
	v_cmpx_lt_u32_e32 0xffffff, v31
	s_cbranch_execz .LBB384_1971
; %bb.1964:                             ;   in Loop: Header=BB384_16 Depth=1
	v_cmp_ne_u32_sdwa s5, v31, v87 src0_sel:BYTE_3 src1_sel:DWORD
	v_bfrev_b32_e32 v83, 1
	s_and_saveexec_b32 s26, s5
	s_cbranch_execz .LBB384_1970
; %bb.1965:                             ;   in Loop: Header=BB384_16 Depth=1
	v_bfe_u32 v22, v31, 24, 7
	v_mov_b32_e32 v83, 0x7f800001
	s_mov_b32 s27, exec_lo
	v_cmpx_ne_u32_e32 0x7f, v22
	s_cbranch_execz .LBB384_1969
; %bb.1966:                             ;   in Loop: Header=BB384_16 Depth=1
	v_mov_b32_e32 v4, 7
	s_mov_b32 s28, exec_lo
	v_and_b32_sdwa v18, v31, v4 dst_sel:DWORD dst_unused:UNUSED_PAD src0_sel:BYTE_3 src1_sel:DWORD
	v_mov_b32_e32 v34, v19
	v_lshrrev_b32_e32 v4, 3, v22
	v_mov_b32_e32 v33, v18
	v_cmpx_gt_u32_e32 8, v22
; %bb.1967:                             ;   in Loop: Header=BB384_16 Depth=1
	v_ffbh_u32_e32 v4, v18
	v_min_u32_e32 v4, 32, v4
	v_subrev_nc_u32_e32 v22, 28, v4
	v_sub_nc_u32_e32 v4, 29, v4
	v_lshlrev_b64 v[22:23], v22, v[18:19]
	v_and_b32_e32 v33, 7, v22
; %bb.1968:                             ;   in Loop: Header=BB384_16 Depth=1
	s_or_b32 exec_lo, exec_lo, s28
	v_mov_b32_e32 v18, 24
	v_lshlrev_b32_e32 v22, 20, v33
	v_lshl_add_u32 v4, v4, 23, 0x3c000000
	v_lshlrev_b32_sdwa v18, v18, v31 dst_sel:DWORD dst_unused:UNUSED_PAD src0_sel:DWORD src1_sel:BYTE_3
	v_and_b32_e32 v18, 0x80000000, v18
	v_or3_b32 v83, v22, v18, v4
.LBB384_1969:                           ;   in Loop: Header=BB384_16 Depth=1
	s_or_b32 exec_lo, exec_lo, s27
.LBB384_1970:                           ;   in Loop: Header=BB384_16 Depth=1
	s_or_b32 exec_lo, exec_lo, s26
.LBB384_1971:                           ;   in Loop: Header=BB384_16 Depth=1
	s_or_b32 exec_lo, exec_lo, s25
	v_mov_b32_e32 v18, v32
	v_cmp_ne_u16_sdwa s5, v32, v19 src0_sel:BYTE_0 src1_sel:DWORD
	v_mov_b32_e32 v79, 0
	v_mov_b32_e32 v42, 0
	s_and_saveexec_b32 s25, s5
	s_cbranch_execz .LBB384_1979
; %bb.1972:                             ;   in Loop: Header=BB384_16 Depth=1
	v_cmp_ne_u16_sdwa s5, v32, v87 src0_sel:BYTE_0 src1_sel:DWORD
	v_bfrev_b32_e32 v42, 1
	s_and_saveexec_b32 s26, s5
	s_cbranch_execz .LBB384_1978
; %bb.1973:                             ;   in Loop: Header=BB384_16 Depth=1
	v_and_b32_e32 v22, 0x7f, v32
	v_mov_b32_e32 v42, 0x7f800001
	s_mov_b32 s27, exec_lo
	v_cmpx_ne_u32_e32 0x7f, v22
	s_cbranch_execz .LBB384_1977
; %bb.1974:                             ;   in Loop: Header=BB384_16 Depth=1
	v_mov_b32_e32 v34, v19
	v_mov_b32_e32 v33, v18
	v_lshrrev_b32_e32 v4, 3, v22
	s_mov_b32 s28, exec_lo
	v_cmpx_gt_u32_e32 8, v22
; %bb.1975:                             ;   in Loop: Header=BB384_16 Depth=1
	v_and_b32_e32 v4, 7, v32
	v_ffbh_u32_e32 v4, v4
	v_min_u32_e32 v4, 32, v4
	v_subrev_nc_u32_e32 v22, 28, v4
	v_sub_nc_u32_e32 v4, 29, v4
	v_lshlrev_b64 v[33:34], v22, v[18:19]
; %bb.1976:                             ;   in Loop: Header=BB384_16 Depth=1
	s_or_b32 exec_lo, exec_lo, s28
	v_lshlrev_b32_e32 v22, 20, v33
	v_lshlrev_b32_e32 v23, 24, v18
	v_lshl_add_u32 v4, v4, 23, 0x3c000000
	v_and_b32_e32 v22, 0x700000, v22
	v_and_b32_e32 v23, 0x80000000, v23
	v_or3_b32 v42, v22, v23, v4
.LBB384_1977:                           ;   in Loop: Header=BB384_16 Depth=1
	s_or_b32 exec_lo, exec_lo, s27
.LBB384_1978:                           ;   in Loop: Header=BB384_16 Depth=1
	s_or_b32 exec_lo, exec_lo, s26
.LBB384_1979:                           ;   in Loop: Header=BB384_16 Depth=1
	s_or_b32 exec_lo, exec_lo, s25
	v_cmp_ne_u16_sdwa s5, v18, v19 src0_sel:BYTE_1 src1_sel:DWORD
	s_and_saveexec_b32 s25, s5
	s_cbranch_execz .LBB384_1987
; %bb.1980:                             ;   in Loop: Header=BB384_16 Depth=1
	v_cmp_ne_u16_sdwa s5, v18, v87 src0_sel:BYTE_1 src1_sel:DWORD
	v_bfrev_b32_e32 v79, 1
	s_and_saveexec_b32 s26, s5
	s_cbranch_execz .LBB384_1986
; %bb.1981:                             ;   in Loop: Header=BB384_16 Depth=1
	v_mov_b32_e32 v4, 0xffff
	v_mov_b32_e32 v79, 0x7f800001
	s_mov_b32 s27, exec_lo
	v_and_b32_sdwa v4, v4, v18 dst_sel:DWORD dst_unused:UNUSED_PAD src0_sel:DWORD src1_sel:BYTE_1
	v_and_b32_e32 v22, 0x7f, v4
	v_cmpx_ne_u32_e32 0x7f, v22
	s_cbranch_execz .LBB384_1985
; %bb.1982:                             ;   in Loop: Header=BB384_16 Depth=1
	v_and_b32_e32 v33, 7, v4
	v_mov_b32_e32 v34, v19
	v_lshrrev_b32_e32 v4, 3, v22
	s_mov_b32 s28, exec_lo
	v_cmpx_gt_u32_e32 8, v22
; %bb.1983:                             ;   in Loop: Header=BB384_16 Depth=1
	v_ffbh_u32_e32 v4, v33
	v_min_u32_e32 v4, 32, v4
	v_subrev_nc_u32_e32 v22, 28, v4
	v_sub_nc_u32_e32 v4, 29, v4
	v_lshlrev_b64 v[22:23], v22, v[33:34]
	v_and_b32_e32 v33, 7, v22
; %bb.1984:                             ;   in Loop: Header=BB384_16 Depth=1
	s_or_b32 exec_lo, exec_lo, s28
	v_lshlrev_b32_e32 v18, 16, v18
	v_lshlrev_b32_e32 v22, 20, v33
	v_lshl_add_u32 v4, v4, 23, 0x3c000000
	v_and_b32_e32 v18, 0x80000000, v18
	v_or3_b32 v79, v22, v18, v4
.LBB384_1985:                           ;   in Loop: Header=BB384_16 Depth=1
	s_or_b32 exec_lo, exec_lo, s27
.LBB384_1986:                           ;   in Loop: Header=BB384_16 Depth=1
	s_or_b32 exec_lo, exec_lo, s26
.LBB384_1987:                           ;   in Loop: Header=BB384_16 Depth=1
	s_or_b32 exec_lo, exec_lo, s25
	v_mov_b32_e32 v4, 0xff
	v_mov_b32_e32 v107, 0
	;; [unrolled: 1-line block ×3, first 2 shown]
	s_mov_b32 s25, exec_lo
	v_and_b32_sdwa v4, v32, v4 dst_sel:DWORD dst_unused:UNUSED_PAD src0_sel:WORD_1 src1_sel:DWORD
	v_cmpx_ne_u16_e32 0, v4
	s_cbranch_execz .LBB384_1995
; %bb.1988:                             ;   in Loop: Header=BB384_16 Depth=1
	v_bfrev_b32_e32 v108, 1
	s_mov_b32 s26, exec_lo
	v_cmpx_ne_u16_e32 0x80, v4
	s_cbranch_execz .LBB384_1994
; %bb.1989:                             ;   in Loop: Header=BB384_16 Depth=1
	v_bfe_u32 v22, v32, 16, 7
	v_mov_b32_e32 v108, 0x7f800001
	s_mov_b32 s27, exec_lo
	v_cmpx_ne_u32_e32 0x7f, v22
	s_cbranch_execz .LBB384_1993
; %bb.1990:                             ;   in Loop: Header=BB384_16 Depth=1
	v_mov_b32_e32 v4, 7
	s_mov_b32 s28, exec_lo
	v_and_b32_sdwa v18, v32, v4 dst_sel:DWORD dst_unused:UNUSED_PAD src0_sel:WORD_1 src1_sel:DWORD
	v_mov_b32_e32 v34, v19
	v_lshrrev_b32_e32 v4, 3, v22
	v_mov_b32_e32 v33, v18
	v_cmpx_gt_u32_e32 8, v22
; %bb.1991:                             ;   in Loop: Header=BB384_16 Depth=1
	v_ffbh_u32_e32 v4, v18
	v_min_u32_e32 v4, 32, v4
	v_subrev_nc_u32_e32 v22, 28, v4
	v_sub_nc_u32_e32 v4, 29, v4
	v_lshlrev_b64 v[22:23], v22, v[18:19]
	v_and_b32_e32 v33, 7, v22
; %bb.1992:                             ;   in Loop: Header=BB384_16 Depth=1
	s_or_b32 exec_lo, exec_lo, s28
	v_mov_b32_e32 v18, 24
	v_lshlrev_b32_e32 v22, 20, v33
	v_lshl_add_u32 v4, v4, 23, 0x3c000000
	v_lshlrev_b32_sdwa v18, v18, v32 dst_sel:DWORD dst_unused:UNUSED_PAD src0_sel:DWORD src1_sel:WORD_1
	v_and_b32_e32 v18, 0x80000000, v18
	v_or3_b32 v108, v22, v18, v4
.LBB384_1993:                           ;   in Loop: Header=BB384_16 Depth=1
	s_or_b32 exec_lo, exec_lo, s27
.LBB384_1994:                           ;   in Loop: Header=BB384_16 Depth=1
	s_or_b32 exec_lo, exec_lo, s26
.LBB384_1995:                           ;   in Loop: Header=BB384_16 Depth=1
	s_or_b32 exec_lo, exec_lo, s25
	s_mov_b32 s25, exec_lo
	v_cmpx_lt_u64_e64 s[20:21], v[31:32]
	s_cbranch_execz .LBB384_2003
; %bb.1996:                             ;   in Loop: Header=BB384_16 Depth=1
	v_cmp_ne_u32_sdwa s5, v32, v87 src0_sel:BYTE_3 src1_sel:DWORD
	v_bfrev_b32_e32 v107, 1
	s_and_saveexec_b32 s26, s5
	s_cbranch_execz .LBB384_2002
; %bb.1997:                             ;   in Loop: Header=BB384_16 Depth=1
	v_bfe_u32 v22, v32, 24, 7
	v_mov_b32_e32 v107, 0x7f800001
	s_mov_b32 s27, exec_lo
	v_cmpx_ne_u32_e32 0x7f, v22
	s_cbranch_execz .LBB384_2001
; %bb.1998:                             ;   in Loop: Header=BB384_16 Depth=1
	v_mov_b32_e32 v4, 7
	s_mov_b32 s28, exec_lo
	v_and_b32_sdwa v18, v32, v4 dst_sel:DWORD dst_unused:UNUSED_PAD src0_sel:BYTE_3 src1_sel:DWORD
	v_mov_b32_e32 v34, v19
	v_lshrrev_b32_e32 v4, 3, v22
	v_mov_b32_e32 v33, v18
	v_cmpx_gt_u32_e32 8, v22
; %bb.1999:                             ;   in Loop: Header=BB384_16 Depth=1
	v_ffbh_u32_e32 v4, v18
	v_min_u32_e32 v4, 32, v4
	v_subrev_nc_u32_e32 v22, 28, v4
	v_sub_nc_u32_e32 v4, 29, v4
	v_lshlrev_b64 v[22:23], v22, v[18:19]
	v_and_b32_e32 v33, 7, v22
; %bb.2000:                             ;   in Loop: Header=BB384_16 Depth=1
	s_or_b32 exec_lo, exec_lo, s28
	v_mov_b32_e32 v18, 24
	v_lshlrev_b32_e32 v22, 20, v33
	v_lshl_add_u32 v4, v4, 23, 0x3c000000
	v_lshlrev_b32_sdwa v18, v18, v32 dst_sel:DWORD dst_unused:UNUSED_PAD src0_sel:DWORD src1_sel:BYTE_3
	v_and_b32_e32 v18, 0x80000000, v18
	v_or3_b32 v107, v22, v18, v4
.LBB384_2001:                           ;   in Loop: Header=BB384_16 Depth=1
	s_or_b32 exec_lo, exec_lo, s27
.LBB384_2002:                           ;   in Loop: Header=BB384_16 Depth=1
	s_or_b32 exec_lo, exec_lo, s26
.LBB384_2003:                           ;   in Loop: Header=BB384_16 Depth=1
	s_or_b32 exec_lo, exec_lo, s25
	flat_load_dwordx2 v[28:29], v[28:29] offset:1544
	v_mov_b32_e32 v4, 0
	buffer_store_dword v4, off, s[0:3], s32 offset:668 ; 4-byte Folded Spill
	v_mov_b32_e32 v4, 0
	buffer_store_dword v4, off, s[0:3], s32 offset:664 ; 4-byte Folded Spill
	s_waitcnt vmcnt(0) lgkmcnt(0)
	v_cmp_ne_u16_sdwa s5, v28, v19 src0_sel:BYTE_0 src1_sel:DWORD
	s_and_saveexec_b32 s25, s5
	s_cbranch_execz .LBB384_2011
; %bb.2004:                             ;   in Loop: Header=BB384_16 Depth=1
	v_cmp_ne_u16_sdwa s5, v28, v87 src0_sel:BYTE_0 src1_sel:DWORD
	v_bfrev_b32_e32 v4, 1
	buffer_store_dword v4, off, s[0:3], s32 offset:664 ; 4-byte Folded Spill
	s_and_saveexec_b32 s26, s5
	s_cbranch_execz .LBB384_2010
; %bb.2005:                             ;   in Loop: Header=BB384_16 Depth=1
	v_and_b32_e32 v18, 0x7f, v28
	v_mov_b32_e32 v4, 0x7f800001
	s_mov_b32 s27, exec_lo
	buffer_store_dword v4, off, s[0:3], s32 offset:664 ; 4-byte Folded Spill
	v_cmpx_ne_u32_e32 0x7f, v18
	s_cbranch_execz .LBB384_2009
; %bb.2006:                             ;   in Loop: Header=BB384_16 Depth=1
	v_mov_b32_e32 v32, v29
	v_lshrrev_b32_e32 v4, 3, v18
	v_mov_b32_e32 v31, v28
	s_mov_b32 s28, exec_lo
	v_cmpx_gt_u32_e32 8, v18
; %bb.2007:                             ;   in Loop: Header=BB384_16 Depth=1
	v_and_b32_e32 v4, 7, v28
	v_ffbh_u32_e32 v4, v4
	v_min_u32_e32 v4, 32, v4
	v_subrev_nc_u32_e32 v18, 28, v4
	v_sub_nc_u32_e32 v4, 29, v4
	v_lshlrev_b64 v[31:32], v18, v[28:29]
; %bb.2008:                             ;   in Loop: Header=BB384_16 Depth=1
	s_or_b32 exec_lo, exec_lo, s28
	v_lshlrev_b32_e32 v18, 20, v31
	v_lshlrev_b32_e32 v22, 24, v28
	v_lshl_add_u32 v4, v4, 23, 0x3c000000
	v_and_b32_e32 v18, 0x700000, v18
	v_and_b32_e32 v22, 0x80000000, v22
	v_or3_b32 v4, v18, v22, v4
	buffer_store_dword v4, off, s[0:3], s32 offset:664 ; 4-byte Folded Spill
.LBB384_2009:                           ;   in Loop: Header=BB384_16 Depth=1
	s_or_b32 exec_lo, exec_lo, s27
.LBB384_2010:                           ;   in Loop: Header=BB384_16 Depth=1
	s_or_b32 exec_lo, exec_lo, s26
.LBB384_2011:                           ;   in Loop: Header=BB384_16 Depth=1
	s_or_b32 exec_lo, exec_lo, s25
	v_cmp_ne_u16_sdwa s5, v28, v19 src0_sel:BYTE_1 src1_sel:DWORD
	s_and_saveexec_b32 s25, s5
	s_cbranch_execz .LBB384_2019
; %bb.2012:                             ;   in Loop: Header=BB384_16 Depth=1
	v_cmp_ne_u16_sdwa s5, v28, v87 src0_sel:BYTE_1 src1_sel:DWORD
	v_bfrev_b32_e32 v4, 1
	buffer_store_dword v4, off, s[0:3], s32 offset:668 ; 4-byte Folded Spill
	s_and_saveexec_b32 s26, s5
	s_cbranch_execz .LBB384_2018
; %bb.2013:                             ;   in Loop: Header=BB384_16 Depth=1
	v_mov_b32_e32 v4, 0xffff
	v_mov_b32_e32 v18, 0x7f800001
	s_mov_b32 s27, exec_lo
	v_and_b32_sdwa v4, v4, v28 dst_sel:DWORD dst_unused:UNUSED_PAD src0_sel:DWORD src1_sel:BYTE_1
	buffer_store_dword v18, off, s[0:3], s32 offset:668 ; 4-byte Folded Spill
	v_and_b32_e32 v22, 0x7f, v4
	v_cmpx_ne_u32_e32 0x7f, v22
	s_cbranch_execz .LBB384_2017
; %bb.2014:                             ;   in Loop: Header=BB384_16 Depth=1
	v_and_b32_e32 v18, 7, v4
	v_mov_b32_e32 v32, v19
	v_lshrrev_b32_e32 v4, 3, v22
	s_mov_b32 s28, exec_lo
	v_mov_b32_e32 v31, v18
	v_cmpx_gt_u32_e32 8, v22
; %bb.2015:                             ;   in Loop: Header=BB384_16 Depth=1
	v_ffbh_u32_e32 v4, v18
	v_min_u32_e32 v4, 32, v4
	v_subrev_nc_u32_e32 v22, 28, v4
	v_sub_nc_u32_e32 v4, 29, v4
	v_lshlrev_b64 v[22:23], v22, v[18:19]
	v_and_b32_e32 v31, 7, v22
; %bb.2016:                             ;   in Loop: Header=BB384_16 Depth=1
	s_or_b32 exec_lo, exec_lo, s28
	v_lshlrev_b32_e32 v18, 16, v28
	v_lshlrev_b32_e32 v22, 20, v31
	v_lshl_add_u32 v4, v4, 23, 0x3c000000
	v_and_b32_e32 v18, 0x80000000, v18
	v_or3_b32 v4, v22, v18, v4
	buffer_store_dword v4, off, s[0:3], s32 offset:668 ; 4-byte Folded Spill
.LBB384_2017:                           ;   in Loop: Header=BB384_16 Depth=1
	s_or_b32 exec_lo, exec_lo, s27
.LBB384_2018:                           ;   in Loop: Header=BB384_16 Depth=1
	s_or_b32 exec_lo, exec_lo, s26
.LBB384_2019:                           ;   in Loop: Header=BB384_16 Depth=1
	s_or_b32 exec_lo, exec_lo, s25
	v_mov_b32_e32 v4, 0xff
	v_mov_b32_e32 v127, 0
	;; [unrolled: 1-line block ×3, first 2 shown]
	s_mov_b32 s25, exec_lo
	v_and_b32_sdwa v4, v28, v4 dst_sel:DWORD dst_unused:UNUSED_PAD src0_sel:WORD_1 src1_sel:DWORD
	v_cmpx_ne_u16_e32 0, v4
	s_cbranch_execz .LBB384_2027
; %bb.2020:                             ;   in Loop: Header=BB384_16 Depth=1
	v_bfrev_b32_e32 v84, 1
	s_mov_b32 s26, exec_lo
	v_cmpx_ne_u16_e32 0x80, v4
	s_cbranch_execz .LBB384_2026
; %bb.2021:                             ;   in Loop: Header=BB384_16 Depth=1
	v_bfe_u32 v22, v28, 16, 7
	v_mov_b32_e32 v84, 0x7f800001
	s_mov_b32 s27, exec_lo
	v_cmpx_ne_u32_e32 0x7f, v22
	s_cbranch_execz .LBB384_2025
; %bb.2022:                             ;   in Loop: Header=BB384_16 Depth=1
	v_mov_b32_e32 v4, 7
	s_mov_b32 s28, exec_lo
	v_and_b32_sdwa v18, v28, v4 dst_sel:DWORD dst_unused:UNUSED_PAD src0_sel:WORD_1 src1_sel:DWORD
	v_mov_b32_e32 v32, v19
	v_lshrrev_b32_e32 v4, 3, v22
	v_mov_b32_e32 v31, v18
	v_cmpx_gt_u32_e32 8, v22
; %bb.2023:                             ;   in Loop: Header=BB384_16 Depth=1
	v_ffbh_u32_e32 v4, v18
	v_min_u32_e32 v4, 32, v4
	v_subrev_nc_u32_e32 v22, 28, v4
	v_sub_nc_u32_e32 v4, 29, v4
	v_lshlrev_b64 v[22:23], v22, v[18:19]
	v_and_b32_e32 v31, 7, v22
; %bb.2024:                             ;   in Loop: Header=BB384_16 Depth=1
	s_or_b32 exec_lo, exec_lo, s28
	v_mov_b32_e32 v18, 24
	v_lshlrev_b32_e32 v22, 20, v31
	v_lshl_add_u32 v4, v4, 23, 0x3c000000
	v_lshlrev_b32_sdwa v18, v18, v28 dst_sel:DWORD dst_unused:UNUSED_PAD src0_sel:DWORD src1_sel:WORD_1
	v_and_b32_e32 v18, 0x80000000, v18
	v_or3_b32 v84, v22, v18, v4
.LBB384_2025:                           ;   in Loop: Header=BB384_16 Depth=1
	s_or_b32 exec_lo, exec_lo, s27
.LBB384_2026:                           ;   in Loop: Header=BB384_16 Depth=1
	s_or_b32 exec_lo, exec_lo, s26
.LBB384_2027:                           ;   in Loop: Header=BB384_16 Depth=1
	s_or_b32 exec_lo, exec_lo, s25
	s_mov_b32 s25, exec_lo
	v_cmpx_lt_u32_e32 0xffffff, v28
	s_cbranch_execz .LBB384_2035
; %bb.2028:                             ;   in Loop: Header=BB384_16 Depth=1
	v_cmp_ne_u32_sdwa s5, v28, v87 src0_sel:BYTE_3 src1_sel:DWORD
	v_bfrev_b32_e32 v127, 1
	s_and_saveexec_b32 s26, s5
	s_cbranch_execz .LBB384_2034
; %bb.2029:                             ;   in Loop: Header=BB384_16 Depth=1
	v_bfe_u32 v22, v28, 24, 7
	v_mov_b32_e32 v127, 0x7f800001
	s_mov_b32 s27, exec_lo
	v_cmpx_ne_u32_e32 0x7f, v22
	s_cbranch_execz .LBB384_2033
; %bb.2030:                             ;   in Loop: Header=BB384_16 Depth=1
	v_mov_b32_e32 v4, 7
	s_mov_b32 s28, exec_lo
	v_and_b32_sdwa v18, v28, v4 dst_sel:DWORD dst_unused:UNUSED_PAD src0_sel:BYTE_3 src1_sel:DWORD
	v_mov_b32_e32 v32, v19
	v_lshrrev_b32_e32 v4, 3, v22
	v_mov_b32_e32 v31, v18
	v_cmpx_gt_u32_e32 8, v22
; %bb.2031:                             ;   in Loop: Header=BB384_16 Depth=1
	v_ffbh_u32_e32 v4, v18
	v_min_u32_e32 v4, 32, v4
	v_subrev_nc_u32_e32 v22, 28, v4
	v_sub_nc_u32_e32 v4, 29, v4
	v_lshlrev_b64 v[22:23], v22, v[18:19]
	v_and_b32_e32 v31, 7, v22
; %bb.2032:                             ;   in Loop: Header=BB384_16 Depth=1
	s_or_b32 exec_lo, exec_lo, s28
	v_mov_b32_e32 v18, 24
	v_lshlrev_b32_e32 v22, 20, v31
	v_lshl_add_u32 v4, v4, 23, 0x3c000000
	v_lshlrev_b32_sdwa v18, v18, v28 dst_sel:DWORD dst_unused:UNUSED_PAD src0_sel:DWORD src1_sel:BYTE_3
	v_and_b32_e32 v18, 0x80000000, v18
	v_or3_b32 v127, v22, v18, v4
.LBB384_2033:                           ;   in Loop: Header=BB384_16 Depth=1
	s_or_b32 exec_lo, exec_lo, s27
.LBB384_2034:                           ;   in Loop: Header=BB384_16 Depth=1
	s_or_b32 exec_lo, exec_lo, s26
.LBB384_2035:                           ;   in Loop: Header=BB384_16 Depth=1
	s_or_b32 exec_lo, exec_lo, s25
	v_mov_b32_e32 v18, v29
	v_cmp_ne_u16_sdwa s5, v29, v19 src0_sel:BYTE_0 src1_sel:DWORD
	v_mov_b32_e32 v23, 0
	v_mov_b32_e32 v22, 0
	s_and_saveexec_b32 s25, s5
	s_cbranch_execz .LBB384_2043
; %bb.2036:                             ;   in Loop: Header=BB384_16 Depth=1
	v_cmp_ne_u16_sdwa s5, v29, v87 src0_sel:BYTE_0 src1_sel:DWORD
	v_bfrev_b32_e32 v22, 1
	s_and_saveexec_b32 s26, s5
	s_cbranch_execz .LBB384_2042
; %bb.2037:                             ;   in Loop: Header=BB384_16 Depth=1
	v_and_b32_e32 v33, 0x7f, v29
	v_mov_b32_e32 v22, 0x7f800001
	s_mov_b32 s27, exec_lo
	v_cmpx_ne_u32_e32 0x7f, v33
	s_cbranch_execz .LBB384_2041
; %bb.2038:                             ;   in Loop: Header=BB384_16 Depth=1
	v_mov_b32_e32 v32, v19
	v_mov_b32_e32 v31, v18
	v_lshrrev_b32_e32 v4, 3, v33
	s_mov_b32 s28, exec_lo
	v_cmpx_gt_u32_e32 8, v33
; %bb.2039:                             ;   in Loop: Header=BB384_16 Depth=1
	v_and_b32_e32 v4, 7, v29
	v_ffbh_u32_e32 v4, v4
	v_min_u32_e32 v4, 32, v4
	v_subrev_nc_u32_e32 v22, 28, v4
	v_sub_nc_u32_e32 v4, 29, v4
	v_lshlrev_b64 v[31:32], v22, v[18:19]
; %bb.2040:                             ;   in Loop: Header=BB384_16 Depth=1
	s_or_b32 exec_lo, exec_lo, s28
	v_lshlrev_b32_e32 v22, 20, v31
	v_lshlrev_b32_e32 v31, 24, v18
	v_lshl_add_u32 v4, v4, 23, 0x3c000000
	v_and_b32_e32 v22, 0x700000, v22
	v_and_b32_e32 v31, 0x80000000, v31
	v_or3_b32 v22, v22, v31, v4
.LBB384_2041:                           ;   in Loop: Header=BB384_16 Depth=1
	s_or_b32 exec_lo, exec_lo, s27
.LBB384_2042:                           ;   in Loop: Header=BB384_16 Depth=1
	s_or_b32 exec_lo, exec_lo, s26
.LBB384_2043:                           ;   in Loop: Header=BB384_16 Depth=1
	s_or_b32 exec_lo, exec_lo, s25
	v_cmp_ne_u16_sdwa s5, v18, v19 src0_sel:BYTE_1 src1_sel:DWORD
	s_and_saveexec_b32 s25, s5
	s_cbranch_execz .LBB384_2051
; %bb.2044:                             ;   in Loop: Header=BB384_16 Depth=1
	v_cmp_ne_u16_sdwa s5, v18, v87 src0_sel:BYTE_1 src1_sel:DWORD
	v_bfrev_b32_e32 v23, 1
	s_and_saveexec_b32 s26, s5
	s_cbranch_execz .LBB384_2050
; %bb.2045:                             ;   in Loop: Header=BB384_16 Depth=1
	v_mov_b32_e32 v4, 0xffff
	v_mov_b32_e32 v23, 0x7f800001
	s_mov_b32 s27, exec_lo
	v_and_b32_sdwa v4, v4, v18 dst_sel:DWORD dst_unused:UNUSED_PAD src0_sel:DWORD src1_sel:BYTE_1
	v_and_b32_e32 v33, 0x7f, v4
	v_cmpx_ne_u32_e32 0x7f, v33
	s_cbranch_execz .LBB384_2049
; %bb.2046:                             ;   in Loop: Header=BB384_16 Depth=1
	v_and_b32_e32 v31, 7, v4
	v_mov_b32_e32 v32, v19
	v_lshrrev_b32_e32 v4, 3, v33
	s_mov_b32 s28, exec_lo
	v_cmpx_gt_u32_e32 8, v33
; %bb.2047:                             ;   in Loop: Header=BB384_16 Depth=1
	v_ffbh_u32_e32 v4, v31
	v_min_u32_e32 v4, 32, v4
	v_subrev_nc_u32_e32 v23, 28, v4
	v_sub_nc_u32_e32 v4, 29, v4
	v_lshlrev_b64 v[31:32], v23, v[31:32]
	v_and_b32_e32 v31, 7, v31
; %bb.2048:                             ;   in Loop: Header=BB384_16 Depth=1
	s_or_b32 exec_lo, exec_lo, s28
	v_lshlrev_b32_e32 v18, 16, v18
	v_lshlrev_b32_e32 v23, 20, v31
	v_lshl_add_u32 v4, v4, 23, 0x3c000000
	v_and_b32_e32 v18, 0x80000000, v18
	v_or3_b32 v23, v23, v18, v4
.LBB384_2049:                           ;   in Loop: Header=BB384_16 Depth=1
	s_or_b32 exec_lo, exec_lo, s27
.LBB384_2050:                           ;   in Loop: Header=BB384_16 Depth=1
	s_or_b32 exec_lo, exec_lo, s26
.LBB384_2051:                           ;   in Loop: Header=BB384_16 Depth=1
	s_or_b32 exec_lo, exec_lo, s25
	buffer_load_dword v34, off, s[0:3], s32 offset:476 ; 4-byte Folded Reload
	v_mov_b32_e32 v4, 0xff
	v_mov_b32_e32 v31, 0
	s_mov_b32 s25, exec_lo
	v_and_b32_sdwa v18, v29, v4 dst_sel:DWORD dst_unused:UNUSED_PAD src0_sel:WORD_1 src1_sel:DWORD
	v_mov_b32_e32 v4, 0
	v_cmpx_ne_u16_e32 0, v18
	s_cbranch_execz .LBB384_2059
; %bb.2052:                             ;   in Loop: Header=BB384_16 Depth=1
	v_bfrev_b32_e32 v4, 1
	s_mov_b32 s26, exec_lo
	v_cmpx_ne_u16_e32 0x80, v18
	s_cbranch_execz .LBB384_2058
; %bb.2053:                             ;   in Loop: Header=BB384_16 Depth=1
	v_bfe_u32 v33, v29, 16, 7
	v_mov_b32_e32 v4, 0x7f800001
	s_mov_b32 s27, exec_lo
	v_cmpx_ne_u32_e32 0x7f, v33
	s_cbranch_execz .LBB384_2057
; %bb.2054:                             ;   in Loop: Header=BB384_16 Depth=1
	v_mov_b32_e32 v4, 7
	s_mov_b32 s28, exec_lo
	v_and_b32_sdwa v18, v29, v4 dst_sel:DWORD dst_unused:UNUSED_PAD src0_sel:WORD_1 src1_sel:DWORD
	v_mov_b32_e32 v32, v19
	v_lshrrev_b32_e32 v4, 3, v33
	v_mov_b32_e32 v31, v18
	v_cmpx_gt_u32_e32 8, v33
; %bb.2055:                             ;   in Loop: Header=BB384_16 Depth=1
	v_ffbh_u32_e32 v4, v18
	v_min_u32_e32 v4, 32, v4
	v_subrev_nc_u32_e32 v31, 28, v4
	v_sub_nc_u32_e32 v4, 29, v4
	v_lshlrev_b64 v[31:32], v31, v[18:19]
	v_and_b32_e32 v31, 7, v31
; %bb.2056:                             ;   in Loop: Header=BB384_16 Depth=1
	s_or_b32 exec_lo, exec_lo, s28
	v_mov_b32_e32 v18, 24
	v_lshlrev_b32_e32 v31, 20, v31
	v_lshl_add_u32 v4, v4, 23, 0x3c000000
	v_lshlrev_b32_sdwa v18, v18, v29 dst_sel:DWORD dst_unused:UNUSED_PAD src0_sel:DWORD src1_sel:WORD_1
	v_and_b32_e32 v18, 0x80000000, v18
	v_or3_b32 v4, v31, v18, v4
	v_mov_b32_e32 v31, 0
.LBB384_2057:                           ;   in Loop: Header=BB384_16 Depth=1
	s_or_b32 exec_lo, exec_lo, s27
.LBB384_2058:                           ;   in Loop: Header=BB384_16 Depth=1
	s_or_b32 exec_lo, exec_lo, s26
.LBB384_2059:                           ;   in Loop: Header=BB384_16 Depth=1
	s_or_b32 exec_lo, exec_lo, s25
	buffer_store_dword v4, off, s[0:3], s32 offset:1104 ; 4-byte Folded Spill
	buffer_store_dword v98, off, s[0:3], s32 offset:824 ; 4-byte Folded Spill
	;; [unrolled: 1-line block ×3, first 2 shown]
	v_mov_b32_e32 v69, v78
	buffer_load_dword v78, off, s[0:3], s32 offset:424 ; 4-byte Folded Reload
	s_waitcnt vmcnt(1)
	v_mov_b32_e32 v98, v34
	s_mov_b32 s25, exec_lo
	v_cmpx_lt_u64_e64 s[20:21], v[28:29]
	s_cbranch_execz .LBB384_14
; %bb.2060:                             ;   in Loop: Header=BB384_16 Depth=1
	v_cmp_ne_u32_sdwa s5, v29, v87 src0_sel:BYTE_3 src1_sel:DWORD
	v_bfrev_b32_e32 v31, 1
	s_and_saveexec_b32 s26, s5
	s_cbranch_execz .LBB384_13
; %bb.2061:                             ;   in Loop: Header=BB384_16 Depth=1
	v_bfe_u32 v33, v29, 24, 7
	v_mov_b32_e32 v31, 0x7f800001
	s_mov_b32 s27, exec_lo
	v_cmpx_ne_u32_e32 0x7f, v33
	s_cbranch_execz .LBB384_12
; %bb.2062:                             ;   in Loop: Header=BB384_16 Depth=1
	v_mov_b32_e32 v4, 7
	v_lshrrev_b32_e32 v28, 3, v33
	s_mov_b32 s28, exec_lo
	v_and_b32_sdwa v18, v29, v4 dst_sel:DWORD dst_unused:UNUSED_PAD src0_sel:BYTE_3 src1_sel:DWORD
	v_mov_b32_e32 v32, v19
	v_mov_b32_e32 v31, v18
	v_cmpx_gt_u32_e32 8, v33
	s_cbranch_execz .LBB384_11
; %bb.2063:                             ;   in Loop: Header=BB384_16 Depth=1
	v_ffbh_u32_e32 v28, v18
	v_min_u32_e32 v28, 32, v28
	v_subrev_nc_u32_e32 v31, 28, v28
	v_sub_nc_u32_e32 v28, 29, v28
	v_lshlrev_b64 v[31:32], v31, v[18:19]
	v_and_b32_e32 v31, 7, v31
	s_branch .LBB384_11
.LBB384_2064:
	s_or_b32 exec_lo, exec_lo, s17
	s_clause 0xf
	buffer_load_dword v30, off, s[0:3], s32 offset:2348
	buffer_load_dword v11, off, s[0:3], s32 offset:2352
	buffer_load_dword v15, off, s[0:3], s32 offset:2356
	buffer_load_dword v33, off, s[0:3], s32 offset:2360
	buffer_load_dword v14, off, s[0:3], s32 offset:2364
	buffer_load_dword v22, off, s[0:3], s32 offset:2368
	buffer_load_dword v24, off, s[0:3], s32 offset:2372
	buffer_load_dword v25, off, s[0:3], s32 offset:2376
	buffer_load_dword v26, off, s[0:3], s32 offset:2380
	buffer_load_dword v10, off, s[0:3], s32 offset:2384
	buffer_load_dword v34, off, s[0:3], s32 offset:2388
	buffer_load_dword v35, off, s[0:3], s32 offset:2392
	buffer_load_dword v36, off, s[0:3], s32 offset:2396
	buffer_load_dword v37, off, s[0:3], s32 offset:2400
	buffer_load_dword v38, off, s[0:3], s32 offset:2404
	buffer_load_dword v16, off, s[0:3], s32 offset:2408
.LBB384_2065:
	s_or_b32 exec_lo, exec_lo, s23
	v_mbcnt_lo_u32_b32 v0, -1, 0
	v_max_f32_e32 v4, v7, v7
	s_waitcnt lgkmcnt(0)
	s_lshr_b32 s8, s13, 16
	v_xor_b32_e32 v1, 16, v0
	v_xor_b32_e32 v3, 8, v0
	;; [unrolled: 1-line block ×3, first 2 shown]
	v_cmp_gt_i32_e32 vcc_lo, 32, v1
	v_cndmask_b32_e32 v1, v0, v1, vcc_lo
	v_cmp_gt_i32_e32 vcc_lo, 32, v3
	v_lshlrev_b32_e32 v2, 2, v1
	v_cndmask_b32_e32 v3, v0, v3, vcc_lo
	v_cmp_gt_i32_e32 vcc_lo, 32, v5
	ds_bpermute_b32 v1, v2, v7
	v_lshlrev_b32_e32 v3, 2, v3
	v_cndmask_b32_e32 v5, v0, v5, vcc_lo
	s_waitcnt lgkmcnt(0)
	v_max_f32_e32 v1, v1, v1
	v_max_f32_e32 v1, v4, v1
	ds_bpermute_b32 v4, v3, v1
	s_waitcnt lgkmcnt(0)
	v_max_f32_e32 v6, v4, v4
	v_lshlrev_b32_e32 v4, 2, v5
	v_max_f32_e32 v1, v1, v6
	v_xor_b32_e32 v6, 2, v0
	ds_bpermute_b32 v5, v4, v1
	v_cmp_gt_i32_e32 vcc_lo, 32, v6
	v_cndmask_b32_e32 v6, v0, v6, vcc_lo
	v_lshlrev_b32_e32 v39, 2, v6
	v_xor_b32_e32 v6, 1, v0
	v_cmp_gt_i32_e32 vcc_lo, 32, v6
	s_waitcnt lgkmcnt(0)
	v_max_f32_e32 v5, v5, v5
	v_cndmask_b32_e32 v6, v0, v6, vcc_lo
	v_max_f32_e32 v1, v1, v5
	v_lshlrev_b32_e32 v70, 2, v6
	ds_bpermute_b32 v5, v39, v1
	s_waitcnt lgkmcnt(0)
	v_max_f32_e32 v5, v5, v5
	v_max_f32_e32 v0, v1, v5
	buffer_load_dword v5, off, s[0:3], s32 offset:1268 ; 4-byte Folded Reload
	ds_bpermute_b32 v1, v70, v0
	s_waitcnt vmcnt(0)
	v_cmp_eq_u32_e32 vcc_lo, 0, v5
	buffer_load_dword v5, off, s[0:3], s32 offset:2336 ; 4-byte Folded Reload
	s_waitcnt vmcnt(0)
	v_lshlrev_b32_e32 v5, 2, v5
	s_and_saveexec_b32 s5, vcc_lo
	s_cbranch_execz .LBB384_2067
; %bb.2066:
	s_waitcnt lgkmcnt(0)
	v_max_f32_e32 v1, v1, v1
	v_max_f32_e32 v0, v0, v0
	;; [unrolled: 1-line block ×3, first 2 shown]
	ds_write_b32 v5, v0 offset:512
.LBB384_2067:
	s_or_b32 exec_lo, exec_lo, s5
	buffer_load_dword v0, off, s[0:3], s32 offset:1268 ; 4-byte Folded Reload
	s_waitcnt vmcnt(0) lgkmcnt(0)
	s_waitcnt_vscnt null, 0x0
	s_barrier
	buffer_gl0_inv
	v_cmp_gt_u32_e64 s5, 4, v0
	v_mov_b32_e32 v0, 0xff7fffff
	s_and_saveexec_b32 s6, s5
; %bb.2068:
	ds_read_b32 v0, v16 offset:512
; %bb.2069:
	s_or_b32 exec_lo, exec_lo, s6
	buffer_load_dword v6, off, s[0:3], s32 offset:232 ; 4-byte Folded Reload
	s_waitcnt lgkmcnt(0)
	ds_bpermute_b32 v1, v39, v0
	v_max_f32_e32 v0, v0, v0
	s_waitcnt lgkmcnt(0)
	v_max_f32_e32 v1, v1, v1
	v_max_f32_e32 v0, v0, v1
	ds_bpermute_b32 v1, v70, v0
	s_waitcnt lgkmcnt(0)
	v_max_f32_e32 v1, v1, v1
	v_max_f32_e32 v0, v0, v1
	s_waitcnt vmcnt(0)
	v_subrev_nc_u32_e32 v7, s7, v6
	v_mov_b32_e32 v6, 0
	v_lshl_add_u32 v1, v7, 5, s22
	buffer_load_dword v7, off, s[0:3], s32 offset:1272 ; 4-byte Folded Reload
	ds_bpermute_b32 v0, v6, v0
	v_min_i32_e32 v1, v1, v48
	v_subrev_nc_u32_e32 v1, s22, v1
	s_waitcnt vmcnt(0)
	v_cmp_lt_i32_e64 s6, v7, v1
	s_and_saveexec_b32 s9, s6
	s_cbranch_execz .LBB384_2073
; %bb.2070:
	buffer_load_dword v8, off, s[0:3], s32 offset:1272 ; 4-byte Folded Reload
	s_getpc_b64 s[20:21]
	s_add_u32 s20, s20, llvm.amdgcn.dynlds.offset.table@rel32@lo+4
	s_addc_u32 s21, s21, llvm.amdgcn.dynlds.offset.table@rel32@hi+12
	s_ashr_i32 s17, s16, 31
	v_mov_b32_e32 v6, 0
	s_lshl_b64 s[24:25], s[16:17], 2
	s_mov_b32 s13, 0
	s_add_u32 s20, s20, s24
	s_addc_u32 s21, s21, s25
	s_load_dword s7, s[20:21], 0x0
	s_waitcnt vmcnt(0) lgkmcnt(0)
	v_lshl_add_u32 v7, v8, 2, s7
	.p2align	6
.LBB384_2071:                           ; =>This Inner Loop Header: Depth=1
	ds_read_b32 v9, v7
	v_add_nc_u32_e32 v8, 0x80, v8
	v_cmp_ge_i32_e64 s7, v8, v1
	s_or_b32 s13, s7, s13
	s_waitcnt lgkmcnt(0)
	v_sub_f32_e32 v9, v9, v0
	v_mul_f32_e32 v9, 0x3fb8aa3b, v9
	v_exp_f32_e32 v9, v9
	ds_write_b32 v7, v9
	v_add_f32_e32 v6, v6, v9
	v_add_nc_u32_e32 v7, 0x200, v7
	s_andn2_b32 exec_lo, exec_lo, s13
	s_cbranch_execnz .LBB384_2071
; %bb.2072:
	s_or_b32 exec_lo, exec_lo, s13
.LBB384_2073:
	s_or_b32 exec_lo, exec_lo, s9
	ds_bpermute_b32 v2, v2, v6
	s_waitcnt lgkmcnt(0)
	v_add_f32_e32 v2, v6, v2
	ds_bpermute_b32 v3, v3, v2
	s_waitcnt lgkmcnt(0)
	v_add_f32_e32 v2, v2, v3
	;; [unrolled: 3-line block ×5, first 2 shown]
	s_and_saveexec_b32 s7, vcc_lo
; %bb.2074:
	ds_write_b32 v5, v2 offset:528
; %bb.2075:
	s_or_b32 exec_lo, exec_lo, s7
	s_waitcnt lgkmcnt(0)
	s_barrier
	buffer_gl0_inv
	s_and_saveexec_b32 s7, s5
; %bb.2076:
	ds_read_b32 v2, v16 offset:528
; %bb.2077:
	s_or_b32 exec_lo, exec_lo, s7
	s_waitcnt lgkmcnt(0)
	ds_bpermute_b32 v3, v39, v2
	s_waitcnt lgkmcnt(0)
	v_add_f32_e32 v2, v2, v3
	ds_bpermute_b32 v3, v70, v2
	s_waitcnt lgkmcnt(0)
	v_add_f32_e32 v2, v2, v3
	v_mov_b32_e32 v3, 0
	ds_bpermute_b32 v2, v3, v2
	s_and_saveexec_b32 s5, s6
	s_cbranch_execz .LBB384_2080
; %bb.2078:
	s_waitcnt lgkmcnt(0)
	v_add_f32_e32 v4, 0x358637bd, v2
	s_getpc_b64 s[6:7]
	s_add_u32 s6, s6, llvm.amdgcn.dynlds.offset.table@rel32@lo+4
	s_addc_u32 s7, s7, llvm.amdgcn.dynlds.offset.table@rel32@hi+12
	s_ashr_i32 s17, s16, 31
	s_lshl_b64 s[20:21], s[16:17], 2
	v_div_scale_f32 v3, null, v4, v4, 1.0
	v_div_scale_f32 v7, vcc_lo, 1.0, v4, 1.0
	s_add_u32 s6, s6, s20
	v_rcp_f32_e32 v5, v3
	s_addc_u32 s7, s7, s21
	s_load_dword s6, s[6:7], 0x0
	v_fma_f32 v6, -v3, v5, 1.0
	v_fmac_f32_e32 v5, v6, v5
	v_mul_f32_e32 v6, v7, v5
	v_fma_f32 v8, -v3, v6, v7
	v_fmac_f32_e32 v6, v8, v5
	v_fma_f32 v3, -v3, v6, v7
	v_div_fmas_f32 v5, v3, v5, v6
	buffer_load_dword v6, off, s[0:3], s32 offset:1272 ; 4-byte Folded Reload
	v_div_fixup_f32 v4, v5, v4, 1.0
	s_waitcnt vmcnt(0) lgkmcnt(0)
	v_lshl_add_u32 v3, v6, 2, s6
	v_mov_b32_e32 v5, v6
	s_mov_b32 s6, 0
.LBB384_2079:                           ; =>This Inner Loop Header: Depth=1
	ds_read_b32 v6, v3
	v_add_nc_u32_e32 v5, 0x80, v5
	v_cmp_ge_i32_e32 vcc_lo, v5, v1
	s_or_b32 s6, vcc_lo, s6
	s_waitcnt lgkmcnt(0)
	v_mul_f32_e32 v6, v4, v6
	ds_write_b32 v3, v6
	v_add_nc_u32_e32 v3, 0x200, v3
	s_andn2_b32 exec_lo, exec_lo, s6
	s_cbranch_execnz .LBB384_2079
.LBB384_2080:
	s_or_b32 exec_lo, exec_lo, s5
	s_waitcnt lgkmcnt(0)
	buffer_load_dword v1, off, s[0:3], s32 offset:1272 ; 4-byte Folded Reload
	s_and_b32 s5, 0xffff, s8
	s_mov_b32 s8, exec_lo
	s_cmp_lg_u32 s5, 0
	s_barrier
	s_cselect_b32 s5, -1, 0
	s_waitcnt vmcnt(0)
	buffer_gl0_inv
	s_cmp_lg_u32 s5, 0
	s_addc_u32 s5, s11, 0
	s_mul_i32 s6, s5, s18
	s_mul_i32 s6, s6, s15
	v_cmpx_eq_u32_e32 0, v1
	s_cbranch_execz .LBB384_2082
; %bb.2081:
	s_ashr_i32 s7, s6, 31
	s_mul_i32 s12, s5, s12
	s_lshl_b64 s[20:21], s[6:7], 2
	s_ashr_i32 s13, s12, 31
	v_add_co_u32 v1, vcc_lo, v26, s20
	v_add_co_ci_u32_e64 v3, null, s21, v25, vcc_lo
	s_lshl_b64 s[12:13], s[12:13], 2
	s_ashr_i32 s15, s14, 31
	v_add_co_u32 v1, vcc_lo, v1, s12
	v_add_co_ci_u32_e64 v4, null, s13, v3, vcc_lo
	v_add_co_u32 v3, vcc_lo, v24, s20
	v_add_co_ci_u32_e64 v5, null, s21, v22, vcc_lo
	s_lshl_b64 s[20:21], s[14:15], 2
	v_add_co_u32 v6, vcc_lo, v3, s12
	v_add_co_ci_u32_e64 v7, null, s13, v5, vcc_lo
	v_add_co_u32 v3, vcc_lo, v1, s20
	v_add_co_ci_u32_e64 v4, null, s21, v4, vcc_lo
	v_add_co_u32 v5, vcc_lo, v6, s20
	v_add_co_ci_u32_e64 v6, null, s21, v7, vcc_lo
	flat_store_dword v[3:4], v0
	flat_store_dword v[5:6], v2
.LBB384_2082:
	s_or_b32 exec_lo, exec_lo, s8
	s_ashr_i32 s17, s16, 31
	s_getpc_b64 s[8:9]
	s_add_u32 s8, s8, llvm.amdgcn.dynlds.offset.table@rel32@lo+4
	s_addc_u32 s9, s9, llvm.amdgcn.dynlds.offset.table@rel32@hi+12
	s_lshl_b64 s[12:13], s[16:17], 2
	v_mov_b32_e32 v31, 0
	v_mov_b32_e32 v32, 0
	;; [unrolled: 1-line block ×32, first 2 shown]
	s_add_u32 s8, s8, s12
	s_addc_u32 s9, s9, s13
	s_and_saveexec_b32 s7, s4
	s_cbranch_execz .LBB384_4200
; %bb.2083:
	v_add_co_u32 v1, vcc_lo, v14, v36
	buffer_store_dword v39, off, s[0:3], s32 offset:1036 ; 4-byte Folded Spill
	buffer_store_dword v70, off, s[0:3], s32 offset:1032 ; 4-byte Folded Spill
	v_max_i32_e32 v30, v30, v38
	s_load_dword s4, s[8:9], 0x0
	buffer_store_dword v1, off, s[0:3], s32 offset:1000 ; 4-byte Folded Spill
	v_add_co_ci_u32_e64 v1, null, v15, v37, vcc_lo
	v_cvt_f32_u32_e32 v0, v30
	v_add_co_u32 v2, vcc_lo, v33, v34
	buffer_store_dword v1, off, s[0:3], s32 offset:1004 ; 4-byte Folded Spill
	buffer_load_dword v1, off, s[0:3], s32 offset:1272 ; 4-byte Folded Reload
	v_add_co_ci_u32_e64 v3, null, v11, v35, vcc_lo
	v_rcp_iflag_f32_e32 v0, v0
	buffer_store_dword v2, off, s[0:3], s32 offset:1008 ; 4-byte Folded Spill
	buffer_store_dword v3, off, s[0:3], s32 offset:1012 ; 4-byte Folded Spill
	v_add_nc_u32_e32 v2, -1, v10
	v_mov_b32_e32 v3, 0
	v_mov_b32_e32 v13, 0
	v_mov_b32_e32 v116, 0x80
	v_mov_b32_e32 v118, 0xff
	buffer_store_dword v2, off, s[0:3], s32 offset:1016 ; 4-byte Folded Spill
	v_mul_f32_e32 v0, 0x4f7ffffe, v0
	v_mov_b32_e32 v2, 0
	buffer_store_dword v3, off, s[0:3], s32 offset:876 ; 4-byte Folded Spill
	v_mov_b32_e32 v3, 0
	v_mov_b32_e32 v82, 0
	v_cvt_u32_f32_e32 v0, v0
	buffer_store_dword v2, off, s[0:3], s32 offset:872 ; 4-byte Folded Spill
	v_sub_nc_u32_e32 v2, 0, v30
	buffer_store_dword v3, off, s[0:3], s32 offset:880 ; 4-byte Folded Spill
	v_mov_b32_e32 v3, 0
	s_lshl_b32 s11, s22, 2
	s_mov_b32 s12, -1
	v_mul_lo_u32 v2, v2, v0
	s_waitcnt lgkmcnt(0)
	s_sub_i32 s11, s4, s11
	buffer_store_dword v3, off, s[0:3], s32 offset:884 ; 4-byte Folded Spill
	v_mov_b32_e32 v3, 0
	s_mov_b32 s13, 0xffffff
	s_mov_b32 s15, 0
	v_mul_hi_u32 v2, v0, v2
	buffer_store_dword v3, off, s[0:3], s32 offset:888 ; 4-byte Folded Spill
	v_mov_b32_e32 v3, 0
	buffer_store_dword v3, off, s[0:3], s32 offset:892 ; 4-byte Folded Spill
	v_add_nc_u32_e32 v0, v0, v2
	v_mov_b32_e32 v3, 0
	buffer_store_dword v0, off, s[0:3], s32 offset:996 ; 4-byte Folded Spill
	v_mov_b32_e32 v0, 0
	buffer_store_dword v3, off, s[0:3], s32 offset:896 ; 4-byte Folded Spill
	;; [unrolled: 2-line block ×18, first 2 shown]
	buffer_store_dword v0, off, s[0:3], s32 offset:964 ; 4-byte Folded Spill
	v_mov_b32_e32 v0, 0
	buffer_store_dword v0, off, s[0:3], s32 offset:968 ; 4-byte Folded Spill
	v_mov_b32_e32 v0, 0
	;; [unrolled: 2-line block ×7, first 2 shown]
	buffer_store_dword v0, off, s[0:3], s32 offset:992 ; 4-byte Folded Spill
	s_waitcnt vmcnt(0)
	v_lshlrev_b32_e32 v1, 3, v1
	v_and_b32_e32 v3, 24, v1
	buffer_store_dword v3, off, s[0:3], s32 offset:1020 ; 4-byte Folded Spill
	v_and_b32_e32 v3, 0xf8, v1
	v_or_b32_e32 v1, 0x1f00, v1
	buffer_store_dword v3, off, s[0:3], s32 offset:1024 ; 4-byte Folded Spill
	buffer_store_dword v1, off, s[0:3], s32 offset:1028 ; 4-byte Folded Spill
	s_clause 0x1
	buffer_load_dword v0, off, s[0:3], s32 offset:200
	buffer_load_dword v1, off, s[0:3], s32 offset:204
	s_branch .LBB384_2086
.LBB384_2084:                           ;   in Loop: Header=BB384_2086 Depth=1
	s_or_b32 exec_lo, exec_lo, s4
	v_bfe_u32 v10, v6, 16, 1
	v_or_b32_e32 v26, 0x400000, v6
	v_cmp_u_f32_e32 vcc_lo, v6, v6
	v_lshlrev_b32_e32 v24, 16, v24
	v_lshlrev_b32_e32 v33, 16, v33
	v_add3_u32 v10, v10, v6, 0x7fff
	v_lshlrev_b32_e32 v5, 16, v5
	v_lshlrev_b32_e32 v4, 16, v4
	;; [unrolled: 1-line block ×3, first 2 shown]
	v_cndmask_b32_e32 v6, v10, v26, vcc_lo
	v_bfe_u32 v10, v7, 16, 1
	v_or_b32_e32 v26, 0x400000, v7
	v_cmp_u_f32_e32 vcc_lo, v7, v7
	v_add3_u32 v10, v10, v7, 0x7fff
	v_cndmask_b32_e32 v7, v10, v26, vcc_lo
	v_bfe_u32 v10, v8, 16, 1
	v_or_b32_e32 v26, 0x400000, v8
	v_cmp_u_f32_e32 vcc_lo, v8, v8
	v_add3_u32 v10, v10, v8, 0x7fff
	v_bfe_u32 v8, v9, 16, 1
	v_cndmask_b32_e32 v10, v10, v26, vcc_lo
	v_add3_u32 v8, v8, v9, 0x7fff
	v_or_b32_e32 v26, 0x400000, v9
	v_cmp_u_f32_e32 vcc_lo, v9, v9
	v_or_b32_e32 v9, 0x400000, v0
	v_cndmask_b32_e32 v26, v8, v26, vcc_lo
	v_bfe_u32 v8, v0, 16, 1
	v_cmp_u_f32_e32 vcc_lo, v0, v0
	v_add3_u32 v8, v8, v0, 0x7fff
	v_cndmask_b32_e32 v0, v8, v9, vcc_lo
	v_bfe_u32 v8, v1, 16, 1
	v_or_b32_e32 v9, 0x400000, v1
	v_cmp_u_f32_e32 vcc_lo, v1, v1
	v_add3_u32 v8, v8, v1, 0x7fff
	v_cndmask_b32_e32 v1, v8, v9, vcc_lo
	v_bfe_u32 v8, v2, 16, 1
	v_or_b32_e32 v9, 0x400000, v2
	v_cmp_u_f32_e32 vcc_lo, v2, v2
	v_and_b32_e32 v1, 0xffff0000, v1
	v_add3_u32 v8, v8, v2, 0x7fff
	v_mul_f32_e32 v24, v1, v24
	v_cndmask_b32_e32 v2, v8, v9, vcc_lo
	v_bfe_u32 v8, v3, 16, 1
	v_or_b32_e32 v9, 0x400000, v3
	v_cmp_u_f32_e32 vcc_lo, v3, v3
	v_mul_f32_e32 v5, v1, v5
	v_and_b32_e32 v2, 0xffff0000, v2
	v_add3_u32 v8, v8, v3, 0x7fff
	v_lshlrev_b32_e32 v3, 16, v68
	v_mul_f32_e32 v11, v2, v11
	v_cndmask_b32_e32 v27, v8, v9, vcc_lo
	v_and_b32_e32 v8, 0xffff0000, v7
	v_mul_f32_e32 v3, v8, v3
	v_bfe_u32 v7, v3, 16, 1
	v_or_b32_e32 v9, 0x400000, v3
	v_cmp_u_f32_e32 vcc_lo, v3, v3
	v_add3_u32 v7, v7, v3, 0x7fff
	v_lshlrev_b32_e32 v3, 16, v69
	v_cndmask_b32_e32 v37, v7, v9, vcc_lo
	v_and_b32_e32 v9, 0xffff0000, v6
	v_and_b32_e32 v37, 0xffff0000, v37
	v_mul_f32_e32 v3, v9, v3
	v_bfe_u32 v6, v3, 16, 1
	v_or_b32_e32 v7, 0x400000, v3
	v_cmp_u_f32_e32 vcc_lo, v3, v3
	v_add3_u32 v6, v6, v3, 0x7fff
	v_and_b32_e32 v3, 0xffff0000, v26
	v_cndmask_b32_e32 v68, v6, v7, vcc_lo
	v_lshlrev_b32_e32 v6, 16, v65
	v_mul_f32_e32 v6, v3, v6
	v_bfe_u32 v7, v6, 16, 1
	v_or_b32_e32 v26, 0x400000, v6
	v_cmp_u_f32_e32 vcc_lo, v6, v6
	v_add3_u32 v7, v7, v6, 0x7fff
	v_lshlrev_b32_e32 v6, 16, v66
	v_cndmask_b32_e32 v26, v7, v26, vcc_lo
	v_and_b32_e32 v7, 0xffff0000, v10
	v_and_b32_e32 v26, 0xffff0000, v26
	v_mul_f32_e32 v6, v7, v6
	v_bfe_u32 v10, v6, 16, 1
	v_or_b32_e32 v65, 0x400000, v6
	v_cmp_u_f32_e32 vcc_lo, v6, v6
	v_add3_u32 v10, v10, v6, 0x7fff
	v_lshlrev_b32_e32 v6, 16, v17
	v_cndmask_b32_e32 v10, v10, v65, vcc_lo
	v_mul_f32_e32 v6, v1, v6
	v_and_b32_e32 v10, 0xffff0000, v10
	v_bfe_u32 v17, v6, 16, 1
	v_or_b32_e32 v65, 0x400000, v6
	v_cmp_u_f32_e32 vcc_lo, v6, v6
	v_add_f32_e32 v10, v10, v26
	v_add3_u32 v17, v17, v6, 0x7fff
	v_and_b32_e32 v6, 0xffff0000, v0
	v_lshlrev_b32_e32 v0, 16, v64
	v_cndmask_b32_e32 v17, v17, v65, vcc_lo
	v_mul_f32_e32 v33, v6, v33
	v_mul_f32_e32 v0, v6, v0
	;; [unrolled: 1-line block ×3, first 2 shown]
	v_and_b32_e32 v17, 0xffff0000, v17
	v_bfe_u32 v64, v0, 16, 1
	v_or_b32_e32 v65, 0x400000, v0
	v_cmp_u_f32_e32 vcc_lo, v0, v0
	v_add3_u32 v64, v64, v0, 0x7fff
	v_and_b32_e32 v0, 0xffff0000, v27
	v_lshlrev_b32_e32 v27, 16, v70
	v_cndmask_b32_e32 v64, v64, v65, vcc_lo
	v_mul_f32_e32 v27, v0, v27
	v_and_b32_e32 v26, 0xffff0000, v64
	v_bfe_u32 v65, v27, 16, 1
	v_or_b32_e32 v66, 0x400000, v27
	v_cmp_u_f32_e32 vcc_lo, v27, v27
	v_add_f32_e32 v17, v26, v17
	v_add3_u32 v65, v65, v27, 0x7fff
	v_cndmask_b32_e32 v27, v65, v66, vcc_lo
	v_lshlrev_b32_e32 v65, 16, v67
	v_and_b32_e32 v26, 0xffff0000, v27
	v_mul_f32_e32 v65, v2, v65
	v_bfe_u32 v66, v65, 16, 1
	v_or_b32_e32 v67, 0x400000, v65
	v_cmp_u_f32_e32 vcc_lo, v65, v65
	v_add3_u32 v66, v66, v65, 0x7fff
	v_cndmask_b32_e32 v65, v66, v67, vcc_lo
	v_and_b32_e32 v66, 0xffff0000, v68
	v_add_f32_e32 v37, v66, v37
	v_add_f32_e32 v10, v37, v10
	;; [unrolled: 1-line block ×3, first 2 shown]
	v_and_b32_e32 v17, 0xffff0000, v65
	v_add_f32_e32 v17, v17, v26
	v_add_f32_e32 v10, v10, v17
	buffer_load_dword v17, off, s[0:3], s32 offset:872 ; 4-byte Folded Reload
	s_waitcnt vmcnt(0)
	v_add_f32_e32 v17, v17, v10
	v_lshlrev_b32_e32 v10, 16, v36
	buffer_store_dword v17, off, s[0:3], s32 offset:872 ; 4-byte Folded Spill
	v_mul_f32_e32 v10, v8, v10
	v_bfe_u32 v17, v10, 16, 1
	v_or_b32_e32 v26, 0x400000, v10
	v_cmp_u_f32_e32 vcc_lo, v10, v10
	v_add3_u32 v17, v17, v10, 0x7fff
	v_cndmask_b32_e32 v10, v17, v26, vcc_lo
	v_lshlrev_b32_e32 v17, 16, v54
	v_and_b32_e32 v10, 0xffff0000, v10
	v_mul_f32_e32 v17, v9, v17
	v_bfe_u32 v26, v17, 16, 1
	v_or_b32_e32 v27, 0x400000, v17
	v_cmp_u_f32_e32 vcc_lo, v17, v17
	v_add3_u32 v26, v26, v17, 0x7fff
	v_cndmask_b32_e32 v17, v26, v27, vcc_lo
	v_lshlrev_b32_e32 v26, 16, v34
	v_and_b32_e32 v17, 0xffff0000, v17
	v_mul_f32_e32 v26, v3, v26
	v_add_f32_e32 v10, v17, v10
	v_bfe_u32 v27, v26, 16, 1
	v_or_b32_e32 v34, 0x400000, v26
	v_cmp_u_f32_e32 vcc_lo, v26, v26
	v_add3_u32 v27, v27, v26, 0x7fff
	v_cndmask_b32_e32 v26, v27, v34, vcc_lo
	v_lshlrev_b32_e32 v27, 16, v35
	v_and_b32_e32 v26, 0xffff0000, v26
	v_mul_f32_e32 v27, v7, v27
	v_bfe_u32 v34, v27, 16, 1
	v_or_b32_e32 v35, 0x400000, v27
	v_cmp_u_f32_e32 vcc_lo, v27, v27
	v_add3_u32 v34, v34, v27, 0x7fff
	v_cndmask_b32_e32 v27, v34, v35, vcc_lo
	v_bfe_u32 v34, v24, 16, 1
	v_or_b32_e32 v35, 0x400000, v24
	v_cmp_u_f32_e32 vcc_lo, v24, v24
	v_and_b32_e32 v17, 0xffff0000, v27
	v_add3_u32 v34, v34, v24, 0x7fff
	v_add_f32_e32 v17, v17, v26
	v_cndmask_b32_e32 v24, v34, v35, vcc_lo
	v_bfe_u32 v34, v33, 16, 1
	v_or_b32_e32 v35, 0x400000, v33
	v_cmp_u_f32_e32 vcc_lo, v33, v33
	v_add_f32_e32 v10, v10, v17
	v_and_b32_e32 v24, 0xffff0000, v24
	v_add3_u32 v34, v34, v33, 0x7fff
	v_cndmask_b32_e32 v33, v34, v35, vcc_lo
	v_lshlrev_b32_e32 v34, 16, v55
	v_and_b32_e32 v17, 0xffff0000, v33
	v_mul_f32_e32 v34, v0, v34
	v_add_f32_e32 v17, v17, v24
	v_bfe_u32 v35, v34, 16, 1
	v_or_b32_e32 v36, 0x400000, v34
	v_cmp_u_f32_e32 vcc_lo, v34, v34
	v_add_f32_e32 v10, v10, v17
	v_add3_u32 v35, v35, v34, 0x7fff
	v_cndmask_b32_e32 v34, v35, v36, vcc_lo
	v_lshlrev_b32_e32 v35, 16, v49
	v_and_b32_e32 v24, 0xffff0000, v34
	v_mul_f32_e32 v35, v2, v35
	v_bfe_u32 v36, v35, 16, 1
	v_or_b32_e32 v37, 0x400000, v35
	v_cmp_u_f32_e32 vcc_lo, v35, v35
	v_add3_u32 v36, v36, v35, 0x7fff
	v_cndmask_b32_e32 v35, v36, v37, vcc_lo
	v_and_b32_e32 v17, 0xffff0000, v35
	v_add_f32_e32 v17, v17, v24
	v_add_f32_e32 v10, v10, v17
	buffer_load_dword v17, off, s[0:3], s32 offset:876 ; 4-byte Folded Reload
	s_waitcnt vmcnt(0)
	v_add_f32_e32 v17, v17, v10
	v_lshlrev_b32_e32 v10, 16, v44
	buffer_store_dword v17, off, s[0:3], s32 offset:876 ; 4-byte Folded Spill
	v_mul_f32_e32 v10, v8, v10
	v_bfe_u32 v17, v10, 16, 1
	v_or_b32_e32 v24, 0x400000, v10
	v_cmp_u_f32_e32 vcc_lo, v10, v10
	v_add3_u32 v17, v17, v10, 0x7fff
	v_cndmask_b32_e32 v10, v17, v24, vcc_lo
	v_lshlrev_b32_e32 v17, 16, v22
	v_and_b32_e32 v10, 0xffff0000, v10
	v_mul_f32_e32 v17, v9, v17
	v_bfe_u32 v22, v17, 16, 1
	v_or_b32_e32 v24, 0x400000, v17
	v_cmp_u_f32_e32 vcc_lo, v17, v17
	v_add3_u32 v22, v22, v17, 0x7fff
	v_cndmask_b32_e32 v17, v22, v24, vcc_lo
	v_lshlrev_b32_e32 v22, 16, v39
	v_and_b32_e32 v17, 0xffff0000, v17
	v_mul_f32_e32 v22, v3, v22
	v_add_f32_e32 v10, v17, v10
	v_bfe_u32 v24, v22, 16, 1
	v_or_b32_e32 v26, 0x400000, v22
	v_cmp_u_f32_e32 vcc_lo, v22, v22
	v_add3_u32 v24, v24, v22, 0x7fff
	v_cndmask_b32_e32 v22, v24, v26, vcc_lo
	v_lshlrev_b32_e32 v24, 16, v113
	v_and_b32_e32 v22, 0xffff0000, v22
	v_mul_f32_e32 v24, v7, v24
	v_bfe_u32 v26, v24, 16, 1
	v_or_b32_e32 v27, 0x400000, v24
	v_cmp_u_f32_e32 vcc_lo, v24, v24
	v_add3_u32 v26, v26, v24, 0x7fff
	v_cndmask_b32_e32 v24, v26, v27, vcc_lo
	v_bfe_u32 v26, v5, 16, 1
	v_or_b32_e32 v27, 0x400000, v5
	v_cmp_u_f32_e32 vcc_lo, v5, v5
	v_and_b32_e32 v17, 0xffff0000, v24
	v_add3_u32 v26, v26, v5, 0x7fff
	v_add_f32_e32 v17, v17, v22
	v_cndmask_b32_e32 v5, v26, v27, vcc_lo
	v_bfe_u32 v26, v4, 16, 1
	v_or_b32_e32 v27, 0x400000, v4
	v_cmp_u_f32_e32 vcc_lo, v4, v4
	v_add_f32_e32 v10, v10, v17
	v_and_b32_e32 v5, 0xffff0000, v5
	v_add3_u32 v26, v26, v4, 0x7fff
	v_cndmask_b32_e32 v4, v26, v27, vcc_lo
	v_lshlrev_b32_e32 v26, 16, v32
	v_and_b32_e32 v4, 0xffff0000, v4
	v_mul_f32_e32 v26, v0, v26
	v_add_f32_e32 v4, v4, v5
	v_bfe_u32 v27, v26, 16, 1
	v_or_b32_e32 v32, 0x400000, v26
	v_cmp_u_f32_e32 vcc_lo, v26, v26
	v_add_f32_e32 v4, v10, v4
	v_add3_u32 v27, v27, v26, 0x7fff
	v_cndmask_b32_e32 v26, v27, v32, vcc_lo
	v_bfe_u32 v27, v11, 16, 1
	v_or_b32_e32 v32, 0x400000, v11
	v_cmp_u_f32_e32 vcc_lo, v11, v11
	v_and_b32_e32 v10, 0xffff0000, v26
	v_add3_u32 v27, v27, v11, 0x7fff
	v_cndmask_b32_e32 v11, v27, v32, vcc_lo
	v_and_b32_e32 v5, 0xffff0000, v11
	v_add_f32_e32 v5, v5, v10
	v_add_f32_e32 v4, v4, v5
	buffer_load_dword v5, off, s[0:3], s32 offset:880 ; 4-byte Folded Reload
	s_waitcnt vmcnt(0)
	v_add_f32_e32 v5, v5, v4
	v_lshlrev_b32_e32 v4, 16, v126
	buffer_store_dword v5, off, s[0:3], s32 offset:880 ; 4-byte Folded Spill
	v_mul_f32_e32 v4, v8, v4
	v_bfe_u32 v5, v4, 16, 1
	v_or_b32_e32 v10, 0x400000, v4
	v_cmp_u_f32_e32 vcc_lo, v4, v4
	v_add3_u32 v5, v5, v4, 0x7fff
	v_cndmask_b32_e32 v4, v5, v10, vcc_lo
	v_lshlrev_b32_e32 v5, 16, v127
	v_and_b32_e32 v4, 0xffff0000, v4
	v_mul_f32_e32 v5, v9, v5
	v_bfe_u32 v10, v5, 16, 1
	v_or_b32_e32 v11, 0x400000, v5
	v_cmp_u_f32_e32 vcc_lo, v5, v5
	v_add3_u32 v10, v10, v5, 0x7fff
	v_cndmask_b32_e32 v5, v10, v11, vcc_lo
	v_lshlrev_b32_e32 v10, 16, v123
	v_and_b32_e32 v5, 0xffff0000, v5
	v_mul_f32_e32 v10, v3, v10
	v_add_f32_e32 v4, v5, v4
	v_bfe_u32 v11, v10, 16, 1
	v_or_b32_e32 v17, 0x400000, v10
	v_cmp_u_f32_e32 vcc_lo, v10, v10
	v_add3_u32 v11, v11, v10, 0x7fff
	v_cndmask_b32_e32 v10, v11, v17, vcc_lo
	v_lshlrev_b32_e32 v11, 16, v124
	v_and_b32_e32 v10, 0xffff0000, v10
	v_mul_f32_e32 v11, v7, v11
	v_bfe_u32 v17, v11, 16, 1
	v_or_b32_e32 v22, 0x400000, v11
	v_cmp_u_f32_e32 vcc_lo, v11, v11
	v_add3_u32 v17, v17, v11, 0x7fff
	v_cndmask_b32_e32 v11, v17, v22, vcc_lo
	v_lshlrev_b32_e32 v17, 16, v121
	v_and_b32_e32 v5, 0xffff0000, v11
	v_mul_f32_e32 v17, v1, v17
	v_add_f32_e32 v5, v5, v10
	v_bfe_u32 v22, v17, 16, 1
	v_or_b32_e32 v24, 0x400000, v17
	v_cmp_u_f32_e32 vcc_lo, v17, v17
	v_add_f32_e32 v4, v4, v5
	v_add3_u32 v22, v22, v17, 0x7fff
	v_cndmask_b32_e32 v17, v22, v24, vcc_lo
	v_lshlrev_b32_e32 v22, 16, v122
	v_and_b32_e32 v10, 0xffff0000, v17
	v_mul_f32_e32 v22, v6, v22
	v_bfe_u32 v24, v22, 16, 1
	v_or_b32_e32 v26, 0x400000, v22
	v_cmp_u_f32_e32 vcc_lo, v22, v22
	v_add3_u32 v24, v24, v22, 0x7fff
	v_cndmask_b32_e32 v22, v24, v26, vcc_lo
	v_lshlrev_b32_e32 v24, 16, v38
	v_and_b32_e32 v5, 0xffff0000, v22
	v_mul_f32_e32 v24, v0, v24
	v_add_f32_e32 v5, v5, v10
	v_bfe_u32 v26, v24, 16, 1
	v_or_b32_e32 v27, 0x400000, v24
	v_cmp_u_f32_e32 vcc_lo, v24, v24
	v_add_f32_e32 v4, v4, v5
	v_add3_u32 v26, v26, v24, 0x7fff
	v_cndmask_b32_e32 v24, v26, v27, vcc_lo
	v_lshlrev_b32_e32 v26, 16, v125
	v_and_b32_e32 v10, 0xffff0000, v24
	v_mul_f32_e32 v26, v2, v26
	v_bfe_u32 v27, v26, 16, 1
	v_or_b32_e32 v32, 0x400000, v26
	v_cmp_u_f32_e32 vcc_lo, v26, v26
	v_add3_u32 v27, v27, v26, 0x7fff
	v_cndmask_b32_e32 v26, v27, v32, vcc_lo
	v_and_b32_e32 v5, 0xffff0000, v26
	v_add_f32_e32 v5, v5, v10
	v_add_f32_e32 v4, v4, v5
	buffer_load_dword v5, off, s[0:3], s32 offset:884 ; 4-byte Folded Reload
	s_waitcnt vmcnt(0)
	v_add_f32_e32 v5, v5, v4
	v_lshlrev_b32_e32 v4, 16, v110
	buffer_store_dword v5, off, s[0:3], s32 offset:884 ; 4-byte Folded Spill
	v_mul_f32_e32 v4, v8, v4
	v_bfe_u32 v5, v4, 16, 1
	v_or_b32_e32 v10, 0x400000, v4
	v_cmp_u_f32_e32 vcc_lo, v4, v4
	v_add3_u32 v5, v5, v4, 0x7fff
	v_cndmask_b32_e32 v4, v5, v10, vcc_lo
	v_lshlrev_b32_e32 v5, 16, v111
	v_and_b32_e32 v4, 0xffff0000, v4
	v_mul_f32_e32 v5, v9, v5
	v_bfe_u32 v10, v5, 16, 1
	v_or_b32_e32 v11, 0x400000, v5
	v_cmp_u_f32_e32 vcc_lo, v5, v5
	v_add3_u32 v10, v10, v5, 0x7fff
	v_cndmask_b32_e32 v5, v10, v11, vcc_lo
	v_lshlrev_b32_e32 v10, 16, v107
	v_and_b32_e32 v5, 0xffff0000, v5
	v_mul_f32_e32 v10, v3, v10
	v_add_f32_e32 v4, v5, v4
	v_bfe_u32 v11, v10, 16, 1
	v_or_b32_e32 v17, 0x400000, v10
	v_cmp_u_f32_e32 vcc_lo, v10, v10
	v_add3_u32 v11, v11, v10, 0x7fff
	v_cndmask_b32_e32 v10, v11, v17, vcc_lo
	v_lshlrev_b32_e32 v11, 16, v108
	v_and_b32_e32 v10, 0xffff0000, v10
	v_mul_f32_e32 v11, v7, v11
	v_bfe_u32 v17, v11, 16, 1
	v_or_b32_e32 v22, 0x400000, v11
	v_cmp_u_f32_e32 vcc_lo, v11, v11
	v_add3_u32 v17, v17, v11, 0x7fff
	v_cndmask_b32_e32 v11, v17, v22, vcc_lo
	v_lshlrev_b32_e32 v17, 16, v105
	v_and_b32_e32 v5, 0xffff0000, v11
	v_mul_f32_e32 v17, v1, v17
	v_add_f32_e32 v5, v5, v10
	v_bfe_u32 v22, v17, 16, 1
	v_or_b32_e32 v24, 0x400000, v17
	v_cmp_u_f32_e32 vcc_lo, v17, v17
	v_add_f32_e32 v4, v4, v5
	v_add3_u32 v22, v22, v17, 0x7fff
	v_cndmask_b32_e32 v17, v22, v24, vcc_lo
	v_lshlrev_b32_e32 v22, 16, v106
	v_and_b32_e32 v10, 0xffff0000, v17
	v_mul_f32_e32 v22, v6, v22
	v_bfe_u32 v24, v22, 16, 1
	v_or_b32_e32 v26, 0x400000, v22
	v_cmp_u_f32_e32 vcc_lo, v22, v22
	v_add3_u32 v24, v24, v22, 0x7fff
	v_cndmask_b32_e32 v22, v24, v26, vcc_lo
	v_lshlrev_b32_e32 v24, 16, v120
	v_and_b32_e32 v5, 0xffff0000, v22
	v_mul_f32_e32 v24, v0, v24
	v_add_f32_e32 v5, v5, v10
	v_bfe_u32 v26, v24, 16, 1
	v_or_b32_e32 v27, 0x400000, v24
	v_cmp_u_f32_e32 vcc_lo, v24, v24
	v_add_f32_e32 v4, v4, v5
	v_add3_u32 v26, v26, v24, 0x7fff
	v_cndmask_b32_e32 v24, v26, v27, vcc_lo
	v_lshlrev_b32_e32 v26, 16, v109
	v_and_b32_e32 v10, 0xffff0000, v24
	v_mul_f32_e32 v26, v2, v26
	v_bfe_u32 v27, v26, 16, 1
	v_or_b32_e32 v32, 0x400000, v26
	v_cmp_u_f32_e32 vcc_lo, v26, v26
	v_add3_u32 v27, v27, v26, 0x7fff
	v_cndmask_b32_e32 v26, v27, v32, vcc_lo
	v_and_b32_e32 v5, 0xffff0000, v26
	v_add_f32_e32 v5, v5, v10
	v_add_f32_e32 v4, v4, v5
	buffer_load_dword v5, off, s[0:3], s32 offset:888 ; 4-byte Folded Reload
	s_waitcnt vmcnt(0)
	v_add_f32_e32 v5, v5, v4
	v_lshlrev_b32_e32 v4, 16, v94
	buffer_store_dword v5, off, s[0:3], s32 offset:888 ; 4-byte Folded Spill
	v_mul_f32_e32 v4, v8, v4
	v_bfe_u32 v5, v4, 16, 1
	v_or_b32_e32 v10, 0x400000, v4
	v_cmp_u_f32_e32 vcc_lo, v4, v4
	v_add3_u32 v5, v5, v4, 0x7fff
	v_cndmask_b32_e32 v4, v5, v10, vcc_lo
	v_lshlrev_b32_e32 v5, 16, v95
	v_and_b32_e32 v4, 0xffff0000, v4
	v_mul_f32_e32 v5, v9, v5
	v_bfe_u32 v10, v5, 16, 1
	v_or_b32_e32 v11, 0x400000, v5
	v_cmp_u_f32_e32 vcc_lo, v5, v5
	v_add3_u32 v10, v10, v5, 0x7fff
	v_cndmask_b32_e32 v5, v10, v11, vcc_lo
	v_lshlrev_b32_e32 v10, 16, v91
	v_and_b32_e32 v5, 0xffff0000, v5
	v_mul_f32_e32 v10, v3, v10
	v_add_f32_e32 v4, v5, v4
	v_bfe_u32 v11, v10, 16, 1
	v_or_b32_e32 v17, 0x400000, v10
	v_cmp_u_f32_e32 vcc_lo, v10, v10
	v_add3_u32 v11, v11, v10, 0x7fff
	v_cndmask_b32_e32 v10, v11, v17, vcc_lo
	v_lshlrev_b32_e32 v11, 16, v92
	v_and_b32_e32 v10, 0xffff0000, v10
	v_mul_f32_e32 v11, v7, v11
	v_bfe_u32 v17, v11, 16, 1
	v_or_b32_e32 v22, 0x400000, v11
	v_cmp_u_f32_e32 vcc_lo, v11, v11
	v_add3_u32 v17, v17, v11, 0x7fff
	v_cndmask_b32_e32 v11, v17, v22, vcc_lo
	v_lshlrev_b32_e32 v17, 16, v89
	v_and_b32_e32 v5, 0xffff0000, v11
	v_mul_f32_e32 v17, v1, v17
	v_add_f32_e32 v5, v5, v10
	v_bfe_u32 v22, v17, 16, 1
	v_or_b32_e32 v24, 0x400000, v17
	v_cmp_u_f32_e32 vcc_lo, v17, v17
	v_add_f32_e32 v4, v4, v5
	v_add3_u32 v22, v22, v17, 0x7fff
	v_cndmask_b32_e32 v17, v22, v24, vcc_lo
	v_lshlrev_b32_e32 v22, 16, v90
	v_and_b32_e32 v10, 0xffff0000, v17
	v_mul_f32_e32 v22, v6, v22
	v_bfe_u32 v24, v22, 16, 1
	v_or_b32_e32 v26, 0x400000, v22
	v_cmp_u_f32_e32 vcc_lo, v22, v22
	v_add3_u32 v24, v24, v22, 0x7fff
	v_cndmask_b32_e32 v22, v24, v26, vcc_lo
	v_lshlrev_b32_e32 v24, 16, v104
	v_and_b32_e32 v5, 0xffff0000, v22
	v_mul_f32_e32 v24, v0, v24
	v_add_f32_e32 v5, v5, v10
	v_bfe_u32 v26, v24, 16, 1
	v_or_b32_e32 v27, 0x400000, v24
	v_cmp_u_f32_e32 vcc_lo, v24, v24
	v_add_f32_e32 v4, v4, v5
	v_add3_u32 v26, v26, v24, 0x7fff
	v_cndmask_b32_e32 v24, v26, v27, vcc_lo
	v_lshlrev_b32_e32 v26, 16, v93
	v_and_b32_e32 v10, 0xffff0000, v24
	v_mul_f32_e32 v26, v2, v26
	v_bfe_u32 v27, v26, 16, 1
	v_or_b32_e32 v32, 0x400000, v26
	v_cmp_u_f32_e32 vcc_lo, v26, v26
	v_add3_u32 v27, v27, v26, 0x7fff
	v_cndmask_b32_e32 v26, v27, v32, vcc_lo
	v_and_b32_e32 v5, 0xffff0000, v26
	v_add_f32_e32 v5, v5, v10
	v_add_f32_e32 v4, v4, v5
	buffer_load_dword v5, off, s[0:3], s32 offset:892 ; 4-byte Folded Reload
	s_waitcnt vmcnt(0)
	v_add_f32_e32 v5, v5, v4
	v_lshlrev_b32_e32 v4, 16, v78
	buffer_store_dword v5, off, s[0:3], s32 offset:892 ; 4-byte Folded Spill
	v_mul_f32_e32 v4, v8, v4
	v_bfe_u32 v5, v4, 16, 1
	v_or_b32_e32 v10, 0x400000, v4
	v_cmp_u_f32_e32 vcc_lo, v4, v4
	v_add3_u32 v5, v5, v4, 0x7fff
	v_cndmask_b32_e32 v4, v5, v10, vcc_lo
	v_lshlrev_b32_e32 v5, 16, v79
	v_and_b32_e32 v4, 0xffff0000, v4
	v_mul_f32_e32 v5, v9, v5
	v_bfe_u32 v10, v5, 16, 1
	v_or_b32_e32 v11, 0x400000, v5
	v_cmp_u_f32_e32 vcc_lo, v5, v5
	v_add3_u32 v10, v10, v5, 0x7fff
	v_cndmask_b32_e32 v5, v10, v11, vcc_lo
	v_lshlrev_b32_e32 v10, 16, v75
	v_and_b32_e32 v5, 0xffff0000, v5
	v_mul_f32_e32 v10, v3, v10
	v_add_f32_e32 v4, v5, v4
	v_bfe_u32 v11, v10, 16, 1
	v_or_b32_e32 v17, 0x400000, v10
	v_cmp_u_f32_e32 vcc_lo, v10, v10
	v_add3_u32 v11, v11, v10, 0x7fff
	v_cndmask_b32_e32 v10, v11, v17, vcc_lo
	v_lshlrev_b32_e32 v11, 16, v76
	v_and_b32_e32 v10, 0xffff0000, v10
	v_mul_f32_e32 v11, v7, v11
	v_bfe_u32 v17, v11, 16, 1
	v_or_b32_e32 v22, 0x400000, v11
	v_cmp_u_f32_e32 vcc_lo, v11, v11
	v_add3_u32 v17, v17, v11, 0x7fff
	v_cndmask_b32_e32 v11, v17, v22, vcc_lo
	v_lshlrev_b32_e32 v17, 16, v73
	v_and_b32_e32 v5, 0xffff0000, v11
	v_mul_f32_e32 v17, v1, v17
	v_add_f32_e32 v5, v5, v10
	v_bfe_u32 v22, v17, 16, 1
	v_or_b32_e32 v24, 0x400000, v17
	v_cmp_u_f32_e32 vcc_lo, v17, v17
	v_add_f32_e32 v4, v4, v5
	v_add3_u32 v22, v22, v17, 0x7fff
	v_cndmask_b32_e32 v17, v22, v24, vcc_lo
	v_lshlrev_b32_e32 v22, 16, v74
	v_and_b32_e32 v10, 0xffff0000, v17
	v_mul_f32_e32 v22, v6, v22
	v_bfe_u32 v24, v22, 16, 1
	v_or_b32_e32 v26, 0x400000, v22
	v_cmp_u_f32_e32 vcc_lo, v22, v22
	v_add3_u32 v24, v24, v22, 0x7fff
	v_cndmask_b32_e32 v22, v24, v26, vcc_lo
	v_lshlrev_b32_e32 v24, 16, v88
	v_and_b32_e32 v5, 0xffff0000, v22
	v_mul_f32_e32 v24, v0, v24
	v_add_f32_e32 v5, v5, v10
	v_bfe_u32 v26, v24, 16, 1
	v_or_b32_e32 v27, 0x400000, v24
	v_cmp_u_f32_e32 vcc_lo, v24, v24
	v_add_f32_e32 v4, v4, v5
	v_add3_u32 v26, v26, v24, 0x7fff
	v_cndmask_b32_e32 v24, v26, v27, vcc_lo
	v_lshlrev_b32_e32 v26, 16, v77
	v_and_b32_e32 v10, 0xffff0000, v24
	v_mul_f32_e32 v26, v2, v26
	v_bfe_u32 v27, v26, 16, 1
	v_or_b32_e32 v32, 0x400000, v26
	v_cmp_u_f32_e32 vcc_lo, v26, v26
	v_add3_u32 v27, v27, v26, 0x7fff
	v_cndmask_b32_e32 v26, v27, v32, vcc_lo
	v_and_b32_e32 v5, 0xffff0000, v26
	v_add_f32_e32 v5, v5, v10
	v_add_f32_e32 v4, v4, v5
	buffer_load_dword v5, off, s[0:3], s32 offset:896 ; 4-byte Folded Reload
	s_waitcnt vmcnt(0)
	v_add_f32_e32 v5, v5, v4
	v_lshlrev_b32_e32 v4, 16, v62
	buffer_store_dword v5, off, s[0:3], s32 offset:896 ; 4-byte Folded Spill
	v_mul_f32_e32 v4, v8, v4
	v_bfe_u32 v5, v4, 16, 1
	v_or_b32_e32 v10, 0x400000, v4
	v_cmp_u_f32_e32 vcc_lo, v4, v4
	v_add3_u32 v5, v5, v4, 0x7fff
	v_cndmask_b32_e32 v4, v5, v10, vcc_lo
	v_lshlrev_b32_e32 v5, 16, v63
	v_and_b32_e32 v4, 0xffff0000, v4
	v_mul_f32_e32 v5, v9, v5
	v_bfe_u32 v10, v5, 16, 1
	v_or_b32_e32 v11, 0x400000, v5
	v_cmp_u_f32_e32 vcc_lo, v5, v5
	v_add3_u32 v10, v10, v5, 0x7fff
	v_cndmask_b32_e32 v5, v10, v11, vcc_lo
	v_lshlrev_b32_e32 v10, 16, v59
	v_and_b32_e32 v5, 0xffff0000, v5
	v_mul_f32_e32 v10, v3, v10
	v_add_f32_e32 v4, v5, v4
	v_bfe_u32 v11, v10, 16, 1
	v_or_b32_e32 v17, 0x400000, v10
	v_cmp_u_f32_e32 vcc_lo, v10, v10
	v_add3_u32 v11, v11, v10, 0x7fff
	v_cndmask_b32_e32 v10, v11, v17, vcc_lo
	v_lshlrev_b32_e32 v11, 16, v60
	v_and_b32_e32 v10, 0xffff0000, v10
	v_mul_f32_e32 v11, v7, v11
	v_bfe_u32 v17, v11, 16, 1
	v_or_b32_e32 v22, 0x400000, v11
	v_cmp_u_f32_e32 vcc_lo, v11, v11
	v_add3_u32 v17, v17, v11, 0x7fff
	v_cndmask_b32_e32 v11, v17, v22, vcc_lo
	v_lshlrev_b32_e32 v17, 16, v57
	v_and_b32_e32 v5, 0xffff0000, v11
	v_mul_f32_e32 v17, v1, v17
	v_add_f32_e32 v5, v5, v10
	v_bfe_u32 v22, v17, 16, 1
	v_or_b32_e32 v24, 0x400000, v17
	v_cmp_u_f32_e32 vcc_lo, v17, v17
	v_add_f32_e32 v4, v4, v5
	v_add3_u32 v22, v22, v17, 0x7fff
	v_cndmask_b32_e32 v17, v22, v24, vcc_lo
	v_lshlrev_b32_e32 v22, 16, v58
	v_and_b32_e32 v10, 0xffff0000, v17
	v_mul_f32_e32 v22, v6, v22
	v_bfe_u32 v24, v22, 16, 1
	v_or_b32_e32 v26, 0x400000, v22
	v_cmp_u_f32_e32 vcc_lo, v22, v22
	v_add3_u32 v24, v24, v22, 0x7fff
	v_cndmask_b32_e32 v22, v24, v26, vcc_lo
	v_lshlrev_b32_e32 v24, 16, v72
	v_and_b32_e32 v5, 0xffff0000, v22
	v_mul_f32_e32 v24, v0, v24
	v_add_f32_e32 v5, v5, v10
	v_bfe_u32 v26, v24, 16, 1
	v_or_b32_e32 v27, 0x400000, v24
	v_cmp_u_f32_e32 vcc_lo, v24, v24
	v_add_f32_e32 v4, v4, v5
	v_add3_u32 v26, v26, v24, 0x7fff
	v_cndmask_b32_e32 v24, v26, v27, vcc_lo
	v_lshlrev_b32_e32 v26, 16, v61
	v_and_b32_e32 v10, 0xffff0000, v24
	v_mul_f32_e32 v26, v2, v26
	v_bfe_u32 v27, v26, 16, 1
	v_or_b32_e32 v32, 0x400000, v26
	v_cmp_u_f32_e32 vcc_lo, v26, v26
	v_add3_u32 v27, v27, v26, 0x7fff
	v_cndmask_b32_e32 v26, v27, v32, vcc_lo
	v_and_b32_e32 v5, 0xffff0000, v26
	v_add_f32_e32 v5, v5, v10
	v_add_f32_e32 v4, v4, v5
	buffer_load_dword v5, off, s[0:3], s32 offset:900 ; 4-byte Folded Reload
	s_waitcnt vmcnt(0)
	v_add_f32_e32 v5, v5, v4
	v_lshlrev_b32_e32 v4, 16, v46
	buffer_store_dword v5, off, s[0:3], s32 offset:900 ; 4-byte Folded Spill
	v_mul_f32_e32 v4, v8, v4
	v_bfe_u32 v5, v4, 16, 1
	v_or_b32_e32 v10, 0x400000, v4
	v_cmp_u_f32_e32 vcc_lo, v4, v4
	v_add3_u32 v5, v5, v4, 0x7fff
	v_cndmask_b32_e32 v4, v5, v10, vcc_lo
	v_lshlrev_b32_e32 v5, 16, v47
	v_and_b32_e32 v4, 0xffff0000, v4
	v_mul_f32_e32 v5, v9, v5
	v_bfe_u32 v10, v5, 16, 1
	v_or_b32_e32 v11, 0x400000, v5
	v_cmp_u_f32_e32 vcc_lo, v5, v5
	v_add3_u32 v10, v10, v5, 0x7fff
	v_cndmask_b32_e32 v5, v10, v11, vcc_lo
	v_lshlrev_b32_e32 v10, 16, v51
	v_and_b32_e32 v5, 0xffff0000, v5
	v_mul_f32_e32 v10, v3, v10
	v_add_f32_e32 v4, v5, v4
	v_bfe_u32 v11, v10, 16, 1
	v_or_b32_e32 v17, 0x400000, v10
	v_cmp_u_f32_e32 vcc_lo, v10, v10
	v_add3_u32 v11, v11, v10, 0x7fff
	v_cndmask_b32_e32 v10, v11, v17, vcc_lo
	v_lshlrev_b32_e32 v11, 16, v52
	v_and_b32_e32 v10, 0xffff0000, v10
	v_mul_f32_e32 v11, v7, v11
	v_bfe_u32 v17, v11, 16, 1
	v_or_b32_e32 v22, 0x400000, v11
	v_cmp_u_f32_e32 vcc_lo, v11, v11
	v_add3_u32 v17, v17, v11, 0x7fff
	v_cndmask_b32_e32 v11, v17, v22, vcc_lo
	v_lshlrev_b32_e32 v17, 16, v28
	v_and_b32_e32 v5, 0xffff0000, v11
	v_mul_f32_e32 v17, v1, v17
	v_add_f32_e32 v5, v5, v10
	v_bfe_u32 v22, v17, 16, 1
	v_or_b32_e32 v24, 0x400000, v17
	v_cmp_u_f32_e32 vcc_lo, v17, v17
	v_add_f32_e32 v4, v4, v5
	v_add3_u32 v22, v22, v17, 0x7fff
	v_cndmask_b32_e32 v17, v22, v24, vcc_lo
	v_lshlrev_b32_e32 v22, 16, v29
	v_and_b32_e32 v10, 0xffff0000, v17
	v_mul_f32_e32 v22, v6, v22
	v_bfe_u32 v24, v22, 16, 1
	v_or_b32_e32 v26, 0x400000, v22
	v_cmp_u_f32_e32 vcc_lo, v22, v22
	v_add3_u32 v24, v24, v22, 0x7fff
	v_cndmask_b32_e32 v22, v24, v26, vcc_lo
	v_lshlrev_b32_e32 v24, 16, v56
	v_and_b32_e32 v5, 0xffff0000, v22
	v_mul_f32_e32 v24, v0, v24
	v_add_f32_e32 v5, v5, v10
	v_bfe_u32 v26, v24, 16, 1
	v_or_b32_e32 v27, 0x400000, v24
	v_cmp_u_f32_e32 vcc_lo, v24, v24
	v_add_f32_e32 v4, v4, v5
	v_add3_u32 v26, v26, v24, 0x7fff
	v_cndmask_b32_e32 v24, v26, v27, vcc_lo
	v_lshlrev_b32_e32 v26, 16, v45
	v_and_b32_e32 v10, 0xffff0000, v24
	v_mul_f32_e32 v26, v2, v26
	v_bfe_u32 v27, v26, 16, 1
	v_or_b32_e32 v28, 0x400000, v26
	v_cmp_u_f32_e32 vcc_lo, v26, v26
	v_add3_u32 v27, v27, v26, 0x7fff
	v_cndmask_b32_e32 v26, v27, v28, vcc_lo
	v_and_b32_e32 v5, 0xffff0000, v26
	v_add_f32_e32 v5, v5, v10
	v_add_f32_e32 v4, v4, v5
	buffer_load_dword v5, off, s[0:3], s32 offset:904 ; 4-byte Folded Reload
	s_waitcnt vmcnt(0)
	v_add_f32_e32 v5, v5, v4
	v_lshlrev_b32_e32 v4, 16, v16
	buffer_store_dword v5, off, s[0:3], s32 offset:904 ; 4-byte Folded Spill
	v_mul_f32_e32 v4, v8, v4
	v_bfe_u32 v5, v4, 16, 1
	v_or_b32_e32 v10, 0x400000, v4
	v_cmp_u_f32_e32 vcc_lo, v4, v4
	v_add3_u32 v5, v5, v4, 0x7fff
	v_cndmask_b32_e32 v4, v5, v10, vcc_lo
	v_lshlrev_b32_e32 v5, 16, v53
	v_and_b32_e32 v4, 0xffff0000, v4
	v_mul_f32_e32 v5, v9, v5
	v_bfe_u32 v10, v5, 16, 1
	v_or_b32_e32 v11, 0x400000, v5
	v_cmp_u_f32_e32 vcc_lo, v5, v5
	v_add3_u32 v10, v10, v5, 0x7fff
	v_cndmask_b32_e32 v5, v10, v11, vcc_lo
	v_lshlrev_b32_e32 v10, 16, v102
	v_and_b32_e32 v5, 0xffff0000, v5
	v_mul_f32_e32 v10, v3, v10
	v_add_f32_e32 v4, v5, v4
	v_bfe_u32 v11, v10, 16, 1
	v_or_b32_e32 v16, 0x400000, v10
	v_cmp_u_f32_e32 vcc_lo, v10, v10
	v_add3_u32 v11, v11, v10, 0x7fff
	v_cndmask_b32_e32 v10, v11, v16, vcc_lo
	v_lshlrev_b32_e32 v11, 16, v103
	v_and_b32_e32 v10, 0xffff0000, v10
	v_mul_f32_e32 v11, v7, v11
	v_bfe_u32 v16, v11, 16, 1
	v_or_b32_e32 v17, 0x400000, v11
	v_cmp_u_f32_e32 vcc_lo, v11, v11
	v_add3_u32 v16, v16, v11, 0x7fff
	v_cndmask_b32_e32 v11, v16, v17, vcc_lo
	v_lshlrev_b32_e32 v16, 16, v25
	v_and_b32_e32 v5, 0xffff0000, v11
	v_mul_f32_e32 v16, v1, v16
	v_add_f32_e32 v5, v5, v10
	v_bfe_u32 v17, v16, 16, 1
	v_or_b32_e32 v22, 0x400000, v16
	v_cmp_u_f32_e32 vcc_lo, v16, v16
	v_add_f32_e32 v4, v4, v5
	v_add3_u32 v17, v17, v16, 0x7fff
	v_cndmask_b32_e32 v16, v17, v22, vcc_lo
	v_lshlrev_b32_e32 v17, 16, v31
	v_and_b32_e32 v10, 0xffff0000, v16
	v_mul_f32_e32 v17, v6, v17
	v_bfe_u32 v22, v17, 16, 1
	v_or_b32_e32 v24, 0x400000, v17
	v_cmp_u_f32_e32 vcc_lo, v17, v17
	v_add3_u32 v22, v22, v17, 0x7fff
	v_cndmask_b32_e32 v17, v22, v24, vcc_lo
	v_lshlrev_b32_e32 v22, 16, v50
	v_and_b32_e32 v5, 0xffff0000, v17
	v_mul_f32_e32 v22, v0, v22
	v_add_f32_e32 v5, v5, v10
	v_bfe_u32 v24, v22, 16, 1
	v_or_b32_e32 v25, 0x400000, v22
	v_cmp_u_f32_e32 vcc_lo, v22, v22
	v_add_f32_e32 v4, v4, v5
	v_add3_u32 v24, v24, v22, 0x7fff
	v_cndmask_b32_e32 v22, v24, v25, vcc_lo
	v_lshlrev_b32_e32 v24, 16, v112
	v_and_b32_e32 v10, 0xffff0000, v22
	v_mul_f32_e32 v24, v2, v24
	v_bfe_u32 v25, v24, 16, 1
	v_or_b32_e32 v26, 0x400000, v24
	v_cmp_u_f32_e32 vcc_lo, v24, v24
	v_add3_u32 v25, v25, v24, 0x7fff
	v_cndmask_b32_e32 v24, v25, v26, vcc_lo
	v_and_b32_e32 v5, 0xffff0000, v24
	v_add_f32_e32 v5, v5, v10
	v_add_f32_e32 v4, v4, v5
	buffer_load_dword v5, off, s[0:3], s32 offset:908 ; 4-byte Folded Reload
	s_waitcnt vmcnt(0)
	v_add_f32_e32 v5, v5, v4
	v_lshlrev_b32_e32 v4, 16, v99
	buffer_store_dword v5, off, s[0:3], s32 offset:908 ; 4-byte Folded Spill
	v_mul_f32_e32 v4, v8, v4
	v_bfe_u32 v5, v4, 16, 1
	v_or_b32_e32 v10, 0x400000, v4
	v_cmp_u_f32_e32 vcc_lo, v4, v4
	v_add3_u32 v5, v5, v4, 0x7fff
	v_cndmask_b32_e32 v4, v5, v10, vcc_lo
	v_lshlrev_b32_e32 v5, 16, v100
	v_and_b32_e32 v4, 0xffff0000, v4
	v_mul_f32_e32 v5, v9, v5
	v_bfe_u32 v10, v5, 16, 1
	v_or_b32_e32 v11, 0x400000, v5
	v_cmp_u_f32_e32 vcc_lo, v5, v5
	v_add3_u32 v10, v10, v5, 0x7fff
	v_cndmask_b32_e32 v5, v10, v11, vcc_lo
	v_lshlrev_b32_e32 v10, 16, v96
	v_and_b32_e32 v5, 0xffff0000, v5
	v_mul_f32_e32 v10, v3, v10
	v_add_f32_e32 v4, v5, v4
	v_bfe_u32 v11, v10, 16, 1
	v_or_b32_e32 v16, 0x400000, v10
	v_cmp_u_f32_e32 vcc_lo, v10, v10
	v_add3_u32 v11, v11, v10, 0x7fff
	v_cndmask_b32_e32 v10, v11, v16, vcc_lo
	v_lshlrev_b32_e32 v11, 16, v97
	v_and_b32_e32 v10, 0xffff0000, v10
	v_mul_f32_e32 v11, v7, v11
	v_bfe_u32 v16, v11, 16, 1
	v_or_b32_e32 v17, 0x400000, v11
	v_cmp_u_f32_e32 vcc_lo, v11, v11
	v_add3_u32 v16, v16, v11, 0x7fff
	v_cndmask_b32_e32 v11, v16, v17, vcc_lo
	v_lshlrev_b32_e32 v16, 16, v86
	v_and_b32_e32 v5, 0xffff0000, v11
	v_mul_f32_e32 v16, v1, v16
	v_add_f32_e32 v5, v5, v10
	v_bfe_u32 v17, v16, 16, 1
	v_or_b32_e32 v22, 0x400000, v16
	v_cmp_u_f32_e32 vcc_lo, v16, v16
	v_add_f32_e32 v4, v4, v5
	v_add3_u32 v17, v17, v16, 0x7fff
	v_cndmask_b32_e32 v16, v17, v22, vcc_lo
	v_lshlrev_b32_e32 v17, 16, v87
	v_and_b32_e32 v10, 0xffff0000, v16
	v_mul_f32_e32 v17, v6, v17
	v_bfe_u32 v22, v17, 16, 1
	v_or_b32_e32 v24, 0x400000, v17
	v_cmp_u_f32_e32 vcc_lo, v17, v17
	v_add3_u32 v22, v22, v17, 0x7fff
	v_cndmask_b32_e32 v17, v22, v24, vcc_lo
	v_lshlrev_b32_e32 v22, 16, v101
	v_and_b32_e32 v5, 0xffff0000, v17
	v_mul_f32_e32 v22, v0, v22
	v_add_f32_e32 v5, v5, v10
	v_bfe_u32 v24, v22, 16, 1
	v_or_b32_e32 v25, 0x400000, v22
	v_cmp_u_f32_e32 vcc_lo, v22, v22
	v_add_f32_e32 v4, v4, v5
	v_add3_u32 v24, v24, v22, 0x7fff
	v_cndmask_b32_e32 v22, v24, v25, vcc_lo
	v_lshlrev_b32_e32 v24, 16, v98
	v_and_b32_e32 v10, 0xffff0000, v22
	v_mul_f32_e32 v24, v2, v24
	v_bfe_u32 v25, v24, 16, 1
	v_or_b32_e32 v26, 0x400000, v24
	v_cmp_u_f32_e32 vcc_lo, v24, v24
	v_add3_u32 v25, v25, v24, 0x7fff
	v_cndmask_b32_e32 v24, v25, v26, vcc_lo
	v_and_b32_e32 v5, 0xffff0000, v24
	v_add_f32_e32 v5, v5, v10
	v_add_f32_e32 v4, v4, v5
	buffer_load_dword v5, off, s[0:3], s32 offset:912 ; 4-byte Folded Reload
	s_waitcnt vmcnt(0)
	v_add_f32_e32 v5, v5, v4
	v_lshlrev_b32_e32 v4, 16, v83
	buffer_store_dword v5, off, s[0:3], s32 offset:912 ; 4-byte Folded Spill
	v_mul_f32_e32 v4, v8, v4
	v_bfe_u32 v5, v4, 16, 1
	v_or_b32_e32 v10, 0x400000, v4
	v_cmp_u_f32_e32 vcc_lo, v4, v4
	v_add3_u32 v5, v5, v4, 0x7fff
	v_cndmask_b32_e32 v4, v5, v10, vcc_lo
	v_lshlrev_b32_e32 v5, 16, v84
	v_and_b32_e32 v4, 0xffff0000, v4
	v_mul_f32_e32 v5, v9, v5
	v_bfe_u32 v10, v5, 16, 1
	v_or_b32_e32 v11, 0x400000, v5
	v_cmp_u_f32_e32 vcc_lo, v5, v5
	v_add3_u32 v10, v10, v5, 0x7fff
	v_cndmask_b32_e32 v5, v10, v11, vcc_lo
	buffer_load_dword v10, off, s[0:3], s32 offset:856 ; 4-byte Folded Reload
	v_and_b32_e32 v5, 0xffff0000, v5
	v_add_f32_e32 v4, v5, v4
	s_waitcnt vmcnt(0)
	v_lshlrev_b32_e32 v10, 16, v10
	v_mul_f32_e32 v10, v3, v10
	v_bfe_u32 v11, v10, 16, 1
	v_or_b32_e32 v16, 0x400000, v10
	v_cmp_u_f32_e32 vcc_lo, v10, v10
	v_add3_u32 v11, v11, v10, 0x7fff
	v_cndmask_b32_e32 v10, v11, v16, vcc_lo
	buffer_load_dword v11, off, s[0:3], s32 offset:860 ; 4-byte Folded Reload
	v_and_b32_e32 v10, 0xffff0000, v10
	s_waitcnt vmcnt(0)
	v_lshlrev_b32_e32 v11, 16, v11
	v_mul_f32_e32 v11, v7, v11
	v_bfe_u32 v16, v11, 16, 1
	v_or_b32_e32 v17, 0x400000, v11
	v_cmp_u_f32_e32 vcc_lo, v11, v11
	v_add3_u32 v16, v16, v11, 0x7fff
	v_cndmask_b32_e32 v11, v16, v17, vcc_lo
	buffer_load_dword v16, off, s[0:3], s32 offset:848 ; 4-byte Folded Reload
	v_and_b32_e32 v5, 0xffff0000, v11
	v_add_f32_e32 v5, v5, v10
	v_add_f32_e32 v4, v4, v5
	s_waitcnt vmcnt(0)
	v_lshlrev_b32_e32 v16, 16, v16
	v_mul_f32_e32 v16, v1, v16
	v_bfe_u32 v17, v16, 16, 1
	v_or_b32_e32 v22, 0x400000, v16
	v_cmp_u_f32_e32 vcc_lo, v16, v16
	v_add3_u32 v17, v17, v16, 0x7fff
	v_cndmask_b32_e32 v16, v17, v22, vcc_lo
	buffer_load_dword v17, off, s[0:3], s32 offset:852 ; 4-byte Folded Reload
	v_and_b32_e32 v10, 0xffff0000, v16
	s_waitcnt vmcnt(0)
	v_lshlrev_b32_e32 v17, 16, v17
	v_mul_f32_e32 v17, v6, v17
	v_bfe_u32 v22, v17, 16, 1
	v_or_b32_e32 v24, 0x400000, v17
	v_cmp_u_f32_e32 vcc_lo, v17, v17
	v_add3_u32 v22, v22, v17, 0x7fff
	v_cndmask_b32_e32 v17, v22, v24, vcc_lo
	v_lshlrev_b32_e32 v22, 16, v85
	v_and_b32_e32 v5, 0xffff0000, v17
	v_mul_f32_e32 v22, v0, v22
	v_add_f32_e32 v5, v5, v10
	v_bfe_u32 v24, v22, 16, 1
	v_or_b32_e32 v25, 0x400000, v22
	v_cmp_u_f32_e32 vcc_lo, v22, v22
	v_add_f32_e32 v4, v4, v5
	v_add3_u32 v24, v24, v22, 0x7fff
	v_cndmask_b32_e32 v22, v24, v25, vcc_lo
	buffer_load_dword v24, off, s[0:3], s32 offset:864 ; 4-byte Folded Reload
	v_and_b32_e32 v10, 0xffff0000, v22
	s_waitcnt vmcnt(0)
	v_lshlrev_b32_e32 v24, 16, v24
	v_mul_f32_e32 v24, v2, v24
	v_bfe_u32 v25, v24, 16, 1
	v_or_b32_e32 v26, 0x400000, v24
	v_cmp_u_f32_e32 vcc_lo, v24, v24
	v_add3_u32 v25, v25, v24, 0x7fff
	v_cndmask_b32_e32 v24, v25, v26, vcc_lo
	v_and_b32_e32 v5, 0xffff0000, v24
	v_add_f32_e32 v5, v5, v10
	v_add_f32_e32 v4, v4, v5
	buffer_load_dword v5, off, s[0:3], s32 offset:916 ; 4-byte Folded Reload
	s_waitcnt vmcnt(0)
	v_add_f32_e32 v5, v5, v4
	buffer_load_dword v4, off, s[0:3], s32 offset:836 ; 4-byte Folded Reload
	buffer_store_dword v5, off, s[0:3], s32 offset:916 ; 4-byte Folded Spill
	s_waitcnt vmcnt(0)
	v_lshlrev_b32_e32 v4, 16, v4
	v_mul_f32_e32 v4, v8, v4
	v_bfe_u32 v5, v4, 16, 1
	v_or_b32_e32 v10, 0x400000, v4
	v_cmp_u_f32_e32 vcc_lo, v4, v4
	v_add3_u32 v5, v5, v4, 0x7fff
	v_cndmask_b32_e32 v4, v5, v10, vcc_lo
	buffer_load_dword v5, off, s[0:3], s32 offset:840 ; 4-byte Folded Reload
	v_and_b32_e32 v4, 0xffff0000, v4
	s_waitcnt vmcnt(0)
	v_lshlrev_b32_e32 v5, 16, v5
	v_mul_f32_e32 v5, v9, v5
	v_bfe_u32 v10, v5, 16, 1
	v_or_b32_e32 v11, 0x400000, v5
	v_cmp_u_f32_e32 vcc_lo, v5, v5
	v_add3_u32 v10, v10, v5, 0x7fff
	v_cndmask_b32_e32 v5, v10, v11, vcc_lo
	buffer_load_dword v10, off, s[0:3], s32 offset:824 ; 4-byte Folded Reload
	v_and_b32_e32 v5, 0xffff0000, v5
	v_add_f32_e32 v4, v5, v4
	s_waitcnt vmcnt(0)
	v_lshlrev_b32_e32 v10, 16, v10
	v_mul_f32_e32 v10, v3, v10
	v_bfe_u32 v11, v10, 16, 1
	v_or_b32_e32 v16, 0x400000, v10
	v_cmp_u_f32_e32 vcc_lo, v10, v10
	v_add3_u32 v11, v11, v10, 0x7fff
	v_cndmask_b32_e32 v10, v11, v16, vcc_lo
	buffer_load_dword v11, off, s[0:3], s32 offset:828 ; 4-byte Folded Reload
	v_and_b32_e32 v10, 0xffff0000, v10
	s_waitcnt vmcnt(0)
	v_lshlrev_b32_e32 v11, 16, v11
	v_mul_f32_e32 v11, v7, v11
	v_bfe_u32 v16, v11, 16, 1
	v_or_b32_e32 v17, 0x400000, v11
	v_cmp_u_f32_e32 vcc_lo, v11, v11
	v_add3_u32 v16, v16, v11, 0x7fff
	v_cndmask_b32_e32 v11, v16, v17, vcc_lo
	buffer_load_dword v16, off, s[0:3], s32 offset:816 ; 4-byte Folded Reload
	v_and_b32_e32 v5, 0xffff0000, v11
	v_add_f32_e32 v5, v5, v10
	v_add_f32_e32 v4, v4, v5
	s_waitcnt vmcnt(0)
	v_lshlrev_b32_e32 v16, 16, v16
	v_mul_f32_e32 v16, v1, v16
	v_bfe_u32 v17, v16, 16, 1
	v_or_b32_e32 v22, 0x400000, v16
	v_cmp_u_f32_e32 vcc_lo, v16, v16
	v_add3_u32 v17, v17, v16, 0x7fff
	v_cndmask_b32_e32 v16, v17, v22, vcc_lo
	buffer_load_dword v17, off, s[0:3], s32 offset:820 ; 4-byte Folded Reload
	v_and_b32_e32 v10, 0xffff0000, v16
	s_waitcnt vmcnt(0)
	v_lshlrev_b32_e32 v17, 16, v17
	v_mul_f32_e32 v17, v6, v17
	v_bfe_u32 v22, v17, 16, 1
	v_or_b32_e32 v24, 0x400000, v17
	v_cmp_u_f32_e32 vcc_lo, v17, v17
	v_add3_u32 v22, v22, v17, 0x7fff
	v_cndmask_b32_e32 v17, v22, v24, vcc_lo
	buffer_load_dword v22, off, s[0:3], s32 offset:844 ; 4-byte Folded Reload
	v_and_b32_e32 v5, 0xffff0000, v17
	v_add_f32_e32 v5, v5, v10
	v_add_f32_e32 v4, v4, v5
	s_waitcnt vmcnt(0)
	v_lshlrev_b32_e32 v22, 16, v22
	v_mul_f32_e32 v22, v0, v22
	v_bfe_u32 v24, v22, 16, 1
	v_or_b32_e32 v25, 0x400000, v22
	v_cmp_u_f32_e32 vcc_lo, v22, v22
	v_add3_u32 v24, v24, v22, 0x7fff
	v_cndmask_b32_e32 v22, v24, v25, vcc_lo
	buffer_load_dword v24, off, s[0:3], s32 offset:832 ; 4-byte Folded Reload
	v_and_b32_e32 v10, 0xffff0000, v22
	s_waitcnt vmcnt(0)
	v_lshlrev_b32_e32 v24, 16, v24
	v_mul_f32_e32 v24, v2, v24
	v_bfe_u32 v25, v24, 16, 1
	v_or_b32_e32 v26, 0x400000, v24
	v_cmp_u_f32_e32 vcc_lo, v24, v24
	v_add3_u32 v25, v25, v24, 0x7fff
	v_cndmask_b32_e32 v24, v25, v26, vcc_lo
	v_and_b32_e32 v5, 0xffff0000, v24
	v_add_f32_e32 v5, v5, v10
	v_add_f32_e32 v4, v4, v5
	buffer_load_dword v5, off, s[0:3], s32 offset:920 ; 4-byte Folded Reload
	s_waitcnt vmcnt(0)
	v_add_f32_e32 v5, v5, v4
	buffer_load_dword v4, off, s[0:3], s32 offset:804 ; 4-byte Folded Reload
	buffer_store_dword v5, off, s[0:3], s32 offset:920 ; 4-byte Folded Spill
	s_waitcnt vmcnt(0)
	v_lshlrev_b32_e32 v4, 16, v4
	v_mul_f32_e32 v4, v8, v4
	v_bfe_u32 v5, v4, 16, 1
	v_or_b32_e32 v10, 0x400000, v4
	v_cmp_u_f32_e32 vcc_lo, v4, v4
	v_add3_u32 v5, v5, v4, 0x7fff
	v_cndmask_b32_e32 v4, v5, v10, vcc_lo
	buffer_load_dword v5, off, s[0:3], s32 offset:808 ; 4-byte Folded Reload
	v_and_b32_e32 v4, 0xffff0000, v4
	s_waitcnt vmcnt(0)
	v_lshlrev_b32_e32 v5, 16, v5
	v_mul_f32_e32 v5, v9, v5
	v_bfe_u32 v10, v5, 16, 1
	v_or_b32_e32 v11, 0x400000, v5
	v_cmp_u_f32_e32 vcc_lo, v5, v5
	v_add3_u32 v10, v10, v5, 0x7fff
	v_cndmask_b32_e32 v5, v10, v11, vcc_lo
	buffer_load_dword v10, off, s[0:3], s32 offset:792 ; 4-byte Folded Reload
	v_and_b32_e32 v5, 0xffff0000, v5
	v_add_f32_e32 v4, v5, v4
	s_waitcnt vmcnt(0)
	v_lshlrev_b32_e32 v10, 16, v10
	v_mul_f32_e32 v10, v3, v10
	v_bfe_u32 v11, v10, 16, 1
	v_or_b32_e32 v16, 0x400000, v10
	v_cmp_u_f32_e32 vcc_lo, v10, v10
	v_add3_u32 v11, v11, v10, 0x7fff
	v_cndmask_b32_e32 v10, v11, v16, vcc_lo
	buffer_load_dword v11, off, s[0:3], s32 offset:796 ; 4-byte Folded Reload
	v_and_b32_e32 v10, 0xffff0000, v10
	s_waitcnt vmcnt(0)
	v_lshlrev_b32_e32 v11, 16, v11
	v_mul_f32_e32 v11, v7, v11
	v_bfe_u32 v16, v11, 16, 1
	v_or_b32_e32 v17, 0x400000, v11
	v_cmp_u_f32_e32 vcc_lo, v11, v11
	v_add3_u32 v16, v16, v11, 0x7fff
	v_cndmask_b32_e32 v11, v16, v17, vcc_lo
	buffer_load_dword v16, off, s[0:3], s32 offset:784 ; 4-byte Folded Reload
	v_and_b32_e32 v5, 0xffff0000, v11
	v_add_f32_e32 v5, v5, v10
	v_add_f32_e32 v4, v4, v5
	s_waitcnt vmcnt(0)
	v_lshlrev_b32_e32 v16, 16, v16
	v_mul_f32_e32 v16, v1, v16
	v_bfe_u32 v17, v16, 16, 1
	v_or_b32_e32 v22, 0x400000, v16
	v_cmp_u_f32_e32 vcc_lo, v16, v16
	v_add3_u32 v17, v17, v16, 0x7fff
	v_cndmask_b32_e32 v16, v17, v22, vcc_lo
	buffer_load_dword v17, off, s[0:3], s32 offset:788 ; 4-byte Folded Reload
	v_and_b32_e32 v10, 0xffff0000, v16
	s_waitcnt vmcnt(0)
	v_lshlrev_b32_e32 v17, 16, v17
	v_mul_f32_e32 v17, v6, v17
	v_bfe_u32 v22, v17, 16, 1
	v_or_b32_e32 v24, 0x400000, v17
	v_cmp_u_f32_e32 vcc_lo, v17, v17
	v_add3_u32 v22, v22, v17, 0x7fff
	v_cndmask_b32_e32 v17, v22, v24, vcc_lo
	buffer_load_dword v22, off, s[0:3], s32 offset:812 ; 4-byte Folded Reload
	v_and_b32_e32 v5, 0xffff0000, v17
	v_add_f32_e32 v5, v5, v10
	v_add_f32_e32 v4, v4, v5
	s_waitcnt vmcnt(0)
	v_lshlrev_b32_e32 v22, 16, v22
	v_mul_f32_e32 v22, v0, v22
	v_bfe_u32 v24, v22, 16, 1
	v_or_b32_e32 v25, 0x400000, v22
	v_cmp_u_f32_e32 vcc_lo, v22, v22
	v_add3_u32 v24, v24, v22, 0x7fff
	v_cndmask_b32_e32 v22, v24, v25, vcc_lo
	buffer_load_dword v24, off, s[0:3], s32 offset:800 ; 4-byte Folded Reload
	v_and_b32_e32 v10, 0xffff0000, v22
	s_waitcnt vmcnt(0)
	v_lshlrev_b32_e32 v24, 16, v24
	v_mul_f32_e32 v24, v2, v24
	v_bfe_u32 v25, v24, 16, 1
	v_or_b32_e32 v26, 0x400000, v24
	v_cmp_u_f32_e32 vcc_lo, v24, v24
	v_add3_u32 v25, v25, v24, 0x7fff
	v_cndmask_b32_e32 v24, v25, v26, vcc_lo
	v_and_b32_e32 v5, 0xffff0000, v24
	v_add_f32_e32 v5, v5, v10
	v_add_f32_e32 v4, v4, v5
	buffer_load_dword v5, off, s[0:3], s32 offset:924 ; 4-byte Folded Reload
	s_waitcnt vmcnt(0)
	v_add_f32_e32 v5, v5, v4
	buffer_load_dword v4, off, s[0:3], s32 offset:772 ; 4-byte Folded Reload
	buffer_store_dword v5, off, s[0:3], s32 offset:924 ; 4-byte Folded Spill
	s_waitcnt vmcnt(0)
	v_lshlrev_b32_e32 v4, 16, v4
	v_mul_f32_e32 v4, v8, v4
	v_bfe_u32 v5, v4, 16, 1
	v_or_b32_e32 v10, 0x400000, v4
	v_cmp_u_f32_e32 vcc_lo, v4, v4
	v_add3_u32 v5, v5, v4, 0x7fff
	v_cndmask_b32_e32 v4, v5, v10, vcc_lo
	buffer_load_dword v5, off, s[0:3], s32 offset:776 ; 4-byte Folded Reload
	v_and_b32_e32 v4, 0xffff0000, v4
	s_waitcnt vmcnt(0)
	v_lshlrev_b32_e32 v5, 16, v5
	v_mul_f32_e32 v5, v9, v5
	v_bfe_u32 v10, v5, 16, 1
	v_or_b32_e32 v11, 0x400000, v5
	v_cmp_u_f32_e32 vcc_lo, v5, v5
	v_add3_u32 v10, v10, v5, 0x7fff
	v_cndmask_b32_e32 v5, v10, v11, vcc_lo
	buffer_load_dword v10, off, s[0:3], s32 offset:760 ; 4-byte Folded Reload
	v_and_b32_e32 v5, 0xffff0000, v5
	v_add_f32_e32 v4, v5, v4
	s_waitcnt vmcnt(0)
	v_lshlrev_b32_e32 v10, 16, v10
	v_mul_f32_e32 v10, v3, v10
	v_bfe_u32 v11, v10, 16, 1
	v_or_b32_e32 v16, 0x400000, v10
	v_cmp_u_f32_e32 vcc_lo, v10, v10
	v_add3_u32 v11, v11, v10, 0x7fff
	v_cndmask_b32_e32 v10, v11, v16, vcc_lo
	buffer_load_dword v11, off, s[0:3], s32 offset:764 ; 4-byte Folded Reload
	v_and_b32_e32 v10, 0xffff0000, v10
	s_waitcnt vmcnt(0)
	v_lshlrev_b32_e32 v11, 16, v11
	v_mul_f32_e32 v11, v7, v11
	v_bfe_u32 v16, v11, 16, 1
	v_or_b32_e32 v17, 0x400000, v11
	v_cmp_u_f32_e32 vcc_lo, v11, v11
	v_add3_u32 v16, v16, v11, 0x7fff
	v_cndmask_b32_e32 v11, v16, v17, vcc_lo
	buffer_load_dword v16, off, s[0:3], s32 offset:752 ; 4-byte Folded Reload
	v_and_b32_e32 v5, 0xffff0000, v11
	v_add_f32_e32 v5, v5, v10
	v_add_f32_e32 v4, v4, v5
	s_waitcnt vmcnt(0)
	v_lshlrev_b32_e32 v16, 16, v16
	v_mul_f32_e32 v16, v1, v16
	v_bfe_u32 v17, v16, 16, 1
	v_or_b32_e32 v22, 0x400000, v16
	v_cmp_u_f32_e32 vcc_lo, v16, v16
	v_add3_u32 v17, v17, v16, 0x7fff
	v_cndmask_b32_e32 v16, v17, v22, vcc_lo
	buffer_load_dword v17, off, s[0:3], s32 offset:756 ; 4-byte Folded Reload
	v_and_b32_e32 v10, 0xffff0000, v16
	s_waitcnt vmcnt(0)
	v_lshlrev_b32_e32 v17, 16, v17
	v_mul_f32_e32 v17, v6, v17
	v_bfe_u32 v22, v17, 16, 1
	v_or_b32_e32 v24, 0x400000, v17
	v_cmp_u_f32_e32 vcc_lo, v17, v17
	v_add3_u32 v22, v22, v17, 0x7fff
	v_cndmask_b32_e32 v17, v22, v24, vcc_lo
	buffer_load_dword v22, off, s[0:3], s32 offset:780 ; 4-byte Folded Reload
	v_and_b32_e32 v5, 0xffff0000, v17
	v_add_f32_e32 v5, v5, v10
	v_add_f32_e32 v4, v4, v5
	s_waitcnt vmcnt(0)
	v_lshlrev_b32_e32 v22, 16, v22
	v_mul_f32_e32 v22, v0, v22
	v_bfe_u32 v24, v22, 16, 1
	v_or_b32_e32 v25, 0x400000, v22
	v_cmp_u_f32_e32 vcc_lo, v22, v22
	v_add3_u32 v24, v24, v22, 0x7fff
	v_cndmask_b32_e32 v22, v24, v25, vcc_lo
	buffer_load_dword v24, off, s[0:3], s32 offset:768 ; 4-byte Folded Reload
	v_and_b32_e32 v10, 0xffff0000, v22
	s_waitcnt vmcnt(0)
	v_lshlrev_b32_e32 v24, 16, v24
	v_mul_f32_e32 v24, v2, v24
	v_bfe_u32 v25, v24, 16, 1
	v_or_b32_e32 v26, 0x400000, v24
	v_cmp_u_f32_e32 vcc_lo, v24, v24
	v_add3_u32 v25, v25, v24, 0x7fff
	v_cndmask_b32_e32 v24, v25, v26, vcc_lo
	v_and_b32_e32 v5, 0xffff0000, v24
	v_add_f32_e32 v5, v5, v10
	v_add_f32_e32 v4, v4, v5
	buffer_load_dword v5, off, s[0:3], s32 offset:928 ; 4-byte Folded Reload
	s_waitcnt vmcnt(0)
	v_add_f32_e32 v5, v5, v4
	buffer_load_dword v4, off, s[0:3], s32 offset:740 ; 4-byte Folded Reload
	buffer_store_dword v5, off, s[0:3], s32 offset:928 ; 4-byte Folded Spill
	s_waitcnt vmcnt(0)
	v_lshlrev_b32_e32 v4, 16, v4
	v_mul_f32_e32 v4, v8, v4
	v_bfe_u32 v5, v4, 16, 1
	v_or_b32_e32 v10, 0x400000, v4
	v_cmp_u_f32_e32 vcc_lo, v4, v4
	v_add3_u32 v5, v5, v4, 0x7fff
	v_cndmask_b32_e32 v4, v5, v10, vcc_lo
	buffer_load_dword v5, off, s[0:3], s32 offset:744 ; 4-byte Folded Reload
	v_and_b32_e32 v4, 0xffff0000, v4
	s_waitcnt vmcnt(0)
	v_lshlrev_b32_e32 v5, 16, v5
	v_mul_f32_e32 v5, v9, v5
	v_bfe_u32 v10, v5, 16, 1
	v_or_b32_e32 v11, 0x400000, v5
	v_cmp_u_f32_e32 vcc_lo, v5, v5
	v_add3_u32 v10, v10, v5, 0x7fff
	v_cndmask_b32_e32 v5, v10, v11, vcc_lo
	buffer_load_dword v10, off, s[0:3], s32 offset:728 ; 4-byte Folded Reload
	v_and_b32_e32 v5, 0xffff0000, v5
	v_add_f32_e32 v4, v5, v4
	s_waitcnt vmcnt(0)
	v_lshlrev_b32_e32 v10, 16, v10
	v_mul_f32_e32 v10, v3, v10
	v_bfe_u32 v11, v10, 16, 1
	v_or_b32_e32 v16, 0x400000, v10
	v_cmp_u_f32_e32 vcc_lo, v10, v10
	v_add3_u32 v11, v11, v10, 0x7fff
	v_cndmask_b32_e32 v10, v11, v16, vcc_lo
	buffer_load_dword v11, off, s[0:3], s32 offset:732 ; 4-byte Folded Reload
	v_and_b32_e32 v10, 0xffff0000, v10
	s_waitcnt vmcnt(0)
	v_lshlrev_b32_e32 v11, 16, v11
	v_mul_f32_e32 v11, v7, v11
	v_bfe_u32 v16, v11, 16, 1
	v_or_b32_e32 v17, 0x400000, v11
	v_cmp_u_f32_e32 vcc_lo, v11, v11
	v_add3_u32 v16, v16, v11, 0x7fff
	v_cndmask_b32_e32 v11, v16, v17, vcc_lo
	buffer_load_dword v16, off, s[0:3], s32 offset:720 ; 4-byte Folded Reload
	v_and_b32_e32 v5, 0xffff0000, v11
	v_add_f32_e32 v5, v5, v10
	v_add_f32_e32 v4, v4, v5
	s_waitcnt vmcnt(0)
	v_lshlrev_b32_e32 v16, 16, v16
	v_mul_f32_e32 v16, v1, v16
	v_bfe_u32 v17, v16, 16, 1
	v_or_b32_e32 v22, 0x400000, v16
	v_cmp_u_f32_e32 vcc_lo, v16, v16
	v_add3_u32 v17, v17, v16, 0x7fff
	v_cndmask_b32_e32 v16, v17, v22, vcc_lo
	buffer_load_dword v17, off, s[0:3], s32 offset:724 ; 4-byte Folded Reload
	v_and_b32_e32 v10, 0xffff0000, v16
	s_waitcnt vmcnt(0)
	v_lshlrev_b32_e32 v17, 16, v17
	v_mul_f32_e32 v17, v6, v17
	v_bfe_u32 v22, v17, 16, 1
	v_or_b32_e32 v24, 0x400000, v17
	v_cmp_u_f32_e32 vcc_lo, v17, v17
	v_add3_u32 v22, v22, v17, 0x7fff
	v_cndmask_b32_e32 v17, v22, v24, vcc_lo
	buffer_load_dword v22, off, s[0:3], s32 offset:748 ; 4-byte Folded Reload
	v_and_b32_e32 v5, 0xffff0000, v17
	v_add_f32_e32 v5, v5, v10
	v_add_f32_e32 v4, v4, v5
	s_waitcnt vmcnt(0)
	v_lshlrev_b32_e32 v22, 16, v22
	v_mul_f32_e32 v22, v0, v22
	v_bfe_u32 v24, v22, 16, 1
	v_or_b32_e32 v25, 0x400000, v22
	v_cmp_u_f32_e32 vcc_lo, v22, v22
	v_add3_u32 v24, v24, v22, 0x7fff
	v_cndmask_b32_e32 v22, v24, v25, vcc_lo
	buffer_load_dword v24, off, s[0:3], s32 offset:736 ; 4-byte Folded Reload
	v_and_b32_e32 v10, 0xffff0000, v22
	s_waitcnt vmcnt(0)
	v_lshlrev_b32_e32 v24, 16, v24
	v_mul_f32_e32 v24, v2, v24
	v_bfe_u32 v25, v24, 16, 1
	v_or_b32_e32 v26, 0x400000, v24
	v_cmp_u_f32_e32 vcc_lo, v24, v24
	v_add3_u32 v25, v25, v24, 0x7fff
	v_cndmask_b32_e32 v24, v25, v26, vcc_lo
	v_and_b32_e32 v5, 0xffff0000, v24
	v_add_f32_e32 v5, v5, v10
	v_add_f32_e32 v4, v4, v5
	buffer_load_dword v5, off, s[0:3], s32 offset:932 ; 4-byte Folded Reload
	s_waitcnt vmcnt(0)
	v_add_f32_e32 v5, v5, v4
	buffer_load_dword v4, off, s[0:3], s32 offset:708 ; 4-byte Folded Reload
	buffer_store_dword v5, off, s[0:3], s32 offset:932 ; 4-byte Folded Spill
	s_waitcnt vmcnt(0)
	v_lshlrev_b32_e32 v4, 16, v4
	v_mul_f32_e32 v4, v8, v4
	v_bfe_u32 v5, v4, 16, 1
	v_or_b32_e32 v10, 0x400000, v4
	v_cmp_u_f32_e32 vcc_lo, v4, v4
	v_add3_u32 v5, v5, v4, 0x7fff
	v_cndmask_b32_e32 v4, v5, v10, vcc_lo
	buffer_load_dword v5, off, s[0:3], s32 offset:712 ; 4-byte Folded Reload
	v_and_b32_e32 v4, 0xffff0000, v4
	s_waitcnt vmcnt(0)
	v_lshlrev_b32_e32 v5, 16, v5
	v_mul_f32_e32 v5, v9, v5
	v_bfe_u32 v10, v5, 16, 1
	v_or_b32_e32 v11, 0x400000, v5
	v_cmp_u_f32_e32 vcc_lo, v5, v5
	v_add3_u32 v10, v10, v5, 0x7fff
	v_cndmask_b32_e32 v5, v10, v11, vcc_lo
	buffer_load_dword v10, off, s[0:3], s32 offset:696 ; 4-byte Folded Reload
	v_and_b32_e32 v5, 0xffff0000, v5
	v_add_f32_e32 v4, v5, v4
	s_waitcnt vmcnt(0)
	v_lshlrev_b32_e32 v10, 16, v10
	v_mul_f32_e32 v10, v3, v10
	v_bfe_u32 v11, v10, 16, 1
	v_or_b32_e32 v16, 0x400000, v10
	v_cmp_u_f32_e32 vcc_lo, v10, v10
	v_add3_u32 v11, v11, v10, 0x7fff
	v_cndmask_b32_e32 v10, v11, v16, vcc_lo
	buffer_load_dword v11, off, s[0:3], s32 offset:700 ; 4-byte Folded Reload
	v_and_b32_e32 v10, 0xffff0000, v10
	s_waitcnt vmcnt(0)
	v_lshlrev_b32_e32 v11, 16, v11
	v_mul_f32_e32 v11, v7, v11
	v_bfe_u32 v16, v11, 16, 1
	v_or_b32_e32 v17, 0x400000, v11
	v_cmp_u_f32_e32 vcc_lo, v11, v11
	v_add3_u32 v16, v16, v11, 0x7fff
	v_cndmask_b32_e32 v11, v16, v17, vcc_lo
	buffer_load_dword v16, off, s[0:3], s32 offset:688 ; 4-byte Folded Reload
	v_and_b32_e32 v5, 0xffff0000, v11
	v_add_f32_e32 v5, v5, v10
	v_add_f32_e32 v4, v4, v5
	s_waitcnt vmcnt(0)
	v_lshlrev_b32_e32 v16, 16, v16
	v_mul_f32_e32 v16, v1, v16
	v_bfe_u32 v17, v16, 16, 1
	v_or_b32_e32 v22, 0x400000, v16
	v_cmp_u_f32_e32 vcc_lo, v16, v16
	v_add3_u32 v17, v17, v16, 0x7fff
	v_cndmask_b32_e32 v16, v17, v22, vcc_lo
	buffer_load_dword v17, off, s[0:3], s32 offset:692 ; 4-byte Folded Reload
	v_and_b32_e32 v10, 0xffff0000, v16
	s_waitcnt vmcnt(0)
	v_lshlrev_b32_e32 v17, 16, v17
	v_mul_f32_e32 v17, v6, v17
	v_bfe_u32 v22, v17, 16, 1
	v_or_b32_e32 v24, 0x400000, v17
	v_cmp_u_f32_e32 vcc_lo, v17, v17
	v_add3_u32 v22, v22, v17, 0x7fff
	v_cndmask_b32_e32 v17, v22, v24, vcc_lo
	buffer_load_dword v22, off, s[0:3], s32 offset:716 ; 4-byte Folded Reload
	v_and_b32_e32 v5, 0xffff0000, v17
	v_add_f32_e32 v5, v5, v10
	v_add_f32_e32 v4, v4, v5
	s_waitcnt vmcnt(0)
	v_lshlrev_b32_e32 v22, 16, v22
	v_mul_f32_e32 v22, v0, v22
	v_bfe_u32 v24, v22, 16, 1
	v_or_b32_e32 v25, 0x400000, v22
	v_cmp_u_f32_e32 vcc_lo, v22, v22
	v_add3_u32 v24, v24, v22, 0x7fff
	v_cndmask_b32_e32 v22, v24, v25, vcc_lo
	buffer_load_dword v24, off, s[0:3], s32 offset:704 ; 4-byte Folded Reload
	v_and_b32_e32 v10, 0xffff0000, v22
	s_waitcnt vmcnt(0)
	v_lshlrev_b32_e32 v24, 16, v24
	v_mul_f32_e32 v24, v2, v24
	v_bfe_u32 v25, v24, 16, 1
	v_or_b32_e32 v26, 0x400000, v24
	v_cmp_u_f32_e32 vcc_lo, v24, v24
	v_add3_u32 v25, v25, v24, 0x7fff
	v_cndmask_b32_e32 v24, v25, v26, vcc_lo
	v_and_b32_e32 v5, 0xffff0000, v24
	v_add_f32_e32 v5, v5, v10
	v_add_f32_e32 v4, v4, v5
	buffer_load_dword v5, off, s[0:3], s32 offset:936 ; 4-byte Folded Reload
	s_waitcnt vmcnt(0)
	v_add_f32_e32 v5, v5, v4
	buffer_load_dword v4, off, s[0:3], s32 offset:676 ; 4-byte Folded Reload
	buffer_store_dword v5, off, s[0:3], s32 offset:936 ; 4-byte Folded Spill
	s_waitcnt vmcnt(0)
	v_lshlrev_b32_e32 v4, 16, v4
	v_mul_f32_e32 v4, v8, v4
	v_bfe_u32 v5, v4, 16, 1
	v_or_b32_e32 v10, 0x400000, v4
	v_cmp_u_f32_e32 vcc_lo, v4, v4
	v_add3_u32 v5, v5, v4, 0x7fff
	v_cndmask_b32_e32 v4, v5, v10, vcc_lo
	buffer_load_dword v5, off, s[0:3], s32 offset:680 ; 4-byte Folded Reload
	v_and_b32_e32 v4, 0xffff0000, v4
	s_waitcnt vmcnt(0)
	v_lshlrev_b32_e32 v5, 16, v5
	v_mul_f32_e32 v5, v9, v5
	v_bfe_u32 v10, v5, 16, 1
	v_or_b32_e32 v11, 0x400000, v5
	v_cmp_u_f32_e32 vcc_lo, v5, v5
	v_add3_u32 v10, v10, v5, 0x7fff
	v_cndmask_b32_e32 v5, v10, v11, vcc_lo
	buffer_load_dword v10, off, s[0:3], s32 offset:664 ; 4-byte Folded Reload
	v_and_b32_e32 v5, 0xffff0000, v5
	v_add_f32_e32 v4, v5, v4
	s_waitcnt vmcnt(0)
	v_lshlrev_b32_e32 v10, 16, v10
	v_mul_f32_e32 v10, v3, v10
	v_bfe_u32 v11, v10, 16, 1
	v_or_b32_e32 v16, 0x400000, v10
	v_cmp_u_f32_e32 vcc_lo, v10, v10
	v_add3_u32 v11, v11, v10, 0x7fff
	v_cndmask_b32_e32 v10, v11, v16, vcc_lo
	buffer_load_dword v11, off, s[0:3], s32 offset:668 ; 4-byte Folded Reload
	v_and_b32_e32 v10, 0xffff0000, v10
	s_waitcnt vmcnt(0)
	v_lshlrev_b32_e32 v11, 16, v11
	v_mul_f32_e32 v11, v7, v11
	v_bfe_u32 v16, v11, 16, 1
	v_or_b32_e32 v17, 0x400000, v11
	v_cmp_u_f32_e32 vcc_lo, v11, v11
	v_add3_u32 v16, v16, v11, 0x7fff
	v_cndmask_b32_e32 v11, v16, v17, vcc_lo
	buffer_load_dword v16, off, s[0:3], s32 offset:656 ; 4-byte Folded Reload
	v_and_b32_e32 v5, 0xffff0000, v11
	v_add_f32_e32 v5, v5, v10
	v_add_f32_e32 v4, v4, v5
	s_waitcnt vmcnt(0)
	v_lshlrev_b32_e32 v16, 16, v16
	v_mul_f32_e32 v16, v1, v16
	v_bfe_u32 v17, v16, 16, 1
	v_or_b32_e32 v22, 0x400000, v16
	v_cmp_u_f32_e32 vcc_lo, v16, v16
	v_add3_u32 v17, v17, v16, 0x7fff
	v_cndmask_b32_e32 v16, v17, v22, vcc_lo
	buffer_load_dword v17, off, s[0:3], s32 offset:660 ; 4-byte Folded Reload
	v_and_b32_e32 v10, 0xffff0000, v16
	s_waitcnt vmcnt(0)
	v_lshlrev_b32_e32 v17, 16, v17
	v_mul_f32_e32 v17, v6, v17
	v_bfe_u32 v22, v17, 16, 1
	v_or_b32_e32 v24, 0x400000, v17
	v_cmp_u_f32_e32 vcc_lo, v17, v17
	v_add3_u32 v22, v22, v17, 0x7fff
	v_cndmask_b32_e32 v17, v22, v24, vcc_lo
	buffer_load_dword v22, off, s[0:3], s32 offset:684 ; 4-byte Folded Reload
	v_and_b32_e32 v5, 0xffff0000, v17
	v_add_f32_e32 v5, v5, v10
	v_add_f32_e32 v4, v4, v5
	s_waitcnt vmcnt(0)
	v_lshlrev_b32_e32 v22, 16, v22
	v_mul_f32_e32 v22, v0, v22
	v_bfe_u32 v24, v22, 16, 1
	v_or_b32_e32 v25, 0x400000, v22
	v_cmp_u_f32_e32 vcc_lo, v22, v22
	v_add3_u32 v24, v24, v22, 0x7fff
	v_cndmask_b32_e32 v22, v24, v25, vcc_lo
	buffer_load_dword v24, off, s[0:3], s32 offset:672 ; 4-byte Folded Reload
	v_and_b32_e32 v10, 0xffff0000, v22
	s_waitcnt vmcnt(0)
	v_lshlrev_b32_e32 v24, 16, v24
	v_mul_f32_e32 v24, v2, v24
	v_bfe_u32 v25, v24, 16, 1
	v_or_b32_e32 v26, 0x400000, v24
	v_cmp_u_f32_e32 vcc_lo, v24, v24
	v_add3_u32 v25, v25, v24, 0x7fff
	v_cndmask_b32_e32 v24, v25, v26, vcc_lo
	v_and_b32_e32 v5, 0xffff0000, v24
	v_add_f32_e32 v5, v5, v10
	v_add_f32_e32 v4, v4, v5
	buffer_load_dword v5, off, s[0:3], s32 offset:940 ; 4-byte Folded Reload
	s_waitcnt vmcnt(0)
	v_add_f32_e32 v5, v5, v4
	buffer_load_dword v4, off, s[0:3], s32 offset:644 ; 4-byte Folded Reload
	buffer_store_dword v5, off, s[0:3], s32 offset:940 ; 4-byte Folded Spill
	s_waitcnt vmcnt(0)
	v_lshlrev_b32_e32 v4, 16, v4
	v_mul_f32_e32 v4, v8, v4
	v_bfe_u32 v5, v4, 16, 1
	v_or_b32_e32 v10, 0x400000, v4
	v_cmp_u_f32_e32 vcc_lo, v4, v4
	v_add3_u32 v5, v5, v4, 0x7fff
	v_cndmask_b32_e32 v4, v5, v10, vcc_lo
	buffer_load_dword v5, off, s[0:3], s32 offset:648 ; 4-byte Folded Reload
	v_and_b32_e32 v4, 0xffff0000, v4
	s_waitcnt vmcnt(0)
	v_lshlrev_b32_e32 v5, 16, v5
	v_mul_f32_e32 v5, v9, v5
	v_bfe_u32 v10, v5, 16, 1
	v_or_b32_e32 v11, 0x400000, v5
	v_cmp_u_f32_e32 vcc_lo, v5, v5
	v_add3_u32 v10, v10, v5, 0x7fff
	v_cndmask_b32_e32 v5, v10, v11, vcc_lo
	buffer_load_dword v10, off, s[0:3], s32 offset:632 ; 4-byte Folded Reload
	v_and_b32_e32 v5, 0xffff0000, v5
	v_add_f32_e32 v4, v5, v4
	s_waitcnt vmcnt(0)
	v_lshlrev_b32_e32 v10, 16, v10
	v_mul_f32_e32 v10, v3, v10
	v_bfe_u32 v11, v10, 16, 1
	v_or_b32_e32 v16, 0x400000, v10
	v_cmp_u_f32_e32 vcc_lo, v10, v10
	v_add3_u32 v11, v11, v10, 0x7fff
	v_cndmask_b32_e32 v10, v11, v16, vcc_lo
	buffer_load_dword v11, off, s[0:3], s32 offset:636 ; 4-byte Folded Reload
	v_and_b32_e32 v10, 0xffff0000, v10
	s_waitcnt vmcnt(0)
	v_lshlrev_b32_e32 v11, 16, v11
	v_mul_f32_e32 v11, v7, v11
	v_bfe_u32 v16, v11, 16, 1
	v_or_b32_e32 v17, 0x400000, v11
	v_cmp_u_f32_e32 vcc_lo, v11, v11
	v_add3_u32 v16, v16, v11, 0x7fff
	v_cndmask_b32_e32 v11, v16, v17, vcc_lo
	buffer_load_dword v16, off, s[0:3], s32 offset:624 ; 4-byte Folded Reload
	v_and_b32_e32 v5, 0xffff0000, v11
	v_add_f32_e32 v5, v5, v10
	v_add_f32_e32 v4, v4, v5
	s_waitcnt vmcnt(0)
	v_lshlrev_b32_e32 v16, 16, v16
	v_mul_f32_e32 v16, v1, v16
	v_bfe_u32 v17, v16, 16, 1
	v_or_b32_e32 v22, 0x400000, v16
	v_cmp_u_f32_e32 vcc_lo, v16, v16
	v_add3_u32 v17, v17, v16, 0x7fff
	v_cndmask_b32_e32 v16, v17, v22, vcc_lo
	buffer_load_dword v17, off, s[0:3], s32 offset:628 ; 4-byte Folded Reload
	v_and_b32_e32 v10, 0xffff0000, v16
	s_waitcnt vmcnt(0)
	v_lshlrev_b32_e32 v17, 16, v17
	v_mul_f32_e32 v17, v6, v17
	v_bfe_u32 v22, v17, 16, 1
	v_or_b32_e32 v24, 0x400000, v17
	v_cmp_u_f32_e32 vcc_lo, v17, v17
	v_add3_u32 v22, v22, v17, 0x7fff
	v_cndmask_b32_e32 v17, v22, v24, vcc_lo
	buffer_load_dword v22, off, s[0:3], s32 offset:652 ; 4-byte Folded Reload
	v_and_b32_e32 v5, 0xffff0000, v17
	v_add_f32_e32 v5, v5, v10
	v_add_f32_e32 v4, v4, v5
	s_waitcnt vmcnt(0)
	v_lshlrev_b32_e32 v22, 16, v22
	v_mul_f32_e32 v22, v0, v22
	v_bfe_u32 v24, v22, 16, 1
	v_or_b32_e32 v25, 0x400000, v22
	v_cmp_u_f32_e32 vcc_lo, v22, v22
	v_add3_u32 v24, v24, v22, 0x7fff
	v_cndmask_b32_e32 v22, v24, v25, vcc_lo
	buffer_load_dword v24, off, s[0:3], s32 offset:640 ; 4-byte Folded Reload
	v_and_b32_e32 v10, 0xffff0000, v22
	s_waitcnt vmcnt(0)
	v_lshlrev_b32_e32 v24, 16, v24
	v_mul_f32_e32 v24, v2, v24
	v_bfe_u32 v25, v24, 16, 1
	v_or_b32_e32 v26, 0x400000, v24
	v_cmp_u_f32_e32 vcc_lo, v24, v24
	v_add3_u32 v25, v25, v24, 0x7fff
	v_cndmask_b32_e32 v24, v25, v26, vcc_lo
	v_and_b32_e32 v5, 0xffff0000, v24
	v_add_f32_e32 v5, v5, v10
	v_add_f32_e32 v4, v4, v5
	buffer_load_dword v5, off, s[0:3], s32 offset:944 ; 4-byte Folded Reload
	s_waitcnt vmcnt(0)
	v_add_f32_e32 v5, v5, v4
	buffer_load_dword v4, off, s[0:3], s32 offset:612 ; 4-byte Folded Reload
	buffer_store_dword v5, off, s[0:3], s32 offset:944 ; 4-byte Folded Spill
	s_waitcnt vmcnt(0)
	v_lshlrev_b32_e32 v4, 16, v4
	v_mul_f32_e32 v4, v8, v4
	v_bfe_u32 v5, v4, 16, 1
	v_or_b32_e32 v10, 0x400000, v4
	v_cmp_u_f32_e32 vcc_lo, v4, v4
	v_add3_u32 v5, v5, v4, 0x7fff
	v_cndmask_b32_e32 v4, v5, v10, vcc_lo
	buffer_load_dword v5, off, s[0:3], s32 offset:616 ; 4-byte Folded Reload
	v_and_b32_e32 v4, 0xffff0000, v4
	s_waitcnt vmcnt(0)
	v_lshlrev_b32_e32 v5, 16, v5
	v_mul_f32_e32 v5, v9, v5
	v_bfe_u32 v10, v5, 16, 1
	v_or_b32_e32 v11, 0x400000, v5
	v_cmp_u_f32_e32 vcc_lo, v5, v5
	v_add3_u32 v10, v10, v5, 0x7fff
	v_cndmask_b32_e32 v5, v10, v11, vcc_lo
	buffer_load_dword v10, off, s[0:3], s32 offset:600 ; 4-byte Folded Reload
	v_and_b32_e32 v5, 0xffff0000, v5
	v_add_f32_e32 v4, v5, v4
	s_waitcnt vmcnt(0)
	v_lshlrev_b32_e32 v10, 16, v10
	v_mul_f32_e32 v10, v3, v10
	v_bfe_u32 v11, v10, 16, 1
	v_or_b32_e32 v16, 0x400000, v10
	v_cmp_u_f32_e32 vcc_lo, v10, v10
	v_add3_u32 v11, v11, v10, 0x7fff
	v_cndmask_b32_e32 v10, v11, v16, vcc_lo
	buffer_load_dword v11, off, s[0:3], s32 offset:604 ; 4-byte Folded Reload
	v_and_b32_e32 v10, 0xffff0000, v10
	s_waitcnt vmcnt(0)
	v_lshlrev_b32_e32 v11, 16, v11
	v_mul_f32_e32 v11, v7, v11
	v_bfe_u32 v16, v11, 16, 1
	v_or_b32_e32 v17, 0x400000, v11
	v_cmp_u_f32_e32 vcc_lo, v11, v11
	v_add3_u32 v16, v16, v11, 0x7fff
	v_cndmask_b32_e32 v11, v16, v17, vcc_lo
	buffer_load_dword v16, off, s[0:3], s32 offset:592 ; 4-byte Folded Reload
	v_and_b32_e32 v5, 0xffff0000, v11
	v_add_f32_e32 v5, v5, v10
	v_add_f32_e32 v4, v4, v5
	s_waitcnt vmcnt(0)
	v_lshlrev_b32_e32 v16, 16, v16
	v_mul_f32_e32 v16, v1, v16
	v_bfe_u32 v17, v16, 16, 1
	v_or_b32_e32 v22, 0x400000, v16
	v_cmp_u_f32_e32 vcc_lo, v16, v16
	v_add3_u32 v17, v17, v16, 0x7fff
	v_cndmask_b32_e32 v16, v17, v22, vcc_lo
	buffer_load_dword v17, off, s[0:3], s32 offset:596 ; 4-byte Folded Reload
	v_and_b32_e32 v10, 0xffff0000, v16
	s_waitcnt vmcnt(0)
	v_lshlrev_b32_e32 v17, 16, v17
	v_mul_f32_e32 v17, v6, v17
	v_bfe_u32 v22, v17, 16, 1
	v_or_b32_e32 v24, 0x400000, v17
	v_cmp_u_f32_e32 vcc_lo, v17, v17
	v_add3_u32 v22, v22, v17, 0x7fff
	v_cndmask_b32_e32 v17, v22, v24, vcc_lo
	buffer_load_dword v22, off, s[0:3], s32 offset:620 ; 4-byte Folded Reload
	v_and_b32_e32 v5, 0xffff0000, v17
	v_add_f32_e32 v5, v5, v10
	v_add_f32_e32 v4, v4, v5
	s_waitcnt vmcnt(0)
	v_lshlrev_b32_e32 v22, 16, v22
	v_mul_f32_e32 v22, v0, v22
	v_bfe_u32 v24, v22, 16, 1
	v_or_b32_e32 v25, 0x400000, v22
	v_cmp_u_f32_e32 vcc_lo, v22, v22
	v_add3_u32 v24, v24, v22, 0x7fff
	v_cndmask_b32_e32 v22, v24, v25, vcc_lo
	buffer_load_dword v24, off, s[0:3], s32 offset:608 ; 4-byte Folded Reload
	v_and_b32_e32 v10, 0xffff0000, v22
	s_waitcnt vmcnt(0)
	v_lshlrev_b32_e32 v24, 16, v24
	v_mul_f32_e32 v24, v2, v24
	v_bfe_u32 v25, v24, 16, 1
	v_or_b32_e32 v26, 0x400000, v24
	v_cmp_u_f32_e32 vcc_lo, v24, v24
	v_add3_u32 v25, v25, v24, 0x7fff
	v_cndmask_b32_e32 v24, v25, v26, vcc_lo
	v_and_b32_e32 v5, 0xffff0000, v24
	v_add_f32_e32 v5, v5, v10
	v_add_f32_e32 v4, v4, v5
	buffer_load_dword v5, off, s[0:3], s32 offset:948 ; 4-byte Folded Reload
	s_waitcnt vmcnt(0)
	v_add_f32_e32 v5, v5, v4
	buffer_load_dword v4, off, s[0:3], s32 offset:580 ; 4-byte Folded Reload
	buffer_store_dword v5, off, s[0:3], s32 offset:948 ; 4-byte Folded Spill
	s_waitcnt vmcnt(0)
	v_lshlrev_b32_e32 v4, 16, v4
	v_mul_f32_e32 v4, v8, v4
	v_bfe_u32 v5, v4, 16, 1
	v_or_b32_e32 v10, 0x400000, v4
	v_cmp_u_f32_e32 vcc_lo, v4, v4
	v_add3_u32 v5, v5, v4, 0x7fff
	v_cndmask_b32_e32 v4, v5, v10, vcc_lo
	buffer_load_dword v5, off, s[0:3], s32 offset:584 ; 4-byte Folded Reload
	v_and_b32_e32 v4, 0xffff0000, v4
	s_waitcnt vmcnt(0)
	v_lshlrev_b32_e32 v5, 16, v5
	v_mul_f32_e32 v5, v9, v5
	v_bfe_u32 v10, v5, 16, 1
	v_or_b32_e32 v11, 0x400000, v5
	v_cmp_u_f32_e32 vcc_lo, v5, v5
	v_add3_u32 v10, v10, v5, 0x7fff
	v_cndmask_b32_e32 v5, v10, v11, vcc_lo
	buffer_load_dword v10, off, s[0:3], s32 offset:568 ; 4-byte Folded Reload
	v_and_b32_e32 v5, 0xffff0000, v5
	v_add_f32_e32 v4, v5, v4
	s_waitcnt vmcnt(0)
	v_lshlrev_b32_e32 v10, 16, v10
	v_mul_f32_e32 v10, v3, v10
	v_bfe_u32 v11, v10, 16, 1
	v_or_b32_e32 v16, 0x400000, v10
	v_cmp_u_f32_e32 vcc_lo, v10, v10
	v_add3_u32 v11, v11, v10, 0x7fff
	v_cndmask_b32_e32 v10, v11, v16, vcc_lo
	buffer_load_dword v11, off, s[0:3], s32 offset:572 ; 4-byte Folded Reload
	v_and_b32_e32 v10, 0xffff0000, v10
	s_waitcnt vmcnt(0)
	v_lshlrev_b32_e32 v11, 16, v11
	v_mul_f32_e32 v11, v7, v11
	v_bfe_u32 v16, v11, 16, 1
	v_or_b32_e32 v17, 0x400000, v11
	v_cmp_u_f32_e32 vcc_lo, v11, v11
	v_add3_u32 v16, v16, v11, 0x7fff
	v_cndmask_b32_e32 v11, v16, v17, vcc_lo
	buffer_load_dword v16, off, s[0:3], s32 offset:560 ; 4-byte Folded Reload
	v_and_b32_e32 v5, 0xffff0000, v11
	v_add_f32_e32 v5, v5, v10
	v_add_f32_e32 v4, v4, v5
	s_waitcnt vmcnt(0)
	v_lshlrev_b32_e32 v16, 16, v16
	v_mul_f32_e32 v16, v1, v16
	v_bfe_u32 v17, v16, 16, 1
	v_or_b32_e32 v22, 0x400000, v16
	v_cmp_u_f32_e32 vcc_lo, v16, v16
	v_add3_u32 v17, v17, v16, 0x7fff
	v_cndmask_b32_e32 v16, v17, v22, vcc_lo
	buffer_load_dword v17, off, s[0:3], s32 offset:564 ; 4-byte Folded Reload
	v_and_b32_e32 v10, 0xffff0000, v16
	s_waitcnt vmcnt(0)
	v_lshlrev_b32_e32 v17, 16, v17
	v_mul_f32_e32 v17, v6, v17
	v_bfe_u32 v22, v17, 16, 1
	v_or_b32_e32 v24, 0x400000, v17
	v_cmp_u_f32_e32 vcc_lo, v17, v17
	v_add3_u32 v22, v22, v17, 0x7fff
	v_cndmask_b32_e32 v17, v22, v24, vcc_lo
	buffer_load_dword v22, off, s[0:3], s32 offset:588 ; 4-byte Folded Reload
	v_and_b32_e32 v5, 0xffff0000, v17
	v_add_f32_e32 v5, v5, v10
	v_add_f32_e32 v4, v4, v5
	s_waitcnt vmcnt(0)
	v_lshlrev_b32_e32 v22, 16, v22
	v_mul_f32_e32 v22, v0, v22
	v_bfe_u32 v24, v22, 16, 1
	v_or_b32_e32 v25, 0x400000, v22
	v_cmp_u_f32_e32 vcc_lo, v22, v22
	v_add3_u32 v24, v24, v22, 0x7fff
	v_cndmask_b32_e32 v22, v24, v25, vcc_lo
	buffer_load_dword v24, off, s[0:3], s32 offset:576 ; 4-byte Folded Reload
	v_and_b32_e32 v10, 0xffff0000, v22
	s_waitcnt vmcnt(0)
	v_lshlrev_b32_e32 v24, 16, v24
	v_mul_f32_e32 v24, v2, v24
	v_bfe_u32 v25, v24, 16, 1
	v_or_b32_e32 v26, 0x400000, v24
	v_cmp_u_f32_e32 vcc_lo, v24, v24
	v_add3_u32 v25, v25, v24, 0x7fff
	v_cndmask_b32_e32 v24, v25, v26, vcc_lo
	v_and_b32_e32 v5, 0xffff0000, v24
	v_add_f32_e32 v5, v5, v10
	v_add_f32_e32 v4, v4, v5
	buffer_load_dword v5, off, s[0:3], s32 offset:952 ; 4-byte Folded Reload
	s_waitcnt vmcnt(0)
	v_add_f32_e32 v5, v5, v4
	buffer_load_dword v4, off, s[0:3], s32 offset:548 ; 4-byte Folded Reload
	buffer_store_dword v5, off, s[0:3], s32 offset:952 ; 4-byte Folded Spill
	s_waitcnt vmcnt(0)
	v_lshlrev_b32_e32 v4, 16, v4
	v_mul_f32_e32 v4, v8, v4
	v_bfe_u32 v5, v4, 16, 1
	v_or_b32_e32 v10, 0x400000, v4
	v_cmp_u_f32_e32 vcc_lo, v4, v4
	v_add3_u32 v5, v5, v4, 0x7fff
	v_cndmask_b32_e32 v4, v5, v10, vcc_lo
	buffer_load_dword v5, off, s[0:3], s32 offset:552 ; 4-byte Folded Reload
	v_and_b32_e32 v4, 0xffff0000, v4
	s_waitcnt vmcnt(0)
	v_lshlrev_b32_e32 v5, 16, v5
	v_mul_f32_e32 v5, v9, v5
	v_bfe_u32 v10, v5, 16, 1
	v_or_b32_e32 v11, 0x400000, v5
	v_cmp_u_f32_e32 vcc_lo, v5, v5
	v_add3_u32 v10, v10, v5, 0x7fff
	v_cndmask_b32_e32 v5, v10, v11, vcc_lo
	buffer_load_dword v10, off, s[0:3], s32 offset:536 ; 4-byte Folded Reload
	v_and_b32_e32 v5, 0xffff0000, v5
	v_add_f32_e32 v4, v5, v4
	s_waitcnt vmcnt(0)
	v_lshlrev_b32_e32 v10, 16, v10
	v_mul_f32_e32 v10, v3, v10
	v_bfe_u32 v11, v10, 16, 1
	v_or_b32_e32 v16, 0x400000, v10
	v_cmp_u_f32_e32 vcc_lo, v10, v10
	v_add3_u32 v11, v11, v10, 0x7fff
	v_cndmask_b32_e32 v10, v11, v16, vcc_lo
	buffer_load_dword v11, off, s[0:3], s32 offset:540 ; 4-byte Folded Reload
	v_and_b32_e32 v10, 0xffff0000, v10
	s_waitcnt vmcnt(0)
	v_lshlrev_b32_e32 v11, 16, v11
	v_mul_f32_e32 v11, v7, v11
	v_bfe_u32 v16, v11, 16, 1
	v_or_b32_e32 v17, 0x400000, v11
	v_cmp_u_f32_e32 vcc_lo, v11, v11
	v_add3_u32 v16, v16, v11, 0x7fff
	v_cndmask_b32_e32 v11, v16, v17, vcc_lo
	buffer_load_dword v16, off, s[0:3], s32 offset:528 ; 4-byte Folded Reload
	v_and_b32_e32 v5, 0xffff0000, v11
	v_add_f32_e32 v5, v5, v10
	v_add_f32_e32 v4, v4, v5
	s_waitcnt vmcnt(0)
	v_lshlrev_b32_e32 v16, 16, v16
	v_mul_f32_e32 v16, v1, v16
	v_bfe_u32 v17, v16, 16, 1
	v_or_b32_e32 v22, 0x400000, v16
	v_cmp_u_f32_e32 vcc_lo, v16, v16
	v_add3_u32 v17, v17, v16, 0x7fff
	v_cndmask_b32_e32 v16, v17, v22, vcc_lo
	buffer_load_dword v17, off, s[0:3], s32 offset:532 ; 4-byte Folded Reload
	v_and_b32_e32 v10, 0xffff0000, v16
	s_waitcnt vmcnt(0)
	v_lshlrev_b32_e32 v17, 16, v17
	v_mul_f32_e32 v17, v6, v17
	v_bfe_u32 v22, v17, 16, 1
	v_or_b32_e32 v24, 0x400000, v17
	v_cmp_u_f32_e32 vcc_lo, v17, v17
	v_add3_u32 v22, v22, v17, 0x7fff
	v_cndmask_b32_e32 v17, v22, v24, vcc_lo
	buffer_load_dword v22, off, s[0:3], s32 offset:556 ; 4-byte Folded Reload
	v_and_b32_e32 v5, 0xffff0000, v17
	v_add_f32_e32 v5, v5, v10
	v_add_f32_e32 v4, v4, v5
	s_waitcnt vmcnt(0)
	v_lshlrev_b32_e32 v22, 16, v22
	v_mul_f32_e32 v22, v0, v22
	v_bfe_u32 v24, v22, 16, 1
	v_or_b32_e32 v25, 0x400000, v22
	v_cmp_u_f32_e32 vcc_lo, v22, v22
	v_add3_u32 v24, v24, v22, 0x7fff
	v_cndmask_b32_e32 v22, v24, v25, vcc_lo
	buffer_load_dword v24, off, s[0:3], s32 offset:544 ; 4-byte Folded Reload
	v_and_b32_e32 v10, 0xffff0000, v22
	s_waitcnt vmcnt(0)
	v_lshlrev_b32_e32 v24, 16, v24
	v_mul_f32_e32 v24, v2, v24
	v_bfe_u32 v25, v24, 16, 1
	v_or_b32_e32 v26, 0x400000, v24
	v_cmp_u_f32_e32 vcc_lo, v24, v24
	v_add3_u32 v25, v25, v24, 0x7fff
	v_cndmask_b32_e32 v24, v25, v26, vcc_lo
	v_and_b32_e32 v5, 0xffff0000, v24
	v_add_f32_e32 v5, v5, v10
	v_add_f32_e32 v4, v4, v5
	buffer_load_dword v5, off, s[0:3], s32 offset:956 ; 4-byte Folded Reload
	s_waitcnt vmcnt(0)
	v_add_f32_e32 v5, v5, v4
	buffer_load_dword v4, off, s[0:3], s32 offset:516 ; 4-byte Folded Reload
	buffer_store_dword v5, off, s[0:3], s32 offset:956 ; 4-byte Folded Spill
	s_waitcnt vmcnt(0)
	v_lshlrev_b32_e32 v4, 16, v4
	v_mul_f32_e32 v4, v8, v4
	v_bfe_u32 v5, v4, 16, 1
	v_or_b32_e32 v10, 0x400000, v4
	v_cmp_u_f32_e32 vcc_lo, v4, v4
	v_add3_u32 v5, v5, v4, 0x7fff
	v_cndmask_b32_e32 v4, v5, v10, vcc_lo
	buffer_load_dword v5, off, s[0:3], s32 offset:520 ; 4-byte Folded Reload
	v_and_b32_e32 v4, 0xffff0000, v4
	s_waitcnt vmcnt(0)
	v_lshlrev_b32_e32 v5, 16, v5
	v_mul_f32_e32 v5, v9, v5
	v_bfe_u32 v10, v5, 16, 1
	v_or_b32_e32 v11, 0x400000, v5
	v_cmp_u_f32_e32 vcc_lo, v5, v5
	v_add3_u32 v10, v10, v5, 0x7fff
	v_cndmask_b32_e32 v5, v10, v11, vcc_lo
	buffer_load_dword v10, off, s[0:3], s32 offset:504 ; 4-byte Folded Reload
	v_and_b32_e32 v5, 0xffff0000, v5
	v_add_f32_e32 v4, v5, v4
	s_waitcnt vmcnt(0)
	v_lshlrev_b32_e32 v10, 16, v10
	v_mul_f32_e32 v10, v3, v10
	v_bfe_u32 v11, v10, 16, 1
	v_or_b32_e32 v16, 0x400000, v10
	v_cmp_u_f32_e32 vcc_lo, v10, v10
	v_add3_u32 v11, v11, v10, 0x7fff
	v_cndmask_b32_e32 v10, v11, v16, vcc_lo
	buffer_load_dword v11, off, s[0:3], s32 offset:508 ; 4-byte Folded Reload
	v_and_b32_e32 v10, 0xffff0000, v10
	s_waitcnt vmcnt(0)
	v_lshlrev_b32_e32 v11, 16, v11
	v_mul_f32_e32 v11, v7, v11
	v_bfe_u32 v16, v11, 16, 1
	v_or_b32_e32 v17, 0x400000, v11
	v_cmp_u_f32_e32 vcc_lo, v11, v11
	v_add3_u32 v16, v16, v11, 0x7fff
	v_cndmask_b32_e32 v11, v16, v17, vcc_lo
	buffer_load_dword v16, off, s[0:3], s32 offset:496 ; 4-byte Folded Reload
	v_and_b32_e32 v5, 0xffff0000, v11
	v_add_f32_e32 v5, v5, v10
	v_add_f32_e32 v4, v4, v5
	s_waitcnt vmcnt(0)
	v_lshlrev_b32_e32 v16, 16, v16
	v_mul_f32_e32 v16, v1, v16
	v_bfe_u32 v17, v16, 16, 1
	v_or_b32_e32 v22, 0x400000, v16
	v_cmp_u_f32_e32 vcc_lo, v16, v16
	v_add3_u32 v17, v17, v16, 0x7fff
	v_cndmask_b32_e32 v16, v17, v22, vcc_lo
	buffer_load_dword v17, off, s[0:3], s32 offset:500 ; 4-byte Folded Reload
	v_and_b32_e32 v10, 0xffff0000, v16
	s_waitcnt vmcnt(0)
	v_lshlrev_b32_e32 v17, 16, v17
	v_mul_f32_e32 v17, v6, v17
	v_bfe_u32 v22, v17, 16, 1
	v_or_b32_e32 v24, 0x400000, v17
	v_cmp_u_f32_e32 vcc_lo, v17, v17
	v_add3_u32 v22, v22, v17, 0x7fff
	v_cndmask_b32_e32 v17, v22, v24, vcc_lo
	buffer_load_dword v22, off, s[0:3], s32 offset:524 ; 4-byte Folded Reload
	v_and_b32_e32 v5, 0xffff0000, v17
	v_add_f32_e32 v5, v5, v10
	v_add_f32_e32 v4, v4, v5
	s_waitcnt vmcnt(0)
	v_lshlrev_b32_e32 v22, 16, v22
	v_mul_f32_e32 v22, v0, v22
	v_bfe_u32 v24, v22, 16, 1
	v_or_b32_e32 v25, 0x400000, v22
	v_cmp_u_f32_e32 vcc_lo, v22, v22
	v_add3_u32 v24, v24, v22, 0x7fff
	v_cndmask_b32_e32 v22, v24, v25, vcc_lo
	buffer_load_dword v24, off, s[0:3], s32 offset:512 ; 4-byte Folded Reload
	v_and_b32_e32 v10, 0xffff0000, v22
	s_waitcnt vmcnt(0)
	v_lshlrev_b32_e32 v24, 16, v24
	v_mul_f32_e32 v24, v2, v24
	v_bfe_u32 v25, v24, 16, 1
	v_or_b32_e32 v26, 0x400000, v24
	v_cmp_u_f32_e32 vcc_lo, v24, v24
	v_add3_u32 v25, v25, v24, 0x7fff
	v_cndmask_b32_e32 v24, v25, v26, vcc_lo
	v_and_b32_e32 v5, 0xffff0000, v24
	v_add_f32_e32 v5, v5, v10
	v_add_f32_e32 v4, v4, v5
	buffer_load_dword v5, off, s[0:3], s32 offset:960 ; 4-byte Folded Reload
	s_waitcnt vmcnt(0)
	v_add_f32_e32 v5, v5, v4
	buffer_load_dword v4, off, s[0:3], s32 offset:492 ; 4-byte Folded Reload
	buffer_store_dword v5, off, s[0:3], s32 offset:960 ; 4-byte Folded Spill
	s_waitcnt vmcnt(0)
	v_lshlrev_b32_e32 v4, 16, v4
	v_mul_f32_e32 v4, v8, v4
	v_bfe_u32 v5, v4, 16, 1
	v_or_b32_e32 v10, 0x400000, v4
	v_cmp_u_f32_e32 vcc_lo, v4, v4
	v_add3_u32 v5, v5, v4, 0x7fff
	v_cndmask_b32_e32 v4, v5, v10, vcc_lo
	buffer_load_dword v5, off, s[0:3], s32 offset:488 ; 4-byte Folded Reload
	v_and_b32_e32 v4, 0xffff0000, v4
	s_waitcnt vmcnt(0)
	v_lshlrev_b32_e32 v5, 16, v5
	v_mul_f32_e32 v5, v9, v5
	v_bfe_u32 v10, v5, 16, 1
	v_or_b32_e32 v11, 0x400000, v5
	v_cmp_u_f32_e32 vcc_lo, v5, v5
	v_add3_u32 v10, v10, v5, 0x7fff
	v_cndmask_b32_e32 v5, v10, v11, vcc_lo
	buffer_load_dword v10, off, s[0:3], s32 offset:480 ; 4-byte Folded Reload
	v_and_b32_e32 v5, 0xffff0000, v5
	v_add_f32_e32 v4, v5, v4
	s_waitcnt vmcnt(0)
	v_lshlrev_b32_e32 v10, 16, v10
	v_mul_f32_e32 v10, v3, v10
	v_bfe_u32 v11, v10, 16, 1
	v_or_b32_e32 v16, 0x400000, v10
	v_cmp_u_f32_e32 vcc_lo, v10, v10
	v_add3_u32 v11, v11, v10, 0x7fff
	v_cndmask_b32_e32 v10, v11, v16, vcc_lo
	buffer_load_dword v11, off, s[0:3], s32 offset:476 ; 4-byte Folded Reload
	v_and_b32_e32 v10, 0xffff0000, v10
	s_waitcnt vmcnt(0)
	v_lshlrev_b32_e32 v11, 16, v11
	v_mul_f32_e32 v11, v7, v11
	v_bfe_u32 v16, v11, 16, 1
	v_or_b32_e32 v17, 0x400000, v11
	v_cmp_u_f32_e32 vcc_lo, v11, v11
	v_add3_u32 v16, v16, v11, 0x7fff
	v_cndmask_b32_e32 v11, v16, v17, vcc_lo
	buffer_load_dword v16, off, s[0:3], s32 offset:468 ; 4-byte Folded Reload
	v_and_b32_e32 v5, 0xffff0000, v11
	v_add_f32_e32 v5, v5, v10
	v_add_f32_e32 v4, v4, v5
	s_waitcnt vmcnt(0)
	v_lshlrev_b32_e32 v16, 16, v16
	v_mul_f32_e32 v16, v1, v16
	v_bfe_u32 v17, v16, 16, 1
	v_or_b32_e32 v22, 0x400000, v16
	v_cmp_u_f32_e32 vcc_lo, v16, v16
	v_add3_u32 v17, v17, v16, 0x7fff
	v_cndmask_b32_e32 v16, v17, v22, vcc_lo
	buffer_load_dword v17, off, s[0:3], s32 offset:464 ; 4-byte Folded Reload
	v_and_b32_e32 v10, 0xffff0000, v16
	s_waitcnt vmcnt(0)
	v_lshlrev_b32_e32 v17, 16, v17
	v_mul_f32_e32 v17, v6, v17
	v_bfe_u32 v22, v17, 16, 1
	v_or_b32_e32 v24, 0x400000, v17
	v_cmp_u_f32_e32 vcc_lo, v17, v17
	v_add3_u32 v22, v22, v17, 0x7fff
	v_cndmask_b32_e32 v17, v22, v24, vcc_lo
	buffer_load_dword v22, off, s[0:3], s32 offset:484 ; 4-byte Folded Reload
	v_and_b32_e32 v5, 0xffff0000, v17
	v_add_f32_e32 v5, v5, v10
	v_add_f32_e32 v4, v4, v5
	s_waitcnt vmcnt(0)
	v_lshlrev_b32_e32 v22, 16, v22
	v_mul_f32_e32 v22, v0, v22
	v_bfe_u32 v24, v22, 16, 1
	v_or_b32_e32 v25, 0x400000, v22
	v_cmp_u_f32_e32 vcc_lo, v22, v22
	v_add3_u32 v24, v24, v22, 0x7fff
	v_cndmask_b32_e32 v22, v24, v25, vcc_lo
	buffer_load_dword v24, off, s[0:3], s32 offset:472 ; 4-byte Folded Reload
	v_and_b32_e32 v10, 0xffff0000, v22
	s_waitcnt vmcnt(0)
	v_lshlrev_b32_e32 v24, 16, v24
	v_mul_f32_e32 v24, v2, v24
	v_bfe_u32 v25, v24, 16, 1
	v_or_b32_e32 v26, 0x400000, v24
	v_cmp_u_f32_e32 vcc_lo, v24, v24
	v_add3_u32 v25, v25, v24, 0x7fff
	v_cndmask_b32_e32 v24, v25, v26, vcc_lo
	v_and_b32_e32 v5, 0xffff0000, v24
	v_add_f32_e32 v5, v5, v10
	v_add_f32_e32 v4, v4, v5
	buffer_load_dword v5, off, s[0:3], s32 offset:964 ; 4-byte Folded Reload
	s_waitcnt vmcnt(0)
	v_add_f32_e32 v5, v5, v4
	buffer_load_dword v4, off, s[0:3], s32 offset:460 ; 4-byte Folded Reload
	buffer_store_dword v5, off, s[0:3], s32 offset:964 ; 4-byte Folded Spill
	s_waitcnt vmcnt(0)
	v_lshlrev_b32_e32 v4, 16, v4
	v_mul_f32_e32 v4, v8, v4
	v_bfe_u32 v5, v4, 16, 1
	v_or_b32_e32 v10, 0x400000, v4
	v_cmp_u_f32_e32 vcc_lo, v4, v4
	v_add3_u32 v5, v5, v4, 0x7fff
	v_cndmask_b32_e32 v4, v5, v10, vcc_lo
	buffer_load_dword v5, off, s[0:3], s32 offset:456 ; 4-byte Folded Reload
	v_and_b32_e32 v4, 0xffff0000, v4
	s_waitcnt vmcnt(0)
	v_lshlrev_b32_e32 v5, 16, v5
	v_mul_f32_e32 v5, v9, v5
	v_bfe_u32 v10, v5, 16, 1
	v_or_b32_e32 v11, 0x400000, v5
	v_cmp_u_f32_e32 vcc_lo, v5, v5
	v_add3_u32 v10, v10, v5, 0x7fff
	v_cndmask_b32_e32 v5, v10, v11, vcc_lo
	buffer_load_dword v10, off, s[0:3], s32 offset:444 ; 4-byte Folded Reload
	v_and_b32_e32 v5, 0xffff0000, v5
	v_add_f32_e32 v4, v5, v4
	s_waitcnt vmcnt(0)
	v_lshlrev_b32_e32 v10, 16, v10
	v_mul_f32_e32 v10, v3, v10
	v_bfe_u32 v11, v10, 16, 1
	v_or_b32_e32 v16, 0x400000, v10
	v_cmp_u_f32_e32 vcc_lo, v10, v10
	v_add3_u32 v11, v11, v10, 0x7fff
	v_cndmask_b32_e32 v10, v11, v16, vcc_lo
	buffer_load_dword v11, off, s[0:3], s32 offset:448 ; 4-byte Folded Reload
	v_and_b32_e32 v10, 0xffff0000, v10
	s_waitcnt vmcnt(0)
	v_lshlrev_b32_e32 v11, 16, v11
	v_mul_f32_e32 v11, v7, v11
	v_bfe_u32 v16, v11, 16, 1
	v_or_b32_e32 v17, 0x400000, v11
	v_cmp_u_f32_e32 vcc_lo, v11, v11
	v_add3_u32 v16, v16, v11, 0x7fff
	v_cndmask_b32_e32 v11, v16, v17, vcc_lo
	buffer_load_dword v16, off, s[0:3], s32 offset:436 ; 4-byte Folded Reload
	v_and_b32_e32 v5, 0xffff0000, v11
	v_add_f32_e32 v5, v5, v10
	v_add_f32_e32 v4, v4, v5
	s_waitcnt vmcnt(0)
	v_lshlrev_b32_e32 v16, 16, v16
	v_mul_f32_e32 v16, v1, v16
	v_bfe_u32 v17, v16, 16, 1
	v_or_b32_e32 v22, 0x400000, v16
	v_cmp_u_f32_e32 vcc_lo, v16, v16
	v_add3_u32 v17, v17, v16, 0x7fff
	v_cndmask_b32_e32 v16, v17, v22, vcc_lo
	buffer_load_dword v17, off, s[0:3], s32 offset:432 ; 4-byte Folded Reload
	v_and_b32_e32 v10, 0xffff0000, v16
	s_waitcnt vmcnt(0)
	v_lshlrev_b32_e32 v17, 16, v17
	v_mul_f32_e32 v17, v6, v17
	v_bfe_u32 v22, v17, 16, 1
	v_or_b32_e32 v24, 0x400000, v17
	v_cmp_u_f32_e32 vcc_lo, v17, v17
	v_add3_u32 v22, v22, v17, 0x7fff
	v_cndmask_b32_e32 v17, v22, v24, vcc_lo
	buffer_load_dword v22, off, s[0:3], s32 offset:452 ; 4-byte Folded Reload
	v_and_b32_e32 v5, 0xffff0000, v17
	v_add_f32_e32 v5, v5, v10
	v_add_f32_e32 v4, v4, v5
	s_waitcnt vmcnt(0)
	v_lshlrev_b32_e32 v22, 16, v22
	v_mul_f32_e32 v22, v0, v22
	v_bfe_u32 v24, v22, 16, 1
	v_or_b32_e32 v25, 0x400000, v22
	v_cmp_u_f32_e32 vcc_lo, v22, v22
	v_add3_u32 v24, v24, v22, 0x7fff
	v_cndmask_b32_e32 v22, v24, v25, vcc_lo
	buffer_load_dword v24, off, s[0:3], s32 offset:440 ; 4-byte Folded Reload
	v_and_b32_e32 v10, 0xffff0000, v22
	s_waitcnt vmcnt(0)
	v_lshlrev_b32_e32 v24, 16, v24
	v_mul_f32_e32 v24, v2, v24
	v_bfe_u32 v25, v24, 16, 1
	v_or_b32_e32 v26, 0x400000, v24
	v_cmp_u_f32_e32 vcc_lo, v24, v24
	v_add3_u32 v25, v25, v24, 0x7fff
	v_cndmask_b32_e32 v24, v25, v26, vcc_lo
	v_and_b32_e32 v5, 0xffff0000, v24
	v_add_f32_e32 v5, v5, v10
	v_add_f32_e32 v4, v4, v5
	buffer_load_dword v5, off, s[0:3], s32 offset:968 ; 4-byte Folded Reload
	s_waitcnt vmcnt(0)
	v_add_f32_e32 v5, v5, v4
	buffer_load_dword v4, off, s[0:3], s32 offset:428 ; 4-byte Folded Reload
	buffer_store_dword v5, off, s[0:3], s32 offset:968 ; 4-byte Folded Spill
	s_waitcnt vmcnt(0)
	v_lshlrev_b32_e32 v4, 16, v4
	v_mul_f32_e32 v4, v8, v4
	v_bfe_u32 v5, v4, 16, 1
	v_or_b32_e32 v10, 0x400000, v4
	v_cmp_u_f32_e32 vcc_lo, v4, v4
	v_add3_u32 v5, v5, v4, 0x7fff
	v_cndmask_b32_e32 v4, v5, v10, vcc_lo
	buffer_load_dword v5, off, s[0:3], s32 offset:424 ; 4-byte Folded Reload
	v_and_b32_e32 v4, 0xffff0000, v4
	s_waitcnt vmcnt(0)
	v_lshlrev_b32_e32 v5, 16, v5
	v_mul_f32_e32 v5, v9, v5
	v_bfe_u32 v10, v5, 16, 1
	v_or_b32_e32 v11, 0x400000, v5
	v_cmp_u_f32_e32 vcc_lo, v5, v5
	v_add3_u32 v10, v10, v5, 0x7fff
	v_cndmask_b32_e32 v5, v10, v11, vcc_lo
	buffer_load_dword v10, off, s[0:3], s32 offset:416 ; 4-byte Folded Reload
	v_and_b32_e32 v5, 0xffff0000, v5
	v_add_f32_e32 v4, v5, v4
	s_waitcnt vmcnt(0)
	v_lshlrev_b32_e32 v10, 16, v10
	v_mul_f32_e32 v10, v3, v10
	v_bfe_u32 v11, v10, 16, 1
	v_or_b32_e32 v16, 0x400000, v10
	v_cmp_u_f32_e32 vcc_lo, v10, v10
	v_add3_u32 v11, v11, v10, 0x7fff
	v_cndmask_b32_e32 v10, v11, v16, vcc_lo
	buffer_load_dword v11, off, s[0:3], s32 offset:412 ; 4-byte Folded Reload
	v_and_b32_e32 v10, 0xffff0000, v10
	s_waitcnt vmcnt(0)
	v_lshlrev_b32_e32 v11, 16, v11
	v_mul_f32_e32 v11, v7, v11
	v_bfe_u32 v16, v11, 16, 1
	v_or_b32_e32 v17, 0x400000, v11
	v_cmp_u_f32_e32 vcc_lo, v11, v11
	v_add3_u32 v16, v16, v11, 0x7fff
	v_cndmask_b32_e32 v11, v16, v17, vcc_lo
	buffer_load_dword v16, off, s[0:3], s32 offset:404 ; 4-byte Folded Reload
	v_and_b32_e32 v5, 0xffff0000, v11
	v_add_f32_e32 v5, v5, v10
	v_add_f32_e32 v4, v4, v5
	s_waitcnt vmcnt(0)
	v_lshlrev_b32_e32 v16, 16, v16
	v_mul_f32_e32 v16, v1, v16
	v_bfe_u32 v17, v16, 16, 1
	v_or_b32_e32 v22, 0x400000, v16
	v_cmp_u_f32_e32 vcc_lo, v16, v16
	v_add3_u32 v17, v17, v16, 0x7fff
	v_cndmask_b32_e32 v16, v17, v22, vcc_lo
	buffer_load_dword v17, off, s[0:3], s32 offset:400 ; 4-byte Folded Reload
	v_and_b32_e32 v10, 0xffff0000, v16
	s_waitcnt vmcnt(0)
	v_lshlrev_b32_e32 v17, 16, v17
	v_mul_f32_e32 v17, v6, v17
	v_bfe_u32 v22, v17, 16, 1
	v_or_b32_e32 v24, 0x400000, v17
	v_cmp_u_f32_e32 vcc_lo, v17, v17
	v_add3_u32 v22, v22, v17, 0x7fff
	v_cndmask_b32_e32 v17, v22, v24, vcc_lo
	buffer_load_dword v22, off, s[0:3], s32 offset:420 ; 4-byte Folded Reload
	v_and_b32_e32 v5, 0xffff0000, v17
	v_add_f32_e32 v5, v5, v10
	v_add_f32_e32 v4, v4, v5
	s_waitcnt vmcnt(0)
	v_lshlrev_b32_e32 v22, 16, v22
	v_mul_f32_e32 v22, v0, v22
	v_bfe_u32 v24, v22, 16, 1
	v_or_b32_e32 v25, 0x400000, v22
	v_cmp_u_f32_e32 vcc_lo, v22, v22
	v_add3_u32 v24, v24, v22, 0x7fff
	v_cndmask_b32_e32 v22, v24, v25, vcc_lo
	buffer_load_dword v24, off, s[0:3], s32 offset:408 ; 4-byte Folded Reload
	v_and_b32_e32 v10, 0xffff0000, v22
	s_waitcnt vmcnt(0)
	v_lshlrev_b32_e32 v24, 16, v24
	v_mul_f32_e32 v24, v2, v24
	v_bfe_u32 v25, v24, 16, 1
	v_or_b32_e32 v26, 0x400000, v24
	v_cmp_u_f32_e32 vcc_lo, v24, v24
	v_add3_u32 v25, v25, v24, 0x7fff
	v_cndmask_b32_e32 v24, v25, v26, vcc_lo
	v_and_b32_e32 v5, 0xffff0000, v24
	v_add_f32_e32 v5, v5, v10
	v_add_f32_e32 v4, v4, v5
	buffer_load_dword v5, off, s[0:3], s32 offset:972 ; 4-byte Folded Reload
	s_waitcnt vmcnt(0)
	v_add_f32_e32 v5, v5, v4
	buffer_load_dword v4, off, s[0:3], s32 offset:396 ; 4-byte Folded Reload
	buffer_store_dword v5, off, s[0:3], s32 offset:972 ; 4-byte Folded Spill
	s_waitcnt vmcnt(0)
	v_lshlrev_b32_e32 v4, 16, v4
	v_mul_f32_e32 v4, v8, v4
	v_bfe_u32 v5, v4, 16, 1
	v_or_b32_e32 v10, 0x400000, v4
	v_cmp_u_f32_e32 vcc_lo, v4, v4
	v_add3_u32 v5, v5, v4, 0x7fff
	v_cndmask_b32_e32 v4, v5, v10, vcc_lo
	buffer_load_dword v5, off, s[0:3], s32 offset:392 ; 4-byte Folded Reload
	v_and_b32_e32 v4, 0xffff0000, v4
	s_waitcnt vmcnt(0)
	v_lshlrev_b32_e32 v5, 16, v5
	v_mul_f32_e32 v5, v9, v5
	v_bfe_u32 v10, v5, 16, 1
	v_or_b32_e32 v11, 0x400000, v5
	v_cmp_u_f32_e32 vcc_lo, v5, v5
	v_add3_u32 v10, v10, v5, 0x7fff
	v_cndmask_b32_e32 v5, v10, v11, vcc_lo
	buffer_load_dword v10, off, s[0:3], s32 offset:380 ; 4-byte Folded Reload
	v_and_b32_e32 v5, 0xffff0000, v5
	v_add_f32_e32 v4, v5, v4
	s_waitcnt vmcnt(0)
	v_lshlrev_b32_e32 v10, 16, v10
	v_mul_f32_e32 v10, v3, v10
	v_bfe_u32 v11, v10, 16, 1
	v_or_b32_e32 v16, 0x400000, v10
	v_cmp_u_f32_e32 vcc_lo, v10, v10
	v_add3_u32 v11, v11, v10, 0x7fff
	v_cndmask_b32_e32 v10, v11, v16, vcc_lo
	buffer_load_dword v11, off, s[0:3], s32 offset:384 ; 4-byte Folded Reload
	v_and_b32_e32 v10, 0xffff0000, v10
	s_waitcnt vmcnt(0)
	v_lshlrev_b32_e32 v11, 16, v11
	v_mul_f32_e32 v11, v7, v11
	v_bfe_u32 v16, v11, 16, 1
	v_or_b32_e32 v17, 0x400000, v11
	v_cmp_u_f32_e32 vcc_lo, v11, v11
	v_add3_u32 v16, v16, v11, 0x7fff
	v_cndmask_b32_e32 v11, v16, v17, vcc_lo
	buffer_load_dword v16, off, s[0:3], s32 offset:372 ; 4-byte Folded Reload
	v_and_b32_e32 v5, 0xffff0000, v11
	v_add_f32_e32 v5, v5, v10
	v_add_f32_e32 v4, v4, v5
	s_waitcnt vmcnt(0)
	v_lshlrev_b32_e32 v16, 16, v16
	v_mul_f32_e32 v16, v1, v16
	v_bfe_u32 v17, v16, 16, 1
	v_or_b32_e32 v22, 0x400000, v16
	v_cmp_u_f32_e32 vcc_lo, v16, v16
	v_add3_u32 v17, v17, v16, 0x7fff
	v_cndmask_b32_e32 v16, v17, v22, vcc_lo
	buffer_load_dword v17, off, s[0:3], s32 offset:368 ; 4-byte Folded Reload
	v_and_b32_e32 v10, 0xffff0000, v16
	s_waitcnt vmcnt(0)
	v_lshlrev_b32_e32 v17, 16, v17
	v_mul_f32_e32 v17, v6, v17
	v_bfe_u32 v22, v17, 16, 1
	v_or_b32_e32 v24, 0x400000, v17
	v_cmp_u_f32_e32 vcc_lo, v17, v17
	v_add3_u32 v22, v22, v17, 0x7fff
	v_cndmask_b32_e32 v17, v22, v24, vcc_lo
	buffer_load_dword v22, off, s[0:3], s32 offset:388 ; 4-byte Folded Reload
	v_and_b32_e32 v5, 0xffff0000, v17
	v_add_f32_e32 v5, v5, v10
	v_add_f32_e32 v4, v4, v5
	s_waitcnt vmcnt(0)
	v_lshlrev_b32_e32 v22, 16, v22
	v_mul_f32_e32 v22, v0, v22
	v_bfe_u32 v24, v22, 16, 1
	v_or_b32_e32 v25, 0x400000, v22
	v_cmp_u_f32_e32 vcc_lo, v22, v22
	v_add3_u32 v24, v24, v22, 0x7fff
	v_cndmask_b32_e32 v22, v24, v25, vcc_lo
	buffer_load_dword v24, off, s[0:3], s32 offset:376 ; 4-byte Folded Reload
	v_and_b32_e32 v10, 0xffff0000, v22
	s_waitcnt vmcnt(0)
	v_lshlrev_b32_e32 v24, 16, v24
	v_mul_f32_e32 v24, v2, v24
	v_bfe_u32 v25, v24, 16, 1
	v_or_b32_e32 v26, 0x400000, v24
	v_cmp_u_f32_e32 vcc_lo, v24, v24
	v_add3_u32 v25, v25, v24, 0x7fff
	v_cndmask_b32_e32 v24, v25, v26, vcc_lo
	v_and_b32_e32 v5, 0xffff0000, v24
	v_add_f32_e32 v5, v5, v10
	v_add_f32_e32 v4, v4, v5
	buffer_load_dword v5, off, s[0:3], s32 offset:976 ; 4-byte Folded Reload
	s_waitcnt vmcnt(0)
	v_add_f32_e32 v5, v5, v4
	buffer_load_dword v4, off, s[0:3], s32 offset:364 ; 4-byte Folded Reload
	buffer_store_dword v5, off, s[0:3], s32 offset:976 ; 4-byte Folded Spill
	s_waitcnt vmcnt(0)
	v_lshlrev_b32_e32 v4, 16, v4
	v_mul_f32_e32 v4, v8, v4
	v_bfe_u32 v5, v4, 16, 1
	v_or_b32_e32 v10, 0x400000, v4
	v_cmp_u_f32_e32 vcc_lo, v4, v4
	v_add3_u32 v5, v5, v4, 0x7fff
	v_cndmask_b32_e32 v4, v5, v10, vcc_lo
	buffer_load_dword v5, off, s[0:3], s32 offset:360 ; 4-byte Folded Reload
	v_and_b32_e32 v4, 0xffff0000, v4
	s_waitcnt vmcnt(0)
	v_lshlrev_b32_e32 v5, 16, v5
	v_mul_f32_e32 v5, v9, v5
	v_bfe_u32 v10, v5, 16, 1
	v_or_b32_e32 v11, 0x400000, v5
	v_cmp_u_f32_e32 vcc_lo, v5, v5
	v_add3_u32 v10, v10, v5, 0x7fff
	v_cndmask_b32_e32 v5, v10, v11, vcc_lo
	buffer_load_dword v10, off, s[0:3], s32 offset:352 ; 4-byte Folded Reload
	v_and_b32_e32 v5, 0xffff0000, v5
	v_add_f32_e32 v4, v5, v4
	s_waitcnt vmcnt(0)
	v_lshlrev_b32_e32 v10, 16, v10
	v_mul_f32_e32 v10, v3, v10
	v_bfe_u32 v11, v10, 16, 1
	v_or_b32_e32 v16, 0x400000, v10
	v_cmp_u_f32_e32 vcc_lo, v10, v10
	v_add3_u32 v11, v11, v10, 0x7fff
	v_cndmask_b32_e32 v10, v11, v16, vcc_lo
	buffer_load_dword v11, off, s[0:3], s32 offset:356 ; 4-byte Folded Reload
	v_and_b32_e32 v10, 0xffff0000, v10
	s_waitcnt vmcnt(0)
	v_lshlrev_b32_e32 v11, 16, v11
	v_mul_f32_e32 v11, v7, v11
	v_bfe_u32 v16, v11, 16, 1
	v_or_b32_e32 v17, 0x400000, v11
	v_cmp_u_f32_e32 vcc_lo, v11, v11
	v_add3_u32 v16, v16, v11, 0x7fff
	v_cndmask_b32_e32 v11, v16, v17, vcc_lo
	buffer_load_dword v16, off, s[0:3], s32 offset:348 ; 4-byte Folded Reload
	v_and_b32_e32 v5, 0xffff0000, v11
	v_add_f32_e32 v5, v5, v10
	v_add_f32_e32 v4, v4, v5
	s_waitcnt vmcnt(0)
	v_lshlrev_b32_e32 v16, 16, v16
	v_mul_f32_e32 v16, v1, v16
	v_bfe_u32 v17, v16, 16, 1
	v_or_b32_e32 v22, 0x400000, v16
	v_cmp_u_f32_e32 vcc_lo, v16, v16
	v_add3_u32 v17, v17, v16, 0x7fff
	v_cndmask_b32_e32 v16, v17, v22, vcc_lo
	buffer_load_dword v17, off, s[0:3], s32 offset:340 ; 4-byte Folded Reload
	v_and_b32_e32 v10, 0xffff0000, v16
	s_waitcnt vmcnt(0)
	v_lshlrev_b32_e32 v17, 16, v17
	v_mul_f32_e32 v17, v6, v17
	v_bfe_u32 v22, v17, 16, 1
	v_or_b32_e32 v24, 0x400000, v17
	v_cmp_u_f32_e32 vcc_lo, v17, v17
	v_add3_u32 v22, v22, v17, 0x7fff
	v_cndmask_b32_e32 v17, v22, v24, vcc_lo
	buffer_load_dword v22, off, s[0:3], s32 offset:344 ; 4-byte Folded Reload
	v_and_b32_e32 v5, 0xffff0000, v17
	v_add_f32_e32 v5, v5, v10
	v_add_f32_e32 v4, v4, v5
	s_waitcnt vmcnt(0)
	v_lshlrev_b32_e32 v22, 16, v22
	v_mul_f32_e32 v22, v0, v22
	v_bfe_u32 v24, v22, 16, 1
	v_or_b32_e32 v25, 0x400000, v22
	v_cmp_u_f32_e32 vcc_lo, v22, v22
	v_add3_u32 v24, v24, v22, 0x7fff
	v_cndmask_b32_e32 v22, v24, v25, vcc_lo
	buffer_load_dword v24, off, s[0:3], s32 offset:336 ; 4-byte Folded Reload
	v_and_b32_e32 v10, 0xffff0000, v22
	s_waitcnt vmcnt(0)
	v_lshlrev_b32_e32 v24, 16, v24
	v_mul_f32_e32 v24, v2, v24
	v_bfe_u32 v25, v24, 16, 1
	v_or_b32_e32 v26, 0x400000, v24
	v_cmp_u_f32_e32 vcc_lo, v24, v24
	v_add3_u32 v25, v25, v24, 0x7fff
	v_cndmask_b32_e32 v24, v25, v26, vcc_lo
	v_and_b32_e32 v5, 0xffff0000, v24
	v_add_f32_e32 v5, v5, v10
	v_add_f32_e32 v4, v4, v5
	buffer_load_dword v5, off, s[0:3], s32 offset:980 ; 4-byte Folded Reload
	s_waitcnt vmcnt(0)
	v_add_f32_e32 v5, v5, v4
	buffer_load_dword v4, off, s[0:3], s32 offset:332 ; 4-byte Folded Reload
	buffer_store_dword v5, off, s[0:3], s32 offset:980 ; 4-byte Folded Spill
	s_waitcnt vmcnt(0)
	v_lshlrev_b32_e32 v4, 16, v4
	v_mul_f32_e32 v4, v8, v4
	v_bfe_u32 v5, v4, 16, 1
	v_or_b32_e32 v10, 0x400000, v4
	v_cmp_u_f32_e32 vcc_lo, v4, v4
	v_add3_u32 v5, v5, v4, 0x7fff
	v_cndmask_b32_e32 v4, v5, v10, vcc_lo
	buffer_load_dword v5, off, s[0:3], s32 offset:328 ; 4-byte Folded Reload
	v_and_b32_e32 v4, 0xffff0000, v4
	s_waitcnt vmcnt(0)
	v_lshlrev_b32_e32 v5, 16, v5
	v_mul_f32_e32 v5, v9, v5
	v_bfe_u32 v10, v5, 16, 1
	v_or_b32_e32 v11, 0x400000, v5
	v_cmp_u_f32_e32 vcc_lo, v5, v5
	v_add3_u32 v10, v10, v5, 0x7fff
	v_cndmask_b32_e32 v5, v10, v11, vcc_lo
	buffer_load_dword v10, off, s[0:3], s32 offset:320 ; 4-byte Folded Reload
	v_and_b32_e32 v5, 0xffff0000, v5
	v_add_f32_e32 v4, v5, v4
	s_waitcnt vmcnt(0)
	v_lshlrev_b32_e32 v10, 16, v10
	v_mul_f32_e32 v10, v3, v10
	v_bfe_u32 v11, v10, 16, 1
	v_or_b32_e32 v16, 0x400000, v10
	v_cmp_u_f32_e32 vcc_lo, v10, v10
	v_add3_u32 v11, v11, v10, 0x7fff
	v_cndmask_b32_e32 v10, v11, v16, vcc_lo
	buffer_load_dword v11, off, s[0:3], s32 offset:324 ; 4-byte Folded Reload
	v_and_b32_e32 v10, 0xffff0000, v10
	s_waitcnt vmcnt(0)
	v_lshlrev_b32_e32 v11, 16, v11
	v_mul_f32_e32 v11, v7, v11
	v_bfe_u32 v16, v11, 16, 1
	v_or_b32_e32 v17, 0x400000, v11
	v_cmp_u_f32_e32 vcc_lo, v11, v11
	v_add3_u32 v16, v16, v11, 0x7fff
	v_cndmask_b32_e32 v11, v16, v17, vcc_lo
	buffer_load_dword v16, off, s[0:3], s32 offset:316 ; 4-byte Folded Reload
	v_and_b32_e32 v5, 0xffff0000, v11
	v_add_f32_e32 v5, v5, v10
	v_add_f32_e32 v4, v4, v5
	s_waitcnt vmcnt(0)
	v_lshlrev_b32_e32 v16, 16, v16
	v_mul_f32_e32 v16, v1, v16
	v_bfe_u32 v17, v16, 16, 1
	v_or_b32_e32 v22, 0x400000, v16
	v_cmp_u_f32_e32 vcc_lo, v16, v16
	v_add3_u32 v17, v17, v16, 0x7fff
	v_cndmask_b32_e32 v16, v17, v22, vcc_lo
	buffer_load_dword v17, off, s[0:3], s32 offset:308 ; 4-byte Folded Reload
	v_and_b32_e32 v10, 0xffff0000, v16
	s_waitcnt vmcnt(0)
	v_lshlrev_b32_e32 v17, 16, v17
	v_mul_f32_e32 v17, v6, v17
	v_bfe_u32 v22, v17, 16, 1
	v_or_b32_e32 v24, 0x400000, v17
	v_cmp_u_f32_e32 vcc_lo, v17, v17
	v_add3_u32 v22, v22, v17, 0x7fff
	v_cndmask_b32_e32 v17, v22, v24, vcc_lo
	buffer_load_dword v22, off, s[0:3], s32 offset:312 ; 4-byte Folded Reload
	v_and_b32_e32 v5, 0xffff0000, v17
	v_add_f32_e32 v5, v5, v10
	v_add_f32_e32 v4, v4, v5
	s_waitcnt vmcnt(0)
	v_lshlrev_b32_e32 v22, 16, v22
	v_mul_f32_e32 v22, v0, v22
	v_bfe_u32 v24, v22, 16, 1
	v_or_b32_e32 v25, 0x400000, v22
	v_cmp_u_f32_e32 vcc_lo, v22, v22
	v_add3_u32 v24, v24, v22, 0x7fff
	v_cndmask_b32_e32 v22, v24, v25, vcc_lo
	buffer_load_dword v24, off, s[0:3], s32 offset:304 ; 4-byte Folded Reload
	v_and_b32_e32 v10, 0xffff0000, v22
	s_waitcnt vmcnt(0)
	v_lshlrev_b32_e32 v24, 16, v24
	v_mul_f32_e32 v24, v2, v24
	v_bfe_u32 v25, v24, 16, 1
	v_or_b32_e32 v26, 0x400000, v24
	v_cmp_u_f32_e32 vcc_lo, v24, v24
	v_add3_u32 v25, v25, v24, 0x7fff
	v_cndmask_b32_e32 v24, v25, v26, vcc_lo
	v_and_b32_e32 v5, 0xffff0000, v24
	v_add_f32_e32 v5, v5, v10
	v_add_f32_e32 v4, v4, v5
	buffer_load_dword v5, off, s[0:3], s32 offset:984 ; 4-byte Folded Reload
	s_waitcnt vmcnt(0)
	v_add_f32_e32 v5, v5, v4
	buffer_load_dword v4, off, s[0:3], s32 offset:300 ; 4-byte Folded Reload
	buffer_store_dword v5, off, s[0:3], s32 offset:984 ; 4-byte Folded Spill
	s_waitcnt vmcnt(0)
	v_lshlrev_b32_e32 v4, 16, v4
	v_mul_f32_e32 v4, v8, v4
	v_bfe_u32 v5, v4, 16, 1
	v_or_b32_e32 v10, 0x400000, v4
	v_cmp_u_f32_e32 vcc_lo, v4, v4
	v_add3_u32 v5, v5, v4, 0x7fff
	v_cndmask_b32_e32 v4, v5, v10, vcc_lo
	buffer_load_dword v5, off, s[0:3], s32 offset:296 ; 4-byte Folded Reload
	v_and_b32_e32 v4, 0xffff0000, v4
	s_waitcnt vmcnt(0)
	v_lshlrev_b32_e32 v5, 16, v5
	v_mul_f32_e32 v5, v9, v5
	v_bfe_u32 v10, v5, 16, 1
	v_or_b32_e32 v11, 0x400000, v5
	v_cmp_u_f32_e32 vcc_lo, v5, v5
	v_add3_u32 v10, v10, v5, 0x7fff
	v_cndmask_b32_e32 v5, v10, v11, vcc_lo
	buffer_load_dword v10, off, s[0:3], s32 offset:288 ; 4-byte Folded Reload
	v_and_b32_e32 v5, 0xffff0000, v5
	v_add_f32_e32 v4, v5, v4
	s_waitcnt vmcnt(0)
	v_lshlrev_b32_e32 v10, 16, v10
	v_mul_f32_e32 v10, v3, v10
	v_bfe_u32 v11, v10, 16, 1
	v_or_b32_e32 v16, 0x400000, v10
	v_cmp_u_f32_e32 vcc_lo, v10, v10
	v_add3_u32 v11, v11, v10, 0x7fff
	v_cndmask_b32_e32 v10, v11, v16, vcc_lo
	buffer_load_dword v11, off, s[0:3], s32 offset:292 ; 4-byte Folded Reload
	v_and_b32_e32 v10, 0xffff0000, v10
	s_waitcnt vmcnt(0)
	v_lshlrev_b32_e32 v11, 16, v11
	v_mul_f32_e32 v11, v7, v11
	v_bfe_u32 v16, v11, 16, 1
	v_or_b32_e32 v17, 0x400000, v11
	v_cmp_u_f32_e32 vcc_lo, v11, v11
	v_add3_u32 v16, v16, v11, 0x7fff
	v_cndmask_b32_e32 v11, v16, v17, vcc_lo
	buffer_load_dword v16, off, s[0:3], s32 offset:284 ; 4-byte Folded Reload
	v_and_b32_e32 v5, 0xffff0000, v11
	v_add_f32_e32 v5, v5, v10
	v_add_f32_e32 v4, v4, v5
	s_waitcnt vmcnt(0)
	v_lshlrev_b32_e32 v16, 16, v16
	v_mul_f32_e32 v16, v1, v16
	v_bfe_u32 v17, v16, 16, 1
	v_or_b32_e32 v22, 0x400000, v16
	v_cmp_u_f32_e32 vcc_lo, v16, v16
	v_add3_u32 v17, v17, v16, 0x7fff
	v_cndmask_b32_e32 v16, v17, v22, vcc_lo
	buffer_load_dword v17, off, s[0:3], s32 offset:276 ; 4-byte Folded Reload
	v_and_b32_e32 v10, 0xffff0000, v16
	s_waitcnt vmcnt(0)
	v_lshlrev_b32_e32 v17, 16, v17
	v_mul_f32_e32 v17, v6, v17
	v_bfe_u32 v22, v17, 16, 1
	v_or_b32_e32 v24, 0x400000, v17
	v_cmp_u_f32_e32 vcc_lo, v17, v17
	v_add3_u32 v22, v22, v17, 0x7fff
	v_cndmask_b32_e32 v17, v22, v24, vcc_lo
	buffer_load_dword v22, off, s[0:3], s32 offset:280 ; 4-byte Folded Reload
	v_and_b32_e32 v5, 0xffff0000, v17
	v_add_f32_e32 v5, v5, v10
	v_add_f32_e32 v4, v4, v5
	s_waitcnt vmcnt(0)
	v_lshlrev_b32_e32 v22, 16, v22
	v_mul_f32_e32 v22, v0, v22
	v_bfe_u32 v24, v22, 16, 1
	v_or_b32_e32 v25, 0x400000, v22
	v_cmp_u_f32_e32 vcc_lo, v22, v22
	v_add3_u32 v24, v24, v22, 0x7fff
	v_cndmask_b32_e32 v22, v24, v25, vcc_lo
	buffer_load_dword v24, off, s[0:3], s32 offset:272 ; 4-byte Folded Reload
	v_and_b32_e32 v10, 0xffff0000, v22
	s_waitcnt vmcnt(0)
	v_lshlrev_b32_e32 v24, 16, v24
	v_mul_f32_e32 v24, v2, v24
	v_bfe_u32 v25, v24, 16, 1
	v_or_b32_e32 v26, 0x400000, v24
	v_cmp_u_f32_e32 vcc_lo, v24, v24
	v_add3_u32 v25, v25, v24, 0x7fff
	v_cndmask_b32_e32 v24, v25, v26, vcc_lo
	v_and_b32_e32 v5, 0xffff0000, v24
	v_add_f32_e32 v5, v5, v10
	v_add_f32_e32 v4, v4, v5
	buffer_load_dword v5, off, s[0:3], s32 offset:988 ; 4-byte Folded Reload
	s_waitcnt vmcnt(0)
	v_add_f32_e32 v5, v5, v4
	buffer_load_dword v4, off, s[0:3], s32 offset:268 ; 4-byte Folded Reload
	buffer_store_dword v5, off, s[0:3], s32 offset:988 ; 4-byte Folded Spill
	s_waitcnt vmcnt(0)
	v_lshlrev_b32_e32 v4, 16, v4
	v_mul_f32_e32 v4, v8, v4
	v_bfe_u32 v5, v4, 16, 1
	v_or_b32_e32 v10, 0x400000, v4
	v_cmp_u_f32_e32 vcc_lo, v4, v4
	v_add3_u32 v5, v5, v4, 0x7fff
	v_cndmask_b32_e32 v4, v5, v10, vcc_lo
	buffer_load_dword v5, off, s[0:3], s32 offset:264 ; 4-byte Folded Reload
	v_and_b32_e32 v4, 0xffff0000, v4
	s_waitcnt vmcnt(0)
	v_lshlrev_b32_e32 v5, 16, v5
	v_mul_f32_e32 v5, v9, v5
	v_bfe_u32 v10, v5, 16, 1
	v_or_b32_e32 v11, 0x400000, v5
	v_cmp_u_f32_e32 vcc_lo, v5, v5
	v_add3_u32 v10, v10, v5, 0x7fff
	v_cndmask_b32_e32 v5, v10, v11, vcc_lo
	buffer_load_dword v10, off, s[0:3], s32 offset:256 ; 4-byte Folded Reload
	v_and_b32_e32 v5, 0xffff0000, v5
	v_add_f32_e32 v4, v5, v4
	s_waitcnt vmcnt(0)
	v_lshlrev_b32_e32 v10, 16, v10
	v_mul_f32_e32 v10, v3, v10
	v_bfe_u32 v11, v10, 16, 1
	v_or_b32_e32 v16, 0x400000, v10
	v_cmp_u_f32_e32 vcc_lo, v10, v10
	v_add3_u32 v11, v11, v10, 0x7fff
	v_cndmask_b32_e32 v10, v11, v16, vcc_lo
	buffer_load_dword v11, off, s[0:3], s32 offset:260 ; 4-byte Folded Reload
	v_and_b32_e32 v10, 0xffff0000, v10
	s_waitcnt vmcnt(0)
	v_lshlrev_b32_e32 v11, 16, v11
	v_mul_f32_e32 v11, v7, v11
	v_bfe_u32 v16, v11, 16, 1
	v_or_b32_e32 v17, 0x400000, v11
	v_cmp_u_f32_e32 vcc_lo, v11, v11
	v_add3_u32 v16, v16, v11, 0x7fff
	v_cndmask_b32_e32 v11, v16, v17, vcc_lo
	buffer_load_dword v16, off, s[0:3], s32 offset:252 ; 4-byte Folded Reload
	v_and_b32_e32 v5, 0xffff0000, v11
	v_add_f32_e32 v5, v5, v10
	v_add_f32_e32 v4, v4, v5
	s_waitcnt vmcnt(0)
	v_lshlrev_b32_e32 v16, 16, v16
	v_mul_f32_e32 v16, v1, v16
	v_bfe_u32 v17, v16, 16, 1
	v_or_b32_e32 v22, 0x400000, v16
	v_cmp_u_f32_e32 vcc_lo, v16, v16
	v_add3_u32 v17, v17, v16, 0x7fff
	v_cndmask_b32_e32 v16, v17, v22, vcc_lo
	buffer_load_dword v17, off, s[0:3], s32 offset:244 ; 4-byte Folded Reload
	v_and_b32_e32 v10, 0xffff0000, v16
	s_waitcnt vmcnt(0)
	v_lshlrev_b32_e32 v17, 16, v17
	v_mul_f32_e32 v17, v6, v17
	v_bfe_u32 v22, v17, 16, 1
	v_or_b32_e32 v24, 0x400000, v17
	v_cmp_u_f32_e32 vcc_lo, v17, v17
	v_add3_u32 v22, v22, v17, 0x7fff
	v_cndmask_b32_e32 v17, v22, v24, vcc_lo
	buffer_load_dword v22, off, s[0:3], s32 offset:248 ; 4-byte Folded Reload
	v_and_b32_e32 v5, 0xffff0000, v17
	v_add_f32_e32 v5, v5, v10
	v_add_f32_e32 v4, v4, v5
	s_waitcnt vmcnt(0)
	v_lshlrev_b32_e32 v22, 16, v22
	v_mul_f32_e32 v22, v0, v22
	v_bfe_u32 v24, v22, 16, 1
	v_or_b32_e32 v25, 0x400000, v22
	v_cmp_u_f32_e32 vcc_lo, v22, v22
	v_add3_u32 v24, v24, v22, 0x7fff
	v_cndmask_b32_e32 v22, v24, v25, vcc_lo
	buffer_load_dword v24, off, s[0:3], s32 offset:208 ; 4-byte Folded Reload
	v_and_b32_e32 v10, 0xffff0000, v22
	s_waitcnt vmcnt(0)
	v_lshlrev_b32_e32 v24, 16, v24
	v_mul_f32_e32 v24, v2, v24
	v_bfe_u32 v25, v24, 16, 1
	v_or_b32_e32 v26, 0x400000, v24
	v_cmp_u_f32_e32 vcc_lo, v24, v24
	v_add3_u32 v25, v25, v24, 0x7fff
	v_cndmask_b32_e32 v24, v25, v26, vcc_lo
	v_and_b32_e32 v5, 0xffff0000, v24
	v_add_f32_e32 v5, v5, v10
	v_add_f32_e32 v4, v4, v5
	buffer_load_dword v5, off, s[0:3], s32 offset:992 ; 4-byte Folded Reload
	s_waitcnt vmcnt(0)
	v_add_f32_e32 v5, v5, v4
	v_lshlrev_b32_e32 v4, 16, v23
	buffer_store_dword v5, off, s[0:3], s32 offset:992 ; 4-byte Folded Spill
	v_mul_f32_e32 v4, v9, v4
	v_bfe_u32 v5, v4, 16, 1
	v_or_b32_e32 v9, 0x400000, v4
	v_cmp_u_f32_e32 vcc_lo, v4, v4
	v_add3_u32 v5, v5, v4, 0x7fff
	v_cndmask_b32_e32 v4, v5, v9, vcc_lo
	v_lshlrev_b32_e32 v5, 16, v21
	v_and_b32_e32 v4, 0xffff0000, v4
	v_mul_f32_e32 v5, v8, v5
	v_bfe_u32 v8, v5, 16, 1
	v_or_b32_e32 v9, 0x400000, v5
	v_cmp_u_f32_e32 vcc_lo, v5, v5
	v_add3_u32 v8, v8, v5, 0x7fff
	v_cndmask_b32_e32 v5, v8, v9, vcc_lo
	v_lshlrev_b32_e32 v8, 16, v19
	v_and_b32_e32 v5, 0xffff0000, v5
	v_mul_f32_e32 v7, v7, v8
	v_add_f32_e32 v4, v4, v5
	v_bfe_u32 v8, v7, 16, 1
	v_or_b32_e32 v9, 0x400000, v7
	v_cmp_u_f32_e32 vcc_lo, v7, v7
	v_add3_u32 v8, v8, v7, 0x7fff
	v_cndmask_b32_e32 v7, v8, v9, vcc_lo
	v_lshlrev_b32_e32 v8, 16, v15
	v_and_b32_e32 v5, 0xffff0000, v7
	v_mul_f32_e32 v3, v3, v8
	v_bfe_u32 v8, v3, 16, 1
	v_or_b32_e32 v9, 0x400000, v3
	v_cmp_u_f32_e32 vcc_lo, v3, v3
	v_add3_u32 v8, v8, v3, 0x7fff
	v_cndmask_b32_e32 v3, v8, v9, vcc_lo
	v_lshlrev_b32_e32 v8, 16, v14
	v_and_b32_e32 v3, 0xffff0000, v3
	v_mul_f32_e32 v6, v6, v8
	v_add_f32_e32 v3, v5, v3
	v_bfe_u32 v8, v6, 16, 1
	v_or_b32_e32 v9, 0x400000, v6
	v_cmp_u_f32_e32 vcc_lo, v6, v6
	v_add_f32_e32 v3, v4, v3
	v_add3_u32 v8, v8, v6, 0x7fff
	v_cndmask_b32_e32 v6, v8, v9, vcc_lo
	v_lshlrev_b32_e32 v8, 16, v12
	v_and_b32_e32 v4, 0xffff0000, v6
	v_mul_f32_e32 v1, v1, v8
	v_bfe_u32 v8, v1, 16, 1
	v_or_b32_e32 v9, 0x400000, v1
	v_cmp_u_f32_e32 vcc_lo, v1, v1
	v_add3_u32 v8, v8, v1, 0x7fff
	v_cndmask_b32_e32 v1, v8, v9, vcc_lo
	v_lshlrev_b32_e32 v8, 16, v18
	v_and_b32_e32 v1, 0xffff0000, v1
	v_mul_f32_e32 v2, v2, v8
	v_add_f32_e32 v1, v4, v1
	v_bfe_u32 v8, v2, 16, 1
	v_or_b32_e32 v9, 0x400000, v2
	v_cmp_u_f32_e32 vcc_lo, v2, v2
	v_add_f32_e32 v1, v3, v1
	v_add3_u32 v8, v8, v2, 0x7fff
	v_cndmask_b32_e32 v2, v8, v9, vcc_lo
	v_lshlrev_b32_e32 v8, 16, v20
	v_and_b32_e32 v2, 0xffff0000, v2
	v_mul_f32_e32 v0, v0, v8
	v_bfe_u32 v8, v0, 16, 1
	v_or_b32_e32 v9, 0x400000, v0
	v_cmp_u_f32_e32 vcc_lo, v0, v0
	v_add3_u32 v8, v8, v0, 0x7fff
	v_cndmask_b32_e32 v0, v8, v9, vcc_lo
	v_and_b32_e32 v0, 0xffff0000, v0
	v_add_f32_e32 v0, v2, v0
	v_add_f32_e32 v0, v1, v0
	v_add_f32_e32 v82, v82, v0
.LBB384_2085:                           ;   in Loop: Header=BB384_2086 Depth=1
	s_or_b32 exec_lo, exec_lo, s16
	s_clause 0x2
	buffer_load_dword v0, off, s[0:3], s32 offset:200
	buffer_load_dword v1, off, s[0:3], s32 offset:204
	;; [unrolled: 1-line block ×3, first 2 shown]
	s_waitcnt vmcnt(2)
	v_add_nc_u32_e32 v0, 4, v0
	s_waitcnt vmcnt(0)
	v_cmp_ge_i32_e32 vcc_lo, v0, v1
	s_or_b32 s15, vcc_lo, s15
	s_andn2_b32 exec_lo, exec_lo, s15
	s_cbranch_execz .LBB384_4199
.LBB384_2086:                           ; =>This Inner Loop Header: Depth=1
	s_waitcnt vmcnt(0)
	v_mov_b32_e32 v1, v0
	v_lshlrev_b32_e32 v0, 5, v0
	buffer_store_dword v1, off, s[0:3], s32 offset:200 ; 4-byte Folded Spill
	buffer_store_dword v2, off, s[0:3], s32 offset:204 ; 4-byte Folded Spill
	s_clause 0x2
	buffer_load_dword v2, off, s[0:3], s32 offset:236
	buffer_load_dword v5, off, s[0:3], s32 offset:216
	;; [unrolled: 1-line block ×3, first 2 shown]
	v_sub_nc_u32_e32 v1, 0, v0
	v_max_i32_e32 v1, v0, v1
	s_waitcnt vmcnt(2)
	v_mul_hi_u32 v2, v1, v2
	s_waitcnt vmcnt(1)
	v_mul_lo_u32 v3, v2, v5
	v_sub_nc_u32_e32 v1, v1, v3
	v_add_nc_u32_e32 v3, 1, v2
	v_sub_nc_u32_e32 v4, v1, v5
	v_cmp_ge_u32_e32 vcc_lo, v1, v5
	v_cndmask_b32_e32 v2, v2, v3, vcc_lo
	v_cndmask_b32_e32 v1, v1, v4, vcc_lo
	v_ashrrev_i32_e32 v3, 31, v0
	v_add_nc_u32_e32 v4, 1, v2
	v_cmp_ge_u32_e32 vcc_lo, v1, v5
	s_waitcnt vmcnt(0)
	v_xor_b32_e32 v3, v3, v6
	v_cndmask_b32_e32 v1, v2, v4, vcc_lo
	v_xor_b32_e32 v1, v1, v3
	v_sub_nc_u32_e32 v1, v1, v3
	s_clause 0x2
	buffer_load_dword v2, off, s[0:3], s32 offset:220
	buffer_load_dword v3, off, s[0:3], s32 offset:224
	;; [unrolled: 1-line block ×3, first 2 shown]
	s_waitcnt vmcnt(2)
	v_add_nc_u32_e32 v2, v1, v2
	s_waitcnt vmcnt(1)
	v_sub_nc_u32_e32 v3, 0, v2
	v_max_i32_e32 v3, v2, v3
	v_ashrrev_i32_e32 v2, 31, v2
	s_waitcnt vmcnt(0)
	v_mul_hi_u32 v4, v3, v4
	v_mul_lo_u32 v4, v4, v30
	v_sub_nc_u32_e32 v3, v3, v4
	v_sub_nc_u32_e32 v4, v3, v30
	v_cmp_ge_u32_e32 vcc_lo, v3, v30
	v_cndmask_b32_e32 v3, v3, v4, vcc_lo
	v_sub_nc_u32_e32 v4, v3, v30
	v_cmp_ge_u32_e32 vcc_lo, v3, v30
	v_cndmask_b32_e32 v3, v3, v4, vcc_lo
	v_xor_b32_e32 v3, v3, v2
	v_sub_nc_u32_e32 v2, v3, v2
	v_cmp_eq_u32_e32 vcc_lo, 0, v2
	buffer_load_dword v2, off, s[0:3], s32 offset:240 ; 4-byte Folded Reload
	s_waitcnt vmcnt(0)
	v_cmp_gt_i32_e64 s4, v1, v2
	s_or_b32 s4, vcc_lo, s4
	s_and_saveexec_b32 s16, s4
	s_cbranch_execz .LBB384_2085
; %bb.2087:                             ;   in Loop: Header=BB384_2086 Depth=1
	s_clause 0x1
	buffer_load_dword v1, off, s[0:3], s32 offset:200
	buffer_load_dword v2, off, s[0:3], s32 offset:204
	v_mov_b32_e32 v5, 0
	s_waitcnt vmcnt(0)
	v_mov_b32_e32 v2, v1
	v_ashrrev_i32_e32 v3, 31, v2
	buffer_store_dword v1, off, s[0:3], s32 offset:200 ; 4-byte Folded Spill
	buffer_store_dword v2, off, s[0:3], s32 offset:204 ; 4-byte Folded Spill
	v_lshlrev_b64 v[1:2], 2, v[2:3]
	buffer_load_dword v3, off, s[0:3], s32 offset:1000 ; 4-byte Folded Reload
	s_waitcnt vmcnt(0)
	v_add_co_u32 v1, vcc_lo, v3, v1
	buffer_load_dword v3, off, s[0:3], s32 offset:1004 ; 4-byte Folded Reload
	s_waitcnt vmcnt(0)
	v_add_co_ci_u32_e64 v2, null, v3, v2, vcc_lo
	flat_load_dword v1, v[1:2]
	s_clause 0x2
	buffer_load_dword v2, off, s[0:3], s32 offset:868
	buffer_load_dword v3, off, s[0:3], s32 offset:1008
	;; [unrolled: 1-line block ×3, first 2 shown]
	s_waitcnt vmcnt(0) lgkmcnt(0)
	v_mad_i64_i32 v[14:15], null, v1, v2, v[3:4]
	buffer_load_dword v1, off, s[0:3], s32 offset:1024 ; 4-byte Folded Reload
	v_mov_b32_e32 v4, 0
	s_waitcnt vmcnt(0)
	v_add_co_u32 v18, vcc_lo, v14, v1
	v_add_co_ci_u32_e64 v19, null, 0, v15, vcc_lo
	flat_load_dwordx2 v[20:21], v[18:19]
	s_clause 0x1
	buffer_load_dword v1, off, s[0:3], s32 offset:1276
	buffer_load_dword v2, off, s[0:3], s32 offset:1280
	s_waitcnt vmcnt(2) lgkmcnt(0)
	v_cmp_ne_u16_sdwa s17, v20, v13 src0_sel:BYTE_0 src1_sel:DWORD
	s_waitcnt vmcnt(0)
	flat_load_dword v115, v[1:2]
	buffer_load_dword v1, off, s[0:3], s32 offset:1020 ; 4-byte Folded Reload
	s_waitcnt vmcnt(0)
	v_or_b32_e32 v114, v0, v1
	v_lshl_add_u32 v0, v114, 2, s11
	ds_read2_b64 v[6:9], v0 offset1:1
	ds_read2_b64 v[0:3], v0 offset0:2 offset1:3
	s_and_saveexec_b32 s4, s17
	s_cbranch_execz .LBB384_2095
; %bb.2088:                             ;   in Loop: Header=BB384_2086 Depth=1
	v_cmp_ne_u16_sdwa s18, v20, v116 src0_sel:BYTE_0 src1_sel:DWORD
	v_bfrev_b32_e32 v4, 1
	s_and_saveexec_b32 s17, s18
	s_cbranch_execz .LBB384_2094
; %bb.2089:                             ;   in Loop: Header=BB384_2086 Depth=1
	v_and_b32_e32 v10, 0x7f, v20
	v_mov_b32_e32 v4, 0x7f800001
	s_mov_b32 s18, exec_lo
	v_cmpx_ne_u32_e32 0x7f, v10
	s_cbranch_execz .LBB384_2093
; %bb.2090:                             ;   in Loop: Header=BB384_2086 Depth=1
	v_mov_b32_e32 v24, v21
	v_lshrrev_b32_e32 v4, 3, v10
	v_mov_b32_e32 v23, v20
	s_mov_b32 s20, exec_lo
	v_cmpx_gt_u32_e32 8, v10
; %bb.2091:                             ;   in Loop: Header=BB384_2086 Depth=1
	v_and_b32_e32 v4, 7, v20
	v_ffbh_u32_e32 v4, v4
	v_min_u32_e32 v4, 32, v4
	v_subrev_nc_u32_e32 v10, 28, v4
	v_sub_nc_u32_e32 v4, 29, v4
	v_lshlrev_b64 v[23:24], v10, v[20:21]
; %bb.2092:                             ;   in Loop: Header=BB384_2086 Depth=1
	s_or_b32 exec_lo, exec_lo, s20
	v_lshlrev_b32_e32 v10, 20, v23
	v_lshlrev_b32_e32 v11, 24, v20
	v_lshl_add_u32 v4, v4, 23, 0x3c000000
	v_and_b32_e32 v10, 0x700000, v10
	v_and_b32_e32 v11, 0x80000000, v11
	v_or3_b32 v4, v10, v11, v4
.LBB384_2093:                           ;   in Loop: Header=BB384_2086 Depth=1
	s_or_b32 exec_lo, exec_lo, s18
.LBB384_2094:                           ;   in Loop: Header=BB384_2086 Depth=1
	s_or_b32 exec_lo, exec_lo, s17
.LBB384_2095:                           ;   in Loop: Header=BB384_2086 Depth=1
	s_or_b32 exec_lo, exec_lo, s4
	v_cmp_ne_u16_sdwa s17, v20, v13 src0_sel:BYTE_1 src1_sel:DWORD
	s_and_saveexec_b32 s4, s17
	s_cbranch_execz .LBB384_2103
; %bb.2096:                             ;   in Loop: Header=BB384_2086 Depth=1
	v_cmp_ne_u16_sdwa s18, v20, v116 src0_sel:BYTE_1 src1_sel:DWORD
	v_bfrev_b32_e32 v5, 1
	s_and_saveexec_b32 s17, s18
	s_cbranch_execz .LBB384_2102
; %bb.2097:                             ;   in Loop: Header=BB384_2086 Depth=1
	v_mov_b32_e32 v5, 0xffff
	s_mov_b32 s18, exec_lo
	v_and_b32_sdwa v11, v5, v20 dst_sel:DWORD dst_unused:UNUSED_PAD src0_sel:DWORD src1_sel:BYTE_1
	v_mov_b32_e32 v5, 0x7f800001
	v_and_b32_e32 v10, 0x7f, v11
	v_cmpx_ne_u32_e32 0x7f, v10
	s_cbranch_execz .LBB384_2101
; %bb.2098:                             ;   in Loop: Header=BB384_2086 Depth=1
	v_and_b32_e32 v12, 7, v11
	v_mov_b32_e32 v24, v13
	v_lshrrev_b32_e32 v5, 3, v10
	s_mov_b32 s20, exec_lo
	v_mov_b32_e32 v23, v12
	v_cmpx_gt_u32_e32 8, v10
; %bb.2099:                             ;   in Loop: Header=BB384_2086 Depth=1
	v_ffbh_u32_e32 v5, v12
	v_min_u32_e32 v5, 32, v5
	v_subrev_nc_u32_e32 v10, 28, v5
	v_sub_nc_u32_e32 v5, 29, v5
	v_lshlrev_b64 v[10:11], v10, v[12:13]
	v_and_b32_e32 v23, 7, v10
; %bb.2100:                             ;   in Loop: Header=BB384_2086 Depth=1
	s_or_b32 exec_lo, exec_lo, s20
	v_lshlrev_b32_e32 v10, 16, v20
	v_lshlrev_b32_e32 v11, 20, v23
	v_lshl_add_u32 v5, v5, 23, 0x3c000000
	v_and_b32_e32 v10, 0x80000000, v10
	v_or3_b32 v5, v11, v10, v5
.LBB384_2101:                           ;   in Loop: Header=BB384_2086 Depth=1
	s_or_b32 exec_lo, exec_lo, s18
.LBB384_2102:                           ;   in Loop: Header=BB384_2086 Depth=1
	s_or_b32 exec_lo, exec_lo, s17
.LBB384_2103:                           ;   in Loop: Header=BB384_2086 Depth=1
	s_or_b32 exec_lo, exec_lo, s4
	v_and_b32_sdwa v12, v20, v118 dst_sel:DWORD dst_unused:UNUSED_PAD src0_sel:WORD_1 src1_sel:DWORD
	v_mov_b32_e32 v11, 0
	v_mov_b32_e32 v10, 0
	s_mov_b32 s4, exec_lo
	v_cmpx_ne_u16_e32 0, v12
	s_cbranch_execz .LBB384_2111
; %bb.2104:                             ;   in Loop: Header=BB384_2086 Depth=1
	v_bfrev_b32_e32 v10, 1
	s_mov_b32 s17, exec_lo
	v_cmpx_ne_u16_e32 0x80, v12
	s_cbranch_execz .LBB384_2110
; %bb.2105:                             ;   in Loop: Header=BB384_2086 Depth=1
	v_bfe_u32 v16, v20, 16, 7
	v_mov_b32_e32 v10, 0x7f800001
	s_mov_b32 s18, exec_lo
	v_cmpx_ne_u32_e32 0x7f, v16
	s_cbranch_execz .LBB384_2109
; %bb.2106:                             ;   in Loop: Header=BB384_2086 Depth=1
	v_mov_b32_e32 v10, 7
	s_mov_b32 s20, exec_lo
	v_and_b32_sdwa v12, v20, v10 dst_sel:DWORD dst_unused:UNUSED_PAD src0_sel:WORD_1 src1_sel:DWORD
	v_mov_b32_e32 v24, v13
	v_lshrrev_b32_e32 v10, 3, v16
	v_mov_b32_e32 v23, v12
	v_cmpx_gt_u32_e32 8, v16
; %bb.2107:                             ;   in Loop: Header=BB384_2086 Depth=1
	v_ffbh_u32_e32 v10, v12
	v_min_u32_e32 v10, 32, v10
	v_subrev_nc_u32_e32 v16, 28, v10
	v_sub_nc_u32_e32 v10, 29, v10
	v_lshlrev_b64 v[16:17], v16, v[12:13]
	v_and_b32_e32 v23, 7, v16
; %bb.2108:                             ;   in Loop: Header=BB384_2086 Depth=1
	s_or_b32 exec_lo, exec_lo, s20
	v_mov_b32_e32 v12, 24
	v_lshlrev_b32_e32 v16, 20, v23
	v_lshl_add_u32 v10, v10, 23, 0x3c000000
	v_lshlrev_b32_sdwa v12, v12, v20 dst_sel:DWORD dst_unused:UNUSED_PAD src0_sel:DWORD src1_sel:WORD_1
	v_and_b32_e32 v12, 0x80000000, v12
	v_or3_b32 v10, v16, v12, v10
.LBB384_2109:                           ;   in Loop: Header=BB384_2086 Depth=1
	s_or_b32 exec_lo, exec_lo, s18
.LBB384_2110:                           ;   in Loop: Header=BB384_2086 Depth=1
	s_or_b32 exec_lo, exec_lo, s17
.LBB384_2111:                           ;   in Loop: Header=BB384_2086 Depth=1
	s_or_b32 exec_lo, exec_lo, s4
	s_mov_b32 s4, exec_lo
	v_cmpx_lt_u32_e32 0xffffff, v20
	s_cbranch_execz .LBB384_2119
; %bb.2112:                             ;   in Loop: Header=BB384_2086 Depth=1
	v_cmp_ne_u32_sdwa s18, v20, v116 src0_sel:BYTE_3 src1_sel:DWORD
	v_bfrev_b32_e32 v11, 1
	s_and_saveexec_b32 s17, s18
	s_cbranch_execz .LBB384_2118
; %bb.2113:                             ;   in Loop: Header=BB384_2086 Depth=1
	v_bfe_u32 v16, v20, 24, 7
	v_mov_b32_e32 v11, 0x7f800001
	s_mov_b32 s18, exec_lo
	v_cmpx_ne_u32_e32 0x7f, v16
	s_cbranch_execz .LBB384_2117
; %bb.2114:                             ;   in Loop: Header=BB384_2086 Depth=1
	v_mov_b32_e32 v11, 7
	s_mov_b32 s20, exec_lo
	v_and_b32_sdwa v12, v20, v11 dst_sel:DWORD dst_unused:UNUSED_PAD src0_sel:BYTE_3 src1_sel:DWORD
	v_mov_b32_e32 v24, v13
	v_lshrrev_b32_e32 v11, 3, v16
	v_mov_b32_e32 v23, v12
	v_cmpx_gt_u32_e32 8, v16
; %bb.2115:                             ;   in Loop: Header=BB384_2086 Depth=1
	v_ffbh_u32_e32 v11, v12
	v_min_u32_e32 v11, 32, v11
	v_subrev_nc_u32_e32 v16, 28, v11
	v_sub_nc_u32_e32 v11, 29, v11
	v_lshlrev_b64 v[16:17], v16, v[12:13]
	v_and_b32_e32 v23, 7, v16
; %bb.2116:                             ;   in Loop: Header=BB384_2086 Depth=1
	s_or_b32 exec_lo, exec_lo, s20
	v_mov_b32_e32 v12, 24
	v_lshlrev_b32_e32 v16, 20, v23
	v_lshl_add_u32 v11, v11, 23, 0x3c000000
	v_lshlrev_b32_sdwa v12, v12, v20 dst_sel:DWORD dst_unused:UNUSED_PAD src0_sel:DWORD src1_sel:BYTE_3
	v_and_b32_e32 v12, 0x80000000, v12
	v_or3_b32 v11, v16, v12, v11
.LBB384_2117:                           ;   in Loop: Header=BB384_2086 Depth=1
	s_or_b32 exec_lo, exec_lo, s18
.LBB384_2118:                           ;   in Loop: Header=BB384_2086 Depth=1
	s_or_b32 exec_lo, exec_lo, s17
.LBB384_2119:                           ;   in Loop: Header=BB384_2086 Depth=1
	s_or_b32 exec_lo, exec_lo, s4
	v_mov_b32_e32 v12, v21
	v_cmp_ne_u16_sdwa s17, v21, v13 src0_sel:BYTE_0 src1_sel:DWORD
	v_mov_b32_e32 v17, 0
	v_mov_b32_e32 v16, 0
	s_and_saveexec_b32 s4, s17
	s_cbranch_execz .LBB384_2127
; %bb.2120:                             ;   in Loop: Header=BB384_2086 Depth=1
	v_cmp_ne_u16_sdwa s18, v21, v116 src0_sel:BYTE_0 src1_sel:DWORD
	v_bfrev_b32_e32 v16, 1
	s_and_saveexec_b32 s17, s18
	s_cbranch_execz .LBB384_2126
; %bb.2121:                             ;   in Loop: Header=BB384_2086 Depth=1
	v_and_b32_e32 v22, 0x7f, v21
	v_mov_b32_e32 v16, 0x7f800001
	s_mov_b32 s18, exec_lo
	v_cmpx_ne_u32_e32 0x7f, v22
	s_cbranch_execz .LBB384_2125
; %bb.2122:                             ;   in Loop: Header=BB384_2086 Depth=1
	v_mov_b32_e32 v24, v13
	v_lshrrev_b32_e32 v16, 3, v22
	v_mov_b32_e32 v23, v12
	s_mov_b32 s20, exec_lo
	v_cmpx_gt_u32_e32 8, v22
; %bb.2123:                             ;   in Loop: Header=BB384_2086 Depth=1
	v_and_b32_e32 v16, 7, v21
	v_ffbh_u32_e32 v16, v16
	v_min_u32_e32 v16, 32, v16
	v_subrev_nc_u32_e32 v22, 28, v16
	v_sub_nc_u32_e32 v16, 29, v16
	v_lshlrev_b64 v[23:24], v22, v[12:13]
; %bb.2124:                             ;   in Loop: Header=BB384_2086 Depth=1
	s_or_b32 exec_lo, exec_lo, s20
	v_lshlrev_b32_e32 v22, 20, v23
	v_lshlrev_b32_e32 v23, 24, v12
	v_lshl_add_u32 v16, v16, 23, 0x3c000000
	v_and_b32_e32 v22, 0x700000, v22
	v_and_b32_e32 v23, 0x80000000, v23
	v_or3_b32 v16, v22, v23, v16
.LBB384_2125:                           ;   in Loop: Header=BB384_2086 Depth=1
	s_or_b32 exec_lo, exec_lo, s18
.LBB384_2126:                           ;   in Loop: Header=BB384_2086 Depth=1
	s_or_b32 exec_lo, exec_lo, s17
.LBB384_2127:                           ;   in Loop: Header=BB384_2086 Depth=1
	s_or_b32 exec_lo, exec_lo, s4
	v_cmp_ne_u16_sdwa s17, v12, v13 src0_sel:BYTE_1 src1_sel:DWORD
	s_and_saveexec_b32 s4, s17
	s_cbranch_execz .LBB384_2135
; %bb.2128:                             ;   in Loop: Header=BB384_2086 Depth=1
	v_cmp_ne_u16_sdwa s18, v12, v116 src0_sel:BYTE_1 src1_sel:DWORD
	v_bfrev_b32_e32 v17, 1
	s_and_saveexec_b32 s17, s18
	s_cbranch_execz .LBB384_2134
; %bb.2129:                             ;   in Loop: Header=BB384_2086 Depth=1
	v_mov_b32_e32 v17, 0xffff
	s_mov_b32 s18, exec_lo
	v_and_b32_sdwa v23, v17, v12 dst_sel:DWORD dst_unused:UNUSED_PAD src0_sel:DWORD src1_sel:BYTE_1
	v_mov_b32_e32 v17, 0x7f800001
	v_and_b32_e32 v22, 0x7f, v23
	v_cmpx_ne_u32_e32 0x7f, v22
	s_cbranch_execz .LBB384_2133
; %bb.2130:                             ;   in Loop: Header=BB384_2086 Depth=1
	v_and_b32_e32 v23, 7, v23
	v_mov_b32_e32 v24, v13
	v_lshrrev_b32_e32 v17, 3, v22
	s_mov_b32 s20, exec_lo
	v_cmpx_gt_u32_e32 8, v22
; %bb.2131:                             ;   in Loop: Header=BB384_2086 Depth=1
	v_ffbh_u32_e32 v17, v23
	v_min_u32_e32 v17, 32, v17
	v_subrev_nc_u32_e32 v22, 28, v17
	v_sub_nc_u32_e32 v17, 29, v17
	v_lshlrev_b64 v[22:23], v22, v[23:24]
	v_and_b32_e32 v23, 7, v22
; %bb.2132:                             ;   in Loop: Header=BB384_2086 Depth=1
	s_or_b32 exec_lo, exec_lo, s20
	v_lshlrev_b32_e32 v12, 16, v12
	v_lshlrev_b32_e32 v22, 20, v23
	v_lshl_add_u32 v17, v17, 23, 0x3c000000
	v_and_b32_e32 v12, 0x80000000, v12
	v_or3_b32 v17, v22, v12, v17
.LBB384_2133:                           ;   in Loop: Header=BB384_2086 Depth=1
	s_or_b32 exec_lo, exec_lo, s18
.LBB384_2134:                           ;   in Loop: Header=BB384_2086 Depth=1
	s_or_b32 exec_lo, exec_lo, s17
.LBB384_2135:                           ;   in Loop: Header=BB384_2086 Depth=1
	s_or_b32 exec_lo, exec_lo, s4
	v_and_b32_sdwa v12, v21, v118 dst_sel:DWORD dst_unused:UNUSED_PAD src0_sel:WORD_1 src1_sel:DWORD
	v_mov_b32_e32 v22, 0
	v_mov_b32_e32 v25, 0
	s_mov_b32 s4, exec_lo
	v_cmpx_ne_u16_e32 0, v12
	s_cbranch_execz .LBB384_2143
; %bb.2136:                             ;   in Loop: Header=BB384_2086 Depth=1
	v_bfrev_b32_e32 v25, 1
	s_mov_b32 s17, exec_lo
	v_cmpx_ne_u16_e32 0x80, v12
	s_cbranch_execz .LBB384_2142
; %bb.2137:                             ;   in Loop: Header=BB384_2086 Depth=1
	v_bfe_u32 v23, v21, 16, 7
	v_mov_b32_e32 v25, 0x7f800001
	s_mov_b32 s18, exec_lo
	v_cmpx_ne_u32_e32 0x7f, v23
	s_cbranch_execz .LBB384_2141
; %bb.2138:                             ;   in Loop: Header=BB384_2086 Depth=1
	v_mov_b32_e32 v12, 7
	v_lshrrev_b32_e32 v25, 3, v23
	v_cmp_gt_u32_e32 vcc_lo, 8, v23
	v_and_b32_sdwa v12, v21, v12 dst_sel:DWORD dst_unused:UNUSED_PAD src0_sel:WORD_1 src1_sel:DWORD
	v_mov_b32_e32 v24, v13
	v_mov_b32_e32 v23, v12
	s_and_saveexec_b32 s20, vcc_lo
; %bb.2139:                             ;   in Loop: Header=BB384_2086 Depth=1
	v_ffbh_u32_e32 v23, v12
	v_min_u32_e32 v25, 32, v23
	v_subrev_nc_u32_e32 v23, 28, v25
	v_sub_nc_u32_e32 v25, 29, v25
	v_lshlrev_b64 v[23:24], v23, v[12:13]
	v_and_b32_e32 v23, 7, v23
; %bb.2140:                             ;   in Loop: Header=BB384_2086 Depth=1
	s_or_b32 exec_lo, exec_lo, s20
	v_mov_b32_e32 v12, 24
	v_lshlrev_b32_e32 v23, 20, v23
	v_lshl_add_u32 v24, v25, 23, 0x3c000000
	v_lshlrev_b32_sdwa v12, v12, v21 dst_sel:DWORD dst_unused:UNUSED_PAD src0_sel:DWORD src1_sel:WORD_1
	v_and_b32_e32 v12, 0x80000000, v12
	v_or3_b32 v25, v23, v12, v24
.LBB384_2141:                           ;   in Loop: Header=BB384_2086 Depth=1
	s_or_b32 exec_lo, exec_lo, s18
.LBB384_2142:                           ;   in Loop: Header=BB384_2086 Depth=1
	s_or_b32 exec_lo, exec_lo, s17
.LBB384_2143:                           ;   in Loop: Header=BB384_2086 Depth=1
	s_or_b32 exec_lo, exec_lo, s4
	s_mov_b32 s4, exec_lo
	v_cmpx_lt_u64_e64 s[12:13], v[20:21]
	s_cbranch_execz .LBB384_2151
; %bb.2144:                             ;   in Loop: Header=BB384_2086 Depth=1
	v_cmp_ne_u32_sdwa s18, v21, v116 src0_sel:BYTE_3 src1_sel:DWORD
	v_bfrev_b32_e32 v22, 1
	s_and_saveexec_b32 s17, s18
	s_cbranch_execz .LBB384_2150
; %bb.2145:                             ;   in Loop: Header=BB384_2086 Depth=1
	v_bfe_u32 v23, v21, 24, 7
	v_mov_b32_e32 v22, 0x7f800001
	s_mov_b32 s18, exec_lo
	v_cmpx_ne_u32_e32 0x7f, v23
	s_cbranch_execz .LBB384_2149
; %bb.2146:                             ;   in Loop: Header=BB384_2086 Depth=1
	v_mov_b32_e32 v12, 7
	v_lshrrev_b32_e32 v20, 3, v23
	v_cmp_gt_u32_e32 vcc_lo, 8, v23
	v_and_b32_sdwa v12, v21, v12 dst_sel:DWORD dst_unused:UNUSED_PAD src0_sel:BYTE_3 src1_sel:DWORD
	v_mov_b32_e32 v24, v13
	v_mov_b32_e32 v23, v12
	s_and_saveexec_b32 s20, vcc_lo
; %bb.2147:                             ;   in Loop: Header=BB384_2086 Depth=1
	v_ffbh_u32_e32 v20, v12
	v_min_u32_e32 v20, 32, v20
	v_subrev_nc_u32_e32 v22, 28, v20
	v_sub_nc_u32_e32 v20, 29, v20
	v_lshlrev_b64 v[22:23], v22, v[12:13]
	v_and_b32_e32 v23, 7, v22
; %bb.2148:                             ;   in Loop: Header=BB384_2086 Depth=1
	s_or_b32 exec_lo, exec_lo, s20
	v_mov_b32_e32 v12, 24
	v_lshl_add_u32 v20, v20, 23, 0x3c000000
	v_lshlrev_b32_sdwa v12, v12, v21 dst_sel:DWORD dst_unused:UNUSED_PAD src0_sel:DWORD src1_sel:BYTE_3
	v_lshlrev_b32_e32 v21, 20, v23
	v_and_b32_e32 v12, 0x80000000, v12
	v_or3_b32 v22, v21, v12, v20
.LBB384_2149:                           ;   in Loop: Header=BB384_2086 Depth=1
	s_or_b32 exec_lo, exec_lo, s18
.LBB384_2150:                           ;   in Loop: Header=BB384_2086 Depth=1
	s_or_b32 exec_lo, exec_lo, s17
.LBB384_2151:                           ;   in Loop: Header=BB384_2086 Depth=1
	s_or_b32 exec_lo, exec_lo, s4
	s_waitcnt lgkmcnt(2)
	v_mul_f32_e32 v12, v115, v17
	s_clause 0x2
	buffer_load_dword v20, off, s[0:3], s32 offset:200
	buffer_load_dword v21, off, s[0:3], s32 offset:204
	;; [unrolled: 1-line block ×3, first 2 shown]
	v_mul_f32_e32 v16, v115, v16
	v_mul_f32_e32 v11, v115, v11
	;; [unrolled: 1-line block ×3, first 2 shown]
	v_cmp_u_f32_e64 s4, v12, v12
	v_mul_f32_e32 v5, v115, v5
	s_waitcnt vmcnt(1)
	v_bfe_u32 v21, v16, 16, 1
	v_or_b32_e32 v23, 0x400000, v16
	v_bfe_u32 v24, v11, 16, 1
	v_or_b32_e32 v26, 0x400000, v11
	v_mul_f32_e32 v4, v115, v4
	v_add3_u32 v21, v21, v16, 0x7fff
	v_or_b32_e32 v27, 3, v114
	v_or_b32_e32 v37, 4, v114
	;; [unrolled: 1-line block ×5, first 2 shown]
	s_waitcnt vmcnt(0)
	v_cmp_eq_u32_e32 vcc_lo, v20, v17
	v_bfe_u32 v17, v12, 16, 1
	v_or_b32_e32 v20, 0x400000, v12
	v_add3_u32 v17, v17, v12, 0x7fff
	v_cndmask_b32_e64 v12, v17, v20, s4
	v_cmp_u_f32_e64 s4, v16, v16
	v_add3_u32 v20, v24, v11, 0x7fff
	v_bfe_u32 v17, v10, 16, 1
	v_lshrrev_b32_e32 v12, 16, v12
	v_cndmask_b32_e64 v16, v21, v23, s4
	v_cmp_u_f32_e64 s4, v11, v11
	buffer_store_dword v12, off, s[0:3], s32 offset:252 ; 4-byte Folded Spill
	v_add3_u32 v12, v17, v10, 0x7fff
	v_cndmask_b32_e64 v11, v20, v26, s4
	v_or_b32_e32 v17, 0x400000, v10
	v_lshrrev_b32_e32 v16, 16, v16
	v_cmp_u_f32_e64 s4, v10, v10
	v_bfe_u32 v20, v4, 16, 1
	v_lshrrev_b32_e32 v11, 16, v11
	v_or_b32_e32 v26, 2, v114
	buffer_store_dword v16, off, s[0:3], s32 offset:244 ; 4-byte Folded Spill
	v_cndmask_b32_e64 v10, v12, v17, s4
	v_mul_f32_e32 v12, v115, v25
	buffer_store_dword v11, off, s[0:3], s32 offset:256 ; 4-byte Folded Spill
	v_bfe_u32 v11, v5, 16, 1
	v_or_b32_e32 v16, 0x400000, v5
	v_cmp_u_f32_e64 s4, v5, v5
	v_mul_f32_e32 v17, v115, v22
	v_bfe_u32 v21, v12, 16, 1
	v_add3_u32 v11, v11, v5, 0x7fff
	v_or_b32_e32 v22, 0x400000, v12
	v_lshrrev_b32_e32 v10, 16, v10
	v_or_b32_e32 v23, 0x400000, v17
	v_add3_u32 v21, v21, v12, 0x7fff
	v_cndmask_b32_e64 v5, v11, v16, s4
	v_add3_u32 v16, v20, v4, 0x7fff
	v_or_b32_e32 v20, 0x400000, v4
	v_cmp_u_f32_e64 s4, v4, v4
	v_bfe_u32 v11, v17, 16, 1
	buffer_store_dword v10, off, s[0:3], s32 offset:260 ; 4-byte Folded Spill
	v_lshrrev_b32_e32 v5, 16, v5
	v_or_b32_e32 v10, 1, v114
	v_cndmask_b32_e64 v4, v16, v20, s4
	v_cmp_u_f32_e64 s4, v12, v12
	v_add3_u32 v11, v11, v17, 0x7fff
	buffer_store_dword v5, off, s[0:3], s32 offset:268 ; 4-byte Folded Spill
	v_lshrrev_b32_e32 v4, 16, v4
	v_cndmask_b32_e64 v12, v21, v22, s4
	v_cmp_u_f32_e64 s4, v17, v17
	buffer_store_dword v4, off, s[0:3], s32 offset:264 ; 4-byte Folded Spill
	v_lshrrev_b32_e32 v4, 16, v12
	v_cndmask_b32_e64 v11, v11, v23, s4
	buffer_store_dword v4, off, s[0:3], s32 offset:208 ; 4-byte Folded Spill
	v_lshrrev_b32_e32 v4, 16, v11
	buffer_store_dword v4, off, s[0:3], s32 offset:248 ; 4-byte Folded Spill
	s_and_saveexec_b32 s17, vcc_lo
	s_cbranch_execz .LBB384_2153
; %bb.2152:                             ;   in Loop: Header=BB384_2086 Depth=1
	buffer_load_dword v4, off, s[0:3], s32 offset:264 ; 4-byte Folded Reload
	v_cmp_lt_i32_e64 s4, v114, v48
	s_waitcnt vmcnt(0)
	v_cndmask_b32_e64 v4, 0, v4, s4
	v_cmp_lt_i32_e64 s4, v10, v48
	buffer_store_dword v4, off, s[0:3], s32 offset:264 ; 4-byte Folded Spill
	buffer_load_dword v4, off, s[0:3], s32 offset:268 ; 4-byte Folded Reload
	s_waitcnt vmcnt(0)
	v_cndmask_b32_e64 v4, 0, v4, s4
	v_cmp_lt_i32_e64 s4, v26, v48
	buffer_store_dword v4, off, s[0:3], s32 offset:268 ; 4-byte Folded Spill
	buffer_load_dword v4, off, s[0:3], s32 offset:260 ; 4-byte Folded Reload
	s_waitcnt vmcnt(0)
	v_cndmask_b32_e64 v4, 0, v4, s4
	v_cmp_lt_i32_e64 s4, v27, v48
	buffer_store_dword v4, off, s[0:3], s32 offset:260 ; 4-byte Folded Spill
	buffer_load_dword v4, off, s[0:3], s32 offset:256 ; 4-byte Folded Reload
	s_waitcnt vmcnt(0)
	v_cndmask_b32_e64 v4, 0, v4, s4
	v_cmp_lt_i32_e64 s4, v37, v48
	buffer_store_dword v4, off, s[0:3], s32 offset:256 ; 4-byte Folded Spill
	buffer_load_dword v4, off, s[0:3], s32 offset:244 ; 4-byte Folded Reload
	s_waitcnt vmcnt(0)
	v_cndmask_b32_e64 v4, 0, v4, s4
	v_cmp_lt_i32_e64 s4, v43, v48
	buffer_store_dword v4, off, s[0:3], s32 offset:244 ; 4-byte Folded Spill
	buffer_load_dword v4, off, s[0:3], s32 offset:252 ; 4-byte Folded Reload
	s_waitcnt vmcnt(0)
	v_cndmask_b32_e64 v4, 0, v4, s4
	v_cmp_lt_i32_e64 s4, v42, v48
	buffer_store_dword v4, off, s[0:3], s32 offset:252 ; 4-byte Folded Spill
	buffer_load_dword v4, off, s[0:3], s32 offset:208 ; 4-byte Folded Reload
	s_waitcnt vmcnt(0)
	v_cndmask_b32_e64 v4, 0, v4, s4
	v_cmp_lt_i32_e64 s4, v41, v48
	buffer_store_dword v4, off, s[0:3], s32 offset:208 ; 4-byte Folded Spill
	buffer_load_dword v4, off, s[0:3], s32 offset:248 ; 4-byte Folded Reload
	s_waitcnt vmcnt(0)
	v_cndmask_b32_e64 v4, 0, v4, s4
	buffer_store_dword v4, off, s[0:3], s32 offset:248 ; 4-byte Folded Spill
.LBB384_2153:                           ;   in Loop: Header=BB384_2086 Depth=1
	s_or_b32 exec_lo, exec_lo, s17
	flat_load_dwordx2 v[20:21], v[18:19] offset:256
	v_mov_b32_e32 v5, 0
	v_mov_b32_e32 v4, 0
	s_waitcnt vmcnt(0) lgkmcnt(0)
	v_cmp_ne_u16_sdwa s4, v20, v13 src0_sel:BYTE_0 src1_sel:DWORD
	s_and_saveexec_b32 s17, s4
	s_cbranch_execz .LBB384_2161
; %bb.2154:                             ;   in Loop: Header=BB384_2086 Depth=1
	v_cmp_ne_u16_sdwa s4, v20, v116 src0_sel:BYTE_0 src1_sel:DWORD
	v_bfrev_b32_e32 v4, 1
	s_and_saveexec_b32 s18, s4
	s_cbranch_execz .LBB384_2160
; %bb.2155:                             ;   in Loop: Header=BB384_2086 Depth=1
	v_and_b32_e32 v11, 0x7f, v20
	v_mov_b32_e32 v4, 0x7f800001
	s_mov_b32 s20, exec_lo
	v_cmpx_ne_u32_e32 0x7f, v11
	s_cbranch_execz .LBB384_2159
; %bb.2156:                             ;   in Loop: Header=BB384_2086 Depth=1
	v_mov_b32_e32 v24, v21
	v_lshrrev_b32_e32 v4, 3, v11
	v_mov_b32_e32 v23, v20
	s_mov_b32 s21, exec_lo
	v_cmpx_gt_u32_e32 8, v11
; %bb.2157:                             ;   in Loop: Header=BB384_2086 Depth=1
	v_and_b32_e32 v4, 7, v20
	v_ffbh_u32_e32 v4, v4
	v_min_u32_e32 v4, 32, v4
	v_subrev_nc_u32_e32 v11, 28, v4
	v_sub_nc_u32_e32 v4, 29, v4
	v_lshlrev_b64 v[23:24], v11, v[20:21]
; %bb.2158:                             ;   in Loop: Header=BB384_2086 Depth=1
	s_or_b32 exec_lo, exec_lo, s21
	v_lshlrev_b32_e32 v11, 20, v23
	v_lshlrev_b32_e32 v12, 24, v20
	v_lshl_add_u32 v4, v4, 23, 0x3c000000
	v_and_b32_e32 v11, 0x700000, v11
	v_and_b32_e32 v12, 0x80000000, v12
	v_or3_b32 v4, v11, v12, v4
.LBB384_2159:                           ;   in Loop: Header=BB384_2086 Depth=1
	s_or_b32 exec_lo, exec_lo, s20
.LBB384_2160:                           ;   in Loop: Header=BB384_2086 Depth=1
	s_or_b32 exec_lo, exec_lo, s18
.LBB384_2161:                           ;   in Loop: Header=BB384_2086 Depth=1
	s_or_b32 exec_lo, exec_lo, s17
	v_cmp_ne_u16_sdwa s4, v20, v13 src0_sel:BYTE_1 src1_sel:DWORD
	s_and_saveexec_b32 s17, s4
	s_cbranch_execz .LBB384_2169
; %bb.2162:                             ;   in Loop: Header=BB384_2086 Depth=1
	v_cmp_ne_u16_sdwa s4, v20, v116 src0_sel:BYTE_1 src1_sel:DWORD
	v_bfrev_b32_e32 v5, 1
	s_and_saveexec_b32 s18, s4
	s_cbranch_execz .LBB384_2168
; %bb.2163:                             ;   in Loop: Header=BB384_2086 Depth=1
	v_mov_b32_e32 v5, 0xffff
	s_mov_b32 s20, exec_lo
	v_and_b32_sdwa v12, v5, v20 dst_sel:DWORD dst_unused:UNUSED_PAD src0_sel:DWORD src1_sel:BYTE_1
	v_mov_b32_e32 v5, 0x7f800001
	v_and_b32_e32 v11, 0x7f, v12
	v_cmpx_ne_u32_e32 0x7f, v11
	s_cbranch_execz .LBB384_2167
; %bb.2164:                             ;   in Loop: Header=BB384_2086 Depth=1
	v_and_b32_e32 v12, 7, v12
	v_mov_b32_e32 v24, v13
	v_lshrrev_b32_e32 v5, 3, v11
	s_mov_b32 s21, exec_lo
	v_mov_b32_e32 v23, v12
	v_cmpx_gt_u32_e32 8, v11
; %bb.2165:                             ;   in Loop: Header=BB384_2086 Depth=1
	v_ffbh_u32_e32 v5, v12
	v_min_u32_e32 v5, 32, v5
	v_subrev_nc_u32_e32 v11, 28, v5
	v_sub_nc_u32_e32 v5, 29, v5
	v_lshlrev_b64 v[11:12], v11, v[12:13]
	v_and_b32_e32 v23, 7, v11
; %bb.2166:                             ;   in Loop: Header=BB384_2086 Depth=1
	s_or_b32 exec_lo, exec_lo, s21
	v_lshlrev_b32_e32 v11, 16, v20
	v_lshlrev_b32_e32 v12, 20, v23
	v_lshl_add_u32 v5, v5, 23, 0x3c000000
	v_and_b32_e32 v11, 0x80000000, v11
	v_or3_b32 v5, v12, v11, v5
.LBB384_2167:                           ;   in Loop: Header=BB384_2086 Depth=1
	s_or_b32 exec_lo, exec_lo, s20
.LBB384_2168:                           ;   in Loop: Header=BB384_2086 Depth=1
	s_or_b32 exec_lo, exec_lo, s18
.LBB384_2169:                           ;   in Loop: Header=BB384_2086 Depth=1
	s_or_b32 exec_lo, exec_lo, s17
	v_and_b32_sdwa v12, v20, v118 dst_sel:DWORD dst_unused:UNUSED_PAD src0_sel:WORD_1 src1_sel:DWORD
	v_mov_b32_e32 v16, 0
	v_mov_b32_e32 v11, 0
	s_mov_b32 s17, exec_lo
	v_cmpx_ne_u16_e32 0, v12
	s_cbranch_execz .LBB384_2177
; %bb.2170:                             ;   in Loop: Header=BB384_2086 Depth=1
	v_bfrev_b32_e32 v11, 1
	s_mov_b32 s18, exec_lo
	v_cmpx_ne_u16_e32 0x80, v12
	s_cbranch_execz .LBB384_2176
; %bb.2171:                             ;   in Loop: Header=BB384_2086 Depth=1
	v_bfe_u32 v17, v20, 16, 7
	v_mov_b32_e32 v11, 0x7f800001
	s_mov_b32 s20, exec_lo
	v_cmpx_ne_u32_e32 0x7f, v17
	s_cbranch_execz .LBB384_2175
; %bb.2172:                             ;   in Loop: Header=BB384_2086 Depth=1
	v_mov_b32_e32 v11, 7
	s_mov_b32 s21, exec_lo
	v_and_b32_sdwa v12, v20, v11 dst_sel:DWORD dst_unused:UNUSED_PAD src0_sel:WORD_1 src1_sel:DWORD
	v_mov_b32_e32 v24, v13
	v_lshrrev_b32_e32 v11, 3, v17
	v_mov_b32_e32 v23, v12
	v_cmpx_gt_u32_e32 8, v17
; %bb.2173:                             ;   in Loop: Header=BB384_2086 Depth=1
	v_ffbh_u32_e32 v11, v12
	v_min_u32_e32 v11, 32, v11
	v_subrev_nc_u32_e32 v17, 28, v11
	v_sub_nc_u32_e32 v11, 29, v11
	v_lshlrev_b64 v[22:23], v17, v[12:13]
	v_and_b32_e32 v23, 7, v22
; %bb.2174:                             ;   in Loop: Header=BB384_2086 Depth=1
	s_or_b32 exec_lo, exec_lo, s21
	v_mov_b32_e32 v12, 24
	v_lshlrev_b32_e32 v17, 20, v23
	v_lshl_add_u32 v11, v11, 23, 0x3c000000
	v_lshlrev_b32_sdwa v12, v12, v20 dst_sel:DWORD dst_unused:UNUSED_PAD src0_sel:DWORD src1_sel:WORD_1
	v_and_b32_e32 v12, 0x80000000, v12
	v_or3_b32 v11, v17, v12, v11
.LBB384_2175:                           ;   in Loop: Header=BB384_2086 Depth=1
	s_or_b32 exec_lo, exec_lo, s20
.LBB384_2176:                           ;   in Loop: Header=BB384_2086 Depth=1
	s_or_b32 exec_lo, exec_lo, s18
.LBB384_2177:                           ;   in Loop: Header=BB384_2086 Depth=1
	s_or_b32 exec_lo, exec_lo, s17
	s_mov_b32 s17, exec_lo
	v_cmpx_lt_u32_e32 0xffffff, v20
	s_cbranch_execz .LBB384_2185
; %bb.2178:                             ;   in Loop: Header=BB384_2086 Depth=1
	v_cmp_ne_u32_sdwa s4, v20, v116 src0_sel:BYTE_3 src1_sel:DWORD
	v_bfrev_b32_e32 v16, 1
	s_and_saveexec_b32 s18, s4
	s_cbranch_execz .LBB384_2184
; %bb.2179:                             ;   in Loop: Header=BB384_2086 Depth=1
	v_bfe_u32 v17, v20, 24, 7
	v_mov_b32_e32 v16, 0x7f800001
	s_mov_b32 s20, exec_lo
	v_cmpx_ne_u32_e32 0x7f, v17
	s_cbranch_execz .LBB384_2183
; %bb.2180:                             ;   in Loop: Header=BB384_2086 Depth=1
	v_mov_b32_e32 v12, 7
	v_lshrrev_b32_e32 v16, 3, v17
	s_mov_b32 s21, exec_lo
	v_and_b32_sdwa v12, v20, v12 dst_sel:DWORD dst_unused:UNUSED_PAD src0_sel:BYTE_3 src1_sel:DWORD
	v_mov_b32_e32 v24, v13
	v_mov_b32_e32 v23, v12
	v_cmpx_gt_u32_e32 8, v17
; %bb.2181:                             ;   in Loop: Header=BB384_2086 Depth=1
	v_ffbh_u32_e32 v16, v12
	v_min_u32_e32 v16, 32, v16
	v_subrev_nc_u32_e32 v17, 28, v16
	v_sub_nc_u32_e32 v16, 29, v16
	v_lshlrev_b64 v[22:23], v17, v[12:13]
	v_and_b32_e32 v23, 7, v22
; %bb.2182:                             ;   in Loop: Header=BB384_2086 Depth=1
	s_or_b32 exec_lo, exec_lo, s21
	v_mov_b32_e32 v12, 24
	v_lshlrev_b32_e32 v17, 20, v23
	v_lshl_add_u32 v16, v16, 23, 0x3c000000
	v_lshlrev_b32_sdwa v12, v12, v20 dst_sel:DWORD dst_unused:UNUSED_PAD src0_sel:DWORD src1_sel:BYTE_3
	v_and_b32_e32 v12, 0x80000000, v12
	v_or3_b32 v16, v17, v12, v16
.LBB384_2183:                           ;   in Loop: Header=BB384_2086 Depth=1
	s_or_b32 exec_lo, exec_lo, s20
.LBB384_2184:                           ;   in Loop: Header=BB384_2086 Depth=1
	s_or_b32 exec_lo, exec_lo, s18
.LBB384_2185:                           ;   in Loop: Header=BB384_2086 Depth=1
	s_or_b32 exec_lo, exec_lo, s17
	v_mov_b32_e32 v12, v21
	v_cmp_ne_u16_sdwa s4, v21, v13 src0_sel:BYTE_0 src1_sel:DWORD
	v_mov_b32_e32 v22, 0
	v_mov_b32_e32 v17, 0
	s_and_saveexec_b32 s17, s4
	s_cbranch_execz .LBB384_2193
; %bb.2186:                             ;   in Loop: Header=BB384_2086 Depth=1
	v_cmp_ne_u16_sdwa s4, v21, v116 src0_sel:BYTE_0 src1_sel:DWORD
	v_bfrev_b32_e32 v17, 1
	s_and_saveexec_b32 s18, s4
	s_cbranch_execz .LBB384_2192
; %bb.2187:                             ;   in Loop: Header=BB384_2086 Depth=1
	v_and_b32_e32 v23, 0x7f, v21
	v_mov_b32_e32 v17, 0x7f800001
	s_mov_b32 s20, exec_lo
	v_cmpx_ne_u32_e32 0x7f, v23
	s_cbranch_execz .LBB384_2191
; %bb.2188:                             ;   in Loop: Header=BB384_2086 Depth=1
	v_lshrrev_b32_e32 v17, 3, v23
	v_cmp_gt_u32_e64 s4, 8, v23
	v_mov_b32_e32 v24, v13
	v_mov_b32_e32 v23, v12
	s_and_saveexec_b32 s21, s4
; %bb.2189:                             ;   in Loop: Header=BB384_2086 Depth=1
	v_and_b32_e32 v17, 7, v21
	v_ffbh_u32_e32 v17, v17
	v_min_u32_e32 v17, 32, v17
	v_subrev_nc_u32_e32 v23, 28, v17
	v_sub_nc_u32_e32 v17, 29, v17
	v_lshlrev_b64 v[23:24], v23, v[12:13]
; %bb.2190:                             ;   in Loop: Header=BB384_2086 Depth=1
	s_or_b32 exec_lo, exec_lo, s21
	v_lshlrev_b32_e32 v23, 20, v23
	v_lshlrev_b32_e32 v24, 24, v12
	v_lshl_add_u32 v17, v17, 23, 0x3c000000
	v_and_b32_e32 v23, 0x700000, v23
	v_and_b32_e32 v24, 0x80000000, v24
	v_or3_b32 v17, v23, v24, v17
.LBB384_2191:                           ;   in Loop: Header=BB384_2086 Depth=1
	s_or_b32 exec_lo, exec_lo, s20
.LBB384_2192:                           ;   in Loop: Header=BB384_2086 Depth=1
	s_or_b32 exec_lo, exec_lo, s18
.LBB384_2193:                           ;   in Loop: Header=BB384_2086 Depth=1
	s_or_b32 exec_lo, exec_lo, s17
	v_cmp_ne_u16_sdwa s4, v12, v13 src0_sel:BYTE_1 src1_sel:DWORD
	s_and_saveexec_b32 s17, s4
	s_cbranch_execz .LBB384_2201
; %bb.2194:                             ;   in Loop: Header=BB384_2086 Depth=1
	v_cmp_ne_u16_sdwa s4, v12, v116 src0_sel:BYTE_1 src1_sel:DWORD
	v_bfrev_b32_e32 v22, 1
	s_and_saveexec_b32 s18, s4
	s_cbranch_execz .LBB384_2200
; %bb.2195:                             ;   in Loop: Header=BB384_2086 Depth=1
	v_mov_b32_e32 v22, 0xffff
	s_mov_b32 s20, exec_lo
	v_and_b32_sdwa v23, v22, v12 dst_sel:DWORD dst_unused:UNUSED_PAD src0_sel:DWORD src1_sel:BYTE_1
	v_mov_b32_e32 v22, 0x7f800001
	v_and_b32_e32 v25, 0x7f, v23
	v_cmpx_ne_u32_e32 0x7f, v25
	s_cbranch_execz .LBB384_2199
; %bb.2196:                             ;   in Loop: Header=BB384_2086 Depth=1
	v_and_b32_e32 v23, 7, v23
	v_mov_b32_e32 v24, v13
	v_lshrrev_b32_e32 v22, 3, v25
	s_mov_b32 s21, exec_lo
	v_cmpx_gt_u32_e32 8, v25
; %bb.2197:                             ;   in Loop: Header=BB384_2086 Depth=1
	v_ffbh_u32_e32 v22, v23
	v_min_u32_e32 v22, 32, v22
	v_subrev_nc_u32_e32 v25, 28, v22
	v_sub_nc_u32_e32 v22, 29, v22
	v_lshlrev_b64 v[23:24], v25, v[23:24]
	v_and_b32_e32 v23, 7, v23
; %bb.2198:                             ;   in Loop: Header=BB384_2086 Depth=1
	s_or_b32 exec_lo, exec_lo, s21
	v_lshlrev_b32_e32 v12, 16, v12
	v_lshlrev_b32_e32 v23, 20, v23
	v_lshl_add_u32 v22, v22, 23, 0x3c000000
	v_and_b32_e32 v12, 0x80000000, v12
	v_or3_b32 v22, v23, v12, v22
.LBB384_2199:                           ;   in Loop: Header=BB384_2086 Depth=1
	s_or_b32 exec_lo, exec_lo, s20
.LBB384_2200:                           ;   in Loop: Header=BB384_2086 Depth=1
	s_or_b32 exec_lo, exec_lo, s18
.LBB384_2201:                           ;   in Loop: Header=BB384_2086 Depth=1
	s_or_b32 exec_lo, exec_lo, s17
	v_and_b32_sdwa v12, v21, v118 dst_sel:DWORD dst_unused:UNUSED_PAD src0_sel:WORD_1 src1_sel:DWORD
	v_mov_b32_e32 v25, 0
	v_mov_b32_e32 v28, 0
	s_mov_b32 s17, exec_lo
	v_cmpx_ne_u16_e32 0, v12
	s_cbranch_execz .LBB384_2209
; %bb.2202:                             ;   in Loop: Header=BB384_2086 Depth=1
	v_bfrev_b32_e32 v28, 1
	s_mov_b32 s18, exec_lo
	v_cmpx_ne_u16_e32 0x80, v12
	s_cbranch_execz .LBB384_2208
; %bb.2203:                             ;   in Loop: Header=BB384_2086 Depth=1
	v_bfe_u32 v23, v21, 16, 7
	v_mov_b32_e32 v28, 0x7f800001
	s_mov_b32 s20, exec_lo
	v_cmpx_ne_u32_e32 0x7f, v23
	s_cbranch_execz .LBB384_2207
; %bb.2204:                             ;   in Loop: Header=BB384_2086 Depth=1
	v_mov_b32_e32 v12, 7
	v_lshrrev_b32_e32 v28, 3, v23
	v_cmp_gt_u32_e64 s4, 8, v23
	v_and_b32_sdwa v12, v21, v12 dst_sel:DWORD dst_unused:UNUSED_PAD src0_sel:WORD_1 src1_sel:DWORD
	v_mov_b32_e32 v24, v13
	v_mov_b32_e32 v23, v12
	s_and_saveexec_b32 s21, s4
; %bb.2205:                             ;   in Loop: Header=BB384_2086 Depth=1
	v_ffbh_u32_e32 v23, v12
	v_min_u32_e32 v28, 32, v23
	v_subrev_nc_u32_e32 v23, 28, v28
	v_sub_nc_u32_e32 v28, 29, v28
	v_lshlrev_b64 v[23:24], v23, v[12:13]
	v_and_b32_e32 v23, 7, v23
; %bb.2206:                             ;   in Loop: Header=BB384_2086 Depth=1
	s_or_b32 exec_lo, exec_lo, s21
	v_mov_b32_e32 v12, 24
	v_lshlrev_b32_e32 v23, 20, v23
	v_lshl_add_u32 v24, v28, 23, 0x3c000000
	v_lshlrev_b32_sdwa v12, v12, v21 dst_sel:DWORD dst_unused:UNUSED_PAD src0_sel:DWORD src1_sel:WORD_1
	v_and_b32_e32 v12, 0x80000000, v12
	v_or3_b32 v28, v23, v12, v24
.LBB384_2207:                           ;   in Loop: Header=BB384_2086 Depth=1
	s_or_b32 exec_lo, exec_lo, s20
.LBB384_2208:                           ;   in Loop: Header=BB384_2086 Depth=1
	s_or_b32 exec_lo, exec_lo, s18
.LBB384_2209:                           ;   in Loop: Header=BB384_2086 Depth=1
	s_or_b32 exec_lo, exec_lo, s17
	s_mov_b32 s17, exec_lo
	v_cmpx_lt_u64_e64 s[12:13], v[20:21]
	s_cbranch_execz .LBB384_2217
; %bb.2210:                             ;   in Loop: Header=BB384_2086 Depth=1
	v_cmp_ne_u32_sdwa s4, v21, v116 src0_sel:BYTE_3 src1_sel:DWORD
	v_bfrev_b32_e32 v25, 1
	s_and_saveexec_b32 s18, s4
	s_cbranch_execz .LBB384_2216
; %bb.2211:                             ;   in Loop: Header=BB384_2086 Depth=1
	v_bfe_u32 v23, v21, 24, 7
	v_mov_b32_e32 v25, 0x7f800001
	s_mov_b32 s20, exec_lo
	v_cmpx_ne_u32_e32 0x7f, v23
	s_cbranch_execz .LBB384_2215
; %bb.2212:                             ;   in Loop: Header=BB384_2086 Depth=1
	v_mov_b32_e32 v12, 7
	v_lshrrev_b32_e32 v20, 3, v23
	v_cmp_gt_u32_e64 s4, 8, v23
	v_and_b32_sdwa v12, v21, v12 dst_sel:DWORD dst_unused:UNUSED_PAD src0_sel:BYTE_3 src1_sel:DWORD
	v_mov_b32_e32 v24, v13
	v_mov_b32_e32 v23, v12
	s_and_saveexec_b32 s21, s4
; %bb.2213:                             ;   in Loop: Header=BB384_2086 Depth=1
	v_ffbh_u32_e32 v20, v12
	v_min_u32_e32 v20, 32, v20
	v_subrev_nc_u32_e32 v23, 28, v20
	v_sub_nc_u32_e32 v20, 29, v20
	v_lshlrev_b64 v[23:24], v23, v[12:13]
	v_and_b32_e32 v23, 7, v23
; %bb.2214:                             ;   in Loop: Header=BB384_2086 Depth=1
	s_or_b32 exec_lo, exec_lo, s21
	v_mov_b32_e32 v12, 24
	v_lshl_add_u32 v20, v20, 23, 0x3c000000
	v_lshlrev_b32_sdwa v12, v12, v21 dst_sel:DWORD dst_unused:UNUSED_PAD src0_sel:DWORD src1_sel:BYTE_3
	v_lshlrev_b32_e32 v21, 20, v23
	v_and_b32_e32 v12, 0x80000000, v12
	v_or3_b32 v25, v21, v12, v20
.LBB384_2215:                           ;   in Loop: Header=BB384_2086 Depth=1
	s_or_b32 exec_lo, exec_lo, s20
.LBB384_2216:                           ;   in Loop: Header=BB384_2086 Depth=1
	s_or_b32 exec_lo, exec_lo, s18
.LBB384_2217:                           ;   in Loop: Header=BB384_2086 Depth=1
	s_or_b32 exec_lo, exec_lo, s17
	v_mul_f32_e32 v12, v115, v22
	v_mul_f32_e32 v17, v115, v17
	;; [unrolled: 1-line block ×5, first 2 shown]
	v_bfe_u32 v20, v12, 16, 1
	v_or_b32_e32 v21, 0x400000, v12
	v_bfe_u32 v22, v17, 16, 1
	v_cmp_u_f32_e64 s4, v12, v12
	v_or_b32_e32 v23, 0x400000, v17
	v_add3_u32 v20, v20, v12, 0x7fff
	v_bfe_u32 v24, v16, 16, 1
	v_add3_u32 v22, v22, v17, 0x7fff
	v_or_b32_e32 v29, 0x400000, v16
	v_bfe_u32 v31, v11, 16, 1
	v_cndmask_b32_e64 v12, v20, v21, s4
	v_cmp_u_f32_e64 s4, v17, v17
	v_add3_u32 v24, v24, v16, 0x7fff
	v_or_b32_e32 v20, 0x400000, v11
	v_mul_f32_e32 v4, v115, v4
	v_lshrrev_b32_e32 v12, 16, v12
	v_cndmask_b32_e64 v17, v22, v23, s4
	v_cmp_u_f32_e64 s4, v16, v16
	v_bfe_u32 v21, v4, 16, 1
	buffer_store_dword v12, off, s[0:3], s32 offset:284 ; 4-byte Folded Spill
	v_add3_u32 v12, v31, v11, 0x7fff
	v_cndmask_b32_e64 v16, v24, v29, s4
	v_lshrrev_b32_e32 v17, 16, v17
	v_cmp_u_f32_e64 s4, v11, v11
	v_lshrrev_b32_e32 v16, 16, v16
	buffer_store_dword v17, off, s[0:3], s32 offset:276 ; 4-byte Folded Spill
	v_cndmask_b32_e64 v11, v12, v20, s4
	v_mul_f32_e32 v12, v115, v28
	v_or_b32_e32 v17, 0x400000, v5
	buffer_store_dword v16, off, s[0:3], s32 offset:288 ; 4-byte Folded Spill
	v_bfe_u32 v16, v5, 16, 1
	v_cmp_u_f32_e64 s4, v5, v5
	v_mul_f32_e32 v20, v115, v25
	v_bfe_u32 v22, v12, 16, 1
	v_or_b32_e32 v23, 0x400000, v12
	v_add3_u32 v16, v16, v5, 0x7fff
	v_lshrrev_b32_e32 v11, 16, v11
	v_or_b32_e32 v24, 0x400000, v20
	v_add3_u32 v22, v22, v12, 0x7fff
	v_cndmask_b32_e64 v5, v16, v17, s4
	v_add3_u32 v17, v21, v4, 0x7fff
	v_or_b32_e32 v21, 0x400000, v4
	v_cmp_u_f32_e64 s4, v4, v4
	v_bfe_u32 v16, v20, 16, 1
	v_lshrrev_b32_e32 v5, 16, v5
	buffer_store_dword v11, off, s[0:3], s32 offset:292 ; 4-byte Folded Spill
	v_cndmask_b32_e64 v4, v17, v21, s4
	v_cmp_u_f32_e64 s4, v12, v12
	v_add3_u32 v16, v16, v20, 0x7fff
	buffer_store_dword v5, off, s[0:3], s32 offset:300 ; 4-byte Folded Spill
	v_lshrrev_b32_e32 v4, 16, v4
	v_cndmask_b32_e64 v12, v22, v23, s4
	v_cmp_u_f32_e64 s4, v20, v20
	buffer_store_dword v4, off, s[0:3], s32 offset:296 ; 4-byte Folded Spill
	v_lshrrev_b32_e32 v4, 16, v12
	v_cndmask_b32_e64 v16, v16, v24, s4
	buffer_store_dword v4, off, s[0:3], s32 offset:272 ; 4-byte Folded Spill
	v_lshrrev_b32_e32 v4, 16, v16
	buffer_store_dword v4, off, s[0:3], s32 offset:280 ; 4-byte Folded Spill
	s_and_saveexec_b32 s17, vcc_lo
	s_cbranch_execz .LBB384_2219
; %bb.2218:                             ;   in Loop: Header=BB384_2086 Depth=1
	buffer_load_dword v4, off, s[0:3], s32 offset:296 ; 4-byte Folded Reload
	v_cmp_lt_i32_e64 s4, v114, v48
	s_waitcnt vmcnt(0)
	v_cndmask_b32_e64 v4, 0, v4, s4
	v_cmp_lt_i32_e64 s4, v10, v48
	buffer_store_dword v4, off, s[0:3], s32 offset:296 ; 4-byte Folded Spill
	buffer_load_dword v4, off, s[0:3], s32 offset:300 ; 4-byte Folded Reload
	s_waitcnt vmcnt(0)
	v_cndmask_b32_e64 v4, 0, v4, s4
	v_cmp_lt_i32_e64 s4, v26, v48
	buffer_store_dword v4, off, s[0:3], s32 offset:300 ; 4-byte Folded Spill
	buffer_load_dword v4, off, s[0:3], s32 offset:292 ; 4-byte Folded Reload
	;; [unrolled: 5-line block ×7, first 2 shown]
	s_waitcnt vmcnt(0)
	v_cndmask_b32_e64 v4, 0, v4, s4
	buffer_store_dword v4, off, s[0:3], s32 offset:280 ; 4-byte Folded Spill
.LBB384_2219:                           ;   in Loop: Header=BB384_2086 Depth=1
	s_or_b32 exec_lo, exec_lo, s17
	flat_load_dwordx2 v[20:21], v[18:19] offset:512
	v_mov_b32_e32 v5, 0
	v_mov_b32_e32 v4, 0
	s_waitcnt vmcnt(0) lgkmcnt(0)
	v_cmp_ne_u16_sdwa s4, v20, v13 src0_sel:BYTE_0 src1_sel:DWORD
	s_and_saveexec_b32 s17, s4
	s_cbranch_execz .LBB384_2227
; %bb.2220:                             ;   in Loop: Header=BB384_2086 Depth=1
	v_cmp_ne_u16_sdwa s4, v20, v116 src0_sel:BYTE_0 src1_sel:DWORD
	v_bfrev_b32_e32 v4, 1
	s_and_saveexec_b32 s18, s4
	s_cbranch_execz .LBB384_2226
; %bb.2221:                             ;   in Loop: Header=BB384_2086 Depth=1
	v_and_b32_e32 v11, 0x7f, v20
	v_mov_b32_e32 v4, 0x7f800001
	s_mov_b32 s20, exec_lo
	v_cmpx_ne_u32_e32 0x7f, v11
	s_cbranch_execz .LBB384_2225
; %bb.2222:                             ;   in Loop: Header=BB384_2086 Depth=1
	v_mov_b32_e32 v24, v21
	v_lshrrev_b32_e32 v4, 3, v11
	v_mov_b32_e32 v23, v20
	s_mov_b32 s21, exec_lo
	v_cmpx_gt_u32_e32 8, v11
; %bb.2223:                             ;   in Loop: Header=BB384_2086 Depth=1
	v_and_b32_e32 v4, 7, v20
	v_ffbh_u32_e32 v4, v4
	v_min_u32_e32 v4, 32, v4
	v_subrev_nc_u32_e32 v11, 28, v4
	v_sub_nc_u32_e32 v4, 29, v4
	v_lshlrev_b64 v[23:24], v11, v[20:21]
; %bb.2224:                             ;   in Loop: Header=BB384_2086 Depth=1
	s_or_b32 exec_lo, exec_lo, s21
	v_lshlrev_b32_e32 v11, 20, v23
	v_lshlrev_b32_e32 v12, 24, v20
	v_lshl_add_u32 v4, v4, 23, 0x3c000000
	v_and_b32_e32 v11, 0x700000, v11
	v_and_b32_e32 v12, 0x80000000, v12
	v_or3_b32 v4, v11, v12, v4
.LBB384_2225:                           ;   in Loop: Header=BB384_2086 Depth=1
	s_or_b32 exec_lo, exec_lo, s20
.LBB384_2226:                           ;   in Loop: Header=BB384_2086 Depth=1
	s_or_b32 exec_lo, exec_lo, s18
.LBB384_2227:                           ;   in Loop: Header=BB384_2086 Depth=1
	s_or_b32 exec_lo, exec_lo, s17
	v_cmp_ne_u16_sdwa s4, v20, v13 src0_sel:BYTE_1 src1_sel:DWORD
	s_and_saveexec_b32 s17, s4
	s_cbranch_execz .LBB384_2235
; %bb.2228:                             ;   in Loop: Header=BB384_2086 Depth=1
	v_cmp_ne_u16_sdwa s4, v20, v116 src0_sel:BYTE_1 src1_sel:DWORD
	v_bfrev_b32_e32 v5, 1
	s_and_saveexec_b32 s18, s4
	s_cbranch_execz .LBB384_2234
; %bb.2229:                             ;   in Loop: Header=BB384_2086 Depth=1
	v_mov_b32_e32 v5, 0xffff
	s_mov_b32 s20, exec_lo
	v_and_b32_sdwa v12, v5, v20 dst_sel:DWORD dst_unused:UNUSED_PAD src0_sel:DWORD src1_sel:BYTE_1
	v_mov_b32_e32 v5, 0x7f800001
	v_and_b32_e32 v11, 0x7f, v12
	v_cmpx_ne_u32_e32 0x7f, v11
	s_cbranch_execz .LBB384_2233
; %bb.2230:                             ;   in Loop: Header=BB384_2086 Depth=1
	v_and_b32_e32 v12, 7, v12
	v_mov_b32_e32 v24, v13
	v_lshrrev_b32_e32 v5, 3, v11
	s_mov_b32 s21, exec_lo
	v_mov_b32_e32 v23, v12
	v_cmpx_gt_u32_e32 8, v11
; %bb.2231:                             ;   in Loop: Header=BB384_2086 Depth=1
	v_ffbh_u32_e32 v5, v12
	v_min_u32_e32 v5, 32, v5
	v_subrev_nc_u32_e32 v11, 28, v5
	v_sub_nc_u32_e32 v5, 29, v5
	v_lshlrev_b64 v[11:12], v11, v[12:13]
	v_and_b32_e32 v23, 7, v11
; %bb.2232:                             ;   in Loop: Header=BB384_2086 Depth=1
	s_or_b32 exec_lo, exec_lo, s21
	v_lshlrev_b32_e32 v11, 16, v20
	v_lshlrev_b32_e32 v12, 20, v23
	v_lshl_add_u32 v5, v5, 23, 0x3c000000
	v_and_b32_e32 v11, 0x80000000, v11
	v_or3_b32 v5, v12, v11, v5
.LBB384_2233:                           ;   in Loop: Header=BB384_2086 Depth=1
	s_or_b32 exec_lo, exec_lo, s20
.LBB384_2234:                           ;   in Loop: Header=BB384_2086 Depth=1
	s_or_b32 exec_lo, exec_lo, s18
.LBB384_2235:                           ;   in Loop: Header=BB384_2086 Depth=1
	s_or_b32 exec_lo, exec_lo, s17
	v_and_b32_sdwa v12, v20, v118 dst_sel:DWORD dst_unused:UNUSED_PAD src0_sel:WORD_1 src1_sel:DWORD
	v_mov_b32_e32 v16, 0
	v_mov_b32_e32 v11, 0
	s_mov_b32 s17, exec_lo
	v_cmpx_ne_u16_e32 0, v12
	s_cbranch_execz .LBB384_2243
; %bb.2236:                             ;   in Loop: Header=BB384_2086 Depth=1
	v_bfrev_b32_e32 v11, 1
	s_mov_b32 s18, exec_lo
	v_cmpx_ne_u16_e32 0x80, v12
	s_cbranch_execz .LBB384_2242
; %bb.2237:                             ;   in Loop: Header=BB384_2086 Depth=1
	v_bfe_u32 v17, v20, 16, 7
	v_mov_b32_e32 v11, 0x7f800001
	s_mov_b32 s20, exec_lo
	v_cmpx_ne_u32_e32 0x7f, v17
	s_cbranch_execz .LBB384_2241
; %bb.2238:                             ;   in Loop: Header=BB384_2086 Depth=1
	v_mov_b32_e32 v11, 7
	s_mov_b32 s21, exec_lo
	v_and_b32_sdwa v12, v20, v11 dst_sel:DWORD dst_unused:UNUSED_PAD src0_sel:WORD_1 src1_sel:DWORD
	v_mov_b32_e32 v24, v13
	v_lshrrev_b32_e32 v11, 3, v17
	v_mov_b32_e32 v23, v12
	v_cmpx_gt_u32_e32 8, v17
; %bb.2239:                             ;   in Loop: Header=BB384_2086 Depth=1
	v_ffbh_u32_e32 v11, v12
	v_min_u32_e32 v11, 32, v11
	v_subrev_nc_u32_e32 v17, 28, v11
	v_sub_nc_u32_e32 v11, 29, v11
	v_lshlrev_b64 v[22:23], v17, v[12:13]
	v_and_b32_e32 v23, 7, v22
; %bb.2240:                             ;   in Loop: Header=BB384_2086 Depth=1
	s_or_b32 exec_lo, exec_lo, s21
	v_mov_b32_e32 v12, 24
	v_lshlrev_b32_e32 v17, 20, v23
	v_lshl_add_u32 v11, v11, 23, 0x3c000000
	v_lshlrev_b32_sdwa v12, v12, v20 dst_sel:DWORD dst_unused:UNUSED_PAD src0_sel:DWORD src1_sel:WORD_1
	v_and_b32_e32 v12, 0x80000000, v12
	v_or3_b32 v11, v17, v12, v11
.LBB384_2241:                           ;   in Loop: Header=BB384_2086 Depth=1
	s_or_b32 exec_lo, exec_lo, s20
.LBB384_2242:                           ;   in Loop: Header=BB384_2086 Depth=1
	s_or_b32 exec_lo, exec_lo, s18
.LBB384_2243:                           ;   in Loop: Header=BB384_2086 Depth=1
	s_or_b32 exec_lo, exec_lo, s17
	s_mov_b32 s17, exec_lo
	v_cmpx_lt_u32_e32 0xffffff, v20
	s_cbranch_execz .LBB384_2251
; %bb.2244:                             ;   in Loop: Header=BB384_2086 Depth=1
	v_cmp_ne_u32_sdwa s4, v20, v116 src0_sel:BYTE_3 src1_sel:DWORD
	v_bfrev_b32_e32 v16, 1
	s_and_saveexec_b32 s18, s4
	s_cbranch_execz .LBB384_2250
; %bb.2245:                             ;   in Loop: Header=BB384_2086 Depth=1
	v_bfe_u32 v17, v20, 24, 7
	v_mov_b32_e32 v16, 0x7f800001
	s_mov_b32 s20, exec_lo
	v_cmpx_ne_u32_e32 0x7f, v17
	s_cbranch_execz .LBB384_2249
; %bb.2246:                             ;   in Loop: Header=BB384_2086 Depth=1
	v_mov_b32_e32 v12, 7
	v_lshrrev_b32_e32 v16, 3, v17
	s_mov_b32 s21, exec_lo
	v_and_b32_sdwa v12, v20, v12 dst_sel:DWORD dst_unused:UNUSED_PAD src0_sel:BYTE_3 src1_sel:DWORD
	v_mov_b32_e32 v24, v13
	v_mov_b32_e32 v23, v12
	v_cmpx_gt_u32_e32 8, v17
; %bb.2247:                             ;   in Loop: Header=BB384_2086 Depth=1
	v_ffbh_u32_e32 v16, v12
	v_min_u32_e32 v16, 32, v16
	v_subrev_nc_u32_e32 v17, 28, v16
	v_sub_nc_u32_e32 v16, 29, v16
	v_lshlrev_b64 v[22:23], v17, v[12:13]
	v_and_b32_e32 v23, 7, v22
; %bb.2248:                             ;   in Loop: Header=BB384_2086 Depth=1
	s_or_b32 exec_lo, exec_lo, s21
	v_mov_b32_e32 v12, 24
	v_lshlrev_b32_e32 v17, 20, v23
	v_lshl_add_u32 v16, v16, 23, 0x3c000000
	v_lshlrev_b32_sdwa v12, v12, v20 dst_sel:DWORD dst_unused:UNUSED_PAD src0_sel:DWORD src1_sel:BYTE_3
	v_and_b32_e32 v12, 0x80000000, v12
	v_or3_b32 v16, v17, v12, v16
.LBB384_2249:                           ;   in Loop: Header=BB384_2086 Depth=1
	s_or_b32 exec_lo, exec_lo, s20
.LBB384_2250:                           ;   in Loop: Header=BB384_2086 Depth=1
	s_or_b32 exec_lo, exec_lo, s18
.LBB384_2251:                           ;   in Loop: Header=BB384_2086 Depth=1
	s_or_b32 exec_lo, exec_lo, s17
	v_mov_b32_e32 v12, v21
	v_cmp_ne_u16_sdwa s4, v21, v13 src0_sel:BYTE_0 src1_sel:DWORD
	v_mov_b32_e32 v22, 0
	v_mov_b32_e32 v17, 0
	s_and_saveexec_b32 s17, s4
	s_cbranch_execz .LBB384_2259
; %bb.2252:                             ;   in Loop: Header=BB384_2086 Depth=1
	v_cmp_ne_u16_sdwa s4, v21, v116 src0_sel:BYTE_0 src1_sel:DWORD
	v_bfrev_b32_e32 v17, 1
	s_and_saveexec_b32 s18, s4
	s_cbranch_execz .LBB384_2258
; %bb.2253:                             ;   in Loop: Header=BB384_2086 Depth=1
	v_and_b32_e32 v23, 0x7f, v21
	v_mov_b32_e32 v17, 0x7f800001
	s_mov_b32 s20, exec_lo
	v_cmpx_ne_u32_e32 0x7f, v23
	s_cbranch_execz .LBB384_2257
; %bb.2254:                             ;   in Loop: Header=BB384_2086 Depth=1
	v_lshrrev_b32_e32 v17, 3, v23
	v_cmp_gt_u32_e64 s4, 8, v23
	v_mov_b32_e32 v24, v13
	v_mov_b32_e32 v23, v12
	s_and_saveexec_b32 s21, s4
; %bb.2255:                             ;   in Loop: Header=BB384_2086 Depth=1
	v_and_b32_e32 v17, 7, v21
	v_ffbh_u32_e32 v17, v17
	v_min_u32_e32 v17, 32, v17
	v_subrev_nc_u32_e32 v23, 28, v17
	v_sub_nc_u32_e32 v17, 29, v17
	v_lshlrev_b64 v[23:24], v23, v[12:13]
; %bb.2256:                             ;   in Loop: Header=BB384_2086 Depth=1
	s_or_b32 exec_lo, exec_lo, s21
	v_lshlrev_b32_e32 v23, 20, v23
	v_lshlrev_b32_e32 v24, 24, v12
	v_lshl_add_u32 v17, v17, 23, 0x3c000000
	v_and_b32_e32 v23, 0x700000, v23
	v_and_b32_e32 v24, 0x80000000, v24
	v_or3_b32 v17, v23, v24, v17
.LBB384_2257:                           ;   in Loop: Header=BB384_2086 Depth=1
	s_or_b32 exec_lo, exec_lo, s20
.LBB384_2258:                           ;   in Loop: Header=BB384_2086 Depth=1
	s_or_b32 exec_lo, exec_lo, s18
.LBB384_2259:                           ;   in Loop: Header=BB384_2086 Depth=1
	s_or_b32 exec_lo, exec_lo, s17
	v_cmp_ne_u16_sdwa s4, v12, v13 src0_sel:BYTE_1 src1_sel:DWORD
	s_and_saveexec_b32 s17, s4
	s_cbranch_execz .LBB384_2267
; %bb.2260:                             ;   in Loop: Header=BB384_2086 Depth=1
	v_cmp_ne_u16_sdwa s4, v12, v116 src0_sel:BYTE_1 src1_sel:DWORD
	v_bfrev_b32_e32 v22, 1
	s_and_saveexec_b32 s18, s4
	s_cbranch_execz .LBB384_2266
; %bb.2261:                             ;   in Loop: Header=BB384_2086 Depth=1
	v_mov_b32_e32 v22, 0xffff
	s_mov_b32 s20, exec_lo
	v_and_b32_sdwa v23, v22, v12 dst_sel:DWORD dst_unused:UNUSED_PAD src0_sel:DWORD src1_sel:BYTE_1
	v_mov_b32_e32 v22, 0x7f800001
	v_and_b32_e32 v25, 0x7f, v23
	v_cmpx_ne_u32_e32 0x7f, v25
	s_cbranch_execz .LBB384_2265
; %bb.2262:                             ;   in Loop: Header=BB384_2086 Depth=1
	v_and_b32_e32 v23, 7, v23
	v_mov_b32_e32 v24, v13
	v_lshrrev_b32_e32 v22, 3, v25
	s_mov_b32 s21, exec_lo
	v_cmpx_gt_u32_e32 8, v25
; %bb.2263:                             ;   in Loop: Header=BB384_2086 Depth=1
	v_ffbh_u32_e32 v22, v23
	v_min_u32_e32 v22, 32, v22
	v_subrev_nc_u32_e32 v25, 28, v22
	v_sub_nc_u32_e32 v22, 29, v22
	v_lshlrev_b64 v[23:24], v25, v[23:24]
	v_and_b32_e32 v23, 7, v23
; %bb.2264:                             ;   in Loop: Header=BB384_2086 Depth=1
	s_or_b32 exec_lo, exec_lo, s21
	v_lshlrev_b32_e32 v12, 16, v12
	v_lshlrev_b32_e32 v23, 20, v23
	v_lshl_add_u32 v22, v22, 23, 0x3c000000
	v_and_b32_e32 v12, 0x80000000, v12
	v_or3_b32 v22, v23, v12, v22
.LBB384_2265:                           ;   in Loop: Header=BB384_2086 Depth=1
	s_or_b32 exec_lo, exec_lo, s20
.LBB384_2266:                           ;   in Loop: Header=BB384_2086 Depth=1
	s_or_b32 exec_lo, exec_lo, s18
.LBB384_2267:                           ;   in Loop: Header=BB384_2086 Depth=1
	s_or_b32 exec_lo, exec_lo, s17
	v_and_b32_sdwa v12, v21, v118 dst_sel:DWORD dst_unused:UNUSED_PAD src0_sel:WORD_1 src1_sel:DWORD
	v_mov_b32_e32 v25, 0
	v_mov_b32_e32 v28, 0
	s_mov_b32 s17, exec_lo
	v_cmpx_ne_u16_e32 0, v12
	s_cbranch_execz .LBB384_2275
; %bb.2268:                             ;   in Loop: Header=BB384_2086 Depth=1
	v_bfrev_b32_e32 v28, 1
	s_mov_b32 s18, exec_lo
	v_cmpx_ne_u16_e32 0x80, v12
	s_cbranch_execz .LBB384_2274
; %bb.2269:                             ;   in Loop: Header=BB384_2086 Depth=1
	v_bfe_u32 v23, v21, 16, 7
	v_mov_b32_e32 v28, 0x7f800001
	s_mov_b32 s20, exec_lo
	v_cmpx_ne_u32_e32 0x7f, v23
	s_cbranch_execz .LBB384_2273
; %bb.2270:                             ;   in Loop: Header=BB384_2086 Depth=1
	v_mov_b32_e32 v12, 7
	v_lshrrev_b32_e32 v28, 3, v23
	v_cmp_gt_u32_e64 s4, 8, v23
	v_and_b32_sdwa v12, v21, v12 dst_sel:DWORD dst_unused:UNUSED_PAD src0_sel:WORD_1 src1_sel:DWORD
	v_mov_b32_e32 v24, v13
	v_mov_b32_e32 v23, v12
	s_and_saveexec_b32 s21, s4
; %bb.2271:                             ;   in Loop: Header=BB384_2086 Depth=1
	v_ffbh_u32_e32 v23, v12
	v_min_u32_e32 v28, 32, v23
	v_subrev_nc_u32_e32 v23, 28, v28
	v_sub_nc_u32_e32 v28, 29, v28
	v_lshlrev_b64 v[23:24], v23, v[12:13]
	v_and_b32_e32 v23, 7, v23
; %bb.2272:                             ;   in Loop: Header=BB384_2086 Depth=1
	s_or_b32 exec_lo, exec_lo, s21
	v_mov_b32_e32 v12, 24
	v_lshlrev_b32_e32 v23, 20, v23
	v_lshl_add_u32 v24, v28, 23, 0x3c000000
	v_lshlrev_b32_sdwa v12, v12, v21 dst_sel:DWORD dst_unused:UNUSED_PAD src0_sel:DWORD src1_sel:WORD_1
	v_and_b32_e32 v12, 0x80000000, v12
	v_or3_b32 v28, v23, v12, v24
.LBB384_2273:                           ;   in Loop: Header=BB384_2086 Depth=1
	s_or_b32 exec_lo, exec_lo, s20
.LBB384_2274:                           ;   in Loop: Header=BB384_2086 Depth=1
	s_or_b32 exec_lo, exec_lo, s18
.LBB384_2275:                           ;   in Loop: Header=BB384_2086 Depth=1
	s_or_b32 exec_lo, exec_lo, s17
	s_mov_b32 s17, exec_lo
	v_cmpx_lt_u64_e64 s[12:13], v[20:21]
	s_cbranch_execz .LBB384_2283
; %bb.2276:                             ;   in Loop: Header=BB384_2086 Depth=1
	v_cmp_ne_u32_sdwa s4, v21, v116 src0_sel:BYTE_3 src1_sel:DWORD
	v_bfrev_b32_e32 v25, 1
	s_and_saveexec_b32 s18, s4
	s_cbranch_execz .LBB384_2282
; %bb.2277:                             ;   in Loop: Header=BB384_2086 Depth=1
	v_bfe_u32 v23, v21, 24, 7
	v_mov_b32_e32 v25, 0x7f800001
	s_mov_b32 s20, exec_lo
	v_cmpx_ne_u32_e32 0x7f, v23
	s_cbranch_execz .LBB384_2281
; %bb.2278:                             ;   in Loop: Header=BB384_2086 Depth=1
	v_mov_b32_e32 v12, 7
	v_lshrrev_b32_e32 v20, 3, v23
	v_cmp_gt_u32_e64 s4, 8, v23
	v_and_b32_sdwa v12, v21, v12 dst_sel:DWORD dst_unused:UNUSED_PAD src0_sel:BYTE_3 src1_sel:DWORD
	v_mov_b32_e32 v24, v13
	v_mov_b32_e32 v23, v12
	s_and_saveexec_b32 s21, s4
; %bb.2279:                             ;   in Loop: Header=BB384_2086 Depth=1
	v_ffbh_u32_e32 v20, v12
	v_min_u32_e32 v20, 32, v20
	v_subrev_nc_u32_e32 v23, 28, v20
	v_sub_nc_u32_e32 v20, 29, v20
	v_lshlrev_b64 v[23:24], v23, v[12:13]
	v_and_b32_e32 v23, 7, v23
; %bb.2280:                             ;   in Loop: Header=BB384_2086 Depth=1
	s_or_b32 exec_lo, exec_lo, s21
	v_mov_b32_e32 v12, 24
	v_lshl_add_u32 v20, v20, 23, 0x3c000000
	v_lshlrev_b32_sdwa v12, v12, v21 dst_sel:DWORD dst_unused:UNUSED_PAD src0_sel:DWORD src1_sel:BYTE_3
	v_lshlrev_b32_e32 v21, 20, v23
	v_and_b32_e32 v12, 0x80000000, v12
	v_or3_b32 v25, v21, v12, v20
.LBB384_2281:                           ;   in Loop: Header=BB384_2086 Depth=1
	s_or_b32 exec_lo, exec_lo, s20
.LBB384_2282:                           ;   in Loop: Header=BB384_2086 Depth=1
	s_or_b32 exec_lo, exec_lo, s18
.LBB384_2283:                           ;   in Loop: Header=BB384_2086 Depth=1
	s_or_b32 exec_lo, exec_lo, s17
	v_mul_f32_e32 v12, v115, v22
	v_mul_f32_e32 v17, v115, v17
	;; [unrolled: 1-line block ×5, first 2 shown]
	v_bfe_u32 v20, v12, 16, 1
	v_or_b32_e32 v21, 0x400000, v12
	v_bfe_u32 v22, v17, 16, 1
	v_cmp_u_f32_e64 s4, v12, v12
	v_or_b32_e32 v23, 0x400000, v17
	v_add3_u32 v20, v20, v12, 0x7fff
	v_bfe_u32 v24, v16, 16, 1
	v_add3_u32 v22, v22, v17, 0x7fff
	v_or_b32_e32 v29, 0x400000, v16
	v_bfe_u32 v31, v11, 16, 1
	v_cndmask_b32_e64 v12, v20, v21, s4
	v_cmp_u_f32_e64 s4, v17, v17
	v_add3_u32 v24, v24, v16, 0x7fff
	v_or_b32_e32 v20, 0x400000, v11
	v_mul_f32_e32 v4, v115, v4
	v_lshrrev_b32_e32 v12, 16, v12
	v_cndmask_b32_e64 v17, v22, v23, s4
	v_cmp_u_f32_e64 s4, v16, v16
	v_bfe_u32 v21, v4, 16, 1
	buffer_store_dword v12, off, s[0:3], s32 offset:316 ; 4-byte Folded Spill
	v_add3_u32 v12, v31, v11, 0x7fff
	v_cndmask_b32_e64 v16, v24, v29, s4
	v_lshrrev_b32_e32 v17, 16, v17
	v_cmp_u_f32_e64 s4, v11, v11
	v_lshrrev_b32_e32 v16, 16, v16
	buffer_store_dword v17, off, s[0:3], s32 offset:308 ; 4-byte Folded Spill
	v_cndmask_b32_e64 v11, v12, v20, s4
	v_mul_f32_e32 v12, v115, v28
	v_or_b32_e32 v17, 0x400000, v5
	buffer_store_dword v16, off, s[0:3], s32 offset:320 ; 4-byte Folded Spill
	v_bfe_u32 v16, v5, 16, 1
	v_cmp_u_f32_e64 s4, v5, v5
	v_mul_f32_e32 v20, v115, v25
	v_bfe_u32 v22, v12, 16, 1
	v_or_b32_e32 v23, 0x400000, v12
	v_add3_u32 v16, v16, v5, 0x7fff
	v_lshrrev_b32_e32 v11, 16, v11
	v_or_b32_e32 v24, 0x400000, v20
	v_add3_u32 v22, v22, v12, 0x7fff
	v_cndmask_b32_e64 v5, v16, v17, s4
	v_add3_u32 v17, v21, v4, 0x7fff
	v_or_b32_e32 v21, 0x400000, v4
	v_cmp_u_f32_e64 s4, v4, v4
	v_bfe_u32 v16, v20, 16, 1
	v_lshrrev_b32_e32 v5, 16, v5
	buffer_store_dword v11, off, s[0:3], s32 offset:324 ; 4-byte Folded Spill
	v_cndmask_b32_e64 v4, v17, v21, s4
	v_cmp_u_f32_e64 s4, v12, v12
	v_add3_u32 v16, v16, v20, 0x7fff
	buffer_store_dword v5, off, s[0:3], s32 offset:332 ; 4-byte Folded Spill
	v_lshrrev_b32_e32 v4, 16, v4
	v_cndmask_b32_e64 v12, v22, v23, s4
	v_cmp_u_f32_e64 s4, v20, v20
	buffer_store_dword v4, off, s[0:3], s32 offset:328 ; 4-byte Folded Spill
	v_lshrrev_b32_e32 v4, 16, v12
	v_cndmask_b32_e64 v16, v16, v24, s4
	buffer_store_dword v4, off, s[0:3], s32 offset:304 ; 4-byte Folded Spill
	v_lshrrev_b32_e32 v4, 16, v16
	buffer_store_dword v4, off, s[0:3], s32 offset:312 ; 4-byte Folded Spill
	s_and_saveexec_b32 s17, vcc_lo
	s_cbranch_execz .LBB384_2285
; %bb.2284:                             ;   in Loop: Header=BB384_2086 Depth=1
	buffer_load_dword v4, off, s[0:3], s32 offset:328 ; 4-byte Folded Reload
	v_cmp_lt_i32_e64 s4, v114, v48
	s_waitcnt vmcnt(0)
	v_cndmask_b32_e64 v4, 0, v4, s4
	v_cmp_lt_i32_e64 s4, v10, v48
	buffer_store_dword v4, off, s[0:3], s32 offset:328 ; 4-byte Folded Spill
	buffer_load_dword v4, off, s[0:3], s32 offset:332 ; 4-byte Folded Reload
	s_waitcnt vmcnt(0)
	v_cndmask_b32_e64 v4, 0, v4, s4
	v_cmp_lt_i32_e64 s4, v26, v48
	buffer_store_dword v4, off, s[0:3], s32 offset:332 ; 4-byte Folded Spill
	buffer_load_dword v4, off, s[0:3], s32 offset:324 ; 4-byte Folded Reload
	;; [unrolled: 5-line block ×7, first 2 shown]
	s_waitcnt vmcnt(0)
	v_cndmask_b32_e64 v4, 0, v4, s4
	buffer_store_dword v4, off, s[0:3], s32 offset:312 ; 4-byte Folded Spill
.LBB384_2285:                           ;   in Loop: Header=BB384_2086 Depth=1
	s_or_b32 exec_lo, exec_lo, s17
	flat_load_dwordx2 v[20:21], v[18:19] offset:768
	v_mov_b32_e32 v5, 0
	v_mov_b32_e32 v4, 0
	s_waitcnt vmcnt(0) lgkmcnt(0)
	v_cmp_ne_u16_sdwa s4, v20, v13 src0_sel:BYTE_0 src1_sel:DWORD
	s_and_saveexec_b32 s17, s4
	s_cbranch_execz .LBB384_2293
; %bb.2286:                             ;   in Loop: Header=BB384_2086 Depth=1
	v_cmp_ne_u16_sdwa s4, v20, v116 src0_sel:BYTE_0 src1_sel:DWORD
	v_bfrev_b32_e32 v4, 1
	s_and_saveexec_b32 s18, s4
	s_cbranch_execz .LBB384_2292
; %bb.2287:                             ;   in Loop: Header=BB384_2086 Depth=1
	v_and_b32_e32 v11, 0x7f, v20
	v_mov_b32_e32 v4, 0x7f800001
	s_mov_b32 s20, exec_lo
	v_cmpx_ne_u32_e32 0x7f, v11
	s_cbranch_execz .LBB384_2291
; %bb.2288:                             ;   in Loop: Header=BB384_2086 Depth=1
	v_mov_b32_e32 v24, v21
	v_lshrrev_b32_e32 v4, 3, v11
	v_mov_b32_e32 v23, v20
	s_mov_b32 s21, exec_lo
	v_cmpx_gt_u32_e32 8, v11
; %bb.2289:                             ;   in Loop: Header=BB384_2086 Depth=1
	v_and_b32_e32 v4, 7, v20
	v_ffbh_u32_e32 v4, v4
	v_min_u32_e32 v4, 32, v4
	v_subrev_nc_u32_e32 v11, 28, v4
	v_sub_nc_u32_e32 v4, 29, v4
	v_lshlrev_b64 v[23:24], v11, v[20:21]
; %bb.2290:                             ;   in Loop: Header=BB384_2086 Depth=1
	s_or_b32 exec_lo, exec_lo, s21
	v_lshlrev_b32_e32 v11, 20, v23
	v_lshlrev_b32_e32 v12, 24, v20
	v_lshl_add_u32 v4, v4, 23, 0x3c000000
	v_and_b32_e32 v11, 0x700000, v11
	v_and_b32_e32 v12, 0x80000000, v12
	v_or3_b32 v4, v11, v12, v4
.LBB384_2291:                           ;   in Loop: Header=BB384_2086 Depth=1
	s_or_b32 exec_lo, exec_lo, s20
.LBB384_2292:                           ;   in Loop: Header=BB384_2086 Depth=1
	s_or_b32 exec_lo, exec_lo, s18
.LBB384_2293:                           ;   in Loop: Header=BB384_2086 Depth=1
	s_or_b32 exec_lo, exec_lo, s17
	v_cmp_ne_u16_sdwa s4, v20, v13 src0_sel:BYTE_1 src1_sel:DWORD
	s_and_saveexec_b32 s17, s4
	s_cbranch_execz .LBB384_2301
; %bb.2294:                             ;   in Loop: Header=BB384_2086 Depth=1
	v_cmp_ne_u16_sdwa s4, v20, v116 src0_sel:BYTE_1 src1_sel:DWORD
	v_bfrev_b32_e32 v5, 1
	s_and_saveexec_b32 s18, s4
	s_cbranch_execz .LBB384_2300
; %bb.2295:                             ;   in Loop: Header=BB384_2086 Depth=1
	v_mov_b32_e32 v5, 0xffff
	s_mov_b32 s20, exec_lo
	v_and_b32_sdwa v12, v5, v20 dst_sel:DWORD dst_unused:UNUSED_PAD src0_sel:DWORD src1_sel:BYTE_1
	v_mov_b32_e32 v5, 0x7f800001
	v_and_b32_e32 v11, 0x7f, v12
	v_cmpx_ne_u32_e32 0x7f, v11
	s_cbranch_execz .LBB384_2299
; %bb.2296:                             ;   in Loop: Header=BB384_2086 Depth=1
	v_and_b32_e32 v12, 7, v12
	v_mov_b32_e32 v24, v13
	v_lshrrev_b32_e32 v5, 3, v11
	s_mov_b32 s21, exec_lo
	v_mov_b32_e32 v23, v12
	v_cmpx_gt_u32_e32 8, v11
; %bb.2297:                             ;   in Loop: Header=BB384_2086 Depth=1
	v_ffbh_u32_e32 v5, v12
	v_min_u32_e32 v5, 32, v5
	v_subrev_nc_u32_e32 v11, 28, v5
	v_sub_nc_u32_e32 v5, 29, v5
	v_lshlrev_b64 v[11:12], v11, v[12:13]
	v_and_b32_e32 v23, 7, v11
; %bb.2298:                             ;   in Loop: Header=BB384_2086 Depth=1
	s_or_b32 exec_lo, exec_lo, s21
	v_lshlrev_b32_e32 v11, 16, v20
	v_lshlrev_b32_e32 v12, 20, v23
	v_lshl_add_u32 v5, v5, 23, 0x3c000000
	v_and_b32_e32 v11, 0x80000000, v11
	v_or3_b32 v5, v12, v11, v5
.LBB384_2299:                           ;   in Loop: Header=BB384_2086 Depth=1
	s_or_b32 exec_lo, exec_lo, s20
.LBB384_2300:                           ;   in Loop: Header=BB384_2086 Depth=1
	s_or_b32 exec_lo, exec_lo, s18
.LBB384_2301:                           ;   in Loop: Header=BB384_2086 Depth=1
	s_or_b32 exec_lo, exec_lo, s17
	v_and_b32_sdwa v12, v20, v118 dst_sel:DWORD dst_unused:UNUSED_PAD src0_sel:WORD_1 src1_sel:DWORD
	v_mov_b32_e32 v16, 0
	v_mov_b32_e32 v11, 0
	s_mov_b32 s17, exec_lo
	v_cmpx_ne_u16_e32 0, v12
	s_cbranch_execz .LBB384_2309
; %bb.2302:                             ;   in Loop: Header=BB384_2086 Depth=1
	v_bfrev_b32_e32 v11, 1
	s_mov_b32 s18, exec_lo
	v_cmpx_ne_u16_e32 0x80, v12
	s_cbranch_execz .LBB384_2308
; %bb.2303:                             ;   in Loop: Header=BB384_2086 Depth=1
	v_bfe_u32 v17, v20, 16, 7
	v_mov_b32_e32 v11, 0x7f800001
	s_mov_b32 s20, exec_lo
	v_cmpx_ne_u32_e32 0x7f, v17
	s_cbranch_execz .LBB384_2307
; %bb.2304:                             ;   in Loop: Header=BB384_2086 Depth=1
	v_mov_b32_e32 v11, 7
	s_mov_b32 s21, exec_lo
	v_and_b32_sdwa v12, v20, v11 dst_sel:DWORD dst_unused:UNUSED_PAD src0_sel:WORD_1 src1_sel:DWORD
	v_mov_b32_e32 v24, v13
	v_lshrrev_b32_e32 v11, 3, v17
	v_mov_b32_e32 v23, v12
	v_cmpx_gt_u32_e32 8, v17
; %bb.2305:                             ;   in Loop: Header=BB384_2086 Depth=1
	v_ffbh_u32_e32 v11, v12
	v_min_u32_e32 v11, 32, v11
	v_subrev_nc_u32_e32 v17, 28, v11
	v_sub_nc_u32_e32 v11, 29, v11
	v_lshlrev_b64 v[22:23], v17, v[12:13]
	v_and_b32_e32 v23, 7, v22
; %bb.2306:                             ;   in Loop: Header=BB384_2086 Depth=1
	s_or_b32 exec_lo, exec_lo, s21
	v_mov_b32_e32 v12, 24
	v_lshlrev_b32_e32 v17, 20, v23
	v_lshl_add_u32 v11, v11, 23, 0x3c000000
	v_lshlrev_b32_sdwa v12, v12, v20 dst_sel:DWORD dst_unused:UNUSED_PAD src0_sel:DWORD src1_sel:WORD_1
	v_and_b32_e32 v12, 0x80000000, v12
	v_or3_b32 v11, v17, v12, v11
.LBB384_2307:                           ;   in Loop: Header=BB384_2086 Depth=1
	s_or_b32 exec_lo, exec_lo, s20
.LBB384_2308:                           ;   in Loop: Header=BB384_2086 Depth=1
	s_or_b32 exec_lo, exec_lo, s18
.LBB384_2309:                           ;   in Loop: Header=BB384_2086 Depth=1
	s_or_b32 exec_lo, exec_lo, s17
	s_mov_b32 s17, exec_lo
	v_cmpx_lt_u32_e32 0xffffff, v20
	s_cbranch_execz .LBB384_2317
; %bb.2310:                             ;   in Loop: Header=BB384_2086 Depth=1
	v_cmp_ne_u32_sdwa s4, v20, v116 src0_sel:BYTE_3 src1_sel:DWORD
	v_bfrev_b32_e32 v16, 1
	s_and_saveexec_b32 s18, s4
	s_cbranch_execz .LBB384_2316
; %bb.2311:                             ;   in Loop: Header=BB384_2086 Depth=1
	v_bfe_u32 v17, v20, 24, 7
	v_mov_b32_e32 v16, 0x7f800001
	s_mov_b32 s20, exec_lo
	v_cmpx_ne_u32_e32 0x7f, v17
	s_cbranch_execz .LBB384_2315
; %bb.2312:                             ;   in Loop: Header=BB384_2086 Depth=1
	v_mov_b32_e32 v12, 7
	v_lshrrev_b32_e32 v16, 3, v17
	s_mov_b32 s21, exec_lo
	v_and_b32_sdwa v12, v20, v12 dst_sel:DWORD dst_unused:UNUSED_PAD src0_sel:BYTE_3 src1_sel:DWORD
	v_mov_b32_e32 v24, v13
	v_mov_b32_e32 v23, v12
	v_cmpx_gt_u32_e32 8, v17
; %bb.2313:                             ;   in Loop: Header=BB384_2086 Depth=1
	v_ffbh_u32_e32 v16, v12
	v_min_u32_e32 v16, 32, v16
	v_subrev_nc_u32_e32 v17, 28, v16
	v_sub_nc_u32_e32 v16, 29, v16
	v_lshlrev_b64 v[22:23], v17, v[12:13]
	v_and_b32_e32 v23, 7, v22
; %bb.2314:                             ;   in Loop: Header=BB384_2086 Depth=1
	s_or_b32 exec_lo, exec_lo, s21
	v_mov_b32_e32 v12, 24
	v_lshlrev_b32_e32 v17, 20, v23
	v_lshl_add_u32 v16, v16, 23, 0x3c000000
	v_lshlrev_b32_sdwa v12, v12, v20 dst_sel:DWORD dst_unused:UNUSED_PAD src0_sel:DWORD src1_sel:BYTE_3
	v_and_b32_e32 v12, 0x80000000, v12
	v_or3_b32 v16, v17, v12, v16
.LBB384_2315:                           ;   in Loop: Header=BB384_2086 Depth=1
	s_or_b32 exec_lo, exec_lo, s20
.LBB384_2316:                           ;   in Loop: Header=BB384_2086 Depth=1
	s_or_b32 exec_lo, exec_lo, s18
.LBB384_2317:                           ;   in Loop: Header=BB384_2086 Depth=1
	s_or_b32 exec_lo, exec_lo, s17
	v_mov_b32_e32 v12, v21
	v_cmp_ne_u16_sdwa s4, v21, v13 src0_sel:BYTE_0 src1_sel:DWORD
	v_mov_b32_e32 v22, 0
	v_mov_b32_e32 v17, 0
	s_and_saveexec_b32 s17, s4
	s_cbranch_execz .LBB384_2325
; %bb.2318:                             ;   in Loop: Header=BB384_2086 Depth=1
	v_cmp_ne_u16_sdwa s4, v21, v116 src0_sel:BYTE_0 src1_sel:DWORD
	v_bfrev_b32_e32 v17, 1
	s_and_saveexec_b32 s18, s4
	s_cbranch_execz .LBB384_2324
; %bb.2319:                             ;   in Loop: Header=BB384_2086 Depth=1
	v_and_b32_e32 v23, 0x7f, v21
	v_mov_b32_e32 v17, 0x7f800001
	s_mov_b32 s20, exec_lo
	v_cmpx_ne_u32_e32 0x7f, v23
	s_cbranch_execz .LBB384_2323
; %bb.2320:                             ;   in Loop: Header=BB384_2086 Depth=1
	v_lshrrev_b32_e32 v17, 3, v23
	v_cmp_gt_u32_e64 s4, 8, v23
	v_mov_b32_e32 v24, v13
	v_mov_b32_e32 v23, v12
	s_and_saveexec_b32 s21, s4
; %bb.2321:                             ;   in Loop: Header=BB384_2086 Depth=1
	v_and_b32_e32 v17, 7, v21
	v_ffbh_u32_e32 v17, v17
	v_min_u32_e32 v17, 32, v17
	v_subrev_nc_u32_e32 v23, 28, v17
	v_sub_nc_u32_e32 v17, 29, v17
	v_lshlrev_b64 v[23:24], v23, v[12:13]
; %bb.2322:                             ;   in Loop: Header=BB384_2086 Depth=1
	s_or_b32 exec_lo, exec_lo, s21
	v_lshlrev_b32_e32 v23, 20, v23
	v_lshlrev_b32_e32 v24, 24, v12
	v_lshl_add_u32 v17, v17, 23, 0x3c000000
	v_and_b32_e32 v23, 0x700000, v23
	v_and_b32_e32 v24, 0x80000000, v24
	v_or3_b32 v17, v23, v24, v17
.LBB384_2323:                           ;   in Loop: Header=BB384_2086 Depth=1
	s_or_b32 exec_lo, exec_lo, s20
.LBB384_2324:                           ;   in Loop: Header=BB384_2086 Depth=1
	s_or_b32 exec_lo, exec_lo, s18
.LBB384_2325:                           ;   in Loop: Header=BB384_2086 Depth=1
	s_or_b32 exec_lo, exec_lo, s17
	v_cmp_ne_u16_sdwa s4, v12, v13 src0_sel:BYTE_1 src1_sel:DWORD
	s_and_saveexec_b32 s17, s4
	s_cbranch_execz .LBB384_2333
; %bb.2326:                             ;   in Loop: Header=BB384_2086 Depth=1
	v_cmp_ne_u16_sdwa s4, v12, v116 src0_sel:BYTE_1 src1_sel:DWORD
	v_bfrev_b32_e32 v22, 1
	s_and_saveexec_b32 s18, s4
	s_cbranch_execz .LBB384_2332
; %bb.2327:                             ;   in Loop: Header=BB384_2086 Depth=1
	v_mov_b32_e32 v22, 0xffff
	s_mov_b32 s20, exec_lo
	v_and_b32_sdwa v23, v22, v12 dst_sel:DWORD dst_unused:UNUSED_PAD src0_sel:DWORD src1_sel:BYTE_1
	v_mov_b32_e32 v22, 0x7f800001
	v_and_b32_e32 v25, 0x7f, v23
	v_cmpx_ne_u32_e32 0x7f, v25
	s_cbranch_execz .LBB384_2331
; %bb.2328:                             ;   in Loop: Header=BB384_2086 Depth=1
	v_and_b32_e32 v23, 7, v23
	v_mov_b32_e32 v24, v13
	v_lshrrev_b32_e32 v22, 3, v25
	s_mov_b32 s21, exec_lo
	v_cmpx_gt_u32_e32 8, v25
; %bb.2329:                             ;   in Loop: Header=BB384_2086 Depth=1
	v_ffbh_u32_e32 v22, v23
	v_min_u32_e32 v22, 32, v22
	v_subrev_nc_u32_e32 v25, 28, v22
	v_sub_nc_u32_e32 v22, 29, v22
	v_lshlrev_b64 v[23:24], v25, v[23:24]
	v_and_b32_e32 v23, 7, v23
; %bb.2330:                             ;   in Loop: Header=BB384_2086 Depth=1
	s_or_b32 exec_lo, exec_lo, s21
	v_lshlrev_b32_e32 v12, 16, v12
	v_lshlrev_b32_e32 v23, 20, v23
	v_lshl_add_u32 v22, v22, 23, 0x3c000000
	v_and_b32_e32 v12, 0x80000000, v12
	v_or3_b32 v22, v23, v12, v22
.LBB384_2331:                           ;   in Loop: Header=BB384_2086 Depth=1
	s_or_b32 exec_lo, exec_lo, s20
.LBB384_2332:                           ;   in Loop: Header=BB384_2086 Depth=1
	s_or_b32 exec_lo, exec_lo, s18
.LBB384_2333:                           ;   in Loop: Header=BB384_2086 Depth=1
	s_or_b32 exec_lo, exec_lo, s17
	v_and_b32_sdwa v12, v21, v118 dst_sel:DWORD dst_unused:UNUSED_PAD src0_sel:WORD_1 src1_sel:DWORD
	v_mov_b32_e32 v25, 0
	v_mov_b32_e32 v28, 0
	s_mov_b32 s17, exec_lo
	v_cmpx_ne_u16_e32 0, v12
	s_cbranch_execz .LBB384_2341
; %bb.2334:                             ;   in Loop: Header=BB384_2086 Depth=1
	v_bfrev_b32_e32 v28, 1
	s_mov_b32 s18, exec_lo
	v_cmpx_ne_u16_e32 0x80, v12
	s_cbranch_execz .LBB384_2340
; %bb.2335:                             ;   in Loop: Header=BB384_2086 Depth=1
	v_bfe_u32 v23, v21, 16, 7
	v_mov_b32_e32 v28, 0x7f800001
	s_mov_b32 s20, exec_lo
	v_cmpx_ne_u32_e32 0x7f, v23
	s_cbranch_execz .LBB384_2339
; %bb.2336:                             ;   in Loop: Header=BB384_2086 Depth=1
	v_mov_b32_e32 v12, 7
	v_lshrrev_b32_e32 v28, 3, v23
	v_cmp_gt_u32_e64 s4, 8, v23
	v_and_b32_sdwa v12, v21, v12 dst_sel:DWORD dst_unused:UNUSED_PAD src0_sel:WORD_1 src1_sel:DWORD
	v_mov_b32_e32 v24, v13
	v_mov_b32_e32 v23, v12
	s_and_saveexec_b32 s21, s4
; %bb.2337:                             ;   in Loop: Header=BB384_2086 Depth=1
	v_ffbh_u32_e32 v23, v12
	v_min_u32_e32 v28, 32, v23
	v_subrev_nc_u32_e32 v23, 28, v28
	v_sub_nc_u32_e32 v28, 29, v28
	v_lshlrev_b64 v[23:24], v23, v[12:13]
	v_and_b32_e32 v23, 7, v23
; %bb.2338:                             ;   in Loop: Header=BB384_2086 Depth=1
	s_or_b32 exec_lo, exec_lo, s21
	v_mov_b32_e32 v12, 24
	v_lshlrev_b32_e32 v23, 20, v23
	v_lshl_add_u32 v24, v28, 23, 0x3c000000
	v_lshlrev_b32_sdwa v12, v12, v21 dst_sel:DWORD dst_unused:UNUSED_PAD src0_sel:DWORD src1_sel:WORD_1
	v_and_b32_e32 v12, 0x80000000, v12
	v_or3_b32 v28, v23, v12, v24
.LBB384_2339:                           ;   in Loop: Header=BB384_2086 Depth=1
	s_or_b32 exec_lo, exec_lo, s20
.LBB384_2340:                           ;   in Loop: Header=BB384_2086 Depth=1
	s_or_b32 exec_lo, exec_lo, s18
.LBB384_2341:                           ;   in Loop: Header=BB384_2086 Depth=1
	s_or_b32 exec_lo, exec_lo, s17
	s_mov_b32 s17, exec_lo
	v_cmpx_lt_u64_e64 s[12:13], v[20:21]
	s_cbranch_execz .LBB384_2349
; %bb.2342:                             ;   in Loop: Header=BB384_2086 Depth=1
	v_cmp_ne_u32_sdwa s4, v21, v116 src0_sel:BYTE_3 src1_sel:DWORD
	v_bfrev_b32_e32 v25, 1
	s_and_saveexec_b32 s18, s4
	s_cbranch_execz .LBB384_2348
; %bb.2343:                             ;   in Loop: Header=BB384_2086 Depth=1
	v_bfe_u32 v23, v21, 24, 7
	v_mov_b32_e32 v25, 0x7f800001
	s_mov_b32 s20, exec_lo
	v_cmpx_ne_u32_e32 0x7f, v23
	s_cbranch_execz .LBB384_2347
; %bb.2344:                             ;   in Loop: Header=BB384_2086 Depth=1
	v_mov_b32_e32 v12, 7
	v_lshrrev_b32_e32 v20, 3, v23
	v_cmp_gt_u32_e64 s4, 8, v23
	v_and_b32_sdwa v12, v21, v12 dst_sel:DWORD dst_unused:UNUSED_PAD src0_sel:BYTE_3 src1_sel:DWORD
	v_mov_b32_e32 v24, v13
	v_mov_b32_e32 v23, v12
	s_and_saveexec_b32 s21, s4
; %bb.2345:                             ;   in Loop: Header=BB384_2086 Depth=1
	v_ffbh_u32_e32 v20, v12
	v_min_u32_e32 v20, 32, v20
	v_subrev_nc_u32_e32 v23, 28, v20
	v_sub_nc_u32_e32 v20, 29, v20
	v_lshlrev_b64 v[23:24], v23, v[12:13]
	v_and_b32_e32 v23, 7, v23
; %bb.2346:                             ;   in Loop: Header=BB384_2086 Depth=1
	s_or_b32 exec_lo, exec_lo, s21
	v_mov_b32_e32 v12, 24
	v_lshl_add_u32 v20, v20, 23, 0x3c000000
	v_lshlrev_b32_sdwa v12, v12, v21 dst_sel:DWORD dst_unused:UNUSED_PAD src0_sel:DWORD src1_sel:BYTE_3
	v_lshlrev_b32_e32 v21, 20, v23
	v_and_b32_e32 v12, 0x80000000, v12
	v_or3_b32 v25, v21, v12, v20
.LBB384_2347:                           ;   in Loop: Header=BB384_2086 Depth=1
	s_or_b32 exec_lo, exec_lo, s20
.LBB384_2348:                           ;   in Loop: Header=BB384_2086 Depth=1
	s_or_b32 exec_lo, exec_lo, s18
.LBB384_2349:                           ;   in Loop: Header=BB384_2086 Depth=1
	s_or_b32 exec_lo, exec_lo, s17
	v_mul_f32_e32 v12, v115, v22
	v_mul_f32_e32 v17, v115, v17
	;; [unrolled: 1-line block ×5, first 2 shown]
	v_bfe_u32 v20, v12, 16, 1
	v_or_b32_e32 v21, 0x400000, v12
	v_bfe_u32 v22, v17, 16, 1
	v_cmp_u_f32_e64 s4, v12, v12
	v_or_b32_e32 v23, 0x400000, v17
	v_add3_u32 v20, v20, v12, 0x7fff
	v_bfe_u32 v24, v16, 16, 1
	v_add3_u32 v22, v22, v17, 0x7fff
	v_or_b32_e32 v29, 0x400000, v16
	v_bfe_u32 v31, v11, 16, 1
	v_cndmask_b32_e64 v12, v20, v21, s4
	v_cmp_u_f32_e64 s4, v17, v17
	v_add3_u32 v24, v24, v16, 0x7fff
	v_or_b32_e32 v20, 0x400000, v11
	v_mul_f32_e32 v4, v115, v4
	v_lshrrev_b32_e32 v12, 16, v12
	v_cndmask_b32_e64 v17, v22, v23, s4
	v_cmp_u_f32_e64 s4, v16, v16
	v_bfe_u32 v21, v4, 16, 1
	buffer_store_dword v12, off, s[0:3], s32 offset:348 ; 4-byte Folded Spill
	v_add3_u32 v12, v31, v11, 0x7fff
	v_cndmask_b32_e64 v16, v24, v29, s4
	v_lshrrev_b32_e32 v17, 16, v17
	v_cmp_u_f32_e64 s4, v11, v11
	v_lshrrev_b32_e32 v16, 16, v16
	buffer_store_dword v17, off, s[0:3], s32 offset:340 ; 4-byte Folded Spill
	v_cndmask_b32_e64 v11, v12, v20, s4
	v_mul_f32_e32 v12, v115, v28
	v_or_b32_e32 v17, 0x400000, v5
	buffer_store_dword v16, off, s[0:3], s32 offset:352 ; 4-byte Folded Spill
	v_bfe_u32 v16, v5, 16, 1
	v_cmp_u_f32_e64 s4, v5, v5
	v_mul_f32_e32 v20, v115, v25
	v_bfe_u32 v22, v12, 16, 1
	v_or_b32_e32 v23, 0x400000, v12
	v_add3_u32 v16, v16, v5, 0x7fff
	v_lshrrev_b32_e32 v11, 16, v11
	v_or_b32_e32 v24, 0x400000, v20
	v_add3_u32 v22, v22, v12, 0x7fff
	v_cndmask_b32_e64 v5, v16, v17, s4
	v_add3_u32 v17, v21, v4, 0x7fff
	v_or_b32_e32 v21, 0x400000, v4
	v_cmp_u_f32_e64 s4, v4, v4
	v_bfe_u32 v16, v20, 16, 1
	v_lshrrev_b32_e32 v5, 16, v5
	buffer_store_dword v11, off, s[0:3], s32 offset:356 ; 4-byte Folded Spill
	v_cndmask_b32_e64 v4, v17, v21, s4
	v_cmp_u_f32_e64 s4, v12, v12
	v_add3_u32 v16, v16, v20, 0x7fff
	buffer_store_dword v5, off, s[0:3], s32 offset:364 ; 4-byte Folded Spill
	v_lshrrev_b32_e32 v4, 16, v4
	v_cndmask_b32_e64 v12, v22, v23, s4
	v_cmp_u_f32_e64 s4, v20, v20
	buffer_store_dword v4, off, s[0:3], s32 offset:360 ; 4-byte Folded Spill
	v_lshrrev_b32_e32 v4, 16, v12
	v_cndmask_b32_e64 v16, v16, v24, s4
	buffer_store_dword v4, off, s[0:3], s32 offset:336 ; 4-byte Folded Spill
	v_lshrrev_b32_e32 v4, 16, v16
	buffer_store_dword v4, off, s[0:3], s32 offset:344 ; 4-byte Folded Spill
	s_and_saveexec_b32 s17, vcc_lo
	s_cbranch_execz .LBB384_2351
; %bb.2350:                             ;   in Loop: Header=BB384_2086 Depth=1
	buffer_load_dword v4, off, s[0:3], s32 offset:360 ; 4-byte Folded Reload
	v_cmp_lt_i32_e64 s4, v114, v48
	s_waitcnt vmcnt(0)
	v_cndmask_b32_e64 v4, 0, v4, s4
	v_cmp_lt_i32_e64 s4, v10, v48
	buffer_store_dword v4, off, s[0:3], s32 offset:360 ; 4-byte Folded Spill
	buffer_load_dword v4, off, s[0:3], s32 offset:364 ; 4-byte Folded Reload
	s_waitcnt vmcnt(0)
	v_cndmask_b32_e64 v4, 0, v4, s4
	v_cmp_lt_i32_e64 s4, v26, v48
	buffer_store_dword v4, off, s[0:3], s32 offset:364 ; 4-byte Folded Spill
	buffer_load_dword v4, off, s[0:3], s32 offset:356 ; 4-byte Folded Reload
	;; [unrolled: 5-line block ×7, first 2 shown]
	s_waitcnt vmcnt(0)
	v_cndmask_b32_e64 v4, 0, v4, s4
	buffer_store_dword v4, off, s[0:3], s32 offset:344 ; 4-byte Folded Spill
.LBB384_2351:                           ;   in Loop: Header=BB384_2086 Depth=1
	s_or_b32 exec_lo, exec_lo, s17
	flat_load_dwordx2 v[20:21], v[18:19] offset:1024
	v_mov_b32_e32 v5, 0
	v_mov_b32_e32 v4, 0
	s_waitcnt vmcnt(0) lgkmcnt(0)
	v_cmp_ne_u16_sdwa s4, v20, v13 src0_sel:BYTE_0 src1_sel:DWORD
	s_and_saveexec_b32 s17, s4
	s_cbranch_execz .LBB384_2359
; %bb.2352:                             ;   in Loop: Header=BB384_2086 Depth=1
	v_cmp_ne_u16_sdwa s4, v20, v116 src0_sel:BYTE_0 src1_sel:DWORD
	v_bfrev_b32_e32 v4, 1
	s_and_saveexec_b32 s18, s4
	s_cbranch_execz .LBB384_2358
; %bb.2353:                             ;   in Loop: Header=BB384_2086 Depth=1
	v_and_b32_e32 v11, 0x7f, v20
	v_mov_b32_e32 v4, 0x7f800001
	s_mov_b32 s20, exec_lo
	v_cmpx_ne_u32_e32 0x7f, v11
	s_cbranch_execz .LBB384_2357
; %bb.2354:                             ;   in Loop: Header=BB384_2086 Depth=1
	v_mov_b32_e32 v24, v21
	v_lshrrev_b32_e32 v4, 3, v11
	v_mov_b32_e32 v23, v20
	s_mov_b32 s21, exec_lo
	v_cmpx_gt_u32_e32 8, v11
; %bb.2355:                             ;   in Loop: Header=BB384_2086 Depth=1
	v_and_b32_e32 v4, 7, v20
	v_ffbh_u32_e32 v4, v4
	v_min_u32_e32 v4, 32, v4
	v_subrev_nc_u32_e32 v11, 28, v4
	v_sub_nc_u32_e32 v4, 29, v4
	v_lshlrev_b64 v[23:24], v11, v[20:21]
; %bb.2356:                             ;   in Loop: Header=BB384_2086 Depth=1
	s_or_b32 exec_lo, exec_lo, s21
	v_lshlrev_b32_e32 v11, 20, v23
	v_lshlrev_b32_e32 v12, 24, v20
	v_lshl_add_u32 v4, v4, 23, 0x3c000000
	v_and_b32_e32 v11, 0x700000, v11
	v_and_b32_e32 v12, 0x80000000, v12
	v_or3_b32 v4, v11, v12, v4
.LBB384_2357:                           ;   in Loop: Header=BB384_2086 Depth=1
	s_or_b32 exec_lo, exec_lo, s20
.LBB384_2358:                           ;   in Loop: Header=BB384_2086 Depth=1
	s_or_b32 exec_lo, exec_lo, s18
.LBB384_2359:                           ;   in Loop: Header=BB384_2086 Depth=1
	s_or_b32 exec_lo, exec_lo, s17
	v_cmp_ne_u16_sdwa s4, v20, v13 src0_sel:BYTE_1 src1_sel:DWORD
	s_and_saveexec_b32 s17, s4
	s_cbranch_execz .LBB384_2367
; %bb.2360:                             ;   in Loop: Header=BB384_2086 Depth=1
	v_cmp_ne_u16_sdwa s4, v20, v116 src0_sel:BYTE_1 src1_sel:DWORD
	v_bfrev_b32_e32 v5, 1
	s_and_saveexec_b32 s18, s4
	s_cbranch_execz .LBB384_2366
; %bb.2361:                             ;   in Loop: Header=BB384_2086 Depth=1
	v_mov_b32_e32 v5, 0xffff
	s_mov_b32 s20, exec_lo
	v_and_b32_sdwa v12, v5, v20 dst_sel:DWORD dst_unused:UNUSED_PAD src0_sel:DWORD src1_sel:BYTE_1
	v_mov_b32_e32 v5, 0x7f800001
	v_and_b32_e32 v11, 0x7f, v12
	v_cmpx_ne_u32_e32 0x7f, v11
	s_cbranch_execz .LBB384_2365
; %bb.2362:                             ;   in Loop: Header=BB384_2086 Depth=1
	v_and_b32_e32 v12, 7, v12
	v_mov_b32_e32 v24, v13
	v_lshrrev_b32_e32 v5, 3, v11
	s_mov_b32 s21, exec_lo
	v_mov_b32_e32 v23, v12
	v_cmpx_gt_u32_e32 8, v11
; %bb.2363:                             ;   in Loop: Header=BB384_2086 Depth=1
	v_ffbh_u32_e32 v5, v12
	v_min_u32_e32 v5, 32, v5
	v_subrev_nc_u32_e32 v11, 28, v5
	v_sub_nc_u32_e32 v5, 29, v5
	v_lshlrev_b64 v[11:12], v11, v[12:13]
	v_and_b32_e32 v23, 7, v11
; %bb.2364:                             ;   in Loop: Header=BB384_2086 Depth=1
	s_or_b32 exec_lo, exec_lo, s21
	v_lshlrev_b32_e32 v11, 16, v20
	v_lshlrev_b32_e32 v12, 20, v23
	v_lshl_add_u32 v5, v5, 23, 0x3c000000
	v_and_b32_e32 v11, 0x80000000, v11
	v_or3_b32 v5, v12, v11, v5
.LBB384_2365:                           ;   in Loop: Header=BB384_2086 Depth=1
	s_or_b32 exec_lo, exec_lo, s20
.LBB384_2366:                           ;   in Loop: Header=BB384_2086 Depth=1
	s_or_b32 exec_lo, exec_lo, s18
.LBB384_2367:                           ;   in Loop: Header=BB384_2086 Depth=1
	s_or_b32 exec_lo, exec_lo, s17
	v_and_b32_sdwa v12, v20, v118 dst_sel:DWORD dst_unused:UNUSED_PAD src0_sel:WORD_1 src1_sel:DWORD
	v_mov_b32_e32 v16, 0
	v_mov_b32_e32 v11, 0
	s_mov_b32 s17, exec_lo
	v_cmpx_ne_u16_e32 0, v12
	s_cbranch_execz .LBB384_2375
; %bb.2368:                             ;   in Loop: Header=BB384_2086 Depth=1
	v_bfrev_b32_e32 v11, 1
	s_mov_b32 s18, exec_lo
	v_cmpx_ne_u16_e32 0x80, v12
	s_cbranch_execz .LBB384_2374
; %bb.2369:                             ;   in Loop: Header=BB384_2086 Depth=1
	v_bfe_u32 v17, v20, 16, 7
	v_mov_b32_e32 v11, 0x7f800001
	s_mov_b32 s20, exec_lo
	v_cmpx_ne_u32_e32 0x7f, v17
	s_cbranch_execz .LBB384_2373
; %bb.2370:                             ;   in Loop: Header=BB384_2086 Depth=1
	v_mov_b32_e32 v11, 7
	s_mov_b32 s21, exec_lo
	v_and_b32_sdwa v12, v20, v11 dst_sel:DWORD dst_unused:UNUSED_PAD src0_sel:WORD_1 src1_sel:DWORD
	v_mov_b32_e32 v24, v13
	v_lshrrev_b32_e32 v11, 3, v17
	v_mov_b32_e32 v23, v12
	v_cmpx_gt_u32_e32 8, v17
; %bb.2371:                             ;   in Loop: Header=BB384_2086 Depth=1
	v_ffbh_u32_e32 v11, v12
	v_min_u32_e32 v11, 32, v11
	v_subrev_nc_u32_e32 v17, 28, v11
	v_sub_nc_u32_e32 v11, 29, v11
	v_lshlrev_b64 v[22:23], v17, v[12:13]
	v_and_b32_e32 v23, 7, v22
; %bb.2372:                             ;   in Loop: Header=BB384_2086 Depth=1
	s_or_b32 exec_lo, exec_lo, s21
	v_mov_b32_e32 v12, 24
	v_lshlrev_b32_e32 v17, 20, v23
	v_lshl_add_u32 v11, v11, 23, 0x3c000000
	v_lshlrev_b32_sdwa v12, v12, v20 dst_sel:DWORD dst_unused:UNUSED_PAD src0_sel:DWORD src1_sel:WORD_1
	v_and_b32_e32 v12, 0x80000000, v12
	v_or3_b32 v11, v17, v12, v11
.LBB384_2373:                           ;   in Loop: Header=BB384_2086 Depth=1
	s_or_b32 exec_lo, exec_lo, s20
.LBB384_2374:                           ;   in Loop: Header=BB384_2086 Depth=1
	s_or_b32 exec_lo, exec_lo, s18
.LBB384_2375:                           ;   in Loop: Header=BB384_2086 Depth=1
	s_or_b32 exec_lo, exec_lo, s17
	s_mov_b32 s17, exec_lo
	v_cmpx_lt_u32_e32 0xffffff, v20
	s_cbranch_execz .LBB384_2383
; %bb.2376:                             ;   in Loop: Header=BB384_2086 Depth=1
	v_cmp_ne_u32_sdwa s4, v20, v116 src0_sel:BYTE_3 src1_sel:DWORD
	v_bfrev_b32_e32 v16, 1
	s_and_saveexec_b32 s18, s4
	s_cbranch_execz .LBB384_2382
; %bb.2377:                             ;   in Loop: Header=BB384_2086 Depth=1
	v_bfe_u32 v17, v20, 24, 7
	v_mov_b32_e32 v16, 0x7f800001
	s_mov_b32 s20, exec_lo
	v_cmpx_ne_u32_e32 0x7f, v17
	s_cbranch_execz .LBB384_2381
; %bb.2378:                             ;   in Loop: Header=BB384_2086 Depth=1
	v_mov_b32_e32 v12, 7
	v_lshrrev_b32_e32 v16, 3, v17
	s_mov_b32 s21, exec_lo
	v_and_b32_sdwa v12, v20, v12 dst_sel:DWORD dst_unused:UNUSED_PAD src0_sel:BYTE_3 src1_sel:DWORD
	v_mov_b32_e32 v24, v13
	v_mov_b32_e32 v23, v12
	v_cmpx_gt_u32_e32 8, v17
; %bb.2379:                             ;   in Loop: Header=BB384_2086 Depth=1
	v_ffbh_u32_e32 v16, v12
	v_min_u32_e32 v16, 32, v16
	v_subrev_nc_u32_e32 v17, 28, v16
	v_sub_nc_u32_e32 v16, 29, v16
	v_lshlrev_b64 v[22:23], v17, v[12:13]
	v_and_b32_e32 v23, 7, v22
; %bb.2380:                             ;   in Loop: Header=BB384_2086 Depth=1
	s_or_b32 exec_lo, exec_lo, s21
	v_mov_b32_e32 v12, 24
	v_lshlrev_b32_e32 v17, 20, v23
	v_lshl_add_u32 v16, v16, 23, 0x3c000000
	v_lshlrev_b32_sdwa v12, v12, v20 dst_sel:DWORD dst_unused:UNUSED_PAD src0_sel:DWORD src1_sel:BYTE_3
	v_and_b32_e32 v12, 0x80000000, v12
	v_or3_b32 v16, v17, v12, v16
.LBB384_2381:                           ;   in Loop: Header=BB384_2086 Depth=1
	s_or_b32 exec_lo, exec_lo, s20
.LBB384_2382:                           ;   in Loop: Header=BB384_2086 Depth=1
	s_or_b32 exec_lo, exec_lo, s18
.LBB384_2383:                           ;   in Loop: Header=BB384_2086 Depth=1
	s_or_b32 exec_lo, exec_lo, s17
	v_mov_b32_e32 v12, v21
	v_cmp_ne_u16_sdwa s4, v21, v13 src0_sel:BYTE_0 src1_sel:DWORD
	v_mov_b32_e32 v28, 0
	v_mov_b32_e32 v25, 0
	s_and_saveexec_b32 s17, s4
	s_cbranch_execz .LBB384_2391
; %bb.2384:                             ;   in Loop: Header=BB384_2086 Depth=1
	v_cmp_ne_u16_sdwa s4, v21, v116 src0_sel:BYTE_0 src1_sel:DWORD
	v_bfrev_b32_e32 v25, 1
	s_and_saveexec_b32 s18, s4
	s_cbranch_execz .LBB384_2390
; %bb.2385:                             ;   in Loop: Header=BB384_2086 Depth=1
	v_and_b32_e32 v22, 0x7f, v21
	v_mov_b32_e32 v25, 0x7f800001
	s_mov_b32 s20, exec_lo
	v_cmpx_ne_u32_e32 0x7f, v22
	s_cbranch_execz .LBB384_2389
; %bb.2386:                             ;   in Loop: Header=BB384_2086 Depth=1
	v_mov_b32_e32 v24, v13
	v_lshrrev_b32_e32 v17, 3, v22
	v_mov_b32_e32 v23, v12
	s_mov_b32 s21, exec_lo
	v_cmpx_gt_u32_e32 8, v22
; %bb.2387:                             ;   in Loop: Header=BB384_2086 Depth=1
	v_and_b32_e32 v17, 7, v21
	v_ffbh_u32_e32 v17, v17
	v_min_u32_e32 v17, 32, v17
	v_subrev_nc_u32_e32 v22, 28, v17
	v_sub_nc_u32_e32 v17, 29, v17
	v_lshlrev_b64 v[23:24], v22, v[12:13]
; %bb.2388:                             ;   in Loop: Header=BB384_2086 Depth=1
	s_or_b32 exec_lo, exec_lo, s21
	v_lshlrev_b32_e32 v22, 20, v23
	v_lshlrev_b32_e32 v23, 24, v12
	v_lshl_add_u32 v17, v17, 23, 0x3c000000
	v_and_b32_e32 v22, 0x700000, v22
	v_and_b32_e32 v23, 0x80000000, v23
	v_or3_b32 v25, v22, v23, v17
.LBB384_2389:                           ;   in Loop: Header=BB384_2086 Depth=1
	s_or_b32 exec_lo, exec_lo, s20
.LBB384_2390:                           ;   in Loop: Header=BB384_2086 Depth=1
	s_or_b32 exec_lo, exec_lo, s18
.LBB384_2391:                           ;   in Loop: Header=BB384_2086 Depth=1
	s_or_b32 exec_lo, exec_lo, s17
	v_cmp_ne_u16_sdwa s4, v12, v13 src0_sel:BYTE_1 src1_sel:DWORD
	s_and_saveexec_b32 s17, s4
	s_cbranch_execz .LBB384_2399
; %bb.2392:                             ;   in Loop: Header=BB384_2086 Depth=1
	v_cmp_ne_u16_sdwa s4, v12, v116 src0_sel:BYTE_1 src1_sel:DWORD
	v_bfrev_b32_e32 v28, 1
	s_and_saveexec_b32 s18, s4
	s_cbranch_execz .LBB384_2398
; %bb.2393:                             ;   in Loop: Header=BB384_2086 Depth=1
	v_mov_b32_e32 v17, 0xffff
	v_mov_b32_e32 v28, 0x7f800001
	s_mov_b32 s20, exec_lo
	v_and_b32_sdwa v17, v17, v12 dst_sel:DWORD dst_unused:UNUSED_PAD src0_sel:DWORD src1_sel:BYTE_1
	v_and_b32_e32 v22, 0x7f, v17
	v_cmpx_ne_u32_e32 0x7f, v22
	s_cbranch_execz .LBB384_2397
; %bb.2394:                             ;   in Loop: Header=BB384_2086 Depth=1
	v_and_b32_e32 v23, 7, v17
	v_mov_b32_e32 v24, v13
	v_lshrrev_b32_e32 v17, 3, v22
	s_mov_b32 s21, exec_lo
	v_cmpx_gt_u32_e32 8, v22
; %bb.2395:                             ;   in Loop: Header=BB384_2086 Depth=1
	v_ffbh_u32_e32 v17, v23
	v_min_u32_e32 v17, 32, v17
	v_subrev_nc_u32_e32 v22, 28, v17
	v_sub_nc_u32_e32 v17, 29, v17
	v_lshlrev_b64 v[22:23], v22, v[23:24]
	v_and_b32_e32 v23, 7, v22
; %bb.2396:                             ;   in Loop: Header=BB384_2086 Depth=1
	s_or_b32 exec_lo, exec_lo, s21
	v_lshlrev_b32_e32 v12, 16, v12
	v_lshlrev_b32_e32 v22, 20, v23
	v_lshl_add_u32 v17, v17, 23, 0x3c000000
	v_and_b32_e32 v12, 0x80000000, v12
	v_or3_b32 v28, v22, v12, v17
.LBB384_2397:                           ;   in Loop: Header=BB384_2086 Depth=1
	s_or_b32 exec_lo, exec_lo, s20
.LBB384_2398:                           ;   in Loop: Header=BB384_2086 Depth=1
	s_or_b32 exec_lo, exec_lo, s18
.LBB384_2399:                           ;   in Loop: Header=BB384_2086 Depth=1
	s_or_b32 exec_lo, exec_lo, s17
	v_and_b32_sdwa v12, v21, v118 dst_sel:DWORD dst_unused:UNUSED_PAD src0_sel:WORD_1 src1_sel:DWORD
	v_mov_b32_e32 v17, 0
	v_mov_b32_e32 v22, 0
	s_mov_b32 s17, exec_lo
	v_cmpx_ne_u16_e32 0, v12
	s_cbranch_execz .LBB384_2407
; %bb.2400:                             ;   in Loop: Header=BB384_2086 Depth=1
	v_bfrev_b32_e32 v22, 1
	s_mov_b32 s18, exec_lo
	v_cmpx_ne_u16_e32 0x80, v12
	s_cbranch_execz .LBB384_2406
; %bb.2401:                             ;   in Loop: Header=BB384_2086 Depth=1
	v_bfe_u32 v23, v21, 16, 7
	v_mov_b32_e32 v22, 0x7f800001
	s_mov_b32 s20, exec_lo
	v_cmpx_ne_u32_e32 0x7f, v23
	s_cbranch_execz .LBB384_2405
; %bb.2402:                             ;   in Loop: Header=BB384_2086 Depth=1
	v_mov_b32_e32 v12, 7
	v_lshrrev_b32_e32 v22, 3, v23
	v_cmp_gt_u32_e64 s4, 8, v23
	v_and_b32_sdwa v12, v21, v12 dst_sel:DWORD dst_unused:UNUSED_PAD src0_sel:WORD_1 src1_sel:DWORD
	v_mov_b32_e32 v24, v13
	v_mov_b32_e32 v23, v12
	s_and_saveexec_b32 s21, s4
; %bb.2403:                             ;   in Loop: Header=BB384_2086 Depth=1
	v_ffbh_u32_e32 v22, v12
	v_min_u32_e32 v22, 32, v22
	v_subrev_nc_u32_e32 v23, 28, v22
	v_sub_nc_u32_e32 v22, 29, v22
	v_lshlrev_b64 v[23:24], v23, v[12:13]
	v_and_b32_e32 v23, 7, v23
; %bb.2404:                             ;   in Loop: Header=BB384_2086 Depth=1
	s_or_b32 exec_lo, exec_lo, s21
	v_mov_b32_e32 v12, 24
	v_lshlrev_b32_e32 v23, 20, v23
	v_lshl_add_u32 v22, v22, 23, 0x3c000000
	v_lshlrev_b32_sdwa v12, v12, v21 dst_sel:DWORD dst_unused:UNUSED_PAD src0_sel:DWORD src1_sel:WORD_1
	v_and_b32_e32 v12, 0x80000000, v12
	v_or3_b32 v22, v23, v12, v22
.LBB384_2405:                           ;   in Loop: Header=BB384_2086 Depth=1
	s_or_b32 exec_lo, exec_lo, s20
.LBB384_2406:                           ;   in Loop: Header=BB384_2086 Depth=1
	s_or_b32 exec_lo, exec_lo, s18
.LBB384_2407:                           ;   in Loop: Header=BB384_2086 Depth=1
	s_or_b32 exec_lo, exec_lo, s17
	s_mov_b32 s17, exec_lo
	v_cmpx_lt_u64_e64 s[12:13], v[20:21]
	s_cbranch_execz .LBB384_2415
; %bb.2408:                             ;   in Loop: Header=BB384_2086 Depth=1
	v_cmp_ne_u32_sdwa s4, v21, v116 src0_sel:BYTE_3 src1_sel:DWORD
	v_bfrev_b32_e32 v17, 1
	s_and_saveexec_b32 s18, s4
	s_cbranch_execz .LBB384_2414
; %bb.2409:                             ;   in Loop: Header=BB384_2086 Depth=1
	v_bfe_u32 v20, v21, 24, 7
	v_mov_b32_e32 v17, 0x7f800001
	s_mov_b32 s20, exec_lo
	v_cmpx_ne_u32_e32 0x7f, v20
	s_cbranch_execz .LBB384_2413
; %bb.2410:                             ;   in Loop: Header=BB384_2086 Depth=1
	v_mov_b32_e32 v12, 7
	v_lshrrev_b32_e32 v17, 3, v20
	s_mov_b32 s21, exec_lo
	v_and_b32_sdwa v12, v21, v12 dst_sel:DWORD dst_unused:UNUSED_PAD src0_sel:BYTE_3 src1_sel:DWORD
	v_mov_b32_e32 v24, v13
	v_mov_b32_e32 v23, v12
	v_cmpx_gt_u32_e32 8, v20
; %bb.2411:                             ;   in Loop: Header=BB384_2086 Depth=1
	v_ffbh_u32_e32 v17, v12
	v_min_u32_e32 v17, 32, v17
	v_subrev_nc_u32_e32 v20, 28, v17
	v_sub_nc_u32_e32 v17, 29, v17
	v_lshlrev_b64 v[23:24], v20, v[12:13]
	v_and_b32_e32 v23, 7, v23
; %bb.2412:                             ;   in Loop: Header=BB384_2086 Depth=1
	s_or_b32 exec_lo, exec_lo, s21
	v_mov_b32_e32 v12, 24
	v_lshlrev_b32_e32 v20, 20, v23
	v_lshl_add_u32 v17, v17, 23, 0x3c000000
	v_lshlrev_b32_sdwa v12, v12, v21 dst_sel:DWORD dst_unused:UNUSED_PAD src0_sel:DWORD src1_sel:BYTE_3
	v_and_b32_e32 v12, 0x80000000, v12
	v_or3_b32 v17, v20, v12, v17
.LBB384_2413:                           ;   in Loop: Header=BB384_2086 Depth=1
	s_or_b32 exec_lo, exec_lo, s20
.LBB384_2414:                           ;   in Loop: Header=BB384_2086 Depth=1
	s_or_b32 exec_lo, exec_lo, s18
.LBB384_2415:                           ;   in Loop: Header=BB384_2086 Depth=1
	s_or_b32 exec_lo, exec_lo, s17
	v_mul_f32_e32 v12, v115, v28
	v_mul_f32_e32 v11, v115, v11
	;; [unrolled: 1-line block ×4, first 2 shown]
	v_bfe_u32 v20, v12, 16, 1
	v_or_b32_e32 v21, 0x400000, v12
	v_cmp_u_f32_e64 s4, v12, v12
	v_add3_u32 v20, v20, v12, 0x7fff
	v_cndmask_b32_e64 v12, v20, v21, s4
	v_lshrrev_b32_e32 v12, 16, v12
	buffer_store_dword v12, off, s[0:3], s32 offset:372 ; 4-byte Folded Spill
	v_mul_f32_e32 v12, v115, v25
	v_bfe_u32 v20, v12, 16, 1
	v_or_b32_e32 v21, 0x400000, v12
	v_cmp_u_f32_e64 s4, v12, v12
	v_add3_u32 v20, v20, v12, 0x7fff
	v_cndmask_b32_e64 v12, v20, v21, s4
	v_lshrrev_b32_e32 v12, 16, v12
	buffer_store_dword v12, off, s[0:3], s32 offset:368 ; 4-byte Folded Spill
	v_mul_f32_e32 v12, v115, v16
	v_bfe_u32 v16, v12, 16, 1
	v_or_b32_e32 v20, 0x400000, v12
	v_cmp_u_f32_e64 s4, v12, v12
	v_add3_u32 v16, v16, v12, 0x7fff
	v_cndmask_b32_e64 v12, v16, v20, s4
	v_or_b32_e32 v16, 0x400000, v11
	v_cmp_u_f32_e64 s4, v11, v11
	v_lshrrev_b32_e32 v12, 16, v12
	buffer_store_dword v12, off, s[0:3], s32 offset:380 ; 4-byte Folded Spill
	v_bfe_u32 v12, v11, 16, 1
	v_add3_u32 v12, v12, v11, 0x7fff
	v_cndmask_b32_e64 v11, v12, v16, s4
	v_or_b32_e32 v12, 0x400000, v5
	v_cmp_u_f32_e64 s4, v5, v5
	v_lshrrev_b32_e32 v11, 16, v11
	buffer_store_dword v11, off, s[0:3], s32 offset:384 ; 4-byte Folded Spill
	v_bfe_u32 v11, v5, 16, 1
	;; [unrolled: 7-line block ×3, first 2 shown]
	v_add3_u32 v5, v5, v4, 0x7fff
	v_cndmask_b32_e64 v4, v5, v11, s4
	v_lshrrev_b32_e32 v4, 16, v4
	buffer_store_dword v4, off, s[0:3], s32 offset:392 ; 4-byte Folded Spill
	v_mul_f32_e32 v4, v115, v22
	v_bfe_u32 v5, v4, 16, 1
	v_or_b32_e32 v11, 0x400000, v4
	v_cmp_u_f32_e64 s4, v4, v4
	v_add3_u32 v5, v5, v4, 0x7fff
	v_cndmask_b32_e64 v4, v5, v11, s4
	v_lshrrev_b32_e32 v4, 16, v4
	buffer_store_dword v4, off, s[0:3], s32 offset:376 ; 4-byte Folded Spill
	v_mul_f32_e32 v4, v115, v17
	v_bfe_u32 v5, v4, 16, 1
	v_or_b32_e32 v11, 0x400000, v4
	v_cmp_u_f32_e64 s4, v4, v4
	v_add3_u32 v5, v5, v4, 0x7fff
	v_cndmask_b32_e64 v4, v5, v11, s4
	v_lshrrev_b32_e32 v4, 16, v4
	buffer_store_dword v4, off, s[0:3], s32 offset:388 ; 4-byte Folded Spill
	s_and_saveexec_b32 s17, vcc_lo
	s_cbranch_execz .LBB384_2417
; %bb.2416:                             ;   in Loop: Header=BB384_2086 Depth=1
	buffer_load_dword v4, off, s[0:3], s32 offset:392 ; 4-byte Folded Reload
	v_cmp_lt_i32_e64 s4, v114, v48
	s_waitcnt vmcnt(0)
	v_cndmask_b32_e64 v4, 0, v4, s4
	v_cmp_lt_i32_e64 s4, v10, v48
	buffer_store_dword v4, off, s[0:3], s32 offset:392 ; 4-byte Folded Spill
	buffer_load_dword v4, off, s[0:3], s32 offset:396 ; 4-byte Folded Reload
	s_waitcnt vmcnt(0)
	v_cndmask_b32_e64 v4, 0, v4, s4
	v_cmp_lt_i32_e64 s4, v26, v48
	buffer_store_dword v4, off, s[0:3], s32 offset:396 ; 4-byte Folded Spill
	buffer_load_dword v4, off, s[0:3], s32 offset:384 ; 4-byte Folded Reload
	;; [unrolled: 5-line block ×7, first 2 shown]
	s_waitcnt vmcnt(0)
	v_cndmask_b32_e64 v4, 0, v4, s4
	buffer_store_dword v4, off, s[0:3], s32 offset:388 ; 4-byte Folded Spill
.LBB384_2417:                           ;   in Loop: Header=BB384_2086 Depth=1
	s_or_b32 exec_lo, exec_lo, s17
	flat_load_dwordx2 v[20:21], v[18:19] offset:1280
	v_mov_b32_e32 v5, 0
	v_mov_b32_e32 v4, 0
	s_waitcnt vmcnt(0) lgkmcnt(0)
	v_cmp_ne_u16_sdwa s4, v20, v13 src0_sel:BYTE_0 src1_sel:DWORD
	s_and_saveexec_b32 s17, s4
	s_cbranch_execz .LBB384_2425
; %bb.2418:                             ;   in Loop: Header=BB384_2086 Depth=1
	v_cmp_ne_u16_sdwa s4, v20, v116 src0_sel:BYTE_0 src1_sel:DWORD
	v_bfrev_b32_e32 v4, 1
	s_and_saveexec_b32 s18, s4
	s_cbranch_execz .LBB384_2424
; %bb.2419:                             ;   in Loop: Header=BB384_2086 Depth=1
	v_and_b32_e32 v11, 0x7f, v20
	v_mov_b32_e32 v4, 0x7f800001
	s_mov_b32 s20, exec_lo
	v_cmpx_ne_u32_e32 0x7f, v11
	s_cbranch_execz .LBB384_2423
; %bb.2420:                             ;   in Loop: Header=BB384_2086 Depth=1
	v_mov_b32_e32 v24, v21
	v_lshrrev_b32_e32 v4, 3, v11
	v_mov_b32_e32 v23, v20
	s_mov_b32 s21, exec_lo
	v_cmpx_gt_u32_e32 8, v11
; %bb.2421:                             ;   in Loop: Header=BB384_2086 Depth=1
	v_and_b32_e32 v4, 7, v20
	v_ffbh_u32_e32 v4, v4
	v_min_u32_e32 v4, 32, v4
	v_subrev_nc_u32_e32 v11, 28, v4
	v_sub_nc_u32_e32 v4, 29, v4
	v_lshlrev_b64 v[23:24], v11, v[20:21]
; %bb.2422:                             ;   in Loop: Header=BB384_2086 Depth=1
	s_or_b32 exec_lo, exec_lo, s21
	v_lshlrev_b32_e32 v11, 20, v23
	v_lshlrev_b32_e32 v12, 24, v20
	v_lshl_add_u32 v4, v4, 23, 0x3c000000
	v_and_b32_e32 v11, 0x700000, v11
	v_and_b32_e32 v12, 0x80000000, v12
	v_or3_b32 v4, v11, v12, v4
.LBB384_2423:                           ;   in Loop: Header=BB384_2086 Depth=1
	s_or_b32 exec_lo, exec_lo, s20
.LBB384_2424:                           ;   in Loop: Header=BB384_2086 Depth=1
	s_or_b32 exec_lo, exec_lo, s18
.LBB384_2425:                           ;   in Loop: Header=BB384_2086 Depth=1
	s_or_b32 exec_lo, exec_lo, s17
	v_cmp_ne_u16_sdwa s4, v20, v13 src0_sel:BYTE_1 src1_sel:DWORD
	s_and_saveexec_b32 s17, s4
	s_cbranch_execz .LBB384_2433
; %bb.2426:                             ;   in Loop: Header=BB384_2086 Depth=1
	v_cmp_ne_u16_sdwa s4, v20, v116 src0_sel:BYTE_1 src1_sel:DWORD
	v_bfrev_b32_e32 v5, 1
	s_and_saveexec_b32 s18, s4
	s_cbranch_execz .LBB384_2432
; %bb.2427:                             ;   in Loop: Header=BB384_2086 Depth=1
	v_mov_b32_e32 v5, 0xffff
	s_mov_b32 s20, exec_lo
	v_and_b32_sdwa v12, v5, v20 dst_sel:DWORD dst_unused:UNUSED_PAD src0_sel:DWORD src1_sel:BYTE_1
	v_mov_b32_e32 v5, 0x7f800001
	v_and_b32_e32 v11, 0x7f, v12
	v_cmpx_ne_u32_e32 0x7f, v11
	s_cbranch_execz .LBB384_2431
; %bb.2428:                             ;   in Loop: Header=BB384_2086 Depth=1
	v_and_b32_e32 v12, 7, v12
	v_mov_b32_e32 v24, v13
	v_lshrrev_b32_e32 v5, 3, v11
	s_mov_b32 s21, exec_lo
	v_mov_b32_e32 v23, v12
	v_cmpx_gt_u32_e32 8, v11
; %bb.2429:                             ;   in Loop: Header=BB384_2086 Depth=1
	v_ffbh_u32_e32 v5, v12
	v_min_u32_e32 v5, 32, v5
	v_subrev_nc_u32_e32 v11, 28, v5
	v_sub_nc_u32_e32 v5, 29, v5
	v_lshlrev_b64 v[11:12], v11, v[12:13]
	v_and_b32_e32 v23, 7, v11
; %bb.2430:                             ;   in Loop: Header=BB384_2086 Depth=1
	s_or_b32 exec_lo, exec_lo, s21
	v_lshlrev_b32_e32 v11, 16, v20
	v_lshlrev_b32_e32 v12, 20, v23
	v_lshl_add_u32 v5, v5, 23, 0x3c000000
	v_and_b32_e32 v11, 0x80000000, v11
	v_or3_b32 v5, v12, v11, v5
.LBB384_2431:                           ;   in Loop: Header=BB384_2086 Depth=1
	s_or_b32 exec_lo, exec_lo, s20
.LBB384_2432:                           ;   in Loop: Header=BB384_2086 Depth=1
	s_or_b32 exec_lo, exec_lo, s18
.LBB384_2433:                           ;   in Loop: Header=BB384_2086 Depth=1
	s_or_b32 exec_lo, exec_lo, s17
	v_and_b32_sdwa v12, v20, v118 dst_sel:DWORD dst_unused:UNUSED_PAD src0_sel:WORD_1 src1_sel:DWORD
	v_mov_b32_e32 v16, 0
	v_mov_b32_e32 v11, 0
	s_mov_b32 s17, exec_lo
	v_cmpx_ne_u16_e32 0, v12
	s_cbranch_execz .LBB384_2441
; %bb.2434:                             ;   in Loop: Header=BB384_2086 Depth=1
	v_bfrev_b32_e32 v11, 1
	s_mov_b32 s18, exec_lo
	v_cmpx_ne_u16_e32 0x80, v12
	s_cbranch_execz .LBB384_2440
; %bb.2435:                             ;   in Loop: Header=BB384_2086 Depth=1
	v_bfe_u32 v17, v20, 16, 7
	v_mov_b32_e32 v11, 0x7f800001
	s_mov_b32 s20, exec_lo
	v_cmpx_ne_u32_e32 0x7f, v17
	s_cbranch_execz .LBB384_2439
; %bb.2436:                             ;   in Loop: Header=BB384_2086 Depth=1
	v_mov_b32_e32 v11, 7
	s_mov_b32 s21, exec_lo
	v_and_b32_sdwa v12, v20, v11 dst_sel:DWORD dst_unused:UNUSED_PAD src0_sel:WORD_1 src1_sel:DWORD
	v_mov_b32_e32 v24, v13
	v_lshrrev_b32_e32 v11, 3, v17
	v_mov_b32_e32 v23, v12
	v_cmpx_gt_u32_e32 8, v17
; %bb.2437:                             ;   in Loop: Header=BB384_2086 Depth=1
	v_ffbh_u32_e32 v11, v12
	v_min_u32_e32 v11, 32, v11
	v_subrev_nc_u32_e32 v17, 28, v11
	v_sub_nc_u32_e32 v11, 29, v11
	v_lshlrev_b64 v[22:23], v17, v[12:13]
	v_and_b32_e32 v23, 7, v22
; %bb.2438:                             ;   in Loop: Header=BB384_2086 Depth=1
	s_or_b32 exec_lo, exec_lo, s21
	v_mov_b32_e32 v12, 24
	v_lshlrev_b32_e32 v17, 20, v23
	v_lshl_add_u32 v11, v11, 23, 0x3c000000
	v_lshlrev_b32_sdwa v12, v12, v20 dst_sel:DWORD dst_unused:UNUSED_PAD src0_sel:DWORD src1_sel:WORD_1
	v_and_b32_e32 v12, 0x80000000, v12
	v_or3_b32 v11, v17, v12, v11
.LBB384_2439:                           ;   in Loop: Header=BB384_2086 Depth=1
	s_or_b32 exec_lo, exec_lo, s20
.LBB384_2440:                           ;   in Loop: Header=BB384_2086 Depth=1
	s_or_b32 exec_lo, exec_lo, s18
.LBB384_2441:                           ;   in Loop: Header=BB384_2086 Depth=1
	s_or_b32 exec_lo, exec_lo, s17
	s_mov_b32 s17, exec_lo
	v_cmpx_lt_u32_e32 0xffffff, v20
	s_cbranch_execz .LBB384_2449
; %bb.2442:                             ;   in Loop: Header=BB384_2086 Depth=1
	v_cmp_ne_u32_sdwa s4, v20, v116 src0_sel:BYTE_3 src1_sel:DWORD
	v_bfrev_b32_e32 v16, 1
	s_and_saveexec_b32 s18, s4
	s_cbranch_execz .LBB384_2448
; %bb.2443:                             ;   in Loop: Header=BB384_2086 Depth=1
	v_bfe_u32 v17, v20, 24, 7
	v_mov_b32_e32 v16, 0x7f800001
	s_mov_b32 s20, exec_lo
	v_cmpx_ne_u32_e32 0x7f, v17
	s_cbranch_execz .LBB384_2447
; %bb.2444:                             ;   in Loop: Header=BB384_2086 Depth=1
	v_mov_b32_e32 v12, 7
	v_lshrrev_b32_e32 v16, 3, v17
	s_mov_b32 s21, exec_lo
	v_and_b32_sdwa v12, v20, v12 dst_sel:DWORD dst_unused:UNUSED_PAD src0_sel:BYTE_3 src1_sel:DWORD
	v_mov_b32_e32 v24, v13
	v_mov_b32_e32 v23, v12
	v_cmpx_gt_u32_e32 8, v17
; %bb.2445:                             ;   in Loop: Header=BB384_2086 Depth=1
	v_ffbh_u32_e32 v16, v12
	v_min_u32_e32 v16, 32, v16
	v_subrev_nc_u32_e32 v17, 28, v16
	v_sub_nc_u32_e32 v16, 29, v16
	v_lshlrev_b64 v[22:23], v17, v[12:13]
	v_and_b32_e32 v23, 7, v22
; %bb.2446:                             ;   in Loop: Header=BB384_2086 Depth=1
	s_or_b32 exec_lo, exec_lo, s21
	v_mov_b32_e32 v12, 24
	v_lshlrev_b32_e32 v17, 20, v23
	v_lshl_add_u32 v16, v16, 23, 0x3c000000
	v_lshlrev_b32_sdwa v12, v12, v20 dst_sel:DWORD dst_unused:UNUSED_PAD src0_sel:DWORD src1_sel:BYTE_3
	v_and_b32_e32 v12, 0x80000000, v12
	v_or3_b32 v16, v17, v12, v16
.LBB384_2447:                           ;   in Loop: Header=BB384_2086 Depth=1
	s_or_b32 exec_lo, exec_lo, s20
.LBB384_2448:                           ;   in Loop: Header=BB384_2086 Depth=1
	s_or_b32 exec_lo, exec_lo, s18
.LBB384_2449:                           ;   in Loop: Header=BB384_2086 Depth=1
	s_or_b32 exec_lo, exec_lo, s17
	v_mov_b32_e32 v12, v21
	v_cmp_ne_u16_sdwa s4, v21, v13 src0_sel:BYTE_0 src1_sel:DWORD
	v_mov_b32_e32 v28, 0
	v_mov_b32_e32 v25, 0
	s_and_saveexec_b32 s17, s4
	s_cbranch_execz .LBB384_2457
; %bb.2450:                             ;   in Loop: Header=BB384_2086 Depth=1
	v_cmp_ne_u16_sdwa s4, v21, v116 src0_sel:BYTE_0 src1_sel:DWORD
	v_bfrev_b32_e32 v25, 1
	s_and_saveexec_b32 s18, s4
	s_cbranch_execz .LBB384_2456
; %bb.2451:                             ;   in Loop: Header=BB384_2086 Depth=1
	v_and_b32_e32 v22, 0x7f, v21
	v_mov_b32_e32 v25, 0x7f800001
	s_mov_b32 s20, exec_lo
	v_cmpx_ne_u32_e32 0x7f, v22
	s_cbranch_execz .LBB384_2455
; %bb.2452:                             ;   in Loop: Header=BB384_2086 Depth=1
	v_mov_b32_e32 v24, v13
	v_lshrrev_b32_e32 v17, 3, v22
	v_mov_b32_e32 v23, v12
	s_mov_b32 s21, exec_lo
	v_cmpx_gt_u32_e32 8, v22
; %bb.2453:                             ;   in Loop: Header=BB384_2086 Depth=1
	v_and_b32_e32 v17, 7, v21
	v_ffbh_u32_e32 v17, v17
	v_min_u32_e32 v17, 32, v17
	v_subrev_nc_u32_e32 v22, 28, v17
	v_sub_nc_u32_e32 v17, 29, v17
	v_lshlrev_b64 v[23:24], v22, v[12:13]
; %bb.2454:                             ;   in Loop: Header=BB384_2086 Depth=1
	s_or_b32 exec_lo, exec_lo, s21
	v_lshlrev_b32_e32 v22, 20, v23
	v_lshlrev_b32_e32 v23, 24, v12
	v_lshl_add_u32 v17, v17, 23, 0x3c000000
	v_and_b32_e32 v22, 0x700000, v22
	v_and_b32_e32 v23, 0x80000000, v23
	v_or3_b32 v25, v22, v23, v17
.LBB384_2455:                           ;   in Loop: Header=BB384_2086 Depth=1
	s_or_b32 exec_lo, exec_lo, s20
.LBB384_2456:                           ;   in Loop: Header=BB384_2086 Depth=1
	s_or_b32 exec_lo, exec_lo, s18
.LBB384_2457:                           ;   in Loop: Header=BB384_2086 Depth=1
	s_or_b32 exec_lo, exec_lo, s17
	v_cmp_ne_u16_sdwa s4, v12, v13 src0_sel:BYTE_1 src1_sel:DWORD
	s_and_saveexec_b32 s17, s4
	s_cbranch_execz .LBB384_2465
; %bb.2458:                             ;   in Loop: Header=BB384_2086 Depth=1
	v_cmp_ne_u16_sdwa s4, v12, v116 src0_sel:BYTE_1 src1_sel:DWORD
	v_bfrev_b32_e32 v28, 1
	s_and_saveexec_b32 s18, s4
	s_cbranch_execz .LBB384_2464
; %bb.2459:                             ;   in Loop: Header=BB384_2086 Depth=1
	v_mov_b32_e32 v17, 0xffff
	v_mov_b32_e32 v28, 0x7f800001
	s_mov_b32 s20, exec_lo
	v_and_b32_sdwa v17, v17, v12 dst_sel:DWORD dst_unused:UNUSED_PAD src0_sel:DWORD src1_sel:BYTE_1
	v_and_b32_e32 v22, 0x7f, v17
	v_cmpx_ne_u32_e32 0x7f, v22
	s_cbranch_execz .LBB384_2463
; %bb.2460:                             ;   in Loop: Header=BB384_2086 Depth=1
	v_and_b32_e32 v23, 7, v17
	v_mov_b32_e32 v24, v13
	v_lshrrev_b32_e32 v17, 3, v22
	s_mov_b32 s21, exec_lo
	v_cmpx_gt_u32_e32 8, v22
; %bb.2461:                             ;   in Loop: Header=BB384_2086 Depth=1
	v_ffbh_u32_e32 v17, v23
	v_min_u32_e32 v17, 32, v17
	v_subrev_nc_u32_e32 v22, 28, v17
	v_sub_nc_u32_e32 v17, 29, v17
	v_lshlrev_b64 v[22:23], v22, v[23:24]
	v_and_b32_e32 v23, 7, v22
; %bb.2462:                             ;   in Loop: Header=BB384_2086 Depth=1
	s_or_b32 exec_lo, exec_lo, s21
	v_lshlrev_b32_e32 v12, 16, v12
	v_lshlrev_b32_e32 v22, 20, v23
	v_lshl_add_u32 v17, v17, 23, 0x3c000000
	v_and_b32_e32 v12, 0x80000000, v12
	v_or3_b32 v28, v22, v12, v17
.LBB384_2463:                           ;   in Loop: Header=BB384_2086 Depth=1
	s_or_b32 exec_lo, exec_lo, s20
.LBB384_2464:                           ;   in Loop: Header=BB384_2086 Depth=1
	s_or_b32 exec_lo, exec_lo, s18
.LBB384_2465:                           ;   in Loop: Header=BB384_2086 Depth=1
	s_or_b32 exec_lo, exec_lo, s17
	v_and_b32_sdwa v12, v21, v118 dst_sel:DWORD dst_unused:UNUSED_PAD src0_sel:WORD_1 src1_sel:DWORD
	v_mov_b32_e32 v17, 0
	v_mov_b32_e32 v22, 0
	s_mov_b32 s17, exec_lo
	v_cmpx_ne_u16_e32 0, v12
	s_cbranch_execz .LBB384_2473
; %bb.2466:                             ;   in Loop: Header=BB384_2086 Depth=1
	v_bfrev_b32_e32 v22, 1
	s_mov_b32 s18, exec_lo
	v_cmpx_ne_u16_e32 0x80, v12
	s_cbranch_execz .LBB384_2472
; %bb.2467:                             ;   in Loop: Header=BB384_2086 Depth=1
	v_bfe_u32 v23, v21, 16, 7
	v_mov_b32_e32 v22, 0x7f800001
	s_mov_b32 s20, exec_lo
	v_cmpx_ne_u32_e32 0x7f, v23
	s_cbranch_execz .LBB384_2471
; %bb.2468:                             ;   in Loop: Header=BB384_2086 Depth=1
	v_mov_b32_e32 v12, 7
	v_lshrrev_b32_e32 v22, 3, v23
	v_cmp_gt_u32_e64 s4, 8, v23
	v_and_b32_sdwa v12, v21, v12 dst_sel:DWORD dst_unused:UNUSED_PAD src0_sel:WORD_1 src1_sel:DWORD
	v_mov_b32_e32 v24, v13
	v_mov_b32_e32 v23, v12
	s_and_saveexec_b32 s21, s4
; %bb.2469:                             ;   in Loop: Header=BB384_2086 Depth=1
	v_ffbh_u32_e32 v22, v12
	v_min_u32_e32 v22, 32, v22
	v_subrev_nc_u32_e32 v23, 28, v22
	v_sub_nc_u32_e32 v22, 29, v22
	v_lshlrev_b64 v[23:24], v23, v[12:13]
	v_and_b32_e32 v23, 7, v23
; %bb.2470:                             ;   in Loop: Header=BB384_2086 Depth=1
	s_or_b32 exec_lo, exec_lo, s21
	v_mov_b32_e32 v12, 24
	v_lshlrev_b32_e32 v23, 20, v23
	v_lshl_add_u32 v22, v22, 23, 0x3c000000
	v_lshlrev_b32_sdwa v12, v12, v21 dst_sel:DWORD dst_unused:UNUSED_PAD src0_sel:DWORD src1_sel:WORD_1
	v_and_b32_e32 v12, 0x80000000, v12
	v_or3_b32 v22, v23, v12, v22
.LBB384_2471:                           ;   in Loop: Header=BB384_2086 Depth=1
	s_or_b32 exec_lo, exec_lo, s20
.LBB384_2472:                           ;   in Loop: Header=BB384_2086 Depth=1
	s_or_b32 exec_lo, exec_lo, s18
.LBB384_2473:                           ;   in Loop: Header=BB384_2086 Depth=1
	s_or_b32 exec_lo, exec_lo, s17
	s_mov_b32 s17, exec_lo
	v_cmpx_lt_u64_e64 s[12:13], v[20:21]
	s_cbranch_execz .LBB384_2481
; %bb.2474:                             ;   in Loop: Header=BB384_2086 Depth=1
	v_cmp_ne_u32_sdwa s4, v21, v116 src0_sel:BYTE_3 src1_sel:DWORD
	v_bfrev_b32_e32 v17, 1
	s_and_saveexec_b32 s18, s4
	s_cbranch_execz .LBB384_2480
; %bb.2475:                             ;   in Loop: Header=BB384_2086 Depth=1
	v_bfe_u32 v20, v21, 24, 7
	v_mov_b32_e32 v17, 0x7f800001
	s_mov_b32 s20, exec_lo
	v_cmpx_ne_u32_e32 0x7f, v20
	s_cbranch_execz .LBB384_2479
; %bb.2476:                             ;   in Loop: Header=BB384_2086 Depth=1
	v_mov_b32_e32 v12, 7
	v_lshrrev_b32_e32 v17, 3, v20
	s_mov_b32 s21, exec_lo
	v_and_b32_sdwa v12, v21, v12 dst_sel:DWORD dst_unused:UNUSED_PAD src0_sel:BYTE_3 src1_sel:DWORD
	v_mov_b32_e32 v24, v13
	v_mov_b32_e32 v23, v12
	v_cmpx_gt_u32_e32 8, v20
; %bb.2477:                             ;   in Loop: Header=BB384_2086 Depth=1
	v_ffbh_u32_e32 v17, v12
	v_min_u32_e32 v17, 32, v17
	v_subrev_nc_u32_e32 v20, 28, v17
	v_sub_nc_u32_e32 v17, 29, v17
	v_lshlrev_b64 v[23:24], v20, v[12:13]
	v_and_b32_e32 v23, 7, v23
; %bb.2478:                             ;   in Loop: Header=BB384_2086 Depth=1
	s_or_b32 exec_lo, exec_lo, s21
	v_mov_b32_e32 v12, 24
	v_lshlrev_b32_e32 v20, 20, v23
	v_lshl_add_u32 v17, v17, 23, 0x3c000000
	v_lshlrev_b32_sdwa v12, v12, v21 dst_sel:DWORD dst_unused:UNUSED_PAD src0_sel:DWORD src1_sel:BYTE_3
	v_and_b32_e32 v12, 0x80000000, v12
	v_or3_b32 v17, v20, v12, v17
.LBB384_2479:                           ;   in Loop: Header=BB384_2086 Depth=1
	s_or_b32 exec_lo, exec_lo, s20
.LBB384_2480:                           ;   in Loop: Header=BB384_2086 Depth=1
	s_or_b32 exec_lo, exec_lo, s18
.LBB384_2481:                           ;   in Loop: Header=BB384_2086 Depth=1
	s_or_b32 exec_lo, exec_lo, s17
	v_mul_f32_e32 v12, v115, v28
	v_mul_f32_e32 v11, v115, v11
	;; [unrolled: 1-line block ×4, first 2 shown]
	v_bfe_u32 v20, v12, 16, 1
	v_or_b32_e32 v21, 0x400000, v12
	v_cmp_u_f32_e64 s4, v12, v12
	v_add3_u32 v20, v20, v12, 0x7fff
	v_cndmask_b32_e64 v12, v20, v21, s4
	v_lshrrev_b32_e32 v12, 16, v12
	buffer_store_dword v12, off, s[0:3], s32 offset:404 ; 4-byte Folded Spill
	v_mul_f32_e32 v12, v115, v25
	v_bfe_u32 v20, v12, 16, 1
	v_or_b32_e32 v21, 0x400000, v12
	v_cmp_u_f32_e64 s4, v12, v12
	v_add3_u32 v20, v20, v12, 0x7fff
	v_cndmask_b32_e64 v12, v20, v21, s4
	v_lshrrev_b32_e32 v12, 16, v12
	buffer_store_dword v12, off, s[0:3], s32 offset:400 ; 4-byte Folded Spill
	v_mul_f32_e32 v12, v115, v16
	v_bfe_u32 v16, v12, 16, 1
	v_or_b32_e32 v20, 0x400000, v12
	v_cmp_u_f32_e64 s4, v12, v12
	v_add3_u32 v16, v16, v12, 0x7fff
	v_cndmask_b32_e64 v12, v16, v20, s4
	v_or_b32_e32 v16, 0x400000, v11
	v_cmp_u_f32_e64 s4, v11, v11
	v_lshrrev_b32_e32 v12, 16, v12
	buffer_store_dword v12, off, s[0:3], s32 offset:416 ; 4-byte Folded Spill
	v_bfe_u32 v12, v11, 16, 1
	v_add3_u32 v12, v12, v11, 0x7fff
	v_cndmask_b32_e64 v11, v12, v16, s4
	v_or_b32_e32 v12, 0x400000, v5
	v_cmp_u_f32_e64 s4, v5, v5
	v_lshrrev_b32_e32 v11, 16, v11
	buffer_store_dword v11, off, s[0:3], s32 offset:412 ; 4-byte Folded Spill
	v_bfe_u32 v11, v5, 16, 1
	;; [unrolled: 7-line block ×3, first 2 shown]
	v_add3_u32 v5, v5, v4, 0x7fff
	v_cndmask_b32_e64 v4, v5, v11, s4
	v_lshrrev_b32_e32 v4, 16, v4
	buffer_store_dword v4, off, s[0:3], s32 offset:424 ; 4-byte Folded Spill
	v_mul_f32_e32 v4, v115, v22
	v_bfe_u32 v5, v4, 16, 1
	v_or_b32_e32 v11, 0x400000, v4
	v_cmp_u_f32_e64 s4, v4, v4
	v_add3_u32 v5, v5, v4, 0x7fff
	v_cndmask_b32_e64 v4, v5, v11, s4
	v_lshrrev_b32_e32 v4, 16, v4
	buffer_store_dword v4, off, s[0:3], s32 offset:408 ; 4-byte Folded Spill
	v_mul_f32_e32 v4, v115, v17
	v_bfe_u32 v5, v4, 16, 1
	v_or_b32_e32 v11, 0x400000, v4
	v_cmp_u_f32_e64 s4, v4, v4
	v_add3_u32 v5, v5, v4, 0x7fff
	v_cndmask_b32_e64 v4, v5, v11, s4
	v_lshrrev_b32_e32 v4, 16, v4
	buffer_store_dword v4, off, s[0:3], s32 offset:420 ; 4-byte Folded Spill
	s_and_saveexec_b32 s17, vcc_lo
	s_cbranch_execz .LBB384_2483
; %bb.2482:                             ;   in Loop: Header=BB384_2086 Depth=1
	buffer_load_dword v4, off, s[0:3], s32 offset:424 ; 4-byte Folded Reload
	v_cmp_lt_i32_e64 s4, v114, v48
	s_waitcnt vmcnt(0)
	v_cndmask_b32_e64 v4, 0, v4, s4
	v_cmp_lt_i32_e64 s4, v10, v48
	buffer_store_dword v4, off, s[0:3], s32 offset:424 ; 4-byte Folded Spill
	buffer_load_dword v4, off, s[0:3], s32 offset:428 ; 4-byte Folded Reload
	s_waitcnt vmcnt(0)
	v_cndmask_b32_e64 v4, 0, v4, s4
	v_cmp_lt_i32_e64 s4, v26, v48
	buffer_store_dword v4, off, s[0:3], s32 offset:428 ; 4-byte Folded Spill
	buffer_load_dword v4, off, s[0:3], s32 offset:412 ; 4-byte Folded Reload
	;; [unrolled: 5-line block ×7, first 2 shown]
	s_waitcnt vmcnt(0)
	v_cndmask_b32_e64 v4, 0, v4, s4
	buffer_store_dword v4, off, s[0:3], s32 offset:420 ; 4-byte Folded Spill
.LBB384_2483:                           ;   in Loop: Header=BB384_2086 Depth=1
	s_or_b32 exec_lo, exec_lo, s17
	flat_load_dwordx2 v[20:21], v[18:19] offset:1536
	v_mov_b32_e32 v5, 0
	v_mov_b32_e32 v4, 0
	s_waitcnt vmcnt(0) lgkmcnt(0)
	v_cmp_ne_u16_sdwa s4, v20, v13 src0_sel:BYTE_0 src1_sel:DWORD
	s_and_saveexec_b32 s17, s4
	s_cbranch_execz .LBB384_2491
; %bb.2484:                             ;   in Loop: Header=BB384_2086 Depth=1
	v_cmp_ne_u16_sdwa s4, v20, v116 src0_sel:BYTE_0 src1_sel:DWORD
	v_bfrev_b32_e32 v4, 1
	s_and_saveexec_b32 s18, s4
	s_cbranch_execz .LBB384_2490
; %bb.2485:                             ;   in Loop: Header=BB384_2086 Depth=1
	v_and_b32_e32 v11, 0x7f, v20
	v_mov_b32_e32 v4, 0x7f800001
	s_mov_b32 s20, exec_lo
	v_cmpx_ne_u32_e32 0x7f, v11
	s_cbranch_execz .LBB384_2489
; %bb.2486:                             ;   in Loop: Header=BB384_2086 Depth=1
	v_mov_b32_e32 v24, v21
	v_lshrrev_b32_e32 v4, 3, v11
	v_mov_b32_e32 v23, v20
	s_mov_b32 s21, exec_lo
	v_cmpx_gt_u32_e32 8, v11
; %bb.2487:                             ;   in Loop: Header=BB384_2086 Depth=1
	v_and_b32_e32 v4, 7, v20
	v_ffbh_u32_e32 v4, v4
	v_min_u32_e32 v4, 32, v4
	v_subrev_nc_u32_e32 v11, 28, v4
	v_sub_nc_u32_e32 v4, 29, v4
	v_lshlrev_b64 v[23:24], v11, v[20:21]
; %bb.2488:                             ;   in Loop: Header=BB384_2086 Depth=1
	s_or_b32 exec_lo, exec_lo, s21
	v_lshlrev_b32_e32 v11, 20, v23
	v_lshlrev_b32_e32 v12, 24, v20
	v_lshl_add_u32 v4, v4, 23, 0x3c000000
	v_and_b32_e32 v11, 0x700000, v11
	v_and_b32_e32 v12, 0x80000000, v12
	v_or3_b32 v4, v11, v12, v4
.LBB384_2489:                           ;   in Loop: Header=BB384_2086 Depth=1
	s_or_b32 exec_lo, exec_lo, s20
.LBB384_2490:                           ;   in Loop: Header=BB384_2086 Depth=1
	s_or_b32 exec_lo, exec_lo, s18
.LBB384_2491:                           ;   in Loop: Header=BB384_2086 Depth=1
	s_or_b32 exec_lo, exec_lo, s17
	v_cmp_ne_u16_sdwa s4, v20, v13 src0_sel:BYTE_1 src1_sel:DWORD
	s_and_saveexec_b32 s17, s4
	s_cbranch_execz .LBB384_2499
; %bb.2492:                             ;   in Loop: Header=BB384_2086 Depth=1
	v_cmp_ne_u16_sdwa s4, v20, v116 src0_sel:BYTE_1 src1_sel:DWORD
	v_bfrev_b32_e32 v5, 1
	s_and_saveexec_b32 s18, s4
	s_cbranch_execz .LBB384_2498
; %bb.2493:                             ;   in Loop: Header=BB384_2086 Depth=1
	v_mov_b32_e32 v5, 0xffff
	s_mov_b32 s20, exec_lo
	v_and_b32_sdwa v12, v5, v20 dst_sel:DWORD dst_unused:UNUSED_PAD src0_sel:DWORD src1_sel:BYTE_1
	v_mov_b32_e32 v5, 0x7f800001
	v_and_b32_e32 v11, 0x7f, v12
	v_cmpx_ne_u32_e32 0x7f, v11
	s_cbranch_execz .LBB384_2497
; %bb.2494:                             ;   in Loop: Header=BB384_2086 Depth=1
	v_and_b32_e32 v12, 7, v12
	v_mov_b32_e32 v24, v13
	v_lshrrev_b32_e32 v5, 3, v11
	s_mov_b32 s21, exec_lo
	v_mov_b32_e32 v23, v12
	v_cmpx_gt_u32_e32 8, v11
; %bb.2495:                             ;   in Loop: Header=BB384_2086 Depth=1
	v_ffbh_u32_e32 v5, v12
	v_min_u32_e32 v5, 32, v5
	v_subrev_nc_u32_e32 v11, 28, v5
	v_sub_nc_u32_e32 v5, 29, v5
	v_lshlrev_b64 v[11:12], v11, v[12:13]
	v_and_b32_e32 v23, 7, v11
; %bb.2496:                             ;   in Loop: Header=BB384_2086 Depth=1
	s_or_b32 exec_lo, exec_lo, s21
	v_lshlrev_b32_e32 v11, 16, v20
	v_lshlrev_b32_e32 v12, 20, v23
	v_lshl_add_u32 v5, v5, 23, 0x3c000000
	v_and_b32_e32 v11, 0x80000000, v11
	v_or3_b32 v5, v12, v11, v5
.LBB384_2497:                           ;   in Loop: Header=BB384_2086 Depth=1
	s_or_b32 exec_lo, exec_lo, s20
.LBB384_2498:                           ;   in Loop: Header=BB384_2086 Depth=1
	s_or_b32 exec_lo, exec_lo, s18
.LBB384_2499:                           ;   in Loop: Header=BB384_2086 Depth=1
	s_or_b32 exec_lo, exec_lo, s17
	v_and_b32_sdwa v12, v20, v118 dst_sel:DWORD dst_unused:UNUSED_PAD src0_sel:WORD_1 src1_sel:DWORD
	v_mov_b32_e32 v16, 0
	v_mov_b32_e32 v11, 0
	s_mov_b32 s17, exec_lo
	v_cmpx_ne_u16_e32 0, v12
	s_cbranch_execz .LBB384_2507
; %bb.2500:                             ;   in Loop: Header=BB384_2086 Depth=1
	v_bfrev_b32_e32 v11, 1
	s_mov_b32 s18, exec_lo
	v_cmpx_ne_u16_e32 0x80, v12
	s_cbranch_execz .LBB384_2506
; %bb.2501:                             ;   in Loop: Header=BB384_2086 Depth=1
	v_bfe_u32 v17, v20, 16, 7
	v_mov_b32_e32 v11, 0x7f800001
	s_mov_b32 s20, exec_lo
	v_cmpx_ne_u32_e32 0x7f, v17
	s_cbranch_execz .LBB384_2505
; %bb.2502:                             ;   in Loop: Header=BB384_2086 Depth=1
	v_mov_b32_e32 v11, 7
	s_mov_b32 s21, exec_lo
	v_and_b32_sdwa v12, v20, v11 dst_sel:DWORD dst_unused:UNUSED_PAD src0_sel:WORD_1 src1_sel:DWORD
	v_mov_b32_e32 v24, v13
	v_lshrrev_b32_e32 v11, 3, v17
	v_mov_b32_e32 v23, v12
	v_cmpx_gt_u32_e32 8, v17
; %bb.2503:                             ;   in Loop: Header=BB384_2086 Depth=1
	v_ffbh_u32_e32 v11, v12
	v_min_u32_e32 v11, 32, v11
	v_subrev_nc_u32_e32 v17, 28, v11
	v_sub_nc_u32_e32 v11, 29, v11
	v_lshlrev_b64 v[22:23], v17, v[12:13]
	v_and_b32_e32 v23, 7, v22
; %bb.2504:                             ;   in Loop: Header=BB384_2086 Depth=1
	s_or_b32 exec_lo, exec_lo, s21
	v_mov_b32_e32 v12, 24
	v_lshlrev_b32_e32 v17, 20, v23
	v_lshl_add_u32 v11, v11, 23, 0x3c000000
	v_lshlrev_b32_sdwa v12, v12, v20 dst_sel:DWORD dst_unused:UNUSED_PAD src0_sel:DWORD src1_sel:WORD_1
	v_and_b32_e32 v12, 0x80000000, v12
	v_or3_b32 v11, v17, v12, v11
.LBB384_2505:                           ;   in Loop: Header=BB384_2086 Depth=1
	s_or_b32 exec_lo, exec_lo, s20
.LBB384_2506:                           ;   in Loop: Header=BB384_2086 Depth=1
	s_or_b32 exec_lo, exec_lo, s18
.LBB384_2507:                           ;   in Loop: Header=BB384_2086 Depth=1
	s_or_b32 exec_lo, exec_lo, s17
	s_mov_b32 s17, exec_lo
	v_cmpx_lt_u32_e32 0xffffff, v20
	s_cbranch_execz .LBB384_2515
; %bb.2508:                             ;   in Loop: Header=BB384_2086 Depth=1
	v_cmp_ne_u32_sdwa s4, v20, v116 src0_sel:BYTE_3 src1_sel:DWORD
	v_bfrev_b32_e32 v16, 1
	s_and_saveexec_b32 s18, s4
	s_cbranch_execz .LBB384_2514
; %bb.2509:                             ;   in Loop: Header=BB384_2086 Depth=1
	v_bfe_u32 v17, v20, 24, 7
	v_mov_b32_e32 v16, 0x7f800001
	s_mov_b32 s20, exec_lo
	v_cmpx_ne_u32_e32 0x7f, v17
	s_cbranch_execz .LBB384_2513
; %bb.2510:                             ;   in Loop: Header=BB384_2086 Depth=1
	v_mov_b32_e32 v12, 7
	v_lshrrev_b32_e32 v16, 3, v17
	s_mov_b32 s21, exec_lo
	v_and_b32_sdwa v12, v20, v12 dst_sel:DWORD dst_unused:UNUSED_PAD src0_sel:BYTE_3 src1_sel:DWORD
	v_mov_b32_e32 v24, v13
	v_mov_b32_e32 v23, v12
	v_cmpx_gt_u32_e32 8, v17
; %bb.2511:                             ;   in Loop: Header=BB384_2086 Depth=1
	v_ffbh_u32_e32 v16, v12
	v_min_u32_e32 v16, 32, v16
	v_subrev_nc_u32_e32 v17, 28, v16
	v_sub_nc_u32_e32 v16, 29, v16
	v_lshlrev_b64 v[22:23], v17, v[12:13]
	v_and_b32_e32 v23, 7, v22
; %bb.2512:                             ;   in Loop: Header=BB384_2086 Depth=1
	s_or_b32 exec_lo, exec_lo, s21
	v_mov_b32_e32 v12, 24
	v_lshlrev_b32_e32 v17, 20, v23
	v_lshl_add_u32 v16, v16, 23, 0x3c000000
	v_lshlrev_b32_sdwa v12, v12, v20 dst_sel:DWORD dst_unused:UNUSED_PAD src0_sel:DWORD src1_sel:BYTE_3
	v_and_b32_e32 v12, 0x80000000, v12
	v_or3_b32 v16, v17, v12, v16
.LBB384_2513:                           ;   in Loop: Header=BB384_2086 Depth=1
	s_or_b32 exec_lo, exec_lo, s20
.LBB384_2514:                           ;   in Loop: Header=BB384_2086 Depth=1
	s_or_b32 exec_lo, exec_lo, s18
.LBB384_2515:                           ;   in Loop: Header=BB384_2086 Depth=1
	s_or_b32 exec_lo, exec_lo, s17
	v_mov_b32_e32 v12, v21
	v_cmp_ne_u16_sdwa s4, v21, v13 src0_sel:BYTE_0 src1_sel:DWORD
	v_mov_b32_e32 v28, 0
	v_mov_b32_e32 v25, 0
	s_and_saveexec_b32 s17, s4
	s_cbranch_execz .LBB384_2523
; %bb.2516:                             ;   in Loop: Header=BB384_2086 Depth=1
	v_cmp_ne_u16_sdwa s4, v21, v116 src0_sel:BYTE_0 src1_sel:DWORD
	v_bfrev_b32_e32 v25, 1
	s_and_saveexec_b32 s18, s4
	s_cbranch_execz .LBB384_2522
; %bb.2517:                             ;   in Loop: Header=BB384_2086 Depth=1
	v_and_b32_e32 v22, 0x7f, v21
	v_mov_b32_e32 v25, 0x7f800001
	s_mov_b32 s20, exec_lo
	v_cmpx_ne_u32_e32 0x7f, v22
	s_cbranch_execz .LBB384_2521
; %bb.2518:                             ;   in Loop: Header=BB384_2086 Depth=1
	v_mov_b32_e32 v24, v13
	v_lshrrev_b32_e32 v17, 3, v22
	v_mov_b32_e32 v23, v12
	s_mov_b32 s21, exec_lo
	v_cmpx_gt_u32_e32 8, v22
; %bb.2519:                             ;   in Loop: Header=BB384_2086 Depth=1
	v_and_b32_e32 v17, 7, v21
	v_ffbh_u32_e32 v17, v17
	v_min_u32_e32 v17, 32, v17
	v_subrev_nc_u32_e32 v22, 28, v17
	v_sub_nc_u32_e32 v17, 29, v17
	v_lshlrev_b64 v[23:24], v22, v[12:13]
; %bb.2520:                             ;   in Loop: Header=BB384_2086 Depth=1
	s_or_b32 exec_lo, exec_lo, s21
	v_lshlrev_b32_e32 v22, 20, v23
	v_lshlrev_b32_e32 v23, 24, v12
	v_lshl_add_u32 v17, v17, 23, 0x3c000000
	v_and_b32_e32 v22, 0x700000, v22
	v_and_b32_e32 v23, 0x80000000, v23
	v_or3_b32 v25, v22, v23, v17
.LBB384_2521:                           ;   in Loop: Header=BB384_2086 Depth=1
	s_or_b32 exec_lo, exec_lo, s20
.LBB384_2522:                           ;   in Loop: Header=BB384_2086 Depth=1
	s_or_b32 exec_lo, exec_lo, s18
.LBB384_2523:                           ;   in Loop: Header=BB384_2086 Depth=1
	s_or_b32 exec_lo, exec_lo, s17
	v_cmp_ne_u16_sdwa s4, v12, v13 src0_sel:BYTE_1 src1_sel:DWORD
	s_and_saveexec_b32 s17, s4
	s_cbranch_execz .LBB384_2531
; %bb.2524:                             ;   in Loop: Header=BB384_2086 Depth=1
	v_cmp_ne_u16_sdwa s4, v12, v116 src0_sel:BYTE_1 src1_sel:DWORD
	v_bfrev_b32_e32 v28, 1
	s_and_saveexec_b32 s18, s4
	s_cbranch_execz .LBB384_2530
; %bb.2525:                             ;   in Loop: Header=BB384_2086 Depth=1
	v_mov_b32_e32 v17, 0xffff
	v_mov_b32_e32 v28, 0x7f800001
	s_mov_b32 s20, exec_lo
	v_and_b32_sdwa v17, v17, v12 dst_sel:DWORD dst_unused:UNUSED_PAD src0_sel:DWORD src1_sel:BYTE_1
	v_and_b32_e32 v22, 0x7f, v17
	v_cmpx_ne_u32_e32 0x7f, v22
	s_cbranch_execz .LBB384_2529
; %bb.2526:                             ;   in Loop: Header=BB384_2086 Depth=1
	v_and_b32_e32 v23, 7, v17
	v_mov_b32_e32 v24, v13
	v_lshrrev_b32_e32 v17, 3, v22
	s_mov_b32 s21, exec_lo
	v_cmpx_gt_u32_e32 8, v22
; %bb.2527:                             ;   in Loop: Header=BB384_2086 Depth=1
	v_ffbh_u32_e32 v17, v23
	v_min_u32_e32 v17, 32, v17
	v_subrev_nc_u32_e32 v22, 28, v17
	v_sub_nc_u32_e32 v17, 29, v17
	v_lshlrev_b64 v[22:23], v22, v[23:24]
	v_and_b32_e32 v23, 7, v22
; %bb.2528:                             ;   in Loop: Header=BB384_2086 Depth=1
	s_or_b32 exec_lo, exec_lo, s21
	v_lshlrev_b32_e32 v12, 16, v12
	v_lshlrev_b32_e32 v22, 20, v23
	v_lshl_add_u32 v17, v17, 23, 0x3c000000
	v_and_b32_e32 v12, 0x80000000, v12
	v_or3_b32 v28, v22, v12, v17
.LBB384_2529:                           ;   in Loop: Header=BB384_2086 Depth=1
	s_or_b32 exec_lo, exec_lo, s20
.LBB384_2530:                           ;   in Loop: Header=BB384_2086 Depth=1
	s_or_b32 exec_lo, exec_lo, s18
.LBB384_2531:                           ;   in Loop: Header=BB384_2086 Depth=1
	s_or_b32 exec_lo, exec_lo, s17
	v_and_b32_sdwa v12, v21, v118 dst_sel:DWORD dst_unused:UNUSED_PAD src0_sel:WORD_1 src1_sel:DWORD
	v_mov_b32_e32 v17, 0
	v_mov_b32_e32 v22, 0
	s_mov_b32 s17, exec_lo
	v_cmpx_ne_u16_e32 0, v12
	s_cbranch_execz .LBB384_2539
; %bb.2532:                             ;   in Loop: Header=BB384_2086 Depth=1
	v_bfrev_b32_e32 v22, 1
	s_mov_b32 s18, exec_lo
	v_cmpx_ne_u16_e32 0x80, v12
	s_cbranch_execz .LBB384_2538
; %bb.2533:                             ;   in Loop: Header=BB384_2086 Depth=1
	v_bfe_u32 v23, v21, 16, 7
	v_mov_b32_e32 v22, 0x7f800001
	s_mov_b32 s20, exec_lo
	v_cmpx_ne_u32_e32 0x7f, v23
	s_cbranch_execz .LBB384_2537
; %bb.2534:                             ;   in Loop: Header=BB384_2086 Depth=1
	v_mov_b32_e32 v12, 7
	v_lshrrev_b32_e32 v22, 3, v23
	v_cmp_gt_u32_e64 s4, 8, v23
	v_and_b32_sdwa v12, v21, v12 dst_sel:DWORD dst_unused:UNUSED_PAD src0_sel:WORD_1 src1_sel:DWORD
	v_mov_b32_e32 v24, v13
	v_mov_b32_e32 v23, v12
	s_and_saveexec_b32 s21, s4
; %bb.2535:                             ;   in Loop: Header=BB384_2086 Depth=1
	v_ffbh_u32_e32 v22, v12
	v_min_u32_e32 v22, 32, v22
	v_subrev_nc_u32_e32 v23, 28, v22
	v_sub_nc_u32_e32 v22, 29, v22
	v_lshlrev_b64 v[23:24], v23, v[12:13]
	v_and_b32_e32 v23, 7, v23
; %bb.2536:                             ;   in Loop: Header=BB384_2086 Depth=1
	s_or_b32 exec_lo, exec_lo, s21
	v_mov_b32_e32 v12, 24
	v_lshlrev_b32_e32 v23, 20, v23
	v_lshl_add_u32 v22, v22, 23, 0x3c000000
	v_lshlrev_b32_sdwa v12, v12, v21 dst_sel:DWORD dst_unused:UNUSED_PAD src0_sel:DWORD src1_sel:WORD_1
	v_and_b32_e32 v12, 0x80000000, v12
	v_or3_b32 v22, v23, v12, v22
.LBB384_2537:                           ;   in Loop: Header=BB384_2086 Depth=1
	s_or_b32 exec_lo, exec_lo, s20
.LBB384_2538:                           ;   in Loop: Header=BB384_2086 Depth=1
	s_or_b32 exec_lo, exec_lo, s18
.LBB384_2539:                           ;   in Loop: Header=BB384_2086 Depth=1
	s_or_b32 exec_lo, exec_lo, s17
	s_mov_b32 s17, exec_lo
	v_cmpx_lt_u64_e64 s[12:13], v[20:21]
	s_cbranch_execz .LBB384_2547
; %bb.2540:                             ;   in Loop: Header=BB384_2086 Depth=1
	v_cmp_ne_u32_sdwa s4, v21, v116 src0_sel:BYTE_3 src1_sel:DWORD
	v_bfrev_b32_e32 v17, 1
	s_and_saveexec_b32 s18, s4
	s_cbranch_execz .LBB384_2546
; %bb.2541:                             ;   in Loop: Header=BB384_2086 Depth=1
	v_bfe_u32 v20, v21, 24, 7
	v_mov_b32_e32 v17, 0x7f800001
	s_mov_b32 s20, exec_lo
	v_cmpx_ne_u32_e32 0x7f, v20
	s_cbranch_execz .LBB384_2545
; %bb.2542:                             ;   in Loop: Header=BB384_2086 Depth=1
	v_mov_b32_e32 v12, 7
	v_lshrrev_b32_e32 v17, 3, v20
	s_mov_b32 s21, exec_lo
	v_and_b32_sdwa v12, v21, v12 dst_sel:DWORD dst_unused:UNUSED_PAD src0_sel:BYTE_3 src1_sel:DWORD
	v_mov_b32_e32 v24, v13
	v_mov_b32_e32 v23, v12
	v_cmpx_gt_u32_e32 8, v20
; %bb.2543:                             ;   in Loop: Header=BB384_2086 Depth=1
	v_ffbh_u32_e32 v17, v12
	v_min_u32_e32 v17, 32, v17
	v_subrev_nc_u32_e32 v20, 28, v17
	v_sub_nc_u32_e32 v17, 29, v17
	v_lshlrev_b64 v[23:24], v20, v[12:13]
	v_and_b32_e32 v23, 7, v23
; %bb.2544:                             ;   in Loop: Header=BB384_2086 Depth=1
	s_or_b32 exec_lo, exec_lo, s21
	v_mov_b32_e32 v12, 24
	v_lshlrev_b32_e32 v20, 20, v23
	v_lshl_add_u32 v17, v17, 23, 0x3c000000
	v_lshlrev_b32_sdwa v12, v12, v21 dst_sel:DWORD dst_unused:UNUSED_PAD src0_sel:DWORD src1_sel:BYTE_3
	v_and_b32_e32 v12, 0x80000000, v12
	v_or3_b32 v17, v20, v12, v17
.LBB384_2545:                           ;   in Loop: Header=BB384_2086 Depth=1
	s_or_b32 exec_lo, exec_lo, s20
.LBB384_2546:                           ;   in Loop: Header=BB384_2086 Depth=1
	s_or_b32 exec_lo, exec_lo, s18
.LBB384_2547:                           ;   in Loop: Header=BB384_2086 Depth=1
	s_or_b32 exec_lo, exec_lo, s17
	v_mul_f32_e32 v12, v115, v28
	v_mul_f32_e32 v11, v115, v11
	;; [unrolled: 1-line block ×4, first 2 shown]
	v_bfe_u32 v20, v12, 16, 1
	v_or_b32_e32 v21, 0x400000, v12
	v_cmp_u_f32_e64 s4, v12, v12
	v_add3_u32 v20, v20, v12, 0x7fff
	v_cndmask_b32_e64 v12, v20, v21, s4
	v_lshrrev_b32_e32 v12, 16, v12
	buffer_store_dword v12, off, s[0:3], s32 offset:436 ; 4-byte Folded Spill
	v_mul_f32_e32 v12, v115, v25
	v_bfe_u32 v20, v12, 16, 1
	v_or_b32_e32 v21, 0x400000, v12
	v_cmp_u_f32_e64 s4, v12, v12
	v_add3_u32 v20, v20, v12, 0x7fff
	v_cndmask_b32_e64 v12, v20, v21, s4
	v_lshrrev_b32_e32 v12, 16, v12
	buffer_store_dword v12, off, s[0:3], s32 offset:432 ; 4-byte Folded Spill
	v_mul_f32_e32 v12, v115, v16
	v_bfe_u32 v16, v12, 16, 1
	v_or_b32_e32 v20, 0x400000, v12
	v_cmp_u_f32_e64 s4, v12, v12
	v_add3_u32 v16, v16, v12, 0x7fff
	v_cndmask_b32_e64 v12, v16, v20, s4
	v_or_b32_e32 v16, 0x400000, v11
	v_cmp_u_f32_e64 s4, v11, v11
	v_lshrrev_b32_e32 v12, 16, v12
	buffer_store_dword v12, off, s[0:3], s32 offset:444 ; 4-byte Folded Spill
	v_bfe_u32 v12, v11, 16, 1
	v_add3_u32 v12, v12, v11, 0x7fff
	v_cndmask_b32_e64 v11, v12, v16, s4
	v_or_b32_e32 v12, 0x400000, v5
	v_cmp_u_f32_e64 s4, v5, v5
	v_lshrrev_b32_e32 v11, 16, v11
	buffer_store_dword v11, off, s[0:3], s32 offset:448 ; 4-byte Folded Spill
	v_bfe_u32 v11, v5, 16, 1
	;; [unrolled: 7-line block ×3, first 2 shown]
	v_add3_u32 v5, v5, v4, 0x7fff
	v_cndmask_b32_e64 v4, v5, v11, s4
	v_lshrrev_b32_e32 v4, 16, v4
	buffer_store_dword v4, off, s[0:3], s32 offset:456 ; 4-byte Folded Spill
	v_mul_f32_e32 v4, v115, v22
	v_bfe_u32 v5, v4, 16, 1
	v_or_b32_e32 v11, 0x400000, v4
	v_cmp_u_f32_e64 s4, v4, v4
	v_add3_u32 v5, v5, v4, 0x7fff
	v_cndmask_b32_e64 v4, v5, v11, s4
	v_lshrrev_b32_e32 v4, 16, v4
	buffer_store_dword v4, off, s[0:3], s32 offset:440 ; 4-byte Folded Spill
	v_mul_f32_e32 v4, v115, v17
	v_bfe_u32 v5, v4, 16, 1
	v_or_b32_e32 v11, 0x400000, v4
	v_cmp_u_f32_e64 s4, v4, v4
	v_add3_u32 v5, v5, v4, 0x7fff
	v_cndmask_b32_e64 v4, v5, v11, s4
	v_lshrrev_b32_e32 v4, 16, v4
	buffer_store_dword v4, off, s[0:3], s32 offset:452 ; 4-byte Folded Spill
	s_and_saveexec_b32 s17, vcc_lo
	s_cbranch_execz .LBB384_2549
; %bb.2548:                             ;   in Loop: Header=BB384_2086 Depth=1
	buffer_load_dword v4, off, s[0:3], s32 offset:456 ; 4-byte Folded Reload
	v_cmp_lt_i32_e64 s4, v114, v48
	s_waitcnt vmcnt(0)
	v_cndmask_b32_e64 v4, 0, v4, s4
	v_cmp_lt_i32_e64 s4, v10, v48
	buffer_store_dword v4, off, s[0:3], s32 offset:456 ; 4-byte Folded Spill
	buffer_load_dword v4, off, s[0:3], s32 offset:460 ; 4-byte Folded Reload
	s_waitcnt vmcnt(0)
	v_cndmask_b32_e64 v4, 0, v4, s4
	v_cmp_lt_i32_e64 s4, v26, v48
	buffer_store_dword v4, off, s[0:3], s32 offset:460 ; 4-byte Folded Spill
	buffer_load_dword v4, off, s[0:3], s32 offset:448 ; 4-byte Folded Reload
	;; [unrolled: 5-line block ×7, first 2 shown]
	s_waitcnt vmcnt(0)
	v_cndmask_b32_e64 v4, 0, v4, s4
	buffer_store_dword v4, off, s[0:3], s32 offset:452 ; 4-byte Folded Spill
.LBB384_2549:                           ;   in Loop: Header=BB384_2086 Depth=1
	s_or_b32 exec_lo, exec_lo, s17
	flat_load_dwordx2 v[20:21], v[18:19] offset:1792
	v_mov_b32_e32 v5, 0
	v_mov_b32_e32 v4, 0
	s_waitcnt vmcnt(0) lgkmcnt(0)
	v_cmp_ne_u16_sdwa s4, v20, v13 src0_sel:BYTE_0 src1_sel:DWORD
	s_and_saveexec_b32 s17, s4
	s_cbranch_execz .LBB384_2557
; %bb.2550:                             ;   in Loop: Header=BB384_2086 Depth=1
	v_cmp_ne_u16_sdwa s4, v20, v116 src0_sel:BYTE_0 src1_sel:DWORD
	v_bfrev_b32_e32 v4, 1
	s_and_saveexec_b32 s18, s4
	s_cbranch_execz .LBB384_2556
; %bb.2551:                             ;   in Loop: Header=BB384_2086 Depth=1
	v_and_b32_e32 v11, 0x7f, v20
	v_mov_b32_e32 v4, 0x7f800001
	s_mov_b32 s20, exec_lo
	v_cmpx_ne_u32_e32 0x7f, v11
	s_cbranch_execz .LBB384_2555
; %bb.2552:                             ;   in Loop: Header=BB384_2086 Depth=1
	v_mov_b32_e32 v24, v21
	v_lshrrev_b32_e32 v4, 3, v11
	v_mov_b32_e32 v23, v20
	s_mov_b32 s21, exec_lo
	v_cmpx_gt_u32_e32 8, v11
; %bb.2553:                             ;   in Loop: Header=BB384_2086 Depth=1
	v_and_b32_e32 v4, 7, v20
	v_ffbh_u32_e32 v4, v4
	v_min_u32_e32 v4, 32, v4
	v_subrev_nc_u32_e32 v11, 28, v4
	v_sub_nc_u32_e32 v4, 29, v4
	v_lshlrev_b64 v[23:24], v11, v[20:21]
; %bb.2554:                             ;   in Loop: Header=BB384_2086 Depth=1
	s_or_b32 exec_lo, exec_lo, s21
	v_lshlrev_b32_e32 v11, 20, v23
	v_lshlrev_b32_e32 v12, 24, v20
	v_lshl_add_u32 v4, v4, 23, 0x3c000000
	v_and_b32_e32 v11, 0x700000, v11
	v_and_b32_e32 v12, 0x80000000, v12
	v_or3_b32 v4, v11, v12, v4
.LBB384_2555:                           ;   in Loop: Header=BB384_2086 Depth=1
	s_or_b32 exec_lo, exec_lo, s20
.LBB384_2556:                           ;   in Loop: Header=BB384_2086 Depth=1
	s_or_b32 exec_lo, exec_lo, s18
.LBB384_2557:                           ;   in Loop: Header=BB384_2086 Depth=1
	s_or_b32 exec_lo, exec_lo, s17
	v_cmp_ne_u16_sdwa s4, v20, v13 src0_sel:BYTE_1 src1_sel:DWORD
	s_and_saveexec_b32 s17, s4
	s_cbranch_execz .LBB384_2565
; %bb.2558:                             ;   in Loop: Header=BB384_2086 Depth=1
	v_cmp_ne_u16_sdwa s4, v20, v116 src0_sel:BYTE_1 src1_sel:DWORD
	v_bfrev_b32_e32 v5, 1
	s_and_saveexec_b32 s18, s4
	s_cbranch_execz .LBB384_2564
; %bb.2559:                             ;   in Loop: Header=BB384_2086 Depth=1
	v_mov_b32_e32 v5, 0xffff
	s_mov_b32 s20, exec_lo
	v_and_b32_sdwa v12, v5, v20 dst_sel:DWORD dst_unused:UNUSED_PAD src0_sel:DWORD src1_sel:BYTE_1
	v_mov_b32_e32 v5, 0x7f800001
	v_and_b32_e32 v11, 0x7f, v12
	v_cmpx_ne_u32_e32 0x7f, v11
	s_cbranch_execz .LBB384_2563
; %bb.2560:                             ;   in Loop: Header=BB384_2086 Depth=1
	v_and_b32_e32 v12, 7, v12
	v_mov_b32_e32 v24, v13
	v_lshrrev_b32_e32 v5, 3, v11
	s_mov_b32 s21, exec_lo
	v_mov_b32_e32 v23, v12
	v_cmpx_gt_u32_e32 8, v11
; %bb.2561:                             ;   in Loop: Header=BB384_2086 Depth=1
	v_ffbh_u32_e32 v5, v12
	v_min_u32_e32 v5, 32, v5
	v_subrev_nc_u32_e32 v11, 28, v5
	v_sub_nc_u32_e32 v5, 29, v5
	v_lshlrev_b64 v[11:12], v11, v[12:13]
	v_and_b32_e32 v23, 7, v11
; %bb.2562:                             ;   in Loop: Header=BB384_2086 Depth=1
	s_or_b32 exec_lo, exec_lo, s21
	v_lshlrev_b32_e32 v11, 16, v20
	v_lshlrev_b32_e32 v12, 20, v23
	v_lshl_add_u32 v5, v5, 23, 0x3c000000
	v_and_b32_e32 v11, 0x80000000, v11
	v_or3_b32 v5, v12, v11, v5
.LBB384_2563:                           ;   in Loop: Header=BB384_2086 Depth=1
	s_or_b32 exec_lo, exec_lo, s20
.LBB384_2564:                           ;   in Loop: Header=BB384_2086 Depth=1
	s_or_b32 exec_lo, exec_lo, s18
.LBB384_2565:                           ;   in Loop: Header=BB384_2086 Depth=1
	s_or_b32 exec_lo, exec_lo, s17
	v_and_b32_sdwa v12, v20, v118 dst_sel:DWORD dst_unused:UNUSED_PAD src0_sel:WORD_1 src1_sel:DWORD
	v_mov_b32_e32 v16, 0
	v_mov_b32_e32 v11, 0
	s_mov_b32 s17, exec_lo
	v_cmpx_ne_u16_e32 0, v12
	s_cbranch_execz .LBB384_2573
; %bb.2566:                             ;   in Loop: Header=BB384_2086 Depth=1
	v_bfrev_b32_e32 v11, 1
	s_mov_b32 s18, exec_lo
	v_cmpx_ne_u16_e32 0x80, v12
	s_cbranch_execz .LBB384_2572
; %bb.2567:                             ;   in Loop: Header=BB384_2086 Depth=1
	v_bfe_u32 v17, v20, 16, 7
	v_mov_b32_e32 v11, 0x7f800001
	s_mov_b32 s20, exec_lo
	v_cmpx_ne_u32_e32 0x7f, v17
	s_cbranch_execz .LBB384_2571
; %bb.2568:                             ;   in Loop: Header=BB384_2086 Depth=1
	v_mov_b32_e32 v11, 7
	s_mov_b32 s21, exec_lo
	v_and_b32_sdwa v12, v20, v11 dst_sel:DWORD dst_unused:UNUSED_PAD src0_sel:WORD_1 src1_sel:DWORD
	v_mov_b32_e32 v24, v13
	v_lshrrev_b32_e32 v11, 3, v17
	v_mov_b32_e32 v23, v12
	v_cmpx_gt_u32_e32 8, v17
; %bb.2569:                             ;   in Loop: Header=BB384_2086 Depth=1
	v_ffbh_u32_e32 v11, v12
	v_min_u32_e32 v11, 32, v11
	v_subrev_nc_u32_e32 v17, 28, v11
	v_sub_nc_u32_e32 v11, 29, v11
	v_lshlrev_b64 v[22:23], v17, v[12:13]
	v_and_b32_e32 v23, 7, v22
; %bb.2570:                             ;   in Loop: Header=BB384_2086 Depth=1
	s_or_b32 exec_lo, exec_lo, s21
	v_mov_b32_e32 v12, 24
	v_lshlrev_b32_e32 v17, 20, v23
	v_lshl_add_u32 v11, v11, 23, 0x3c000000
	v_lshlrev_b32_sdwa v12, v12, v20 dst_sel:DWORD dst_unused:UNUSED_PAD src0_sel:DWORD src1_sel:WORD_1
	v_and_b32_e32 v12, 0x80000000, v12
	v_or3_b32 v11, v17, v12, v11
.LBB384_2571:                           ;   in Loop: Header=BB384_2086 Depth=1
	s_or_b32 exec_lo, exec_lo, s20
.LBB384_2572:                           ;   in Loop: Header=BB384_2086 Depth=1
	s_or_b32 exec_lo, exec_lo, s18
.LBB384_2573:                           ;   in Loop: Header=BB384_2086 Depth=1
	s_or_b32 exec_lo, exec_lo, s17
	s_mov_b32 s17, exec_lo
	v_cmpx_lt_u32_e32 0xffffff, v20
	s_cbranch_execz .LBB384_2581
; %bb.2574:                             ;   in Loop: Header=BB384_2086 Depth=1
	v_cmp_ne_u32_sdwa s4, v20, v116 src0_sel:BYTE_3 src1_sel:DWORD
	v_bfrev_b32_e32 v16, 1
	s_and_saveexec_b32 s18, s4
	s_cbranch_execz .LBB384_2580
; %bb.2575:                             ;   in Loop: Header=BB384_2086 Depth=1
	v_bfe_u32 v17, v20, 24, 7
	v_mov_b32_e32 v16, 0x7f800001
	s_mov_b32 s20, exec_lo
	v_cmpx_ne_u32_e32 0x7f, v17
	s_cbranch_execz .LBB384_2579
; %bb.2576:                             ;   in Loop: Header=BB384_2086 Depth=1
	v_mov_b32_e32 v12, 7
	v_lshrrev_b32_e32 v16, 3, v17
	s_mov_b32 s21, exec_lo
	v_and_b32_sdwa v12, v20, v12 dst_sel:DWORD dst_unused:UNUSED_PAD src0_sel:BYTE_3 src1_sel:DWORD
	v_mov_b32_e32 v24, v13
	v_mov_b32_e32 v23, v12
	v_cmpx_gt_u32_e32 8, v17
; %bb.2577:                             ;   in Loop: Header=BB384_2086 Depth=1
	v_ffbh_u32_e32 v16, v12
	v_min_u32_e32 v16, 32, v16
	v_subrev_nc_u32_e32 v17, 28, v16
	v_sub_nc_u32_e32 v16, 29, v16
	v_lshlrev_b64 v[22:23], v17, v[12:13]
	v_and_b32_e32 v23, 7, v22
; %bb.2578:                             ;   in Loop: Header=BB384_2086 Depth=1
	s_or_b32 exec_lo, exec_lo, s21
	v_mov_b32_e32 v12, 24
	v_lshlrev_b32_e32 v17, 20, v23
	v_lshl_add_u32 v16, v16, 23, 0x3c000000
	v_lshlrev_b32_sdwa v12, v12, v20 dst_sel:DWORD dst_unused:UNUSED_PAD src0_sel:DWORD src1_sel:BYTE_3
	v_and_b32_e32 v12, 0x80000000, v12
	v_or3_b32 v16, v17, v12, v16
.LBB384_2579:                           ;   in Loop: Header=BB384_2086 Depth=1
	s_or_b32 exec_lo, exec_lo, s20
.LBB384_2580:                           ;   in Loop: Header=BB384_2086 Depth=1
	s_or_b32 exec_lo, exec_lo, s18
.LBB384_2581:                           ;   in Loop: Header=BB384_2086 Depth=1
	s_or_b32 exec_lo, exec_lo, s17
	v_mov_b32_e32 v12, v21
	v_cmp_ne_u16_sdwa s4, v21, v13 src0_sel:BYTE_0 src1_sel:DWORD
	v_mov_b32_e32 v28, 0
	v_mov_b32_e32 v25, 0
	s_and_saveexec_b32 s17, s4
	s_cbranch_execz .LBB384_2589
; %bb.2582:                             ;   in Loop: Header=BB384_2086 Depth=1
	v_cmp_ne_u16_sdwa s4, v21, v116 src0_sel:BYTE_0 src1_sel:DWORD
	v_bfrev_b32_e32 v25, 1
	s_and_saveexec_b32 s18, s4
	s_cbranch_execz .LBB384_2588
; %bb.2583:                             ;   in Loop: Header=BB384_2086 Depth=1
	v_and_b32_e32 v22, 0x7f, v21
	v_mov_b32_e32 v25, 0x7f800001
	s_mov_b32 s20, exec_lo
	v_cmpx_ne_u32_e32 0x7f, v22
	s_cbranch_execz .LBB384_2587
; %bb.2584:                             ;   in Loop: Header=BB384_2086 Depth=1
	v_mov_b32_e32 v24, v13
	v_lshrrev_b32_e32 v17, 3, v22
	v_mov_b32_e32 v23, v12
	s_mov_b32 s21, exec_lo
	v_cmpx_gt_u32_e32 8, v22
; %bb.2585:                             ;   in Loop: Header=BB384_2086 Depth=1
	v_and_b32_e32 v17, 7, v21
	v_ffbh_u32_e32 v17, v17
	v_min_u32_e32 v17, 32, v17
	v_subrev_nc_u32_e32 v22, 28, v17
	v_sub_nc_u32_e32 v17, 29, v17
	v_lshlrev_b64 v[23:24], v22, v[12:13]
; %bb.2586:                             ;   in Loop: Header=BB384_2086 Depth=1
	s_or_b32 exec_lo, exec_lo, s21
	v_lshlrev_b32_e32 v22, 20, v23
	v_lshlrev_b32_e32 v23, 24, v12
	v_lshl_add_u32 v17, v17, 23, 0x3c000000
	v_and_b32_e32 v22, 0x700000, v22
	v_and_b32_e32 v23, 0x80000000, v23
	v_or3_b32 v25, v22, v23, v17
.LBB384_2587:                           ;   in Loop: Header=BB384_2086 Depth=1
	s_or_b32 exec_lo, exec_lo, s20
.LBB384_2588:                           ;   in Loop: Header=BB384_2086 Depth=1
	s_or_b32 exec_lo, exec_lo, s18
.LBB384_2589:                           ;   in Loop: Header=BB384_2086 Depth=1
	s_or_b32 exec_lo, exec_lo, s17
	v_cmp_ne_u16_sdwa s4, v12, v13 src0_sel:BYTE_1 src1_sel:DWORD
	s_and_saveexec_b32 s17, s4
	s_cbranch_execz .LBB384_2597
; %bb.2590:                             ;   in Loop: Header=BB384_2086 Depth=1
	v_cmp_ne_u16_sdwa s4, v12, v116 src0_sel:BYTE_1 src1_sel:DWORD
	v_bfrev_b32_e32 v28, 1
	s_and_saveexec_b32 s18, s4
	s_cbranch_execz .LBB384_2596
; %bb.2591:                             ;   in Loop: Header=BB384_2086 Depth=1
	v_mov_b32_e32 v17, 0xffff
	v_mov_b32_e32 v28, 0x7f800001
	s_mov_b32 s20, exec_lo
	v_and_b32_sdwa v17, v17, v12 dst_sel:DWORD dst_unused:UNUSED_PAD src0_sel:DWORD src1_sel:BYTE_1
	v_and_b32_e32 v22, 0x7f, v17
	v_cmpx_ne_u32_e32 0x7f, v22
	s_cbranch_execz .LBB384_2595
; %bb.2592:                             ;   in Loop: Header=BB384_2086 Depth=1
	v_and_b32_e32 v23, 7, v17
	v_mov_b32_e32 v24, v13
	v_lshrrev_b32_e32 v17, 3, v22
	s_mov_b32 s21, exec_lo
	v_cmpx_gt_u32_e32 8, v22
; %bb.2593:                             ;   in Loop: Header=BB384_2086 Depth=1
	v_ffbh_u32_e32 v17, v23
	v_min_u32_e32 v17, 32, v17
	v_subrev_nc_u32_e32 v22, 28, v17
	v_sub_nc_u32_e32 v17, 29, v17
	v_lshlrev_b64 v[22:23], v22, v[23:24]
	v_and_b32_e32 v23, 7, v22
; %bb.2594:                             ;   in Loop: Header=BB384_2086 Depth=1
	s_or_b32 exec_lo, exec_lo, s21
	v_lshlrev_b32_e32 v12, 16, v12
	v_lshlrev_b32_e32 v22, 20, v23
	v_lshl_add_u32 v17, v17, 23, 0x3c000000
	v_and_b32_e32 v12, 0x80000000, v12
	v_or3_b32 v28, v22, v12, v17
.LBB384_2595:                           ;   in Loop: Header=BB384_2086 Depth=1
	s_or_b32 exec_lo, exec_lo, s20
.LBB384_2596:                           ;   in Loop: Header=BB384_2086 Depth=1
	s_or_b32 exec_lo, exec_lo, s18
.LBB384_2597:                           ;   in Loop: Header=BB384_2086 Depth=1
	s_or_b32 exec_lo, exec_lo, s17
	v_and_b32_sdwa v12, v21, v118 dst_sel:DWORD dst_unused:UNUSED_PAD src0_sel:WORD_1 src1_sel:DWORD
	v_mov_b32_e32 v17, 0
	v_mov_b32_e32 v22, 0
	s_mov_b32 s17, exec_lo
	v_cmpx_ne_u16_e32 0, v12
	s_cbranch_execz .LBB384_2605
; %bb.2598:                             ;   in Loop: Header=BB384_2086 Depth=1
	v_bfrev_b32_e32 v22, 1
	s_mov_b32 s18, exec_lo
	v_cmpx_ne_u16_e32 0x80, v12
	s_cbranch_execz .LBB384_2604
; %bb.2599:                             ;   in Loop: Header=BB384_2086 Depth=1
	v_bfe_u32 v23, v21, 16, 7
	v_mov_b32_e32 v22, 0x7f800001
	s_mov_b32 s20, exec_lo
	v_cmpx_ne_u32_e32 0x7f, v23
	s_cbranch_execz .LBB384_2603
; %bb.2600:                             ;   in Loop: Header=BB384_2086 Depth=1
	v_mov_b32_e32 v12, 7
	v_lshrrev_b32_e32 v22, 3, v23
	v_cmp_gt_u32_e64 s4, 8, v23
	v_and_b32_sdwa v12, v21, v12 dst_sel:DWORD dst_unused:UNUSED_PAD src0_sel:WORD_1 src1_sel:DWORD
	v_mov_b32_e32 v24, v13
	v_mov_b32_e32 v23, v12
	s_and_saveexec_b32 s21, s4
; %bb.2601:                             ;   in Loop: Header=BB384_2086 Depth=1
	v_ffbh_u32_e32 v22, v12
	v_min_u32_e32 v22, 32, v22
	v_subrev_nc_u32_e32 v23, 28, v22
	v_sub_nc_u32_e32 v22, 29, v22
	v_lshlrev_b64 v[23:24], v23, v[12:13]
	v_and_b32_e32 v23, 7, v23
; %bb.2602:                             ;   in Loop: Header=BB384_2086 Depth=1
	s_or_b32 exec_lo, exec_lo, s21
	v_mov_b32_e32 v12, 24
	v_lshlrev_b32_e32 v23, 20, v23
	v_lshl_add_u32 v22, v22, 23, 0x3c000000
	v_lshlrev_b32_sdwa v12, v12, v21 dst_sel:DWORD dst_unused:UNUSED_PAD src0_sel:DWORD src1_sel:WORD_1
	v_and_b32_e32 v12, 0x80000000, v12
	v_or3_b32 v22, v23, v12, v22
.LBB384_2603:                           ;   in Loop: Header=BB384_2086 Depth=1
	s_or_b32 exec_lo, exec_lo, s20
.LBB384_2604:                           ;   in Loop: Header=BB384_2086 Depth=1
	s_or_b32 exec_lo, exec_lo, s18
.LBB384_2605:                           ;   in Loop: Header=BB384_2086 Depth=1
	s_or_b32 exec_lo, exec_lo, s17
	s_mov_b32 s17, exec_lo
	v_cmpx_lt_u64_e64 s[12:13], v[20:21]
	s_cbranch_execz .LBB384_2613
; %bb.2606:                             ;   in Loop: Header=BB384_2086 Depth=1
	v_cmp_ne_u32_sdwa s4, v21, v116 src0_sel:BYTE_3 src1_sel:DWORD
	v_bfrev_b32_e32 v17, 1
	s_and_saveexec_b32 s18, s4
	s_cbranch_execz .LBB384_2612
; %bb.2607:                             ;   in Loop: Header=BB384_2086 Depth=1
	v_bfe_u32 v20, v21, 24, 7
	v_mov_b32_e32 v17, 0x7f800001
	s_mov_b32 s20, exec_lo
	v_cmpx_ne_u32_e32 0x7f, v20
	s_cbranch_execz .LBB384_2611
; %bb.2608:                             ;   in Loop: Header=BB384_2086 Depth=1
	v_mov_b32_e32 v12, 7
	v_lshrrev_b32_e32 v17, 3, v20
	s_mov_b32 s21, exec_lo
	v_and_b32_sdwa v12, v21, v12 dst_sel:DWORD dst_unused:UNUSED_PAD src0_sel:BYTE_3 src1_sel:DWORD
	v_mov_b32_e32 v24, v13
	v_mov_b32_e32 v23, v12
	v_cmpx_gt_u32_e32 8, v20
; %bb.2609:                             ;   in Loop: Header=BB384_2086 Depth=1
	v_ffbh_u32_e32 v17, v12
	v_min_u32_e32 v17, 32, v17
	v_subrev_nc_u32_e32 v20, 28, v17
	v_sub_nc_u32_e32 v17, 29, v17
	v_lshlrev_b64 v[23:24], v20, v[12:13]
	v_and_b32_e32 v23, 7, v23
; %bb.2610:                             ;   in Loop: Header=BB384_2086 Depth=1
	s_or_b32 exec_lo, exec_lo, s21
	v_mov_b32_e32 v12, 24
	v_lshlrev_b32_e32 v20, 20, v23
	v_lshl_add_u32 v17, v17, 23, 0x3c000000
	v_lshlrev_b32_sdwa v12, v12, v21 dst_sel:DWORD dst_unused:UNUSED_PAD src0_sel:DWORD src1_sel:BYTE_3
	v_and_b32_e32 v12, 0x80000000, v12
	v_or3_b32 v17, v20, v12, v17
.LBB384_2611:                           ;   in Loop: Header=BB384_2086 Depth=1
	s_or_b32 exec_lo, exec_lo, s20
.LBB384_2612:                           ;   in Loop: Header=BB384_2086 Depth=1
	s_or_b32 exec_lo, exec_lo, s18
.LBB384_2613:                           ;   in Loop: Header=BB384_2086 Depth=1
	s_or_b32 exec_lo, exec_lo, s17
	v_mul_f32_e32 v12, v115, v28
	v_mul_f32_e32 v11, v115, v11
	v_mul_f32_e32 v5, v115, v5
	v_mul_f32_e32 v4, v115, v4
	v_bfe_u32 v20, v12, 16, 1
	v_or_b32_e32 v21, 0x400000, v12
	v_cmp_u_f32_e64 s4, v12, v12
	v_add3_u32 v20, v20, v12, 0x7fff
	v_cndmask_b32_e64 v12, v20, v21, s4
	v_lshrrev_b32_e32 v12, 16, v12
	buffer_store_dword v12, off, s[0:3], s32 offset:468 ; 4-byte Folded Spill
	v_mul_f32_e32 v12, v115, v25
	v_bfe_u32 v20, v12, 16, 1
	v_or_b32_e32 v21, 0x400000, v12
	v_cmp_u_f32_e64 s4, v12, v12
	v_add3_u32 v20, v20, v12, 0x7fff
	v_cndmask_b32_e64 v12, v20, v21, s4
	v_lshrrev_b32_e32 v12, 16, v12
	buffer_store_dword v12, off, s[0:3], s32 offset:464 ; 4-byte Folded Spill
	v_mul_f32_e32 v12, v115, v16
	v_bfe_u32 v16, v12, 16, 1
	v_or_b32_e32 v20, 0x400000, v12
	v_cmp_u_f32_e64 s4, v12, v12
	v_add3_u32 v16, v16, v12, 0x7fff
	v_cndmask_b32_e64 v12, v16, v20, s4
	v_or_b32_e32 v16, 0x400000, v11
	v_cmp_u_f32_e64 s4, v11, v11
	v_lshrrev_b32_e32 v12, 16, v12
	buffer_store_dword v12, off, s[0:3], s32 offset:480 ; 4-byte Folded Spill
	v_bfe_u32 v12, v11, 16, 1
	v_add3_u32 v12, v12, v11, 0x7fff
	v_cndmask_b32_e64 v11, v12, v16, s4
	v_or_b32_e32 v12, 0x400000, v5
	v_cmp_u_f32_e64 s4, v5, v5
	v_lshrrev_b32_e32 v11, 16, v11
	buffer_store_dword v11, off, s[0:3], s32 offset:476 ; 4-byte Folded Spill
	v_bfe_u32 v11, v5, 16, 1
	;; [unrolled: 7-line block ×3, first 2 shown]
	v_add3_u32 v5, v5, v4, 0x7fff
	v_cndmask_b32_e64 v4, v5, v11, s4
	v_lshrrev_b32_e32 v4, 16, v4
	buffer_store_dword v4, off, s[0:3], s32 offset:488 ; 4-byte Folded Spill
	v_mul_f32_e32 v4, v115, v22
	v_bfe_u32 v5, v4, 16, 1
	v_or_b32_e32 v11, 0x400000, v4
	v_cmp_u_f32_e64 s4, v4, v4
	v_add3_u32 v5, v5, v4, 0x7fff
	v_cndmask_b32_e64 v4, v5, v11, s4
	v_lshrrev_b32_e32 v4, 16, v4
	buffer_store_dword v4, off, s[0:3], s32 offset:472 ; 4-byte Folded Spill
	v_mul_f32_e32 v4, v115, v17
	v_bfe_u32 v5, v4, 16, 1
	v_or_b32_e32 v11, 0x400000, v4
	v_cmp_u_f32_e64 s4, v4, v4
	v_add3_u32 v5, v5, v4, 0x7fff
	v_cndmask_b32_e64 v4, v5, v11, s4
	v_lshrrev_b32_e32 v4, 16, v4
	buffer_store_dword v4, off, s[0:3], s32 offset:484 ; 4-byte Folded Spill
	s_and_saveexec_b32 s17, vcc_lo
	s_cbranch_execz .LBB384_2615
; %bb.2614:                             ;   in Loop: Header=BB384_2086 Depth=1
	buffer_load_dword v4, off, s[0:3], s32 offset:488 ; 4-byte Folded Reload
	v_cmp_lt_i32_e64 s4, v114, v48
	s_waitcnt vmcnt(0)
	v_cndmask_b32_e64 v4, 0, v4, s4
	v_cmp_lt_i32_e64 s4, v10, v48
	buffer_store_dword v4, off, s[0:3], s32 offset:488 ; 4-byte Folded Spill
	buffer_load_dword v4, off, s[0:3], s32 offset:492 ; 4-byte Folded Reload
	s_waitcnt vmcnt(0)
	v_cndmask_b32_e64 v4, 0, v4, s4
	v_cmp_lt_i32_e64 s4, v26, v48
	buffer_store_dword v4, off, s[0:3], s32 offset:492 ; 4-byte Folded Spill
	buffer_load_dword v4, off, s[0:3], s32 offset:476 ; 4-byte Folded Reload
	;; [unrolled: 5-line block ×7, first 2 shown]
	s_waitcnt vmcnt(0)
	v_cndmask_b32_e64 v4, 0, v4, s4
	buffer_store_dword v4, off, s[0:3], s32 offset:484 ; 4-byte Folded Spill
.LBB384_2615:                           ;   in Loop: Header=BB384_2086 Depth=1
	s_or_b32 exec_lo, exec_lo, s17
	v_add_co_u32 v20, s4, 0x800, v18
	v_add_co_ci_u32_e64 v21, null, 0, v19, s4
	v_mov_b32_e32 v5, 0
	v_mov_b32_e32 v4, 0
	flat_load_dwordx2 v[23:24], v[20:21]
	s_waitcnt vmcnt(0) lgkmcnt(0)
	v_cmp_ne_u16_sdwa s4, v23, v13 src0_sel:BYTE_0 src1_sel:DWORD
	s_and_saveexec_b32 s17, s4
	s_cbranch_execz .LBB384_2623
; %bb.2616:                             ;   in Loop: Header=BB384_2086 Depth=1
	v_cmp_ne_u16_sdwa s4, v23, v116 src0_sel:BYTE_0 src1_sel:DWORD
	v_bfrev_b32_e32 v4, 1
	s_and_saveexec_b32 s18, s4
	s_cbranch_execz .LBB384_2622
; %bb.2617:                             ;   in Loop: Header=BB384_2086 Depth=1
	v_and_b32_e32 v11, 0x7f, v23
	v_mov_b32_e32 v4, 0x7f800001
	s_mov_b32 s20, exec_lo
	v_cmpx_ne_u32_e32 0x7f, v11
	s_cbranch_execz .LBB384_2621
; %bb.2618:                             ;   in Loop: Header=BB384_2086 Depth=1
	v_mov_b32_e32 v29, v24
	v_lshrrev_b32_e32 v4, 3, v11
	v_mov_b32_e32 v28, v23
	s_mov_b32 s21, exec_lo
	v_cmpx_gt_u32_e32 8, v11
; %bb.2619:                             ;   in Loop: Header=BB384_2086 Depth=1
	v_and_b32_e32 v4, 7, v23
	v_ffbh_u32_e32 v4, v4
	v_min_u32_e32 v4, 32, v4
	v_subrev_nc_u32_e32 v11, 28, v4
	v_sub_nc_u32_e32 v4, 29, v4
	v_lshlrev_b64 v[28:29], v11, v[23:24]
; %bb.2620:                             ;   in Loop: Header=BB384_2086 Depth=1
	s_or_b32 exec_lo, exec_lo, s21
	v_lshlrev_b32_e32 v11, 20, v28
	v_lshlrev_b32_e32 v12, 24, v23
	v_lshl_add_u32 v4, v4, 23, 0x3c000000
	v_and_b32_e32 v11, 0x700000, v11
	v_and_b32_e32 v12, 0x80000000, v12
	v_or3_b32 v4, v11, v12, v4
.LBB384_2621:                           ;   in Loop: Header=BB384_2086 Depth=1
	s_or_b32 exec_lo, exec_lo, s20
.LBB384_2622:                           ;   in Loop: Header=BB384_2086 Depth=1
	s_or_b32 exec_lo, exec_lo, s18
.LBB384_2623:                           ;   in Loop: Header=BB384_2086 Depth=1
	s_or_b32 exec_lo, exec_lo, s17
	v_cmp_ne_u16_sdwa s4, v23, v13 src0_sel:BYTE_1 src1_sel:DWORD
	s_and_saveexec_b32 s17, s4
	s_cbranch_execz .LBB384_2631
; %bb.2624:                             ;   in Loop: Header=BB384_2086 Depth=1
	v_cmp_ne_u16_sdwa s4, v23, v116 src0_sel:BYTE_1 src1_sel:DWORD
	v_bfrev_b32_e32 v5, 1
	s_and_saveexec_b32 s18, s4
	s_cbranch_execz .LBB384_2630
; %bb.2625:                             ;   in Loop: Header=BB384_2086 Depth=1
	v_mov_b32_e32 v5, 0xffff
	s_mov_b32 s20, exec_lo
	v_and_b32_sdwa v12, v5, v23 dst_sel:DWORD dst_unused:UNUSED_PAD src0_sel:DWORD src1_sel:BYTE_1
	v_mov_b32_e32 v5, 0x7f800001
	v_and_b32_e32 v11, 0x7f, v12
	v_cmpx_ne_u32_e32 0x7f, v11
	s_cbranch_execz .LBB384_2629
; %bb.2626:                             ;   in Loop: Header=BB384_2086 Depth=1
	v_and_b32_e32 v12, 7, v12
	v_mov_b32_e32 v29, v13
	v_lshrrev_b32_e32 v5, 3, v11
	s_mov_b32 s21, exec_lo
	v_mov_b32_e32 v28, v12
	v_cmpx_gt_u32_e32 8, v11
; %bb.2627:                             ;   in Loop: Header=BB384_2086 Depth=1
	v_ffbh_u32_e32 v5, v12
	v_min_u32_e32 v5, 32, v5
	v_subrev_nc_u32_e32 v11, 28, v5
	v_sub_nc_u32_e32 v5, 29, v5
	v_lshlrev_b64 v[11:12], v11, v[12:13]
	v_and_b32_e32 v28, 7, v11
; %bb.2628:                             ;   in Loop: Header=BB384_2086 Depth=1
	s_or_b32 exec_lo, exec_lo, s21
	v_lshlrev_b32_e32 v11, 16, v23
	v_lshlrev_b32_e32 v12, 20, v28
	v_lshl_add_u32 v5, v5, 23, 0x3c000000
	v_and_b32_e32 v11, 0x80000000, v11
	v_or3_b32 v5, v12, v11, v5
.LBB384_2629:                           ;   in Loop: Header=BB384_2086 Depth=1
	s_or_b32 exec_lo, exec_lo, s20
.LBB384_2630:                           ;   in Loop: Header=BB384_2086 Depth=1
	s_or_b32 exec_lo, exec_lo, s18
.LBB384_2631:                           ;   in Loop: Header=BB384_2086 Depth=1
	s_or_b32 exec_lo, exec_lo, s17
	v_and_b32_sdwa v12, v23, v118 dst_sel:DWORD dst_unused:UNUSED_PAD src0_sel:WORD_1 src1_sel:DWORD
	v_mov_b32_e32 v16, 0
	v_mov_b32_e32 v11, 0
	s_mov_b32 s17, exec_lo
	v_cmpx_ne_u16_e32 0, v12
	s_cbranch_execz .LBB384_2639
; %bb.2632:                             ;   in Loop: Header=BB384_2086 Depth=1
	v_bfrev_b32_e32 v11, 1
	s_mov_b32 s18, exec_lo
	v_cmpx_ne_u16_e32 0x80, v12
	s_cbranch_execz .LBB384_2638
; %bb.2633:                             ;   in Loop: Header=BB384_2086 Depth=1
	v_bfe_u32 v17, v23, 16, 7
	v_mov_b32_e32 v11, 0x7f800001
	s_mov_b32 s20, exec_lo
	v_cmpx_ne_u32_e32 0x7f, v17
	s_cbranch_execz .LBB384_2637
; %bb.2634:                             ;   in Loop: Header=BB384_2086 Depth=1
	v_mov_b32_e32 v11, 7
	s_mov_b32 s21, exec_lo
	v_and_b32_sdwa v12, v23, v11 dst_sel:DWORD dst_unused:UNUSED_PAD src0_sel:WORD_1 src1_sel:DWORD
	v_mov_b32_e32 v29, v13
	v_lshrrev_b32_e32 v11, 3, v17
	v_mov_b32_e32 v28, v12
	v_cmpx_gt_u32_e32 8, v17
; %bb.2635:                             ;   in Loop: Header=BB384_2086 Depth=1
	v_ffbh_u32_e32 v11, v12
	v_min_u32_e32 v11, 32, v11
	v_subrev_nc_u32_e32 v17, 28, v11
	v_sub_nc_u32_e32 v11, 29, v11
	v_lshlrev_b64 v[28:29], v17, v[12:13]
	v_and_b32_e32 v28, 7, v28
; %bb.2636:                             ;   in Loop: Header=BB384_2086 Depth=1
	s_or_b32 exec_lo, exec_lo, s21
	v_mov_b32_e32 v12, 24
	v_lshlrev_b32_e32 v17, 20, v28
	v_lshl_add_u32 v11, v11, 23, 0x3c000000
	v_lshlrev_b32_sdwa v12, v12, v23 dst_sel:DWORD dst_unused:UNUSED_PAD src0_sel:DWORD src1_sel:WORD_1
	v_and_b32_e32 v12, 0x80000000, v12
	v_or3_b32 v11, v17, v12, v11
.LBB384_2637:                           ;   in Loop: Header=BB384_2086 Depth=1
	s_or_b32 exec_lo, exec_lo, s20
.LBB384_2638:                           ;   in Loop: Header=BB384_2086 Depth=1
	s_or_b32 exec_lo, exec_lo, s18
.LBB384_2639:                           ;   in Loop: Header=BB384_2086 Depth=1
	s_or_b32 exec_lo, exec_lo, s17
	s_mov_b32 s17, exec_lo
	v_cmpx_lt_u32_e32 0xffffff, v23
	s_cbranch_execz .LBB384_2647
; %bb.2640:                             ;   in Loop: Header=BB384_2086 Depth=1
	v_cmp_ne_u32_sdwa s4, v23, v116 src0_sel:BYTE_3 src1_sel:DWORD
	v_bfrev_b32_e32 v16, 1
	s_and_saveexec_b32 s18, s4
	s_cbranch_execz .LBB384_2646
; %bb.2641:                             ;   in Loop: Header=BB384_2086 Depth=1
	v_bfe_u32 v17, v23, 24, 7
	v_mov_b32_e32 v16, 0x7f800001
	s_mov_b32 s20, exec_lo
	v_cmpx_ne_u32_e32 0x7f, v17
	s_cbranch_execz .LBB384_2645
; %bb.2642:                             ;   in Loop: Header=BB384_2086 Depth=1
	v_mov_b32_e32 v12, 7
	v_lshrrev_b32_e32 v16, 3, v17
	s_mov_b32 s21, exec_lo
	v_and_b32_sdwa v12, v23, v12 dst_sel:DWORD dst_unused:UNUSED_PAD src0_sel:BYTE_3 src1_sel:DWORD
	v_mov_b32_e32 v29, v13
	v_mov_b32_e32 v28, v12
	v_cmpx_gt_u32_e32 8, v17
; %bb.2643:                             ;   in Loop: Header=BB384_2086 Depth=1
	v_ffbh_u32_e32 v16, v12
	v_min_u32_e32 v16, 32, v16
	v_subrev_nc_u32_e32 v17, 28, v16
	v_sub_nc_u32_e32 v16, 29, v16
	v_lshlrev_b64 v[28:29], v17, v[12:13]
	v_and_b32_e32 v28, 7, v28
; %bb.2644:                             ;   in Loop: Header=BB384_2086 Depth=1
	s_or_b32 exec_lo, exec_lo, s21
	v_mov_b32_e32 v12, 24
	v_lshlrev_b32_e32 v17, 20, v28
	v_lshl_add_u32 v16, v16, 23, 0x3c000000
	v_lshlrev_b32_sdwa v12, v12, v23 dst_sel:DWORD dst_unused:UNUSED_PAD src0_sel:DWORD src1_sel:BYTE_3
	v_and_b32_e32 v12, 0x80000000, v12
	v_or3_b32 v16, v17, v12, v16
.LBB384_2645:                           ;   in Loop: Header=BB384_2086 Depth=1
	s_or_b32 exec_lo, exec_lo, s20
.LBB384_2646:                           ;   in Loop: Header=BB384_2086 Depth=1
	s_or_b32 exec_lo, exec_lo, s18
.LBB384_2647:                           ;   in Loop: Header=BB384_2086 Depth=1
	s_or_b32 exec_lo, exec_lo, s17
	v_mov_b32_e32 v12, v24
	v_cmp_ne_u16_sdwa s4, v24, v13 src0_sel:BYTE_0 src1_sel:DWORD
	v_mov_b32_e32 v31, 0
	v_mov_b32_e32 v25, 0
	s_and_saveexec_b32 s17, s4
	s_cbranch_execz .LBB384_2655
; %bb.2648:                             ;   in Loop: Header=BB384_2086 Depth=1
	v_cmp_ne_u16_sdwa s4, v24, v116 src0_sel:BYTE_0 src1_sel:DWORD
	v_bfrev_b32_e32 v25, 1
	s_and_saveexec_b32 s18, s4
	s_cbranch_execz .LBB384_2654
; %bb.2649:                             ;   in Loop: Header=BB384_2086 Depth=1
	v_and_b32_e32 v22, 0x7f, v24
	v_mov_b32_e32 v25, 0x7f800001
	s_mov_b32 s20, exec_lo
	v_cmpx_ne_u32_e32 0x7f, v22
	s_cbranch_execz .LBB384_2653
; %bb.2650:                             ;   in Loop: Header=BB384_2086 Depth=1
	v_mov_b32_e32 v29, v13
	v_lshrrev_b32_e32 v17, 3, v22
	v_mov_b32_e32 v28, v12
	s_mov_b32 s21, exec_lo
	v_cmpx_gt_u32_e32 8, v22
; %bb.2651:                             ;   in Loop: Header=BB384_2086 Depth=1
	v_and_b32_e32 v17, 7, v24
	v_ffbh_u32_e32 v17, v17
	v_min_u32_e32 v17, 32, v17
	v_subrev_nc_u32_e32 v22, 28, v17
	v_sub_nc_u32_e32 v17, 29, v17
	v_lshlrev_b64 v[28:29], v22, v[12:13]
; %bb.2652:                             ;   in Loop: Header=BB384_2086 Depth=1
	s_or_b32 exec_lo, exec_lo, s21
	v_lshlrev_b32_e32 v22, 20, v28
	v_lshlrev_b32_e32 v25, 24, v12
	v_lshl_add_u32 v17, v17, 23, 0x3c000000
	v_and_b32_e32 v22, 0x700000, v22
	v_and_b32_e32 v25, 0x80000000, v25
	v_or3_b32 v25, v22, v25, v17
.LBB384_2653:                           ;   in Loop: Header=BB384_2086 Depth=1
	s_or_b32 exec_lo, exec_lo, s20
.LBB384_2654:                           ;   in Loop: Header=BB384_2086 Depth=1
	s_or_b32 exec_lo, exec_lo, s18
.LBB384_2655:                           ;   in Loop: Header=BB384_2086 Depth=1
	s_or_b32 exec_lo, exec_lo, s17
	v_cmp_ne_u16_sdwa s4, v12, v13 src0_sel:BYTE_1 src1_sel:DWORD
	s_and_saveexec_b32 s17, s4
	s_cbranch_execz .LBB384_2663
; %bb.2656:                             ;   in Loop: Header=BB384_2086 Depth=1
	v_cmp_ne_u16_sdwa s4, v12, v116 src0_sel:BYTE_1 src1_sel:DWORD
	v_bfrev_b32_e32 v31, 1
	s_and_saveexec_b32 s18, s4
	s_cbranch_execz .LBB384_2662
; %bb.2657:                             ;   in Loop: Header=BB384_2086 Depth=1
	v_mov_b32_e32 v17, 0xffff
	v_mov_b32_e32 v31, 0x7f800001
	s_mov_b32 s20, exec_lo
	v_and_b32_sdwa v17, v17, v12 dst_sel:DWORD dst_unused:UNUSED_PAD src0_sel:DWORD src1_sel:BYTE_1
	v_and_b32_e32 v22, 0x7f, v17
	v_cmpx_ne_u32_e32 0x7f, v22
	s_cbranch_execz .LBB384_2661
; %bb.2658:                             ;   in Loop: Header=BB384_2086 Depth=1
	v_and_b32_e32 v28, 7, v17
	v_mov_b32_e32 v29, v13
	v_lshrrev_b32_e32 v17, 3, v22
	s_mov_b32 s21, exec_lo
	v_cmpx_gt_u32_e32 8, v22
; %bb.2659:                             ;   in Loop: Header=BB384_2086 Depth=1
	v_ffbh_u32_e32 v17, v28
	v_min_u32_e32 v17, 32, v17
	v_subrev_nc_u32_e32 v22, 28, v17
	v_sub_nc_u32_e32 v17, 29, v17
	v_lshlrev_b64 v[28:29], v22, v[28:29]
	v_and_b32_e32 v28, 7, v28
; %bb.2660:                             ;   in Loop: Header=BB384_2086 Depth=1
	s_or_b32 exec_lo, exec_lo, s21
	v_lshlrev_b32_e32 v12, 16, v12
	v_lshlrev_b32_e32 v22, 20, v28
	v_lshl_add_u32 v17, v17, 23, 0x3c000000
	v_and_b32_e32 v12, 0x80000000, v12
	v_or3_b32 v31, v22, v12, v17
.LBB384_2661:                           ;   in Loop: Header=BB384_2086 Depth=1
	s_or_b32 exec_lo, exec_lo, s20
.LBB384_2662:                           ;   in Loop: Header=BB384_2086 Depth=1
	s_or_b32 exec_lo, exec_lo, s18
.LBB384_2663:                           ;   in Loop: Header=BB384_2086 Depth=1
	s_or_b32 exec_lo, exec_lo, s17
	v_and_b32_sdwa v12, v24, v118 dst_sel:DWORD dst_unused:UNUSED_PAD src0_sel:WORD_1 src1_sel:DWORD
	v_mov_b32_e32 v17, 0
	v_mov_b32_e32 v22, 0
	s_mov_b32 s17, exec_lo
	v_cmpx_ne_u16_e32 0, v12
	s_cbranch_execz .LBB384_2671
; %bb.2664:                             ;   in Loop: Header=BB384_2086 Depth=1
	v_bfrev_b32_e32 v22, 1
	s_mov_b32 s18, exec_lo
	v_cmpx_ne_u16_e32 0x80, v12
	s_cbranch_execz .LBB384_2670
; %bb.2665:                             ;   in Loop: Header=BB384_2086 Depth=1
	v_bfe_u32 v28, v24, 16, 7
	v_mov_b32_e32 v22, 0x7f800001
	s_mov_b32 s20, exec_lo
	v_cmpx_ne_u32_e32 0x7f, v28
	s_cbranch_execz .LBB384_2669
; %bb.2666:                             ;   in Loop: Header=BB384_2086 Depth=1
	v_mov_b32_e32 v12, 7
	v_lshrrev_b32_e32 v22, 3, v28
	v_cmp_gt_u32_e64 s4, 8, v28
	v_and_b32_sdwa v12, v24, v12 dst_sel:DWORD dst_unused:UNUSED_PAD src0_sel:WORD_1 src1_sel:DWORD
	v_mov_b32_e32 v29, v13
	v_mov_b32_e32 v28, v12
	s_and_saveexec_b32 s21, s4
; %bb.2667:                             ;   in Loop: Header=BB384_2086 Depth=1
	v_ffbh_u32_e32 v22, v12
	v_min_u32_e32 v22, 32, v22
	v_subrev_nc_u32_e32 v28, 28, v22
	v_sub_nc_u32_e32 v22, 29, v22
	v_lshlrev_b64 v[28:29], v28, v[12:13]
	v_and_b32_e32 v28, 7, v28
; %bb.2668:                             ;   in Loop: Header=BB384_2086 Depth=1
	s_or_b32 exec_lo, exec_lo, s21
	v_mov_b32_e32 v12, 24
	v_lshlrev_b32_e32 v28, 20, v28
	v_lshl_add_u32 v22, v22, 23, 0x3c000000
	v_lshlrev_b32_sdwa v12, v12, v24 dst_sel:DWORD dst_unused:UNUSED_PAD src0_sel:DWORD src1_sel:WORD_1
	v_and_b32_e32 v12, 0x80000000, v12
	v_or3_b32 v22, v28, v12, v22
.LBB384_2669:                           ;   in Loop: Header=BB384_2086 Depth=1
	s_or_b32 exec_lo, exec_lo, s20
.LBB384_2670:                           ;   in Loop: Header=BB384_2086 Depth=1
	s_or_b32 exec_lo, exec_lo, s18
.LBB384_2671:                           ;   in Loop: Header=BB384_2086 Depth=1
	s_or_b32 exec_lo, exec_lo, s17
	s_mov_b32 s17, exec_lo
	v_cmpx_lt_u64_e64 s[12:13], v[23:24]
	s_cbranch_execz .LBB384_2679
; %bb.2672:                             ;   in Loop: Header=BB384_2086 Depth=1
	v_cmp_ne_u32_sdwa s4, v24, v116 src0_sel:BYTE_3 src1_sel:DWORD
	v_bfrev_b32_e32 v17, 1
	s_and_saveexec_b32 s18, s4
	s_cbranch_execz .LBB384_2678
; %bb.2673:                             ;   in Loop: Header=BB384_2086 Depth=1
	v_bfe_u32 v23, v24, 24, 7
	v_mov_b32_e32 v17, 0x7f800001
	s_mov_b32 s20, exec_lo
	v_cmpx_ne_u32_e32 0x7f, v23
	s_cbranch_execz .LBB384_2677
; %bb.2674:                             ;   in Loop: Header=BB384_2086 Depth=1
	v_mov_b32_e32 v12, 7
	v_lshrrev_b32_e32 v17, 3, v23
	s_mov_b32 s21, exec_lo
	v_and_b32_sdwa v12, v24, v12 dst_sel:DWORD dst_unused:UNUSED_PAD src0_sel:BYTE_3 src1_sel:DWORD
	v_mov_b32_e32 v29, v13
	v_mov_b32_e32 v28, v12
	v_cmpx_gt_u32_e32 8, v23
; %bb.2675:                             ;   in Loop: Header=BB384_2086 Depth=1
	v_ffbh_u32_e32 v17, v12
	v_min_u32_e32 v17, 32, v17
	v_subrev_nc_u32_e32 v23, 28, v17
	v_sub_nc_u32_e32 v17, 29, v17
	v_lshlrev_b64 v[28:29], v23, v[12:13]
	v_and_b32_e32 v28, 7, v28
; %bb.2676:                             ;   in Loop: Header=BB384_2086 Depth=1
	s_or_b32 exec_lo, exec_lo, s21
	v_mov_b32_e32 v12, 24
	v_lshlrev_b32_e32 v23, 20, v28
	v_lshl_add_u32 v17, v17, 23, 0x3c000000
	v_lshlrev_b32_sdwa v12, v12, v24 dst_sel:DWORD dst_unused:UNUSED_PAD src0_sel:DWORD src1_sel:BYTE_3
	v_and_b32_e32 v12, 0x80000000, v12
	v_or3_b32 v17, v23, v12, v17
.LBB384_2677:                           ;   in Loop: Header=BB384_2086 Depth=1
	s_or_b32 exec_lo, exec_lo, s20
.LBB384_2678:                           ;   in Loop: Header=BB384_2086 Depth=1
	s_or_b32 exec_lo, exec_lo, s18
.LBB384_2679:                           ;   in Loop: Header=BB384_2086 Depth=1
	s_or_b32 exec_lo, exec_lo, s17
	v_mul_f32_e32 v12, v115, v31
	v_mul_f32_e32 v11, v115, v11
	;; [unrolled: 1-line block ×4, first 2 shown]
	v_bfe_u32 v23, v12, 16, 1
	v_or_b32_e32 v24, 0x400000, v12
	v_cmp_u_f32_e64 s4, v12, v12
	v_add3_u32 v23, v23, v12, 0x7fff
	v_cndmask_b32_e64 v12, v23, v24, s4
	v_lshrrev_b32_e32 v12, 16, v12
	buffer_store_dword v12, off, s[0:3], s32 offset:496 ; 4-byte Folded Spill
	v_mul_f32_e32 v12, v115, v25
	v_bfe_u32 v23, v12, 16, 1
	v_or_b32_e32 v24, 0x400000, v12
	v_cmp_u_f32_e64 s4, v12, v12
	v_add3_u32 v23, v23, v12, 0x7fff
	v_cndmask_b32_e64 v12, v23, v24, s4
	v_lshrrev_b32_e32 v12, 16, v12
	buffer_store_dword v12, off, s[0:3], s32 offset:500 ; 4-byte Folded Spill
	v_mul_f32_e32 v12, v115, v16
	v_bfe_u32 v16, v12, 16, 1
	v_or_b32_e32 v23, 0x400000, v12
	v_cmp_u_f32_e64 s4, v12, v12
	v_add3_u32 v16, v16, v12, 0x7fff
	v_cndmask_b32_e64 v12, v16, v23, s4
	v_or_b32_e32 v16, 0x400000, v11
	v_cmp_u_f32_e64 s4, v11, v11
	v_lshrrev_b32_e32 v12, 16, v12
	buffer_store_dword v12, off, s[0:3], s32 offset:504 ; 4-byte Folded Spill
	v_bfe_u32 v12, v11, 16, 1
	v_add3_u32 v12, v12, v11, 0x7fff
	v_cndmask_b32_e64 v11, v12, v16, s4
	v_or_b32_e32 v12, 0x400000, v5
	v_cmp_u_f32_e64 s4, v5, v5
	v_lshrrev_b32_e32 v11, 16, v11
	buffer_store_dword v11, off, s[0:3], s32 offset:508 ; 4-byte Folded Spill
	v_bfe_u32 v11, v5, 16, 1
	;; [unrolled: 7-line block ×3, first 2 shown]
	v_add3_u32 v5, v5, v4, 0x7fff
	v_cndmask_b32_e64 v4, v5, v11, s4
	v_lshrrev_b32_e32 v4, 16, v4
	buffer_store_dword v4, off, s[0:3], s32 offset:520 ; 4-byte Folded Spill
	v_mul_f32_e32 v4, v115, v22
	v_bfe_u32 v5, v4, 16, 1
	v_or_b32_e32 v11, 0x400000, v4
	v_cmp_u_f32_e64 s4, v4, v4
	v_add3_u32 v5, v5, v4, 0x7fff
	v_cndmask_b32_e64 v4, v5, v11, s4
	v_lshrrev_b32_e32 v4, 16, v4
	buffer_store_dword v4, off, s[0:3], s32 offset:512 ; 4-byte Folded Spill
	v_mul_f32_e32 v4, v115, v17
	v_bfe_u32 v5, v4, 16, 1
	v_or_b32_e32 v11, 0x400000, v4
	v_cmp_u_f32_e64 s4, v4, v4
	v_add3_u32 v5, v5, v4, 0x7fff
	v_cndmask_b32_e64 v4, v5, v11, s4
	v_lshrrev_b32_e32 v4, 16, v4
	buffer_store_dword v4, off, s[0:3], s32 offset:524 ; 4-byte Folded Spill
	s_and_saveexec_b32 s17, vcc_lo
	s_cbranch_execz .LBB384_2681
; %bb.2680:                             ;   in Loop: Header=BB384_2086 Depth=1
	buffer_load_dword v4, off, s[0:3], s32 offset:520 ; 4-byte Folded Reload
	v_cmp_lt_i32_e64 s4, v114, v48
	s_waitcnt vmcnt(0)
	v_cndmask_b32_e64 v4, 0, v4, s4
	v_cmp_lt_i32_e64 s4, v10, v48
	buffer_store_dword v4, off, s[0:3], s32 offset:520 ; 4-byte Folded Spill
	buffer_load_dword v4, off, s[0:3], s32 offset:516 ; 4-byte Folded Reload
	s_waitcnt vmcnt(0)
	v_cndmask_b32_e64 v4, 0, v4, s4
	v_cmp_lt_i32_e64 s4, v26, v48
	buffer_store_dword v4, off, s[0:3], s32 offset:516 ; 4-byte Folded Spill
	buffer_load_dword v4, off, s[0:3], s32 offset:508 ; 4-byte Folded Reload
	;; [unrolled: 5-line block ×7, first 2 shown]
	s_waitcnt vmcnt(0)
	v_cndmask_b32_e64 v4, 0, v4, s4
	buffer_store_dword v4, off, s[0:3], s32 offset:524 ; 4-byte Folded Spill
.LBB384_2681:                           ;   in Loop: Header=BB384_2086 Depth=1
	s_or_b32 exec_lo, exec_lo, s17
	flat_load_dwordx2 v[23:24], v[20:21] offset:256
	v_mov_b32_e32 v5, 0
	v_mov_b32_e32 v4, 0
	s_waitcnt vmcnt(0) lgkmcnt(0)
	v_cmp_ne_u16_sdwa s4, v23, v13 src0_sel:BYTE_0 src1_sel:DWORD
	s_and_saveexec_b32 s17, s4
	s_cbranch_execz .LBB384_2689
; %bb.2682:                             ;   in Loop: Header=BB384_2086 Depth=1
	v_cmp_ne_u16_sdwa s4, v23, v116 src0_sel:BYTE_0 src1_sel:DWORD
	v_bfrev_b32_e32 v4, 1
	s_and_saveexec_b32 s18, s4
	s_cbranch_execz .LBB384_2688
; %bb.2683:                             ;   in Loop: Header=BB384_2086 Depth=1
	v_and_b32_e32 v11, 0x7f, v23
	v_mov_b32_e32 v4, 0x7f800001
	s_mov_b32 s20, exec_lo
	v_cmpx_ne_u32_e32 0x7f, v11
	s_cbranch_execz .LBB384_2687
; %bb.2684:                             ;   in Loop: Header=BB384_2086 Depth=1
	v_mov_b32_e32 v29, v24
	v_lshrrev_b32_e32 v4, 3, v11
	v_mov_b32_e32 v28, v23
	s_mov_b32 s21, exec_lo
	v_cmpx_gt_u32_e32 8, v11
; %bb.2685:                             ;   in Loop: Header=BB384_2086 Depth=1
	v_and_b32_e32 v4, 7, v23
	v_ffbh_u32_e32 v4, v4
	v_min_u32_e32 v4, 32, v4
	v_subrev_nc_u32_e32 v11, 28, v4
	v_sub_nc_u32_e32 v4, 29, v4
	v_lshlrev_b64 v[28:29], v11, v[23:24]
; %bb.2686:                             ;   in Loop: Header=BB384_2086 Depth=1
	s_or_b32 exec_lo, exec_lo, s21
	v_lshlrev_b32_e32 v11, 20, v28
	v_lshlrev_b32_e32 v12, 24, v23
	v_lshl_add_u32 v4, v4, 23, 0x3c000000
	v_and_b32_e32 v11, 0x700000, v11
	v_and_b32_e32 v12, 0x80000000, v12
	v_or3_b32 v4, v11, v12, v4
.LBB384_2687:                           ;   in Loop: Header=BB384_2086 Depth=1
	s_or_b32 exec_lo, exec_lo, s20
.LBB384_2688:                           ;   in Loop: Header=BB384_2086 Depth=1
	s_or_b32 exec_lo, exec_lo, s18
.LBB384_2689:                           ;   in Loop: Header=BB384_2086 Depth=1
	s_or_b32 exec_lo, exec_lo, s17
	v_cmp_ne_u16_sdwa s4, v23, v13 src0_sel:BYTE_1 src1_sel:DWORD
	s_and_saveexec_b32 s17, s4
	s_cbranch_execz .LBB384_2697
; %bb.2690:                             ;   in Loop: Header=BB384_2086 Depth=1
	v_cmp_ne_u16_sdwa s4, v23, v116 src0_sel:BYTE_1 src1_sel:DWORD
	v_bfrev_b32_e32 v5, 1
	s_and_saveexec_b32 s18, s4
	s_cbranch_execz .LBB384_2696
; %bb.2691:                             ;   in Loop: Header=BB384_2086 Depth=1
	v_mov_b32_e32 v5, 0xffff
	s_mov_b32 s20, exec_lo
	v_and_b32_sdwa v12, v5, v23 dst_sel:DWORD dst_unused:UNUSED_PAD src0_sel:DWORD src1_sel:BYTE_1
	v_mov_b32_e32 v5, 0x7f800001
	v_and_b32_e32 v11, 0x7f, v12
	v_cmpx_ne_u32_e32 0x7f, v11
	s_cbranch_execz .LBB384_2695
; %bb.2692:                             ;   in Loop: Header=BB384_2086 Depth=1
	v_and_b32_e32 v12, 7, v12
	v_mov_b32_e32 v29, v13
	v_lshrrev_b32_e32 v5, 3, v11
	s_mov_b32 s21, exec_lo
	v_mov_b32_e32 v28, v12
	v_cmpx_gt_u32_e32 8, v11
; %bb.2693:                             ;   in Loop: Header=BB384_2086 Depth=1
	v_ffbh_u32_e32 v5, v12
	v_min_u32_e32 v5, 32, v5
	v_subrev_nc_u32_e32 v11, 28, v5
	v_sub_nc_u32_e32 v5, 29, v5
	v_lshlrev_b64 v[11:12], v11, v[12:13]
	v_and_b32_e32 v28, 7, v11
; %bb.2694:                             ;   in Loop: Header=BB384_2086 Depth=1
	s_or_b32 exec_lo, exec_lo, s21
	v_lshlrev_b32_e32 v11, 16, v23
	v_lshlrev_b32_e32 v12, 20, v28
	v_lshl_add_u32 v5, v5, 23, 0x3c000000
	v_and_b32_e32 v11, 0x80000000, v11
	v_or3_b32 v5, v12, v11, v5
.LBB384_2695:                           ;   in Loop: Header=BB384_2086 Depth=1
	s_or_b32 exec_lo, exec_lo, s20
.LBB384_2696:                           ;   in Loop: Header=BB384_2086 Depth=1
	s_or_b32 exec_lo, exec_lo, s18
.LBB384_2697:                           ;   in Loop: Header=BB384_2086 Depth=1
	s_or_b32 exec_lo, exec_lo, s17
	v_and_b32_sdwa v12, v23, v118 dst_sel:DWORD dst_unused:UNUSED_PAD src0_sel:WORD_1 src1_sel:DWORD
	v_mov_b32_e32 v16, 0
	v_mov_b32_e32 v11, 0
	s_mov_b32 s17, exec_lo
	v_cmpx_ne_u16_e32 0, v12
	s_cbranch_execz .LBB384_2705
; %bb.2698:                             ;   in Loop: Header=BB384_2086 Depth=1
	v_bfrev_b32_e32 v11, 1
	s_mov_b32 s18, exec_lo
	v_cmpx_ne_u16_e32 0x80, v12
	s_cbranch_execz .LBB384_2704
; %bb.2699:                             ;   in Loop: Header=BB384_2086 Depth=1
	v_bfe_u32 v17, v23, 16, 7
	v_mov_b32_e32 v11, 0x7f800001
	s_mov_b32 s20, exec_lo
	v_cmpx_ne_u32_e32 0x7f, v17
	s_cbranch_execz .LBB384_2703
; %bb.2700:                             ;   in Loop: Header=BB384_2086 Depth=1
	v_mov_b32_e32 v11, 7
	s_mov_b32 s21, exec_lo
	v_and_b32_sdwa v12, v23, v11 dst_sel:DWORD dst_unused:UNUSED_PAD src0_sel:WORD_1 src1_sel:DWORD
	v_mov_b32_e32 v29, v13
	v_lshrrev_b32_e32 v11, 3, v17
	v_mov_b32_e32 v28, v12
	v_cmpx_gt_u32_e32 8, v17
; %bb.2701:                             ;   in Loop: Header=BB384_2086 Depth=1
	v_ffbh_u32_e32 v11, v12
	v_min_u32_e32 v11, 32, v11
	v_subrev_nc_u32_e32 v17, 28, v11
	v_sub_nc_u32_e32 v11, 29, v11
	v_lshlrev_b64 v[28:29], v17, v[12:13]
	v_and_b32_e32 v28, 7, v28
; %bb.2702:                             ;   in Loop: Header=BB384_2086 Depth=1
	s_or_b32 exec_lo, exec_lo, s21
	v_mov_b32_e32 v12, 24
	v_lshlrev_b32_e32 v17, 20, v28
	v_lshl_add_u32 v11, v11, 23, 0x3c000000
	v_lshlrev_b32_sdwa v12, v12, v23 dst_sel:DWORD dst_unused:UNUSED_PAD src0_sel:DWORD src1_sel:WORD_1
	v_and_b32_e32 v12, 0x80000000, v12
	v_or3_b32 v11, v17, v12, v11
.LBB384_2703:                           ;   in Loop: Header=BB384_2086 Depth=1
	s_or_b32 exec_lo, exec_lo, s20
.LBB384_2704:                           ;   in Loop: Header=BB384_2086 Depth=1
	s_or_b32 exec_lo, exec_lo, s18
.LBB384_2705:                           ;   in Loop: Header=BB384_2086 Depth=1
	s_or_b32 exec_lo, exec_lo, s17
	s_mov_b32 s17, exec_lo
	v_cmpx_lt_u32_e32 0xffffff, v23
	s_cbranch_execz .LBB384_2713
; %bb.2706:                             ;   in Loop: Header=BB384_2086 Depth=1
	v_cmp_ne_u32_sdwa s4, v23, v116 src0_sel:BYTE_3 src1_sel:DWORD
	v_bfrev_b32_e32 v16, 1
	s_and_saveexec_b32 s18, s4
	s_cbranch_execz .LBB384_2712
; %bb.2707:                             ;   in Loop: Header=BB384_2086 Depth=1
	v_bfe_u32 v17, v23, 24, 7
	v_mov_b32_e32 v16, 0x7f800001
	s_mov_b32 s20, exec_lo
	v_cmpx_ne_u32_e32 0x7f, v17
	s_cbranch_execz .LBB384_2711
; %bb.2708:                             ;   in Loop: Header=BB384_2086 Depth=1
	v_mov_b32_e32 v12, 7
	v_lshrrev_b32_e32 v16, 3, v17
	s_mov_b32 s21, exec_lo
	v_and_b32_sdwa v12, v23, v12 dst_sel:DWORD dst_unused:UNUSED_PAD src0_sel:BYTE_3 src1_sel:DWORD
	v_mov_b32_e32 v29, v13
	v_mov_b32_e32 v28, v12
	v_cmpx_gt_u32_e32 8, v17
; %bb.2709:                             ;   in Loop: Header=BB384_2086 Depth=1
	v_ffbh_u32_e32 v16, v12
	v_min_u32_e32 v16, 32, v16
	v_subrev_nc_u32_e32 v17, 28, v16
	v_sub_nc_u32_e32 v16, 29, v16
	v_lshlrev_b64 v[28:29], v17, v[12:13]
	v_and_b32_e32 v28, 7, v28
; %bb.2710:                             ;   in Loop: Header=BB384_2086 Depth=1
	s_or_b32 exec_lo, exec_lo, s21
	v_mov_b32_e32 v12, 24
	v_lshlrev_b32_e32 v17, 20, v28
	v_lshl_add_u32 v16, v16, 23, 0x3c000000
	v_lshlrev_b32_sdwa v12, v12, v23 dst_sel:DWORD dst_unused:UNUSED_PAD src0_sel:DWORD src1_sel:BYTE_3
	v_and_b32_e32 v12, 0x80000000, v12
	v_or3_b32 v16, v17, v12, v16
.LBB384_2711:                           ;   in Loop: Header=BB384_2086 Depth=1
	s_or_b32 exec_lo, exec_lo, s20
.LBB384_2712:                           ;   in Loop: Header=BB384_2086 Depth=1
	s_or_b32 exec_lo, exec_lo, s18
.LBB384_2713:                           ;   in Loop: Header=BB384_2086 Depth=1
	s_or_b32 exec_lo, exec_lo, s17
	v_mov_b32_e32 v12, v24
	v_cmp_ne_u16_sdwa s4, v24, v13 src0_sel:BYTE_0 src1_sel:DWORD
	v_mov_b32_e32 v31, 0
	v_mov_b32_e32 v25, 0
	s_and_saveexec_b32 s17, s4
	s_cbranch_execz .LBB384_2721
; %bb.2714:                             ;   in Loop: Header=BB384_2086 Depth=1
	v_cmp_ne_u16_sdwa s4, v24, v116 src0_sel:BYTE_0 src1_sel:DWORD
	v_bfrev_b32_e32 v25, 1
	s_and_saveexec_b32 s18, s4
	s_cbranch_execz .LBB384_2720
; %bb.2715:                             ;   in Loop: Header=BB384_2086 Depth=1
	v_and_b32_e32 v22, 0x7f, v24
	v_mov_b32_e32 v25, 0x7f800001
	s_mov_b32 s20, exec_lo
	v_cmpx_ne_u32_e32 0x7f, v22
	s_cbranch_execz .LBB384_2719
; %bb.2716:                             ;   in Loop: Header=BB384_2086 Depth=1
	v_mov_b32_e32 v29, v13
	v_lshrrev_b32_e32 v17, 3, v22
	v_mov_b32_e32 v28, v12
	s_mov_b32 s21, exec_lo
	v_cmpx_gt_u32_e32 8, v22
; %bb.2717:                             ;   in Loop: Header=BB384_2086 Depth=1
	v_and_b32_e32 v17, 7, v24
	v_ffbh_u32_e32 v17, v17
	v_min_u32_e32 v17, 32, v17
	v_subrev_nc_u32_e32 v22, 28, v17
	v_sub_nc_u32_e32 v17, 29, v17
	v_lshlrev_b64 v[28:29], v22, v[12:13]
; %bb.2718:                             ;   in Loop: Header=BB384_2086 Depth=1
	s_or_b32 exec_lo, exec_lo, s21
	v_lshlrev_b32_e32 v22, 20, v28
	v_lshlrev_b32_e32 v25, 24, v12
	v_lshl_add_u32 v17, v17, 23, 0x3c000000
	v_and_b32_e32 v22, 0x700000, v22
	v_and_b32_e32 v25, 0x80000000, v25
	v_or3_b32 v25, v22, v25, v17
.LBB384_2719:                           ;   in Loop: Header=BB384_2086 Depth=1
	s_or_b32 exec_lo, exec_lo, s20
.LBB384_2720:                           ;   in Loop: Header=BB384_2086 Depth=1
	s_or_b32 exec_lo, exec_lo, s18
.LBB384_2721:                           ;   in Loop: Header=BB384_2086 Depth=1
	s_or_b32 exec_lo, exec_lo, s17
	v_cmp_ne_u16_sdwa s4, v12, v13 src0_sel:BYTE_1 src1_sel:DWORD
	s_and_saveexec_b32 s17, s4
	s_cbranch_execz .LBB384_2729
; %bb.2722:                             ;   in Loop: Header=BB384_2086 Depth=1
	v_cmp_ne_u16_sdwa s4, v12, v116 src0_sel:BYTE_1 src1_sel:DWORD
	v_bfrev_b32_e32 v31, 1
	s_and_saveexec_b32 s18, s4
	s_cbranch_execz .LBB384_2728
; %bb.2723:                             ;   in Loop: Header=BB384_2086 Depth=1
	v_mov_b32_e32 v17, 0xffff
	v_mov_b32_e32 v31, 0x7f800001
	s_mov_b32 s20, exec_lo
	v_and_b32_sdwa v17, v17, v12 dst_sel:DWORD dst_unused:UNUSED_PAD src0_sel:DWORD src1_sel:BYTE_1
	v_and_b32_e32 v22, 0x7f, v17
	v_cmpx_ne_u32_e32 0x7f, v22
	s_cbranch_execz .LBB384_2727
; %bb.2724:                             ;   in Loop: Header=BB384_2086 Depth=1
	v_and_b32_e32 v28, 7, v17
	v_mov_b32_e32 v29, v13
	v_lshrrev_b32_e32 v17, 3, v22
	s_mov_b32 s21, exec_lo
	v_cmpx_gt_u32_e32 8, v22
; %bb.2725:                             ;   in Loop: Header=BB384_2086 Depth=1
	v_ffbh_u32_e32 v17, v28
	v_min_u32_e32 v17, 32, v17
	v_subrev_nc_u32_e32 v22, 28, v17
	v_sub_nc_u32_e32 v17, 29, v17
	v_lshlrev_b64 v[28:29], v22, v[28:29]
	v_and_b32_e32 v28, 7, v28
; %bb.2726:                             ;   in Loop: Header=BB384_2086 Depth=1
	s_or_b32 exec_lo, exec_lo, s21
	v_lshlrev_b32_e32 v12, 16, v12
	v_lshlrev_b32_e32 v22, 20, v28
	v_lshl_add_u32 v17, v17, 23, 0x3c000000
	v_and_b32_e32 v12, 0x80000000, v12
	v_or3_b32 v31, v22, v12, v17
.LBB384_2727:                           ;   in Loop: Header=BB384_2086 Depth=1
	s_or_b32 exec_lo, exec_lo, s20
.LBB384_2728:                           ;   in Loop: Header=BB384_2086 Depth=1
	s_or_b32 exec_lo, exec_lo, s18
.LBB384_2729:                           ;   in Loop: Header=BB384_2086 Depth=1
	s_or_b32 exec_lo, exec_lo, s17
	v_and_b32_sdwa v12, v24, v118 dst_sel:DWORD dst_unused:UNUSED_PAD src0_sel:WORD_1 src1_sel:DWORD
	v_mov_b32_e32 v17, 0
	v_mov_b32_e32 v22, 0
	s_mov_b32 s17, exec_lo
	v_cmpx_ne_u16_e32 0, v12
	s_cbranch_execz .LBB384_2737
; %bb.2730:                             ;   in Loop: Header=BB384_2086 Depth=1
	v_bfrev_b32_e32 v22, 1
	s_mov_b32 s18, exec_lo
	v_cmpx_ne_u16_e32 0x80, v12
	s_cbranch_execz .LBB384_2736
; %bb.2731:                             ;   in Loop: Header=BB384_2086 Depth=1
	v_bfe_u32 v28, v24, 16, 7
	v_mov_b32_e32 v22, 0x7f800001
	s_mov_b32 s20, exec_lo
	v_cmpx_ne_u32_e32 0x7f, v28
	s_cbranch_execz .LBB384_2735
; %bb.2732:                             ;   in Loop: Header=BB384_2086 Depth=1
	v_mov_b32_e32 v12, 7
	v_lshrrev_b32_e32 v22, 3, v28
	v_cmp_gt_u32_e64 s4, 8, v28
	v_and_b32_sdwa v12, v24, v12 dst_sel:DWORD dst_unused:UNUSED_PAD src0_sel:WORD_1 src1_sel:DWORD
	v_mov_b32_e32 v29, v13
	v_mov_b32_e32 v28, v12
	s_and_saveexec_b32 s21, s4
; %bb.2733:                             ;   in Loop: Header=BB384_2086 Depth=1
	v_ffbh_u32_e32 v22, v12
	v_min_u32_e32 v22, 32, v22
	v_subrev_nc_u32_e32 v28, 28, v22
	v_sub_nc_u32_e32 v22, 29, v22
	v_lshlrev_b64 v[28:29], v28, v[12:13]
	v_and_b32_e32 v28, 7, v28
; %bb.2734:                             ;   in Loop: Header=BB384_2086 Depth=1
	s_or_b32 exec_lo, exec_lo, s21
	v_mov_b32_e32 v12, 24
	v_lshlrev_b32_e32 v28, 20, v28
	v_lshl_add_u32 v22, v22, 23, 0x3c000000
	v_lshlrev_b32_sdwa v12, v12, v24 dst_sel:DWORD dst_unused:UNUSED_PAD src0_sel:DWORD src1_sel:WORD_1
	v_and_b32_e32 v12, 0x80000000, v12
	v_or3_b32 v22, v28, v12, v22
.LBB384_2735:                           ;   in Loop: Header=BB384_2086 Depth=1
	s_or_b32 exec_lo, exec_lo, s20
.LBB384_2736:                           ;   in Loop: Header=BB384_2086 Depth=1
	s_or_b32 exec_lo, exec_lo, s18
.LBB384_2737:                           ;   in Loop: Header=BB384_2086 Depth=1
	s_or_b32 exec_lo, exec_lo, s17
	s_mov_b32 s17, exec_lo
	v_cmpx_lt_u64_e64 s[12:13], v[23:24]
	s_cbranch_execz .LBB384_2745
; %bb.2738:                             ;   in Loop: Header=BB384_2086 Depth=1
	v_cmp_ne_u32_sdwa s4, v24, v116 src0_sel:BYTE_3 src1_sel:DWORD
	v_bfrev_b32_e32 v17, 1
	s_and_saveexec_b32 s18, s4
	s_cbranch_execz .LBB384_2744
; %bb.2739:                             ;   in Loop: Header=BB384_2086 Depth=1
	v_bfe_u32 v23, v24, 24, 7
	v_mov_b32_e32 v17, 0x7f800001
	s_mov_b32 s20, exec_lo
	v_cmpx_ne_u32_e32 0x7f, v23
	s_cbranch_execz .LBB384_2743
; %bb.2740:                             ;   in Loop: Header=BB384_2086 Depth=1
	v_mov_b32_e32 v12, 7
	v_lshrrev_b32_e32 v17, 3, v23
	s_mov_b32 s21, exec_lo
	v_and_b32_sdwa v12, v24, v12 dst_sel:DWORD dst_unused:UNUSED_PAD src0_sel:BYTE_3 src1_sel:DWORD
	v_mov_b32_e32 v29, v13
	v_mov_b32_e32 v28, v12
	v_cmpx_gt_u32_e32 8, v23
; %bb.2741:                             ;   in Loop: Header=BB384_2086 Depth=1
	v_ffbh_u32_e32 v17, v12
	v_min_u32_e32 v17, 32, v17
	v_subrev_nc_u32_e32 v23, 28, v17
	v_sub_nc_u32_e32 v17, 29, v17
	v_lshlrev_b64 v[28:29], v23, v[12:13]
	v_and_b32_e32 v28, 7, v28
; %bb.2742:                             ;   in Loop: Header=BB384_2086 Depth=1
	s_or_b32 exec_lo, exec_lo, s21
	v_mov_b32_e32 v12, 24
	v_lshlrev_b32_e32 v23, 20, v28
	v_lshl_add_u32 v17, v17, 23, 0x3c000000
	v_lshlrev_b32_sdwa v12, v12, v24 dst_sel:DWORD dst_unused:UNUSED_PAD src0_sel:DWORD src1_sel:BYTE_3
	v_and_b32_e32 v12, 0x80000000, v12
	v_or3_b32 v17, v23, v12, v17
.LBB384_2743:                           ;   in Loop: Header=BB384_2086 Depth=1
	s_or_b32 exec_lo, exec_lo, s20
.LBB384_2744:                           ;   in Loop: Header=BB384_2086 Depth=1
	s_or_b32 exec_lo, exec_lo, s18
.LBB384_2745:                           ;   in Loop: Header=BB384_2086 Depth=1
	s_or_b32 exec_lo, exec_lo, s17
	v_mul_f32_e32 v12, v115, v31
	v_mul_f32_e32 v11, v115, v11
	;; [unrolled: 1-line block ×4, first 2 shown]
	v_bfe_u32 v23, v12, 16, 1
	v_or_b32_e32 v24, 0x400000, v12
	v_cmp_u_f32_e64 s4, v12, v12
	v_add3_u32 v23, v23, v12, 0x7fff
	v_cndmask_b32_e64 v12, v23, v24, s4
	v_lshrrev_b32_e32 v12, 16, v12
	buffer_store_dword v12, off, s[0:3], s32 offset:528 ; 4-byte Folded Spill
	v_mul_f32_e32 v12, v115, v25
	v_bfe_u32 v23, v12, 16, 1
	v_or_b32_e32 v24, 0x400000, v12
	v_cmp_u_f32_e64 s4, v12, v12
	v_add3_u32 v23, v23, v12, 0x7fff
	v_cndmask_b32_e64 v12, v23, v24, s4
	v_lshrrev_b32_e32 v12, 16, v12
	buffer_store_dword v12, off, s[0:3], s32 offset:532 ; 4-byte Folded Spill
	v_mul_f32_e32 v12, v115, v16
	v_bfe_u32 v16, v12, 16, 1
	v_or_b32_e32 v23, 0x400000, v12
	v_cmp_u_f32_e64 s4, v12, v12
	v_add3_u32 v16, v16, v12, 0x7fff
	v_cndmask_b32_e64 v12, v16, v23, s4
	v_or_b32_e32 v16, 0x400000, v11
	v_cmp_u_f32_e64 s4, v11, v11
	v_lshrrev_b32_e32 v12, 16, v12
	buffer_store_dword v12, off, s[0:3], s32 offset:536 ; 4-byte Folded Spill
	v_bfe_u32 v12, v11, 16, 1
	v_add3_u32 v12, v12, v11, 0x7fff
	v_cndmask_b32_e64 v11, v12, v16, s4
	v_or_b32_e32 v12, 0x400000, v5
	v_cmp_u_f32_e64 s4, v5, v5
	v_lshrrev_b32_e32 v11, 16, v11
	buffer_store_dword v11, off, s[0:3], s32 offset:540 ; 4-byte Folded Spill
	v_bfe_u32 v11, v5, 16, 1
	v_add3_u32 v11, v11, v5, 0x7fff
	v_cndmask_b32_e64 v5, v11, v12, s4
	v_or_b32_e32 v11, 0x400000, v4
	v_cmp_u_f32_e64 s4, v4, v4
	v_lshrrev_b32_e32 v5, 16, v5
	buffer_store_dword v5, off, s[0:3], s32 offset:548 ; 4-byte Folded Spill
	v_bfe_u32 v5, v4, 16, 1
	v_add3_u32 v5, v5, v4, 0x7fff
	v_cndmask_b32_e64 v4, v5, v11, s4
	v_lshrrev_b32_e32 v4, 16, v4
	buffer_store_dword v4, off, s[0:3], s32 offset:552 ; 4-byte Folded Spill
	v_mul_f32_e32 v4, v115, v22
	v_bfe_u32 v5, v4, 16, 1
	v_or_b32_e32 v11, 0x400000, v4
	v_cmp_u_f32_e64 s4, v4, v4
	v_add3_u32 v5, v5, v4, 0x7fff
	v_cndmask_b32_e64 v4, v5, v11, s4
	v_lshrrev_b32_e32 v4, 16, v4
	buffer_store_dword v4, off, s[0:3], s32 offset:544 ; 4-byte Folded Spill
	v_mul_f32_e32 v4, v115, v17
	v_bfe_u32 v5, v4, 16, 1
	v_or_b32_e32 v11, 0x400000, v4
	v_cmp_u_f32_e64 s4, v4, v4
	v_add3_u32 v5, v5, v4, 0x7fff
	v_cndmask_b32_e64 v4, v5, v11, s4
	v_lshrrev_b32_e32 v4, 16, v4
	buffer_store_dword v4, off, s[0:3], s32 offset:556 ; 4-byte Folded Spill
	s_and_saveexec_b32 s17, vcc_lo
	s_cbranch_execz .LBB384_2747
; %bb.2746:                             ;   in Loop: Header=BB384_2086 Depth=1
	buffer_load_dword v4, off, s[0:3], s32 offset:552 ; 4-byte Folded Reload
	v_cmp_lt_i32_e64 s4, v114, v48
	s_waitcnt vmcnt(0)
	v_cndmask_b32_e64 v4, 0, v4, s4
	v_cmp_lt_i32_e64 s4, v10, v48
	buffer_store_dword v4, off, s[0:3], s32 offset:552 ; 4-byte Folded Spill
	buffer_load_dword v4, off, s[0:3], s32 offset:548 ; 4-byte Folded Reload
	s_waitcnt vmcnt(0)
	v_cndmask_b32_e64 v4, 0, v4, s4
	v_cmp_lt_i32_e64 s4, v26, v48
	buffer_store_dword v4, off, s[0:3], s32 offset:548 ; 4-byte Folded Spill
	buffer_load_dword v4, off, s[0:3], s32 offset:540 ; 4-byte Folded Reload
	;; [unrolled: 5-line block ×7, first 2 shown]
	s_waitcnt vmcnt(0)
	v_cndmask_b32_e64 v4, 0, v4, s4
	buffer_store_dword v4, off, s[0:3], s32 offset:556 ; 4-byte Folded Spill
.LBB384_2747:                           ;   in Loop: Header=BB384_2086 Depth=1
	s_or_b32 exec_lo, exec_lo, s17
	flat_load_dwordx2 v[23:24], v[20:21] offset:512
	v_mov_b32_e32 v5, 0
	v_mov_b32_e32 v4, 0
	s_waitcnt vmcnt(0) lgkmcnt(0)
	v_cmp_ne_u16_sdwa s4, v23, v13 src0_sel:BYTE_0 src1_sel:DWORD
	s_and_saveexec_b32 s17, s4
	s_cbranch_execz .LBB384_2755
; %bb.2748:                             ;   in Loop: Header=BB384_2086 Depth=1
	v_cmp_ne_u16_sdwa s4, v23, v116 src0_sel:BYTE_0 src1_sel:DWORD
	v_bfrev_b32_e32 v4, 1
	s_and_saveexec_b32 s18, s4
	s_cbranch_execz .LBB384_2754
; %bb.2749:                             ;   in Loop: Header=BB384_2086 Depth=1
	v_and_b32_e32 v11, 0x7f, v23
	v_mov_b32_e32 v4, 0x7f800001
	s_mov_b32 s20, exec_lo
	v_cmpx_ne_u32_e32 0x7f, v11
	s_cbranch_execz .LBB384_2753
; %bb.2750:                             ;   in Loop: Header=BB384_2086 Depth=1
	v_mov_b32_e32 v29, v24
	v_lshrrev_b32_e32 v4, 3, v11
	v_mov_b32_e32 v28, v23
	s_mov_b32 s21, exec_lo
	v_cmpx_gt_u32_e32 8, v11
; %bb.2751:                             ;   in Loop: Header=BB384_2086 Depth=1
	v_and_b32_e32 v4, 7, v23
	v_ffbh_u32_e32 v4, v4
	v_min_u32_e32 v4, 32, v4
	v_subrev_nc_u32_e32 v11, 28, v4
	v_sub_nc_u32_e32 v4, 29, v4
	v_lshlrev_b64 v[28:29], v11, v[23:24]
; %bb.2752:                             ;   in Loop: Header=BB384_2086 Depth=1
	s_or_b32 exec_lo, exec_lo, s21
	v_lshlrev_b32_e32 v11, 20, v28
	v_lshlrev_b32_e32 v12, 24, v23
	v_lshl_add_u32 v4, v4, 23, 0x3c000000
	v_and_b32_e32 v11, 0x700000, v11
	v_and_b32_e32 v12, 0x80000000, v12
	v_or3_b32 v4, v11, v12, v4
.LBB384_2753:                           ;   in Loop: Header=BB384_2086 Depth=1
	s_or_b32 exec_lo, exec_lo, s20
.LBB384_2754:                           ;   in Loop: Header=BB384_2086 Depth=1
	s_or_b32 exec_lo, exec_lo, s18
.LBB384_2755:                           ;   in Loop: Header=BB384_2086 Depth=1
	s_or_b32 exec_lo, exec_lo, s17
	v_cmp_ne_u16_sdwa s4, v23, v13 src0_sel:BYTE_1 src1_sel:DWORD
	s_and_saveexec_b32 s17, s4
	s_cbranch_execz .LBB384_2763
; %bb.2756:                             ;   in Loop: Header=BB384_2086 Depth=1
	v_cmp_ne_u16_sdwa s4, v23, v116 src0_sel:BYTE_1 src1_sel:DWORD
	v_bfrev_b32_e32 v5, 1
	s_and_saveexec_b32 s18, s4
	s_cbranch_execz .LBB384_2762
; %bb.2757:                             ;   in Loop: Header=BB384_2086 Depth=1
	v_mov_b32_e32 v5, 0xffff
	s_mov_b32 s20, exec_lo
	v_and_b32_sdwa v12, v5, v23 dst_sel:DWORD dst_unused:UNUSED_PAD src0_sel:DWORD src1_sel:BYTE_1
	v_mov_b32_e32 v5, 0x7f800001
	v_and_b32_e32 v11, 0x7f, v12
	v_cmpx_ne_u32_e32 0x7f, v11
	s_cbranch_execz .LBB384_2761
; %bb.2758:                             ;   in Loop: Header=BB384_2086 Depth=1
	v_and_b32_e32 v12, 7, v12
	v_mov_b32_e32 v29, v13
	v_lshrrev_b32_e32 v5, 3, v11
	s_mov_b32 s21, exec_lo
	v_mov_b32_e32 v28, v12
	v_cmpx_gt_u32_e32 8, v11
; %bb.2759:                             ;   in Loop: Header=BB384_2086 Depth=1
	v_ffbh_u32_e32 v5, v12
	v_min_u32_e32 v5, 32, v5
	v_subrev_nc_u32_e32 v11, 28, v5
	v_sub_nc_u32_e32 v5, 29, v5
	v_lshlrev_b64 v[11:12], v11, v[12:13]
	v_and_b32_e32 v28, 7, v11
; %bb.2760:                             ;   in Loop: Header=BB384_2086 Depth=1
	s_or_b32 exec_lo, exec_lo, s21
	v_lshlrev_b32_e32 v11, 16, v23
	v_lshlrev_b32_e32 v12, 20, v28
	v_lshl_add_u32 v5, v5, 23, 0x3c000000
	v_and_b32_e32 v11, 0x80000000, v11
	v_or3_b32 v5, v12, v11, v5
.LBB384_2761:                           ;   in Loop: Header=BB384_2086 Depth=1
	s_or_b32 exec_lo, exec_lo, s20
.LBB384_2762:                           ;   in Loop: Header=BB384_2086 Depth=1
	s_or_b32 exec_lo, exec_lo, s18
.LBB384_2763:                           ;   in Loop: Header=BB384_2086 Depth=1
	s_or_b32 exec_lo, exec_lo, s17
	v_and_b32_sdwa v12, v23, v118 dst_sel:DWORD dst_unused:UNUSED_PAD src0_sel:WORD_1 src1_sel:DWORD
	v_mov_b32_e32 v16, 0
	v_mov_b32_e32 v11, 0
	s_mov_b32 s17, exec_lo
	v_cmpx_ne_u16_e32 0, v12
	s_cbranch_execz .LBB384_2771
; %bb.2764:                             ;   in Loop: Header=BB384_2086 Depth=1
	v_bfrev_b32_e32 v11, 1
	s_mov_b32 s18, exec_lo
	v_cmpx_ne_u16_e32 0x80, v12
	s_cbranch_execz .LBB384_2770
; %bb.2765:                             ;   in Loop: Header=BB384_2086 Depth=1
	v_bfe_u32 v17, v23, 16, 7
	v_mov_b32_e32 v11, 0x7f800001
	s_mov_b32 s20, exec_lo
	v_cmpx_ne_u32_e32 0x7f, v17
	s_cbranch_execz .LBB384_2769
; %bb.2766:                             ;   in Loop: Header=BB384_2086 Depth=1
	v_mov_b32_e32 v11, 7
	s_mov_b32 s21, exec_lo
	v_and_b32_sdwa v12, v23, v11 dst_sel:DWORD dst_unused:UNUSED_PAD src0_sel:WORD_1 src1_sel:DWORD
	v_mov_b32_e32 v29, v13
	v_lshrrev_b32_e32 v11, 3, v17
	v_mov_b32_e32 v28, v12
	v_cmpx_gt_u32_e32 8, v17
; %bb.2767:                             ;   in Loop: Header=BB384_2086 Depth=1
	v_ffbh_u32_e32 v11, v12
	v_min_u32_e32 v11, 32, v11
	v_subrev_nc_u32_e32 v17, 28, v11
	v_sub_nc_u32_e32 v11, 29, v11
	v_lshlrev_b64 v[28:29], v17, v[12:13]
	v_and_b32_e32 v28, 7, v28
; %bb.2768:                             ;   in Loop: Header=BB384_2086 Depth=1
	s_or_b32 exec_lo, exec_lo, s21
	v_mov_b32_e32 v12, 24
	v_lshlrev_b32_e32 v17, 20, v28
	v_lshl_add_u32 v11, v11, 23, 0x3c000000
	v_lshlrev_b32_sdwa v12, v12, v23 dst_sel:DWORD dst_unused:UNUSED_PAD src0_sel:DWORD src1_sel:WORD_1
	v_and_b32_e32 v12, 0x80000000, v12
	v_or3_b32 v11, v17, v12, v11
.LBB384_2769:                           ;   in Loop: Header=BB384_2086 Depth=1
	s_or_b32 exec_lo, exec_lo, s20
.LBB384_2770:                           ;   in Loop: Header=BB384_2086 Depth=1
	s_or_b32 exec_lo, exec_lo, s18
.LBB384_2771:                           ;   in Loop: Header=BB384_2086 Depth=1
	s_or_b32 exec_lo, exec_lo, s17
	s_mov_b32 s17, exec_lo
	v_cmpx_lt_u32_e32 0xffffff, v23
	s_cbranch_execz .LBB384_2779
; %bb.2772:                             ;   in Loop: Header=BB384_2086 Depth=1
	v_cmp_ne_u32_sdwa s4, v23, v116 src0_sel:BYTE_3 src1_sel:DWORD
	v_bfrev_b32_e32 v16, 1
	s_and_saveexec_b32 s18, s4
	s_cbranch_execz .LBB384_2778
; %bb.2773:                             ;   in Loop: Header=BB384_2086 Depth=1
	v_bfe_u32 v17, v23, 24, 7
	v_mov_b32_e32 v16, 0x7f800001
	s_mov_b32 s20, exec_lo
	v_cmpx_ne_u32_e32 0x7f, v17
	s_cbranch_execz .LBB384_2777
; %bb.2774:                             ;   in Loop: Header=BB384_2086 Depth=1
	v_mov_b32_e32 v12, 7
	v_lshrrev_b32_e32 v16, 3, v17
	s_mov_b32 s21, exec_lo
	v_and_b32_sdwa v12, v23, v12 dst_sel:DWORD dst_unused:UNUSED_PAD src0_sel:BYTE_3 src1_sel:DWORD
	v_mov_b32_e32 v29, v13
	v_mov_b32_e32 v28, v12
	v_cmpx_gt_u32_e32 8, v17
; %bb.2775:                             ;   in Loop: Header=BB384_2086 Depth=1
	v_ffbh_u32_e32 v16, v12
	v_min_u32_e32 v16, 32, v16
	v_subrev_nc_u32_e32 v17, 28, v16
	v_sub_nc_u32_e32 v16, 29, v16
	v_lshlrev_b64 v[28:29], v17, v[12:13]
	v_and_b32_e32 v28, 7, v28
; %bb.2776:                             ;   in Loop: Header=BB384_2086 Depth=1
	s_or_b32 exec_lo, exec_lo, s21
	v_mov_b32_e32 v12, 24
	v_lshlrev_b32_e32 v17, 20, v28
	v_lshl_add_u32 v16, v16, 23, 0x3c000000
	v_lshlrev_b32_sdwa v12, v12, v23 dst_sel:DWORD dst_unused:UNUSED_PAD src0_sel:DWORD src1_sel:BYTE_3
	v_and_b32_e32 v12, 0x80000000, v12
	v_or3_b32 v16, v17, v12, v16
.LBB384_2777:                           ;   in Loop: Header=BB384_2086 Depth=1
	s_or_b32 exec_lo, exec_lo, s20
.LBB384_2778:                           ;   in Loop: Header=BB384_2086 Depth=1
	s_or_b32 exec_lo, exec_lo, s18
.LBB384_2779:                           ;   in Loop: Header=BB384_2086 Depth=1
	s_or_b32 exec_lo, exec_lo, s17
	v_mov_b32_e32 v12, v24
	v_cmp_ne_u16_sdwa s4, v24, v13 src0_sel:BYTE_0 src1_sel:DWORD
	v_mov_b32_e32 v31, 0
	v_mov_b32_e32 v25, 0
	s_and_saveexec_b32 s17, s4
	s_cbranch_execz .LBB384_2787
; %bb.2780:                             ;   in Loop: Header=BB384_2086 Depth=1
	v_cmp_ne_u16_sdwa s4, v24, v116 src0_sel:BYTE_0 src1_sel:DWORD
	v_bfrev_b32_e32 v25, 1
	s_and_saveexec_b32 s18, s4
	s_cbranch_execz .LBB384_2786
; %bb.2781:                             ;   in Loop: Header=BB384_2086 Depth=1
	v_and_b32_e32 v22, 0x7f, v24
	v_mov_b32_e32 v25, 0x7f800001
	s_mov_b32 s20, exec_lo
	v_cmpx_ne_u32_e32 0x7f, v22
	s_cbranch_execz .LBB384_2785
; %bb.2782:                             ;   in Loop: Header=BB384_2086 Depth=1
	v_mov_b32_e32 v29, v13
	v_lshrrev_b32_e32 v17, 3, v22
	v_mov_b32_e32 v28, v12
	s_mov_b32 s21, exec_lo
	v_cmpx_gt_u32_e32 8, v22
; %bb.2783:                             ;   in Loop: Header=BB384_2086 Depth=1
	v_and_b32_e32 v17, 7, v24
	v_ffbh_u32_e32 v17, v17
	v_min_u32_e32 v17, 32, v17
	v_subrev_nc_u32_e32 v22, 28, v17
	v_sub_nc_u32_e32 v17, 29, v17
	v_lshlrev_b64 v[28:29], v22, v[12:13]
; %bb.2784:                             ;   in Loop: Header=BB384_2086 Depth=1
	s_or_b32 exec_lo, exec_lo, s21
	v_lshlrev_b32_e32 v22, 20, v28
	v_lshlrev_b32_e32 v25, 24, v12
	v_lshl_add_u32 v17, v17, 23, 0x3c000000
	v_and_b32_e32 v22, 0x700000, v22
	v_and_b32_e32 v25, 0x80000000, v25
	v_or3_b32 v25, v22, v25, v17
.LBB384_2785:                           ;   in Loop: Header=BB384_2086 Depth=1
	s_or_b32 exec_lo, exec_lo, s20
.LBB384_2786:                           ;   in Loop: Header=BB384_2086 Depth=1
	s_or_b32 exec_lo, exec_lo, s18
.LBB384_2787:                           ;   in Loop: Header=BB384_2086 Depth=1
	s_or_b32 exec_lo, exec_lo, s17
	v_cmp_ne_u16_sdwa s4, v12, v13 src0_sel:BYTE_1 src1_sel:DWORD
	s_and_saveexec_b32 s17, s4
	s_cbranch_execz .LBB384_2795
; %bb.2788:                             ;   in Loop: Header=BB384_2086 Depth=1
	v_cmp_ne_u16_sdwa s4, v12, v116 src0_sel:BYTE_1 src1_sel:DWORD
	v_bfrev_b32_e32 v31, 1
	s_and_saveexec_b32 s18, s4
	s_cbranch_execz .LBB384_2794
; %bb.2789:                             ;   in Loop: Header=BB384_2086 Depth=1
	v_mov_b32_e32 v17, 0xffff
	v_mov_b32_e32 v31, 0x7f800001
	s_mov_b32 s20, exec_lo
	v_and_b32_sdwa v17, v17, v12 dst_sel:DWORD dst_unused:UNUSED_PAD src0_sel:DWORD src1_sel:BYTE_1
	v_and_b32_e32 v22, 0x7f, v17
	v_cmpx_ne_u32_e32 0x7f, v22
	s_cbranch_execz .LBB384_2793
; %bb.2790:                             ;   in Loop: Header=BB384_2086 Depth=1
	v_and_b32_e32 v28, 7, v17
	v_mov_b32_e32 v29, v13
	v_lshrrev_b32_e32 v17, 3, v22
	s_mov_b32 s21, exec_lo
	v_cmpx_gt_u32_e32 8, v22
; %bb.2791:                             ;   in Loop: Header=BB384_2086 Depth=1
	v_ffbh_u32_e32 v17, v28
	v_min_u32_e32 v17, 32, v17
	v_subrev_nc_u32_e32 v22, 28, v17
	v_sub_nc_u32_e32 v17, 29, v17
	v_lshlrev_b64 v[28:29], v22, v[28:29]
	v_and_b32_e32 v28, 7, v28
; %bb.2792:                             ;   in Loop: Header=BB384_2086 Depth=1
	s_or_b32 exec_lo, exec_lo, s21
	v_lshlrev_b32_e32 v12, 16, v12
	v_lshlrev_b32_e32 v22, 20, v28
	v_lshl_add_u32 v17, v17, 23, 0x3c000000
	v_and_b32_e32 v12, 0x80000000, v12
	v_or3_b32 v31, v22, v12, v17
.LBB384_2793:                           ;   in Loop: Header=BB384_2086 Depth=1
	s_or_b32 exec_lo, exec_lo, s20
.LBB384_2794:                           ;   in Loop: Header=BB384_2086 Depth=1
	s_or_b32 exec_lo, exec_lo, s18
.LBB384_2795:                           ;   in Loop: Header=BB384_2086 Depth=1
	s_or_b32 exec_lo, exec_lo, s17
	v_and_b32_sdwa v12, v24, v118 dst_sel:DWORD dst_unused:UNUSED_PAD src0_sel:WORD_1 src1_sel:DWORD
	v_mov_b32_e32 v17, 0
	v_mov_b32_e32 v22, 0
	s_mov_b32 s17, exec_lo
	v_cmpx_ne_u16_e32 0, v12
	s_cbranch_execz .LBB384_2803
; %bb.2796:                             ;   in Loop: Header=BB384_2086 Depth=1
	v_bfrev_b32_e32 v22, 1
	s_mov_b32 s18, exec_lo
	v_cmpx_ne_u16_e32 0x80, v12
	s_cbranch_execz .LBB384_2802
; %bb.2797:                             ;   in Loop: Header=BB384_2086 Depth=1
	v_bfe_u32 v28, v24, 16, 7
	v_mov_b32_e32 v22, 0x7f800001
	s_mov_b32 s20, exec_lo
	v_cmpx_ne_u32_e32 0x7f, v28
	s_cbranch_execz .LBB384_2801
; %bb.2798:                             ;   in Loop: Header=BB384_2086 Depth=1
	v_mov_b32_e32 v12, 7
	v_lshrrev_b32_e32 v22, 3, v28
	v_cmp_gt_u32_e64 s4, 8, v28
	v_and_b32_sdwa v12, v24, v12 dst_sel:DWORD dst_unused:UNUSED_PAD src0_sel:WORD_1 src1_sel:DWORD
	v_mov_b32_e32 v29, v13
	v_mov_b32_e32 v28, v12
	s_and_saveexec_b32 s21, s4
; %bb.2799:                             ;   in Loop: Header=BB384_2086 Depth=1
	v_ffbh_u32_e32 v22, v12
	v_min_u32_e32 v22, 32, v22
	v_subrev_nc_u32_e32 v28, 28, v22
	v_sub_nc_u32_e32 v22, 29, v22
	v_lshlrev_b64 v[28:29], v28, v[12:13]
	v_and_b32_e32 v28, 7, v28
; %bb.2800:                             ;   in Loop: Header=BB384_2086 Depth=1
	s_or_b32 exec_lo, exec_lo, s21
	v_mov_b32_e32 v12, 24
	v_lshlrev_b32_e32 v28, 20, v28
	v_lshl_add_u32 v22, v22, 23, 0x3c000000
	v_lshlrev_b32_sdwa v12, v12, v24 dst_sel:DWORD dst_unused:UNUSED_PAD src0_sel:DWORD src1_sel:WORD_1
	v_and_b32_e32 v12, 0x80000000, v12
	v_or3_b32 v22, v28, v12, v22
.LBB384_2801:                           ;   in Loop: Header=BB384_2086 Depth=1
	s_or_b32 exec_lo, exec_lo, s20
.LBB384_2802:                           ;   in Loop: Header=BB384_2086 Depth=1
	s_or_b32 exec_lo, exec_lo, s18
.LBB384_2803:                           ;   in Loop: Header=BB384_2086 Depth=1
	s_or_b32 exec_lo, exec_lo, s17
	s_mov_b32 s17, exec_lo
	v_cmpx_lt_u64_e64 s[12:13], v[23:24]
	s_cbranch_execz .LBB384_2811
; %bb.2804:                             ;   in Loop: Header=BB384_2086 Depth=1
	v_cmp_ne_u32_sdwa s4, v24, v116 src0_sel:BYTE_3 src1_sel:DWORD
	v_bfrev_b32_e32 v17, 1
	s_and_saveexec_b32 s18, s4
	s_cbranch_execz .LBB384_2810
; %bb.2805:                             ;   in Loop: Header=BB384_2086 Depth=1
	v_bfe_u32 v23, v24, 24, 7
	v_mov_b32_e32 v17, 0x7f800001
	s_mov_b32 s20, exec_lo
	v_cmpx_ne_u32_e32 0x7f, v23
	s_cbranch_execz .LBB384_2809
; %bb.2806:                             ;   in Loop: Header=BB384_2086 Depth=1
	v_mov_b32_e32 v12, 7
	v_lshrrev_b32_e32 v17, 3, v23
	s_mov_b32 s21, exec_lo
	v_and_b32_sdwa v12, v24, v12 dst_sel:DWORD dst_unused:UNUSED_PAD src0_sel:BYTE_3 src1_sel:DWORD
	v_mov_b32_e32 v29, v13
	v_mov_b32_e32 v28, v12
	v_cmpx_gt_u32_e32 8, v23
; %bb.2807:                             ;   in Loop: Header=BB384_2086 Depth=1
	v_ffbh_u32_e32 v17, v12
	v_min_u32_e32 v17, 32, v17
	v_subrev_nc_u32_e32 v23, 28, v17
	v_sub_nc_u32_e32 v17, 29, v17
	v_lshlrev_b64 v[28:29], v23, v[12:13]
	v_and_b32_e32 v28, 7, v28
; %bb.2808:                             ;   in Loop: Header=BB384_2086 Depth=1
	s_or_b32 exec_lo, exec_lo, s21
	v_mov_b32_e32 v12, 24
	v_lshlrev_b32_e32 v23, 20, v28
	v_lshl_add_u32 v17, v17, 23, 0x3c000000
	v_lshlrev_b32_sdwa v12, v12, v24 dst_sel:DWORD dst_unused:UNUSED_PAD src0_sel:DWORD src1_sel:BYTE_3
	v_and_b32_e32 v12, 0x80000000, v12
	v_or3_b32 v17, v23, v12, v17
.LBB384_2809:                           ;   in Loop: Header=BB384_2086 Depth=1
	s_or_b32 exec_lo, exec_lo, s20
.LBB384_2810:                           ;   in Loop: Header=BB384_2086 Depth=1
	s_or_b32 exec_lo, exec_lo, s18
.LBB384_2811:                           ;   in Loop: Header=BB384_2086 Depth=1
	s_or_b32 exec_lo, exec_lo, s17
	v_mul_f32_e32 v12, v115, v31
	v_mul_f32_e32 v11, v115, v11
	;; [unrolled: 1-line block ×4, first 2 shown]
	v_bfe_u32 v23, v12, 16, 1
	v_or_b32_e32 v24, 0x400000, v12
	v_cmp_u_f32_e64 s4, v12, v12
	v_add3_u32 v23, v23, v12, 0x7fff
	v_cndmask_b32_e64 v12, v23, v24, s4
	v_lshrrev_b32_e32 v12, 16, v12
	buffer_store_dword v12, off, s[0:3], s32 offset:560 ; 4-byte Folded Spill
	v_mul_f32_e32 v12, v115, v25
	v_bfe_u32 v23, v12, 16, 1
	v_or_b32_e32 v24, 0x400000, v12
	v_cmp_u_f32_e64 s4, v12, v12
	v_add3_u32 v23, v23, v12, 0x7fff
	v_cndmask_b32_e64 v12, v23, v24, s4
	v_lshrrev_b32_e32 v12, 16, v12
	buffer_store_dword v12, off, s[0:3], s32 offset:564 ; 4-byte Folded Spill
	v_mul_f32_e32 v12, v115, v16
	v_bfe_u32 v16, v12, 16, 1
	v_or_b32_e32 v23, 0x400000, v12
	v_cmp_u_f32_e64 s4, v12, v12
	v_add3_u32 v16, v16, v12, 0x7fff
	v_cndmask_b32_e64 v12, v16, v23, s4
	v_or_b32_e32 v16, 0x400000, v11
	v_cmp_u_f32_e64 s4, v11, v11
	v_lshrrev_b32_e32 v12, 16, v12
	buffer_store_dword v12, off, s[0:3], s32 offset:568 ; 4-byte Folded Spill
	v_bfe_u32 v12, v11, 16, 1
	v_add3_u32 v12, v12, v11, 0x7fff
	v_cndmask_b32_e64 v11, v12, v16, s4
	v_or_b32_e32 v12, 0x400000, v5
	v_cmp_u_f32_e64 s4, v5, v5
	v_lshrrev_b32_e32 v11, 16, v11
	buffer_store_dword v11, off, s[0:3], s32 offset:572 ; 4-byte Folded Spill
	v_bfe_u32 v11, v5, 16, 1
	;; [unrolled: 7-line block ×3, first 2 shown]
	v_add3_u32 v5, v5, v4, 0x7fff
	v_cndmask_b32_e64 v4, v5, v11, s4
	v_lshrrev_b32_e32 v4, 16, v4
	buffer_store_dword v4, off, s[0:3], s32 offset:584 ; 4-byte Folded Spill
	v_mul_f32_e32 v4, v115, v22
	v_bfe_u32 v5, v4, 16, 1
	v_or_b32_e32 v11, 0x400000, v4
	v_cmp_u_f32_e64 s4, v4, v4
	v_add3_u32 v5, v5, v4, 0x7fff
	v_cndmask_b32_e64 v4, v5, v11, s4
	v_lshrrev_b32_e32 v4, 16, v4
	buffer_store_dword v4, off, s[0:3], s32 offset:576 ; 4-byte Folded Spill
	v_mul_f32_e32 v4, v115, v17
	v_bfe_u32 v5, v4, 16, 1
	v_or_b32_e32 v11, 0x400000, v4
	v_cmp_u_f32_e64 s4, v4, v4
	v_add3_u32 v5, v5, v4, 0x7fff
	v_cndmask_b32_e64 v4, v5, v11, s4
	v_lshrrev_b32_e32 v4, 16, v4
	buffer_store_dword v4, off, s[0:3], s32 offset:588 ; 4-byte Folded Spill
	s_and_saveexec_b32 s17, vcc_lo
	s_cbranch_execz .LBB384_2813
; %bb.2812:                             ;   in Loop: Header=BB384_2086 Depth=1
	buffer_load_dword v4, off, s[0:3], s32 offset:584 ; 4-byte Folded Reload
	v_cmp_lt_i32_e64 s4, v114, v48
	s_waitcnt vmcnt(0)
	v_cndmask_b32_e64 v4, 0, v4, s4
	v_cmp_lt_i32_e64 s4, v10, v48
	buffer_store_dword v4, off, s[0:3], s32 offset:584 ; 4-byte Folded Spill
	buffer_load_dword v4, off, s[0:3], s32 offset:580 ; 4-byte Folded Reload
	s_waitcnt vmcnt(0)
	v_cndmask_b32_e64 v4, 0, v4, s4
	v_cmp_lt_i32_e64 s4, v26, v48
	buffer_store_dword v4, off, s[0:3], s32 offset:580 ; 4-byte Folded Spill
	buffer_load_dword v4, off, s[0:3], s32 offset:572 ; 4-byte Folded Reload
	;; [unrolled: 5-line block ×7, first 2 shown]
	s_waitcnt vmcnt(0)
	v_cndmask_b32_e64 v4, 0, v4, s4
	buffer_store_dword v4, off, s[0:3], s32 offset:588 ; 4-byte Folded Spill
.LBB384_2813:                           ;   in Loop: Header=BB384_2086 Depth=1
	s_or_b32 exec_lo, exec_lo, s17
	flat_load_dwordx2 v[23:24], v[20:21] offset:768
	v_mov_b32_e32 v5, 0
	v_mov_b32_e32 v4, 0
	s_waitcnt vmcnt(0) lgkmcnt(0)
	v_cmp_ne_u16_sdwa s4, v23, v13 src0_sel:BYTE_0 src1_sel:DWORD
	s_and_saveexec_b32 s17, s4
	s_cbranch_execz .LBB384_2821
; %bb.2814:                             ;   in Loop: Header=BB384_2086 Depth=1
	v_cmp_ne_u16_sdwa s4, v23, v116 src0_sel:BYTE_0 src1_sel:DWORD
	v_bfrev_b32_e32 v4, 1
	s_and_saveexec_b32 s18, s4
	s_cbranch_execz .LBB384_2820
; %bb.2815:                             ;   in Loop: Header=BB384_2086 Depth=1
	v_and_b32_e32 v11, 0x7f, v23
	v_mov_b32_e32 v4, 0x7f800001
	s_mov_b32 s20, exec_lo
	v_cmpx_ne_u32_e32 0x7f, v11
	s_cbranch_execz .LBB384_2819
; %bb.2816:                             ;   in Loop: Header=BB384_2086 Depth=1
	v_mov_b32_e32 v29, v24
	v_lshrrev_b32_e32 v4, 3, v11
	v_mov_b32_e32 v28, v23
	s_mov_b32 s21, exec_lo
	v_cmpx_gt_u32_e32 8, v11
; %bb.2817:                             ;   in Loop: Header=BB384_2086 Depth=1
	v_and_b32_e32 v4, 7, v23
	v_ffbh_u32_e32 v4, v4
	v_min_u32_e32 v4, 32, v4
	v_subrev_nc_u32_e32 v11, 28, v4
	v_sub_nc_u32_e32 v4, 29, v4
	v_lshlrev_b64 v[28:29], v11, v[23:24]
; %bb.2818:                             ;   in Loop: Header=BB384_2086 Depth=1
	s_or_b32 exec_lo, exec_lo, s21
	v_lshlrev_b32_e32 v11, 20, v28
	v_lshlrev_b32_e32 v12, 24, v23
	v_lshl_add_u32 v4, v4, 23, 0x3c000000
	v_and_b32_e32 v11, 0x700000, v11
	v_and_b32_e32 v12, 0x80000000, v12
	v_or3_b32 v4, v11, v12, v4
.LBB384_2819:                           ;   in Loop: Header=BB384_2086 Depth=1
	s_or_b32 exec_lo, exec_lo, s20
.LBB384_2820:                           ;   in Loop: Header=BB384_2086 Depth=1
	s_or_b32 exec_lo, exec_lo, s18
.LBB384_2821:                           ;   in Loop: Header=BB384_2086 Depth=1
	s_or_b32 exec_lo, exec_lo, s17
	v_cmp_ne_u16_sdwa s4, v23, v13 src0_sel:BYTE_1 src1_sel:DWORD
	s_and_saveexec_b32 s17, s4
	s_cbranch_execz .LBB384_2829
; %bb.2822:                             ;   in Loop: Header=BB384_2086 Depth=1
	v_cmp_ne_u16_sdwa s4, v23, v116 src0_sel:BYTE_1 src1_sel:DWORD
	v_bfrev_b32_e32 v5, 1
	s_and_saveexec_b32 s18, s4
	s_cbranch_execz .LBB384_2828
; %bb.2823:                             ;   in Loop: Header=BB384_2086 Depth=1
	v_mov_b32_e32 v5, 0xffff
	s_mov_b32 s20, exec_lo
	v_and_b32_sdwa v12, v5, v23 dst_sel:DWORD dst_unused:UNUSED_PAD src0_sel:DWORD src1_sel:BYTE_1
	v_mov_b32_e32 v5, 0x7f800001
	v_and_b32_e32 v11, 0x7f, v12
	v_cmpx_ne_u32_e32 0x7f, v11
	s_cbranch_execz .LBB384_2827
; %bb.2824:                             ;   in Loop: Header=BB384_2086 Depth=1
	v_and_b32_e32 v12, 7, v12
	v_mov_b32_e32 v29, v13
	v_lshrrev_b32_e32 v5, 3, v11
	s_mov_b32 s21, exec_lo
	v_mov_b32_e32 v28, v12
	v_cmpx_gt_u32_e32 8, v11
; %bb.2825:                             ;   in Loop: Header=BB384_2086 Depth=1
	v_ffbh_u32_e32 v5, v12
	v_min_u32_e32 v5, 32, v5
	v_subrev_nc_u32_e32 v11, 28, v5
	v_sub_nc_u32_e32 v5, 29, v5
	v_lshlrev_b64 v[11:12], v11, v[12:13]
	v_and_b32_e32 v28, 7, v11
; %bb.2826:                             ;   in Loop: Header=BB384_2086 Depth=1
	s_or_b32 exec_lo, exec_lo, s21
	v_lshlrev_b32_e32 v11, 16, v23
	v_lshlrev_b32_e32 v12, 20, v28
	v_lshl_add_u32 v5, v5, 23, 0x3c000000
	v_and_b32_e32 v11, 0x80000000, v11
	v_or3_b32 v5, v12, v11, v5
.LBB384_2827:                           ;   in Loop: Header=BB384_2086 Depth=1
	s_or_b32 exec_lo, exec_lo, s20
.LBB384_2828:                           ;   in Loop: Header=BB384_2086 Depth=1
	s_or_b32 exec_lo, exec_lo, s18
.LBB384_2829:                           ;   in Loop: Header=BB384_2086 Depth=1
	s_or_b32 exec_lo, exec_lo, s17
	v_and_b32_sdwa v12, v23, v118 dst_sel:DWORD dst_unused:UNUSED_PAD src0_sel:WORD_1 src1_sel:DWORD
	v_mov_b32_e32 v16, 0
	v_mov_b32_e32 v11, 0
	s_mov_b32 s17, exec_lo
	v_cmpx_ne_u16_e32 0, v12
	s_cbranch_execz .LBB384_2837
; %bb.2830:                             ;   in Loop: Header=BB384_2086 Depth=1
	v_bfrev_b32_e32 v11, 1
	s_mov_b32 s18, exec_lo
	v_cmpx_ne_u16_e32 0x80, v12
	s_cbranch_execz .LBB384_2836
; %bb.2831:                             ;   in Loop: Header=BB384_2086 Depth=1
	v_bfe_u32 v17, v23, 16, 7
	v_mov_b32_e32 v11, 0x7f800001
	s_mov_b32 s20, exec_lo
	v_cmpx_ne_u32_e32 0x7f, v17
	s_cbranch_execz .LBB384_2835
; %bb.2832:                             ;   in Loop: Header=BB384_2086 Depth=1
	v_mov_b32_e32 v11, 7
	s_mov_b32 s21, exec_lo
	v_and_b32_sdwa v12, v23, v11 dst_sel:DWORD dst_unused:UNUSED_PAD src0_sel:WORD_1 src1_sel:DWORD
	v_mov_b32_e32 v29, v13
	v_lshrrev_b32_e32 v11, 3, v17
	v_mov_b32_e32 v28, v12
	v_cmpx_gt_u32_e32 8, v17
; %bb.2833:                             ;   in Loop: Header=BB384_2086 Depth=1
	v_ffbh_u32_e32 v11, v12
	v_min_u32_e32 v11, 32, v11
	v_subrev_nc_u32_e32 v17, 28, v11
	v_sub_nc_u32_e32 v11, 29, v11
	v_lshlrev_b64 v[28:29], v17, v[12:13]
	v_and_b32_e32 v28, 7, v28
; %bb.2834:                             ;   in Loop: Header=BB384_2086 Depth=1
	s_or_b32 exec_lo, exec_lo, s21
	v_mov_b32_e32 v12, 24
	v_lshlrev_b32_e32 v17, 20, v28
	v_lshl_add_u32 v11, v11, 23, 0x3c000000
	v_lshlrev_b32_sdwa v12, v12, v23 dst_sel:DWORD dst_unused:UNUSED_PAD src0_sel:DWORD src1_sel:WORD_1
	v_and_b32_e32 v12, 0x80000000, v12
	v_or3_b32 v11, v17, v12, v11
.LBB384_2835:                           ;   in Loop: Header=BB384_2086 Depth=1
	s_or_b32 exec_lo, exec_lo, s20
.LBB384_2836:                           ;   in Loop: Header=BB384_2086 Depth=1
	s_or_b32 exec_lo, exec_lo, s18
.LBB384_2837:                           ;   in Loop: Header=BB384_2086 Depth=1
	s_or_b32 exec_lo, exec_lo, s17
	s_mov_b32 s17, exec_lo
	v_cmpx_lt_u32_e32 0xffffff, v23
	s_cbranch_execz .LBB384_2845
; %bb.2838:                             ;   in Loop: Header=BB384_2086 Depth=1
	v_cmp_ne_u32_sdwa s4, v23, v116 src0_sel:BYTE_3 src1_sel:DWORD
	v_bfrev_b32_e32 v16, 1
	s_and_saveexec_b32 s18, s4
	s_cbranch_execz .LBB384_2844
; %bb.2839:                             ;   in Loop: Header=BB384_2086 Depth=1
	v_bfe_u32 v17, v23, 24, 7
	v_mov_b32_e32 v16, 0x7f800001
	s_mov_b32 s20, exec_lo
	v_cmpx_ne_u32_e32 0x7f, v17
	s_cbranch_execz .LBB384_2843
; %bb.2840:                             ;   in Loop: Header=BB384_2086 Depth=1
	v_mov_b32_e32 v12, 7
	v_lshrrev_b32_e32 v16, 3, v17
	s_mov_b32 s21, exec_lo
	v_and_b32_sdwa v12, v23, v12 dst_sel:DWORD dst_unused:UNUSED_PAD src0_sel:BYTE_3 src1_sel:DWORD
	v_mov_b32_e32 v29, v13
	v_mov_b32_e32 v28, v12
	v_cmpx_gt_u32_e32 8, v17
; %bb.2841:                             ;   in Loop: Header=BB384_2086 Depth=1
	v_ffbh_u32_e32 v16, v12
	v_min_u32_e32 v16, 32, v16
	v_subrev_nc_u32_e32 v17, 28, v16
	v_sub_nc_u32_e32 v16, 29, v16
	v_lshlrev_b64 v[28:29], v17, v[12:13]
	v_and_b32_e32 v28, 7, v28
; %bb.2842:                             ;   in Loop: Header=BB384_2086 Depth=1
	s_or_b32 exec_lo, exec_lo, s21
	v_mov_b32_e32 v12, 24
	v_lshlrev_b32_e32 v17, 20, v28
	v_lshl_add_u32 v16, v16, 23, 0x3c000000
	v_lshlrev_b32_sdwa v12, v12, v23 dst_sel:DWORD dst_unused:UNUSED_PAD src0_sel:DWORD src1_sel:BYTE_3
	v_and_b32_e32 v12, 0x80000000, v12
	v_or3_b32 v16, v17, v12, v16
.LBB384_2843:                           ;   in Loop: Header=BB384_2086 Depth=1
	s_or_b32 exec_lo, exec_lo, s20
.LBB384_2844:                           ;   in Loop: Header=BB384_2086 Depth=1
	s_or_b32 exec_lo, exec_lo, s18
.LBB384_2845:                           ;   in Loop: Header=BB384_2086 Depth=1
	s_or_b32 exec_lo, exec_lo, s17
	v_mov_b32_e32 v12, v24
	v_cmp_ne_u16_sdwa s4, v24, v13 src0_sel:BYTE_0 src1_sel:DWORD
	v_mov_b32_e32 v31, 0
	v_mov_b32_e32 v25, 0
	s_and_saveexec_b32 s17, s4
	s_cbranch_execz .LBB384_2853
; %bb.2846:                             ;   in Loop: Header=BB384_2086 Depth=1
	v_cmp_ne_u16_sdwa s4, v24, v116 src0_sel:BYTE_0 src1_sel:DWORD
	v_bfrev_b32_e32 v25, 1
	s_and_saveexec_b32 s18, s4
	s_cbranch_execz .LBB384_2852
; %bb.2847:                             ;   in Loop: Header=BB384_2086 Depth=1
	v_and_b32_e32 v22, 0x7f, v24
	v_mov_b32_e32 v25, 0x7f800001
	s_mov_b32 s20, exec_lo
	v_cmpx_ne_u32_e32 0x7f, v22
	s_cbranch_execz .LBB384_2851
; %bb.2848:                             ;   in Loop: Header=BB384_2086 Depth=1
	v_mov_b32_e32 v29, v13
	v_lshrrev_b32_e32 v17, 3, v22
	v_mov_b32_e32 v28, v12
	s_mov_b32 s21, exec_lo
	v_cmpx_gt_u32_e32 8, v22
; %bb.2849:                             ;   in Loop: Header=BB384_2086 Depth=1
	v_and_b32_e32 v17, 7, v24
	v_ffbh_u32_e32 v17, v17
	v_min_u32_e32 v17, 32, v17
	v_subrev_nc_u32_e32 v22, 28, v17
	v_sub_nc_u32_e32 v17, 29, v17
	v_lshlrev_b64 v[28:29], v22, v[12:13]
; %bb.2850:                             ;   in Loop: Header=BB384_2086 Depth=1
	s_or_b32 exec_lo, exec_lo, s21
	v_lshlrev_b32_e32 v22, 20, v28
	v_lshlrev_b32_e32 v25, 24, v12
	v_lshl_add_u32 v17, v17, 23, 0x3c000000
	v_and_b32_e32 v22, 0x700000, v22
	v_and_b32_e32 v25, 0x80000000, v25
	v_or3_b32 v25, v22, v25, v17
.LBB384_2851:                           ;   in Loop: Header=BB384_2086 Depth=1
	s_or_b32 exec_lo, exec_lo, s20
.LBB384_2852:                           ;   in Loop: Header=BB384_2086 Depth=1
	s_or_b32 exec_lo, exec_lo, s18
.LBB384_2853:                           ;   in Loop: Header=BB384_2086 Depth=1
	s_or_b32 exec_lo, exec_lo, s17
	v_cmp_ne_u16_sdwa s4, v12, v13 src0_sel:BYTE_1 src1_sel:DWORD
	s_and_saveexec_b32 s17, s4
	s_cbranch_execz .LBB384_2861
; %bb.2854:                             ;   in Loop: Header=BB384_2086 Depth=1
	v_cmp_ne_u16_sdwa s4, v12, v116 src0_sel:BYTE_1 src1_sel:DWORD
	v_bfrev_b32_e32 v31, 1
	s_and_saveexec_b32 s18, s4
	s_cbranch_execz .LBB384_2860
; %bb.2855:                             ;   in Loop: Header=BB384_2086 Depth=1
	v_mov_b32_e32 v17, 0xffff
	v_mov_b32_e32 v31, 0x7f800001
	s_mov_b32 s20, exec_lo
	v_and_b32_sdwa v17, v17, v12 dst_sel:DWORD dst_unused:UNUSED_PAD src0_sel:DWORD src1_sel:BYTE_1
	v_and_b32_e32 v22, 0x7f, v17
	v_cmpx_ne_u32_e32 0x7f, v22
	s_cbranch_execz .LBB384_2859
; %bb.2856:                             ;   in Loop: Header=BB384_2086 Depth=1
	v_and_b32_e32 v28, 7, v17
	v_mov_b32_e32 v29, v13
	v_lshrrev_b32_e32 v17, 3, v22
	s_mov_b32 s21, exec_lo
	v_cmpx_gt_u32_e32 8, v22
; %bb.2857:                             ;   in Loop: Header=BB384_2086 Depth=1
	v_ffbh_u32_e32 v17, v28
	v_min_u32_e32 v17, 32, v17
	v_subrev_nc_u32_e32 v22, 28, v17
	v_sub_nc_u32_e32 v17, 29, v17
	v_lshlrev_b64 v[28:29], v22, v[28:29]
	v_and_b32_e32 v28, 7, v28
; %bb.2858:                             ;   in Loop: Header=BB384_2086 Depth=1
	s_or_b32 exec_lo, exec_lo, s21
	v_lshlrev_b32_e32 v12, 16, v12
	v_lshlrev_b32_e32 v22, 20, v28
	v_lshl_add_u32 v17, v17, 23, 0x3c000000
	v_and_b32_e32 v12, 0x80000000, v12
	v_or3_b32 v31, v22, v12, v17
.LBB384_2859:                           ;   in Loop: Header=BB384_2086 Depth=1
	s_or_b32 exec_lo, exec_lo, s20
.LBB384_2860:                           ;   in Loop: Header=BB384_2086 Depth=1
	s_or_b32 exec_lo, exec_lo, s18
.LBB384_2861:                           ;   in Loop: Header=BB384_2086 Depth=1
	s_or_b32 exec_lo, exec_lo, s17
	v_and_b32_sdwa v12, v24, v118 dst_sel:DWORD dst_unused:UNUSED_PAD src0_sel:WORD_1 src1_sel:DWORD
	v_mov_b32_e32 v17, 0
	v_mov_b32_e32 v22, 0
	s_mov_b32 s17, exec_lo
	v_cmpx_ne_u16_e32 0, v12
	s_cbranch_execz .LBB384_2869
; %bb.2862:                             ;   in Loop: Header=BB384_2086 Depth=1
	v_bfrev_b32_e32 v22, 1
	s_mov_b32 s18, exec_lo
	v_cmpx_ne_u16_e32 0x80, v12
	s_cbranch_execz .LBB384_2868
; %bb.2863:                             ;   in Loop: Header=BB384_2086 Depth=1
	v_bfe_u32 v28, v24, 16, 7
	v_mov_b32_e32 v22, 0x7f800001
	s_mov_b32 s20, exec_lo
	v_cmpx_ne_u32_e32 0x7f, v28
	s_cbranch_execz .LBB384_2867
; %bb.2864:                             ;   in Loop: Header=BB384_2086 Depth=1
	v_mov_b32_e32 v12, 7
	v_lshrrev_b32_e32 v22, 3, v28
	v_cmp_gt_u32_e64 s4, 8, v28
	v_and_b32_sdwa v12, v24, v12 dst_sel:DWORD dst_unused:UNUSED_PAD src0_sel:WORD_1 src1_sel:DWORD
	v_mov_b32_e32 v29, v13
	v_mov_b32_e32 v28, v12
	s_and_saveexec_b32 s21, s4
; %bb.2865:                             ;   in Loop: Header=BB384_2086 Depth=1
	v_ffbh_u32_e32 v22, v12
	v_min_u32_e32 v22, 32, v22
	v_subrev_nc_u32_e32 v28, 28, v22
	v_sub_nc_u32_e32 v22, 29, v22
	v_lshlrev_b64 v[28:29], v28, v[12:13]
	v_and_b32_e32 v28, 7, v28
; %bb.2866:                             ;   in Loop: Header=BB384_2086 Depth=1
	s_or_b32 exec_lo, exec_lo, s21
	v_mov_b32_e32 v12, 24
	v_lshlrev_b32_e32 v28, 20, v28
	v_lshl_add_u32 v22, v22, 23, 0x3c000000
	v_lshlrev_b32_sdwa v12, v12, v24 dst_sel:DWORD dst_unused:UNUSED_PAD src0_sel:DWORD src1_sel:WORD_1
	v_and_b32_e32 v12, 0x80000000, v12
	v_or3_b32 v22, v28, v12, v22
.LBB384_2867:                           ;   in Loop: Header=BB384_2086 Depth=1
	s_or_b32 exec_lo, exec_lo, s20
.LBB384_2868:                           ;   in Loop: Header=BB384_2086 Depth=1
	s_or_b32 exec_lo, exec_lo, s18
.LBB384_2869:                           ;   in Loop: Header=BB384_2086 Depth=1
	s_or_b32 exec_lo, exec_lo, s17
	s_mov_b32 s17, exec_lo
	v_cmpx_lt_u64_e64 s[12:13], v[23:24]
	s_cbranch_execz .LBB384_2877
; %bb.2870:                             ;   in Loop: Header=BB384_2086 Depth=1
	v_cmp_ne_u32_sdwa s4, v24, v116 src0_sel:BYTE_3 src1_sel:DWORD
	v_bfrev_b32_e32 v17, 1
	s_and_saveexec_b32 s18, s4
	s_cbranch_execz .LBB384_2876
; %bb.2871:                             ;   in Loop: Header=BB384_2086 Depth=1
	v_bfe_u32 v23, v24, 24, 7
	v_mov_b32_e32 v17, 0x7f800001
	s_mov_b32 s20, exec_lo
	v_cmpx_ne_u32_e32 0x7f, v23
	s_cbranch_execz .LBB384_2875
; %bb.2872:                             ;   in Loop: Header=BB384_2086 Depth=1
	v_mov_b32_e32 v12, 7
	v_lshrrev_b32_e32 v17, 3, v23
	s_mov_b32 s21, exec_lo
	v_and_b32_sdwa v12, v24, v12 dst_sel:DWORD dst_unused:UNUSED_PAD src0_sel:BYTE_3 src1_sel:DWORD
	v_mov_b32_e32 v29, v13
	v_mov_b32_e32 v28, v12
	v_cmpx_gt_u32_e32 8, v23
; %bb.2873:                             ;   in Loop: Header=BB384_2086 Depth=1
	v_ffbh_u32_e32 v17, v12
	v_min_u32_e32 v17, 32, v17
	v_subrev_nc_u32_e32 v23, 28, v17
	v_sub_nc_u32_e32 v17, 29, v17
	v_lshlrev_b64 v[28:29], v23, v[12:13]
	v_and_b32_e32 v28, 7, v28
; %bb.2874:                             ;   in Loop: Header=BB384_2086 Depth=1
	s_or_b32 exec_lo, exec_lo, s21
	v_mov_b32_e32 v12, 24
	v_lshlrev_b32_e32 v23, 20, v28
	v_lshl_add_u32 v17, v17, 23, 0x3c000000
	v_lshlrev_b32_sdwa v12, v12, v24 dst_sel:DWORD dst_unused:UNUSED_PAD src0_sel:DWORD src1_sel:BYTE_3
	v_and_b32_e32 v12, 0x80000000, v12
	v_or3_b32 v17, v23, v12, v17
.LBB384_2875:                           ;   in Loop: Header=BB384_2086 Depth=1
	s_or_b32 exec_lo, exec_lo, s20
.LBB384_2876:                           ;   in Loop: Header=BB384_2086 Depth=1
	s_or_b32 exec_lo, exec_lo, s18
.LBB384_2877:                           ;   in Loop: Header=BB384_2086 Depth=1
	s_or_b32 exec_lo, exec_lo, s17
	v_mul_f32_e32 v12, v115, v31
	v_mul_f32_e32 v11, v115, v11
	;; [unrolled: 1-line block ×4, first 2 shown]
	v_bfe_u32 v23, v12, 16, 1
	v_or_b32_e32 v24, 0x400000, v12
	v_cmp_u_f32_e64 s4, v12, v12
	v_add3_u32 v23, v23, v12, 0x7fff
	v_cndmask_b32_e64 v12, v23, v24, s4
	v_lshrrev_b32_e32 v12, 16, v12
	buffer_store_dword v12, off, s[0:3], s32 offset:592 ; 4-byte Folded Spill
	v_mul_f32_e32 v12, v115, v25
	v_bfe_u32 v23, v12, 16, 1
	v_or_b32_e32 v24, 0x400000, v12
	v_cmp_u_f32_e64 s4, v12, v12
	v_add3_u32 v23, v23, v12, 0x7fff
	v_cndmask_b32_e64 v12, v23, v24, s4
	v_lshrrev_b32_e32 v12, 16, v12
	buffer_store_dword v12, off, s[0:3], s32 offset:596 ; 4-byte Folded Spill
	v_mul_f32_e32 v12, v115, v16
	v_bfe_u32 v16, v12, 16, 1
	v_or_b32_e32 v23, 0x400000, v12
	v_cmp_u_f32_e64 s4, v12, v12
	v_add3_u32 v16, v16, v12, 0x7fff
	v_cndmask_b32_e64 v12, v16, v23, s4
	v_or_b32_e32 v16, 0x400000, v11
	v_cmp_u_f32_e64 s4, v11, v11
	v_lshrrev_b32_e32 v12, 16, v12
	buffer_store_dword v12, off, s[0:3], s32 offset:600 ; 4-byte Folded Spill
	v_bfe_u32 v12, v11, 16, 1
	v_add3_u32 v12, v12, v11, 0x7fff
	v_cndmask_b32_e64 v11, v12, v16, s4
	v_or_b32_e32 v12, 0x400000, v5
	v_cmp_u_f32_e64 s4, v5, v5
	v_lshrrev_b32_e32 v11, 16, v11
	buffer_store_dword v11, off, s[0:3], s32 offset:604 ; 4-byte Folded Spill
	v_bfe_u32 v11, v5, 16, 1
	;; [unrolled: 7-line block ×3, first 2 shown]
	v_add3_u32 v5, v5, v4, 0x7fff
	v_cndmask_b32_e64 v4, v5, v11, s4
	v_lshrrev_b32_e32 v4, 16, v4
	buffer_store_dword v4, off, s[0:3], s32 offset:616 ; 4-byte Folded Spill
	v_mul_f32_e32 v4, v115, v22
	v_bfe_u32 v5, v4, 16, 1
	v_or_b32_e32 v11, 0x400000, v4
	v_cmp_u_f32_e64 s4, v4, v4
	v_add3_u32 v5, v5, v4, 0x7fff
	v_cndmask_b32_e64 v4, v5, v11, s4
	v_lshrrev_b32_e32 v4, 16, v4
	buffer_store_dword v4, off, s[0:3], s32 offset:608 ; 4-byte Folded Spill
	v_mul_f32_e32 v4, v115, v17
	v_bfe_u32 v5, v4, 16, 1
	v_or_b32_e32 v11, 0x400000, v4
	v_cmp_u_f32_e64 s4, v4, v4
	v_add3_u32 v5, v5, v4, 0x7fff
	v_cndmask_b32_e64 v4, v5, v11, s4
	v_lshrrev_b32_e32 v4, 16, v4
	buffer_store_dword v4, off, s[0:3], s32 offset:620 ; 4-byte Folded Spill
	s_and_saveexec_b32 s17, vcc_lo
	s_cbranch_execz .LBB384_2879
; %bb.2878:                             ;   in Loop: Header=BB384_2086 Depth=1
	buffer_load_dword v4, off, s[0:3], s32 offset:616 ; 4-byte Folded Reload
	v_cmp_lt_i32_e64 s4, v114, v48
	s_waitcnt vmcnt(0)
	v_cndmask_b32_e64 v4, 0, v4, s4
	v_cmp_lt_i32_e64 s4, v10, v48
	buffer_store_dword v4, off, s[0:3], s32 offset:616 ; 4-byte Folded Spill
	buffer_load_dword v4, off, s[0:3], s32 offset:612 ; 4-byte Folded Reload
	s_waitcnt vmcnt(0)
	v_cndmask_b32_e64 v4, 0, v4, s4
	v_cmp_lt_i32_e64 s4, v26, v48
	buffer_store_dword v4, off, s[0:3], s32 offset:612 ; 4-byte Folded Spill
	buffer_load_dword v4, off, s[0:3], s32 offset:604 ; 4-byte Folded Reload
	;; [unrolled: 5-line block ×7, first 2 shown]
	s_waitcnt vmcnt(0)
	v_cndmask_b32_e64 v4, 0, v4, s4
	buffer_store_dword v4, off, s[0:3], s32 offset:620 ; 4-byte Folded Spill
.LBB384_2879:                           ;   in Loop: Header=BB384_2086 Depth=1
	s_or_b32 exec_lo, exec_lo, s17
	flat_load_dwordx2 v[23:24], v[20:21] offset:1024
	v_mov_b32_e32 v5, 0
	v_mov_b32_e32 v4, 0
	s_waitcnt vmcnt(0) lgkmcnt(0)
	v_cmp_ne_u16_sdwa s4, v23, v13 src0_sel:BYTE_0 src1_sel:DWORD
	s_and_saveexec_b32 s17, s4
	s_cbranch_execz .LBB384_2887
; %bb.2880:                             ;   in Loop: Header=BB384_2086 Depth=1
	v_cmp_ne_u16_sdwa s4, v23, v116 src0_sel:BYTE_0 src1_sel:DWORD
	v_bfrev_b32_e32 v4, 1
	s_and_saveexec_b32 s18, s4
	s_cbranch_execz .LBB384_2886
; %bb.2881:                             ;   in Loop: Header=BB384_2086 Depth=1
	v_and_b32_e32 v11, 0x7f, v23
	v_mov_b32_e32 v4, 0x7f800001
	s_mov_b32 s20, exec_lo
	v_cmpx_ne_u32_e32 0x7f, v11
	s_cbranch_execz .LBB384_2885
; %bb.2882:                             ;   in Loop: Header=BB384_2086 Depth=1
	v_mov_b32_e32 v29, v24
	v_lshrrev_b32_e32 v4, 3, v11
	v_mov_b32_e32 v28, v23
	s_mov_b32 s21, exec_lo
	v_cmpx_gt_u32_e32 8, v11
; %bb.2883:                             ;   in Loop: Header=BB384_2086 Depth=1
	v_and_b32_e32 v4, 7, v23
	v_ffbh_u32_e32 v4, v4
	v_min_u32_e32 v4, 32, v4
	v_subrev_nc_u32_e32 v11, 28, v4
	v_sub_nc_u32_e32 v4, 29, v4
	v_lshlrev_b64 v[28:29], v11, v[23:24]
; %bb.2884:                             ;   in Loop: Header=BB384_2086 Depth=1
	s_or_b32 exec_lo, exec_lo, s21
	v_lshlrev_b32_e32 v11, 20, v28
	v_lshlrev_b32_e32 v12, 24, v23
	v_lshl_add_u32 v4, v4, 23, 0x3c000000
	v_and_b32_e32 v11, 0x700000, v11
	v_and_b32_e32 v12, 0x80000000, v12
	v_or3_b32 v4, v11, v12, v4
.LBB384_2885:                           ;   in Loop: Header=BB384_2086 Depth=1
	s_or_b32 exec_lo, exec_lo, s20
.LBB384_2886:                           ;   in Loop: Header=BB384_2086 Depth=1
	s_or_b32 exec_lo, exec_lo, s18
.LBB384_2887:                           ;   in Loop: Header=BB384_2086 Depth=1
	s_or_b32 exec_lo, exec_lo, s17
	v_cmp_ne_u16_sdwa s4, v23, v13 src0_sel:BYTE_1 src1_sel:DWORD
	s_and_saveexec_b32 s17, s4
	s_cbranch_execz .LBB384_2895
; %bb.2888:                             ;   in Loop: Header=BB384_2086 Depth=1
	v_cmp_ne_u16_sdwa s4, v23, v116 src0_sel:BYTE_1 src1_sel:DWORD
	v_bfrev_b32_e32 v5, 1
	s_and_saveexec_b32 s18, s4
	s_cbranch_execz .LBB384_2894
; %bb.2889:                             ;   in Loop: Header=BB384_2086 Depth=1
	v_mov_b32_e32 v5, 0xffff
	s_mov_b32 s20, exec_lo
	v_and_b32_sdwa v12, v5, v23 dst_sel:DWORD dst_unused:UNUSED_PAD src0_sel:DWORD src1_sel:BYTE_1
	v_mov_b32_e32 v5, 0x7f800001
	v_and_b32_e32 v11, 0x7f, v12
	v_cmpx_ne_u32_e32 0x7f, v11
	s_cbranch_execz .LBB384_2893
; %bb.2890:                             ;   in Loop: Header=BB384_2086 Depth=1
	v_and_b32_e32 v12, 7, v12
	v_mov_b32_e32 v29, v13
	v_lshrrev_b32_e32 v5, 3, v11
	s_mov_b32 s21, exec_lo
	v_mov_b32_e32 v28, v12
	v_cmpx_gt_u32_e32 8, v11
; %bb.2891:                             ;   in Loop: Header=BB384_2086 Depth=1
	v_ffbh_u32_e32 v5, v12
	v_min_u32_e32 v5, 32, v5
	v_subrev_nc_u32_e32 v11, 28, v5
	v_sub_nc_u32_e32 v5, 29, v5
	v_lshlrev_b64 v[11:12], v11, v[12:13]
	v_and_b32_e32 v28, 7, v11
; %bb.2892:                             ;   in Loop: Header=BB384_2086 Depth=1
	s_or_b32 exec_lo, exec_lo, s21
	v_lshlrev_b32_e32 v11, 16, v23
	v_lshlrev_b32_e32 v12, 20, v28
	v_lshl_add_u32 v5, v5, 23, 0x3c000000
	v_and_b32_e32 v11, 0x80000000, v11
	v_or3_b32 v5, v12, v11, v5
.LBB384_2893:                           ;   in Loop: Header=BB384_2086 Depth=1
	s_or_b32 exec_lo, exec_lo, s20
.LBB384_2894:                           ;   in Loop: Header=BB384_2086 Depth=1
	s_or_b32 exec_lo, exec_lo, s18
.LBB384_2895:                           ;   in Loop: Header=BB384_2086 Depth=1
	s_or_b32 exec_lo, exec_lo, s17
	v_and_b32_sdwa v12, v23, v118 dst_sel:DWORD dst_unused:UNUSED_PAD src0_sel:WORD_1 src1_sel:DWORD
	v_mov_b32_e32 v16, 0
	v_mov_b32_e32 v11, 0
	s_mov_b32 s17, exec_lo
	v_cmpx_ne_u16_e32 0, v12
	s_cbranch_execz .LBB384_2903
; %bb.2896:                             ;   in Loop: Header=BB384_2086 Depth=1
	v_bfrev_b32_e32 v11, 1
	s_mov_b32 s18, exec_lo
	v_cmpx_ne_u16_e32 0x80, v12
	s_cbranch_execz .LBB384_2902
; %bb.2897:                             ;   in Loop: Header=BB384_2086 Depth=1
	v_bfe_u32 v17, v23, 16, 7
	v_mov_b32_e32 v11, 0x7f800001
	s_mov_b32 s20, exec_lo
	v_cmpx_ne_u32_e32 0x7f, v17
	s_cbranch_execz .LBB384_2901
; %bb.2898:                             ;   in Loop: Header=BB384_2086 Depth=1
	v_mov_b32_e32 v11, 7
	s_mov_b32 s21, exec_lo
	v_and_b32_sdwa v12, v23, v11 dst_sel:DWORD dst_unused:UNUSED_PAD src0_sel:WORD_1 src1_sel:DWORD
	v_mov_b32_e32 v29, v13
	v_lshrrev_b32_e32 v11, 3, v17
	v_mov_b32_e32 v28, v12
	v_cmpx_gt_u32_e32 8, v17
; %bb.2899:                             ;   in Loop: Header=BB384_2086 Depth=1
	v_ffbh_u32_e32 v11, v12
	v_min_u32_e32 v11, 32, v11
	v_subrev_nc_u32_e32 v17, 28, v11
	v_sub_nc_u32_e32 v11, 29, v11
	v_lshlrev_b64 v[28:29], v17, v[12:13]
	v_and_b32_e32 v28, 7, v28
; %bb.2900:                             ;   in Loop: Header=BB384_2086 Depth=1
	s_or_b32 exec_lo, exec_lo, s21
	v_mov_b32_e32 v12, 24
	v_lshlrev_b32_e32 v17, 20, v28
	v_lshl_add_u32 v11, v11, 23, 0x3c000000
	v_lshlrev_b32_sdwa v12, v12, v23 dst_sel:DWORD dst_unused:UNUSED_PAD src0_sel:DWORD src1_sel:WORD_1
	v_and_b32_e32 v12, 0x80000000, v12
	v_or3_b32 v11, v17, v12, v11
.LBB384_2901:                           ;   in Loop: Header=BB384_2086 Depth=1
	s_or_b32 exec_lo, exec_lo, s20
.LBB384_2902:                           ;   in Loop: Header=BB384_2086 Depth=1
	s_or_b32 exec_lo, exec_lo, s18
.LBB384_2903:                           ;   in Loop: Header=BB384_2086 Depth=1
	s_or_b32 exec_lo, exec_lo, s17
	s_mov_b32 s17, exec_lo
	v_cmpx_lt_u32_e32 0xffffff, v23
	s_cbranch_execz .LBB384_2911
; %bb.2904:                             ;   in Loop: Header=BB384_2086 Depth=1
	v_cmp_ne_u32_sdwa s4, v23, v116 src0_sel:BYTE_3 src1_sel:DWORD
	v_bfrev_b32_e32 v16, 1
	s_and_saveexec_b32 s18, s4
	s_cbranch_execz .LBB384_2910
; %bb.2905:                             ;   in Loop: Header=BB384_2086 Depth=1
	v_bfe_u32 v17, v23, 24, 7
	v_mov_b32_e32 v16, 0x7f800001
	s_mov_b32 s20, exec_lo
	v_cmpx_ne_u32_e32 0x7f, v17
	s_cbranch_execz .LBB384_2909
; %bb.2906:                             ;   in Loop: Header=BB384_2086 Depth=1
	v_mov_b32_e32 v12, 7
	v_lshrrev_b32_e32 v16, 3, v17
	s_mov_b32 s21, exec_lo
	v_and_b32_sdwa v12, v23, v12 dst_sel:DWORD dst_unused:UNUSED_PAD src0_sel:BYTE_3 src1_sel:DWORD
	v_mov_b32_e32 v29, v13
	v_mov_b32_e32 v28, v12
	v_cmpx_gt_u32_e32 8, v17
; %bb.2907:                             ;   in Loop: Header=BB384_2086 Depth=1
	v_ffbh_u32_e32 v16, v12
	v_min_u32_e32 v16, 32, v16
	v_subrev_nc_u32_e32 v17, 28, v16
	v_sub_nc_u32_e32 v16, 29, v16
	v_lshlrev_b64 v[28:29], v17, v[12:13]
	v_and_b32_e32 v28, 7, v28
; %bb.2908:                             ;   in Loop: Header=BB384_2086 Depth=1
	s_or_b32 exec_lo, exec_lo, s21
	v_mov_b32_e32 v12, 24
	v_lshlrev_b32_e32 v17, 20, v28
	v_lshl_add_u32 v16, v16, 23, 0x3c000000
	v_lshlrev_b32_sdwa v12, v12, v23 dst_sel:DWORD dst_unused:UNUSED_PAD src0_sel:DWORD src1_sel:BYTE_3
	v_and_b32_e32 v12, 0x80000000, v12
	v_or3_b32 v16, v17, v12, v16
.LBB384_2909:                           ;   in Loop: Header=BB384_2086 Depth=1
	s_or_b32 exec_lo, exec_lo, s20
.LBB384_2910:                           ;   in Loop: Header=BB384_2086 Depth=1
	s_or_b32 exec_lo, exec_lo, s18
.LBB384_2911:                           ;   in Loop: Header=BB384_2086 Depth=1
	s_or_b32 exec_lo, exec_lo, s17
	v_mov_b32_e32 v12, v24
	v_cmp_ne_u16_sdwa s4, v24, v13 src0_sel:BYTE_0 src1_sel:DWORD
	v_mov_b32_e32 v31, 0
	v_mov_b32_e32 v25, 0
	s_and_saveexec_b32 s17, s4
	s_cbranch_execz .LBB384_2919
; %bb.2912:                             ;   in Loop: Header=BB384_2086 Depth=1
	v_cmp_ne_u16_sdwa s4, v24, v116 src0_sel:BYTE_0 src1_sel:DWORD
	v_bfrev_b32_e32 v25, 1
	s_and_saveexec_b32 s18, s4
	s_cbranch_execz .LBB384_2918
; %bb.2913:                             ;   in Loop: Header=BB384_2086 Depth=1
	v_and_b32_e32 v22, 0x7f, v24
	v_mov_b32_e32 v25, 0x7f800001
	s_mov_b32 s20, exec_lo
	v_cmpx_ne_u32_e32 0x7f, v22
	s_cbranch_execz .LBB384_2917
; %bb.2914:                             ;   in Loop: Header=BB384_2086 Depth=1
	v_mov_b32_e32 v29, v13
	v_lshrrev_b32_e32 v17, 3, v22
	v_mov_b32_e32 v28, v12
	s_mov_b32 s21, exec_lo
	v_cmpx_gt_u32_e32 8, v22
; %bb.2915:                             ;   in Loop: Header=BB384_2086 Depth=1
	v_and_b32_e32 v17, 7, v24
	v_ffbh_u32_e32 v17, v17
	v_min_u32_e32 v17, 32, v17
	v_subrev_nc_u32_e32 v22, 28, v17
	v_sub_nc_u32_e32 v17, 29, v17
	v_lshlrev_b64 v[28:29], v22, v[12:13]
; %bb.2916:                             ;   in Loop: Header=BB384_2086 Depth=1
	s_or_b32 exec_lo, exec_lo, s21
	v_lshlrev_b32_e32 v22, 20, v28
	v_lshlrev_b32_e32 v25, 24, v12
	v_lshl_add_u32 v17, v17, 23, 0x3c000000
	v_and_b32_e32 v22, 0x700000, v22
	v_and_b32_e32 v25, 0x80000000, v25
	v_or3_b32 v25, v22, v25, v17
.LBB384_2917:                           ;   in Loop: Header=BB384_2086 Depth=1
	s_or_b32 exec_lo, exec_lo, s20
.LBB384_2918:                           ;   in Loop: Header=BB384_2086 Depth=1
	s_or_b32 exec_lo, exec_lo, s18
.LBB384_2919:                           ;   in Loop: Header=BB384_2086 Depth=1
	s_or_b32 exec_lo, exec_lo, s17
	v_cmp_ne_u16_sdwa s4, v12, v13 src0_sel:BYTE_1 src1_sel:DWORD
	s_and_saveexec_b32 s17, s4
	s_cbranch_execz .LBB384_2927
; %bb.2920:                             ;   in Loop: Header=BB384_2086 Depth=1
	v_cmp_ne_u16_sdwa s4, v12, v116 src0_sel:BYTE_1 src1_sel:DWORD
	v_bfrev_b32_e32 v31, 1
	s_and_saveexec_b32 s18, s4
	s_cbranch_execz .LBB384_2926
; %bb.2921:                             ;   in Loop: Header=BB384_2086 Depth=1
	v_mov_b32_e32 v17, 0xffff
	v_mov_b32_e32 v31, 0x7f800001
	s_mov_b32 s20, exec_lo
	v_and_b32_sdwa v17, v17, v12 dst_sel:DWORD dst_unused:UNUSED_PAD src0_sel:DWORD src1_sel:BYTE_1
	v_and_b32_e32 v22, 0x7f, v17
	v_cmpx_ne_u32_e32 0x7f, v22
	s_cbranch_execz .LBB384_2925
; %bb.2922:                             ;   in Loop: Header=BB384_2086 Depth=1
	v_and_b32_e32 v28, 7, v17
	v_mov_b32_e32 v29, v13
	v_lshrrev_b32_e32 v17, 3, v22
	s_mov_b32 s21, exec_lo
	v_cmpx_gt_u32_e32 8, v22
; %bb.2923:                             ;   in Loop: Header=BB384_2086 Depth=1
	v_ffbh_u32_e32 v17, v28
	v_min_u32_e32 v17, 32, v17
	v_subrev_nc_u32_e32 v22, 28, v17
	v_sub_nc_u32_e32 v17, 29, v17
	v_lshlrev_b64 v[28:29], v22, v[28:29]
	v_and_b32_e32 v28, 7, v28
; %bb.2924:                             ;   in Loop: Header=BB384_2086 Depth=1
	s_or_b32 exec_lo, exec_lo, s21
	v_lshlrev_b32_e32 v12, 16, v12
	v_lshlrev_b32_e32 v22, 20, v28
	v_lshl_add_u32 v17, v17, 23, 0x3c000000
	v_and_b32_e32 v12, 0x80000000, v12
	v_or3_b32 v31, v22, v12, v17
.LBB384_2925:                           ;   in Loop: Header=BB384_2086 Depth=1
	s_or_b32 exec_lo, exec_lo, s20
.LBB384_2926:                           ;   in Loop: Header=BB384_2086 Depth=1
	s_or_b32 exec_lo, exec_lo, s18
.LBB384_2927:                           ;   in Loop: Header=BB384_2086 Depth=1
	s_or_b32 exec_lo, exec_lo, s17
	v_and_b32_sdwa v12, v24, v118 dst_sel:DWORD dst_unused:UNUSED_PAD src0_sel:WORD_1 src1_sel:DWORD
	v_mov_b32_e32 v17, 0
	v_mov_b32_e32 v22, 0
	s_mov_b32 s17, exec_lo
	v_cmpx_ne_u16_e32 0, v12
	s_cbranch_execz .LBB384_2935
; %bb.2928:                             ;   in Loop: Header=BB384_2086 Depth=1
	v_bfrev_b32_e32 v22, 1
	s_mov_b32 s18, exec_lo
	v_cmpx_ne_u16_e32 0x80, v12
	s_cbranch_execz .LBB384_2934
; %bb.2929:                             ;   in Loop: Header=BB384_2086 Depth=1
	v_bfe_u32 v28, v24, 16, 7
	v_mov_b32_e32 v22, 0x7f800001
	s_mov_b32 s20, exec_lo
	v_cmpx_ne_u32_e32 0x7f, v28
	s_cbranch_execz .LBB384_2933
; %bb.2930:                             ;   in Loop: Header=BB384_2086 Depth=1
	v_mov_b32_e32 v12, 7
	v_lshrrev_b32_e32 v22, 3, v28
	v_cmp_gt_u32_e64 s4, 8, v28
	v_and_b32_sdwa v12, v24, v12 dst_sel:DWORD dst_unused:UNUSED_PAD src0_sel:WORD_1 src1_sel:DWORD
	v_mov_b32_e32 v29, v13
	v_mov_b32_e32 v28, v12
	s_and_saveexec_b32 s21, s4
; %bb.2931:                             ;   in Loop: Header=BB384_2086 Depth=1
	v_ffbh_u32_e32 v22, v12
	v_min_u32_e32 v22, 32, v22
	v_subrev_nc_u32_e32 v28, 28, v22
	v_sub_nc_u32_e32 v22, 29, v22
	v_lshlrev_b64 v[28:29], v28, v[12:13]
	v_and_b32_e32 v28, 7, v28
; %bb.2932:                             ;   in Loop: Header=BB384_2086 Depth=1
	s_or_b32 exec_lo, exec_lo, s21
	v_mov_b32_e32 v12, 24
	v_lshlrev_b32_e32 v28, 20, v28
	v_lshl_add_u32 v22, v22, 23, 0x3c000000
	v_lshlrev_b32_sdwa v12, v12, v24 dst_sel:DWORD dst_unused:UNUSED_PAD src0_sel:DWORD src1_sel:WORD_1
	v_and_b32_e32 v12, 0x80000000, v12
	v_or3_b32 v22, v28, v12, v22
.LBB384_2933:                           ;   in Loop: Header=BB384_2086 Depth=1
	s_or_b32 exec_lo, exec_lo, s20
.LBB384_2934:                           ;   in Loop: Header=BB384_2086 Depth=1
	s_or_b32 exec_lo, exec_lo, s18
.LBB384_2935:                           ;   in Loop: Header=BB384_2086 Depth=1
	s_or_b32 exec_lo, exec_lo, s17
	s_mov_b32 s17, exec_lo
	v_cmpx_lt_u64_e64 s[12:13], v[23:24]
	s_cbranch_execz .LBB384_2943
; %bb.2936:                             ;   in Loop: Header=BB384_2086 Depth=1
	v_cmp_ne_u32_sdwa s4, v24, v116 src0_sel:BYTE_3 src1_sel:DWORD
	v_bfrev_b32_e32 v17, 1
	s_and_saveexec_b32 s18, s4
	s_cbranch_execz .LBB384_2942
; %bb.2937:                             ;   in Loop: Header=BB384_2086 Depth=1
	v_bfe_u32 v23, v24, 24, 7
	v_mov_b32_e32 v17, 0x7f800001
	s_mov_b32 s20, exec_lo
	v_cmpx_ne_u32_e32 0x7f, v23
	s_cbranch_execz .LBB384_2941
; %bb.2938:                             ;   in Loop: Header=BB384_2086 Depth=1
	v_mov_b32_e32 v12, 7
	v_lshrrev_b32_e32 v17, 3, v23
	s_mov_b32 s21, exec_lo
	v_and_b32_sdwa v12, v24, v12 dst_sel:DWORD dst_unused:UNUSED_PAD src0_sel:BYTE_3 src1_sel:DWORD
	v_mov_b32_e32 v29, v13
	v_mov_b32_e32 v28, v12
	v_cmpx_gt_u32_e32 8, v23
; %bb.2939:                             ;   in Loop: Header=BB384_2086 Depth=1
	v_ffbh_u32_e32 v17, v12
	v_min_u32_e32 v17, 32, v17
	v_subrev_nc_u32_e32 v23, 28, v17
	v_sub_nc_u32_e32 v17, 29, v17
	v_lshlrev_b64 v[28:29], v23, v[12:13]
	v_and_b32_e32 v28, 7, v28
; %bb.2940:                             ;   in Loop: Header=BB384_2086 Depth=1
	s_or_b32 exec_lo, exec_lo, s21
	v_mov_b32_e32 v12, 24
	v_lshlrev_b32_e32 v23, 20, v28
	v_lshl_add_u32 v17, v17, 23, 0x3c000000
	v_lshlrev_b32_sdwa v12, v12, v24 dst_sel:DWORD dst_unused:UNUSED_PAD src0_sel:DWORD src1_sel:BYTE_3
	v_and_b32_e32 v12, 0x80000000, v12
	v_or3_b32 v17, v23, v12, v17
.LBB384_2941:                           ;   in Loop: Header=BB384_2086 Depth=1
	s_or_b32 exec_lo, exec_lo, s20
.LBB384_2942:                           ;   in Loop: Header=BB384_2086 Depth=1
	s_or_b32 exec_lo, exec_lo, s18
.LBB384_2943:                           ;   in Loop: Header=BB384_2086 Depth=1
	s_or_b32 exec_lo, exec_lo, s17
	v_mul_f32_e32 v12, v115, v31
	v_mul_f32_e32 v11, v115, v11
	;; [unrolled: 1-line block ×4, first 2 shown]
	v_bfe_u32 v23, v12, 16, 1
	v_or_b32_e32 v24, 0x400000, v12
	v_cmp_u_f32_e64 s4, v12, v12
	v_add3_u32 v23, v23, v12, 0x7fff
	v_cndmask_b32_e64 v12, v23, v24, s4
	v_lshrrev_b32_e32 v12, 16, v12
	buffer_store_dword v12, off, s[0:3], s32 offset:624 ; 4-byte Folded Spill
	v_mul_f32_e32 v12, v115, v25
	v_bfe_u32 v23, v12, 16, 1
	v_or_b32_e32 v24, 0x400000, v12
	v_cmp_u_f32_e64 s4, v12, v12
	v_add3_u32 v23, v23, v12, 0x7fff
	v_cndmask_b32_e64 v12, v23, v24, s4
	v_lshrrev_b32_e32 v12, 16, v12
	buffer_store_dword v12, off, s[0:3], s32 offset:628 ; 4-byte Folded Spill
	v_mul_f32_e32 v12, v115, v16
	v_bfe_u32 v16, v12, 16, 1
	v_or_b32_e32 v23, 0x400000, v12
	v_cmp_u_f32_e64 s4, v12, v12
	v_add3_u32 v16, v16, v12, 0x7fff
	v_cndmask_b32_e64 v12, v16, v23, s4
	v_or_b32_e32 v16, 0x400000, v11
	v_cmp_u_f32_e64 s4, v11, v11
	v_lshrrev_b32_e32 v12, 16, v12
	buffer_store_dword v12, off, s[0:3], s32 offset:632 ; 4-byte Folded Spill
	v_bfe_u32 v12, v11, 16, 1
	v_add3_u32 v12, v12, v11, 0x7fff
	v_cndmask_b32_e64 v11, v12, v16, s4
	v_or_b32_e32 v12, 0x400000, v5
	v_cmp_u_f32_e64 s4, v5, v5
	v_lshrrev_b32_e32 v11, 16, v11
	buffer_store_dword v11, off, s[0:3], s32 offset:636 ; 4-byte Folded Spill
	v_bfe_u32 v11, v5, 16, 1
	;; [unrolled: 7-line block ×3, first 2 shown]
	v_add3_u32 v5, v5, v4, 0x7fff
	v_cndmask_b32_e64 v4, v5, v11, s4
	v_lshrrev_b32_e32 v4, 16, v4
	buffer_store_dword v4, off, s[0:3], s32 offset:648 ; 4-byte Folded Spill
	v_mul_f32_e32 v4, v115, v22
	v_bfe_u32 v5, v4, 16, 1
	v_or_b32_e32 v11, 0x400000, v4
	v_cmp_u_f32_e64 s4, v4, v4
	v_add3_u32 v5, v5, v4, 0x7fff
	v_cndmask_b32_e64 v4, v5, v11, s4
	v_lshrrev_b32_e32 v4, 16, v4
	buffer_store_dword v4, off, s[0:3], s32 offset:640 ; 4-byte Folded Spill
	v_mul_f32_e32 v4, v115, v17
	v_bfe_u32 v5, v4, 16, 1
	v_or_b32_e32 v11, 0x400000, v4
	v_cmp_u_f32_e64 s4, v4, v4
	v_add3_u32 v5, v5, v4, 0x7fff
	v_cndmask_b32_e64 v4, v5, v11, s4
	v_lshrrev_b32_e32 v4, 16, v4
	buffer_store_dword v4, off, s[0:3], s32 offset:652 ; 4-byte Folded Spill
	s_and_saveexec_b32 s17, vcc_lo
	s_cbranch_execz .LBB384_2945
; %bb.2944:                             ;   in Loop: Header=BB384_2086 Depth=1
	buffer_load_dword v4, off, s[0:3], s32 offset:648 ; 4-byte Folded Reload
	v_cmp_lt_i32_e64 s4, v114, v48
	s_waitcnt vmcnt(0)
	v_cndmask_b32_e64 v4, 0, v4, s4
	v_cmp_lt_i32_e64 s4, v10, v48
	buffer_store_dword v4, off, s[0:3], s32 offset:648 ; 4-byte Folded Spill
	buffer_load_dword v4, off, s[0:3], s32 offset:644 ; 4-byte Folded Reload
	s_waitcnt vmcnt(0)
	v_cndmask_b32_e64 v4, 0, v4, s4
	v_cmp_lt_i32_e64 s4, v26, v48
	buffer_store_dword v4, off, s[0:3], s32 offset:644 ; 4-byte Folded Spill
	buffer_load_dword v4, off, s[0:3], s32 offset:636 ; 4-byte Folded Reload
	;; [unrolled: 5-line block ×7, first 2 shown]
	s_waitcnt vmcnt(0)
	v_cndmask_b32_e64 v4, 0, v4, s4
	buffer_store_dword v4, off, s[0:3], s32 offset:652 ; 4-byte Folded Spill
.LBB384_2945:                           ;   in Loop: Header=BB384_2086 Depth=1
	s_or_b32 exec_lo, exec_lo, s17
	flat_load_dwordx2 v[23:24], v[20:21] offset:1280
	v_mov_b32_e32 v5, 0
	v_mov_b32_e32 v4, 0
	s_waitcnt vmcnt(0) lgkmcnt(0)
	v_cmp_ne_u16_sdwa s4, v23, v13 src0_sel:BYTE_0 src1_sel:DWORD
	s_and_saveexec_b32 s17, s4
	s_cbranch_execz .LBB384_2953
; %bb.2946:                             ;   in Loop: Header=BB384_2086 Depth=1
	v_cmp_ne_u16_sdwa s4, v23, v116 src0_sel:BYTE_0 src1_sel:DWORD
	v_bfrev_b32_e32 v4, 1
	s_and_saveexec_b32 s18, s4
	s_cbranch_execz .LBB384_2952
; %bb.2947:                             ;   in Loop: Header=BB384_2086 Depth=1
	v_and_b32_e32 v11, 0x7f, v23
	v_mov_b32_e32 v4, 0x7f800001
	s_mov_b32 s20, exec_lo
	v_cmpx_ne_u32_e32 0x7f, v11
	s_cbranch_execz .LBB384_2951
; %bb.2948:                             ;   in Loop: Header=BB384_2086 Depth=1
	v_mov_b32_e32 v29, v24
	v_lshrrev_b32_e32 v4, 3, v11
	v_mov_b32_e32 v28, v23
	s_mov_b32 s21, exec_lo
	v_cmpx_gt_u32_e32 8, v11
; %bb.2949:                             ;   in Loop: Header=BB384_2086 Depth=1
	v_and_b32_e32 v4, 7, v23
	v_ffbh_u32_e32 v4, v4
	v_min_u32_e32 v4, 32, v4
	v_subrev_nc_u32_e32 v11, 28, v4
	v_sub_nc_u32_e32 v4, 29, v4
	v_lshlrev_b64 v[28:29], v11, v[23:24]
; %bb.2950:                             ;   in Loop: Header=BB384_2086 Depth=1
	s_or_b32 exec_lo, exec_lo, s21
	v_lshlrev_b32_e32 v11, 20, v28
	v_lshlrev_b32_e32 v12, 24, v23
	v_lshl_add_u32 v4, v4, 23, 0x3c000000
	v_and_b32_e32 v11, 0x700000, v11
	v_and_b32_e32 v12, 0x80000000, v12
	v_or3_b32 v4, v11, v12, v4
.LBB384_2951:                           ;   in Loop: Header=BB384_2086 Depth=1
	s_or_b32 exec_lo, exec_lo, s20
.LBB384_2952:                           ;   in Loop: Header=BB384_2086 Depth=1
	s_or_b32 exec_lo, exec_lo, s18
.LBB384_2953:                           ;   in Loop: Header=BB384_2086 Depth=1
	s_or_b32 exec_lo, exec_lo, s17
	v_cmp_ne_u16_sdwa s4, v23, v13 src0_sel:BYTE_1 src1_sel:DWORD
	s_and_saveexec_b32 s17, s4
	s_cbranch_execz .LBB384_2961
; %bb.2954:                             ;   in Loop: Header=BB384_2086 Depth=1
	v_cmp_ne_u16_sdwa s4, v23, v116 src0_sel:BYTE_1 src1_sel:DWORD
	v_bfrev_b32_e32 v5, 1
	s_and_saveexec_b32 s18, s4
	s_cbranch_execz .LBB384_2960
; %bb.2955:                             ;   in Loop: Header=BB384_2086 Depth=1
	v_mov_b32_e32 v5, 0xffff
	s_mov_b32 s20, exec_lo
	v_and_b32_sdwa v12, v5, v23 dst_sel:DWORD dst_unused:UNUSED_PAD src0_sel:DWORD src1_sel:BYTE_1
	v_mov_b32_e32 v5, 0x7f800001
	v_and_b32_e32 v11, 0x7f, v12
	v_cmpx_ne_u32_e32 0x7f, v11
	s_cbranch_execz .LBB384_2959
; %bb.2956:                             ;   in Loop: Header=BB384_2086 Depth=1
	v_and_b32_e32 v12, 7, v12
	v_mov_b32_e32 v29, v13
	v_lshrrev_b32_e32 v5, 3, v11
	s_mov_b32 s21, exec_lo
	v_mov_b32_e32 v28, v12
	v_cmpx_gt_u32_e32 8, v11
; %bb.2957:                             ;   in Loop: Header=BB384_2086 Depth=1
	v_ffbh_u32_e32 v5, v12
	v_min_u32_e32 v5, 32, v5
	v_subrev_nc_u32_e32 v11, 28, v5
	v_sub_nc_u32_e32 v5, 29, v5
	v_lshlrev_b64 v[11:12], v11, v[12:13]
	v_and_b32_e32 v28, 7, v11
; %bb.2958:                             ;   in Loop: Header=BB384_2086 Depth=1
	s_or_b32 exec_lo, exec_lo, s21
	v_lshlrev_b32_e32 v11, 16, v23
	v_lshlrev_b32_e32 v12, 20, v28
	v_lshl_add_u32 v5, v5, 23, 0x3c000000
	v_and_b32_e32 v11, 0x80000000, v11
	v_or3_b32 v5, v12, v11, v5
.LBB384_2959:                           ;   in Loop: Header=BB384_2086 Depth=1
	s_or_b32 exec_lo, exec_lo, s20
.LBB384_2960:                           ;   in Loop: Header=BB384_2086 Depth=1
	s_or_b32 exec_lo, exec_lo, s18
.LBB384_2961:                           ;   in Loop: Header=BB384_2086 Depth=1
	s_or_b32 exec_lo, exec_lo, s17
	v_and_b32_sdwa v12, v23, v118 dst_sel:DWORD dst_unused:UNUSED_PAD src0_sel:WORD_1 src1_sel:DWORD
	v_mov_b32_e32 v16, 0
	v_mov_b32_e32 v11, 0
	s_mov_b32 s17, exec_lo
	v_cmpx_ne_u16_e32 0, v12
	s_cbranch_execz .LBB384_2969
; %bb.2962:                             ;   in Loop: Header=BB384_2086 Depth=1
	v_bfrev_b32_e32 v11, 1
	s_mov_b32 s18, exec_lo
	v_cmpx_ne_u16_e32 0x80, v12
	s_cbranch_execz .LBB384_2968
; %bb.2963:                             ;   in Loop: Header=BB384_2086 Depth=1
	v_bfe_u32 v17, v23, 16, 7
	v_mov_b32_e32 v11, 0x7f800001
	s_mov_b32 s20, exec_lo
	v_cmpx_ne_u32_e32 0x7f, v17
	s_cbranch_execz .LBB384_2967
; %bb.2964:                             ;   in Loop: Header=BB384_2086 Depth=1
	v_mov_b32_e32 v11, 7
	s_mov_b32 s21, exec_lo
	v_and_b32_sdwa v12, v23, v11 dst_sel:DWORD dst_unused:UNUSED_PAD src0_sel:WORD_1 src1_sel:DWORD
	v_mov_b32_e32 v29, v13
	v_lshrrev_b32_e32 v11, 3, v17
	v_mov_b32_e32 v28, v12
	v_cmpx_gt_u32_e32 8, v17
; %bb.2965:                             ;   in Loop: Header=BB384_2086 Depth=1
	v_ffbh_u32_e32 v11, v12
	v_min_u32_e32 v11, 32, v11
	v_subrev_nc_u32_e32 v17, 28, v11
	v_sub_nc_u32_e32 v11, 29, v11
	v_lshlrev_b64 v[28:29], v17, v[12:13]
	v_and_b32_e32 v28, 7, v28
; %bb.2966:                             ;   in Loop: Header=BB384_2086 Depth=1
	s_or_b32 exec_lo, exec_lo, s21
	v_mov_b32_e32 v12, 24
	v_lshlrev_b32_e32 v17, 20, v28
	v_lshl_add_u32 v11, v11, 23, 0x3c000000
	v_lshlrev_b32_sdwa v12, v12, v23 dst_sel:DWORD dst_unused:UNUSED_PAD src0_sel:DWORD src1_sel:WORD_1
	v_and_b32_e32 v12, 0x80000000, v12
	v_or3_b32 v11, v17, v12, v11
.LBB384_2967:                           ;   in Loop: Header=BB384_2086 Depth=1
	s_or_b32 exec_lo, exec_lo, s20
.LBB384_2968:                           ;   in Loop: Header=BB384_2086 Depth=1
	s_or_b32 exec_lo, exec_lo, s18
.LBB384_2969:                           ;   in Loop: Header=BB384_2086 Depth=1
	s_or_b32 exec_lo, exec_lo, s17
	s_mov_b32 s17, exec_lo
	v_cmpx_lt_u32_e32 0xffffff, v23
	s_cbranch_execz .LBB384_2977
; %bb.2970:                             ;   in Loop: Header=BB384_2086 Depth=1
	v_cmp_ne_u32_sdwa s4, v23, v116 src0_sel:BYTE_3 src1_sel:DWORD
	v_bfrev_b32_e32 v16, 1
	s_and_saveexec_b32 s18, s4
	s_cbranch_execz .LBB384_2976
; %bb.2971:                             ;   in Loop: Header=BB384_2086 Depth=1
	v_bfe_u32 v17, v23, 24, 7
	v_mov_b32_e32 v16, 0x7f800001
	s_mov_b32 s20, exec_lo
	v_cmpx_ne_u32_e32 0x7f, v17
	s_cbranch_execz .LBB384_2975
; %bb.2972:                             ;   in Loop: Header=BB384_2086 Depth=1
	v_mov_b32_e32 v12, 7
	v_lshrrev_b32_e32 v16, 3, v17
	s_mov_b32 s21, exec_lo
	v_and_b32_sdwa v12, v23, v12 dst_sel:DWORD dst_unused:UNUSED_PAD src0_sel:BYTE_3 src1_sel:DWORD
	v_mov_b32_e32 v29, v13
	v_mov_b32_e32 v28, v12
	v_cmpx_gt_u32_e32 8, v17
; %bb.2973:                             ;   in Loop: Header=BB384_2086 Depth=1
	v_ffbh_u32_e32 v16, v12
	v_min_u32_e32 v16, 32, v16
	v_subrev_nc_u32_e32 v17, 28, v16
	v_sub_nc_u32_e32 v16, 29, v16
	v_lshlrev_b64 v[28:29], v17, v[12:13]
	v_and_b32_e32 v28, 7, v28
; %bb.2974:                             ;   in Loop: Header=BB384_2086 Depth=1
	s_or_b32 exec_lo, exec_lo, s21
	v_mov_b32_e32 v12, 24
	v_lshlrev_b32_e32 v17, 20, v28
	v_lshl_add_u32 v16, v16, 23, 0x3c000000
	v_lshlrev_b32_sdwa v12, v12, v23 dst_sel:DWORD dst_unused:UNUSED_PAD src0_sel:DWORD src1_sel:BYTE_3
	v_and_b32_e32 v12, 0x80000000, v12
	v_or3_b32 v16, v17, v12, v16
.LBB384_2975:                           ;   in Loop: Header=BB384_2086 Depth=1
	s_or_b32 exec_lo, exec_lo, s20
.LBB384_2976:                           ;   in Loop: Header=BB384_2086 Depth=1
	s_or_b32 exec_lo, exec_lo, s18
.LBB384_2977:                           ;   in Loop: Header=BB384_2086 Depth=1
	s_or_b32 exec_lo, exec_lo, s17
	v_mov_b32_e32 v12, v24
	v_cmp_ne_u16_sdwa s4, v24, v13 src0_sel:BYTE_0 src1_sel:DWORD
	v_mov_b32_e32 v31, 0
	v_mov_b32_e32 v25, 0
	s_and_saveexec_b32 s17, s4
	s_cbranch_execz .LBB384_2985
; %bb.2978:                             ;   in Loop: Header=BB384_2086 Depth=1
	v_cmp_ne_u16_sdwa s4, v24, v116 src0_sel:BYTE_0 src1_sel:DWORD
	v_bfrev_b32_e32 v25, 1
	s_and_saveexec_b32 s18, s4
	s_cbranch_execz .LBB384_2984
; %bb.2979:                             ;   in Loop: Header=BB384_2086 Depth=1
	v_and_b32_e32 v22, 0x7f, v24
	v_mov_b32_e32 v25, 0x7f800001
	s_mov_b32 s20, exec_lo
	v_cmpx_ne_u32_e32 0x7f, v22
	s_cbranch_execz .LBB384_2983
; %bb.2980:                             ;   in Loop: Header=BB384_2086 Depth=1
	v_mov_b32_e32 v29, v13
	v_lshrrev_b32_e32 v17, 3, v22
	v_mov_b32_e32 v28, v12
	s_mov_b32 s21, exec_lo
	v_cmpx_gt_u32_e32 8, v22
; %bb.2981:                             ;   in Loop: Header=BB384_2086 Depth=1
	v_and_b32_e32 v17, 7, v24
	v_ffbh_u32_e32 v17, v17
	v_min_u32_e32 v17, 32, v17
	v_subrev_nc_u32_e32 v22, 28, v17
	v_sub_nc_u32_e32 v17, 29, v17
	v_lshlrev_b64 v[28:29], v22, v[12:13]
; %bb.2982:                             ;   in Loop: Header=BB384_2086 Depth=1
	s_or_b32 exec_lo, exec_lo, s21
	v_lshlrev_b32_e32 v22, 20, v28
	v_lshlrev_b32_e32 v25, 24, v12
	v_lshl_add_u32 v17, v17, 23, 0x3c000000
	v_and_b32_e32 v22, 0x700000, v22
	v_and_b32_e32 v25, 0x80000000, v25
	v_or3_b32 v25, v22, v25, v17
.LBB384_2983:                           ;   in Loop: Header=BB384_2086 Depth=1
	s_or_b32 exec_lo, exec_lo, s20
.LBB384_2984:                           ;   in Loop: Header=BB384_2086 Depth=1
	s_or_b32 exec_lo, exec_lo, s18
.LBB384_2985:                           ;   in Loop: Header=BB384_2086 Depth=1
	s_or_b32 exec_lo, exec_lo, s17
	v_cmp_ne_u16_sdwa s4, v12, v13 src0_sel:BYTE_1 src1_sel:DWORD
	s_and_saveexec_b32 s17, s4
	s_cbranch_execz .LBB384_2993
; %bb.2986:                             ;   in Loop: Header=BB384_2086 Depth=1
	v_cmp_ne_u16_sdwa s4, v12, v116 src0_sel:BYTE_1 src1_sel:DWORD
	v_bfrev_b32_e32 v31, 1
	s_and_saveexec_b32 s18, s4
	s_cbranch_execz .LBB384_2992
; %bb.2987:                             ;   in Loop: Header=BB384_2086 Depth=1
	v_mov_b32_e32 v17, 0xffff
	v_mov_b32_e32 v31, 0x7f800001
	s_mov_b32 s20, exec_lo
	v_and_b32_sdwa v17, v17, v12 dst_sel:DWORD dst_unused:UNUSED_PAD src0_sel:DWORD src1_sel:BYTE_1
	v_and_b32_e32 v22, 0x7f, v17
	v_cmpx_ne_u32_e32 0x7f, v22
	s_cbranch_execz .LBB384_2991
; %bb.2988:                             ;   in Loop: Header=BB384_2086 Depth=1
	v_and_b32_e32 v28, 7, v17
	v_mov_b32_e32 v29, v13
	v_lshrrev_b32_e32 v17, 3, v22
	s_mov_b32 s21, exec_lo
	v_cmpx_gt_u32_e32 8, v22
; %bb.2989:                             ;   in Loop: Header=BB384_2086 Depth=1
	v_ffbh_u32_e32 v17, v28
	v_min_u32_e32 v17, 32, v17
	v_subrev_nc_u32_e32 v22, 28, v17
	v_sub_nc_u32_e32 v17, 29, v17
	v_lshlrev_b64 v[28:29], v22, v[28:29]
	v_and_b32_e32 v28, 7, v28
; %bb.2990:                             ;   in Loop: Header=BB384_2086 Depth=1
	s_or_b32 exec_lo, exec_lo, s21
	v_lshlrev_b32_e32 v12, 16, v12
	v_lshlrev_b32_e32 v22, 20, v28
	v_lshl_add_u32 v17, v17, 23, 0x3c000000
	v_and_b32_e32 v12, 0x80000000, v12
	v_or3_b32 v31, v22, v12, v17
.LBB384_2991:                           ;   in Loop: Header=BB384_2086 Depth=1
	s_or_b32 exec_lo, exec_lo, s20
.LBB384_2992:                           ;   in Loop: Header=BB384_2086 Depth=1
	s_or_b32 exec_lo, exec_lo, s18
.LBB384_2993:                           ;   in Loop: Header=BB384_2086 Depth=1
	s_or_b32 exec_lo, exec_lo, s17
	v_and_b32_sdwa v12, v24, v118 dst_sel:DWORD dst_unused:UNUSED_PAD src0_sel:WORD_1 src1_sel:DWORD
	v_mov_b32_e32 v17, 0
	v_mov_b32_e32 v22, 0
	s_mov_b32 s17, exec_lo
	v_cmpx_ne_u16_e32 0, v12
	s_cbranch_execz .LBB384_3001
; %bb.2994:                             ;   in Loop: Header=BB384_2086 Depth=1
	v_bfrev_b32_e32 v22, 1
	s_mov_b32 s18, exec_lo
	v_cmpx_ne_u16_e32 0x80, v12
	s_cbranch_execz .LBB384_3000
; %bb.2995:                             ;   in Loop: Header=BB384_2086 Depth=1
	v_bfe_u32 v28, v24, 16, 7
	v_mov_b32_e32 v22, 0x7f800001
	s_mov_b32 s20, exec_lo
	v_cmpx_ne_u32_e32 0x7f, v28
	s_cbranch_execz .LBB384_2999
; %bb.2996:                             ;   in Loop: Header=BB384_2086 Depth=1
	v_mov_b32_e32 v12, 7
	v_lshrrev_b32_e32 v22, 3, v28
	v_cmp_gt_u32_e64 s4, 8, v28
	v_and_b32_sdwa v12, v24, v12 dst_sel:DWORD dst_unused:UNUSED_PAD src0_sel:WORD_1 src1_sel:DWORD
	v_mov_b32_e32 v29, v13
	v_mov_b32_e32 v28, v12
	s_and_saveexec_b32 s21, s4
; %bb.2997:                             ;   in Loop: Header=BB384_2086 Depth=1
	v_ffbh_u32_e32 v22, v12
	v_min_u32_e32 v22, 32, v22
	v_subrev_nc_u32_e32 v28, 28, v22
	v_sub_nc_u32_e32 v22, 29, v22
	v_lshlrev_b64 v[28:29], v28, v[12:13]
	v_and_b32_e32 v28, 7, v28
; %bb.2998:                             ;   in Loop: Header=BB384_2086 Depth=1
	s_or_b32 exec_lo, exec_lo, s21
	v_mov_b32_e32 v12, 24
	v_lshlrev_b32_e32 v28, 20, v28
	v_lshl_add_u32 v22, v22, 23, 0x3c000000
	v_lshlrev_b32_sdwa v12, v12, v24 dst_sel:DWORD dst_unused:UNUSED_PAD src0_sel:DWORD src1_sel:WORD_1
	v_and_b32_e32 v12, 0x80000000, v12
	v_or3_b32 v22, v28, v12, v22
.LBB384_2999:                           ;   in Loop: Header=BB384_2086 Depth=1
	s_or_b32 exec_lo, exec_lo, s20
.LBB384_3000:                           ;   in Loop: Header=BB384_2086 Depth=1
	s_or_b32 exec_lo, exec_lo, s18
.LBB384_3001:                           ;   in Loop: Header=BB384_2086 Depth=1
	s_or_b32 exec_lo, exec_lo, s17
	s_mov_b32 s17, exec_lo
	v_cmpx_lt_u64_e64 s[12:13], v[23:24]
	s_cbranch_execz .LBB384_3009
; %bb.3002:                             ;   in Loop: Header=BB384_2086 Depth=1
	v_cmp_ne_u32_sdwa s4, v24, v116 src0_sel:BYTE_3 src1_sel:DWORD
	v_bfrev_b32_e32 v17, 1
	s_and_saveexec_b32 s18, s4
	s_cbranch_execz .LBB384_3008
; %bb.3003:                             ;   in Loop: Header=BB384_2086 Depth=1
	v_bfe_u32 v23, v24, 24, 7
	v_mov_b32_e32 v17, 0x7f800001
	s_mov_b32 s20, exec_lo
	v_cmpx_ne_u32_e32 0x7f, v23
	s_cbranch_execz .LBB384_3007
; %bb.3004:                             ;   in Loop: Header=BB384_2086 Depth=1
	v_mov_b32_e32 v12, 7
	v_lshrrev_b32_e32 v17, 3, v23
	s_mov_b32 s21, exec_lo
	v_and_b32_sdwa v12, v24, v12 dst_sel:DWORD dst_unused:UNUSED_PAD src0_sel:BYTE_3 src1_sel:DWORD
	v_mov_b32_e32 v29, v13
	v_mov_b32_e32 v28, v12
	v_cmpx_gt_u32_e32 8, v23
; %bb.3005:                             ;   in Loop: Header=BB384_2086 Depth=1
	v_ffbh_u32_e32 v17, v12
	v_min_u32_e32 v17, 32, v17
	v_subrev_nc_u32_e32 v23, 28, v17
	v_sub_nc_u32_e32 v17, 29, v17
	v_lshlrev_b64 v[28:29], v23, v[12:13]
	v_and_b32_e32 v28, 7, v28
; %bb.3006:                             ;   in Loop: Header=BB384_2086 Depth=1
	s_or_b32 exec_lo, exec_lo, s21
	v_mov_b32_e32 v12, 24
	v_lshlrev_b32_e32 v23, 20, v28
	v_lshl_add_u32 v17, v17, 23, 0x3c000000
	v_lshlrev_b32_sdwa v12, v12, v24 dst_sel:DWORD dst_unused:UNUSED_PAD src0_sel:DWORD src1_sel:BYTE_3
	v_and_b32_e32 v12, 0x80000000, v12
	v_or3_b32 v17, v23, v12, v17
.LBB384_3007:                           ;   in Loop: Header=BB384_2086 Depth=1
	s_or_b32 exec_lo, exec_lo, s20
.LBB384_3008:                           ;   in Loop: Header=BB384_2086 Depth=1
	s_or_b32 exec_lo, exec_lo, s18
.LBB384_3009:                           ;   in Loop: Header=BB384_2086 Depth=1
	s_or_b32 exec_lo, exec_lo, s17
	v_mul_f32_e32 v12, v115, v31
	v_mul_f32_e32 v11, v115, v11
	v_mul_f32_e32 v5, v115, v5
	v_mul_f32_e32 v4, v115, v4
	v_bfe_u32 v23, v12, 16, 1
	v_or_b32_e32 v24, 0x400000, v12
	v_cmp_u_f32_e64 s4, v12, v12
	v_add3_u32 v23, v23, v12, 0x7fff
	v_cndmask_b32_e64 v12, v23, v24, s4
	v_lshrrev_b32_e32 v12, 16, v12
	buffer_store_dword v12, off, s[0:3], s32 offset:656 ; 4-byte Folded Spill
	v_mul_f32_e32 v12, v115, v25
	v_bfe_u32 v23, v12, 16, 1
	v_or_b32_e32 v24, 0x400000, v12
	v_cmp_u_f32_e64 s4, v12, v12
	v_add3_u32 v23, v23, v12, 0x7fff
	v_cndmask_b32_e64 v12, v23, v24, s4
	v_lshrrev_b32_e32 v12, 16, v12
	buffer_store_dword v12, off, s[0:3], s32 offset:660 ; 4-byte Folded Spill
	v_mul_f32_e32 v12, v115, v16
	v_bfe_u32 v16, v12, 16, 1
	v_or_b32_e32 v23, 0x400000, v12
	v_cmp_u_f32_e64 s4, v12, v12
	v_add3_u32 v16, v16, v12, 0x7fff
	v_cndmask_b32_e64 v12, v16, v23, s4
	v_or_b32_e32 v16, 0x400000, v11
	v_cmp_u_f32_e64 s4, v11, v11
	v_lshrrev_b32_e32 v12, 16, v12
	buffer_store_dword v12, off, s[0:3], s32 offset:664 ; 4-byte Folded Spill
	v_bfe_u32 v12, v11, 16, 1
	v_add3_u32 v12, v12, v11, 0x7fff
	v_cndmask_b32_e64 v11, v12, v16, s4
	v_or_b32_e32 v12, 0x400000, v5
	v_cmp_u_f32_e64 s4, v5, v5
	v_lshrrev_b32_e32 v11, 16, v11
	buffer_store_dword v11, off, s[0:3], s32 offset:668 ; 4-byte Folded Spill
	v_bfe_u32 v11, v5, 16, 1
	;; [unrolled: 7-line block ×3, first 2 shown]
	v_add3_u32 v5, v5, v4, 0x7fff
	v_cndmask_b32_e64 v4, v5, v11, s4
	v_lshrrev_b32_e32 v4, 16, v4
	buffer_store_dword v4, off, s[0:3], s32 offset:680 ; 4-byte Folded Spill
	v_mul_f32_e32 v4, v115, v22
	v_bfe_u32 v5, v4, 16, 1
	v_or_b32_e32 v11, 0x400000, v4
	v_cmp_u_f32_e64 s4, v4, v4
	v_add3_u32 v5, v5, v4, 0x7fff
	v_cndmask_b32_e64 v4, v5, v11, s4
	v_lshrrev_b32_e32 v4, 16, v4
	buffer_store_dword v4, off, s[0:3], s32 offset:672 ; 4-byte Folded Spill
	v_mul_f32_e32 v4, v115, v17
	v_bfe_u32 v5, v4, 16, 1
	v_or_b32_e32 v11, 0x400000, v4
	v_cmp_u_f32_e64 s4, v4, v4
	v_add3_u32 v5, v5, v4, 0x7fff
	v_cndmask_b32_e64 v4, v5, v11, s4
	v_lshrrev_b32_e32 v4, 16, v4
	buffer_store_dword v4, off, s[0:3], s32 offset:684 ; 4-byte Folded Spill
	s_and_saveexec_b32 s17, vcc_lo
	s_cbranch_execz .LBB384_3011
; %bb.3010:                             ;   in Loop: Header=BB384_2086 Depth=1
	buffer_load_dword v4, off, s[0:3], s32 offset:680 ; 4-byte Folded Reload
	v_cmp_lt_i32_e64 s4, v114, v48
	s_waitcnt vmcnt(0)
	v_cndmask_b32_e64 v4, 0, v4, s4
	v_cmp_lt_i32_e64 s4, v10, v48
	buffer_store_dword v4, off, s[0:3], s32 offset:680 ; 4-byte Folded Spill
	buffer_load_dword v4, off, s[0:3], s32 offset:676 ; 4-byte Folded Reload
	s_waitcnt vmcnt(0)
	v_cndmask_b32_e64 v4, 0, v4, s4
	v_cmp_lt_i32_e64 s4, v26, v48
	buffer_store_dword v4, off, s[0:3], s32 offset:676 ; 4-byte Folded Spill
	buffer_load_dword v4, off, s[0:3], s32 offset:668 ; 4-byte Folded Reload
	;; [unrolled: 5-line block ×7, first 2 shown]
	s_waitcnt vmcnt(0)
	v_cndmask_b32_e64 v4, 0, v4, s4
	buffer_store_dword v4, off, s[0:3], s32 offset:684 ; 4-byte Folded Spill
.LBB384_3011:                           ;   in Loop: Header=BB384_2086 Depth=1
	s_or_b32 exec_lo, exec_lo, s17
	flat_load_dwordx2 v[23:24], v[20:21] offset:1536
	v_mov_b32_e32 v5, 0
	v_mov_b32_e32 v4, 0
	s_waitcnt vmcnt(0) lgkmcnt(0)
	v_cmp_ne_u16_sdwa s4, v23, v13 src0_sel:BYTE_0 src1_sel:DWORD
	s_and_saveexec_b32 s17, s4
	s_cbranch_execz .LBB384_3019
; %bb.3012:                             ;   in Loop: Header=BB384_2086 Depth=1
	v_cmp_ne_u16_sdwa s4, v23, v116 src0_sel:BYTE_0 src1_sel:DWORD
	v_bfrev_b32_e32 v4, 1
	s_and_saveexec_b32 s18, s4
	s_cbranch_execz .LBB384_3018
; %bb.3013:                             ;   in Loop: Header=BB384_2086 Depth=1
	v_and_b32_e32 v11, 0x7f, v23
	v_mov_b32_e32 v4, 0x7f800001
	s_mov_b32 s20, exec_lo
	v_cmpx_ne_u32_e32 0x7f, v11
	s_cbranch_execz .LBB384_3017
; %bb.3014:                             ;   in Loop: Header=BB384_2086 Depth=1
	v_mov_b32_e32 v29, v24
	v_lshrrev_b32_e32 v4, 3, v11
	v_mov_b32_e32 v28, v23
	s_mov_b32 s21, exec_lo
	v_cmpx_gt_u32_e32 8, v11
; %bb.3015:                             ;   in Loop: Header=BB384_2086 Depth=1
	v_and_b32_e32 v4, 7, v23
	v_ffbh_u32_e32 v4, v4
	v_min_u32_e32 v4, 32, v4
	v_subrev_nc_u32_e32 v11, 28, v4
	v_sub_nc_u32_e32 v4, 29, v4
	v_lshlrev_b64 v[28:29], v11, v[23:24]
; %bb.3016:                             ;   in Loop: Header=BB384_2086 Depth=1
	s_or_b32 exec_lo, exec_lo, s21
	v_lshlrev_b32_e32 v11, 20, v28
	v_lshlrev_b32_e32 v12, 24, v23
	v_lshl_add_u32 v4, v4, 23, 0x3c000000
	v_and_b32_e32 v11, 0x700000, v11
	v_and_b32_e32 v12, 0x80000000, v12
	v_or3_b32 v4, v11, v12, v4
.LBB384_3017:                           ;   in Loop: Header=BB384_2086 Depth=1
	s_or_b32 exec_lo, exec_lo, s20
.LBB384_3018:                           ;   in Loop: Header=BB384_2086 Depth=1
	s_or_b32 exec_lo, exec_lo, s18
.LBB384_3019:                           ;   in Loop: Header=BB384_2086 Depth=1
	s_or_b32 exec_lo, exec_lo, s17
	v_cmp_ne_u16_sdwa s4, v23, v13 src0_sel:BYTE_1 src1_sel:DWORD
	s_and_saveexec_b32 s17, s4
	s_cbranch_execz .LBB384_3027
; %bb.3020:                             ;   in Loop: Header=BB384_2086 Depth=1
	v_cmp_ne_u16_sdwa s4, v23, v116 src0_sel:BYTE_1 src1_sel:DWORD
	v_bfrev_b32_e32 v5, 1
	s_and_saveexec_b32 s18, s4
	s_cbranch_execz .LBB384_3026
; %bb.3021:                             ;   in Loop: Header=BB384_2086 Depth=1
	v_mov_b32_e32 v5, 0xffff
	s_mov_b32 s20, exec_lo
	v_and_b32_sdwa v12, v5, v23 dst_sel:DWORD dst_unused:UNUSED_PAD src0_sel:DWORD src1_sel:BYTE_1
	v_mov_b32_e32 v5, 0x7f800001
	v_and_b32_e32 v11, 0x7f, v12
	v_cmpx_ne_u32_e32 0x7f, v11
	s_cbranch_execz .LBB384_3025
; %bb.3022:                             ;   in Loop: Header=BB384_2086 Depth=1
	v_and_b32_e32 v12, 7, v12
	v_mov_b32_e32 v29, v13
	v_lshrrev_b32_e32 v5, 3, v11
	s_mov_b32 s21, exec_lo
	v_mov_b32_e32 v28, v12
	v_cmpx_gt_u32_e32 8, v11
; %bb.3023:                             ;   in Loop: Header=BB384_2086 Depth=1
	v_ffbh_u32_e32 v5, v12
	v_min_u32_e32 v5, 32, v5
	v_subrev_nc_u32_e32 v11, 28, v5
	v_sub_nc_u32_e32 v5, 29, v5
	v_lshlrev_b64 v[11:12], v11, v[12:13]
	v_and_b32_e32 v28, 7, v11
; %bb.3024:                             ;   in Loop: Header=BB384_2086 Depth=1
	s_or_b32 exec_lo, exec_lo, s21
	v_lshlrev_b32_e32 v11, 16, v23
	v_lshlrev_b32_e32 v12, 20, v28
	v_lshl_add_u32 v5, v5, 23, 0x3c000000
	v_and_b32_e32 v11, 0x80000000, v11
	v_or3_b32 v5, v12, v11, v5
.LBB384_3025:                           ;   in Loop: Header=BB384_2086 Depth=1
	s_or_b32 exec_lo, exec_lo, s20
.LBB384_3026:                           ;   in Loop: Header=BB384_2086 Depth=1
	s_or_b32 exec_lo, exec_lo, s18
.LBB384_3027:                           ;   in Loop: Header=BB384_2086 Depth=1
	s_or_b32 exec_lo, exec_lo, s17
	v_and_b32_sdwa v12, v23, v118 dst_sel:DWORD dst_unused:UNUSED_PAD src0_sel:WORD_1 src1_sel:DWORD
	v_mov_b32_e32 v16, 0
	v_mov_b32_e32 v11, 0
	s_mov_b32 s17, exec_lo
	v_cmpx_ne_u16_e32 0, v12
	s_cbranch_execz .LBB384_3035
; %bb.3028:                             ;   in Loop: Header=BB384_2086 Depth=1
	v_bfrev_b32_e32 v11, 1
	s_mov_b32 s18, exec_lo
	v_cmpx_ne_u16_e32 0x80, v12
	s_cbranch_execz .LBB384_3034
; %bb.3029:                             ;   in Loop: Header=BB384_2086 Depth=1
	v_bfe_u32 v17, v23, 16, 7
	v_mov_b32_e32 v11, 0x7f800001
	s_mov_b32 s20, exec_lo
	v_cmpx_ne_u32_e32 0x7f, v17
	s_cbranch_execz .LBB384_3033
; %bb.3030:                             ;   in Loop: Header=BB384_2086 Depth=1
	v_mov_b32_e32 v11, 7
	s_mov_b32 s21, exec_lo
	v_and_b32_sdwa v12, v23, v11 dst_sel:DWORD dst_unused:UNUSED_PAD src0_sel:WORD_1 src1_sel:DWORD
	v_mov_b32_e32 v29, v13
	v_lshrrev_b32_e32 v11, 3, v17
	v_mov_b32_e32 v28, v12
	v_cmpx_gt_u32_e32 8, v17
; %bb.3031:                             ;   in Loop: Header=BB384_2086 Depth=1
	v_ffbh_u32_e32 v11, v12
	v_min_u32_e32 v11, 32, v11
	v_subrev_nc_u32_e32 v17, 28, v11
	v_sub_nc_u32_e32 v11, 29, v11
	v_lshlrev_b64 v[28:29], v17, v[12:13]
	v_and_b32_e32 v28, 7, v28
; %bb.3032:                             ;   in Loop: Header=BB384_2086 Depth=1
	s_or_b32 exec_lo, exec_lo, s21
	v_mov_b32_e32 v12, 24
	v_lshlrev_b32_e32 v17, 20, v28
	v_lshl_add_u32 v11, v11, 23, 0x3c000000
	v_lshlrev_b32_sdwa v12, v12, v23 dst_sel:DWORD dst_unused:UNUSED_PAD src0_sel:DWORD src1_sel:WORD_1
	v_and_b32_e32 v12, 0x80000000, v12
	v_or3_b32 v11, v17, v12, v11
.LBB384_3033:                           ;   in Loop: Header=BB384_2086 Depth=1
	s_or_b32 exec_lo, exec_lo, s20
.LBB384_3034:                           ;   in Loop: Header=BB384_2086 Depth=1
	s_or_b32 exec_lo, exec_lo, s18
.LBB384_3035:                           ;   in Loop: Header=BB384_2086 Depth=1
	s_or_b32 exec_lo, exec_lo, s17
	s_mov_b32 s17, exec_lo
	v_cmpx_lt_u32_e32 0xffffff, v23
	s_cbranch_execz .LBB384_3043
; %bb.3036:                             ;   in Loop: Header=BB384_2086 Depth=1
	v_cmp_ne_u32_sdwa s4, v23, v116 src0_sel:BYTE_3 src1_sel:DWORD
	v_bfrev_b32_e32 v16, 1
	s_and_saveexec_b32 s18, s4
	s_cbranch_execz .LBB384_3042
; %bb.3037:                             ;   in Loop: Header=BB384_2086 Depth=1
	v_bfe_u32 v17, v23, 24, 7
	v_mov_b32_e32 v16, 0x7f800001
	s_mov_b32 s20, exec_lo
	v_cmpx_ne_u32_e32 0x7f, v17
	s_cbranch_execz .LBB384_3041
; %bb.3038:                             ;   in Loop: Header=BB384_2086 Depth=1
	v_mov_b32_e32 v12, 7
	v_lshrrev_b32_e32 v16, 3, v17
	s_mov_b32 s21, exec_lo
	v_and_b32_sdwa v12, v23, v12 dst_sel:DWORD dst_unused:UNUSED_PAD src0_sel:BYTE_3 src1_sel:DWORD
	v_mov_b32_e32 v29, v13
	v_mov_b32_e32 v28, v12
	v_cmpx_gt_u32_e32 8, v17
; %bb.3039:                             ;   in Loop: Header=BB384_2086 Depth=1
	v_ffbh_u32_e32 v16, v12
	v_min_u32_e32 v16, 32, v16
	v_subrev_nc_u32_e32 v17, 28, v16
	v_sub_nc_u32_e32 v16, 29, v16
	v_lshlrev_b64 v[28:29], v17, v[12:13]
	v_and_b32_e32 v28, 7, v28
; %bb.3040:                             ;   in Loop: Header=BB384_2086 Depth=1
	s_or_b32 exec_lo, exec_lo, s21
	v_mov_b32_e32 v12, 24
	v_lshlrev_b32_e32 v17, 20, v28
	v_lshl_add_u32 v16, v16, 23, 0x3c000000
	v_lshlrev_b32_sdwa v12, v12, v23 dst_sel:DWORD dst_unused:UNUSED_PAD src0_sel:DWORD src1_sel:BYTE_3
	v_and_b32_e32 v12, 0x80000000, v12
	v_or3_b32 v16, v17, v12, v16
.LBB384_3041:                           ;   in Loop: Header=BB384_2086 Depth=1
	s_or_b32 exec_lo, exec_lo, s20
.LBB384_3042:                           ;   in Loop: Header=BB384_2086 Depth=1
	s_or_b32 exec_lo, exec_lo, s18
.LBB384_3043:                           ;   in Loop: Header=BB384_2086 Depth=1
	s_or_b32 exec_lo, exec_lo, s17
	v_mov_b32_e32 v12, v24
	v_cmp_ne_u16_sdwa s4, v24, v13 src0_sel:BYTE_0 src1_sel:DWORD
	v_mov_b32_e32 v31, 0
	v_mov_b32_e32 v25, 0
	s_and_saveexec_b32 s17, s4
	s_cbranch_execz .LBB384_3051
; %bb.3044:                             ;   in Loop: Header=BB384_2086 Depth=1
	v_cmp_ne_u16_sdwa s4, v24, v116 src0_sel:BYTE_0 src1_sel:DWORD
	v_bfrev_b32_e32 v25, 1
	s_and_saveexec_b32 s18, s4
	s_cbranch_execz .LBB384_3050
; %bb.3045:                             ;   in Loop: Header=BB384_2086 Depth=1
	v_and_b32_e32 v22, 0x7f, v24
	v_mov_b32_e32 v25, 0x7f800001
	s_mov_b32 s20, exec_lo
	v_cmpx_ne_u32_e32 0x7f, v22
	s_cbranch_execz .LBB384_3049
; %bb.3046:                             ;   in Loop: Header=BB384_2086 Depth=1
	v_mov_b32_e32 v29, v13
	v_lshrrev_b32_e32 v17, 3, v22
	v_mov_b32_e32 v28, v12
	s_mov_b32 s21, exec_lo
	v_cmpx_gt_u32_e32 8, v22
; %bb.3047:                             ;   in Loop: Header=BB384_2086 Depth=1
	v_and_b32_e32 v17, 7, v24
	v_ffbh_u32_e32 v17, v17
	v_min_u32_e32 v17, 32, v17
	v_subrev_nc_u32_e32 v22, 28, v17
	v_sub_nc_u32_e32 v17, 29, v17
	v_lshlrev_b64 v[28:29], v22, v[12:13]
; %bb.3048:                             ;   in Loop: Header=BB384_2086 Depth=1
	s_or_b32 exec_lo, exec_lo, s21
	v_lshlrev_b32_e32 v22, 20, v28
	v_lshlrev_b32_e32 v25, 24, v12
	v_lshl_add_u32 v17, v17, 23, 0x3c000000
	v_and_b32_e32 v22, 0x700000, v22
	v_and_b32_e32 v25, 0x80000000, v25
	v_or3_b32 v25, v22, v25, v17
.LBB384_3049:                           ;   in Loop: Header=BB384_2086 Depth=1
	s_or_b32 exec_lo, exec_lo, s20
.LBB384_3050:                           ;   in Loop: Header=BB384_2086 Depth=1
	s_or_b32 exec_lo, exec_lo, s18
.LBB384_3051:                           ;   in Loop: Header=BB384_2086 Depth=1
	s_or_b32 exec_lo, exec_lo, s17
	v_cmp_ne_u16_sdwa s4, v12, v13 src0_sel:BYTE_1 src1_sel:DWORD
	s_and_saveexec_b32 s17, s4
	s_cbranch_execz .LBB384_3059
; %bb.3052:                             ;   in Loop: Header=BB384_2086 Depth=1
	v_cmp_ne_u16_sdwa s4, v12, v116 src0_sel:BYTE_1 src1_sel:DWORD
	v_bfrev_b32_e32 v31, 1
	s_and_saveexec_b32 s18, s4
	s_cbranch_execz .LBB384_3058
; %bb.3053:                             ;   in Loop: Header=BB384_2086 Depth=1
	v_mov_b32_e32 v17, 0xffff
	v_mov_b32_e32 v31, 0x7f800001
	s_mov_b32 s20, exec_lo
	v_and_b32_sdwa v17, v17, v12 dst_sel:DWORD dst_unused:UNUSED_PAD src0_sel:DWORD src1_sel:BYTE_1
	v_and_b32_e32 v22, 0x7f, v17
	v_cmpx_ne_u32_e32 0x7f, v22
	s_cbranch_execz .LBB384_3057
; %bb.3054:                             ;   in Loop: Header=BB384_2086 Depth=1
	v_and_b32_e32 v28, 7, v17
	v_mov_b32_e32 v29, v13
	v_lshrrev_b32_e32 v17, 3, v22
	s_mov_b32 s21, exec_lo
	v_cmpx_gt_u32_e32 8, v22
; %bb.3055:                             ;   in Loop: Header=BB384_2086 Depth=1
	v_ffbh_u32_e32 v17, v28
	v_min_u32_e32 v17, 32, v17
	v_subrev_nc_u32_e32 v22, 28, v17
	v_sub_nc_u32_e32 v17, 29, v17
	v_lshlrev_b64 v[28:29], v22, v[28:29]
	v_and_b32_e32 v28, 7, v28
; %bb.3056:                             ;   in Loop: Header=BB384_2086 Depth=1
	s_or_b32 exec_lo, exec_lo, s21
	v_lshlrev_b32_e32 v12, 16, v12
	v_lshlrev_b32_e32 v22, 20, v28
	v_lshl_add_u32 v17, v17, 23, 0x3c000000
	v_and_b32_e32 v12, 0x80000000, v12
	v_or3_b32 v31, v22, v12, v17
.LBB384_3057:                           ;   in Loop: Header=BB384_2086 Depth=1
	s_or_b32 exec_lo, exec_lo, s20
.LBB384_3058:                           ;   in Loop: Header=BB384_2086 Depth=1
	s_or_b32 exec_lo, exec_lo, s18
.LBB384_3059:                           ;   in Loop: Header=BB384_2086 Depth=1
	s_or_b32 exec_lo, exec_lo, s17
	v_and_b32_sdwa v12, v24, v118 dst_sel:DWORD dst_unused:UNUSED_PAD src0_sel:WORD_1 src1_sel:DWORD
	v_mov_b32_e32 v17, 0
	v_mov_b32_e32 v22, 0
	s_mov_b32 s17, exec_lo
	v_cmpx_ne_u16_e32 0, v12
	s_cbranch_execz .LBB384_3067
; %bb.3060:                             ;   in Loop: Header=BB384_2086 Depth=1
	v_bfrev_b32_e32 v22, 1
	s_mov_b32 s18, exec_lo
	v_cmpx_ne_u16_e32 0x80, v12
	s_cbranch_execz .LBB384_3066
; %bb.3061:                             ;   in Loop: Header=BB384_2086 Depth=1
	v_bfe_u32 v28, v24, 16, 7
	v_mov_b32_e32 v22, 0x7f800001
	s_mov_b32 s20, exec_lo
	v_cmpx_ne_u32_e32 0x7f, v28
	s_cbranch_execz .LBB384_3065
; %bb.3062:                             ;   in Loop: Header=BB384_2086 Depth=1
	v_mov_b32_e32 v12, 7
	v_lshrrev_b32_e32 v22, 3, v28
	v_cmp_gt_u32_e64 s4, 8, v28
	v_and_b32_sdwa v12, v24, v12 dst_sel:DWORD dst_unused:UNUSED_PAD src0_sel:WORD_1 src1_sel:DWORD
	v_mov_b32_e32 v29, v13
	v_mov_b32_e32 v28, v12
	s_and_saveexec_b32 s21, s4
; %bb.3063:                             ;   in Loop: Header=BB384_2086 Depth=1
	v_ffbh_u32_e32 v22, v12
	v_min_u32_e32 v22, 32, v22
	v_subrev_nc_u32_e32 v28, 28, v22
	v_sub_nc_u32_e32 v22, 29, v22
	v_lshlrev_b64 v[28:29], v28, v[12:13]
	v_and_b32_e32 v28, 7, v28
; %bb.3064:                             ;   in Loop: Header=BB384_2086 Depth=1
	s_or_b32 exec_lo, exec_lo, s21
	v_mov_b32_e32 v12, 24
	v_lshlrev_b32_e32 v28, 20, v28
	v_lshl_add_u32 v22, v22, 23, 0x3c000000
	v_lshlrev_b32_sdwa v12, v12, v24 dst_sel:DWORD dst_unused:UNUSED_PAD src0_sel:DWORD src1_sel:WORD_1
	v_and_b32_e32 v12, 0x80000000, v12
	v_or3_b32 v22, v28, v12, v22
.LBB384_3065:                           ;   in Loop: Header=BB384_2086 Depth=1
	s_or_b32 exec_lo, exec_lo, s20
.LBB384_3066:                           ;   in Loop: Header=BB384_2086 Depth=1
	s_or_b32 exec_lo, exec_lo, s18
.LBB384_3067:                           ;   in Loop: Header=BB384_2086 Depth=1
	s_or_b32 exec_lo, exec_lo, s17
	s_mov_b32 s17, exec_lo
	v_cmpx_lt_u64_e64 s[12:13], v[23:24]
	s_cbranch_execz .LBB384_3075
; %bb.3068:                             ;   in Loop: Header=BB384_2086 Depth=1
	v_cmp_ne_u32_sdwa s4, v24, v116 src0_sel:BYTE_3 src1_sel:DWORD
	v_bfrev_b32_e32 v17, 1
	s_and_saveexec_b32 s18, s4
	s_cbranch_execz .LBB384_3074
; %bb.3069:                             ;   in Loop: Header=BB384_2086 Depth=1
	v_bfe_u32 v23, v24, 24, 7
	v_mov_b32_e32 v17, 0x7f800001
	s_mov_b32 s20, exec_lo
	v_cmpx_ne_u32_e32 0x7f, v23
	s_cbranch_execz .LBB384_3073
; %bb.3070:                             ;   in Loop: Header=BB384_2086 Depth=1
	v_mov_b32_e32 v12, 7
	v_lshrrev_b32_e32 v17, 3, v23
	s_mov_b32 s21, exec_lo
	v_and_b32_sdwa v12, v24, v12 dst_sel:DWORD dst_unused:UNUSED_PAD src0_sel:BYTE_3 src1_sel:DWORD
	v_mov_b32_e32 v29, v13
	v_mov_b32_e32 v28, v12
	v_cmpx_gt_u32_e32 8, v23
; %bb.3071:                             ;   in Loop: Header=BB384_2086 Depth=1
	v_ffbh_u32_e32 v17, v12
	v_min_u32_e32 v17, 32, v17
	v_subrev_nc_u32_e32 v23, 28, v17
	v_sub_nc_u32_e32 v17, 29, v17
	v_lshlrev_b64 v[28:29], v23, v[12:13]
	v_and_b32_e32 v28, 7, v28
; %bb.3072:                             ;   in Loop: Header=BB384_2086 Depth=1
	s_or_b32 exec_lo, exec_lo, s21
	v_mov_b32_e32 v12, 24
	v_lshlrev_b32_e32 v23, 20, v28
	v_lshl_add_u32 v17, v17, 23, 0x3c000000
	v_lshlrev_b32_sdwa v12, v12, v24 dst_sel:DWORD dst_unused:UNUSED_PAD src0_sel:DWORD src1_sel:BYTE_3
	v_and_b32_e32 v12, 0x80000000, v12
	v_or3_b32 v17, v23, v12, v17
.LBB384_3073:                           ;   in Loop: Header=BB384_2086 Depth=1
	s_or_b32 exec_lo, exec_lo, s20
.LBB384_3074:                           ;   in Loop: Header=BB384_2086 Depth=1
	s_or_b32 exec_lo, exec_lo, s18
.LBB384_3075:                           ;   in Loop: Header=BB384_2086 Depth=1
	s_or_b32 exec_lo, exec_lo, s17
	v_mul_f32_e32 v12, v115, v31
	v_mul_f32_e32 v11, v115, v11
	;; [unrolled: 1-line block ×4, first 2 shown]
	v_bfe_u32 v23, v12, 16, 1
	v_or_b32_e32 v24, 0x400000, v12
	v_cmp_u_f32_e64 s4, v12, v12
	v_add3_u32 v23, v23, v12, 0x7fff
	v_cndmask_b32_e64 v12, v23, v24, s4
	v_lshrrev_b32_e32 v12, 16, v12
	buffer_store_dword v12, off, s[0:3], s32 offset:688 ; 4-byte Folded Spill
	v_mul_f32_e32 v12, v115, v25
	v_bfe_u32 v23, v12, 16, 1
	v_or_b32_e32 v24, 0x400000, v12
	v_cmp_u_f32_e64 s4, v12, v12
	v_add3_u32 v23, v23, v12, 0x7fff
	v_cndmask_b32_e64 v12, v23, v24, s4
	v_lshrrev_b32_e32 v12, 16, v12
	buffer_store_dword v12, off, s[0:3], s32 offset:692 ; 4-byte Folded Spill
	v_mul_f32_e32 v12, v115, v16
	v_bfe_u32 v16, v12, 16, 1
	v_or_b32_e32 v23, 0x400000, v12
	v_cmp_u_f32_e64 s4, v12, v12
	v_add3_u32 v16, v16, v12, 0x7fff
	v_cndmask_b32_e64 v12, v16, v23, s4
	v_or_b32_e32 v16, 0x400000, v11
	v_cmp_u_f32_e64 s4, v11, v11
	v_lshrrev_b32_e32 v12, 16, v12
	buffer_store_dword v12, off, s[0:3], s32 offset:696 ; 4-byte Folded Spill
	v_bfe_u32 v12, v11, 16, 1
	v_add3_u32 v12, v12, v11, 0x7fff
	v_cndmask_b32_e64 v11, v12, v16, s4
	v_or_b32_e32 v12, 0x400000, v5
	v_cmp_u_f32_e64 s4, v5, v5
	v_lshrrev_b32_e32 v11, 16, v11
	buffer_store_dword v11, off, s[0:3], s32 offset:700 ; 4-byte Folded Spill
	v_bfe_u32 v11, v5, 16, 1
	;; [unrolled: 7-line block ×3, first 2 shown]
	v_add3_u32 v5, v5, v4, 0x7fff
	v_cndmask_b32_e64 v4, v5, v11, s4
	v_lshrrev_b32_e32 v4, 16, v4
	buffer_store_dword v4, off, s[0:3], s32 offset:712 ; 4-byte Folded Spill
	v_mul_f32_e32 v4, v115, v22
	v_bfe_u32 v5, v4, 16, 1
	v_or_b32_e32 v11, 0x400000, v4
	v_cmp_u_f32_e64 s4, v4, v4
	v_add3_u32 v5, v5, v4, 0x7fff
	v_cndmask_b32_e64 v4, v5, v11, s4
	v_lshrrev_b32_e32 v4, 16, v4
	buffer_store_dword v4, off, s[0:3], s32 offset:704 ; 4-byte Folded Spill
	v_mul_f32_e32 v4, v115, v17
	v_bfe_u32 v5, v4, 16, 1
	v_or_b32_e32 v11, 0x400000, v4
	v_cmp_u_f32_e64 s4, v4, v4
	v_add3_u32 v5, v5, v4, 0x7fff
	v_cndmask_b32_e64 v4, v5, v11, s4
	v_lshrrev_b32_e32 v4, 16, v4
	buffer_store_dword v4, off, s[0:3], s32 offset:716 ; 4-byte Folded Spill
	s_and_saveexec_b32 s17, vcc_lo
	s_cbranch_execz .LBB384_3077
; %bb.3076:                             ;   in Loop: Header=BB384_2086 Depth=1
	buffer_load_dword v4, off, s[0:3], s32 offset:712 ; 4-byte Folded Reload
	v_cmp_lt_i32_e64 s4, v114, v48
	s_waitcnt vmcnt(0)
	v_cndmask_b32_e64 v4, 0, v4, s4
	v_cmp_lt_i32_e64 s4, v10, v48
	buffer_store_dword v4, off, s[0:3], s32 offset:712 ; 4-byte Folded Spill
	buffer_load_dword v4, off, s[0:3], s32 offset:708 ; 4-byte Folded Reload
	s_waitcnt vmcnt(0)
	v_cndmask_b32_e64 v4, 0, v4, s4
	v_cmp_lt_i32_e64 s4, v26, v48
	buffer_store_dword v4, off, s[0:3], s32 offset:708 ; 4-byte Folded Spill
	buffer_load_dword v4, off, s[0:3], s32 offset:700 ; 4-byte Folded Reload
	;; [unrolled: 5-line block ×7, first 2 shown]
	s_waitcnt vmcnt(0)
	v_cndmask_b32_e64 v4, 0, v4, s4
	buffer_store_dword v4, off, s[0:3], s32 offset:716 ; 4-byte Folded Spill
.LBB384_3077:                           ;   in Loop: Header=BB384_2086 Depth=1
	s_or_b32 exec_lo, exec_lo, s17
	flat_load_dwordx2 v[20:21], v[20:21] offset:1792
	v_mov_b32_e32 v5, 0
	v_mov_b32_e32 v4, 0
	s_waitcnt vmcnt(0) lgkmcnt(0)
	v_cmp_ne_u16_sdwa s4, v20, v13 src0_sel:BYTE_0 src1_sel:DWORD
	s_and_saveexec_b32 s17, s4
	s_cbranch_execz .LBB384_3085
; %bb.3078:                             ;   in Loop: Header=BB384_2086 Depth=1
	v_cmp_ne_u16_sdwa s4, v20, v116 src0_sel:BYTE_0 src1_sel:DWORD
	v_bfrev_b32_e32 v4, 1
	s_and_saveexec_b32 s18, s4
	s_cbranch_execz .LBB384_3084
; %bb.3079:                             ;   in Loop: Header=BB384_2086 Depth=1
	v_and_b32_e32 v11, 0x7f, v20
	v_mov_b32_e32 v4, 0x7f800001
	s_mov_b32 s20, exec_lo
	v_cmpx_ne_u32_e32 0x7f, v11
	s_cbranch_execz .LBB384_3083
; %bb.3080:                             ;   in Loop: Header=BB384_2086 Depth=1
	v_mov_b32_e32 v24, v21
	v_lshrrev_b32_e32 v4, 3, v11
	v_mov_b32_e32 v23, v20
	s_mov_b32 s21, exec_lo
	v_cmpx_gt_u32_e32 8, v11
; %bb.3081:                             ;   in Loop: Header=BB384_2086 Depth=1
	v_and_b32_e32 v4, 7, v20
	v_ffbh_u32_e32 v4, v4
	v_min_u32_e32 v4, 32, v4
	v_subrev_nc_u32_e32 v11, 28, v4
	v_sub_nc_u32_e32 v4, 29, v4
	v_lshlrev_b64 v[23:24], v11, v[20:21]
; %bb.3082:                             ;   in Loop: Header=BB384_2086 Depth=1
	s_or_b32 exec_lo, exec_lo, s21
	v_lshlrev_b32_e32 v11, 20, v23
	v_lshlrev_b32_e32 v12, 24, v20
	v_lshl_add_u32 v4, v4, 23, 0x3c000000
	v_and_b32_e32 v11, 0x700000, v11
	v_and_b32_e32 v12, 0x80000000, v12
	v_or3_b32 v4, v11, v12, v4
.LBB384_3083:                           ;   in Loop: Header=BB384_2086 Depth=1
	s_or_b32 exec_lo, exec_lo, s20
.LBB384_3084:                           ;   in Loop: Header=BB384_2086 Depth=1
	s_or_b32 exec_lo, exec_lo, s18
.LBB384_3085:                           ;   in Loop: Header=BB384_2086 Depth=1
	s_or_b32 exec_lo, exec_lo, s17
	v_cmp_ne_u16_sdwa s4, v20, v13 src0_sel:BYTE_1 src1_sel:DWORD
	s_and_saveexec_b32 s17, s4
	s_cbranch_execz .LBB384_3093
; %bb.3086:                             ;   in Loop: Header=BB384_2086 Depth=1
	v_cmp_ne_u16_sdwa s4, v20, v116 src0_sel:BYTE_1 src1_sel:DWORD
	v_bfrev_b32_e32 v5, 1
	s_and_saveexec_b32 s18, s4
	s_cbranch_execz .LBB384_3092
; %bb.3087:                             ;   in Loop: Header=BB384_2086 Depth=1
	v_mov_b32_e32 v5, 0xffff
	s_mov_b32 s20, exec_lo
	v_and_b32_sdwa v12, v5, v20 dst_sel:DWORD dst_unused:UNUSED_PAD src0_sel:DWORD src1_sel:BYTE_1
	v_mov_b32_e32 v5, 0x7f800001
	v_and_b32_e32 v11, 0x7f, v12
	v_cmpx_ne_u32_e32 0x7f, v11
	s_cbranch_execz .LBB384_3091
; %bb.3088:                             ;   in Loop: Header=BB384_2086 Depth=1
	v_and_b32_e32 v12, 7, v12
	v_mov_b32_e32 v24, v13
	v_lshrrev_b32_e32 v5, 3, v11
	s_mov_b32 s21, exec_lo
	v_mov_b32_e32 v23, v12
	v_cmpx_gt_u32_e32 8, v11
; %bb.3089:                             ;   in Loop: Header=BB384_2086 Depth=1
	v_ffbh_u32_e32 v5, v12
	v_min_u32_e32 v5, 32, v5
	v_subrev_nc_u32_e32 v11, 28, v5
	v_sub_nc_u32_e32 v5, 29, v5
	v_lshlrev_b64 v[11:12], v11, v[12:13]
	v_and_b32_e32 v23, 7, v11
; %bb.3090:                             ;   in Loop: Header=BB384_2086 Depth=1
	s_or_b32 exec_lo, exec_lo, s21
	v_lshlrev_b32_e32 v11, 16, v20
	v_lshlrev_b32_e32 v12, 20, v23
	v_lshl_add_u32 v5, v5, 23, 0x3c000000
	v_and_b32_e32 v11, 0x80000000, v11
	v_or3_b32 v5, v12, v11, v5
.LBB384_3091:                           ;   in Loop: Header=BB384_2086 Depth=1
	s_or_b32 exec_lo, exec_lo, s20
.LBB384_3092:                           ;   in Loop: Header=BB384_2086 Depth=1
	s_or_b32 exec_lo, exec_lo, s18
.LBB384_3093:                           ;   in Loop: Header=BB384_2086 Depth=1
	s_or_b32 exec_lo, exec_lo, s17
	v_and_b32_sdwa v12, v20, v118 dst_sel:DWORD dst_unused:UNUSED_PAD src0_sel:WORD_1 src1_sel:DWORD
	v_mov_b32_e32 v16, 0
	v_mov_b32_e32 v11, 0
	s_mov_b32 s17, exec_lo
	v_cmpx_ne_u16_e32 0, v12
	s_cbranch_execz .LBB384_3101
; %bb.3094:                             ;   in Loop: Header=BB384_2086 Depth=1
	v_bfrev_b32_e32 v11, 1
	s_mov_b32 s18, exec_lo
	v_cmpx_ne_u16_e32 0x80, v12
	s_cbranch_execz .LBB384_3100
; %bb.3095:                             ;   in Loop: Header=BB384_2086 Depth=1
	v_bfe_u32 v17, v20, 16, 7
	v_mov_b32_e32 v11, 0x7f800001
	s_mov_b32 s20, exec_lo
	v_cmpx_ne_u32_e32 0x7f, v17
	s_cbranch_execz .LBB384_3099
; %bb.3096:                             ;   in Loop: Header=BB384_2086 Depth=1
	v_mov_b32_e32 v11, 7
	s_mov_b32 s21, exec_lo
	v_and_b32_sdwa v12, v20, v11 dst_sel:DWORD dst_unused:UNUSED_PAD src0_sel:WORD_1 src1_sel:DWORD
	v_mov_b32_e32 v24, v13
	v_lshrrev_b32_e32 v11, 3, v17
	v_mov_b32_e32 v23, v12
	v_cmpx_gt_u32_e32 8, v17
; %bb.3097:                             ;   in Loop: Header=BB384_2086 Depth=1
	v_ffbh_u32_e32 v11, v12
	v_min_u32_e32 v11, 32, v11
	v_subrev_nc_u32_e32 v17, 28, v11
	v_sub_nc_u32_e32 v11, 29, v11
	v_lshlrev_b64 v[22:23], v17, v[12:13]
	v_and_b32_e32 v23, 7, v22
; %bb.3098:                             ;   in Loop: Header=BB384_2086 Depth=1
	s_or_b32 exec_lo, exec_lo, s21
	v_mov_b32_e32 v12, 24
	v_lshlrev_b32_e32 v17, 20, v23
	v_lshl_add_u32 v11, v11, 23, 0x3c000000
	v_lshlrev_b32_sdwa v12, v12, v20 dst_sel:DWORD dst_unused:UNUSED_PAD src0_sel:DWORD src1_sel:WORD_1
	v_and_b32_e32 v12, 0x80000000, v12
	v_or3_b32 v11, v17, v12, v11
.LBB384_3099:                           ;   in Loop: Header=BB384_2086 Depth=1
	s_or_b32 exec_lo, exec_lo, s20
.LBB384_3100:                           ;   in Loop: Header=BB384_2086 Depth=1
	s_or_b32 exec_lo, exec_lo, s18
.LBB384_3101:                           ;   in Loop: Header=BB384_2086 Depth=1
	s_or_b32 exec_lo, exec_lo, s17
	s_mov_b32 s17, exec_lo
	v_cmpx_lt_u32_e32 0xffffff, v20
	s_cbranch_execz .LBB384_3109
; %bb.3102:                             ;   in Loop: Header=BB384_2086 Depth=1
	v_cmp_ne_u32_sdwa s4, v20, v116 src0_sel:BYTE_3 src1_sel:DWORD
	v_bfrev_b32_e32 v16, 1
	s_and_saveexec_b32 s18, s4
	s_cbranch_execz .LBB384_3108
; %bb.3103:                             ;   in Loop: Header=BB384_2086 Depth=1
	v_bfe_u32 v17, v20, 24, 7
	v_mov_b32_e32 v16, 0x7f800001
	s_mov_b32 s20, exec_lo
	v_cmpx_ne_u32_e32 0x7f, v17
	s_cbranch_execz .LBB384_3107
; %bb.3104:                             ;   in Loop: Header=BB384_2086 Depth=1
	v_mov_b32_e32 v12, 7
	v_lshrrev_b32_e32 v16, 3, v17
	s_mov_b32 s21, exec_lo
	v_and_b32_sdwa v12, v20, v12 dst_sel:DWORD dst_unused:UNUSED_PAD src0_sel:BYTE_3 src1_sel:DWORD
	v_mov_b32_e32 v24, v13
	v_mov_b32_e32 v23, v12
	v_cmpx_gt_u32_e32 8, v17
; %bb.3105:                             ;   in Loop: Header=BB384_2086 Depth=1
	v_ffbh_u32_e32 v16, v12
	v_min_u32_e32 v16, 32, v16
	v_subrev_nc_u32_e32 v17, 28, v16
	v_sub_nc_u32_e32 v16, 29, v16
	v_lshlrev_b64 v[22:23], v17, v[12:13]
	v_and_b32_e32 v23, 7, v22
; %bb.3106:                             ;   in Loop: Header=BB384_2086 Depth=1
	s_or_b32 exec_lo, exec_lo, s21
	v_mov_b32_e32 v12, 24
	v_lshlrev_b32_e32 v17, 20, v23
	v_lshl_add_u32 v16, v16, 23, 0x3c000000
	v_lshlrev_b32_sdwa v12, v12, v20 dst_sel:DWORD dst_unused:UNUSED_PAD src0_sel:DWORD src1_sel:BYTE_3
	v_and_b32_e32 v12, 0x80000000, v12
	v_or3_b32 v16, v17, v12, v16
.LBB384_3107:                           ;   in Loop: Header=BB384_2086 Depth=1
	s_or_b32 exec_lo, exec_lo, s20
.LBB384_3108:                           ;   in Loop: Header=BB384_2086 Depth=1
	s_or_b32 exec_lo, exec_lo, s18
.LBB384_3109:                           ;   in Loop: Header=BB384_2086 Depth=1
	s_or_b32 exec_lo, exec_lo, s17
	v_mov_b32_e32 v12, v21
	v_cmp_ne_u16_sdwa s4, v21, v13 src0_sel:BYTE_0 src1_sel:DWORD
	v_mov_b32_e32 v28, 0
	v_mov_b32_e32 v25, 0
	s_and_saveexec_b32 s17, s4
	s_cbranch_execz .LBB384_3117
; %bb.3110:                             ;   in Loop: Header=BB384_2086 Depth=1
	v_cmp_ne_u16_sdwa s4, v21, v116 src0_sel:BYTE_0 src1_sel:DWORD
	v_bfrev_b32_e32 v25, 1
	s_and_saveexec_b32 s18, s4
	s_cbranch_execz .LBB384_3116
; %bb.3111:                             ;   in Loop: Header=BB384_2086 Depth=1
	v_and_b32_e32 v22, 0x7f, v21
	v_mov_b32_e32 v25, 0x7f800001
	s_mov_b32 s20, exec_lo
	v_cmpx_ne_u32_e32 0x7f, v22
	s_cbranch_execz .LBB384_3115
; %bb.3112:                             ;   in Loop: Header=BB384_2086 Depth=1
	v_mov_b32_e32 v24, v13
	v_mov_b32_e32 v23, v12
	v_lshrrev_b32_e32 v17, 3, v22
	s_mov_b32 s21, exec_lo
	v_cmpx_gt_u32_e32 8, v22
; %bb.3113:                             ;   in Loop: Header=BB384_2086 Depth=1
	v_and_b32_e32 v17, 7, v21
	v_ffbh_u32_e32 v17, v17
	v_min_u32_e32 v17, 32, v17
	v_subrev_nc_u32_e32 v22, 28, v17
	v_sub_nc_u32_e32 v17, 29, v17
	v_lshlrev_b64 v[23:24], v22, v[12:13]
; %bb.3114:                             ;   in Loop: Header=BB384_2086 Depth=1
	s_or_b32 exec_lo, exec_lo, s21
	v_lshlrev_b32_e32 v22, 20, v23
	v_lshlrev_b32_e32 v23, 24, v12
	v_lshl_add_u32 v17, v17, 23, 0x3c000000
	v_and_b32_e32 v22, 0x700000, v22
	v_and_b32_e32 v23, 0x80000000, v23
	v_or3_b32 v25, v22, v23, v17
.LBB384_3115:                           ;   in Loop: Header=BB384_2086 Depth=1
	s_or_b32 exec_lo, exec_lo, s20
.LBB384_3116:                           ;   in Loop: Header=BB384_2086 Depth=1
	s_or_b32 exec_lo, exec_lo, s18
.LBB384_3117:                           ;   in Loop: Header=BB384_2086 Depth=1
	s_or_b32 exec_lo, exec_lo, s17
	v_cmp_ne_u16_sdwa s4, v12, v13 src0_sel:BYTE_1 src1_sel:DWORD
	s_and_saveexec_b32 s17, s4
	s_cbranch_execz .LBB384_3125
; %bb.3118:                             ;   in Loop: Header=BB384_2086 Depth=1
	v_cmp_ne_u16_sdwa s4, v12, v116 src0_sel:BYTE_1 src1_sel:DWORD
	v_bfrev_b32_e32 v28, 1
	s_and_saveexec_b32 s18, s4
	s_cbranch_execz .LBB384_3124
; %bb.3119:                             ;   in Loop: Header=BB384_2086 Depth=1
	v_mov_b32_e32 v17, 0xffff
	v_mov_b32_e32 v28, 0x7f800001
	s_mov_b32 s20, exec_lo
	v_and_b32_sdwa v17, v17, v12 dst_sel:DWORD dst_unused:UNUSED_PAD src0_sel:DWORD src1_sel:BYTE_1
	v_and_b32_e32 v22, 0x7f, v17
	v_cmpx_ne_u32_e32 0x7f, v22
	s_cbranch_execz .LBB384_3123
; %bb.3120:                             ;   in Loop: Header=BB384_2086 Depth=1
	v_and_b32_e32 v23, 7, v17
	v_mov_b32_e32 v24, v13
	v_lshrrev_b32_e32 v17, 3, v22
	s_mov_b32 s21, exec_lo
	v_cmpx_gt_u32_e32 8, v22
; %bb.3121:                             ;   in Loop: Header=BB384_2086 Depth=1
	v_ffbh_u32_e32 v17, v23
	v_min_u32_e32 v17, 32, v17
	v_subrev_nc_u32_e32 v22, 28, v17
	v_sub_nc_u32_e32 v17, 29, v17
	v_lshlrev_b64 v[22:23], v22, v[23:24]
	v_and_b32_e32 v23, 7, v22
; %bb.3122:                             ;   in Loop: Header=BB384_2086 Depth=1
	s_or_b32 exec_lo, exec_lo, s21
	v_lshlrev_b32_e32 v12, 16, v12
	v_lshlrev_b32_e32 v22, 20, v23
	v_lshl_add_u32 v17, v17, 23, 0x3c000000
	v_and_b32_e32 v12, 0x80000000, v12
	v_or3_b32 v28, v22, v12, v17
.LBB384_3123:                           ;   in Loop: Header=BB384_2086 Depth=1
	s_or_b32 exec_lo, exec_lo, s20
.LBB384_3124:                           ;   in Loop: Header=BB384_2086 Depth=1
	s_or_b32 exec_lo, exec_lo, s18
.LBB384_3125:                           ;   in Loop: Header=BB384_2086 Depth=1
	s_or_b32 exec_lo, exec_lo, s17
	v_and_b32_sdwa v12, v21, v118 dst_sel:DWORD dst_unused:UNUSED_PAD src0_sel:WORD_1 src1_sel:DWORD
	v_mov_b32_e32 v17, 0
	v_mov_b32_e32 v22, 0
	s_mov_b32 s17, exec_lo
	v_cmpx_ne_u16_e32 0, v12
	s_cbranch_execz .LBB384_3133
; %bb.3126:                             ;   in Loop: Header=BB384_2086 Depth=1
	v_bfrev_b32_e32 v22, 1
	s_mov_b32 s18, exec_lo
	v_cmpx_ne_u16_e32 0x80, v12
	s_cbranch_execz .LBB384_3132
; %bb.3127:                             ;   in Loop: Header=BB384_2086 Depth=1
	v_bfe_u32 v29, v21, 16, 7
	v_mov_b32_e32 v22, 0x7f800001
	s_mov_b32 s20, exec_lo
	v_cmpx_ne_u32_e32 0x7f, v29
	s_cbranch_execz .LBB384_3131
; %bb.3128:                             ;   in Loop: Header=BB384_2086 Depth=1
	v_mov_b32_e32 v12, 7
	v_lshrrev_b32_e32 v22, 3, v29
	s_mov_b32 s21, exec_lo
	v_and_b32_sdwa v12, v21, v12 dst_sel:DWORD dst_unused:UNUSED_PAD src0_sel:WORD_1 src1_sel:DWORD
	v_mov_b32_e32 v24, v13
	v_mov_b32_e32 v23, v12
	v_cmpx_gt_u32_e32 8, v29
; %bb.3129:                             ;   in Loop: Header=BB384_2086 Depth=1
	v_ffbh_u32_e32 v22, v12
	v_min_u32_e32 v22, 32, v22
	v_subrev_nc_u32_e32 v23, 28, v22
	v_sub_nc_u32_e32 v22, 29, v22
	v_lshlrev_b64 v[23:24], v23, v[12:13]
	v_and_b32_e32 v23, 7, v23
; %bb.3130:                             ;   in Loop: Header=BB384_2086 Depth=1
	s_or_b32 exec_lo, exec_lo, s21
	v_mov_b32_e32 v12, 24
	v_lshlrev_b32_e32 v23, 20, v23
	v_lshl_add_u32 v22, v22, 23, 0x3c000000
	v_lshlrev_b32_sdwa v12, v12, v21 dst_sel:DWORD dst_unused:UNUSED_PAD src0_sel:DWORD src1_sel:WORD_1
	v_and_b32_e32 v12, 0x80000000, v12
	v_or3_b32 v22, v23, v12, v22
.LBB384_3131:                           ;   in Loop: Header=BB384_2086 Depth=1
	s_or_b32 exec_lo, exec_lo, s20
.LBB384_3132:                           ;   in Loop: Header=BB384_2086 Depth=1
	s_or_b32 exec_lo, exec_lo, s18
.LBB384_3133:                           ;   in Loop: Header=BB384_2086 Depth=1
	s_or_b32 exec_lo, exec_lo, s17
	s_mov_b32 s17, exec_lo
	v_cmpx_lt_u64_e64 s[12:13], v[20:21]
	s_cbranch_execz .LBB384_3141
; %bb.3134:                             ;   in Loop: Header=BB384_2086 Depth=1
	v_cmp_ne_u32_sdwa s4, v21, v116 src0_sel:BYTE_3 src1_sel:DWORD
	v_bfrev_b32_e32 v17, 1
	s_and_saveexec_b32 s18, s4
	s_cbranch_execz .LBB384_3140
; %bb.3135:                             ;   in Loop: Header=BB384_2086 Depth=1
	v_bfe_u32 v20, v21, 24, 7
	v_mov_b32_e32 v17, 0x7f800001
	s_mov_b32 s20, exec_lo
	v_cmpx_ne_u32_e32 0x7f, v20
	s_cbranch_execz .LBB384_3139
; %bb.3136:                             ;   in Loop: Header=BB384_2086 Depth=1
	v_mov_b32_e32 v12, 7
	v_lshrrev_b32_e32 v17, 3, v20
	s_mov_b32 s21, exec_lo
	v_and_b32_sdwa v12, v21, v12 dst_sel:DWORD dst_unused:UNUSED_PAD src0_sel:BYTE_3 src1_sel:DWORD
	v_mov_b32_e32 v24, v13
	v_mov_b32_e32 v23, v12
	v_cmpx_gt_u32_e32 8, v20
; %bb.3137:                             ;   in Loop: Header=BB384_2086 Depth=1
	v_ffbh_u32_e32 v17, v12
	v_min_u32_e32 v17, 32, v17
	v_subrev_nc_u32_e32 v20, 28, v17
	v_sub_nc_u32_e32 v17, 29, v17
	v_lshlrev_b64 v[23:24], v20, v[12:13]
	v_and_b32_e32 v23, 7, v23
; %bb.3138:                             ;   in Loop: Header=BB384_2086 Depth=1
	s_or_b32 exec_lo, exec_lo, s21
	v_mov_b32_e32 v12, 24
	v_lshlrev_b32_e32 v20, 20, v23
	v_lshl_add_u32 v17, v17, 23, 0x3c000000
	v_lshlrev_b32_sdwa v12, v12, v21 dst_sel:DWORD dst_unused:UNUSED_PAD src0_sel:DWORD src1_sel:BYTE_3
	v_and_b32_e32 v12, 0x80000000, v12
	v_or3_b32 v17, v20, v12, v17
.LBB384_3139:                           ;   in Loop: Header=BB384_2086 Depth=1
	s_or_b32 exec_lo, exec_lo, s20
.LBB384_3140:                           ;   in Loop: Header=BB384_2086 Depth=1
	s_or_b32 exec_lo, exec_lo, s18
.LBB384_3141:                           ;   in Loop: Header=BB384_2086 Depth=1
	s_or_b32 exec_lo, exec_lo, s17
	v_mul_f32_e32 v12, v115, v28
	v_mul_f32_e32 v11, v115, v11
	;; [unrolled: 1-line block ×4, first 2 shown]
	v_bfe_u32 v20, v12, 16, 1
	v_or_b32_e32 v21, 0x400000, v12
	v_cmp_u_f32_e64 s4, v12, v12
	v_add3_u32 v20, v20, v12, 0x7fff
	v_cndmask_b32_e64 v12, v20, v21, s4
	v_lshrrev_b32_e32 v12, 16, v12
	buffer_store_dword v12, off, s[0:3], s32 offset:720 ; 4-byte Folded Spill
	v_mul_f32_e32 v12, v115, v25
	v_bfe_u32 v20, v12, 16, 1
	v_or_b32_e32 v21, 0x400000, v12
	v_cmp_u_f32_e64 s4, v12, v12
	v_add3_u32 v20, v20, v12, 0x7fff
	v_cndmask_b32_e64 v12, v20, v21, s4
	v_lshrrev_b32_e32 v12, 16, v12
	buffer_store_dword v12, off, s[0:3], s32 offset:724 ; 4-byte Folded Spill
	v_mul_f32_e32 v12, v115, v16
	v_bfe_u32 v16, v12, 16, 1
	v_or_b32_e32 v20, 0x400000, v12
	v_cmp_u_f32_e64 s4, v12, v12
	v_add3_u32 v16, v16, v12, 0x7fff
	v_cndmask_b32_e64 v12, v16, v20, s4
	v_or_b32_e32 v16, 0x400000, v11
	v_cmp_u_f32_e64 s4, v11, v11
	v_lshrrev_b32_e32 v12, 16, v12
	buffer_store_dword v12, off, s[0:3], s32 offset:728 ; 4-byte Folded Spill
	v_bfe_u32 v12, v11, 16, 1
	v_add3_u32 v12, v12, v11, 0x7fff
	v_cndmask_b32_e64 v11, v12, v16, s4
	v_or_b32_e32 v12, 0x400000, v5
	v_cmp_u_f32_e64 s4, v5, v5
	v_lshrrev_b32_e32 v11, 16, v11
	buffer_store_dword v11, off, s[0:3], s32 offset:732 ; 4-byte Folded Spill
	v_bfe_u32 v11, v5, 16, 1
	;; [unrolled: 7-line block ×3, first 2 shown]
	v_add3_u32 v5, v5, v4, 0x7fff
	v_cndmask_b32_e64 v4, v5, v11, s4
	v_lshrrev_b32_e32 v4, 16, v4
	buffer_store_dword v4, off, s[0:3], s32 offset:744 ; 4-byte Folded Spill
	v_mul_f32_e32 v4, v115, v22
	v_bfe_u32 v5, v4, 16, 1
	v_or_b32_e32 v11, 0x400000, v4
	v_cmp_u_f32_e64 s4, v4, v4
	v_add3_u32 v5, v5, v4, 0x7fff
	v_cndmask_b32_e64 v4, v5, v11, s4
	v_lshrrev_b32_e32 v4, 16, v4
	buffer_store_dword v4, off, s[0:3], s32 offset:736 ; 4-byte Folded Spill
	v_mul_f32_e32 v4, v115, v17
	v_bfe_u32 v5, v4, 16, 1
	v_or_b32_e32 v11, 0x400000, v4
	v_cmp_u_f32_e64 s4, v4, v4
	v_add3_u32 v5, v5, v4, 0x7fff
	v_cndmask_b32_e64 v4, v5, v11, s4
	v_lshrrev_b32_e32 v4, 16, v4
	buffer_store_dword v4, off, s[0:3], s32 offset:748 ; 4-byte Folded Spill
	s_and_saveexec_b32 s17, vcc_lo
	s_cbranch_execz .LBB384_3143
; %bb.3142:                             ;   in Loop: Header=BB384_2086 Depth=1
	buffer_load_dword v4, off, s[0:3], s32 offset:744 ; 4-byte Folded Reload
	v_cmp_lt_i32_e64 s4, v114, v48
	s_waitcnt vmcnt(0)
	v_cndmask_b32_e64 v4, 0, v4, s4
	v_cmp_lt_i32_e64 s4, v10, v48
	buffer_store_dword v4, off, s[0:3], s32 offset:744 ; 4-byte Folded Spill
	buffer_load_dword v4, off, s[0:3], s32 offset:740 ; 4-byte Folded Reload
	s_waitcnt vmcnt(0)
	v_cndmask_b32_e64 v4, 0, v4, s4
	v_cmp_lt_i32_e64 s4, v26, v48
	buffer_store_dword v4, off, s[0:3], s32 offset:740 ; 4-byte Folded Spill
	buffer_load_dword v4, off, s[0:3], s32 offset:732 ; 4-byte Folded Reload
	;; [unrolled: 5-line block ×7, first 2 shown]
	s_waitcnt vmcnt(0)
	v_cndmask_b32_e64 v4, 0, v4, s4
	buffer_store_dword v4, off, s[0:3], s32 offset:748 ; 4-byte Folded Spill
.LBB384_3143:                           ;   in Loop: Header=BB384_2086 Depth=1
	s_or_b32 exec_lo, exec_lo, s17
	v_add_co_u32 v20, s4, 0x1000, v18
	v_add_co_ci_u32_e64 v21, null, 0, v19, s4
	v_mov_b32_e32 v5, 0
	v_mov_b32_e32 v4, 0
	flat_load_dwordx2 v[23:24], v[20:21]
	s_waitcnt vmcnt(0) lgkmcnt(0)
	v_cmp_ne_u16_sdwa s4, v23, v13 src0_sel:BYTE_0 src1_sel:DWORD
	s_and_saveexec_b32 s17, s4
	s_cbranch_execz .LBB384_3151
; %bb.3144:                             ;   in Loop: Header=BB384_2086 Depth=1
	v_cmp_ne_u16_sdwa s4, v23, v116 src0_sel:BYTE_0 src1_sel:DWORD
	v_bfrev_b32_e32 v4, 1
	s_and_saveexec_b32 s18, s4
	s_cbranch_execz .LBB384_3150
; %bb.3145:                             ;   in Loop: Header=BB384_2086 Depth=1
	v_and_b32_e32 v11, 0x7f, v23
	v_mov_b32_e32 v4, 0x7f800001
	s_mov_b32 s20, exec_lo
	v_cmpx_ne_u32_e32 0x7f, v11
	s_cbranch_execz .LBB384_3149
; %bb.3146:                             ;   in Loop: Header=BB384_2086 Depth=1
	v_mov_b32_e32 v29, v24
	v_lshrrev_b32_e32 v4, 3, v11
	v_mov_b32_e32 v28, v23
	s_mov_b32 s21, exec_lo
	v_cmpx_gt_u32_e32 8, v11
; %bb.3147:                             ;   in Loop: Header=BB384_2086 Depth=1
	v_and_b32_e32 v4, 7, v23
	v_ffbh_u32_e32 v4, v4
	v_min_u32_e32 v4, 32, v4
	v_subrev_nc_u32_e32 v11, 28, v4
	v_sub_nc_u32_e32 v4, 29, v4
	v_lshlrev_b64 v[28:29], v11, v[23:24]
; %bb.3148:                             ;   in Loop: Header=BB384_2086 Depth=1
	s_or_b32 exec_lo, exec_lo, s21
	v_lshlrev_b32_e32 v11, 20, v28
	v_lshlrev_b32_e32 v12, 24, v23
	v_lshl_add_u32 v4, v4, 23, 0x3c000000
	v_and_b32_e32 v11, 0x700000, v11
	v_and_b32_e32 v12, 0x80000000, v12
	v_or3_b32 v4, v11, v12, v4
.LBB384_3149:                           ;   in Loop: Header=BB384_2086 Depth=1
	s_or_b32 exec_lo, exec_lo, s20
.LBB384_3150:                           ;   in Loop: Header=BB384_2086 Depth=1
	s_or_b32 exec_lo, exec_lo, s18
.LBB384_3151:                           ;   in Loop: Header=BB384_2086 Depth=1
	s_or_b32 exec_lo, exec_lo, s17
	v_cmp_ne_u16_sdwa s4, v23, v13 src0_sel:BYTE_1 src1_sel:DWORD
	s_and_saveexec_b32 s17, s4
	s_cbranch_execz .LBB384_3159
; %bb.3152:                             ;   in Loop: Header=BB384_2086 Depth=1
	v_cmp_ne_u16_sdwa s4, v23, v116 src0_sel:BYTE_1 src1_sel:DWORD
	v_bfrev_b32_e32 v5, 1
	s_and_saveexec_b32 s18, s4
	s_cbranch_execz .LBB384_3158
; %bb.3153:                             ;   in Loop: Header=BB384_2086 Depth=1
	v_mov_b32_e32 v5, 0xffff
	s_mov_b32 s20, exec_lo
	v_and_b32_sdwa v12, v5, v23 dst_sel:DWORD dst_unused:UNUSED_PAD src0_sel:DWORD src1_sel:BYTE_1
	v_mov_b32_e32 v5, 0x7f800001
	v_and_b32_e32 v11, 0x7f, v12
	v_cmpx_ne_u32_e32 0x7f, v11
	s_cbranch_execz .LBB384_3157
; %bb.3154:                             ;   in Loop: Header=BB384_2086 Depth=1
	v_and_b32_e32 v12, 7, v12
	v_mov_b32_e32 v29, v13
	v_lshrrev_b32_e32 v5, 3, v11
	s_mov_b32 s21, exec_lo
	v_mov_b32_e32 v28, v12
	v_cmpx_gt_u32_e32 8, v11
; %bb.3155:                             ;   in Loop: Header=BB384_2086 Depth=1
	v_ffbh_u32_e32 v5, v12
	v_min_u32_e32 v5, 32, v5
	v_subrev_nc_u32_e32 v11, 28, v5
	v_sub_nc_u32_e32 v5, 29, v5
	v_lshlrev_b64 v[11:12], v11, v[12:13]
	v_and_b32_e32 v28, 7, v11
; %bb.3156:                             ;   in Loop: Header=BB384_2086 Depth=1
	s_or_b32 exec_lo, exec_lo, s21
	v_lshlrev_b32_e32 v11, 16, v23
	v_lshlrev_b32_e32 v12, 20, v28
	v_lshl_add_u32 v5, v5, 23, 0x3c000000
	v_and_b32_e32 v11, 0x80000000, v11
	v_or3_b32 v5, v12, v11, v5
.LBB384_3157:                           ;   in Loop: Header=BB384_2086 Depth=1
	s_or_b32 exec_lo, exec_lo, s20
.LBB384_3158:                           ;   in Loop: Header=BB384_2086 Depth=1
	s_or_b32 exec_lo, exec_lo, s18
.LBB384_3159:                           ;   in Loop: Header=BB384_2086 Depth=1
	s_or_b32 exec_lo, exec_lo, s17
	v_and_b32_sdwa v12, v23, v118 dst_sel:DWORD dst_unused:UNUSED_PAD src0_sel:WORD_1 src1_sel:DWORD
	v_mov_b32_e32 v16, 0
	v_mov_b32_e32 v11, 0
	s_mov_b32 s17, exec_lo
	v_cmpx_ne_u16_e32 0, v12
	s_cbranch_execz .LBB384_3167
; %bb.3160:                             ;   in Loop: Header=BB384_2086 Depth=1
	v_bfrev_b32_e32 v11, 1
	s_mov_b32 s18, exec_lo
	v_cmpx_ne_u16_e32 0x80, v12
	s_cbranch_execz .LBB384_3166
; %bb.3161:                             ;   in Loop: Header=BB384_2086 Depth=1
	v_bfe_u32 v17, v23, 16, 7
	v_mov_b32_e32 v11, 0x7f800001
	s_mov_b32 s20, exec_lo
	v_cmpx_ne_u32_e32 0x7f, v17
	s_cbranch_execz .LBB384_3165
; %bb.3162:                             ;   in Loop: Header=BB384_2086 Depth=1
	v_mov_b32_e32 v11, 7
	s_mov_b32 s21, exec_lo
	v_and_b32_sdwa v12, v23, v11 dst_sel:DWORD dst_unused:UNUSED_PAD src0_sel:WORD_1 src1_sel:DWORD
	v_mov_b32_e32 v29, v13
	v_lshrrev_b32_e32 v11, 3, v17
	v_mov_b32_e32 v28, v12
	v_cmpx_gt_u32_e32 8, v17
; %bb.3163:                             ;   in Loop: Header=BB384_2086 Depth=1
	v_ffbh_u32_e32 v11, v12
	v_min_u32_e32 v11, 32, v11
	v_subrev_nc_u32_e32 v17, 28, v11
	v_sub_nc_u32_e32 v11, 29, v11
	v_lshlrev_b64 v[28:29], v17, v[12:13]
	v_and_b32_e32 v28, 7, v28
; %bb.3164:                             ;   in Loop: Header=BB384_2086 Depth=1
	s_or_b32 exec_lo, exec_lo, s21
	v_mov_b32_e32 v12, 24
	v_lshlrev_b32_e32 v17, 20, v28
	v_lshl_add_u32 v11, v11, 23, 0x3c000000
	v_lshlrev_b32_sdwa v12, v12, v23 dst_sel:DWORD dst_unused:UNUSED_PAD src0_sel:DWORD src1_sel:WORD_1
	v_and_b32_e32 v12, 0x80000000, v12
	v_or3_b32 v11, v17, v12, v11
.LBB384_3165:                           ;   in Loop: Header=BB384_2086 Depth=1
	s_or_b32 exec_lo, exec_lo, s20
.LBB384_3166:                           ;   in Loop: Header=BB384_2086 Depth=1
	s_or_b32 exec_lo, exec_lo, s18
.LBB384_3167:                           ;   in Loop: Header=BB384_2086 Depth=1
	s_or_b32 exec_lo, exec_lo, s17
	s_mov_b32 s17, exec_lo
	v_cmpx_lt_u32_e32 0xffffff, v23
	s_cbranch_execz .LBB384_3175
; %bb.3168:                             ;   in Loop: Header=BB384_2086 Depth=1
	v_cmp_ne_u32_sdwa s4, v23, v116 src0_sel:BYTE_3 src1_sel:DWORD
	v_bfrev_b32_e32 v16, 1
	s_and_saveexec_b32 s18, s4
	s_cbranch_execz .LBB384_3174
; %bb.3169:                             ;   in Loop: Header=BB384_2086 Depth=1
	v_bfe_u32 v17, v23, 24, 7
	v_mov_b32_e32 v16, 0x7f800001
	s_mov_b32 s20, exec_lo
	v_cmpx_ne_u32_e32 0x7f, v17
	s_cbranch_execz .LBB384_3173
; %bb.3170:                             ;   in Loop: Header=BB384_2086 Depth=1
	v_mov_b32_e32 v12, 7
	v_lshrrev_b32_e32 v16, 3, v17
	s_mov_b32 s21, exec_lo
	v_and_b32_sdwa v12, v23, v12 dst_sel:DWORD dst_unused:UNUSED_PAD src0_sel:BYTE_3 src1_sel:DWORD
	v_mov_b32_e32 v29, v13
	v_mov_b32_e32 v28, v12
	v_cmpx_gt_u32_e32 8, v17
; %bb.3171:                             ;   in Loop: Header=BB384_2086 Depth=1
	v_ffbh_u32_e32 v16, v12
	v_min_u32_e32 v16, 32, v16
	v_subrev_nc_u32_e32 v17, 28, v16
	v_sub_nc_u32_e32 v16, 29, v16
	v_lshlrev_b64 v[28:29], v17, v[12:13]
	v_and_b32_e32 v28, 7, v28
; %bb.3172:                             ;   in Loop: Header=BB384_2086 Depth=1
	s_or_b32 exec_lo, exec_lo, s21
	v_mov_b32_e32 v12, 24
	v_lshlrev_b32_e32 v17, 20, v28
	v_lshl_add_u32 v16, v16, 23, 0x3c000000
	v_lshlrev_b32_sdwa v12, v12, v23 dst_sel:DWORD dst_unused:UNUSED_PAD src0_sel:DWORD src1_sel:BYTE_3
	v_and_b32_e32 v12, 0x80000000, v12
	v_or3_b32 v16, v17, v12, v16
.LBB384_3173:                           ;   in Loop: Header=BB384_2086 Depth=1
	s_or_b32 exec_lo, exec_lo, s20
.LBB384_3174:                           ;   in Loop: Header=BB384_2086 Depth=1
	s_or_b32 exec_lo, exec_lo, s18
.LBB384_3175:                           ;   in Loop: Header=BB384_2086 Depth=1
	s_or_b32 exec_lo, exec_lo, s17
	v_mov_b32_e32 v12, v24
	v_cmp_ne_u16_sdwa s4, v24, v13 src0_sel:BYTE_0 src1_sel:DWORD
	v_mov_b32_e32 v31, 0
	v_mov_b32_e32 v25, 0
	s_and_saveexec_b32 s17, s4
	s_cbranch_execz .LBB384_3183
; %bb.3176:                             ;   in Loop: Header=BB384_2086 Depth=1
	v_cmp_ne_u16_sdwa s4, v24, v116 src0_sel:BYTE_0 src1_sel:DWORD
	v_bfrev_b32_e32 v25, 1
	s_and_saveexec_b32 s18, s4
	s_cbranch_execz .LBB384_3182
; %bb.3177:                             ;   in Loop: Header=BB384_2086 Depth=1
	v_and_b32_e32 v22, 0x7f, v24
	v_mov_b32_e32 v25, 0x7f800001
	s_mov_b32 s20, exec_lo
	v_cmpx_ne_u32_e32 0x7f, v22
	s_cbranch_execz .LBB384_3181
; %bb.3178:                             ;   in Loop: Header=BB384_2086 Depth=1
	v_mov_b32_e32 v29, v13
	v_mov_b32_e32 v28, v12
	v_lshrrev_b32_e32 v17, 3, v22
	s_mov_b32 s21, exec_lo
	v_cmpx_gt_u32_e32 8, v22
; %bb.3179:                             ;   in Loop: Header=BB384_2086 Depth=1
	v_and_b32_e32 v17, 7, v24
	v_ffbh_u32_e32 v17, v17
	v_min_u32_e32 v17, 32, v17
	v_subrev_nc_u32_e32 v22, 28, v17
	v_sub_nc_u32_e32 v17, 29, v17
	v_lshlrev_b64 v[28:29], v22, v[12:13]
; %bb.3180:                             ;   in Loop: Header=BB384_2086 Depth=1
	s_or_b32 exec_lo, exec_lo, s21
	v_lshlrev_b32_e32 v22, 20, v28
	v_lshlrev_b32_e32 v25, 24, v12
	v_lshl_add_u32 v17, v17, 23, 0x3c000000
	v_and_b32_e32 v22, 0x700000, v22
	v_and_b32_e32 v25, 0x80000000, v25
	v_or3_b32 v25, v22, v25, v17
.LBB384_3181:                           ;   in Loop: Header=BB384_2086 Depth=1
	s_or_b32 exec_lo, exec_lo, s20
.LBB384_3182:                           ;   in Loop: Header=BB384_2086 Depth=1
	s_or_b32 exec_lo, exec_lo, s18
.LBB384_3183:                           ;   in Loop: Header=BB384_2086 Depth=1
	s_or_b32 exec_lo, exec_lo, s17
	v_cmp_ne_u16_sdwa s4, v12, v13 src0_sel:BYTE_1 src1_sel:DWORD
	s_and_saveexec_b32 s17, s4
	s_cbranch_execz .LBB384_3191
; %bb.3184:                             ;   in Loop: Header=BB384_2086 Depth=1
	v_cmp_ne_u16_sdwa s4, v12, v116 src0_sel:BYTE_1 src1_sel:DWORD
	v_bfrev_b32_e32 v31, 1
	s_and_saveexec_b32 s18, s4
	s_cbranch_execz .LBB384_3190
; %bb.3185:                             ;   in Loop: Header=BB384_2086 Depth=1
	v_mov_b32_e32 v17, 0xffff
	v_mov_b32_e32 v31, 0x7f800001
	s_mov_b32 s20, exec_lo
	v_and_b32_sdwa v17, v17, v12 dst_sel:DWORD dst_unused:UNUSED_PAD src0_sel:DWORD src1_sel:BYTE_1
	v_and_b32_e32 v22, 0x7f, v17
	v_cmpx_ne_u32_e32 0x7f, v22
	s_cbranch_execz .LBB384_3189
; %bb.3186:                             ;   in Loop: Header=BB384_2086 Depth=1
	v_and_b32_e32 v28, 7, v17
	v_mov_b32_e32 v29, v13
	v_lshrrev_b32_e32 v17, 3, v22
	s_mov_b32 s21, exec_lo
	v_cmpx_gt_u32_e32 8, v22
; %bb.3187:                             ;   in Loop: Header=BB384_2086 Depth=1
	v_ffbh_u32_e32 v17, v28
	v_min_u32_e32 v17, 32, v17
	v_subrev_nc_u32_e32 v22, 28, v17
	v_sub_nc_u32_e32 v17, 29, v17
	v_lshlrev_b64 v[28:29], v22, v[28:29]
	v_and_b32_e32 v28, 7, v28
; %bb.3188:                             ;   in Loop: Header=BB384_2086 Depth=1
	s_or_b32 exec_lo, exec_lo, s21
	v_lshlrev_b32_e32 v12, 16, v12
	v_lshlrev_b32_e32 v22, 20, v28
	v_lshl_add_u32 v17, v17, 23, 0x3c000000
	v_and_b32_e32 v12, 0x80000000, v12
	v_or3_b32 v31, v22, v12, v17
.LBB384_3189:                           ;   in Loop: Header=BB384_2086 Depth=1
	s_or_b32 exec_lo, exec_lo, s20
.LBB384_3190:                           ;   in Loop: Header=BB384_2086 Depth=1
	s_or_b32 exec_lo, exec_lo, s18
.LBB384_3191:                           ;   in Loop: Header=BB384_2086 Depth=1
	s_or_b32 exec_lo, exec_lo, s17
	v_and_b32_sdwa v12, v24, v118 dst_sel:DWORD dst_unused:UNUSED_PAD src0_sel:WORD_1 src1_sel:DWORD
	v_mov_b32_e32 v17, 0
	v_mov_b32_e32 v22, 0
	s_mov_b32 s17, exec_lo
	v_cmpx_ne_u16_e32 0, v12
	s_cbranch_execz .LBB384_3199
; %bb.3192:                             ;   in Loop: Header=BB384_2086 Depth=1
	v_bfrev_b32_e32 v22, 1
	s_mov_b32 s18, exec_lo
	v_cmpx_ne_u16_e32 0x80, v12
	s_cbranch_execz .LBB384_3198
; %bb.3193:                             ;   in Loop: Header=BB384_2086 Depth=1
	v_bfe_u32 v32, v24, 16, 7
	v_mov_b32_e32 v22, 0x7f800001
	s_mov_b32 s20, exec_lo
	v_cmpx_ne_u32_e32 0x7f, v32
	s_cbranch_execz .LBB384_3197
; %bb.3194:                             ;   in Loop: Header=BB384_2086 Depth=1
	v_mov_b32_e32 v12, 7
	v_lshrrev_b32_e32 v22, 3, v32
	s_mov_b32 s21, exec_lo
	v_and_b32_sdwa v12, v24, v12 dst_sel:DWORD dst_unused:UNUSED_PAD src0_sel:WORD_1 src1_sel:DWORD
	v_mov_b32_e32 v29, v13
	v_mov_b32_e32 v28, v12
	v_cmpx_gt_u32_e32 8, v32
; %bb.3195:                             ;   in Loop: Header=BB384_2086 Depth=1
	v_ffbh_u32_e32 v22, v12
	v_min_u32_e32 v22, 32, v22
	v_subrev_nc_u32_e32 v28, 28, v22
	v_sub_nc_u32_e32 v22, 29, v22
	v_lshlrev_b64 v[28:29], v28, v[12:13]
	v_and_b32_e32 v28, 7, v28
; %bb.3196:                             ;   in Loop: Header=BB384_2086 Depth=1
	s_or_b32 exec_lo, exec_lo, s21
	v_mov_b32_e32 v12, 24
	v_lshlrev_b32_e32 v28, 20, v28
	v_lshl_add_u32 v22, v22, 23, 0x3c000000
	v_lshlrev_b32_sdwa v12, v12, v24 dst_sel:DWORD dst_unused:UNUSED_PAD src0_sel:DWORD src1_sel:WORD_1
	v_and_b32_e32 v12, 0x80000000, v12
	v_or3_b32 v22, v28, v12, v22
.LBB384_3197:                           ;   in Loop: Header=BB384_2086 Depth=1
	s_or_b32 exec_lo, exec_lo, s20
.LBB384_3198:                           ;   in Loop: Header=BB384_2086 Depth=1
	s_or_b32 exec_lo, exec_lo, s18
.LBB384_3199:                           ;   in Loop: Header=BB384_2086 Depth=1
	s_or_b32 exec_lo, exec_lo, s17
	s_mov_b32 s17, exec_lo
	v_cmpx_lt_u64_e64 s[12:13], v[23:24]
	s_cbranch_execz .LBB384_3207
; %bb.3200:                             ;   in Loop: Header=BB384_2086 Depth=1
	v_cmp_ne_u32_sdwa s4, v24, v116 src0_sel:BYTE_3 src1_sel:DWORD
	v_bfrev_b32_e32 v17, 1
	s_and_saveexec_b32 s18, s4
	s_cbranch_execz .LBB384_3206
; %bb.3201:                             ;   in Loop: Header=BB384_2086 Depth=1
	v_bfe_u32 v23, v24, 24, 7
	v_mov_b32_e32 v17, 0x7f800001
	s_mov_b32 s20, exec_lo
	v_cmpx_ne_u32_e32 0x7f, v23
	s_cbranch_execz .LBB384_3205
; %bb.3202:                             ;   in Loop: Header=BB384_2086 Depth=1
	v_mov_b32_e32 v12, 7
	v_lshrrev_b32_e32 v17, 3, v23
	s_mov_b32 s21, exec_lo
	v_and_b32_sdwa v12, v24, v12 dst_sel:DWORD dst_unused:UNUSED_PAD src0_sel:BYTE_3 src1_sel:DWORD
	v_mov_b32_e32 v29, v13
	v_mov_b32_e32 v28, v12
	v_cmpx_gt_u32_e32 8, v23
; %bb.3203:                             ;   in Loop: Header=BB384_2086 Depth=1
	v_ffbh_u32_e32 v17, v12
	v_min_u32_e32 v17, 32, v17
	v_subrev_nc_u32_e32 v23, 28, v17
	v_sub_nc_u32_e32 v17, 29, v17
	v_lshlrev_b64 v[28:29], v23, v[12:13]
	v_and_b32_e32 v28, 7, v28
; %bb.3204:                             ;   in Loop: Header=BB384_2086 Depth=1
	s_or_b32 exec_lo, exec_lo, s21
	v_mov_b32_e32 v12, 24
	v_lshlrev_b32_e32 v23, 20, v28
	v_lshl_add_u32 v17, v17, 23, 0x3c000000
	v_lshlrev_b32_sdwa v12, v12, v24 dst_sel:DWORD dst_unused:UNUSED_PAD src0_sel:DWORD src1_sel:BYTE_3
	v_and_b32_e32 v12, 0x80000000, v12
	v_or3_b32 v17, v23, v12, v17
.LBB384_3205:                           ;   in Loop: Header=BB384_2086 Depth=1
	s_or_b32 exec_lo, exec_lo, s20
.LBB384_3206:                           ;   in Loop: Header=BB384_2086 Depth=1
	s_or_b32 exec_lo, exec_lo, s18
.LBB384_3207:                           ;   in Loop: Header=BB384_2086 Depth=1
	s_or_b32 exec_lo, exec_lo, s17
	v_mul_f32_e32 v12, v115, v31
	v_mul_f32_e32 v11, v115, v11
	;; [unrolled: 1-line block ×4, first 2 shown]
	v_bfe_u32 v23, v12, 16, 1
	v_or_b32_e32 v24, 0x400000, v12
	v_cmp_u_f32_e64 s4, v12, v12
	v_add3_u32 v23, v23, v12, 0x7fff
	v_cndmask_b32_e64 v12, v23, v24, s4
	v_lshrrev_b32_e32 v12, 16, v12
	buffer_store_dword v12, off, s[0:3], s32 offset:752 ; 4-byte Folded Spill
	v_mul_f32_e32 v12, v115, v25
	v_bfe_u32 v23, v12, 16, 1
	v_or_b32_e32 v24, 0x400000, v12
	v_cmp_u_f32_e64 s4, v12, v12
	v_add3_u32 v23, v23, v12, 0x7fff
	v_cndmask_b32_e64 v12, v23, v24, s4
	v_lshrrev_b32_e32 v12, 16, v12
	buffer_store_dword v12, off, s[0:3], s32 offset:756 ; 4-byte Folded Spill
	v_mul_f32_e32 v12, v115, v16
	v_bfe_u32 v16, v12, 16, 1
	v_or_b32_e32 v23, 0x400000, v12
	v_cmp_u_f32_e64 s4, v12, v12
	v_add3_u32 v16, v16, v12, 0x7fff
	v_cndmask_b32_e64 v12, v16, v23, s4
	v_or_b32_e32 v16, 0x400000, v11
	v_cmp_u_f32_e64 s4, v11, v11
	v_lshrrev_b32_e32 v12, 16, v12
	buffer_store_dword v12, off, s[0:3], s32 offset:760 ; 4-byte Folded Spill
	v_bfe_u32 v12, v11, 16, 1
	v_add3_u32 v12, v12, v11, 0x7fff
	v_cndmask_b32_e64 v11, v12, v16, s4
	v_or_b32_e32 v12, 0x400000, v5
	v_cmp_u_f32_e64 s4, v5, v5
	v_lshrrev_b32_e32 v11, 16, v11
	buffer_store_dword v11, off, s[0:3], s32 offset:764 ; 4-byte Folded Spill
	v_bfe_u32 v11, v5, 16, 1
	;; [unrolled: 7-line block ×3, first 2 shown]
	v_add3_u32 v5, v5, v4, 0x7fff
	v_cndmask_b32_e64 v4, v5, v11, s4
	v_lshrrev_b32_e32 v4, 16, v4
	buffer_store_dword v4, off, s[0:3], s32 offset:776 ; 4-byte Folded Spill
	v_mul_f32_e32 v4, v115, v22
	v_bfe_u32 v5, v4, 16, 1
	v_or_b32_e32 v11, 0x400000, v4
	v_cmp_u_f32_e64 s4, v4, v4
	v_add3_u32 v5, v5, v4, 0x7fff
	v_cndmask_b32_e64 v4, v5, v11, s4
	v_lshrrev_b32_e32 v4, 16, v4
	buffer_store_dword v4, off, s[0:3], s32 offset:768 ; 4-byte Folded Spill
	v_mul_f32_e32 v4, v115, v17
	v_bfe_u32 v5, v4, 16, 1
	v_or_b32_e32 v11, 0x400000, v4
	v_cmp_u_f32_e64 s4, v4, v4
	v_add3_u32 v5, v5, v4, 0x7fff
	v_cndmask_b32_e64 v4, v5, v11, s4
	v_lshrrev_b32_e32 v4, 16, v4
	buffer_store_dword v4, off, s[0:3], s32 offset:780 ; 4-byte Folded Spill
	s_and_saveexec_b32 s17, vcc_lo
	s_cbranch_execz .LBB384_3209
; %bb.3208:                             ;   in Loop: Header=BB384_2086 Depth=1
	buffer_load_dword v4, off, s[0:3], s32 offset:776 ; 4-byte Folded Reload
	v_cmp_lt_i32_e64 s4, v114, v48
	s_waitcnt vmcnt(0)
	v_cndmask_b32_e64 v4, 0, v4, s4
	v_cmp_lt_i32_e64 s4, v10, v48
	buffer_store_dword v4, off, s[0:3], s32 offset:776 ; 4-byte Folded Spill
	buffer_load_dword v4, off, s[0:3], s32 offset:772 ; 4-byte Folded Reload
	s_waitcnt vmcnt(0)
	v_cndmask_b32_e64 v4, 0, v4, s4
	v_cmp_lt_i32_e64 s4, v26, v48
	buffer_store_dword v4, off, s[0:3], s32 offset:772 ; 4-byte Folded Spill
	buffer_load_dword v4, off, s[0:3], s32 offset:764 ; 4-byte Folded Reload
	;; [unrolled: 5-line block ×7, first 2 shown]
	s_waitcnt vmcnt(0)
	v_cndmask_b32_e64 v4, 0, v4, s4
	buffer_store_dword v4, off, s[0:3], s32 offset:780 ; 4-byte Folded Spill
.LBB384_3209:                           ;   in Loop: Header=BB384_2086 Depth=1
	s_or_b32 exec_lo, exec_lo, s17
	flat_load_dwordx2 v[23:24], v[20:21] offset:256
	v_mov_b32_e32 v5, 0
	v_mov_b32_e32 v4, 0
	s_waitcnt vmcnt(0) lgkmcnt(0)
	v_cmp_ne_u16_sdwa s4, v23, v13 src0_sel:BYTE_0 src1_sel:DWORD
	s_and_saveexec_b32 s17, s4
	s_cbranch_execz .LBB384_3217
; %bb.3210:                             ;   in Loop: Header=BB384_2086 Depth=1
	v_cmp_ne_u16_sdwa s4, v23, v116 src0_sel:BYTE_0 src1_sel:DWORD
	v_bfrev_b32_e32 v4, 1
	s_and_saveexec_b32 s18, s4
	s_cbranch_execz .LBB384_3216
; %bb.3211:                             ;   in Loop: Header=BB384_2086 Depth=1
	v_and_b32_e32 v11, 0x7f, v23
	v_mov_b32_e32 v4, 0x7f800001
	s_mov_b32 s20, exec_lo
	v_cmpx_ne_u32_e32 0x7f, v11
	s_cbranch_execz .LBB384_3215
; %bb.3212:                             ;   in Loop: Header=BB384_2086 Depth=1
	v_mov_b32_e32 v29, v24
	v_lshrrev_b32_e32 v4, 3, v11
	v_mov_b32_e32 v28, v23
	s_mov_b32 s21, exec_lo
	v_cmpx_gt_u32_e32 8, v11
; %bb.3213:                             ;   in Loop: Header=BB384_2086 Depth=1
	v_and_b32_e32 v4, 7, v23
	v_ffbh_u32_e32 v4, v4
	v_min_u32_e32 v4, 32, v4
	v_subrev_nc_u32_e32 v11, 28, v4
	v_sub_nc_u32_e32 v4, 29, v4
	v_lshlrev_b64 v[28:29], v11, v[23:24]
; %bb.3214:                             ;   in Loop: Header=BB384_2086 Depth=1
	s_or_b32 exec_lo, exec_lo, s21
	v_lshlrev_b32_e32 v11, 20, v28
	v_lshlrev_b32_e32 v12, 24, v23
	v_lshl_add_u32 v4, v4, 23, 0x3c000000
	v_and_b32_e32 v11, 0x700000, v11
	v_and_b32_e32 v12, 0x80000000, v12
	v_or3_b32 v4, v11, v12, v4
.LBB384_3215:                           ;   in Loop: Header=BB384_2086 Depth=1
	s_or_b32 exec_lo, exec_lo, s20
.LBB384_3216:                           ;   in Loop: Header=BB384_2086 Depth=1
	s_or_b32 exec_lo, exec_lo, s18
.LBB384_3217:                           ;   in Loop: Header=BB384_2086 Depth=1
	s_or_b32 exec_lo, exec_lo, s17
	v_cmp_ne_u16_sdwa s4, v23, v13 src0_sel:BYTE_1 src1_sel:DWORD
	s_and_saveexec_b32 s17, s4
	s_cbranch_execz .LBB384_3225
; %bb.3218:                             ;   in Loop: Header=BB384_2086 Depth=1
	v_cmp_ne_u16_sdwa s4, v23, v116 src0_sel:BYTE_1 src1_sel:DWORD
	v_bfrev_b32_e32 v5, 1
	s_and_saveexec_b32 s18, s4
	s_cbranch_execz .LBB384_3224
; %bb.3219:                             ;   in Loop: Header=BB384_2086 Depth=1
	v_mov_b32_e32 v5, 0xffff
	s_mov_b32 s20, exec_lo
	v_and_b32_sdwa v12, v5, v23 dst_sel:DWORD dst_unused:UNUSED_PAD src0_sel:DWORD src1_sel:BYTE_1
	v_mov_b32_e32 v5, 0x7f800001
	v_and_b32_e32 v11, 0x7f, v12
	v_cmpx_ne_u32_e32 0x7f, v11
	s_cbranch_execz .LBB384_3223
; %bb.3220:                             ;   in Loop: Header=BB384_2086 Depth=1
	v_and_b32_e32 v12, 7, v12
	v_mov_b32_e32 v29, v13
	v_lshrrev_b32_e32 v5, 3, v11
	s_mov_b32 s21, exec_lo
	v_mov_b32_e32 v28, v12
	v_cmpx_gt_u32_e32 8, v11
; %bb.3221:                             ;   in Loop: Header=BB384_2086 Depth=1
	v_ffbh_u32_e32 v5, v12
	v_min_u32_e32 v5, 32, v5
	v_subrev_nc_u32_e32 v11, 28, v5
	v_sub_nc_u32_e32 v5, 29, v5
	v_lshlrev_b64 v[11:12], v11, v[12:13]
	v_and_b32_e32 v28, 7, v11
; %bb.3222:                             ;   in Loop: Header=BB384_2086 Depth=1
	s_or_b32 exec_lo, exec_lo, s21
	v_lshlrev_b32_e32 v11, 16, v23
	v_lshlrev_b32_e32 v12, 20, v28
	v_lshl_add_u32 v5, v5, 23, 0x3c000000
	v_and_b32_e32 v11, 0x80000000, v11
	v_or3_b32 v5, v12, v11, v5
.LBB384_3223:                           ;   in Loop: Header=BB384_2086 Depth=1
	s_or_b32 exec_lo, exec_lo, s20
.LBB384_3224:                           ;   in Loop: Header=BB384_2086 Depth=1
	s_or_b32 exec_lo, exec_lo, s18
.LBB384_3225:                           ;   in Loop: Header=BB384_2086 Depth=1
	s_or_b32 exec_lo, exec_lo, s17
	v_and_b32_sdwa v12, v23, v118 dst_sel:DWORD dst_unused:UNUSED_PAD src0_sel:WORD_1 src1_sel:DWORD
	v_mov_b32_e32 v16, 0
	v_mov_b32_e32 v11, 0
	s_mov_b32 s17, exec_lo
	v_cmpx_ne_u16_e32 0, v12
	s_cbranch_execz .LBB384_3233
; %bb.3226:                             ;   in Loop: Header=BB384_2086 Depth=1
	v_bfrev_b32_e32 v11, 1
	s_mov_b32 s18, exec_lo
	v_cmpx_ne_u16_e32 0x80, v12
	s_cbranch_execz .LBB384_3232
; %bb.3227:                             ;   in Loop: Header=BB384_2086 Depth=1
	v_bfe_u32 v17, v23, 16, 7
	v_mov_b32_e32 v11, 0x7f800001
	s_mov_b32 s20, exec_lo
	v_cmpx_ne_u32_e32 0x7f, v17
	s_cbranch_execz .LBB384_3231
; %bb.3228:                             ;   in Loop: Header=BB384_2086 Depth=1
	v_mov_b32_e32 v11, 7
	s_mov_b32 s21, exec_lo
	v_and_b32_sdwa v12, v23, v11 dst_sel:DWORD dst_unused:UNUSED_PAD src0_sel:WORD_1 src1_sel:DWORD
	v_mov_b32_e32 v29, v13
	v_lshrrev_b32_e32 v11, 3, v17
	v_mov_b32_e32 v28, v12
	v_cmpx_gt_u32_e32 8, v17
; %bb.3229:                             ;   in Loop: Header=BB384_2086 Depth=1
	v_ffbh_u32_e32 v11, v12
	v_min_u32_e32 v11, 32, v11
	v_subrev_nc_u32_e32 v17, 28, v11
	v_sub_nc_u32_e32 v11, 29, v11
	v_lshlrev_b64 v[28:29], v17, v[12:13]
	v_and_b32_e32 v28, 7, v28
; %bb.3230:                             ;   in Loop: Header=BB384_2086 Depth=1
	s_or_b32 exec_lo, exec_lo, s21
	v_mov_b32_e32 v12, 24
	v_lshlrev_b32_e32 v17, 20, v28
	v_lshl_add_u32 v11, v11, 23, 0x3c000000
	v_lshlrev_b32_sdwa v12, v12, v23 dst_sel:DWORD dst_unused:UNUSED_PAD src0_sel:DWORD src1_sel:WORD_1
	v_and_b32_e32 v12, 0x80000000, v12
	v_or3_b32 v11, v17, v12, v11
.LBB384_3231:                           ;   in Loop: Header=BB384_2086 Depth=1
	s_or_b32 exec_lo, exec_lo, s20
.LBB384_3232:                           ;   in Loop: Header=BB384_2086 Depth=1
	s_or_b32 exec_lo, exec_lo, s18
.LBB384_3233:                           ;   in Loop: Header=BB384_2086 Depth=1
	s_or_b32 exec_lo, exec_lo, s17
	s_mov_b32 s17, exec_lo
	v_cmpx_lt_u32_e32 0xffffff, v23
	s_cbranch_execz .LBB384_3241
; %bb.3234:                             ;   in Loop: Header=BB384_2086 Depth=1
	v_cmp_ne_u32_sdwa s4, v23, v116 src0_sel:BYTE_3 src1_sel:DWORD
	v_bfrev_b32_e32 v16, 1
	s_and_saveexec_b32 s18, s4
	s_cbranch_execz .LBB384_3240
; %bb.3235:                             ;   in Loop: Header=BB384_2086 Depth=1
	v_bfe_u32 v17, v23, 24, 7
	v_mov_b32_e32 v16, 0x7f800001
	s_mov_b32 s20, exec_lo
	v_cmpx_ne_u32_e32 0x7f, v17
	s_cbranch_execz .LBB384_3239
; %bb.3236:                             ;   in Loop: Header=BB384_2086 Depth=1
	v_mov_b32_e32 v12, 7
	v_lshrrev_b32_e32 v16, 3, v17
	s_mov_b32 s21, exec_lo
	v_and_b32_sdwa v12, v23, v12 dst_sel:DWORD dst_unused:UNUSED_PAD src0_sel:BYTE_3 src1_sel:DWORD
	v_mov_b32_e32 v29, v13
	v_mov_b32_e32 v28, v12
	v_cmpx_gt_u32_e32 8, v17
; %bb.3237:                             ;   in Loop: Header=BB384_2086 Depth=1
	v_ffbh_u32_e32 v16, v12
	v_min_u32_e32 v16, 32, v16
	v_subrev_nc_u32_e32 v17, 28, v16
	v_sub_nc_u32_e32 v16, 29, v16
	v_lshlrev_b64 v[28:29], v17, v[12:13]
	v_and_b32_e32 v28, 7, v28
; %bb.3238:                             ;   in Loop: Header=BB384_2086 Depth=1
	s_or_b32 exec_lo, exec_lo, s21
	v_mov_b32_e32 v12, 24
	v_lshlrev_b32_e32 v17, 20, v28
	v_lshl_add_u32 v16, v16, 23, 0x3c000000
	v_lshlrev_b32_sdwa v12, v12, v23 dst_sel:DWORD dst_unused:UNUSED_PAD src0_sel:DWORD src1_sel:BYTE_3
	v_and_b32_e32 v12, 0x80000000, v12
	v_or3_b32 v16, v17, v12, v16
.LBB384_3239:                           ;   in Loop: Header=BB384_2086 Depth=1
	s_or_b32 exec_lo, exec_lo, s20
.LBB384_3240:                           ;   in Loop: Header=BB384_2086 Depth=1
	s_or_b32 exec_lo, exec_lo, s18
.LBB384_3241:                           ;   in Loop: Header=BB384_2086 Depth=1
	s_or_b32 exec_lo, exec_lo, s17
	v_mov_b32_e32 v12, v24
	v_cmp_ne_u16_sdwa s4, v24, v13 src0_sel:BYTE_0 src1_sel:DWORD
	v_mov_b32_e32 v31, 0
	v_mov_b32_e32 v25, 0
	s_and_saveexec_b32 s17, s4
	s_cbranch_execz .LBB384_3249
; %bb.3242:                             ;   in Loop: Header=BB384_2086 Depth=1
	v_cmp_ne_u16_sdwa s4, v24, v116 src0_sel:BYTE_0 src1_sel:DWORD
	v_bfrev_b32_e32 v25, 1
	s_and_saveexec_b32 s18, s4
	s_cbranch_execz .LBB384_3248
; %bb.3243:                             ;   in Loop: Header=BB384_2086 Depth=1
	v_and_b32_e32 v22, 0x7f, v24
	v_mov_b32_e32 v25, 0x7f800001
	s_mov_b32 s20, exec_lo
	v_cmpx_ne_u32_e32 0x7f, v22
	s_cbranch_execz .LBB384_3247
; %bb.3244:                             ;   in Loop: Header=BB384_2086 Depth=1
	v_mov_b32_e32 v29, v13
	v_mov_b32_e32 v28, v12
	v_lshrrev_b32_e32 v17, 3, v22
	s_mov_b32 s21, exec_lo
	v_cmpx_gt_u32_e32 8, v22
; %bb.3245:                             ;   in Loop: Header=BB384_2086 Depth=1
	v_and_b32_e32 v17, 7, v24
	v_ffbh_u32_e32 v17, v17
	v_min_u32_e32 v17, 32, v17
	v_subrev_nc_u32_e32 v22, 28, v17
	v_sub_nc_u32_e32 v17, 29, v17
	v_lshlrev_b64 v[28:29], v22, v[12:13]
; %bb.3246:                             ;   in Loop: Header=BB384_2086 Depth=1
	s_or_b32 exec_lo, exec_lo, s21
	v_lshlrev_b32_e32 v22, 20, v28
	v_lshlrev_b32_e32 v25, 24, v12
	v_lshl_add_u32 v17, v17, 23, 0x3c000000
	v_and_b32_e32 v22, 0x700000, v22
	v_and_b32_e32 v25, 0x80000000, v25
	v_or3_b32 v25, v22, v25, v17
.LBB384_3247:                           ;   in Loop: Header=BB384_2086 Depth=1
	s_or_b32 exec_lo, exec_lo, s20
.LBB384_3248:                           ;   in Loop: Header=BB384_2086 Depth=1
	s_or_b32 exec_lo, exec_lo, s18
.LBB384_3249:                           ;   in Loop: Header=BB384_2086 Depth=1
	s_or_b32 exec_lo, exec_lo, s17
	v_cmp_ne_u16_sdwa s4, v12, v13 src0_sel:BYTE_1 src1_sel:DWORD
	s_and_saveexec_b32 s17, s4
	s_cbranch_execz .LBB384_3257
; %bb.3250:                             ;   in Loop: Header=BB384_2086 Depth=1
	v_cmp_ne_u16_sdwa s4, v12, v116 src0_sel:BYTE_1 src1_sel:DWORD
	v_bfrev_b32_e32 v31, 1
	s_and_saveexec_b32 s18, s4
	s_cbranch_execz .LBB384_3256
; %bb.3251:                             ;   in Loop: Header=BB384_2086 Depth=1
	v_mov_b32_e32 v17, 0xffff
	v_mov_b32_e32 v31, 0x7f800001
	s_mov_b32 s20, exec_lo
	v_and_b32_sdwa v17, v17, v12 dst_sel:DWORD dst_unused:UNUSED_PAD src0_sel:DWORD src1_sel:BYTE_1
	v_and_b32_e32 v22, 0x7f, v17
	v_cmpx_ne_u32_e32 0x7f, v22
	s_cbranch_execz .LBB384_3255
; %bb.3252:                             ;   in Loop: Header=BB384_2086 Depth=1
	v_and_b32_e32 v28, 7, v17
	v_mov_b32_e32 v29, v13
	v_lshrrev_b32_e32 v17, 3, v22
	s_mov_b32 s21, exec_lo
	v_cmpx_gt_u32_e32 8, v22
; %bb.3253:                             ;   in Loop: Header=BB384_2086 Depth=1
	v_ffbh_u32_e32 v17, v28
	v_min_u32_e32 v17, 32, v17
	v_subrev_nc_u32_e32 v22, 28, v17
	v_sub_nc_u32_e32 v17, 29, v17
	v_lshlrev_b64 v[28:29], v22, v[28:29]
	v_and_b32_e32 v28, 7, v28
; %bb.3254:                             ;   in Loop: Header=BB384_2086 Depth=1
	s_or_b32 exec_lo, exec_lo, s21
	v_lshlrev_b32_e32 v12, 16, v12
	v_lshlrev_b32_e32 v22, 20, v28
	v_lshl_add_u32 v17, v17, 23, 0x3c000000
	v_and_b32_e32 v12, 0x80000000, v12
	v_or3_b32 v31, v22, v12, v17
.LBB384_3255:                           ;   in Loop: Header=BB384_2086 Depth=1
	s_or_b32 exec_lo, exec_lo, s20
.LBB384_3256:                           ;   in Loop: Header=BB384_2086 Depth=1
	s_or_b32 exec_lo, exec_lo, s18
.LBB384_3257:                           ;   in Loop: Header=BB384_2086 Depth=1
	s_or_b32 exec_lo, exec_lo, s17
	v_and_b32_sdwa v12, v24, v118 dst_sel:DWORD dst_unused:UNUSED_PAD src0_sel:WORD_1 src1_sel:DWORD
	v_mov_b32_e32 v17, 0
	v_mov_b32_e32 v22, 0
	s_mov_b32 s17, exec_lo
	v_cmpx_ne_u16_e32 0, v12
	s_cbranch_execz .LBB384_3265
; %bb.3258:                             ;   in Loop: Header=BB384_2086 Depth=1
	v_bfrev_b32_e32 v22, 1
	s_mov_b32 s18, exec_lo
	v_cmpx_ne_u16_e32 0x80, v12
	s_cbranch_execz .LBB384_3264
; %bb.3259:                             ;   in Loop: Header=BB384_2086 Depth=1
	v_bfe_u32 v32, v24, 16, 7
	v_mov_b32_e32 v22, 0x7f800001
	s_mov_b32 s20, exec_lo
	v_cmpx_ne_u32_e32 0x7f, v32
	s_cbranch_execz .LBB384_3263
; %bb.3260:                             ;   in Loop: Header=BB384_2086 Depth=1
	v_mov_b32_e32 v12, 7
	v_lshrrev_b32_e32 v22, 3, v32
	s_mov_b32 s21, exec_lo
	v_and_b32_sdwa v12, v24, v12 dst_sel:DWORD dst_unused:UNUSED_PAD src0_sel:WORD_1 src1_sel:DWORD
	v_mov_b32_e32 v29, v13
	v_mov_b32_e32 v28, v12
	v_cmpx_gt_u32_e32 8, v32
; %bb.3261:                             ;   in Loop: Header=BB384_2086 Depth=1
	v_ffbh_u32_e32 v22, v12
	v_min_u32_e32 v22, 32, v22
	v_subrev_nc_u32_e32 v28, 28, v22
	v_sub_nc_u32_e32 v22, 29, v22
	v_lshlrev_b64 v[28:29], v28, v[12:13]
	v_and_b32_e32 v28, 7, v28
; %bb.3262:                             ;   in Loop: Header=BB384_2086 Depth=1
	s_or_b32 exec_lo, exec_lo, s21
	v_mov_b32_e32 v12, 24
	v_lshlrev_b32_e32 v28, 20, v28
	v_lshl_add_u32 v22, v22, 23, 0x3c000000
	v_lshlrev_b32_sdwa v12, v12, v24 dst_sel:DWORD dst_unused:UNUSED_PAD src0_sel:DWORD src1_sel:WORD_1
	v_and_b32_e32 v12, 0x80000000, v12
	v_or3_b32 v22, v28, v12, v22
.LBB384_3263:                           ;   in Loop: Header=BB384_2086 Depth=1
	s_or_b32 exec_lo, exec_lo, s20
.LBB384_3264:                           ;   in Loop: Header=BB384_2086 Depth=1
	s_or_b32 exec_lo, exec_lo, s18
.LBB384_3265:                           ;   in Loop: Header=BB384_2086 Depth=1
	s_or_b32 exec_lo, exec_lo, s17
	s_mov_b32 s17, exec_lo
	v_cmpx_lt_u64_e64 s[12:13], v[23:24]
	s_cbranch_execz .LBB384_3273
; %bb.3266:                             ;   in Loop: Header=BB384_2086 Depth=1
	v_cmp_ne_u32_sdwa s4, v24, v116 src0_sel:BYTE_3 src1_sel:DWORD
	v_bfrev_b32_e32 v17, 1
	s_and_saveexec_b32 s18, s4
	s_cbranch_execz .LBB384_3272
; %bb.3267:                             ;   in Loop: Header=BB384_2086 Depth=1
	v_bfe_u32 v23, v24, 24, 7
	v_mov_b32_e32 v17, 0x7f800001
	s_mov_b32 s20, exec_lo
	v_cmpx_ne_u32_e32 0x7f, v23
	s_cbranch_execz .LBB384_3271
; %bb.3268:                             ;   in Loop: Header=BB384_2086 Depth=1
	v_mov_b32_e32 v12, 7
	v_lshrrev_b32_e32 v17, 3, v23
	s_mov_b32 s21, exec_lo
	v_and_b32_sdwa v12, v24, v12 dst_sel:DWORD dst_unused:UNUSED_PAD src0_sel:BYTE_3 src1_sel:DWORD
	v_mov_b32_e32 v29, v13
	v_mov_b32_e32 v28, v12
	v_cmpx_gt_u32_e32 8, v23
; %bb.3269:                             ;   in Loop: Header=BB384_2086 Depth=1
	v_ffbh_u32_e32 v17, v12
	v_min_u32_e32 v17, 32, v17
	v_subrev_nc_u32_e32 v23, 28, v17
	v_sub_nc_u32_e32 v17, 29, v17
	v_lshlrev_b64 v[28:29], v23, v[12:13]
	v_and_b32_e32 v28, 7, v28
; %bb.3270:                             ;   in Loop: Header=BB384_2086 Depth=1
	s_or_b32 exec_lo, exec_lo, s21
	v_mov_b32_e32 v12, 24
	v_lshlrev_b32_e32 v23, 20, v28
	v_lshl_add_u32 v17, v17, 23, 0x3c000000
	v_lshlrev_b32_sdwa v12, v12, v24 dst_sel:DWORD dst_unused:UNUSED_PAD src0_sel:DWORD src1_sel:BYTE_3
	v_and_b32_e32 v12, 0x80000000, v12
	v_or3_b32 v17, v23, v12, v17
.LBB384_3271:                           ;   in Loop: Header=BB384_2086 Depth=1
	s_or_b32 exec_lo, exec_lo, s20
.LBB384_3272:                           ;   in Loop: Header=BB384_2086 Depth=1
	s_or_b32 exec_lo, exec_lo, s18
.LBB384_3273:                           ;   in Loop: Header=BB384_2086 Depth=1
	s_or_b32 exec_lo, exec_lo, s17
	v_mul_f32_e32 v12, v115, v31
	v_mul_f32_e32 v11, v115, v11
	;; [unrolled: 1-line block ×4, first 2 shown]
	v_bfe_u32 v23, v12, 16, 1
	v_or_b32_e32 v24, 0x400000, v12
	v_cmp_u_f32_e64 s4, v12, v12
	v_add3_u32 v23, v23, v12, 0x7fff
	v_cndmask_b32_e64 v12, v23, v24, s4
	v_lshrrev_b32_e32 v12, 16, v12
	buffer_store_dword v12, off, s[0:3], s32 offset:784 ; 4-byte Folded Spill
	v_mul_f32_e32 v12, v115, v25
	v_bfe_u32 v23, v12, 16, 1
	v_or_b32_e32 v24, 0x400000, v12
	v_cmp_u_f32_e64 s4, v12, v12
	v_add3_u32 v23, v23, v12, 0x7fff
	v_cndmask_b32_e64 v12, v23, v24, s4
	v_lshrrev_b32_e32 v12, 16, v12
	buffer_store_dword v12, off, s[0:3], s32 offset:788 ; 4-byte Folded Spill
	v_mul_f32_e32 v12, v115, v16
	v_bfe_u32 v16, v12, 16, 1
	v_or_b32_e32 v23, 0x400000, v12
	v_cmp_u_f32_e64 s4, v12, v12
	v_add3_u32 v16, v16, v12, 0x7fff
	v_cndmask_b32_e64 v12, v16, v23, s4
	v_or_b32_e32 v16, 0x400000, v11
	v_cmp_u_f32_e64 s4, v11, v11
	v_lshrrev_b32_e32 v12, 16, v12
	buffer_store_dword v12, off, s[0:3], s32 offset:792 ; 4-byte Folded Spill
	v_bfe_u32 v12, v11, 16, 1
	v_add3_u32 v12, v12, v11, 0x7fff
	v_cndmask_b32_e64 v11, v12, v16, s4
	v_or_b32_e32 v12, 0x400000, v5
	v_cmp_u_f32_e64 s4, v5, v5
	v_lshrrev_b32_e32 v11, 16, v11
	buffer_store_dword v11, off, s[0:3], s32 offset:796 ; 4-byte Folded Spill
	v_bfe_u32 v11, v5, 16, 1
	;; [unrolled: 7-line block ×3, first 2 shown]
	v_add3_u32 v5, v5, v4, 0x7fff
	v_cndmask_b32_e64 v4, v5, v11, s4
	v_lshrrev_b32_e32 v4, 16, v4
	buffer_store_dword v4, off, s[0:3], s32 offset:808 ; 4-byte Folded Spill
	v_mul_f32_e32 v4, v115, v22
	v_bfe_u32 v5, v4, 16, 1
	v_or_b32_e32 v11, 0x400000, v4
	v_cmp_u_f32_e64 s4, v4, v4
	v_add3_u32 v5, v5, v4, 0x7fff
	v_cndmask_b32_e64 v4, v5, v11, s4
	v_lshrrev_b32_e32 v4, 16, v4
	buffer_store_dword v4, off, s[0:3], s32 offset:800 ; 4-byte Folded Spill
	v_mul_f32_e32 v4, v115, v17
	v_bfe_u32 v5, v4, 16, 1
	v_or_b32_e32 v11, 0x400000, v4
	v_cmp_u_f32_e64 s4, v4, v4
	v_add3_u32 v5, v5, v4, 0x7fff
	v_cndmask_b32_e64 v4, v5, v11, s4
	v_lshrrev_b32_e32 v4, 16, v4
	buffer_store_dword v4, off, s[0:3], s32 offset:812 ; 4-byte Folded Spill
	s_and_saveexec_b32 s17, vcc_lo
	s_cbranch_execz .LBB384_3275
; %bb.3274:                             ;   in Loop: Header=BB384_2086 Depth=1
	buffer_load_dword v4, off, s[0:3], s32 offset:808 ; 4-byte Folded Reload
	v_cmp_lt_i32_e64 s4, v114, v48
	s_waitcnt vmcnt(0)
	v_cndmask_b32_e64 v4, 0, v4, s4
	v_cmp_lt_i32_e64 s4, v10, v48
	buffer_store_dword v4, off, s[0:3], s32 offset:808 ; 4-byte Folded Spill
	buffer_load_dword v4, off, s[0:3], s32 offset:804 ; 4-byte Folded Reload
	s_waitcnt vmcnt(0)
	v_cndmask_b32_e64 v4, 0, v4, s4
	v_cmp_lt_i32_e64 s4, v26, v48
	buffer_store_dword v4, off, s[0:3], s32 offset:804 ; 4-byte Folded Spill
	buffer_load_dword v4, off, s[0:3], s32 offset:796 ; 4-byte Folded Reload
	;; [unrolled: 5-line block ×7, first 2 shown]
	s_waitcnt vmcnt(0)
	v_cndmask_b32_e64 v4, 0, v4, s4
	buffer_store_dword v4, off, s[0:3], s32 offset:812 ; 4-byte Folded Spill
.LBB384_3275:                           ;   in Loop: Header=BB384_2086 Depth=1
	s_or_b32 exec_lo, exec_lo, s17
	flat_load_dwordx2 v[23:24], v[20:21] offset:512
	v_mov_b32_e32 v5, 0
	v_mov_b32_e32 v4, 0
	s_waitcnt vmcnt(0) lgkmcnt(0)
	v_cmp_ne_u16_sdwa s4, v23, v13 src0_sel:BYTE_0 src1_sel:DWORD
	s_and_saveexec_b32 s17, s4
	s_cbranch_execz .LBB384_3283
; %bb.3276:                             ;   in Loop: Header=BB384_2086 Depth=1
	v_cmp_ne_u16_sdwa s4, v23, v116 src0_sel:BYTE_0 src1_sel:DWORD
	v_bfrev_b32_e32 v4, 1
	s_and_saveexec_b32 s18, s4
	s_cbranch_execz .LBB384_3282
; %bb.3277:                             ;   in Loop: Header=BB384_2086 Depth=1
	v_and_b32_e32 v11, 0x7f, v23
	v_mov_b32_e32 v4, 0x7f800001
	s_mov_b32 s20, exec_lo
	v_cmpx_ne_u32_e32 0x7f, v11
	s_cbranch_execz .LBB384_3281
; %bb.3278:                             ;   in Loop: Header=BB384_2086 Depth=1
	v_mov_b32_e32 v29, v24
	v_lshrrev_b32_e32 v4, 3, v11
	v_mov_b32_e32 v28, v23
	s_mov_b32 s21, exec_lo
	v_cmpx_gt_u32_e32 8, v11
; %bb.3279:                             ;   in Loop: Header=BB384_2086 Depth=1
	v_and_b32_e32 v4, 7, v23
	v_ffbh_u32_e32 v4, v4
	v_min_u32_e32 v4, 32, v4
	v_subrev_nc_u32_e32 v11, 28, v4
	v_sub_nc_u32_e32 v4, 29, v4
	v_lshlrev_b64 v[28:29], v11, v[23:24]
; %bb.3280:                             ;   in Loop: Header=BB384_2086 Depth=1
	s_or_b32 exec_lo, exec_lo, s21
	v_lshlrev_b32_e32 v11, 20, v28
	v_lshlrev_b32_e32 v12, 24, v23
	v_lshl_add_u32 v4, v4, 23, 0x3c000000
	v_and_b32_e32 v11, 0x700000, v11
	v_and_b32_e32 v12, 0x80000000, v12
	v_or3_b32 v4, v11, v12, v4
.LBB384_3281:                           ;   in Loop: Header=BB384_2086 Depth=1
	s_or_b32 exec_lo, exec_lo, s20
.LBB384_3282:                           ;   in Loop: Header=BB384_2086 Depth=1
	s_or_b32 exec_lo, exec_lo, s18
.LBB384_3283:                           ;   in Loop: Header=BB384_2086 Depth=1
	s_or_b32 exec_lo, exec_lo, s17
	v_cmp_ne_u16_sdwa s4, v23, v13 src0_sel:BYTE_1 src1_sel:DWORD
	s_and_saveexec_b32 s17, s4
	s_cbranch_execz .LBB384_3291
; %bb.3284:                             ;   in Loop: Header=BB384_2086 Depth=1
	v_cmp_ne_u16_sdwa s4, v23, v116 src0_sel:BYTE_1 src1_sel:DWORD
	v_bfrev_b32_e32 v5, 1
	s_and_saveexec_b32 s18, s4
	s_cbranch_execz .LBB384_3290
; %bb.3285:                             ;   in Loop: Header=BB384_2086 Depth=1
	v_mov_b32_e32 v5, 0xffff
	s_mov_b32 s20, exec_lo
	v_and_b32_sdwa v12, v5, v23 dst_sel:DWORD dst_unused:UNUSED_PAD src0_sel:DWORD src1_sel:BYTE_1
	v_mov_b32_e32 v5, 0x7f800001
	v_and_b32_e32 v11, 0x7f, v12
	v_cmpx_ne_u32_e32 0x7f, v11
	s_cbranch_execz .LBB384_3289
; %bb.3286:                             ;   in Loop: Header=BB384_2086 Depth=1
	v_and_b32_e32 v12, 7, v12
	v_mov_b32_e32 v29, v13
	v_lshrrev_b32_e32 v5, 3, v11
	s_mov_b32 s21, exec_lo
	v_mov_b32_e32 v28, v12
	v_cmpx_gt_u32_e32 8, v11
; %bb.3287:                             ;   in Loop: Header=BB384_2086 Depth=1
	v_ffbh_u32_e32 v5, v12
	v_min_u32_e32 v5, 32, v5
	v_subrev_nc_u32_e32 v11, 28, v5
	v_sub_nc_u32_e32 v5, 29, v5
	v_lshlrev_b64 v[11:12], v11, v[12:13]
	v_and_b32_e32 v28, 7, v11
; %bb.3288:                             ;   in Loop: Header=BB384_2086 Depth=1
	s_or_b32 exec_lo, exec_lo, s21
	v_lshlrev_b32_e32 v11, 16, v23
	v_lshlrev_b32_e32 v12, 20, v28
	v_lshl_add_u32 v5, v5, 23, 0x3c000000
	v_and_b32_e32 v11, 0x80000000, v11
	v_or3_b32 v5, v12, v11, v5
.LBB384_3289:                           ;   in Loop: Header=BB384_2086 Depth=1
	s_or_b32 exec_lo, exec_lo, s20
.LBB384_3290:                           ;   in Loop: Header=BB384_2086 Depth=1
	s_or_b32 exec_lo, exec_lo, s18
.LBB384_3291:                           ;   in Loop: Header=BB384_2086 Depth=1
	s_or_b32 exec_lo, exec_lo, s17
	v_and_b32_sdwa v12, v23, v118 dst_sel:DWORD dst_unused:UNUSED_PAD src0_sel:WORD_1 src1_sel:DWORD
	v_mov_b32_e32 v16, 0
	v_mov_b32_e32 v11, 0
	s_mov_b32 s17, exec_lo
	v_cmpx_ne_u16_e32 0, v12
	s_cbranch_execz .LBB384_3299
; %bb.3292:                             ;   in Loop: Header=BB384_2086 Depth=1
	v_bfrev_b32_e32 v11, 1
	s_mov_b32 s18, exec_lo
	v_cmpx_ne_u16_e32 0x80, v12
	s_cbranch_execz .LBB384_3298
; %bb.3293:                             ;   in Loop: Header=BB384_2086 Depth=1
	v_bfe_u32 v17, v23, 16, 7
	v_mov_b32_e32 v11, 0x7f800001
	s_mov_b32 s20, exec_lo
	v_cmpx_ne_u32_e32 0x7f, v17
	s_cbranch_execz .LBB384_3297
; %bb.3294:                             ;   in Loop: Header=BB384_2086 Depth=1
	v_mov_b32_e32 v11, 7
	s_mov_b32 s21, exec_lo
	v_and_b32_sdwa v12, v23, v11 dst_sel:DWORD dst_unused:UNUSED_PAD src0_sel:WORD_1 src1_sel:DWORD
	v_mov_b32_e32 v29, v13
	v_lshrrev_b32_e32 v11, 3, v17
	v_mov_b32_e32 v28, v12
	v_cmpx_gt_u32_e32 8, v17
; %bb.3295:                             ;   in Loop: Header=BB384_2086 Depth=1
	v_ffbh_u32_e32 v11, v12
	v_min_u32_e32 v11, 32, v11
	v_subrev_nc_u32_e32 v17, 28, v11
	v_sub_nc_u32_e32 v11, 29, v11
	v_lshlrev_b64 v[28:29], v17, v[12:13]
	v_and_b32_e32 v28, 7, v28
; %bb.3296:                             ;   in Loop: Header=BB384_2086 Depth=1
	s_or_b32 exec_lo, exec_lo, s21
	v_mov_b32_e32 v12, 24
	v_lshlrev_b32_e32 v17, 20, v28
	v_lshl_add_u32 v11, v11, 23, 0x3c000000
	v_lshlrev_b32_sdwa v12, v12, v23 dst_sel:DWORD dst_unused:UNUSED_PAD src0_sel:DWORD src1_sel:WORD_1
	v_and_b32_e32 v12, 0x80000000, v12
	v_or3_b32 v11, v17, v12, v11
.LBB384_3297:                           ;   in Loop: Header=BB384_2086 Depth=1
	s_or_b32 exec_lo, exec_lo, s20
.LBB384_3298:                           ;   in Loop: Header=BB384_2086 Depth=1
	s_or_b32 exec_lo, exec_lo, s18
.LBB384_3299:                           ;   in Loop: Header=BB384_2086 Depth=1
	s_or_b32 exec_lo, exec_lo, s17
	s_mov_b32 s17, exec_lo
	v_cmpx_lt_u32_e32 0xffffff, v23
	s_cbranch_execz .LBB384_3307
; %bb.3300:                             ;   in Loop: Header=BB384_2086 Depth=1
	v_cmp_ne_u32_sdwa s4, v23, v116 src0_sel:BYTE_3 src1_sel:DWORD
	v_bfrev_b32_e32 v16, 1
	s_and_saveexec_b32 s18, s4
	s_cbranch_execz .LBB384_3306
; %bb.3301:                             ;   in Loop: Header=BB384_2086 Depth=1
	v_bfe_u32 v17, v23, 24, 7
	v_mov_b32_e32 v16, 0x7f800001
	s_mov_b32 s20, exec_lo
	v_cmpx_ne_u32_e32 0x7f, v17
	s_cbranch_execz .LBB384_3305
; %bb.3302:                             ;   in Loop: Header=BB384_2086 Depth=1
	v_mov_b32_e32 v12, 7
	v_lshrrev_b32_e32 v16, 3, v17
	s_mov_b32 s21, exec_lo
	v_and_b32_sdwa v12, v23, v12 dst_sel:DWORD dst_unused:UNUSED_PAD src0_sel:BYTE_3 src1_sel:DWORD
	v_mov_b32_e32 v29, v13
	v_mov_b32_e32 v28, v12
	v_cmpx_gt_u32_e32 8, v17
; %bb.3303:                             ;   in Loop: Header=BB384_2086 Depth=1
	v_ffbh_u32_e32 v16, v12
	v_min_u32_e32 v16, 32, v16
	v_subrev_nc_u32_e32 v17, 28, v16
	v_sub_nc_u32_e32 v16, 29, v16
	v_lshlrev_b64 v[28:29], v17, v[12:13]
	v_and_b32_e32 v28, 7, v28
; %bb.3304:                             ;   in Loop: Header=BB384_2086 Depth=1
	s_or_b32 exec_lo, exec_lo, s21
	v_mov_b32_e32 v12, 24
	v_lshlrev_b32_e32 v17, 20, v28
	v_lshl_add_u32 v16, v16, 23, 0x3c000000
	v_lshlrev_b32_sdwa v12, v12, v23 dst_sel:DWORD dst_unused:UNUSED_PAD src0_sel:DWORD src1_sel:BYTE_3
	v_and_b32_e32 v12, 0x80000000, v12
	v_or3_b32 v16, v17, v12, v16
.LBB384_3305:                           ;   in Loop: Header=BB384_2086 Depth=1
	s_or_b32 exec_lo, exec_lo, s20
.LBB384_3306:                           ;   in Loop: Header=BB384_2086 Depth=1
	s_or_b32 exec_lo, exec_lo, s18
.LBB384_3307:                           ;   in Loop: Header=BB384_2086 Depth=1
	s_or_b32 exec_lo, exec_lo, s17
	v_mov_b32_e32 v12, v24
	v_cmp_ne_u16_sdwa s4, v24, v13 src0_sel:BYTE_0 src1_sel:DWORD
	v_mov_b32_e32 v31, 0
	v_mov_b32_e32 v25, 0
	s_and_saveexec_b32 s17, s4
	s_cbranch_execz .LBB384_3315
; %bb.3308:                             ;   in Loop: Header=BB384_2086 Depth=1
	v_cmp_ne_u16_sdwa s4, v24, v116 src0_sel:BYTE_0 src1_sel:DWORD
	v_bfrev_b32_e32 v25, 1
	s_and_saveexec_b32 s18, s4
	s_cbranch_execz .LBB384_3314
; %bb.3309:                             ;   in Loop: Header=BB384_2086 Depth=1
	v_and_b32_e32 v22, 0x7f, v24
	v_mov_b32_e32 v25, 0x7f800001
	s_mov_b32 s20, exec_lo
	v_cmpx_ne_u32_e32 0x7f, v22
	s_cbranch_execz .LBB384_3313
; %bb.3310:                             ;   in Loop: Header=BB384_2086 Depth=1
	v_mov_b32_e32 v29, v13
	v_mov_b32_e32 v28, v12
	v_lshrrev_b32_e32 v17, 3, v22
	s_mov_b32 s21, exec_lo
	v_cmpx_gt_u32_e32 8, v22
; %bb.3311:                             ;   in Loop: Header=BB384_2086 Depth=1
	v_and_b32_e32 v17, 7, v24
	v_ffbh_u32_e32 v17, v17
	v_min_u32_e32 v17, 32, v17
	v_subrev_nc_u32_e32 v22, 28, v17
	v_sub_nc_u32_e32 v17, 29, v17
	v_lshlrev_b64 v[28:29], v22, v[12:13]
; %bb.3312:                             ;   in Loop: Header=BB384_2086 Depth=1
	s_or_b32 exec_lo, exec_lo, s21
	v_lshlrev_b32_e32 v22, 20, v28
	v_lshlrev_b32_e32 v25, 24, v12
	v_lshl_add_u32 v17, v17, 23, 0x3c000000
	v_and_b32_e32 v22, 0x700000, v22
	v_and_b32_e32 v25, 0x80000000, v25
	v_or3_b32 v25, v22, v25, v17
.LBB384_3313:                           ;   in Loop: Header=BB384_2086 Depth=1
	s_or_b32 exec_lo, exec_lo, s20
.LBB384_3314:                           ;   in Loop: Header=BB384_2086 Depth=1
	s_or_b32 exec_lo, exec_lo, s18
.LBB384_3315:                           ;   in Loop: Header=BB384_2086 Depth=1
	s_or_b32 exec_lo, exec_lo, s17
	v_cmp_ne_u16_sdwa s4, v12, v13 src0_sel:BYTE_1 src1_sel:DWORD
	s_and_saveexec_b32 s17, s4
	s_cbranch_execz .LBB384_3323
; %bb.3316:                             ;   in Loop: Header=BB384_2086 Depth=1
	v_cmp_ne_u16_sdwa s4, v12, v116 src0_sel:BYTE_1 src1_sel:DWORD
	v_bfrev_b32_e32 v31, 1
	s_and_saveexec_b32 s18, s4
	s_cbranch_execz .LBB384_3322
; %bb.3317:                             ;   in Loop: Header=BB384_2086 Depth=1
	v_mov_b32_e32 v17, 0xffff
	v_mov_b32_e32 v31, 0x7f800001
	s_mov_b32 s20, exec_lo
	v_and_b32_sdwa v17, v17, v12 dst_sel:DWORD dst_unused:UNUSED_PAD src0_sel:DWORD src1_sel:BYTE_1
	v_and_b32_e32 v22, 0x7f, v17
	v_cmpx_ne_u32_e32 0x7f, v22
	s_cbranch_execz .LBB384_3321
; %bb.3318:                             ;   in Loop: Header=BB384_2086 Depth=1
	v_and_b32_e32 v28, 7, v17
	v_mov_b32_e32 v29, v13
	v_lshrrev_b32_e32 v17, 3, v22
	s_mov_b32 s21, exec_lo
	v_cmpx_gt_u32_e32 8, v22
; %bb.3319:                             ;   in Loop: Header=BB384_2086 Depth=1
	v_ffbh_u32_e32 v17, v28
	v_min_u32_e32 v17, 32, v17
	v_subrev_nc_u32_e32 v22, 28, v17
	v_sub_nc_u32_e32 v17, 29, v17
	v_lshlrev_b64 v[28:29], v22, v[28:29]
	v_and_b32_e32 v28, 7, v28
; %bb.3320:                             ;   in Loop: Header=BB384_2086 Depth=1
	s_or_b32 exec_lo, exec_lo, s21
	v_lshlrev_b32_e32 v12, 16, v12
	v_lshlrev_b32_e32 v22, 20, v28
	v_lshl_add_u32 v17, v17, 23, 0x3c000000
	v_and_b32_e32 v12, 0x80000000, v12
	v_or3_b32 v31, v22, v12, v17
.LBB384_3321:                           ;   in Loop: Header=BB384_2086 Depth=1
	s_or_b32 exec_lo, exec_lo, s20
.LBB384_3322:                           ;   in Loop: Header=BB384_2086 Depth=1
	s_or_b32 exec_lo, exec_lo, s18
.LBB384_3323:                           ;   in Loop: Header=BB384_2086 Depth=1
	s_or_b32 exec_lo, exec_lo, s17
	v_and_b32_sdwa v12, v24, v118 dst_sel:DWORD dst_unused:UNUSED_PAD src0_sel:WORD_1 src1_sel:DWORD
	v_mov_b32_e32 v17, 0
	v_mov_b32_e32 v22, 0
	s_mov_b32 s17, exec_lo
	v_cmpx_ne_u16_e32 0, v12
	s_cbranch_execz .LBB384_3331
; %bb.3324:                             ;   in Loop: Header=BB384_2086 Depth=1
	v_bfrev_b32_e32 v22, 1
	s_mov_b32 s18, exec_lo
	v_cmpx_ne_u16_e32 0x80, v12
	s_cbranch_execz .LBB384_3330
; %bb.3325:                             ;   in Loop: Header=BB384_2086 Depth=1
	v_bfe_u32 v32, v24, 16, 7
	v_mov_b32_e32 v22, 0x7f800001
	s_mov_b32 s20, exec_lo
	v_cmpx_ne_u32_e32 0x7f, v32
	s_cbranch_execz .LBB384_3329
; %bb.3326:                             ;   in Loop: Header=BB384_2086 Depth=1
	v_mov_b32_e32 v12, 7
	v_lshrrev_b32_e32 v22, 3, v32
	s_mov_b32 s21, exec_lo
	v_and_b32_sdwa v12, v24, v12 dst_sel:DWORD dst_unused:UNUSED_PAD src0_sel:WORD_1 src1_sel:DWORD
	v_mov_b32_e32 v29, v13
	v_mov_b32_e32 v28, v12
	v_cmpx_gt_u32_e32 8, v32
; %bb.3327:                             ;   in Loop: Header=BB384_2086 Depth=1
	v_ffbh_u32_e32 v22, v12
	v_min_u32_e32 v22, 32, v22
	v_subrev_nc_u32_e32 v28, 28, v22
	v_sub_nc_u32_e32 v22, 29, v22
	v_lshlrev_b64 v[28:29], v28, v[12:13]
	v_and_b32_e32 v28, 7, v28
; %bb.3328:                             ;   in Loop: Header=BB384_2086 Depth=1
	s_or_b32 exec_lo, exec_lo, s21
	v_mov_b32_e32 v12, 24
	v_lshlrev_b32_e32 v28, 20, v28
	v_lshl_add_u32 v22, v22, 23, 0x3c000000
	v_lshlrev_b32_sdwa v12, v12, v24 dst_sel:DWORD dst_unused:UNUSED_PAD src0_sel:DWORD src1_sel:WORD_1
	v_and_b32_e32 v12, 0x80000000, v12
	v_or3_b32 v22, v28, v12, v22
.LBB384_3329:                           ;   in Loop: Header=BB384_2086 Depth=1
	s_or_b32 exec_lo, exec_lo, s20
.LBB384_3330:                           ;   in Loop: Header=BB384_2086 Depth=1
	s_or_b32 exec_lo, exec_lo, s18
.LBB384_3331:                           ;   in Loop: Header=BB384_2086 Depth=1
	s_or_b32 exec_lo, exec_lo, s17
	s_mov_b32 s17, exec_lo
	v_cmpx_lt_u64_e64 s[12:13], v[23:24]
	s_cbranch_execz .LBB384_3339
; %bb.3332:                             ;   in Loop: Header=BB384_2086 Depth=1
	v_cmp_ne_u32_sdwa s4, v24, v116 src0_sel:BYTE_3 src1_sel:DWORD
	v_bfrev_b32_e32 v17, 1
	s_and_saveexec_b32 s18, s4
	s_cbranch_execz .LBB384_3338
; %bb.3333:                             ;   in Loop: Header=BB384_2086 Depth=1
	v_bfe_u32 v23, v24, 24, 7
	v_mov_b32_e32 v17, 0x7f800001
	s_mov_b32 s20, exec_lo
	v_cmpx_ne_u32_e32 0x7f, v23
	s_cbranch_execz .LBB384_3337
; %bb.3334:                             ;   in Loop: Header=BB384_2086 Depth=1
	v_mov_b32_e32 v12, 7
	v_lshrrev_b32_e32 v17, 3, v23
	s_mov_b32 s21, exec_lo
	v_and_b32_sdwa v12, v24, v12 dst_sel:DWORD dst_unused:UNUSED_PAD src0_sel:BYTE_3 src1_sel:DWORD
	v_mov_b32_e32 v29, v13
	v_mov_b32_e32 v28, v12
	v_cmpx_gt_u32_e32 8, v23
; %bb.3335:                             ;   in Loop: Header=BB384_2086 Depth=1
	v_ffbh_u32_e32 v17, v12
	v_min_u32_e32 v17, 32, v17
	v_subrev_nc_u32_e32 v23, 28, v17
	v_sub_nc_u32_e32 v17, 29, v17
	v_lshlrev_b64 v[28:29], v23, v[12:13]
	v_and_b32_e32 v28, 7, v28
; %bb.3336:                             ;   in Loop: Header=BB384_2086 Depth=1
	s_or_b32 exec_lo, exec_lo, s21
	v_mov_b32_e32 v12, 24
	v_lshlrev_b32_e32 v23, 20, v28
	v_lshl_add_u32 v17, v17, 23, 0x3c000000
	v_lshlrev_b32_sdwa v12, v12, v24 dst_sel:DWORD dst_unused:UNUSED_PAD src0_sel:DWORD src1_sel:BYTE_3
	v_and_b32_e32 v12, 0x80000000, v12
	v_or3_b32 v17, v23, v12, v17
.LBB384_3337:                           ;   in Loop: Header=BB384_2086 Depth=1
	s_or_b32 exec_lo, exec_lo, s20
.LBB384_3338:                           ;   in Loop: Header=BB384_2086 Depth=1
	s_or_b32 exec_lo, exec_lo, s18
.LBB384_3339:                           ;   in Loop: Header=BB384_2086 Depth=1
	s_or_b32 exec_lo, exec_lo, s17
	v_mul_f32_e32 v12, v115, v31
	v_mul_f32_e32 v11, v115, v11
	;; [unrolled: 1-line block ×4, first 2 shown]
	v_bfe_u32 v23, v12, 16, 1
	v_or_b32_e32 v24, 0x400000, v12
	v_cmp_u_f32_e64 s4, v12, v12
	v_add3_u32 v23, v23, v12, 0x7fff
	v_cndmask_b32_e64 v12, v23, v24, s4
	v_lshrrev_b32_e32 v12, 16, v12
	buffer_store_dword v12, off, s[0:3], s32 offset:816 ; 4-byte Folded Spill
	v_mul_f32_e32 v12, v115, v25
	v_bfe_u32 v23, v12, 16, 1
	v_or_b32_e32 v24, 0x400000, v12
	v_cmp_u_f32_e64 s4, v12, v12
	v_add3_u32 v23, v23, v12, 0x7fff
	v_cndmask_b32_e64 v12, v23, v24, s4
	v_lshrrev_b32_e32 v12, 16, v12
	buffer_store_dword v12, off, s[0:3], s32 offset:820 ; 4-byte Folded Spill
	v_mul_f32_e32 v12, v115, v16
	v_bfe_u32 v16, v12, 16, 1
	v_or_b32_e32 v23, 0x400000, v12
	v_cmp_u_f32_e64 s4, v12, v12
	v_add3_u32 v16, v16, v12, 0x7fff
	v_cndmask_b32_e64 v12, v16, v23, s4
	v_or_b32_e32 v16, 0x400000, v11
	v_cmp_u_f32_e64 s4, v11, v11
	v_lshrrev_b32_e32 v12, 16, v12
	buffer_store_dword v12, off, s[0:3], s32 offset:824 ; 4-byte Folded Spill
	v_bfe_u32 v12, v11, 16, 1
	v_add3_u32 v12, v12, v11, 0x7fff
	v_cndmask_b32_e64 v11, v12, v16, s4
	v_or_b32_e32 v12, 0x400000, v5
	v_cmp_u_f32_e64 s4, v5, v5
	v_lshrrev_b32_e32 v11, 16, v11
	buffer_store_dword v11, off, s[0:3], s32 offset:828 ; 4-byte Folded Spill
	v_bfe_u32 v11, v5, 16, 1
	;; [unrolled: 7-line block ×3, first 2 shown]
	v_add3_u32 v5, v5, v4, 0x7fff
	v_cndmask_b32_e64 v4, v5, v11, s4
	v_lshrrev_b32_e32 v4, 16, v4
	buffer_store_dword v4, off, s[0:3], s32 offset:840 ; 4-byte Folded Spill
	v_mul_f32_e32 v4, v115, v22
	v_bfe_u32 v5, v4, 16, 1
	v_or_b32_e32 v11, 0x400000, v4
	v_cmp_u_f32_e64 s4, v4, v4
	v_add3_u32 v5, v5, v4, 0x7fff
	v_cndmask_b32_e64 v4, v5, v11, s4
	v_lshrrev_b32_e32 v4, 16, v4
	buffer_store_dword v4, off, s[0:3], s32 offset:832 ; 4-byte Folded Spill
	v_mul_f32_e32 v4, v115, v17
	v_bfe_u32 v5, v4, 16, 1
	v_or_b32_e32 v11, 0x400000, v4
	v_cmp_u_f32_e64 s4, v4, v4
	v_add3_u32 v5, v5, v4, 0x7fff
	v_cndmask_b32_e64 v4, v5, v11, s4
	v_lshrrev_b32_e32 v4, 16, v4
	buffer_store_dword v4, off, s[0:3], s32 offset:844 ; 4-byte Folded Spill
	s_and_saveexec_b32 s17, vcc_lo
	s_cbranch_execz .LBB384_3341
; %bb.3340:                             ;   in Loop: Header=BB384_2086 Depth=1
	buffer_load_dword v4, off, s[0:3], s32 offset:840 ; 4-byte Folded Reload
	v_cmp_lt_i32_e64 s4, v114, v48
	s_waitcnt vmcnt(0)
	v_cndmask_b32_e64 v4, 0, v4, s4
	v_cmp_lt_i32_e64 s4, v10, v48
	buffer_store_dword v4, off, s[0:3], s32 offset:840 ; 4-byte Folded Spill
	buffer_load_dword v4, off, s[0:3], s32 offset:836 ; 4-byte Folded Reload
	s_waitcnt vmcnt(0)
	v_cndmask_b32_e64 v4, 0, v4, s4
	v_cmp_lt_i32_e64 s4, v26, v48
	buffer_store_dword v4, off, s[0:3], s32 offset:836 ; 4-byte Folded Spill
	buffer_load_dword v4, off, s[0:3], s32 offset:828 ; 4-byte Folded Reload
	;; [unrolled: 5-line block ×7, first 2 shown]
	s_waitcnt vmcnt(0)
	v_cndmask_b32_e64 v4, 0, v4, s4
	buffer_store_dword v4, off, s[0:3], s32 offset:844 ; 4-byte Folded Spill
.LBB384_3341:                           ;   in Loop: Header=BB384_2086 Depth=1
	s_or_b32 exec_lo, exec_lo, s17
	flat_load_dwordx2 v[23:24], v[20:21] offset:768
	v_mov_b32_e32 v5, 0
	v_mov_b32_e32 v4, 0
	s_waitcnt vmcnt(0) lgkmcnt(0)
	v_cmp_ne_u16_sdwa s4, v23, v13 src0_sel:BYTE_0 src1_sel:DWORD
	s_and_saveexec_b32 s17, s4
	s_cbranch_execz .LBB384_3349
; %bb.3342:                             ;   in Loop: Header=BB384_2086 Depth=1
	v_cmp_ne_u16_sdwa s4, v23, v116 src0_sel:BYTE_0 src1_sel:DWORD
	v_bfrev_b32_e32 v4, 1
	s_and_saveexec_b32 s18, s4
	s_cbranch_execz .LBB384_3348
; %bb.3343:                             ;   in Loop: Header=BB384_2086 Depth=1
	v_and_b32_e32 v11, 0x7f, v23
	v_mov_b32_e32 v4, 0x7f800001
	s_mov_b32 s20, exec_lo
	v_cmpx_ne_u32_e32 0x7f, v11
	s_cbranch_execz .LBB384_3347
; %bb.3344:                             ;   in Loop: Header=BB384_2086 Depth=1
	v_mov_b32_e32 v29, v24
	v_lshrrev_b32_e32 v4, 3, v11
	v_mov_b32_e32 v28, v23
	s_mov_b32 s21, exec_lo
	v_cmpx_gt_u32_e32 8, v11
; %bb.3345:                             ;   in Loop: Header=BB384_2086 Depth=1
	v_and_b32_e32 v4, 7, v23
	v_ffbh_u32_e32 v4, v4
	v_min_u32_e32 v4, 32, v4
	v_subrev_nc_u32_e32 v11, 28, v4
	v_sub_nc_u32_e32 v4, 29, v4
	v_lshlrev_b64 v[28:29], v11, v[23:24]
; %bb.3346:                             ;   in Loop: Header=BB384_2086 Depth=1
	s_or_b32 exec_lo, exec_lo, s21
	v_lshlrev_b32_e32 v11, 20, v28
	v_lshlrev_b32_e32 v12, 24, v23
	v_lshl_add_u32 v4, v4, 23, 0x3c000000
	v_and_b32_e32 v11, 0x700000, v11
	v_and_b32_e32 v12, 0x80000000, v12
	v_or3_b32 v4, v11, v12, v4
.LBB384_3347:                           ;   in Loop: Header=BB384_2086 Depth=1
	s_or_b32 exec_lo, exec_lo, s20
.LBB384_3348:                           ;   in Loop: Header=BB384_2086 Depth=1
	s_or_b32 exec_lo, exec_lo, s18
.LBB384_3349:                           ;   in Loop: Header=BB384_2086 Depth=1
	s_or_b32 exec_lo, exec_lo, s17
	v_cmp_ne_u16_sdwa s4, v23, v13 src0_sel:BYTE_1 src1_sel:DWORD
	s_and_saveexec_b32 s17, s4
	s_cbranch_execz .LBB384_3357
; %bb.3350:                             ;   in Loop: Header=BB384_2086 Depth=1
	v_cmp_ne_u16_sdwa s4, v23, v116 src0_sel:BYTE_1 src1_sel:DWORD
	v_bfrev_b32_e32 v5, 1
	s_and_saveexec_b32 s18, s4
	s_cbranch_execz .LBB384_3356
; %bb.3351:                             ;   in Loop: Header=BB384_2086 Depth=1
	v_mov_b32_e32 v5, 0xffff
	s_mov_b32 s20, exec_lo
	v_and_b32_sdwa v12, v5, v23 dst_sel:DWORD dst_unused:UNUSED_PAD src0_sel:DWORD src1_sel:BYTE_1
	v_mov_b32_e32 v5, 0x7f800001
	v_and_b32_e32 v11, 0x7f, v12
	v_cmpx_ne_u32_e32 0x7f, v11
	s_cbranch_execz .LBB384_3355
; %bb.3352:                             ;   in Loop: Header=BB384_2086 Depth=1
	v_and_b32_e32 v12, 7, v12
	v_mov_b32_e32 v29, v13
	v_lshrrev_b32_e32 v5, 3, v11
	s_mov_b32 s21, exec_lo
	v_mov_b32_e32 v28, v12
	v_cmpx_gt_u32_e32 8, v11
; %bb.3353:                             ;   in Loop: Header=BB384_2086 Depth=1
	v_ffbh_u32_e32 v5, v12
	v_min_u32_e32 v5, 32, v5
	v_subrev_nc_u32_e32 v11, 28, v5
	v_sub_nc_u32_e32 v5, 29, v5
	v_lshlrev_b64 v[11:12], v11, v[12:13]
	v_and_b32_e32 v28, 7, v11
; %bb.3354:                             ;   in Loop: Header=BB384_2086 Depth=1
	s_or_b32 exec_lo, exec_lo, s21
	v_lshlrev_b32_e32 v11, 16, v23
	v_lshlrev_b32_e32 v12, 20, v28
	v_lshl_add_u32 v5, v5, 23, 0x3c000000
	v_and_b32_e32 v11, 0x80000000, v11
	v_or3_b32 v5, v12, v11, v5
.LBB384_3355:                           ;   in Loop: Header=BB384_2086 Depth=1
	s_or_b32 exec_lo, exec_lo, s20
.LBB384_3356:                           ;   in Loop: Header=BB384_2086 Depth=1
	s_or_b32 exec_lo, exec_lo, s18
.LBB384_3357:                           ;   in Loop: Header=BB384_2086 Depth=1
	s_or_b32 exec_lo, exec_lo, s17
	v_and_b32_sdwa v12, v23, v118 dst_sel:DWORD dst_unused:UNUSED_PAD src0_sel:WORD_1 src1_sel:DWORD
	v_mov_b32_e32 v16, 0
	v_mov_b32_e32 v11, 0
	s_mov_b32 s17, exec_lo
	v_cmpx_ne_u16_e32 0, v12
	s_cbranch_execz .LBB384_3365
; %bb.3358:                             ;   in Loop: Header=BB384_2086 Depth=1
	v_bfrev_b32_e32 v11, 1
	s_mov_b32 s18, exec_lo
	v_cmpx_ne_u16_e32 0x80, v12
	s_cbranch_execz .LBB384_3364
; %bb.3359:                             ;   in Loop: Header=BB384_2086 Depth=1
	v_bfe_u32 v17, v23, 16, 7
	v_mov_b32_e32 v11, 0x7f800001
	s_mov_b32 s20, exec_lo
	v_cmpx_ne_u32_e32 0x7f, v17
	s_cbranch_execz .LBB384_3363
; %bb.3360:                             ;   in Loop: Header=BB384_2086 Depth=1
	v_mov_b32_e32 v11, 7
	s_mov_b32 s21, exec_lo
	v_and_b32_sdwa v12, v23, v11 dst_sel:DWORD dst_unused:UNUSED_PAD src0_sel:WORD_1 src1_sel:DWORD
	v_mov_b32_e32 v29, v13
	v_lshrrev_b32_e32 v11, 3, v17
	v_mov_b32_e32 v28, v12
	v_cmpx_gt_u32_e32 8, v17
; %bb.3361:                             ;   in Loop: Header=BB384_2086 Depth=1
	v_ffbh_u32_e32 v11, v12
	v_min_u32_e32 v11, 32, v11
	v_subrev_nc_u32_e32 v17, 28, v11
	v_sub_nc_u32_e32 v11, 29, v11
	v_lshlrev_b64 v[28:29], v17, v[12:13]
	v_and_b32_e32 v28, 7, v28
; %bb.3362:                             ;   in Loop: Header=BB384_2086 Depth=1
	s_or_b32 exec_lo, exec_lo, s21
	v_mov_b32_e32 v12, 24
	v_lshlrev_b32_e32 v17, 20, v28
	v_lshl_add_u32 v11, v11, 23, 0x3c000000
	v_lshlrev_b32_sdwa v12, v12, v23 dst_sel:DWORD dst_unused:UNUSED_PAD src0_sel:DWORD src1_sel:WORD_1
	v_and_b32_e32 v12, 0x80000000, v12
	v_or3_b32 v11, v17, v12, v11
.LBB384_3363:                           ;   in Loop: Header=BB384_2086 Depth=1
	s_or_b32 exec_lo, exec_lo, s20
.LBB384_3364:                           ;   in Loop: Header=BB384_2086 Depth=1
	s_or_b32 exec_lo, exec_lo, s18
.LBB384_3365:                           ;   in Loop: Header=BB384_2086 Depth=1
	s_or_b32 exec_lo, exec_lo, s17
	s_mov_b32 s17, exec_lo
	v_cmpx_lt_u32_e32 0xffffff, v23
	s_cbranch_execz .LBB384_3373
; %bb.3366:                             ;   in Loop: Header=BB384_2086 Depth=1
	v_cmp_ne_u32_sdwa s4, v23, v116 src0_sel:BYTE_3 src1_sel:DWORD
	v_bfrev_b32_e32 v16, 1
	s_and_saveexec_b32 s18, s4
	s_cbranch_execz .LBB384_3372
; %bb.3367:                             ;   in Loop: Header=BB384_2086 Depth=1
	v_bfe_u32 v17, v23, 24, 7
	v_mov_b32_e32 v16, 0x7f800001
	s_mov_b32 s20, exec_lo
	v_cmpx_ne_u32_e32 0x7f, v17
	s_cbranch_execz .LBB384_3371
; %bb.3368:                             ;   in Loop: Header=BB384_2086 Depth=1
	v_mov_b32_e32 v12, 7
	v_lshrrev_b32_e32 v16, 3, v17
	s_mov_b32 s21, exec_lo
	v_and_b32_sdwa v12, v23, v12 dst_sel:DWORD dst_unused:UNUSED_PAD src0_sel:BYTE_3 src1_sel:DWORD
	v_mov_b32_e32 v29, v13
	v_mov_b32_e32 v28, v12
	v_cmpx_gt_u32_e32 8, v17
; %bb.3369:                             ;   in Loop: Header=BB384_2086 Depth=1
	v_ffbh_u32_e32 v16, v12
	v_min_u32_e32 v16, 32, v16
	v_subrev_nc_u32_e32 v17, 28, v16
	v_sub_nc_u32_e32 v16, 29, v16
	v_lshlrev_b64 v[28:29], v17, v[12:13]
	v_and_b32_e32 v28, 7, v28
; %bb.3370:                             ;   in Loop: Header=BB384_2086 Depth=1
	s_or_b32 exec_lo, exec_lo, s21
	v_mov_b32_e32 v12, 24
	v_lshlrev_b32_e32 v17, 20, v28
	v_lshl_add_u32 v16, v16, 23, 0x3c000000
	v_lshlrev_b32_sdwa v12, v12, v23 dst_sel:DWORD dst_unused:UNUSED_PAD src0_sel:DWORD src1_sel:BYTE_3
	v_and_b32_e32 v12, 0x80000000, v12
	v_or3_b32 v16, v17, v12, v16
.LBB384_3371:                           ;   in Loop: Header=BB384_2086 Depth=1
	s_or_b32 exec_lo, exec_lo, s20
.LBB384_3372:                           ;   in Loop: Header=BB384_2086 Depth=1
	s_or_b32 exec_lo, exec_lo, s18
.LBB384_3373:                           ;   in Loop: Header=BB384_2086 Depth=1
	s_or_b32 exec_lo, exec_lo, s17
	v_mov_b32_e32 v12, v24
	v_cmp_ne_u16_sdwa s4, v24, v13 src0_sel:BYTE_0 src1_sel:DWORD
	v_mov_b32_e32 v31, 0
	v_mov_b32_e32 v25, 0
	s_and_saveexec_b32 s17, s4
	s_cbranch_execz .LBB384_3381
; %bb.3374:                             ;   in Loop: Header=BB384_2086 Depth=1
	v_cmp_ne_u16_sdwa s4, v24, v116 src0_sel:BYTE_0 src1_sel:DWORD
	v_bfrev_b32_e32 v25, 1
	s_and_saveexec_b32 s18, s4
	s_cbranch_execz .LBB384_3380
; %bb.3375:                             ;   in Loop: Header=BB384_2086 Depth=1
	v_and_b32_e32 v22, 0x7f, v24
	v_mov_b32_e32 v25, 0x7f800001
	s_mov_b32 s20, exec_lo
	v_cmpx_ne_u32_e32 0x7f, v22
	s_cbranch_execz .LBB384_3379
; %bb.3376:                             ;   in Loop: Header=BB384_2086 Depth=1
	v_mov_b32_e32 v29, v13
	v_mov_b32_e32 v28, v12
	v_lshrrev_b32_e32 v17, 3, v22
	s_mov_b32 s21, exec_lo
	v_cmpx_gt_u32_e32 8, v22
; %bb.3377:                             ;   in Loop: Header=BB384_2086 Depth=1
	v_and_b32_e32 v17, 7, v24
	v_ffbh_u32_e32 v17, v17
	v_min_u32_e32 v17, 32, v17
	v_subrev_nc_u32_e32 v22, 28, v17
	v_sub_nc_u32_e32 v17, 29, v17
	v_lshlrev_b64 v[28:29], v22, v[12:13]
; %bb.3378:                             ;   in Loop: Header=BB384_2086 Depth=1
	s_or_b32 exec_lo, exec_lo, s21
	v_lshlrev_b32_e32 v22, 20, v28
	v_lshlrev_b32_e32 v25, 24, v12
	v_lshl_add_u32 v17, v17, 23, 0x3c000000
	v_and_b32_e32 v22, 0x700000, v22
	v_and_b32_e32 v25, 0x80000000, v25
	v_or3_b32 v25, v22, v25, v17
.LBB384_3379:                           ;   in Loop: Header=BB384_2086 Depth=1
	s_or_b32 exec_lo, exec_lo, s20
.LBB384_3380:                           ;   in Loop: Header=BB384_2086 Depth=1
	s_or_b32 exec_lo, exec_lo, s18
.LBB384_3381:                           ;   in Loop: Header=BB384_2086 Depth=1
	s_or_b32 exec_lo, exec_lo, s17
	v_cmp_ne_u16_sdwa s4, v12, v13 src0_sel:BYTE_1 src1_sel:DWORD
	s_and_saveexec_b32 s17, s4
	s_cbranch_execz .LBB384_3389
; %bb.3382:                             ;   in Loop: Header=BB384_2086 Depth=1
	v_cmp_ne_u16_sdwa s4, v12, v116 src0_sel:BYTE_1 src1_sel:DWORD
	v_bfrev_b32_e32 v31, 1
	s_and_saveexec_b32 s18, s4
	s_cbranch_execz .LBB384_3388
; %bb.3383:                             ;   in Loop: Header=BB384_2086 Depth=1
	v_mov_b32_e32 v17, 0xffff
	v_mov_b32_e32 v31, 0x7f800001
	s_mov_b32 s20, exec_lo
	v_and_b32_sdwa v17, v17, v12 dst_sel:DWORD dst_unused:UNUSED_PAD src0_sel:DWORD src1_sel:BYTE_1
	v_and_b32_e32 v22, 0x7f, v17
	v_cmpx_ne_u32_e32 0x7f, v22
	s_cbranch_execz .LBB384_3387
; %bb.3384:                             ;   in Loop: Header=BB384_2086 Depth=1
	v_and_b32_e32 v28, 7, v17
	v_mov_b32_e32 v29, v13
	v_lshrrev_b32_e32 v17, 3, v22
	s_mov_b32 s21, exec_lo
	v_cmpx_gt_u32_e32 8, v22
; %bb.3385:                             ;   in Loop: Header=BB384_2086 Depth=1
	v_ffbh_u32_e32 v17, v28
	v_min_u32_e32 v17, 32, v17
	v_subrev_nc_u32_e32 v22, 28, v17
	v_sub_nc_u32_e32 v17, 29, v17
	v_lshlrev_b64 v[28:29], v22, v[28:29]
	v_and_b32_e32 v28, 7, v28
; %bb.3386:                             ;   in Loop: Header=BB384_2086 Depth=1
	s_or_b32 exec_lo, exec_lo, s21
	v_lshlrev_b32_e32 v12, 16, v12
	v_lshlrev_b32_e32 v22, 20, v28
	v_lshl_add_u32 v17, v17, 23, 0x3c000000
	v_and_b32_e32 v12, 0x80000000, v12
	v_or3_b32 v31, v22, v12, v17
.LBB384_3387:                           ;   in Loop: Header=BB384_2086 Depth=1
	s_or_b32 exec_lo, exec_lo, s20
.LBB384_3388:                           ;   in Loop: Header=BB384_2086 Depth=1
	s_or_b32 exec_lo, exec_lo, s18
.LBB384_3389:                           ;   in Loop: Header=BB384_2086 Depth=1
	s_or_b32 exec_lo, exec_lo, s17
	v_and_b32_sdwa v12, v24, v118 dst_sel:DWORD dst_unused:UNUSED_PAD src0_sel:WORD_1 src1_sel:DWORD
	v_mov_b32_e32 v17, 0
	v_mov_b32_e32 v22, 0
	s_mov_b32 s17, exec_lo
	v_cmpx_ne_u16_e32 0, v12
	s_cbranch_execz .LBB384_3397
; %bb.3390:                             ;   in Loop: Header=BB384_2086 Depth=1
	v_bfrev_b32_e32 v22, 1
	s_mov_b32 s18, exec_lo
	v_cmpx_ne_u16_e32 0x80, v12
	s_cbranch_execz .LBB384_3396
; %bb.3391:                             ;   in Loop: Header=BB384_2086 Depth=1
	v_bfe_u32 v32, v24, 16, 7
	v_mov_b32_e32 v22, 0x7f800001
	s_mov_b32 s20, exec_lo
	v_cmpx_ne_u32_e32 0x7f, v32
	s_cbranch_execz .LBB384_3395
; %bb.3392:                             ;   in Loop: Header=BB384_2086 Depth=1
	v_mov_b32_e32 v12, 7
	v_lshrrev_b32_e32 v22, 3, v32
	s_mov_b32 s21, exec_lo
	v_and_b32_sdwa v12, v24, v12 dst_sel:DWORD dst_unused:UNUSED_PAD src0_sel:WORD_1 src1_sel:DWORD
	v_mov_b32_e32 v29, v13
	v_mov_b32_e32 v28, v12
	v_cmpx_gt_u32_e32 8, v32
; %bb.3393:                             ;   in Loop: Header=BB384_2086 Depth=1
	v_ffbh_u32_e32 v22, v12
	v_min_u32_e32 v22, 32, v22
	v_subrev_nc_u32_e32 v28, 28, v22
	v_sub_nc_u32_e32 v22, 29, v22
	v_lshlrev_b64 v[28:29], v28, v[12:13]
	v_and_b32_e32 v28, 7, v28
; %bb.3394:                             ;   in Loop: Header=BB384_2086 Depth=1
	s_or_b32 exec_lo, exec_lo, s21
	v_mov_b32_e32 v12, 24
	v_lshlrev_b32_e32 v28, 20, v28
	v_lshl_add_u32 v22, v22, 23, 0x3c000000
	v_lshlrev_b32_sdwa v12, v12, v24 dst_sel:DWORD dst_unused:UNUSED_PAD src0_sel:DWORD src1_sel:WORD_1
	v_and_b32_e32 v12, 0x80000000, v12
	v_or3_b32 v22, v28, v12, v22
.LBB384_3395:                           ;   in Loop: Header=BB384_2086 Depth=1
	s_or_b32 exec_lo, exec_lo, s20
.LBB384_3396:                           ;   in Loop: Header=BB384_2086 Depth=1
	s_or_b32 exec_lo, exec_lo, s18
.LBB384_3397:                           ;   in Loop: Header=BB384_2086 Depth=1
	s_or_b32 exec_lo, exec_lo, s17
	s_mov_b32 s17, exec_lo
	v_cmpx_lt_u64_e64 s[12:13], v[23:24]
	s_cbranch_execz .LBB384_3405
; %bb.3398:                             ;   in Loop: Header=BB384_2086 Depth=1
	v_cmp_ne_u32_sdwa s4, v24, v116 src0_sel:BYTE_3 src1_sel:DWORD
	v_bfrev_b32_e32 v17, 1
	s_and_saveexec_b32 s18, s4
	s_cbranch_execz .LBB384_3404
; %bb.3399:                             ;   in Loop: Header=BB384_2086 Depth=1
	v_bfe_u32 v23, v24, 24, 7
	v_mov_b32_e32 v17, 0x7f800001
	s_mov_b32 s20, exec_lo
	v_cmpx_ne_u32_e32 0x7f, v23
	s_cbranch_execz .LBB384_3403
; %bb.3400:                             ;   in Loop: Header=BB384_2086 Depth=1
	v_mov_b32_e32 v12, 7
	v_lshrrev_b32_e32 v17, 3, v23
	s_mov_b32 s21, exec_lo
	v_and_b32_sdwa v12, v24, v12 dst_sel:DWORD dst_unused:UNUSED_PAD src0_sel:BYTE_3 src1_sel:DWORD
	v_mov_b32_e32 v29, v13
	v_mov_b32_e32 v28, v12
	v_cmpx_gt_u32_e32 8, v23
; %bb.3401:                             ;   in Loop: Header=BB384_2086 Depth=1
	v_ffbh_u32_e32 v17, v12
	v_min_u32_e32 v17, 32, v17
	v_subrev_nc_u32_e32 v23, 28, v17
	v_sub_nc_u32_e32 v17, 29, v17
	v_lshlrev_b64 v[28:29], v23, v[12:13]
	v_and_b32_e32 v28, 7, v28
; %bb.3402:                             ;   in Loop: Header=BB384_2086 Depth=1
	s_or_b32 exec_lo, exec_lo, s21
	v_mov_b32_e32 v12, 24
	v_lshlrev_b32_e32 v23, 20, v28
	v_lshl_add_u32 v17, v17, 23, 0x3c000000
	v_lshlrev_b32_sdwa v12, v12, v24 dst_sel:DWORD dst_unused:UNUSED_PAD src0_sel:DWORD src1_sel:BYTE_3
	v_and_b32_e32 v12, 0x80000000, v12
	v_or3_b32 v17, v23, v12, v17
.LBB384_3403:                           ;   in Loop: Header=BB384_2086 Depth=1
	s_or_b32 exec_lo, exec_lo, s20
.LBB384_3404:                           ;   in Loop: Header=BB384_2086 Depth=1
	s_or_b32 exec_lo, exec_lo, s18
.LBB384_3405:                           ;   in Loop: Header=BB384_2086 Depth=1
	s_or_b32 exec_lo, exec_lo, s17
	v_mul_f32_e32 v12, v115, v31
	v_mul_f32_e32 v11, v115, v11
	;; [unrolled: 1-line block ×4, first 2 shown]
	v_bfe_u32 v23, v12, 16, 1
	v_or_b32_e32 v24, 0x400000, v12
	v_cmp_u_f32_e64 s4, v12, v12
	v_add3_u32 v23, v23, v12, 0x7fff
	v_cndmask_b32_e64 v12, v23, v24, s4
	v_lshrrev_b32_e32 v12, 16, v12
	buffer_store_dword v12, off, s[0:3], s32 offset:848 ; 4-byte Folded Spill
	v_mul_f32_e32 v12, v115, v25
	v_bfe_u32 v23, v12, 16, 1
	v_or_b32_e32 v24, 0x400000, v12
	v_cmp_u_f32_e64 s4, v12, v12
	v_add3_u32 v23, v23, v12, 0x7fff
	v_cndmask_b32_e64 v12, v23, v24, s4
	v_lshrrev_b32_e32 v12, 16, v12
	buffer_store_dword v12, off, s[0:3], s32 offset:852 ; 4-byte Folded Spill
	v_mul_f32_e32 v12, v115, v16
	v_bfe_u32 v16, v12, 16, 1
	v_or_b32_e32 v23, 0x400000, v12
	v_cmp_u_f32_e64 s4, v12, v12
	v_add3_u32 v16, v16, v12, 0x7fff
	v_cndmask_b32_e64 v12, v16, v23, s4
	v_or_b32_e32 v16, 0x400000, v11
	v_cmp_u_f32_e64 s4, v11, v11
	v_lshrrev_b32_e32 v12, 16, v12
	buffer_store_dword v12, off, s[0:3], s32 offset:856 ; 4-byte Folded Spill
	v_bfe_u32 v12, v11, 16, 1
	v_add3_u32 v12, v12, v11, 0x7fff
	v_cndmask_b32_e64 v11, v12, v16, s4
	v_or_b32_e32 v12, 0x400000, v5
	v_cmp_u_f32_e64 s4, v5, v5
	v_lshrrev_b32_e32 v11, 16, v11
	buffer_store_dword v11, off, s[0:3], s32 offset:860 ; 4-byte Folded Spill
	v_bfe_u32 v11, v5, 16, 1
	v_add3_u32 v11, v11, v5, 0x7fff
	v_cndmask_b32_e64 v5, v11, v12, s4
	v_or_b32_e32 v11, 0x400000, v4
	v_cmp_u_f32_e64 s4, v4, v4
	v_lshrrev_b32_e32 v83, 16, v5
	v_bfe_u32 v5, v4, 16, 1
	v_add3_u32 v5, v5, v4, 0x7fff
	v_cndmask_b32_e64 v4, v5, v11, s4
	v_lshrrev_b32_e32 v84, 16, v4
	v_mul_f32_e32 v4, v115, v22
	v_bfe_u32 v5, v4, 16, 1
	v_or_b32_e32 v11, 0x400000, v4
	v_cmp_u_f32_e64 s4, v4, v4
	v_add3_u32 v5, v5, v4, 0x7fff
	v_cndmask_b32_e64 v4, v5, v11, s4
	v_lshrrev_b32_e32 v4, 16, v4
	buffer_store_dword v4, off, s[0:3], s32 offset:864 ; 4-byte Folded Spill
	v_mul_f32_e32 v4, v115, v17
	v_bfe_u32 v5, v4, 16, 1
	v_or_b32_e32 v11, 0x400000, v4
	v_cmp_u_f32_e64 s4, v4, v4
	v_add3_u32 v5, v5, v4, 0x7fff
	v_cndmask_b32_e64 v4, v5, v11, s4
	v_lshrrev_b32_e32 v85, 16, v4
	s_and_saveexec_b32 s17, vcc_lo
	s_cbranch_execz .LBB384_3407
; %bb.3406:                             ;   in Loop: Header=BB384_2086 Depth=1
	buffer_load_dword v4, off, s[0:3], s32 offset:860 ; 4-byte Folded Reload
	v_cmp_lt_i32_e64 s4, v114, v48
	v_cndmask_b32_e64 v84, 0, v84, s4
	v_cmp_lt_i32_e64 s4, v10, v48
	v_cndmask_b32_e64 v83, 0, v83, s4
	v_cmp_lt_i32_e64 s4, v26, v48
	s_waitcnt vmcnt(0)
	v_cndmask_b32_e64 v4, 0, v4, s4
	v_cmp_lt_i32_e64 s4, v27, v48
	buffer_store_dword v4, off, s[0:3], s32 offset:860 ; 4-byte Folded Spill
	buffer_load_dword v4, off, s[0:3], s32 offset:856 ; 4-byte Folded Reload
	s_waitcnt vmcnt(0)
	v_cndmask_b32_e64 v4, 0, v4, s4
	v_cmp_lt_i32_e64 s4, v37, v48
	buffer_store_dword v4, off, s[0:3], s32 offset:856 ; 4-byte Folded Spill
	buffer_load_dword v4, off, s[0:3], s32 offset:852 ; 4-byte Folded Reload
	;; [unrolled: 5-line block ×4, first 2 shown]
	s_waitcnt vmcnt(0)
	v_cndmask_b32_e64 v4, 0, v4, s4
	v_cmp_lt_i32_e64 s4, v41, v48
	buffer_store_dword v4, off, s[0:3], s32 offset:864 ; 4-byte Folded Spill
	v_cndmask_b32_e64 v85, 0, v85, s4
.LBB384_3407:                           ;   in Loop: Header=BB384_2086 Depth=1
	s_or_b32 exec_lo, exec_lo, s17
	flat_load_dwordx2 v[23:24], v[20:21] offset:1024
	v_mov_b32_e32 v5, 0
	v_mov_b32_e32 v4, 0
	s_waitcnt vmcnt(0) lgkmcnt(0)
	v_cmp_ne_u16_sdwa s4, v23, v13 src0_sel:BYTE_0 src1_sel:DWORD
	s_and_saveexec_b32 s17, s4
	s_cbranch_execz .LBB384_3415
; %bb.3408:                             ;   in Loop: Header=BB384_2086 Depth=1
	v_cmp_ne_u16_sdwa s4, v23, v116 src0_sel:BYTE_0 src1_sel:DWORD
	v_bfrev_b32_e32 v4, 1
	s_and_saveexec_b32 s18, s4
	s_cbranch_execz .LBB384_3414
; %bb.3409:                             ;   in Loop: Header=BB384_2086 Depth=1
	v_and_b32_e32 v11, 0x7f, v23
	v_mov_b32_e32 v4, 0x7f800001
	s_mov_b32 s20, exec_lo
	v_cmpx_ne_u32_e32 0x7f, v11
	s_cbranch_execz .LBB384_3413
; %bb.3410:                             ;   in Loop: Header=BB384_2086 Depth=1
	v_mov_b32_e32 v29, v24
	v_lshrrev_b32_e32 v4, 3, v11
	v_mov_b32_e32 v28, v23
	s_mov_b32 s21, exec_lo
	v_cmpx_gt_u32_e32 8, v11
; %bb.3411:                             ;   in Loop: Header=BB384_2086 Depth=1
	v_and_b32_e32 v4, 7, v23
	v_ffbh_u32_e32 v4, v4
	v_min_u32_e32 v4, 32, v4
	v_subrev_nc_u32_e32 v11, 28, v4
	v_sub_nc_u32_e32 v4, 29, v4
	v_lshlrev_b64 v[28:29], v11, v[23:24]
; %bb.3412:                             ;   in Loop: Header=BB384_2086 Depth=1
	s_or_b32 exec_lo, exec_lo, s21
	v_lshlrev_b32_e32 v11, 20, v28
	v_lshlrev_b32_e32 v12, 24, v23
	v_lshl_add_u32 v4, v4, 23, 0x3c000000
	v_and_b32_e32 v11, 0x700000, v11
	v_and_b32_e32 v12, 0x80000000, v12
	v_or3_b32 v4, v11, v12, v4
.LBB384_3413:                           ;   in Loop: Header=BB384_2086 Depth=1
	s_or_b32 exec_lo, exec_lo, s20
.LBB384_3414:                           ;   in Loop: Header=BB384_2086 Depth=1
	s_or_b32 exec_lo, exec_lo, s18
.LBB384_3415:                           ;   in Loop: Header=BB384_2086 Depth=1
	s_or_b32 exec_lo, exec_lo, s17
	v_cmp_ne_u16_sdwa s4, v23, v13 src0_sel:BYTE_1 src1_sel:DWORD
	s_and_saveexec_b32 s17, s4
	s_cbranch_execz .LBB384_3423
; %bb.3416:                             ;   in Loop: Header=BB384_2086 Depth=1
	v_cmp_ne_u16_sdwa s4, v23, v116 src0_sel:BYTE_1 src1_sel:DWORD
	v_bfrev_b32_e32 v5, 1
	s_and_saveexec_b32 s18, s4
	s_cbranch_execz .LBB384_3422
; %bb.3417:                             ;   in Loop: Header=BB384_2086 Depth=1
	v_mov_b32_e32 v5, 0xffff
	s_mov_b32 s20, exec_lo
	v_and_b32_sdwa v12, v5, v23 dst_sel:DWORD dst_unused:UNUSED_PAD src0_sel:DWORD src1_sel:BYTE_1
	v_mov_b32_e32 v5, 0x7f800001
	v_and_b32_e32 v11, 0x7f, v12
	v_cmpx_ne_u32_e32 0x7f, v11
	s_cbranch_execz .LBB384_3421
; %bb.3418:                             ;   in Loop: Header=BB384_2086 Depth=1
	v_and_b32_e32 v12, 7, v12
	v_mov_b32_e32 v29, v13
	v_lshrrev_b32_e32 v5, 3, v11
	s_mov_b32 s21, exec_lo
	v_mov_b32_e32 v28, v12
	v_cmpx_gt_u32_e32 8, v11
; %bb.3419:                             ;   in Loop: Header=BB384_2086 Depth=1
	v_ffbh_u32_e32 v5, v12
	v_min_u32_e32 v5, 32, v5
	v_subrev_nc_u32_e32 v11, 28, v5
	v_sub_nc_u32_e32 v5, 29, v5
	v_lshlrev_b64 v[11:12], v11, v[12:13]
	v_and_b32_e32 v28, 7, v11
; %bb.3420:                             ;   in Loop: Header=BB384_2086 Depth=1
	s_or_b32 exec_lo, exec_lo, s21
	v_lshlrev_b32_e32 v11, 16, v23
	v_lshlrev_b32_e32 v12, 20, v28
	v_lshl_add_u32 v5, v5, 23, 0x3c000000
	v_and_b32_e32 v11, 0x80000000, v11
	v_or3_b32 v5, v12, v11, v5
.LBB384_3421:                           ;   in Loop: Header=BB384_2086 Depth=1
	s_or_b32 exec_lo, exec_lo, s20
.LBB384_3422:                           ;   in Loop: Header=BB384_2086 Depth=1
	s_or_b32 exec_lo, exec_lo, s18
.LBB384_3423:                           ;   in Loop: Header=BB384_2086 Depth=1
	s_or_b32 exec_lo, exec_lo, s17
	v_and_b32_sdwa v12, v23, v118 dst_sel:DWORD dst_unused:UNUSED_PAD src0_sel:WORD_1 src1_sel:DWORD
	v_mov_b32_e32 v16, 0
	v_mov_b32_e32 v11, 0
	s_mov_b32 s17, exec_lo
	v_cmpx_ne_u16_e32 0, v12
	s_cbranch_execz .LBB384_3431
; %bb.3424:                             ;   in Loop: Header=BB384_2086 Depth=1
	v_bfrev_b32_e32 v11, 1
	s_mov_b32 s18, exec_lo
	v_cmpx_ne_u16_e32 0x80, v12
	s_cbranch_execz .LBB384_3430
; %bb.3425:                             ;   in Loop: Header=BB384_2086 Depth=1
	v_bfe_u32 v17, v23, 16, 7
	v_mov_b32_e32 v11, 0x7f800001
	s_mov_b32 s20, exec_lo
	v_cmpx_ne_u32_e32 0x7f, v17
	s_cbranch_execz .LBB384_3429
; %bb.3426:                             ;   in Loop: Header=BB384_2086 Depth=1
	v_mov_b32_e32 v11, 7
	s_mov_b32 s21, exec_lo
	v_and_b32_sdwa v12, v23, v11 dst_sel:DWORD dst_unused:UNUSED_PAD src0_sel:WORD_1 src1_sel:DWORD
	v_mov_b32_e32 v29, v13
	v_lshrrev_b32_e32 v11, 3, v17
	v_mov_b32_e32 v28, v12
	v_cmpx_gt_u32_e32 8, v17
; %bb.3427:                             ;   in Loop: Header=BB384_2086 Depth=1
	v_ffbh_u32_e32 v11, v12
	v_min_u32_e32 v11, 32, v11
	v_subrev_nc_u32_e32 v17, 28, v11
	v_sub_nc_u32_e32 v11, 29, v11
	v_lshlrev_b64 v[28:29], v17, v[12:13]
	v_and_b32_e32 v28, 7, v28
; %bb.3428:                             ;   in Loop: Header=BB384_2086 Depth=1
	s_or_b32 exec_lo, exec_lo, s21
	v_mov_b32_e32 v12, 24
	v_lshlrev_b32_e32 v17, 20, v28
	v_lshl_add_u32 v11, v11, 23, 0x3c000000
	v_lshlrev_b32_sdwa v12, v12, v23 dst_sel:DWORD dst_unused:UNUSED_PAD src0_sel:DWORD src1_sel:WORD_1
	v_and_b32_e32 v12, 0x80000000, v12
	v_or3_b32 v11, v17, v12, v11
.LBB384_3429:                           ;   in Loop: Header=BB384_2086 Depth=1
	s_or_b32 exec_lo, exec_lo, s20
.LBB384_3430:                           ;   in Loop: Header=BB384_2086 Depth=1
	s_or_b32 exec_lo, exec_lo, s18
.LBB384_3431:                           ;   in Loop: Header=BB384_2086 Depth=1
	s_or_b32 exec_lo, exec_lo, s17
	s_mov_b32 s17, exec_lo
	v_cmpx_lt_u32_e32 0xffffff, v23
	s_cbranch_execz .LBB384_3439
; %bb.3432:                             ;   in Loop: Header=BB384_2086 Depth=1
	v_cmp_ne_u32_sdwa s4, v23, v116 src0_sel:BYTE_3 src1_sel:DWORD
	v_bfrev_b32_e32 v16, 1
	s_and_saveexec_b32 s18, s4
	s_cbranch_execz .LBB384_3438
; %bb.3433:                             ;   in Loop: Header=BB384_2086 Depth=1
	v_bfe_u32 v17, v23, 24, 7
	v_mov_b32_e32 v16, 0x7f800001
	s_mov_b32 s20, exec_lo
	v_cmpx_ne_u32_e32 0x7f, v17
	s_cbranch_execz .LBB384_3437
; %bb.3434:                             ;   in Loop: Header=BB384_2086 Depth=1
	v_mov_b32_e32 v12, 7
	v_lshrrev_b32_e32 v16, 3, v17
	s_mov_b32 s21, exec_lo
	v_and_b32_sdwa v12, v23, v12 dst_sel:DWORD dst_unused:UNUSED_PAD src0_sel:BYTE_3 src1_sel:DWORD
	v_mov_b32_e32 v29, v13
	v_mov_b32_e32 v28, v12
	v_cmpx_gt_u32_e32 8, v17
; %bb.3435:                             ;   in Loop: Header=BB384_2086 Depth=1
	v_ffbh_u32_e32 v16, v12
	v_min_u32_e32 v16, 32, v16
	v_subrev_nc_u32_e32 v17, 28, v16
	v_sub_nc_u32_e32 v16, 29, v16
	v_lshlrev_b64 v[28:29], v17, v[12:13]
	v_and_b32_e32 v28, 7, v28
; %bb.3436:                             ;   in Loop: Header=BB384_2086 Depth=1
	s_or_b32 exec_lo, exec_lo, s21
	v_mov_b32_e32 v12, 24
	v_lshlrev_b32_e32 v17, 20, v28
	v_lshl_add_u32 v16, v16, 23, 0x3c000000
	v_lshlrev_b32_sdwa v12, v12, v23 dst_sel:DWORD dst_unused:UNUSED_PAD src0_sel:DWORD src1_sel:BYTE_3
	v_and_b32_e32 v12, 0x80000000, v12
	v_or3_b32 v16, v17, v12, v16
.LBB384_3437:                           ;   in Loop: Header=BB384_2086 Depth=1
	s_or_b32 exec_lo, exec_lo, s20
.LBB384_3438:                           ;   in Loop: Header=BB384_2086 Depth=1
	s_or_b32 exec_lo, exec_lo, s18
.LBB384_3439:                           ;   in Loop: Header=BB384_2086 Depth=1
	s_or_b32 exec_lo, exec_lo, s17
	v_mov_b32_e32 v12, v24
	v_cmp_ne_u16_sdwa s4, v24, v13 src0_sel:BYTE_0 src1_sel:DWORD
	v_mov_b32_e32 v31, 0
	v_mov_b32_e32 v25, 0
	s_and_saveexec_b32 s17, s4
	s_cbranch_execz .LBB384_3447
; %bb.3440:                             ;   in Loop: Header=BB384_2086 Depth=1
	v_cmp_ne_u16_sdwa s4, v24, v116 src0_sel:BYTE_0 src1_sel:DWORD
	v_bfrev_b32_e32 v25, 1
	s_and_saveexec_b32 s18, s4
	s_cbranch_execz .LBB384_3446
; %bb.3441:                             ;   in Loop: Header=BB384_2086 Depth=1
	v_and_b32_e32 v22, 0x7f, v24
	v_mov_b32_e32 v25, 0x7f800001
	s_mov_b32 s20, exec_lo
	v_cmpx_ne_u32_e32 0x7f, v22
	s_cbranch_execz .LBB384_3445
; %bb.3442:                             ;   in Loop: Header=BB384_2086 Depth=1
	v_mov_b32_e32 v29, v13
	v_mov_b32_e32 v28, v12
	v_lshrrev_b32_e32 v17, 3, v22
	s_mov_b32 s21, exec_lo
	v_cmpx_gt_u32_e32 8, v22
; %bb.3443:                             ;   in Loop: Header=BB384_2086 Depth=1
	v_and_b32_e32 v17, 7, v24
	v_ffbh_u32_e32 v17, v17
	v_min_u32_e32 v17, 32, v17
	v_subrev_nc_u32_e32 v22, 28, v17
	v_sub_nc_u32_e32 v17, 29, v17
	v_lshlrev_b64 v[28:29], v22, v[12:13]
; %bb.3444:                             ;   in Loop: Header=BB384_2086 Depth=1
	s_or_b32 exec_lo, exec_lo, s21
	v_lshlrev_b32_e32 v22, 20, v28
	v_lshlrev_b32_e32 v25, 24, v12
	v_lshl_add_u32 v17, v17, 23, 0x3c000000
	v_and_b32_e32 v22, 0x700000, v22
	v_and_b32_e32 v25, 0x80000000, v25
	v_or3_b32 v25, v22, v25, v17
.LBB384_3445:                           ;   in Loop: Header=BB384_2086 Depth=1
	s_or_b32 exec_lo, exec_lo, s20
.LBB384_3446:                           ;   in Loop: Header=BB384_2086 Depth=1
	s_or_b32 exec_lo, exec_lo, s18
.LBB384_3447:                           ;   in Loop: Header=BB384_2086 Depth=1
	s_or_b32 exec_lo, exec_lo, s17
	v_cmp_ne_u16_sdwa s4, v12, v13 src0_sel:BYTE_1 src1_sel:DWORD
	s_and_saveexec_b32 s17, s4
	s_cbranch_execz .LBB384_3455
; %bb.3448:                             ;   in Loop: Header=BB384_2086 Depth=1
	v_cmp_ne_u16_sdwa s4, v12, v116 src0_sel:BYTE_1 src1_sel:DWORD
	v_bfrev_b32_e32 v31, 1
	s_and_saveexec_b32 s18, s4
	s_cbranch_execz .LBB384_3454
; %bb.3449:                             ;   in Loop: Header=BB384_2086 Depth=1
	v_mov_b32_e32 v17, 0xffff
	v_mov_b32_e32 v31, 0x7f800001
	s_mov_b32 s20, exec_lo
	v_and_b32_sdwa v17, v17, v12 dst_sel:DWORD dst_unused:UNUSED_PAD src0_sel:DWORD src1_sel:BYTE_1
	v_and_b32_e32 v22, 0x7f, v17
	v_cmpx_ne_u32_e32 0x7f, v22
	s_cbranch_execz .LBB384_3453
; %bb.3450:                             ;   in Loop: Header=BB384_2086 Depth=1
	v_and_b32_e32 v28, 7, v17
	v_mov_b32_e32 v29, v13
	v_lshrrev_b32_e32 v17, 3, v22
	s_mov_b32 s21, exec_lo
	v_cmpx_gt_u32_e32 8, v22
; %bb.3451:                             ;   in Loop: Header=BB384_2086 Depth=1
	v_ffbh_u32_e32 v17, v28
	v_min_u32_e32 v17, 32, v17
	v_subrev_nc_u32_e32 v22, 28, v17
	v_sub_nc_u32_e32 v17, 29, v17
	v_lshlrev_b64 v[28:29], v22, v[28:29]
	v_and_b32_e32 v28, 7, v28
; %bb.3452:                             ;   in Loop: Header=BB384_2086 Depth=1
	s_or_b32 exec_lo, exec_lo, s21
	v_lshlrev_b32_e32 v12, 16, v12
	v_lshlrev_b32_e32 v22, 20, v28
	v_lshl_add_u32 v17, v17, 23, 0x3c000000
	v_and_b32_e32 v12, 0x80000000, v12
	v_or3_b32 v31, v22, v12, v17
.LBB384_3453:                           ;   in Loop: Header=BB384_2086 Depth=1
	s_or_b32 exec_lo, exec_lo, s20
.LBB384_3454:                           ;   in Loop: Header=BB384_2086 Depth=1
	s_or_b32 exec_lo, exec_lo, s18
.LBB384_3455:                           ;   in Loop: Header=BB384_2086 Depth=1
	s_or_b32 exec_lo, exec_lo, s17
	v_and_b32_sdwa v12, v24, v118 dst_sel:DWORD dst_unused:UNUSED_PAD src0_sel:WORD_1 src1_sel:DWORD
	v_mov_b32_e32 v17, 0
	v_mov_b32_e32 v22, 0
	s_mov_b32 s17, exec_lo
	v_cmpx_ne_u16_e32 0, v12
	s_cbranch_execz .LBB384_3463
; %bb.3456:                             ;   in Loop: Header=BB384_2086 Depth=1
	v_bfrev_b32_e32 v22, 1
	s_mov_b32 s18, exec_lo
	v_cmpx_ne_u16_e32 0x80, v12
	s_cbranch_execz .LBB384_3462
; %bb.3457:                             ;   in Loop: Header=BB384_2086 Depth=1
	v_bfe_u32 v32, v24, 16, 7
	v_mov_b32_e32 v22, 0x7f800001
	s_mov_b32 s20, exec_lo
	v_cmpx_ne_u32_e32 0x7f, v32
	s_cbranch_execz .LBB384_3461
; %bb.3458:                             ;   in Loop: Header=BB384_2086 Depth=1
	v_mov_b32_e32 v12, 7
	v_lshrrev_b32_e32 v22, 3, v32
	s_mov_b32 s21, exec_lo
	v_and_b32_sdwa v12, v24, v12 dst_sel:DWORD dst_unused:UNUSED_PAD src0_sel:WORD_1 src1_sel:DWORD
	v_mov_b32_e32 v29, v13
	v_mov_b32_e32 v28, v12
	v_cmpx_gt_u32_e32 8, v32
; %bb.3459:                             ;   in Loop: Header=BB384_2086 Depth=1
	v_ffbh_u32_e32 v22, v12
	v_min_u32_e32 v22, 32, v22
	v_subrev_nc_u32_e32 v28, 28, v22
	v_sub_nc_u32_e32 v22, 29, v22
	v_lshlrev_b64 v[28:29], v28, v[12:13]
	v_and_b32_e32 v28, 7, v28
; %bb.3460:                             ;   in Loop: Header=BB384_2086 Depth=1
	s_or_b32 exec_lo, exec_lo, s21
	v_mov_b32_e32 v12, 24
	v_lshlrev_b32_e32 v28, 20, v28
	v_lshl_add_u32 v22, v22, 23, 0x3c000000
	v_lshlrev_b32_sdwa v12, v12, v24 dst_sel:DWORD dst_unused:UNUSED_PAD src0_sel:DWORD src1_sel:WORD_1
	v_and_b32_e32 v12, 0x80000000, v12
	v_or3_b32 v22, v28, v12, v22
.LBB384_3461:                           ;   in Loop: Header=BB384_2086 Depth=1
	s_or_b32 exec_lo, exec_lo, s20
.LBB384_3462:                           ;   in Loop: Header=BB384_2086 Depth=1
	s_or_b32 exec_lo, exec_lo, s18
.LBB384_3463:                           ;   in Loop: Header=BB384_2086 Depth=1
	s_or_b32 exec_lo, exec_lo, s17
	s_mov_b32 s17, exec_lo
	v_cmpx_lt_u64_e64 s[12:13], v[23:24]
	s_cbranch_execz .LBB384_3471
; %bb.3464:                             ;   in Loop: Header=BB384_2086 Depth=1
	v_cmp_ne_u32_sdwa s4, v24, v116 src0_sel:BYTE_3 src1_sel:DWORD
	v_bfrev_b32_e32 v17, 1
	s_and_saveexec_b32 s18, s4
	s_cbranch_execz .LBB384_3470
; %bb.3465:                             ;   in Loop: Header=BB384_2086 Depth=1
	v_bfe_u32 v23, v24, 24, 7
	v_mov_b32_e32 v17, 0x7f800001
	s_mov_b32 s20, exec_lo
	v_cmpx_ne_u32_e32 0x7f, v23
	s_cbranch_execz .LBB384_3469
; %bb.3466:                             ;   in Loop: Header=BB384_2086 Depth=1
	v_mov_b32_e32 v12, 7
	v_lshrrev_b32_e32 v17, 3, v23
	s_mov_b32 s21, exec_lo
	v_and_b32_sdwa v12, v24, v12 dst_sel:DWORD dst_unused:UNUSED_PAD src0_sel:BYTE_3 src1_sel:DWORD
	v_mov_b32_e32 v29, v13
	v_mov_b32_e32 v28, v12
	v_cmpx_gt_u32_e32 8, v23
; %bb.3467:                             ;   in Loop: Header=BB384_2086 Depth=1
	v_ffbh_u32_e32 v17, v12
	v_min_u32_e32 v17, 32, v17
	v_subrev_nc_u32_e32 v23, 28, v17
	v_sub_nc_u32_e32 v17, 29, v17
	v_lshlrev_b64 v[28:29], v23, v[12:13]
	v_and_b32_e32 v28, 7, v28
; %bb.3468:                             ;   in Loop: Header=BB384_2086 Depth=1
	s_or_b32 exec_lo, exec_lo, s21
	v_mov_b32_e32 v12, 24
	v_lshlrev_b32_e32 v23, 20, v28
	v_lshl_add_u32 v17, v17, 23, 0x3c000000
	v_lshlrev_b32_sdwa v12, v12, v24 dst_sel:DWORD dst_unused:UNUSED_PAD src0_sel:DWORD src1_sel:BYTE_3
	v_and_b32_e32 v12, 0x80000000, v12
	v_or3_b32 v17, v23, v12, v17
.LBB384_3469:                           ;   in Loop: Header=BB384_2086 Depth=1
	s_or_b32 exec_lo, exec_lo, s20
.LBB384_3470:                           ;   in Loop: Header=BB384_2086 Depth=1
	s_or_b32 exec_lo, exec_lo, s18
.LBB384_3471:                           ;   in Loop: Header=BB384_2086 Depth=1
	s_or_b32 exec_lo, exec_lo, s17
	v_mul_f32_e32 v12, v115, v31
	v_mul_f32_e32 v11, v115, v11
	;; [unrolled: 1-line block ×4, first 2 shown]
	v_bfe_u32 v23, v12, 16, 1
	v_or_b32_e32 v24, 0x400000, v12
	v_cmp_u_f32_e64 s4, v12, v12
	v_add3_u32 v23, v23, v12, 0x7fff
	v_cndmask_b32_e64 v12, v23, v24, s4
	v_lshrrev_b32_e32 v86, 16, v12
	v_mul_f32_e32 v12, v115, v25
	v_bfe_u32 v23, v12, 16, 1
	v_or_b32_e32 v24, 0x400000, v12
	v_cmp_u_f32_e64 s4, v12, v12
	v_add3_u32 v23, v23, v12, 0x7fff
	v_cndmask_b32_e64 v12, v23, v24, s4
	v_lshrrev_b32_e32 v87, 16, v12
	v_mul_f32_e32 v12, v115, v16
	v_bfe_u32 v16, v12, 16, 1
	v_or_b32_e32 v23, 0x400000, v12
	v_cmp_u_f32_e64 s4, v12, v12
	v_add3_u32 v16, v16, v12, 0x7fff
	v_cndmask_b32_e64 v12, v16, v23, s4
	v_or_b32_e32 v16, 0x400000, v11
	v_cmp_u_f32_e64 s4, v11, v11
	v_lshrrev_b32_e32 v96, 16, v12
	v_bfe_u32 v12, v11, 16, 1
	v_add3_u32 v12, v12, v11, 0x7fff
	v_cndmask_b32_e64 v11, v12, v16, s4
	v_or_b32_e32 v12, 0x400000, v5
	v_cmp_u_f32_e64 s4, v5, v5
	v_lshrrev_b32_e32 v97, 16, v11
	v_bfe_u32 v11, v5, 16, 1
	;; [unrolled: 6-line block ×3, first 2 shown]
	v_add3_u32 v5, v5, v4, 0x7fff
	v_cndmask_b32_e64 v4, v5, v11, s4
	v_lshrrev_b32_e32 v100, 16, v4
	v_mul_f32_e32 v4, v115, v22
	v_bfe_u32 v5, v4, 16, 1
	v_or_b32_e32 v11, 0x400000, v4
	v_cmp_u_f32_e64 s4, v4, v4
	v_add3_u32 v5, v5, v4, 0x7fff
	v_cndmask_b32_e64 v4, v5, v11, s4
	v_lshrrev_b32_e32 v98, 16, v4
	v_mul_f32_e32 v4, v115, v17
	v_bfe_u32 v5, v4, 16, 1
	v_or_b32_e32 v11, 0x400000, v4
	v_cmp_u_f32_e64 s4, v4, v4
	v_add3_u32 v5, v5, v4, 0x7fff
	v_cndmask_b32_e64 v4, v5, v11, s4
	v_lshrrev_b32_e32 v101, 16, v4
	s_and_saveexec_b32 s17, vcc_lo
	s_cbranch_execz .LBB384_3473
; %bb.3472:                             ;   in Loop: Header=BB384_2086 Depth=1
	v_cmp_lt_i32_e64 s4, v114, v48
	v_cndmask_b32_e64 v100, 0, v100, s4
	v_cmp_lt_i32_e64 s4, v10, v48
	v_cndmask_b32_e64 v99, 0, v99, s4
	;; [unrolled: 2-line block ×8, first 2 shown]
.LBB384_3473:                           ;   in Loop: Header=BB384_2086 Depth=1
	s_or_b32 exec_lo, exec_lo, s17
	flat_load_dwordx2 v[23:24], v[20:21] offset:1280
	v_mov_b32_e32 v5, 0
	v_mov_b32_e32 v4, 0
	s_waitcnt vmcnt(0) lgkmcnt(0)
	v_cmp_ne_u16_sdwa s4, v23, v13 src0_sel:BYTE_0 src1_sel:DWORD
	s_and_saveexec_b32 s17, s4
	s_cbranch_execz .LBB384_3481
; %bb.3474:                             ;   in Loop: Header=BB384_2086 Depth=1
	v_cmp_ne_u16_sdwa s4, v23, v116 src0_sel:BYTE_0 src1_sel:DWORD
	v_bfrev_b32_e32 v4, 1
	s_and_saveexec_b32 s18, s4
	s_cbranch_execz .LBB384_3480
; %bb.3475:                             ;   in Loop: Header=BB384_2086 Depth=1
	v_and_b32_e32 v11, 0x7f, v23
	v_mov_b32_e32 v4, 0x7f800001
	s_mov_b32 s20, exec_lo
	v_cmpx_ne_u32_e32 0x7f, v11
	s_cbranch_execz .LBB384_3479
; %bb.3476:                             ;   in Loop: Header=BB384_2086 Depth=1
	v_mov_b32_e32 v29, v24
	v_lshrrev_b32_e32 v4, 3, v11
	v_mov_b32_e32 v28, v23
	s_mov_b32 s21, exec_lo
	v_cmpx_gt_u32_e32 8, v11
; %bb.3477:                             ;   in Loop: Header=BB384_2086 Depth=1
	v_and_b32_e32 v4, 7, v23
	v_ffbh_u32_e32 v4, v4
	v_min_u32_e32 v4, 32, v4
	v_subrev_nc_u32_e32 v11, 28, v4
	v_sub_nc_u32_e32 v4, 29, v4
	v_lshlrev_b64 v[28:29], v11, v[23:24]
; %bb.3478:                             ;   in Loop: Header=BB384_2086 Depth=1
	s_or_b32 exec_lo, exec_lo, s21
	v_lshlrev_b32_e32 v11, 20, v28
	v_lshlrev_b32_e32 v12, 24, v23
	v_lshl_add_u32 v4, v4, 23, 0x3c000000
	v_and_b32_e32 v11, 0x700000, v11
	v_and_b32_e32 v12, 0x80000000, v12
	v_or3_b32 v4, v11, v12, v4
.LBB384_3479:                           ;   in Loop: Header=BB384_2086 Depth=1
	s_or_b32 exec_lo, exec_lo, s20
.LBB384_3480:                           ;   in Loop: Header=BB384_2086 Depth=1
	s_or_b32 exec_lo, exec_lo, s18
.LBB384_3481:                           ;   in Loop: Header=BB384_2086 Depth=1
	s_or_b32 exec_lo, exec_lo, s17
	v_cmp_ne_u16_sdwa s4, v23, v13 src0_sel:BYTE_1 src1_sel:DWORD
	s_and_saveexec_b32 s17, s4
	s_cbranch_execz .LBB384_3489
; %bb.3482:                             ;   in Loop: Header=BB384_2086 Depth=1
	v_cmp_ne_u16_sdwa s4, v23, v116 src0_sel:BYTE_1 src1_sel:DWORD
	v_bfrev_b32_e32 v5, 1
	s_and_saveexec_b32 s18, s4
	s_cbranch_execz .LBB384_3488
; %bb.3483:                             ;   in Loop: Header=BB384_2086 Depth=1
	v_mov_b32_e32 v5, 0xffff
	s_mov_b32 s20, exec_lo
	v_and_b32_sdwa v12, v5, v23 dst_sel:DWORD dst_unused:UNUSED_PAD src0_sel:DWORD src1_sel:BYTE_1
	v_mov_b32_e32 v5, 0x7f800001
	v_and_b32_e32 v11, 0x7f, v12
	v_cmpx_ne_u32_e32 0x7f, v11
	s_cbranch_execz .LBB384_3487
; %bb.3484:                             ;   in Loop: Header=BB384_2086 Depth=1
	v_and_b32_e32 v12, 7, v12
	v_mov_b32_e32 v29, v13
	v_lshrrev_b32_e32 v5, 3, v11
	s_mov_b32 s21, exec_lo
	v_mov_b32_e32 v28, v12
	v_cmpx_gt_u32_e32 8, v11
; %bb.3485:                             ;   in Loop: Header=BB384_2086 Depth=1
	v_ffbh_u32_e32 v5, v12
	v_min_u32_e32 v5, 32, v5
	v_subrev_nc_u32_e32 v11, 28, v5
	v_sub_nc_u32_e32 v5, 29, v5
	v_lshlrev_b64 v[11:12], v11, v[12:13]
	v_and_b32_e32 v28, 7, v11
; %bb.3486:                             ;   in Loop: Header=BB384_2086 Depth=1
	s_or_b32 exec_lo, exec_lo, s21
	v_lshlrev_b32_e32 v11, 16, v23
	v_lshlrev_b32_e32 v12, 20, v28
	v_lshl_add_u32 v5, v5, 23, 0x3c000000
	v_and_b32_e32 v11, 0x80000000, v11
	v_or3_b32 v5, v12, v11, v5
.LBB384_3487:                           ;   in Loop: Header=BB384_2086 Depth=1
	s_or_b32 exec_lo, exec_lo, s20
.LBB384_3488:                           ;   in Loop: Header=BB384_2086 Depth=1
	s_or_b32 exec_lo, exec_lo, s18
.LBB384_3489:                           ;   in Loop: Header=BB384_2086 Depth=1
	s_or_b32 exec_lo, exec_lo, s17
	v_and_b32_sdwa v12, v23, v118 dst_sel:DWORD dst_unused:UNUSED_PAD src0_sel:WORD_1 src1_sel:DWORD
	v_mov_b32_e32 v16, 0
	v_mov_b32_e32 v11, 0
	s_mov_b32 s17, exec_lo
	v_cmpx_ne_u16_e32 0, v12
	s_cbranch_execz .LBB384_3497
; %bb.3490:                             ;   in Loop: Header=BB384_2086 Depth=1
	v_bfrev_b32_e32 v11, 1
	s_mov_b32 s18, exec_lo
	v_cmpx_ne_u16_e32 0x80, v12
	s_cbranch_execz .LBB384_3496
; %bb.3491:                             ;   in Loop: Header=BB384_2086 Depth=1
	v_bfe_u32 v17, v23, 16, 7
	v_mov_b32_e32 v11, 0x7f800001
	s_mov_b32 s20, exec_lo
	v_cmpx_ne_u32_e32 0x7f, v17
	s_cbranch_execz .LBB384_3495
; %bb.3492:                             ;   in Loop: Header=BB384_2086 Depth=1
	v_mov_b32_e32 v11, 7
	s_mov_b32 s21, exec_lo
	v_and_b32_sdwa v12, v23, v11 dst_sel:DWORD dst_unused:UNUSED_PAD src0_sel:WORD_1 src1_sel:DWORD
	v_mov_b32_e32 v29, v13
	v_lshrrev_b32_e32 v11, 3, v17
	v_mov_b32_e32 v28, v12
	v_cmpx_gt_u32_e32 8, v17
; %bb.3493:                             ;   in Loop: Header=BB384_2086 Depth=1
	v_ffbh_u32_e32 v11, v12
	v_min_u32_e32 v11, 32, v11
	v_subrev_nc_u32_e32 v17, 28, v11
	v_sub_nc_u32_e32 v11, 29, v11
	v_lshlrev_b64 v[28:29], v17, v[12:13]
	v_and_b32_e32 v28, 7, v28
; %bb.3494:                             ;   in Loop: Header=BB384_2086 Depth=1
	s_or_b32 exec_lo, exec_lo, s21
	v_mov_b32_e32 v12, 24
	v_lshlrev_b32_e32 v17, 20, v28
	v_lshl_add_u32 v11, v11, 23, 0x3c000000
	v_lshlrev_b32_sdwa v12, v12, v23 dst_sel:DWORD dst_unused:UNUSED_PAD src0_sel:DWORD src1_sel:WORD_1
	v_and_b32_e32 v12, 0x80000000, v12
	v_or3_b32 v11, v17, v12, v11
.LBB384_3495:                           ;   in Loop: Header=BB384_2086 Depth=1
	s_or_b32 exec_lo, exec_lo, s20
.LBB384_3496:                           ;   in Loop: Header=BB384_2086 Depth=1
	s_or_b32 exec_lo, exec_lo, s18
.LBB384_3497:                           ;   in Loop: Header=BB384_2086 Depth=1
	s_or_b32 exec_lo, exec_lo, s17
	s_mov_b32 s17, exec_lo
	v_cmpx_lt_u32_e32 0xffffff, v23
	s_cbranch_execz .LBB384_3505
; %bb.3498:                             ;   in Loop: Header=BB384_2086 Depth=1
	v_cmp_ne_u32_sdwa s4, v23, v116 src0_sel:BYTE_3 src1_sel:DWORD
	v_bfrev_b32_e32 v16, 1
	s_and_saveexec_b32 s18, s4
	s_cbranch_execz .LBB384_3504
; %bb.3499:                             ;   in Loop: Header=BB384_2086 Depth=1
	v_bfe_u32 v17, v23, 24, 7
	v_mov_b32_e32 v16, 0x7f800001
	s_mov_b32 s20, exec_lo
	v_cmpx_ne_u32_e32 0x7f, v17
	s_cbranch_execz .LBB384_3503
; %bb.3500:                             ;   in Loop: Header=BB384_2086 Depth=1
	v_mov_b32_e32 v12, 7
	v_lshrrev_b32_e32 v16, 3, v17
	s_mov_b32 s21, exec_lo
	v_and_b32_sdwa v12, v23, v12 dst_sel:DWORD dst_unused:UNUSED_PAD src0_sel:BYTE_3 src1_sel:DWORD
	v_mov_b32_e32 v29, v13
	v_mov_b32_e32 v28, v12
	v_cmpx_gt_u32_e32 8, v17
; %bb.3501:                             ;   in Loop: Header=BB384_2086 Depth=1
	v_ffbh_u32_e32 v16, v12
	v_min_u32_e32 v16, 32, v16
	v_subrev_nc_u32_e32 v17, 28, v16
	v_sub_nc_u32_e32 v16, 29, v16
	v_lshlrev_b64 v[28:29], v17, v[12:13]
	v_and_b32_e32 v28, 7, v28
; %bb.3502:                             ;   in Loop: Header=BB384_2086 Depth=1
	s_or_b32 exec_lo, exec_lo, s21
	v_mov_b32_e32 v12, 24
	v_lshlrev_b32_e32 v17, 20, v28
	v_lshl_add_u32 v16, v16, 23, 0x3c000000
	v_lshlrev_b32_sdwa v12, v12, v23 dst_sel:DWORD dst_unused:UNUSED_PAD src0_sel:DWORD src1_sel:BYTE_3
	v_and_b32_e32 v12, 0x80000000, v12
	v_or3_b32 v16, v17, v12, v16
.LBB384_3503:                           ;   in Loop: Header=BB384_2086 Depth=1
	s_or_b32 exec_lo, exec_lo, s20
.LBB384_3504:                           ;   in Loop: Header=BB384_2086 Depth=1
	s_or_b32 exec_lo, exec_lo, s18
.LBB384_3505:                           ;   in Loop: Header=BB384_2086 Depth=1
	s_or_b32 exec_lo, exec_lo, s17
	v_mov_b32_e32 v12, v24
	v_cmp_ne_u16_sdwa s4, v24, v13 src0_sel:BYTE_0 src1_sel:DWORD
	v_mov_b32_e32 v25, 0
	v_mov_b32_e32 v31, 0
	s_and_saveexec_b32 s17, s4
	s_cbranch_execz .LBB384_3513
; %bb.3506:                             ;   in Loop: Header=BB384_2086 Depth=1
	v_cmp_ne_u16_sdwa s4, v24, v116 src0_sel:BYTE_0 src1_sel:DWORD
	v_bfrev_b32_e32 v31, 1
	s_and_saveexec_b32 s18, s4
	s_cbranch_execz .LBB384_3512
; %bb.3507:                             ;   in Loop: Header=BB384_2086 Depth=1
	v_and_b32_e32 v22, 0x7f, v24
	v_mov_b32_e32 v31, 0x7f800001
	s_mov_b32 s20, exec_lo
	v_cmpx_ne_u32_e32 0x7f, v22
	s_cbranch_execz .LBB384_3511
; %bb.3508:                             ;   in Loop: Header=BB384_2086 Depth=1
	v_mov_b32_e32 v29, v13
	v_mov_b32_e32 v28, v12
	v_lshrrev_b32_e32 v17, 3, v22
	s_mov_b32 s21, exec_lo
	v_cmpx_gt_u32_e32 8, v22
; %bb.3509:                             ;   in Loop: Header=BB384_2086 Depth=1
	v_and_b32_e32 v17, 7, v24
	v_ffbh_u32_e32 v17, v17
	v_min_u32_e32 v17, 32, v17
	v_subrev_nc_u32_e32 v22, 28, v17
	v_sub_nc_u32_e32 v17, 29, v17
	v_lshlrev_b64 v[28:29], v22, v[12:13]
; %bb.3510:                             ;   in Loop: Header=BB384_2086 Depth=1
	s_or_b32 exec_lo, exec_lo, s21
	v_lshlrev_b32_e32 v22, 20, v28
	v_lshlrev_b32_e32 v28, 24, v12
	v_lshl_add_u32 v17, v17, 23, 0x3c000000
	v_and_b32_e32 v22, 0x700000, v22
	v_and_b32_e32 v28, 0x80000000, v28
	v_or3_b32 v31, v22, v28, v17
.LBB384_3511:                           ;   in Loop: Header=BB384_2086 Depth=1
	s_or_b32 exec_lo, exec_lo, s20
.LBB384_3512:                           ;   in Loop: Header=BB384_2086 Depth=1
	s_or_b32 exec_lo, exec_lo, s18
.LBB384_3513:                           ;   in Loop: Header=BB384_2086 Depth=1
	s_or_b32 exec_lo, exec_lo, s17
	v_cmp_ne_u16_sdwa s4, v12, v13 src0_sel:BYTE_1 src1_sel:DWORD
	s_and_saveexec_b32 s17, s4
	s_cbranch_execz .LBB384_3521
; %bb.3514:                             ;   in Loop: Header=BB384_2086 Depth=1
	v_cmp_ne_u16_sdwa s4, v12, v116 src0_sel:BYTE_1 src1_sel:DWORD
	v_bfrev_b32_e32 v25, 1
	s_and_saveexec_b32 s18, s4
	s_cbranch_execz .LBB384_3520
; %bb.3515:                             ;   in Loop: Header=BB384_2086 Depth=1
	v_mov_b32_e32 v17, 0xffff
	v_mov_b32_e32 v25, 0x7f800001
	s_mov_b32 s20, exec_lo
	v_and_b32_sdwa v17, v17, v12 dst_sel:DWORD dst_unused:UNUSED_PAD src0_sel:DWORD src1_sel:BYTE_1
	v_and_b32_e32 v22, 0x7f, v17
	v_cmpx_ne_u32_e32 0x7f, v22
	s_cbranch_execz .LBB384_3519
; %bb.3516:                             ;   in Loop: Header=BB384_2086 Depth=1
	v_and_b32_e32 v28, 7, v17
	v_mov_b32_e32 v29, v13
	v_lshrrev_b32_e32 v17, 3, v22
	s_mov_b32 s21, exec_lo
	v_cmpx_gt_u32_e32 8, v22
; %bb.3517:                             ;   in Loop: Header=BB384_2086 Depth=1
	v_ffbh_u32_e32 v17, v28
	v_min_u32_e32 v17, 32, v17
	v_subrev_nc_u32_e32 v22, 28, v17
	v_sub_nc_u32_e32 v17, 29, v17
	v_lshlrev_b64 v[28:29], v22, v[28:29]
	v_and_b32_e32 v28, 7, v28
; %bb.3518:                             ;   in Loop: Header=BB384_2086 Depth=1
	s_or_b32 exec_lo, exec_lo, s21
	v_lshlrev_b32_e32 v12, 16, v12
	v_lshlrev_b32_e32 v22, 20, v28
	v_lshl_add_u32 v17, v17, 23, 0x3c000000
	v_and_b32_e32 v12, 0x80000000, v12
	v_or3_b32 v25, v22, v12, v17
.LBB384_3519:                           ;   in Loop: Header=BB384_2086 Depth=1
	s_or_b32 exec_lo, exec_lo, s20
.LBB384_3520:                           ;   in Loop: Header=BB384_2086 Depth=1
	s_or_b32 exec_lo, exec_lo, s18
.LBB384_3521:                           ;   in Loop: Header=BB384_2086 Depth=1
	s_or_b32 exec_lo, exec_lo, s17
	v_and_b32_sdwa v12, v24, v118 dst_sel:DWORD dst_unused:UNUSED_PAD src0_sel:WORD_1 src1_sel:DWORD
	v_mov_b32_e32 v17, 0
	v_mov_b32_e32 v22, 0
	s_mov_b32 s17, exec_lo
	v_cmpx_ne_u16_e32 0, v12
	s_cbranch_execz .LBB384_3529
; %bb.3522:                             ;   in Loop: Header=BB384_2086 Depth=1
	v_bfrev_b32_e32 v22, 1
	s_mov_b32 s18, exec_lo
	v_cmpx_ne_u16_e32 0x80, v12
	s_cbranch_execz .LBB384_3528
; %bb.3523:                             ;   in Loop: Header=BB384_2086 Depth=1
	v_bfe_u32 v32, v24, 16, 7
	v_mov_b32_e32 v22, 0x7f800001
	s_mov_b32 s20, exec_lo
	v_cmpx_ne_u32_e32 0x7f, v32
	s_cbranch_execz .LBB384_3527
; %bb.3524:                             ;   in Loop: Header=BB384_2086 Depth=1
	v_mov_b32_e32 v12, 7
	v_lshrrev_b32_e32 v22, 3, v32
	s_mov_b32 s21, exec_lo
	v_and_b32_sdwa v12, v24, v12 dst_sel:DWORD dst_unused:UNUSED_PAD src0_sel:WORD_1 src1_sel:DWORD
	v_mov_b32_e32 v29, v13
	v_mov_b32_e32 v28, v12
	v_cmpx_gt_u32_e32 8, v32
; %bb.3525:                             ;   in Loop: Header=BB384_2086 Depth=1
	v_ffbh_u32_e32 v22, v12
	v_min_u32_e32 v22, 32, v22
	v_subrev_nc_u32_e32 v28, 28, v22
	v_sub_nc_u32_e32 v22, 29, v22
	v_lshlrev_b64 v[28:29], v28, v[12:13]
	v_and_b32_e32 v28, 7, v28
; %bb.3526:                             ;   in Loop: Header=BB384_2086 Depth=1
	s_or_b32 exec_lo, exec_lo, s21
	v_mov_b32_e32 v12, 24
	v_lshlrev_b32_e32 v28, 20, v28
	v_lshl_add_u32 v22, v22, 23, 0x3c000000
	v_lshlrev_b32_sdwa v12, v12, v24 dst_sel:DWORD dst_unused:UNUSED_PAD src0_sel:DWORD src1_sel:WORD_1
	v_and_b32_e32 v12, 0x80000000, v12
	v_or3_b32 v22, v28, v12, v22
.LBB384_3527:                           ;   in Loop: Header=BB384_2086 Depth=1
	s_or_b32 exec_lo, exec_lo, s20
.LBB384_3528:                           ;   in Loop: Header=BB384_2086 Depth=1
	s_or_b32 exec_lo, exec_lo, s18
.LBB384_3529:                           ;   in Loop: Header=BB384_2086 Depth=1
	s_or_b32 exec_lo, exec_lo, s17
	s_mov_b32 s17, exec_lo
	v_cmpx_lt_u64_e64 s[12:13], v[23:24]
	s_cbranch_execz .LBB384_3537
; %bb.3530:                             ;   in Loop: Header=BB384_2086 Depth=1
	v_cmp_ne_u32_sdwa s4, v24, v116 src0_sel:BYTE_3 src1_sel:DWORD
	v_bfrev_b32_e32 v17, 1
	s_and_saveexec_b32 s18, s4
	s_cbranch_execz .LBB384_3536
; %bb.3531:                             ;   in Loop: Header=BB384_2086 Depth=1
	v_bfe_u32 v23, v24, 24, 7
	v_mov_b32_e32 v17, 0x7f800001
	s_mov_b32 s20, exec_lo
	v_cmpx_ne_u32_e32 0x7f, v23
	s_cbranch_execz .LBB384_3535
; %bb.3532:                             ;   in Loop: Header=BB384_2086 Depth=1
	v_mov_b32_e32 v12, 7
	v_lshrrev_b32_e32 v17, 3, v23
	s_mov_b32 s21, exec_lo
	v_and_b32_sdwa v12, v24, v12 dst_sel:DWORD dst_unused:UNUSED_PAD src0_sel:BYTE_3 src1_sel:DWORD
	v_mov_b32_e32 v29, v13
	v_mov_b32_e32 v28, v12
	v_cmpx_gt_u32_e32 8, v23
; %bb.3533:                             ;   in Loop: Header=BB384_2086 Depth=1
	v_ffbh_u32_e32 v17, v12
	v_min_u32_e32 v17, 32, v17
	v_subrev_nc_u32_e32 v23, 28, v17
	v_sub_nc_u32_e32 v17, 29, v17
	v_lshlrev_b64 v[28:29], v23, v[12:13]
	v_and_b32_e32 v28, 7, v28
; %bb.3534:                             ;   in Loop: Header=BB384_2086 Depth=1
	s_or_b32 exec_lo, exec_lo, s21
	v_mov_b32_e32 v12, 24
	v_lshlrev_b32_e32 v23, 20, v28
	v_lshl_add_u32 v17, v17, 23, 0x3c000000
	v_lshlrev_b32_sdwa v12, v12, v24 dst_sel:DWORD dst_unused:UNUSED_PAD src0_sel:DWORD src1_sel:BYTE_3
	v_and_b32_e32 v12, 0x80000000, v12
	v_or3_b32 v17, v23, v12, v17
.LBB384_3535:                           ;   in Loop: Header=BB384_2086 Depth=1
	s_or_b32 exec_lo, exec_lo, s20
.LBB384_3536:                           ;   in Loop: Header=BB384_2086 Depth=1
	s_or_b32 exec_lo, exec_lo, s18
.LBB384_3537:                           ;   in Loop: Header=BB384_2086 Depth=1
	s_or_b32 exec_lo, exec_lo, s17
	v_mul_f32_e32 v12, v115, v25
	v_mul_f32_e32 v11, v115, v11
	;; [unrolled: 1-line block ×4, first 2 shown]
	v_bfe_u32 v23, v12, 16, 1
	v_or_b32_e32 v24, 0x400000, v12
	v_cmp_u_f32_e64 s4, v12, v12
	v_add3_u32 v23, v23, v12, 0x7fff
	v_cndmask_b32_e64 v12, v23, v24, s4
	v_lshrrev_b32_e32 v25, 16, v12
	v_mul_f32_e32 v12, v115, v31
	v_bfe_u32 v23, v12, 16, 1
	v_or_b32_e32 v24, 0x400000, v12
	v_cmp_u_f32_e64 s4, v12, v12
	v_add3_u32 v23, v23, v12, 0x7fff
	v_cndmask_b32_e64 v12, v23, v24, s4
	v_lshrrev_b32_e32 v31, 16, v12
	v_mul_f32_e32 v12, v115, v16
	v_bfe_u32 v16, v12, 16, 1
	v_or_b32_e32 v23, 0x400000, v12
	v_cmp_u_f32_e64 s4, v12, v12
	v_add3_u32 v16, v16, v12, 0x7fff
	v_cndmask_b32_e64 v12, v16, v23, s4
	v_or_b32_e32 v16, 0x400000, v11
	v_cmp_u_f32_e64 s4, v11, v11
	v_lshrrev_b32_e32 v102, 16, v12
	v_bfe_u32 v12, v11, 16, 1
	v_add3_u32 v12, v12, v11, 0x7fff
	v_cndmask_b32_e64 v11, v12, v16, s4
	v_or_b32_e32 v12, 0x400000, v5
	v_cmp_u_f32_e64 s4, v5, v5
	v_lshrrev_b32_e32 v103, 16, v11
	v_bfe_u32 v11, v5, 16, 1
	;; [unrolled: 6-line block ×3, first 2 shown]
	v_add3_u32 v5, v5, v4, 0x7fff
	v_cndmask_b32_e64 v4, v5, v11, s4
	v_lshrrev_b32_e32 v53, 16, v4
	v_mul_f32_e32 v4, v115, v22
	v_bfe_u32 v5, v4, 16, 1
	v_or_b32_e32 v11, 0x400000, v4
	v_cmp_u_f32_e64 s4, v4, v4
	v_add3_u32 v5, v5, v4, 0x7fff
	v_cndmask_b32_e64 v4, v5, v11, s4
	v_lshrrev_b32_e32 v112, 16, v4
	v_mul_f32_e32 v4, v115, v17
	v_bfe_u32 v5, v4, 16, 1
	v_or_b32_e32 v11, 0x400000, v4
	v_cmp_u_f32_e64 s4, v4, v4
	v_add3_u32 v5, v5, v4, 0x7fff
	v_cndmask_b32_e64 v4, v5, v11, s4
	v_lshrrev_b32_e32 v50, 16, v4
	s_and_saveexec_b32 s17, vcc_lo
	s_cbranch_execz .LBB384_3539
; %bb.3538:                             ;   in Loop: Header=BB384_2086 Depth=1
	v_cmp_lt_i32_e64 s4, v114, v48
	v_cndmask_b32_e64 v53, 0, v53, s4
	v_cmp_lt_i32_e64 s4, v10, v48
	v_cndmask_b32_e64 v16, 0, v16, s4
	;; [unrolled: 2-line block ×8, first 2 shown]
.LBB384_3539:                           ;   in Loop: Header=BB384_2086 Depth=1
	s_or_b32 exec_lo, exec_lo, s17
	flat_load_dwordx2 v[23:24], v[20:21] offset:1536
	v_mov_b32_e32 v5, 0
	v_mov_b32_e32 v4, 0
	s_waitcnt vmcnt(0) lgkmcnt(0)
	v_cmp_ne_u16_sdwa s4, v23, v13 src0_sel:BYTE_0 src1_sel:DWORD
	s_and_saveexec_b32 s17, s4
	s_cbranch_execz .LBB384_3547
; %bb.3540:                             ;   in Loop: Header=BB384_2086 Depth=1
	v_cmp_ne_u16_sdwa s4, v23, v116 src0_sel:BYTE_0 src1_sel:DWORD
	v_bfrev_b32_e32 v4, 1
	s_and_saveexec_b32 s18, s4
	s_cbranch_execz .LBB384_3546
; %bb.3541:                             ;   in Loop: Header=BB384_2086 Depth=1
	v_and_b32_e32 v11, 0x7f, v23
	v_mov_b32_e32 v4, 0x7f800001
	s_mov_b32 s20, exec_lo
	v_cmpx_ne_u32_e32 0x7f, v11
	s_cbranch_execz .LBB384_3545
; %bb.3542:                             ;   in Loop: Header=BB384_2086 Depth=1
	v_mov_b32_e32 v29, v24
	v_lshrrev_b32_e32 v4, 3, v11
	v_mov_b32_e32 v28, v23
	s_mov_b32 s21, exec_lo
	v_cmpx_gt_u32_e32 8, v11
; %bb.3543:                             ;   in Loop: Header=BB384_2086 Depth=1
	v_and_b32_e32 v4, 7, v23
	v_ffbh_u32_e32 v4, v4
	v_min_u32_e32 v4, 32, v4
	v_subrev_nc_u32_e32 v11, 28, v4
	v_sub_nc_u32_e32 v4, 29, v4
	v_lshlrev_b64 v[28:29], v11, v[23:24]
; %bb.3544:                             ;   in Loop: Header=BB384_2086 Depth=1
	s_or_b32 exec_lo, exec_lo, s21
	v_lshlrev_b32_e32 v11, 20, v28
	v_lshlrev_b32_e32 v12, 24, v23
	v_lshl_add_u32 v4, v4, 23, 0x3c000000
	v_and_b32_e32 v11, 0x700000, v11
	v_and_b32_e32 v12, 0x80000000, v12
	v_or3_b32 v4, v11, v12, v4
.LBB384_3545:                           ;   in Loop: Header=BB384_2086 Depth=1
	s_or_b32 exec_lo, exec_lo, s20
.LBB384_3546:                           ;   in Loop: Header=BB384_2086 Depth=1
	s_or_b32 exec_lo, exec_lo, s18
.LBB384_3547:                           ;   in Loop: Header=BB384_2086 Depth=1
	s_or_b32 exec_lo, exec_lo, s17
	v_cmp_ne_u16_sdwa s4, v23, v13 src0_sel:BYTE_1 src1_sel:DWORD
	s_and_saveexec_b32 s17, s4
	s_cbranch_execz .LBB384_3555
; %bb.3548:                             ;   in Loop: Header=BB384_2086 Depth=1
	v_cmp_ne_u16_sdwa s4, v23, v116 src0_sel:BYTE_1 src1_sel:DWORD
	v_bfrev_b32_e32 v5, 1
	s_and_saveexec_b32 s18, s4
	s_cbranch_execz .LBB384_3554
; %bb.3549:                             ;   in Loop: Header=BB384_2086 Depth=1
	v_mov_b32_e32 v5, 0xffff
	s_mov_b32 s20, exec_lo
	v_and_b32_sdwa v12, v5, v23 dst_sel:DWORD dst_unused:UNUSED_PAD src0_sel:DWORD src1_sel:BYTE_1
	v_mov_b32_e32 v5, 0x7f800001
	v_and_b32_e32 v11, 0x7f, v12
	v_cmpx_ne_u32_e32 0x7f, v11
	s_cbranch_execz .LBB384_3553
; %bb.3550:                             ;   in Loop: Header=BB384_2086 Depth=1
	v_and_b32_e32 v12, 7, v12
	v_mov_b32_e32 v29, v13
	v_lshrrev_b32_e32 v5, 3, v11
	s_mov_b32 s21, exec_lo
	v_mov_b32_e32 v28, v12
	v_cmpx_gt_u32_e32 8, v11
; %bb.3551:                             ;   in Loop: Header=BB384_2086 Depth=1
	v_ffbh_u32_e32 v5, v12
	v_min_u32_e32 v5, 32, v5
	v_subrev_nc_u32_e32 v11, 28, v5
	v_sub_nc_u32_e32 v5, 29, v5
	v_lshlrev_b64 v[11:12], v11, v[12:13]
	v_and_b32_e32 v28, 7, v11
; %bb.3552:                             ;   in Loop: Header=BB384_2086 Depth=1
	s_or_b32 exec_lo, exec_lo, s21
	v_lshlrev_b32_e32 v11, 16, v23
	v_lshlrev_b32_e32 v12, 20, v28
	v_lshl_add_u32 v5, v5, 23, 0x3c000000
	v_and_b32_e32 v11, 0x80000000, v11
	v_or3_b32 v5, v12, v11, v5
.LBB384_3553:                           ;   in Loop: Header=BB384_2086 Depth=1
	s_or_b32 exec_lo, exec_lo, s20
.LBB384_3554:                           ;   in Loop: Header=BB384_2086 Depth=1
	s_or_b32 exec_lo, exec_lo, s18
.LBB384_3555:                           ;   in Loop: Header=BB384_2086 Depth=1
	s_or_b32 exec_lo, exec_lo, s17
	v_and_b32_sdwa v12, v23, v118 dst_sel:DWORD dst_unused:UNUSED_PAD src0_sel:WORD_1 src1_sel:DWORD
	v_mov_b32_e32 v17, 0
	v_mov_b32_e32 v11, 0
	s_mov_b32 s17, exec_lo
	v_cmpx_ne_u16_e32 0, v12
	s_cbranch_execz .LBB384_3563
; %bb.3556:                             ;   in Loop: Header=BB384_2086 Depth=1
	v_bfrev_b32_e32 v11, 1
	s_mov_b32 s18, exec_lo
	v_cmpx_ne_u16_e32 0x80, v12
	s_cbranch_execz .LBB384_3562
; %bb.3557:                             ;   in Loop: Header=BB384_2086 Depth=1
	v_bfe_u32 v22, v23, 16, 7
	v_mov_b32_e32 v11, 0x7f800001
	s_mov_b32 s20, exec_lo
	v_cmpx_ne_u32_e32 0x7f, v22
	s_cbranch_execz .LBB384_3561
; %bb.3558:                             ;   in Loop: Header=BB384_2086 Depth=1
	v_mov_b32_e32 v11, 7
	s_mov_b32 s21, exec_lo
	v_and_b32_sdwa v12, v23, v11 dst_sel:DWORD dst_unused:UNUSED_PAD src0_sel:WORD_1 src1_sel:DWORD
	v_mov_b32_e32 v29, v13
	v_lshrrev_b32_e32 v11, 3, v22
	v_mov_b32_e32 v28, v12
	v_cmpx_gt_u32_e32 8, v22
; %bb.3559:                             ;   in Loop: Header=BB384_2086 Depth=1
	v_ffbh_u32_e32 v11, v12
	v_min_u32_e32 v11, 32, v11
	v_subrev_nc_u32_e32 v22, 28, v11
	v_sub_nc_u32_e32 v11, 29, v11
	v_lshlrev_b64 v[28:29], v22, v[12:13]
	v_and_b32_e32 v28, 7, v28
; %bb.3560:                             ;   in Loop: Header=BB384_2086 Depth=1
	s_or_b32 exec_lo, exec_lo, s21
	v_mov_b32_e32 v12, 24
	v_lshlrev_b32_e32 v22, 20, v28
	v_lshl_add_u32 v11, v11, 23, 0x3c000000
	v_lshlrev_b32_sdwa v12, v12, v23 dst_sel:DWORD dst_unused:UNUSED_PAD src0_sel:DWORD src1_sel:WORD_1
	v_and_b32_e32 v12, 0x80000000, v12
	v_or3_b32 v11, v22, v12, v11
.LBB384_3561:                           ;   in Loop: Header=BB384_2086 Depth=1
	s_or_b32 exec_lo, exec_lo, s20
.LBB384_3562:                           ;   in Loop: Header=BB384_2086 Depth=1
	s_or_b32 exec_lo, exec_lo, s18
.LBB384_3563:                           ;   in Loop: Header=BB384_2086 Depth=1
	s_or_b32 exec_lo, exec_lo, s17
	s_mov_b32 s17, exec_lo
	v_cmpx_lt_u32_e32 0xffffff, v23
	s_cbranch_execz .LBB384_3571
; %bb.3564:                             ;   in Loop: Header=BB384_2086 Depth=1
	v_cmp_ne_u32_sdwa s4, v23, v116 src0_sel:BYTE_3 src1_sel:DWORD
	v_bfrev_b32_e32 v17, 1
	s_and_saveexec_b32 s18, s4
	s_cbranch_execz .LBB384_3570
; %bb.3565:                             ;   in Loop: Header=BB384_2086 Depth=1
	v_bfe_u32 v22, v23, 24, 7
	v_mov_b32_e32 v17, 0x7f800001
	s_mov_b32 s20, exec_lo
	v_cmpx_ne_u32_e32 0x7f, v22
	s_cbranch_execz .LBB384_3569
; %bb.3566:                             ;   in Loop: Header=BB384_2086 Depth=1
	v_mov_b32_e32 v12, 7
	v_lshrrev_b32_e32 v17, 3, v22
	s_mov_b32 s21, exec_lo
	v_and_b32_sdwa v12, v23, v12 dst_sel:DWORD dst_unused:UNUSED_PAD src0_sel:BYTE_3 src1_sel:DWORD
	v_mov_b32_e32 v29, v13
	v_mov_b32_e32 v28, v12
	v_cmpx_gt_u32_e32 8, v22
; %bb.3567:                             ;   in Loop: Header=BB384_2086 Depth=1
	v_ffbh_u32_e32 v17, v12
	v_min_u32_e32 v17, 32, v17
	v_subrev_nc_u32_e32 v22, 28, v17
	v_sub_nc_u32_e32 v17, 29, v17
	v_lshlrev_b64 v[28:29], v22, v[12:13]
	v_and_b32_e32 v28, 7, v28
; %bb.3568:                             ;   in Loop: Header=BB384_2086 Depth=1
	s_or_b32 exec_lo, exec_lo, s21
	v_mov_b32_e32 v12, 24
	v_lshlrev_b32_e32 v22, 20, v28
	v_lshl_add_u32 v17, v17, 23, 0x3c000000
	v_lshlrev_b32_sdwa v12, v12, v23 dst_sel:DWORD dst_unused:UNUSED_PAD src0_sel:DWORD src1_sel:BYTE_3
	v_and_b32_e32 v12, 0x80000000, v12
	v_or3_b32 v17, v22, v12, v17
.LBB384_3569:                           ;   in Loop: Header=BB384_2086 Depth=1
	s_or_b32 exec_lo, exec_lo, s20
.LBB384_3570:                           ;   in Loop: Header=BB384_2086 Depth=1
	s_or_b32 exec_lo, exec_lo, s18
.LBB384_3571:                           ;   in Loop: Header=BB384_2086 Depth=1
	s_or_b32 exec_lo, exec_lo, s17
	v_mov_b32_e32 v12, v24
	v_cmp_ne_u16_sdwa s4, v24, v13 src0_sel:BYTE_0 src1_sel:DWORD
	v_mov_b32_e32 v34, 0
	v_mov_b32_e32 v33, 0
	s_and_saveexec_b32 s17, s4
	s_cbranch_execz .LBB384_3579
; %bb.3572:                             ;   in Loop: Header=BB384_2086 Depth=1
	v_cmp_ne_u16_sdwa s4, v24, v116 src0_sel:BYTE_0 src1_sel:DWORD
	v_bfrev_b32_e32 v33, 1
	s_and_saveexec_b32 s18, s4
	s_cbranch_execz .LBB384_3578
; %bb.3573:                             ;   in Loop: Header=BB384_2086 Depth=1
	v_and_b32_e32 v32, 0x7f, v24
	v_mov_b32_e32 v33, 0x7f800001
	s_mov_b32 s20, exec_lo
	v_cmpx_ne_u32_e32 0x7f, v32
	s_cbranch_execz .LBB384_3577
; %bb.3574:                             ;   in Loop: Header=BB384_2086 Depth=1
	v_mov_b32_e32 v29, v13
	v_mov_b32_e32 v28, v12
	v_lshrrev_b32_e32 v22, 3, v32
	s_mov_b32 s21, exec_lo
	v_cmpx_gt_u32_e32 8, v32
; %bb.3575:                             ;   in Loop: Header=BB384_2086 Depth=1
	v_and_b32_e32 v22, 7, v24
	v_ffbh_u32_e32 v22, v22
	v_min_u32_e32 v22, 32, v22
	v_subrev_nc_u32_e32 v28, 28, v22
	v_sub_nc_u32_e32 v22, 29, v22
	v_lshlrev_b64 v[28:29], v28, v[12:13]
; %bb.3576:                             ;   in Loop: Header=BB384_2086 Depth=1
	s_or_b32 exec_lo, exec_lo, s21
	v_lshlrev_b32_e32 v28, 20, v28
	v_lshlrev_b32_e32 v29, 24, v12
	v_lshl_add_u32 v22, v22, 23, 0x3c000000
	v_and_b32_e32 v28, 0x700000, v28
	v_and_b32_e32 v29, 0x80000000, v29
	v_or3_b32 v33, v28, v29, v22
.LBB384_3577:                           ;   in Loop: Header=BB384_2086 Depth=1
	s_or_b32 exec_lo, exec_lo, s20
.LBB384_3578:                           ;   in Loop: Header=BB384_2086 Depth=1
	s_or_b32 exec_lo, exec_lo, s18
.LBB384_3579:                           ;   in Loop: Header=BB384_2086 Depth=1
	s_or_b32 exec_lo, exec_lo, s17
	v_cmp_ne_u16_sdwa s4, v12, v13 src0_sel:BYTE_1 src1_sel:DWORD
	s_and_saveexec_b32 s17, s4
	s_cbranch_execz .LBB384_3587
; %bb.3580:                             ;   in Loop: Header=BB384_2086 Depth=1
	v_cmp_ne_u16_sdwa s4, v12, v116 src0_sel:BYTE_1 src1_sel:DWORD
	v_bfrev_b32_e32 v34, 1
	s_and_saveexec_b32 s18, s4
	s_cbranch_execz .LBB384_3586
; %bb.3581:                             ;   in Loop: Header=BB384_2086 Depth=1
	v_mov_b32_e32 v22, 0xffff
	v_mov_b32_e32 v34, 0x7f800001
	s_mov_b32 s20, exec_lo
	v_and_b32_sdwa v22, v22, v12 dst_sel:DWORD dst_unused:UNUSED_PAD src0_sel:DWORD src1_sel:BYTE_1
	v_and_b32_e32 v32, 0x7f, v22
	v_cmpx_ne_u32_e32 0x7f, v32
	s_cbranch_execz .LBB384_3585
; %bb.3582:                             ;   in Loop: Header=BB384_2086 Depth=1
	v_and_b32_e32 v28, 7, v22
	v_mov_b32_e32 v29, v13
	v_lshrrev_b32_e32 v22, 3, v32
	s_mov_b32 s21, exec_lo
	v_cmpx_gt_u32_e32 8, v32
; %bb.3583:                             ;   in Loop: Header=BB384_2086 Depth=1
	v_ffbh_u32_e32 v22, v28
	v_min_u32_e32 v22, 32, v22
	v_subrev_nc_u32_e32 v32, 28, v22
	v_sub_nc_u32_e32 v22, 29, v22
	v_lshlrev_b64 v[28:29], v32, v[28:29]
	v_and_b32_e32 v28, 7, v28
; %bb.3584:                             ;   in Loop: Header=BB384_2086 Depth=1
	s_or_b32 exec_lo, exec_lo, s21
	v_lshlrev_b32_e32 v12, 16, v12
	v_lshlrev_b32_e32 v28, 20, v28
	v_lshl_add_u32 v22, v22, 23, 0x3c000000
	v_and_b32_e32 v12, 0x80000000, v12
	v_or3_b32 v34, v28, v12, v22
.LBB384_3585:                           ;   in Loop: Header=BB384_2086 Depth=1
	s_or_b32 exec_lo, exec_lo, s20
.LBB384_3586:                           ;   in Loop: Header=BB384_2086 Depth=1
	s_or_b32 exec_lo, exec_lo, s18
.LBB384_3587:                           ;   in Loop: Header=BB384_2086 Depth=1
	s_or_b32 exec_lo, exec_lo, s17
	v_and_b32_sdwa v12, v24, v118 dst_sel:DWORD dst_unused:UNUSED_PAD src0_sel:WORD_1 src1_sel:DWORD
	v_mov_b32_e32 v22, 0
	v_mov_b32_e32 v32, 0
	s_mov_b32 s17, exec_lo
	v_cmpx_ne_u16_e32 0, v12
	s_cbranch_execz .LBB384_3595
; %bb.3588:                             ;   in Loop: Header=BB384_2086 Depth=1
	v_bfrev_b32_e32 v32, 1
	s_mov_b32 s18, exec_lo
	v_cmpx_ne_u16_e32 0x80, v12
	s_cbranch_execz .LBB384_3594
; %bb.3589:                             ;   in Loop: Header=BB384_2086 Depth=1
	v_bfe_u32 v35, v24, 16, 7
	v_mov_b32_e32 v32, 0x7f800001
	s_mov_b32 s20, exec_lo
	v_cmpx_ne_u32_e32 0x7f, v35
	s_cbranch_execz .LBB384_3593
; %bb.3590:                             ;   in Loop: Header=BB384_2086 Depth=1
	v_mov_b32_e32 v12, 7
	s_mov_b32 s21, exec_lo
	v_and_b32_sdwa v12, v24, v12 dst_sel:DWORD dst_unused:UNUSED_PAD src0_sel:WORD_1 src1_sel:DWORD
	v_mov_b32_e32 v29, v13
	v_lshrrev_b32_e32 v29, 3, v35
	v_mov_b32_e32 v28, v12
	v_cmpx_gt_u32_e32 8, v35
; %bb.3591:                             ;   in Loop: Header=BB384_2086 Depth=1
	v_ffbh_u32_e32 v28, v12
	v_min_u32_e32 v32, 32, v28
	v_subrev_nc_u32_e32 v28, 28, v32
	v_lshlrev_b64 v[28:29], v28, v[12:13]
	v_sub_nc_u32_e32 v29, 29, v32
	v_and_b32_e32 v28, 7, v28
; %bb.3592:                             ;   in Loop: Header=BB384_2086 Depth=1
	s_or_b32 exec_lo, exec_lo, s21
	v_mov_b32_e32 v12, 24
	v_lshlrev_b32_e32 v28, 20, v28
	v_lshl_add_u32 v29, v29, 23, 0x3c000000
	v_lshlrev_b32_sdwa v12, v12, v24 dst_sel:DWORD dst_unused:UNUSED_PAD src0_sel:DWORD src1_sel:WORD_1
	v_and_b32_e32 v12, 0x80000000, v12
	v_or3_b32 v32, v28, v12, v29
.LBB384_3593:                           ;   in Loop: Header=BB384_2086 Depth=1
	s_or_b32 exec_lo, exec_lo, s20
.LBB384_3594:                           ;   in Loop: Header=BB384_2086 Depth=1
	s_or_b32 exec_lo, exec_lo, s18
.LBB384_3595:                           ;   in Loop: Header=BB384_2086 Depth=1
	s_or_b32 exec_lo, exec_lo, s17
	s_mov_b32 s17, exec_lo
	v_cmpx_lt_u64_e64 s[12:13], v[23:24]
	s_cbranch_execz .LBB384_3603
; %bb.3596:                             ;   in Loop: Header=BB384_2086 Depth=1
	v_cmp_ne_u32_sdwa s4, v24, v116 src0_sel:BYTE_3 src1_sel:DWORD
	v_bfrev_b32_e32 v22, 1
	s_and_saveexec_b32 s18, s4
	s_cbranch_execz .LBB384_3602
; %bb.3597:                             ;   in Loop: Header=BB384_2086 Depth=1
	v_bfe_u32 v23, v24, 24, 7
	v_mov_b32_e32 v22, 0x7f800001
	s_mov_b32 s20, exec_lo
	v_cmpx_ne_u32_e32 0x7f, v23
	s_cbranch_execz .LBB384_3601
; %bb.3598:                             ;   in Loop: Header=BB384_2086 Depth=1
	v_mov_b32_e32 v12, 7
	v_lshrrev_b32_e32 v22, 3, v23
	s_mov_b32 s21, exec_lo
	v_and_b32_sdwa v12, v24, v12 dst_sel:DWORD dst_unused:UNUSED_PAD src0_sel:BYTE_3 src1_sel:DWORD
	v_mov_b32_e32 v29, v13
	v_mov_b32_e32 v28, v12
	v_cmpx_gt_u32_e32 8, v23
; %bb.3599:                             ;   in Loop: Header=BB384_2086 Depth=1
	v_ffbh_u32_e32 v22, v12
	v_min_u32_e32 v22, 32, v22
	v_subrev_nc_u32_e32 v23, 28, v22
	v_sub_nc_u32_e32 v22, 29, v22
	v_lshlrev_b64 v[28:29], v23, v[12:13]
	v_and_b32_e32 v28, 7, v28
; %bb.3600:                             ;   in Loop: Header=BB384_2086 Depth=1
	s_or_b32 exec_lo, exec_lo, s21
	v_mov_b32_e32 v12, 24
	v_lshlrev_b32_e32 v23, 20, v28
	v_lshl_add_u32 v22, v22, 23, 0x3c000000
	v_lshlrev_b32_sdwa v12, v12, v24 dst_sel:DWORD dst_unused:UNUSED_PAD src0_sel:DWORD src1_sel:BYTE_3
	v_and_b32_e32 v12, 0x80000000, v12
	v_or3_b32 v22, v23, v12, v22
.LBB384_3601:                           ;   in Loop: Header=BB384_2086 Depth=1
	s_or_b32 exec_lo, exec_lo, s20
.LBB384_3602:                           ;   in Loop: Header=BB384_2086 Depth=1
	s_or_b32 exec_lo, exec_lo, s18
.LBB384_3603:                           ;   in Loop: Header=BB384_2086 Depth=1
	s_or_b32 exec_lo, exec_lo, s17
	v_mul_f32_e32 v12, v115, v34
	v_mul_f32_e32 v11, v115, v11
	;; [unrolled: 1-line block ×4, first 2 shown]
	v_bfe_u32 v23, v12, 16, 1
	v_or_b32_e32 v24, 0x400000, v12
	v_cmp_u_f32_e64 s4, v12, v12
	v_add3_u32 v23, v23, v12, 0x7fff
	v_cndmask_b32_e64 v12, v23, v24, s4
	v_lshrrev_b32_e32 v28, 16, v12
	v_mul_f32_e32 v12, v115, v33
	v_bfe_u32 v23, v12, 16, 1
	v_or_b32_e32 v24, 0x400000, v12
	v_cmp_u_f32_e64 s4, v12, v12
	v_add3_u32 v23, v23, v12, 0x7fff
	v_cndmask_b32_e64 v12, v23, v24, s4
	v_lshrrev_b32_e32 v29, 16, v12
	v_mul_f32_e32 v12, v115, v17
	v_bfe_u32 v17, v12, 16, 1
	v_or_b32_e32 v23, 0x400000, v12
	v_cmp_u_f32_e64 s4, v12, v12
	v_add3_u32 v17, v17, v12, 0x7fff
	v_cndmask_b32_e64 v12, v17, v23, s4
	v_or_b32_e32 v17, 0x400000, v11
	v_cmp_u_f32_e64 s4, v11, v11
	v_lshrrev_b32_e32 v51, 16, v12
	v_bfe_u32 v12, v11, 16, 1
	v_add3_u32 v12, v12, v11, 0x7fff
	v_cndmask_b32_e64 v11, v12, v17, s4
	v_or_b32_e32 v12, 0x400000, v5
	v_cmp_u_f32_e64 s4, v5, v5
	v_lshrrev_b32_e32 v52, 16, v11
	v_bfe_u32 v11, v5, 16, 1
	;; [unrolled: 6-line block ×3, first 2 shown]
	v_add3_u32 v5, v5, v4, 0x7fff
	v_cndmask_b32_e64 v4, v5, v11, s4
	v_lshrrev_b32_e32 v47, 16, v4
	v_mul_f32_e32 v4, v115, v32
	v_bfe_u32 v5, v4, 16, 1
	v_or_b32_e32 v11, 0x400000, v4
	v_cmp_u_f32_e64 s4, v4, v4
	v_add3_u32 v5, v5, v4, 0x7fff
	v_cndmask_b32_e64 v4, v5, v11, s4
	v_lshrrev_b32_e32 v45, 16, v4
	v_mul_f32_e32 v4, v115, v22
	v_bfe_u32 v5, v4, 16, 1
	v_or_b32_e32 v11, 0x400000, v4
	v_cmp_u_f32_e64 s4, v4, v4
	v_add3_u32 v5, v5, v4, 0x7fff
	v_cndmask_b32_e64 v4, v5, v11, s4
	v_lshrrev_b32_e32 v56, 16, v4
	s_and_saveexec_b32 s17, vcc_lo
	s_cbranch_execz .LBB384_3605
; %bb.3604:                             ;   in Loop: Header=BB384_2086 Depth=1
	v_cmp_lt_i32_e64 s4, v114, v48
	v_cndmask_b32_e64 v47, 0, v47, s4
	v_cmp_lt_i32_e64 s4, v10, v48
	v_cndmask_b32_e64 v46, 0, v46, s4
	v_cmp_lt_i32_e64 s4, v26, v48
	v_cndmask_b32_e64 v52, 0, v52, s4
	v_cmp_lt_i32_e64 s4, v27, v48
	v_cndmask_b32_e64 v51, 0, v51, s4
	v_cmp_lt_i32_e64 s4, v37, v48
	v_cndmask_b32_e64 v29, 0, v29, s4
	v_cmp_lt_i32_e64 s4, v43, v48
	v_cndmask_b32_e64 v28, 0, v28, s4
	v_cmp_lt_i32_e64 s4, v42, v48
	v_cndmask_b32_e64 v45, 0, v45, s4
	v_cmp_lt_i32_e64 s4, v41, v48
	v_cndmask_b32_e64 v56, 0, v56, s4
.LBB384_3605:                           ;   in Loop: Header=BB384_2086 Depth=1
	s_or_b32 exec_lo, exec_lo, s17
	flat_load_dwordx2 v[20:21], v[20:21] offset:1792
	v_mov_b32_e32 v5, 0
	v_mov_b32_e32 v4, 0
	s_waitcnt vmcnt(0) lgkmcnt(0)
	v_cmp_ne_u16_sdwa s4, v20, v13 src0_sel:BYTE_0 src1_sel:DWORD
	s_and_saveexec_b32 s17, s4
	s_cbranch_execz .LBB384_3613
; %bb.3606:                             ;   in Loop: Header=BB384_2086 Depth=1
	v_cmp_ne_u16_sdwa s4, v20, v116 src0_sel:BYTE_0 src1_sel:DWORD
	v_bfrev_b32_e32 v4, 1
	s_and_saveexec_b32 s18, s4
	s_cbranch_execz .LBB384_3612
; %bb.3607:                             ;   in Loop: Header=BB384_2086 Depth=1
	v_and_b32_e32 v11, 0x7f, v20
	v_mov_b32_e32 v4, 0x7f800001
	s_mov_b32 s20, exec_lo
	v_cmpx_ne_u32_e32 0x7f, v11
	s_cbranch_execz .LBB384_3611
; %bb.3608:                             ;   in Loop: Header=BB384_2086 Depth=1
	v_mov_b32_e32 v24, v21
	v_lshrrev_b32_e32 v4, 3, v11
	v_mov_b32_e32 v23, v20
	s_mov_b32 s21, exec_lo
	v_cmpx_gt_u32_e32 8, v11
; %bb.3609:                             ;   in Loop: Header=BB384_2086 Depth=1
	v_and_b32_e32 v4, 7, v20
	v_ffbh_u32_e32 v4, v4
	v_min_u32_e32 v4, 32, v4
	v_subrev_nc_u32_e32 v11, 28, v4
	v_sub_nc_u32_e32 v4, 29, v4
	v_lshlrev_b64 v[23:24], v11, v[20:21]
; %bb.3610:                             ;   in Loop: Header=BB384_2086 Depth=1
	s_or_b32 exec_lo, exec_lo, s21
	v_lshlrev_b32_e32 v11, 20, v23
	v_lshlrev_b32_e32 v12, 24, v20
	v_lshl_add_u32 v4, v4, 23, 0x3c000000
	v_and_b32_e32 v11, 0x700000, v11
	v_and_b32_e32 v12, 0x80000000, v12
	v_or3_b32 v4, v11, v12, v4
.LBB384_3611:                           ;   in Loop: Header=BB384_2086 Depth=1
	s_or_b32 exec_lo, exec_lo, s20
.LBB384_3612:                           ;   in Loop: Header=BB384_2086 Depth=1
	s_or_b32 exec_lo, exec_lo, s18
.LBB384_3613:                           ;   in Loop: Header=BB384_2086 Depth=1
	s_or_b32 exec_lo, exec_lo, s17
	v_cmp_ne_u16_sdwa s4, v20, v13 src0_sel:BYTE_1 src1_sel:DWORD
	s_and_saveexec_b32 s17, s4
	s_cbranch_execz .LBB384_3621
; %bb.3614:                             ;   in Loop: Header=BB384_2086 Depth=1
	v_cmp_ne_u16_sdwa s4, v20, v116 src0_sel:BYTE_1 src1_sel:DWORD
	v_bfrev_b32_e32 v5, 1
	s_and_saveexec_b32 s18, s4
	s_cbranch_execz .LBB384_3620
; %bb.3615:                             ;   in Loop: Header=BB384_2086 Depth=1
	v_mov_b32_e32 v5, 0xffff
	s_mov_b32 s20, exec_lo
	v_and_b32_sdwa v12, v5, v20 dst_sel:DWORD dst_unused:UNUSED_PAD src0_sel:DWORD src1_sel:BYTE_1
	v_mov_b32_e32 v5, 0x7f800001
	v_and_b32_e32 v11, 0x7f, v12
	v_cmpx_ne_u32_e32 0x7f, v11
	s_cbranch_execz .LBB384_3619
; %bb.3616:                             ;   in Loop: Header=BB384_2086 Depth=1
	v_and_b32_e32 v12, 7, v12
	v_mov_b32_e32 v24, v13
	v_lshrrev_b32_e32 v5, 3, v11
	s_mov_b32 s21, exec_lo
	v_mov_b32_e32 v23, v12
	v_cmpx_gt_u32_e32 8, v11
; %bb.3617:                             ;   in Loop: Header=BB384_2086 Depth=1
	v_ffbh_u32_e32 v5, v12
	v_min_u32_e32 v5, 32, v5
	v_subrev_nc_u32_e32 v11, 28, v5
	v_sub_nc_u32_e32 v5, 29, v5
	v_lshlrev_b64 v[11:12], v11, v[12:13]
	v_and_b32_e32 v23, 7, v11
; %bb.3618:                             ;   in Loop: Header=BB384_2086 Depth=1
	s_or_b32 exec_lo, exec_lo, s21
	v_lshlrev_b32_e32 v11, 16, v20
	v_lshlrev_b32_e32 v12, 20, v23
	v_lshl_add_u32 v5, v5, 23, 0x3c000000
	v_and_b32_e32 v11, 0x80000000, v11
	v_or3_b32 v5, v12, v11, v5
.LBB384_3619:                           ;   in Loop: Header=BB384_2086 Depth=1
	s_or_b32 exec_lo, exec_lo, s20
.LBB384_3620:                           ;   in Loop: Header=BB384_2086 Depth=1
	s_or_b32 exec_lo, exec_lo, s18
.LBB384_3621:                           ;   in Loop: Header=BB384_2086 Depth=1
	s_or_b32 exec_lo, exec_lo, s17
	v_and_b32_sdwa v12, v20, v118 dst_sel:DWORD dst_unused:UNUSED_PAD src0_sel:WORD_1 src1_sel:DWORD
	v_mov_b32_e32 v17, 0
	v_mov_b32_e32 v11, 0
	s_mov_b32 s17, exec_lo
	v_cmpx_ne_u16_e32 0, v12
	s_cbranch_execz .LBB384_3629
; %bb.3622:                             ;   in Loop: Header=BB384_2086 Depth=1
	v_bfrev_b32_e32 v11, 1
	s_mov_b32 s18, exec_lo
	v_cmpx_ne_u16_e32 0x80, v12
	s_cbranch_execz .LBB384_3628
; %bb.3623:                             ;   in Loop: Header=BB384_2086 Depth=1
	v_bfe_u32 v22, v20, 16, 7
	v_mov_b32_e32 v11, 0x7f800001
	s_mov_b32 s20, exec_lo
	v_cmpx_ne_u32_e32 0x7f, v22
	s_cbranch_execz .LBB384_3627
; %bb.3624:                             ;   in Loop: Header=BB384_2086 Depth=1
	v_mov_b32_e32 v11, 7
	s_mov_b32 s21, exec_lo
	v_and_b32_sdwa v12, v20, v11 dst_sel:DWORD dst_unused:UNUSED_PAD src0_sel:WORD_1 src1_sel:DWORD
	v_mov_b32_e32 v24, v13
	v_lshrrev_b32_e32 v11, 3, v22
	v_mov_b32_e32 v23, v12
	v_cmpx_gt_u32_e32 8, v22
; %bb.3625:                             ;   in Loop: Header=BB384_2086 Depth=1
	v_ffbh_u32_e32 v11, v12
	v_min_u32_e32 v11, 32, v11
	v_subrev_nc_u32_e32 v22, 28, v11
	v_sub_nc_u32_e32 v11, 29, v11
	v_lshlrev_b64 v[22:23], v22, v[12:13]
	v_and_b32_e32 v23, 7, v22
; %bb.3626:                             ;   in Loop: Header=BB384_2086 Depth=1
	s_or_b32 exec_lo, exec_lo, s21
	v_mov_b32_e32 v12, 24
	v_lshlrev_b32_e32 v22, 20, v23
	v_lshl_add_u32 v11, v11, 23, 0x3c000000
	v_lshlrev_b32_sdwa v12, v12, v20 dst_sel:DWORD dst_unused:UNUSED_PAD src0_sel:DWORD src1_sel:WORD_1
	v_and_b32_e32 v12, 0x80000000, v12
	v_or3_b32 v11, v22, v12, v11
.LBB384_3627:                           ;   in Loop: Header=BB384_2086 Depth=1
	s_or_b32 exec_lo, exec_lo, s20
.LBB384_3628:                           ;   in Loop: Header=BB384_2086 Depth=1
	s_or_b32 exec_lo, exec_lo, s18
.LBB384_3629:                           ;   in Loop: Header=BB384_2086 Depth=1
	s_or_b32 exec_lo, exec_lo, s17
	s_mov_b32 s17, exec_lo
	v_cmpx_lt_u32_e32 0xffffff, v20
	s_cbranch_execz .LBB384_3637
; %bb.3630:                             ;   in Loop: Header=BB384_2086 Depth=1
	v_cmp_ne_u32_sdwa s4, v20, v116 src0_sel:BYTE_3 src1_sel:DWORD
	v_bfrev_b32_e32 v17, 1
	s_and_saveexec_b32 s18, s4
	s_cbranch_execz .LBB384_3636
; %bb.3631:                             ;   in Loop: Header=BB384_2086 Depth=1
	v_bfe_u32 v22, v20, 24, 7
	v_mov_b32_e32 v17, 0x7f800001
	s_mov_b32 s20, exec_lo
	v_cmpx_ne_u32_e32 0x7f, v22
	s_cbranch_execz .LBB384_3635
; %bb.3632:                             ;   in Loop: Header=BB384_2086 Depth=1
	v_mov_b32_e32 v12, 7
	v_lshrrev_b32_e32 v17, 3, v22
	s_mov_b32 s21, exec_lo
	v_and_b32_sdwa v12, v20, v12 dst_sel:DWORD dst_unused:UNUSED_PAD src0_sel:BYTE_3 src1_sel:DWORD
	v_mov_b32_e32 v24, v13
	v_mov_b32_e32 v23, v12
	v_cmpx_gt_u32_e32 8, v22
; %bb.3633:                             ;   in Loop: Header=BB384_2086 Depth=1
	v_ffbh_u32_e32 v17, v12
	v_min_u32_e32 v17, 32, v17
	v_subrev_nc_u32_e32 v22, 28, v17
	v_sub_nc_u32_e32 v17, 29, v17
	v_lshlrev_b64 v[22:23], v22, v[12:13]
	v_and_b32_e32 v23, 7, v22
; %bb.3634:                             ;   in Loop: Header=BB384_2086 Depth=1
	s_or_b32 exec_lo, exec_lo, s21
	v_mov_b32_e32 v12, 24
	v_lshlrev_b32_e32 v22, 20, v23
	v_lshl_add_u32 v17, v17, 23, 0x3c000000
	v_lshlrev_b32_sdwa v12, v12, v20 dst_sel:DWORD dst_unused:UNUSED_PAD src0_sel:DWORD src1_sel:BYTE_3
	v_and_b32_e32 v12, 0x80000000, v12
	v_or3_b32 v17, v22, v12, v17
.LBB384_3635:                           ;   in Loop: Header=BB384_2086 Depth=1
	s_or_b32 exec_lo, exec_lo, s20
.LBB384_3636:                           ;   in Loop: Header=BB384_2086 Depth=1
	s_or_b32 exec_lo, exec_lo, s18
.LBB384_3637:                           ;   in Loop: Header=BB384_2086 Depth=1
	s_or_b32 exec_lo, exec_lo, s17
	v_mov_b32_e32 v12, v21
	v_cmp_ne_u16_sdwa s4, v21, v13 src0_sel:BYTE_0 src1_sel:DWORD
	v_mov_b32_e32 v34, 0
	v_mov_b32_e32 v33, 0
	s_and_saveexec_b32 s17, s4
	s_cbranch_execz .LBB384_3645
; %bb.3638:                             ;   in Loop: Header=BB384_2086 Depth=1
	v_cmp_ne_u16_sdwa s4, v21, v116 src0_sel:BYTE_0 src1_sel:DWORD
	v_bfrev_b32_e32 v33, 1
	s_and_saveexec_b32 s18, s4
	s_cbranch_execz .LBB384_3644
; %bb.3639:                             ;   in Loop: Header=BB384_2086 Depth=1
	v_and_b32_e32 v32, 0x7f, v21
	v_mov_b32_e32 v33, 0x7f800001
	s_mov_b32 s20, exec_lo
	v_cmpx_ne_u32_e32 0x7f, v32
	s_cbranch_execz .LBB384_3643
; %bb.3640:                             ;   in Loop: Header=BB384_2086 Depth=1
	v_mov_b32_e32 v24, v13
	v_mov_b32_e32 v23, v12
	v_lshrrev_b32_e32 v22, 3, v32
	s_mov_b32 s21, exec_lo
	v_cmpx_gt_u32_e32 8, v32
; %bb.3641:                             ;   in Loop: Header=BB384_2086 Depth=1
	v_and_b32_e32 v22, 7, v21
	v_ffbh_u32_e32 v22, v22
	v_min_u32_e32 v22, 32, v22
	v_subrev_nc_u32_e32 v23, 28, v22
	v_sub_nc_u32_e32 v22, 29, v22
	v_lshlrev_b64 v[23:24], v23, v[12:13]
; %bb.3642:                             ;   in Loop: Header=BB384_2086 Depth=1
	s_or_b32 exec_lo, exec_lo, s21
	v_lshlrev_b32_e32 v23, 20, v23
	v_lshlrev_b32_e32 v24, 24, v12
	v_lshl_add_u32 v22, v22, 23, 0x3c000000
	v_and_b32_e32 v23, 0x700000, v23
	v_and_b32_e32 v24, 0x80000000, v24
	v_or3_b32 v33, v23, v24, v22
.LBB384_3643:                           ;   in Loop: Header=BB384_2086 Depth=1
	s_or_b32 exec_lo, exec_lo, s20
.LBB384_3644:                           ;   in Loop: Header=BB384_2086 Depth=1
	s_or_b32 exec_lo, exec_lo, s18
.LBB384_3645:                           ;   in Loop: Header=BB384_2086 Depth=1
	s_or_b32 exec_lo, exec_lo, s17
	v_cmp_ne_u16_sdwa s4, v12, v13 src0_sel:BYTE_1 src1_sel:DWORD
	s_and_saveexec_b32 s17, s4
	s_cbranch_execz .LBB384_3653
; %bb.3646:                             ;   in Loop: Header=BB384_2086 Depth=1
	v_cmp_ne_u16_sdwa s4, v12, v116 src0_sel:BYTE_1 src1_sel:DWORD
	v_bfrev_b32_e32 v34, 1
	s_and_saveexec_b32 s18, s4
	s_cbranch_execz .LBB384_3652
; %bb.3647:                             ;   in Loop: Header=BB384_2086 Depth=1
	v_mov_b32_e32 v22, 0xffff
	v_mov_b32_e32 v34, 0x7f800001
	s_mov_b32 s20, exec_lo
	v_and_b32_sdwa v22, v22, v12 dst_sel:DWORD dst_unused:UNUSED_PAD src0_sel:DWORD src1_sel:BYTE_1
	v_and_b32_e32 v32, 0x7f, v22
	v_cmpx_ne_u32_e32 0x7f, v32
	s_cbranch_execz .LBB384_3651
; %bb.3648:                             ;   in Loop: Header=BB384_2086 Depth=1
	v_and_b32_e32 v23, 7, v22
	v_mov_b32_e32 v24, v13
	v_lshrrev_b32_e32 v22, 3, v32
	s_mov_b32 s21, exec_lo
	v_cmpx_gt_u32_e32 8, v32
; %bb.3649:                             ;   in Loop: Header=BB384_2086 Depth=1
	v_ffbh_u32_e32 v22, v23
	v_min_u32_e32 v22, 32, v22
	v_subrev_nc_u32_e32 v32, 28, v22
	v_sub_nc_u32_e32 v22, 29, v22
	v_lshlrev_b64 v[23:24], v32, v[23:24]
	v_and_b32_e32 v23, 7, v23
; %bb.3650:                             ;   in Loop: Header=BB384_2086 Depth=1
	s_or_b32 exec_lo, exec_lo, s21
	v_lshlrev_b32_e32 v12, 16, v12
	v_lshlrev_b32_e32 v23, 20, v23
	v_lshl_add_u32 v22, v22, 23, 0x3c000000
	v_and_b32_e32 v12, 0x80000000, v12
	v_or3_b32 v34, v23, v12, v22
.LBB384_3651:                           ;   in Loop: Header=BB384_2086 Depth=1
	s_or_b32 exec_lo, exec_lo, s20
.LBB384_3652:                           ;   in Loop: Header=BB384_2086 Depth=1
	s_or_b32 exec_lo, exec_lo, s18
.LBB384_3653:                           ;   in Loop: Header=BB384_2086 Depth=1
	s_or_b32 exec_lo, exec_lo, s17
	v_and_b32_sdwa v12, v21, v118 dst_sel:DWORD dst_unused:UNUSED_PAD src0_sel:WORD_1 src1_sel:DWORD
	v_mov_b32_e32 v22, 0
	v_mov_b32_e32 v32, 0
	s_mov_b32 s17, exec_lo
	v_cmpx_ne_u16_e32 0, v12
	s_cbranch_execz .LBB384_3661
; %bb.3654:                             ;   in Loop: Header=BB384_2086 Depth=1
	v_bfrev_b32_e32 v32, 1
	s_mov_b32 s18, exec_lo
	v_cmpx_ne_u16_e32 0x80, v12
	s_cbranch_execz .LBB384_3660
; %bb.3655:                             ;   in Loop: Header=BB384_2086 Depth=1
	v_bfe_u32 v35, v21, 16, 7
	v_mov_b32_e32 v32, 0x7f800001
	s_mov_b32 s20, exec_lo
	v_cmpx_ne_u32_e32 0x7f, v35
	s_cbranch_execz .LBB384_3659
; %bb.3656:                             ;   in Loop: Header=BB384_2086 Depth=1
	v_mov_b32_e32 v12, 7
	s_mov_b32 s21, exec_lo
	v_and_b32_sdwa v12, v21, v12 dst_sel:DWORD dst_unused:UNUSED_PAD src0_sel:WORD_1 src1_sel:DWORD
	v_mov_b32_e32 v24, v13
	v_lshrrev_b32_e32 v24, 3, v35
	v_mov_b32_e32 v23, v12
	v_cmpx_gt_u32_e32 8, v35
; %bb.3657:                             ;   in Loop: Header=BB384_2086 Depth=1
	v_ffbh_u32_e32 v23, v12
	v_min_u32_e32 v32, 32, v23
	v_subrev_nc_u32_e32 v23, 28, v32
	v_lshlrev_b64 v[23:24], v23, v[12:13]
	v_sub_nc_u32_e32 v24, 29, v32
	v_and_b32_e32 v23, 7, v23
; %bb.3658:                             ;   in Loop: Header=BB384_2086 Depth=1
	s_or_b32 exec_lo, exec_lo, s21
	v_mov_b32_e32 v12, 24
	v_lshlrev_b32_e32 v23, 20, v23
	v_lshl_add_u32 v24, v24, 23, 0x3c000000
	v_lshlrev_b32_sdwa v12, v12, v21 dst_sel:DWORD dst_unused:UNUSED_PAD src0_sel:DWORD src1_sel:WORD_1
	v_and_b32_e32 v12, 0x80000000, v12
	v_or3_b32 v32, v23, v12, v24
.LBB384_3659:                           ;   in Loop: Header=BB384_2086 Depth=1
	s_or_b32 exec_lo, exec_lo, s20
.LBB384_3660:                           ;   in Loop: Header=BB384_2086 Depth=1
	s_or_b32 exec_lo, exec_lo, s18
.LBB384_3661:                           ;   in Loop: Header=BB384_2086 Depth=1
	s_or_b32 exec_lo, exec_lo, s17
	s_mov_b32 s17, exec_lo
	v_cmpx_lt_u64_e64 s[12:13], v[20:21]
	s_cbranch_execz .LBB384_3669
; %bb.3662:                             ;   in Loop: Header=BB384_2086 Depth=1
	v_cmp_ne_u32_sdwa s4, v21, v116 src0_sel:BYTE_3 src1_sel:DWORD
	v_bfrev_b32_e32 v22, 1
	s_and_saveexec_b32 s18, s4
	s_cbranch_execz .LBB384_3668
; %bb.3663:                             ;   in Loop: Header=BB384_2086 Depth=1
	v_bfe_u32 v35, v21, 24, 7
	v_mov_b32_e32 v22, 0x7f800001
	s_mov_b32 s20, exec_lo
	v_cmpx_ne_u32_e32 0x7f, v35
	s_cbranch_execz .LBB384_3667
; %bb.3664:                             ;   in Loop: Header=BB384_2086 Depth=1
	v_mov_b32_e32 v12, 7
	v_lshrrev_b32_e32 v20, 3, v35
	s_mov_b32 s21, exec_lo
	v_and_b32_sdwa v12, v21, v12 dst_sel:DWORD dst_unused:UNUSED_PAD src0_sel:BYTE_3 src1_sel:DWORD
	v_mov_b32_e32 v24, v13
	v_mov_b32_e32 v23, v12
	v_cmpx_gt_u32_e32 8, v35
; %bb.3665:                             ;   in Loop: Header=BB384_2086 Depth=1
	v_ffbh_u32_e32 v20, v12
	v_min_u32_e32 v20, 32, v20
	v_subrev_nc_u32_e32 v22, 28, v20
	v_sub_nc_u32_e32 v20, 29, v20
	v_lshlrev_b64 v[22:23], v22, v[12:13]
	v_and_b32_e32 v23, 7, v22
; %bb.3666:                             ;   in Loop: Header=BB384_2086 Depth=1
	s_or_b32 exec_lo, exec_lo, s21
	v_mov_b32_e32 v12, 24
	v_lshl_add_u32 v20, v20, 23, 0x3c000000
	v_lshlrev_b32_sdwa v12, v12, v21 dst_sel:DWORD dst_unused:UNUSED_PAD src0_sel:DWORD src1_sel:BYTE_3
	v_lshlrev_b32_e32 v21, 20, v23
	v_and_b32_e32 v12, 0x80000000, v12
	v_or3_b32 v22, v21, v12, v20
.LBB384_3667:                           ;   in Loop: Header=BB384_2086 Depth=1
	s_or_b32 exec_lo, exec_lo, s20
.LBB384_3668:                           ;   in Loop: Header=BB384_2086 Depth=1
	s_or_b32 exec_lo, exec_lo, s18
.LBB384_3669:                           ;   in Loop: Header=BB384_2086 Depth=1
	s_or_b32 exec_lo, exec_lo, s17
	v_mul_f32_e32 v12, v115, v34
	v_mul_f32_e32 v11, v115, v11
	;; [unrolled: 1-line block ×4, first 2 shown]
	v_bfe_u32 v20, v12, 16, 1
	v_or_b32_e32 v21, 0x400000, v12
	v_cmp_u_f32_e64 s4, v12, v12
	v_add3_u32 v20, v20, v12, 0x7fff
	v_cndmask_b32_e64 v12, v20, v21, s4
	v_lshrrev_b32_e32 v57, 16, v12
	v_mul_f32_e32 v12, v115, v33
	v_bfe_u32 v20, v12, 16, 1
	v_or_b32_e32 v21, 0x400000, v12
	v_cmp_u_f32_e64 s4, v12, v12
	v_add3_u32 v20, v20, v12, 0x7fff
	v_cndmask_b32_e64 v12, v20, v21, s4
	v_lshrrev_b32_e32 v58, 16, v12
	v_mul_f32_e32 v12, v115, v17
	v_bfe_u32 v17, v12, 16, 1
	v_or_b32_e32 v20, 0x400000, v12
	v_cmp_u_f32_e64 s4, v12, v12
	v_add3_u32 v17, v17, v12, 0x7fff
	v_cndmask_b32_e64 v12, v17, v20, s4
	v_or_b32_e32 v17, 0x400000, v11
	v_cmp_u_f32_e64 s4, v11, v11
	v_lshrrev_b32_e32 v59, 16, v12
	v_bfe_u32 v12, v11, 16, 1
	v_add3_u32 v12, v12, v11, 0x7fff
	v_cndmask_b32_e64 v11, v12, v17, s4
	v_or_b32_e32 v12, 0x400000, v5
	v_cmp_u_f32_e64 s4, v5, v5
	v_lshrrev_b32_e32 v60, 16, v11
	v_bfe_u32 v11, v5, 16, 1
	;; [unrolled: 6-line block ×3, first 2 shown]
	v_add3_u32 v5, v5, v4, 0x7fff
	v_cndmask_b32_e64 v4, v5, v11, s4
	v_lshrrev_b32_e32 v63, 16, v4
	v_mul_f32_e32 v4, v115, v32
	v_bfe_u32 v5, v4, 16, 1
	v_or_b32_e32 v11, 0x400000, v4
	v_cmp_u_f32_e64 s4, v4, v4
	v_add3_u32 v5, v5, v4, 0x7fff
	v_cndmask_b32_e64 v4, v5, v11, s4
	v_lshrrev_b32_e32 v61, 16, v4
	v_mul_f32_e32 v4, v115, v22
	v_bfe_u32 v5, v4, 16, 1
	v_or_b32_e32 v11, 0x400000, v4
	v_cmp_u_f32_e64 s4, v4, v4
	v_add3_u32 v5, v5, v4, 0x7fff
	v_cndmask_b32_e64 v4, v5, v11, s4
	v_lshrrev_b32_e32 v72, 16, v4
	s_and_saveexec_b32 s17, vcc_lo
	s_cbranch_execz .LBB384_3671
; %bb.3670:                             ;   in Loop: Header=BB384_2086 Depth=1
	v_cmp_lt_i32_e64 s4, v114, v48
	v_cndmask_b32_e64 v63, 0, v63, s4
	v_cmp_lt_i32_e64 s4, v10, v48
	v_cndmask_b32_e64 v62, 0, v62, s4
	;; [unrolled: 2-line block ×8, first 2 shown]
.LBB384_3671:                           ;   in Loop: Header=BB384_2086 Depth=1
	s_or_b32 exec_lo, exec_lo, s17
	v_add_co_u32 v18, s4, 0x1800, v18
	v_add_co_ci_u32_e64 v19, null, 0, v19, s4
	v_mov_b32_e32 v5, 0
	v_mov_b32_e32 v4, 0
	flat_load_dwordx2 v[20:21], v[18:19]
	s_waitcnt vmcnt(0) lgkmcnt(0)
	v_cmp_ne_u16_sdwa s4, v20, v13 src0_sel:BYTE_0 src1_sel:DWORD
	s_and_saveexec_b32 s17, s4
	s_cbranch_execz .LBB384_3679
; %bb.3672:                             ;   in Loop: Header=BB384_2086 Depth=1
	v_cmp_ne_u16_sdwa s4, v20, v116 src0_sel:BYTE_0 src1_sel:DWORD
	v_bfrev_b32_e32 v4, 1
	s_and_saveexec_b32 s18, s4
	s_cbranch_execz .LBB384_3678
; %bb.3673:                             ;   in Loop: Header=BB384_2086 Depth=1
	v_and_b32_e32 v11, 0x7f, v20
	v_mov_b32_e32 v4, 0x7f800001
	s_mov_b32 s20, exec_lo
	v_cmpx_ne_u32_e32 0x7f, v11
	s_cbranch_execz .LBB384_3677
; %bb.3674:                             ;   in Loop: Header=BB384_2086 Depth=1
	v_mov_b32_e32 v24, v21
	v_lshrrev_b32_e32 v4, 3, v11
	v_mov_b32_e32 v23, v20
	s_mov_b32 s21, exec_lo
	v_cmpx_gt_u32_e32 8, v11
; %bb.3675:                             ;   in Loop: Header=BB384_2086 Depth=1
	v_and_b32_e32 v4, 7, v20
	v_ffbh_u32_e32 v4, v4
	v_min_u32_e32 v4, 32, v4
	v_subrev_nc_u32_e32 v11, 28, v4
	v_sub_nc_u32_e32 v4, 29, v4
	v_lshlrev_b64 v[23:24], v11, v[20:21]
; %bb.3676:                             ;   in Loop: Header=BB384_2086 Depth=1
	s_or_b32 exec_lo, exec_lo, s21
	v_lshlrev_b32_e32 v11, 20, v23
	v_lshlrev_b32_e32 v12, 24, v20
	v_lshl_add_u32 v4, v4, 23, 0x3c000000
	v_and_b32_e32 v11, 0x700000, v11
	v_and_b32_e32 v12, 0x80000000, v12
	v_or3_b32 v4, v11, v12, v4
.LBB384_3677:                           ;   in Loop: Header=BB384_2086 Depth=1
	s_or_b32 exec_lo, exec_lo, s20
.LBB384_3678:                           ;   in Loop: Header=BB384_2086 Depth=1
	s_or_b32 exec_lo, exec_lo, s18
.LBB384_3679:                           ;   in Loop: Header=BB384_2086 Depth=1
	s_or_b32 exec_lo, exec_lo, s17
	v_cmp_ne_u16_sdwa s4, v20, v13 src0_sel:BYTE_1 src1_sel:DWORD
	s_and_saveexec_b32 s17, s4
	s_cbranch_execz .LBB384_3687
; %bb.3680:                             ;   in Loop: Header=BB384_2086 Depth=1
	v_cmp_ne_u16_sdwa s4, v20, v116 src0_sel:BYTE_1 src1_sel:DWORD
	v_bfrev_b32_e32 v5, 1
	s_and_saveexec_b32 s18, s4
	s_cbranch_execz .LBB384_3686
; %bb.3681:                             ;   in Loop: Header=BB384_2086 Depth=1
	v_mov_b32_e32 v5, 0xffff
	s_mov_b32 s20, exec_lo
	v_and_b32_sdwa v12, v5, v20 dst_sel:DWORD dst_unused:UNUSED_PAD src0_sel:DWORD src1_sel:BYTE_1
	v_mov_b32_e32 v5, 0x7f800001
	v_and_b32_e32 v11, 0x7f, v12
	v_cmpx_ne_u32_e32 0x7f, v11
	s_cbranch_execz .LBB384_3685
; %bb.3682:                             ;   in Loop: Header=BB384_2086 Depth=1
	v_and_b32_e32 v12, 7, v12
	v_mov_b32_e32 v24, v13
	v_lshrrev_b32_e32 v5, 3, v11
	s_mov_b32 s21, exec_lo
	v_mov_b32_e32 v23, v12
	v_cmpx_gt_u32_e32 8, v11
; %bb.3683:                             ;   in Loop: Header=BB384_2086 Depth=1
	v_ffbh_u32_e32 v5, v12
	v_min_u32_e32 v5, 32, v5
	v_subrev_nc_u32_e32 v11, 28, v5
	v_sub_nc_u32_e32 v5, 29, v5
	v_lshlrev_b64 v[11:12], v11, v[12:13]
	v_and_b32_e32 v23, 7, v11
; %bb.3684:                             ;   in Loop: Header=BB384_2086 Depth=1
	s_or_b32 exec_lo, exec_lo, s21
	v_lshlrev_b32_e32 v11, 16, v20
	v_lshlrev_b32_e32 v12, 20, v23
	v_lshl_add_u32 v5, v5, 23, 0x3c000000
	v_and_b32_e32 v11, 0x80000000, v11
	v_or3_b32 v5, v12, v11, v5
.LBB384_3685:                           ;   in Loop: Header=BB384_2086 Depth=1
	s_or_b32 exec_lo, exec_lo, s20
.LBB384_3686:                           ;   in Loop: Header=BB384_2086 Depth=1
	s_or_b32 exec_lo, exec_lo, s18
.LBB384_3687:                           ;   in Loop: Header=BB384_2086 Depth=1
	s_or_b32 exec_lo, exec_lo, s17
	v_and_b32_sdwa v12, v20, v118 dst_sel:DWORD dst_unused:UNUSED_PAD src0_sel:WORD_1 src1_sel:DWORD
	v_mov_b32_e32 v17, 0
	v_mov_b32_e32 v11, 0
	s_mov_b32 s17, exec_lo
	v_cmpx_ne_u16_e32 0, v12
	s_cbranch_execz .LBB384_3695
; %bb.3688:                             ;   in Loop: Header=BB384_2086 Depth=1
	v_bfrev_b32_e32 v11, 1
	s_mov_b32 s18, exec_lo
	v_cmpx_ne_u16_e32 0x80, v12
	s_cbranch_execz .LBB384_3694
; %bb.3689:                             ;   in Loop: Header=BB384_2086 Depth=1
	v_bfe_u32 v22, v20, 16, 7
	v_mov_b32_e32 v11, 0x7f800001
	s_mov_b32 s20, exec_lo
	v_cmpx_ne_u32_e32 0x7f, v22
	s_cbranch_execz .LBB384_3693
; %bb.3690:                             ;   in Loop: Header=BB384_2086 Depth=1
	v_mov_b32_e32 v11, 7
	s_mov_b32 s21, exec_lo
	v_and_b32_sdwa v12, v20, v11 dst_sel:DWORD dst_unused:UNUSED_PAD src0_sel:WORD_1 src1_sel:DWORD
	v_mov_b32_e32 v24, v13
	v_lshrrev_b32_e32 v11, 3, v22
	v_mov_b32_e32 v23, v12
	v_cmpx_gt_u32_e32 8, v22
; %bb.3691:                             ;   in Loop: Header=BB384_2086 Depth=1
	v_ffbh_u32_e32 v11, v12
	v_min_u32_e32 v11, 32, v11
	v_subrev_nc_u32_e32 v22, 28, v11
	v_sub_nc_u32_e32 v11, 29, v11
	v_lshlrev_b64 v[22:23], v22, v[12:13]
	v_and_b32_e32 v23, 7, v22
; %bb.3692:                             ;   in Loop: Header=BB384_2086 Depth=1
	s_or_b32 exec_lo, exec_lo, s21
	v_mov_b32_e32 v12, 24
	v_lshlrev_b32_e32 v22, 20, v23
	v_lshl_add_u32 v11, v11, 23, 0x3c000000
	v_lshlrev_b32_sdwa v12, v12, v20 dst_sel:DWORD dst_unused:UNUSED_PAD src0_sel:DWORD src1_sel:WORD_1
	v_and_b32_e32 v12, 0x80000000, v12
	v_or3_b32 v11, v22, v12, v11
.LBB384_3693:                           ;   in Loop: Header=BB384_2086 Depth=1
	s_or_b32 exec_lo, exec_lo, s20
.LBB384_3694:                           ;   in Loop: Header=BB384_2086 Depth=1
	s_or_b32 exec_lo, exec_lo, s18
.LBB384_3695:                           ;   in Loop: Header=BB384_2086 Depth=1
	s_or_b32 exec_lo, exec_lo, s17
	s_mov_b32 s17, exec_lo
	v_cmpx_lt_u32_e32 0xffffff, v20
	s_cbranch_execz .LBB384_3703
; %bb.3696:                             ;   in Loop: Header=BB384_2086 Depth=1
	v_cmp_ne_u32_sdwa s4, v20, v116 src0_sel:BYTE_3 src1_sel:DWORD
	v_bfrev_b32_e32 v17, 1
	s_and_saveexec_b32 s18, s4
	s_cbranch_execz .LBB384_3702
; %bb.3697:                             ;   in Loop: Header=BB384_2086 Depth=1
	v_bfe_u32 v22, v20, 24, 7
	v_mov_b32_e32 v17, 0x7f800001
	s_mov_b32 s20, exec_lo
	v_cmpx_ne_u32_e32 0x7f, v22
	s_cbranch_execz .LBB384_3701
; %bb.3698:                             ;   in Loop: Header=BB384_2086 Depth=1
	v_mov_b32_e32 v12, 7
	v_lshrrev_b32_e32 v17, 3, v22
	s_mov_b32 s21, exec_lo
	v_and_b32_sdwa v12, v20, v12 dst_sel:DWORD dst_unused:UNUSED_PAD src0_sel:BYTE_3 src1_sel:DWORD
	v_mov_b32_e32 v24, v13
	v_mov_b32_e32 v23, v12
	v_cmpx_gt_u32_e32 8, v22
; %bb.3699:                             ;   in Loop: Header=BB384_2086 Depth=1
	v_ffbh_u32_e32 v17, v12
	v_min_u32_e32 v17, 32, v17
	v_subrev_nc_u32_e32 v22, 28, v17
	v_sub_nc_u32_e32 v17, 29, v17
	v_lshlrev_b64 v[22:23], v22, v[12:13]
	v_and_b32_e32 v23, 7, v22
; %bb.3700:                             ;   in Loop: Header=BB384_2086 Depth=1
	s_or_b32 exec_lo, exec_lo, s21
	v_mov_b32_e32 v12, 24
	v_lshlrev_b32_e32 v22, 20, v23
	v_lshl_add_u32 v17, v17, 23, 0x3c000000
	v_lshlrev_b32_sdwa v12, v12, v20 dst_sel:DWORD dst_unused:UNUSED_PAD src0_sel:DWORD src1_sel:BYTE_3
	v_and_b32_e32 v12, 0x80000000, v12
	v_or3_b32 v17, v22, v12, v17
.LBB384_3701:                           ;   in Loop: Header=BB384_2086 Depth=1
	s_or_b32 exec_lo, exec_lo, s20
.LBB384_3702:                           ;   in Loop: Header=BB384_2086 Depth=1
	s_or_b32 exec_lo, exec_lo, s18
.LBB384_3703:                           ;   in Loop: Header=BB384_2086 Depth=1
	s_or_b32 exec_lo, exec_lo, s17
	v_mov_b32_e32 v12, v21
	v_cmp_ne_u16_sdwa s4, v21, v13 src0_sel:BYTE_0 src1_sel:DWORD
	v_mov_b32_e32 v34, 0
	v_mov_b32_e32 v33, 0
	s_and_saveexec_b32 s17, s4
	s_cbranch_execz .LBB384_3711
; %bb.3704:                             ;   in Loop: Header=BB384_2086 Depth=1
	v_cmp_ne_u16_sdwa s4, v21, v116 src0_sel:BYTE_0 src1_sel:DWORD
	v_bfrev_b32_e32 v33, 1
	s_and_saveexec_b32 s18, s4
	s_cbranch_execz .LBB384_3710
; %bb.3705:                             ;   in Loop: Header=BB384_2086 Depth=1
	v_and_b32_e32 v32, 0x7f, v21
	v_mov_b32_e32 v33, 0x7f800001
	s_mov_b32 s20, exec_lo
	v_cmpx_ne_u32_e32 0x7f, v32
	s_cbranch_execz .LBB384_3709
; %bb.3706:                             ;   in Loop: Header=BB384_2086 Depth=1
	v_mov_b32_e32 v24, v13
	v_mov_b32_e32 v23, v12
	v_lshrrev_b32_e32 v22, 3, v32
	s_mov_b32 s21, exec_lo
	v_cmpx_gt_u32_e32 8, v32
; %bb.3707:                             ;   in Loop: Header=BB384_2086 Depth=1
	v_and_b32_e32 v22, 7, v21
	v_ffbh_u32_e32 v22, v22
	v_min_u32_e32 v22, 32, v22
	v_subrev_nc_u32_e32 v23, 28, v22
	v_sub_nc_u32_e32 v22, 29, v22
	v_lshlrev_b64 v[23:24], v23, v[12:13]
; %bb.3708:                             ;   in Loop: Header=BB384_2086 Depth=1
	s_or_b32 exec_lo, exec_lo, s21
	v_lshlrev_b32_e32 v23, 20, v23
	v_lshlrev_b32_e32 v24, 24, v12
	v_lshl_add_u32 v22, v22, 23, 0x3c000000
	v_and_b32_e32 v23, 0x700000, v23
	v_and_b32_e32 v24, 0x80000000, v24
	v_or3_b32 v33, v23, v24, v22
.LBB384_3709:                           ;   in Loop: Header=BB384_2086 Depth=1
	s_or_b32 exec_lo, exec_lo, s20
.LBB384_3710:                           ;   in Loop: Header=BB384_2086 Depth=1
	s_or_b32 exec_lo, exec_lo, s18
.LBB384_3711:                           ;   in Loop: Header=BB384_2086 Depth=1
	s_or_b32 exec_lo, exec_lo, s17
	v_cmp_ne_u16_sdwa s4, v12, v13 src0_sel:BYTE_1 src1_sel:DWORD
	s_and_saveexec_b32 s17, s4
	s_cbranch_execz .LBB384_3719
; %bb.3712:                             ;   in Loop: Header=BB384_2086 Depth=1
	v_cmp_ne_u16_sdwa s4, v12, v116 src0_sel:BYTE_1 src1_sel:DWORD
	v_bfrev_b32_e32 v34, 1
	s_and_saveexec_b32 s18, s4
	s_cbranch_execz .LBB384_3718
; %bb.3713:                             ;   in Loop: Header=BB384_2086 Depth=1
	v_mov_b32_e32 v22, 0xffff
	v_mov_b32_e32 v34, 0x7f800001
	s_mov_b32 s20, exec_lo
	v_and_b32_sdwa v22, v22, v12 dst_sel:DWORD dst_unused:UNUSED_PAD src0_sel:DWORD src1_sel:BYTE_1
	v_and_b32_e32 v32, 0x7f, v22
	v_cmpx_ne_u32_e32 0x7f, v32
	s_cbranch_execz .LBB384_3717
; %bb.3714:                             ;   in Loop: Header=BB384_2086 Depth=1
	v_and_b32_e32 v23, 7, v22
	v_mov_b32_e32 v24, v13
	v_lshrrev_b32_e32 v22, 3, v32
	s_mov_b32 s21, exec_lo
	v_cmpx_gt_u32_e32 8, v32
; %bb.3715:                             ;   in Loop: Header=BB384_2086 Depth=1
	v_ffbh_u32_e32 v22, v23
	v_min_u32_e32 v22, 32, v22
	v_subrev_nc_u32_e32 v32, 28, v22
	v_sub_nc_u32_e32 v22, 29, v22
	v_lshlrev_b64 v[23:24], v32, v[23:24]
	v_and_b32_e32 v23, 7, v23
; %bb.3716:                             ;   in Loop: Header=BB384_2086 Depth=1
	s_or_b32 exec_lo, exec_lo, s21
	v_lshlrev_b32_e32 v12, 16, v12
	v_lshlrev_b32_e32 v23, 20, v23
	v_lshl_add_u32 v22, v22, 23, 0x3c000000
	v_and_b32_e32 v12, 0x80000000, v12
	v_or3_b32 v34, v23, v12, v22
.LBB384_3717:                           ;   in Loop: Header=BB384_2086 Depth=1
	s_or_b32 exec_lo, exec_lo, s20
.LBB384_3718:                           ;   in Loop: Header=BB384_2086 Depth=1
	s_or_b32 exec_lo, exec_lo, s18
.LBB384_3719:                           ;   in Loop: Header=BB384_2086 Depth=1
	s_or_b32 exec_lo, exec_lo, s17
	v_and_b32_sdwa v12, v21, v118 dst_sel:DWORD dst_unused:UNUSED_PAD src0_sel:WORD_1 src1_sel:DWORD
	v_mov_b32_e32 v22, 0
	v_mov_b32_e32 v32, 0
	s_mov_b32 s17, exec_lo
	v_cmpx_ne_u16_e32 0, v12
	s_cbranch_execz .LBB384_3727
; %bb.3720:                             ;   in Loop: Header=BB384_2086 Depth=1
	v_bfrev_b32_e32 v32, 1
	s_mov_b32 s18, exec_lo
	v_cmpx_ne_u16_e32 0x80, v12
	s_cbranch_execz .LBB384_3726
; %bb.3721:                             ;   in Loop: Header=BB384_2086 Depth=1
	v_bfe_u32 v35, v21, 16, 7
	v_mov_b32_e32 v32, 0x7f800001
	s_mov_b32 s20, exec_lo
	v_cmpx_ne_u32_e32 0x7f, v35
	s_cbranch_execz .LBB384_3725
; %bb.3722:                             ;   in Loop: Header=BB384_2086 Depth=1
	v_mov_b32_e32 v12, 7
	s_mov_b32 s21, exec_lo
	v_and_b32_sdwa v12, v21, v12 dst_sel:DWORD dst_unused:UNUSED_PAD src0_sel:WORD_1 src1_sel:DWORD
	v_mov_b32_e32 v24, v13
	v_lshrrev_b32_e32 v24, 3, v35
	v_mov_b32_e32 v23, v12
	v_cmpx_gt_u32_e32 8, v35
; %bb.3723:                             ;   in Loop: Header=BB384_2086 Depth=1
	v_ffbh_u32_e32 v23, v12
	v_min_u32_e32 v32, 32, v23
	v_subrev_nc_u32_e32 v23, 28, v32
	v_lshlrev_b64 v[23:24], v23, v[12:13]
	v_sub_nc_u32_e32 v24, 29, v32
	v_and_b32_e32 v23, 7, v23
; %bb.3724:                             ;   in Loop: Header=BB384_2086 Depth=1
	s_or_b32 exec_lo, exec_lo, s21
	v_mov_b32_e32 v12, 24
	v_lshlrev_b32_e32 v23, 20, v23
	v_lshl_add_u32 v24, v24, 23, 0x3c000000
	v_lshlrev_b32_sdwa v12, v12, v21 dst_sel:DWORD dst_unused:UNUSED_PAD src0_sel:DWORD src1_sel:WORD_1
	v_and_b32_e32 v12, 0x80000000, v12
	v_or3_b32 v32, v23, v12, v24
.LBB384_3725:                           ;   in Loop: Header=BB384_2086 Depth=1
	s_or_b32 exec_lo, exec_lo, s20
.LBB384_3726:                           ;   in Loop: Header=BB384_2086 Depth=1
	s_or_b32 exec_lo, exec_lo, s18
.LBB384_3727:                           ;   in Loop: Header=BB384_2086 Depth=1
	s_or_b32 exec_lo, exec_lo, s17
	s_mov_b32 s17, exec_lo
	v_cmpx_lt_u64_e64 s[12:13], v[20:21]
	s_cbranch_execz .LBB384_3735
; %bb.3728:                             ;   in Loop: Header=BB384_2086 Depth=1
	v_cmp_ne_u32_sdwa s4, v21, v116 src0_sel:BYTE_3 src1_sel:DWORD
	v_bfrev_b32_e32 v22, 1
	s_and_saveexec_b32 s18, s4
	s_cbranch_execz .LBB384_3734
; %bb.3729:                             ;   in Loop: Header=BB384_2086 Depth=1
	v_bfe_u32 v35, v21, 24, 7
	v_mov_b32_e32 v22, 0x7f800001
	s_mov_b32 s20, exec_lo
	v_cmpx_ne_u32_e32 0x7f, v35
	s_cbranch_execz .LBB384_3733
; %bb.3730:                             ;   in Loop: Header=BB384_2086 Depth=1
	v_mov_b32_e32 v12, 7
	v_lshrrev_b32_e32 v20, 3, v35
	s_mov_b32 s21, exec_lo
	v_and_b32_sdwa v12, v21, v12 dst_sel:DWORD dst_unused:UNUSED_PAD src0_sel:BYTE_3 src1_sel:DWORD
	v_mov_b32_e32 v24, v13
	v_mov_b32_e32 v23, v12
	v_cmpx_gt_u32_e32 8, v35
; %bb.3731:                             ;   in Loop: Header=BB384_2086 Depth=1
	v_ffbh_u32_e32 v20, v12
	v_min_u32_e32 v20, 32, v20
	v_subrev_nc_u32_e32 v22, 28, v20
	v_sub_nc_u32_e32 v20, 29, v20
	v_lshlrev_b64 v[22:23], v22, v[12:13]
	v_and_b32_e32 v23, 7, v22
; %bb.3732:                             ;   in Loop: Header=BB384_2086 Depth=1
	s_or_b32 exec_lo, exec_lo, s21
	v_mov_b32_e32 v12, 24
	v_lshl_add_u32 v20, v20, 23, 0x3c000000
	v_lshlrev_b32_sdwa v12, v12, v21 dst_sel:DWORD dst_unused:UNUSED_PAD src0_sel:DWORD src1_sel:BYTE_3
	v_lshlrev_b32_e32 v21, 20, v23
	v_and_b32_e32 v12, 0x80000000, v12
	v_or3_b32 v22, v21, v12, v20
.LBB384_3733:                           ;   in Loop: Header=BB384_2086 Depth=1
	s_or_b32 exec_lo, exec_lo, s20
.LBB384_3734:                           ;   in Loop: Header=BB384_2086 Depth=1
	s_or_b32 exec_lo, exec_lo, s18
.LBB384_3735:                           ;   in Loop: Header=BB384_2086 Depth=1
	s_or_b32 exec_lo, exec_lo, s17
	v_mul_f32_e32 v12, v115, v34
	v_mul_f32_e32 v11, v115, v11
	;; [unrolled: 1-line block ×4, first 2 shown]
	v_bfe_u32 v20, v12, 16, 1
	v_or_b32_e32 v21, 0x400000, v12
	v_cmp_u_f32_e64 s4, v12, v12
	v_add3_u32 v20, v20, v12, 0x7fff
	v_cndmask_b32_e64 v12, v20, v21, s4
	v_lshrrev_b32_e32 v73, 16, v12
	v_mul_f32_e32 v12, v115, v33
	v_bfe_u32 v20, v12, 16, 1
	v_or_b32_e32 v21, 0x400000, v12
	v_cmp_u_f32_e64 s4, v12, v12
	v_add3_u32 v20, v20, v12, 0x7fff
	v_cndmask_b32_e64 v12, v20, v21, s4
	v_lshrrev_b32_e32 v74, 16, v12
	v_mul_f32_e32 v12, v115, v17
	v_bfe_u32 v17, v12, 16, 1
	v_or_b32_e32 v20, 0x400000, v12
	v_cmp_u_f32_e64 s4, v12, v12
	v_add3_u32 v17, v17, v12, 0x7fff
	v_cndmask_b32_e64 v12, v17, v20, s4
	v_or_b32_e32 v17, 0x400000, v11
	v_cmp_u_f32_e64 s4, v11, v11
	v_lshrrev_b32_e32 v75, 16, v12
	v_bfe_u32 v12, v11, 16, 1
	v_add3_u32 v12, v12, v11, 0x7fff
	v_cndmask_b32_e64 v11, v12, v17, s4
	v_or_b32_e32 v12, 0x400000, v5
	v_cmp_u_f32_e64 s4, v5, v5
	v_lshrrev_b32_e32 v76, 16, v11
	v_bfe_u32 v11, v5, 16, 1
	;; [unrolled: 6-line block ×3, first 2 shown]
	v_add3_u32 v5, v5, v4, 0x7fff
	v_cndmask_b32_e64 v4, v5, v11, s4
	v_lshrrev_b32_e32 v79, 16, v4
	v_mul_f32_e32 v4, v115, v32
	v_bfe_u32 v5, v4, 16, 1
	v_or_b32_e32 v11, 0x400000, v4
	v_cmp_u_f32_e64 s4, v4, v4
	v_add3_u32 v5, v5, v4, 0x7fff
	v_cndmask_b32_e64 v4, v5, v11, s4
	v_lshrrev_b32_e32 v77, 16, v4
	v_mul_f32_e32 v4, v115, v22
	v_bfe_u32 v5, v4, 16, 1
	v_or_b32_e32 v11, 0x400000, v4
	v_cmp_u_f32_e64 s4, v4, v4
	v_add3_u32 v5, v5, v4, 0x7fff
	v_cndmask_b32_e64 v4, v5, v11, s4
	v_lshrrev_b32_e32 v88, 16, v4
	s_and_saveexec_b32 s17, vcc_lo
	s_cbranch_execz .LBB384_3737
; %bb.3736:                             ;   in Loop: Header=BB384_2086 Depth=1
	v_cmp_lt_i32_e64 s4, v114, v48
	v_cndmask_b32_e64 v79, 0, v79, s4
	v_cmp_lt_i32_e64 s4, v10, v48
	v_cndmask_b32_e64 v78, 0, v78, s4
	;; [unrolled: 2-line block ×8, first 2 shown]
.LBB384_3737:                           ;   in Loop: Header=BB384_2086 Depth=1
	s_or_b32 exec_lo, exec_lo, s17
	flat_load_dwordx2 v[20:21], v[18:19] offset:256
	v_mov_b32_e32 v5, 0
	v_mov_b32_e32 v4, 0
	s_waitcnt vmcnt(0) lgkmcnt(0)
	v_cmp_ne_u16_sdwa s4, v20, v13 src0_sel:BYTE_0 src1_sel:DWORD
	s_and_saveexec_b32 s17, s4
	s_cbranch_execz .LBB384_3745
; %bb.3738:                             ;   in Loop: Header=BB384_2086 Depth=1
	v_cmp_ne_u16_sdwa s4, v20, v116 src0_sel:BYTE_0 src1_sel:DWORD
	v_bfrev_b32_e32 v4, 1
	s_and_saveexec_b32 s18, s4
	s_cbranch_execz .LBB384_3744
; %bb.3739:                             ;   in Loop: Header=BB384_2086 Depth=1
	v_and_b32_e32 v11, 0x7f, v20
	v_mov_b32_e32 v4, 0x7f800001
	s_mov_b32 s20, exec_lo
	v_cmpx_ne_u32_e32 0x7f, v11
	s_cbranch_execz .LBB384_3743
; %bb.3740:                             ;   in Loop: Header=BB384_2086 Depth=1
	v_mov_b32_e32 v24, v21
	v_lshrrev_b32_e32 v4, 3, v11
	v_mov_b32_e32 v23, v20
	s_mov_b32 s21, exec_lo
	v_cmpx_gt_u32_e32 8, v11
; %bb.3741:                             ;   in Loop: Header=BB384_2086 Depth=1
	v_and_b32_e32 v4, 7, v20
	v_ffbh_u32_e32 v4, v4
	v_min_u32_e32 v4, 32, v4
	v_subrev_nc_u32_e32 v11, 28, v4
	v_sub_nc_u32_e32 v4, 29, v4
	v_lshlrev_b64 v[23:24], v11, v[20:21]
; %bb.3742:                             ;   in Loop: Header=BB384_2086 Depth=1
	s_or_b32 exec_lo, exec_lo, s21
	v_lshlrev_b32_e32 v11, 20, v23
	v_lshlrev_b32_e32 v12, 24, v20
	v_lshl_add_u32 v4, v4, 23, 0x3c000000
	v_and_b32_e32 v11, 0x700000, v11
	v_and_b32_e32 v12, 0x80000000, v12
	v_or3_b32 v4, v11, v12, v4
.LBB384_3743:                           ;   in Loop: Header=BB384_2086 Depth=1
	s_or_b32 exec_lo, exec_lo, s20
.LBB384_3744:                           ;   in Loop: Header=BB384_2086 Depth=1
	s_or_b32 exec_lo, exec_lo, s18
.LBB384_3745:                           ;   in Loop: Header=BB384_2086 Depth=1
	s_or_b32 exec_lo, exec_lo, s17
	v_cmp_ne_u16_sdwa s4, v20, v13 src0_sel:BYTE_1 src1_sel:DWORD
	s_and_saveexec_b32 s17, s4
	s_cbranch_execz .LBB384_3753
; %bb.3746:                             ;   in Loop: Header=BB384_2086 Depth=1
	v_cmp_ne_u16_sdwa s4, v20, v116 src0_sel:BYTE_1 src1_sel:DWORD
	v_bfrev_b32_e32 v5, 1
	s_and_saveexec_b32 s18, s4
	s_cbranch_execz .LBB384_3752
; %bb.3747:                             ;   in Loop: Header=BB384_2086 Depth=1
	v_mov_b32_e32 v5, 0xffff
	s_mov_b32 s20, exec_lo
	v_and_b32_sdwa v12, v5, v20 dst_sel:DWORD dst_unused:UNUSED_PAD src0_sel:DWORD src1_sel:BYTE_1
	v_mov_b32_e32 v5, 0x7f800001
	v_and_b32_e32 v11, 0x7f, v12
	v_cmpx_ne_u32_e32 0x7f, v11
	s_cbranch_execz .LBB384_3751
; %bb.3748:                             ;   in Loop: Header=BB384_2086 Depth=1
	v_and_b32_e32 v12, 7, v12
	v_mov_b32_e32 v24, v13
	v_lshrrev_b32_e32 v5, 3, v11
	s_mov_b32 s21, exec_lo
	v_mov_b32_e32 v23, v12
	v_cmpx_gt_u32_e32 8, v11
; %bb.3749:                             ;   in Loop: Header=BB384_2086 Depth=1
	v_ffbh_u32_e32 v5, v12
	v_min_u32_e32 v5, 32, v5
	v_subrev_nc_u32_e32 v11, 28, v5
	v_sub_nc_u32_e32 v5, 29, v5
	v_lshlrev_b64 v[11:12], v11, v[12:13]
	v_and_b32_e32 v23, 7, v11
; %bb.3750:                             ;   in Loop: Header=BB384_2086 Depth=1
	s_or_b32 exec_lo, exec_lo, s21
	v_lshlrev_b32_e32 v11, 16, v20
	v_lshlrev_b32_e32 v12, 20, v23
	v_lshl_add_u32 v5, v5, 23, 0x3c000000
	v_and_b32_e32 v11, 0x80000000, v11
	v_or3_b32 v5, v12, v11, v5
.LBB384_3751:                           ;   in Loop: Header=BB384_2086 Depth=1
	s_or_b32 exec_lo, exec_lo, s20
.LBB384_3752:                           ;   in Loop: Header=BB384_2086 Depth=1
	s_or_b32 exec_lo, exec_lo, s18
.LBB384_3753:                           ;   in Loop: Header=BB384_2086 Depth=1
	s_or_b32 exec_lo, exec_lo, s17
	v_and_b32_sdwa v12, v20, v118 dst_sel:DWORD dst_unused:UNUSED_PAD src0_sel:WORD_1 src1_sel:DWORD
	v_mov_b32_e32 v17, 0
	v_mov_b32_e32 v11, 0
	s_mov_b32 s17, exec_lo
	v_cmpx_ne_u16_e32 0, v12
	s_cbranch_execz .LBB384_3761
; %bb.3754:                             ;   in Loop: Header=BB384_2086 Depth=1
	v_bfrev_b32_e32 v11, 1
	s_mov_b32 s18, exec_lo
	v_cmpx_ne_u16_e32 0x80, v12
	s_cbranch_execz .LBB384_3760
; %bb.3755:                             ;   in Loop: Header=BB384_2086 Depth=1
	v_bfe_u32 v22, v20, 16, 7
	v_mov_b32_e32 v11, 0x7f800001
	s_mov_b32 s20, exec_lo
	v_cmpx_ne_u32_e32 0x7f, v22
	s_cbranch_execz .LBB384_3759
; %bb.3756:                             ;   in Loop: Header=BB384_2086 Depth=1
	v_mov_b32_e32 v11, 7
	s_mov_b32 s21, exec_lo
	v_and_b32_sdwa v12, v20, v11 dst_sel:DWORD dst_unused:UNUSED_PAD src0_sel:WORD_1 src1_sel:DWORD
	v_mov_b32_e32 v24, v13
	v_lshrrev_b32_e32 v11, 3, v22
	v_mov_b32_e32 v23, v12
	v_cmpx_gt_u32_e32 8, v22
; %bb.3757:                             ;   in Loop: Header=BB384_2086 Depth=1
	v_ffbh_u32_e32 v11, v12
	v_min_u32_e32 v11, 32, v11
	v_subrev_nc_u32_e32 v22, 28, v11
	v_sub_nc_u32_e32 v11, 29, v11
	v_lshlrev_b64 v[22:23], v22, v[12:13]
	v_and_b32_e32 v23, 7, v22
; %bb.3758:                             ;   in Loop: Header=BB384_2086 Depth=1
	s_or_b32 exec_lo, exec_lo, s21
	v_mov_b32_e32 v12, 24
	v_lshlrev_b32_e32 v22, 20, v23
	v_lshl_add_u32 v11, v11, 23, 0x3c000000
	v_lshlrev_b32_sdwa v12, v12, v20 dst_sel:DWORD dst_unused:UNUSED_PAD src0_sel:DWORD src1_sel:WORD_1
	v_and_b32_e32 v12, 0x80000000, v12
	v_or3_b32 v11, v22, v12, v11
.LBB384_3759:                           ;   in Loop: Header=BB384_2086 Depth=1
	s_or_b32 exec_lo, exec_lo, s20
.LBB384_3760:                           ;   in Loop: Header=BB384_2086 Depth=1
	s_or_b32 exec_lo, exec_lo, s18
.LBB384_3761:                           ;   in Loop: Header=BB384_2086 Depth=1
	s_or_b32 exec_lo, exec_lo, s17
	s_mov_b32 s17, exec_lo
	v_cmpx_lt_u32_e32 0xffffff, v20
	s_cbranch_execz .LBB384_3769
; %bb.3762:                             ;   in Loop: Header=BB384_2086 Depth=1
	v_cmp_ne_u32_sdwa s4, v20, v116 src0_sel:BYTE_3 src1_sel:DWORD
	v_bfrev_b32_e32 v17, 1
	s_and_saveexec_b32 s18, s4
	s_cbranch_execz .LBB384_3768
; %bb.3763:                             ;   in Loop: Header=BB384_2086 Depth=1
	v_bfe_u32 v22, v20, 24, 7
	v_mov_b32_e32 v17, 0x7f800001
	s_mov_b32 s20, exec_lo
	v_cmpx_ne_u32_e32 0x7f, v22
	s_cbranch_execz .LBB384_3767
; %bb.3764:                             ;   in Loop: Header=BB384_2086 Depth=1
	v_mov_b32_e32 v12, 7
	v_lshrrev_b32_e32 v17, 3, v22
	s_mov_b32 s21, exec_lo
	v_and_b32_sdwa v12, v20, v12 dst_sel:DWORD dst_unused:UNUSED_PAD src0_sel:BYTE_3 src1_sel:DWORD
	v_mov_b32_e32 v24, v13
	v_mov_b32_e32 v23, v12
	v_cmpx_gt_u32_e32 8, v22
; %bb.3765:                             ;   in Loop: Header=BB384_2086 Depth=1
	v_ffbh_u32_e32 v17, v12
	v_min_u32_e32 v17, 32, v17
	v_subrev_nc_u32_e32 v22, 28, v17
	v_sub_nc_u32_e32 v17, 29, v17
	v_lshlrev_b64 v[22:23], v22, v[12:13]
	v_and_b32_e32 v23, 7, v22
; %bb.3766:                             ;   in Loop: Header=BB384_2086 Depth=1
	s_or_b32 exec_lo, exec_lo, s21
	v_mov_b32_e32 v12, 24
	v_lshlrev_b32_e32 v22, 20, v23
	v_lshl_add_u32 v17, v17, 23, 0x3c000000
	v_lshlrev_b32_sdwa v12, v12, v20 dst_sel:DWORD dst_unused:UNUSED_PAD src0_sel:DWORD src1_sel:BYTE_3
	v_and_b32_e32 v12, 0x80000000, v12
	v_or3_b32 v17, v22, v12, v17
.LBB384_3767:                           ;   in Loop: Header=BB384_2086 Depth=1
	s_or_b32 exec_lo, exec_lo, s20
.LBB384_3768:                           ;   in Loop: Header=BB384_2086 Depth=1
	s_or_b32 exec_lo, exec_lo, s18
.LBB384_3769:                           ;   in Loop: Header=BB384_2086 Depth=1
	s_or_b32 exec_lo, exec_lo, s17
	v_mov_b32_e32 v12, v21
	v_cmp_ne_u16_sdwa s4, v21, v13 src0_sel:BYTE_0 src1_sel:DWORD
	v_mov_b32_e32 v34, 0
	v_mov_b32_e32 v33, 0
	s_and_saveexec_b32 s17, s4
	s_cbranch_execz .LBB384_3777
; %bb.3770:                             ;   in Loop: Header=BB384_2086 Depth=1
	v_cmp_ne_u16_sdwa s4, v21, v116 src0_sel:BYTE_0 src1_sel:DWORD
	v_bfrev_b32_e32 v33, 1
	s_and_saveexec_b32 s18, s4
	s_cbranch_execz .LBB384_3776
; %bb.3771:                             ;   in Loop: Header=BB384_2086 Depth=1
	v_and_b32_e32 v32, 0x7f, v21
	v_mov_b32_e32 v33, 0x7f800001
	s_mov_b32 s20, exec_lo
	v_cmpx_ne_u32_e32 0x7f, v32
	s_cbranch_execz .LBB384_3775
; %bb.3772:                             ;   in Loop: Header=BB384_2086 Depth=1
	v_mov_b32_e32 v24, v13
	v_mov_b32_e32 v23, v12
	v_lshrrev_b32_e32 v22, 3, v32
	s_mov_b32 s21, exec_lo
	v_cmpx_gt_u32_e32 8, v32
; %bb.3773:                             ;   in Loop: Header=BB384_2086 Depth=1
	v_and_b32_e32 v22, 7, v21
	v_ffbh_u32_e32 v22, v22
	v_min_u32_e32 v22, 32, v22
	v_subrev_nc_u32_e32 v23, 28, v22
	v_sub_nc_u32_e32 v22, 29, v22
	v_lshlrev_b64 v[23:24], v23, v[12:13]
; %bb.3774:                             ;   in Loop: Header=BB384_2086 Depth=1
	s_or_b32 exec_lo, exec_lo, s21
	v_lshlrev_b32_e32 v23, 20, v23
	v_lshlrev_b32_e32 v24, 24, v12
	v_lshl_add_u32 v22, v22, 23, 0x3c000000
	v_and_b32_e32 v23, 0x700000, v23
	v_and_b32_e32 v24, 0x80000000, v24
	v_or3_b32 v33, v23, v24, v22
.LBB384_3775:                           ;   in Loop: Header=BB384_2086 Depth=1
	s_or_b32 exec_lo, exec_lo, s20
.LBB384_3776:                           ;   in Loop: Header=BB384_2086 Depth=1
	s_or_b32 exec_lo, exec_lo, s18
.LBB384_3777:                           ;   in Loop: Header=BB384_2086 Depth=1
	s_or_b32 exec_lo, exec_lo, s17
	v_cmp_ne_u16_sdwa s4, v12, v13 src0_sel:BYTE_1 src1_sel:DWORD
	s_and_saveexec_b32 s17, s4
	s_cbranch_execz .LBB384_3785
; %bb.3778:                             ;   in Loop: Header=BB384_2086 Depth=1
	v_cmp_ne_u16_sdwa s4, v12, v116 src0_sel:BYTE_1 src1_sel:DWORD
	v_bfrev_b32_e32 v34, 1
	s_and_saveexec_b32 s18, s4
	s_cbranch_execz .LBB384_3784
; %bb.3779:                             ;   in Loop: Header=BB384_2086 Depth=1
	v_mov_b32_e32 v22, 0xffff
	v_mov_b32_e32 v34, 0x7f800001
	s_mov_b32 s20, exec_lo
	v_and_b32_sdwa v22, v22, v12 dst_sel:DWORD dst_unused:UNUSED_PAD src0_sel:DWORD src1_sel:BYTE_1
	v_and_b32_e32 v32, 0x7f, v22
	v_cmpx_ne_u32_e32 0x7f, v32
	s_cbranch_execz .LBB384_3783
; %bb.3780:                             ;   in Loop: Header=BB384_2086 Depth=1
	v_and_b32_e32 v23, 7, v22
	v_mov_b32_e32 v24, v13
	v_lshrrev_b32_e32 v22, 3, v32
	s_mov_b32 s21, exec_lo
	v_cmpx_gt_u32_e32 8, v32
; %bb.3781:                             ;   in Loop: Header=BB384_2086 Depth=1
	v_ffbh_u32_e32 v22, v23
	v_min_u32_e32 v22, 32, v22
	v_subrev_nc_u32_e32 v32, 28, v22
	v_sub_nc_u32_e32 v22, 29, v22
	v_lshlrev_b64 v[23:24], v32, v[23:24]
	v_and_b32_e32 v23, 7, v23
; %bb.3782:                             ;   in Loop: Header=BB384_2086 Depth=1
	s_or_b32 exec_lo, exec_lo, s21
	v_lshlrev_b32_e32 v12, 16, v12
	v_lshlrev_b32_e32 v23, 20, v23
	v_lshl_add_u32 v22, v22, 23, 0x3c000000
	v_and_b32_e32 v12, 0x80000000, v12
	v_or3_b32 v34, v23, v12, v22
.LBB384_3783:                           ;   in Loop: Header=BB384_2086 Depth=1
	s_or_b32 exec_lo, exec_lo, s20
.LBB384_3784:                           ;   in Loop: Header=BB384_2086 Depth=1
	s_or_b32 exec_lo, exec_lo, s18
.LBB384_3785:                           ;   in Loop: Header=BB384_2086 Depth=1
	s_or_b32 exec_lo, exec_lo, s17
	v_and_b32_sdwa v12, v21, v118 dst_sel:DWORD dst_unused:UNUSED_PAD src0_sel:WORD_1 src1_sel:DWORD
	v_mov_b32_e32 v22, 0
	v_mov_b32_e32 v32, 0
	s_mov_b32 s17, exec_lo
	v_cmpx_ne_u16_e32 0, v12
	s_cbranch_execz .LBB384_3793
; %bb.3786:                             ;   in Loop: Header=BB384_2086 Depth=1
	v_bfrev_b32_e32 v32, 1
	s_mov_b32 s18, exec_lo
	v_cmpx_ne_u16_e32 0x80, v12
	s_cbranch_execz .LBB384_3792
; %bb.3787:                             ;   in Loop: Header=BB384_2086 Depth=1
	v_bfe_u32 v35, v21, 16, 7
	v_mov_b32_e32 v32, 0x7f800001
	s_mov_b32 s20, exec_lo
	v_cmpx_ne_u32_e32 0x7f, v35
	s_cbranch_execz .LBB384_3791
; %bb.3788:                             ;   in Loop: Header=BB384_2086 Depth=1
	v_mov_b32_e32 v12, 7
	s_mov_b32 s21, exec_lo
	v_and_b32_sdwa v12, v21, v12 dst_sel:DWORD dst_unused:UNUSED_PAD src0_sel:WORD_1 src1_sel:DWORD
	v_mov_b32_e32 v24, v13
	v_lshrrev_b32_e32 v24, 3, v35
	v_mov_b32_e32 v23, v12
	v_cmpx_gt_u32_e32 8, v35
; %bb.3789:                             ;   in Loop: Header=BB384_2086 Depth=1
	v_ffbh_u32_e32 v23, v12
	v_min_u32_e32 v32, 32, v23
	v_subrev_nc_u32_e32 v23, 28, v32
	v_lshlrev_b64 v[23:24], v23, v[12:13]
	v_sub_nc_u32_e32 v24, 29, v32
	v_and_b32_e32 v23, 7, v23
; %bb.3790:                             ;   in Loop: Header=BB384_2086 Depth=1
	s_or_b32 exec_lo, exec_lo, s21
	v_mov_b32_e32 v12, 24
	v_lshlrev_b32_e32 v23, 20, v23
	v_lshl_add_u32 v24, v24, 23, 0x3c000000
	v_lshlrev_b32_sdwa v12, v12, v21 dst_sel:DWORD dst_unused:UNUSED_PAD src0_sel:DWORD src1_sel:WORD_1
	v_and_b32_e32 v12, 0x80000000, v12
	v_or3_b32 v32, v23, v12, v24
.LBB384_3791:                           ;   in Loop: Header=BB384_2086 Depth=1
	s_or_b32 exec_lo, exec_lo, s20
.LBB384_3792:                           ;   in Loop: Header=BB384_2086 Depth=1
	s_or_b32 exec_lo, exec_lo, s18
.LBB384_3793:                           ;   in Loop: Header=BB384_2086 Depth=1
	s_or_b32 exec_lo, exec_lo, s17
	s_mov_b32 s17, exec_lo
	v_cmpx_lt_u64_e64 s[12:13], v[20:21]
	s_cbranch_execz .LBB384_3801
; %bb.3794:                             ;   in Loop: Header=BB384_2086 Depth=1
	v_cmp_ne_u32_sdwa s4, v21, v116 src0_sel:BYTE_3 src1_sel:DWORD
	v_bfrev_b32_e32 v22, 1
	s_and_saveexec_b32 s18, s4
	s_cbranch_execz .LBB384_3800
; %bb.3795:                             ;   in Loop: Header=BB384_2086 Depth=1
	v_bfe_u32 v35, v21, 24, 7
	v_mov_b32_e32 v22, 0x7f800001
	s_mov_b32 s20, exec_lo
	v_cmpx_ne_u32_e32 0x7f, v35
	s_cbranch_execz .LBB384_3799
; %bb.3796:                             ;   in Loop: Header=BB384_2086 Depth=1
	v_mov_b32_e32 v12, 7
	v_lshrrev_b32_e32 v20, 3, v35
	s_mov_b32 s21, exec_lo
	v_and_b32_sdwa v12, v21, v12 dst_sel:DWORD dst_unused:UNUSED_PAD src0_sel:BYTE_3 src1_sel:DWORD
	v_mov_b32_e32 v24, v13
	v_mov_b32_e32 v23, v12
	v_cmpx_gt_u32_e32 8, v35
; %bb.3797:                             ;   in Loop: Header=BB384_2086 Depth=1
	v_ffbh_u32_e32 v20, v12
	v_min_u32_e32 v20, 32, v20
	v_subrev_nc_u32_e32 v22, 28, v20
	v_sub_nc_u32_e32 v20, 29, v20
	v_lshlrev_b64 v[22:23], v22, v[12:13]
	v_and_b32_e32 v23, 7, v22
; %bb.3798:                             ;   in Loop: Header=BB384_2086 Depth=1
	s_or_b32 exec_lo, exec_lo, s21
	v_mov_b32_e32 v12, 24
	v_lshl_add_u32 v20, v20, 23, 0x3c000000
	v_lshlrev_b32_sdwa v12, v12, v21 dst_sel:DWORD dst_unused:UNUSED_PAD src0_sel:DWORD src1_sel:BYTE_3
	v_lshlrev_b32_e32 v21, 20, v23
	v_and_b32_e32 v12, 0x80000000, v12
	v_or3_b32 v22, v21, v12, v20
.LBB384_3799:                           ;   in Loop: Header=BB384_2086 Depth=1
	s_or_b32 exec_lo, exec_lo, s20
.LBB384_3800:                           ;   in Loop: Header=BB384_2086 Depth=1
	s_or_b32 exec_lo, exec_lo, s18
.LBB384_3801:                           ;   in Loop: Header=BB384_2086 Depth=1
	s_or_b32 exec_lo, exec_lo, s17
	v_mul_f32_e32 v12, v115, v34
	v_mul_f32_e32 v11, v115, v11
	;; [unrolled: 1-line block ×4, first 2 shown]
	v_bfe_u32 v20, v12, 16, 1
	v_or_b32_e32 v21, 0x400000, v12
	v_cmp_u_f32_e64 s4, v12, v12
	v_add3_u32 v20, v20, v12, 0x7fff
	v_cndmask_b32_e64 v12, v20, v21, s4
	v_lshrrev_b32_e32 v89, 16, v12
	v_mul_f32_e32 v12, v115, v33
	v_bfe_u32 v20, v12, 16, 1
	v_or_b32_e32 v21, 0x400000, v12
	v_cmp_u_f32_e64 s4, v12, v12
	v_add3_u32 v20, v20, v12, 0x7fff
	v_cndmask_b32_e64 v12, v20, v21, s4
	v_lshrrev_b32_e32 v90, 16, v12
	v_mul_f32_e32 v12, v115, v17
	v_bfe_u32 v17, v12, 16, 1
	v_or_b32_e32 v20, 0x400000, v12
	v_cmp_u_f32_e64 s4, v12, v12
	v_add3_u32 v17, v17, v12, 0x7fff
	v_cndmask_b32_e64 v12, v17, v20, s4
	v_or_b32_e32 v17, 0x400000, v11
	v_cmp_u_f32_e64 s4, v11, v11
	v_lshrrev_b32_e32 v91, 16, v12
	v_bfe_u32 v12, v11, 16, 1
	v_add3_u32 v12, v12, v11, 0x7fff
	v_cndmask_b32_e64 v11, v12, v17, s4
	v_or_b32_e32 v12, 0x400000, v5
	v_cmp_u_f32_e64 s4, v5, v5
	v_lshrrev_b32_e32 v92, 16, v11
	v_bfe_u32 v11, v5, 16, 1
	v_add3_u32 v11, v11, v5, 0x7fff
	v_cndmask_b32_e64 v5, v11, v12, s4
	v_or_b32_e32 v11, 0x400000, v4
	v_cmp_u_f32_e64 s4, v4, v4
	v_lshrrev_b32_e32 v94, 16, v5
	v_bfe_u32 v5, v4, 16, 1
	v_add3_u32 v5, v5, v4, 0x7fff
	v_cndmask_b32_e64 v4, v5, v11, s4
	v_lshrrev_b32_e32 v95, 16, v4
	v_mul_f32_e32 v4, v115, v32
	v_bfe_u32 v5, v4, 16, 1
	v_or_b32_e32 v11, 0x400000, v4
	v_cmp_u_f32_e64 s4, v4, v4
	v_add3_u32 v5, v5, v4, 0x7fff
	v_cndmask_b32_e64 v4, v5, v11, s4
	v_lshrrev_b32_e32 v93, 16, v4
	v_mul_f32_e32 v4, v115, v22
	v_bfe_u32 v5, v4, 16, 1
	v_or_b32_e32 v11, 0x400000, v4
	v_cmp_u_f32_e64 s4, v4, v4
	v_add3_u32 v5, v5, v4, 0x7fff
	v_cndmask_b32_e64 v4, v5, v11, s4
	v_lshrrev_b32_e32 v104, 16, v4
	s_and_saveexec_b32 s17, vcc_lo
	s_cbranch_execz .LBB384_3803
; %bb.3802:                             ;   in Loop: Header=BB384_2086 Depth=1
	v_cmp_lt_i32_e64 s4, v114, v48
	v_cndmask_b32_e64 v95, 0, v95, s4
	v_cmp_lt_i32_e64 s4, v10, v48
	v_cndmask_b32_e64 v94, 0, v94, s4
	;; [unrolled: 2-line block ×8, first 2 shown]
.LBB384_3803:                           ;   in Loop: Header=BB384_2086 Depth=1
	s_or_b32 exec_lo, exec_lo, s17
	flat_load_dwordx2 v[20:21], v[18:19] offset:512
	v_mov_b32_e32 v5, 0
	v_mov_b32_e32 v4, 0
	s_waitcnt vmcnt(0) lgkmcnt(0)
	v_cmp_ne_u16_sdwa s4, v20, v13 src0_sel:BYTE_0 src1_sel:DWORD
	s_and_saveexec_b32 s17, s4
	s_cbranch_execz .LBB384_3811
; %bb.3804:                             ;   in Loop: Header=BB384_2086 Depth=1
	v_cmp_ne_u16_sdwa s4, v20, v116 src0_sel:BYTE_0 src1_sel:DWORD
	v_bfrev_b32_e32 v4, 1
	s_and_saveexec_b32 s18, s4
	s_cbranch_execz .LBB384_3810
; %bb.3805:                             ;   in Loop: Header=BB384_2086 Depth=1
	v_and_b32_e32 v11, 0x7f, v20
	v_mov_b32_e32 v4, 0x7f800001
	s_mov_b32 s20, exec_lo
	v_cmpx_ne_u32_e32 0x7f, v11
	s_cbranch_execz .LBB384_3809
; %bb.3806:                             ;   in Loop: Header=BB384_2086 Depth=1
	v_mov_b32_e32 v24, v21
	v_lshrrev_b32_e32 v4, 3, v11
	v_mov_b32_e32 v23, v20
	s_mov_b32 s21, exec_lo
	v_cmpx_gt_u32_e32 8, v11
; %bb.3807:                             ;   in Loop: Header=BB384_2086 Depth=1
	v_and_b32_e32 v4, 7, v20
	v_ffbh_u32_e32 v4, v4
	v_min_u32_e32 v4, 32, v4
	v_subrev_nc_u32_e32 v11, 28, v4
	v_sub_nc_u32_e32 v4, 29, v4
	v_lshlrev_b64 v[23:24], v11, v[20:21]
; %bb.3808:                             ;   in Loop: Header=BB384_2086 Depth=1
	s_or_b32 exec_lo, exec_lo, s21
	v_lshlrev_b32_e32 v11, 20, v23
	v_lshlrev_b32_e32 v12, 24, v20
	v_lshl_add_u32 v4, v4, 23, 0x3c000000
	v_and_b32_e32 v11, 0x700000, v11
	v_and_b32_e32 v12, 0x80000000, v12
	v_or3_b32 v4, v11, v12, v4
.LBB384_3809:                           ;   in Loop: Header=BB384_2086 Depth=1
	s_or_b32 exec_lo, exec_lo, s20
.LBB384_3810:                           ;   in Loop: Header=BB384_2086 Depth=1
	s_or_b32 exec_lo, exec_lo, s18
.LBB384_3811:                           ;   in Loop: Header=BB384_2086 Depth=1
	s_or_b32 exec_lo, exec_lo, s17
	v_cmp_ne_u16_sdwa s4, v20, v13 src0_sel:BYTE_1 src1_sel:DWORD
	s_and_saveexec_b32 s17, s4
	s_cbranch_execz .LBB384_3819
; %bb.3812:                             ;   in Loop: Header=BB384_2086 Depth=1
	v_cmp_ne_u16_sdwa s4, v20, v116 src0_sel:BYTE_1 src1_sel:DWORD
	v_bfrev_b32_e32 v5, 1
	s_and_saveexec_b32 s18, s4
	s_cbranch_execz .LBB384_3818
; %bb.3813:                             ;   in Loop: Header=BB384_2086 Depth=1
	v_mov_b32_e32 v5, 0xffff
	s_mov_b32 s20, exec_lo
	v_and_b32_sdwa v12, v5, v20 dst_sel:DWORD dst_unused:UNUSED_PAD src0_sel:DWORD src1_sel:BYTE_1
	v_mov_b32_e32 v5, 0x7f800001
	v_and_b32_e32 v11, 0x7f, v12
	v_cmpx_ne_u32_e32 0x7f, v11
	s_cbranch_execz .LBB384_3817
; %bb.3814:                             ;   in Loop: Header=BB384_2086 Depth=1
	v_and_b32_e32 v12, 7, v12
	v_mov_b32_e32 v24, v13
	v_lshrrev_b32_e32 v5, 3, v11
	s_mov_b32 s21, exec_lo
	v_mov_b32_e32 v23, v12
	v_cmpx_gt_u32_e32 8, v11
; %bb.3815:                             ;   in Loop: Header=BB384_2086 Depth=1
	v_ffbh_u32_e32 v5, v12
	v_min_u32_e32 v5, 32, v5
	v_subrev_nc_u32_e32 v11, 28, v5
	v_sub_nc_u32_e32 v5, 29, v5
	v_lshlrev_b64 v[11:12], v11, v[12:13]
	v_and_b32_e32 v23, 7, v11
; %bb.3816:                             ;   in Loop: Header=BB384_2086 Depth=1
	s_or_b32 exec_lo, exec_lo, s21
	v_lshlrev_b32_e32 v11, 16, v20
	v_lshlrev_b32_e32 v12, 20, v23
	v_lshl_add_u32 v5, v5, 23, 0x3c000000
	v_and_b32_e32 v11, 0x80000000, v11
	v_or3_b32 v5, v12, v11, v5
.LBB384_3817:                           ;   in Loop: Header=BB384_2086 Depth=1
	s_or_b32 exec_lo, exec_lo, s20
.LBB384_3818:                           ;   in Loop: Header=BB384_2086 Depth=1
	s_or_b32 exec_lo, exec_lo, s18
.LBB384_3819:                           ;   in Loop: Header=BB384_2086 Depth=1
	s_or_b32 exec_lo, exec_lo, s17
	v_and_b32_sdwa v12, v20, v118 dst_sel:DWORD dst_unused:UNUSED_PAD src0_sel:WORD_1 src1_sel:DWORD
	v_mov_b32_e32 v17, 0
	v_mov_b32_e32 v11, 0
	s_mov_b32 s17, exec_lo
	v_cmpx_ne_u16_e32 0, v12
	s_cbranch_execz .LBB384_3827
; %bb.3820:                             ;   in Loop: Header=BB384_2086 Depth=1
	v_bfrev_b32_e32 v11, 1
	s_mov_b32 s18, exec_lo
	v_cmpx_ne_u16_e32 0x80, v12
	s_cbranch_execz .LBB384_3826
; %bb.3821:                             ;   in Loop: Header=BB384_2086 Depth=1
	v_bfe_u32 v22, v20, 16, 7
	v_mov_b32_e32 v11, 0x7f800001
	s_mov_b32 s20, exec_lo
	v_cmpx_ne_u32_e32 0x7f, v22
	s_cbranch_execz .LBB384_3825
; %bb.3822:                             ;   in Loop: Header=BB384_2086 Depth=1
	v_mov_b32_e32 v11, 7
	s_mov_b32 s21, exec_lo
	v_and_b32_sdwa v12, v20, v11 dst_sel:DWORD dst_unused:UNUSED_PAD src0_sel:WORD_1 src1_sel:DWORD
	v_mov_b32_e32 v24, v13
	v_lshrrev_b32_e32 v11, 3, v22
	v_mov_b32_e32 v23, v12
	v_cmpx_gt_u32_e32 8, v22
; %bb.3823:                             ;   in Loop: Header=BB384_2086 Depth=1
	v_ffbh_u32_e32 v11, v12
	v_min_u32_e32 v11, 32, v11
	v_subrev_nc_u32_e32 v22, 28, v11
	v_sub_nc_u32_e32 v11, 29, v11
	v_lshlrev_b64 v[22:23], v22, v[12:13]
	v_and_b32_e32 v23, 7, v22
; %bb.3824:                             ;   in Loop: Header=BB384_2086 Depth=1
	s_or_b32 exec_lo, exec_lo, s21
	v_mov_b32_e32 v12, 24
	v_lshlrev_b32_e32 v22, 20, v23
	v_lshl_add_u32 v11, v11, 23, 0x3c000000
	v_lshlrev_b32_sdwa v12, v12, v20 dst_sel:DWORD dst_unused:UNUSED_PAD src0_sel:DWORD src1_sel:WORD_1
	v_and_b32_e32 v12, 0x80000000, v12
	v_or3_b32 v11, v22, v12, v11
.LBB384_3825:                           ;   in Loop: Header=BB384_2086 Depth=1
	s_or_b32 exec_lo, exec_lo, s20
.LBB384_3826:                           ;   in Loop: Header=BB384_2086 Depth=1
	s_or_b32 exec_lo, exec_lo, s18
.LBB384_3827:                           ;   in Loop: Header=BB384_2086 Depth=1
	s_or_b32 exec_lo, exec_lo, s17
	s_mov_b32 s17, exec_lo
	v_cmpx_lt_u32_e32 0xffffff, v20
	s_cbranch_execz .LBB384_3835
; %bb.3828:                             ;   in Loop: Header=BB384_2086 Depth=1
	v_cmp_ne_u32_sdwa s4, v20, v116 src0_sel:BYTE_3 src1_sel:DWORD
	v_bfrev_b32_e32 v17, 1
	s_and_saveexec_b32 s18, s4
	s_cbranch_execz .LBB384_3834
; %bb.3829:                             ;   in Loop: Header=BB384_2086 Depth=1
	v_bfe_u32 v22, v20, 24, 7
	v_mov_b32_e32 v17, 0x7f800001
	s_mov_b32 s20, exec_lo
	v_cmpx_ne_u32_e32 0x7f, v22
	s_cbranch_execz .LBB384_3833
; %bb.3830:                             ;   in Loop: Header=BB384_2086 Depth=1
	v_mov_b32_e32 v12, 7
	v_lshrrev_b32_e32 v17, 3, v22
	s_mov_b32 s21, exec_lo
	v_and_b32_sdwa v12, v20, v12 dst_sel:DWORD dst_unused:UNUSED_PAD src0_sel:BYTE_3 src1_sel:DWORD
	v_mov_b32_e32 v24, v13
	v_mov_b32_e32 v23, v12
	v_cmpx_gt_u32_e32 8, v22
; %bb.3831:                             ;   in Loop: Header=BB384_2086 Depth=1
	v_ffbh_u32_e32 v17, v12
	v_min_u32_e32 v17, 32, v17
	v_subrev_nc_u32_e32 v22, 28, v17
	v_sub_nc_u32_e32 v17, 29, v17
	v_lshlrev_b64 v[22:23], v22, v[12:13]
	v_and_b32_e32 v23, 7, v22
; %bb.3832:                             ;   in Loop: Header=BB384_2086 Depth=1
	s_or_b32 exec_lo, exec_lo, s21
	v_mov_b32_e32 v12, 24
	v_lshlrev_b32_e32 v22, 20, v23
	v_lshl_add_u32 v17, v17, 23, 0x3c000000
	v_lshlrev_b32_sdwa v12, v12, v20 dst_sel:DWORD dst_unused:UNUSED_PAD src0_sel:DWORD src1_sel:BYTE_3
	v_and_b32_e32 v12, 0x80000000, v12
	v_or3_b32 v17, v22, v12, v17
.LBB384_3833:                           ;   in Loop: Header=BB384_2086 Depth=1
	s_or_b32 exec_lo, exec_lo, s20
.LBB384_3834:                           ;   in Loop: Header=BB384_2086 Depth=1
	s_or_b32 exec_lo, exec_lo, s18
.LBB384_3835:                           ;   in Loop: Header=BB384_2086 Depth=1
	s_or_b32 exec_lo, exec_lo, s17
	v_mov_b32_e32 v12, v21
	v_cmp_ne_u16_sdwa s4, v21, v13 src0_sel:BYTE_0 src1_sel:DWORD
	v_mov_b32_e32 v34, 0
	v_mov_b32_e32 v33, 0
	s_and_saveexec_b32 s17, s4
	s_cbranch_execz .LBB384_3843
; %bb.3836:                             ;   in Loop: Header=BB384_2086 Depth=1
	v_cmp_ne_u16_sdwa s4, v21, v116 src0_sel:BYTE_0 src1_sel:DWORD
	v_bfrev_b32_e32 v33, 1
	s_and_saveexec_b32 s18, s4
	s_cbranch_execz .LBB384_3842
; %bb.3837:                             ;   in Loop: Header=BB384_2086 Depth=1
	v_and_b32_e32 v32, 0x7f, v21
	v_mov_b32_e32 v33, 0x7f800001
	s_mov_b32 s20, exec_lo
	v_cmpx_ne_u32_e32 0x7f, v32
	s_cbranch_execz .LBB384_3841
; %bb.3838:                             ;   in Loop: Header=BB384_2086 Depth=1
	v_mov_b32_e32 v24, v13
	v_mov_b32_e32 v23, v12
	v_lshrrev_b32_e32 v22, 3, v32
	s_mov_b32 s21, exec_lo
	v_cmpx_gt_u32_e32 8, v32
; %bb.3839:                             ;   in Loop: Header=BB384_2086 Depth=1
	v_and_b32_e32 v22, 7, v21
	v_ffbh_u32_e32 v22, v22
	v_min_u32_e32 v22, 32, v22
	v_subrev_nc_u32_e32 v23, 28, v22
	v_sub_nc_u32_e32 v22, 29, v22
	v_lshlrev_b64 v[23:24], v23, v[12:13]
; %bb.3840:                             ;   in Loop: Header=BB384_2086 Depth=1
	s_or_b32 exec_lo, exec_lo, s21
	v_lshlrev_b32_e32 v23, 20, v23
	v_lshlrev_b32_e32 v24, 24, v12
	v_lshl_add_u32 v22, v22, 23, 0x3c000000
	v_and_b32_e32 v23, 0x700000, v23
	v_and_b32_e32 v24, 0x80000000, v24
	v_or3_b32 v33, v23, v24, v22
.LBB384_3841:                           ;   in Loop: Header=BB384_2086 Depth=1
	s_or_b32 exec_lo, exec_lo, s20
.LBB384_3842:                           ;   in Loop: Header=BB384_2086 Depth=1
	s_or_b32 exec_lo, exec_lo, s18
.LBB384_3843:                           ;   in Loop: Header=BB384_2086 Depth=1
	s_or_b32 exec_lo, exec_lo, s17
	v_cmp_ne_u16_sdwa s4, v12, v13 src0_sel:BYTE_1 src1_sel:DWORD
	s_and_saveexec_b32 s17, s4
	s_cbranch_execz .LBB384_3851
; %bb.3844:                             ;   in Loop: Header=BB384_2086 Depth=1
	v_cmp_ne_u16_sdwa s4, v12, v116 src0_sel:BYTE_1 src1_sel:DWORD
	v_bfrev_b32_e32 v34, 1
	s_and_saveexec_b32 s18, s4
	s_cbranch_execz .LBB384_3850
; %bb.3845:                             ;   in Loop: Header=BB384_2086 Depth=1
	v_mov_b32_e32 v22, 0xffff
	v_mov_b32_e32 v34, 0x7f800001
	s_mov_b32 s20, exec_lo
	v_and_b32_sdwa v22, v22, v12 dst_sel:DWORD dst_unused:UNUSED_PAD src0_sel:DWORD src1_sel:BYTE_1
	v_and_b32_e32 v32, 0x7f, v22
	v_cmpx_ne_u32_e32 0x7f, v32
	s_cbranch_execz .LBB384_3849
; %bb.3846:                             ;   in Loop: Header=BB384_2086 Depth=1
	v_and_b32_e32 v23, 7, v22
	v_mov_b32_e32 v24, v13
	v_lshrrev_b32_e32 v22, 3, v32
	s_mov_b32 s21, exec_lo
	v_cmpx_gt_u32_e32 8, v32
; %bb.3847:                             ;   in Loop: Header=BB384_2086 Depth=1
	v_ffbh_u32_e32 v22, v23
	v_min_u32_e32 v22, 32, v22
	v_subrev_nc_u32_e32 v32, 28, v22
	v_sub_nc_u32_e32 v22, 29, v22
	v_lshlrev_b64 v[23:24], v32, v[23:24]
	v_and_b32_e32 v23, 7, v23
; %bb.3848:                             ;   in Loop: Header=BB384_2086 Depth=1
	s_or_b32 exec_lo, exec_lo, s21
	v_lshlrev_b32_e32 v12, 16, v12
	v_lshlrev_b32_e32 v23, 20, v23
	v_lshl_add_u32 v22, v22, 23, 0x3c000000
	v_and_b32_e32 v12, 0x80000000, v12
	v_or3_b32 v34, v23, v12, v22
.LBB384_3849:                           ;   in Loop: Header=BB384_2086 Depth=1
	s_or_b32 exec_lo, exec_lo, s20
.LBB384_3850:                           ;   in Loop: Header=BB384_2086 Depth=1
	s_or_b32 exec_lo, exec_lo, s18
.LBB384_3851:                           ;   in Loop: Header=BB384_2086 Depth=1
	s_or_b32 exec_lo, exec_lo, s17
	v_and_b32_sdwa v12, v21, v118 dst_sel:DWORD dst_unused:UNUSED_PAD src0_sel:WORD_1 src1_sel:DWORD
	v_mov_b32_e32 v22, 0
	v_mov_b32_e32 v32, 0
	s_mov_b32 s17, exec_lo
	v_cmpx_ne_u16_e32 0, v12
	s_cbranch_execz .LBB384_3859
; %bb.3852:                             ;   in Loop: Header=BB384_2086 Depth=1
	v_bfrev_b32_e32 v32, 1
	s_mov_b32 s18, exec_lo
	v_cmpx_ne_u16_e32 0x80, v12
	s_cbranch_execz .LBB384_3858
; %bb.3853:                             ;   in Loop: Header=BB384_2086 Depth=1
	v_bfe_u32 v35, v21, 16, 7
	v_mov_b32_e32 v32, 0x7f800001
	s_mov_b32 s20, exec_lo
	v_cmpx_ne_u32_e32 0x7f, v35
	s_cbranch_execz .LBB384_3857
; %bb.3854:                             ;   in Loop: Header=BB384_2086 Depth=1
	v_mov_b32_e32 v12, 7
	s_mov_b32 s21, exec_lo
	v_and_b32_sdwa v12, v21, v12 dst_sel:DWORD dst_unused:UNUSED_PAD src0_sel:WORD_1 src1_sel:DWORD
	v_mov_b32_e32 v24, v13
	v_lshrrev_b32_e32 v24, 3, v35
	v_mov_b32_e32 v23, v12
	v_cmpx_gt_u32_e32 8, v35
; %bb.3855:                             ;   in Loop: Header=BB384_2086 Depth=1
	v_ffbh_u32_e32 v23, v12
	v_min_u32_e32 v32, 32, v23
	v_subrev_nc_u32_e32 v23, 28, v32
	v_lshlrev_b64 v[23:24], v23, v[12:13]
	v_sub_nc_u32_e32 v24, 29, v32
	v_and_b32_e32 v23, 7, v23
; %bb.3856:                             ;   in Loop: Header=BB384_2086 Depth=1
	s_or_b32 exec_lo, exec_lo, s21
	v_mov_b32_e32 v12, 24
	v_lshlrev_b32_e32 v23, 20, v23
	v_lshl_add_u32 v24, v24, 23, 0x3c000000
	v_lshlrev_b32_sdwa v12, v12, v21 dst_sel:DWORD dst_unused:UNUSED_PAD src0_sel:DWORD src1_sel:WORD_1
	v_and_b32_e32 v12, 0x80000000, v12
	v_or3_b32 v32, v23, v12, v24
.LBB384_3857:                           ;   in Loop: Header=BB384_2086 Depth=1
	s_or_b32 exec_lo, exec_lo, s20
.LBB384_3858:                           ;   in Loop: Header=BB384_2086 Depth=1
	s_or_b32 exec_lo, exec_lo, s18
.LBB384_3859:                           ;   in Loop: Header=BB384_2086 Depth=1
	s_or_b32 exec_lo, exec_lo, s17
	s_mov_b32 s17, exec_lo
	v_cmpx_lt_u64_e64 s[12:13], v[20:21]
	s_cbranch_execz .LBB384_3867
; %bb.3860:                             ;   in Loop: Header=BB384_2086 Depth=1
	v_cmp_ne_u32_sdwa s4, v21, v116 src0_sel:BYTE_3 src1_sel:DWORD
	v_bfrev_b32_e32 v22, 1
	s_and_saveexec_b32 s18, s4
	s_cbranch_execz .LBB384_3866
; %bb.3861:                             ;   in Loop: Header=BB384_2086 Depth=1
	v_bfe_u32 v35, v21, 24, 7
	v_mov_b32_e32 v22, 0x7f800001
	s_mov_b32 s20, exec_lo
	v_cmpx_ne_u32_e32 0x7f, v35
	s_cbranch_execz .LBB384_3865
; %bb.3862:                             ;   in Loop: Header=BB384_2086 Depth=1
	v_mov_b32_e32 v12, 7
	v_lshrrev_b32_e32 v20, 3, v35
	s_mov_b32 s21, exec_lo
	v_and_b32_sdwa v12, v21, v12 dst_sel:DWORD dst_unused:UNUSED_PAD src0_sel:BYTE_3 src1_sel:DWORD
	v_mov_b32_e32 v24, v13
	v_mov_b32_e32 v23, v12
	v_cmpx_gt_u32_e32 8, v35
; %bb.3863:                             ;   in Loop: Header=BB384_2086 Depth=1
	v_ffbh_u32_e32 v20, v12
	v_min_u32_e32 v20, 32, v20
	v_subrev_nc_u32_e32 v22, 28, v20
	v_sub_nc_u32_e32 v20, 29, v20
	v_lshlrev_b64 v[22:23], v22, v[12:13]
	v_and_b32_e32 v23, 7, v22
; %bb.3864:                             ;   in Loop: Header=BB384_2086 Depth=1
	s_or_b32 exec_lo, exec_lo, s21
	v_mov_b32_e32 v12, 24
	v_lshl_add_u32 v20, v20, 23, 0x3c000000
	v_lshlrev_b32_sdwa v12, v12, v21 dst_sel:DWORD dst_unused:UNUSED_PAD src0_sel:DWORD src1_sel:BYTE_3
	v_lshlrev_b32_e32 v21, 20, v23
	v_and_b32_e32 v12, 0x80000000, v12
	v_or3_b32 v22, v21, v12, v20
.LBB384_3865:                           ;   in Loop: Header=BB384_2086 Depth=1
	s_or_b32 exec_lo, exec_lo, s20
.LBB384_3866:                           ;   in Loop: Header=BB384_2086 Depth=1
	s_or_b32 exec_lo, exec_lo, s18
.LBB384_3867:                           ;   in Loop: Header=BB384_2086 Depth=1
	s_or_b32 exec_lo, exec_lo, s17
	v_mul_f32_e32 v12, v115, v34
	v_mul_f32_e32 v11, v115, v11
	;; [unrolled: 1-line block ×4, first 2 shown]
	v_bfe_u32 v20, v12, 16, 1
	v_or_b32_e32 v21, 0x400000, v12
	v_cmp_u_f32_e64 s4, v12, v12
	v_add3_u32 v20, v20, v12, 0x7fff
	v_cndmask_b32_e64 v12, v20, v21, s4
	v_lshrrev_b32_e32 v105, 16, v12
	v_mul_f32_e32 v12, v115, v33
	v_bfe_u32 v20, v12, 16, 1
	v_or_b32_e32 v21, 0x400000, v12
	v_cmp_u_f32_e64 s4, v12, v12
	v_add3_u32 v20, v20, v12, 0x7fff
	v_cndmask_b32_e64 v12, v20, v21, s4
	v_lshrrev_b32_e32 v106, 16, v12
	v_mul_f32_e32 v12, v115, v17
	v_bfe_u32 v17, v12, 16, 1
	v_or_b32_e32 v20, 0x400000, v12
	v_cmp_u_f32_e64 s4, v12, v12
	v_add3_u32 v17, v17, v12, 0x7fff
	v_cndmask_b32_e64 v12, v17, v20, s4
	v_or_b32_e32 v17, 0x400000, v11
	v_cmp_u_f32_e64 s4, v11, v11
	v_lshrrev_b32_e32 v107, 16, v12
	v_bfe_u32 v12, v11, 16, 1
	v_add3_u32 v12, v12, v11, 0x7fff
	v_cndmask_b32_e64 v11, v12, v17, s4
	v_or_b32_e32 v12, 0x400000, v5
	v_cmp_u_f32_e64 s4, v5, v5
	v_lshrrev_b32_e32 v108, 16, v11
	v_bfe_u32 v11, v5, 16, 1
	;; [unrolled: 6-line block ×3, first 2 shown]
	v_add3_u32 v5, v5, v4, 0x7fff
	v_cndmask_b32_e64 v4, v5, v11, s4
	v_lshrrev_b32_e32 v111, 16, v4
	v_mul_f32_e32 v4, v115, v32
	v_bfe_u32 v5, v4, 16, 1
	v_or_b32_e32 v11, 0x400000, v4
	v_cmp_u_f32_e64 s4, v4, v4
	v_add3_u32 v5, v5, v4, 0x7fff
	v_cndmask_b32_e64 v4, v5, v11, s4
	v_lshrrev_b32_e32 v109, 16, v4
	v_mul_f32_e32 v4, v115, v22
	v_bfe_u32 v5, v4, 16, 1
	v_or_b32_e32 v11, 0x400000, v4
	v_cmp_u_f32_e64 s4, v4, v4
	v_add3_u32 v5, v5, v4, 0x7fff
	v_cndmask_b32_e64 v4, v5, v11, s4
	v_lshrrev_b32_e32 v120, 16, v4
	s_and_saveexec_b32 s17, vcc_lo
	s_cbranch_execz .LBB384_3869
; %bb.3868:                             ;   in Loop: Header=BB384_2086 Depth=1
	v_cmp_lt_i32_e64 s4, v114, v48
	v_cndmask_b32_e64 v111, 0, v111, s4
	v_cmp_lt_i32_e64 s4, v10, v48
	v_cndmask_b32_e64 v110, 0, v110, s4
	;; [unrolled: 2-line block ×8, first 2 shown]
.LBB384_3869:                           ;   in Loop: Header=BB384_2086 Depth=1
	s_or_b32 exec_lo, exec_lo, s17
	flat_load_dwordx2 v[20:21], v[18:19] offset:768
	v_mov_b32_e32 v5, 0
	v_mov_b32_e32 v4, 0
	s_waitcnt vmcnt(0) lgkmcnt(0)
	v_cmp_ne_u16_sdwa s4, v20, v13 src0_sel:BYTE_0 src1_sel:DWORD
	s_and_saveexec_b32 s17, s4
	s_cbranch_execz .LBB384_3877
; %bb.3870:                             ;   in Loop: Header=BB384_2086 Depth=1
	v_cmp_ne_u16_sdwa s4, v20, v116 src0_sel:BYTE_0 src1_sel:DWORD
	v_bfrev_b32_e32 v4, 1
	s_and_saveexec_b32 s18, s4
	s_cbranch_execz .LBB384_3876
; %bb.3871:                             ;   in Loop: Header=BB384_2086 Depth=1
	v_and_b32_e32 v11, 0x7f, v20
	v_mov_b32_e32 v4, 0x7f800001
	s_mov_b32 s20, exec_lo
	v_cmpx_ne_u32_e32 0x7f, v11
	s_cbranch_execz .LBB384_3875
; %bb.3872:                             ;   in Loop: Header=BB384_2086 Depth=1
	v_mov_b32_e32 v24, v21
	v_lshrrev_b32_e32 v4, 3, v11
	v_mov_b32_e32 v23, v20
	s_mov_b32 s21, exec_lo
	v_cmpx_gt_u32_e32 8, v11
; %bb.3873:                             ;   in Loop: Header=BB384_2086 Depth=1
	v_and_b32_e32 v4, 7, v20
	v_ffbh_u32_e32 v4, v4
	v_min_u32_e32 v4, 32, v4
	v_subrev_nc_u32_e32 v11, 28, v4
	v_sub_nc_u32_e32 v4, 29, v4
	v_lshlrev_b64 v[23:24], v11, v[20:21]
; %bb.3874:                             ;   in Loop: Header=BB384_2086 Depth=1
	s_or_b32 exec_lo, exec_lo, s21
	v_lshlrev_b32_e32 v11, 20, v23
	v_lshlrev_b32_e32 v12, 24, v20
	v_lshl_add_u32 v4, v4, 23, 0x3c000000
	v_and_b32_e32 v11, 0x700000, v11
	v_and_b32_e32 v12, 0x80000000, v12
	v_or3_b32 v4, v11, v12, v4
.LBB384_3875:                           ;   in Loop: Header=BB384_2086 Depth=1
	s_or_b32 exec_lo, exec_lo, s20
.LBB384_3876:                           ;   in Loop: Header=BB384_2086 Depth=1
	s_or_b32 exec_lo, exec_lo, s18
.LBB384_3877:                           ;   in Loop: Header=BB384_2086 Depth=1
	s_or_b32 exec_lo, exec_lo, s17
	v_cmp_ne_u16_sdwa s4, v20, v13 src0_sel:BYTE_1 src1_sel:DWORD
	s_and_saveexec_b32 s17, s4
	s_cbranch_execz .LBB384_3885
; %bb.3878:                             ;   in Loop: Header=BB384_2086 Depth=1
	v_cmp_ne_u16_sdwa s4, v20, v116 src0_sel:BYTE_1 src1_sel:DWORD
	v_bfrev_b32_e32 v5, 1
	s_and_saveexec_b32 s18, s4
	s_cbranch_execz .LBB384_3884
; %bb.3879:                             ;   in Loop: Header=BB384_2086 Depth=1
	v_mov_b32_e32 v5, 0xffff
	s_mov_b32 s20, exec_lo
	v_and_b32_sdwa v12, v5, v20 dst_sel:DWORD dst_unused:UNUSED_PAD src0_sel:DWORD src1_sel:BYTE_1
	v_mov_b32_e32 v5, 0x7f800001
	v_and_b32_e32 v11, 0x7f, v12
	v_cmpx_ne_u32_e32 0x7f, v11
	s_cbranch_execz .LBB384_3883
; %bb.3880:                             ;   in Loop: Header=BB384_2086 Depth=1
	v_and_b32_e32 v12, 7, v12
	v_mov_b32_e32 v24, v13
	v_lshrrev_b32_e32 v5, 3, v11
	s_mov_b32 s21, exec_lo
	v_mov_b32_e32 v23, v12
	v_cmpx_gt_u32_e32 8, v11
; %bb.3881:                             ;   in Loop: Header=BB384_2086 Depth=1
	v_ffbh_u32_e32 v5, v12
	v_min_u32_e32 v5, 32, v5
	v_subrev_nc_u32_e32 v11, 28, v5
	v_sub_nc_u32_e32 v5, 29, v5
	v_lshlrev_b64 v[11:12], v11, v[12:13]
	v_and_b32_e32 v23, 7, v11
; %bb.3882:                             ;   in Loop: Header=BB384_2086 Depth=1
	s_or_b32 exec_lo, exec_lo, s21
	v_lshlrev_b32_e32 v11, 16, v20
	v_lshlrev_b32_e32 v12, 20, v23
	v_lshl_add_u32 v5, v5, 23, 0x3c000000
	v_and_b32_e32 v11, 0x80000000, v11
	v_or3_b32 v5, v12, v11, v5
.LBB384_3883:                           ;   in Loop: Header=BB384_2086 Depth=1
	s_or_b32 exec_lo, exec_lo, s20
.LBB384_3884:                           ;   in Loop: Header=BB384_2086 Depth=1
	s_or_b32 exec_lo, exec_lo, s18
.LBB384_3885:                           ;   in Loop: Header=BB384_2086 Depth=1
	s_or_b32 exec_lo, exec_lo, s17
	v_and_b32_sdwa v12, v20, v118 dst_sel:DWORD dst_unused:UNUSED_PAD src0_sel:WORD_1 src1_sel:DWORD
	v_mov_b32_e32 v17, 0
	v_mov_b32_e32 v11, 0
	s_mov_b32 s17, exec_lo
	v_cmpx_ne_u16_e32 0, v12
	s_cbranch_execz .LBB384_3893
; %bb.3886:                             ;   in Loop: Header=BB384_2086 Depth=1
	v_bfrev_b32_e32 v11, 1
	s_mov_b32 s18, exec_lo
	v_cmpx_ne_u16_e32 0x80, v12
	s_cbranch_execz .LBB384_3892
; %bb.3887:                             ;   in Loop: Header=BB384_2086 Depth=1
	v_bfe_u32 v22, v20, 16, 7
	v_mov_b32_e32 v11, 0x7f800001
	s_mov_b32 s20, exec_lo
	v_cmpx_ne_u32_e32 0x7f, v22
	s_cbranch_execz .LBB384_3891
; %bb.3888:                             ;   in Loop: Header=BB384_2086 Depth=1
	v_mov_b32_e32 v11, 7
	s_mov_b32 s21, exec_lo
	v_and_b32_sdwa v12, v20, v11 dst_sel:DWORD dst_unused:UNUSED_PAD src0_sel:WORD_1 src1_sel:DWORD
	v_mov_b32_e32 v24, v13
	v_lshrrev_b32_e32 v11, 3, v22
	v_mov_b32_e32 v23, v12
	v_cmpx_gt_u32_e32 8, v22
; %bb.3889:                             ;   in Loop: Header=BB384_2086 Depth=1
	v_ffbh_u32_e32 v11, v12
	v_min_u32_e32 v11, 32, v11
	v_subrev_nc_u32_e32 v22, 28, v11
	v_sub_nc_u32_e32 v11, 29, v11
	v_lshlrev_b64 v[22:23], v22, v[12:13]
	v_and_b32_e32 v23, 7, v22
; %bb.3890:                             ;   in Loop: Header=BB384_2086 Depth=1
	s_or_b32 exec_lo, exec_lo, s21
	v_mov_b32_e32 v12, 24
	v_lshlrev_b32_e32 v22, 20, v23
	v_lshl_add_u32 v11, v11, 23, 0x3c000000
	v_lshlrev_b32_sdwa v12, v12, v20 dst_sel:DWORD dst_unused:UNUSED_PAD src0_sel:DWORD src1_sel:WORD_1
	v_and_b32_e32 v12, 0x80000000, v12
	v_or3_b32 v11, v22, v12, v11
.LBB384_3891:                           ;   in Loop: Header=BB384_2086 Depth=1
	s_or_b32 exec_lo, exec_lo, s20
.LBB384_3892:                           ;   in Loop: Header=BB384_2086 Depth=1
	s_or_b32 exec_lo, exec_lo, s18
.LBB384_3893:                           ;   in Loop: Header=BB384_2086 Depth=1
	s_or_b32 exec_lo, exec_lo, s17
	s_mov_b32 s17, exec_lo
	v_cmpx_lt_u32_e32 0xffffff, v20
	s_cbranch_execz .LBB384_3901
; %bb.3894:                             ;   in Loop: Header=BB384_2086 Depth=1
	v_cmp_ne_u32_sdwa s4, v20, v116 src0_sel:BYTE_3 src1_sel:DWORD
	v_bfrev_b32_e32 v17, 1
	s_and_saveexec_b32 s18, s4
	s_cbranch_execz .LBB384_3900
; %bb.3895:                             ;   in Loop: Header=BB384_2086 Depth=1
	v_bfe_u32 v22, v20, 24, 7
	v_mov_b32_e32 v17, 0x7f800001
	s_mov_b32 s20, exec_lo
	v_cmpx_ne_u32_e32 0x7f, v22
	s_cbranch_execz .LBB384_3899
; %bb.3896:                             ;   in Loop: Header=BB384_2086 Depth=1
	v_mov_b32_e32 v12, 7
	v_lshrrev_b32_e32 v17, 3, v22
	s_mov_b32 s21, exec_lo
	v_and_b32_sdwa v12, v20, v12 dst_sel:DWORD dst_unused:UNUSED_PAD src0_sel:BYTE_3 src1_sel:DWORD
	v_mov_b32_e32 v24, v13
	v_mov_b32_e32 v23, v12
	v_cmpx_gt_u32_e32 8, v22
; %bb.3897:                             ;   in Loop: Header=BB384_2086 Depth=1
	v_ffbh_u32_e32 v17, v12
	v_min_u32_e32 v17, 32, v17
	v_subrev_nc_u32_e32 v22, 28, v17
	v_sub_nc_u32_e32 v17, 29, v17
	v_lshlrev_b64 v[22:23], v22, v[12:13]
	v_and_b32_e32 v23, 7, v22
; %bb.3898:                             ;   in Loop: Header=BB384_2086 Depth=1
	s_or_b32 exec_lo, exec_lo, s21
	v_mov_b32_e32 v12, 24
	v_lshlrev_b32_e32 v22, 20, v23
	v_lshl_add_u32 v17, v17, 23, 0x3c000000
	v_lshlrev_b32_sdwa v12, v12, v20 dst_sel:DWORD dst_unused:UNUSED_PAD src0_sel:DWORD src1_sel:BYTE_3
	v_and_b32_e32 v12, 0x80000000, v12
	v_or3_b32 v17, v22, v12, v17
.LBB384_3899:                           ;   in Loop: Header=BB384_2086 Depth=1
	s_or_b32 exec_lo, exec_lo, s20
.LBB384_3900:                           ;   in Loop: Header=BB384_2086 Depth=1
	s_or_b32 exec_lo, exec_lo, s18
.LBB384_3901:                           ;   in Loop: Header=BB384_2086 Depth=1
	s_or_b32 exec_lo, exec_lo, s17
	v_mov_b32_e32 v12, v21
	v_cmp_ne_u16_sdwa s4, v21, v13 src0_sel:BYTE_0 src1_sel:DWORD
	v_mov_b32_e32 v34, 0
	v_mov_b32_e32 v33, 0
	s_and_saveexec_b32 s17, s4
	s_cbranch_execz .LBB384_3909
; %bb.3902:                             ;   in Loop: Header=BB384_2086 Depth=1
	v_cmp_ne_u16_sdwa s4, v21, v116 src0_sel:BYTE_0 src1_sel:DWORD
	v_bfrev_b32_e32 v33, 1
	s_and_saveexec_b32 s18, s4
	s_cbranch_execz .LBB384_3908
; %bb.3903:                             ;   in Loop: Header=BB384_2086 Depth=1
	v_and_b32_e32 v32, 0x7f, v21
	v_mov_b32_e32 v33, 0x7f800001
	s_mov_b32 s20, exec_lo
	v_cmpx_ne_u32_e32 0x7f, v32
	s_cbranch_execz .LBB384_3907
; %bb.3904:                             ;   in Loop: Header=BB384_2086 Depth=1
	v_mov_b32_e32 v24, v13
	v_mov_b32_e32 v23, v12
	v_lshrrev_b32_e32 v22, 3, v32
	s_mov_b32 s21, exec_lo
	v_cmpx_gt_u32_e32 8, v32
; %bb.3905:                             ;   in Loop: Header=BB384_2086 Depth=1
	v_and_b32_e32 v22, 7, v21
	v_ffbh_u32_e32 v22, v22
	v_min_u32_e32 v22, 32, v22
	v_subrev_nc_u32_e32 v23, 28, v22
	v_sub_nc_u32_e32 v22, 29, v22
	v_lshlrev_b64 v[23:24], v23, v[12:13]
; %bb.3906:                             ;   in Loop: Header=BB384_2086 Depth=1
	s_or_b32 exec_lo, exec_lo, s21
	v_lshlrev_b32_e32 v23, 20, v23
	v_lshlrev_b32_e32 v24, 24, v12
	v_lshl_add_u32 v22, v22, 23, 0x3c000000
	v_and_b32_e32 v23, 0x700000, v23
	v_and_b32_e32 v24, 0x80000000, v24
	v_or3_b32 v33, v23, v24, v22
.LBB384_3907:                           ;   in Loop: Header=BB384_2086 Depth=1
	s_or_b32 exec_lo, exec_lo, s20
.LBB384_3908:                           ;   in Loop: Header=BB384_2086 Depth=1
	s_or_b32 exec_lo, exec_lo, s18
.LBB384_3909:                           ;   in Loop: Header=BB384_2086 Depth=1
	s_or_b32 exec_lo, exec_lo, s17
	v_cmp_ne_u16_sdwa s4, v12, v13 src0_sel:BYTE_1 src1_sel:DWORD
	s_and_saveexec_b32 s17, s4
	s_cbranch_execz .LBB384_3917
; %bb.3910:                             ;   in Loop: Header=BB384_2086 Depth=1
	v_cmp_ne_u16_sdwa s4, v12, v116 src0_sel:BYTE_1 src1_sel:DWORD
	v_bfrev_b32_e32 v34, 1
	s_and_saveexec_b32 s18, s4
	s_cbranch_execz .LBB384_3916
; %bb.3911:                             ;   in Loop: Header=BB384_2086 Depth=1
	v_mov_b32_e32 v22, 0xffff
	v_mov_b32_e32 v34, 0x7f800001
	s_mov_b32 s20, exec_lo
	v_and_b32_sdwa v22, v22, v12 dst_sel:DWORD dst_unused:UNUSED_PAD src0_sel:DWORD src1_sel:BYTE_1
	v_and_b32_e32 v32, 0x7f, v22
	v_cmpx_ne_u32_e32 0x7f, v32
	s_cbranch_execz .LBB384_3915
; %bb.3912:                             ;   in Loop: Header=BB384_2086 Depth=1
	v_and_b32_e32 v23, 7, v22
	v_mov_b32_e32 v24, v13
	v_lshrrev_b32_e32 v22, 3, v32
	s_mov_b32 s21, exec_lo
	v_cmpx_gt_u32_e32 8, v32
; %bb.3913:                             ;   in Loop: Header=BB384_2086 Depth=1
	v_ffbh_u32_e32 v22, v23
	v_min_u32_e32 v22, 32, v22
	v_subrev_nc_u32_e32 v32, 28, v22
	v_sub_nc_u32_e32 v22, 29, v22
	v_lshlrev_b64 v[23:24], v32, v[23:24]
	v_and_b32_e32 v23, 7, v23
; %bb.3914:                             ;   in Loop: Header=BB384_2086 Depth=1
	s_or_b32 exec_lo, exec_lo, s21
	v_lshlrev_b32_e32 v12, 16, v12
	v_lshlrev_b32_e32 v23, 20, v23
	v_lshl_add_u32 v22, v22, 23, 0x3c000000
	v_and_b32_e32 v12, 0x80000000, v12
	v_or3_b32 v34, v23, v12, v22
.LBB384_3915:                           ;   in Loop: Header=BB384_2086 Depth=1
	s_or_b32 exec_lo, exec_lo, s20
.LBB384_3916:                           ;   in Loop: Header=BB384_2086 Depth=1
	s_or_b32 exec_lo, exec_lo, s18
.LBB384_3917:                           ;   in Loop: Header=BB384_2086 Depth=1
	s_or_b32 exec_lo, exec_lo, s17
	v_and_b32_sdwa v12, v21, v118 dst_sel:DWORD dst_unused:UNUSED_PAD src0_sel:WORD_1 src1_sel:DWORD
	v_mov_b32_e32 v22, 0
	v_mov_b32_e32 v32, 0
	s_mov_b32 s17, exec_lo
	v_cmpx_ne_u16_e32 0, v12
	s_cbranch_execz .LBB384_3925
; %bb.3918:                             ;   in Loop: Header=BB384_2086 Depth=1
	v_bfrev_b32_e32 v32, 1
	s_mov_b32 s18, exec_lo
	v_cmpx_ne_u16_e32 0x80, v12
	s_cbranch_execz .LBB384_3924
; %bb.3919:                             ;   in Loop: Header=BB384_2086 Depth=1
	v_bfe_u32 v35, v21, 16, 7
	v_mov_b32_e32 v32, 0x7f800001
	s_mov_b32 s20, exec_lo
	v_cmpx_ne_u32_e32 0x7f, v35
	s_cbranch_execz .LBB384_3923
; %bb.3920:                             ;   in Loop: Header=BB384_2086 Depth=1
	v_mov_b32_e32 v12, 7
	s_mov_b32 s21, exec_lo
	v_and_b32_sdwa v12, v21, v12 dst_sel:DWORD dst_unused:UNUSED_PAD src0_sel:WORD_1 src1_sel:DWORD
	v_mov_b32_e32 v24, v13
	v_lshrrev_b32_e32 v24, 3, v35
	v_mov_b32_e32 v23, v12
	v_cmpx_gt_u32_e32 8, v35
; %bb.3921:                             ;   in Loop: Header=BB384_2086 Depth=1
	v_ffbh_u32_e32 v23, v12
	v_min_u32_e32 v32, 32, v23
	v_subrev_nc_u32_e32 v23, 28, v32
	v_lshlrev_b64 v[23:24], v23, v[12:13]
	v_sub_nc_u32_e32 v24, 29, v32
	v_and_b32_e32 v23, 7, v23
; %bb.3922:                             ;   in Loop: Header=BB384_2086 Depth=1
	s_or_b32 exec_lo, exec_lo, s21
	v_mov_b32_e32 v12, 24
	v_lshlrev_b32_e32 v23, 20, v23
	v_lshl_add_u32 v24, v24, 23, 0x3c000000
	v_lshlrev_b32_sdwa v12, v12, v21 dst_sel:DWORD dst_unused:UNUSED_PAD src0_sel:DWORD src1_sel:WORD_1
	v_and_b32_e32 v12, 0x80000000, v12
	v_or3_b32 v32, v23, v12, v24
.LBB384_3923:                           ;   in Loop: Header=BB384_2086 Depth=1
	s_or_b32 exec_lo, exec_lo, s20
.LBB384_3924:                           ;   in Loop: Header=BB384_2086 Depth=1
	s_or_b32 exec_lo, exec_lo, s18
.LBB384_3925:                           ;   in Loop: Header=BB384_2086 Depth=1
	s_or_b32 exec_lo, exec_lo, s17
	s_mov_b32 s17, exec_lo
	v_cmpx_lt_u64_e64 s[12:13], v[20:21]
	s_cbranch_execz .LBB384_3933
; %bb.3926:                             ;   in Loop: Header=BB384_2086 Depth=1
	v_cmp_ne_u32_sdwa s4, v21, v116 src0_sel:BYTE_3 src1_sel:DWORD
	v_bfrev_b32_e32 v22, 1
	s_and_saveexec_b32 s18, s4
	s_cbranch_execz .LBB384_3932
; %bb.3927:                             ;   in Loop: Header=BB384_2086 Depth=1
	v_bfe_u32 v35, v21, 24, 7
	v_mov_b32_e32 v22, 0x7f800001
	s_mov_b32 s20, exec_lo
	v_cmpx_ne_u32_e32 0x7f, v35
	s_cbranch_execz .LBB384_3931
; %bb.3928:                             ;   in Loop: Header=BB384_2086 Depth=1
	v_mov_b32_e32 v12, 7
	v_lshrrev_b32_e32 v20, 3, v35
	s_mov_b32 s21, exec_lo
	v_and_b32_sdwa v12, v21, v12 dst_sel:DWORD dst_unused:UNUSED_PAD src0_sel:BYTE_3 src1_sel:DWORD
	v_mov_b32_e32 v24, v13
	v_mov_b32_e32 v23, v12
	v_cmpx_gt_u32_e32 8, v35
; %bb.3929:                             ;   in Loop: Header=BB384_2086 Depth=1
	v_ffbh_u32_e32 v20, v12
	v_min_u32_e32 v20, 32, v20
	v_subrev_nc_u32_e32 v22, 28, v20
	v_sub_nc_u32_e32 v20, 29, v20
	v_lshlrev_b64 v[22:23], v22, v[12:13]
	v_and_b32_e32 v23, 7, v22
; %bb.3930:                             ;   in Loop: Header=BB384_2086 Depth=1
	s_or_b32 exec_lo, exec_lo, s21
	v_mov_b32_e32 v12, 24
	v_lshl_add_u32 v20, v20, 23, 0x3c000000
	v_lshlrev_b32_sdwa v12, v12, v21 dst_sel:DWORD dst_unused:UNUSED_PAD src0_sel:DWORD src1_sel:BYTE_3
	v_lshlrev_b32_e32 v21, 20, v23
	v_and_b32_e32 v12, 0x80000000, v12
	v_or3_b32 v22, v21, v12, v20
.LBB384_3931:                           ;   in Loop: Header=BB384_2086 Depth=1
	s_or_b32 exec_lo, exec_lo, s20
.LBB384_3932:                           ;   in Loop: Header=BB384_2086 Depth=1
	s_or_b32 exec_lo, exec_lo, s18
.LBB384_3933:                           ;   in Loop: Header=BB384_2086 Depth=1
	s_or_b32 exec_lo, exec_lo, s17
	v_mul_f32_e32 v12, v115, v34
	v_mul_f32_e32 v11, v115, v11
	;; [unrolled: 1-line block ×4, first 2 shown]
	v_bfe_u32 v20, v12, 16, 1
	v_or_b32_e32 v21, 0x400000, v12
	v_cmp_u_f32_e64 s4, v12, v12
	v_add3_u32 v20, v20, v12, 0x7fff
	v_cndmask_b32_e64 v12, v20, v21, s4
	v_lshrrev_b32_e32 v121, 16, v12
	v_mul_f32_e32 v12, v115, v33
	v_bfe_u32 v20, v12, 16, 1
	v_or_b32_e32 v21, 0x400000, v12
	v_cmp_u_f32_e64 s4, v12, v12
	v_add3_u32 v20, v20, v12, 0x7fff
	v_cndmask_b32_e64 v12, v20, v21, s4
	v_lshrrev_b32_e32 v122, 16, v12
	v_mul_f32_e32 v12, v115, v17
	v_bfe_u32 v17, v12, 16, 1
	v_or_b32_e32 v20, 0x400000, v12
	v_cmp_u_f32_e64 s4, v12, v12
	v_add3_u32 v17, v17, v12, 0x7fff
	v_cndmask_b32_e64 v12, v17, v20, s4
	v_or_b32_e32 v17, 0x400000, v11
	v_cmp_u_f32_e64 s4, v11, v11
	v_lshrrev_b32_e32 v123, 16, v12
	v_bfe_u32 v12, v11, 16, 1
	v_add3_u32 v12, v12, v11, 0x7fff
	v_cndmask_b32_e64 v11, v12, v17, s4
	v_or_b32_e32 v12, 0x400000, v5
	v_cmp_u_f32_e64 s4, v5, v5
	v_lshrrev_b32_e32 v124, 16, v11
	v_bfe_u32 v11, v5, 16, 1
	;; [unrolled: 6-line block ×3, first 2 shown]
	v_add3_u32 v5, v5, v4, 0x7fff
	v_cndmask_b32_e64 v4, v5, v11, s4
	v_lshrrev_b32_e32 v127, 16, v4
	v_mul_f32_e32 v4, v115, v32
	v_bfe_u32 v5, v4, 16, 1
	v_or_b32_e32 v11, 0x400000, v4
	v_cmp_u_f32_e64 s4, v4, v4
	v_add3_u32 v5, v5, v4, 0x7fff
	v_cndmask_b32_e64 v4, v5, v11, s4
	v_lshrrev_b32_e32 v125, 16, v4
	v_mul_f32_e32 v4, v115, v22
	v_bfe_u32 v5, v4, 16, 1
	v_or_b32_e32 v11, 0x400000, v4
	v_cmp_u_f32_e64 s4, v4, v4
	v_add3_u32 v5, v5, v4, 0x7fff
	v_cndmask_b32_e64 v4, v5, v11, s4
	v_lshrrev_b32_e32 v38, 16, v4
	s_and_saveexec_b32 s17, vcc_lo
	s_cbranch_execz .LBB384_3935
; %bb.3934:                             ;   in Loop: Header=BB384_2086 Depth=1
	v_cmp_lt_i32_e64 s4, v114, v48
	v_cndmask_b32_e64 v127, 0, v127, s4
	v_cmp_lt_i32_e64 s4, v10, v48
	v_cndmask_b32_e64 v126, 0, v126, s4
	;; [unrolled: 2-line block ×8, first 2 shown]
.LBB384_3935:                           ;   in Loop: Header=BB384_2086 Depth=1
	s_or_b32 exec_lo, exec_lo, s17
	flat_load_dwordx2 v[20:21], v[18:19] offset:1024
	v_mov_b32_e32 v17, 0
	v_mov_b32_e32 v11, 0
	s_waitcnt vmcnt(0) lgkmcnt(0)
	v_cmp_ne_u16_sdwa s4, v20, v13 src0_sel:BYTE_0 src1_sel:DWORD
	s_and_saveexec_b32 s17, s4
	s_cbranch_execz .LBB384_3943
; %bb.3936:                             ;   in Loop: Header=BB384_2086 Depth=1
	v_cmp_ne_u16_sdwa s4, v20, v116 src0_sel:BYTE_0 src1_sel:DWORD
	v_bfrev_b32_e32 v11, 1
	s_and_saveexec_b32 s18, s4
	s_cbranch_execz .LBB384_3942
; %bb.3937:                             ;   in Loop: Header=BB384_2086 Depth=1
	v_and_b32_e32 v5, 0x7f, v20
	v_mov_b32_e32 v11, 0x7f800001
	s_mov_b32 s20, exec_lo
	v_cmpx_ne_u32_e32 0x7f, v5
	s_cbranch_execz .LBB384_3941
; %bb.3938:                             ;   in Loop: Header=BB384_2086 Depth=1
	v_mov_b32_e32 v24, v21
	v_lshrrev_b32_e32 v4, 3, v5
	v_mov_b32_e32 v23, v20
	s_mov_b32 s21, exec_lo
	v_cmpx_gt_u32_e32 8, v5
; %bb.3939:                             ;   in Loop: Header=BB384_2086 Depth=1
	v_and_b32_e32 v4, 7, v20
	v_ffbh_u32_e32 v4, v4
	v_min_u32_e32 v4, 32, v4
	v_subrev_nc_u32_e32 v5, 28, v4
	v_sub_nc_u32_e32 v4, 29, v4
	v_lshlrev_b64 v[23:24], v5, v[20:21]
; %bb.3940:                             ;   in Loop: Header=BB384_2086 Depth=1
	s_or_b32 exec_lo, exec_lo, s21
	v_lshlrev_b32_e32 v5, 20, v23
	v_lshlrev_b32_e32 v11, 24, v20
	v_lshl_add_u32 v4, v4, 23, 0x3c000000
	v_and_b32_e32 v5, 0x700000, v5
	v_and_b32_e32 v11, 0x80000000, v11
	v_or3_b32 v11, v5, v11, v4
.LBB384_3941:                           ;   in Loop: Header=BB384_2086 Depth=1
	s_or_b32 exec_lo, exec_lo, s20
.LBB384_3942:                           ;   in Loop: Header=BB384_2086 Depth=1
	s_or_b32 exec_lo, exec_lo, s18
.LBB384_3943:                           ;   in Loop: Header=BB384_2086 Depth=1
	s_or_b32 exec_lo, exec_lo, s17
	v_cmp_ne_u16_sdwa s4, v20, v13 src0_sel:BYTE_1 src1_sel:DWORD
	s_and_saveexec_b32 s17, s4
	s_cbranch_execz .LBB384_3951
; %bb.3944:                             ;   in Loop: Header=BB384_2086 Depth=1
	v_cmp_ne_u16_sdwa s4, v20, v116 src0_sel:BYTE_1 src1_sel:DWORD
	v_bfrev_b32_e32 v17, 1
	s_and_saveexec_b32 s18, s4
	s_cbranch_execz .LBB384_3950
; %bb.3945:                             ;   in Loop: Header=BB384_2086 Depth=1
	v_mov_b32_e32 v4, 0xffff
	v_mov_b32_e32 v17, 0x7f800001
	s_mov_b32 s20, exec_lo
	v_and_b32_sdwa v4, v4, v20 dst_sel:DWORD dst_unused:UNUSED_PAD src0_sel:DWORD src1_sel:BYTE_1
	v_and_b32_e32 v5, 0x7f, v4
	v_cmpx_ne_u32_e32 0x7f, v5
	s_cbranch_execz .LBB384_3949
; %bb.3946:                             ;   in Loop: Header=BB384_2086 Depth=1
	v_and_b32_e32 v12, 7, v4
	v_mov_b32_e32 v24, v13
	v_lshrrev_b32_e32 v4, 3, v5
	s_mov_b32 s21, exec_lo
	v_mov_b32_e32 v23, v12
	v_cmpx_gt_u32_e32 8, v5
; %bb.3947:                             ;   in Loop: Header=BB384_2086 Depth=1
	v_ffbh_u32_e32 v4, v12
	v_min_u32_e32 v4, 32, v4
	v_subrev_nc_u32_e32 v5, 28, v4
	v_sub_nc_u32_e32 v4, 29, v4
	v_lshlrev_b64 v[22:23], v5, v[12:13]
	v_and_b32_e32 v23, 7, v22
; %bb.3948:                             ;   in Loop: Header=BB384_2086 Depth=1
	s_or_b32 exec_lo, exec_lo, s21
	v_lshlrev_b32_e32 v5, 16, v20
	v_lshlrev_b32_e32 v12, 20, v23
	v_lshl_add_u32 v4, v4, 23, 0x3c000000
	v_and_b32_e32 v5, 0x80000000, v5
	v_or3_b32 v17, v12, v5, v4
.LBB384_3949:                           ;   in Loop: Header=BB384_2086 Depth=1
	s_or_b32 exec_lo, exec_lo, s20
.LBB384_3950:                           ;   in Loop: Header=BB384_2086 Depth=1
	s_or_b32 exec_lo, exec_lo, s18
.LBB384_3951:                           ;   in Loop: Header=BB384_2086 Depth=1
	s_or_b32 exec_lo, exec_lo, s17
	v_and_b32_sdwa v4, v20, v118 dst_sel:DWORD dst_unused:UNUSED_PAD src0_sel:WORD_1 src1_sel:DWORD
	v_mov_b32_e32 v32, 0
	v_mov_b32_e32 v22, 0
	s_mov_b32 s17, exec_lo
	v_cmpx_ne_u16_e32 0, v4
	s_cbranch_execz .LBB384_3959
; %bb.3952:                             ;   in Loop: Header=BB384_2086 Depth=1
	v_bfrev_b32_e32 v22, 1
	s_mov_b32 s18, exec_lo
	v_cmpx_ne_u16_e32 0x80, v4
	s_cbranch_execz .LBB384_3958
; %bb.3953:                             ;   in Loop: Header=BB384_2086 Depth=1
	v_bfe_u32 v5, v20, 16, 7
	v_mov_b32_e32 v22, 0x7f800001
	s_mov_b32 s20, exec_lo
	v_cmpx_ne_u32_e32 0x7f, v5
	s_cbranch_execz .LBB384_3957
; %bb.3954:                             ;   in Loop: Header=BB384_2086 Depth=1
	v_mov_b32_e32 v4, 7
	s_mov_b32 s21, exec_lo
	v_and_b32_sdwa v12, v20, v4 dst_sel:DWORD dst_unused:UNUSED_PAD src0_sel:WORD_1 src1_sel:DWORD
	v_mov_b32_e32 v24, v13
	v_lshrrev_b32_e32 v4, 3, v5
	v_mov_b32_e32 v23, v12
	v_cmpx_gt_u32_e32 8, v5
; %bb.3955:                             ;   in Loop: Header=BB384_2086 Depth=1
	v_ffbh_u32_e32 v4, v12
	v_min_u32_e32 v4, 32, v4
	v_subrev_nc_u32_e32 v5, 28, v4
	v_sub_nc_u32_e32 v4, 29, v4
	v_lshlrev_b64 v[22:23], v5, v[12:13]
	v_and_b32_e32 v23, 7, v22
; %bb.3956:                             ;   in Loop: Header=BB384_2086 Depth=1
	s_or_b32 exec_lo, exec_lo, s21
	v_mov_b32_e32 v5, 24
	v_lshlrev_b32_e32 v12, 20, v23
	v_lshl_add_u32 v4, v4, 23, 0x3c000000
	v_lshlrev_b32_sdwa v5, v5, v20 dst_sel:DWORD dst_unused:UNUSED_PAD src0_sel:DWORD src1_sel:WORD_1
	v_and_b32_e32 v5, 0x80000000, v5
	v_or3_b32 v22, v12, v5, v4
.LBB384_3957:                           ;   in Loop: Header=BB384_2086 Depth=1
	s_or_b32 exec_lo, exec_lo, s20
.LBB384_3958:                           ;   in Loop: Header=BB384_2086 Depth=1
	s_or_b32 exec_lo, exec_lo, s18
.LBB384_3959:                           ;   in Loop: Header=BB384_2086 Depth=1
	s_or_b32 exec_lo, exec_lo, s17
	s_mov_b32 s17, exec_lo
	v_cmpx_lt_u32_e32 0xffffff, v20
	s_cbranch_execz .LBB384_3967
; %bb.3960:                             ;   in Loop: Header=BB384_2086 Depth=1
	v_cmp_ne_u32_sdwa s4, v20, v116 src0_sel:BYTE_3 src1_sel:DWORD
	v_bfrev_b32_e32 v32, 1
	s_and_saveexec_b32 s18, s4
	s_cbranch_execz .LBB384_3966
; %bb.3961:                             ;   in Loop: Header=BB384_2086 Depth=1
	v_bfe_u32 v5, v20, 24, 7
	v_mov_b32_e32 v32, 0x7f800001
	s_mov_b32 s20, exec_lo
	v_cmpx_ne_u32_e32 0x7f, v5
	s_cbranch_execz .LBB384_3965
; %bb.3962:                             ;   in Loop: Header=BB384_2086 Depth=1
	v_mov_b32_e32 v4, 7
	s_mov_b32 s21, exec_lo
	v_and_b32_sdwa v12, v20, v4 dst_sel:DWORD dst_unused:UNUSED_PAD src0_sel:BYTE_3 src1_sel:DWORD
	v_mov_b32_e32 v24, v13
	v_lshrrev_b32_e32 v4, 3, v5
	v_mov_b32_e32 v23, v12
	v_cmpx_gt_u32_e32 8, v5
; %bb.3963:                             ;   in Loop: Header=BB384_2086 Depth=1
	v_ffbh_u32_e32 v4, v12
	v_min_u32_e32 v4, 32, v4
	v_subrev_nc_u32_e32 v5, 28, v4
	v_sub_nc_u32_e32 v4, 29, v4
	v_lshlrev_b64 v[23:24], v5, v[12:13]
	v_and_b32_e32 v23, 7, v23
; %bb.3964:                             ;   in Loop: Header=BB384_2086 Depth=1
	s_or_b32 exec_lo, exec_lo, s21
	v_mov_b32_e32 v5, 24
	v_lshlrev_b32_e32 v12, 20, v23
	v_lshl_add_u32 v4, v4, 23, 0x3c000000
	v_lshlrev_b32_sdwa v5, v5, v20 dst_sel:DWORD dst_unused:UNUSED_PAD src0_sel:DWORD src1_sel:BYTE_3
	v_and_b32_e32 v5, 0x80000000, v5
	v_or3_b32 v32, v12, v5, v4
.LBB384_3965:                           ;   in Loop: Header=BB384_2086 Depth=1
	s_or_b32 exec_lo, exec_lo, s20
.LBB384_3966:                           ;   in Loop: Header=BB384_2086 Depth=1
	s_or_b32 exec_lo, exec_lo, s18
.LBB384_3967:                           ;   in Loop: Header=BB384_2086 Depth=1
	s_or_b32 exec_lo, exec_lo, s17
	v_mov_b32_e32 v12, v21
	v_cmp_ne_u16_sdwa s4, v21, v13 src0_sel:BYTE_0 src1_sel:DWORD
	v_mov_b32_e32 v5, 0
	v_mov_b32_e32 v4, 0
	s_and_saveexec_b32 s17, s4
	s_cbranch_execz .LBB384_3975
; %bb.3968:                             ;   in Loop: Header=BB384_2086 Depth=1
	v_cmp_ne_u16_sdwa s4, v21, v116 src0_sel:BYTE_0 src1_sel:DWORD
	v_bfrev_b32_e32 v4, 1
	s_and_saveexec_b32 s18, s4
	s_cbranch_execz .LBB384_3974
; %bb.3969:                             ;   in Loop: Header=BB384_2086 Depth=1
	v_and_b32_e32 v33, 0x7f, v21
	v_mov_b32_e32 v4, 0x7f800001
	s_mov_b32 s20, exec_lo
	v_cmpx_ne_u32_e32 0x7f, v33
	s_cbranch_execz .LBB384_3973
; %bb.3970:                             ;   in Loop: Header=BB384_2086 Depth=1
	v_mov_b32_e32 v24, v13
	v_mov_b32_e32 v23, v12
	v_lshrrev_b32_e32 v4, 3, v33
	s_mov_b32 s21, exec_lo
	v_cmpx_gt_u32_e32 8, v33
; %bb.3971:                             ;   in Loop: Header=BB384_2086 Depth=1
	v_and_b32_e32 v4, 7, v21
	v_ffbh_u32_e32 v4, v4
	v_min_u32_e32 v4, 32, v4
	v_subrev_nc_u32_e32 v23, 28, v4
	v_sub_nc_u32_e32 v4, 29, v4
	v_lshlrev_b64 v[23:24], v23, v[12:13]
; %bb.3972:                             ;   in Loop: Header=BB384_2086 Depth=1
	s_or_b32 exec_lo, exec_lo, s21
	v_lshlrev_b32_e32 v23, 20, v23
	v_lshlrev_b32_e32 v24, 24, v12
	v_lshl_add_u32 v4, v4, 23, 0x3c000000
	v_and_b32_e32 v23, 0x700000, v23
	v_and_b32_e32 v24, 0x80000000, v24
	v_or3_b32 v4, v23, v24, v4
.LBB384_3973:                           ;   in Loop: Header=BB384_2086 Depth=1
	s_or_b32 exec_lo, exec_lo, s20
.LBB384_3974:                           ;   in Loop: Header=BB384_2086 Depth=1
	s_or_b32 exec_lo, exec_lo, s18
.LBB384_3975:                           ;   in Loop: Header=BB384_2086 Depth=1
	s_or_b32 exec_lo, exec_lo, s17
	v_cmp_ne_u16_sdwa s4, v12, v13 src0_sel:BYTE_1 src1_sel:DWORD
	s_and_saveexec_b32 s17, s4
	s_cbranch_execz .LBB384_3983
; %bb.3976:                             ;   in Loop: Header=BB384_2086 Depth=1
	v_cmp_ne_u16_sdwa s4, v12, v116 src0_sel:BYTE_1 src1_sel:DWORD
	v_bfrev_b32_e32 v5, 1
	s_and_saveexec_b32 s18, s4
	s_cbranch_execz .LBB384_3982
; %bb.3977:                             ;   in Loop: Header=BB384_2086 Depth=1
	v_mov_b32_e32 v5, 0xffff
	s_mov_b32 s20, exec_lo
	v_and_b32_sdwa v23, v5, v12 dst_sel:DWORD dst_unused:UNUSED_PAD src0_sel:DWORD src1_sel:BYTE_1
	v_mov_b32_e32 v5, 0x7f800001
	v_and_b32_e32 v33, 0x7f, v23
	v_cmpx_ne_u32_e32 0x7f, v33
	s_cbranch_execz .LBB384_3981
; %bb.3978:                             ;   in Loop: Header=BB384_2086 Depth=1
	v_and_b32_e32 v23, 7, v23
	v_mov_b32_e32 v24, v13
	v_lshrrev_b32_e32 v5, 3, v33
	s_mov_b32 s21, exec_lo
	v_cmpx_gt_u32_e32 8, v33
; %bb.3979:                             ;   in Loop: Header=BB384_2086 Depth=1
	v_ffbh_u32_e32 v5, v23
	v_min_u32_e32 v5, 32, v5
	v_subrev_nc_u32_e32 v33, 28, v5
	v_sub_nc_u32_e32 v5, 29, v5
	v_lshlrev_b64 v[23:24], v33, v[23:24]
	v_and_b32_e32 v23, 7, v23
; %bb.3980:                             ;   in Loop: Header=BB384_2086 Depth=1
	s_or_b32 exec_lo, exec_lo, s21
	v_lshlrev_b32_e32 v12, 16, v12
	v_lshlrev_b32_e32 v23, 20, v23
	v_lshl_add_u32 v5, v5, 23, 0x3c000000
	v_and_b32_e32 v12, 0x80000000, v12
	v_or3_b32 v5, v23, v12, v5
.LBB384_3981:                           ;   in Loop: Header=BB384_2086 Depth=1
	s_or_b32 exec_lo, exec_lo, s20
.LBB384_3982:                           ;   in Loop: Header=BB384_2086 Depth=1
	s_or_b32 exec_lo, exec_lo, s18
.LBB384_3983:                           ;   in Loop: Header=BB384_2086 Depth=1
	s_or_b32 exec_lo, exec_lo, s17
	v_and_b32_sdwa v12, v21, v118 dst_sel:DWORD dst_unused:UNUSED_PAD src0_sel:WORD_1 src1_sel:DWORD
	v_mov_b32_e32 v33, 0
	v_mov_b32_e32 v34, 0
	s_mov_b32 s17, exec_lo
	v_cmpx_ne_u16_e32 0, v12
	s_cbranch_execz .LBB384_3991
; %bb.3984:                             ;   in Loop: Header=BB384_2086 Depth=1
	v_bfrev_b32_e32 v34, 1
	s_mov_b32 s18, exec_lo
	v_cmpx_ne_u16_e32 0x80, v12
	s_cbranch_execz .LBB384_3990
; %bb.3985:                             ;   in Loop: Header=BB384_2086 Depth=1
	v_bfe_u32 v35, v21, 16, 7
	v_mov_b32_e32 v34, 0x7f800001
	s_mov_b32 s20, exec_lo
	v_cmpx_ne_u32_e32 0x7f, v35
	s_cbranch_execz .LBB384_3989
; %bb.3986:                             ;   in Loop: Header=BB384_2086 Depth=1
	v_mov_b32_e32 v12, 7
	s_mov_b32 s21, exec_lo
	v_and_b32_sdwa v12, v21, v12 dst_sel:DWORD dst_unused:UNUSED_PAD src0_sel:WORD_1 src1_sel:DWORD
	v_mov_b32_e32 v24, v13
	v_lshrrev_b32_e32 v24, 3, v35
	v_mov_b32_e32 v23, v12
	v_cmpx_gt_u32_e32 8, v35
; %bb.3987:                             ;   in Loop: Header=BB384_2086 Depth=1
	v_ffbh_u32_e32 v23, v12
	v_min_u32_e32 v34, 32, v23
	v_subrev_nc_u32_e32 v23, 28, v34
	v_lshlrev_b64 v[23:24], v23, v[12:13]
	v_sub_nc_u32_e32 v24, 29, v34
	v_and_b32_e32 v23, 7, v23
; %bb.3988:                             ;   in Loop: Header=BB384_2086 Depth=1
	s_or_b32 exec_lo, exec_lo, s21
	v_mov_b32_e32 v12, 24
	v_lshlrev_b32_e32 v23, 20, v23
	v_lshl_add_u32 v24, v24, 23, 0x3c000000
	v_lshlrev_b32_sdwa v12, v12, v21 dst_sel:DWORD dst_unused:UNUSED_PAD src0_sel:DWORD src1_sel:WORD_1
	v_and_b32_e32 v12, 0x80000000, v12
	v_or3_b32 v34, v23, v12, v24
.LBB384_3989:                           ;   in Loop: Header=BB384_2086 Depth=1
	s_or_b32 exec_lo, exec_lo, s20
.LBB384_3990:                           ;   in Loop: Header=BB384_2086 Depth=1
	s_or_b32 exec_lo, exec_lo, s18
.LBB384_3991:                           ;   in Loop: Header=BB384_2086 Depth=1
	s_or_b32 exec_lo, exec_lo, s17
	s_mov_b32 s17, exec_lo
	v_cmpx_lt_u64_e64 s[12:13], v[20:21]
	s_cbranch_execz .LBB384_3999
; %bb.3992:                             ;   in Loop: Header=BB384_2086 Depth=1
	v_cmp_ne_u32_sdwa s4, v21, v116 src0_sel:BYTE_3 src1_sel:DWORD
	v_bfrev_b32_e32 v33, 1
	s_and_saveexec_b32 s18, s4
	s_cbranch_execz .LBB384_3998
; %bb.3993:                             ;   in Loop: Header=BB384_2086 Depth=1
	v_bfe_u32 v35, v21, 24, 7
	v_mov_b32_e32 v33, 0x7f800001
	s_mov_b32 s20, exec_lo
	v_cmpx_ne_u32_e32 0x7f, v35
	s_cbranch_execz .LBB384_3997
; %bb.3994:                             ;   in Loop: Header=BB384_2086 Depth=1
	v_mov_b32_e32 v12, 7
	v_lshrrev_b32_e32 v20, 3, v35
	s_mov_b32 s21, exec_lo
	v_and_b32_sdwa v12, v21, v12 dst_sel:DWORD dst_unused:UNUSED_PAD src0_sel:BYTE_3 src1_sel:DWORD
	v_mov_b32_e32 v24, v13
	v_mov_b32_e32 v23, v12
	v_cmpx_gt_u32_e32 8, v35
; %bb.3995:                             ;   in Loop: Header=BB384_2086 Depth=1
	v_ffbh_u32_e32 v20, v12
	v_min_u32_e32 v20, 32, v20
	v_subrev_nc_u32_e32 v23, 28, v20
	v_sub_nc_u32_e32 v20, 29, v20
	v_lshlrev_b64 v[23:24], v23, v[12:13]
	v_and_b32_e32 v23, 7, v23
; %bb.3996:                             ;   in Loop: Header=BB384_2086 Depth=1
	s_or_b32 exec_lo, exec_lo, s21
	v_mov_b32_e32 v12, 24
	v_lshl_add_u32 v20, v20, 23, 0x3c000000
	v_lshlrev_b32_sdwa v12, v12, v21 dst_sel:DWORD dst_unused:UNUSED_PAD src0_sel:DWORD src1_sel:BYTE_3
	v_lshlrev_b32_e32 v21, 20, v23
	v_and_b32_e32 v12, 0x80000000, v12
	v_or3_b32 v33, v21, v12, v20
.LBB384_3997:                           ;   in Loop: Header=BB384_2086 Depth=1
	s_or_b32 exec_lo, exec_lo, s20
.LBB384_3998:                           ;   in Loop: Header=BB384_2086 Depth=1
	s_or_b32 exec_lo, exec_lo, s18
.LBB384_3999:                           ;   in Loop: Header=BB384_2086 Depth=1
	s_or_b32 exec_lo, exec_lo, s17
	v_mul_f32_e32 v5, v115, v5
	v_mul_f32_e32 v4, v115, v4
	;; [unrolled: 1-line block ×3, first 2 shown]
	v_bfe_u32 v12, v5, 16, 1
	v_or_b32_e32 v20, 0x400000, v5
	v_cmp_u_f32_e64 s4, v5, v5
	v_add3_u32 v12, v12, v5, 0x7fff
	v_cndmask_b32_e64 v5, v12, v20, s4
	v_bfe_u32 v12, v4, 16, 1
	v_or_b32_e32 v20, 0x400000, v4
	v_cmp_u_f32_e64 s4, v4, v4
	v_lshrrev_b32_e32 v5, 16, v5
	v_add3_u32 v12, v12, v4, 0x7fff
	v_cndmask_b32_e64 v4, v12, v20, s4
	v_mul_f32_e32 v12, v115, v32
	v_lshrrev_b32_e32 v4, 16, v4
	v_bfe_u32 v20, v12, 16, 1
	v_or_b32_e32 v21, 0x400000, v12
	v_cmp_u_f32_e64 s4, v12, v12
	v_add3_u32 v20, v20, v12, 0x7fff
	v_cndmask_b32_e64 v12, v20, v21, s4
	v_lshrrev_b32_e32 v39, 16, v12
	v_mul_f32_e32 v12, v115, v22
	v_bfe_u32 v20, v12, 16, 1
	v_or_b32_e32 v21, 0x400000, v12
	v_cmp_u_f32_e64 s4, v12, v12
	v_add3_u32 v20, v20, v12, 0x7fff
	v_cndmask_b32_e64 v12, v20, v21, s4
	v_lshrrev_b32_e32 v113, 16, v12
	v_mul_f32_e32 v12, v115, v17
	v_bfe_u32 v17, v12, 16, 1
	v_or_b32_e32 v20, 0x400000, v12
	v_cmp_u_f32_e64 s4, v12, v12
	v_add3_u32 v17, v17, v12, 0x7fff
	v_cndmask_b32_e64 v12, v17, v20, s4
	v_or_b32_e32 v17, 0x400000, v11
	v_cmp_u_f32_e64 s4, v11, v11
	v_lshrrev_b32_e32 v44, 16, v12
	v_bfe_u32 v12, v11, 16, 1
	v_add3_u32 v12, v12, v11, 0x7fff
	v_cndmask_b32_e64 v11, v12, v17, s4
	v_lshrrev_b32_e32 v22, 16, v11
	v_mul_f32_e32 v11, v115, v34
	v_bfe_u32 v12, v11, 16, 1
	v_or_b32_e32 v17, 0x400000, v11
	v_cmp_u_f32_e64 s4, v11, v11
	v_add3_u32 v12, v12, v11, 0x7fff
	v_cndmask_b32_e64 v11, v12, v17, s4
	v_mul_f32_e32 v12, v115, v33
	v_lshrrev_b32_e32 v11, 16, v11
	v_bfe_u32 v17, v12, 16, 1
	v_or_b32_e32 v20, 0x400000, v12
	v_cmp_u_f32_e64 s4, v12, v12
	v_add3_u32 v17, v17, v12, 0x7fff
	v_cndmask_b32_e64 v12, v17, v20, s4
	v_lshrrev_b32_e32 v32, 16, v12
	s_and_saveexec_b32 s17, vcc_lo
	s_cbranch_execz .LBB384_4001
; %bb.4000:                             ;   in Loop: Header=BB384_2086 Depth=1
	v_cmp_lt_i32_e64 s4, v114, v48
	v_cndmask_b32_e64 v22, 0, v22, s4
	v_cmp_lt_i32_e64 s4, v10, v48
	v_cndmask_b32_e64 v44, 0, v44, s4
	;; [unrolled: 2-line block ×8, first 2 shown]
.LBB384_4001:                           ;   in Loop: Header=BB384_2086 Depth=1
	s_or_b32 exec_lo, exec_lo, s17
	flat_load_dwordx2 v[20:21], v[18:19] offset:1280
	v_mov_b32_e32 v36, 0
	v_mov_b32_e32 v17, 0
	s_waitcnt vmcnt(0) lgkmcnt(0)
	v_cmp_ne_u16_sdwa s4, v20, v13 src0_sel:BYTE_0 src1_sel:DWORD
	s_and_saveexec_b32 s17, s4
	s_cbranch_execz .LBB384_4009
; %bb.4002:                             ;   in Loop: Header=BB384_2086 Depth=1
	v_cmp_ne_u16_sdwa s4, v20, v116 src0_sel:BYTE_0 src1_sel:DWORD
	v_bfrev_b32_e32 v17, 1
	s_and_saveexec_b32 s18, s4
	s_cbranch_execz .LBB384_4008
; %bb.4003:                             ;   in Loop: Header=BB384_2086 Depth=1
	v_and_b32_e32 v23, 0x7f, v20
	v_mov_b32_e32 v17, 0x7f800001
	s_mov_b32 s20, exec_lo
	v_cmpx_ne_u32_e32 0x7f, v23
	s_cbranch_execz .LBB384_4007
; %bb.4004:                             ;   in Loop: Header=BB384_2086 Depth=1
	v_lshrrev_b32_e32 v12, 3, v23
	v_cmp_gt_u32_e64 s4, 8, v23
	v_mov_b32_e32 v24, v21
	v_mov_b32_e32 v23, v20
	s_and_saveexec_b32 s21, s4
; %bb.4005:                             ;   in Loop: Header=BB384_2086 Depth=1
	v_and_b32_e32 v12, 7, v20
	v_ffbh_u32_e32 v12, v12
	v_min_u32_e32 v12, 32, v12
	v_subrev_nc_u32_e32 v17, 28, v12
	v_sub_nc_u32_e32 v12, 29, v12
	v_lshlrev_b64 v[23:24], v17, v[20:21]
; %bb.4006:                             ;   in Loop: Header=BB384_2086 Depth=1
	s_or_b32 exec_lo, exec_lo, s21
	v_lshlrev_b32_e32 v17, 20, v23
	v_lshlrev_b32_e32 v23, 24, v20
	v_lshl_add_u32 v12, v12, 23, 0x3c000000
	v_and_b32_e32 v17, 0x700000, v17
	v_and_b32_e32 v23, 0x80000000, v23
	v_or3_b32 v17, v17, v23, v12
.LBB384_4007:                           ;   in Loop: Header=BB384_2086 Depth=1
	s_or_b32 exec_lo, exec_lo, s20
.LBB384_4008:                           ;   in Loop: Header=BB384_2086 Depth=1
	s_or_b32 exec_lo, exec_lo, s18
.LBB384_4009:                           ;   in Loop: Header=BB384_2086 Depth=1
	s_or_b32 exec_lo, exec_lo, s17
	v_cmp_ne_u16_sdwa s4, v20, v13 src0_sel:BYTE_1 src1_sel:DWORD
	s_and_saveexec_b32 s17, s4
	s_cbranch_execz .LBB384_4017
; %bb.4010:                             ;   in Loop: Header=BB384_2086 Depth=1
	v_cmp_ne_u16_sdwa s4, v20, v116 src0_sel:BYTE_1 src1_sel:DWORD
	v_bfrev_b32_e32 v36, 1
	s_and_saveexec_b32 s18, s4
	s_cbranch_execz .LBB384_4016
; %bb.4011:                             ;   in Loop: Header=BB384_2086 Depth=1
	v_mov_b32_e32 v12, 0xffff
	v_mov_b32_e32 v36, 0x7f800001
	s_mov_b32 s20, exec_lo
	v_and_b32_sdwa v12, v12, v20 dst_sel:DWORD dst_unused:UNUSED_PAD src0_sel:DWORD src1_sel:BYTE_1
	v_and_b32_e32 v33, 0x7f, v12
	v_cmpx_ne_u32_e32 0x7f, v33
	s_cbranch_execz .LBB384_4015
; %bb.4012:                             ;   in Loop: Header=BB384_2086 Depth=1
	v_and_b32_e32 v12, 7, v12
	v_mov_b32_e32 v24, v13
	v_lshrrev_b32_e32 v24, 3, v33
	s_mov_b32 s21, exec_lo
	v_mov_b32_e32 v23, v12
	v_cmpx_gt_u32_e32 8, v33
; %bb.4013:                             ;   in Loop: Header=BB384_2086 Depth=1
	v_ffbh_u32_e32 v23, v12
	v_min_u32_e32 v33, 32, v23
	v_subrev_nc_u32_e32 v23, 28, v33
	v_lshlrev_b64 v[23:24], v23, v[12:13]
	v_sub_nc_u32_e32 v24, 29, v33
	v_and_b32_e32 v23, 7, v23
; %bb.4014:                             ;   in Loop: Header=BB384_2086 Depth=1
	s_or_b32 exec_lo, exec_lo, s21
	v_lshlrev_b32_e32 v12, 16, v20
	v_lshlrev_b32_e32 v23, 20, v23
	v_lshl_add_u32 v24, v24, 23, 0x3c000000
	v_and_b32_e32 v12, 0x80000000, v12
	v_or3_b32 v36, v23, v12, v24
.LBB384_4015:                           ;   in Loop: Header=BB384_2086 Depth=1
	s_or_b32 exec_lo, exec_lo, s20
.LBB384_4016:                           ;   in Loop: Header=BB384_2086 Depth=1
	s_or_b32 exec_lo, exec_lo, s18
.LBB384_4017:                           ;   in Loop: Header=BB384_2086 Depth=1
	s_or_b32 exec_lo, exec_lo, s17
	v_and_b32_sdwa v12, v20, v118 dst_sel:DWORD dst_unused:UNUSED_PAD src0_sel:WORD_1 src1_sel:DWORD
	v_mov_b32_e32 v34, 0
	v_mov_b32_e32 v35, 0
	s_mov_b32 s17, exec_lo
	v_cmpx_ne_u16_e32 0, v12
	s_cbranch_execz .LBB384_4025
; %bb.4018:                             ;   in Loop: Header=BB384_2086 Depth=1
	v_bfrev_b32_e32 v35, 1
	s_mov_b32 s18, exec_lo
	v_cmpx_ne_u16_e32 0x80, v12
	s_cbranch_execz .LBB384_4024
; %bb.4019:                             ;   in Loop: Header=BB384_2086 Depth=1
	v_bfe_u32 v33, v20, 16, 7
	v_mov_b32_e32 v35, 0x7f800001
	s_mov_b32 s20, exec_lo
	v_cmpx_ne_u32_e32 0x7f, v33
	s_cbranch_execz .LBB384_4023
; %bb.4020:                             ;   in Loop: Header=BB384_2086 Depth=1
	v_mov_b32_e32 v12, 7
	s_mov_b32 s21, exec_lo
	v_and_b32_sdwa v12, v20, v12 dst_sel:DWORD dst_unused:UNUSED_PAD src0_sel:WORD_1 src1_sel:DWORD
	v_mov_b32_e32 v24, v13
	v_lshrrev_b32_e32 v24, 3, v33
	v_mov_b32_e32 v23, v12
	v_cmpx_gt_u32_e32 8, v33
; %bb.4021:                             ;   in Loop: Header=BB384_2086 Depth=1
	v_ffbh_u32_e32 v23, v12
	v_min_u32_e32 v33, 32, v23
	v_subrev_nc_u32_e32 v23, 28, v33
	v_lshlrev_b64 v[23:24], v23, v[12:13]
	v_sub_nc_u32_e32 v24, 29, v33
	v_and_b32_e32 v23, 7, v23
; %bb.4022:                             ;   in Loop: Header=BB384_2086 Depth=1
	s_or_b32 exec_lo, exec_lo, s21
	v_mov_b32_e32 v12, 24
	v_lshlrev_b32_e32 v23, 20, v23
	v_lshl_add_u32 v24, v24, 23, 0x3c000000
	v_lshlrev_b32_sdwa v12, v12, v20 dst_sel:DWORD dst_unused:UNUSED_PAD src0_sel:DWORD src1_sel:WORD_1
	v_and_b32_e32 v12, 0x80000000, v12
	v_or3_b32 v35, v23, v12, v24
.LBB384_4023:                           ;   in Loop: Header=BB384_2086 Depth=1
	s_or_b32 exec_lo, exec_lo, s20
.LBB384_4024:                           ;   in Loop: Header=BB384_2086 Depth=1
	s_or_b32 exec_lo, exec_lo, s18
.LBB384_4025:                           ;   in Loop: Header=BB384_2086 Depth=1
	s_or_b32 exec_lo, exec_lo, s17
	s_mov_b32 s17, exec_lo
	v_cmpx_lt_u32_e32 0xffffff, v20
	s_cbranch_execz .LBB384_4033
; %bb.4026:                             ;   in Loop: Header=BB384_2086 Depth=1
	v_cmp_ne_u32_sdwa s4, v20, v116 src0_sel:BYTE_3 src1_sel:DWORD
	v_bfrev_b32_e32 v34, 1
	s_and_saveexec_b32 s18, s4
	s_cbranch_execz .LBB384_4032
; %bb.4027:                             ;   in Loop: Header=BB384_2086 Depth=1
	v_bfe_u32 v33, v20, 24, 7
	v_mov_b32_e32 v34, 0x7f800001
	s_mov_b32 s20, exec_lo
	v_cmpx_ne_u32_e32 0x7f, v33
	s_cbranch_execz .LBB384_4031
; %bb.4028:                             ;   in Loop: Header=BB384_2086 Depth=1
	v_mov_b32_e32 v12, 7
	s_mov_b32 s21, exec_lo
	v_and_b32_sdwa v12, v20, v12 dst_sel:DWORD dst_unused:UNUSED_PAD src0_sel:BYTE_3 src1_sel:DWORD
	v_mov_b32_e32 v24, v13
	v_lshrrev_b32_e32 v24, 3, v33
	v_mov_b32_e32 v23, v12
	v_cmpx_gt_u32_e32 8, v33
; %bb.4029:                             ;   in Loop: Header=BB384_2086 Depth=1
	v_ffbh_u32_e32 v23, v12
	v_min_u32_e32 v33, 32, v23
	v_subrev_nc_u32_e32 v23, 28, v33
	v_lshlrev_b64 v[23:24], v23, v[12:13]
	v_sub_nc_u32_e32 v24, 29, v33
	v_and_b32_e32 v23, 7, v23
; %bb.4030:                             ;   in Loop: Header=BB384_2086 Depth=1
	s_or_b32 exec_lo, exec_lo, s21
	v_mov_b32_e32 v12, 24
	v_lshlrev_b32_e32 v23, 20, v23
	v_lshl_add_u32 v24, v24, 23, 0x3c000000
	v_lshlrev_b32_sdwa v12, v12, v20 dst_sel:DWORD dst_unused:UNUSED_PAD src0_sel:DWORD src1_sel:BYTE_3
	v_and_b32_e32 v12, 0x80000000, v12
	v_or3_b32 v34, v23, v12, v24
.LBB384_4031:                           ;   in Loop: Header=BB384_2086 Depth=1
	s_or_b32 exec_lo, exec_lo, s20
.LBB384_4032:                           ;   in Loop: Header=BB384_2086 Depth=1
	s_or_b32 exec_lo, exec_lo, s18
.LBB384_4033:                           ;   in Loop: Header=BB384_2086 Depth=1
	s_or_b32 exec_lo, exec_lo, s17
	v_mov_b32_e32 v12, v21
	v_cmp_ne_u16_sdwa s4, v21, v13 src0_sel:BYTE_0 src1_sel:DWORD
	v_mov_b32_e32 v54, 0
	v_mov_b32_e32 v33, 0
	s_and_saveexec_b32 s17, s4
	s_cbranch_execz .LBB384_4041
; %bb.4034:                             ;   in Loop: Header=BB384_2086 Depth=1
	v_cmp_ne_u16_sdwa s4, v21, v116 src0_sel:BYTE_0 src1_sel:DWORD
	v_bfrev_b32_e32 v33, 1
	s_and_saveexec_b32 s18, s4
	s_cbranch_execz .LBB384_4040
; %bb.4035:                             ;   in Loop: Header=BB384_2086 Depth=1
	v_and_b32_e32 v49, 0x7f, v21
	v_mov_b32_e32 v33, 0x7f800001
	s_mov_b32 s20, exec_lo
	v_cmpx_ne_u32_e32 0x7f, v49
	s_cbranch_execz .LBB384_4039
; %bb.4036:                             ;   in Loop: Header=BB384_2086 Depth=1
	v_mov_b32_e32 v24, v13
	v_mov_b32_e32 v23, v12
	v_lshrrev_b32_e32 v24, 3, v49
	s_mov_b32 s21, exec_lo
	v_cmpx_gt_u32_e32 8, v49
; %bb.4037:                             ;   in Loop: Header=BB384_2086 Depth=1
	v_and_b32_e32 v23, 7, v21
	v_ffbh_u32_e32 v23, v23
	v_min_u32_e32 v33, 32, v23
	v_subrev_nc_u32_e32 v23, 28, v33
	v_lshlrev_b64 v[23:24], v23, v[12:13]
	v_sub_nc_u32_e32 v24, 29, v33
; %bb.4038:                             ;   in Loop: Header=BB384_2086 Depth=1
	s_or_b32 exec_lo, exec_lo, s21
	v_lshlrev_b32_e32 v23, 20, v23
	v_lshlrev_b32_e32 v33, 24, v12
	v_lshl_add_u32 v24, v24, 23, 0x3c000000
	v_and_b32_e32 v23, 0x700000, v23
	v_and_b32_e32 v33, 0x80000000, v33
	v_or3_b32 v33, v23, v33, v24
.LBB384_4039:                           ;   in Loop: Header=BB384_2086 Depth=1
	s_or_b32 exec_lo, exec_lo, s20
.LBB384_4040:                           ;   in Loop: Header=BB384_2086 Depth=1
	s_or_b32 exec_lo, exec_lo, s18
.LBB384_4041:                           ;   in Loop: Header=BB384_2086 Depth=1
	s_or_b32 exec_lo, exec_lo, s17
	v_cmp_ne_u16_sdwa s4, v12, v13 src0_sel:BYTE_1 src1_sel:DWORD
	s_and_saveexec_b32 s17, s4
	s_cbranch_execz .LBB384_4049
; %bb.4042:                             ;   in Loop: Header=BB384_2086 Depth=1
	v_cmp_ne_u16_sdwa s4, v12, v116 src0_sel:BYTE_1 src1_sel:DWORD
	v_bfrev_b32_e32 v54, 1
	s_and_saveexec_b32 s18, s4
	s_cbranch_execz .LBB384_4048
; %bb.4043:                             ;   in Loop: Header=BB384_2086 Depth=1
	v_mov_b32_e32 v23, 0xffff
	v_mov_b32_e32 v54, 0x7f800001
	s_mov_b32 s20, exec_lo
	v_and_b32_sdwa v23, v23, v12 dst_sel:DWORD dst_unused:UNUSED_PAD src0_sel:DWORD src1_sel:BYTE_1
	v_and_b32_e32 v55, 0x7f, v23
	v_cmpx_ne_u32_e32 0x7f, v55
	s_cbranch_execz .LBB384_4047
; %bb.4044:                             ;   in Loop: Header=BB384_2086 Depth=1
	v_and_b32_e32 v23, 7, v23
	v_mov_b32_e32 v24, v13
	v_lshrrev_b32_e32 v49, 3, v55
	s_mov_b32 s21, exec_lo
	v_cmpx_gt_u32_e32 8, v55
; %bb.4045:                             ;   in Loop: Header=BB384_2086 Depth=1
	v_ffbh_u32_e32 v49, v23
	v_min_u32_e32 v49, 32, v49
	v_subrev_nc_u32_e32 v54, 28, v49
	v_sub_nc_u32_e32 v49, 29, v49
	v_lshlrev_b64 v[23:24], v54, v[23:24]
	v_and_b32_e32 v23, 7, v23
; %bb.4046:                             ;   in Loop: Header=BB384_2086 Depth=1
	s_or_b32 exec_lo, exec_lo, s21
	v_lshlrev_b32_e32 v12, 16, v12
	v_lshlrev_b32_e32 v23, 20, v23
	v_lshl_add_u32 v24, v49, 23, 0x3c000000
	v_and_b32_e32 v12, 0x80000000, v12
	v_or3_b32 v54, v23, v12, v24
.LBB384_4047:                           ;   in Loop: Header=BB384_2086 Depth=1
	s_or_b32 exec_lo, exec_lo, s20
.LBB384_4048:                           ;   in Loop: Header=BB384_2086 Depth=1
	s_or_b32 exec_lo, exec_lo, s18
.LBB384_4049:                           ;   in Loop: Header=BB384_2086 Depth=1
	s_or_b32 exec_lo, exec_lo, s17
	v_and_b32_sdwa v12, v21, v118 dst_sel:DWORD dst_unused:UNUSED_PAD src0_sel:WORD_1 src1_sel:DWORD
	v_mov_b32_e32 v55, 0
	v_mov_b32_e32 v49, 0
	s_mov_b32 s17, exec_lo
	v_cmpx_ne_u16_e32 0, v12
	s_cbranch_execz .LBB384_4057
; %bb.4050:                             ;   in Loop: Header=BB384_2086 Depth=1
	v_bfrev_b32_e32 v49, 1
	s_mov_b32 s18, exec_lo
	v_cmpx_ne_u16_e32 0x80, v12
	s_cbranch_execz .LBB384_4056
; %bb.4051:                             ;   in Loop: Header=BB384_2086 Depth=1
	v_bfe_u32 v64, v21, 16, 7
	v_mov_b32_e32 v49, 0x7f800001
	s_mov_b32 s20, exec_lo
	v_cmpx_ne_u32_e32 0x7f, v64
	s_cbranch_execz .LBB384_4055
; %bb.4052:                             ;   in Loop: Header=BB384_2086 Depth=1
	v_mov_b32_e32 v12, 7
	s_mov_b32 s21, exec_lo
	v_and_b32_sdwa v12, v21, v12 dst_sel:DWORD dst_unused:UNUSED_PAD src0_sel:WORD_1 src1_sel:DWORD
	v_mov_b32_e32 v24, v13
	v_lshrrev_b32_e32 v24, 3, v64
	v_mov_b32_e32 v23, v12
	v_cmpx_gt_u32_e32 8, v64
; %bb.4053:                             ;   in Loop: Header=BB384_2086 Depth=1
	v_ffbh_u32_e32 v23, v12
	v_min_u32_e32 v49, 32, v23
	v_subrev_nc_u32_e32 v23, 28, v49
	v_lshlrev_b64 v[23:24], v23, v[12:13]
	v_sub_nc_u32_e32 v24, 29, v49
	v_and_b32_e32 v23, 7, v23
; %bb.4054:                             ;   in Loop: Header=BB384_2086 Depth=1
	s_or_b32 exec_lo, exec_lo, s21
	v_mov_b32_e32 v12, 24
	v_lshlrev_b32_e32 v23, 20, v23
	v_lshl_add_u32 v24, v24, 23, 0x3c000000
	v_lshlrev_b32_sdwa v12, v12, v21 dst_sel:DWORD dst_unused:UNUSED_PAD src0_sel:DWORD src1_sel:WORD_1
	v_and_b32_e32 v12, 0x80000000, v12
	v_or3_b32 v49, v23, v12, v24
.LBB384_4055:                           ;   in Loop: Header=BB384_2086 Depth=1
	s_or_b32 exec_lo, exec_lo, s20
.LBB384_4056:                           ;   in Loop: Header=BB384_2086 Depth=1
	s_or_b32 exec_lo, exec_lo, s18
.LBB384_4057:                           ;   in Loop: Header=BB384_2086 Depth=1
	s_or_b32 exec_lo, exec_lo, s17
	s_mov_b32 s17, exec_lo
	v_cmpx_lt_u64_e64 s[12:13], v[20:21]
	s_cbranch_execz .LBB384_4065
; %bb.4058:                             ;   in Loop: Header=BB384_2086 Depth=1
	v_cmp_ne_u32_sdwa s4, v21, v116 src0_sel:BYTE_3 src1_sel:DWORD
	v_bfrev_b32_e32 v55, 1
	s_and_saveexec_b32 s18, s4
	s_cbranch_execz .LBB384_4064
; %bb.4059:                             ;   in Loop: Header=BB384_2086 Depth=1
	v_bfe_u32 v64, v21, 24, 7
	v_mov_b32_e32 v55, 0x7f800001
	s_mov_b32 s20, exec_lo
	v_cmpx_ne_u32_e32 0x7f, v64
	s_cbranch_execz .LBB384_4063
; %bb.4060:                             ;   in Loop: Header=BB384_2086 Depth=1
	v_mov_b32_e32 v12, 7
	v_lshrrev_b32_e32 v20, 3, v64
	s_mov_b32 s21, exec_lo
	v_and_b32_sdwa v12, v21, v12 dst_sel:DWORD dst_unused:UNUSED_PAD src0_sel:BYTE_3 src1_sel:DWORD
	v_mov_b32_e32 v24, v13
	v_mov_b32_e32 v23, v12
	v_cmpx_gt_u32_e32 8, v64
; %bb.4061:                             ;   in Loop: Header=BB384_2086 Depth=1
	v_ffbh_u32_e32 v20, v12
	v_min_u32_e32 v20, 32, v20
	v_subrev_nc_u32_e32 v23, 28, v20
	v_sub_nc_u32_e32 v20, 29, v20
	v_lshlrev_b64 v[23:24], v23, v[12:13]
	v_and_b32_e32 v23, 7, v23
; %bb.4062:                             ;   in Loop: Header=BB384_2086 Depth=1
	s_or_b32 exec_lo, exec_lo, s21
	v_mov_b32_e32 v12, 24
	v_lshl_add_u32 v20, v20, 23, 0x3c000000
	v_lshlrev_b32_sdwa v12, v12, v21 dst_sel:DWORD dst_unused:UNUSED_PAD src0_sel:DWORD src1_sel:BYTE_3
	v_lshlrev_b32_e32 v21, 20, v23
	v_and_b32_e32 v12, 0x80000000, v12
	v_or3_b32 v55, v21, v12, v20
.LBB384_4063:                           ;   in Loop: Header=BB384_2086 Depth=1
	s_or_b32 exec_lo, exec_lo, s20
.LBB384_4064:                           ;   in Loop: Header=BB384_2086 Depth=1
	s_or_b32 exec_lo, exec_lo, s18
.LBB384_4065:                           ;   in Loop: Header=BB384_2086 Depth=1
	s_or_b32 exec_lo, exec_lo, s17
	v_mul_f32_e32 v12, v115, v54
	v_bfe_u32 v20, v12, 16, 1
	v_or_b32_e32 v21, 0x400000, v12
	v_cmp_u_f32_e64 s4, v12, v12
	v_add3_u32 v20, v20, v12, 0x7fff
	v_cndmask_b32_e64 v12, v20, v21, s4
	v_lshrrev_b32_e32 v24, 16, v12
	v_mul_f32_e32 v12, v115, v33
	v_bfe_u32 v20, v12, 16, 1
	v_or_b32_e32 v21, 0x400000, v12
	v_cmp_u_f32_e64 s4, v12, v12
	v_add3_u32 v20, v20, v12, 0x7fff
	v_cndmask_b32_e64 v12, v20, v21, s4
	v_lshrrev_b32_e32 v33, 16, v12
	;; [unrolled: 7-line block ×8, first 2 shown]
	s_and_saveexec_b32 s17, vcc_lo
	s_cbranch_execz .LBB384_4067
; %bb.4066:                             ;   in Loop: Header=BB384_2086 Depth=1
	v_cmp_lt_i32_e64 s4, v114, v48
	v_cndmask_b32_e64 v54, 0, v54, s4
	v_cmp_lt_i32_e64 s4, v10, v48
	v_cndmask_b32_e64 v36, 0, v36, s4
	;; [unrolled: 2-line block ×8, first 2 shown]
.LBB384_4067:                           ;   in Loop: Header=BB384_2086 Depth=1
	s_or_b32 exec_lo, exec_lo, s17
	flat_load_dwordx2 v[18:19], v[18:19] offset:1536
	v_mov_b32_e32 v67, 0
	v_mov_b32_e32 v23, 0
	s_waitcnt vmcnt(0) lgkmcnt(0)
	v_cmp_ne_u16_sdwa s4, v18, v13 src0_sel:BYTE_0 src1_sel:DWORD
	s_and_saveexec_b32 s17, s4
	s_cbranch_execz .LBB384_4075
; %bb.4068:                             ;   in Loop: Header=BB384_2086 Depth=1
	v_cmp_ne_u16_sdwa s4, v18, v116 src0_sel:BYTE_0 src1_sel:DWORD
	v_bfrev_b32_e32 v23, 1
	s_and_saveexec_b32 s18, s4
	s_cbranch_execz .LBB384_4074
; %bb.4069:                             ;   in Loop: Header=BB384_2086 Depth=1
	v_and_b32_e32 v17, 0x7f, v18
	v_mov_b32_e32 v23, 0x7f800001
	s_mov_b32 s20, exec_lo
	v_cmpx_ne_u32_e32 0x7f, v17
	s_cbranch_execz .LBB384_4073
; %bb.4070:                             ;   in Loop: Header=BB384_2086 Depth=1
	v_mov_b32_e32 v21, v19
	v_lshrrev_b32_e32 v12, 3, v17
	v_mov_b32_e32 v20, v18
	s_mov_b32 s21, exec_lo
	v_cmpx_gt_u32_e32 8, v17
; %bb.4071:                             ;   in Loop: Header=BB384_2086 Depth=1
	v_and_b32_e32 v12, 7, v18
	v_ffbh_u32_e32 v12, v12
	v_min_u32_e32 v12, 32, v12
	v_subrev_nc_u32_e32 v17, 28, v12
	v_sub_nc_u32_e32 v12, 29, v12
	v_lshlrev_b64 v[20:21], v17, v[18:19]
; %bb.4072:                             ;   in Loop: Header=BB384_2086 Depth=1
	s_or_b32 exec_lo, exec_lo, s21
	v_lshlrev_b32_e32 v17, 20, v20
	v_lshlrev_b32_e32 v20, 24, v18
	v_lshl_add_u32 v12, v12, 23, 0x3c000000
	v_and_b32_e32 v17, 0x700000, v17
	v_and_b32_e32 v20, 0x80000000, v20
	v_or3_b32 v23, v17, v20, v12
.LBB384_4073:                           ;   in Loop: Header=BB384_2086 Depth=1
	s_or_b32 exec_lo, exec_lo, s20
.LBB384_4074:                           ;   in Loop: Header=BB384_2086 Depth=1
	s_or_b32 exec_lo, exec_lo, s18
.LBB384_4075:                           ;   in Loop: Header=BB384_2086 Depth=1
	s_or_b32 exec_lo, exec_lo, s17
	v_cmp_ne_u16_sdwa s4, v18, v13 src0_sel:BYTE_1 src1_sel:DWORD
	s_and_saveexec_b32 s17, s4
	s_cbranch_execz .LBB384_4083
; %bb.4076:                             ;   in Loop: Header=BB384_2086 Depth=1
	v_cmp_ne_u16_sdwa s4, v18, v116 src0_sel:BYTE_1 src1_sel:DWORD
	v_bfrev_b32_e32 v67, 1
	s_and_saveexec_b32 s18, s4
	s_cbranch_execz .LBB384_4082
; %bb.4077:                             ;   in Loop: Header=BB384_2086 Depth=1
	v_mov_b32_e32 v12, 0xffff
	v_mov_b32_e32 v67, 0x7f800001
	s_mov_b32 s20, exec_lo
	v_and_b32_sdwa v12, v12, v18 dst_sel:DWORD dst_unused:UNUSED_PAD src0_sel:DWORD src1_sel:BYTE_1
	v_and_b32_e32 v64, 0x7f, v12
	v_cmpx_ne_u32_e32 0x7f, v64
	s_cbranch_execz .LBB384_4081
; %bb.4078:                             ;   in Loop: Header=BB384_2086 Depth=1
	v_and_b32_e32 v12, 7, v12
	v_mov_b32_e32 v21, v13
	v_lshrrev_b32_e32 v17, 3, v64
	s_mov_b32 s21, exec_lo
	v_mov_b32_e32 v20, v12
	v_cmpx_gt_u32_e32 8, v64
; %bb.4079:                             ;   in Loop: Header=BB384_2086 Depth=1
	v_ffbh_u32_e32 v17, v12
	v_min_u32_e32 v17, 32, v17
	v_subrev_nc_u32_e32 v20, 28, v17
	v_sub_nc_u32_e32 v17, 29, v17
	v_lshlrev_b64 v[20:21], v20, v[12:13]
	v_and_b32_e32 v20, 7, v20
; %bb.4080:                             ;   in Loop: Header=BB384_2086 Depth=1
	s_or_b32 exec_lo, exec_lo, s21
	v_lshlrev_b32_e32 v12, 16, v18
	v_lshlrev_b32_e32 v20, 20, v20
	v_lshl_add_u32 v17, v17, 23, 0x3c000000
	v_and_b32_e32 v12, 0x80000000, v12
	v_or3_b32 v67, v20, v12, v17
.LBB384_4081:                           ;   in Loop: Header=BB384_2086 Depth=1
	s_or_b32 exec_lo, exec_lo, s20
.LBB384_4082:                           ;   in Loop: Header=BB384_2086 Depth=1
	s_or_b32 exec_lo, exec_lo, s18
.LBB384_4083:                           ;   in Loop: Header=BB384_2086 Depth=1
	s_or_b32 exec_lo, exec_lo, s17
	v_and_b32_sdwa v12, v18, v118 dst_sel:DWORD dst_unused:UNUSED_PAD src0_sel:WORD_1 src1_sel:DWORD
	v_mov_b32_e32 v65, 0
	v_mov_b32_e32 v66, 0
	s_mov_b32 s17, exec_lo
	v_cmpx_ne_u16_e32 0, v12
	s_cbranch_execz .LBB384_4091
; %bb.4084:                             ;   in Loop: Header=BB384_2086 Depth=1
	v_bfrev_b32_e32 v66, 1
	s_mov_b32 s18, exec_lo
	v_cmpx_ne_u16_e32 0x80, v12
	s_cbranch_execz .LBB384_4090
; %bb.4085:                             ;   in Loop: Header=BB384_2086 Depth=1
	v_bfe_u32 v64, v18, 16, 7
	v_mov_b32_e32 v66, 0x7f800001
	s_mov_b32 s20, exec_lo
	v_cmpx_ne_u32_e32 0x7f, v64
	s_cbranch_execz .LBB384_4089
; %bb.4086:                             ;   in Loop: Header=BB384_2086 Depth=1
	v_mov_b32_e32 v12, 7
	v_lshrrev_b32_e32 v17, 3, v64
	s_mov_b32 s21, exec_lo
	v_and_b32_sdwa v12, v18, v12 dst_sel:DWORD dst_unused:UNUSED_PAD src0_sel:WORD_1 src1_sel:DWORD
	v_mov_b32_e32 v21, v13
	v_mov_b32_e32 v20, v12
	v_cmpx_gt_u32_e32 8, v64
; %bb.4087:                             ;   in Loop: Header=BB384_2086 Depth=1
	v_ffbh_u32_e32 v17, v12
	v_min_u32_e32 v17, 32, v17
	v_subrev_nc_u32_e32 v20, 28, v17
	v_sub_nc_u32_e32 v17, 29, v17
	v_lshlrev_b64 v[20:21], v20, v[12:13]
	v_and_b32_e32 v20, 7, v20
; %bb.4088:                             ;   in Loop: Header=BB384_2086 Depth=1
	s_or_b32 exec_lo, exec_lo, s21
	v_mov_b32_e32 v12, 24
	v_lshlrev_b32_e32 v20, 20, v20
	v_lshl_add_u32 v17, v17, 23, 0x3c000000
	v_lshlrev_b32_sdwa v12, v12, v18 dst_sel:DWORD dst_unused:UNUSED_PAD src0_sel:DWORD src1_sel:WORD_1
	v_and_b32_e32 v12, 0x80000000, v12
	v_or3_b32 v66, v20, v12, v17
.LBB384_4089:                           ;   in Loop: Header=BB384_2086 Depth=1
	s_or_b32 exec_lo, exec_lo, s20
.LBB384_4090:                           ;   in Loop: Header=BB384_2086 Depth=1
	s_or_b32 exec_lo, exec_lo, s18
.LBB384_4091:                           ;   in Loop: Header=BB384_2086 Depth=1
	s_or_b32 exec_lo, exec_lo, s17
	s_mov_b32 s17, exec_lo
	v_cmpx_lt_u32_e32 0xffffff, v18
	s_cbranch_execz .LBB384_4099
; %bb.4092:                             ;   in Loop: Header=BB384_2086 Depth=1
	v_cmp_ne_u32_sdwa s4, v18, v116 src0_sel:BYTE_3 src1_sel:DWORD
	v_bfrev_b32_e32 v65, 1
	s_and_saveexec_b32 s18, s4
	s_cbranch_execz .LBB384_4098
; %bb.4093:                             ;   in Loop: Header=BB384_2086 Depth=1
	v_bfe_u32 v64, v18, 24, 7
	v_mov_b32_e32 v65, 0x7f800001
	s_mov_b32 s20, exec_lo
	v_cmpx_ne_u32_e32 0x7f, v64
	s_cbranch_execz .LBB384_4097
; %bb.4094:                             ;   in Loop: Header=BB384_2086 Depth=1
	v_mov_b32_e32 v12, 7
	v_lshrrev_b32_e32 v17, 3, v64
	s_mov_b32 s21, exec_lo
	v_and_b32_sdwa v12, v18, v12 dst_sel:DWORD dst_unused:UNUSED_PAD src0_sel:BYTE_3 src1_sel:DWORD
	v_mov_b32_e32 v21, v13
	v_mov_b32_e32 v20, v12
	v_cmpx_gt_u32_e32 8, v64
; %bb.4095:                             ;   in Loop: Header=BB384_2086 Depth=1
	v_ffbh_u32_e32 v17, v12
	v_min_u32_e32 v17, 32, v17
	v_subrev_nc_u32_e32 v20, 28, v17
	v_sub_nc_u32_e32 v17, 29, v17
	v_lshlrev_b64 v[20:21], v20, v[12:13]
	v_and_b32_e32 v20, 7, v20
; %bb.4096:                             ;   in Loop: Header=BB384_2086 Depth=1
	s_or_b32 exec_lo, exec_lo, s21
	v_mov_b32_e32 v12, 24
	v_lshlrev_b32_e32 v20, 20, v20
	v_lshl_add_u32 v17, v17, 23, 0x3c000000
	v_lshlrev_b32_sdwa v12, v12, v18 dst_sel:DWORD dst_unused:UNUSED_PAD src0_sel:DWORD src1_sel:BYTE_3
	v_and_b32_e32 v12, 0x80000000, v12
	v_or3_b32 v65, v20, v12, v17
.LBB384_4097:                           ;   in Loop: Header=BB384_2086 Depth=1
	s_or_b32 exec_lo, exec_lo, s20
.LBB384_4098:                           ;   in Loop: Header=BB384_2086 Depth=1
	s_or_b32 exec_lo, exec_lo, s18
.LBB384_4099:                           ;   in Loop: Header=BB384_2086 Depth=1
	s_or_b32 exec_lo, exec_lo, s17
	v_mov_b32_e32 v12, v19
	v_cmp_ne_u16_sdwa s4, v19, v13 src0_sel:BYTE_0 src1_sel:DWORD
	v_mov_b32_e32 v17, 0
	v_mov_b32_e32 v64, 0
	s_and_saveexec_b32 s17, s4
	s_cbranch_execz .LBB384_4107
; %bb.4100:                             ;   in Loop: Header=BB384_2086 Depth=1
	v_cmp_ne_u16_sdwa s4, v19, v116 src0_sel:BYTE_0 src1_sel:DWORD
	v_bfrev_b32_e32 v64, 1
	s_and_saveexec_b32 s18, s4
	s_cbranch_execz .LBB384_4106
; %bb.4101:                             ;   in Loop: Header=BB384_2086 Depth=1
	v_and_b32_e32 v68, 0x7f, v19
	v_mov_b32_e32 v64, 0x7f800001
	s_mov_b32 s20, exec_lo
	v_cmpx_ne_u32_e32 0x7f, v68
	s_cbranch_execz .LBB384_4105
; %bb.4102:                             ;   in Loop: Header=BB384_2086 Depth=1
	v_mov_b32_e32 v21, v13
	v_mov_b32_e32 v20, v12
	v_lshrrev_b32_e32 v21, 3, v68
	s_mov_b32 s21, exec_lo
	v_cmpx_gt_u32_e32 8, v68
; %bb.4103:                             ;   in Loop: Header=BB384_2086 Depth=1
	v_and_b32_e32 v20, 7, v19
	v_ffbh_u32_e32 v20, v20
	v_min_u32_e32 v64, 32, v20
	v_subrev_nc_u32_e32 v20, 28, v64
	v_lshlrev_b64 v[20:21], v20, v[12:13]
	v_sub_nc_u32_e32 v21, 29, v64
; %bb.4104:                             ;   in Loop: Header=BB384_2086 Depth=1
	s_or_b32 exec_lo, exec_lo, s21
	v_lshlrev_b32_e32 v20, 20, v20
	v_lshlrev_b32_e32 v64, 24, v12
	v_lshl_add_u32 v21, v21, 23, 0x3c000000
	v_and_b32_e32 v20, 0x700000, v20
	v_and_b32_e32 v64, 0x80000000, v64
	v_or3_b32 v64, v20, v64, v21
.LBB384_4105:                           ;   in Loop: Header=BB384_2086 Depth=1
	s_or_b32 exec_lo, exec_lo, s20
.LBB384_4106:                           ;   in Loop: Header=BB384_2086 Depth=1
	s_or_b32 exec_lo, exec_lo, s18
.LBB384_4107:                           ;   in Loop: Header=BB384_2086 Depth=1
	s_or_b32 exec_lo, exec_lo, s17
	v_cmp_ne_u16_sdwa s4, v12, v13 src0_sel:BYTE_1 src1_sel:DWORD
	s_and_saveexec_b32 s17, s4
	s_cbranch_execz .LBB384_4115
; %bb.4108:                             ;   in Loop: Header=BB384_2086 Depth=1
	v_cmp_ne_u16_sdwa s4, v12, v116 src0_sel:BYTE_1 src1_sel:DWORD
	v_bfrev_b32_e32 v17, 1
	s_and_saveexec_b32 s18, s4
	s_cbranch_execz .LBB384_4114
; %bb.4109:                             ;   in Loop: Header=BB384_2086 Depth=1
	v_mov_b32_e32 v17, 0xffff
	s_mov_b32 s20, exec_lo
	v_and_b32_sdwa v20, v17, v12 dst_sel:DWORD dst_unused:UNUSED_PAD src0_sel:DWORD src1_sel:BYTE_1
	v_mov_b32_e32 v17, 0x7f800001
	v_and_b32_e32 v68, 0x7f, v20
	v_cmpx_ne_u32_e32 0x7f, v68
	s_cbranch_execz .LBB384_4113
; %bb.4110:                             ;   in Loop: Header=BB384_2086 Depth=1
	v_and_b32_e32 v20, 7, v20
	v_mov_b32_e32 v21, v13
	v_lshrrev_b32_e32 v17, 3, v68
	s_mov_b32 s21, exec_lo
	v_cmpx_gt_u32_e32 8, v68
; %bb.4111:                             ;   in Loop: Header=BB384_2086 Depth=1
	v_ffbh_u32_e32 v17, v20
	v_min_u32_e32 v17, 32, v17
	v_subrev_nc_u32_e32 v68, 28, v17
	v_sub_nc_u32_e32 v17, 29, v17
	v_lshlrev_b64 v[20:21], v68, v[20:21]
	v_and_b32_e32 v20, 7, v20
; %bb.4112:                             ;   in Loop: Header=BB384_2086 Depth=1
	s_or_b32 exec_lo, exec_lo, s21
	v_lshlrev_b32_e32 v12, 16, v12
	v_lshlrev_b32_e32 v20, 20, v20
	v_lshl_add_u32 v17, v17, 23, 0x3c000000
	v_and_b32_e32 v12, 0x80000000, v12
	v_or3_b32 v17, v20, v12, v17
.LBB384_4113:                           ;   in Loop: Header=BB384_2086 Depth=1
	s_or_b32 exec_lo, exec_lo, s20
.LBB384_4114:                           ;   in Loop: Header=BB384_2086 Depth=1
	s_or_b32 exec_lo, exec_lo, s18
.LBB384_4115:                           ;   in Loop: Header=BB384_2086 Depth=1
	s_or_b32 exec_lo, exec_lo, s17
	v_and_b32_sdwa v12, v19, v118 dst_sel:DWORD dst_unused:UNUSED_PAD src0_sel:WORD_1 src1_sel:DWORD
	v_mov_b32_e32 v70, 0
	v_mov_b32_e32 v71, 0
	s_mov_b32 s17, exec_lo
	v_cmpx_ne_u16_e32 0, v12
	s_cbranch_execz .LBB384_4123
; %bb.4116:                             ;   in Loop: Header=BB384_2086 Depth=1
	v_bfrev_b32_e32 v71, 1
	s_mov_b32 s18, exec_lo
	v_cmpx_ne_u16_e32 0x80, v12
	s_cbranch_execz .LBB384_4122
; %bb.4117:                             ;   in Loop: Header=BB384_2086 Depth=1
	v_bfe_u32 v68, v19, 16, 7
	v_mov_b32_e32 v71, 0x7f800001
	s_mov_b32 s20, exec_lo
	v_cmpx_ne_u32_e32 0x7f, v68
	s_cbranch_execz .LBB384_4121
; %bb.4118:                             ;   in Loop: Header=BB384_2086 Depth=1
	v_mov_b32_e32 v12, 7
	s_mov_b32 s21, exec_lo
	v_and_b32_sdwa v12, v19, v12 dst_sel:DWORD dst_unused:UNUSED_PAD src0_sel:WORD_1 src1_sel:DWORD
	v_mov_b32_e32 v21, v13
	v_lshrrev_b32_e32 v21, 3, v68
	v_mov_b32_e32 v20, v12
	v_cmpx_gt_u32_e32 8, v68
; %bb.4119:                             ;   in Loop: Header=BB384_2086 Depth=1
	v_ffbh_u32_e32 v20, v12
	v_min_u32_e32 v68, 32, v20
	v_subrev_nc_u32_e32 v20, 28, v68
	v_lshlrev_b64 v[20:21], v20, v[12:13]
	v_sub_nc_u32_e32 v21, 29, v68
	v_and_b32_e32 v20, 7, v20
; %bb.4120:                             ;   in Loop: Header=BB384_2086 Depth=1
	s_or_b32 exec_lo, exec_lo, s21
	v_mov_b32_e32 v12, 24
	v_lshlrev_b32_e32 v20, 20, v20
	v_lshl_add_u32 v21, v21, 23, 0x3c000000
	v_lshlrev_b32_sdwa v12, v12, v19 dst_sel:DWORD dst_unused:UNUSED_PAD src0_sel:DWORD src1_sel:WORD_1
	v_and_b32_e32 v12, 0x80000000, v12
	v_or3_b32 v71, v20, v12, v21
.LBB384_4121:                           ;   in Loop: Header=BB384_2086 Depth=1
	s_or_b32 exec_lo, exec_lo, s20
.LBB384_4122:                           ;   in Loop: Header=BB384_2086 Depth=1
	s_or_b32 exec_lo, exec_lo, s18
.LBB384_4123:                           ;   in Loop: Header=BB384_2086 Depth=1
	s_or_b32 exec_lo, exec_lo, s17
	s_mov_b32 s17, exec_lo
	v_cmpx_lt_u64_e64 s[12:13], v[18:19]
	s_cbranch_execz .LBB384_4131
; %bb.4124:                             ;   in Loop: Header=BB384_2086 Depth=1
	v_cmp_ne_u32_sdwa s4, v19, v116 src0_sel:BYTE_3 src1_sel:DWORD
	v_bfrev_b32_e32 v70, 1
	s_and_saveexec_b32 s18, s4
	s_cbranch_execz .LBB384_4130
; %bb.4125:                             ;   in Loop: Header=BB384_2086 Depth=1
	v_bfe_u32 v68, v19, 24, 7
	v_mov_b32_e32 v70, 0x7f800001
	s_mov_b32 s20, exec_lo
	v_cmpx_ne_u32_e32 0x7f, v68
	s_cbranch_execz .LBB384_4129
; %bb.4126:                             ;   in Loop: Header=BB384_2086 Depth=1
	v_mov_b32_e32 v12, 7
	v_lshrrev_b32_e32 v18, 3, v68
	s_mov_b32 s21, exec_lo
	v_and_b32_sdwa v12, v19, v12 dst_sel:DWORD dst_unused:UNUSED_PAD src0_sel:BYTE_3 src1_sel:DWORD
	v_mov_b32_e32 v21, v13
	v_mov_b32_e32 v20, v12
	v_cmpx_gt_u32_e32 8, v68
; %bb.4127:                             ;   in Loop: Header=BB384_2086 Depth=1
	v_ffbh_u32_e32 v18, v12
	v_min_u32_e32 v18, 32, v18
	v_subrev_nc_u32_e32 v20, 28, v18
	v_sub_nc_u32_e32 v18, 29, v18
	v_lshlrev_b64 v[20:21], v20, v[12:13]
	v_and_b32_e32 v20, 7, v20
; %bb.4128:                             ;   in Loop: Header=BB384_2086 Depth=1
	s_or_b32 exec_lo, exec_lo, s21
	v_mov_b32_e32 v12, 24
	v_lshl_add_u32 v18, v18, 23, 0x3c000000
	v_lshlrev_b32_sdwa v12, v12, v19 dst_sel:DWORD dst_unused:UNUSED_PAD src0_sel:DWORD src1_sel:BYTE_3
	v_lshlrev_b32_e32 v19, 20, v20
	v_and_b32_e32 v12, 0x80000000, v12
	v_or3_b32 v70, v19, v12, v18
.LBB384_4129:                           ;   in Loop: Header=BB384_2086 Depth=1
	s_or_b32 exec_lo, exec_lo, s20
.LBB384_4130:                           ;   in Loop: Header=BB384_2086 Depth=1
	s_or_b32 exec_lo, exec_lo, s18
.LBB384_4131:                           ;   in Loop: Header=BB384_2086 Depth=1
	s_or_b32 exec_lo, exec_lo, s17
	v_mul_f32_e32 v12, v115, v17
	v_bfe_u32 v17, v12, 16, 1
	v_or_b32_e32 v18, 0x400000, v12
	v_cmp_u_f32_e64 s4, v12, v12
	v_add3_u32 v17, v17, v12, 0x7fff
	v_cndmask_b32_e64 v12, v17, v18, s4
	v_lshrrev_b32_e32 v17, 16, v12
	v_mul_f32_e32 v12, v115, v64
	v_bfe_u32 v18, v12, 16, 1
	v_or_b32_e32 v19, 0x400000, v12
	v_cmp_u_f32_e64 s4, v12, v12
	v_add3_u32 v18, v18, v12, 0x7fff
	v_cndmask_b32_e64 v12, v18, v19, s4
	v_lshrrev_b32_e32 v64, 16, v12
	v_mul_f32_e32 v12, v115, v65
	v_bfe_u32 v18, v12, 16, 1
	v_or_b32_e32 v19, 0x400000, v12
	v_cmp_u_f32_e64 s4, v12, v12
	v_add3_u32 v18, v18, v12, 0x7fff
	v_cndmask_b32_e64 v12, v18, v19, s4
	v_lshrrev_b32_e32 v65, 16, v12
	v_mul_f32_e32 v12, v115, v66
	v_bfe_u32 v18, v12, 16, 1
	v_or_b32_e32 v19, 0x400000, v12
	v_cmp_u_f32_e64 s4, v12, v12
	v_add3_u32 v18, v18, v12, 0x7fff
	v_cndmask_b32_e64 v12, v18, v19, s4
	v_lshrrev_b32_e32 v66, 16, v12
	v_mul_f32_e32 v12, v115, v67
	v_bfe_u32 v18, v12, 16, 1
	v_or_b32_e32 v19, 0x400000, v12
	v_cmp_u_f32_e64 s4, v12, v12
	v_add3_u32 v18, v18, v12, 0x7fff
	v_cndmask_b32_e64 v12, v18, v19, s4
	v_lshrrev_b32_e32 v68, 16, v12
	v_mul_f32_e32 v12, v115, v23
	v_bfe_u32 v18, v12, 16, 1
	v_or_b32_e32 v19, 0x400000, v12
	v_cmp_u_f32_e64 s4, v12, v12
	v_add3_u32 v18, v18, v12, 0x7fff
	v_cndmask_b32_e64 v12, v18, v19, s4
	v_lshrrev_b32_e32 v69, 16, v12
	v_mul_f32_e32 v12, v115, v71
	v_bfe_u32 v18, v12, 16, 1
	v_or_b32_e32 v19, 0x400000, v12
	v_cmp_u_f32_e64 s4, v12, v12
	v_add3_u32 v18, v18, v12, 0x7fff
	v_cndmask_b32_e64 v12, v18, v19, s4
	v_lshrrev_b32_e32 v67, 16, v12
	v_mul_f32_e32 v12, v115, v70
	v_bfe_u32 v18, v12, 16, 1
	v_or_b32_e32 v19, 0x400000, v12
	v_cmp_u_f32_e64 s4, v12, v12
	v_add3_u32 v18, v18, v12, 0x7fff
	v_cndmask_b32_e64 v12, v18, v19, s4
	v_lshrrev_b32_e32 v70, 16, v12
	s_and_saveexec_b32 s17, vcc_lo
	s_cbranch_execz .LBB384_4133
; %bb.4132:                             ;   in Loop: Header=BB384_2086 Depth=1
	v_cmp_lt_i32_e64 s4, v114, v48
	v_cndmask_b32_e64 v69, 0, v69, s4
	v_cmp_lt_i32_e64 s4, v10, v48
	v_cndmask_b32_e64 v68, 0, v68, s4
	v_cmp_lt_i32_e64 s4, v26, v48
	v_cndmask_b32_e64 v66, 0, v66, s4
	v_cmp_lt_i32_e64 s4, v27, v48
	v_cndmask_b32_e64 v65, 0, v65, s4
	v_cmp_lt_i32_e64 s4, v37, v48
	v_cndmask_b32_e64 v64, 0, v64, s4
	v_cmp_lt_i32_e64 s4, v43, v48
	v_cndmask_b32_e64 v17, 0, v17, s4
	v_cmp_lt_i32_e64 s4, v42, v48
	v_cndmask_b32_e64 v67, 0, v67, s4
	v_cmp_lt_i32_e64 s4, v41, v48
	v_cndmask_b32_e64 v70, 0, v70, s4
.LBB384_4133:                           ;   in Loop: Header=BB384_2086 Depth=1
	s_or_b32 exec_lo, exec_lo, s17
	buffer_load_dword v12, off, s[0:3], s32 offset:1028 ; 4-byte Folded Reload
	v_mov_b32_e32 v21, 0
	v_mov_b32_e32 v20, 0
	s_waitcnt vmcnt(0)
	v_add_co_u32 v14, s4, v14, v12
	v_add_co_ci_u32_e64 v15, null, 0, v15, s4
	flat_load_dwordx2 v[14:15], v[14:15]
	s_waitcnt vmcnt(0) lgkmcnt(0)
	v_cmp_ne_u16_sdwa s4, v14, v13 src0_sel:BYTE_0 src1_sel:DWORD
	s_and_saveexec_b32 s17, s4
	s_cbranch_execz .LBB384_4141
; %bb.4134:                             ;   in Loop: Header=BB384_2086 Depth=1
	v_cmp_ne_u16_sdwa s4, v14, v116 src0_sel:BYTE_0 src1_sel:DWORD
	v_bfrev_b32_e32 v20, 1
	s_and_saveexec_b32 s18, s4
	s_cbranch_execz .LBB384_4140
; %bb.4135:                             ;   in Loop: Header=BB384_2086 Depth=1
	v_and_b32_e32 v18, 0x7f, v14
	v_mov_b32_e32 v20, 0x7f800001
	s_mov_b32 s20, exec_lo
	v_cmpx_ne_u32_e32 0x7f, v18
	s_cbranch_execz .LBB384_4139
; %bb.4136:                             ;   in Loop: Header=BB384_2086 Depth=1
	v_lshrrev_b32_e32 v12, 3, v18
	v_cmp_gt_u32_e64 s4, 8, v18
	v_mov_b32_e32 v19, v15
	v_mov_b32_e32 v18, v14
	s_and_saveexec_b32 s21, s4
; %bb.4137:                             ;   in Loop: Header=BB384_2086 Depth=1
	v_and_b32_e32 v12, 7, v14
	v_ffbh_u32_e32 v12, v12
	v_min_u32_e32 v12, 32, v12
	v_subrev_nc_u32_e32 v18, 28, v12
	v_sub_nc_u32_e32 v12, 29, v12
	v_lshlrev_b64 v[18:19], v18, v[14:15]
; %bb.4138:                             ;   in Loop: Header=BB384_2086 Depth=1
	s_or_b32 exec_lo, exec_lo, s21
	v_lshlrev_b32_e32 v18, 20, v18
	v_lshlrev_b32_e32 v19, 24, v14
	v_lshl_add_u32 v12, v12, 23, 0x3c000000
	v_and_b32_e32 v18, 0x700000, v18
	v_and_b32_e32 v19, 0x80000000, v19
	v_or3_b32 v20, v18, v19, v12
.LBB384_4139:                           ;   in Loop: Header=BB384_2086 Depth=1
	s_or_b32 exec_lo, exec_lo, s20
.LBB384_4140:                           ;   in Loop: Header=BB384_2086 Depth=1
	s_or_b32 exec_lo, exec_lo, s18
.LBB384_4141:                           ;   in Loop: Header=BB384_2086 Depth=1
	s_or_b32 exec_lo, exec_lo, s17
	v_cmp_ne_u16_sdwa s4, v14, v13 src0_sel:BYTE_1 src1_sel:DWORD
	s_and_saveexec_b32 s17, s4
	s_cbranch_execz .LBB384_4149
; %bb.4142:                             ;   in Loop: Header=BB384_2086 Depth=1
	v_cmp_ne_u16_sdwa s4, v14, v116 src0_sel:BYTE_1 src1_sel:DWORD
	v_bfrev_b32_e32 v21, 1
	s_and_saveexec_b32 s18, s4
	s_cbranch_execz .LBB384_4148
; %bb.4143:                             ;   in Loop: Header=BB384_2086 Depth=1
	v_mov_b32_e32 v12, 0xffff
	v_mov_b32_e32 v21, 0x7f800001
	s_mov_b32 s20, exec_lo
	v_and_b32_sdwa v12, v12, v14 dst_sel:DWORD dst_unused:UNUSED_PAD src0_sel:DWORD src1_sel:BYTE_1
	v_and_b32_e32 v23, 0x7f, v12
	v_cmpx_ne_u32_e32 0x7f, v23
	s_cbranch_execz .LBB384_4147
; %bb.4144:                             ;   in Loop: Header=BB384_2086 Depth=1
	v_and_b32_e32 v12, 7, v12
	v_mov_b32_e32 v19, v13
	v_lshrrev_b32_e32 v19, 3, v23
	s_mov_b32 s21, exec_lo
	v_mov_b32_e32 v18, v12
	v_cmpx_gt_u32_e32 8, v23
; %bb.4145:                             ;   in Loop: Header=BB384_2086 Depth=1
	v_ffbh_u32_e32 v18, v12
	v_min_u32_e32 v21, 32, v18
	v_subrev_nc_u32_e32 v18, 28, v21
	v_lshlrev_b64 v[18:19], v18, v[12:13]
	v_sub_nc_u32_e32 v19, 29, v21
	v_and_b32_e32 v18, 7, v18
; %bb.4146:                             ;   in Loop: Header=BB384_2086 Depth=1
	s_or_b32 exec_lo, exec_lo, s21
	v_lshlrev_b32_e32 v12, 16, v14
	v_lshlrev_b32_e32 v18, 20, v18
	v_lshl_add_u32 v19, v19, 23, 0x3c000000
	v_and_b32_e32 v12, 0x80000000, v12
	v_or3_b32 v21, v18, v12, v19
.LBB384_4147:                           ;   in Loop: Header=BB384_2086 Depth=1
	s_or_b32 exec_lo, exec_lo, s20
.LBB384_4148:                           ;   in Loop: Header=BB384_2086 Depth=1
	s_or_b32 exec_lo, exec_lo, s18
.LBB384_4149:                           ;   in Loop: Header=BB384_2086 Depth=1
	s_or_b32 exec_lo, exec_lo, s17
	v_and_b32_sdwa v12, v14, v118 dst_sel:DWORD dst_unused:UNUSED_PAD src0_sel:WORD_1 src1_sel:DWORD
	v_mov_b32_e32 v71, 0
	v_mov_b32_e32 v23, 0
	s_mov_b32 s17, exec_lo
	v_cmpx_ne_u16_e32 0, v12
	s_cbranch_execz .LBB384_4157
; %bb.4150:                             ;   in Loop: Header=BB384_2086 Depth=1
	v_bfrev_b32_e32 v23, 1
	s_mov_b32 s18, exec_lo
	v_cmpx_ne_u16_e32 0x80, v12
	s_cbranch_execz .LBB384_4156
; %bb.4151:                             ;   in Loop: Header=BB384_2086 Depth=1
	v_bfe_u32 v80, v14, 16, 7
	v_mov_b32_e32 v23, 0x7f800001
	s_mov_b32 s20, exec_lo
	v_cmpx_ne_u32_e32 0x7f, v80
	s_cbranch_execz .LBB384_4155
; %bb.4152:                             ;   in Loop: Header=BB384_2086 Depth=1
	v_mov_b32_e32 v12, 7
	s_mov_b32 s21, exec_lo
	v_and_b32_sdwa v12, v14, v12 dst_sel:DWORD dst_unused:UNUSED_PAD src0_sel:WORD_1 src1_sel:DWORD
	v_mov_b32_e32 v19, v13
	v_lshrrev_b32_e32 v19, 3, v80
	v_mov_b32_e32 v18, v12
	v_cmpx_gt_u32_e32 8, v80
; %bb.4153:                             ;   in Loop: Header=BB384_2086 Depth=1
	v_ffbh_u32_e32 v18, v12
	v_min_u32_e32 v23, 32, v18
	v_subrev_nc_u32_e32 v18, 28, v23
	v_lshlrev_b64 v[18:19], v18, v[12:13]
	v_sub_nc_u32_e32 v19, 29, v23
	v_and_b32_e32 v18, 7, v18
; %bb.4154:                             ;   in Loop: Header=BB384_2086 Depth=1
	s_or_b32 exec_lo, exec_lo, s21
	v_mov_b32_e32 v12, 24
	v_lshlrev_b32_e32 v18, 20, v18
	v_lshl_add_u32 v19, v19, 23, 0x3c000000
	v_lshlrev_b32_sdwa v12, v12, v14 dst_sel:DWORD dst_unused:UNUSED_PAD src0_sel:DWORD src1_sel:WORD_1
	v_and_b32_e32 v12, 0x80000000, v12
	v_or3_b32 v23, v18, v12, v19
.LBB384_4155:                           ;   in Loop: Header=BB384_2086 Depth=1
	s_or_b32 exec_lo, exec_lo, s20
.LBB384_4156:                           ;   in Loop: Header=BB384_2086 Depth=1
	s_or_b32 exec_lo, exec_lo, s18
.LBB384_4157:                           ;   in Loop: Header=BB384_2086 Depth=1
	s_or_b32 exec_lo, exec_lo, s17
	s_mov_b32 s17, exec_lo
	v_cmpx_lt_u32_e32 0xffffff, v14
	s_cbranch_execz .LBB384_4165
; %bb.4158:                             ;   in Loop: Header=BB384_2086 Depth=1
	v_cmp_ne_u32_sdwa s4, v14, v116 src0_sel:BYTE_3 src1_sel:DWORD
	v_bfrev_b32_e32 v71, 1
	s_and_saveexec_b32 s18, s4
	s_cbranch_execz .LBB384_4164
; %bb.4159:                             ;   in Loop: Header=BB384_2086 Depth=1
	v_bfe_u32 v80, v14, 24, 7
	v_mov_b32_e32 v71, 0x7f800001
	s_mov_b32 s20, exec_lo
	v_cmpx_ne_u32_e32 0x7f, v80
	s_cbranch_execz .LBB384_4163
; %bb.4160:                             ;   in Loop: Header=BB384_2086 Depth=1
	v_mov_b32_e32 v12, 7
	s_mov_b32 s21, exec_lo
	v_and_b32_sdwa v12, v14, v12 dst_sel:DWORD dst_unused:UNUSED_PAD src0_sel:BYTE_3 src1_sel:DWORD
	v_mov_b32_e32 v19, v13
	v_lshrrev_b32_e32 v19, 3, v80
	v_mov_b32_e32 v18, v12
	v_cmpx_gt_u32_e32 8, v80
; %bb.4161:                             ;   in Loop: Header=BB384_2086 Depth=1
	v_ffbh_u32_e32 v18, v12
	v_min_u32_e32 v71, 32, v18
	v_subrev_nc_u32_e32 v18, 28, v71
	v_lshlrev_b64 v[18:19], v18, v[12:13]
	v_sub_nc_u32_e32 v19, 29, v71
	v_and_b32_e32 v18, 7, v18
; %bb.4162:                             ;   in Loop: Header=BB384_2086 Depth=1
	s_or_b32 exec_lo, exec_lo, s21
	v_mov_b32_e32 v12, 24
	v_lshlrev_b32_e32 v18, 20, v18
	v_lshl_add_u32 v19, v19, 23, 0x3c000000
	v_lshlrev_b32_sdwa v12, v12, v14 dst_sel:DWORD dst_unused:UNUSED_PAD src0_sel:DWORD src1_sel:BYTE_3
	v_and_b32_e32 v12, 0x80000000, v12
	v_or3_b32 v71, v18, v12, v19
.LBB384_4163:                           ;   in Loop: Header=BB384_2086 Depth=1
	s_or_b32 exec_lo, exec_lo, s20
.LBB384_4164:                           ;   in Loop: Header=BB384_2086 Depth=1
	s_or_b32 exec_lo, exec_lo, s18
.LBB384_4165:                           ;   in Loop: Header=BB384_2086 Depth=1
	s_or_b32 exec_lo, exec_lo, s17
	v_mov_b32_e32 v12, v15
	v_cmp_ne_u16_sdwa s4, v15, v13 src0_sel:BYTE_0 src1_sel:DWORD
	v_mov_b32_e32 v119, 0
	v_mov_b32_e32 v117, 0
	s_and_saveexec_b32 s17, s4
	s_cbranch_execz .LBB384_4173
; %bb.4166:                             ;   in Loop: Header=BB384_2086 Depth=1
	v_cmp_ne_u16_sdwa s4, v15, v116 src0_sel:BYTE_0 src1_sel:DWORD
	v_bfrev_b32_e32 v117, 1
	s_and_saveexec_b32 s18, s4
	s_cbranch_execz .LBB384_4172
; %bb.4167:                             ;   in Loop: Header=BB384_2086 Depth=1
	v_and_b32_e32 v80, 0x7f, v15
	v_mov_b32_e32 v117, 0x7f800001
	s_mov_b32 s20, exec_lo
	v_cmpx_ne_u32_e32 0x7f, v80
	s_cbranch_execz .LBB384_4171
; %bb.4168:                             ;   in Loop: Header=BB384_2086 Depth=1
	v_mov_b32_e32 v19, v13
	v_mov_b32_e32 v18, v12
	v_lshrrev_b32_e32 v19, 3, v80
	s_mov_b32 s21, exec_lo
	v_cmpx_gt_u32_e32 8, v80
; %bb.4169:                             ;   in Loop: Header=BB384_2086 Depth=1
	v_and_b32_e32 v18, 7, v15
	v_ffbh_u32_e32 v18, v18
	v_min_u32_e32 v80, 32, v18
	v_subrev_nc_u32_e32 v18, 28, v80
	v_lshlrev_b64 v[18:19], v18, v[12:13]
	v_sub_nc_u32_e32 v19, 29, v80
; %bb.4170:                             ;   in Loop: Header=BB384_2086 Depth=1
	s_or_b32 exec_lo, exec_lo, s21
	v_lshlrev_b32_e32 v18, 20, v18
	v_lshlrev_b32_e32 v80, 24, v12
	v_lshl_add_u32 v19, v19, 23, 0x3c000000
	v_and_b32_e32 v18, 0x700000, v18
	v_and_b32_e32 v80, 0x80000000, v80
	v_or3_b32 v117, v18, v80, v19
.LBB384_4171:                           ;   in Loop: Header=BB384_2086 Depth=1
	s_or_b32 exec_lo, exec_lo, s20
.LBB384_4172:                           ;   in Loop: Header=BB384_2086 Depth=1
	s_or_b32 exec_lo, exec_lo, s18
.LBB384_4173:                           ;   in Loop: Header=BB384_2086 Depth=1
	s_or_b32 exec_lo, exec_lo, s17
	v_cmp_ne_u16_sdwa s4, v12, v13 src0_sel:BYTE_1 src1_sel:DWORD
	s_and_saveexec_b32 s17, s4
	s_cbranch_execz .LBB384_4181
; %bb.4174:                             ;   in Loop: Header=BB384_2086 Depth=1
	v_cmp_ne_u16_sdwa s4, v12, v116 src0_sel:BYTE_1 src1_sel:DWORD
	v_bfrev_b32_e32 v119, 1
	s_and_saveexec_b32 s18, s4
	s_cbranch_execz .LBB384_4180
; %bb.4175:                             ;   in Loop: Header=BB384_2086 Depth=1
	v_mov_b32_e32 v18, 0xffff
	v_mov_b32_e32 v119, 0x7f800001
	s_mov_b32 s20, exec_lo
	v_and_b32_sdwa v18, v18, v12 dst_sel:DWORD dst_unused:UNUSED_PAD src0_sel:DWORD src1_sel:BYTE_1
	v_and_b32_e32 v81, 0x7f, v18
	v_cmpx_ne_u32_e32 0x7f, v81
	s_cbranch_execz .LBB384_4179
; %bb.4176:                             ;   in Loop: Header=BB384_2086 Depth=1
	v_and_b32_e32 v18, 7, v18
	v_mov_b32_e32 v19, v13
	v_lshrrev_b32_e32 v80, 3, v81
	s_mov_b32 s21, exec_lo
	v_cmpx_gt_u32_e32 8, v81
; %bb.4177:                             ;   in Loop: Header=BB384_2086 Depth=1
	v_ffbh_u32_e32 v80, v18
	v_min_u32_e32 v80, 32, v80
	v_subrev_nc_u32_e32 v81, 28, v80
	v_sub_nc_u32_e32 v80, 29, v80
	v_lshlrev_b64 v[18:19], v81, v[18:19]
	v_and_b32_e32 v18, 7, v18
; %bb.4178:                             ;   in Loop: Header=BB384_2086 Depth=1
	s_or_b32 exec_lo, exec_lo, s21
	v_lshlrev_b32_e32 v12, 16, v12
	v_lshlrev_b32_e32 v18, 20, v18
	v_lshl_add_u32 v19, v80, 23, 0x3c000000
	v_and_b32_e32 v12, 0x80000000, v12
	v_or3_b32 v119, v18, v12, v19
.LBB384_4179:                           ;   in Loop: Header=BB384_2086 Depth=1
	s_or_b32 exec_lo, exec_lo, s20
.LBB384_4180:                           ;   in Loop: Header=BB384_2086 Depth=1
	s_or_b32 exec_lo, exec_lo, s18
.LBB384_4181:                           ;   in Loop: Header=BB384_2086 Depth=1
	s_or_b32 exec_lo, exec_lo, s17
	v_and_b32_sdwa v12, v15, v118 dst_sel:DWORD dst_unused:UNUSED_PAD src0_sel:WORD_1 src1_sel:DWORD
	v_mov_b32_e32 v80, 0
	v_mov_b32_e32 v81, 0
	s_mov_b32 s17, exec_lo
	v_cmpx_ne_u16_e32 0, v12
	s_cbranch_execz .LBB384_4189
; %bb.4182:                             ;   in Loop: Header=BB384_2086 Depth=1
	v_bfrev_b32_e32 v81, 1
	s_mov_b32 s18, exec_lo
	v_cmpx_ne_u16_e32 0x80, v12
	s_cbranch_execz .LBB384_4188
; %bb.4183:                             ;   in Loop: Header=BB384_2086 Depth=1
	v_bfe_u32 v40, v15, 16, 7
	v_mov_b32_e32 v81, 0x7f800001
	s_mov_b32 s20, exec_lo
	v_cmpx_ne_u32_e32 0x7f, v40
	s_cbranch_execz .LBB384_4187
; %bb.4184:                             ;   in Loop: Header=BB384_2086 Depth=1
	v_mov_b32_e32 v12, 7
	s_mov_b32 s21, exec_lo
	v_and_b32_sdwa v12, v15, v12 dst_sel:DWORD dst_unused:UNUSED_PAD src0_sel:WORD_1 src1_sel:DWORD
	v_mov_b32_e32 v19, v13
	v_lshrrev_b32_e32 v19, 3, v40
	v_mov_b32_e32 v18, v12
	v_cmpx_gt_u32_e32 8, v40
; %bb.4185:                             ;   in Loop: Header=BB384_2086 Depth=1
	v_ffbh_u32_e32 v18, v12
	v_min_u32_e32 v81, 32, v18
	v_subrev_nc_u32_e32 v18, 28, v81
	v_lshlrev_b64 v[18:19], v18, v[12:13]
	v_sub_nc_u32_e32 v19, 29, v81
	v_and_b32_e32 v18, 7, v18
; %bb.4186:                             ;   in Loop: Header=BB384_2086 Depth=1
	s_or_b32 exec_lo, exec_lo, s21
	v_mov_b32_e32 v12, 24
	v_lshlrev_b32_e32 v18, 20, v18
	v_lshl_add_u32 v19, v19, 23, 0x3c000000
	v_lshlrev_b32_sdwa v12, v12, v15 dst_sel:DWORD dst_unused:UNUSED_PAD src0_sel:DWORD src1_sel:WORD_1
	v_and_b32_e32 v12, 0x80000000, v12
	v_or3_b32 v81, v18, v12, v19
.LBB384_4187:                           ;   in Loop: Header=BB384_2086 Depth=1
	s_or_b32 exec_lo, exec_lo, s20
.LBB384_4188:                           ;   in Loop: Header=BB384_2086 Depth=1
	s_or_b32 exec_lo, exec_lo, s18
.LBB384_4189:                           ;   in Loop: Header=BB384_2086 Depth=1
	s_or_b32 exec_lo, exec_lo, s17
	s_mov_b32 s17, exec_lo
	v_cmpx_lt_u64_e64 s[12:13], v[14:15]
	s_cbranch_execz .LBB384_4197
; %bb.4190:                             ;   in Loop: Header=BB384_2086 Depth=1
	v_cmp_ne_u32_sdwa s4, v15, v116 src0_sel:BYTE_3 src1_sel:DWORD
	v_bfrev_b32_e32 v80, 1
	s_and_saveexec_b32 s18, s4
	s_cbranch_execz .LBB384_4196
; %bb.4191:                             ;   in Loop: Header=BB384_2086 Depth=1
	v_bfe_u32 v40, v15, 24, 7
	v_mov_b32_e32 v80, 0x7f800001
	s_mov_b32 s20, exec_lo
	v_cmpx_ne_u32_e32 0x7f, v40
	s_cbranch_execz .LBB384_4195
; %bb.4192:                             ;   in Loop: Header=BB384_2086 Depth=1
	v_mov_b32_e32 v12, 7
	v_lshrrev_b32_e32 v14, 3, v40
	s_mov_b32 s21, exec_lo
	v_and_b32_sdwa v12, v15, v12 dst_sel:DWORD dst_unused:UNUSED_PAD src0_sel:BYTE_3 src1_sel:DWORD
	v_mov_b32_e32 v19, v13
	v_mov_b32_e32 v18, v12
	v_cmpx_gt_u32_e32 8, v40
; %bb.4193:                             ;   in Loop: Header=BB384_2086 Depth=1
	v_ffbh_u32_e32 v14, v12
	v_min_u32_e32 v14, 32, v14
	v_subrev_nc_u32_e32 v18, 28, v14
	v_sub_nc_u32_e32 v14, 29, v14
	v_lshlrev_b64 v[18:19], v18, v[12:13]
	v_and_b32_e32 v18, 7, v18
; %bb.4194:                             ;   in Loop: Header=BB384_2086 Depth=1
	s_or_b32 exec_lo, exec_lo, s21
	v_mov_b32_e32 v12, 24
	v_lshl_add_u32 v14, v14, 23, 0x3c000000
	v_lshlrev_b32_sdwa v12, v12, v15 dst_sel:DWORD dst_unused:UNUSED_PAD src0_sel:DWORD src1_sel:BYTE_3
	v_lshlrev_b32_e32 v15, 20, v18
	v_and_b32_e32 v12, 0x80000000, v12
	v_or3_b32 v80, v15, v12, v14
.LBB384_4195:                           ;   in Loop: Header=BB384_2086 Depth=1
	s_or_b32 exec_lo, exec_lo, s20
.LBB384_4196:                           ;   in Loop: Header=BB384_2086 Depth=1
	s_or_b32 exec_lo, exec_lo, s18
.LBB384_4197:                           ;   in Loop: Header=BB384_2086 Depth=1
	s_or_b32 exec_lo, exec_lo, s17
	v_mul_f32_e32 v12, v115, v119
	v_bfe_u32 v14, v12, 16, 1
	v_or_b32_e32 v15, 0x400000, v12
	v_cmp_u_f32_e64 s4, v12, v12
	v_add3_u32 v14, v14, v12, 0x7fff
	v_cndmask_b32_e64 v12, v14, v15, s4
	v_mul_f32_e32 v14, v115, v117
	v_lshrrev_b32_e32 v12, 16, v12
	v_bfe_u32 v15, v14, 16, 1
	v_or_b32_e32 v18, 0x400000, v14
	v_cmp_u_f32_e64 s4, v14, v14
	v_add3_u32 v15, v15, v14, 0x7fff
	v_cndmask_b32_e64 v14, v15, v18, s4
	v_mul_f32_e32 v15, v115, v71
	v_lshrrev_b32_e32 v14, 16, v14
	;; [unrolled: 7-line block ×3, first 2 shown]
	v_bfe_u32 v19, v18, 16, 1
	v_or_b32_e32 v23, 0x400000, v18
	v_cmp_u_f32_e64 s4, v18, v18
	v_add3_u32 v19, v19, v18, 0x7fff
	v_cndmask_b32_e64 v18, v19, v23, s4
	v_lshrrev_b32_e32 v19, 16, v18
	v_mul_f32_e32 v18, v115, v21
	v_bfe_u32 v21, v18, 16, 1
	v_or_b32_e32 v23, 0x400000, v18
	v_cmp_u_f32_e64 s4, v18, v18
	v_add3_u32 v21, v21, v18, 0x7fff
	v_cndmask_b32_e64 v18, v21, v23, s4
	v_lshrrev_b32_e32 v21, 16, v18
	v_mul_f32_e32 v18, v115, v20
	;; [unrolled: 7-line block ×3, first 2 shown]
	v_bfe_u32 v20, v18, 16, 1
	v_or_b32_e32 v71, 0x400000, v18
	v_cmp_u_f32_e64 s4, v18, v18
	v_add3_u32 v20, v20, v18, 0x7fff
	v_cndmask_b32_e64 v18, v20, v71, s4
	v_mul_f32_e32 v20, v115, v80
	v_lshrrev_b32_e32 v18, 16, v18
	v_bfe_u32 v71, v20, 16, 1
	v_or_b32_e32 v80, 0x400000, v20
	v_cmp_u_f32_e64 s4, v20, v20
	v_add3_u32 v71, v71, v20, 0x7fff
	v_cndmask_b32_e64 v20, v71, v80, s4
	v_lshrrev_b32_e32 v20, 16, v20
	s_and_saveexec_b32 s4, vcc_lo
	s_cbranch_execz .LBB384_2084
; %bb.4198:                             ;   in Loop: Header=BB384_2086 Depth=1
	v_cmp_lt_i32_e32 vcc_lo, v114, v48
	v_cndmask_b32_e32 v23, 0, v23, vcc_lo
	v_cmp_lt_i32_e32 vcc_lo, v10, v48
	v_cndmask_b32_e32 v21, 0, v21, vcc_lo
	;; [unrolled: 2-line block ×8, first 2 shown]
	s_branch .LBB384_2084
.LBB384_4199:
	s_or_b32 exec_lo, exec_lo, s15
	s_clause 0x20
	buffer_load_dword v70, off, s[0:3], s32 offset:1032
	buffer_load_dword v39, off, s[0:3], s32 offset:1036
	;; [unrolled: 1-line block ×33, first 2 shown]
.LBB384_4200:
	s_or_b32 exec_lo, exec_lo, s7
	s_waitcnt vmcnt(0)
	ds_bpermute_b32 v0, v39, v31
	ds_bpermute_b32 v2, v39, v29
	;; [unrolled: 1-line block ×15, first 2 shown]
	s_waitcnt lgkmcnt(0)
	s_waitcnt_vscnt null, 0x0
	s_barrier
	buffer_gl0_inv
	ds_bpermute_b32 v11, v39, v19
	s_load_dword s4, s[8:9], 0x0
	v_add_f32_e32 v0, v31, v0
	v_add_f32_e32 v2, v29, v2
	;; [unrolled: 1-line block ×5, first 2 shown]
	ds_bpermute_b32 v16, v70, v0
	ds_bpermute_b32 v18, v70, v2
	v_add_f32_e32 v6, v17, v6
	ds_bpermute_b32 v17, v70, v1
	v_add_f32_e32 v4, v27, v4
	v_add_f32_e32 v5, v23, v5
	;; [unrolled: 1-line block ×5, first 2 shown]
	ds_bpermute_b32 v20, v70, v4
	ds_bpermute_b32 v21, v70, v5
	;; [unrolled: 1-line block ×3, first 2 shown]
	v_add_f32_e32 v15, v24, v15
	ds_bpermute_b32 v24, v70, v8
	ds_bpermute_b32 v34, v70, v10
	v_add_f32_e32 v3, v28, v3
	ds_bpermute_b32 v22, v70, v6
	v_add_f32_e32 v13, v26, v13
	;; [unrolled: 2-line block ×3, first 2 shown]
	s_waitcnt lgkmcnt(0)
	v_add_f32_e32 v33, v0, v16
	ds_bpermute_b32 v0, v39, v80
	v_add_f32_e32 v32, v2, v18
	ds_bpermute_b32 v2, v39, v71
	;; [unrolled: 2-line block ×4, first 2 shown]
	ds_bpermute_b32 v37, v70, v14
	v_add_f32_e32 v29, v4, v20
	v_add_f32_e32 v27, v5, v21
	;; [unrolled: 1-line block ×3, first 2 shown]
	ds_bpermute_b32 v7, v39, v65
	v_add_f32_e32 v26, v8, v24
	v_add_f32_e32 v20, v10, v34
	ds_bpermute_b32 v24, v39, v82
	v_add_f32_e32 v25, v6, v22
	ds_bpermute_b32 v35, v70, v11
	;; [unrolled: 2-line block ×3, first 2 shown]
	ds_bpermute_b32 v38, v70, v15
	s_waitcnt lgkmcnt(9)
	v_add_f32_e32 v0, v80, v0
	ds_bpermute_b32 v4, v39, v68
	s_waitcnt lgkmcnt(9)
	v_add_f32_e32 v2, v71, v2
	;; [unrolled: 3-line block ×4, first 2 shown]
	ds_bpermute_b32 v34, v70, v2
	ds_bpermute_b32 v3, v39, v69
	;; [unrolled: 1-line block ×3, first 2 shown]
	s_waitcnt lgkmcnt(11)
	v_add_f32_e32 v12, v14, v37
	s_waitcnt lgkmcnt(10)
	v_add_f32_e32 v7, v65, v7
	ds_bpermute_b32 v8, v39, v52
	ds_bpermute_b32 v10, v39, v51
	s_waitcnt lgkmcnt(11)
	v_add_f32_e32 v65, v82, v24
	ds_bpermute_b32 v14, v39, v49
	s_waitcnt lgkmcnt(11)
	v_add_f32_e32 v17, v11, v35
	;; [unrolled: 3-line block ×3, first 2 shown]
	s_waitcnt lgkmcnt(10)
	v_add_f32_e32 v9, v15, v38
	ds_bpermute_b32 v15, v39, v53
	ds_bpermute_b32 v18, v39, v54
	;; [unrolled: 1-line block ×4, first 2 shown]
	s_waitcnt lgkmcnt(13)
	v_add_f32_e32 v4, v68, v4
	s_waitcnt lgkmcnt(11)
	v_add_f32_e32 v28, v0, v1
	buffer_load_dword v0, off, s[0:3], s32 offset:1272 ; 4-byte Folded Reload
	s_waitcnt lgkmcnt(10)
	v_add_f32_e32 v24, v2, v34
	buffer_load_dword v34, off, s[0:3], s32 offset:1268 ; 4-byte Folded Reload
	s_waitcnt lgkmcnt(9)
	v_add_f32_e32 v3, v69, v3
	v_add_f32_e32 v5, v67, v5
	s_waitcnt lgkmcnt(8)
	v_add_f32_e32 v6, v66, v6
	s_waitcnt lgkmcnt(7)
	;; [unrolled: 2-line block ×3, first 2 shown]
	v_add_f32_e32 v10, v51, v10
	ds_bpermute_b32 v35, v70, v3
	s_waitcnt lgkmcnt(6)
	v_add_f32_e32 v48, v49, v14
	ds_bpermute_b32 v37, v70, v5
	s_waitcnt lgkmcnt(6)
	v_add_f32_e32 v39, v50, v11
	ds_bpermute_b32 v38, v70, v6
	ds_bpermute_b32 v11, v70, v7
	s_waitcnt lgkmcnt(7)
	v_add_f32_e32 v53, v53, v15
	s_waitcnt lgkmcnt(6)
	v_add_f32_e32 v54, v54, v18
	;; [unrolled: 2-line block ×4, first 2 shown]
	ds_bpermute_b32 v36, v70, v4
	ds_bpermute_b32 v49, v70, v8
	;; [unrolled: 1-line block ×10, first 2 shown]
	s_waitcnt lgkmcnt(13)
	v_add_f32_e32 v23, v3, v35
	s_mov_b32 s7, exec_lo
	s_waitcnt lgkmcnt(12)
	v_add_f32_e32 v18, v5, v37
	s_waitcnt lgkmcnt(11)
	v_add_f32_e32 v15, v6, v38
	;; [unrolled: 2-line block ×13, first 2 shown]
	s_waitcnt vmcnt(1)
	v_and_b32_e32 v35, 0x3c3, v0
	s_waitcnt vmcnt(0)
	v_and_b32_e32 v1, 28, v34
	v_lshrrev_b32_e32 v0, 2, v34
	buffer_load_dword v34, off, s[0:3], s32 offset:2336 ; 4-byte Folded Reload
	v_add_nc_u32_e32 v1, s4, v1
	s_waitcnt vmcnt(0)
	v_lshlrev_b32_e32 v34, 10, v34
	v_cmpx_eq_u32_e32 64, v35
	s_cbranch_execz .LBB384_4202
; %bb.4201:
	v_add_nc_u32_e32 v35, v1, v34
	v_add_nc_u32_e32 v36, 0xfffff800, v35
	;; [unrolled: 1-line block ×8, first 2 shown]
	ds_write_b32 v36, v33
	ds_write_b32 v37, v31
	;; [unrolled: 1-line block ×7, first 2 shown]
	v_add_nc_u32_e32 v36, 0xfffff8e0, v35
	v_add_nc_u32_e32 v37, 0xfffff900, v35
	v_add_nc_u32_e32 v38, 0xfffff920, v35
	v_add_nc_u32_e32 v39, 0xfffff940, v35
	v_add_nc_u32_e32 v48, 0xfffff960, v35
	ds_write_b32 v36, v21
	ds_write_b32 v37, v26
	ds_write_b32 v38, v22
	ds_write_b32 v39, v20
	ds_write_b32 v48, v17
	v_add_nc_u32_e32 v36, 0xfffff980, v35
	v_add_nc_u32_e32 v37, 0xfffff9a0, v35
	v_add_nc_u32_e32 v38, 0xfffff9c0, v35
	v_add_nc_u32_e32 v39, 0xfffff9e0, v35
	v_add_nc_u32_e32 v48, 0xfffffa00, v35
	ds_write_b32 v36, v16
	ds_write_b32 v37, v13
	ds_write_b32 v38, v12
	ds_write_b32 v39, v9
	ds_write_b32 v48, v28
	v_add_nc_u32_e32 v36, 0xfffffa20, v35
	v_add_nc_u32_e32 v37, 0xfffffa40, v35
	v_add_nc_u32_e32 v38, 0xfffffa60, v35
	v_add_nc_u32_e32 v39, 0xfffffa80, v35
	v_add_nc_u32_e32 v48, 0xfffffaa0, v35
	ds_write_b32 v36, v24
	ds_write_b32 v37, v23
	ds_write_b32 v38, v19
	ds_write_b32 v39, v18
	ds_write_b32 v48, v15
	v_add_nc_u32_e32 v36, 0xfffffac0, v35
	v_add_nc_u32_e32 v37, 0xfffffae0, v35
	v_add_nc_u32_e32 v38, 0xfffffb00, v35
	v_add_nc_u32_e32 v39, 0xfffffb20, v35
	v_add_nc_u32_e32 v48, 0xfffffb40, v35
	ds_write_b32 v36, v14
	ds_write_b32 v37, v11
	ds_write_b32 v38, v10
	ds_write_b32 v39, v8
	ds_write_b32 v48, v7
	v_add_nc_u32_e32 v36, 0xfffffb60, v35
	v_add_nc_u32_e32 v37, 0xfffffb80, v35
	v_add_nc_u32_e32 v38, 0xfffffba0, v35
	v_add_nc_u32_e32 v39, 0xfffffbc0, v35
	v_add_nc_u32_e32 v35, 0xfffffbe0, v35
	ds_write_b32 v36, v6
	ds_write_b32 v37, v5
	ds_write_b32 v38, v2
	ds_write_b32 v39, v3
	ds_write_b32 v35, v4
.LBB384_4202:
	s_or_b32 exec_lo, exec_lo, s7
	buffer_load_dword v36, off, s[0:3], s32 offset:1272 ; 4-byte Folded Reload
	v_lshlrev_b32_e32 v0, 2, v0
	s_mov_b32 s7, exec_lo
	s_waitcnt vmcnt(0) lgkmcnt(0)
	s_barrier
	buffer_gl0_inv
	v_add3_u32 v0, s4, v34, v0
	v_and_b32_e32 v35, 3, v36
	v_cmp_eq_u32_e32 vcc_lo, 0, v35
	v_cmpx_gt_u32_e32 64, v36
	s_cbranch_execz .LBB384_4237
; %bb.4203:
	s_and_saveexec_b32 s4, vcc_lo
	s_cbranch_execnz .LBB384_4277
; %bb.4204:
	s_or_b32 exec_lo, exec_lo, s4
	s_and_saveexec_b32 s4, vcc_lo
	s_cbranch_execnz .LBB384_4278
.LBB384_4205:
	s_or_b32 exec_lo, exec_lo, s4
	s_and_saveexec_b32 s4, vcc_lo
	s_cbranch_execnz .LBB384_4279
.LBB384_4206:
	s_or_b32 exec_lo, exec_lo, s4
	s_and_saveexec_b32 s4, vcc_lo
	s_cbranch_execnz .LBB384_4280
.LBB384_4207:
	s_or_b32 exec_lo, exec_lo, s4
	s_and_saveexec_b32 s4, vcc_lo
	s_cbranch_execnz .LBB384_4281
.LBB384_4208:
	s_or_b32 exec_lo, exec_lo, s4
	s_and_saveexec_b32 s4, vcc_lo
	s_cbranch_execnz .LBB384_4282
.LBB384_4209:
	s_or_b32 exec_lo, exec_lo, s4
	s_and_saveexec_b32 s4, vcc_lo
	s_cbranch_execnz .LBB384_4283
.LBB384_4210:
	s_or_b32 exec_lo, exec_lo, s4
	s_and_saveexec_b32 s4, vcc_lo
	s_cbranch_execnz .LBB384_4284
.LBB384_4211:
	s_or_b32 exec_lo, exec_lo, s4
	s_and_saveexec_b32 s4, vcc_lo
	s_cbranch_execnz .LBB384_4285
.LBB384_4212:
	s_or_b32 exec_lo, exec_lo, s4
	s_and_saveexec_b32 s4, vcc_lo
	s_cbranch_execnz .LBB384_4286
.LBB384_4213:
	s_or_b32 exec_lo, exec_lo, s4
	s_and_saveexec_b32 s4, vcc_lo
	s_cbranch_execnz .LBB384_4287
.LBB384_4214:
	s_or_b32 exec_lo, exec_lo, s4
	s_and_saveexec_b32 s4, vcc_lo
	s_cbranch_execnz .LBB384_4288
.LBB384_4215:
	s_or_b32 exec_lo, exec_lo, s4
	s_and_saveexec_b32 s4, vcc_lo
	s_cbranch_execnz .LBB384_4289
.LBB384_4216:
	s_or_b32 exec_lo, exec_lo, s4
	s_and_saveexec_b32 s4, vcc_lo
	s_cbranch_execnz .LBB384_4290
.LBB384_4217:
	s_or_b32 exec_lo, exec_lo, s4
	s_and_saveexec_b32 s4, vcc_lo
	s_cbranch_execnz .LBB384_4291
.LBB384_4218:
	s_or_b32 exec_lo, exec_lo, s4
	s_and_saveexec_b32 s4, vcc_lo
	s_cbranch_execnz .LBB384_4292
.LBB384_4219:
	s_or_b32 exec_lo, exec_lo, s4
	s_and_saveexec_b32 s4, vcc_lo
	s_cbranch_execnz .LBB384_4293
.LBB384_4220:
	s_or_b32 exec_lo, exec_lo, s4
	s_and_saveexec_b32 s4, vcc_lo
	s_cbranch_execnz .LBB384_4294
.LBB384_4221:
	s_or_b32 exec_lo, exec_lo, s4
	s_and_saveexec_b32 s4, vcc_lo
	s_cbranch_execnz .LBB384_4295
.LBB384_4222:
	s_or_b32 exec_lo, exec_lo, s4
	s_and_saveexec_b32 s4, vcc_lo
	s_cbranch_execnz .LBB384_4296
.LBB384_4223:
	s_or_b32 exec_lo, exec_lo, s4
	s_and_saveexec_b32 s4, vcc_lo
	s_cbranch_execnz .LBB384_4297
.LBB384_4224:
	s_or_b32 exec_lo, exec_lo, s4
	s_and_saveexec_b32 s4, vcc_lo
	s_cbranch_execnz .LBB384_4298
.LBB384_4225:
	s_or_b32 exec_lo, exec_lo, s4
	s_and_saveexec_b32 s4, vcc_lo
	s_cbranch_execnz .LBB384_4299
.LBB384_4226:
	s_or_b32 exec_lo, exec_lo, s4
	s_and_saveexec_b32 s4, vcc_lo
	s_cbranch_execnz .LBB384_4300
.LBB384_4227:
	s_or_b32 exec_lo, exec_lo, s4
	s_and_saveexec_b32 s4, vcc_lo
	s_cbranch_execnz .LBB384_4301
.LBB384_4228:
	s_or_b32 exec_lo, exec_lo, s4
	s_and_saveexec_b32 s4, vcc_lo
	s_cbranch_execnz .LBB384_4302
.LBB384_4229:
	s_or_b32 exec_lo, exec_lo, s4
	s_and_saveexec_b32 s4, vcc_lo
	s_cbranch_execnz .LBB384_4303
.LBB384_4230:
	s_or_b32 exec_lo, exec_lo, s4
	s_and_saveexec_b32 s4, vcc_lo
	s_cbranch_execnz .LBB384_4304
.LBB384_4231:
	s_or_b32 exec_lo, exec_lo, s4
	s_and_saveexec_b32 s4, vcc_lo
	s_cbranch_execnz .LBB384_4305
.LBB384_4232:
	s_or_b32 exec_lo, exec_lo, s4
	s_and_saveexec_b32 s4, vcc_lo
	s_cbranch_execnz .LBB384_4306
.LBB384_4233:
	s_or_b32 exec_lo, exec_lo, s4
	s_and_saveexec_b32 s4, vcc_lo
	s_cbranch_execnz .LBB384_4307
.LBB384_4234:
	s_or_b32 exec_lo, exec_lo, s4
	s_and_saveexec_b32 s4, vcc_lo
	s_cbranch_execz .LBB384_4236
.LBB384_4235:
	ds_read_b32 v34, v0 offset:992
	s_waitcnt lgkmcnt(0)
	v_add_f32_e32 v4, v34, v4
.LBB384_4236:
	s_or_b32 exec_lo, exec_lo, s4
.LBB384_4237:
	s_or_b32 exec_lo, exec_lo, s7
	buffer_load_dword v34, off, s[0:3], s32 offset:1272 ; 4-byte Folded Reload
	s_mov_b32 s7, exec_lo
	s_waitcnt vmcnt(0)
	s_barrier
	buffer_gl0_inv
	v_and_b32_e32 v34, 0x3e3, v34
	v_cmpx_eq_u32_e32 32, v34
	s_cbranch_execz .LBB384_4239
; %bb.4238:
	ds_write2_b32 v1, v33, v31 offset1:8
	ds_write2_b32 v1, v32, v30 offset0:16 offset1:24
	ds_write2_b32 v1, v29, v27 offset0:32 offset1:40
	;; [unrolled: 1-line block ×15, first 2 shown]
.LBB384_4239:
	s_or_b32 exec_lo, exec_lo, s7
	buffer_load_dword v1, off, s[0:3], s32 offset:1272 ; 4-byte Folded Reload
	s_mov_b32 s7, exec_lo
	s_waitcnt vmcnt(0) lgkmcnt(0)
	s_barrier
	buffer_gl0_inv
	v_cmpx_gt_u32_e32 32, v1
	s_cbranch_execz .LBB384_4274
; %bb.4240:
	s_and_saveexec_b32 s4, vcc_lo
	s_cbranch_execnz .LBB384_4308
; %bb.4241:
	s_or_b32 exec_lo, exec_lo, s4
	s_and_saveexec_b32 s4, vcc_lo
	s_cbranch_execnz .LBB384_4309
.LBB384_4242:
	s_or_b32 exec_lo, exec_lo, s4
	s_and_saveexec_b32 s4, vcc_lo
	s_cbranch_execnz .LBB384_4310
.LBB384_4243:
	s_or_b32 exec_lo, exec_lo, s4
	s_and_saveexec_b32 s4, vcc_lo
	s_cbranch_execnz .LBB384_4311
.LBB384_4244:
	s_or_b32 exec_lo, exec_lo, s4
	s_and_saveexec_b32 s4, vcc_lo
	s_cbranch_execnz .LBB384_4312
.LBB384_4245:
	s_or_b32 exec_lo, exec_lo, s4
	s_and_saveexec_b32 s4, vcc_lo
	s_cbranch_execnz .LBB384_4313
.LBB384_4246:
	s_or_b32 exec_lo, exec_lo, s4
	s_and_saveexec_b32 s4, vcc_lo
	s_cbranch_execnz .LBB384_4314
.LBB384_4247:
	s_or_b32 exec_lo, exec_lo, s4
	s_and_saveexec_b32 s4, vcc_lo
	s_cbranch_execnz .LBB384_4315
.LBB384_4248:
	s_or_b32 exec_lo, exec_lo, s4
	s_and_saveexec_b32 s4, vcc_lo
	s_cbranch_execnz .LBB384_4316
.LBB384_4249:
	s_or_b32 exec_lo, exec_lo, s4
	s_and_saveexec_b32 s4, vcc_lo
	s_cbranch_execnz .LBB384_4317
.LBB384_4250:
	s_or_b32 exec_lo, exec_lo, s4
	s_and_saveexec_b32 s4, vcc_lo
	s_cbranch_execnz .LBB384_4318
.LBB384_4251:
	s_or_b32 exec_lo, exec_lo, s4
	s_and_saveexec_b32 s4, vcc_lo
	s_cbranch_execnz .LBB384_4319
.LBB384_4252:
	s_or_b32 exec_lo, exec_lo, s4
	s_and_saveexec_b32 s4, vcc_lo
	s_cbranch_execnz .LBB384_4320
.LBB384_4253:
	s_or_b32 exec_lo, exec_lo, s4
	s_and_saveexec_b32 s4, vcc_lo
	s_cbranch_execnz .LBB384_4321
.LBB384_4254:
	s_or_b32 exec_lo, exec_lo, s4
	s_and_saveexec_b32 s4, vcc_lo
	s_cbranch_execnz .LBB384_4322
.LBB384_4255:
	s_or_b32 exec_lo, exec_lo, s4
	s_and_saveexec_b32 s4, vcc_lo
	s_cbranch_execnz .LBB384_4323
.LBB384_4256:
	s_or_b32 exec_lo, exec_lo, s4
	s_and_saveexec_b32 s4, vcc_lo
	s_cbranch_execnz .LBB384_4324
.LBB384_4257:
	s_or_b32 exec_lo, exec_lo, s4
	s_and_saveexec_b32 s4, vcc_lo
	s_cbranch_execnz .LBB384_4325
.LBB384_4258:
	s_or_b32 exec_lo, exec_lo, s4
	s_and_saveexec_b32 s4, vcc_lo
	s_cbranch_execnz .LBB384_4326
.LBB384_4259:
	s_or_b32 exec_lo, exec_lo, s4
	s_and_saveexec_b32 s4, vcc_lo
	s_cbranch_execnz .LBB384_4327
.LBB384_4260:
	s_or_b32 exec_lo, exec_lo, s4
	s_and_saveexec_b32 s4, vcc_lo
	s_cbranch_execnz .LBB384_4328
.LBB384_4261:
	s_or_b32 exec_lo, exec_lo, s4
	s_and_saveexec_b32 s4, vcc_lo
	s_cbranch_execnz .LBB384_4329
.LBB384_4262:
	s_or_b32 exec_lo, exec_lo, s4
	s_and_saveexec_b32 s4, vcc_lo
	s_cbranch_execnz .LBB384_4330
.LBB384_4263:
	s_or_b32 exec_lo, exec_lo, s4
	s_and_saveexec_b32 s4, vcc_lo
	s_cbranch_execnz .LBB384_4331
.LBB384_4264:
	s_or_b32 exec_lo, exec_lo, s4
	s_and_saveexec_b32 s4, vcc_lo
	s_cbranch_execnz .LBB384_4332
.LBB384_4265:
	s_or_b32 exec_lo, exec_lo, s4
	s_and_saveexec_b32 s4, vcc_lo
	s_cbranch_execnz .LBB384_4333
.LBB384_4266:
	s_or_b32 exec_lo, exec_lo, s4
	s_and_saveexec_b32 s4, vcc_lo
	s_cbranch_execnz .LBB384_4334
.LBB384_4267:
	s_or_b32 exec_lo, exec_lo, s4
	s_and_saveexec_b32 s4, vcc_lo
	s_cbranch_execnz .LBB384_4335
.LBB384_4268:
	s_or_b32 exec_lo, exec_lo, s4
	s_and_saveexec_b32 s4, vcc_lo
	s_cbranch_execnz .LBB384_4336
.LBB384_4269:
	s_or_b32 exec_lo, exec_lo, s4
	s_and_saveexec_b32 s4, vcc_lo
	s_cbranch_execnz .LBB384_4337
.LBB384_4270:
	s_or_b32 exec_lo, exec_lo, s4
	s_and_saveexec_b32 s4, vcc_lo
	s_cbranch_execnz .LBB384_4338
.LBB384_4271:
	s_or_b32 exec_lo, exec_lo, s4
	s_and_saveexec_b32 s4, vcc_lo
	s_cbranch_execz .LBB384_4273
.LBB384_4272:
	ds_read_b32 v0, v0 offset:992
	s_waitcnt lgkmcnt(0)
	v_add_f32_e32 v4, v0, v4
.LBB384_4273:
	s_or_b32 exec_lo, exec_lo, s4
.LBB384_4274:
	s_or_b32 exec_lo, exec_lo, s7
	v_cmp_eq_u32_e32 vcc_lo, 0, v34
	s_barrier
	buffer_gl0_inv
	s_and_b32 exec_lo, exec_lo, vcc_lo
	s_cbranch_execz .LBB384_4276
; %bb.4275:
	s_clause 0x2
	buffer_load_dword v0, off, s[0:3], s32 offset:2344
	buffer_load_dword v1, off, s[0:3], s32 offset:2340
	;; [unrolled: 1-line block ×3, first 2 shown]
	s_lshl_b32 s6, s6, 8
	s_mul_i32 s4, s10, s5
	s_ashr_i32 s7, s6, 31
	s_ashr_i32 s5, s4, 31
	s_lshl_b64 s[6:7], s[6:7], 1
	s_lshl_b64 s[4:5], s[4:5], 1
	v_bfe_u32 v35, v33, 16, 1
	v_or_b32_e32 v36, 0x400000, v33
	v_add3_u32 v35, v35, v33, 0x7fff
	s_waitcnt vmcnt(2)
	v_add_co_u32 v0, vcc_lo, v0, s6
	s_waitcnt vmcnt(1)
	v_add_co_ci_u32_e64 v1, null, s7, v1, vcc_lo
	s_lshl_b32 s6, s14, 8
	v_add_co_u32 v0, vcc_lo, v0, s4
	s_ashr_i32 s7, s6, 31
	v_add_co_ci_u32_e64 v1, null, s5, v1, vcc_lo
	s_lshl_b64 s[4:5], s[6:7], 1
	s_waitcnt vmcnt(0)
	v_lshrrev_b32_e32 v34, 1, v34
	v_add_co_u32 v0, vcc_lo, v0, s4
	v_add_co_ci_u32_e64 v1, null, s5, v1, vcc_lo
	v_add_co_u32 v0, vcc_lo, v0, v34
	v_add_co_ci_u32_e64 v1, null, 0, v1, vcc_lo
	v_bfe_u32 v34, v31, 16, 1
	v_cmp_u_f32_e32 vcc_lo, v33, v33
	v_add3_u32 v34, v34, v31, 0x7fff
	v_cndmask_b32_e32 v33, v35, v36, vcc_lo
	v_bfe_u32 v35, v32, 16, 1
	v_or_b32_e32 v36, 0x400000, v31
	v_cmp_u_f32_e32 vcc_lo, v31, v31
	flat_store_short_d16_hi v[0:1], v33
	v_add3_u32 v33, v35, v32, 0x7fff
	v_or_b32_e32 v35, 0x400000, v32
	v_cndmask_b32_e32 v31, v34, v36, vcc_lo
	v_bfe_u32 v34, v30, 16, 1
	v_cmp_u_f32_e32 vcc_lo, v32, v32
	flat_store_short_d16_hi v[0:1], v31 offset:16
	v_add3_u32 v31, v34, v30, 0x7fff
	v_cndmask_b32_e32 v32, v33, v35, vcc_lo
	v_bfe_u32 v33, v29, 16, 1
	v_or_b32_e32 v34, 0x400000, v30
	v_cmp_u_f32_e32 vcc_lo, v30, v30
	flat_store_short_d16_hi v[0:1], v32 offset:32
	v_add3_u32 v32, v33, v29, 0x7fff
	v_or_b32_e32 v33, 0x400000, v29
	v_cndmask_b32_e32 v30, v31, v34, vcc_lo
	v_bfe_u32 v31, v27, 16, 1
	v_cmp_u_f32_e32 vcc_lo, v29, v29
	flat_store_short_d16_hi v[0:1], v30 offset:48
	v_add3_u32 v30, v31, v27, 0x7fff
	v_cndmask_b32_e32 v29, v32, v33, vcc_lo
	v_bfe_u32 v32, v25, 16, 1
	v_or_b32_e32 v31, 0x400000, v27
	v_cmp_u_f32_e32 vcc_lo, v27, v27
	flat_store_short_d16_hi v[0:1], v29 offset:64
	;; [unrolled: 12-line block ×3, first 2 shown]
	v_add3_u32 v25, v29, v26, 0x7fff
	v_or_b32_e32 v29, 0x400000, v26
	v_cndmask_b32_e32 v21, v27, v30, vcc_lo
	v_bfe_u32 v27, v22, 16, 1
	v_cmp_u_f32_e32 vcc_lo, v26, v26
	v_bfe_u32 v26, v20, 16, 1
	flat_store_short_d16_hi v[0:1], v21 offset:112
	v_add3_u32 v21, v27, v22, 0x7fff
	v_cndmask_b32_e32 v25, v25, v29, vcc_lo
	v_or_b32_e32 v27, 0x400000, v22
	v_cmp_u_f32_e32 vcc_lo, v22, v22
	v_bfe_u32 v22, v17, 16, 1
	flat_store_short_d16_hi v[0:1], v25 offset:128
	v_add3_u32 v25, v26, v20, 0x7fff
	v_or_b32_e32 v26, 0x400000, v20
	v_cndmask_b32_e32 v21, v21, v27, vcc_lo
	v_cmp_u_f32_e32 vcc_lo, v20, v20
	flat_store_short_d16_hi v[0:1], v21 offset:144
	v_cndmask_b32_e32 v20, v25, v26, vcc_lo
	v_bfe_u32 v25, v16, 16, 1
	v_add3_u32 v21, v22, v17, 0x7fff
	v_or_b32_e32 v22, 0x400000, v17
	v_cmp_u_f32_e32 vcc_lo, v17, v17
	flat_store_short_d16_hi v[0:1], v20 offset:160
	v_add3_u32 v20, v25, v16, 0x7fff
	v_or_b32_e32 v25, 0x400000, v16
	v_cndmask_b32_e32 v17, v21, v22, vcc_lo
	v_bfe_u32 v21, v13, 16, 1
	v_cmp_u_f32_e32 vcc_lo, v16, v16
	flat_store_short_d16_hi v[0:1], v17 offset:176
	v_add3_u32 v17, v21, v13, 0x7fff
	v_cndmask_b32_e32 v16, v20, v25, vcc_lo
	v_bfe_u32 v20, v12, 16, 1
	v_or_b32_e32 v21, 0x400000, v13
	v_cmp_u_f32_e32 vcc_lo, v13, v13
	flat_store_short_d16_hi v[0:1], v16 offset:192
	v_add3_u32 v16, v20, v12, 0x7fff
	v_or_b32_e32 v20, 0x400000, v12
	v_cndmask_b32_e32 v13, v17, v21, vcc_lo
	v_bfe_u32 v17, v9, 16, 1
	v_cmp_u_f32_e32 vcc_lo, v12, v12
	flat_store_short_d16_hi v[0:1], v13 offset:208
	v_add3_u32 v13, v17, v9, 0x7fff
	v_cndmask_b32_e32 v12, v16, v20, vcc_lo
	v_bfe_u32 v16, v28, 16, 1
	v_or_b32_e32 v17, 0x400000, v9
	v_cmp_u_f32_e32 vcc_lo, v9, v9
	flat_store_short_d16_hi v[0:1], v12 offset:224
	v_add3_u32 v12, v16, v28, 0x7fff
	v_or_b32_e32 v16, 0x400000, v28
	v_cndmask_b32_e32 v9, v13, v17, vcc_lo
	v_bfe_u32 v13, v24, 16, 1
	v_cmp_u_f32_e32 vcc_lo, v28, v28
	flat_store_short_d16_hi v[0:1], v9 offset:240
	v_add3_u32 v9, v13, v24, 0x7fff
	v_cndmask_b32_e32 v12, v12, v16, vcc_lo
	v_bfe_u32 v16, v23, 16, 1
	v_or_b32_e32 v13, 0x400000, v24
	v_cmp_u_f32_e32 vcc_lo, v24, v24
	flat_store_short_d16_hi v[0:1], v12 offset:256
	v_add3_u32 v12, v16, v23, 0x7fff
	v_or_b32_e32 v16, 0x400000, v23
	v_cndmask_b32_e32 v9, v9, v13, vcc_lo
	v_bfe_u32 v13, v19, 16, 1
	v_cmp_u_f32_e32 vcc_lo, v23, v23
	flat_store_short_d16_hi v[0:1], v9 offset:272
	v_add3_u32 v9, v13, v19, 0x7fff
	v_cndmask_b32_e32 v12, v12, v16, vcc_lo
	v_bfe_u32 v16, v18, 16, 1
	v_or_b32_e32 v13, 0x400000, v19
	v_cmp_u_f32_e32 vcc_lo, v19, v19
	flat_store_short_d16_hi v[0:1], v12 offset:288
	v_add3_u32 v12, v16, v18, 0x7fff
	v_or_b32_e32 v16, 0x400000, v18
	v_cndmask_b32_e32 v9, v9, v13, vcc_lo
	v_bfe_u32 v13, v15, 16, 1
	v_cmp_u_f32_e32 vcc_lo, v18, v18
	flat_store_short_d16_hi v[0:1], v9 offset:304
	v_add3_u32 v9, v13, v15, 0x7fff
	v_cndmask_b32_e32 v12, v12, v16, vcc_lo
	v_bfe_u32 v16, v14, 16, 1
	v_or_b32_e32 v13, 0x400000, v15
	v_cmp_u_f32_e32 vcc_lo, v15, v15
	flat_store_short_d16_hi v[0:1], v12 offset:320
	v_add3_u32 v12, v16, v14, 0x7fff
	v_or_b32_e32 v16, 0x400000, v14
	v_cndmask_b32_e32 v9, v9, v13, vcc_lo
	v_bfe_u32 v13, v11, 16, 1
	v_cmp_u_f32_e32 vcc_lo, v14, v14
	v_bfe_u32 v14, v10, 16, 1
	flat_store_short_d16_hi v[0:1], v9 offset:336
	v_add3_u32 v9, v13, v11, 0x7fff
	v_cndmask_b32_e32 v12, v12, v16, vcc_lo
	v_or_b32_e32 v13, 0x400000, v11
	v_cmp_u_f32_e32 vcc_lo, v11, v11
	v_bfe_u32 v11, v8, 16, 1
	flat_store_short_d16_hi v[0:1], v12 offset:352
	v_add3_u32 v12, v14, v10, 0x7fff
	v_or_b32_e32 v14, 0x400000, v10
	v_cndmask_b32_e32 v9, v9, v13, vcc_lo
	v_cmp_u_f32_e32 vcc_lo, v10, v10
	flat_store_short_d16_hi v[0:1], v9 offset:368
	v_cndmask_b32_e32 v10, v12, v14, vcc_lo
	v_bfe_u32 v12, v7, 16, 1
	v_add3_u32 v9, v11, v8, 0x7fff
	v_or_b32_e32 v11, 0x400000, v8
	v_cmp_u_f32_e32 vcc_lo, v8, v8
	flat_store_short_d16_hi v[0:1], v10 offset:384
	v_add3_u32 v10, v12, v7, 0x7fff
	v_or_b32_e32 v12, 0x400000, v7
	v_cndmask_b32_e32 v8, v9, v11, vcc_lo
	v_bfe_u32 v9, v6, 16, 1
	v_cmp_u_f32_e32 vcc_lo, v7, v7
	v_or_b32_e32 v11, 0x400000, v3
	flat_store_short_d16_hi v[0:1], v8 offset:400
	v_add3_u32 v8, v9, v6, 0x7fff
	v_cndmask_b32_e32 v7, v10, v12, vcc_lo
	v_bfe_u32 v10, v5, 16, 1
	v_or_b32_e32 v9, 0x400000, v6
	v_cmp_u_f32_e32 vcc_lo, v6, v6
	v_or_b32_e32 v12, 0x400000, v4
	flat_store_short_d16_hi v[0:1], v7 offset:416
	v_add3_u32 v7, v10, v5, 0x7fff
	v_or_b32_e32 v10, 0x400000, v5
	v_cndmask_b32_e32 v6, v8, v9, vcc_lo
	v_bfe_u32 v8, v2, 16, 1
	v_cmp_u_f32_e32 vcc_lo, v5, v5
	v_bfe_u32 v9, v3, 16, 1
	v_add3_u32 v8, v8, v2, 0x7fff
	v_cndmask_b32_e32 v5, v7, v10, vcc_lo
	v_or_b32_e32 v10, 0x400000, v2
	v_cmp_u_f32_e32 vcc_lo, v2, v2
	v_bfe_u32 v7, v4, 16, 1
	v_add3_u32 v9, v9, v3, 0x7fff
	v_cndmask_b32_e32 v2, v8, v10, vcc_lo
	v_cmp_u_f32_e32 vcc_lo, v3, v3
	v_add3_u32 v7, v7, v4, 0x7fff
	v_cndmask_b32_e32 v3, v9, v11, vcc_lo
	v_cmp_u_f32_e32 vcc_lo, v4, v4
	v_cndmask_b32_e32 v4, v7, v12, vcc_lo
	flat_store_short_d16_hi v[0:1], v6 offset:432
	flat_store_short_d16_hi v[0:1], v5 offset:448
	;; [unrolled: 1-line block ×5, first 2 shown]
.LBB384_4276:
	s_or_b32 exec_lo, exec_lo, s19
	s_clause 0x2f
	buffer_load_dword v127, off, s[0:3], s32 offset:8
	buffer_load_dword v126, off, s[0:3], s32 offset:12
	;; [unrolled: 1-line block ×48, first 2 shown]
	s_waitcnt vmcnt(0) lgkmcnt(0)
	s_setpc_b64 s[30:31]
.LBB384_4277:
	ds_read_b32 v34, v0
	s_waitcnt lgkmcnt(0)
	v_add_f32_e32 v33, v34, v33
	s_or_b32 exec_lo, exec_lo, s4
	s_and_saveexec_b32 s4, vcc_lo
	s_cbranch_execz .LBB384_4205
.LBB384_4278:
	ds_read_b32 v34, v0 offset:32
	s_waitcnt lgkmcnt(0)
	v_add_f32_e32 v31, v34, v31
	s_or_b32 exec_lo, exec_lo, s4
	s_and_saveexec_b32 s4, vcc_lo
	s_cbranch_execz .LBB384_4206
.LBB384_4279:
	ds_read_b32 v34, v0 offset:64
	s_waitcnt lgkmcnt(0)
	v_add_f32_e32 v32, v34, v32
	s_or_b32 exec_lo, exec_lo, s4
	s_and_saveexec_b32 s4, vcc_lo
	s_cbranch_execz .LBB384_4207
.LBB384_4280:
	ds_read_b32 v34, v0 offset:96
	s_waitcnt lgkmcnt(0)
	v_add_f32_e32 v30, v34, v30
	s_or_b32 exec_lo, exec_lo, s4
	s_and_saveexec_b32 s4, vcc_lo
	s_cbranch_execz .LBB384_4208
.LBB384_4281:
	ds_read_b32 v34, v0 offset:128
	s_waitcnt lgkmcnt(0)
	v_add_f32_e32 v29, v34, v29
	s_or_b32 exec_lo, exec_lo, s4
	s_and_saveexec_b32 s4, vcc_lo
	s_cbranch_execz .LBB384_4209
.LBB384_4282:
	ds_read_b32 v34, v0 offset:160
	s_waitcnt lgkmcnt(0)
	v_add_f32_e32 v27, v34, v27
	s_or_b32 exec_lo, exec_lo, s4
	s_and_saveexec_b32 s4, vcc_lo
	s_cbranch_execz .LBB384_4210
.LBB384_4283:
	ds_read_b32 v34, v0 offset:192
	s_waitcnt lgkmcnt(0)
	v_add_f32_e32 v25, v34, v25
	s_or_b32 exec_lo, exec_lo, s4
	s_and_saveexec_b32 s4, vcc_lo
	s_cbranch_execz .LBB384_4211
.LBB384_4284:
	ds_read_b32 v34, v0 offset:224
	s_waitcnt lgkmcnt(0)
	v_add_f32_e32 v21, v34, v21
	s_or_b32 exec_lo, exec_lo, s4
	s_and_saveexec_b32 s4, vcc_lo
	s_cbranch_execz .LBB384_4212
.LBB384_4285:
	ds_read_b32 v34, v0 offset:256
	s_waitcnt lgkmcnt(0)
	v_add_f32_e32 v26, v34, v26
	s_or_b32 exec_lo, exec_lo, s4
	s_and_saveexec_b32 s4, vcc_lo
	s_cbranch_execz .LBB384_4213
.LBB384_4286:
	ds_read_b32 v34, v0 offset:288
	s_waitcnt lgkmcnt(0)
	v_add_f32_e32 v22, v34, v22
	s_or_b32 exec_lo, exec_lo, s4
	s_and_saveexec_b32 s4, vcc_lo
	s_cbranch_execz .LBB384_4214
.LBB384_4287:
	ds_read_b32 v34, v0 offset:320
	s_waitcnt lgkmcnt(0)
	v_add_f32_e32 v20, v34, v20
	s_or_b32 exec_lo, exec_lo, s4
	s_and_saveexec_b32 s4, vcc_lo
	s_cbranch_execz .LBB384_4215
.LBB384_4288:
	ds_read_b32 v34, v0 offset:352
	s_waitcnt lgkmcnt(0)
	v_add_f32_e32 v17, v34, v17
	s_or_b32 exec_lo, exec_lo, s4
	s_and_saveexec_b32 s4, vcc_lo
	s_cbranch_execz .LBB384_4216
.LBB384_4289:
	ds_read_b32 v34, v0 offset:384
	s_waitcnt lgkmcnt(0)
	v_add_f32_e32 v16, v34, v16
	s_or_b32 exec_lo, exec_lo, s4
	s_and_saveexec_b32 s4, vcc_lo
	s_cbranch_execz .LBB384_4217
.LBB384_4290:
	ds_read_b32 v34, v0 offset:416
	s_waitcnt lgkmcnt(0)
	v_add_f32_e32 v13, v34, v13
	s_or_b32 exec_lo, exec_lo, s4
	s_and_saveexec_b32 s4, vcc_lo
	s_cbranch_execz .LBB384_4218
.LBB384_4291:
	ds_read_b32 v34, v0 offset:448
	s_waitcnt lgkmcnt(0)
	v_add_f32_e32 v12, v34, v12
	s_or_b32 exec_lo, exec_lo, s4
	s_and_saveexec_b32 s4, vcc_lo
	s_cbranch_execz .LBB384_4219
.LBB384_4292:
	ds_read_b32 v34, v0 offset:480
	s_waitcnt lgkmcnt(0)
	v_add_f32_e32 v9, v34, v9
	s_or_b32 exec_lo, exec_lo, s4
	s_and_saveexec_b32 s4, vcc_lo
	s_cbranch_execz .LBB384_4220
.LBB384_4293:
	ds_read_b32 v34, v0 offset:512
	s_waitcnt lgkmcnt(0)
	v_add_f32_e32 v28, v34, v28
	s_or_b32 exec_lo, exec_lo, s4
	s_and_saveexec_b32 s4, vcc_lo
	s_cbranch_execz .LBB384_4221
.LBB384_4294:
	ds_read_b32 v34, v0 offset:544
	s_waitcnt lgkmcnt(0)
	v_add_f32_e32 v24, v34, v24
	s_or_b32 exec_lo, exec_lo, s4
	s_and_saveexec_b32 s4, vcc_lo
	s_cbranch_execz .LBB384_4222
.LBB384_4295:
	ds_read_b32 v34, v0 offset:576
	s_waitcnt lgkmcnt(0)
	v_add_f32_e32 v23, v34, v23
	s_or_b32 exec_lo, exec_lo, s4
	s_and_saveexec_b32 s4, vcc_lo
	s_cbranch_execz .LBB384_4223
.LBB384_4296:
	ds_read_b32 v34, v0 offset:608
	s_waitcnt lgkmcnt(0)
	v_add_f32_e32 v19, v34, v19
	s_or_b32 exec_lo, exec_lo, s4
	s_and_saveexec_b32 s4, vcc_lo
	s_cbranch_execz .LBB384_4224
.LBB384_4297:
	ds_read_b32 v34, v0 offset:640
	s_waitcnt lgkmcnt(0)
	v_add_f32_e32 v18, v34, v18
	s_or_b32 exec_lo, exec_lo, s4
	s_and_saveexec_b32 s4, vcc_lo
	s_cbranch_execz .LBB384_4225
.LBB384_4298:
	ds_read_b32 v34, v0 offset:672
	s_waitcnt lgkmcnt(0)
	v_add_f32_e32 v15, v34, v15
	s_or_b32 exec_lo, exec_lo, s4
	s_and_saveexec_b32 s4, vcc_lo
	s_cbranch_execz .LBB384_4226
.LBB384_4299:
	ds_read_b32 v34, v0 offset:704
	s_waitcnt lgkmcnt(0)
	v_add_f32_e32 v14, v34, v14
	s_or_b32 exec_lo, exec_lo, s4
	s_and_saveexec_b32 s4, vcc_lo
	s_cbranch_execz .LBB384_4227
.LBB384_4300:
	ds_read_b32 v34, v0 offset:736
	s_waitcnt lgkmcnt(0)
	v_add_f32_e32 v11, v34, v11
	s_or_b32 exec_lo, exec_lo, s4
	s_and_saveexec_b32 s4, vcc_lo
	s_cbranch_execz .LBB384_4228
.LBB384_4301:
	ds_read_b32 v34, v0 offset:768
	s_waitcnt lgkmcnt(0)
	v_add_f32_e32 v10, v34, v10
	s_or_b32 exec_lo, exec_lo, s4
	s_and_saveexec_b32 s4, vcc_lo
	s_cbranch_execz .LBB384_4229
.LBB384_4302:
	ds_read_b32 v34, v0 offset:800
	s_waitcnt lgkmcnt(0)
	v_add_f32_e32 v8, v34, v8
	s_or_b32 exec_lo, exec_lo, s4
	s_and_saveexec_b32 s4, vcc_lo
	s_cbranch_execz .LBB384_4230
.LBB384_4303:
	ds_read_b32 v34, v0 offset:832
	s_waitcnt lgkmcnt(0)
	v_add_f32_e32 v7, v34, v7
	s_or_b32 exec_lo, exec_lo, s4
	s_and_saveexec_b32 s4, vcc_lo
	s_cbranch_execz .LBB384_4231
.LBB384_4304:
	ds_read_b32 v34, v0 offset:864
	s_waitcnt lgkmcnt(0)
	v_add_f32_e32 v6, v34, v6
	s_or_b32 exec_lo, exec_lo, s4
	s_and_saveexec_b32 s4, vcc_lo
	s_cbranch_execz .LBB384_4232
.LBB384_4305:
	ds_read_b32 v34, v0 offset:896
	s_waitcnt lgkmcnt(0)
	v_add_f32_e32 v5, v34, v5
	s_or_b32 exec_lo, exec_lo, s4
	s_and_saveexec_b32 s4, vcc_lo
	s_cbranch_execz .LBB384_4233
.LBB384_4306:
	ds_read_b32 v34, v0 offset:928
	s_waitcnt lgkmcnt(0)
	v_add_f32_e32 v2, v34, v2
	s_or_b32 exec_lo, exec_lo, s4
	s_and_saveexec_b32 s4, vcc_lo
	s_cbranch_execz .LBB384_4234
.LBB384_4307:
	ds_read_b32 v34, v0 offset:960
	s_waitcnt lgkmcnt(0)
	v_add_f32_e32 v3, v34, v3
	s_or_b32 exec_lo, exec_lo, s4
	s_and_saveexec_b32 s4, vcc_lo
	s_cbranch_execnz .LBB384_4235
	s_branch .LBB384_4236
.LBB384_4308:
	ds_read_b32 v1, v0
	s_waitcnt lgkmcnt(0)
	v_add_f32_e32 v33, v1, v33
	s_or_b32 exec_lo, exec_lo, s4
	s_and_saveexec_b32 s4, vcc_lo
	s_cbranch_execz .LBB384_4242
.LBB384_4309:
	ds_read_b32 v1, v0 offset:32
	s_waitcnt lgkmcnt(0)
	v_add_f32_e32 v31, v1, v31
	s_or_b32 exec_lo, exec_lo, s4
	s_and_saveexec_b32 s4, vcc_lo
	s_cbranch_execz .LBB384_4243
.LBB384_4310:
	ds_read_b32 v1, v0 offset:64
	s_waitcnt lgkmcnt(0)
	v_add_f32_e32 v32, v1, v32
	s_or_b32 exec_lo, exec_lo, s4
	s_and_saveexec_b32 s4, vcc_lo
	s_cbranch_execz .LBB384_4244
.LBB384_4311:
	ds_read_b32 v1, v0 offset:96
	s_waitcnt lgkmcnt(0)
	v_add_f32_e32 v30, v1, v30
	s_or_b32 exec_lo, exec_lo, s4
	s_and_saveexec_b32 s4, vcc_lo
	s_cbranch_execz .LBB384_4245
.LBB384_4312:
	ds_read_b32 v1, v0 offset:128
	s_waitcnt lgkmcnt(0)
	v_add_f32_e32 v29, v1, v29
	s_or_b32 exec_lo, exec_lo, s4
	s_and_saveexec_b32 s4, vcc_lo
	s_cbranch_execz .LBB384_4246
.LBB384_4313:
	ds_read_b32 v1, v0 offset:160
	s_waitcnt lgkmcnt(0)
	v_add_f32_e32 v27, v1, v27
	s_or_b32 exec_lo, exec_lo, s4
	s_and_saveexec_b32 s4, vcc_lo
	s_cbranch_execz .LBB384_4247
.LBB384_4314:
	ds_read_b32 v1, v0 offset:192
	s_waitcnt lgkmcnt(0)
	v_add_f32_e32 v25, v1, v25
	s_or_b32 exec_lo, exec_lo, s4
	s_and_saveexec_b32 s4, vcc_lo
	s_cbranch_execz .LBB384_4248
.LBB384_4315:
	ds_read_b32 v1, v0 offset:224
	s_waitcnt lgkmcnt(0)
	v_add_f32_e32 v21, v1, v21
	s_or_b32 exec_lo, exec_lo, s4
	s_and_saveexec_b32 s4, vcc_lo
	s_cbranch_execz .LBB384_4249
.LBB384_4316:
	ds_read_b32 v1, v0 offset:256
	s_waitcnt lgkmcnt(0)
	v_add_f32_e32 v26, v1, v26
	s_or_b32 exec_lo, exec_lo, s4
	s_and_saveexec_b32 s4, vcc_lo
	s_cbranch_execz .LBB384_4250
.LBB384_4317:
	ds_read_b32 v1, v0 offset:288
	s_waitcnt lgkmcnt(0)
	v_add_f32_e32 v22, v1, v22
	s_or_b32 exec_lo, exec_lo, s4
	s_and_saveexec_b32 s4, vcc_lo
	s_cbranch_execz .LBB384_4251
.LBB384_4318:
	ds_read_b32 v1, v0 offset:320
	s_waitcnt lgkmcnt(0)
	v_add_f32_e32 v20, v1, v20
	s_or_b32 exec_lo, exec_lo, s4
	s_and_saveexec_b32 s4, vcc_lo
	s_cbranch_execz .LBB384_4252
.LBB384_4319:
	ds_read_b32 v1, v0 offset:352
	s_waitcnt lgkmcnt(0)
	v_add_f32_e32 v17, v1, v17
	s_or_b32 exec_lo, exec_lo, s4
	s_and_saveexec_b32 s4, vcc_lo
	s_cbranch_execz .LBB384_4253
.LBB384_4320:
	ds_read_b32 v1, v0 offset:384
	s_waitcnt lgkmcnt(0)
	v_add_f32_e32 v16, v1, v16
	s_or_b32 exec_lo, exec_lo, s4
	s_and_saveexec_b32 s4, vcc_lo
	s_cbranch_execz .LBB384_4254
.LBB384_4321:
	ds_read_b32 v1, v0 offset:416
	s_waitcnt lgkmcnt(0)
	v_add_f32_e32 v13, v1, v13
	s_or_b32 exec_lo, exec_lo, s4
	s_and_saveexec_b32 s4, vcc_lo
	s_cbranch_execz .LBB384_4255
.LBB384_4322:
	ds_read_b32 v1, v0 offset:448
	s_waitcnt lgkmcnt(0)
	v_add_f32_e32 v12, v1, v12
	s_or_b32 exec_lo, exec_lo, s4
	s_and_saveexec_b32 s4, vcc_lo
	s_cbranch_execz .LBB384_4256
.LBB384_4323:
	ds_read_b32 v1, v0 offset:480
	s_waitcnt lgkmcnt(0)
	v_add_f32_e32 v9, v1, v9
	s_or_b32 exec_lo, exec_lo, s4
	s_and_saveexec_b32 s4, vcc_lo
	s_cbranch_execz .LBB384_4257
.LBB384_4324:
	ds_read_b32 v1, v0 offset:512
	s_waitcnt lgkmcnt(0)
	v_add_f32_e32 v28, v1, v28
	s_or_b32 exec_lo, exec_lo, s4
	s_and_saveexec_b32 s4, vcc_lo
	s_cbranch_execz .LBB384_4258
.LBB384_4325:
	ds_read_b32 v1, v0 offset:544
	s_waitcnt lgkmcnt(0)
	v_add_f32_e32 v24, v1, v24
	s_or_b32 exec_lo, exec_lo, s4
	s_and_saveexec_b32 s4, vcc_lo
	s_cbranch_execz .LBB384_4259
.LBB384_4326:
	ds_read_b32 v1, v0 offset:576
	s_waitcnt lgkmcnt(0)
	v_add_f32_e32 v23, v1, v23
	s_or_b32 exec_lo, exec_lo, s4
	s_and_saveexec_b32 s4, vcc_lo
	s_cbranch_execz .LBB384_4260
.LBB384_4327:
	ds_read_b32 v1, v0 offset:608
	s_waitcnt lgkmcnt(0)
	v_add_f32_e32 v19, v1, v19
	s_or_b32 exec_lo, exec_lo, s4
	s_and_saveexec_b32 s4, vcc_lo
	s_cbranch_execz .LBB384_4261
.LBB384_4328:
	ds_read_b32 v1, v0 offset:640
	s_waitcnt lgkmcnt(0)
	v_add_f32_e32 v18, v1, v18
	s_or_b32 exec_lo, exec_lo, s4
	s_and_saveexec_b32 s4, vcc_lo
	s_cbranch_execz .LBB384_4262
.LBB384_4329:
	ds_read_b32 v1, v0 offset:672
	s_waitcnt lgkmcnt(0)
	v_add_f32_e32 v15, v1, v15
	s_or_b32 exec_lo, exec_lo, s4
	s_and_saveexec_b32 s4, vcc_lo
	s_cbranch_execz .LBB384_4263
.LBB384_4330:
	ds_read_b32 v1, v0 offset:704
	s_waitcnt lgkmcnt(0)
	v_add_f32_e32 v14, v1, v14
	s_or_b32 exec_lo, exec_lo, s4
	s_and_saveexec_b32 s4, vcc_lo
	s_cbranch_execz .LBB384_4264
.LBB384_4331:
	ds_read_b32 v1, v0 offset:736
	s_waitcnt lgkmcnt(0)
	v_add_f32_e32 v11, v1, v11
	s_or_b32 exec_lo, exec_lo, s4
	s_and_saveexec_b32 s4, vcc_lo
	s_cbranch_execz .LBB384_4265
.LBB384_4332:
	ds_read_b32 v1, v0 offset:768
	s_waitcnt lgkmcnt(0)
	v_add_f32_e32 v10, v1, v10
	s_or_b32 exec_lo, exec_lo, s4
	s_and_saveexec_b32 s4, vcc_lo
	s_cbranch_execz .LBB384_4266
.LBB384_4333:
	ds_read_b32 v1, v0 offset:800
	s_waitcnt lgkmcnt(0)
	v_add_f32_e32 v8, v1, v8
	s_or_b32 exec_lo, exec_lo, s4
	s_and_saveexec_b32 s4, vcc_lo
	s_cbranch_execz .LBB384_4267
.LBB384_4334:
	ds_read_b32 v1, v0 offset:832
	s_waitcnt lgkmcnt(0)
	v_add_f32_e32 v7, v1, v7
	s_or_b32 exec_lo, exec_lo, s4
	s_and_saveexec_b32 s4, vcc_lo
	s_cbranch_execz .LBB384_4268
.LBB384_4335:
	ds_read_b32 v1, v0 offset:864
	s_waitcnt lgkmcnt(0)
	v_add_f32_e32 v6, v1, v6
	s_or_b32 exec_lo, exec_lo, s4
	s_and_saveexec_b32 s4, vcc_lo
	s_cbranch_execz .LBB384_4269
.LBB384_4336:
	ds_read_b32 v1, v0 offset:896
	s_waitcnt lgkmcnt(0)
	v_add_f32_e32 v5, v1, v5
	s_or_b32 exec_lo, exec_lo, s4
	s_and_saveexec_b32 s4, vcc_lo
	s_cbranch_execz .LBB384_4270
.LBB384_4337:
	ds_read_b32 v1, v0 offset:928
	s_waitcnt lgkmcnt(0)
	v_add_f32_e32 v2, v1, v2
	s_or_b32 exec_lo, exec_lo, s4
	s_and_saveexec_b32 s4, vcc_lo
	s_cbranch_execz .LBB384_4271
.LBB384_4338:
	ds_read_b32 v1, v0 offset:960
	s_waitcnt lgkmcnt(0)
	v_add_f32_e32 v3, v1, v3
	s_or_b32 exec_lo, exec_lo, s4
	s_and_saveexec_b32 s4, vcc_lo
	s_cbranch_execnz .LBB384_4272
	s_branch .LBB384_4273
.Lfunc_end384:
	.size	_ZN4vllm22paged_attention_kernelI14__hip_bfloat16hLi256ELi32ELi128ELNS_18Fp8KVCacheDataTypeE1ELb1ELi512EEEvPfS3_PT_PKS4_PKT0_SA_ifPKiSC_iPKfiiiSE_SE_iiiii, .Lfunc_end384-_ZN4vllm22paged_attention_kernelI14__hip_bfloat16hLi256ELi32ELi128ELNS_18Fp8KVCacheDataTypeE1ELb1ELi512EEEvPfS3_PT_PKS4_PKT0_SA_ifPKiSC_iPKfiiiSE_SE_iiiii
                                        ; -- End function
	.set .L_ZN4vllm22paged_attention_kernelI14__hip_bfloat16hLi256ELi32ELi128ELNS_18Fp8KVCacheDataTypeE1ELb1ELi512EEEvPfS3_PT_PKS4_PKT0_SA_ifPKiSC_iPKfiiiSE_SE_iiiii.num_vgpr, 128
	.set .L_ZN4vllm22paged_attention_kernelI14__hip_bfloat16hLi256ELi32ELi128ELNS_18Fp8KVCacheDataTypeE1ELb1ELi512EEEvPfS3_PT_PKS4_PKT0_SA_ifPKiSC_iPKfiiiSE_SE_iiiii.num_agpr, 0
	.set .L_ZN4vllm22paged_attention_kernelI14__hip_bfloat16hLi256ELi32ELi128ELNS_18Fp8KVCacheDataTypeE1ELb1ELi512EEEvPfS3_PT_PKS4_PKT0_SA_ifPKiSC_iPKfiiiSE_SE_iiiii.numbered_sgpr, 33
	.set .L_ZN4vllm22paged_attention_kernelI14__hip_bfloat16hLi256ELi32ELi128ELNS_18Fp8KVCacheDataTypeE1ELb1ELi512EEEvPfS3_PT_PKS4_PKT0_SA_ifPKiSC_iPKfiiiSE_SE_iiiii.num_named_barrier, 0
	.set .L_ZN4vllm22paged_attention_kernelI14__hip_bfloat16hLi256ELi32ELi128ELNS_18Fp8KVCacheDataTypeE1ELb1ELi512EEEvPfS3_PT_PKS4_PKT0_SA_ifPKiSC_iPKfiiiSE_SE_iiiii.private_seg_size, 2416
	.set .L_ZN4vllm22paged_attention_kernelI14__hip_bfloat16hLi256ELi32ELi128ELNS_18Fp8KVCacheDataTypeE1ELb1ELi512EEEvPfS3_PT_PKS4_PKT0_SA_ifPKiSC_iPKfiiiSE_SE_iiiii.uses_vcc, 1
	.set .L_ZN4vllm22paged_attention_kernelI14__hip_bfloat16hLi256ELi32ELi128ELNS_18Fp8KVCacheDataTypeE1ELb1ELi512EEEvPfS3_PT_PKS4_PKT0_SA_ifPKiSC_iPKfiiiSE_SE_iiiii.uses_flat_scratch, 0
	.set .L_ZN4vllm22paged_attention_kernelI14__hip_bfloat16hLi256ELi32ELi128ELNS_18Fp8KVCacheDataTypeE1ELb1ELi512EEEvPfS3_PT_PKS4_PKT0_SA_ifPKiSC_iPKfiiiSE_SE_iiiii.has_dyn_sized_stack, 0
	.set .L_ZN4vllm22paged_attention_kernelI14__hip_bfloat16hLi256ELi32ELi128ELNS_18Fp8KVCacheDataTypeE1ELb1ELi512EEEvPfS3_PT_PKS4_PKT0_SA_ifPKiSC_iPKfiiiSE_SE_iiiii.has_recursion, 0
	.set .L_ZN4vllm22paged_attention_kernelI14__hip_bfloat16hLi256ELi32ELi128ELNS_18Fp8KVCacheDataTypeE1ELb1ELi512EEEvPfS3_PT_PKS4_PKT0_SA_ifPKiSC_iPKfiiiSE_SE_iiiii.has_indirect_call, 0
	.section	.AMDGPU.csdata,"",@progbits
; Function info:
; codeLenInByte = 181880
; TotalNumSgprs: 35
; NumVgprs: 128
; ScratchSize: 2416
; MemoryBound: 0
	.section	.text._ZN4vllm25paged_attention_v2_kernelI14__hip_bfloat16hLi256ELi32ELi128ELNS_18Fp8KVCacheDataTypeE1ELb1ELi512EEEvPfS3_PT_PKS4_PKT0_SA_ifPKiSC_iPKfiiiSE_SE_iiiii,"axG",@progbits,_ZN4vllm25paged_attention_v2_kernelI14__hip_bfloat16hLi256ELi32ELi128ELNS_18Fp8KVCacheDataTypeE1ELb1ELi512EEEvPfS3_PT_PKS4_PKT0_SA_ifPKiSC_iPKfiiiSE_SE_iiiii,comdat
	.protected	_ZN4vllm25paged_attention_v2_kernelI14__hip_bfloat16hLi256ELi32ELi128ELNS_18Fp8KVCacheDataTypeE1ELb1ELi512EEEvPfS3_PT_PKS4_PKT0_SA_ifPKiSC_iPKfiiiSE_SE_iiiii ; -- Begin function _ZN4vllm25paged_attention_v2_kernelI14__hip_bfloat16hLi256ELi32ELi128ELNS_18Fp8KVCacheDataTypeE1ELb1ELi512EEEvPfS3_PT_PKS4_PKT0_SA_ifPKiSC_iPKfiiiSE_SE_iiiii
	.globl	_ZN4vllm25paged_attention_v2_kernelI14__hip_bfloat16hLi256ELi32ELi128ELNS_18Fp8KVCacheDataTypeE1ELb1ELi512EEEvPfS3_PT_PKS4_PKT0_SA_ifPKiSC_iPKfiiiSE_SE_iiiii
	.p2align	8
	.type	_ZN4vllm25paged_attention_v2_kernelI14__hip_bfloat16hLi256ELi32ELi128ELNS_18Fp8KVCacheDataTypeE1ELb1ELi512EEEvPfS3_PT_PKS4_PKT0_SA_ifPKiSC_iPKfiiiSE_SE_iiiii,@function
_ZN4vllm25paged_attention_v2_kernelI14__hip_bfloat16hLi256ELi32ELi128ELNS_18Fp8KVCacheDataTypeE1ELb1ELi512EEEvPfS3_PT_PKS4_PKT0_SA_ifPKiSC_iPKfiiiSE_SE_iiiii: ; @_ZN4vllm25paged_attention_v2_kernelI14__hip_bfloat16hLi256ELi32ELi128ELNS_18Fp8KVCacheDataTypeE1ELb1ELi512EEEvPfS3_PT_PKS4_PKT0_SA_ifPKiSC_iPKfiiiSE_SE_iiiii
; %bb.0:
	s_mov_b32 s14, s8
	s_clause 0x7
	s_load_dwordx4 s[36:39], s[4:5], 0x78
	s_load_dword s8, s[4:5], 0x88
	s_load_dwordx8 s[40:47], s[4:5], 0x0
	s_load_dwordx8 s[24:31], s[4:5], 0x20
	s_load_dwordx2 s[10:11], s[4:5], 0x40
	s_load_dwordx2 s[34:35], s[4:5], 0x50
	s_load_dword s13, s[4:5], 0x48
	s_load_dwordx8 s[16:23], s[4:5], 0x58
	s_add_u32 s0, s0, s9
	s_mov_b32 s32, 0
	s_addc_u32 s1, s1, 0
	v_mov_b32_e32 v31, v0
	s_mov_b32 s12, s6
	s_mov_b32 s15, 13
	s_waitcnt lgkmcnt(0)
	v_mov_b32_e32 v1, s39
	v_mov_b32_e32 v2, s8
	;; [unrolled: 1-line block ×4, first 2 shown]
	buffer_store_dword v1, off, s[0:3], s32
	buffer_store_dword v2, off, s[0:3], s32 offset:4
	v_mov_b32_e32 v1, s41
	v_mov_b32_e32 v2, s42
	;; [unrolled: 1-line block ×29, first 2 shown]
	s_add_u32 s8, s4, 0x90
	s_addc_u32 s9, s5, 0
	s_getpc_b64 s[4:5]
	s_add_u32 s4, s4, _ZN4vllm22paged_attention_kernelI14__hip_bfloat16hLi256ELi32ELi128ELNS_18Fp8KVCacheDataTypeE1ELb1ELi512EEEvPfS3_PT_PKS4_PKT0_SA_ifPKiSC_iPKfiiiSE_SE_iiiii@rel32@lo+4
	s_addc_u32 s5, s5, _ZN4vllm22paged_attention_kernelI14__hip_bfloat16hLi256ELi32ELi128ELNS_18Fp8KVCacheDataTypeE1ELb1ELi512EEEvPfS3_PT_PKS4_PKT0_SA_ifPKiSC_iPKfiiiSE_SE_iiiii@rel32@hi+12
	s_mov_b32 s13, s7
	s_swappc_b64 s[30:31], s[4:5]
	s_endpgm
	.section	.rodata,"a",@progbits
	.p2align	6, 0x0
	.amdhsa_kernel _ZN4vllm25paged_attention_v2_kernelI14__hip_bfloat16hLi256ELi32ELi128ELNS_18Fp8KVCacheDataTypeE1ELb1ELi512EEEvPfS3_PT_PKS4_PKT0_SA_ifPKiSC_iPKfiiiSE_SE_iiiii
		.amdhsa_group_segment_fixed_size 544
		.amdhsa_private_segment_fixed_size 2416
		.amdhsa_kernarg_size 400
		.amdhsa_user_sgpr_count 6
		.amdhsa_user_sgpr_private_segment_buffer 1
		.amdhsa_user_sgpr_dispatch_ptr 0
		.amdhsa_user_sgpr_queue_ptr 0
		.amdhsa_user_sgpr_kernarg_segment_ptr 1
		.amdhsa_user_sgpr_dispatch_id 0
		.amdhsa_user_sgpr_flat_scratch_init 0
		.amdhsa_user_sgpr_private_segment_size 0
		.amdhsa_wavefront_size32 1
		.amdhsa_uses_dynamic_stack 0
		.amdhsa_system_sgpr_private_segment_wavefront_offset 1
		.amdhsa_system_sgpr_workgroup_id_x 1
		.amdhsa_system_sgpr_workgroup_id_y 1
		.amdhsa_system_sgpr_workgroup_id_z 1
		.amdhsa_system_sgpr_workgroup_info 0
		.amdhsa_system_vgpr_workitem_id 0
		.amdhsa_next_free_vgpr 128
		.amdhsa_next_free_sgpr 48
		.amdhsa_reserve_vcc 1
		.amdhsa_reserve_flat_scratch 0
		.amdhsa_float_round_mode_32 0
		.amdhsa_float_round_mode_16_64 0
		.amdhsa_float_denorm_mode_32 3
		.amdhsa_float_denorm_mode_16_64 3
		.amdhsa_dx10_clamp 1
		.amdhsa_ieee_mode 1
		.amdhsa_fp16_overflow 0
		.amdhsa_workgroup_processor_mode 1
		.amdhsa_memory_ordered 1
		.amdhsa_forward_progress 1
		.amdhsa_shared_vgpr_count 0
		.amdhsa_exception_fp_ieee_invalid_op 0
		.amdhsa_exception_fp_denorm_src 0
		.amdhsa_exception_fp_ieee_div_zero 0
		.amdhsa_exception_fp_ieee_overflow 0
		.amdhsa_exception_fp_ieee_underflow 0
		.amdhsa_exception_fp_ieee_inexact 0
		.amdhsa_exception_int_div_zero 0
	.end_amdhsa_kernel
	.section	.text._ZN4vllm25paged_attention_v2_kernelI14__hip_bfloat16hLi256ELi32ELi128ELNS_18Fp8KVCacheDataTypeE1ELb1ELi512EEEvPfS3_PT_PKS4_PKT0_SA_ifPKiSC_iPKfiiiSE_SE_iiiii,"axG",@progbits,_ZN4vllm25paged_attention_v2_kernelI14__hip_bfloat16hLi256ELi32ELi128ELNS_18Fp8KVCacheDataTypeE1ELb1ELi512EEEvPfS3_PT_PKS4_PKT0_SA_ifPKiSC_iPKfiiiSE_SE_iiiii,comdat
.Lfunc_end385:
	.size	_ZN4vllm25paged_attention_v2_kernelI14__hip_bfloat16hLi256ELi32ELi128ELNS_18Fp8KVCacheDataTypeE1ELb1ELi512EEEvPfS3_PT_PKS4_PKT0_SA_ifPKiSC_iPKfiiiSE_SE_iiiii, .Lfunc_end385-_ZN4vllm25paged_attention_v2_kernelI14__hip_bfloat16hLi256ELi32ELi128ELNS_18Fp8KVCacheDataTypeE1ELb1ELi512EEEvPfS3_PT_PKS4_PKT0_SA_ifPKiSC_iPKfiiiSE_SE_iiiii
                                        ; -- End function
	.set _ZN4vllm25paged_attention_v2_kernelI14__hip_bfloat16hLi256ELi32ELi128ELNS_18Fp8KVCacheDataTypeE1ELb1ELi512EEEvPfS3_PT_PKS4_PKT0_SA_ifPKiSC_iPKfiiiSE_SE_iiiii.num_vgpr, max(32, .L_ZN4vllm22paged_attention_kernelI14__hip_bfloat16hLi256ELi32ELi128ELNS_18Fp8KVCacheDataTypeE1ELb1ELi512EEEvPfS3_PT_PKS4_PKT0_SA_ifPKiSC_iPKfiiiSE_SE_iiiii.num_vgpr)
	.set _ZN4vllm25paged_attention_v2_kernelI14__hip_bfloat16hLi256ELi32ELi128ELNS_18Fp8KVCacheDataTypeE1ELb1ELi512EEEvPfS3_PT_PKS4_PKT0_SA_ifPKiSC_iPKfiiiSE_SE_iiiii.num_agpr, max(0, .L_ZN4vllm22paged_attention_kernelI14__hip_bfloat16hLi256ELi32ELi128ELNS_18Fp8KVCacheDataTypeE1ELb1ELi512EEEvPfS3_PT_PKS4_PKT0_SA_ifPKiSC_iPKfiiiSE_SE_iiiii.num_agpr)
	.set _ZN4vllm25paged_attention_v2_kernelI14__hip_bfloat16hLi256ELi32ELi128ELNS_18Fp8KVCacheDataTypeE1ELb1ELi512EEEvPfS3_PT_PKS4_PKT0_SA_ifPKiSC_iPKfiiiSE_SE_iiiii.numbered_sgpr, max(48, .L_ZN4vllm22paged_attention_kernelI14__hip_bfloat16hLi256ELi32ELi128ELNS_18Fp8KVCacheDataTypeE1ELb1ELi512EEEvPfS3_PT_PKS4_PKT0_SA_ifPKiSC_iPKfiiiSE_SE_iiiii.numbered_sgpr)
	.set _ZN4vllm25paged_attention_v2_kernelI14__hip_bfloat16hLi256ELi32ELi128ELNS_18Fp8KVCacheDataTypeE1ELb1ELi512EEEvPfS3_PT_PKS4_PKT0_SA_ifPKiSC_iPKfiiiSE_SE_iiiii.num_named_barrier, max(0, .L_ZN4vllm22paged_attention_kernelI14__hip_bfloat16hLi256ELi32ELi128ELNS_18Fp8KVCacheDataTypeE1ELb1ELi512EEEvPfS3_PT_PKS4_PKT0_SA_ifPKiSC_iPKfiiiSE_SE_iiiii.num_named_barrier)
	.set _ZN4vllm25paged_attention_v2_kernelI14__hip_bfloat16hLi256ELi32ELi128ELNS_18Fp8KVCacheDataTypeE1ELb1ELi512EEEvPfS3_PT_PKS4_PKT0_SA_ifPKiSC_iPKfiiiSE_SE_iiiii.private_seg_size, 0+max(.L_ZN4vllm22paged_attention_kernelI14__hip_bfloat16hLi256ELi32ELi128ELNS_18Fp8KVCacheDataTypeE1ELb1ELi512EEEvPfS3_PT_PKS4_PKT0_SA_ifPKiSC_iPKfiiiSE_SE_iiiii.private_seg_size)
	.set _ZN4vllm25paged_attention_v2_kernelI14__hip_bfloat16hLi256ELi32ELi128ELNS_18Fp8KVCacheDataTypeE1ELb1ELi512EEEvPfS3_PT_PKS4_PKT0_SA_ifPKiSC_iPKfiiiSE_SE_iiiii.uses_vcc, or(1, .L_ZN4vllm22paged_attention_kernelI14__hip_bfloat16hLi256ELi32ELi128ELNS_18Fp8KVCacheDataTypeE1ELb1ELi512EEEvPfS3_PT_PKS4_PKT0_SA_ifPKiSC_iPKfiiiSE_SE_iiiii.uses_vcc)
	.set _ZN4vllm25paged_attention_v2_kernelI14__hip_bfloat16hLi256ELi32ELi128ELNS_18Fp8KVCacheDataTypeE1ELb1ELi512EEEvPfS3_PT_PKS4_PKT0_SA_ifPKiSC_iPKfiiiSE_SE_iiiii.uses_flat_scratch, or(0, .L_ZN4vllm22paged_attention_kernelI14__hip_bfloat16hLi256ELi32ELi128ELNS_18Fp8KVCacheDataTypeE1ELb1ELi512EEEvPfS3_PT_PKS4_PKT0_SA_ifPKiSC_iPKfiiiSE_SE_iiiii.uses_flat_scratch)
	.set _ZN4vllm25paged_attention_v2_kernelI14__hip_bfloat16hLi256ELi32ELi128ELNS_18Fp8KVCacheDataTypeE1ELb1ELi512EEEvPfS3_PT_PKS4_PKT0_SA_ifPKiSC_iPKfiiiSE_SE_iiiii.has_dyn_sized_stack, or(0, .L_ZN4vllm22paged_attention_kernelI14__hip_bfloat16hLi256ELi32ELi128ELNS_18Fp8KVCacheDataTypeE1ELb1ELi512EEEvPfS3_PT_PKS4_PKT0_SA_ifPKiSC_iPKfiiiSE_SE_iiiii.has_dyn_sized_stack)
	.set _ZN4vllm25paged_attention_v2_kernelI14__hip_bfloat16hLi256ELi32ELi128ELNS_18Fp8KVCacheDataTypeE1ELb1ELi512EEEvPfS3_PT_PKS4_PKT0_SA_ifPKiSC_iPKfiiiSE_SE_iiiii.has_recursion, or(0, .L_ZN4vllm22paged_attention_kernelI14__hip_bfloat16hLi256ELi32ELi128ELNS_18Fp8KVCacheDataTypeE1ELb1ELi512EEEvPfS3_PT_PKS4_PKT0_SA_ifPKiSC_iPKfiiiSE_SE_iiiii.has_recursion)
	.set _ZN4vllm25paged_attention_v2_kernelI14__hip_bfloat16hLi256ELi32ELi128ELNS_18Fp8KVCacheDataTypeE1ELb1ELi512EEEvPfS3_PT_PKS4_PKT0_SA_ifPKiSC_iPKfiiiSE_SE_iiiii.has_indirect_call, or(0, .L_ZN4vllm22paged_attention_kernelI14__hip_bfloat16hLi256ELi32ELi128ELNS_18Fp8KVCacheDataTypeE1ELb1ELi512EEEvPfS3_PT_PKS4_PKT0_SA_ifPKiSC_iPKfiiiSE_SE_iiiii.has_indirect_call)
	.section	.AMDGPU.csdata,"",@progbits
; Kernel info:
; codeLenInByte = 292
; TotalNumSgprs: 50
; NumVgprs: 128
; ScratchSize: 2416
; MemoryBound: 0
; FloatMode: 240
; IeeeMode: 1
; LDSByteSize: 544 bytes/workgroup (compile time only)
; SGPRBlocks: 0
; VGPRBlocks: 15
; NumSGPRsForWavesPerEU: 50
; NumVGPRsForWavesPerEU: 128
; Occupancy: 8
; WaveLimiterHint : 1
; COMPUTE_PGM_RSRC2:SCRATCH_EN: 1
; COMPUTE_PGM_RSRC2:USER_SGPR: 6
; COMPUTE_PGM_RSRC2:TRAP_HANDLER: 0
; COMPUTE_PGM_RSRC2:TGID_X_EN: 1
; COMPUTE_PGM_RSRC2:TGID_Y_EN: 1
; COMPUTE_PGM_RSRC2:TGID_Z_EN: 1
; COMPUTE_PGM_RSRC2:TIDIG_COMP_CNT: 0
	.section	.text._ZN4vllm25paged_attention_v2_kernelI14__hip_bfloat16hLi32ELi32ELi128ELNS_18Fp8KVCacheDataTypeE1ELb0ELi512EEEvPfS3_PT_PKS4_PKT0_SA_ifPKiSC_iPKfiiiSE_SE_iiiii,"axG",@progbits,_ZN4vllm25paged_attention_v2_kernelI14__hip_bfloat16hLi32ELi32ELi128ELNS_18Fp8KVCacheDataTypeE1ELb0ELi512EEEvPfS3_PT_PKS4_PKT0_SA_ifPKiSC_iPKfiiiSE_SE_iiiii,comdat
	.protected	_ZN4vllm25paged_attention_v2_kernelI14__hip_bfloat16hLi32ELi32ELi128ELNS_18Fp8KVCacheDataTypeE1ELb0ELi512EEEvPfS3_PT_PKS4_PKT0_SA_ifPKiSC_iPKfiiiSE_SE_iiiii ; -- Begin function _ZN4vllm25paged_attention_v2_kernelI14__hip_bfloat16hLi32ELi32ELi128ELNS_18Fp8KVCacheDataTypeE1ELb0ELi512EEEvPfS3_PT_PKS4_PKT0_SA_ifPKiSC_iPKfiiiSE_SE_iiiii
	.globl	_ZN4vllm25paged_attention_v2_kernelI14__hip_bfloat16hLi32ELi32ELi128ELNS_18Fp8KVCacheDataTypeE1ELb0ELi512EEEvPfS3_PT_PKS4_PKT0_SA_ifPKiSC_iPKfiiiSE_SE_iiiii
	.p2align	8
	.type	_ZN4vllm25paged_attention_v2_kernelI14__hip_bfloat16hLi32ELi32ELi128ELNS_18Fp8KVCacheDataTypeE1ELb0ELi512EEEvPfS3_PT_PKS4_PKT0_SA_ifPKiSC_iPKfiiiSE_SE_iiiii,@function
_ZN4vllm25paged_attention_v2_kernelI14__hip_bfloat16hLi32ELi32ELi128ELNS_18Fp8KVCacheDataTypeE1ELb0ELi512EEEvPfS3_PT_PKS4_PKT0_SA_ifPKiSC_iPKfiiiSE_SE_iiiii: ; @_ZN4vllm25paged_attention_v2_kernelI14__hip_bfloat16hLi32ELi32ELi128ELNS_18Fp8KVCacheDataTypeE1ELb0ELi512EEEvPfS3_PT_PKS4_PKT0_SA_ifPKiSC_iPKfiiiSE_SE_iiiii
; %bb.0:
	s_load_dwordx2 s[0:1], s[4:5], 0x40
	s_mov_b32 s28, s7
	s_ashr_i32 s29, s7, 31
	s_lshl_b64 s[2:3], s[28:29], 2
	s_waitcnt lgkmcnt(0)
	s_add_u32 s0, s0, s2
	s_addc_u32 s1, s1, s3
	s_lshl_b32 s33, s8, 9
	s_load_dword s29, s[0:1], 0x0
	s_waitcnt lgkmcnt(0)
	s_cmp_ge_i32 s33, s29
	s_cbranch_scc1 .LBB386_538
; %bb.1:
	s_clause 0x1
	s_load_dword s9, s[4:5], 0x90
	s_load_dwordx2 s[2:3], s[4:5], 0x30
	s_mov_b32 s36, 0
	s_waitcnt lgkmcnt(0)
	s_abs_i32 s10, s9
	s_abs_i32 s0, s2
	s_xor_b32 s2, s9, s2
	v_cvt_f32_u32_e32 v1, s0
	s_sub_i32 s7, 0, s0
	s_ashr_i32 s2, s2, 31
	v_rcp_iflag_f32_e32 v1, v1
	v_mul_f32_e32 v1, 0x4f7ffffe, v1
	v_cvt_u32_f32_e32 v1, v1
	v_readfirstlane_b32 s1, v1
	s_mul_i32 s7, s7, s1
	s_mul_hi_u32 s7, s1, s7
	s_add_i32 s1, s1, s7
	s_mul_hi_u32 s1, s10, s1
	s_mul_i32 s7, s1, s0
	s_sub_i32 s7, s10, s7
	s_add_i32 s10, s1, 1
	s_sub_i32 s11, s7, s0
	s_cmp_ge_u32 s7, s0
	s_cselect_b32 s1, s10, s1
	s_cselect_b32 s7, s11, s7
	s_add_i32 s10, s1, 1
	s_cmp_ge_u32 s7, s0
	s_cselect_b32 s0, s10, s1
	s_abs_i32 s17, s6
	s_xor_b32 s0, s0, s2
	s_sub_i32 s10, s0, s2
	s_load_dwordx2 s[0:1], s[4:5], 0x50
	s_abs_i32 s2, s10
	v_cvt_f32_u32_e32 v1, s2
	s_sub_i32 s11, 0, s2
	v_rcp_iflag_f32_e32 v1, v1
	v_mul_f32_e32 v1, 0x4f7ffffe, v1
	v_cvt_u32_f32_e32 v1, v1
	v_readfirstlane_b32 s7, v1
	s_mul_i32 s11, s11, s7
	s_mul_hi_u32 s11, s7, s11
	s_add_i32 s7, s7, s11
	s_waitcnt lgkmcnt(0)
	s_cmp_eq_u64 s[0:1], 0
	s_mul_hi_u32 s16, s17, s7
	s_cbranch_scc1 .LBB386_3
; %bb.2:
	s_ashr_i32 s7, s6, 31
	s_lshl_b64 s[12:13], s[6:7], 2
	s_add_u32 s0, s0, s12
	s_addc_u32 s1, s1, s13
	s_load_dword s36, s[0:1], 0x0
.LBB386_3:
	s_clause 0x1
	s_load_dwordx2 s[26:27], s[4:5], 0x38
	s_load_dwordx4 s[12:15], s[4:5], 0x58
	s_ashr_i32 s0, s6, 31
	s_ashr_i32 s1, s10, 31
	s_lshl_b32 s10, s6, 5
	s_mov_b32 s7, exec_lo
	v_cmpx_gt_u32_e32 4, v0
	s_cbranch_execz .LBB386_5
; %bb.4:
	s_load_dwordx2 s[18:19], s[4:5], 0x18
	s_waitcnt lgkmcnt(0)
	s_mul_i32 s20, s12, s28
	v_lshlrev_b32_e32 v5, 4, v0
	s_ashr_i32 s21, s20, 31
	s_lshl_b64 s[20:21], s[20:21], 1
	s_add_u32 s12, s18, s20
	s_addc_u32 s15, s19, s21
	s_ashr_i32 s11, s10, 31
	s_lshl_b64 s[18:19], s[10:11], 1
	s_add_u32 s18, s12, s18
	s_addc_u32 s19, s15, s19
	global_load_dwordx4 v[1:4], v5, s[18:19]
	s_waitcnt vmcnt(0)
	ds_write_b128 v5, v[1:4]
.LBB386_5:
	s_or_b32 exec_lo, exec_lo, s7
	s_add_i32 s7, s29, 31
	s_waitcnt lgkmcnt(0)
	s_lshl_b32 s15, s8, 4
	s_ashr_i32 s11, s7, 31
	s_xor_b32 s0, s0, s1
	s_lshr_b32 s11, s11, 27
	s_mul_i32 s1, s16, s2
	s_add_i32 s7, s7, s11
	s_add_i32 s11, s15, 16
	s_ashr_i32 s12, s7, 5
	s_sub_i32 s1, s17, s1
	s_clause 0x3
	s_load_dwordx4 s[20:23], s[4:5], 0x0
	s_load_dwordx2 s[24:25], s[4:5], 0x10
	s_load_dwordx2 s[30:31], s[4:5], 0x28
	s_load_dword s34, s[4:5], 0x48
	s_min_i32 s11, s11, s12
	s_add_i32 s7, s16, 1
	s_sub_i32 s17, s1, s2
	s_cmp_ge_u32 s1, s2
	v_lshrrev_b32_e32 v22, 5, v0
	s_cselect_b32 s35, s7, s16
	s_cselect_b32 s1, s17, s1
	s_clause 0x1
	s_load_dword s7, s[4:5], 0x98
	s_load_dwordx4 s[16:19], s[4:5], 0x68
	s_add_i32 s37, s35, 1
	s_cmp_ge_u32 s1, s2
	v_add_nc_u32_e32 v9, s15, v22
	v_and_b32_e32 v23, 31, v0
	s_cselect_b32 s1, s37, s35
	v_mov_b32_e32 v41, 0xff7fffff
	s_xor_b32 s1, s1, s0
	v_ashrrev_i32_e32 v10, 31, v9
	s_sub_i32 s1, s1, s0
	v_cmp_gt_i32_e64 s0, s11, v9
	v_lshlrev_b32_e32 v15, 2, v23
	s_waitcnt lgkmcnt(0)
	s_mul_i32 s34, s34, s28
	s_mul_i32 s14, s1, s14
	s_ashr_i32 s35, s34, 31
	s_barrier
	buffer_gl0_inv
	s_and_saveexec_b32 s37, s0
	s_cbranch_execz .LBB386_249
; %bb.6:
	v_mov_b32_e32 v2, 0
	s_load_dwordx2 s[4:5], s[4:5], 0x20
	v_lshlrev_b32_e32 v1, 4, v23
	s_ashr_i32 s1, s14, 31
	v_cmp_neq_f32_e64 vcc_lo, s36, 0
	ds_read_b128 v[5:8], v2
	ds_read_b128 v[11:14], v2 offset:16
	ds_read_b128 v[38:41], v2 offset:32
	;; [unrolled: 1-line block ×3, first 2 shown]
	s_load_dword s16, s[16:17], 0x0
	v_mov_b32_e32 v53, 0x80
	v_mov_b32_e32 v54, 0xffff
	;; [unrolled: 1-line block ×6, first 2 shown]
	s_mov_b32 s38, s13
	s_mov_b32 s39, 0
	s_waitcnt lgkmcnt(0)
	s_add_u32 s2, s4, s14
	s_addc_u32 s1, s5, s1
	v_add_co_u32 v3, s2, s2, v1
	v_lshlrev_b32_e32 v16, 16, v5
	v_and_b32_e32 v17, 0xffff0000, v5
	v_lshlrev_b32_e32 v18, 16, v6
	v_and_b32_e32 v19, 0xffff0000, v6
	v_lshlrev_b64 v[5:6], 2, v[9:10]
	s_lshl_b64 s[4:5], s[34:35], 2
	v_lshlrev_b32_e32 v20, 16, v7
	v_and_b32_e32 v21, 0xffff0000, v7
	v_lshlrev_b32_e32 v1, 5, v22
	v_lshl_or_b32 v7, v22, 7, v15
	s_sub_i32 s17, 1, s29
	v_add_co_ci_u32_e64 v4, null, s1, 0, s2
	s_add_u32 s1, s26, s4
	s_addc_u32 s2, s27, s5
	v_add_co_u32 v5, s1, s1, v5
	v_lshlrev_b32_e32 v24, 16, v8
	v_and_b32_e32 v25, 0xffff0000, v8
	v_lshlrev_b32_e32 v26, 16, v11
	v_and_b32_e32 v27, 0xffff0000, v11
	;; [unrolled: 2-line block ×13, first 2 shown]
	v_add3_u32 v51, s33, v1, v23
	v_add_nc_u32_e32 v52, 0x60, v7
	v_add_co_ci_u32_e64 v6, null, s2, v6, s1
	v_mov_b32_e32 v41, 0xff7fffff
	s_mov_b32 s4, -1
	s_mov_b32 s5, 0xffffff
	s_branch .LBB386_11
.LBB386_7:                              ;   in Loop: Header=BB386_11 Depth=1
	s_or_b32 exec_lo, exec_lo, s42
	v_lshlrev_b32_sdwa v8, v57, v8 dst_sel:DWORD dst_unused:UNUSED_PAD src0_sel:DWORD src1_sel:BYTE_3
	v_lshlrev_b32_e32 v1, 20, v1
	v_lshl_add_u32 v7, v7, 23, 0x3c000000
	v_and_b32_e32 v8, 0x80000000, v8
	v_or3_b32 v87, v1, v8, v7
.LBB386_8:                              ;   in Loop: Header=BB386_11 Depth=1
	s_or_b32 exec_lo, exec_lo, s41
.LBB386_9:                              ;   in Loop: Header=BB386_11 Depth=1
	s_or_b32 exec_lo, exec_lo, s40
.LBB386_10:                             ;   in Loop: Header=BB386_11 Depth=1
	s_or_b32 exec_lo, exec_lo, s2
	v_mul_f32_e32 v1, s16, v81
	v_mul_f32_e32 v7, s16, v78
	;; [unrolled: 1-line block ×5, first 2 shown]
	v_bfe_u32 v12, v1, 16, 1
	v_bfe_u32 v78, v7, 16, 1
	v_or_b32_e32 v79, 0x400000, v1
	v_cmp_u_f32_e64 s1, v1, v1
	v_or_b32_e32 v81, 0x400000, v7
	v_add3_u32 v12, v12, v1, 0x7fff
	v_bfe_u32 v88, v8, 16, 1
	v_add3_u32 v78, v78, v7, 0x7fff
	v_bfe_u32 v89, v77, 16, 1
	v_mul_f32_e32 v73, s16, v73
	v_cndmask_b32_e64 v1, v12, v79, s1
	v_cmp_u_f32_e64 s1, v7, v7
	v_add3_u32 v12, v88, v8, 0x7fff
	v_add3_u32 v79, v89, v77, 0x7fff
	v_bfe_u32 v88, v76, 16, 1
	v_bfe_u32 v89, v73, 16, 1
	v_cndmask_b32_e64 v7, v78, v81, s1
	v_or_b32_e32 v78, 0x400000, v8
	v_cmp_u_f32_e64 s1, v8, v8
	v_mul_f32_e32 v81, s16, v75
	v_or_b32_e32 v75, 0x400000, v77
	v_mul_f32_e32 v71, s16, v71
	v_mul_f32_e32 v68, s16, v68
	v_cndmask_b32_e64 v8, v12, v78, s1
	v_cmp_u_f32_e64 s1, v77, v77
	v_bfe_u32 v12, v81, 16, 1
	v_add3_u32 v77, v88, v76, 0x7fff
	v_mul_f32_e32 v78, s16, v80
	v_mul_f32_e32 v80, s16, v83
	v_cndmask_b32_e64 v75, v79, v75, s1
	v_or_b32_e32 v79, 0x400000, v76
	v_cmp_u_f32_e64 s1, v76, v76
	v_add3_u32 v12, v12, v81, 0x7fff
	v_or_b32_e32 v83, 0x400000, v81
	v_bfe_u32 v88, v78, 16, 1
	v_mul_f32_e32 v67, s16, v67
	v_cndmask_b32_e64 v76, v77, v79, s1
	v_cmp_u_f32_e64 s1, v81, v81
	v_bfe_u32 v79, v80, 16, 1
	v_or_b32_e32 v81, 0x400000, v78
	v_mul_f32_e32 v72, s16, v72
	v_mul_f32_e32 v74, s16, v74
	v_cndmask_b32_e64 v77, v12, v83, s1
	v_add3_u32 v12, v88, v78, 0x7fff
	v_cmp_u_f32_e64 s1, v78, v78
	v_add3_u32 v79, v79, v80, 0x7fff
	v_mul_f32_e32 v83, s16, v70
	v_or_b32_e32 v88, 0x400000, v80
	v_mul_f32_e32 v65, s16, v65
	v_cndmask_b32_e64 v70, v12, v81, s1
	v_cmp_u_f32_e64 s1, v80, v80
	v_bfe_u32 v78, v83, 16, 1
	v_or_b32_e32 v80, 0x400000, v73
	v_mul_f32_e32 v81, s16, v69
	v_mul_f32_e32 v62, s16, v62
	v_cndmask_b32_e64 v12, v79, v88, s1
	v_add3_u32 v79, v89, v73, 0x7fff
	v_cmp_u_f32_e64 s1, v73, v73
	v_add3_u32 v78, v78, v83, 0x7fff
	v_or_b32_e32 v88, 0x400000, v83
	v_bfe_u32 v89, v71, 16, 1
	v_bfe_u32 v73, v81, 16, 1
	v_cndmask_b32_e64 v69, v79, v80, s1
	v_cmp_u_f32_e64 s1, v83, v83
	v_or_b32_e32 v80, 0x400000, v71
	v_add3_u32 v79, v89, v71, 0x7fff
	v_add3_u32 v73, v73, v81, 0x7fff
	v_or_b32_e32 v83, 0x400000, v81
	v_cndmask_b32_e64 v78, v78, v88, s1
	v_cmp_u_f32_e64 s1, v71, v71
	v_bfe_u32 v88, v68, 16, 1
	v_mul_f32_e32 v63, s16, v63
	v_mul_f32_e32 v61, s16, v61
	;; [unrolled: 1-line block ×3, first 2 shown]
	v_cndmask_b32_e64 v71, v79, v80, s1
	v_cmp_u_f32_e64 s1, v81, v81
	v_bfe_u32 v79, v67, 16, 1
	v_add3_u32 v80, v88, v68, 0x7fff
	v_or_b32_e32 v81, 0x400000, v68
	v_bfe_u32 v88, v72, 16, 1
	v_cndmask_b32_e64 v73, v73, v83, s1
	v_cmp_u_f32_e64 s1, v68, v68
	v_add3_u32 v79, v79, v67, 0x7fff
	v_or_b32_e32 v83, 0x400000, v67
	v_mul_f32_e32 v59, s16, v59
	v_mul_f32_e32 v64, s16, v64
	v_cndmask_b32_e64 v68, v80, v81, s1
	v_cmp_u_f32_e64 s1, v67, v67
	v_bfe_u32 v80, v74, 16, 1
	v_or_b32_e32 v81, 0x400000, v72
	v_mul_f32_e32 v66, s16, v66
	v_mul_f32_e32 v11, s16, v11
	v_cndmask_b32_e64 v67, v79, v83, s1
	v_add3_u32 v79, v88, v72, 0x7fff
	v_cmp_u_f32_e64 s1, v72, v72
	v_add3_u32 v80, v80, v74, 0x7fff
	v_or_b32_e32 v83, 0x400000, v74
	v_bfe_u32 v88, v65, 16, 1
	v_mul_f32_e32 v84, s16, v84
	v_cndmask_b32_e64 v72, v79, v81, s1
	v_cmp_u_f32_e64 s1, v74, v74
	v_bfe_u32 v79, v62, 16, 1
	v_or_b32_e32 v81, 0x400000, v65
	v_mul_f32_e32 v82, s16, v82
	v_mul_f32_e32 v14, s16, v14
	v_cndmask_b32_e64 v74, v80, v83, s1
	v_add3_u32 v80, v88, v65, 0x7fff
	v_cmp_u_f32_e64 s1, v65, v65
	v_add3_u32 v79, v79, v62, 0x7fff
	v_or_b32_e32 v83, 0x400000, v62
	v_bfe_u32 v88, v63, 16, 1
	v_and_b32_e32 v68, 0xffff0000, v68
	v_cndmask_b32_e64 v65, v80, v81, s1
	v_cmp_u_f32_e64 s1, v62, v62
	v_bfe_u32 v80, v61, 16, 1
	v_or_b32_e32 v81, 0x400000, v63
	v_and_b32_e32 v73, 0xffff0000, v73
	v_mul_f32_e32 v13, s16, v13
	v_cndmask_b32_e64 v62, v79, v83, s1
	v_add3_u32 v79, v88, v63, 0x7fff
	v_cmp_u_f32_e64 s1, v63, v63
	v_add3_u32 v80, v80, v61, 0x7fff
	v_or_b32_e32 v83, 0x400000, v61
	v_bfe_u32 v88, v60, 16, 1
	v_mul_f32_e32 v68, v27, v68
	v_cndmask_b32_e64 v63, v79, v81, s1
	v_cmp_u_f32_e64 s1, v61, v61
	v_bfe_u32 v79, v59, 16, 1
	v_or_b32_e32 v81, 0x400000, v60
	v_mul_f32_e32 v73, v28, v73
	v_and_b32_e32 v71, 0xffff0000, v71
	v_cndmask_b32_e64 v61, v80, v83, s1
	v_add3_u32 v80, v88, v60, 0x7fff
	v_cmp_u_f32_e64 s1, v60, v60
	v_add3_u32 v79, v79, v59, 0x7fff
	v_or_b32_e32 v83, 0x400000, v59
	v_bfe_u32 v88, v64, 16, 1
	v_and_b32_e32 v61, 0xffff0000, v61
	v_cndmask_b32_e64 v60, v80, v81, s1
	v_cmp_u_f32_e64 s1, v59, v59
	v_bfe_u32 v80, v66, 16, 1
	v_or_b32_e32 v81, 0x400000, v64
	v_and_b32_e32 v63, 0xffff0000, v63
	v_and_b32_e32 v60, 0xffff0000, v60
	v_cndmask_b32_e64 v59, v79, v83, s1
	v_add3_u32 v79, v88, v64, 0x7fff
	v_cmp_u_f32_e64 s1, v64, v64
	v_add3_u32 v80, v80, v66, 0x7fff
	v_or_b32_e32 v83, 0x400000, v66
	v_or_b32_e32 v88, 0x400000, v84
	v_and_b32_e32 v67, 0xffff0000, v67
	v_cndmask_b32_e64 v64, v79, v81, s1
	v_bfe_u32 v79, v11, 16, 1
	v_cmp_u_f32_e64 s1, v66, v66
	v_fmac_f32_e32 v68, v17, v60
	v_fmac_f32_e32 v73, v18, v61
	v_mul_f32_e32 v60, v29, v71
	v_add3_u32 v79, v79, v11, 0x7fff
	v_cndmask_b32_e64 v66, v80, v83, s1
	v_bfe_u32 v80, v84, 16, 1
	v_mul_f32_e32 v83, s16, v85
	v_or_b32_e32 v85, 0x400000, v11
	v_cmp_u_f32_e64 s1, v11, v11
	v_and_b32_e32 v61, 0xffff0000, v69
	v_add3_u32 v80, v80, v84, 0x7fff
	v_bfe_u32 v89, v83, 16, 1
	v_and_b32_e32 v69, 0xffff0000, v72
	v_cndmask_b32_e64 v11, v79, v85, s1
	v_cmp_u_f32_e64 s1, v84, v84
	v_bfe_u32 v79, v82, 16, 1
	v_add3_u32 v84, v89, v83, 0x7fff
	v_or_b32_e32 v85, 0x400000, v83
	v_and_b32_e32 v59, 0xffff0000, v59
	v_cndmask_b32_e64 v80, v80, v88, s1
	v_cmp_u_f32_e64 s1, v83, v83
	v_add3_u32 v79, v79, v82, 0x7fff
	v_or_b32_e32 v88, 0x400000, v82
	v_and_b32_e32 v64, 0xffff0000, v64
	v_mul_f32_e32 v67, v26, v67
	v_cndmask_b32_e64 v83, v84, v85, s1
	v_bfe_u32 v84, v14, 16, 1
	v_cmp_u_f32_e64 s1, v82, v82
	v_mul_f32_e32 v82, s16, v86
	v_or_b32_e32 v85, 0x400000, v14
	v_mul_f32_e32 v86, s16, v87
	v_add3_u32 v84, v84, v14, 0x7fff
	v_cndmask_b32_e64 v79, v79, v88, s1
	v_bfe_u32 v87, v13, 16, 1
	v_cmp_u_f32_e64 s1, v14, v14
	v_fmac_f32_e32 v60, v19, v63
	v_mul_f32_e32 v63, v32, v69
	v_and_b32_e32 v65, 0xffff0000, v65
	v_fmac_f32_e32 v67, v16, v59
	v_cndmask_b32_e64 v14, v84, v85, s1
	v_add3_u32 v85, v87, v13, 0x7fff
	v_or_b32_e32 v87, 0x400000, v13
	v_cmp_u_f32_e64 s1, v13, v13
	v_mul_f32_e32 v61, v31, v61
	v_and_b32_e32 v69, 0xffff0000, v77
	v_fmac_f32_e32 v63, v24, v64
	v_and_b32_e32 v64, 0xffff0000, v76
	v_cndmask_b32_e64 v13, v85, v87, s1
	v_and_b32_e32 v59, 0xffff0000, v78
	v_fmac_f32_e32 v61, v21, v65
	v_fmac_f32_e32 v67, v34, v69
	v_and_b32_e32 v65, 0xffff0000, v75
	v_and_b32_e32 v13, 0xffff0000, v13
	v_fmac_f32_e32 v68, v35, v64
	v_and_b32_e32 v14, 0xffff0000, v14
	v_and_b32_e32 v62, 0xffff0000, v62
	v_mul_f32_e32 v59, v30, v59
	v_and_b32_e32 v8, 0xffff0000, v8
	v_fmac_f32_e32 v73, v36, v65
	v_fmac_f32_e32 v67, v43, v13
	v_and_b32_e32 v13, 0xffff0000, v79
	v_fmac_f32_e32 v68, v44, v14
	v_bfe_u32 v88, v82, 16, 1
	v_fmac_f32_e32 v59, v20, v62
	v_fmac_f32_e32 v60, v37, v8
	v_and_b32_e32 v7, 0xffff0000, v7
	v_and_b32_e32 v8, 0xffff0000, v83
	v_fmac_f32_e32 v73, v45, v13
	v_add_f32_e32 v13, v67, v68
	v_bfe_u32 v84, v86, 16, 1
	v_add3_u32 v88, v88, v82, 0x7fff
	v_or_b32_e32 v89, 0x400000, v82
	v_cmp_u_f32_e64 s1, v82, v82
	v_and_b32_e32 v71, 0xffff0000, v74
	v_and_b32_e32 v1, 0xffff0000, v1
	v_fmac_f32_e32 v59, v38, v7
	v_fmac_f32_e32 v60, v46, v8
	v_and_b32_e32 v7, 0xffff0000, v80
	v_add_f32_e32 v8, v13, v73
	v_add3_u32 v84, v84, v86, 0x7fff
	v_or_b32_e32 v90, 0x400000, v86
	v_cndmask_b32_e64 v82, v88, v89, s1
	v_cmp_u_f32_e64 s1, v86, v86
	v_and_b32_e32 v66, 0xffff0000, v66
	v_mul_f32_e32 v62, v33, v71
	v_fmac_f32_e32 v61, v39, v1
	v_and_b32_e32 v1, 0xffff0000, v70
	v_and_b32_e32 v11, 0xffff0000, v11
	v_fmac_f32_e32 v59, v47, v7
	v_add_f32_e32 v7, v8, v60
	v_add_nc_u32_e32 v81, s17, v51
	v_cndmask_b32_e64 v84, v84, v90, s1
	v_fmac_f32_e32 v62, v25, v66
	v_and_b32_e32 v8, 0xffff0000, v12
	v_fmac_f32_e32 v63, v40, v1
	v_fmac_f32_e32 v61, v48, v11
	v_and_b32_e32 v1, 0xffff0000, v82
	v_add_f32_e32 v7, v7, v59
	v_cvt_f32_i32_e32 v11, v81
	v_fmac_f32_e32 v62, v42, v8
	v_and_b32_e32 v8, 0xffff0000, v84
	v_fmac_f32_e32 v63, v49, v1
	v_add_f32_e32 v1, v7, v61
	v_mul_f32_e32 v7, s36, v11
	v_cmp_gt_i32_e64 s1, s29, v51
	v_fmac_f32_e32 v62, v50, v8
	v_add_nc_u32_e32 v58, 4, v58
	v_add_f32_e32 v1, v1, v63
	v_cndmask_b32_e32 v7, 0, v7, vcc_lo
	v_add_co_u32 v5, s2, v5, 16
	v_add_nc_u32_e32 v51, 0x80, v51
	v_add_f32_e32 v1, v1, v62
	v_add_co_ci_u32_e64 v6, null, 0, v6, s2
	v_fmac_f32_e32 v7, s3, v1
	v_max_f32_e32 v1, v41, v41
	v_cndmask_b32_e64 v8, 0, v7, s1
	v_max_f32_e32 v1, v1, v7
	ds_write_b32 v52, v8
	v_cndmask_b32_e64 v41, v41, v1, s1
	v_cmp_le_i32_e64 s1, s11, v58
	v_add_nc_u32_e32 v52, 0x200, v52
	s_or_b32 s39, s1, s39
	s_andn2_b32 exec_lo, exec_lo, s39
	s_cbranch_execz .LBB386_248
.LBB386_11:                             ; =>This Inner Loop Header: Depth=1
	global_load_dword v1, v[5:6], off
	v_mov_b32_e32 v59, 0
	s_waitcnt vmcnt(0)
	v_mad_i64_i32 v[7:8], null, v1, s38, v[3:4]
	global_load_dwordx2 v[11:12], v[7:8], off
	s_waitcnt vmcnt(0)
	v_cmp_ne_u16_sdwa s1, v11, v2 src0_sel:BYTE_0 src1_sel:DWORD
	s_and_saveexec_b32 s2, s1
	s_cbranch_execz .LBB386_17
; %bb.12:                               ;   in Loop: Header=BB386_11 Depth=1
	v_cmp_ne_u16_sdwa s1, v11, v53 src0_sel:BYTE_0 src1_sel:DWORD
	v_bfrev_b32_e32 v59, 1
	s_and_saveexec_b32 s40, s1
	s_cbranch_execz .LBB386_16
; %bb.13:                               ;   in Loop: Header=BB386_11 Depth=1
	v_and_b32_e32 v1, 0x7f, v11
	v_mov_b32_e32 v59, 0x7f800001
	s_mov_b32 s41, exec_lo
	v_cmpx_ne_u32_e32 0x7f, v1
	s_cbranch_execz .LBB386_15
; %bb.14:                               ;   in Loop: Header=BB386_11 Depth=1
	v_and_b32_e32 v13, 7, v11
	v_lshrrev_b32_e32 v14, 3, v1
	v_cmp_gt_u32_e64 s1, 8, v1
	v_ffbh_u32_e32 v13, v13
	v_min_u32_e32 v13, 32, v13
	v_subrev_nc_u32_e32 v59, 28, v13
	v_sub_nc_u32_e32 v13, 29, v13
	v_cndmask_b32_e64 v1, v14, v13, s1
	v_cndmask_b32_e64 v13, 0, v59, s1
	v_lshl_add_u32 v1, v1, 23, 0x3c000000
	v_lshlrev_b64 v[13:14], v13, v[11:12]
	v_lshlrev_b32_e32 v14, 24, v11
	v_lshlrev_b32_e32 v13, 20, v13
	v_and_b32_e32 v14, 0x80000000, v14
	v_and_b32_e32 v13, 0x700000, v13
	v_or3_b32 v59, v13, v14, v1
.LBB386_15:                             ;   in Loop: Header=BB386_11 Depth=1
	s_or_b32 exec_lo, exec_lo, s41
.LBB386_16:                             ;   in Loop: Header=BB386_11 Depth=1
	s_or_b32 exec_lo, exec_lo, s40
.LBB386_17:                             ;   in Loop: Header=BB386_11 Depth=1
	s_or_b32 exec_lo, exec_lo, s2
	v_cmp_ne_u16_sdwa s1, v11, v2 src0_sel:BYTE_1 src1_sel:DWORD
	v_mov_b32_e32 v61, 0
	v_mov_b32_e32 v60, 0
	s_and_saveexec_b32 s2, s1
	s_cbranch_execz .LBB386_25
; %bb.18:                               ;   in Loop: Header=BB386_11 Depth=1
	v_cmp_ne_u16_sdwa s1, v11, v53 src0_sel:BYTE_1 src1_sel:DWORD
	v_bfrev_b32_e32 v60, 1
	s_and_saveexec_b32 s40, s1
	s_cbranch_execz .LBB386_24
; %bb.19:                               ;   in Loop: Header=BB386_11 Depth=1
	v_and_b32_sdwa v1, v54, v11 dst_sel:DWORD dst_unused:UNUSED_PAD src0_sel:DWORD src1_sel:BYTE_1
	v_mov_b32_e32 v60, 0x7f800001
	s_mov_b32 s41, exec_lo
	v_and_b32_e32 v14, 0x7f, v1
	v_cmpx_ne_u32_e32 0x7f, v14
	s_cbranch_execz .LBB386_23
; %bb.20:                               ;   in Loop: Header=BB386_11 Depth=1
	v_and_b32_e32 v1, 7, v1
	v_lshrrev_b32_e32 v13, 3, v14
	s_mov_b32 s42, exec_lo
	v_cmpx_gt_u32_e32 8, v14
; %bb.21:                               ;   in Loop: Header=BB386_11 Depth=1
	v_ffbh_u32_e32 v13, v1
	v_min_u32_e32 v13, 32, v13
	v_subrev_nc_u32_e32 v14, 28, v13
	v_sub_nc_u32_e32 v13, 29, v13
	v_lshlrev_b64 v[62:63], v14, v[1:2]
	v_and_b32_e32 v1, 7, v62
; %bb.22:                               ;   in Loop: Header=BB386_11 Depth=1
	s_or_b32 exec_lo, exec_lo, s42
	v_lshlrev_b32_e32 v14, 16, v11
	v_lshlrev_b32_e32 v1, 20, v1
	v_lshl_add_u32 v13, v13, 23, 0x3c000000
	v_and_b32_e32 v14, 0x80000000, v14
	v_or3_b32 v60, v1, v14, v13
.LBB386_23:                             ;   in Loop: Header=BB386_11 Depth=1
	s_or_b32 exec_lo, exec_lo, s41
.LBB386_24:                             ;   in Loop: Header=BB386_11 Depth=1
	s_or_b32 exec_lo, exec_lo, s40
.LBB386_25:                             ;   in Loop: Header=BB386_11 Depth=1
	s_or_b32 exec_lo, exec_lo, s2
	v_and_b32_sdwa v1, v11, v55 dst_sel:DWORD dst_unused:UNUSED_PAD src0_sel:WORD_1 src1_sel:DWORD
	s_mov_b32 s2, exec_lo
	v_cmpx_ne_u16_e32 0, v1
	s_cbranch_execz .LBB386_33
; %bb.26:                               ;   in Loop: Header=BB386_11 Depth=1
	v_bfrev_b32_e32 v61, 1
	s_mov_b32 s40, exec_lo
	v_cmpx_ne_u16_e32 0x80, v1
	s_cbranch_execz .LBB386_32
; %bb.27:                               ;   in Loop: Header=BB386_11 Depth=1
	v_bfe_u32 v14, v11, 16, 7
	v_mov_b32_e32 v61, 0x7f800001
	s_mov_b32 s41, exec_lo
	v_cmpx_ne_u32_e32 0x7f, v14
	s_cbranch_execz .LBB386_31
; %bb.28:                               ;   in Loop: Header=BB386_11 Depth=1
	v_and_b32_sdwa v1, v11, v56 dst_sel:DWORD dst_unused:UNUSED_PAD src0_sel:WORD_1 src1_sel:DWORD
	v_lshrrev_b32_e32 v13, 3, v14
	s_mov_b32 s42, exec_lo
	v_cmpx_gt_u32_e32 8, v14
; %bb.29:                               ;   in Loop: Header=BB386_11 Depth=1
	v_ffbh_u32_e32 v13, v1
	v_min_u32_e32 v13, 32, v13
	v_subrev_nc_u32_e32 v14, 28, v13
	v_sub_nc_u32_e32 v13, 29, v13
	v_lshlrev_b64 v[61:62], v14, v[1:2]
	v_and_b32_e32 v1, 7, v61
; %bb.30:                               ;   in Loop: Header=BB386_11 Depth=1
	s_or_b32 exec_lo, exec_lo, s42
	v_lshlrev_b32_sdwa v14, v57, v11 dst_sel:DWORD dst_unused:UNUSED_PAD src0_sel:DWORD src1_sel:WORD_1
	v_lshlrev_b32_e32 v1, 20, v1
	v_lshl_add_u32 v13, v13, 23, 0x3c000000
	v_and_b32_e32 v14, 0x80000000, v14
	v_or3_b32 v61, v1, v14, v13
.LBB386_31:                             ;   in Loop: Header=BB386_11 Depth=1
	s_or_b32 exec_lo, exec_lo, s41
.LBB386_32:                             ;   in Loop: Header=BB386_11 Depth=1
	s_or_b32 exec_lo, exec_lo, s40
.LBB386_33:                             ;   in Loop: Header=BB386_11 Depth=1
	s_or_b32 exec_lo, exec_lo, s2
	v_mov_b32_e32 v62, 0
	v_mov_b32_e32 v63, 0
	s_mov_b32 s2, exec_lo
	v_cmpx_lt_u32_e32 0xffffff, v11
	s_cbranch_execz .LBB386_41
; %bb.34:                               ;   in Loop: Header=BB386_11 Depth=1
	v_cmp_ne_u32_sdwa s1, v11, v53 src0_sel:BYTE_3 src1_sel:DWORD
	v_bfrev_b32_e32 v63, 1
	s_and_saveexec_b32 s40, s1
	s_cbranch_execz .LBB386_40
; %bb.35:                               ;   in Loop: Header=BB386_11 Depth=1
	v_bfe_u32 v14, v11, 24, 7
	v_mov_b32_e32 v63, 0x7f800001
	s_mov_b32 s41, exec_lo
	v_cmpx_ne_u32_e32 0x7f, v14
	s_cbranch_execz .LBB386_39
; %bb.36:                               ;   in Loop: Header=BB386_11 Depth=1
	v_and_b32_sdwa v1, v11, v56 dst_sel:DWORD dst_unused:UNUSED_PAD src0_sel:BYTE_3 src1_sel:DWORD
	v_lshrrev_b32_e32 v13, 3, v14
	s_mov_b32 s42, exec_lo
	v_cmpx_gt_u32_e32 8, v14
; %bb.37:                               ;   in Loop: Header=BB386_11 Depth=1
	v_ffbh_u32_e32 v13, v1
	v_min_u32_e32 v13, 32, v13
	v_subrev_nc_u32_e32 v14, 28, v13
	v_sub_nc_u32_e32 v13, 29, v13
	v_lshlrev_b64 v[63:64], v14, v[1:2]
	v_and_b32_e32 v1, 7, v63
; %bb.38:                               ;   in Loop: Header=BB386_11 Depth=1
	s_or_b32 exec_lo, exec_lo, s42
	v_lshlrev_b32_sdwa v14, v57, v11 dst_sel:DWORD dst_unused:UNUSED_PAD src0_sel:DWORD src1_sel:BYTE_3
	v_lshlrev_b32_e32 v1, 20, v1
	v_lshl_add_u32 v13, v13, 23, 0x3c000000
	v_and_b32_e32 v14, 0x80000000, v14
	v_or3_b32 v63, v1, v14, v13
.LBB386_39:                             ;   in Loop: Header=BB386_11 Depth=1
	s_or_b32 exec_lo, exec_lo, s41
.LBB386_40:                             ;   in Loop: Header=BB386_11 Depth=1
	s_or_b32 exec_lo, exec_lo, s40
.LBB386_41:                             ;   in Loop: Header=BB386_11 Depth=1
	s_or_b32 exec_lo, exec_lo, s2
	v_mov_b32_e32 v1, v12
	v_cmp_ne_u16_sdwa s1, v12, v2 src0_sel:BYTE_0 src1_sel:DWORD
	s_and_saveexec_b32 s2, s1
	s_cbranch_execz .LBB386_47
; %bb.42:                               ;   in Loop: Header=BB386_11 Depth=1
	v_cmp_ne_u16_sdwa s1, v12, v53 src0_sel:BYTE_0 src1_sel:DWORD
	v_bfrev_b32_e32 v62, 1
	s_and_saveexec_b32 s40, s1
	s_cbranch_execz .LBB386_46
; %bb.43:                               ;   in Loop: Header=BB386_11 Depth=1
	v_and_b32_e32 v13, 0x7f, v12
	v_mov_b32_e32 v62, 0x7f800001
	s_mov_b32 s41, exec_lo
	v_cmpx_ne_u32_e32 0x7f, v13
	s_cbranch_execz .LBB386_45
; %bb.44:                               ;   in Loop: Header=BB386_11 Depth=1
	v_and_b32_e32 v14, 7, v12
	v_cmp_gt_u32_e64 s1, 8, v13
	v_lshrrev_b32_e32 v62, 3, v13
	v_ffbh_u32_e32 v14, v14
	v_min_u32_e32 v14, 32, v14
	v_subrev_nc_u32_e32 v64, 28, v14
	v_sub_nc_u32_e32 v14, 29, v14
	v_cndmask_b32_e64 v13, 0, v64, s1
	v_cndmask_b32_e64 v62, v62, v14, s1
	v_lshlrev_b64 v[13:14], v13, v[1:2]
	v_lshlrev_b32_e32 v14, 24, v1
	v_lshl_add_u32 v62, v62, 23, 0x3c000000
	v_lshlrev_b32_e32 v13, 20, v13
	v_and_b32_e32 v14, 0x80000000, v14
	v_and_b32_e32 v13, 0x700000, v13
	v_or3_b32 v62, v13, v14, v62
.LBB386_45:                             ;   in Loop: Header=BB386_11 Depth=1
	s_or_b32 exec_lo, exec_lo, s41
.LBB386_46:                             ;   in Loop: Header=BB386_11 Depth=1
	s_or_b32 exec_lo, exec_lo, s40
.LBB386_47:                             ;   in Loop: Header=BB386_11 Depth=1
	s_or_b32 exec_lo, exec_lo, s2
	v_cmp_ne_u16_sdwa s1, v1, v2 src0_sel:BYTE_1 src1_sel:DWORD
	v_mov_b32_e32 v64, 0
	v_mov_b32_e32 v65, 0
	s_and_saveexec_b32 s2, s1
	s_cbranch_execz .LBB386_55
; %bb.48:                               ;   in Loop: Header=BB386_11 Depth=1
	v_cmp_ne_u16_sdwa s1, v1, v53 src0_sel:BYTE_1 src1_sel:DWORD
	v_bfrev_b32_e32 v65, 1
	s_and_saveexec_b32 s40, s1
	s_cbranch_execz .LBB386_54
; %bb.49:                               ;   in Loop: Header=BB386_11 Depth=1
	v_and_b32_sdwa v13, v54, v1 dst_sel:DWORD dst_unused:UNUSED_PAD src0_sel:DWORD src1_sel:BYTE_1
	v_mov_b32_e32 v65, 0x7f800001
	s_mov_b32 s41, exec_lo
	v_and_b32_e32 v66, 0x7f, v13
	v_cmpx_ne_u32_e32 0x7f, v66
	s_cbranch_execz .LBB386_53
; %bb.50:                               ;   in Loop: Header=BB386_11 Depth=1
	v_and_b32_e32 v13, 7, v13
	v_mov_b32_e32 v14, v2
	v_lshrrev_b32_e32 v65, 3, v66
	s_mov_b32 s42, exec_lo
	v_cmpx_gt_u32_e32 8, v66
; %bb.51:                               ;   in Loop: Header=BB386_11 Depth=1
	v_ffbh_u32_e32 v65, v13
	v_min_u32_e32 v65, 32, v65
	v_subrev_nc_u32_e32 v66, 28, v65
	v_sub_nc_u32_e32 v65, 29, v65
	v_lshlrev_b64 v[13:14], v66, v[13:14]
	v_and_b32_e32 v13, 7, v13
; %bb.52:                               ;   in Loop: Header=BB386_11 Depth=1
	s_or_b32 exec_lo, exec_lo, s42
	v_lshlrev_b32_e32 v1, 16, v1
	v_lshlrev_b32_e32 v13, 20, v13
	v_lshl_add_u32 v14, v65, 23, 0x3c000000
	v_and_b32_e32 v1, 0x80000000, v1
	v_or3_b32 v65, v13, v1, v14
.LBB386_53:                             ;   in Loop: Header=BB386_11 Depth=1
	s_or_b32 exec_lo, exec_lo, s41
.LBB386_54:                             ;   in Loop: Header=BB386_11 Depth=1
	s_or_b32 exec_lo, exec_lo, s40
.LBB386_55:                             ;   in Loop: Header=BB386_11 Depth=1
	s_or_b32 exec_lo, exec_lo, s2
	v_and_b32_sdwa v1, v12, v55 dst_sel:DWORD dst_unused:UNUSED_PAD src0_sel:WORD_1 src1_sel:DWORD
	s_mov_b32 s2, exec_lo
	v_cmpx_ne_u16_e32 0, v1
	s_cbranch_execz .LBB386_63
; %bb.56:                               ;   in Loop: Header=BB386_11 Depth=1
	v_bfrev_b32_e32 v64, 1
	s_mov_b32 s40, exec_lo
	v_cmpx_ne_u16_e32 0x80, v1
	s_cbranch_execz .LBB386_62
; %bb.57:                               ;   in Loop: Header=BB386_11 Depth=1
	v_bfe_u32 v14, v12, 16, 7
	v_mov_b32_e32 v64, 0x7f800001
	s_mov_b32 s41, exec_lo
	v_cmpx_ne_u32_e32 0x7f, v14
	s_cbranch_execz .LBB386_61
; %bb.58:                               ;   in Loop: Header=BB386_11 Depth=1
	v_and_b32_sdwa v1, v12, v56 dst_sel:DWORD dst_unused:UNUSED_PAD src0_sel:WORD_1 src1_sel:DWORD
	v_lshrrev_b32_e32 v13, 3, v14
	s_mov_b32 s42, exec_lo
	v_cmpx_gt_u32_e32 8, v14
; %bb.59:                               ;   in Loop: Header=BB386_11 Depth=1
	v_ffbh_u32_e32 v13, v1
	v_min_u32_e32 v13, 32, v13
	v_subrev_nc_u32_e32 v14, 28, v13
	v_sub_nc_u32_e32 v13, 29, v13
	v_lshlrev_b64 v[66:67], v14, v[1:2]
	v_and_b32_e32 v1, 7, v66
; %bb.60:                               ;   in Loop: Header=BB386_11 Depth=1
	s_or_b32 exec_lo, exec_lo, s42
	v_lshlrev_b32_sdwa v14, v57, v12 dst_sel:DWORD dst_unused:UNUSED_PAD src0_sel:DWORD src1_sel:WORD_1
	v_lshlrev_b32_e32 v1, 20, v1
	v_lshl_add_u32 v13, v13, 23, 0x3c000000
	v_and_b32_e32 v14, 0x80000000, v14
	v_or3_b32 v64, v1, v14, v13
.LBB386_61:                             ;   in Loop: Header=BB386_11 Depth=1
	s_or_b32 exec_lo, exec_lo, s41
.LBB386_62:                             ;   in Loop: Header=BB386_11 Depth=1
	s_or_b32 exec_lo, exec_lo, s40
.LBB386_63:                             ;   in Loop: Header=BB386_11 Depth=1
	s_or_b32 exec_lo, exec_lo, s2
	v_mov_b32_e32 v67, 0
	v_mov_b32_e32 v66, 0
	s_mov_b32 s2, exec_lo
	v_cmpx_lt_u64_e64 s[4:5], v[11:12]
	s_cbranch_execz .LBB386_71
; %bb.64:                               ;   in Loop: Header=BB386_11 Depth=1
	v_cmp_ne_u32_sdwa s1, v12, v53 src0_sel:BYTE_3 src1_sel:DWORD
	v_bfrev_b32_e32 v66, 1
	s_and_saveexec_b32 s40, s1
	s_cbranch_execz .LBB386_70
; %bb.65:                               ;   in Loop: Header=BB386_11 Depth=1
	v_bfe_u32 v13, v12, 24, 7
	v_mov_b32_e32 v66, 0x7f800001
	s_mov_b32 s41, exec_lo
	v_cmpx_ne_u32_e32 0x7f, v13
	s_cbranch_execz .LBB386_69
; %bb.66:                               ;   in Loop: Header=BB386_11 Depth=1
	v_and_b32_sdwa v1, v12, v56 dst_sel:DWORD dst_unused:UNUSED_PAD src0_sel:BYTE_3 src1_sel:DWORD
	v_lshrrev_b32_e32 v11, 3, v13
	s_mov_b32 s42, exec_lo
	v_cmpx_gt_u32_e32 8, v13
; %bb.67:                               ;   in Loop: Header=BB386_11 Depth=1
	v_ffbh_u32_e32 v11, v1
	v_min_u32_e32 v11, 32, v11
	v_subrev_nc_u32_e32 v13, 28, v11
	v_sub_nc_u32_e32 v11, 29, v11
	v_lshlrev_b64 v[13:14], v13, v[1:2]
	v_and_b32_e32 v1, 7, v13
; %bb.68:                               ;   in Loop: Header=BB386_11 Depth=1
	s_or_b32 exec_lo, exec_lo, s42
	v_lshlrev_b32_sdwa v12, v57, v12 dst_sel:DWORD dst_unused:UNUSED_PAD src0_sel:DWORD src1_sel:BYTE_3
	v_lshlrev_b32_e32 v1, 20, v1
	v_lshl_add_u32 v11, v11, 23, 0x3c000000
	v_and_b32_e32 v12, 0x80000000, v12
	v_or3_b32 v66, v1, v12, v11
.LBB386_69:                             ;   in Loop: Header=BB386_11 Depth=1
	s_or_b32 exec_lo, exec_lo, s41
.LBB386_70:                             ;   in Loop: Header=BB386_11 Depth=1
	s_or_b32 exec_lo, exec_lo, s40
.LBB386_71:                             ;   in Loop: Header=BB386_11 Depth=1
	s_or_b32 exec_lo, exec_lo, s2
	global_load_dwordx2 v[11:12], v[7:8], off offset:8
	s_waitcnt vmcnt(0)
	v_cmp_ne_u16_sdwa s1, v11, v2 src0_sel:BYTE_0 src1_sel:DWORD
	s_and_saveexec_b32 s2, s1
	s_cbranch_execz .LBB386_77
; %bb.72:                               ;   in Loop: Header=BB386_11 Depth=1
	v_cmp_ne_u16_sdwa s1, v11, v53 src0_sel:BYTE_0 src1_sel:DWORD
	v_bfrev_b32_e32 v67, 1
	s_and_saveexec_b32 s40, s1
	s_cbranch_execz .LBB386_76
; %bb.73:                               ;   in Loop: Header=BB386_11 Depth=1
	v_and_b32_e32 v1, 0x7f, v11
	v_mov_b32_e32 v67, 0x7f800001
	s_mov_b32 s41, exec_lo
	v_cmpx_ne_u32_e32 0x7f, v1
	s_cbranch_execz .LBB386_75
; %bb.74:                               ;   in Loop: Header=BB386_11 Depth=1
	v_and_b32_e32 v13, 7, v11
	v_lshrrev_b32_e32 v14, 3, v1
	v_cmp_gt_u32_e64 s1, 8, v1
	v_ffbh_u32_e32 v13, v13
	v_min_u32_e32 v13, 32, v13
	v_subrev_nc_u32_e32 v67, 28, v13
	v_sub_nc_u32_e32 v13, 29, v13
	v_cndmask_b32_e64 v1, v14, v13, s1
	v_cndmask_b32_e64 v13, 0, v67, s1
	v_lshl_add_u32 v1, v1, 23, 0x3c000000
	v_lshlrev_b64 v[13:14], v13, v[11:12]
	v_lshlrev_b32_e32 v14, 24, v11
	v_lshlrev_b32_e32 v13, 20, v13
	v_and_b32_e32 v14, 0x80000000, v14
	v_and_b32_e32 v13, 0x700000, v13
	v_or3_b32 v67, v13, v14, v1
.LBB386_75:                             ;   in Loop: Header=BB386_11 Depth=1
	s_or_b32 exec_lo, exec_lo, s41
.LBB386_76:                             ;   in Loop: Header=BB386_11 Depth=1
	s_or_b32 exec_lo, exec_lo, s40
.LBB386_77:                             ;   in Loop: Header=BB386_11 Depth=1
	s_or_b32 exec_lo, exec_lo, s2
	v_cmp_ne_u16_sdwa s1, v11, v2 src0_sel:BYTE_1 src1_sel:DWORD
	v_mov_b32_e32 v69, 0
	v_mov_b32_e32 v68, 0
	s_and_saveexec_b32 s2, s1
	s_cbranch_execz .LBB386_85
; %bb.78:                               ;   in Loop: Header=BB386_11 Depth=1
	v_cmp_ne_u16_sdwa s1, v11, v53 src0_sel:BYTE_1 src1_sel:DWORD
	v_bfrev_b32_e32 v68, 1
	s_and_saveexec_b32 s40, s1
	s_cbranch_execz .LBB386_84
; %bb.79:                               ;   in Loop: Header=BB386_11 Depth=1
	v_and_b32_sdwa v1, v54, v11 dst_sel:DWORD dst_unused:UNUSED_PAD src0_sel:DWORD src1_sel:BYTE_1
	v_mov_b32_e32 v68, 0x7f800001
	s_mov_b32 s41, exec_lo
	v_and_b32_e32 v14, 0x7f, v1
	v_cmpx_ne_u32_e32 0x7f, v14
	s_cbranch_execz .LBB386_83
; %bb.80:                               ;   in Loop: Header=BB386_11 Depth=1
	v_and_b32_e32 v1, 7, v1
	v_lshrrev_b32_e32 v13, 3, v14
	s_mov_b32 s42, exec_lo
	v_cmpx_gt_u32_e32 8, v14
; %bb.81:                               ;   in Loop: Header=BB386_11 Depth=1
	v_ffbh_u32_e32 v13, v1
	v_min_u32_e32 v13, 32, v13
	v_subrev_nc_u32_e32 v14, 28, v13
	v_sub_nc_u32_e32 v13, 29, v13
	v_lshlrev_b64 v[70:71], v14, v[1:2]
	v_and_b32_e32 v1, 7, v70
; %bb.82:                               ;   in Loop: Header=BB386_11 Depth=1
	s_or_b32 exec_lo, exec_lo, s42
	v_lshlrev_b32_e32 v14, 16, v11
	v_lshlrev_b32_e32 v1, 20, v1
	v_lshl_add_u32 v13, v13, 23, 0x3c000000
	v_and_b32_e32 v14, 0x80000000, v14
	v_or3_b32 v68, v1, v14, v13
.LBB386_83:                             ;   in Loop: Header=BB386_11 Depth=1
	s_or_b32 exec_lo, exec_lo, s41
.LBB386_84:                             ;   in Loop: Header=BB386_11 Depth=1
	s_or_b32 exec_lo, exec_lo, s40
.LBB386_85:                             ;   in Loop: Header=BB386_11 Depth=1
	s_or_b32 exec_lo, exec_lo, s2
	v_and_b32_sdwa v1, v11, v55 dst_sel:DWORD dst_unused:UNUSED_PAD src0_sel:WORD_1 src1_sel:DWORD
	s_mov_b32 s2, exec_lo
	v_cmpx_ne_u16_e32 0, v1
	s_cbranch_execz .LBB386_93
; %bb.86:                               ;   in Loop: Header=BB386_11 Depth=1
	v_bfrev_b32_e32 v69, 1
	s_mov_b32 s40, exec_lo
	v_cmpx_ne_u16_e32 0x80, v1
	s_cbranch_execz .LBB386_92
; %bb.87:                               ;   in Loop: Header=BB386_11 Depth=1
	v_bfe_u32 v14, v11, 16, 7
	v_mov_b32_e32 v69, 0x7f800001
	s_mov_b32 s41, exec_lo
	v_cmpx_ne_u32_e32 0x7f, v14
	s_cbranch_execz .LBB386_91
; %bb.88:                               ;   in Loop: Header=BB386_11 Depth=1
	v_and_b32_sdwa v1, v11, v56 dst_sel:DWORD dst_unused:UNUSED_PAD src0_sel:WORD_1 src1_sel:DWORD
	v_lshrrev_b32_e32 v13, 3, v14
	s_mov_b32 s42, exec_lo
	v_cmpx_gt_u32_e32 8, v14
; %bb.89:                               ;   in Loop: Header=BB386_11 Depth=1
	v_ffbh_u32_e32 v13, v1
	v_min_u32_e32 v13, 32, v13
	v_subrev_nc_u32_e32 v14, 28, v13
	v_sub_nc_u32_e32 v13, 29, v13
	v_lshlrev_b64 v[69:70], v14, v[1:2]
	v_and_b32_e32 v1, 7, v69
; %bb.90:                               ;   in Loop: Header=BB386_11 Depth=1
	s_or_b32 exec_lo, exec_lo, s42
	v_lshlrev_b32_sdwa v14, v57, v11 dst_sel:DWORD dst_unused:UNUSED_PAD src0_sel:DWORD src1_sel:WORD_1
	v_lshlrev_b32_e32 v1, 20, v1
	v_lshl_add_u32 v13, v13, 23, 0x3c000000
	v_and_b32_e32 v14, 0x80000000, v14
	v_or3_b32 v69, v1, v14, v13
.LBB386_91:                             ;   in Loop: Header=BB386_11 Depth=1
	s_or_b32 exec_lo, exec_lo, s41
.LBB386_92:                             ;   in Loop: Header=BB386_11 Depth=1
	s_or_b32 exec_lo, exec_lo, s40
.LBB386_93:                             ;   in Loop: Header=BB386_11 Depth=1
	s_or_b32 exec_lo, exec_lo, s2
	v_mov_b32_e32 v70, 0
	v_mov_b32_e32 v71, 0
	s_mov_b32 s2, exec_lo
	v_cmpx_lt_u32_e32 0xffffff, v11
	s_cbranch_execz .LBB386_101
; %bb.94:                               ;   in Loop: Header=BB386_11 Depth=1
	v_cmp_ne_u32_sdwa s1, v11, v53 src0_sel:BYTE_3 src1_sel:DWORD
	v_bfrev_b32_e32 v71, 1
	s_and_saveexec_b32 s40, s1
	s_cbranch_execz .LBB386_100
; %bb.95:                               ;   in Loop: Header=BB386_11 Depth=1
	v_bfe_u32 v14, v11, 24, 7
	v_mov_b32_e32 v71, 0x7f800001
	s_mov_b32 s41, exec_lo
	v_cmpx_ne_u32_e32 0x7f, v14
	s_cbranch_execz .LBB386_99
; %bb.96:                               ;   in Loop: Header=BB386_11 Depth=1
	v_and_b32_sdwa v1, v11, v56 dst_sel:DWORD dst_unused:UNUSED_PAD src0_sel:BYTE_3 src1_sel:DWORD
	v_lshrrev_b32_e32 v13, 3, v14
	s_mov_b32 s42, exec_lo
	v_cmpx_gt_u32_e32 8, v14
; %bb.97:                               ;   in Loop: Header=BB386_11 Depth=1
	v_ffbh_u32_e32 v13, v1
	v_min_u32_e32 v13, 32, v13
	v_subrev_nc_u32_e32 v14, 28, v13
	v_sub_nc_u32_e32 v13, 29, v13
	v_lshlrev_b64 v[71:72], v14, v[1:2]
	v_and_b32_e32 v1, 7, v71
; %bb.98:                               ;   in Loop: Header=BB386_11 Depth=1
	s_or_b32 exec_lo, exec_lo, s42
	v_lshlrev_b32_sdwa v14, v57, v11 dst_sel:DWORD dst_unused:UNUSED_PAD src0_sel:DWORD src1_sel:BYTE_3
	v_lshlrev_b32_e32 v1, 20, v1
	v_lshl_add_u32 v13, v13, 23, 0x3c000000
	v_and_b32_e32 v14, 0x80000000, v14
	v_or3_b32 v71, v1, v14, v13
.LBB386_99:                             ;   in Loop: Header=BB386_11 Depth=1
	s_or_b32 exec_lo, exec_lo, s41
.LBB386_100:                            ;   in Loop: Header=BB386_11 Depth=1
	s_or_b32 exec_lo, exec_lo, s40
.LBB386_101:                            ;   in Loop: Header=BB386_11 Depth=1
	s_or_b32 exec_lo, exec_lo, s2
	v_mov_b32_e32 v1, v12
	v_cmp_ne_u16_sdwa s1, v12, v2 src0_sel:BYTE_0 src1_sel:DWORD
	s_and_saveexec_b32 s2, s1
	s_cbranch_execz .LBB386_107
; %bb.102:                              ;   in Loop: Header=BB386_11 Depth=1
	v_cmp_ne_u16_sdwa s1, v12, v53 src0_sel:BYTE_0 src1_sel:DWORD
	v_bfrev_b32_e32 v70, 1
	s_and_saveexec_b32 s40, s1
	s_cbranch_execz .LBB386_106
; %bb.103:                              ;   in Loop: Header=BB386_11 Depth=1
	v_and_b32_e32 v13, 0x7f, v12
	v_mov_b32_e32 v70, 0x7f800001
	s_mov_b32 s41, exec_lo
	v_cmpx_ne_u32_e32 0x7f, v13
	s_cbranch_execz .LBB386_105
; %bb.104:                              ;   in Loop: Header=BB386_11 Depth=1
	v_and_b32_e32 v14, 7, v12
	v_cmp_gt_u32_e64 s1, 8, v13
	v_lshrrev_b32_e32 v70, 3, v13
	v_ffbh_u32_e32 v14, v14
	v_min_u32_e32 v14, 32, v14
	v_subrev_nc_u32_e32 v72, 28, v14
	v_sub_nc_u32_e32 v14, 29, v14
	v_cndmask_b32_e64 v13, 0, v72, s1
	v_cndmask_b32_e64 v70, v70, v14, s1
	v_lshlrev_b64 v[13:14], v13, v[1:2]
	v_lshlrev_b32_e32 v14, 24, v1
	v_lshl_add_u32 v70, v70, 23, 0x3c000000
	v_lshlrev_b32_e32 v13, 20, v13
	v_and_b32_e32 v14, 0x80000000, v14
	v_and_b32_e32 v13, 0x700000, v13
	v_or3_b32 v70, v13, v14, v70
.LBB386_105:                            ;   in Loop: Header=BB386_11 Depth=1
	s_or_b32 exec_lo, exec_lo, s41
.LBB386_106:                            ;   in Loop: Header=BB386_11 Depth=1
	s_or_b32 exec_lo, exec_lo, s40
.LBB386_107:                            ;   in Loop: Header=BB386_11 Depth=1
	s_or_b32 exec_lo, exec_lo, s2
	v_cmp_ne_u16_sdwa s1, v1, v2 src0_sel:BYTE_1 src1_sel:DWORD
	v_mov_b32_e32 v72, 0
	v_mov_b32_e32 v73, 0
	s_and_saveexec_b32 s2, s1
	s_cbranch_execz .LBB386_115
; %bb.108:                              ;   in Loop: Header=BB386_11 Depth=1
	v_cmp_ne_u16_sdwa s1, v1, v53 src0_sel:BYTE_1 src1_sel:DWORD
	v_bfrev_b32_e32 v73, 1
	s_and_saveexec_b32 s40, s1
	s_cbranch_execz .LBB386_114
; %bb.109:                              ;   in Loop: Header=BB386_11 Depth=1
	v_and_b32_sdwa v13, v54, v1 dst_sel:DWORD dst_unused:UNUSED_PAD src0_sel:DWORD src1_sel:BYTE_1
	v_mov_b32_e32 v73, 0x7f800001
	s_mov_b32 s41, exec_lo
	v_and_b32_e32 v74, 0x7f, v13
	v_cmpx_ne_u32_e32 0x7f, v74
	s_cbranch_execz .LBB386_113
; %bb.110:                              ;   in Loop: Header=BB386_11 Depth=1
	v_and_b32_e32 v13, 7, v13
	v_mov_b32_e32 v14, v2
	v_lshrrev_b32_e32 v73, 3, v74
	s_mov_b32 s42, exec_lo
	v_cmpx_gt_u32_e32 8, v74
; %bb.111:                              ;   in Loop: Header=BB386_11 Depth=1
	v_ffbh_u32_e32 v73, v13
	v_min_u32_e32 v73, 32, v73
	v_subrev_nc_u32_e32 v74, 28, v73
	v_sub_nc_u32_e32 v73, 29, v73
	v_lshlrev_b64 v[13:14], v74, v[13:14]
	v_and_b32_e32 v13, 7, v13
; %bb.112:                              ;   in Loop: Header=BB386_11 Depth=1
	s_or_b32 exec_lo, exec_lo, s42
	v_lshlrev_b32_e32 v1, 16, v1
	v_lshlrev_b32_e32 v13, 20, v13
	v_lshl_add_u32 v14, v73, 23, 0x3c000000
	v_and_b32_e32 v1, 0x80000000, v1
	v_or3_b32 v73, v13, v1, v14
.LBB386_113:                            ;   in Loop: Header=BB386_11 Depth=1
	s_or_b32 exec_lo, exec_lo, s41
.LBB386_114:                            ;   in Loop: Header=BB386_11 Depth=1
	s_or_b32 exec_lo, exec_lo, s40
.LBB386_115:                            ;   in Loop: Header=BB386_11 Depth=1
	s_or_b32 exec_lo, exec_lo, s2
	v_and_b32_sdwa v1, v12, v55 dst_sel:DWORD dst_unused:UNUSED_PAD src0_sel:WORD_1 src1_sel:DWORD
	s_mov_b32 s2, exec_lo
	v_cmpx_ne_u16_e32 0, v1
	s_cbranch_execz .LBB386_123
; %bb.116:                              ;   in Loop: Header=BB386_11 Depth=1
	v_bfrev_b32_e32 v72, 1
	s_mov_b32 s40, exec_lo
	v_cmpx_ne_u16_e32 0x80, v1
	s_cbranch_execz .LBB386_122
; %bb.117:                              ;   in Loop: Header=BB386_11 Depth=1
	v_bfe_u32 v14, v12, 16, 7
	v_mov_b32_e32 v72, 0x7f800001
	s_mov_b32 s41, exec_lo
	v_cmpx_ne_u32_e32 0x7f, v14
	s_cbranch_execz .LBB386_121
; %bb.118:                              ;   in Loop: Header=BB386_11 Depth=1
	v_and_b32_sdwa v1, v12, v56 dst_sel:DWORD dst_unused:UNUSED_PAD src0_sel:WORD_1 src1_sel:DWORD
	v_lshrrev_b32_e32 v13, 3, v14
	s_mov_b32 s42, exec_lo
	v_cmpx_gt_u32_e32 8, v14
; %bb.119:                              ;   in Loop: Header=BB386_11 Depth=1
	v_ffbh_u32_e32 v13, v1
	v_min_u32_e32 v13, 32, v13
	v_subrev_nc_u32_e32 v14, 28, v13
	v_sub_nc_u32_e32 v13, 29, v13
	v_lshlrev_b64 v[74:75], v14, v[1:2]
	v_and_b32_e32 v1, 7, v74
; %bb.120:                              ;   in Loop: Header=BB386_11 Depth=1
	s_or_b32 exec_lo, exec_lo, s42
	v_lshlrev_b32_sdwa v14, v57, v12 dst_sel:DWORD dst_unused:UNUSED_PAD src0_sel:DWORD src1_sel:WORD_1
	v_lshlrev_b32_e32 v1, 20, v1
	v_lshl_add_u32 v13, v13, 23, 0x3c000000
	v_and_b32_e32 v14, 0x80000000, v14
	v_or3_b32 v72, v1, v14, v13
.LBB386_121:                            ;   in Loop: Header=BB386_11 Depth=1
	s_or_b32 exec_lo, exec_lo, s41
.LBB386_122:                            ;   in Loop: Header=BB386_11 Depth=1
	s_or_b32 exec_lo, exec_lo, s40
.LBB386_123:                            ;   in Loop: Header=BB386_11 Depth=1
	s_or_b32 exec_lo, exec_lo, s2
	v_mov_b32_e32 v75, 0
	v_mov_b32_e32 v74, 0
	s_mov_b32 s2, exec_lo
	v_cmpx_lt_u64_e64 s[4:5], v[11:12]
	s_cbranch_execz .LBB386_131
; %bb.124:                              ;   in Loop: Header=BB386_11 Depth=1
	v_cmp_ne_u32_sdwa s1, v12, v53 src0_sel:BYTE_3 src1_sel:DWORD
	v_bfrev_b32_e32 v74, 1
	s_and_saveexec_b32 s40, s1
	s_cbranch_execz .LBB386_130
; %bb.125:                              ;   in Loop: Header=BB386_11 Depth=1
	v_bfe_u32 v13, v12, 24, 7
	v_mov_b32_e32 v74, 0x7f800001
	s_mov_b32 s41, exec_lo
	v_cmpx_ne_u32_e32 0x7f, v13
	s_cbranch_execz .LBB386_129
; %bb.126:                              ;   in Loop: Header=BB386_11 Depth=1
	v_and_b32_sdwa v1, v12, v56 dst_sel:DWORD dst_unused:UNUSED_PAD src0_sel:BYTE_3 src1_sel:DWORD
	v_lshrrev_b32_e32 v11, 3, v13
	s_mov_b32 s42, exec_lo
	v_cmpx_gt_u32_e32 8, v13
; %bb.127:                              ;   in Loop: Header=BB386_11 Depth=1
	v_ffbh_u32_e32 v11, v1
	v_min_u32_e32 v11, 32, v11
	v_subrev_nc_u32_e32 v13, 28, v11
	v_sub_nc_u32_e32 v11, 29, v11
	v_lshlrev_b64 v[13:14], v13, v[1:2]
	v_and_b32_e32 v1, 7, v13
; %bb.128:                              ;   in Loop: Header=BB386_11 Depth=1
	s_or_b32 exec_lo, exec_lo, s42
	v_lshlrev_b32_sdwa v12, v57, v12 dst_sel:DWORD dst_unused:UNUSED_PAD src0_sel:DWORD src1_sel:BYTE_3
	v_lshlrev_b32_e32 v1, 20, v1
	v_lshl_add_u32 v11, v11, 23, 0x3c000000
	v_and_b32_e32 v12, 0x80000000, v12
	v_or3_b32 v74, v1, v12, v11
.LBB386_129:                            ;   in Loop: Header=BB386_11 Depth=1
	s_or_b32 exec_lo, exec_lo, s41
.LBB386_130:                            ;   in Loop: Header=BB386_11 Depth=1
	s_or_b32 exec_lo, exec_lo, s40
.LBB386_131:                            ;   in Loop: Header=BB386_11 Depth=1
	s_or_b32 exec_lo, exec_lo, s2
	global_load_dwordx2 v[11:12], v[7:8], off offset:512
	s_waitcnt vmcnt(0)
	v_cmp_ne_u16_sdwa s1, v11, v2 src0_sel:BYTE_0 src1_sel:DWORD
	s_and_saveexec_b32 s2, s1
	s_cbranch_execz .LBB386_137
; %bb.132:                              ;   in Loop: Header=BB386_11 Depth=1
	v_cmp_ne_u16_sdwa s1, v11, v53 src0_sel:BYTE_0 src1_sel:DWORD
	v_bfrev_b32_e32 v75, 1
	s_and_saveexec_b32 s40, s1
	s_cbranch_execz .LBB386_136
; %bb.133:                              ;   in Loop: Header=BB386_11 Depth=1
	v_and_b32_e32 v1, 0x7f, v11
	v_mov_b32_e32 v75, 0x7f800001
	s_mov_b32 s41, exec_lo
	v_cmpx_ne_u32_e32 0x7f, v1
	s_cbranch_execz .LBB386_135
; %bb.134:                              ;   in Loop: Header=BB386_11 Depth=1
	v_and_b32_e32 v13, 7, v11
	v_lshrrev_b32_e32 v14, 3, v1
	v_cmp_gt_u32_e64 s1, 8, v1
	v_ffbh_u32_e32 v13, v13
	v_min_u32_e32 v13, 32, v13
	v_subrev_nc_u32_e32 v75, 28, v13
	v_sub_nc_u32_e32 v13, 29, v13
	v_cndmask_b32_e64 v1, v14, v13, s1
	v_cndmask_b32_e64 v13, 0, v75, s1
	v_lshl_add_u32 v1, v1, 23, 0x3c000000
	v_lshlrev_b64 v[13:14], v13, v[11:12]
	v_lshlrev_b32_e32 v14, 24, v11
	v_lshlrev_b32_e32 v13, 20, v13
	v_and_b32_e32 v14, 0x80000000, v14
	v_and_b32_e32 v13, 0x700000, v13
	v_or3_b32 v75, v13, v14, v1
.LBB386_135:                            ;   in Loop: Header=BB386_11 Depth=1
	s_or_b32 exec_lo, exec_lo, s41
.LBB386_136:                            ;   in Loop: Header=BB386_11 Depth=1
	s_or_b32 exec_lo, exec_lo, s40
.LBB386_137:                            ;   in Loop: Header=BB386_11 Depth=1
	s_or_b32 exec_lo, exec_lo, s2
	v_cmp_ne_u16_sdwa s1, v11, v2 src0_sel:BYTE_1 src1_sel:DWORD
	v_mov_b32_e32 v77, 0
	v_mov_b32_e32 v76, 0
	s_and_saveexec_b32 s2, s1
	s_cbranch_execz .LBB386_145
; %bb.138:                              ;   in Loop: Header=BB386_11 Depth=1
	v_cmp_ne_u16_sdwa s1, v11, v53 src0_sel:BYTE_1 src1_sel:DWORD
	v_bfrev_b32_e32 v76, 1
	s_and_saveexec_b32 s40, s1
	s_cbranch_execz .LBB386_144
; %bb.139:                              ;   in Loop: Header=BB386_11 Depth=1
	v_and_b32_sdwa v1, v54, v11 dst_sel:DWORD dst_unused:UNUSED_PAD src0_sel:DWORD src1_sel:BYTE_1
	v_mov_b32_e32 v76, 0x7f800001
	s_mov_b32 s41, exec_lo
	v_and_b32_e32 v14, 0x7f, v1
	v_cmpx_ne_u32_e32 0x7f, v14
	s_cbranch_execz .LBB386_143
; %bb.140:                              ;   in Loop: Header=BB386_11 Depth=1
	v_and_b32_e32 v1, 7, v1
	v_lshrrev_b32_e32 v13, 3, v14
	s_mov_b32 s42, exec_lo
	v_cmpx_gt_u32_e32 8, v14
; %bb.141:                              ;   in Loop: Header=BB386_11 Depth=1
	v_ffbh_u32_e32 v13, v1
	v_min_u32_e32 v13, 32, v13
	v_subrev_nc_u32_e32 v14, 28, v13
	v_sub_nc_u32_e32 v13, 29, v13
	v_lshlrev_b64 v[78:79], v14, v[1:2]
	v_and_b32_e32 v1, 7, v78
; %bb.142:                              ;   in Loop: Header=BB386_11 Depth=1
	s_or_b32 exec_lo, exec_lo, s42
	v_lshlrev_b32_e32 v14, 16, v11
	v_lshlrev_b32_e32 v1, 20, v1
	v_lshl_add_u32 v13, v13, 23, 0x3c000000
	v_and_b32_e32 v14, 0x80000000, v14
	v_or3_b32 v76, v1, v14, v13
.LBB386_143:                            ;   in Loop: Header=BB386_11 Depth=1
	s_or_b32 exec_lo, exec_lo, s41
.LBB386_144:                            ;   in Loop: Header=BB386_11 Depth=1
	s_or_b32 exec_lo, exec_lo, s40
.LBB386_145:                            ;   in Loop: Header=BB386_11 Depth=1
	s_or_b32 exec_lo, exec_lo, s2
	v_and_b32_sdwa v1, v11, v55 dst_sel:DWORD dst_unused:UNUSED_PAD src0_sel:WORD_1 src1_sel:DWORD
	s_mov_b32 s2, exec_lo
	v_cmpx_ne_u16_e32 0, v1
	s_cbranch_execz .LBB386_153
; %bb.146:                              ;   in Loop: Header=BB386_11 Depth=1
	v_bfrev_b32_e32 v77, 1
	s_mov_b32 s40, exec_lo
	v_cmpx_ne_u16_e32 0x80, v1
	s_cbranch_execz .LBB386_152
; %bb.147:                              ;   in Loop: Header=BB386_11 Depth=1
	v_bfe_u32 v14, v11, 16, 7
	v_mov_b32_e32 v77, 0x7f800001
	s_mov_b32 s41, exec_lo
	v_cmpx_ne_u32_e32 0x7f, v14
	s_cbranch_execz .LBB386_151
; %bb.148:                              ;   in Loop: Header=BB386_11 Depth=1
	v_and_b32_sdwa v1, v11, v56 dst_sel:DWORD dst_unused:UNUSED_PAD src0_sel:WORD_1 src1_sel:DWORD
	v_lshrrev_b32_e32 v13, 3, v14
	s_mov_b32 s42, exec_lo
	v_cmpx_gt_u32_e32 8, v14
; %bb.149:                              ;   in Loop: Header=BB386_11 Depth=1
	v_ffbh_u32_e32 v13, v1
	v_min_u32_e32 v13, 32, v13
	v_subrev_nc_u32_e32 v14, 28, v13
	v_sub_nc_u32_e32 v13, 29, v13
	v_lshlrev_b64 v[77:78], v14, v[1:2]
	v_and_b32_e32 v1, 7, v77
; %bb.150:                              ;   in Loop: Header=BB386_11 Depth=1
	s_or_b32 exec_lo, exec_lo, s42
	v_lshlrev_b32_sdwa v14, v57, v11 dst_sel:DWORD dst_unused:UNUSED_PAD src0_sel:DWORD src1_sel:WORD_1
	v_lshlrev_b32_e32 v1, 20, v1
	v_lshl_add_u32 v13, v13, 23, 0x3c000000
	v_and_b32_e32 v14, 0x80000000, v14
	v_or3_b32 v77, v1, v14, v13
.LBB386_151:                            ;   in Loop: Header=BB386_11 Depth=1
	s_or_b32 exec_lo, exec_lo, s41
.LBB386_152:                            ;   in Loop: Header=BB386_11 Depth=1
	s_or_b32 exec_lo, exec_lo, s40
.LBB386_153:                            ;   in Loop: Header=BB386_11 Depth=1
	s_or_b32 exec_lo, exec_lo, s2
	v_mov_b32_e32 v78, 0
	v_mov_b32_e32 v79, 0
	s_mov_b32 s2, exec_lo
	v_cmpx_lt_u32_e32 0xffffff, v11
	s_cbranch_execz .LBB386_161
; %bb.154:                              ;   in Loop: Header=BB386_11 Depth=1
	v_cmp_ne_u32_sdwa s1, v11, v53 src0_sel:BYTE_3 src1_sel:DWORD
	v_bfrev_b32_e32 v79, 1
	s_and_saveexec_b32 s40, s1
	s_cbranch_execz .LBB386_160
; %bb.155:                              ;   in Loop: Header=BB386_11 Depth=1
	v_bfe_u32 v14, v11, 24, 7
	v_mov_b32_e32 v79, 0x7f800001
	s_mov_b32 s41, exec_lo
	v_cmpx_ne_u32_e32 0x7f, v14
	s_cbranch_execz .LBB386_159
; %bb.156:                              ;   in Loop: Header=BB386_11 Depth=1
	v_and_b32_sdwa v1, v11, v56 dst_sel:DWORD dst_unused:UNUSED_PAD src0_sel:BYTE_3 src1_sel:DWORD
	v_lshrrev_b32_e32 v13, 3, v14
	s_mov_b32 s42, exec_lo
	v_cmpx_gt_u32_e32 8, v14
; %bb.157:                              ;   in Loop: Header=BB386_11 Depth=1
	v_ffbh_u32_e32 v13, v1
	v_min_u32_e32 v13, 32, v13
	v_subrev_nc_u32_e32 v14, 28, v13
	v_sub_nc_u32_e32 v13, 29, v13
	v_lshlrev_b64 v[79:80], v14, v[1:2]
	v_and_b32_e32 v1, 7, v79
; %bb.158:                              ;   in Loop: Header=BB386_11 Depth=1
	s_or_b32 exec_lo, exec_lo, s42
	v_lshlrev_b32_sdwa v14, v57, v11 dst_sel:DWORD dst_unused:UNUSED_PAD src0_sel:DWORD src1_sel:BYTE_3
	v_lshlrev_b32_e32 v1, 20, v1
	v_lshl_add_u32 v13, v13, 23, 0x3c000000
	v_and_b32_e32 v14, 0x80000000, v14
	v_or3_b32 v79, v1, v14, v13
.LBB386_159:                            ;   in Loop: Header=BB386_11 Depth=1
	s_or_b32 exec_lo, exec_lo, s41
.LBB386_160:                            ;   in Loop: Header=BB386_11 Depth=1
	s_or_b32 exec_lo, exec_lo, s40
.LBB386_161:                            ;   in Loop: Header=BB386_11 Depth=1
	s_or_b32 exec_lo, exec_lo, s2
	v_mov_b32_e32 v1, v12
	v_cmp_ne_u16_sdwa s1, v12, v2 src0_sel:BYTE_0 src1_sel:DWORD
	s_and_saveexec_b32 s2, s1
	s_cbranch_execz .LBB386_167
; %bb.162:                              ;   in Loop: Header=BB386_11 Depth=1
	v_cmp_ne_u16_sdwa s1, v12, v53 src0_sel:BYTE_0 src1_sel:DWORD
	v_bfrev_b32_e32 v78, 1
	s_and_saveexec_b32 s40, s1
	s_cbranch_execz .LBB386_166
; %bb.163:                              ;   in Loop: Header=BB386_11 Depth=1
	v_and_b32_e32 v13, 0x7f, v12
	v_mov_b32_e32 v78, 0x7f800001
	s_mov_b32 s41, exec_lo
	v_cmpx_ne_u32_e32 0x7f, v13
	s_cbranch_execz .LBB386_165
; %bb.164:                              ;   in Loop: Header=BB386_11 Depth=1
	v_and_b32_e32 v14, 7, v12
	v_cmp_gt_u32_e64 s1, 8, v13
	v_lshrrev_b32_e32 v78, 3, v13
	v_ffbh_u32_e32 v14, v14
	v_min_u32_e32 v14, 32, v14
	v_subrev_nc_u32_e32 v80, 28, v14
	v_sub_nc_u32_e32 v14, 29, v14
	v_cndmask_b32_e64 v13, 0, v80, s1
	v_cndmask_b32_e64 v78, v78, v14, s1
	v_lshlrev_b64 v[13:14], v13, v[1:2]
	v_lshlrev_b32_e32 v14, 24, v1
	v_lshl_add_u32 v78, v78, 23, 0x3c000000
	v_lshlrev_b32_e32 v13, 20, v13
	v_and_b32_e32 v14, 0x80000000, v14
	v_and_b32_e32 v13, 0x700000, v13
	v_or3_b32 v78, v13, v14, v78
.LBB386_165:                            ;   in Loop: Header=BB386_11 Depth=1
	s_or_b32 exec_lo, exec_lo, s41
.LBB386_166:                            ;   in Loop: Header=BB386_11 Depth=1
	s_or_b32 exec_lo, exec_lo, s40
.LBB386_167:                            ;   in Loop: Header=BB386_11 Depth=1
	s_or_b32 exec_lo, exec_lo, s2
	v_cmp_ne_u16_sdwa s1, v1, v2 src0_sel:BYTE_1 src1_sel:DWORD
	v_mov_b32_e32 v80, 0
	v_mov_b32_e32 v81, 0
	s_and_saveexec_b32 s2, s1
	s_cbranch_execz .LBB386_175
; %bb.168:                              ;   in Loop: Header=BB386_11 Depth=1
	v_cmp_ne_u16_sdwa s1, v1, v53 src0_sel:BYTE_1 src1_sel:DWORD
	v_bfrev_b32_e32 v81, 1
	s_and_saveexec_b32 s40, s1
	s_cbranch_execz .LBB386_174
; %bb.169:                              ;   in Loop: Header=BB386_11 Depth=1
	v_and_b32_sdwa v13, v54, v1 dst_sel:DWORD dst_unused:UNUSED_PAD src0_sel:DWORD src1_sel:BYTE_1
	v_mov_b32_e32 v81, 0x7f800001
	s_mov_b32 s41, exec_lo
	v_and_b32_e32 v82, 0x7f, v13
	v_cmpx_ne_u32_e32 0x7f, v82
	s_cbranch_execz .LBB386_173
; %bb.170:                              ;   in Loop: Header=BB386_11 Depth=1
	v_and_b32_e32 v13, 7, v13
	v_mov_b32_e32 v14, v2
	v_lshrrev_b32_e32 v81, 3, v82
	s_mov_b32 s42, exec_lo
	v_cmpx_gt_u32_e32 8, v82
; %bb.171:                              ;   in Loop: Header=BB386_11 Depth=1
	v_ffbh_u32_e32 v81, v13
	v_min_u32_e32 v81, 32, v81
	v_subrev_nc_u32_e32 v82, 28, v81
	v_sub_nc_u32_e32 v81, 29, v81
	v_lshlrev_b64 v[13:14], v82, v[13:14]
	v_and_b32_e32 v13, 7, v13
; %bb.172:                              ;   in Loop: Header=BB386_11 Depth=1
	s_or_b32 exec_lo, exec_lo, s42
	v_lshlrev_b32_e32 v1, 16, v1
	v_lshlrev_b32_e32 v13, 20, v13
	v_lshl_add_u32 v14, v81, 23, 0x3c000000
	v_and_b32_e32 v1, 0x80000000, v1
	v_or3_b32 v81, v13, v1, v14
.LBB386_173:                            ;   in Loop: Header=BB386_11 Depth=1
	s_or_b32 exec_lo, exec_lo, s41
.LBB386_174:                            ;   in Loop: Header=BB386_11 Depth=1
	s_or_b32 exec_lo, exec_lo, s40
.LBB386_175:                            ;   in Loop: Header=BB386_11 Depth=1
	s_or_b32 exec_lo, exec_lo, s2
	v_and_b32_sdwa v1, v12, v55 dst_sel:DWORD dst_unused:UNUSED_PAD src0_sel:WORD_1 src1_sel:DWORD
	s_mov_b32 s2, exec_lo
	v_cmpx_ne_u16_e32 0, v1
	s_cbranch_execz .LBB386_183
; %bb.176:                              ;   in Loop: Header=BB386_11 Depth=1
	v_bfrev_b32_e32 v80, 1
	s_mov_b32 s40, exec_lo
	v_cmpx_ne_u16_e32 0x80, v1
	s_cbranch_execz .LBB386_182
; %bb.177:                              ;   in Loop: Header=BB386_11 Depth=1
	v_bfe_u32 v14, v12, 16, 7
	v_mov_b32_e32 v80, 0x7f800001
	s_mov_b32 s41, exec_lo
	v_cmpx_ne_u32_e32 0x7f, v14
	s_cbranch_execz .LBB386_181
; %bb.178:                              ;   in Loop: Header=BB386_11 Depth=1
	v_and_b32_sdwa v1, v12, v56 dst_sel:DWORD dst_unused:UNUSED_PAD src0_sel:WORD_1 src1_sel:DWORD
	v_lshrrev_b32_e32 v13, 3, v14
	s_mov_b32 s42, exec_lo
	v_cmpx_gt_u32_e32 8, v14
; %bb.179:                              ;   in Loop: Header=BB386_11 Depth=1
	v_ffbh_u32_e32 v13, v1
	v_min_u32_e32 v13, 32, v13
	v_subrev_nc_u32_e32 v14, 28, v13
	v_sub_nc_u32_e32 v13, 29, v13
	v_lshlrev_b64 v[82:83], v14, v[1:2]
	v_and_b32_e32 v1, 7, v82
; %bb.180:                              ;   in Loop: Header=BB386_11 Depth=1
	s_or_b32 exec_lo, exec_lo, s42
	v_lshlrev_b32_sdwa v14, v57, v12 dst_sel:DWORD dst_unused:UNUSED_PAD src0_sel:DWORD src1_sel:WORD_1
	v_lshlrev_b32_e32 v1, 20, v1
	v_lshl_add_u32 v13, v13, 23, 0x3c000000
	v_and_b32_e32 v14, 0x80000000, v14
	v_or3_b32 v80, v1, v14, v13
.LBB386_181:                            ;   in Loop: Header=BB386_11 Depth=1
	s_or_b32 exec_lo, exec_lo, s41
.LBB386_182:                            ;   in Loop: Header=BB386_11 Depth=1
	s_or_b32 exec_lo, exec_lo, s40
.LBB386_183:                            ;   in Loop: Header=BB386_11 Depth=1
	s_or_b32 exec_lo, exec_lo, s2
	v_mov_b32_e32 v13, 0
	v_mov_b32_e32 v83, 0
	s_mov_b32 s2, exec_lo
	v_cmpx_lt_u64_e64 s[4:5], v[11:12]
	s_cbranch_execz .LBB386_191
; %bb.184:                              ;   in Loop: Header=BB386_11 Depth=1
	v_cmp_ne_u32_sdwa s1, v12, v53 src0_sel:BYTE_3 src1_sel:DWORD
	v_bfrev_b32_e32 v83, 1
	s_and_saveexec_b32 s40, s1
	s_cbranch_execz .LBB386_190
; %bb.185:                              ;   in Loop: Header=BB386_11 Depth=1
	v_bfe_u32 v14, v12, 24, 7
	v_mov_b32_e32 v83, 0x7f800001
	s_mov_b32 s41, exec_lo
	v_cmpx_ne_u32_e32 0x7f, v14
	s_cbranch_execz .LBB386_189
; %bb.186:                              ;   in Loop: Header=BB386_11 Depth=1
	v_and_b32_sdwa v1, v12, v56 dst_sel:DWORD dst_unused:UNUSED_PAD src0_sel:BYTE_3 src1_sel:DWORD
	v_lshrrev_b32_e32 v11, 3, v14
	s_mov_b32 s42, exec_lo
	v_cmpx_gt_u32_e32 8, v14
; %bb.187:                              ;   in Loop: Header=BB386_11 Depth=1
	v_ffbh_u32_e32 v11, v1
	v_min_u32_e32 v11, 32, v11
	v_subrev_nc_u32_e32 v14, 28, v11
	v_sub_nc_u32_e32 v11, 29, v11
	v_lshlrev_b64 v[82:83], v14, v[1:2]
	v_and_b32_e32 v1, 7, v82
; %bb.188:                              ;   in Loop: Header=BB386_11 Depth=1
	s_or_b32 exec_lo, exec_lo, s42
	v_lshlrev_b32_sdwa v12, v57, v12 dst_sel:DWORD dst_unused:UNUSED_PAD src0_sel:DWORD src1_sel:BYTE_3
	v_lshlrev_b32_e32 v1, 20, v1
	v_lshl_add_u32 v11, v11, 23, 0x3c000000
	v_and_b32_e32 v12, 0x80000000, v12
	v_or3_b32 v83, v1, v12, v11
.LBB386_189:                            ;   in Loop: Header=BB386_11 Depth=1
	s_or_b32 exec_lo, exec_lo, s41
.LBB386_190:                            ;   in Loop: Header=BB386_11 Depth=1
	s_or_b32 exec_lo, exec_lo, s40
.LBB386_191:                            ;   in Loop: Header=BB386_11 Depth=1
	s_or_b32 exec_lo, exec_lo, s2
	global_load_dwordx2 v[7:8], v[7:8], off offset:520
	s_waitcnt vmcnt(0)
	v_cmp_ne_u16_sdwa s1, v7, v2 src0_sel:BYTE_0 src1_sel:DWORD
	s_and_saveexec_b32 s2, s1
	s_cbranch_execz .LBB386_197
; %bb.192:                              ;   in Loop: Header=BB386_11 Depth=1
	v_cmp_ne_u16_sdwa s1, v7, v53 src0_sel:BYTE_0 src1_sel:DWORD
	v_bfrev_b32_e32 v13, 1
	s_and_saveexec_b32 s40, s1
	s_cbranch_execz .LBB386_196
; %bb.193:                              ;   in Loop: Header=BB386_11 Depth=1
	v_and_b32_e32 v1, 0x7f, v7
	v_mov_b32_e32 v13, 0x7f800001
	s_mov_b32 s41, exec_lo
	v_cmpx_ne_u32_e32 0x7f, v1
	s_cbranch_execz .LBB386_195
; %bb.194:                              ;   in Loop: Header=BB386_11 Depth=1
	v_and_b32_e32 v11, 7, v7
	v_lshrrev_b32_e32 v12, 3, v1
	v_cmp_gt_u32_e64 s1, 8, v1
	v_ffbh_u32_e32 v11, v11
	v_min_u32_e32 v11, 32, v11
	v_subrev_nc_u32_e32 v13, 28, v11
	v_sub_nc_u32_e32 v11, 29, v11
	v_cndmask_b32_e64 v1, v12, v11, s1
	v_cndmask_b32_e64 v11, 0, v13, s1
	v_lshl_add_u32 v1, v1, 23, 0x3c000000
	v_lshlrev_b64 v[11:12], v11, v[7:8]
	v_lshlrev_b32_e32 v12, 24, v7
	v_lshlrev_b32_e32 v11, 20, v11
	v_and_b32_e32 v12, 0x80000000, v12
	v_and_b32_e32 v11, 0x700000, v11
	v_or3_b32 v13, v11, v12, v1
.LBB386_195:                            ;   in Loop: Header=BB386_11 Depth=1
	s_or_b32 exec_lo, exec_lo, s41
.LBB386_196:                            ;   in Loop: Header=BB386_11 Depth=1
	s_or_b32 exec_lo, exec_lo, s40
.LBB386_197:                            ;   in Loop: Header=BB386_11 Depth=1
	s_or_b32 exec_lo, exec_lo, s2
	v_cmp_ne_u16_sdwa s1, v7, v2 src0_sel:BYTE_1 src1_sel:DWORD
	v_mov_b32_e32 v82, 0
	v_mov_b32_e32 v14, 0
	s_and_saveexec_b32 s2, s1
	s_cbranch_execz .LBB386_205
; %bb.198:                              ;   in Loop: Header=BB386_11 Depth=1
	v_cmp_ne_u16_sdwa s1, v7, v53 src0_sel:BYTE_1 src1_sel:DWORD
	v_bfrev_b32_e32 v14, 1
	s_and_saveexec_b32 s40, s1
	s_cbranch_execz .LBB386_204
; %bb.199:                              ;   in Loop: Header=BB386_11 Depth=1
	v_and_b32_sdwa v1, v54, v7 dst_sel:DWORD dst_unused:UNUSED_PAD src0_sel:DWORD src1_sel:BYTE_1
	v_mov_b32_e32 v14, 0x7f800001
	s_mov_b32 s41, exec_lo
	v_and_b32_e32 v12, 0x7f, v1
	v_cmpx_ne_u32_e32 0x7f, v12
	s_cbranch_execz .LBB386_203
; %bb.200:                              ;   in Loop: Header=BB386_11 Depth=1
	v_and_b32_e32 v1, 7, v1
	v_lshrrev_b32_e32 v11, 3, v12
	s_mov_b32 s42, exec_lo
	v_cmpx_gt_u32_e32 8, v12
; %bb.201:                              ;   in Loop: Header=BB386_11 Depth=1
	v_ffbh_u32_e32 v11, v1
	v_min_u32_e32 v11, 32, v11
	v_subrev_nc_u32_e32 v12, 28, v11
	v_sub_nc_u32_e32 v11, 29, v11
	v_lshlrev_b64 v[84:85], v12, v[1:2]
	v_and_b32_e32 v1, 7, v84
; %bb.202:                              ;   in Loop: Header=BB386_11 Depth=1
	s_or_b32 exec_lo, exec_lo, s42
	v_lshlrev_b32_e32 v12, 16, v7
	v_lshlrev_b32_e32 v1, 20, v1
	v_lshl_add_u32 v11, v11, 23, 0x3c000000
	v_and_b32_e32 v12, 0x80000000, v12
	v_or3_b32 v14, v1, v12, v11
.LBB386_203:                            ;   in Loop: Header=BB386_11 Depth=1
	s_or_b32 exec_lo, exec_lo, s41
.LBB386_204:                            ;   in Loop: Header=BB386_11 Depth=1
	s_or_b32 exec_lo, exec_lo, s40
.LBB386_205:                            ;   in Loop: Header=BB386_11 Depth=1
	s_or_b32 exec_lo, exec_lo, s2
	v_and_b32_sdwa v1, v7, v55 dst_sel:DWORD dst_unused:UNUSED_PAD src0_sel:WORD_1 src1_sel:DWORD
	s_mov_b32 s2, exec_lo
	v_cmpx_ne_u16_e32 0, v1
	s_cbranch_execz .LBB386_213
; %bb.206:                              ;   in Loop: Header=BB386_11 Depth=1
	v_bfrev_b32_e32 v82, 1
	s_mov_b32 s40, exec_lo
	v_cmpx_ne_u16_e32 0x80, v1
	s_cbranch_execz .LBB386_212
; %bb.207:                              ;   in Loop: Header=BB386_11 Depth=1
	v_bfe_u32 v12, v7, 16, 7
	v_mov_b32_e32 v82, 0x7f800001
	s_mov_b32 s41, exec_lo
	v_cmpx_ne_u32_e32 0x7f, v12
	s_cbranch_execz .LBB386_211
; %bb.208:                              ;   in Loop: Header=BB386_11 Depth=1
	v_and_b32_sdwa v1, v7, v56 dst_sel:DWORD dst_unused:UNUSED_PAD src0_sel:WORD_1 src1_sel:DWORD
	v_lshrrev_b32_e32 v11, 3, v12
	s_mov_b32 s42, exec_lo
	v_cmpx_gt_u32_e32 8, v12
; %bb.209:                              ;   in Loop: Header=BB386_11 Depth=1
	v_ffbh_u32_e32 v11, v1
	v_min_u32_e32 v11, 32, v11
	v_subrev_nc_u32_e32 v12, 28, v11
	v_sub_nc_u32_e32 v11, 29, v11
	v_lshlrev_b64 v[84:85], v12, v[1:2]
	v_and_b32_e32 v1, 7, v84
; %bb.210:                              ;   in Loop: Header=BB386_11 Depth=1
	s_or_b32 exec_lo, exec_lo, s42
	v_lshlrev_b32_sdwa v12, v57, v7 dst_sel:DWORD dst_unused:UNUSED_PAD src0_sel:DWORD src1_sel:WORD_1
	v_lshlrev_b32_e32 v1, 20, v1
	v_lshl_add_u32 v11, v11, 23, 0x3c000000
	v_and_b32_e32 v12, 0x80000000, v12
	v_or3_b32 v82, v1, v12, v11
.LBB386_211:                            ;   in Loop: Header=BB386_11 Depth=1
	s_or_b32 exec_lo, exec_lo, s41
.LBB386_212:                            ;   in Loop: Header=BB386_11 Depth=1
	s_or_b32 exec_lo, exec_lo, s40
.LBB386_213:                            ;   in Loop: Header=BB386_11 Depth=1
	s_or_b32 exec_lo, exec_lo, s2
	v_mov_b32_e32 v84, 0
	v_mov_b32_e32 v85, 0
	s_mov_b32 s2, exec_lo
	v_cmpx_lt_u32_e32 0xffffff, v7
	s_cbranch_execz .LBB386_221
; %bb.214:                              ;   in Loop: Header=BB386_11 Depth=1
	v_cmp_ne_u32_sdwa s1, v7, v53 src0_sel:BYTE_3 src1_sel:DWORD
	v_bfrev_b32_e32 v85, 1
	s_and_saveexec_b32 s40, s1
	s_cbranch_execz .LBB386_220
; %bb.215:                              ;   in Loop: Header=BB386_11 Depth=1
	v_bfe_u32 v12, v7, 24, 7
	v_mov_b32_e32 v85, 0x7f800001
	s_mov_b32 s41, exec_lo
	v_cmpx_ne_u32_e32 0x7f, v12
	s_cbranch_execz .LBB386_219
; %bb.216:                              ;   in Loop: Header=BB386_11 Depth=1
	v_and_b32_sdwa v1, v7, v56 dst_sel:DWORD dst_unused:UNUSED_PAD src0_sel:BYTE_3 src1_sel:DWORD
	v_lshrrev_b32_e32 v11, 3, v12
	s_mov_b32 s42, exec_lo
	v_cmpx_gt_u32_e32 8, v12
; %bb.217:                              ;   in Loop: Header=BB386_11 Depth=1
	v_ffbh_u32_e32 v11, v1
	v_min_u32_e32 v11, 32, v11
	v_subrev_nc_u32_e32 v12, 28, v11
	v_sub_nc_u32_e32 v11, 29, v11
	v_lshlrev_b64 v[85:86], v12, v[1:2]
	v_and_b32_e32 v1, 7, v85
; %bb.218:                              ;   in Loop: Header=BB386_11 Depth=1
	s_or_b32 exec_lo, exec_lo, s42
	v_lshlrev_b32_sdwa v12, v57, v7 dst_sel:DWORD dst_unused:UNUSED_PAD src0_sel:DWORD src1_sel:BYTE_3
	v_lshlrev_b32_e32 v1, 20, v1
	v_lshl_add_u32 v11, v11, 23, 0x3c000000
	v_and_b32_e32 v12, 0x80000000, v12
	v_or3_b32 v85, v1, v12, v11
.LBB386_219:                            ;   in Loop: Header=BB386_11 Depth=1
	s_or_b32 exec_lo, exec_lo, s41
.LBB386_220:                            ;   in Loop: Header=BB386_11 Depth=1
	s_or_b32 exec_lo, exec_lo, s40
.LBB386_221:                            ;   in Loop: Header=BB386_11 Depth=1
	s_or_b32 exec_lo, exec_lo, s2
	v_mov_b32_e32 v1, v8
	v_cmp_ne_u16_sdwa s1, v8, v2 src0_sel:BYTE_0 src1_sel:DWORD
	s_and_saveexec_b32 s2, s1
	s_cbranch_execz .LBB386_227
; %bb.222:                              ;   in Loop: Header=BB386_11 Depth=1
	v_cmp_ne_u16_sdwa s1, v8, v53 src0_sel:BYTE_0 src1_sel:DWORD
	v_bfrev_b32_e32 v84, 1
	s_and_saveexec_b32 s40, s1
	s_cbranch_execz .LBB386_226
; %bb.223:                              ;   in Loop: Header=BB386_11 Depth=1
	v_and_b32_e32 v11, 0x7f, v8
	v_mov_b32_e32 v84, 0x7f800001
	s_mov_b32 s41, exec_lo
	v_cmpx_ne_u32_e32 0x7f, v11
	s_cbranch_execz .LBB386_225
; %bb.224:                              ;   in Loop: Header=BB386_11 Depth=1
	v_and_b32_e32 v12, 7, v8
	v_cmp_gt_u32_e64 s1, 8, v11
	v_lshrrev_b32_e32 v84, 3, v11
	v_ffbh_u32_e32 v12, v12
	v_min_u32_e32 v12, 32, v12
	v_subrev_nc_u32_e32 v86, 28, v12
	v_sub_nc_u32_e32 v12, 29, v12
	v_cndmask_b32_e64 v11, 0, v86, s1
	v_cndmask_b32_e64 v84, v84, v12, s1
	v_lshlrev_b64 v[11:12], v11, v[1:2]
	v_lshlrev_b32_e32 v12, 24, v1
	v_lshl_add_u32 v84, v84, 23, 0x3c000000
	v_lshlrev_b32_e32 v11, 20, v11
	v_and_b32_e32 v12, 0x80000000, v12
	v_and_b32_e32 v11, 0x700000, v11
	v_or3_b32 v84, v11, v12, v84
.LBB386_225:                            ;   in Loop: Header=BB386_11 Depth=1
	s_or_b32 exec_lo, exec_lo, s41
.LBB386_226:                            ;   in Loop: Header=BB386_11 Depth=1
	s_or_b32 exec_lo, exec_lo, s40
.LBB386_227:                            ;   in Loop: Header=BB386_11 Depth=1
	s_or_b32 exec_lo, exec_lo, s2
	v_cmp_ne_u16_sdwa s1, v1, v2 src0_sel:BYTE_1 src1_sel:DWORD
	v_mov_b32_e32 v86, 0
	v_mov_b32_e32 v11, 0
	s_and_saveexec_b32 s2, s1
	s_cbranch_execz .LBB386_235
; %bb.228:                              ;   in Loop: Header=BB386_11 Depth=1
	v_cmp_ne_u16_sdwa s1, v1, v53 src0_sel:BYTE_1 src1_sel:DWORD
	v_bfrev_b32_e32 v11, 1
	s_and_saveexec_b32 s40, s1
	s_cbranch_execz .LBB386_234
; %bb.229:                              ;   in Loop: Header=BB386_11 Depth=1
	v_and_b32_sdwa v12, v54, v1 dst_sel:DWORD dst_unused:UNUSED_PAD src0_sel:DWORD src1_sel:BYTE_1
	v_mov_b32_e32 v11, 0x7f800001
	s_mov_b32 s41, exec_lo
	v_and_b32_e32 v88, 0x7f, v12
	v_cmpx_ne_u32_e32 0x7f, v88
	s_cbranch_execz .LBB386_233
; %bb.230:                              ;   in Loop: Header=BB386_11 Depth=1
	v_and_b32_e32 v11, 7, v12
	v_mov_b32_e32 v12, v2
	v_lshrrev_b32_e32 v87, 3, v88
	s_mov_b32 s42, exec_lo
	v_cmpx_gt_u32_e32 8, v88
; %bb.231:                              ;   in Loop: Header=BB386_11 Depth=1
	v_ffbh_u32_e32 v87, v11
	v_min_u32_e32 v87, 32, v87
	v_subrev_nc_u32_e32 v88, 28, v87
	v_sub_nc_u32_e32 v87, 29, v87
	v_lshlrev_b64 v[11:12], v88, v[11:12]
	v_and_b32_e32 v11, 7, v11
; %bb.232:                              ;   in Loop: Header=BB386_11 Depth=1
	s_or_b32 exec_lo, exec_lo, s42
	v_lshlrev_b32_e32 v1, 16, v1
	v_lshlrev_b32_e32 v11, 20, v11
	v_lshl_add_u32 v12, v87, 23, 0x3c000000
	v_and_b32_e32 v1, 0x80000000, v1
	v_or3_b32 v11, v11, v1, v12
.LBB386_233:                            ;   in Loop: Header=BB386_11 Depth=1
	s_or_b32 exec_lo, exec_lo, s41
.LBB386_234:                            ;   in Loop: Header=BB386_11 Depth=1
	s_or_b32 exec_lo, exec_lo, s40
.LBB386_235:                            ;   in Loop: Header=BB386_11 Depth=1
	s_or_b32 exec_lo, exec_lo, s2
	v_and_b32_sdwa v1, v8, v55 dst_sel:DWORD dst_unused:UNUSED_PAD src0_sel:WORD_1 src1_sel:DWORD
	s_mov_b32 s2, exec_lo
	v_cmpx_ne_u16_e32 0, v1
	s_cbranch_execz .LBB386_243
; %bb.236:                              ;   in Loop: Header=BB386_11 Depth=1
	v_bfrev_b32_e32 v86, 1
	s_mov_b32 s40, exec_lo
	v_cmpx_ne_u16_e32 0x80, v1
	s_cbranch_execz .LBB386_242
; %bb.237:                              ;   in Loop: Header=BB386_11 Depth=1
	v_bfe_u32 v87, v8, 16, 7
	v_mov_b32_e32 v86, 0x7f800001
	s_mov_b32 s41, exec_lo
	v_cmpx_ne_u32_e32 0x7f, v87
	s_cbranch_execz .LBB386_241
; %bb.238:                              ;   in Loop: Header=BB386_11 Depth=1
	v_and_b32_sdwa v1, v8, v56 dst_sel:DWORD dst_unused:UNUSED_PAD src0_sel:WORD_1 src1_sel:DWORD
	v_lshrrev_b32_e32 v12, 3, v87
	s_mov_b32 s42, exec_lo
	v_cmpx_gt_u32_e32 8, v87
; %bb.239:                              ;   in Loop: Header=BB386_11 Depth=1
	v_ffbh_u32_e32 v12, v1
	v_min_u32_e32 v12, 32, v12
	v_subrev_nc_u32_e32 v86, 28, v12
	v_sub_nc_u32_e32 v12, 29, v12
	v_lshlrev_b64 v[86:87], v86, v[1:2]
	v_and_b32_e32 v1, 7, v86
; %bb.240:                              ;   in Loop: Header=BB386_11 Depth=1
	s_or_b32 exec_lo, exec_lo, s42
	v_lshlrev_b32_sdwa v86, v57, v8 dst_sel:DWORD dst_unused:UNUSED_PAD src0_sel:DWORD src1_sel:WORD_1
	v_lshlrev_b32_e32 v1, 20, v1
	v_lshl_add_u32 v12, v12, 23, 0x3c000000
	v_and_b32_e32 v86, 0x80000000, v86
	v_or3_b32 v86, v1, v86, v12
.LBB386_241:                            ;   in Loop: Header=BB386_11 Depth=1
	s_or_b32 exec_lo, exec_lo, s41
.LBB386_242:                            ;   in Loop: Header=BB386_11 Depth=1
	s_or_b32 exec_lo, exec_lo, s40
.LBB386_243:                            ;   in Loop: Header=BB386_11 Depth=1
	s_or_b32 exec_lo, exec_lo, s2
	v_mov_b32_e32 v87, 0
	s_mov_b32 s2, exec_lo
	v_cmpx_lt_u64_e64 s[4:5], v[7:8]
	s_cbranch_execz .LBB386_10
; %bb.244:                              ;   in Loop: Header=BB386_11 Depth=1
	v_cmp_ne_u32_sdwa s1, v8, v53 src0_sel:BYTE_3 src1_sel:DWORD
	v_bfrev_b32_e32 v87, 1
	s_and_saveexec_b32 s40, s1
	s_cbranch_execz .LBB386_9
; %bb.245:                              ;   in Loop: Header=BB386_11 Depth=1
	v_bfe_u32 v12, v8, 24, 7
	v_mov_b32_e32 v87, 0x7f800001
	s_mov_b32 s41, exec_lo
	v_cmpx_ne_u32_e32 0x7f, v12
	s_cbranch_execz .LBB386_8
; %bb.246:                              ;   in Loop: Header=BB386_11 Depth=1
	v_and_b32_sdwa v1, v8, v56 dst_sel:DWORD dst_unused:UNUSED_PAD src0_sel:BYTE_3 src1_sel:DWORD
	v_lshrrev_b32_e32 v7, 3, v12
	s_mov_b32 s42, exec_lo
	v_cmpx_gt_u32_e32 8, v12
	s_cbranch_execz .LBB386_7
; %bb.247:                              ;   in Loop: Header=BB386_11 Depth=1
	v_ffbh_u32_e32 v7, v1
	v_min_u32_e32 v7, 32, v7
	v_subrev_nc_u32_e32 v12, 28, v7
	v_sub_nc_u32_e32 v7, 29, v7
	v_lshlrev_b64 v[87:88], v12, v[1:2]
	v_and_b32_e32 v1, 7, v87
	s_branch .LBB386_7
.LBB386_248:
	s_or_b32 exec_lo, exec_lo, s39
.LBB386_249:
	s_or_b32 exec_lo, exec_lo, s37
	v_mbcnt_lo_u32_b32 v1, -1, 0
	v_max_f32_e32 v5, v41, v41
	v_xor_b32_e32 v2, 16, v1
	v_xor_b32_e32 v4, 8, v1
	v_cmp_gt_i32_e32 vcc_lo, 32, v2
	v_cndmask_b32_e32 v2, v1, v2, vcc_lo
	v_cmp_gt_i32_e32 vcc_lo, 32, v4
	v_lshlrev_b32_e32 v2, 2, v2
	v_cndmask_b32_e32 v4, v1, v4, vcc_lo
	ds_bpermute_b32 v3, v2, v41
	s_waitcnt lgkmcnt(0)
	v_max_f32_e32 v6, v3, v3
	v_lshlrev_b32_e32 v3, 2, v4
	v_max_f32_e32 v4, v5, v6
	v_xor_b32_e32 v6, 4, v1
	ds_bpermute_b32 v5, v3, v4
	v_cmp_gt_i32_e32 vcc_lo, 32, v6
	v_cndmask_b32_e32 v6, v1, v6, vcc_lo
	s_waitcnt lgkmcnt(0)
	v_max_f32_e32 v7, v5, v5
	v_lshlrev_b32_e32 v5, 2, v6
	v_max_f32_e32 v4, v4, v7
	v_xor_b32_e32 v7, 2, v1
	ds_bpermute_b32 v6, v5, v4
	v_cmp_gt_i32_e32 vcc_lo, 32, v7
	v_cndmask_b32_e32 v7, v1, v7, vcc_lo
	v_lshlrev_b32_e32 v24, 2, v7
	v_xor_b32_e32 v7, 1, v1
	v_cmp_gt_i32_e32 vcc_lo, 32, v7
	s_waitcnt lgkmcnt(0)
	v_max_f32_e32 v6, v6, v6
	v_cndmask_b32_e32 v7, v1, v7, vcc_lo
	v_cmp_eq_u32_e32 vcc_lo, 0, v23
	v_max_f32_e32 v4, v4, v6
	v_lshlrev_b32_e32 v25, 2, v7
	ds_bpermute_b32 v6, v24, v4
	s_waitcnt lgkmcnt(0)
	v_max_f32_e32 v6, v6, v6
	v_max_f32_e32 v1, v4, v6
	v_lshlrev_b32_e32 v6, 2, v22
	ds_bpermute_b32 v4, v25, v1
	s_and_saveexec_b32 s1, vcc_lo
	s_cbranch_execz .LBB386_251
; %bb.250:
	s_waitcnt lgkmcnt(0)
	v_max_f32_e32 v4, v4, v4
	v_max_f32_e32 v1, v1, v1
	;; [unrolled: 1-line block ×3, first 2 shown]
	ds_write_b32 v6, v1 offset:64
.LBB386_251:
	s_or_b32 exec_lo, exec_lo, s1
	v_cmp_gt_u32_e64 s1, 4, v23
	v_mov_b32_e32 v1, 0xff7fffff
	s_waitcnt lgkmcnt(0)
	s_barrier
	buffer_gl0_inv
	s_and_saveexec_b32 s2, s1
; %bb.252:
	ds_read_b32 v1, v15 offset:64
; %bb.253:
	s_or_b32 exec_lo, exec_lo, s2
	s_waitcnt lgkmcnt(0)
	ds_bpermute_b32 v4, v24, v1
	v_max_f32_e32 v1, v1, v1
	v_mov_b32_e32 v7, 0
	s_sub_i32 s2, s11, s15
	s_lshl_b32 s2, s2, 5
	s_add_i32 s2, s2, s33
	s_min_i32 s2, s2, s29
	s_sub_i32 s4, s2, s33
	v_cmp_gt_i32_e64 s2, s4, v0
	s_waitcnt lgkmcnt(0)
	v_max_f32_e32 v4, v4, v4
	v_max_f32_e32 v1, v1, v4
	ds_bpermute_b32 v4, v25, v1
	s_waitcnt lgkmcnt(0)
	v_max_f32_e32 v4, v4, v4
	v_max_f32_e32 v1, v1, v4
	v_lshl_add_u32 v4, v0, 2, 0x60
	ds_bpermute_b32 v1, v7, v1
	s_and_saveexec_b32 s5, s2
	s_cbranch_execz .LBB386_257
; %bb.254:
	v_lshl_add_u32 v8, v0, 2, 0x60
	v_mov_b32_e32 v7, 0
	v_mov_b32_e32 v11, v0
	s_mov_b32 s15, 0
	.p2align	6
.LBB386_255:                            ; =>This Inner Loop Header: Depth=1
	ds_read_b32 v12, v8
	v_add_nc_u32_e32 v11, 0x80, v11
	v_cmp_le_i32_e64 s3, s4, v11
	s_or_b32 s15, s3, s15
	s_waitcnt lgkmcnt(0)
	v_sub_f32_e32 v12, v12, v1
	v_mul_f32_e32 v12, 0x3fb8aa3b, v12
	v_exp_f32_e32 v12, v12
	ds_write_b32 v8, v12
	v_add_f32_e32 v7, v7, v12
	v_add_nc_u32_e32 v8, 0x200, v8
	s_andn2_b32 exec_lo, exec_lo, s15
	s_cbranch_execnz .LBB386_255
; %bb.256:
	s_or_b32 exec_lo, exec_lo, s15
.LBB386_257:
	s_or_b32 exec_lo, exec_lo, s5
	ds_bpermute_b32 v2, v2, v7
	s_waitcnt lgkmcnt(0)
	v_add_f32_e32 v2, v7, v2
	ds_bpermute_b32 v3, v3, v2
	s_waitcnt lgkmcnt(0)
	v_add_f32_e32 v2, v2, v3
	;; [unrolled: 3-line block ×5, first 2 shown]
	s_and_saveexec_b32 s3, vcc_lo
; %bb.258:
	ds_write_b32 v6, v2 offset:80
; %bb.259:
	s_or_b32 exec_lo, exec_lo, s3
	s_waitcnt lgkmcnt(0)
	s_barrier
	buffer_gl0_inv
	s_and_saveexec_b32 s3, s1
; %bb.260:
	ds_read_b32 v2, v15 offset:80
; %bb.261:
	s_or_b32 exec_lo, exec_lo, s3
	s_waitcnt lgkmcnt(0)
	ds_bpermute_b32 v3, v24, v2
	s_waitcnt lgkmcnt(0)
	v_add_f32_e32 v2, v2, v3
	ds_bpermute_b32 v3, v25, v2
	s_waitcnt lgkmcnt(0)
	v_add_f32_e32 v2, v2, v3
	v_mov_b32_e32 v3, 0
	ds_bpermute_b32 v2, v3, v2
	s_and_saveexec_b32 s1, s2
	s_cbranch_execz .LBB386_264
; %bb.262:
	s_waitcnt lgkmcnt(0)
	v_add_f32_e32 v3, 0x358637bd, v2
	s_mov_b32 s2, 0
	v_div_scale_f32 v5, null, v3, v3, 1.0
	v_div_scale_f32 v8, vcc_lo, 1.0, v3, 1.0
	v_rcp_f32_e32 v6, v5
	v_fma_f32 v7, -v5, v6, 1.0
	v_fmac_f32_e32 v6, v7, v6
	v_mul_f32_e32 v7, v8, v6
	v_fma_f32 v11, -v5, v7, v8
	v_fmac_f32_e32 v7, v11, v6
	v_fma_f32 v5, -v5, v7, v8
	v_div_fmas_f32 v5, v5, v6, v7
	v_div_fixup_f32 v3, v5, v3, 1.0
	v_mov_b32_e32 v5, v0
.LBB386_263:                            ; =>This Inner Loop Header: Depth=1
	ds_read_b32 v6, v4
	v_add_nc_u32_e32 v5, 0x80, v5
	v_cmp_le_i32_e32 vcc_lo, s4, v5
	s_or_b32 s2, vcc_lo, s2
	s_waitcnt lgkmcnt(0)
	v_mul_f32_e32 v6, v3, v6
	ds_write_b32 v4, v6
	v_add_nc_u32_e32 v4, 0x200, v4
	s_andn2_b32 exec_lo, exec_lo, s2
	s_cbranch_execnz .LBB386_263
.LBB386_264:
	s_or_b32 exec_lo, exec_lo, s1
	s_mul_i32 s1, s7, s28
	s_waitcnt lgkmcnt(0)
	s_mul_i32 s2, s1, s9
	s_mov_b32 s1, exec_lo
	s_barrier
	buffer_gl0_inv
	v_cmpx_eq_u32_e32 0, v0
	s_cbranch_execz .LBB386_266
; %bb.265:
	s_ashr_i32 s3, s2, 31
	s_mul_i32 s16, s7, s6
	s_lshl_b64 s[4:5], s[2:3], 2
	v_mov_b32_e32 v3, 0
	s_add_u32 s3, s22, s4
	s_addc_u32 s6, s23, s5
	s_ashr_i32 s17, s16, 31
	s_lshl_b64 s[16:17], s[16:17], 2
	s_add_u32 s3, s3, s16
	s_addc_u32 s6, s6, s17
	s_ashr_i32 s9, s8, 31
	s_lshl_b64 s[22:23], s[8:9], 2
	s_add_u32 s36, s3, s22
	s_addc_u32 s37, s6, s23
	s_add_u32 s3, s20, s4
	s_addc_u32 s4, s21, s5
	;; [unrolled: 2-line block ×4, first 2 shown]
	global_store_dword v3, v1, s[36:37]
	global_store_dword v3, v2, s[4:5]
.LBB386_266:
	s_or_b32 exec_lo, exec_lo, s1
	v_mov_b32_e32 v28, 0
	v_and_b32_e32 v26, 3, v0
	v_mov_b32_e32 v30, 0
	v_mov_b32_e32 v29, 0
	;; [unrolled: 1-line block ×3, first 2 shown]
	s_and_saveexec_b32 s1, s0
	s_cbranch_execz .LBB386_518
; %bb.267:
	v_lshlrev_b32_e32 v1, 3, v0
	s_load_dword s6, s[18:19], 0x0
	v_lshl_add_u32 v4, v22, 5, s33
	s_ashr_i32 s0, s14, 31
	s_add_u32 s4, s30, s14
	v_and_b32_e32 v2, 24, v1
	v_and_b32_e32 v1, 0xf8, v1
	v_lshlrev_b32_e32 v3, 5, v26
	s_addc_u32 s0, s31, s0
	s_add_i32 s9, s12, -1
	v_add3_u32 v31, v4, v2, 7
	v_add_co_u32 v12, s4, s4, v1
	v_lshlrev_b64 v[1:2], 2, v[9:10]
	v_add_co_ci_u32_e64 v13, null, s0, 0, s4
	s_lshl_b64 s[4:5], s[34:35], 2
	v_lshl_or_b32 v3, v22, 7, v3
	s_add_u32 s0, s26, s4
	s_addc_u32 s4, s27, s5
	v_add_co_u32 v14, vcc_lo, s0, v1
	v_mov_b32_e32 v11, 0
	v_add_nc_u32_e32 v32, 0x60, v3
	v_add_co_ci_u32_e64 v15, null, s4, v2, vcc_lo
	v_mov_b32_e32 v33, 0x80
	v_mov_b32_e32 v34, 0xffff
	;; [unrolled: 1-line block ×9, first 2 shown]
	s_mov_b32 s4, -1
	s_mov_b32 s3, s13
	s_mov_b32 s5, 0xffffff
	;; [unrolled: 1-line block ×3, first 2 shown]
	s_branch .LBB386_269
.LBB386_268:                            ;   in Loop: Header=BB386_269 Depth=1
	s_or_b32 exec_lo, exec_lo, s0
	v_bfe_u32 v46, v5, 16, 1
	v_bfe_u32 v47, v6, 16, 1
	v_or_b32_e32 v48, 0x400000, v5
	v_cmp_u_f32_e32 vcc_lo, v5, v5
	v_or_b32_e32 v49, 0x400000, v6
	v_add3_u32 v46, v46, v5, 0x7fff
	v_bfe_u32 v50, v7, 16, 1
	v_add3_u32 v47, v47, v6, 0x7fff
	v_bfe_u32 v51, v8, 16, 1
	v_lshlrev_b32_e32 v20, 16, v20
	v_cndmask_b32_e32 v5, v46, v48, vcc_lo
	v_cmp_u_f32_e32 vcc_lo, v6, v6
	v_add3_u32 v46, v50, v7, 0x7fff
	v_add3_u32 v48, v51, v8, 0x7fff
	v_bfe_u32 v50, v1, 16, 1
	v_and_b32_e32 v5, 0xffff0000, v5
	v_cndmask_b32_e32 v6, v47, v49, vcc_lo
	v_or_b32_e32 v47, 0x400000, v7
	v_cmp_u_f32_e32 vcc_lo, v7, v7
	v_or_b32_e32 v49, 0x400000, v8
	v_or_b32_e32 v51, 0x400000, v4
	v_lshlrev_b32_e32 v21, 16, v21
	v_lshlrev_b32_e32 v62, 16, v62
	v_cndmask_b32_e32 v7, v46, v47, vcc_lo
	v_cmp_u_f32_e32 vcc_lo, v8, v8
	v_bfe_u32 v46, v2, 16, 1
	v_add3_u32 v47, v50, v1, 0x7fff
	v_bfe_u32 v50, v3, 16, 1
	v_lshlrev_b32_e32 v58, 16, v58
	v_cndmask_b32_e32 v8, v48, v49, vcc_lo
	v_or_b32_e32 v48, 0x400000, v1
	v_cmp_u_f32_e32 vcc_lo, v1, v1
	v_add3_u32 v46, v46, v2, 0x7fff
	v_or_b32_e32 v49, 0x400000, v2
	v_and_b32_e32 v1, 0xffff0000, v6
	v_lshlrev_b32_e32 v6, 16, v66
	v_cndmask_b32_e32 v47, v47, v48, vcc_lo
	v_cmp_u_f32_e32 vcc_lo, v2, v2
	v_add3_u32 v2, v50, v3, 0x7fff
	v_bfe_u32 v48, v4, 16, 1
	v_or_b32_e32 v50, 0x400000, v3
	v_mul_f32_e32 v6, v1, v6
	v_cndmask_b32_e32 v46, v46, v49, vcc_lo
	v_lshlrev_b32_e32 v49, 16, v65
	v_cmp_u_f32_e32 vcc_lo, v3, v3
	v_add3_u32 v48, v48, v4, 0x7fff
	v_bfe_u32 v3, v6, 16, 1
	v_lshlrev_b32_e32 v45, 16, v45
	v_mul_f32_e32 v49, v5, v49
	v_cndmask_b32_e32 v50, v2, v50, vcc_lo
	v_cmp_u_f32_e32 vcc_lo, v4, v4
	v_and_b32_e32 v2, 0xffff0000, v8
	v_lshlrev_b32_e32 v8, 16, v63
	v_add3_u32 v3, v3, v6, 0x7fff
	v_or_b32_e32 v52, 0x400000, v49
	v_cndmask_b32_e32 v4, v48, v51, vcc_lo
	v_bfe_u32 v48, v49, 16, 1
	v_or_b32_e32 v51, 0x400000, v6
	v_mul_f32_e32 v63, v2, v8
	v_and_b32_e32 v8, 0xffff0000, v7
	v_lshlrev_b32_e32 v7, 16, v64
	v_cmp_u_f32_e32 vcc_lo, v6, v6
	v_add3_u32 v48, v48, v49, 0x7fff
	v_and_b32_e32 v6, 0xffff0000, v47
	v_or_b32_e32 v47, 0x400000, v63
	v_mul_f32_e32 v7, v8, v7
	v_cndmask_b32_e32 v51, v3, v51, vcc_lo
	v_cmp_u_f32_e32 vcc_lo, v49, v49
	v_bfe_u32 v49, v63, 16, 1
	v_and_b32_e32 v3, 0xffff0000, v46
	v_mul_f32_e32 v21, v6, v21
	v_and_b32_e32 v4, 0xffff0000, v4
	v_cndmask_b32_e32 v48, v48, v52, vcc_lo
	v_add3_u32 v46, v49, v63, 0x7fff
	v_bfe_u32 v49, v7, 16, 1
	v_mul_f32_e32 v20, v3, v20
	v_cmp_u_f32_e32 vcc_lo, v63, v63
	v_bfe_u32 v63, v21, 16, 1
	v_mul_f32_e32 v62, v4, v62
	v_and_b32_e32 v48, 0xffff0000, v48
	v_bfe_u32 v52, v20, 16, 1
	v_cndmask_b32_e32 v46, v46, v47, vcc_lo
	v_add3_u32 v47, v49, v7, 0x7fff
	v_or_b32_e32 v49, 0x400000, v7
	v_cmp_u_f32_e32 vcc_lo, v7, v7
	v_and_b32_e32 v7, 0xffff0000, v50
	v_lshlrev_b32_e32 v50, 16, v61
	v_add3_u32 v63, v63, v21, 0x7fff
	v_or_b32_e32 v61, 0x400000, v21
	v_cndmask_b32_e32 v47, v47, v49, vcc_lo
	v_add3_u32 v49, v52, v20, 0x7fff
	v_or_b32_e32 v52, 0x400000, v20
	v_cmp_u_f32_e32 vcc_lo, v20, v20
	v_bfe_u32 v64, v62, 16, 1
	v_and_b32_e32 v47, 0xffff0000, v47
	v_and_b32_e32 v46, 0xffff0000, v46
	;; [unrolled: 1-line block ×3, first 2 shown]
	v_cndmask_b32_e32 v20, v49, v52, vcc_lo
	v_mul_f32_e32 v49, v7, v50
	v_cmp_u_f32_e32 vcc_lo, v21, v21
	v_add3_u32 v50, v64, v62, 0x7fff
	v_or_b32_e32 v52, 0x400000, v62
	v_add_f32_e32 v46, v47, v46
	v_lshlrev_b32_e32 v47, 16, v60
	v_cndmask_b32_e32 v21, v63, v61, vcc_lo
	v_bfe_u32 v61, v49, 16, 1
	v_cmp_u_f32_e32 vcc_lo, v62, v62
	v_add_f32_e32 v48, v48, v51
	v_and_b32_e32 v20, 0xffff0000, v20
	v_and_b32_e32 v21, 0xffff0000, v21
	v_lshlrev_b32_e32 v51, 16, v59
	v_cndmask_b32_e32 v50, v50, v52, vcc_lo
	v_add3_u32 v52, v61, v49, 0x7fff
	v_or_b32_e32 v61, 0x400000, v49
	v_cmp_u_f32_e32 vcc_lo, v49, v49
	v_mul_f32_e32 v47, v1, v47
	v_add_f32_e32 v46, v46, v48
	v_add_f32_e32 v20, v21, v20
	v_mul_f32_e32 v48, v5, v51
	v_cndmask_b32_e32 v49, v52, v61, vcc_lo
	v_bfe_u32 v51, v47, 16, 1
	v_cmp_u_f32_e32 vcc_lo, v47, v47
	v_add_f32_e32 v20, v20, v46
	v_bfe_u32 v46, v48, 16, 1
	v_and_b32_e32 v21, 0xffff0000, v49
	v_and_b32_e32 v49, 0xffff0000, v50
	v_lshlrev_b32_e32 v50, 16, v56
	v_or_b32_e32 v52, 0x400000, v48
	v_add3_u32 v46, v46, v48, 0x7fff
	v_mul_f32_e32 v45, v1, v45
	v_add_f32_e32 v21, v21, v49
	v_mul_f32_e32 v49, v2, v50
	v_add3_u32 v50, v51, v47, 0x7fff
	v_or_b32_e32 v51, 0x400000, v47
	v_lshlrev_b32_e32 v44, 16, v44
	v_lshlrev_b32_e32 v41, 16, v41
	v_bfe_u32 v56, v49, 16, 1
	v_lshlrev_b32_e32 v43, 16, v43
	v_cndmask_b32_e32 v47, v50, v51, vcc_lo
	v_cmp_u_f32_e32 vcc_lo, v48, v48
	v_mul_f32_e32 v48, v8, v58
	v_add3_u32 v50, v56, v49, 0x7fff
	v_or_b32_e32 v51, 0x400000, v49
	v_and_b32_e32 v47, 0xffff0000, v47
	v_cndmask_b32_e32 v46, v46, v52, vcc_lo
	v_lshlrev_b32_e32 v52, 16, v53
	v_cmp_u_f32_e32 vcc_lo, v49, v49
	v_lshlrev_b32_e32 v53, 16, v54
	v_bfe_u32 v54, v48, 16, 1
	v_and_b32_e32 v46, 0xffff0000, v46
	v_mul_f32_e32 v44, v5, v44
	v_cndmask_b32_e32 v49, v50, v51, vcc_lo
	v_mul_f32_e32 v50, v3, v52
	v_mul_f32_e32 v51, v6, v53
	v_add3_u32 v52, v54, v48, 0x7fff
	v_or_b32_e32 v53, 0x400000, v48
	v_lshlrev_b32_e32 v54, 16, v57
	v_bfe_u32 v56, v50, 16, 1
	v_cmp_u_f32_e32 vcc_lo, v48, v48
	v_bfe_u32 v57, v51, 16, 1
	v_and_b32_e32 v49, 0xffff0000, v49
	v_add_f32_e32 v46, v46, v47
	v_mul_f32_e32 v41, v2, v41
	v_cndmask_b32_e32 v48, v52, v53, vcc_lo
	v_mul_f32_e32 v52, v4, v54
	v_add3_u32 v53, v56, v50, 0x7fff
	v_or_b32_e32 v54, 0x400000, v50
	v_cmp_u_f32_e32 vcc_lo, v50, v50
	v_add3_u32 v56, v57, v51, 0x7fff
	v_or_b32_e32 v57, 0x400000, v51
	v_bfe_u32 v58, v52, 16, 1
	v_and_b32_e32 v48, 0xffff0000, v48
	v_cndmask_b32_e32 v50, v53, v54, vcc_lo
	v_lshlrev_b32_e32 v53, 16, v55
	v_cmp_u_f32_e32 vcc_lo, v51, v51
	v_add3_u32 v54, v58, v52, 0x7fff
	v_or_b32_e32 v55, 0x400000, v52
	v_add_f32_e32 v47, v48, v49
	v_mul_f32_e32 v53, v7, v53
	v_cndmask_b32_e32 v51, v56, v57, vcc_lo
	v_cmp_u_f32_e32 vcc_lo, v52, v52
	v_and_b32_e32 v49, 0xffff0000, v50
	v_add_f32_e32 v46, v47, v46
	v_lshlrev_b32_e32 v39, 16, v39
	v_and_b32_e32 v48, 0xffff0000, v51
	v_cndmask_b32_e32 v52, v54, v55, vcc_lo
	v_bfe_u32 v54, v53, 16, 1
	v_or_b32_e32 v51, 0x400000, v53
	v_cmp_u_f32_e32 vcc_lo, v53, v53
	v_add_f32_e32 v47, v48, v49
	v_bfe_u32 v49, v45, 16, 1
	v_add3_u32 v50, v54, v53, 0x7fff
	v_mul_f32_e32 v43, v8, v43
	v_mul_f32_e32 v39, v3, v39
	v_add_f32_e32 v46, v47, v46
	v_lshlrev_b32_e32 v38, 16, v38
	v_cndmask_b32_e32 v48, v50, v51, vcc_lo
	v_bfe_u32 v51, v44, 16, 1
	v_cmp_u_f32_e32 vcc_lo, v45, v45
	v_and_b32_e32 v50, 0xffff0000, v52
	v_or_b32_e32 v52, 0x400000, v41
	v_and_b32_e32 v47, 0xffff0000, v48
	v_add3_u32 v48, v49, v45, 0x7fff
	v_or_b32_e32 v49, 0x400000, v45
	v_lshlrev_b32_e32 v42, 16, v42
	v_mul_f32_e32 v38, v6, v38
	v_lshlrev_b32_e32 v40, 16, v40
	v_lshlrev_b32_e32 v17, 16, v17
	v_cndmask_b32_e32 v45, v48, v49, vcc_lo
	v_bfe_u32 v48, v41, 16, 1
	v_add3_u32 v49, v51, v44, 0x7fff
	v_or_b32_e32 v51, 0x400000, v44
	v_cmp_u_f32_e32 vcc_lo, v44, v44
	v_mul_f32_e32 v42, v4, v42
	v_add3_u32 v48, v48, v41, 0x7fff
	v_mul_f32_e32 v40, v7, v40
	v_and_b32_e32 v45, 0xffff0000, v45
	v_cndmask_b32_e32 v44, v49, v51, vcc_lo
	v_bfe_u32 v49, v43, 16, 1
	v_cmp_u_f32_e32 vcc_lo, v41, v41
	v_or_b32_e32 v51, 0x400000, v43
	v_mul_f32_e32 v2, v2, v17
	v_and_b32_e32 v44, 0xffff0000, v44
	v_add3_u32 v49, v49, v43, 0x7fff
	v_cndmask_b32_e32 v41, v48, v52, vcc_lo
	v_bfe_u32 v48, v39, 16, 1
	v_cmp_u_f32_e32 vcc_lo, v43, v43
	v_or_b32_e32 v52, 0x400000, v39
	v_add_f32_e32 v44, v44, v45
	v_and_b32_e32 v41, 0xffff0000, v41
	v_add3_u32 v48, v48, v39, 0x7fff
	v_cndmask_b32_e32 v43, v49, v51, vcc_lo
	v_bfe_u32 v49, v38, 16, 1
	v_cmp_u_f32_e32 vcc_lo, v39, v39
	v_bfe_u32 v51, v42, 16, 1
	v_lshlrev_b32_e32 v16, 16, v16
	v_and_b32_e32 v43, 0xffff0000, v43
	v_lshlrev_b32_e32 v10, 16, v10
	v_cndmask_b32_e32 v39, v48, v52, vcc_lo
	v_add3_u32 v48, v49, v38, 0x7fff
	v_or_b32_e32 v49, 0x400000, v38
	v_cmp_u_f32_e32 vcc_lo, v38, v38
	v_add3_u32 v51, v51, v42, 0x7fff
	v_or_b32_e32 v52, 0x400000, v42
	v_add_f32_e32 v41, v43, v41
	v_and_b32_e32 v39, 0xffff0000, v39
	v_cndmask_b32_e32 v38, v48, v49, vcc_lo
	v_cmp_u_f32_e32 vcc_lo, v42, v42
	v_bfe_u32 v48, v40, 16, 1
	v_lshlrev_b32_e32 v43, 16, v68
	v_or_b32_e32 v49, 0x400000, v40
	v_and_b32_e32 v38, 0xffff0000, v38
	v_cndmask_b32_e32 v42, v51, v52, vcc_lo
	v_lshlrev_b32_e32 v51, 16, v69
	v_add3_u32 v48, v48, v40, 0x7fff
	v_cmp_u_f32_e32 vcc_lo, v40, v40
	v_add_f32_e32 v41, v41, v44
	v_add_f32_e32 v38, v38, v39
	v_mul_f32_e32 v5, v5, v51
	v_mul_f32_e32 v1, v1, v43
	v_lshlrev_b32_e32 v39, 16, v67
	v_cndmask_b32_e32 v40, v48, v49, vcc_lo
	v_mul_f32_e32 v6, v6, v16
	v_bfe_u32 v44, v5, 16, 1
	v_bfe_u32 v45, v1, 16, 1
	v_mul_f32_e32 v8, v8, v39
	v_cmp_u_f32_e32 vcc_lo, v5, v5
	v_mul_f32_e32 v3, v3, v10
	v_add3_u32 v43, v44, v5, 0x7fff
	v_or_b32_e32 v44, 0x400000, v5
	v_add3_u32 v39, v45, v1, 0x7fff
	v_lshlrev_b32_e32 v10, 16, v19
	v_lshlrev_b32_e32 v18, 16, v18
	v_and_b32_e32 v40, 0xffff0000, v40
	v_cndmask_b32_e32 v5, v43, v44, vcc_lo
	v_or_b32_e32 v43, 0x400000, v1
	v_bfe_u32 v44, v8, 16, 1
	v_cmp_u_f32_e32 vcc_lo, v1, v1
	v_mul_f32_e32 v7, v7, v10
	v_mul_f32_e32 v4, v4, v18
	v_or_b32_e32 v10, 0x400000, v6
	v_add3_u32 v17, v44, v8, 0x7fff
	v_cndmask_b32_e32 v1, v39, v43, vcc_lo
	v_or_b32_e32 v39, 0x400000, v8
	v_bfe_u32 v43, v2, 16, 1
	v_cmp_u_f32_e32 vcc_lo, v8, v8
	v_or_b32_e32 v18, 0x400000, v3
	v_bfe_u32 v19, v7, 16, 1
	v_and_b32_e32 v1, 0xffff0000, v1
	v_add3_u32 v16, v43, v2, 0x7fff
	v_cndmask_b32_e32 v8, v17, v39, vcc_lo
	v_or_b32_e32 v17, 0x400000, v2
	v_bfe_u32 v39, v6, 16, 1
	v_cmp_u_f32_e32 vcc_lo, v2, v2
	v_and_b32_e32 v5, 0xffff0000, v5
	v_and_b32_e32 v8, 0xffff0000, v8
	v_add_nc_u32_e32 v9, 4, v9
	v_add_co_u32 v14, s0, v14, 16
	v_cndmask_b32_e32 v2, v16, v17, vcc_lo
	v_bfe_u32 v16, v3, 16, 1
	v_add3_u32 v17, v39, v6, 0x7fff
	v_cmp_u_f32_e32 vcc_lo, v6, v6
	v_bfe_u32 v39, v4, 16, 1
	v_and_b32_e32 v2, 0xffff0000, v2
	v_add3_u32 v16, v16, v3, 0x7fff
	v_add_f32_e32 v1, v5, v1
	v_cndmask_b32_e32 v6, v17, v10, vcc_lo
	v_cmp_u_f32_e32 vcc_lo, v3, v3
	v_or_b32_e32 v17, 0x400000, v4
	v_add3_u32 v10, v19, v7, 0x7fff
	v_add_f32_e32 v2, v8, v2
	v_and_b32_e32 v5, 0xffff0000, v6
	v_cndmask_b32_e32 v3, v16, v18, vcc_lo
	v_add3_u32 v16, v39, v4, 0x7fff
	v_cmp_u_f32_e32 vcc_lo, v4, v4
	v_or_b32_e32 v18, 0x400000, v7
	v_add_f32_e32 v1, v2, v1
	v_and_b32_e32 v3, 0xffff0000, v3
	v_add_nc_u32_e32 v31, 0x80, v31
	v_cndmask_b32_e32 v4, v16, v17, vcc_lo
	v_cmp_u_f32_e32 vcc_lo, v7, v7
	v_and_b32_e32 v7, 0xffff0000, v42
	v_add_f32_e32 v2, v5, v3
	v_add_f32_e32 v5, v47, v50
	v_and_b32_e32 v3, 0xffff0000, v4
	v_cndmask_b32_e32 v6, v10, v18, vcc_lo
	v_add_f32_e32 v7, v40, v7
	v_add_f32_e32 v1, v2, v1
	v_cmp_le_i32_e32 vcc_lo, s11, v9
	v_add_nc_u32_e32 v32, 0x200, v32
	v_and_b32_e32 v4, 0xffff0000, v6
	v_add_f32_e32 v6, v38, v41
	v_add_co_ci_u32_e64 v15, null, 0, v15, s0
	s_or_b32 s12, vcc_lo, s12
	v_add_f32_e32 v2, v4, v3
	v_add_f32_e32 v3, v21, v20
	;; [unrolled: 1-line block ×9, first 2 shown]
	s_andn2_b32 exec_lo, exec_lo, s12
	s_cbranch_execz .LBB386_517
.LBB386_269:                            ; =>This Inner Loop Header: Depth=1
	global_load_dword v1, v[14:15], off
	v_mov_b32_e32 v40, 0
	s_waitcnt vmcnt(0)
	v_mad_i64_i32 v[16:17], null, v1, s3, v[12:13]
	global_load_dwordx2 v[18:19], v[16:17], off
	ds_read2_b64 v[5:8], v32 offset1:1
	ds_read2_b64 v[1:4], v32 offset0:2 offset1:3
	s_waitcnt vmcnt(0)
	v_cmp_ne_u16_sdwa s13, v18, v11 src0_sel:BYTE_0 src1_sel:DWORD
	s_and_saveexec_b32 s0, s13
	s_cbranch_execz .LBB386_275
; %bb.270:                              ;   in Loop: Header=BB386_269 Depth=1
	v_cmp_ne_u16_sdwa s14, v18, v33 src0_sel:BYTE_0 src1_sel:DWORD
	v_bfrev_b32_e32 v40, 1
	s_and_saveexec_b32 s13, s14
	s_cbranch_execz .LBB386_274
; %bb.271:                              ;   in Loop: Header=BB386_269 Depth=1
	v_and_b32_e32 v10, 0x7f, v18
	v_mov_b32_e32 v40, 0x7f800001
	s_mov_b32 s14, exec_lo
	v_cmpx_ne_u32_e32 0x7f, v10
	s_cbranch_execz .LBB386_273
; %bb.272:                              ;   in Loop: Header=BB386_269 Depth=1
	v_and_b32_e32 v20, 7, v18
	v_lshrrev_b32_e32 v21, 3, v10
	v_cmp_gt_u32_e32 vcc_lo, 8, v10
	v_ffbh_u32_e32 v20, v20
	v_min_u32_e32 v20, 32, v20
	v_subrev_nc_u32_e32 v38, 28, v20
	v_sub_nc_u32_e32 v20, 29, v20
	v_cndmask_b32_e32 v10, v21, v20, vcc_lo
	v_cndmask_b32_e32 v20, 0, v38, vcc_lo
	v_lshl_add_u32 v10, v10, 23, 0x3c000000
	v_lshlrev_b64 v[20:21], v20, v[18:19]
	v_lshlrev_b32_e32 v21, 24, v18
	v_lshlrev_b32_e32 v20, 20, v20
	v_and_b32_e32 v21, 0x80000000, v21
	v_and_b32_e32 v20, 0x700000, v20
	v_or3_b32 v40, v20, v21, v10
.LBB386_273:                            ;   in Loop: Header=BB386_269 Depth=1
	s_or_b32 exec_lo, exec_lo, s14
.LBB386_274:                            ;   in Loop: Header=BB386_269 Depth=1
	s_or_b32 exec_lo, exec_lo, s13
.LBB386_275:                            ;   in Loop: Header=BB386_269 Depth=1
	s_or_b32 exec_lo, exec_lo, s0
	v_cmp_ne_u16_sdwa s13, v18, v11 src0_sel:BYTE_1 src1_sel:DWORD
	v_mov_b32_e32 v39, 0
	v_mov_b32_e32 v38, 0
	s_and_saveexec_b32 s0, s13
	s_cbranch_execz .LBB386_283
; %bb.276:                              ;   in Loop: Header=BB386_269 Depth=1
	v_cmp_ne_u16_sdwa s14, v18, v33 src0_sel:BYTE_1 src1_sel:DWORD
	v_bfrev_b32_e32 v38, 1
	s_and_saveexec_b32 s13, s14
	s_cbranch_execz .LBB386_282
; %bb.277:                              ;   in Loop: Header=BB386_269 Depth=1
	v_and_b32_sdwa v10, v34, v18 dst_sel:DWORD dst_unused:UNUSED_PAD src0_sel:DWORD src1_sel:BYTE_1
	v_mov_b32_e32 v38, 0x7f800001
	s_mov_b32 s14, exec_lo
	v_and_b32_e32 v21, 0x7f, v10
	v_cmpx_ne_u32_e32 0x7f, v21
	s_cbranch_execz .LBB386_281
; %bb.278:                              ;   in Loop: Header=BB386_269 Depth=1
	v_and_b32_e32 v10, 7, v10
	v_lshrrev_b32_e32 v20, 3, v21
	s_mov_b32 s15, exec_lo
	v_cmpx_gt_u32_e32 8, v21
; %bb.279:                              ;   in Loop: Header=BB386_269 Depth=1
	v_ffbh_u32_e32 v20, v10
	v_min_u32_e32 v20, 32, v20
	v_subrev_nc_u32_e32 v21, 28, v20
	v_sub_nc_u32_e32 v20, 29, v20
	v_lshlrev_b64 v[41:42], v21, v[10:11]
	v_and_b32_e32 v10, 7, v41
; %bb.280:                              ;   in Loop: Header=BB386_269 Depth=1
	s_or_b32 exec_lo, exec_lo, s15
	v_lshlrev_b32_e32 v21, 16, v18
	v_lshlrev_b32_e32 v10, 20, v10
	v_lshl_add_u32 v20, v20, 23, 0x3c000000
	v_and_b32_e32 v21, 0x80000000, v21
	v_or3_b32 v38, v10, v21, v20
.LBB386_281:                            ;   in Loop: Header=BB386_269 Depth=1
	s_or_b32 exec_lo, exec_lo, s14
.LBB386_282:                            ;   in Loop: Header=BB386_269 Depth=1
	s_or_b32 exec_lo, exec_lo, s13
.LBB386_283:                            ;   in Loop: Header=BB386_269 Depth=1
	s_or_b32 exec_lo, exec_lo, s0
	v_and_b32_sdwa v10, v18, v35 dst_sel:DWORD dst_unused:UNUSED_PAD src0_sel:WORD_1 src1_sel:DWORD
	s_mov_b32 s0, exec_lo
	v_cmpx_ne_u16_e32 0, v10
	s_cbranch_execz .LBB386_291
; %bb.284:                              ;   in Loop: Header=BB386_269 Depth=1
	v_bfrev_b32_e32 v39, 1
	s_mov_b32 s13, exec_lo
	v_cmpx_ne_u16_e32 0x80, v10
	s_cbranch_execz .LBB386_290
; %bb.285:                              ;   in Loop: Header=BB386_269 Depth=1
	v_bfe_u32 v21, v18, 16, 7
	v_mov_b32_e32 v39, 0x7f800001
	s_mov_b32 s14, exec_lo
	v_cmpx_ne_u32_e32 0x7f, v21
	s_cbranch_execz .LBB386_289
; %bb.286:                              ;   in Loop: Header=BB386_269 Depth=1
	v_and_b32_sdwa v10, v18, v36 dst_sel:DWORD dst_unused:UNUSED_PAD src0_sel:WORD_1 src1_sel:DWORD
	v_lshrrev_b32_e32 v20, 3, v21
	s_mov_b32 s15, exec_lo
	v_cmpx_gt_u32_e32 8, v21
; %bb.287:                              ;   in Loop: Header=BB386_269 Depth=1
	v_ffbh_u32_e32 v20, v10
	v_min_u32_e32 v20, 32, v20
	v_subrev_nc_u32_e32 v21, 28, v20
	v_sub_nc_u32_e32 v20, 29, v20
	v_lshlrev_b64 v[41:42], v21, v[10:11]
	v_and_b32_e32 v10, 7, v41
; %bb.288:                              ;   in Loop: Header=BB386_269 Depth=1
	s_or_b32 exec_lo, exec_lo, s15
	v_lshlrev_b32_sdwa v21, v37, v18 dst_sel:DWORD dst_unused:UNUSED_PAD src0_sel:DWORD src1_sel:WORD_1
	v_lshlrev_b32_e32 v10, 20, v10
	v_lshl_add_u32 v20, v20, 23, 0x3c000000
	v_and_b32_e32 v21, 0x80000000, v21
	v_or3_b32 v39, v10, v21, v20
.LBB386_289:                            ;   in Loop: Header=BB386_269 Depth=1
	s_or_b32 exec_lo, exec_lo, s14
.LBB386_290:                            ;   in Loop: Header=BB386_269 Depth=1
	s_or_b32 exec_lo, exec_lo, s13
.LBB386_291:                            ;   in Loop: Header=BB386_269 Depth=1
	s_or_b32 exec_lo, exec_lo, s0
	v_mov_b32_e32 v41, 0
	v_mov_b32_e32 v42, 0
	s_mov_b32 s0, exec_lo
	v_cmpx_lt_u32_e32 0xffffff, v18
	s_cbranch_execz .LBB386_299
; %bb.292:                              ;   in Loop: Header=BB386_269 Depth=1
	v_cmp_ne_u32_sdwa s14, v18, v33 src0_sel:BYTE_3 src1_sel:DWORD
	v_bfrev_b32_e32 v42, 1
	s_and_saveexec_b32 s13, s14
	s_cbranch_execz .LBB386_298
; %bb.293:                              ;   in Loop: Header=BB386_269 Depth=1
	v_bfe_u32 v21, v18, 24, 7
	v_mov_b32_e32 v42, 0x7f800001
	s_mov_b32 s14, exec_lo
	v_cmpx_ne_u32_e32 0x7f, v21
	s_cbranch_execz .LBB386_297
; %bb.294:                              ;   in Loop: Header=BB386_269 Depth=1
	v_and_b32_sdwa v10, v18, v36 dst_sel:DWORD dst_unused:UNUSED_PAD src0_sel:BYTE_3 src1_sel:DWORD
	v_lshrrev_b32_e32 v20, 3, v21
	s_mov_b32 s15, exec_lo
	v_cmpx_gt_u32_e32 8, v21
; %bb.295:                              ;   in Loop: Header=BB386_269 Depth=1
	v_ffbh_u32_e32 v20, v10
	v_min_u32_e32 v20, 32, v20
	v_subrev_nc_u32_e32 v21, 28, v20
	v_sub_nc_u32_e32 v20, 29, v20
	v_lshlrev_b64 v[42:43], v21, v[10:11]
	v_and_b32_e32 v10, 7, v42
; %bb.296:                              ;   in Loop: Header=BB386_269 Depth=1
	s_or_b32 exec_lo, exec_lo, s15
	v_lshlrev_b32_sdwa v21, v37, v18 dst_sel:DWORD dst_unused:UNUSED_PAD src0_sel:DWORD src1_sel:BYTE_3
	v_lshlrev_b32_e32 v10, 20, v10
	v_lshl_add_u32 v20, v20, 23, 0x3c000000
	v_and_b32_e32 v21, 0x80000000, v21
	v_or3_b32 v42, v10, v21, v20
.LBB386_297:                            ;   in Loop: Header=BB386_269 Depth=1
	s_or_b32 exec_lo, exec_lo, s14
.LBB386_298:                            ;   in Loop: Header=BB386_269 Depth=1
	s_or_b32 exec_lo, exec_lo, s13
.LBB386_299:                            ;   in Loop: Header=BB386_269 Depth=1
	s_or_b32 exec_lo, exec_lo, s0
	v_mov_b32_e32 v10, v19
	v_cmp_ne_u16_sdwa s13, v19, v11 src0_sel:BYTE_0 src1_sel:DWORD
	s_and_saveexec_b32 s0, s13
	s_cbranch_execz .LBB386_305
; %bb.300:                              ;   in Loop: Header=BB386_269 Depth=1
	v_cmp_ne_u16_sdwa s14, v19, v33 src0_sel:BYTE_0 src1_sel:DWORD
	v_bfrev_b32_e32 v41, 1
	s_and_saveexec_b32 s13, s14
	s_cbranch_execz .LBB386_304
; %bb.301:                              ;   in Loop: Header=BB386_269 Depth=1
	v_and_b32_e32 v20, 0x7f, v19
	v_mov_b32_e32 v41, 0x7f800001
	s_mov_b32 s14, exec_lo
	v_cmpx_ne_u32_e32 0x7f, v20
	s_cbranch_execz .LBB386_303
; %bb.302:                              ;   in Loop: Header=BB386_269 Depth=1
	v_and_b32_e32 v21, 7, v19
	v_cmp_gt_u32_e32 vcc_lo, 8, v20
	v_lshrrev_b32_e32 v41, 3, v20
	v_ffbh_u32_e32 v21, v21
	v_min_u32_e32 v21, 32, v21
	v_subrev_nc_u32_e32 v43, 28, v21
	v_sub_nc_u32_e32 v21, 29, v21
	v_cndmask_b32_e32 v20, 0, v43, vcc_lo
	v_cndmask_b32_e32 v41, v41, v21, vcc_lo
	v_lshlrev_b64 v[20:21], v20, v[10:11]
	v_lshlrev_b32_e32 v21, 24, v10
	v_lshl_add_u32 v41, v41, 23, 0x3c000000
	v_lshlrev_b32_e32 v20, 20, v20
	v_and_b32_e32 v21, 0x80000000, v21
	v_and_b32_e32 v20, 0x700000, v20
	v_or3_b32 v41, v20, v21, v41
.LBB386_303:                            ;   in Loop: Header=BB386_269 Depth=1
	s_or_b32 exec_lo, exec_lo, s14
.LBB386_304:                            ;   in Loop: Header=BB386_269 Depth=1
	s_or_b32 exec_lo, exec_lo, s13
.LBB386_305:                            ;   in Loop: Header=BB386_269 Depth=1
	s_or_b32 exec_lo, exec_lo, s0
	v_cmp_ne_u16_sdwa s13, v10, v11 src0_sel:BYTE_1 src1_sel:DWORD
	v_mov_b32_e32 v43, 0
	v_mov_b32_e32 v20, 0
	s_and_saveexec_b32 s0, s13
	s_cbranch_execz .LBB386_313
; %bb.306:                              ;   in Loop: Header=BB386_269 Depth=1
	v_cmp_ne_u16_sdwa s14, v10, v33 src0_sel:BYTE_1 src1_sel:DWORD
	v_bfrev_b32_e32 v20, 1
	s_and_saveexec_b32 s13, s14
	s_cbranch_execz .LBB386_312
; %bb.307:                              ;   in Loop: Header=BB386_269 Depth=1
	v_and_b32_sdwa v21, v34, v10 dst_sel:DWORD dst_unused:UNUSED_PAD src0_sel:DWORD src1_sel:BYTE_1
	v_mov_b32_e32 v20, 0x7f800001
	s_mov_b32 s14, exec_lo
	v_and_b32_e32 v45, 0x7f, v21
	v_cmpx_ne_u32_e32 0x7f, v45
	s_cbranch_execz .LBB386_311
; %bb.308:                              ;   in Loop: Header=BB386_269 Depth=1
	v_and_b32_e32 v20, 7, v21
	v_mov_b32_e32 v21, v11
	v_lshrrev_b32_e32 v44, 3, v45
	s_mov_b32 s15, exec_lo
	v_cmpx_gt_u32_e32 8, v45
; %bb.309:                              ;   in Loop: Header=BB386_269 Depth=1
	v_ffbh_u32_e32 v44, v20
	v_min_u32_e32 v44, 32, v44
	v_subrev_nc_u32_e32 v45, 28, v44
	v_sub_nc_u32_e32 v44, 29, v44
	v_lshlrev_b64 v[20:21], v45, v[20:21]
	v_and_b32_e32 v20, 7, v20
; %bb.310:                              ;   in Loop: Header=BB386_269 Depth=1
	s_or_b32 exec_lo, exec_lo, s15
	v_lshlrev_b32_e32 v10, 16, v10
	v_lshlrev_b32_e32 v20, 20, v20
	v_lshl_add_u32 v21, v44, 23, 0x3c000000
	v_and_b32_e32 v10, 0x80000000, v10
	v_or3_b32 v20, v20, v10, v21
.LBB386_311:                            ;   in Loop: Header=BB386_269 Depth=1
	s_or_b32 exec_lo, exec_lo, s14
.LBB386_312:                            ;   in Loop: Header=BB386_269 Depth=1
	s_or_b32 exec_lo, exec_lo, s13
.LBB386_313:                            ;   in Loop: Header=BB386_269 Depth=1
	s_or_b32 exec_lo, exec_lo, s0
	v_and_b32_sdwa v10, v19, v35 dst_sel:DWORD dst_unused:UNUSED_PAD src0_sel:WORD_1 src1_sel:DWORD
	s_mov_b32 s0, exec_lo
	v_cmpx_ne_u16_e32 0, v10
	s_cbranch_execz .LBB386_321
; %bb.314:                              ;   in Loop: Header=BB386_269 Depth=1
	v_bfrev_b32_e32 v43, 1
	s_mov_b32 s13, exec_lo
	v_cmpx_ne_u16_e32 0x80, v10
	s_cbranch_execz .LBB386_320
; %bb.315:                              ;   in Loop: Header=BB386_269 Depth=1
	v_bfe_u32 v44, v19, 16, 7
	v_mov_b32_e32 v43, 0x7f800001
	s_mov_b32 s14, exec_lo
	v_cmpx_ne_u32_e32 0x7f, v44
	s_cbranch_execz .LBB386_319
; %bb.316:                              ;   in Loop: Header=BB386_269 Depth=1
	v_and_b32_sdwa v10, v19, v36 dst_sel:DWORD dst_unused:UNUSED_PAD src0_sel:WORD_1 src1_sel:DWORD
	v_lshrrev_b32_e32 v21, 3, v44
	s_mov_b32 s15, exec_lo
	v_cmpx_gt_u32_e32 8, v44
; %bb.317:                              ;   in Loop: Header=BB386_269 Depth=1
	v_ffbh_u32_e32 v21, v10
	v_min_u32_e32 v21, 32, v21
	v_subrev_nc_u32_e32 v43, 28, v21
	v_sub_nc_u32_e32 v21, 29, v21
	v_lshlrev_b64 v[43:44], v43, v[10:11]
	v_and_b32_e32 v10, 7, v43
; %bb.318:                              ;   in Loop: Header=BB386_269 Depth=1
	s_or_b32 exec_lo, exec_lo, s15
	v_lshlrev_b32_sdwa v43, v37, v19 dst_sel:DWORD dst_unused:UNUSED_PAD src0_sel:DWORD src1_sel:WORD_1
	v_lshlrev_b32_e32 v10, 20, v10
	v_lshl_add_u32 v21, v21, 23, 0x3c000000
	v_and_b32_e32 v43, 0x80000000, v43
	v_or3_b32 v43, v10, v43, v21
.LBB386_319:                            ;   in Loop: Header=BB386_269 Depth=1
	s_or_b32 exec_lo, exec_lo, s14
.LBB386_320:                            ;   in Loop: Header=BB386_269 Depth=1
	s_or_b32 exec_lo, exec_lo, s13
.LBB386_321:                            ;   in Loop: Header=BB386_269 Depth=1
	s_or_b32 exec_lo, exec_lo, s0
	v_mov_b32_e32 v10, 0
	s_mov_b32 s0, exec_lo
	v_cmpx_lt_u64_e64 s[4:5], v[18:19]
	s_cbranch_execz .LBB386_329
; %bb.322:                              ;   in Loop: Header=BB386_269 Depth=1
	v_cmp_ne_u32_sdwa s14, v19, v33 src0_sel:BYTE_3 src1_sel:DWORD
	v_bfrev_b32_e32 v10, 1
	s_and_saveexec_b32 s13, s14
	s_cbranch_execz .LBB386_328
; %bb.323:                              ;   in Loop: Header=BB386_269 Depth=1
	v_bfe_u32 v21, v19, 24, 7
	v_mov_b32_e32 v10, 0x7f800001
	s_mov_b32 s14, exec_lo
	v_cmpx_ne_u32_e32 0x7f, v21
	s_cbranch_execz .LBB386_327
; %bb.324:                              ;   in Loop: Header=BB386_269 Depth=1
	v_and_b32_sdwa v10, v19, v36 dst_sel:DWORD dst_unused:UNUSED_PAD src0_sel:BYTE_3 src1_sel:DWORD
	v_lshrrev_b32_e32 v18, 3, v21
	s_mov_b32 s15, exec_lo
	v_cmpx_gt_u32_e32 8, v21
; %bb.325:                              ;   in Loop: Header=BB386_269 Depth=1
	v_ffbh_u32_e32 v18, v10
	v_min_u32_e32 v18, 32, v18
	v_subrev_nc_u32_e32 v21, 28, v18
	v_sub_nc_u32_e32 v18, 29, v18
	v_lshlrev_b64 v[44:45], v21, v[10:11]
	v_and_b32_e32 v10, 7, v44
; %bb.326:                              ;   in Loop: Header=BB386_269 Depth=1
	s_or_b32 exec_lo, exec_lo, s15
	v_lshlrev_b32_sdwa v19, v37, v19 dst_sel:DWORD dst_unused:UNUSED_PAD src0_sel:DWORD src1_sel:BYTE_3
	v_lshlrev_b32_e32 v10, 20, v10
	v_lshl_add_u32 v18, v18, 23, 0x3c000000
	v_and_b32_e32 v19, 0x80000000, v19
	v_or3_b32 v10, v10, v19, v18
.LBB386_327:                            ;   in Loop: Header=BB386_269 Depth=1
	s_or_b32 exec_lo, exec_lo, s14
.LBB386_328:                            ;   in Loop: Header=BB386_269 Depth=1
	s_or_b32 exec_lo, exec_lo, s13
.LBB386_329:                            ;   in Loop: Header=BB386_269 Depth=1
	s_or_b32 exec_lo, exec_lo, s0
	s_waitcnt lgkmcnt(0)
	v_mul_f32_e32 v18, s6, v20
	v_mul_f32_e32 v19, s6, v41
	;; [unrolled: 1-line block ×5, first 2 shown]
	v_bfe_u32 v21, v18, 16, 1
	v_or_b32_e32 v39, 0x400000, v18
	v_bfe_u32 v41, v19, 16, 1
	v_cmp_u_f32_e64 s0, v18, v18
	v_or_b32_e32 v44, 0x400000, v19
	v_add3_u32 v21, v21, v18, 0x7fff
	v_bfe_u32 v45, v20, 16, 1
	v_add3_u32 v41, v41, v19, 0x7fff
	v_or_b32_e32 v47, 0x400000, v20
	v_add_nc_u32_e32 v46, -7, v31
	v_cndmask_b32_e64 v18, v21, v39, s0
	v_cmp_u_f32_e64 s0, v19, v19
	v_bfe_u32 v21, v42, 16, 1
	v_add3_u32 v45, v45, v20, 0x7fff
	v_cmp_eq_u32_e32 vcc_lo, s9, v9
	v_lshrrev_b32_e32 v39, 16, v18
	v_cndmask_b32_e64 v19, v41, v44, s0
	v_cmp_u_f32_e64 s0, v20, v20
	v_mul_f32_e32 v20, s6, v38
	v_add3_u32 v21, v21, v42, 0x7fff
	v_or_b32_e32 v44, 0x400000, v42
	v_lshrrev_b32_e32 v38, 16, v19
	v_cndmask_b32_e64 v18, v45, v47, s0
	v_cmp_u_f32_e64 s0, v42, v42
	v_or_b32_e32 v42, 0x400000, v20
	v_or_b32_e32 v47, 0x400000, v10
	v_add_nc_u32_e32 v52, -6, v31
	v_lshrrev_b32_e32 v41, 16, v18
	v_bfe_u32 v18, v20, 16, 1
	v_cndmask_b32_e64 v19, v21, v44, s0
	v_mul_f32_e32 v21, s6, v40
	v_mul_f32_e32 v40, s6, v43
	v_cmp_u_f32_e64 s0, v20, v20
	v_add3_u32 v18, v18, v20, 0x7fff
	v_bfe_u32 v20, v10, 16, 1
	v_bfe_u32 v43, v21, 16, 1
	;; [unrolled: 1-line block ×3, first 2 shown]
	v_or_b32_e32 v45, 0x400000, v40
	v_cndmask_b32_e64 v18, v18, v42, s0
	v_cmp_u_f32_e64 s0, v21, v21
	v_add3_u32 v42, v43, v21, 0x7fff
	v_or_b32_e32 v43, 0x400000, v21
	v_add3_u32 v44, v44, v40, 0x7fff
	v_add3_u32 v20, v20, v10, 0x7fff
	v_add_nc_u32_e32 v51, -5, v31
	v_add_nc_u32_e32 v50, -4, v31
	v_cndmask_b32_e64 v21, v42, v43, s0
	v_cmp_u_f32_e64 s0, v40, v40
	v_lshrrev_b32_e32 v43, 16, v19
	v_add_nc_u32_e32 v49, -3, v31
	v_add_nc_u32_e32 v48, -2, v31
	v_cndmask_b32_e64 v40, v44, v45, s0
	v_cmp_u_f32_e64 s0, v10, v10
	v_lshrrev_b32_e32 v45, 16, v18
	v_lshrrev_b32_e32 v44, 16, v21
	;; [unrolled: 1-line block ×3, first 2 shown]
	v_cndmask_b32_e64 v10, v20, v47, s0
	v_add_nc_u32_e32 v47, -1, v31
	v_lshrrev_b32_e32 v42, 16, v10
	s_and_saveexec_b32 s13, vcc_lo
	s_cbranch_execz .LBB386_331
; %bb.330:                              ;   in Loop: Header=BB386_269 Depth=1
	v_cmp_gt_i32_e64 s0, s29, v46
	v_cndmask_b32_e64 v44, 0, v44, s0
	v_cmp_gt_i32_e64 s0, s29, v52
	v_cndmask_b32_e64 v45, 0, v45, s0
	;; [unrolled: 2-line block ×8, first 2 shown]
.LBB386_331:                            ;   in Loop: Header=BB386_269 Depth=1
	s_or_b32 exec_lo, exec_lo, s13
	global_load_dwordx2 v[18:19], v[16:17], off offset:256
	v_mov_b32_e32 v54, 0
	v_mov_b32_e32 v55, 0
	s_waitcnt vmcnt(0)
	v_cmp_ne_u16_sdwa s0, v18, v11 src0_sel:BYTE_0 src1_sel:DWORD
	s_and_saveexec_b32 s13, s0
	s_cbranch_execz .LBB386_337
; %bb.332:                              ;   in Loop: Header=BB386_269 Depth=1
	v_cmp_ne_u16_sdwa s0, v18, v33 src0_sel:BYTE_0 src1_sel:DWORD
	v_bfrev_b32_e32 v55, 1
	s_and_saveexec_b32 s14, s0
	s_cbranch_execz .LBB386_336
; %bb.333:                              ;   in Loop: Header=BB386_269 Depth=1
	v_and_b32_e32 v10, 0x7f, v18
	v_mov_b32_e32 v55, 0x7f800001
	s_mov_b32 s15, exec_lo
	v_cmpx_ne_u32_e32 0x7f, v10
	s_cbranch_execz .LBB386_335
; %bb.334:                              ;   in Loop: Header=BB386_269 Depth=1
	v_and_b32_e32 v20, 7, v18
	v_lshrrev_b32_e32 v21, 3, v10
	v_cmp_gt_u32_e64 s0, 8, v10
	v_ffbh_u32_e32 v20, v20
	v_min_u32_e32 v20, 32, v20
	v_subrev_nc_u32_e32 v53, 28, v20
	v_sub_nc_u32_e32 v20, 29, v20
	v_cndmask_b32_e64 v10, v21, v20, s0
	v_cndmask_b32_e64 v20, 0, v53, s0
	v_lshl_add_u32 v10, v10, 23, 0x3c000000
	v_lshlrev_b64 v[20:21], v20, v[18:19]
	v_lshlrev_b32_e32 v21, 24, v18
	v_lshlrev_b32_e32 v20, 20, v20
	v_and_b32_e32 v21, 0x80000000, v21
	v_and_b32_e32 v20, 0x700000, v20
	v_or3_b32 v55, v20, v21, v10
.LBB386_335:                            ;   in Loop: Header=BB386_269 Depth=1
	s_or_b32 exec_lo, exec_lo, s15
.LBB386_336:                            ;   in Loop: Header=BB386_269 Depth=1
	s_or_b32 exec_lo, exec_lo, s14
.LBB386_337:                            ;   in Loop: Header=BB386_269 Depth=1
	s_or_b32 exec_lo, exec_lo, s13
	v_cmp_ne_u16_sdwa s0, v18, v11 src0_sel:BYTE_1 src1_sel:DWORD
	s_and_saveexec_b32 s13, s0
	s_cbranch_execz .LBB386_345
; %bb.338:                              ;   in Loop: Header=BB386_269 Depth=1
	v_cmp_ne_u16_sdwa s0, v18, v33 src0_sel:BYTE_1 src1_sel:DWORD
	v_bfrev_b32_e32 v54, 1
	s_and_saveexec_b32 s14, s0
	s_cbranch_execz .LBB386_344
; %bb.339:                              ;   in Loop: Header=BB386_269 Depth=1
	v_and_b32_sdwa v10, v34, v18 dst_sel:DWORD dst_unused:UNUSED_PAD src0_sel:DWORD src1_sel:BYTE_1
	v_mov_b32_e32 v54, 0x7f800001
	s_mov_b32 s15, exec_lo
	v_and_b32_e32 v21, 0x7f, v10
	v_cmpx_ne_u32_e32 0x7f, v21
	s_cbranch_execz .LBB386_343
; %bb.340:                              ;   in Loop: Header=BB386_269 Depth=1
	v_and_b32_e32 v10, 7, v10
	v_lshrrev_b32_e32 v20, 3, v21
	s_mov_b32 s16, exec_lo
	v_cmpx_gt_u32_e32 8, v21
; %bb.341:                              ;   in Loop: Header=BB386_269 Depth=1
	v_ffbh_u32_e32 v20, v10
	v_min_u32_e32 v20, 32, v20
	v_subrev_nc_u32_e32 v21, 28, v20
	v_sub_nc_u32_e32 v20, 29, v20
	v_lshlrev_b64 v[53:54], v21, v[10:11]
	v_and_b32_e32 v10, 7, v53
; %bb.342:                              ;   in Loop: Header=BB386_269 Depth=1
	s_or_b32 exec_lo, exec_lo, s16
	v_lshlrev_b32_e32 v21, 16, v18
	v_lshlrev_b32_e32 v10, 20, v10
	v_lshl_add_u32 v20, v20, 23, 0x3c000000
	v_and_b32_e32 v21, 0x80000000, v21
	v_or3_b32 v54, v10, v21, v20
.LBB386_343:                            ;   in Loop: Header=BB386_269 Depth=1
	s_or_b32 exec_lo, exec_lo, s15
.LBB386_344:                            ;   in Loop: Header=BB386_269 Depth=1
	s_or_b32 exec_lo, exec_lo, s14
.LBB386_345:                            ;   in Loop: Header=BB386_269 Depth=1
	s_or_b32 exec_lo, exec_lo, s13
	v_and_b32_sdwa v10, v18, v35 dst_sel:DWORD dst_unused:UNUSED_PAD src0_sel:WORD_1 src1_sel:DWORD
	v_mov_b32_e32 v56, 0
	v_mov_b32_e32 v53, 0
	s_mov_b32 s13, exec_lo
	v_cmpx_ne_u16_e32 0, v10
	s_cbranch_execz .LBB386_353
; %bb.346:                              ;   in Loop: Header=BB386_269 Depth=1
	v_bfrev_b32_e32 v53, 1
	s_mov_b32 s14, exec_lo
	v_cmpx_ne_u16_e32 0x80, v10
	s_cbranch_execz .LBB386_352
; %bb.347:                              ;   in Loop: Header=BB386_269 Depth=1
	v_bfe_u32 v21, v18, 16, 7
	v_mov_b32_e32 v53, 0x7f800001
	s_mov_b32 s15, exec_lo
	v_cmpx_ne_u32_e32 0x7f, v21
	s_cbranch_execz .LBB386_351
; %bb.348:                              ;   in Loop: Header=BB386_269 Depth=1
	v_and_b32_sdwa v10, v18, v36 dst_sel:DWORD dst_unused:UNUSED_PAD src0_sel:WORD_1 src1_sel:DWORD
	v_lshrrev_b32_e32 v20, 3, v21
	s_mov_b32 s16, exec_lo
	v_cmpx_gt_u32_e32 8, v21
; %bb.349:                              ;   in Loop: Header=BB386_269 Depth=1
	v_ffbh_u32_e32 v20, v10
	v_min_u32_e32 v20, 32, v20
	v_subrev_nc_u32_e32 v21, 28, v20
	v_sub_nc_u32_e32 v20, 29, v20
	v_lshlrev_b64 v[57:58], v21, v[10:11]
	v_and_b32_e32 v10, 7, v57
; %bb.350:                              ;   in Loop: Header=BB386_269 Depth=1
	s_or_b32 exec_lo, exec_lo, s16
	v_lshlrev_b32_sdwa v21, v37, v18 dst_sel:DWORD dst_unused:UNUSED_PAD src0_sel:DWORD src1_sel:WORD_1
	v_lshlrev_b32_e32 v10, 20, v10
	v_lshl_add_u32 v20, v20, 23, 0x3c000000
	v_and_b32_e32 v21, 0x80000000, v21
	v_or3_b32 v53, v10, v21, v20
.LBB386_351:                            ;   in Loop: Header=BB386_269 Depth=1
	s_or_b32 exec_lo, exec_lo, s15
.LBB386_352:                            ;   in Loop: Header=BB386_269 Depth=1
	s_or_b32 exec_lo, exec_lo, s14
.LBB386_353:                            ;   in Loop: Header=BB386_269 Depth=1
	s_or_b32 exec_lo, exec_lo, s13
	s_mov_b32 s13, exec_lo
	v_cmpx_lt_u32_e32 0xffffff, v18
	s_cbranch_execz .LBB386_361
; %bb.354:                              ;   in Loop: Header=BB386_269 Depth=1
	v_cmp_ne_u32_sdwa s0, v18, v33 src0_sel:BYTE_3 src1_sel:DWORD
	v_bfrev_b32_e32 v56, 1
	s_and_saveexec_b32 s14, s0
	s_cbranch_execz .LBB386_360
; %bb.355:                              ;   in Loop: Header=BB386_269 Depth=1
	v_bfe_u32 v21, v18, 24, 7
	v_mov_b32_e32 v56, 0x7f800001
	s_mov_b32 s15, exec_lo
	v_cmpx_ne_u32_e32 0x7f, v21
	s_cbranch_execz .LBB386_359
; %bb.356:                              ;   in Loop: Header=BB386_269 Depth=1
	v_and_b32_sdwa v10, v18, v36 dst_sel:DWORD dst_unused:UNUSED_PAD src0_sel:BYTE_3 src1_sel:DWORD
	v_lshrrev_b32_e32 v20, 3, v21
	s_mov_b32 s16, exec_lo
	v_cmpx_gt_u32_e32 8, v21
; %bb.357:                              ;   in Loop: Header=BB386_269 Depth=1
	v_ffbh_u32_e32 v20, v10
	v_min_u32_e32 v20, 32, v20
	v_subrev_nc_u32_e32 v21, 28, v20
	v_sub_nc_u32_e32 v20, 29, v20
	v_lshlrev_b64 v[56:57], v21, v[10:11]
	v_and_b32_e32 v10, 7, v56
; %bb.358:                              ;   in Loop: Header=BB386_269 Depth=1
	s_or_b32 exec_lo, exec_lo, s16
	v_lshlrev_b32_sdwa v21, v37, v18 dst_sel:DWORD dst_unused:UNUSED_PAD src0_sel:DWORD src1_sel:BYTE_3
	v_lshlrev_b32_e32 v10, 20, v10
	v_lshl_add_u32 v20, v20, 23, 0x3c000000
	v_and_b32_e32 v21, 0x80000000, v21
	v_or3_b32 v56, v10, v21, v20
.LBB386_359:                            ;   in Loop: Header=BB386_269 Depth=1
	s_or_b32 exec_lo, exec_lo, s15
.LBB386_360:                            ;   in Loop: Header=BB386_269 Depth=1
	s_or_b32 exec_lo, exec_lo, s14
.LBB386_361:                            ;   in Loop: Header=BB386_269 Depth=1
	s_or_b32 exec_lo, exec_lo, s13
	v_mov_b32_e32 v10, v19
	v_cmp_ne_u16_sdwa s0, v19, v11 src0_sel:BYTE_0 src1_sel:DWORD
	v_mov_b32_e32 v20, 0
	v_mov_b32_e32 v57, 0
	s_and_saveexec_b32 s13, s0
	s_cbranch_execz .LBB386_367
; %bb.362:                              ;   in Loop: Header=BB386_269 Depth=1
	v_cmp_ne_u16_sdwa s0, v19, v33 src0_sel:BYTE_0 src1_sel:DWORD
	v_bfrev_b32_e32 v57, 1
	s_and_saveexec_b32 s14, s0
	s_cbranch_execz .LBB386_366
; %bb.363:                              ;   in Loop: Header=BB386_269 Depth=1
	v_and_b32_e32 v21, 0x7f, v19
	v_mov_b32_e32 v57, 0x7f800001
	s_mov_b32 s15, exec_lo
	v_cmpx_ne_u32_e32 0x7f, v21
	s_cbranch_execz .LBB386_365
; %bb.364:                              ;   in Loop: Header=BB386_269 Depth=1
	v_and_b32_e32 v57, 7, v19
	v_lshrrev_b32_e32 v58, 3, v21
	v_cmp_gt_u32_e64 s0, 8, v21
	v_ffbh_u32_e32 v57, v57
	v_min_u32_e32 v57, 32, v57
	v_subrev_nc_u32_e32 v59, 28, v57
	v_sub_nc_u32_e32 v57, 29, v57
	v_cndmask_b32_e64 v21, v58, v57, s0
	v_cndmask_b32_e64 v57, 0, v59, s0
	v_lshl_add_u32 v21, v21, 23, 0x3c000000
	v_lshlrev_b64 v[57:58], v57, v[10:11]
	v_lshlrev_b32_e32 v58, 24, v10
	v_lshlrev_b32_e32 v57, 20, v57
	v_and_b32_e32 v58, 0x80000000, v58
	v_and_b32_e32 v57, 0x700000, v57
	v_or3_b32 v57, v57, v58, v21
.LBB386_365:                            ;   in Loop: Header=BB386_269 Depth=1
	s_or_b32 exec_lo, exec_lo, s15
.LBB386_366:                            ;   in Loop: Header=BB386_269 Depth=1
	s_or_b32 exec_lo, exec_lo, s14
.LBB386_367:                            ;   in Loop: Header=BB386_269 Depth=1
	s_or_b32 exec_lo, exec_lo, s13
	v_cmp_ne_u16_sdwa s0, v10, v11 src0_sel:BYTE_1 src1_sel:DWORD
	s_and_saveexec_b32 s13, s0
	s_cbranch_execz .LBB386_375
; %bb.368:                              ;   in Loop: Header=BB386_269 Depth=1
	v_cmp_ne_u16_sdwa s0, v10, v33 src0_sel:BYTE_1 src1_sel:DWORD
	v_bfrev_b32_e32 v20, 1
	s_and_saveexec_b32 s14, s0
	s_cbranch_execz .LBB386_374
; %bb.369:                              ;   in Loop: Header=BB386_269 Depth=1
	v_and_b32_sdwa v21, v34, v10 dst_sel:DWORD dst_unused:UNUSED_PAD src0_sel:DWORD src1_sel:BYTE_1
	v_mov_b32_e32 v20, 0x7f800001
	s_mov_b32 s15, exec_lo
	v_and_b32_e32 v59, 0x7f, v21
	v_cmpx_ne_u32_e32 0x7f, v59
	s_cbranch_execz .LBB386_373
; %bb.370:                              ;   in Loop: Header=BB386_269 Depth=1
	v_and_b32_e32 v20, 7, v21
	v_mov_b32_e32 v21, v11
	v_lshrrev_b32_e32 v58, 3, v59
	s_mov_b32 s16, exec_lo
	v_cmpx_gt_u32_e32 8, v59
; %bb.371:                              ;   in Loop: Header=BB386_269 Depth=1
	v_ffbh_u32_e32 v58, v20
	v_min_u32_e32 v58, 32, v58
	v_subrev_nc_u32_e32 v59, 28, v58
	v_sub_nc_u32_e32 v58, 29, v58
	v_lshlrev_b64 v[20:21], v59, v[20:21]
	v_and_b32_e32 v20, 7, v20
; %bb.372:                              ;   in Loop: Header=BB386_269 Depth=1
	s_or_b32 exec_lo, exec_lo, s16
	v_lshlrev_b32_e32 v10, 16, v10
	v_lshlrev_b32_e32 v20, 20, v20
	v_lshl_add_u32 v21, v58, 23, 0x3c000000
	v_and_b32_e32 v10, 0x80000000, v10
	v_or3_b32 v20, v20, v10, v21
.LBB386_373:                            ;   in Loop: Header=BB386_269 Depth=1
	s_or_b32 exec_lo, exec_lo, s15
.LBB386_374:                            ;   in Loop: Header=BB386_269 Depth=1
	s_or_b32 exec_lo, exec_lo, s14
.LBB386_375:                            ;   in Loop: Header=BB386_269 Depth=1
	s_or_b32 exec_lo, exec_lo, s13
	v_and_b32_sdwa v10, v19, v35 dst_sel:DWORD dst_unused:UNUSED_PAD src0_sel:WORD_1 src1_sel:DWORD
	v_mov_b32_e32 v21, 0
	v_mov_b32_e32 v58, 0
	s_mov_b32 s13, exec_lo
	v_cmpx_ne_u16_e32 0, v10
	s_cbranch_execz .LBB386_383
; %bb.376:                              ;   in Loop: Header=BB386_269 Depth=1
	v_bfrev_b32_e32 v58, 1
	s_mov_b32 s14, exec_lo
	v_cmpx_ne_u16_e32 0x80, v10
	s_cbranch_execz .LBB386_382
; %bb.377:                              ;   in Loop: Header=BB386_269 Depth=1
	v_bfe_u32 v59, v19, 16, 7
	v_mov_b32_e32 v58, 0x7f800001
	s_mov_b32 s15, exec_lo
	v_cmpx_ne_u32_e32 0x7f, v59
	s_cbranch_execz .LBB386_381
; %bb.378:                              ;   in Loop: Header=BB386_269 Depth=1
	v_and_b32_sdwa v10, v19, v36 dst_sel:DWORD dst_unused:UNUSED_PAD src0_sel:WORD_1 src1_sel:DWORD
	v_lshrrev_b32_e32 v58, 3, v59
	s_mov_b32 s16, exec_lo
	v_cmpx_gt_u32_e32 8, v59
; %bb.379:                              ;   in Loop: Header=BB386_269 Depth=1
	v_ffbh_u32_e32 v58, v10
	v_min_u32_e32 v58, 32, v58
	v_subrev_nc_u32_e32 v59, 28, v58
	v_sub_nc_u32_e32 v58, 29, v58
	v_lshlrev_b64 v[59:60], v59, v[10:11]
	v_and_b32_e32 v10, 7, v59
; %bb.380:                              ;   in Loop: Header=BB386_269 Depth=1
	s_or_b32 exec_lo, exec_lo, s16
	v_lshlrev_b32_sdwa v59, v37, v19 dst_sel:DWORD dst_unused:UNUSED_PAD src0_sel:DWORD src1_sel:WORD_1
	v_lshlrev_b32_e32 v10, 20, v10
	v_lshl_add_u32 v58, v58, 23, 0x3c000000
	v_and_b32_e32 v59, 0x80000000, v59
	v_or3_b32 v58, v10, v59, v58
.LBB386_381:                            ;   in Loop: Header=BB386_269 Depth=1
	s_or_b32 exec_lo, exec_lo, s15
.LBB386_382:                            ;   in Loop: Header=BB386_269 Depth=1
	s_or_b32 exec_lo, exec_lo, s14
.LBB386_383:                            ;   in Loop: Header=BB386_269 Depth=1
	s_or_b32 exec_lo, exec_lo, s13
	s_mov_b32 s13, exec_lo
	v_cmpx_lt_u64_e64 s[4:5], v[18:19]
	s_cbranch_execz .LBB386_391
; %bb.384:                              ;   in Loop: Header=BB386_269 Depth=1
	v_cmp_ne_u32_sdwa s0, v19, v33 src0_sel:BYTE_3 src1_sel:DWORD
	v_bfrev_b32_e32 v21, 1
	s_and_saveexec_b32 s14, s0
	s_cbranch_execz .LBB386_390
; %bb.385:                              ;   in Loop: Header=BB386_269 Depth=1
	v_bfe_u32 v59, v19, 24, 7
	v_mov_b32_e32 v21, 0x7f800001
	s_mov_b32 s15, exec_lo
	v_cmpx_ne_u32_e32 0x7f, v59
	s_cbranch_execz .LBB386_389
; %bb.386:                              ;   in Loop: Header=BB386_269 Depth=1
	v_and_b32_sdwa v10, v19, v36 dst_sel:DWORD dst_unused:UNUSED_PAD src0_sel:BYTE_3 src1_sel:DWORD
	v_lshrrev_b32_e32 v18, 3, v59
	s_mov_b32 s16, exec_lo
	v_cmpx_gt_u32_e32 8, v59
; %bb.387:                              ;   in Loop: Header=BB386_269 Depth=1
	v_ffbh_u32_e32 v18, v10
	v_min_u32_e32 v18, 32, v18
	v_subrev_nc_u32_e32 v21, 28, v18
	v_sub_nc_u32_e32 v18, 29, v18
	v_lshlrev_b64 v[59:60], v21, v[10:11]
	v_and_b32_e32 v10, 7, v59
; %bb.388:                              ;   in Loop: Header=BB386_269 Depth=1
	s_or_b32 exec_lo, exec_lo, s16
	v_lshlrev_b32_sdwa v19, v37, v19 dst_sel:DWORD dst_unused:UNUSED_PAD src0_sel:DWORD src1_sel:BYTE_3
	v_lshlrev_b32_e32 v10, 20, v10
	v_lshl_add_u32 v18, v18, 23, 0x3c000000
	v_and_b32_e32 v19, 0x80000000, v19
	v_or3_b32 v21, v10, v19, v18
.LBB386_389:                            ;   in Loop: Header=BB386_269 Depth=1
	s_or_b32 exec_lo, exec_lo, s15
.LBB386_390:                            ;   in Loop: Header=BB386_269 Depth=1
	s_or_b32 exec_lo, exec_lo, s14
.LBB386_391:                            ;   in Loop: Header=BB386_269 Depth=1
	s_or_b32 exec_lo, exec_lo, s13
	v_mul_f32_e32 v10, s6, v20
	v_mul_f32_e32 v18, s6, v57
	;; [unrolled: 1-line block ×5, first 2 shown]
	v_bfe_u32 v53, v10, 16, 1
	v_or_b32_e32 v56, 0x400000, v10
	v_bfe_u32 v57, v18, 16, 1
	v_cmp_u_f32_e64 s0, v10, v10
	v_or_b32_e32 v59, 0x400000, v18
	v_add3_u32 v53, v53, v10, 0x7fff
	v_bfe_u32 v60, v19, 16, 1
	v_add3_u32 v57, v57, v18, 0x7fff
	v_or_b32_e32 v61, 0x400000, v19
	v_bfe_u32 v62, v20, 16, 1
	v_cndmask_b32_e64 v10, v53, v56, s0
	v_cmp_u_f32_e64 s0, v18, v18
	v_add3_u32 v60, v60, v19, 0x7fff
	v_lshrrev_b32_e32 v53, 16, v10
	v_cndmask_b32_e64 v18, v57, v59, s0
	v_cmp_u_f32_e64 s0, v19, v19
	v_mul_f32_e32 v10, s6, v54
	v_add3_u32 v57, v62, v20, 0x7fff
	v_or_b32_e32 v59, 0x400000, v20
	v_lshrrev_b32_e32 v54, 16, v18
	v_cndmask_b32_e64 v19, v60, v61, s0
	v_bfe_u32 v18, v10, 16, 1
	v_cmp_u_f32_e64 s0, v20, v20
	v_mul_f32_e32 v20, s6, v55
	v_mul_f32_e32 v55, s6, v58
	v_lshrrev_b32_e32 v56, 16, v19
	v_add3_u32 v18, v18, v10, 0x7fff
	v_cndmask_b32_e64 v19, v57, v59, s0
	v_or_b32_e32 v57, 0x400000, v10
	v_bfe_u32 v58, v20, 16, 1
	v_cmp_u_f32_e64 s0, v10, v10
	v_bfe_u32 v59, v55, 16, 1
	v_or_b32_e32 v60, 0x400000, v55
	v_or_b32_e32 v61, 0x400000, v21
	v_cndmask_b32_e64 v10, v18, v57, s0
	v_add3_u32 v57, v58, v20, 0x7fff
	v_or_b32_e32 v58, 0x400000, v20
	v_cmp_u_f32_e64 s0, v20, v20
	v_bfe_u32 v18, v21, 16, 1
	v_add3_u32 v59, v59, v55, 0x7fff
	v_cndmask_b32_e64 v20, v57, v58, s0
	v_cmp_u_f32_e64 s0, v55, v55
	v_add3_u32 v18, v18, v21, 0x7fff
	v_lshrrev_b32_e32 v58, 16, v19
	v_cndmask_b32_e64 v55, v59, v60, s0
	v_cmp_u_f32_e64 s0, v21, v21
	v_lshrrev_b32_e32 v60, 16, v10
	v_lshrrev_b32_e32 v59, 16, v20
	;; [unrolled: 1-line block ×3, first 2 shown]
	v_cndmask_b32_e64 v18, v18, v61, s0
	v_lshrrev_b32_e32 v57, 16, v18
	s_and_saveexec_b32 s13, vcc_lo
	s_cbranch_execz .LBB386_393
; %bb.392:                              ;   in Loop: Header=BB386_269 Depth=1
	v_cmp_gt_i32_e64 s0, s29, v46
	v_cndmask_b32_e64 v59, 0, v59, s0
	v_cmp_gt_i32_e64 s0, s29, v52
	v_cndmask_b32_e64 v60, 0, v60, s0
	;; [unrolled: 2-line block ×8, first 2 shown]
.LBB386_393:                            ;   in Loop: Header=BB386_269 Depth=1
	s_or_b32 exec_lo, exec_lo, s13
	global_load_dwordx2 v[18:19], v[16:17], off offset:512
	v_mov_b32_e32 v62, 0
	v_mov_b32_e32 v61, 0
	s_waitcnt vmcnt(0)
	v_cmp_ne_u16_sdwa s0, v18, v11 src0_sel:BYTE_0 src1_sel:DWORD
	s_and_saveexec_b32 s13, s0
	s_cbranch_execz .LBB386_399
; %bb.394:                              ;   in Loop: Header=BB386_269 Depth=1
	v_cmp_ne_u16_sdwa s0, v18, v33 src0_sel:BYTE_0 src1_sel:DWORD
	v_bfrev_b32_e32 v61, 1
	s_and_saveexec_b32 s14, s0
	s_cbranch_execz .LBB386_398
; %bb.395:                              ;   in Loop: Header=BB386_269 Depth=1
	v_and_b32_e32 v10, 0x7f, v18
	v_mov_b32_e32 v61, 0x7f800001
	s_mov_b32 s15, exec_lo
	v_cmpx_ne_u32_e32 0x7f, v10
	s_cbranch_execz .LBB386_397
; %bb.396:                              ;   in Loop: Header=BB386_269 Depth=1
	v_and_b32_e32 v20, 7, v18
	v_lshrrev_b32_e32 v21, 3, v10
	v_cmp_gt_u32_e64 s0, 8, v10
	v_ffbh_u32_e32 v20, v20
	v_min_u32_e32 v20, 32, v20
	v_subrev_nc_u32_e32 v61, 28, v20
	v_sub_nc_u32_e32 v20, 29, v20
	v_cndmask_b32_e64 v10, v21, v20, s0
	v_cndmask_b32_e64 v20, 0, v61, s0
	v_lshl_add_u32 v10, v10, 23, 0x3c000000
	v_lshlrev_b64 v[20:21], v20, v[18:19]
	v_lshlrev_b32_e32 v21, 24, v18
	v_lshlrev_b32_e32 v20, 20, v20
	v_and_b32_e32 v21, 0x80000000, v21
	v_and_b32_e32 v20, 0x700000, v20
	v_or3_b32 v61, v20, v21, v10
.LBB386_397:                            ;   in Loop: Header=BB386_269 Depth=1
	s_or_b32 exec_lo, exec_lo, s15
.LBB386_398:                            ;   in Loop: Header=BB386_269 Depth=1
	s_or_b32 exec_lo, exec_lo, s14
.LBB386_399:                            ;   in Loop: Header=BB386_269 Depth=1
	s_or_b32 exec_lo, exec_lo, s13
	v_cmp_ne_u16_sdwa s0, v18, v11 src0_sel:BYTE_1 src1_sel:DWORD
	s_and_saveexec_b32 s13, s0
	s_cbranch_execz .LBB386_407
; %bb.400:                              ;   in Loop: Header=BB386_269 Depth=1
	v_cmp_ne_u16_sdwa s0, v18, v33 src0_sel:BYTE_1 src1_sel:DWORD
	v_bfrev_b32_e32 v62, 1
	s_and_saveexec_b32 s14, s0
	s_cbranch_execz .LBB386_406
; %bb.401:                              ;   in Loop: Header=BB386_269 Depth=1
	v_and_b32_sdwa v10, v34, v18 dst_sel:DWORD dst_unused:UNUSED_PAD src0_sel:DWORD src1_sel:BYTE_1
	v_mov_b32_e32 v62, 0x7f800001
	s_mov_b32 s15, exec_lo
	v_and_b32_e32 v21, 0x7f, v10
	v_cmpx_ne_u32_e32 0x7f, v21
	s_cbranch_execz .LBB386_405
; %bb.402:                              ;   in Loop: Header=BB386_269 Depth=1
	v_and_b32_e32 v10, 7, v10
	v_lshrrev_b32_e32 v20, 3, v21
	s_mov_b32 s16, exec_lo
	v_cmpx_gt_u32_e32 8, v21
; %bb.403:                              ;   in Loop: Header=BB386_269 Depth=1
	v_ffbh_u32_e32 v20, v10
	v_min_u32_e32 v20, 32, v20
	v_subrev_nc_u32_e32 v21, 28, v20
	v_sub_nc_u32_e32 v20, 29, v20
	v_lshlrev_b64 v[62:63], v21, v[10:11]
	v_and_b32_e32 v10, 7, v62
; %bb.404:                              ;   in Loop: Header=BB386_269 Depth=1
	s_or_b32 exec_lo, exec_lo, s16
	v_lshlrev_b32_e32 v21, 16, v18
	v_lshlrev_b32_e32 v10, 20, v10
	v_lshl_add_u32 v20, v20, 23, 0x3c000000
	v_and_b32_e32 v21, 0x80000000, v21
	v_or3_b32 v62, v10, v21, v20
.LBB386_405:                            ;   in Loop: Header=BB386_269 Depth=1
	s_or_b32 exec_lo, exec_lo, s15
.LBB386_406:                            ;   in Loop: Header=BB386_269 Depth=1
	s_or_b32 exec_lo, exec_lo, s14
.LBB386_407:                            ;   in Loop: Header=BB386_269 Depth=1
	s_or_b32 exec_lo, exec_lo, s13
	v_and_b32_sdwa v10, v18, v35 dst_sel:DWORD dst_unused:UNUSED_PAD src0_sel:WORD_1 src1_sel:DWORD
	v_mov_b32_e32 v64, 0
	v_mov_b32_e32 v63, 0
	s_mov_b32 s13, exec_lo
	v_cmpx_ne_u16_e32 0, v10
	s_cbranch_execz .LBB386_415
; %bb.408:                              ;   in Loop: Header=BB386_269 Depth=1
	v_bfrev_b32_e32 v63, 1
	s_mov_b32 s14, exec_lo
	v_cmpx_ne_u16_e32 0x80, v10
	s_cbranch_execz .LBB386_414
; %bb.409:                              ;   in Loop: Header=BB386_269 Depth=1
	v_bfe_u32 v21, v18, 16, 7
	v_mov_b32_e32 v63, 0x7f800001
	s_mov_b32 s15, exec_lo
	v_cmpx_ne_u32_e32 0x7f, v21
	s_cbranch_execz .LBB386_413
; %bb.410:                              ;   in Loop: Header=BB386_269 Depth=1
	v_and_b32_sdwa v10, v18, v36 dst_sel:DWORD dst_unused:UNUSED_PAD src0_sel:WORD_1 src1_sel:DWORD
	v_lshrrev_b32_e32 v20, 3, v21
	s_mov_b32 s16, exec_lo
	v_cmpx_gt_u32_e32 8, v21
; %bb.411:                              ;   in Loop: Header=BB386_269 Depth=1
	v_ffbh_u32_e32 v20, v10
	v_min_u32_e32 v20, 32, v20
	v_subrev_nc_u32_e32 v21, 28, v20
	v_sub_nc_u32_e32 v20, 29, v20
	v_lshlrev_b64 v[65:66], v21, v[10:11]
	v_and_b32_e32 v10, 7, v65
; %bb.412:                              ;   in Loop: Header=BB386_269 Depth=1
	s_or_b32 exec_lo, exec_lo, s16
	v_lshlrev_b32_sdwa v21, v37, v18 dst_sel:DWORD dst_unused:UNUSED_PAD src0_sel:DWORD src1_sel:WORD_1
	v_lshlrev_b32_e32 v10, 20, v10
	v_lshl_add_u32 v20, v20, 23, 0x3c000000
	v_and_b32_e32 v21, 0x80000000, v21
	v_or3_b32 v63, v10, v21, v20
.LBB386_413:                            ;   in Loop: Header=BB386_269 Depth=1
	s_or_b32 exec_lo, exec_lo, s15
.LBB386_414:                            ;   in Loop: Header=BB386_269 Depth=1
	s_or_b32 exec_lo, exec_lo, s14
.LBB386_415:                            ;   in Loop: Header=BB386_269 Depth=1
	s_or_b32 exec_lo, exec_lo, s13
	s_mov_b32 s13, exec_lo
	v_cmpx_lt_u32_e32 0xffffff, v18
	s_cbranch_execz .LBB386_423
; %bb.416:                              ;   in Loop: Header=BB386_269 Depth=1
	v_cmp_ne_u32_sdwa s0, v18, v33 src0_sel:BYTE_3 src1_sel:DWORD
	v_bfrev_b32_e32 v64, 1
	s_and_saveexec_b32 s14, s0
	s_cbranch_execz .LBB386_422
; %bb.417:                              ;   in Loop: Header=BB386_269 Depth=1
	v_bfe_u32 v21, v18, 24, 7
	v_mov_b32_e32 v64, 0x7f800001
	s_mov_b32 s15, exec_lo
	v_cmpx_ne_u32_e32 0x7f, v21
	s_cbranch_execz .LBB386_421
; %bb.418:                              ;   in Loop: Header=BB386_269 Depth=1
	v_and_b32_sdwa v10, v18, v36 dst_sel:DWORD dst_unused:UNUSED_PAD src0_sel:BYTE_3 src1_sel:DWORD
	v_lshrrev_b32_e32 v20, 3, v21
	s_mov_b32 s16, exec_lo
	v_cmpx_gt_u32_e32 8, v21
; %bb.419:                              ;   in Loop: Header=BB386_269 Depth=1
	v_ffbh_u32_e32 v20, v10
	v_min_u32_e32 v20, 32, v20
	v_subrev_nc_u32_e32 v21, 28, v20
	v_sub_nc_u32_e32 v20, 29, v20
	v_lshlrev_b64 v[64:65], v21, v[10:11]
	v_and_b32_e32 v10, 7, v64
; %bb.420:                              ;   in Loop: Header=BB386_269 Depth=1
	s_or_b32 exec_lo, exec_lo, s16
	v_lshlrev_b32_sdwa v21, v37, v18 dst_sel:DWORD dst_unused:UNUSED_PAD src0_sel:DWORD src1_sel:BYTE_3
	v_lshlrev_b32_e32 v10, 20, v10
	v_lshl_add_u32 v20, v20, 23, 0x3c000000
	v_and_b32_e32 v21, 0x80000000, v21
	v_or3_b32 v64, v10, v21, v20
.LBB386_421:                            ;   in Loop: Header=BB386_269 Depth=1
	s_or_b32 exec_lo, exec_lo, s15
.LBB386_422:                            ;   in Loop: Header=BB386_269 Depth=1
	s_or_b32 exec_lo, exec_lo, s14
.LBB386_423:                            ;   in Loop: Header=BB386_269 Depth=1
	s_or_b32 exec_lo, exec_lo, s13
	v_mov_b32_e32 v10, v19
	v_cmp_ne_u16_sdwa s0, v19, v11 src0_sel:BYTE_0 src1_sel:DWORD
	v_mov_b32_e32 v20, 0
	v_mov_b32_e32 v65, 0
	s_and_saveexec_b32 s13, s0
	s_cbranch_execz .LBB386_429
; %bb.424:                              ;   in Loop: Header=BB386_269 Depth=1
	v_cmp_ne_u16_sdwa s0, v19, v33 src0_sel:BYTE_0 src1_sel:DWORD
	v_bfrev_b32_e32 v65, 1
	s_and_saveexec_b32 s14, s0
	s_cbranch_execz .LBB386_428
; %bb.425:                              ;   in Loop: Header=BB386_269 Depth=1
	v_and_b32_e32 v21, 0x7f, v19
	v_mov_b32_e32 v65, 0x7f800001
	s_mov_b32 s15, exec_lo
	v_cmpx_ne_u32_e32 0x7f, v21
	s_cbranch_execz .LBB386_427
; %bb.426:                              ;   in Loop: Header=BB386_269 Depth=1
	v_and_b32_e32 v65, 7, v19
	v_lshrrev_b32_e32 v66, 3, v21
	v_cmp_gt_u32_e64 s0, 8, v21
	v_ffbh_u32_e32 v65, v65
	v_min_u32_e32 v65, 32, v65
	v_subrev_nc_u32_e32 v67, 28, v65
	v_sub_nc_u32_e32 v65, 29, v65
	v_cndmask_b32_e64 v21, v66, v65, s0
	v_cndmask_b32_e64 v65, 0, v67, s0
	v_lshl_add_u32 v21, v21, 23, 0x3c000000
	v_lshlrev_b64 v[65:66], v65, v[10:11]
	v_lshlrev_b32_e32 v66, 24, v10
	v_lshlrev_b32_e32 v65, 20, v65
	v_and_b32_e32 v66, 0x80000000, v66
	v_and_b32_e32 v65, 0x700000, v65
	v_or3_b32 v65, v65, v66, v21
.LBB386_427:                            ;   in Loop: Header=BB386_269 Depth=1
	s_or_b32 exec_lo, exec_lo, s15
.LBB386_428:                            ;   in Loop: Header=BB386_269 Depth=1
	s_or_b32 exec_lo, exec_lo, s14
.LBB386_429:                            ;   in Loop: Header=BB386_269 Depth=1
	s_or_b32 exec_lo, exec_lo, s13
	v_cmp_ne_u16_sdwa s0, v10, v11 src0_sel:BYTE_1 src1_sel:DWORD
	s_and_saveexec_b32 s13, s0
	s_cbranch_execz .LBB386_437
; %bb.430:                              ;   in Loop: Header=BB386_269 Depth=1
	v_cmp_ne_u16_sdwa s0, v10, v33 src0_sel:BYTE_1 src1_sel:DWORD
	v_bfrev_b32_e32 v20, 1
	s_and_saveexec_b32 s14, s0
	s_cbranch_execz .LBB386_436
; %bb.431:                              ;   in Loop: Header=BB386_269 Depth=1
	v_and_b32_sdwa v21, v34, v10 dst_sel:DWORD dst_unused:UNUSED_PAD src0_sel:DWORD src1_sel:BYTE_1
	v_mov_b32_e32 v20, 0x7f800001
	s_mov_b32 s15, exec_lo
	v_and_b32_e32 v67, 0x7f, v21
	v_cmpx_ne_u32_e32 0x7f, v67
	s_cbranch_execz .LBB386_435
; %bb.432:                              ;   in Loop: Header=BB386_269 Depth=1
	v_and_b32_e32 v20, 7, v21
	v_mov_b32_e32 v21, v11
	v_lshrrev_b32_e32 v66, 3, v67
	s_mov_b32 s16, exec_lo
	v_cmpx_gt_u32_e32 8, v67
; %bb.433:                              ;   in Loop: Header=BB386_269 Depth=1
	v_ffbh_u32_e32 v66, v20
	v_min_u32_e32 v66, 32, v66
	v_subrev_nc_u32_e32 v67, 28, v66
	v_sub_nc_u32_e32 v66, 29, v66
	v_lshlrev_b64 v[20:21], v67, v[20:21]
	v_and_b32_e32 v20, 7, v20
; %bb.434:                              ;   in Loop: Header=BB386_269 Depth=1
	s_or_b32 exec_lo, exec_lo, s16
	v_lshlrev_b32_e32 v10, 16, v10
	v_lshlrev_b32_e32 v20, 20, v20
	v_lshl_add_u32 v21, v66, 23, 0x3c000000
	v_and_b32_e32 v10, 0x80000000, v10
	v_or3_b32 v20, v20, v10, v21
.LBB386_435:                            ;   in Loop: Header=BB386_269 Depth=1
	s_or_b32 exec_lo, exec_lo, s15
.LBB386_436:                            ;   in Loop: Header=BB386_269 Depth=1
	s_or_b32 exec_lo, exec_lo, s14
.LBB386_437:                            ;   in Loop: Header=BB386_269 Depth=1
	s_or_b32 exec_lo, exec_lo, s13
	v_and_b32_sdwa v10, v19, v35 dst_sel:DWORD dst_unused:UNUSED_PAD src0_sel:WORD_1 src1_sel:DWORD
	v_mov_b32_e32 v66, 0
	v_mov_b32_e32 v67, 0
	s_mov_b32 s13, exec_lo
	v_cmpx_ne_u16_e32 0, v10
	s_cbranch_execz .LBB386_445
; %bb.438:                              ;   in Loop: Header=BB386_269 Depth=1
	v_bfrev_b32_e32 v67, 1
	s_mov_b32 s14, exec_lo
	v_cmpx_ne_u16_e32 0x80, v10
	s_cbranch_execz .LBB386_444
; %bb.439:                              ;   in Loop: Header=BB386_269 Depth=1
	v_bfe_u32 v68, v19, 16, 7
	v_mov_b32_e32 v67, 0x7f800001
	s_mov_b32 s15, exec_lo
	v_cmpx_ne_u32_e32 0x7f, v68
	s_cbranch_execz .LBB386_443
; %bb.440:                              ;   in Loop: Header=BB386_269 Depth=1
	v_and_b32_sdwa v10, v19, v36 dst_sel:DWORD dst_unused:UNUSED_PAD src0_sel:WORD_1 src1_sel:DWORD
	v_lshrrev_b32_e32 v21, 3, v68
	s_mov_b32 s16, exec_lo
	v_cmpx_gt_u32_e32 8, v68
; %bb.441:                              ;   in Loop: Header=BB386_269 Depth=1
	v_ffbh_u32_e32 v21, v10
	v_min_u32_e32 v21, 32, v21
	v_subrev_nc_u32_e32 v67, 28, v21
	v_sub_nc_u32_e32 v21, 29, v21
	v_lshlrev_b64 v[67:68], v67, v[10:11]
	v_and_b32_e32 v10, 7, v67
; %bb.442:                              ;   in Loop: Header=BB386_269 Depth=1
	s_or_b32 exec_lo, exec_lo, s16
	v_lshlrev_b32_sdwa v67, v37, v19 dst_sel:DWORD dst_unused:UNUSED_PAD src0_sel:DWORD src1_sel:WORD_1
	v_lshlrev_b32_e32 v10, 20, v10
	v_lshl_add_u32 v21, v21, 23, 0x3c000000
	v_and_b32_e32 v67, 0x80000000, v67
	v_or3_b32 v67, v10, v67, v21
.LBB386_443:                            ;   in Loop: Header=BB386_269 Depth=1
	s_or_b32 exec_lo, exec_lo, s15
.LBB386_444:                            ;   in Loop: Header=BB386_269 Depth=1
	s_or_b32 exec_lo, exec_lo, s14
.LBB386_445:                            ;   in Loop: Header=BB386_269 Depth=1
	s_or_b32 exec_lo, exec_lo, s13
	s_mov_b32 s13, exec_lo
	v_cmpx_lt_u64_e64 s[4:5], v[18:19]
	s_cbranch_execz .LBB386_453
; %bb.446:                              ;   in Loop: Header=BB386_269 Depth=1
	v_cmp_ne_u32_sdwa s0, v19, v33 src0_sel:BYTE_3 src1_sel:DWORD
	v_bfrev_b32_e32 v66, 1
	s_and_saveexec_b32 s14, s0
	s_cbranch_execz .LBB386_452
; %bb.447:                              ;   in Loop: Header=BB386_269 Depth=1
	v_bfe_u32 v21, v19, 24, 7
	v_mov_b32_e32 v66, 0x7f800001
	s_mov_b32 s15, exec_lo
	v_cmpx_ne_u32_e32 0x7f, v21
	s_cbranch_execz .LBB386_451
; %bb.448:                              ;   in Loop: Header=BB386_269 Depth=1
	v_and_b32_sdwa v10, v19, v36 dst_sel:DWORD dst_unused:UNUSED_PAD src0_sel:BYTE_3 src1_sel:DWORD
	v_lshrrev_b32_e32 v18, 3, v21
	s_mov_b32 s16, exec_lo
	v_cmpx_gt_u32_e32 8, v21
; %bb.449:                              ;   in Loop: Header=BB386_269 Depth=1
	v_ffbh_u32_e32 v18, v10
	v_min_u32_e32 v18, 32, v18
	v_subrev_nc_u32_e32 v21, 28, v18
	v_sub_nc_u32_e32 v18, 29, v18
	v_lshlrev_b64 v[68:69], v21, v[10:11]
	v_and_b32_e32 v10, 7, v68
; %bb.450:                              ;   in Loop: Header=BB386_269 Depth=1
	s_or_b32 exec_lo, exec_lo, s16
	v_lshlrev_b32_sdwa v19, v37, v19 dst_sel:DWORD dst_unused:UNUSED_PAD src0_sel:DWORD src1_sel:BYTE_3
	v_lshlrev_b32_e32 v10, 20, v10
	v_lshl_add_u32 v18, v18, 23, 0x3c000000
	v_and_b32_e32 v19, 0x80000000, v19
	v_or3_b32 v66, v10, v19, v18
.LBB386_451:                            ;   in Loop: Header=BB386_269 Depth=1
	s_or_b32 exec_lo, exec_lo, s15
.LBB386_452:                            ;   in Loop: Header=BB386_269 Depth=1
	s_or_b32 exec_lo, exec_lo, s14
.LBB386_453:                            ;   in Loop: Header=BB386_269 Depth=1
	s_or_b32 exec_lo, exec_lo, s13
	v_mul_f32_e32 v10, s6, v20
	v_mul_f32_e32 v18, s6, v65
	;; [unrolled: 1-line block ×5, first 2 shown]
	v_bfe_u32 v20, v10, 16, 1
	v_or_b32_e32 v21, 0x400000, v10
	v_bfe_u32 v63, v18, 16, 1
	v_cmp_u_f32_e64 s0, v10, v10
	v_or_b32_e32 v65, 0x400000, v18
	v_add3_u32 v20, v20, v10, 0x7fff
	v_bfe_u32 v68, v19, 16, 1
	v_add3_u32 v63, v63, v18, 0x7fff
	v_or_b32_e32 v69, 0x400000, v19
	v_bfe_u32 v70, v64, 16, 1
	v_cndmask_b32_e64 v10, v20, v21, s0
	v_cmp_u_f32_e64 s0, v18, v18
	v_add3_u32 v68, v68, v19, 0x7fff
	v_lshrrev_b32_e32 v20, 16, v10
	v_cndmask_b32_e64 v18, v63, v65, s0
	v_cmp_u_f32_e64 s0, v19, v19
	v_mul_f32_e32 v10, s6, v62
	v_add3_u32 v62, v70, v64, 0x7fff
	v_or_b32_e32 v65, 0x400000, v64
	v_lshrrev_b32_e32 v21, 16, v18
	v_cndmask_b32_e64 v19, v68, v69, s0
	v_bfe_u32 v18, v10, 16, 1
	v_cmp_u_f32_e64 s0, v64, v64
	v_or_b32_e32 v64, 0x400000, v10
	v_lshrrev_b32_e32 v63, 16, v19
	v_add3_u32 v18, v18, v10, 0x7fff
	v_cndmask_b32_e64 v19, v62, v65, s0
	v_mul_f32_e32 v62, s6, v67
	v_mul_f32_e32 v65, s6, v66
	v_bfe_u32 v66, v61, 16, 1
	v_cmp_u_f32_e64 s0, v10, v10
	v_bfe_u32 v67, v62, 16, 1
	v_or_b32_e32 v68, 0x400000, v62
	v_or_b32_e32 v69, 0x400000, v65
	v_cndmask_b32_e64 v10, v18, v64, s0
	v_add3_u32 v64, v66, v61, 0x7fff
	v_or_b32_e32 v66, 0x400000, v61
	v_cmp_u_f32_e64 s0, v61, v61
	v_bfe_u32 v18, v65, 16, 1
	v_add3_u32 v67, v67, v62, 0x7fff
	v_cndmask_b32_e64 v61, v64, v66, s0
	v_cmp_u_f32_e64 s0, v62, v62
	v_add3_u32 v18, v18, v65, 0x7fff
	v_lshrrev_b32_e32 v64, 16, v19
	v_lshrrev_b32_e32 v66, 16, v10
	v_cndmask_b32_e64 v62, v67, v68, s0
	v_cmp_u_f32_e64 s0, v65, v65
	v_lshrrev_b32_e32 v65, 16, v61
	v_lshrrev_b32_e32 v61, 16, v62
	v_cndmask_b32_e64 v18, v18, v69, s0
	v_lshrrev_b32_e32 v62, 16, v18
	s_and_saveexec_b32 s13, vcc_lo
	s_cbranch_execz .LBB386_455
; %bb.454:                              ;   in Loop: Header=BB386_269 Depth=1
	v_cmp_gt_i32_e64 s0, s29, v46
	v_cndmask_b32_e64 v65, 0, v65, s0
	v_cmp_gt_i32_e64 s0, s29, v52
	v_cndmask_b32_e64 v66, 0, v66, s0
	;; [unrolled: 2-line block ×8, first 2 shown]
.LBB386_455:                            ;   in Loop: Header=BB386_269 Depth=1
	s_or_b32 exec_lo, exec_lo, s13
	global_load_dwordx2 v[16:17], v[16:17], off offset:768
	v_mov_b32_e32 v68, 0
	v_mov_b32_e32 v67, 0
	s_waitcnt vmcnt(0)
	v_cmp_ne_u16_sdwa s0, v16, v11 src0_sel:BYTE_0 src1_sel:DWORD
	s_and_saveexec_b32 s13, s0
	s_cbranch_execz .LBB386_461
; %bb.456:                              ;   in Loop: Header=BB386_269 Depth=1
	v_cmp_ne_u16_sdwa s0, v16, v33 src0_sel:BYTE_0 src1_sel:DWORD
	v_bfrev_b32_e32 v67, 1
	s_and_saveexec_b32 s14, s0
	s_cbranch_execz .LBB386_460
; %bb.457:                              ;   in Loop: Header=BB386_269 Depth=1
	v_and_b32_e32 v10, 0x7f, v16
	v_mov_b32_e32 v67, 0x7f800001
	s_mov_b32 s15, exec_lo
	v_cmpx_ne_u32_e32 0x7f, v10
	s_cbranch_execz .LBB386_459
; %bb.458:                              ;   in Loop: Header=BB386_269 Depth=1
	v_and_b32_e32 v18, 7, v16
	v_lshrrev_b32_e32 v19, 3, v10
	v_cmp_gt_u32_e64 s0, 8, v10
	v_ffbh_u32_e32 v18, v18
	v_min_u32_e32 v18, 32, v18
	v_subrev_nc_u32_e32 v67, 28, v18
	v_sub_nc_u32_e32 v18, 29, v18
	v_cndmask_b32_e64 v10, v19, v18, s0
	v_cndmask_b32_e64 v18, 0, v67, s0
	v_lshl_add_u32 v10, v10, 23, 0x3c000000
	v_lshlrev_b64 v[18:19], v18, v[16:17]
	v_lshlrev_b32_e32 v19, 24, v16
	v_lshlrev_b32_e32 v18, 20, v18
	v_and_b32_e32 v19, 0x80000000, v19
	v_and_b32_e32 v18, 0x700000, v18
	v_or3_b32 v67, v18, v19, v10
.LBB386_459:                            ;   in Loop: Header=BB386_269 Depth=1
	s_or_b32 exec_lo, exec_lo, s15
.LBB386_460:                            ;   in Loop: Header=BB386_269 Depth=1
	s_or_b32 exec_lo, exec_lo, s14
.LBB386_461:                            ;   in Loop: Header=BB386_269 Depth=1
	s_or_b32 exec_lo, exec_lo, s13
	v_cmp_ne_u16_sdwa s0, v16, v11 src0_sel:BYTE_1 src1_sel:DWORD
	s_and_saveexec_b32 s13, s0
	s_cbranch_execz .LBB386_469
; %bb.462:                              ;   in Loop: Header=BB386_269 Depth=1
	v_cmp_ne_u16_sdwa s0, v16, v33 src0_sel:BYTE_1 src1_sel:DWORD
	v_bfrev_b32_e32 v68, 1
	s_and_saveexec_b32 s14, s0
	s_cbranch_execz .LBB386_468
; %bb.463:                              ;   in Loop: Header=BB386_269 Depth=1
	v_and_b32_sdwa v10, v34, v16 dst_sel:DWORD dst_unused:UNUSED_PAD src0_sel:DWORD src1_sel:BYTE_1
	v_mov_b32_e32 v68, 0x7f800001
	s_mov_b32 s15, exec_lo
	v_and_b32_e32 v19, 0x7f, v10
	v_cmpx_ne_u32_e32 0x7f, v19
	s_cbranch_execz .LBB386_467
; %bb.464:                              ;   in Loop: Header=BB386_269 Depth=1
	v_and_b32_e32 v10, 7, v10
	v_lshrrev_b32_e32 v18, 3, v19
	s_mov_b32 s16, exec_lo
	v_cmpx_gt_u32_e32 8, v19
; %bb.465:                              ;   in Loop: Header=BB386_269 Depth=1
	v_ffbh_u32_e32 v18, v10
	v_min_u32_e32 v18, 32, v18
	v_subrev_nc_u32_e32 v19, 28, v18
	v_sub_nc_u32_e32 v18, 29, v18
	v_lshlrev_b64 v[68:69], v19, v[10:11]
	v_and_b32_e32 v10, 7, v68
; %bb.466:                              ;   in Loop: Header=BB386_269 Depth=1
	s_or_b32 exec_lo, exec_lo, s16
	v_lshlrev_b32_e32 v19, 16, v16
	v_lshlrev_b32_e32 v10, 20, v10
	v_lshl_add_u32 v18, v18, 23, 0x3c000000
	v_and_b32_e32 v19, 0x80000000, v19
	v_or3_b32 v68, v10, v19, v18
.LBB386_467:                            ;   in Loop: Header=BB386_269 Depth=1
	s_or_b32 exec_lo, exec_lo, s15
.LBB386_468:                            ;   in Loop: Header=BB386_269 Depth=1
	s_or_b32 exec_lo, exec_lo, s14
.LBB386_469:                            ;   in Loop: Header=BB386_269 Depth=1
	s_or_b32 exec_lo, exec_lo, s13
	v_and_b32_sdwa v10, v16, v35 dst_sel:DWORD dst_unused:UNUSED_PAD src0_sel:WORD_1 src1_sel:DWORD
	v_mov_b32_e32 v70, 0
	v_mov_b32_e32 v69, 0
	s_mov_b32 s13, exec_lo
	v_cmpx_ne_u16_e32 0, v10
	s_cbranch_execz .LBB386_477
; %bb.470:                              ;   in Loop: Header=BB386_269 Depth=1
	v_bfrev_b32_e32 v69, 1
	s_mov_b32 s14, exec_lo
	v_cmpx_ne_u16_e32 0x80, v10
	s_cbranch_execz .LBB386_476
; %bb.471:                              ;   in Loop: Header=BB386_269 Depth=1
	v_bfe_u32 v19, v16, 16, 7
	v_mov_b32_e32 v69, 0x7f800001
	s_mov_b32 s15, exec_lo
	v_cmpx_ne_u32_e32 0x7f, v19
	s_cbranch_execz .LBB386_475
; %bb.472:                              ;   in Loop: Header=BB386_269 Depth=1
	v_and_b32_sdwa v10, v16, v36 dst_sel:DWORD dst_unused:UNUSED_PAD src0_sel:WORD_1 src1_sel:DWORD
	v_lshrrev_b32_e32 v18, 3, v19
	s_mov_b32 s16, exec_lo
	v_cmpx_gt_u32_e32 8, v19
; %bb.473:                              ;   in Loop: Header=BB386_269 Depth=1
	v_ffbh_u32_e32 v18, v10
	v_min_u32_e32 v18, 32, v18
	v_subrev_nc_u32_e32 v19, 28, v18
	v_sub_nc_u32_e32 v18, 29, v18
	v_lshlrev_b64 v[71:72], v19, v[10:11]
	v_and_b32_e32 v10, 7, v71
; %bb.474:                              ;   in Loop: Header=BB386_269 Depth=1
	s_or_b32 exec_lo, exec_lo, s16
	v_lshlrev_b32_sdwa v19, v37, v16 dst_sel:DWORD dst_unused:UNUSED_PAD src0_sel:DWORD src1_sel:WORD_1
	v_lshlrev_b32_e32 v10, 20, v10
	v_lshl_add_u32 v18, v18, 23, 0x3c000000
	v_and_b32_e32 v19, 0x80000000, v19
	v_or3_b32 v69, v10, v19, v18
.LBB386_475:                            ;   in Loop: Header=BB386_269 Depth=1
	s_or_b32 exec_lo, exec_lo, s15
.LBB386_476:                            ;   in Loop: Header=BB386_269 Depth=1
	s_or_b32 exec_lo, exec_lo, s14
.LBB386_477:                            ;   in Loop: Header=BB386_269 Depth=1
	s_or_b32 exec_lo, exec_lo, s13
	s_mov_b32 s13, exec_lo
	v_cmpx_lt_u32_e32 0xffffff, v16
	s_cbranch_execz .LBB386_485
; %bb.478:                              ;   in Loop: Header=BB386_269 Depth=1
	v_cmp_ne_u32_sdwa s0, v16, v33 src0_sel:BYTE_3 src1_sel:DWORD
	v_bfrev_b32_e32 v70, 1
	s_and_saveexec_b32 s14, s0
	s_cbranch_execz .LBB386_484
; %bb.479:                              ;   in Loop: Header=BB386_269 Depth=1
	v_bfe_u32 v19, v16, 24, 7
	v_mov_b32_e32 v70, 0x7f800001
	s_mov_b32 s15, exec_lo
	v_cmpx_ne_u32_e32 0x7f, v19
	s_cbranch_execz .LBB386_483
; %bb.480:                              ;   in Loop: Header=BB386_269 Depth=1
	v_and_b32_sdwa v10, v16, v36 dst_sel:DWORD dst_unused:UNUSED_PAD src0_sel:BYTE_3 src1_sel:DWORD
	v_lshrrev_b32_e32 v18, 3, v19
	s_mov_b32 s16, exec_lo
	v_cmpx_gt_u32_e32 8, v19
; %bb.481:                              ;   in Loop: Header=BB386_269 Depth=1
	v_ffbh_u32_e32 v18, v10
	v_min_u32_e32 v18, 32, v18
	v_subrev_nc_u32_e32 v19, 28, v18
	v_sub_nc_u32_e32 v18, 29, v18
	v_lshlrev_b64 v[70:71], v19, v[10:11]
	v_and_b32_e32 v10, 7, v70
; %bb.482:                              ;   in Loop: Header=BB386_269 Depth=1
	s_or_b32 exec_lo, exec_lo, s16
	v_lshlrev_b32_sdwa v19, v37, v16 dst_sel:DWORD dst_unused:UNUSED_PAD src0_sel:DWORD src1_sel:BYTE_3
	v_lshlrev_b32_e32 v10, 20, v10
	v_lshl_add_u32 v18, v18, 23, 0x3c000000
	v_and_b32_e32 v19, 0x80000000, v19
	v_or3_b32 v70, v10, v19, v18
.LBB386_483:                            ;   in Loop: Header=BB386_269 Depth=1
	s_or_b32 exec_lo, exec_lo, s15
.LBB386_484:                            ;   in Loop: Header=BB386_269 Depth=1
	s_or_b32 exec_lo, exec_lo, s14
.LBB386_485:                            ;   in Loop: Header=BB386_269 Depth=1
	s_or_b32 exec_lo, exec_lo, s13
	v_mov_b32_e32 v10, v17
	v_cmp_ne_u16_sdwa s0, v17, v11 src0_sel:BYTE_0 src1_sel:DWORD
	v_mov_b32_e32 v18, 0
	v_mov_b32_e32 v71, 0
	s_and_saveexec_b32 s13, s0
	s_cbranch_execz .LBB386_491
; %bb.486:                              ;   in Loop: Header=BB386_269 Depth=1
	v_cmp_ne_u16_sdwa s0, v17, v33 src0_sel:BYTE_0 src1_sel:DWORD
	v_bfrev_b32_e32 v71, 1
	s_and_saveexec_b32 s14, s0
	s_cbranch_execz .LBB386_490
; %bb.487:                              ;   in Loop: Header=BB386_269 Depth=1
	v_and_b32_e32 v19, 0x7f, v17
	v_mov_b32_e32 v71, 0x7f800001
	s_mov_b32 s15, exec_lo
	v_cmpx_ne_u32_e32 0x7f, v19
	s_cbranch_execz .LBB386_489
; %bb.488:                              ;   in Loop: Header=BB386_269 Depth=1
	v_and_b32_e32 v71, 7, v17
	v_lshrrev_b32_e32 v72, 3, v19
	v_cmp_gt_u32_e64 s0, 8, v19
	v_ffbh_u32_e32 v71, v71
	v_min_u32_e32 v71, 32, v71
	v_subrev_nc_u32_e32 v73, 28, v71
	v_sub_nc_u32_e32 v71, 29, v71
	v_cndmask_b32_e64 v19, v72, v71, s0
	v_cndmask_b32_e64 v71, 0, v73, s0
	v_lshl_add_u32 v19, v19, 23, 0x3c000000
	v_lshlrev_b64 v[71:72], v71, v[10:11]
	v_lshlrev_b32_e32 v72, 24, v10
	v_lshlrev_b32_e32 v71, 20, v71
	v_and_b32_e32 v72, 0x80000000, v72
	v_and_b32_e32 v71, 0x700000, v71
	v_or3_b32 v71, v71, v72, v19
.LBB386_489:                            ;   in Loop: Header=BB386_269 Depth=1
	s_or_b32 exec_lo, exec_lo, s15
.LBB386_490:                            ;   in Loop: Header=BB386_269 Depth=1
	s_or_b32 exec_lo, exec_lo, s14
.LBB386_491:                            ;   in Loop: Header=BB386_269 Depth=1
	s_or_b32 exec_lo, exec_lo, s13
	v_cmp_ne_u16_sdwa s0, v10, v11 src0_sel:BYTE_1 src1_sel:DWORD
	s_and_saveexec_b32 s13, s0
	s_cbranch_execz .LBB386_499
; %bb.492:                              ;   in Loop: Header=BB386_269 Depth=1
	v_cmp_ne_u16_sdwa s0, v10, v33 src0_sel:BYTE_1 src1_sel:DWORD
	v_bfrev_b32_e32 v18, 1
	s_and_saveexec_b32 s14, s0
	s_cbranch_execz .LBB386_498
; %bb.493:                              ;   in Loop: Header=BB386_269 Depth=1
	v_and_b32_sdwa v19, v34, v10 dst_sel:DWORD dst_unused:UNUSED_PAD src0_sel:DWORD src1_sel:BYTE_1
	v_mov_b32_e32 v18, 0x7f800001
	s_mov_b32 s15, exec_lo
	v_and_b32_e32 v73, 0x7f, v19
	v_cmpx_ne_u32_e32 0x7f, v73
	s_cbranch_execz .LBB386_497
; %bb.494:                              ;   in Loop: Header=BB386_269 Depth=1
	v_and_b32_e32 v18, 7, v19
	v_mov_b32_e32 v19, v11
	v_lshrrev_b32_e32 v72, 3, v73
	s_mov_b32 s16, exec_lo
	v_cmpx_gt_u32_e32 8, v73
; %bb.495:                              ;   in Loop: Header=BB386_269 Depth=1
	v_ffbh_u32_e32 v72, v18
	v_min_u32_e32 v72, 32, v72
	v_subrev_nc_u32_e32 v73, 28, v72
	v_sub_nc_u32_e32 v72, 29, v72
	v_lshlrev_b64 v[18:19], v73, v[18:19]
	v_and_b32_e32 v18, 7, v18
; %bb.496:                              ;   in Loop: Header=BB386_269 Depth=1
	s_or_b32 exec_lo, exec_lo, s16
	v_lshlrev_b32_e32 v10, 16, v10
	v_lshlrev_b32_e32 v18, 20, v18
	v_lshl_add_u32 v19, v72, 23, 0x3c000000
	v_and_b32_e32 v10, 0x80000000, v10
	v_or3_b32 v18, v18, v10, v19
.LBB386_497:                            ;   in Loop: Header=BB386_269 Depth=1
	s_or_b32 exec_lo, exec_lo, s15
.LBB386_498:                            ;   in Loop: Header=BB386_269 Depth=1
	s_or_b32 exec_lo, exec_lo, s14
.LBB386_499:                            ;   in Loop: Header=BB386_269 Depth=1
	s_or_b32 exec_lo, exec_lo, s13
	v_and_b32_sdwa v10, v17, v35 dst_sel:DWORD dst_unused:UNUSED_PAD src0_sel:WORD_1 src1_sel:DWORD
	v_mov_b32_e32 v19, 0
	v_mov_b32_e32 v72, 0
	s_mov_b32 s13, exec_lo
	v_cmpx_ne_u16_e32 0, v10
	s_cbranch_execz .LBB386_507
; %bb.500:                              ;   in Loop: Header=BB386_269 Depth=1
	v_bfrev_b32_e32 v72, 1
	s_mov_b32 s14, exec_lo
	v_cmpx_ne_u16_e32 0x80, v10
	s_cbranch_execz .LBB386_506
; %bb.501:                              ;   in Loop: Header=BB386_269 Depth=1
	v_bfe_u32 v73, v17, 16, 7
	v_mov_b32_e32 v72, 0x7f800001
	s_mov_b32 s15, exec_lo
	v_cmpx_ne_u32_e32 0x7f, v73
	s_cbranch_execz .LBB386_505
; %bb.502:                              ;   in Loop: Header=BB386_269 Depth=1
	v_and_b32_sdwa v10, v17, v36 dst_sel:DWORD dst_unused:UNUSED_PAD src0_sel:WORD_1 src1_sel:DWORD
	v_lshrrev_b32_e32 v72, 3, v73
	s_mov_b32 s16, exec_lo
	v_cmpx_gt_u32_e32 8, v73
; %bb.503:                              ;   in Loop: Header=BB386_269 Depth=1
	v_ffbh_u32_e32 v72, v10
	v_min_u32_e32 v72, 32, v72
	v_subrev_nc_u32_e32 v73, 28, v72
	v_sub_nc_u32_e32 v72, 29, v72
	v_lshlrev_b64 v[73:74], v73, v[10:11]
	v_and_b32_e32 v10, 7, v73
; %bb.504:                              ;   in Loop: Header=BB386_269 Depth=1
	s_or_b32 exec_lo, exec_lo, s16
	v_lshlrev_b32_sdwa v73, v37, v17 dst_sel:DWORD dst_unused:UNUSED_PAD src0_sel:DWORD src1_sel:WORD_1
	v_lshlrev_b32_e32 v10, 20, v10
	v_lshl_add_u32 v72, v72, 23, 0x3c000000
	v_and_b32_e32 v73, 0x80000000, v73
	v_or3_b32 v72, v10, v73, v72
.LBB386_505:                            ;   in Loop: Header=BB386_269 Depth=1
	s_or_b32 exec_lo, exec_lo, s15
.LBB386_506:                            ;   in Loop: Header=BB386_269 Depth=1
	s_or_b32 exec_lo, exec_lo, s14
.LBB386_507:                            ;   in Loop: Header=BB386_269 Depth=1
	s_or_b32 exec_lo, exec_lo, s13
	s_mov_b32 s13, exec_lo
	v_cmpx_lt_u64_e64 s[4:5], v[16:17]
	s_cbranch_execz .LBB386_515
; %bb.508:                              ;   in Loop: Header=BB386_269 Depth=1
	v_cmp_ne_u32_sdwa s0, v17, v33 src0_sel:BYTE_3 src1_sel:DWORD
	v_bfrev_b32_e32 v19, 1
	s_and_saveexec_b32 s14, s0
	s_cbranch_execz .LBB386_514
; %bb.509:                              ;   in Loop: Header=BB386_269 Depth=1
	v_bfe_u32 v73, v17, 24, 7
	v_mov_b32_e32 v19, 0x7f800001
	s_mov_b32 s15, exec_lo
	v_cmpx_ne_u32_e32 0x7f, v73
	s_cbranch_execz .LBB386_513
; %bb.510:                              ;   in Loop: Header=BB386_269 Depth=1
	v_and_b32_sdwa v10, v17, v36 dst_sel:DWORD dst_unused:UNUSED_PAD src0_sel:BYTE_3 src1_sel:DWORD
	v_lshrrev_b32_e32 v16, 3, v73
	s_mov_b32 s16, exec_lo
	v_cmpx_gt_u32_e32 8, v73
; %bb.511:                              ;   in Loop: Header=BB386_269 Depth=1
	v_ffbh_u32_e32 v16, v10
	v_min_u32_e32 v16, 32, v16
	v_subrev_nc_u32_e32 v19, 28, v16
	v_sub_nc_u32_e32 v16, 29, v16
	v_lshlrev_b64 v[73:74], v19, v[10:11]
	v_and_b32_e32 v10, 7, v73
; %bb.512:                              ;   in Loop: Header=BB386_269 Depth=1
	s_or_b32 exec_lo, exec_lo, s16
	v_lshlrev_b32_sdwa v17, v37, v17 dst_sel:DWORD dst_unused:UNUSED_PAD src0_sel:DWORD src1_sel:BYTE_3
	v_lshlrev_b32_e32 v10, 20, v10
	v_lshl_add_u32 v16, v16, 23, 0x3c000000
	v_and_b32_e32 v17, 0x80000000, v17
	v_or3_b32 v19, v10, v17, v16
.LBB386_513:                            ;   in Loop: Header=BB386_269 Depth=1
	s_or_b32 exec_lo, exec_lo, s15
.LBB386_514:                            ;   in Loop: Header=BB386_269 Depth=1
	s_or_b32 exec_lo, exec_lo, s14
.LBB386_515:                            ;   in Loop: Header=BB386_269 Depth=1
	s_or_b32 exec_lo, exec_lo, s13
	v_mul_f32_e32 v10, s6, v18
	v_mul_f32_e32 v16, s6, v71
	;; [unrolled: 1-line block ×5, first 2 shown]
	v_bfe_u32 v69, v10, 16, 1
	v_or_b32_e32 v70, 0x400000, v10
	v_bfe_u32 v71, v16, 16, 1
	v_cmp_u_f32_e64 s0, v10, v10
	v_or_b32_e32 v73, 0x400000, v16
	v_add3_u32 v69, v69, v10, 0x7fff
	v_bfe_u32 v74, v17, 16, 1
	v_add3_u32 v71, v71, v16, 0x7fff
	v_or_b32_e32 v75, 0x400000, v17
	v_bfe_u32 v76, v18, 16, 1
	v_cndmask_b32_e64 v10, v69, v70, s0
	v_cmp_u_f32_e64 s0, v16, v16
	v_add3_u32 v74, v74, v17, 0x7fff
	v_or_b32_e32 v70, 0x400000, v18
	v_add3_u32 v69, v76, v18, 0x7fff
	v_mul_f32_e32 v67, s6, v67
	v_cndmask_b32_e64 v16, v71, v73, s0
	v_cmp_u_f32_e64 s0, v17, v17
	v_bfe_u32 v71, v68, 16, 1
	v_mul_f32_e32 v19, s6, v19
	v_lshrrev_b32_e32 v10, 16, v10
	v_lshrrev_b32_e32 v16, 16, v16
	v_cndmask_b32_e64 v17, v74, v75, s0
	v_cmp_u_f32_e64 s0, v18, v18
	v_or_b32_e32 v75, 0x400000, v19
	v_lshrrev_b32_e32 v17, 16, v17
	v_cndmask_b32_e64 v18, v69, v70, s0
	v_mul_f32_e32 v69, s6, v72
	v_add3_u32 v70, v71, v68, 0x7fff
	v_or_b32_e32 v71, 0x400000, v68
	v_bfe_u32 v72, v67, 16, 1
	v_cmp_u_f32_e64 s0, v68, v68
	v_bfe_u32 v73, v69, 16, 1
	v_or_b32_e32 v74, 0x400000, v69
	v_cndmask_b32_e64 v68, v70, v71, s0
	v_add3_u32 v71, v72, v67, 0x7fff
	v_or_b32_e32 v72, 0x400000, v67
	v_cmp_u_f32_e64 s0, v67, v67
	v_bfe_u32 v70, v19, 16, 1
	v_add3_u32 v73, v73, v69, 0x7fff
	v_lshrrev_b32_e32 v67, 16, v18
	v_lshrrev_b32_e32 v68, 16, v68
	v_cndmask_b32_e64 v71, v71, v72, s0
	v_cmp_u_f32_e64 s0, v69, v69
	v_add3_u32 v70, v70, v19, 0x7fff
	v_lshrrev_b32_e32 v69, 16, v71
	v_cndmask_b32_e64 v72, v73, v74, s0
	v_cmp_u_f32_e64 s0, v19, v19
	v_lshrrev_b32_e32 v19, 16, v72
	v_cndmask_b32_e64 v70, v70, v75, s0
	v_lshrrev_b32_e32 v18, 16, v70
	s_and_saveexec_b32 s0, vcc_lo
	s_cbranch_execz .LBB386_268
; %bb.516:                              ;   in Loop: Header=BB386_269 Depth=1
	v_cmp_gt_i32_e32 vcc_lo, s29, v46
	v_cndmask_b32_e32 v69, 0, v69, vcc_lo
	v_cmp_gt_i32_e32 vcc_lo, s29, v52
	v_cndmask_b32_e32 v68, 0, v68, vcc_lo
	;; [unrolled: 2-line block ×8, first 2 shown]
	s_branch .LBB386_268
.LBB386_517:
	s_or_b32 exec_lo, exec_lo, s12
.LBB386_518:
	s_or_b32 exec_lo, exec_lo, s1
	ds_bpermute_b32 v1, v24, v28
	ds_bpermute_b32 v2, v24, v30
	;; [unrolled: 1-line block ×4, first 2 shown]
	v_lshrrev_b32_e32 v5, 2, v23
	v_and_b32_e32 v12, 0x3c3, v0
	s_mov_b32 s0, exec_lo
	s_waitcnt lgkmcnt(0)
	s_waitcnt_vscnt null, 0x0
	s_barrier
	buffer_gl0_inv
	v_add_f32_e32 v1, v28, v1
	v_add_f32_e32 v2, v30, v2
	;; [unrolled: 1-line block ×4, first 2 shown]
	v_and_b32_e32 v4, 28, v23
	ds_bpermute_b32 v3, v25, v1
	ds_bpermute_b32 v9, v25, v2
	;; [unrolled: 1-line block ×4, first 2 shown]
	v_add_nc_u32_e32 v6, 0x60, v4
	s_waitcnt lgkmcnt(3)
	v_add_f32_e32 v4, v1, v3
	s_waitcnt lgkmcnt(2)
	v_add_f32_e32 v3, v2, v9
	;; [unrolled: 2-line block ×4, first 2 shown]
	v_cmpx_eq_u32_e32 64, v12
	s_cbranch_execz .LBB386_520
; %bb.519:
	v_lshl_add_u32 v7, v22, 7, v6
	v_add_nc_u32_e32 v8, 0xffffff00, v7
	v_add_nc_u32_e32 v9, 0xffffff20, v7
	;; [unrolled: 1-line block ×4, first 2 shown]
	ds_write_b32 v8, v4
	ds_write_b32 v9, v3
	;; [unrolled: 1-line block ×4, first 2 shown]
.LBB386_520:
	s_or_b32 exec_lo, exec_lo, s0
	v_and_b32_e32 v7, 0x3e0, v0
	v_lshlrev_b32_e32 v5, 2, v5
	s_mov_b32 s1, exec_lo
	v_cmp_eq_u32_e32 vcc_lo, 0, v26
	s_waitcnt lgkmcnt(0)
	v_lshlrev_b32_e32 v7, 2, v7
	s_barrier
	buffer_gl0_inv
	v_add3_u32 v5, 0x60, v7, v5
	v_cmpx_gt_u32_e32 64, v0
	s_cbranch_execz .LBB386_527
; %bb.521:
	s_and_saveexec_b32 s0, vcc_lo
	s_cbranch_execnz .LBB386_539
; %bb.522:
	s_or_b32 exec_lo, exec_lo, s0
	s_and_saveexec_b32 s0, vcc_lo
	s_cbranch_execnz .LBB386_540
.LBB386_523:
	s_or_b32 exec_lo, exec_lo, s0
	s_and_saveexec_b32 s0, vcc_lo
	s_cbranch_execnz .LBB386_541
.LBB386_524:
	s_or_b32 exec_lo, exec_lo, s0
	s_and_saveexec_b32 s0, vcc_lo
	s_cbranch_execz .LBB386_526
.LBB386_525:
	ds_read_b32 v7, v5 offset:96
	s_waitcnt lgkmcnt(0)
	v_add_f32_e32 v1, v1, v7
.LBB386_526:
	s_or_b32 exec_lo, exec_lo, s0
.LBB386_527:
	s_or_b32 exec_lo, exec_lo, s1
	v_and_b32_e32 v7, 0x3e3, v0
	s_mov_b32 s1, exec_lo
	s_barrier
	buffer_gl0_inv
	v_cmpx_eq_u32_e32 32, v7
	s_cbranch_execz .LBB386_529
; %bb.528:
	ds_write2_b32 v6, v4, v3 offset1:8
	ds_write2_b32 v6, v2, v1 offset0:16 offset1:24
.LBB386_529:
	s_or_b32 exec_lo, exec_lo, s1
	s_mov_b32 s1, exec_lo
	s_waitcnt lgkmcnt(0)
	s_barrier
	buffer_gl0_inv
	v_cmpx_gt_u32_e32 32, v0
	s_cbranch_execz .LBB386_536
; %bb.530:
	s_and_saveexec_b32 s0, vcc_lo
	s_cbranch_execnz .LBB386_542
; %bb.531:
	s_or_b32 exec_lo, exec_lo, s0
	s_and_saveexec_b32 s0, vcc_lo
	s_cbranch_execnz .LBB386_543
.LBB386_532:
	s_or_b32 exec_lo, exec_lo, s0
	s_and_saveexec_b32 s0, vcc_lo
	s_cbranch_execnz .LBB386_544
.LBB386_533:
	s_or_b32 exec_lo, exec_lo, s0
	s_and_saveexec_b32 s0, vcc_lo
	s_cbranch_execz .LBB386_535
.LBB386_534:
	ds_read_b32 v5, v5 offset:96
	s_waitcnt lgkmcnt(0)
	v_add_f32_e32 v1, v1, v5
.LBB386_535:
	s_or_b32 exec_lo, exec_lo, s0
.LBB386_536:
	s_or_b32 exec_lo, exec_lo, s1
	s_barrier
	buffer_gl0_inv
	s_mov_b32 s0, exec_lo
	v_cmpx_eq_u32_e32 0, v7
	s_cbranch_execz .LBB386_538
; %bb.537:
	v_bfe_u32 v5, v4, 16, 1
	v_or_b32_e32 v6, 0x400000, v4
	v_bfe_u32 v7, v3, 16, 1
	v_cmp_u_f32_e32 vcc_lo, v4, v4
	s_lshl_b32 s0, s2, 5
	v_add3_u32 v5, v5, v4, 0x7fff
	s_ashr_i32 s1, s0, 31
	v_bfe_u32 v8, v2, 16, 1
	s_lshl_b64 s[0:1], s[0:1], 1
	s_mul_i32 s2, s7, s10
	v_cndmask_b32_e32 v4, v5, v6, vcc_lo
	v_add3_u32 v6, v7, v3, 0x7fff
	v_or_b32_e32 v7, 0x400000, v3
	v_cmp_u_f32_e32 vcc_lo, v3, v3
	s_add_u32 s4, s24, s0
	s_addc_u32 s5, s25, s1
	s_ashr_i32 s3, s2, 31
	v_bfe_u32 v5, v1, 16, 1
	s_lshl_b64 s[0:1], s[2:3], 1
	v_add3_u32 v8, v8, v2, 0x7fff
	v_or_b32_e32 v9, 0x400000, v2
	v_cndmask_b32_e32 v3, v6, v7, vcc_lo
	v_cmp_u_f32_e32 vcc_lo, v2, v2
	s_add_u32 s2, s4, s0
	s_addc_u32 s3, s5, s1
	s_lshl_b32 s0, s8, 5
	v_add3_u32 v5, v5, v1, 0x7fff
	s_ashr_i32 s1, s0, 31
	v_or_b32_e32 v10, 0x400000, v1
	v_cndmask_b32_e32 v2, v8, v9, vcc_lo
	v_cmp_u_f32_e32 vcc_lo, v1, v1
	v_lshrrev_b32_e32 v0, 1, v0
	s_lshl_b64 s[0:1], s[0:1], 1
	s_add_u32 s0, s2, s0
	s_addc_u32 s1, s3, s1
	v_cndmask_b32_e32 v1, v5, v10, vcc_lo
	global_store_short_d16_hi v0, v4, s[0:1]
	global_store_short_d16_hi v0, v3, s[0:1] offset:16
	global_store_short_d16_hi v0, v2, s[0:1] offset:32
	;; [unrolled: 1-line block ×3, first 2 shown]
.LBB386_538:
	s_endpgm
.LBB386_539:
	ds_read_b32 v7, v5
	s_waitcnt lgkmcnt(0)
	v_add_f32_e32 v4, v4, v7
	s_or_b32 exec_lo, exec_lo, s0
	s_and_saveexec_b32 s0, vcc_lo
	s_cbranch_execz .LBB386_523
.LBB386_540:
	ds_read_b32 v7, v5 offset:32
	s_waitcnt lgkmcnt(0)
	v_add_f32_e32 v3, v3, v7
	s_or_b32 exec_lo, exec_lo, s0
	s_and_saveexec_b32 s0, vcc_lo
	s_cbranch_execz .LBB386_524
.LBB386_541:
	ds_read_b32 v7, v5 offset:64
	s_waitcnt lgkmcnt(0)
	v_add_f32_e32 v2, v2, v7
	s_or_b32 exec_lo, exec_lo, s0
	s_and_saveexec_b32 s0, vcc_lo
	s_cbranch_execnz .LBB386_525
	s_branch .LBB386_526
.LBB386_542:
	ds_read_b32 v6, v5
	s_waitcnt lgkmcnt(0)
	v_add_f32_e32 v4, v4, v6
	s_or_b32 exec_lo, exec_lo, s0
	s_and_saveexec_b32 s0, vcc_lo
	s_cbranch_execz .LBB386_532
.LBB386_543:
	ds_read_b32 v6, v5 offset:32
	s_waitcnt lgkmcnt(0)
	v_add_f32_e32 v3, v3, v6
	s_or_b32 exec_lo, exec_lo, s0
	s_and_saveexec_b32 s0, vcc_lo
	s_cbranch_execz .LBB386_533
.LBB386_544:
	ds_read_b32 v6, v5 offset:64
	s_waitcnt lgkmcnt(0)
	v_add_f32_e32 v2, v2, v6
	s_or_b32 exec_lo, exec_lo, s0
	s_and_saveexec_b32 s0, vcc_lo
	s_cbranch_execnz .LBB386_534
	s_branch .LBB386_535
	.section	.rodata,"a",@progbits
	.p2align	6, 0x0
	.amdhsa_kernel _ZN4vllm25paged_attention_v2_kernelI14__hip_bfloat16hLi32ELi32ELi128ELNS_18Fp8KVCacheDataTypeE1ELb0ELi512EEEvPfS3_PT_PKS4_PKT0_SA_ifPKiSC_iPKfiiiSE_SE_iiiii
		.amdhsa_group_segment_fixed_size 96
		.amdhsa_private_segment_fixed_size 0
		.amdhsa_kernarg_size 400
		.amdhsa_user_sgpr_count 6
		.amdhsa_user_sgpr_private_segment_buffer 1
		.amdhsa_user_sgpr_dispatch_ptr 0
		.amdhsa_user_sgpr_queue_ptr 0
		.amdhsa_user_sgpr_kernarg_segment_ptr 1
		.amdhsa_user_sgpr_dispatch_id 0
		.amdhsa_user_sgpr_flat_scratch_init 0
		.amdhsa_user_sgpr_private_segment_size 0
		.amdhsa_wavefront_size32 1
		.amdhsa_uses_dynamic_stack 0
		.amdhsa_system_sgpr_private_segment_wavefront_offset 0
		.amdhsa_system_sgpr_workgroup_id_x 1
		.amdhsa_system_sgpr_workgroup_id_y 1
		.amdhsa_system_sgpr_workgroup_id_z 1
		.amdhsa_system_sgpr_workgroup_info 0
		.amdhsa_system_vgpr_workitem_id 0
		.amdhsa_next_free_vgpr 91
		.amdhsa_next_free_sgpr 43
		.amdhsa_reserve_vcc 1
		.amdhsa_reserve_flat_scratch 0
		.amdhsa_float_round_mode_32 0
		.amdhsa_float_round_mode_16_64 0
		.amdhsa_float_denorm_mode_32 3
		.amdhsa_float_denorm_mode_16_64 3
		.amdhsa_dx10_clamp 1
		.amdhsa_ieee_mode 1
		.amdhsa_fp16_overflow 0
		.amdhsa_workgroup_processor_mode 1
		.amdhsa_memory_ordered 1
		.amdhsa_forward_progress 1
		.amdhsa_shared_vgpr_count 0
		.amdhsa_exception_fp_ieee_invalid_op 0
		.amdhsa_exception_fp_denorm_src 0
		.amdhsa_exception_fp_ieee_div_zero 0
		.amdhsa_exception_fp_ieee_overflow 0
		.amdhsa_exception_fp_ieee_underflow 0
		.amdhsa_exception_fp_ieee_inexact 0
		.amdhsa_exception_int_div_zero 0
	.end_amdhsa_kernel
	.section	.text._ZN4vllm25paged_attention_v2_kernelI14__hip_bfloat16hLi32ELi32ELi128ELNS_18Fp8KVCacheDataTypeE1ELb0ELi512EEEvPfS3_PT_PKS4_PKT0_SA_ifPKiSC_iPKfiiiSE_SE_iiiii,"axG",@progbits,_ZN4vllm25paged_attention_v2_kernelI14__hip_bfloat16hLi32ELi32ELi128ELNS_18Fp8KVCacheDataTypeE1ELb0ELi512EEEvPfS3_PT_PKS4_PKT0_SA_ifPKiSC_iPKfiiiSE_SE_iiiii,comdat
.Lfunc_end386:
	.size	_ZN4vllm25paged_attention_v2_kernelI14__hip_bfloat16hLi32ELi32ELi128ELNS_18Fp8KVCacheDataTypeE1ELb0ELi512EEEvPfS3_PT_PKS4_PKT0_SA_ifPKiSC_iPKfiiiSE_SE_iiiii, .Lfunc_end386-_ZN4vllm25paged_attention_v2_kernelI14__hip_bfloat16hLi32ELi32ELi128ELNS_18Fp8KVCacheDataTypeE1ELb0ELi512EEEvPfS3_PT_PKS4_PKT0_SA_ifPKiSC_iPKfiiiSE_SE_iiiii
                                        ; -- End function
	.set _ZN4vllm25paged_attention_v2_kernelI14__hip_bfloat16hLi32ELi32ELi128ELNS_18Fp8KVCacheDataTypeE1ELb0ELi512EEEvPfS3_PT_PKS4_PKT0_SA_ifPKiSC_iPKfiiiSE_SE_iiiii.num_vgpr, 91
	.set _ZN4vllm25paged_attention_v2_kernelI14__hip_bfloat16hLi32ELi32ELi128ELNS_18Fp8KVCacheDataTypeE1ELb0ELi512EEEvPfS3_PT_PKS4_PKT0_SA_ifPKiSC_iPKfiiiSE_SE_iiiii.num_agpr, 0
	.set _ZN4vllm25paged_attention_v2_kernelI14__hip_bfloat16hLi32ELi32ELi128ELNS_18Fp8KVCacheDataTypeE1ELb0ELi512EEEvPfS3_PT_PKS4_PKT0_SA_ifPKiSC_iPKfiiiSE_SE_iiiii.numbered_sgpr, 43
	.set _ZN4vllm25paged_attention_v2_kernelI14__hip_bfloat16hLi32ELi32ELi128ELNS_18Fp8KVCacheDataTypeE1ELb0ELi512EEEvPfS3_PT_PKS4_PKT0_SA_ifPKiSC_iPKfiiiSE_SE_iiiii.num_named_barrier, 0
	.set _ZN4vllm25paged_attention_v2_kernelI14__hip_bfloat16hLi32ELi32ELi128ELNS_18Fp8KVCacheDataTypeE1ELb0ELi512EEEvPfS3_PT_PKS4_PKT0_SA_ifPKiSC_iPKfiiiSE_SE_iiiii.private_seg_size, 0
	.set _ZN4vllm25paged_attention_v2_kernelI14__hip_bfloat16hLi32ELi32ELi128ELNS_18Fp8KVCacheDataTypeE1ELb0ELi512EEEvPfS3_PT_PKS4_PKT0_SA_ifPKiSC_iPKfiiiSE_SE_iiiii.uses_vcc, 1
	.set _ZN4vllm25paged_attention_v2_kernelI14__hip_bfloat16hLi32ELi32ELi128ELNS_18Fp8KVCacheDataTypeE1ELb0ELi512EEEvPfS3_PT_PKS4_PKT0_SA_ifPKiSC_iPKfiiiSE_SE_iiiii.uses_flat_scratch, 0
	.set _ZN4vllm25paged_attention_v2_kernelI14__hip_bfloat16hLi32ELi32ELi128ELNS_18Fp8KVCacheDataTypeE1ELb0ELi512EEEvPfS3_PT_PKS4_PKT0_SA_ifPKiSC_iPKfiiiSE_SE_iiiii.has_dyn_sized_stack, 0
	.set _ZN4vllm25paged_attention_v2_kernelI14__hip_bfloat16hLi32ELi32ELi128ELNS_18Fp8KVCacheDataTypeE1ELb0ELi512EEEvPfS3_PT_PKS4_PKT0_SA_ifPKiSC_iPKfiiiSE_SE_iiiii.has_recursion, 0
	.set _ZN4vllm25paged_attention_v2_kernelI14__hip_bfloat16hLi32ELi32ELi128ELNS_18Fp8KVCacheDataTypeE1ELb0ELi512EEEvPfS3_PT_PKS4_PKT0_SA_ifPKiSC_iPKfiiiSE_SE_iiiii.has_indirect_call, 0
	.section	.AMDGPU.csdata,"",@progbits
; Kernel info:
; codeLenInByte = 21384
; TotalNumSgprs: 45
; NumVgprs: 91
; ScratchSize: 0
; MemoryBound: 0
; FloatMode: 240
; IeeeMode: 1
; LDSByteSize: 96 bytes/workgroup (compile time only)
; SGPRBlocks: 0
; VGPRBlocks: 11
; NumSGPRsForWavesPerEU: 45
; NumVGPRsForWavesPerEU: 91
; Occupancy: 10
; WaveLimiterHint : 1
; COMPUTE_PGM_RSRC2:SCRATCH_EN: 0
; COMPUTE_PGM_RSRC2:USER_SGPR: 6
; COMPUTE_PGM_RSRC2:TRAP_HANDLER: 0
; COMPUTE_PGM_RSRC2:TGID_X_EN: 1
; COMPUTE_PGM_RSRC2:TGID_Y_EN: 1
; COMPUTE_PGM_RSRC2:TGID_Z_EN: 1
; COMPUTE_PGM_RSRC2:TIDIG_COMP_CNT: 0
	.section	.text._ZN4vllm25paged_attention_v2_kernelI14__hip_bfloat16hLi64ELi32ELi128ELNS_18Fp8KVCacheDataTypeE1ELb0ELi512EEEvPfS3_PT_PKS4_PKT0_SA_ifPKiSC_iPKfiiiSE_SE_iiiii,"axG",@progbits,_ZN4vllm25paged_attention_v2_kernelI14__hip_bfloat16hLi64ELi32ELi128ELNS_18Fp8KVCacheDataTypeE1ELb0ELi512EEEvPfS3_PT_PKS4_PKT0_SA_ifPKiSC_iPKfiiiSE_SE_iiiii,comdat
	.protected	_ZN4vllm25paged_attention_v2_kernelI14__hip_bfloat16hLi64ELi32ELi128ELNS_18Fp8KVCacheDataTypeE1ELb0ELi512EEEvPfS3_PT_PKS4_PKT0_SA_ifPKiSC_iPKfiiiSE_SE_iiiii ; -- Begin function _ZN4vllm25paged_attention_v2_kernelI14__hip_bfloat16hLi64ELi32ELi128ELNS_18Fp8KVCacheDataTypeE1ELb0ELi512EEEvPfS3_PT_PKS4_PKT0_SA_ifPKiSC_iPKfiiiSE_SE_iiiii
	.globl	_ZN4vllm25paged_attention_v2_kernelI14__hip_bfloat16hLi64ELi32ELi128ELNS_18Fp8KVCacheDataTypeE1ELb0ELi512EEEvPfS3_PT_PKS4_PKT0_SA_ifPKiSC_iPKfiiiSE_SE_iiiii
	.p2align	8
	.type	_ZN4vllm25paged_attention_v2_kernelI14__hip_bfloat16hLi64ELi32ELi128ELNS_18Fp8KVCacheDataTypeE1ELb0ELi512EEEvPfS3_PT_PKS4_PKT0_SA_ifPKiSC_iPKfiiiSE_SE_iiiii,@function
_ZN4vllm25paged_attention_v2_kernelI14__hip_bfloat16hLi64ELi32ELi128ELNS_18Fp8KVCacheDataTypeE1ELb0ELi512EEEvPfS3_PT_PKS4_PKT0_SA_ifPKiSC_iPKfiiiSE_SE_iiiii: ; @_ZN4vllm25paged_attention_v2_kernelI14__hip_bfloat16hLi64ELi32ELi128ELNS_18Fp8KVCacheDataTypeE1ELb0ELi512EEEvPfS3_PT_PKS4_PKT0_SA_ifPKiSC_iPKfiiiSE_SE_iiiii
; %bb.0:
	s_mov_b64 s[46:47], s[2:3]
	s_mov_b64 s[44:45], s[0:1]
	s_load_dwordx2 s[0:1], s[4:5], 0x40
	s_add_u32 s44, s44, s9
	s_addc_u32 s45, s45, 0
	s_mov_b32 s28, s7
	s_ashr_i32 s29, s7, 31
	s_lshl_b64 s[2:3], s[28:29], 2
	s_waitcnt lgkmcnt(0)
	s_add_u32 s0, s0, s2
	s_addc_u32 s1, s1, s3
	s_lshl_b32 s33, s8, 9
	s_load_dword s29, s[0:1], 0x0
	s_waitcnt lgkmcnt(0)
	s_cmp_ge_i32 s33, s29
	s_cbranch_scc1 .LBB387_1034
; %bb.1:
	s_clause 0x1
	s_load_dword s9, s[4:5], 0x90
	s_load_dwordx2 s[2:3], s[4:5], 0x30
	v_mov_b32_e32 v22, v0
	s_mov_b32 s36, 0
	s_waitcnt lgkmcnt(0)
	s_abs_i32 s10, s9
	s_abs_i32 s0, s2
	s_xor_b32 s2, s9, s2
	v_cvt_f32_u32_e32 v0, s0
	s_sub_i32 s7, 0, s0
	s_ashr_i32 s2, s2, 31
	v_rcp_iflag_f32_e32 v0, v0
	v_mul_f32_e32 v0, 0x4f7ffffe, v0
	v_cvt_u32_f32_e32 v0, v0
	v_readfirstlane_b32 s1, v0
	s_mul_i32 s7, s7, s1
	s_mul_hi_u32 s7, s1, s7
	s_add_i32 s1, s1, s7
	s_mul_hi_u32 s1, s10, s1
	s_mul_i32 s7, s1, s0
	s_sub_i32 s7, s10, s7
	s_add_i32 s10, s1, 1
	s_sub_i32 s11, s7, s0
	s_cmp_ge_u32 s7, s0
	s_cselect_b32 s1, s10, s1
	s_cselect_b32 s7, s11, s7
	s_add_i32 s10, s1, 1
	s_cmp_ge_u32 s7, s0
	s_cselect_b32 s0, s10, s1
	s_abs_i32 s17, s6
	s_xor_b32 s0, s0, s2
	s_sub_i32 s10, s0, s2
	s_load_dwordx2 s[0:1], s[4:5], 0x50
	s_abs_i32 s2, s10
	v_cvt_f32_u32_e32 v0, s2
	s_sub_i32 s11, 0, s2
	v_rcp_iflag_f32_e32 v0, v0
	v_mul_f32_e32 v0, 0x4f7ffffe, v0
	v_cvt_u32_f32_e32 v0, v0
	v_readfirstlane_b32 s7, v0
	s_mul_i32 s11, s11, s7
	s_mul_hi_u32 s11, s7, s11
	s_add_i32 s7, s7, s11
	s_waitcnt lgkmcnt(0)
	s_cmp_eq_u64 s[0:1], 0
	s_mul_hi_u32 s16, s17, s7
	s_cbranch_scc1 .LBB387_3
; %bb.2:
	s_ashr_i32 s7, s6, 31
	s_lshl_b64 s[12:13], s[6:7], 2
	s_add_u32 s0, s0, s12
	s_addc_u32 s1, s1, s13
	s_load_dword s36, s[0:1], 0x0
.LBB387_3:
	s_clause 0x1
	s_load_dwordx2 s[26:27], s[4:5], 0x38
	s_load_dwordx4 s[12:15], s[4:5], 0x58
	s_ashr_i32 s0, s6, 31
	s_ashr_i32 s1, s10, 31
	s_lshl_b32 s10, s6, 6
	s_mov_b32 s7, exec_lo
	v_cmpx_gt_u32_e32 8, v22
	s_cbranch_execz .LBB387_5
; %bb.4:
	s_load_dwordx2 s[18:19], s[4:5], 0x18
	s_waitcnt lgkmcnt(0)
	s_mul_i32 s20, s12, s28
	v_lshlrev_b32_e32 v4, 4, v22
	s_ashr_i32 s21, s20, 31
	s_lshl_b64 s[20:21], s[20:21], 1
	s_add_u32 s12, s18, s20
	s_addc_u32 s15, s19, s21
	s_ashr_i32 s11, s10, 31
	s_lshl_b64 s[18:19], s[10:11], 1
	s_add_u32 s18, s12, s18
	s_addc_u32 s19, s15, s19
	global_load_dwordx4 v[0:3], v4, s[18:19]
	s_waitcnt vmcnt(0)
	ds_write_b128 v4, v[0:3]
.LBB387_5:
	s_or_b32 exec_lo, exec_lo, s7
	s_add_i32 s7, s29, 31
	s_waitcnt lgkmcnt(0)
	s_lshl_b32 s15, s8, 4
	s_ashr_i32 s11, s7, 31
	s_xor_b32 s0, s0, s1
	s_lshr_b32 s11, s11, 27
	s_mul_i32 s1, s16, s2
	s_add_i32 s7, s7, s11
	s_add_i32 s11, s15, 16
	s_ashr_i32 s12, s7, 5
	s_sub_i32 s1, s17, s1
	s_clause 0x3
	s_load_dwordx4 s[20:23], s[4:5], 0x0
	s_load_dwordx2 s[24:25], s[4:5], 0x10
	s_load_dwordx2 s[30:31], s[4:5], 0x28
	s_load_dword s34, s[4:5], 0x48
	s_min_i32 s11, s11, s12
	s_add_i32 s7, s16, 1
	s_sub_i32 s17, s1, s2
	s_cmp_ge_u32 s1, s2
	v_lshrrev_b32_e32 v35, 5, v22
	s_cselect_b32 s35, s7, s16
	s_cselect_b32 s1, s17, s1
	s_clause 0x1
	s_load_dword s7, s[4:5], 0x98
	s_load_dwordx4 s[16:19], s[4:5], 0x68
	s_add_i32 s37, s35, 1
	s_cmp_ge_u32 s1, s2
	v_add_nc_u32_e32 v9, s15, v35
	v_and_b32_e32 v112, 31, v22
	s_cselect_b32 s1, s37, s35
	v_mov_b32_e32 v82, 0xff7fffff
	s_xor_b32 s1, s1, s0
	v_ashrrev_i32_e32 v10, 31, v9
	s_sub_i32 s1, s1, s0
	v_cmp_gt_i32_e64 s0, s11, v9
	v_lshlrev_b32_e32 v27, 2, v112
	s_waitcnt lgkmcnt(0)
	s_mul_i32 s34, s34, s28
	s_mul_i32 s14, s1, s14
	s_ashr_i32 s35, s34, 31
	s_barrier
	buffer_gl0_inv
	s_and_saveexec_b32 s37, s0
	s_cbranch_execz .LBB387_489
; %bb.6:
	v_mov_b32_e32 v2, 0
	buffer_store_dword v22, off, s[44:47], 0 offset:88 ; 4-byte Folded Spill
	s_load_dwordx2 s[4:5], s[4:5], 0x20
	s_ashr_i32 s1, s14, 31
	v_lshl_or_b32 v7, v35, 7, v27
	ds_read_b128 v[3:6], v2
	ds_read_b128 v[11:14], v2 offset:16
	ds_read_b128 v[15:18], v2 offset:32
	ds_read_b128 v[19:22], v2 offset:48
	ds_read_b128 v[23:26], v2 offset:64
	s_load_dword s16, s[16:17], 0x0
	v_mov_b32_e32 v82, 0xff7fffff
	v_mov_b32_e32 v85, 0x80
	v_add_nc_u32_e32 v84, 0xa0, v7
	v_mov_b32_e32 v86, 0xffff
	v_mov_b32_e32 v87, 0xff
	;; [unrolled: 1-line block ×5, first 2 shown]
	s_mov_b32 s39, s13
	s_mov_b32 s17, 0
	s_waitcnt lgkmcnt(0)
	v_lshlrev_b32_e32 v0, 16, v3
	s_add_u32 s2, s4, s14
	v_lshlrev_b32_e32 v40, 16, v18
	v_and_b32_e32 v41, 0xffff0000, v18
	s_addc_u32 s1, s5, s1
	buffer_store_dword v0, off, s[44:47], 0 ; 4-byte Folded Spill
	v_and_b32_e32 v0, 0xffff0000, v3
	s_lshl_b64 s[4:5], s[34:35], 2
	s_sub_i32 s38, 1, s29
	s_add_u32 s4, s26, s4
	s_addc_u32 s5, s27, s5
	buffer_store_dword v0, off, s[44:47], 0 offset:4 ; 4-byte Folded Spill
	v_lshlrev_b32_e32 v0, 16, v4
	v_lshlrev_b32_e32 v42, 16, v19
	v_and_b32_e32 v43, 0xffff0000, v19
	v_lshlrev_b32_e32 v44, 16, v20
	v_and_b32_e32 v45, 0xffff0000, v20
	buffer_store_dword v0, off, s[44:47], 0 offset:8 ; 4-byte Folded Spill
	v_and_b32_e32 v0, 0xffff0000, v4
	v_lshlrev_b32_e32 v46, 16, v21
	v_and_b32_e32 v47, 0xffff0000, v21
	v_lshlrev_b32_e32 v48, 16, v22
	v_and_b32_e32 v49, 0xffff0000, v22
	buffer_store_dword v0, off, s[44:47], 0 offset:12 ; 4-byte Folded Spill
	v_lshlrev_b32_e32 v0, 16, v5
	v_lshlrev_b32_e32 v50, 16, v23
	v_and_b32_e32 v51, 0xffff0000, v23
	v_lshlrev_b32_e32 v52, 16, v24
	v_and_b32_e32 v53, 0xffff0000, v24
	buffer_store_dword v0, off, s[44:47], 0 offset:16 ; 4-byte Folded Spill
	v_and_b32_e32 v0, 0xffff0000, v5
	v_lshlrev_b32_e32 v54, 16, v25
	v_and_b32_e32 v55, 0xffff0000, v25
	v_lshlrev_b32_e32 v56, 16, v26
	v_and_b32_e32 v57, 0xffff0000, v26
	buffer_store_dword v0, off, s[44:47], 0 offset:20 ; 4-byte Folded Spill
	v_lshlrev_b32_e32 v0, 16, v6
	buffer_store_dword v0, off, s[44:47], 0 offset:24 ; 4-byte Folded Spill
	v_and_b32_e32 v0, 0xffff0000, v6
	ds_read_b128 v[3:6], v2 offset:80
	buffer_store_dword v0, off, s[44:47], 0 offset:28 ; 4-byte Folded Spill
	v_lshlrev_b32_e32 v0, 16, v11
	buffer_store_dword v0, off, s[44:47], 0 offset:32 ; 4-byte Folded Spill
	v_and_b32_e32 v0, 0xffff0000, v11
	buffer_store_dword v0, off, s[44:47], 0 offset:36 ; 4-byte Folded Spill
	v_lshlrev_b32_e32 v0, 16, v12
	buffer_store_dword v0, off, s[44:47], 0 offset:40 ; 4-byte Folded Spill
	v_and_b32_e32 v0, 0xffff0000, v12
	;; [unrolled: 4-line block ×4, first 2 shown]
	ds_read_b128 v[11:14], v2 offset:96
	s_waitcnt lgkmcnt(1)
	v_lshlrev_b32_e32 v58, 16, v3
	v_and_b32_e32 v59, 0xffff0000, v3
	v_lshlrev_b32_e32 v60, 16, v4
	buffer_store_dword v0, off, s[44:47], 0 offset:60 ; 4-byte Folded Spill
	v_lshlrev_b32_e32 v0, 16, v15
	v_and_b32_e32 v61, 0xffff0000, v4
	v_lshlrev_b32_e32 v62, 16, v5
	v_and_b32_e32 v63, 0xffff0000, v5
	v_lshlrev_b32_e32 v64, 16, v6
	buffer_store_dword v0, off, s[44:47], 0 offset:64 ; 4-byte Folded Spill
	v_and_b32_e32 v0, 0xffff0000, v15
	v_and_b32_e32 v65, 0xffff0000, v6
	buffer_store_dword v0, off, s[44:47], 0 offset:68 ; 4-byte Folded Spill
	v_lshlrev_b32_e32 v0, 16, v16
	s_waitcnt lgkmcnt(0)
	v_lshlrev_b32_e32 v66, 16, v11
	v_and_b32_e32 v67, 0xffff0000, v11
	buffer_store_dword v0, off, s[44:47], 0 offset:72 ; 4-byte Folded Spill
	v_and_b32_e32 v0, 0xffff0000, v16
	v_lshlrev_b32_e32 v68, 16, v12
	v_and_b32_e32 v69, 0xffff0000, v12
	v_lshlrev_b32_e32 v70, 16, v13
	v_and_b32_e32 v71, 0xffff0000, v13
	buffer_store_dword v0, off, s[44:47], 0 offset:76 ; 4-byte Folded Spill
	v_lshlrev_b32_e32 v0, 16, v17
	v_lshlrev_b32_e32 v72, 16, v14
	v_and_b32_e32 v73, 0xffff0000, v14
	buffer_store_dword v0, off, s[44:47], 0 offset:80 ; 4-byte Folded Spill
	v_and_b32_e32 v0, 0xffff0000, v17
	ds_read_b128 v[15:18], v2 offset:112
	buffer_store_dword v0, off, s[44:47], 0 offset:84 ; 4-byte Folded Spill
	v_lshlrev_b64 v[0:1], 2, v[9:10]
	buffer_store_dword v35, off, s[44:47], 0 offset:92 ; 4-byte Folded Spill
	buffer_store_dword v27, off, s[44:47], 0 offset:100 ; 4-byte Folded Spill
	;; [unrolled: 1-line block ×3, first 2 shown]
	v_add_co_u32 v3, vcc_lo, s4, v0
	v_lshlrev_b32_e32 v0, 4, v112
	v_add_co_ci_u32_e64 v4, null, s5, v1, vcc_lo
	v_lshlrev_b32_e32 v1, 5, v35
	v_cmp_neq_f32_e64 vcc_lo, s36, 0
	v_add_co_u32 v5, s2, s2, v0
	s_waitcnt lgkmcnt(0)
	v_lshlrev_b32_e32 v74, 16, v15
	v_and_b32_e32 v75, 0xffff0000, v15
	v_lshlrev_b32_e32 v76, 16, v16
	v_and_b32_e32 v77, 0xffff0000, v16
	;; [unrolled: 2-line block ×4, first 2 shown]
	v_add_co_ci_u32_e64 v6, null, s1, 0, s2
	v_add3_u32 v83, s33, v1, v112
	s_mov_b32 s4, -1
	s_mov_b32 s5, 0xffffff
	s_branch .LBB387_11
.LBB387_7:                              ;   in Loop: Header=BB387_11 Depth=1
	s_or_b32 exec_lo, exec_lo, s42
	v_lshlrev_b32_sdwa v8, v89, v8 dst_sel:DWORD dst_unused:UNUSED_PAD src0_sel:DWORD src1_sel:BYTE_3
	v_lshlrev_b32_e32 v1, 20, v1
	v_lshl_add_u32 v7, v7, 23, 0x3c000000
	v_and_b32_e32 v8, 0x80000000, v8
	v_or3_b32 v38, v1, v8, v7
.LBB387_8:                              ;   in Loop: Header=BB387_11 Depth=1
	s_or_b32 exec_lo, exec_lo, s41
.LBB387_9:                              ;   in Loop: Header=BB387_11 Depth=1
	s_or_b32 exec_lo, exec_lo, s40
.LBB387_10:                             ;   in Loop: Header=BB387_11 Depth=1
	s_or_b32 exec_lo, exec_lo, s2
	v_mul_f32_e32 v1, s16, v33
	v_mul_f32_e32 v21, s16, v21
	;; [unrolled: 1-line block ×5, first 2 shown]
	v_bfe_u32 v7, v1, 16, 1
	v_or_b32_e32 v8, 0x400000, v1
	v_cmp_u_f32_e64 s1, v1, v1
	v_mul_f32_e32 v0, s16, v0
	v_mul_f32_e32 v15, s16, v15
	v_add3_u32 v7, v7, v1, 0x7fff
	v_mul_f32_e32 v23, s16, v23
	v_mul_f32_e32 v102, s16, v102
	v_mul_f32_e32 v103, s16, v103
	v_mul_f32_e32 v101, s16, v101
	v_cndmask_b32_e64 v1, v7, v8, s1
	v_mul_f32_e32 v7, s16, v30
	v_mul_f32_e32 v100, s16, v100
	;; [unrolled: 1-line block ×5, first 2 shown]
	v_bfe_u32 v8, v7, 16, 1
	v_or_b32_e32 v11, 0x400000, v7
	v_cmp_u_f32_e64 s1, v7, v7
	v_mul_f32_e32 v94, s16, v94
	v_mul_f32_e32 v93, s16, v93
	v_add3_u32 v8, v8, v7, 0x7fff
	v_mul_f32_e32 v92, s16, v92
	v_mul_f32_e32 v91, s16, v91
	;; [unrolled: 1-line block ×4, first 2 shown]
	v_cndmask_b32_e64 v7, v8, v11, s1
	v_mul_f32_e32 v8, s16, v28
	v_mul_f32_e32 v32, s16, v32
	;; [unrolled: 1-line block ×5, first 2 shown]
	v_bfe_u32 v11, v8, 16, 1
	v_or_b32_e32 v12, 0x400000, v8
	v_cmp_u_f32_e64 s1, v8, v8
	v_and_b32_e32 v7, 0xffff0000, v7
	v_and_b32_e32 v1, 0xffff0000, v1
	v_add3_u32 v11, v11, v8, 0x7fff
	v_mul_f32_e32 v8, s16, v27
	v_add_nc_u32_e32 v90, 4, v90
	v_add_co_u32 v3, s2, v3, 16
	v_cndmask_b32_e64 v12, v11, v12, s1
	v_bfe_u32 v11, v8, 16, 1
	v_or_b32_e32 v27, 0x400000, v8
	v_cmp_u_f32_e64 s1, v8, v8
	v_add_co_ci_u32_e64 v4, null, 0, v4, s2
	v_add3_u32 v11, v11, v8, 0x7fff
	v_mul_f32_e32 v8, s16, v26
	v_cndmask_b32_e64 v27, v11, v27, s1
	v_bfe_u32 v11, v8, 16, 1
	v_or_b32_e32 v26, 0x400000, v8
	v_cmp_u_f32_e64 s1, v8, v8
	v_add3_u32 v11, v11, v8, 0x7fff
	v_mul_f32_e32 v8, s16, v25
	v_cndmask_b32_e64 v26, v11, v26, s1
	v_bfe_u32 v11, v8, 16, 1
	v_or_b32_e32 v25, 0x400000, v8
	v_cmp_u_f32_e64 s1, v8, v8
	;; [unrolled: 6-line block ×4, first 2 shown]
	v_add3_u32 v28, v28, v8, 0x7fff
	v_cndmask_b32_e64 v8, v28, v30, s1
	v_bfe_u32 v28, v21, 16, 1
	v_or_b32_e32 v30, 0x400000, v21
	v_cmp_u_f32_e64 s1, v21, v21
	v_add3_u32 v28, v28, v21, 0x7fff
	v_cndmask_b32_e64 v21, v28, v30, s1
	v_bfe_u32 v28, v19, 16, 1
	v_or_b32_e32 v30, 0x400000, v19
	v_cmp_u_f32_e64 s1, v19, v19
	;; [unrolled: 5-line block ×5, first 2 shown]
	v_add3_u32 v28, v28, v0, 0x7fff
	v_mul_f32_e32 v0, s16, v16
	v_cndmask_b32_e64 v28, v28, v30, s1
	v_bfe_u32 v16, v0, 16, 1
	v_or_b32_e32 v30, 0x400000, v0
	v_cmp_u_f32_e64 s1, v0, v0
	v_add3_u32 v16, v16, v0, 0x7fff
	v_mul_f32_e32 v0, s16, v20
	v_cndmask_b32_e64 v30, v16, v30, s1
	v_bfe_u32 v16, v0, 16, 1
	v_or_b32_e32 v20, 0x400000, v0
	v_cmp_u_f32_e64 s1, v0, v0
	v_add3_u32 v16, v16, v0, 0x7fff
	v_cndmask_b32_e64 v0, v16, v20, s1
	v_mul_f32_e32 v16, s16, v24
	v_and_b32_e32 v0, 0xffff0000, v0
	v_bfe_u32 v20, v16, 16, 1
	v_or_b32_e32 v24, 0x400000, v16
	v_cmp_u_f32_e64 s1, v16, v16
	v_add3_u32 v20, v20, v16, 0x7fff
	v_cndmask_b32_e64 v16, v20, v24, s1
	v_mul_f32_e32 v20, s16, v22
	v_bfe_u32 v22, v20, 16, 1
	v_or_b32_e32 v24, 0x400000, v20
	v_cmp_u_f32_e64 s1, v20, v20
	v_add3_u32 v22, v22, v20, 0x7fff
	v_cndmask_b32_e64 v20, v22, v24, s1
	v_mul_f32_e32 v22, s16, v127
	v_and_b32_e32 v20, 0xffff0000, v20
	v_bfe_u32 v24, v22, 16, 1
	v_or_b32_e32 v31, 0x400000, v22
	v_cmp_u_f32_e64 s1, v22, v22
	v_add3_u32 v24, v24, v22, 0x7fff
	v_cndmask_b32_e64 v22, v24, v31, s1
	v_mul_f32_e32 v24, s16, v126
	v_and_b32_e32 v22, 0xffff0000, v22
	;; [unrolled: 7-line block ×5, first 2 shown]
	v_bfe_u32 v39, v35, 16, 1
	v_or_b32_e32 v123, 0x400000, v35
	v_cmp_u_f32_e64 s1, v35, v35
	v_add3_u32 v39, v39, v35, 0x7fff
	v_cndmask_b32_e64 v35, v39, v123, s1
	v_bfe_u32 v39, v15, 16, 1
	v_or_b32_e32 v123, 0x400000, v15
	v_cmp_u_f32_e64 s1, v15, v15
	v_and_b32_e32 v35, 0xffff0000, v35
	v_add3_u32 v39, v39, v15, 0x7fff
	v_cndmask_b32_e64 v15, v39, v123, s1
	v_bfe_u32 v39, v23, 16, 1
	v_or_b32_e32 v123, 0x400000, v23
	v_cmp_u_f32_e64 s1, v23, v23
	v_and_b32_e32 v15, 0xffff0000, v15
	v_add3_u32 v39, v39, v23, 0x7fff
	v_cndmask_b32_e64 v23, v39, v123, s1
	v_mul_f32_e32 v39, s16, v121
	v_bfe_u32 v121, v39, 16, 1
	v_or_b32_e32 v123, 0x400000, v39
	v_cmp_u_f32_e64 s1, v39, v39
	v_add3_u32 v121, v121, v39, 0x7fff
	v_mul_f32_e32 v39, s16, v118
	v_cndmask_b32_e64 v121, v121, v123, s1
	v_bfe_u32 v118, v39, 16, 1
	v_or_b32_e32 v123, 0x400000, v39
	v_cmp_u_f32_e64 s1, v39, v39
	v_add3_u32 v118, v118, v39, 0x7fff
	v_mul_f32_e32 v39, s16, v119
	v_cndmask_b32_e64 v118, v118, v123, s1
	;; [unrolled: 6-line block ×16, first 2 shown]
	v_bfe_u32 v105, v39, 16, 1
	v_or_b32_e32 v112, 0x400000, v39
	v_cmp_u_f32_e64 s1, v39, v39
	v_add3_u32 v105, v105, v39, 0x7fff
	v_cndmask_b32_e64 v39, v105, v112, s1
	v_bfe_u32 v105, v102, 16, 1
	v_or_b32_e32 v112, 0x400000, v102
	v_cmp_u_f32_e64 s1, v102, v102
	v_add3_u32 v105, v105, v102, 0x7fff
	v_cndmask_b32_e64 v102, v105, v112, s1
	;; [unrolled: 5-line block ×7, first 2 shown]
	v_mul_f32_e32 v105, s16, v106
	v_bfe_u32 v106, v105, 16, 1
	v_or_b32_e32 v112, 0x400000, v105
	v_cmp_u_f32_e64 s1, v105, v105
	v_add3_u32 v106, v106, v105, 0x7fff
	v_cndmask_b32_e64 v105, v106, v112, s1
	v_bfe_u32 v106, v97, 16, 1
	v_or_b32_e32 v112, 0x400000, v97
	v_cmp_u_f32_e64 s1, v97, v97
	v_add3_u32 v106, v106, v97, 0x7fff
	v_bfe_u32 v97, v94, 16, 1
	v_cndmask_b32_e64 v106, v106, v112, s1
	v_add3_u32 v97, v97, v94, 0x7fff
	v_or_b32_e32 v112, 0x400000, v94
	v_cmp_u_f32_e64 s1, v94, v94
	v_mul_f32_e32 v94, s16, v95
	v_cndmask_b32_e64 v112, v97, v112, s1
	v_bfe_u32 v95, v94, 16, 1
	v_or_b32_e32 v97, 0x400000, v94
	v_cmp_u_f32_e64 s1, v94, v94
	v_add3_u32 v95, v95, v94, 0x7fff
	v_bfe_u32 v94, v93, 16, 1
	v_cndmask_b32_e64 v114, v95, v97, s1
	v_add3_u32 v94, v94, v93, 0x7fff
	v_or_b32_e32 v95, 0x400000, v93
	v_cmp_u_f32_e64 s1, v93, v93
	v_cndmask_b32_e64 v93, v94, v95, s1
	v_bfe_u32 v94, v92, 16, 1
	v_or_b32_e32 v95, 0x400000, v92
	v_cmp_u_f32_e64 s1, v92, v92
	v_add3_u32 v94, v94, v92, 0x7fff
	v_cndmask_b32_e64 v92, v94, v95, s1
	v_bfe_u32 v94, v91, 16, 1
	v_or_b32_e32 v95, 0x400000, v91
	v_cmp_u_f32_e64 s1, v91, v91
	v_add3_u32 v94, v94, v91, 0x7fff
	v_cndmask_b32_e64 v91, v94, v95, s1
	v_mul_f32_e32 v94, s16, v96
	v_bfe_u32 v95, v94, 16, 1
	v_or_b32_e32 v96, 0x400000, v94
	v_cmp_u_f32_e64 s1, v94, v94
	v_add3_u32 v95, v95, v94, 0x7fff
	v_mul_f32_e32 v94, s16, v98
	v_cndmask_b32_e64 v125, v95, v96, s1
	v_bfe_u32 v95, v94, 16, 1
	v_or_b32_e32 v96, 0x400000, v94
	v_cmp_u_f32_e64 s1, v94, v94
	v_add3_u32 v95, v95, v94, 0x7fff
	v_bfe_u32 v94, v37, 16, 1
	v_cndmask_b32_e64 v126, v95, v96, s1
	v_add3_u32 v94, v94, v37, 0x7fff
	v_or_b32_e32 v95, 0x400000, v37
	v_cmp_u_f32_e64 s1, v37, v37
	v_cndmask_b32_e64 v37, v94, v95, s1
	v_bfe_u32 v94, v34, 16, 1
	v_or_b32_e32 v95, 0x400000, v34
	v_cmp_u_f32_e64 s1, v34, v34
	v_add3_u32 v94, v94, v34, 0x7fff
	v_cndmask_b32_e64 v34, v94, v95, s1
	v_bfe_u32 v94, v32, 16, 1
	v_or_b32_e32 v95, 0x400000, v32
	v_cmp_u_f32_e64 s1, v32, v32
	v_add3_u32 v94, v94, v32, 0x7fff
	;; [unrolled: 5-line block ×4, first 2 shown]
	v_bfe_u32 v14, v13, 16, 1
	v_cndmask_b32_e64 v94, v94, v95, s1
	v_add3_u32 v14, v14, v13, 0x7fff
	v_or_b32_e32 v95, 0x400000, v13
	v_cmp_u_f32_e64 s1, v13, v13
	v_mul_f32_e32 v13, s16, v36
	v_cndmask_b32_e64 v98, v14, v95, s1
	v_bfe_u32 v14, v13, 16, 1
	v_or_b32_e32 v36, 0x400000, v13
	v_cmp_u_f32_e64 s1, v13, v13
	v_add3_u32 v14, v14, v13, 0x7fff
	v_cndmask_b32_e64 v13, v14, v36, s1
	v_mul_f32_e32 v14, s16, v38
	v_bfe_u32 v36, v14, 16, 1
	v_or_b32_e32 v38, 0x400000, v14
	v_cmp_u_f32_e64 s1, v14, v14
	v_add3_u32 v36, v36, v14, 0x7fff
	v_cndmask_b32_e64 v14, v36, v38, s1
	v_and_b32_e32 v38, 0xffff0000, v91
	buffer_load_dword v91, off, s[44:47], 0 offset:32 ; 4-byte Folded Reload
	v_and_b32_e32 v36, 0xffff0000, v99
	v_and_b32_e32 v99, 0xffff0000, v126
	v_cmp_gt_i32_e64 s1, s29, v83
	s_waitcnt vmcnt(0)
	v_mul_f32_e32 v95, v91, v36
	s_clause 0x1
	buffer_load_dword v36, off, s[44:47], 0
	buffer_load_dword v91, off, s[44:47], 0 offset:36
	s_waitcnt vmcnt(1)
	v_fmac_f32_e32 v95, v36, v38
	v_and_b32_e32 v36, 0xffff0000, v100
	v_and_b32_e32 v38, 0xffff0000, v92
	s_waitcnt vmcnt(0)
	v_mul_f32_e32 v97, v91, v36
	s_clause 0x1
	buffer_load_dword v36, off, s[44:47], 0 offset:4
	buffer_load_dword v91, off, s[44:47], 0 offset:40
	s_waitcnt vmcnt(1)
	v_fmac_f32_e32 v97, v36, v38
	v_and_b32_e32 v36, 0xffff0000, v101
	v_and_b32_e32 v38, 0xffff0000, v93
	s_waitcnt vmcnt(0)
	v_mul_f32_e32 v96, v91, v36
	s_clause 0x1
	buffer_load_dword v36, off, s[44:47], 0 offset:8
	buffer_load_dword v91, off, s[44:47], 0 offset:44
	s_waitcnt vmcnt(1)
	v_fmac_f32_e32 v96, v36, v38
	v_and_b32_e32 v36, 0xffff0000, v103
	v_and_b32_e32 v38, 0xffff0000, v114
	s_waitcnt vmcnt(0)
	v_mul_f32_e32 v93, v91, v36
	s_clause 0x1
	buffer_load_dword v36, off, s[44:47], 0 offset:12
	buffer_load_dword v91, off, s[44:47], 0 offset:48
	s_waitcnt vmcnt(1)
	v_fmac_f32_e32 v93, v36, v38
	v_and_b32_e32 v36, 0xffff0000, v102
	v_and_b32_e32 v38, 0xffff0000, v112
	s_waitcnt vmcnt(0)
	v_mul_f32_e32 v92, v91, v36
	s_clause 0x1
	buffer_load_dword v36, off, s[44:47], 0 offset:16
	buffer_load_dword v91, off, s[44:47], 0 offset:56
	s_waitcnt vmcnt(1)
	v_fmac_f32_e32 v92, v36, v38
	v_and_b32_e32 v36, 0xffff0000, v39
	buffer_load_dword v39, off, s[44:47], 0 offset:52 ; 4-byte Folded Reload
	v_and_b32_e32 v38, 0xffff0000, v106
	s_waitcnt vmcnt(0)
	v_mul_f32_e32 v36, v39, v36
	buffer_load_dword v39, off, s[44:47], 0 offset:20 ; 4-byte Folded Reload
	s_waitcnt vmcnt(0)
	v_fmac_f32_e32 v36, v39, v38
	v_and_b32_e32 v38, 0xffff0000, v104
	v_and_b32_e32 v39, 0xffff0000, v125
	v_mul_f32_e32 v38, v91, v38
	buffer_load_dword v91, off, s[44:47], 0 offset:24 ; 4-byte Folded Reload
	s_waitcnt vmcnt(0)
	v_fmac_f32_e32 v38, v91, v39
	buffer_load_dword v91, off, s[44:47], 0 offset:60 ; 4-byte Folded Reload
	v_and_b32_e32 v39, 0xffff0000, v105
	s_waitcnt vmcnt(0)
	v_mul_f32_e32 v91, v91, v39
	buffer_load_dword v39, off, s[44:47], 0 offset:28 ; 4-byte Folded Reload
	s_waitcnt vmcnt(0)
	v_fmac_f32_e32 v91, v39, v99
	buffer_load_dword v99, off, s[44:47], 0 offset:64 ; 4-byte Folded Reload
	v_and_b32_e32 v39, 0xffff0000, v122
	s_waitcnt vmcnt(0)
	v_fmac_f32_e32 v95, v99, v39
	buffer_load_dword v99, off, s[44:47], 0 offset:68 ; 4-byte Folded Reload
	v_and_b32_e32 v39, 0xffff0000, v120
	;; [unrolled: 4-line block ×6, first 2 shown]
	s_waitcnt vmcnt(0)
	v_fmac_f32_e32 v36, v99, v39
	v_and_b32_e32 v39, 0xffff0000, v108
	v_fmac_f32_e32 v38, v40, v39
	v_and_b32_e32 v39, 0xffff0000, v107
	;; [unrolled: 2-line block ×4, first 2 shown]
	v_fmac_f32_e32 v95, v50, v35
	v_fmac_f32_e32 v97, v43, v39
	v_and_b32_e32 v39, 0xffff0000, v117
	v_fmac_f32_e32 v97, v51, v33
	v_fmac_f32_e32 v96, v44, v39
	v_and_b32_e32 v39, 0xffff0000, v119
	;; [unrolled: 3-line block ×7, first 2 shown]
	v_fmac_f32_e32 v38, v64, v0
	v_and_b32_e32 v0, 0xffff0000, v16
	v_fmac_f32_e32 v91, v57, v15
	v_and_b32_e32 v15, 0xffff0000, v30
	v_fmac_f32_e32 v91, v65, v0
	v_fmac_f32_e32 v95, v58, v15
	v_and_b32_e32 v15, 0xffff0000, v28
	v_and_b32_e32 v0, 0xffff0000, v25
	v_fmac_f32_e32 v97, v59, v15
	v_and_b32_e32 v15, 0xffff0000, v17
	v_fmac_f32_e32 v95, v66, v0
	;; [unrolled: 2-line block ×9, first 2 shown]
	v_fmac_f32_e32 v36, v63, v15
	v_and_b32_e32 v7, 0xffff0000, v32
	v_fmac_f32_e32 v97, v75, v0
	v_and_b32_e32 v0, 0xffff0000, v12
	v_fmac_f32_e32 v36, v71, v1
	v_and_b32_e32 v1, 0xffff0000, v34
	v_fmac_f32_e32 v93, v69, v0
	v_and_b32_e32 v0, 0xffff0000, v29
	v_fmac_f32_e32 v92, v78, v1
	v_and_b32_e32 v1, 0xffff0000, v11
	v_fmac_f32_e32 v93, v77, v7
	v_fmac_f32_e32 v96, v76, v0
	v_add_f32_e32 v0, v95, v97
	v_fmac_f32_e32 v38, v72, v1
	v_and_b32_e32 v1, 0xffff0000, v37
	v_add_f32_e32 v0, v0, v96
	v_fmac_f32_e32 v36, v79, v1
	v_and_b32_e32 v1, 0xffff0000, v8
	;; [unrolled: 3-line block ×4, first 2 shown]
	v_add_f32_e32 v0, v0, v36
	v_fmac_f32_e32 v91, v81, v1
	v_add_nc_u32_e32 v1, s38, v83
	v_add_f32_e32 v0, v0, v38
	v_add_nc_u32_e32 v83, 0x80, v83
	v_cvt_f32_i32_e32 v1, v1
	v_add_f32_e32 v0, v0, v91
	v_mul_f32_e32 v1, s36, v1
	v_cndmask_b32_e32 v1, 0, v1, vcc_lo
	v_fmac_f32_e32 v1, s3, v0
	v_max_f32_e32 v0, v82, v82
	v_max_f32_e32 v0, v0, v1
	v_cndmask_b32_e64 v1, 0, v1, s1
	v_cndmask_b32_e64 v82, v82, v0, s1
	v_cmp_le_i32_e64 s1, s11, v90
	ds_write_b32 v84, v1
	v_add_nc_u32_e32 v84, 0x200, v84
	s_or_b32 s17, s1, s17
	s_andn2_b32 exec_lo, exec_lo, s17
	s_cbranch_execz .LBB387_488
.LBB387_11:                             ; =>This Inner Loop Header: Depth=1
	global_load_dword v0, v[3:4], off
	v_mov_b32_e32 v91, 0
	s_waitcnt vmcnt(0)
	v_mad_i64_i32 v[7:8], null, v0, s39, v[5:6]
	global_load_dwordx2 v[11:12], v[7:8], off
	s_waitcnt vmcnt(0)
	v_cmp_ne_u16_sdwa s1, v11, v2 src0_sel:BYTE_0 src1_sel:DWORD
	s_and_saveexec_b32 s2, s1
	s_cbranch_execz .LBB387_17
; %bb.12:                               ;   in Loop: Header=BB387_11 Depth=1
	v_cmp_ne_u16_sdwa s1, v11, v85 src0_sel:BYTE_0 src1_sel:DWORD
	v_bfrev_b32_e32 v91, 1
	s_and_saveexec_b32 s40, s1
	s_cbranch_execz .LBB387_16
; %bb.13:                               ;   in Loop: Header=BB387_11 Depth=1
	v_and_b32_e32 v0, 0x7f, v11
	v_mov_b32_e32 v91, 0x7f800001
	s_mov_b32 s41, exec_lo
	v_cmpx_ne_u32_e32 0x7f, v0
	s_cbranch_execz .LBB387_15
; %bb.14:                               ;   in Loop: Header=BB387_11 Depth=1
	v_and_b32_e32 v1, 7, v11
	v_cmp_gt_u32_e64 s1, 8, v0
	v_lshrrev_b32_e32 v13, 3, v0
	v_ffbh_u32_e32 v1, v1
	v_min_u32_e32 v1, 32, v1
	v_subrev_nc_u32_e32 v14, 28, v1
	v_sub_nc_u32_e32 v1, 29, v1
	v_cndmask_b32_e64 v0, 0, v14, s1
	v_cndmask_b32_e64 v13, v13, v1, s1
	v_lshlrev_b64 v[0:1], v0, v[11:12]
	v_lshlrev_b32_e32 v1, 24, v11
	v_lshl_add_u32 v13, v13, 23, 0x3c000000
	v_lshlrev_b32_e32 v0, 20, v0
	v_and_b32_e32 v1, 0x80000000, v1
	v_and_b32_e32 v0, 0x700000, v0
	v_or3_b32 v91, v0, v1, v13
.LBB387_15:                             ;   in Loop: Header=BB387_11 Depth=1
	s_or_b32 exec_lo, exec_lo, s41
.LBB387_16:                             ;   in Loop: Header=BB387_11 Depth=1
	s_or_b32 exec_lo, exec_lo, s40
.LBB387_17:                             ;   in Loop: Header=BB387_11 Depth=1
	s_or_b32 exec_lo, exec_lo, s2
	v_cmp_ne_u16_sdwa s1, v11, v2 src0_sel:BYTE_1 src1_sel:DWORD
	v_mov_b32_e32 v93, 0
	v_mov_b32_e32 v92, 0
	s_and_saveexec_b32 s2, s1
	s_cbranch_execz .LBB387_25
; %bb.18:                               ;   in Loop: Header=BB387_11 Depth=1
	v_cmp_ne_u16_sdwa s1, v11, v85 src0_sel:BYTE_1 src1_sel:DWORD
	v_bfrev_b32_e32 v92, 1
	s_and_saveexec_b32 s40, s1
	s_cbranch_execz .LBB387_24
; %bb.19:                               ;   in Loop: Header=BB387_11 Depth=1
	v_and_b32_sdwa v0, v86, v11 dst_sel:DWORD dst_unused:UNUSED_PAD src0_sel:DWORD src1_sel:BYTE_1
	v_mov_b32_e32 v92, 0x7f800001
	s_mov_b32 s41, exec_lo
	v_and_b32_e32 v13, 0x7f, v0
	v_cmpx_ne_u32_e32 0x7f, v13
	s_cbranch_execz .LBB387_23
; %bb.20:                               ;   in Loop: Header=BB387_11 Depth=1
	v_and_b32_e32 v1, 7, v0
	v_lshrrev_b32_e32 v0, 3, v13
	s_mov_b32 s42, exec_lo
	v_cmpx_gt_u32_e32 8, v13
; %bb.21:                               ;   in Loop: Header=BB387_11 Depth=1
	v_ffbh_u32_e32 v0, v1
	v_min_u32_e32 v0, 32, v0
	v_subrev_nc_u32_e32 v13, 28, v0
	v_sub_nc_u32_e32 v0, 29, v0
	v_lshlrev_b64 v[13:14], v13, v[1:2]
	v_and_b32_e32 v1, 7, v13
; %bb.22:                               ;   in Loop: Header=BB387_11 Depth=1
	s_or_b32 exec_lo, exec_lo, s42
	v_lshlrev_b32_e32 v13, 16, v11
	v_lshlrev_b32_e32 v1, 20, v1
	v_lshl_add_u32 v0, v0, 23, 0x3c000000
	v_and_b32_e32 v13, 0x80000000, v13
	v_or3_b32 v92, v1, v13, v0
.LBB387_23:                             ;   in Loop: Header=BB387_11 Depth=1
	s_or_b32 exec_lo, exec_lo, s41
.LBB387_24:                             ;   in Loop: Header=BB387_11 Depth=1
	s_or_b32 exec_lo, exec_lo, s40
.LBB387_25:                             ;   in Loop: Header=BB387_11 Depth=1
	s_or_b32 exec_lo, exec_lo, s2
	v_and_b32_sdwa v0, v11, v87 dst_sel:DWORD dst_unused:UNUSED_PAD src0_sel:WORD_1 src1_sel:DWORD
	s_mov_b32 s2, exec_lo
	v_cmpx_ne_u16_e32 0, v0
	s_cbranch_execz .LBB387_33
; %bb.26:                               ;   in Loop: Header=BB387_11 Depth=1
	v_bfrev_b32_e32 v93, 1
	s_mov_b32 s40, exec_lo
	v_cmpx_ne_u16_e32 0x80, v0
	s_cbranch_execz .LBB387_32
; %bb.27:                               ;   in Loop: Header=BB387_11 Depth=1
	v_bfe_u32 v13, v11, 16, 7
	v_mov_b32_e32 v93, 0x7f800001
	s_mov_b32 s41, exec_lo
	v_cmpx_ne_u32_e32 0x7f, v13
	s_cbranch_execz .LBB387_31
; %bb.28:                               ;   in Loop: Header=BB387_11 Depth=1
	v_and_b32_sdwa v1, v11, v88 dst_sel:DWORD dst_unused:UNUSED_PAD src0_sel:WORD_1 src1_sel:DWORD
	v_lshrrev_b32_e32 v0, 3, v13
	s_mov_b32 s42, exec_lo
	v_cmpx_gt_u32_e32 8, v13
; %bb.29:                               ;   in Loop: Header=BB387_11 Depth=1
	v_ffbh_u32_e32 v0, v1
	v_min_u32_e32 v0, 32, v0
	v_subrev_nc_u32_e32 v13, 28, v0
	v_sub_nc_u32_e32 v0, 29, v0
	v_lshlrev_b64 v[13:14], v13, v[1:2]
	v_and_b32_e32 v1, 7, v13
; %bb.30:                               ;   in Loop: Header=BB387_11 Depth=1
	s_or_b32 exec_lo, exec_lo, s42
	v_lshlrev_b32_sdwa v13, v89, v11 dst_sel:DWORD dst_unused:UNUSED_PAD src0_sel:DWORD src1_sel:WORD_1
	v_lshlrev_b32_e32 v1, 20, v1
	v_lshl_add_u32 v0, v0, 23, 0x3c000000
	v_and_b32_e32 v13, 0x80000000, v13
	v_or3_b32 v93, v1, v13, v0
.LBB387_31:                             ;   in Loop: Header=BB387_11 Depth=1
	s_or_b32 exec_lo, exec_lo, s41
.LBB387_32:                             ;   in Loop: Header=BB387_11 Depth=1
	s_or_b32 exec_lo, exec_lo, s40
.LBB387_33:                             ;   in Loop: Header=BB387_11 Depth=1
	s_or_b32 exec_lo, exec_lo, s2
	v_mov_b32_e32 v94, 0
	v_mov_b32_e32 v95, 0
	s_mov_b32 s2, exec_lo
	v_cmpx_lt_u32_e32 0xffffff, v11
	s_cbranch_execz .LBB387_41
; %bb.34:                               ;   in Loop: Header=BB387_11 Depth=1
	v_cmp_ne_u32_sdwa s1, v11, v85 src0_sel:BYTE_3 src1_sel:DWORD
	v_bfrev_b32_e32 v95, 1
	s_and_saveexec_b32 s40, s1
	s_cbranch_execz .LBB387_40
; %bb.35:                               ;   in Loop: Header=BB387_11 Depth=1
	v_bfe_u32 v13, v11, 24, 7
	v_mov_b32_e32 v95, 0x7f800001
	s_mov_b32 s41, exec_lo
	v_cmpx_ne_u32_e32 0x7f, v13
	s_cbranch_execz .LBB387_39
; %bb.36:                               ;   in Loop: Header=BB387_11 Depth=1
	v_and_b32_sdwa v1, v11, v88 dst_sel:DWORD dst_unused:UNUSED_PAD src0_sel:BYTE_3 src1_sel:DWORD
	v_lshrrev_b32_e32 v0, 3, v13
	s_mov_b32 s42, exec_lo
	v_cmpx_gt_u32_e32 8, v13
; %bb.37:                               ;   in Loop: Header=BB387_11 Depth=1
	v_ffbh_u32_e32 v0, v1
	v_min_u32_e32 v0, 32, v0
	v_subrev_nc_u32_e32 v13, 28, v0
	v_sub_nc_u32_e32 v0, 29, v0
	v_lshlrev_b64 v[13:14], v13, v[1:2]
	v_and_b32_e32 v1, 7, v13
; %bb.38:                               ;   in Loop: Header=BB387_11 Depth=1
	s_or_b32 exec_lo, exec_lo, s42
	v_lshlrev_b32_sdwa v13, v89, v11 dst_sel:DWORD dst_unused:UNUSED_PAD src0_sel:DWORD src1_sel:BYTE_3
	v_lshlrev_b32_e32 v1, 20, v1
	v_lshl_add_u32 v0, v0, 23, 0x3c000000
	v_and_b32_e32 v13, 0x80000000, v13
	v_or3_b32 v95, v1, v13, v0
.LBB387_39:                             ;   in Loop: Header=BB387_11 Depth=1
	s_or_b32 exec_lo, exec_lo, s41
.LBB387_40:                             ;   in Loop: Header=BB387_11 Depth=1
	s_or_b32 exec_lo, exec_lo, s40
.LBB387_41:                             ;   in Loop: Header=BB387_11 Depth=1
	s_or_b32 exec_lo, exec_lo, s2
	v_mov_b32_e32 v1, v12
	v_cmp_ne_u16_sdwa s1, v12, v2 src0_sel:BYTE_0 src1_sel:DWORD
	s_and_saveexec_b32 s2, s1
	s_cbranch_execz .LBB387_47
; %bb.42:                               ;   in Loop: Header=BB387_11 Depth=1
	v_cmp_ne_u16_sdwa s1, v12, v85 src0_sel:BYTE_0 src1_sel:DWORD
	v_bfrev_b32_e32 v94, 1
	s_and_saveexec_b32 s40, s1
	s_cbranch_execz .LBB387_46
; %bb.43:                               ;   in Loop: Header=BB387_11 Depth=1
	v_and_b32_e32 v0, 0x7f, v12
	v_mov_b32_e32 v94, 0x7f800001
	s_mov_b32 s41, exec_lo
	v_cmpx_ne_u32_e32 0x7f, v0
	s_cbranch_execz .LBB387_45
; %bb.44:                               ;   in Loop: Header=BB387_11 Depth=1
	v_and_b32_e32 v13, 7, v12
	v_lshrrev_b32_e32 v14, 3, v0
	v_cmp_gt_u32_e64 s1, 8, v0
	v_ffbh_u32_e32 v13, v13
	v_min_u32_e32 v13, 32, v13
	v_subrev_nc_u32_e32 v15, 28, v13
	v_sub_nc_u32_e32 v13, 29, v13
	v_cndmask_b32_e64 v0, v14, v13, s1
	v_cndmask_b32_e64 v13, 0, v15, s1
	v_lshl_add_u32 v0, v0, 23, 0x3c000000
	v_lshlrev_b64 v[13:14], v13, v[1:2]
	v_lshlrev_b32_e32 v14, 24, v1
	v_lshlrev_b32_e32 v13, 20, v13
	v_and_b32_e32 v14, 0x80000000, v14
	v_and_b32_e32 v13, 0x700000, v13
	v_or3_b32 v94, v13, v14, v0
.LBB387_45:                             ;   in Loop: Header=BB387_11 Depth=1
	s_or_b32 exec_lo, exec_lo, s41
.LBB387_46:                             ;   in Loop: Header=BB387_11 Depth=1
	s_or_b32 exec_lo, exec_lo, s40
.LBB387_47:                             ;   in Loop: Header=BB387_11 Depth=1
	s_or_b32 exec_lo, exec_lo, s2
	v_cmp_ne_u16_sdwa s1, v1, v2 src0_sel:BYTE_1 src1_sel:DWORD
	v_mov_b32_e32 v96, 0
	v_mov_b32_e32 v97, 0
	s_and_saveexec_b32 s2, s1
	s_cbranch_execz .LBB387_55
; %bb.48:                               ;   in Loop: Header=BB387_11 Depth=1
	v_cmp_ne_u16_sdwa s1, v1, v85 src0_sel:BYTE_1 src1_sel:DWORD
	v_bfrev_b32_e32 v97, 1
	s_and_saveexec_b32 s40, s1
	s_cbranch_execz .LBB387_54
; %bb.49:                               ;   in Loop: Header=BB387_11 Depth=1
	v_and_b32_sdwa v0, v86, v1 dst_sel:DWORD dst_unused:UNUSED_PAD src0_sel:DWORD src1_sel:BYTE_1
	v_mov_b32_e32 v97, 0x7f800001
	s_mov_b32 s41, exec_lo
	v_and_b32_e32 v15, 0x7f, v0
	v_cmpx_ne_u32_e32 0x7f, v15
	s_cbranch_execz .LBB387_53
; %bb.50:                               ;   in Loop: Header=BB387_11 Depth=1
	v_and_b32_e32 v13, 7, v0
	v_mov_b32_e32 v14, v2
	v_lshrrev_b32_e32 v0, 3, v15
	s_mov_b32 s42, exec_lo
	v_cmpx_gt_u32_e32 8, v15
; %bb.51:                               ;   in Loop: Header=BB387_11 Depth=1
	v_ffbh_u32_e32 v0, v13
	v_min_u32_e32 v0, 32, v0
	v_subrev_nc_u32_e32 v15, 28, v0
	v_sub_nc_u32_e32 v0, 29, v0
	v_lshlrev_b64 v[13:14], v15, v[13:14]
	v_and_b32_e32 v13, 7, v13
; %bb.52:                               ;   in Loop: Header=BB387_11 Depth=1
	s_or_b32 exec_lo, exec_lo, s42
	v_lshlrev_b32_e32 v1, 16, v1
	v_lshlrev_b32_e32 v13, 20, v13
	v_lshl_add_u32 v0, v0, 23, 0x3c000000
	v_and_b32_e32 v1, 0x80000000, v1
	v_or3_b32 v97, v13, v1, v0
.LBB387_53:                             ;   in Loop: Header=BB387_11 Depth=1
	s_or_b32 exec_lo, exec_lo, s41
.LBB387_54:                             ;   in Loop: Header=BB387_11 Depth=1
	s_or_b32 exec_lo, exec_lo, s40
.LBB387_55:                             ;   in Loop: Header=BB387_11 Depth=1
	s_or_b32 exec_lo, exec_lo, s2
	v_and_b32_sdwa v0, v12, v87 dst_sel:DWORD dst_unused:UNUSED_PAD src0_sel:WORD_1 src1_sel:DWORD
	s_mov_b32 s2, exec_lo
	v_cmpx_ne_u16_e32 0, v0
	s_cbranch_execz .LBB387_63
; %bb.56:                               ;   in Loop: Header=BB387_11 Depth=1
	v_bfrev_b32_e32 v96, 1
	s_mov_b32 s40, exec_lo
	v_cmpx_ne_u16_e32 0x80, v0
	s_cbranch_execz .LBB387_62
; %bb.57:                               ;   in Loop: Header=BB387_11 Depth=1
	v_bfe_u32 v13, v12, 16, 7
	v_mov_b32_e32 v96, 0x7f800001
	s_mov_b32 s41, exec_lo
	v_cmpx_ne_u32_e32 0x7f, v13
	s_cbranch_execz .LBB387_61
; %bb.58:                               ;   in Loop: Header=BB387_11 Depth=1
	v_and_b32_sdwa v1, v12, v88 dst_sel:DWORD dst_unused:UNUSED_PAD src0_sel:WORD_1 src1_sel:DWORD
	v_lshrrev_b32_e32 v0, 3, v13
	s_mov_b32 s42, exec_lo
	v_cmpx_gt_u32_e32 8, v13
; %bb.59:                               ;   in Loop: Header=BB387_11 Depth=1
	v_ffbh_u32_e32 v0, v1
	v_min_u32_e32 v0, 32, v0
	v_subrev_nc_u32_e32 v13, 28, v0
	v_sub_nc_u32_e32 v0, 29, v0
	v_lshlrev_b64 v[13:14], v13, v[1:2]
	v_and_b32_e32 v1, 7, v13
; %bb.60:                               ;   in Loop: Header=BB387_11 Depth=1
	s_or_b32 exec_lo, exec_lo, s42
	v_lshlrev_b32_sdwa v13, v89, v12 dst_sel:DWORD dst_unused:UNUSED_PAD src0_sel:DWORD src1_sel:WORD_1
	v_lshlrev_b32_e32 v1, 20, v1
	v_lshl_add_u32 v0, v0, 23, 0x3c000000
	v_and_b32_e32 v13, 0x80000000, v13
	v_or3_b32 v96, v1, v13, v0
.LBB387_61:                             ;   in Loop: Header=BB387_11 Depth=1
	s_or_b32 exec_lo, exec_lo, s41
.LBB387_62:                             ;   in Loop: Header=BB387_11 Depth=1
	s_or_b32 exec_lo, exec_lo, s40
.LBB387_63:                             ;   in Loop: Header=BB387_11 Depth=1
	s_or_b32 exec_lo, exec_lo, s2
	v_mov_b32_e32 v99, 0
	v_mov_b32_e32 v98, 0
	s_mov_b32 s2, exec_lo
	v_cmpx_lt_u64_e64 s[4:5], v[11:12]
	s_cbranch_execz .LBB387_71
; %bb.64:                               ;   in Loop: Header=BB387_11 Depth=1
	v_cmp_ne_u32_sdwa s1, v12, v85 src0_sel:BYTE_3 src1_sel:DWORD
	v_bfrev_b32_e32 v98, 1
	s_and_saveexec_b32 s40, s1
	s_cbranch_execz .LBB387_70
; %bb.65:                               ;   in Loop: Header=BB387_11 Depth=1
	v_bfe_u32 v11, v12, 24, 7
	v_mov_b32_e32 v98, 0x7f800001
	s_mov_b32 s41, exec_lo
	v_cmpx_ne_u32_e32 0x7f, v11
	s_cbranch_execz .LBB387_69
; %bb.66:                               ;   in Loop: Header=BB387_11 Depth=1
	v_and_b32_sdwa v1, v12, v88 dst_sel:DWORD dst_unused:UNUSED_PAD src0_sel:BYTE_3 src1_sel:DWORD
	v_lshrrev_b32_e32 v0, 3, v11
	s_mov_b32 s42, exec_lo
	v_cmpx_gt_u32_e32 8, v11
; %bb.67:                               ;   in Loop: Header=BB387_11 Depth=1
	v_ffbh_u32_e32 v0, v1
	v_min_u32_e32 v0, 32, v0
	v_subrev_nc_u32_e32 v11, 28, v0
	v_sub_nc_u32_e32 v0, 29, v0
	v_lshlrev_b64 v[13:14], v11, v[1:2]
	v_and_b32_e32 v1, 7, v13
; %bb.68:                               ;   in Loop: Header=BB387_11 Depth=1
	s_or_b32 exec_lo, exec_lo, s42
	v_lshlrev_b32_sdwa v11, v89, v12 dst_sel:DWORD dst_unused:UNUSED_PAD src0_sel:DWORD src1_sel:BYTE_3
	v_lshlrev_b32_e32 v1, 20, v1
	v_lshl_add_u32 v0, v0, 23, 0x3c000000
	v_and_b32_e32 v11, 0x80000000, v11
	v_or3_b32 v98, v1, v11, v0
.LBB387_69:                             ;   in Loop: Header=BB387_11 Depth=1
	s_or_b32 exec_lo, exec_lo, s41
.LBB387_70:                             ;   in Loop: Header=BB387_11 Depth=1
	s_or_b32 exec_lo, exec_lo, s40
.LBB387_71:                             ;   in Loop: Header=BB387_11 Depth=1
	s_or_b32 exec_lo, exec_lo, s2
	global_load_dwordx2 v[11:12], v[7:8], off offset:8
	s_waitcnt vmcnt(0)
	v_cmp_ne_u16_sdwa s1, v11, v2 src0_sel:BYTE_0 src1_sel:DWORD
	s_and_saveexec_b32 s2, s1
	s_cbranch_execz .LBB387_77
; %bb.72:                               ;   in Loop: Header=BB387_11 Depth=1
	v_cmp_ne_u16_sdwa s1, v11, v85 src0_sel:BYTE_0 src1_sel:DWORD
	v_bfrev_b32_e32 v99, 1
	s_and_saveexec_b32 s40, s1
	s_cbranch_execz .LBB387_76
; %bb.73:                               ;   in Loop: Header=BB387_11 Depth=1
	v_and_b32_e32 v0, 0x7f, v11
	v_mov_b32_e32 v99, 0x7f800001
	s_mov_b32 s41, exec_lo
	v_cmpx_ne_u32_e32 0x7f, v0
	s_cbranch_execz .LBB387_75
; %bb.74:                               ;   in Loop: Header=BB387_11 Depth=1
	v_and_b32_e32 v1, 7, v11
	v_cmp_gt_u32_e64 s1, 8, v0
	v_lshrrev_b32_e32 v13, 3, v0
	v_ffbh_u32_e32 v1, v1
	v_min_u32_e32 v1, 32, v1
	v_subrev_nc_u32_e32 v14, 28, v1
	v_sub_nc_u32_e32 v1, 29, v1
	v_cndmask_b32_e64 v0, 0, v14, s1
	v_cndmask_b32_e64 v13, v13, v1, s1
	v_lshlrev_b64 v[0:1], v0, v[11:12]
	v_lshlrev_b32_e32 v1, 24, v11
	v_lshl_add_u32 v13, v13, 23, 0x3c000000
	v_lshlrev_b32_e32 v0, 20, v0
	v_and_b32_e32 v1, 0x80000000, v1
	v_and_b32_e32 v0, 0x700000, v0
	v_or3_b32 v99, v0, v1, v13
.LBB387_75:                             ;   in Loop: Header=BB387_11 Depth=1
	s_or_b32 exec_lo, exec_lo, s41
.LBB387_76:                             ;   in Loop: Header=BB387_11 Depth=1
	s_or_b32 exec_lo, exec_lo, s40
.LBB387_77:                             ;   in Loop: Header=BB387_11 Depth=1
	s_or_b32 exec_lo, exec_lo, s2
	v_cmp_ne_u16_sdwa s1, v11, v2 src0_sel:BYTE_1 src1_sel:DWORD
	v_mov_b32_e32 v101, 0
	v_mov_b32_e32 v100, 0
	s_and_saveexec_b32 s2, s1
	s_cbranch_execz .LBB387_85
; %bb.78:                               ;   in Loop: Header=BB387_11 Depth=1
	v_cmp_ne_u16_sdwa s1, v11, v85 src0_sel:BYTE_1 src1_sel:DWORD
	v_bfrev_b32_e32 v100, 1
	s_and_saveexec_b32 s40, s1
	s_cbranch_execz .LBB387_84
; %bb.79:                               ;   in Loop: Header=BB387_11 Depth=1
	v_and_b32_sdwa v0, v86, v11 dst_sel:DWORD dst_unused:UNUSED_PAD src0_sel:DWORD src1_sel:BYTE_1
	v_mov_b32_e32 v100, 0x7f800001
	s_mov_b32 s41, exec_lo
	v_and_b32_e32 v13, 0x7f, v0
	v_cmpx_ne_u32_e32 0x7f, v13
	s_cbranch_execz .LBB387_83
; %bb.80:                               ;   in Loop: Header=BB387_11 Depth=1
	v_and_b32_e32 v1, 7, v0
	v_lshrrev_b32_e32 v0, 3, v13
	s_mov_b32 s42, exec_lo
	v_cmpx_gt_u32_e32 8, v13
; %bb.81:                               ;   in Loop: Header=BB387_11 Depth=1
	v_ffbh_u32_e32 v0, v1
	v_min_u32_e32 v0, 32, v0
	v_subrev_nc_u32_e32 v13, 28, v0
	v_sub_nc_u32_e32 v0, 29, v0
	v_lshlrev_b64 v[13:14], v13, v[1:2]
	v_and_b32_e32 v1, 7, v13
; %bb.82:                               ;   in Loop: Header=BB387_11 Depth=1
	s_or_b32 exec_lo, exec_lo, s42
	v_lshlrev_b32_e32 v13, 16, v11
	v_lshlrev_b32_e32 v1, 20, v1
	v_lshl_add_u32 v0, v0, 23, 0x3c000000
	v_and_b32_e32 v13, 0x80000000, v13
	v_or3_b32 v100, v1, v13, v0
.LBB387_83:                             ;   in Loop: Header=BB387_11 Depth=1
	s_or_b32 exec_lo, exec_lo, s41
.LBB387_84:                             ;   in Loop: Header=BB387_11 Depth=1
	s_or_b32 exec_lo, exec_lo, s40
.LBB387_85:                             ;   in Loop: Header=BB387_11 Depth=1
	s_or_b32 exec_lo, exec_lo, s2
	v_and_b32_sdwa v0, v11, v87 dst_sel:DWORD dst_unused:UNUSED_PAD src0_sel:WORD_1 src1_sel:DWORD
	s_mov_b32 s2, exec_lo
	v_cmpx_ne_u16_e32 0, v0
	s_cbranch_execz .LBB387_93
; %bb.86:                               ;   in Loop: Header=BB387_11 Depth=1
	v_bfrev_b32_e32 v101, 1
	s_mov_b32 s40, exec_lo
	v_cmpx_ne_u16_e32 0x80, v0
	s_cbranch_execz .LBB387_92
; %bb.87:                               ;   in Loop: Header=BB387_11 Depth=1
	v_bfe_u32 v13, v11, 16, 7
	v_mov_b32_e32 v101, 0x7f800001
	s_mov_b32 s41, exec_lo
	v_cmpx_ne_u32_e32 0x7f, v13
	s_cbranch_execz .LBB387_91
; %bb.88:                               ;   in Loop: Header=BB387_11 Depth=1
	v_and_b32_sdwa v1, v11, v88 dst_sel:DWORD dst_unused:UNUSED_PAD src0_sel:WORD_1 src1_sel:DWORD
	v_lshrrev_b32_e32 v0, 3, v13
	s_mov_b32 s42, exec_lo
	v_cmpx_gt_u32_e32 8, v13
; %bb.89:                               ;   in Loop: Header=BB387_11 Depth=1
	v_ffbh_u32_e32 v0, v1
	v_min_u32_e32 v0, 32, v0
	v_subrev_nc_u32_e32 v13, 28, v0
	v_sub_nc_u32_e32 v0, 29, v0
	v_lshlrev_b64 v[13:14], v13, v[1:2]
	v_and_b32_e32 v1, 7, v13
; %bb.90:                               ;   in Loop: Header=BB387_11 Depth=1
	s_or_b32 exec_lo, exec_lo, s42
	v_lshlrev_b32_sdwa v13, v89, v11 dst_sel:DWORD dst_unused:UNUSED_PAD src0_sel:DWORD src1_sel:WORD_1
	v_lshlrev_b32_e32 v1, 20, v1
	v_lshl_add_u32 v0, v0, 23, 0x3c000000
	v_and_b32_e32 v13, 0x80000000, v13
	v_or3_b32 v101, v1, v13, v0
.LBB387_91:                             ;   in Loop: Header=BB387_11 Depth=1
	s_or_b32 exec_lo, exec_lo, s41
.LBB387_92:                             ;   in Loop: Header=BB387_11 Depth=1
	s_or_b32 exec_lo, exec_lo, s40
.LBB387_93:                             ;   in Loop: Header=BB387_11 Depth=1
	s_or_b32 exec_lo, exec_lo, s2
	v_mov_b32_e32 v102, 0
	v_mov_b32_e32 v103, 0
	s_mov_b32 s2, exec_lo
	v_cmpx_lt_u32_e32 0xffffff, v11
	s_cbranch_execz .LBB387_101
; %bb.94:                               ;   in Loop: Header=BB387_11 Depth=1
	v_cmp_ne_u32_sdwa s1, v11, v85 src0_sel:BYTE_3 src1_sel:DWORD
	v_bfrev_b32_e32 v103, 1
	s_and_saveexec_b32 s40, s1
	s_cbranch_execz .LBB387_100
; %bb.95:                               ;   in Loop: Header=BB387_11 Depth=1
	v_bfe_u32 v13, v11, 24, 7
	v_mov_b32_e32 v103, 0x7f800001
	s_mov_b32 s41, exec_lo
	v_cmpx_ne_u32_e32 0x7f, v13
	s_cbranch_execz .LBB387_99
; %bb.96:                               ;   in Loop: Header=BB387_11 Depth=1
	v_and_b32_sdwa v1, v11, v88 dst_sel:DWORD dst_unused:UNUSED_PAD src0_sel:BYTE_3 src1_sel:DWORD
	v_lshrrev_b32_e32 v0, 3, v13
	s_mov_b32 s42, exec_lo
	v_cmpx_gt_u32_e32 8, v13
; %bb.97:                               ;   in Loop: Header=BB387_11 Depth=1
	v_ffbh_u32_e32 v0, v1
	v_min_u32_e32 v0, 32, v0
	v_subrev_nc_u32_e32 v13, 28, v0
	v_sub_nc_u32_e32 v0, 29, v0
	v_lshlrev_b64 v[13:14], v13, v[1:2]
	v_and_b32_e32 v1, 7, v13
; %bb.98:                               ;   in Loop: Header=BB387_11 Depth=1
	s_or_b32 exec_lo, exec_lo, s42
	v_lshlrev_b32_sdwa v13, v89, v11 dst_sel:DWORD dst_unused:UNUSED_PAD src0_sel:DWORD src1_sel:BYTE_3
	v_lshlrev_b32_e32 v1, 20, v1
	v_lshl_add_u32 v0, v0, 23, 0x3c000000
	v_and_b32_e32 v13, 0x80000000, v13
	v_or3_b32 v103, v1, v13, v0
.LBB387_99:                             ;   in Loop: Header=BB387_11 Depth=1
	s_or_b32 exec_lo, exec_lo, s41
.LBB387_100:                            ;   in Loop: Header=BB387_11 Depth=1
	s_or_b32 exec_lo, exec_lo, s40
.LBB387_101:                            ;   in Loop: Header=BB387_11 Depth=1
	s_or_b32 exec_lo, exec_lo, s2
	v_mov_b32_e32 v1, v12
	v_cmp_ne_u16_sdwa s1, v12, v2 src0_sel:BYTE_0 src1_sel:DWORD
	s_and_saveexec_b32 s2, s1
	s_cbranch_execz .LBB387_107
; %bb.102:                              ;   in Loop: Header=BB387_11 Depth=1
	v_cmp_ne_u16_sdwa s1, v12, v85 src0_sel:BYTE_0 src1_sel:DWORD
	v_bfrev_b32_e32 v102, 1
	s_and_saveexec_b32 s40, s1
	s_cbranch_execz .LBB387_106
; %bb.103:                              ;   in Loop: Header=BB387_11 Depth=1
	v_and_b32_e32 v0, 0x7f, v12
	v_mov_b32_e32 v102, 0x7f800001
	s_mov_b32 s41, exec_lo
	v_cmpx_ne_u32_e32 0x7f, v0
	s_cbranch_execz .LBB387_105
; %bb.104:                              ;   in Loop: Header=BB387_11 Depth=1
	v_and_b32_e32 v13, 7, v12
	v_lshrrev_b32_e32 v14, 3, v0
	v_cmp_gt_u32_e64 s1, 8, v0
	v_ffbh_u32_e32 v13, v13
	v_min_u32_e32 v13, 32, v13
	v_subrev_nc_u32_e32 v15, 28, v13
	v_sub_nc_u32_e32 v13, 29, v13
	v_cndmask_b32_e64 v0, v14, v13, s1
	v_cndmask_b32_e64 v13, 0, v15, s1
	v_lshl_add_u32 v0, v0, 23, 0x3c000000
	v_lshlrev_b64 v[13:14], v13, v[1:2]
	v_lshlrev_b32_e32 v14, 24, v1
	v_lshlrev_b32_e32 v13, 20, v13
	v_and_b32_e32 v14, 0x80000000, v14
	v_and_b32_e32 v13, 0x700000, v13
	v_or3_b32 v102, v13, v14, v0
.LBB387_105:                            ;   in Loop: Header=BB387_11 Depth=1
	s_or_b32 exec_lo, exec_lo, s41
.LBB387_106:                            ;   in Loop: Header=BB387_11 Depth=1
	s_or_b32 exec_lo, exec_lo, s40
.LBB387_107:                            ;   in Loop: Header=BB387_11 Depth=1
	s_or_b32 exec_lo, exec_lo, s2
	v_cmp_ne_u16_sdwa s1, v1, v2 src0_sel:BYTE_1 src1_sel:DWORD
	v_mov_b32_e32 v104, 0
	v_mov_b32_e32 v105, 0
	s_and_saveexec_b32 s2, s1
	s_cbranch_execz .LBB387_115
; %bb.108:                              ;   in Loop: Header=BB387_11 Depth=1
	v_cmp_ne_u16_sdwa s1, v1, v85 src0_sel:BYTE_1 src1_sel:DWORD
	v_bfrev_b32_e32 v105, 1
	s_and_saveexec_b32 s40, s1
	s_cbranch_execz .LBB387_114
; %bb.109:                              ;   in Loop: Header=BB387_11 Depth=1
	v_and_b32_sdwa v0, v86, v1 dst_sel:DWORD dst_unused:UNUSED_PAD src0_sel:DWORD src1_sel:BYTE_1
	v_mov_b32_e32 v105, 0x7f800001
	s_mov_b32 s41, exec_lo
	v_and_b32_e32 v15, 0x7f, v0
	v_cmpx_ne_u32_e32 0x7f, v15
	s_cbranch_execz .LBB387_113
; %bb.110:                              ;   in Loop: Header=BB387_11 Depth=1
	v_and_b32_e32 v13, 7, v0
	v_mov_b32_e32 v14, v2
	v_lshrrev_b32_e32 v0, 3, v15
	s_mov_b32 s42, exec_lo
	v_cmpx_gt_u32_e32 8, v15
; %bb.111:                              ;   in Loop: Header=BB387_11 Depth=1
	v_ffbh_u32_e32 v0, v13
	v_min_u32_e32 v0, 32, v0
	v_subrev_nc_u32_e32 v15, 28, v0
	v_sub_nc_u32_e32 v0, 29, v0
	v_lshlrev_b64 v[13:14], v15, v[13:14]
	v_and_b32_e32 v13, 7, v13
; %bb.112:                              ;   in Loop: Header=BB387_11 Depth=1
	s_or_b32 exec_lo, exec_lo, s42
	v_lshlrev_b32_e32 v1, 16, v1
	v_lshlrev_b32_e32 v13, 20, v13
	v_lshl_add_u32 v0, v0, 23, 0x3c000000
	v_and_b32_e32 v1, 0x80000000, v1
	v_or3_b32 v105, v13, v1, v0
.LBB387_113:                            ;   in Loop: Header=BB387_11 Depth=1
	s_or_b32 exec_lo, exec_lo, s41
.LBB387_114:                            ;   in Loop: Header=BB387_11 Depth=1
	s_or_b32 exec_lo, exec_lo, s40
.LBB387_115:                            ;   in Loop: Header=BB387_11 Depth=1
	s_or_b32 exec_lo, exec_lo, s2
	v_and_b32_sdwa v0, v12, v87 dst_sel:DWORD dst_unused:UNUSED_PAD src0_sel:WORD_1 src1_sel:DWORD
	s_mov_b32 s2, exec_lo
	v_cmpx_ne_u16_e32 0, v0
	s_cbranch_execz .LBB387_123
; %bb.116:                              ;   in Loop: Header=BB387_11 Depth=1
	v_bfrev_b32_e32 v104, 1
	s_mov_b32 s40, exec_lo
	v_cmpx_ne_u16_e32 0x80, v0
	s_cbranch_execz .LBB387_122
; %bb.117:                              ;   in Loop: Header=BB387_11 Depth=1
	v_bfe_u32 v13, v12, 16, 7
	v_mov_b32_e32 v104, 0x7f800001
	s_mov_b32 s41, exec_lo
	v_cmpx_ne_u32_e32 0x7f, v13
	s_cbranch_execz .LBB387_121
; %bb.118:                              ;   in Loop: Header=BB387_11 Depth=1
	v_and_b32_sdwa v1, v12, v88 dst_sel:DWORD dst_unused:UNUSED_PAD src0_sel:WORD_1 src1_sel:DWORD
	v_lshrrev_b32_e32 v0, 3, v13
	s_mov_b32 s42, exec_lo
	v_cmpx_gt_u32_e32 8, v13
; %bb.119:                              ;   in Loop: Header=BB387_11 Depth=1
	v_ffbh_u32_e32 v0, v1
	v_min_u32_e32 v0, 32, v0
	v_subrev_nc_u32_e32 v13, 28, v0
	v_sub_nc_u32_e32 v0, 29, v0
	v_lshlrev_b64 v[13:14], v13, v[1:2]
	v_and_b32_e32 v1, 7, v13
; %bb.120:                              ;   in Loop: Header=BB387_11 Depth=1
	s_or_b32 exec_lo, exec_lo, s42
	v_lshlrev_b32_sdwa v13, v89, v12 dst_sel:DWORD dst_unused:UNUSED_PAD src0_sel:DWORD src1_sel:WORD_1
	v_lshlrev_b32_e32 v1, 20, v1
	v_lshl_add_u32 v0, v0, 23, 0x3c000000
	v_and_b32_e32 v13, 0x80000000, v13
	v_or3_b32 v104, v1, v13, v0
.LBB387_121:                            ;   in Loop: Header=BB387_11 Depth=1
	s_or_b32 exec_lo, exec_lo, s41
.LBB387_122:                            ;   in Loop: Header=BB387_11 Depth=1
	s_or_b32 exec_lo, exec_lo, s40
.LBB387_123:                            ;   in Loop: Header=BB387_11 Depth=1
	s_or_b32 exec_lo, exec_lo, s2
	v_mov_b32_e32 v107, 0
	v_mov_b32_e32 v106, 0
	s_mov_b32 s2, exec_lo
	v_cmpx_lt_u64_e64 s[4:5], v[11:12]
	s_cbranch_execz .LBB387_131
; %bb.124:                              ;   in Loop: Header=BB387_11 Depth=1
	v_cmp_ne_u32_sdwa s1, v12, v85 src0_sel:BYTE_3 src1_sel:DWORD
	v_bfrev_b32_e32 v106, 1
	s_and_saveexec_b32 s40, s1
	s_cbranch_execz .LBB387_130
; %bb.125:                              ;   in Loop: Header=BB387_11 Depth=1
	v_bfe_u32 v11, v12, 24, 7
	v_mov_b32_e32 v106, 0x7f800001
	s_mov_b32 s41, exec_lo
	v_cmpx_ne_u32_e32 0x7f, v11
	s_cbranch_execz .LBB387_129
; %bb.126:                              ;   in Loop: Header=BB387_11 Depth=1
	v_and_b32_sdwa v1, v12, v88 dst_sel:DWORD dst_unused:UNUSED_PAD src0_sel:BYTE_3 src1_sel:DWORD
	v_lshrrev_b32_e32 v0, 3, v11
	s_mov_b32 s42, exec_lo
	v_cmpx_gt_u32_e32 8, v11
; %bb.127:                              ;   in Loop: Header=BB387_11 Depth=1
	v_ffbh_u32_e32 v0, v1
	v_min_u32_e32 v0, 32, v0
	v_subrev_nc_u32_e32 v11, 28, v0
	v_sub_nc_u32_e32 v0, 29, v0
	v_lshlrev_b64 v[13:14], v11, v[1:2]
	v_and_b32_e32 v1, 7, v13
; %bb.128:                              ;   in Loop: Header=BB387_11 Depth=1
	s_or_b32 exec_lo, exec_lo, s42
	v_lshlrev_b32_sdwa v11, v89, v12 dst_sel:DWORD dst_unused:UNUSED_PAD src0_sel:DWORD src1_sel:BYTE_3
	v_lshlrev_b32_e32 v1, 20, v1
	v_lshl_add_u32 v0, v0, 23, 0x3c000000
	v_and_b32_e32 v11, 0x80000000, v11
	v_or3_b32 v106, v1, v11, v0
.LBB387_129:                            ;   in Loop: Header=BB387_11 Depth=1
	s_or_b32 exec_lo, exec_lo, s41
.LBB387_130:                            ;   in Loop: Header=BB387_11 Depth=1
	s_or_b32 exec_lo, exec_lo, s40
.LBB387_131:                            ;   in Loop: Header=BB387_11 Depth=1
	s_or_b32 exec_lo, exec_lo, s2
	global_load_dwordx2 v[11:12], v[7:8], off offset:512
	s_waitcnt vmcnt(0)
	v_cmp_ne_u16_sdwa s1, v11, v2 src0_sel:BYTE_0 src1_sel:DWORD
	s_and_saveexec_b32 s2, s1
	s_cbranch_execz .LBB387_137
; %bb.132:                              ;   in Loop: Header=BB387_11 Depth=1
	v_cmp_ne_u16_sdwa s1, v11, v85 src0_sel:BYTE_0 src1_sel:DWORD
	v_bfrev_b32_e32 v107, 1
	s_and_saveexec_b32 s40, s1
	s_cbranch_execz .LBB387_136
; %bb.133:                              ;   in Loop: Header=BB387_11 Depth=1
	v_and_b32_e32 v0, 0x7f, v11
	v_mov_b32_e32 v107, 0x7f800001
	s_mov_b32 s41, exec_lo
	v_cmpx_ne_u32_e32 0x7f, v0
	s_cbranch_execz .LBB387_135
; %bb.134:                              ;   in Loop: Header=BB387_11 Depth=1
	v_and_b32_e32 v1, 7, v11
	v_cmp_gt_u32_e64 s1, 8, v0
	v_lshrrev_b32_e32 v13, 3, v0
	v_ffbh_u32_e32 v1, v1
	v_min_u32_e32 v1, 32, v1
	v_subrev_nc_u32_e32 v14, 28, v1
	v_sub_nc_u32_e32 v1, 29, v1
	v_cndmask_b32_e64 v0, 0, v14, s1
	v_cndmask_b32_e64 v13, v13, v1, s1
	v_lshlrev_b64 v[0:1], v0, v[11:12]
	v_lshlrev_b32_e32 v1, 24, v11
	v_lshl_add_u32 v13, v13, 23, 0x3c000000
	v_lshlrev_b32_e32 v0, 20, v0
	v_and_b32_e32 v1, 0x80000000, v1
	v_and_b32_e32 v0, 0x700000, v0
	v_or3_b32 v107, v0, v1, v13
.LBB387_135:                            ;   in Loop: Header=BB387_11 Depth=1
	s_or_b32 exec_lo, exec_lo, s41
.LBB387_136:                            ;   in Loop: Header=BB387_11 Depth=1
	s_or_b32 exec_lo, exec_lo, s40
.LBB387_137:                            ;   in Loop: Header=BB387_11 Depth=1
	s_or_b32 exec_lo, exec_lo, s2
	v_cmp_ne_u16_sdwa s1, v11, v2 src0_sel:BYTE_1 src1_sel:DWORD
	v_mov_b32_e32 v109, 0
	v_mov_b32_e32 v108, 0
	s_and_saveexec_b32 s2, s1
	s_cbranch_execz .LBB387_145
; %bb.138:                              ;   in Loop: Header=BB387_11 Depth=1
	v_cmp_ne_u16_sdwa s1, v11, v85 src0_sel:BYTE_1 src1_sel:DWORD
	v_bfrev_b32_e32 v108, 1
	s_and_saveexec_b32 s40, s1
	s_cbranch_execz .LBB387_144
; %bb.139:                              ;   in Loop: Header=BB387_11 Depth=1
	v_and_b32_sdwa v0, v86, v11 dst_sel:DWORD dst_unused:UNUSED_PAD src0_sel:DWORD src1_sel:BYTE_1
	v_mov_b32_e32 v108, 0x7f800001
	s_mov_b32 s41, exec_lo
	v_and_b32_e32 v13, 0x7f, v0
	v_cmpx_ne_u32_e32 0x7f, v13
	s_cbranch_execz .LBB387_143
; %bb.140:                              ;   in Loop: Header=BB387_11 Depth=1
	v_and_b32_e32 v1, 7, v0
	v_lshrrev_b32_e32 v0, 3, v13
	s_mov_b32 s42, exec_lo
	v_cmpx_gt_u32_e32 8, v13
; %bb.141:                              ;   in Loop: Header=BB387_11 Depth=1
	v_ffbh_u32_e32 v0, v1
	v_min_u32_e32 v0, 32, v0
	v_subrev_nc_u32_e32 v13, 28, v0
	v_sub_nc_u32_e32 v0, 29, v0
	v_lshlrev_b64 v[13:14], v13, v[1:2]
	v_and_b32_e32 v1, 7, v13
; %bb.142:                              ;   in Loop: Header=BB387_11 Depth=1
	s_or_b32 exec_lo, exec_lo, s42
	v_lshlrev_b32_e32 v13, 16, v11
	v_lshlrev_b32_e32 v1, 20, v1
	v_lshl_add_u32 v0, v0, 23, 0x3c000000
	v_and_b32_e32 v13, 0x80000000, v13
	v_or3_b32 v108, v1, v13, v0
.LBB387_143:                            ;   in Loop: Header=BB387_11 Depth=1
	s_or_b32 exec_lo, exec_lo, s41
.LBB387_144:                            ;   in Loop: Header=BB387_11 Depth=1
	s_or_b32 exec_lo, exec_lo, s40
.LBB387_145:                            ;   in Loop: Header=BB387_11 Depth=1
	s_or_b32 exec_lo, exec_lo, s2
	v_and_b32_sdwa v0, v11, v87 dst_sel:DWORD dst_unused:UNUSED_PAD src0_sel:WORD_1 src1_sel:DWORD
	s_mov_b32 s2, exec_lo
	v_cmpx_ne_u16_e32 0, v0
	s_cbranch_execz .LBB387_153
; %bb.146:                              ;   in Loop: Header=BB387_11 Depth=1
	v_bfrev_b32_e32 v109, 1
	s_mov_b32 s40, exec_lo
	v_cmpx_ne_u16_e32 0x80, v0
	s_cbranch_execz .LBB387_152
; %bb.147:                              ;   in Loop: Header=BB387_11 Depth=1
	v_bfe_u32 v13, v11, 16, 7
	v_mov_b32_e32 v109, 0x7f800001
	s_mov_b32 s41, exec_lo
	v_cmpx_ne_u32_e32 0x7f, v13
	s_cbranch_execz .LBB387_151
; %bb.148:                              ;   in Loop: Header=BB387_11 Depth=1
	v_and_b32_sdwa v1, v11, v88 dst_sel:DWORD dst_unused:UNUSED_PAD src0_sel:WORD_1 src1_sel:DWORD
	v_lshrrev_b32_e32 v0, 3, v13
	s_mov_b32 s42, exec_lo
	v_cmpx_gt_u32_e32 8, v13
; %bb.149:                              ;   in Loop: Header=BB387_11 Depth=1
	v_ffbh_u32_e32 v0, v1
	v_min_u32_e32 v0, 32, v0
	v_subrev_nc_u32_e32 v13, 28, v0
	v_sub_nc_u32_e32 v0, 29, v0
	v_lshlrev_b64 v[13:14], v13, v[1:2]
	v_and_b32_e32 v1, 7, v13
; %bb.150:                              ;   in Loop: Header=BB387_11 Depth=1
	s_or_b32 exec_lo, exec_lo, s42
	v_lshlrev_b32_sdwa v13, v89, v11 dst_sel:DWORD dst_unused:UNUSED_PAD src0_sel:DWORD src1_sel:WORD_1
	v_lshlrev_b32_e32 v1, 20, v1
	v_lshl_add_u32 v0, v0, 23, 0x3c000000
	v_and_b32_e32 v13, 0x80000000, v13
	v_or3_b32 v109, v1, v13, v0
.LBB387_151:                            ;   in Loop: Header=BB387_11 Depth=1
	s_or_b32 exec_lo, exec_lo, s41
.LBB387_152:                            ;   in Loop: Header=BB387_11 Depth=1
	s_or_b32 exec_lo, exec_lo, s40
.LBB387_153:                            ;   in Loop: Header=BB387_11 Depth=1
	s_or_b32 exec_lo, exec_lo, s2
	v_mov_b32_e32 v110, 0
	v_mov_b32_e32 v111, 0
	s_mov_b32 s2, exec_lo
	v_cmpx_lt_u32_e32 0xffffff, v11
	s_cbranch_execz .LBB387_161
; %bb.154:                              ;   in Loop: Header=BB387_11 Depth=1
	v_cmp_ne_u32_sdwa s1, v11, v85 src0_sel:BYTE_3 src1_sel:DWORD
	v_bfrev_b32_e32 v111, 1
	s_and_saveexec_b32 s40, s1
	s_cbranch_execz .LBB387_160
; %bb.155:                              ;   in Loop: Header=BB387_11 Depth=1
	v_bfe_u32 v13, v11, 24, 7
	v_mov_b32_e32 v111, 0x7f800001
	s_mov_b32 s41, exec_lo
	v_cmpx_ne_u32_e32 0x7f, v13
	s_cbranch_execz .LBB387_159
; %bb.156:                              ;   in Loop: Header=BB387_11 Depth=1
	v_and_b32_sdwa v1, v11, v88 dst_sel:DWORD dst_unused:UNUSED_PAD src0_sel:BYTE_3 src1_sel:DWORD
	v_lshrrev_b32_e32 v0, 3, v13
	s_mov_b32 s42, exec_lo
	v_cmpx_gt_u32_e32 8, v13
; %bb.157:                              ;   in Loop: Header=BB387_11 Depth=1
	v_ffbh_u32_e32 v0, v1
	v_min_u32_e32 v0, 32, v0
	v_subrev_nc_u32_e32 v13, 28, v0
	v_sub_nc_u32_e32 v0, 29, v0
	v_lshlrev_b64 v[13:14], v13, v[1:2]
	v_and_b32_e32 v1, 7, v13
; %bb.158:                              ;   in Loop: Header=BB387_11 Depth=1
	s_or_b32 exec_lo, exec_lo, s42
	v_lshlrev_b32_sdwa v13, v89, v11 dst_sel:DWORD dst_unused:UNUSED_PAD src0_sel:DWORD src1_sel:BYTE_3
	v_lshlrev_b32_e32 v1, 20, v1
	v_lshl_add_u32 v0, v0, 23, 0x3c000000
	v_and_b32_e32 v13, 0x80000000, v13
	v_or3_b32 v111, v1, v13, v0
.LBB387_159:                            ;   in Loop: Header=BB387_11 Depth=1
	s_or_b32 exec_lo, exec_lo, s41
.LBB387_160:                            ;   in Loop: Header=BB387_11 Depth=1
	s_or_b32 exec_lo, exec_lo, s40
.LBB387_161:                            ;   in Loop: Header=BB387_11 Depth=1
	s_or_b32 exec_lo, exec_lo, s2
	v_mov_b32_e32 v1, v12
	v_cmp_ne_u16_sdwa s1, v12, v2 src0_sel:BYTE_0 src1_sel:DWORD
	s_and_saveexec_b32 s2, s1
	s_cbranch_execz .LBB387_167
; %bb.162:                              ;   in Loop: Header=BB387_11 Depth=1
	v_cmp_ne_u16_sdwa s1, v12, v85 src0_sel:BYTE_0 src1_sel:DWORD
	v_bfrev_b32_e32 v110, 1
	s_and_saveexec_b32 s40, s1
	s_cbranch_execz .LBB387_166
; %bb.163:                              ;   in Loop: Header=BB387_11 Depth=1
	v_and_b32_e32 v0, 0x7f, v12
	v_mov_b32_e32 v110, 0x7f800001
	s_mov_b32 s41, exec_lo
	v_cmpx_ne_u32_e32 0x7f, v0
	s_cbranch_execz .LBB387_165
; %bb.164:                              ;   in Loop: Header=BB387_11 Depth=1
	v_and_b32_e32 v13, 7, v12
	v_lshrrev_b32_e32 v14, 3, v0
	v_cmp_gt_u32_e64 s1, 8, v0
	v_ffbh_u32_e32 v13, v13
	v_min_u32_e32 v13, 32, v13
	v_subrev_nc_u32_e32 v15, 28, v13
	v_sub_nc_u32_e32 v13, 29, v13
	v_cndmask_b32_e64 v0, v14, v13, s1
	v_cndmask_b32_e64 v13, 0, v15, s1
	v_lshl_add_u32 v0, v0, 23, 0x3c000000
	v_lshlrev_b64 v[13:14], v13, v[1:2]
	v_lshlrev_b32_e32 v14, 24, v1
	v_lshlrev_b32_e32 v13, 20, v13
	v_and_b32_e32 v14, 0x80000000, v14
	v_and_b32_e32 v13, 0x700000, v13
	v_or3_b32 v110, v13, v14, v0
.LBB387_165:                            ;   in Loop: Header=BB387_11 Depth=1
	s_or_b32 exec_lo, exec_lo, s41
.LBB387_166:                            ;   in Loop: Header=BB387_11 Depth=1
	s_or_b32 exec_lo, exec_lo, s40
.LBB387_167:                            ;   in Loop: Header=BB387_11 Depth=1
	s_or_b32 exec_lo, exec_lo, s2
	v_cmp_ne_u16_sdwa s1, v1, v2 src0_sel:BYTE_1 src1_sel:DWORD
	v_mov_b32_e32 v112, 0
	v_mov_b32_e32 v113, 0
	s_and_saveexec_b32 s2, s1
	s_cbranch_execz .LBB387_175
; %bb.168:                              ;   in Loop: Header=BB387_11 Depth=1
	v_cmp_ne_u16_sdwa s1, v1, v85 src0_sel:BYTE_1 src1_sel:DWORD
	v_bfrev_b32_e32 v113, 1
	s_and_saveexec_b32 s40, s1
	s_cbranch_execz .LBB387_174
; %bb.169:                              ;   in Loop: Header=BB387_11 Depth=1
	v_and_b32_sdwa v0, v86, v1 dst_sel:DWORD dst_unused:UNUSED_PAD src0_sel:DWORD src1_sel:BYTE_1
	v_mov_b32_e32 v113, 0x7f800001
	s_mov_b32 s41, exec_lo
	v_and_b32_e32 v15, 0x7f, v0
	v_cmpx_ne_u32_e32 0x7f, v15
	s_cbranch_execz .LBB387_173
; %bb.170:                              ;   in Loop: Header=BB387_11 Depth=1
	v_and_b32_e32 v13, 7, v0
	v_mov_b32_e32 v14, v2
	v_lshrrev_b32_e32 v0, 3, v15
	s_mov_b32 s42, exec_lo
	v_cmpx_gt_u32_e32 8, v15
; %bb.171:                              ;   in Loop: Header=BB387_11 Depth=1
	v_ffbh_u32_e32 v0, v13
	v_min_u32_e32 v0, 32, v0
	v_subrev_nc_u32_e32 v15, 28, v0
	v_sub_nc_u32_e32 v0, 29, v0
	v_lshlrev_b64 v[13:14], v15, v[13:14]
	v_and_b32_e32 v13, 7, v13
; %bb.172:                              ;   in Loop: Header=BB387_11 Depth=1
	s_or_b32 exec_lo, exec_lo, s42
	v_lshlrev_b32_e32 v1, 16, v1
	v_lshlrev_b32_e32 v13, 20, v13
	v_lshl_add_u32 v0, v0, 23, 0x3c000000
	v_and_b32_e32 v1, 0x80000000, v1
	v_or3_b32 v113, v13, v1, v0
.LBB387_173:                            ;   in Loop: Header=BB387_11 Depth=1
	s_or_b32 exec_lo, exec_lo, s41
.LBB387_174:                            ;   in Loop: Header=BB387_11 Depth=1
	s_or_b32 exec_lo, exec_lo, s40
.LBB387_175:                            ;   in Loop: Header=BB387_11 Depth=1
	s_or_b32 exec_lo, exec_lo, s2
	v_and_b32_sdwa v0, v12, v87 dst_sel:DWORD dst_unused:UNUSED_PAD src0_sel:WORD_1 src1_sel:DWORD
	s_mov_b32 s2, exec_lo
	v_cmpx_ne_u16_e32 0, v0
	s_cbranch_execz .LBB387_183
; %bb.176:                              ;   in Loop: Header=BB387_11 Depth=1
	v_bfrev_b32_e32 v112, 1
	s_mov_b32 s40, exec_lo
	v_cmpx_ne_u16_e32 0x80, v0
	s_cbranch_execz .LBB387_182
; %bb.177:                              ;   in Loop: Header=BB387_11 Depth=1
	v_bfe_u32 v13, v12, 16, 7
	v_mov_b32_e32 v112, 0x7f800001
	s_mov_b32 s41, exec_lo
	v_cmpx_ne_u32_e32 0x7f, v13
	s_cbranch_execz .LBB387_181
; %bb.178:                              ;   in Loop: Header=BB387_11 Depth=1
	v_and_b32_sdwa v1, v12, v88 dst_sel:DWORD dst_unused:UNUSED_PAD src0_sel:WORD_1 src1_sel:DWORD
	v_lshrrev_b32_e32 v0, 3, v13
	s_mov_b32 s42, exec_lo
	v_cmpx_gt_u32_e32 8, v13
; %bb.179:                              ;   in Loop: Header=BB387_11 Depth=1
	v_ffbh_u32_e32 v0, v1
	v_min_u32_e32 v0, 32, v0
	v_subrev_nc_u32_e32 v13, 28, v0
	v_sub_nc_u32_e32 v0, 29, v0
	v_lshlrev_b64 v[13:14], v13, v[1:2]
	v_and_b32_e32 v1, 7, v13
; %bb.180:                              ;   in Loop: Header=BB387_11 Depth=1
	s_or_b32 exec_lo, exec_lo, s42
	v_lshlrev_b32_sdwa v13, v89, v12 dst_sel:DWORD dst_unused:UNUSED_PAD src0_sel:DWORD src1_sel:WORD_1
	v_lshlrev_b32_e32 v1, 20, v1
	v_lshl_add_u32 v0, v0, 23, 0x3c000000
	v_and_b32_e32 v13, 0x80000000, v13
	v_or3_b32 v112, v1, v13, v0
.LBB387_181:                            ;   in Loop: Header=BB387_11 Depth=1
	s_or_b32 exec_lo, exec_lo, s41
.LBB387_182:                            ;   in Loop: Header=BB387_11 Depth=1
	s_or_b32 exec_lo, exec_lo, s40
.LBB387_183:                            ;   in Loop: Header=BB387_11 Depth=1
	s_or_b32 exec_lo, exec_lo, s2
	v_mov_b32_e32 v115, 0
	v_mov_b32_e32 v114, 0
	s_mov_b32 s2, exec_lo
	v_cmpx_lt_u64_e64 s[4:5], v[11:12]
	s_cbranch_execz .LBB387_191
; %bb.184:                              ;   in Loop: Header=BB387_11 Depth=1
	v_cmp_ne_u32_sdwa s1, v12, v85 src0_sel:BYTE_3 src1_sel:DWORD
	v_bfrev_b32_e32 v114, 1
	s_and_saveexec_b32 s40, s1
	s_cbranch_execz .LBB387_190
; %bb.185:                              ;   in Loop: Header=BB387_11 Depth=1
	v_bfe_u32 v11, v12, 24, 7
	v_mov_b32_e32 v114, 0x7f800001
	s_mov_b32 s41, exec_lo
	v_cmpx_ne_u32_e32 0x7f, v11
	s_cbranch_execz .LBB387_189
; %bb.186:                              ;   in Loop: Header=BB387_11 Depth=1
	v_and_b32_sdwa v1, v12, v88 dst_sel:DWORD dst_unused:UNUSED_PAD src0_sel:BYTE_3 src1_sel:DWORD
	v_lshrrev_b32_e32 v0, 3, v11
	s_mov_b32 s42, exec_lo
	v_cmpx_gt_u32_e32 8, v11
; %bb.187:                              ;   in Loop: Header=BB387_11 Depth=1
	v_ffbh_u32_e32 v0, v1
	v_min_u32_e32 v0, 32, v0
	v_subrev_nc_u32_e32 v11, 28, v0
	v_sub_nc_u32_e32 v0, 29, v0
	v_lshlrev_b64 v[13:14], v11, v[1:2]
	v_and_b32_e32 v1, 7, v13
; %bb.188:                              ;   in Loop: Header=BB387_11 Depth=1
	s_or_b32 exec_lo, exec_lo, s42
	v_lshlrev_b32_sdwa v11, v89, v12 dst_sel:DWORD dst_unused:UNUSED_PAD src0_sel:DWORD src1_sel:BYTE_3
	v_lshlrev_b32_e32 v1, 20, v1
	v_lshl_add_u32 v0, v0, 23, 0x3c000000
	v_and_b32_e32 v11, 0x80000000, v11
	v_or3_b32 v114, v1, v11, v0
.LBB387_189:                            ;   in Loop: Header=BB387_11 Depth=1
	s_or_b32 exec_lo, exec_lo, s41
.LBB387_190:                            ;   in Loop: Header=BB387_11 Depth=1
	s_or_b32 exec_lo, exec_lo, s40
.LBB387_191:                            ;   in Loop: Header=BB387_11 Depth=1
	s_or_b32 exec_lo, exec_lo, s2
	global_load_dwordx2 v[11:12], v[7:8], off offset:520
	s_waitcnt vmcnt(0)
	v_cmp_ne_u16_sdwa s1, v11, v2 src0_sel:BYTE_0 src1_sel:DWORD
	s_and_saveexec_b32 s2, s1
	s_cbranch_execz .LBB387_197
; %bb.192:                              ;   in Loop: Header=BB387_11 Depth=1
	v_cmp_ne_u16_sdwa s1, v11, v85 src0_sel:BYTE_0 src1_sel:DWORD
	v_bfrev_b32_e32 v115, 1
	s_and_saveexec_b32 s40, s1
	s_cbranch_execz .LBB387_196
; %bb.193:                              ;   in Loop: Header=BB387_11 Depth=1
	v_and_b32_e32 v0, 0x7f, v11
	v_mov_b32_e32 v115, 0x7f800001
	s_mov_b32 s41, exec_lo
	v_cmpx_ne_u32_e32 0x7f, v0
	s_cbranch_execz .LBB387_195
; %bb.194:                              ;   in Loop: Header=BB387_11 Depth=1
	v_and_b32_e32 v1, 7, v11
	v_cmp_gt_u32_e64 s1, 8, v0
	v_lshrrev_b32_e32 v13, 3, v0
	v_ffbh_u32_e32 v1, v1
	v_min_u32_e32 v1, 32, v1
	v_subrev_nc_u32_e32 v14, 28, v1
	v_sub_nc_u32_e32 v1, 29, v1
	v_cndmask_b32_e64 v0, 0, v14, s1
	v_cndmask_b32_e64 v13, v13, v1, s1
	v_lshlrev_b64 v[0:1], v0, v[11:12]
	v_lshlrev_b32_e32 v1, 24, v11
	v_lshl_add_u32 v13, v13, 23, 0x3c000000
	v_lshlrev_b32_e32 v0, 20, v0
	v_and_b32_e32 v1, 0x80000000, v1
	v_and_b32_e32 v0, 0x700000, v0
	v_or3_b32 v115, v0, v1, v13
.LBB387_195:                            ;   in Loop: Header=BB387_11 Depth=1
	s_or_b32 exec_lo, exec_lo, s41
.LBB387_196:                            ;   in Loop: Header=BB387_11 Depth=1
	s_or_b32 exec_lo, exec_lo, s40
.LBB387_197:                            ;   in Loop: Header=BB387_11 Depth=1
	s_or_b32 exec_lo, exec_lo, s2
	v_cmp_ne_u16_sdwa s1, v11, v2 src0_sel:BYTE_1 src1_sel:DWORD
	v_mov_b32_e32 v117, 0
	v_mov_b32_e32 v116, 0
	s_and_saveexec_b32 s2, s1
	s_cbranch_execz .LBB387_205
; %bb.198:                              ;   in Loop: Header=BB387_11 Depth=1
	v_cmp_ne_u16_sdwa s1, v11, v85 src0_sel:BYTE_1 src1_sel:DWORD
	v_bfrev_b32_e32 v116, 1
	s_and_saveexec_b32 s40, s1
	s_cbranch_execz .LBB387_204
; %bb.199:                              ;   in Loop: Header=BB387_11 Depth=1
	v_and_b32_sdwa v0, v86, v11 dst_sel:DWORD dst_unused:UNUSED_PAD src0_sel:DWORD src1_sel:BYTE_1
	v_mov_b32_e32 v116, 0x7f800001
	s_mov_b32 s41, exec_lo
	v_and_b32_e32 v13, 0x7f, v0
	v_cmpx_ne_u32_e32 0x7f, v13
	s_cbranch_execz .LBB387_203
; %bb.200:                              ;   in Loop: Header=BB387_11 Depth=1
	v_and_b32_e32 v1, 7, v0
	v_lshrrev_b32_e32 v0, 3, v13
	s_mov_b32 s42, exec_lo
	v_cmpx_gt_u32_e32 8, v13
; %bb.201:                              ;   in Loop: Header=BB387_11 Depth=1
	v_ffbh_u32_e32 v0, v1
	v_min_u32_e32 v0, 32, v0
	v_subrev_nc_u32_e32 v13, 28, v0
	v_sub_nc_u32_e32 v0, 29, v0
	v_lshlrev_b64 v[13:14], v13, v[1:2]
	v_and_b32_e32 v1, 7, v13
; %bb.202:                              ;   in Loop: Header=BB387_11 Depth=1
	s_or_b32 exec_lo, exec_lo, s42
	v_lshlrev_b32_e32 v13, 16, v11
	v_lshlrev_b32_e32 v1, 20, v1
	v_lshl_add_u32 v0, v0, 23, 0x3c000000
	v_and_b32_e32 v13, 0x80000000, v13
	v_or3_b32 v116, v1, v13, v0
.LBB387_203:                            ;   in Loop: Header=BB387_11 Depth=1
	s_or_b32 exec_lo, exec_lo, s41
.LBB387_204:                            ;   in Loop: Header=BB387_11 Depth=1
	s_or_b32 exec_lo, exec_lo, s40
.LBB387_205:                            ;   in Loop: Header=BB387_11 Depth=1
	s_or_b32 exec_lo, exec_lo, s2
	v_and_b32_sdwa v0, v11, v87 dst_sel:DWORD dst_unused:UNUSED_PAD src0_sel:WORD_1 src1_sel:DWORD
	s_mov_b32 s2, exec_lo
	v_cmpx_ne_u16_e32 0, v0
	s_cbranch_execz .LBB387_213
; %bb.206:                              ;   in Loop: Header=BB387_11 Depth=1
	v_bfrev_b32_e32 v117, 1
	s_mov_b32 s40, exec_lo
	v_cmpx_ne_u16_e32 0x80, v0
	s_cbranch_execz .LBB387_212
; %bb.207:                              ;   in Loop: Header=BB387_11 Depth=1
	v_bfe_u32 v13, v11, 16, 7
	v_mov_b32_e32 v117, 0x7f800001
	s_mov_b32 s41, exec_lo
	v_cmpx_ne_u32_e32 0x7f, v13
	s_cbranch_execz .LBB387_211
; %bb.208:                              ;   in Loop: Header=BB387_11 Depth=1
	v_and_b32_sdwa v1, v11, v88 dst_sel:DWORD dst_unused:UNUSED_PAD src0_sel:WORD_1 src1_sel:DWORD
	v_lshrrev_b32_e32 v0, 3, v13
	s_mov_b32 s42, exec_lo
	v_cmpx_gt_u32_e32 8, v13
; %bb.209:                              ;   in Loop: Header=BB387_11 Depth=1
	v_ffbh_u32_e32 v0, v1
	v_min_u32_e32 v0, 32, v0
	v_subrev_nc_u32_e32 v13, 28, v0
	v_sub_nc_u32_e32 v0, 29, v0
	v_lshlrev_b64 v[13:14], v13, v[1:2]
	v_and_b32_e32 v1, 7, v13
; %bb.210:                              ;   in Loop: Header=BB387_11 Depth=1
	s_or_b32 exec_lo, exec_lo, s42
	v_lshlrev_b32_sdwa v13, v89, v11 dst_sel:DWORD dst_unused:UNUSED_PAD src0_sel:DWORD src1_sel:WORD_1
	v_lshlrev_b32_e32 v1, 20, v1
	v_lshl_add_u32 v0, v0, 23, 0x3c000000
	v_and_b32_e32 v13, 0x80000000, v13
	v_or3_b32 v117, v1, v13, v0
.LBB387_211:                            ;   in Loop: Header=BB387_11 Depth=1
	s_or_b32 exec_lo, exec_lo, s41
.LBB387_212:                            ;   in Loop: Header=BB387_11 Depth=1
	s_or_b32 exec_lo, exec_lo, s40
.LBB387_213:                            ;   in Loop: Header=BB387_11 Depth=1
	s_or_b32 exec_lo, exec_lo, s2
	v_mov_b32_e32 v118, 0
	v_mov_b32_e32 v119, 0
	s_mov_b32 s2, exec_lo
	v_cmpx_lt_u32_e32 0xffffff, v11
	s_cbranch_execz .LBB387_221
; %bb.214:                              ;   in Loop: Header=BB387_11 Depth=1
	v_cmp_ne_u32_sdwa s1, v11, v85 src0_sel:BYTE_3 src1_sel:DWORD
	v_bfrev_b32_e32 v119, 1
	s_and_saveexec_b32 s40, s1
	s_cbranch_execz .LBB387_220
; %bb.215:                              ;   in Loop: Header=BB387_11 Depth=1
	v_bfe_u32 v13, v11, 24, 7
	v_mov_b32_e32 v119, 0x7f800001
	s_mov_b32 s41, exec_lo
	v_cmpx_ne_u32_e32 0x7f, v13
	s_cbranch_execz .LBB387_219
; %bb.216:                              ;   in Loop: Header=BB387_11 Depth=1
	v_and_b32_sdwa v1, v11, v88 dst_sel:DWORD dst_unused:UNUSED_PAD src0_sel:BYTE_3 src1_sel:DWORD
	v_lshrrev_b32_e32 v0, 3, v13
	s_mov_b32 s42, exec_lo
	v_cmpx_gt_u32_e32 8, v13
; %bb.217:                              ;   in Loop: Header=BB387_11 Depth=1
	v_ffbh_u32_e32 v0, v1
	v_min_u32_e32 v0, 32, v0
	v_subrev_nc_u32_e32 v13, 28, v0
	v_sub_nc_u32_e32 v0, 29, v0
	v_lshlrev_b64 v[13:14], v13, v[1:2]
	v_and_b32_e32 v1, 7, v13
; %bb.218:                              ;   in Loop: Header=BB387_11 Depth=1
	s_or_b32 exec_lo, exec_lo, s42
	v_lshlrev_b32_sdwa v13, v89, v11 dst_sel:DWORD dst_unused:UNUSED_PAD src0_sel:DWORD src1_sel:BYTE_3
	v_lshlrev_b32_e32 v1, 20, v1
	v_lshl_add_u32 v0, v0, 23, 0x3c000000
	v_and_b32_e32 v13, 0x80000000, v13
	v_or3_b32 v119, v1, v13, v0
.LBB387_219:                            ;   in Loop: Header=BB387_11 Depth=1
	s_or_b32 exec_lo, exec_lo, s41
.LBB387_220:                            ;   in Loop: Header=BB387_11 Depth=1
	s_or_b32 exec_lo, exec_lo, s40
.LBB387_221:                            ;   in Loop: Header=BB387_11 Depth=1
	s_or_b32 exec_lo, exec_lo, s2
	v_mov_b32_e32 v1, v12
	v_cmp_ne_u16_sdwa s1, v12, v2 src0_sel:BYTE_0 src1_sel:DWORD
	s_and_saveexec_b32 s2, s1
	s_cbranch_execz .LBB387_227
; %bb.222:                              ;   in Loop: Header=BB387_11 Depth=1
	v_cmp_ne_u16_sdwa s1, v12, v85 src0_sel:BYTE_0 src1_sel:DWORD
	v_bfrev_b32_e32 v118, 1
	s_and_saveexec_b32 s40, s1
	s_cbranch_execz .LBB387_226
; %bb.223:                              ;   in Loop: Header=BB387_11 Depth=1
	v_and_b32_e32 v0, 0x7f, v12
	v_mov_b32_e32 v118, 0x7f800001
	s_mov_b32 s41, exec_lo
	v_cmpx_ne_u32_e32 0x7f, v0
	s_cbranch_execz .LBB387_225
; %bb.224:                              ;   in Loop: Header=BB387_11 Depth=1
	v_and_b32_e32 v13, 7, v12
	v_lshrrev_b32_e32 v14, 3, v0
	v_cmp_gt_u32_e64 s1, 8, v0
	v_ffbh_u32_e32 v13, v13
	v_min_u32_e32 v13, 32, v13
	v_subrev_nc_u32_e32 v15, 28, v13
	v_sub_nc_u32_e32 v13, 29, v13
	v_cndmask_b32_e64 v0, v14, v13, s1
	v_cndmask_b32_e64 v13, 0, v15, s1
	v_lshl_add_u32 v0, v0, 23, 0x3c000000
	v_lshlrev_b64 v[13:14], v13, v[1:2]
	v_lshlrev_b32_e32 v14, 24, v1
	v_lshlrev_b32_e32 v13, 20, v13
	v_and_b32_e32 v14, 0x80000000, v14
	v_and_b32_e32 v13, 0x700000, v13
	v_or3_b32 v118, v13, v14, v0
.LBB387_225:                            ;   in Loop: Header=BB387_11 Depth=1
	s_or_b32 exec_lo, exec_lo, s41
.LBB387_226:                            ;   in Loop: Header=BB387_11 Depth=1
	s_or_b32 exec_lo, exec_lo, s40
.LBB387_227:                            ;   in Loop: Header=BB387_11 Depth=1
	s_or_b32 exec_lo, exec_lo, s2
	v_cmp_ne_u16_sdwa s1, v1, v2 src0_sel:BYTE_1 src1_sel:DWORD
	v_mov_b32_e32 v120, 0
	v_mov_b32_e32 v121, 0
	s_and_saveexec_b32 s2, s1
	s_cbranch_execz .LBB387_235
; %bb.228:                              ;   in Loop: Header=BB387_11 Depth=1
	v_cmp_ne_u16_sdwa s1, v1, v85 src0_sel:BYTE_1 src1_sel:DWORD
	v_bfrev_b32_e32 v121, 1
	s_and_saveexec_b32 s40, s1
	s_cbranch_execz .LBB387_234
; %bb.229:                              ;   in Loop: Header=BB387_11 Depth=1
	v_and_b32_sdwa v0, v86, v1 dst_sel:DWORD dst_unused:UNUSED_PAD src0_sel:DWORD src1_sel:BYTE_1
	v_mov_b32_e32 v121, 0x7f800001
	s_mov_b32 s41, exec_lo
	v_and_b32_e32 v15, 0x7f, v0
	v_cmpx_ne_u32_e32 0x7f, v15
	s_cbranch_execz .LBB387_233
; %bb.230:                              ;   in Loop: Header=BB387_11 Depth=1
	v_and_b32_e32 v13, 7, v0
	v_mov_b32_e32 v14, v2
	v_lshrrev_b32_e32 v0, 3, v15
	s_mov_b32 s42, exec_lo
	v_cmpx_gt_u32_e32 8, v15
; %bb.231:                              ;   in Loop: Header=BB387_11 Depth=1
	v_ffbh_u32_e32 v0, v13
	v_min_u32_e32 v0, 32, v0
	v_subrev_nc_u32_e32 v15, 28, v0
	v_sub_nc_u32_e32 v0, 29, v0
	v_lshlrev_b64 v[13:14], v15, v[13:14]
	v_and_b32_e32 v13, 7, v13
; %bb.232:                              ;   in Loop: Header=BB387_11 Depth=1
	s_or_b32 exec_lo, exec_lo, s42
	v_lshlrev_b32_e32 v1, 16, v1
	v_lshlrev_b32_e32 v13, 20, v13
	v_lshl_add_u32 v0, v0, 23, 0x3c000000
	v_and_b32_e32 v1, 0x80000000, v1
	v_or3_b32 v121, v13, v1, v0
.LBB387_233:                            ;   in Loop: Header=BB387_11 Depth=1
	s_or_b32 exec_lo, exec_lo, s41
.LBB387_234:                            ;   in Loop: Header=BB387_11 Depth=1
	s_or_b32 exec_lo, exec_lo, s40
.LBB387_235:                            ;   in Loop: Header=BB387_11 Depth=1
	s_or_b32 exec_lo, exec_lo, s2
	v_and_b32_sdwa v0, v12, v87 dst_sel:DWORD dst_unused:UNUSED_PAD src0_sel:WORD_1 src1_sel:DWORD
	s_mov_b32 s2, exec_lo
	v_cmpx_ne_u16_e32 0, v0
	s_cbranch_execz .LBB387_243
; %bb.236:                              ;   in Loop: Header=BB387_11 Depth=1
	v_bfrev_b32_e32 v120, 1
	s_mov_b32 s40, exec_lo
	v_cmpx_ne_u16_e32 0x80, v0
	s_cbranch_execz .LBB387_242
; %bb.237:                              ;   in Loop: Header=BB387_11 Depth=1
	v_bfe_u32 v13, v12, 16, 7
	v_mov_b32_e32 v120, 0x7f800001
	s_mov_b32 s41, exec_lo
	v_cmpx_ne_u32_e32 0x7f, v13
	s_cbranch_execz .LBB387_241
; %bb.238:                              ;   in Loop: Header=BB387_11 Depth=1
	v_and_b32_sdwa v1, v12, v88 dst_sel:DWORD dst_unused:UNUSED_PAD src0_sel:WORD_1 src1_sel:DWORD
	v_lshrrev_b32_e32 v0, 3, v13
	s_mov_b32 s42, exec_lo
	v_cmpx_gt_u32_e32 8, v13
; %bb.239:                              ;   in Loop: Header=BB387_11 Depth=1
	v_ffbh_u32_e32 v0, v1
	v_min_u32_e32 v0, 32, v0
	v_subrev_nc_u32_e32 v13, 28, v0
	v_sub_nc_u32_e32 v0, 29, v0
	v_lshlrev_b64 v[13:14], v13, v[1:2]
	v_and_b32_e32 v1, 7, v13
; %bb.240:                              ;   in Loop: Header=BB387_11 Depth=1
	s_or_b32 exec_lo, exec_lo, s42
	v_lshlrev_b32_sdwa v13, v89, v12 dst_sel:DWORD dst_unused:UNUSED_PAD src0_sel:DWORD src1_sel:WORD_1
	v_lshlrev_b32_e32 v1, 20, v1
	v_lshl_add_u32 v0, v0, 23, 0x3c000000
	v_and_b32_e32 v13, 0x80000000, v13
	v_or3_b32 v120, v1, v13, v0
.LBB387_241:                            ;   in Loop: Header=BB387_11 Depth=1
	s_or_b32 exec_lo, exec_lo, s41
.LBB387_242:                            ;   in Loop: Header=BB387_11 Depth=1
	s_or_b32 exec_lo, exec_lo, s40
.LBB387_243:                            ;   in Loop: Header=BB387_11 Depth=1
	s_or_b32 exec_lo, exec_lo, s2
	v_mov_b32_e32 v123, 0
	v_mov_b32_e32 v122, 0
	s_mov_b32 s2, exec_lo
	v_cmpx_lt_u64_e64 s[4:5], v[11:12]
	s_cbranch_execz .LBB387_251
; %bb.244:                              ;   in Loop: Header=BB387_11 Depth=1
	v_cmp_ne_u32_sdwa s1, v12, v85 src0_sel:BYTE_3 src1_sel:DWORD
	v_bfrev_b32_e32 v122, 1
	s_and_saveexec_b32 s40, s1
	s_cbranch_execz .LBB387_250
; %bb.245:                              ;   in Loop: Header=BB387_11 Depth=1
	v_bfe_u32 v11, v12, 24, 7
	v_mov_b32_e32 v122, 0x7f800001
	s_mov_b32 s41, exec_lo
	v_cmpx_ne_u32_e32 0x7f, v11
	s_cbranch_execz .LBB387_249
; %bb.246:                              ;   in Loop: Header=BB387_11 Depth=1
	v_and_b32_sdwa v1, v12, v88 dst_sel:DWORD dst_unused:UNUSED_PAD src0_sel:BYTE_3 src1_sel:DWORD
	v_lshrrev_b32_e32 v0, 3, v11
	s_mov_b32 s42, exec_lo
	v_cmpx_gt_u32_e32 8, v11
; %bb.247:                              ;   in Loop: Header=BB387_11 Depth=1
	v_ffbh_u32_e32 v0, v1
	v_min_u32_e32 v0, 32, v0
	v_subrev_nc_u32_e32 v11, 28, v0
	v_sub_nc_u32_e32 v0, 29, v0
	v_lshlrev_b64 v[13:14], v11, v[1:2]
	v_and_b32_e32 v1, 7, v13
; %bb.248:                              ;   in Loop: Header=BB387_11 Depth=1
	s_or_b32 exec_lo, exec_lo, s42
	v_lshlrev_b32_sdwa v11, v89, v12 dst_sel:DWORD dst_unused:UNUSED_PAD src0_sel:DWORD src1_sel:BYTE_3
	v_lshlrev_b32_e32 v1, 20, v1
	v_lshl_add_u32 v0, v0, 23, 0x3c000000
	v_and_b32_e32 v11, 0x80000000, v11
	v_or3_b32 v122, v1, v11, v0
.LBB387_249:                            ;   in Loop: Header=BB387_11 Depth=1
	s_or_b32 exec_lo, exec_lo, s41
.LBB387_250:                            ;   in Loop: Header=BB387_11 Depth=1
	s_or_b32 exec_lo, exec_lo, s40
.LBB387_251:                            ;   in Loop: Header=BB387_11 Depth=1
	s_or_b32 exec_lo, exec_lo, s2
	global_load_dwordx2 v[11:12], v[7:8], off offset:1024
	s_waitcnt vmcnt(0)
	v_cmp_ne_u16_sdwa s1, v11, v2 src0_sel:BYTE_0 src1_sel:DWORD
	s_and_saveexec_b32 s2, s1
	s_cbranch_execz .LBB387_257
; %bb.252:                              ;   in Loop: Header=BB387_11 Depth=1
	v_cmp_ne_u16_sdwa s1, v11, v85 src0_sel:BYTE_0 src1_sel:DWORD
	v_bfrev_b32_e32 v123, 1
	s_and_saveexec_b32 s40, s1
	s_cbranch_execz .LBB387_256
; %bb.253:                              ;   in Loop: Header=BB387_11 Depth=1
	v_and_b32_e32 v0, 0x7f, v11
	v_mov_b32_e32 v123, 0x7f800001
	s_mov_b32 s41, exec_lo
	v_cmpx_ne_u32_e32 0x7f, v0
	s_cbranch_execz .LBB387_255
; %bb.254:                              ;   in Loop: Header=BB387_11 Depth=1
	v_and_b32_e32 v1, 7, v11
	v_cmp_gt_u32_e64 s1, 8, v0
	v_lshrrev_b32_e32 v13, 3, v0
	v_ffbh_u32_e32 v1, v1
	v_min_u32_e32 v1, 32, v1
	v_subrev_nc_u32_e32 v14, 28, v1
	v_sub_nc_u32_e32 v1, 29, v1
	v_cndmask_b32_e64 v0, 0, v14, s1
	v_cndmask_b32_e64 v13, v13, v1, s1
	v_lshlrev_b64 v[0:1], v0, v[11:12]
	v_lshlrev_b32_e32 v1, 24, v11
	v_lshl_add_u32 v13, v13, 23, 0x3c000000
	v_lshlrev_b32_e32 v0, 20, v0
	v_and_b32_e32 v1, 0x80000000, v1
	v_and_b32_e32 v0, 0x700000, v0
	v_or3_b32 v123, v0, v1, v13
.LBB387_255:                            ;   in Loop: Header=BB387_11 Depth=1
	s_or_b32 exec_lo, exec_lo, s41
.LBB387_256:                            ;   in Loop: Header=BB387_11 Depth=1
	s_or_b32 exec_lo, exec_lo, s40
.LBB387_257:                            ;   in Loop: Header=BB387_11 Depth=1
	s_or_b32 exec_lo, exec_lo, s2
	v_cmp_ne_u16_sdwa s1, v11, v2 src0_sel:BYTE_1 src1_sel:DWORD
	v_mov_b32_e32 v125, 0
	v_mov_b32_e32 v124, 0
	s_and_saveexec_b32 s2, s1
	s_cbranch_execz .LBB387_265
; %bb.258:                              ;   in Loop: Header=BB387_11 Depth=1
	v_cmp_ne_u16_sdwa s1, v11, v85 src0_sel:BYTE_1 src1_sel:DWORD
	v_bfrev_b32_e32 v124, 1
	s_and_saveexec_b32 s40, s1
	s_cbranch_execz .LBB387_264
; %bb.259:                              ;   in Loop: Header=BB387_11 Depth=1
	v_and_b32_sdwa v0, v86, v11 dst_sel:DWORD dst_unused:UNUSED_PAD src0_sel:DWORD src1_sel:BYTE_1
	v_mov_b32_e32 v124, 0x7f800001
	s_mov_b32 s41, exec_lo
	v_and_b32_e32 v13, 0x7f, v0
	v_cmpx_ne_u32_e32 0x7f, v13
	s_cbranch_execz .LBB387_263
; %bb.260:                              ;   in Loop: Header=BB387_11 Depth=1
	v_and_b32_e32 v1, 7, v0
	v_lshrrev_b32_e32 v0, 3, v13
	s_mov_b32 s42, exec_lo
	v_cmpx_gt_u32_e32 8, v13
; %bb.261:                              ;   in Loop: Header=BB387_11 Depth=1
	v_ffbh_u32_e32 v0, v1
	v_min_u32_e32 v0, 32, v0
	v_subrev_nc_u32_e32 v13, 28, v0
	v_sub_nc_u32_e32 v0, 29, v0
	v_lshlrev_b64 v[13:14], v13, v[1:2]
	v_and_b32_e32 v1, 7, v13
; %bb.262:                              ;   in Loop: Header=BB387_11 Depth=1
	s_or_b32 exec_lo, exec_lo, s42
	v_lshlrev_b32_e32 v13, 16, v11
	v_lshlrev_b32_e32 v1, 20, v1
	v_lshl_add_u32 v0, v0, 23, 0x3c000000
	v_and_b32_e32 v13, 0x80000000, v13
	v_or3_b32 v124, v1, v13, v0
.LBB387_263:                            ;   in Loop: Header=BB387_11 Depth=1
	s_or_b32 exec_lo, exec_lo, s41
.LBB387_264:                            ;   in Loop: Header=BB387_11 Depth=1
	s_or_b32 exec_lo, exec_lo, s40
.LBB387_265:                            ;   in Loop: Header=BB387_11 Depth=1
	s_or_b32 exec_lo, exec_lo, s2
	v_and_b32_sdwa v0, v11, v87 dst_sel:DWORD dst_unused:UNUSED_PAD src0_sel:WORD_1 src1_sel:DWORD
	s_mov_b32 s2, exec_lo
	v_cmpx_ne_u16_e32 0, v0
	s_cbranch_execz .LBB387_273
; %bb.266:                              ;   in Loop: Header=BB387_11 Depth=1
	v_bfrev_b32_e32 v125, 1
	s_mov_b32 s40, exec_lo
	v_cmpx_ne_u16_e32 0x80, v0
	s_cbranch_execz .LBB387_272
; %bb.267:                              ;   in Loop: Header=BB387_11 Depth=1
	v_bfe_u32 v13, v11, 16, 7
	v_mov_b32_e32 v125, 0x7f800001
	s_mov_b32 s41, exec_lo
	v_cmpx_ne_u32_e32 0x7f, v13
	s_cbranch_execz .LBB387_271
; %bb.268:                              ;   in Loop: Header=BB387_11 Depth=1
	v_and_b32_sdwa v1, v11, v88 dst_sel:DWORD dst_unused:UNUSED_PAD src0_sel:WORD_1 src1_sel:DWORD
	v_lshrrev_b32_e32 v0, 3, v13
	s_mov_b32 s42, exec_lo
	v_cmpx_gt_u32_e32 8, v13
; %bb.269:                              ;   in Loop: Header=BB387_11 Depth=1
	v_ffbh_u32_e32 v0, v1
	v_min_u32_e32 v0, 32, v0
	v_subrev_nc_u32_e32 v13, 28, v0
	v_sub_nc_u32_e32 v0, 29, v0
	v_lshlrev_b64 v[13:14], v13, v[1:2]
	v_and_b32_e32 v1, 7, v13
; %bb.270:                              ;   in Loop: Header=BB387_11 Depth=1
	s_or_b32 exec_lo, exec_lo, s42
	v_lshlrev_b32_sdwa v13, v89, v11 dst_sel:DWORD dst_unused:UNUSED_PAD src0_sel:DWORD src1_sel:WORD_1
	v_lshlrev_b32_e32 v1, 20, v1
	v_lshl_add_u32 v0, v0, 23, 0x3c000000
	v_and_b32_e32 v13, 0x80000000, v13
	v_or3_b32 v125, v1, v13, v0
.LBB387_271:                            ;   in Loop: Header=BB387_11 Depth=1
	s_or_b32 exec_lo, exec_lo, s41
.LBB387_272:                            ;   in Loop: Header=BB387_11 Depth=1
	s_or_b32 exec_lo, exec_lo, s40
.LBB387_273:                            ;   in Loop: Header=BB387_11 Depth=1
	s_or_b32 exec_lo, exec_lo, s2
	v_mov_b32_e32 v127, 0
	v_mov_b32_e32 v126, 0
	s_mov_b32 s2, exec_lo
	v_cmpx_lt_u32_e32 0xffffff, v11
	s_cbranch_execz .LBB387_281
; %bb.274:                              ;   in Loop: Header=BB387_11 Depth=1
	v_cmp_ne_u32_sdwa s1, v11, v85 src0_sel:BYTE_3 src1_sel:DWORD
	v_bfrev_b32_e32 v126, 1
	s_and_saveexec_b32 s40, s1
	s_cbranch_execz .LBB387_280
; %bb.275:                              ;   in Loop: Header=BB387_11 Depth=1
	v_bfe_u32 v13, v11, 24, 7
	v_mov_b32_e32 v126, 0x7f800001
	s_mov_b32 s41, exec_lo
	v_cmpx_ne_u32_e32 0x7f, v13
	s_cbranch_execz .LBB387_279
; %bb.276:                              ;   in Loop: Header=BB387_11 Depth=1
	v_and_b32_sdwa v1, v11, v88 dst_sel:DWORD dst_unused:UNUSED_PAD src0_sel:BYTE_3 src1_sel:DWORD
	v_lshrrev_b32_e32 v0, 3, v13
	s_mov_b32 s42, exec_lo
	v_cmpx_gt_u32_e32 8, v13
; %bb.277:                              ;   in Loop: Header=BB387_11 Depth=1
	v_ffbh_u32_e32 v0, v1
	v_min_u32_e32 v0, 32, v0
	v_subrev_nc_u32_e32 v13, 28, v0
	v_sub_nc_u32_e32 v0, 29, v0
	v_lshlrev_b64 v[13:14], v13, v[1:2]
	v_and_b32_e32 v1, 7, v13
; %bb.278:                              ;   in Loop: Header=BB387_11 Depth=1
	s_or_b32 exec_lo, exec_lo, s42
	v_lshlrev_b32_sdwa v13, v89, v11 dst_sel:DWORD dst_unused:UNUSED_PAD src0_sel:DWORD src1_sel:BYTE_3
	v_lshlrev_b32_e32 v1, 20, v1
	v_lshl_add_u32 v0, v0, 23, 0x3c000000
	v_and_b32_e32 v13, 0x80000000, v13
	v_or3_b32 v126, v1, v13, v0
.LBB387_279:                            ;   in Loop: Header=BB387_11 Depth=1
	s_or_b32 exec_lo, exec_lo, s41
.LBB387_280:                            ;   in Loop: Header=BB387_11 Depth=1
	s_or_b32 exec_lo, exec_lo, s40
.LBB387_281:                            ;   in Loop: Header=BB387_11 Depth=1
	s_or_b32 exec_lo, exec_lo, s2
	v_mov_b32_e32 v1, v12
	v_cmp_ne_u16_sdwa s1, v12, v2 src0_sel:BYTE_0 src1_sel:DWORD
	s_and_saveexec_b32 s2, s1
	s_cbranch_execz .LBB387_287
; %bb.282:                              ;   in Loop: Header=BB387_11 Depth=1
	v_cmp_ne_u16_sdwa s1, v12, v85 src0_sel:BYTE_0 src1_sel:DWORD
	v_bfrev_b32_e32 v127, 1
	s_and_saveexec_b32 s40, s1
	s_cbranch_execz .LBB387_286
; %bb.283:                              ;   in Loop: Header=BB387_11 Depth=1
	v_and_b32_e32 v0, 0x7f, v12
	v_mov_b32_e32 v127, 0x7f800001
	s_mov_b32 s41, exec_lo
	v_cmpx_ne_u32_e32 0x7f, v0
	s_cbranch_execz .LBB387_285
; %bb.284:                              ;   in Loop: Header=BB387_11 Depth=1
	v_and_b32_e32 v13, 7, v12
	v_lshrrev_b32_e32 v14, 3, v0
	v_cmp_gt_u32_e64 s1, 8, v0
	v_ffbh_u32_e32 v0, v13
	v_min_u32_e32 v0, 32, v0
	v_subrev_nc_u32_e32 v13, 28, v0
	v_sub_nc_u32_e32 v0, 29, v0
	v_cndmask_b32_e64 v13, 0, v13, s1
	v_cndmask_b32_e64 v0, v14, v0, s1
	v_lshlrev_b64 v[13:14], v13, v[1:2]
	v_lshlrev_b32_e32 v14, 24, v1
	v_lshl_add_u32 v0, v0, 23, 0x3c000000
	v_lshlrev_b32_e32 v13, 20, v13
	v_and_b32_e32 v14, 0x80000000, v14
	v_and_b32_e32 v13, 0x700000, v13
	v_or3_b32 v127, v13, v14, v0
.LBB387_285:                            ;   in Loop: Header=BB387_11 Depth=1
	s_or_b32 exec_lo, exec_lo, s41
.LBB387_286:                            ;   in Loop: Header=BB387_11 Depth=1
	s_or_b32 exec_lo, exec_lo, s40
.LBB387_287:                            ;   in Loop: Header=BB387_11 Depth=1
	s_or_b32 exec_lo, exec_lo, s2
	v_cmp_ne_u16_sdwa s1, v1, v2 src0_sel:BYTE_1 src1_sel:DWORD
	v_mov_b32_e32 v15, 0
	v_mov_b32_e32 v22, 0
	s_and_saveexec_b32 s2, s1
	s_cbranch_execz .LBB387_295
; %bb.288:                              ;   in Loop: Header=BB387_11 Depth=1
	v_cmp_ne_u16_sdwa s1, v1, v85 src0_sel:BYTE_1 src1_sel:DWORD
	v_bfrev_b32_e32 v22, 1
	s_and_saveexec_b32 s40, s1
	s_cbranch_execz .LBB387_294
; %bb.289:                              ;   in Loop: Header=BB387_11 Depth=1
	v_and_b32_sdwa v0, v86, v1 dst_sel:DWORD dst_unused:UNUSED_PAD src0_sel:DWORD src1_sel:BYTE_1
	v_mov_b32_e32 v22, 0x7f800001
	s_mov_b32 s41, exec_lo
	v_and_b32_e32 v16, 0x7f, v0
	v_cmpx_ne_u32_e32 0x7f, v16
	s_cbranch_execz .LBB387_293
; %bb.290:                              ;   in Loop: Header=BB387_11 Depth=1
	v_and_b32_e32 v13, 7, v0
	v_mov_b32_e32 v14, v2
	v_lshrrev_b32_e32 v0, 3, v16
	s_mov_b32 s42, exec_lo
	v_cmpx_gt_u32_e32 8, v16
; %bb.291:                              ;   in Loop: Header=BB387_11 Depth=1
	v_ffbh_u32_e32 v0, v13
	v_min_u32_e32 v0, 32, v0
	v_subrev_nc_u32_e32 v16, 28, v0
	v_sub_nc_u32_e32 v0, 29, v0
	v_lshlrev_b64 v[13:14], v16, v[13:14]
	v_and_b32_e32 v13, 7, v13
; %bb.292:                              ;   in Loop: Header=BB387_11 Depth=1
	s_or_b32 exec_lo, exec_lo, s42
	v_lshlrev_b32_e32 v1, 16, v1
	v_lshlrev_b32_e32 v13, 20, v13
	v_lshl_add_u32 v0, v0, 23, 0x3c000000
	v_and_b32_e32 v1, 0x80000000, v1
	v_or3_b32 v22, v13, v1, v0
.LBB387_293:                            ;   in Loop: Header=BB387_11 Depth=1
	s_or_b32 exec_lo, exec_lo, s41
.LBB387_294:                            ;   in Loop: Header=BB387_11 Depth=1
	s_or_b32 exec_lo, exec_lo, s40
.LBB387_295:                            ;   in Loop: Header=BB387_11 Depth=1
	s_or_b32 exec_lo, exec_lo, s2
	v_and_b32_sdwa v0, v12, v87 dst_sel:DWORD dst_unused:UNUSED_PAD src0_sel:WORD_1 src1_sel:DWORD
	s_mov_b32 s2, exec_lo
	v_cmpx_ne_u16_e32 0, v0
	s_cbranch_execz .LBB387_303
; %bb.296:                              ;   in Loop: Header=BB387_11 Depth=1
	v_bfrev_b32_e32 v15, 1
	s_mov_b32 s40, exec_lo
	v_cmpx_ne_u16_e32 0x80, v0
	s_cbranch_execz .LBB387_302
; %bb.297:                              ;   in Loop: Header=BB387_11 Depth=1
	v_bfe_u32 v13, v12, 16, 7
	v_mov_b32_e32 v15, 0x7f800001
	s_mov_b32 s41, exec_lo
	v_cmpx_ne_u32_e32 0x7f, v13
	s_cbranch_execz .LBB387_301
; %bb.298:                              ;   in Loop: Header=BB387_11 Depth=1
	v_and_b32_sdwa v1, v12, v88 dst_sel:DWORD dst_unused:UNUSED_PAD src0_sel:WORD_1 src1_sel:DWORD
	v_lshrrev_b32_e32 v0, 3, v13
	s_mov_b32 s42, exec_lo
	v_cmpx_gt_u32_e32 8, v13
; %bb.299:                              ;   in Loop: Header=BB387_11 Depth=1
	v_ffbh_u32_e32 v0, v1
	v_min_u32_e32 v0, 32, v0
	v_subrev_nc_u32_e32 v13, 28, v0
	v_sub_nc_u32_e32 v0, 29, v0
	v_lshlrev_b64 v[13:14], v13, v[1:2]
	v_and_b32_e32 v1, 7, v13
; %bb.300:                              ;   in Loop: Header=BB387_11 Depth=1
	s_or_b32 exec_lo, exec_lo, s42
	v_lshlrev_b32_sdwa v13, v89, v12 dst_sel:DWORD dst_unused:UNUSED_PAD src0_sel:DWORD src1_sel:WORD_1
	v_lshlrev_b32_e32 v1, 20, v1
	v_lshl_add_u32 v0, v0, 23, 0x3c000000
	v_and_b32_e32 v13, 0x80000000, v13
	v_or3_b32 v15, v1, v13, v0
.LBB387_301:                            ;   in Loop: Header=BB387_11 Depth=1
	s_or_b32 exec_lo, exec_lo, s41
.LBB387_302:                            ;   in Loop: Header=BB387_11 Depth=1
	s_or_b32 exec_lo, exec_lo, s40
.LBB387_303:                            ;   in Loop: Header=BB387_11 Depth=1
	s_or_b32 exec_lo, exec_lo, s2
	v_mov_b32_e32 v16, 0
	v_mov_b32_e32 v23, 0
	s_mov_b32 s2, exec_lo
	v_cmpx_lt_u64_e64 s[4:5], v[11:12]
	s_cbranch_execz .LBB387_311
; %bb.304:                              ;   in Loop: Header=BB387_11 Depth=1
	v_cmp_ne_u32_sdwa s1, v12, v85 src0_sel:BYTE_3 src1_sel:DWORD
	v_bfrev_b32_e32 v23, 1
	s_and_saveexec_b32 s40, s1
	s_cbranch_execz .LBB387_310
; %bb.305:                              ;   in Loop: Header=BB387_11 Depth=1
	v_bfe_u32 v11, v12, 24, 7
	v_mov_b32_e32 v23, 0x7f800001
	s_mov_b32 s41, exec_lo
	v_cmpx_ne_u32_e32 0x7f, v11
	s_cbranch_execz .LBB387_309
; %bb.306:                              ;   in Loop: Header=BB387_11 Depth=1
	v_and_b32_sdwa v1, v12, v88 dst_sel:DWORD dst_unused:UNUSED_PAD src0_sel:BYTE_3 src1_sel:DWORD
	v_lshrrev_b32_e32 v0, 3, v11
	s_mov_b32 s42, exec_lo
	v_cmpx_gt_u32_e32 8, v11
; %bb.307:                              ;   in Loop: Header=BB387_11 Depth=1
	v_ffbh_u32_e32 v0, v1
	v_min_u32_e32 v0, 32, v0
	v_subrev_nc_u32_e32 v11, 28, v0
	v_sub_nc_u32_e32 v0, 29, v0
	v_lshlrev_b64 v[13:14], v11, v[1:2]
	v_and_b32_e32 v1, 7, v13
; %bb.308:                              ;   in Loop: Header=BB387_11 Depth=1
	s_or_b32 exec_lo, exec_lo, s42
	v_lshlrev_b32_sdwa v11, v89, v12 dst_sel:DWORD dst_unused:UNUSED_PAD src0_sel:DWORD src1_sel:BYTE_3
	v_lshlrev_b32_e32 v1, 20, v1
	v_lshl_add_u32 v0, v0, 23, 0x3c000000
	v_and_b32_e32 v11, 0x80000000, v11
	v_or3_b32 v23, v1, v11, v0
.LBB387_309:                            ;   in Loop: Header=BB387_11 Depth=1
	s_or_b32 exec_lo, exec_lo, s41
.LBB387_310:                            ;   in Loop: Header=BB387_11 Depth=1
	s_or_b32 exec_lo, exec_lo, s40
.LBB387_311:                            ;   in Loop: Header=BB387_11 Depth=1
	s_or_b32 exec_lo, exec_lo, s2
	global_load_dwordx2 v[11:12], v[7:8], off offset:1032
	s_waitcnt vmcnt(0)
	v_cmp_ne_u16_sdwa s1, v11, v2 src0_sel:BYTE_0 src1_sel:DWORD
	s_and_saveexec_b32 s2, s1
	s_cbranch_execz .LBB387_317
; %bb.312:                              ;   in Loop: Header=BB387_11 Depth=1
	v_cmp_ne_u16_sdwa s1, v11, v85 src0_sel:BYTE_0 src1_sel:DWORD
	v_bfrev_b32_e32 v16, 1
	s_and_saveexec_b32 s40, s1
	s_cbranch_execz .LBB387_316
; %bb.313:                              ;   in Loop: Header=BB387_11 Depth=1
	v_and_b32_e32 v0, 0x7f, v11
	v_mov_b32_e32 v16, 0x7f800001
	s_mov_b32 s41, exec_lo
	v_cmpx_ne_u32_e32 0x7f, v0
	s_cbranch_execz .LBB387_315
; %bb.314:                              ;   in Loop: Header=BB387_11 Depth=1
	v_and_b32_e32 v1, 7, v11
	v_lshrrev_b32_e32 v13, 3, v0
	v_cmp_gt_u32_e64 s1, 8, v0
	v_ffbh_u32_e32 v0, v1
	v_min_u32_e32 v0, 32, v0
	v_subrev_nc_u32_e32 v1, 28, v0
	v_sub_nc_u32_e32 v0, 29, v0
	v_cndmask_b32_e64 v13, v13, v0, s1
	v_cndmask_b32_e64 v0, 0, v1, s1
	v_lshl_add_u32 v13, v13, 23, 0x3c000000
	v_lshlrev_b64 v[0:1], v0, v[11:12]
	v_lshlrev_b32_e32 v1, 24, v11
	v_lshlrev_b32_e32 v0, 20, v0
	v_and_b32_e32 v1, 0x80000000, v1
	v_and_b32_e32 v0, 0x700000, v0
	v_or3_b32 v16, v0, v1, v13
.LBB387_315:                            ;   in Loop: Header=BB387_11 Depth=1
	s_or_b32 exec_lo, exec_lo, s41
.LBB387_316:                            ;   in Loop: Header=BB387_11 Depth=1
	s_or_b32 exec_lo, exec_lo, s40
.LBB387_317:                            ;   in Loop: Header=BB387_11 Depth=1
	s_or_b32 exec_lo, exec_lo, s2
	v_cmp_ne_u16_sdwa s1, v11, v2 src0_sel:BYTE_1 src1_sel:DWORD
	v_mov_b32_e32 v17, 0
	v_mov_b32_e32 v0, 0
	s_and_saveexec_b32 s2, s1
	s_cbranch_execz .LBB387_325
; %bb.318:                              ;   in Loop: Header=BB387_11 Depth=1
	v_cmp_ne_u16_sdwa s1, v11, v85 src0_sel:BYTE_1 src1_sel:DWORD
	v_bfrev_b32_e32 v0, 1
	s_and_saveexec_b32 s40, s1
	s_cbranch_execz .LBB387_324
; %bb.319:                              ;   in Loop: Header=BB387_11 Depth=1
	v_and_b32_sdwa v1, v86, v11 dst_sel:DWORD dst_unused:UNUSED_PAD src0_sel:DWORD src1_sel:BYTE_1
	v_mov_b32_e32 v0, 0x7f800001
	s_mov_b32 s41, exec_lo
	v_and_b32_e32 v13, 0x7f, v1
	v_cmpx_ne_u32_e32 0x7f, v13
	s_cbranch_execz .LBB387_323
; %bb.320:                              ;   in Loop: Header=BB387_11 Depth=1
	v_and_b32_e32 v1, 7, v1
	v_lshrrev_b32_e32 v0, 3, v13
	s_mov_b32 s42, exec_lo
	v_cmpx_gt_u32_e32 8, v13
; %bb.321:                              ;   in Loop: Header=BB387_11 Depth=1
	v_ffbh_u32_e32 v0, v1
	v_min_u32_e32 v0, 32, v0
	v_subrev_nc_u32_e32 v13, 28, v0
	v_sub_nc_u32_e32 v0, 29, v0
	v_lshlrev_b64 v[13:14], v13, v[1:2]
	v_and_b32_e32 v1, 7, v13
; %bb.322:                              ;   in Loop: Header=BB387_11 Depth=1
	s_or_b32 exec_lo, exec_lo, s42
	v_lshlrev_b32_e32 v13, 16, v11
	v_lshlrev_b32_e32 v1, 20, v1
	v_lshl_add_u32 v0, v0, 23, 0x3c000000
	v_and_b32_e32 v13, 0x80000000, v13
	v_or3_b32 v0, v1, v13, v0
.LBB387_323:                            ;   in Loop: Header=BB387_11 Depth=1
	s_or_b32 exec_lo, exec_lo, s41
.LBB387_324:                            ;   in Loop: Header=BB387_11 Depth=1
	s_or_b32 exec_lo, exec_lo, s40
.LBB387_325:                            ;   in Loop: Header=BB387_11 Depth=1
	s_or_b32 exec_lo, exec_lo, s2
	v_and_b32_sdwa v1, v11, v87 dst_sel:DWORD dst_unused:UNUSED_PAD src0_sel:WORD_1 src1_sel:DWORD
	s_mov_b32 s2, exec_lo
	v_cmpx_ne_u16_e32 0, v1
	s_cbranch_execz .LBB387_333
; %bb.326:                              ;   in Loop: Header=BB387_11 Depth=1
	v_bfrev_b32_e32 v17, 1
	s_mov_b32 s40, exec_lo
	v_cmpx_ne_u16_e32 0x80, v1
	s_cbranch_execz .LBB387_332
; %bb.327:                              ;   in Loop: Header=BB387_11 Depth=1
	v_bfe_u32 v14, v11, 16, 7
	v_mov_b32_e32 v17, 0x7f800001
	s_mov_b32 s41, exec_lo
	v_cmpx_ne_u32_e32 0x7f, v14
	s_cbranch_execz .LBB387_331
; %bb.328:                              ;   in Loop: Header=BB387_11 Depth=1
	v_and_b32_sdwa v1, v11, v88 dst_sel:DWORD dst_unused:UNUSED_PAD src0_sel:WORD_1 src1_sel:DWORD
	v_lshrrev_b32_e32 v13, 3, v14
	s_mov_b32 s42, exec_lo
	v_cmpx_gt_u32_e32 8, v14
; %bb.329:                              ;   in Loop: Header=BB387_11 Depth=1
	v_ffbh_u32_e32 v13, v1
	v_min_u32_e32 v13, 32, v13
	v_subrev_nc_u32_e32 v14, 28, v13
	v_sub_nc_u32_e32 v13, 29, v13
	v_lshlrev_b64 v[17:18], v14, v[1:2]
	v_and_b32_e32 v1, 7, v17
; %bb.330:                              ;   in Loop: Header=BB387_11 Depth=1
	s_or_b32 exec_lo, exec_lo, s42
	v_lshlrev_b32_sdwa v14, v89, v11 dst_sel:DWORD dst_unused:UNUSED_PAD src0_sel:DWORD src1_sel:WORD_1
	v_lshlrev_b32_e32 v1, 20, v1
	v_lshl_add_u32 v13, v13, 23, 0x3c000000
	v_and_b32_e32 v14, 0x80000000, v14
	v_or3_b32 v17, v1, v14, v13
.LBB387_331:                            ;   in Loop: Header=BB387_11 Depth=1
	s_or_b32 exec_lo, exec_lo, s41
.LBB387_332:                            ;   in Loop: Header=BB387_11 Depth=1
	s_or_b32 exec_lo, exec_lo, s40
.LBB387_333:                            ;   in Loop: Header=BB387_11 Depth=1
	s_or_b32 exec_lo, exec_lo, s2
	v_mov_b32_e32 v19, 0
	v_mov_b32_e32 v18, 0
	s_mov_b32 s2, exec_lo
	v_cmpx_lt_u32_e32 0xffffff, v11
	s_cbranch_execz .LBB387_341
; %bb.334:                              ;   in Loop: Header=BB387_11 Depth=1
	v_cmp_ne_u32_sdwa s1, v11, v85 src0_sel:BYTE_3 src1_sel:DWORD
	v_bfrev_b32_e32 v18, 1
	s_and_saveexec_b32 s40, s1
	s_cbranch_execz .LBB387_340
; %bb.335:                              ;   in Loop: Header=BB387_11 Depth=1
	v_bfe_u32 v14, v11, 24, 7
	v_mov_b32_e32 v18, 0x7f800001
	s_mov_b32 s41, exec_lo
	v_cmpx_ne_u32_e32 0x7f, v14
	s_cbranch_execz .LBB387_339
; %bb.336:                              ;   in Loop: Header=BB387_11 Depth=1
	v_and_b32_sdwa v1, v11, v88 dst_sel:DWORD dst_unused:UNUSED_PAD src0_sel:BYTE_3 src1_sel:DWORD
	v_lshrrev_b32_e32 v13, 3, v14
	s_mov_b32 s42, exec_lo
	v_cmpx_gt_u32_e32 8, v14
; %bb.337:                              ;   in Loop: Header=BB387_11 Depth=1
	v_ffbh_u32_e32 v13, v1
	v_min_u32_e32 v13, 32, v13
	v_subrev_nc_u32_e32 v14, 28, v13
	v_sub_nc_u32_e32 v13, 29, v13
	v_lshlrev_b64 v[20:21], v14, v[1:2]
	v_and_b32_e32 v1, 7, v20
; %bb.338:                              ;   in Loop: Header=BB387_11 Depth=1
	s_or_b32 exec_lo, exec_lo, s42
	v_lshlrev_b32_sdwa v14, v89, v11 dst_sel:DWORD dst_unused:UNUSED_PAD src0_sel:DWORD src1_sel:BYTE_3
	v_lshlrev_b32_e32 v1, 20, v1
	v_lshl_add_u32 v13, v13, 23, 0x3c000000
	v_and_b32_e32 v14, 0x80000000, v14
	v_or3_b32 v18, v1, v14, v13
.LBB387_339:                            ;   in Loop: Header=BB387_11 Depth=1
	s_or_b32 exec_lo, exec_lo, s41
.LBB387_340:                            ;   in Loop: Header=BB387_11 Depth=1
	s_or_b32 exec_lo, exec_lo, s40
.LBB387_341:                            ;   in Loop: Header=BB387_11 Depth=1
	s_or_b32 exec_lo, exec_lo, s2
	v_mov_b32_e32 v1, v12
	v_cmp_ne_u16_sdwa s1, v12, v2 src0_sel:BYTE_0 src1_sel:DWORD
	s_and_saveexec_b32 s2, s1
	s_cbranch_execz .LBB387_347
; %bb.342:                              ;   in Loop: Header=BB387_11 Depth=1
	v_cmp_ne_u16_sdwa s1, v12, v85 src0_sel:BYTE_0 src1_sel:DWORD
	v_bfrev_b32_e32 v19, 1
	s_and_saveexec_b32 s40, s1
	s_cbranch_execz .LBB387_346
; %bb.343:                              ;   in Loop: Header=BB387_11 Depth=1
	v_and_b32_e32 v13, 0x7f, v12
	v_mov_b32_e32 v19, 0x7f800001
	s_mov_b32 s41, exec_lo
	v_cmpx_ne_u32_e32 0x7f, v13
	s_cbranch_execz .LBB387_345
; %bb.344:                              ;   in Loop: Header=BB387_11 Depth=1
	v_and_b32_e32 v14, 7, v12
	v_lshrrev_b32_e32 v19, 3, v13
	v_cmp_gt_u32_e64 s1, 8, v13
	v_ffbh_u32_e32 v13, v14
	v_min_u32_e32 v13, 32, v13
	v_subrev_nc_u32_e32 v14, 28, v13
	v_sub_nc_u32_e32 v13, 29, v13
	v_cndmask_b32_e64 v19, v19, v13, s1
	v_cndmask_b32_e64 v13, 0, v14, s1
	v_lshl_add_u32 v19, v19, 23, 0x3c000000
	v_lshlrev_b64 v[13:14], v13, v[1:2]
	v_lshlrev_b32_e32 v14, 24, v1
	v_lshlrev_b32_e32 v13, 20, v13
	v_and_b32_e32 v14, 0x80000000, v14
	v_and_b32_e32 v13, 0x700000, v13
	v_or3_b32 v19, v13, v14, v19
.LBB387_345:                            ;   in Loop: Header=BB387_11 Depth=1
	s_or_b32 exec_lo, exec_lo, s41
.LBB387_346:                            ;   in Loop: Header=BB387_11 Depth=1
	s_or_b32 exec_lo, exec_lo, s40
.LBB387_347:                            ;   in Loop: Header=BB387_11 Depth=1
	s_or_b32 exec_lo, exec_lo, s2
	v_cmp_ne_u16_sdwa s1, v1, v2 src0_sel:BYTE_1 src1_sel:DWORD
	v_mov_b32_e32 v20, 0
	v_mov_b32_e32 v21, 0
	s_and_saveexec_b32 s2, s1
	s_cbranch_execz .LBB387_355
; %bb.348:                              ;   in Loop: Header=BB387_11 Depth=1
	v_cmp_ne_u16_sdwa s1, v1, v85 src0_sel:BYTE_1 src1_sel:DWORD
	v_bfrev_b32_e32 v21, 1
	s_and_saveexec_b32 s40, s1
	s_cbranch_execz .LBB387_354
; %bb.349:                              ;   in Loop: Header=BB387_11 Depth=1
	v_and_b32_sdwa v13, v86, v1 dst_sel:DWORD dst_unused:UNUSED_PAD src0_sel:DWORD src1_sel:BYTE_1
	v_mov_b32_e32 v21, 0x7f800001
	s_mov_b32 s41, exec_lo
	v_and_b32_e32 v24, 0x7f, v13
	v_cmpx_ne_u32_e32 0x7f, v24
	s_cbranch_execz .LBB387_353
; %bb.350:                              ;   in Loop: Header=BB387_11 Depth=1
	v_and_b32_e32 v13, 7, v13
	v_mov_b32_e32 v14, v2
	v_lshrrev_b32_e32 v21, 3, v24
	s_mov_b32 s42, exec_lo
	v_cmpx_gt_u32_e32 8, v24
; %bb.351:                              ;   in Loop: Header=BB387_11 Depth=1
	v_ffbh_u32_e32 v21, v13
	v_min_u32_e32 v21, 32, v21
	v_subrev_nc_u32_e32 v24, 28, v21
	v_sub_nc_u32_e32 v21, 29, v21
	v_lshlrev_b64 v[13:14], v24, v[13:14]
	v_and_b32_e32 v13, 7, v13
; %bb.352:                              ;   in Loop: Header=BB387_11 Depth=1
	s_or_b32 exec_lo, exec_lo, s42
	v_lshlrev_b32_e32 v1, 16, v1
	v_lshlrev_b32_e32 v13, 20, v13
	v_lshl_add_u32 v14, v21, 23, 0x3c000000
	v_and_b32_e32 v1, 0x80000000, v1
	v_or3_b32 v21, v13, v1, v14
.LBB387_353:                            ;   in Loop: Header=BB387_11 Depth=1
	s_or_b32 exec_lo, exec_lo, s41
.LBB387_354:                            ;   in Loop: Header=BB387_11 Depth=1
	s_or_b32 exec_lo, exec_lo, s40
.LBB387_355:                            ;   in Loop: Header=BB387_11 Depth=1
	s_or_b32 exec_lo, exec_lo, s2
	v_and_b32_sdwa v1, v12, v87 dst_sel:DWORD dst_unused:UNUSED_PAD src0_sel:WORD_1 src1_sel:DWORD
	s_mov_b32 s2, exec_lo
	v_cmpx_ne_u16_e32 0, v1
	s_cbranch_execz .LBB387_363
; %bb.356:                              ;   in Loop: Header=BB387_11 Depth=1
	v_bfrev_b32_e32 v20, 1
	s_mov_b32 s40, exec_lo
	v_cmpx_ne_u16_e32 0x80, v1
	s_cbranch_execz .LBB387_362
; %bb.357:                              ;   in Loop: Header=BB387_11 Depth=1
	v_bfe_u32 v14, v12, 16, 7
	v_mov_b32_e32 v20, 0x7f800001
	s_mov_b32 s41, exec_lo
	v_cmpx_ne_u32_e32 0x7f, v14
	s_cbranch_execz .LBB387_361
; %bb.358:                              ;   in Loop: Header=BB387_11 Depth=1
	v_and_b32_sdwa v1, v12, v88 dst_sel:DWORD dst_unused:UNUSED_PAD src0_sel:WORD_1 src1_sel:DWORD
	v_lshrrev_b32_e32 v13, 3, v14
	s_mov_b32 s42, exec_lo
	v_cmpx_gt_u32_e32 8, v14
; %bb.359:                              ;   in Loop: Header=BB387_11 Depth=1
	v_ffbh_u32_e32 v13, v1
	v_min_u32_e32 v13, 32, v13
	v_subrev_nc_u32_e32 v14, 28, v13
	v_sub_nc_u32_e32 v13, 29, v13
	v_lshlrev_b64 v[24:25], v14, v[1:2]
	v_and_b32_e32 v1, 7, v24
; %bb.360:                              ;   in Loop: Header=BB387_11 Depth=1
	s_or_b32 exec_lo, exec_lo, s42
	v_lshlrev_b32_sdwa v14, v89, v12 dst_sel:DWORD dst_unused:UNUSED_PAD src0_sel:DWORD src1_sel:WORD_1
	v_lshlrev_b32_e32 v1, 20, v1
	v_lshl_add_u32 v13, v13, 23, 0x3c000000
	v_and_b32_e32 v14, 0x80000000, v14
	v_or3_b32 v20, v1, v14, v13
.LBB387_361:                            ;   in Loop: Header=BB387_11 Depth=1
	s_or_b32 exec_lo, exec_lo, s41
.LBB387_362:                            ;   in Loop: Header=BB387_11 Depth=1
	s_or_b32 exec_lo, exec_lo, s40
.LBB387_363:                            ;   in Loop: Header=BB387_11 Depth=1
	s_or_b32 exec_lo, exec_lo, s2
	v_mov_b32_e32 v25, 0
	v_mov_b32_e32 v24, 0
	s_mov_b32 s2, exec_lo
	v_cmpx_lt_u64_e64 s[4:5], v[11:12]
	s_cbranch_execz .LBB387_371
; %bb.364:                              ;   in Loop: Header=BB387_11 Depth=1
	v_cmp_ne_u32_sdwa s1, v12, v85 src0_sel:BYTE_3 src1_sel:DWORD
	v_bfrev_b32_e32 v24, 1
	s_and_saveexec_b32 s40, s1
	s_cbranch_execz .LBB387_370
; %bb.365:                              ;   in Loop: Header=BB387_11 Depth=1
	v_bfe_u32 v13, v12, 24, 7
	v_mov_b32_e32 v24, 0x7f800001
	s_mov_b32 s41, exec_lo
	v_cmpx_ne_u32_e32 0x7f, v13
	s_cbranch_execz .LBB387_369
; %bb.366:                              ;   in Loop: Header=BB387_11 Depth=1
	v_and_b32_sdwa v1, v12, v88 dst_sel:DWORD dst_unused:UNUSED_PAD src0_sel:BYTE_3 src1_sel:DWORD
	v_lshrrev_b32_e32 v11, 3, v13
	s_mov_b32 s42, exec_lo
	v_cmpx_gt_u32_e32 8, v13
; %bb.367:                              ;   in Loop: Header=BB387_11 Depth=1
	v_ffbh_u32_e32 v11, v1
	v_min_u32_e32 v11, 32, v11
	v_subrev_nc_u32_e32 v13, 28, v11
	v_sub_nc_u32_e32 v11, 29, v11
	v_lshlrev_b64 v[13:14], v13, v[1:2]
	v_and_b32_e32 v1, 7, v13
; %bb.368:                              ;   in Loop: Header=BB387_11 Depth=1
	s_or_b32 exec_lo, exec_lo, s42
	v_lshlrev_b32_sdwa v12, v89, v12 dst_sel:DWORD dst_unused:UNUSED_PAD src0_sel:DWORD src1_sel:BYTE_3
	v_lshlrev_b32_e32 v1, 20, v1
	v_lshl_add_u32 v11, v11, 23, 0x3c000000
	v_and_b32_e32 v12, 0x80000000, v12
	v_or3_b32 v24, v1, v12, v11
.LBB387_369:                            ;   in Loop: Header=BB387_11 Depth=1
	s_or_b32 exec_lo, exec_lo, s41
.LBB387_370:                            ;   in Loop: Header=BB387_11 Depth=1
	s_or_b32 exec_lo, exec_lo, s40
.LBB387_371:                            ;   in Loop: Header=BB387_11 Depth=1
	s_or_b32 exec_lo, exec_lo, s2
	global_load_dwordx2 v[11:12], v[7:8], off offset:1536
	s_waitcnt vmcnt(0)
	v_cmp_ne_u16_sdwa s1, v11, v2 src0_sel:BYTE_0 src1_sel:DWORD
	s_and_saveexec_b32 s2, s1
	s_cbranch_execz .LBB387_377
; %bb.372:                              ;   in Loop: Header=BB387_11 Depth=1
	v_cmp_ne_u16_sdwa s1, v11, v85 src0_sel:BYTE_0 src1_sel:DWORD
	v_bfrev_b32_e32 v25, 1
	s_and_saveexec_b32 s40, s1
	s_cbranch_execz .LBB387_376
; %bb.373:                              ;   in Loop: Header=BB387_11 Depth=1
	v_and_b32_e32 v1, 0x7f, v11
	v_mov_b32_e32 v25, 0x7f800001
	s_mov_b32 s41, exec_lo
	v_cmpx_ne_u32_e32 0x7f, v1
	s_cbranch_execz .LBB387_375
; %bb.374:                              ;   in Loop: Header=BB387_11 Depth=1
	v_and_b32_e32 v13, 7, v11
	v_lshrrev_b32_e32 v14, 3, v1
	v_cmp_gt_u32_e64 s1, 8, v1
	v_ffbh_u32_e32 v1, v13
	v_min_u32_e32 v1, 32, v1
	v_subrev_nc_u32_e32 v13, 28, v1
	v_sub_nc_u32_e32 v1, 29, v1
	v_cndmask_b32_e64 v13, 0, v13, s1
	v_cndmask_b32_e64 v1, v14, v1, s1
	v_lshlrev_b64 v[13:14], v13, v[11:12]
	v_lshlrev_b32_e32 v14, 24, v11
	v_lshl_add_u32 v1, v1, 23, 0x3c000000
	v_lshlrev_b32_e32 v13, 20, v13
	v_and_b32_e32 v14, 0x80000000, v14
	v_and_b32_e32 v13, 0x700000, v13
	v_or3_b32 v25, v13, v14, v1
.LBB387_375:                            ;   in Loop: Header=BB387_11 Depth=1
	s_or_b32 exec_lo, exec_lo, s41
.LBB387_376:                            ;   in Loop: Header=BB387_11 Depth=1
	s_or_b32 exec_lo, exec_lo, s40
.LBB387_377:                            ;   in Loop: Header=BB387_11 Depth=1
	s_or_b32 exec_lo, exec_lo, s2
	v_cmp_ne_u16_sdwa s1, v11, v2 src0_sel:BYTE_1 src1_sel:DWORD
	v_mov_b32_e32 v27, 0
	v_mov_b32_e32 v26, 0
	s_and_saveexec_b32 s2, s1
	s_cbranch_execz .LBB387_385
; %bb.378:                              ;   in Loop: Header=BB387_11 Depth=1
	v_cmp_ne_u16_sdwa s1, v11, v85 src0_sel:BYTE_1 src1_sel:DWORD
	v_bfrev_b32_e32 v26, 1
	s_and_saveexec_b32 s40, s1
	s_cbranch_execz .LBB387_384
; %bb.379:                              ;   in Loop: Header=BB387_11 Depth=1
	v_and_b32_sdwa v1, v86, v11 dst_sel:DWORD dst_unused:UNUSED_PAD src0_sel:DWORD src1_sel:BYTE_1
	v_mov_b32_e32 v26, 0x7f800001
	s_mov_b32 s41, exec_lo
	v_and_b32_e32 v14, 0x7f, v1
	v_cmpx_ne_u32_e32 0x7f, v14
	s_cbranch_execz .LBB387_383
; %bb.380:                              ;   in Loop: Header=BB387_11 Depth=1
	v_and_b32_e32 v1, 7, v1
	v_lshrrev_b32_e32 v13, 3, v14
	s_mov_b32 s42, exec_lo
	v_cmpx_gt_u32_e32 8, v14
; %bb.381:                              ;   in Loop: Header=BB387_11 Depth=1
	v_ffbh_u32_e32 v13, v1
	v_min_u32_e32 v13, 32, v13
	v_subrev_nc_u32_e32 v14, 28, v13
	v_sub_nc_u32_e32 v13, 29, v13
	v_lshlrev_b64 v[28:29], v14, v[1:2]
	v_and_b32_e32 v1, 7, v28
; %bb.382:                              ;   in Loop: Header=BB387_11 Depth=1
	s_or_b32 exec_lo, exec_lo, s42
	v_lshlrev_b32_e32 v14, 16, v11
	v_lshlrev_b32_e32 v1, 20, v1
	v_lshl_add_u32 v13, v13, 23, 0x3c000000
	v_and_b32_e32 v14, 0x80000000, v14
	v_or3_b32 v26, v1, v14, v13
.LBB387_383:                            ;   in Loop: Header=BB387_11 Depth=1
	s_or_b32 exec_lo, exec_lo, s41
.LBB387_384:                            ;   in Loop: Header=BB387_11 Depth=1
	s_or_b32 exec_lo, exec_lo, s40
.LBB387_385:                            ;   in Loop: Header=BB387_11 Depth=1
	s_or_b32 exec_lo, exec_lo, s2
	v_and_b32_sdwa v1, v11, v87 dst_sel:DWORD dst_unused:UNUSED_PAD src0_sel:WORD_1 src1_sel:DWORD
	s_mov_b32 s2, exec_lo
	v_cmpx_ne_u16_e32 0, v1
	s_cbranch_execz .LBB387_393
; %bb.386:                              ;   in Loop: Header=BB387_11 Depth=1
	v_bfrev_b32_e32 v27, 1
	s_mov_b32 s40, exec_lo
	v_cmpx_ne_u16_e32 0x80, v1
	s_cbranch_execz .LBB387_392
; %bb.387:                              ;   in Loop: Header=BB387_11 Depth=1
	v_bfe_u32 v14, v11, 16, 7
	v_mov_b32_e32 v27, 0x7f800001
	s_mov_b32 s41, exec_lo
	v_cmpx_ne_u32_e32 0x7f, v14
	s_cbranch_execz .LBB387_391
; %bb.388:                              ;   in Loop: Header=BB387_11 Depth=1
	v_and_b32_sdwa v1, v11, v88 dst_sel:DWORD dst_unused:UNUSED_PAD src0_sel:WORD_1 src1_sel:DWORD
	v_lshrrev_b32_e32 v13, 3, v14
	s_mov_b32 s42, exec_lo
	v_cmpx_gt_u32_e32 8, v14
; %bb.389:                              ;   in Loop: Header=BB387_11 Depth=1
	v_ffbh_u32_e32 v13, v1
	v_min_u32_e32 v13, 32, v13
	v_subrev_nc_u32_e32 v14, 28, v13
	v_sub_nc_u32_e32 v13, 29, v13
	v_lshlrev_b64 v[27:28], v14, v[1:2]
	v_and_b32_e32 v1, 7, v27
; %bb.390:                              ;   in Loop: Header=BB387_11 Depth=1
	s_or_b32 exec_lo, exec_lo, s42
	v_lshlrev_b32_sdwa v14, v89, v11 dst_sel:DWORD dst_unused:UNUSED_PAD src0_sel:DWORD src1_sel:WORD_1
	v_lshlrev_b32_e32 v1, 20, v1
	v_lshl_add_u32 v13, v13, 23, 0x3c000000
	v_and_b32_e32 v14, 0x80000000, v14
	v_or3_b32 v27, v1, v14, v13
.LBB387_391:                            ;   in Loop: Header=BB387_11 Depth=1
	s_or_b32 exec_lo, exec_lo, s41
.LBB387_392:                            ;   in Loop: Header=BB387_11 Depth=1
	s_or_b32 exec_lo, exec_lo, s40
.LBB387_393:                            ;   in Loop: Header=BB387_11 Depth=1
	s_or_b32 exec_lo, exec_lo, s2
	v_mov_b32_e32 v30, 0
	v_mov_b32_e32 v28, 0
	s_mov_b32 s2, exec_lo
	v_cmpx_lt_u32_e32 0xffffff, v11
	s_cbranch_execz .LBB387_401
; %bb.394:                              ;   in Loop: Header=BB387_11 Depth=1
	v_cmp_ne_u32_sdwa s1, v11, v85 src0_sel:BYTE_3 src1_sel:DWORD
	v_bfrev_b32_e32 v28, 1
	s_and_saveexec_b32 s40, s1
	s_cbranch_execz .LBB387_400
; %bb.395:                              ;   in Loop: Header=BB387_11 Depth=1
	v_bfe_u32 v14, v11, 24, 7
	v_mov_b32_e32 v28, 0x7f800001
	s_mov_b32 s41, exec_lo
	v_cmpx_ne_u32_e32 0x7f, v14
	s_cbranch_execz .LBB387_399
; %bb.396:                              ;   in Loop: Header=BB387_11 Depth=1
	v_and_b32_sdwa v1, v11, v88 dst_sel:DWORD dst_unused:UNUSED_PAD src0_sel:BYTE_3 src1_sel:DWORD
	v_lshrrev_b32_e32 v13, 3, v14
	s_mov_b32 s42, exec_lo
	v_cmpx_gt_u32_e32 8, v14
; %bb.397:                              ;   in Loop: Header=BB387_11 Depth=1
	v_ffbh_u32_e32 v13, v1
	v_min_u32_e32 v13, 32, v13
	v_subrev_nc_u32_e32 v14, 28, v13
	v_sub_nc_u32_e32 v13, 29, v13
	v_lshlrev_b64 v[28:29], v14, v[1:2]
	v_and_b32_e32 v1, 7, v28
; %bb.398:                              ;   in Loop: Header=BB387_11 Depth=1
	s_or_b32 exec_lo, exec_lo, s42
	v_lshlrev_b32_sdwa v14, v89, v11 dst_sel:DWORD dst_unused:UNUSED_PAD src0_sel:DWORD src1_sel:BYTE_3
	v_lshlrev_b32_e32 v1, 20, v1
	v_lshl_add_u32 v13, v13, 23, 0x3c000000
	v_and_b32_e32 v14, 0x80000000, v14
	v_or3_b32 v28, v1, v14, v13
.LBB387_399:                            ;   in Loop: Header=BB387_11 Depth=1
	s_or_b32 exec_lo, exec_lo, s41
.LBB387_400:                            ;   in Loop: Header=BB387_11 Depth=1
	s_or_b32 exec_lo, exec_lo, s40
.LBB387_401:                            ;   in Loop: Header=BB387_11 Depth=1
	s_or_b32 exec_lo, exec_lo, s2
	v_mov_b32_e32 v1, v12
	v_cmp_ne_u16_sdwa s1, v12, v2 src0_sel:BYTE_0 src1_sel:DWORD
	s_and_saveexec_b32 s2, s1
	s_cbranch_execz .LBB387_407
; %bb.402:                              ;   in Loop: Header=BB387_11 Depth=1
	v_cmp_ne_u16_sdwa s1, v12, v85 src0_sel:BYTE_0 src1_sel:DWORD
	v_bfrev_b32_e32 v30, 1
	s_and_saveexec_b32 s40, s1
	s_cbranch_execz .LBB387_406
; %bb.403:                              ;   in Loop: Header=BB387_11 Depth=1
	v_and_b32_e32 v13, 0x7f, v12
	v_mov_b32_e32 v30, 0x7f800001
	s_mov_b32 s41, exec_lo
	v_cmpx_ne_u32_e32 0x7f, v13
	s_cbranch_execz .LBB387_405
; %bb.404:                              ;   in Loop: Header=BB387_11 Depth=1
	v_and_b32_e32 v14, 7, v12
	v_lshrrev_b32_e32 v29, 3, v13
	v_cmp_gt_u32_e64 s1, 8, v13
	v_ffbh_u32_e32 v13, v14
	v_min_u32_e32 v13, 32, v13
	v_subrev_nc_u32_e32 v14, 28, v13
	v_sub_nc_u32_e32 v13, 29, v13
	v_cndmask_b32_e64 v29, v29, v13, s1
	v_cndmask_b32_e64 v13, 0, v14, s1
	v_lshl_add_u32 v29, v29, 23, 0x3c000000
	v_lshlrev_b64 v[13:14], v13, v[1:2]
	v_lshlrev_b32_e32 v14, 24, v1
	v_lshlrev_b32_e32 v13, 20, v13
	v_and_b32_e32 v14, 0x80000000, v14
	v_and_b32_e32 v13, 0x700000, v13
	v_or3_b32 v30, v13, v14, v29
.LBB387_405:                            ;   in Loop: Header=BB387_11 Depth=1
	s_or_b32 exec_lo, exec_lo, s41
.LBB387_406:                            ;   in Loop: Header=BB387_11 Depth=1
	s_or_b32 exec_lo, exec_lo, s40
.LBB387_407:                            ;   in Loop: Header=BB387_11 Depth=1
	s_or_b32 exec_lo, exec_lo, s2
	v_cmp_ne_u16_sdwa s1, v1, v2 src0_sel:BYTE_1 src1_sel:DWORD
	v_mov_b32_e32 v31, 0
	v_mov_b32_e32 v33, 0
	s_and_saveexec_b32 s2, s1
	s_cbranch_execz .LBB387_415
; %bb.408:                              ;   in Loop: Header=BB387_11 Depth=1
	v_cmp_ne_u16_sdwa s1, v1, v85 src0_sel:BYTE_1 src1_sel:DWORD
	v_bfrev_b32_e32 v33, 1
	s_and_saveexec_b32 s40, s1
	s_cbranch_execz .LBB387_414
; %bb.409:                              ;   in Loop: Header=BB387_11 Depth=1
	v_and_b32_sdwa v13, v86, v1 dst_sel:DWORD dst_unused:UNUSED_PAD src0_sel:DWORD src1_sel:BYTE_1
	v_mov_b32_e32 v33, 0x7f800001
	s_mov_b32 s41, exec_lo
	v_and_b32_e32 v32, 0x7f, v13
	v_cmpx_ne_u32_e32 0x7f, v32
	s_cbranch_execz .LBB387_413
; %bb.410:                              ;   in Loop: Header=BB387_11 Depth=1
	v_and_b32_e32 v13, 7, v13
	v_mov_b32_e32 v14, v2
	v_lshrrev_b32_e32 v29, 3, v32
	s_mov_b32 s42, exec_lo
	v_cmpx_gt_u32_e32 8, v32
; %bb.411:                              ;   in Loop: Header=BB387_11 Depth=1
	v_ffbh_u32_e32 v29, v13
	v_min_u32_e32 v29, 32, v29
	v_subrev_nc_u32_e32 v32, 28, v29
	v_sub_nc_u32_e32 v29, 29, v29
	v_lshlrev_b64 v[13:14], v32, v[13:14]
	v_and_b32_e32 v13, 7, v13
; %bb.412:                              ;   in Loop: Header=BB387_11 Depth=1
	s_or_b32 exec_lo, exec_lo, s42
	v_lshlrev_b32_e32 v1, 16, v1
	v_lshlrev_b32_e32 v13, 20, v13
	v_lshl_add_u32 v14, v29, 23, 0x3c000000
	v_and_b32_e32 v1, 0x80000000, v1
	v_or3_b32 v33, v13, v1, v14
.LBB387_413:                            ;   in Loop: Header=BB387_11 Depth=1
	s_or_b32 exec_lo, exec_lo, s41
.LBB387_414:                            ;   in Loop: Header=BB387_11 Depth=1
	s_or_b32 exec_lo, exec_lo, s40
.LBB387_415:                            ;   in Loop: Header=BB387_11 Depth=1
	s_or_b32 exec_lo, exec_lo, s2
	v_and_b32_sdwa v1, v12, v87 dst_sel:DWORD dst_unused:UNUSED_PAD src0_sel:WORD_1 src1_sel:DWORD
	s_mov_b32 s2, exec_lo
	v_cmpx_ne_u16_e32 0, v1
	s_cbranch_execz .LBB387_423
; %bb.416:                              ;   in Loop: Header=BB387_11 Depth=1
	v_bfrev_b32_e32 v31, 1
	s_mov_b32 s40, exec_lo
	v_cmpx_ne_u16_e32 0x80, v1
	s_cbranch_execz .LBB387_422
; %bb.417:                              ;   in Loop: Header=BB387_11 Depth=1
	v_bfe_u32 v14, v12, 16, 7
	v_mov_b32_e32 v31, 0x7f800001
	s_mov_b32 s41, exec_lo
	v_cmpx_ne_u32_e32 0x7f, v14
	s_cbranch_execz .LBB387_421
; %bb.418:                              ;   in Loop: Header=BB387_11 Depth=1
	v_and_b32_sdwa v1, v12, v88 dst_sel:DWORD dst_unused:UNUSED_PAD src0_sel:WORD_1 src1_sel:DWORD
	v_lshrrev_b32_e32 v13, 3, v14
	s_mov_b32 s42, exec_lo
	v_cmpx_gt_u32_e32 8, v14
; %bb.419:                              ;   in Loop: Header=BB387_11 Depth=1
	v_ffbh_u32_e32 v13, v1
	v_min_u32_e32 v13, 32, v13
	v_subrev_nc_u32_e32 v14, 28, v13
	v_sub_nc_u32_e32 v13, 29, v13
	v_lshlrev_b64 v[31:32], v14, v[1:2]
	v_and_b32_e32 v1, 7, v31
; %bb.420:                              ;   in Loop: Header=BB387_11 Depth=1
	s_or_b32 exec_lo, exec_lo, s42
	v_lshlrev_b32_sdwa v14, v89, v12 dst_sel:DWORD dst_unused:UNUSED_PAD src0_sel:DWORD src1_sel:WORD_1
	v_lshlrev_b32_e32 v1, 20, v1
	v_lshl_add_u32 v13, v13, 23, 0x3c000000
	v_and_b32_e32 v14, 0x80000000, v14
	v_or3_b32 v31, v1, v14, v13
.LBB387_421:                            ;   in Loop: Header=BB387_11 Depth=1
	s_or_b32 exec_lo, exec_lo, s41
.LBB387_422:                            ;   in Loop: Header=BB387_11 Depth=1
	s_or_b32 exec_lo, exec_lo, s40
.LBB387_423:                            ;   in Loop: Header=BB387_11 Depth=1
	s_or_b32 exec_lo, exec_lo, s2
	v_mov_b32_e32 v13, 0
	v_mov_b32_e32 v35, 0
	s_mov_b32 s2, exec_lo
	v_cmpx_lt_u64_e64 s[4:5], v[11:12]
	s_cbranch_execz .LBB387_431
; %bb.424:                              ;   in Loop: Header=BB387_11 Depth=1
	v_cmp_ne_u32_sdwa s1, v12, v85 src0_sel:BYTE_3 src1_sel:DWORD
	v_bfrev_b32_e32 v35, 1
	s_and_saveexec_b32 s40, s1
	s_cbranch_execz .LBB387_430
; %bb.425:                              ;   in Loop: Header=BB387_11 Depth=1
	v_bfe_u32 v14, v12, 24, 7
	v_mov_b32_e32 v35, 0x7f800001
	s_mov_b32 s41, exec_lo
	v_cmpx_ne_u32_e32 0x7f, v14
	s_cbranch_execz .LBB387_429
; %bb.426:                              ;   in Loop: Header=BB387_11 Depth=1
	v_and_b32_sdwa v1, v12, v88 dst_sel:DWORD dst_unused:UNUSED_PAD src0_sel:BYTE_3 src1_sel:DWORD
	v_lshrrev_b32_e32 v11, 3, v14
	s_mov_b32 s42, exec_lo
	v_cmpx_gt_u32_e32 8, v14
; %bb.427:                              ;   in Loop: Header=BB387_11 Depth=1
	v_ffbh_u32_e32 v11, v1
	v_min_u32_e32 v11, 32, v11
	v_subrev_nc_u32_e32 v14, 28, v11
	v_sub_nc_u32_e32 v11, 29, v11
	v_lshlrev_b64 v[34:35], v14, v[1:2]
	v_and_b32_e32 v1, 7, v34
; %bb.428:                              ;   in Loop: Header=BB387_11 Depth=1
	s_or_b32 exec_lo, exec_lo, s42
	v_lshlrev_b32_sdwa v12, v89, v12 dst_sel:DWORD dst_unused:UNUSED_PAD src0_sel:DWORD src1_sel:BYTE_3
	v_lshlrev_b32_e32 v1, 20, v1
	v_lshl_add_u32 v11, v11, 23, 0x3c000000
	v_and_b32_e32 v12, 0x80000000, v12
	v_or3_b32 v35, v1, v12, v11
.LBB387_429:                            ;   in Loop: Header=BB387_11 Depth=1
	s_or_b32 exec_lo, exec_lo, s41
.LBB387_430:                            ;   in Loop: Header=BB387_11 Depth=1
	s_or_b32 exec_lo, exec_lo, s40
.LBB387_431:                            ;   in Loop: Header=BB387_11 Depth=1
	s_or_b32 exec_lo, exec_lo, s2
	global_load_dwordx2 v[7:8], v[7:8], off offset:1544
	s_waitcnt vmcnt(0)
	v_cmp_ne_u16_sdwa s1, v7, v2 src0_sel:BYTE_0 src1_sel:DWORD
	s_and_saveexec_b32 s2, s1
	s_cbranch_execz .LBB387_437
; %bb.432:                              ;   in Loop: Header=BB387_11 Depth=1
	v_cmp_ne_u16_sdwa s1, v7, v85 src0_sel:BYTE_0 src1_sel:DWORD
	v_bfrev_b32_e32 v13, 1
	s_and_saveexec_b32 s40, s1
	s_cbranch_execz .LBB387_436
; %bb.433:                              ;   in Loop: Header=BB387_11 Depth=1
	v_and_b32_e32 v1, 0x7f, v7
	v_mov_b32_e32 v13, 0x7f800001
	s_mov_b32 s41, exec_lo
	v_cmpx_ne_u32_e32 0x7f, v1
	s_cbranch_execz .LBB387_435
; %bb.434:                              ;   in Loop: Header=BB387_11 Depth=1
	v_and_b32_e32 v11, 7, v7
	v_lshrrev_b32_e32 v12, 3, v1
	v_cmp_gt_u32_e64 s1, 8, v1
	v_ffbh_u32_e32 v1, v11
	v_min_u32_e32 v1, 32, v1
	v_subrev_nc_u32_e32 v11, 28, v1
	v_sub_nc_u32_e32 v1, 29, v1
	v_cndmask_b32_e64 v11, 0, v11, s1
	v_cndmask_b32_e64 v1, v12, v1, s1
	v_lshlrev_b64 v[11:12], v11, v[7:8]
	v_lshlrev_b32_e32 v12, 24, v7
	v_lshl_add_u32 v1, v1, 23, 0x3c000000
	v_lshlrev_b32_e32 v11, 20, v11
	v_and_b32_e32 v12, 0x80000000, v12
	v_and_b32_e32 v11, 0x700000, v11
	v_or3_b32 v13, v11, v12, v1
.LBB387_435:                            ;   in Loop: Header=BB387_11 Depth=1
	s_or_b32 exec_lo, exec_lo, s41
.LBB387_436:                            ;   in Loop: Header=BB387_11 Depth=1
	s_or_b32 exec_lo, exec_lo, s40
.LBB387_437:                            ;   in Loop: Header=BB387_11 Depth=1
	s_or_b32 exec_lo, exec_lo, s2
	v_cmp_ne_u16_sdwa s1, v7, v2 src0_sel:BYTE_1 src1_sel:DWORD
	v_mov_b32_e32 v29, 0
	v_mov_b32_e32 v14, 0
	s_and_saveexec_b32 s2, s1
	s_cbranch_execz .LBB387_445
; %bb.438:                              ;   in Loop: Header=BB387_11 Depth=1
	v_cmp_ne_u16_sdwa s1, v7, v85 src0_sel:BYTE_1 src1_sel:DWORD
	v_bfrev_b32_e32 v14, 1
	s_and_saveexec_b32 s40, s1
	s_cbranch_execz .LBB387_444
; %bb.439:                              ;   in Loop: Header=BB387_11 Depth=1
	v_and_b32_sdwa v1, v86, v7 dst_sel:DWORD dst_unused:UNUSED_PAD src0_sel:DWORD src1_sel:BYTE_1
	v_mov_b32_e32 v14, 0x7f800001
	s_mov_b32 s41, exec_lo
	v_and_b32_e32 v12, 0x7f, v1
	v_cmpx_ne_u32_e32 0x7f, v12
	s_cbranch_execz .LBB387_443
; %bb.440:                              ;   in Loop: Header=BB387_11 Depth=1
	v_and_b32_e32 v1, 7, v1
	v_lshrrev_b32_e32 v11, 3, v12
	s_mov_b32 s42, exec_lo
	v_cmpx_gt_u32_e32 8, v12
; %bb.441:                              ;   in Loop: Header=BB387_11 Depth=1
	v_ffbh_u32_e32 v11, v1
	v_min_u32_e32 v11, 32, v11
	v_subrev_nc_u32_e32 v12, 28, v11
	v_sub_nc_u32_e32 v11, 29, v11
	v_lshlrev_b64 v[36:37], v12, v[1:2]
	v_and_b32_e32 v1, 7, v36
; %bb.442:                              ;   in Loop: Header=BB387_11 Depth=1
	s_or_b32 exec_lo, exec_lo, s42
	v_lshlrev_b32_e32 v12, 16, v7
	v_lshlrev_b32_e32 v1, 20, v1
	v_lshl_add_u32 v11, v11, 23, 0x3c000000
	v_and_b32_e32 v12, 0x80000000, v12
	v_or3_b32 v14, v1, v12, v11
.LBB387_443:                            ;   in Loop: Header=BB387_11 Depth=1
	s_or_b32 exec_lo, exec_lo, s41
.LBB387_444:                            ;   in Loop: Header=BB387_11 Depth=1
	s_or_b32 exec_lo, exec_lo, s40
.LBB387_445:                            ;   in Loop: Header=BB387_11 Depth=1
	s_or_b32 exec_lo, exec_lo, s2
	v_and_b32_sdwa v1, v7, v87 dst_sel:DWORD dst_unused:UNUSED_PAD src0_sel:WORD_1 src1_sel:DWORD
	s_mov_b32 s2, exec_lo
	v_cmpx_ne_u16_e32 0, v1
	s_cbranch_execz .LBB387_453
; %bb.446:                              ;   in Loop: Header=BB387_11 Depth=1
	v_bfrev_b32_e32 v29, 1
	s_mov_b32 s40, exec_lo
	v_cmpx_ne_u16_e32 0x80, v1
	s_cbranch_execz .LBB387_452
; %bb.447:                              ;   in Loop: Header=BB387_11 Depth=1
	v_bfe_u32 v12, v7, 16, 7
	v_mov_b32_e32 v29, 0x7f800001
	s_mov_b32 s41, exec_lo
	v_cmpx_ne_u32_e32 0x7f, v12
	s_cbranch_execz .LBB387_451
; %bb.448:                              ;   in Loop: Header=BB387_11 Depth=1
	v_and_b32_sdwa v1, v7, v88 dst_sel:DWORD dst_unused:UNUSED_PAD src0_sel:WORD_1 src1_sel:DWORD
	v_lshrrev_b32_e32 v11, 3, v12
	s_mov_b32 s42, exec_lo
	v_cmpx_gt_u32_e32 8, v12
; %bb.449:                              ;   in Loop: Header=BB387_11 Depth=1
	v_ffbh_u32_e32 v11, v1
	v_min_u32_e32 v11, 32, v11
	v_subrev_nc_u32_e32 v12, 28, v11
	v_sub_nc_u32_e32 v11, 29, v11
	v_lshlrev_b64 v[36:37], v12, v[1:2]
	v_and_b32_e32 v1, 7, v36
; %bb.450:                              ;   in Loop: Header=BB387_11 Depth=1
	s_or_b32 exec_lo, exec_lo, s42
	v_lshlrev_b32_sdwa v12, v89, v7 dst_sel:DWORD dst_unused:UNUSED_PAD src0_sel:DWORD src1_sel:WORD_1
	v_lshlrev_b32_e32 v1, 20, v1
	v_lshl_add_u32 v11, v11, 23, 0x3c000000
	v_and_b32_e32 v12, 0x80000000, v12
	v_or3_b32 v29, v1, v12, v11
.LBB387_451:                            ;   in Loop: Header=BB387_11 Depth=1
	s_or_b32 exec_lo, exec_lo, s41
.LBB387_452:                            ;   in Loop: Header=BB387_11 Depth=1
	s_or_b32 exec_lo, exec_lo, s40
.LBB387_453:                            ;   in Loop: Header=BB387_11 Depth=1
	s_or_b32 exec_lo, exec_lo, s2
	v_mov_b32_e32 v34, 0
	v_mov_b32_e32 v32, 0
	s_mov_b32 s2, exec_lo
	v_cmpx_lt_u32_e32 0xffffff, v7
	s_cbranch_execz .LBB387_461
; %bb.454:                              ;   in Loop: Header=BB387_11 Depth=1
	v_cmp_ne_u32_sdwa s1, v7, v85 src0_sel:BYTE_3 src1_sel:DWORD
	v_bfrev_b32_e32 v32, 1
	s_and_saveexec_b32 s40, s1
	s_cbranch_execz .LBB387_460
; %bb.455:                              ;   in Loop: Header=BB387_11 Depth=1
	v_bfe_u32 v12, v7, 24, 7
	v_mov_b32_e32 v32, 0x7f800001
	s_mov_b32 s41, exec_lo
	v_cmpx_ne_u32_e32 0x7f, v12
	s_cbranch_execz .LBB387_459
; %bb.456:                              ;   in Loop: Header=BB387_11 Depth=1
	v_and_b32_sdwa v1, v7, v88 dst_sel:DWORD dst_unused:UNUSED_PAD src0_sel:BYTE_3 src1_sel:DWORD
	v_lshrrev_b32_e32 v11, 3, v12
	s_mov_b32 s42, exec_lo
	v_cmpx_gt_u32_e32 8, v12
; %bb.457:                              ;   in Loop: Header=BB387_11 Depth=1
	v_ffbh_u32_e32 v11, v1
	v_min_u32_e32 v11, 32, v11
	v_subrev_nc_u32_e32 v12, 28, v11
	v_sub_nc_u32_e32 v11, 29, v11
	v_lshlrev_b64 v[36:37], v12, v[1:2]
	v_and_b32_e32 v1, 7, v36
; %bb.458:                              ;   in Loop: Header=BB387_11 Depth=1
	s_or_b32 exec_lo, exec_lo, s42
	v_lshlrev_b32_sdwa v12, v89, v7 dst_sel:DWORD dst_unused:UNUSED_PAD src0_sel:DWORD src1_sel:BYTE_3
	v_lshlrev_b32_e32 v1, 20, v1
	v_lshl_add_u32 v11, v11, 23, 0x3c000000
	v_and_b32_e32 v12, 0x80000000, v12
	v_or3_b32 v32, v1, v12, v11
.LBB387_459:                            ;   in Loop: Header=BB387_11 Depth=1
	s_or_b32 exec_lo, exec_lo, s41
.LBB387_460:                            ;   in Loop: Header=BB387_11 Depth=1
	s_or_b32 exec_lo, exec_lo, s40
.LBB387_461:                            ;   in Loop: Header=BB387_11 Depth=1
	s_or_b32 exec_lo, exec_lo, s2
	v_mov_b32_e32 v1, v8
	v_cmp_ne_u16_sdwa s1, v8, v2 src0_sel:BYTE_0 src1_sel:DWORD
	s_and_saveexec_b32 s2, s1
	s_cbranch_execz .LBB387_467
; %bb.462:                              ;   in Loop: Header=BB387_11 Depth=1
	v_cmp_ne_u16_sdwa s1, v8, v85 src0_sel:BYTE_0 src1_sel:DWORD
	v_bfrev_b32_e32 v34, 1
	s_and_saveexec_b32 s40, s1
	s_cbranch_execz .LBB387_466
; %bb.463:                              ;   in Loop: Header=BB387_11 Depth=1
	v_and_b32_e32 v11, 0x7f, v8
	v_mov_b32_e32 v34, 0x7f800001
	s_mov_b32 s41, exec_lo
	v_cmpx_ne_u32_e32 0x7f, v11
	s_cbranch_execz .LBB387_465
; %bb.464:                              ;   in Loop: Header=BB387_11 Depth=1
	v_and_b32_e32 v12, 7, v8
	v_lshrrev_b32_e32 v34, 3, v11
	v_cmp_gt_u32_e64 s1, 8, v11
	v_ffbh_u32_e32 v11, v12
	v_min_u32_e32 v11, 32, v11
	v_subrev_nc_u32_e32 v12, 28, v11
	v_sub_nc_u32_e32 v11, 29, v11
	v_cndmask_b32_e64 v34, v34, v11, s1
	v_cndmask_b32_e64 v11, 0, v12, s1
	v_lshl_add_u32 v34, v34, 23, 0x3c000000
	v_lshlrev_b64 v[11:12], v11, v[1:2]
	v_lshlrev_b32_e32 v12, 24, v1
	v_lshlrev_b32_e32 v11, 20, v11
	v_and_b32_e32 v12, 0x80000000, v12
	v_and_b32_e32 v11, 0x700000, v11
	v_or3_b32 v34, v11, v12, v34
.LBB387_465:                            ;   in Loop: Header=BB387_11 Depth=1
	s_or_b32 exec_lo, exec_lo, s41
.LBB387_466:                            ;   in Loop: Header=BB387_11 Depth=1
	s_or_b32 exec_lo, exec_lo, s40
.LBB387_467:                            ;   in Loop: Header=BB387_11 Depth=1
	s_or_b32 exec_lo, exec_lo, s2
	v_cmp_ne_u16_sdwa s1, v1, v2 src0_sel:BYTE_1 src1_sel:DWORD
	v_mov_b32_e32 v36, 0
	v_mov_b32_e32 v37, 0
	s_and_saveexec_b32 s2, s1
	s_cbranch_execz .LBB387_475
; %bb.468:                              ;   in Loop: Header=BB387_11 Depth=1
	v_cmp_ne_u16_sdwa s1, v1, v85 src0_sel:BYTE_1 src1_sel:DWORD
	v_bfrev_b32_e32 v37, 1
	s_and_saveexec_b32 s40, s1
	s_cbranch_execz .LBB387_474
; %bb.469:                              ;   in Loop: Header=BB387_11 Depth=1
	v_and_b32_sdwa v11, v86, v1 dst_sel:DWORD dst_unused:UNUSED_PAD src0_sel:DWORD src1_sel:BYTE_1
	v_mov_b32_e32 v37, 0x7f800001
	s_mov_b32 s41, exec_lo
	v_and_b32_e32 v38, 0x7f, v11
	v_cmpx_ne_u32_e32 0x7f, v38
	s_cbranch_execz .LBB387_473
; %bb.470:                              ;   in Loop: Header=BB387_11 Depth=1
	v_and_b32_e32 v11, 7, v11
	v_mov_b32_e32 v12, v2
	v_lshrrev_b32_e32 v37, 3, v38
	s_mov_b32 s42, exec_lo
	v_cmpx_gt_u32_e32 8, v38
; %bb.471:                              ;   in Loop: Header=BB387_11 Depth=1
	v_ffbh_u32_e32 v37, v11
	v_min_u32_e32 v37, 32, v37
	v_subrev_nc_u32_e32 v38, 28, v37
	v_sub_nc_u32_e32 v37, 29, v37
	v_lshlrev_b64 v[11:12], v38, v[11:12]
	v_and_b32_e32 v11, 7, v11
; %bb.472:                              ;   in Loop: Header=BB387_11 Depth=1
	s_or_b32 exec_lo, exec_lo, s42
	v_lshlrev_b32_e32 v1, 16, v1
	v_lshlrev_b32_e32 v11, 20, v11
	v_lshl_add_u32 v12, v37, 23, 0x3c000000
	v_and_b32_e32 v1, 0x80000000, v1
	v_or3_b32 v37, v11, v1, v12
.LBB387_473:                            ;   in Loop: Header=BB387_11 Depth=1
	s_or_b32 exec_lo, exec_lo, s41
.LBB387_474:                            ;   in Loop: Header=BB387_11 Depth=1
	s_or_b32 exec_lo, exec_lo, s40
.LBB387_475:                            ;   in Loop: Header=BB387_11 Depth=1
	s_or_b32 exec_lo, exec_lo, s2
	v_and_b32_sdwa v1, v8, v87 dst_sel:DWORD dst_unused:UNUSED_PAD src0_sel:WORD_1 src1_sel:DWORD
	s_mov_b32 s2, exec_lo
	v_cmpx_ne_u16_e32 0, v1
	s_cbranch_execz .LBB387_483
; %bb.476:                              ;   in Loop: Header=BB387_11 Depth=1
	v_bfrev_b32_e32 v36, 1
	s_mov_b32 s40, exec_lo
	v_cmpx_ne_u16_e32 0x80, v1
	s_cbranch_execz .LBB387_482
; %bb.477:                              ;   in Loop: Header=BB387_11 Depth=1
	v_bfe_u32 v12, v8, 16, 7
	v_mov_b32_e32 v36, 0x7f800001
	s_mov_b32 s41, exec_lo
	v_cmpx_ne_u32_e32 0x7f, v12
	s_cbranch_execz .LBB387_481
; %bb.478:                              ;   in Loop: Header=BB387_11 Depth=1
	v_and_b32_sdwa v1, v8, v88 dst_sel:DWORD dst_unused:UNUSED_PAD src0_sel:WORD_1 src1_sel:DWORD
	v_lshrrev_b32_e32 v11, 3, v12
	s_mov_b32 s42, exec_lo
	v_cmpx_gt_u32_e32 8, v12
; %bb.479:                              ;   in Loop: Header=BB387_11 Depth=1
	v_ffbh_u32_e32 v11, v1
	v_min_u32_e32 v11, 32, v11
	v_subrev_nc_u32_e32 v12, 28, v11
	v_sub_nc_u32_e32 v11, 29, v11
	v_lshlrev_b64 v[38:39], v12, v[1:2]
	v_and_b32_e32 v1, 7, v38
; %bb.480:                              ;   in Loop: Header=BB387_11 Depth=1
	s_or_b32 exec_lo, exec_lo, s42
	v_lshlrev_b32_sdwa v12, v89, v8 dst_sel:DWORD dst_unused:UNUSED_PAD src0_sel:DWORD src1_sel:WORD_1
	v_lshlrev_b32_e32 v1, 20, v1
	v_lshl_add_u32 v11, v11, 23, 0x3c000000
	v_and_b32_e32 v12, 0x80000000, v12
	v_or3_b32 v36, v1, v12, v11
.LBB387_481:                            ;   in Loop: Header=BB387_11 Depth=1
	s_or_b32 exec_lo, exec_lo, s41
.LBB387_482:                            ;   in Loop: Header=BB387_11 Depth=1
	s_or_b32 exec_lo, exec_lo, s40
.LBB387_483:                            ;   in Loop: Header=BB387_11 Depth=1
	s_or_b32 exec_lo, exec_lo, s2
	v_mov_b32_e32 v38, 0
	s_mov_b32 s2, exec_lo
	v_cmpx_lt_u64_e64 s[4:5], v[7:8]
	s_cbranch_execz .LBB387_10
; %bb.484:                              ;   in Loop: Header=BB387_11 Depth=1
	v_cmp_ne_u32_sdwa s1, v8, v85 src0_sel:BYTE_3 src1_sel:DWORD
	v_bfrev_b32_e32 v38, 1
	s_and_saveexec_b32 s40, s1
	s_cbranch_execz .LBB387_9
; %bb.485:                              ;   in Loop: Header=BB387_11 Depth=1
	v_bfe_u32 v11, v8, 24, 7
	v_mov_b32_e32 v38, 0x7f800001
	s_mov_b32 s41, exec_lo
	v_cmpx_ne_u32_e32 0x7f, v11
	s_cbranch_execz .LBB387_8
; %bb.486:                              ;   in Loop: Header=BB387_11 Depth=1
	v_and_b32_sdwa v1, v8, v88 dst_sel:DWORD dst_unused:UNUSED_PAD src0_sel:BYTE_3 src1_sel:DWORD
	v_lshrrev_b32_e32 v7, 3, v11
	s_mov_b32 s42, exec_lo
	v_cmpx_gt_u32_e32 8, v11
	s_cbranch_execz .LBB387_7
; %bb.487:                              ;   in Loop: Header=BB387_11 Depth=1
	v_ffbh_u32_e32 v7, v1
	v_min_u32_e32 v7, 32, v7
	v_subrev_nc_u32_e32 v11, 28, v7
	v_sub_nc_u32_e32 v7, 29, v7
	v_lshlrev_b64 v[11:12], v11, v[1:2]
	v_and_b32_e32 v1, 7, v11
	s_branch .LBB387_7
.LBB387_488:
	s_or_b32 exec_lo, exec_lo, s17
	s_clause 0x3
	buffer_load_dword v22, off, s[44:47], 0 offset:88
	buffer_load_dword v35, off, s[44:47], 0 offset:92
	;; [unrolled: 1-line block ×4, first 2 shown]
.LBB387_489:
	s_or_b32 exec_lo, exec_lo, s37
	v_mbcnt_lo_u32_b32 v0, -1, 0
	v_max_f32_e32 v4, v82, v82
	v_xor_b32_e32 v1, 16, v0
	v_xor_b32_e32 v3, 8, v0
	v_cmp_gt_i32_e32 vcc_lo, 32, v1
	v_cndmask_b32_e32 v1, v0, v1, vcc_lo
	v_cmp_gt_i32_e32 vcc_lo, 32, v3
	v_lshlrev_b32_e32 v1, 2, v1
	v_cndmask_b32_e32 v3, v0, v3, vcc_lo
	ds_bpermute_b32 v2, v1, v82
	s_waitcnt lgkmcnt(0)
	v_max_f32_e32 v5, v2, v2
	v_lshlrev_b32_e32 v2, 2, v3
	v_max_f32_e32 v3, v4, v5
	v_xor_b32_e32 v5, 4, v0
	ds_bpermute_b32 v4, v2, v3
	v_cmp_gt_i32_e32 vcc_lo, 32, v5
	v_cndmask_b32_e32 v5, v0, v5, vcc_lo
	s_waitcnt lgkmcnt(0)
	v_max_f32_e32 v6, v4, v4
	v_lshlrev_b32_e32 v4, 2, v5
	v_max_f32_e32 v3, v3, v6
	v_xor_b32_e32 v6, 2, v0
	ds_bpermute_b32 v5, v4, v3
	v_cmp_gt_i32_e32 vcc_lo, 32, v6
	v_cndmask_b32_e32 v6, v0, v6, vcc_lo
	v_lshlrev_b32_e32 v25, 2, v6
	v_xor_b32_e32 v6, 1, v0
	v_cmp_gt_i32_e32 vcc_lo, 32, v6
	s_waitcnt lgkmcnt(0)
	v_max_f32_e32 v5, v5, v5
	v_cndmask_b32_e32 v6, v0, v6, vcc_lo
	s_waitcnt vmcnt(1)
	v_cmp_eq_u32_e32 vcc_lo, 0, v112
	v_max_f32_e32 v3, v3, v5
	v_lshlrev_b32_e32 v24, 2, v6
	ds_bpermute_b32 v5, v25, v3
	s_waitcnt lgkmcnt(0)
	v_max_f32_e32 v5, v5, v5
	v_max_f32_e32 v0, v3, v5
	v_lshlrev_b32_e32 v5, 2, v35
	ds_bpermute_b32 v3, v24, v0
	s_and_saveexec_b32 s1, vcc_lo
	s_cbranch_execz .LBB387_491
; %bb.490:
	s_waitcnt lgkmcnt(0)
	v_max_f32_e32 v3, v3, v3
	v_max_f32_e32 v0, v0, v0
	;; [unrolled: 1-line block ×3, first 2 shown]
	ds_write_b32 v5, v0 offset:128
.LBB387_491:
	s_or_b32 exec_lo, exec_lo, s1
	v_cmp_gt_u32_e64 s1, 4, v112
	v_mov_b32_e32 v0, 0xff7fffff
	s_waitcnt vmcnt(0) lgkmcnt(0)
	s_waitcnt_vscnt null, 0x0
	s_barrier
	buffer_gl0_inv
	s_and_saveexec_b32 s2, s1
; %bb.492:
	ds_read_b32 v0, v27 offset:128
; %bb.493:
	s_or_b32 exec_lo, exec_lo, s2
	s_waitcnt lgkmcnt(0)
	ds_bpermute_b32 v3, v25, v0
	v_max_f32_e32 v0, v0, v0
	v_mov_b32_e32 v6, 0
	s_sub_i32 s2, s11, s15
	s_lshl_b32 s2, s2, 5
	s_add_i32 s2, s2, s33
	s_min_i32 s2, s2, s29
	s_sub_i32 s4, s2, s33
	v_cmp_gt_i32_e64 s2, s4, v22
	s_waitcnt lgkmcnt(0)
	v_max_f32_e32 v3, v3, v3
	v_max_f32_e32 v0, v0, v3
	ds_bpermute_b32 v3, v24, v0
	s_waitcnt lgkmcnt(0)
	v_max_f32_e32 v3, v3, v3
	v_max_f32_e32 v0, v0, v3
	v_lshl_add_u32 v3, v22, 2, 0xa0
	ds_bpermute_b32 v0, v6, v0
	s_and_saveexec_b32 s5, s2
	s_cbranch_execz .LBB387_497
; %bb.494:
	v_lshl_add_u32 v7, v22, 2, 0xa0
	v_mov_b32_e32 v6, 0
	v_mov_b32_e32 v8, v22
	s_mov_b32 s15, 0
	.p2align	6
.LBB387_495:                            ; =>This Inner Loop Header: Depth=1
	ds_read_b32 v11, v7
	v_add_nc_u32_e32 v8, 0x80, v8
	v_cmp_le_i32_e64 s3, s4, v8
	s_or_b32 s15, s3, s15
	s_waitcnt lgkmcnt(0)
	v_sub_f32_e32 v11, v11, v0
	v_mul_f32_e32 v11, 0x3fb8aa3b, v11
	v_exp_f32_e32 v11, v11
	ds_write_b32 v7, v11
	v_add_f32_e32 v6, v6, v11
	v_add_nc_u32_e32 v7, 0x200, v7
	s_andn2_b32 exec_lo, exec_lo, s15
	s_cbranch_execnz .LBB387_495
; %bb.496:
	s_or_b32 exec_lo, exec_lo, s15
.LBB387_497:
	s_or_b32 exec_lo, exec_lo, s5
	ds_bpermute_b32 v1, v1, v6
	s_waitcnt lgkmcnt(0)
	v_add_f32_e32 v1, v6, v1
	ds_bpermute_b32 v2, v2, v1
	s_waitcnt lgkmcnt(0)
	v_add_f32_e32 v1, v1, v2
	;; [unrolled: 3-line block ×5, first 2 shown]
	s_and_saveexec_b32 s3, vcc_lo
; %bb.498:
	ds_write_b32 v5, v1 offset:144
; %bb.499:
	s_or_b32 exec_lo, exec_lo, s3
	s_waitcnt lgkmcnt(0)
	s_barrier
	buffer_gl0_inv
	s_and_saveexec_b32 s3, s1
; %bb.500:
	ds_read_b32 v1, v27 offset:144
; %bb.501:
	s_or_b32 exec_lo, exec_lo, s3
	s_waitcnt lgkmcnt(0)
	ds_bpermute_b32 v2, v25, v1
	s_waitcnt lgkmcnt(0)
	v_add_f32_e32 v1, v1, v2
	ds_bpermute_b32 v2, v24, v1
	s_waitcnt lgkmcnt(0)
	v_add_f32_e32 v1, v1, v2
	v_mov_b32_e32 v2, 0
	ds_bpermute_b32 v1, v2, v1
	s_and_saveexec_b32 s1, s2
	s_cbranch_execz .LBB387_504
; %bb.502:
	s_waitcnt lgkmcnt(0)
	v_add_f32_e32 v2, 0x358637bd, v1
	s_mov_b32 s2, 0
	v_div_scale_f32 v4, null, v2, v2, 1.0
	v_div_scale_f32 v7, vcc_lo, 1.0, v2, 1.0
	v_rcp_f32_e32 v5, v4
	v_fma_f32 v6, -v4, v5, 1.0
	v_fmac_f32_e32 v5, v6, v5
	v_mul_f32_e32 v6, v7, v5
	v_fma_f32 v8, -v4, v6, v7
	v_fmac_f32_e32 v6, v8, v5
	v_fma_f32 v4, -v4, v6, v7
	v_div_fmas_f32 v4, v4, v5, v6
	v_div_fixup_f32 v2, v4, v2, 1.0
	v_mov_b32_e32 v4, v22
.LBB387_503:                            ; =>This Inner Loop Header: Depth=1
	ds_read_b32 v5, v3
	v_add_nc_u32_e32 v4, 0x80, v4
	v_cmp_le_i32_e32 vcc_lo, s4, v4
	s_or_b32 s2, vcc_lo, s2
	s_waitcnt lgkmcnt(0)
	v_mul_f32_e32 v5, v2, v5
	ds_write_b32 v3, v5
	v_add_nc_u32_e32 v3, 0x200, v3
	s_andn2_b32 exec_lo, exec_lo, s2
	s_cbranch_execnz .LBB387_503
.LBB387_504:
	s_or_b32 exec_lo, exec_lo, s1
	s_mul_i32 s1, s7, s28
	s_waitcnt lgkmcnt(0)
	s_mul_i32 s2, s1, s9
	s_mov_b32 s1, exec_lo
	s_barrier
	buffer_gl0_inv
	v_cmpx_eq_u32_e32 0, v22
	s_cbranch_execz .LBB387_506
; %bb.505:
	s_ashr_i32 s3, s2, 31
	s_mul_i32 s16, s7, s6
	s_lshl_b64 s[4:5], s[2:3], 2
	v_mov_b32_e32 v2, 0
	s_add_u32 s3, s22, s4
	s_addc_u32 s6, s23, s5
	s_ashr_i32 s17, s16, 31
	s_lshl_b64 s[16:17], s[16:17], 2
	s_add_u32 s3, s3, s16
	s_addc_u32 s6, s6, s17
	s_ashr_i32 s9, s8, 31
	s_lshl_b64 s[22:23], s[8:9], 2
	s_add_u32 s36, s3, s22
	s_addc_u32 s37, s6, s23
	s_add_u32 s3, s20, s4
	s_addc_u32 s4, s21, s5
	;; [unrolled: 2-line block ×4, first 2 shown]
	global_store_dword v2, v0, s[36:37]
	global_store_dword v2, v1, s[4:5]
.LBB387_506:
	s_or_b32 exec_lo, exec_lo, s1
	v_mov_b32_e32 v32, 0
	v_and_b32_e32 v26, 3, v22
	v_mov_b32_e32 v34, 0
	v_mov_b32_e32 v33, 0
	;; [unrolled: 1-line block ×7, first 2 shown]
	s_and_saveexec_b32 s1, s0
	s_cbranch_execz .LBB387_1006
; %bb.507:
	v_lshlrev_b32_e32 v0, 3, v22
	s_load_dword s6, s[18:19], 0x0
	v_lshlrev_b32_e32 v2, 5, v26
	v_lshl_add_u32 v3, v35, 5, s33
	s_ashr_i32 s0, s14, 31
	v_and_b32_e32 v1, 24, v0
	v_and_b32_e32 v0, 0xf8, v0
	s_add_u32 s4, s30, s14
	s_addc_u32 s0, s31, s0
	v_mov_b32_e32 v111, v35
	v_lshl_or_b32 v2, v35, 7, v2
	v_add_co_u32 v12, s4, s4, v0
	v_add3_u32 v35, v3, v1, 7
	v_lshlrev_b64 v[0:1], 2, v[9:10]
	v_add_co_ci_u32_e64 v13, null, s0, 0, s4
	s_lshl_b64 s[4:5], s[34:35], 2
	s_add_i32 s9, s12, -1
	s_add_u32 s0, s26, s4
	s_addc_u32 s4, s27, s5
	v_add_co_u32 v14, vcc_lo, s0, v0
	v_mov_b32_e32 v110, v22
	v_mov_b32_e32 v11, 0
	v_add_nc_u32_e32 v36, 0xa0, v2
	v_add_co_ci_u32_e64 v15, null, s4, v1, vcc_lo
	v_mov_b32_e32 v37, 0x80
	v_mov_b32_e32 v38, 0xffff
	;; [unrolled: 1-line block ×13, first 2 shown]
	s_mov_b32 s4, -1
	s_mov_b32 s3, s13
	s_mov_b32 s5, 0xffffff
	;; [unrolled: 1-line block ×3, first 2 shown]
	s_branch .LBB387_509
.LBB387_508:                            ;   in Loop: Header=BB387_509 Depth=1
	s_or_b32 exec_lo, exec_lo, s0
	v_bfe_u32 v50, v5, 16, 1
	v_bfe_u32 v56, v6, 16, 1
	v_or_b32_e32 v57, 0x400000, v5
	v_cmp_u_f32_e32 vcc_lo, v5, v5
	v_or_b32_e32 v58, 0x400000, v6
	v_add3_u32 v50, v50, v5, 0x7fff
	v_bfe_u32 v59, v7, 16, 1
	v_add3_u32 v56, v56, v6, 0x7fff
	v_bfe_u32 v60, v8, 16, 1
	v_lshlrev_b32_e32 v21, 16, v21
	v_cndmask_b32_e32 v5, v50, v57, vcc_lo
	v_cmp_u_f32_e32 vcc_lo, v6, v6
	v_add3_u32 v50, v59, v7, 0x7fff
	v_bfe_u32 v57, v1, 16, 1
	v_or_b32_e32 v59, 0x400000, v8
	v_and_b32_e32 v5, 0xffff0000, v5
	v_cndmask_b32_e32 v6, v56, v58, vcc_lo
	v_or_b32_e32 v56, 0x400000, v7
	v_cmp_u_f32_e32 vcc_lo, v7, v7
	v_add3_u32 v58, v60, v8, 0x7fff
	v_lshlrev_b32_e32 v91, 16, v91
	v_lshlrev_b32_e32 v22, 16, v22
	;; [unrolled: 1-line block ×3, first 2 shown]
	v_cndmask_b32_e32 v7, v50, v56, vcc_lo
	v_cmp_u_f32_e32 vcc_lo, v8, v8
	v_add3_u32 v50, v57, v1, 0x7fff
	v_or_b32_e32 v56, 0x400000, v1
	v_bfe_u32 v57, v2, 16, 1
	v_lshlrev_b32_e32 v23, 16, v23
	v_cndmask_b32_e32 v8, v58, v59, vcc_lo
	v_cmp_u_f32_e32 vcc_lo, v1, v1
	v_and_b32_e32 v1, 0xffff0000, v6
	v_lshlrev_b32_e32 v6, 16, v102
	v_add3_u32 v57, v57, v2, 0x7fff
	v_or_b32_e32 v58, 0x400000, v2
	v_cndmask_b32_e32 v50, v50, v56, vcc_lo
	v_bfe_u32 v56, v3, 16, 1
	v_cmp_u_f32_e32 vcc_lo, v2, v2
	v_or_b32_e32 v59, 0x400000, v3
	v_mul_f32_e32 v6, v1, v6
	v_lshlrev_b32_e32 v90, 16, v90
	v_add3_u32 v56, v56, v3, 0x7fff
	v_cndmask_b32_e32 v2, v57, v58, vcc_lo
	v_bfe_u32 v57, v4, 16, 1
	v_cmp_u_f32_e32 vcc_lo, v3, v3
	v_bfe_u32 v3, v6, 16, 1
	v_lshlrev_b32_e32 v58, 16, v101
	v_or_b32_e32 v61, 0x400000, v6
	v_add3_u32 v57, v57, v4, 0x7fff
	v_cndmask_b32_e32 v56, v56, v59, vcc_lo
	v_or_b32_e32 v59, 0x400000, v4
	v_cmp_u_f32_e32 vcc_lo, v4, v4
	v_add3_u32 v60, v3, v6, 0x7fff
	v_mul_f32_e32 v58, v5, v58
	v_and_b32_e32 v3, 0xffff0000, v8
	v_lshlrev_b32_e32 v8, 16, v99
	v_cndmask_b32_e32 v4, v57, v59, vcc_lo
	v_cmp_u_f32_e32 vcc_lo, v6, v6
	v_bfe_u32 v59, v58, 16, 1
	v_and_b32_e32 v6, 0xffff0000, v7
	v_lshlrev_b32_e32 v7, 16, v100
	v_and_b32_e32 v2, 0xffff0000, v2
	v_cndmask_b32_e32 v57, v60, v61, vcc_lo
	v_mul_f32_e32 v60, v3, v8
	v_lshlrev_b32_e32 v8, 16, v95
	v_add3_u32 v59, v59, v58, 0x7fff
	v_or_b32_e32 v61, 0x400000, v58
	v_mul_f32_e32 v7, v6, v7
	v_bfe_u32 v95, v60, 16, 1
	v_cmp_u_f32_e32 vcc_lo, v58, v58
	v_mul_f32_e32 v99, v2, v8
	v_and_b32_e32 v8, 0xffff0000, v50
	v_and_b32_e32 v4, 0xffff0000, v4
	v_and_b32_e32 v57, 0xffff0000, v57
	v_cndmask_b32_e32 v58, v59, v61, vcc_lo
	v_add3_u32 v59, v95, v60, 0x7fff
	v_or_b32_e32 v61, 0x400000, v60
	v_bfe_u32 v95, v7, 16, 1
	v_cmp_u_f32_e32 vcc_lo, v60, v60
	v_bfe_u32 v100, v99, 16, 1
	v_or_b32_e32 v60, 0x400000, v7
	v_mul_f32_e32 v21, v8, v21
	v_and_b32_e32 v58, 0xffff0000, v58
	v_cndmask_b32_e32 v50, v59, v61, vcc_lo
	v_add3_u32 v59, v95, v7, 0x7fff
	v_cmp_u_f32_e32 vcc_lo, v7, v7
	v_add3_u32 v61, v100, v99, 0x7fff
	v_lshlrev_b32_e32 v95, 16, v98
	v_or_b32_e32 v98, 0x400000, v99
	v_bfe_u32 v100, v21, 16, 1
	v_cndmask_b32_e32 v59, v59, v60, vcc_lo
	v_cmp_u_f32_e32 vcc_lo, v99, v99
	v_mul_f32_e32 v60, v4, v95
	v_and_b32_e32 v7, 0xffff0000, v56
	v_add3_u32 v95, v100, v21, 0x7fff
	v_lshlrev_b32_e32 v56, 16, v97
	v_cndmask_b32_e32 v61, v61, v98, vcc_lo
	v_or_b32_e32 v98, 0x400000, v21
	v_cmp_u_f32_e32 vcc_lo, v21, v21
	v_bfe_u32 v99, v60, 16, 1
	v_and_b32_e32 v59, 0xffff0000, v59
	v_and_b32_e32 v50, 0xffff0000, v50
	v_or_b32_e32 v97, 0x400000, v60
	v_cndmask_b32_e32 v21, v95, v98, vcc_lo
	v_add3_u32 v95, v99, v60, 0x7fff
	v_mul_f32_e32 v56, v7, v56
	v_cmp_u_f32_e32 vcc_lo, v60, v60
	v_add_f32_e32 v57, v58, v57
	v_add_f32_e32 v50, v59, v50
	v_and_b32_e32 v21, 0xffff0000, v21
	v_lshlrev_b32_e32 v58, 16, v93
	v_and_b32_e32 v59, 0xffff0000, v61
	v_cndmask_b32_e32 v60, v95, v97, vcc_lo
	v_bfe_u32 v95, v56, 16, 1
	v_add_f32_e32 v50, v50, v57
	v_mul_f32_e32 v57, v1, v58
	v_add_f32_e32 v21, v21, v59
	v_lshlrev_b32_e32 v58, 16, v92
	v_add3_u32 v61, v95, v56, 0x7fff
	v_or_b32_e32 v93, 0x400000, v56
	v_cmp_u_f32_e32 vcc_lo, v56, v56
	v_bfe_u32 v59, v57, 16, 1
	v_add_f32_e32 v21, v21, v50
	v_mul_f32_e32 v50, v5, v58
	v_lshlrev_b32_e32 v58, 16, v89
	v_cndmask_b32_e32 v56, v61, v93, vcc_lo
	v_add3_u32 v59, v59, v57, 0x7fff
	v_or_b32_e32 v61, 0x400000, v57
	v_bfe_u32 v89, v50, 16, 1
	v_mul_f32_e32 v58, v3, v58
	v_cmp_u_f32_e32 vcc_lo, v57, v57
	v_mul_f32_e32 v91, v6, v91
	v_mul_f32_e32 v22, v2, v22
	v_mul_f32_e32 v0, v8, v0
	v_mul_f32_e32 v23, v7, v23
	v_cndmask_b32_e32 v57, v59, v61, vcc_lo
	v_add3_u32 v59, v89, v50, 0x7fff
	v_or_b32_e32 v61, 0x400000, v50
	v_bfe_u32 v89, v58, 16, 1
	v_cmp_u_f32_e32 vcc_lo, v50, v50
	v_mul_f32_e32 v90, v4, v90
	v_or_b32_e32 v92, 0x400000, v0
	v_bfe_u32 v95, v23, 16, 1
	v_and_b32_e32 v57, 0xffff0000, v57
	v_cndmask_b32_e32 v50, v59, v61, vcc_lo
	v_add3_u32 v59, v89, v58, 0x7fff
	v_or_b32_e32 v61, 0x400000, v58
	v_bfe_u32 v89, v91, 16, 1
	v_cmp_u_f32_e32 vcc_lo, v58, v58
	v_bfe_u32 v93, v90, 16, 1
	v_and_b32_e32 v50, 0xffff0000, v50
	v_and_b32_e32 v56, 0xffff0000, v56
	v_lshlrev_b32_e32 v54, 16, v54
	v_cndmask_b32_e32 v58, v59, v61, vcc_lo
	v_add3_u32 v59, v89, v91, 0x7fff
	v_or_b32_e32 v61, 0x400000, v91
	v_bfe_u32 v89, v22, 16, 1
	v_cmp_u_f32_e32 vcc_lo, v91, v91
	v_or_b32_e32 v91, 0x400000, v22
	v_and_b32_e32 v58, 0xffff0000, v58
	v_add_f32_e32 v50, v50, v57
	v_add3_u32 v89, v89, v22, 0x7fff
	v_cndmask_b32_e32 v59, v59, v61, vcc_lo
	v_bfe_u32 v61, v0, 16, 1
	v_cmp_u_f32_e32 vcc_lo, v22, v22
	v_lshlrev_b32_e32 v51, 16, v51
	v_lshlrev_b32_e32 v52, 16, v52
	v_and_b32_e32 v59, 0xffff0000, v59
	v_add3_u32 v61, v61, v0, 0x7fff
	v_cndmask_b32_e32 v22, v89, v91, vcc_lo
	v_cmp_u_f32_e32 vcc_lo, v0, v0
	v_add3_u32 v89, v95, v23, 0x7fff
	v_or_b32_e32 v91, 0x400000, v23
	v_add_f32_e32 v57, v59, v58
	v_and_b32_e32 v22, 0xffff0000, v22
	v_cndmask_b32_e32 v0, v61, v92, vcc_lo
	v_cmp_u_f32_e32 vcc_lo, v23, v23
	v_add3_u32 v61, v93, v90, 0x7fff
	v_or_b32_e32 v92, 0x400000, v90
	v_and_b32_e32 v59, 0xffff0000, v60
	v_and_b32_e32 v0, 0xffff0000, v0
	v_cndmask_b32_e32 v23, v89, v91, vcc_lo
	v_cmp_u_f32_e32 vcc_lo, v90, v90
	v_add_f32_e32 v50, v57, v50
	v_lshlrev_b32_e32 v57, 16, v88
	v_add_f32_e32 v0, v0, v22
	v_and_b32_e32 v22, 0xffff0000, v23
	v_cndmask_b32_e32 v58, v61, v92, vcc_lo
	v_add_f32_e32 v56, v56, v59
	v_lshlrev_b32_e32 v60, 16, v85
	v_add_f32_e32 v0, v0, v50
	v_mul_f32_e32 v51, v2, v51
	v_and_b32_e32 v23, 0xffff0000, v58
	v_lshlrev_b32_e32 v58, 16, v87
	v_add_f32_e32 v21, v56, v21
	v_lshlrev_b32_e32 v56, 16, v84
	v_mul_f32_e32 v52, v8, v52
	v_add_f32_e32 v22, v22, v23
	v_mul_f32_e32 v23, v1, v57
	v_mul_f32_e32 v50, v5, v58
	v_add_f32_e32 v28, v28, v21
	v_mul_f32_e32 v56, v3, v56
	v_add_f32_e32 v0, v22, v0
	v_bfe_u32 v22, v23, 16, 1
	v_bfe_u32 v21, v50, 16, 1
	v_lshlrev_b32_e32 v58, 16, v86
	v_cmp_u_f32_e32 vcc_lo, v23, v23
	v_add_f32_e32 v29, v29, v0
	v_add3_u32 v0, v22, v23, 0x7fff
	v_or_b32_e32 v22, 0x400000, v23
	v_add3_u32 v21, v21, v50, 0x7fff
	v_or_b32_e32 v57, 0x400000, v50
	v_mul_f32_e32 v23, v6, v58
	v_lshlrev_b32_e32 v58, 16, v82
	v_cndmask_b32_e32 v0, v0, v22, vcc_lo
	v_bfe_u32 v22, v56, 16, 1
	v_cmp_u_f32_e32 vcc_lo, v50, v50
	v_lshlrev_b32_e32 v50, 16, v81
	v_bfe_u32 v59, v23, 16, 1
	v_and_b32_e32 v0, 0xffff0000, v0
	v_add3_u32 v22, v22, v56, 0x7fff
	v_cndmask_b32_e32 v21, v21, v57, vcc_lo
	v_or_b32_e32 v57, 0x400000, v56
	v_mul_f32_e32 v50, v2, v50
	v_cmp_u_f32_e32 vcc_lo, v56, v56
	v_mul_f32_e32 v56, v8, v58
	v_or_b32_e32 v58, 0x400000, v23
	v_and_b32_e32 v21, 0xffff0000, v21
	v_lshlrev_b32_e32 v55, 16, v55
	v_cndmask_b32_e32 v22, v22, v57, vcc_lo
	v_add3_u32 v57, v59, v23, 0x7fff
	v_bfe_u32 v59, v50, 16, 1
	v_bfe_u32 v61, v56, 16, 1
	v_cmp_u_f32_e32 vcc_lo, v23, v23
	v_or_b32_e32 v81, 0x400000, v56
	v_and_b32_e32 v22, 0xffff0000, v22
	v_add_f32_e32 v0, v21, v0
	v_mul_f32_e32 v55, v4, v55
	v_cndmask_b32_e32 v23, v57, v58, vcc_lo
	v_add3_u32 v57, v59, v50, 0x7fff
	v_mul_f32_e32 v58, v4, v60
	v_or_b32_e32 v59, 0x400000, v50
	v_add3_u32 v60, v61, v56, 0x7fff
	v_lshlrev_b32_e32 v61, 16, v83
	v_cmp_u_f32_e32 vcc_lo, v50, v50
	v_bfe_u32 v82, v58, 16, 1
	v_and_b32_e32 v23, 0xffff0000, v23
	v_lshlrev_b32_e32 v53, 16, v53
	v_lshlrev_b32_e32 v49, 16, v49
	v_cndmask_b32_e32 v50, v57, v59, vcc_lo
	v_mul_f32_e32 v57, v7, v61
	v_cmp_u_f32_e32 vcc_lo, v56, v56
	v_add3_u32 v59, v82, v58, 0x7fff
	v_add_f32_e32 v21, v23, v22
	v_and_b32_e32 v23, 0xffff0000, v50
	v_bfe_u32 v61, v57, 16, 1
	v_cndmask_b32_e32 v56, v60, v81, vcc_lo
	v_or_b32_e32 v60, 0x400000, v58
	v_cmp_u_f32_e32 vcc_lo, v58, v58
	v_lshlrev_b32_e32 v50, 16, v80
	v_add_f32_e32 v0, v21, v0
	v_and_b32_e32 v22, 0xffff0000, v56
	v_lshlrev_b32_e32 v56, 16, v79
	v_cndmask_b32_e32 v58, v59, v60, vcc_lo
	v_add3_u32 v59, v61, v57, 0x7fff
	v_or_b32_e32 v60, 0x400000, v57
	v_cmp_u_f32_e32 vcc_lo, v57, v57
	v_mul_f32_e32 v21, v1, v50
	v_add_f32_e32 v22, v22, v23
	v_mul_f32_e32 v23, v5, v56
	v_and_b32_e32 v56, 0xffff0000, v58
	v_cndmask_b32_e32 v57, v59, v60, vcc_lo
	v_lshlrev_b32_e32 v58, 16, v76
	v_add_f32_e32 v0, v22, v0
	v_bfe_u32 v22, v23, 16, 1
	v_lshlrev_b32_e32 v60, 16, v78
	v_and_b32_e32 v50, 0xffff0000, v57
	v_bfe_u32 v57, v21, 16, 1
	v_mul_f32_e32 v58, v3, v58
	v_cmp_u_f32_e32 vcc_lo, v21, v21
	v_add3_u32 v22, v22, v23, 0x7fff
	v_add_f32_e32 v50, v50, v56
	v_add3_u32 v56, v57, v21, 0x7fff
	v_or_b32_e32 v57, 0x400000, v21
	v_or_b32_e32 v59, 0x400000, v23
	v_mul_f32_e32 v53, v7, v53
	v_add_f32_e32 v0, v50, v0
	v_mul_f32_e32 v49, v1, v49
	v_cndmask_b32_e32 v21, v56, v57, vcc_lo
	v_bfe_u32 v56, v58, 16, 1
	v_cmp_u_f32_e32 vcc_lo, v23, v23
	v_mul_f32_e32 v23, v6, v60
	v_lshlrev_b32_e32 v57, 16, v73
	v_lshlrev_b32_e32 v60, 16, v74
	v_add3_u32 v56, v56, v58, 0x7fff
	v_cndmask_b32_e32 v22, v22, v59, vcc_lo
	v_or_b32_e32 v59, 0x400000, v58
	v_bfe_u32 v61, v23, 16, 1
	v_mul_f32_e32 v57, v2, v57
	v_cmp_u_f32_e32 vcc_lo, v58, v58
	v_mul_f32_e32 v58, v8, v60
	v_or_b32_e32 v60, 0x400000, v23
	v_lshlrev_b32_e32 v73, 16, v77
	v_and_b32_e32 v22, 0xffff0000, v22
	v_cndmask_b32_e32 v56, v56, v59, vcc_lo
	v_add3_u32 v59, v61, v23, 0x7fff
	v_bfe_u32 v61, v57, 16, 1
	v_bfe_u32 v74, v58, 16, 1
	v_cmp_u_f32_e32 vcc_lo, v23, v23
	v_and_b32_e32 v21, 0xffff0000, v21
	v_and_b32_e32 v56, 0xffff0000, v56
	v_add_f32_e32 v30, v30, v0
	v_lshlrev_b32_e32 v48, 16, v48
	v_cndmask_b32_e32 v23, v59, v60, vcc_lo
	v_add3_u32 v59, v61, v57, 0x7fff
	v_mul_f32_e32 v60, v4, v73
	v_or_b32_e32 v61, 0x400000, v57
	v_add3_u32 v73, v74, v58, 0x7fff
	v_lshlrev_b32_e32 v74, 16, v75
	v_cmp_u_f32_e32 vcc_lo, v57, v57
	v_or_b32_e32 v75, 0x400000, v58
	v_bfe_u32 v76, v60, 16, 1
	v_and_b32_e32 v23, 0xffff0000, v23
	v_add_f32_e32 v21, v22, v21
	v_cndmask_b32_e32 v57, v59, v61, vcc_lo
	v_mul_f32_e32 v59, v7, v74
	v_cmp_u_f32_e32 vcc_lo, v58, v58
	v_add3_u32 v61, v76, v60, 0x7fff
	v_add_f32_e32 v22, v23, v56
	v_and_b32_e32 v56, 0xffff0000, v57
	v_bfe_u32 v74, v59, 16, 1
	v_cndmask_b32_e32 v58, v73, v75, vcc_lo
	v_or_b32_e32 v73, 0x400000, v60
	v_cmp_u_f32_e32 vcc_lo, v60, v60
	v_add_f32_e32 v21, v22, v21
	v_lshlrev_b32_e32 v22, 16, v72
	v_and_b32_e32 v23, 0xffff0000, v58
	v_lshlrev_b32_e32 v45, 16, v45
	v_cndmask_b32_e32 v60, v61, v73, vcc_lo
	v_add3_u32 v61, v74, v59, 0x7fff
	v_or_b32_e32 v73, 0x400000, v59
	v_cmp_u_f32_e32 vcc_lo, v59, v59
	v_add_f32_e32 v23, v23, v56
	v_lshlrev_b32_e32 v56, 16, v71
	v_and_b32_e32 v58, 0xffff0000, v60
	v_mul_f32_e32 v22, v1, v22
	v_cndmask_b32_e32 v57, v61, v73, vcc_lo
	v_add_f32_e32 v21, v23, v21
	v_mul_f32_e32 v50, v5, v56
	v_lshlrev_b32_e32 v59, 16, v70
	v_bfe_u32 v56, v22, 16, 1
	v_and_b32_e32 v57, 0xffff0000, v57
	v_cmp_u_f32_e32 vcc_lo, v22, v22
	v_lshlrev_b32_e32 v61, 16, v69
	v_mul_f32_e32 v48, v5, v48
	v_mul_f32_e32 v45, v3, v45
	v_add_f32_e32 v23, v57, v58
	v_bfe_u32 v57, v50, 16, 1
	v_lshlrev_b32_e32 v58, 16, v68
	v_lshlrev_b32_e32 v47, 16, v47
	;; [unrolled: 1-line block ×3, first 2 shown]
	v_add_f32_e32 v0, v23, v21
	v_add3_u32 v21, v56, v22, 0x7fff
	v_or_b32_e32 v23, 0x400000, v22
	v_add3_u32 v56, v57, v50, 0x7fff
	v_mul_f32_e32 v57, v3, v58
	v_or_b32_e32 v58, 0x400000, v50
	v_mul_f32_e32 v47, v6, v47
	v_cndmask_b32_e32 v21, v21, v23, vcc_lo
	v_cmp_u_f32_e32 vcc_lo, v50, v50
	v_bfe_u32 v22, v57, 16, 1
	v_mul_f32_e32 v50, v6, v59
	v_lshlrev_b32_e32 v59, 16, v66
	v_and_b32_e32 v21, 0xffff0000, v21
	v_cndmask_b32_e32 v23, v56, v58, vcc_lo
	v_lshlrev_b32_e32 v56, 16, v65
	v_add3_u32 v22, v22, v57, 0x7fff
	v_or_b32_e32 v58, 0x400000, v57
	v_bfe_u32 v60, v50, 16, 1
	v_cmp_u_f32_e32 vcc_lo, v57, v57
	v_mul_f32_e32 v56, v2, v56
	v_mul_f32_e32 v57, v8, v59
	v_or_b32_e32 v59, 0x400000, v50
	v_and_b32_e32 v23, 0xffff0000, v23
	v_cndmask_b32_e32 v22, v22, v58, vcc_lo
	v_add3_u32 v58, v60, v50, 0x7fff
	v_bfe_u32 v60, v56, 16, 1
	v_bfe_u32 v65, v57, 16, 1
	v_cmp_u_f32_e32 vcc_lo, v50, v50
	v_or_b32_e32 v66, 0x400000, v57
	v_and_b32_e32 v22, 0xffff0000, v22
	v_add_f32_e32 v21, v23, v21
	v_mul_f32_e32 v43, v2, v43
	v_cndmask_b32_e32 v50, v58, v59, vcc_lo
	v_add3_u32 v58, v60, v56, 0x7fff
	v_mul_f32_e32 v59, v4, v61
	v_or_b32_e32 v60, 0x400000, v56
	v_add3_u32 v61, v65, v57, 0x7fff
	v_lshlrev_b32_e32 v65, 16, v67
	v_cmp_u_f32_e32 vcc_lo, v56, v56
	v_bfe_u32 v67, v59, 16, 1
	v_and_b32_e32 v50, 0xffff0000, v50
	v_lshlrev_b32_e32 v42, 16, v42
	v_lshlrev_b32_e32 v46, 16, v46
	v_cndmask_b32_e32 v56, v58, v60, vcc_lo
	v_mul_f32_e32 v58, v7, v65
	v_cmp_u_f32_e32 vcc_lo, v57, v57
	v_add3_u32 v60, v67, v59, 0x7fff
	v_add_f32_e32 v22, v50, v22
	v_and_b32_e32 v50, 0xffff0000, v56
	v_bfe_u32 v65, v58, 16, 1
	v_cndmask_b32_e32 v57, v61, v66, vcc_lo
	v_or_b32_e32 v61, 0x400000, v59
	v_cmp_u_f32_e32 vcc_lo, v59, v59
	v_lshlrev_b32_e32 v56, 16, v64
	v_add_f32_e32 v21, v22, v21
	v_and_b32_e32 v23, 0xffff0000, v57
	v_mul_f32_e32 v42, v8, v42
	v_cndmask_b32_e32 v59, v60, v61, vcc_lo
	v_add3_u32 v60, v65, v58, 0x7fff
	v_or_b32_e32 v61, 0x400000, v58
	v_cmp_u_f32_e32 vcc_lo, v58, v58
	v_lshlrev_b32_e32 v58, 16, v63
	v_add_f32_e32 v22, v23, v50
	v_mul_f32_e32 v23, v1, v56
	v_mul_f32_e32 v46, v4, v46
	v_cndmask_b32_e32 v57, v60, v61, vcc_lo
	v_mul_f32_e32 v56, v5, v58
	v_add_f32_e32 v21, v22, v21
	v_bfe_u32 v58, v23, 16, 1
	v_lshlrev_b32_e32 v61, 16, v62
	v_and_b32_e32 v50, 0xffff0000, v57
	v_and_b32_e32 v57, 0xffff0000, v59
	v_bfe_u32 v59, v56, 16, 1
	v_cmp_u_f32_e32 vcc_lo, v23, v23
	v_lshlrev_b32_e32 v44, 16, v44
	v_lshlrev_b32_e32 v20, 16, v20
	v_add_f32_e32 v22, v50, v57
	v_mul_f32_e32 v50, v3, v54
	v_add3_u32 v54, v58, v23, 0x7fff
	v_or_b32_e32 v57, 0x400000, v23
	v_add3_u32 v58, v59, v56, 0x7fff
	v_or_b32_e32 v59, 0x400000, v56
	v_bfe_u32 v60, v50, 16, 1
	v_mul_f32_e32 v44, v7, v44
	v_cndmask_b32_e32 v23, v54, v57, vcc_lo
	v_cmp_u_f32_e32 vcc_lo, v56, v56
	v_mul_f32_e32 v56, v6, v61
	v_add3_u32 v57, v60, v50, 0x7fff
	v_bfe_u32 v60, v52, 16, 1
	v_bfe_u32 v61, v55, 16, 1
	v_cndmask_b32_e32 v54, v58, v59, vcc_lo
	v_or_b32_e32 v58, 0x400000, v50
	v_bfe_u32 v59, v56, 16, 1
	v_cmp_u_f32_e32 vcc_lo, v50, v50
	v_and_b32_e32 v23, 0xffff0000, v23
	v_and_b32_e32 v54, 0xffff0000, v54
	v_mul_f32_e32 v6, v6, v20
	v_lshlrev_b32_e32 v17, 16, v17
	v_cndmask_b32_e32 v50, v57, v58, vcc_lo
	v_add3_u32 v57, v59, v56, 0x7fff
	v_or_b32_e32 v58, 0x400000, v56
	v_bfe_u32 v59, v51, 16, 1
	v_cmp_u_f32_e32 vcc_lo, v56, v56
	v_and_b32_e32 v50, 0xffff0000, v50
	v_add_f32_e32 v23, v54, v23
	v_mul_f32_e32 v3, v3, v17
	v_lshlrev_b32_e32 v16, 16, v16
	v_cndmask_b32_e32 v56, v57, v58, vcc_lo
	v_add3_u32 v57, v59, v51, 0x7fff
	v_or_b32_e32 v58, 0x400000, v51
	v_cmp_u_f32_e32 vcc_lo, v51, v51
	v_add3_u32 v59, v60, v52, 0x7fff
	v_or_b32_e32 v60, 0x400000, v52
	v_and_b32_e32 v56, 0xffff0000, v56
	v_mul_f32_e32 v8, v8, v16
	v_cndmask_b32_e32 v51, v57, v58, vcc_lo
	v_cmp_u_f32_e32 vcc_lo, v52, v52
	v_add3_u32 v57, v61, v55, 0x7fff
	v_or_b32_e32 v58, 0x400000, v55
	v_add_f32_e32 v50, v56, v50
	v_and_b32_e32 v51, 0xffff0000, v51
	v_cndmask_b32_e32 v52, v59, v60, vcc_lo
	v_cmp_u_f32_e32 vcc_lo, v55, v55
	v_or_b32_e32 v56, 0x400000, v53
	v_add_f32_e32 v23, v50, v23
	v_lshlrev_b32_e32 v10, 16, v10
	v_and_b32_e32 v52, 0xffff0000, v52
	v_cndmask_b32_e32 v55, v57, v58, vcc_lo
	v_bfe_u32 v57, v53, 16, 1
	v_cmp_u_f32_e32 vcc_lo, v53, v53
	v_mul_f32_e32 v2, v2, v10
	v_add_f32_e32 v50, v52, v51
	v_bfe_u32 v52, v49, 16, 1
	v_add3_u32 v54, v57, v53, 0x7fff
	v_and_b32_e32 v53, 0xffff0000, v55
	v_or_b32_e32 v55, 0x400000, v45
	v_add_f32_e32 v23, v50, v23
	v_lshlrev_b32_e32 v10, 16, v19
	v_cndmask_b32_e32 v51, v54, v56, vcc_lo
	v_bfe_u32 v54, v48, 16, 1
	v_cmp_u_f32_e32 vcc_lo, v49, v49
	v_lshlrev_b32_e32 v18, 16, v18
	v_mul_f32_e32 v7, v7, v10
	v_and_b32_e32 v50, 0xffff0000, v51
	v_add3_u32 v51, v52, v49, 0x7fff
	v_or_b32_e32 v52, 0x400000, v49
	v_mul_f32_e32 v4, v4, v18
	v_or_b32_e32 v10, 0x400000, v8
	v_or_b32_e32 v18, 0x400000, v2
	v_bfe_u32 v19, v7, 16, 1
	v_cndmask_b32_e32 v49, v51, v52, vcc_lo
	v_bfe_u32 v51, v45, 16, 1
	v_add3_u32 v52, v54, v48, 0x7fff
	v_or_b32_e32 v54, 0x400000, v48
	v_cmp_u_f32_e32 vcc_lo, v48, v48
	v_and_b32_e32 v49, 0xffff0000, v49
	v_add3_u32 v51, v51, v45, 0x7fff
	v_add_nc_u32_e32 v9, 4, v9
	v_add_f32_e32 v31, v31, v0
	v_cndmask_b32_e32 v48, v52, v54, vcc_lo
	v_bfe_u32 v52, v47, 16, 1
	v_cmp_u_f32_e32 vcc_lo, v45, v45
	v_or_b32_e32 v54, 0x400000, v47
	v_add_co_u32 v14, s0, v14, 16
	v_add3_u32 v52, v52, v47, 0x7fff
	v_cndmask_b32_e32 v45, v51, v55, vcc_lo
	v_bfe_u32 v51, v43, 16, 1
	v_cmp_u_f32_e32 vcc_lo, v47, v47
	v_or_b32_e32 v55, 0x400000, v43
	v_and_b32_e32 v48, 0xffff0000, v48
	v_and_b32_e32 v45, 0xffff0000, v45
	v_add3_u32 v51, v51, v43, 0x7fff
	v_cndmask_b32_e32 v47, v52, v54, vcc_lo
	v_bfe_u32 v52, v42, 16, 1
	v_cmp_u_f32_e32 vcc_lo, v43, v43
	v_bfe_u32 v54, v46, 16, 1
	v_add_f32_e32 v48, v48, v49
	v_and_b32_e32 v47, 0xffff0000, v47
	v_add_nc_u32_e32 v35, 0x80, v35
	v_cndmask_b32_e32 v43, v51, v55, vcc_lo
	v_add3_u32 v51, v52, v42, 0x7fff
	v_or_b32_e32 v52, 0x400000, v42
	v_cmp_u_f32_e32 vcc_lo, v42, v42
	v_add3_u32 v54, v54, v46, 0x7fff
	v_or_b32_e32 v55, 0x400000, v46
	v_add_f32_e32 v45, v47, v45
	v_lshlrev_b32_e32 v47, 16, v94
	v_cndmask_b32_e32 v42, v51, v52, vcc_lo
	v_cmp_u_f32_e32 vcc_lo, v46, v46
	v_bfe_u32 v51, v44, 16, 1
	v_or_b32_e32 v52, 0x400000, v44
	v_and_b32_e32 v43, 0xffff0000, v43
	v_and_b32_e32 v42, 0xffff0000, v42
	v_cndmask_b32_e32 v46, v54, v55, vcc_lo
	v_lshlrev_b32_e32 v54, 16, v96
	v_add3_u32 v51, v51, v44, 0x7fff
	v_cmp_u_f32_e32 vcc_lo, v44, v44
	v_add_f32_e32 v45, v45, v48
	v_mul_f32_e32 v1, v1, v47
	v_mul_f32_e32 v5, v5, v54
	v_add_f32_e32 v42, v42, v43
	v_cndmask_b32_e32 v44, v51, v52, vcc_lo
	v_add_nc_u32_e32 v36, 0x200, v36
	v_add_co_ci_u32_e64 v15, null, 0, v15, s0
	v_bfe_u32 v48, v5, 16, 1
	v_and_b32_e32 v43, 0xffff0000, v44
	v_or_b32_e32 v47, 0x400000, v5
	v_cmp_u_f32_e32 vcc_lo, v5, v5
	v_add3_u32 v44, v48, v5, 0x7fff
	v_bfe_u32 v48, v1, 16, 1
	v_cndmask_b32_e32 v5, v44, v47, vcc_lo
	v_add3_u32 v20, v48, v1, 0x7fff
	v_or_b32_e32 v44, 0x400000, v1
	v_bfe_u32 v47, v6, 16, 1
	v_cmp_u_f32_e32 vcc_lo, v1, v1
	v_and_b32_e32 v5, 0xffff0000, v5
	v_add3_u32 v17, v47, v6, 0x7fff
	v_cndmask_b32_e32 v1, v20, v44, vcc_lo
	v_or_b32_e32 v20, 0x400000, v6
	v_bfe_u32 v44, v3, 16, 1
	v_cmp_u_f32_e32 vcc_lo, v6, v6
	v_and_b32_e32 v1, 0xffff0000, v1
	v_add3_u32 v16, v44, v3, 0x7fff
	v_cndmask_b32_e32 v6, v17, v20, vcc_lo
	v_or_b32_e32 v17, 0x400000, v3
	v_bfe_u32 v20, v8, 16, 1
	v_cmp_u_f32_e32 vcc_lo, v3, v3
	v_add_f32_e32 v1, v5, v1
	v_and_b32_e32 v6, 0xffff0000, v6
	v_cndmask_b32_e32 v3, v16, v17, vcc_lo
	v_bfe_u32 v16, v2, 16, 1
	v_add3_u32 v17, v20, v8, 0x7fff
	v_cmp_u_f32_e32 vcc_lo, v8, v8
	v_bfe_u32 v20, v4, 16, 1
	v_and_b32_e32 v3, 0xffff0000, v3
	v_add3_u32 v16, v16, v2, 0x7fff
	v_cndmask_b32_e32 v8, v17, v10, vcc_lo
	v_cmp_u_f32_e32 vcc_lo, v2, v2
	v_or_b32_e32 v17, 0x400000, v4
	v_add3_u32 v10, v19, v7, 0x7fff
	v_add_f32_e32 v3, v6, v3
	v_and_b32_e32 v5, 0xffff0000, v8
	v_cndmask_b32_e32 v2, v16, v18, vcc_lo
	v_add3_u32 v16, v20, v4, 0x7fff
	v_cmp_u_f32_e32 vcc_lo, v4, v4
	v_or_b32_e32 v18, 0x400000, v7
	v_add_f32_e32 v1, v3, v1
	v_and_b32_e32 v2, 0xffff0000, v2
	v_cndmask_b32_e32 v4, v16, v17, vcc_lo
	v_cmp_u_f32_e32 vcc_lo, v7, v7
	v_and_b32_e32 v7, 0xffff0000, v46
	v_add_f32_e32 v2, v5, v2
	v_add_f32_e32 v5, v50, v53
	v_and_b32_e32 v3, 0xffff0000, v4
	v_cndmask_b32_e32 v6, v10, v18, vcc_lo
	v_add_f32_e32 v7, v43, v7
	v_add_f32_e32 v1, v2, v1
	v_cmp_le_i32_e32 vcc_lo, s11, v9
	v_and_b32_e32 v4, 0xffff0000, v6
	v_add_f32_e32 v6, v42, v45
	s_or_b32 s12, vcc_lo, s12
	v_add_f32_e32 v2, v4, v3
	v_add_f32_e32 v3, v22, v21
	v_add_f32_e32 v4, v5, v23
	v_add_f32_e32 v0, v7, v6
	v_add_f32_e32 v1, v2, v1
	v_add_f32_e32 v33, v33, v3
	v_add_f32_e32 v34, v34, v4
	v_add_f32_e32 v32, v32, v0
	v_add_f32_e32 v27, v27, v1
	s_andn2_b32 exec_lo, exec_lo, s12
	s_cbranch_execz .LBB387_1005
.LBB387_509:                            ; =>This Inner Loop Header: Depth=1
	global_load_dword v0, v[14:15], off
	s_waitcnt vmcnt(0)
	v_mad_i64_i32 v[16:17], null, v0, s3, v[12:13]
	v_mov_b32_e32 v0, 0
	global_load_dwordx2 v[18:19], v[16:17], off
	ds_read2_b64 v[5:8], v36 offset1:1
	ds_read2_b64 v[1:4], v36 offset0:2 offset1:3
	s_waitcnt vmcnt(0)
	v_cmp_ne_u16_sdwa s13, v18, v11 src0_sel:BYTE_0 src1_sel:DWORD
	s_and_saveexec_b32 s0, s13
	s_cbranch_execz .LBB387_515
; %bb.510:                              ;   in Loop: Header=BB387_509 Depth=1
	v_cmp_ne_u16_sdwa s14, v18, v37 src0_sel:BYTE_0 src1_sel:DWORD
	v_bfrev_b32_e32 v0, 1
	s_and_saveexec_b32 s13, s14
	s_cbranch_execz .LBB387_514
; %bb.511:                              ;   in Loop: Header=BB387_509 Depth=1
	v_and_b32_e32 v10, 0x7f, v18
	v_mov_b32_e32 v0, 0x7f800001
	s_mov_b32 s14, exec_lo
	v_cmpx_ne_u32_e32 0x7f, v10
	s_cbranch_execz .LBB387_513
; %bb.512:                              ;   in Loop: Header=BB387_509 Depth=1
	v_and_b32_e32 v0, 7, v18
	v_cmp_gt_u32_e32 vcc_lo, 8, v10
	v_lshrrev_b32_e32 v20, 3, v10
	v_ffbh_u32_e32 v0, v0
	v_min_u32_e32 v0, 32, v0
	v_subrev_nc_u32_e32 v21, 28, v0
	v_sub_nc_u32_e32 v0, 29, v0
	v_cndmask_b32_e32 v10, 0, v21, vcc_lo
	v_cndmask_b32_e32 v0, v20, v0, vcc_lo
	v_lshlrev_b64 v[20:21], v10, v[18:19]
	v_lshlrev_b32_e32 v10, 24, v18
	v_lshl_add_u32 v0, v0, 23, 0x3c000000
	v_and_b32_e32 v10, 0x80000000, v10
	v_lshlrev_b32_e32 v20, 20, v20
	v_and_b32_e32 v20, 0x700000, v20
	v_or3_b32 v0, v20, v10, v0
.LBB387_513:                            ;   in Loop: Header=BB387_509 Depth=1
	s_or_b32 exec_lo, exec_lo, s14
.LBB387_514:                            ;   in Loop: Header=BB387_509 Depth=1
	s_or_b32 exec_lo, exec_lo, s13
.LBB387_515:                            ;   in Loop: Header=BB387_509 Depth=1
	s_or_b32 exec_lo, exec_lo, s0
	v_cmp_ne_u16_sdwa s13, v18, v11 src0_sel:BYTE_1 src1_sel:DWORD
	v_mov_b32_e32 v23, 0
	v_mov_b32_e32 v22, 0
	s_and_saveexec_b32 s0, s13
	s_cbranch_execz .LBB387_523
; %bb.516:                              ;   in Loop: Header=BB387_509 Depth=1
	v_cmp_ne_u16_sdwa s14, v18, v37 src0_sel:BYTE_1 src1_sel:DWORD
	v_bfrev_b32_e32 v22, 1
	s_and_saveexec_b32 s13, s14
	s_cbranch_execz .LBB387_522
; %bb.517:                              ;   in Loop: Header=BB387_509 Depth=1
	v_and_b32_sdwa v10, v38, v18 dst_sel:DWORD dst_unused:UNUSED_PAD src0_sel:DWORD src1_sel:BYTE_1
	v_mov_b32_e32 v22, 0x7f800001
	s_mov_b32 s14, exec_lo
	v_and_b32_e32 v21, 0x7f, v10
	v_cmpx_ne_u32_e32 0x7f, v21
	s_cbranch_execz .LBB387_521
; %bb.518:                              ;   in Loop: Header=BB387_509 Depth=1
	v_and_b32_e32 v10, 7, v10
	v_lshrrev_b32_e32 v20, 3, v21
	s_mov_b32 s15, exec_lo
	v_cmpx_gt_u32_e32 8, v21
; %bb.519:                              ;   in Loop: Header=BB387_509 Depth=1
	v_ffbh_u32_e32 v20, v10
	v_min_u32_e32 v20, 32, v20
	v_subrev_nc_u32_e32 v21, 28, v20
	v_sub_nc_u32_e32 v20, 29, v20
	v_lshlrev_b64 v[21:22], v21, v[10:11]
	v_and_b32_e32 v10, 7, v21
; %bb.520:                              ;   in Loop: Header=BB387_509 Depth=1
	s_or_b32 exec_lo, exec_lo, s15
	v_lshlrev_b32_e32 v21, 16, v18
	v_lshlrev_b32_e32 v10, 20, v10
	v_lshl_add_u32 v20, v20, 23, 0x3c000000
	v_and_b32_e32 v21, 0x80000000, v21
	v_or3_b32 v22, v10, v21, v20
.LBB387_521:                            ;   in Loop: Header=BB387_509 Depth=1
	s_or_b32 exec_lo, exec_lo, s14
.LBB387_522:                            ;   in Loop: Header=BB387_509 Depth=1
	s_or_b32 exec_lo, exec_lo, s13
.LBB387_523:                            ;   in Loop: Header=BB387_509 Depth=1
	s_or_b32 exec_lo, exec_lo, s0
	v_and_b32_sdwa v10, v18, v39 dst_sel:DWORD dst_unused:UNUSED_PAD src0_sel:WORD_1 src1_sel:DWORD
	s_mov_b32 s0, exec_lo
	v_cmpx_ne_u16_e32 0, v10
	s_cbranch_execz .LBB387_531
; %bb.524:                              ;   in Loop: Header=BB387_509 Depth=1
	v_bfrev_b32_e32 v23, 1
	s_mov_b32 s13, exec_lo
	v_cmpx_ne_u16_e32 0x80, v10
	s_cbranch_execz .LBB387_530
; %bb.525:                              ;   in Loop: Header=BB387_509 Depth=1
	v_bfe_u32 v21, v18, 16, 7
	v_mov_b32_e32 v23, 0x7f800001
	s_mov_b32 s14, exec_lo
	v_cmpx_ne_u32_e32 0x7f, v21
	s_cbranch_execz .LBB387_529
; %bb.526:                              ;   in Loop: Header=BB387_509 Depth=1
	v_and_b32_sdwa v10, v18, v40 dst_sel:DWORD dst_unused:UNUSED_PAD src0_sel:WORD_1 src1_sel:DWORD
	v_lshrrev_b32_e32 v20, 3, v21
	s_mov_b32 s15, exec_lo
	v_cmpx_gt_u32_e32 8, v21
; %bb.527:                              ;   in Loop: Header=BB387_509 Depth=1
	v_ffbh_u32_e32 v20, v10
	v_min_u32_e32 v20, 32, v20
	v_subrev_nc_u32_e32 v21, 28, v20
	v_sub_nc_u32_e32 v20, 29, v20
	v_lshlrev_b64 v[42:43], v21, v[10:11]
	v_and_b32_e32 v10, 7, v42
; %bb.528:                              ;   in Loop: Header=BB387_509 Depth=1
	s_or_b32 exec_lo, exec_lo, s15
	v_lshlrev_b32_sdwa v21, v41, v18 dst_sel:DWORD dst_unused:UNUSED_PAD src0_sel:DWORD src1_sel:WORD_1
	v_lshlrev_b32_e32 v10, 20, v10
	v_lshl_add_u32 v20, v20, 23, 0x3c000000
	v_and_b32_e32 v21, 0x80000000, v21
	v_or3_b32 v23, v10, v21, v20
.LBB387_529:                            ;   in Loop: Header=BB387_509 Depth=1
	s_or_b32 exec_lo, exec_lo, s14
.LBB387_530:                            ;   in Loop: Header=BB387_509 Depth=1
	s_or_b32 exec_lo, exec_lo, s13
.LBB387_531:                            ;   in Loop: Header=BB387_509 Depth=1
	s_or_b32 exec_lo, exec_lo, s0
	v_mov_b32_e32 v42, 0
	v_mov_b32_e32 v43, 0
	s_mov_b32 s0, exec_lo
	v_cmpx_lt_u32_e32 0xffffff, v18
	s_cbranch_execz .LBB387_539
; %bb.532:                              ;   in Loop: Header=BB387_509 Depth=1
	v_cmp_ne_u32_sdwa s14, v18, v37 src0_sel:BYTE_3 src1_sel:DWORD
	v_bfrev_b32_e32 v43, 1
	s_and_saveexec_b32 s13, s14
	s_cbranch_execz .LBB387_538
; %bb.533:                              ;   in Loop: Header=BB387_509 Depth=1
	v_bfe_u32 v21, v18, 24, 7
	v_mov_b32_e32 v43, 0x7f800001
	s_mov_b32 s14, exec_lo
	v_cmpx_ne_u32_e32 0x7f, v21
	s_cbranch_execz .LBB387_537
; %bb.534:                              ;   in Loop: Header=BB387_509 Depth=1
	v_and_b32_sdwa v10, v18, v40 dst_sel:DWORD dst_unused:UNUSED_PAD src0_sel:BYTE_3 src1_sel:DWORD
	v_lshrrev_b32_e32 v20, 3, v21
	s_mov_b32 s15, exec_lo
	v_cmpx_gt_u32_e32 8, v21
; %bb.535:                              ;   in Loop: Header=BB387_509 Depth=1
	v_ffbh_u32_e32 v20, v10
	v_min_u32_e32 v20, 32, v20
	v_subrev_nc_u32_e32 v21, 28, v20
	v_sub_nc_u32_e32 v20, 29, v20
	v_lshlrev_b64 v[43:44], v21, v[10:11]
	v_and_b32_e32 v10, 7, v43
; %bb.536:                              ;   in Loop: Header=BB387_509 Depth=1
	s_or_b32 exec_lo, exec_lo, s15
	v_lshlrev_b32_sdwa v21, v41, v18 dst_sel:DWORD dst_unused:UNUSED_PAD src0_sel:DWORD src1_sel:BYTE_3
	v_lshlrev_b32_e32 v10, 20, v10
	v_lshl_add_u32 v20, v20, 23, 0x3c000000
	v_and_b32_e32 v21, 0x80000000, v21
	v_or3_b32 v43, v10, v21, v20
.LBB387_537:                            ;   in Loop: Header=BB387_509 Depth=1
	s_or_b32 exec_lo, exec_lo, s14
.LBB387_538:                            ;   in Loop: Header=BB387_509 Depth=1
	s_or_b32 exec_lo, exec_lo, s13
.LBB387_539:                            ;   in Loop: Header=BB387_509 Depth=1
	s_or_b32 exec_lo, exec_lo, s0
	v_mov_b32_e32 v10, v19
	v_cmp_ne_u16_sdwa s13, v19, v11 src0_sel:BYTE_0 src1_sel:DWORD
	s_and_saveexec_b32 s0, s13
	s_cbranch_execz .LBB387_545
; %bb.540:                              ;   in Loop: Header=BB387_509 Depth=1
	v_cmp_ne_u16_sdwa s14, v19, v37 src0_sel:BYTE_0 src1_sel:DWORD
	v_bfrev_b32_e32 v42, 1
	s_and_saveexec_b32 s13, s14
	s_cbranch_execz .LBB387_544
; %bb.541:                              ;   in Loop: Header=BB387_509 Depth=1
	v_and_b32_e32 v20, 0x7f, v19
	v_mov_b32_e32 v42, 0x7f800001
	s_mov_b32 s14, exec_lo
	v_cmpx_ne_u32_e32 0x7f, v20
	s_cbranch_execz .LBB387_543
; %bb.542:                              ;   in Loop: Header=BB387_509 Depth=1
	v_and_b32_e32 v21, 7, v19
	v_cmp_gt_u32_e32 vcc_lo, 8, v20
	v_lshrrev_b32_e32 v42, 3, v20
	v_ffbh_u32_e32 v21, v21
	v_min_u32_e32 v21, 32, v21
	v_subrev_nc_u32_e32 v44, 28, v21
	v_sub_nc_u32_e32 v21, 29, v21
	v_cndmask_b32_e32 v20, 0, v44, vcc_lo
	v_cndmask_b32_e32 v42, v42, v21, vcc_lo
	v_lshlrev_b64 v[20:21], v20, v[10:11]
	v_lshlrev_b32_e32 v21, 24, v10
	v_lshl_add_u32 v42, v42, 23, 0x3c000000
	v_lshlrev_b32_e32 v20, 20, v20
	v_and_b32_e32 v21, 0x80000000, v21
	v_and_b32_e32 v20, 0x700000, v20
	v_or3_b32 v42, v20, v21, v42
.LBB387_543:                            ;   in Loop: Header=BB387_509 Depth=1
	s_or_b32 exec_lo, exec_lo, s14
.LBB387_544:                            ;   in Loop: Header=BB387_509 Depth=1
	s_or_b32 exec_lo, exec_lo, s13
.LBB387_545:                            ;   in Loop: Header=BB387_509 Depth=1
	s_or_b32 exec_lo, exec_lo, s0
	v_cmp_ne_u16_sdwa s13, v10, v11 src0_sel:BYTE_1 src1_sel:DWORD
	v_mov_b32_e32 v44, 0
	v_mov_b32_e32 v20, 0
	s_and_saveexec_b32 s0, s13
	s_cbranch_execz .LBB387_553
; %bb.546:                              ;   in Loop: Header=BB387_509 Depth=1
	v_cmp_ne_u16_sdwa s14, v10, v37 src0_sel:BYTE_1 src1_sel:DWORD
	v_bfrev_b32_e32 v20, 1
	s_and_saveexec_b32 s13, s14
	s_cbranch_execz .LBB387_552
; %bb.547:                              ;   in Loop: Header=BB387_509 Depth=1
	v_and_b32_sdwa v21, v38, v10 dst_sel:DWORD dst_unused:UNUSED_PAD src0_sel:DWORD src1_sel:BYTE_1
	v_mov_b32_e32 v20, 0x7f800001
	s_mov_b32 s14, exec_lo
	v_and_b32_e32 v46, 0x7f, v21
	v_cmpx_ne_u32_e32 0x7f, v46
	s_cbranch_execz .LBB387_551
; %bb.548:                              ;   in Loop: Header=BB387_509 Depth=1
	v_and_b32_e32 v20, 7, v21
	v_mov_b32_e32 v21, v11
	v_lshrrev_b32_e32 v45, 3, v46
	s_mov_b32 s15, exec_lo
	v_cmpx_gt_u32_e32 8, v46
; %bb.549:                              ;   in Loop: Header=BB387_509 Depth=1
	v_ffbh_u32_e32 v45, v20
	v_min_u32_e32 v45, 32, v45
	v_subrev_nc_u32_e32 v46, 28, v45
	v_sub_nc_u32_e32 v45, 29, v45
	v_lshlrev_b64 v[20:21], v46, v[20:21]
	v_and_b32_e32 v20, 7, v20
; %bb.550:                              ;   in Loop: Header=BB387_509 Depth=1
	s_or_b32 exec_lo, exec_lo, s15
	v_lshlrev_b32_e32 v10, 16, v10
	v_lshlrev_b32_e32 v20, 20, v20
	v_lshl_add_u32 v21, v45, 23, 0x3c000000
	v_and_b32_e32 v10, 0x80000000, v10
	v_or3_b32 v20, v20, v10, v21
.LBB387_551:                            ;   in Loop: Header=BB387_509 Depth=1
	s_or_b32 exec_lo, exec_lo, s14
.LBB387_552:                            ;   in Loop: Header=BB387_509 Depth=1
	s_or_b32 exec_lo, exec_lo, s13
.LBB387_553:                            ;   in Loop: Header=BB387_509 Depth=1
	s_or_b32 exec_lo, exec_lo, s0
	v_and_b32_sdwa v10, v19, v39 dst_sel:DWORD dst_unused:UNUSED_PAD src0_sel:WORD_1 src1_sel:DWORD
	s_mov_b32 s0, exec_lo
	v_cmpx_ne_u16_e32 0, v10
	s_cbranch_execz .LBB387_561
; %bb.554:                              ;   in Loop: Header=BB387_509 Depth=1
	v_bfrev_b32_e32 v44, 1
	s_mov_b32 s13, exec_lo
	v_cmpx_ne_u16_e32 0x80, v10
	s_cbranch_execz .LBB387_560
; %bb.555:                              ;   in Loop: Header=BB387_509 Depth=1
	v_bfe_u32 v45, v19, 16, 7
	v_mov_b32_e32 v44, 0x7f800001
	s_mov_b32 s14, exec_lo
	v_cmpx_ne_u32_e32 0x7f, v45
	s_cbranch_execz .LBB387_559
; %bb.556:                              ;   in Loop: Header=BB387_509 Depth=1
	v_and_b32_sdwa v10, v19, v40 dst_sel:DWORD dst_unused:UNUSED_PAD src0_sel:WORD_1 src1_sel:DWORD
	v_lshrrev_b32_e32 v21, 3, v45
	s_mov_b32 s15, exec_lo
	v_cmpx_gt_u32_e32 8, v45
; %bb.557:                              ;   in Loop: Header=BB387_509 Depth=1
	v_ffbh_u32_e32 v21, v10
	v_min_u32_e32 v21, 32, v21
	v_subrev_nc_u32_e32 v44, 28, v21
	v_sub_nc_u32_e32 v21, 29, v21
	v_lshlrev_b64 v[44:45], v44, v[10:11]
	v_and_b32_e32 v10, 7, v44
; %bb.558:                              ;   in Loop: Header=BB387_509 Depth=1
	s_or_b32 exec_lo, exec_lo, s15
	v_lshlrev_b32_sdwa v44, v41, v19 dst_sel:DWORD dst_unused:UNUSED_PAD src0_sel:DWORD src1_sel:WORD_1
	v_lshlrev_b32_e32 v10, 20, v10
	v_lshl_add_u32 v21, v21, 23, 0x3c000000
	v_and_b32_e32 v44, 0x80000000, v44
	v_or3_b32 v44, v10, v44, v21
.LBB387_559:                            ;   in Loop: Header=BB387_509 Depth=1
	s_or_b32 exec_lo, exec_lo, s14
.LBB387_560:                            ;   in Loop: Header=BB387_509 Depth=1
	s_or_b32 exec_lo, exec_lo, s13
.LBB387_561:                            ;   in Loop: Header=BB387_509 Depth=1
	s_or_b32 exec_lo, exec_lo, s0
	v_mov_b32_e32 v10, 0
	s_mov_b32 s0, exec_lo
	v_cmpx_lt_u64_e64 s[4:5], v[18:19]
	s_cbranch_execz .LBB387_569
; %bb.562:                              ;   in Loop: Header=BB387_509 Depth=1
	v_cmp_ne_u32_sdwa s14, v19, v37 src0_sel:BYTE_3 src1_sel:DWORD
	v_bfrev_b32_e32 v10, 1
	s_and_saveexec_b32 s13, s14
	s_cbranch_execz .LBB387_568
; %bb.563:                              ;   in Loop: Header=BB387_509 Depth=1
	v_bfe_u32 v21, v19, 24, 7
	v_mov_b32_e32 v10, 0x7f800001
	s_mov_b32 s14, exec_lo
	v_cmpx_ne_u32_e32 0x7f, v21
	s_cbranch_execz .LBB387_567
; %bb.564:                              ;   in Loop: Header=BB387_509 Depth=1
	v_and_b32_sdwa v10, v19, v40 dst_sel:DWORD dst_unused:UNUSED_PAD src0_sel:BYTE_3 src1_sel:DWORD
	v_lshrrev_b32_e32 v18, 3, v21
	s_mov_b32 s15, exec_lo
	v_cmpx_gt_u32_e32 8, v21
; %bb.565:                              ;   in Loop: Header=BB387_509 Depth=1
	v_ffbh_u32_e32 v18, v10
	v_min_u32_e32 v18, 32, v18
	v_subrev_nc_u32_e32 v21, 28, v18
	v_sub_nc_u32_e32 v18, 29, v18
	v_lshlrev_b64 v[45:46], v21, v[10:11]
	v_and_b32_e32 v10, 7, v45
; %bb.566:                              ;   in Loop: Header=BB387_509 Depth=1
	s_or_b32 exec_lo, exec_lo, s15
	v_lshlrev_b32_sdwa v19, v41, v19 dst_sel:DWORD dst_unused:UNUSED_PAD src0_sel:DWORD src1_sel:BYTE_3
	v_lshlrev_b32_e32 v10, 20, v10
	v_lshl_add_u32 v18, v18, 23, 0x3c000000
	v_and_b32_e32 v19, 0x80000000, v19
	v_or3_b32 v10, v10, v19, v18
.LBB387_567:                            ;   in Loop: Header=BB387_509 Depth=1
	s_or_b32 exec_lo, exec_lo, s14
.LBB387_568:                            ;   in Loop: Header=BB387_509 Depth=1
	s_or_b32 exec_lo, exec_lo, s13
.LBB387_569:                            ;   in Loop: Header=BB387_509 Depth=1
	s_or_b32 exec_lo, exec_lo, s0
	s_waitcnt lgkmcnt(0)
	v_mul_f32_e32 v18, s6, v20
	v_mul_f32_e32 v19, s6, v42
	;; [unrolled: 1-line block ×5, first 2 shown]
	v_bfe_u32 v21, v18, 16, 1
	v_or_b32_e32 v42, 0x400000, v18
	v_bfe_u32 v43, v19, 16, 1
	v_cmp_u_f32_e64 s0, v18, v18
	v_or_b32_e32 v45, 0x400000, v19
	v_add3_u32 v21, v21, v18, 0x7fff
	v_bfe_u32 v46, v20, 16, 1
	v_add3_u32 v43, v43, v19, 0x7fff
	v_or_b32_e32 v47, 0x400000, v20
	v_mul_f32_e32 v10, s6, v10
	v_cndmask_b32_e64 v18, v21, v42, s0
	v_cmp_u_f32_e64 s0, v19, v19
	v_add3_u32 v42, v46, v20, 0x7fff
	v_bfe_u32 v21, v23, 16, 1
	v_add_nc_u32_e32 v50, -7, v35
	v_cmp_eq_u32_e32 vcc_lo, s9, v9
	v_cndmask_b32_e64 v19, v43, v45, s0
	v_cmp_u_f32_e64 s0, v20, v20
	v_lshrrev_b32_e32 v43, 16, v18
	v_mul_f32_e32 v20, s6, v22
	v_add3_u32 v21, v21, v23, 0x7fff
	v_or_b32_e32 v22, 0x400000, v23
	v_cndmask_b32_e64 v18, v42, v47, s0
	v_cmp_u_f32_e64 s0, v23, v23
	v_lshrrev_b32_e32 v42, 16, v19
	v_bfe_u32 v23, v0, 16, 1
	v_or_b32_e32 v47, 0x400000, v10
	v_lshrrev_b32_e32 v45, 16, v18
	v_bfe_u32 v18, v20, 16, 1
	v_cndmask_b32_e64 v19, v21, v22, s0
	v_mul_f32_e32 v21, s6, v44
	v_or_b32_e32 v22, 0x400000, v20
	v_cmp_u_f32_e64 s0, v20, v20
	v_add3_u32 v18, v18, v20, 0x7fff
	v_bfe_u32 v20, v10, 16, 1
	v_bfe_u32 v44, v21, 16, 1
	v_or_b32_e32 v46, 0x400000, v21
	v_add_nc_u32_e32 v61, -6, v35
	v_cndmask_b32_e64 v18, v18, v22, s0
	v_add3_u32 v22, v23, v0, 0x7fff
	v_or_b32_e32 v23, 0x400000, v0
	v_cmp_u_f32_e64 s0, v0, v0
	v_add3_u32 v44, v44, v21, 0x7fff
	v_add3_u32 v20, v20, v10, 0x7fff
	v_lshrrev_b32_e32 v49, 16, v18
	v_add_nc_u32_e32 v60, -5, v35
	v_cndmask_b32_e64 v0, v22, v23, s0
	v_cmp_u_f32_e64 s0, v21, v21
	v_add_nc_u32_e32 v59, -4, v35
	v_add_nc_u32_e32 v58, -3, v35
	;; [unrolled: 1-line block ×3, first 2 shown]
	v_lshrrev_b32_e32 v48, 16, v0
	v_cndmask_b32_e64 v21, v44, v46, s0
	v_cmp_u_f32_e64 s0, v10, v10
	v_add_nc_u32_e32 v56, -1, v35
	v_lshrrev_b32_e32 v44, 16, v21
	v_cndmask_b32_e64 v10, v20, v47, s0
	v_lshrrev_b32_e32 v47, 16, v19
	v_lshrrev_b32_e32 v46, 16, v10
	s_and_saveexec_b32 s13, vcc_lo
	s_cbranch_execz .LBB387_571
; %bb.570:                              ;   in Loop: Header=BB387_509 Depth=1
	v_cmp_gt_i32_e64 s0, s29, v50
	v_cndmask_b32_e64 v48, 0, v48, s0
	v_cmp_gt_i32_e64 s0, s29, v61
	v_cndmask_b32_e64 v49, 0, v49, s0
	;; [unrolled: 2-line block ×8, first 2 shown]
.LBB387_571:                            ;   in Loop: Header=BB387_509 Depth=1
	s_or_b32 exec_lo, exec_lo, s13
	global_load_dwordx2 v[18:19], v[16:17], off offset:256
	v_mov_b32_e32 v22, 0
	v_mov_b32_e32 v0, 0
	s_waitcnt vmcnt(0)
	v_cmp_ne_u16_sdwa s0, v18, v11 src0_sel:BYTE_0 src1_sel:DWORD
	s_and_saveexec_b32 s13, s0
	s_cbranch_execz .LBB387_577
; %bb.572:                              ;   in Loop: Header=BB387_509 Depth=1
	v_cmp_ne_u16_sdwa s0, v18, v37 src0_sel:BYTE_0 src1_sel:DWORD
	v_bfrev_b32_e32 v0, 1
	s_and_saveexec_b32 s14, s0
	s_cbranch_execz .LBB387_576
; %bb.573:                              ;   in Loop: Header=BB387_509 Depth=1
	v_and_b32_e32 v10, 0x7f, v18
	v_mov_b32_e32 v0, 0x7f800001
	s_mov_b32 s15, exec_lo
	v_cmpx_ne_u32_e32 0x7f, v10
	s_cbranch_execz .LBB387_575
; %bb.574:                              ;   in Loop: Header=BB387_509 Depth=1
	v_and_b32_e32 v0, 7, v18
	v_cmp_gt_u32_e64 s0, 8, v10
	v_lshrrev_b32_e32 v20, 3, v10
	v_ffbh_u32_e32 v0, v0
	v_min_u32_e32 v0, 32, v0
	v_subrev_nc_u32_e32 v21, 28, v0
	v_sub_nc_u32_e32 v0, 29, v0
	v_cndmask_b32_e64 v10, 0, v21, s0
	v_cndmask_b32_e64 v0, v20, v0, s0
	v_lshlrev_b64 v[20:21], v10, v[18:19]
	v_lshlrev_b32_e32 v10, 24, v18
	v_lshl_add_u32 v0, v0, 23, 0x3c000000
	v_and_b32_e32 v10, 0x80000000, v10
	v_lshlrev_b32_e32 v20, 20, v20
	v_and_b32_e32 v20, 0x700000, v20
	v_or3_b32 v0, v20, v10, v0
.LBB387_575:                            ;   in Loop: Header=BB387_509 Depth=1
	s_or_b32 exec_lo, exec_lo, s15
.LBB387_576:                            ;   in Loop: Header=BB387_509 Depth=1
	s_or_b32 exec_lo, exec_lo, s14
.LBB387_577:                            ;   in Loop: Header=BB387_509 Depth=1
	s_or_b32 exec_lo, exec_lo, s13
	v_cmp_ne_u16_sdwa s0, v18, v11 src0_sel:BYTE_1 src1_sel:DWORD
	s_and_saveexec_b32 s13, s0
	s_cbranch_execz .LBB387_585
; %bb.578:                              ;   in Loop: Header=BB387_509 Depth=1
	v_cmp_ne_u16_sdwa s0, v18, v37 src0_sel:BYTE_1 src1_sel:DWORD
	v_bfrev_b32_e32 v22, 1
	s_and_saveexec_b32 s14, s0
	s_cbranch_execz .LBB387_584
; %bb.579:                              ;   in Loop: Header=BB387_509 Depth=1
	v_and_b32_sdwa v10, v38, v18 dst_sel:DWORD dst_unused:UNUSED_PAD src0_sel:DWORD src1_sel:BYTE_1
	v_mov_b32_e32 v22, 0x7f800001
	s_mov_b32 s15, exec_lo
	v_and_b32_e32 v21, 0x7f, v10
	v_cmpx_ne_u32_e32 0x7f, v21
	s_cbranch_execz .LBB387_583
; %bb.580:                              ;   in Loop: Header=BB387_509 Depth=1
	v_and_b32_e32 v10, 7, v10
	v_lshrrev_b32_e32 v20, 3, v21
	s_mov_b32 s16, exec_lo
	v_cmpx_gt_u32_e32 8, v21
; %bb.581:                              ;   in Loop: Header=BB387_509 Depth=1
	v_ffbh_u32_e32 v20, v10
	v_min_u32_e32 v20, 32, v20
	v_subrev_nc_u32_e32 v21, 28, v20
	v_sub_nc_u32_e32 v20, 29, v20
	v_lshlrev_b64 v[21:22], v21, v[10:11]
	v_and_b32_e32 v10, 7, v21
; %bb.582:                              ;   in Loop: Header=BB387_509 Depth=1
	s_or_b32 exec_lo, exec_lo, s16
	v_lshlrev_b32_e32 v21, 16, v18
	v_lshlrev_b32_e32 v10, 20, v10
	v_lshl_add_u32 v20, v20, 23, 0x3c000000
	v_and_b32_e32 v21, 0x80000000, v21
	v_or3_b32 v22, v10, v21, v20
.LBB387_583:                            ;   in Loop: Header=BB387_509 Depth=1
	s_or_b32 exec_lo, exec_lo, s15
.LBB387_584:                            ;   in Loop: Header=BB387_509 Depth=1
	s_or_b32 exec_lo, exec_lo, s14
.LBB387_585:                            ;   in Loop: Header=BB387_509 Depth=1
	s_or_b32 exec_lo, exec_lo, s13
	v_and_b32_sdwa v10, v18, v39 dst_sel:DWORD dst_unused:UNUSED_PAD src0_sel:WORD_1 src1_sel:DWORD
	v_mov_b32_e32 v51, 0
	v_mov_b32_e32 v23, 0
	s_mov_b32 s13, exec_lo
	v_cmpx_ne_u16_e32 0, v10
	s_cbranch_execz .LBB387_593
; %bb.586:                              ;   in Loop: Header=BB387_509 Depth=1
	v_bfrev_b32_e32 v23, 1
	s_mov_b32 s14, exec_lo
	v_cmpx_ne_u16_e32 0x80, v10
	s_cbranch_execz .LBB387_592
; %bb.587:                              ;   in Loop: Header=BB387_509 Depth=1
	v_bfe_u32 v21, v18, 16, 7
	v_mov_b32_e32 v23, 0x7f800001
	s_mov_b32 s15, exec_lo
	v_cmpx_ne_u32_e32 0x7f, v21
	s_cbranch_execz .LBB387_591
; %bb.588:                              ;   in Loop: Header=BB387_509 Depth=1
	v_and_b32_sdwa v10, v18, v40 dst_sel:DWORD dst_unused:UNUSED_PAD src0_sel:WORD_1 src1_sel:DWORD
	v_lshrrev_b32_e32 v20, 3, v21
	s_mov_b32 s16, exec_lo
	v_cmpx_gt_u32_e32 8, v21
; %bb.589:                              ;   in Loop: Header=BB387_509 Depth=1
	v_ffbh_u32_e32 v20, v10
	v_min_u32_e32 v20, 32, v20
	v_subrev_nc_u32_e32 v21, 28, v20
	v_sub_nc_u32_e32 v20, 29, v20
	v_lshlrev_b64 v[52:53], v21, v[10:11]
	v_and_b32_e32 v10, 7, v52
; %bb.590:                              ;   in Loop: Header=BB387_509 Depth=1
	s_or_b32 exec_lo, exec_lo, s16
	v_lshlrev_b32_sdwa v21, v41, v18 dst_sel:DWORD dst_unused:UNUSED_PAD src0_sel:DWORD src1_sel:WORD_1
	v_lshlrev_b32_e32 v10, 20, v10
	v_lshl_add_u32 v20, v20, 23, 0x3c000000
	v_and_b32_e32 v21, 0x80000000, v21
	v_or3_b32 v23, v10, v21, v20
.LBB387_591:                            ;   in Loop: Header=BB387_509 Depth=1
	s_or_b32 exec_lo, exec_lo, s15
.LBB387_592:                            ;   in Loop: Header=BB387_509 Depth=1
	s_or_b32 exec_lo, exec_lo, s14
.LBB387_593:                            ;   in Loop: Header=BB387_509 Depth=1
	s_or_b32 exec_lo, exec_lo, s13
	s_mov_b32 s13, exec_lo
	v_cmpx_lt_u32_e32 0xffffff, v18
	s_cbranch_execz .LBB387_601
; %bb.594:                              ;   in Loop: Header=BB387_509 Depth=1
	v_cmp_ne_u32_sdwa s0, v18, v37 src0_sel:BYTE_3 src1_sel:DWORD
	v_bfrev_b32_e32 v51, 1
	s_and_saveexec_b32 s14, s0
	s_cbranch_execz .LBB387_600
; %bb.595:                              ;   in Loop: Header=BB387_509 Depth=1
	v_bfe_u32 v21, v18, 24, 7
	v_mov_b32_e32 v51, 0x7f800001
	s_mov_b32 s15, exec_lo
	v_cmpx_ne_u32_e32 0x7f, v21
	s_cbranch_execz .LBB387_599
; %bb.596:                              ;   in Loop: Header=BB387_509 Depth=1
	v_and_b32_sdwa v10, v18, v40 dst_sel:DWORD dst_unused:UNUSED_PAD src0_sel:BYTE_3 src1_sel:DWORD
	v_lshrrev_b32_e32 v20, 3, v21
	s_mov_b32 s16, exec_lo
	v_cmpx_gt_u32_e32 8, v21
; %bb.597:                              ;   in Loop: Header=BB387_509 Depth=1
	v_ffbh_u32_e32 v20, v10
	v_min_u32_e32 v20, 32, v20
	v_subrev_nc_u32_e32 v21, 28, v20
	v_sub_nc_u32_e32 v20, 29, v20
	v_lshlrev_b64 v[51:52], v21, v[10:11]
	v_and_b32_e32 v10, 7, v51
; %bb.598:                              ;   in Loop: Header=BB387_509 Depth=1
	s_or_b32 exec_lo, exec_lo, s16
	v_lshlrev_b32_sdwa v21, v41, v18 dst_sel:DWORD dst_unused:UNUSED_PAD src0_sel:DWORD src1_sel:BYTE_3
	v_lshlrev_b32_e32 v10, 20, v10
	v_lshl_add_u32 v20, v20, 23, 0x3c000000
	v_and_b32_e32 v21, 0x80000000, v21
	v_or3_b32 v51, v10, v21, v20
.LBB387_599:                            ;   in Loop: Header=BB387_509 Depth=1
	s_or_b32 exec_lo, exec_lo, s15
.LBB387_600:                            ;   in Loop: Header=BB387_509 Depth=1
	s_or_b32 exec_lo, exec_lo, s14
.LBB387_601:                            ;   in Loop: Header=BB387_509 Depth=1
	s_or_b32 exec_lo, exec_lo, s13
	v_mov_b32_e32 v10, v19
	v_cmp_ne_u16_sdwa s0, v19, v11 src0_sel:BYTE_0 src1_sel:DWORD
	v_mov_b32_e32 v20, 0
	v_mov_b32_e32 v52, 0
	s_and_saveexec_b32 s13, s0
	s_cbranch_execz .LBB387_607
; %bb.602:                              ;   in Loop: Header=BB387_509 Depth=1
	v_cmp_ne_u16_sdwa s0, v19, v37 src0_sel:BYTE_0 src1_sel:DWORD
	v_bfrev_b32_e32 v52, 1
	s_and_saveexec_b32 s14, s0
	s_cbranch_execz .LBB387_606
; %bb.603:                              ;   in Loop: Header=BB387_509 Depth=1
	v_and_b32_e32 v21, 0x7f, v19
	v_mov_b32_e32 v52, 0x7f800001
	s_mov_b32 s15, exec_lo
	v_cmpx_ne_u32_e32 0x7f, v21
	s_cbranch_execz .LBB387_605
; %bb.604:                              ;   in Loop: Header=BB387_509 Depth=1
	v_and_b32_e32 v52, 7, v19
	v_lshrrev_b32_e32 v53, 3, v21
	v_cmp_gt_u32_e64 s0, 8, v21
	v_ffbh_u32_e32 v52, v52
	v_min_u32_e32 v52, 32, v52
	v_subrev_nc_u32_e32 v54, 28, v52
	v_sub_nc_u32_e32 v52, 29, v52
	v_cndmask_b32_e64 v21, v53, v52, s0
	v_cndmask_b32_e64 v52, 0, v54, s0
	v_lshl_add_u32 v21, v21, 23, 0x3c000000
	v_lshlrev_b64 v[52:53], v52, v[10:11]
	v_lshlrev_b32_e32 v53, 24, v10
	v_lshlrev_b32_e32 v52, 20, v52
	v_and_b32_e32 v53, 0x80000000, v53
	v_and_b32_e32 v52, 0x700000, v52
	v_or3_b32 v52, v52, v53, v21
.LBB387_605:                            ;   in Loop: Header=BB387_509 Depth=1
	s_or_b32 exec_lo, exec_lo, s15
.LBB387_606:                            ;   in Loop: Header=BB387_509 Depth=1
	s_or_b32 exec_lo, exec_lo, s14
.LBB387_607:                            ;   in Loop: Header=BB387_509 Depth=1
	s_or_b32 exec_lo, exec_lo, s13
	v_cmp_ne_u16_sdwa s0, v10, v11 src0_sel:BYTE_1 src1_sel:DWORD
	s_and_saveexec_b32 s13, s0
	s_cbranch_execz .LBB387_615
; %bb.608:                              ;   in Loop: Header=BB387_509 Depth=1
	v_cmp_ne_u16_sdwa s0, v10, v37 src0_sel:BYTE_1 src1_sel:DWORD
	v_bfrev_b32_e32 v20, 1
	s_and_saveexec_b32 s14, s0
	s_cbranch_execz .LBB387_614
; %bb.609:                              ;   in Loop: Header=BB387_509 Depth=1
	v_and_b32_sdwa v21, v38, v10 dst_sel:DWORD dst_unused:UNUSED_PAD src0_sel:DWORD src1_sel:BYTE_1
	v_mov_b32_e32 v20, 0x7f800001
	s_mov_b32 s15, exec_lo
	v_and_b32_e32 v54, 0x7f, v21
	v_cmpx_ne_u32_e32 0x7f, v54
	s_cbranch_execz .LBB387_613
; %bb.610:                              ;   in Loop: Header=BB387_509 Depth=1
	v_and_b32_e32 v20, 7, v21
	v_mov_b32_e32 v21, v11
	v_lshrrev_b32_e32 v53, 3, v54
	s_mov_b32 s16, exec_lo
	v_cmpx_gt_u32_e32 8, v54
; %bb.611:                              ;   in Loop: Header=BB387_509 Depth=1
	v_ffbh_u32_e32 v53, v20
	v_min_u32_e32 v53, 32, v53
	v_subrev_nc_u32_e32 v54, 28, v53
	v_sub_nc_u32_e32 v53, 29, v53
	v_lshlrev_b64 v[20:21], v54, v[20:21]
	v_and_b32_e32 v20, 7, v20
; %bb.612:                              ;   in Loop: Header=BB387_509 Depth=1
	s_or_b32 exec_lo, exec_lo, s16
	v_lshlrev_b32_e32 v10, 16, v10
	v_lshlrev_b32_e32 v20, 20, v20
	v_lshl_add_u32 v21, v53, 23, 0x3c000000
	v_and_b32_e32 v10, 0x80000000, v10
	v_or3_b32 v20, v20, v10, v21
.LBB387_613:                            ;   in Loop: Header=BB387_509 Depth=1
	s_or_b32 exec_lo, exec_lo, s15
.LBB387_614:                            ;   in Loop: Header=BB387_509 Depth=1
	s_or_b32 exec_lo, exec_lo, s14
.LBB387_615:                            ;   in Loop: Header=BB387_509 Depth=1
	s_or_b32 exec_lo, exec_lo, s13
	v_and_b32_sdwa v10, v19, v39 dst_sel:DWORD dst_unused:UNUSED_PAD src0_sel:WORD_1 src1_sel:DWORD
	v_mov_b32_e32 v21, 0
	v_mov_b32_e32 v53, 0
	s_mov_b32 s13, exec_lo
	v_cmpx_ne_u16_e32 0, v10
	s_cbranch_execz .LBB387_623
; %bb.616:                              ;   in Loop: Header=BB387_509 Depth=1
	v_bfrev_b32_e32 v53, 1
	s_mov_b32 s14, exec_lo
	v_cmpx_ne_u16_e32 0x80, v10
	s_cbranch_execz .LBB387_622
; %bb.617:                              ;   in Loop: Header=BB387_509 Depth=1
	v_bfe_u32 v54, v19, 16, 7
	v_mov_b32_e32 v53, 0x7f800001
	s_mov_b32 s15, exec_lo
	v_cmpx_ne_u32_e32 0x7f, v54
	s_cbranch_execz .LBB387_621
; %bb.618:                              ;   in Loop: Header=BB387_509 Depth=1
	v_and_b32_sdwa v10, v19, v40 dst_sel:DWORD dst_unused:UNUSED_PAD src0_sel:WORD_1 src1_sel:DWORD
	v_lshrrev_b32_e32 v53, 3, v54
	s_mov_b32 s16, exec_lo
	v_cmpx_gt_u32_e32 8, v54
; %bb.619:                              ;   in Loop: Header=BB387_509 Depth=1
	v_ffbh_u32_e32 v53, v10
	v_min_u32_e32 v53, 32, v53
	v_subrev_nc_u32_e32 v54, 28, v53
	v_sub_nc_u32_e32 v53, 29, v53
	v_lshlrev_b64 v[54:55], v54, v[10:11]
	v_and_b32_e32 v10, 7, v54
; %bb.620:                              ;   in Loop: Header=BB387_509 Depth=1
	s_or_b32 exec_lo, exec_lo, s16
	v_lshlrev_b32_sdwa v54, v41, v19 dst_sel:DWORD dst_unused:UNUSED_PAD src0_sel:DWORD src1_sel:WORD_1
	v_lshlrev_b32_e32 v10, 20, v10
	v_lshl_add_u32 v53, v53, 23, 0x3c000000
	v_and_b32_e32 v54, 0x80000000, v54
	v_or3_b32 v53, v10, v54, v53
.LBB387_621:                            ;   in Loop: Header=BB387_509 Depth=1
	s_or_b32 exec_lo, exec_lo, s15
.LBB387_622:                            ;   in Loop: Header=BB387_509 Depth=1
	s_or_b32 exec_lo, exec_lo, s14
.LBB387_623:                            ;   in Loop: Header=BB387_509 Depth=1
	s_or_b32 exec_lo, exec_lo, s13
	s_mov_b32 s13, exec_lo
	v_cmpx_lt_u64_e64 s[4:5], v[18:19]
	s_cbranch_execz .LBB387_631
; %bb.624:                              ;   in Loop: Header=BB387_509 Depth=1
	v_cmp_ne_u32_sdwa s0, v19, v37 src0_sel:BYTE_3 src1_sel:DWORD
	v_bfrev_b32_e32 v21, 1
	s_and_saveexec_b32 s14, s0
	s_cbranch_execz .LBB387_630
; %bb.625:                              ;   in Loop: Header=BB387_509 Depth=1
	v_bfe_u32 v54, v19, 24, 7
	v_mov_b32_e32 v21, 0x7f800001
	s_mov_b32 s15, exec_lo
	v_cmpx_ne_u32_e32 0x7f, v54
	s_cbranch_execz .LBB387_629
; %bb.626:                              ;   in Loop: Header=BB387_509 Depth=1
	v_and_b32_sdwa v10, v19, v40 dst_sel:DWORD dst_unused:UNUSED_PAD src0_sel:BYTE_3 src1_sel:DWORD
	v_lshrrev_b32_e32 v18, 3, v54
	s_mov_b32 s16, exec_lo
	v_cmpx_gt_u32_e32 8, v54
; %bb.627:                              ;   in Loop: Header=BB387_509 Depth=1
	v_ffbh_u32_e32 v18, v10
	v_min_u32_e32 v18, 32, v18
	v_subrev_nc_u32_e32 v21, 28, v18
	v_sub_nc_u32_e32 v18, 29, v18
	v_lshlrev_b64 v[54:55], v21, v[10:11]
	v_and_b32_e32 v10, 7, v54
; %bb.628:                              ;   in Loop: Header=BB387_509 Depth=1
	s_or_b32 exec_lo, exec_lo, s16
	v_lshlrev_b32_sdwa v19, v41, v19 dst_sel:DWORD dst_unused:UNUSED_PAD src0_sel:DWORD src1_sel:BYTE_3
	v_lshlrev_b32_e32 v10, 20, v10
	v_lshl_add_u32 v18, v18, 23, 0x3c000000
	v_and_b32_e32 v19, 0x80000000, v19
	v_or3_b32 v21, v10, v19, v18
.LBB387_629:                            ;   in Loop: Header=BB387_509 Depth=1
	s_or_b32 exec_lo, exec_lo, s15
.LBB387_630:                            ;   in Loop: Header=BB387_509 Depth=1
	s_or_b32 exec_lo, exec_lo, s14
.LBB387_631:                            ;   in Loop: Header=BB387_509 Depth=1
	s_or_b32 exec_lo, exec_lo, s13
	v_mul_f32_e32 v10, s6, v20
	v_mul_f32_e32 v18, s6, v52
	v_mul_f32_e32 v20, s6, v23
	v_mul_f32_e32 v19, s6, v51
	v_mul_f32_e32 v0, s6, v0
	v_bfe_u32 v23, v10, 16, 1
	v_or_b32_e32 v51, 0x400000, v10
	v_bfe_u32 v52, v18, 16, 1
	v_cmp_u_f32_e64 s0, v10, v10
	v_or_b32_e32 v54, 0x400000, v18
	v_add3_u32 v23, v23, v10, 0x7fff
	v_bfe_u32 v55, v19, 16, 1
	v_add3_u32 v52, v52, v18, 0x7fff
	v_or_b32_e32 v62, 0x400000, v19
	v_bfe_u32 v63, v20, 16, 1
	v_cndmask_b32_e64 v10, v23, v51, s0
	v_cmp_u_f32_e64 s0, v18, v18
	v_add3_u32 v55, v55, v19, 0x7fff
	v_or_b32_e32 v23, 0x400000, v20
	v_mul_f32_e32 v21, s6, v21
	v_lshrrev_b32_e32 v51, 16, v10
	v_cndmask_b32_e64 v18, v52, v54, s0
	v_cmp_u_f32_e64 s0, v19, v19
	v_mul_f32_e32 v10, s6, v22
	v_add3_u32 v22, v63, v20, 0x7fff
	v_lshrrev_b32_e32 v52, 16, v18
	v_cndmask_b32_e64 v19, v55, v62, s0
	v_bfe_u32 v18, v10, 16, 1
	v_cmp_u_f32_e64 s0, v20, v20
	v_mul_f32_e32 v20, s6, v53
	v_or_b32_e32 v62, 0x400000, v21
	v_lshrrev_b32_e32 v54, 16, v19
	v_add3_u32 v18, v18, v10, 0x7fff
	v_cndmask_b32_e64 v19, v22, v23, s0
	v_or_b32_e32 v22, 0x400000, v10
	v_bfe_u32 v23, v0, 16, 1
	v_cmp_u_f32_e64 s0, v10, v10
	v_bfe_u32 v53, v20, 16, 1
	v_or_b32_e32 v55, 0x400000, v20
	v_cndmask_b32_e64 v10, v18, v22, s0
	v_add3_u32 v22, v23, v0, 0x7fff
	v_or_b32_e32 v23, 0x400000, v0
	v_cmp_u_f32_e64 s0, v0, v0
	v_bfe_u32 v18, v21, 16, 1
	v_add3_u32 v53, v53, v20, 0x7fff
	v_lshrrev_b32_e32 v64, 16, v10
	v_cndmask_b32_e64 v0, v22, v23, s0
	v_cmp_u_f32_e64 s0, v20, v20
	v_add3_u32 v18, v18, v21, 0x7fff
	v_lshrrev_b32_e32 v63, 16, v0
	v_cndmask_b32_e64 v20, v53, v55, s0
	v_cmp_u_f32_e64 s0, v21, v21
	v_lshrrev_b32_e32 v53, 16, v20
	v_cndmask_b32_e64 v18, v18, v62, s0
	v_lshrrev_b32_e32 v62, 16, v19
	v_lshrrev_b32_e32 v55, 16, v18
	s_and_saveexec_b32 s13, vcc_lo
	s_cbranch_execz .LBB387_633
; %bb.632:                              ;   in Loop: Header=BB387_509 Depth=1
	v_cmp_gt_i32_e64 s0, s29, v50
	v_cndmask_b32_e64 v63, 0, v63, s0
	v_cmp_gt_i32_e64 s0, s29, v61
	v_cndmask_b32_e64 v64, 0, v64, s0
	;; [unrolled: 2-line block ×8, first 2 shown]
.LBB387_633:                            ;   in Loop: Header=BB387_509 Depth=1
	s_or_b32 exec_lo, exec_lo, s13
	global_load_dwordx2 v[18:19], v[16:17], off offset:512
	v_mov_b32_e32 v22, 0
	v_mov_b32_e32 v0, 0
	s_waitcnt vmcnt(0)
	v_cmp_ne_u16_sdwa s0, v18, v11 src0_sel:BYTE_0 src1_sel:DWORD
	s_and_saveexec_b32 s13, s0
	s_cbranch_execz .LBB387_639
; %bb.634:                              ;   in Loop: Header=BB387_509 Depth=1
	v_cmp_ne_u16_sdwa s0, v18, v37 src0_sel:BYTE_0 src1_sel:DWORD
	v_bfrev_b32_e32 v0, 1
	s_and_saveexec_b32 s14, s0
	s_cbranch_execz .LBB387_638
; %bb.635:                              ;   in Loop: Header=BB387_509 Depth=1
	v_and_b32_e32 v10, 0x7f, v18
	v_mov_b32_e32 v0, 0x7f800001
	s_mov_b32 s15, exec_lo
	v_cmpx_ne_u32_e32 0x7f, v10
	s_cbranch_execz .LBB387_637
; %bb.636:                              ;   in Loop: Header=BB387_509 Depth=1
	v_and_b32_e32 v0, 7, v18
	v_cmp_gt_u32_e64 s0, 8, v10
	v_lshrrev_b32_e32 v20, 3, v10
	v_ffbh_u32_e32 v0, v0
	v_min_u32_e32 v0, 32, v0
	v_subrev_nc_u32_e32 v21, 28, v0
	v_sub_nc_u32_e32 v0, 29, v0
	v_cndmask_b32_e64 v10, 0, v21, s0
	v_cndmask_b32_e64 v0, v20, v0, s0
	v_lshlrev_b64 v[20:21], v10, v[18:19]
	v_lshlrev_b32_e32 v10, 24, v18
	v_lshl_add_u32 v0, v0, 23, 0x3c000000
	v_and_b32_e32 v10, 0x80000000, v10
	v_lshlrev_b32_e32 v20, 20, v20
	v_and_b32_e32 v20, 0x700000, v20
	v_or3_b32 v0, v20, v10, v0
.LBB387_637:                            ;   in Loop: Header=BB387_509 Depth=1
	s_or_b32 exec_lo, exec_lo, s15
.LBB387_638:                            ;   in Loop: Header=BB387_509 Depth=1
	s_or_b32 exec_lo, exec_lo, s14
.LBB387_639:                            ;   in Loop: Header=BB387_509 Depth=1
	s_or_b32 exec_lo, exec_lo, s13
	v_cmp_ne_u16_sdwa s0, v18, v11 src0_sel:BYTE_1 src1_sel:DWORD
	s_and_saveexec_b32 s13, s0
	s_cbranch_execz .LBB387_647
; %bb.640:                              ;   in Loop: Header=BB387_509 Depth=1
	v_cmp_ne_u16_sdwa s0, v18, v37 src0_sel:BYTE_1 src1_sel:DWORD
	v_bfrev_b32_e32 v22, 1
	s_and_saveexec_b32 s14, s0
	s_cbranch_execz .LBB387_646
; %bb.641:                              ;   in Loop: Header=BB387_509 Depth=1
	v_and_b32_sdwa v10, v38, v18 dst_sel:DWORD dst_unused:UNUSED_PAD src0_sel:DWORD src1_sel:BYTE_1
	v_mov_b32_e32 v22, 0x7f800001
	s_mov_b32 s15, exec_lo
	v_and_b32_e32 v21, 0x7f, v10
	v_cmpx_ne_u32_e32 0x7f, v21
	s_cbranch_execz .LBB387_645
; %bb.642:                              ;   in Loop: Header=BB387_509 Depth=1
	v_and_b32_e32 v10, 7, v10
	v_lshrrev_b32_e32 v20, 3, v21
	s_mov_b32 s16, exec_lo
	v_cmpx_gt_u32_e32 8, v21
; %bb.643:                              ;   in Loop: Header=BB387_509 Depth=1
	v_ffbh_u32_e32 v20, v10
	v_min_u32_e32 v20, 32, v20
	v_subrev_nc_u32_e32 v21, 28, v20
	v_sub_nc_u32_e32 v20, 29, v20
	v_lshlrev_b64 v[21:22], v21, v[10:11]
	v_and_b32_e32 v10, 7, v21
; %bb.644:                              ;   in Loop: Header=BB387_509 Depth=1
	s_or_b32 exec_lo, exec_lo, s16
	v_lshlrev_b32_e32 v21, 16, v18
	v_lshlrev_b32_e32 v10, 20, v10
	v_lshl_add_u32 v20, v20, 23, 0x3c000000
	v_and_b32_e32 v21, 0x80000000, v21
	v_or3_b32 v22, v10, v21, v20
.LBB387_645:                            ;   in Loop: Header=BB387_509 Depth=1
	s_or_b32 exec_lo, exec_lo, s15
.LBB387_646:                            ;   in Loop: Header=BB387_509 Depth=1
	s_or_b32 exec_lo, exec_lo, s14
.LBB387_647:                            ;   in Loop: Header=BB387_509 Depth=1
	s_or_b32 exec_lo, exec_lo, s13
	v_and_b32_sdwa v10, v18, v39 dst_sel:DWORD dst_unused:UNUSED_PAD src0_sel:WORD_1 src1_sel:DWORD
	v_mov_b32_e32 v65, 0
	v_mov_b32_e32 v23, 0
	s_mov_b32 s13, exec_lo
	v_cmpx_ne_u16_e32 0, v10
	s_cbranch_execz .LBB387_655
; %bb.648:                              ;   in Loop: Header=BB387_509 Depth=1
	v_bfrev_b32_e32 v23, 1
	s_mov_b32 s14, exec_lo
	v_cmpx_ne_u16_e32 0x80, v10
	s_cbranch_execz .LBB387_654
; %bb.649:                              ;   in Loop: Header=BB387_509 Depth=1
	v_bfe_u32 v21, v18, 16, 7
	v_mov_b32_e32 v23, 0x7f800001
	s_mov_b32 s15, exec_lo
	v_cmpx_ne_u32_e32 0x7f, v21
	s_cbranch_execz .LBB387_653
; %bb.650:                              ;   in Loop: Header=BB387_509 Depth=1
	v_and_b32_sdwa v10, v18, v40 dst_sel:DWORD dst_unused:UNUSED_PAD src0_sel:WORD_1 src1_sel:DWORD
	v_lshrrev_b32_e32 v20, 3, v21
	s_mov_b32 s16, exec_lo
	v_cmpx_gt_u32_e32 8, v21
; %bb.651:                              ;   in Loop: Header=BB387_509 Depth=1
	v_ffbh_u32_e32 v20, v10
	v_min_u32_e32 v20, 32, v20
	v_subrev_nc_u32_e32 v21, 28, v20
	v_sub_nc_u32_e32 v20, 29, v20
	v_lshlrev_b64 v[66:67], v21, v[10:11]
	v_and_b32_e32 v10, 7, v66
; %bb.652:                              ;   in Loop: Header=BB387_509 Depth=1
	s_or_b32 exec_lo, exec_lo, s16
	v_lshlrev_b32_sdwa v21, v41, v18 dst_sel:DWORD dst_unused:UNUSED_PAD src0_sel:DWORD src1_sel:WORD_1
	v_lshlrev_b32_e32 v10, 20, v10
	v_lshl_add_u32 v20, v20, 23, 0x3c000000
	v_and_b32_e32 v21, 0x80000000, v21
	v_or3_b32 v23, v10, v21, v20
.LBB387_653:                            ;   in Loop: Header=BB387_509 Depth=1
	s_or_b32 exec_lo, exec_lo, s15
.LBB387_654:                            ;   in Loop: Header=BB387_509 Depth=1
	s_or_b32 exec_lo, exec_lo, s14
.LBB387_655:                            ;   in Loop: Header=BB387_509 Depth=1
	s_or_b32 exec_lo, exec_lo, s13
	s_mov_b32 s13, exec_lo
	v_cmpx_lt_u32_e32 0xffffff, v18
	s_cbranch_execz .LBB387_663
; %bb.656:                              ;   in Loop: Header=BB387_509 Depth=1
	v_cmp_ne_u32_sdwa s0, v18, v37 src0_sel:BYTE_3 src1_sel:DWORD
	v_bfrev_b32_e32 v65, 1
	s_and_saveexec_b32 s14, s0
	s_cbranch_execz .LBB387_662
; %bb.657:                              ;   in Loop: Header=BB387_509 Depth=1
	v_bfe_u32 v21, v18, 24, 7
	v_mov_b32_e32 v65, 0x7f800001
	s_mov_b32 s15, exec_lo
	v_cmpx_ne_u32_e32 0x7f, v21
	s_cbranch_execz .LBB387_661
; %bb.658:                              ;   in Loop: Header=BB387_509 Depth=1
	v_and_b32_sdwa v10, v18, v40 dst_sel:DWORD dst_unused:UNUSED_PAD src0_sel:BYTE_3 src1_sel:DWORD
	v_lshrrev_b32_e32 v20, 3, v21
	s_mov_b32 s16, exec_lo
	v_cmpx_gt_u32_e32 8, v21
; %bb.659:                              ;   in Loop: Header=BB387_509 Depth=1
	v_ffbh_u32_e32 v20, v10
	v_min_u32_e32 v20, 32, v20
	v_subrev_nc_u32_e32 v21, 28, v20
	v_sub_nc_u32_e32 v20, 29, v20
	v_lshlrev_b64 v[65:66], v21, v[10:11]
	v_and_b32_e32 v10, 7, v65
; %bb.660:                              ;   in Loop: Header=BB387_509 Depth=1
	s_or_b32 exec_lo, exec_lo, s16
	v_lshlrev_b32_sdwa v21, v41, v18 dst_sel:DWORD dst_unused:UNUSED_PAD src0_sel:DWORD src1_sel:BYTE_3
	v_lshlrev_b32_e32 v10, 20, v10
	v_lshl_add_u32 v20, v20, 23, 0x3c000000
	v_and_b32_e32 v21, 0x80000000, v21
	v_or3_b32 v65, v10, v21, v20
.LBB387_661:                            ;   in Loop: Header=BB387_509 Depth=1
	s_or_b32 exec_lo, exec_lo, s15
.LBB387_662:                            ;   in Loop: Header=BB387_509 Depth=1
	s_or_b32 exec_lo, exec_lo, s14
.LBB387_663:                            ;   in Loop: Header=BB387_509 Depth=1
	s_or_b32 exec_lo, exec_lo, s13
	v_mov_b32_e32 v10, v19
	v_cmp_ne_u16_sdwa s0, v19, v11 src0_sel:BYTE_0 src1_sel:DWORD
	v_mov_b32_e32 v20, 0
	v_mov_b32_e32 v66, 0
	s_and_saveexec_b32 s13, s0
	s_cbranch_execz .LBB387_669
; %bb.664:                              ;   in Loop: Header=BB387_509 Depth=1
	v_cmp_ne_u16_sdwa s0, v19, v37 src0_sel:BYTE_0 src1_sel:DWORD
	v_bfrev_b32_e32 v66, 1
	s_and_saveexec_b32 s14, s0
	s_cbranch_execz .LBB387_668
; %bb.665:                              ;   in Loop: Header=BB387_509 Depth=1
	v_and_b32_e32 v21, 0x7f, v19
	v_mov_b32_e32 v66, 0x7f800001
	s_mov_b32 s15, exec_lo
	v_cmpx_ne_u32_e32 0x7f, v21
	s_cbranch_execz .LBB387_667
; %bb.666:                              ;   in Loop: Header=BB387_509 Depth=1
	v_and_b32_e32 v66, 7, v19
	v_lshrrev_b32_e32 v67, 3, v21
	v_cmp_gt_u32_e64 s0, 8, v21
	v_ffbh_u32_e32 v66, v66
	v_min_u32_e32 v66, 32, v66
	v_subrev_nc_u32_e32 v68, 28, v66
	v_sub_nc_u32_e32 v66, 29, v66
	v_cndmask_b32_e64 v21, v67, v66, s0
	v_cndmask_b32_e64 v66, 0, v68, s0
	v_lshl_add_u32 v21, v21, 23, 0x3c000000
	v_lshlrev_b64 v[66:67], v66, v[10:11]
	v_lshlrev_b32_e32 v67, 24, v10
	v_lshlrev_b32_e32 v66, 20, v66
	v_and_b32_e32 v67, 0x80000000, v67
	v_and_b32_e32 v66, 0x700000, v66
	v_or3_b32 v66, v66, v67, v21
.LBB387_667:                            ;   in Loop: Header=BB387_509 Depth=1
	s_or_b32 exec_lo, exec_lo, s15
.LBB387_668:                            ;   in Loop: Header=BB387_509 Depth=1
	s_or_b32 exec_lo, exec_lo, s14
.LBB387_669:                            ;   in Loop: Header=BB387_509 Depth=1
	s_or_b32 exec_lo, exec_lo, s13
	v_cmp_ne_u16_sdwa s0, v10, v11 src0_sel:BYTE_1 src1_sel:DWORD
	s_and_saveexec_b32 s13, s0
	s_cbranch_execz .LBB387_677
; %bb.670:                              ;   in Loop: Header=BB387_509 Depth=1
	v_cmp_ne_u16_sdwa s0, v10, v37 src0_sel:BYTE_1 src1_sel:DWORD
	v_bfrev_b32_e32 v20, 1
	s_and_saveexec_b32 s14, s0
	s_cbranch_execz .LBB387_676
; %bb.671:                              ;   in Loop: Header=BB387_509 Depth=1
	v_and_b32_sdwa v21, v38, v10 dst_sel:DWORD dst_unused:UNUSED_PAD src0_sel:DWORD src1_sel:BYTE_1
	v_mov_b32_e32 v20, 0x7f800001
	s_mov_b32 s15, exec_lo
	v_and_b32_e32 v68, 0x7f, v21
	v_cmpx_ne_u32_e32 0x7f, v68
	s_cbranch_execz .LBB387_675
; %bb.672:                              ;   in Loop: Header=BB387_509 Depth=1
	v_and_b32_e32 v20, 7, v21
	v_mov_b32_e32 v21, v11
	v_lshrrev_b32_e32 v67, 3, v68
	s_mov_b32 s16, exec_lo
	v_cmpx_gt_u32_e32 8, v68
; %bb.673:                              ;   in Loop: Header=BB387_509 Depth=1
	v_ffbh_u32_e32 v67, v20
	v_min_u32_e32 v67, 32, v67
	v_subrev_nc_u32_e32 v68, 28, v67
	v_sub_nc_u32_e32 v67, 29, v67
	v_lshlrev_b64 v[20:21], v68, v[20:21]
	v_and_b32_e32 v20, 7, v20
; %bb.674:                              ;   in Loop: Header=BB387_509 Depth=1
	s_or_b32 exec_lo, exec_lo, s16
	v_lshlrev_b32_e32 v10, 16, v10
	v_lshlrev_b32_e32 v20, 20, v20
	v_lshl_add_u32 v21, v67, 23, 0x3c000000
	v_and_b32_e32 v10, 0x80000000, v10
	v_or3_b32 v20, v20, v10, v21
.LBB387_675:                            ;   in Loop: Header=BB387_509 Depth=1
	s_or_b32 exec_lo, exec_lo, s15
.LBB387_676:                            ;   in Loop: Header=BB387_509 Depth=1
	s_or_b32 exec_lo, exec_lo, s14
.LBB387_677:                            ;   in Loop: Header=BB387_509 Depth=1
	s_or_b32 exec_lo, exec_lo, s13
	v_and_b32_sdwa v10, v19, v39 dst_sel:DWORD dst_unused:UNUSED_PAD src0_sel:WORD_1 src1_sel:DWORD
	v_mov_b32_e32 v21, 0
	v_mov_b32_e32 v67, 0
	s_mov_b32 s13, exec_lo
	v_cmpx_ne_u16_e32 0, v10
	s_cbranch_execz .LBB387_685
; %bb.678:                              ;   in Loop: Header=BB387_509 Depth=1
	v_bfrev_b32_e32 v67, 1
	s_mov_b32 s14, exec_lo
	v_cmpx_ne_u16_e32 0x80, v10
	s_cbranch_execz .LBB387_684
; %bb.679:                              ;   in Loop: Header=BB387_509 Depth=1
	v_bfe_u32 v68, v19, 16, 7
	v_mov_b32_e32 v67, 0x7f800001
	s_mov_b32 s15, exec_lo
	v_cmpx_ne_u32_e32 0x7f, v68
	s_cbranch_execz .LBB387_683
; %bb.680:                              ;   in Loop: Header=BB387_509 Depth=1
	v_and_b32_sdwa v10, v19, v40 dst_sel:DWORD dst_unused:UNUSED_PAD src0_sel:WORD_1 src1_sel:DWORD
	v_lshrrev_b32_e32 v67, 3, v68
	s_mov_b32 s16, exec_lo
	v_cmpx_gt_u32_e32 8, v68
; %bb.681:                              ;   in Loop: Header=BB387_509 Depth=1
	v_ffbh_u32_e32 v67, v10
	v_min_u32_e32 v67, 32, v67
	v_subrev_nc_u32_e32 v68, 28, v67
	v_sub_nc_u32_e32 v67, 29, v67
	v_lshlrev_b64 v[68:69], v68, v[10:11]
	v_and_b32_e32 v10, 7, v68
; %bb.682:                              ;   in Loop: Header=BB387_509 Depth=1
	s_or_b32 exec_lo, exec_lo, s16
	v_lshlrev_b32_sdwa v68, v41, v19 dst_sel:DWORD dst_unused:UNUSED_PAD src0_sel:DWORD src1_sel:WORD_1
	v_lshlrev_b32_e32 v10, 20, v10
	v_lshl_add_u32 v67, v67, 23, 0x3c000000
	v_and_b32_e32 v68, 0x80000000, v68
	v_or3_b32 v67, v10, v68, v67
.LBB387_683:                            ;   in Loop: Header=BB387_509 Depth=1
	s_or_b32 exec_lo, exec_lo, s15
.LBB387_684:                            ;   in Loop: Header=BB387_509 Depth=1
	s_or_b32 exec_lo, exec_lo, s14
.LBB387_685:                            ;   in Loop: Header=BB387_509 Depth=1
	s_or_b32 exec_lo, exec_lo, s13
	s_mov_b32 s13, exec_lo
	v_cmpx_lt_u64_e64 s[4:5], v[18:19]
	s_cbranch_execz .LBB387_693
; %bb.686:                              ;   in Loop: Header=BB387_509 Depth=1
	v_cmp_ne_u32_sdwa s0, v19, v37 src0_sel:BYTE_3 src1_sel:DWORD
	v_bfrev_b32_e32 v21, 1
	s_and_saveexec_b32 s14, s0
	s_cbranch_execz .LBB387_692
; %bb.687:                              ;   in Loop: Header=BB387_509 Depth=1
	v_bfe_u32 v68, v19, 24, 7
	v_mov_b32_e32 v21, 0x7f800001
	s_mov_b32 s15, exec_lo
	v_cmpx_ne_u32_e32 0x7f, v68
	s_cbranch_execz .LBB387_691
; %bb.688:                              ;   in Loop: Header=BB387_509 Depth=1
	v_and_b32_sdwa v10, v19, v40 dst_sel:DWORD dst_unused:UNUSED_PAD src0_sel:BYTE_3 src1_sel:DWORD
	v_lshrrev_b32_e32 v18, 3, v68
	s_mov_b32 s16, exec_lo
	v_cmpx_gt_u32_e32 8, v68
; %bb.689:                              ;   in Loop: Header=BB387_509 Depth=1
	v_ffbh_u32_e32 v18, v10
	v_min_u32_e32 v18, 32, v18
	v_subrev_nc_u32_e32 v21, 28, v18
	v_sub_nc_u32_e32 v18, 29, v18
	v_lshlrev_b64 v[68:69], v21, v[10:11]
	v_and_b32_e32 v10, 7, v68
; %bb.690:                              ;   in Loop: Header=BB387_509 Depth=1
	s_or_b32 exec_lo, exec_lo, s16
	v_lshlrev_b32_sdwa v19, v41, v19 dst_sel:DWORD dst_unused:UNUSED_PAD src0_sel:DWORD src1_sel:BYTE_3
	v_lshlrev_b32_e32 v10, 20, v10
	v_lshl_add_u32 v18, v18, 23, 0x3c000000
	v_and_b32_e32 v19, 0x80000000, v19
	v_or3_b32 v21, v10, v19, v18
.LBB387_691:                            ;   in Loop: Header=BB387_509 Depth=1
	s_or_b32 exec_lo, exec_lo, s15
.LBB387_692:                            ;   in Loop: Header=BB387_509 Depth=1
	s_or_b32 exec_lo, exec_lo, s14
.LBB387_693:                            ;   in Loop: Header=BB387_509 Depth=1
	s_or_b32 exec_lo, exec_lo, s13
	v_mul_f32_e32 v10, s6, v20
	v_mul_f32_e32 v18, s6, v66
	;; [unrolled: 1-line block ×5, first 2 shown]
	v_bfe_u32 v23, v10, 16, 1
	v_or_b32_e32 v65, 0x400000, v10
	v_bfe_u32 v66, v18, 16, 1
	v_cmp_u_f32_e64 s0, v10, v10
	v_or_b32_e32 v68, 0x400000, v18
	v_add3_u32 v23, v23, v10, 0x7fff
	v_bfe_u32 v69, v19, 16, 1
	v_add3_u32 v66, v66, v18, 0x7fff
	v_or_b32_e32 v70, 0x400000, v19
	v_bfe_u32 v71, v20, 16, 1
	v_cndmask_b32_e64 v10, v23, v65, s0
	v_cmp_u_f32_e64 s0, v18, v18
	v_add3_u32 v69, v69, v19, 0x7fff
	v_or_b32_e32 v23, 0x400000, v20
	v_mul_f32_e32 v21, s6, v21
	v_lshrrev_b32_e32 v65, 16, v10
	v_cndmask_b32_e64 v18, v66, v68, s0
	v_cmp_u_f32_e64 s0, v19, v19
	v_mul_f32_e32 v10, s6, v22
	v_add3_u32 v22, v71, v20, 0x7fff
	v_lshrrev_b32_e32 v66, 16, v18
	v_cndmask_b32_e64 v19, v69, v70, s0
	v_bfe_u32 v18, v10, 16, 1
	v_cmp_u_f32_e64 s0, v20, v20
	v_mul_f32_e32 v20, s6, v67
	v_or_b32_e32 v70, 0x400000, v21
	v_lshrrev_b32_e32 v68, 16, v19
	v_add3_u32 v18, v18, v10, 0x7fff
	v_cndmask_b32_e64 v19, v22, v23, s0
	v_or_b32_e32 v22, 0x400000, v10
	v_bfe_u32 v23, v0, 16, 1
	v_cmp_u_f32_e64 s0, v10, v10
	v_bfe_u32 v67, v20, 16, 1
	v_or_b32_e32 v69, 0x400000, v20
	v_cndmask_b32_e64 v10, v18, v22, s0
	v_add3_u32 v22, v23, v0, 0x7fff
	v_or_b32_e32 v23, 0x400000, v0
	v_cmp_u_f32_e64 s0, v0, v0
	v_bfe_u32 v18, v21, 16, 1
	v_add3_u32 v67, v67, v20, 0x7fff
	v_lshrrev_b32_e32 v72, 16, v10
	v_cndmask_b32_e64 v0, v22, v23, s0
	v_cmp_u_f32_e64 s0, v20, v20
	v_add3_u32 v18, v18, v21, 0x7fff
	v_lshrrev_b32_e32 v71, 16, v0
	v_cndmask_b32_e64 v20, v67, v69, s0
	v_cmp_u_f32_e64 s0, v21, v21
	v_lshrrev_b32_e32 v67, 16, v20
	v_cndmask_b32_e64 v18, v18, v70, s0
	v_lshrrev_b32_e32 v70, 16, v19
	v_lshrrev_b32_e32 v69, 16, v18
	s_and_saveexec_b32 s13, vcc_lo
	s_cbranch_execz .LBB387_695
; %bb.694:                              ;   in Loop: Header=BB387_509 Depth=1
	v_cmp_gt_i32_e64 s0, s29, v50
	v_cndmask_b32_e64 v71, 0, v71, s0
	v_cmp_gt_i32_e64 s0, s29, v61
	v_cndmask_b32_e64 v72, 0, v72, s0
	;; [unrolled: 2-line block ×8, first 2 shown]
.LBB387_695:                            ;   in Loop: Header=BB387_509 Depth=1
	s_or_b32 exec_lo, exec_lo, s13
	global_load_dwordx2 v[18:19], v[16:17], off offset:768
	v_mov_b32_e32 v22, 0
	v_mov_b32_e32 v0, 0
	s_waitcnt vmcnt(0)
	v_cmp_ne_u16_sdwa s0, v18, v11 src0_sel:BYTE_0 src1_sel:DWORD
	s_and_saveexec_b32 s13, s0
	s_cbranch_execz .LBB387_701
; %bb.696:                              ;   in Loop: Header=BB387_509 Depth=1
	v_cmp_ne_u16_sdwa s0, v18, v37 src0_sel:BYTE_0 src1_sel:DWORD
	v_bfrev_b32_e32 v0, 1
	s_and_saveexec_b32 s14, s0
	s_cbranch_execz .LBB387_700
; %bb.697:                              ;   in Loop: Header=BB387_509 Depth=1
	v_and_b32_e32 v10, 0x7f, v18
	v_mov_b32_e32 v0, 0x7f800001
	s_mov_b32 s15, exec_lo
	v_cmpx_ne_u32_e32 0x7f, v10
	s_cbranch_execz .LBB387_699
; %bb.698:                              ;   in Loop: Header=BB387_509 Depth=1
	v_and_b32_e32 v0, 7, v18
	v_cmp_gt_u32_e64 s0, 8, v10
	v_lshrrev_b32_e32 v20, 3, v10
	v_ffbh_u32_e32 v0, v0
	v_min_u32_e32 v0, 32, v0
	v_subrev_nc_u32_e32 v21, 28, v0
	v_sub_nc_u32_e32 v0, 29, v0
	v_cndmask_b32_e64 v10, 0, v21, s0
	v_cndmask_b32_e64 v0, v20, v0, s0
	v_lshlrev_b64 v[20:21], v10, v[18:19]
	v_lshlrev_b32_e32 v10, 24, v18
	v_lshl_add_u32 v0, v0, 23, 0x3c000000
	v_and_b32_e32 v10, 0x80000000, v10
	v_lshlrev_b32_e32 v20, 20, v20
	v_and_b32_e32 v20, 0x700000, v20
	v_or3_b32 v0, v20, v10, v0
.LBB387_699:                            ;   in Loop: Header=BB387_509 Depth=1
	s_or_b32 exec_lo, exec_lo, s15
.LBB387_700:                            ;   in Loop: Header=BB387_509 Depth=1
	s_or_b32 exec_lo, exec_lo, s14
.LBB387_701:                            ;   in Loop: Header=BB387_509 Depth=1
	s_or_b32 exec_lo, exec_lo, s13
	v_cmp_ne_u16_sdwa s0, v18, v11 src0_sel:BYTE_1 src1_sel:DWORD
	s_and_saveexec_b32 s13, s0
	s_cbranch_execz .LBB387_709
; %bb.702:                              ;   in Loop: Header=BB387_509 Depth=1
	v_cmp_ne_u16_sdwa s0, v18, v37 src0_sel:BYTE_1 src1_sel:DWORD
	v_bfrev_b32_e32 v22, 1
	s_and_saveexec_b32 s14, s0
	s_cbranch_execz .LBB387_708
; %bb.703:                              ;   in Loop: Header=BB387_509 Depth=1
	v_and_b32_sdwa v10, v38, v18 dst_sel:DWORD dst_unused:UNUSED_PAD src0_sel:DWORD src1_sel:BYTE_1
	v_mov_b32_e32 v22, 0x7f800001
	s_mov_b32 s15, exec_lo
	v_and_b32_e32 v21, 0x7f, v10
	v_cmpx_ne_u32_e32 0x7f, v21
	s_cbranch_execz .LBB387_707
; %bb.704:                              ;   in Loop: Header=BB387_509 Depth=1
	v_and_b32_e32 v10, 7, v10
	v_lshrrev_b32_e32 v20, 3, v21
	s_mov_b32 s16, exec_lo
	v_cmpx_gt_u32_e32 8, v21
; %bb.705:                              ;   in Loop: Header=BB387_509 Depth=1
	v_ffbh_u32_e32 v20, v10
	v_min_u32_e32 v20, 32, v20
	v_subrev_nc_u32_e32 v21, 28, v20
	v_sub_nc_u32_e32 v20, 29, v20
	v_lshlrev_b64 v[21:22], v21, v[10:11]
	v_and_b32_e32 v10, 7, v21
; %bb.706:                              ;   in Loop: Header=BB387_509 Depth=1
	s_or_b32 exec_lo, exec_lo, s16
	v_lshlrev_b32_e32 v21, 16, v18
	v_lshlrev_b32_e32 v10, 20, v10
	v_lshl_add_u32 v20, v20, 23, 0x3c000000
	v_and_b32_e32 v21, 0x80000000, v21
	v_or3_b32 v22, v10, v21, v20
.LBB387_707:                            ;   in Loop: Header=BB387_509 Depth=1
	s_or_b32 exec_lo, exec_lo, s15
.LBB387_708:                            ;   in Loop: Header=BB387_509 Depth=1
	s_or_b32 exec_lo, exec_lo, s14
.LBB387_709:                            ;   in Loop: Header=BB387_509 Depth=1
	s_or_b32 exec_lo, exec_lo, s13
	v_and_b32_sdwa v10, v18, v39 dst_sel:DWORD dst_unused:UNUSED_PAD src0_sel:WORD_1 src1_sel:DWORD
	v_mov_b32_e32 v73, 0
	v_mov_b32_e32 v23, 0
	s_mov_b32 s13, exec_lo
	v_cmpx_ne_u16_e32 0, v10
	s_cbranch_execz .LBB387_717
; %bb.710:                              ;   in Loop: Header=BB387_509 Depth=1
	v_bfrev_b32_e32 v23, 1
	s_mov_b32 s14, exec_lo
	v_cmpx_ne_u16_e32 0x80, v10
	s_cbranch_execz .LBB387_716
; %bb.711:                              ;   in Loop: Header=BB387_509 Depth=1
	v_bfe_u32 v21, v18, 16, 7
	v_mov_b32_e32 v23, 0x7f800001
	s_mov_b32 s15, exec_lo
	v_cmpx_ne_u32_e32 0x7f, v21
	s_cbranch_execz .LBB387_715
; %bb.712:                              ;   in Loop: Header=BB387_509 Depth=1
	v_and_b32_sdwa v10, v18, v40 dst_sel:DWORD dst_unused:UNUSED_PAD src0_sel:WORD_1 src1_sel:DWORD
	v_lshrrev_b32_e32 v20, 3, v21
	s_mov_b32 s16, exec_lo
	v_cmpx_gt_u32_e32 8, v21
; %bb.713:                              ;   in Loop: Header=BB387_509 Depth=1
	v_ffbh_u32_e32 v20, v10
	v_min_u32_e32 v20, 32, v20
	v_subrev_nc_u32_e32 v21, 28, v20
	v_sub_nc_u32_e32 v20, 29, v20
	v_lshlrev_b64 v[74:75], v21, v[10:11]
	v_and_b32_e32 v10, 7, v74
; %bb.714:                              ;   in Loop: Header=BB387_509 Depth=1
	s_or_b32 exec_lo, exec_lo, s16
	v_lshlrev_b32_sdwa v21, v41, v18 dst_sel:DWORD dst_unused:UNUSED_PAD src0_sel:DWORD src1_sel:WORD_1
	v_lshlrev_b32_e32 v10, 20, v10
	v_lshl_add_u32 v20, v20, 23, 0x3c000000
	v_and_b32_e32 v21, 0x80000000, v21
	v_or3_b32 v23, v10, v21, v20
.LBB387_715:                            ;   in Loop: Header=BB387_509 Depth=1
	s_or_b32 exec_lo, exec_lo, s15
.LBB387_716:                            ;   in Loop: Header=BB387_509 Depth=1
	s_or_b32 exec_lo, exec_lo, s14
.LBB387_717:                            ;   in Loop: Header=BB387_509 Depth=1
	s_or_b32 exec_lo, exec_lo, s13
	s_mov_b32 s13, exec_lo
	v_cmpx_lt_u32_e32 0xffffff, v18
	s_cbranch_execz .LBB387_725
; %bb.718:                              ;   in Loop: Header=BB387_509 Depth=1
	v_cmp_ne_u32_sdwa s0, v18, v37 src0_sel:BYTE_3 src1_sel:DWORD
	v_bfrev_b32_e32 v73, 1
	s_and_saveexec_b32 s14, s0
	s_cbranch_execz .LBB387_724
; %bb.719:                              ;   in Loop: Header=BB387_509 Depth=1
	v_bfe_u32 v21, v18, 24, 7
	v_mov_b32_e32 v73, 0x7f800001
	s_mov_b32 s15, exec_lo
	v_cmpx_ne_u32_e32 0x7f, v21
	s_cbranch_execz .LBB387_723
; %bb.720:                              ;   in Loop: Header=BB387_509 Depth=1
	v_and_b32_sdwa v10, v18, v40 dst_sel:DWORD dst_unused:UNUSED_PAD src0_sel:BYTE_3 src1_sel:DWORD
	v_lshrrev_b32_e32 v20, 3, v21
	s_mov_b32 s16, exec_lo
	v_cmpx_gt_u32_e32 8, v21
; %bb.721:                              ;   in Loop: Header=BB387_509 Depth=1
	v_ffbh_u32_e32 v20, v10
	v_min_u32_e32 v20, 32, v20
	v_subrev_nc_u32_e32 v21, 28, v20
	v_sub_nc_u32_e32 v20, 29, v20
	v_lshlrev_b64 v[73:74], v21, v[10:11]
	v_and_b32_e32 v10, 7, v73
; %bb.722:                              ;   in Loop: Header=BB387_509 Depth=1
	s_or_b32 exec_lo, exec_lo, s16
	v_lshlrev_b32_sdwa v21, v41, v18 dst_sel:DWORD dst_unused:UNUSED_PAD src0_sel:DWORD src1_sel:BYTE_3
	v_lshlrev_b32_e32 v10, 20, v10
	v_lshl_add_u32 v20, v20, 23, 0x3c000000
	v_and_b32_e32 v21, 0x80000000, v21
	v_or3_b32 v73, v10, v21, v20
.LBB387_723:                            ;   in Loop: Header=BB387_509 Depth=1
	s_or_b32 exec_lo, exec_lo, s15
.LBB387_724:                            ;   in Loop: Header=BB387_509 Depth=1
	s_or_b32 exec_lo, exec_lo, s14
.LBB387_725:                            ;   in Loop: Header=BB387_509 Depth=1
	s_or_b32 exec_lo, exec_lo, s13
	v_mov_b32_e32 v10, v19
	v_cmp_ne_u16_sdwa s0, v19, v11 src0_sel:BYTE_0 src1_sel:DWORD
	v_mov_b32_e32 v20, 0
	v_mov_b32_e32 v74, 0
	s_and_saveexec_b32 s13, s0
	s_cbranch_execz .LBB387_731
; %bb.726:                              ;   in Loop: Header=BB387_509 Depth=1
	v_cmp_ne_u16_sdwa s0, v19, v37 src0_sel:BYTE_0 src1_sel:DWORD
	v_bfrev_b32_e32 v74, 1
	s_and_saveexec_b32 s14, s0
	s_cbranch_execz .LBB387_730
; %bb.727:                              ;   in Loop: Header=BB387_509 Depth=1
	v_and_b32_e32 v21, 0x7f, v19
	v_mov_b32_e32 v74, 0x7f800001
	s_mov_b32 s15, exec_lo
	v_cmpx_ne_u32_e32 0x7f, v21
	s_cbranch_execz .LBB387_729
; %bb.728:                              ;   in Loop: Header=BB387_509 Depth=1
	v_and_b32_e32 v74, 7, v19
	v_lshrrev_b32_e32 v75, 3, v21
	v_cmp_gt_u32_e64 s0, 8, v21
	v_ffbh_u32_e32 v74, v74
	v_min_u32_e32 v74, 32, v74
	v_subrev_nc_u32_e32 v76, 28, v74
	v_sub_nc_u32_e32 v74, 29, v74
	v_cndmask_b32_e64 v21, v75, v74, s0
	v_cndmask_b32_e64 v74, 0, v76, s0
	v_lshl_add_u32 v21, v21, 23, 0x3c000000
	v_lshlrev_b64 v[74:75], v74, v[10:11]
	v_lshlrev_b32_e32 v75, 24, v10
	v_lshlrev_b32_e32 v74, 20, v74
	v_and_b32_e32 v75, 0x80000000, v75
	v_and_b32_e32 v74, 0x700000, v74
	v_or3_b32 v74, v74, v75, v21
.LBB387_729:                            ;   in Loop: Header=BB387_509 Depth=1
	s_or_b32 exec_lo, exec_lo, s15
.LBB387_730:                            ;   in Loop: Header=BB387_509 Depth=1
	s_or_b32 exec_lo, exec_lo, s14
.LBB387_731:                            ;   in Loop: Header=BB387_509 Depth=1
	s_or_b32 exec_lo, exec_lo, s13
	v_cmp_ne_u16_sdwa s0, v10, v11 src0_sel:BYTE_1 src1_sel:DWORD
	s_and_saveexec_b32 s13, s0
	s_cbranch_execz .LBB387_739
; %bb.732:                              ;   in Loop: Header=BB387_509 Depth=1
	v_cmp_ne_u16_sdwa s0, v10, v37 src0_sel:BYTE_1 src1_sel:DWORD
	v_bfrev_b32_e32 v20, 1
	s_and_saveexec_b32 s14, s0
	s_cbranch_execz .LBB387_738
; %bb.733:                              ;   in Loop: Header=BB387_509 Depth=1
	v_and_b32_sdwa v21, v38, v10 dst_sel:DWORD dst_unused:UNUSED_PAD src0_sel:DWORD src1_sel:BYTE_1
	v_mov_b32_e32 v20, 0x7f800001
	s_mov_b32 s15, exec_lo
	v_and_b32_e32 v76, 0x7f, v21
	v_cmpx_ne_u32_e32 0x7f, v76
	s_cbranch_execz .LBB387_737
; %bb.734:                              ;   in Loop: Header=BB387_509 Depth=1
	v_and_b32_e32 v20, 7, v21
	v_mov_b32_e32 v21, v11
	v_lshrrev_b32_e32 v75, 3, v76
	s_mov_b32 s16, exec_lo
	v_cmpx_gt_u32_e32 8, v76
; %bb.735:                              ;   in Loop: Header=BB387_509 Depth=1
	v_ffbh_u32_e32 v75, v20
	v_min_u32_e32 v75, 32, v75
	v_subrev_nc_u32_e32 v76, 28, v75
	v_sub_nc_u32_e32 v75, 29, v75
	v_lshlrev_b64 v[20:21], v76, v[20:21]
	v_and_b32_e32 v20, 7, v20
; %bb.736:                              ;   in Loop: Header=BB387_509 Depth=1
	s_or_b32 exec_lo, exec_lo, s16
	v_lshlrev_b32_e32 v10, 16, v10
	v_lshlrev_b32_e32 v20, 20, v20
	v_lshl_add_u32 v21, v75, 23, 0x3c000000
	v_and_b32_e32 v10, 0x80000000, v10
	v_or3_b32 v20, v20, v10, v21
.LBB387_737:                            ;   in Loop: Header=BB387_509 Depth=1
	s_or_b32 exec_lo, exec_lo, s15
.LBB387_738:                            ;   in Loop: Header=BB387_509 Depth=1
	s_or_b32 exec_lo, exec_lo, s14
.LBB387_739:                            ;   in Loop: Header=BB387_509 Depth=1
	s_or_b32 exec_lo, exec_lo, s13
	v_and_b32_sdwa v10, v19, v39 dst_sel:DWORD dst_unused:UNUSED_PAD src0_sel:WORD_1 src1_sel:DWORD
	v_mov_b32_e32 v21, 0
	v_mov_b32_e32 v75, 0
	s_mov_b32 s13, exec_lo
	v_cmpx_ne_u16_e32 0, v10
	s_cbranch_execz .LBB387_747
; %bb.740:                              ;   in Loop: Header=BB387_509 Depth=1
	v_bfrev_b32_e32 v75, 1
	s_mov_b32 s14, exec_lo
	v_cmpx_ne_u16_e32 0x80, v10
	s_cbranch_execz .LBB387_746
; %bb.741:                              ;   in Loop: Header=BB387_509 Depth=1
	v_bfe_u32 v76, v19, 16, 7
	v_mov_b32_e32 v75, 0x7f800001
	s_mov_b32 s15, exec_lo
	v_cmpx_ne_u32_e32 0x7f, v76
	s_cbranch_execz .LBB387_745
; %bb.742:                              ;   in Loop: Header=BB387_509 Depth=1
	v_and_b32_sdwa v10, v19, v40 dst_sel:DWORD dst_unused:UNUSED_PAD src0_sel:WORD_1 src1_sel:DWORD
	v_lshrrev_b32_e32 v75, 3, v76
	s_mov_b32 s16, exec_lo
	v_cmpx_gt_u32_e32 8, v76
; %bb.743:                              ;   in Loop: Header=BB387_509 Depth=1
	v_ffbh_u32_e32 v75, v10
	v_min_u32_e32 v75, 32, v75
	v_subrev_nc_u32_e32 v76, 28, v75
	v_sub_nc_u32_e32 v75, 29, v75
	v_lshlrev_b64 v[76:77], v76, v[10:11]
	v_and_b32_e32 v10, 7, v76
; %bb.744:                              ;   in Loop: Header=BB387_509 Depth=1
	s_or_b32 exec_lo, exec_lo, s16
	v_lshlrev_b32_sdwa v76, v41, v19 dst_sel:DWORD dst_unused:UNUSED_PAD src0_sel:DWORD src1_sel:WORD_1
	v_lshlrev_b32_e32 v10, 20, v10
	v_lshl_add_u32 v75, v75, 23, 0x3c000000
	v_and_b32_e32 v76, 0x80000000, v76
	v_or3_b32 v75, v10, v76, v75
.LBB387_745:                            ;   in Loop: Header=BB387_509 Depth=1
	s_or_b32 exec_lo, exec_lo, s15
.LBB387_746:                            ;   in Loop: Header=BB387_509 Depth=1
	s_or_b32 exec_lo, exec_lo, s14
.LBB387_747:                            ;   in Loop: Header=BB387_509 Depth=1
	s_or_b32 exec_lo, exec_lo, s13
	s_mov_b32 s13, exec_lo
	v_cmpx_lt_u64_e64 s[4:5], v[18:19]
	s_cbranch_execz .LBB387_755
; %bb.748:                              ;   in Loop: Header=BB387_509 Depth=1
	v_cmp_ne_u32_sdwa s0, v19, v37 src0_sel:BYTE_3 src1_sel:DWORD
	v_bfrev_b32_e32 v21, 1
	s_and_saveexec_b32 s14, s0
	s_cbranch_execz .LBB387_754
; %bb.749:                              ;   in Loop: Header=BB387_509 Depth=1
	v_bfe_u32 v76, v19, 24, 7
	v_mov_b32_e32 v21, 0x7f800001
	s_mov_b32 s15, exec_lo
	v_cmpx_ne_u32_e32 0x7f, v76
	s_cbranch_execz .LBB387_753
; %bb.750:                              ;   in Loop: Header=BB387_509 Depth=1
	v_and_b32_sdwa v10, v19, v40 dst_sel:DWORD dst_unused:UNUSED_PAD src0_sel:BYTE_3 src1_sel:DWORD
	v_lshrrev_b32_e32 v18, 3, v76
	s_mov_b32 s16, exec_lo
	v_cmpx_gt_u32_e32 8, v76
; %bb.751:                              ;   in Loop: Header=BB387_509 Depth=1
	v_ffbh_u32_e32 v18, v10
	v_min_u32_e32 v18, 32, v18
	v_subrev_nc_u32_e32 v21, 28, v18
	v_sub_nc_u32_e32 v18, 29, v18
	v_lshlrev_b64 v[76:77], v21, v[10:11]
	v_and_b32_e32 v10, 7, v76
; %bb.752:                              ;   in Loop: Header=BB387_509 Depth=1
	s_or_b32 exec_lo, exec_lo, s16
	v_lshlrev_b32_sdwa v19, v41, v19 dst_sel:DWORD dst_unused:UNUSED_PAD src0_sel:DWORD src1_sel:BYTE_3
	v_lshlrev_b32_e32 v10, 20, v10
	v_lshl_add_u32 v18, v18, 23, 0x3c000000
	v_and_b32_e32 v19, 0x80000000, v19
	v_or3_b32 v21, v10, v19, v18
.LBB387_753:                            ;   in Loop: Header=BB387_509 Depth=1
	s_or_b32 exec_lo, exec_lo, s15
.LBB387_754:                            ;   in Loop: Header=BB387_509 Depth=1
	s_or_b32 exec_lo, exec_lo, s14
.LBB387_755:                            ;   in Loop: Header=BB387_509 Depth=1
	s_or_b32 exec_lo, exec_lo, s13
	v_mul_f32_e32 v10, s6, v20
	v_mul_f32_e32 v18, s6, v74
	;; [unrolled: 1-line block ×5, first 2 shown]
	v_bfe_u32 v23, v10, 16, 1
	v_or_b32_e32 v73, 0x400000, v10
	v_bfe_u32 v74, v18, 16, 1
	v_cmp_u_f32_e64 s0, v10, v10
	v_or_b32_e32 v76, 0x400000, v18
	v_add3_u32 v23, v23, v10, 0x7fff
	v_bfe_u32 v77, v19, 16, 1
	v_add3_u32 v74, v74, v18, 0x7fff
	v_or_b32_e32 v78, 0x400000, v19
	v_bfe_u32 v79, v20, 16, 1
	v_cndmask_b32_e64 v10, v23, v73, s0
	v_cmp_u_f32_e64 s0, v18, v18
	v_add3_u32 v77, v77, v19, 0x7fff
	v_or_b32_e32 v23, 0x400000, v20
	v_mul_f32_e32 v21, s6, v21
	v_lshrrev_b32_e32 v73, 16, v10
	v_cndmask_b32_e64 v18, v74, v76, s0
	v_cmp_u_f32_e64 s0, v19, v19
	v_mul_f32_e32 v10, s6, v22
	v_add3_u32 v22, v79, v20, 0x7fff
	v_lshrrev_b32_e32 v74, 16, v18
	v_cndmask_b32_e64 v19, v77, v78, s0
	v_bfe_u32 v18, v10, 16, 1
	v_cmp_u_f32_e64 s0, v20, v20
	v_mul_f32_e32 v20, s6, v75
	v_or_b32_e32 v78, 0x400000, v21
	v_lshrrev_b32_e32 v76, 16, v19
	v_add3_u32 v18, v18, v10, 0x7fff
	v_cndmask_b32_e64 v19, v22, v23, s0
	v_or_b32_e32 v22, 0x400000, v10
	v_bfe_u32 v23, v0, 16, 1
	v_cmp_u_f32_e64 s0, v10, v10
	v_bfe_u32 v75, v20, 16, 1
	v_or_b32_e32 v77, 0x400000, v20
	v_cndmask_b32_e64 v10, v18, v22, s0
	v_add3_u32 v22, v23, v0, 0x7fff
	v_or_b32_e32 v23, 0x400000, v0
	v_cmp_u_f32_e64 s0, v0, v0
	v_bfe_u32 v18, v21, 16, 1
	v_add3_u32 v75, v75, v20, 0x7fff
	v_lshrrev_b32_e32 v80, 16, v10
	v_cndmask_b32_e64 v0, v22, v23, s0
	v_cmp_u_f32_e64 s0, v20, v20
	v_add3_u32 v18, v18, v21, 0x7fff
	v_lshrrev_b32_e32 v79, 16, v0
	v_cndmask_b32_e64 v20, v75, v77, s0
	v_cmp_u_f32_e64 s0, v21, v21
	v_lshrrev_b32_e32 v75, 16, v20
	v_cndmask_b32_e64 v18, v18, v78, s0
	v_lshrrev_b32_e32 v78, 16, v19
	v_lshrrev_b32_e32 v77, 16, v18
	s_and_saveexec_b32 s13, vcc_lo
	s_cbranch_execz .LBB387_757
; %bb.756:                              ;   in Loop: Header=BB387_509 Depth=1
	v_cmp_gt_i32_e64 s0, s29, v50
	v_cndmask_b32_e64 v79, 0, v79, s0
	v_cmp_gt_i32_e64 s0, s29, v61
	v_cndmask_b32_e64 v80, 0, v80, s0
	;; [unrolled: 2-line block ×8, first 2 shown]
.LBB387_757:                            ;   in Loop: Header=BB387_509 Depth=1
	s_or_b32 exec_lo, exec_lo, s13
	global_load_dwordx2 v[18:19], v[16:17], off offset:1024
	v_mov_b32_e32 v22, 0
	v_mov_b32_e32 v0, 0
	s_waitcnt vmcnt(0)
	v_cmp_ne_u16_sdwa s0, v18, v11 src0_sel:BYTE_0 src1_sel:DWORD
	s_and_saveexec_b32 s13, s0
	s_cbranch_execz .LBB387_763
; %bb.758:                              ;   in Loop: Header=BB387_509 Depth=1
	v_cmp_ne_u16_sdwa s0, v18, v37 src0_sel:BYTE_0 src1_sel:DWORD
	v_bfrev_b32_e32 v0, 1
	s_and_saveexec_b32 s14, s0
	s_cbranch_execz .LBB387_762
; %bb.759:                              ;   in Loop: Header=BB387_509 Depth=1
	v_and_b32_e32 v10, 0x7f, v18
	v_mov_b32_e32 v0, 0x7f800001
	s_mov_b32 s15, exec_lo
	v_cmpx_ne_u32_e32 0x7f, v10
	s_cbranch_execz .LBB387_761
; %bb.760:                              ;   in Loop: Header=BB387_509 Depth=1
	v_and_b32_e32 v0, 7, v18
	v_cmp_gt_u32_e64 s0, 8, v10
	v_lshrrev_b32_e32 v20, 3, v10
	v_ffbh_u32_e32 v0, v0
	v_min_u32_e32 v0, 32, v0
	v_subrev_nc_u32_e32 v21, 28, v0
	v_sub_nc_u32_e32 v0, 29, v0
	v_cndmask_b32_e64 v10, 0, v21, s0
	v_cndmask_b32_e64 v0, v20, v0, s0
	v_lshlrev_b64 v[20:21], v10, v[18:19]
	v_lshlrev_b32_e32 v10, 24, v18
	v_lshl_add_u32 v0, v0, 23, 0x3c000000
	v_and_b32_e32 v10, 0x80000000, v10
	v_lshlrev_b32_e32 v20, 20, v20
	v_and_b32_e32 v20, 0x700000, v20
	v_or3_b32 v0, v20, v10, v0
.LBB387_761:                            ;   in Loop: Header=BB387_509 Depth=1
	s_or_b32 exec_lo, exec_lo, s15
.LBB387_762:                            ;   in Loop: Header=BB387_509 Depth=1
	s_or_b32 exec_lo, exec_lo, s14
.LBB387_763:                            ;   in Loop: Header=BB387_509 Depth=1
	s_or_b32 exec_lo, exec_lo, s13
	v_cmp_ne_u16_sdwa s0, v18, v11 src0_sel:BYTE_1 src1_sel:DWORD
	s_and_saveexec_b32 s13, s0
	s_cbranch_execz .LBB387_771
; %bb.764:                              ;   in Loop: Header=BB387_509 Depth=1
	v_cmp_ne_u16_sdwa s0, v18, v37 src0_sel:BYTE_1 src1_sel:DWORD
	v_bfrev_b32_e32 v22, 1
	s_and_saveexec_b32 s14, s0
	s_cbranch_execz .LBB387_770
; %bb.765:                              ;   in Loop: Header=BB387_509 Depth=1
	v_and_b32_sdwa v10, v38, v18 dst_sel:DWORD dst_unused:UNUSED_PAD src0_sel:DWORD src1_sel:BYTE_1
	v_mov_b32_e32 v22, 0x7f800001
	s_mov_b32 s15, exec_lo
	v_and_b32_e32 v21, 0x7f, v10
	v_cmpx_ne_u32_e32 0x7f, v21
	s_cbranch_execz .LBB387_769
; %bb.766:                              ;   in Loop: Header=BB387_509 Depth=1
	v_and_b32_e32 v10, 7, v10
	v_lshrrev_b32_e32 v20, 3, v21
	s_mov_b32 s16, exec_lo
	v_cmpx_gt_u32_e32 8, v21
; %bb.767:                              ;   in Loop: Header=BB387_509 Depth=1
	v_ffbh_u32_e32 v20, v10
	v_min_u32_e32 v20, 32, v20
	v_subrev_nc_u32_e32 v21, 28, v20
	v_sub_nc_u32_e32 v20, 29, v20
	v_lshlrev_b64 v[21:22], v21, v[10:11]
	v_and_b32_e32 v10, 7, v21
; %bb.768:                              ;   in Loop: Header=BB387_509 Depth=1
	s_or_b32 exec_lo, exec_lo, s16
	v_lshlrev_b32_e32 v21, 16, v18
	v_lshlrev_b32_e32 v10, 20, v10
	v_lshl_add_u32 v20, v20, 23, 0x3c000000
	v_and_b32_e32 v21, 0x80000000, v21
	v_or3_b32 v22, v10, v21, v20
.LBB387_769:                            ;   in Loop: Header=BB387_509 Depth=1
	s_or_b32 exec_lo, exec_lo, s15
.LBB387_770:                            ;   in Loop: Header=BB387_509 Depth=1
	s_or_b32 exec_lo, exec_lo, s14
.LBB387_771:                            ;   in Loop: Header=BB387_509 Depth=1
	s_or_b32 exec_lo, exec_lo, s13
	v_and_b32_sdwa v10, v18, v39 dst_sel:DWORD dst_unused:UNUSED_PAD src0_sel:WORD_1 src1_sel:DWORD
	v_mov_b32_e32 v81, 0
	v_mov_b32_e32 v23, 0
	s_mov_b32 s13, exec_lo
	v_cmpx_ne_u16_e32 0, v10
	s_cbranch_execz .LBB387_779
; %bb.772:                              ;   in Loop: Header=BB387_509 Depth=1
	v_bfrev_b32_e32 v23, 1
	s_mov_b32 s14, exec_lo
	v_cmpx_ne_u16_e32 0x80, v10
	s_cbranch_execz .LBB387_778
; %bb.773:                              ;   in Loop: Header=BB387_509 Depth=1
	v_bfe_u32 v21, v18, 16, 7
	v_mov_b32_e32 v23, 0x7f800001
	s_mov_b32 s15, exec_lo
	v_cmpx_ne_u32_e32 0x7f, v21
	s_cbranch_execz .LBB387_777
; %bb.774:                              ;   in Loop: Header=BB387_509 Depth=1
	v_and_b32_sdwa v10, v18, v40 dst_sel:DWORD dst_unused:UNUSED_PAD src0_sel:WORD_1 src1_sel:DWORD
	v_lshrrev_b32_e32 v20, 3, v21
	s_mov_b32 s16, exec_lo
	v_cmpx_gt_u32_e32 8, v21
; %bb.775:                              ;   in Loop: Header=BB387_509 Depth=1
	v_ffbh_u32_e32 v20, v10
	v_min_u32_e32 v20, 32, v20
	v_subrev_nc_u32_e32 v21, 28, v20
	v_sub_nc_u32_e32 v20, 29, v20
	v_lshlrev_b64 v[82:83], v21, v[10:11]
	v_and_b32_e32 v10, 7, v82
; %bb.776:                              ;   in Loop: Header=BB387_509 Depth=1
	s_or_b32 exec_lo, exec_lo, s16
	v_lshlrev_b32_sdwa v21, v41, v18 dst_sel:DWORD dst_unused:UNUSED_PAD src0_sel:DWORD src1_sel:WORD_1
	v_lshlrev_b32_e32 v10, 20, v10
	v_lshl_add_u32 v20, v20, 23, 0x3c000000
	v_and_b32_e32 v21, 0x80000000, v21
	v_or3_b32 v23, v10, v21, v20
.LBB387_777:                            ;   in Loop: Header=BB387_509 Depth=1
	s_or_b32 exec_lo, exec_lo, s15
.LBB387_778:                            ;   in Loop: Header=BB387_509 Depth=1
	s_or_b32 exec_lo, exec_lo, s14
.LBB387_779:                            ;   in Loop: Header=BB387_509 Depth=1
	s_or_b32 exec_lo, exec_lo, s13
	s_mov_b32 s13, exec_lo
	v_cmpx_lt_u32_e32 0xffffff, v18
	s_cbranch_execz .LBB387_787
; %bb.780:                              ;   in Loop: Header=BB387_509 Depth=1
	v_cmp_ne_u32_sdwa s0, v18, v37 src0_sel:BYTE_3 src1_sel:DWORD
	v_bfrev_b32_e32 v81, 1
	s_and_saveexec_b32 s14, s0
	s_cbranch_execz .LBB387_786
; %bb.781:                              ;   in Loop: Header=BB387_509 Depth=1
	v_bfe_u32 v21, v18, 24, 7
	v_mov_b32_e32 v81, 0x7f800001
	s_mov_b32 s15, exec_lo
	v_cmpx_ne_u32_e32 0x7f, v21
	s_cbranch_execz .LBB387_785
; %bb.782:                              ;   in Loop: Header=BB387_509 Depth=1
	v_and_b32_sdwa v10, v18, v40 dst_sel:DWORD dst_unused:UNUSED_PAD src0_sel:BYTE_3 src1_sel:DWORD
	v_lshrrev_b32_e32 v20, 3, v21
	s_mov_b32 s16, exec_lo
	v_cmpx_gt_u32_e32 8, v21
; %bb.783:                              ;   in Loop: Header=BB387_509 Depth=1
	v_ffbh_u32_e32 v20, v10
	v_min_u32_e32 v20, 32, v20
	v_subrev_nc_u32_e32 v21, 28, v20
	v_sub_nc_u32_e32 v20, 29, v20
	v_lshlrev_b64 v[81:82], v21, v[10:11]
	v_and_b32_e32 v10, 7, v81
; %bb.784:                              ;   in Loop: Header=BB387_509 Depth=1
	s_or_b32 exec_lo, exec_lo, s16
	v_lshlrev_b32_sdwa v21, v41, v18 dst_sel:DWORD dst_unused:UNUSED_PAD src0_sel:DWORD src1_sel:BYTE_3
	v_lshlrev_b32_e32 v10, 20, v10
	v_lshl_add_u32 v20, v20, 23, 0x3c000000
	v_and_b32_e32 v21, 0x80000000, v21
	v_or3_b32 v81, v10, v21, v20
.LBB387_785:                            ;   in Loop: Header=BB387_509 Depth=1
	s_or_b32 exec_lo, exec_lo, s15
.LBB387_786:                            ;   in Loop: Header=BB387_509 Depth=1
	s_or_b32 exec_lo, exec_lo, s14
.LBB387_787:                            ;   in Loop: Header=BB387_509 Depth=1
	s_or_b32 exec_lo, exec_lo, s13
	v_mov_b32_e32 v10, v19
	v_cmp_ne_u16_sdwa s0, v19, v11 src0_sel:BYTE_0 src1_sel:DWORD
	v_mov_b32_e32 v20, 0
	v_mov_b32_e32 v82, 0
	s_and_saveexec_b32 s13, s0
	s_cbranch_execz .LBB387_793
; %bb.788:                              ;   in Loop: Header=BB387_509 Depth=1
	v_cmp_ne_u16_sdwa s0, v19, v37 src0_sel:BYTE_0 src1_sel:DWORD
	v_bfrev_b32_e32 v82, 1
	s_and_saveexec_b32 s14, s0
	s_cbranch_execz .LBB387_792
; %bb.789:                              ;   in Loop: Header=BB387_509 Depth=1
	v_and_b32_e32 v21, 0x7f, v19
	v_mov_b32_e32 v82, 0x7f800001
	s_mov_b32 s15, exec_lo
	v_cmpx_ne_u32_e32 0x7f, v21
	s_cbranch_execz .LBB387_791
; %bb.790:                              ;   in Loop: Header=BB387_509 Depth=1
	v_and_b32_e32 v82, 7, v19
	v_lshrrev_b32_e32 v83, 3, v21
	v_cmp_gt_u32_e64 s0, 8, v21
	v_ffbh_u32_e32 v82, v82
	v_min_u32_e32 v82, 32, v82
	v_subrev_nc_u32_e32 v84, 28, v82
	v_sub_nc_u32_e32 v82, 29, v82
	v_cndmask_b32_e64 v21, v83, v82, s0
	v_cndmask_b32_e64 v82, 0, v84, s0
	v_lshl_add_u32 v21, v21, 23, 0x3c000000
	v_lshlrev_b64 v[82:83], v82, v[10:11]
	v_lshlrev_b32_e32 v83, 24, v10
	v_lshlrev_b32_e32 v82, 20, v82
	v_and_b32_e32 v83, 0x80000000, v83
	v_and_b32_e32 v82, 0x700000, v82
	v_or3_b32 v82, v82, v83, v21
.LBB387_791:                            ;   in Loop: Header=BB387_509 Depth=1
	s_or_b32 exec_lo, exec_lo, s15
.LBB387_792:                            ;   in Loop: Header=BB387_509 Depth=1
	s_or_b32 exec_lo, exec_lo, s14
.LBB387_793:                            ;   in Loop: Header=BB387_509 Depth=1
	s_or_b32 exec_lo, exec_lo, s13
	v_cmp_ne_u16_sdwa s0, v10, v11 src0_sel:BYTE_1 src1_sel:DWORD
	s_and_saveexec_b32 s13, s0
	s_cbranch_execz .LBB387_801
; %bb.794:                              ;   in Loop: Header=BB387_509 Depth=1
	v_cmp_ne_u16_sdwa s0, v10, v37 src0_sel:BYTE_1 src1_sel:DWORD
	v_bfrev_b32_e32 v20, 1
	s_and_saveexec_b32 s14, s0
	s_cbranch_execz .LBB387_800
; %bb.795:                              ;   in Loop: Header=BB387_509 Depth=1
	v_and_b32_sdwa v21, v38, v10 dst_sel:DWORD dst_unused:UNUSED_PAD src0_sel:DWORD src1_sel:BYTE_1
	v_mov_b32_e32 v20, 0x7f800001
	s_mov_b32 s15, exec_lo
	v_and_b32_e32 v84, 0x7f, v21
	v_cmpx_ne_u32_e32 0x7f, v84
	s_cbranch_execz .LBB387_799
; %bb.796:                              ;   in Loop: Header=BB387_509 Depth=1
	v_and_b32_e32 v20, 7, v21
	v_mov_b32_e32 v21, v11
	v_lshrrev_b32_e32 v83, 3, v84
	s_mov_b32 s16, exec_lo
	v_cmpx_gt_u32_e32 8, v84
; %bb.797:                              ;   in Loop: Header=BB387_509 Depth=1
	v_ffbh_u32_e32 v83, v20
	v_min_u32_e32 v83, 32, v83
	v_subrev_nc_u32_e32 v84, 28, v83
	v_sub_nc_u32_e32 v83, 29, v83
	v_lshlrev_b64 v[20:21], v84, v[20:21]
	v_and_b32_e32 v20, 7, v20
; %bb.798:                              ;   in Loop: Header=BB387_509 Depth=1
	s_or_b32 exec_lo, exec_lo, s16
	v_lshlrev_b32_e32 v10, 16, v10
	v_lshlrev_b32_e32 v20, 20, v20
	v_lshl_add_u32 v21, v83, 23, 0x3c000000
	v_and_b32_e32 v10, 0x80000000, v10
	v_or3_b32 v20, v20, v10, v21
.LBB387_799:                            ;   in Loop: Header=BB387_509 Depth=1
	s_or_b32 exec_lo, exec_lo, s15
.LBB387_800:                            ;   in Loop: Header=BB387_509 Depth=1
	s_or_b32 exec_lo, exec_lo, s14
.LBB387_801:                            ;   in Loop: Header=BB387_509 Depth=1
	s_or_b32 exec_lo, exec_lo, s13
	v_and_b32_sdwa v10, v19, v39 dst_sel:DWORD dst_unused:UNUSED_PAD src0_sel:WORD_1 src1_sel:DWORD
	v_mov_b32_e32 v21, 0
	v_mov_b32_e32 v83, 0
	s_mov_b32 s13, exec_lo
	v_cmpx_ne_u16_e32 0, v10
	s_cbranch_execz .LBB387_809
; %bb.802:                              ;   in Loop: Header=BB387_509 Depth=1
	v_bfrev_b32_e32 v83, 1
	s_mov_b32 s14, exec_lo
	v_cmpx_ne_u16_e32 0x80, v10
	s_cbranch_execz .LBB387_808
; %bb.803:                              ;   in Loop: Header=BB387_509 Depth=1
	v_bfe_u32 v84, v19, 16, 7
	v_mov_b32_e32 v83, 0x7f800001
	s_mov_b32 s15, exec_lo
	v_cmpx_ne_u32_e32 0x7f, v84
	s_cbranch_execz .LBB387_807
; %bb.804:                              ;   in Loop: Header=BB387_509 Depth=1
	v_and_b32_sdwa v10, v19, v40 dst_sel:DWORD dst_unused:UNUSED_PAD src0_sel:WORD_1 src1_sel:DWORD
	v_lshrrev_b32_e32 v83, 3, v84
	s_mov_b32 s16, exec_lo
	v_cmpx_gt_u32_e32 8, v84
; %bb.805:                              ;   in Loop: Header=BB387_509 Depth=1
	v_ffbh_u32_e32 v83, v10
	v_min_u32_e32 v83, 32, v83
	v_subrev_nc_u32_e32 v84, 28, v83
	v_sub_nc_u32_e32 v83, 29, v83
	v_lshlrev_b64 v[84:85], v84, v[10:11]
	v_and_b32_e32 v10, 7, v84
; %bb.806:                              ;   in Loop: Header=BB387_509 Depth=1
	s_or_b32 exec_lo, exec_lo, s16
	v_lshlrev_b32_sdwa v84, v41, v19 dst_sel:DWORD dst_unused:UNUSED_PAD src0_sel:DWORD src1_sel:WORD_1
	v_lshlrev_b32_e32 v10, 20, v10
	v_lshl_add_u32 v83, v83, 23, 0x3c000000
	v_and_b32_e32 v84, 0x80000000, v84
	v_or3_b32 v83, v10, v84, v83
.LBB387_807:                            ;   in Loop: Header=BB387_509 Depth=1
	s_or_b32 exec_lo, exec_lo, s15
.LBB387_808:                            ;   in Loop: Header=BB387_509 Depth=1
	s_or_b32 exec_lo, exec_lo, s14
.LBB387_809:                            ;   in Loop: Header=BB387_509 Depth=1
	s_or_b32 exec_lo, exec_lo, s13
	s_mov_b32 s13, exec_lo
	v_cmpx_lt_u64_e64 s[4:5], v[18:19]
	s_cbranch_execz .LBB387_817
; %bb.810:                              ;   in Loop: Header=BB387_509 Depth=1
	v_cmp_ne_u32_sdwa s0, v19, v37 src0_sel:BYTE_3 src1_sel:DWORD
	v_bfrev_b32_e32 v21, 1
	s_and_saveexec_b32 s14, s0
	s_cbranch_execz .LBB387_816
; %bb.811:                              ;   in Loop: Header=BB387_509 Depth=1
	v_bfe_u32 v84, v19, 24, 7
	v_mov_b32_e32 v21, 0x7f800001
	s_mov_b32 s15, exec_lo
	v_cmpx_ne_u32_e32 0x7f, v84
	s_cbranch_execz .LBB387_815
; %bb.812:                              ;   in Loop: Header=BB387_509 Depth=1
	v_and_b32_sdwa v10, v19, v40 dst_sel:DWORD dst_unused:UNUSED_PAD src0_sel:BYTE_3 src1_sel:DWORD
	v_lshrrev_b32_e32 v18, 3, v84
	s_mov_b32 s16, exec_lo
	v_cmpx_gt_u32_e32 8, v84
; %bb.813:                              ;   in Loop: Header=BB387_509 Depth=1
	v_ffbh_u32_e32 v18, v10
	v_min_u32_e32 v18, 32, v18
	v_subrev_nc_u32_e32 v21, 28, v18
	v_sub_nc_u32_e32 v18, 29, v18
	v_lshlrev_b64 v[84:85], v21, v[10:11]
	v_and_b32_e32 v10, 7, v84
; %bb.814:                              ;   in Loop: Header=BB387_509 Depth=1
	s_or_b32 exec_lo, exec_lo, s16
	v_lshlrev_b32_sdwa v19, v41, v19 dst_sel:DWORD dst_unused:UNUSED_PAD src0_sel:DWORD src1_sel:BYTE_3
	v_lshlrev_b32_e32 v10, 20, v10
	v_lshl_add_u32 v18, v18, 23, 0x3c000000
	v_and_b32_e32 v19, 0x80000000, v19
	v_or3_b32 v21, v10, v19, v18
.LBB387_815:                            ;   in Loop: Header=BB387_509 Depth=1
	s_or_b32 exec_lo, exec_lo, s15
.LBB387_816:                            ;   in Loop: Header=BB387_509 Depth=1
	s_or_b32 exec_lo, exec_lo, s14
.LBB387_817:                            ;   in Loop: Header=BB387_509 Depth=1
	s_or_b32 exec_lo, exec_lo, s13
	v_mul_f32_e32 v10, s6, v20
	v_mul_f32_e32 v18, s6, v82
	;; [unrolled: 1-line block ×5, first 2 shown]
	v_bfe_u32 v23, v10, 16, 1
	v_or_b32_e32 v81, 0x400000, v10
	v_bfe_u32 v82, v18, 16, 1
	v_cmp_u_f32_e64 s0, v10, v10
	v_or_b32_e32 v84, 0x400000, v18
	v_add3_u32 v23, v23, v10, 0x7fff
	v_bfe_u32 v85, v19, 16, 1
	v_add3_u32 v82, v82, v18, 0x7fff
	v_or_b32_e32 v86, 0x400000, v19
	v_bfe_u32 v87, v20, 16, 1
	v_cndmask_b32_e64 v10, v23, v81, s0
	v_cmp_u_f32_e64 s0, v18, v18
	v_add3_u32 v85, v85, v19, 0x7fff
	v_or_b32_e32 v23, 0x400000, v20
	v_mul_f32_e32 v21, s6, v21
	v_lshrrev_b32_e32 v81, 16, v10
	v_cndmask_b32_e64 v18, v82, v84, s0
	v_cmp_u_f32_e64 s0, v19, v19
	v_mul_f32_e32 v10, s6, v22
	v_add3_u32 v22, v87, v20, 0x7fff
	v_lshrrev_b32_e32 v82, 16, v18
	v_cndmask_b32_e64 v19, v85, v86, s0
	v_bfe_u32 v18, v10, 16, 1
	v_cmp_u_f32_e64 s0, v20, v20
	v_mul_f32_e32 v20, s6, v83
	v_or_b32_e32 v86, 0x400000, v21
	v_lshrrev_b32_e32 v84, 16, v19
	v_add3_u32 v18, v18, v10, 0x7fff
	v_cndmask_b32_e64 v19, v22, v23, s0
	v_or_b32_e32 v22, 0x400000, v10
	v_bfe_u32 v23, v0, 16, 1
	v_cmp_u_f32_e64 s0, v10, v10
	v_bfe_u32 v83, v20, 16, 1
	v_or_b32_e32 v85, 0x400000, v20
	v_cndmask_b32_e64 v10, v18, v22, s0
	v_add3_u32 v22, v23, v0, 0x7fff
	v_or_b32_e32 v23, 0x400000, v0
	v_cmp_u_f32_e64 s0, v0, v0
	v_bfe_u32 v18, v21, 16, 1
	v_add3_u32 v83, v83, v20, 0x7fff
	v_lshrrev_b32_e32 v88, 16, v10
	v_cndmask_b32_e64 v0, v22, v23, s0
	v_cmp_u_f32_e64 s0, v20, v20
	v_add3_u32 v18, v18, v21, 0x7fff
	v_lshrrev_b32_e32 v87, 16, v0
	v_cndmask_b32_e64 v20, v83, v85, s0
	v_cmp_u_f32_e64 s0, v21, v21
	v_lshrrev_b32_e32 v83, 16, v20
	v_cndmask_b32_e64 v18, v18, v86, s0
	v_lshrrev_b32_e32 v86, 16, v19
	v_lshrrev_b32_e32 v85, 16, v18
	s_and_saveexec_b32 s13, vcc_lo
	s_cbranch_execz .LBB387_819
; %bb.818:                              ;   in Loop: Header=BB387_509 Depth=1
	v_cmp_gt_i32_e64 s0, s29, v50
	v_cndmask_b32_e64 v87, 0, v87, s0
	v_cmp_gt_i32_e64 s0, s29, v61
	v_cndmask_b32_e64 v88, 0, v88, s0
	;; [unrolled: 2-line block ×8, first 2 shown]
.LBB387_819:                            ;   in Loop: Header=BB387_509 Depth=1
	s_or_b32 exec_lo, exec_lo, s13
	global_load_dwordx2 v[18:19], v[16:17], off offset:1280
	v_mov_b32_e32 v0, 0
	v_mov_b32_e32 v23, 0
	s_waitcnt vmcnt(0)
	v_cmp_ne_u16_sdwa s0, v18, v11 src0_sel:BYTE_0 src1_sel:DWORD
	s_and_saveexec_b32 s13, s0
	s_cbranch_execz .LBB387_825
; %bb.820:                              ;   in Loop: Header=BB387_509 Depth=1
	v_cmp_ne_u16_sdwa s0, v18, v37 src0_sel:BYTE_0 src1_sel:DWORD
	v_bfrev_b32_e32 v23, 1
	s_and_saveexec_b32 s14, s0
	s_cbranch_execz .LBB387_824
; %bb.821:                              ;   in Loop: Header=BB387_509 Depth=1
	v_and_b32_e32 v10, 0x7f, v18
	v_mov_b32_e32 v23, 0x7f800001
	s_mov_b32 s15, exec_lo
	v_cmpx_ne_u32_e32 0x7f, v10
	s_cbranch_execz .LBB387_823
; %bb.822:                              ;   in Loop: Header=BB387_509 Depth=1
	v_and_b32_e32 v20, 7, v18
	v_lshrrev_b32_e32 v21, 3, v10
	v_cmp_gt_u32_e64 s0, 8, v10
	v_ffbh_u32_e32 v20, v20
	v_min_u32_e32 v20, 32, v20
	v_subrev_nc_u32_e32 v22, 28, v20
	v_sub_nc_u32_e32 v20, 29, v20
	v_cndmask_b32_e64 v10, v21, v20, s0
	v_cndmask_b32_e64 v20, 0, v22, s0
	v_lshl_add_u32 v10, v10, 23, 0x3c000000
	v_lshlrev_b64 v[20:21], v20, v[18:19]
	v_lshlrev_b32_e32 v21, 24, v18
	v_lshlrev_b32_e32 v20, 20, v20
	v_and_b32_e32 v21, 0x80000000, v21
	v_and_b32_e32 v20, 0x700000, v20
	v_or3_b32 v23, v20, v21, v10
.LBB387_823:                            ;   in Loop: Header=BB387_509 Depth=1
	s_or_b32 exec_lo, exec_lo, s15
.LBB387_824:                            ;   in Loop: Header=BB387_509 Depth=1
	s_or_b32 exec_lo, exec_lo, s14
.LBB387_825:                            ;   in Loop: Header=BB387_509 Depth=1
	s_or_b32 exec_lo, exec_lo, s13
	v_cmp_ne_u16_sdwa s0, v18, v11 src0_sel:BYTE_1 src1_sel:DWORD
	s_and_saveexec_b32 s13, s0
	s_cbranch_execz .LBB387_833
; %bb.826:                              ;   in Loop: Header=BB387_509 Depth=1
	v_cmp_ne_u16_sdwa s0, v18, v37 src0_sel:BYTE_1 src1_sel:DWORD
	v_bfrev_b32_e32 v0, 1
	s_and_saveexec_b32 s14, s0
	s_cbranch_execz .LBB387_832
; %bb.827:                              ;   in Loop: Header=BB387_509 Depth=1
	v_and_b32_sdwa v10, v38, v18 dst_sel:DWORD dst_unused:UNUSED_PAD src0_sel:DWORD src1_sel:BYTE_1
	v_mov_b32_e32 v0, 0x7f800001
	s_mov_b32 s15, exec_lo
	v_and_b32_e32 v20, 0x7f, v10
	v_cmpx_ne_u32_e32 0x7f, v20
	s_cbranch_execz .LBB387_831
; %bb.828:                              ;   in Loop: Header=BB387_509 Depth=1
	v_and_b32_e32 v10, 7, v10
	v_lshrrev_b32_e32 v0, 3, v20
	s_mov_b32 s16, exec_lo
	v_cmpx_gt_u32_e32 8, v20
; %bb.829:                              ;   in Loop: Header=BB387_509 Depth=1
	v_ffbh_u32_e32 v0, v10
	v_min_u32_e32 v0, 32, v0
	v_subrev_nc_u32_e32 v20, 28, v0
	v_sub_nc_u32_e32 v0, 29, v0
	v_lshlrev_b64 v[20:21], v20, v[10:11]
	v_and_b32_e32 v10, 7, v20
; %bb.830:                              ;   in Loop: Header=BB387_509 Depth=1
	s_or_b32 exec_lo, exec_lo, s16
	v_lshlrev_b32_e32 v20, 16, v18
	v_lshlrev_b32_e32 v10, 20, v10
	v_lshl_add_u32 v0, v0, 23, 0x3c000000
	v_and_b32_e32 v20, 0x80000000, v20
	v_or3_b32 v0, v10, v20, v0
.LBB387_831:                            ;   in Loop: Header=BB387_509 Depth=1
	s_or_b32 exec_lo, exec_lo, s15
.LBB387_832:                            ;   in Loop: Header=BB387_509 Depth=1
	s_or_b32 exec_lo, exec_lo, s14
.LBB387_833:                            ;   in Loop: Header=BB387_509 Depth=1
	s_or_b32 exec_lo, exec_lo, s13
	v_and_b32_sdwa v10, v18, v39 dst_sel:DWORD dst_unused:UNUSED_PAD src0_sel:WORD_1 src1_sel:DWORD
	v_mov_b32_e32 v89, 0
	v_mov_b32_e32 v22, 0
	s_mov_b32 s13, exec_lo
	v_cmpx_ne_u16_e32 0, v10
	s_cbranch_execz .LBB387_841
; %bb.834:                              ;   in Loop: Header=BB387_509 Depth=1
	v_bfrev_b32_e32 v22, 1
	s_mov_b32 s14, exec_lo
	v_cmpx_ne_u16_e32 0x80, v10
	s_cbranch_execz .LBB387_840
; %bb.835:                              ;   in Loop: Header=BB387_509 Depth=1
	v_bfe_u32 v21, v18, 16, 7
	v_mov_b32_e32 v22, 0x7f800001
	s_mov_b32 s15, exec_lo
	v_cmpx_ne_u32_e32 0x7f, v21
	s_cbranch_execz .LBB387_839
; %bb.836:                              ;   in Loop: Header=BB387_509 Depth=1
	v_and_b32_sdwa v10, v18, v40 dst_sel:DWORD dst_unused:UNUSED_PAD src0_sel:WORD_1 src1_sel:DWORD
	v_lshrrev_b32_e32 v20, 3, v21
	s_mov_b32 s16, exec_lo
	v_cmpx_gt_u32_e32 8, v21
; %bb.837:                              ;   in Loop: Header=BB387_509 Depth=1
	v_ffbh_u32_e32 v20, v10
	v_min_u32_e32 v20, 32, v20
	v_subrev_nc_u32_e32 v21, 28, v20
	v_sub_nc_u32_e32 v20, 29, v20
	v_lshlrev_b64 v[21:22], v21, v[10:11]
	v_and_b32_e32 v10, 7, v21
; %bb.838:                              ;   in Loop: Header=BB387_509 Depth=1
	s_or_b32 exec_lo, exec_lo, s16
	v_lshlrev_b32_sdwa v21, v41, v18 dst_sel:DWORD dst_unused:UNUSED_PAD src0_sel:DWORD src1_sel:WORD_1
	v_lshlrev_b32_e32 v10, 20, v10
	v_lshl_add_u32 v20, v20, 23, 0x3c000000
	v_and_b32_e32 v21, 0x80000000, v21
	v_or3_b32 v22, v10, v21, v20
.LBB387_839:                            ;   in Loop: Header=BB387_509 Depth=1
	s_or_b32 exec_lo, exec_lo, s15
.LBB387_840:                            ;   in Loop: Header=BB387_509 Depth=1
	s_or_b32 exec_lo, exec_lo, s14
.LBB387_841:                            ;   in Loop: Header=BB387_509 Depth=1
	s_or_b32 exec_lo, exec_lo, s13
	s_mov_b32 s13, exec_lo
	v_cmpx_lt_u32_e32 0xffffff, v18
	s_cbranch_execz .LBB387_849
; %bb.842:                              ;   in Loop: Header=BB387_509 Depth=1
	v_cmp_ne_u32_sdwa s0, v18, v37 src0_sel:BYTE_3 src1_sel:DWORD
	v_bfrev_b32_e32 v89, 1
	s_and_saveexec_b32 s14, s0
	s_cbranch_execz .LBB387_848
; %bb.843:                              ;   in Loop: Header=BB387_509 Depth=1
	v_bfe_u32 v21, v18, 24, 7
	v_mov_b32_e32 v89, 0x7f800001
	s_mov_b32 s15, exec_lo
	v_cmpx_ne_u32_e32 0x7f, v21
	s_cbranch_execz .LBB387_847
; %bb.844:                              ;   in Loop: Header=BB387_509 Depth=1
	v_and_b32_sdwa v10, v18, v40 dst_sel:DWORD dst_unused:UNUSED_PAD src0_sel:BYTE_3 src1_sel:DWORD
	v_lshrrev_b32_e32 v20, 3, v21
	s_mov_b32 s16, exec_lo
	v_cmpx_gt_u32_e32 8, v21
; %bb.845:                              ;   in Loop: Header=BB387_509 Depth=1
	v_ffbh_u32_e32 v20, v10
	v_min_u32_e32 v20, 32, v20
	v_subrev_nc_u32_e32 v21, 28, v20
	v_sub_nc_u32_e32 v20, 29, v20
	v_lshlrev_b64 v[89:90], v21, v[10:11]
	v_and_b32_e32 v10, 7, v89
; %bb.846:                              ;   in Loop: Header=BB387_509 Depth=1
	s_or_b32 exec_lo, exec_lo, s16
	v_lshlrev_b32_sdwa v21, v41, v18 dst_sel:DWORD dst_unused:UNUSED_PAD src0_sel:DWORD src1_sel:BYTE_3
	v_lshlrev_b32_e32 v10, 20, v10
	v_lshl_add_u32 v20, v20, 23, 0x3c000000
	v_and_b32_e32 v21, 0x80000000, v21
	v_or3_b32 v89, v10, v21, v20
.LBB387_847:                            ;   in Loop: Header=BB387_509 Depth=1
	s_or_b32 exec_lo, exec_lo, s15
.LBB387_848:                            ;   in Loop: Header=BB387_509 Depth=1
	s_or_b32 exec_lo, exec_lo, s14
.LBB387_849:                            ;   in Loop: Header=BB387_509 Depth=1
	s_or_b32 exec_lo, exec_lo, s13
	v_mov_b32_e32 v10, v19
	v_cmp_ne_u16_sdwa s0, v19, v11 src0_sel:BYTE_0 src1_sel:DWORD
	v_mov_b32_e32 v20, 0
	v_mov_b32_e32 v90, 0
	s_and_saveexec_b32 s13, s0
	s_cbranch_execz .LBB387_855
; %bb.850:                              ;   in Loop: Header=BB387_509 Depth=1
	v_cmp_ne_u16_sdwa s0, v19, v37 src0_sel:BYTE_0 src1_sel:DWORD
	v_bfrev_b32_e32 v90, 1
	s_and_saveexec_b32 s14, s0
	s_cbranch_execz .LBB387_854
; %bb.851:                              ;   in Loop: Header=BB387_509 Depth=1
	v_and_b32_e32 v21, 0x7f, v19
	v_mov_b32_e32 v90, 0x7f800001
	s_mov_b32 s15, exec_lo
	v_cmpx_ne_u32_e32 0x7f, v21
	s_cbranch_execz .LBB387_853
; %bb.852:                              ;   in Loop: Header=BB387_509 Depth=1
	v_and_b32_e32 v90, 7, v19
	v_lshrrev_b32_e32 v91, 3, v21
	v_cmp_gt_u32_e64 s0, 8, v21
	v_ffbh_u32_e32 v90, v90
	v_min_u32_e32 v90, 32, v90
	v_subrev_nc_u32_e32 v92, 28, v90
	v_sub_nc_u32_e32 v90, 29, v90
	v_cndmask_b32_e64 v21, v91, v90, s0
	v_cndmask_b32_e64 v90, 0, v92, s0
	v_lshl_add_u32 v21, v21, 23, 0x3c000000
	v_lshlrev_b64 v[90:91], v90, v[10:11]
	v_lshlrev_b32_e32 v91, 24, v10
	v_lshlrev_b32_e32 v90, 20, v90
	v_and_b32_e32 v91, 0x80000000, v91
	v_and_b32_e32 v90, 0x700000, v90
	v_or3_b32 v90, v90, v91, v21
.LBB387_853:                            ;   in Loop: Header=BB387_509 Depth=1
	s_or_b32 exec_lo, exec_lo, s15
.LBB387_854:                            ;   in Loop: Header=BB387_509 Depth=1
	s_or_b32 exec_lo, exec_lo, s14
.LBB387_855:                            ;   in Loop: Header=BB387_509 Depth=1
	s_or_b32 exec_lo, exec_lo, s13
	v_cmp_ne_u16_sdwa s0, v10, v11 src0_sel:BYTE_1 src1_sel:DWORD
	s_and_saveexec_b32 s13, s0
	s_cbranch_execz .LBB387_863
; %bb.856:                              ;   in Loop: Header=BB387_509 Depth=1
	v_cmp_ne_u16_sdwa s0, v10, v37 src0_sel:BYTE_1 src1_sel:DWORD
	v_bfrev_b32_e32 v20, 1
	s_and_saveexec_b32 s14, s0
	s_cbranch_execz .LBB387_862
; %bb.857:                              ;   in Loop: Header=BB387_509 Depth=1
	v_and_b32_sdwa v21, v38, v10 dst_sel:DWORD dst_unused:UNUSED_PAD src0_sel:DWORD src1_sel:BYTE_1
	v_mov_b32_e32 v20, 0x7f800001
	s_mov_b32 s15, exec_lo
	v_and_b32_e32 v92, 0x7f, v21
	v_cmpx_ne_u32_e32 0x7f, v92
	s_cbranch_execz .LBB387_861
; %bb.858:                              ;   in Loop: Header=BB387_509 Depth=1
	v_and_b32_e32 v20, 7, v21
	v_mov_b32_e32 v21, v11
	v_lshrrev_b32_e32 v91, 3, v92
	s_mov_b32 s16, exec_lo
	v_cmpx_gt_u32_e32 8, v92
; %bb.859:                              ;   in Loop: Header=BB387_509 Depth=1
	v_ffbh_u32_e32 v91, v20
	v_min_u32_e32 v91, 32, v91
	v_subrev_nc_u32_e32 v92, 28, v91
	v_sub_nc_u32_e32 v91, 29, v91
	v_lshlrev_b64 v[20:21], v92, v[20:21]
	v_and_b32_e32 v20, 7, v20
; %bb.860:                              ;   in Loop: Header=BB387_509 Depth=1
	s_or_b32 exec_lo, exec_lo, s16
	v_lshlrev_b32_e32 v10, 16, v10
	v_lshlrev_b32_e32 v20, 20, v20
	v_lshl_add_u32 v21, v91, 23, 0x3c000000
	v_and_b32_e32 v10, 0x80000000, v10
	v_or3_b32 v20, v20, v10, v21
.LBB387_861:                            ;   in Loop: Header=BB387_509 Depth=1
	s_or_b32 exec_lo, exec_lo, s15
.LBB387_862:                            ;   in Loop: Header=BB387_509 Depth=1
	s_or_b32 exec_lo, exec_lo, s14
.LBB387_863:                            ;   in Loop: Header=BB387_509 Depth=1
	s_or_b32 exec_lo, exec_lo, s13
	v_and_b32_sdwa v10, v19, v39 dst_sel:DWORD dst_unused:UNUSED_PAD src0_sel:WORD_1 src1_sel:DWORD
	v_mov_b32_e32 v21, 0
	v_mov_b32_e32 v91, 0
	s_mov_b32 s13, exec_lo
	v_cmpx_ne_u16_e32 0, v10
	s_cbranch_execz .LBB387_871
; %bb.864:                              ;   in Loop: Header=BB387_509 Depth=1
	v_bfrev_b32_e32 v91, 1
	s_mov_b32 s14, exec_lo
	v_cmpx_ne_u16_e32 0x80, v10
	s_cbranch_execz .LBB387_870
; %bb.865:                              ;   in Loop: Header=BB387_509 Depth=1
	v_bfe_u32 v92, v19, 16, 7
	v_mov_b32_e32 v91, 0x7f800001
	s_mov_b32 s15, exec_lo
	v_cmpx_ne_u32_e32 0x7f, v92
	s_cbranch_execz .LBB387_869
; %bb.866:                              ;   in Loop: Header=BB387_509 Depth=1
	v_and_b32_sdwa v10, v19, v40 dst_sel:DWORD dst_unused:UNUSED_PAD src0_sel:WORD_1 src1_sel:DWORD
	v_lshrrev_b32_e32 v91, 3, v92
	s_mov_b32 s16, exec_lo
	v_cmpx_gt_u32_e32 8, v92
; %bb.867:                              ;   in Loop: Header=BB387_509 Depth=1
	v_ffbh_u32_e32 v91, v10
	v_min_u32_e32 v91, 32, v91
	v_subrev_nc_u32_e32 v92, 28, v91
	v_sub_nc_u32_e32 v91, 29, v91
	v_lshlrev_b64 v[92:93], v92, v[10:11]
	v_and_b32_e32 v10, 7, v92
; %bb.868:                              ;   in Loop: Header=BB387_509 Depth=1
	s_or_b32 exec_lo, exec_lo, s16
	v_lshlrev_b32_sdwa v92, v41, v19 dst_sel:DWORD dst_unused:UNUSED_PAD src0_sel:DWORD src1_sel:WORD_1
	v_lshlrev_b32_e32 v10, 20, v10
	v_lshl_add_u32 v91, v91, 23, 0x3c000000
	v_and_b32_e32 v92, 0x80000000, v92
	v_or3_b32 v91, v10, v92, v91
.LBB387_869:                            ;   in Loop: Header=BB387_509 Depth=1
	s_or_b32 exec_lo, exec_lo, s15
.LBB387_870:                            ;   in Loop: Header=BB387_509 Depth=1
	s_or_b32 exec_lo, exec_lo, s14
.LBB387_871:                            ;   in Loop: Header=BB387_509 Depth=1
	s_or_b32 exec_lo, exec_lo, s13
	s_mov_b32 s13, exec_lo
	v_cmpx_lt_u64_e64 s[4:5], v[18:19]
	s_cbranch_execz .LBB387_879
; %bb.872:                              ;   in Loop: Header=BB387_509 Depth=1
	v_cmp_ne_u32_sdwa s0, v19, v37 src0_sel:BYTE_3 src1_sel:DWORD
	v_bfrev_b32_e32 v21, 1
	s_and_saveexec_b32 s14, s0
	s_cbranch_execz .LBB387_878
; %bb.873:                              ;   in Loop: Header=BB387_509 Depth=1
	v_bfe_u32 v92, v19, 24, 7
	v_mov_b32_e32 v21, 0x7f800001
	s_mov_b32 s15, exec_lo
	v_cmpx_ne_u32_e32 0x7f, v92
	s_cbranch_execz .LBB387_877
; %bb.874:                              ;   in Loop: Header=BB387_509 Depth=1
	v_and_b32_sdwa v10, v19, v40 dst_sel:DWORD dst_unused:UNUSED_PAD src0_sel:BYTE_3 src1_sel:DWORD
	v_lshrrev_b32_e32 v18, 3, v92
	s_mov_b32 s16, exec_lo
	v_cmpx_gt_u32_e32 8, v92
; %bb.875:                              ;   in Loop: Header=BB387_509 Depth=1
	v_ffbh_u32_e32 v18, v10
	v_min_u32_e32 v18, 32, v18
	v_subrev_nc_u32_e32 v21, 28, v18
	v_sub_nc_u32_e32 v18, 29, v18
	v_lshlrev_b64 v[92:93], v21, v[10:11]
	v_and_b32_e32 v10, 7, v92
; %bb.876:                              ;   in Loop: Header=BB387_509 Depth=1
	s_or_b32 exec_lo, exec_lo, s16
	v_lshlrev_b32_sdwa v19, v41, v19 dst_sel:DWORD dst_unused:UNUSED_PAD src0_sel:DWORD src1_sel:BYTE_3
	v_lshlrev_b32_e32 v10, 20, v10
	v_lshl_add_u32 v18, v18, 23, 0x3c000000
	v_and_b32_e32 v19, 0x80000000, v19
	v_or3_b32 v21, v10, v19, v18
.LBB387_877:                            ;   in Loop: Header=BB387_509 Depth=1
	s_or_b32 exec_lo, exec_lo, s15
.LBB387_878:                            ;   in Loop: Header=BB387_509 Depth=1
	s_or_b32 exec_lo, exec_lo, s14
.LBB387_879:                            ;   in Loop: Header=BB387_509 Depth=1
	s_or_b32 exec_lo, exec_lo, s13
	v_mul_f32_e32 v10, s6, v20
	v_mul_f32_e32 v18, s6, v90
	v_mul_f32_e32 v20, s6, v22
	v_mul_f32_e32 v19, s6, v89
	v_mul_f32_e32 v21, s6, v21
	v_bfe_u32 v22, v10, 16, 1
	v_or_b32_e32 v89, 0x400000, v10
	v_bfe_u32 v90, v18, 16, 1
	v_cmp_u_f32_e64 s0, v10, v10
	v_or_b32_e32 v92, 0x400000, v18
	v_add3_u32 v22, v22, v10, 0x7fff
	v_bfe_u32 v93, v19, 16, 1
	v_add3_u32 v90, v90, v18, 0x7fff
	v_or_b32_e32 v94, 0x400000, v19
	v_bfe_u32 v95, v20, 16, 1
	v_cndmask_b32_e64 v10, v22, v89, s0
	v_cmp_u_f32_e64 s0, v18, v18
	v_add3_u32 v93, v93, v19, 0x7fff
	v_lshrrev_b32_e32 v22, 16, v10
	v_cndmask_b32_e64 v18, v90, v92, s0
	v_cmp_u_f32_e64 s0, v19, v19
	v_mul_f32_e32 v10, s6, v0
	v_add3_u32 v90, v95, v20, 0x7fff
	v_or_b32_e32 v92, 0x400000, v20
	v_lshrrev_b32_e32 v0, 16, v18
	v_cndmask_b32_e64 v19, v93, v94, s0
	v_bfe_u32 v18, v10, 16, 1
	v_cmp_u_f32_e64 s0, v20, v20
	v_mul_f32_e32 v20, s6, v23
	v_mul_f32_e32 v23, s6, v91
	v_lshrrev_b32_e32 v89, 16, v19
	v_add3_u32 v18, v18, v10, 0x7fff
	v_cndmask_b32_e64 v19, v90, v92, s0
	v_or_b32_e32 v90, 0x400000, v10
	v_bfe_u32 v91, v20, 16, 1
	v_cmp_u_f32_e64 s0, v10, v10
	v_bfe_u32 v92, v23, 16, 1
	v_or_b32_e32 v93, 0x400000, v23
	v_or_b32_e32 v94, 0x400000, v21
	v_cndmask_b32_e64 v10, v18, v90, s0
	v_add3_u32 v90, v91, v20, 0x7fff
	v_or_b32_e32 v91, 0x400000, v20
	v_cmp_u_f32_e64 s0, v20, v20
	v_bfe_u32 v18, v21, 16, 1
	v_add3_u32 v92, v92, v23, 0x7fff
	v_cndmask_b32_e64 v20, v90, v91, s0
	v_cmp_u_f32_e64 s0, v23, v23
	v_add3_u32 v18, v18, v21, 0x7fff
	v_lshrrev_b32_e32 v91, 16, v19
	v_cndmask_b32_e64 v23, v92, v93, s0
	v_cmp_u_f32_e64 s0, v21, v21
	v_lshrrev_b32_e32 v93, 16, v10
	v_lshrrev_b32_e32 v92, 16, v20
	;; [unrolled: 1-line block ×3, first 2 shown]
	v_cndmask_b32_e64 v18, v18, v94, s0
	v_lshrrev_b32_e32 v90, 16, v18
	s_and_saveexec_b32 s13, vcc_lo
	s_cbranch_execz .LBB387_881
; %bb.880:                              ;   in Loop: Header=BB387_509 Depth=1
	v_cmp_gt_i32_e64 s0, s29, v50
	v_cndmask_b32_e64 v92, 0, v92, s0
	v_cmp_gt_i32_e64 s0, s29, v61
	v_cndmask_b32_e64 v93, 0, v93, s0
	;; [unrolled: 2-line block ×8, first 2 shown]
.LBB387_881:                            ;   in Loop: Header=BB387_509 Depth=1
	s_or_b32 exec_lo, exec_lo, s13
	global_load_dwordx2 v[18:19], v[16:17], off offset:1536
	v_mov_b32_e32 v96, 0
	v_mov_b32_e32 v94, 0
	s_waitcnt vmcnt(0)
	v_cmp_ne_u16_sdwa s0, v18, v11 src0_sel:BYTE_0 src1_sel:DWORD
	s_and_saveexec_b32 s13, s0
	s_cbranch_execz .LBB387_887
; %bb.882:                              ;   in Loop: Header=BB387_509 Depth=1
	v_cmp_ne_u16_sdwa s0, v18, v37 src0_sel:BYTE_0 src1_sel:DWORD
	v_bfrev_b32_e32 v94, 1
	s_and_saveexec_b32 s14, s0
	s_cbranch_execz .LBB387_886
; %bb.883:                              ;   in Loop: Header=BB387_509 Depth=1
	v_and_b32_e32 v10, 0x7f, v18
	v_mov_b32_e32 v94, 0x7f800001
	s_mov_b32 s15, exec_lo
	v_cmpx_ne_u32_e32 0x7f, v10
	s_cbranch_execz .LBB387_885
; %bb.884:                              ;   in Loop: Header=BB387_509 Depth=1
	v_and_b32_e32 v20, 7, v18
	v_lshrrev_b32_e32 v21, 3, v10
	v_cmp_gt_u32_e64 s0, 8, v10
	v_ffbh_u32_e32 v20, v20
	v_min_u32_e32 v20, 32, v20
	v_subrev_nc_u32_e32 v94, 28, v20
	v_sub_nc_u32_e32 v20, 29, v20
	v_cndmask_b32_e64 v10, v21, v20, s0
	v_cndmask_b32_e64 v20, 0, v94, s0
	v_lshl_add_u32 v10, v10, 23, 0x3c000000
	v_lshlrev_b64 v[20:21], v20, v[18:19]
	v_lshlrev_b32_e32 v21, 24, v18
	v_lshlrev_b32_e32 v20, 20, v20
	v_and_b32_e32 v21, 0x80000000, v21
	v_and_b32_e32 v20, 0x700000, v20
	v_or3_b32 v94, v20, v21, v10
.LBB387_885:                            ;   in Loop: Header=BB387_509 Depth=1
	s_or_b32 exec_lo, exec_lo, s15
.LBB387_886:                            ;   in Loop: Header=BB387_509 Depth=1
	s_or_b32 exec_lo, exec_lo, s14
.LBB387_887:                            ;   in Loop: Header=BB387_509 Depth=1
	s_or_b32 exec_lo, exec_lo, s13
	v_cmp_ne_u16_sdwa s0, v18, v11 src0_sel:BYTE_1 src1_sel:DWORD
	s_and_saveexec_b32 s13, s0
	s_cbranch_execz .LBB387_895
; %bb.888:                              ;   in Loop: Header=BB387_509 Depth=1
	v_cmp_ne_u16_sdwa s0, v18, v37 src0_sel:BYTE_1 src1_sel:DWORD
	v_bfrev_b32_e32 v96, 1
	s_and_saveexec_b32 s14, s0
	s_cbranch_execz .LBB387_894
; %bb.889:                              ;   in Loop: Header=BB387_509 Depth=1
	v_and_b32_sdwa v10, v38, v18 dst_sel:DWORD dst_unused:UNUSED_PAD src0_sel:DWORD src1_sel:BYTE_1
	v_mov_b32_e32 v96, 0x7f800001
	s_mov_b32 s15, exec_lo
	v_and_b32_e32 v21, 0x7f, v10
	v_cmpx_ne_u32_e32 0x7f, v21
	s_cbranch_execz .LBB387_893
; %bb.890:                              ;   in Loop: Header=BB387_509 Depth=1
	v_and_b32_e32 v10, 7, v10
	v_lshrrev_b32_e32 v20, 3, v21
	s_mov_b32 s16, exec_lo
	v_cmpx_gt_u32_e32 8, v21
; %bb.891:                              ;   in Loop: Header=BB387_509 Depth=1
	v_ffbh_u32_e32 v20, v10
	v_min_u32_e32 v20, 32, v20
	v_subrev_nc_u32_e32 v21, 28, v20
	v_sub_nc_u32_e32 v20, 29, v20
	v_lshlrev_b64 v[95:96], v21, v[10:11]
	v_and_b32_e32 v10, 7, v95
; %bb.892:                              ;   in Loop: Header=BB387_509 Depth=1
	s_or_b32 exec_lo, exec_lo, s16
	v_lshlrev_b32_e32 v21, 16, v18
	v_lshlrev_b32_e32 v10, 20, v10
	v_lshl_add_u32 v20, v20, 23, 0x3c000000
	v_and_b32_e32 v21, 0x80000000, v21
	v_or3_b32 v96, v10, v21, v20
.LBB387_893:                            ;   in Loop: Header=BB387_509 Depth=1
	s_or_b32 exec_lo, exec_lo, s15
.LBB387_894:                            ;   in Loop: Header=BB387_509 Depth=1
	s_or_b32 exec_lo, exec_lo, s14
.LBB387_895:                            ;   in Loop: Header=BB387_509 Depth=1
	s_or_b32 exec_lo, exec_lo, s13
	v_and_b32_sdwa v10, v18, v39 dst_sel:DWORD dst_unused:UNUSED_PAD src0_sel:WORD_1 src1_sel:DWORD
	v_mov_b32_e32 v97, 0
	v_mov_b32_e32 v95, 0
	s_mov_b32 s13, exec_lo
	v_cmpx_ne_u16_e32 0, v10
	s_cbranch_execz .LBB387_903
; %bb.896:                              ;   in Loop: Header=BB387_509 Depth=1
	v_bfrev_b32_e32 v95, 1
	s_mov_b32 s14, exec_lo
	v_cmpx_ne_u16_e32 0x80, v10
	s_cbranch_execz .LBB387_902
; %bb.897:                              ;   in Loop: Header=BB387_509 Depth=1
	v_bfe_u32 v21, v18, 16, 7
	v_mov_b32_e32 v95, 0x7f800001
	s_mov_b32 s15, exec_lo
	v_cmpx_ne_u32_e32 0x7f, v21
	s_cbranch_execz .LBB387_901
; %bb.898:                              ;   in Loop: Header=BB387_509 Depth=1
	v_and_b32_sdwa v10, v18, v40 dst_sel:DWORD dst_unused:UNUSED_PAD src0_sel:WORD_1 src1_sel:DWORD
	v_lshrrev_b32_e32 v20, 3, v21
	s_mov_b32 s16, exec_lo
	v_cmpx_gt_u32_e32 8, v21
; %bb.899:                              ;   in Loop: Header=BB387_509 Depth=1
	v_ffbh_u32_e32 v20, v10
	v_min_u32_e32 v20, 32, v20
	v_subrev_nc_u32_e32 v21, 28, v20
	v_sub_nc_u32_e32 v20, 29, v20
	v_lshlrev_b64 v[98:99], v21, v[10:11]
	v_and_b32_e32 v10, 7, v98
; %bb.900:                              ;   in Loop: Header=BB387_509 Depth=1
	s_or_b32 exec_lo, exec_lo, s16
	v_lshlrev_b32_sdwa v21, v41, v18 dst_sel:DWORD dst_unused:UNUSED_PAD src0_sel:DWORD src1_sel:WORD_1
	v_lshlrev_b32_e32 v10, 20, v10
	v_lshl_add_u32 v20, v20, 23, 0x3c000000
	v_and_b32_e32 v21, 0x80000000, v21
	v_or3_b32 v95, v10, v21, v20
.LBB387_901:                            ;   in Loop: Header=BB387_509 Depth=1
	s_or_b32 exec_lo, exec_lo, s15
.LBB387_902:                            ;   in Loop: Header=BB387_509 Depth=1
	s_or_b32 exec_lo, exec_lo, s14
.LBB387_903:                            ;   in Loop: Header=BB387_509 Depth=1
	s_or_b32 exec_lo, exec_lo, s13
	s_mov_b32 s13, exec_lo
	v_cmpx_lt_u32_e32 0xffffff, v18
	s_cbranch_execz .LBB387_911
; %bb.904:                              ;   in Loop: Header=BB387_509 Depth=1
	v_cmp_ne_u32_sdwa s0, v18, v37 src0_sel:BYTE_3 src1_sel:DWORD
	v_bfrev_b32_e32 v97, 1
	s_and_saveexec_b32 s14, s0
	s_cbranch_execz .LBB387_910
; %bb.905:                              ;   in Loop: Header=BB387_509 Depth=1
	v_bfe_u32 v21, v18, 24, 7
	v_mov_b32_e32 v97, 0x7f800001
	s_mov_b32 s15, exec_lo
	v_cmpx_ne_u32_e32 0x7f, v21
	s_cbranch_execz .LBB387_909
; %bb.906:                              ;   in Loop: Header=BB387_509 Depth=1
	v_and_b32_sdwa v10, v18, v40 dst_sel:DWORD dst_unused:UNUSED_PAD src0_sel:BYTE_3 src1_sel:DWORD
	v_lshrrev_b32_e32 v20, 3, v21
	s_mov_b32 s16, exec_lo
	v_cmpx_gt_u32_e32 8, v21
; %bb.907:                              ;   in Loop: Header=BB387_509 Depth=1
	v_ffbh_u32_e32 v20, v10
	v_min_u32_e32 v20, 32, v20
	v_subrev_nc_u32_e32 v21, 28, v20
	v_sub_nc_u32_e32 v20, 29, v20
	v_lshlrev_b64 v[97:98], v21, v[10:11]
	v_and_b32_e32 v10, 7, v97
; %bb.908:                              ;   in Loop: Header=BB387_509 Depth=1
	s_or_b32 exec_lo, exec_lo, s16
	v_lshlrev_b32_sdwa v21, v41, v18 dst_sel:DWORD dst_unused:UNUSED_PAD src0_sel:DWORD src1_sel:BYTE_3
	v_lshlrev_b32_e32 v10, 20, v10
	v_lshl_add_u32 v20, v20, 23, 0x3c000000
	v_and_b32_e32 v21, 0x80000000, v21
	v_or3_b32 v97, v10, v21, v20
.LBB387_909:                            ;   in Loop: Header=BB387_509 Depth=1
	s_or_b32 exec_lo, exec_lo, s15
.LBB387_910:                            ;   in Loop: Header=BB387_509 Depth=1
	s_or_b32 exec_lo, exec_lo, s14
.LBB387_911:                            ;   in Loop: Header=BB387_509 Depth=1
	s_or_b32 exec_lo, exec_lo, s13
	v_mov_b32_e32 v10, v19
	v_cmp_ne_u16_sdwa s0, v19, v11 src0_sel:BYTE_0 src1_sel:DWORD
	v_mov_b32_e32 v20, 0
	v_mov_b32_e32 v98, 0
	s_and_saveexec_b32 s13, s0
	s_cbranch_execz .LBB387_917
; %bb.912:                              ;   in Loop: Header=BB387_509 Depth=1
	v_cmp_ne_u16_sdwa s0, v19, v37 src0_sel:BYTE_0 src1_sel:DWORD
	v_bfrev_b32_e32 v98, 1
	s_and_saveexec_b32 s14, s0
	s_cbranch_execz .LBB387_916
; %bb.913:                              ;   in Loop: Header=BB387_509 Depth=1
	v_and_b32_e32 v21, 0x7f, v19
	v_mov_b32_e32 v98, 0x7f800001
	s_mov_b32 s15, exec_lo
	v_cmpx_ne_u32_e32 0x7f, v21
	s_cbranch_execz .LBB387_915
; %bb.914:                              ;   in Loop: Header=BB387_509 Depth=1
	v_and_b32_e32 v98, 7, v19
	v_lshrrev_b32_e32 v99, 3, v21
	v_cmp_gt_u32_e64 s0, 8, v21
	v_ffbh_u32_e32 v98, v98
	v_min_u32_e32 v98, 32, v98
	v_subrev_nc_u32_e32 v100, 28, v98
	v_sub_nc_u32_e32 v98, 29, v98
	v_cndmask_b32_e64 v21, v99, v98, s0
	v_cndmask_b32_e64 v98, 0, v100, s0
	v_lshl_add_u32 v21, v21, 23, 0x3c000000
	v_lshlrev_b64 v[98:99], v98, v[10:11]
	v_lshlrev_b32_e32 v99, 24, v10
	v_lshlrev_b32_e32 v98, 20, v98
	v_and_b32_e32 v99, 0x80000000, v99
	v_and_b32_e32 v98, 0x700000, v98
	v_or3_b32 v98, v98, v99, v21
.LBB387_915:                            ;   in Loop: Header=BB387_509 Depth=1
	s_or_b32 exec_lo, exec_lo, s15
.LBB387_916:                            ;   in Loop: Header=BB387_509 Depth=1
	s_or_b32 exec_lo, exec_lo, s14
.LBB387_917:                            ;   in Loop: Header=BB387_509 Depth=1
	s_or_b32 exec_lo, exec_lo, s13
	v_cmp_ne_u16_sdwa s0, v10, v11 src0_sel:BYTE_1 src1_sel:DWORD
	s_and_saveexec_b32 s13, s0
	s_cbranch_execz .LBB387_925
; %bb.918:                              ;   in Loop: Header=BB387_509 Depth=1
	v_cmp_ne_u16_sdwa s0, v10, v37 src0_sel:BYTE_1 src1_sel:DWORD
	v_bfrev_b32_e32 v20, 1
	s_and_saveexec_b32 s14, s0
	s_cbranch_execz .LBB387_924
; %bb.919:                              ;   in Loop: Header=BB387_509 Depth=1
	v_and_b32_sdwa v21, v38, v10 dst_sel:DWORD dst_unused:UNUSED_PAD src0_sel:DWORD src1_sel:BYTE_1
	v_mov_b32_e32 v20, 0x7f800001
	s_mov_b32 s15, exec_lo
	v_and_b32_e32 v100, 0x7f, v21
	v_cmpx_ne_u32_e32 0x7f, v100
	s_cbranch_execz .LBB387_923
; %bb.920:                              ;   in Loop: Header=BB387_509 Depth=1
	v_and_b32_e32 v20, 7, v21
	v_mov_b32_e32 v21, v11
	v_lshrrev_b32_e32 v99, 3, v100
	s_mov_b32 s16, exec_lo
	v_cmpx_gt_u32_e32 8, v100
; %bb.921:                              ;   in Loop: Header=BB387_509 Depth=1
	v_ffbh_u32_e32 v99, v20
	v_min_u32_e32 v99, 32, v99
	v_subrev_nc_u32_e32 v100, 28, v99
	v_sub_nc_u32_e32 v99, 29, v99
	v_lshlrev_b64 v[20:21], v100, v[20:21]
	v_and_b32_e32 v20, 7, v20
; %bb.922:                              ;   in Loop: Header=BB387_509 Depth=1
	s_or_b32 exec_lo, exec_lo, s16
	v_lshlrev_b32_e32 v10, 16, v10
	v_lshlrev_b32_e32 v20, 20, v20
	v_lshl_add_u32 v21, v99, 23, 0x3c000000
	v_and_b32_e32 v10, 0x80000000, v10
	v_or3_b32 v20, v20, v10, v21
.LBB387_923:                            ;   in Loop: Header=BB387_509 Depth=1
	s_or_b32 exec_lo, exec_lo, s15
.LBB387_924:                            ;   in Loop: Header=BB387_509 Depth=1
	s_or_b32 exec_lo, exec_lo, s14
.LBB387_925:                            ;   in Loop: Header=BB387_509 Depth=1
	s_or_b32 exec_lo, exec_lo, s13
	v_and_b32_sdwa v10, v19, v39 dst_sel:DWORD dst_unused:UNUSED_PAD src0_sel:WORD_1 src1_sel:DWORD
	v_mov_b32_e32 v100, 0
	v_mov_b32_e32 v101, 0
	s_mov_b32 s13, exec_lo
	v_cmpx_ne_u16_e32 0, v10
	s_cbranch_execz .LBB387_933
; %bb.926:                              ;   in Loop: Header=BB387_509 Depth=1
	v_bfrev_b32_e32 v101, 1
	s_mov_b32 s14, exec_lo
	v_cmpx_ne_u16_e32 0x80, v10
	s_cbranch_execz .LBB387_932
; %bb.927:                              ;   in Loop: Header=BB387_509 Depth=1
	v_bfe_u32 v99, v19, 16, 7
	v_mov_b32_e32 v101, 0x7f800001
	s_mov_b32 s15, exec_lo
	v_cmpx_ne_u32_e32 0x7f, v99
	s_cbranch_execz .LBB387_931
; %bb.928:                              ;   in Loop: Header=BB387_509 Depth=1
	v_and_b32_sdwa v10, v19, v40 dst_sel:DWORD dst_unused:UNUSED_PAD src0_sel:WORD_1 src1_sel:DWORD
	v_lshrrev_b32_e32 v21, 3, v99
	s_mov_b32 s16, exec_lo
	v_cmpx_gt_u32_e32 8, v99
; %bb.929:                              ;   in Loop: Header=BB387_509 Depth=1
	v_ffbh_u32_e32 v21, v10
	v_min_u32_e32 v21, 32, v21
	v_subrev_nc_u32_e32 v99, 28, v21
	v_sub_nc_u32_e32 v21, 29, v21
	v_lshlrev_b64 v[101:102], v99, v[10:11]
	v_and_b32_e32 v10, 7, v101
; %bb.930:                              ;   in Loop: Header=BB387_509 Depth=1
	s_or_b32 exec_lo, exec_lo, s16
	v_lshlrev_b32_sdwa v99, v41, v19 dst_sel:DWORD dst_unused:UNUSED_PAD src0_sel:DWORD src1_sel:WORD_1
	v_lshlrev_b32_e32 v10, 20, v10
	v_lshl_add_u32 v21, v21, 23, 0x3c000000
	v_and_b32_e32 v99, 0x80000000, v99
	v_or3_b32 v101, v10, v99, v21
.LBB387_931:                            ;   in Loop: Header=BB387_509 Depth=1
	s_or_b32 exec_lo, exec_lo, s15
.LBB387_932:                            ;   in Loop: Header=BB387_509 Depth=1
	s_or_b32 exec_lo, exec_lo, s14
.LBB387_933:                            ;   in Loop: Header=BB387_509 Depth=1
	s_or_b32 exec_lo, exec_lo, s13
	s_mov_b32 s13, exec_lo
	v_cmpx_lt_u64_e64 s[4:5], v[18:19]
	s_cbranch_execz .LBB387_941
; %bb.934:                              ;   in Loop: Header=BB387_509 Depth=1
	v_cmp_ne_u32_sdwa s0, v19, v37 src0_sel:BYTE_3 src1_sel:DWORD
	v_bfrev_b32_e32 v100, 1
	s_and_saveexec_b32 s14, s0
	s_cbranch_execz .LBB387_940
; %bb.935:                              ;   in Loop: Header=BB387_509 Depth=1
	v_bfe_u32 v21, v19, 24, 7
	v_mov_b32_e32 v100, 0x7f800001
	s_mov_b32 s15, exec_lo
	v_cmpx_ne_u32_e32 0x7f, v21
	s_cbranch_execz .LBB387_939
; %bb.936:                              ;   in Loop: Header=BB387_509 Depth=1
	v_and_b32_sdwa v10, v19, v40 dst_sel:DWORD dst_unused:UNUSED_PAD src0_sel:BYTE_3 src1_sel:DWORD
	v_lshrrev_b32_e32 v18, 3, v21
	s_mov_b32 s16, exec_lo
	v_cmpx_gt_u32_e32 8, v21
; %bb.937:                              ;   in Loop: Header=BB387_509 Depth=1
	v_ffbh_u32_e32 v18, v10
	v_min_u32_e32 v18, 32, v18
	v_subrev_nc_u32_e32 v21, 28, v18
	v_sub_nc_u32_e32 v18, 29, v18
	v_lshlrev_b64 v[99:100], v21, v[10:11]
	v_and_b32_e32 v10, 7, v99
; %bb.938:                              ;   in Loop: Header=BB387_509 Depth=1
	s_or_b32 exec_lo, exec_lo, s16
	v_lshlrev_b32_sdwa v19, v41, v19 dst_sel:DWORD dst_unused:UNUSED_PAD src0_sel:DWORD src1_sel:BYTE_3
	v_lshlrev_b32_e32 v10, 20, v10
	v_lshl_add_u32 v18, v18, 23, 0x3c000000
	v_and_b32_e32 v19, 0x80000000, v19
	v_or3_b32 v100, v10, v19, v18
.LBB387_939:                            ;   in Loop: Header=BB387_509 Depth=1
	s_or_b32 exec_lo, exec_lo, s15
.LBB387_940:                            ;   in Loop: Header=BB387_509 Depth=1
	s_or_b32 exec_lo, exec_lo, s14
.LBB387_941:                            ;   in Loop: Header=BB387_509 Depth=1
	s_or_b32 exec_lo, exec_lo, s13
	v_mul_f32_e32 v10, s6, v20
	v_mul_f32_e32 v18, s6, v98
	v_mul_f32_e32 v19, s6, v97
	v_mul_f32_e32 v20, s6, v95
	v_bfe_u32 v21, v10, 16, 1
	v_or_b32_e32 v95, 0x400000, v10
	v_bfe_u32 v97, v18, 16, 1
	v_cmp_u_f32_e64 s0, v10, v10
	v_or_b32_e32 v98, 0x400000, v18
	v_add3_u32 v21, v21, v10, 0x7fff
	v_bfe_u32 v99, v19, 16, 1
	v_add3_u32 v97, v97, v18, 0x7fff
	v_or_b32_e32 v102, 0x400000, v19
	v_bfe_u32 v103, v20, 16, 1
	v_cndmask_b32_e64 v10, v21, v95, s0
	v_cmp_u_f32_e64 s0, v18, v18
	v_add3_u32 v99, v99, v19, 0x7fff
	v_lshrrev_b32_e32 v95, 16, v10
	v_cndmask_b32_e64 v18, v97, v98, s0
	v_cmp_u_f32_e64 s0, v19, v19
	v_mul_f32_e32 v10, s6, v96
	v_add3_u32 v96, v103, v20, 0x7fff
	v_or_b32_e32 v97, 0x400000, v20
	v_lshrrev_b32_e32 v21, 16, v18
	v_cndmask_b32_e64 v19, v99, v102, s0
	v_bfe_u32 v18, v10, 16, 1
	v_cmp_u_f32_e64 s0, v20, v20
	v_mul_f32_e32 v20, s6, v94
	v_mul_f32_e32 v94, s6, v101
	v_lshrrev_b32_e32 v99, 16, v19
	v_add3_u32 v18, v18, v10, 0x7fff
	v_cndmask_b32_e64 v19, v96, v97, s0
	v_or_b32_e32 v96, 0x400000, v10
	v_bfe_u32 v98, v20, 16, 1
	v_cmp_u_f32_e64 s0, v10, v10
	v_mul_f32_e32 v97, s6, v100
	v_bfe_u32 v100, v94, 16, 1
	v_or_b32_e32 v101, 0x400000, v94
	v_cndmask_b32_e64 v10, v18, v96, s0
	v_add3_u32 v96, v98, v20, 0x7fff
	v_or_b32_e32 v98, 0x400000, v20
	v_cmp_u_f32_e64 s0, v20, v20
	v_bfe_u32 v18, v97, 16, 1
	v_add3_u32 v100, v100, v94, 0x7fff
	v_or_b32_e32 v102, 0x400000, v97
	v_cndmask_b32_e64 v20, v96, v98, s0
	v_cmp_u_f32_e64 s0, v94, v94
	v_add3_u32 v18, v18, v97, 0x7fff
	v_cndmask_b32_e64 v94, v100, v101, s0
	v_cmp_u_f32_e64 s0, v97, v97
	v_lshrrev_b32_e32 v100, 16, v19
	v_lshrrev_b32_e32 v101, 16, v20
	v_lshrrev_b32_e32 v97, 16, v94
	v_cndmask_b32_e64 v18, v18, v102, s0
	v_lshrrev_b32_e32 v102, 16, v10
	v_lshrrev_b32_e32 v98, 16, v18
	s_and_saveexec_b32 s13, vcc_lo
	s_cbranch_execz .LBB387_943
; %bb.942:                              ;   in Loop: Header=BB387_509 Depth=1
	v_cmp_gt_i32_e64 s0, s29, v50
	v_cndmask_b32_e64 v101, 0, v101, s0
	v_cmp_gt_i32_e64 s0, s29, v61
	v_cndmask_b32_e64 v102, 0, v102, s0
	;; [unrolled: 2-line block ×8, first 2 shown]
.LBB387_943:                            ;   in Loop: Header=BB387_509 Depth=1
	s_or_b32 exec_lo, exec_lo, s13
	global_load_dwordx2 v[16:17], v[16:17], off offset:1792
	v_mov_b32_e32 v94, 0
	v_mov_b32_e32 v20, 0
	s_waitcnt vmcnt(0)
	v_cmp_ne_u16_sdwa s0, v16, v11 src0_sel:BYTE_0 src1_sel:DWORD
	s_and_saveexec_b32 s13, s0
	s_cbranch_execz .LBB387_949
; %bb.944:                              ;   in Loop: Header=BB387_509 Depth=1
	v_cmp_ne_u16_sdwa s0, v16, v37 src0_sel:BYTE_0 src1_sel:DWORD
	v_bfrev_b32_e32 v20, 1
	s_and_saveexec_b32 s14, s0
	s_cbranch_execz .LBB387_948
; %bb.945:                              ;   in Loop: Header=BB387_509 Depth=1
	v_and_b32_e32 v10, 0x7f, v16
	v_mov_b32_e32 v20, 0x7f800001
	s_mov_b32 s15, exec_lo
	v_cmpx_ne_u32_e32 0x7f, v10
	s_cbranch_execz .LBB387_947
; %bb.946:                              ;   in Loop: Header=BB387_509 Depth=1
	v_and_b32_e32 v18, 7, v16
	v_lshrrev_b32_e32 v19, 3, v10
	v_cmp_gt_u32_e64 s0, 8, v10
	v_ffbh_u32_e32 v18, v18
	v_min_u32_e32 v18, 32, v18
	v_subrev_nc_u32_e32 v20, 28, v18
	v_sub_nc_u32_e32 v18, 29, v18
	v_cndmask_b32_e64 v10, v19, v18, s0
	v_cndmask_b32_e64 v18, 0, v20, s0
	v_lshl_add_u32 v10, v10, 23, 0x3c000000
	v_lshlrev_b64 v[18:19], v18, v[16:17]
	v_lshlrev_b32_e32 v19, 24, v16
	v_lshlrev_b32_e32 v18, 20, v18
	v_and_b32_e32 v19, 0x80000000, v19
	v_and_b32_e32 v18, 0x700000, v18
	v_or3_b32 v20, v18, v19, v10
.LBB387_947:                            ;   in Loop: Header=BB387_509 Depth=1
	s_or_b32 exec_lo, exec_lo, s15
.LBB387_948:                            ;   in Loop: Header=BB387_509 Depth=1
	s_or_b32 exec_lo, exec_lo, s14
.LBB387_949:                            ;   in Loop: Header=BB387_509 Depth=1
	s_or_b32 exec_lo, exec_lo, s13
	v_cmp_ne_u16_sdwa s0, v16, v11 src0_sel:BYTE_1 src1_sel:DWORD
	s_and_saveexec_b32 s13, s0
	s_cbranch_execz .LBB387_957
; %bb.950:                              ;   in Loop: Header=BB387_509 Depth=1
	v_cmp_ne_u16_sdwa s0, v16, v37 src0_sel:BYTE_1 src1_sel:DWORD
	v_bfrev_b32_e32 v94, 1
	s_and_saveexec_b32 s14, s0
	s_cbranch_execz .LBB387_956
; %bb.951:                              ;   in Loop: Header=BB387_509 Depth=1
	v_and_b32_sdwa v10, v38, v16 dst_sel:DWORD dst_unused:UNUSED_PAD src0_sel:DWORD src1_sel:BYTE_1
	v_mov_b32_e32 v94, 0x7f800001
	s_mov_b32 s15, exec_lo
	v_and_b32_e32 v19, 0x7f, v10
	v_cmpx_ne_u32_e32 0x7f, v19
	s_cbranch_execz .LBB387_955
; %bb.952:                              ;   in Loop: Header=BB387_509 Depth=1
	v_and_b32_e32 v10, 7, v10
	v_lshrrev_b32_e32 v18, 3, v19
	s_mov_b32 s16, exec_lo
	v_cmpx_gt_u32_e32 8, v19
; %bb.953:                              ;   in Loop: Header=BB387_509 Depth=1
	v_ffbh_u32_e32 v18, v10
	v_min_u32_e32 v18, 32, v18
	v_subrev_nc_u32_e32 v19, 28, v18
	v_sub_nc_u32_e32 v18, 29, v18
	v_lshlrev_b64 v[103:104], v19, v[10:11]
	v_and_b32_e32 v10, 7, v103
; %bb.954:                              ;   in Loop: Header=BB387_509 Depth=1
	s_or_b32 exec_lo, exec_lo, s16
	v_lshlrev_b32_e32 v19, 16, v16
	v_lshlrev_b32_e32 v10, 20, v10
	v_lshl_add_u32 v18, v18, 23, 0x3c000000
	v_and_b32_e32 v19, 0x80000000, v19
	v_or3_b32 v94, v10, v19, v18
.LBB387_955:                            ;   in Loop: Header=BB387_509 Depth=1
	s_or_b32 exec_lo, exec_lo, s15
.LBB387_956:                            ;   in Loop: Header=BB387_509 Depth=1
	s_or_b32 exec_lo, exec_lo, s14
.LBB387_957:                            ;   in Loop: Header=BB387_509 Depth=1
	s_or_b32 exec_lo, exec_lo, s13
	v_and_b32_sdwa v10, v16, v39 dst_sel:DWORD dst_unused:UNUSED_PAD src0_sel:WORD_1 src1_sel:DWORD
	v_mov_b32_e32 v103, 0
	v_mov_b32_e32 v96, 0
	s_mov_b32 s13, exec_lo
	v_cmpx_ne_u16_e32 0, v10
	s_cbranch_execz .LBB387_965
; %bb.958:                              ;   in Loop: Header=BB387_509 Depth=1
	v_bfrev_b32_e32 v96, 1
	s_mov_b32 s14, exec_lo
	v_cmpx_ne_u16_e32 0x80, v10
	s_cbranch_execz .LBB387_964
; %bb.959:                              ;   in Loop: Header=BB387_509 Depth=1
	v_bfe_u32 v19, v16, 16, 7
	v_mov_b32_e32 v96, 0x7f800001
	s_mov_b32 s15, exec_lo
	v_cmpx_ne_u32_e32 0x7f, v19
	s_cbranch_execz .LBB387_963
; %bb.960:                              ;   in Loop: Header=BB387_509 Depth=1
	v_and_b32_sdwa v10, v16, v40 dst_sel:DWORD dst_unused:UNUSED_PAD src0_sel:WORD_1 src1_sel:DWORD
	v_lshrrev_b32_e32 v18, 3, v19
	s_mov_b32 s16, exec_lo
	v_cmpx_gt_u32_e32 8, v19
; %bb.961:                              ;   in Loop: Header=BB387_509 Depth=1
	v_ffbh_u32_e32 v18, v10
	v_min_u32_e32 v18, 32, v18
	v_subrev_nc_u32_e32 v19, 28, v18
	v_sub_nc_u32_e32 v18, 29, v18
	v_lshlrev_b64 v[104:105], v19, v[10:11]
	v_and_b32_e32 v10, 7, v104
; %bb.962:                              ;   in Loop: Header=BB387_509 Depth=1
	s_or_b32 exec_lo, exec_lo, s16
	v_lshlrev_b32_sdwa v19, v41, v16 dst_sel:DWORD dst_unused:UNUSED_PAD src0_sel:DWORD src1_sel:WORD_1
	v_lshlrev_b32_e32 v10, 20, v10
	v_lshl_add_u32 v18, v18, 23, 0x3c000000
	v_and_b32_e32 v19, 0x80000000, v19
	v_or3_b32 v96, v10, v19, v18
.LBB387_963:                            ;   in Loop: Header=BB387_509 Depth=1
	s_or_b32 exec_lo, exec_lo, s15
.LBB387_964:                            ;   in Loop: Header=BB387_509 Depth=1
	s_or_b32 exec_lo, exec_lo, s14
.LBB387_965:                            ;   in Loop: Header=BB387_509 Depth=1
	s_or_b32 exec_lo, exec_lo, s13
	s_mov_b32 s13, exec_lo
	v_cmpx_lt_u32_e32 0xffffff, v16
	s_cbranch_execz .LBB387_973
; %bb.966:                              ;   in Loop: Header=BB387_509 Depth=1
	v_cmp_ne_u32_sdwa s0, v16, v37 src0_sel:BYTE_3 src1_sel:DWORD
	v_bfrev_b32_e32 v103, 1
	s_and_saveexec_b32 s14, s0
	s_cbranch_execz .LBB387_972
; %bb.967:                              ;   in Loop: Header=BB387_509 Depth=1
	v_bfe_u32 v19, v16, 24, 7
	v_mov_b32_e32 v103, 0x7f800001
	s_mov_b32 s15, exec_lo
	v_cmpx_ne_u32_e32 0x7f, v19
	s_cbranch_execz .LBB387_971
; %bb.968:                              ;   in Loop: Header=BB387_509 Depth=1
	v_and_b32_sdwa v10, v16, v40 dst_sel:DWORD dst_unused:UNUSED_PAD src0_sel:BYTE_3 src1_sel:DWORD
	v_lshrrev_b32_e32 v18, 3, v19
	s_mov_b32 s16, exec_lo
	v_cmpx_gt_u32_e32 8, v19
; %bb.969:                              ;   in Loop: Header=BB387_509 Depth=1
	v_ffbh_u32_e32 v18, v10
	v_min_u32_e32 v18, 32, v18
	v_subrev_nc_u32_e32 v19, 28, v18
	v_sub_nc_u32_e32 v18, 29, v18
	v_lshlrev_b64 v[103:104], v19, v[10:11]
	v_and_b32_e32 v10, 7, v103
; %bb.970:                              ;   in Loop: Header=BB387_509 Depth=1
	s_or_b32 exec_lo, exec_lo, s16
	v_lshlrev_b32_sdwa v19, v41, v16 dst_sel:DWORD dst_unused:UNUSED_PAD src0_sel:DWORD src1_sel:BYTE_3
	v_lshlrev_b32_e32 v10, 20, v10
	v_lshl_add_u32 v18, v18, 23, 0x3c000000
	v_and_b32_e32 v19, 0x80000000, v19
	v_or3_b32 v103, v10, v19, v18
.LBB387_971:                            ;   in Loop: Header=BB387_509 Depth=1
	s_or_b32 exec_lo, exec_lo, s15
.LBB387_972:                            ;   in Loop: Header=BB387_509 Depth=1
	s_or_b32 exec_lo, exec_lo, s14
.LBB387_973:                            ;   in Loop: Header=BB387_509 Depth=1
	s_or_b32 exec_lo, exec_lo, s13
	v_mov_b32_e32 v10, v17
	v_cmp_ne_u16_sdwa s0, v17, v11 src0_sel:BYTE_0 src1_sel:DWORD
	v_mov_b32_e32 v18, 0
	v_mov_b32_e32 v104, 0
	s_and_saveexec_b32 s13, s0
	s_cbranch_execz .LBB387_979
; %bb.974:                              ;   in Loop: Header=BB387_509 Depth=1
	v_cmp_ne_u16_sdwa s0, v17, v37 src0_sel:BYTE_0 src1_sel:DWORD
	v_bfrev_b32_e32 v104, 1
	s_and_saveexec_b32 s14, s0
	s_cbranch_execz .LBB387_978
; %bb.975:                              ;   in Loop: Header=BB387_509 Depth=1
	v_and_b32_e32 v19, 0x7f, v17
	v_mov_b32_e32 v104, 0x7f800001
	s_mov_b32 s15, exec_lo
	v_cmpx_ne_u32_e32 0x7f, v19
	s_cbranch_execz .LBB387_977
; %bb.976:                              ;   in Loop: Header=BB387_509 Depth=1
	v_and_b32_e32 v104, 7, v17
	v_lshrrev_b32_e32 v105, 3, v19
	v_cmp_gt_u32_e64 s0, 8, v19
	v_ffbh_u32_e32 v104, v104
	v_min_u32_e32 v104, 32, v104
	v_subrev_nc_u32_e32 v106, 28, v104
	v_sub_nc_u32_e32 v104, 29, v104
	v_cndmask_b32_e64 v19, v105, v104, s0
	v_cndmask_b32_e64 v104, 0, v106, s0
	v_lshl_add_u32 v19, v19, 23, 0x3c000000
	v_lshlrev_b64 v[104:105], v104, v[10:11]
	v_lshlrev_b32_e32 v105, 24, v10
	v_lshlrev_b32_e32 v104, 20, v104
	v_and_b32_e32 v105, 0x80000000, v105
	v_and_b32_e32 v104, 0x700000, v104
	v_or3_b32 v104, v104, v105, v19
.LBB387_977:                            ;   in Loop: Header=BB387_509 Depth=1
	s_or_b32 exec_lo, exec_lo, s15
.LBB387_978:                            ;   in Loop: Header=BB387_509 Depth=1
	s_or_b32 exec_lo, exec_lo, s14
.LBB387_979:                            ;   in Loop: Header=BB387_509 Depth=1
	s_or_b32 exec_lo, exec_lo, s13
	v_cmp_ne_u16_sdwa s0, v10, v11 src0_sel:BYTE_1 src1_sel:DWORD
	s_and_saveexec_b32 s13, s0
	s_cbranch_execz .LBB387_987
; %bb.980:                              ;   in Loop: Header=BB387_509 Depth=1
	v_cmp_ne_u16_sdwa s0, v10, v37 src0_sel:BYTE_1 src1_sel:DWORD
	v_bfrev_b32_e32 v18, 1
	s_and_saveexec_b32 s14, s0
	s_cbranch_execz .LBB387_986
; %bb.981:                              ;   in Loop: Header=BB387_509 Depth=1
	v_and_b32_sdwa v19, v38, v10 dst_sel:DWORD dst_unused:UNUSED_PAD src0_sel:DWORD src1_sel:BYTE_1
	v_mov_b32_e32 v18, 0x7f800001
	s_mov_b32 s15, exec_lo
	v_and_b32_e32 v106, 0x7f, v19
	v_cmpx_ne_u32_e32 0x7f, v106
	s_cbranch_execz .LBB387_985
; %bb.982:                              ;   in Loop: Header=BB387_509 Depth=1
	v_and_b32_e32 v18, 7, v19
	v_mov_b32_e32 v19, v11
	v_lshrrev_b32_e32 v105, 3, v106
	s_mov_b32 s16, exec_lo
	v_cmpx_gt_u32_e32 8, v106
; %bb.983:                              ;   in Loop: Header=BB387_509 Depth=1
	v_ffbh_u32_e32 v105, v18
	v_min_u32_e32 v105, 32, v105
	v_subrev_nc_u32_e32 v106, 28, v105
	v_sub_nc_u32_e32 v105, 29, v105
	v_lshlrev_b64 v[18:19], v106, v[18:19]
	v_and_b32_e32 v18, 7, v18
; %bb.984:                              ;   in Loop: Header=BB387_509 Depth=1
	s_or_b32 exec_lo, exec_lo, s16
	v_lshlrev_b32_e32 v10, 16, v10
	v_lshlrev_b32_e32 v18, 20, v18
	v_lshl_add_u32 v19, v105, 23, 0x3c000000
	v_and_b32_e32 v10, 0x80000000, v10
	v_or3_b32 v18, v18, v10, v19
.LBB387_985:                            ;   in Loop: Header=BB387_509 Depth=1
	s_or_b32 exec_lo, exec_lo, s15
.LBB387_986:                            ;   in Loop: Header=BB387_509 Depth=1
	s_or_b32 exec_lo, exec_lo, s14
.LBB387_987:                            ;   in Loop: Header=BB387_509 Depth=1
	s_or_b32 exec_lo, exec_lo, s13
	v_and_b32_sdwa v10, v17, v39 dst_sel:DWORD dst_unused:UNUSED_PAD src0_sel:WORD_1 src1_sel:DWORD
	v_mov_b32_e32 v19, 0
	v_mov_b32_e32 v105, 0
	s_mov_b32 s13, exec_lo
	v_cmpx_ne_u16_e32 0, v10
	s_cbranch_execz .LBB387_995
; %bb.988:                              ;   in Loop: Header=BB387_509 Depth=1
	v_bfrev_b32_e32 v105, 1
	s_mov_b32 s14, exec_lo
	v_cmpx_ne_u16_e32 0x80, v10
	s_cbranch_execz .LBB387_994
; %bb.989:                              ;   in Loop: Header=BB387_509 Depth=1
	v_bfe_u32 v106, v17, 16, 7
	v_mov_b32_e32 v105, 0x7f800001
	s_mov_b32 s15, exec_lo
	v_cmpx_ne_u32_e32 0x7f, v106
	s_cbranch_execz .LBB387_993
; %bb.990:                              ;   in Loop: Header=BB387_509 Depth=1
	v_and_b32_sdwa v10, v17, v40 dst_sel:DWORD dst_unused:UNUSED_PAD src0_sel:WORD_1 src1_sel:DWORD
	v_lshrrev_b32_e32 v105, 3, v106
	s_mov_b32 s16, exec_lo
	v_cmpx_gt_u32_e32 8, v106
; %bb.991:                              ;   in Loop: Header=BB387_509 Depth=1
	v_ffbh_u32_e32 v105, v10
	v_min_u32_e32 v105, 32, v105
	v_subrev_nc_u32_e32 v106, 28, v105
	v_sub_nc_u32_e32 v105, 29, v105
	v_lshlrev_b64 v[106:107], v106, v[10:11]
	v_and_b32_e32 v10, 7, v106
; %bb.992:                              ;   in Loop: Header=BB387_509 Depth=1
	s_or_b32 exec_lo, exec_lo, s16
	v_lshlrev_b32_sdwa v106, v41, v17 dst_sel:DWORD dst_unused:UNUSED_PAD src0_sel:DWORD src1_sel:WORD_1
	v_lshlrev_b32_e32 v10, 20, v10
	v_lshl_add_u32 v105, v105, 23, 0x3c000000
	v_and_b32_e32 v106, 0x80000000, v106
	v_or3_b32 v105, v10, v106, v105
.LBB387_993:                            ;   in Loop: Header=BB387_509 Depth=1
	s_or_b32 exec_lo, exec_lo, s15
.LBB387_994:                            ;   in Loop: Header=BB387_509 Depth=1
	s_or_b32 exec_lo, exec_lo, s14
.LBB387_995:                            ;   in Loop: Header=BB387_509 Depth=1
	s_or_b32 exec_lo, exec_lo, s13
	s_mov_b32 s13, exec_lo
	v_cmpx_lt_u64_e64 s[4:5], v[16:17]
	s_cbranch_execz .LBB387_1003
; %bb.996:                              ;   in Loop: Header=BB387_509 Depth=1
	v_cmp_ne_u32_sdwa s0, v17, v37 src0_sel:BYTE_3 src1_sel:DWORD
	v_bfrev_b32_e32 v19, 1
	s_and_saveexec_b32 s14, s0
	s_cbranch_execz .LBB387_1002
; %bb.997:                              ;   in Loop: Header=BB387_509 Depth=1
	v_bfe_u32 v106, v17, 24, 7
	v_mov_b32_e32 v19, 0x7f800001
	s_mov_b32 s15, exec_lo
	v_cmpx_ne_u32_e32 0x7f, v106
	s_cbranch_execz .LBB387_1001
; %bb.998:                              ;   in Loop: Header=BB387_509 Depth=1
	v_and_b32_sdwa v10, v17, v40 dst_sel:DWORD dst_unused:UNUSED_PAD src0_sel:BYTE_3 src1_sel:DWORD
	v_lshrrev_b32_e32 v16, 3, v106
	s_mov_b32 s16, exec_lo
	v_cmpx_gt_u32_e32 8, v106
; %bb.999:                              ;   in Loop: Header=BB387_509 Depth=1
	v_ffbh_u32_e32 v16, v10
	v_min_u32_e32 v16, 32, v16
	v_subrev_nc_u32_e32 v19, 28, v16
	v_sub_nc_u32_e32 v16, 29, v16
	v_lshlrev_b64 v[106:107], v19, v[10:11]
	v_and_b32_e32 v10, 7, v106
; %bb.1000:                             ;   in Loop: Header=BB387_509 Depth=1
	s_or_b32 exec_lo, exec_lo, s16
	v_lshlrev_b32_sdwa v17, v41, v17 dst_sel:DWORD dst_unused:UNUSED_PAD src0_sel:DWORD src1_sel:BYTE_3
	v_lshlrev_b32_e32 v10, 20, v10
	v_lshl_add_u32 v16, v16, 23, 0x3c000000
	v_and_b32_e32 v17, 0x80000000, v17
	v_or3_b32 v19, v10, v17, v16
.LBB387_1001:                           ;   in Loop: Header=BB387_509 Depth=1
	s_or_b32 exec_lo, exec_lo, s15
.LBB387_1002:                           ;   in Loop: Header=BB387_509 Depth=1
	s_or_b32 exec_lo, exec_lo, s14
.LBB387_1003:                           ;   in Loop: Header=BB387_509 Depth=1
	s_or_b32 exec_lo, exec_lo, s13
	v_mul_f32_e32 v10, s6, v18
	v_mul_f32_e32 v16, s6, v104
	;; [unrolled: 1-line block ×5, first 2 shown]
	v_bfe_u32 v96, v10, 16, 1
	v_or_b32_e32 v103, 0x400000, v10
	v_bfe_u32 v104, v16, 16, 1
	v_cmp_u_f32_e64 s0, v10, v10
	v_or_b32_e32 v106, 0x400000, v16
	v_add3_u32 v96, v96, v10, 0x7fff
	v_bfe_u32 v107, v17, 16, 1
	v_add3_u32 v104, v104, v16, 0x7fff
	v_or_b32_e32 v108, 0x400000, v17
	v_bfe_u32 v109, v18, 16, 1
	v_cndmask_b32_e64 v10, v96, v103, s0
	v_cmp_u_f32_e64 s0, v16, v16
	v_add3_u32 v107, v107, v17, 0x7fff
	v_or_b32_e32 v103, 0x400000, v18
	v_add3_u32 v96, v109, v18, 0x7fff
	v_mul_f32_e32 v20, s6, v20
	v_cndmask_b32_e64 v16, v104, v106, s0
	v_cmp_u_f32_e64 s0, v17, v17
	v_bfe_u32 v104, v94, 16, 1
	v_mul_f32_e32 v19, s6, v19
	v_lshrrev_b32_e32 v10, 16, v10
	v_lshrrev_b32_e32 v16, 16, v16
	v_cndmask_b32_e64 v17, v107, v108, s0
	v_cmp_u_f32_e64 s0, v18, v18
	v_or_b32_e32 v108, 0x400000, v19
	v_lshrrev_b32_e32 v17, 16, v17
	v_cndmask_b32_e64 v18, v96, v103, s0
	v_mul_f32_e32 v96, s6, v105
	v_add3_u32 v103, v104, v94, 0x7fff
	v_or_b32_e32 v104, 0x400000, v94
	v_bfe_u32 v105, v20, 16, 1
	v_cmp_u_f32_e64 s0, v94, v94
	v_bfe_u32 v106, v96, 16, 1
	v_or_b32_e32 v107, 0x400000, v96
	v_cndmask_b32_e64 v94, v103, v104, s0
	v_add3_u32 v104, v105, v20, 0x7fff
	v_or_b32_e32 v105, 0x400000, v20
	v_cmp_u_f32_e64 s0, v20, v20
	v_bfe_u32 v103, v19, 16, 1
	v_add3_u32 v106, v106, v96, 0x7fff
	v_lshrrev_b32_e32 v20, 16, v18
	v_lshrrev_b32_e32 v94, 16, v94
	v_cndmask_b32_e64 v104, v104, v105, s0
	v_cmp_u_f32_e64 s0, v96, v96
	v_add3_u32 v103, v103, v19, 0x7fff
	v_lshrrev_b32_e32 v96, 16, v104
	v_cndmask_b32_e64 v105, v106, v107, s0
	v_cmp_u_f32_e64 s0, v19, v19
	v_lshrrev_b32_e32 v19, 16, v105
	v_cndmask_b32_e64 v103, v103, v108, s0
	v_lshrrev_b32_e32 v18, 16, v103
	s_and_saveexec_b32 s0, vcc_lo
	s_cbranch_execz .LBB387_508
; %bb.1004:                             ;   in Loop: Header=BB387_509 Depth=1
	v_cmp_gt_i32_e32 vcc_lo, s29, v50
	v_cndmask_b32_e32 v96, 0, v96, vcc_lo
	v_cmp_gt_i32_e32 vcc_lo, s29, v61
	v_cndmask_b32_e32 v94, 0, v94, vcc_lo
	;; [unrolled: 2-line block ×8, first 2 shown]
	s_branch .LBB387_508
.LBB387_1005:
	s_or_b32 exec_lo, exec_lo, s12
	v_mov_b32_e32 v22, v110
	v_mov_b32_e32 v35, v111
.LBB387_1006:
	s_or_b32 exec_lo, exec_lo, s1
	ds_bpermute_b32 v0, v25, v32
	ds_bpermute_b32 v1, v25, v34
	;; [unrolled: 1-line block ×8, first 2 shown]
	v_lshrrev_b32_e32 v8, 2, v112
	v_lshlrev_b32_e32 v10, 8, v35
	v_and_b32_e32 v21, 0x3c3, v22
	s_mov_b32 s0, exec_lo
	s_waitcnt lgkmcnt(0)
	s_waitcnt_vscnt null, 0x0
	s_barrier
	buffer_gl0_inv
	v_add_f32_e32 v0, v32, v0
	v_add_f32_e32 v1, v34, v1
	;; [unrolled: 1-line block ×8, first 2 shown]
	ds_bpermute_b32 v4, v24, v0
	ds_bpermute_b32 v5, v24, v1
	;; [unrolled: 1-line block ×8, first 2 shown]
	v_and_b32_e32 v6, 28, v112
	v_add_nc_u32_e32 v9, 0xa0, v6
	s_waitcnt lgkmcnt(7)
	v_add_f32_e32 v7, v0, v4
	s_waitcnt lgkmcnt(6)
	v_add_f32_e32 v6, v1, v5
	;; [unrolled: 2-line block ×8, first 2 shown]
	v_cmpx_eq_u32_e32 64, v21
	s_cbranch_execz .LBB387_1008
; %bb.1007:
	v_add_nc_u32_e32 v11, v9, v10
	v_add_nc_u32_e32 v12, 0xfffffe00, v11
	;; [unrolled: 1-line block ×9, first 2 shown]
	ds_write_b32 v12, v7
	ds_write_b32 v13, v6
	;; [unrolled: 1-line block ×8, first 2 shown]
.LBB387_1008:
	s_or_b32 exec_lo, exec_lo, s0
	v_lshlrev_b32_e32 v8, 2, v8
	s_mov_b32 s1, exec_lo
	v_cmp_eq_u32_e32 vcc_lo, 0, v26
	s_waitcnt lgkmcnt(0)
	s_barrier
	v_add3_u32 v8, 0xa0, v10, v8
	buffer_gl0_inv
	v_cmpx_gt_u32_e32 64, v22
	s_cbranch_execz .LBB387_1019
; %bb.1009:
	s_and_saveexec_b32 s0, vcc_lo
	s_cbranch_execnz .LBB387_1035
; %bb.1010:
	s_or_b32 exec_lo, exec_lo, s0
	s_and_saveexec_b32 s0, vcc_lo
	s_cbranch_execnz .LBB387_1036
.LBB387_1011:
	s_or_b32 exec_lo, exec_lo, s0
	s_and_saveexec_b32 s0, vcc_lo
	s_cbranch_execnz .LBB387_1037
.LBB387_1012:
	s_or_b32 exec_lo, exec_lo, s0
	s_and_saveexec_b32 s0, vcc_lo
	s_cbranch_execnz .LBB387_1038
.LBB387_1013:
	s_or_b32 exec_lo, exec_lo, s0
	s_and_saveexec_b32 s0, vcc_lo
	s_cbranch_execnz .LBB387_1039
.LBB387_1014:
	s_or_b32 exec_lo, exec_lo, s0
	s_and_saveexec_b32 s0, vcc_lo
	s_cbranch_execnz .LBB387_1040
.LBB387_1015:
	s_or_b32 exec_lo, exec_lo, s0
	s_and_saveexec_b32 s0, vcc_lo
	s_cbranch_execnz .LBB387_1041
.LBB387_1016:
	s_or_b32 exec_lo, exec_lo, s0
	s_and_saveexec_b32 s0, vcc_lo
	s_cbranch_execz .LBB387_1018
.LBB387_1017:
	ds_read_b32 v10, v8 offset:224
	s_waitcnt lgkmcnt(0)
	v_add_f32_e32 v0, v0, v10
.LBB387_1018:
	s_or_b32 exec_lo, exec_lo, s0
.LBB387_1019:
	s_or_b32 exec_lo, exec_lo, s1
	v_and_b32_e32 v10, 0x3e3, v22
	s_mov_b32 s1, exec_lo
	s_barrier
	buffer_gl0_inv
	v_cmpx_eq_u32_e32 32, v10
	s_cbranch_execz .LBB387_1021
; %bb.1020:
	ds_write2_b32 v9, v7, v6 offset1:8
	ds_write2_b32 v9, v5, v4 offset0:16 offset1:24
	ds_write2_b32 v9, v3, v2 offset0:32 offset1:40
	;; [unrolled: 1-line block ×3, first 2 shown]
.LBB387_1021:
	s_or_b32 exec_lo, exec_lo, s1
	s_mov_b32 s1, exec_lo
	s_waitcnt lgkmcnt(0)
	s_barrier
	buffer_gl0_inv
	v_cmpx_gt_u32_e32 32, v22
	s_cbranch_execz .LBB387_1032
; %bb.1022:
	s_and_saveexec_b32 s0, vcc_lo
	s_cbranch_execnz .LBB387_1042
; %bb.1023:
	s_or_b32 exec_lo, exec_lo, s0
	s_and_saveexec_b32 s0, vcc_lo
	s_cbranch_execnz .LBB387_1043
.LBB387_1024:
	s_or_b32 exec_lo, exec_lo, s0
	s_and_saveexec_b32 s0, vcc_lo
	s_cbranch_execnz .LBB387_1044
.LBB387_1025:
	s_or_b32 exec_lo, exec_lo, s0
	s_and_saveexec_b32 s0, vcc_lo
	s_cbranch_execnz .LBB387_1045
.LBB387_1026:
	s_or_b32 exec_lo, exec_lo, s0
	s_and_saveexec_b32 s0, vcc_lo
	s_cbranch_execnz .LBB387_1046
.LBB387_1027:
	s_or_b32 exec_lo, exec_lo, s0
	s_and_saveexec_b32 s0, vcc_lo
	s_cbranch_execnz .LBB387_1047
.LBB387_1028:
	s_or_b32 exec_lo, exec_lo, s0
	s_and_saveexec_b32 s0, vcc_lo
	s_cbranch_execnz .LBB387_1048
.LBB387_1029:
	s_or_b32 exec_lo, exec_lo, s0
	s_and_saveexec_b32 s0, vcc_lo
	s_cbranch_execz .LBB387_1031
.LBB387_1030:
	ds_read_b32 v8, v8 offset:224
	s_waitcnt lgkmcnt(0)
	v_add_f32_e32 v0, v0, v8
.LBB387_1031:
	s_or_b32 exec_lo, exec_lo, s0
.LBB387_1032:
	s_or_b32 exec_lo, exec_lo, s1
	s_barrier
	buffer_gl0_inv
	s_mov_b32 s0, exec_lo
	v_cmpx_eq_u32_e32 0, v10
	s_cbranch_execz .LBB387_1034
; %bb.1033:
	s_lshl_b32 s0, s2, 6
	s_mul_i32 s2, s7, s10
	s_ashr_i32 s1, s0, 31
	v_bfe_u32 v9, v7, 16, 1
	s_lshl_b64 s[0:1], s[0:1], 1
	v_or_b32_e32 v10, 0x400000, v7
	s_add_u32 s4, s24, s0
	s_addc_u32 s5, s25, s1
	s_ashr_i32 s3, s2, 31
	v_add3_u32 v9, v9, v7, 0x7fff
	s_lshl_b64 s[0:1], s[2:3], 1
	v_bfe_u32 v11, v6, 16, 1
	s_add_u32 s2, s4, s0
	v_cmp_u_f32_e32 vcc_lo, v7, v7
	s_addc_u32 s3, s5, s1
	s_lshl_b32 s0, s8, 6
	v_lshrrev_b32_e32 v8, 1, v22
	s_ashr_i32 s1, s0, 31
	v_cndmask_b32_e32 v7, v9, v10, vcc_lo
	s_lshl_b64 s[0:1], s[0:1], 1
	v_bfe_u32 v9, v5, 16, 1
	v_add3_u32 v10, v11, v6, 0x7fff
	v_or_b32_e32 v11, 0x400000, v6
	v_cmp_u_f32_e32 vcc_lo, v6, v6
	s_add_u32 s0, s2, s0
	s_addc_u32 s1, s3, s1
	global_store_short_d16_hi v8, v7, s[0:1]
	v_add3_u32 v7, v9, v5, 0x7fff
	v_or_b32_e32 v9, 0x400000, v5
	v_cndmask_b32_e32 v6, v10, v11, vcc_lo
	v_bfe_u32 v10, v4, 16, 1
	v_cmp_u_f32_e32 vcc_lo, v5, v5
	v_or_b32_e32 v11, 0x400000, v0
	global_store_short_d16_hi v8, v6, s[0:1] offset:16
	v_add3_u32 v6, v10, v4, 0x7fff
	v_cndmask_b32_e32 v5, v7, v9, vcc_lo
	v_bfe_u32 v7, v3, 16, 1
	v_or_b32_e32 v9, 0x400000, v4
	v_cmp_u_f32_e32 vcc_lo, v4, v4
	v_or_b32_e32 v10, 0x400000, v1
	global_store_short_d16_hi v8, v5, s[0:1] offset:32
	v_add3_u32 v5, v7, v3, 0x7fff
	v_or_b32_e32 v7, 0x400000, v3
	v_cndmask_b32_e32 v4, v6, v9, vcc_lo
	v_bfe_u32 v6, v2, 16, 1
	v_cmp_u_f32_e32 vcc_lo, v3, v3
	v_bfe_u32 v9, v1, 16, 1
	v_add3_u32 v6, v6, v2, 0x7fff
	v_cndmask_b32_e32 v3, v5, v7, vcc_lo
	v_or_b32_e32 v7, 0x400000, v2
	v_cmp_u_f32_e32 vcc_lo, v2, v2
	v_bfe_u32 v5, v0, 16, 1
	v_add3_u32 v9, v9, v1, 0x7fff
	v_cndmask_b32_e32 v2, v6, v7, vcc_lo
	v_cmp_u_f32_e32 vcc_lo, v1, v1
	v_add3_u32 v5, v5, v0, 0x7fff
	v_cndmask_b32_e32 v1, v9, v10, vcc_lo
	v_cmp_u_f32_e32 vcc_lo, v0, v0
	v_cndmask_b32_e32 v0, v5, v11, vcc_lo
	global_store_short_d16_hi v8, v4, s[0:1] offset:48
	global_store_short_d16_hi v8, v3, s[0:1] offset:64
	;; [unrolled: 1-line block ×5, first 2 shown]
.LBB387_1034:
	s_endpgm
.LBB387_1035:
	ds_read_b32 v10, v8
	s_waitcnt lgkmcnt(0)
	v_add_f32_e32 v7, v7, v10
	s_or_b32 exec_lo, exec_lo, s0
	s_and_saveexec_b32 s0, vcc_lo
	s_cbranch_execz .LBB387_1011
.LBB387_1036:
	ds_read_b32 v10, v8 offset:32
	s_waitcnt lgkmcnt(0)
	v_add_f32_e32 v6, v6, v10
	s_or_b32 exec_lo, exec_lo, s0
	s_and_saveexec_b32 s0, vcc_lo
	s_cbranch_execz .LBB387_1012
.LBB387_1037:
	ds_read_b32 v10, v8 offset:64
	s_waitcnt lgkmcnt(0)
	v_add_f32_e32 v5, v5, v10
	s_or_b32 exec_lo, exec_lo, s0
	s_and_saveexec_b32 s0, vcc_lo
	s_cbranch_execz .LBB387_1013
.LBB387_1038:
	ds_read_b32 v10, v8 offset:96
	s_waitcnt lgkmcnt(0)
	v_add_f32_e32 v4, v4, v10
	s_or_b32 exec_lo, exec_lo, s0
	s_and_saveexec_b32 s0, vcc_lo
	s_cbranch_execz .LBB387_1014
.LBB387_1039:
	ds_read_b32 v10, v8 offset:128
	s_waitcnt lgkmcnt(0)
	v_add_f32_e32 v3, v3, v10
	s_or_b32 exec_lo, exec_lo, s0
	s_and_saveexec_b32 s0, vcc_lo
	s_cbranch_execz .LBB387_1015
.LBB387_1040:
	ds_read_b32 v10, v8 offset:160
	s_waitcnt lgkmcnt(0)
	v_add_f32_e32 v2, v2, v10
	s_or_b32 exec_lo, exec_lo, s0
	s_and_saveexec_b32 s0, vcc_lo
	s_cbranch_execz .LBB387_1016
.LBB387_1041:
	ds_read_b32 v10, v8 offset:192
	s_waitcnt lgkmcnt(0)
	v_add_f32_e32 v1, v1, v10
	s_or_b32 exec_lo, exec_lo, s0
	s_and_saveexec_b32 s0, vcc_lo
	s_cbranch_execnz .LBB387_1017
	s_branch .LBB387_1018
.LBB387_1042:
	ds_read_b32 v9, v8
	s_waitcnt lgkmcnt(0)
	v_add_f32_e32 v7, v7, v9
	s_or_b32 exec_lo, exec_lo, s0
	s_and_saveexec_b32 s0, vcc_lo
	s_cbranch_execz .LBB387_1024
.LBB387_1043:
	ds_read_b32 v9, v8 offset:32
	s_waitcnt lgkmcnt(0)
	v_add_f32_e32 v6, v6, v9
	s_or_b32 exec_lo, exec_lo, s0
	s_and_saveexec_b32 s0, vcc_lo
	s_cbranch_execz .LBB387_1025
.LBB387_1044:
	ds_read_b32 v9, v8 offset:64
	s_waitcnt lgkmcnt(0)
	v_add_f32_e32 v5, v5, v9
	s_or_b32 exec_lo, exec_lo, s0
	s_and_saveexec_b32 s0, vcc_lo
	s_cbranch_execz .LBB387_1026
.LBB387_1045:
	ds_read_b32 v9, v8 offset:96
	s_waitcnt lgkmcnt(0)
	v_add_f32_e32 v4, v4, v9
	s_or_b32 exec_lo, exec_lo, s0
	s_and_saveexec_b32 s0, vcc_lo
	s_cbranch_execz .LBB387_1027
.LBB387_1046:
	ds_read_b32 v9, v8 offset:128
	s_waitcnt lgkmcnt(0)
	v_add_f32_e32 v3, v3, v9
	s_or_b32 exec_lo, exec_lo, s0
	s_and_saveexec_b32 s0, vcc_lo
	s_cbranch_execz .LBB387_1028
.LBB387_1047:
	ds_read_b32 v9, v8 offset:160
	s_waitcnt lgkmcnt(0)
	v_add_f32_e32 v2, v2, v9
	s_or_b32 exec_lo, exec_lo, s0
	s_and_saveexec_b32 s0, vcc_lo
	s_cbranch_execz .LBB387_1029
.LBB387_1048:
	ds_read_b32 v9, v8 offset:192
	s_waitcnt lgkmcnt(0)
	v_add_f32_e32 v1, v1, v9
	s_or_b32 exec_lo, exec_lo, s0
	s_and_saveexec_b32 s0, vcc_lo
	s_cbranch_execnz .LBB387_1030
	s_branch .LBB387_1031
	.section	.rodata,"a",@progbits
	.p2align	6, 0x0
	.amdhsa_kernel _ZN4vllm25paged_attention_v2_kernelI14__hip_bfloat16hLi64ELi32ELi128ELNS_18Fp8KVCacheDataTypeE1ELb0ELi512EEEvPfS3_PT_PKS4_PKT0_SA_ifPKiSC_iPKfiiiSE_SE_iiiii
		.amdhsa_group_segment_fixed_size 160
		.amdhsa_private_segment_fixed_size 108
		.amdhsa_kernarg_size 400
		.amdhsa_user_sgpr_count 6
		.amdhsa_user_sgpr_private_segment_buffer 1
		.amdhsa_user_sgpr_dispatch_ptr 0
		.amdhsa_user_sgpr_queue_ptr 0
		.amdhsa_user_sgpr_kernarg_segment_ptr 1
		.amdhsa_user_sgpr_dispatch_id 0
		.amdhsa_user_sgpr_flat_scratch_init 0
		.amdhsa_user_sgpr_private_segment_size 0
		.amdhsa_wavefront_size32 1
		.amdhsa_uses_dynamic_stack 0
		.amdhsa_system_sgpr_private_segment_wavefront_offset 1
		.amdhsa_system_sgpr_workgroup_id_x 1
		.amdhsa_system_sgpr_workgroup_id_y 1
		.amdhsa_system_sgpr_workgroup_id_z 1
		.amdhsa_system_sgpr_workgroup_info 0
		.amdhsa_system_vgpr_workitem_id 0
		.amdhsa_next_free_vgpr 128
		.amdhsa_next_free_sgpr 48
		.amdhsa_reserve_vcc 1
		.amdhsa_reserve_flat_scratch 0
		.amdhsa_float_round_mode_32 0
		.amdhsa_float_round_mode_16_64 0
		.amdhsa_float_denorm_mode_32 3
		.amdhsa_float_denorm_mode_16_64 3
		.amdhsa_dx10_clamp 1
		.amdhsa_ieee_mode 1
		.amdhsa_fp16_overflow 0
		.amdhsa_workgroup_processor_mode 1
		.amdhsa_memory_ordered 1
		.amdhsa_forward_progress 1
		.amdhsa_shared_vgpr_count 0
		.amdhsa_exception_fp_ieee_invalid_op 0
		.amdhsa_exception_fp_denorm_src 0
		.amdhsa_exception_fp_ieee_div_zero 0
		.amdhsa_exception_fp_ieee_overflow 0
		.amdhsa_exception_fp_ieee_underflow 0
		.amdhsa_exception_fp_ieee_inexact 0
		.amdhsa_exception_int_div_zero 0
	.end_amdhsa_kernel
	.section	.text._ZN4vllm25paged_attention_v2_kernelI14__hip_bfloat16hLi64ELi32ELi128ELNS_18Fp8KVCacheDataTypeE1ELb0ELi512EEEvPfS3_PT_PKS4_PKT0_SA_ifPKiSC_iPKfiiiSE_SE_iiiii,"axG",@progbits,_ZN4vllm25paged_attention_v2_kernelI14__hip_bfloat16hLi64ELi32ELi128ELNS_18Fp8KVCacheDataTypeE1ELb0ELi512EEEvPfS3_PT_PKS4_PKT0_SA_ifPKiSC_iPKfiiiSE_SE_iiiii,comdat
.Lfunc_end387:
	.size	_ZN4vllm25paged_attention_v2_kernelI14__hip_bfloat16hLi64ELi32ELi128ELNS_18Fp8KVCacheDataTypeE1ELb0ELi512EEEvPfS3_PT_PKS4_PKT0_SA_ifPKiSC_iPKfiiiSE_SE_iiiii, .Lfunc_end387-_ZN4vllm25paged_attention_v2_kernelI14__hip_bfloat16hLi64ELi32ELi128ELNS_18Fp8KVCacheDataTypeE1ELb0ELi512EEEvPfS3_PT_PKS4_PKT0_SA_ifPKiSC_iPKfiiiSE_SE_iiiii
                                        ; -- End function
	.set _ZN4vllm25paged_attention_v2_kernelI14__hip_bfloat16hLi64ELi32ELi128ELNS_18Fp8KVCacheDataTypeE1ELb0ELi512EEEvPfS3_PT_PKS4_PKT0_SA_ifPKiSC_iPKfiiiSE_SE_iiiii.num_vgpr, 128
	.set _ZN4vllm25paged_attention_v2_kernelI14__hip_bfloat16hLi64ELi32ELi128ELNS_18Fp8KVCacheDataTypeE1ELb0ELi512EEEvPfS3_PT_PKS4_PKT0_SA_ifPKiSC_iPKfiiiSE_SE_iiiii.num_agpr, 0
	.set _ZN4vllm25paged_attention_v2_kernelI14__hip_bfloat16hLi64ELi32ELi128ELNS_18Fp8KVCacheDataTypeE1ELb0ELi512EEEvPfS3_PT_PKS4_PKT0_SA_ifPKiSC_iPKfiiiSE_SE_iiiii.numbered_sgpr, 48
	.set _ZN4vllm25paged_attention_v2_kernelI14__hip_bfloat16hLi64ELi32ELi128ELNS_18Fp8KVCacheDataTypeE1ELb0ELi512EEEvPfS3_PT_PKS4_PKT0_SA_ifPKiSC_iPKfiiiSE_SE_iiiii.num_named_barrier, 0
	.set _ZN4vllm25paged_attention_v2_kernelI14__hip_bfloat16hLi64ELi32ELi128ELNS_18Fp8KVCacheDataTypeE1ELb0ELi512EEEvPfS3_PT_PKS4_PKT0_SA_ifPKiSC_iPKfiiiSE_SE_iiiii.private_seg_size, 108
	.set _ZN4vllm25paged_attention_v2_kernelI14__hip_bfloat16hLi64ELi32ELi128ELNS_18Fp8KVCacheDataTypeE1ELb0ELi512EEEvPfS3_PT_PKS4_PKT0_SA_ifPKiSC_iPKfiiiSE_SE_iiiii.uses_vcc, 1
	.set _ZN4vllm25paged_attention_v2_kernelI14__hip_bfloat16hLi64ELi32ELi128ELNS_18Fp8KVCacheDataTypeE1ELb0ELi512EEEvPfS3_PT_PKS4_PKT0_SA_ifPKiSC_iPKfiiiSE_SE_iiiii.uses_flat_scratch, 0
	.set _ZN4vllm25paged_attention_v2_kernelI14__hip_bfloat16hLi64ELi32ELi128ELNS_18Fp8KVCacheDataTypeE1ELb0ELi512EEEvPfS3_PT_PKS4_PKT0_SA_ifPKiSC_iPKfiiiSE_SE_iiiii.has_dyn_sized_stack, 0
	.set _ZN4vllm25paged_attention_v2_kernelI14__hip_bfloat16hLi64ELi32ELi128ELNS_18Fp8KVCacheDataTypeE1ELb0ELi512EEEvPfS3_PT_PKS4_PKT0_SA_ifPKiSC_iPKfiiiSE_SE_iiiii.has_recursion, 0
	.set _ZN4vllm25paged_attention_v2_kernelI14__hip_bfloat16hLi64ELi32ELi128ELNS_18Fp8KVCacheDataTypeE1ELb0ELi512EEEvPfS3_PT_PKS4_PKT0_SA_ifPKiSC_iPKfiiiSE_SE_iiiii.has_indirect_call, 0
	.section	.AMDGPU.csdata,"",@progbits
; Kernel info:
; codeLenInByte = 40444
; TotalNumSgprs: 50
; NumVgprs: 128
; ScratchSize: 108
; MemoryBound: 0
; FloatMode: 240
; IeeeMode: 1
; LDSByteSize: 160 bytes/workgroup (compile time only)
; SGPRBlocks: 0
; VGPRBlocks: 15
; NumSGPRsForWavesPerEU: 50
; NumVGPRsForWavesPerEU: 128
; Occupancy: 8
; WaveLimiterHint : 1
; COMPUTE_PGM_RSRC2:SCRATCH_EN: 1
; COMPUTE_PGM_RSRC2:USER_SGPR: 6
; COMPUTE_PGM_RSRC2:TRAP_HANDLER: 0
; COMPUTE_PGM_RSRC2:TGID_X_EN: 1
; COMPUTE_PGM_RSRC2:TGID_Y_EN: 1
; COMPUTE_PGM_RSRC2:TGID_Z_EN: 1
; COMPUTE_PGM_RSRC2:TIDIG_COMP_CNT: 0
	.section	.text._ZN4vllm25paged_attention_v2_kernelI14__hip_bfloat16hLi80ELi32ELi128ELNS_18Fp8KVCacheDataTypeE1ELb0ELi512EEEvPfS3_PT_PKS4_PKT0_SA_ifPKiSC_iPKfiiiSE_SE_iiiii,"axG",@progbits,_ZN4vllm25paged_attention_v2_kernelI14__hip_bfloat16hLi80ELi32ELi128ELNS_18Fp8KVCacheDataTypeE1ELb0ELi512EEEvPfS3_PT_PKS4_PKT0_SA_ifPKiSC_iPKfiiiSE_SE_iiiii,comdat
	.protected	_ZN4vllm25paged_attention_v2_kernelI14__hip_bfloat16hLi80ELi32ELi128ELNS_18Fp8KVCacheDataTypeE1ELb0ELi512EEEvPfS3_PT_PKS4_PKT0_SA_ifPKiSC_iPKfiiiSE_SE_iiiii ; -- Begin function _ZN4vllm25paged_attention_v2_kernelI14__hip_bfloat16hLi80ELi32ELi128ELNS_18Fp8KVCacheDataTypeE1ELb0ELi512EEEvPfS3_PT_PKS4_PKT0_SA_ifPKiSC_iPKfiiiSE_SE_iiiii
	.globl	_ZN4vllm25paged_attention_v2_kernelI14__hip_bfloat16hLi80ELi32ELi128ELNS_18Fp8KVCacheDataTypeE1ELb0ELi512EEEvPfS3_PT_PKS4_PKT0_SA_ifPKiSC_iPKfiiiSE_SE_iiiii
	.p2align	8
	.type	_ZN4vllm25paged_attention_v2_kernelI14__hip_bfloat16hLi80ELi32ELi128ELNS_18Fp8KVCacheDataTypeE1ELb0ELi512EEEvPfS3_PT_PKS4_PKT0_SA_ifPKiSC_iPKfiiiSE_SE_iiiii,@function
_ZN4vllm25paged_attention_v2_kernelI14__hip_bfloat16hLi80ELi32ELi128ELNS_18Fp8KVCacheDataTypeE1ELb0ELi512EEEvPfS3_PT_PKS4_PKT0_SA_ifPKiSC_iPKfiiiSE_SE_iiiii: ; @_ZN4vllm25paged_attention_v2_kernelI14__hip_bfloat16hLi80ELi32ELi128ELNS_18Fp8KVCacheDataTypeE1ELb0ELi512EEEvPfS3_PT_PKS4_PKT0_SA_ifPKiSC_iPKfiiiSE_SE_iiiii
; %bb.0:
	s_mov_b64 s[46:47], s[2:3]
	s_mov_b64 s[44:45], s[0:1]
	s_load_dwordx2 s[0:1], s[4:5], 0x40
	s_add_u32 s44, s44, s9
	s_addc_u32 s45, s45, 0
	s_mov_b32 s28, s7
	s_ashr_i32 s29, s7, 31
	s_lshl_b64 s[2:3], s[28:29], 2
	s_waitcnt lgkmcnt(0)
	s_add_u32 s0, s0, s2
	s_addc_u32 s1, s1, s3
	s_lshl_b32 s33, s8, 9
	s_load_dword s29, s[0:1], 0x0
	s_waitcnt lgkmcnt(0)
	s_cmp_ge_i32 s33, s29
	s_cbranch_scc1 .LBB388_1282
; %bb.1:
	s_clause 0x1
	s_load_dword s9, s[4:5], 0x90
	s_load_dwordx2 s[2:3], s[4:5], 0x30
	v_mov_b32_e32 v12, v0
	s_mov_b32 s36, 0
	s_waitcnt lgkmcnt(0)
	s_abs_i32 s10, s9
	s_abs_i32 s0, s2
	s_xor_b32 s2, s9, s2
	v_cvt_f32_u32_e32 v0, s0
	s_sub_i32 s7, 0, s0
	s_ashr_i32 s2, s2, 31
	v_rcp_iflag_f32_e32 v0, v0
	v_mul_f32_e32 v0, 0x4f7ffffe, v0
	v_cvt_u32_f32_e32 v0, v0
	v_readfirstlane_b32 s1, v0
	s_mul_i32 s7, s7, s1
	s_mul_hi_u32 s7, s1, s7
	s_add_i32 s1, s1, s7
	s_mul_hi_u32 s1, s10, s1
	s_mul_i32 s7, s1, s0
	s_sub_i32 s7, s10, s7
	s_add_i32 s10, s1, 1
	s_sub_i32 s11, s7, s0
	s_cmp_ge_u32 s7, s0
	s_cselect_b32 s1, s10, s1
	s_cselect_b32 s7, s11, s7
	s_add_i32 s10, s1, 1
	s_cmp_ge_u32 s7, s0
	s_cselect_b32 s0, s10, s1
	s_abs_i32 s17, s6
	s_xor_b32 s0, s0, s2
	s_sub_i32 s10, s0, s2
	s_load_dwordx2 s[0:1], s[4:5], 0x50
	s_abs_i32 s2, s10
	v_cvt_f32_u32_e32 v0, s2
	s_sub_i32 s11, 0, s2
	v_rcp_iflag_f32_e32 v0, v0
	v_mul_f32_e32 v0, 0x4f7ffffe, v0
	v_cvt_u32_f32_e32 v0, v0
	v_readfirstlane_b32 s7, v0
	s_mul_i32 s11, s11, s7
	s_mul_hi_u32 s11, s7, s11
	s_add_i32 s7, s7, s11
	s_waitcnt lgkmcnt(0)
	s_cmp_eq_u64 s[0:1], 0
	s_mul_hi_u32 s16, s17, s7
	s_cbranch_scc1 .LBB388_3
; %bb.2:
	s_ashr_i32 s7, s6, 31
	s_lshl_b64 s[12:13], s[6:7], 2
	s_add_u32 s0, s0, s12
	s_addc_u32 s1, s1, s13
	s_load_dword s36, s[0:1], 0x0
.LBB388_3:
	s_clause 0x1
	s_load_dwordx2 s[26:27], s[4:5], 0x38
	s_load_dwordx4 s[12:15], s[4:5], 0x58
	s_ashr_i32 s0, s6, 31
	s_ashr_i32 s1, s10, 31
	s_mul_i32 s10, s6, 0x50
	s_mov_b32 s7, exec_lo
	v_cmpx_gt_u32_e32 10, v12
	s_cbranch_execz .LBB388_5
; %bb.4:
	s_load_dwordx2 s[18:19], s[4:5], 0x18
	s_waitcnt lgkmcnt(0)
	s_mul_i32 s20, s12, s28
	v_lshlrev_b32_e32 v4, 4, v12
	s_ashr_i32 s21, s20, 31
	s_lshl_b64 s[20:21], s[20:21], 1
	s_add_u32 s12, s18, s20
	s_addc_u32 s15, s19, s21
	s_ashr_i32 s11, s10, 31
	s_lshl_b64 s[18:19], s[10:11], 1
	s_add_u32 s18, s12, s18
	s_addc_u32 s19, s15, s19
	global_load_dwordx4 v[0:3], v4, s[18:19]
	s_waitcnt vmcnt(0)
	ds_write_b128 v4, v[0:3]
.LBB388_5:
	s_or_b32 exec_lo, exec_lo, s7
	s_add_i32 s7, s29, 31
	s_waitcnt lgkmcnt(0)
	s_lshl_b32 s15, s8, 4
	s_ashr_i32 s11, s7, 31
	s_xor_b32 s0, s0, s1
	s_lshr_b32 s11, s11, 27
	s_mul_i32 s1, s16, s2
	s_add_i32 s7, s7, s11
	s_add_i32 s11, s15, 16
	s_ashr_i32 s12, s7, 5
	s_sub_i32 s1, s17, s1
	s_clause 0x3
	s_load_dwordx4 s[20:23], s[4:5], 0x0
	s_load_dwordx2 s[24:25], s[4:5], 0x10
	s_load_dwordx2 s[30:31], s[4:5], 0x28
	s_load_dword s34, s[4:5], 0x48
	s_min_i32 s11, s11, s12
	s_add_i32 s7, s16, 1
	s_sub_i32 s17, s1, s2
	s_cmp_ge_u32 s1, s2
	v_lshrrev_b32_e32 v0, 5, v12
	s_cselect_b32 s35, s7, s16
	s_cselect_b32 s1, s17, s1
	s_clause 0x1
	s_load_dword s7, s[4:5], 0x98
	s_load_dwordx4 s[16:19], s[4:5], 0x68
	s_add_i32 s37, s35, 1
	s_cmp_ge_u32 s1, s2
	buffer_store_dword v0, off, s[44:47], 0 offset:228 ; 4-byte Folded Spill
	v_add_nc_u32_e32 v9, s15, v0
	v_and_b32_e32 v0, 31, v12
	s_cselect_b32 s1, s37, s35
	v_mov_b32_e32 v98, 0xff7fffff
	s_xor_b32 s1, s1, s0
	v_ashrrev_i32_e32 v10, 31, v9
	s_sub_i32 s1, s1, s0
	v_cmp_gt_i32_e64 s0, s11, v9
	v_lshlrev_b32_e32 v27, 2, v0
	s_waitcnt lgkmcnt(0)
	s_mul_i32 s34, s34, s28
	s_mul_i32 s14, s1, s14
	s_ashr_i32 s35, s34, 31
	s_waitcnt_vscnt null, 0x0
	buffer_store_dword v0, off, s[44:47], 0 offset:224 ; 4-byte Folded Spill
	s_barrier
	s_waitcnt_vscnt null, 0x0
	buffer_gl0_inv
	s_mov_b32 s37, exec_lo
	s_and_b32 s1, s37, s0
	buffer_store_dword v12, off, s[44:47], 0 offset:232 ; 4-byte Folded Spill
	s_mov_b32 exec_lo, s1
	s_cbranch_execz .LBB388_609
; %bb.6:
	v_mov_b32_e32 v2, 0
	s_load_dwordx2 s[4:5], s[4:5], 0x20
	s_ashr_i32 s1, s14, 31
	v_mov_b32_e32 v98, 0xff7fffff
	v_mov_b32_e32 v101, 0x80
	ds_read_b128 v[3:6], v2
	ds_read_b128 v[11:14], v2 offset:16
	ds_read_b128 v[15:18], v2 offset:32
	ds_read_b128 v[19:22], v2 offset:48
	ds_read_b128 v[23:26], v2 offset:64
	buffer_load_dword v8, off, s[44:47], 0 offset:224 ; 4-byte Folded Reload
	s_load_dword s16, s[16:17], 0x0
	v_mov_b32_e32 v102, 0xffff
	v_mov_b32_e32 v103, 0xff
	;; [unrolled: 1-line block ×5, first 2 shown]
	s_mov_b32 s39, s13
	s_mov_b32 s17, 0
	buffer_store_dword v27, off, s[44:47], 0 offset:236 ; 4-byte Folded Spill
	s_waitcnt lgkmcnt(0)
	s_add_u32 s2, s4, s14
	v_lshlrev_b32_e32 v0, 16, v3
	s_addc_u32 s1, s5, s1
	s_lshl_b64 s[4:5], s[34:35], 2
	s_sub_i32 s38, 1, s29
	s_add_u32 s4, s26, s4
	buffer_store_dword v0, off, s[44:47], 0 ; 4-byte Folded Spill
	v_and_b32_e32 v0, 0xffff0000, v3
	s_addc_u32 s5, s27, s5
	buffer_store_dword v0, off, s[44:47], 0 offset:4 ; 4-byte Folded Spill
	v_lshlrev_b32_e32 v0, 16, v4
	buffer_store_dword v0, off, s[44:47], 0 offset:8 ; 4-byte Folded Spill
	v_and_b32_e32 v0, 0xffff0000, v4
	buffer_store_dword v0, off, s[44:47], 0 offset:12 ; 4-byte Folded Spill
	v_lshlrev_b32_e32 v0, 16, v5
	buffer_store_dword v0, off, s[44:47], 0 offset:16 ; 4-byte Folded Spill
	v_and_b32_e32 v0, 0xffff0000, v5
	buffer_store_dword v0, off, s[44:47], 0 offset:20 ; 4-byte Folded Spill
	v_lshlrev_b32_e32 v0, 16, v6
	buffer_store_dword v0, off, s[44:47], 0 offset:24 ; 4-byte Folded Spill
	v_and_b32_e32 v0, 0xffff0000, v6
	ds_read_b128 v[3:6], v2 offset:80
	buffer_store_dword v0, off, s[44:47], 0 offset:28 ; 4-byte Folded Spill
	v_lshlrev_b32_e32 v0, 16, v11
	buffer_store_dword v0, off, s[44:47], 0 offset:32 ; 4-byte Folded Spill
	v_and_b32_e32 v0, 0xffff0000, v11
	buffer_store_dword v0, off, s[44:47], 0 offset:36 ; 4-byte Folded Spill
	v_lshlrev_b32_e32 v0, 16, v12
	buffer_store_dword v0, off, s[44:47], 0 offset:40 ; 4-byte Folded Spill
	v_and_b32_e32 v0, 0xffff0000, v12
	buffer_store_dword v0, off, s[44:47], 0 offset:44 ; 4-byte Folded Spill
	v_lshlrev_b32_e32 v0, 16, v13
	buffer_store_dword v0, off, s[44:47], 0 offset:48 ; 4-byte Folded Spill
	v_and_b32_e32 v0, 0xffff0000, v13
	buffer_store_dword v0, off, s[44:47], 0 offset:52 ; 4-byte Folded Spill
	v_lshlrev_b32_e32 v0, 16, v14
	buffer_store_dword v0, off, s[44:47], 0 offset:56 ; 4-byte Folded Spill
	v_and_b32_e32 v0, 0xffff0000, v14
	ds_read_b128 v[11:14], v2 offset:96
	buffer_store_dword v0, off, s[44:47], 0 offset:60 ; 4-byte Folded Spill
	v_lshlrev_b32_e32 v0, 16, v15
	buffer_store_dword v0, off, s[44:47], 0 offset:64 ; 4-byte Folded Spill
	v_and_b32_e32 v0, 0xffff0000, v15
	;; [unrolled: 17-line block ×3, first 2 shown]
	buffer_store_dword v0, off, s[44:47], 0 offset:100 ; 4-byte Folded Spill
	v_lshlrev_b32_e32 v0, 16, v20
	buffer_store_dword v0, off, s[44:47], 0 offset:104 ; 4-byte Folded Spill
	v_and_b32_e32 v0, 0xffff0000, v20
	buffer_store_dword v0, off, s[44:47], 0 offset:108 ; 4-byte Folded Spill
	v_lshlrev_b32_e32 v0, 16, v21
	buffer_store_dword v0, off, s[44:47], 0 offset:112 ; 4-byte Folded Spill
	v_and_b32_e32 v0, 0xffff0000, v21
	;; [unrolled: 4-line block ×3, first 2 shown]
	ds_read_b128 v[19:22], v2 offset:128
	s_waitcnt lgkmcnt(1)
	v_lshlrev_b32_e32 v74, 16, v15
	v_and_b32_e32 v75, 0xffff0000, v15
	v_lshlrev_b32_e32 v76, 16, v16
	buffer_store_dword v0, off, s[44:47], 0 offset:124 ; 4-byte Folded Spill
	v_lshlrev_b32_e32 v0, 16, v23
	v_and_b32_e32 v77, 0xffff0000, v16
	v_lshlrev_b32_e32 v78, 16, v17
	v_and_b32_e32 v79, 0xffff0000, v17
	v_lshlrev_b32_e32 v80, 16, v18
	buffer_store_dword v0, off, s[44:47], 0 offset:128 ; 4-byte Folded Spill
	v_and_b32_e32 v0, 0xffff0000, v23
	v_and_b32_e32 v81, 0xffff0000, v18
	buffer_store_dword v0, off, s[44:47], 0 offset:132 ; 4-byte Folded Spill
	v_lshlrev_b32_e32 v0, 16, v24
	s_waitcnt lgkmcnt(0)
	v_lshlrev_b32_e32 v82, 16, v19
	v_and_b32_e32 v83, 0xffff0000, v19
	buffer_store_dword v0, off, s[44:47], 0 offset:136 ; 4-byte Folded Spill
	v_and_b32_e32 v0, 0xffff0000, v24
	v_lshlrev_b32_e32 v84, 16, v20
	v_and_b32_e32 v85, 0xffff0000, v20
	v_lshlrev_b32_e32 v86, 16, v21
	v_and_b32_e32 v87, 0xffff0000, v21
	buffer_store_dword v0, off, s[44:47], 0 offset:140 ; 4-byte Folded Spill
	v_lshlrev_b32_e32 v0, 16, v25
	v_lshlrev_b32_e32 v88, 16, v22
	v_and_b32_e32 v89, 0xffff0000, v22
	buffer_store_dword v0, off, s[44:47], 0 offset:144 ; 4-byte Folded Spill
	v_and_b32_e32 v0, 0xffff0000, v25
	buffer_store_dword v0, off, s[44:47], 0 offset:148 ; 4-byte Folded Spill
	v_lshlrev_b32_e32 v0, 16, v26
	buffer_store_dword v0, off, s[44:47], 0 offset:152 ; 4-byte Folded Spill
	v_and_b32_e32 v0, 0xffff0000, v26
	buffer_store_dword v0, off, s[44:47], 0 offset:156 ; 4-byte Folded Spill
	v_lshlrev_b32_e32 v0, 16, v3
	buffer_store_dword v0, off, s[44:47], 0 offset:160 ; 4-byte Folded Spill
	v_and_b32_e32 v0, 0xffff0000, v3
	buffer_store_dword v0, off, s[44:47], 0 offset:164 ; 4-byte Folded Spill
	v_lshlrev_b32_e32 v0, 16, v4
	buffer_store_dword v0, off, s[44:47], 0 offset:168 ; 4-byte Folded Spill
	v_and_b32_e32 v0, 0xffff0000, v4
	buffer_store_dword v0, off, s[44:47], 0 offset:172 ; 4-byte Folded Spill
	v_lshlrev_b32_e32 v0, 16, v5
	buffer_store_dword v0, off, s[44:47], 0 offset:176 ; 4-byte Folded Spill
	v_and_b32_e32 v0, 0xffff0000, v5
	buffer_store_dword v0, off, s[44:47], 0 offset:180 ; 4-byte Folded Spill
	v_lshlrev_b32_e32 v0, 16, v6
	buffer_store_dword v0, off, s[44:47], 0 offset:184 ; 4-byte Folded Spill
	v_and_b32_e32 v0, 0xffff0000, v6
	ds_read_b128 v[3:6], v2 offset:144
	buffer_store_dword v0, off, s[44:47], 0 offset:188 ; 4-byte Folded Spill
	v_lshlrev_b32_e32 v0, 16, v11
	buffer_store_dword v0, off, s[44:47], 0 offset:192 ; 4-byte Folded Spill
	v_and_b32_e32 v0, 0xffff0000, v11
	buffer_store_dword v0, off, s[44:47], 0 offset:196 ; 4-byte Folded Spill
	v_lshlrev_b32_e32 v0, 16, v12
	s_waitcnt lgkmcnt(0)
	v_lshlrev_b32_e32 v94, 16, v5
	v_and_b32_e32 v95, 0xffff0000, v5
	buffer_load_dword v5, off, s[44:47], 0 offset:228 ; 4-byte Folded Reload
	buffer_store_dword v0, off, s[44:47], 0 offset:200 ; 4-byte Folded Spill
	v_and_b32_e32 v0, 0xffff0000, v12
	v_lshlrev_b32_e32 v90, 16, v3
	v_and_b32_e32 v91, 0xffff0000, v3
	v_lshlrev_b32_e32 v92, 16, v4
	v_and_b32_e32 v93, 0xffff0000, v4
	buffer_store_dword v0, off, s[44:47], 0 offset:204 ; 4-byte Folded Spill
	v_lshlrev_b32_e32 v0, 16, v13
	v_lshlrev_b32_e32 v96, 16, v6
	v_and_b32_e32 v97, 0xffff0000, v6
	buffer_store_dword v0, off, s[44:47], 0 offset:208 ; 4-byte Folded Spill
	v_and_b32_e32 v0, 0xffff0000, v13
	buffer_store_dword v0, off, s[44:47], 0 offset:212 ; 4-byte Folded Spill
	v_lshlrev_b32_e32 v0, 16, v14
	buffer_store_dword v0, off, s[44:47], 0 offset:216 ; 4-byte Folded Spill
	v_and_b32_e32 v0, 0xffff0000, v14
	buffer_store_dword v0, off, s[44:47], 0 offset:220 ; 4-byte Folded Spill
	v_lshlrev_b64 v[0:1], 2, v[9:10]
	v_add_co_u32 v3, vcc_lo, s4, v0
	s_waitcnt vmcnt(1)
	v_lshlrev_b32_e32 v0, 4, v8
	v_add_co_ci_u32_e64 v4, null, s5, v1, vcc_lo
	v_cmp_neq_f32_e64 vcc_lo, s36, 0
	s_mov_b32 s4, -1
	s_mov_b32 s5, 0xffffff
	s_waitcnt vmcnt(0)
	v_lshlrev_b32_e32 v1, 5, v5
	v_lshl_or_b32 v7, v5, 7, v27
	v_add_co_u32 v5, s2, s2, v0
	v_add_co_ci_u32_e64 v6, null, s1, 0, s2
	v_add3_u32 v99, s33, v1, v8
	v_add_nc_u32_e32 v100, 0xc0, v7
	s_branch .LBB388_11
.LBB388_7:                              ;   in Loop: Header=BB388_11 Depth=1
	s_or_b32 exec_lo, exec_lo, s42
	v_lshlrev_b32_sdwa v8, v105, v8 dst_sel:DWORD dst_unused:UNUSED_PAD src0_sel:DWORD src1_sel:BYTE_3
	v_lshlrev_b32_e32 v1, 20, v1
	v_lshl_add_u32 v7, v7, 23, 0x3c000000
	v_and_b32_e32 v8, 0x80000000, v8
	v_or3_b32 v70, v1, v8, v7
.LBB388_8:                              ;   in Loop: Header=BB388_11 Depth=1
	s_or_b32 exec_lo, exec_lo, s41
.LBB388_9:                              ;   in Loop: Header=BB388_11 Depth=1
	s_or_b32 exec_lo, exec_lo, s40
.LBB388_10:                             ;   in Loop: Header=BB388_11 Depth=1
	s_or_b32 exec_lo, exec_lo, s2
	v_mul_f32_e32 v1, s16, v67
	v_mul_f32_e32 v55, s16, v55
	v_mul_f32_e32 v53, s16, v53
	v_mul_f32_e32 v52, s16, v52
	v_mul_f32_e32 v51, s16, v51
	v_bfe_u32 v7, v1, 16, 1
	v_or_b32_e32 v8, 0x400000, v1
	v_cmp_u_f32_e64 s1, v1, v1
	v_mul_f32_e32 v50, s16, v50
	v_mul_f32_e32 v49, s16, v49
	v_add3_u32 v7, v7, v1, 0x7fff
	v_mul_f32_e32 v47, s16, v47
	v_mul_f32_e32 v45, s16, v45
	v_mul_f32_e32 v44, s16, v44
	v_mul_f32_e32 v43, s16, v43
	v_cndmask_b32_e64 v1, v7, v8, s1
	v_mul_f32_e32 v7, s16, v62
	v_mul_f32_e32 v42, s16, v42
	v_mul_f32_e32 v41, s16, v41
	v_mul_f32_e32 v39, s16, v39
	v_mul_f32_e32 v37, s16, v37
	v_bfe_u32 v8, v7, 16, 1
	v_or_b32_e32 v11, 0x400000, v7
	v_cmp_u_f32_e64 s1, v7, v7
	v_mul_f32_e32 v36, s16, v36
	v_mul_f32_e32 v35, s16, v35
	v_add3_u32 v8, v8, v7, 0x7fff
	v_mul_f32_e32 v34, s16, v34
	v_mul_f32_e32 v33, s16, v33
	v_mul_f32_e32 v31, s16, v31
	v_mul_f32_e32 v29, s16, v29
	v_cndmask_b32_e64 v7, v8, v11, s1
	;; [unrolled: 16-line block ×3, first 2 shown]
	v_bfe_u32 v11, v8, 16, 1
	v_or_b32_e32 v59, 0x400000, v8
	v_cmp_u_f32_e64 s1, v8, v8
	v_mul_f32_e32 v14, s16, v14
	v_mul_f32_e32 v13, s16, v13
	v_add3_u32 v11, v11, v8, 0x7fff
	v_mul_f32_e32 v8, s16, v58
	v_and_b32_e32 v12, 0xffff0000, v12
	v_and_b32_e32 v7, 0xffff0000, v7
	v_and_b32_e32 v1, 0xffff0000, v1
	v_cndmask_b32_e64 v59, v11, v59, s1
	v_bfe_u32 v11, v8, 16, 1
	v_or_b32_e32 v58, 0x400000, v8
	v_cmp_u_f32_e64 s1, v8, v8
	v_add_nc_u32_e32 v106, 4, v106
	v_add_co_u32 v3, s2, v3, 16
	v_add3_u32 v11, v11, v8, 0x7fff
	v_mul_f32_e32 v8, s16, v57
	v_add_co_ci_u32_e64 v4, null, 0, v4, s2
	v_cndmask_b32_e64 v58, v11, v58, s1
	v_bfe_u32 v11, v8, 16, 1
	v_or_b32_e32 v57, 0x400000, v8
	v_cmp_u_f32_e64 s1, v8, v8
	v_add3_u32 v11, v11, v8, 0x7fff
	v_mul_f32_e32 v8, s16, v65
	v_cndmask_b32_e64 v57, v11, v57, s1
	v_bfe_u32 v11, v8, 16, 1
	v_or_b32_e32 v61, 0x400000, v8
	v_cmp_u_f32_e64 s1, v8, v8
	v_add3_u32 v11, v11, v8, 0x7fff
	v_mul_f32_e32 v8, s16, v69
	v_cndmask_b32_e64 v11, v11, v61, s1
	v_bfe_u32 v61, v8, 16, 1
	v_or_b32_e32 v62, 0x400000, v8
	v_cmp_u_f32_e64 s1, v8, v8
	v_add3_u32 v61, v61, v8, 0x7fff
	v_cndmask_b32_e64 v8, v61, v62, s1
	v_bfe_u32 v61, v55, 16, 1
	v_or_b32_e32 v62, 0x400000, v55
	v_cmp_u_f32_e64 s1, v55, v55
	v_add3_u32 v61, v61, v55, 0x7fff
	;; [unrolled: 5-line block ×6, first 2 shown]
	v_bfe_u32 v50, v49, 16, 1
	v_cndmask_b32_e64 v61, v61, v62, s1
	v_add3_u32 v50, v50, v49, 0x7fff
	v_or_b32_e32 v62, 0x400000, v49
	v_cmp_u_f32_e64 s1, v49, v49
	v_mul_f32_e32 v49, s16, v54
	v_cndmask_b32_e64 v62, v50, v62, s1
	v_bfe_u32 v50, v49, 16, 1
	v_or_b32_e32 v54, 0x400000, v49
	v_cmp_u_f32_e64 s1, v49, v49
	v_add3_u32 v50, v50, v49, 0x7fff
	v_cndmask_b32_e64 v49, v50, v54, s1
	v_mul_f32_e32 v50, s16, v56
	v_bfe_u32 v54, v50, 16, 1
	v_or_b32_e32 v56, 0x400000, v50
	v_cmp_u_f32_e64 s1, v50, v50
	v_add3_u32 v54, v54, v50, 0x7fff
	v_cndmask_b32_e64 v50, v54, v56, s1
	v_bfe_u32 v54, v47, 16, 1
	v_or_b32_e32 v56, 0x400000, v47
	v_cmp_u_f32_e64 s1, v47, v47
	v_add3_u32 v54, v54, v47, 0x7fff
	v_cndmask_b32_e64 v47, v54, v56, s1
	;; [unrolled: 5-line block ×5, first 2 shown]
	v_bfe_u32 v54, v42, 16, 1
	v_or_b32_e32 v56, 0x400000, v42
	v_cmp_u_f32_e64 s1, v42, v42
	v_add3_u32 v54, v54, v42, 0x7fff
	v_bfe_u32 v42, v41, 16, 1
	v_cndmask_b32_e64 v54, v54, v56, s1
	v_add3_u32 v42, v42, v41, 0x7fff
	v_or_b32_e32 v56, 0x400000, v41
	v_cmp_u_f32_e64 s1, v41, v41
	v_mul_f32_e32 v41, s16, v46
	v_cndmask_b32_e64 v56, v42, v56, s1
	v_bfe_u32 v42, v41, 16, 1
	v_or_b32_e32 v46, 0x400000, v41
	v_cmp_u_f32_e64 s1, v41, v41
	v_add3_u32 v42, v42, v41, 0x7fff
	v_cndmask_b32_e64 v41, v42, v46, s1
	v_mul_f32_e32 v42, s16, v48
	v_bfe_u32 v46, v42, 16, 1
	v_or_b32_e32 v48, 0x400000, v42
	v_cmp_u_f32_e64 s1, v42, v42
	v_add3_u32 v46, v46, v42, 0x7fff
	v_cndmask_b32_e64 v42, v46, v48, s1
	v_bfe_u32 v46, v39, 16, 1
	v_or_b32_e32 v48, 0x400000, v39
	v_cmp_u_f32_e64 s1, v39, v39
	v_add3_u32 v46, v46, v39, 0x7fff
	v_cndmask_b32_e64 v39, v46, v48, s1
	;; [unrolled: 5-line block ×6, first 2 shown]
	v_bfe_u32 v46, v33, 16, 1
	v_or_b32_e32 v48, 0x400000, v33
	v_cmp_u_f32_e64 s1, v33, v33
	v_add3_u32 v46, v46, v33, 0x7fff
	v_mul_f32_e32 v33, s16, v38
	v_cndmask_b32_e64 v46, v46, v48, s1
	v_bfe_u32 v38, v33, 16, 1
	v_or_b32_e32 v48, 0x400000, v33
	v_cmp_u_f32_e64 s1, v33, v33
	v_add3_u32 v38, v38, v33, 0x7fff
	v_cndmask_b32_e64 v33, v38, v48, s1
	v_mul_f32_e32 v38, s16, v40
	v_bfe_u32 v40, v38, 16, 1
	v_or_b32_e32 v48, 0x400000, v38
	v_cmp_u_f32_e64 s1, v38, v38
	v_add3_u32 v40, v40, v38, 0x7fff
	v_cndmask_b32_e64 v38, v40, v48, s1
	v_bfe_u32 v40, v31, 16, 1
	v_or_b32_e32 v48, 0x400000, v31
	v_cmp_u_f32_e64 s1, v31, v31
	v_add3_u32 v40, v40, v31, 0x7fff
	v_cndmask_b32_e64 v31, v40, v48, s1
	;; [unrolled: 5-line block ×6, first 2 shown]
	v_bfe_u32 v40, v25, 16, 1
	v_or_b32_e32 v48, 0x400000, v25
	v_cmp_u_f32_e64 s1, v25, v25
	v_add3_u32 v40, v40, v25, 0x7fff
	v_mul_f32_e32 v25, s16, v30
	v_cndmask_b32_e64 v40, v40, v48, s1
	v_bfe_u32 v30, v25, 16, 1
	v_or_b32_e32 v48, 0x400000, v25
	v_cmp_u_f32_e64 s1, v25, v25
	v_add3_u32 v30, v30, v25, 0x7fff
	v_cndmask_b32_e64 v25, v30, v48, s1
	v_mul_f32_e32 v30, s16, v32
	v_bfe_u32 v32, v30, 16, 1
	v_or_b32_e32 v48, 0x400000, v30
	v_cmp_u_f32_e64 s1, v30, v30
	v_add3_u32 v32, v32, v30, 0x7fff
	v_cndmask_b32_e64 v30, v32, v48, s1
	v_bfe_u32 v32, v21, 16, 1
	v_or_b32_e32 v48, 0x400000, v21
	v_cmp_u_f32_e64 s1, v21, v21
	v_add3_u32 v32, v32, v21, 0x7fff
	v_cndmask_b32_e64 v21, v32, v48, s1
	;; [unrolled: 5-line block ×5, first 2 shown]
	v_bfe_u32 v32, v0, 16, 1
	v_or_b32_e32 v48, 0x400000, v0
	v_cmp_u_f32_e64 s1, v0, v0
	v_and_b32_e32 v17, 0xffff0000, v17
	v_add3_u32 v32, v32, v0, 0x7fff
	v_mul_f32_e32 v0, s16, v16
	v_cndmask_b32_e64 v32, v32, v48, s1
	v_bfe_u32 v16, v0, 16, 1
	v_or_b32_e32 v48, 0x400000, v0
	v_cmp_u_f32_e64 s1, v0, v0
	v_and_b32_e32 v32, 0xffff0000, v32
	v_add3_u32 v16, v16, v0, 0x7fff
	v_mul_f32_e32 v0, s16, v20
	v_cndmask_b32_e64 v48, v16, v48, s1
	;; [unrolled: 7-line block ×3, first 2 shown]
	v_bfe_u32 v16, v0, 16, 1
	v_or_b32_e32 v24, 0x400000, v0
	v_cmp_u_f32_e64 s1, v0, v0
	v_add3_u32 v16, v16, v0, 0x7fff
	v_mul_f32_e32 v0, s16, v22
	v_cndmask_b32_e64 v24, v16, v24, s1
	v_bfe_u32 v16, v0, 16, 1
	v_or_b32_e32 v22, 0x400000, v0
	v_cmp_u_f32_e64 s1, v0, v0
	v_add3_u32 v16, v16, v0, 0x7fff
	v_mul_f32_e32 v0, s16, v127
	v_cndmask_b32_e64 v71, v16, v22, s1
	v_bfe_u32 v16, v0, 16, 1
	v_or_b32_e32 v22, 0x400000, v0
	v_cmp_u_f32_e64 s1, v0, v0
	v_add3_u32 v16, v16, v0, 0x7fff
	v_mul_f32_e32 v0, s16, v126
	v_cndmask_b32_e64 v127, v16, v22, s1
	v_bfe_u32 v16, v0, 16, 1
	v_or_b32_e32 v22, 0x400000, v0
	v_cmp_u_f32_e64 s1, v0, v0
	v_add3_u32 v16, v16, v0, 0x7fff
	v_mul_f32_e32 v0, s16, v125
	v_cndmask_b32_e64 v126, v16, v22, s1
	v_bfe_u32 v16, v0, 16, 1
	v_or_b32_e32 v22, 0x400000, v0
	v_cmp_u_f32_e64 s1, v0, v0
	v_add3_u32 v16, v16, v0, 0x7fff
	v_mul_f32_e32 v0, s16, v124
	v_cndmask_b32_e64 v125, v16, v22, s1
	v_bfe_u32 v16, v0, 16, 1
	v_or_b32_e32 v22, 0x400000, v0
	v_cmp_u_f32_e64 s1, v0, v0
	v_add3_u32 v16, v16, v0, 0x7fff
	v_mul_f32_e32 v0, s16, v123
	v_cndmask_b32_e64 v124, v16, v22, s1
	v_bfe_u32 v16, v0, 16, 1
	v_or_b32_e32 v22, 0x400000, v0
	v_cmp_u_f32_e64 s1, v0, v0
	v_add3_u32 v16, v16, v0, 0x7fff
	v_mul_f32_e32 v0, s16, v15
	v_cndmask_b32_e64 v73, v16, v22, s1
	v_bfe_u32 v15, v0, 16, 1
	v_or_b32_e32 v16, 0x400000, v0
	v_cmp_u_f32_e64 s1, v0, v0
	v_add3_u32 v15, v15, v0, 0x7fff
	v_mul_f32_e32 v0, s16, v23
	v_cndmask_b32_e64 v123, v15, v16, s1
	v_bfe_u32 v15, v0, 16, 1
	v_or_b32_e32 v16, 0x400000, v0
	v_cmp_u_f32_e64 s1, v0, v0
	v_add3_u32 v15, v15, v0, 0x7fff
	v_mul_f32_e32 v0, s16, v121
	v_cndmask_b32_e64 v72, v15, v16, s1
	v_bfe_u32 v15, v0, 16, 1
	v_or_b32_e32 v16, 0x400000, v0
	v_cmp_u_f32_e64 s1, v0, v0
	v_add3_u32 v15, v15, v0, 0x7fff
	v_mul_f32_e32 v0, s16, v118
	v_cndmask_b32_e64 v23, v15, v16, s1
	v_bfe_u32 v15, v0, 16, 1
	v_or_b32_e32 v16, 0x400000, v0
	v_cmp_u_f32_e64 s1, v0, v0
	v_and_b32_e32 v23, 0xffff0000, v23
	v_add3_u32 v15, v15, v0, 0x7fff
	v_mul_f32_e32 v0, s16, v119
	v_cndmask_b32_e64 v118, v15, v16, s1
	v_bfe_u32 v15, v0, 16, 1
	v_or_b32_e32 v16, 0x400000, v0
	v_cmp_u_f32_e64 s1, v0, v0
	v_add3_u32 v15, v15, v0, 0x7fff
	v_mul_f32_e32 v0, s16, v117
	v_cndmask_b32_e64 v65, v15, v16, s1
	v_bfe_u32 v15, v0, 16, 1
	v_or_b32_e32 v16, 0x400000, v0
	v_cmp_u_f32_e64 s1, v0, v0
	;; [unrolled: 6-line block ×15, first 2 shown]
	v_add3_u32 v15, v15, v0, 0x7fff
	v_cndmask_b32_e64 v0, v15, v16, s1
	v_mul_f32_e32 v15, s16, v64
	buffer_load_dword v64, off, s[44:47], 0 offset:32 ; 4-byte Folded Reload
	v_and_b32_e32 v0, 0xffff0000, v0
	v_bfe_u32 v16, v15, 16, 1
	v_or_b32_e32 v22, 0x400000, v15
	v_cmp_u_f32_e64 s1, v15, v15
	v_add3_u32 v16, v16, v15, 0x7fff
	v_cndmask_b32_e64 v15, v16, v22, s1
	v_mul_f32_e32 v16, s16, v63
	v_bfe_u32 v22, v16, 16, 1
	v_or_b32_e32 v63, 0x400000, v16
	v_cmp_u_f32_e64 s1, v16, v16
	v_add3_u32 v22, v22, v16, 0x7fff
	v_cndmask_b32_e64 v16, v22, v63, s1
	v_mul_f32_e32 v22, s16, v60
	v_bfe_u32 v60, v22, 16, 1
	v_or_b32_e32 v63, 0x400000, v22
	v_cmp_u_f32_e64 s1, v22, v22
	v_add3_u32 v60, v60, v22, 0x7fff
	v_cndmask_b32_e64 v22, v60, v63, s1
	v_bfe_u32 v60, v14, 16, 1
	v_or_b32_e32 v63, 0x400000, v14
	v_cmp_u_f32_e64 s1, v14, v14
	v_add3_u32 v60, v60, v14, 0x7fff
	v_bfe_u32 v14, v13, 16, 1
	v_cndmask_b32_e64 v67, v60, v63, s1
	v_add3_u32 v14, v14, v13, 0x7fff
	v_or_b32_e32 v60, 0x400000, v13
	v_cmp_u_f32_e64 s1, v13, v13
	v_mul_f32_e32 v13, s16, v66
	v_cndmask_b32_e64 v107, v14, v60, s1
	v_bfe_u32 v14, v13, 16, 1
	v_or_b32_e32 v60, 0x400000, v13
	v_cmp_u_f32_e64 s1, v13, v13
	v_add3_u32 v14, v14, v13, 0x7fff
	v_cndmask_b32_e64 v13, v14, v60, s1
	v_mul_f32_e32 v14, s16, v70
	buffer_load_dword v70, off, s[44:47], 0 offset:56 ; 4-byte Folded Reload
	v_bfe_u32 v60, v14, 16, 1
	v_or_b32_e32 v63, 0x400000, v14
	v_cmp_u_f32_e64 s1, v14, v14
	v_add3_u32 v60, v60, v14, 0x7fff
	v_cndmask_b32_e64 v14, v60, v63, s1
	v_and_b32_e32 v60, 0xffff0000, v115
	v_and_b32_e32 v63, 0xffff0000, v120
	v_cmp_gt_i32_e64 s1, s29, v99
	s_waitcnt vmcnt(1)
	v_mul_f32_e32 v66, v64, v60
	s_clause 0x1
	buffer_load_dword v60, off, s[44:47], 0
	buffer_load_dword v64, off, s[44:47], 0 offset:36
	s_waitcnt vmcnt(1)
	v_fmac_f32_e32 v66, v60, v63
	v_and_b32_e32 v60, 0xffff0000, v69
	v_and_b32_e32 v63, 0xffff0000, v108
	buffer_load_dword v108, off, s[44:47], 0 offset:60 ; 4-byte Folded Reload
	s_waitcnt vmcnt(1)
	v_mul_f32_e32 v69, v64, v60
	s_clause 0x1
	buffer_load_dword v60, off, s[44:47], 0 offset:4
	buffer_load_dword v64, off, s[44:47], 0 offset:40
	s_waitcnt vmcnt(1)
	v_fmac_f32_e32 v69, v60, v63
	v_and_b32_e32 v60, 0xffff0000, v117
	v_and_b32_e32 v63, 0xffff0000, v109
	s_waitcnt vmcnt(0)
	v_mul_f32_e32 v68, v64, v60
	s_clause 0x1
	buffer_load_dword v60, off, s[44:47], 0 offset:8
	buffer_load_dword v64, off, s[44:47], 0 offset:44
	s_waitcnt vmcnt(1)
	v_fmac_f32_e32 v68, v60, v63
	v_and_b32_e32 v60, 0xffff0000, v65
	v_and_b32_e32 v63, 0xffff0000, v111
	;; [unrolled: 9-line block ×3, first 2 shown]
	s_waitcnt vmcnt(0)
	v_mul_f32_e32 v64, v64, v60
	buffer_load_dword v60, off, s[44:47], 0 offset:16 ; 4-byte Folded Reload
	s_waitcnt vmcnt(0)
	v_fmac_f32_e32 v64, v60, v63
	buffer_load_dword v63, off, s[44:47], 0 offset:52 ; 4-byte Folded Reload
	v_and_b32_e32 v60, 0xffff0000, v113
	s_waitcnt vmcnt(0)
	v_mul_f32_e32 v23, v63, v23
	buffer_load_dword v63, off, s[44:47], 0 offset:20 ; 4-byte Folded Reload
	s_waitcnt vmcnt(0)
	v_fmac_f32_e32 v23, v63, v60
	v_and_b32_e32 v60, 0xffff0000, v116
	v_and_b32_e32 v63, 0xffff0000, v112
	v_mul_f32_e32 v60, v70, v60
	buffer_load_dword v70, off, s[44:47], 0 offset:24 ; 4-byte Folded Reload
	s_waitcnt vmcnt(0)
	v_fmac_f32_e32 v60, v70, v63
	v_and_b32_e32 v63, 0xffff0000, v119
	v_and_b32_e32 v70, 0xffff0000, v114
	v_mul_f32_e32 v63, v108, v63
	buffer_load_dword v108, off, s[44:47], 0 offset:28 ; 4-byte Folded Reload
	s_waitcnt vmcnt(0)
	v_fmac_f32_e32 v63, v108, v70
	v_and_b32_e32 v70, 0xffff0000, v73
	buffer_load_dword v73, off, s[44:47], 0 offset:64 ; 4-byte Folded Reload
	s_waitcnt vmcnt(0)
	v_fmac_f32_e32 v66, v73, v70
	buffer_load_dword v73, off, s[44:47], 0 offset:68 ; 4-byte Folded Reload
	v_and_b32_e32 v70, 0xffff0000, v124
	s_waitcnt vmcnt(0)
	v_fmac_f32_e32 v69, v73, v70
	buffer_load_dword v73, off, s[44:47], 0 offset:72 ; 4-byte Folded Reload
	v_and_b32_e32 v70, 0xffff0000, v125
	;; [unrolled: 4-line block ×4, first 2 shown]
	s_waitcnt vmcnt(0)
	v_fmac_f32_e32 v64, v73, v70
	v_and_b32_e32 v70, 0xffff0000, v71
	buffer_load_dword v71, off, s[44:47], 0 offset:84 ; 4-byte Folded Reload
	s_waitcnt vmcnt(0)
	v_fmac_f32_e32 v23, v71, v70
	buffer_load_dword v71, off, s[44:47], 0 offset:88 ; 4-byte Folded Reload
	v_and_b32_e32 v70, 0xffff0000, v123
	s_waitcnt vmcnt(0)
	v_fmac_f32_e32 v60, v71, v70
	buffer_load_dword v71, off, s[44:47], 0 offset:92 ; 4-byte Folded Reload
	v_and_b32_e32 v70, 0xffff0000, v72
	s_waitcnt vmcnt(0)
	v_fmac_f32_e32 v63, v71, v70
	buffer_load_dword v70, off, s[44:47], 0 offset:96 ; 4-byte Folded Reload
	s_waitcnt vmcnt(0)
	v_fmac_f32_e32 v66, v70, v48
	buffer_load_dword v48, off, s[44:47], 0 offset:100 ; 4-byte Folded Reload
	;; [unrolled: 3-line block ×3, first 2 shown]
	s_waitcnt vmcnt(0)
	v_fmac_f32_e32 v68, v32, v17
	v_and_b32_e32 v17, 0xffff0000, v18
	buffer_load_dword v18, off, s[44:47], 0 offset:108 ; 4-byte Folded Reload
	s_waitcnt vmcnt(0)
	v_fmac_f32_e32 v65, v18, v17
	buffer_load_dword v18, off, s[44:47], 0 offset:112 ; 4-byte Folded Reload
	v_and_b32_e32 v17, 0xffff0000, v19
	s_waitcnt vmcnt(0)
	v_fmac_f32_e32 v64, v18, v17
	buffer_load_dword v18, off, s[44:47], 0 offset:116 ; 4-byte Folded Reload
	v_and_b32_e32 v17, 0xffff0000, v21
	;; [unrolled: 4-line block ×28, first 2 shown]
	s_waitcnt vmcnt(0)
	v_fmac_f32_e32 v63, v18, v17
	v_and_b32_e32 v17, 0xffff0000, v62
	v_fmac_f32_e32 v66, v74, v17
	v_and_b32_e32 v17, 0xffff0000, v61
	;; [unrolled: 2-line block ×5, first 2 shown]
	v_fmac_f32_e32 v65, v85, v12
	v_fmac_f32_e32 v64, v78, v17
	v_and_b32_e32 v17, 0xffff0000, v55
	v_and_b32_e32 v12, 0xffff0000, v22
	v_fmac_f32_e32 v64, v86, v7
	v_fmac_f32_e32 v23, v79, v17
	v_and_b32_e32 v17, 0xffff0000, v49
	v_and_b32_e32 v7, 0xffff0000, v16
	v_fmac_f32_e32 v23, v87, v1
	v_fmac_f32_e32 v60, v80, v17
	v_and_b32_e32 v17, 0xffff0000, v50
	v_fmac_f32_e32 v65, v93, v7
	v_and_b32_e32 v1, 0xffff0000, v15
	v_fmac_f32_e32 v23, v95, v0
	v_fmac_f32_e32 v63, v81, v17
	v_and_b32_e32 v17, 0xffff0000, v57
	v_fmac_f32_e32 v64, v94, v1
	;; [unrolled: 3-line block ×3, first 2 shown]
	v_and_b32_e32 v17, 0xffff0000, v59
	v_fmac_f32_e32 v68, v84, v17
	v_and_b32_e32 v17, 0xffff0000, v107
	v_fmac_f32_e32 v68, v92, v12
	v_fmac_f32_e32 v66, v90, v17
	v_and_b32_e32 v17, 0xffff0000, v67
	v_fmac_f32_e32 v69, v91, v17
	v_add_f32_e32 v12, v66, v69
	v_add_f32_e32 v7, v12, v68
	;; [unrolled: 1-line block ×3, first 2 shown]
	v_and_b32_e32 v7, 0xffff0000, v11
	v_add_f32_e32 v0, v1, v64
	v_and_b32_e32 v1, 0xffff0000, v8
	v_fmac_f32_e32 v60, v88, v7
	v_add_f32_e32 v0, v0, v23
	v_fmac_f32_e32 v63, v89, v1
	v_and_b32_e32 v1, 0xffff0000, v13
	v_fmac_f32_e32 v60, v96, v1
	v_and_b32_e32 v1, 0xffff0000, v14
	v_add_f32_e32 v0, v0, v60
	v_fmac_f32_e32 v63, v97, v1
	v_add_nc_u32_e32 v1, s38, v99
	v_add_nc_u32_e32 v99, 0x80, v99
	v_add_f32_e32 v0, v0, v63
	v_cvt_f32_i32_e32 v1, v1
	v_mul_f32_e32 v1, s36, v1
	v_cndmask_b32_e32 v1, 0, v1, vcc_lo
	v_fmac_f32_e32 v1, s3, v0
	v_max_f32_e32 v0, v98, v98
	v_max_f32_e32 v0, v0, v1
	v_cndmask_b32_e64 v1, 0, v1, s1
	v_cndmask_b32_e64 v98, v98, v0, s1
	v_cmp_le_i32_e64 s1, s11, v106
	ds_write_b32 v100, v1
	v_add_nc_u32_e32 v100, 0x200, v100
	s_or_b32 s17, s1, s17
	s_andn2_b32 exec_lo, exec_lo, s17
	s_cbranch_execz .LBB388_608
.LBB388_11:                             ; =>This Inner Loop Header: Depth=1
	global_load_dword v0, v[3:4], off
	v_mov_b32_e32 v107, 0
	s_waitcnt vmcnt(0)
	v_mad_i64_i32 v[7:8], null, v0, s39, v[5:6]
	global_load_dwordx2 v[11:12], v[7:8], off
	s_waitcnt vmcnt(0)
	v_cmp_ne_u16_sdwa s1, v11, v2 src0_sel:BYTE_0 src1_sel:DWORD
	s_and_saveexec_b32 s2, s1
	s_cbranch_execz .LBB388_17
; %bb.12:                               ;   in Loop: Header=BB388_11 Depth=1
	v_cmp_ne_u16_sdwa s1, v11, v101 src0_sel:BYTE_0 src1_sel:DWORD
	v_bfrev_b32_e32 v107, 1
	s_and_saveexec_b32 s40, s1
	s_cbranch_execz .LBB388_16
; %bb.13:                               ;   in Loop: Header=BB388_11 Depth=1
	v_and_b32_e32 v0, 0x7f, v11
	v_mov_b32_e32 v107, 0x7f800001
	s_mov_b32 s41, exec_lo
	v_cmpx_ne_u32_e32 0x7f, v0
	s_cbranch_execz .LBB388_15
; %bb.14:                               ;   in Loop: Header=BB388_11 Depth=1
	v_and_b32_e32 v1, 7, v11
	v_cmp_gt_u32_e64 s1, 8, v0
	v_lshrrev_b32_e32 v13, 3, v0
	v_ffbh_u32_e32 v1, v1
	v_min_u32_e32 v1, 32, v1
	v_subrev_nc_u32_e32 v14, 28, v1
	v_sub_nc_u32_e32 v1, 29, v1
	v_cndmask_b32_e64 v0, 0, v14, s1
	v_cndmask_b32_e64 v13, v13, v1, s1
	v_lshlrev_b64 v[0:1], v0, v[11:12]
	v_lshlrev_b32_e32 v1, 24, v11
	v_lshl_add_u32 v13, v13, 23, 0x3c000000
	v_lshlrev_b32_e32 v0, 20, v0
	v_and_b32_e32 v1, 0x80000000, v1
	v_and_b32_e32 v0, 0x700000, v0
	v_or3_b32 v107, v0, v1, v13
.LBB388_15:                             ;   in Loop: Header=BB388_11 Depth=1
	s_or_b32 exec_lo, exec_lo, s41
.LBB388_16:                             ;   in Loop: Header=BB388_11 Depth=1
	s_or_b32 exec_lo, exec_lo, s40
.LBB388_17:                             ;   in Loop: Header=BB388_11 Depth=1
	s_or_b32 exec_lo, exec_lo, s2
	v_cmp_ne_u16_sdwa s1, v11, v2 src0_sel:BYTE_1 src1_sel:DWORD
	v_mov_b32_e32 v109, 0
	v_mov_b32_e32 v108, 0
	s_and_saveexec_b32 s2, s1
	s_cbranch_execz .LBB388_25
; %bb.18:                               ;   in Loop: Header=BB388_11 Depth=1
	v_cmp_ne_u16_sdwa s1, v11, v101 src0_sel:BYTE_1 src1_sel:DWORD
	v_bfrev_b32_e32 v108, 1
	s_and_saveexec_b32 s40, s1
	s_cbranch_execz .LBB388_24
; %bb.19:                               ;   in Loop: Header=BB388_11 Depth=1
	v_and_b32_sdwa v0, v102, v11 dst_sel:DWORD dst_unused:UNUSED_PAD src0_sel:DWORD src1_sel:BYTE_1
	v_mov_b32_e32 v108, 0x7f800001
	s_mov_b32 s41, exec_lo
	v_and_b32_e32 v13, 0x7f, v0
	v_cmpx_ne_u32_e32 0x7f, v13
	s_cbranch_execz .LBB388_23
; %bb.20:                               ;   in Loop: Header=BB388_11 Depth=1
	v_and_b32_e32 v1, 7, v0
	v_lshrrev_b32_e32 v0, 3, v13
	s_mov_b32 s42, exec_lo
	v_cmpx_gt_u32_e32 8, v13
; %bb.21:                               ;   in Loop: Header=BB388_11 Depth=1
	v_ffbh_u32_e32 v0, v1
	v_min_u32_e32 v0, 32, v0
	v_subrev_nc_u32_e32 v13, 28, v0
	v_sub_nc_u32_e32 v0, 29, v0
	v_lshlrev_b64 v[13:14], v13, v[1:2]
	v_and_b32_e32 v1, 7, v13
; %bb.22:                               ;   in Loop: Header=BB388_11 Depth=1
	s_or_b32 exec_lo, exec_lo, s42
	v_lshlrev_b32_e32 v13, 16, v11
	v_lshlrev_b32_e32 v1, 20, v1
	v_lshl_add_u32 v0, v0, 23, 0x3c000000
	v_and_b32_e32 v13, 0x80000000, v13
	v_or3_b32 v108, v1, v13, v0
.LBB388_23:                             ;   in Loop: Header=BB388_11 Depth=1
	s_or_b32 exec_lo, exec_lo, s41
.LBB388_24:                             ;   in Loop: Header=BB388_11 Depth=1
	s_or_b32 exec_lo, exec_lo, s40
.LBB388_25:                             ;   in Loop: Header=BB388_11 Depth=1
	s_or_b32 exec_lo, exec_lo, s2
	v_and_b32_sdwa v0, v11, v103 dst_sel:DWORD dst_unused:UNUSED_PAD src0_sel:WORD_1 src1_sel:DWORD
	s_mov_b32 s2, exec_lo
	v_cmpx_ne_u16_e32 0, v0
	s_cbranch_execz .LBB388_33
; %bb.26:                               ;   in Loop: Header=BB388_11 Depth=1
	v_bfrev_b32_e32 v109, 1
	s_mov_b32 s40, exec_lo
	v_cmpx_ne_u16_e32 0x80, v0
	s_cbranch_execz .LBB388_32
; %bb.27:                               ;   in Loop: Header=BB388_11 Depth=1
	v_bfe_u32 v13, v11, 16, 7
	v_mov_b32_e32 v109, 0x7f800001
	s_mov_b32 s41, exec_lo
	v_cmpx_ne_u32_e32 0x7f, v13
	s_cbranch_execz .LBB388_31
; %bb.28:                               ;   in Loop: Header=BB388_11 Depth=1
	v_and_b32_sdwa v1, v11, v104 dst_sel:DWORD dst_unused:UNUSED_PAD src0_sel:WORD_1 src1_sel:DWORD
	v_lshrrev_b32_e32 v0, 3, v13
	s_mov_b32 s42, exec_lo
	v_cmpx_gt_u32_e32 8, v13
; %bb.29:                               ;   in Loop: Header=BB388_11 Depth=1
	v_ffbh_u32_e32 v0, v1
	v_min_u32_e32 v0, 32, v0
	v_subrev_nc_u32_e32 v13, 28, v0
	v_sub_nc_u32_e32 v0, 29, v0
	v_lshlrev_b64 v[13:14], v13, v[1:2]
	v_and_b32_e32 v1, 7, v13
; %bb.30:                               ;   in Loop: Header=BB388_11 Depth=1
	s_or_b32 exec_lo, exec_lo, s42
	v_lshlrev_b32_sdwa v13, v105, v11 dst_sel:DWORD dst_unused:UNUSED_PAD src0_sel:DWORD src1_sel:WORD_1
	v_lshlrev_b32_e32 v1, 20, v1
	v_lshl_add_u32 v0, v0, 23, 0x3c000000
	v_and_b32_e32 v13, 0x80000000, v13
	v_or3_b32 v109, v1, v13, v0
.LBB388_31:                             ;   in Loop: Header=BB388_11 Depth=1
	s_or_b32 exec_lo, exec_lo, s41
.LBB388_32:                             ;   in Loop: Header=BB388_11 Depth=1
	s_or_b32 exec_lo, exec_lo, s40
.LBB388_33:                             ;   in Loop: Header=BB388_11 Depth=1
	s_or_b32 exec_lo, exec_lo, s2
	v_mov_b32_e32 v110, 0
	v_mov_b32_e32 v111, 0
	s_mov_b32 s2, exec_lo
	v_cmpx_lt_u32_e32 0xffffff, v11
	s_cbranch_execz .LBB388_41
; %bb.34:                               ;   in Loop: Header=BB388_11 Depth=1
	v_cmp_ne_u32_sdwa s1, v11, v101 src0_sel:BYTE_3 src1_sel:DWORD
	v_bfrev_b32_e32 v111, 1
	s_and_saveexec_b32 s40, s1
	s_cbranch_execz .LBB388_40
; %bb.35:                               ;   in Loop: Header=BB388_11 Depth=1
	v_bfe_u32 v13, v11, 24, 7
	v_mov_b32_e32 v111, 0x7f800001
	s_mov_b32 s41, exec_lo
	v_cmpx_ne_u32_e32 0x7f, v13
	s_cbranch_execz .LBB388_39
; %bb.36:                               ;   in Loop: Header=BB388_11 Depth=1
	v_and_b32_sdwa v1, v11, v104 dst_sel:DWORD dst_unused:UNUSED_PAD src0_sel:BYTE_3 src1_sel:DWORD
	v_lshrrev_b32_e32 v0, 3, v13
	s_mov_b32 s42, exec_lo
	v_cmpx_gt_u32_e32 8, v13
; %bb.37:                               ;   in Loop: Header=BB388_11 Depth=1
	v_ffbh_u32_e32 v0, v1
	v_min_u32_e32 v0, 32, v0
	v_subrev_nc_u32_e32 v13, 28, v0
	v_sub_nc_u32_e32 v0, 29, v0
	v_lshlrev_b64 v[13:14], v13, v[1:2]
	v_and_b32_e32 v1, 7, v13
; %bb.38:                               ;   in Loop: Header=BB388_11 Depth=1
	s_or_b32 exec_lo, exec_lo, s42
	v_lshlrev_b32_sdwa v13, v105, v11 dst_sel:DWORD dst_unused:UNUSED_PAD src0_sel:DWORD src1_sel:BYTE_3
	v_lshlrev_b32_e32 v1, 20, v1
	v_lshl_add_u32 v0, v0, 23, 0x3c000000
	v_and_b32_e32 v13, 0x80000000, v13
	v_or3_b32 v111, v1, v13, v0
.LBB388_39:                             ;   in Loop: Header=BB388_11 Depth=1
	s_or_b32 exec_lo, exec_lo, s41
.LBB388_40:                             ;   in Loop: Header=BB388_11 Depth=1
	s_or_b32 exec_lo, exec_lo, s40
.LBB388_41:                             ;   in Loop: Header=BB388_11 Depth=1
	s_or_b32 exec_lo, exec_lo, s2
	v_mov_b32_e32 v1, v12
	v_cmp_ne_u16_sdwa s1, v12, v2 src0_sel:BYTE_0 src1_sel:DWORD
	s_and_saveexec_b32 s2, s1
	s_cbranch_execz .LBB388_47
; %bb.42:                               ;   in Loop: Header=BB388_11 Depth=1
	v_cmp_ne_u16_sdwa s1, v12, v101 src0_sel:BYTE_0 src1_sel:DWORD
	v_bfrev_b32_e32 v110, 1
	s_and_saveexec_b32 s40, s1
	s_cbranch_execz .LBB388_46
; %bb.43:                               ;   in Loop: Header=BB388_11 Depth=1
	v_and_b32_e32 v0, 0x7f, v12
	v_mov_b32_e32 v110, 0x7f800001
	s_mov_b32 s41, exec_lo
	v_cmpx_ne_u32_e32 0x7f, v0
	s_cbranch_execz .LBB388_45
; %bb.44:                               ;   in Loop: Header=BB388_11 Depth=1
	v_and_b32_e32 v13, 7, v12
	v_lshrrev_b32_e32 v14, 3, v0
	v_cmp_gt_u32_e64 s1, 8, v0
	v_ffbh_u32_e32 v13, v13
	v_min_u32_e32 v13, 32, v13
	v_subrev_nc_u32_e32 v15, 28, v13
	v_sub_nc_u32_e32 v13, 29, v13
	v_cndmask_b32_e64 v0, v14, v13, s1
	v_cndmask_b32_e64 v13, 0, v15, s1
	v_lshl_add_u32 v0, v0, 23, 0x3c000000
	v_lshlrev_b64 v[13:14], v13, v[1:2]
	v_lshlrev_b32_e32 v14, 24, v1
	v_lshlrev_b32_e32 v13, 20, v13
	v_and_b32_e32 v14, 0x80000000, v14
	v_and_b32_e32 v13, 0x700000, v13
	v_or3_b32 v110, v13, v14, v0
.LBB388_45:                             ;   in Loop: Header=BB388_11 Depth=1
	s_or_b32 exec_lo, exec_lo, s41
.LBB388_46:                             ;   in Loop: Header=BB388_11 Depth=1
	s_or_b32 exec_lo, exec_lo, s40
.LBB388_47:                             ;   in Loop: Header=BB388_11 Depth=1
	s_or_b32 exec_lo, exec_lo, s2
	v_cmp_ne_u16_sdwa s1, v1, v2 src0_sel:BYTE_1 src1_sel:DWORD
	v_mov_b32_e32 v112, 0
	v_mov_b32_e32 v113, 0
	s_and_saveexec_b32 s2, s1
	s_cbranch_execz .LBB388_55
; %bb.48:                               ;   in Loop: Header=BB388_11 Depth=1
	v_cmp_ne_u16_sdwa s1, v1, v101 src0_sel:BYTE_1 src1_sel:DWORD
	v_bfrev_b32_e32 v113, 1
	s_and_saveexec_b32 s40, s1
	s_cbranch_execz .LBB388_54
; %bb.49:                               ;   in Loop: Header=BB388_11 Depth=1
	v_and_b32_sdwa v0, v102, v1 dst_sel:DWORD dst_unused:UNUSED_PAD src0_sel:DWORD src1_sel:BYTE_1
	v_mov_b32_e32 v113, 0x7f800001
	s_mov_b32 s41, exec_lo
	v_and_b32_e32 v15, 0x7f, v0
	v_cmpx_ne_u32_e32 0x7f, v15
	s_cbranch_execz .LBB388_53
; %bb.50:                               ;   in Loop: Header=BB388_11 Depth=1
	v_and_b32_e32 v13, 7, v0
	v_mov_b32_e32 v14, v2
	v_lshrrev_b32_e32 v0, 3, v15
	s_mov_b32 s42, exec_lo
	v_cmpx_gt_u32_e32 8, v15
; %bb.51:                               ;   in Loop: Header=BB388_11 Depth=1
	v_ffbh_u32_e32 v0, v13
	v_min_u32_e32 v0, 32, v0
	v_subrev_nc_u32_e32 v15, 28, v0
	v_sub_nc_u32_e32 v0, 29, v0
	v_lshlrev_b64 v[13:14], v15, v[13:14]
	v_and_b32_e32 v13, 7, v13
; %bb.52:                               ;   in Loop: Header=BB388_11 Depth=1
	s_or_b32 exec_lo, exec_lo, s42
	v_lshlrev_b32_e32 v1, 16, v1
	v_lshlrev_b32_e32 v13, 20, v13
	v_lshl_add_u32 v0, v0, 23, 0x3c000000
	v_and_b32_e32 v1, 0x80000000, v1
	v_or3_b32 v113, v13, v1, v0
.LBB388_53:                             ;   in Loop: Header=BB388_11 Depth=1
	s_or_b32 exec_lo, exec_lo, s41
.LBB388_54:                             ;   in Loop: Header=BB388_11 Depth=1
	s_or_b32 exec_lo, exec_lo, s40
.LBB388_55:                             ;   in Loop: Header=BB388_11 Depth=1
	s_or_b32 exec_lo, exec_lo, s2
	v_and_b32_sdwa v0, v12, v103 dst_sel:DWORD dst_unused:UNUSED_PAD src0_sel:WORD_1 src1_sel:DWORD
	s_mov_b32 s2, exec_lo
	v_cmpx_ne_u16_e32 0, v0
	s_cbranch_execz .LBB388_63
; %bb.56:                               ;   in Loop: Header=BB388_11 Depth=1
	v_bfrev_b32_e32 v112, 1
	s_mov_b32 s40, exec_lo
	v_cmpx_ne_u16_e32 0x80, v0
	s_cbranch_execz .LBB388_62
; %bb.57:                               ;   in Loop: Header=BB388_11 Depth=1
	v_bfe_u32 v13, v12, 16, 7
	v_mov_b32_e32 v112, 0x7f800001
	s_mov_b32 s41, exec_lo
	v_cmpx_ne_u32_e32 0x7f, v13
	s_cbranch_execz .LBB388_61
; %bb.58:                               ;   in Loop: Header=BB388_11 Depth=1
	v_and_b32_sdwa v1, v12, v104 dst_sel:DWORD dst_unused:UNUSED_PAD src0_sel:WORD_1 src1_sel:DWORD
	v_lshrrev_b32_e32 v0, 3, v13
	s_mov_b32 s42, exec_lo
	v_cmpx_gt_u32_e32 8, v13
; %bb.59:                               ;   in Loop: Header=BB388_11 Depth=1
	v_ffbh_u32_e32 v0, v1
	v_min_u32_e32 v0, 32, v0
	v_subrev_nc_u32_e32 v13, 28, v0
	v_sub_nc_u32_e32 v0, 29, v0
	v_lshlrev_b64 v[13:14], v13, v[1:2]
	v_and_b32_e32 v1, 7, v13
; %bb.60:                               ;   in Loop: Header=BB388_11 Depth=1
	s_or_b32 exec_lo, exec_lo, s42
	v_lshlrev_b32_sdwa v13, v105, v12 dst_sel:DWORD dst_unused:UNUSED_PAD src0_sel:DWORD src1_sel:WORD_1
	v_lshlrev_b32_e32 v1, 20, v1
	v_lshl_add_u32 v0, v0, 23, 0x3c000000
	v_and_b32_e32 v13, 0x80000000, v13
	v_or3_b32 v112, v1, v13, v0
.LBB388_61:                             ;   in Loop: Header=BB388_11 Depth=1
	s_or_b32 exec_lo, exec_lo, s41
.LBB388_62:                             ;   in Loop: Header=BB388_11 Depth=1
	s_or_b32 exec_lo, exec_lo, s40
.LBB388_63:                             ;   in Loop: Header=BB388_11 Depth=1
	s_or_b32 exec_lo, exec_lo, s2
	v_mov_b32_e32 v115, 0
	v_mov_b32_e32 v114, 0
	s_mov_b32 s2, exec_lo
	v_cmpx_lt_u64_e64 s[4:5], v[11:12]
	s_cbranch_execz .LBB388_71
; %bb.64:                               ;   in Loop: Header=BB388_11 Depth=1
	v_cmp_ne_u32_sdwa s1, v12, v101 src0_sel:BYTE_3 src1_sel:DWORD
	v_bfrev_b32_e32 v114, 1
	s_and_saveexec_b32 s40, s1
	s_cbranch_execz .LBB388_70
; %bb.65:                               ;   in Loop: Header=BB388_11 Depth=1
	v_bfe_u32 v11, v12, 24, 7
	v_mov_b32_e32 v114, 0x7f800001
	s_mov_b32 s41, exec_lo
	v_cmpx_ne_u32_e32 0x7f, v11
	s_cbranch_execz .LBB388_69
; %bb.66:                               ;   in Loop: Header=BB388_11 Depth=1
	v_and_b32_sdwa v1, v12, v104 dst_sel:DWORD dst_unused:UNUSED_PAD src0_sel:BYTE_3 src1_sel:DWORD
	v_lshrrev_b32_e32 v0, 3, v11
	s_mov_b32 s42, exec_lo
	v_cmpx_gt_u32_e32 8, v11
; %bb.67:                               ;   in Loop: Header=BB388_11 Depth=1
	v_ffbh_u32_e32 v0, v1
	v_min_u32_e32 v0, 32, v0
	v_subrev_nc_u32_e32 v11, 28, v0
	v_sub_nc_u32_e32 v0, 29, v0
	v_lshlrev_b64 v[13:14], v11, v[1:2]
	v_and_b32_e32 v1, 7, v13
; %bb.68:                               ;   in Loop: Header=BB388_11 Depth=1
	s_or_b32 exec_lo, exec_lo, s42
	v_lshlrev_b32_sdwa v11, v105, v12 dst_sel:DWORD dst_unused:UNUSED_PAD src0_sel:DWORD src1_sel:BYTE_3
	v_lshlrev_b32_e32 v1, 20, v1
	v_lshl_add_u32 v0, v0, 23, 0x3c000000
	v_and_b32_e32 v11, 0x80000000, v11
	v_or3_b32 v114, v1, v11, v0
.LBB388_69:                             ;   in Loop: Header=BB388_11 Depth=1
	s_or_b32 exec_lo, exec_lo, s41
.LBB388_70:                             ;   in Loop: Header=BB388_11 Depth=1
	s_or_b32 exec_lo, exec_lo, s40
.LBB388_71:                             ;   in Loop: Header=BB388_11 Depth=1
	s_or_b32 exec_lo, exec_lo, s2
	global_load_dwordx2 v[11:12], v[7:8], off offset:8
	s_waitcnt vmcnt(0)
	v_cmp_ne_u16_sdwa s1, v11, v2 src0_sel:BYTE_0 src1_sel:DWORD
	s_and_saveexec_b32 s2, s1
	s_cbranch_execz .LBB388_77
; %bb.72:                               ;   in Loop: Header=BB388_11 Depth=1
	v_cmp_ne_u16_sdwa s1, v11, v101 src0_sel:BYTE_0 src1_sel:DWORD
	v_bfrev_b32_e32 v115, 1
	s_and_saveexec_b32 s40, s1
	s_cbranch_execz .LBB388_76
; %bb.73:                               ;   in Loop: Header=BB388_11 Depth=1
	v_and_b32_e32 v0, 0x7f, v11
	v_mov_b32_e32 v115, 0x7f800001
	s_mov_b32 s41, exec_lo
	v_cmpx_ne_u32_e32 0x7f, v0
	s_cbranch_execz .LBB388_75
; %bb.74:                               ;   in Loop: Header=BB388_11 Depth=1
	v_and_b32_e32 v1, 7, v11
	v_cmp_gt_u32_e64 s1, 8, v0
	v_lshrrev_b32_e32 v13, 3, v0
	v_ffbh_u32_e32 v1, v1
	v_min_u32_e32 v1, 32, v1
	v_subrev_nc_u32_e32 v14, 28, v1
	v_sub_nc_u32_e32 v1, 29, v1
	v_cndmask_b32_e64 v0, 0, v14, s1
	v_cndmask_b32_e64 v13, v13, v1, s1
	v_lshlrev_b64 v[0:1], v0, v[11:12]
	v_lshlrev_b32_e32 v1, 24, v11
	v_lshl_add_u32 v13, v13, 23, 0x3c000000
	v_lshlrev_b32_e32 v0, 20, v0
	v_and_b32_e32 v1, 0x80000000, v1
	v_and_b32_e32 v0, 0x700000, v0
	v_or3_b32 v115, v0, v1, v13
.LBB388_75:                             ;   in Loop: Header=BB388_11 Depth=1
	s_or_b32 exec_lo, exec_lo, s41
.LBB388_76:                             ;   in Loop: Header=BB388_11 Depth=1
	s_or_b32 exec_lo, exec_lo, s40
.LBB388_77:                             ;   in Loop: Header=BB388_11 Depth=1
	s_or_b32 exec_lo, exec_lo, s2
	v_cmp_ne_u16_sdwa s1, v11, v2 src0_sel:BYTE_1 src1_sel:DWORD
	v_mov_b32_e32 v117, 0
	v_mov_b32_e32 v116, 0
	s_and_saveexec_b32 s2, s1
	s_cbranch_execz .LBB388_85
; %bb.78:                               ;   in Loop: Header=BB388_11 Depth=1
	v_cmp_ne_u16_sdwa s1, v11, v101 src0_sel:BYTE_1 src1_sel:DWORD
	v_bfrev_b32_e32 v116, 1
	s_and_saveexec_b32 s40, s1
	s_cbranch_execz .LBB388_84
; %bb.79:                               ;   in Loop: Header=BB388_11 Depth=1
	v_and_b32_sdwa v0, v102, v11 dst_sel:DWORD dst_unused:UNUSED_PAD src0_sel:DWORD src1_sel:BYTE_1
	v_mov_b32_e32 v116, 0x7f800001
	s_mov_b32 s41, exec_lo
	v_and_b32_e32 v13, 0x7f, v0
	v_cmpx_ne_u32_e32 0x7f, v13
	s_cbranch_execz .LBB388_83
; %bb.80:                               ;   in Loop: Header=BB388_11 Depth=1
	v_and_b32_e32 v1, 7, v0
	v_lshrrev_b32_e32 v0, 3, v13
	s_mov_b32 s42, exec_lo
	v_cmpx_gt_u32_e32 8, v13
; %bb.81:                               ;   in Loop: Header=BB388_11 Depth=1
	v_ffbh_u32_e32 v0, v1
	v_min_u32_e32 v0, 32, v0
	v_subrev_nc_u32_e32 v13, 28, v0
	v_sub_nc_u32_e32 v0, 29, v0
	v_lshlrev_b64 v[13:14], v13, v[1:2]
	v_and_b32_e32 v1, 7, v13
; %bb.82:                               ;   in Loop: Header=BB388_11 Depth=1
	s_or_b32 exec_lo, exec_lo, s42
	v_lshlrev_b32_e32 v13, 16, v11
	v_lshlrev_b32_e32 v1, 20, v1
	v_lshl_add_u32 v0, v0, 23, 0x3c000000
	v_and_b32_e32 v13, 0x80000000, v13
	v_or3_b32 v116, v1, v13, v0
.LBB388_83:                             ;   in Loop: Header=BB388_11 Depth=1
	s_or_b32 exec_lo, exec_lo, s41
.LBB388_84:                             ;   in Loop: Header=BB388_11 Depth=1
	s_or_b32 exec_lo, exec_lo, s40
.LBB388_85:                             ;   in Loop: Header=BB388_11 Depth=1
	s_or_b32 exec_lo, exec_lo, s2
	v_and_b32_sdwa v0, v11, v103 dst_sel:DWORD dst_unused:UNUSED_PAD src0_sel:WORD_1 src1_sel:DWORD
	s_mov_b32 s2, exec_lo
	v_cmpx_ne_u16_e32 0, v0
	s_cbranch_execz .LBB388_93
; %bb.86:                               ;   in Loop: Header=BB388_11 Depth=1
	v_bfrev_b32_e32 v117, 1
	s_mov_b32 s40, exec_lo
	v_cmpx_ne_u16_e32 0x80, v0
	s_cbranch_execz .LBB388_92
; %bb.87:                               ;   in Loop: Header=BB388_11 Depth=1
	v_bfe_u32 v13, v11, 16, 7
	v_mov_b32_e32 v117, 0x7f800001
	s_mov_b32 s41, exec_lo
	v_cmpx_ne_u32_e32 0x7f, v13
	s_cbranch_execz .LBB388_91
; %bb.88:                               ;   in Loop: Header=BB388_11 Depth=1
	v_and_b32_sdwa v1, v11, v104 dst_sel:DWORD dst_unused:UNUSED_PAD src0_sel:WORD_1 src1_sel:DWORD
	v_lshrrev_b32_e32 v0, 3, v13
	s_mov_b32 s42, exec_lo
	v_cmpx_gt_u32_e32 8, v13
; %bb.89:                               ;   in Loop: Header=BB388_11 Depth=1
	v_ffbh_u32_e32 v0, v1
	v_min_u32_e32 v0, 32, v0
	v_subrev_nc_u32_e32 v13, 28, v0
	v_sub_nc_u32_e32 v0, 29, v0
	v_lshlrev_b64 v[13:14], v13, v[1:2]
	v_and_b32_e32 v1, 7, v13
; %bb.90:                               ;   in Loop: Header=BB388_11 Depth=1
	s_or_b32 exec_lo, exec_lo, s42
	v_lshlrev_b32_sdwa v13, v105, v11 dst_sel:DWORD dst_unused:UNUSED_PAD src0_sel:DWORD src1_sel:WORD_1
	v_lshlrev_b32_e32 v1, 20, v1
	v_lshl_add_u32 v0, v0, 23, 0x3c000000
	v_and_b32_e32 v13, 0x80000000, v13
	v_or3_b32 v117, v1, v13, v0
.LBB388_91:                             ;   in Loop: Header=BB388_11 Depth=1
	s_or_b32 exec_lo, exec_lo, s41
.LBB388_92:                             ;   in Loop: Header=BB388_11 Depth=1
	s_or_b32 exec_lo, exec_lo, s40
.LBB388_93:                             ;   in Loop: Header=BB388_11 Depth=1
	s_or_b32 exec_lo, exec_lo, s2
	v_mov_b32_e32 v118, 0
	v_mov_b32_e32 v119, 0
	s_mov_b32 s2, exec_lo
	v_cmpx_lt_u32_e32 0xffffff, v11
	s_cbranch_execz .LBB388_101
; %bb.94:                               ;   in Loop: Header=BB388_11 Depth=1
	v_cmp_ne_u32_sdwa s1, v11, v101 src0_sel:BYTE_3 src1_sel:DWORD
	v_bfrev_b32_e32 v119, 1
	s_and_saveexec_b32 s40, s1
	s_cbranch_execz .LBB388_100
; %bb.95:                               ;   in Loop: Header=BB388_11 Depth=1
	v_bfe_u32 v13, v11, 24, 7
	v_mov_b32_e32 v119, 0x7f800001
	s_mov_b32 s41, exec_lo
	v_cmpx_ne_u32_e32 0x7f, v13
	s_cbranch_execz .LBB388_99
; %bb.96:                               ;   in Loop: Header=BB388_11 Depth=1
	v_and_b32_sdwa v1, v11, v104 dst_sel:DWORD dst_unused:UNUSED_PAD src0_sel:BYTE_3 src1_sel:DWORD
	v_lshrrev_b32_e32 v0, 3, v13
	s_mov_b32 s42, exec_lo
	v_cmpx_gt_u32_e32 8, v13
; %bb.97:                               ;   in Loop: Header=BB388_11 Depth=1
	v_ffbh_u32_e32 v0, v1
	v_min_u32_e32 v0, 32, v0
	v_subrev_nc_u32_e32 v13, 28, v0
	v_sub_nc_u32_e32 v0, 29, v0
	v_lshlrev_b64 v[13:14], v13, v[1:2]
	v_and_b32_e32 v1, 7, v13
; %bb.98:                               ;   in Loop: Header=BB388_11 Depth=1
	s_or_b32 exec_lo, exec_lo, s42
	v_lshlrev_b32_sdwa v13, v105, v11 dst_sel:DWORD dst_unused:UNUSED_PAD src0_sel:DWORD src1_sel:BYTE_3
	v_lshlrev_b32_e32 v1, 20, v1
	v_lshl_add_u32 v0, v0, 23, 0x3c000000
	v_and_b32_e32 v13, 0x80000000, v13
	v_or3_b32 v119, v1, v13, v0
.LBB388_99:                             ;   in Loop: Header=BB388_11 Depth=1
	s_or_b32 exec_lo, exec_lo, s41
.LBB388_100:                            ;   in Loop: Header=BB388_11 Depth=1
	s_or_b32 exec_lo, exec_lo, s40
.LBB388_101:                            ;   in Loop: Header=BB388_11 Depth=1
	s_or_b32 exec_lo, exec_lo, s2
	v_mov_b32_e32 v1, v12
	v_cmp_ne_u16_sdwa s1, v12, v2 src0_sel:BYTE_0 src1_sel:DWORD
	s_and_saveexec_b32 s2, s1
	s_cbranch_execz .LBB388_107
; %bb.102:                              ;   in Loop: Header=BB388_11 Depth=1
	v_cmp_ne_u16_sdwa s1, v12, v101 src0_sel:BYTE_0 src1_sel:DWORD
	v_bfrev_b32_e32 v118, 1
	s_and_saveexec_b32 s40, s1
	s_cbranch_execz .LBB388_106
; %bb.103:                              ;   in Loop: Header=BB388_11 Depth=1
	v_and_b32_e32 v0, 0x7f, v12
	v_mov_b32_e32 v118, 0x7f800001
	s_mov_b32 s41, exec_lo
	v_cmpx_ne_u32_e32 0x7f, v0
	s_cbranch_execz .LBB388_105
; %bb.104:                              ;   in Loop: Header=BB388_11 Depth=1
	v_and_b32_e32 v13, 7, v12
	v_lshrrev_b32_e32 v14, 3, v0
	v_cmp_gt_u32_e64 s1, 8, v0
	v_ffbh_u32_e32 v13, v13
	v_min_u32_e32 v13, 32, v13
	v_subrev_nc_u32_e32 v15, 28, v13
	v_sub_nc_u32_e32 v13, 29, v13
	v_cndmask_b32_e64 v0, v14, v13, s1
	v_cndmask_b32_e64 v13, 0, v15, s1
	v_lshl_add_u32 v0, v0, 23, 0x3c000000
	v_lshlrev_b64 v[13:14], v13, v[1:2]
	v_lshlrev_b32_e32 v14, 24, v1
	v_lshlrev_b32_e32 v13, 20, v13
	v_and_b32_e32 v14, 0x80000000, v14
	v_and_b32_e32 v13, 0x700000, v13
	v_or3_b32 v118, v13, v14, v0
.LBB388_105:                            ;   in Loop: Header=BB388_11 Depth=1
	s_or_b32 exec_lo, exec_lo, s41
.LBB388_106:                            ;   in Loop: Header=BB388_11 Depth=1
	s_or_b32 exec_lo, exec_lo, s40
.LBB388_107:                            ;   in Loop: Header=BB388_11 Depth=1
	s_or_b32 exec_lo, exec_lo, s2
	v_cmp_ne_u16_sdwa s1, v1, v2 src0_sel:BYTE_1 src1_sel:DWORD
	v_mov_b32_e32 v120, 0
	v_mov_b32_e32 v121, 0
	s_and_saveexec_b32 s2, s1
	s_cbranch_execz .LBB388_115
; %bb.108:                              ;   in Loop: Header=BB388_11 Depth=1
	v_cmp_ne_u16_sdwa s1, v1, v101 src0_sel:BYTE_1 src1_sel:DWORD
	v_bfrev_b32_e32 v121, 1
	s_and_saveexec_b32 s40, s1
	s_cbranch_execz .LBB388_114
; %bb.109:                              ;   in Loop: Header=BB388_11 Depth=1
	v_and_b32_sdwa v0, v102, v1 dst_sel:DWORD dst_unused:UNUSED_PAD src0_sel:DWORD src1_sel:BYTE_1
	v_mov_b32_e32 v121, 0x7f800001
	s_mov_b32 s41, exec_lo
	v_and_b32_e32 v15, 0x7f, v0
	v_cmpx_ne_u32_e32 0x7f, v15
	s_cbranch_execz .LBB388_113
; %bb.110:                              ;   in Loop: Header=BB388_11 Depth=1
	v_and_b32_e32 v13, 7, v0
	v_mov_b32_e32 v14, v2
	v_lshrrev_b32_e32 v0, 3, v15
	s_mov_b32 s42, exec_lo
	v_cmpx_gt_u32_e32 8, v15
; %bb.111:                              ;   in Loop: Header=BB388_11 Depth=1
	v_ffbh_u32_e32 v0, v13
	v_min_u32_e32 v0, 32, v0
	v_subrev_nc_u32_e32 v15, 28, v0
	v_sub_nc_u32_e32 v0, 29, v0
	v_lshlrev_b64 v[13:14], v15, v[13:14]
	v_and_b32_e32 v13, 7, v13
; %bb.112:                              ;   in Loop: Header=BB388_11 Depth=1
	s_or_b32 exec_lo, exec_lo, s42
	v_lshlrev_b32_e32 v1, 16, v1
	v_lshlrev_b32_e32 v13, 20, v13
	v_lshl_add_u32 v0, v0, 23, 0x3c000000
	v_and_b32_e32 v1, 0x80000000, v1
	v_or3_b32 v121, v13, v1, v0
.LBB388_113:                            ;   in Loop: Header=BB388_11 Depth=1
	s_or_b32 exec_lo, exec_lo, s41
.LBB388_114:                            ;   in Loop: Header=BB388_11 Depth=1
	s_or_b32 exec_lo, exec_lo, s40
.LBB388_115:                            ;   in Loop: Header=BB388_11 Depth=1
	s_or_b32 exec_lo, exec_lo, s2
	v_and_b32_sdwa v0, v12, v103 dst_sel:DWORD dst_unused:UNUSED_PAD src0_sel:WORD_1 src1_sel:DWORD
	s_mov_b32 s2, exec_lo
	v_cmpx_ne_u16_e32 0, v0
	s_cbranch_execz .LBB388_123
; %bb.116:                              ;   in Loop: Header=BB388_11 Depth=1
	v_bfrev_b32_e32 v120, 1
	s_mov_b32 s40, exec_lo
	v_cmpx_ne_u16_e32 0x80, v0
	s_cbranch_execz .LBB388_122
; %bb.117:                              ;   in Loop: Header=BB388_11 Depth=1
	v_bfe_u32 v13, v12, 16, 7
	v_mov_b32_e32 v120, 0x7f800001
	s_mov_b32 s41, exec_lo
	v_cmpx_ne_u32_e32 0x7f, v13
	s_cbranch_execz .LBB388_121
; %bb.118:                              ;   in Loop: Header=BB388_11 Depth=1
	v_and_b32_sdwa v1, v12, v104 dst_sel:DWORD dst_unused:UNUSED_PAD src0_sel:WORD_1 src1_sel:DWORD
	v_lshrrev_b32_e32 v0, 3, v13
	s_mov_b32 s42, exec_lo
	v_cmpx_gt_u32_e32 8, v13
; %bb.119:                              ;   in Loop: Header=BB388_11 Depth=1
	v_ffbh_u32_e32 v0, v1
	v_min_u32_e32 v0, 32, v0
	v_subrev_nc_u32_e32 v13, 28, v0
	v_sub_nc_u32_e32 v0, 29, v0
	v_lshlrev_b64 v[13:14], v13, v[1:2]
	v_and_b32_e32 v1, 7, v13
; %bb.120:                              ;   in Loop: Header=BB388_11 Depth=1
	s_or_b32 exec_lo, exec_lo, s42
	v_lshlrev_b32_sdwa v13, v105, v12 dst_sel:DWORD dst_unused:UNUSED_PAD src0_sel:DWORD src1_sel:WORD_1
	v_lshlrev_b32_e32 v1, 20, v1
	v_lshl_add_u32 v0, v0, 23, 0x3c000000
	v_and_b32_e32 v13, 0x80000000, v13
	v_or3_b32 v120, v1, v13, v0
.LBB388_121:                            ;   in Loop: Header=BB388_11 Depth=1
	s_or_b32 exec_lo, exec_lo, s41
.LBB388_122:                            ;   in Loop: Header=BB388_11 Depth=1
	s_or_b32 exec_lo, exec_lo, s40
.LBB388_123:                            ;   in Loop: Header=BB388_11 Depth=1
	s_or_b32 exec_lo, exec_lo, s2
	v_mov_b32_e32 v123, 0
	v_mov_b32_e32 v122, 0
	s_mov_b32 s2, exec_lo
	v_cmpx_lt_u64_e64 s[4:5], v[11:12]
	s_cbranch_execz .LBB388_131
; %bb.124:                              ;   in Loop: Header=BB388_11 Depth=1
	v_cmp_ne_u32_sdwa s1, v12, v101 src0_sel:BYTE_3 src1_sel:DWORD
	v_bfrev_b32_e32 v122, 1
	s_and_saveexec_b32 s40, s1
	s_cbranch_execz .LBB388_130
; %bb.125:                              ;   in Loop: Header=BB388_11 Depth=1
	v_bfe_u32 v11, v12, 24, 7
	v_mov_b32_e32 v122, 0x7f800001
	s_mov_b32 s41, exec_lo
	v_cmpx_ne_u32_e32 0x7f, v11
	s_cbranch_execz .LBB388_129
; %bb.126:                              ;   in Loop: Header=BB388_11 Depth=1
	v_and_b32_sdwa v1, v12, v104 dst_sel:DWORD dst_unused:UNUSED_PAD src0_sel:BYTE_3 src1_sel:DWORD
	v_lshrrev_b32_e32 v0, 3, v11
	s_mov_b32 s42, exec_lo
	v_cmpx_gt_u32_e32 8, v11
; %bb.127:                              ;   in Loop: Header=BB388_11 Depth=1
	v_ffbh_u32_e32 v0, v1
	v_min_u32_e32 v0, 32, v0
	v_subrev_nc_u32_e32 v11, 28, v0
	v_sub_nc_u32_e32 v0, 29, v0
	v_lshlrev_b64 v[13:14], v11, v[1:2]
	v_and_b32_e32 v1, 7, v13
; %bb.128:                              ;   in Loop: Header=BB388_11 Depth=1
	s_or_b32 exec_lo, exec_lo, s42
	v_lshlrev_b32_sdwa v11, v105, v12 dst_sel:DWORD dst_unused:UNUSED_PAD src0_sel:DWORD src1_sel:BYTE_3
	v_lshlrev_b32_e32 v1, 20, v1
	v_lshl_add_u32 v0, v0, 23, 0x3c000000
	v_and_b32_e32 v11, 0x80000000, v11
	v_or3_b32 v122, v1, v11, v0
.LBB388_129:                            ;   in Loop: Header=BB388_11 Depth=1
	s_or_b32 exec_lo, exec_lo, s41
.LBB388_130:                            ;   in Loop: Header=BB388_11 Depth=1
	s_or_b32 exec_lo, exec_lo, s40
.LBB388_131:                            ;   in Loop: Header=BB388_11 Depth=1
	s_or_b32 exec_lo, exec_lo, s2
	global_load_dwordx2 v[11:12], v[7:8], off offset:512
	s_waitcnt vmcnt(0)
	v_cmp_ne_u16_sdwa s1, v11, v2 src0_sel:BYTE_0 src1_sel:DWORD
	s_and_saveexec_b32 s2, s1
	s_cbranch_execz .LBB388_137
; %bb.132:                              ;   in Loop: Header=BB388_11 Depth=1
	v_cmp_ne_u16_sdwa s1, v11, v101 src0_sel:BYTE_0 src1_sel:DWORD
	v_bfrev_b32_e32 v123, 1
	s_and_saveexec_b32 s40, s1
	s_cbranch_execz .LBB388_136
; %bb.133:                              ;   in Loop: Header=BB388_11 Depth=1
	v_and_b32_e32 v0, 0x7f, v11
	v_mov_b32_e32 v123, 0x7f800001
	s_mov_b32 s41, exec_lo
	v_cmpx_ne_u32_e32 0x7f, v0
	s_cbranch_execz .LBB388_135
; %bb.134:                              ;   in Loop: Header=BB388_11 Depth=1
	v_and_b32_e32 v1, 7, v11
	v_cmp_gt_u32_e64 s1, 8, v0
	v_lshrrev_b32_e32 v13, 3, v0
	v_ffbh_u32_e32 v1, v1
	v_min_u32_e32 v1, 32, v1
	v_subrev_nc_u32_e32 v14, 28, v1
	v_sub_nc_u32_e32 v1, 29, v1
	v_cndmask_b32_e64 v0, 0, v14, s1
	v_cndmask_b32_e64 v13, v13, v1, s1
	v_lshlrev_b64 v[0:1], v0, v[11:12]
	v_lshlrev_b32_e32 v1, 24, v11
	v_lshl_add_u32 v13, v13, 23, 0x3c000000
	v_lshlrev_b32_e32 v0, 20, v0
	v_and_b32_e32 v1, 0x80000000, v1
	v_and_b32_e32 v0, 0x700000, v0
	v_or3_b32 v123, v0, v1, v13
.LBB388_135:                            ;   in Loop: Header=BB388_11 Depth=1
	s_or_b32 exec_lo, exec_lo, s41
.LBB388_136:                            ;   in Loop: Header=BB388_11 Depth=1
	s_or_b32 exec_lo, exec_lo, s40
.LBB388_137:                            ;   in Loop: Header=BB388_11 Depth=1
	s_or_b32 exec_lo, exec_lo, s2
	v_cmp_ne_u16_sdwa s1, v11, v2 src0_sel:BYTE_1 src1_sel:DWORD
	v_mov_b32_e32 v125, 0
	v_mov_b32_e32 v124, 0
	s_and_saveexec_b32 s2, s1
	s_cbranch_execz .LBB388_145
; %bb.138:                              ;   in Loop: Header=BB388_11 Depth=1
	v_cmp_ne_u16_sdwa s1, v11, v101 src0_sel:BYTE_1 src1_sel:DWORD
	v_bfrev_b32_e32 v124, 1
	s_and_saveexec_b32 s40, s1
	s_cbranch_execz .LBB388_144
; %bb.139:                              ;   in Loop: Header=BB388_11 Depth=1
	v_and_b32_sdwa v0, v102, v11 dst_sel:DWORD dst_unused:UNUSED_PAD src0_sel:DWORD src1_sel:BYTE_1
	v_mov_b32_e32 v124, 0x7f800001
	s_mov_b32 s41, exec_lo
	v_and_b32_e32 v13, 0x7f, v0
	v_cmpx_ne_u32_e32 0x7f, v13
	s_cbranch_execz .LBB388_143
; %bb.140:                              ;   in Loop: Header=BB388_11 Depth=1
	v_and_b32_e32 v1, 7, v0
	v_lshrrev_b32_e32 v0, 3, v13
	s_mov_b32 s42, exec_lo
	v_cmpx_gt_u32_e32 8, v13
; %bb.141:                              ;   in Loop: Header=BB388_11 Depth=1
	v_ffbh_u32_e32 v0, v1
	v_min_u32_e32 v0, 32, v0
	v_subrev_nc_u32_e32 v13, 28, v0
	v_sub_nc_u32_e32 v0, 29, v0
	v_lshlrev_b64 v[13:14], v13, v[1:2]
	v_and_b32_e32 v1, 7, v13
; %bb.142:                              ;   in Loop: Header=BB388_11 Depth=1
	s_or_b32 exec_lo, exec_lo, s42
	v_lshlrev_b32_e32 v13, 16, v11
	v_lshlrev_b32_e32 v1, 20, v1
	v_lshl_add_u32 v0, v0, 23, 0x3c000000
	v_and_b32_e32 v13, 0x80000000, v13
	v_or3_b32 v124, v1, v13, v0
.LBB388_143:                            ;   in Loop: Header=BB388_11 Depth=1
	s_or_b32 exec_lo, exec_lo, s41
.LBB388_144:                            ;   in Loop: Header=BB388_11 Depth=1
	s_or_b32 exec_lo, exec_lo, s40
.LBB388_145:                            ;   in Loop: Header=BB388_11 Depth=1
	s_or_b32 exec_lo, exec_lo, s2
	v_and_b32_sdwa v0, v11, v103 dst_sel:DWORD dst_unused:UNUSED_PAD src0_sel:WORD_1 src1_sel:DWORD
	s_mov_b32 s2, exec_lo
	v_cmpx_ne_u16_e32 0, v0
	s_cbranch_execz .LBB388_153
; %bb.146:                              ;   in Loop: Header=BB388_11 Depth=1
	v_bfrev_b32_e32 v125, 1
	s_mov_b32 s40, exec_lo
	v_cmpx_ne_u16_e32 0x80, v0
	s_cbranch_execz .LBB388_152
; %bb.147:                              ;   in Loop: Header=BB388_11 Depth=1
	v_bfe_u32 v13, v11, 16, 7
	v_mov_b32_e32 v125, 0x7f800001
	s_mov_b32 s41, exec_lo
	v_cmpx_ne_u32_e32 0x7f, v13
	s_cbranch_execz .LBB388_151
; %bb.148:                              ;   in Loop: Header=BB388_11 Depth=1
	v_and_b32_sdwa v1, v11, v104 dst_sel:DWORD dst_unused:UNUSED_PAD src0_sel:WORD_1 src1_sel:DWORD
	v_lshrrev_b32_e32 v0, 3, v13
	s_mov_b32 s42, exec_lo
	v_cmpx_gt_u32_e32 8, v13
; %bb.149:                              ;   in Loop: Header=BB388_11 Depth=1
	v_ffbh_u32_e32 v0, v1
	v_min_u32_e32 v0, 32, v0
	v_subrev_nc_u32_e32 v13, 28, v0
	v_sub_nc_u32_e32 v0, 29, v0
	v_lshlrev_b64 v[13:14], v13, v[1:2]
	v_and_b32_e32 v1, 7, v13
; %bb.150:                              ;   in Loop: Header=BB388_11 Depth=1
	s_or_b32 exec_lo, exec_lo, s42
	v_lshlrev_b32_sdwa v13, v105, v11 dst_sel:DWORD dst_unused:UNUSED_PAD src0_sel:DWORD src1_sel:WORD_1
	v_lshlrev_b32_e32 v1, 20, v1
	v_lshl_add_u32 v0, v0, 23, 0x3c000000
	v_and_b32_e32 v13, 0x80000000, v13
	v_or3_b32 v125, v1, v13, v0
.LBB388_151:                            ;   in Loop: Header=BB388_11 Depth=1
	s_or_b32 exec_lo, exec_lo, s41
.LBB388_152:                            ;   in Loop: Header=BB388_11 Depth=1
	s_or_b32 exec_lo, exec_lo, s40
.LBB388_153:                            ;   in Loop: Header=BB388_11 Depth=1
	s_or_b32 exec_lo, exec_lo, s2
	v_mov_b32_e32 v127, 0
	v_mov_b32_e32 v126, 0
	s_mov_b32 s2, exec_lo
	v_cmpx_lt_u32_e32 0xffffff, v11
	s_cbranch_execz .LBB388_161
; %bb.154:                              ;   in Loop: Header=BB388_11 Depth=1
	v_cmp_ne_u32_sdwa s1, v11, v101 src0_sel:BYTE_3 src1_sel:DWORD
	v_bfrev_b32_e32 v126, 1
	s_and_saveexec_b32 s40, s1
	s_cbranch_execz .LBB388_160
; %bb.155:                              ;   in Loop: Header=BB388_11 Depth=1
	v_bfe_u32 v13, v11, 24, 7
	v_mov_b32_e32 v126, 0x7f800001
	s_mov_b32 s41, exec_lo
	v_cmpx_ne_u32_e32 0x7f, v13
	s_cbranch_execz .LBB388_159
; %bb.156:                              ;   in Loop: Header=BB388_11 Depth=1
	v_and_b32_sdwa v1, v11, v104 dst_sel:DWORD dst_unused:UNUSED_PAD src0_sel:BYTE_3 src1_sel:DWORD
	v_lshrrev_b32_e32 v0, 3, v13
	s_mov_b32 s42, exec_lo
	v_cmpx_gt_u32_e32 8, v13
; %bb.157:                              ;   in Loop: Header=BB388_11 Depth=1
	v_ffbh_u32_e32 v0, v1
	v_min_u32_e32 v0, 32, v0
	v_subrev_nc_u32_e32 v13, 28, v0
	v_sub_nc_u32_e32 v0, 29, v0
	v_lshlrev_b64 v[13:14], v13, v[1:2]
	v_and_b32_e32 v1, 7, v13
; %bb.158:                              ;   in Loop: Header=BB388_11 Depth=1
	s_or_b32 exec_lo, exec_lo, s42
	v_lshlrev_b32_sdwa v13, v105, v11 dst_sel:DWORD dst_unused:UNUSED_PAD src0_sel:DWORD src1_sel:BYTE_3
	v_lshlrev_b32_e32 v1, 20, v1
	v_lshl_add_u32 v0, v0, 23, 0x3c000000
	v_and_b32_e32 v13, 0x80000000, v13
	v_or3_b32 v126, v1, v13, v0
.LBB388_159:                            ;   in Loop: Header=BB388_11 Depth=1
	s_or_b32 exec_lo, exec_lo, s41
.LBB388_160:                            ;   in Loop: Header=BB388_11 Depth=1
	s_or_b32 exec_lo, exec_lo, s40
.LBB388_161:                            ;   in Loop: Header=BB388_11 Depth=1
	s_or_b32 exec_lo, exec_lo, s2
	v_mov_b32_e32 v1, v12
	v_cmp_ne_u16_sdwa s1, v12, v2 src0_sel:BYTE_0 src1_sel:DWORD
	s_and_saveexec_b32 s2, s1
	s_cbranch_execz .LBB388_167
; %bb.162:                              ;   in Loop: Header=BB388_11 Depth=1
	v_cmp_ne_u16_sdwa s1, v12, v101 src0_sel:BYTE_0 src1_sel:DWORD
	v_bfrev_b32_e32 v127, 1
	s_and_saveexec_b32 s40, s1
	s_cbranch_execz .LBB388_166
; %bb.163:                              ;   in Loop: Header=BB388_11 Depth=1
	v_and_b32_e32 v0, 0x7f, v12
	v_mov_b32_e32 v127, 0x7f800001
	s_mov_b32 s41, exec_lo
	v_cmpx_ne_u32_e32 0x7f, v0
	s_cbranch_execz .LBB388_165
; %bb.164:                              ;   in Loop: Header=BB388_11 Depth=1
	v_and_b32_e32 v13, 7, v12
	v_lshrrev_b32_e32 v14, 3, v0
	v_cmp_gt_u32_e64 s1, 8, v0
	v_ffbh_u32_e32 v0, v13
	v_min_u32_e32 v0, 32, v0
	v_subrev_nc_u32_e32 v13, 28, v0
	v_sub_nc_u32_e32 v0, 29, v0
	v_cndmask_b32_e64 v13, 0, v13, s1
	v_cndmask_b32_e64 v0, v14, v0, s1
	v_lshlrev_b64 v[13:14], v13, v[1:2]
	v_lshlrev_b32_e32 v14, 24, v1
	v_lshl_add_u32 v0, v0, 23, 0x3c000000
	v_lshlrev_b32_e32 v13, 20, v13
	v_and_b32_e32 v14, 0x80000000, v14
	v_and_b32_e32 v13, 0x700000, v13
	v_or3_b32 v127, v13, v14, v0
.LBB388_165:                            ;   in Loop: Header=BB388_11 Depth=1
	s_or_b32 exec_lo, exec_lo, s41
.LBB388_166:                            ;   in Loop: Header=BB388_11 Depth=1
	s_or_b32 exec_lo, exec_lo, s40
.LBB388_167:                            ;   in Loop: Header=BB388_11 Depth=1
	s_or_b32 exec_lo, exec_lo, s2
	v_cmp_ne_u16_sdwa s1, v1, v2 src0_sel:BYTE_1 src1_sel:DWORD
	v_mov_b32_e32 v15, 0
	v_mov_b32_e32 v22, 0
	s_and_saveexec_b32 s2, s1
	s_cbranch_execz .LBB388_175
; %bb.168:                              ;   in Loop: Header=BB388_11 Depth=1
	v_cmp_ne_u16_sdwa s1, v1, v101 src0_sel:BYTE_1 src1_sel:DWORD
	v_bfrev_b32_e32 v22, 1
	s_and_saveexec_b32 s40, s1
	s_cbranch_execz .LBB388_174
; %bb.169:                              ;   in Loop: Header=BB388_11 Depth=1
	v_and_b32_sdwa v0, v102, v1 dst_sel:DWORD dst_unused:UNUSED_PAD src0_sel:DWORD src1_sel:BYTE_1
	v_mov_b32_e32 v22, 0x7f800001
	s_mov_b32 s41, exec_lo
	v_and_b32_e32 v16, 0x7f, v0
	v_cmpx_ne_u32_e32 0x7f, v16
	s_cbranch_execz .LBB388_173
; %bb.170:                              ;   in Loop: Header=BB388_11 Depth=1
	v_and_b32_e32 v13, 7, v0
	v_mov_b32_e32 v14, v2
	v_lshrrev_b32_e32 v0, 3, v16
	s_mov_b32 s42, exec_lo
	v_cmpx_gt_u32_e32 8, v16
; %bb.171:                              ;   in Loop: Header=BB388_11 Depth=1
	v_ffbh_u32_e32 v0, v13
	v_min_u32_e32 v0, 32, v0
	v_subrev_nc_u32_e32 v16, 28, v0
	v_sub_nc_u32_e32 v0, 29, v0
	v_lshlrev_b64 v[13:14], v16, v[13:14]
	v_and_b32_e32 v13, 7, v13
; %bb.172:                              ;   in Loop: Header=BB388_11 Depth=1
	s_or_b32 exec_lo, exec_lo, s42
	v_lshlrev_b32_e32 v1, 16, v1
	v_lshlrev_b32_e32 v13, 20, v13
	v_lshl_add_u32 v0, v0, 23, 0x3c000000
	v_and_b32_e32 v1, 0x80000000, v1
	v_or3_b32 v22, v13, v1, v0
.LBB388_173:                            ;   in Loop: Header=BB388_11 Depth=1
	s_or_b32 exec_lo, exec_lo, s41
.LBB388_174:                            ;   in Loop: Header=BB388_11 Depth=1
	s_or_b32 exec_lo, exec_lo, s40
.LBB388_175:                            ;   in Loop: Header=BB388_11 Depth=1
	s_or_b32 exec_lo, exec_lo, s2
	v_and_b32_sdwa v0, v12, v103 dst_sel:DWORD dst_unused:UNUSED_PAD src0_sel:WORD_1 src1_sel:DWORD
	s_mov_b32 s2, exec_lo
	v_cmpx_ne_u16_e32 0, v0
	s_cbranch_execz .LBB388_183
; %bb.176:                              ;   in Loop: Header=BB388_11 Depth=1
	v_bfrev_b32_e32 v15, 1
	s_mov_b32 s40, exec_lo
	v_cmpx_ne_u16_e32 0x80, v0
	s_cbranch_execz .LBB388_182
; %bb.177:                              ;   in Loop: Header=BB388_11 Depth=1
	v_bfe_u32 v13, v12, 16, 7
	v_mov_b32_e32 v15, 0x7f800001
	s_mov_b32 s41, exec_lo
	v_cmpx_ne_u32_e32 0x7f, v13
	s_cbranch_execz .LBB388_181
; %bb.178:                              ;   in Loop: Header=BB388_11 Depth=1
	v_and_b32_sdwa v1, v12, v104 dst_sel:DWORD dst_unused:UNUSED_PAD src0_sel:WORD_1 src1_sel:DWORD
	v_lshrrev_b32_e32 v0, 3, v13
	s_mov_b32 s42, exec_lo
	v_cmpx_gt_u32_e32 8, v13
; %bb.179:                              ;   in Loop: Header=BB388_11 Depth=1
	v_ffbh_u32_e32 v0, v1
	v_min_u32_e32 v0, 32, v0
	v_subrev_nc_u32_e32 v13, 28, v0
	v_sub_nc_u32_e32 v0, 29, v0
	v_lshlrev_b64 v[13:14], v13, v[1:2]
	v_and_b32_e32 v1, 7, v13
; %bb.180:                              ;   in Loop: Header=BB388_11 Depth=1
	s_or_b32 exec_lo, exec_lo, s42
	v_lshlrev_b32_sdwa v13, v105, v12 dst_sel:DWORD dst_unused:UNUSED_PAD src0_sel:DWORD src1_sel:WORD_1
	v_lshlrev_b32_e32 v1, 20, v1
	v_lshl_add_u32 v0, v0, 23, 0x3c000000
	v_and_b32_e32 v13, 0x80000000, v13
	v_or3_b32 v15, v1, v13, v0
.LBB388_181:                            ;   in Loop: Header=BB388_11 Depth=1
	s_or_b32 exec_lo, exec_lo, s41
.LBB388_182:                            ;   in Loop: Header=BB388_11 Depth=1
	s_or_b32 exec_lo, exec_lo, s40
.LBB388_183:                            ;   in Loop: Header=BB388_11 Depth=1
	s_or_b32 exec_lo, exec_lo, s2
	v_mov_b32_e32 v16, 0
	v_mov_b32_e32 v23, 0
	s_mov_b32 s2, exec_lo
	v_cmpx_lt_u64_e64 s[4:5], v[11:12]
	s_cbranch_execz .LBB388_191
; %bb.184:                              ;   in Loop: Header=BB388_11 Depth=1
	v_cmp_ne_u32_sdwa s1, v12, v101 src0_sel:BYTE_3 src1_sel:DWORD
	v_bfrev_b32_e32 v23, 1
	s_and_saveexec_b32 s40, s1
	s_cbranch_execz .LBB388_190
; %bb.185:                              ;   in Loop: Header=BB388_11 Depth=1
	v_bfe_u32 v11, v12, 24, 7
	v_mov_b32_e32 v23, 0x7f800001
	s_mov_b32 s41, exec_lo
	v_cmpx_ne_u32_e32 0x7f, v11
	s_cbranch_execz .LBB388_189
; %bb.186:                              ;   in Loop: Header=BB388_11 Depth=1
	v_and_b32_sdwa v1, v12, v104 dst_sel:DWORD dst_unused:UNUSED_PAD src0_sel:BYTE_3 src1_sel:DWORD
	v_lshrrev_b32_e32 v0, 3, v11
	s_mov_b32 s42, exec_lo
	v_cmpx_gt_u32_e32 8, v11
; %bb.187:                              ;   in Loop: Header=BB388_11 Depth=1
	v_ffbh_u32_e32 v0, v1
	v_min_u32_e32 v0, 32, v0
	v_subrev_nc_u32_e32 v11, 28, v0
	v_sub_nc_u32_e32 v0, 29, v0
	v_lshlrev_b64 v[13:14], v11, v[1:2]
	v_and_b32_e32 v1, 7, v13
; %bb.188:                              ;   in Loop: Header=BB388_11 Depth=1
	s_or_b32 exec_lo, exec_lo, s42
	v_lshlrev_b32_sdwa v11, v105, v12 dst_sel:DWORD dst_unused:UNUSED_PAD src0_sel:DWORD src1_sel:BYTE_3
	v_lshlrev_b32_e32 v1, 20, v1
	v_lshl_add_u32 v0, v0, 23, 0x3c000000
	v_and_b32_e32 v11, 0x80000000, v11
	v_or3_b32 v23, v1, v11, v0
.LBB388_189:                            ;   in Loop: Header=BB388_11 Depth=1
	s_or_b32 exec_lo, exec_lo, s41
.LBB388_190:                            ;   in Loop: Header=BB388_11 Depth=1
	s_or_b32 exec_lo, exec_lo, s40
.LBB388_191:                            ;   in Loop: Header=BB388_11 Depth=1
	s_or_b32 exec_lo, exec_lo, s2
	global_load_dwordx2 v[11:12], v[7:8], off offset:520
	s_waitcnt vmcnt(0)
	v_cmp_ne_u16_sdwa s1, v11, v2 src0_sel:BYTE_0 src1_sel:DWORD
	s_and_saveexec_b32 s2, s1
	s_cbranch_execz .LBB388_197
; %bb.192:                              ;   in Loop: Header=BB388_11 Depth=1
	v_cmp_ne_u16_sdwa s1, v11, v101 src0_sel:BYTE_0 src1_sel:DWORD
	v_bfrev_b32_e32 v16, 1
	s_and_saveexec_b32 s40, s1
	s_cbranch_execz .LBB388_196
; %bb.193:                              ;   in Loop: Header=BB388_11 Depth=1
	v_and_b32_e32 v0, 0x7f, v11
	v_mov_b32_e32 v16, 0x7f800001
	s_mov_b32 s41, exec_lo
	v_cmpx_ne_u32_e32 0x7f, v0
	s_cbranch_execz .LBB388_195
; %bb.194:                              ;   in Loop: Header=BB388_11 Depth=1
	v_and_b32_e32 v1, 7, v11
	v_lshrrev_b32_e32 v13, 3, v0
	v_cmp_gt_u32_e64 s1, 8, v0
	v_ffbh_u32_e32 v0, v1
	v_min_u32_e32 v0, 32, v0
	v_subrev_nc_u32_e32 v1, 28, v0
	v_sub_nc_u32_e32 v0, 29, v0
	v_cndmask_b32_e64 v13, v13, v0, s1
	v_cndmask_b32_e64 v0, 0, v1, s1
	v_lshl_add_u32 v13, v13, 23, 0x3c000000
	v_lshlrev_b64 v[0:1], v0, v[11:12]
	v_lshlrev_b32_e32 v1, 24, v11
	v_lshlrev_b32_e32 v0, 20, v0
	v_and_b32_e32 v1, 0x80000000, v1
	v_and_b32_e32 v0, 0x700000, v0
	v_or3_b32 v16, v0, v1, v13
.LBB388_195:                            ;   in Loop: Header=BB388_11 Depth=1
	s_or_b32 exec_lo, exec_lo, s41
.LBB388_196:                            ;   in Loop: Header=BB388_11 Depth=1
	s_or_b32 exec_lo, exec_lo, s40
.LBB388_197:                            ;   in Loop: Header=BB388_11 Depth=1
	s_or_b32 exec_lo, exec_lo, s2
	v_cmp_ne_u16_sdwa s1, v11, v2 src0_sel:BYTE_1 src1_sel:DWORD
	v_mov_b32_e32 v17, 0
	v_mov_b32_e32 v0, 0
	s_and_saveexec_b32 s2, s1
	s_cbranch_execz .LBB388_205
; %bb.198:                              ;   in Loop: Header=BB388_11 Depth=1
	v_cmp_ne_u16_sdwa s1, v11, v101 src0_sel:BYTE_1 src1_sel:DWORD
	v_bfrev_b32_e32 v0, 1
	s_and_saveexec_b32 s40, s1
	s_cbranch_execz .LBB388_204
; %bb.199:                              ;   in Loop: Header=BB388_11 Depth=1
	v_and_b32_sdwa v1, v102, v11 dst_sel:DWORD dst_unused:UNUSED_PAD src0_sel:DWORD src1_sel:BYTE_1
	v_mov_b32_e32 v0, 0x7f800001
	s_mov_b32 s41, exec_lo
	v_and_b32_e32 v13, 0x7f, v1
	v_cmpx_ne_u32_e32 0x7f, v13
	s_cbranch_execz .LBB388_203
; %bb.200:                              ;   in Loop: Header=BB388_11 Depth=1
	v_and_b32_e32 v1, 7, v1
	v_lshrrev_b32_e32 v0, 3, v13
	s_mov_b32 s42, exec_lo
	v_cmpx_gt_u32_e32 8, v13
; %bb.201:                              ;   in Loop: Header=BB388_11 Depth=1
	v_ffbh_u32_e32 v0, v1
	v_min_u32_e32 v0, 32, v0
	v_subrev_nc_u32_e32 v13, 28, v0
	v_sub_nc_u32_e32 v0, 29, v0
	v_lshlrev_b64 v[13:14], v13, v[1:2]
	v_and_b32_e32 v1, 7, v13
; %bb.202:                              ;   in Loop: Header=BB388_11 Depth=1
	s_or_b32 exec_lo, exec_lo, s42
	v_lshlrev_b32_e32 v13, 16, v11
	v_lshlrev_b32_e32 v1, 20, v1
	v_lshl_add_u32 v0, v0, 23, 0x3c000000
	v_and_b32_e32 v13, 0x80000000, v13
	v_or3_b32 v0, v1, v13, v0
.LBB388_203:                            ;   in Loop: Header=BB388_11 Depth=1
	s_or_b32 exec_lo, exec_lo, s41
.LBB388_204:                            ;   in Loop: Header=BB388_11 Depth=1
	s_or_b32 exec_lo, exec_lo, s40
.LBB388_205:                            ;   in Loop: Header=BB388_11 Depth=1
	s_or_b32 exec_lo, exec_lo, s2
	v_and_b32_sdwa v1, v11, v103 dst_sel:DWORD dst_unused:UNUSED_PAD src0_sel:WORD_1 src1_sel:DWORD
	s_mov_b32 s2, exec_lo
	v_cmpx_ne_u16_e32 0, v1
	s_cbranch_execz .LBB388_213
; %bb.206:                              ;   in Loop: Header=BB388_11 Depth=1
	v_bfrev_b32_e32 v17, 1
	s_mov_b32 s40, exec_lo
	v_cmpx_ne_u16_e32 0x80, v1
	s_cbranch_execz .LBB388_212
; %bb.207:                              ;   in Loop: Header=BB388_11 Depth=1
	v_bfe_u32 v14, v11, 16, 7
	v_mov_b32_e32 v17, 0x7f800001
	s_mov_b32 s41, exec_lo
	v_cmpx_ne_u32_e32 0x7f, v14
	s_cbranch_execz .LBB388_211
; %bb.208:                              ;   in Loop: Header=BB388_11 Depth=1
	v_and_b32_sdwa v1, v11, v104 dst_sel:DWORD dst_unused:UNUSED_PAD src0_sel:WORD_1 src1_sel:DWORD
	v_lshrrev_b32_e32 v13, 3, v14
	s_mov_b32 s42, exec_lo
	v_cmpx_gt_u32_e32 8, v14
; %bb.209:                              ;   in Loop: Header=BB388_11 Depth=1
	v_ffbh_u32_e32 v13, v1
	v_min_u32_e32 v13, 32, v13
	v_subrev_nc_u32_e32 v14, 28, v13
	v_sub_nc_u32_e32 v13, 29, v13
	v_lshlrev_b64 v[17:18], v14, v[1:2]
	v_and_b32_e32 v1, 7, v17
; %bb.210:                              ;   in Loop: Header=BB388_11 Depth=1
	s_or_b32 exec_lo, exec_lo, s42
	v_lshlrev_b32_sdwa v14, v105, v11 dst_sel:DWORD dst_unused:UNUSED_PAD src0_sel:DWORD src1_sel:WORD_1
	v_lshlrev_b32_e32 v1, 20, v1
	v_lshl_add_u32 v13, v13, 23, 0x3c000000
	v_and_b32_e32 v14, 0x80000000, v14
	v_or3_b32 v17, v1, v14, v13
.LBB388_211:                            ;   in Loop: Header=BB388_11 Depth=1
	s_or_b32 exec_lo, exec_lo, s41
.LBB388_212:                            ;   in Loop: Header=BB388_11 Depth=1
	s_or_b32 exec_lo, exec_lo, s40
.LBB388_213:                            ;   in Loop: Header=BB388_11 Depth=1
	s_or_b32 exec_lo, exec_lo, s2
	v_mov_b32_e32 v19, 0
	v_mov_b32_e32 v18, 0
	s_mov_b32 s2, exec_lo
	v_cmpx_lt_u32_e32 0xffffff, v11
	s_cbranch_execz .LBB388_221
; %bb.214:                              ;   in Loop: Header=BB388_11 Depth=1
	v_cmp_ne_u32_sdwa s1, v11, v101 src0_sel:BYTE_3 src1_sel:DWORD
	v_bfrev_b32_e32 v18, 1
	s_and_saveexec_b32 s40, s1
	s_cbranch_execz .LBB388_220
; %bb.215:                              ;   in Loop: Header=BB388_11 Depth=1
	v_bfe_u32 v14, v11, 24, 7
	v_mov_b32_e32 v18, 0x7f800001
	s_mov_b32 s41, exec_lo
	v_cmpx_ne_u32_e32 0x7f, v14
	s_cbranch_execz .LBB388_219
; %bb.216:                              ;   in Loop: Header=BB388_11 Depth=1
	v_and_b32_sdwa v1, v11, v104 dst_sel:DWORD dst_unused:UNUSED_PAD src0_sel:BYTE_3 src1_sel:DWORD
	v_lshrrev_b32_e32 v13, 3, v14
	s_mov_b32 s42, exec_lo
	v_cmpx_gt_u32_e32 8, v14
; %bb.217:                              ;   in Loop: Header=BB388_11 Depth=1
	v_ffbh_u32_e32 v13, v1
	v_min_u32_e32 v13, 32, v13
	v_subrev_nc_u32_e32 v14, 28, v13
	v_sub_nc_u32_e32 v13, 29, v13
	v_lshlrev_b64 v[20:21], v14, v[1:2]
	v_and_b32_e32 v1, 7, v20
; %bb.218:                              ;   in Loop: Header=BB388_11 Depth=1
	s_or_b32 exec_lo, exec_lo, s42
	v_lshlrev_b32_sdwa v14, v105, v11 dst_sel:DWORD dst_unused:UNUSED_PAD src0_sel:DWORD src1_sel:BYTE_3
	v_lshlrev_b32_e32 v1, 20, v1
	v_lshl_add_u32 v13, v13, 23, 0x3c000000
	v_and_b32_e32 v14, 0x80000000, v14
	v_or3_b32 v18, v1, v14, v13
.LBB388_219:                            ;   in Loop: Header=BB388_11 Depth=1
	s_or_b32 exec_lo, exec_lo, s41
.LBB388_220:                            ;   in Loop: Header=BB388_11 Depth=1
	s_or_b32 exec_lo, exec_lo, s40
.LBB388_221:                            ;   in Loop: Header=BB388_11 Depth=1
	s_or_b32 exec_lo, exec_lo, s2
	v_mov_b32_e32 v1, v12
	v_cmp_ne_u16_sdwa s1, v12, v2 src0_sel:BYTE_0 src1_sel:DWORD
	s_and_saveexec_b32 s2, s1
	s_cbranch_execz .LBB388_227
; %bb.222:                              ;   in Loop: Header=BB388_11 Depth=1
	v_cmp_ne_u16_sdwa s1, v12, v101 src0_sel:BYTE_0 src1_sel:DWORD
	v_bfrev_b32_e32 v19, 1
	s_and_saveexec_b32 s40, s1
	s_cbranch_execz .LBB388_226
; %bb.223:                              ;   in Loop: Header=BB388_11 Depth=1
	v_and_b32_e32 v13, 0x7f, v12
	v_mov_b32_e32 v19, 0x7f800001
	s_mov_b32 s41, exec_lo
	v_cmpx_ne_u32_e32 0x7f, v13
	s_cbranch_execz .LBB388_225
; %bb.224:                              ;   in Loop: Header=BB388_11 Depth=1
	v_and_b32_e32 v14, 7, v12
	v_lshrrev_b32_e32 v19, 3, v13
	v_cmp_gt_u32_e64 s1, 8, v13
	v_ffbh_u32_e32 v13, v14
	v_min_u32_e32 v13, 32, v13
	v_subrev_nc_u32_e32 v14, 28, v13
	v_sub_nc_u32_e32 v13, 29, v13
	v_cndmask_b32_e64 v19, v19, v13, s1
	v_cndmask_b32_e64 v13, 0, v14, s1
	v_lshl_add_u32 v19, v19, 23, 0x3c000000
	v_lshlrev_b64 v[13:14], v13, v[1:2]
	v_lshlrev_b32_e32 v14, 24, v1
	v_lshlrev_b32_e32 v13, 20, v13
	v_and_b32_e32 v14, 0x80000000, v14
	v_and_b32_e32 v13, 0x700000, v13
	v_or3_b32 v19, v13, v14, v19
.LBB388_225:                            ;   in Loop: Header=BB388_11 Depth=1
	s_or_b32 exec_lo, exec_lo, s41
.LBB388_226:                            ;   in Loop: Header=BB388_11 Depth=1
	s_or_b32 exec_lo, exec_lo, s40
.LBB388_227:                            ;   in Loop: Header=BB388_11 Depth=1
	s_or_b32 exec_lo, exec_lo, s2
	v_cmp_ne_u16_sdwa s1, v1, v2 src0_sel:BYTE_1 src1_sel:DWORD
	v_mov_b32_e32 v20, 0
	v_mov_b32_e32 v21, 0
	s_and_saveexec_b32 s2, s1
	s_cbranch_execz .LBB388_235
; %bb.228:                              ;   in Loop: Header=BB388_11 Depth=1
	v_cmp_ne_u16_sdwa s1, v1, v101 src0_sel:BYTE_1 src1_sel:DWORD
	v_bfrev_b32_e32 v21, 1
	s_and_saveexec_b32 s40, s1
	s_cbranch_execz .LBB388_234
; %bb.229:                              ;   in Loop: Header=BB388_11 Depth=1
	v_and_b32_sdwa v13, v102, v1 dst_sel:DWORD dst_unused:UNUSED_PAD src0_sel:DWORD src1_sel:BYTE_1
	v_mov_b32_e32 v21, 0x7f800001
	s_mov_b32 s41, exec_lo
	v_and_b32_e32 v24, 0x7f, v13
	v_cmpx_ne_u32_e32 0x7f, v24
	s_cbranch_execz .LBB388_233
; %bb.230:                              ;   in Loop: Header=BB388_11 Depth=1
	v_and_b32_e32 v13, 7, v13
	v_mov_b32_e32 v14, v2
	v_lshrrev_b32_e32 v21, 3, v24
	s_mov_b32 s42, exec_lo
	v_cmpx_gt_u32_e32 8, v24
; %bb.231:                              ;   in Loop: Header=BB388_11 Depth=1
	v_ffbh_u32_e32 v21, v13
	v_min_u32_e32 v21, 32, v21
	v_subrev_nc_u32_e32 v24, 28, v21
	v_sub_nc_u32_e32 v21, 29, v21
	v_lshlrev_b64 v[13:14], v24, v[13:14]
	v_and_b32_e32 v13, 7, v13
; %bb.232:                              ;   in Loop: Header=BB388_11 Depth=1
	s_or_b32 exec_lo, exec_lo, s42
	v_lshlrev_b32_e32 v1, 16, v1
	v_lshlrev_b32_e32 v13, 20, v13
	v_lshl_add_u32 v14, v21, 23, 0x3c000000
	v_and_b32_e32 v1, 0x80000000, v1
	v_or3_b32 v21, v13, v1, v14
.LBB388_233:                            ;   in Loop: Header=BB388_11 Depth=1
	s_or_b32 exec_lo, exec_lo, s41
.LBB388_234:                            ;   in Loop: Header=BB388_11 Depth=1
	s_or_b32 exec_lo, exec_lo, s40
.LBB388_235:                            ;   in Loop: Header=BB388_11 Depth=1
	s_or_b32 exec_lo, exec_lo, s2
	v_and_b32_sdwa v1, v12, v103 dst_sel:DWORD dst_unused:UNUSED_PAD src0_sel:WORD_1 src1_sel:DWORD
	s_mov_b32 s2, exec_lo
	v_cmpx_ne_u16_e32 0, v1
	s_cbranch_execz .LBB388_243
; %bb.236:                              ;   in Loop: Header=BB388_11 Depth=1
	v_bfrev_b32_e32 v20, 1
	s_mov_b32 s40, exec_lo
	v_cmpx_ne_u16_e32 0x80, v1
	s_cbranch_execz .LBB388_242
; %bb.237:                              ;   in Loop: Header=BB388_11 Depth=1
	v_bfe_u32 v14, v12, 16, 7
	v_mov_b32_e32 v20, 0x7f800001
	s_mov_b32 s41, exec_lo
	v_cmpx_ne_u32_e32 0x7f, v14
	s_cbranch_execz .LBB388_241
; %bb.238:                              ;   in Loop: Header=BB388_11 Depth=1
	v_and_b32_sdwa v1, v12, v104 dst_sel:DWORD dst_unused:UNUSED_PAD src0_sel:WORD_1 src1_sel:DWORD
	v_lshrrev_b32_e32 v13, 3, v14
	s_mov_b32 s42, exec_lo
	v_cmpx_gt_u32_e32 8, v14
; %bb.239:                              ;   in Loop: Header=BB388_11 Depth=1
	v_ffbh_u32_e32 v13, v1
	v_min_u32_e32 v13, 32, v13
	v_subrev_nc_u32_e32 v14, 28, v13
	v_sub_nc_u32_e32 v13, 29, v13
	v_lshlrev_b64 v[24:25], v14, v[1:2]
	v_and_b32_e32 v1, 7, v24
; %bb.240:                              ;   in Loop: Header=BB388_11 Depth=1
	s_or_b32 exec_lo, exec_lo, s42
	v_lshlrev_b32_sdwa v14, v105, v12 dst_sel:DWORD dst_unused:UNUSED_PAD src0_sel:DWORD src1_sel:WORD_1
	v_lshlrev_b32_e32 v1, 20, v1
	v_lshl_add_u32 v13, v13, 23, 0x3c000000
	v_and_b32_e32 v14, 0x80000000, v14
	v_or3_b32 v20, v1, v14, v13
.LBB388_241:                            ;   in Loop: Header=BB388_11 Depth=1
	s_or_b32 exec_lo, exec_lo, s41
.LBB388_242:                            ;   in Loop: Header=BB388_11 Depth=1
	s_or_b32 exec_lo, exec_lo, s40
.LBB388_243:                            ;   in Loop: Header=BB388_11 Depth=1
	s_or_b32 exec_lo, exec_lo, s2
	v_mov_b32_e32 v25, 0
	v_mov_b32_e32 v24, 0
	s_mov_b32 s2, exec_lo
	v_cmpx_lt_u64_e64 s[4:5], v[11:12]
	s_cbranch_execz .LBB388_251
; %bb.244:                              ;   in Loop: Header=BB388_11 Depth=1
	v_cmp_ne_u32_sdwa s1, v12, v101 src0_sel:BYTE_3 src1_sel:DWORD
	v_bfrev_b32_e32 v24, 1
	s_and_saveexec_b32 s40, s1
	s_cbranch_execz .LBB388_250
; %bb.245:                              ;   in Loop: Header=BB388_11 Depth=1
	v_bfe_u32 v13, v12, 24, 7
	v_mov_b32_e32 v24, 0x7f800001
	s_mov_b32 s41, exec_lo
	v_cmpx_ne_u32_e32 0x7f, v13
	s_cbranch_execz .LBB388_249
; %bb.246:                              ;   in Loop: Header=BB388_11 Depth=1
	v_and_b32_sdwa v1, v12, v104 dst_sel:DWORD dst_unused:UNUSED_PAD src0_sel:BYTE_3 src1_sel:DWORD
	v_lshrrev_b32_e32 v11, 3, v13
	s_mov_b32 s42, exec_lo
	v_cmpx_gt_u32_e32 8, v13
; %bb.247:                              ;   in Loop: Header=BB388_11 Depth=1
	v_ffbh_u32_e32 v11, v1
	v_min_u32_e32 v11, 32, v11
	v_subrev_nc_u32_e32 v13, 28, v11
	v_sub_nc_u32_e32 v11, 29, v11
	v_lshlrev_b64 v[13:14], v13, v[1:2]
	v_and_b32_e32 v1, 7, v13
; %bb.248:                              ;   in Loop: Header=BB388_11 Depth=1
	s_or_b32 exec_lo, exec_lo, s42
	v_lshlrev_b32_sdwa v12, v105, v12 dst_sel:DWORD dst_unused:UNUSED_PAD src0_sel:DWORD src1_sel:BYTE_3
	v_lshlrev_b32_e32 v1, 20, v1
	v_lshl_add_u32 v11, v11, 23, 0x3c000000
	v_and_b32_e32 v12, 0x80000000, v12
	v_or3_b32 v24, v1, v12, v11
.LBB388_249:                            ;   in Loop: Header=BB388_11 Depth=1
	s_or_b32 exec_lo, exec_lo, s41
.LBB388_250:                            ;   in Loop: Header=BB388_11 Depth=1
	s_or_b32 exec_lo, exec_lo, s40
.LBB388_251:                            ;   in Loop: Header=BB388_11 Depth=1
	s_or_b32 exec_lo, exec_lo, s2
	global_load_dwordx2 v[11:12], v[7:8], off offset:1024
	s_waitcnt vmcnt(0)
	v_cmp_ne_u16_sdwa s1, v11, v2 src0_sel:BYTE_0 src1_sel:DWORD
	s_and_saveexec_b32 s2, s1
	s_cbranch_execz .LBB388_257
; %bb.252:                              ;   in Loop: Header=BB388_11 Depth=1
	v_cmp_ne_u16_sdwa s1, v11, v101 src0_sel:BYTE_0 src1_sel:DWORD
	v_bfrev_b32_e32 v25, 1
	s_and_saveexec_b32 s40, s1
	s_cbranch_execz .LBB388_256
; %bb.253:                              ;   in Loop: Header=BB388_11 Depth=1
	v_and_b32_e32 v1, 0x7f, v11
	v_mov_b32_e32 v25, 0x7f800001
	s_mov_b32 s41, exec_lo
	v_cmpx_ne_u32_e32 0x7f, v1
	s_cbranch_execz .LBB388_255
; %bb.254:                              ;   in Loop: Header=BB388_11 Depth=1
	v_and_b32_e32 v13, 7, v11
	v_lshrrev_b32_e32 v14, 3, v1
	v_cmp_gt_u32_e64 s1, 8, v1
	v_ffbh_u32_e32 v1, v13
	v_min_u32_e32 v1, 32, v1
	v_subrev_nc_u32_e32 v13, 28, v1
	v_sub_nc_u32_e32 v1, 29, v1
	v_cndmask_b32_e64 v13, 0, v13, s1
	v_cndmask_b32_e64 v1, v14, v1, s1
	v_lshlrev_b64 v[13:14], v13, v[11:12]
	v_lshlrev_b32_e32 v14, 24, v11
	v_lshl_add_u32 v1, v1, 23, 0x3c000000
	v_lshlrev_b32_e32 v13, 20, v13
	v_and_b32_e32 v14, 0x80000000, v14
	v_and_b32_e32 v13, 0x700000, v13
	v_or3_b32 v25, v13, v14, v1
.LBB388_255:                            ;   in Loop: Header=BB388_11 Depth=1
	s_or_b32 exec_lo, exec_lo, s41
.LBB388_256:                            ;   in Loop: Header=BB388_11 Depth=1
	s_or_b32 exec_lo, exec_lo, s40
.LBB388_257:                            ;   in Loop: Header=BB388_11 Depth=1
	s_or_b32 exec_lo, exec_lo, s2
	v_cmp_ne_u16_sdwa s1, v11, v2 src0_sel:BYTE_1 src1_sel:DWORD
	v_mov_b32_e32 v27, 0
	v_mov_b32_e32 v26, 0
	s_and_saveexec_b32 s2, s1
	s_cbranch_execz .LBB388_265
; %bb.258:                              ;   in Loop: Header=BB388_11 Depth=1
	v_cmp_ne_u16_sdwa s1, v11, v101 src0_sel:BYTE_1 src1_sel:DWORD
	v_bfrev_b32_e32 v26, 1
	s_and_saveexec_b32 s40, s1
	s_cbranch_execz .LBB388_264
; %bb.259:                              ;   in Loop: Header=BB388_11 Depth=1
	v_and_b32_sdwa v1, v102, v11 dst_sel:DWORD dst_unused:UNUSED_PAD src0_sel:DWORD src1_sel:BYTE_1
	v_mov_b32_e32 v26, 0x7f800001
	s_mov_b32 s41, exec_lo
	v_and_b32_e32 v14, 0x7f, v1
	v_cmpx_ne_u32_e32 0x7f, v14
	s_cbranch_execz .LBB388_263
; %bb.260:                              ;   in Loop: Header=BB388_11 Depth=1
	v_and_b32_e32 v1, 7, v1
	v_lshrrev_b32_e32 v13, 3, v14
	s_mov_b32 s42, exec_lo
	v_cmpx_gt_u32_e32 8, v14
; %bb.261:                              ;   in Loop: Header=BB388_11 Depth=1
	v_ffbh_u32_e32 v13, v1
	v_min_u32_e32 v13, 32, v13
	v_subrev_nc_u32_e32 v14, 28, v13
	v_sub_nc_u32_e32 v13, 29, v13
	v_lshlrev_b64 v[28:29], v14, v[1:2]
	v_and_b32_e32 v1, 7, v28
; %bb.262:                              ;   in Loop: Header=BB388_11 Depth=1
	s_or_b32 exec_lo, exec_lo, s42
	v_lshlrev_b32_e32 v14, 16, v11
	v_lshlrev_b32_e32 v1, 20, v1
	v_lshl_add_u32 v13, v13, 23, 0x3c000000
	v_and_b32_e32 v14, 0x80000000, v14
	v_or3_b32 v26, v1, v14, v13
.LBB388_263:                            ;   in Loop: Header=BB388_11 Depth=1
	s_or_b32 exec_lo, exec_lo, s41
.LBB388_264:                            ;   in Loop: Header=BB388_11 Depth=1
	s_or_b32 exec_lo, exec_lo, s40
.LBB388_265:                            ;   in Loop: Header=BB388_11 Depth=1
	s_or_b32 exec_lo, exec_lo, s2
	v_and_b32_sdwa v1, v11, v103 dst_sel:DWORD dst_unused:UNUSED_PAD src0_sel:WORD_1 src1_sel:DWORD
	s_mov_b32 s2, exec_lo
	v_cmpx_ne_u16_e32 0, v1
	s_cbranch_execz .LBB388_273
; %bb.266:                              ;   in Loop: Header=BB388_11 Depth=1
	v_bfrev_b32_e32 v27, 1
	s_mov_b32 s40, exec_lo
	v_cmpx_ne_u16_e32 0x80, v1
	s_cbranch_execz .LBB388_272
; %bb.267:                              ;   in Loop: Header=BB388_11 Depth=1
	v_bfe_u32 v14, v11, 16, 7
	v_mov_b32_e32 v27, 0x7f800001
	s_mov_b32 s41, exec_lo
	v_cmpx_ne_u32_e32 0x7f, v14
	s_cbranch_execz .LBB388_271
; %bb.268:                              ;   in Loop: Header=BB388_11 Depth=1
	v_and_b32_sdwa v1, v11, v104 dst_sel:DWORD dst_unused:UNUSED_PAD src0_sel:WORD_1 src1_sel:DWORD
	v_lshrrev_b32_e32 v13, 3, v14
	s_mov_b32 s42, exec_lo
	v_cmpx_gt_u32_e32 8, v14
; %bb.269:                              ;   in Loop: Header=BB388_11 Depth=1
	v_ffbh_u32_e32 v13, v1
	v_min_u32_e32 v13, 32, v13
	v_subrev_nc_u32_e32 v14, 28, v13
	v_sub_nc_u32_e32 v13, 29, v13
	v_lshlrev_b64 v[27:28], v14, v[1:2]
	v_and_b32_e32 v1, 7, v27
; %bb.270:                              ;   in Loop: Header=BB388_11 Depth=1
	s_or_b32 exec_lo, exec_lo, s42
	v_lshlrev_b32_sdwa v14, v105, v11 dst_sel:DWORD dst_unused:UNUSED_PAD src0_sel:DWORD src1_sel:WORD_1
	v_lshlrev_b32_e32 v1, 20, v1
	v_lshl_add_u32 v13, v13, 23, 0x3c000000
	v_and_b32_e32 v14, 0x80000000, v14
	v_or3_b32 v27, v1, v14, v13
.LBB388_271:                            ;   in Loop: Header=BB388_11 Depth=1
	s_or_b32 exec_lo, exec_lo, s41
.LBB388_272:                            ;   in Loop: Header=BB388_11 Depth=1
	s_or_b32 exec_lo, exec_lo, s40
.LBB388_273:                            ;   in Loop: Header=BB388_11 Depth=1
	s_or_b32 exec_lo, exec_lo, s2
	v_mov_b32_e32 v29, 0
	v_mov_b32_e32 v28, 0
	s_mov_b32 s2, exec_lo
	v_cmpx_lt_u32_e32 0xffffff, v11
	s_cbranch_execz .LBB388_281
; %bb.274:                              ;   in Loop: Header=BB388_11 Depth=1
	v_cmp_ne_u32_sdwa s1, v11, v101 src0_sel:BYTE_3 src1_sel:DWORD
	v_bfrev_b32_e32 v28, 1
	s_and_saveexec_b32 s40, s1
	s_cbranch_execz .LBB388_280
; %bb.275:                              ;   in Loop: Header=BB388_11 Depth=1
	v_bfe_u32 v14, v11, 24, 7
	v_mov_b32_e32 v28, 0x7f800001
	s_mov_b32 s41, exec_lo
	v_cmpx_ne_u32_e32 0x7f, v14
	s_cbranch_execz .LBB388_279
; %bb.276:                              ;   in Loop: Header=BB388_11 Depth=1
	v_and_b32_sdwa v1, v11, v104 dst_sel:DWORD dst_unused:UNUSED_PAD src0_sel:BYTE_3 src1_sel:DWORD
	v_lshrrev_b32_e32 v13, 3, v14
	s_mov_b32 s42, exec_lo
	v_cmpx_gt_u32_e32 8, v14
; %bb.277:                              ;   in Loop: Header=BB388_11 Depth=1
	v_ffbh_u32_e32 v13, v1
	v_min_u32_e32 v13, 32, v13
	v_subrev_nc_u32_e32 v14, 28, v13
	v_sub_nc_u32_e32 v13, 29, v13
	v_lshlrev_b64 v[30:31], v14, v[1:2]
	v_and_b32_e32 v1, 7, v30
; %bb.278:                              ;   in Loop: Header=BB388_11 Depth=1
	s_or_b32 exec_lo, exec_lo, s42
	v_lshlrev_b32_sdwa v14, v105, v11 dst_sel:DWORD dst_unused:UNUSED_PAD src0_sel:DWORD src1_sel:BYTE_3
	v_lshlrev_b32_e32 v1, 20, v1
	v_lshl_add_u32 v13, v13, 23, 0x3c000000
	v_and_b32_e32 v14, 0x80000000, v14
	v_or3_b32 v28, v1, v14, v13
.LBB388_279:                            ;   in Loop: Header=BB388_11 Depth=1
	s_or_b32 exec_lo, exec_lo, s41
.LBB388_280:                            ;   in Loop: Header=BB388_11 Depth=1
	s_or_b32 exec_lo, exec_lo, s40
.LBB388_281:                            ;   in Loop: Header=BB388_11 Depth=1
	s_or_b32 exec_lo, exec_lo, s2
	v_mov_b32_e32 v1, v12
	v_cmp_ne_u16_sdwa s1, v12, v2 src0_sel:BYTE_0 src1_sel:DWORD
	s_and_saveexec_b32 s2, s1
	s_cbranch_execz .LBB388_287
; %bb.282:                              ;   in Loop: Header=BB388_11 Depth=1
	v_cmp_ne_u16_sdwa s1, v12, v101 src0_sel:BYTE_0 src1_sel:DWORD
	v_bfrev_b32_e32 v29, 1
	s_and_saveexec_b32 s40, s1
	s_cbranch_execz .LBB388_286
; %bb.283:                              ;   in Loop: Header=BB388_11 Depth=1
	v_and_b32_e32 v13, 0x7f, v12
	v_mov_b32_e32 v29, 0x7f800001
	s_mov_b32 s41, exec_lo
	v_cmpx_ne_u32_e32 0x7f, v13
	s_cbranch_execz .LBB388_285
; %bb.284:                              ;   in Loop: Header=BB388_11 Depth=1
	v_and_b32_e32 v14, 7, v12
	v_lshrrev_b32_e32 v29, 3, v13
	v_cmp_gt_u32_e64 s1, 8, v13
	v_ffbh_u32_e32 v13, v14
	v_min_u32_e32 v13, 32, v13
	v_subrev_nc_u32_e32 v14, 28, v13
	v_sub_nc_u32_e32 v13, 29, v13
	v_cndmask_b32_e64 v29, v29, v13, s1
	v_cndmask_b32_e64 v13, 0, v14, s1
	v_lshl_add_u32 v29, v29, 23, 0x3c000000
	v_lshlrev_b64 v[13:14], v13, v[1:2]
	v_lshlrev_b32_e32 v14, 24, v1
	v_lshlrev_b32_e32 v13, 20, v13
	v_and_b32_e32 v14, 0x80000000, v14
	v_and_b32_e32 v13, 0x700000, v13
	v_or3_b32 v29, v13, v14, v29
.LBB388_285:                            ;   in Loop: Header=BB388_11 Depth=1
	s_or_b32 exec_lo, exec_lo, s41
.LBB388_286:                            ;   in Loop: Header=BB388_11 Depth=1
	s_or_b32 exec_lo, exec_lo, s40
.LBB388_287:                            ;   in Loop: Header=BB388_11 Depth=1
	s_or_b32 exec_lo, exec_lo, s2
	v_cmp_ne_u16_sdwa s1, v1, v2 src0_sel:BYTE_1 src1_sel:DWORD
	v_mov_b32_e32 v30, 0
	v_mov_b32_e32 v31, 0
	s_and_saveexec_b32 s2, s1
	s_cbranch_execz .LBB388_295
; %bb.288:                              ;   in Loop: Header=BB388_11 Depth=1
	v_cmp_ne_u16_sdwa s1, v1, v101 src0_sel:BYTE_1 src1_sel:DWORD
	v_bfrev_b32_e32 v31, 1
	s_and_saveexec_b32 s40, s1
	s_cbranch_execz .LBB388_294
; %bb.289:                              ;   in Loop: Header=BB388_11 Depth=1
	v_and_b32_sdwa v13, v102, v1 dst_sel:DWORD dst_unused:UNUSED_PAD src0_sel:DWORD src1_sel:BYTE_1
	v_mov_b32_e32 v31, 0x7f800001
	s_mov_b32 s41, exec_lo
	v_and_b32_e32 v32, 0x7f, v13
	v_cmpx_ne_u32_e32 0x7f, v32
	s_cbranch_execz .LBB388_293
; %bb.290:                              ;   in Loop: Header=BB388_11 Depth=1
	v_and_b32_e32 v13, 7, v13
	v_mov_b32_e32 v14, v2
	v_lshrrev_b32_e32 v31, 3, v32
	s_mov_b32 s42, exec_lo
	v_cmpx_gt_u32_e32 8, v32
; %bb.291:                              ;   in Loop: Header=BB388_11 Depth=1
	v_ffbh_u32_e32 v31, v13
	v_min_u32_e32 v31, 32, v31
	v_subrev_nc_u32_e32 v32, 28, v31
	v_sub_nc_u32_e32 v31, 29, v31
	v_lshlrev_b64 v[13:14], v32, v[13:14]
	v_and_b32_e32 v13, 7, v13
; %bb.292:                              ;   in Loop: Header=BB388_11 Depth=1
	s_or_b32 exec_lo, exec_lo, s42
	v_lshlrev_b32_e32 v1, 16, v1
	v_lshlrev_b32_e32 v13, 20, v13
	v_lshl_add_u32 v14, v31, 23, 0x3c000000
	v_and_b32_e32 v1, 0x80000000, v1
	v_or3_b32 v31, v13, v1, v14
.LBB388_293:                            ;   in Loop: Header=BB388_11 Depth=1
	s_or_b32 exec_lo, exec_lo, s41
.LBB388_294:                            ;   in Loop: Header=BB388_11 Depth=1
	s_or_b32 exec_lo, exec_lo, s40
.LBB388_295:                            ;   in Loop: Header=BB388_11 Depth=1
	s_or_b32 exec_lo, exec_lo, s2
	v_and_b32_sdwa v1, v12, v103 dst_sel:DWORD dst_unused:UNUSED_PAD src0_sel:WORD_1 src1_sel:DWORD
	s_mov_b32 s2, exec_lo
	v_cmpx_ne_u16_e32 0, v1
	s_cbranch_execz .LBB388_303
; %bb.296:                              ;   in Loop: Header=BB388_11 Depth=1
	v_bfrev_b32_e32 v30, 1
	s_mov_b32 s40, exec_lo
	v_cmpx_ne_u16_e32 0x80, v1
	s_cbranch_execz .LBB388_302
; %bb.297:                              ;   in Loop: Header=BB388_11 Depth=1
	v_bfe_u32 v14, v12, 16, 7
	v_mov_b32_e32 v30, 0x7f800001
	s_mov_b32 s41, exec_lo
	v_cmpx_ne_u32_e32 0x7f, v14
	s_cbranch_execz .LBB388_301
; %bb.298:                              ;   in Loop: Header=BB388_11 Depth=1
	v_and_b32_sdwa v1, v12, v104 dst_sel:DWORD dst_unused:UNUSED_PAD src0_sel:WORD_1 src1_sel:DWORD
	v_lshrrev_b32_e32 v13, 3, v14
	s_mov_b32 s42, exec_lo
	v_cmpx_gt_u32_e32 8, v14
; %bb.299:                              ;   in Loop: Header=BB388_11 Depth=1
	v_ffbh_u32_e32 v13, v1
	v_min_u32_e32 v13, 32, v13
	v_subrev_nc_u32_e32 v14, 28, v13
	v_sub_nc_u32_e32 v13, 29, v13
	v_lshlrev_b64 v[32:33], v14, v[1:2]
	v_and_b32_e32 v1, 7, v32
; %bb.300:                              ;   in Loop: Header=BB388_11 Depth=1
	s_or_b32 exec_lo, exec_lo, s42
	v_lshlrev_b32_sdwa v14, v105, v12 dst_sel:DWORD dst_unused:UNUSED_PAD src0_sel:DWORD src1_sel:WORD_1
	v_lshlrev_b32_e32 v1, 20, v1
	v_lshl_add_u32 v13, v13, 23, 0x3c000000
	v_and_b32_e32 v14, 0x80000000, v14
	v_or3_b32 v30, v1, v14, v13
.LBB388_301:                            ;   in Loop: Header=BB388_11 Depth=1
	s_or_b32 exec_lo, exec_lo, s41
.LBB388_302:                            ;   in Loop: Header=BB388_11 Depth=1
	s_or_b32 exec_lo, exec_lo, s40
.LBB388_303:                            ;   in Loop: Header=BB388_11 Depth=1
	s_or_b32 exec_lo, exec_lo, s2
	v_mov_b32_e32 v33, 0
	v_mov_b32_e32 v32, 0
	s_mov_b32 s2, exec_lo
	v_cmpx_lt_u64_e64 s[4:5], v[11:12]
	s_cbranch_execz .LBB388_311
; %bb.304:                              ;   in Loop: Header=BB388_11 Depth=1
	v_cmp_ne_u32_sdwa s1, v12, v101 src0_sel:BYTE_3 src1_sel:DWORD
	v_bfrev_b32_e32 v32, 1
	s_and_saveexec_b32 s40, s1
	s_cbranch_execz .LBB388_310
; %bb.305:                              ;   in Loop: Header=BB388_11 Depth=1
	v_bfe_u32 v13, v12, 24, 7
	v_mov_b32_e32 v32, 0x7f800001
	s_mov_b32 s41, exec_lo
	v_cmpx_ne_u32_e32 0x7f, v13
	s_cbranch_execz .LBB388_309
; %bb.306:                              ;   in Loop: Header=BB388_11 Depth=1
	v_and_b32_sdwa v1, v12, v104 dst_sel:DWORD dst_unused:UNUSED_PAD src0_sel:BYTE_3 src1_sel:DWORD
	v_lshrrev_b32_e32 v11, 3, v13
	s_mov_b32 s42, exec_lo
	v_cmpx_gt_u32_e32 8, v13
; %bb.307:                              ;   in Loop: Header=BB388_11 Depth=1
	v_ffbh_u32_e32 v11, v1
	v_min_u32_e32 v11, 32, v11
	v_subrev_nc_u32_e32 v13, 28, v11
	v_sub_nc_u32_e32 v11, 29, v11
	v_lshlrev_b64 v[13:14], v13, v[1:2]
	v_and_b32_e32 v1, 7, v13
; %bb.308:                              ;   in Loop: Header=BB388_11 Depth=1
	s_or_b32 exec_lo, exec_lo, s42
	v_lshlrev_b32_sdwa v12, v105, v12 dst_sel:DWORD dst_unused:UNUSED_PAD src0_sel:DWORD src1_sel:BYTE_3
	v_lshlrev_b32_e32 v1, 20, v1
	v_lshl_add_u32 v11, v11, 23, 0x3c000000
	v_and_b32_e32 v12, 0x80000000, v12
	v_or3_b32 v32, v1, v12, v11
.LBB388_309:                            ;   in Loop: Header=BB388_11 Depth=1
	s_or_b32 exec_lo, exec_lo, s41
.LBB388_310:                            ;   in Loop: Header=BB388_11 Depth=1
	s_or_b32 exec_lo, exec_lo, s40
.LBB388_311:                            ;   in Loop: Header=BB388_11 Depth=1
	s_or_b32 exec_lo, exec_lo, s2
	global_load_dwordx2 v[11:12], v[7:8], off offset:1032
	s_waitcnt vmcnt(0)
	v_cmp_ne_u16_sdwa s1, v11, v2 src0_sel:BYTE_0 src1_sel:DWORD
	s_and_saveexec_b32 s2, s1
	s_cbranch_execz .LBB388_317
; %bb.312:                              ;   in Loop: Header=BB388_11 Depth=1
	v_cmp_ne_u16_sdwa s1, v11, v101 src0_sel:BYTE_0 src1_sel:DWORD
	v_bfrev_b32_e32 v33, 1
	s_and_saveexec_b32 s40, s1
	s_cbranch_execz .LBB388_316
; %bb.313:                              ;   in Loop: Header=BB388_11 Depth=1
	v_and_b32_e32 v1, 0x7f, v11
	v_mov_b32_e32 v33, 0x7f800001
	s_mov_b32 s41, exec_lo
	v_cmpx_ne_u32_e32 0x7f, v1
	s_cbranch_execz .LBB388_315
; %bb.314:                              ;   in Loop: Header=BB388_11 Depth=1
	v_and_b32_e32 v13, 7, v11
	v_lshrrev_b32_e32 v14, 3, v1
	v_cmp_gt_u32_e64 s1, 8, v1
	v_ffbh_u32_e32 v1, v13
	v_min_u32_e32 v1, 32, v1
	v_subrev_nc_u32_e32 v13, 28, v1
	v_sub_nc_u32_e32 v1, 29, v1
	v_cndmask_b32_e64 v13, 0, v13, s1
	v_cndmask_b32_e64 v1, v14, v1, s1
	v_lshlrev_b64 v[13:14], v13, v[11:12]
	v_lshlrev_b32_e32 v14, 24, v11
	v_lshl_add_u32 v1, v1, 23, 0x3c000000
	v_lshlrev_b32_e32 v13, 20, v13
	v_and_b32_e32 v14, 0x80000000, v14
	v_and_b32_e32 v13, 0x700000, v13
	v_or3_b32 v33, v13, v14, v1
.LBB388_315:                            ;   in Loop: Header=BB388_11 Depth=1
	s_or_b32 exec_lo, exec_lo, s41
.LBB388_316:                            ;   in Loop: Header=BB388_11 Depth=1
	s_or_b32 exec_lo, exec_lo, s40
.LBB388_317:                            ;   in Loop: Header=BB388_11 Depth=1
	s_or_b32 exec_lo, exec_lo, s2
	v_cmp_ne_u16_sdwa s1, v11, v2 src0_sel:BYTE_1 src1_sel:DWORD
	v_mov_b32_e32 v35, 0
	v_mov_b32_e32 v34, 0
	s_and_saveexec_b32 s2, s1
	s_cbranch_execz .LBB388_325
; %bb.318:                              ;   in Loop: Header=BB388_11 Depth=1
	v_cmp_ne_u16_sdwa s1, v11, v101 src0_sel:BYTE_1 src1_sel:DWORD
	v_bfrev_b32_e32 v34, 1
	s_and_saveexec_b32 s40, s1
	s_cbranch_execz .LBB388_324
; %bb.319:                              ;   in Loop: Header=BB388_11 Depth=1
	v_and_b32_sdwa v1, v102, v11 dst_sel:DWORD dst_unused:UNUSED_PAD src0_sel:DWORD src1_sel:BYTE_1
	v_mov_b32_e32 v34, 0x7f800001
	s_mov_b32 s41, exec_lo
	v_and_b32_e32 v14, 0x7f, v1
	v_cmpx_ne_u32_e32 0x7f, v14
	s_cbranch_execz .LBB388_323
; %bb.320:                              ;   in Loop: Header=BB388_11 Depth=1
	v_and_b32_e32 v1, 7, v1
	v_lshrrev_b32_e32 v13, 3, v14
	s_mov_b32 s42, exec_lo
	v_cmpx_gt_u32_e32 8, v14
; %bb.321:                              ;   in Loop: Header=BB388_11 Depth=1
	v_ffbh_u32_e32 v13, v1
	v_min_u32_e32 v13, 32, v13
	v_subrev_nc_u32_e32 v14, 28, v13
	v_sub_nc_u32_e32 v13, 29, v13
	v_lshlrev_b64 v[36:37], v14, v[1:2]
	v_and_b32_e32 v1, 7, v36
; %bb.322:                              ;   in Loop: Header=BB388_11 Depth=1
	s_or_b32 exec_lo, exec_lo, s42
	v_lshlrev_b32_e32 v14, 16, v11
	v_lshlrev_b32_e32 v1, 20, v1
	v_lshl_add_u32 v13, v13, 23, 0x3c000000
	v_and_b32_e32 v14, 0x80000000, v14
	v_or3_b32 v34, v1, v14, v13
.LBB388_323:                            ;   in Loop: Header=BB388_11 Depth=1
	s_or_b32 exec_lo, exec_lo, s41
.LBB388_324:                            ;   in Loop: Header=BB388_11 Depth=1
	s_or_b32 exec_lo, exec_lo, s40
.LBB388_325:                            ;   in Loop: Header=BB388_11 Depth=1
	s_or_b32 exec_lo, exec_lo, s2
	v_and_b32_sdwa v1, v11, v103 dst_sel:DWORD dst_unused:UNUSED_PAD src0_sel:WORD_1 src1_sel:DWORD
	s_mov_b32 s2, exec_lo
	v_cmpx_ne_u16_e32 0, v1
	s_cbranch_execz .LBB388_333
; %bb.326:                              ;   in Loop: Header=BB388_11 Depth=1
	v_bfrev_b32_e32 v35, 1
	s_mov_b32 s40, exec_lo
	v_cmpx_ne_u16_e32 0x80, v1
	s_cbranch_execz .LBB388_332
; %bb.327:                              ;   in Loop: Header=BB388_11 Depth=1
	v_bfe_u32 v14, v11, 16, 7
	v_mov_b32_e32 v35, 0x7f800001
	s_mov_b32 s41, exec_lo
	v_cmpx_ne_u32_e32 0x7f, v14
	s_cbranch_execz .LBB388_331
; %bb.328:                              ;   in Loop: Header=BB388_11 Depth=1
	v_and_b32_sdwa v1, v11, v104 dst_sel:DWORD dst_unused:UNUSED_PAD src0_sel:WORD_1 src1_sel:DWORD
	v_lshrrev_b32_e32 v13, 3, v14
	s_mov_b32 s42, exec_lo
	v_cmpx_gt_u32_e32 8, v14
; %bb.329:                              ;   in Loop: Header=BB388_11 Depth=1
	v_ffbh_u32_e32 v13, v1
	v_min_u32_e32 v13, 32, v13
	v_subrev_nc_u32_e32 v14, 28, v13
	v_sub_nc_u32_e32 v13, 29, v13
	v_lshlrev_b64 v[35:36], v14, v[1:2]
	v_and_b32_e32 v1, 7, v35
; %bb.330:                              ;   in Loop: Header=BB388_11 Depth=1
	s_or_b32 exec_lo, exec_lo, s42
	v_lshlrev_b32_sdwa v14, v105, v11 dst_sel:DWORD dst_unused:UNUSED_PAD src0_sel:DWORD src1_sel:WORD_1
	v_lshlrev_b32_e32 v1, 20, v1
	v_lshl_add_u32 v13, v13, 23, 0x3c000000
	v_and_b32_e32 v14, 0x80000000, v14
	v_or3_b32 v35, v1, v14, v13
.LBB388_331:                            ;   in Loop: Header=BB388_11 Depth=1
	s_or_b32 exec_lo, exec_lo, s41
.LBB388_332:                            ;   in Loop: Header=BB388_11 Depth=1
	s_or_b32 exec_lo, exec_lo, s40
.LBB388_333:                            ;   in Loop: Header=BB388_11 Depth=1
	s_or_b32 exec_lo, exec_lo, s2
	v_mov_b32_e32 v37, 0
	v_mov_b32_e32 v36, 0
	s_mov_b32 s2, exec_lo
	v_cmpx_lt_u32_e32 0xffffff, v11
	s_cbranch_execz .LBB388_341
; %bb.334:                              ;   in Loop: Header=BB388_11 Depth=1
	v_cmp_ne_u32_sdwa s1, v11, v101 src0_sel:BYTE_3 src1_sel:DWORD
	v_bfrev_b32_e32 v36, 1
	s_and_saveexec_b32 s40, s1
	s_cbranch_execz .LBB388_340
; %bb.335:                              ;   in Loop: Header=BB388_11 Depth=1
	v_bfe_u32 v14, v11, 24, 7
	v_mov_b32_e32 v36, 0x7f800001
	s_mov_b32 s41, exec_lo
	v_cmpx_ne_u32_e32 0x7f, v14
	s_cbranch_execz .LBB388_339
; %bb.336:                              ;   in Loop: Header=BB388_11 Depth=1
	v_and_b32_sdwa v1, v11, v104 dst_sel:DWORD dst_unused:UNUSED_PAD src0_sel:BYTE_3 src1_sel:DWORD
	v_lshrrev_b32_e32 v13, 3, v14
	s_mov_b32 s42, exec_lo
	v_cmpx_gt_u32_e32 8, v14
; %bb.337:                              ;   in Loop: Header=BB388_11 Depth=1
	v_ffbh_u32_e32 v13, v1
	v_min_u32_e32 v13, 32, v13
	v_subrev_nc_u32_e32 v14, 28, v13
	v_sub_nc_u32_e32 v13, 29, v13
	v_lshlrev_b64 v[38:39], v14, v[1:2]
	v_and_b32_e32 v1, 7, v38
; %bb.338:                              ;   in Loop: Header=BB388_11 Depth=1
	s_or_b32 exec_lo, exec_lo, s42
	v_lshlrev_b32_sdwa v14, v105, v11 dst_sel:DWORD dst_unused:UNUSED_PAD src0_sel:DWORD src1_sel:BYTE_3
	v_lshlrev_b32_e32 v1, 20, v1
	v_lshl_add_u32 v13, v13, 23, 0x3c000000
	v_and_b32_e32 v14, 0x80000000, v14
	v_or3_b32 v36, v1, v14, v13
.LBB388_339:                            ;   in Loop: Header=BB388_11 Depth=1
	s_or_b32 exec_lo, exec_lo, s41
.LBB388_340:                            ;   in Loop: Header=BB388_11 Depth=1
	s_or_b32 exec_lo, exec_lo, s40
.LBB388_341:                            ;   in Loop: Header=BB388_11 Depth=1
	s_or_b32 exec_lo, exec_lo, s2
	v_mov_b32_e32 v1, v12
	v_cmp_ne_u16_sdwa s1, v12, v2 src0_sel:BYTE_0 src1_sel:DWORD
	s_and_saveexec_b32 s2, s1
	s_cbranch_execz .LBB388_347
; %bb.342:                              ;   in Loop: Header=BB388_11 Depth=1
	v_cmp_ne_u16_sdwa s1, v12, v101 src0_sel:BYTE_0 src1_sel:DWORD
	v_bfrev_b32_e32 v37, 1
	s_and_saveexec_b32 s40, s1
	s_cbranch_execz .LBB388_346
; %bb.343:                              ;   in Loop: Header=BB388_11 Depth=1
	v_and_b32_e32 v13, 0x7f, v12
	v_mov_b32_e32 v37, 0x7f800001
	s_mov_b32 s41, exec_lo
	v_cmpx_ne_u32_e32 0x7f, v13
	s_cbranch_execz .LBB388_345
; %bb.344:                              ;   in Loop: Header=BB388_11 Depth=1
	v_and_b32_e32 v14, 7, v12
	v_lshrrev_b32_e32 v37, 3, v13
	v_cmp_gt_u32_e64 s1, 8, v13
	v_ffbh_u32_e32 v13, v14
	v_min_u32_e32 v13, 32, v13
	v_subrev_nc_u32_e32 v14, 28, v13
	v_sub_nc_u32_e32 v13, 29, v13
	v_cndmask_b32_e64 v37, v37, v13, s1
	v_cndmask_b32_e64 v13, 0, v14, s1
	v_lshl_add_u32 v37, v37, 23, 0x3c000000
	v_lshlrev_b64 v[13:14], v13, v[1:2]
	v_lshlrev_b32_e32 v14, 24, v1
	v_lshlrev_b32_e32 v13, 20, v13
	v_and_b32_e32 v14, 0x80000000, v14
	v_and_b32_e32 v13, 0x700000, v13
	v_or3_b32 v37, v13, v14, v37
.LBB388_345:                            ;   in Loop: Header=BB388_11 Depth=1
	s_or_b32 exec_lo, exec_lo, s41
.LBB388_346:                            ;   in Loop: Header=BB388_11 Depth=1
	s_or_b32 exec_lo, exec_lo, s40
.LBB388_347:                            ;   in Loop: Header=BB388_11 Depth=1
	s_or_b32 exec_lo, exec_lo, s2
	v_cmp_ne_u16_sdwa s1, v1, v2 src0_sel:BYTE_1 src1_sel:DWORD
	v_mov_b32_e32 v38, 0
	v_mov_b32_e32 v39, 0
	s_and_saveexec_b32 s2, s1
	s_cbranch_execz .LBB388_355
; %bb.348:                              ;   in Loop: Header=BB388_11 Depth=1
	v_cmp_ne_u16_sdwa s1, v1, v101 src0_sel:BYTE_1 src1_sel:DWORD
	v_bfrev_b32_e32 v39, 1
	s_and_saveexec_b32 s40, s1
	s_cbranch_execz .LBB388_354
; %bb.349:                              ;   in Loop: Header=BB388_11 Depth=1
	v_and_b32_sdwa v13, v102, v1 dst_sel:DWORD dst_unused:UNUSED_PAD src0_sel:DWORD src1_sel:BYTE_1
	v_mov_b32_e32 v39, 0x7f800001
	s_mov_b32 s41, exec_lo
	v_and_b32_e32 v40, 0x7f, v13
	v_cmpx_ne_u32_e32 0x7f, v40
	s_cbranch_execz .LBB388_353
; %bb.350:                              ;   in Loop: Header=BB388_11 Depth=1
	v_and_b32_e32 v13, 7, v13
	v_mov_b32_e32 v14, v2
	v_lshrrev_b32_e32 v39, 3, v40
	s_mov_b32 s42, exec_lo
	v_cmpx_gt_u32_e32 8, v40
; %bb.351:                              ;   in Loop: Header=BB388_11 Depth=1
	v_ffbh_u32_e32 v39, v13
	v_min_u32_e32 v39, 32, v39
	v_subrev_nc_u32_e32 v40, 28, v39
	v_sub_nc_u32_e32 v39, 29, v39
	v_lshlrev_b64 v[13:14], v40, v[13:14]
	v_and_b32_e32 v13, 7, v13
; %bb.352:                              ;   in Loop: Header=BB388_11 Depth=1
	s_or_b32 exec_lo, exec_lo, s42
	v_lshlrev_b32_e32 v1, 16, v1
	v_lshlrev_b32_e32 v13, 20, v13
	v_lshl_add_u32 v14, v39, 23, 0x3c000000
	v_and_b32_e32 v1, 0x80000000, v1
	v_or3_b32 v39, v13, v1, v14
.LBB388_353:                            ;   in Loop: Header=BB388_11 Depth=1
	s_or_b32 exec_lo, exec_lo, s41
.LBB388_354:                            ;   in Loop: Header=BB388_11 Depth=1
	s_or_b32 exec_lo, exec_lo, s40
.LBB388_355:                            ;   in Loop: Header=BB388_11 Depth=1
	s_or_b32 exec_lo, exec_lo, s2
	v_and_b32_sdwa v1, v12, v103 dst_sel:DWORD dst_unused:UNUSED_PAD src0_sel:WORD_1 src1_sel:DWORD
	s_mov_b32 s2, exec_lo
	v_cmpx_ne_u16_e32 0, v1
	s_cbranch_execz .LBB388_363
; %bb.356:                              ;   in Loop: Header=BB388_11 Depth=1
	v_bfrev_b32_e32 v38, 1
	s_mov_b32 s40, exec_lo
	v_cmpx_ne_u16_e32 0x80, v1
	s_cbranch_execz .LBB388_362
; %bb.357:                              ;   in Loop: Header=BB388_11 Depth=1
	v_bfe_u32 v14, v12, 16, 7
	v_mov_b32_e32 v38, 0x7f800001
	s_mov_b32 s41, exec_lo
	v_cmpx_ne_u32_e32 0x7f, v14
	s_cbranch_execz .LBB388_361
; %bb.358:                              ;   in Loop: Header=BB388_11 Depth=1
	v_and_b32_sdwa v1, v12, v104 dst_sel:DWORD dst_unused:UNUSED_PAD src0_sel:WORD_1 src1_sel:DWORD
	v_lshrrev_b32_e32 v13, 3, v14
	s_mov_b32 s42, exec_lo
	v_cmpx_gt_u32_e32 8, v14
; %bb.359:                              ;   in Loop: Header=BB388_11 Depth=1
	v_ffbh_u32_e32 v13, v1
	v_min_u32_e32 v13, 32, v13
	v_subrev_nc_u32_e32 v14, 28, v13
	v_sub_nc_u32_e32 v13, 29, v13
	v_lshlrev_b64 v[40:41], v14, v[1:2]
	v_and_b32_e32 v1, 7, v40
; %bb.360:                              ;   in Loop: Header=BB388_11 Depth=1
	s_or_b32 exec_lo, exec_lo, s42
	v_lshlrev_b32_sdwa v14, v105, v12 dst_sel:DWORD dst_unused:UNUSED_PAD src0_sel:DWORD src1_sel:WORD_1
	v_lshlrev_b32_e32 v1, 20, v1
	v_lshl_add_u32 v13, v13, 23, 0x3c000000
	v_and_b32_e32 v14, 0x80000000, v14
	v_or3_b32 v38, v1, v14, v13
.LBB388_361:                            ;   in Loop: Header=BB388_11 Depth=1
	s_or_b32 exec_lo, exec_lo, s41
.LBB388_362:                            ;   in Loop: Header=BB388_11 Depth=1
	s_or_b32 exec_lo, exec_lo, s40
.LBB388_363:                            ;   in Loop: Header=BB388_11 Depth=1
	s_or_b32 exec_lo, exec_lo, s2
	v_mov_b32_e32 v41, 0
	v_mov_b32_e32 v40, 0
	s_mov_b32 s2, exec_lo
	v_cmpx_lt_u64_e64 s[4:5], v[11:12]
	s_cbranch_execz .LBB388_371
; %bb.364:                              ;   in Loop: Header=BB388_11 Depth=1
	v_cmp_ne_u32_sdwa s1, v12, v101 src0_sel:BYTE_3 src1_sel:DWORD
	v_bfrev_b32_e32 v40, 1
	s_and_saveexec_b32 s40, s1
	s_cbranch_execz .LBB388_370
; %bb.365:                              ;   in Loop: Header=BB388_11 Depth=1
	v_bfe_u32 v13, v12, 24, 7
	v_mov_b32_e32 v40, 0x7f800001
	s_mov_b32 s41, exec_lo
	v_cmpx_ne_u32_e32 0x7f, v13
	s_cbranch_execz .LBB388_369
; %bb.366:                              ;   in Loop: Header=BB388_11 Depth=1
	v_and_b32_sdwa v1, v12, v104 dst_sel:DWORD dst_unused:UNUSED_PAD src0_sel:BYTE_3 src1_sel:DWORD
	v_lshrrev_b32_e32 v11, 3, v13
	s_mov_b32 s42, exec_lo
	v_cmpx_gt_u32_e32 8, v13
; %bb.367:                              ;   in Loop: Header=BB388_11 Depth=1
	v_ffbh_u32_e32 v11, v1
	v_min_u32_e32 v11, 32, v11
	v_subrev_nc_u32_e32 v13, 28, v11
	v_sub_nc_u32_e32 v11, 29, v11
	v_lshlrev_b64 v[13:14], v13, v[1:2]
	v_and_b32_e32 v1, 7, v13
; %bb.368:                              ;   in Loop: Header=BB388_11 Depth=1
	s_or_b32 exec_lo, exec_lo, s42
	v_lshlrev_b32_sdwa v12, v105, v12 dst_sel:DWORD dst_unused:UNUSED_PAD src0_sel:DWORD src1_sel:BYTE_3
	v_lshlrev_b32_e32 v1, 20, v1
	v_lshl_add_u32 v11, v11, 23, 0x3c000000
	v_and_b32_e32 v12, 0x80000000, v12
	v_or3_b32 v40, v1, v12, v11
.LBB388_369:                            ;   in Loop: Header=BB388_11 Depth=1
	s_or_b32 exec_lo, exec_lo, s41
.LBB388_370:                            ;   in Loop: Header=BB388_11 Depth=1
	s_or_b32 exec_lo, exec_lo, s40
.LBB388_371:                            ;   in Loop: Header=BB388_11 Depth=1
	s_or_b32 exec_lo, exec_lo, s2
	global_load_dwordx2 v[11:12], v[7:8], off offset:1536
	s_waitcnt vmcnt(0)
	v_cmp_ne_u16_sdwa s1, v11, v2 src0_sel:BYTE_0 src1_sel:DWORD
	s_and_saveexec_b32 s2, s1
	s_cbranch_execz .LBB388_377
; %bb.372:                              ;   in Loop: Header=BB388_11 Depth=1
	v_cmp_ne_u16_sdwa s1, v11, v101 src0_sel:BYTE_0 src1_sel:DWORD
	v_bfrev_b32_e32 v41, 1
	s_and_saveexec_b32 s40, s1
	s_cbranch_execz .LBB388_376
; %bb.373:                              ;   in Loop: Header=BB388_11 Depth=1
	v_and_b32_e32 v1, 0x7f, v11
	v_mov_b32_e32 v41, 0x7f800001
	s_mov_b32 s41, exec_lo
	v_cmpx_ne_u32_e32 0x7f, v1
	s_cbranch_execz .LBB388_375
; %bb.374:                              ;   in Loop: Header=BB388_11 Depth=1
	v_and_b32_e32 v13, 7, v11
	v_lshrrev_b32_e32 v14, 3, v1
	v_cmp_gt_u32_e64 s1, 8, v1
	v_ffbh_u32_e32 v1, v13
	v_min_u32_e32 v1, 32, v1
	v_subrev_nc_u32_e32 v13, 28, v1
	v_sub_nc_u32_e32 v1, 29, v1
	v_cndmask_b32_e64 v13, 0, v13, s1
	v_cndmask_b32_e64 v1, v14, v1, s1
	v_lshlrev_b64 v[13:14], v13, v[11:12]
	v_lshlrev_b32_e32 v14, 24, v11
	v_lshl_add_u32 v1, v1, 23, 0x3c000000
	v_lshlrev_b32_e32 v13, 20, v13
	v_and_b32_e32 v14, 0x80000000, v14
	v_and_b32_e32 v13, 0x700000, v13
	v_or3_b32 v41, v13, v14, v1
.LBB388_375:                            ;   in Loop: Header=BB388_11 Depth=1
	s_or_b32 exec_lo, exec_lo, s41
.LBB388_376:                            ;   in Loop: Header=BB388_11 Depth=1
	s_or_b32 exec_lo, exec_lo, s40
.LBB388_377:                            ;   in Loop: Header=BB388_11 Depth=1
	s_or_b32 exec_lo, exec_lo, s2
	v_cmp_ne_u16_sdwa s1, v11, v2 src0_sel:BYTE_1 src1_sel:DWORD
	v_mov_b32_e32 v43, 0
	v_mov_b32_e32 v42, 0
	s_and_saveexec_b32 s2, s1
	s_cbranch_execz .LBB388_385
; %bb.378:                              ;   in Loop: Header=BB388_11 Depth=1
	v_cmp_ne_u16_sdwa s1, v11, v101 src0_sel:BYTE_1 src1_sel:DWORD
	v_bfrev_b32_e32 v42, 1
	s_and_saveexec_b32 s40, s1
	s_cbranch_execz .LBB388_384
; %bb.379:                              ;   in Loop: Header=BB388_11 Depth=1
	v_and_b32_sdwa v1, v102, v11 dst_sel:DWORD dst_unused:UNUSED_PAD src0_sel:DWORD src1_sel:BYTE_1
	v_mov_b32_e32 v42, 0x7f800001
	s_mov_b32 s41, exec_lo
	v_and_b32_e32 v14, 0x7f, v1
	v_cmpx_ne_u32_e32 0x7f, v14
	s_cbranch_execz .LBB388_383
; %bb.380:                              ;   in Loop: Header=BB388_11 Depth=1
	v_and_b32_e32 v1, 7, v1
	v_lshrrev_b32_e32 v13, 3, v14
	s_mov_b32 s42, exec_lo
	v_cmpx_gt_u32_e32 8, v14
; %bb.381:                              ;   in Loop: Header=BB388_11 Depth=1
	v_ffbh_u32_e32 v13, v1
	v_min_u32_e32 v13, 32, v13
	v_subrev_nc_u32_e32 v14, 28, v13
	v_sub_nc_u32_e32 v13, 29, v13
	v_lshlrev_b64 v[44:45], v14, v[1:2]
	v_and_b32_e32 v1, 7, v44
; %bb.382:                              ;   in Loop: Header=BB388_11 Depth=1
	s_or_b32 exec_lo, exec_lo, s42
	v_lshlrev_b32_e32 v14, 16, v11
	v_lshlrev_b32_e32 v1, 20, v1
	v_lshl_add_u32 v13, v13, 23, 0x3c000000
	v_and_b32_e32 v14, 0x80000000, v14
	v_or3_b32 v42, v1, v14, v13
.LBB388_383:                            ;   in Loop: Header=BB388_11 Depth=1
	s_or_b32 exec_lo, exec_lo, s41
.LBB388_384:                            ;   in Loop: Header=BB388_11 Depth=1
	s_or_b32 exec_lo, exec_lo, s40
.LBB388_385:                            ;   in Loop: Header=BB388_11 Depth=1
	s_or_b32 exec_lo, exec_lo, s2
	v_and_b32_sdwa v1, v11, v103 dst_sel:DWORD dst_unused:UNUSED_PAD src0_sel:WORD_1 src1_sel:DWORD
	s_mov_b32 s2, exec_lo
	v_cmpx_ne_u16_e32 0, v1
	s_cbranch_execz .LBB388_393
; %bb.386:                              ;   in Loop: Header=BB388_11 Depth=1
	v_bfrev_b32_e32 v43, 1
	s_mov_b32 s40, exec_lo
	v_cmpx_ne_u16_e32 0x80, v1
	s_cbranch_execz .LBB388_392
; %bb.387:                              ;   in Loop: Header=BB388_11 Depth=1
	v_bfe_u32 v14, v11, 16, 7
	v_mov_b32_e32 v43, 0x7f800001
	s_mov_b32 s41, exec_lo
	v_cmpx_ne_u32_e32 0x7f, v14
	s_cbranch_execz .LBB388_391
; %bb.388:                              ;   in Loop: Header=BB388_11 Depth=1
	v_and_b32_sdwa v1, v11, v104 dst_sel:DWORD dst_unused:UNUSED_PAD src0_sel:WORD_1 src1_sel:DWORD
	v_lshrrev_b32_e32 v13, 3, v14
	s_mov_b32 s42, exec_lo
	v_cmpx_gt_u32_e32 8, v14
; %bb.389:                              ;   in Loop: Header=BB388_11 Depth=1
	v_ffbh_u32_e32 v13, v1
	v_min_u32_e32 v13, 32, v13
	v_subrev_nc_u32_e32 v14, 28, v13
	v_sub_nc_u32_e32 v13, 29, v13
	v_lshlrev_b64 v[43:44], v14, v[1:2]
	v_and_b32_e32 v1, 7, v43
; %bb.390:                              ;   in Loop: Header=BB388_11 Depth=1
	s_or_b32 exec_lo, exec_lo, s42
	v_lshlrev_b32_sdwa v14, v105, v11 dst_sel:DWORD dst_unused:UNUSED_PAD src0_sel:DWORD src1_sel:WORD_1
	v_lshlrev_b32_e32 v1, 20, v1
	v_lshl_add_u32 v13, v13, 23, 0x3c000000
	v_and_b32_e32 v14, 0x80000000, v14
	v_or3_b32 v43, v1, v14, v13
.LBB388_391:                            ;   in Loop: Header=BB388_11 Depth=1
	s_or_b32 exec_lo, exec_lo, s41
.LBB388_392:                            ;   in Loop: Header=BB388_11 Depth=1
	s_or_b32 exec_lo, exec_lo, s40
.LBB388_393:                            ;   in Loop: Header=BB388_11 Depth=1
	s_or_b32 exec_lo, exec_lo, s2
	v_mov_b32_e32 v45, 0
	v_mov_b32_e32 v44, 0
	s_mov_b32 s2, exec_lo
	v_cmpx_lt_u32_e32 0xffffff, v11
	s_cbranch_execz .LBB388_401
; %bb.394:                              ;   in Loop: Header=BB388_11 Depth=1
	v_cmp_ne_u32_sdwa s1, v11, v101 src0_sel:BYTE_3 src1_sel:DWORD
	v_bfrev_b32_e32 v44, 1
	s_and_saveexec_b32 s40, s1
	s_cbranch_execz .LBB388_400
; %bb.395:                              ;   in Loop: Header=BB388_11 Depth=1
	v_bfe_u32 v14, v11, 24, 7
	v_mov_b32_e32 v44, 0x7f800001
	s_mov_b32 s41, exec_lo
	v_cmpx_ne_u32_e32 0x7f, v14
	s_cbranch_execz .LBB388_399
; %bb.396:                              ;   in Loop: Header=BB388_11 Depth=1
	v_and_b32_sdwa v1, v11, v104 dst_sel:DWORD dst_unused:UNUSED_PAD src0_sel:BYTE_3 src1_sel:DWORD
	v_lshrrev_b32_e32 v13, 3, v14
	s_mov_b32 s42, exec_lo
	v_cmpx_gt_u32_e32 8, v14
; %bb.397:                              ;   in Loop: Header=BB388_11 Depth=1
	v_ffbh_u32_e32 v13, v1
	v_min_u32_e32 v13, 32, v13
	v_subrev_nc_u32_e32 v14, 28, v13
	v_sub_nc_u32_e32 v13, 29, v13
	v_lshlrev_b64 v[46:47], v14, v[1:2]
	v_and_b32_e32 v1, 7, v46
; %bb.398:                              ;   in Loop: Header=BB388_11 Depth=1
	s_or_b32 exec_lo, exec_lo, s42
	v_lshlrev_b32_sdwa v14, v105, v11 dst_sel:DWORD dst_unused:UNUSED_PAD src0_sel:DWORD src1_sel:BYTE_3
	v_lshlrev_b32_e32 v1, 20, v1
	v_lshl_add_u32 v13, v13, 23, 0x3c000000
	v_and_b32_e32 v14, 0x80000000, v14
	v_or3_b32 v44, v1, v14, v13
.LBB388_399:                            ;   in Loop: Header=BB388_11 Depth=1
	s_or_b32 exec_lo, exec_lo, s41
.LBB388_400:                            ;   in Loop: Header=BB388_11 Depth=1
	s_or_b32 exec_lo, exec_lo, s40
.LBB388_401:                            ;   in Loop: Header=BB388_11 Depth=1
	s_or_b32 exec_lo, exec_lo, s2
	v_mov_b32_e32 v1, v12
	v_cmp_ne_u16_sdwa s1, v12, v2 src0_sel:BYTE_0 src1_sel:DWORD
	s_and_saveexec_b32 s2, s1
	s_cbranch_execz .LBB388_407
; %bb.402:                              ;   in Loop: Header=BB388_11 Depth=1
	v_cmp_ne_u16_sdwa s1, v12, v101 src0_sel:BYTE_0 src1_sel:DWORD
	v_bfrev_b32_e32 v45, 1
	s_and_saveexec_b32 s40, s1
	s_cbranch_execz .LBB388_406
; %bb.403:                              ;   in Loop: Header=BB388_11 Depth=1
	v_and_b32_e32 v13, 0x7f, v12
	v_mov_b32_e32 v45, 0x7f800001
	s_mov_b32 s41, exec_lo
	v_cmpx_ne_u32_e32 0x7f, v13
	s_cbranch_execz .LBB388_405
; %bb.404:                              ;   in Loop: Header=BB388_11 Depth=1
	v_and_b32_e32 v14, 7, v12
	v_lshrrev_b32_e32 v45, 3, v13
	v_cmp_gt_u32_e64 s1, 8, v13
	v_ffbh_u32_e32 v13, v14
	v_min_u32_e32 v13, 32, v13
	v_subrev_nc_u32_e32 v14, 28, v13
	v_sub_nc_u32_e32 v13, 29, v13
	v_cndmask_b32_e64 v45, v45, v13, s1
	v_cndmask_b32_e64 v13, 0, v14, s1
	v_lshl_add_u32 v45, v45, 23, 0x3c000000
	v_lshlrev_b64 v[13:14], v13, v[1:2]
	v_lshlrev_b32_e32 v14, 24, v1
	v_lshlrev_b32_e32 v13, 20, v13
	v_and_b32_e32 v14, 0x80000000, v14
	v_and_b32_e32 v13, 0x700000, v13
	v_or3_b32 v45, v13, v14, v45
.LBB388_405:                            ;   in Loop: Header=BB388_11 Depth=1
	s_or_b32 exec_lo, exec_lo, s41
.LBB388_406:                            ;   in Loop: Header=BB388_11 Depth=1
	s_or_b32 exec_lo, exec_lo, s40
.LBB388_407:                            ;   in Loop: Header=BB388_11 Depth=1
	s_or_b32 exec_lo, exec_lo, s2
	v_cmp_ne_u16_sdwa s1, v1, v2 src0_sel:BYTE_1 src1_sel:DWORD
	v_mov_b32_e32 v46, 0
	v_mov_b32_e32 v47, 0
	s_and_saveexec_b32 s2, s1
	s_cbranch_execz .LBB388_415
; %bb.408:                              ;   in Loop: Header=BB388_11 Depth=1
	v_cmp_ne_u16_sdwa s1, v1, v101 src0_sel:BYTE_1 src1_sel:DWORD
	v_bfrev_b32_e32 v47, 1
	s_and_saveexec_b32 s40, s1
	s_cbranch_execz .LBB388_414
; %bb.409:                              ;   in Loop: Header=BB388_11 Depth=1
	v_and_b32_sdwa v13, v102, v1 dst_sel:DWORD dst_unused:UNUSED_PAD src0_sel:DWORD src1_sel:BYTE_1
	v_mov_b32_e32 v47, 0x7f800001
	s_mov_b32 s41, exec_lo
	v_and_b32_e32 v48, 0x7f, v13
	v_cmpx_ne_u32_e32 0x7f, v48
	s_cbranch_execz .LBB388_413
; %bb.410:                              ;   in Loop: Header=BB388_11 Depth=1
	v_and_b32_e32 v13, 7, v13
	v_mov_b32_e32 v14, v2
	v_lshrrev_b32_e32 v47, 3, v48
	s_mov_b32 s42, exec_lo
	v_cmpx_gt_u32_e32 8, v48
; %bb.411:                              ;   in Loop: Header=BB388_11 Depth=1
	v_ffbh_u32_e32 v47, v13
	v_min_u32_e32 v47, 32, v47
	v_subrev_nc_u32_e32 v48, 28, v47
	v_sub_nc_u32_e32 v47, 29, v47
	v_lshlrev_b64 v[13:14], v48, v[13:14]
	v_and_b32_e32 v13, 7, v13
; %bb.412:                              ;   in Loop: Header=BB388_11 Depth=1
	s_or_b32 exec_lo, exec_lo, s42
	v_lshlrev_b32_e32 v1, 16, v1
	v_lshlrev_b32_e32 v13, 20, v13
	v_lshl_add_u32 v14, v47, 23, 0x3c000000
	v_and_b32_e32 v1, 0x80000000, v1
	v_or3_b32 v47, v13, v1, v14
.LBB388_413:                            ;   in Loop: Header=BB388_11 Depth=1
	s_or_b32 exec_lo, exec_lo, s41
.LBB388_414:                            ;   in Loop: Header=BB388_11 Depth=1
	s_or_b32 exec_lo, exec_lo, s40
.LBB388_415:                            ;   in Loop: Header=BB388_11 Depth=1
	s_or_b32 exec_lo, exec_lo, s2
	v_and_b32_sdwa v1, v12, v103 dst_sel:DWORD dst_unused:UNUSED_PAD src0_sel:WORD_1 src1_sel:DWORD
	s_mov_b32 s2, exec_lo
	v_cmpx_ne_u16_e32 0, v1
	s_cbranch_execz .LBB388_423
; %bb.416:                              ;   in Loop: Header=BB388_11 Depth=1
	v_bfrev_b32_e32 v46, 1
	s_mov_b32 s40, exec_lo
	v_cmpx_ne_u16_e32 0x80, v1
	s_cbranch_execz .LBB388_422
; %bb.417:                              ;   in Loop: Header=BB388_11 Depth=1
	v_bfe_u32 v14, v12, 16, 7
	v_mov_b32_e32 v46, 0x7f800001
	s_mov_b32 s41, exec_lo
	v_cmpx_ne_u32_e32 0x7f, v14
	s_cbranch_execz .LBB388_421
; %bb.418:                              ;   in Loop: Header=BB388_11 Depth=1
	v_and_b32_sdwa v1, v12, v104 dst_sel:DWORD dst_unused:UNUSED_PAD src0_sel:WORD_1 src1_sel:DWORD
	v_lshrrev_b32_e32 v13, 3, v14
	s_mov_b32 s42, exec_lo
	v_cmpx_gt_u32_e32 8, v14
; %bb.419:                              ;   in Loop: Header=BB388_11 Depth=1
	v_ffbh_u32_e32 v13, v1
	v_min_u32_e32 v13, 32, v13
	v_subrev_nc_u32_e32 v14, 28, v13
	v_sub_nc_u32_e32 v13, 29, v13
	v_lshlrev_b64 v[48:49], v14, v[1:2]
	v_and_b32_e32 v1, 7, v48
; %bb.420:                              ;   in Loop: Header=BB388_11 Depth=1
	s_or_b32 exec_lo, exec_lo, s42
	v_lshlrev_b32_sdwa v14, v105, v12 dst_sel:DWORD dst_unused:UNUSED_PAD src0_sel:DWORD src1_sel:WORD_1
	v_lshlrev_b32_e32 v1, 20, v1
	v_lshl_add_u32 v13, v13, 23, 0x3c000000
	v_and_b32_e32 v14, 0x80000000, v14
	v_or3_b32 v46, v1, v14, v13
.LBB388_421:                            ;   in Loop: Header=BB388_11 Depth=1
	s_or_b32 exec_lo, exec_lo, s41
.LBB388_422:                            ;   in Loop: Header=BB388_11 Depth=1
	s_or_b32 exec_lo, exec_lo, s40
.LBB388_423:                            ;   in Loop: Header=BB388_11 Depth=1
	s_or_b32 exec_lo, exec_lo, s2
	v_mov_b32_e32 v49, 0
	v_mov_b32_e32 v48, 0
	s_mov_b32 s2, exec_lo
	v_cmpx_lt_u64_e64 s[4:5], v[11:12]
	s_cbranch_execz .LBB388_431
; %bb.424:                              ;   in Loop: Header=BB388_11 Depth=1
	v_cmp_ne_u32_sdwa s1, v12, v101 src0_sel:BYTE_3 src1_sel:DWORD
	v_bfrev_b32_e32 v48, 1
	s_and_saveexec_b32 s40, s1
	s_cbranch_execz .LBB388_430
; %bb.425:                              ;   in Loop: Header=BB388_11 Depth=1
	v_bfe_u32 v13, v12, 24, 7
	v_mov_b32_e32 v48, 0x7f800001
	s_mov_b32 s41, exec_lo
	v_cmpx_ne_u32_e32 0x7f, v13
	s_cbranch_execz .LBB388_429
; %bb.426:                              ;   in Loop: Header=BB388_11 Depth=1
	v_and_b32_sdwa v1, v12, v104 dst_sel:DWORD dst_unused:UNUSED_PAD src0_sel:BYTE_3 src1_sel:DWORD
	v_lshrrev_b32_e32 v11, 3, v13
	s_mov_b32 s42, exec_lo
	v_cmpx_gt_u32_e32 8, v13
; %bb.427:                              ;   in Loop: Header=BB388_11 Depth=1
	v_ffbh_u32_e32 v11, v1
	v_min_u32_e32 v11, 32, v11
	v_subrev_nc_u32_e32 v13, 28, v11
	v_sub_nc_u32_e32 v11, 29, v11
	v_lshlrev_b64 v[13:14], v13, v[1:2]
	v_and_b32_e32 v1, 7, v13
; %bb.428:                              ;   in Loop: Header=BB388_11 Depth=1
	s_or_b32 exec_lo, exec_lo, s42
	v_lshlrev_b32_sdwa v12, v105, v12 dst_sel:DWORD dst_unused:UNUSED_PAD src0_sel:DWORD src1_sel:BYTE_3
	v_lshlrev_b32_e32 v1, 20, v1
	v_lshl_add_u32 v11, v11, 23, 0x3c000000
	v_and_b32_e32 v12, 0x80000000, v12
	v_or3_b32 v48, v1, v12, v11
.LBB388_429:                            ;   in Loop: Header=BB388_11 Depth=1
	s_or_b32 exec_lo, exec_lo, s41
.LBB388_430:                            ;   in Loop: Header=BB388_11 Depth=1
	s_or_b32 exec_lo, exec_lo, s40
.LBB388_431:                            ;   in Loop: Header=BB388_11 Depth=1
	s_or_b32 exec_lo, exec_lo, s2
	global_load_dwordx2 v[11:12], v[7:8], off offset:1544
	s_waitcnt vmcnt(0)
	v_cmp_ne_u16_sdwa s1, v11, v2 src0_sel:BYTE_0 src1_sel:DWORD
	s_and_saveexec_b32 s2, s1
	s_cbranch_execz .LBB388_437
; %bb.432:                              ;   in Loop: Header=BB388_11 Depth=1
	v_cmp_ne_u16_sdwa s1, v11, v101 src0_sel:BYTE_0 src1_sel:DWORD
	v_bfrev_b32_e32 v49, 1
	s_and_saveexec_b32 s40, s1
	s_cbranch_execz .LBB388_436
; %bb.433:                              ;   in Loop: Header=BB388_11 Depth=1
	v_and_b32_e32 v1, 0x7f, v11
	v_mov_b32_e32 v49, 0x7f800001
	s_mov_b32 s41, exec_lo
	v_cmpx_ne_u32_e32 0x7f, v1
	s_cbranch_execz .LBB388_435
; %bb.434:                              ;   in Loop: Header=BB388_11 Depth=1
	v_and_b32_e32 v13, 7, v11
	v_lshrrev_b32_e32 v14, 3, v1
	v_cmp_gt_u32_e64 s1, 8, v1
	v_ffbh_u32_e32 v1, v13
	v_min_u32_e32 v1, 32, v1
	v_subrev_nc_u32_e32 v13, 28, v1
	v_sub_nc_u32_e32 v1, 29, v1
	v_cndmask_b32_e64 v13, 0, v13, s1
	v_cndmask_b32_e64 v1, v14, v1, s1
	v_lshlrev_b64 v[13:14], v13, v[11:12]
	v_lshlrev_b32_e32 v14, 24, v11
	v_lshl_add_u32 v1, v1, 23, 0x3c000000
	v_lshlrev_b32_e32 v13, 20, v13
	v_and_b32_e32 v14, 0x80000000, v14
	v_and_b32_e32 v13, 0x700000, v13
	v_or3_b32 v49, v13, v14, v1
.LBB388_435:                            ;   in Loop: Header=BB388_11 Depth=1
	s_or_b32 exec_lo, exec_lo, s41
.LBB388_436:                            ;   in Loop: Header=BB388_11 Depth=1
	s_or_b32 exec_lo, exec_lo, s40
.LBB388_437:                            ;   in Loop: Header=BB388_11 Depth=1
	s_or_b32 exec_lo, exec_lo, s2
	v_cmp_ne_u16_sdwa s1, v11, v2 src0_sel:BYTE_1 src1_sel:DWORD
	v_mov_b32_e32 v51, 0
	v_mov_b32_e32 v50, 0
	s_and_saveexec_b32 s2, s1
	s_cbranch_execz .LBB388_445
; %bb.438:                              ;   in Loop: Header=BB388_11 Depth=1
	v_cmp_ne_u16_sdwa s1, v11, v101 src0_sel:BYTE_1 src1_sel:DWORD
	v_bfrev_b32_e32 v50, 1
	s_and_saveexec_b32 s40, s1
	s_cbranch_execz .LBB388_444
; %bb.439:                              ;   in Loop: Header=BB388_11 Depth=1
	v_and_b32_sdwa v1, v102, v11 dst_sel:DWORD dst_unused:UNUSED_PAD src0_sel:DWORD src1_sel:BYTE_1
	v_mov_b32_e32 v50, 0x7f800001
	s_mov_b32 s41, exec_lo
	v_and_b32_e32 v14, 0x7f, v1
	v_cmpx_ne_u32_e32 0x7f, v14
	s_cbranch_execz .LBB388_443
; %bb.440:                              ;   in Loop: Header=BB388_11 Depth=1
	v_and_b32_e32 v1, 7, v1
	v_lshrrev_b32_e32 v13, 3, v14
	s_mov_b32 s42, exec_lo
	v_cmpx_gt_u32_e32 8, v14
; %bb.441:                              ;   in Loop: Header=BB388_11 Depth=1
	v_ffbh_u32_e32 v13, v1
	v_min_u32_e32 v13, 32, v13
	v_subrev_nc_u32_e32 v14, 28, v13
	v_sub_nc_u32_e32 v13, 29, v13
	v_lshlrev_b64 v[52:53], v14, v[1:2]
	v_and_b32_e32 v1, 7, v52
; %bb.442:                              ;   in Loop: Header=BB388_11 Depth=1
	s_or_b32 exec_lo, exec_lo, s42
	v_lshlrev_b32_e32 v14, 16, v11
	v_lshlrev_b32_e32 v1, 20, v1
	v_lshl_add_u32 v13, v13, 23, 0x3c000000
	v_and_b32_e32 v14, 0x80000000, v14
	v_or3_b32 v50, v1, v14, v13
.LBB388_443:                            ;   in Loop: Header=BB388_11 Depth=1
	s_or_b32 exec_lo, exec_lo, s41
.LBB388_444:                            ;   in Loop: Header=BB388_11 Depth=1
	s_or_b32 exec_lo, exec_lo, s40
.LBB388_445:                            ;   in Loop: Header=BB388_11 Depth=1
	s_or_b32 exec_lo, exec_lo, s2
	v_and_b32_sdwa v1, v11, v103 dst_sel:DWORD dst_unused:UNUSED_PAD src0_sel:WORD_1 src1_sel:DWORD
	s_mov_b32 s2, exec_lo
	v_cmpx_ne_u16_e32 0, v1
	s_cbranch_execz .LBB388_453
; %bb.446:                              ;   in Loop: Header=BB388_11 Depth=1
	v_bfrev_b32_e32 v51, 1
	s_mov_b32 s40, exec_lo
	v_cmpx_ne_u16_e32 0x80, v1
	s_cbranch_execz .LBB388_452
; %bb.447:                              ;   in Loop: Header=BB388_11 Depth=1
	v_bfe_u32 v14, v11, 16, 7
	v_mov_b32_e32 v51, 0x7f800001
	s_mov_b32 s41, exec_lo
	v_cmpx_ne_u32_e32 0x7f, v14
	s_cbranch_execz .LBB388_451
; %bb.448:                              ;   in Loop: Header=BB388_11 Depth=1
	v_and_b32_sdwa v1, v11, v104 dst_sel:DWORD dst_unused:UNUSED_PAD src0_sel:WORD_1 src1_sel:DWORD
	v_lshrrev_b32_e32 v13, 3, v14
	s_mov_b32 s42, exec_lo
	v_cmpx_gt_u32_e32 8, v14
; %bb.449:                              ;   in Loop: Header=BB388_11 Depth=1
	v_ffbh_u32_e32 v13, v1
	v_min_u32_e32 v13, 32, v13
	v_subrev_nc_u32_e32 v14, 28, v13
	v_sub_nc_u32_e32 v13, 29, v13
	v_lshlrev_b64 v[51:52], v14, v[1:2]
	v_and_b32_e32 v1, 7, v51
; %bb.450:                              ;   in Loop: Header=BB388_11 Depth=1
	s_or_b32 exec_lo, exec_lo, s42
	v_lshlrev_b32_sdwa v14, v105, v11 dst_sel:DWORD dst_unused:UNUSED_PAD src0_sel:DWORD src1_sel:WORD_1
	v_lshlrev_b32_e32 v1, 20, v1
	v_lshl_add_u32 v13, v13, 23, 0x3c000000
	v_and_b32_e32 v14, 0x80000000, v14
	v_or3_b32 v51, v1, v14, v13
.LBB388_451:                            ;   in Loop: Header=BB388_11 Depth=1
	s_or_b32 exec_lo, exec_lo, s41
.LBB388_452:                            ;   in Loop: Header=BB388_11 Depth=1
	s_or_b32 exec_lo, exec_lo, s40
.LBB388_453:                            ;   in Loop: Header=BB388_11 Depth=1
	s_or_b32 exec_lo, exec_lo, s2
	v_mov_b32_e32 v53, 0
	v_mov_b32_e32 v52, 0
	s_mov_b32 s2, exec_lo
	v_cmpx_lt_u32_e32 0xffffff, v11
	s_cbranch_execz .LBB388_461
; %bb.454:                              ;   in Loop: Header=BB388_11 Depth=1
	v_cmp_ne_u32_sdwa s1, v11, v101 src0_sel:BYTE_3 src1_sel:DWORD
	v_bfrev_b32_e32 v52, 1
	s_and_saveexec_b32 s40, s1
	s_cbranch_execz .LBB388_460
; %bb.455:                              ;   in Loop: Header=BB388_11 Depth=1
	v_bfe_u32 v14, v11, 24, 7
	v_mov_b32_e32 v52, 0x7f800001
	s_mov_b32 s41, exec_lo
	v_cmpx_ne_u32_e32 0x7f, v14
	s_cbranch_execz .LBB388_459
; %bb.456:                              ;   in Loop: Header=BB388_11 Depth=1
	v_and_b32_sdwa v1, v11, v104 dst_sel:DWORD dst_unused:UNUSED_PAD src0_sel:BYTE_3 src1_sel:DWORD
	v_lshrrev_b32_e32 v13, 3, v14
	s_mov_b32 s42, exec_lo
	v_cmpx_gt_u32_e32 8, v14
; %bb.457:                              ;   in Loop: Header=BB388_11 Depth=1
	v_ffbh_u32_e32 v13, v1
	v_min_u32_e32 v13, 32, v13
	v_subrev_nc_u32_e32 v14, 28, v13
	v_sub_nc_u32_e32 v13, 29, v13
	v_lshlrev_b64 v[54:55], v14, v[1:2]
	v_and_b32_e32 v1, 7, v54
; %bb.458:                              ;   in Loop: Header=BB388_11 Depth=1
	s_or_b32 exec_lo, exec_lo, s42
	v_lshlrev_b32_sdwa v14, v105, v11 dst_sel:DWORD dst_unused:UNUSED_PAD src0_sel:DWORD src1_sel:BYTE_3
	v_lshlrev_b32_e32 v1, 20, v1
	v_lshl_add_u32 v13, v13, 23, 0x3c000000
	v_and_b32_e32 v14, 0x80000000, v14
	v_or3_b32 v52, v1, v14, v13
.LBB388_459:                            ;   in Loop: Header=BB388_11 Depth=1
	s_or_b32 exec_lo, exec_lo, s41
.LBB388_460:                            ;   in Loop: Header=BB388_11 Depth=1
	s_or_b32 exec_lo, exec_lo, s40
.LBB388_461:                            ;   in Loop: Header=BB388_11 Depth=1
	s_or_b32 exec_lo, exec_lo, s2
	v_mov_b32_e32 v1, v12
	v_cmp_ne_u16_sdwa s1, v12, v2 src0_sel:BYTE_0 src1_sel:DWORD
	s_and_saveexec_b32 s2, s1
	s_cbranch_execz .LBB388_467
; %bb.462:                              ;   in Loop: Header=BB388_11 Depth=1
	v_cmp_ne_u16_sdwa s1, v12, v101 src0_sel:BYTE_0 src1_sel:DWORD
	v_bfrev_b32_e32 v53, 1
	s_and_saveexec_b32 s40, s1
	s_cbranch_execz .LBB388_466
; %bb.463:                              ;   in Loop: Header=BB388_11 Depth=1
	v_and_b32_e32 v13, 0x7f, v12
	v_mov_b32_e32 v53, 0x7f800001
	s_mov_b32 s41, exec_lo
	v_cmpx_ne_u32_e32 0x7f, v13
	s_cbranch_execz .LBB388_465
; %bb.464:                              ;   in Loop: Header=BB388_11 Depth=1
	v_and_b32_e32 v14, 7, v12
	v_lshrrev_b32_e32 v53, 3, v13
	v_cmp_gt_u32_e64 s1, 8, v13
	v_ffbh_u32_e32 v13, v14
	v_min_u32_e32 v13, 32, v13
	v_subrev_nc_u32_e32 v14, 28, v13
	v_sub_nc_u32_e32 v13, 29, v13
	v_cndmask_b32_e64 v53, v53, v13, s1
	v_cndmask_b32_e64 v13, 0, v14, s1
	v_lshl_add_u32 v53, v53, 23, 0x3c000000
	v_lshlrev_b64 v[13:14], v13, v[1:2]
	v_lshlrev_b32_e32 v14, 24, v1
	v_lshlrev_b32_e32 v13, 20, v13
	v_and_b32_e32 v14, 0x80000000, v14
	v_and_b32_e32 v13, 0x700000, v13
	v_or3_b32 v53, v13, v14, v53
.LBB388_465:                            ;   in Loop: Header=BB388_11 Depth=1
	s_or_b32 exec_lo, exec_lo, s41
.LBB388_466:                            ;   in Loop: Header=BB388_11 Depth=1
	s_or_b32 exec_lo, exec_lo, s40
.LBB388_467:                            ;   in Loop: Header=BB388_11 Depth=1
	s_or_b32 exec_lo, exec_lo, s2
	v_cmp_ne_u16_sdwa s1, v1, v2 src0_sel:BYTE_1 src1_sel:DWORD
	v_mov_b32_e32 v54, 0
	v_mov_b32_e32 v55, 0
	s_and_saveexec_b32 s2, s1
	s_cbranch_execz .LBB388_475
; %bb.468:                              ;   in Loop: Header=BB388_11 Depth=1
	v_cmp_ne_u16_sdwa s1, v1, v101 src0_sel:BYTE_1 src1_sel:DWORD
	v_bfrev_b32_e32 v55, 1
	s_and_saveexec_b32 s40, s1
	s_cbranch_execz .LBB388_474
; %bb.469:                              ;   in Loop: Header=BB388_11 Depth=1
	v_and_b32_sdwa v13, v102, v1 dst_sel:DWORD dst_unused:UNUSED_PAD src0_sel:DWORD src1_sel:BYTE_1
	v_mov_b32_e32 v55, 0x7f800001
	s_mov_b32 s41, exec_lo
	v_and_b32_e32 v56, 0x7f, v13
	v_cmpx_ne_u32_e32 0x7f, v56
	s_cbranch_execz .LBB388_473
; %bb.470:                              ;   in Loop: Header=BB388_11 Depth=1
	v_and_b32_e32 v13, 7, v13
	v_mov_b32_e32 v14, v2
	v_lshrrev_b32_e32 v55, 3, v56
	s_mov_b32 s42, exec_lo
	v_cmpx_gt_u32_e32 8, v56
; %bb.471:                              ;   in Loop: Header=BB388_11 Depth=1
	v_ffbh_u32_e32 v55, v13
	v_min_u32_e32 v55, 32, v55
	v_subrev_nc_u32_e32 v56, 28, v55
	v_sub_nc_u32_e32 v55, 29, v55
	v_lshlrev_b64 v[13:14], v56, v[13:14]
	v_and_b32_e32 v13, 7, v13
; %bb.472:                              ;   in Loop: Header=BB388_11 Depth=1
	s_or_b32 exec_lo, exec_lo, s42
	v_lshlrev_b32_e32 v1, 16, v1
	v_lshlrev_b32_e32 v13, 20, v13
	v_lshl_add_u32 v14, v55, 23, 0x3c000000
	v_and_b32_e32 v1, 0x80000000, v1
	v_or3_b32 v55, v13, v1, v14
.LBB388_473:                            ;   in Loop: Header=BB388_11 Depth=1
	s_or_b32 exec_lo, exec_lo, s41
.LBB388_474:                            ;   in Loop: Header=BB388_11 Depth=1
	s_or_b32 exec_lo, exec_lo, s40
.LBB388_475:                            ;   in Loop: Header=BB388_11 Depth=1
	s_or_b32 exec_lo, exec_lo, s2
	v_and_b32_sdwa v1, v12, v103 dst_sel:DWORD dst_unused:UNUSED_PAD src0_sel:WORD_1 src1_sel:DWORD
	s_mov_b32 s2, exec_lo
	v_cmpx_ne_u16_e32 0, v1
	s_cbranch_execz .LBB388_483
; %bb.476:                              ;   in Loop: Header=BB388_11 Depth=1
	v_bfrev_b32_e32 v54, 1
	s_mov_b32 s40, exec_lo
	v_cmpx_ne_u16_e32 0x80, v1
	s_cbranch_execz .LBB388_482
; %bb.477:                              ;   in Loop: Header=BB388_11 Depth=1
	v_bfe_u32 v14, v12, 16, 7
	v_mov_b32_e32 v54, 0x7f800001
	s_mov_b32 s41, exec_lo
	v_cmpx_ne_u32_e32 0x7f, v14
	s_cbranch_execz .LBB388_481
; %bb.478:                              ;   in Loop: Header=BB388_11 Depth=1
	v_and_b32_sdwa v1, v12, v104 dst_sel:DWORD dst_unused:UNUSED_PAD src0_sel:WORD_1 src1_sel:DWORD
	v_lshrrev_b32_e32 v13, 3, v14
	s_mov_b32 s42, exec_lo
	v_cmpx_gt_u32_e32 8, v14
; %bb.479:                              ;   in Loop: Header=BB388_11 Depth=1
	v_ffbh_u32_e32 v13, v1
	v_min_u32_e32 v13, 32, v13
	v_subrev_nc_u32_e32 v14, 28, v13
	v_sub_nc_u32_e32 v13, 29, v13
	v_lshlrev_b64 v[56:57], v14, v[1:2]
	v_and_b32_e32 v1, 7, v56
; %bb.480:                              ;   in Loop: Header=BB388_11 Depth=1
	s_or_b32 exec_lo, exec_lo, s42
	v_lshlrev_b32_sdwa v14, v105, v12 dst_sel:DWORD dst_unused:UNUSED_PAD src0_sel:DWORD src1_sel:WORD_1
	v_lshlrev_b32_e32 v1, 20, v1
	v_lshl_add_u32 v13, v13, 23, 0x3c000000
	v_and_b32_e32 v14, 0x80000000, v14
	v_or3_b32 v54, v1, v14, v13
.LBB388_481:                            ;   in Loop: Header=BB388_11 Depth=1
	s_or_b32 exec_lo, exec_lo, s41
.LBB388_482:                            ;   in Loop: Header=BB388_11 Depth=1
	s_or_b32 exec_lo, exec_lo, s40
.LBB388_483:                            ;   in Loop: Header=BB388_11 Depth=1
	s_or_b32 exec_lo, exec_lo, s2
	v_mov_b32_e32 v57, 0
	v_mov_b32_e32 v56, 0
	s_mov_b32 s2, exec_lo
	v_cmpx_lt_u64_e64 s[4:5], v[11:12]
	s_cbranch_execz .LBB388_491
; %bb.484:                              ;   in Loop: Header=BB388_11 Depth=1
	v_cmp_ne_u32_sdwa s1, v12, v101 src0_sel:BYTE_3 src1_sel:DWORD
	v_bfrev_b32_e32 v56, 1
	s_and_saveexec_b32 s40, s1
	s_cbranch_execz .LBB388_490
; %bb.485:                              ;   in Loop: Header=BB388_11 Depth=1
	v_bfe_u32 v13, v12, 24, 7
	v_mov_b32_e32 v56, 0x7f800001
	s_mov_b32 s41, exec_lo
	v_cmpx_ne_u32_e32 0x7f, v13
	s_cbranch_execz .LBB388_489
; %bb.486:                              ;   in Loop: Header=BB388_11 Depth=1
	v_and_b32_sdwa v1, v12, v104 dst_sel:DWORD dst_unused:UNUSED_PAD src0_sel:BYTE_3 src1_sel:DWORD
	v_lshrrev_b32_e32 v11, 3, v13
	s_mov_b32 s42, exec_lo
	v_cmpx_gt_u32_e32 8, v13
; %bb.487:                              ;   in Loop: Header=BB388_11 Depth=1
	v_ffbh_u32_e32 v11, v1
	v_min_u32_e32 v11, 32, v11
	v_subrev_nc_u32_e32 v13, 28, v11
	v_sub_nc_u32_e32 v11, 29, v11
	v_lshlrev_b64 v[13:14], v13, v[1:2]
	v_and_b32_e32 v1, 7, v13
; %bb.488:                              ;   in Loop: Header=BB388_11 Depth=1
	s_or_b32 exec_lo, exec_lo, s42
	v_lshlrev_b32_sdwa v12, v105, v12 dst_sel:DWORD dst_unused:UNUSED_PAD src0_sel:DWORD src1_sel:BYTE_3
	v_lshlrev_b32_e32 v1, 20, v1
	v_lshl_add_u32 v11, v11, 23, 0x3c000000
	v_and_b32_e32 v12, 0x80000000, v12
	v_or3_b32 v56, v1, v12, v11
.LBB388_489:                            ;   in Loop: Header=BB388_11 Depth=1
	s_or_b32 exec_lo, exec_lo, s41
.LBB388_490:                            ;   in Loop: Header=BB388_11 Depth=1
	s_or_b32 exec_lo, exec_lo, s40
.LBB388_491:                            ;   in Loop: Header=BB388_11 Depth=1
	s_or_b32 exec_lo, exec_lo, s2
	v_add_co_u32 v7, s1, 0x800, v7
	v_add_co_ci_u32_e64 v8, null, 0, v8, s1
	global_load_dwordx2 v[11:12], v[7:8], off
	s_waitcnt vmcnt(0)
	v_cmp_ne_u16_sdwa s1, v11, v2 src0_sel:BYTE_0 src1_sel:DWORD
	s_and_saveexec_b32 s2, s1
	s_cbranch_execz .LBB388_497
; %bb.492:                              ;   in Loop: Header=BB388_11 Depth=1
	v_cmp_ne_u16_sdwa s1, v11, v101 src0_sel:BYTE_0 src1_sel:DWORD
	v_bfrev_b32_e32 v57, 1
	s_and_saveexec_b32 s40, s1
	s_cbranch_execz .LBB388_496
; %bb.493:                              ;   in Loop: Header=BB388_11 Depth=1
	v_and_b32_e32 v1, 0x7f, v11
	v_mov_b32_e32 v57, 0x7f800001
	s_mov_b32 s41, exec_lo
	v_cmpx_ne_u32_e32 0x7f, v1
	s_cbranch_execz .LBB388_495
; %bb.494:                              ;   in Loop: Header=BB388_11 Depth=1
	v_and_b32_e32 v13, 7, v11
	v_lshrrev_b32_e32 v14, 3, v1
	v_cmp_gt_u32_e64 s1, 8, v1
	v_ffbh_u32_e32 v1, v13
	v_min_u32_e32 v1, 32, v1
	v_subrev_nc_u32_e32 v13, 28, v1
	v_sub_nc_u32_e32 v1, 29, v1
	v_cndmask_b32_e64 v13, 0, v13, s1
	v_cndmask_b32_e64 v1, v14, v1, s1
	v_lshlrev_b64 v[13:14], v13, v[11:12]
	v_lshlrev_b32_e32 v14, 24, v11
	v_lshl_add_u32 v1, v1, 23, 0x3c000000
	v_lshlrev_b32_e32 v13, 20, v13
	v_and_b32_e32 v14, 0x80000000, v14
	v_and_b32_e32 v13, 0x700000, v13
	v_or3_b32 v57, v13, v14, v1
.LBB388_495:                            ;   in Loop: Header=BB388_11 Depth=1
	s_or_b32 exec_lo, exec_lo, s41
.LBB388_496:                            ;   in Loop: Header=BB388_11 Depth=1
	s_or_b32 exec_lo, exec_lo, s40
.LBB388_497:                            ;   in Loop: Header=BB388_11 Depth=1
	s_or_b32 exec_lo, exec_lo, s2
	v_cmp_ne_u16_sdwa s1, v11, v2 src0_sel:BYTE_1 src1_sel:DWORD
	v_mov_b32_e32 v59, 0
	v_mov_b32_e32 v58, 0
	s_and_saveexec_b32 s2, s1
	s_cbranch_execz .LBB388_505
; %bb.498:                              ;   in Loop: Header=BB388_11 Depth=1
	v_cmp_ne_u16_sdwa s1, v11, v101 src0_sel:BYTE_1 src1_sel:DWORD
	v_bfrev_b32_e32 v58, 1
	s_and_saveexec_b32 s40, s1
	s_cbranch_execz .LBB388_504
; %bb.499:                              ;   in Loop: Header=BB388_11 Depth=1
	v_and_b32_sdwa v1, v102, v11 dst_sel:DWORD dst_unused:UNUSED_PAD src0_sel:DWORD src1_sel:BYTE_1
	v_mov_b32_e32 v58, 0x7f800001
	s_mov_b32 s41, exec_lo
	v_and_b32_e32 v14, 0x7f, v1
	v_cmpx_ne_u32_e32 0x7f, v14
	s_cbranch_execz .LBB388_503
; %bb.500:                              ;   in Loop: Header=BB388_11 Depth=1
	v_and_b32_e32 v1, 7, v1
	v_lshrrev_b32_e32 v13, 3, v14
	s_mov_b32 s42, exec_lo
	v_cmpx_gt_u32_e32 8, v14
; %bb.501:                              ;   in Loop: Header=BB388_11 Depth=1
	v_ffbh_u32_e32 v13, v1
	v_min_u32_e32 v13, 32, v13
	v_subrev_nc_u32_e32 v14, 28, v13
	v_sub_nc_u32_e32 v13, 29, v13
	v_lshlrev_b64 v[60:61], v14, v[1:2]
	v_and_b32_e32 v1, 7, v60
; %bb.502:                              ;   in Loop: Header=BB388_11 Depth=1
	s_or_b32 exec_lo, exec_lo, s42
	v_lshlrev_b32_e32 v14, 16, v11
	v_lshlrev_b32_e32 v1, 20, v1
	v_lshl_add_u32 v13, v13, 23, 0x3c000000
	v_and_b32_e32 v14, 0x80000000, v14
	v_or3_b32 v58, v1, v14, v13
.LBB388_503:                            ;   in Loop: Header=BB388_11 Depth=1
	s_or_b32 exec_lo, exec_lo, s41
.LBB388_504:                            ;   in Loop: Header=BB388_11 Depth=1
	s_or_b32 exec_lo, exec_lo, s40
.LBB388_505:                            ;   in Loop: Header=BB388_11 Depth=1
	s_or_b32 exec_lo, exec_lo, s2
	v_and_b32_sdwa v1, v11, v103 dst_sel:DWORD dst_unused:UNUSED_PAD src0_sel:WORD_1 src1_sel:DWORD
	s_mov_b32 s2, exec_lo
	v_cmpx_ne_u16_e32 0, v1
	s_cbranch_execz .LBB388_513
; %bb.506:                              ;   in Loop: Header=BB388_11 Depth=1
	v_bfrev_b32_e32 v59, 1
	s_mov_b32 s40, exec_lo
	v_cmpx_ne_u16_e32 0x80, v1
	s_cbranch_execz .LBB388_512
; %bb.507:                              ;   in Loop: Header=BB388_11 Depth=1
	v_bfe_u32 v14, v11, 16, 7
	v_mov_b32_e32 v59, 0x7f800001
	s_mov_b32 s41, exec_lo
	v_cmpx_ne_u32_e32 0x7f, v14
	s_cbranch_execz .LBB388_511
; %bb.508:                              ;   in Loop: Header=BB388_11 Depth=1
	v_and_b32_sdwa v1, v11, v104 dst_sel:DWORD dst_unused:UNUSED_PAD src0_sel:WORD_1 src1_sel:DWORD
	v_lshrrev_b32_e32 v13, 3, v14
	s_mov_b32 s42, exec_lo
	v_cmpx_gt_u32_e32 8, v14
; %bb.509:                              ;   in Loop: Header=BB388_11 Depth=1
	v_ffbh_u32_e32 v13, v1
	v_min_u32_e32 v13, 32, v13
	v_subrev_nc_u32_e32 v14, 28, v13
	v_sub_nc_u32_e32 v13, 29, v13
	v_lshlrev_b64 v[59:60], v14, v[1:2]
	v_and_b32_e32 v1, 7, v59
; %bb.510:                              ;   in Loop: Header=BB388_11 Depth=1
	s_or_b32 exec_lo, exec_lo, s42
	v_lshlrev_b32_sdwa v14, v105, v11 dst_sel:DWORD dst_unused:UNUSED_PAD src0_sel:DWORD src1_sel:WORD_1
	v_lshlrev_b32_e32 v1, 20, v1
	v_lshl_add_u32 v13, v13, 23, 0x3c000000
	v_and_b32_e32 v14, 0x80000000, v14
	v_or3_b32 v59, v1, v14, v13
.LBB388_511:                            ;   in Loop: Header=BB388_11 Depth=1
	s_or_b32 exec_lo, exec_lo, s41
.LBB388_512:                            ;   in Loop: Header=BB388_11 Depth=1
	s_or_b32 exec_lo, exec_lo, s40
.LBB388_513:                            ;   in Loop: Header=BB388_11 Depth=1
	s_or_b32 exec_lo, exec_lo, s2
	v_mov_b32_e32 v62, 0
	v_mov_b32_e32 v61, 0
	s_mov_b32 s2, exec_lo
	v_cmpx_lt_u32_e32 0xffffff, v11
	s_cbranch_execz .LBB388_521
; %bb.514:                              ;   in Loop: Header=BB388_11 Depth=1
	v_cmp_ne_u32_sdwa s1, v11, v101 src0_sel:BYTE_3 src1_sel:DWORD
	v_bfrev_b32_e32 v61, 1
	s_and_saveexec_b32 s40, s1
	s_cbranch_execz .LBB388_520
; %bb.515:                              ;   in Loop: Header=BB388_11 Depth=1
	v_bfe_u32 v14, v11, 24, 7
	v_mov_b32_e32 v61, 0x7f800001
	s_mov_b32 s41, exec_lo
	v_cmpx_ne_u32_e32 0x7f, v14
	s_cbranch_execz .LBB388_519
; %bb.516:                              ;   in Loop: Header=BB388_11 Depth=1
	v_and_b32_sdwa v1, v11, v104 dst_sel:DWORD dst_unused:UNUSED_PAD src0_sel:BYTE_3 src1_sel:DWORD
	v_lshrrev_b32_e32 v13, 3, v14
	s_mov_b32 s42, exec_lo
	v_cmpx_gt_u32_e32 8, v14
; %bb.517:                              ;   in Loop: Header=BB388_11 Depth=1
	v_ffbh_u32_e32 v13, v1
	v_min_u32_e32 v13, 32, v13
	v_subrev_nc_u32_e32 v14, 28, v13
	v_sub_nc_u32_e32 v13, 29, v13
	v_lshlrev_b64 v[60:61], v14, v[1:2]
	v_and_b32_e32 v1, 7, v60
; %bb.518:                              ;   in Loop: Header=BB388_11 Depth=1
	s_or_b32 exec_lo, exec_lo, s42
	v_lshlrev_b32_sdwa v14, v105, v11 dst_sel:DWORD dst_unused:UNUSED_PAD src0_sel:DWORD src1_sel:BYTE_3
	v_lshlrev_b32_e32 v1, 20, v1
	v_lshl_add_u32 v13, v13, 23, 0x3c000000
	v_and_b32_e32 v14, 0x80000000, v14
	v_or3_b32 v61, v1, v14, v13
.LBB388_519:                            ;   in Loop: Header=BB388_11 Depth=1
	s_or_b32 exec_lo, exec_lo, s41
.LBB388_520:                            ;   in Loop: Header=BB388_11 Depth=1
	s_or_b32 exec_lo, exec_lo, s40
.LBB388_521:                            ;   in Loop: Header=BB388_11 Depth=1
	s_or_b32 exec_lo, exec_lo, s2
	v_mov_b32_e32 v1, v12
	v_cmp_ne_u16_sdwa s1, v12, v2 src0_sel:BYTE_0 src1_sel:DWORD
	s_and_saveexec_b32 s2, s1
	s_cbranch_execz .LBB388_527
; %bb.522:                              ;   in Loop: Header=BB388_11 Depth=1
	v_cmp_ne_u16_sdwa s1, v12, v101 src0_sel:BYTE_0 src1_sel:DWORD
	v_bfrev_b32_e32 v62, 1
	s_and_saveexec_b32 s40, s1
	s_cbranch_execz .LBB388_526
; %bb.523:                              ;   in Loop: Header=BB388_11 Depth=1
	v_and_b32_e32 v13, 0x7f, v12
	v_mov_b32_e32 v62, 0x7f800001
	s_mov_b32 s41, exec_lo
	v_cmpx_ne_u32_e32 0x7f, v13
	s_cbranch_execz .LBB388_525
; %bb.524:                              ;   in Loop: Header=BB388_11 Depth=1
	v_and_b32_e32 v14, 7, v12
	v_lshrrev_b32_e32 v60, 3, v13
	v_cmp_gt_u32_e64 s1, 8, v13
	v_ffbh_u32_e32 v13, v14
	v_min_u32_e32 v13, 32, v13
	v_subrev_nc_u32_e32 v14, 28, v13
	v_sub_nc_u32_e32 v13, 29, v13
	v_cndmask_b32_e64 v60, v60, v13, s1
	v_cndmask_b32_e64 v13, 0, v14, s1
	v_lshl_add_u32 v60, v60, 23, 0x3c000000
	v_lshlrev_b64 v[13:14], v13, v[1:2]
	v_lshlrev_b32_e32 v14, 24, v1
	v_lshlrev_b32_e32 v13, 20, v13
	v_and_b32_e32 v14, 0x80000000, v14
	v_and_b32_e32 v13, 0x700000, v13
	v_or3_b32 v62, v13, v14, v60
.LBB388_525:                            ;   in Loop: Header=BB388_11 Depth=1
	s_or_b32 exec_lo, exec_lo, s41
.LBB388_526:                            ;   in Loop: Header=BB388_11 Depth=1
	s_or_b32 exec_lo, exec_lo, s40
.LBB388_527:                            ;   in Loop: Header=BB388_11 Depth=1
	s_or_b32 exec_lo, exec_lo, s2
	v_cmp_ne_u16_sdwa s1, v1, v2 src0_sel:BYTE_1 src1_sel:DWORD
	v_mov_b32_e32 v65, 0
	v_mov_b32_e32 v67, 0
	s_and_saveexec_b32 s2, s1
	s_cbranch_execz .LBB388_535
; %bb.528:                              ;   in Loop: Header=BB388_11 Depth=1
	v_cmp_ne_u16_sdwa s1, v1, v101 src0_sel:BYTE_1 src1_sel:DWORD
	v_bfrev_b32_e32 v67, 1
	s_and_saveexec_b32 s40, s1
	s_cbranch_execz .LBB388_534
; %bb.529:                              ;   in Loop: Header=BB388_11 Depth=1
	v_and_b32_sdwa v13, v102, v1 dst_sel:DWORD dst_unused:UNUSED_PAD src0_sel:DWORD src1_sel:BYTE_1
	v_mov_b32_e32 v67, 0x7f800001
	s_mov_b32 s41, exec_lo
	v_and_b32_e32 v63, 0x7f, v13
	v_cmpx_ne_u32_e32 0x7f, v63
	s_cbranch_execz .LBB388_533
; %bb.530:                              ;   in Loop: Header=BB388_11 Depth=1
	v_and_b32_e32 v13, 7, v13
	v_mov_b32_e32 v14, v2
	v_lshrrev_b32_e32 v60, 3, v63
	s_mov_b32 s42, exec_lo
	v_cmpx_gt_u32_e32 8, v63
; %bb.531:                              ;   in Loop: Header=BB388_11 Depth=1
	v_ffbh_u32_e32 v60, v13
	v_min_u32_e32 v60, 32, v60
	v_subrev_nc_u32_e32 v63, 28, v60
	v_sub_nc_u32_e32 v60, 29, v60
	v_lshlrev_b64 v[13:14], v63, v[13:14]
	v_and_b32_e32 v13, 7, v13
; %bb.532:                              ;   in Loop: Header=BB388_11 Depth=1
	s_or_b32 exec_lo, exec_lo, s42
	v_lshlrev_b32_e32 v1, 16, v1
	v_lshlrev_b32_e32 v13, 20, v13
	v_lshl_add_u32 v14, v60, 23, 0x3c000000
	v_and_b32_e32 v1, 0x80000000, v1
	v_or3_b32 v67, v13, v1, v14
.LBB388_533:                            ;   in Loop: Header=BB388_11 Depth=1
	s_or_b32 exec_lo, exec_lo, s41
.LBB388_534:                            ;   in Loop: Header=BB388_11 Depth=1
	s_or_b32 exec_lo, exec_lo, s40
.LBB388_535:                            ;   in Loop: Header=BB388_11 Depth=1
	s_or_b32 exec_lo, exec_lo, s2
	v_and_b32_sdwa v1, v12, v103 dst_sel:DWORD dst_unused:UNUSED_PAD src0_sel:WORD_1 src1_sel:DWORD
	s_mov_b32 s2, exec_lo
	v_cmpx_ne_u16_e32 0, v1
	s_cbranch_execz .LBB388_543
; %bb.536:                              ;   in Loop: Header=BB388_11 Depth=1
	v_bfrev_b32_e32 v65, 1
	s_mov_b32 s40, exec_lo
	v_cmpx_ne_u16_e32 0x80, v1
	s_cbranch_execz .LBB388_542
; %bb.537:                              ;   in Loop: Header=BB388_11 Depth=1
	v_bfe_u32 v14, v12, 16, 7
	v_mov_b32_e32 v65, 0x7f800001
	s_mov_b32 s41, exec_lo
	v_cmpx_ne_u32_e32 0x7f, v14
	s_cbranch_execz .LBB388_541
; %bb.538:                              ;   in Loop: Header=BB388_11 Depth=1
	v_and_b32_sdwa v1, v12, v104 dst_sel:DWORD dst_unused:UNUSED_PAD src0_sel:WORD_1 src1_sel:DWORD
	v_lshrrev_b32_e32 v13, 3, v14
	s_mov_b32 s42, exec_lo
	v_cmpx_gt_u32_e32 8, v14
; %bb.539:                              ;   in Loop: Header=BB388_11 Depth=1
	v_ffbh_u32_e32 v13, v1
	v_min_u32_e32 v13, 32, v13
	v_subrev_nc_u32_e32 v14, 28, v13
	v_sub_nc_u32_e32 v13, 29, v13
	v_lshlrev_b64 v[63:64], v14, v[1:2]
	v_and_b32_e32 v1, 7, v63
; %bb.540:                              ;   in Loop: Header=BB388_11 Depth=1
	s_or_b32 exec_lo, exec_lo, s42
	v_lshlrev_b32_sdwa v14, v105, v12 dst_sel:DWORD dst_unused:UNUSED_PAD src0_sel:DWORD src1_sel:WORD_1
	v_lshlrev_b32_e32 v1, 20, v1
	v_lshl_add_u32 v13, v13, 23, 0x3c000000
	v_and_b32_e32 v14, 0x80000000, v14
	v_or3_b32 v65, v1, v14, v13
.LBB388_541:                            ;   in Loop: Header=BB388_11 Depth=1
	s_or_b32 exec_lo, exec_lo, s41
.LBB388_542:                            ;   in Loop: Header=BB388_11 Depth=1
	s_or_b32 exec_lo, exec_lo, s40
.LBB388_543:                            ;   in Loop: Header=BB388_11 Depth=1
	s_or_b32 exec_lo, exec_lo, s2
	v_mov_b32_e32 v13, 0
	v_mov_b32_e32 v69, 0
	s_mov_b32 s2, exec_lo
	v_cmpx_lt_u64_e64 s[4:5], v[11:12]
	s_cbranch_execz .LBB388_551
; %bb.544:                              ;   in Loop: Header=BB388_11 Depth=1
	v_cmp_ne_u32_sdwa s1, v12, v101 src0_sel:BYTE_3 src1_sel:DWORD
	v_bfrev_b32_e32 v69, 1
	s_and_saveexec_b32 s40, s1
	s_cbranch_execz .LBB388_550
; %bb.545:                              ;   in Loop: Header=BB388_11 Depth=1
	v_bfe_u32 v14, v12, 24, 7
	v_mov_b32_e32 v69, 0x7f800001
	s_mov_b32 s41, exec_lo
	v_cmpx_ne_u32_e32 0x7f, v14
	s_cbranch_execz .LBB388_549
; %bb.546:                              ;   in Loop: Header=BB388_11 Depth=1
	v_and_b32_sdwa v1, v12, v104 dst_sel:DWORD dst_unused:UNUSED_PAD src0_sel:BYTE_3 src1_sel:DWORD
	v_lshrrev_b32_e32 v11, 3, v14
	s_mov_b32 s42, exec_lo
	v_cmpx_gt_u32_e32 8, v14
; %bb.547:                              ;   in Loop: Header=BB388_11 Depth=1
	v_ffbh_u32_e32 v11, v1
	v_min_u32_e32 v11, 32, v11
	v_subrev_nc_u32_e32 v14, 28, v11
	v_sub_nc_u32_e32 v11, 29, v11
	v_lshlrev_b64 v[63:64], v14, v[1:2]
	v_and_b32_e32 v1, 7, v63
; %bb.548:                              ;   in Loop: Header=BB388_11 Depth=1
	s_or_b32 exec_lo, exec_lo, s42
	v_lshlrev_b32_sdwa v12, v105, v12 dst_sel:DWORD dst_unused:UNUSED_PAD src0_sel:DWORD src1_sel:BYTE_3
	v_lshlrev_b32_e32 v1, 20, v1
	v_lshl_add_u32 v11, v11, 23, 0x3c000000
	v_and_b32_e32 v12, 0x80000000, v12
	v_or3_b32 v69, v1, v12, v11
.LBB388_549:                            ;   in Loop: Header=BB388_11 Depth=1
	s_or_b32 exec_lo, exec_lo, s41
.LBB388_550:                            ;   in Loop: Header=BB388_11 Depth=1
	s_or_b32 exec_lo, exec_lo, s40
.LBB388_551:                            ;   in Loop: Header=BB388_11 Depth=1
	s_or_b32 exec_lo, exec_lo, s2
	global_load_dwordx2 v[7:8], v[7:8], off offset:8
	s_waitcnt vmcnt(0)
	v_cmp_ne_u16_sdwa s1, v7, v2 src0_sel:BYTE_0 src1_sel:DWORD
	s_and_saveexec_b32 s2, s1
	s_cbranch_execz .LBB388_557
; %bb.552:                              ;   in Loop: Header=BB388_11 Depth=1
	v_cmp_ne_u16_sdwa s1, v7, v101 src0_sel:BYTE_0 src1_sel:DWORD
	v_bfrev_b32_e32 v13, 1
	s_and_saveexec_b32 s40, s1
	s_cbranch_execz .LBB388_556
; %bb.553:                              ;   in Loop: Header=BB388_11 Depth=1
	v_and_b32_e32 v1, 0x7f, v7
	v_mov_b32_e32 v13, 0x7f800001
	s_mov_b32 s41, exec_lo
	v_cmpx_ne_u32_e32 0x7f, v1
	s_cbranch_execz .LBB388_555
; %bb.554:                              ;   in Loop: Header=BB388_11 Depth=1
	v_and_b32_e32 v11, 7, v7
	v_lshrrev_b32_e32 v12, 3, v1
	v_cmp_gt_u32_e64 s1, 8, v1
	v_ffbh_u32_e32 v1, v11
	v_min_u32_e32 v1, 32, v1
	v_subrev_nc_u32_e32 v11, 28, v1
	v_sub_nc_u32_e32 v1, 29, v1
	v_cndmask_b32_e64 v11, 0, v11, s1
	v_cndmask_b32_e64 v1, v12, v1, s1
	v_lshlrev_b64 v[11:12], v11, v[7:8]
	v_lshlrev_b32_e32 v12, 24, v7
	v_lshl_add_u32 v1, v1, 23, 0x3c000000
	v_lshlrev_b32_e32 v11, 20, v11
	v_and_b32_e32 v12, 0x80000000, v12
	v_and_b32_e32 v11, 0x700000, v11
	v_or3_b32 v13, v11, v12, v1
.LBB388_555:                            ;   in Loop: Header=BB388_11 Depth=1
	s_or_b32 exec_lo, exec_lo, s41
.LBB388_556:                            ;   in Loop: Header=BB388_11 Depth=1
	s_or_b32 exec_lo, exec_lo, s40
.LBB388_557:                            ;   in Loop: Header=BB388_11 Depth=1
	s_or_b32 exec_lo, exec_lo, s2
	v_cmp_ne_u16_sdwa s1, v7, v2 src0_sel:BYTE_1 src1_sel:DWORD
	v_mov_b32_e32 v60, 0
	v_mov_b32_e32 v14, 0
	s_and_saveexec_b32 s2, s1
	s_cbranch_execz .LBB388_565
; %bb.558:                              ;   in Loop: Header=BB388_11 Depth=1
	v_cmp_ne_u16_sdwa s1, v7, v101 src0_sel:BYTE_1 src1_sel:DWORD
	v_bfrev_b32_e32 v14, 1
	s_and_saveexec_b32 s40, s1
	s_cbranch_execz .LBB388_564
; %bb.559:                              ;   in Loop: Header=BB388_11 Depth=1
	v_and_b32_sdwa v1, v102, v7 dst_sel:DWORD dst_unused:UNUSED_PAD src0_sel:DWORD src1_sel:BYTE_1
	v_mov_b32_e32 v14, 0x7f800001
	s_mov_b32 s41, exec_lo
	v_and_b32_e32 v12, 0x7f, v1
	v_cmpx_ne_u32_e32 0x7f, v12
	s_cbranch_execz .LBB388_563
; %bb.560:                              ;   in Loop: Header=BB388_11 Depth=1
	v_and_b32_e32 v1, 7, v1
	v_lshrrev_b32_e32 v11, 3, v12
	s_mov_b32 s42, exec_lo
	v_cmpx_gt_u32_e32 8, v12
; %bb.561:                              ;   in Loop: Header=BB388_11 Depth=1
	v_ffbh_u32_e32 v11, v1
	v_min_u32_e32 v11, 32, v11
	v_subrev_nc_u32_e32 v12, 28, v11
	v_sub_nc_u32_e32 v11, 29, v11
	v_lshlrev_b64 v[63:64], v12, v[1:2]
	v_and_b32_e32 v1, 7, v63
; %bb.562:                              ;   in Loop: Header=BB388_11 Depth=1
	s_or_b32 exec_lo, exec_lo, s42
	v_lshlrev_b32_e32 v12, 16, v7
	v_lshlrev_b32_e32 v1, 20, v1
	v_lshl_add_u32 v11, v11, 23, 0x3c000000
	v_and_b32_e32 v12, 0x80000000, v12
	v_or3_b32 v14, v1, v12, v11
.LBB388_563:                            ;   in Loop: Header=BB388_11 Depth=1
	s_or_b32 exec_lo, exec_lo, s41
.LBB388_564:                            ;   in Loop: Header=BB388_11 Depth=1
	s_or_b32 exec_lo, exec_lo, s40
.LBB388_565:                            ;   in Loop: Header=BB388_11 Depth=1
	s_or_b32 exec_lo, exec_lo, s2
	v_and_b32_sdwa v1, v7, v103 dst_sel:DWORD dst_unused:UNUSED_PAD src0_sel:WORD_1 src1_sel:DWORD
	s_mov_b32 s2, exec_lo
	v_cmpx_ne_u16_e32 0, v1
	s_cbranch_execz .LBB388_573
; %bb.566:                              ;   in Loop: Header=BB388_11 Depth=1
	v_bfrev_b32_e32 v60, 1
	s_mov_b32 s40, exec_lo
	v_cmpx_ne_u16_e32 0x80, v1
	s_cbranch_execz .LBB388_572
; %bb.567:                              ;   in Loop: Header=BB388_11 Depth=1
	v_bfe_u32 v12, v7, 16, 7
	v_mov_b32_e32 v60, 0x7f800001
	s_mov_b32 s41, exec_lo
	v_cmpx_ne_u32_e32 0x7f, v12
	s_cbranch_execz .LBB388_571
; %bb.568:                              ;   in Loop: Header=BB388_11 Depth=1
	v_and_b32_sdwa v1, v7, v104 dst_sel:DWORD dst_unused:UNUSED_PAD src0_sel:WORD_1 src1_sel:DWORD
	v_lshrrev_b32_e32 v11, 3, v12
	s_mov_b32 s42, exec_lo
	v_cmpx_gt_u32_e32 8, v12
; %bb.569:                              ;   in Loop: Header=BB388_11 Depth=1
	v_ffbh_u32_e32 v11, v1
	v_min_u32_e32 v11, 32, v11
	v_subrev_nc_u32_e32 v12, 28, v11
	v_sub_nc_u32_e32 v11, 29, v11
	v_lshlrev_b64 v[63:64], v12, v[1:2]
	v_and_b32_e32 v1, 7, v63
; %bb.570:                              ;   in Loop: Header=BB388_11 Depth=1
	s_or_b32 exec_lo, exec_lo, s42
	v_lshlrev_b32_sdwa v12, v105, v7 dst_sel:DWORD dst_unused:UNUSED_PAD src0_sel:DWORD src1_sel:WORD_1
	v_lshlrev_b32_e32 v1, 20, v1
	v_lshl_add_u32 v11, v11, 23, 0x3c000000
	v_and_b32_e32 v12, 0x80000000, v12
	v_or3_b32 v60, v1, v12, v11
.LBB388_571:                            ;   in Loop: Header=BB388_11 Depth=1
	s_or_b32 exec_lo, exec_lo, s41
.LBB388_572:                            ;   in Loop: Header=BB388_11 Depth=1
	s_or_b32 exec_lo, exec_lo, s40
.LBB388_573:                            ;   in Loop: Header=BB388_11 Depth=1
	s_or_b32 exec_lo, exec_lo, s2
	v_mov_b32_e32 v64, 0
	v_mov_b32_e32 v63, 0
	s_mov_b32 s2, exec_lo
	v_cmpx_lt_u32_e32 0xffffff, v7
	s_cbranch_execz .LBB388_581
; %bb.574:                              ;   in Loop: Header=BB388_11 Depth=1
	v_cmp_ne_u32_sdwa s1, v7, v101 src0_sel:BYTE_3 src1_sel:DWORD
	v_bfrev_b32_e32 v63, 1
	s_and_saveexec_b32 s40, s1
	s_cbranch_execz .LBB388_580
; %bb.575:                              ;   in Loop: Header=BB388_11 Depth=1
	v_bfe_u32 v12, v7, 24, 7
	v_mov_b32_e32 v63, 0x7f800001
	s_mov_b32 s41, exec_lo
	v_cmpx_ne_u32_e32 0x7f, v12
	s_cbranch_execz .LBB388_579
; %bb.576:                              ;   in Loop: Header=BB388_11 Depth=1
	v_and_b32_sdwa v1, v7, v104 dst_sel:DWORD dst_unused:UNUSED_PAD src0_sel:BYTE_3 src1_sel:DWORD
	v_lshrrev_b32_e32 v11, 3, v12
	s_mov_b32 s42, exec_lo
	v_cmpx_gt_u32_e32 8, v12
; %bb.577:                              ;   in Loop: Header=BB388_11 Depth=1
	v_ffbh_u32_e32 v11, v1
	v_min_u32_e32 v11, 32, v11
	v_subrev_nc_u32_e32 v12, 28, v11
	v_sub_nc_u32_e32 v11, 29, v11
	v_lshlrev_b64 v[70:71], v12, v[1:2]
	v_and_b32_e32 v1, 7, v70
; %bb.578:                              ;   in Loop: Header=BB388_11 Depth=1
	s_or_b32 exec_lo, exec_lo, s42
	v_lshlrev_b32_sdwa v12, v105, v7 dst_sel:DWORD dst_unused:UNUSED_PAD src0_sel:DWORD src1_sel:BYTE_3
	v_lshlrev_b32_e32 v1, 20, v1
	v_lshl_add_u32 v11, v11, 23, 0x3c000000
	v_and_b32_e32 v12, 0x80000000, v12
	v_or3_b32 v63, v1, v12, v11
.LBB388_579:                            ;   in Loop: Header=BB388_11 Depth=1
	s_or_b32 exec_lo, exec_lo, s41
.LBB388_580:                            ;   in Loop: Header=BB388_11 Depth=1
	s_or_b32 exec_lo, exec_lo, s40
.LBB388_581:                            ;   in Loop: Header=BB388_11 Depth=1
	s_or_b32 exec_lo, exec_lo, s2
	v_mov_b32_e32 v1, v8
	v_cmp_ne_u16_sdwa s1, v8, v2 src0_sel:BYTE_0 src1_sel:DWORD
	s_and_saveexec_b32 s2, s1
	s_cbranch_execz .LBB388_587
; %bb.582:                              ;   in Loop: Header=BB388_11 Depth=1
	v_cmp_ne_u16_sdwa s1, v8, v101 src0_sel:BYTE_0 src1_sel:DWORD
	v_bfrev_b32_e32 v64, 1
	s_and_saveexec_b32 s40, s1
	s_cbranch_execz .LBB388_586
; %bb.583:                              ;   in Loop: Header=BB388_11 Depth=1
	v_and_b32_e32 v11, 0x7f, v8
	v_mov_b32_e32 v64, 0x7f800001
	s_mov_b32 s41, exec_lo
	v_cmpx_ne_u32_e32 0x7f, v11
	s_cbranch_execz .LBB388_585
; %bb.584:                              ;   in Loop: Header=BB388_11 Depth=1
	v_and_b32_e32 v12, 7, v8
	v_lshrrev_b32_e32 v64, 3, v11
	v_cmp_gt_u32_e64 s1, 8, v11
	v_ffbh_u32_e32 v11, v12
	v_min_u32_e32 v11, 32, v11
	v_subrev_nc_u32_e32 v12, 28, v11
	v_sub_nc_u32_e32 v11, 29, v11
	v_cndmask_b32_e64 v64, v64, v11, s1
	v_cndmask_b32_e64 v11, 0, v12, s1
	v_lshl_add_u32 v64, v64, 23, 0x3c000000
	v_lshlrev_b64 v[11:12], v11, v[1:2]
	v_lshlrev_b32_e32 v12, 24, v1
	v_lshlrev_b32_e32 v11, 20, v11
	v_and_b32_e32 v12, 0x80000000, v12
	v_and_b32_e32 v11, 0x700000, v11
	v_or3_b32 v64, v11, v12, v64
.LBB388_585:                            ;   in Loop: Header=BB388_11 Depth=1
	s_or_b32 exec_lo, exec_lo, s41
.LBB388_586:                            ;   in Loop: Header=BB388_11 Depth=1
	s_or_b32 exec_lo, exec_lo, s40
.LBB388_587:                            ;   in Loop: Header=BB388_11 Depth=1
	s_or_b32 exec_lo, exec_lo, s2
	v_cmp_ne_u16_sdwa s1, v1, v2 src0_sel:BYTE_1 src1_sel:DWORD
	v_mov_b32_e32 v66, 0
	v_mov_b32_e32 v68, 0
	s_and_saveexec_b32 s2, s1
	s_cbranch_execz .LBB388_595
; %bb.588:                              ;   in Loop: Header=BB388_11 Depth=1
	v_cmp_ne_u16_sdwa s1, v1, v101 src0_sel:BYTE_1 src1_sel:DWORD
	v_bfrev_b32_e32 v68, 1
	s_and_saveexec_b32 s40, s1
	s_cbranch_execz .LBB388_594
; %bb.589:                              ;   in Loop: Header=BB388_11 Depth=1
	v_and_b32_sdwa v11, v102, v1 dst_sel:DWORD dst_unused:UNUSED_PAD src0_sel:DWORD src1_sel:BYTE_1
	v_mov_b32_e32 v68, 0x7f800001
	s_mov_b32 s41, exec_lo
	v_and_b32_e32 v70, 0x7f, v11
	v_cmpx_ne_u32_e32 0x7f, v70
	s_cbranch_execz .LBB388_593
; %bb.590:                              ;   in Loop: Header=BB388_11 Depth=1
	v_and_b32_e32 v11, 7, v11
	v_mov_b32_e32 v12, v2
	v_lshrrev_b32_e32 v68, 3, v70
	s_mov_b32 s42, exec_lo
	v_cmpx_gt_u32_e32 8, v70
; %bb.591:                              ;   in Loop: Header=BB388_11 Depth=1
	v_ffbh_u32_e32 v68, v11
	v_min_u32_e32 v68, 32, v68
	v_subrev_nc_u32_e32 v70, 28, v68
	v_sub_nc_u32_e32 v68, 29, v68
	v_lshlrev_b64 v[11:12], v70, v[11:12]
	v_and_b32_e32 v11, 7, v11
; %bb.592:                              ;   in Loop: Header=BB388_11 Depth=1
	s_or_b32 exec_lo, exec_lo, s42
	v_lshlrev_b32_e32 v1, 16, v1
	v_lshlrev_b32_e32 v11, 20, v11
	v_lshl_add_u32 v12, v68, 23, 0x3c000000
	v_and_b32_e32 v1, 0x80000000, v1
	v_or3_b32 v68, v11, v1, v12
.LBB388_593:                            ;   in Loop: Header=BB388_11 Depth=1
	s_or_b32 exec_lo, exec_lo, s41
.LBB388_594:                            ;   in Loop: Header=BB388_11 Depth=1
	s_or_b32 exec_lo, exec_lo, s40
.LBB388_595:                            ;   in Loop: Header=BB388_11 Depth=1
	s_or_b32 exec_lo, exec_lo, s2
	v_and_b32_sdwa v1, v8, v103 dst_sel:DWORD dst_unused:UNUSED_PAD src0_sel:WORD_1 src1_sel:DWORD
	s_mov_b32 s2, exec_lo
	v_cmpx_ne_u16_e32 0, v1
	s_cbranch_execz .LBB388_603
; %bb.596:                              ;   in Loop: Header=BB388_11 Depth=1
	v_bfrev_b32_e32 v66, 1
	s_mov_b32 s40, exec_lo
	v_cmpx_ne_u16_e32 0x80, v1
	s_cbranch_execz .LBB388_602
; %bb.597:                              ;   in Loop: Header=BB388_11 Depth=1
	v_bfe_u32 v12, v8, 16, 7
	v_mov_b32_e32 v66, 0x7f800001
	s_mov_b32 s41, exec_lo
	v_cmpx_ne_u32_e32 0x7f, v12
	s_cbranch_execz .LBB388_601
; %bb.598:                              ;   in Loop: Header=BB388_11 Depth=1
	v_and_b32_sdwa v1, v8, v104 dst_sel:DWORD dst_unused:UNUSED_PAD src0_sel:WORD_1 src1_sel:DWORD
	v_lshrrev_b32_e32 v11, 3, v12
	s_mov_b32 s42, exec_lo
	v_cmpx_gt_u32_e32 8, v12
; %bb.599:                              ;   in Loop: Header=BB388_11 Depth=1
	v_ffbh_u32_e32 v11, v1
	v_min_u32_e32 v11, 32, v11
	v_subrev_nc_u32_e32 v12, 28, v11
	v_sub_nc_u32_e32 v11, 29, v11
	v_lshlrev_b64 v[70:71], v12, v[1:2]
	v_and_b32_e32 v1, 7, v70
; %bb.600:                              ;   in Loop: Header=BB388_11 Depth=1
	s_or_b32 exec_lo, exec_lo, s42
	v_lshlrev_b32_sdwa v12, v105, v8 dst_sel:DWORD dst_unused:UNUSED_PAD src0_sel:DWORD src1_sel:WORD_1
	v_lshlrev_b32_e32 v1, 20, v1
	v_lshl_add_u32 v11, v11, 23, 0x3c000000
	v_and_b32_e32 v12, 0x80000000, v12
	v_or3_b32 v66, v1, v12, v11
.LBB388_601:                            ;   in Loop: Header=BB388_11 Depth=1
	s_or_b32 exec_lo, exec_lo, s41
.LBB388_602:                            ;   in Loop: Header=BB388_11 Depth=1
	s_or_b32 exec_lo, exec_lo, s40
.LBB388_603:                            ;   in Loop: Header=BB388_11 Depth=1
	s_or_b32 exec_lo, exec_lo, s2
	v_mov_b32_e32 v70, 0
	s_mov_b32 s2, exec_lo
	v_cmpx_lt_u64_e64 s[4:5], v[7:8]
	s_cbranch_execz .LBB388_10
; %bb.604:                              ;   in Loop: Header=BB388_11 Depth=1
	v_cmp_ne_u32_sdwa s1, v8, v101 src0_sel:BYTE_3 src1_sel:DWORD
	v_bfrev_b32_e32 v70, 1
	s_and_saveexec_b32 s40, s1
	s_cbranch_execz .LBB388_9
; %bb.605:                              ;   in Loop: Header=BB388_11 Depth=1
	v_bfe_u32 v11, v8, 24, 7
	v_mov_b32_e32 v70, 0x7f800001
	s_mov_b32 s41, exec_lo
	v_cmpx_ne_u32_e32 0x7f, v11
	s_cbranch_execz .LBB388_8
; %bb.606:                              ;   in Loop: Header=BB388_11 Depth=1
	v_and_b32_sdwa v1, v8, v104 dst_sel:DWORD dst_unused:UNUSED_PAD src0_sel:BYTE_3 src1_sel:DWORD
	v_lshrrev_b32_e32 v7, 3, v11
	s_mov_b32 s42, exec_lo
	v_cmpx_gt_u32_e32 8, v11
	s_cbranch_execz .LBB388_7
; %bb.607:                              ;   in Loop: Header=BB388_11 Depth=1
	v_ffbh_u32_e32 v7, v1
	v_min_u32_e32 v7, 32, v7
	v_subrev_nc_u32_e32 v11, 28, v7
	v_sub_nc_u32_e32 v7, 29, v7
	v_lshlrev_b64 v[11:12], v11, v[1:2]
	v_and_b32_e32 v1, 7, v11
	s_branch .LBB388_7
.LBB388_608:
	s_or_b32 exec_lo, exec_lo, s17
	s_clause 0x1
	buffer_load_dword v12, off, s[44:47], 0 offset:232
	buffer_load_dword v27, off, s[44:47], 0 offset:236
.LBB388_609:
	s_or_b32 exec_lo, exec_lo, s37
	v_mbcnt_lo_u32_b32 v0, -1, 0
	v_max_f32_e32 v4, v98, v98
	v_xor_b32_e32 v1, 16, v0
	v_xor_b32_e32 v3, 8, v0
	v_cmp_gt_i32_e32 vcc_lo, 32, v1
	v_cndmask_b32_e32 v1, v0, v1, vcc_lo
	v_cmp_gt_i32_e32 vcc_lo, 32, v3
	v_lshlrev_b32_e32 v1, 2, v1
	v_cndmask_b32_e32 v3, v0, v3, vcc_lo
	ds_bpermute_b32 v2, v1, v98
	s_waitcnt lgkmcnt(0)
	v_max_f32_e32 v5, v2, v2
	v_lshlrev_b32_e32 v2, 2, v3
	v_max_f32_e32 v3, v4, v5
	v_xor_b32_e32 v5, 4, v0
	ds_bpermute_b32 v4, v2, v3
	v_cmp_gt_i32_e32 vcc_lo, 32, v5
	v_cndmask_b32_e32 v5, v0, v5, vcc_lo
	s_waitcnt lgkmcnt(0)
	v_max_f32_e32 v6, v4, v4
	v_lshlrev_b32_e32 v4, 2, v5
	v_max_f32_e32 v3, v3, v6
	v_xor_b32_e32 v6, 2, v0
	ds_bpermute_b32 v5, v4, v3
	v_cmp_gt_i32_e32 vcc_lo, 32, v6
	v_cndmask_b32_e32 v6, v0, v6, vcc_lo
	v_lshlrev_b32_e32 v25, 2, v6
	v_xor_b32_e32 v6, 1, v0
	v_cmp_gt_i32_e32 vcc_lo, 32, v6
	s_waitcnt lgkmcnt(0)
	v_max_f32_e32 v5, v5, v5
	v_cndmask_b32_e32 v6, v0, v6, vcc_lo
	v_max_f32_e32 v3, v3, v5
	v_lshlrev_b32_e32 v24, 2, v6
	ds_bpermute_b32 v5, v25, v3
	s_waitcnt lgkmcnt(0)
	v_max_f32_e32 v5, v5, v5
	v_max_f32_e32 v0, v3, v5
	buffer_load_dword v5, off, s[44:47], 0 offset:224 ; 4-byte Folded Reload
	ds_bpermute_b32 v3, v24, v0
	s_waitcnt vmcnt(0)
	v_cmp_eq_u32_e32 vcc_lo, 0, v5
	buffer_load_dword v5, off, s[44:47], 0 offset:228 ; 4-byte Folded Reload
	s_waitcnt vmcnt(0)
	v_lshlrev_b32_e32 v5, 2, v5
	s_and_saveexec_b32 s1, vcc_lo
	s_cbranch_execz .LBB388_611
; %bb.610:
	s_waitcnt lgkmcnt(0)
	v_max_f32_e32 v3, v3, v3
	v_max_f32_e32 v0, v0, v0
	;; [unrolled: 1-line block ×3, first 2 shown]
	ds_write_b32 v5, v0 offset:160
.LBB388_611:
	s_or_b32 exec_lo, exec_lo, s1
	buffer_load_dword v0, off, s[44:47], 0 offset:224 ; 4-byte Folded Reload
	s_waitcnt vmcnt(0) lgkmcnt(0)
	s_waitcnt_vscnt null, 0x0
	s_barrier
	buffer_gl0_inv
	v_cmp_gt_u32_e64 s1, 4, v0
	v_mov_b32_e32 v0, 0xff7fffff
	s_and_saveexec_b32 s2, s1
; %bb.612:
	ds_read_b32 v0, v27 offset:160
; %bb.613:
	s_or_b32 exec_lo, exec_lo, s2
	s_waitcnt lgkmcnt(0)
	ds_bpermute_b32 v3, v25, v0
	v_max_f32_e32 v0, v0, v0
	v_mov_b32_e32 v6, 0
	s_sub_i32 s2, s11, s15
	s_lshl_b32 s2, s2, 5
	s_add_i32 s2, s2, s33
	s_min_i32 s2, s2, s29
	s_sub_i32 s4, s2, s33
	v_cmp_gt_i32_e64 s2, s4, v12
	s_waitcnt lgkmcnt(0)
	v_max_f32_e32 v3, v3, v3
	v_max_f32_e32 v0, v0, v3
	ds_bpermute_b32 v3, v24, v0
	s_waitcnt lgkmcnt(0)
	v_max_f32_e32 v3, v3, v3
	v_max_f32_e32 v0, v0, v3
	v_lshl_add_u32 v3, v12, 2, 0xc0
	ds_bpermute_b32 v0, v6, v0
	s_and_saveexec_b32 s5, s2
	s_cbranch_execz .LBB388_617
; %bb.614:
	v_lshl_add_u32 v7, v12, 2, 0xc0
	v_mov_b32_e32 v6, 0
	v_mov_b32_e32 v8, v12
	s_mov_b32 s15, 0
	.p2align	6
.LBB388_615:                            ; =>This Inner Loop Header: Depth=1
	ds_read_b32 v11, v7
	v_add_nc_u32_e32 v8, 0x80, v8
	v_cmp_le_i32_e64 s3, s4, v8
	s_or_b32 s15, s3, s15
	s_waitcnt lgkmcnt(0)
	v_sub_f32_e32 v11, v11, v0
	v_mul_f32_e32 v11, 0x3fb8aa3b, v11
	v_exp_f32_e32 v11, v11
	ds_write_b32 v7, v11
	v_add_f32_e32 v6, v6, v11
	v_add_nc_u32_e32 v7, 0x200, v7
	s_andn2_b32 exec_lo, exec_lo, s15
	s_cbranch_execnz .LBB388_615
; %bb.616:
	s_or_b32 exec_lo, exec_lo, s15
.LBB388_617:
	s_or_b32 exec_lo, exec_lo, s5
	ds_bpermute_b32 v1, v1, v6
	s_waitcnt lgkmcnt(0)
	v_add_f32_e32 v1, v6, v1
	ds_bpermute_b32 v2, v2, v1
	s_waitcnt lgkmcnt(0)
	v_add_f32_e32 v1, v1, v2
	;; [unrolled: 3-line block ×5, first 2 shown]
	s_and_saveexec_b32 s3, vcc_lo
; %bb.618:
	ds_write_b32 v5, v1 offset:176
; %bb.619:
	s_or_b32 exec_lo, exec_lo, s3
	s_waitcnt lgkmcnt(0)
	s_barrier
	buffer_gl0_inv
	s_and_saveexec_b32 s3, s1
; %bb.620:
	ds_read_b32 v1, v27 offset:176
; %bb.621:
	s_or_b32 exec_lo, exec_lo, s3
	s_waitcnt lgkmcnt(0)
	ds_bpermute_b32 v2, v25, v1
	s_waitcnt lgkmcnt(0)
	v_add_f32_e32 v1, v1, v2
	ds_bpermute_b32 v2, v24, v1
	s_waitcnt lgkmcnt(0)
	v_add_f32_e32 v1, v1, v2
	v_mov_b32_e32 v2, 0
	ds_bpermute_b32 v1, v2, v1
	s_and_saveexec_b32 s1, s2
	s_cbranch_execz .LBB388_624
; %bb.622:
	s_waitcnt lgkmcnt(0)
	v_add_f32_e32 v2, 0x358637bd, v1
	s_mov_b32 s2, 0
	v_div_scale_f32 v4, null, v2, v2, 1.0
	v_div_scale_f32 v7, vcc_lo, 1.0, v2, 1.0
	v_rcp_f32_e32 v5, v4
	v_fma_f32 v6, -v4, v5, 1.0
	v_fmac_f32_e32 v5, v6, v5
	v_mul_f32_e32 v6, v7, v5
	v_fma_f32 v8, -v4, v6, v7
	v_fmac_f32_e32 v6, v8, v5
	v_fma_f32 v4, -v4, v6, v7
	v_div_fmas_f32 v4, v4, v5, v6
	v_div_fixup_f32 v2, v4, v2, 1.0
	v_mov_b32_e32 v4, v12
.LBB388_623:                            ; =>This Inner Loop Header: Depth=1
	ds_read_b32 v5, v3
	v_add_nc_u32_e32 v4, 0x80, v4
	v_cmp_le_i32_e32 vcc_lo, s4, v4
	s_or_b32 s2, vcc_lo, s2
	s_waitcnt lgkmcnt(0)
	v_mul_f32_e32 v5, v2, v5
	ds_write_b32 v3, v5
	v_add_nc_u32_e32 v3, 0x200, v3
	s_andn2_b32 exec_lo, exec_lo, s2
	s_cbranch_execnz .LBB388_623
.LBB388_624:
	s_or_b32 exec_lo, exec_lo, s1
	s_mul_i32 s1, s7, s28
	s_waitcnt lgkmcnt(0)
	s_mul_i32 s2, s1, s9
	s_mov_b32 s1, exec_lo
	s_barrier
	buffer_gl0_inv
	v_cmpx_eq_u32_e32 0, v12
	s_cbranch_execz .LBB388_626
; %bb.625:
	s_ashr_i32 s3, s2, 31
	s_mul_i32 s16, s7, s6
	s_lshl_b64 s[4:5], s[2:3], 2
	v_mov_b32_e32 v2, 0
	s_add_u32 s3, s22, s4
	s_addc_u32 s6, s23, s5
	s_ashr_i32 s17, s16, 31
	s_lshl_b64 s[16:17], s[16:17], 2
	s_add_u32 s3, s3, s16
	s_addc_u32 s6, s6, s17
	s_ashr_i32 s9, s8, 31
	s_lshl_b64 s[22:23], s[8:9], 2
	s_add_u32 s36, s3, s22
	s_addc_u32 s37, s6, s23
	s_add_u32 s3, s20, s4
	s_addc_u32 s4, s21, s5
	;; [unrolled: 2-line block ×4, first 2 shown]
	global_store_dword v2, v0, s[36:37]
	global_store_dword v2, v1, s[4:5]
.LBB388_626:
	s_or_b32 exec_lo, exec_lo, s1
	v_mov_b32_e32 v34, 0
	v_and_b32_e32 v26, 3, v12
	v_mov_b32_e32 v36, 0
	v_mov_b32_e32 v35, 0
	;; [unrolled: 1-line block ×9, first 2 shown]
	s_and_saveexec_b32 s1, s0
	s_cbranch_execz .LBB388_1250
; %bb.627:
	buffer_load_dword v4, off, s[44:47], 0 offset:228 ; 4-byte Folded Reload
	v_lshlrev_b32_e32 v0, 3, v12
	s_load_dword s6, s[18:19], 0x0
	s_ashr_i32 s0, s14, 31
	s_add_u32 s4, s30, s14
	v_lshlrev_b32_e32 v2, 5, v26
	v_and_b32_e32 v1, 24, v0
	v_and_b32_e32 v0, 0xf8, v0
	s_addc_u32 s0, s31, s0
	s_add_i32 s9, s12, -1
	v_mov_b32_e32 v11, 0
	v_mov_b32_e32 v39, 0x80
	v_add_co_u32 v12, s4, s4, v0
	v_add_co_ci_u32_e64 v13, null, s0, 0, s4
	s_lshl_b64 s[4:5], s[34:35], 2
	v_mov_b32_e32 v40, 0xffff
	s_add_u32 s0, s26, s4
	s_addc_u32 s4, s27, s5
	v_mov_b32_e32 v41, 0xff
	v_mov_b32_e32 v42, 7
	;; [unrolled: 1-line block ×13, first 2 shown]
	s_mov_b32 s3, s13
	s_mov_b32 s12, 0
	s_waitcnt vmcnt(0)
	v_lshl_add_u32 v3, v4, 5, s33
	v_lshl_or_b32 v2, v4, 7, v2
	v_add3_u32 v37, v3, v1, 7
	v_lshlrev_b64 v[0:1], 2, v[9:10]
	v_add_nc_u32_e32 v38, 0xc0, v2
	v_add_co_u32 v14, vcc_lo, s0, v0
	v_add_co_ci_u32_e64 v15, null, s4, v1, vcc_lo
	s_mov_b32 s4, -1
	s_mov_b32 s5, 0xffffff
	s_branch .LBB388_629
.LBB388_628:                            ;   in Loop: Header=BB388_629 Depth=1
	s_or_b32 exec_lo, exec_lo, s0
	v_bfe_u32 v60, v5, 16, 1
	v_bfe_u32 v61, v6, 16, 1
	v_or_b32_e32 v62, 0x400000, v5
	v_cmp_u_f32_e32 vcc_lo, v5, v5
	v_or_b32_e32 v63, 0x400000, v6
	v_add3_u32 v60, v60, v5, 0x7fff
	v_bfe_u32 v64, v7, 16, 1
	v_add3_u32 v61, v61, v6, 0x7fff
	v_bfe_u32 v65, v8, 16, 1
	v_lshlrev_b32_e32 v116, 16, v116
	v_cndmask_b32_e32 v5, v60, v62, vcc_lo
	v_cmp_u_f32_e32 vcc_lo, v6, v6
	v_add3_u32 v60, v64, v7, 0x7fff
	v_add3_u32 v62, v65, v8, 0x7fff
	v_bfe_u32 v64, v1, 16, 1
	v_and_b32_e32 v5, 0xffff0000, v5
	v_cndmask_b32_e32 v6, v61, v63, vcc_lo
	v_or_b32_e32 v61, 0x400000, v7
	v_cmp_u_f32_e32 vcc_lo, v7, v7
	v_or_b32_e32 v63, 0x400000, v8
	v_or_b32_e32 v65, 0x400000, v4
	v_lshlrev_b32_e32 v109, 16, v109
	v_lshlrev_b32_e32 v105, 16, v105
	v_cndmask_b32_e32 v7, v60, v61, vcc_lo
	v_cmp_u_f32_e32 vcc_lo, v8, v8
	v_bfe_u32 v60, v2, 16, 1
	v_add3_u32 v61, v64, v1, 0x7fff
	v_bfe_u32 v64, v3, 16, 1
	v_lshlrev_b32_e32 v104, 16, v104
	v_cndmask_b32_e32 v8, v62, v63, vcc_lo
	v_or_b32_e32 v62, 0x400000, v1
	v_cmp_u_f32_e32 vcc_lo, v1, v1
	v_add3_u32 v60, v60, v2, 0x7fff
	v_or_b32_e32 v63, 0x400000, v2
	v_and_b32_e32 v1, 0xffff0000, v6
	v_lshlrev_b32_e32 v6, 16, v120
	v_cndmask_b32_e32 v61, v61, v62, vcc_lo
	v_cmp_u_f32_e32 vcc_lo, v2, v2
	v_add3_u32 v2, v64, v3, 0x7fff
	v_bfe_u32 v62, v4, 16, 1
	v_or_b32_e32 v64, 0x400000, v3
	v_mul_f32_e32 v6, v1, v6
	v_cndmask_b32_e32 v60, v60, v63, vcc_lo
	v_lshlrev_b32_e32 v63, 16, v119
	v_cmp_u_f32_e32 vcc_lo, v3, v3
	v_add3_u32 v62, v62, v4, 0x7fff
	v_bfe_u32 v3, v6, 16, 1
	v_lshlrev_b32_e32 v106, 16, v106
	v_mul_f32_e32 v63, v5, v63
	v_cndmask_b32_e32 v64, v2, v64, vcc_lo
	v_cmp_u_f32_e32 vcc_lo, v4, v4
	v_and_b32_e32 v2, 0xffff0000, v8
	v_lshlrev_b32_e32 v8, 16, v117
	v_add3_u32 v3, v3, v6, 0x7fff
	v_or_b32_e32 v66, 0x400000, v63
	v_cndmask_b32_e32 v4, v62, v65, vcc_lo
	v_bfe_u32 v62, v63, 16, 1
	v_or_b32_e32 v65, 0x400000, v6
	v_mul_f32_e32 v117, v2, v8
	v_and_b32_e32 v8, 0xffff0000, v7
	v_lshlrev_b32_e32 v7, 16, v118
	v_cmp_u_f32_e32 vcc_lo, v6, v6
	v_add3_u32 v62, v62, v63, 0x7fff
	v_and_b32_e32 v6, 0xffff0000, v61
	v_lshlrev_b32_e32 v61, 16, v114
	v_mul_f32_e32 v7, v8, v7
	v_cndmask_b32_e32 v65, v3, v65, vcc_lo
	v_cmp_u_f32_e32 vcc_lo, v63, v63
	v_bfe_u32 v63, v117, 16, 1
	v_and_b32_e32 v3, 0xffff0000, v60
	v_lshlrev_b32_e32 v60, 16, v113
	v_bfe_u32 v113, v7, 16, 1
	v_cndmask_b32_e32 v62, v62, v66, vcc_lo
	v_add3_u32 v63, v63, v117, 0x7fff
	v_or_b32_e32 v66, 0x400000, v117
	v_mul_f32_e32 v60, v3, v60
	v_cmp_u_f32_e32 vcc_lo, v117, v117
	v_mul_f32_e32 v61, v6, v61
	v_and_b32_e32 v4, 0xffff0000, v4
	v_and_b32_e32 v62, 0xffff0000, v62
	v_bfe_u32 v114, v60, 16, 1
	v_cndmask_b32_e32 v63, v63, v66, vcc_lo
	v_add3_u32 v66, v113, v7, 0x7fff
	v_or_b32_e32 v113, 0x400000, v7
	v_cmp_u_f32_e32 vcc_lo, v7, v7
	v_bfe_u32 v117, v61, 16, 1
	v_mul_f32_e32 v116, v4, v116
	v_and_b32_e32 v7, 0xffff0000, v64
	v_lshlrev_b32_e32 v64, 16, v115
	v_cndmask_b32_e32 v66, v66, v113, vcc_lo
	v_add3_u32 v113, v114, v60, 0x7fff
	v_or_b32_e32 v114, 0x400000, v60
	v_cmp_u_f32_e32 vcc_lo, v60, v60
	v_add3_u32 v117, v117, v61, 0x7fff
	v_or_b32_e32 v115, 0x400000, v61
	v_bfe_u32 v118, v116, 16, 1
	v_mul_f32_e32 v64, v7, v64
	v_cndmask_b32_e32 v60, v113, v114, vcc_lo
	v_cmp_u_f32_e32 vcc_lo, v61, v61
	v_or_b32_e32 v114, 0x400000, v116
	v_add3_u32 v113, v118, v116, 0x7fff
	v_and_b32_e32 v65, 0xffff0000, v65
	v_and_b32_e32 v66, 0xffff0000, v66
	v_cndmask_b32_e32 v61, v117, v115, vcc_lo
	v_bfe_u32 v115, v64, 16, 1
	v_and_b32_e32 v63, 0xffff0000, v63
	v_cmp_u_f32_e32 vcc_lo, v116, v116
	v_add_f32_e32 v62, v62, v65
	v_and_b32_e32 v61, 0xffff0000, v61
	v_lshlrev_b32_e32 v65, 16, v111
	v_add_f32_e32 v63, v66, v63
	v_cndmask_b32_e32 v113, v113, v114, vcc_lo
	v_add3_u32 v114, v115, v64, 0x7fff
	v_or_b32_e32 v115, 0x400000, v64
	v_and_b32_e32 v60, 0xffff0000, v60
	v_cmp_u_f32_e32 vcc_lo, v64, v64
	v_add_f32_e32 v62, v63, v62
	v_mul_f32_e32 v63, v1, v65
	v_and_b32_e32 v65, 0xffff0000, v113
	v_add_f32_e32 v60, v61, v60
	v_cndmask_b32_e32 v64, v114, v115, vcc_lo
	v_lshlrev_b32_e32 v61, 16, v110
	v_bfe_u32 v66, v63, 16, 1
	v_cmp_u_f32_e32 vcc_lo, v63, v63
	v_add_f32_e32 v60, v60, v62
	v_and_b32_e32 v64, 0xffff0000, v64
	v_mul_f32_e32 v61, v5, v61
	v_lshlrev_b32_e32 v62, 16, v107
	v_mul_f32_e32 v109, v8, v109
	v_mul_f32_e32 v105, v3, v105
	v_add_f32_e32 v64, v64, v65
	v_add3_u32 v65, v66, v63, 0x7fff
	v_or_b32_e32 v66, 0x400000, v63
	v_bfe_u32 v107, v61, 16, 1
	v_mul_f32_e32 v62, v2, v62
	v_mul_f32_e32 v104, v6, v104
	v_lshlrev_b32_e32 v108, 16, v108
	v_cndmask_b32_e32 v63, v65, v66, vcc_lo
	v_add3_u32 v65, v107, v61, 0x7fff
	v_or_b32_e32 v66, 0x400000, v61
	v_bfe_u32 v107, v62, 16, 1
	v_cmp_u_f32_e32 vcc_lo, v61, v61
	v_mul_f32_e32 v106, v7, v106
	v_mul_f32_e32 v108, v4, v108
	v_or_b32_e32 v110, 0x400000, v104
	v_and_b32_e32 v63, 0xffff0000, v63
	v_cndmask_b32_e32 v61, v65, v66, vcc_lo
	v_add3_u32 v65, v107, v62, 0x7fff
	v_or_b32_e32 v66, 0x400000, v62
	v_bfe_u32 v107, v109, 16, 1
	v_cmp_u_f32_e32 vcc_lo, v62, v62
	v_bfe_u32 v111, v108, 16, 1
	v_and_b32_e32 v61, 0xffff0000, v61
	v_add_f32_e32 v60, v64, v60
	v_lshlrev_b32_e32 v101, 16, v101
	v_cndmask_b32_e32 v62, v65, v66, vcc_lo
	v_add3_u32 v65, v107, v109, 0x7fff
	v_or_b32_e32 v66, 0x400000, v109
	v_bfe_u32 v107, v105, 16, 1
	v_cmp_u_f32_e32 vcc_lo, v109, v109
	v_or_b32_e32 v109, 0x400000, v105
	v_and_b32_e32 v62, 0xffff0000, v62
	v_add_f32_e32 v61, v61, v63
	v_add3_u32 v107, v107, v105, 0x7fff
	v_cndmask_b32_e32 v65, v65, v66, vcc_lo
	v_bfe_u32 v66, v104, 16, 1
	v_cmp_u_f32_e32 vcc_lo, v105, v105
	v_add_f32_e32 v28, v28, v60
	v_lshlrev_b32_e32 v96, 16, v96
	v_and_b32_e32 v65, 0xffff0000, v65
	v_add3_u32 v66, v66, v104, 0x7fff
	v_cndmask_b32_e32 v105, v107, v109, vcc_lo
	v_cmp_u_f32_e32 vcc_lo, v104, v104
	v_bfe_u32 v107, v106, 16, 1
	v_add3_u32 v104, v111, v108, 0x7fff
	v_or_b32_e32 v109, 0x400000, v108
	v_add_f32_e32 v62, v65, v62
	v_cndmask_b32_e32 v66, v66, v110, vcc_lo
	v_add3_u32 v107, v107, v106, 0x7fff
	v_or_b32_e32 v110, 0x400000, v106
	v_cmp_u_f32_e32 vcc_lo, v106, v106
	v_and_b32_e32 v65, 0xffff0000, v105
	v_and_b32_e32 v63, 0xffff0000, v66
	v_add_f32_e32 v61, v62, v61
	v_lshlrev_b32_e32 v97, 16, v97
	v_cndmask_b32_e32 v66, v107, v110, vcc_lo
	v_cmp_u_f32_e32 vcc_lo, v108, v108
	v_add_f32_e32 v62, v63, v65
	v_lshlrev_b32_e32 v63, 16, v103
	v_lshlrev_b32_e32 v93, 16, v93
	v_and_b32_e32 v65, 0xffff0000, v66
	v_cndmask_b32_e32 v104, v104, v109, vcc_lo
	v_lshlrev_b32_e32 v66, 16, v102
	v_mul_f32_e32 v63, v1, v63
	v_add_f32_e32 v61, v62, v61
	v_mul_f32_e32 v93, v8, v93
	v_and_b32_e32 v102, 0xffff0000, v104
	v_mul_f32_e32 v62, v5, v66
	v_bfe_u32 v66, v63, 16, 1
	v_cmp_u_f32_e32 vcc_lo, v63, v63
	v_lshlrev_b32_e32 v89, 16, v89
	v_add_f32_e32 v64, v65, v102
	v_lshlrev_b32_e32 v65, 16, v99
	v_bfe_u32 v60, v62, 16, 1
	v_or_b32_e32 v99, 0x400000, v62
	v_mul_f32_e32 v89, v3, v89
	v_add_f32_e32 v61, v64, v61
	v_mul_f32_e32 v64, v2, v65
	v_add3_u32 v65, v66, v63, 0x7fff
	v_or_b32_e32 v66, 0x400000, v63
	v_add3_u32 v60, v60, v62, 0x7fff
	v_lshlrev_b32_e32 v88, 16, v88
	v_bfe_u32 v102, v64, 16, 1
	v_lshlrev_b32_e32 v90, 16, v90
	v_cndmask_b32_e32 v63, v65, v66, vcc_lo
	v_cmp_u_f32_e32 vcc_lo, v62, v62
	v_mul_f32_e32 v62, v8, v101
	v_add3_u32 v65, v102, v64, 0x7fff
	v_or_b32_e32 v66, 0x400000, v64
	v_and_b32_e32 v63, 0xffff0000, v63
	v_cndmask_b32_e32 v60, v60, v99, vcc_lo
	v_cmp_u_f32_e32 vcc_lo, v64, v64
	v_bfe_u32 v99, v62, 16, 1
	v_mul_f32_e32 v88, v6, v88
	v_lshlrev_b32_e32 v92, 16, v92
	v_and_b32_e32 v60, 0xffff0000, v60
	v_cndmask_b32_e32 v64, v65, v66, vcc_lo
	v_mul_f32_e32 v65, v3, v96
	v_mul_f32_e32 v66, v6, v97
	v_add3_u32 v96, v99, v62, 0x7fff
	v_or_b32_e32 v97, 0x400000, v62
	v_lshlrev_b32_e32 v99, 16, v100
	v_bfe_u32 v100, v65, 16, 1
	v_cmp_u_f32_e32 vcc_lo, v62, v62
	v_bfe_u32 v101, v66, 16, 1
	v_and_b32_e32 v64, 0xffff0000, v64
	v_add_f32_e32 v60, v60, v63
	v_mul_f32_e32 v90, v7, v90
	v_cndmask_b32_e32 v62, v96, v97, vcc_lo
	v_mul_f32_e32 v96, v4, v99
	v_add3_u32 v97, v100, v65, 0x7fff
	v_or_b32_e32 v99, 0x400000, v65
	v_cmp_u_f32_e32 vcc_lo, v65, v65
	v_add3_u32 v100, v101, v66, 0x7fff
	v_or_b32_e32 v101, 0x400000, v66
	v_bfe_u32 v102, v96, 16, 1
	v_and_b32_e32 v62, 0xffff0000, v62
	v_cndmask_b32_e32 v65, v97, v99, vcc_lo
	v_lshlrev_b32_e32 v97, 16, v98
	v_cmp_u_f32_e32 vcc_lo, v66, v66
	v_add3_u32 v98, v102, v96, 0x7fff
	v_or_b32_e32 v99, 0x400000, v96
	v_add_f32_e32 v62, v62, v64
	v_mul_f32_e32 v97, v7, v97
	v_cndmask_b32_e32 v66, v100, v101, vcc_lo
	v_cmp_u_f32_e32 vcc_lo, v96, v96
	v_lshlrev_b32_e32 v64, 16, v95
	v_and_b32_e32 v65, 0xffff0000, v65
	v_or_b32_e32 v95, 0x400000, v97
	v_and_b32_e32 v63, 0xffff0000, v66
	v_cndmask_b32_e32 v96, v98, v99, vcc_lo
	v_bfe_u32 v98, v97, 16, 1
	v_add_f32_e32 v60, v62, v60
	v_mul_f32_e32 v62, v1, v64
	v_add_f32_e32 v63, v63, v65
	v_lshlrev_b32_e32 v64, 16, v94
	v_add3_u32 v66, v98, v97, 0x7fff
	v_cmp_u_f32_e32 vcc_lo, v97, v97
	v_mul_f32_e32 v92, v4, v92
	v_add_f32_e32 v60, v63, v60
	v_mul_f32_e32 v63, v5, v64
	v_lshlrev_b32_e32 v64, 16, v91
	v_cndmask_b32_e32 v65, v66, v95, vcc_lo
	v_bfe_u32 v66, v62, 16, 1
	v_or_b32_e32 v91, 0x400000, v62
	v_bfe_u32 v94, v63, 16, 1
	v_mul_f32_e32 v64, v2, v64
	v_cmp_u_f32_e32 vcc_lo, v62, v62
	v_add3_u32 v66, v66, v62, 0x7fff
	v_or_b32_e32 v95, 0x400000, v88
	v_bfe_u32 v98, v90, 16, 1
	v_bfe_u32 v97, v92, 16, 1
	v_and_b32_e32 v65, 0xffff0000, v65
	v_cndmask_b32_e32 v62, v66, v91, vcc_lo
	v_add3_u32 v66, v94, v63, 0x7fff
	v_or_b32_e32 v91, 0x400000, v63
	v_bfe_u32 v94, v64, 16, 1
	v_cmp_u_f32_e32 vcc_lo, v63, v63
	v_and_b32_e32 v62, 0xffff0000, v62
	v_lshlrev_b32_e32 v87, 16, v87
	v_lshlrev_b32_e32 v86, 16, v86
	v_add_f32_e32 v29, v29, v61
	v_cndmask_b32_e32 v63, v66, v91, vcc_lo
	v_add3_u32 v66, v94, v64, 0x7fff
	v_or_b32_e32 v91, 0x400000, v64
	v_bfe_u32 v94, v93, 16, 1
	v_cmp_u_f32_e32 vcc_lo, v64, v64
	v_and_b32_e32 v63, 0xffff0000, v63
	v_lshlrev_b32_e32 v0, 16, v0
	v_lshlrev_b32_e32 v22, 16, v22
	v_lshlrev_b32_e32 v23, 16, v23
	v_cndmask_b32_e32 v64, v66, v91, vcc_lo
	v_add3_u32 v66, v94, v93, 0x7fff
	v_or_b32_e32 v91, 0x400000, v93
	v_bfe_u32 v94, v89, 16, 1
	v_cmp_u_f32_e32 vcc_lo, v93, v93
	v_and_b32_e32 v64, 0xffff0000, v64
	v_add_f32_e32 v62, v63, v62
	v_mul_f32_e32 v0, v3, v0
	v_add3_u32 v93, v94, v89, 0x7fff
	v_cndmask_b32_e32 v66, v66, v91, vcc_lo
	v_bfe_u32 v91, v88, 16, 1
	v_or_b32_e32 v94, 0x400000, v89
	v_cmp_u_f32_e32 vcc_lo, v89, v89
	v_mul_f32_e32 v22, v6, v22
	v_and_b32_e32 v66, 0xffff0000, v66
	v_add3_u32 v91, v91, v88, 0x7fff
	v_mul_f32_e32 v23, v7, v23
	v_cndmask_b32_e32 v89, v93, v94, vcc_lo
	v_cmp_u_f32_e32 vcc_lo, v88, v88
	v_add3_u32 v93, v98, v90, 0x7fff
	v_or_b32_e32 v94, 0x400000, v90
	v_add_f32_e32 v63, v66, v64
	v_and_b32_e32 v66, 0xffff0000, v89
	v_cndmask_b32_e32 v88, v91, v95, vcc_lo
	v_cmp_u_f32_e32 vcc_lo, v90, v90
	v_add3_u32 v91, v97, v92, 0x7fff
	v_or_b32_e32 v95, 0x400000, v92
	v_and_b32_e32 v89, 0xffff0000, v96
	v_and_b32_e32 v64, 0xffff0000, v88
	v_cndmask_b32_e32 v90, v93, v94, vcc_lo
	v_cmp_u_f32_e32 vcc_lo, v92, v92
	v_add_f32_e32 v62, v63, v62
	v_add_f32_e32 v65, v65, v89
	;; [unrolled: 1-line block ×3, first 2 shown]
	v_and_b32_e32 v64, 0xffff0000, v90
	v_cndmask_b32_e32 v88, v91, v95, vcc_lo
	v_lshlrev_b32_e32 v77, 16, v77
	v_add_f32_e32 v60, v65, v60
	v_add_f32_e32 v62, v63, v62
	v_mul_f32_e32 v65, v5, v86
	v_and_b32_e32 v66, 0xffff0000, v88
	v_lshlrev_b32_e32 v59, 16, v59
	v_add_f32_e32 v30, v30, v60
	v_lshlrev_b32_e32 v58, 16, v58
	v_bfe_u32 v60, v65, 16, 1
	v_add_f32_e32 v63, v64, v66
	v_mul_f32_e32 v64, v1, v87
	v_or_b32_e32 v66, 0x400000, v65
	v_mul_f32_e32 v59, v1, v59
	v_add3_u32 v60, v60, v65, 0x7fff
	v_add_f32_e32 v61, v63, v62
	v_bfe_u32 v62, v64, 16, 1
	v_lshlrev_b32_e32 v63, 16, v83
	v_lshlrev_b32_e32 v83, 16, v85
	v_cmp_u_f32_e32 vcc_lo, v64, v64
	v_add_f32_e32 v31, v31, v61
	v_add3_u32 v61, v62, v64, 0x7fff
	v_or_b32_e32 v62, 0x400000, v64
	v_mul_f32_e32 v63, v2, v63
	v_mul_f32_e32 v64, v8, v83
	v_lshlrev_b32_e32 v83, 16, v84
	v_bfe_u32 v84, v22, 16, 1
	v_cndmask_b32_e32 v61, v61, v62, vcc_lo
	v_bfe_u32 v62, v63, 16, 1
	v_cmp_u_f32_e32 vcc_lo, v65, v65
	v_or_b32_e32 v65, 0x400000, v63
	v_mul_f32_e32 v58, v5, v58
	v_and_b32_e32 v61, 0xffff0000, v61
	v_add3_u32 v62, v62, v63, 0x7fff
	v_cndmask_b32_e32 v60, v60, v66, vcc_lo
	v_bfe_u32 v66, v64, 16, 1
	v_cmp_u_f32_e32 vcc_lo, v63, v63
	v_lshlrev_b32_e32 v55, 16, v55
	v_lshlrev_b32_e32 v57, 16, v57
	v_and_b32_e32 v60, 0xffff0000, v60
	v_add3_u32 v63, v66, v64, 0x7fff
	v_cndmask_b32_e32 v62, v62, v65, vcc_lo
	v_or_b32_e32 v65, 0x400000, v64
	v_bfe_u32 v66, v0, 16, 1
	v_cmp_u_f32_e32 vcc_lo, v64, v64
	v_add_f32_e32 v60, v60, v61
	v_and_b32_e32 v62, 0xffff0000, v62
	v_mul_f32_e32 v55, v2, v55
	v_add3_u32 v64, v66, v0, 0x7fff
	v_cndmask_b32_e32 v63, v63, v65, vcc_lo
	v_mul_f32_e32 v65, v4, v83
	v_or_b32_e32 v66, 0x400000, v0
	v_cmp_u_f32_e32 vcc_lo, v0, v0
	v_add3_u32 v83, v84, v22, 0x7fff
	v_or_b32_e32 v84, 0x400000, v22
	v_bfe_u32 v85, v65, 16, 1
	v_and_b32_e32 v63, 0xffff0000, v63
	v_cndmask_b32_e32 v0, v64, v66, vcc_lo
	v_cmp_u_f32_e32 vcc_lo, v22, v22
	v_or_b32_e32 v66, 0x400000, v65
	v_add3_u32 v64, v85, v65, 0x7fff
	v_add_f32_e32 v61, v63, v62
	v_lshlrev_b32_e32 v62, 16, v82
	v_cndmask_b32_e32 v22, v83, v84, vcc_lo
	v_bfe_u32 v83, v23, 16, 1
	v_cmp_u_f32_e32 vcc_lo, v65, v65
	v_and_b32_e32 v0, 0xffff0000, v0
	v_lshlrev_b32_e32 v63, 16, v81
	v_and_b32_e32 v22, 0xffff0000, v22
	v_add3_u32 v65, v83, v23, 0x7fff
	v_cndmask_b32_e32 v64, v64, v66, vcc_lo
	v_or_b32_e32 v66, 0x400000, v23
	v_cmp_u_f32_e32 vcc_lo, v23, v23
	v_add_f32_e32 v60, v61, v60
	v_mul_f32_e32 v61, v1, v62
	v_add_f32_e32 v0, v22, v0
	v_mul_f32_e32 v22, v5, v63
	v_cndmask_b32_e32 v23, v65, v66, vcc_lo
	v_and_b32_e32 v62, 0xffff0000, v64
	v_bfe_u32 v63, v61, 16, 1
	v_add_f32_e32 v0, v0, v60
	v_bfe_u32 v60, v22, 16, 1
	v_and_b32_e32 v23, 0xffff0000, v23
	v_lshlrev_b32_e32 v64, 16, v78
	v_cmp_u_f32_e32 vcc_lo, v61, v61
	v_or_b32_e32 v65, 0x400000, v22
	v_add3_u32 v60, v60, v22, 0x7fff
	v_add_f32_e32 v23, v23, v62
	v_add3_u32 v62, v63, v61, 0x7fff
	v_or_b32_e32 v63, 0x400000, v61
	v_mul_f32_e32 v64, v2, v64
	v_lshlrev_b32_e32 v66, 16, v80
	v_add_f32_e32 v0, v23, v0
	v_mul_f32_e32 v57, v8, v57
	v_cndmask_b32_e32 v61, v62, v63, vcc_lo
	v_cmp_u_f32_e32 vcc_lo, v22, v22
	v_bfe_u32 v62, v64, 16, 1
	v_lshlrev_b32_e32 v63, 16, v75
	v_add_f32_e32 v32, v32, v0
	v_and_b32_e32 v61, 0xffff0000, v61
	v_cndmask_b32_e32 v22, v60, v65, vcc_lo
	v_mul_f32_e32 v60, v8, v66
	v_add3_u32 v62, v62, v64, 0x7fff
	v_or_b32_e32 v65, 0x400000, v64
	v_lshlrev_b32_e32 v66, 16, v76
	v_mul_f32_e32 v63, v3, v63
	v_bfe_u32 v75, v60, 16, 1
	v_cmp_u_f32_e32 vcc_lo, v64, v64
	v_lshlrev_b32_e32 v76, 16, v79
	v_mul_f32_e32 v64, v6, v66
	v_or_b32_e32 v66, 0x400000, v60
	v_and_b32_e32 v22, 0xffff0000, v22
	v_cndmask_b32_e32 v62, v62, v65, vcc_lo
	v_add3_u32 v65, v75, v60, 0x7fff
	v_bfe_u32 v75, v63, 16, 1
	v_cmp_u_f32_e32 vcc_lo, v60, v60
	v_bfe_u32 v78, v64, 16, 1
	v_and_b32_e32 v62, 0xffff0000, v62
	v_add_f32_e32 v22, v22, v61
	v_lshlrev_b32_e32 v52, 16, v52
	v_cndmask_b32_e32 v60, v65, v66, vcc_lo
	v_add3_u32 v65, v75, v63, 0x7fff
	v_mul_f32_e32 v66, v4, v76
	v_or_b32_e32 v75, 0x400000, v63
	v_cmp_u_f32_e32 vcc_lo, v63, v63
	v_add3_u32 v76, v78, v64, 0x7fff
	v_or_b32_e32 v78, 0x400000, v64
	v_bfe_u32 v79, v66, 16, 1
	v_and_b32_e32 v60, 0xffff0000, v60
	v_cndmask_b32_e32 v63, v65, v75, vcc_lo
	v_mul_f32_e32 v65, v7, v77
	v_cmp_u_f32_e32 vcc_lo, v64, v64
	v_add3_u32 v75, v79, v66, 0x7fff
	v_add_f32_e32 v60, v60, v62
	v_and_b32_e32 v62, 0xffff0000, v63
	v_bfe_u32 v77, v65, 16, 1
	v_cndmask_b32_e32 v64, v76, v78, vcc_lo
	v_or_b32_e32 v76, 0x400000, v66
	v_cmp_u_f32_e32 vcc_lo, v66, v66
	v_add_f32_e32 v22, v60, v22
	v_lshlrev_b32_e32 v60, 16, v74
	v_and_b32_e32 v61, 0xffff0000, v64
	v_lshlrev_b32_e32 v53, 16, v53
	v_cndmask_b32_e32 v66, v75, v76, vcc_lo
	v_add3_u32 v75, v77, v65, 0x7fff
	v_or_b32_e32 v76, 0x400000, v65
	v_cmp_u_f32_e32 vcc_lo, v65, v65
	v_add_f32_e32 v61, v61, v62
	v_lshlrev_b32_e32 v62, 16, v73
	v_and_b32_e32 v64, 0xffff0000, v66
	v_mul_f32_e32 v60, v1, v60
	v_cndmask_b32_e32 v63, v75, v76, vcc_lo
	v_add_f32_e32 v22, v61, v22
	v_mul_f32_e32 v23, v5, v62
	v_lshlrev_b32_e32 v65, 16, v72
	v_bfe_u32 v62, v60, 16, 1
	v_and_b32_e32 v63, 0xffff0000, v63
	v_cmp_u_f32_e32 vcc_lo, v60, v60
	v_mul_f32_e32 v52, v3, v52
	v_mul_f32_e32 v53, v6, v53
	v_lshlrev_b32_e32 v56, 16, v56
	v_add_f32_e32 v61, v63, v64
	v_bfe_u32 v63, v23, 16, 1
	v_lshlrev_b32_e32 v64, 16, v70
	v_lshlrev_b32_e32 v54, 16, v54
	v_mul_f32_e32 v56, v4, v56
	v_add_f32_e32 v0, v61, v22
	v_add3_u32 v22, v62, v60, 0x7fff
	v_or_b32_e32 v61, 0x400000, v60
	v_add3_u32 v62, v63, v23, 0x7fff
	v_mul_f32_e32 v63, v2, v64
	v_or_b32_e32 v64, 0x400000, v23
	v_mul_f32_e32 v54, v7, v54
	v_cndmask_b32_e32 v22, v22, v61, vcc_lo
	v_cmp_u_f32_e32 vcc_lo, v23, v23
	v_bfe_u32 v60, v63, 16, 1
	v_mul_f32_e32 v61, v8, v65
	v_lshlrev_b32_e32 v65, 16, v68
	v_and_b32_e32 v22, 0xffff0000, v22
	v_cndmask_b32_e32 v23, v62, v64, vcc_lo
	v_lshlrev_b32_e32 v62, 16, v67
	v_add3_u32 v60, v60, v63, 0x7fff
	v_or_b32_e32 v64, 0x400000, v63
	v_bfe_u32 v66, v61, 16, 1
	v_cmp_u_f32_e32 vcc_lo, v63, v63
	v_mul_f32_e32 v62, v3, v62
	v_mul_f32_e32 v63, v6, v65
	v_or_b32_e32 v65, 0x400000, v61
	v_lshlrev_b32_e32 v67, 16, v71
	v_cndmask_b32_e32 v60, v60, v64, vcc_lo
	v_add3_u32 v64, v66, v61, 0x7fff
	v_bfe_u32 v66, v62, 16, 1
	v_bfe_u32 v68, v63, 16, 1
	v_cmp_u_f32_e32 vcc_lo, v61, v61
	v_and_b32_e32 v23, 0xffff0000, v23
	v_and_b32_e32 v60, 0xffff0000, v60
	v_lshlrev_b32_e32 v51, 16, v51
	v_lshlrev_b32_e32 v50, 16, v50
	v_cndmask_b32_e32 v61, v64, v65, vcc_lo
	v_add3_u32 v64, v66, v62, 0x7fff
	v_mul_f32_e32 v65, v4, v67
	v_or_b32_e32 v66, 0x400000, v62
	v_add3_u32 v67, v68, v63, 0x7fff
	v_lshlrev_b32_e32 v68, 16, v69
	v_cmp_u_f32_e32 vcc_lo, v62, v62
	v_or_b32_e32 v69, 0x400000, v63
	v_bfe_u32 v70, v65, 16, 1
	v_and_b32_e32 v61, 0xffff0000, v61
	v_add_f32_e32 v22, v23, v22
	v_cndmask_b32_e32 v62, v64, v66, vcc_lo
	v_mul_f32_e32 v64, v7, v68
	v_cmp_u_f32_e32 vcc_lo, v63, v63
	v_add3_u32 v66, v70, v65, 0x7fff
	v_add_f32_e32 v23, v61, v60
	v_and_b32_e32 v61, 0xffff0000, v62
	v_bfe_u32 v68, v64, 16, 1
	v_cndmask_b32_e32 v63, v67, v69, vcc_lo
	v_or_b32_e32 v67, 0x400000, v65
	v_cmp_u_f32_e32 vcc_lo, v65, v65
	v_add_f32_e32 v22, v23, v22
	v_mul_f32_e32 v51, v1, v51
	v_and_b32_e32 v60, 0xffff0000, v63
	v_bfe_u32 v63, v58, 16, 1
	v_cndmask_b32_e32 v65, v66, v67, vcc_lo
	v_add3_u32 v66, v68, v64, 0x7fff
	v_or_b32_e32 v67, 0x400000, v64
	v_cmp_u_f32_e32 vcc_lo, v64, v64
	v_add_f32_e32 v23, v60, v61
	v_and_b32_e32 v61, 0xffff0000, v65
	v_bfe_u32 v64, v55, 16, 1
	v_lshlrev_b32_e32 v47, 16, v47
	v_cndmask_b32_e32 v62, v66, v67, vcc_lo
	v_add_f32_e32 v22, v23, v22
	v_cmp_u_f32_e32 vcc_lo, v59, v59
	v_mul_f32_e32 v50, v5, v50
	v_mul_f32_e32 v47, v2, v47
	v_and_b32_e32 v60, 0xffff0000, v62
	v_bfe_u32 v62, v59, 16, 1
	v_lshlrev_b32_e32 v49, 16, v49
	v_lshlrev_b32_e32 v45, 16, v45
	;; [unrolled: 1-line block ×3, first 2 shown]
	v_add_f32_e32 v23, v60, v61
	v_add3_u32 v60, v62, v59, 0x7fff
	v_or_b32_e32 v61, 0x400000, v59
	v_add3_u32 v62, v63, v58, 0x7fff
	v_or_b32_e32 v63, 0x400000, v58
	v_mul_f32_e32 v49, v8, v49
	v_mul_f32_e32 v45, v3, v45
	v_cndmask_b32_e32 v59, v60, v61, vcc_lo
	v_cmp_u_f32_e32 vcc_lo, v58, v58
	v_add3_u32 v60, v64, v55, 0x7fff
	v_or_b32_e32 v61, 0x400000, v55
	v_bfe_u32 v64, v56, 16, 1
	v_and_b32_e32 v59, 0xffff0000, v59
	v_cndmask_b32_e32 v58, v62, v63, vcc_lo
	v_bfe_u32 v62, v57, 16, 1
	v_cmp_u_f32_e32 vcc_lo, v55, v55
	v_bfe_u32 v63, v53, 16, 1
	v_lshlrev_b32_e32 v48, 16, v48
	v_and_b32_e32 v58, 0xffff0000, v58
	v_mul_f32_e32 v44, v6, v44
	v_cndmask_b32_e32 v55, v60, v61, vcc_lo
	v_add3_u32 v60, v62, v57, 0x7fff
	v_or_b32_e32 v61, 0x400000, v57
	v_bfe_u32 v62, v52, 16, 1
	v_cmp_u_f32_e32 vcc_lo, v57, v57
	v_and_b32_e32 v55, 0xffff0000, v55
	v_add_f32_e32 v58, v58, v59
	v_or_b32_e32 v59, 0x400000, v54
	v_mul_f32_e32 v48, v4, v48
	v_cndmask_b32_e32 v57, v60, v61, vcc_lo
	v_add3_u32 v60, v62, v52, 0x7fff
	v_or_b32_e32 v61, 0x400000, v52
	v_cmp_u_f32_e32 vcc_lo, v52, v52
	v_add3_u32 v62, v63, v53, 0x7fff
	v_or_b32_e32 v63, 0x400000, v53
	v_and_b32_e32 v57, 0xffff0000, v57
	v_lshlrev_b32_e32 v46, 16, v46
	v_cndmask_b32_e32 v52, v60, v61, vcc_lo
	v_cmp_u_f32_e32 vcc_lo, v53, v53
	v_add3_u32 v60, v64, v56, 0x7fff
	v_or_b32_e32 v61, 0x400000, v56
	v_add_f32_e32 v55, v57, v55
	v_and_b32_e32 v52, 0xffff0000, v52
	v_cndmask_b32_e32 v53, v62, v63, vcc_lo
	v_cmp_u_f32_e32 vcc_lo, v56, v56
	v_mul_f32_e32 v46, v7, v46
	v_add_f32_e32 v55, v55, v58
	v_or_b32_e32 v58, 0x400000, v47
	v_and_b32_e32 v53, 0xffff0000, v53
	v_cndmask_b32_e32 v56, v60, v61, vcc_lo
	v_bfe_u32 v60, v54, 16, 1
	v_cmp_u_f32_e32 vcc_lo, v54, v54
	v_lshlrev_b32_e32 v21, 16, v21
	v_add_f32_e32 v52, v53, v52
	v_lshlrev_b32_e32 v20, 16, v20
	v_add3_u32 v57, v60, v54, 0x7fff
	v_bfe_u32 v54, v51, 16, 1
	v_mul_f32_e32 v5, v5, v21
	v_add_f32_e32 v52, v52, v55
	v_or_b32_e32 v55, 0x400000, v51
	v_cndmask_b32_e32 v53, v57, v59, vcc_lo
	v_add3_u32 v54, v54, v51, 0x7fff
	v_bfe_u32 v57, v50, 16, 1
	v_cmp_u_f32_e32 vcc_lo, v51, v51
	v_mul_f32_e32 v1, v1, v20
	v_lshlrev_b32_e32 v18, 16, v18
	v_lshlrev_b32_e32 v17, 16, v17
	;; [unrolled: 1-line block ×3, first 2 shown]
	v_cndmask_b32_e32 v51, v54, v55, vcc_lo
	v_bfe_u32 v54, v47, 16, 1
	v_add3_u32 v55, v57, v50, 0x7fff
	v_or_b32_e32 v57, 0x400000, v50
	v_cmp_u_f32_e32 vcc_lo, v50, v50
	v_and_b32_e32 v51, 0xffff0000, v51
	v_add3_u32 v54, v54, v47, 0x7fff
	v_mul_f32_e32 v8, v8, v18
	v_mul_f32_e32 v2, v2, v17
	v_cndmask_b32_e32 v50, v55, v57, vcc_lo
	v_bfe_u32 v55, v49, 16, 1
	v_cmp_u_f32_e32 vcc_lo, v47, v47
	v_or_b32_e32 v57, 0x400000, v49
	v_mul_f32_e32 v6, v6, v16
	v_and_b32_e32 v50, 0xffff0000, v50
	v_add3_u32 v55, v55, v49, 0x7fff
	v_cndmask_b32_e32 v47, v54, v58, vcc_lo
	v_bfe_u32 v54, v45, 16, 1
	v_cmp_u_f32_e32 vcc_lo, v49, v49
	v_or_b32_e32 v58, 0x400000, v45
	v_add_f32_e32 v50, v50, v51
	v_and_b32_e32 v47, 0xffff0000, v47
	v_add3_u32 v54, v54, v45, 0x7fff
	v_cndmask_b32_e32 v49, v55, v57, vcc_lo
	v_bfe_u32 v55, v44, 16, 1
	v_cmp_u_f32_e32 vcc_lo, v45, v45
	v_bfe_u32 v57, v48, 16, 1
	v_lshlrev_b32_e32 v10, 16, v10
	v_and_b32_e32 v49, 0xffff0000, v49
	v_and_b32_e32 v53, 0xffff0000, v53
	v_cndmask_b32_e32 v45, v54, v58, vcc_lo
	v_add3_u32 v54, v55, v44, 0x7fff
	v_or_b32_e32 v55, 0x400000, v44
	v_cmp_u_f32_e32 vcc_lo, v44, v44
	v_add3_u32 v57, v57, v48, 0x7fff
	v_or_b32_e32 v58, 0x400000, v48
	v_add_f32_e32 v47, v49, v47
	v_and_b32_e32 v45, 0xffff0000, v45
	v_cndmask_b32_e32 v44, v54, v55, vcc_lo
	v_cmp_u_f32_e32 vcc_lo, v48, v48
	v_bfe_u32 v54, v46, 16, 1
	v_or_b32_e32 v55, 0x400000, v46
	v_mul_f32_e32 v3, v3, v10
	v_and_b32_e32 v44, 0xffff0000, v44
	v_cndmask_b32_e32 v48, v57, v58, vcc_lo
	v_add3_u32 v54, v54, v46, 0x7fff
	v_cmp_u_f32_e32 vcc_lo, v46, v46
	v_add_f32_e32 v46, v47, v50
	v_bfe_u32 v47, v5, 16, 1
	v_add_f32_e32 v44, v44, v45
	v_or_b32_e32 v45, 0x400000, v5
	v_cndmask_b32_e32 v21, v54, v55, vcc_lo
	v_cmp_u_f32_e32 vcc_lo, v5, v5
	v_lshlrev_b32_e32 v10, 16, v19
	v_lshlrev_b32_e32 v19, 16, v112
	v_and_b32_e32 v56, 0xffff0000, v56
	v_and_b32_e32 v20, 0xffff0000, v21
	v_add3_u32 v21, v47, v5, 0x7fff
	v_bfe_u32 v47, v1, 16, 1
	v_mul_f32_e32 v7, v7, v10
	v_mul_f32_e32 v4, v4, v19
	v_or_b32_e32 v10, 0x400000, v6
	v_cndmask_b32_e32 v5, v21, v45, vcc_lo
	v_add3_u32 v18, v47, v1, 0x7fff
	v_or_b32_e32 v21, 0x400000, v1
	v_bfe_u32 v45, v8, 16, 1
	v_cmp_u_f32_e32 vcc_lo, v1, v1
	v_bfe_u32 v19, v7, 16, 1
	v_and_b32_e32 v5, 0xffff0000, v5
	v_add_nc_u32_e32 v9, 4, v9
	v_add3_u32 v17, v45, v8, 0x7fff
	v_cndmask_b32_e32 v1, v18, v21, vcc_lo
	v_or_b32_e32 v18, 0x400000, v8
	v_bfe_u32 v21, v2, 16, 1
	v_cmp_u_f32_e32 vcc_lo, v8, v8
	v_add_f32_e32 v33, v33, v0
	v_and_b32_e32 v1, 0xffff0000, v1
	v_add_co_u32 v14, s0, v14, 16
	v_cndmask_b32_e32 v8, v17, v18, vcc_lo
	v_add3_u32 v16, v21, v2, 0x7fff
	v_or_b32_e32 v17, 0x400000, v2
	v_bfe_u32 v18, v6, 16, 1
	v_cmp_u_f32_e32 vcc_lo, v2, v2
	v_bfe_u32 v21, v4, 16, 1
	v_and_b32_e32 v8, 0xffff0000, v8
	v_add_f32_e32 v1, v5, v1
	v_add_nc_u32_e32 v37, 0x80, v37
	v_cndmask_b32_e32 v2, v16, v17, vcc_lo
	v_bfe_u32 v16, v3, 16, 1
	v_add3_u32 v17, v18, v6, 0x7fff
	v_cmp_u_f32_e32 vcc_lo, v6, v6
	v_or_b32_e32 v18, 0x400000, v3
	v_and_b32_e32 v2, 0xffff0000, v2
	v_add3_u32 v16, v16, v3, 0x7fff
	v_add_nc_u32_e32 v38, 0x200, v38
	v_cndmask_b32_e32 v6, v17, v10, vcc_lo
	v_cmp_u_f32_e32 vcc_lo, v3, v3
	v_or_b32_e32 v17, 0x400000, v4
	v_add3_u32 v10, v19, v7, 0x7fff
	v_add_f32_e32 v2, v8, v2
	v_and_b32_e32 v5, 0xffff0000, v6
	v_cndmask_b32_e32 v3, v16, v18, vcc_lo
	v_add3_u32 v16, v21, v4, 0x7fff
	v_cmp_u_f32_e32 vcc_lo, v4, v4
	v_or_b32_e32 v18, 0x400000, v7
	v_add_f32_e32 v1, v2, v1
	v_and_b32_e32 v3, 0xffff0000, v3
	v_add_co_ci_u32_e64 v15, null, 0, v15, s0
	v_cndmask_b32_e32 v4, v16, v17, vcc_lo
	v_cmp_u_f32_e32 vcc_lo, v7, v7
	v_and_b32_e32 v7, 0xffff0000, v48
	v_add_f32_e32 v2, v5, v3
	v_add_f32_e32 v5, v53, v56
	v_and_b32_e32 v3, 0xffff0000, v4
	v_cndmask_b32_e32 v6, v10, v18, vcc_lo
	v_add_f32_e32 v7, v20, v7
	v_add_f32_e32 v1, v2, v1
	v_cmp_le_i32_e32 vcc_lo, s11, v9
	v_and_b32_e32 v4, 0xffff0000, v6
	v_add_f32_e32 v6, v44, v46
	s_or_b32 s12, vcc_lo, s12
	v_add_f32_e32 v2, v4, v3
	v_add_f32_e32 v3, v23, v22
	v_add_f32_e32 v4, v5, v52
	v_add_f32_e32 v0, v7, v6
	v_add_f32_e32 v1, v2, v1
	v_add_f32_e32 v35, v35, v3
	v_add_f32_e32 v36, v36, v4
	v_add_f32_e32 v34, v34, v0
	v_add_f32_e32 v27, v27, v1
	s_andn2_b32 exec_lo, exec_lo, s12
	s_cbranch_execz .LBB388_1249
.LBB388_629:                            ; =>This Inner Loop Header: Depth=1
	global_load_dword v0, v[14:15], off
	s_waitcnt vmcnt(0)
	v_mad_i64_i32 v[16:17], null, v0, s3, v[12:13]
	v_mov_b32_e32 v0, 0
	global_load_dwordx2 v[18:19], v[16:17], off
	ds_read2_b64 v[5:8], v38 offset1:1
	ds_read2_b64 v[1:4], v38 offset0:2 offset1:3
	s_waitcnt vmcnt(0)
	v_cmp_ne_u16_sdwa s13, v18, v11 src0_sel:BYTE_0 src1_sel:DWORD
	s_and_saveexec_b32 s0, s13
	s_cbranch_execz .LBB388_635
; %bb.630:                              ;   in Loop: Header=BB388_629 Depth=1
	v_cmp_ne_u16_sdwa s14, v18, v39 src0_sel:BYTE_0 src1_sel:DWORD
	v_bfrev_b32_e32 v0, 1
	s_and_saveexec_b32 s13, s14
	s_cbranch_execz .LBB388_634
; %bb.631:                              ;   in Loop: Header=BB388_629 Depth=1
	v_and_b32_e32 v10, 0x7f, v18
	v_mov_b32_e32 v0, 0x7f800001
	s_mov_b32 s14, exec_lo
	v_cmpx_ne_u32_e32 0x7f, v10
	s_cbranch_execz .LBB388_633
; %bb.632:                              ;   in Loop: Header=BB388_629 Depth=1
	v_and_b32_e32 v0, 7, v18
	v_cmp_gt_u32_e32 vcc_lo, 8, v10
	v_lshrrev_b32_e32 v20, 3, v10
	v_ffbh_u32_e32 v0, v0
	v_min_u32_e32 v0, 32, v0
	v_subrev_nc_u32_e32 v21, 28, v0
	v_sub_nc_u32_e32 v0, 29, v0
	v_cndmask_b32_e32 v10, 0, v21, vcc_lo
	v_cndmask_b32_e32 v0, v20, v0, vcc_lo
	v_lshlrev_b64 v[20:21], v10, v[18:19]
	v_lshlrev_b32_e32 v10, 24, v18
	v_lshl_add_u32 v0, v0, 23, 0x3c000000
	v_and_b32_e32 v10, 0x80000000, v10
	v_lshlrev_b32_e32 v20, 20, v20
	v_and_b32_e32 v20, 0x700000, v20
	v_or3_b32 v0, v20, v10, v0
.LBB388_633:                            ;   in Loop: Header=BB388_629 Depth=1
	s_or_b32 exec_lo, exec_lo, s14
.LBB388_634:                            ;   in Loop: Header=BB388_629 Depth=1
	s_or_b32 exec_lo, exec_lo, s13
.LBB388_635:                            ;   in Loop: Header=BB388_629 Depth=1
	s_or_b32 exec_lo, exec_lo, s0
	v_cmp_ne_u16_sdwa s13, v18, v11 src0_sel:BYTE_1 src1_sel:DWORD
	v_mov_b32_e32 v23, 0
	v_mov_b32_e32 v22, 0
	s_and_saveexec_b32 s0, s13
	s_cbranch_execz .LBB388_643
; %bb.636:                              ;   in Loop: Header=BB388_629 Depth=1
	v_cmp_ne_u16_sdwa s14, v18, v39 src0_sel:BYTE_1 src1_sel:DWORD
	v_bfrev_b32_e32 v22, 1
	s_and_saveexec_b32 s13, s14
	s_cbranch_execz .LBB388_642
; %bb.637:                              ;   in Loop: Header=BB388_629 Depth=1
	v_and_b32_sdwa v10, v40, v18 dst_sel:DWORD dst_unused:UNUSED_PAD src0_sel:DWORD src1_sel:BYTE_1
	v_mov_b32_e32 v22, 0x7f800001
	s_mov_b32 s14, exec_lo
	v_and_b32_e32 v21, 0x7f, v10
	v_cmpx_ne_u32_e32 0x7f, v21
	s_cbranch_execz .LBB388_641
; %bb.638:                              ;   in Loop: Header=BB388_629 Depth=1
	v_and_b32_e32 v10, 7, v10
	v_lshrrev_b32_e32 v20, 3, v21
	s_mov_b32 s15, exec_lo
	v_cmpx_gt_u32_e32 8, v21
; %bb.639:                              ;   in Loop: Header=BB388_629 Depth=1
	v_ffbh_u32_e32 v20, v10
	v_min_u32_e32 v20, 32, v20
	v_subrev_nc_u32_e32 v21, 28, v20
	v_sub_nc_u32_e32 v20, 29, v20
	v_lshlrev_b64 v[21:22], v21, v[10:11]
	v_and_b32_e32 v10, 7, v21
; %bb.640:                              ;   in Loop: Header=BB388_629 Depth=1
	s_or_b32 exec_lo, exec_lo, s15
	v_lshlrev_b32_e32 v21, 16, v18
	v_lshlrev_b32_e32 v10, 20, v10
	v_lshl_add_u32 v20, v20, 23, 0x3c000000
	v_and_b32_e32 v21, 0x80000000, v21
	v_or3_b32 v22, v10, v21, v20
.LBB388_641:                            ;   in Loop: Header=BB388_629 Depth=1
	s_or_b32 exec_lo, exec_lo, s14
.LBB388_642:                            ;   in Loop: Header=BB388_629 Depth=1
	s_or_b32 exec_lo, exec_lo, s13
.LBB388_643:                            ;   in Loop: Header=BB388_629 Depth=1
	s_or_b32 exec_lo, exec_lo, s0
	v_and_b32_sdwa v10, v18, v41 dst_sel:DWORD dst_unused:UNUSED_PAD src0_sel:WORD_1 src1_sel:DWORD
	s_mov_b32 s0, exec_lo
	v_cmpx_ne_u16_e32 0, v10
	s_cbranch_execz .LBB388_651
; %bb.644:                              ;   in Loop: Header=BB388_629 Depth=1
	v_bfrev_b32_e32 v23, 1
	s_mov_b32 s13, exec_lo
	v_cmpx_ne_u16_e32 0x80, v10
	s_cbranch_execz .LBB388_650
; %bb.645:                              ;   in Loop: Header=BB388_629 Depth=1
	v_bfe_u32 v21, v18, 16, 7
	v_mov_b32_e32 v23, 0x7f800001
	s_mov_b32 s14, exec_lo
	v_cmpx_ne_u32_e32 0x7f, v21
	s_cbranch_execz .LBB388_649
; %bb.646:                              ;   in Loop: Header=BB388_629 Depth=1
	v_and_b32_sdwa v10, v18, v42 dst_sel:DWORD dst_unused:UNUSED_PAD src0_sel:WORD_1 src1_sel:DWORD
	v_lshrrev_b32_e32 v20, 3, v21
	s_mov_b32 s15, exec_lo
	v_cmpx_gt_u32_e32 8, v21
; %bb.647:                              ;   in Loop: Header=BB388_629 Depth=1
	v_ffbh_u32_e32 v20, v10
	v_min_u32_e32 v20, 32, v20
	v_subrev_nc_u32_e32 v21, 28, v20
	v_sub_nc_u32_e32 v20, 29, v20
	v_lshlrev_b64 v[44:45], v21, v[10:11]
	v_and_b32_e32 v10, 7, v44
; %bb.648:                              ;   in Loop: Header=BB388_629 Depth=1
	s_or_b32 exec_lo, exec_lo, s15
	v_lshlrev_b32_sdwa v21, v43, v18 dst_sel:DWORD dst_unused:UNUSED_PAD src0_sel:DWORD src1_sel:WORD_1
	v_lshlrev_b32_e32 v10, 20, v10
	v_lshl_add_u32 v20, v20, 23, 0x3c000000
	v_and_b32_e32 v21, 0x80000000, v21
	v_or3_b32 v23, v10, v21, v20
.LBB388_649:                            ;   in Loop: Header=BB388_629 Depth=1
	s_or_b32 exec_lo, exec_lo, s14
.LBB388_650:                            ;   in Loop: Header=BB388_629 Depth=1
	s_or_b32 exec_lo, exec_lo, s13
.LBB388_651:                            ;   in Loop: Header=BB388_629 Depth=1
	s_or_b32 exec_lo, exec_lo, s0
	v_mov_b32_e32 v44, 0
	v_mov_b32_e32 v45, 0
	s_mov_b32 s0, exec_lo
	v_cmpx_lt_u32_e32 0xffffff, v18
	s_cbranch_execz .LBB388_659
; %bb.652:                              ;   in Loop: Header=BB388_629 Depth=1
	v_cmp_ne_u32_sdwa s14, v18, v39 src0_sel:BYTE_3 src1_sel:DWORD
	v_bfrev_b32_e32 v45, 1
	s_and_saveexec_b32 s13, s14
	s_cbranch_execz .LBB388_658
; %bb.653:                              ;   in Loop: Header=BB388_629 Depth=1
	v_bfe_u32 v21, v18, 24, 7
	v_mov_b32_e32 v45, 0x7f800001
	s_mov_b32 s14, exec_lo
	v_cmpx_ne_u32_e32 0x7f, v21
	s_cbranch_execz .LBB388_657
; %bb.654:                              ;   in Loop: Header=BB388_629 Depth=1
	v_and_b32_sdwa v10, v18, v42 dst_sel:DWORD dst_unused:UNUSED_PAD src0_sel:BYTE_3 src1_sel:DWORD
	v_lshrrev_b32_e32 v20, 3, v21
	s_mov_b32 s15, exec_lo
	v_cmpx_gt_u32_e32 8, v21
; %bb.655:                              ;   in Loop: Header=BB388_629 Depth=1
	v_ffbh_u32_e32 v20, v10
	v_min_u32_e32 v20, 32, v20
	v_subrev_nc_u32_e32 v21, 28, v20
	v_sub_nc_u32_e32 v20, 29, v20
	v_lshlrev_b64 v[45:46], v21, v[10:11]
	v_and_b32_e32 v10, 7, v45
; %bb.656:                              ;   in Loop: Header=BB388_629 Depth=1
	s_or_b32 exec_lo, exec_lo, s15
	v_lshlrev_b32_sdwa v21, v43, v18 dst_sel:DWORD dst_unused:UNUSED_PAD src0_sel:DWORD src1_sel:BYTE_3
	v_lshlrev_b32_e32 v10, 20, v10
	v_lshl_add_u32 v20, v20, 23, 0x3c000000
	v_and_b32_e32 v21, 0x80000000, v21
	v_or3_b32 v45, v10, v21, v20
.LBB388_657:                            ;   in Loop: Header=BB388_629 Depth=1
	s_or_b32 exec_lo, exec_lo, s14
.LBB388_658:                            ;   in Loop: Header=BB388_629 Depth=1
	s_or_b32 exec_lo, exec_lo, s13
.LBB388_659:                            ;   in Loop: Header=BB388_629 Depth=1
	s_or_b32 exec_lo, exec_lo, s0
	v_mov_b32_e32 v10, v19
	v_cmp_ne_u16_sdwa s13, v19, v11 src0_sel:BYTE_0 src1_sel:DWORD
	s_and_saveexec_b32 s0, s13
	s_cbranch_execz .LBB388_665
; %bb.660:                              ;   in Loop: Header=BB388_629 Depth=1
	v_cmp_ne_u16_sdwa s14, v19, v39 src0_sel:BYTE_0 src1_sel:DWORD
	v_bfrev_b32_e32 v44, 1
	s_and_saveexec_b32 s13, s14
	s_cbranch_execz .LBB388_664
; %bb.661:                              ;   in Loop: Header=BB388_629 Depth=1
	v_and_b32_e32 v20, 0x7f, v19
	v_mov_b32_e32 v44, 0x7f800001
	s_mov_b32 s14, exec_lo
	v_cmpx_ne_u32_e32 0x7f, v20
	s_cbranch_execz .LBB388_663
; %bb.662:                              ;   in Loop: Header=BB388_629 Depth=1
	v_and_b32_e32 v21, 7, v19
	v_cmp_gt_u32_e32 vcc_lo, 8, v20
	v_lshrrev_b32_e32 v44, 3, v20
	v_ffbh_u32_e32 v21, v21
	v_min_u32_e32 v21, 32, v21
	v_subrev_nc_u32_e32 v46, 28, v21
	v_sub_nc_u32_e32 v21, 29, v21
	v_cndmask_b32_e32 v20, 0, v46, vcc_lo
	v_cndmask_b32_e32 v44, v44, v21, vcc_lo
	v_lshlrev_b64 v[20:21], v20, v[10:11]
	v_lshlrev_b32_e32 v21, 24, v10
	v_lshl_add_u32 v44, v44, 23, 0x3c000000
	v_lshlrev_b32_e32 v20, 20, v20
	v_and_b32_e32 v21, 0x80000000, v21
	v_and_b32_e32 v20, 0x700000, v20
	v_or3_b32 v44, v20, v21, v44
.LBB388_663:                            ;   in Loop: Header=BB388_629 Depth=1
	s_or_b32 exec_lo, exec_lo, s14
.LBB388_664:                            ;   in Loop: Header=BB388_629 Depth=1
	s_or_b32 exec_lo, exec_lo, s13
.LBB388_665:                            ;   in Loop: Header=BB388_629 Depth=1
	s_or_b32 exec_lo, exec_lo, s0
	v_cmp_ne_u16_sdwa s13, v10, v11 src0_sel:BYTE_1 src1_sel:DWORD
	v_mov_b32_e32 v46, 0
	v_mov_b32_e32 v20, 0
	s_and_saveexec_b32 s0, s13
	s_cbranch_execz .LBB388_673
; %bb.666:                              ;   in Loop: Header=BB388_629 Depth=1
	v_cmp_ne_u16_sdwa s14, v10, v39 src0_sel:BYTE_1 src1_sel:DWORD
	v_bfrev_b32_e32 v20, 1
	s_and_saveexec_b32 s13, s14
	s_cbranch_execz .LBB388_672
; %bb.667:                              ;   in Loop: Header=BB388_629 Depth=1
	v_and_b32_sdwa v21, v40, v10 dst_sel:DWORD dst_unused:UNUSED_PAD src0_sel:DWORD src1_sel:BYTE_1
	v_mov_b32_e32 v20, 0x7f800001
	s_mov_b32 s14, exec_lo
	v_and_b32_e32 v48, 0x7f, v21
	v_cmpx_ne_u32_e32 0x7f, v48
	s_cbranch_execz .LBB388_671
; %bb.668:                              ;   in Loop: Header=BB388_629 Depth=1
	v_and_b32_e32 v20, 7, v21
	v_mov_b32_e32 v21, v11
	v_lshrrev_b32_e32 v47, 3, v48
	s_mov_b32 s15, exec_lo
	v_cmpx_gt_u32_e32 8, v48
; %bb.669:                              ;   in Loop: Header=BB388_629 Depth=1
	v_ffbh_u32_e32 v47, v20
	v_min_u32_e32 v47, 32, v47
	v_subrev_nc_u32_e32 v48, 28, v47
	v_sub_nc_u32_e32 v47, 29, v47
	v_lshlrev_b64 v[20:21], v48, v[20:21]
	v_and_b32_e32 v20, 7, v20
; %bb.670:                              ;   in Loop: Header=BB388_629 Depth=1
	s_or_b32 exec_lo, exec_lo, s15
	v_lshlrev_b32_e32 v10, 16, v10
	v_lshlrev_b32_e32 v20, 20, v20
	v_lshl_add_u32 v21, v47, 23, 0x3c000000
	v_and_b32_e32 v10, 0x80000000, v10
	v_or3_b32 v20, v20, v10, v21
.LBB388_671:                            ;   in Loop: Header=BB388_629 Depth=1
	s_or_b32 exec_lo, exec_lo, s14
.LBB388_672:                            ;   in Loop: Header=BB388_629 Depth=1
	s_or_b32 exec_lo, exec_lo, s13
.LBB388_673:                            ;   in Loop: Header=BB388_629 Depth=1
	s_or_b32 exec_lo, exec_lo, s0
	v_and_b32_sdwa v10, v19, v41 dst_sel:DWORD dst_unused:UNUSED_PAD src0_sel:WORD_1 src1_sel:DWORD
	s_mov_b32 s0, exec_lo
	v_cmpx_ne_u16_e32 0, v10
	s_cbranch_execz .LBB388_681
; %bb.674:                              ;   in Loop: Header=BB388_629 Depth=1
	v_bfrev_b32_e32 v46, 1
	s_mov_b32 s13, exec_lo
	v_cmpx_ne_u16_e32 0x80, v10
	s_cbranch_execz .LBB388_680
; %bb.675:                              ;   in Loop: Header=BB388_629 Depth=1
	v_bfe_u32 v47, v19, 16, 7
	v_mov_b32_e32 v46, 0x7f800001
	s_mov_b32 s14, exec_lo
	v_cmpx_ne_u32_e32 0x7f, v47
	s_cbranch_execz .LBB388_679
; %bb.676:                              ;   in Loop: Header=BB388_629 Depth=1
	v_and_b32_sdwa v10, v19, v42 dst_sel:DWORD dst_unused:UNUSED_PAD src0_sel:WORD_1 src1_sel:DWORD
	v_lshrrev_b32_e32 v21, 3, v47
	s_mov_b32 s15, exec_lo
	v_cmpx_gt_u32_e32 8, v47
; %bb.677:                              ;   in Loop: Header=BB388_629 Depth=1
	v_ffbh_u32_e32 v21, v10
	v_min_u32_e32 v21, 32, v21
	v_subrev_nc_u32_e32 v46, 28, v21
	v_sub_nc_u32_e32 v21, 29, v21
	v_lshlrev_b64 v[46:47], v46, v[10:11]
	v_and_b32_e32 v10, 7, v46
; %bb.678:                              ;   in Loop: Header=BB388_629 Depth=1
	s_or_b32 exec_lo, exec_lo, s15
	v_lshlrev_b32_sdwa v46, v43, v19 dst_sel:DWORD dst_unused:UNUSED_PAD src0_sel:DWORD src1_sel:WORD_1
	v_lshlrev_b32_e32 v10, 20, v10
	v_lshl_add_u32 v21, v21, 23, 0x3c000000
	v_and_b32_e32 v46, 0x80000000, v46
	v_or3_b32 v46, v10, v46, v21
.LBB388_679:                            ;   in Loop: Header=BB388_629 Depth=1
	s_or_b32 exec_lo, exec_lo, s14
.LBB388_680:                            ;   in Loop: Header=BB388_629 Depth=1
	s_or_b32 exec_lo, exec_lo, s13
.LBB388_681:                            ;   in Loop: Header=BB388_629 Depth=1
	s_or_b32 exec_lo, exec_lo, s0
	v_mov_b32_e32 v10, 0
	s_mov_b32 s0, exec_lo
	v_cmpx_lt_u64_e64 s[4:5], v[18:19]
	s_cbranch_execz .LBB388_689
; %bb.682:                              ;   in Loop: Header=BB388_629 Depth=1
	v_cmp_ne_u32_sdwa s14, v19, v39 src0_sel:BYTE_3 src1_sel:DWORD
	v_bfrev_b32_e32 v10, 1
	s_and_saveexec_b32 s13, s14
	s_cbranch_execz .LBB388_688
; %bb.683:                              ;   in Loop: Header=BB388_629 Depth=1
	v_bfe_u32 v21, v19, 24, 7
	v_mov_b32_e32 v10, 0x7f800001
	s_mov_b32 s14, exec_lo
	v_cmpx_ne_u32_e32 0x7f, v21
	s_cbranch_execz .LBB388_687
; %bb.684:                              ;   in Loop: Header=BB388_629 Depth=1
	v_and_b32_sdwa v10, v19, v42 dst_sel:DWORD dst_unused:UNUSED_PAD src0_sel:BYTE_3 src1_sel:DWORD
	v_lshrrev_b32_e32 v18, 3, v21
	s_mov_b32 s15, exec_lo
	v_cmpx_gt_u32_e32 8, v21
; %bb.685:                              ;   in Loop: Header=BB388_629 Depth=1
	v_ffbh_u32_e32 v18, v10
	v_min_u32_e32 v18, 32, v18
	v_subrev_nc_u32_e32 v21, 28, v18
	v_sub_nc_u32_e32 v18, 29, v18
	v_lshlrev_b64 v[47:48], v21, v[10:11]
	v_and_b32_e32 v10, 7, v47
; %bb.686:                              ;   in Loop: Header=BB388_629 Depth=1
	s_or_b32 exec_lo, exec_lo, s15
	v_lshlrev_b32_sdwa v19, v43, v19 dst_sel:DWORD dst_unused:UNUSED_PAD src0_sel:DWORD src1_sel:BYTE_3
	v_lshlrev_b32_e32 v10, 20, v10
	v_lshl_add_u32 v18, v18, 23, 0x3c000000
	v_and_b32_e32 v19, 0x80000000, v19
	v_or3_b32 v10, v10, v19, v18
.LBB388_687:                            ;   in Loop: Header=BB388_629 Depth=1
	s_or_b32 exec_lo, exec_lo, s14
.LBB388_688:                            ;   in Loop: Header=BB388_629 Depth=1
	s_or_b32 exec_lo, exec_lo, s13
.LBB388_689:                            ;   in Loop: Header=BB388_629 Depth=1
	s_or_b32 exec_lo, exec_lo, s0
	s_waitcnt lgkmcnt(0)
	v_mul_f32_e32 v18, s6, v20
	v_mul_f32_e32 v19, s6, v44
	;; [unrolled: 1-line block ×5, first 2 shown]
	v_bfe_u32 v21, v18, 16, 1
	v_or_b32_e32 v44, 0x400000, v18
	v_bfe_u32 v45, v19, 16, 1
	v_cmp_u_f32_e64 s0, v18, v18
	v_or_b32_e32 v47, 0x400000, v19
	v_add3_u32 v21, v21, v18, 0x7fff
	v_bfe_u32 v48, v20, 16, 1
	v_add3_u32 v45, v45, v19, 0x7fff
	v_or_b32_e32 v49, 0x400000, v20
	v_mul_f32_e32 v10, s6, v10
	v_cndmask_b32_e64 v18, v21, v44, s0
	v_cmp_u_f32_e64 s0, v19, v19
	v_add3_u32 v44, v48, v20, 0x7fff
	v_bfe_u32 v21, v23, 16, 1
	v_add_nc_u32_e32 v60, -7, v37
	v_cmp_eq_u32_e32 vcc_lo, s9, v9
	v_cndmask_b32_e64 v19, v45, v47, s0
	v_cmp_u_f32_e64 s0, v20, v20
	v_lshrrev_b32_e32 v45, 16, v18
	v_mul_f32_e32 v20, s6, v22
	v_add3_u32 v21, v21, v23, 0x7fff
	v_or_b32_e32 v22, 0x400000, v23
	v_cndmask_b32_e64 v18, v44, v49, s0
	v_cmp_u_f32_e64 s0, v23, v23
	v_lshrrev_b32_e32 v44, 16, v19
	v_bfe_u32 v23, v0, 16, 1
	v_or_b32_e32 v49, 0x400000, v10
	v_lshrrev_b32_e32 v47, 16, v18
	v_bfe_u32 v18, v20, 16, 1
	v_cndmask_b32_e64 v19, v21, v22, s0
	v_mul_f32_e32 v21, s6, v46
	v_or_b32_e32 v22, 0x400000, v20
	v_cmp_u_f32_e64 s0, v20, v20
	v_add3_u32 v18, v18, v20, 0x7fff
	v_bfe_u32 v20, v10, 16, 1
	v_bfe_u32 v46, v21, 16, 1
	v_or_b32_e32 v48, 0x400000, v21
	v_add_nc_u32_e32 v66, -6, v37
	v_cndmask_b32_e64 v18, v18, v22, s0
	v_add3_u32 v22, v23, v0, 0x7fff
	v_or_b32_e32 v23, 0x400000, v0
	v_cmp_u_f32_e64 s0, v0, v0
	v_add3_u32 v46, v46, v21, 0x7fff
	v_add3_u32 v20, v20, v10, 0x7fff
	v_lshrrev_b32_e32 v51, 16, v18
	v_add_nc_u32_e32 v65, -5, v37
	v_cndmask_b32_e64 v0, v22, v23, s0
	v_cmp_u_f32_e64 s0, v21, v21
	v_add_nc_u32_e32 v64, -4, v37
	v_add_nc_u32_e32 v63, -3, v37
	v_add_nc_u32_e32 v62, -2, v37
	v_lshrrev_b32_e32 v50, 16, v0
	v_cndmask_b32_e64 v21, v46, v48, s0
	v_cmp_u_f32_e64 s0, v10, v10
	v_add_nc_u32_e32 v61, -1, v37
	v_lshrrev_b32_e32 v46, 16, v21
	v_cndmask_b32_e64 v10, v20, v49, s0
	v_lshrrev_b32_e32 v49, 16, v19
	v_lshrrev_b32_e32 v48, 16, v10
	s_and_saveexec_b32 s13, vcc_lo
	s_cbranch_execz .LBB388_691
; %bb.690:                              ;   in Loop: Header=BB388_629 Depth=1
	v_cmp_gt_i32_e64 s0, s29, v60
	v_cndmask_b32_e64 v50, 0, v50, s0
	v_cmp_gt_i32_e64 s0, s29, v66
	v_cndmask_b32_e64 v51, 0, v51, s0
	v_cmp_gt_i32_e64 s0, s29, v65
	v_cndmask_b32_e64 v49, 0, v49, s0
	v_cmp_gt_i32_e64 s0, s29, v64
	v_cndmask_b32_e64 v47, 0, v47, s0
	v_cmp_gt_i32_e64 s0, s29, v63
	v_cndmask_b32_e64 v44, 0, v44, s0
	v_cmp_gt_i32_e64 s0, s29, v62
	v_cndmask_b32_e64 v45, 0, v45, s0
	v_cmp_gt_i32_e64 s0, s29, v61
	v_cndmask_b32_e64 v46, 0, v46, s0
	v_cmp_gt_i32_e64 s0, s29, v37
	v_cndmask_b32_e64 v48, 0, v48, s0
.LBB388_691:                            ;   in Loop: Header=BB388_629 Depth=1
	s_or_b32 exec_lo, exec_lo, s13
	global_load_dwordx2 v[18:19], v[16:17], off offset:256
	v_mov_b32_e32 v22, 0
	v_mov_b32_e32 v0, 0
	s_waitcnt vmcnt(0)
	v_cmp_ne_u16_sdwa s0, v18, v11 src0_sel:BYTE_0 src1_sel:DWORD
	s_and_saveexec_b32 s13, s0
	s_cbranch_execz .LBB388_697
; %bb.692:                              ;   in Loop: Header=BB388_629 Depth=1
	v_cmp_ne_u16_sdwa s0, v18, v39 src0_sel:BYTE_0 src1_sel:DWORD
	v_bfrev_b32_e32 v0, 1
	s_and_saveexec_b32 s14, s0
	s_cbranch_execz .LBB388_696
; %bb.693:                              ;   in Loop: Header=BB388_629 Depth=1
	v_and_b32_e32 v10, 0x7f, v18
	v_mov_b32_e32 v0, 0x7f800001
	s_mov_b32 s15, exec_lo
	v_cmpx_ne_u32_e32 0x7f, v10
	s_cbranch_execz .LBB388_695
; %bb.694:                              ;   in Loop: Header=BB388_629 Depth=1
	v_and_b32_e32 v0, 7, v18
	v_cmp_gt_u32_e64 s0, 8, v10
	v_lshrrev_b32_e32 v20, 3, v10
	v_ffbh_u32_e32 v0, v0
	v_min_u32_e32 v0, 32, v0
	v_subrev_nc_u32_e32 v21, 28, v0
	v_sub_nc_u32_e32 v0, 29, v0
	v_cndmask_b32_e64 v10, 0, v21, s0
	v_cndmask_b32_e64 v0, v20, v0, s0
	v_lshlrev_b64 v[20:21], v10, v[18:19]
	v_lshlrev_b32_e32 v10, 24, v18
	v_lshl_add_u32 v0, v0, 23, 0x3c000000
	v_and_b32_e32 v10, 0x80000000, v10
	v_lshlrev_b32_e32 v20, 20, v20
	v_and_b32_e32 v20, 0x700000, v20
	v_or3_b32 v0, v20, v10, v0
.LBB388_695:                            ;   in Loop: Header=BB388_629 Depth=1
	s_or_b32 exec_lo, exec_lo, s15
.LBB388_696:                            ;   in Loop: Header=BB388_629 Depth=1
	s_or_b32 exec_lo, exec_lo, s14
.LBB388_697:                            ;   in Loop: Header=BB388_629 Depth=1
	s_or_b32 exec_lo, exec_lo, s13
	v_cmp_ne_u16_sdwa s0, v18, v11 src0_sel:BYTE_1 src1_sel:DWORD
	s_and_saveexec_b32 s13, s0
	s_cbranch_execz .LBB388_705
; %bb.698:                              ;   in Loop: Header=BB388_629 Depth=1
	v_cmp_ne_u16_sdwa s0, v18, v39 src0_sel:BYTE_1 src1_sel:DWORD
	v_bfrev_b32_e32 v22, 1
	s_and_saveexec_b32 s14, s0
	s_cbranch_execz .LBB388_704
; %bb.699:                              ;   in Loop: Header=BB388_629 Depth=1
	v_and_b32_sdwa v10, v40, v18 dst_sel:DWORD dst_unused:UNUSED_PAD src0_sel:DWORD src1_sel:BYTE_1
	v_mov_b32_e32 v22, 0x7f800001
	s_mov_b32 s15, exec_lo
	v_and_b32_e32 v21, 0x7f, v10
	v_cmpx_ne_u32_e32 0x7f, v21
	s_cbranch_execz .LBB388_703
; %bb.700:                              ;   in Loop: Header=BB388_629 Depth=1
	v_and_b32_e32 v10, 7, v10
	v_lshrrev_b32_e32 v20, 3, v21
	s_mov_b32 s16, exec_lo
	v_cmpx_gt_u32_e32 8, v21
; %bb.701:                              ;   in Loop: Header=BB388_629 Depth=1
	v_ffbh_u32_e32 v20, v10
	v_min_u32_e32 v20, 32, v20
	v_subrev_nc_u32_e32 v21, 28, v20
	v_sub_nc_u32_e32 v20, 29, v20
	v_lshlrev_b64 v[21:22], v21, v[10:11]
	v_and_b32_e32 v10, 7, v21
; %bb.702:                              ;   in Loop: Header=BB388_629 Depth=1
	s_or_b32 exec_lo, exec_lo, s16
	v_lshlrev_b32_e32 v21, 16, v18
	v_lshlrev_b32_e32 v10, 20, v10
	v_lshl_add_u32 v20, v20, 23, 0x3c000000
	v_and_b32_e32 v21, 0x80000000, v21
	v_or3_b32 v22, v10, v21, v20
.LBB388_703:                            ;   in Loop: Header=BB388_629 Depth=1
	s_or_b32 exec_lo, exec_lo, s15
.LBB388_704:                            ;   in Loop: Header=BB388_629 Depth=1
	s_or_b32 exec_lo, exec_lo, s14
.LBB388_705:                            ;   in Loop: Header=BB388_629 Depth=1
	s_or_b32 exec_lo, exec_lo, s13
	v_and_b32_sdwa v10, v18, v41 dst_sel:DWORD dst_unused:UNUSED_PAD src0_sel:WORD_1 src1_sel:DWORD
	v_mov_b32_e32 v52, 0
	v_mov_b32_e32 v23, 0
	s_mov_b32 s13, exec_lo
	v_cmpx_ne_u16_e32 0, v10
	s_cbranch_execz .LBB388_713
; %bb.706:                              ;   in Loop: Header=BB388_629 Depth=1
	v_bfrev_b32_e32 v23, 1
	s_mov_b32 s14, exec_lo
	v_cmpx_ne_u16_e32 0x80, v10
	s_cbranch_execz .LBB388_712
; %bb.707:                              ;   in Loop: Header=BB388_629 Depth=1
	v_bfe_u32 v21, v18, 16, 7
	v_mov_b32_e32 v23, 0x7f800001
	s_mov_b32 s15, exec_lo
	v_cmpx_ne_u32_e32 0x7f, v21
	s_cbranch_execz .LBB388_711
; %bb.708:                              ;   in Loop: Header=BB388_629 Depth=1
	v_and_b32_sdwa v10, v18, v42 dst_sel:DWORD dst_unused:UNUSED_PAD src0_sel:WORD_1 src1_sel:DWORD
	v_lshrrev_b32_e32 v20, 3, v21
	s_mov_b32 s16, exec_lo
	v_cmpx_gt_u32_e32 8, v21
; %bb.709:                              ;   in Loop: Header=BB388_629 Depth=1
	v_ffbh_u32_e32 v20, v10
	v_min_u32_e32 v20, 32, v20
	v_subrev_nc_u32_e32 v21, 28, v20
	v_sub_nc_u32_e32 v20, 29, v20
	v_lshlrev_b64 v[53:54], v21, v[10:11]
	v_and_b32_e32 v10, 7, v53
; %bb.710:                              ;   in Loop: Header=BB388_629 Depth=1
	s_or_b32 exec_lo, exec_lo, s16
	v_lshlrev_b32_sdwa v21, v43, v18 dst_sel:DWORD dst_unused:UNUSED_PAD src0_sel:DWORD src1_sel:WORD_1
	v_lshlrev_b32_e32 v10, 20, v10
	v_lshl_add_u32 v20, v20, 23, 0x3c000000
	v_and_b32_e32 v21, 0x80000000, v21
	v_or3_b32 v23, v10, v21, v20
.LBB388_711:                            ;   in Loop: Header=BB388_629 Depth=1
	s_or_b32 exec_lo, exec_lo, s15
.LBB388_712:                            ;   in Loop: Header=BB388_629 Depth=1
	s_or_b32 exec_lo, exec_lo, s14
.LBB388_713:                            ;   in Loop: Header=BB388_629 Depth=1
	s_or_b32 exec_lo, exec_lo, s13
	s_mov_b32 s13, exec_lo
	v_cmpx_lt_u32_e32 0xffffff, v18
	s_cbranch_execz .LBB388_721
; %bb.714:                              ;   in Loop: Header=BB388_629 Depth=1
	v_cmp_ne_u32_sdwa s0, v18, v39 src0_sel:BYTE_3 src1_sel:DWORD
	v_bfrev_b32_e32 v52, 1
	s_and_saveexec_b32 s14, s0
	s_cbranch_execz .LBB388_720
; %bb.715:                              ;   in Loop: Header=BB388_629 Depth=1
	v_bfe_u32 v21, v18, 24, 7
	v_mov_b32_e32 v52, 0x7f800001
	s_mov_b32 s15, exec_lo
	v_cmpx_ne_u32_e32 0x7f, v21
	s_cbranch_execz .LBB388_719
; %bb.716:                              ;   in Loop: Header=BB388_629 Depth=1
	v_and_b32_sdwa v10, v18, v42 dst_sel:DWORD dst_unused:UNUSED_PAD src0_sel:BYTE_3 src1_sel:DWORD
	v_lshrrev_b32_e32 v20, 3, v21
	s_mov_b32 s16, exec_lo
	v_cmpx_gt_u32_e32 8, v21
; %bb.717:                              ;   in Loop: Header=BB388_629 Depth=1
	v_ffbh_u32_e32 v20, v10
	v_min_u32_e32 v20, 32, v20
	v_subrev_nc_u32_e32 v21, 28, v20
	v_sub_nc_u32_e32 v20, 29, v20
	v_lshlrev_b64 v[52:53], v21, v[10:11]
	v_and_b32_e32 v10, 7, v52
; %bb.718:                              ;   in Loop: Header=BB388_629 Depth=1
	s_or_b32 exec_lo, exec_lo, s16
	v_lshlrev_b32_sdwa v21, v43, v18 dst_sel:DWORD dst_unused:UNUSED_PAD src0_sel:DWORD src1_sel:BYTE_3
	v_lshlrev_b32_e32 v10, 20, v10
	v_lshl_add_u32 v20, v20, 23, 0x3c000000
	v_and_b32_e32 v21, 0x80000000, v21
	v_or3_b32 v52, v10, v21, v20
.LBB388_719:                            ;   in Loop: Header=BB388_629 Depth=1
	s_or_b32 exec_lo, exec_lo, s15
.LBB388_720:                            ;   in Loop: Header=BB388_629 Depth=1
	s_or_b32 exec_lo, exec_lo, s14
.LBB388_721:                            ;   in Loop: Header=BB388_629 Depth=1
	s_or_b32 exec_lo, exec_lo, s13
	v_mov_b32_e32 v10, v19
	v_cmp_ne_u16_sdwa s0, v19, v11 src0_sel:BYTE_0 src1_sel:DWORD
	v_mov_b32_e32 v20, 0
	v_mov_b32_e32 v53, 0
	s_and_saveexec_b32 s13, s0
	s_cbranch_execz .LBB388_727
; %bb.722:                              ;   in Loop: Header=BB388_629 Depth=1
	v_cmp_ne_u16_sdwa s0, v19, v39 src0_sel:BYTE_0 src1_sel:DWORD
	v_bfrev_b32_e32 v53, 1
	s_and_saveexec_b32 s14, s0
	s_cbranch_execz .LBB388_726
; %bb.723:                              ;   in Loop: Header=BB388_629 Depth=1
	v_and_b32_e32 v21, 0x7f, v19
	v_mov_b32_e32 v53, 0x7f800001
	s_mov_b32 s15, exec_lo
	v_cmpx_ne_u32_e32 0x7f, v21
	s_cbranch_execz .LBB388_725
; %bb.724:                              ;   in Loop: Header=BB388_629 Depth=1
	v_and_b32_e32 v53, 7, v19
	v_lshrrev_b32_e32 v54, 3, v21
	v_cmp_gt_u32_e64 s0, 8, v21
	v_ffbh_u32_e32 v53, v53
	v_min_u32_e32 v53, 32, v53
	v_subrev_nc_u32_e32 v55, 28, v53
	v_sub_nc_u32_e32 v53, 29, v53
	v_cndmask_b32_e64 v21, v54, v53, s0
	v_cndmask_b32_e64 v53, 0, v55, s0
	v_lshl_add_u32 v21, v21, 23, 0x3c000000
	v_lshlrev_b64 v[53:54], v53, v[10:11]
	v_lshlrev_b32_e32 v54, 24, v10
	v_lshlrev_b32_e32 v53, 20, v53
	v_and_b32_e32 v54, 0x80000000, v54
	v_and_b32_e32 v53, 0x700000, v53
	v_or3_b32 v53, v53, v54, v21
.LBB388_725:                            ;   in Loop: Header=BB388_629 Depth=1
	s_or_b32 exec_lo, exec_lo, s15
.LBB388_726:                            ;   in Loop: Header=BB388_629 Depth=1
	s_or_b32 exec_lo, exec_lo, s14
.LBB388_727:                            ;   in Loop: Header=BB388_629 Depth=1
	s_or_b32 exec_lo, exec_lo, s13
	v_cmp_ne_u16_sdwa s0, v10, v11 src0_sel:BYTE_1 src1_sel:DWORD
	s_and_saveexec_b32 s13, s0
	s_cbranch_execz .LBB388_735
; %bb.728:                              ;   in Loop: Header=BB388_629 Depth=1
	v_cmp_ne_u16_sdwa s0, v10, v39 src0_sel:BYTE_1 src1_sel:DWORD
	v_bfrev_b32_e32 v20, 1
	s_and_saveexec_b32 s14, s0
	s_cbranch_execz .LBB388_734
; %bb.729:                              ;   in Loop: Header=BB388_629 Depth=1
	v_and_b32_sdwa v21, v40, v10 dst_sel:DWORD dst_unused:UNUSED_PAD src0_sel:DWORD src1_sel:BYTE_1
	v_mov_b32_e32 v20, 0x7f800001
	s_mov_b32 s15, exec_lo
	v_and_b32_e32 v55, 0x7f, v21
	v_cmpx_ne_u32_e32 0x7f, v55
	s_cbranch_execz .LBB388_733
; %bb.730:                              ;   in Loop: Header=BB388_629 Depth=1
	v_and_b32_e32 v20, 7, v21
	v_mov_b32_e32 v21, v11
	v_lshrrev_b32_e32 v54, 3, v55
	s_mov_b32 s16, exec_lo
	v_cmpx_gt_u32_e32 8, v55
; %bb.731:                              ;   in Loop: Header=BB388_629 Depth=1
	v_ffbh_u32_e32 v54, v20
	v_min_u32_e32 v54, 32, v54
	v_subrev_nc_u32_e32 v55, 28, v54
	v_sub_nc_u32_e32 v54, 29, v54
	v_lshlrev_b64 v[20:21], v55, v[20:21]
	v_and_b32_e32 v20, 7, v20
; %bb.732:                              ;   in Loop: Header=BB388_629 Depth=1
	s_or_b32 exec_lo, exec_lo, s16
	v_lshlrev_b32_e32 v10, 16, v10
	v_lshlrev_b32_e32 v20, 20, v20
	v_lshl_add_u32 v21, v54, 23, 0x3c000000
	v_and_b32_e32 v10, 0x80000000, v10
	v_or3_b32 v20, v20, v10, v21
.LBB388_733:                            ;   in Loop: Header=BB388_629 Depth=1
	s_or_b32 exec_lo, exec_lo, s15
.LBB388_734:                            ;   in Loop: Header=BB388_629 Depth=1
	s_or_b32 exec_lo, exec_lo, s14
.LBB388_735:                            ;   in Loop: Header=BB388_629 Depth=1
	s_or_b32 exec_lo, exec_lo, s13
	v_and_b32_sdwa v10, v19, v41 dst_sel:DWORD dst_unused:UNUSED_PAD src0_sel:WORD_1 src1_sel:DWORD
	v_mov_b32_e32 v21, 0
	v_mov_b32_e32 v54, 0
	s_mov_b32 s13, exec_lo
	v_cmpx_ne_u16_e32 0, v10
	s_cbranch_execz .LBB388_743
; %bb.736:                              ;   in Loop: Header=BB388_629 Depth=1
	v_bfrev_b32_e32 v54, 1
	s_mov_b32 s14, exec_lo
	v_cmpx_ne_u16_e32 0x80, v10
	s_cbranch_execz .LBB388_742
; %bb.737:                              ;   in Loop: Header=BB388_629 Depth=1
	v_bfe_u32 v55, v19, 16, 7
	v_mov_b32_e32 v54, 0x7f800001
	s_mov_b32 s15, exec_lo
	v_cmpx_ne_u32_e32 0x7f, v55
	s_cbranch_execz .LBB388_741
; %bb.738:                              ;   in Loop: Header=BB388_629 Depth=1
	v_and_b32_sdwa v10, v19, v42 dst_sel:DWORD dst_unused:UNUSED_PAD src0_sel:WORD_1 src1_sel:DWORD
	v_lshrrev_b32_e32 v54, 3, v55
	s_mov_b32 s16, exec_lo
	v_cmpx_gt_u32_e32 8, v55
; %bb.739:                              ;   in Loop: Header=BB388_629 Depth=1
	v_ffbh_u32_e32 v54, v10
	v_min_u32_e32 v54, 32, v54
	v_subrev_nc_u32_e32 v55, 28, v54
	v_sub_nc_u32_e32 v54, 29, v54
	v_lshlrev_b64 v[55:56], v55, v[10:11]
	v_and_b32_e32 v10, 7, v55
; %bb.740:                              ;   in Loop: Header=BB388_629 Depth=1
	s_or_b32 exec_lo, exec_lo, s16
	v_lshlrev_b32_sdwa v55, v43, v19 dst_sel:DWORD dst_unused:UNUSED_PAD src0_sel:DWORD src1_sel:WORD_1
	v_lshlrev_b32_e32 v10, 20, v10
	v_lshl_add_u32 v54, v54, 23, 0x3c000000
	v_and_b32_e32 v55, 0x80000000, v55
	v_or3_b32 v54, v10, v55, v54
.LBB388_741:                            ;   in Loop: Header=BB388_629 Depth=1
	s_or_b32 exec_lo, exec_lo, s15
.LBB388_742:                            ;   in Loop: Header=BB388_629 Depth=1
	s_or_b32 exec_lo, exec_lo, s14
.LBB388_743:                            ;   in Loop: Header=BB388_629 Depth=1
	s_or_b32 exec_lo, exec_lo, s13
	s_mov_b32 s13, exec_lo
	v_cmpx_lt_u64_e64 s[4:5], v[18:19]
	s_cbranch_execz .LBB388_751
; %bb.744:                              ;   in Loop: Header=BB388_629 Depth=1
	v_cmp_ne_u32_sdwa s0, v19, v39 src0_sel:BYTE_3 src1_sel:DWORD
	v_bfrev_b32_e32 v21, 1
	s_and_saveexec_b32 s14, s0
	s_cbranch_execz .LBB388_750
; %bb.745:                              ;   in Loop: Header=BB388_629 Depth=1
	v_bfe_u32 v55, v19, 24, 7
	v_mov_b32_e32 v21, 0x7f800001
	s_mov_b32 s15, exec_lo
	v_cmpx_ne_u32_e32 0x7f, v55
	s_cbranch_execz .LBB388_749
; %bb.746:                              ;   in Loop: Header=BB388_629 Depth=1
	v_and_b32_sdwa v10, v19, v42 dst_sel:DWORD dst_unused:UNUSED_PAD src0_sel:BYTE_3 src1_sel:DWORD
	v_lshrrev_b32_e32 v18, 3, v55
	s_mov_b32 s16, exec_lo
	v_cmpx_gt_u32_e32 8, v55
; %bb.747:                              ;   in Loop: Header=BB388_629 Depth=1
	v_ffbh_u32_e32 v18, v10
	v_min_u32_e32 v18, 32, v18
	v_subrev_nc_u32_e32 v21, 28, v18
	v_sub_nc_u32_e32 v18, 29, v18
	v_lshlrev_b64 v[55:56], v21, v[10:11]
	v_and_b32_e32 v10, 7, v55
; %bb.748:                              ;   in Loop: Header=BB388_629 Depth=1
	s_or_b32 exec_lo, exec_lo, s16
	v_lshlrev_b32_sdwa v19, v43, v19 dst_sel:DWORD dst_unused:UNUSED_PAD src0_sel:DWORD src1_sel:BYTE_3
	v_lshlrev_b32_e32 v10, 20, v10
	v_lshl_add_u32 v18, v18, 23, 0x3c000000
	v_and_b32_e32 v19, 0x80000000, v19
	v_or3_b32 v21, v10, v19, v18
.LBB388_749:                            ;   in Loop: Header=BB388_629 Depth=1
	s_or_b32 exec_lo, exec_lo, s15
.LBB388_750:                            ;   in Loop: Header=BB388_629 Depth=1
	s_or_b32 exec_lo, exec_lo, s14
.LBB388_751:                            ;   in Loop: Header=BB388_629 Depth=1
	s_or_b32 exec_lo, exec_lo, s13
	v_mul_f32_e32 v10, s6, v20
	v_mul_f32_e32 v18, s6, v53
	;; [unrolled: 1-line block ×5, first 2 shown]
	v_bfe_u32 v23, v10, 16, 1
	v_or_b32_e32 v52, 0x400000, v10
	v_bfe_u32 v53, v18, 16, 1
	v_cmp_u_f32_e64 s0, v10, v10
	v_or_b32_e32 v55, 0x400000, v18
	v_add3_u32 v23, v23, v10, 0x7fff
	v_bfe_u32 v56, v19, 16, 1
	v_add3_u32 v53, v53, v18, 0x7fff
	v_or_b32_e32 v57, 0x400000, v19
	v_bfe_u32 v58, v20, 16, 1
	v_cndmask_b32_e64 v10, v23, v52, s0
	v_cmp_u_f32_e64 s0, v18, v18
	v_add3_u32 v56, v56, v19, 0x7fff
	v_or_b32_e32 v23, 0x400000, v20
	v_mul_f32_e32 v21, s6, v21
	v_lshrrev_b32_e32 v52, 16, v10
	v_cndmask_b32_e64 v18, v53, v55, s0
	v_cmp_u_f32_e64 s0, v19, v19
	v_mul_f32_e32 v10, s6, v22
	v_add3_u32 v22, v58, v20, 0x7fff
	v_lshrrev_b32_e32 v53, 16, v18
	v_cndmask_b32_e64 v19, v56, v57, s0
	v_bfe_u32 v18, v10, 16, 1
	v_cmp_u_f32_e64 s0, v20, v20
	v_mul_f32_e32 v20, s6, v54
	v_or_b32_e32 v57, 0x400000, v21
	v_lshrrev_b32_e32 v55, 16, v19
	v_add3_u32 v18, v18, v10, 0x7fff
	v_cndmask_b32_e64 v19, v22, v23, s0
	v_or_b32_e32 v22, 0x400000, v10
	v_bfe_u32 v23, v0, 16, 1
	v_cmp_u_f32_e64 s0, v10, v10
	v_bfe_u32 v54, v20, 16, 1
	v_or_b32_e32 v56, 0x400000, v20
	v_cndmask_b32_e64 v10, v18, v22, s0
	v_add3_u32 v22, v23, v0, 0x7fff
	v_or_b32_e32 v23, 0x400000, v0
	v_cmp_u_f32_e64 s0, v0, v0
	v_bfe_u32 v18, v21, 16, 1
	v_add3_u32 v54, v54, v20, 0x7fff
	v_lshrrev_b32_e32 v59, 16, v10
	v_cndmask_b32_e64 v0, v22, v23, s0
	v_cmp_u_f32_e64 s0, v20, v20
	v_add3_u32 v18, v18, v21, 0x7fff
	v_lshrrev_b32_e32 v58, 16, v0
	v_cndmask_b32_e64 v20, v54, v56, s0
	v_cmp_u_f32_e64 s0, v21, v21
	v_lshrrev_b32_e32 v54, 16, v20
	v_cndmask_b32_e64 v18, v18, v57, s0
	v_lshrrev_b32_e32 v57, 16, v19
	v_lshrrev_b32_e32 v56, 16, v18
	s_and_saveexec_b32 s13, vcc_lo
	s_cbranch_execz .LBB388_753
; %bb.752:                              ;   in Loop: Header=BB388_629 Depth=1
	v_cmp_gt_i32_e64 s0, s29, v60
	v_cndmask_b32_e64 v58, 0, v58, s0
	v_cmp_gt_i32_e64 s0, s29, v66
	v_cndmask_b32_e64 v59, 0, v59, s0
	;; [unrolled: 2-line block ×8, first 2 shown]
.LBB388_753:                            ;   in Loop: Header=BB388_629 Depth=1
	s_or_b32 exec_lo, exec_lo, s13
	global_load_dwordx2 v[18:19], v[16:17], off offset:512
	v_mov_b32_e32 v22, 0
	v_mov_b32_e32 v0, 0
	s_waitcnt vmcnt(0)
	v_cmp_ne_u16_sdwa s0, v18, v11 src0_sel:BYTE_0 src1_sel:DWORD
	s_and_saveexec_b32 s13, s0
	s_cbranch_execz .LBB388_759
; %bb.754:                              ;   in Loop: Header=BB388_629 Depth=1
	v_cmp_ne_u16_sdwa s0, v18, v39 src0_sel:BYTE_0 src1_sel:DWORD
	v_bfrev_b32_e32 v0, 1
	s_and_saveexec_b32 s14, s0
	s_cbranch_execz .LBB388_758
; %bb.755:                              ;   in Loop: Header=BB388_629 Depth=1
	v_and_b32_e32 v10, 0x7f, v18
	v_mov_b32_e32 v0, 0x7f800001
	s_mov_b32 s15, exec_lo
	v_cmpx_ne_u32_e32 0x7f, v10
	s_cbranch_execz .LBB388_757
; %bb.756:                              ;   in Loop: Header=BB388_629 Depth=1
	v_and_b32_e32 v0, 7, v18
	v_cmp_gt_u32_e64 s0, 8, v10
	v_lshrrev_b32_e32 v20, 3, v10
	v_ffbh_u32_e32 v0, v0
	v_min_u32_e32 v0, 32, v0
	v_subrev_nc_u32_e32 v21, 28, v0
	v_sub_nc_u32_e32 v0, 29, v0
	v_cndmask_b32_e64 v10, 0, v21, s0
	v_cndmask_b32_e64 v0, v20, v0, s0
	v_lshlrev_b64 v[20:21], v10, v[18:19]
	v_lshlrev_b32_e32 v10, 24, v18
	v_lshl_add_u32 v0, v0, 23, 0x3c000000
	v_and_b32_e32 v10, 0x80000000, v10
	v_lshlrev_b32_e32 v20, 20, v20
	v_and_b32_e32 v20, 0x700000, v20
	v_or3_b32 v0, v20, v10, v0
.LBB388_757:                            ;   in Loop: Header=BB388_629 Depth=1
	s_or_b32 exec_lo, exec_lo, s15
.LBB388_758:                            ;   in Loop: Header=BB388_629 Depth=1
	s_or_b32 exec_lo, exec_lo, s14
.LBB388_759:                            ;   in Loop: Header=BB388_629 Depth=1
	s_or_b32 exec_lo, exec_lo, s13
	v_cmp_ne_u16_sdwa s0, v18, v11 src0_sel:BYTE_1 src1_sel:DWORD
	s_and_saveexec_b32 s13, s0
	s_cbranch_execz .LBB388_767
; %bb.760:                              ;   in Loop: Header=BB388_629 Depth=1
	v_cmp_ne_u16_sdwa s0, v18, v39 src0_sel:BYTE_1 src1_sel:DWORD
	v_bfrev_b32_e32 v22, 1
	s_and_saveexec_b32 s14, s0
	s_cbranch_execz .LBB388_766
; %bb.761:                              ;   in Loop: Header=BB388_629 Depth=1
	v_and_b32_sdwa v10, v40, v18 dst_sel:DWORD dst_unused:UNUSED_PAD src0_sel:DWORD src1_sel:BYTE_1
	v_mov_b32_e32 v22, 0x7f800001
	s_mov_b32 s15, exec_lo
	v_and_b32_e32 v21, 0x7f, v10
	v_cmpx_ne_u32_e32 0x7f, v21
	s_cbranch_execz .LBB388_765
; %bb.762:                              ;   in Loop: Header=BB388_629 Depth=1
	v_and_b32_e32 v10, 7, v10
	v_lshrrev_b32_e32 v20, 3, v21
	s_mov_b32 s16, exec_lo
	v_cmpx_gt_u32_e32 8, v21
; %bb.763:                              ;   in Loop: Header=BB388_629 Depth=1
	v_ffbh_u32_e32 v20, v10
	v_min_u32_e32 v20, 32, v20
	v_subrev_nc_u32_e32 v21, 28, v20
	v_sub_nc_u32_e32 v20, 29, v20
	v_lshlrev_b64 v[21:22], v21, v[10:11]
	v_and_b32_e32 v10, 7, v21
; %bb.764:                              ;   in Loop: Header=BB388_629 Depth=1
	s_or_b32 exec_lo, exec_lo, s16
	v_lshlrev_b32_e32 v21, 16, v18
	v_lshlrev_b32_e32 v10, 20, v10
	v_lshl_add_u32 v20, v20, 23, 0x3c000000
	v_and_b32_e32 v21, 0x80000000, v21
	v_or3_b32 v22, v10, v21, v20
.LBB388_765:                            ;   in Loop: Header=BB388_629 Depth=1
	s_or_b32 exec_lo, exec_lo, s15
.LBB388_766:                            ;   in Loop: Header=BB388_629 Depth=1
	s_or_b32 exec_lo, exec_lo, s14
.LBB388_767:                            ;   in Loop: Header=BB388_629 Depth=1
	s_or_b32 exec_lo, exec_lo, s13
	v_and_b32_sdwa v10, v18, v41 dst_sel:DWORD dst_unused:UNUSED_PAD src0_sel:WORD_1 src1_sel:DWORD
	v_mov_b32_e32 v67, 0
	v_mov_b32_e32 v23, 0
	s_mov_b32 s13, exec_lo
	v_cmpx_ne_u16_e32 0, v10
	s_cbranch_execz .LBB388_775
; %bb.768:                              ;   in Loop: Header=BB388_629 Depth=1
	v_bfrev_b32_e32 v23, 1
	s_mov_b32 s14, exec_lo
	v_cmpx_ne_u16_e32 0x80, v10
	s_cbranch_execz .LBB388_774
; %bb.769:                              ;   in Loop: Header=BB388_629 Depth=1
	v_bfe_u32 v21, v18, 16, 7
	v_mov_b32_e32 v23, 0x7f800001
	s_mov_b32 s15, exec_lo
	v_cmpx_ne_u32_e32 0x7f, v21
	s_cbranch_execz .LBB388_773
; %bb.770:                              ;   in Loop: Header=BB388_629 Depth=1
	v_and_b32_sdwa v10, v18, v42 dst_sel:DWORD dst_unused:UNUSED_PAD src0_sel:WORD_1 src1_sel:DWORD
	v_lshrrev_b32_e32 v20, 3, v21
	s_mov_b32 s16, exec_lo
	v_cmpx_gt_u32_e32 8, v21
; %bb.771:                              ;   in Loop: Header=BB388_629 Depth=1
	v_ffbh_u32_e32 v20, v10
	v_min_u32_e32 v20, 32, v20
	v_subrev_nc_u32_e32 v21, 28, v20
	v_sub_nc_u32_e32 v20, 29, v20
	v_lshlrev_b64 v[68:69], v21, v[10:11]
	v_and_b32_e32 v10, 7, v68
; %bb.772:                              ;   in Loop: Header=BB388_629 Depth=1
	s_or_b32 exec_lo, exec_lo, s16
	v_lshlrev_b32_sdwa v21, v43, v18 dst_sel:DWORD dst_unused:UNUSED_PAD src0_sel:DWORD src1_sel:WORD_1
	v_lshlrev_b32_e32 v10, 20, v10
	v_lshl_add_u32 v20, v20, 23, 0x3c000000
	v_and_b32_e32 v21, 0x80000000, v21
	v_or3_b32 v23, v10, v21, v20
.LBB388_773:                            ;   in Loop: Header=BB388_629 Depth=1
	s_or_b32 exec_lo, exec_lo, s15
.LBB388_774:                            ;   in Loop: Header=BB388_629 Depth=1
	s_or_b32 exec_lo, exec_lo, s14
.LBB388_775:                            ;   in Loop: Header=BB388_629 Depth=1
	s_or_b32 exec_lo, exec_lo, s13
	s_mov_b32 s13, exec_lo
	v_cmpx_lt_u32_e32 0xffffff, v18
	s_cbranch_execz .LBB388_783
; %bb.776:                              ;   in Loop: Header=BB388_629 Depth=1
	v_cmp_ne_u32_sdwa s0, v18, v39 src0_sel:BYTE_3 src1_sel:DWORD
	v_bfrev_b32_e32 v67, 1
	s_and_saveexec_b32 s14, s0
	s_cbranch_execz .LBB388_782
; %bb.777:                              ;   in Loop: Header=BB388_629 Depth=1
	v_bfe_u32 v21, v18, 24, 7
	v_mov_b32_e32 v67, 0x7f800001
	s_mov_b32 s15, exec_lo
	v_cmpx_ne_u32_e32 0x7f, v21
	s_cbranch_execz .LBB388_781
; %bb.778:                              ;   in Loop: Header=BB388_629 Depth=1
	v_and_b32_sdwa v10, v18, v42 dst_sel:DWORD dst_unused:UNUSED_PAD src0_sel:BYTE_3 src1_sel:DWORD
	v_lshrrev_b32_e32 v20, 3, v21
	s_mov_b32 s16, exec_lo
	v_cmpx_gt_u32_e32 8, v21
; %bb.779:                              ;   in Loop: Header=BB388_629 Depth=1
	v_ffbh_u32_e32 v20, v10
	v_min_u32_e32 v20, 32, v20
	v_subrev_nc_u32_e32 v21, 28, v20
	v_sub_nc_u32_e32 v20, 29, v20
	v_lshlrev_b64 v[67:68], v21, v[10:11]
	v_and_b32_e32 v10, 7, v67
; %bb.780:                              ;   in Loop: Header=BB388_629 Depth=1
	s_or_b32 exec_lo, exec_lo, s16
	v_lshlrev_b32_sdwa v21, v43, v18 dst_sel:DWORD dst_unused:UNUSED_PAD src0_sel:DWORD src1_sel:BYTE_3
	v_lshlrev_b32_e32 v10, 20, v10
	v_lshl_add_u32 v20, v20, 23, 0x3c000000
	v_and_b32_e32 v21, 0x80000000, v21
	v_or3_b32 v67, v10, v21, v20
.LBB388_781:                            ;   in Loop: Header=BB388_629 Depth=1
	s_or_b32 exec_lo, exec_lo, s15
.LBB388_782:                            ;   in Loop: Header=BB388_629 Depth=1
	s_or_b32 exec_lo, exec_lo, s14
.LBB388_783:                            ;   in Loop: Header=BB388_629 Depth=1
	s_or_b32 exec_lo, exec_lo, s13
	v_mov_b32_e32 v10, v19
	v_cmp_ne_u16_sdwa s0, v19, v11 src0_sel:BYTE_0 src1_sel:DWORD
	v_mov_b32_e32 v20, 0
	v_mov_b32_e32 v68, 0
	s_and_saveexec_b32 s13, s0
	s_cbranch_execz .LBB388_789
; %bb.784:                              ;   in Loop: Header=BB388_629 Depth=1
	v_cmp_ne_u16_sdwa s0, v19, v39 src0_sel:BYTE_0 src1_sel:DWORD
	v_bfrev_b32_e32 v68, 1
	s_and_saveexec_b32 s14, s0
	s_cbranch_execz .LBB388_788
; %bb.785:                              ;   in Loop: Header=BB388_629 Depth=1
	v_and_b32_e32 v21, 0x7f, v19
	v_mov_b32_e32 v68, 0x7f800001
	s_mov_b32 s15, exec_lo
	v_cmpx_ne_u32_e32 0x7f, v21
	s_cbranch_execz .LBB388_787
; %bb.786:                              ;   in Loop: Header=BB388_629 Depth=1
	v_and_b32_e32 v68, 7, v19
	v_lshrrev_b32_e32 v69, 3, v21
	v_cmp_gt_u32_e64 s0, 8, v21
	v_ffbh_u32_e32 v68, v68
	v_min_u32_e32 v68, 32, v68
	v_subrev_nc_u32_e32 v70, 28, v68
	v_sub_nc_u32_e32 v68, 29, v68
	v_cndmask_b32_e64 v21, v69, v68, s0
	v_cndmask_b32_e64 v68, 0, v70, s0
	v_lshl_add_u32 v21, v21, 23, 0x3c000000
	v_lshlrev_b64 v[68:69], v68, v[10:11]
	v_lshlrev_b32_e32 v69, 24, v10
	v_lshlrev_b32_e32 v68, 20, v68
	v_and_b32_e32 v69, 0x80000000, v69
	v_and_b32_e32 v68, 0x700000, v68
	v_or3_b32 v68, v68, v69, v21
.LBB388_787:                            ;   in Loop: Header=BB388_629 Depth=1
	s_or_b32 exec_lo, exec_lo, s15
.LBB388_788:                            ;   in Loop: Header=BB388_629 Depth=1
	s_or_b32 exec_lo, exec_lo, s14
.LBB388_789:                            ;   in Loop: Header=BB388_629 Depth=1
	s_or_b32 exec_lo, exec_lo, s13
	v_cmp_ne_u16_sdwa s0, v10, v11 src0_sel:BYTE_1 src1_sel:DWORD
	s_and_saveexec_b32 s13, s0
	s_cbranch_execz .LBB388_797
; %bb.790:                              ;   in Loop: Header=BB388_629 Depth=1
	v_cmp_ne_u16_sdwa s0, v10, v39 src0_sel:BYTE_1 src1_sel:DWORD
	v_bfrev_b32_e32 v20, 1
	s_and_saveexec_b32 s14, s0
	s_cbranch_execz .LBB388_796
; %bb.791:                              ;   in Loop: Header=BB388_629 Depth=1
	v_and_b32_sdwa v21, v40, v10 dst_sel:DWORD dst_unused:UNUSED_PAD src0_sel:DWORD src1_sel:BYTE_1
	v_mov_b32_e32 v20, 0x7f800001
	s_mov_b32 s15, exec_lo
	v_and_b32_e32 v70, 0x7f, v21
	v_cmpx_ne_u32_e32 0x7f, v70
	s_cbranch_execz .LBB388_795
; %bb.792:                              ;   in Loop: Header=BB388_629 Depth=1
	v_and_b32_e32 v20, 7, v21
	v_mov_b32_e32 v21, v11
	v_lshrrev_b32_e32 v69, 3, v70
	s_mov_b32 s16, exec_lo
	v_cmpx_gt_u32_e32 8, v70
; %bb.793:                              ;   in Loop: Header=BB388_629 Depth=1
	v_ffbh_u32_e32 v69, v20
	v_min_u32_e32 v69, 32, v69
	v_subrev_nc_u32_e32 v70, 28, v69
	v_sub_nc_u32_e32 v69, 29, v69
	v_lshlrev_b64 v[20:21], v70, v[20:21]
	v_and_b32_e32 v20, 7, v20
; %bb.794:                              ;   in Loop: Header=BB388_629 Depth=1
	s_or_b32 exec_lo, exec_lo, s16
	v_lshlrev_b32_e32 v10, 16, v10
	v_lshlrev_b32_e32 v20, 20, v20
	v_lshl_add_u32 v21, v69, 23, 0x3c000000
	v_and_b32_e32 v10, 0x80000000, v10
	v_or3_b32 v20, v20, v10, v21
.LBB388_795:                            ;   in Loop: Header=BB388_629 Depth=1
	s_or_b32 exec_lo, exec_lo, s15
.LBB388_796:                            ;   in Loop: Header=BB388_629 Depth=1
	s_or_b32 exec_lo, exec_lo, s14
.LBB388_797:                            ;   in Loop: Header=BB388_629 Depth=1
	s_or_b32 exec_lo, exec_lo, s13
	v_and_b32_sdwa v10, v19, v41 dst_sel:DWORD dst_unused:UNUSED_PAD src0_sel:WORD_1 src1_sel:DWORD
	v_mov_b32_e32 v21, 0
	v_mov_b32_e32 v69, 0
	s_mov_b32 s13, exec_lo
	v_cmpx_ne_u16_e32 0, v10
	s_cbranch_execz .LBB388_805
; %bb.798:                              ;   in Loop: Header=BB388_629 Depth=1
	v_bfrev_b32_e32 v69, 1
	s_mov_b32 s14, exec_lo
	v_cmpx_ne_u16_e32 0x80, v10
	s_cbranch_execz .LBB388_804
; %bb.799:                              ;   in Loop: Header=BB388_629 Depth=1
	v_bfe_u32 v70, v19, 16, 7
	v_mov_b32_e32 v69, 0x7f800001
	s_mov_b32 s15, exec_lo
	v_cmpx_ne_u32_e32 0x7f, v70
	s_cbranch_execz .LBB388_803
; %bb.800:                              ;   in Loop: Header=BB388_629 Depth=1
	v_and_b32_sdwa v10, v19, v42 dst_sel:DWORD dst_unused:UNUSED_PAD src0_sel:WORD_1 src1_sel:DWORD
	v_lshrrev_b32_e32 v69, 3, v70
	s_mov_b32 s16, exec_lo
	v_cmpx_gt_u32_e32 8, v70
; %bb.801:                              ;   in Loop: Header=BB388_629 Depth=1
	v_ffbh_u32_e32 v69, v10
	v_min_u32_e32 v69, 32, v69
	v_subrev_nc_u32_e32 v70, 28, v69
	v_sub_nc_u32_e32 v69, 29, v69
	v_lshlrev_b64 v[70:71], v70, v[10:11]
	v_and_b32_e32 v10, 7, v70
; %bb.802:                              ;   in Loop: Header=BB388_629 Depth=1
	s_or_b32 exec_lo, exec_lo, s16
	v_lshlrev_b32_sdwa v70, v43, v19 dst_sel:DWORD dst_unused:UNUSED_PAD src0_sel:DWORD src1_sel:WORD_1
	v_lshlrev_b32_e32 v10, 20, v10
	v_lshl_add_u32 v69, v69, 23, 0x3c000000
	v_and_b32_e32 v70, 0x80000000, v70
	v_or3_b32 v69, v10, v70, v69
.LBB388_803:                            ;   in Loop: Header=BB388_629 Depth=1
	s_or_b32 exec_lo, exec_lo, s15
.LBB388_804:                            ;   in Loop: Header=BB388_629 Depth=1
	s_or_b32 exec_lo, exec_lo, s14
.LBB388_805:                            ;   in Loop: Header=BB388_629 Depth=1
	s_or_b32 exec_lo, exec_lo, s13
	s_mov_b32 s13, exec_lo
	v_cmpx_lt_u64_e64 s[4:5], v[18:19]
	s_cbranch_execz .LBB388_813
; %bb.806:                              ;   in Loop: Header=BB388_629 Depth=1
	v_cmp_ne_u32_sdwa s0, v19, v39 src0_sel:BYTE_3 src1_sel:DWORD
	v_bfrev_b32_e32 v21, 1
	s_and_saveexec_b32 s14, s0
	s_cbranch_execz .LBB388_812
; %bb.807:                              ;   in Loop: Header=BB388_629 Depth=1
	v_bfe_u32 v70, v19, 24, 7
	v_mov_b32_e32 v21, 0x7f800001
	s_mov_b32 s15, exec_lo
	v_cmpx_ne_u32_e32 0x7f, v70
	s_cbranch_execz .LBB388_811
; %bb.808:                              ;   in Loop: Header=BB388_629 Depth=1
	v_and_b32_sdwa v10, v19, v42 dst_sel:DWORD dst_unused:UNUSED_PAD src0_sel:BYTE_3 src1_sel:DWORD
	v_lshrrev_b32_e32 v18, 3, v70
	s_mov_b32 s16, exec_lo
	v_cmpx_gt_u32_e32 8, v70
; %bb.809:                              ;   in Loop: Header=BB388_629 Depth=1
	v_ffbh_u32_e32 v18, v10
	v_min_u32_e32 v18, 32, v18
	v_subrev_nc_u32_e32 v21, 28, v18
	v_sub_nc_u32_e32 v18, 29, v18
	v_lshlrev_b64 v[70:71], v21, v[10:11]
	v_and_b32_e32 v10, 7, v70
; %bb.810:                              ;   in Loop: Header=BB388_629 Depth=1
	s_or_b32 exec_lo, exec_lo, s16
	v_lshlrev_b32_sdwa v19, v43, v19 dst_sel:DWORD dst_unused:UNUSED_PAD src0_sel:DWORD src1_sel:BYTE_3
	v_lshlrev_b32_e32 v10, 20, v10
	v_lshl_add_u32 v18, v18, 23, 0x3c000000
	v_and_b32_e32 v19, 0x80000000, v19
	v_or3_b32 v21, v10, v19, v18
.LBB388_811:                            ;   in Loop: Header=BB388_629 Depth=1
	s_or_b32 exec_lo, exec_lo, s15
.LBB388_812:                            ;   in Loop: Header=BB388_629 Depth=1
	s_or_b32 exec_lo, exec_lo, s14
.LBB388_813:                            ;   in Loop: Header=BB388_629 Depth=1
	s_or_b32 exec_lo, exec_lo, s13
	v_mul_f32_e32 v10, s6, v20
	v_mul_f32_e32 v18, s6, v68
	;; [unrolled: 1-line block ×5, first 2 shown]
	v_bfe_u32 v23, v10, 16, 1
	v_or_b32_e32 v67, 0x400000, v10
	v_bfe_u32 v68, v18, 16, 1
	v_cmp_u_f32_e64 s0, v10, v10
	v_or_b32_e32 v70, 0x400000, v18
	v_add3_u32 v23, v23, v10, 0x7fff
	v_bfe_u32 v71, v19, 16, 1
	v_add3_u32 v68, v68, v18, 0x7fff
	v_or_b32_e32 v72, 0x400000, v19
	v_bfe_u32 v73, v20, 16, 1
	v_cndmask_b32_e64 v10, v23, v67, s0
	v_cmp_u_f32_e64 s0, v18, v18
	v_add3_u32 v71, v71, v19, 0x7fff
	v_or_b32_e32 v23, 0x400000, v20
	v_mul_f32_e32 v21, s6, v21
	v_lshrrev_b32_e32 v67, 16, v10
	v_cndmask_b32_e64 v18, v68, v70, s0
	v_cmp_u_f32_e64 s0, v19, v19
	v_mul_f32_e32 v10, s6, v22
	v_add3_u32 v22, v73, v20, 0x7fff
	v_lshrrev_b32_e32 v68, 16, v18
	v_cndmask_b32_e64 v19, v71, v72, s0
	v_bfe_u32 v18, v10, 16, 1
	v_cmp_u_f32_e64 s0, v20, v20
	v_mul_f32_e32 v20, s6, v69
	v_or_b32_e32 v72, 0x400000, v21
	v_lshrrev_b32_e32 v70, 16, v19
	v_add3_u32 v18, v18, v10, 0x7fff
	v_cndmask_b32_e64 v19, v22, v23, s0
	v_or_b32_e32 v22, 0x400000, v10
	v_bfe_u32 v23, v0, 16, 1
	v_cmp_u_f32_e64 s0, v10, v10
	v_bfe_u32 v69, v20, 16, 1
	v_or_b32_e32 v71, 0x400000, v20
	v_cndmask_b32_e64 v10, v18, v22, s0
	v_add3_u32 v22, v23, v0, 0x7fff
	v_or_b32_e32 v23, 0x400000, v0
	v_cmp_u_f32_e64 s0, v0, v0
	v_bfe_u32 v18, v21, 16, 1
	v_add3_u32 v69, v69, v20, 0x7fff
	v_lshrrev_b32_e32 v74, 16, v10
	v_cndmask_b32_e64 v0, v22, v23, s0
	v_cmp_u_f32_e64 s0, v20, v20
	v_add3_u32 v18, v18, v21, 0x7fff
	v_lshrrev_b32_e32 v73, 16, v0
	v_cndmask_b32_e64 v20, v69, v71, s0
	v_cmp_u_f32_e64 s0, v21, v21
	v_lshrrev_b32_e32 v69, 16, v20
	v_cndmask_b32_e64 v18, v18, v72, s0
	v_lshrrev_b32_e32 v72, 16, v19
	v_lshrrev_b32_e32 v71, 16, v18
	s_and_saveexec_b32 s13, vcc_lo
	s_cbranch_execz .LBB388_815
; %bb.814:                              ;   in Loop: Header=BB388_629 Depth=1
	v_cmp_gt_i32_e64 s0, s29, v60
	v_cndmask_b32_e64 v73, 0, v73, s0
	v_cmp_gt_i32_e64 s0, s29, v66
	v_cndmask_b32_e64 v74, 0, v74, s0
	;; [unrolled: 2-line block ×8, first 2 shown]
.LBB388_815:                            ;   in Loop: Header=BB388_629 Depth=1
	s_or_b32 exec_lo, exec_lo, s13
	global_load_dwordx2 v[18:19], v[16:17], off offset:768
	v_mov_b32_e32 v22, 0
	v_mov_b32_e32 v0, 0
	s_waitcnt vmcnt(0)
	v_cmp_ne_u16_sdwa s0, v18, v11 src0_sel:BYTE_0 src1_sel:DWORD
	s_and_saveexec_b32 s13, s0
	s_cbranch_execz .LBB388_821
; %bb.816:                              ;   in Loop: Header=BB388_629 Depth=1
	v_cmp_ne_u16_sdwa s0, v18, v39 src0_sel:BYTE_0 src1_sel:DWORD
	v_bfrev_b32_e32 v0, 1
	s_and_saveexec_b32 s14, s0
	s_cbranch_execz .LBB388_820
; %bb.817:                              ;   in Loop: Header=BB388_629 Depth=1
	v_and_b32_e32 v10, 0x7f, v18
	v_mov_b32_e32 v0, 0x7f800001
	s_mov_b32 s15, exec_lo
	v_cmpx_ne_u32_e32 0x7f, v10
	s_cbranch_execz .LBB388_819
; %bb.818:                              ;   in Loop: Header=BB388_629 Depth=1
	v_and_b32_e32 v0, 7, v18
	v_cmp_gt_u32_e64 s0, 8, v10
	v_lshrrev_b32_e32 v20, 3, v10
	v_ffbh_u32_e32 v0, v0
	v_min_u32_e32 v0, 32, v0
	v_subrev_nc_u32_e32 v21, 28, v0
	v_sub_nc_u32_e32 v0, 29, v0
	v_cndmask_b32_e64 v10, 0, v21, s0
	v_cndmask_b32_e64 v0, v20, v0, s0
	v_lshlrev_b64 v[20:21], v10, v[18:19]
	v_lshlrev_b32_e32 v10, 24, v18
	v_lshl_add_u32 v0, v0, 23, 0x3c000000
	v_and_b32_e32 v10, 0x80000000, v10
	v_lshlrev_b32_e32 v20, 20, v20
	v_and_b32_e32 v20, 0x700000, v20
	v_or3_b32 v0, v20, v10, v0
.LBB388_819:                            ;   in Loop: Header=BB388_629 Depth=1
	s_or_b32 exec_lo, exec_lo, s15
.LBB388_820:                            ;   in Loop: Header=BB388_629 Depth=1
	s_or_b32 exec_lo, exec_lo, s14
.LBB388_821:                            ;   in Loop: Header=BB388_629 Depth=1
	s_or_b32 exec_lo, exec_lo, s13
	v_cmp_ne_u16_sdwa s0, v18, v11 src0_sel:BYTE_1 src1_sel:DWORD
	s_and_saveexec_b32 s13, s0
	s_cbranch_execz .LBB388_829
; %bb.822:                              ;   in Loop: Header=BB388_629 Depth=1
	v_cmp_ne_u16_sdwa s0, v18, v39 src0_sel:BYTE_1 src1_sel:DWORD
	v_bfrev_b32_e32 v22, 1
	s_and_saveexec_b32 s14, s0
	s_cbranch_execz .LBB388_828
; %bb.823:                              ;   in Loop: Header=BB388_629 Depth=1
	v_and_b32_sdwa v10, v40, v18 dst_sel:DWORD dst_unused:UNUSED_PAD src0_sel:DWORD src1_sel:BYTE_1
	v_mov_b32_e32 v22, 0x7f800001
	s_mov_b32 s15, exec_lo
	v_and_b32_e32 v21, 0x7f, v10
	v_cmpx_ne_u32_e32 0x7f, v21
	s_cbranch_execz .LBB388_827
; %bb.824:                              ;   in Loop: Header=BB388_629 Depth=1
	v_and_b32_e32 v10, 7, v10
	v_lshrrev_b32_e32 v20, 3, v21
	s_mov_b32 s16, exec_lo
	v_cmpx_gt_u32_e32 8, v21
; %bb.825:                              ;   in Loop: Header=BB388_629 Depth=1
	v_ffbh_u32_e32 v20, v10
	v_min_u32_e32 v20, 32, v20
	v_subrev_nc_u32_e32 v21, 28, v20
	v_sub_nc_u32_e32 v20, 29, v20
	v_lshlrev_b64 v[21:22], v21, v[10:11]
	v_and_b32_e32 v10, 7, v21
; %bb.826:                              ;   in Loop: Header=BB388_629 Depth=1
	s_or_b32 exec_lo, exec_lo, s16
	v_lshlrev_b32_e32 v21, 16, v18
	v_lshlrev_b32_e32 v10, 20, v10
	v_lshl_add_u32 v20, v20, 23, 0x3c000000
	v_and_b32_e32 v21, 0x80000000, v21
	v_or3_b32 v22, v10, v21, v20
.LBB388_827:                            ;   in Loop: Header=BB388_629 Depth=1
	s_or_b32 exec_lo, exec_lo, s15
.LBB388_828:                            ;   in Loop: Header=BB388_629 Depth=1
	s_or_b32 exec_lo, exec_lo, s14
.LBB388_829:                            ;   in Loop: Header=BB388_629 Depth=1
	s_or_b32 exec_lo, exec_lo, s13
	v_and_b32_sdwa v10, v18, v41 dst_sel:DWORD dst_unused:UNUSED_PAD src0_sel:WORD_1 src1_sel:DWORD
	v_mov_b32_e32 v75, 0
	v_mov_b32_e32 v23, 0
	s_mov_b32 s13, exec_lo
	v_cmpx_ne_u16_e32 0, v10
	s_cbranch_execz .LBB388_837
; %bb.830:                              ;   in Loop: Header=BB388_629 Depth=1
	v_bfrev_b32_e32 v23, 1
	s_mov_b32 s14, exec_lo
	v_cmpx_ne_u16_e32 0x80, v10
	s_cbranch_execz .LBB388_836
; %bb.831:                              ;   in Loop: Header=BB388_629 Depth=1
	v_bfe_u32 v21, v18, 16, 7
	v_mov_b32_e32 v23, 0x7f800001
	s_mov_b32 s15, exec_lo
	v_cmpx_ne_u32_e32 0x7f, v21
	s_cbranch_execz .LBB388_835
; %bb.832:                              ;   in Loop: Header=BB388_629 Depth=1
	v_and_b32_sdwa v10, v18, v42 dst_sel:DWORD dst_unused:UNUSED_PAD src0_sel:WORD_1 src1_sel:DWORD
	v_lshrrev_b32_e32 v20, 3, v21
	s_mov_b32 s16, exec_lo
	v_cmpx_gt_u32_e32 8, v21
; %bb.833:                              ;   in Loop: Header=BB388_629 Depth=1
	v_ffbh_u32_e32 v20, v10
	v_min_u32_e32 v20, 32, v20
	v_subrev_nc_u32_e32 v21, 28, v20
	v_sub_nc_u32_e32 v20, 29, v20
	v_lshlrev_b64 v[76:77], v21, v[10:11]
	v_and_b32_e32 v10, 7, v76
; %bb.834:                              ;   in Loop: Header=BB388_629 Depth=1
	s_or_b32 exec_lo, exec_lo, s16
	v_lshlrev_b32_sdwa v21, v43, v18 dst_sel:DWORD dst_unused:UNUSED_PAD src0_sel:DWORD src1_sel:WORD_1
	v_lshlrev_b32_e32 v10, 20, v10
	v_lshl_add_u32 v20, v20, 23, 0x3c000000
	v_and_b32_e32 v21, 0x80000000, v21
	v_or3_b32 v23, v10, v21, v20
.LBB388_835:                            ;   in Loop: Header=BB388_629 Depth=1
	s_or_b32 exec_lo, exec_lo, s15
.LBB388_836:                            ;   in Loop: Header=BB388_629 Depth=1
	s_or_b32 exec_lo, exec_lo, s14
.LBB388_837:                            ;   in Loop: Header=BB388_629 Depth=1
	s_or_b32 exec_lo, exec_lo, s13
	s_mov_b32 s13, exec_lo
	v_cmpx_lt_u32_e32 0xffffff, v18
	s_cbranch_execz .LBB388_845
; %bb.838:                              ;   in Loop: Header=BB388_629 Depth=1
	v_cmp_ne_u32_sdwa s0, v18, v39 src0_sel:BYTE_3 src1_sel:DWORD
	v_bfrev_b32_e32 v75, 1
	s_and_saveexec_b32 s14, s0
	s_cbranch_execz .LBB388_844
; %bb.839:                              ;   in Loop: Header=BB388_629 Depth=1
	v_bfe_u32 v21, v18, 24, 7
	v_mov_b32_e32 v75, 0x7f800001
	s_mov_b32 s15, exec_lo
	v_cmpx_ne_u32_e32 0x7f, v21
	s_cbranch_execz .LBB388_843
; %bb.840:                              ;   in Loop: Header=BB388_629 Depth=1
	v_and_b32_sdwa v10, v18, v42 dst_sel:DWORD dst_unused:UNUSED_PAD src0_sel:BYTE_3 src1_sel:DWORD
	v_lshrrev_b32_e32 v20, 3, v21
	s_mov_b32 s16, exec_lo
	v_cmpx_gt_u32_e32 8, v21
; %bb.841:                              ;   in Loop: Header=BB388_629 Depth=1
	v_ffbh_u32_e32 v20, v10
	v_min_u32_e32 v20, 32, v20
	v_subrev_nc_u32_e32 v21, 28, v20
	v_sub_nc_u32_e32 v20, 29, v20
	v_lshlrev_b64 v[75:76], v21, v[10:11]
	v_and_b32_e32 v10, 7, v75
; %bb.842:                              ;   in Loop: Header=BB388_629 Depth=1
	s_or_b32 exec_lo, exec_lo, s16
	v_lshlrev_b32_sdwa v21, v43, v18 dst_sel:DWORD dst_unused:UNUSED_PAD src0_sel:DWORD src1_sel:BYTE_3
	v_lshlrev_b32_e32 v10, 20, v10
	v_lshl_add_u32 v20, v20, 23, 0x3c000000
	v_and_b32_e32 v21, 0x80000000, v21
	v_or3_b32 v75, v10, v21, v20
.LBB388_843:                            ;   in Loop: Header=BB388_629 Depth=1
	s_or_b32 exec_lo, exec_lo, s15
.LBB388_844:                            ;   in Loop: Header=BB388_629 Depth=1
	s_or_b32 exec_lo, exec_lo, s14
.LBB388_845:                            ;   in Loop: Header=BB388_629 Depth=1
	s_or_b32 exec_lo, exec_lo, s13
	v_mov_b32_e32 v10, v19
	v_cmp_ne_u16_sdwa s0, v19, v11 src0_sel:BYTE_0 src1_sel:DWORD
	v_mov_b32_e32 v20, 0
	v_mov_b32_e32 v76, 0
	s_and_saveexec_b32 s13, s0
	s_cbranch_execz .LBB388_851
; %bb.846:                              ;   in Loop: Header=BB388_629 Depth=1
	v_cmp_ne_u16_sdwa s0, v19, v39 src0_sel:BYTE_0 src1_sel:DWORD
	v_bfrev_b32_e32 v76, 1
	s_and_saveexec_b32 s14, s0
	s_cbranch_execz .LBB388_850
; %bb.847:                              ;   in Loop: Header=BB388_629 Depth=1
	v_and_b32_e32 v21, 0x7f, v19
	v_mov_b32_e32 v76, 0x7f800001
	s_mov_b32 s15, exec_lo
	v_cmpx_ne_u32_e32 0x7f, v21
	s_cbranch_execz .LBB388_849
; %bb.848:                              ;   in Loop: Header=BB388_629 Depth=1
	v_and_b32_e32 v76, 7, v19
	v_lshrrev_b32_e32 v77, 3, v21
	v_cmp_gt_u32_e64 s0, 8, v21
	v_ffbh_u32_e32 v76, v76
	v_min_u32_e32 v76, 32, v76
	v_subrev_nc_u32_e32 v78, 28, v76
	v_sub_nc_u32_e32 v76, 29, v76
	v_cndmask_b32_e64 v21, v77, v76, s0
	v_cndmask_b32_e64 v76, 0, v78, s0
	v_lshl_add_u32 v21, v21, 23, 0x3c000000
	v_lshlrev_b64 v[76:77], v76, v[10:11]
	v_lshlrev_b32_e32 v77, 24, v10
	v_lshlrev_b32_e32 v76, 20, v76
	v_and_b32_e32 v77, 0x80000000, v77
	v_and_b32_e32 v76, 0x700000, v76
	v_or3_b32 v76, v76, v77, v21
.LBB388_849:                            ;   in Loop: Header=BB388_629 Depth=1
	s_or_b32 exec_lo, exec_lo, s15
.LBB388_850:                            ;   in Loop: Header=BB388_629 Depth=1
	s_or_b32 exec_lo, exec_lo, s14
.LBB388_851:                            ;   in Loop: Header=BB388_629 Depth=1
	s_or_b32 exec_lo, exec_lo, s13
	v_cmp_ne_u16_sdwa s0, v10, v11 src0_sel:BYTE_1 src1_sel:DWORD
	s_and_saveexec_b32 s13, s0
	s_cbranch_execz .LBB388_859
; %bb.852:                              ;   in Loop: Header=BB388_629 Depth=1
	v_cmp_ne_u16_sdwa s0, v10, v39 src0_sel:BYTE_1 src1_sel:DWORD
	v_bfrev_b32_e32 v20, 1
	s_and_saveexec_b32 s14, s0
	s_cbranch_execz .LBB388_858
; %bb.853:                              ;   in Loop: Header=BB388_629 Depth=1
	v_and_b32_sdwa v21, v40, v10 dst_sel:DWORD dst_unused:UNUSED_PAD src0_sel:DWORD src1_sel:BYTE_1
	v_mov_b32_e32 v20, 0x7f800001
	s_mov_b32 s15, exec_lo
	v_and_b32_e32 v78, 0x7f, v21
	v_cmpx_ne_u32_e32 0x7f, v78
	s_cbranch_execz .LBB388_857
; %bb.854:                              ;   in Loop: Header=BB388_629 Depth=1
	v_and_b32_e32 v20, 7, v21
	v_mov_b32_e32 v21, v11
	v_lshrrev_b32_e32 v77, 3, v78
	s_mov_b32 s16, exec_lo
	v_cmpx_gt_u32_e32 8, v78
; %bb.855:                              ;   in Loop: Header=BB388_629 Depth=1
	v_ffbh_u32_e32 v77, v20
	v_min_u32_e32 v77, 32, v77
	v_subrev_nc_u32_e32 v78, 28, v77
	v_sub_nc_u32_e32 v77, 29, v77
	v_lshlrev_b64 v[20:21], v78, v[20:21]
	v_and_b32_e32 v20, 7, v20
; %bb.856:                              ;   in Loop: Header=BB388_629 Depth=1
	s_or_b32 exec_lo, exec_lo, s16
	v_lshlrev_b32_e32 v10, 16, v10
	v_lshlrev_b32_e32 v20, 20, v20
	v_lshl_add_u32 v21, v77, 23, 0x3c000000
	v_and_b32_e32 v10, 0x80000000, v10
	v_or3_b32 v20, v20, v10, v21
.LBB388_857:                            ;   in Loop: Header=BB388_629 Depth=1
	s_or_b32 exec_lo, exec_lo, s15
.LBB388_858:                            ;   in Loop: Header=BB388_629 Depth=1
	s_or_b32 exec_lo, exec_lo, s14
.LBB388_859:                            ;   in Loop: Header=BB388_629 Depth=1
	s_or_b32 exec_lo, exec_lo, s13
	v_and_b32_sdwa v10, v19, v41 dst_sel:DWORD dst_unused:UNUSED_PAD src0_sel:WORD_1 src1_sel:DWORD
	v_mov_b32_e32 v21, 0
	v_mov_b32_e32 v77, 0
	s_mov_b32 s13, exec_lo
	v_cmpx_ne_u16_e32 0, v10
	s_cbranch_execz .LBB388_867
; %bb.860:                              ;   in Loop: Header=BB388_629 Depth=1
	v_bfrev_b32_e32 v77, 1
	s_mov_b32 s14, exec_lo
	v_cmpx_ne_u16_e32 0x80, v10
	s_cbranch_execz .LBB388_866
; %bb.861:                              ;   in Loop: Header=BB388_629 Depth=1
	v_bfe_u32 v78, v19, 16, 7
	v_mov_b32_e32 v77, 0x7f800001
	s_mov_b32 s15, exec_lo
	v_cmpx_ne_u32_e32 0x7f, v78
	s_cbranch_execz .LBB388_865
; %bb.862:                              ;   in Loop: Header=BB388_629 Depth=1
	v_and_b32_sdwa v10, v19, v42 dst_sel:DWORD dst_unused:UNUSED_PAD src0_sel:WORD_1 src1_sel:DWORD
	v_lshrrev_b32_e32 v77, 3, v78
	s_mov_b32 s16, exec_lo
	v_cmpx_gt_u32_e32 8, v78
; %bb.863:                              ;   in Loop: Header=BB388_629 Depth=1
	v_ffbh_u32_e32 v77, v10
	v_min_u32_e32 v77, 32, v77
	v_subrev_nc_u32_e32 v78, 28, v77
	v_sub_nc_u32_e32 v77, 29, v77
	v_lshlrev_b64 v[78:79], v78, v[10:11]
	v_and_b32_e32 v10, 7, v78
; %bb.864:                              ;   in Loop: Header=BB388_629 Depth=1
	s_or_b32 exec_lo, exec_lo, s16
	v_lshlrev_b32_sdwa v78, v43, v19 dst_sel:DWORD dst_unused:UNUSED_PAD src0_sel:DWORD src1_sel:WORD_1
	v_lshlrev_b32_e32 v10, 20, v10
	v_lshl_add_u32 v77, v77, 23, 0x3c000000
	v_and_b32_e32 v78, 0x80000000, v78
	v_or3_b32 v77, v10, v78, v77
.LBB388_865:                            ;   in Loop: Header=BB388_629 Depth=1
	s_or_b32 exec_lo, exec_lo, s15
.LBB388_866:                            ;   in Loop: Header=BB388_629 Depth=1
	s_or_b32 exec_lo, exec_lo, s14
.LBB388_867:                            ;   in Loop: Header=BB388_629 Depth=1
	s_or_b32 exec_lo, exec_lo, s13
	s_mov_b32 s13, exec_lo
	v_cmpx_lt_u64_e64 s[4:5], v[18:19]
	s_cbranch_execz .LBB388_875
; %bb.868:                              ;   in Loop: Header=BB388_629 Depth=1
	v_cmp_ne_u32_sdwa s0, v19, v39 src0_sel:BYTE_3 src1_sel:DWORD
	v_bfrev_b32_e32 v21, 1
	s_and_saveexec_b32 s14, s0
	s_cbranch_execz .LBB388_874
; %bb.869:                              ;   in Loop: Header=BB388_629 Depth=1
	v_bfe_u32 v78, v19, 24, 7
	v_mov_b32_e32 v21, 0x7f800001
	s_mov_b32 s15, exec_lo
	v_cmpx_ne_u32_e32 0x7f, v78
	s_cbranch_execz .LBB388_873
; %bb.870:                              ;   in Loop: Header=BB388_629 Depth=1
	v_and_b32_sdwa v10, v19, v42 dst_sel:DWORD dst_unused:UNUSED_PAD src0_sel:BYTE_3 src1_sel:DWORD
	v_lshrrev_b32_e32 v18, 3, v78
	s_mov_b32 s16, exec_lo
	v_cmpx_gt_u32_e32 8, v78
; %bb.871:                              ;   in Loop: Header=BB388_629 Depth=1
	v_ffbh_u32_e32 v18, v10
	v_min_u32_e32 v18, 32, v18
	v_subrev_nc_u32_e32 v21, 28, v18
	v_sub_nc_u32_e32 v18, 29, v18
	v_lshlrev_b64 v[78:79], v21, v[10:11]
	v_and_b32_e32 v10, 7, v78
; %bb.872:                              ;   in Loop: Header=BB388_629 Depth=1
	s_or_b32 exec_lo, exec_lo, s16
	v_lshlrev_b32_sdwa v19, v43, v19 dst_sel:DWORD dst_unused:UNUSED_PAD src0_sel:DWORD src1_sel:BYTE_3
	v_lshlrev_b32_e32 v10, 20, v10
	v_lshl_add_u32 v18, v18, 23, 0x3c000000
	v_and_b32_e32 v19, 0x80000000, v19
	v_or3_b32 v21, v10, v19, v18
.LBB388_873:                            ;   in Loop: Header=BB388_629 Depth=1
	s_or_b32 exec_lo, exec_lo, s15
.LBB388_874:                            ;   in Loop: Header=BB388_629 Depth=1
	s_or_b32 exec_lo, exec_lo, s14
.LBB388_875:                            ;   in Loop: Header=BB388_629 Depth=1
	s_or_b32 exec_lo, exec_lo, s13
	v_mul_f32_e32 v10, s6, v20
	v_mul_f32_e32 v18, s6, v76
	;; [unrolled: 1-line block ×5, first 2 shown]
	v_bfe_u32 v23, v10, 16, 1
	v_or_b32_e32 v75, 0x400000, v10
	v_bfe_u32 v76, v18, 16, 1
	v_cmp_u_f32_e64 s0, v10, v10
	v_or_b32_e32 v78, 0x400000, v18
	v_add3_u32 v23, v23, v10, 0x7fff
	v_bfe_u32 v79, v19, 16, 1
	v_add3_u32 v76, v76, v18, 0x7fff
	v_or_b32_e32 v80, 0x400000, v19
	v_bfe_u32 v81, v20, 16, 1
	v_cndmask_b32_e64 v10, v23, v75, s0
	v_cmp_u_f32_e64 s0, v18, v18
	v_add3_u32 v79, v79, v19, 0x7fff
	v_or_b32_e32 v23, 0x400000, v20
	v_mul_f32_e32 v21, s6, v21
	v_lshrrev_b32_e32 v75, 16, v10
	v_cndmask_b32_e64 v18, v76, v78, s0
	v_cmp_u_f32_e64 s0, v19, v19
	v_mul_f32_e32 v10, s6, v22
	v_add3_u32 v22, v81, v20, 0x7fff
	v_lshrrev_b32_e32 v76, 16, v18
	v_cndmask_b32_e64 v19, v79, v80, s0
	v_bfe_u32 v18, v10, 16, 1
	v_cmp_u_f32_e64 s0, v20, v20
	v_mul_f32_e32 v20, s6, v77
	v_or_b32_e32 v80, 0x400000, v21
	v_lshrrev_b32_e32 v78, 16, v19
	v_add3_u32 v18, v18, v10, 0x7fff
	v_cndmask_b32_e64 v19, v22, v23, s0
	v_or_b32_e32 v22, 0x400000, v10
	v_bfe_u32 v23, v0, 16, 1
	v_cmp_u_f32_e64 s0, v10, v10
	v_bfe_u32 v77, v20, 16, 1
	v_or_b32_e32 v79, 0x400000, v20
	v_cndmask_b32_e64 v10, v18, v22, s0
	v_add3_u32 v22, v23, v0, 0x7fff
	v_or_b32_e32 v23, 0x400000, v0
	v_cmp_u_f32_e64 s0, v0, v0
	v_bfe_u32 v18, v21, 16, 1
	v_add3_u32 v77, v77, v20, 0x7fff
	v_lshrrev_b32_e32 v82, 16, v10
	v_cndmask_b32_e64 v0, v22, v23, s0
	v_cmp_u_f32_e64 s0, v20, v20
	v_add3_u32 v18, v18, v21, 0x7fff
	v_lshrrev_b32_e32 v81, 16, v0
	v_cndmask_b32_e64 v20, v77, v79, s0
	v_cmp_u_f32_e64 s0, v21, v21
	v_lshrrev_b32_e32 v77, 16, v20
	v_cndmask_b32_e64 v18, v18, v80, s0
	v_lshrrev_b32_e32 v80, 16, v19
	v_lshrrev_b32_e32 v79, 16, v18
	s_and_saveexec_b32 s13, vcc_lo
	s_cbranch_execz .LBB388_877
; %bb.876:                              ;   in Loop: Header=BB388_629 Depth=1
	v_cmp_gt_i32_e64 s0, s29, v60
	v_cndmask_b32_e64 v81, 0, v81, s0
	v_cmp_gt_i32_e64 s0, s29, v66
	v_cndmask_b32_e64 v82, 0, v82, s0
	;; [unrolled: 2-line block ×8, first 2 shown]
.LBB388_877:                            ;   in Loop: Header=BB388_629 Depth=1
	s_or_b32 exec_lo, exec_lo, s13
	global_load_dwordx2 v[18:19], v[16:17], off offset:1024
	v_mov_b32_e32 v22, 0
	v_mov_b32_e32 v23, 0
	s_waitcnt vmcnt(0)
	v_cmp_ne_u16_sdwa s0, v18, v11 src0_sel:BYTE_0 src1_sel:DWORD
	s_and_saveexec_b32 s13, s0
	s_cbranch_execz .LBB388_883
; %bb.878:                              ;   in Loop: Header=BB388_629 Depth=1
	v_cmp_ne_u16_sdwa s0, v18, v39 src0_sel:BYTE_0 src1_sel:DWORD
	v_bfrev_b32_e32 v23, 1
	s_and_saveexec_b32 s14, s0
	s_cbranch_execz .LBB388_882
; %bb.879:                              ;   in Loop: Header=BB388_629 Depth=1
	v_and_b32_e32 v0, 0x7f, v18
	v_mov_b32_e32 v23, 0x7f800001
	s_mov_b32 s15, exec_lo
	v_cmpx_ne_u32_e32 0x7f, v0
	s_cbranch_execz .LBB388_881
; %bb.880:                              ;   in Loop: Header=BB388_629 Depth=1
	v_and_b32_e32 v10, 7, v18
	v_lshrrev_b32_e32 v20, 3, v0
	v_cmp_gt_u32_e64 s0, 8, v0
	v_ffbh_u32_e32 v10, v10
	v_min_u32_e32 v10, 32, v10
	v_subrev_nc_u32_e32 v21, 28, v10
	v_sub_nc_u32_e32 v10, 29, v10
	v_cndmask_b32_e64 v0, v20, v10, s0
	v_cndmask_b32_e64 v10, 0, v21, s0
	v_lshl_add_u32 v0, v0, 23, 0x3c000000
	v_lshlrev_b64 v[20:21], v10, v[18:19]
	v_lshlrev_b32_e32 v10, 24, v18
	v_and_b32_e32 v10, 0x80000000, v10
	v_lshlrev_b32_e32 v20, 20, v20
	v_and_b32_e32 v20, 0x700000, v20
	v_or3_b32 v23, v20, v10, v0
.LBB388_881:                            ;   in Loop: Header=BB388_629 Depth=1
	s_or_b32 exec_lo, exec_lo, s15
.LBB388_882:                            ;   in Loop: Header=BB388_629 Depth=1
	s_or_b32 exec_lo, exec_lo, s14
.LBB388_883:                            ;   in Loop: Header=BB388_629 Depth=1
	s_or_b32 exec_lo, exec_lo, s13
	v_cmp_ne_u16_sdwa s0, v18, v11 src0_sel:BYTE_1 src1_sel:DWORD
	s_and_saveexec_b32 s13, s0
	s_cbranch_execz .LBB388_891
; %bb.884:                              ;   in Loop: Header=BB388_629 Depth=1
	v_cmp_ne_u16_sdwa s0, v18, v39 src0_sel:BYTE_1 src1_sel:DWORD
	v_bfrev_b32_e32 v22, 1
	s_and_saveexec_b32 s14, s0
	s_cbranch_execz .LBB388_890
; %bb.885:                              ;   in Loop: Header=BB388_629 Depth=1
	v_and_b32_sdwa v0, v40, v18 dst_sel:DWORD dst_unused:UNUSED_PAD src0_sel:DWORD src1_sel:BYTE_1
	v_mov_b32_e32 v22, 0x7f800001
	s_mov_b32 s15, exec_lo
	v_and_b32_e32 v20, 0x7f, v0
	v_cmpx_ne_u32_e32 0x7f, v20
	s_cbranch_execz .LBB388_889
; %bb.886:                              ;   in Loop: Header=BB388_629 Depth=1
	v_and_b32_e32 v10, 7, v0
	v_lshrrev_b32_e32 v0, 3, v20
	s_mov_b32 s16, exec_lo
	v_cmpx_gt_u32_e32 8, v20
; %bb.887:                              ;   in Loop: Header=BB388_629 Depth=1
	v_ffbh_u32_e32 v0, v10
	v_min_u32_e32 v0, 32, v0
	v_subrev_nc_u32_e32 v20, 28, v0
	v_sub_nc_u32_e32 v0, 29, v0
	v_lshlrev_b64 v[20:21], v20, v[10:11]
	v_and_b32_e32 v10, 7, v20
; %bb.888:                              ;   in Loop: Header=BB388_629 Depth=1
	s_or_b32 exec_lo, exec_lo, s16
	v_lshlrev_b32_e32 v20, 16, v18
	v_lshlrev_b32_e32 v10, 20, v10
	v_lshl_add_u32 v0, v0, 23, 0x3c000000
	v_and_b32_e32 v20, 0x80000000, v20
	v_or3_b32 v22, v10, v20, v0
.LBB388_889:                            ;   in Loop: Header=BB388_629 Depth=1
	s_or_b32 exec_lo, exec_lo, s15
.LBB388_890:                            ;   in Loop: Header=BB388_629 Depth=1
	s_or_b32 exec_lo, exec_lo, s14
.LBB388_891:                            ;   in Loop: Header=BB388_629 Depth=1
	s_or_b32 exec_lo, exec_lo, s13
	v_and_b32_sdwa v10, v18, v41 dst_sel:DWORD dst_unused:UNUSED_PAD src0_sel:WORD_1 src1_sel:DWORD
	v_mov_b32_e32 v83, 0
	v_mov_b32_e32 v0, 0
	s_mov_b32 s13, exec_lo
	v_cmpx_ne_u16_e32 0, v10
	s_cbranch_execz .LBB388_899
; %bb.892:                              ;   in Loop: Header=BB388_629 Depth=1
	v_bfrev_b32_e32 v0, 1
	s_mov_b32 s14, exec_lo
	v_cmpx_ne_u16_e32 0x80, v10
	s_cbranch_execz .LBB388_898
; %bb.893:                              ;   in Loop: Header=BB388_629 Depth=1
	v_bfe_u32 v20, v18, 16, 7
	v_mov_b32_e32 v0, 0x7f800001
	s_mov_b32 s15, exec_lo
	v_cmpx_ne_u32_e32 0x7f, v20
	s_cbranch_execz .LBB388_897
; %bb.894:                              ;   in Loop: Header=BB388_629 Depth=1
	v_and_b32_sdwa v10, v18, v42 dst_sel:DWORD dst_unused:UNUSED_PAD src0_sel:WORD_1 src1_sel:DWORD
	v_lshrrev_b32_e32 v0, 3, v20
	s_mov_b32 s16, exec_lo
	v_cmpx_gt_u32_e32 8, v20
; %bb.895:                              ;   in Loop: Header=BB388_629 Depth=1
	v_ffbh_u32_e32 v0, v10
	v_min_u32_e32 v0, 32, v0
	v_subrev_nc_u32_e32 v20, 28, v0
	v_sub_nc_u32_e32 v0, 29, v0
	v_lshlrev_b64 v[20:21], v20, v[10:11]
	v_and_b32_e32 v10, 7, v20
; %bb.896:                              ;   in Loop: Header=BB388_629 Depth=1
	s_or_b32 exec_lo, exec_lo, s16
	v_lshlrev_b32_sdwa v20, v43, v18 dst_sel:DWORD dst_unused:UNUSED_PAD src0_sel:DWORD src1_sel:WORD_1
	v_lshlrev_b32_e32 v10, 20, v10
	v_lshl_add_u32 v0, v0, 23, 0x3c000000
	v_and_b32_e32 v20, 0x80000000, v20
	v_or3_b32 v0, v10, v20, v0
.LBB388_897:                            ;   in Loop: Header=BB388_629 Depth=1
	s_or_b32 exec_lo, exec_lo, s15
.LBB388_898:                            ;   in Loop: Header=BB388_629 Depth=1
	s_or_b32 exec_lo, exec_lo, s14
.LBB388_899:                            ;   in Loop: Header=BB388_629 Depth=1
	s_or_b32 exec_lo, exec_lo, s13
	s_mov_b32 s13, exec_lo
	v_cmpx_lt_u32_e32 0xffffff, v18
	s_cbranch_execz .LBB388_907
; %bb.900:                              ;   in Loop: Header=BB388_629 Depth=1
	v_cmp_ne_u32_sdwa s0, v18, v39 src0_sel:BYTE_3 src1_sel:DWORD
	v_bfrev_b32_e32 v83, 1
	s_and_saveexec_b32 s14, s0
	s_cbranch_execz .LBB388_906
; %bb.901:                              ;   in Loop: Header=BB388_629 Depth=1
	v_bfe_u32 v21, v18, 24, 7
	v_mov_b32_e32 v83, 0x7f800001
	s_mov_b32 s15, exec_lo
	v_cmpx_ne_u32_e32 0x7f, v21
	s_cbranch_execz .LBB388_905
; %bb.902:                              ;   in Loop: Header=BB388_629 Depth=1
	v_and_b32_sdwa v10, v18, v42 dst_sel:DWORD dst_unused:UNUSED_PAD src0_sel:BYTE_3 src1_sel:DWORD
	v_lshrrev_b32_e32 v20, 3, v21
	s_mov_b32 s16, exec_lo
	v_cmpx_gt_u32_e32 8, v21
; %bb.903:                              ;   in Loop: Header=BB388_629 Depth=1
	v_ffbh_u32_e32 v20, v10
	v_min_u32_e32 v20, 32, v20
	v_subrev_nc_u32_e32 v21, 28, v20
	v_sub_nc_u32_e32 v20, 29, v20
	v_lshlrev_b64 v[83:84], v21, v[10:11]
	v_and_b32_e32 v10, 7, v83
; %bb.904:                              ;   in Loop: Header=BB388_629 Depth=1
	s_or_b32 exec_lo, exec_lo, s16
	v_lshlrev_b32_sdwa v21, v43, v18 dst_sel:DWORD dst_unused:UNUSED_PAD src0_sel:DWORD src1_sel:BYTE_3
	v_lshlrev_b32_e32 v10, 20, v10
	v_lshl_add_u32 v20, v20, 23, 0x3c000000
	v_and_b32_e32 v21, 0x80000000, v21
	v_or3_b32 v83, v10, v21, v20
.LBB388_905:                            ;   in Loop: Header=BB388_629 Depth=1
	s_or_b32 exec_lo, exec_lo, s15
.LBB388_906:                            ;   in Loop: Header=BB388_629 Depth=1
	s_or_b32 exec_lo, exec_lo, s14
.LBB388_907:                            ;   in Loop: Header=BB388_629 Depth=1
	s_or_b32 exec_lo, exec_lo, s13
	v_mov_b32_e32 v10, v19
	v_cmp_ne_u16_sdwa s0, v19, v11 src0_sel:BYTE_0 src1_sel:DWORD
	v_mov_b32_e32 v20, 0
	v_mov_b32_e32 v84, 0
	s_and_saveexec_b32 s13, s0
	s_cbranch_execz .LBB388_913
; %bb.908:                              ;   in Loop: Header=BB388_629 Depth=1
	v_cmp_ne_u16_sdwa s0, v19, v39 src0_sel:BYTE_0 src1_sel:DWORD
	v_bfrev_b32_e32 v84, 1
	s_and_saveexec_b32 s14, s0
	s_cbranch_execz .LBB388_912
; %bb.909:                              ;   in Loop: Header=BB388_629 Depth=1
	v_and_b32_e32 v21, 0x7f, v19
	v_mov_b32_e32 v84, 0x7f800001
	s_mov_b32 s15, exec_lo
	v_cmpx_ne_u32_e32 0x7f, v21
	s_cbranch_execz .LBB388_911
; %bb.910:                              ;   in Loop: Header=BB388_629 Depth=1
	v_and_b32_e32 v84, 7, v19
	v_lshrrev_b32_e32 v85, 3, v21
	v_cmp_gt_u32_e64 s0, 8, v21
	v_ffbh_u32_e32 v84, v84
	v_min_u32_e32 v84, 32, v84
	v_subrev_nc_u32_e32 v86, 28, v84
	v_sub_nc_u32_e32 v84, 29, v84
	v_cndmask_b32_e64 v21, v85, v84, s0
	v_cndmask_b32_e64 v84, 0, v86, s0
	v_lshl_add_u32 v21, v21, 23, 0x3c000000
	v_lshlrev_b64 v[84:85], v84, v[10:11]
	v_lshlrev_b32_e32 v85, 24, v10
	v_lshlrev_b32_e32 v84, 20, v84
	v_and_b32_e32 v85, 0x80000000, v85
	v_and_b32_e32 v84, 0x700000, v84
	v_or3_b32 v84, v84, v85, v21
.LBB388_911:                            ;   in Loop: Header=BB388_629 Depth=1
	s_or_b32 exec_lo, exec_lo, s15
.LBB388_912:                            ;   in Loop: Header=BB388_629 Depth=1
	s_or_b32 exec_lo, exec_lo, s14
.LBB388_913:                            ;   in Loop: Header=BB388_629 Depth=1
	s_or_b32 exec_lo, exec_lo, s13
	v_cmp_ne_u16_sdwa s0, v10, v11 src0_sel:BYTE_1 src1_sel:DWORD
	s_and_saveexec_b32 s13, s0
	s_cbranch_execz .LBB388_921
; %bb.914:                              ;   in Loop: Header=BB388_629 Depth=1
	v_cmp_ne_u16_sdwa s0, v10, v39 src0_sel:BYTE_1 src1_sel:DWORD
	v_bfrev_b32_e32 v20, 1
	s_and_saveexec_b32 s14, s0
	s_cbranch_execz .LBB388_920
; %bb.915:                              ;   in Loop: Header=BB388_629 Depth=1
	v_and_b32_sdwa v21, v40, v10 dst_sel:DWORD dst_unused:UNUSED_PAD src0_sel:DWORD src1_sel:BYTE_1
	v_mov_b32_e32 v20, 0x7f800001
	s_mov_b32 s15, exec_lo
	v_and_b32_e32 v86, 0x7f, v21
	v_cmpx_ne_u32_e32 0x7f, v86
	s_cbranch_execz .LBB388_919
; %bb.916:                              ;   in Loop: Header=BB388_629 Depth=1
	v_and_b32_e32 v20, 7, v21
	v_mov_b32_e32 v21, v11
	v_lshrrev_b32_e32 v85, 3, v86
	s_mov_b32 s16, exec_lo
	v_cmpx_gt_u32_e32 8, v86
; %bb.917:                              ;   in Loop: Header=BB388_629 Depth=1
	v_ffbh_u32_e32 v85, v20
	v_min_u32_e32 v85, 32, v85
	v_subrev_nc_u32_e32 v86, 28, v85
	v_sub_nc_u32_e32 v85, 29, v85
	v_lshlrev_b64 v[20:21], v86, v[20:21]
	v_and_b32_e32 v20, 7, v20
; %bb.918:                              ;   in Loop: Header=BB388_629 Depth=1
	s_or_b32 exec_lo, exec_lo, s16
	v_lshlrev_b32_e32 v10, 16, v10
	v_lshlrev_b32_e32 v20, 20, v20
	v_lshl_add_u32 v21, v85, 23, 0x3c000000
	v_and_b32_e32 v10, 0x80000000, v10
	v_or3_b32 v20, v20, v10, v21
.LBB388_919:                            ;   in Loop: Header=BB388_629 Depth=1
	s_or_b32 exec_lo, exec_lo, s15
.LBB388_920:                            ;   in Loop: Header=BB388_629 Depth=1
	s_or_b32 exec_lo, exec_lo, s14
.LBB388_921:                            ;   in Loop: Header=BB388_629 Depth=1
	s_or_b32 exec_lo, exec_lo, s13
	v_and_b32_sdwa v10, v19, v41 dst_sel:DWORD dst_unused:UNUSED_PAD src0_sel:WORD_1 src1_sel:DWORD
	v_mov_b32_e32 v21, 0
	v_mov_b32_e32 v85, 0
	s_mov_b32 s13, exec_lo
	v_cmpx_ne_u16_e32 0, v10
	s_cbranch_execz .LBB388_929
; %bb.922:                              ;   in Loop: Header=BB388_629 Depth=1
	v_bfrev_b32_e32 v85, 1
	s_mov_b32 s14, exec_lo
	v_cmpx_ne_u16_e32 0x80, v10
	s_cbranch_execz .LBB388_928
; %bb.923:                              ;   in Loop: Header=BB388_629 Depth=1
	v_bfe_u32 v86, v19, 16, 7
	v_mov_b32_e32 v85, 0x7f800001
	s_mov_b32 s15, exec_lo
	v_cmpx_ne_u32_e32 0x7f, v86
	s_cbranch_execz .LBB388_927
; %bb.924:                              ;   in Loop: Header=BB388_629 Depth=1
	v_and_b32_sdwa v10, v19, v42 dst_sel:DWORD dst_unused:UNUSED_PAD src0_sel:WORD_1 src1_sel:DWORD
	v_lshrrev_b32_e32 v85, 3, v86
	s_mov_b32 s16, exec_lo
	v_cmpx_gt_u32_e32 8, v86
; %bb.925:                              ;   in Loop: Header=BB388_629 Depth=1
	v_ffbh_u32_e32 v85, v10
	v_min_u32_e32 v85, 32, v85
	v_subrev_nc_u32_e32 v86, 28, v85
	v_sub_nc_u32_e32 v85, 29, v85
	v_lshlrev_b64 v[86:87], v86, v[10:11]
	v_and_b32_e32 v10, 7, v86
; %bb.926:                              ;   in Loop: Header=BB388_629 Depth=1
	s_or_b32 exec_lo, exec_lo, s16
	v_lshlrev_b32_sdwa v86, v43, v19 dst_sel:DWORD dst_unused:UNUSED_PAD src0_sel:DWORD src1_sel:WORD_1
	v_lshlrev_b32_e32 v10, 20, v10
	v_lshl_add_u32 v85, v85, 23, 0x3c000000
	v_and_b32_e32 v86, 0x80000000, v86
	v_or3_b32 v85, v10, v86, v85
.LBB388_927:                            ;   in Loop: Header=BB388_629 Depth=1
	s_or_b32 exec_lo, exec_lo, s15
.LBB388_928:                            ;   in Loop: Header=BB388_629 Depth=1
	s_or_b32 exec_lo, exec_lo, s14
.LBB388_929:                            ;   in Loop: Header=BB388_629 Depth=1
	s_or_b32 exec_lo, exec_lo, s13
	s_mov_b32 s13, exec_lo
	v_cmpx_lt_u64_e64 s[4:5], v[18:19]
	s_cbranch_execz .LBB388_937
; %bb.930:                              ;   in Loop: Header=BB388_629 Depth=1
	v_cmp_ne_u32_sdwa s0, v19, v39 src0_sel:BYTE_3 src1_sel:DWORD
	v_bfrev_b32_e32 v21, 1
	s_and_saveexec_b32 s14, s0
	s_cbranch_execz .LBB388_936
; %bb.931:                              ;   in Loop: Header=BB388_629 Depth=1
	v_bfe_u32 v86, v19, 24, 7
	v_mov_b32_e32 v21, 0x7f800001
	s_mov_b32 s15, exec_lo
	v_cmpx_ne_u32_e32 0x7f, v86
	s_cbranch_execz .LBB388_935
; %bb.932:                              ;   in Loop: Header=BB388_629 Depth=1
	v_and_b32_sdwa v10, v19, v42 dst_sel:DWORD dst_unused:UNUSED_PAD src0_sel:BYTE_3 src1_sel:DWORD
	v_lshrrev_b32_e32 v18, 3, v86
	s_mov_b32 s16, exec_lo
	v_cmpx_gt_u32_e32 8, v86
; %bb.933:                              ;   in Loop: Header=BB388_629 Depth=1
	v_ffbh_u32_e32 v18, v10
	v_min_u32_e32 v18, 32, v18
	v_subrev_nc_u32_e32 v21, 28, v18
	v_sub_nc_u32_e32 v18, 29, v18
	v_lshlrev_b64 v[86:87], v21, v[10:11]
	v_and_b32_e32 v10, 7, v86
; %bb.934:                              ;   in Loop: Header=BB388_629 Depth=1
	s_or_b32 exec_lo, exec_lo, s16
	v_lshlrev_b32_sdwa v19, v43, v19 dst_sel:DWORD dst_unused:UNUSED_PAD src0_sel:DWORD src1_sel:BYTE_3
	v_lshlrev_b32_e32 v10, 20, v10
	v_lshl_add_u32 v18, v18, 23, 0x3c000000
	v_and_b32_e32 v19, 0x80000000, v19
	v_or3_b32 v21, v10, v19, v18
.LBB388_935:                            ;   in Loop: Header=BB388_629 Depth=1
	s_or_b32 exec_lo, exec_lo, s15
.LBB388_936:                            ;   in Loop: Header=BB388_629 Depth=1
	s_or_b32 exec_lo, exec_lo, s14
.LBB388_937:                            ;   in Loop: Header=BB388_629 Depth=1
	s_or_b32 exec_lo, exec_lo, s13
	v_mul_f32_e32 v10, s6, v20
	v_mul_f32_e32 v18, s6, v84
	;; [unrolled: 1-line block ×5, first 2 shown]
	v_bfe_u32 v0, v10, 16, 1
	v_or_b32_e32 v83, 0x400000, v10
	v_bfe_u32 v84, v18, 16, 1
	v_cmp_u_f32_e64 s0, v10, v10
	v_or_b32_e32 v86, 0x400000, v18
	v_add3_u32 v0, v0, v10, 0x7fff
	v_bfe_u32 v87, v19, 16, 1
	v_add3_u32 v84, v84, v18, 0x7fff
	v_or_b32_e32 v88, 0x400000, v19
	v_bfe_u32 v89, v20, 16, 1
	v_cndmask_b32_e64 v0, v0, v83, s0
	v_cmp_u_f32_e64 s0, v18, v18
	v_add3_u32 v87, v87, v19, 0x7fff
	v_lshrrev_b32_e32 v0, 16, v0
	v_cndmask_b32_e64 v10, v84, v86, s0
	v_cmp_u_f32_e64 s0, v19, v19
	v_mul_f32_e32 v19, s6, v22
	v_add3_u32 v84, v89, v20, 0x7fff
	v_or_b32_e32 v86, 0x400000, v20
	v_lshrrev_b32_e32 v22, 16, v10
	v_cndmask_b32_e64 v18, v87, v88, s0
	v_bfe_u32 v10, v19, 16, 1
	v_cmp_u_f32_e64 s0, v20, v20
	v_mul_f32_e32 v20, s6, v23
	v_mul_f32_e32 v23, s6, v85
	v_lshrrev_b32_e32 v83, 16, v18
	v_add3_u32 v10, v10, v19, 0x7fff
	v_cndmask_b32_e64 v18, v84, v86, s0
	v_or_b32_e32 v84, 0x400000, v19
	v_bfe_u32 v85, v20, 16, 1
	v_cmp_u_f32_e64 s0, v19, v19
	v_bfe_u32 v86, v23, 16, 1
	v_bfe_u32 v19, v21, 16, 1
	v_or_b32_e32 v87, 0x400000, v23
	v_or_b32_e32 v88, 0x400000, v21
	v_cndmask_b32_e64 v10, v10, v84, s0
	v_add3_u32 v84, v85, v20, 0x7fff
	v_or_b32_e32 v85, 0x400000, v20
	v_cmp_u_f32_e64 s0, v20, v20
	v_add3_u32 v86, v86, v23, 0x7fff
	v_add3_u32 v19, v19, v21, 0x7fff
	v_cndmask_b32_e64 v20, v84, v85, s0
	v_cmp_u_f32_e64 s0, v23, v23
	v_lshrrev_b32_e32 v85, 16, v18
	v_cndmask_b32_e64 v23, v86, v87, s0
	v_cmp_u_f32_e64 s0, v21, v21
	v_lshrrev_b32_e32 v87, 16, v10
	v_lshrrev_b32_e32 v86, 16, v20
	;; [unrolled: 1-line block ×3, first 2 shown]
	v_cndmask_b32_e64 v19, v19, v88, s0
	v_lshrrev_b32_e32 v84, 16, v19
	s_and_saveexec_b32 s13, vcc_lo
	s_cbranch_execz .LBB388_939
; %bb.938:                              ;   in Loop: Header=BB388_629 Depth=1
	v_cmp_gt_i32_e64 s0, s29, v60
	v_cndmask_b32_e64 v86, 0, v86, s0
	v_cmp_gt_i32_e64 s0, s29, v66
	v_cndmask_b32_e64 v87, 0, v87, s0
	;; [unrolled: 2-line block ×8, first 2 shown]
.LBB388_939:                            ;   in Loop: Header=BB388_629 Depth=1
	s_or_b32 exec_lo, exec_lo, s13
	global_load_dwordx2 v[18:19], v[16:17], off offset:1280
	v_mov_b32_e32 v88, 0
	v_mov_b32_e32 v90, 0
	s_waitcnt vmcnt(0)
	v_cmp_ne_u16_sdwa s0, v18, v11 src0_sel:BYTE_0 src1_sel:DWORD
	s_and_saveexec_b32 s13, s0
	s_cbranch_execz .LBB388_945
; %bb.940:                              ;   in Loop: Header=BB388_629 Depth=1
	v_cmp_ne_u16_sdwa s0, v18, v39 src0_sel:BYTE_0 src1_sel:DWORD
	v_bfrev_b32_e32 v90, 1
	s_and_saveexec_b32 s14, s0
	s_cbranch_execz .LBB388_944
; %bb.941:                              ;   in Loop: Header=BB388_629 Depth=1
	v_and_b32_e32 v10, 0x7f, v18
	v_mov_b32_e32 v90, 0x7f800001
	s_mov_b32 s15, exec_lo
	v_cmpx_ne_u32_e32 0x7f, v10
	s_cbranch_execz .LBB388_943
; %bb.942:                              ;   in Loop: Header=BB388_629 Depth=1
	v_and_b32_e32 v20, 7, v18
	v_lshrrev_b32_e32 v21, 3, v10
	v_cmp_gt_u32_e64 s0, 8, v10
	v_ffbh_u32_e32 v20, v20
	v_min_u32_e32 v20, 32, v20
	v_subrev_nc_u32_e32 v89, 28, v20
	v_sub_nc_u32_e32 v20, 29, v20
	v_cndmask_b32_e64 v10, v21, v20, s0
	v_cndmask_b32_e64 v20, 0, v89, s0
	v_lshl_add_u32 v10, v10, 23, 0x3c000000
	v_lshlrev_b64 v[20:21], v20, v[18:19]
	v_lshlrev_b32_e32 v21, 24, v18
	v_lshlrev_b32_e32 v20, 20, v20
	v_and_b32_e32 v21, 0x80000000, v21
	v_and_b32_e32 v20, 0x700000, v20
	v_or3_b32 v90, v20, v21, v10
.LBB388_943:                            ;   in Loop: Header=BB388_629 Depth=1
	s_or_b32 exec_lo, exec_lo, s15
.LBB388_944:                            ;   in Loop: Header=BB388_629 Depth=1
	s_or_b32 exec_lo, exec_lo, s14
.LBB388_945:                            ;   in Loop: Header=BB388_629 Depth=1
	s_or_b32 exec_lo, exec_lo, s13
	v_cmp_ne_u16_sdwa s0, v18, v11 src0_sel:BYTE_1 src1_sel:DWORD
	s_and_saveexec_b32 s13, s0
	s_cbranch_execz .LBB388_953
; %bb.946:                              ;   in Loop: Header=BB388_629 Depth=1
	v_cmp_ne_u16_sdwa s0, v18, v39 src0_sel:BYTE_1 src1_sel:DWORD
	v_bfrev_b32_e32 v88, 1
	s_and_saveexec_b32 s14, s0
	s_cbranch_execz .LBB388_952
; %bb.947:                              ;   in Loop: Header=BB388_629 Depth=1
	v_and_b32_sdwa v10, v40, v18 dst_sel:DWORD dst_unused:UNUSED_PAD src0_sel:DWORD src1_sel:BYTE_1
	v_mov_b32_e32 v88, 0x7f800001
	s_mov_b32 s15, exec_lo
	v_and_b32_e32 v21, 0x7f, v10
	v_cmpx_ne_u32_e32 0x7f, v21
	s_cbranch_execz .LBB388_951
; %bb.948:                              ;   in Loop: Header=BB388_629 Depth=1
	v_and_b32_e32 v10, 7, v10
	v_lshrrev_b32_e32 v20, 3, v21
	s_mov_b32 s16, exec_lo
	v_cmpx_gt_u32_e32 8, v21
; %bb.949:                              ;   in Loop: Header=BB388_629 Depth=1
	v_ffbh_u32_e32 v20, v10
	v_min_u32_e32 v20, 32, v20
	v_subrev_nc_u32_e32 v21, 28, v20
	v_sub_nc_u32_e32 v20, 29, v20
	v_lshlrev_b64 v[88:89], v21, v[10:11]
	v_and_b32_e32 v10, 7, v88
; %bb.950:                              ;   in Loop: Header=BB388_629 Depth=1
	s_or_b32 exec_lo, exec_lo, s16
	v_lshlrev_b32_e32 v21, 16, v18
	v_lshlrev_b32_e32 v10, 20, v10
	v_lshl_add_u32 v20, v20, 23, 0x3c000000
	v_and_b32_e32 v21, 0x80000000, v21
	v_or3_b32 v88, v10, v21, v20
.LBB388_951:                            ;   in Loop: Header=BB388_629 Depth=1
	s_or_b32 exec_lo, exec_lo, s15
.LBB388_952:                            ;   in Loop: Header=BB388_629 Depth=1
	s_or_b32 exec_lo, exec_lo, s14
.LBB388_953:                            ;   in Loop: Header=BB388_629 Depth=1
	s_or_b32 exec_lo, exec_lo, s13
	v_and_b32_sdwa v10, v18, v41 dst_sel:DWORD dst_unused:UNUSED_PAD src0_sel:WORD_1 src1_sel:DWORD
	v_mov_b32_e32 v91, 0
	v_mov_b32_e32 v89, 0
	s_mov_b32 s13, exec_lo
	v_cmpx_ne_u16_e32 0, v10
	s_cbranch_execz .LBB388_961
; %bb.954:                              ;   in Loop: Header=BB388_629 Depth=1
	v_bfrev_b32_e32 v89, 1
	s_mov_b32 s14, exec_lo
	v_cmpx_ne_u16_e32 0x80, v10
	s_cbranch_execz .LBB388_960
; %bb.955:                              ;   in Loop: Header=BB388_629 Depth=1
	v_bfe_u32 v21, v18, 16, 7
	v_mov_b32_e32 v89, 0x7f800001
	s_mov_b32 s15, exec_lo
	v_cmpx_ne_u32_e32 0x7f, v21
	s_cbranch_execz .LBB388_959
; %bb.956:                              ;   in Loop: Header=BB388_629 Depth=1
	v_and_b32_sdwa v10, v18, v42 dst_sel:DWORD dst_unused:UNUSED_PAD src0_sel:WORD_1 src1_sel:DWORD
	v_lshrrev_b32_e32 v20, 3, v21
	s_mov_b32 s16, exec_lo
	v_cmpx_gt_u32_e32 8, v21
; %bb.957:                              ;   in Loop: Header=BB388_629 Depth=1
	v_ffbh_u32_e32 v20, v10
	v_min_u32_e32 v20, 32, v20
	v_subrev_nc_u32_e32 v21, 28, v20
	v_sub_nc_u32_e32 v20, 29, v20
	v_lshlrev_b64 v[92:93], v21, v[10:11]
	v_and_b32_e32 v10, 7, v92
; %bb.958:                              ;   in Loop: Header=BB388_629 Depth=1
	s_or_b32 exec_lo, exec_lo, s16
	v_lshlrev_b32_sdwa v21, v43, v18 dst_sel:DWORD dst_unused:UNUSED_PAD src0_sel:DWORD src1_sel:WORD_1
	v_lshlrev_b32_e32 v10, 20, v10
	v_lshl_add_u32 v20, v20, 23, 0x3c000000
	v_and_b32_e32 v21, 0x80000000, v21
	v_or3_b32 v89, v10, v21, v20
.LBB388_959:                            ;   in Loop: Header=BB388_629 Depth=1
	s_or_b32 exec_lo, exec_lo, s15
.LBB388_960:                            ;   in Loop: Header=BB388_629 Depth=1
	s_or_b32 exec_lo, exec_lo, s14
.LBB388_961:                            ;   in Loop: Header=BB388_629 Depth=1
	s_or_b32 exec_lo, exec_lo, s13
	s_mov_b32 s13, exec_lo
	v_cmpx_lt_u32_e32 0xffffff, v18
	s_cbranch_execz .LBB388_969
; %bb.962:                              ;   in Loop: Header=BB388_629 Depth=1
	v_cmp_ne_u32_sdwa s0, v18, v39 src0_sel:BYTE_3 src1_sel:DWORD
	v_bfrev_b32_e32 v91, 1
	s_and_saveexec_b32 s14, s0
	s_cbranch_execz .LBB388_968
; %bb.963:                              ;   in Loop: Header=BB388_629 Depth=1
	v_bfe_u32 v21, v18, 24, 7
	v_mov_b32_e32 v91, 0x7f800001
	s_mov_b32 s15, exec_lo
	v_cmpx_ne_u32_e32 0x7f, v21
	s_cbranch_execz .LBB388_967
; %bb.964:                              ;   in Loop: Header=BB388_629 Depth=1
	v_and_b32_sdwa v10, v18, v42 dst_sel:DWORD dst_unused:UNUSED_PAD src0_sel:BYTE_3 src1_sel:DWORD
	v_lshrrev_b32_e32 v20, 3, v21
	s_mov_b32 s16, exec_lo
	v_cmpx_gt_u32_e32 8, v21
; %bb.965:                              ;   in Loop: Header=BB388_629 Depth=1
	v_ffbh_u32_e32 v20, v10
	v_min_u32_e32 v20, 32, v20
	v_subrev_nc_u32_e32 v21, 28, v20
	v_sub_nc_u32_e32 v20, 29, v20
	v_lshlrev_b64 v[91:92], v21, v[10:11]
	v_and_b32_e32 v10, 7, v91
; %bb.966:                              ;   in Loop: Header=BB388_629 Depth=1
	s_or_b32 exec_lo, exec_lo, s16
	v_lshlrev_b32_sdwa v21, v43, v18 dst_sel:DWORD dst_unused:UNUSED_PAD src0_sel:DWORD src1_sel:BYTE_3
	v_lshlrev_b32_e32 v10, 20, v10
	v_lshl_add_u32 v20, v20, 23, 0x3c000000
	v_and_b32_e32 v21, 0x80000000, v21
	v_or3_b32 v91, v10, v21, v20
.LBB388_967:                            ;   in Loop: Header=BB388_629 Depth=1
	s_or_b32 exec_lo, exec_lo, s15
.LBB388_968:                            ;   in Loop: Header=BB388_629 Depth=1
	s_or_b32 exec_lo, exec_lo, s14
.LBB388_969:                            ;   in Loop: Header=BB388_629 Depth=1
	s_or_b32 exec_lo, exec_lo, s13
	v_mov_b32_e32 v10, v19
	v_cmp_ne_u16_sdwa s0, v19, v11 src0_sel:BYTE_0 src1_sel:DWORD
	v_mov_b32_e32 v20, 0
	v_mov_b32_e32 v92, 0
	s_and_saveexec_b32 s13, s0
	s_cbranch_execz .LBB388_975
; %bb.970:                              ;   in Loop: Header=BB388_629 Depth=1
	v_cmp_ne_u16_sdwa s0, v19, v39 src0_sel:BYTE_0 src1_sel:DWORD
	v_bfrev_b32_e32 v92, 1
	s_and_saveexec_b32 s14, s0
	s_cbranch_execz .LBB388_974
; %bb.971:                              ;   in Loop: Header=BB388_629 Depth=1
	v_and_b32_e32 v21, 0x7f, v19
	v_mov_b32_e32 v92, 0x7f800001
	s_mov_b32 s15, exec_lo
	v_cmpx_ne_u32_e32 0x7f, v21
	s_cbranch_execz .LBB388_973
; %bb.972:                              ;   in Loop: Header=BB388_629 Depth=1
	v_and_b32_e32 v92, 7, v19
	v_lshrrev_b32_e32 v93, 3, v21
	v_cmp_gt_u32_e64 s0, 8, v21
	v_ffbh_u32_e32 v92, v92
	v_min_u32_e32 v92, 32, v92
	v_subrev_nc_u32_e32 v94, 28, v92
	v_sub_nc_u32_e32 v92, 29, v92
	v_cndmask_b32_e64 v21, v93, v92, s0
	v_cndmask_b32_e64 v92, 0, v94, s0
	v_lshl_add_u32 v21, v21, 23, 0x3c000000
	v_lshlrev_b64 v[92:93], v92, v[10:11]
	v_lshlrev_b32_e32 v93, 24, v10
	v_lshlrev_b32_e32 v92, 20, v92
	v_and_b32_e32 v93, 0x80000000, v93
	v_and_b32_e32 v92, 0x700000, v92
	v_or3_b32 v92, v92, v93, v21
.LBB388_973:                            ;   in Loop: Header=BB388_629 Depth=1
	s_or_b32 exec_lo, exec_lo, s15
.LBB388_974:                            ;   in Loop: Header=BB388_629 Depth=1
	s_or_b32 exec_lo, exec_lo, s14
.LBB388_975:                            ;   in Loop: Header=BB388_629 Depth=1
	s_or_b32 exec_lo, exec_lo, s13
	v_cmp_ne_u16_sdwa s0, v10, v11 src0_sel:BYTE_1 src1_sel:DWORD
	s_and_saveexec_b32 s13, s0
	s_cbranch_execz .LBB388_983
; %bb.976:                              ;   in Loop: Header=BB388_629 Depth=1
	v_cmp_ne_u16_sdwa s0, v10, v39 src0_sel:BYTE_1 src1_sel:DWORD
	v_bfrev_b32_e32 v20, 1
	s_and_saveexec_b32 s14, s0
	s_cbranch_execz .LBB388_982
; %bb.977:                              ;   in Loop: Header=BB388_629 Depth=1
	v_and_b32_sdwa v21, v40, v10 dst_sel:DWORD dst_unused:UNUSED_PAD src0_sel:DWORD src1_sel:BYTE_1
	v_mov_b32_e32 v20, 0x7f800001
	s_mov_b32 s15, exec_lo
	v_and_b32_e32 v94, 0x7f, v21
	v_cmpx_ne_u32_e32 0x7f, v94
	s_cbranch_execz .LBB388_981
; %bb.978:                              ;   in Loop: Header=BB388_629 Depth=1
	v_and_b32_e32 v20, 7, v21
	v_mov_b32_e32 v21, v11
	v_lshrrev_b32_e32 v93, 3, v94
	s_mov_b32 s16, exec_lo
	v_cmpx_gt_u32_e32 8, v94
; %bb.979:                              ;   in Loop: Header=BB388_629 Depth=1
	v_ffbh_u32_e32 v93, v20
	v_min_u32_e32 v93, 32, v93
	v_subrev_nc_u32_e32 v94, 28, v93
	v_sub_nc_u32_e32 v93, 29, v93
	v_lshlrev_b64 v[20:21], v94, v[20:21]
	v_and_b32_e32 v20, 7, v20
; %bb.980:                              ;   in Loop: Header=BB388_629 Depth=1
	s_or_b32 exec_lo, exec_lo, s16
	v_lshlrev_b32_e32 v10, 16, v10
	v_lshlrev_b32_e32 v20, 20, v20
	v_lshl_add_u32 v21, v93, 23, 0x3c000000
	v_and_b32_e32 v10, 0x80000000, v10
	v_or3_b32 v20, v20, v10, v21
.LBB388_981:                            ;   in Loop: Header=BB388_629 Depth=1
	s_or_b32 exec_lo, exec_lo, s15
.LBB388_982:                            ;   in Loop: Header=BB388_629 Depth=1
	s_or_b32 exec_lo, exec_lo, s14
.LBB388_983:                            ;   in Loop: Header=BB388_629 Depth=1
	s_or_b32 exec_lo, exec_lo, s13
	v_and_b32_sdwa v10, v19, v41 dst_sel:DWORD dst_unused:UNUSED_PAD src0_sel:WORD_1 src1_sel:DWORD
	v_mov_b32_e32 v21, 0
	v_mov_b32_e32 v93, 0
	s_mov_b32 s13, exec_lo
	v_cmpx_ne_u16_e32 0, v10
	s_cbranch_execz .LBB388_991
; %bb.984:                              ;   in Loop: Header=BB388_629 Depth=1
	v_bfrev_b32_e32 v93, 1
	s_mov_b32 s14, exec_lo
	v_cmpx_ne_u16_e32 0x80, v10
	s_cbranch_execz .LBB388_990
; %bb.985:                              ;   in Loop: Header=BB388_629 Depth=1
	v_bfe_u32 v94, v19, 16, 7
	v_mov_b32_e32 v93, 0x7f800001
	s_mov_b32 s15, exec_lo
	v_cmpx_ne_u32_e32 0x7f, v94
	s_cbranch_execz .LBB388_989
; %bb.986:                              ;   in Loop: Header=BB388_629 Depth=1
	v_and_b32_sdwa v10, v19, v42 dst_sel:DWORD dst_unused:UNUSED_PAD src0_sel:WORD_1 src1_sel:DWORD
	v_lshrrev_b32_e32 v93, 3, v94
	s_mov_b32 s16, exec_lo
	v_cmpx_gt_u32_e32 8, v94
; %bb.987:                              ;   in Loop: Header=BB388_629 Depth=1
	v_ffbh_u32_e32 v93, v10
	v_min_u32_e32 v93, 32, v93
	v_subrev_nc_u32_e32 v94, 28, v93
	v_sub_nc_u32_e32 v93, 29, v93
	v_lshlrev_b64 v[94:95], v94, v[10:11]
	v_and_b32_e32 v10, 7, v94
; %bb.988:                              ;   in Loop: Header=BB388_629 Depth=1
	s_or_b32 exec_lo, exec_lo, s16
	v_lshlrev_b32_sdwa v94, v43, v19 dst_sel:DWORD dst_unused:UNUSED_PAD src0_sel:DWORD src1_sel:WORD_1
	v_lshlrev_b32_e32 v10, 20, v10
	v_lshl_add_u32 v93, v93, 23, 0x3c000000
	v_and_b32_e32 v94, 0x80000000, v94
	v_or3_b32 v93, v10, v94, v93
.LBB388_989:                            ;   in Loop: Header=BB388_629 Depth=1
	s_or_b32 exec_lo, exec_lo, s15
.LBB388_990:                            ;   in Loop: Header=BB388_629 Depth=1
	s_or_b32 exec_lo, exec_lo, s14
.LBB388_991:                            ;   in Loop: Header=BB388_629 Depth=1
	s_or_b32 exec_lo, exec_lo, s13
	s_mov_b32 s13, exec_lo
	v_cmpx_lt_u64_e64 s[4:5], v[18:19]
	s_cbranch_execz .LBB388_999
; %bb.992:                              ;   in Loop: Header=BB388_629 Depth=1
	v_cmp_ne_u32_sdwa s0, v19, v39 src0_sel:BYTE_3 src1_sel:DWORD
	v_bfrev_b32_e32 v21, 1
	s_and_saveexec_b32 s14, s0
	s_cbranch_execz .LBB388_998
; %bb.993:                              ;   in Loop: Header=BB388_629 Depth=1
	v_bfe_u32 v94, v19, 24, 7
	v_mov_b32_e32 v21, 0x7f800001
	s_mov_b32 s15, exec_lo
	v_cmpx_ne_u32_e32 0x7f, v94
	s_cbranch_execz .LBB388_997
; %bb.994:                              ;   in Loop: Header=BB388_629 Depth=1
	v_and_b32_sdwa v10, v19, v42 dst_sel:DWORD dst_unused:UNUSED_PAD src0_sel:BYTE_3 src1_sel:DWORD
	v_lshrrev_b32_e32 v18, 3, v94
	s_mov_b32 s16, exec_lo
	v_cmpx_gt_u32_e32 8, v94
; %bb.995:                              ;   in Loop: Header=BB388_629 Depth=1
	v_ffbh_u32_e32 v18, v10
	v_min_u32_e32 v18, 32, v18
	v_subrev_nc_u32_e32 v21, 28, v18
	v_sub_nc_u32_e32 v18, 29, v18
	v_lshlrev_b64 v[94:95], v21, v[10:11]
	v_and_b32_e32 v10, 7, v94
; %bb.996:                              ;   in Loop: Header=BB388_629 Depth=1
	s_or_b32 exec_lo, exec_lo, s16
	v_lshlrev_b32_sdwa v19, v43, v19 dst_sel:DWORD dst_unused:UNUSED_PAD src0_sel:DWORD src1_sel:BYTE_3
	v_lshlrev_b32_e32 v10, 20, v10
	v_lshl_add_u32 v18, v18, 23, 0x3c000000
	v_and_b32_e32 v19, 0x80000000, v19
	v_or3_b32 v21, v10, v19, v18
.LBB388_997:                            ;   in Loop: Header=BB388_629 Depth=1
	s_or_b32 exec_lo, exec_lo, s15
.LBB388_998:                            ;   in Loop: Header=BB388_629 Depth=1
	s_or_b32 exec_lo, exec_lo, s14
.LBB388_999:                            ;   in Loop: Header=BB388_629 Depth=1
	s_or_b32 exec_lo, exec_lo, s13
	v_mul_f32_e32 v10, s6, v20
	v_mul_f32_e32 v18, s6, v92
	;; [unrolled: 1-line block ×5, first 2 shown]
	v_bfe_u32 v89, v10, 16, 1
	v_or_b32_e32 v91, 0x400000, v10
	v_bfe_u32 v92, v18, 16, 1
	v_cmp_u_f32_e64 s0, v10, v10
	v_or_b32_e32 v94, 0x400000, v18
	v_add3_u32 v89, v89, v10, 0x7fff
	v_bfe_u32 v95, v19, 16, 1
	v_add3_u32 v92, v92, v18, 0x7fff
	v_or_b32_e32 v96, 0x400000, v19
	v_bfe_u32 v97, v20, 16, 1
	v_cndmask_b32_e64 v10, v89, v91, s0
	v_cmp_u_f32_e64 s0, v18, v18
	v_add3_u32 v95, v95, v19, 0x7fff
	v_lshrrev_b32_e32 v89, 16, v10
	v_cndmask_b32_e64 v18, v92, v94, s0
	v_cmp_u_f32_e64 s0, v19, v19
	v_mul_f32_e32 v10, s6, v88
	v_add3_u32 v92, v97, v20, 0x7fff
	v_or_b32_e32 v94, 0x400000, v20
	v_lshrrev_b32_e32 v88, 16, v18
	v_cndmask_b32_e64 v19, v95, v96, s0
	v_bfe_u32 v18, v10, 16, 1
	v_cmp_u_f32_e64 s0, v20, v20
	v_mul_f32_e32 v20, s6, v90
	v_mul_f32_e32 v90, s6, v93
	v_lshrrev_b32_e32 v91, 16, v19
	v_add3_u32 v18, v18, v10, 0x7fff
	v_cndmask_b32_e64 v19, v92, v94, s0
	v_or_b32_e32 v92, 0x400000, v10
	v_bfe_u32 v93, v20, 16, 1
	v_cmp_u_f32_e64 s0, v10, v10
	v_bfe_u32 v94, v90, 16, 1
	v_or_b32_e32 v95, 0x400000, v90
	v_or_b32_e32 v96, 0x400000, v21
	v_cndmask_b32_e64 v10, v18, v92, s0
	v_add3_u32 v92, v93, v20, 0x7fff
	v_or_b32_e32 v93, 0x400000, v20
	v_cmp_u_f32_e64 s0, v20, v20
	v_bfe_u32 v18, v21, 16, 1
	v_add3_u32 v94, v94, v90, 0x7fff
	v_cndmask_b32_e64 v20, v92, v93, s0
	v_cmp_u_f32_e64 s0, v90, v90
	v_add3_u32 v18, v18, v21, 0x7fff
	v_lshrrev_b32_e32 v93, 16, v19
	v_cndmask_b32_e64 v90, v94, v95, s0
	v_cmp_u_f32_e64 s0, v21, v21
	v_lshrrev_b32_e32 v95, 16, v10
	v_lshrrev_b32_e32 v94, 16, v20
	;; [unrolled: 1-line block ×3, first 2 shown]
	v_cndmask_b32_e64 v18, v18, v96, s0
	v_lshrrev_b32_e32 v92, 16, v18
	s_and_saveexec_b32 s13, vcc_lo
	s_cbranch_execz .LBB388_1001
; %bb.1000:                             ;   in Loop: Header=BB388_629 Depth=1
	v_cmp_gt_i32_e64 s0, s29, v60
	v_cndmask_b32_e64 v94, 0, v94, s0
	v_cmp_gt_i32_e64 s0, s29, v66
	v_cndmask_b32_e64 v95, 0, v95, s0
	;; [unrolled: 2-line block ×8, first 2 shown]
.LBB388_1001:                           ;   in Loop: Header=BB388_629 Depth=1
	s_or_b32 exec_lo, exec_lo, s13
	global_load_dwordx2 v[18:19], v[16:17], off offset:1536
	v_mov_b32_e32 v97, 0
	v_mov_b32_e32 v98, 0
	s_waitcnt vmcnt(0)
	v_cmp_ne_u16_sdwa s0, v18, v11 src0_sel:BYTE_0 src1_sel:DWORD
	s_and_saveexec_b32 s13, s0
	s_cbranch_execz .LBB388_1007
; %bb.1002:                             ;   in Loop: Header=BB388_629 Depth=1
	v_cmp_ne_u16_sdwa s0, v18, v39 src0_sel:BYTE_0 src1_sel:DWORD
	v_bfrev_b32_e32 v98, 1
	s_and_saveexec_b32 s14, s0
	s_cbranch_execz .LBB388_1006
; %bb.1003:                             ;   in Loop: Header=BB388_629 Depth=1
	v_and_b32_e32 v10, 0x7f, v18
	v_mov_b32_e32 v98, 0x7f800001
	s_mov_b32 s15, exec_lo
	v_cmpx_ne_u32_e32 0x7f, v10
	s_cbranch_execz .LBB388_1005
; %bb.1004:                             ;   in Loop: Header=BB388_629 Depth=1
	v_and_b32_e32 v20, 7, v18
	v_lshrrev_b32_e32 v21, 3, v10
	v_cmp_gt_u32_e64 s0, 8, v10
	v_ffbh_u32_e32 v20, v20
	v_min_u32_e32 v20, 32, v20
	v_subrev_nc_u32_e32 v96, 28, v20
	v_sub_nc_u32_e32 v20, 29, v20
	v_cndmask_b32_e64 v10, v21, v20, s0
	v_cndmask_b32_e64 v20, 0, v96, s0
	v_lshl_add_u32 v10, v10, 23, 0x3c000000
	v_lshlrev_b64 v[20:21], v20, v[18:19]
	v_lshlrev_b32_e32 v21, 24, v18
	v_lshlrev_b32_e32 v20, 20, v20
	v_and_b32_e32 v21, 0x80000000, v21
	v_and_b32_e32 v20, 0x700000, v20
	v_or3_b32 v98, v20, v21, v10
.LBB388_1005:                           ;   in Loop: Header=BB388_629 Depth=1
	s_or_b32 exec_lo, exec_lo, s15
.LBB388_1006:                           ;   in Loop: Header=BB388_629 Depth=1
	s_or_b32 exec_lo, exec_lo, s14
.LBB388_1007:                           ;   in Loop: Header=BB388_629 Depth=1
	s_or_b32 exec_lo, exec_lo, s13
	v_cmp_ne_u16_sdwa s0, v18, v11 src0_sel:BYTE_1 src1_sel:DWORD
	s_and_saveexec_b32 s13, s0
	s_cbranch_execz .LBB388_1015
; %bb.1008:                             ;   in Loop: Header=BB388_629 Depth=1
	v_cmp_ne_u16_sdwa s0, v18, v39 src0_sel:BYTE_1 src1_sel:DWORD
	v_bfrev_b32_e32 v97, 1
	s_and_saveexec_b32 s14, s0
	s_cbranch_execz .LBB388_1014
; %bb.1009:                             ;   in Loop: Header=BB388_629 Depth=1
	v_and_b32_sdwa v10, v40, v18 dst_sel:DWORD dst_unused:UNUSED_PAD src0_sel:DWORD src1_sel:BYTE_1
	v_mov_b32_e32 v97, 0x7f800001
	s_mov_b32 s15, exec_lo
	v_and_b32_e32 v21, 0x7f, v10
	v_cmpx_ne_u32_e32 0x7f, v21
	s_cbranch_execz .LBB388_1013
; %bb.1010:                             ;   in Loop: Header=BB388_629 Depth=1
	v_and_b32_e32 v10, 7, v10
	v_lshrrev_b32_e32 v20, 3, v21
	s_mov_b32 s16, exec_lo
	v_cmpx_gt_u32_e32 8, v21
; %bb.1011:                             ;   in Loop: Header=BB388_629 Depth=1
	v_ffbh_u32_e32 v20, v10
	v_min_u32_e32 v20, 32, v20
	v_subrev_nc_u32_e32 v21, 28, v20
	v_sub_nc_u32_e32 v20, 29, v20
	v_lshlrev_b64 v[96:97], v21, v[10:11]
	v_and_b32_e32 v10, 7, v96
; %bb.1012:                             ;   in Loop: Header=BB388_629 Depth=1
	s_or_b32 exec_lo, exec_lo, s16
	v_lshlrev_b32_e32 v21, 16, v18
	v_lshlrev_b32_e32 v10, 20, v10
	v_lshl_add_u32 v20, v20, 23, 0x3c000000
	v_and_b32_e32 v21, 0x80000000, v21
	v_or3_b32 v97, v10, v21, v20
.LBB388_1013:                           ;   in Loop: Header=BB388_629 Depth=1
	s_or_b32 exec_lo, exec_lo, s15
.LBB388_1014:                           ;   in Loop: Header=BB388_629 Depth=1
	s_or_b32 exec_lo, exec_lo, s14
.LBB388_1015:                           ;   in Loop: Header=BB388_629 Depth=1
	s_or_b32 exec_lo, exec_lo, s13
	v_and_b32_sdwa v10, v18, v41 dst_sel:DWORD dst_unused:UNUSED_PAD src0_sel:WORD_1 src1_sel:DWORD
	v_mov_b32_e32 v99, 0
	v_mov_b32_e32 v96, 0
	s_mov_b32 s13, exec_lo
	v_cmpx_ne_u16_e32 0, v10
	s_cbranch_execz .LBB388_1023
; %bb.1016:                             ;   in Loop: Header=BB388_629 Depth=1
	v_bfrev_b32_e32 v96, 1
	s_mov_b32 s14, exec_lo
	v_cmpx_ne_u16_e32 0x80, v10
	s_cbranch_execz .LBB388_1022
; %bb.1017:                             ;   in Loop: Header=BB388_629 Depth=1
	v_bfe_u32 v21, v18, 16, 7
	v_mov_b32_e32 v96, 0x7f800001
	s_mov_b32 s15, exec_lo
	v_cmpx_ne_u32_e32 0x7f, v21
	s_cbranch_execz .LBB388_1021
; %bb.1018:                             ;   in Loop: Header=BB388_629 Depth=1
	v_and_b32_sdwa v10, v18, v42 dst_sel:DWORD dst_unused:UNUSED_PAD src0_sel:WORD_1 src1_sel:DWORD
	v_lshrrev_b32_e32 v20, 3, v21
	s_mov_b32 s16, exec_lo
	v_cmpx_gt_u32_e32 8, v21
; %bb.1019:                             ;   in Loop: Header=BB388_629 Depth=1
	v_ffbh_u32_e32 v20, v10
	v_min_u32_e32 v20, 32, v20
	v_subrev_nc_u32_e32 v21, 28, v20
	v_sub_nc_u32_e32 v20, 29, v20
	v_lshlrev_b64 v[100:101], v21, v[10:11]
	v_and_b32_e32 v10, 7, v100
; %bb.1020:                             ;   in Loop: Header=BB388_629 Depth=1
	s_or_b32 exec_lo, exec_lo, s16
	v_lshlrev_b32_sdwa v21, v43, v18 dst_sel:DWORD dst_unused:UNUSED_PAD src0_sel:DWORD src1_sel:WORD_1
	v_lshlrev_b32_e32 v10, 20, v10
	v_lshl_add_u32 v20, v20, 23, 0x3c000000
	v_and_b32_e32 v21, 0x80000000, v21
	v_or3_b32 v96, v10, v21, v20
.LBB388_1021:                           ;   in Loop: Header=BB388_629 Depth=1
	s_or_b32 exec_lo, exec_lo, s15
.LBB388_1022:                           ;   in Loop: Header=BB388_629 Depth=1
	s_or_b32 exec_lo, exec_lo, s14
.LBB388_1023:                           ;   in Loop: Header=BB388_629 Depth=1
	s_or_b32 exec_lo, exec_lo, s13
	s_mov_b32 s13, exec_lo
	v_cmpx_lt_u32_e32 0xffffff, v18
	s_cbranch_execz .LBB388_1031
; %bb.1024:                             ;   in Loop: Header=BB388_629 Depth=1
	v_cmp_ne_u32_sdwa s0, v18, v39 src0_sel:BYTE_3 src1_sel:DWORD
	v_bfrev_b32_e32 v99, 1
	s_and_saveexec_b32 s14, s0
	s_cbranch_execz .LBB388_1030
; %bb.1025:                             ;   in Loop: Header=BB388_629 Depth=1
	v_bfe_u32 v21, v18, 24, 7
	v_mov_b32_e32 v99, 0x7f800001
	s_mov_b32 s15, exec_lo
	v_cmpx_ne_u32_e32 0x7f, v21
	s_cbranch_execz .LBB388_1029
; %bb.1026:                             ;   in Loop: Header=BB388_629 Depth=1
	v_and_b32_sdwa v10, v18, v42 dst_sel:DWORD dst_unused:UNUSED_PAD src0_sel:BYTE_3 src1_sel:DWORD
	v_lshrrev_b32_e32 v20, 3, v21
	s_mov_b32 s16, exec_lo
	v_cmpx_gt_u32_e32 8, v21
; %bb.1027:                             ;   in Loop: Header=BB388_629 Depth=1
	v_ffbh_u32_e32 v20, v10
	v_min_u32_e32 v20, 32, v20
	v_subrev_nc_u32_e32 v21, 28, v20
	v_sub_nc_u32_e32 v20, 29, v20
	v_lshlrev_b64 v[99:100], v21, v[10:11]
	v_and_b32_e32 v10, 7, v99
; %bb.1028:                             ;   in Loop: Header=BB388_629 Depth=1
	s_or_b32 exec_lo, exec_lo, s16
	v_lshlrev_b32_sdwa v21, v43, v18 dst_sel:DWORD dst_unused:UNUSED_PAD src0_sel:DWORD src1_sel:BYTE_3
	v_lshlrev_b32_e32 v10, 20, v10
	v_lshl_add_u32 v20, v20, 23, 0x3c000000
	v_and_b32_e32 v21, 0x80000000, v21
	v_or3_b32 v99, v10, v21, v20
.LBB388_1029:                           ;   in Loop: Header=BB388_629 Depth=1
	s_or_b32 exec_lo, exec_lo, s15
.LBB388_1030:                           ;   in Loop: Header=BB388_629 Depth=1
	s_or_b32 exec_lo, exec_lo, s14
.LBB388_1031:                           ;   in Loop: Header=BB388_629 Depth=1
	s_or_b32 exec_lo, exec_lo, s13
	v_mov_b32_e32 v10, v19
	v_cmp_ne_u16_sdwa s0, v19, v11 src0_sel:BYTE_0 src1_sel:DWORD
	v_mov_b32_e32 v20, 0
	v_mov_b32_e32 v100, 0
	s_and_saveexec_b32 s13, s0
	s_cbranch_execz .LBB388_1037
; %bb.1032:                             ;   in Loop: Header=BB388_629 Depth=1
	v_cmp_ne_u16_sdwa s0, v19, v39 src0_sel:BYTE_0 src1_sel:DWORD
	v_bfrev_b32_e32 v100, 1
	s_and_saveexec_b32 s14, s0
	s_cbranch_execz .LBB388_1036
; %bb.1033:                             ;   in Loop: Header=BB388_629 Depth=1
	v_and_b32_e32 v21, 0x7f, v19
	v_mov_b32_e32 v100, 0x7f800001
	s_mov_b32 s15, exec_lo
	v_cmpx_ne_u32_e32 0x7f, v21
	s_cbranch_execz .LBB388_1035
; %bb.1034:                             ;   in Loop: Header=BB388_629 Depth=1
	v_and_b32_e32 v100, 7, v19
	v_lshrrev_b32_e32 v101, 3, v21
	v_cmp_gt_u32_e64 s0, 8, v21
	v_ffbh_u32_e32 v100, v100
	v_min_u32_e32 v100, 32, v100
	v_subrev_nc_u32_e32 v102, 28, v100
	v_sub_nc_u32_e32 v100, 29, v100
	v_cndmask_b32_e64 v21, v101, v100, s0
	v_cndmask_b32_e64 v100, 0, v102, s0
	v_lshl_add_u32 v21, v21, 23, 0x3c000000
	v_lshlrev_b64 v[100:101], v100, v[10:11]
	v_lshlrev_b32_e32 v101, 24, v10
	v_lshlrev_b32_e32 v100, 20, v100
	v_and_b32_e32 v101, 0x80000000, v101
	v_and_b32_e32 v100, 0x700000, v100
	v_or3_b32 v100, v100, v101, v21
.LBB388_1035:                           ;   in Loop: Header=BB388_629 Depth=1
	s_or_b32 exec_lo, exec_lo, s15
.LBB388_1036:                           ;   in Loop: Header=BB388_629 Depth=1
	s_or_b32 exec_lo, exec_lo, s14
.LBB388_1037:                           ;   in Loop: Header=BB388_629 Depth=1
	s_or_b32 exec_lo, exec_lo, s13
	v_cmp_ne_u16_sdwa s0, v10, v11 src0_sel:BYTE_1 src1_sel:DWORD
	s_and_saveexec_b32 s13, s0
	s_cbranch_execz .LBB388_1045
; %bb.1038:                             ;   in Loop: Header=BB388_629 Depth=1
	v_cmp_ne_u16_sdwa s0, v10, v39 src0_sel:BYTE_1 src1_sel:DWORD
	v_bfrev_b32_e32 v20, 1
	s_and_saveexec_b32 s14, s0
	s_cbranch_execz .LBB388_1044
; %bb.1039:                             ;   in Loop: Header=BB388_629 Depth=1
	v_and_b32_sdwa v21, v40, v10 dst_sel:DWORD dst_unused:UNUSED_PAD src0_sel:DWORD src1_sel:BYTE_1
	v_mov_b32_e32 v20, 0x7f800001
	s_mov_b32 s15, exec_lo
	v_and_b32_e32 v102, 0x7f, v21
	v_cmpx_ne_u32_e32 0x7f, v102
	s_cbranch_execz .LBB388_1043
; %bb.1040:                             ;   in Loop: Header=BB388_629 Depth=1
	v_and_b32_e32 v20, 7, v21
	v_mov_b32_e32 v21, v11
	v_lshrrev_b32_e32 v101, 3, v102
	s_mov_b32 s16, exec_lo
	v_cmpx_gt_u32_e32 8, v102
; %bb.1041:                             ;   in Loop: Header=BB388_629 Depth=1
	v_ffbh_u32_e32 v101, v20
	v_min_u32_e32 v101, 32, v101
	v_subrev_nc_u32_e32 v102, 28, v101
	v_sub_nc_u32_e32 v101, 29, v101
	v_lshlrev_b64 v[20:21], v102, v[20:21]
	v_and_b32_e32 v20, 7, v20
; %bb.1042:                             ;   in Loop: Header=BB388_629 Depth=1
	s_or_b32 exec_lo, exec_lo, s16
	v_lshlrev_b32_e32 v10, 16, v10
	v_lshlrev_b32_e32 v20, 20, v20
	v_lshl_add_u32 v21, v101, 23, 0x3c000000
	v_and_b32_e32 v10, 0x80000000, v10
	v_or3_b32 v20, v20, v10, v21
.LBB388_1043:                           ;   in Loop: Header=BB388_629 Depth=1
	s_or_b32 exec_lo, exec_lo, s15
.LBB388_1044:                           ;   in Loop: Header=BB388_629 Depth=1
	s_or_b32 exec_lo, exec_lo, s14
.LBB388_1045:                           ;   in Loop: Header=BB388_629 Depth=1
	s_or_b32 exec_lo, exec_lo, s13
	v_and_b32_sdwa v10, v19, v41 dst_sel:DWORD dst_unused:UNUSED_PAD src0_sel:WORD_1 src1_sel:DWORD
	v_mov_b32_e32 v21, 0
	v_mov_b32_e32 v101, 0
	s_mov_b32 s13, exec_lo
	v_cmpx_ne_u16_e32 0, v10
	s_cbranch_execz .LBB388_1053
; %bb.1046:                             ;   in Loop: Header=BB388_629 Depth=1
	v_bfrev_b32_e32 v101, 1
	s_mov_b32 s14, exec_lo
	v_cmpx_ne_u16_e32 0x80, v10
	s_cbranch_execz .LBB388_1052
; %bb.1047:                             ;   in Loop: Header=BB388_629 Depth=1
	v_bfe_u32 v102, v19, 16, 7
	v_mov_b32_e32 v101, 0x7f800001
	s_mov_b32 s15, exec_lo
	v_cmpx_ne_u32_e32 0x7f, v102
	s_cbranch_execz .LBB388_1051
; %bb.1048:                             ;   in Loop: Header=BB388_629 Depth=1
	v_and_b32_sdwa v10, v19, v42 dst_sel:DWORD dst_unused:UNUSED_PAD src0_sel:WORD_1 src1_sel:DWORD
	v_lshrrev_b32_e32 v101, 3, v102
	s_mov_b32 s16, exec_lo
	v_cmpx_gt_u32_e32 8, v102
; %bb.1049:                             ;   in Loop: Header=BB388_629 Depth=1
	v_ffbh_u32_e32 v101, v10
	v_min_u32_e32 v101, 32, v101
	v_subrev_nc_u32_e32 v102, 28, v101
	v_sub_nc_u32_e32 v101, 29, v101
	v_lshlrev_b64 v[102:103], v102, v[10:11]
	v_and_b32_e32 v10, 7, v102
; %bb.1050:                             ;   in Loop: Header=BB388_629 Depth=1
	s_or_b32 exec_lo, exec_lo, s16
	v_lshlrev_b32_sdwa v102, v43, v19 dst_sel:DWORD dst_unused:UNUSED_PAD src0_sel:DWORD src1_sel:WORD_1
	v_lshlrev_b32_e32 v10, 20, v10
	v_lshl_add_u32 v101, v101, 23, 0x3c000000
	v_and_b32_e32 v102, 0x80000000, v102
	v_or3_b32 v101, v10, v102, v101
.LBB388_1051:                           ;   in Loop: Header=BB388_629 Depth=1
	s_or_b32 exec_lo, exec_lo, s15
.LBB388_1052:                           ;   in Loop: Header=BB388_629 Depth=1
	s_or_b32 exec_lo, exec_lo, s14
.LBB388_1053:                           ;   in Loop: Header=BB388_629 Depth=1
	s_or_b32 exec_lo, exec_lo, s13
	s_mov_b32 s13, exec_lo
	v_cmpx_lt_u64_e64 s[4:5], v[18:19]
	s_cbranch_execz .LBB388_1061
; %bb.1054:                             ;   in Loop: Header=BB388_629 Depth=1
	v_cmp_ne_u32_sdwa s0, v19, v39 src0_sel:BYTE_3 src1_sel:DWORD
	v_bfrev_b32_e32 v21, 1
	s_and_saveexec_b32 s14, s0
	s_cbranch_execz .LBB388_1060
; %bb.1055:                             ;   in Loop: Header=BB388_629 Depth=1
	v_bfe_u32 v102, v19, 24, 7
	v_mov_b32_e32 v21, 0x7f800001
	s_mov_b32 s15, exec_lo
	v_cmpx_ne_u32_e32 0x7f, v102
	s_cbranch_execz .LBB388_1059
; %bb.1056:                             ;   in Loop: Header=BB388_629 Depth=1
	v_and_b32_sdwa v10, v19, v42 dst_sel:DWORD dst_unused:UNUSED_PAD src0_sel:BYTE_3 src1_sel:DWORD
	v_lshrrev_b32_e32 v18, 3, v102
	s_mov_b32 s16, exec_lo
	v_cmpx_gt_u32_e32 8, v102
; %bb.1057:                             ;   in Loop: Header=BB388_629 Depth=1
	v_ffbh_u32_e32 v18, v10
	v_min_u32_e32 v18, 32, v18
	v_subrev_nc_u32_e32 v21, 28, v18
	v_sub_nc_u32_e32 v18, 29, v18
	v_lshlrev_b64 v[102:103], v21, v[10:11]
	v_and_b32_e32 v10, 7, v102
; %bb.1058:                             ;   in Loop: Header=BB388_629 Depth=1
	s_or_b32 exec_lo, exec_lo, s16
	v_lshlrev_b32_sdwa v19, v43, v19 dst_sel:DWORD dst_unused:UNUSED_PAD src0_sel:DWORD src1_sel:BYTE_3
	v_lshlrev_b32_e32 v10, 20, v10
	v_lshl_add_u32 v18, v18, 23, 0x3c000000
	v_and_b32_e32 v19, 0x80000000, v19
	v_or3_b32 v21, v10, v19, v18
.LBB388_1059:                           ;   in Loop: Header=BB388_629 Depth=1
	s_or_b32 exec_lo, exec_lo, s15
.LBB388_1060:                           ;   in Loop: Header=BB388_629 Depth=1
	s_or_b32 exec_lo, exec_lo, s14
.LBB388_1061:                           ;   in Loop: Header=BB388_629 Depth=1
	s_or_b32 exec_lo, exec_lo, s13
	v_mul_f32_e32 v10, s6, v20
	v_mul_f32_e32 v18, s6, v100
	;; [unrolled: 1-line block ×5, first 2 shown]
	v_bfe_u32 v96, v10, 16, 1
	v_or_b32_e32 v99, 0x400000, v10
	v_bfe_u32 v100, v18, 16, 1
	v_cmp_u_f32_e64 s0, v10, v10
	v_or_b32_e32 v102, 0x400000, v18
	v_add3_u32 v96, v96, v10, 0x7fff
	v_bfe_u32 v103, v19, 16, 1
	v_add3_u32 v100, v100, v18, 0x7fff
	v_or_b32_e32 v104, 0x400000, v19
	v_bfe_u32 v105, v20, 16, 1
	v_cndmask_b32_e64 v10, v96, v99, s0
	v_cmp_u_f32_e64 s0, v18, v18
	v_add3_u32 v103, v103, v19, 0x7fff
	v_lshrrev_b32_e32 v96, 16, v10
	v_cndmask_b32_e64 v18, v100, v102, s0
	v_cmp_u_f32_e64 s0, v19, v19
	v_mul_f32_e32 v10, s6, v97
	v_add3_u32 v100, v105, v20, 0x7fff
	v_or_b32_e32 v102, 0x400000, v20
	v_lshrrev_b32_e32 v97, 16, v18
	v_cndmask_b32_e64 v19, v103, v104, s0
	v_bfe_u32 v18, v10, 16, 1
	v_cmp_u_f32_e64 s0, v20, v20
	v_mul_f32_e32 v20, s6, v98
	v_mul_f32_e32 v98, s6, v101
	v_lshrrev_b32_e32 v99, 16, v19
	v_add3_u32 v18, v18, v10, 0x7fff
	v_cndmask_b32_e64 v19, v100, v102, s0
	v_or_b32_e32 v100, 0x400000, v10
	v_bfe_u32 v101, v20, 16, 1
	v_cmp_u_f32_e64 s0, v10, v10
	v_bfe_u32 v102, v98, 16, 1
	v_or_b32_e32 v103, 0x400000, v98
	v_or_b32_e32 v104, 0x400000, v21
	v_cndmask_b32_e64 v10, v18, v100, s0
	v_add3_u32 v100, v101, v20, 0x7fff
	v_or_b32_e32 v101, 0x400000, v20
	v_cmp_u_f32_e64 s0, v20, v20
	v_bfe_u32 v18, v21, 16, 1
	v_add3_u32 v102, v102, v98, 0x7fff
	v_cndmask_b32_e64 v20, v100, v101, s0
	v_cmp_u_f32_e64 s0, v98, v98
	v_add3_u32 v18, v18, v21, 0x7fff
	v_lshrrev_b32_e32 v101, 16, v19
	v_cndmask_b32_e64 v98, v102, v103, s0
	v_cmp_u_f32_e64 s0, v21, v21
	v_lshrrev_b32_e32 v103, 16, v10
	v_lshrrev_b32_e32 v102, 16, v20
	;; [unrolled: 1-line block ×3, first 2 shown]
	v_cndmask_b32_e64 v18, v18, v104, s0
	v_lshrrev_b32_e32 v100, 16, v18
	s_and_saveexec_b32 s13, vcc_lo
	s_cbranch_execz .LBB388_1063
; %bb.1062:                             ;   in Loop: Header=BB388_629 Depth=1
	v_cmp_gt_i32_e64 s0, s29, v60
	v_cndmask_b32_e64 v102, 0, v102, s0
	v_cmp_gt_i32_e64 s0, s29, v66
	v_cndmask_b32_e64 v103, 0, v103, s0
	;; [unrolled: 2-line block ×8, first 2 shown]
.LBB388_1063:                           ;   in Loop: Header=BB388_629 Depth=1
	s_or_b32 exec_lo, exec_lo, s13
	global_load_dwordx2 v[18:19], v[16:17], off offset:1792
	v_mov_b32_e32 v104, 0
	v_mov_b32_e32 v106, 0
	s_waitcnt vmcnt(0)
	v_cmp_ne_u16_sdwa s0, v18, v11 src0_sel:BYTE_0 src1_sel:DWORD
	s_and_saveexec_b32 s13, s0
	s_cbranch_execz .LBB388_1069
; %bb.1064:                             ;   in Loop: Header=BB388_629 Depth=1
	v_cmp_ne_u16_sdwa s0, v18, v39 src0_sel:BYTE_0 src1_sel:DWORD
	v_bfrev_b32_e32 v106, 1
	s_and_saveexec_b32 s14, s0
	s_cbranch_execz .LBB388_1068
; %bb.1065:                             ;   in Loop: Header=BB388_629 Depth=1
	v_and_b32_e32 v10, 0x7f, v18
	v_mov_b32_e32 v106, 0x7f800001
	s_mov_b32 s15, exec_lo
	v_cmpx_ne_u32_e32 0x7f, v10
	s_cbranch_execz .LBB388_1067
; %bb.1066:                             ;   in Loop: Header=BB388_629 Depth=1
	v_and_b32_e32 v20, 7, v18
	v_lshrrev_b32_e32 v21, 3, v10
	v_cmp_gt_u32_e64 s0, 8, v10
	v_ffbh_u32_e32 v20, v20
	v_min_u32_e32 v20, 32, v20
	v_subrev_nc_u32_e32 v105, 28, v20
	v_sub_nc_u32_e32 v20, 29, v20
	v_cndmask_b32_e64 v10, v21, v20, s0
	v_cndmask_b32_e64 v20, 0, v105, s0
	v_lshl_add_u32 v10, v10, 23, 0x3c000000
	v_lshlrev_b64 v[20:21], v20, v[18:19]
	v_lshlrev_b32_e32 v21, 24, v18
	v_lshlrev_b32_e32 v20, 20, v20
	v_and_b32_e32 v21, 0x80000000, v21
	v_and_b32_e32 v20, 0x700000, v20
	v_or3_b32 v106, v20, v21, v10
.LBB388_1067:                           ;   in Loop: Header=BB388_629 Depth=1
	s_or_b32 exec_lo, exec_lo, s15
.LBB388_1068:                           ;   in Loop: Header=BB388_629 Depth=1
	s_or_b32 exec_lo, exec_lo, s14
.LBB388_1069:                           ;   in Loop: Header=BB388_629 Depth=1
	s_or_b32 exec_lo, exec_lo, s13
	v_cmp_ne_u16_sdwa s0, v18, v11 src0_sel:BYTE_1 src1_sel:DWORD
	s_and_saveexec_b32 s13, s0
	s_cbranch_execz .LBB388_1077
; %bb.1070:                             ;   in Loop: Header=BB388_629 Depth=1
	v_cmp_ne_u16_sdwa s0, v18, v39 src0_sel:BYTE_1 src1_sel:DWORD
	v_bfrev_b32_e32 v104, 1
	s_and_saveexec_b32 s14, s0
	s_cbranch_execz .LBB388_1076
; %bb.1071:                             ;   in Loop: Header=BB388_629 Depth=1
	v_and_b32_sdwa v10, v40, v18 dst_sel:DWORD dst_unused:UNUSED_PAD src0_sel:DWORD src1_sel:BYTE_1
	v_mov_b32_e32 v104, 0x7f800001
	s_mov_b32 s15, exec_lo
	v_and_b32_e32 v21, 0x7f, v10
	v_cmpx_ne_u32_e32 0x7f, v21
	s_cbranch_execz .LBB388_1075
; %bb.1072:                             ;   in Loop: Header=BB388_629 Depth=1
	v_and_b32_e32 v10, 7, v10
	v_lshrrev_b32_e32 v20, 3, v21
	s_mov_b32 s16, exec_lo
	v_cmpx_gt_u32_e32 8, v21
; %bb.1073:                             ;   in Loop: Header=BB388_629 Depth=1
	v_ffbh_u32_e32 v20, v10
	v_min_u32_e32 v20, 32, v20
	v_subrev_nc_u32_e32 v21, 28, v20
	v_sub_nc_u32_e32 v20, 29, v20
	v_lshlrev_b64 v[104:105], v21, v[10:11]
	v_and_b32_e32 v10, 7, v104
; %bb.1074:                             ;   in Loop: Header=BB388_629 Depth=1
	s_or_b32 exec_lo, exec_lo, s16
	v_lshlrev_b32_e32 v21, 16, v18
	v_lshlrev_b32_e32 v10, 20, v10
	v_lshl_add_u32 v20, v20, 23, 0x3c000000
	v_and_b32_e32 v21, 0x80000000, v21
	v_or3_b32 v104, v10, v21, v20
.LBB388_1075:                           ;   in Loop: Header=BB388_629 Depth=1
	s_or_b32 exec_lo, exec_lo, s15
.LBB388_1076:                           ;   in Loop: Header=BB388_629 Depth=1
	s_or_b32 exec_lo, exec_lo, s14
.LBB388_1077:                           ;   in Loop: Header=BB388_629 Depth=1
	s_or_b32 exec_lo, exec_lo, s13
	v_and_b32_sdwa v10, v18, v41 dst_sel:DWORD dst_unused:UNUSED_PAD src0_sel:WORD_1 src1_sel:DWORD
	v_mov_b32_e32 v107, 0
	v_mov_b32_e32 v105, 0
	s_mov_b32 s13, exec_lo
	v_cmpx_ne_u16_e32 0, v10
	s_cbranch_execz .LBB388_1085
; %bb.1078:                             ;   in Loop: Header=BB388_629 Depth=1
	v_bfrev_b32_e32 v105, 1
	s_mov_b32 s14, exec_lo
	v_cmpx_ne_u16_e32 0x80, v10
	s_cbranch_execz .LBB388_1084
; %bb.1079:                             ;   in Loop: Header=BB388_629 Depth=1
	v_bfe_u32 v21, v18, 16, 7
	v_mov_b32_e32 v105, 0x7f800001
	s_mov_b32 s15, exec_lo
	v_cmpx_ne_u32_e32 0x7f, v21
	s_cbranch_execz .LBB388_1083
; %bb.1080:                             ;   in Loop: Header=BB388_629 Depth=1
	v_and_b32_sdwa v10, v18, v42 dst_sel:DWORD dst_unused:UNUSED_PAD src0_sel:WORD_1 src1_sel:DWORD
	v_lshrrev_b32_e32 v20, 3, v21
	s_mov_b32 s16, exec_lo
	v_cmpx_gt_u32_e32 8, v21
; %bb.1081:                             ;   in Loop: Header=BB388_629 Depth=1
	v_ffbh_u32_e32 v20, v10
	v_min_u32_e32 v20, 32, v20
	v_subrev_nc_u32_e32 v21, 28, v20
	v_sub_nc_u32_e32 v20, 29, v20
	v_lshlrev_b64 v[108:109], v21, v[10:11]
	v_and_b32_e32 v10, 7, v108
; %bb.1082:                             ;   in Loop: Header=BB388_629 Depth=1
	s_or_b32 exec_lo, exec_lo, s16
	v_lshlrev_b32_sdwa v21, v43, v18 dst_sel:DWORD dst_unused:UNUSED_PAD src0_sel:DWORD src1_sel:WORD_1
	v_lshlrev_b32_e32 v10, 20, v10
	v_lshl_add_u32 v20, v20, 23, 0x3c000000
	v_and_b32_e32 v21, 0x80000000, v21
	v_or3_b32 v105, v10, v21, v20
.LBB388_1083:                           ;   in Loop: Header=BB388_629 Depth=1
	s_or_b32 exec_lo, exec_lo, s15
.LBB388_1084:                           ;   in Loop: Header=BB388_629 Depth=1
	s_or_b32 exec_lo, exec_lo, s14
.LBB388_1085:                           ;   in Loop: Header=BB388_629 Depth=1
	s_or_b32 exec_lo, exec_lo, s13
	s_mov_b32 s13, exec_lo
	v_cmpx_lt_u32_e32 0xffffff, v18
	s_cbranch_execz .LBB388_1093
; %bb.1086:                             ;   in Loop: Header=BB388_629 Depth=1
	v_cmp_ne_u32_sdwa s0, v18, v39 src0_sel:BYTE_3 src1_sel:DWORD
	v_bfrev_b32_e32 v107, 1
	s_and_saveexec_b32 s14, s0
	s_cbranch_execz .LBB388_1092
; %bb.1087:                             ;   in Loop: Header=BB388_629 Depth=1
	v_bfe_u32 v21, v18, 24, 7
	v_mov_b32_e32 v107, 0x7f800001
	s_mov_b32 s15, exec_lo
	v_cmpx_ne_u32_e32 0x7f, v21
	s_cbranch_execz .LBB388_1091
; %bb.1088:                             ;   in Loop: Header=BB388_629 Depth=1
	v_and_b32_sdwa v10, v18, v42 dst_sel:DWORD dst_unused:UNUSED_PAD src0_sel:BYTE_3 src1_sel:DWORD
	v_lshrrev_b32_e32 v20, 3, v21
	s_mov_b32 s16, exec_lo
	v_cmpx_gt_u32_e32 8, v21
; %bb.1089:                             ;   in Loop: Header=BB388_629 Depth=1
	v_ffbh_u32_e32 v20, v10
	v_min_u32_e32 v20, 32, v20
	v_subrev_nc_u32_e32 v21, 28, v20
	v_sub_nc_u32_e32 v20, 29, v20
	v_lshlrev_b64 v[107:108], v21, v[10:11]
	v_and_b32_e32 v10, 7, v107
; %bb.1090:                             ;   in Loop: Header=BB388_629 Depth=1
	s_or_b32 exec_lo, exec_lo, s16
	v_lshlrev_b32_sdwa v21, v43, v18 dst_sel:DWORD dst_unused:UNUSED_PAD src0_sel:DWORD src1_sel:BYTE_3
	v_lshlrev_b32_e32 v10, 20, v10
	v_lshl_add_u32 v20, v20, 23, 0x3c000000
	v_and_b32_e32 v21, 0x80000000, v21
	v_or3_b32 v107, v10, v21, v20
.LBB388_1091:                           ;   in Loop: Header=BB388_629 Depth=1
	s_or_b32 exec_lo, exec_lo, s15
.LBB388_1092:                           ;   in Loop: Header=BB388_629 Depth=1
	s_or_b32 exec_lo, exec_lo, s14
.LBB388_1093:                           ;   in Loop: Header=BB388_629 Depth=1
	s_or_b32 exec_lo, exec_lo, s13
	v_mov_b32_e32 v10, v19
	v_cmp_ne_u16_sdwa s0, v19, v11 src0_sel:BYTE_0 src1_sel:DWORD
	v_mov_b32_e32 v20, 0
	v_mov_b32_e32 v108, 0
	s_and_saveexec_b32 s13, s0
	s_cbranch_execz .LBB388_1099
; %bb.1094:                             ;   in Loop: Header=BB388_629 Depth=1
	v_cmp_ne_u16_sdwa s0, v19, v39 src0_sel:BYTE_0 src1_sel:DWORD
	v_bfrev_b32_e32 v108, 1
	s_and_saveexec_b32 s14, s0
	s_cbranch_execz .LBB388_1098
; %bb.1095:                             ;   in Loop: Header=BB388_629 Depth=1
	v_and_b32_e32 v21, 0x7f, v19
	v_mov_b32_e32 v108, 0x7f800001
	s_mov_b32 s15, exec_lo
	v_cmpx_ne_u32_e32 0x7f, v21
	s_cbranch_execz .LBB388_1097
; %bb.1096:                             ;   in Loop: Header=BB388_629 Depth=1
	v_and_b32_e32 v108, 7, v19
	v_lshrrev_b32_e32 v109, 3, v21
	v_cmp_gt_u32_e64 s0, 8, v21
	v_ffbh_u32_e32 v108, v108
	v_min_u32_e32 v108, 32, v108
	v_subrev_nc_u32_e32 v110, 28, v108
	v_sub_nc_u32_e32 v108, 29, v108
	v_cndmask_b32_e64 v21, v109, v108, s0
	v_cndmask_b32_e64 v108, 0, v110, s0
	v_lshl_add_u32 v21, v21, 23, 0x3c000000
	v_lshlrev_b64 v[108:109], v108, v[10:11]
	v_lshlrev_b32_e32 v109, 24, v10
	v_lshlrev_b32_e32 v108, 20, v108
	v_and_b32_e32 v109, 0x80000000, v109
	v_and_b32_e32 v108, 0x700000, v108
	v_or3_b32 v108, v108, v109, v21
.LBB388_1097:                           ;   in Loop: Header=BB388_629 Depth=1
	s_or_b32 exec_lo, exec_lo, s15
.LBB388_1098:                           ;   in Loop: Header=BB388_629 Depth=1
	s_or_b32 exec_lo, exec_lo, s14
.LBB388_1099:                           ;   in Loop: Header=BB388_629 Depth=1
	s_or_b32 exec_lo, exec_lo, s13
	v_cmp_ne_u16_sdwa s0, v10, v11 src0_sel:BYTE_1 src1_sel:DWORD
	s_and_saveexec_b32 s13, s0
	s_cbranch_execz .LBB388_1107
; %bb.1100:                             ;   in Loop: Header=BB388_629 Depth=1
	v_cmp_ne_u16_sdwa s0, v10, v39 src0_sel:BYTE_1 src1_sel:DWORD
	v_bfrev_b32_e32 v20, 1
	s_and_saveexec_b32 s14, s0
	s_cbranch_execz .LBB388_1106
; %bb.1101:                             ;   in Loop: Header=BB388_629 Depth=1
	v_and_b32_sdwa v21, v40, v10 dst_sel:DWORD dst_unused:UNUSED_PAD src0_sel:DWORD src1_sel:BYTE_1
	v_mov_b32_e32 v20, 0x7f800001
	s_mov_b32 s15, exec_lo
	v_and_b32_e32 v110, 0x7f, v21
	v_cmpx_ne_u32_e32 0x7f, v110
	s_cbranch_execz .LBB388_1105
; %bb.1102:                             ;   in Loop: Header=BB388_629 Depth=1
	v_and_b32_e32 v20, 7, v21
	v_mov_b32_e32 v21, v11
	v_lshrrev_b32_e32 v109, 3, v110
	s_mov_b32 s16, exec_lo
	v_cmpx_gt_u32_e32 8, v110
; %bb.1103:                             ;   in Loop: Header=BB388_629 Depth=1
	v_ffbh_u32_e32 v109, v20
	v_min_u32_e32 v109, 32, v109
	v_subrev_nc_u32_e32 v110, 28, v109
	v_sub_nc_u32_e32 v109, 29, v109
	v_lshlrev_b64 v[20:21], v110, v[20:21]
	v_and_b32_e32 v20, 7, v20
; %bb.1104:                             ;   in Loop: Header=BB388_629 Depth=1
	s_or_b32 exec_lo, exec_lo, s16
	v_lshlrev_b32_e32 v10, 16, v10
	v_lshlrev_b32_e32 v20, 20, v20
	v_lshl_add_u32 v21, v109, 23, 0x3c000000
	v_and_b32_e32 v10, 0x80000000, v10
	v_or3_b32 v20, v20, v10, v21
.LBB388_1105:                           ;   in Loop: Header=BB388_629 Depth=1
	s_or_b32 exec_lo, exec_lo, s15
.LBB388_1106:                           ;   in Loop: Header=BB388_629 Depth=1
	s_or_b32 exec_lo, exec_lo, s14
.LBB388_1107:                           ;   in Loop: Header=BB388_629 Depth=1
	s_or_b32 exec_lo, exec_lo, s13
	v_and_b32_sdwa v10, v19, v41 dst_sel:DWORD dst_unused:UNUSED_PAD src0_sel:WORD_1 src1_sel:DWORD
	v_mov_b32_e32 v21, 0
	v_mov_b32_e32 v109, 0
	s_mov_b32 s13, exec_lo
	v_cmpx_ne_u16_e32 0, v10
	s_cbranch_execz .LBB388_1115
; %bb.1108:                             ;   in Loop: Header=BB388_629 Depth=1
	v_bfrev_b32_e32 v109, 1
	s_mov_b32 s14, exec_lo
	v_cmpx_ne_u16_e32 0x80, v10
	s_cbranch_execz .LBB388_1114
; %bb.1109:                             ;   in Loop: Header=BB388_629 Depth=1
	v_bfe_u32 v110, v19, 16, 7
	v_mov_b32_e32 v109, 0x7f800001
	s_mov_b32 s15, exec_lo
	v_cmpx_ne_u32_e32 0x7f, v110
	s_cbranch_execz .LBB388_1113
; %bb.1110:                             ;   in Loop: Header=BB388_629 Depth=1
	v_and_b32_sdwa v10, v19, v42 dst_sel:DWORD dst_unused:UNUSED_PAD src0_sel:WORD_1 src1_sel:DWORD
	v_lshrrev_b32_e32 v109, 3, v110
	s_mov_b32 s16, exec_lo
	v_cmpx_gt_u32_e32 8, v110
; %bb.1111:                             ;   in Loop: Header=BB388_629 Depth=1
	v_ffbh_u32_e32 v109, v10
	v_min_u32_e32 v109, 32, v109
	v_subrev_nc_u32_e32 v110, 28, v109
	v_sub_nc_u32_e32 v109, 29, v109
	v_lshlrev_b64 v[110:111], v110, v[10:11]
	v_and_b32_e32 v10, 7, v110
; %bb.1112:                             ;   in Loop: Header=BB388_629 Depth=1
	s_or_b32 exec_lo, exec_lo, s16
	v_lshlrev_b32_sdwa v110, v43, v19 dst_sel:DWORD dst_unused:UNUSED_PAD src0_sel:DWORD src1_sel:WORD_1
	v_lshlrev_b32_e32 v10, 20, v10
	v_lshl_add_u32 v109, v109, 23, 0x3c000000
	v_and_b32_e32 v110, 0x80000000, v110
	v_or3_b32 v109, v10, v110, v109
.LBB388_1113:                           ;   in Loop: Header=BB388_629 Depth=1
	s_or_b32 exec_lo, exec_lo, s15
.LBB388_1114:                           ;   in Loop: Header=BB388_629 Depth=1
	s_or_b32 exec_lo, exec_lo, s14
.LBB388_1115:                           ;   in Loop: Header=BB388_629 Depth=1
	s_or_b32 exec_lo, exec_lo, s13
	s_mov_b32 s13, exec_lo
	v_cmpx_lt_u64_e64 s[4:5], v[18:19]
	s_cbranch_execz .LBB388_1123
; %bb.1116:                             ;   in Loop: Header=BB388_629 Depth=1
	v_cmp_ne_u32_sdwa s0, v19, v39 src0_sel:BYTE_3 src1_sel:DWORD
	v_bfrev_b32_e32 v21, 1
	s_and_saveexec_b32 s14, s0
	s_cbranch_execz .LBB388_1122
; %bb.1117:                             ;   in Loop: Header=BB388_629 Depth=1
	v_bfe_u32 v110, v19, 24, 7
	v_mov_b32_e32 v21, 0x7f800001
	s_mov_b32 s15, exec_lo
	v_cmpx_ne_u32_e32 0x7f, v110
	s_cbranch_execz .LBB388_1121
; %bb.1118:                             ;   in Loop: Header=BB388_629 Depth=1
	v_and_b32_sdwa v10, v19, v42 dst_sel:DWORD dst_unused:UNUSED_PAD src0_sel:BYTE_3 src1_sel:DWORD
	v_lshrrev_b32_e32 v18, 3, v110
	s_mov_b32 s16, exec_lo
	v_cmpx_gt_u32_e32 8, v110
; %bb.1119:                             ;   in Loop: Header=BB388_629 Depth=1
	v_ffbh_u32_e32 v18, v10
	v_min_u32_e32 v18, 32, v18
	v_subrev_nc_u32_e32 v21, 28, v18
	v_sub_nc_u32_e32 v18, 29, v18
	v_lshlrev_b64 v[110:111], v21, v[10:11]
	v_and_b32_e32 v10, 7, v110
; %bb.1120:                             ;   in Loop: Header=BB388_629 Depth=1
	s_or_b32 exec_lo, exec_lo, s16
	v_lshlrev_b32_sdwa v19, v43, v19 dst_sel:DWORD dst_unused:UNUSED_PAD src0_sel:DWORD src1_sel:BYTE_3
	v_lshlrev_b32_e32 v10, 20, v10
	v_lshl_add_u32 v18, v18, 23, 0x3c000000
	v_and_b32_e32 v19, 0x80000000, v19
	v_or3_b32 v21, v10, v19, v18
.LBB388_1121:                           ;   in Loop: Header=BB388_629 Depth=1
	s_or_b32 exec_lo, exec_lo, s15
.LBB388_1122:                           ;   in Loop: Header=BB388_629 Depth=1
	s_or_b32 exec_lo, exec_lo, s14
.LBB388_1123:                           ;   in Loop: Header=BB388_629 Depth=1
	s_or_b32 exec_lo, exec_lo, s13
	v_mul_f32_e32 v10, s6, v20
	v_mul_f32_e32 v18, s6, v108
	;; [unrolled: 1-line block ×5, first 2 shown]
	v_bfe_u32 v105, v10, 16, 1
	v_or_b32_e32 v107, 0x400000, v10
	v_bfe_u32 v108, v18, 16, 1
	v_cmp_u_f32_e64 s0, v10, v10
	v_or_b32_e32 v110, 0x400000, v18
	v_add3_u32 v105, v105, v10, 0x7fff
	v_bfe_u32 v111, v19, 16, 1
	v_add3_u32 v108, v108, v18, 0x7fff
	v_or_b32_e32 v112, 0x400000, v19
	v_bfe_u32 v113, v20, 16, 1
	v_cndmask_b32_e64 v10, v105, v107, s0
	v_cmp_u_f32_e64 s0, v18, v18
	v_add3_u32 v111, v111, v19, 0x7fff
	v_lshrrev_b32_e32 v105, 16, v10
	v_cndmask_b32_e64 v18, v108, v110, s0
	v_cmp_u_f32_e64 s0, v19, v19
	v_mul_f32_e32 v10, s6, v104
	v_add3_u32 v108, v113, v20, 0x7fff
	v_or_b32_e32 v110, 0x400000, v20
	v_lshrrev_b32_e32 v104, 16, v18
	v_cndmask_b32_e64 v19, v111, v112, s0
	v_bfe_u32 v18, v10, 16, 1
	v_cmp_u_f32_e64 s0, v20, v20
	v_mul_f32_e32 v20, s6, v106
	v_mul_f32_e32 v106, s6, v109
	v_lshrrev_b32_e32 v107, 16, v19
	v_add3_u32 v18, v18, v10, 0x7fff
	v_cndmask_b32_e64 v19, v108, v110, s0
	v_or_b32_e32 v108, 0x400000, v10
	v_bfe_u32 v109, v20, 16, 1
	v_cmp_u_f32_e64 s0, v10, v10
	v_bfe_u32 v110, v106, 16, 1
	v_or_b32_e32 v111, 0x400000, v106
	v_or_b32_e32 v112, 0x400000, v21
	v_cndmask_b32_e64 v10, v18, v108, s0
	v_add3_u32 v108, v109, v20, 0x7fff
	v_or_b32_e32 v109, 0x400000, v20
	v_cmp_u_f32_e64 s0, v20, v20
	v_bfe_u32 v18, v21, 16, 1
	v_add3_u32 v110, v110, v106, 0x7fff
	v_cndmask_b32_e64 v20, v108, v109, s0
	v_cmp_u_f32_e64 s0, v106, v106
	v_add3_u32 v18, v18, v21, 0x7fff
	v_lshrrev_b32_e32 v109, 16, v19
	v_cndmask_b32_e64 v106, v110, v111, s0
	v_cmp_u_f32_e64 s0, v21, v21
	v_lshrrev_b32_e32 v111, 16, v10
	v_lshrrev_b32_e32 v110, 16, v20
	;; [unrolled: 1-line block ×3, first 2 shown]
	v_cndmask_b32_e64 v18, v18, v112, s0
	v_lshrrev_b32_e32 v108, 16, v18
	s_and_saveexec_b32 s13, vcc_lo
	s_cbranch_execz .LBB388_1125
; %bb.1124:                             ;   in Loop: Header=BB388_629 Depth=1
	v_cmp_gt_i32_e64 s0, s29, v60
	v_cndmask_b32_e64 v110, 0, v110, s0
	v_cmp_gt_i32_e64 s0, s29, v66
	v_cndmask_b32_e64 v111, 0, v111, s0
	;; [unrolled: 2-line block ×8, first 2 shown]
.LBB388_1125:                           ;   in Loop: Header=BB388_629 Depth=1
	s_or_b32 exec_lo, exec_lo, s13
	v_add_co_u32 v16, s0, 0x800, v16
	v_add_co_ci_u32_e64 v17, null, 0, v17, s0
	v_mov_b32_e32 v114, 0
	v_mov_b32_e32 v112, 0
	global_load_dwordx2 v[18:19], v[16:17], off
	s_waitcnt vmcnt(0)
	v_cmp_ne_u16_sdwa s0, v18, v11 src0_sel:BYTE_0 src1_sel:DWORD
	s_and_saveexec_b32 s13, s0
	s_cbranch_execz .LBB388_1131
; %bb.1126:                             ;   in Loop: Header=BB388_629 Depth=1
	v_cmp_ne_u16_sdwa s0, v18, v39 src0_sel:BYTE_0 src1_sel:DWORD
	v_bfrev_b32_e32 v112, 1
	s_and_saveexec_b32 s14, s0
	s_cbranch_execz .LBB388_1130
; %bb.1127:                             ;   in Loop: Header=BB388_629 Depth=1
	v_and_b32_e32 v10, 0x7f, v18
	v_mov_b32_e32 v112, 0x7f800001
	s_mov_b32 s15, exec_lo
	v_cmpx_ne_u32_e32 0x7f, v10
	s_cbranch_execz .LBB388_1129
; %bb.1128:                             ;   in Loop: Header=BB388_629 Depth=1
	v_and_b32_e32 v20, 7, v18
	v_lshrrev_b32_e32 v21, 3, v10
	v_cmp_gt_u32_e64 s0, 8, v10
	v_ffbh_u32_e32 v20, v20
	v_min_u32_e32 v20, 32, v20
	v_subrev_nc_u32_e32 v112, 28, v20
	v_sub_nc_u32_e32 v20, 29, v20
	v_cndmask_b32_e64 v10, v21, v20, s0
	v_cndmask_b32_e64 v20, 0, v112, s0
	v_lshl_add_u32 v10, v10, 23, 0x3c000000
	v_lshlrev_b64 v[20:21], v20, v[18:19]
	v_lshlrev_b32_e32 v21, 24, v18
	v_lshlrev_b32_e32 v20, 20, v20
	v_and_b32_e32 v21, 0x80000000, v21
	v_and_b32_e32 v20, 0x700000, v20
	v_or3_b32 v112, v20, v21, v10
.LBB388_1129:                           ;   in Loop: Header=BB388_629 Depth=1
	s_or_b32 exec_lo, exec_lo, s15
.LBB388_1130:                           ;   in Loop: Header=BB388_629 Depth=1
	s_or_b32 exec_lo, exec_lo, s14
.LBB388_1131:                           ;   in Loop: Header=BB388_629 Depth=1
	s_or_b32 exec_lo, exec_lo, s13
	v_cmp_ne_u16_sdwa s0, v18, v11 src0_sel:BYTE_1 src1_sel:DWORD
	s_and_saveexec_b32 s13, s0
	s_cbranch_execz .LBB388_1139
; %bb.1132:                             ;   in Loop: Header=BB388_629 Depth=1
	v_cmp_ne_u16_sdwa s0, v18, v39 src0_sel:BYTE_1 src1_sel:DWORD
	v_bfrev_b32_e32 v114, 1
	s_and_saveexec_b32 s14, s0
	s_cbranch_execz .LBB388_1138
; %bb.1133:                             ;   in Loop: Header=BB388_629 Depth=1
	v_and_b32_sdwa v10, v40, v18 dst_sel:DWORD dst_unused:UNUSED_PAD src0_sel:DWORD src1_sel:BYTE_1
	v_mov_b32_e32 v114, 0x7f800001
	s_mov_b32 s15, exec_lo
	v_and_b32_e32 v21, 0x7f, v10
	v_cmpx_ne_u32_e32 0x7f, v21
	s_cbranch_execz .LBB388_1137
; %bb.1134:                             ;   in Loop: Header=BB388_629 Depth=1
	v_and_b32_e32 v10, 7, v10
	v_lshrrev_b32_e32 v20, 3, v21
	s_mov_b32 s16, exec_lo
	v_cmpx_gt_u32_e32 8, v21
; %bb.1135:                             ;   in Loop: Header=BB388_629 Depth=1
	v_ffbh_u32_e32 v20, v10
	v_min_u32_e32 v20, 32, v20
	v_subrev_nc_u32_e32 v21, 28, v20
	v_sub_nc_u32_e32 v20, 29, v20
	v_lshlrev_b64 v[113:114], v21, v[10:11]
	v_and_b32_e32 v10, 7, v113
; %bb.1136:                             ;   in Loop: Header=BB388_629 Depth=1
	s_or_b32 exec_lo, exec_lo, s16
	v_lshlrev_b32_e32 v21, 16, v18
	v_lshlrev_b32_e32 v10, 20, v10
	v_lshl_add_u32 v20, v20, 23, 0x3c000000
	v_and_b32_e32 v21, 0x80000000, v21
	v_or3_b32 v114, v10, v21, v20
.LBB388_1137:                           ;   in Loop: Header=BB388_629 Depth=1
	s_or_b32 exec_lo, exec_lo, s15
.LBB388_1138:                           ;   in Loop: Header=BB388_629 Depth=1
	s_or_b32 exec_lo, exec_lo, s14
.LBB388_1139:                           ;   in Loop: Header=BB388_629 Depth=1
	s_or_b32 exec_lo, exec_lo, s13
	v_and_b32_sdwa v10, v18, v41 dst_sel:DWORD dst_unused:UNUSED_PAD src0_sel:WORD_1 src1_sel:DWORD
	v_mov_b32_e32 v115, 0
	v_mov_b32_e32 v113, 0
	s_mov_b32 s13, exec_lo
	v_cmpx_ne_u16_e32 0, v10
	s_cbranch_execz .LBB388_1147
; %bb.1140:                             ;   in Loop: Header=BB388_629 Depth=1
	v_bfrev_b32_e32 v113, 1
	s_mov_b32 s14, exec_lo
	v_cmpx_ne_u16_e32 0x80, v10
	s_cbranch_execz .LBB388_1146
; %bb.1141:                             ;   in Loop: Header=BB388_629 Depth=1
	v_bfe_u32 v21, v18, 16, 7
	v_mov_b32_e32 v113, 0x7f800001
	s_mov_b32 s15, exec_lo
	v_cmpx_ne_u32_e32 0x7f, v21
	s_cbranch_execz .LBB388_1145
; %bb.1142:                             ;   in Loop: Header=BB388_629 Depth=1
	v_and_b32_sdwa v10, v18, v42 dst_sel:DWORD dst_unused:UNUSED_PAD src0_sel:WORD_1 src1_sel:DWORD
	v_lshrrev_b32_e32 v20, 3, v21
	s_mov_b32 s16, exec_lo
	v_cmpx_gt_u32_e32 8, v21
; %bb.1143:                             ;   in Loop: Header=BB388_629 Depth=1
	v_ffbh_u32_e32 v20, v10
	v_min_u32_e32 v20, 32, v20
	v_subrev_nc_u32_e32 v21, 28, v20
	v_sub_nc_u32_e32 v20, 29, v20
	v_lshlrev_b64 v[116:117], v21, v[10:11]
	v_and_b32_e32 v10, 7, v116
; %bb.1144:                             ;   in Loop: Header=BB388_629 Depth=1
	s_or_b32 exec_lo, exec_lo, s16
	v_lshlrev_b32_sdwa v21, v43, v18 dst_sel:DWORD dst_unused:UNUSED_PAD src0_sel:DWORD src1_sel:WORD_1
	v_lshlrev_b32_e32 v10, 20, v10
	v_lshl_add_u32 v20, v20, 23, 0x3c000000
	v_and_b32_e32 v21, 0x80000000, v21
	v_or3_b32 v113, v10, v21, v20
.LBB388_1145:                           ;   in Loop: Header=BB388_629 Depth=1
	s_or_b32 exec_lo, exec_lo, s15
.LBB388_1146:                           ;   in Loop: Header=BB388_629 Depth=1
	s_or_b32 exec_lo, exec_lo, s14
.LBB388_1147:                           ;   in Loop: Header=BB388_629 Depth=1
	s_or_b32 exec_lo, exec_lo, s13
	s_mov_b32 s13, exec_lo
	v_cmpx_lt_u32_e32 0xffffff, v18
	s_cbranch_execz .LBB388_1155
; %bb.1148:                             ;   in Loop: Header=BB388_629 Depth=1
	v_cmp_ne_u32_sdwa s0, v18, v39 src0_sel:BYTE_3 src1_sel:DWORD
	v_bfrev_b32_e32 v115, 1
	s_and_saveexec_b32 s14, s0
	s_cbranch_execz .LBB388_1154
; %bb.1149:                             ;   in Loop: Header=BB388_629 Depth=1
	v_bfe_u32 v21, v18, 24, 7
	v_mov_b32_e32 v115, 0x7f800001
	s_mov_b32 s15, exec_lo
	v_cmpx_ne_u32_e32 0x7f, v21
	s_cbranch_execz .LBB388_1153
; %bb.1150:                             ;   in Loop: Header=BB388_629 Depth=1
	v_and_b32_sdwa v10, v18, v42 dst_sel:DWORD dst_unused:UNUSED_PAD src0_sel:BYTE_3 src1_sel:DWORD
	v_lshrrev_b32_e32 v20, 3, v21
	s_mov_b32 s16, exec_lo
	v_cmpx_gt_u32_e32 8, v21
; %bb.1151:                             ;   in Loop: Header=BB388_629 Depth=1
	v_ffbh_u32_e32 v20, v10
	v_min_u32_e32 v20, 32, v20
	v_subrev_nc_u32_e32 v21, 28, v20
	v_sub_nc_u32_e32 v20, 29, v20
	v_lshlrev_b64 v[115:116], v21, v[10:11]
	v_and_b32_e32 v10, 7, v115
; %bb.1152:                             ;   in Loop: Header=BB388_629 Depth=1
	s_or_b32 exec_lo, exec_lo, s16
	v_lshlrev_b32_sdwa v21, v43, v18 dst_sel:DWORD dst_unused:UNUSED_PAD src0_sel:DWORD src1_sel:BYTE_3
	v_lshlrev_b32_e32 v10, 20, v10
	v_lshl_add_u32 v20, v20, 23, 0x3c000000
	v_and_b32_e32 v21, 0x80000000, v21
	v_or3_b32 v115, v10, v21, v20
.LBB388_1153:                           ;   in Loop: Header=BB388_629 Depth=1
	s_or_b32 exec_lo, exec_lo, s15
.LBB388_1154:                           ;   in Loop: Header=BB388_629 Depth=1
	s_or_b32 exec_lo, exec_lo, s14
.LBB388_1155:                           ;   in Loop: Header=BB388_629 Depth=1
	s_or_b32 exec_lo, exec_lo, s13
	v_mov_b32_e32 v10, v19
	v_cmp_ne_u16_sdwa s0, v19, v11 src0_sel:BYTE_0 src1_sel:DWORD
	v_mov_b32_e32 v20, 0
	v_mov_b32_e32 v116, 0
	s_and_saveexec_b32 s13, s0
	s_cbranch_execz .LBB388_1161
; %bb.1156:                             ;   in Loop: Header=BB388_629 Depth=1
	v_cmp_ne_u16_sdwa s0, v19, v39 src0_sel:BYTE_0 src1_sel:DWORD
	v_bfrev_b32_e32 v116, 1
	s_and_saveexec_b32 s14, s0
	s_cbranch_execz .LBB388_1160
; %bb.1157:                             ;   in Loop: Header=BB388_629 Depth=1
	v_and_b32_e32 v21, 0x7f, v19
	v_mov_b32_e32 v116, 0x7f800001
	s_mov_b32 s15, exec_lo
	v_cmpx_ne_u32_e32 0x7f, v21
	s_cbranch_execz .LBB388_1159
; %bb.1158:                             ;   in Loop: Header=BB388_629 Depth=1
	v_and_b32_e32 v116, 7, v19
	v_lshrrev_b32_e32 v117, 3, v21
	v_cmp_gt_u32_e64 s0, 8, v21
	v_ffbh_u32_e32 v116, v116
	v_min_u32_e32 v116, 32, v116
	v_subrev_nc_u32_e32 v118, 28, v116
	v_sub_nc_u32_e32 v116, 29, v116
	v_cndmask_b32_e64 v21, v117, v116, s0
	v_cndmask_b32_e64 v116, 0, v118, s0
	v_lshl_add_u32 v21, v21, 23, 0x3c000000
	v_lshlrev_b64 v[116:117], v116, v[10:11]
	v_lshlrev_b32_e32 v117, 24, v10
	v_lshlrev_b32_e32 v116, 20, v116
	v_and_b32_e32 v117, 0x80000000, v117
	v_and_b32_e32 v116, 0x700000, v116
	v_or3_b32 v116, v116, v117, v21
.LBB388_1159:                           ;   in Loop: Header=BB388_629 Depth=1
	s_or_b32 exec_lo, exec_lo, s15
.LBB388_1160:                           ;   in Loop: Header=BB388_629 Depth=1
	s_or_b32 exec_lo, exec_lo, s14
.LBB388_1161:                           ;   in Loop: Header=BB388_629 Depth=1
	s_or_b32 exec_lo, exec_lo, s13
	v_cmp_ne_u16_sdwa s0, v10, v11 src0_sel:BYTE_1 src1_sel:DWORD
	s_and_saveexec_b32 s13, s0
	s_cbranch_execz .LBB388_1169
; %bb.1162:                             ;   in Loop: Header=BB388_629 Depth=1
	v_cmp_ne_u16_sdwa s0, v10, v39 src0_sel:BYTE_1 src1_sel:DWORD
	v_bfrev_b32_e32 v20, 1
	s_and_saveexec_b32 s14, s0
	s_cbranch_execz .LBB388_1168
; %bb.1163:                             ;   in Loop: Header=BB388_629 Depth=1
	v_and_b32_sdwa v21, v40, v10 dst_sel:DWORD dst_unused:UNUSED_PAD src0_sel:DWORD src1_sel:BYTE_1
	v_mov_b32_e32 v20, 0x7f800001
	s_mov_b32 s15, exec_lo
	v_and_b32_e32 v118, 0x7f, v21
	v_cmpx_ne_u32_e32 0x7f, v118
	s_cbranch_execz .LBB388_1167
; %bb.1164:                             ;   in Loop: Header=BB388_629 Depth=1
	v_and_b32_e32 v20, 7, v21
	v_mov_b32_e32 v21, v11
	v_lshrrev_b32_e32 v117, 3, v118
	s_mov_b32 s16, exec_lo
	v_cmpx_gt_u32_e32 8, v118
; %bb.1165:                             ;   in Loop: Header=BB388_629 Depth=1
	v_ffbh_u32_e32 v117, v20
	v_min_u32_e32 v117, 32, v117
	v_subrev_nc_u32_e32 v118, 28, v117
	v_sub_nc_u32_e32 v117, 29, v117
	v_lshlrev_b64 v[20:21], v118, v[20:21]
	v_and_b32_e32 v20, 7, v20
; %bb.1166:                             ;   in Loop: Header=BB388_629 Depth=1
	s_or_b32 exec_lo, exec_lo, s16
	v_lshlrev_b32_e32 v10, 16, v10
	v_lshlrev_b32_e32 v20, 20, v20
	v_lshl_add_u32 v21, v117, 23, 0x3c000000
	v_and_b32_e32 v10, 0x80000000, v10
	v_or3_b32 v20, v20, v10, v21
.LBB388_1167:                           ;   in Loop: Header=BB388_629 Depth=1
	s_or_b32 exec_lo, exec_lo, s15
.LBB388_1168:                           ;   in Loop: Header=BB388_629 Depth=1
	s_or_b32 exec_lo, exec_lo, s14
.LBB388_1169:                           ;   in Loop: Header=BB388_629 Depth=1
	s_or_b32 exec_lo, exec_lo, s13
	v_and_b32_sdwa v10, v19, v41 dst_sel:DWORD dst_unused:UNUSED_PAD src0_sel:WORD_1 src1_sel:DWORD
	v_mov_b32_e32 v21, 0
	v_mov_b32_e32 v118, 0
	s_mov_b32 s13, exec_lo
	v_cmpx_ne_u16_e32 0, v10
	s_cbranch_execz .LBB388_1177
; %bb.1170:                             ;   in Loop: Header=BB388_629 Depth=1
	v_bfrev_b32_e32 v118, 1
	s_mov_b32 s14, exec_lo
	v_cmpx_ne_u16_e32 0x80, v10
	s_cbranch_execz .LBB388_1176
; %bb.1171:                             ;   in Loop: Header=BB388_629 Depth=1
	v_bfe_u32 v119, v19, 16, 7
	v_mov_b32_e32 v118, 0x7f800001
	s_mov_b32 s15, exec_lo
	v_cmpx_ne_u32_e32 0x7f, v119
	s_cbranch_execz .LBB388_1175
; %bb.1172:                             ;   in Loop: Header=BB388_629 Depth=1
	v_and_b32_sdwa v10, v19, v42 dst_sel:DWORD dst_unused:UNUSED_PAD src0_sel:WORD_1 src1_sel:DWORD
	v_lshrrev_b32_e32 v117, 3, v119
	s_mov_b32 s16, exec_lo
	v_cmpx_gt_u32_e32 8, v119
; %bb.1173:                             ;   in Loop: Header=BB388_629 Depth=1
	v_ffbh_u32_e32 v117, v10
	v_min_u32_e32 v117, 32, v117
	v_subrev_nc_u32_e32 v118, 28, v117
	v_sub_nc_u32_e32 v117, 29, v117
	v_lshlrev_b64 v[118:119], v118, v[10:11]
	v_and_b32_e32 v10, 7, v118
; %bb.1174:                             ;   in Loop: Header=BB388_629 Depth=1
	s_or_b32 exec_lo, exec_lo, s16
	v_lshlrev_b32_sdwa v118, v43, v19 dst_sel:DWORD dst_unused:UNUSED_PAD src0_sel:DWORD src1_sel:WORD_1
	v_lshlrev_b32_e32 v10, 20, v10
	v_lshl_add_u32 v117, v117, 23, 0x3c000000
	v_and_b32_e32 v118, 0x80000000, v118
	v_or3_b32 v118, v10, v118, v117
.LBB388_1175:                           ;   in Loop: Header=BB388_629 Depth=1
	s_or_b32 exec_lo, exec_lo, s15
.LBB388_1176:                           ;   in Loop: Header=BB388_629 Depth=1
	s_or_b32 exec_lo, exec_lo, s14
.LBB388_1177:                           ;   in Loop: Header=BB388_629 Depth=1
	s_or_b32 exec_lo, exec_lo, s13
	s_mov_b32 s13, exec_lo
	v_cmpx_lt_u64_e64 s[4:5], v[18:19]
	s_cbranch_execz .LBB388_1185
; %bb.1178:                             ;   in Loop: Header=BB388_629 Depth=1
	v_cmp_ne_u32_sdwa s0, v19, v39 src0_sel:BYTE_3 src1_sel:DWORD
	v_bfrev_b32_e32 v21, 1
	s_and_saveexec_b32 s14, s0
	s_cbranch_execz .LBB388_1184
; %bb.1179:                             ;   in Loop: Header=BB388_629 Depth=1
	v_bfe_u32 v117, v19, 24, 7
	v_mov_b32_e32 v21, 0x7f800001
	s_mov_b32 s15, exec_lo
	v_cmpx_ne_u32_e32 0x7f, v117
	s_cbranch_execz .LBB388_1183
; %bb.1180:                             ;   in Loop: Header=BB388_629 Depth=1
	v_and_b32_sdwa v10, v19, v42 dst_sel:DWORD dst_unused:UNUSED_PAD src0_sel:BYTE_3 src1_sel:DWORD
	v_lshrrev_b32_e32 v18, 3, v117
	s_mov_b32 s16, exec_lo
	v_cmpx_gt_u32_e32 8, v117
; %bb.1181:                             ;   in Loop: Header=BB388_629 Depth=1
	v_ffbh_u32_e32 v18, v10
	v_min_u32_e32 v18, 32, v18
	v_subrev_nc_u32_e32 v21, 28, v18
	v_sub_nc_u32_e32 v18, 29, v18
	v_lshlrev_b64 v[119:120], v21, v[10:11]
	v_and_b32_e32 v10, 7, v119
; %bb.1182:                             ;   in Loop: Header=BB388_629 Depth=1
	s_or_b32 exec_lo, exec_lo, s16
	v_lshlrev_b32_sdwa v19, v43, v19 dst_sel:DWORD dst_unused:UNUSED_PAD src0_sel:DWORD src1_sel:BYTE_3
	v_lshlrev_b32_e32 v10, 20, v10
	v_lshl_add_u32 v18, v18, 23, 0x3c000000
	v_and_b32_e32 v19, 0x80000000, v19
	v_or3_b32 v21, v10, v19, v18
.LBB388_1183:                           ;   in Loop: Header=BB388_629 Depth=1
	s_or_b32 exec_lo, exec_lo, s15
.LBB388_1184:                           ;   in Loop: Header=BB388_629 Depth=1
	s_or_b32 exec_lo, exec_lo, s14
.LBB388_1185:                           ;   in Loop: Header=BB388_629 Depth=1
	s_or_b32 exec_lo, exec_lo, s13
	v_mul_f32_e32 v10, s6, v20
	v_mul_f32_e32 v18, s6, v116
	;; [unrolled: 1-line block ×5, first 2 shown]
	v_bfe_u32 v113, v10, 16, 1
	v_or_b32_e32 v115, 0x400000, v10
	v_bfe_u32 v116, v18, 16, 1
	v_cmp_u_f32_e64 s0, v10, v10
	v_or_b32_e32 v117, 0x400000, v18
	v_add3_u32 v113, v113, v10, 0x7fff
	v_bfe_u32 v119, v19, 16, 1
	v_add3_u32 v116, v116, v18, 0x7fff
	v_or_b32_e32 v120, 0x400000, v19
	v_bfe_u32 v121, v20, 16, 1
	v_cndmask_b32_e64 v10, v113, v115, s0
	v_cmp_u_f32_e64 s0, v18, v18
	v_add3_u32 v119, v119, v19, 0x7fff
	v_add3_u32 v115, v121, v20, 0x7fff
	v_lshrrev_b32_e32 v113, 16, v10
	v_cndmask_b32_e64 v18, v116, v117, s0
	v_cmp_u_f32_e64 s0, v19, v19
	v_mul_f32_e32 v10, s6, v114
	v_or_b32_e32 v116, 0x400000, v20
	v_lshrrev_b32_e32 v114, 16, v18
	v_cndmask_b32_e64 v19, v119, v120, s0
	v_bfe_u32 v18, v10, 16, 1
	v_cmp_u_f32_e64 s0, v20, v20
	v_mul_f32_e32 v20, s6, v112
	v_mul_f32_e32 v112, s6, v118
	v_lshrrev_b32_e32 v117, 16, v19
	v_add3_u32 v18, v18, v10, 0x7fff
	v_cndmask_b32_e64 v19, v115, v116, s0
	v_or_b32_e32 v115, 0x400000, v10
	v_bfe_u32 v116, v20, 16, 1
	v_cmp_u_f32_e64 s0, v10, v10
	v_bfe_u32 v118, v112, 16, 1
	v_or_b32_e32 v119, 0x400000, v112
	v_or_b32_e32 v120, 0x400000, v21
	v_cndmask_b32_e64 v10, v18, v115, s0
	v_add3_u32 v115, v116, v20, 0x7fff
	v_or_b32_e32 v116, 0x400000, v20
	v_cmp_u_f32_e64 s0, v20, v20
	v_bfe_u32 v18, v21, 16, 1
	v_add3_u32 v118, v118, v112, 0x7fff
	v_cndmask_b32_e64 v20, v115, v116, s0
	v_cmp_u_f32_e64 s0, v112, v112
	v_add3_u32 v18, v18, v21, 0x7fff
	v_cndmask_b32_e64 v112, v118, v119, s0
	v_cmp_u_f32_e64 s0, v21, v21
	v_lshrrev_b32_e32 v118, 16, v19
	v_lshrrev_b32_e32 v119, 16, v20
	;; [unrolled: 1-line block ×3, first 2 shown]
	v_cndmask_b32_e64 v18, v18, v120, s0
	v_lshrrev_b32_e32 v120, 16, v10
	v_lshrrev_b32_e32 v116, 16, v18
	s_and_saveexec_b32 s13, vcc_lo
	s_cbranch_execz .LBB388_1187
; %bb.1186:                             ;   in Loop: Header=BB388_629 Depth=1
	v_cmp_gt_i32_e64 s0, s29, v60
	v_cndmask_b32_e64 v119, 0, v119, s0
	v_cmp_gt_i32_e64 s0, s29, v66
	v_cndmask_b32_e64 v120, 0, v120, s0
	;; [unrolled: 2-line block ×8, first 2 shown]
.LBB388_1187:                           ;   in Loop: Header=BB388_629 Depth=1
	s_or_b32 exec_lo, exec_lo, s13
	global_load_dwordx2 v[16:17], v[16:17], off offset:256
	v_mov_b32_e32 v20, 0
	v_mov_b32_e32 v21, 0
	s_waitcnt vmcnt(0)
	v_cmp_ne_u16_sdwa s0, v16, v11 src0_sel:BYTE_0 src1_sel:DWORD
	s_and_saveexec_b32 s13, s0
	s_cbranch_execz .LBB388_1193
; %bb.1188:                             ;   in Loop: Header=BB388_629 Depth=1
	v_cmp_ne_u16_sdwa s0, v16, v39 src0_sel:BYTE_0 src1_sel:DWORD
	v_bfrev_b32_e32 v21, 1
	s_and_saveexec_b32 s14, s0
	s_cbranch_execz .LBB388_1192
; %bb.1189:                             ;   in Loop: Header=BB388_629 Depth=1
	v_and_b32_e32 v10, 0x7f, v16
	v_mov_b32_e32 v21, 0x7f800001
	s_mov_b32 s15, exec_lo
	v_cmpx_ne_u32_e32 0x7f, v10
	s_cbranch_execz .LBB388_1191
; %bb.1190:                             ;   in Loop: Header=BB388_629 Depth=1
	v_and_b32_e32 v18, 7, v16
	v_lshrrev_b32_e32 v19, 3, v10
	v_cmp_gt_u32_e64 s0, 8, v10
	v_ffbh_u32_e32 v18, v18
	v_min_u32_e32 v18, 32, v18
	v_subrev_nc_u32_e32 v21, 28, v18
	v_sub_nc_u32_e32 v18, 29, v18
	v_cndmask_b32_e64 v10, v19, v18, s0
	v_cndmask_b32_e64 v18, 0, v21, s0
	v_lshl_add_u32 v10, v10, 23, 0x3c000000
	v_lshlrev_b64 v[18:19], v18, v[16:17]
	v_lshlrev_b32_e32 v19, 24, v16
	v_lshlrev_b32_e32 v18, 20, v18
	v_and_b32_e32 v19, 0x80000000, v19
	v_and_b32_e32 v18, 0x700000, v18
	v_or3_b32 v21, v18, v19, v10
.LBB388_1191:                           ;   in Loop: Header=BB388_629 Depth=1
	s_or_b32 exec_lo, exec_lo, s15
.LBB388_1192:                           ;   in Loop: Header=BB388_629 Depth=1
	s_or_b32 exec_lo, exec_lo, s14
.LBB388_1193:                           ;   in Loop: Header=BB388_629 Depth=1
	s_or_b32 exec_lo, exec_lo, s13
	v_cmp_ne_u16_sdwa s0, v16, v11 src0_sel:BYTE_1 src1_sel:DWORD
	s_and_saveexec_b32 s13, s0
	s_cbranch_execz .LBB388_1201
; %bb.1194:                             ;   in Loop: Header=BB388_629 Depth=1
	v_cmp_ne_u16_sdwa s0, v16, v39 src0_sel:BYTE_1 src1_sel:DWORD
	v_bfrev_b32_e32 v20, 1
	s_and_saveexec_b32 s14, s0
	s_cbranch_execz .LBB388_1200
; %bb.1195:                             ;   in Loop: Header=BB388_629 Depth=1
	v_and_b32_sdwa v10, v40, v16 dst_sel:DWORD dst_unused:UNUSED_PAD src0_sel:DWORD src1_sel:BYTE_1
	v_mov_b32_e32 v20, 0x7f800001
	s_mov_b32 s15, exec_lo
	v_and_b32_e32 v19, 0x7f, v10
	v_cmpx_ne_u32_e32 0x7f, v19
	s_cbranch_execz .LBB388_1199
; %bb.1196:                             ;   in Loop: Header=BB388_629 Depth=1
	v_and_b32_e32 v10, 7, v10
	v_lshrrev_b32_e32 v18, 3, v19
	s_mov_b32 s16, exec_lo
	v_cmpx_gt_u32_e32 8, v19
; %bb.1197:                             ;   in Loop: Header=BB388_629 Depth=1
	v_ffbh_u32_e32 v18, v10
	v_min_u32_e32 v18, 32, v18
	v_subrev_nc_u32_e32 v19, 28, v18
	v_sub_nc_u32_e32 v18, 29, v18
	v_lshlrev_b64 v[19:20], v19, v[10:11]
	v_and_b32_e32 v10, 7, v19
; %bb.1198:                             ;   in Loop: Header=BB388_629 Depth=1
	s_or_b32 exec_lo, exec_lo, s16
	v_lshlrev_b32_e32 v19, 16, v16
	v_lshlrev_b32_e32 v10, 20, v10
	v_lshl_add_u32 v18, v18, 23, 0x3c000000
	v_and_b32_e32 v19, 0x80000000, v19
	v_or3_b32 v20, v10, v19, v18
.LBB388_1199:                           ;   in Loop: Header=BB388_629 Depth=1
	s_or_b32 exec_lo, exec_lo, s15
.LBB388_1200:                           ;   in Loop: Header=BB388_629 Depth=1
	s_or_b32 exec_lo, exec_lo, s14
.LBB388_1201:                           ;   in Loop: Header=BB388_629 Depth=1
	s_or_b32 exec_lo, exec_lo, s13
	v_and_b32_sdwa v10, v16, v41 dst_sel:DWORD dst_unused:UNUSED_PAD src0_sel:WORD_1 src1_sel:DWORD
	v_mov_b32_e32 v121, 0
	v_mov_b32_e32 v112, 0
	s_mov_b32 s13, exec_lo
	v_cmpx_ne_u16_e32 0, v10
	s_cbranch_execz .LBB388_1209
; %bb.1202:                             ;   in Loop: Header=BB388_629 Depth=1
	v_bfrev_b32_e32 v112, 1
	s_mov_b32 s14, exec_lo
	v_cmpx_ne_u16_e32 0x80, v10
	s_cbranch_execz .LBB388_1208
; %bb.1203:                             ;   in Loop: Header=BB388_629 Depth=1
	v_bfe_u32 v19, v16, 16, 7
	v_mov_b32_e32 v112, 0x7f800001
	s_mov_b32 s15, exec_lo
	v_cmpx_ne_u32_e32 0x7f, v19
	s_cbranch_execz .LBB388_1207
; %bb.1204:                             ;   in Loop: Header=BB388_629 Depth=1
	v_and_b32_sdwa v10, v16, v42 dst_sel:DWORD dst_unused:UNUSED_PAD src0_sel:WORD_1 src1_sel:DWORD
	v_lshrrev_b32_e32 v18, 3, v19
	s_mov_b32 s16, exec_lo
	v_cmpx_gt_u32_e32 8, v19
; %bb.1205:                             ;   in Loop: Header=BB388_629 Depth=1
	v_ffbh_u32_e32 v18, v10
	v_min_u32_e32 v18, 32, v18
	v_subrev_nc_u32_e32 v19, 28, v18
	v_sub_nc_u32_e32 v18, 29, v18
	v_lshlrev_b64 v[122:123], v19, v[10:11]
	v_and_b32_e32 v10, 7, v122
; %bb.1206:                             ;   in Loop: Header=BB388_629 Depth=1
	s_or_b32 exec_lo, exec_lo, s16
	v_lshlrev_b32_sdwa v19, v43, v16 dst_sel:DWORD dst_unused:UNUSED_PAD src0_sel:DWORD src1_sel:WORD_1
	v_lshlrev_b32_e32 v10, 20, v10
	v_lshl_add_u32 v18, v18, 23, 0x3c000000
	v_and_b32_e32 v19, 0x80000000, v19
	v_or3_b32 v112, v10, v19, v18
.LBB388_1207:                           ;   in Loop: Header=BB388_629 Depth=1
	s_or_b32 exec_lo, exec_lo, s15
.LBB388_1208:                           ;   in Loop: Header=BB388_629 Depth=1
	s_or_b32 exec_lo, exec_lo, s14
.LBB388_1209:                           ;   in Loop: Header=BB388_629 Depth=1
	s_or_b32 exec_lo, exec_lo, s13
	s_mov_b32 s13, exec_lo
	v_cmpx_lt_u32_e32 0xffffff, v16
	s_cbranch_execz .LBB388_1217
; %bb.1210:                             ;   in Loop: Header=BB388_629 Depth=1
	v_cmp_ne_u32_sdwa s0, v16, v39 src0_sel:BYTE_3 src1_sel:DWORD
	v_bfrev_b32_e32 v121, 1
	s_and_saveexec_b32 s14, s0
	s_cbranch_execz .LBB388_1216
; %bb.1211:                             ;   in Loop: Header=BB388_629 Depth=1
	v_bfe_u32 v19, v16, 24, 7
	v_mov_b32_e32 v121, 0x7f800001
	s_mov_b32 s15, exec_lo
	v_cmpx_ne_u32_e32 0x7f, v19
	s_cbranch_execz .LBB388_1215
; %bb.1212:                             ;   in Loop: Header=BB388_629 Depth=1
	v_and_b32_sdwa v10, v16, v42 dst_sel:DWORD dst_unused:UNUSED_PAD src0_sel:BYTE_3 src1_sel:DWORD
	v_lshrrev_b32_e32 v18, 3, v19
	s_mov_b32 s16, exec_lo
	v_cmpx_gt_u32_e32 8, v19
; %bb.1213:                             ;   in Loop: Header=BB388_629 Depth=1
	v_ffbh_u32_e32 v18, v10
	v_min_u32_e32 v18, 32, v18
	v_subrev_nc_u32_e32 v19, 28, v18
	v_sub_nc_u32_e32 v18, 29, v18
	v_lshlrev_b64 v[121:122], v19, v[10:11]
	v_and_b32_e32 v10, 7, v121
; %bb.1214:                             ;   in Loop: Header=BB388_629 Depth=1
	s_or_b32 exec_lo, exec_lo, s16
	v_lshlrev_b32_sdwa v19, v43, v16 dst_sel:DWORD dst_unused:UNUSED_PAD src0_sel:DWORD src1_sel:BYTE_3
	v_lshlrev_b32_e32 v10, 20, v10
	v_lshl_add_u32 v18, v18, 23, 0x3c000000
	v_and_b32_e32 v19, 0x80000000, v19
	v_or3_b32 v121, v10, v19, v18
.LBB388_1215:                           ;   in Loop: Header=BB388_629 Depth=1
	s_or_b32 exec_lo, exec_lo, s15
.LBB388_1216:                           ;   in Loop: Header=BB388_629 Depth=1
	s_or_b32 exec_lo, exec_lo, s14
.LBB388_1217:                           ;   in Loop: Header=BB388_629 Depth=1
	s_or_b32 exec_lo, exec_lo, s13
	v_mov_b32_e32 v10, v17
	v_cmp_ne_u16_sdwa s0, v17, v11 src0_sel:BYTE_0 src1_sel:DWORD
	v_mov_b32_e32 v18, 0
	v_mov_b32_e32 v123, 0
	s_and_saveexec_b32 s13, s0
	s_cbranch_execz .LBB388_1223
; %bb.1218:                             ;   in Loop: Header=BB388_629 Depth=1
	v_cmp_ne_u16_sdwa s0, v17, v39 src0_sel:BYTE_0 src1_sel:DWORD
	v_bfrev_b32_e32 v123, 1
	s_and_saveexec_b32 s14, s0
	s_cbranch_execz .LBB388_1222
; %bb.1219:                             ;   in Loop: Header=BB388_629 Depth=1
	v_and_b32_e32 v19, 0x7f, v17
	v_mov_b32_e32 v123, 0x7f800001
	s_mov_b32 s15, exec_lo
	v_cmpx_ne_u32_e32 0x7f, v19
	s_cbranch_execz .LBB388_1221
; %bb.1220:                             ;   in Loop: Header=BB388_629 Depth=1
	v_and_b32_e32 v122, 7, v17
	v_lshrrev_b32_e32 v123, 3, v19
	v_cmp_gt_u32_e64 s0, 8, v19
	v_ffbh_u32_e32 v19, v122
	v_min_u32_e32 v19, 32, v19
	v_subrev_nc_u32_e32 v122, 28, v19
	v_sub_nc_u32_e32 v19, 29, v19
	v_cndmask_b32_e64 v122, 0, v122, s0
	v_cndmask_b32_e64 v19, v123, v19, s0
	v_lshlrev_b64 v[122:123], v122, v[10:11]
	v_lshlrev_b32_e32 v123, 24, v10
	v_lshl_add_u32 v19, v19, 23, 0x3c000000
	v_lshlrev_b32_e32 v122, 20, v122
	v_and_b32_e32 v123, 0x80000000, v123
	v_and_b32_e32 v122, 0x700000, v122
	v_or3_b32 v123, v122, v123, v19
.LBB388_1221:                           ;   in Loop: Header=BB388_629 Depth=1
	s_or_b32 exec_lo, exec_lo, s15
.LBB388_1222:                           ;   in Loop: Header=BB388_629 Depth=1
	s_or_b32 exec_lo, exec_lo, s14
.LBB388_1223:                           ;   in Loop: Header=BB388_629 Depth=1
	s_or_b32 exec_lo, exec_lo, s13
	v_cmp_ne_u16_sdwa s0, v10, v11 src0_sel:BYTE_1 src1_sel:DWORD
	s_and_saveexec_b32 s13, s0
	s_cbranch_execz .LBB388_1231
; %bb.1224:                             ;   in Loop: Header=BB388_629 Depth=1
	v_cmp_ne_u16_sdwa s0, v10, v39 src0_sel:BYTE_1 src1_sel:DWORD
	v_bfrev_b32_e32 v18, 1
	s_and_saveexec_b32 s14, s0
	s_cbranch_execz .LBB388_1230
; %bb.1225:                             ;   in Loop: Header=BB388_629 Depth=1
	v_and_b32_sdwa v19, v40, v10 dst_sel:DWORD dst_unused:UNUSED_PAD src0_sel:DWORD src1_sel:BYTE_1
	v_mov_b32_e32 v18, 0x7f800001
	s_mov_b32 s15, exec_lo
	v_and_b32_e32 v124, 0x7f, v19
	v_cmpx_ne_u32_e32 0x7f, v124
	s_cbranch_execz .LBB388_1229
; %bb.1226:                             ;   in Loop: Header=BB388_629 Depth=1
	v_and_b32_e32 v18, 7, v19
	v_mov_b32_e32 v19, v11
	v_lshrrev_b32_e32 v122, 3, v124
	s_mov_b32 s16, exec_lo
	v_cmpx_gt_u32_e32 8, v124
; %bb.1227:                             ;   in Loop: Header=BB388_629 Depth=1
	v_ffbh_u32_e32 v122, v18
	v_min_u32_e32 v122, 32, v122
	v_subrev_nc_u32_e32 v124, 28, v122
	v_sub_nc_u32_e32 v122, 29, v122
	v_lshlrev_b64 v[18:19], v124, v[18:19]
	v_and_b32_e32 v18, 7, v18
; %bb.1228:                             ;   in Loop: Header=BB388_629 Depth=1
	s_or_b32 exec_lo, exec_lo, s16
	v_lshlrev_b32_e32 v10, 16, v10
	v_lshlrev_b32_e32 v18, 20, v18
	v_lshl_add_u32 v19, v122, 23, 0x3c000000
	v_and_b32_e32 v10, 0x80000000, v10
	v_or3_b32 v18, v18, v10, v19
.LBB388_1229:                           ;   in Loop: Header=BB388_629 Depth=1
	s_or_b32 exec_lo, exec_lo, s15
.LBB388_1230:                           ;   in Loop: Header=BB388_629 Depth=1
	s_or_b32 exec_lo, exec_lo, s14
.LBB388_1231:                           ;   in Loop: Header=BB388_629 Depth=1
	s_or_b32 exec_lo, exec_lo, s13
	v_and_b32_sdwa v10, v17, v41 dst_sel:DWORD dst_unused:UNUSED_PAD src0_sel:WORD_1 src1_sel:DWORD
	v_mov_b32_e32 v122, 0
	v_mov_b32_e32 v19, 0
	s_mov_b32 s13, exec_lo
	v_cmpx_ne_u16_e32 0, v10
	s_cbranch_execz .LBB388_1239
; %bb.1232:                             ;   in Loop: Header=BB388_629 Depth=1
	v_bfrev_b32_e32 v19, 1
	s_mov_b32 s14, exec_lo
	v_cmpx_ne_u16_e32 0x80, v10
	s_cbranch_execz .LBB388_1238
; %bb.1233:                             ;   in Loop: Header=BB388_629 Depth=1
	v_bfe_u32 v124, v17, 16, 7
	v_mov_b32_e32 v19, 0x7f800001
	s_mov_b32 s15, exec_lo
	v_cmpx_ne_u32_e32 0x7f, v124
	s_cbranch_execz .LBB388_1237
; %bb.1234:                             ;   in Loop: Header=BB388_629 Depth=1
	v_and_b32_sdwa v10, v17, v42 dst_sel:DWORD dst_unused:UNUSED_PAD src0_sel:WORD_1 src1_sel:DWORD
	v_lshrrev_b32_e32 v19, 3, v124
	s_mov_b32 s16, exec_lo
	v_cmpx_gt_u32_e32 8, v124
; %bb.1235:                             ;   in Loop: Header=BB388_629 Depth=1
	v_ffbh_u32_e32 v19, v10
	v_min_u32_e32 v19, 32, v19
	v_subrev_nc_u32_e32 v124, 28, v19
	v_sub_nc_u32_e32 v19, 29, v19
	v_lshlrev_b64 v[124:125], v124, v[10:11]
	v_and_b32_e32 v10, 7, v124
; %bb.1236:                             ;   in Loop: Header=BB388_629 Depth=1
	s_or_b32 exec_lo, exec_lo, s16
	v_lshlrev_b32_sdwa v124, v43, v17 dst_sel:DWORD dst_unused:UNUSED_PAD src0_sel:DWORD src1_sel:WORD_1
	v_lshlrev_b32_e32 v10, 20, v10
	v_lshl_add_u32 v19, v19, 23, 0x3c000000
	v_and_b32_e32 v124, 0x80000000, v124
	v_or3_b32 v19, v10, v124, v19
.LBB388_1237:                           ;   in Loop: Header=BB388_629 Depth=1
	s_or_b32 exec_lo, exec_lo, s15
.LBB388_1238:                           ;   in Loop: Header=BB388_629 Depth=1
	s_or_b32 exec_lo, exec_lo, s14
.LBB388_1239:                           ;   in Loop: Header=BB388_629 Depth=1
	s_or_b32 exec_lo, exec_lo, s13
	s_mov_b32 s13, exec_lo
	v_cmpx_lt_u64_e64 s[4:5], v[16:17]
	s_cbranch_execz .LBB388_1247
; %bb.1240:                             ;   in Loop: Header=BB388_629 Depth=1
	v_cmp_ne_u32_sdwa s0, v17, v39 src0_sel:BYTE_3 src1_sel:DWORD
	v_bfrev_b32_e32 v122, 1
	s_and_saveexec_b32 s14, s0
	s_cbranch_execz .LBB388_1246
; %bb.1241:                             ;   in Loop: Header=BB388_629 Depth=1
	v_bfe_u32 v124, v17, 24, 7
	v_mov_b32_e32 v122, 0x7f800001
	s_mov_b32 s15, exec_lo
	v_cmpx_ne_u32_e32 0x7f, v124
	s_cbranch_execz .LBB388_1245
; %bb.1242:                             ;   in Loop: Header=BB388_629 Depth=1
	v_and_b32_sdwa v10, v17, v42 dst_sel:DWORD dst_unused:UNUSED_PAD src0_sel:BYTE_3 src1_sel:DWORD
	v_lshrrev_b32_e32 v16, 3, v124
	s_mov_b32 s16, exec_lo
	v_cmpx_gt_u32_e32 8, v124
; %bb.1243:                             ;   in Loop: Header=BB388_629 Depth=1
	v_ffbh_u32_e32 v16, v10
	v_min_u32_e32 v16, 32, v16
	v_subrev_nc_u32_e32 v122, 28, v16
	v_sub_nc_u32_e32 v16, 29, v16
	v_lshlrev_b64 v[124:125], v122, v[10:11]
	v_and_b32_e32 v10, 7, v124
; %bb.1244:                             ;   in Loop: Header=BB388_629 Depth=1
	s_or_b32 exec_lo, exec_lo, s16
	v_lshlrev_b32_sdwa v17, v43, v17 dst_sel:DWORD dst_unused:UNUSED_PAD src0_sel:DWORD src1_sel:BYTE_3
	v_lshlrev_b32_e32 v10, 20, v10
	v_lshl_add_u32 v16, v16, 23, 0x3c000000
	v_and_b32_e32 v17, 0x80000000, v17
	v_or3_b32 v122, v10, v17, v16
.LBB388_1245:                           ;   in Loop: Header=BB388_629 Depth=1
	s_or_b32 exec_lo, exec_lo, s15
.LBB388_1246:                           ;   in Loop: Header=BB388_629 Depth=1
	s_or_b32 exec_lo, exec_lo, s14
.LBB388_1247:                           ;   in Loop: Header=BB388_629 Depth=1
	s_or_b32 exec_lo, exec_lo, s13
	v_mul_f32_e32 v10, s6, v18
	v_mul_f32_e32 v20, s6, v20
	;; [unrolled: 1-line block ×4, first 2 shown]
	v_bfe_u32 v16, v10, 16, 1
	v_or_b32_e32 v17, 0x400000, v10
	v_cmp_u_f32_e64 s0, v10, v10
	v_add3_u32 v16, v16, v10, 0x7fff
	v_cndmask_b32_e64 v10, v16, v17, s0
	v_mul_f32_e32 v16, s6, v123
	v_lshrrev_b32_e32 v10, 16, v10
	v_bfe_u32 v17, v16, 16, 1
	v_or_b32_e32 v18, 0x400000, v16
	v_cmp_u_f32_e64 s0, v16, v16
	v_add3_u32 v17, v17, v16, 0x7fff
	v_cndmask_b32_e64 v16, v17, v18, s0
	v_mul_f32_e32 v17, s6, v121
	v_lshrrev_b32_e32 v16, 16, v16
	;; [unrolled: 7-line block ×3, first 2 shown]
	v_bfe_u32 v112, v18, 16, 1
	v_or_b32_e32 v121, 0x400000, v18
	v_cmp_u_f32_e64 s0, v18, v18
	v_add3_u32 v112, v112, v18, 0x7fff
	v_cndmask_b32_e64 v18, v112, v121, s0
	v_bfe_u32 v112, v20, 16, 1
	v_or_b32_e32 v121, 0x400000, v20
	v_cmp_u_f32_e64 s0, v20, v20
	v_lshrrev_b32_e32 v18, 16, v18
	v_add3_u32 v112, v112, v20, 0x7fff
	v_cndmask_b32_e64 v20, v112, v121, s0
	v_bfe_u32 v112, v21, 16, 1
	v_or_b32_e32 v121, 0x400000, v21
	v_cmp_u_f32_e64 s0, v21, v21
	v_lshrrev_b32_e32 v20, 16, v20
	;; [unrolled: 6-line block ×3, first 2 shown]
	v_add3_u32 v112, v112, v19, 0x7fff
	v_cndmask_b32_e64 v19, v112, v121, s0
	v_mul_f32_e32 v112, s6, v122
	v_lshrrev_b32_e32 v19, 16, v19
	v_bfe_u32 v121, v112, 16, 1
	v_or_b32_e32 v122, 0x400000, v112
	v_cmp_u_f32_e64 s0, v112, v112
	v_add3_u32 v121, v121, v112, 0x7fff
	v_cndmask_b32_e64 v112, v121, v122, s0
	v_lshrrev_b32_e32 v112, 16, v112
	s_and_saveexec_b32 s0, vcc_lo
	s_cbranch_execz .LBB388_628
; %bb.1248:                             ;   in Loop: Header=BB388_629 Depth=1
	v_cmp_gt_i32_e32 vcc_lo, s29, v60
	v_cndmask_b32_e32 v21, 0, v21, vcc_lo
	v_cmp_gt_i32_e32 vcc_lo, s29, v66
	v_cndmask_b32_e32 v20, 0, v20, vcc_lo
	;; [unrolled: 2-line block ×8, first 2 shown]
	s_branch .LBB388_628
.LBB388_1249:
	s_or_b32 exec_lo, exec_lo, s12
.LBB388_1250:
	s_or_b32 exec_lo, exec_lo, s1
	ds_bpermute_b32 v9, v25, v27
	ds_bpermute_b32 v8, v25, v28
	;; [unrolled: 1-line block ×10, first 2 shown]
	s_mov_b32 s0, exec_lo
	s_waitcnt lgkmcnt(9)
	v_add_f32_e32 v17, v27, v9
	buffer_load_dword v9, off, s[44:47], 0 offset:224 ; 4-byte Folded Reload
	s_waitcnt lgkmcnt(8)
	v_add_f32_e32 v16, v28, v8
	s_waitcnt lgkmcnt(7)
	v_add_f32_e32 v0, v34, v0
	;; [unrolled: 2-line block ×9, first 2 shown]
	ds_bpermute_b32 v5, v24, v0
	ds_bpermute_b32 v6, v24, v1
	;; [unrolled: 1-line block ×10, first 2 shown]
	s_waitcnt lgkmcnt(7)
	v_add_f32_e32 v7, v2, v7
	s_waitcnt lgkmcnt(2)
	v_add_f32_e32 v2, v15, v22
	s_waitcnt vmcnt(0)
	v_and_b32_e32 v8, 28, v9
	v_lshrrev_b32_e32 v10, 2, v9
	buffer_load_dword v9, off, s[44:47], 0 offset:228 ; 4-byte Folded Reload
	v_add_nc_u32_e32 v11, 0xc0, v8
	v_add_f32_e32 v8, v1, v6
	v_add_f32_e32 v6, v3, v18
	;; [unrolled: 1-line block ×3, first 2 shown]
	s_waitcnt lgkmcnt(1)
	v_add_f32_e32 v1, v16, v23
	s_waitcnt vmcnt(0)
	v_mul_u32_u24_e32 v12, 0x140, v9
	buffer_load_dword v9, off, s[44:47], 0 offset:232 ; 4-byte Folded Reload
	s_waitcnt vmcnt(0) lgkmcnt(0)
	s_waitcnt_vscnt null, 0x0
	s_barrier
	buffer_gl0_inv
	v_and_b32_e32 v25, 0x3c3, v9
	v_add_f32_e32 v9, v0, v5
	v_add_f32_e32 v5, v4, v19
	;; [unrolled: 1-line block ×4, first 2 shown]
	v_cmpx_eq_u32_e32 64, v25
	s_cbranch_execz .LBB388_1252
; %bb.1251:
	v_add_nc_u32_e32 v13, v11, v12
	v_add_nc_u32_e32 v14, 0xfffffd80, v13
	;; [unrolled: 1-line block ×6, first 2 shown]
	ds_write_b32 v14, v9
	ds_write_b32 v15, v8
	;; [unrolled: 1-line block ×5, first 2 shown]
	v_add_nc_u32_e32 v14, 0xfffffe20, v13
	v_add_nc_u32_e32 v15, 0xfffffe40, v13
	;; [unrolled: 1-line block ×5, first 2 shown]
	ds_write_b32 v14, v4
	ds_write_b32 v15, v3
	;; [unrolled: 1-line block ×5, first 2 shown]
.LBB388_1252:
	s_or_b32 exec_lo, exec_lo, s0
	buffer_load_dword v13, off, s[44:47], 0 offset:232 ; 4-byte Folded Reload
	v_lshlrev_b32_e32 v10, 2, v10
	s_mov_b32 s1, exec_lo
	v_cmp_eq_u32_e32 vcc_lo, 0, v26
	s_waitcnt vmcnt(0) lgkmcnt(0)
	s_barrier
	v_add3_u32 v10, 0xc0, v12, v10
	buffer_gl0_inv
	v_cmpx_gt_u32_e32 64, v13
	s_cbranch_execz .LBB388_1265
; %bb.1253:
	s_and_saveexec_b32 s0, vcc_lo
	s_cbranch_execnz .LBB388_1283
; %bb.1254:
	s_or_b32 exec_lo, exec_lo, s0
	s_and_saveexec_b32 s0, vcc_lo
	s_cbranch_execnz .LBB388_1284
.LBB388_1255:
	s_or_b32 exec_lo, exec_lo, s0
	s_and_saveexec_b32 s0, vcc_lo
	s_cbranch_execnz .LBB388_1285
.LBB388_1256:
	s_or_b32 exec_lo, exec_lo, s0
	s_and_saveexec_b32 s0, vcc_lo
	s_cbranch_execnz .LBB388_1286
.LBB388_1257:
	s_or_b32 exec_lo, exec_lo, s0
	s_and_saveexec_b32 s0, vcc_lo
	s_cbranch_execnz .LBB388_1287
.LBB388_1258:
	s_or_b32 exec_lo, exec_lo, s0
	s_and_saveexec_b32 s0, vcc_lo
	s_cbranch_execnz .LBB388_1288
.LBB388_1259:
	s_or_b32 exec_lo, exec_lo, s0
	s_and_saveexec_b32 s0, vcc_lo
	s_cbranch_execnz .LBB388_1289
.LBB388_1260:
	s_or_b32 exec_lo, exec_lo, s0
	s_and_saveexec_b32 s0, vcc_lo
	s_cbranch_execnz .LBB388_1290
.LBB388_1261:
	s_or_b32 exec_lo, exec_lo, s0
	s_and_saveexec_b32 s0, vcc_lo
	s_cbranch_execnz .LBB388_1291
.LBB388_1262:
	s_or_b32 exec_lo, exec_lo, s0
	s_and_saveexec_b32 s0, vcc_lo
	s_cbranch_execz .LBB388_1264
.LBB388_1263:
	ds_read_b32 v12, v10 offset:288
	s_waitcnt lgkmcnt(0)
	v_add_f32_e32 v0, v0, v12
.LBB388_1264:
	s_or_b32 exec_lo, exec_lo, s0
.LBB388_1265:
	s_or_b32 exec_lo, exec_lo, s1
	v_and_b32_e32 v12, 0x3e3, v13
	s_mov_b32 s1, exec_lo
	s_barrier
	buffer_gl0_inv
	v_cmpx_eq_u32_e32 32, v12
	s_cbranch_execz .LBB388_1267
; %bb.1266:
	ds_write2_b32 v11, v9, v8 offset1:8
	ds_write2_b32 v11, v7, v6 offset0:16 offset1:24
	ds_write2_b32 v11, v5, v4 offset0:32 offset1:40
	;; [unrolled: 1-line block ×4, first 2 shown]
.LBB388_1267:
	s_or_b32 exec_lo, exec_lo, s1
	s_mov_b32 s1, exec_lo
	s_waitcnt lgkmcnt(0)
	s_barrier
	buffer_gl0_inv
	v_cmpx_gt_u32_e32 32, v13
	s_cbranch_execz .LBB388_1280
; %bb.1268:
	s_and_saveexec_b32 s0, vcc_lo
	s_cbranch_execnz .LBB388_1292
; %bb.1269:
	s_or_b32 exec_lo, exec_lo, s0
	s_and_saveexec_b32 s0, vcc_lo
	s_cbranch_execnz .LBB388_1293
.LBB388_1270:
	s_or_b32 exec_lo, exec_lo, s0
	s_and_saveexec_b32 s0, vcc_lo
	s_cbranch_execnz .LBB388_1294
.LBB388_1271:
	s_or_b32 exec_lo, exec_lo, s0
	s_and_saveexec_b32 s0, vcc_lo
	s_cbranch_execnz .LBB388_1295
.LBB388_1272:
	s_or_b32 exec_lo, exec_lo, s0
	s_and_saveexec_b32 s0, vcc_lo
	s_cbranch_execnz .LBB388_1296
.LBB388_1273:
	s_or_b32 exec_lo, exec_lo, s0
	s_and_saveexec_b32 s0, vcc_lo
	s_cbranch_execnz .LBB388_1297
.LBB388_1274:
	s_or_b32 exec_lo, exec_lo, s0
	s_and_saveexec_b32 s0, vcc_lo
	s_cbranch_execnz .LBB388_1298
.LBB388_1275:
	s_or_b32 exec_lo, exec_lo, s0
	s_and_saveexec_b32 s0, vcc_lo
	s_cbranch_execnz .LBB388_1299
.LBB388_1276:
	s_or_b32 exec_lo, exec_lo, s0
	s_and_saveexec_b32 s0, vcc_lo
	s_cbranch_execnz .LBB388_1300
.LBB388_1277:
	s_or_b32 exec_lo, exec_lo, s0
	s_and_saveexec_b32 s0, vcc_lo
	s_cbranch_execz .LBB388_1279
.LBB388_1278:
	ds_read_b32 v10, v10 offset:288
	s_waitcnt lgkmcnt(0)
	v_add_f32_e32 v0, v0, v10
.LBB388_1279:
	s_or_b32 exec_lo, exec_lo, s0
.LBB388_1280:
	s_or_b32 exec_lo, exec_lo, s1
	s_barrier
	buffer_gl0_inv
	s_mov_b32 s0, exec_lo
	v_cmpx_eq_u32_e32 0, v12
	s_cbranch_execz .LBB388_1282
; %bb.1281:
	s_mul_i32 s0, s2, 0x50
	v_bfe_u32 v10, v9, 16, 1
	s_ashr_i32 s1, s0, 31
	s_mul_i32 s2, s7, s10
	s_lshl_b64 s[0:1], s[0:1], 1
	v_or_b32_e32 v11, 0x400000, v9
	s_add_u32 s4, s24, s0
	s_addc_u32 s1, s25, s1
	s_ashr_i32 s3, s2, 31
	v_add3_u32 v10, v10, v9, 0x7fff
	s_lshl_b64 s[2:3], s[2:3], 1
	v_lshrrev_b32_e32 v12, 1, v13
	v_bfe_u32 v13, v8, 16, 1
	v_cmp_u_f32_e32 vcc_lo, v9, v9
	s_mul_i32 s0, s8, 0x50
	s_add_u32 s2, s4, s2
	s_addc_u32 s3, s1, s3
	s_ashr_i32 s1, s0, 31
	v_cndmask_b32_e32 v9, v10, v11, vcc_lo
	s_lshl_b64 s[0:1], s[0:1], 1
	v_bfe_u32 v10, v7, 16, 1
	v_add3_u32 v11, v13, v8, 0x7fff
	v_or_b32_e32 v13, 0x400000, v8
	v_cmp_u_f32_e32 vcc_lo, v8, v8
	s_add_u32 s0, s2, s0
	s_addc_u32 s1, s3, s1
	global_store_short_d16_hi v12, v9, s[0:1]
	v_add3_u32 v9, v10, v7, 0x7fff
	v_or_b32_e32 v10, 0x400000, v7
	v_cndmask_b32_e32 v8, v11, v13, vcc_lo
	v_bfe_u32 v11, v6, 16, 1
	v_cmp_u_f32_e32 vcc_lo, v7, v7
	global_store_short_d16_hi v12, v8, s[0:1] offset:16
	v_add3_u32 v8, v11, v6, 0x7fff
	v_cndmask_b32_e32 v7, v9, v10, vcc_lo
	v_bfe_u32 v9, v5, 16, 1
	v_or_b32_e32 v10, 0x400000, v6
	v_cmp_u_f32_e32 vcc_lo, v6, v6
	global_store_short_d16_hi v12, v7, s[0:1] offset:32
	v_add3_u32 v7, v9, v5, 0x7fff
	v_or_b32_e32 v9, 0x400000, v5
	v_cndmask_b32_e32 v6, v8, v10, vcc_lo
	v_bfe_u32 v8, v4, 16, 1
	v_cmp_u_f32_e32 vcc_lo, v5, v5
	v_or_b32_e32 v10, 0x400000, v0
	global_store_short_d16_hi v12, v6, s[0:1] offset:48
	v_add3_u32 v6, v8, v4, 0x7fff
	v_cndmask_b32_e32 v5, v7, v9, vcc_lo
	v_bfe_u32 v7, v3, 16, 1
	v_or_b32_e32 v8, 0x400000, v4
	v_cmp_u_f32_e32 vcc_lo, v4, v4
	v_or_b32_e32 v9, 0x400000, v1
	global_store_short_d16_hi v12, v5, s[0:1] offset:64
	v_add3_u32 v5, v7, v3, 0x7fff
	v_or_b32_e32 v7, 0x400000, v3
	v_cndmask_b32_e32 v4, v6, v8, vcc_lo
	v_bfe_u32 v6, v2, 16, 1
	v_cmp_u_f32_e32 vcc_lo, v3, v3
	v_bfe_u32 v8, v1, 16, 1
	v_add3_u32 v6, v6, v2, 0x7fff
	v_cndmask_b32_e32 v3, v5, v7, vcc_lo
	v_or_b32_e32 v7, 0x400000, v2
	v_cmp_u_f32_e32 vcc_lo, v2, v2
	v_bfe_u32 v5, v0, 16, 1
	v_add3_u32 v8, v8, v1, 0x7fff
	v_cndmask_b32_e32 v2, v6, v7, vcc_lo
	v_cmp_u_f32_e32 vcc_lo, v1, v1
	v_add3_u32 v5, v5, v0, 0x7fff
	v_cndmask_b32_e32 v1, v8, v9, vcc_lo
	v_cmp_u_f32_e32 vcc_lo, v0, v0
	v_cndmask_b32_e32 v0, v5, v10, vcc_lo
	global_store_short_d16_hi v12, v4, s[0:1] offset:80
	global_store_short_d16_hi v12, v3, s[0:1] offset:96
	;; [unrolled: 1-line block ×5, first 2 shown]
.LBB388_1282:
	s_endpgm
.LBB388_1283:
	ds_read_b32 v12, v10
	s_waitcnt lgkmcnt(0)
	v_add_f32_e32 v9, v9, v12
	s_or_b32 exec_lo, exec_lo, s0
	s_and_saveexec_b32 s0, vcc_lo
	s_cbranch_execz .LBB388_1255
.LBB388_1284:
	ds_read_b32 v12, v10 offset:32
	s_waitcnt lgkmcnt(0)
	v_add_f32_e32 v8, v8, v12
	s_or_b32 exec_lo, exec_lo, s0
	s_and_saveexec_b32 s0, vcc_lo
	s_cbranch_execz .LBB388_1256
.LBB388_1285:
	ds_read_b32 v12, v10 offset:64
	s_waitcnt lgkmcnt(0)
	v_add_f32_e32 v7, v7, v12
	s_or_b32 exec_lo, exec_lo, s0
	s_and_saveexec_b32 s0, vcc_lo
	s_cbranch_execz .LBB388_1257
.LBB388_1286:
	ds_read_b32 v12, v10 offset:96
	s_waitcnt lgkmcnt(0)
	v_add_f32_e32 v6, v6, v12
	s_or_b32 exec_lo, exec_lo, s0
	s_and_saveexec_b32 s0, vcc_lo
	s_cbranch_execz .LBB388_1258
.LBB388_1287:
	ds_read_b32 v12, v10 offset:128
	s_waitcnt lgkmcnt(0)
	v_add_f32_e32 v5, v5, v12
	s_or_b32 exec_lo, exec_lo, s0
	s_and_saveexec_b32 s0, vcc_lo
	s_cbranch_execz .LBB388_1259
.LBB388_1288:
	ds_read_b32 v12, v10 offset:160
	s_waitcnt lgkmcnt(0)
	v_add_f32_e32 v4, v4, v12
	s_or_b32 exec_lo, exec_lo, s0
	s_and_saveexec_b32 s0, vcc_lo
	s_cbranch_execz .LBB388_1260
.LBB388_1289:
	ds_read_b32 v12, v10 offset:192
	s_waitcnt lgkmcnt(0)
	v_add_f32_e32 v3, v3, v12
	s_or_b32 exec_lo, exec_lo, s0
	s_and_saveexec_b32 s0, vcc_lo
	s_cbranch_execz .LBB388_1261
.LBB388_1290:
	ds_read_b32 v12, v10 offset:224
	s_waitcnt lgkmcnt(0)
	v_add_f32_e32 v2, v2, v12
	s_or_b32 exec_lo, exec_lo, s0
	s_and_saveexec_b32 s0, vcc_lo
	s_cbranch_execz .LBB388_1262
.LBB388_1291:
	ds_read_b32 v12, v10 offset:256
	s_waitcnt lgkmcnt(0)
	v_add_f32_e32 v1, v1, v12
	s_or_b32 exec_lo, exec_lo, s0
	s_and_saveexec_b32 s0, vcc_lo
	s_cbranch_execnz .LBB388_1263
	s_branch .LBB388_1264
.LBB388_1292:
	ds_read_b32 v11, v10
	s_waitcnt lgkmcnt(0)
	v_add_f32_e32 v9, v9, v11
	s_or_b32 exec_lo, exec_lo, s0
	s_and_saveexec_b32 s0, vcc_lo
	s_cbranch_execz .LBB388_1270
.LBB388_1293:
	ds_read_b32 v11, v10 offset:32
	s_waitcnt lgkmcnt(0)
	v_add_f32_e32 v8, v8, v11
	s_or_b32 exec_lo, exec_lo, s0
	s_and_saveexec_b32 s0, vcc_lo
	s_cbranch_execz .LBB388_1271
.LBB388_1294:
	ds_read_b32 v11, v10 offset:64
	s_waitcnt lgkmcnt(0)
	v_add_f32_e32 v7, v7, v11
	s_or_b32 exec_lo, exec_lo, s0
	s_and_saveexec_b32 s0, vcc_lo
	s_cbranch_execz .LBB388_1272
.LBB388_1295:
	ds_read_b32 v11, v10 offset:96
	s_waitcnt lgkmcnt(0)
	v_add_f32_e32 v6, v6, v11
	s_or_b32 exec_lo, exec_lo, s0
	s_and_saveexec_b32 s0, vcc_lo
	s_cbranch_execz .LBB388_1273
.LBB388_1296:
	ds_read_b32 v11, v10 offset:128
	s_waitcnt lgkmcnt(0)
	v_add_f32_e32 v5, v5, v11
	s_or_b32 exec_lo, exec_lo, s0
	s_and_saveexec_b32 s0, vcc_lo
	s_cbranch_execz .LBB388_1274
.LBB388_1297:
	ds_read_b32 v11, v10 offset:160
	s_waitcnt lgkmcnt(0)
	v_add_f32_e32 v4, v4, v11
	s_or_b32 exec_lo, exec_lo, s0
	s_and_saveexec_b32 s0, vcc_lo
	s_cbranch_execz .LBB388_1275
.LBB388_1298:
	ds_read_b32 v11, v10 offset:192
	s_waitcnt lgkmcnt(0)
	v_add_f32_e32 v3, v3, v11
	s_or_b32 exec_lo, exec_lo, s0
	s_and_saveexec_b32 s0, vcc_lo
	s_cbranch_execz .LBB388_1276
.LBB388_1299:
	ds_read_b32 v11, v10 offset:224
	s_waitcnt lgkmcnt(0)
	v_add_f32_e32 v2, v2, v11
	s_or_b32 exec_lo, exec_lo, s0
	s_and_saveexec_b32 s0, vcc_lo
	s_cbranch_execz .LBB388_1277
.LBB388_1300:
	ds_read_b32 v11, v10 offset:256
	s_waitcnt lgkmcnt(0)
	v_add_f32_e32 v1, v1, v11
	s_or_b32 exec_lo, exec_lo, s0
	s_and_saveexec_b32 s0, vcc_lo
	s_cbranch_execnz .LBB388_1278
	s_branch .LBB388_1279
	.section	.rodata,"a",@progbits
	.p2align	6, 0x0
	.amdhsa_kernel _ZN4vllm25paged_attention_v2_kernelI14__hip_bfloat16hLi80ELi32ELi128ELNS_18Fp8KVCacheDataTypeE1ELb0ELi512EEEvPfS3_PT_PKS4_PKT0_SA_ifPKiSC_iPKfiiiSE_SE_iiiii
		.amdhsa_group_segment_fixed_size 192
		.amdhsa_private_segment_fixed_size 244
		.amdhsa_kernarg_size 400
		.amdhsa_user_sgpr_count 6
		.amdhsa_user_sgpr_private_segment_buffer 1
		.amdhsa_user_sgpr_dispatch_ptr 0
		.amdhsa_user_sgpr_queue_ptr 0
		.amdhsa_user_sgpr_kernarg_segment_ptr 1
		.amdhsa_user_sgpr_dispatch_id 0
		.amdhsa_user_sgpr_flat_scratch_init 0
		.amdhsa_user_sgpr_private_segment_size 0
		.amdhsa_wavefront_size32 1
		.amdhsa_uses_dynamic_stack 0
		.amdhsa_system_sgpr_private_segment_wavefront_offset 1
		.amdhsa_system_sgpr_workgroup_id_x 1
		.amdhsa_system_sgpr_workgroup_id_y 1
		.amdhsa_system_sgpr_workgroup_id_z 1
		.amdhsa_system_sgpr_workgroup_info 0
		.amdhsa_system_vgpr_workitem_id 0
		.amdhsa_next_free_vgpr 128
		.amdhsa_next_free_sgpr 48
		.amdhsa_reserve_vcc 1
		.amdhsa_reserve_flat_scratch 0
		.amdhsa_float_round_mode_32 0
		.amdhsa_float_round_mode_16_64 0
		.amdhsa_float_denorm_mode_32 3
		.amdhsa_float_denorm_mode_16_64 3
		.amdhsa_dx10_clamp 1
		.amdhsa_ieee_mode 1
		.amdhsa_fp16_overflow 0
		.amdhsa_workgroup_processor_mode 1
		.amdhsa_memory_ordered 1
		.amdhsa_forward_progress 1
		.amdhsa_shared_vgpr_count 0
		.amdhsa_exception_fp_ieee_invalid_op 0
		.amdhsa_exception_fp_denorm_src 0
		.amdhsa_exception_fp_ieee_div_zero 0
		.amdhsa_exception_fp_ieee_overflow 0
		.amdhsa_exception_fp_ieee_underflow 0
		.amdhsa_exception_fp_ieee_inexact 0
		.amdhsa_exception_int_div_zero 0
	.end_amdhsa_kernel
	.section	.text._ZN4vllm25paged_attention_v2_kernelI14__hip_bfloat16hLi80ELi32ELi128ELNS_18Fp8KVCacheDataTypeE1ELb0ELi512EEEvPfS3_PT_PKS4_PKT0_SA_ifPKiSC_iPKfiiiSE_SE_iiiii,"axG",@progbits,_ZN4vllm25paged_attention_v2_kernelI14__hip_bfloat16hLi80ELi32ELi128ELNS_18Fp8KVCacheDataTypeE1ELb0ELi512EEEvPfS3_PT_PKS4_PKT0_SA_ifPKiSC_iPKfiiiSE_SE_iiiii,comdat
.Lfunc_end388:
	.size	_ZN4vllm25paged_attention_v2_kernelI14__hip_bfloat16hLi80ELi32ELi128ELNS_18Fp8KVCacheDataTypeE1ELb0ELi512EEEvPfS3_PT_PKS4_PKT0_SA_ifPKiSC_iPKfiiiSE_SE_iiiii, .Lfunc_end388-_ZN4vllm25paged_attention_v2_kernelI14__hip_bfloat16hLi80ELi32ELi128ELNS_18Fp8KVCacheDataTypeE1ELb0ELi512EEEvPfS3_PT_PKS4_PKT0_SA_ifPKiSC_iPKfiiiSE_SE_iiiii
                                        ; -- End function
	.set _ZN4vllm25paged_attention_v2_kernelI14__hip_bfloat16hLi80ELi32ELi128ELNS_18Fp8KVCacheDataTypeE1ELb0ELi512EEEvPfS3_PT_PKS4_PKT0_SA_ifPKiSC_iPKfiiiSE_SE_iiiii.num_vgpr, 128
	.set _ZN4vllm25paged_attention_v2_kernelI14__hip_bfloat16hLi80ELi32ELi128ELNS_18Fp8KVCacheDataTypeE1ELb0ELi512EEEvPfS3_PT_PKS4_PKT0_SA_ifPKiSC_iPKfiiiSE_SE_iiiii.num_agpr, 0
	.set _ZN4vllm25paged_attention_v2_kernelI14__hip_bfloat16hLi80ELi32ELi128ELNS_18Fp8KVCacheDataTypeE1ELb0ELi512EEEvPfS3_PT_PKS4_PKT0_SA_ifPKiSC_iPKfiiiSE_SE_iiiii.numbered_sgpr, 48
	.set _ZN4vllm25paged_attention_v2_kernelI14__hip_bfloat16hLi80ELi32ELi128ELNS_18Fp8KVCacheDataTypeE1ELb0ELi512EEEvPfS3_PT_PKS4_PKT0_SA_ifPKiSC_iPKfiiiSE_SE_iiiii.num_named_barrier, 0
	.set _ZN4vllm25paged_attention_v2_kernelI14__hip_bfloat16hLi80ELi32ELi128ELNS_18Fp8KVCacheDataTypeE1ELb0ELi512EEEvPfS3_PT_PKS4_PKT0_SA_ifPKiSC_iPKfiiiSE_SE_iiiii.private_seg_size, 244
	.set _ZN4vllm25paged_attention_v2_kernelI14__hip_bfloat16hLi80ELi32ELi128ELNS_18Fp8KVCacheDataTypeE1ELb0ELi512EEEvPfS3_PT_PKS4_PKT0_SA_ifPKiSC_iPKfiiiSE_SE_iiiii.uses_vcc, 1
	.set _ZN4vllm25paged_attention_v2_kernelI14__hip_bfloat16hLi80ELi32ELi128ELNS_18Fp8KVCacheDataTypeE1ELb0ELi512EEEvPfS3_PT_PKS4_PKT0_SA_ifPKiSC_iPKfiiiSE_SE_iiiii.uses_flat_scratch, 0
	.set _ZN4vllm25paged_attention_v2_kernelI14__hip_bfloat16hLi80ELi32ELi128ELNS_18Fp8KVCacheDataTypeE1ELb0ELi512EEEvPfS3_PT_PKS4_PKT0_SA_ifPKiSC_iPKfiiiSE_SE_iiiii.has_dyn_sized_stack, 0
	.set _ZN4vllm25paged_attention_v2_kernelI14__hip_bfloat16hLi80ELi32ELi128ELNS_18Fp8KVCacheDataTypeE1ELb0ELi512EEEvPfS3_PT_PKS4_PKT0_SA_ifPKiSC_iPKfiiiSE_SE_iiiii.has_recursion, 0
	.set _ZN4vllm25paged_attention_v2_kernelI14__hip_bfloat16hLi80ELi32ELi128ELNS_18Fp8KVCacheDataTypeE1ELb0ELi512EEEvPfS3_PT_PKS4_PKT0_SA_ifPKiSC_iPKfiiiSE_SE_iiiii.has_indirect_call, 0
	.section	.AMDGPU.csdata,"",@progbits
; Kernel info:
; codeLenInByte = 50532
; TotalNumSgprs: 50
; NumVgprs: 128
; ScratchSize: 244
; MemoryBound: 0
; FloatMode: 240
; IeeeMode: 1
; LDSByteSize: 192 bytes/workgroup (compile time only)
; SGPRBlocks: 0
; VGPRBlocks: 15
; NumSGPRsForWavesPerEU: 50
; NumVGPRsForWavesPerEU: 128
; Occupancy: 8
; WaveLimiterHint : 1
; COMPUTE_PGM_RSRC2:SCRATCH_EN: 1
; COMPUTE_PGM_RSRC2:USER_SGPR: 6
; COMPUTE_PGM_RSRC2:TRAP_HANDLER: 0
; COMPUTE_PGM_RSRC2:TGID_X_EN: 1
; COMPUTE_PGM_RSRC2:TGID_Y_EN: 1
; COMPUTE_PGM_RSRC2:TGID_Z_EN: 1
; COMPUTE_PGM_RSRC2:TIDIG_COMP_CNT: 0
	.text
	.p2align	2                               ; -- Begin function _ZN4vllm22paged_attention_kernelI14__hip_bfloat16hLi96ELi32ELi128ELNS_18Fp8KVCacheDataTypeE1ELb0ELi512EEEvPfS3_PT_PKS4_PKT0_SA_ifPKiSC_iPKfiiiSE_SE_iiiii
	.type	_ZN4vllm22paged_attention_kernelI14__hip_bfloat16hLi96ELi32ELi128ELNS_18Fp8KVCacheDataTypeE1ELb0ELi512EEEvPfS3_PT_PKS4_PKT0_SA_ifPKiSC_iPKfiiiSE_SE_iiiii,@function
_ZN4vllm22paged_attention_kernelI14__hip_bfloat16hLi96ELi32ELi128ELNS_18Fp8KVCacheDataTypeE1ELb0ELi512EEEvPfS3_PT_PKS4_PKT0_SA_ifPKiSC_iPKfiiiSE_SE_iiiii: ; @_ZN4vllm22paged_attention_kernelI14__hip_bfloat16hLi96ELi32ELi128ELNS_18Fp8KVCacheDataTypeE1ELb0ELi512EEEvPfS3_PT_PKS4_PKT0_SA_ifPKiSC_iPKfiiiSE_SE_iiiii
; %bb.0:
	s_waitcnt vmcnt(0) expcnt(0) lgkmcnt(0)
	buffer_store_dword v40, off, s[0:3], s32 offset:188 ; 4-byte Folded Spill
	buffer_store_dword v41, off, s[0:3], s32 offset:184 ; 4-byte Folded Spill
	;; [unrolled: 1-line block ×47, first 2 shown]
	buffer_store_dword v127, off, s[0:3], s32 ; 4-byte Folded Spill
	s_mov_b32 s18, s13
	s_ashr_i32 s19, s13, 31
	v_mov_b32_e32 v28, v2
	s_lshl_b64 s[4:5], s[18:19], 2
	buffer_store_dword v22, off, s[0:3], s32 offset:232 ; 4-byte Folded Spill
	v_add_co_u32 v2, vcc_lo, v16, s4
	v_mov_b32_e32 v22, v3
	v_add_co_ci_u32_e64 v3, null, s5, v17, vcc_lo
	s_lshl_b32 s20, s14, 9
	s_mov_b32 s19, exec_lo
	flat_load_dword v35, v[2:3]
	s_waitcnt vmcnt(0) lgkmcnt(0)
	v_cmpx_lt_i32_e64 s20, v35
	s_cbranch_execz .LBB389_1628
; %bb.1:
	buffer_store_dword v0, off, s[0:3], s32 offset:612 ; 4-byte Folded Spill
	buffer_store_dword v1, off, s[0:3], s32 offset:608 ; 4-byte Folded Spill
	;; [unrolled: 1-line block ×4, first 2 shown]
	v_sub_nc_u32_e32 v0, 0, v12
	s_clause 0x1
	s_load_dword s4, s[8:9], 0x10
	s_load_dword s5, s[8:9], 0x0
	s_mov_b32 s16, s15
	v_mov_b32_e32 v48, 0
	v_max_i32_e32 v0, v12, v0
	v_cvt_f32_u32_e32 v1, v0
	v_sub_nc_u32_e32 v2, 0, v0
	v_rcp_iflag_f32_e32 v1, v1
	s_waitcnt lgkmcnt(0)
	s_lshr_b32 s4, s4, 16
	s_cmp_lg_u32 s4, 0
	v_mul_f32_e32 v1, 0x4f7ffffe, v1
	s_cselect_b32 s4, -1, 0
	s_cmp_lg_u32 s4, 0
	v_cvt_u32_f32_e32 v1, v1
	s_addc_u32 s15, s5, 0
	s_mov_b32 s5, exec_lo
	s_abs_i32 s4, s15
	v_mul_lo_u32 v2, v2, v1
	v_mul_hi_u32 v2, v1, v2
	v_add_nc_u32_e32 v1, v1, v2
	v_mul_hi_u32 v1, s4, v1
	v_mul_lo_u32 v2, v1, v0
	v_add_nc_u32_e32 v3, 1, v1
	v_sub_nc_u32_e32 v2, s4, v2
	s_abs_i32 s4, s12
	v_sub_nc_u32_e32 v4, v2, v0
	v_cmp_ge_u32_e32 vcc_lo, v2, v0
	v_cndmask_b32_e32 v1, v1, v3, vcc_lo
	v_cndmask_b32_e32 v2, v2, v4, vcc_lo
	v_xor_b32_e32 v3, s15, v12
	v_add_nc_u32_e32 v4, 1, v1
	v_cmp_ge_u32_e32 vcc_lo, v2, v0
	v_ashrrev_i32_e32 v3, 31, v3
	v_cndmask_b32_e32 v0, v1, v4, vcc_lo
	v_xor_b32_e32 v0, v0, v3
	v_sub_nc_u32_e32 v1, v0, v3
	v_sub_nc_u32_e32 v0, 0, v1
	v_max_i32_e32 v0, v1, v0
	v_cvt_f32_u32_e32 v2, v0
	v_sub_nc_u32_e32 v3, 0, v0
	v_rcp_iflag_f32_e32 v2, v2
	v_mul_f32_e32 v2, 0x4f7ffffe, v2
	v_cvt_u32_f32_e32 v2, v2
	v_mul_lo_u32 v3, v3, v2
	v_mul_hi_u32 v3, v2, v3
	v_add_nc_u32_e32 v2, v2, v3
	v_mad_u64_u32 v[16:17], null, s4, v2, 0
	v_cmpx_ne_u64_e32 0, v[19:20]
	s_cbranch_execz .LBB389_3
; %bb.2:
	s_ashr_i32 s13, s12, 31
	s_lshl_b64 s[6:7], s[12:13], 2
	v_add_co_u32 v2, vcc_lo, v19, s6
	v_add_co_ci_u32_e64 v3, null, s7, v20, vcc_lo
	flat_load_dword v48, v[2:3]
.LBB389_3:
	s_or_b32 exec_lo, exec_lo, s5
	v_and_b32_e32 v12, 0x3ff, v31
	v_ashrrev_i32_e32 v1, 31, v1
	s_ashr_i32 s5, s12, 31
	s_mul_i32 s10, s12, 0x60
	s_mov_b32 s6, exec_lo
	v_cmpx_gt_u32_e32 12, v12
	s_cbranch_execz .LBB389_5
; %bb.4:
	v_mul_lo_u32 v2, v21, s18
	s_ashr_i32 s11, s10, 31
	v_lshlrev_b32_e32 v16, 4, v12
	s_lshl_b64 s[22:23], s[10:11], 1
	v_ashrrev_i32_e32 v3, 31, v2
	v_lshlrev_b64 v[2:3], 1, v[2:3]
	v_add_co_u32 v2, vcc_lo, v6, v2
	v_add_co_ci_u32_e64 v3, null, v7, v3, vcc_lo
	v_add_co_u32 v2, vcc_lo, v2, s22
	v_add_co_ci_u32_e64 v3, null, s23, v3, vcc_lo
	;; [unrolled: 2-line block ×3, first 2 shown]
	flat_load_dwordx4 v[2:5], v[2:3]
	s_waitcnt vmcnt(0) lgkmcnt(0)
	ds_write_b128 v16, v[2:5]
.LBB389_5:
	s_or_b32 exec_lo, exec_lo, s6
	v_mul_lo_u32 v2, v17, v0
	v_add_nc_u32_e32 v3, 1, v17
	v_add_nc_u32_e32 v4, 31, v35
	v_xor_b32_e32 v1, s5, v1
	buffer_store_dword v28, off, s[0:3], s32 offset:620 ; 4-byte Folded Spill
	buffer_store_dword v22, off, s[0:3], s32 offset:616 ; 4-byte Folded Spill
	;; [unrolled: 1-line block ×6, first 2 shown]
	s_clause 0x1
	s_load_dword s13, s[8:9], 0x14
	s_load_dword s11, s[8:9], 0x8
	v_lshrrev_b32_e32 v37, 5, v12
	v_ashrrev_i32_e32 v6, 31, v4
	v_sub_nc_u32_e32 v2, s4, v2
	s_lshl_b32 s7, s14, 4
	v_and_b32_e32 v38, 31, v12
	s_add_i32 s4, s7, 16
	v_lshrrev_b32_e32 v6, 27, v6
	v_sub_nc_u32_e32 v5, v2, v0
	v_cmp_ge_u32_e32 vcc_lo, v2, v0
	v_add_nc_u32_e32 v16, s7, v37
	v_mov_b32_e32 v7, 0xff7fffff
	v_cndmask_b32_e32 v3, v17, v3, vcc_lo
	v_cndmask_b32_e32 v2, v2, v5, vcc_lo
	v_ashrrev_i32_e32 v17, 31, v16
	v_add_nc_u32_e32 v5, 1, v3
	v_cmp_ge_u32_e32 vcc_lo, v2, v0
	v_mul_lo_u32 v0, v18, s18
	v_cndmask_b32_e32 v2, v3, v5, vcc_lo
	v_add_nc_u32_e32 v3, v4, v6
	v_xor_b32_e32 v2, v2, v1
	v_ashrrev_i32_e32 v10, 5, v3
	v_sub_nc_u32_e32 v2, v2, v1
	v_ashrrev_i32_e32 v1, 31, v0
	v_mul_lo_u32 v18, v2, v23
	v_min_i32_e32 v2, s4, v10
	v_lshlrev_b64 v[20:21], 2, v[0:1]
	v_lshlrev_b32_e32 v23, 2, v38
	v_cmp_ge_i32_e64 s4, v16, v2
	buffer_store_dword v2, off, s[0:3], s32 offset:236 ; 4-byte Folded Spill
	v_ashrrev_i32_e32 v22, 31, v18
	v_cmp_lt_i32_e32 vcc_lo, v16, v2
	s_waitcnt vmcnt(0) lgkmcnt(0)
	s_waitcnt_vscnt null, 0x0
	s_barrier
	buffer_gl0_inv
	s_mov_b32 s21, exec_lo
	s_and_b32 s5, s21, vcc_lo
	buffer_store_dword v12, off, s[0:3], s32 offset:572 ; 4-byte Folded Spill
	buffer_store_dword v37, off, s[0:3], s32 offset:584 ; 4-byte Folded Spill
	;; [unrolled: 1-line block ×3, first 2 shown]
	s_mov_b32 exec_lo, s5
	s_cbranch_execz .LBB389_777
; %bb.6:
	v_mov_b32_e32 v19, 0
	buffer_store_dword v10, off, s[0:3], s32 offset:632 ; 4-byte Folded Spill
	s_getpc_b64 s[8:9]
	s_add_u32 s8, s8, llvm.amdgcn.dynlds.offset.table@rel32@lo+4
	s_addc_u32 s9, s9, llvm.amdgcn.dynlds.offset.table@rel32@hi+12
	s_ashr_i32 s17, s16, 31
	v_mov_b32_e32 v34, 7
	ds_read_b128 v[0:3], v19
	ds_read_b128 v[4:7], v19 offset:16
	s_lshl_b64 s[22:23], s[16:17], 2
	v_mov_b32_e32 v26, v16
	s_add_u32 s8, s8, s22
	s_addc_u32 s9, s9, s23
	s_mov_b32 s17, 0
	s_waitcnt lgkmcnt(1)
	v_lshlrev_b32_e32 v10, 16, v0
	v_and_b32_e32 v0, 0xffff0000, v0
	buffer_store_dword v10, off, s[0:3], s32 offset:192 ; 4-byte Folded Spill
	buffer_store_dword v0, off, s[0:3], s32 offset:196 ; 4-byte Folded Spill
	v_lshlrev_b32_e32 v0, 16, v1
	buffer_store_dword v0, off, s[0:3], s32 offset:200 ; 4-byte Folded Spill
	v_and_b32_e32 v0, 0xffff0000, v1
	buffer_store_dword v0, off, s[0:3], s32 offset:204 ; 4-byte Folded Spill
	v_lshlrev_b32_e32 v0, 16, v2
	buffer_store_dword v0, off, s[0:3], s32 offset:208 ; 4-byte Folded Spill
	v_and_b32_e32 v0, 0xffff0000, v2
	;; [unrolled: 4-line block ×3, first 2 shown]
	buffer_store_dword v0, off, s[0:3], s32 offset:220 ; 4-byte Folded Spill
	s_waitcnt lgkmcnt(0)
	v_lshlrev_b32_e32 v0, 16, v4
	buffer_store_dword v0, off, s[0:3], s32 offset:224 ; 4-byte Folded Spill
	v_and_b32_e32 v0, 0xffff0000, v4
	buffer_store_dword v0, off, s[0:3], s32 offset:228 ; 4-byte Folded Spill
	v_lshlrev_b32_e32 v0, 16, v5
	buffer_store_dword v0, off, s[0:3], s32 offset:240 ; 4-byte Folded Spill
	v_and_b32_e32 v0, 0xffff0000, v5
	buffer_store_dword v0, off, s[0:3], s32 offset:244 ; 4-byte Folded Spill
	;; [unrolled: 4-line block ×3, first 2 shown]
	v_lshlrev_b32_e32 v0, 16, v7
	buffer_store_dword v0, off, s[0:3], s32 offset:260 ; 4-byte Folded Spill
	v_and_b32_e32 v0, 0xffff0000, v7
	v_mov_b32_e32 v7, 0xff7fffff
	buffer_store_dword v0, off, s[0:3], s32 offset:264 ; 4-byte Folded Spill
	ds_read_b128 v[0:3], v19 offset:32
	s_waitcnt lgkmcnt(0)
	v_lshlrev_b32_e32 v4, 16, v0
	v_and_b32_e32 v0, 0xffff0000, v0
	buffer_store_dword v4, off, s[0:3], s32 offset:268 ; 4-byte Folded Spill
	buffer_store_dword v0, off, s[0:3], s32 offset:272 ; 4-byte Folded Spill
	v_lshlrev_b32_e32 v0, 16, v1
	buffer_store_dword v0, off, s[0:3], s32 offset:276 ; 4-byte Folded Spill
	v_and_b32_e32 v0, 0xffff0000, v1
	buffer_store_dword v0, off, s[0:3], s32 offset:280 ; 4-byte Folded Spill
	v_lshlrev_b32_e32 v0, 16, v2
	buffer_store_dword v0, off, s[0:3], s32 offset:284 ; 4-byte Folded Spill
	v_and_b32_e32 v0, 0xffff0000, v2
	buffer_store_dword v0, off, s[0:3], s32 offset:288 ; 4-byte Folded Spill
	v_lshlrev_b32_e32 v0, 16, v3
	buffer_store_dword v0, off, s[0:3], s32 offset:292 ; 4-byte Folded Spill
	v_and_b32_e32 v0, 0xffff0000, v3
	buffer_store_dword v0, off, s[0:3], s32 offset:296 ; 4-byte Folded Spill
	ds_read_b128 v[0:3], v19 offset:48
	s_waitcnt lgkmcnt(0)
	v_lshlrev_b32_e32 v4, 16, v0
	v_and_b32_e32 v0, 0xffff0000, v0
	buffer_store_dword v4, off, s[0:3], s32 offset:300 ; 4-byte Folded Spill
	buffer_store_dword v0, off, s[0:3], s32 offset:304 ; 4-byte Folded Spill
	v_lshlrev_b32_e32 v0, 16, v1
	buffer_store_dword v0, off, s[0:3], s32 offset:308 ; 4-byte Folded Spill
	v_and_b32_e32 v0, 0xffff0000, v1
	buffer_store_dword v0, off, s[0:3], s32 offset:312 ; 4-byte Folded Spill
	v_lshlrev_b32_e32 v0, 16, v2
	buffer_store_dword v0, off, s[0:3], s32 offset:316 ; 4-byte Folded Spill
	v_and_b32_e32 v0, 0xffff0000, v2
	buffer_store_dword v0, off, s[0:3], s32 offset:320 ; 4-byte Folded Spill
	v_lshlrev_b32_e32 v0, 16, v3
	buffer_store_dword v0, off, s[0:3], s32 offset:324 ; 4-byte Folded Spill
	v_and_b32_e32 v0, 0xffff0000, v3
	;; [unrolled: 18-line block ×9, first 2 shown]
	buffer_store_dword v0, off, s[0:3], s32 offset:552 ; 4-byte Folded Spill
	ds_read_b128 v[0:3], v19 offset:176
	s_waitcnt lgkmcnt(0)
	v_lshlrev_b32_e32 v4, 16, v0
	v_and_b32_e32 v0, 0xffff0000, v0
	v_lshlrev_b32_e32 v12, 16, v2
	v_and_b32_e32 v11, 0xffff0000, v2
	v_lshlrev_b32_e32 v10, 16, v3
	buffer_store_dword v4, off, s[0:3], s32 offset:556 ; 4-byte Folded Spill
	buffer_store_dword v0, off, s[0:3], s32 offset:560 ; 4-byte Folded Spill
	v_lshlrev_b32_e32 v0, 16, v1
	v_lshlrev_b32_e32 v4, 4, v38
	v_and_b32_e32 v6, 0xffff0000, v3
	buffer_store_dword v0, off, s[0:3], s32 offset:564 ; 4-byte Folded Spill
	v_and_b32_e32 v0, 0xffff0000, v1
	buffer_store_dword v0, off, s[0:3], s32 offset:568 ; 4-byte Folded Spill
	v_lshlrev_b64 v[0:1], 2, v[16:17]
	v_add_co_u32 v0, vcc_lo, v20, v0
	buffer_store_dword v20, off, s[0:3], s32 offset:636 ; 4-byte Folded Spill
	buffer_store_dword v21, off, s[0:3], s32 offset:640 ; 4-byte Folded Spill
	s_load_dword s5, s[8:9], 0x0
	buffer_store_dword v14, off, s[0:3], s32 offset:628 ; 4-byte Folded Spill
	buffer_store_dword v15, off, s[0:3], s32 offset:624 ; 4-byte Folded Spill
	;; [unrolled: 1-line block ×3, first 2 shown]
	s_mov_b32 s8, -1
	s_mov_b32 s9, 0xffffff
	buffer_store_dword v18, off, s[0:3], s32 offset:644 ; 4-byte Folded Spill
	buffer_store_dword v22, off, s[0:3], s32 offset:648 ; 4-byte Folded Spill
	v_add_co_ci_u32_e64 v1, null, v21, v1, vcc_lo
	v_add_co_u32 v2, vcc_lo, v8, v18
	v_add_co_ci_u32_e64 v3, null, v9, v22, vcc_lo
	v_add_co_u32 v8, vcc_lo, v2, v4
	;; [unrolled: 2-line block ×3, first 2 shown]
	v_lshlrev_b32_e32 v0, 5, v37
	v_add_co_ci_u32_e64 v21, null, v15, v1, vcc_lo
	v_mov_b32_e32 v14, 0x80
	v_mov_b32_e32 v15, 0xffff
	v_add3_u32 v2, s20, v0, v38
	v_lshl_or_b32 v0, v37, 7, v23
	v_mov_b32_e32 v23, 0xff
	v_mov_b32_e32 v38, 24
	v_cmp_neq_f32_e32 vcc_lo, 0, v48
	s_waitcnt lgkmcnt(0)
	v_add_nc_u32_e32 v3, s5, v0
	s_branch .LBB389_11
.LBB389_7:                              ;   in Loop: Header=BB389_11 Depth=1
	s_or_b32 exec_lo, exec_lo, s24
	v_lshlrev_b32_sdwa v18, v38, v29 dst_sel:DWORD dst_unused:UNUSED_PAD src0_sel:DWORD src1_sel:BYTE_3
	v_lshlrev_b32_e32 v28, 20, v30
	v_lshl_add_u32 v4, v4, 23, 0x3c000000
	v_and_b32_e32 v18, 0x80000000, v18
	v_or3_b32 v4, v28, v18, v4
.LBB389_8:                              ;   in Loop: Header=BB389_11 Depth=1
	s_or_b32 exec_lo, exec_lo, s23
.LBB389_9:                              ;   in Loop: Header=BB389_11 Depth=1
	s_or_b32 exec_lo, exec_lo, s22
.LBB389_10:                             ;   in Loop: Header=BB389_11 Depth=1
	s_or_b32 exec_lo, exec_lo, s6
	v_mul_f32_e32 v18, v27, v39
	v_mul_f32_e32 v5, v27, v5
	;; [unrolled: 1-line block ×5, first 2 shown]
	v_bfe_u32 v28, v18, 16, 1
	v_or_b32_e32 v29, 0x400000, v18
	v_cmp_u_f32_e64 s5, v18, v18
	v_mul_f32_e32 v64, v27, v64
	v_mul_f32_e32 v55, v27, v55
	v_add3_u32 v28, v28, v18, 0x7fff
	v_mul_f32_e32 v52, v27, v52
	v_mul_f32_e32 v50, v27, v50
	;; [unrolled: 1-line block ×4, first 2 shown]
	v_cndmask_b32_e64 v18, v28, v29, s5
	v_mul_f32_e32 v28, v27, v126
	v_mul_f32_e32 v32, v27, v32
	v_add_nc_u32_e32 v26, 4, v26
	v_add_co_u32 v20, s6, v20, 16
	v_bfe_u32 v29, v28, 16, 1
	v_or_b32_e32 v30, 0x400000, v28
	v_cmp_u_f32_e64 s5, v28, v28
	v_and_b32_e32 v18, 0xffff0000, v18
	v_add_co_ci_u32_e64 v21, null, 0, v21, s6
	v_add3_u32 v29, v29, v28, 0x7fff
	v_cndmask_b32_e64 v28, v29, v30, s5
	v_mul_f32_e32 v29, v27, v125
	v_and_b32_e32 v28, 0xffff0000, v28
	v_bfe_u32 v30, v29, 16, 1
	v_or_b32_e32 v31, 0x400000, v29
	v_cmp_u_f32_e64 s5, v29, v29
	v_add3_u32 v30, v30, v29, 0x7fff
	v_mul_f32_e32 v29, v27, v122
	v_cndmask_b32_e64 v31, v30, v31, s5
	v_bfe_u32 v30, v29, 16, 1
	v_or_b32_e32 v39, 0x400000, v29
	v_cmp_u_f32_e64 s5, v29, v29
	v_add3_u32 v30, v30, v29, 0x7fff
	v_mul_f32_e32 v29, v27, v121
	v_cndmask_b32_e64 v122, v30, v39, s5
	;; [unrolled: 6-line block ×3, first 2 shown]
	v_bfe_u32 v30, v29, 16, 1
	v_or_b32_e32 v39, 0x400000, v29
	v_cmp_u_f32_e64 s5, v29, v29
	v_add3_u32 v30, v30, v29, 0x7fff
	v_bfe_u32 v29, v5, 16, 1
	v_cndmask_b32_e64 v120, v30, v39, s5
	v_add3_u32 v29, v29, v5, 0x7fff
	v_or_b32_e32 v30, 0x400000, v5
	v_cmp_u_f32_e64 s5, v5, v5
	v_mul_f32_e32 v5, v27, v37
	v_cndmask_b32_e64 v30, v29, v30, s5
	v_bfe_u32 v29, v5, 16, 1
	v_or_b32_e32 v37, 0x400000, v5
	v_cmp_u_f32_e64 s5, v5, v5
	v_add3_u32 v29, v29, v5, 0x7fff
	v_mul_f32_e32 v5, v27, v109
	v_cndmask_b32_e64 v29, v29, v37, s5
	v_bfe_u32 v37, v5, 16, 1
	v_or_b32_e32 v39, 0x400000, v5
	v_cmp_u_f32_e64 s5, v5, v5
	v_add3_u32 v37, v37, v5, 0x7fff
	;; [unrolled: 6-line block ×12, first 2 shown]
	v_cndmask_b32_e64 v5, v37, v39, s5
	v_mul_f32_e32 v37, v27, v89
	v_and_b32_e32 v5, 0xffff0000, v5
	v_bfe_u32 v39, v37, 16, 1
	v_or_b32_e32 v54, 0x400000, v37
	v_cmp_u_f32_e64 s5, v37, v37
	v_add3_u32 v39, v39, v37, 0x7fff
	v_mul_f32_e32 v37, v27, v88
	v_cndmask_b32_e64 v89, v39, v54, s5
	v_bfe_u32 v39, v37, 16, 1
	v_or_b32_e32 v54, 0x400000, v37
	v_cmp_u_f32_e64 s5, v37, v37
	v_add3_u32 v39, v39, v37, 0x7fff
	v_mul_f32_e32 v37, v27, v79
	v_cndmask_b32_e64 v88, v39, v54, s5
	;; [unrolled: 6-line block ×13, first 2 shown]
	v_bfe_u32 v54, v37, 16, 1
	v_or_b32_e32 v61, 0x400000, v37
	v_cmp_u_f32_e64 s5, v37, v37
	v_add3_u32 v54, v54, v37, 0x7fff
	v_cndmask_b32_e64 v37, v54, v61, s5
	v_mul_f32_e32 v54, v27, v59
	v_and_b32_e32 v37, 0xffff0000, v37
	v_bfe_u32 v59, v54, 16, 1
	v_or_b32_e32 v61, 0x400000, v54
	v_cmp_u_f32_e64 s5, v54, v54
	v_add3_u32 v59, v59, v54, 0x7fff
	v_mul_f32_e32 v54, v27, v58
	v_cndmask_b32_e64 v59, v59, v61, s5
	v_bfe_u32 v58, v54, 16, 1
	v_or_b32_e32 v61, 0x400000, v54
	v_cmp_u_f32_e64 s5, v54, v54
	v_add3_u32 v58, v58, v54, 0x7fff
	v_mul_f32_e32 v54, v27, v57
	v_cndmask_b32_e64 v58, v58, v61, s5
	;; [unrolled: 6-line block ×39, first 2 shown]
	v_bfe_u32 v69, v54, 16, 1
	v_or_b32_e32 v86, 0x400000, v54
	v_cmp_u_f32_e64 s5, v54, v54
	v_add3_u32 v69, v69, v54, 0x7fff
	v_cndmask_b32_e64 v54, v69, v86, s5
	v_bfe_u32 v69, v67, 16, 1
	v_or_b32_e32 v86, 0x400000, v67
	v_cmp_u_f32_e64 s5, v67, v67
	v_add3_u32 v69, v69, v67, 0x7fff
	v_cndmask_b32_e64 v67, v69, v86, s5
	v_bfe_u32 v69, v66, 16, 1
	v_or_b32_e32 v86, 0x400000, v66
	v_cmp_u_f32_e64 s5, v66, v66
	v_add3_u32 v69, v69, v66, 0x7fff
	v_cndmask_b32_e64 v66, v69, v86, s5
	v_bfe_u32 v69, v65, 16, 1
	v_or_b32_e32 v86, 0x400000, v65
	v_cmp_u_f32_e64 s5, v65, v65
	v_add3_u32 v69, v69, v65, 0x7fff
	v_bfe_u32 v65, v64, 16, 1
	v_cndmask_b32_e64 v69, v69, v86, s5
	v_add3_u32 v65, v65, v64, 0x7fff
	v_or_b32_e32 v86, 0x400000, v64
	v_cmp_u_f32_e64 s5, v64, v64
	v_bfe_u32 v64, v55, 16, 1
	v_cndmask_b32_e64 v65, v65, v86, s5
	v_add3_u32 v64, v64, v55, 0x7fff
	v_or_b32_e32 v86, 0x400000, v55
	v_cmp_u_f32_e64 s5, v55, v55
	v_cndmask_b32_e64 v55, v64, v86, s5
	v_mul_f32_e32 v64, v27, v68
	v_bfe_u32 v68, v64, 16, 1
	v_or_b32_e32 v86, 0x400000, v64
	v_cmp_u_f32_e64 s5, v64, v64
	v_add3_u32 v68, v68, v64, 0x7fff
	v_mul_f32_e32 v64, v27, v70
	v_cndmask_b32_e64 v68, v68, v86, s5
	v_bfe_u32 v70, v64, 16, 1
	v_or_b32_e32 v86, 0x400000, v64
	v_cmp_u_f32_e64 s5, v64, v64
	v_add3_u32 v70, v70, v64, 0x7fff
	v_bfe_u32 v64, v52, 16, 1
	v_cndmask_b32_e64 v70, v70, v86, s5
	v_add3_u32 v64, v64, v52, 0x7fff
	v_or_b32_e32 v86, 0x400000, v52
	v_cmp_u_f32_e64 s5, v52, v52
	v_bfe_u32 v52, v50, 16, 1
	v_cndmask_b32_e64 v86, v64, v86, s5
	v_add3_u32 v52, v52, v50, 0x7fff
	v_or_b32_e32 v64, 0x400000, v50
	v_cmp_u_f32_e64 s5, v50, v50
	v_cndmask_b32_e64 v50, v52, v64, s5
	v_bfe_u32 v52, v0, 16, 1
	v_or_b32_e32 v64, 0x400000, v0
	v_cmp_u_f32_e64 s5, v0, v0
	v_add3_u32 v52, v52, v0, 0x7fff
	v_mul_f32_e32 v0, v27, v1
	v_cndmask_b32_e64 v52, v52, v64, s5
	v_bfe_u32 v1, v0, 16, 1
	v_or_b32_e32 v64, 0x400000, v0
	v_cmp_u_f32_e64 s5, v0, v0
	v_add3_u32 v1, v1, v0, 0x7fff
	v_mul_f32_e32 v0, v27, v49
	;; [unrolled: 6-line block ×6, first 2 shown]
	v_cndmask_b32_e64 v126, v1, v22, s5
	v_bfe_u32 v1, v0, 16, 1
	v_or_b32_e32 v22, 0x400000, v0
	v_cmp_u_f32_e64 s5, v0, v0
	v_add3_u32 v1, v1, v0, 0x7fff
	v_cndmask_b32_e64 v0, v1, v22, s5
	v_mul_f32_e32 v1, v27, v124
	v_and_b32_e32 v0, 0xffff0000, v0
	v_bfe_u32 v22, v1, 16, 1
	v_or_b32_e32 v36, 0x400000, v1
	v_cmp_u_f32_e64 s5, v1, v1
	v_add3_u32 v22, v22, v1, 0x7fff
	v_cndmask_b32_e64 v1, v22, v36, s5
	v_mul_f32_e32 v22, v27, v123
	v_and_b32_e32 v1, 0xffff0000, v1
	v_bfe_u32 v36, v22, 16, 1
	v_or_b32_e32 v49, 0x400000, v22
	v_cmp_u_f32_e64 s5, v22, v22
	v_add3_u32 v36, v36, v22, 0x7fff
	v_cndmask_b32_e64 v22, v36, v49, s5
	v_bfe_u32 v36, v33, 16, 1
	v_or_b32_e32 v49, 0x400000, v33
	v_cmp_u_f32_e64 s5, v33, v33
	v_and_b32_e32 v22, 0xffff0000, v22
	v_add3_u32 v36, v36, v33, 0x7fff
	v_cndmask_b32_e64 v33, v36, v49, s5
	v_bfe_u32 v36, v32, 16, 1
	v_or_b32_e32 v49, 0x400000, v32
	v_cmp_u_f32_e64 s5, v32, v32
	v_add3_u32 v36, v36, v32, 0x7fff
	v_mul_f32_e32 v32, v27, v110
	v_cndmask_b32_e64 v49, v36, v49, s5
	v_bfe_u32 v36, v32, 16, 1
	v_or_b32_e32 v51, 0x400000, v32
	v_cmp_u_f32_e64 s5, v32, v32
	v_add3_u32 v36, v36, v32, 0x7fff
	v_mul_f32_e32 v32, v27, v127
	v_mul_f32_e32 v27, v27, v4
	v_cndmask_b32_e64 v53, v36, v51, s5
	buffer_load_dword v51, off, s[0:3], s32 offset:224 ; 4-byte Folded Reload
	v_bfe_u32 v4, v32, 16, 1
	v_or_b32_e32 v36, 0x400000, v32
	v_cmp_u_f32_e64 s5, v32, v32
	v_add3_u32 v4, v4, v32, 0x7fff
	v_bfe_u32 v32, v27, 16, 1
	v_cndmask_b32_e64 v4, v4, v36, s5
	v_add3_u32 v32, v32, v27, 0x7fff
	v_or_b32_e32 v36, 0x400000, v27
	v_cmp_u_f32_e64 s5, v27, v27
	v_cndmask_b32_e64 v27, v32, v36, s5
	v_and_b32_e32 v32, 0xffff0000, v55
	v_and_b32_e32 v36, 0xffff0000, v64
	v_cmp_lt_i32_e64 s5, v2, v35
	s_waitcnt vmcnt(0)
	v_mul_f32_e32 v64, v51, v32
	s_clause 0x1
	buffer_load_dword v32, off, s[0:3], s32 offset:192
	buffer_load_dword v51, off, s[0:3], s32 offset:228
	s_waitcnt vmcnt(1)
	v_fmac_f32_e32 v64, v32, v36
	v_and_b32_e32 v32, 0xffff0000, v65
	v_and_b32_e32 v36, 0xffff0000, v92
	s_waitcnt vmcnt(0)
	v_mul_f32_e32 v65, v51, v32
	s_clause 0x1
	buffer_load_dword v32, off, s[0:3], s32 offset:196
	buffer_load_dword v51, off, s[0:3], s32 offset:240
	s_waitcnt vmcnt(1)
	v_fmac_f32_e32 v65, v32, v36
	v_and_b32_e32 v32, 0xffff0000, v69
	v_and_b32_e32 v36, 0xffff0000, v78
	;; [unrolled: 9-line block ×3, first 2 shown]
	buffer_load_dword v66, off, s[0:3], s32 offset:264 ; 4-byte Folded Reload
	s_waitcnt vmcnt(1)
	v_mul_f32_e32 v52, v51, v32
	buffer_load_dword v32, off, s[0:3], s32 offset:204 ; 4-byte Folded Reload
	s_waitcnt vmcnt(0)
	v_fmac_f32_e32 v52, v32, v36
	v_and_b32_e32 v36, 0xffff0000, v50
	buffer_load_dword v50, off, s[0:3], s32 offset:252 ; 4-byte Folded Reload
	v_and_b32_e32 v32, 0xffff0000, v67
	s_waitcnt vmcnt(0)
	v_mul_f32_e32 v51, v50, v32
	s_clause 0x1
	buffer_load_dword v32, off, s[0:3], s32 offset:208
	buffer_load_dword v50, off, s[0:3], s32 offset:256
	s_waitcnt vmcnt(1)
	v_fmac_f32_e32 v51, v32, v36
	v_and_b32_e32 v32, 0xffff0000, v54
	buffer_load_dword v54, off, s[0:3], s32 offset:260 ; 4-byte Folded Reload
	v_and_b32_e32 v36, 0xffff0000, v86
	s_waitcnt vmcnt(1)
	v_mul_f32_e32 v32, v50, v32
	buffer_load_dword v50, off, s[0:3], s32 offset:212 ; 4-byte Folded Reload
	s_waitcnt vmcnt(0)
	v_fmac_f32_e32 v32, v50, v36
	v_and_b32_e32 v36, 0xffff0000, v68
	v_and_b32_e32 v50, 0xffff0000, v94
	v_mul_f32_e32 v36, v54, v36
	buffer_load_dword v54, off, s[0:3], s32 offset:216 ; 4-byte Folded Reload
	s_waitcnt vmcnt(0)
	v_fmac_f32_e32 v36, v54, v50
	v_and_b32_e32 v50, 0xffff0000, v70
	v_and_b32_e32 v54, 0xffff0000, v126
	v_mul_f32_e32 v50, v66, v50
	buffer_load_dword v66, off, s[0:3], s32 offset:220 ; 4-byte Folded Reload
	s_waitcnt vmcnt(0)
	v_fmac_f32_e32 v50, v66, v54
	buffer_load_dword v66, off, s[0:3], s32 offset:268 ; 4-byte Folded Reload
	v_and_b32_e32 v54, 0xffff0000, v102
	s_waitcnt vmcnt(0)
	v_fmac_f32_e32 v64, v66, v54
	buffer_load_dword v66, off, s[0:3], s32 offset:272 ; 4-byte Folded Reload
	v_and_b32_e32 v54, 0xffff0000, v80
	;; [unrolled: 4-line block ×37, first 2 shown]
	s_waitcnt vmcnt(0)
	v_fmac_f32_e32 v51, v66, v54
	buffer_load_dword v54, off, s[0:3], s32 offset:416 ; 4-byte Folded Reload
	s_waitcnt vmcnt(0)
	v_fmac_f32_e32 v32, v54, v37
	buffer_load_dword v54, off, s[0:3], s32 offset:420 ; 4-byte Folded Reload
	v_and_b32_e32 v37, 0xffff0000, v47
	s_waitcnt vmcnt(0)
	v_fmac_f32_e32 v36, v54, v37
	buffer_load_dword v54, off, s[0:3], s32 offset:424 ; 4-byte Folded Reload
	v_and_b32_e32 v37, 0xffff0000, v60
	;; [unrolled: 4-line block ×7, first 2 shown]
	s_waitcnt vmcnt(0)
	v_fmac_f32_e32 v51, v54, v37
	v_and_b32_e32 v37, 0xffff0000, v39
	buffer_load_dword v39, off, s[0:3], s32 offset:448 ; 4-byte Folded Reload
	s_waitcnt vmcnt(0)
	v_fmac_f32_e32 v32, v39, v37
	buffer_load_dword v39, off, s[0:3], s32 offset:452 ; 4-byte Folded Reload
	v_and_b32_e32 v37, 0xffff0000, v63
	s_waitcnt vmcnt(0)
	v_fmac_f32_e32 v36, v39, v37
	buffer_load_dword v39, off, s[0:3], s32 offset:456 ; 4-byte Folded Reload
	v_and_b32_e32 v37, 0xffff0000, v76
	;; [unrolled: 4-line block ×5, first 2 shown]
	s_waitcnt vmcnt(0)
	v_fmac_f32_e32 v55, v39, v37
	buffer_load_dword v37, off, s[0:3], s32 offset:472 ; 4-byte Folded Reload
	s_waitcnt vmcnt(0)
	v_fmac_f32_e32 v52, v37, v5
	buffer_load_dword v37, off, s[0:3], s32 offset:476 ; 4-byte Folded Reload
	v_and_b32_e32 v5, 0xffff0000, v91
	s_waitcnt vmcnt(0)
	v_fmac_f32_e32 v51, v37, v5
	buffer_load_dword v37, off, s[0:3], s32 offset:480 ; 4-byte Folded Reload
	v_and_b32_e32 v5, 0xffff0000, v93
	;; [unrolled: 4-line block ×15, first 2 shown]
	s_waitcnt vmcnt(0)
	v_fmac_f32_e32 v55, v37, v5
	v_and_b32_e32 v5, 0xffff0000, v31
	buffer_load_dword v31, off, s[0:3], s32 offset:536 ; 4-byte Folded Reload
	s_waitcnt vmcnt(0)
	v_fmac_f32_e32 v52, v31, v5
	buffer_load_dword v31, off, s[0:3], s32 offset:556 ; 4-byte Folded Reload
	v_and_b32_e32 v5, 0xffff0000, v53
	s_waitcnt vmcnt(0)
	v_fmac_f32_e32 v64, v31, v5
	buffer_load_dword v31, off, s[0:3], s32 offset:560 ; 4-byte Folded Reload
	v_and_b32_e32 v5, 0xffff0000, v49
	;; [unrolled: 4-line block ×3, first 2 shown]
	s_waitcnt vmcnt(0)
	v_fmac_f32_e32 v55, v31, v5
	buffer_load_dword v31, off, s[0:3], s32 offset:540 ; 4-byte Folded Reload
	v_add_f32_e32 v5, v64, v65
	v_add_f32_e32 v5, v5, v55
	s_waitcnt vmcnt(0)
	v_fmac_f32_e32 v51, v31, v28
	buffer_load_dword v28, off, s[0:3], s32 offset:568 ; 4-byte Folded Reload
	v_fmac_f32_e32 v51, v12, v1
	s_waitcnt vmcnt(0)
	v_fmac_f32_e32 v52, v28, v22
	buffer_load_dword v22, off, s[0:3], s32 offset:544 ; 4-byte Folded Reload
	v_add_f32_e32 v1, v52, v5
	v_and_b32_e32 v5, 0xffff0000, v30
	s_waitcnt vmcnt(0)
	v_fmac_f32_e32 v32, v22, v18
	buffer_load_dword v18, off, s[0:3], s32 offset:548 ; 4-byte Folded Reload
	v_fmac_f32_e32 v32, v11, v0
	v_add_f32_e32 v0, v51, v1
	v_and_b32_e32 v1, 0xffff0000, v29
	v_add_f32_e32 v0, v32, v0
	s_waitcnt vmcnt(0)
	v_fmac_f32_e32 v36, v18, v5
	buffer_load_dword v5, off, s[0:3], s32 offset:552 ; 4-byte Folded Reload
	s_waitcnt vmcnt(0)
	v_fmac_f32_e32 v50, v5, v1
	v_and_b32_e32 v1, 0xffff0000, v4
	v_fmac_f32_e32 v36, v10, v1
	v_and_b32_e32 v1, 0xffff0000, v27
	v_add_f32_e32 v0, v36, v0
	v_fmac_f32_e32 v50, v6, v1
	v_sub_nc_u32_e32 v1, 1, v35
	v_add_f32_e32 v0, v50, v0
	v_add_nc_u32_e32 v1, v1, v2
	v_add_nc_u32_e32 v2, 0x80, v2
	v_cvt_f32_i32_e32 v1, v1
	v_mul_f32_e32 v1, v48, v1
	v_cndmask_b32_e32 v1, 0, v1, vcc_lo
	v_fmac_f32_e32 v1, v13, v0
	v_max_f32_e32 v0, v7, v7
	v_max_f32_e32 v0, v0, v1
	v_cndmask_b32_e64 v1, 0, v1, s5
	v_cndmask_b32_e64 v7, v7, v0, s5
	buffer_load_dword v0, off, s[0:3], s32 offset:236 ; 4-byte Folded Reload
	ds_write_b32 v3, v1
	v_add_nc_u32_e32 v3, 0x200, v3
	s_waitcnt vmcnt(0)
	v_cmp_ge_i32_e64 s5, v26, v0
	s_or_b32 s17, s5, s17
	s_andn2_b32 exec_lo, exec_lo, s17
	s_cbranch_execz .LBB389_776
.LBB389_11:                             ; =>This Inner Loop Header: Depth=1
	flat_load_dword v0, v[20:21]
	buffer_load_dword v1, off, s[0:3], s32 offset:232 ; 4-byte Folded Reload
	v_mov_b32_e32 v22, 0
	s_waitcnt vmcnt(0) lgkmcnt(0)
	v_mad_i64_i32 v[28:29], null, v0, v1, v[8:9]
	flat_load_dwordx2 v[30:31], v[28:29]
	flat_load_dword v27, v[24:25]
	s_waitcnt vmcnt(1) lgkmcnt(1)
	v_cmp_ne_u16_sdwa s5, v30, v19 src0_sel:BYTE_0 src1_sel:DWORD
	s_and_saveexec_b32 s6, s5
	s_cbranch_execz .LBB389_19
; %bb.12:                               ;   in Loop: Header=BB389_11 Depth=1
	v_cmp_ne_u16_sdwa s5, v30, v14 src0_sel:BYTE_0 src1_sel:DWORD
	v_bfrev_b32_e32 v22, 1
	s_and_saveexec_b32 s22, s5
	s_cbranch_execz .LBB389_18
; %bb.13:                               ;   in Loop: Header=BB389_11 Depth=1
	v_and_b32_e32 v1, 0x7f, v30
	v_mov_b32_e32 v22, 0x7f800001
	s_mov_b32 s23, exec_lo
	v_cmpx_ne_u32_e32 0x7f, v1
	s_cbranch_execz .LBB389_17
; %bb.14:                               ;   in Loop: Header=BB389_11 Depth=1
	v_mov_b32_e32 v33, v31
	v_lshrrev_b32_e32 v0, 3, v1
	v_mov_b32_e32 v32, v30
	s_mov_b32 s24, exec_lo
	v_cmpx_gt_u32_e32 8, v1
; %bb.15:                               ;   in Loop: Header=BB389_11 Depth=1
	v_and_b32_e32 v0, 7, v30
	v_ffbh_u32_e32 v0, v0
	v_min_u32_e32 v0, 32, v0
	v_subrev_nc_u32_e32 v1, 28, v0
	v_sub_nc_u32_e32 v0, 29, v0
	v_lshlrev_b64 v[32:33], v1, v[30:31]
; %bb.16:                               ;   in Loop: Header=BB389_11 Depth=1
	s_or_b32 exec_lo, exec_lo, s24
	v_lshlrev_b32_e32 v1, 20, v32
	v_lshlrev_b32_e32 v4, 24, v30
	v_lshl_add_u32 v0, v0, 23, 0x3c000000
	v_and_b32_e32 v1, 0x700000, v1
	v_and_b32_e32 v4, 0x80000000, v4
	v_or3_b32 v22, v1, v4, v0
.LBB389_17:                             ;   in Loop: Header=BB389_11 Depth=1
	s_or_b32 exec_lo, exec_lo, s23
.LBB389_18:                             ;   in Loop: Header=BB389_11 Depth=1
	s_or_b32 exec_lo, exec_lo, s22
.LBB389_19:                             ;   in Loop: Header=BB389_11 Depth=1
	s_or_b32 exec_lo, exec_lo, s6
	v_cmp_ne_u16_sdwa s5, v30, v19 src0_sel:BYTE_1 src1_sel:DWORD
	v_mov_b32_e32 v1, 0
	v_mov_b32_e32 v49, 0
	s_and_saveexec_b32 s6, s5
	s_cbranch_execz .LBB389_27
; %bb.20:                               ;   in Loop: Header=BB389_11 Depth=1
	v_cmp_ne_u16_sdwa s5, v30, v14 src0_sel:BYTE_1 src1_sel:DWORD
	v_bfrev_b32_e32 v49, 1
	s_and_saveexec_b32 s22, s5
	s_cbranch_execz .LBB389_26
; %bb.21:                               ;   in Loop: Header=BB389_11 Depth=1
	v_and_b32_sdwa v0, v15, v30 dst_sel:DWORD dst_unused:UNUSED_PAD src0_sel:DWORD src1_sel:BYTE_1
	v_mov_b32_e32 v49, 0x7f800001
	s_mov_b32 s23, exec_lo
	v_and_b32_e32 v4, 0x7f, v0
	v_cmpx_ne_u32_e32 0x7f, v4
	s_cbranch_execz .LBB389_25
; %bb.22:                               ;   in Loop: Header=BB389_11 Depth=1
	v_and_b32_e32 v18, 7, v0
	v_lshrrev_b32_e32 v0, 3, v4
	s_mov_b32 s24, exec_lo
	v_cmpx_gt_u32_e32 8, v4
; %bb.23:                               ;   in Loop: Header=BB389_11 Depth=1
	v_ffbh_u32_e32 v0, v18
	v_min_u32_e32 v0, 32, v0
	v_subrev_nc_u32_e32 v4, 28, v0
	v_sub_nc_u32_e32 v0, 29, v0
	v_lshlrev_b64 v[4:5], v4, v[18:19]
	v_and_b32_e32 v18, 7, v4
; %bb.24:                               ;   in Loop: Header=BB389_11 Depth=1
	s_or_b32 exec_lo, exec_lo, s24
	v_lshlrev_b32_e32 v4, 16, v30
	v_lshlrev_b32_e32 v5, 20, v18
	v_lshl_add_u32 v0, v0, 23, 0x3c000000
	v_and_b32_e32 v4, 0x80000000, v4
	v_or3_b32 v49, v5, v4, v0
.LBB389_25:                             ;   in Loop: Header=BB389_11 Depth=1
	s_or_b32 exec_lo, exec_lo, s23
.LBB389_26:                             ;   in Loop: Header=BB389_11 Depth=1
	s_or_b32 exec_lo, exec_lo, s22
.LBB389_27:                             ;   in Loop: Header=BB389_11 Depth=1
	s_or_b32 exec_lo, exec_lo, s6
	v_and_b32_sdwa v0, v30, v23 dst_sel:DWORD dst_unused:UNUSED_PAD src0_sel:WORD_1 src1_sel:DWORD
	s_mov_b32 s6, exec_lo
	v_cmpx_ne_u16_e32 0, v0
	s_cbranch_execz .LBB389_35
; %bb.28:                               ;   in Loop: Header=BB389_11 Depth=1
	v_bfrev_b32_e32 v1, 1
	s_mov_b32 s22, exec_lo
	v_cmpx_ne_u16_e32 0x80, v0
	s_cbranch_execz .LBB389_34
; %bb.29:                               ;   in Loop: Header=BB389_11 Depth=1
	v_bfe_u32 v4, v30, 16, 7
	v_mov_b32_e32 v1, 0x7f800001
	s_mov_b32 s23, exec_lo
	v_cmpx_ne_u32_e32 0x7f, v4
	s_cbranch_execz .LBB389_33
; %bb.30:                               ;   in Loop: Header=BB389_11 Depth=1
	v_and_b32_sdwa v18, v30, v34 dst_sel:DWORD dst_unused:UNUSED_PAD src0_sel:WORD_1 src1_sel:DWORD
	v_lshrrev_b32_e32 v0, 3, v4
	s_mov_b32 s24, exec_lo
	v_cmpx_gt_u32_e32 8, v4
; %bb.31:                               ;   in Loop: Header=BB389_11 Depth=1
	v_ffbh_u32_e32 v0, v18
	v_min_u32_e32 v0, 32, v0
	v_subrev_nc_u32_e32 v1, 28, v0
	v_sub_nc_u32_e32 v0, 29, v0
	v_lshlrev_b64 v[4:5], v1, v[18:19]
	v_and_b32_e32 v18, 7, v4
; %bb.32:                               ;   in Loop: Header=BB389_11 Depth=1
	s_or_b32 exec_lo, exec_lo, s24
	v_lshlrev_b32_sdwa v1, v38, v30 dst_sel:DWORD dst_unused:UNUSED_PAD src0_sel:DWORD src1_sel:WORD_1
	v_lshlrev_b32_e32 v4, 20, v18
	v_lshl_add_u32 v0, v0, 23, 0x3c000000
	v_and_b32_e32 v1, 0x80000000, v1
	v_or3_b32 v1, v4, v1, v0
.LBB389_33:                             ;   in Loop: Header=BB389_11 Depth=1
	s_or_b32 exec_lo, exec_lo, s23
.LBB389_34:                             ;   in Loop: Header=BB389_11 Depth=1
	s_or_b32 exec_lo, exec_lo, s22
.LBB389_35:                             ;   in Loop: Header=BB389_11 Depth=1
	s_or_b32 exec_lo, exec_lo, s6
	v_mov_b32_e32 v50, 0
	v_mov_b32_e32 v0, 0
	s_mov_b32 s6, exec_lo
	v_cmpx_lt_u32_e32 0xffffff, v30
	s_cbranch_execz .LBB389_43
; %bb.36:                               ;   in Loop: Header=BB389_11 Depth=1
	v_cmp_ne_u32_sdwa s5, v30, v14 src0_sel:BYTE_3 src1_sel:DWORD
	v_bfrev_b32_e32 v0, 1
	s_and_saveexec_b32 s22, s5
	s_cbranch_execz .LBB389_42
; %bb.37:                               ;   in Loop: Header=BB389_11 Depth=1
	v_bfe_u32 v4, v30, 24, 7
	v_mov_b32_e32 v0, 0x7f800001
	s_mov_b32 s23, exec_lo
	v_cmpx_ne_u32_e32 0x7f, v4
	s_cbranch_execz .LBB389_41
; %bb.38:                               ;   in Loop: Header=BB389_11 Depth=1
	v_and_b32_sdwa v18, v30, v34 dst_sel:DWORD dst_unused:UNUSED_PAD src0_sel:BYTE_3 src1_sel:DWORD
	v_lshrrev_b32_e32 v0, 3, v4
	s_mov_b32 s24, exec_lo
	v_cmpx_gt_u32_e32 8, v4
; %bb.39:                               ;   in Loop: Header=BB389_11 Depth=1
	v_ffbh_u32_e32 v0, v18
	v_min_u32_e32 v0, 32, v0
	v_subrev_nc_u32_e32 v4, 28, v0
	v_sub_nc_u32_e32 v0, 29, v0
	v_lshlrev_b64 v[4:5], v4, v[18:19]
	v_and_b32_e32 v18, 7, v4
; %bb.40:                               ;   in Loop: Header=BB389_11 Depth=1
	s_or_b32 exec_lo, exec_lo, s24
	v_lshlrev_b32_sdwa v4, v38, v30 dst_sel:DWORD dst_unused:UNUSED_PAD src0_sel:DWORD src1_sel:BYTE_3
	v_lshlrev_b32_e32 v5, 20, v18
	v_lshl_add_u32 v0, v0, 23, 0x3c000000
	v_and_b32_e32 v4, 0x80000000, v4
	v_or3_b32 v0, v5, v4, v0
.LBB389_41:                             ;   in Loop: Header=BB389_11 Depth=1
	s_or_b32 exec_lo, exec_lo, s23
.LBB389_42:                             ;   in Loop: Header=BB389_11 Depth=1
	s_or_b32 exec_lo, exec_lo, s22
.LBB389_43:                             ;   in Loop: Header=BB389_11 Depth=1
	s_or_b32 exec_lo, exec_lo, s6
	v_mov_b32_e32 v18, v31
	v_cmp_ne_u16_sdwa s5, v31, v19 src0_sel:BYTE_0 src1_sel:DWORD
	s_and_saveexec_b32 s6, s5
	s_cbranch_execz .LBB389_51
; %bb.44:                               ;   in Loop: Header=BB389_11 Depth=1
	v_cmp_ne_u16_sdwa s5, v31, v14 src0_sel:BYTE_0 src1_sel:DWORD
	v_bfrev_b32_e32 v50, 1
	s_and_saveexec_b32 s22, s5
	s_cbranch_execz .LBB389_50
; %bb.45:                               ;   in Loop: Header=BB389_11 Depth=1
	v_and_b32_e32 v5, 0x7f, v31
	v_mov_b32_e32 v50, 0x7f800001
	s_mov_b32 s23, exec_lo
	v_cmpx_ne_u32_e32 0x7f, v5
	s_cbranch_execz .LBB389_49
; %bb.46:                               ;   in Loop: Header=BB389_11 Depth=1
	v_mov_b32_e32 v33, v19
	v_lshrrev_b32_e32 v4, 3, v5
	v_mov_b32_e32 v32, v18
	s_mov_b32 s24, exec_lo
	v_cmpx_gt_u32_e32 8, v5
; %bb.47:                               ;   in Loop: Header=BB389_11 Depth=1
	v_and_b32_e32 v4, 7, v31
	v_ffbh_u32_e32 v4, v4
	v_min_u32_e32 v4, 32, v4
	v_subrev_nc_u32_e32 v5, 28, v4
	v_sub_nc_u32_e32 v4, 29, v4
	v_lshlrev_b64 v[32:33], v5, v[18:19]
; %bb.48:                               ;   in Loop: Header=BB389_11 Depth=1
	s_or_b32 exec_lo, exec_lo, s24
	v_lshlrev_b32_e32 v5, 20, v32
	v_lshlrev_b32_e32 v32, 24, v18
	v_lshl_add_u32 v4, v4, 23, 0x3c000000
	v_and_b32_e32 v5, 0x700000, v5
	v_and_b32_e32 v32, 0x80000000, v32
	v_or3_b32 v50, v5, v32, v4
.LBB389_49:                             ;   in Loop: Header=BB389_11 Depth=1
	s_or_b32 exec_lo, exec_lo, s23
.LBB389_50:                             ;   in Loop: Header=BB389_11 Depth=1
	s_or_b32 exec_lo, exec_lo, s22
.LBB389_51:                             ;   in Loop: Header=BB389_11 Depth=1
	s_or_b32 exec_lo, exec_lo, s6
	v_cmp_ne_u16_sdwa s5, v18, v19 src0_sel:BYTE_1 src1_sel:DWORD
	v_mov_b32_e32 v51, 0
	v_mov_b32_e32 v52, 0
	s_and_saveexec_b32 s6, s5
	s_cbranch_execz .LBB389_59
; %bb.52:                               ;   in Loop: Header=BB389_11 Depth=1
	v_cmp_ne_u16_sdwa s5, v18, v14 src0_sel:BYTE_1 src1_sel:DWORD
	v_bfrev_b32_e32 v52, 1
	s_and_saveexec_b32 s22, s5
	s_cbranch_execz .LBB389_58
; %bb.53:                               ;   in Loop: Header=BB389_11 Depth=1
	v_and_b32_sdwa v4, v15, v18 dst_sel:DWORD dst_unused:UNUSED_PAD src0_sel:DWORD src1_sel:BYTE_1
	v_mov_b32_e32 v52, 0x7f800001
	s_mov_b32 s23, exec_lo
	v_and_b32_e32 v5, 0x7f, v4
	v_cmpx_ne_u32_e32 0x7f, v5
	s_cbranch_execz .LBB389_57
; %bb.54:                               ;   in Loop: Header=BB389_11 Depth=1
	v_and_b32_e32 v32, 7, v4
	v_mov_b32_e32 v33, v19
	v_lshrrev_b32_e32 v4, 3, v5
	s_mov_b32 s24, exec_lo
	v_cmpx_gt_u32_e32 8, v5
; %bb.55:                               ;   in Loop: Header=BB389_11 Depth=1
	v_ffbh_u32_e32 v4, v32
	v_min_u32_e32 v4, 32, v4
	v_subrev_nc_u32_e32 v5, 28, v4
	v_sub_nc_u32_e32 v4, 29, v4
	v_lshlrev_b64 v[32:33], v5, v[32:33]
	v_and_b32_e32 v32, 7, v32
; %bb.56:                               ;   in Loop: Header=BB389_11 Depth=1
	s_or_b32 exec_lo, exec_lo, s24
	v_lshlrev_b32_e32 v5, 16, v18
	v_lshlrev_b32_e32 v18, 20, v32
	v_lshl_add_u32 v4, v4, 23, 0x3c000000
	v_and_b32_e32 v5, 0x80000000, v5
	v_or3_b32 v52, v18, v5, v4
.LBB389_57:                             ;   in Loop: Header=BB389_11 Depth=1
	s_or_b32 exec_lo, exec_lo, s23
.LBB389_58:                             ;   in Loop: Header=BB389_11 Depth=1
	s_or_b32 exec_lo, exec_lo, s22
.LBB389_59:                             ;   in Loop: Header=BB389_11 Depth=1
	s_or_b32 exec_lo, exec_lo, s6
	v_and_b32_sdwa v4, v31, v23 dst_sel:DWORD dst_unused:UNUSED_PAD src0_sel:WORD_1 src1_sel:DWORD
	s_mov_b32 s6, exec_lo
	v_cmpx_ne_u16_e32 0, v4
	s_cbranch_execz .LBB389_67
; %bb.60:                               ;   in Loop: Header=BB389_11 Depth=1
	v_bfrev_b32_e32 v51, 1
	s_mov_b32 s22, exec_lo
	v_cmpx_ne_u16_e32 0x80, v4
	s_cbranch_execz .LBB389_66
; %bb.61:                               ;   in Loop: Header=BB389_11 Depth=1
	v_bfe_u32 v5, v31, 16, 7
	v_mov_b32_e32 v51, 0x7f800001
	s_mov_b32 s23, exec_lo
	v_cmpx_ne_u32_e32 0x7f, v5
	s_cbranch_execz .LBB389_65
; %bb.62:                               ;   in Loop: Header=BB389_11 Depth=1
	v_and_b32_sdwa v18, v31, v34 dst_sel:DWORD dst_unused:UNUSED_PAD src0_sel:WORD_1 src1_sel:DWORD
	v_lshrrev_b32_e32 v4, 3, v5
	s_mov_b32 s24, exec_lo
	v_cmpx_gt_u32_e32 8, v5
; %bb.63:                               ;   in Loop: Header=BB389_11 Depth=1
	v_ffbh_u32_e32 v4, v18
	v_min_u32_e32 v4, 32, v4
	v_subrev_nc_u32_e32 v5, 28, v4
	v_sub_nc_u32_e32 v4, 29, v4
	v_lshlrev_b64 v[32:33], v5, v[18:19]
	v_and_b32_e32 v18, 7, v32
; %bb.64:                               ;   in Loop: Header=BB389_11 Depth=1
	s_or_b32 exec_lo, exec_lo, s24
	v_lshlrev_b32_sdwa v5, v38, v31 dst_sel:DWORD dst_unused:UNUSED_PAD src0_sel:DWORD src1_sel:WORD_1
	v_lshlrev_b32_e32 v18, 20, v18
	v_lshl_add_u32 v4, v4, 23, 0x3c000000
	v_and_b32_e32 v5, 0x80000000, v5
	v_or3_b32 v51, v18, v5, v4
.LBB389_65:                             ;   in Loop: Header=BB389_11 Depth=1
	s_or_b32 exec_lo, exec_lo, s23
.LBB389_66:                             ;   in Loop: Header=BB389_11 Depth=1
	s_or_b32 exec_lo, exec_lo, s22
.LBB389_67:                             ;   in Loop: Header=BB389_11 Depth=1
	s_or_b32 exec_lo, exec_lo, s6
	v_mov_b32_e32 v55, 0
	v_mov_b32_e32 v53, 0
	s_mov_b32 s6, exec_lo
	v_cmpx_lt_u64_e64 s[8:9], v[30:31]
	s_cbranch_execz .LBB389_75
; %bb.68:                               ;   in Loop: Header=BB389_11 Depth=1
	v_cmp_ne_u32_sdwa s5, v31, v14 src0_sel:BYTE_3 src1_sel:DWORD
	v_bfrev_b32_e32 v53, 1
	s_and_saveexec_b32 s22, s5
	s_cbranch_execz .LBB389_74
; %bb.69:                               ;   in Loop: Header=BB389_11 Depth=1
	v_bfe_u32 v5, v31, 24, 7
	v_mov_b32_e32 v53, 0x7f800001
	s_mov_b32 s23, exec_lo
	v_cmpx_ne_u32_e32 0x7f, v5
	s_cbranch_execz .LBB389_73
; %bb.70:                               ;   in Loop: Header=BB389_11 Depth=1
	v_and_b32_sdwa v18, v31, v34 dst_sel:DWORD dst_unused:UNUSED_PAD src0_sel:BYTE_3 src1_sel:DWORD
	v_lshrrev_b32_e32 v4, 3, v5
	s_mov_b32 s24, exec_lo
	v_cmpx_gt_u32_e32 8, v5
; %bb.71:                               ;   in Loop: Header=BB389_11 Depth=1
	v_ffbh_u32_e32 v4, v18
	v_min_u32_e32 v4, 32, v4
	v_subrev_nc_u32_e32 v5, 28, v4
	v_sub_nc_u32_e32 v4, 29, v4
	v_lshlrev_b64 v[32:33], v5, v[18:19]
	v_and_b32_e32 v18, 7, v32
; %bb.72:                               ;   in Loop: Header=BB389_11 Depth=1
	s_or_b32 exec_lo, exec_lo, s24
	v_lshlrev_b32_sdwa v5, v38, v31 dst_sel:DWORD dst_unused:UNUSED_PAD src0_sel:DWORD src1_sel:BYTE_3
	v_lshlrev_b32_e32 v18, 20, v18
	v_lshl_add_u32 v4, v4, 23, 0x3c000000
	v_and_b32_e32 v5, 0x80000000, v5
	v_or3_b32 v53, v18, v5, v4
.LBB389_73:                             ;   in Loop: Header=BB389_11 Depth=1
	s_or_b32 exec_lo, exec_lo, s23
.LBB389_74:                             ;   in Loop: Header=BB389_11 Depth=1
	s_or_b32 exec_lo, exec_lo, s22
.LBB389_75:                             ;   in Loop: Header=BB389_11 Depth=1
	s_or_b32 exec_lo, exec_lo, s6
	flat_load_dwordx2 v[30:31], v[28:29] offset:8
	s_waitcnt vmcnt(0) lgkmcnt(0)
	v_cmp_ne_u16_sdwa s5, v30, v19 src0_sel:BYTE_0 src1_sel:DWORD
	s_and_saveexec_b32 s6, s5
	s_cbranch_execz .LBB389_83
; %bb.76:                               ;   in Loop: Header=BB389_11 Depth=1
	v_cmp_ne_u16_sdwa s5, v30, v14 src0_sel:BYTE_0 src1_sel:DWORD
	v_bfrev_b32_e32 v55, 1
	s_and_saveexec_b32 s22, s5
	s_cbranch_execz .LBB389_82
; %bb.77:                               ;   in Loop: Header=BB389_11 Depth=1
	v_and_b32_e32 v5, 0x7f, v30
	v_mov_b32_e32 v55, 0x7f800001
	s_mov_b32 s23, exec_lo
	v_cmpx_ne_u32_e32 0x7f, v5
	s_cbranch_execz .LBB389_81
; %bb.78:                               ;   in Loop: Header=BB389_11 Depth=1
	v_mov_b32_e32 v33, v31
	v_lshrrev_b32_e32 v4, 3, v5
	v_mov_b32_e32 v32, v30
	s_mov_b32 s24, exec_lo
	v_cmpx_gt_u32_e32 8, v5
; %bb.79:                               ;   in Loop: Header=BB389_11 Depth=1
	v_and_b32_e32 v4, 7, v30
	v_ffbh_u32_e32 v4, v4
	v_min_u32_e32 v4, 32, v4
	v_subrev_nc_u32_e32 v5, 28, v4
	v_sub_nc_u32_e32 v4, 29, v4
	v_lshlrev_b64 v[32:33], v5, v[30:31]
; %bb.80:                               ;   in Loop: Header=BB389_11 Depth=1
	s_or_b32 exec_lo, exec_lo, s24
	v_lshlrev_b32_e32 v5, 20, v32
	v_lshlrev_b32_e32 v18, 24, v30
	v_lshl_add_u32 v4, v4, 23, 0x3c000000
	v_and_b32_e32 v5, 0x700000, v5
	v_and_b32_e32 v18, 0x80000000, v18
	v_or3_b32 v55, v5, v18, v4
.LBB389_81:                             ;   in Loop: Header=BB389_11 Depth=1
	s_or_b32 exec_lo, exec_lo, s23
.LBB389_82:                             ;   in Loop: Header=BB389_11 Depth=1
	s_or_b32 exec_lo, exec_lo, s22
.LBB389_83:                             ;   in Loop: Header=BB389_11 Depth=1
	s_or_b32 exec_lo, exec_lo, s6
	v_cmp_ne_u16_sdwa s5, v30, v19 src0_sel:BYTE_1 src1_sel:DWORD
	v_mov_b32_e32 v65, 0
	v_mov_b32_e32 v64, 0
	s_and_saveexec_b32 s6, s5
	s_cbranch_execz .LBB389_91
; %bb.84:                               ;   in Loop: Header=BB389_11 Depth=1
	v_cmp_ne_u16_sdwa s5, v30, v14 src0_sel:BYTE_1 src1_sel:DWORD
	v_bfrev_b32_e32 v64, 1
	s_and_saveexec_b32 s22, s5
	s_cbranch_execz .LBB389_90
; %bb.85:                               ;   in Loop: Header=BB389_11 Depth=1
	v_and_b32_sdwa v4, v15, v30 dst_sel:DWORD dst_unused:UNUSED_PAD src0_sel:DWORD src1_sel:BYTE_1
	v_mov_b32_e32 v64, 0x7f800001
	s_mov_b32 s23, exec_lo
	v_and_b32_e32 v5, 0x7f, v4
	v_cmpx_ne_u32_e32 0x7f, v5
	s_cbranch_execz .LBB389_89
; %bb.86:                               ;   in Loop: Header=BB389_11 Depth=1
	v_and_b32_e32 v18, 7, v4
	v_lshrrev_b32_e32 v4, 3, v5
	s_mov_b32 s24, exec_lo
	v_cmpx_gt_u32_e32 8, v5
; %bb.87:                               ;   in Loop: Header=BB389_11 Depth=1
	v_ffbh_u32_e32 v4, v18
	v_min_u32_e32 v4, 32, v4
	v_subrev_nc_u32_e32 v5, 28, v4
	v_sub_nc_u32_e32 v4, 29, v4
	v_lshlrev_b64 v[32:33], v5, v[18:19]
	v_and_b32_e32 v18, 7, v32
; %bb.88:                               ;   in Loop: Header=BB389_11 Depth=1
	s_or_b32 exec_lo, exec_lo, s24
	v_lshlrev_b32_e32 v5, 16, v30
	v_lshlrev_b32_e32 v18, 20, v18
	v_lshl_add_u32 v4, v4, 23, 0x3c000000
	v_and_b32_e32 v5, 0x80000000, v5
	v_or3_b32 v64, v18, v5, v4
.LBB389_89:                             ;   in Loop: Header=BB389_11 Depth=1
	s_or_b32 exec_lo, exec_lo, s23
.LBB389_90:                             ;   in Loop: Header=BB389_11 Depth=1
	s_or_b32 exec_lo, exec_lo, s22
.LBB389_91:                             ;   in Loop: Header=BB389_11 Depth=1
	s_or_b32 exec_lo, exec_lo, s6
	v_and_b32_sdwa v4, v30, v23 dst_sel:DWORD dst_unused:UNUSED_PAD src0_sel:WORD_1 src1_sel:DWORD
	s_mov_b32 s6, exec_lo
	v_cmpx_ne_u16_e32 0, v4
	s_cbranch_execz .LBB389_99
; %bb.92:                               ;   in Loop: Header=BB389_11 Depth=1
	v_bfrev_b32_e32 v65, 1
	s_mov_b32 s22, exec_lo
	v_cmpx_ne_u16_e32 0x80, v4
	s_cbranch_execz .LBB389_98
; %bb.93:                               ;   in Loop: Header=BB389_11 Depth=1
	v_bfe_u32 v5, v30, 16, 7
	v_mov_b32_e32 v65, 0x7f800001
	s_mov_b32 s23, exec_lo
	v_cmpx_ne_u32_e32 0x7f, v5
	s_cbranch_execz .LBB389_97
; %bb.94:                               ;   in Loop: Header=BB389_11 Depth=1
	v_and_b32_sdwa v18, v30, v34 dst_sel:DWORD dst_unused:UNUSED_PAD src0_sel:WORD_1 src1_sel:DWORD
	v_lshrrev_b32_e32 v4, 3, v5
	s_mov_b32 s24, exec_lo
	v_cmpx_gt_u32_e32 8, v5
; %bb.95:                               ;   in Loop: Header=BB389_11 Depth=1
	v_ffbh_u32_e32 v4, v18
	v_min_u32_e32 v4, 32, v4
	v_subrev_nc_u32_e32 v5, 28, v4
	v_sub_nc_u32_e32 v4, 29, v4
	v_lshlrev_b64 v[32:33], v5, v[18:19]
	v_and_b32_e32 v18, 7, v32
; %bb.96:                               ;   in Loop: Header=BB389_11 Depth=1
	s_or_b32 exec_lo, exec_lo, s24
	v_lshlrev_b32_sdwa v5, v38, v30 dst_sel:DWORD dst_unused:UNUSED_PAD src0_sel:DWORD src1_sel:WORD_1
	v_lshlrev_b32_e32 v18, 20, v18
	v_lshl_add_u32 v4, v4, 23, 0x3c000000
	v_and_b32_e32 v5, 0x80000000, v5
	v_or3_b32 v65, v18, v5, v4
.LBB389_97:                             ;   in Loop: Header=BB389_11 Depth=1
	s_or_b32 exec_lo, exec_lo, s23
.LBB389_98:                             ;   in Loop: Header=BB389_11 Depth=1
	s_or_b32 exec_lo, exec_lo, s22
.LBB389_99:                             ;   in Loop: Header=BB389_11 Depth=1
	s_or_b32 exec_lo, exec_lo, s6
	v_mov_b32_e32 v67, 0
	v_mov_b32_e32 v66, 0
	s_mov_b32 s6, exec_lo
	v_cmpx_lt_u32_e32 0xffffff, v30
	s_cbranch_execz .LBB389_107
; %bb.100:                              ;   in Loop: Header=BB389_11 Depth=1
	v_cmp_ne_u32_sdwa s5, v30, v14 src0_sel:BYTE_3 src1_sel:DWORD
	v_bfrev_b32_e32 v66, 1
	s_and_saveexec_b32 s22, s5
	s_cbranch_execz .LBB389_106
; %bb.101:                              ;   in Loop: Header=BB389_11 Depth=1
	v_bfe_u32 v5, v30, 24, 7
	v_mov_b32_e32 v66, 0x7f800001
	s_mov_b32 s23, exec_lo
	v_cmpx_ne_u32_e32 0x7f, v5
	s_cbranch_execz .LBB389_105
; %bb.102:                              ;   in Loop: Header=BB389_11 Depth=1
	v_and_b32_sdwa v18, v30, v34 dst_sel:DWORD dst_unused:UNUSED_PAD src0_sel:BYTE_3 src1_sel:DWORD
	v_lshrrev_b32_e32 v4, 3, v5
	s_mov_b32 s24, exec_lo
	v_cmpx_gt_u32_e32 8, v5
; %bb.103:                              ;   in Loop: Header=BB389_11 Depth=1
	v_ffbh_u32_e32 v4, v18
	v_min_u32_e32 v4, 32, v4
	v_subrev_nc_u32_e32 v5, 28, v4
	v_sub_nc_u32_e32 v4, 29, v4
	v_lshlrev_b64 v[32:33], v5, v[18:19]
	v_and_b32_e32 v18, 7, v32
; %bb.104:                              ;   in Loop: Header=BB389_11 Depth=1
	s_or_b32 exec_lo, exec_lo, s24
	v_lshlrev_b32_sdwa v5, v38, v30 dst_sel:DWORD dst_unused:UNUSED_PAD src0_sel:DWORD src1_sel:BYTE_3
	v_lshlrev_b32_e32 v18, 20, v18
	v_lshl_add_u32 v4, v4, 23, 0x3c000000
	v_and_b32_e32 v5, 0x80000000, v5
	v_or3_b32 v66, v18, v5, v4
.LBB389_105:                            ;   in Loop: Header=BB389_11 Depth=1
	s_or_b32 exec_lo, exec_lo, s23
.LBB389_106:                            ;   in Loop: Header=BB389_11 Depth=1
	s_or_b32 exec_lo, exec_lo, s22
.LBB389_107:                            ;   in Loop: Header=BB389_11 Depth=1
	s_or_b32 exec_lo, exec_lo, s6
	v_mov_b32_e32 v18, v31
	v_cmp_ne_u16_sdwa s5, v31, v19 src0_sel:BYTE_0 src1_sel:DWORD
	s_and_saveexec_b32 s6, s5
	s_cbranch_execz .LBB389_115
; %bb.108:                              ;   in Loop: Header=BB389_11 Depth=1
	v_cmp_ne_u16_sdwa s5, v31, v14 src0_sel:BYTE_0 src1_sel:DWORD
	v_bfrev_b32_e32 v67, 1
	s_and_saveexec_b32 s22, s5
	s_cbranch_execz .LBB389_114
; %bb.109:                              ;   in Loop: Header=BB389_11 Depth=1
	v_and_b32_e32 v5, 0x7f, v31
	v_mov_b32_e32 v67, 0x7f800001
	s_mov_b32 s23, exec_lo
	v_cmpx_ne_u32_e32 0x7f, v5
	s_cbranch_execz .LBB389_113
; %bb.110:                              ;   in Loop: Header=BB389_11 Depth=1
	v_mov_b32_e32 v33, v19
	v_lshrrev_b32_e32 v4, 3, v5
	v_mov_b32_e32 v32, v18
	s_mov_b32 s24, exec_lo
	v_cmpx_gt_u32_e32 8, v5
; %bb.111:                              ;   in Loop: Header=BB389_11 Depth=1
	v_and_b32_e32 v4, 7, v31
	v_ffbh_u32_e32 v4, v4
	v_min_u32_e32 v4, 32, v4
	v_subrev_nc_u32_e32 v5, 28, v4
	v_sub_nc_u32_e32 v4, 29, v4
	v_lshlrev_b64 v[32:33], v5, v[18:19]
; %bb.112:                              ;   in Loop: Header=BB389_11 Depth=1
	s_or_b32 exec_lo, exec_lo, s24
	v_lshlrev_b32_e32 v5, 20, v32
	v_lshlrev_b32_e32 v32, 24, v18
	v_lshl_add_u32 v4, v4, 23, 0x3c000000
	v_and_b32_e32 v5, 0x700000, v5
	v_and_b32_e32 v32, 0x80000000, v32
	v_or3_b32 v67, v5, v32, v4
.LBB389_113:                            ;   in Loop: Header=BB389_11 Depth=1
	s_or_b32 exec_lo, exec_lo, s23
.LBB389_114:                            ;   in Loop: Header=BB389_11 Depth=1
	s_or_b32 exec_lo, exec_lo, s22
.LBB389_115:                            ;   in Loop: Header=BB389_11 Depth=1
	s_or_b32 exec_lo, exec_lo, s6
	v_cmp_ne_u16_sdwa s5, v18, v19 src0_sel:BYTE_1 src1_sel:DWORD
	v_mov_b32_e32 v68, 0
	v_mov_b32_e32 v69, 0
	s_and_saveexec_b32 s6, s5
	s_cbranch_execz .LBB389_123
; %bb.116:                              ;   in Loop: Header=BB389_11 Depth=1
	v_cmp_ne_u16_sdwa s5, v18, v14 src0_sel:BYTE_1 src1_sel:DWORD
	v_bfrev_b32_e32 v69, 1
	s_and_saveexec_b32 s22, s5
	s_cbranch_execz .LBB389_122
; %bb.117:                              ;   in Loop: Header=BB389_11 Depth=1
	v_and_b32_sdwa v4, v15, v18 dst_sel:DWORD dst_unused:UNUSED_PAD src0_sel:DWORD src1_sel:BYTE_1
	v_mov_b32_e32 v69, 0x7f800001
	s_mov_b32 s23, exec_lo
	v_and_b32_e32 v5, 0x7f, v4
	v_cmpx_ne_u32_e32 0x7f, v5
	s_cbranch_execz .LBB389_121
; %bb.118:                              ;   in Loop: Header=BB389_11 Depth=1
	v_and_b32_e32 v32, 7, v4
	v_mov_b32_e32 v33, v19
	v_lshrrev_b32_e32 v4, 3, v5
	s_mov_b32 s24, exec_lo
	v_cmpx_gt_u32_e32 8, v5
; %bb.119:                              ;   in Loop: Header=BB389_11 Depth=1
	v_ffbh_u32_e32 v4, v32
	v_min_u32_e32 v4, 32, v4
	v_subrev_nc_u32_e32 v5, 28, v4
	v_sub_nc_u32_e32 v4, 29, v4
	v_lshlrev_b64 v[32:33], v5, v[32:33]
	v_and_b32_e32 v32, 7, v32
; %bb.120:                              ;   in Loop: Header=BB389_11 Depth=1
	s_or_b32 exec_lo, exec_lo, s24
	v_lshlrev_b32_e32 v5, 16, v18
	v_lshlrev_b32_e32 v18, 20, v32
	v_lshl_add_u32 v4, v4, 23, 0x3c000000
	v_and_b32_e32 v5, 0x80000000, v5
	v_or3_b32 v69, v18, v5, v4
.LBB389_121:                            ;   in Loop: Header=BB389_11 Depth=1
	s_or_b32 exec_lo, exec_lo, s23
.LBB389_122:                            ;   in Loop: Header=BB389_11 Depth=1
	s_or_b32 exec_lo, exec_lo, s22
.LBB389_123:                            ;   in Loop: Header=BB389_11 Depth=1
	s_or_b32 exec_lo, exec_lo, s6
	v_and_b32_sdwa v4, v31, v23 dst_sel:DWORD dst_unused:UNUSED_PAD src0_sel:WORD_1 src1_sel:DWORD
	s_mov_b32 s6, exec_lo
	v_cmpx_ne_u16_e32 0, v4
	s_cbranch_execz .LBB389_131
; %bb.124:                              ;   in Loop: Header=BB389_11 Depth=1
	v_bfrev_b32_e32 v68, 1
	s_mov_b32 s22, exec_lo
	v_cmpx_ne_u16_e32 0x80, v4
	s_cbranch_execz .LBB389_130
; %bb.125:                              ;   in Loop: Header=BB389_11 Depth=1
	v_bfe_u32 v5, v31, 16, 7
	v_mov_b32_e32 v68, 0x7f800001
	s_mov_b32 s23, exec_lo
	v_cmpx_ne_u32_e32 0x7f, v5
	s_cbranch_execz .LBB389_129
; %bb.126:                              ;   in Loop: Header=BB389_11 Depth=1
	v_and_b32_sdwa v18, v31, v34 dst_sel:DWORD dst_unused:UNUSED_PAD src0_sel:WORD_1 src1_sel:DWORD
	v_lshrrev_b32_e32 v4, 3, v5
	s_mov_b32 s24, exec_lo
	v_cmpx_gt_u32_e32 8, v5
; %bb.127:                              ;   in Loop: Header=BB389_11 Depth=1
	v_ffbh_u32_e32 v4, v18
	v_min_u32_e32 v4, 32, v4
	v_subrev_nc_u32_e32 v5, 28, v4
	v_sub_nc_u32_e32 v4, 29, v4
	v_lshlrev_b64 v[32:33], v5, v[18:19]
	v_and_b32_e32 v18, 7, v32
; %bb.128:                              ;   in Loop: Header=BB389_11 Depth=1
	s_or_b32 exec_lo, exec_lo, s24
	v_lshlrev_b32_sdwa v5, v38, v31 dst_sel:DWORD dst_unused:UNUSED_PAD src0_sel:DWORD src1_sel:WORD_1
	v_lshlrev_b32_e32 v18, 20, v18
	v_lshl_add_u32 v4, v4, 23, 0x3c000000
	v_and_b32_e32 v5, 0x80000000, v5
	v_or3_b32 v68, v18, v5, v4
.LBB389_129:                            ;   in Loop: Header=BB389_11 Depth=1
	s_or_b32 exec_lo, exec_lo, s23
.LBB389_130:                            ;   in Loop: Header=BB389_11 Depth=1
	s_or_b32 exec_lo, exec_lo, s22
.LBB389_131:                            ;   in Loop: Header=BB389_11 Depth=1
	s_or_b32 exec_lo, exec_lo, s6
	v_mov_b32_e32 v71, 0
	v_mov_b32_e32 v70, 0
	s_mov_b32 s6, exec_lo
	v_cmpx_lt_u64_e64 s[8:9], v[30:31]
	s_cbranch_execz .LBB389_139
; %bb.132:                              ;   in Loop: Header=BB389_11 Depth=1
	v_cmp_ne_u32_sdwa s5, v31, v14 src0_sel:BYTE_3 src1_sel:DWORD
	v_bfrev_b32_e32 v70, 1
	s_and_saveexec_b32 s22, s5
	s_cbranch_execz .LBB389_138
; %bb.133:                              ;   in Loop: Header=BB389_11 Depth=1
	v_bfe_u32 v5, v31, 24, 7
	v_mov_b32_e32 v70, 0x7f800001
	s_mov_b32 s23, exec_lo
	v_cmpx_ne_u32_e32 0x7f, v5
	s_cbranch_execz .LBB389_137
; %bb.134:                              ;   in Loop: Header=BB389_11 Depth=1
	v_and_b32_sdwa v18, v31, v34 dst_sel:DWORD dst_unused:UNUSED_PAD src0_sel:BYTE_3 src1_sel:DWORD
	v_lshrrev_b32_e32 v4, 3, v5
	s_mov_b32 s24, exec_lo
	v_cmpx_gt_u32_e32 8, v5
; %bb.135:                              ;   in Loop: Header=BB389_11 Depth=1
	v_ffbh_u32_e32 v4, v18
	v_min_u32_e32 v4, 32, v4
	v_subrev_nc_u32_e32 v5, 28, v4
	v_sub_nc_u32_e32 v4, 29, v4
	v_lshlrev_b64 v[32:33], v5, v[18:19]
	v_and_b32_e32 v18, 7, v32
; %bb.136:                              ;   in Loop: Header=BB389_11 Depth=1
	s_or_b32 exec_lo, exec_lo, s24
	v_lshlrev_b32_sdwa v5, v38, v31 dst_sel:DWORD dst_unused:UNUSED_PAD src0_sel:DWORD src1_sel:BYTE_3
	v_lshlrev_b32_e32 v18, 20, v18
	v_lshl_add_u32 v4, v4, 23, 0x3c000000
	v_and_b32_e32 v5, 0x80000000, v5
	v_or3_b32 v70, v18, v5, v4
.LBB389_137:                            ;   in Loop: Header=BB389_11 Depth=1
	s_or_b32 exec_lo, exec_lo, s23
.LBB389_138:                            ;   in Loop: Header=BB389_11 Depth=1
	s_or_b32 exec_lo, exec_lo, s22
.LBB389_139:                            ;   in Loop: Header=BB389_11 Depth=1
	s_or_b32 exec_lo, exec_lo, s6
	flat_load_dwordx2 v[30:31], v[28:29] offset:512
	s_waitcnt vmcnt(0) lgkmcnt(0)
	v_cmp_ne_u16_sdwa s5, v30, v19 src0_sel:BYTE_0 src1_sel:DWORD
	s_and_saveexec_b32 s6, s5
	s_cbranch_execz .LBB389_147
; %bb.140:                              ;   in Loop: Header=BB389_11 Depth=1
	v_cmp_ne_u16_sdwa s5, v30, v14 src0_sel:BYTE_0 src1_sel:DWORD
	v_bfrev_b32_e32 v71, 1
	s_and_saveexec_b32 s22, s5
	s_cbranch_execz .LBB389_146
; %bb.141:                              ;   in Loop: Header=BB389_11 Depth=1
	v_and_b32_e32 v5, 0x7f, v30
	v_mov_b32_e32 v71, 0x7f800001
	s_mov_b32 s23, exec_lo
	v_cmpx_ne_u32_e32 0x7f, v5
	s_cbranch_execz .LBB389_145
; %bb.142:                              ;   in Loop: Header=BB389_11 Depth=1
	v_mov_b32_e32 v33, v31
	v_lshrrev_b32_e32 v4, 3, v5
	v_mov_b32_e32 v32, v30
	s_mov_b32 s24, exec_lo
	v_cmpx_gt_u32_e32 8, v5
; %bb.143:                              ;   in Loop: Header=BB389_11 Depth=1
	v_and_b32_e32 v4, 7, v30
	v_ffbh_u32_e32 v4, v4
	v_min_u32_e32 v4, 32, v4
	v_subrev_nc_u32_e32 v5, 28, v4
	v_sub_nc_u32_e32 v4, 29, v4
	v_lshlrev_b64 v[32:33], v5, v[30:31]
; %bb.144:                              ;   in Loop: Header=BB389_11 Depth=1
	s_or_b32 exec_lo, exec_lo, s24
	v_lshlrev_b32_e32 v5, 20, v32
	v_lshlrev_b32_e32 v18, 24, v30
	v_lshl_add_u32 v4, v4, 23, 0x3c000000
	v_and_b32_e32 v5, 0x700000, v5
	v_and_b32_e32 v18, 0x80000000, v18
	v_or3_b32 v71, v5, v18, v4
.LBB389_145:                            ;   in Loop: Header=BB389_11 Depth=1
	s_or_b32 exec_lo, exec_lo, s23
.LBB389_146:                            ;   in Loop: Header=BB389_11 Depth=1
	s_or_b32 exec_lo, exec_lo, s22
.LBB389_147:                            ;   in Loop: Header=BB389_11 Depth=1
	s_or_b32 exec_lo, exec_lo, s6
	v_cmp_ne_u16_sdwa s5, v30, v19 src0_sel:BYTE_1 src1_sel:DWORD
	v_mov_b32_e32 v81, 0
	v_mov_b32_e32 v80, 0
	s_and_saveexec_b32 s6, s5
	s_cbranch_execz .LBB389_155
; %bb.148:                              ;   in Loop: Header=BB389_11 Depth=1
	v_cmp_ne_u16_sdwa s5, v30, v14 src0_sel:BYTE_1 src1_sel:DWORD
	v_bfrev_b32_e32 v80, 1
	s_and_saveexec_b32 s22, s5
	s_cbranch_execz .LBB389_154
; %bb.149:                              ;   in Loop: Header=BB389_11 Depth=1
	v_and_b32_sdwa v4, v15, v30 dst_sel:DWORD dst_unused:UNUSED_PAD src0_sel:DWORD src1_sel:BYTE_1
	v_mov_b32_e32 v80, 0x7f800001
	s_mov_b32 s23, exec_lo
	v_and_b32_e32 v5, 0x7f, v4
	v_cmpx_ne_u32_e32 0x7f, v5
	s_cbranch_execz .LBB389_153
; %bb.150:                              ;   in Loop: Header=BB389_11 Depth=1
	v_and_b32_e32 v18, 7, v4
	v_lshrrev_b32_e32 v4, 3, v5
	s_mov_b32 s24, exec_lo
	v_cmpx_gt_u32_e32 8, v5
; %bb.151:                              ;   in Loop: Header=BB389_11 Depth=1
	v_ffbh_u32_e32 v4, v18
	v_min_u32_e32 v4, 32, v4
	v_subrev_nc_u32_e32 v5, 28, v4
	v_sub_nc_u32_e32 v4, 29, v4
	v_lshlrev_b64 v[32:33], v5, v[18:19]
	v_and_b32_e32 v18, 7, v32
; %bb.152:                              ;   in Loop: Header=BB389_11 Depth=1
	s_or_b32 exec_lo, exec_lo, s24
	v_lshlrev_b32_e32 v5, 16, v30
	v_lshlrev_b32_e32 v18, 20, v18
	v_lshl_add_u32 v4, v4, 23, 0x3c000000
	v_and_b32_e32 v5, 0x80000000, v5
	v_or3_b32 v80, v18, v5, v4
.LBB389_153:                            ;   in Loop: Header=BB389_11 Depth=1
	s_or_b32 exec_lo, exec_lo, s23
.LBB389_154:                            ;   in Loop: Header=BB389_11 Depth=1
	s_or_b32 exec_lo, exec_lo, s22
.LBB389_155:                            ;   in Loop: Header=BB389_11 Depth=1
	s_or_b32 exec_lo, exec_lo, s6
	v_and_b32_sdwa v4, v30, v23 dst_sel:DWORD dst_unused:UNUSED_PAD src0_sel:WORD_1 src1_sel:DWORD
	s_mov_b32 s6, exec_lo
	v_cmpx_ne_u16_e32 0, v4
	s_cbranch_execz .LBB389_163
; %bb.156:                              ;   in Loop: Header=BB389_11 Depth=1
	v_bfrev_b32_e32 v81, 1
	s_mov_b32 s22, exec_lo
	v_cmpx_ne_u16_e32 0x80, v4
	s_cbranch_execz .LBB389_162
; %bb.157:                              ;   in Loop: Header=BB389_11 Depth=1
	v_bfe_u32 v5, v30, 16, 7
	v_mov_b32_e32 v81, 0x7f800001
	s_mov_b32 s23, exec_lo
	v_cmpx_ne_u32_e32 0x7f, v5
	s_cbranch_execz .LBB389_161
; %bb.158:                              ;   in Loop: Header=BB389_11 Depth=1
	v_and_b32_sdwa v18, v30, v34 dst_sel:DWORD dst_unused:UNUSED_PAD src0_sel:WORD_1 src1_sel:DWORD
	v_lshrrev_b32_e32 v4, 3, v5
	s_mov_b32 s24, exec_lo
	v_cmpx_gt_u32_e32 8, v5
; %bb.159:                              ;   in Loop: Header=BB389_11 Depth=1
	v_ffbh_u32_e32 v4, v18
	v_min_u32_e32 v4, 32, v4
	v_subrev_nc_u32_e32 v5, 28, v4
	v_sub_nc_u32_e32 v4, 29, v4
	v_lshlrev_b64 v[32:33], v5, v[18:19]
	v_and_b32_e32 v18, 7, v32
; %bb.160:                              ;   in Loop: Header=BB389_11 Depth=1
	s_or_b32 exec_lo, exec_lo, s24
	v_lshlrev_b32_sdwa v5, v38, v30 dst_sel:DWORD dst_unused:UNUSED_PAD src0_sel:DWORD src1_sel:WORD_1
	v_lshlrev_b32_e32 v18, 20, v18
	v_lshl_add_u32 v4, v4, 23, 0x3c000000
	v_and_b32_e32 v5, 0x80000000, v5
	v_or3_b32 v81, v18, v5, v4
.LBB389_161:                            ;   in Loop: Header=BB389_11 Depth=1
	s_or_b32 exec_lo, exec_lo, s23
.LBB389_162:                            ;   in Loop: Header=BB389_11 Depth=1
	s_or_b32 exec_lo, exec_lo, s22
.LBB389_163:                            ;   in Loop: Header=BB389_11 Depth=1
	s_or_b32 exec_lo, exec_lo, s6
	v_mov_b32_e32 v83, 0
	v_mov_b32_e32 v82, 0
	s_mov_b32 s6, exec_lo
	v_cmpx_lt_u32_e32 0xffffff, v30
	s_cbranch_execz .LBB389_171
; %bb.164:                              ;   in Loop: Header=BB389_11 Depth=1
	v_cmp_ne_u32_sdwa s5, v30, v14 src0_sel:BYTE_3 src1_sel:DWORD
	v_bfrev_b32_e32 v82, 1
	s_and_saveexec_b32 s22, s5
	s_cbranch_execz .LBB389_170
; %bb.165:                              ;   in Loop: Header=BB389_11 Depth=1
	v_bfe_u32 v5, v30, 24, 7
	v_mov_b32_e32 v82, 0x7f800001
	s_mov_b32 s23, exec_lo
	v_cmpx_ne_u32_e32 0x7f, v5
	s_cbranch_execz .LBB389_169
; %bb.166:                              ;   in Loop: Header=BB389_11 Depth=1
	v_and_b32_sdwa v18, v30, v34 dst_sel:DWORD dst_unused:UNUSED_PAD src0_sel:BYTE_3 src1_sel:DWORD
	v_lshrrev_b32_e32 v4, 3, v5
	s_mov_b32 s24, exec_lo
	v_cmpx_gt_u32_e32 8, v5
; %bb.167:                              ;   in Loop: Header=BB389_11 Depth=1
	v_ffbh_u32_e32 v4, v18
	v_min_u32_e32 v4, 32, v4
	v_subrev_nc_u32_e32 v5, 28, v4
	v_sub_nc_u32_e32 v4, 29, v4
	v_lshlrev_b64 v[32:33], v5, v[18:19]
	v_and_b32_e32 v18, 7, v32
; %bb.168:                              ;   in Loop: Header=BB389_11 Depth=1
	s_or_b32 exec_lo, exec_lo, s24
	v_lshlrev_b32_sdwa v5, v38, v30 dst_sel:DWORD dst_unused:UNUSED_PAD src0_sel:DWORD src1_sel:BYTE_3
	v_lshlrev_b32_e32 v18, 20, v18
	v_lshl_add_u32 v4, v4, 23, 0x3c000000
	v_and_b32_e32 v5, 0x80000000, v5
	v_or3_b32 v82, v18, v5, v4
.LBB389_169:                            ;   in Loop: Header=BB389_11 Depth=1
	s_or_b32 exec_lo, exec_lo, s23
.LBB389_170:                            ;   in Loop: Header=BB389_11 Depth=1
	s_or_b32 exec_lo, exec_lo, s22
.LBB389_171:                            ;   in Loop: Header=BB389_11 Depth=1
	s_or_b32 exec_lo, exec_lo, s6
	v_mov_b32_e32 v18, v31
	v_cmp_ne_u16_sdwa s5, v31, v19 src0_sel:BYTE_0 src1_sel:DWORD
	s_and_saveexec_b32 s6, s5
	s_cbranch_execz .LBB389_179
; %bb.172:                              ;   in Loop: Header=BB389_11 Depth=1
	v_cmp_ne_u16_sdwa s5, v31, v14 src0_sel:BYTE_0 src1_sel:DWORD
	v_bfrev_b32_e32 v83, 1
	s_and_saveexec_b32 s22, s5
	s_cbranch_execz .LBB389_178
; %bb.173:                              ;   in Loop: Header=BB389_11 Depth=1
	v_and_b32_e32 v5, 0x7f, v31
	v_mov_b32_e32 v83, 0x7f800001
	s_mov_b32 s23, exec_lo
	v_cmpx_ne_u32_e32 0x7f, v5
	s_cbranch_execz .LBB389_177
; %bb.174:                              ;   in Loop: Header=BB389_11 Depth=1
	v_mov_b32_e32 v33, v19
	v_lshrrev_b32_e32 v4, 3, v5
	v_mov_b32_e32 v32, v18
	s_mov_b32 s24, exec_lo
	v_cmpx_gt_u32_e32 8, v5
; %bb.175:                              ;   in Loop: Header=BB389_11 Depth=1
	v_and_b32_e32 v4, 7, v31
	v_ffbh_u32_e32 v4, v4
	v_min_u32_e32 v4, 32, v4
	v_subrev_nc_u32_e32 v5, 28, v4
	v_sub_nc_u32_e32 v4, 29, v4
	v_lshlrev_b64 v[32:33], v5, v[18:19]
; %bb.176:                              ;   in Loop: Header=BB389_11 Depth=1
	s_or_b32 exec_lo, exec_lo, s24
	v_lshlrev_b32_e32 v5, 20, v32
	v_lshlrev_b32_e32 v32, 24, v18
	v_lshl_add_u32 v4, v4, 23, 0x3c000000
	v_and_b32_e32 v5, 0x700000, v5
	v_and_b32_e32 v32, 0x80000000, v32
	v_or3_b32 v83, v5, v32, v4
.LBB389_177:                            ;   in Loop: Header=BB389_11 Depth=1
	s_or_b32 exec_lo, exec_lo, s23
.LBB389_178:                            ;   in Loop: Header=BB389_11 Depth=1
	s_or_b32 exec_lo, exec_lo, s22
.LBB389_179:                            ;   in Loop: Header=BB389_11 Depth=1
	s_or_b32 exec_lo, exec_lo, s6
	v_cmp_ne_u16_sdwa s5, v18, v19 src0_sel:BYTE_1 src1_sel:DWORD
	v_mov_b32_e32 v84, 0
	v_mov_b32_e32 v85, 0
	s_and_saveexec_b32 s6, s5
	s_cbranch_execz .LBB389_187
; %bb.180:                              ;   in Loop: Header=BB389_11 Depth=1
	v_cmp_ne_u16_sdwa s5, v18, v14 src0_sel:BYTE_1 src1_sel:DWORD
	v_bfrev_b32_e32 v85, 1
	s_and_saveexec_b32 s22, s5
	s_cbranch_execz .LBB389_186
; %bb.181:                              ;   in Loop: Header=BB389_11 Depth=1
	v_and_b32_sdwa v4, v15, v18 dst_sel:DWORD dst_unused:UNUSED_PAD src0_sel:DWORD src1_sel:BYTE_1
	v_mov_b32_e32 v85, 0x7f800001
	s_mov_b32 s23, exec_lo
	v_and_b32_e32 v5, 0x7f, v4
	v_cmpx_ne_u32_e32 0x7f, v5
	s_cbranch_execz .LBB389_185
; %bb.182:                              ;   in Loop: Header=BB389_11 Depth=1
	v_and_b32_e32 v32, 7, v4
	v_mov_b32_e32 v33, v19
	v_lshrrev_b32_e32 v4, 3, v5
	s_mov_b32 s24, exec_lo
	v_cmpx_gt_u32_e32 8, v5
; %bb.183:                              ;   in Loop: Header=BB389_11 Depth=1
	v_ffbh_u32_e32 v4, v32
	v_min_u32_e32 v4, 32, v4
	v_subrev_nc_u32_e32 v5, 28, v4
	v_sub_nc_u32_e32 v4, 29, v4
	v_lshlrev_b64 v[32:33], v5, v[32:33]
	v_and_b32_e32 v32, 7, v32
; %bb.184:                              ;   in Loop: Header=BB389_11 Depth=1
	s_or_b32 exec_lo, exec_lo, s24
	v_lshlrev_b32_e32 v5, 16, v18
	v_lshlrev_b32_e32 v18, 20, v32
	v_lshl_add_u32 v4, v4, 23, 0x3c000000
	v_and_b32_e32 v5, 0x80000000, v5
	v_or3_b32 v85, v18, v5, v4
.LBB389_185:                            ;   in Loop: Header=BB389_11 Depth=1
	s_or_b32 exec_lo, exec_lo, s23
.LBB389_186:                            ;   in Loop: Header=BB389_11 Depth=1
	s_or_b32 exec_lo, exec_lo, s22
.LBB389_187:                            ;   in Loop: Header=BB389_11 Depth=1
	s_or_b32 exec_lo, exec_lo, s6
	v_and_b32_sdwa v4, v31, v23 dst_sel:DWORD dst_unused:UNUSED_PAD src0_sel:WORD_1 src1_sel:DWORD
	s_mov_b32 s6, exec_lo
	v_cmpx_ne_u16_e32 0, v4
	s_cbranch_execz .LBB389_195
; %bb.188:                              ;   in Loop: Header=BB389_11 Depth=1
	v_bfrev_b32_e32 v84, 1
	s_mov_b32 s22, exec_lo
	v_cmpx_ne_u16_e32 0x80, v4
	s_cbranch_execz .LBB389_194
; %bb.189:                              ;   in Loop: Header=BB389_11 Depth=1
	v_bfe_u32 v5, v31, 16, 7
	v_mov_b32_e32 v84, 0x7f800001
	s_mov_b32 s23, exec_lo
	v_cmpx_ne_u32_e32 0x7f, v5
	s_cbranch_execz .LBB389_193
; %bb.190:                              ;   in Loop: Header=BB389_11 Depth=1
	v_and_b32_sdwa v18, v31, v34 dst_sel:DWORD dst_unused:UNUSED_PAD src0_sel:WORD_1 src1_sel:DWORD
	v_lshrrev_b32_e32 v4, 3, v5
	s_mov_b32 s24, exec_lo
	v_cmpx_gt_u32_e32 8, v5
; %bb.191:                              ;   in Loop: Header=BB389_11 Depth=1
	v_ffbh_u32_e32 v4, v18
	v_min_u32_e32 v4, 32, v4
	v_subrev_nc_u32_e32 v5, 28, v4
	v_sub_nc_u32_e32 v4, 29, v4
	v_lshlrev_b64 v[32:33], v5, v[18:19]
	v_and_b32_e32 v18, 7, v32
; %bb.192:                              ;   in Loop: Header=BB389_11 Depth=1
	s_or_b32 exec_lo, exec_lo, s24
	v_lshlrev_b32_sdwa v5, v38, v31 dst_sel:DWORD dst_unused:UNUSED_PAD src0_sel:DWORD src1_sel:WORD_1
	v_lshlrev_b32_e32 v18, 20, v18
	v_lshl_add_u32 v4, v4, 23, 0x3c000000
	v_and_b32_e32 v5, 0x80000000, v5
	v_or3_b32 v84, v18, v5, v4
.LBB389_193:                            ;   in Loop: Header=BB389_11 Depth=1
	s_or_b32 exec_lo, exec_lo, s23
.LBB389_194:                            ;   in Loop: Header=BB389_11 Depth=1
	s_or_b32 exec_lo, exec_lo, s22
.LBB389_195:                            ;   in Loop: Header=BB389_11 Depth=1
	s_or_b32 exec_lo, exec_lo, s6
	v_mov_b32_e32 v87, 0
	v_mov_b32_e32 v86, 0
	s_mov_b32 s6, exec_lo
	v_cmpx_lt_u64_e64 s[8:9], v[30:31]
	s_cbranch_execz .LBB389_203
; %bb.196:                              ;   in Loop: Header=BB389_11 Depth=1
	v_cmp_ne_u32_sdwa s5, v31, v14 src0_sel:BYTE_3 src1_sel:DWORD
	v_bfrev_b32_e32 v86, 1
	s_and_saveexec_b32 s22, s5
	s_cbranch_execz .LBB389_202
; %bb.197:                              ;   in Loop: Header=BB389_11 Depth=1
	v_bfe_u32 v5, v31, 24, 7
	v_mov_b32_e32 v86, 0x7f800001
	s_mov_b32 s23, exec_lo
	v_cmpx_ne_u32_e32 0x7f, v5
	s_cbranch_execz .LBB389_201
; %bb.198:                              ;   in Loop: Header=BB389_11 Depth=1
	v_and_b32_sdwa v18, v31, v34 dst_sel:DWORD dst_unused:UNUSED_PAD src0_sel:BYTE_3 src1_sel:DWORD
	v_lshrrev_b32_e32 v4, 3, v5
	s_mov_b32 s24, exec_lo
	v_cmpx_gt_u32_e32 8, v5
; %bb.199:                              ;   in Loop: Header=BB389_11 Depth=1
	v_ffbh_u32_e32 v4, v18
	v_min_u32_e32 v4, 32, v4
	v_subrev_nc_u32_e32 v5, 28, v4
	v_sub_nc_u32_e32 v4, 29, v4
	v_lshlrev_b64 v[32:33], v5, v[18:19]
	v_and_b32_e32 v18, 7, v32
; %bb.200:                              ;   in Loop: Header=BB389_11 Depth=1
	s_or_b32 exec_lo, exec_lo, s24
	v_lshlrev_b32_sdwa v5, v38, v31 dst_sel:DWORD dst_unused:UNUSED_PAD src0_sel:DWORD src1_sel:BYTE_3
	v_lshlrev_b32_e32 v18, 20, v18
	v_lshl_add_u32 v4, v4, 23, 0x3c000000
	v_and_b32_e32 v5, 0x80000000, v5
	v_or3_b32 v86, v18, v5, v4
.LBB389_201:                            ;   in Loop: Header=BB389_11 Depth=1
	s_or_b32 exec_lo, exec_lo, s23
.LBB389_202:                            ;   in Loop: Header=BB389_11 Depth=1
	s_or_b32 exec_lo, exec_lo, s22
.LBB389_203:                            ;   in Loop: Header=BB389_11 Depth=1
	s_or_b32 exec_lo, exec_lo, s6
	flat_load_dwordx2 v[30:31], v[28:29] offset:520
	s_waitcnt vmcnt(0) lgkmcnt(0)
	v_cmp_ne_u16_sdwa s5, v30, v19 src0_sel:BYTE_0 src1_sel:DWORD
	s_and_saveexec_b32 s6, s5
	s_cbranch_execz .LBB389_211
; %bb.204:                              ;   in Loop: Header=BB389_11 Depth=1
	v_cmp_ne_u16_sdwa s5, v30, v14 src0_sel:BYTE_0 src1_sel:DWORD
	v_bfrev_b32_e32 v87, 1
	s_and_saveexec_b32 s22, s5
	s_cbranch_execz .LBB389_210
; %bb.205:                              ;   in Loop: Header=BB389_11 Depth=1
	v_and_b32_e32 v5, 0x7f, v30
	v_mov_b32_e32 v87, 0x7f800001
	s_mov_b32 s23, exec_lo
	v_cmpx_ne_u32_e32 0x7f, v5
	s_cbranch_execz .LBB389_209
; %bb.206:                              ;   in Loop: Header=BB389_11 Depth=1
	v_mov_b32_e32 v33, v31
	v_lshrrev_b32_e32 v4, 3, v5
	v_mov_b32_e32 v32, v30
	s_mov_b32 s24, exec_lo
	v_cmpx_gt_u32_e32 8, v5
; %bb.207:                              ;   in Loop: Header=BB389_11 Depth=1
	v_and_b32_e32 v4, 7, v30
	v_ffbh_u32_e32 v4, v4
	v_min_u32_e32 v4, 32, v4
	v_subrev_nc_u32_e32 v5, 28, v4
	v_sub_nc_u32_e32 v4, 29, v4
	v_lshlrev_b64 v[32:33], v5, v[30:31]
; %bb.208:                              ;   in Loop: Header=BB389_11 Depth=1
	s_or_b32 exec_lo, exec_lo, s24
	v_lshlrev_b32_e32 v5, 20, v32
	v_lshlrev_b32_e32 v18, 24, v30
	v_lshl_add_u32 v4, v4, 23, 0x3c000000
	v_and_b32_e32 v5, 0x700000, v5
	v_and_b32_e32 v18, 0x80000000, v18
	v_or3_b32 v87, v5, v18, v4
.LBB389_209:                            ;   in Loop: Header=BB389_11 Depth=1
	s_or_b32 exec_lo, exec_lo, s23
.LBB389_210:                            ;   in Loop: Header=BB389_11 Depth=1
	s_or_b32 exec_lo, exec_lo, s22
.LBB389_211:                            ;   in Loop: Header=BB389_11 Depth=1
	s_or_b32 exec_lo, exec_lo, s6
	v_cmp_ne_u16_sdwa s5, v30, v19 src0_sel:BYTE_1 src1_sel:DWORD
	v_mov_b32_e32 v97, 0
	v_mov_b32_e32 v96, 0
	s_and_saveexec_b32 s6, s5
	s_cbranch_execz .LBB389_219
; %bb.212:                              ;   in Loop: Header=BB389_11 Depth=1
	v_cmp_ne_u16_sdwa s5, v30, v14 src0_sel:BYTE_1 src1_sel:DWORD
	v_bfrev_b32_e32 v96, 1
	s_and_saveexec_b32 s22, s5
	s_cbranch_execz .LBB389_218
; %bb.213:                              ;   in Loop: Header=BB389_11 Depth=1
	v_and_b32_sdwa v4, v15, v30 dst_sel:DWORD dst_unused:UNUSED_PAD src0_sel:DWORD src1_sel:BYTE_1
	v_mov_b32_e32 v96, 0x7f800001
	s_mov_b32 s23, exec_lo
	v_and_b32_e32 v5, 0x7f, v4
	v_cmpx_ne_u32_e32 0x7f, v5
	s_cbranch_execz .LBB389_217
; %bb.214:                              ;   in Loop: Header=BB389_11 Depth=1
	v_and_b32_e32 v18, 7, v4
	v_lshrrev_b32_e32 v4, 3, v5
	s_mov_b32 s24, exec_lo
	v_cmpx_gt_u32_e32 8, v5
; %bb.215:                              ;   in Loop: Header=BB389_11 Depth=1
	v_ffbh_u32_e32 v4, v18
	v_min_u32_e32 v4, 32, v4
	v_subrev_nc_u32_e32 v5, 28, v4
	v_sub_nc_u32_e32 v4, 29, v4
	v_lshlrev_b64 v[32:33], v5, v[18:19]
	v_and_b32_e32 v18, 7, v32
; %bb.216:                              ;   in Loop: Header=BB389_11 Depth=1
	s_or_b32 exec_lo, exec_lo, s24
	v_lshlrev_b32_e32 v5, 16, v30
	v_lshlrev_b32_e32 v18, 20, v18
	v_lshl_add_u32 v4, v4, 23, 0x3c000000
	v_and_b32_e32 v5, 0x80000000, v5
	v_or3_b32 v96, v18, v5, v4
.LBB389_217:                            ;   in Loop: Header=BB389_11 Depth=1
	s_or_b32 exec_lo, exec_lo, s23
.LBB389_218:                            ;   in Loop: Header=BB389_11 Depth=1
	s_or_b32 exec_lo, exec_lo, s22
.LBB389_219:                            ;   in Loop: Header=BB389_11 Depth=1
	s_or_b32 exec_lo, exec_lo, s6
	v_and_b32_sdwa v4, v30, v23 dst_sel:DWORD dst_unused:UNUSED_PAD src0_sel:WORD_1 src1_sel:DWORD
	s_mov_b32 s6, exec_lo
	v_cmpx_ne_u16_e32 0, v4
	s_cbranch_execz .LBB389_227
; %bb.220:                              ;   in Loop: Header=BB389_11 Depth=1
	v_bfrev_b32_e32 v97, 1
	s_mov_b32 s22, exec_lo
	v_cmpx_ne_u16_e32 0x80, v4
	s_cbranch_execz .LBB389_226
; %bb.221:                              ;   in Loop: Header=BB389_11 Depth=1
	v_bfe_u32 v5, v30, 16, 7
	v_mov_b32_e32 v97, 0x7f800001
	s_mov_b32 s23, exec_lo
	v_cmpx_ne_u32_e32 0x7f, v5
	s_cbranch_execz .LBB389_225
; %bb.222:                              ;   in Loop: Header=BB389_11 Depth=1
	v_and_b32_sdwa v18, v30, v34 dst_sel:DWORD dst_unused:UNUSED_PAD src0_sel:WORD_1 src1_sel:DWORD
	v_lshrrev_b32_e32 v4, 3, v5
	s_mov_b32 s24, exec_lo
	v_cmpx_gt_u32_e32 8, v5
; %bb.223:                              ;   in Loop: Header=BB389_11 Depth=1
	v_ffbh_u32_e32 v4, v18
	v_min_u32_e32 v4, 32, v4
	v_subrev_nc_u32_e32 v5, 28, v4
	v_sub_nc_u32_e32 v4, 29, v4
	v_lshlrev_b64 v[32:33], v5, v[18:19]
	v_and_b32_e32 v18, 7, v32
; %bb.224:                              ;   in Loop: Header=BB389_11 Depth=1
	s_or_b32 exec_lo, exec_lo, s24
	v_lshlrev_b32_sdwa v5, v38, v30 dst_sel:DWORD dst_unused:UNUSED_PAD src0_sel:DWORD src1_sel:WORD_1
	v_lshlrev_b32_e32 v18, 20, v18
	v_lshl_add_u32 v4, v4, 23, 0x3c000000
	v_and_b32_e32 v5, 0x80000000, v5
	v_or3_b32 v97, v18, v5, v4
.LBB389_225:                            ;   in Loop: Header=BB389_11 Depth=1
	s_or_b32 exec_lo, exec_lo, s23
.LBB389_226:                            ;   in Loop: Header=BB389_11 Depth=1
	s_or_b32 exec_lo, exec_lo, s22
.LBB389_227:                            ;   in Loop: Header=BB389_11 Depth=1
	s_or_b32 exec_lo, exec_lo, s6
	v_mov_b32_e32 v99, 0
	v_mov_b32_e32 v98, 0
	s_mov_b32 s6, exec_lo
	v_cmpx_lt_u32_e32 0xffffff, v30
	s_cbranch_execz .LBB389_235
; %bb.228:                              ;   in Loop: Header=BB389_11 Depth=1
	v_cmp_ne_u32_sdwa s5, v30, v14 src0_sel:BYTE_3 src1_sel:DWORD
	v_bfrev_b32_e32 v98, 1
	s_and_saveexec_b32 s22, s5
	s_cbranch_execz .LBB389_234
; %bb.229:                              ;   in Loop: Header=BB389_11 Depth=1
	v_bfe_u32 v5, v30, 24, 7
	v_mov_b32_e32 v98, 0x7f800001
	s_mov_b32 s23, exec_lo
	v_cmpx_ne_u32_e32 0x7f, v5
	s_cbranch_execz .LBB389_233
; %bb.230:                              ;   in Loop: Header=BB389_11 Depth=1
	v_and_b32_sdwa v18, v30, v34 dst_sel:DWORD dst_unused:UNUSED_PAD src0_sel:BYTE_3 src1_sel:DWORD
	v_lshrrev_b32_e32 v4, 3, v5
	s_mov_b32 s24, exec_lo
	v_cmpx_gt_u32_e32 8, v5
; %bb.231:                              ;   in Loop: Header=BB389_11 Depth=1
	v_ffbh_u32_e32 v4, v18
	v_min_u32_e32 v4, 32, v4
	v_subrev_nc_u32_e32 v5, 28, v4
	v_sub_nc_u32_e32 v4, 29, v4
	v_lshlrev_b64 v[32:33], v5, v[18:19]
	v_and_b32_e32 v18, 7, v32
; %bb.232:                              ;   in Loop: Header=BB389_11 Depth=1
	s_or_b32 exec_lo, exec_lo, s24
	v_lshlrev_b32_sdwa v5, v38, v30 dst_sel:DWORD dst_unused:UNUSED_PAD src0_sel:DWORD src1_sel:BYTE_3
	v_lshlrev_b32_e32 v18, 20, v18
	v_lshl_add_u32 v4, v4, 23, 0x3c000000
	v_and_b32_e32 v5, 0x80000000, v5
	v_or3_b32 v98, v18, v5, v4
.LBB389_233:                            ;   in Loop: Header=BB389_11 Depth=1
	s_or_b32 exec_lo, exec_lo, s23
.LBB389_234:                            ;   in Loop: Header=BB389_11 Depth=1
	s_or_b32 exec_lo, exec_lo, s22
.LBB389_235:                            ;   in Loop: Header=BB389_11 Depth=1
	s_or_b32 exec_lo, exec_lo, s6
	v_mov_b32_e32 v18, v31
	v_cmp_ne_u16_sdwa s5, v31, v19 src0_sel:BYTE_0 src1_sel:DWORD
	s_and_saveexec_b32 s6, s5
	s_cbranch_execz .LBB389_243
; %bb.236:                              ;   in Loop: Header=BB389_11 Depth=1
	v_cmp_ne_u16_sdwa s5, v31, v14 src0_sel:BYTE_0 src1_sel:DWORD
	v_bfrev_b32_e32 v99, 1
	s_and_saveexec_b32 s22, s5
	s_cbranch_execz .LBB389_242
; %bb.237:                              ;   in Loop: Header=BB389_11 Depth=1
	v_and_b32_e32 v5, 0x7f, v31
	v_mov_b32_e32 v99, 0x7f800001
	s_mov_b32 s23, exec_lo
	v_cmpx_ne_u32_e32 0x7f, v5
	s_cbranch_execz .LBB389_241
; %bb.238:                              ;   in Loop: Header=BB389_11 Depth=1
	v_mov_b32_e32 v33, v19
	v_lshrrev_b32_e32 v4, 3, v5
	v_mov_b32_e32 v32, v18
	s_mov_b32 s24, exec_lo
	v_cmpx_gt_u32_e32 8, v5
; %bb.239:                              ;   in Loop: Header=BB389_11 Depth=1
	v_and_b32_e32 v4, 7, v31
	v_ffbh_u32_e32 v4, v4
	v_min_u32_e32 v4, 32, v4
	v_subrev_nc_u32_e32 v5, 28, v4
	v_sub_nc_u32_e32 v4, 29, v4
	v_lshlrev_b64 v[32:33], v5, v[18:19]
; %bb.240:                              ;   in Loop: Header=BB389_11 Depth=1
	s_or_b32 exec_lo, exec_lo, s24
	v_lshlrev_b32_e32 v5, 20, v32
	v_lshlrev_b32_e32 v32, 24, v18
	v_lshl_add_u32 v4, v4, 23, 0x3c000000
	v_and_b32_e32 v5, 0x700000, v5
	v_and_b32_e32 v32, 0x80000000, v32
	v_or3_b32 v99, v5, v32, v4
.LBB389_241:                            ;   in Loop: Header=BB389_11 Depth=1
	s_or_b32 exec_lo, exec_lo, s23
.LBB389_242:                            ;   in Loop: Header=BB389_11 Depth=1
	s_or_b32 exec_lo, exec_lo, s22
.LBB389_243:                            ;   in Loop: Header=BB389_11 Depth=1
	s_or_b32 exec_lo, exec_lo, s6
	v_cmp_ne_u16_sdwa s5, v18, v19 src0_sel:BYTE_1 src1_sel:DWORD
	v_mov_b32_e32 v100, 0
	v_mov_b32_e32 v101, 0
	s_and_saveexec_b32 s6, s5
	s_cbranch_execz .LBB389_251
; %bb.244:                              ;   in Loop: Header=BB389_11 Depth=1
	v_cmp_ne_u16_sdwa s5, v18, v14 src0_sel:BYTE_1 src1_sel:DWORD
	v_bfrev_b32_e32 v101, 1
	s_and_saveexec_b32 s22, s5
	s_cbranch_execz .LBB389_250
; %bb.245:                              ;   in Loop: Header=BB389_11 Depth=1
	v_and_b32_sdwa v4, v15, v18 dst_sel:DWORD dst_unused:UNUSED_PAD src0_sel:DWORD src1_sel:BYTE_1
	v_mov_b32_e32 v101, 0x7f800001
	s_mov_b32 s23, exec_lo
	v_and_b32_e32 v5, 0x7f, v4
	v_cmpx_ne_u32_e32 0x7f, v5
	s_cbranch_execz .LBB389_249
; %bb.246:                              ;   in Loop: Header=BB389_11 Depth=1
	v_and_b32_e32 v32, 7, v4
	v_mov_b32_e32 v33, v19
	v_lshrrev_b32_e32 v4, 3, v5
	s_mov_b32 s24, exec_lo
	v_cmpx_gt_u32_e32 8, v5
; %bb.247:                              ;   in Loop: Header=BB389_11 Depth=1
	v_ffbh_u32_e32 v4, v32
	v_min_u32_e32 v4, 32, v4
	v_subrev_nc_u32_e32 v5, 28, v4
	v_sub_nc_u32_e32 v4, 29, v4
	v_lshlrev_b64 v[32:33], v5, v[32:33]
	v_and_b32_e32 v32, 7, v32
; %bb.248:                              ;   in Loop: Header=BB389_11 Depth=1
	s_or_b32 exec_lo, exec_lo, s24
	v_lshlrev_b32_e32 v5, 16, v18
	v_lshlrev_b32_e32 v18, 20, v32
	v_lshl_add_u32 v4, v4, 23, 0x3c000000
	v_and_b32_e32 v5, 0x80000000, v5
	v_or3_b32 v101, v18, v5, v4
.LBB389_249:                            ;   in Loop: Header=BB389_11 Depth=1
	s_or_b32 exec_lo, exec_lo, s23
.LBB389_250:                            ;   in Loop: Header=BB389_11 Depth=1
	s_or_b32 exec_lo, exec_lo, s22
.LBB389_251:                            ;   in Loop: Header=BB389_11 Depth=1
	s_or_b32 exec_lo, exec_lo, s6
	v_and_b32_sdwa v4, v31, v23 dst_sel:DWORD dst_unused:UNUSED_PAD src0_sel:WORD_1 src1_sel:DWORD
	s_mov_b32 s6, exec_lo
	v_cmpx_ne_u16_e32 0, v4
	s_cbranch_execz .LBB389_259
; %bb.252:                              ;   in Loop: Header=BB389_11 Depth=1
	v_bfrev_b32_e32 v100, 1
	s_mov_b32 s22, exec_lo
	v_cmpx_ne_u16_e32 0x80, v4
	s_cbranch_execz .LBB389_258
; %bb.253:                              ;   in Loop: Header=BB389_11 Depth=1
	v_bfe_u32 v5, v31, 16, 7
	v_mov_b32_e32 v100, 0x7f800001
	s_mov_b32 s23, exec_lo
	v_cmpx_ne_u32_e32 0x7f, v5
	s_cbranch_execz .LBB389_257
; %bb.254:                              ;   in Loop: Header=BB389_11 Depth=1
	v_and_b32_sdwa v18, v31, v34 dst_sel:DWORD dst_unused:UNUSED_PAD src0_sel:WORD_1 src1_sel:DWORD
	v_lshrrev_b32_e32 v4, 3, v5
	s_mov_b32 s24, exec_lo
	v_cmpx_gt_u32_e32 8, v5
; %bb.255:                              ;   in Loop: Header=BB389_11 Depth=1
	v_ffbh_u32_e32 v4, v18
	v_min_u32_e32 v4, 32, v4
	v_subrev_nc_u32_e32 v5, 28, v4
	v_sub_nc_u32_e32 v4, 29, v4
	v_lshlrev_b64 v[32:33], v5, v[18:19]
	v_and_b32_e32 v18, 7, v32
; %bb.256:                              ;   in Loop: Header=BB389_11 Depth=1
	s_or_b32 exec_lo, exec_lo, s24
	v_lshlrev_b32_sdwa v5, v38, v31 dst_sel:DWORD dst_unused:UNUSED_PAD src0_sel:DWORD src1_sel:WORD_1
	v_lshlrev_b32_e32 v18, 20, v18
	v_lshl_add_u32 v4, v4, 23, 0x3c000000
	v_and_b32_e32 v5, 0x80000000, v5
	v_or3_b32 v100, v18, v5, v4
.LBB389_257:                            ;   in Loop: Header=BB389_11 Depth=1
	s_or_b32 exec_lo, exec_lo, s23
.LBB389_258:                            ;   in Loop: Header=BB389_11 Depth=1
	s_or_b32 exec_lo, exec_lo, s22
.LBB389_259:                            ;   in Loop: Header=BB389_11 Depth=1
	s_or_b32 exec_lo, exec_lo, s6
	v_mov_b32_e32 v103, 0
	v_mov_b32_e32 v102, 0
	s_mov_b32 s6, exec_lo
	v_cmpx_lt_u64_e64 s[8:9], v[30:31]
	s_cbranch_execz .LBB389_267
; %bb.260:                              ;   in Loop: Header=BB389_11 Depth=1
	v_cmp_ne_u32_sdwa s5, v31, v14 src0_sel:BYTE_3 src1_sel:DWORD
	v_bfrev_b32_e32 v102, 1
	s_and_saveexec_b32 s22, s5
	s_cbranch_execz .LBB389_266
; %bb.261:                              ;   in Loop: Header=BB389_11 Depth=1
	v_bfe_u32 v5, v31, 24, 7
	v_mov_b32_e32 v102, 0x7f800001
	s_mov_b32 s23, exec_lo
	v_cmpx_ne_u32_e32 0x7f, v5
	s_cbranch_execz .LBB389_265
; %bb.262:                              ;   in Loop: Header=BB389_11 Depth=1
	v_and_b32_sdwa v18, v31, v34 dst_sel:DWORD dst_unused:UNUSED_PAD src0_sel:BYTE_3 src1_sel:DWORD
	v_lshrrev_b32_e32 v4, 3, v5
	s_mov_b32 s24, exec_lo
	v_cmpx_gt_u32_e32 8, v5
; %bb.263:                              ;   in Loop: Header=BB389_11 Depth=1
	v_ffbh_u32_e32 v4, v18
	v_min_u32_e32 v4, 32, v4
	v_subrev_nc_u32_e32 v5, 28, v4
	v_sub_nc_u32_e32 v4, 29, v4
	v_lshlrev_b64 v[32:33], v5, v[18:19]
	v_and_b32_e32 v18, 7, v32
; %bb.264:                              ;   in Loop: Header=BB389_11 Depth=1
	s_or_b32 exec_lo, exec_lo, s24
	v_lshlrev_b32_sdwa v5, v38, v31 dst_sel:DWORD dst_unused:UNUSED_PAD src0_sel:DWORD src1_sel:BYTE_3
	v_lshlrev_b32_e32 v18, 20, v18
	v_lshl_add_u32 v4, v4, 23, 0x3c000000
	v_and_b32_e32 v5, 0x80000000, v5
	v_or3_b32 v102, v18, v5, v4
.LBB389_265:                            ;   in Loop: Header=BB389_11 Depth=1
	s_or_b32 exec_lo, exec_lo, s23
.LBB389_266:                            ;   in Loop: Header=BB389_11 Depth=1
	s_or_b32 exec_lo, exec_lo, s22
.LBB389_267:                            ;   in Loop: Header=BB389_11 Depth=1
	s_or_b32 exec_lo, exec_lo, s6
	flat_load_dwordx2 v[30:31], v[28:29] offset:1024
	s_waitcnt vmcnt(0) lgkmcnt(0)
	v_cmp_ne_u16_sdwa s5, v30, v19 src0_sel:BYTE_0 src1_sel:DWORD
	s_and_saveexec_b32 s6, s5
	s_cbranch_execz .LBB389_275
; %bb.268:                              ;   in Loop: Header=BB389_11 Depth=1
	v_cmp_ne_u16_sdwa s5, v30, v14 src0_sel:BYTE_0 src1_sel:DWORD
	v_bfrev_b32_e32 v103, 1
	s_and_saveexec_b32 s22, s5
	s_cbranch_execz .LBB389_274
; %bb.269:                              ;   in Loop: Header=BB389_11 Depth=1
	v_and_b32_e32 v5, 0x7f, v30
	v_mov_b32_e32 v103, 0x7f800001
	s_mov_b32 s23, exec_lo
	v_cmpx_ne_u32_e32 0x7f, v5
	s_cbranch_execz .LBB389_273
; %bb.270:                              ;   in Loop: Header=BB389_11 Depth=1
	v_mov_b32_e32 v33, v31
	v_lshrrev_b32_e32 v4, 3, v5
	v_mov_b32_e32 v32, v30
	s_mov_b32 s24, exec_lo
	v_cmpx_gt_u32_e32 8, v5
; %bb.271:                              ;   in Loop: Header=BB389_11 Depth=1
	v_and_b32_e32 v4, 7, v30
	v_ffbh_u32_e32 v4, v4
	v_min_u32_e32 v4, 32, v4
	v_subrev_nc_u32_e32 v5, 28, v4
	v_sub_nc_u32_e32 v4, 29, v4
	v_lshlrev_b64 v[32:33], v5, v[30:31]
; %bb.272:                              ;   in Loop: Header=BB389_11 Depth=1
	s_or_b32 exec_lo, exec_lo, s24
	v_lshlrev_b32_e32 v5, 20, v32
	v_lshlrev_b32_e32 v18, 24, v30
	v_lshl_add_u32 v4, v4, 23, 0x3c000000
	v_and_b32_e32 v5, 0x700000, v5
	v_and_b32_e32 v18, 0x80000000, v18
	v_or3_b32 v103, v5, v18, v4
.LBB389_273:                            ;   in Loop: Header=BB389_11 Depth=1
	s_or_b32 exec_lo, exec_lo, s23
.LBB389_274:                            ;   in Loop: Header=BB389_11 Depth=1
	s_or_b32 exec_lo, exec_lo, s22
.LBB389_275:                            ;   in Loop: Header=BB389_11 Depth=1
	s_or_b32 exec_lo, exec_lo, s6
	v_cmp_ne_u16_sdwa s5, v30, v19 src0_sel:BYTE_1 src1_sel:DWORD
	v_mov_b32_e32 v113, 0
	v_mov_b32_e32 v112, 0
	s_and_saveexec_b32 s6, s5
	s_cbranch_execz .LBB389_283
; %bb.276:                              ;   in Loop: Header=BB389_11 Depth=1
	v_cmp_ne_u16_sdwa s5, v30, v14 src0_sel:BYTE_1 src1_sel:DWORD
	v_bfrev_b32_e32 v112, 1
	s_and_saveexec_b32 s22, s5
	s_cbranch_execz .LBB389_282
; %bb.277:                              ;   in Loop: Header=BB389_11 Depth=1
	v_and_b32_sdwa v4, v15, v30 dst_sel:DWORD dst_unused:UNUSED_PAD src0_sel:DWORD src1_sel:BYTE_1
	v_mov_b32_e32 v112, 0x7f800001
	s_mov_b32 s23, exec_lo
	v_and_b32_e32 v5, 0x7f, v4
	v_cmpx_ne_u32_e32 0x7f, v5
	s_cbranch_execz .LBB389_281
; %bb.278:                              ;   in Loop: Header=BB389_11 Depth=1
	v_and_b32_e32 v18, 7, v4
	v_lshrrev_b32_e32 v4, 3, v5
	s_mov_b32 s24, exec_lo
	v_cmpx_gt_u32_e32 8, v5
; %bb.279:                              ;   in Loop: Header=BB389_11 Depth=1
	v_ffbh_u32_e32 v4, v18
	v_min_u32_e32 v4, 32, v4
	v_subrev_nc_u32_e32 v5, 28, v4
	v_sub_nc_u32_e32 v4, 29, v4
	v_lshlrev_b64 v[32:33], v5, v[18:19]
	v_and_b32_e32 v18, 7, v32
; %bb.280:                              ;   in Loop: Header=BB389_11 Depth=1
	s_or_b32 exec_lo, exec_lo, s24
	v_lshlrev_b32_e32 v5, 16, v30
	v_lshlrev_b32_e32 v18, 20, v18
	v_lshl_add_u32 v4, v4, 23, 0x3c000000
	v_and_b32_e32 v5, 0x80000000, v5
	v_or3_b32 v112, v18, v5, v4
.LBB389_281:                            ;   in Loop: Header=BB389_11 Depth=1
	s_or_b32 exec_lo, exec_lo, s23
.LBB389_282:                            ;   in Loop: Header=BB389_11 Depth=1
	s_or_b32 exec_lo, exec_lo, s22
.LBB389_283:                            ;   in Loop: Header=BB389_11 Depth=1
	s_or_b32 exec_lo, exec_lo, s6
	v_and_b32_sdwa v4, v30, v23 dst_sel:DWORD dst_unused:UNUSED_PAD src0_sel:WORD_1 src1_sel:DWORD
	s_mov_b32 s6, exec_lo
	v_cmpx_ne_u16_e32 0, v4
	s_cbranch_execz .LBB389_291
; %bb.284:                              ;   in Loop: Header=BB389_11 Depth=1
	v_bfrev_b32_e32 v113, 1
	s_mov_b32 s22, exec_lo
	v_cmpx_ne_u16_e32 0x80, v4
	s_cbranch_execz .LBB389_290
; %bb.285:                              ;   in Loop: Header=BB389_11 Depth=1
	v_bfe_u32 v5, v30, 16, 7
	v_mov_b32_e32 v113, 0x7f800001
	s_mov_b32 s23, exec_lo
	v_cmpx_ne_u32_e32 0x7f, v5
	s_cbranch_execz .LBB389_289
; %bb.286:                              ;   in Loop: Header=BB389_11 Depth=1
	v_and_b32_sdwa v18, v30, v34 dst_sel:DWORD dst_unused:UNUSED_PAD src0_sel:WORD_1 src1_sel:DWORD
	v_lshrrev_b32_e32 v4, 3, v5
	s_mov_b32 s24, exec_lo
	v_cmpx_gt_u32_e32 8, v5
; %bb.287:                              ;   in Loop: Header=BB389_11 Depth=1
	v_ffbh_u32_e32 v4, v18
	v_min_u32_e32 v4, 32, v4
	v_subrev_nc_u32_e32 v5, 28, v4
	v_sub_nc_u32_e32 v4, 29, v4
	v_lshlrev_b64 v[32:33], v5, v[18:19]
	v_and_b32_e32 v18, 7, v32
; %bb.288:                              ;   in Loop: Header=BB389_11 Depth=1
	s_or_b32 exec_lo, exec_lo, s24
	v_lshlrev_b32_sdwa v5, v38, v30 dst_sel:DWORD dst_unused:UNUSED_PAD src0_sel:DWORD src1_sel:WORD_1
	v_lshlrev_b32_e32 v18, 20, v18
	v_lshl_add_u32 v4, v4, 23, 0x3c000000
	v_and_b32_e32 v5, 0x80000000, v5
	v_or3_b32 v113, v18, v5, v4
.LBB389_289:                            ;   in Loop: Header=BB389_11 Depth=1
	s_or_b32 exec_lo, exec_lo, s23
.LBB389_290:                            ;   in Loop: Header=BB389_11 Depth=1
	s_or_b32 exec_lo, exec_lo, s22
.LBB389_291:                            ;   in Loop: Header=BB389_11 Depth=1
	s_or_b32 exec_lo, exec_lo, s6
	v_mov_b32_e32 v115, 0
	v_mov_b32_e32 v114, 0
	s_mov_b32 s6, exec_lo
	v_cmpx_lt_u32_e32 0xffffff, v30
	s_cbranch_execz .LBB389_299
; %bb.292:                              ;   in Loop: Header=BB389_11 Depth=1
	v_cmp_ne_u32_sdwa s5, v30, v14 src0_sel:BYTE_3 src1_sel:DWORD
	v_bfrev_b32_e32 v114, 1
	s_and_saveexec_b32 s22, s5
	s_cbranch_execz .LBB389_298
; %bb.293:                              ;   in Loop: Header=BB389_11 Depth=1
	v_bfe_u32 v5, v30, 24, 7
	v_mov_b32_e32 v114, 0x7f800001
	s_mov_b32 s23, exec_lo
	v_cmpx_ne_u32_e32 0x7f, v5
	s_cbranch_execz .LBB389_297
; %bb.294:                              ;   in Loop: Header=BB389_11 Depth=1
	v_and_b32_sdwa v18, v30, v34 dst_sel:DWORD dst_unused:UNUSED_PAD src0_sel:BYTE_3 src1_sel:DWORD
	v_lshrrev_b32_e32 v4, 3, v5
	s_mov_b32 s24, exec_lo
	v_cmpx_gt_u32_e32 8, v5
; %bb.295:                              ;   in Loop: Header=BB389_11 Depth=1
	v_ffbh_u32_e32 v4, v18
	v_min_u32_e32 v4, 32, v4
	v_subrev_nc_u32_e32 v5, 28, v4
	v_sub_nc_u32_e32 v4, 29, v4
	v_lshlrev_b64 v[32:33], v5, v[18:19]
	v_and_b32_e32 v18, 7, v32
; %bb.296:                              ;   in Loop: Header=BB389_11 Depth=1
	s_or_b32 exec_lo, exec_lo, s24
	v_lshlrev_b32_sdwa v5, v38, v30 dst_sel:DWORD dst_unused:UNUSED_PAD src0_sel:DWORD src1_sel:BYTE_3
	v_lshlrev_b32_e32 v18, 20, v18
	v_lshl_add_u32 v4, v4, 23, 0x3c000000
	v_and_b32_e32 v5, 0x80000000, v5
	v_or3_b32 v114, v18, v5, v4
.LBB389_297:                            ;   in Loop: Header=BB389_11 Depth=1
	s_or_b32 exec_lo, exec_lo, s23
.LBB389_298:                            ;   in Loop: Header=BB389_11 Depth=1
	s_or_b32 exec_lo, exec_lo, s22
.LBB389_299:                            ;   in Loop: Header=BB389_11 Depth=1
	s_or_b32 exec_lo, exec_lo, s6
	v_mov_b32_e32 v18, v31
	v_cmp_ne_u16_sdwa s5, v31, v19 src0_sel:BYTE_0 src1_sel:DWORD
	s_and_saveexec_b32 s6, s5
	s_cbranch_execz .LBB389_307
; %bb.300:                              ;   in Loop: Header=BB389_11 Depth=1
	v_cmp_ne_u16_sdwa s5, v31, v14 src0_sel:BYTE_0 src1_sel:DWORD
	v_bfrev_b32_e32 v115, 1
	s_and_saveexec_b32 s22, s5
	s_cbranch_execz .LBB389_306
; %bb.301:                              ;   in Loop: Header=BB389_11 Depth=1
	v_and_b32_e32 v5, 0x7f, v31
	v_mov_b32_e32 v115, 0x7f800001
	s_mov_b32 s23, exec_lo
	v_cmpx_ne_u32_e32 0x7f, v5
	s_cbranch_execz .LBB389_305
; %bb.302:                              ;   in Loop: Header=BB389_11 Depth=1
	v_mov_b32_e32 v33, v19
	v_lshrrev_b32_e32 v4, 3, v5
	v_mov_b32_e32 v32, v18
	s_mov_b32 s24, exec_lo
	v_cmpx_gt_u32_e32 8, v5
; %bb.303:                              ;   in Loop: Header=BB389_11 Depth=1
	v_and_b32_e32 v4, 7, v31
	v_ffbh_u32_e32 v4, v4
	v_min_u32_e32 v4, 32, v4
	v_subrev_nc_u32_e32 v5, 28, v4
	v_sub_nc_u32_e32 v4, 29, v4
	v_lshlrev_b64 v[32:33], v5, v[18:19]
; %bb.304:                              ;   in Loop: Header=BB389_11 Depth=1
	s_or_b32 exec_lo, exec_lo, s24
	v_lshlrev_b32_e32 v5, 20, v32
	v_lshlrev_b32_e32 v32, 24, v18
	v_lshl_add_u32 v4, v4, 23, 0x3c000000
	v_and_b32_e32 v5, 0x700000, v5
	v_and_b32_e32 v32, 0x80000000, v32
	v_or3_b32 v115, v5, v32, v4
.LBB389_305:                            ;   in Loop: Header=BB389_11 Depth=1
	s_or_b32 exec_lo, exec_lo, s23
.LBB389_306:                            ;   in Loop: Header=BB389_11 Depth=1
	s_or_b32 exec_lo, exec_lo, s22
.LBB389_307:                            ;   in Loop: Header=BB389_11 Depth=1
	s_or_b32 exec_lo, exec_lo, s6
	v_cmp_ne_u16_sdwa s5, v18, v19 src0_sel:BYTE_1 src1_sel:DWORD
	v_mov_b32_e32 v116, 0
	v_mov_b32_e32 v117, 0
	s_and_saveexec_b32 s6, s5
	s_cbranch_execz .LBB389_315
; %bb.308:                              ;   in Loop: Header=BB389_11 Depth=1
	v_cmp_ne_u16_sdwa s5, v18, v14 src0_sel:BYTE_1 src1_sel:DWORD
	v_bfrev_b32_e32 v117, 1
	s_and_saveexec_b32 s22, s5
	s_cbranch_execz .LBB389_314
; %bb.309:                              ;   in Loop: Header=BB389_11 Depth=1
	v_and_b32_sdwa v4, v15, v18 dst_sel:DWORD dst_unused:UNUSED_PAD src0_sel:DWORD src1_sel:BYTE_1
	v_mov_b32_e32 v117, 0x7f800001
	s_mov_b32 s23, exec_lo
	v_and_b32_e32 v5, 0x7f, v4
	v_cmpx_ne_u32_e32 0x7f, v5
	s_cbranch_execz .LBB389_313
; %bb.310:                              ;   in Loop: Header=BB389_11 Depth=1
	v_and_b32_e32 v32, 7, v4
	v_mov_b32_e32 v33, v19
	v_lshrrev_b32_e32 v4, 3, v5
	s_mov_b32 s24, exec_lo
	v_cmpx_gt_u32_e32 8, v5
; %bb.311:                              ;   in Loop: Header=BB389_11 Depth=1
	v_ffbh_u32_e32 v4, v32
	v_min_u32_e32 v4, 32, v4
	v_subrev_nc_u32_e32 v5, 28, v4
	v_sub_nc_u32_e32 v4, 29, v4
	v_lshlrev_b64 v[32:33], v5, v[32:33]
	v_and_b32_e32 v32, 7, v32
; %bb.312:                              ;   in Loop: Header=BB389_11 Depth=1
	s_or_b32 exec_lo, exec_lo, s24
	v_lshlrev_b32_e32 v5, 16, v18
	v_lshlrev_b32_e32 v18, 20, v32
	v_lshl_add_u32 v4, v4, 23, 0x3c000000
	v_and_b32_e32 v5, 0x80000000, v5
	v_or3_b32 v117, v18, v5, v4
.LBB389_313:                            ;   in Loop: Header=BB389_11 Depth=1
	s_or_b32 exec_lo, exec_lo, s23
.LBB389_314:                            ;   in Loop: Header=BB389_11 Depth=1
	s_or_b32 exec_lo, exec_lo, s22
.LBB389_315:                            ;   in Loop: Header=BB389_11 Depth=1
	s_or_b32 exec_lo, exec_lo, s6
	v_and_b32_sdwa v4, v31, v23 dst_sel:DWORD dst_unused:UNUSED_PAD src0_sel:WORD_1 src1_sel:DWORD
	s_mov_b32 s6, exec_lo
	v_cmpx_ne_u16_e32 0, v4
	s_cbranch_execz .LBB389_323
; %bb.316:                              ;   in Loop: Header=BB389_11 Depth=1
	v_bfrev_b32_e32 v116, 1
	s_mov_b32 s22, exec_lo
	v_cmpx_ne_u16_e32 0x80, v4
	s_cbranch_execz .LBB389_322
; %bb.317:                              ;   in Loop: Header=BB389_11 Depth=1
	v_bfe_u32 v5, v31, 16, 7
	v_mov_b32_e32 v116, 0x7f800001
	s_mov_b32 s23, exec_lo
	v_cmpx_ne_u32_e32 0x7f, v5
	s_cbranch_execz .LBB389_321
; %bb.318:                              ;   in Loop: Header=BB389_11 Depth=1
	v_and_b32_sdwa v18, v31, v34 dst_sel:DWORD dst_unused:UNUSED_PAD src0_sel:WORD_1 src1_sel:DWORD
	v_lshrrev_b32_e32 v4, 3, v5
	s_mov_b32 s24, exec_lo
	v_cmpx_gt_u32_e32 8, v5
; %bb.319:                              ;   in Loop: Header=BB389_11 Depth=1
	v_ffbh_u32_e32 v4, v18
	v_min_u32_e32 v4, 32, v4
	v_subrev_nc_u32_e32 v5, 28, v4
	v_sub_nc_u32_e32 v4, 29, v4
	v_lshlrev_b64 v[32:33], v5, v[18:19]
	v_and_b32_e32 v18, 7, v32
; %bb.320:                              ;   in Loop: Header=BB389_11 Depth=1
	s_or_b32 exec_lo, exec_lo, s24
	v_lshlrev_b32_sdwa v5, v38, v31 dst_sel:DWORD dst_unused:UNUSED_PAD src0_sel:DWORD src1_sel:WORD_1
	v_lshlrev_b32_e32 v18, 20, v18
	v_lshl_add_u32 v4, v4, 23, 0x3c000000
	v_and_b32_e32 v5, 0x80000000, v5
	v_or3_b32 v116, v18, v5, v4
.LBB389_321:                            ;   in Loop: Header=BB389_11 Depth=1
	s_or_b32 exec_lo, exec_lo, s23
.LBB389_322:                            ;   in Loop: Header=BB389_11 Depth=1
	s_or_b32 exec_lo, exec_lo, s22
.LBB389_323:                            ;   in Loop: Header=BB389_11 Depth=1
	s_or_b32 exec_lo, exec_lo, s6
	v_mov_b32_e32 v119, 0
	v_mov_b32_e32 v118, 0
	s_mov_b32 s6, exec_lo
	v_cmpx_lt_u64_e64 s[8:9], v[30:31]
	s_cbranch_execz .LBB389_331
; %bb.324:                              ;   in Loop: Header=BB389_11 Depth=1
	v_cmp_ne_u32_sdwa s5, v31, v14 src0_sel:BYTE_3 src1_sel:DWORD
	v_bfrev_b32_e32 v118, 1
	s_and_saveexec_b32 s22, s5
	s_cbranch_execz .LBB389_330
; %bb.325:                              ;   in Loop: Header=BB389_11 Depth=1
	v_bfe_u32 v5, v31, 24, 7
	v_mov_b32_e32 v118, 0x7f800001
	s_mov_b32 s23, exec_lo
	v_cmpx_ne_u32_e32 0x7f, v5
	s_cbranch_execz .LBB389_329
; %bb.326:                              ;   in Loop: Header=BB389_11 Depth=1
	v_and_b32_sdwa v18, v31, v34 dst_sel:DWORD dst_unused:UNUSED_PAD src0_sel:BYTE_3 src1_sel:DWORD
	v_lshrrev_b32_e32 v4, 3, v5
	s_mov_b32 s24, exec_lo
	v_cmpx_gt_u32_e32 8, v5
; %bb.327:                              ;   in Loop: Header=BB389_11 Depth=1
	v_ffbh_u32_e32 v4, v18
	v_min_u32_e32 v4, 32, v4
	v_subrev_nc_u32_e32 v5, 28, v4
	v_sub_nc_u32_e32 v4, 29, v4
	v_lshlrev_b64 v[32:33], v5, v[18:19]
	v_and_b32_e32 v18, 7, v32
; %bb.328:                              ;   in Loop: Header=BB389_11 Depth=1
	s_or_b32 exec_lo, exec_lo, s24
	v_lshlrev_b32_sdwa v5, v38, v31 dst_sel:DWORD dst_unused:UNUSED_PAD src0_sel:DWORD src1_sel:BYTE_3
	v_lshlrev_b32_e32 v18, 20, v18
	v_lshl_add_u32 v4, v4, 23, 0x3c000000
	v_and_b32_e32 v5, 0x80000000, v5
	v_or3_b32 v118, v18, v5, v4
.LBB389_329:                            ;   in Loop: Header=BB389_11 Depth=1
	s_or_b32 exec_lo, exec_lo, s23
.LBB389_330:                            ;   in Loop: Header=BB389_11 Depth=1
	s_or_b32 exec_lo, exec_lo, s22
.LBB389_331:                            ;   in Loop: Header=BB389_11 Depth=1
	s_or_b32 exec_lo, exec_lo, s6
	flat_load_dwordx2 v[30:31], v[28:29] offset:1032
	s_waitcnt vmcnt(0) lgkmcnt(0)
	v_cmp_ne_u16_sdwa s5, v30, v19 src0_sel:BYTE_0 src1_sel:DWORD
	s_and_saveexec_b32 s6, s5
	s_cbranch_execz .LBB389_339
; %bb.332:                              ;   in Loop: Header=BB389_11 Depth=1
	v_cmp_ne_u16_sdwa s5, v30, v14 src0_sel:BYTE_0 src1_sel:DWORD
	v_bfrev_b32_e32 v119, 1
	s_and_saveexec_b32 s22, s5
	s_cbranch_execz .LBB389_338
; %bb.333:                              ;   in Loop: Header=BB389_11 Depth=1
	v_and_b32_e32 v5, 0x7f, v30
	v_mov_b32_e32 v119, 0x7f800001
	s_mov_b32 s23, exec_lo
	v_cmpx_ne_u32_e32 0x7f, v5
	s_cbranch_execz .LBB389_337
; %bb.334:                              ;   in Loop: Header=BB389_11 Depth=1
	v_mov_b32_e32 v33, v31
	v_lshrrev_b32_e32 v4, 3, v5
	v_mov_b32_e32 v32, v30
	s_mov_b32 s24, exec_lo
	v_cmpx_gt_u32_e32 8, v5
; %bb.335:                              ;   in Loop: Header=BB389_11 Depth=1
	v_and_b32_e32 v4, 7, v30
	v_ffbh_u32_e32 v4, v4
	v_min_u32_e32 v4, 32, v4
	v_subrev_nc_u32_e32 v5, 28, v4
	v_sub_nc_u32_e32 v4, 29, v4
	v_lshlrev_b64 v[32:33], v5, v[30:31]
; %bb.336:                              ;   in Loop: Header=BB389_11 Depth=1
	s_or_b32 exec_lo, exec_lo, s24
	v_lshlrev_b32_e32 v5, 20, v32
	v_lshlrev_b32_e32 v18, 24, v30
	v_lshl_add_u32 v4, v4, 23, 0x3c000000
	v_and_b32_e32 v5, 0x700000, v5
	v_and_b32_e32 v18, 0x80000000, v18
	v_or3_b32 v119, v5, v18, v4
.LBB389_337:                            ;   in Loop: Header=BB389_11 Depth=1
	s_or_b32 exec_lo, exec_lo, s23
.LBB389_338:                            ;   in Loop: Header=BB389_11 Depth=1
	s_or_b32 exec_lo, exec_lo, s22
.LBB389_339:                            ;   in Loop: Header=BB389_11 Depth=1
	s_or_b32 exec_lo, exec_lo, s6
	v_cmp_ne_u16_sdwa s5, v30, v19 src0_sel:BYTE_1 src1_sel:DWORD
	v_mov_b32_e32 v41, 0
	v_mov_b32_e32 v40, 0
	s_and_saveexec_b32 s6, s5
	s_cbranch_execz .LBB389_347
; %bb.340:                              ;   in Loop: Header=BB389_11 Depth=1
	v_cmp_ne_u16_sdwa s5, v30, v14 src0_sel:BYTE_1 src1_sel:DWORD
	v_bfrev_b32_e32 v40, 1
	s_and_saveexec_b32 s22, s5
	s_cbranch_execz .LBB389_346
; %bb.341:                              ;   in Loop: Header=BB389_11 Depth=1
	v_and_b32_sdwa v4, v15, v30 dst_sel:DWORD dst_unused:UNUSED_PAD src0_sel:DWORD src1_sel:BYTE_1
	v_mov_b32_e32 v40, 0x7f800001
	s_mov_b32 s23, exec_lo
	v_and_b32_e32 v5, 0x7f, v4
	v_cmpx_ne_u32_e32 0x7f, v5
	s_cbranch_execz .LBB389_345
; %bb.342:                              ;   in Loop: Header=BB389_11 Depth=1
	v_and_b32_e32 v18, 7, v4
	v_lshrrev_b32_e32 v4, 3, v5
	s_mov_b32 s24, exec_lo
	v_cmpx_gt_u32_e32 8, v5
; %bb.343:                              ;   in Loop: Header=BB389_11 Depth=1
	v_ffbh_u32_e32 v4, v18
	v_min_u32_e32 v4, 32, v4
	v_subrev_nc_u32_e32 v5, 28, v4
	v_sub_nc_u32_e32 v4, 29, v4
	v_lshlrev_b64 v[32:33], v5, v[18:19]
	v_and_b32_e32 v18, 7, v32
; %bb.344:                              ;   in Loop: Header=BB389_11 Depth=1
	s_or_b32 exec_lo, exec_lo, s24
	v_lshlrev_b32_e32 v5, 16, v30
	v_lshlrev_b32_e32 v18, 20, v18
	v_lshl_add_u32 v4, v4, 23, 0x3c000000
	v_and_b32_e32 v5, 0x80000000, v5
	v_or3_b32 v40, v18, v5, v4
.LBB389_345:                            ;   in Loop: Header=BB389_11 Depth=1
	s_or_b32 exec_lo, exec_lo, s23
.LBB389_346:                            ;   in Loop: Header=BB389_11 Depth=1
	s_or_b32 exec_lo, exec_lo, s22
.LBB389_347:                            ;   in Loop: Header=BB389_11 Depth=1
	s_or_b32 exec_lo, exec_lo, s6
	v_and_b32_sdwa v4, v30, v23 dst_sel:DWORD dst_unused:UNUSED_PAD src0_sel:WORD_1 src1_sel:DWORD
	s_mov_b32 s6, exec_lo
	v_cmpx_ne_u16_e32 0, v4
	s_cbranch_execz .LBB389_355
; %bb.348:                              ;   in Loop: Header=BB389_11 Depth=1
	v_bfrev_b32_e32 v41, 1
	s_mov_b32 s22, exec_lo
	v_cmpx_ne_u16_e32 0x80, v4
	s_cbranch_execz .LBB389_354
; %bb.349:                              ;   in Loop: Header=BB389_11 Depth=1
	v_bfe_u32 v5, v30, 16, 7
	v_mov_b32_e32 v41, 0x7f800001
	s_mov_b32 s23, exec_lo
	v_cmpx_ne_u32_e32 0x7f, v5
	s_cbranch_execz .LBB389_353
; %bb.350:                              ;   in Loop: Header=BB389_11 Depth=1
	v_and_b32_sdwa v18, v30, v34 dst_sel:DWORD dst_unused:UNUSED_PAD src0_sel:WORD_1 src1_sel:DWORD
	v_lshrrev_b32_e32 v4, 3, v5
	s_mov_b32 s24, exec_lo
	v_cmpx_gt_u32_e32 8, v5
; %bb.351:                              ;   in Loop: Header=BB389_11 Depth=1
	v_ffbh_u32_e32 v4, v18
	v_min_u32_e32 v4, 32, v4
	v_subrev_nc_u32_e32 v5, 28, v4
	v_sub_nc_u32_e32 v4, 29, v4
	v_lshlrev_b64 v[32:33], v5, v[18:19]
	v_and_b32_e32 v18, 7, v32
; %bb.352:                              ;   in Loop: Header=BB389_11 Depth=1
	s_or_b32 exec_lo, exec_lo, s24
	v_lshlrev_b32_sdwa v5, v38, v30 dst_sel:DWORD dst_unused:UNUSED_PAD src0_sel:DWORD src1_sel:WORD_1
	v_lshlrev_b32_e32 v18, 20, v18
	v_lshl_add_u32 v4, v4, 23, 0x3c000000
	v_and_b32_e32 v5, 0x80000000, v5
	v_or3_b32 v41, v18, v5, v4
.LBB389_353:                            ;   in Loop: Header=BB389_11 Depth=1
	s_or_b32 exec_lo, exec_lo, s23
.LBB389_354:                            ;   in Loop: Header=BB389_11 Depth=1
	s_or_b32 exec_lo, exec_lo, s22
.LBB389_355:                            ;   in Loop: Header=BB389_11 Depth=1
	s_or_b32 exec_lo, exec_lo, s6
	v_mov_b32_e32 v43, 0
	v_mov_b32_e32 v42, 0
	s_mov_b32 s6, exec_lo
	v_cmpx_lt_u32_e32 0xffffff, v30
	s_cbranch_execz .LBB389_363
; %bb.356:                              ;   in Loop: Header=BB389_11 Depth=1
	v_cmp_ne_u32_sdwa s5, v30, v14 src0_sel:BYTE_3 src1_sel:DWORD
	v_bfrev_b32_e32 v42, 1
	s_and_saveexec_b32 s22, s5
	s_cbranch_execz .LBB389_362
; %bb.357:                              ;   in Loop: Header=BB389_11 Depth=1
	v_bfe_u32 v5, v30, 24, 7
	v_mov_b32_e32 v42, 0x7f800001
	s_mov_b32 s23, exec_lo
	v_cmpx_ne_u32_e32 0x7f, v5
	s_cbranch_execz .LBB389_361
; %bb.358:                              ;   in Loop: Header=BB389_11 Depth=1
	v_and_b32_sdwa v18, v30, v34 dst_sel:DWORD dst_unused:UNUSED_PAD src0_sel:BYTE_3 src1_sel:DWORD
	v_lshrrev_b32_e32 v4, 3, v5
	s_mov_b32 s24, exec_lo
	v_cmpx_gt_u32_e32 8, v5
; %bb.359:                              ;   in Loop: Header=BB389_11 Depth=1
	v_ffbh_u32_e32 v4, v18
	v_min_u32_e32 v4, 32, v4
	v_subrev_nc_u32_e32 v5, 28, v4
	v_sub_nc_u32_e32 v4, 29, v4
	v_lshlrev_b64 v[32:33], v5, v[18:19]
	v_and_b32_e32 v18, 7, v32
; %bb.360:                              ;   in Loop: Header=BB389_11 Depth=1
	s_or_b32 exec_lo, exec_lo, s24
	v_lshlrev_b32_sdwa v5, v38, v30 dst_sel:DWORD dst_unused:UNUSED_PAD src0_sel:DWORD src1_sel:BYTE_3
	v_lshlrev_b32_e32 v18, 20, v18
	v_lshl_add_u32 v4, v4, 23, 0x3c000000
	v_and_b32_e32 v5, 0x80000000, v5
	v_or3_b32 v42, v18, v5, v4
.LBB389_361:                            ;   in Loop: Header=BB389_11 Depth=1
	s_or_b32 exec_lo, exec_lo, s23
.LBB389_362:                            ;   in Loop: Header=BB389_11 Depth=1
	s_or_b32 exec_lo, exec_lo, s22
.LBB389_363:                            ;   in Loop: Header=BB389_11 Depth=1
	s_or_b32 exec_lo, exec_lo, s6
	v_mov_b32_e32 v18, v31
	v_cmp_ne_u16_sdwa s5, v31, v19 src0_sel:BYTE_0 src1_sel:DWORD
	s_and_saveexec_b32 s6, s5
	s_cbranch_execz .LBB389_371
; %bb.364:                              ;   in Loop: Header=BB389_11 Depth=1
	v_cmp_ne_u16_sdwa s5, v31, v14 src0_sel:BYTE_0 src1_sel:DWORD
	v_bfrev_b32_e32 v43, 1
	s_and_saveexec_b32 s22, s5
	s_cbranch_execz .LBB389_370
; %bb.365:                              ;   in Loop: Header=BB389_11 Depth=1
	v_and_b32_e32 v5, 0x7f, v31
	v_mov_b32_e32 v43, 0x7f800001
	s_mov_b32 s23, exec_lo
	v_cmpx_ne_u32_e32 0x7f, v5
	s_cbranch_execz .LBB389_369
; %bb.366:                              ;   in Loop: Header=BB389_11 Depth=1
	v_mov_b32_e32 v33, v19
	v_lshrrev_b32_e32 v4, 3, v5
	v_mov_b32_e32 v32, v18
	s_mov_b32 s24, exec_lo
	v_cmpx_gt_u32_e32 8, v5
; %bb.367:                              ;   in Loop: Header=BB389_11 Depth=1
	v_and_b32_e32 v4, 7, v31
	v_ffbh_u32_e32 v4, v4
	v_min_u32_e32 v4, 32, v4
	v_subrev_nc_u32_e32 v5, 28, v4
	v_sub_nc_u32_e32 v4, 29, v4
	v_lshlrev_b64 v[32:33], v5, v[18:19]
; %bb.368:                              ;   in Loop: Header=BB389_11 Depth=1
	s_or_b32 exec_lo, exec_lo, s24
	v_lshlrev_b32_e32 v5, 20, v32
	v_lshlrev_b32_e32 v32, 24, v18
	v_lshl_add_u32 v4, v4, 23, 0x3c000000
	v_and_b32_e32 v5, 0x700000, v5
	v_and_b32_e32 v32, 0x80000000, v32
	v_or3_b32 v43, v5, v32, v4
.LBB389_369:                            ;   in Loop: Header=BB389_11 Depth=1
	s_or_b32 exec_lo, exec_lo, s23
.LBB389_370:                            ;   in Loop: Header=BB389_11 Depth=1
	s_or_b32 exec_lo, exec_lo, s22
.LBB389_371:                            ;   in Loop: Header=BB389_11 Depth=1
	s_or_b32 exec_lo, exec_lo, s6
	v_cmp_ne_u16_sdwa s5, v18, v19 src0_sel:BYTE_1 src1_sel:DWORD
	v_mov_b32_e32 v44, 0
	v_mov_b32_e32 v45, 0
	s_and_saveexec_b32 s6, s5
	s_cbranch_execz .LBB389_379
; %bb.372:                              ;   in Loop: Header=BB389_11 Depth=1
	v_cmp_ne_u16_sdwa s5, v18, v14 src0_sel:BYTE_1 src1_sel:DWORD
	v_bfrev_b32_e32 v45, 1
	s_and_saveexec_b32 s22, s5
	s_cbranch_execz .LBB389_378
; %bb.373:                              ;   in Loop: Header=BB389_11 Depth=1
	v_and_b32_sdwa v4, v15, v18 dst_sel:DWORD dst_unused:UNUSED_PAD src0_sel:DWORD src1_sel:BYTE_1
	v_mov_b32_e32 v45, 0x7f800001
	s_mov_b32 s23, exec_lo
	v_and_b32_e32 v5, 0x7f, v4
	v_cmpx_ne_u32_e32 0x7f, v5
	s_cbranch_execz .LBB389_377
; %bb.374:                              ;   in Loop: Header=BB389_11 Depth=1
	v_and_b32_e32 v32, 7, v4
	v_mov_b32_e32 v33, v19
	v_lshrrev_b32_e32 v4, 3, v5
	s_mov_b32 s24, exec_lo
	v_cmpx_gt_u32_e32 8, v5
; %bb.375:                              ;   in Loop: Header=BB389_11 Depth=1
	v_ffbh_u32_e32 v4, v32
	v_min_u32_e32 v4, 32, v4
	v_subrev_nc_u32_e32 v5, 28, v4
	v_sub_nc_u32_e32 v4, 29, v4
	v_lshlrev_b64 v[32:33], v5, v[32:33]
	v_and_b32_e32 v32, 7, v32
; %bb.376:                              ;   in Loop: Header=BB389_11 Depth=1
	s_or_b32 exec_lo, exec_lo, s24
	v_lshlrev_b32_e32 v5, 16, v18
	v_lshlrev_b32_e32 v18, 20, v32
	v_lshl_add_u32 v4, v4, 23, 0x3c000000
	v_and_b32_e32 v5, 0x80000000, v5
	v_or3_b32 v45, v18, v5, v4
.LBB389_377:                            ;   in Loop: Header=BB389_11 Depth=1
	s_or_b32 exec_lo, exec_lo, s23
.LBB389_378:                            ;   in Loop: Header=BB389_11 Depth=1
	s_or_b32 exec_lo, exec_lo, s22
.LBB389_379:                            ;   in Loop: Header=BB389_11 Depth=1
	s_or_b32 exec_lo, exec_lo, s6
	v_and_b32_sdwa v4, v31, v23 dst_sel:DWORD dst_unused:UNUSED_PAD src0_sel:WORD_1 src1_sel:DWORD
	s_mov_b32 s6, exec_lo
	v_cmpx_ne_u16_e32 0, v4
	s_cbranch_execz .LBB389_387
; %bb.380:                              ;   in Loop: Header=BB389_11 Depth=1
	v_bfrev_b32_e32 v44, 1
	s_mov_b32 s22, exec_lo
	v_cmpx_ne_u16_e32 0x80, v4
	s_cbranch_execz .LBB389_386
; %bb.381:                              ;   in Loop: Header=BB389_11 Depth=1
	v_bfe_u32 v5, v31, 16, 7
	v_mov_b32_e32 v44, 0x7f800001
	s_mov_b32 s23, exec_lo
	v_cmpx_ne_u32_e32 0x7f, v5
	s_cbranch_execz .LBB389_385
; %bb.382:                              ;   in Loop: Header=BB389_11 Depth=1
	v_and_b32_sdwa v18, v31, v34 dst_sel:DWORD dst_unused:UNUSED_PAD src0_sel:WORD_1 src1_sel:DWORD
	v_lshrrev_b32_e32 v4, 3, v5
	s_mov_b32 s24, exec_lo
	v_cmpx_gt_u32_e32 8, v5
; %bb.383:                              ;   in Loop: Header=BB389_11 Depth=1
	v_ffbh_u32_e32 v4, v18
	v_min_u32_e32 v4, 32, v4
	v_subrev_nc_u32_e32 v5, 28, v4
	v_sub_nc_u32_e32 v4, 29, v4
	v_lshlrev_b64 v[32:33], v5, v[18:19]
	v_and_b32_e32 v18, 7, v32
; %bb.384:                              ;   in Loop: Header=BB389_11 Depth=1
	s_or_b32 exec_lo, exec_lo, s24
	v_lshlrev_b32_sdwa v5, v38, v31 dst_sel:DWORD dst_unused:UNUSED_PAD src0_sel:DWORD src1_sel:WORD_1
	v_lshlrev_b32_e32 v18, 20, v18
	v_lshl_add_u32 v4, v4, 23, 0x3c000000
	v_and_b32_e32 v5, 0x80000000, v5
	v_or3_b32 v44, v18, v5, v4
.LBB389_385:                            ;   in Loop: Header=BB389_11 Depth=1
	s_or_b32 exec_lo, exec_lo, s23
.LBB389_386:                            ;   in Loop: Header=BB389_11 Depth=1
	s_or_b32 exec_lo, exec_lo, s22
.LBB389_387:                            ;   in Loop: Header=BB389_11 Depth=1
	s_or_b32 exec_lo, exec_lo, s6
	v_mov_b32_e32 v47, 0
	v_mov_b32_e32 v46, 0
	s_mov_b32 s6, exec_lo
	v_cmpx_lt_u64_e64 s[8:9], v[30:31]
	s_cbranch_execz .LBB389_395
; %bb.388:                              ;   in Loop: Header=BB389_11 Depth=1
	v_cmp_ne_u32_sdwa s5, v31, v14 src0_sel:BYTE_3 src1_sel:DWORD
	v_bfrev_b32_e32 v46, 1
	s_and_saveexec_b32 s22, s5
	s_cbranch_execz .LBB389_394
; %bb.389:                              ;   in Loop: Header=BB389_11 Depth=1
	v_bfe_u32 v5, v31, 24, 7
	v_mov_b32_e32 v46, 0x7f800001
	s_mov_b32 s23, exec_lo
	v_cmpx_ne_u32_e32 0x7f, v5
	s_cbranch_execz .LBB389_393
; %bb.390:                              ;   in Loop: Header=BB389_11 Depth=1
	v_and_b32_sdwa v18, v31, v34 dst_sel:DWORD dst_unused:UNUSED_PAD src0_sel:BYTE_3 src1_sel:DWORD
	v_lshrrev_b32_e32 v4, 3, v5
	s_mov_b32 s24, exec_lo
	v_cmpx_gt_u32_e32 8, v5
; %bb.391:                              ;   in Loop: Header=BB389_11 Depth=1
	v_ffbh_u32_e32 v4, v18
	v_min_u32_e32 v4, 32, v4
	v_subrev_nc_u32_e32 v5, 28, v4
	v_sub_nc_u32_e32 v4, 29, v4
	v_lshlrev_b64 v[32:33], v5, v[18:19]
	v_and_b32_e32 v18, 7, v32
; %bb.392:                              ;   in Loop: Header=BB389_11 Depth=1
	s_or_b32 exec_lo, exec_lo, s24
	v_lshlrev_b32_sdwa v5, v38, v31 dst_sel:DWORD dst_unused:UNUSED_PAD src0_sel:DWORD src1_sel:BYTE_3
	v_lshlrev_b32_e32 v18, 20, v18
	v_lshl_add_u32 v4, v4, 23, 0x3c000000
	v_and_b32_e32 v5, 0x80000000, v5
	v_or3_b32 v46, v18, v5, v4
.LBB389_393:                            ;   in Loop: Header=BB389_11 Depth=1
	s_or_b32 exec_lo, exec_lo, s23
.LBB389_394:                            ;   in Loop: Header=BB389_11 Depth=1
	s_or_b32 exec_lo, exec_lo, s22
.LBB389_395:                            ;   in Loop: Header=BB389_11 Depth=1
	s_or_b32 exec_lo, exec_lo, s6
	flat_load_dwordx2 v[30:31], v[28:29] offset:1536
	s_waitcnt vmcnt(0) lgkmcnt(0)
	v_cmp_ne_u16_sdwa s5, v30, v19 src0_sel:BYTE_0 src1_sel:DWORD
	s_and_saveexec_b32 s6, s5
	s_cbranch_execz .LBB389_403
; %bb.396:                              ;   in Loop: Header=BB389_11 Depth=1
	v_cmp_ne_u16_sdwa s5, v30, v14 src0_sel:BYTE_0 src1_sel:DWORD
	v_bfrev_b32_e32 v47, 1
	s_and_saveexec_b32 s22, s5
	s_cbranch_execz .LBB389_402
; %bb.397:                              ;   in Loop: Header=BB389_11 Depth=1
	v_and_b32_e32 v5, 0x7f, v30
	v_mov_b32_e32 v47, 0x7f800001
	s_mov_b32 s23, exec_lo
	v_cmpx_ne_u32_e32 0x7f, v5
	s_cbranch_execz .LBB389_401
; %bb.398:                              ;   in Loop: Header=BB389_11 Depth=1
	v_mov_b32_e32 v33, v31
	v_lshrrev_b32_e32 v4, 3, v5
	v_mov_b32_e32 v32, v30
	s_mov_b32 s24, exec_lo
	v_cmpx_gt_u32_e32 8, v5
; %bb.399:                              ;   in Loop: Header=BB389_11 Depth=1
	v_and_b32_e32 v4, 7, v30
	v_ffbh_u32_e32 v4, v4
	v_min_u32_e32 v4, 32, v4
	v_subrev_nc_u32_e32 v5, 28, v4
	v_sub_nc_u32_e32 v4, 29, v4
	v_lshlrev_b64 v[32:33], v5, v[30:31]
; %bb.400:                              ;   in Loop: Header=BB389_11 Depth=1
	s_or_b32 exec_lo, exec_lo, s24
	v_lshlrev_b32_e32 v5, 20, v32
	v_lshlrev_b32_e32 v18, 24, v30
	v_lshl_add_u32 v4, v4, 23, 0x3c000000
	v_and_b32_e32 v5, 0x700000, v5
	v_and_b32_e32 v18, 0x80000000, v18
	v_or3_b32 v47, v5, v18, v4
.LBB389_401:                            ;   in Loop: Header=BB389_11 Depth=1
	s_or_b32 exec_lo, exec_lo, s23
.LBB389_402:                            ;   in Loop: Header=BB389_11 Depth=1
	s_or_b32 exec_lo, exec_lo, s22
.LBB389_403:                            ;   in Loop: Header=BB389_11 Depth=1
	s_or_b32 exec_lo, exec_lo, s6
	v_cmp_ne_u16_sdwa s5, v30, v19 src0_sel:BYTE_1 src1_sel:DWORD
	v_mov_b32_e32 v57, 0
	v_mov_b32_e32 v56, 0
	s_and_saveexec_b32 s6, s5
	s_cbranch_execz .LBB389_411
; %bb.404:                              ;   in Loop: Header=BB389_11 Depth=1
	v_cmp_ne_u16_sdwa s5, v30, v14 src0_sel:BYTE_1 src1_sel:DWORD
	v_bfrev_b32_e32 v56, 1
	s_and_saveexec_b32 s22, s5
	s_cbranch_execz .LBB389_410
; %bb.405:                              ;   in Loop: Header=BB389_11 Depth=1
	v_and_b32_sdwa v4, v15, v30 dst_sel:DWORD dst_unused:UNUSED_PAD src0_sel:DWORD src1_sel:BYTE_1
	v_mov_b32_e32 v56, 0x7f800001
	s_mov_b32 s23, exec_lo
	v_and_b32_e32 v5, 0x7f, v4
	v_cmpx_ne_u32_e32 0x7f, v5
	s_cbranch_execz .LBB389_409
; %bb.406:                              ;   in Loop: Header=BB389_11 Depth=1
	v_and_b32_e32 v18, 7, v4
	v_lshrrev_b32_e32 v4, 3, v5
	s_mov_b32 s24, exec_lo
	v_cmpx_gt_u32_e32 8, v5
; %bb.407:                              ;   in Loop: Header=BB389_11 Depth=1
	v_ffbh_u32_e32 v4, v18
	v_min_u32_e32 v4, 32, v4
	v_subrev_nc_u32_e32 v5, 28, v4
	v_sub_nc_u32_e32 v4, 29, v4
	v_lshlrev_b64 v[32:33], v5, v[18:19]
	v_and_b32_e32 v18, 7, v32
; %bb.408:                              ;   in Loop: Header=BB389_11 Depth=1
	s_or_b32 exec_lo, exec_lo, s24
	v_lshlrev_b32_e32 v5, 16, v30
	v_lshlrev_b32_e32 v18, 20, v18
	v_lshl_add_u32 v4, v4, 23, 0x3c000000
	v_and_b32_e32 v5, 0x80000000, v5
	v_or3_b32 v56, v18, v5, v4
.LBB389_409:                            ;   in Loop: Header=BB389_11 Depth=1
	s_or_b32 exec_lo, exec_lo, s23
.LBB389_410:                            ;   in Loop: Header=BB389_11 Depth=1
	s_or_b32 exec_lo, exec_lo, s22
.LBB389_411:                            ;   in Loop: Header=BB389_11 Depth=1
	s_or_b32 exec_lo, exec_lo, s6
	v_and_b32_sdwa v4, v30, v23 dst_sel:DWORD dst_unused:UNUSED_PAD src0_sel:WORD_1 src1_sel:DWORD
	s_mov_b32 s6, exec_lo
	v_cmpx_ne_u16_e32 0, v4
	s_cbranch_execz .LBB389_419
; %bb.412:                              ;   in Loop: Header=BB389_11 Depth=1
	v_bfrev_b32_e32 v57, 1
	s_mov_b32 s22, exec_lo
	v_cmpx_ne_u16_e32 0x80, v4
	s_cbranch_execz .LBB389_418
; %bb.413:                              ;   in Loop: Header=BB389_11 Depth=1
	v_bfe_u32 v5, v30, 16, 7
	v_mov_b32_e32 v57, 0x7f800001
	s_mov_b32 s23, exec_lo
	v_cmpx_ne_u32_e32 0x7f, v5
	s_cbranch_execz .LBB389_417
; %bb.414:                              ;   in Loop: Header=BB389_11 Depth=1
	v_and_b32_sdwa v18, v30, v34 dst_sel:DWORD dst_unused:UNUSED_PAD src0_sel:WORD_1 src1_sel:DWORD
	v_lshrrev_b32_e32 v4, 3, v5
	s_mov_b32 s24, exec_lo
	v_cmpx_gt_u32_e32 8, v5
; %bb.415:                              ;   in Loop: Header=BB389_11 Depth=1
	v_ffbh_u32_e32 v4, v18
	v_min_u32_e32 v4, 32, v4
	v_subrev_nc_u32_e32 v5, 28, v4
	v_sub_nc_u32_e32 v4, 29, v4
	v_lshlrev_b64 v[32:33], v5, v[18:19]
	v_and_b32_e32 v18, 7, v32
; %bb.416:                              ;   in Loop: Header=BB389_11 Depth=1
	s_or_b32 exec_lo, exec_lo, s24
	v_lshlrev_b32_sdwa v5, v38, v30 dst_sel:DWORD dst_unused:UNUSED_PAD src0_sel:DWORD src1_sel:WORD_1
	v_lshlrev_b32_e32 v18, 20, v18
	v_lshl_add_u32 v4, v4, 23, 0x3c000000
	v_and_b32_e32 v5, 0x80000000, v5
	v_or3_b32 v57, v18, v5, v4
.LBB389_417:                            ;   in Loop: Header=BB389_11 Depth=1
	s_or_b32 exec_lo, exec_lo, s23
.LBB389_418:                            ;   in Loop: Header=BB389_11 Depth=1
	s_or_b32 exec_lo, exec_lo, s22
.LBB389_419:                            ;   in Loop: Header=BB389_11 Depth=1
	s_or_b32 exec_lo, exec_lo, s6
	v_mov_b32_e32 v59, 0
	v_mov_b32_e32 v58, 0
	s_mov_b32 s6, exec_lo
	v_cmpx_lt_u32_e32 0xffffff, v30
	s_cbranch_execz .LBB389_427
; %bb.420:                              ;   in Loop: Header=BB389_11 Depth=1
	v_cmp_ne_u32_sdwa s5, v30, v14 src0_sel:BYTE_3 src1_sel:DWORD
	v_bfrev_b32_e32 v58, 1
	s_and_saveexec_b32 s22, s5
	s_cbranch_execz .LBB389_426
; %bb.421:                              ;   in Loop: Header=BB389_11 Depth=1
	v_bfe_u32 v5, v30, 24, 7
	v_mov_b32_e32 v58, 0x7f800001
	s_mov_b32 s23, exec_lo
	v_cmpx_ne_u32_e32 0x7f, v5
	s_cbranch_execz .LBB389_425
; %bb.422:                              ;   in Loop: Header=BB389_11 Depth=1
	v_and_b32_sdwa v18, v30, v34 dst_sel:DWORD dst_unused:UNUSED_PAD src0_sel:BYTE_3 src1_sel:DWORD
	v_lshrrev_b32_e32 v4, 3, v5
	s_mov_b32 s24, exec_lo
	v_cmpx_gt_u32_e32 8, v5
; %bb.423:                              ;   in Loop: Header=BB389_11 Depth=1
	v_ffbh_u32_e32 v4, v18
	v_min_u32_e32 v4, 32, v4
	v_subrev_nc_u32_e32 v5, 28, v4
	v_sub_nc_u32_e32 v4, 29, v4
	v_lshlrev_b64 v[32:33], v5, v[18:19]
	v_and_b32_e32 v18, 7, v32
; %bb.424:                              ;   in Loop: Header=BB389_11 Depth=1
	s_or_b32 exec_lo, exec_lo, s24
	v_lshlrev_b32_sdwa v5, v38, v30 dst_sel:DWORD dst_unused:UNUSED_PAD src0_sel:DWORD src1_sel:BYTE_3
	v_lshlrev_b32_e32 v18, 20, v18
	v_lshl_add_u32 v4, v4, 23, 0x3c000000
	v_and_b32_e32 v5, 0x80000000, v5
	v_or3_b32 v58, v18, v5, v4
.LBB389_425:                            ;   in Loop: Header=BB389_11 Depth=1
	s_or_b32 exec_lo, exec_lo, s23
.LBB389_426:                            ;   in Loop: Header=BB389_11 Depth=1
	s_or_b32 exec_lo, exec_lo, s22
.LBB389_427:                            ;   in Loop: Header=BB389_11 Depth=1
	s_or_b32 exec_lo, exec_lo, s6
	v_mov_b32_e32 v18, v31
	v_cmp_ne_u16_sdwa s5, v31, v19 src0_sel:BYTE_0 src1_sel:DWORD
	s_and_saveexec_b32 s6, s5
	s_cbranch_execz .LBB389_435
; %bb.428:                              ;   in Loop: Header=BB389_11 Depth=1
	v_cmp_ne_u16_sdwa s5, v31, v14 src0_sel:BYTE_0 src1_sel:DWORD
	v_bfrev_b32_e32 v59, 1
	s_and_saveexec_b32 s22, s5
	s_cbranch_execz .LBB389_434
; %bb.429:                              ;   in Loop: Header=BB389_11 Depth=1
	v_and_b32_e32 v5, 0x7f, v31
	v_mov_b32_e32 v59, 0x7f800001
	s_mov_b32 s23, exec_lo
	v_cmpx_ne_u32_e32 0x7f, v5
	s_cbranch_execz .LBB389_433
; %bb.430:                              ;   in Loop: Header=BB389_11 Depth=1
	v_mov_b32_e32 v33, v19
	v_lshrrev_b32_e32 v4, 3, v5
	v_mov_b32_e32 v32, v18
	s_mov_b32 s24, exec_lo
	v_cmpx_gt_u32_e32 8, v5
; %bb.431:                              ;   in Loop: Header=BB389_11 Depth=1
	v_and_b32_e32 v4, 7, v31
	v_ffbh_u32_e32 v4, v4
	v_min_u32_e32 v4, 32, v4
	v_subrev_nc_u32_e32 v5, 28, v4
	v_sub_nc_u32_e32 v4, 29, v4
	v_lshlrev_b64 v[32:33], v5, v[18:19]
; %bb.432:                              ;   in Loop: Header=BB389_11 Depth=1
	s_or_b32 exec_lo, exec_lo, s24
	v_lshlrev_b32_e32 v5, 20, v32
	v_lshlrev_b32_e32 v32, 24, v18
	v_lshl_add_u32 v4, v4, 23, 0x3c000000
	v_and_b32_e32 v5, 0x700000, v5
	v_and_b32_e32 v32, 0x80000000, v32
	v_or3_b32 v59, v5, v32, v4
.LBB389_433:                            ;   in Loop: Header=BB389_11 Depth=1
	s_or_b32 exec_lo, exec_lo, s23
.LBB389_434:                            ;   in Loop: Header=BB389_11 Depth=1
	s_or_b32 exec_lo, exec_lo, s22
.LBB389_435:                            ;   in Loop: Header=BB389_11 Depth=1
	s_or_b32 exec_lo, exec_lo, s6
	v_cmp_ne_u16_sdwa s5, v18, v19 src0_sel:BYTE_1 src1_sel:DWORD
	v_mov_b32_e32 v60, 0
	v_mov_b32_e32 v61, 0
	s_and_saveexec_b32 s6, s5
	s_cbranch_execz .LBB389_443
; %bb.436:                              ;   in Loop: Header=BB389_11 Depth=1
	v_cmp_ne_u16_sdwa s5, v18, v14 src0_sel:BYTE_1 src1_sel:DWORD
	v_bfrev_b32_e32 v61, 1
	s_and_saveexec_b32 s22, s5
	s_cbranch_execz .LBB389_442
; %bb.437:                              ;   in Loop: Header=BB389_11 Depth=1
	v_and_b32_sdwa v4, v15, v18 dst_sel:DWORD dst_unused:UNUSED_PAD src0_sel:DWORD src1_sel:BYTE_1
	v_mov_b32_e32 v61, 0x7f800001
	s_mov_b32 s23, exec_lo
	v_and_b32_e32 v5, 0x7f, v4
	v_cmpx_ne_u32_e32 0x7f, v5
	s_cbranch_execz .LBB389_441
; %bb.438:                              ;   in Loop: Header=BB389_11 Depth=1
	v_and_b32_e32 v32, 7, v4
	v_mov_b32_e32 v33, v19
	v_lshrrev_b32_e32 v4, 3, v5
	s_mov_b32 s24, exec_lo
	v_cmpx_gt_u32_e32 8, v5
; %bb.439:                              ;   in Loop: Header=BB389_11 Depth=1
	v_ffbh_u32_e32 v4, v32
	v_min_u32_e32 v4, 32, v4
	v_subrev_nc_u32_e32 v5, 28, v4
	v_sub_nc_u32_e32 v4, 29, v4
	v_lshlrev_b64 v[32:33], v5, v[32:33]
	v_and_b32_e32 v32, 7, v32
; %bb.440:                              ;   in Loop: Header=BB389_11 Depth=1
	s_or_b32 exec_lo, exec_lo, s24
	v_lshlrev_b32_e32 v5, 16, v18
	v_lshlrev_b32_e32 v18, 20, v32
	v_lshl_add_u32 v4, v4, 23, 0x3c000000
	v_and_b32_e32 v5, 0x80000000, v5
	v_or3_b32 v61, v18, v5, v4
.LBB389_441:                            ;   in Loop: Header=BB389_11 Depth=1
	s_or_b32 exec_lo, exec_lo, s23
.LBB389_442:                            ;   in Loop: Header=BB389_11 Depth=1
	s_or_b32 exec_lo, exec_lo, s22
.LBB389_443:                            ;   in Loop: Header=BB389_11 Depth=1
	s_or_b32 exec_lo, exec_lo, s6
	v_and_b32_sdwa v4, v31, v23 dst_sel:DWORD dst_unused:UNUSED_PAD src0_sel:WORD_1 src1_sel:DWORD
	s_mov_b32 s6, exec_lo
	v_cmpx_ne_u16_e32 0, v4
	s_cbranch_execz .LBB389_451
; %bb.444:                              ;   in Loop: Header=BB389_11 Depth=1
	v_bfrev_b32_e32 v60, 1
	s_mov_b32 s22, exec_lo
	v_cmpx_ne_u16_e32 0x80, v4
	s_cbranch_execz .LBB389_450
; %bb.445:                              ;   in Loop: Header=BB389_11 Depth=1
	v_bfe_u32 v5, v31, 16, 7
	v_mov_b32_e32 v60, 0x7f800001
	s_mov_b32 s23, exec_lo
	v_cmpx_ne_u32_e32 0x7f, v5
	s_cbranch_execz .LBB389_449
; %bb.446:                              ;   in Loop: Header=BB389_11 Depth=1
	v_and_b32_sdwa v18, v31, v34 dst_sel:DWORD dst_unused:UNUSED_PAD src0_sel:WORD_1 src1_sel:DWORD
	v_mov_b32_e32 v33, v19
	v_lshrrev_b32_e32 v4, 3, v5
	s_mov_b32 s24, exec_lo
	v_mov_b32_e32 v32, v18
	v_cmpx_gt_u32_e32 8, v5
; %bb.447:                              ;   in Loop: Header=BB389_11 Depth=1
	v_ffbh_u32_e32 v4, v18
	v_min_u32_e32 v4, 32, v4
	v_subrev_nc_u32_e32 v5, 28, v4
	v_sub_nc_u32_e32 v4, 29, v4
	v_lshlrev_b64 v[32:33], v5, v[18:19]
	v_and_b32_e32 v32, 7, v32
; %bb.448:                              ;   in Loop: Header=BB389_11 Depth=1
	s_or_b32 exec_lo, exec_lo, s24
	v_lshlrev_b32_sdwa v5, v38, v31 dst_sel:DWORD dst_unused:UNUSED_PAD src0_sel:DWORD src1_sel:WORD_1
	v_lshlrev_b32_e32 v18, 20, v32
	v_lshl_add_u32 v4, v4, 23, 0x3c000000
	v_and_b32_e32 v5, 0x80000000, v5
	v_or3_b32 v60, v18, v5, v4
.LBB389_449:                            ;   in Loop: Header=BB389_11 Depth=1
	s_or_b32 exec_lo, exec_lo, s23
.LBB389_450:                            ;   in Loop: Header=BB389_11 Depth=1
	s_or_b32 exec_lo, exec_lo, s22
.LBB389_451:                            ;   in Loop: Header=BB389_11 Depth=1
	s_or_b32 exec_lo, exec_lo, s6
	v_mov_b32_e32 v63, 0
	v_mov_b32_e32 v62, 0
	s_mov_b32 s6, exec_lo
	v_cmpx_lt_u64_e64 s[8:9], v[30:31]
	s_cbranch_execz .LBB389_459
; %bb.452:                              ;   in Loop: Header=BB389_11 Depth=1
	v_cmp_ne_u32_sdwa s5, v31, v14 src0_sel:BYTE_3 src1_sel:DWORD
	v_bfrev_b32_e32 v62, 1
	s_and_saveexec_b32 s22, s5
	s_cbranch_execz .LBB389_458
; %bb.453:                              ;   in Loop: Header=BB389_11 Depth=1
	v_bfe_u32 v5, v31, 24, 7
	v_mov_b32_e32 v62, 0x7f800001
	s_mov_b32 s23, exec_lo
	v_cmpx_ne_u32_e32 0x7f, v5
	s_cbranch_execz .LBB389_457
; %bb.454:                              ;   in Loop: Header=BB389_11 Depth=1
	v_and_b32_sdwa v18, v31, v34 dst_sel:DWORD dst_unused:UNUSED_PAD src0_sel:BYTE_3 src1_sel:DWORD
	v_mov_b32_e32 v33, v19
	v_lshrrev_b32_e32 v4, 3, v5
	s_mov_b32 s24, exec_lo
	v_mov_b32_e32 v32, v18
	v_cmpx_gt_u32_e32 8, v5
; %bb.455:                              ;   in Loop: Header=BB389_11 Depth=1
	v_ffbh_u32_e32 v4, v18
	v_min_u32_e32 v4, 32, v4
	v_subrev_nc_u32_e32 v5, 28, v4
	v_sub_nc_u32_e32 v4, 29, v4
	v_lshlrev_b64 v[32:33], v5, v[18:19]
	v_and_b32_e32 v32, 7, v32
; %bb.456:                              ;   in Loop: Header=BB389_11 Depth=1
	s_or_b32 exec_lo, exec_lo, s24
	v_lshlrev_b32_sdwa v5, v38, v31 dst_sel:DWORD dst_unused:UNUSED_PAD src0_sel:DWORD src1_sel:BYTE_3
	v_lshlrev_b32_e32 v18, 20, v32
	v_lshl_add_u32 v4, v4, 23, 0x3c000000
	v_and_b32_e32 v5, 0x80000000, v5
	v_or3_b32 v62, v18, v5, v4
.LBB389_457:                            ;   in Loop: Header=BB389_11 Depth=1
	s_or_b32 exec_lo, exec_lo, s23
.LBB389_458:                            ;   in Loop: Header=BB389_11 Depth=1
	s_or_b32 exec_lo, exec_lo, s22
.LBB389_459:                            ;   in Loop: Header=BB389_11 Depth=1
	s_or_b32 exec_lo, exec_lo, s6
	flat_load_dwordx2 v[30:31], v[28:29] offset:1544
	s_waitcnt vmcnt(0) lgkmcnt(0)
	v_cmp_ne_u16_sdwa s5, v30, v19 src0_sel:BYTE_0 src1_sel:DWORD
	s_and_saveexec_b32 s6, s5
	s_cbranch_execz .LBB389_467
; %bb.460:                              ;   in Loop: Header=BB389_11 Depth=1
	v_cmp_ne_u16_sdwa s5, v30, v14 src0_sel:BYTE_0 src1_sel:DWORD
	v_bfrev_b32_e32 v63, 1
	s_and_saveexec_b32 s22, s5
	s_cbranch_execz .LBB389_466
; %bb.461:                              ;   in Loop: Header=BB389_11 Depth=1
	v_and_b32_e32 v5, 0x7f, v30
	v_mov_b32_e32 v63, 0x7f800001
	s_mov_b32 s23, exec_lo
	v_cmpx_ne_u32_e32 0x7f, v5
	s_cbranch_execz .LBB389_465
; %bb.462:                              ;   in Loop: Header=BB389_11 Depth=1
	v_mov_b32_e32 v33, v31
	v_lshrrev_b32_e32 v4, 3, v5
	v_mov_b32_e32 v32, v30
	s_mov_b32 s24, exec_lo
	v_cmpx_gt_u32_e32 8, v5
; %bb.463:                              ;   in Loop: Header=BB389_11 Depth=1
	v_and_b32_e32 v4, 7, v30
	v_ffbh_u32_e32 v4, v4
	v_min_u32_e32 v4, 32, v4
	v_subrev_nc_u32_e32 v5, 28, v4
	v_sub_nc_u32_e32 v4, 29, v4
	v_lshlrev_b64 v[32:33], v5, v[30:31]
; %bb.464:                              ;   in Loop: Header=BB389_11 Depth=1
	s_or_b32 exec_lo, exec_lo, s24
	v_lshlrev_b32_e32 v5, 20, v32
	v_lshlrev_b32_e32 v18, 24, v30
	v_lshl_add_u32 v4, v4, 23, 0x3c000000
	v_and_b32_e32 v5, 0x700000, v5
	v_and_b32_e32 v18, 0x80000000, v18
	v_or3_b32 v63, v5, v18, v4
.LBB389_465:                            ;   in Loop: Header=BB389_11 Depth=1
	s_or_b32 exec_lo, exec_lo, s23
.LBB389_466:                            ;   in Loop: Header=BB389_11 Depth=1
	s_or_b32 exec_lo, exec_lo, s22
.LBB389_467:                            ;   in Loop: Header=BB389_11 Depth=1
	s_or_b32 exec_lo, exec_lo, s6
	v_cmp_ne_u16_sdwa s5, v30, v19 src0_sel:BYTE_1 src1_sel:DWORD
	v_mov_b32_e32 v73, 0
	v_mov_b32_e32 v72, 0
	s_and_saveexec_b32 s6, s5
	s_cbranch_execz .LBB389_475
; %bb.468:                              ;   in Loop: Header=BB389_11 Depth=1
	v_cmp_ne_u16_sdwa s5, v30, v14 src0_sel:BYTE_1 src1_sel:DWORD
	v_bfrev_b32_e32 v72, 1
	s_and_saveexec_b32 s22, s5
	s_cbranch_execz .LBB389_474
; %bb.469:                              ;   in Loop: Header=BB389_11 Depth=1
	v_and_b32_sdwa v4, v15, v30 dst_sel:DWORD dst_unused:UNUSED_PAD src0_sel:DWORD src1_sel:BYTE_1
	v_mov_b32_e32 v72, 0x7f800001
	s_mov_b32 s23, exec_lo
	v_and_b32_e32 v5, 0x7f, v4
	v_cmpx_ne_u32_e32 0x7f, v5
	s_cbranch_execz .LBB389_473
; %bb.470:                              ;   in Loop: Header=BB389_11 Depth=1
	v_and_b32_e32 v18, 7, v4
	v_mov_b32_e32 v33, v19
	v_lshrrev_b32_e32 v4, 3, v5
	s_mov_b32 s24, exec_lo
	v_mov_b32_e32 v32, v18
	v_cmpx_gt_u32_e32 8, v5
; %bb.471:                              ;   in Loop: Header=BB389_11 Depth=1
	v_ffbh_u32_e32 v4, v18
	v_min_u32_e32 v4, 32, v4
	v_subrev_nc_u32_e32 v5, 28, v4
	v_sub_nc_u32_e32 v4, 29, v4
	v_lshlrev_b64 v[32:33], v5, v[18:19]
	v_and_b32_e32 v32, 7, v32
; %bb.472:                              ;   in Loop: Header=BB389_11 Depth=1
	s_or_b32 exec_lo, exec_lo, s24
	v_lshlrev_b32_e32 v5, 16, v30
	v_lshlrev_b32_e32 v18, 20, v32
	v_lshl_add_u32 v4, v4, 23, 0x3c000000
	v_and_b32_e32 v5, 0x80000000, v5
	v_or3_b32 v72, v18, v5, v4
.LBB389_473:                            ;   in Loop: Header=BB389_11 Depth=1
	s_or_b32 exec_lo, exec_lo, s23
.LBB389_474:                            ;   in Loop: Header=BB389_11 Depth=1
	s_or_b32 exec_lo, exec_lo, s22
.LBB389_475:                            ;   in Loop: Header=BB389_11 Depth=1
	s_or_b32 exec_lo, exec_lo, s6
	v_and_b32_sdwa v4, v30, v23 dst_sel:DWORD dst_unused:UNUSED_PAD src0_sel:WORD_1 src1_sel:DWORD
	s_mov_b32 s6, exec_lo
	v_cmpx_ne_u16_e32 0, v4
	s_cbranch_execz .LBB389_483
; %bb.476:                              ;   in Loop: Header=BB389_11 Depth=1
	v_bfrev_b32_e32 v73, 1
	s_mov_b32 s22, exec_lo
	v_cmpx_ne_u16_e32 0x80, v4
	s_cbranch_execz .LBB389_482
; %bb.477:                              ;   in Loop: Header=BB389_11 Depth=1
	v_bfe_u32 v5, v30, 16, 7
	v_mov_b32_e32 v73, 0x7f800001
	s_mov_b32 s23, exec_lo
	v_cmpx_ne_u32_e32 0x7f, v5
	s_cbranch_execz .LBB389_481
; %bb.478:                              ;   in Loop: Header=BB389_11 Depth=1
	v_and_b32_sdwa v18, v30, v34 dst_sel:DWORD dst_unused:UNUSED_PAD src0_sel:WORD_1 src1_sel:DWORD
	v_mov_b32_e32 v33, v19
	v_lshrrev_b32_e32 v4, 3, v5
	s_mov_b32 s24, exec_lo
	v_mov_b32_e32 v32, v18
	v_cmpx_gt_u32_e32 8, v5
; %bb.479:                              ;   in Loop: Header=BB389_11 Depth=1
	v_ffbh_u32_e32 v4, v18
	v_min_u32_e32 v4, 32, v4
	v_subrev_nc_u32_e32 v5, 28, v4
	v_sub_nc_u32_e32 v4, 29, v4
	v_lshlrev_b64 v[32:33], v5, v[18:19]
	v_and_b32_e32 v32, 7, v32
; %bb.480:                              ;   in Loop: Header=BB389_11 Depth=1
	s_or_b32 exec_lo, exec_lo, s24
	v_lshlrev_b32_sdwa v5, v38, v30 dst_sel:DWORD dst_unused:UNUSED_PAD src0_sel:DWORD src1_sel:WORD_1
	v_lshlrev_b32_e32 v18, 20, v32
	v_lshl_add_u32 v4, v4, 23, 0x3c000000
	v_and_b32_e32 v5, 0x80000000, v5
	v_or3_b32 v73, v18, v5, v4
.LBB389_481:                            ;   in Loop: Header=BB389_11 Depth=1
	s_or_b32 exec_lo, exec_lo, s23
.LBB389_482:                            ;   in Loop: Header=BB389_11 Depth=1
	s_or_b32 exec_lo, exec_lo, s22
.LBB389_483:                            ;   in Loop: Header=BB389_11 Depth=1
	s_or_b32 exec_lo, exec_lo, s6
	v_mov_b32_e32 v75, 0
	v_mov_b32_e32 v74, 0
	s_mov_b32 s6, exec_lo
	v_cmpx_lt_u32_e32 0xffffff, v30
	s_cbranch_execz .LBB389_491
; %bb.484:                              ;   in Loop: Header=BB389_11 Depth=1
	v_cmp_ne_u32_sdwa s5, v30, v14 src0_sel:BYTE_3 src1_sel:DWORD
	v_bfrev_b32_e32 v74, 1
	s_and_saveexec_b32 s22, s5
	s_cbranch_execz .LBB389_490
; %bb.485:                              ;   in Loop: Header=BB389_11 Depth=1
	v_bfe_u32 v5, v30, 24, 7
	v_mov_b32_e32 v74, 0x7f800001
	s_mov_b32 s23, exec_lo
	v_cmpx_ne_u32_e32 0x7f, v5
	s_cbranch_execz .LBB389_489
; %bb.486:                              ;   in Loop: Header=BB389_11 Depth=1
	v_and_b32_sdwa v18, v30, v34 dst_sel:DWORD dst_unused:UNUSED_PAD src0_sel:BYTE_3 src1_sel:DWORD
	v_mov_b32_e32 v33, v19
	v_lshrrev_b32_e32 v4, 3, v5
	s_mov_b32 s24, exec_lo
	v_mov_b32_e32 v32, v18
	v_cmpx_gt_u32_e32 8, v5
; %bb.487:                              ;   in Loop: Header=BB389_11 Depth=1
	v_ffbh_u32_e32 v4, v18
	v_min_u32_e32 v4, 32, v4
	v_subrev_nc_u32_e32 v5, 28, v4
	v_sub_nc_u32_e32 v4, 29, v4
	v_lshlrev_b64 v[32:33], v5, v[18:19]
	v_and_b32_e32 v32, 7, v32
; %bb.488:                              ;   in Loop: Header=BB389_11 Depth=1
	s_or_b32 exec_lo, exec_lo, s24
	v_lshlrev_b32_sdwa v5, v38, v30 dst_sel:DWORD dst_unused:UNUSED_PAD src0_sel:DWORD src1_sel:BYTE_3
	v_lshlrev_b32_e32 v18, 20, v32
	v_lshl_add_u32 v4, v4, 23, 0x3c000000
	v_and_b32_e32 v5, 0x80000000, v5
	v_or3_b32 v74, v18, v5, v4
.LBB389_489:                            ;   in Loop: Header=BB389_11 Depth=1
	s_or_b32 exec_lo, exec_lo, s23
.LBB389_490:                            ;   in Loop: Header=BB389_11 Depth=1
	s_or_b32 exec_lo, exec_lo, s22
.LBB389_491:                            ;   in Loop: Header=BB389_11 Depth=1
	s_or_b32 exec_lo, exec_lo, s6
	v_mov_b32_e32 v18, v31
	v_cmp_ne_u16_sdwa s5, v31, v19 src0_sel:BYTE_0 src1_sel:DWORD
	s_and_saveexec_b32 s6, s5
	s_cbranch_execz .LBB389_499
; %bb.492:                              ;   in Loop: Header=BB389_11 Depth=1
	v_cmp_ne_u16_sdwa s5, v31, v14 src0_sel:BYTE_0 src1_sel:DWORD
	v_bfrev_b32_e32 v75, 1
	s_and_saveexec_b32 s22, s5
	s_cbranch_execz .LBB389_498
; %bb.493:                              ;   in Loop: Header=BB389_11 Depth=1
	v_and_b32_e32 v5, 0x7f, v31
	v_mov_b32_e32 v75, 0x7f800001
	s_mov_b32 s23, exec_lo
	v_cmpx_ne_u32_e32 0x7f, v5
	s_cbranch_execz .LBB389_497
; %bb.494:                              ;   in Loop: Header=BB389_11 Depth=1
	v_mov_b32_e32 v33, v19
	v_lshrrev_b32_e32 v4, 3, v5
	v_mov_b32_e32 v32, v18
	s_mov_b32 s24, exec_lo
	v_cmpx_gt_u32_e32 8, v5
; %bb.495:                              ;   in Loop: Header=BB389_11 Depth=1
	v_and_b32_e32 v4, 7, v31
	v_ffbh_u32_e32 v4, v4
	v_min_u32_e32 v4, 32, v4
	v_subrev_nc_u32_e32 v5, 28, v4
	v_sub_nc_u32_e32 v4, 29, v4
	v_lshlrev_b64 v[32:33], v5, v[18:19]
; %bb.496:                              ;   in Loop: Header=BB389_11 Depth=1
	s_or_b32 exec_lo, exec_lo, s24
	v_lshlrev_b32_e32 v5, 20, v32
	v_lshlrev_b32_e32 v32, 24, v18
	v_lshl_add_u32 v4, v4, 23, 0x3c000000
	v_and_b32_e32 v5, 0x700000, v5
	v_and_b32_e32 v32, 0x80000000, v32
	v_or3_b32 v75, v5, v32, v4
.LBB389_497:                            ;   in Loop: Header=BB389_11 Depth=1
	s_or_b32 exec_lo, exec_lo, s23
.LBB389_498:                            ;   in Loop: Header=BB389_11 Depth=1
	s_or_b32 exec_lo, exec_lo, s22
.LBB389_499:                            ;   in Loop: Header=BB389_11 Depth=1
	s_or_b32 exec_lo, exec_lo, s6
	v_cmp_ne_u16_sdwa s5, v18, v19 src0_sel:BYTE_1 src1_sel:DWORD
	v_mov_b32_e32 v76, 0
	v_mov_b32_e32 v77, 0
	s_and_saveexec_b32 s6, s5
	s_cbranch_execz .LBB389_507
; %bb.500:                              ;   in Loop: Header=BB389_11 Depth=1
	v_cmp_ne_u16_sdwa s5, v18, v14 src0_sel:BYTE_1 src1_sel:DWORD
	v_bfrev_b32_e32 v77, 1
	s_and_saveexec_b32 s22, s5
	s_cbranch_execz .LBB389_506
; %bb.501:                              ;   in Loop: Header=BB389_11 Depth=1
	v_and_b32_sdwa v4, v15, v18 dst_sel:DWORD dst_unused:UNUSED_PAD src0_sel:DWORD src1_sel:BYTE_1
	v_mov_b32_e32 v77, 0x7f800001
	s_mov_b32 s23, exec_lo
	v_and_b32_e32 v5, 0x7f, v4
	v_cmpx_ne_u32_e32 0x7f, v5
	s_cbranch_execz .LBB389_505
; %bb.502:                              ;   in Loop: Header=BB389_11 Depth=1
	v_and_b32_e32 v32, 7, v4
	v_mov_b32_e32 v33, v19
	v_lshrrev_b32_e32 v4, 3, v5
	s_mov_b32 s24, exec_lo
	v_cmpx_gt_u32_e32 8, v5
; %bb.503:                              ;   in Loop: Header=BB389_11 Depth=1
	v_ffbh_u32_e32 v4, v32
	v_min_u32_e32 v4, 32, v4
	v_subrev_nc_u32_e32 v5, 28, v4
	v_sub_nc_u32_e32 v4, 29, v4
	v_lshlrev_b64 v[32:33], v5, v[32:33]
	v_and_b32_e32 v32, 7, v32
; %bb.504:                              ;   in Loop: Header=BB389_11 Depth=1
	s_or_b32 exec_lo, exec_lo, s24
	v_lshlrev_b32_e32 v5, 16, v18
	v_lshlrev_b32_e32 v18, 20, v32
	v_lshl_add_u32 v4, v4, 23, 0x3c000000
	v_and_b32_e32 v5, 0x80000000, v5
	v_or3_b32 v77, v18, v5, v4
.LBB389_505:                            ;   in Loop: Header=BB389_11 Depth=1
	s_or_b32 exec_lo, exec_lo, s23
.LBB389_506:                            ;   in Loop: Header=BB389_11 Depth=1
	s_or_b32 exec_lo, exec_lo, s22
.LBB389_507:                            ;   in Loop: Header=BB389_11 Depth=1
	s_or_b32 exec_lo, exec_lo, s6
	v_and_b32_sdwa v4, v31, v23 dst_sel:DWORD dst_unused:UNUSED_PAD src0_sel:WORD_1 src1_sel:DWORD
	s_mov_b32 s6, exec_lo
	v_cmpx_ne_u16_e32 0, v4
	s_cbranch_execz .LBB389_515
; %bb.508:                              ;   in Loop: Header=BB389_11 Depth=1
	v_bfrev_b32_e32 v76, 1
	s_mov_b32 s22, exec_lo
	v_cmpx_ne_u16_e32 0x80, v4
	s_cbranch_execz .LBB389_514
; %bb.509:                              ;   in Loop: Header=BB389_11 Depth=1
	v_bfe_u32 v5, v31, 16, 7
	v_mov_b32_e32 v76, 0x7f800001
	s_mov_b32 s23, exec_lo
	v_cmpx_ne_u32_e32 0x7f, v5
	s_cbranch_execz .LBB389_513
; %bb.510:                              ;   in Loop: Header=BB389_11 Depth=1
	v_and_b32_sdwa v18, v31, v34 dst_sel:DWORD dst_unused:UNUSED_PAD src0_sel:WORD_1 src1_sel:DWORD
	v_mov_b32_e32 v33, v19
	v_lshrrev_b32_e32 v4, 3, v5
	s_mov_b32 s24, exec_lo
	v_mov_b32_e32 v32, v18
	v_cmpx_gt_u32_e32 8, v5
; %bb.511:                              ;   in Loop: Header=BB389_11 Depth=1
	v_ffbh_u32_e32 v4, v18
	v_min_u32_e32 v4, 32, v4
	v_subrev_nc_u32_e32 v5, 28, v4
	v_sub_nc_u32_e32 v4, 29, v4
	v_lshlrev_b64 v[32:33], v5, v[18:19]
	v_and_b32_e32 v32, 7, v32
; %bb.512:                              ;   in Loop: Header=BB389_11 Depth=1
	s_or_b32 exec_lo, exec_lo, s24
	v_lshlrev_b32_sdwa v5, v38, v31 dst_sel:DWORD dst_unused:UNUSED_PAD src0_sel:DWORD src1_sel:WORD_1
	v_lshlrev_b32_e32 v18, 20, v32
	v_lshl_add_u32 v4, v4, 23, 0x3c000000
	v_and_b32_e32 v5, 0x80000000, v5
	v_or3_b32 v76, v18, v5, v4
.LBB389_513:                            ;   in Loop: Header=BB389_11 Depth=1
	s_or_b32 exec_lo, exec_lo, s23
.LBB389_514:                            ;   in Loop: Header=BB389_11 Depth=1
	s_or_b32 exec_lo, exec_lo, s22
.LBB389_515:                            ;   in Loop: Header=BB389_11 Depth=1
	s_or_b32 exec_lo, exec_lo, s6
	v_mov_b32_e32 v79, 0
	v_mov_b32_e32 v78, 0
	s_mov_b32 s6, exec_lo
	v_cmpx_lt_u64_e64 s[8:9], v[30:31]
	s_cbranch_execz .LBB389_523
; %bb.516:                              ;   in Loop: Header=BB389_11 Depth=1
	v_cmp_ne_u32_sdwa s5, v31, v14 src0_sel:BYTE_3 src1_sel:DWORD
	v_bfrev_b32_e32 v78, 1
	s_and_saveexec_b32 s22, s5
	s_cbranch_execz .LBB389_522
; %bb.517:                              ;   in Loop: Header=BB389_11 Depth=1
	v_bfe_u32 v5, v31, 24, 7
	v_mov_b32_e32 v78, 0x7f800001
	s_mov_b32 s23, exec_lo
	v_cmpx_ne_u32_e32 0x7f, v5
	s_cbranch_execz .LBB389_521
; %bb.518:                              ;   in Loop: Header=BB389_11 Depth=1
	v_and_b32_sdwa v18, v31, v34 dst_sel:DWORD dst_unused:UNUSED_PAD src0_sel:BYTE_3 src1_sel:DWORD
	v_mov_b32_e32 v33, v19
	v_lshrrev_b32_e32 v4, 3, v5
	s_mov_b32 s24, exec_lo
	v_mov_b32_e32 v32, v18
	v_cmpx_gt_u32_e32 8, v5
; %bb.519:                              ;   in Loop: Header=BB389_11 Depth=1
	v_ffbh_u32_e32 v4, v18
	v_min_u32_e32 v4, 32, v4
	v_subrev_nc_u32_e32 v5, 28, v4
	v_sub_nc_u32_e32 v4, 29, v4
	v_lshlrev_b64 v[32:33], v5, v[18:19]
	v_and_b32_e32 v32, 7, v32
; %bb.520:                              ;   in Loop: Header=BB389_11 Depth=1
	s_or_b32 exec_lo, exec_lo, s24
	v_lshlrev_b32_sdwa v5, v38, v31 dst_sel:DWORD dst_unused:UNUSED_PAD src0_sel:DWORD src1_sel:BYTE_3
	v_lshlrev_b32_e32 v18, 20, v32
	v_lshl_add_u32 v4, v4, 23, 0x3c000000
	v_and_b32_e32 v5, 0x80000000, v5
	v_or3_b32 v78, v18, v5, v4
.LBB389_521:                            ;   in Loop: Header=BB389_11 Depth=1
	s_or_b32 exec_lo, exec_lo, s23
.LBB389_522:                            ;   in Loop: Header=BB389_11 Depth=1
	s_or_b32 exec_lo, exec_lo, s22
.LBB389_523:                            ;   in Loop: Header=BB389_11 Depth=1
	s_or_b32 exec_lo, exec_lo, s6
	v_add_co_u32 v28, s5, 0x800, v28
	v_add_co_ci_u32_e64 v29, null, 0, v29, s5
	flat_load_dwordx2 v[30:31], v[28:29]
	s_waitcnt vmcnt(0) lgkmcnt(0)
	v_cmp_ne_u16_sdwa s5, v30, v19 src0_sel:BYTE_0 src1_sel:DWORD
	s_and_saveexec_b32 s6, s5
	s_cbranch_execz .LBB389_531
; %bb.524:                              ;   in Loop: Header=BB389_11 Depth=1
	v_cmp_ne_u16_sdwa s5, v30, v14 src0_sel:BYTE_0 src1_sel:DWORD
	v_bfrev_b32_e32 v79, 1
	s_and_saveexec_b32 s22, s5
	s_cbranch_execz .LBB389_530
; %bb.525:                              ;   in Loop: Header=BB389_11 Depth=1
	v_and_b32_e32 v5, 0x7f, v30
	v_mov_b32_e32 v79, 0x7f800001
	s_mov_b32 s23, exec_lo
	v_cmpx_ne_u32_e32 0x7f, v5
	s_cbranch_execz .LBB389_529
; %bb.526:                              ;   in Loop: Header=BB389_11 Depth=1
	v_mov_b32_e32 v33, v31
	v_lshrrev_b32_e32 v4, 3, v5
	v_mov_b32_e32 v32, v30
	s_mov_b32 s24, exec_lo
	v_cmpx_gt_u32_e32 8, v5
; %bb.527:                              ;   in Loop: Header=BB389_11 Depth=1
	v_and_b32_e32 v4, 7, v30
	v_ffbh_u32_e32 v4, v4
	v_min_u32_e32 v4, 32, v4
	v_subrev_nc_u32_e32 v5, 28, v4
	v_sub_nc_u32_e32 v4, 29, v4
	v_lshlrev_b64 v[32:33], v5, v[30:31]
; %bb.528:                              ;   in Loop: Header=BB389_11 Depth=1
	s_or_b32 exec_lo, exec_lo, s24
	v_lshlrev_b32_e32 v5, 20, v32
	v_lshlrev_b32_e32 v18, 24, v30
	v_lshl_add_u32 v4, v4, 23, 0x3c000000
	v_and_b32_e32 v5, 0x700000, v5
	v_and_b32_e32 v18, 0x80000000, v18
	v_or3_b32 v79, v5, v18, v4
.LBB389_529:                            ;   in Loop: Header=BB389_11 Depth=1
	s_or_b32 exec_lo, exec_lo, s23
.LBB389_530:                            ;   in Loop: Header=BB389_11 Depth=1
	s_or_b32 exec_lo, exec_lo, s22
.LBB389_531:                            ;   in Loop: Header=BB389_11 Depth=1
	s_or_b32 exec_lo, exec_lo, s6
	v_cmp_ne_u16_sdwa s5, v30, v19 src0_sel:BYTE_1 src1_sel:DWORD
	v_mov_b32_e32 v89, 0
	v_mov_b32_e32 v88, 0
	s_and_saveexec_b32 s6, s5
	s_cbranch_execz .LBB389_539
; %bb.532:                              ;   in Loop: Header=BB389_11 Depth=1
	v_cmp_ne_u16_sdwa s5, v30, v14 src0_sel:BYTE_1 src1_sel:DWORD
	v_bfrev_b32_e32 v88, 1
	s_and_saveexec_b32 s22, s5
	s_cbranch_execz .LBB389_538
; %bb.533:                              ;   in Loop: Header=BB389_11 Depth=1
	v_and_b32_sdwa v4, v15, v30 dst_sel:DWORD dst_unused:UNUSED_PAD src0_sel:DWORD src1_sel:BYTE_1
	v_mov_b32_e32 v88, 0x7f800001
	s_mov_b32 s23, exec_lo
	v_and_b32_e32 v5, 0x7f, v4
	v_cmpx_ne_u32_e32 0x7f, v5
	s_cbranch_execz .LBB389_537
; %bb.534:                              ;   in Loop: Header=BB389_11 Depth=1
	v_and_b32_e32 v18, 7, v4
	v_mov_b32_e32 v33, v19
	v_lshrrev_b32_e32 v4, 3, v5
	s_mov_b32 s24, exec_lo
	v_mov_b32_e32 v32, v18
	v_cmpx_gt_u32_e32 8, v5
; %bb.535:                              ;   in Loop: Header=BB389_11 Depth=1
	v_ffbh_u32_e32 v4, v18
	v_min_u32_e32 v4, 32, v4
	v_subrev_nc_u32_e32 v5, 28, v4
	v_sub_nc_u32_e32 v4, 29, v4
	v_lshlrev_b64 v[32:33], v5, v[18:19]
	v_and_b32_e32 v32, 7, v32
; %bb.536:                              ;   in Loop: Header=BB389_11 Depth=1
	s_or_b32 exec_lo, exec_lo, s24
	v_lshlrev_b32_e32 v5, 16, v30
	v_lshlrev_b32_e32 v18, 20, v32
	v_lshl_add_u32 v4, v4, 23, 0x3c000000
	v_and_b32_e32 v5, 0x80000000, v5
	v_or3_b32 v88, v18, v5, v4
.LBB389_537:                            ;   in Loop: Header=BB389_11 Depth=1
	s_or_b32 exec_lo, exec_lo, s23
.LBB389_538:                            ;   in Loop: Header=BB389_11 Depth=1
	s_or_b32 exec_lo, exec_lo, s22
.LBB389_539:                            ;   in Loop: Header=BB389_11 Depth=1
	s_or_b32 exec_lo, exec_lo, s6
	v_and_b32_sdwa v4, v30, v23 dst_sel:DWORD dst_unused:UNUSED_PAD src0_sel:WORD_1 src1_sel:DWORD
	s_mov_b32 s6, exec_lo
	v_cmpx_ne_u16_e32 0, v4
	s_cbranch_execz .LBB389_547
; %bb.540:                              ;   in Loop: Header=BB389_11 Depth=1
	v_bfrev_b32_e32 v89, 1
	s_mov_b32 s22, exec_lo
	v_cmpx_ne_u16_e32 0x80, v4
	s_cbranch_execz .LBB389_546
; %bb.541:                              ;   in Loop: Header=BB389_11 Depth=1
	v_bfe_u32 v5, v30, 16, 7
	v_mov_b32_e32 v89, 0x7f800001
	s_mov_b32 s23, exec_lo
	v_cmpx_ne_u32_e32 0x7f, v5
	s_cbranch_execz .LBB389_545
; %bb.542:                              ;   in Loop: Header=BB389_11 Depth=1
	v_and_b32_sdwa v18, v30, v34 dst_sel:DWORD dst_unused:UNUSED_PAD src0_sel:WORD_1 src1_sel:DWORD
	v_mov_b32_e32 v33, v19
	v_lshrrev_b32_e32 v4, 3, v5
	s_mov_b32 s24, exec_lo
	v_mov_b32_e32 v32, v18
	v_cmpx_gt_u32_e32 8, v5
; %bb.543:                              ;   in Loop: Header=BB389_11 Depth=1
	v_ffbh_u32_e32 v4, v18
	v_min_u32_e32 v4, 32, v4
	v_subrev_nc_u32_e32 v5, 28, v4
	v_sub_nc_u32_e32 v4, 29, v4
	v_lshlrev_b64 v[32:33], v5, v[18:19]
	v_and_b32_e32 v32, 7, v32
; %bb.544:                              ;   in Loop: Header=BB389_11 Depth=1
	s_or_b32 exec_lo, exec_lo, s24
	v_lshlrev_b32_sdwa v5, v38, v30 dst_sel:DWORD dst_unused:UNUSED_PAD src0_sel:DWORD src1_sel:WORD_1
	v_lshlrev_b32_e32 v18, 20, v32
	v_lshl_add_u32 v4, v4, 23, 0x3c000000
	v_and_b32_e32 v5, 0x80000000, v5
	v_or3_b32 v89, v18, v5, v4
.LBB389_545:                            ;   in Loop: Header=BB389_11 Depth=1
	s_or_b32 exec_lo, exec_lo, s23
.LBB389_546:                            ;   in Loop: Header=BB389_11 Depth=1
	s_or_b32 exec_lo, exec_lo, s22
.LBB389_547:                            ;   in Loop: Header=BB389_11 Depth=1
	s_or_b32 exec_lo, exec_lo, s6
	v_mov_b32_e32 v91, 0
	v_mov_b32_e32 v90, 0
	s_mov_b32 s6, exec_lo
	v_cmpx_lt_u32_e32 0xffffff, v30
	s_cbranch_execz .LBB389_555
; %bb.548:                              ;   in Loop: Header=BB389_11 Depth=1
	v_cmp_ne_u32_sdwa s5, v30, v14 src0_sel:BYTE_3 src1_sel:DWORD
	v_bfrev_b32_e32 v90, 1
	s_and_saveexec_b32 s22, s5
	s_cbranch_execz .LBB389_554
; %bb.549:                              ;   in Loop: Header=BB389_11 Depth=1
	v_bfe_u32 v5, v30, 24, 7
	v_mov_b32_e32 v90, 0x7f800001
	s_mov_b32 s23, exec_lo
	v_cmpx_ne_u32_e32 0x7f, v5
	s_cbranch_execz .LBB389_553
; %bb.550:                              ;   in Loop: Header=BB389_11 Depth=1
	v_and_b32_sdwa v18, v30, v34 dst_sel:DWORD dst_unused:UNUSED_PAD src0_sel:BYTE_3 src1_sel:DWORD
	v_mov_b32_e32 v33, v19
	v_lshrrev_b32_e32 v4, 3, v5
	s_mov_b32 s24, exec_lo
	v_mov_b32_e32 v32, v18
	v_cmpx_gt_u32_e32 8, v5
; %bb.551:                              ;   in Loop: Header=BB389_11 Depth=1
	v_ffbh_u32_e32 v4, v18
	v_min_u32_e32 v4, 32, v4
	v_subrev_nc_u32_e32 v5, 28, v4
	v_sub_nc_u32_e32 v4, 29, v4
	v_lshlrev_b64 v[32:33], v5, v[18:19]
	v_and_b32_e32 v32, 7, v32
; %bb.552:                              ;   in Loop: Header=BB389_11 Depth=1
	s_or_b32 exec_lo, exec_lo, s24
	v_lshlrev_b32_sdwa v5, v38, v30 dst_sel:DWORD dst_unused:UNUSED_PAD src0_sel:DWORD src1_sel:BYTE_3
	v_lshlrev_b32_e32 v18, 20, v32
	v_lshl_add_u32 v4, v4, 23, 0x3c000000
	v_and_b32_e32 v5, 0x80000000, v5
	v_or3_b32 v90, v18, v5, v4
.LBB389_553:                            ;   in Loop: Header=BB389_11 Depth=1
	s_or_b32 exec_lo, exec_lo, s23
.LBB389_554:                            ;   in Loop: Header=BB389_11 Depth=1
	s_or_b32 exec_lo, exec_lo, s22
.LBB389_555:                            ;   in Loop: Header=BB389_11 Depth=1
	s_or_b32 exec_lo, exec_lo, s6
	v_mov_b32_e32 v18, v31
	v_cmp_ne_u16_sdwa s5, v31, v19 src0_sel:BYTE_0 src1_sel:DWORD
	s_and_saveexec_b32 s6, s5
	s_cbranch_execz .LBB389_563
; %bb.556:                              ;   in Loop: Header=BB389_11 Depth=1
	v_cmp_ne_u16_sdwa s5, v31, v14 src0_sel:BYTE_0 src1_sel:DWORD
	v_bfrev_b32_e32 v91, 1
	s_and_saveexec_b32 s22, s5
	s_cbranch_execz .LBB389_562
; %bb.557:                              ;   in Loop: Header=BB389_11 Depth=1
	v_and_b32_e32 v5, 0x7f, v31
	v_mov_b32_e32 v91, 0x7f800001
	s_mov_b32 s23, exec_lo
	v_cmpx_ne_u32_e32 0x7f, v5
	s_cbranch_execz .LBB389_561
; %bb.558:                              ;   in Loop: Header=BB389_11 Depth=1
	v_mov_b32_e32 v33, v19
	v_lshrrev_b32_e32 v4, 3, v5
	v_mov_b32_e32 v32, v18
	s_mov_b32 s24, exec_lo
	v_cmpx_gt_u32_e32 8, v5
; %bb.559:                              ;   in Loop: Header=BB389_11 Depth=1
	v_and_b32_e32 v4, 7, v31
	v_ffbh_u32_e32 v4, v4
	v_min_u32_e32 v4, 32, v4
	v_subrev_nc_u32_e32 v5, 28, v4
	v_sub_nc_u32_e32 v4, 29, v4
	v_lshlrev_b64 v[32:33], v5, v[18:19]
; %bb.560:                              ;   in Loop: Header=BB389_11 Depth=1
	s_or_b32 exec_lo, exec_lo, s24
	v_lshlrev_b32_e32 v5, 20, v32
	v_lshlrev_b32_e32 v32, 24, v18
	v_lshl_add_u32 v4, v4, 23, 0x3c000000
	v_and_b32_e32 v5, 0x700000, v5
	v_and_b32_e32 v32, 0x80000000, v32
	v_or3_b32 v91, v5, v32, v4
.LBB389_561:                            ;   in Loop: Header=BB389_11 Depth=1
	s_or_b32 exec_lo, exec_lo, s23
.LBB389_562:                            ;   in Loop: Header=BB389_11 Depth=1
	s_or_b32 exec_lo, exec_lo, s22
.LBB389_563:                            ;   in Loop: Header=BB389_11 Depth=1
	s_or_b32 exec_lo, exec_lo, s6
	v_cmp_ne_u16_sdwa s5, v18, v19 src0_sel:BYTE_1 src1_sel:DWORD
	v_mov_b32_e32 v92, 0
	v_mov_b32_e32 v93, 0
	s_and_saveexec_b32 s6, s5
	s_cbranch_execz .LBB389_571
; %bb.564:                              ;   in Loop: Header=BB389_11 Depth=1
	v_cmp_ne_u16_sdwa s5, v18, v14 src0_sel:BYTE_1 src1_sel:DWORD
	v_bfrev_b32_e32 v93, 1
	s_and_saveexec_b32 s22, s5
	s_cbranch_execz .LBB389_570
; %bb.565:                              ;   in Loop: Header=BB389_11 Depth=1
	v_and_b32_sdwa v4, v15, v18 dst_sel:DWORD dst_unused:UNUSED_PAD src0_sel:DWORD src1_sel:BYTE_1
	v_mov_b32_e32 v93, 0x7f800001
	s_mov_b32 s23, exec_lo
	v_and_b32_e32 v5, 0x7f, v4
	v_cmpx_ne_u32_e32 0x7f, v5
	s_cbranch_execz .LBB389_569
; %bb.566:                              ;   in Loop: Header=BB389_11 Depth=1
	v_and_b32_e32 v32, 7, v4
	v_mov_b32_e32 v33, v19
	v_lshrrev_b32_e32 v4, 3, v5
	s_mov_b32 s24, exec_lo
	v_cmpx_gt_u32_e32 8, v5
; %bb.567:                              ;   in Loop: Header=BB389_11 Depth=1
	v_ffbh_u32_e32 v4, v32
	v_min_u32_e32 v4, 32, v4
	v_subrev_nc_u32_e32 v5, 28, v4
	v_sub_nc_u32_e32 v4, 29, v4
	v_lshlrev_b64 v[32:33], v5, v[32:33]
	v_and_b32_e32 v32, 7, v32
; %bb.568:                              ;   in Loop: Header=BB389_11 Depth=1
	s_or_b32 exec_lo, exec_lo, s24
	v_lshlrev_b32_e32 v5, 16, v18
	v_lshlrev_b32_e32 v18, 20, v32
	v_lshl_add_u32 v4, v4, 23, 0x3c000000
	v_and_b32_e32 v5, 0x80000000, v5
	v_or3_b32 v93, v18, v5, v4
.LBB389_569:                            ;   in Loop: Header=BB389_11 Depth=1
	s_or_b32 exec_lo, exec_lo, s23
.LBB389_570:                            ;   in Loop: Header=BB389_11 Depth=1
	s_or_b32 exec_lo, exec_lo, s22
.LBB389_571:                            ;   in Loop: Header=BB389_11 Depth=1
	s_or_b32 exec_lo, exec_lo, s6
	v_and_b32_sdwa v4, v31, v23 dst_sel:DWORD dst_unused:UNUSED_PAD src0_sel:WORD_1 src1_sel:DWORD
	s_mov_b32 s6, exec_lo
	v_cmpx_ne_u16_e32 0, v4
	s_cbranch_execz .LBB389_579
; %bb.572:                              ;   in Loop: Header=BB389_11 Depth=1
	v_bfrev_b32_e32 v92, 1
	s_mov_b32 s22, exec_lo
	v_cmpx_ne_u16_e32 0x80, v4
	s_cbranch_execz .LBB389_578
; %bb.573:                              ;   in Loop: Header=BB389_11 Depth=1
	v_bfe_u32 v5, v31, 16, 7
	v_mov_b32_e32 v92, 0x7f800001
	s_mov_b32 s23, exec_lo
	v_cmpx_ne_u32_e32 0x7f, v5
	s_cbranch_execz .LBB389_577
; %bb.574:                              ;   in Loop: Header=BB389_11 Depth=1
	v_and_b32_sdwa v18, v31, v34 dst_sel:DWORD dst_unused:UNUSED_PAD src0_sel:WORD_1 src1_sel:DWORD
	v_mov_b32_e32 v33, v19
	v_lshrrev_b32_e32 v4, 3, v5
	s_mov_b32 s24, exec_lo
	v_mov_b32_e32 v32, v18
	v_cmpx_gt_u32_e32 8, v5
; %bb.575:                              ;   in Loop: Header=BB389_11 Depth=1
	v_ffbh_u32_e32 v4, v18
	v_min_u32_e32 v4, 32, v4
	v_subrev_nc_u32_e32 v5, 28, v4
	v_sub_nc_u32_e32 v4, 29, v4
	v_lshlrev_b64 v[32:33], v5, v[18:19]
	v_and_b32_e32 v32, 7, v32
; %bb.576:                              ;   in Loop: Header=BB389_11 Depth=1
	s_or_b32 exec_lo, exec_lo, s24
	v_lshlrev_b32_sdwa v5, v38, v31 dst_sel:DWORD dst_unused:UNUSED_PAD src0_sel:DWORD src1_sel:WORD_1
	v_lshlrev_b32_e32 v18, 20, v32
	v_lshl_add_u32 v4, v4, 23, 0x3c000000
	v_and_b32_e32 v5, 0x80000000, v5
	v_or3_b32 v92, v18, v5, v4
.LBB389_577:                            ;   in Loop: Header=BB389_11 Depth=1
	s_or_b32 exec_lo, exec_lo, s23
.LBB389_578:                            ;   in Loop: Header=BB389_11 Depth=1
	s_or_b32 exec_lo, exec_lo, s22
.LBB389_579:                            ;   in Loop: Header=BB389_11 Depth=1
	s_or_b32 exec_lo, exec_lo, s6
	v_mov_b32_e32 v95, 0
	v_mov_b32_e32 v94, 0
	s_mov_b32 s6, exec_lo
	v_cmpx_lt_u64_e64 s[8:9], v[30:31]
	s_cbranch_execz .LBB389_587
; %bb.580:                              ;   in Loop: Header=BB389_11 Depth=1
	v_cmp_ne_u32_sdwa s5, v31, v14 src0_sel:BYTE_3 src1_sel:DWORD
	v_bfrev_b32_e32 v94, 1
	s_and_saveexec_b32 s22, s5
	s_cbranch_execz .LBB389_586
; %bb.581:                              ;   in Loop: Header=BB389_11 Depth=1
	v_bfe_u32 v5, v31, 24, 7
	v_mov_b32_e32 v94, 0x7f800001
	s_mov_b32 s23, exec_lo
	v_cmpx_ne_u32_e32 0x7f, v5
	s_cbranch_execz .LBB389_585
; %bb.582:                              ;   in Loop: Header=BB389_11 Depth=1
	v_and_b32_sdwa v18, v31, v34 dst_sel:DWORD dst_unused:UNUSED_PAD src0_sel:BYTE_3 src1_sel:DWORD
	v_mov_b32_e32 v33, v19
	v_lshrrev_b32_e32 v4, 3, v5
	s_mov_b32 s24, exec_lo
	v_mov_b32_e32 v32, v18
	v_cmpx_gt_u32_e32 8, v5
; %bb.583:                              ;   in Loop: Header=BB389_11 Depth=1
	v_ffbh_u32_e32 v4, v18
	v_min_u32_e32 v4, 32, v4
	v_subrev_nc_u32_e32 v5, 28, v4
	v_sub_nc_u32_e32 v4, 29, v4
	v_lshlrev_b64 v[32:33], v5, v[18:19]
	v_and_b32_e32 v32, 7, v32
; %bb.584:                              ;   in Loop: Header=BB389_11 Depth=1
	s_or_b32 exec_lo, exec_lo, s24
	v_lshlrev_b32_sdwa v5, v38, v31 dst_sel:DWORD dst_unused:UNUSED_PAD src0_sel:DWORD src1_sel:BYTE_3
	v_lshlrev_b32_e32 v18, 20, v32
	v_lshl_add_u32 v4, v4, 23, 0x3c000000
	v_and_b32_e32 v5, 0x80000000, v5
	v_or3_b32 v94, v18, v5, v4
.LBB389_585:                            ;   in Loop: Header=BB389_11 Depth=1
	s_or_b32 exec_lo, exec_lo, s23
.LBB389_586:                            ;   in Loop: Header=BB389_11 Depth=1
	s_or_b32 exec_lo, exec_lo, s22
.LBB389_587:                            ;   in Loop: Header=BB389_11 Depth=1
	s_or_b32 exec_lo, exec_lo, s6
	flat_load_dwordx2 v[30:31], v[28:29] offset:8
	s_waitcnt vmcnt(0) lgkmcnt(0)
	v_cmp_ne_u16_sdwa s5, v30, v19 src0_sel:BYTE_0 src1_sel:DWORD
	s_and_saveexec_b32 s6, s5
	s_cbranch_execz .LBB389_595
; %bb.588:                              ;   in Loop: Header=BB389_11 Depth=1
	v_cmp_ne_u16_sdwa s5, v30, v14 src0_sel:BYTE_0 src1_sel:DWORD
	v_bfrev_b32_e32 v95, 1
	s_and_saveexec_b32 s22, s5
	s_cbranch_execz .LBB389_594
; %bb.589:                              ;   in Loop: Header=BB389_11 Depth=1
	v_and_b32_e32 v5, 0x7f, v30
	v_mov_b32_e32 v95, 0x7f800001
	s_mov_b32 s23, exec_lo
	v_cmpx_ne_u32_e32 0x7f, v5
	s_cbranch_execz .LBB389_593
; %bb.590:                              ;   in Loop: Header=BB389_11 Depth=1
	v_mov_b32_e32 v33, v31
	v_lshrrev_b32_e32 v4, 3, v5
	v_mov_b32_e32 v32, v30
	s_mov_b32 s24, exec_lo
	v_cmpx_gt_u32_e32 8, v5
; %bb.591:                              ;   in Loop: Header=BB389_11 Depth=1
	v_and_b32_e32 v4, 7, v30
	v_ffbh_u32_e32 v4, v4
	v_min_u32_e32 v4, 32, v4
	v_subrev_nc_u32_e32 v5, 28, v4
	v_sub_nc_u32_e32 v4, 29, v4
	v_lshlrev_b64 v[32:33], v5, v[30:31]
; %bb.592:                              ;   in Loop: Header=BB389_11 Depth=1
	s_or_b32 exec_lo, exec_lo, s24
	v_lshlrev_b32_e32 v5, 20, v32
	v_lshlrev_b32_e32 v18, 24, v30
	v_lshl_add_u32 v4, v4, 23, 0x3c000000
	v_and_b32_e32 v5, 0x700000, v5
	v_and_b32_e32 v18, 0x80000000, v18
	v_or3_b32 v95, v5, v18, v4
.LBB389_593:                            ;   in Loop: Header=BB389_11 Depth=1
	s_or_b32 exec_lo, exec_lo, s23
.LBB389_594:                            ;   in Loop: Header=BB389_11 Depth=1
	s_or_b32 exec_lo, exec_lo, s22
.LBB389_595:                            ;   in Loop: Header=BB389_11 Depth=1
	s_or_b32 exec_lo, exec_lo, s6
	v_cmp_ne_u16_sdwa s5, v30, v19 src0_sel:BYTE_1 src1_sel:DWORD
	v_mov_b32_e32 v105, 0
	v_mov_b32_e32 v104, 0
	s_and_saveexec_b32 s6, s5
	s_cbranch_execz .LBB389_603
; %bb.596:                              ;   in Loop: Header=BB389_11 Depth=1
	v_cmp_ne_u16_sdwa s5, v30, v14 src0_sel:BYTE_1 src1_sel:DWORD
	v_bfrev_b32_e32 v104, 1
	s_and_saveexec_b32 s22, s5
	s_cbranch_execz .LBB389_602
; %bb.597:                              ;   in Loop: Header=BB389_11 Depth=1
	v_and_b32_sdwa v4, v15, v30 dst_sel:DWORD dst_unused:UNUSED_PAD src0_sel:DWORD src1_sel:BYTE_1
	v_mov_b32_e32 v104, 0x7f800001
	s_mov_b32 s23, exec_lo
	v_and_b32_e32 v5, 0x7f, v4
	v_cmpx_ne_u32_e32 0x7f, v5
	s_cbranch_execz .LBB389_601
; %bb.598:                              ;   in Loop: Header=BB389_11 Depth=1
	v_and_b32_e32 v18, 7, v4
	v_mov_b32_e32 v33, v19
	v_lshrrev_b32_e32 v4, 3, v5
	s_mov_b32 s24, exec_lo
	v_mov_b32_e32 v32, v18
	v_cmpx_gt_u32_e32 8, v5
; %bb.599:                              ;   in Loop: Header=BB389_11 Depth=1
	v_ffbh_u32_e32 v4, v18
	v_min_u32_e32 v4, 32, v4
	v_subrev_nc_u32_e32 v5, 28, v4
	v_sub_nc_u32_e32 v4, 29, v4
	v_lshlrev_b64 v[32:33], v5, v[18:19]
	v_and_b32_e32 v32, 7, v32
; %bb.600:                              ;   in Loop: Header=BB389_11 Depth=1
	s_or_b32 exec_lo, exec_lo, s24
	v_lshlrev_b32_e32 v5, 16, v30
	v_lshlrev_b32_e32 v18, 20, v32
	v_lshl_add_u32 v4, v4, 23, 0x3c000000
	v_and_b32_e32 v5, 0x80000000, v5
	v_or3_b32 v104, v18, v5, v4
.LBB389_601:                            ;   in Loop: Header=BB389_11 Depth=1
	s_or_b32 exec_lo, exec_lo, s23
.LBB389_602:                            ;   in Loop: Header=BB389_11 Depth=1
	s_or_b32 exec_lo, exec_lo, s22
.LBB389_603:                            ;   in Loop: Header=BB389_11 Depth=1
	s_or_b32 exec_lo, exec_lo, s6
	v_and_b32_sdwa v4, v30, v23 dst_sel:DWORD dst_unused:UNUSED_PAD src0_sel:WORD_1 src1_sel:DWORD
	s_mov_b32 s6, exec_lo
	v_cmpx_ne_u16_e32 0, v4
	s_cbranch_execz .LBB389_611
; %bb.604:                              ;   in Loop: Header=BB389_11 Depth=1
	v_bfrev_b32_e32 v105, 1
	s_mov_b32 s22, exec_lo
	v_cmpx_ne_u16_e32 0x80, v4
	s_cbranch_execz .LBB389_610
; %bb.605:                              ;   in Loop: Header=BB389_11 Depth=1
	v_bfe_u32 v5, v30, 16, 7
	v_mov_b32_e32 v105, 0x7f800001
	s_mov_b32 s23, exec_lo
	v_cmpx_ne_u32_e32 0x7f, v5
	s_cbranch_execz .LBB389_609
; %bb.606:                              ;   in Loop: Header=BB389_11 Depth=1
	v_and_b32_sdwa v18, v30, v34 dst_sel:DWORD dst_unused:UNUSED_PAD src0_sel:WORD_1 src1_sel:DWORD
	v_mov_b32_e32 v33, v19
	v_lshrrev_b32_e32 v4, 3, v5
	s_mov_b32 s24, exec_lo
	v_mov_b32_e32 v32, v18
	v_cmpx_gt_u32_e32 8, v5
; %bb.607:                              ;   in Loop: Header=BB389_11 Depth=1
	v_ffbh_u32_e32 v4, v18
	v_min_u32_e32 v4, 32, v4
	v_subrev_nc_u32_e32 v5, 28, v4
	v_sub_nc_u32_e32 v4, 29, v4
	v_lshlrev_b64 v[32:33], v5, v[18:19]
	v_and_b32_e32 v32, 7, v32
; %bb.608:                              ;   in Loop: Header=BB389_11 Depth=1
	s_or_b32 exec_lo, exec_lo, s24
	v_lshlrev_b32_sdwa v5, v38, v30 dst_sel:DWORD dst_unused:UNUSED_PAD src0_sel:DWORD src1_sel:WORD_1
	v_lshlrev_b32_e32 v18, 20, v32
	v_lshl_add_u32 v4, v4, 23, 0x3c000000
	v_and_b32_e32 v5, 0x80000000, v5
	v_or3_b32 v105, v18, v5, v4
.LBB389_609:                            ;   in Loop: Header=BB389_11 Depth=1
	s_or_b32 exec_lo, exec_lo, s23
.LBB389_610:                            ;   in Loop: Header=BB389_11 Depth=1
	s_or_b32 exec_lo, exec_lo, s22
.LBB389_611:                            ;   in Loop: Header=BB389_11 Depth=1
	s_or_b32 exec_lo, exec_lo, s6
	v_mov_b32_e32 v107, 0
	v_mov_b32_e32 v106, 0
	s_mov_b32 s6, exec_lo
	v_cmpx_lt_u32_e32 0xffffff, v30
	s_cbranch_execz .LBB389_619
; %bb.612:                              ;   in Loop: Header=BB389_11 Depth=1
	v_cmp_ne_u32_sdwa s5, v30, v14 src0_sel:BYTE_3 src1_sel:DWORD
	v_bfrev_b32_e32 v106, 1
	s_and_saveexec_b32 s22, s5
	s_cbranch_execz .LBB389_618
; %bb.613:                              ;   in Loop: Header=BB389_11 Depth=1
	v_bfe_u32 v5, v30, 24, 7
	v_mov_b32_e32 v106, 0x7f800001
	s_mov_b32 s23, exec_lo
	v_cmpx_ne_u32_e32 0x7f, v5
	s_cbranch_execz .LBB389_617
; %bb.614:                              ;   in Loop: Header=BB389_11 Depth=1
	v_and_b32_sdwa v18, v30, v34 dst_sel:DWORD dst_unused:UNUSED_PAD src0_sel:BYTE_3 src1_sel:DWORD
	v_mov_b32_e32 v33, v19
	v_lshrrev_b32_e32 v4, 3, v5
	s_mov_b32 s24, exec_lo
	v_mov_b32_e32 v32, v18
	v_cmpx_gt_u32_e32 8, v5
; %bb.615:                              ;   in Loop: Header=BB389_11 Depth=1
	v_ffbh_u32_e32 v4, v18
	v_min_u32_e32 v4, 32, v4
	v_subrev_nc_u32_e32 v5, 28, v4
	v_sub_nc_u32_e32 v4, 29, v4
	v_lshlrev_b64 v[32:33], v5, v[18:19]
	v_and_b32_e32 v32, 7, v32
; %bb.616:                              ;   in Loop: Header=BB389_11 Depth=1
	s_or_b32 exec_lo, exec_lo, s24
	v_lshlrev_b32_sdwa v5, v38, v30 dst_sel:DWORD dst_unused:UNUSED_PAD src0_sel:DWORD src1_sel:BYTE_3
	v_lshlrev_b32_e32 v18, 20, v32
	v_lshl_add_u32 v4, v4, 23, 0x3c000000
	v_and_b32_e32 v5, 0x80000000, v5
	v_or3_b32 v106, v18, v5, v4
.LBB389_617:                            ;   in Loop: Header=BB389_11 Depth=1
	s_or_b32 exec_lo, exec_lo, s23
.LBB389_618:                            ;   in Loop: Header=BB389_11 Depth=1
	s_or_b32 exec_lo, exec_lo, s22
.LBB389_619:                            ;   in Loop: Header=BB389_11 Depth=1
	s_or_b32 exec_lo, exec_lo, s6
	v_mov_b32_e32 v18, v31
	v_cmp_ne_u16_sdwa s5, v31, v19 src0_sel:BYTE_0 src1_sel:DWORD
	s_and_saveexec_b32 s6, s5
	s_cbranch_execz .LBB389_627
; %bb.620:                              ;   in Loop: Header=BB389_11 Depth=1
	v_cmp_ne_u16_sdwa s5, v31, v14 src0_sel:BYTE_0 src1_sel:DWORD
	v_bfrev_b32_e32 v107, 1
	s_and_saveexec_b32 s22, s5
	s_cbranch_execz .LBB389_626
; %bb.621:                              ;   in Loop: Header=BB389_11 Depth=1
	v_and_b32_e32 v5, 0x7f, v31
	v_mov_b32_e32 v107, 0x7f800001
	s_mov_b32 s23, exec_lo
	v_cmpx_ne_u32_e32 0x7f, v5
	s_cbranch_execz .LBB389_625
; %bb.622:                              ;   in Loop: Header=BB389_11 Depth=1
	v_mov_b32_e32 v33, v19
	v_lshrrev_b32_e32 v4, 3, v5
	v_mov_b32_e32 v32, v18
	s_mov_b32 s24, exec_lo
	v_cmpx_gt_u32_e32 8, v5
; %bb.623:                              ;   in Loop: Header=BB389_11 Depth=1
	v_and_b32_e32 v4, 7, v31
	v_ffbh_u32_e32 v4, v4
	v_min_u32_e32 v4, 32, v4
	v_subrev_nc_u32_e32 v5, 28, v4
	v_sub_nc_u32_e32 v4, 29, v4
	v_lshlrev_b64 v[32:33], v5, v[18:19]
; %bb.624:                              ;   in Loop: Header=BB389_11 Depth=1
	s_or_b32 exec_lo, exec_lo, s24
	v_lshlrev_b32_e32 v5, 20, v32
	v_lshlrev_b32_e32 v32, 24, v18
	v_lshl_add_u32 v4, v4, 23, 0x3c000000
	v_and_b32_e32 v5, 0x700000, v5
	v_and_b32_e32 v32, 0x80000000, v32
	v_or3_b32 v107, v5, v32, v4
.LBB389_625:                            ;   in Loop: Header=BB389_11 Depth=1
	s_or_b32 exec_lo, exec_lo, s23
.LBB389_626:                            ;   in Loop: Header=BB389_11 Depth=1
	s_or_b32 exec_lo, exec_lo, s22
.LBB389_627:                            ;   in Loop: Header=BB389_11 Depth=1
	s_or_b32 exec_lo, exec_lo, s6
	v_cmp_ne_u16_sdwa s5, v18, v19 src0_sel:BYTE_1 src1_sel:DWORD
	v_mov_b32_e32 v108, 0
	v_mov_b32_e32 v109, 0
	s_and_saveexec_b32 s6, s5
	s_cbranch_execz .LBB389_635
; %bb.628:                              ;   in Loop: Header=BB389_11 Depth=1
	v_cmp_ne_u16_sdwa s5, v18, v14 src0_sel:BYTE_1 src1_sel:DWORD
	v_bfrev_b32_e32 v109, 1
	s_and_saveexec_b32 s22, s5
	s_cbranch_execz .LBB389_634
; %bb.629:                              ;   in Loop: Header=BB389_11 Depth=1
	v_and_b32_sdwa v4, v15, v18 dst_sel:DWORD dst_unused:UNUSED_PAD src0_sel:DWORD src1_sel:BYTE_1
	v_mov_b32_e32 v109, 0x7f800001
	s_mov_b32 s23, exec_lo
	v_and_b32_e32 v5, 0x7f, v4
	v_cmpx_ne_u32_e32 0x7f, v5
	s_cbranch_execz .LBB389_633
; %bb.630:                              ;   in Loop: Header=BB389_11 Depth=1
	v_and_b32_e32 v32, 7, v4
	v_mov_b32_e32 v33, v19
	v_lshrrev_b32_e32 v4, 3, v5
	s_mov_b32 s24, exec_lo
	v_cmpx_gt_u32_e32 8, v5
; %bb.631:                              ;   in Loop: Header=BB389_11 Depth=1
	v_ffbh_u32_e32 v4, v32
	v_min_u32_e32 v4, 32, v4
	v_subrev_nc_u32_e32 v5, 28, v4
	v_sub_nc_u32_e32 v4, 29, v4
	v_lshlrev_b64 v[32:33], v5, v[32:33]
	v_and_b32_e32 v32, 7, v32
; %bb.632:                              ;   in Loop: Header=BB389_11 Depth=1
	s_or_b32 exec_lo, exec_lo, s24
	v_lshlrev_b32_e32 v5, 16, v18
	v_lshlrev_b32_e32 v18, 20, v32
	v_lshl_add_u32 v4, v4, 23, 0x3c000000
	v_and_b32_e32 v5, 0x80000000, v5
	v_or3_b32 v109, v18, v5, v4
.LBB389_633:                            ;   in Loop: Header=BB389_11 Depth=1
	s_or_b32 exec_lo, exec_lo, s23
.LBB389_634:                            ;   in Loop: Header=BB389_11 Depth=1
	s_or_b32 exec_lo, exec_lo, s22
.LBB389_635:                            ;   in Loop: Header=BB389_11 Depth=1
	s_or_b32 exec_lo, exec_lo, s6
	v_and_b32_sdwa v4, v31, v23 dst_sel:DWORD dst_unused:UNUSED_PAD src0_sel:WORD_1 src1_sel:DWORD
	s_mov_b32 s6, exec_lo
	v_cmpx_ne_u16_e32 0, v4
	s_cbranch_execz .LBB389_643
; %bb.636:                              ;   in Loop: Header=BB389_11 Depth=1
	v_bfrev_b32_e32 v108, 1
	s_mov_b32 s22, exec_lo
	v_cmpx_ne_u16_e32 0x80, v4
	s_cbranch_execz .LBB389_642
; %bb.637:                              ;   in Loop: Header=BB389_11 Depth=1
	v_bfe_u32 v5, v31, 16, 7
	v_mov_b32_e32 v108, 0x7f800001
	s_mov_b32 s23, exec_lo
	v_cmpx_ne_u32_e32 0x7f, v5
	s_cbranch_execz .LBB389_641
; %bb.638:                              ;   in Loop: Header=BB389_11 Depth=1
	v_and_b32_sdwa v18, v31, v34 dst_sel:DWORD dst_unused:UNUSED_PAD src0_sel:WORD_1 src1_sel:DWORD
	v_mov_b32_e32 v33, v19
	v_lshrrev_b32_e32 v4, 3, v5
	s_mov_b32 s24, exec_lo
	v_mov_b32_e32 v32, v18
	v_cmpx_gt_u32_e32 8, v5
; %bb.639:                              ;   in Loop: Header=BB389_11 Depth=1
	v_ffbh_u32_e32 v4, v18
	v_min_u32_e32 v4, 32, v4
	v_subrev_nc_u32_e32 v5, 28, v4
	v_sub_nc_u32_e32 v4, 29, v4
	v_lshlrev_b64 v[32:33], v5, v[18:19]
	v_and_b32_e32 v32, 7, v32
; %bb.640:                              ;   in Loop: Header=BB389_11 Depth=1
	s_or_b32 exec_lo, exec_lo, s24
	v_lshlrev_b32_sdwa v5, v38, v31 dst_sel:DWORD dst_unused:UNUSED_PAD src0_sel:DWORD src1_sel:WORD_1
	v_lshlrev_b32_e32 v18, 20, v32
	v_lshl_add_u32 v4, v4, 23, 0x3c000000
	v_and_b32_e32 v5, 0x80000000, v5
	v_or3_b32 v108, v18, v5, v4
.LBB389_641:                            ;   in Loop: Header=BB389_11 Depth=1
	s_or_b32 exec_lo, exec_lo, s23
.LBB389_642:                            ;   in Loop: Header=BB389_11 Depth=1
	s_or_b32 exec_lo, exec_lo, s22
.LBB389_643:                            ;   in Loop: Header=BB389_11 Depth=1
	s_or_b32 exec_lo, exec_lo, s6
	v_mov_b32_e32 v120, 0
	v_mov_b32_e32 v111, 0
	s_mov_b32 s6, exec_lo
	v_cmpx_lt_u64_e64 s[8:9], v[30:31]
	s_cbranch_execz .LBB389_651
; %bb.644:                              ;   in Loop: Header=BB389_11 Depth=1
	v_cmp_ne_u32_sdwa s5, v31, v14 src0_sel:BYTE_3 src1_sel:DWORD
	v_bfrev_b32_e32 v111, 1
	s_and_saveexec_b32 s22, s5
	s_cbranch_execz .LBB389_650
; %bb.645:                              ;   in Loop: Header=BB389_11 Depth=1
	v_bfe_u32 v5, v31, 24, 7
	v_mov_b32_e32 v111, 0x7f800001
	s_mov_b32 s23, exec_lo
	v_cmpx_ne_u32_e32 0x7f, v5
	s_cbranch_execz .LBB389_649
; %bb.646:                              ;   in Loop: Header=BB389_11 Depth=1
	v_and_b32_sdwa v18, v31, v34 dst_sel:DWORD dst_unused:UNUSED_PAD src0_sel:BYTE_3 src1_sel:DWORD
	v_mov_b32_e32 v33, v19
	v_lshrrev_b32_e32 v4, 3, v5
	s_mov_b32 s24, exec_lo
	v_mov_b32_e32 v32, v18
	v_cmpx_gt_u32_e32 8, v5
; %bb.647:                              ;   in Loop: Header=BB389_11 Depth=1
	v_ffbh_u32_e32 v4, v18
	v_min_u32_e32 v4, 32, v4
	v_subrev_nc_u32_e32 v5, 28, v4
	v_sub_nc_u32_e32 v4, 29, v4
	v_lshlrev_b64 v[32:33], v5, v[18:19]
	v_and_b32_e32 v32, 7, v32
; %bb.648:                              ;   in Loop: Header=BB389_11 Depth=1
	s_or_b32 exec_lo, exec_lo, s24
	v_lshlrev_b32_sdwa v5, v38, v31 dst_sel:DWORD dst_unused:UNUSED_PAD src0_sel:DWORD src1_sel:BYTE_3
	v_lshlrev_b32_e32 v18, 20, v32
	v_lshl_add_u32 v4, v4, 23, 0x3c000000
	v_and_b32_e32 v5, 0x80000000, v5
	v_or3_b32 v111, v18, v5, v4
.LBB389_649:                            ;   in Loop: Header=BB389_11 Depth=1
	s_or_b32 exec_lo, exec_lo, s23
.LBB389_650:                            ;   in Loop: Header=BB389_11 Depth=1
	s_or_b32 exec_lo, exec_lo, s22
.LBB389_651:                            ;   in Loop: Header=BB389_11 Depth=1
	s_or_b32 exec_lo, exec_lo, s6
	flat_load_dwordx2 v[30:31], v[28:29] offset:512
	s_waitcnt vmcnt(0) lgkmcnt(0)
	v_cmp_ne_u16_sdwa s5, v30, v19 src0_sel:BYTE_0 src1_sel:DWORD
	s_and_saveexec_b32 s6, s5
	s_cbranch_execz .LBB389_659
; %bb.652:                              ;   in Loop: Header=BB389_11 Depth=1
	v_cmp_ne_u16_sdwa s5, v30, v14 src0_sel:BYTE_0 src1_sel:DWORD
	v_bfrev_b32_e32 v120, 1
	s_and_saveexec_b32 s22, s5
	s_cbranch_execz .LBB389_658
; %bb.653:                              ;   in Loop: Header=BB389_11 Depth=1
	v_and_b32_e32 v5, 0x7f, v30
	v_mov_b32_e32 v120, 0x7f800001
	s_mov_b32 s23, exec_lo
	v_cmpx_ne_u32_e32 0x7f, v5
	s_cbranch_execz .LBB389_657
; %bb.654:                              ;   in Loop: Header=BB389_11 Depth=1
	v_mov_b32_e32 v33, v31
	v_lshrrev_b32_e32 v4, 3, v5
	v_mov_b32_e32 v32, v30
	s_mov_b32 s24, exec_lo
	v_cmpx_gt_u32_e32 8, v5
; %bb.655:                              ;   in Loop: Header=BB389_11 Depth=1
	v_and_b32_e32 v4, 7, v30
	v_ffbh_u32_e32 v4, v4
	v_min_u32_e32 v4, 32, v4
	v_subrev_nc_u32_e32 v5, 28, v4
	v_sub_nc_u32_e32 v4, 29, v4
	v_lshlrev_b64 v[32:33], v5, v[30:31]
; %bb.656:                              ;   in Loop: Header=BB389_11 Depth=1
	s_or_b32 exec_lo, exec_lo, s24
	v_lshlrev_b32_e32 v5, 20, v32
	v_lshlrev_b32_e32 v18, 24, v30
	v_lshl_add_u32 v4, v4, 23, 0x3c000000
	v_and_b32_e32 v5, 0x700000, v5
	v_and_b32_e32 v18, 0x80000000, v18
	v_or3_b32 v120, v5, v18, v4
.LBB389_657:                            ;   in Loop: Header=BB389_11 Depth=1
	s_or_b32 exec_lo, exec_lo, s23
.LBB389_658:                            ;   in Loop: Header=BB389_11 Depth=1
	s_or_b32 exec_lo, exec_lo, s22
.LBB389_659:                            ;   in Loop: Header=BB389_11 Depth=1
	s_or_b32 exec_lo, exec_lo, s6
	v_cmp_ne_u16_sdwa s5, v30, v19 src0_sel:BYTE_1 src1_sel:DWORD
	v_mov_b32_e32 v122, 0
	v_mov_b32_e32 v121, 0
	s_and_saveexec_b32 s6, s5
	s_cbranch_execz .LBB389_667
; %bb.660:                              ;   in Loop: Header=BB389_11 Depth=1
	v_cmp_ne_u16_sdwa s5, v30, v14 src0_sel:BYTE_1 src1_sel:DWORD
	v_bfrev_b32_e32 v121, 1
	s_and_saveexec_b32 s22, s5
	s_cbranch_execz .LBB389_666
; %bb.661:                              ;   in Loop: Header=BB389_11 Depth=1
	v_and_b32_sdwa v4, v15, v30 dst_sel:DWORD dst_unused:UNUSED_PAD src0_sel:DWORD src1_sel:BYTE_1
	v_mov_b32_e32 v121, 0x7f800001
	s_mov_b32 s23, exec_lo
	v_and_b32_e32 v5, 0x7f, v4
	v_cmpx_ne_u32_e32 0x7f, v5
	s_cbranch_execz .LBB389_665
; %bb.662:                              ;   in Loop: Header=BB389_11 Depth=1
	v_and_b32_e32 v18, 7, v4
	v_mov_b32_e32 v33, v19
	v_lshrrev_b32_e32 v4, 3, v5
	s_mov_b32 s24, exec_lo
	v_mov_b32_e32 v32, v18
	v_cmpx_gt_u32_e32 8, v5
; %bb.663:                              ;   in Loop: Header=BB389_11 Depth=1
	v_ffbh_u32_e32 v4, v18
	v_min_u32_e32 v4, 32, v4
	v_subrev_nc_u32_e32 v5, 28, v4
	v_sub_nc_u32_e32 v4, 29, v4
	v_lshlrev_b64 v[32:33], v5, v[18:19]
	v_and_b32_e32 v32, 7, v32
; %bb.664:                              ;   in Loop: Header=BB389_11 Depth=1
	s_or_b32 exec_lo, exec_lo, s24
	v_lshlrev_b32_e32 v5, 16, v30
	v_lshlrev_b32_e32 v18, 20, v32
	v_lshl_add_u32 v4, v4, 23, 0x3c000000
	v_and_b32_e32 v5, 0x80000000, v5
	v_or3_b32 v121, v18, v5, v4
.LBB389_665:                            ;   in Loop: Header=BB389_11 Depth=1
	s_or_b32 exec_lo, exec_lo, s23
.LBB389_666:                            ;   in Loop: Header=BB389_11 Depth=1
	s_or_b32 exec_lo, exec_lo, s22
.LBB389_667:                            ;   in Loop: Header=BB389_11 Depth=1
	s_or_b32 exec_lo, exec_lo, s6
	v_and_b32_sdwa v4, v30, v23 dst_sel:DWORD dst_unused:UNUSED_PAD src0_sel:WORD_1 src1_sel:DWORD
	s_mov_b32 s6, exec_lo
	v_cmpx_ne_u16_e32 0, v4
	s_cbranch_execz .LBB389_675
; %bb.668:                              ;   in Loop: Header=BB389_11 Depth=1
	v_bfrev_b32_e32 v122, 1
	s_mov_b32 s22, exec_lo
	v_cmpx_ne_u16_e32 0x80, v4
	s_cbranch_execz .LBB389_674
; %bb.669:                              ;   in Loop: Header=BB389_11 Depth=1
	v_bfe_u32 v5, v30, 16, 7
	v_mov_b32_e32 v122, 0x7f800001
	s_mov_b32 s23, exec_lo
	v_cmpx_ne_u32_e32 0x7f, v5
	s_cbranch_execz .LBB389_673
; %bb.670:                              ;   in Loop: Header=BB389_11 Depth=1
	v_and_b32_sdwa v18, v30, v34 dst_sel:DWORD dst_unused:UNUSED_PAD src0_sel:WORD_1 src1_sel:DWORD
	v_mov_b32_e32 v33, v19
	v_lshrrev_b32_e32 v4, 3, v5
	s_mov_b32 s24, exec_lo
	v_mov_b32_e32 v32, v18
	v_cmpx_gt_u32_e32 8, v5
; %bb.671:                              ;   in Loop: Header=BB389_11 Depth=1
	v_ffbh_u32_e32 v4, v18
	v_min_u32_e32 v4, 32, v4
	v_subrev_nc_u32_e32 v5, 28, v4
	v_sub_nc_u32_e32 v4, 29, v4
	v_lshlrev_b64 v[32:33], v5, v[18:19]
	v_and_b32_e32 v32, 7, v32
; %bb.672:                              ;   in Loop: Header=BB389_11 Depth=1
	s_or_b32 exec_lo, exec_lo, s24
	v_lshlrev_b32_sdwa v5, v38, v30 dst_sel:DWORD dst_unused:UNUSED_PAD src0_sel:DWORD src1_sel:WORD_1
	v_lshlrev_b32_e32 v18, 20, v32
	v_lshl_add_u32 v4, v4, 23, 0x3c000000
	v_and_b32_e32 v5, 0x80000000, v5
	v_or3_b32 v122, v18, v5, v4
.LBB389_673:                            ;   in Loop: Header=BB389_11 Depth=1
	s_or_b32 exec_lo, exec_lo, s23
.LBB389_674:                            ;   in Loop: Header=BB389_11 Depth=1
	s_or_b32 exec_lo, exec_lo, s22
.LBB389_675:                            ;   in Loop: Header=BB389_11 Depth=1
	s_or_b32 exec_lo, exec_lo, s6
	v_mov_b32_e32 v126, 0
	v_mov_b32_e32 v125, 0
	s_mov_b32 s6, exec_lo
	v_cmpx_lt_u32_e32 0xffffff, v30
	s_cbranch_execz .LBB389_683
; %bb.676:                              ;   in Loop: Header=BB389_11 Depth=1
	v_cmp_ne_u32_sdwa s5, v30, v14 src0_sel:BYTE_3 src1_sel:DWORD
	v_bfrev_b32_e32 v125, 1
	s_and_saveexec_b32 s22, s5
	s_cbranch_execz .LBB389_682
; %bb.677:                              ;   in Loop: Header=BB389_11 Depth=1
	v_bfe_u32 v5, v30, 24, 7
	v_mov_b32_e32 v125, 0x7f800001
	s_mov_b32 s23, exec_lo
	v_cmpx_ne_u32_e32 0x7f, v5
	s_cbranch_execz .LBB389_681
; %bb.678:                              ;   in Loop: Header=BB389_11 Depth=1
	v_and_b32_sdwa v18, v30, v34 dst_sel:DWORD dst_unused:UNUSED_PAD src0_sel:BYTE_3 src1_sel:DWORD
	v_mov_b32_e32 v33, v19
	v_lshrrev_b32_e32 v4, 3, v5
	s_mov_b32 s24, exec_lo
	v_mov_b32_e32 v32, v18
	v_cmpx_gt_u32_e32 8, v5
; %bb.679:                              ;   in Loop: Header=BB389_11 Depth=1
	v_ffbh_u32_e32 v4, v18
	v_min_u32_e32 v4, 32, v4
	v_subrev_nc_u32_e32 v5, 28, v4
	v_sub_nc_u32_e32 v4, 29, v4
	v_lshlrev_b64 v[32:33], v5, v[18:19]
	v_and_b32_e32 v32, 7, v32
; %bb.680:                              ;   in Loop: Header=BB389_11 Depth=1
	s_or_b32 exec_lo, exec_lo, s24
	v_lshlrev_b32_sdwa v5, v38, v30 dst_sel:DWORD dst_unused:UNUSED_PAD src0_sel:DWORD src1_sel:BYTE_3
	v_lshlrev_b32_e32 v18, 20, v32
	v_lshl_add_u32 v4, v4, 23, 0x3c000000
	v_and_b32_e32 v5, 0x80000000, v5
	v_or3_b32 v125, v18, v5, v4
.LBB389_681:                            ;   in Loop: Header=BB389_11 Depth=1
	s_or_b32 exec_lo, exec_lo, s23
.LBB389_682:                            ;   in Loop: Header=BB389_11 Depth=1
	s_or_b32 exec_lo, exec_lo, s22
.LBB389_683:                            ;   in Loop: Header=BB389_11 Depth=1
	s_or_b32 exec_lo, exec_lo, s6
	v_mov_b32_e32 v18, v31
	v_cmp_ne_u16_sdwa s5, v31, v19 src0_sel:BYTE_0 src1_sel:DWORD
	s_and_saveexec_b32 s6, s5
	s_cbranch_execz .LBB389_691
; %bb.684:                              ;   in Loop: Header=BB389_11 Depth=1
	v_cmp_ne_u16_sdwa s5, v31, v14 src0_sel:BYTE_0 src1_sel:DWORD
	v_bfrev_b32_e32 v126, 1
	s_and_saveexec_b32 s22, s5
	s_cbranch_execz .LBB389_690
; %bb.685:                              ;   in Loop: Header=BB389_11 Depth=1
	v_and_b32_e32 v5, 0x7f, v31
	v_mov_b32_e32 v126, 0x7f800001
	s_mov_b32 s23, exec_lo
	v_cmpx_ne_u32_e32 0x7f, v5
	s_cbranch_execz .LBB389_689
; %bb.686:                              ;   in Loop: Header=BB389_11 Depth=1
	v_mov_b32_e32 v33, v19
	v_lshrrev_b32_e32 v4, 3, v5
	v_mov_b32_e32 v32, v18
	s_mov_b32 s24, exec_lo
	v_cmpx_gt_u32_e32 8, v5
; %bb.687:                              ;   in Loop: Header=BB389_11 Depth=1
	v_and_b32_e32 v4, 7, v31
	v_ffbh_u32_e32 v4, v4
	v_min_u32_e32 v4, 32, v4
	v_subrev_nc_u32_e32 v5, 28, v4
	v_sub_nc_u32_e32 v4, 29, v4
	v_lshlrev_b64 v[32:33], v5, v[18:19]
; %bb.688:                              ;   in Loop: Header=BB389_11 Depth=1
	s_or_b32 exec_lo, exec_lo, s24
	v_lshlrev_b32_e32 v5, 20, v32
	v_lshlrev_b32_e32 v32, 24, v18
	v_lshl_add_u32 v4, v4, 23, 0x3c000000
	v_and_b32_e32 v5, 0x700000, v5
	v_and_b32_e32 v32, 0x80000000, v32
	v_or3_b32 v126, v5, v32, v4
.LBB389_689:                            ;   in Loop: Header=BB389_11 Depth=1
	s_or_b32 exec_lo, exec_lo, s23
.LBB389_690:                            ;   in Loop: Header=BB389_11 Depth=1
	s_or_b32 exec_lo, exec_lo, s22
.LBB389_691:                            ;   in Loop: Header=BB389_11 Depth=1
	s_or_b32 exec_lo, exec_lo, s6
	v_cmp_ne_u16_sdwa s5, v18, v19 src0_sel:BYTE_1 src1_sel:DWORD
	v_mov_b32_e32 v5, 0
	v_mov_b32_e32 v39, 0
	s_and_saveexec_b32 s6, s5
	s_cbranch_execz .LBB389_699
; %bb.692:                              ;   in Loop: Header=BB389_11 Depth=1
	v_cmp_ne_u16_sdwa s5, v18, v14 src0_sel:BYTE_1 src1_sel:DWORD
	v_bfrev_b32_e32 v39, 1
	s_and_saveexec_b32 s22, s5
	s_cbranch_execz .LBB389_698
; %bb.693:                              ;   in Loop: Header=BB389_11 Depth=1
	v_and_b32_sdwa v4, v15, v18 dst_sel:DWORD dst_unused:UNUSED_PAD src0_sel:DWORD src1_sel:BYTE_1
	v_mov_b32_e32 v39, 0x7f800001
	s_mov_b32 s23, exec_lo
	v_and_b32_e32 v36, 0x7f, v4
	v_cmpx_ne_u32_e32 0x7f, v36
	s_cbranch_execz .LBB389_697
; %bb.694:                              ;   in Loop: Header=BB389_11 Depth=1
	v_and_b32_e32 v32, 7, v4
	v_mov_b32_e32 v33, v19
	v_lshrrev_b32_e32 v4, 3, v36
	s_mov_b32 s24, exec_lo
	v_cmpx_gt_u32_e32 8, v36
; %bb.695:                              ;   in Loop: Header=BB389_11 Depth=1
	v_ffbh_u32_e32 v4, v32
	v_min_u32_e32 v4, 32, v4
	v_subrev_nc_u32_e32 v36, 28, v4
	v_sub_nc_u32_e32 v4, 29, v4
	v_lshlrev_b64 v[32:33], v36, v[32:33]
	v_and_b32_e32 v32, 7, v32
; %bb.696:                              ;   in Loop: Header=BB389_11 Depth=1
	s_or_b32 exec_lo, exec_lo, s24
	v_lshlrev_b32_e32 v18, 16, v18
	v_lshlrev_b32_e32 v32, 20, v32
	v_lshl_add_u32 v4, v4, 23, 0x3c000000
	v_and_b32_e32 v18, 0x80000000, v18
	v_or3_b32 v39, v32, v18, v4
.LBB389_697:                            ;   in Loop: Header=BB389_11 Depth=1
	s_or_b32 exec_lo, exec_lo, s23
.LBB389_698:                            ;   in Loop: Header=BB389_11 Depth=1
	s_or_b32 exec_lo, exec_lo, s22
.LBB389_699:                            ;   in Loop: Header=BB389_11 Depth=1
	s_or_b32 exec_lo, exec_lo, s6
	v_and_b32_sdwa v4, v31, v23 dst_sel:DWORD dst_unused:UNUSED_PAD src0_sel:WORD_1 src1_sel:DWORD
	s_mov_b32 s6, exec_lo
	v_cmpx_ne_u16_e32 0, v4
	s_cbranch_execz .LBB389_707
; %bb.700:                              ;   in Loop: Header=BB389_11 Depth=1
	v_bfrev_b32_e32 v5, 1
	s_mov_b32 s22, exec_lo
	v_cmpx_ne_u16_e32 0x80, v4
	s_cbranch_execz .LBB389_706
; %bb.701:                              ;   in Loop: Header=BB389_11 Depth=1
	v_bfe_u32 v32, v31, 16, 7
	v_mov_b32_e32 v5, 0x7f800001
	s_mov_b32 s23, exec_lo
	v_cmpx_ne_u32_e32 0x7f, v32
	s_cbranch_execz .LBB389_705
; %bb.702:                              ;   in Loop: Header=BB389_11 Depth=1
	v_and_b32_sdwa v18, v31, v34 dst_sel:DWORD dst_unused:UNUSED_PAD src0_sel:WORD_1 src1_sel:DWORD
	v_lshrrev_b32_e32 v4, 3, v32
	v_cmp_gt_u32_e64 s5, 8, v32
	v_mov_b32_e32 v33, v19
	v_mov_b32_e32 v32, v18
	s_and_saveexec_b32 s24, s5
; %bb.703:                              ;   in Loop: Header=BB389_11 Depth=1
	v_ffbh_u32_e32 v4, v18
	v_min_u32_e32 v4, 32, v4
	v_subrev_nc_u32_e32 v5, 28, v4
	v_sub_nc_u32_e32 v4, 29, v4
	v_lshlrev_b64 v[32:33], v5, v[18:19]
	v_and_b32_e32 v32, 7, v32
; %bb.704:                              ;   in Loop: Header=BB389_11 Depth=1
	s_or_b32 exec_lo, exec_lo, s24
	v_lshlrev_b32_sdwa v5, v38, v31 dst_sel:DWORD dst_unused:UNUSED_PAD src0_sel:DWORD src1_sel:WORD_1
	v_lshlrev_b32_e32 v18, 20, v32
	v_lshl_add_u32 v4, v4, 23, 0x3c000000
	v_and_b32_e32 v5, 0x80000000, v5
	v_or3_b32 v5, v18, v5, v4
.LBB389_705:                            ;   in Loop: Header=BB389_11 Depth=1
	s_or_b32 exec_lo, exec_lo, s23
.LBB389_706:                            ;   in Loop: Header=BB389_11 Depth=1
	s_or_b32 exec_lo, exec_lo, s22
.LBB389_707:                            ;   in Loop: Header=BB389_11 Depth=1
	s_or_b32 exec_lo, exec_lo, s6
	v_mov_b32_e32 v110, 0
	v_mov_b32_e32 v37, 0
	s_mov_b32 s6, exec_lo
	v_cmpx_lt_u64_e64 s[8:9], v[30:31]
	s_cbranch_execz .LBB389_715
; %bb.708:                              ;   in Loop: Header=BB389_11 Depth=1
	v_cmp_ne_u32_sdwa s5, v31, v14 src0_sel:BYTE_3 src1_sel:DWORD
	v_bfrev_b32_e32 v37, 1
	s_and_saveexec_b32 s22, s5
	s_cbranch_execz .LBB389_714
; %bb.709:                              ;   in Loop: Header=BB389_11 Depth=1
	v_bfe_u32 v30, v31, 24, 7
	v_mov_b32_e32 v37, 0x7f800001
	s_mov_b32 s23, exec_lo
	v_cmpx_ne_u32_e32 0x7f, v30
	s_cbranch_execz .LBB389_713
; %bb.710:                              ;   in Loop: Header=BB389_11 Depth=1
	v_and_b32_sdwa v18, v31, v34 dst_sel:DWORD dst_unused:UNUSED_PAD src0_sel:BYTE_3 src1_sel:DWORD
	v_mov_b32_e32 v33, v19
	v_lshrrev_b32_e32 v4, 3, v30
	s_mov_b32 s24, exec_lo
	v_mov_b32_e32 v32, v18
	v_cmpx_gt_u32_e32 8, v30
; %bb.711:                              ;   in Loop: Header=BB389_11 Depth=1
	v_ffbh_u32_e32 v4, v18
	v_min_u32_e32 v4, 32, v4
	v_subrev_nc_u32_e32 v30, 28, v4
	v_sub_nc_u32_e32 v4, 29, v4
	v_lshlrev_b64 v[32:33], v30, v[18:19]
	v_and_b32_e32 v32, 7, v32
; %bb.712:                              ;   in Loop: Header=BB389_11 Depth=1
	s_or_b32 exec_lo, exec_lo, s24
	v_lshlrev_b32_sdwa v18, v38, v31 dst_sel:DWORD dst_unused:UNUSED_PAD src0_sel:DWORD src1_sel:BYTE_3
	v_lshlrev_b32_e32 v30, 20, v32
	v_lshl_add_u32 v4, v4, 23, 0x3c000000
	v_and_b32_e32 v18, 0x80000000, v18
	v_or3_b32 v37, v30, v18, v4
.LBB389_713:                            ;   in Loop: Header=BB389_11 Depth=1
	s_or_b32 exec_lo, exec_lo, s23
.LBB389_714:                            ;   in Loop: Header=BB389_11 Depth=1
	s_or_b32 exec_lo, exec_lo, s22
.LBB389_715:                            ;   in Loop: Header=BB389_11 Depth=1
	s_or_b32 exec_lo, exec_lo, s6
	flat_load_dwordx2 v[28:29], v[28:29] offset:520
	s_waitcnt vmcnt(0) lgkmcnt(0)
	v_cmp_ne_u16_sdwa s5, v28, v19 src0_sel:BYTE_0 src1_sel:DWORD
	s_and_saveexec_b32 s6, s5
	s_cbranch_execz .LBB389_723
; %bb.716:                              ;   in Loop: Header=BB389_11 Depth=1
	v_cmp_ne_u16_sdwa s5, v28, v14 src0_sel:BYTE_0 src1_sel:DWORD
	v_bfrev_b32_e32 v110, 1
	s_and_saveexec_b32 s22, s5
	s_cbranch_execz .LBB389_722
; %bb.717:                              ;   in Loop: Header=BB389_11 Depth=1
	v_and_b32_e32 v18, 0x7f, v28
	v_mov_b32_e32 v110, 0x7f800001
	s_mov_b32 s23, exec_lo
	v_cmpx_ne_u32_e32 0x7f, v18
	s_cbranch_execz .LBB389_721
; %bb.718:                              ;   in Loop: Header=BB389_11 Depth=1
	v_mov_b32_e32 v31, v29
	v_lshrrev_b32_e32 v4, 3, v18
	v_mov_b32_e32 v30, v28
	s_mov_b32 s24, exec_lo
	v_cmpx_gt_u32_e32 8, v18
; %bb.719:                              ;   in Loop: Header=BB389_11 Depth=1
	v_and_b32_e32 v4, 7, v28
	v_ffbh_u32_e32 v4, v4
	v_min_u32_e32 v4, 32, v4
	v_subrev_nc_u32_e32 v18, 28, v4
	v_sub_nc_u32_e32 v4, 29, v4
	v_lshlrev_b64 v[30:31], v18, v[28:29]
; %bb.720:                              ;   in Loop: Header=BB389_11 Depth=1
	s_or_b32 exec_lo, exec_lo, s24
	v_lshlrev_b32_e32 v18, 20, v30
	v_lshlrev_b32_e32 v30, 24, v28
	v_lshl_add_u32 v4, v4, 23, 0x3c000000
	v_and_b32_e32 v18, 0x700000, v18
	v_and_b32_e32 v30, 0x80000000, v30
	v_or3_b32 v110, v18, v30, v4
.LBB389_721:                            ;   in Loop: Header=BB389_11 Depth=1
	s_or_b32 exec_lo, exec_lo, s23
.LBB389_722:                            ;   in Loop: Header=BB389_11 Depth=1
	s_or_b32 exec_lo, exec_lo, s22
.LBB389_723:                            ;   in Loop: Header=BB389_11 Depth=1
	s_or_b32 exec_lo, exec_lo, s6
	v_cmp_ne_u16_sdwa s5, v28, v19 src0_sel:BYTE_1 src1_sel:DWORD
	v_mov_b32_e32 v33, 0
	v_mov_b32_e32 v32, 0
	s_and_saveexec_b32 s6, s5
	s_cbranch_execz .LBB389_731
; %bb.724:                              ;   in Loop: Header=BB389_11 Depth=1
	v_cmp_ne_u16_sdwa s5, v28, v14 src0_sel:BYTE_1 src1_sel:DWORD
	v_bfrev_b32_e32 v32, 1
	s_and_saveexec_b32 s22, s5
	s_cbranch_execz .LBB389_730
; %bb.725:                              ;   in Loop: Header=BB389_11 Depth=1
	v_and_b32_sdwa v4, v15, v28 dst_sel:DWORD dst_unused:UNUSED_PAD src0_sel:DWORD src1_sel:BYTE_1
	v_mov_b32_e32 v32, 0x7f800001
	s_mov_b32 s23, exec_lo
	v_and_b32_e32 v30, 0x7f, v4
	v_cmpx_ne_u32_e32 0x7f, v30
	s_cbranch_execz .LBB389_729
; %bb.726:                              ;   in Loop: Header=BB389_11 Depth=1
	v_and_b32_e32 v18, 7, v4
	v_lshrrev_b32_e32 v4, 3, v30
	v_cmp_gt_u32_e64 s5, 8, v30
	v_mov_b32_e32 v31, v19
	v_mov_b32_e32 v30, v18
	s_and_saveexec_b32 s24, s5
; %bb.727:                              ;   in Loop: Header=BB389_11 Depth=1
	v_ffbh_u32_e32 v4, v18
	v_min_u32_e32 v4, 32, v4
	v_subrev_nc_u32_e32 v30, 28, v4
	v_sub_nc_u32_e32 v4, 29, v4
	v_lshlrev_b64 v[30:31], v30, v[18:19]
	v_and_b32_e32 v30, 7, v30
; %bb.728:                              ;   in Loop: Header=BB389_11 Depth=1
	s_or_b32 exec_lo, exec_lo, s24
	v_lshlrev_b32_e32 v18, 16, v28
	v_lshlrev_b32_e32 v30, 20, v30
	v_lshl_add_u32 v4, v4, 23, 0x3c000000
	v_and_b32_e32 v18, 0x80000000, v18
	v_or3_b32 v32, v30, v18, v4
.LBB389_729:                            ;   in Loop: Header=BB389_11 Depth=1
	s_or_b32 exec_lo, exec_lo, s23
.LBB389_730:                            ;   in Loop: Header=BB389_11 Depth=1
	s_or_b32 exec_lo, exec_lo, s22
.LBB389_731:                            ;   in Loop: Header=BB389_11 Depth=1
	s_or_b32 exec_lo, exec_lo, s6
	v_and_b32_sdwa v4, v28, v23 dst_sel:DWORD dst_unused:UNUSED_PAD src0_sel:WORD_1 src1_sel:DWORD
	s_mov_b32 s6, exec_lo
	v_cmpx_ne_u16_e32 0, v4
	s_cbranch_execz .LBB389_739
; %bb.732:                              ;   in Loop: Header=BB389_11 Depth=1
	v_bfrev_b32_e32 v33, 1
	s_mov_b32 s22, exec_lo
	v_cmpx_ne_u16_e32 0x80, v4
	s_cbranch_execz .LBB389_738
; %bb.733:                              ;   in Loop: Header=BB389_11 Depth=1
	v_bfe_u32 v30, v28, 16, 7
	v_mov_b32_e32 v33, 0x7f800001
	s_mov_b32 s23, exec_lo
	v_cmpx_ne_u32_e32 0x7f, v30
	s_cbranch_execz .LBB389_737
; %bb.734:                              ;   in Loop: Header=BB389_11 Depth=1
	v_and_b32_sdwa v18, v28, v34 dst_sel:DWORD dst_unused:UNUSED_PAD src0_sel:WORD_1 src1_sel:DWORD
	v_lshrrev_b32_e32 v4, 3, v30
	v_cmp_gt_u32_e64 s5, 8, v30
	v_mov_b32_e32 v31, v19
	v_mov_b32_e32 v30, v18
	s_and_saveexec_b32 s24, s5
; %bb.735:                              ;   in Loop: Header=BB389_11 Depth=1
	v_ffbh_u32_e32 v4, v18
	v_min_u32_e32 v4, 32, v4
	v_subrev_nc_u32_e32 v30, 28, v4
	v_sub_nc_u32_e32 v4, 29, v4
	v_lshlrev_b64 v[30:31], v30, v[18:19]
	v_and_b32_e32 v30, 7, v30
; %bb.736:                              ;   in Loop: Header=BB389_11 Depth=1
	s_or_b32 exec_lo, exec_lo, s24
	v_lshlrev_b32_sdwa v18, v38, v28 dst_sel:DWORD dst_unused:UNUSED_PAD src0_sel:DWORD src1_sel:WORD_1
	v_lshlrev_b32_e32 v30, 20, v30
	v_lshl_add_u32 v4, v4, 23, 0x3c000000
	v_and_b32_e32 v18, 0x80000000, v18
	v_or3_b32 v33, v30, v18, v4
.LBB389_737:                            ;   in Loop: Header=BB389_11 Depth=1
	s_or_b32 exec_lo, exec_lo, s23
.LBB389_738:                            ;   in Loop: Header=BB389_11 Depth=1
	s_or_b32 exec_lo, exec_lo, s22
.LBB389_739:                            ;   in Loop: Header=BB389_11 Depth=1
	s_or_b32 exec_lo, exec_lo, s6
	v_mov_b32_e32 v124, 0
	v_mov_b32_e32 v123, 0
	s_mov_b32 s6, exec_lo
	v_cmpx_lt_u32_e32 0xffffff, v28
	s_cbranch_execz .LBB389_747
; %bb.740:                              ;   in Loop: Header=BB389_11 Depth=1
	v_cmp_ne_u32_sdwa s5, v28, v14 src0_sel:BYTE_3 src1_sel:DWORD
	v_bfrev_b32_e32 v123, 1
	s_and_saveexec_b32 s22, s5
	s_cbranch_execz .LBB389_746
; %bb.741:                              ;   in Loop: Header=BB389_11 Depth=1
	v_bfe_u32 v30, v28, 24, 7
	v_mov_b32_e32 v123, 0x7f800001
	s_mov_b32 s23, exec_lo
	v_cmpx_ne_u32_e32 0x7f, v30
	s_cbranch_execz .LBB389_745
; %bb.742:                              ;   in Loop: Header=BB389_11 Depth=1
	v_and_b32_sdwa v18, v28, v34 dst_sel:DWORD dst_unused:UNUSED_PAD src0_sel:BYTE_3 src1_sel:DWORD
	v_lshrrev_b32_e32 v4, 3, v30
	v_cmp_gt_u32_e64 s5, 8, v30
	v_mov_b32_e32 v31, v19
	v_mov_b32_e32 v30, v18
	s_and_saveexec_b32 s24, s5
; %bb.743:                              ;   in Loop: Header=BB389_11 Depth=1
	v_ffbh_u32_e32 v4, v18
	v_min_u32_e32 v4, 32, v4
	v_subrev_nc_u32_e32 v30, 28, v4
	v_sub_nc_u32_e32 v4, 29, v4
	v_lshlrev_b64 v[30:31], v30, v[18:19]
	v_and_b32_e32 v30, 7, v30
; %bb.744:                              ;   in Loop: Header=BB389_11 Depth=1
	s_or_b32 exec_lo, exec_lo, s24
	v_lshlrev_b32_sdwa v18, v38, v28 dst_sel:DWORD dst_unused:UNUSED_PAD src0_sel:DWORD src1_sel:BYTE_3
	v_lshlrev_b32_e32 v30, 20, v30
	v_lshl_add_u32 v4, v4, 23, 0x3c000000
	v_and_b32_e32 v18, 0x80000000, v18
	v_or3_b32 v123, v30, v18, v4
.LBB389_745:                            ;   in Loop: Header=BB389_11 Depth=1
	s_or_b32 exec_lo, exec_lo, s23
.LBB389_746:                            ;   in Loop: Header=BB389_11 Depth=1
	s_or_b32 exec_lo, exec_lo, s22
.LBB389_747:                            ;   in Loop: Header=BB389_11 Depth=1
	s_or_b32 exec_lo, exec_lo, s6
	v_mov_b32_e32 v18, v29
	v_cmp_ne_u16_sdwa s5, v29, v19 src0_sel:BYTE_0 src1_sel:DWORD
	s_and_saveexec_b32 s6, s5
	s_cbranch_execz .LBB389_755
; %bb.748:                              ;   in Loop: Header=BB389_11 Depth=1
	v_cmp_ne_u16_sdwa s5, v29, v14 src0_sel:BYTE_0 src1_sel:DWORD
	v_bfrev_b32_e32 v124, 1
	s_and_saveexec_b32 s22, s5
	s_cbranch_execz .LBB389_754
; %bb.749:                              ;   in Loop: Header=BB389_11 Depth=1
	v_and_b32_e32 v30, 0x7f, v29
	v_mov_b32_e32 v124, 0x7f800001
	s_mov_b32 s23, exec_lo
	v_cmpx_ne_u32_e32 0x7f, v30
	s_cbranch_execz .LBB389_753
; %bb.750:                              ;   in Loop: Header=BB389_11 Depth=1
	v_lshrrev_b32_e32 v4, 3, v30
	v_cmp_gt_u32_e64 s5, 8, v30
	v_mov_b32_e32 v31, v19
	v_mov_b32_e32 v30, v18
	s_and_saveexec_b32 s24, s5
; %bb.751:                              ;   in Loop: Header=BB389_11 Depth=1
	v_and_b32_e32 v4, 7, v29
	v_ffbh_u32_e32 v4, v4
	v_min_u32_e32 v4, 32, v4
	v_subrev_nc_u32_e32 v30, 28, v4
	v_sub_nc_u32_e32 v4, 29, v4
	v_lshlrev_b64 v[30:31], v30, v[18:19]
; %bb.752:                              ;   in Loop: Header=BB389_11 Depth=1
	s_or_b32 exec_lo, exec_lo, s24
	v_lshlrev_b32_e32 v30, 20, v30
	v_lshlrev_b32_e32 v31, 24, v18
	v_lshl_add_u32 v4, v4, 23, 0x3c000000
	v_and_b32_e32 v30, 0x700000, v30
	v_and_b32_e32 v31, 0x80000000, v31
	v_or3_b32 v124, v30, v31, v4
.LBB389_753:                            ;   in Loop: Header=BB389_11 Depth=1
	s_or_b32 exec_lo, exec_lo, s23
.LBB389_754:                            ;   in Loop: Header=BB389_11 Depth=1
	s_or_b32 exec_lo, exec_lo, s22
.LBB389_755:                            ;   in Loop: Header=BB389_11 Depth=1
	s_or_b32 exec_lo, exec_lo, s6
	v_cmp_ne_u16_sdwa s5, v18, v19 src0_sel:BYTE_1 src1_sel:DWORD
	v_mov_b32_e32 v127, 0
	v_mov_b32_e32 v36, 0
	s_and_saveexec_b32 s6, s5
	s_cbranch_execz .LBB389_763
; %bb.756:                              ;   in Loop: Header=BB389_11 Depth=1
	v_cmp_ne_u16_sdwa s5, v18, v14 src0_sel:BYTE_1 src1_sel:DWORD
	v_bfrev_b32_e32 v36, 1
	s_and_saveexec_b32 s22, s5
	s_cbranch_execz .LBB389_762
; %bb.757:                              ;   in Loop: Header=BB389_11 Depth=1
	v_and_b32_sdwa v4, v15, v18 dst_sel:DWORD dst_unused:UNUSED_PAD src0_sel:DWORD src1_sel:BYTE_1
	v_mov_b32_e32 v36, 0x7f800001
	s_mov_b32 s23, exec_lo
	v_and_b32_e32 v54, 0x7f, v4
	v_cmpx_ne_u32_e32 0x7f, v54
	s_cbranch_execz .LBB389_761
; %bb.758:                              ;   in Loop: Header=BB389_11 Depth=1
	v_and_b32_e32 v30, 7, v4
	v_mov_b32_e32 v31, v19
	v_lshrrev_b32_e32 v4, 3, v54
	s_mov_b32 s24, exec_lo
	v_cmpx_gt_u32_e32 8, v54
; %bb.759:                              ;   in Loop: Header=BB389_11 Depth=1
	v_ffbh_u32_e32 v4, v30
	v_min_u32_e32 v4, 32, v4
	v_subrev_nc_u32_e32 v36, 28, v4
	v_sub_nc_u32_e32 v4, 29, v4
	v_lshlrev_b64 v[30:31], v36, v[30:31]
	v_and_b32_e32 v30, 7, v30
; %bb.760:                              ;   in Loop: Header=BB389_11 Depth=1
	s_or_b32 exec_lo, exec_lo, s24
	v_lshlrev_b32_e32 v18, 16, v18
	v_lshlrev_b32_e32 v30, 20, v30
	v_lshl_add_u32 v4, v4, 23, 0x3c000000
	v_and_b32_e32 v18, 0x80000000, v18
	v_or3_b32 v36, v30, v18, v4
.LBB389_761:                            ;   in Loop: Header=BB389_11 Depth=1
	s_or_b32 exec_lo, exec_lo, s23
.LBB389_762:                            ;   in Loop: Header=BB389_11 Depth=1
	s_or_b32 exec_lo, exec_lo, s22
.LBB389_763:                            ;   in Loop: Header=BB389_11 Depth=1
	s_or_b32 exec_lo, exec_lo, s6
	v_and_b32_sdwa v4, v29, v23 dst_sel:DWORD dst_unused:UNUSED_PAD src0_sel:WORD_1 src1_sel:DWORD
	s_mov_b32 s6, exec_lo
	v_cmpx_ne_u16_e32 0, v4
	s_cbranch_execz .LBB389_771
; %bb.764:                              ;   in Loop: Header=BB389_11 Depth=1
	v_bfrev_b32_e32 v127, 1
	s_mov_b32 s22, exec_lo
	v_cmpx_ne_u16_e32 0x80, v4
	s_cbranch_execz .LBB389_770
; %bb.765:                              ;   in Loop: Header=BB389_11 Depth=1
	v_bfe_u32 v30, v29, 16, 7
	v_mov_b32_e32 v127, 0x7f800001
	s_mov_b32 s23, exec_lo
	v_cmpx_ne_u32_e32 0x7f, v30
	s_cbranch_execz .LBB389_769
; %bb.766:                              ;   in Loop: Header=BB389_11 Depth=1
	v_and_b32_sdwa v18, v29, v34 dst_sel:DWORD dst_unused:UNUSED_PAD src0_sel:WORD_1 src1_sel:DWORD
	v_lshrrev_b32_e32 v4, 3, v30
	v_cmp_gt_u32_e64 s5, 8, v30
	v_mov_b32_e32 v31, v19
	v_mov_b32_e32 v30, v18
	s_and_saveexec_b32 s24, s5
; %bb.767:                              ;   in Loop: Header=BB389_11 Depth=1
	v_ffbh_u32_e32 v4, v18
	v_min_u32_e32 v4, 32, v4
	v_subrev_nc_u32_e32 v30, 28, v4
	v_sub_nc_u32_e32 v4, 29, v4
	v_lshlrev_b64 v[30:31], v30, v[18:19]
	v_and_b32_e32 v30, 7, v30
; %bb.768:                              ;   in Loop: Header=BB389_11 Depth=1
	s_or_b32 exec_lo, exec_lo, s24
	v_lshlrev_b32_sdwa v18, v38, v29 dst_sel:DWORD dst_unused:UNUSED_PAD src0_sel:DWORD src1_sel:WORD_1
	v_lshlrev_b32_e32 v30, 20, v30
	v_lshl_add_u32 v4, v4, 23, 0x3c000000
	v_and_b32_e32 v18, 0x80000000, v18
	v_or3_b32 v127, v30, v18, v4
.LBB389_769:                            ;   in Loop: Header=BB389_11 Depth=1
	s_or_b32 exec_lo, exec_lo, s23
.LBB389_770:                            ;   in Loop: Header=BB389_11 Depth=1
	s_or_b32 exec_lo, exec_lo, s22
.LBB389_771:                            ;   in Loop: Header=BB389_11 Depth=1
	s_or_b32 exec_lo, exec_lo, s6
	v_mov_b32_e32 v4, 0
	s_mov_b32 s6, exec_lo
	v_cmpx_lt_u64_e64 s[8:9], v[28:29]
	s_cbranch_execz .LBB389_10
; %bb.772:                              ;   in Loop: Header=BB389_11 Depth=1
	v_cmp_ne_u32_sdwa s5, v29, v14 src0_sel:BYTE_3 src1_sel:DWORD
	v_bfrev_b32_e32 v4, 1
	s_and_saveexec_b32 s22, s5
	s_cbranch_execz .LBB389_9
; %bb.773:                              ;   in Loop: Header=BB389_11 Depth=1
	v_bfe_u32 v28, v29, 24, 7
	v_mov_b32_e32 v4, 0x7f800001
	s_mov_b32 s23, exec_lo
	v_cmpx_ne_u32_e32 0x7f, v28
	s_cbranch_execz .LBB389_8
; %bb.774:                              ;   in Loop: Header=BB389_11 Depth=1
	v_and_b32_sdwa v18, v29, v34 dst_sel:DWORD dst_unused:UNUSED_PAD src0_sel:BYTE_3 src1_sel:DWORD
	v_mov_b32_e32 v31, v19
	v_lshrrev_b32_e32 v4, 3, v28
	s_mov_b32 s24, exec_lo
	v_mov_b32_e32 v30, v18
	v_cmpx_gt_u32_e32 8, v28
	s_cbranch_execz .LBB389_7
; %bb.775:                              ;   in Loop: Header=BB389_11 Depth=1
	v_ffbh_u32_e32 v4, v18
	v_min_u32_e32 v4, 32, v4
	v_subrev_nc_u32_e32 v28, 28, v4
	v_sub_nc_u32_e32 v4, 29, v4
	v_lshlrev_b64 v[30:31], v28, v[18:19]
	v_and_b32_e32 v30, 7, v30
	s_branch .LBB389_7
.LBB389_776:
	s_or_b32 exec_lo, exec_lo, s17
	s_clause 0xa
	buffer_load_dword v12, off, s[0:3], s32 offset:572
	buffer_load_dword v37, off, s[0:3], s32 offset:584
	;; [unrolled: 1-line block ×11, first 2 shown]
.LBB389_777:
	s_or_b32 exec_lo, exec_lo, s21
	v_mbcnt_lo_u32_b32 v0, -1, 0
	v_max_f32_e32 v4, v7, v7
	s_lshr_b32 s8, s13, 16
	v_xor_b32_e32 v1, 16, v0
	v_xor_b32_e32 v3, 8, v0
	;; [unrolled: 1-line block ×3, first 2 shown]
	v_cmp_gt_i32_e32 vcc_lo, 32, v1
	v_cndmask_b32_e32 v1, v0, v1, vcc_lo
	v_cmp_gt_i32_e32 vcc_lo, 32, v3
	v_lshlrev_b32_e32 v2, 2, v1
	v_cndmask_b32_e32 v3, v0, v3, vcc_lo
	v_cmp_gt_i32_e32 vcc_lo, 32, v5
	ds_bpermute_b32 v1, v2, v7
	v_lshlrev_b32_e32 v3, 2, v3
	v_cndmask_b32_e32 v5, v0, v5, vcc_lo
	s_waitcnt lgkmcnt(0)
	v_max_f32_e32 v1, v1, v1
	v_max_f32_e32 v1, v4, v1
	ds_bpermute_b32 v4, v3, v1
	s_waitcnt lgkmcnt(0)
	v_max_f32_e32 v6, v4, v4
	v_lshlrev_b32_e32 v4, 2, v5
	v_max_f32_e32 v1, v1, v6
	v_xor_b32_e32 v6, 2, v0
	ds_bpermute_b32 v5, v4, v1
	v_cmp_gt_i32_e32 vcc_lo, 32, v6
	v_cndmask_b32_e32 v6, v0, v6, vcc_lo
	v_lshlrev_b32_e32 v13, 2, v6
	v_xor_b32_e32 v6, 1, v0
	v_cmp_gt_i32_e32 vcc_lo, 32, v6
	s_waitcnt lgkmcnt(0)
	v_max_f32_e32 v5, v5, v5
	v_cndmask_b32_e32 v6, v0, v6, vcc_lo
	s_waitcnt vmcnt(8)
	v_cmp_eq_u32_e32 vcc_lo, 0, v38
	v_max_f32_e32 v1, v1, v5
	v_lshlrev_b32_e32 v34, 2, v6
	ds_bpermute_b32 v5, v13, v1
	s_waitcnt lgkmcnt(0)
	v_max_f32_e32 v5, v5, v5
	v_max_f32_e32 v0, v1, v5
	v_lshlrev_b32_e32 v5, 2, v37
	ds_bpermute_b32 v1, v34, v0
	s_and_saveexec_b32 s5, vcc_lo
	s_cbranch_execz .LBB389_779
; %bb.778:
	s_waitcnt lgkmcnt(0)
	v_max_f32_e32 v1, v1, v1
	v_max_f32_e32 v0, v0, v0
	;; [unrolled: 1-line block ×3, first 2 shown]
	ds_write_b32 v5, v0 offset:192
.LBB389_779:
	s_or_b32 exec_lo, exec_lo, s5
	v_cmp_gt_u32_e64 s5, 4, v38
	v_mov_b32_e32 v0, 0xff7fffff
	s_waitcnt vmcnt(0) lgkmcnt(0)
	s_waitcnt_vscnt null, 0x0
	s_barrier
	buffer_gl0_inv
	s_and_saveexec_b32 s6, s5
; %bb.780:
	ds_read_b32 v0, v23 offset:192
; %bb.781:
	s_or_b32 exec_lo, exec_lo, s6
	buffer_load_dword v6, off, s[0:3], s32 offset:236 ; 4-byte Folded Reload
	s_waitcnt lgkmcnt(0)
	ds_bpermute_b32 v1, v13, v0
	v_max_f32_e32 v0, v0, v0
	s_waitcnt lgkmcnt(0)
	v_max_f32_e32 v1, v1, v1
	v_max_f32_e32 v0, v0, v1
	ds_bpermute_b32 v1, v34, v0
	s_waitcnt lgkmcnt(0)
	v_max_f32_e32 v1, v1, v1
	v_max_f32_e32 v0, v0, v1
	s_waitcnt vmcnt(0)
	v_subrev_nc_u32_e32 v7, s7, v6
	v_mov_b32_e32 v6, 0
	v_lshl_add_u32 v1, v7, 5, s20
	ds_bpermute_b32 v0, v6, v0
	v_min_i32_e32 v1, v1, v35
	v_subrev_nc_u32_e32 v1, s20, v1
	v_cmp_lt_i32_e64 s6, v12, v1
	s_and_saveexec_b32 s9, s6
	s_cbranch_execz .LBB389_785
; %bb.782:
	s_getpc_b64 s[22:23]
	s_add_u32 s22, s22, llvm.amdgcn.dynlds.offset.table@rel32@lo+4
	s_addc_u32 s23, s23, llvm.amdgcn.dynlds.offset.table@rel32@hi+12
	s_ashr_i32 s17, s16, 31
	v_mov_b32_e32 v6, 0
	s_lshl_b64 s[24:25], s[16:17], 2
	v_mov_b32_e32 v8, v12
	s_add_u32 s22, s22, s24
	s_addc_u32 s23, s23, s25
	s_mov_b32 s13, 0
	s_load_dword s7, s[22:23], 0x0
	s_waitcnt lgkmcnt(0)
	v_lshl_add_u32 v7, v12, 2, s7
	.p2align	6
.LBB389_783:                            ; =>This Inner Loop Header: Depth=1
	ds_read_b32 v9, v7
	v_add_nc_u32_e32 v8, 0x80, v8
	v_cmp_ge_i32_e64 s7, v8, v1
	s_or_b32 s13, s7, s13
	s_waitcnt lgkmcnt(0)
	v_sub_f32_e32 v9, v9, v0
	v_mul_f32_e32 v9, 0x3fb8aa3b, v9
	v_exp_f32_e32 v9, v9
	ds_write_b32 v7, v9
	v_add_f32_e32 v6, v6, v9
	v_add_nc_u32_e32 v7, 0x200, v7
	s_andn2_b32 exec_lo, exec_lo, s13
	s_cbranch_execnz .LBB389_783
; %bb.784:
	s_or_b32 exec_lo, exec_lo, s13
.LBB389_785:
	s_or_b32 exec_lo, exec_lo, s9
	ds_bpermute_b32 v2, v2, v6
	s_waitcnt lgkmcnt(0)
	v_add_f32_e32 v2, v6, v2
	ds_bpermute_b32 v3, v3, v2
	s_waitcnt lgkmcnt(0)
	v_add_f32_e32 v2, v2, v3
	;; [unrolled: 3-line block ×5, first 2 shown]
	s_and_saveexec_b32 s7, vcc_lo
; %bb.786:
	ds_write_b32 v5, v2 offset:208
; %bb.787:
	s_or_b32 exec_lo, exec_lo, s7
	s_waitcnt lgkmcnt(0)
	s_barrier
	buffer_gl0_inv
	s_and_saveexec_b32 s7, s5
; %bb.788:
	ds_read_b32 v2, v23 offset:208
; %bb.789:
	s_or_b32 exec_lo, exec_lo, s7
	s_waitcnt lgkmcnt(0)
	ds_bpermute_b32 v3, v13, v2
	s_waitcnt lgkmcnt(0)
	v_add_f32_e32 v2, v2, v3
	ds_bpermute_b32 v3, v34, v2
	s_waitcnt lgkmcnt(0)
	v_add_f32_e32 v2, v2, v3
	v_mov_b32_e32 v3, 0
	ds_bpermute_b32 v2, v3, v2
	s_and_saveexec_b32 s5, s6
	s_cbranch_execz .LBB389_792
; %bb.790:
	s_waitcnt lgkmcnt(0)
	v_add_f32_e32 v4, 0x358637bd, v2
	s_getpc_b64 s[6:7]
	s_add_u32 s6, s6, llvm.amdgcn.dynlds.offset.table@rel32@lo+4
	s_addc_u32 s7, s7, llvm.amdgcn.dynlds.offset.table@rel32@hi+12
	s_ashr_i32 s17, s16, 31
	s_lshl_b64 s[22:23], s[16:17], 2
	v_div_scale_f32 v3, null, v4, v4, 1.0
	v_div_scale_f32 v7, vcc_lo, 1.0, v4, 1.0
	s_add_u32 s6, s6, s22
	v_rcp_f32_e32 v5, v3
	s_addc_u32 s7, s7, s23
	s_load_dword s6, s[6:7], 0x0
	v_fma_f32 v6, -v3, v5, 1.0
	v_fmac_f32_e32 v5, v6, v5
	v_mul_f32_e32 v6, v7, v5
	v_fma_f32 v8, -v3, v6, v7
	v_fmac_f32_e32 v6, v8, v5
	v_fma_f32 v3, -v3, v6, v7
	v_div_fmas_f32 v5, v3, v5, v6
	s_waitcnt lgkmcnt(0)
	v_lshl_add_u32 v3, v12, 2, s6
	s_mov_b32 s6, 0
	v_div_fixup_f32 v4, v5, v4, 1.0
	v_mov_b32_e32 v5, v12
.LBB389_791:                            ; =>This Inner Loop Header: Depth=1
	ds_read_b32 v6, v3
	v_add_nc_u32_e32 v5, 0x80, v5
	v_cmp_ge_i32_e32 vcc_lo, v5, v1
	s_or_b32 s6, vcc_lo, s6
	s_waitcnt lgkmcnt(0)
	v_mul_f32_e32 v6, v4, v6
	ds_write_b32 v3, v6
	v_add_nc_u32_e32 v3, 0x200, v3
	s_andn2_b32 exec_lo, exec_lo, s6
	s_cbranch_execnz .LBB389_791
.LBB389_792:
	s_or_b32 exec_lo, exec_lo, s5
	s_and_b32 s5, 0xffff, s8
	s_mov_b32 s8, exec_lo
	s_cmp_lg_u32 s5, 0
	s_waitcnt lgkmcnt(0)
	s_cselect_b32 s5, -1, 0
	s_barrier
	s_cmp_lg_u32 s5, 0
	buffer_gl0_inv
	s_addc_u32 s5, s11, 0
	s_mul_i32 s6, s5, s18
	s_mul_i32 s6, s6, s15
	v_cmpx_eq_u32_e32 0, v12
	s_cbranch_execz .LBB389_794
; %bb.793:
	s_clause 0x1
	buffer_load_dword v1, off, s[0:3], s32 offset:620
	buffer_load_dword v3, off, s[0:3], s32 offset:616
	s_ashr_i32 s7, s6, 31
	s_mul_i32 s12, s5, s12
	s_lshl_b64 s[22:23], s[6:7], 2
	s_ashr_i32 s13, s12, 31
	s_ashr_i32 s15, s14, 31
	s_lshl_b64 s[12:13], s[12:13], 2
	buffer_load_dword v5, off, s[0:3], s32 offset:608 ; 4-byte Folded Reload
	s_waitcnt vmcnt(2)
	v_add_co_u32 v1, vcc_lo, v1, s22
	s_waitcnt vmcnt(1)
	v_add_co_ci_u32_e64 v3, null, s23, v3, vcc_lo
	v_add_co_u32 v1, vcc_lo, v1, s12
	v_add_co_ci_u32_e64 v4, null, s13, v3, vcc_lo
	buffer_load_dword v3, off, s[0:3], s32 offset:612 ; 4-byte Folded Reload
	s_waitcnt vmcnt(0)
	v_add_co_u32 v3, vcc_lo, v3, s22
	v_add_co_ci_u32_e64 v5, null, s23, v5, vcc_lo
	s_lshl_b64 s[22:23], s[14:15], 2
	v_add_co_u32 v6, vcc_lo, v3, s12
	v_add_co_ci_u32_e64 v7, null, s13, v5, vcc_lo
	v_add_co_u32 v3, vcc_lo, v1, s22
	v_add_co_ci_u32_e64 v4, null, s23, v4, vcc_lo
	;; [unrolled: 2-line block ×3, first 2 shown]
	flat_store_dword v[3:4], v0
	flat_store_dword v[5:6], v2
.LBB389_794:
	s_or_b32 exec_lo, exec_lo, s8
	s_and_saveexec_b32 s7, s4
	s_xor_b32 s4, exec_lo, s7
; %bb.795:
                                        ; implicit-def: $vgpr0
                                        ; kill: killed $vgpr0
	s_ashr_i32 s17, s16, 31
                                        ; implicit-def: $vgpr0
                                        ; kill: killed $vgpr0
                                        ; implicit-def: $vgpr35
                                        ; implicit-def: $vgpr10
                                        ; implicit-def: $vgpr16
                                        ; implicit-def: $vgpr14
                                        ; implicit-def: $vgpr15
                                        ; implicit-def: $vgpr18
                                        ; implicit-def: $vgpr22
                                        ; implicit-def: $vgpr20_vgpr21
                                        ; implicit-def: $vgpr0
                                        ; kill: killed $vgpr0
                                        ; implicit-def: $vgpr0
                                        ; kill: killed $vgpr0
                                        ; implicit-def: $vgpr0_vgpr1
                                        ; kill: killed $vgpr0_vgpr1
; %bb.796:
	s_or_saveexec_b32 s7, s4
	v_mov_b32_e32 v0, s16
	v_mov_b32_e32 v50, 0
	;; [unrolled: 1-line block ×3, first 2 shown]
	v_and_b32_e32 v36, 3, v12
	v_mov_b32_e32 v53, 0
	v_mov_b32_e32 v52, 0
	;; [unrolled: 1-line block ×11, first 2 shown]
	s_xor_b32 exec_lo, exec_lo, s7
	s_cbranch_execz .LBB389_1592
; %bb.797:
	buffer_store_dword v13, off, s[0:3], s32 offset:256 ; 4-byte Folded Spill
	buffer_store_dword v34, off, s[0:3], s32 offset:252 ; 4-byte Folded Spill
	s_clause 0x1
	buffer_load_dword v0, off, s[0:3], s32 offset:592
	buffer_load_dword v1, off, s[0:3], s32 offset:596
	s_getpc_b64 s[8:9]
	s_add_u32 s8, s8, llvm.amdgcn.dynlds.offset.table@rel32@lo+4
	s_addc_u32 s9, s9, llvm.amdgcn.dynlds.offset.table@rel32@hi+12
	s_ashr_i32 s17, s16, 31
	v_mov_b32_e32 v11, 0
	s_lshl_b64 s[12:13], s[16:17], 2
	v_mov_b32_e32 v64, 0x80
	s_add_u32 s8, s8, s12
	s_addc_u32 s9, s9, s13
	v_mov_b32_e32 v66, 0xff
	s_load_dword s4, s[8:9], 0x0
	v_mov_b32_e32 v29, 0
	v_mov_b32_e32 v30, 0
	;; [unrolled: 1-line block ×12, first 2 shown]
	s_mov_b32 s8, -1
	s_mov_b32 s9, 0xffffff
	s_mov_b32 s11, 0
	s_waitcnt vmcnt(0)
	flat_load_dword v26, v[0:1]
	s_clause 0x1
	buffer_load_dword v1, off, s[0:3], s32 offset:604
	buffer_load_dword v0, off, s[0:3], s32 offset:572
	s_waitcnt vmcnt(1)
	v_add_co_u32 v3, vcc_lo, v1, v18
	buffer_load_dword v1, off, s[0:3], s32 offset:600 ; 4-byte Folded Reload
	s_waitcnt vmcnt(1)
	v_lshlrev_b32_e32 v0, 3, v0
	v_and_b32_e32 v5, 0xf8, v0
	v_and_b32_e32 v2, 24, v0
	v_add_nc_u32_e32 v0, -1, v10
	buffer_store_dword v0, off, s[0:3], s32 offset:240 ; 4-byte Folded Spill
	s_waitcnt vmcnt(0)
	v_add_co_ci_u32_e64 v4, null, v1, v22, vcc_lo
	v_add_co_u32 v3, vcc_lo, v3, v5
	v_lshlrev_b64 v[0:1], 2, v[16:17]
	v_add_co_ci_u32_e64 v4, null, 0, v4, vcc_lo
	buffer_store_dword v3, off, s[0:3], s32 offset:244 ; 4-byte Folded Spill
	buffer_store_dword v4, off, s[0:3], s32 offset:248 ; 4-byte Folded Spill
	;; [unrolled: 1-line block ×3, first 2 shown]
	v_lshlrev_b32_e32 v3, 5, v36
	v_add_co_u32 v0, vcc_lo, v20, v0
	v_add_co_ci_u32_e64 v1, null, v21, v1, vcc_lo
	v_lshl_add_u32 v4, v37, 5, s20
	v_lshl_or_b32 v3, v37, 7, v3
	v_add_co_u32 v14, vcc_lo, v14, v0
	v_add_co_ci_u32_e64 v15, null, v15, v1, vcc_lo
	v_add3_u32 v54, v4, v2, 7
	s_waitcnt lgkmcnt(0)
	v_add_nc_u32_e32 v55, s4, v3
	s_branch .LBB389_799
.LBB389_798:                            ;   in Loop: Header=BB389_799 Depth=1
	s_or_b32 exec_lo, exec_lo, s4
	v_bfe_u32 v82, v6, 16, 1
	v_or_b32_e32 v83, 0x400000, v6
	v_cmp_u_f32_e32 vcc_lo, v6, v6
	v_lshlrev_b32_e32 v81, 16, v81
	v_lshlrev_b32_e32 v70, 16, v70
	v_add3_u32 v82, v82, v6, 0x7fff
	v_lshlrev_b32_e32 v4, 16, v4
	v_lshlrev_b32_e32 v12, 16, v12
	v_lshlrev_b32_e32 v28, 16, v28
	v_lshlrev_b32_e32 v21, 16, v21
	v_cndmask_b32_e32 v6, v82, v83, vcc_lo
	v_bfe_u32 v82, v7, 16, 1
	v_or_b32_e32 v83, 0x400000, v7
	v_cmp_u_f32_e32 vcc_lo, v7, v7
	v_lshlrev_b32_e32 v13, 16, v13
	v_lshlrev_b32_e32 v25, 16, v25
	v_add3_u32 v82, v82, v7, 0x7fff
	v_lshlrev_b32_e32 v22, 16, v22
	v_lshlrev_b32_e32 v5, 16, v5
	;; [unrolled: 1-line block ×3, first 2 shown]
	v_add_nc_u32_e32 v16, 4, v16
	v_cndmask_b32_e32 v7, v82, v83, vcc_lo
	v_bfe_u32 v82, v8, 16, 1
	v_or_b32_e32 v83, 0x400000, v8
	v_cmp_u_f32_e32 vcc_lo, v8, v8
	v_add_nc_u32_e32 v54, 0x80, v54
	v_add_nc_u32_e32 v55, 0x200, v55
	v_add3_u32 v82, v82, v8, 0x7fff
	v_bfe_u32 v8, v9, 16, 1
	v_cndmask_b32_e32 v82, v82, v83, vcc_lo
	v_add3_u32 v8, v8, v9, 0x7fff
	v_or_b32_e32 v83, 0x400000, v9
	v_cmp_u_f32_e32 vcc_lo, v9, v9
	v_or_b32_e32 v9, 0x400000, v0
	v_cndmask_b32_e32 v83, v8, v83, vcc_lo
	v_bfe_u32 v8, v0, 16, 1
	v_cmp_u_f32_e32 vcc_lo, v0, v0
	v_add3_u32 v8, v8, v0, 0x7fff
	v_cndmask_b32_e32 v0, v8, v9, vcc_lo
	v_bfe_u32 v8, v1, 16, 1
	v_or_b32_e32 v9, 0x400000, v1
	v_cmp_u_f32_e32 vcc_lo, v1, v1
	v_add3_u32 v8, v8, v1, 0x7fff
	v_cndmask_b32_e32 v1, v8, v9, vcc_lo
	v_bfe_u32 v8, v2, 16, 1
	v_or_b32_e32 v9, 0x400000, v2
	v_cmp_u_f32_e32 vcc_lo, v2, v2
	v_and_b32_e32 v1, 0xffff0000, v1
	v_add3_u32 v8, v8, v2, 0x7fff
	v_mul_f32_e32 v22, v1, v22
	v_cndmask_b32_e32 v2, v8, v9, vcc_lo
	v_bfe_u32 v8, v3, 16, 1
	v_or_b32_e32 v9, 0x400000, v3
	v_cmp_u_f32_e32 vcc_lo, v3, v3
	v_and_b32_e32 v2, 0xffff0000, v2
	v_add3_u32 v8, v8, v3, 0x7fff
	v_lshlrev_b32_e32 v3, 16, v71
	v_mul_f32_e32 v70, v2, v70
	v_cndmask_b32_e32 v84, v8, v9, vcc_lo
	v_and_b32_e32 v8, 0xffff0000, v7
	v_mul_f32_e32 v25, v2, v25
	v_mul_f32_e32 v27, v2, v27
	;; [unrolled: 1-line block ×4, first 2 shown]
	v_bfe_u32 v7, v3, 16, 1
	v_or_b32_e32 v9, 0x400000, v3
	v_cmp_u_f32_e32 vcc_lo, v3, v3
	v_add3_u32 v7, v7, v3, 0x7fff
	v_lshlrev_b32_e32 v3, 16, v80
	v_cndmask_b32_e32 v71, v7, v9, vcc_lo
	v_and_b32_e32 v9, 0xffff0000, v6
	v_and_b32_e32 v71, 0xffff0000, v71
	v_mul_f32_e32 v3, v9, v3
	v_mul_f32_e32 v12, v9, v12
	v_bfe_u32 v6, v3, 16, 1
	v_or_b32_e32 v7, 0x400000, v3
	v_cmp_u_f32_e32 vcc_lo, v3, v3
	v_add3_u32 v6, v6, v3, 0x7fff
	v_and_b32_e32 v3, 0xffff0000, v83
	v_cndmask_b32_e32 v80, v6, v7, vcc_lo
	v_lshlrev_b32_e32 v6, 16, v68
	v_mul_f32_e32 v28, v3, v28
	v_and_b32_e32 v80, 0xffff0000, v80
	v_mul_f32_e32 v6, v3, v6
	v_add_f32_e32 v71, v80, v71
	v_bfe_u32 v7, v6, 16, 1
	v_or_b32_e32 v68, 0x400000, v6
	v_cmp_u_f32_e32 vcc_lo, v6, v6
	v_add3_u32 v7, v7, v6, 0x7fff
	v_lshlrev_b32_e32 v6, 16, v69
	v_cndmask_b32_e32 v68, v7, v68, vcc_lo
	v_and_b32_e32 v7, 0xffff0000, v82
	v_and_b32_e32 v68, 0xffff0000, v68
	v_mul_f32_e32 v6, v7, v6
	v_mul_f32_e32 v21, v7, v21
	v_bfe_u32 v69, v6, 16, 1
	v_or_b32_e32 v82, 0x400000, v6
	v_cmp_u_f32_e32 vcc_lo, v6, v6
	v_add3_u32 v69, v69, v6, 0x7fff
	v_lshlrev_b32_e32 v6, 16, v65
	v_cndmask_b32_e32 v69, v69, v82, vcc_lo
	v_mul_f32_e32 v6, v1, v6
	v_and_b32_e32 v69, 0xffff0000, v69
	v_bfe_u32 v65, v6, 16, 1
	v_or_b32_e32 v82, 0x400000, v6
	v_cmp_u_f32_e32 vcc_lo, v6, v6
	v_add_f32_e32 v68, v69, v68
	v_add3_u32 v65, v65, v6, 0x7fff
	v_and_b32_e32 v6, 0xffff0000, v0
	v_lshlrev_b32_e32 v0, 16, v67
	v_add_f32_e32 v68, v71, v68
	v_cndmask_b32_e32 v65, v65, v82, vcc_lo
	v_mul_f32_e32 v5, v6, v5
	v_mul_f32_e32 v0, v6, v0
	v_and_b32_e32 v65, 0xffff0000, v65
	v_bfe_u32 v67, v0, 16, 1
	v_or_b32_e32 v82, 0x400000, v0
	v_cmp_u_f32_e32 vcc_lo, v0, v0
	v_add3_u32 v67, v67, v0, 0x7fff
	v_and_b32_e32 v0, 0xffff0000, v84
	v_cndmask_b32_e32 v67, v67, v82, vcc_lo
	v_mul_f32_e32 v81, v0, v81
	v_mul_f32_e32 v13, v0, v13
	v_and_b32_e32 v67, 0xffff0000, v67
	v_bfe_u32 v82, v81, 16, 1
	v_or_b32_e32 v83, 0x400000, v81
	v_cmp_u_f32_e32 vcc_lo, v81, v81
	v_add_f32_e32 v65, v67, v65
	v_add3_u32 v82, v82, v81, 0x7fff
	v_add_f32_e32 v65, v68, v65
	v_cndmask_b32_e32 v81, v82, v83, vcc_lo
	v_bfe_u32 v82, v70, 16, 1
	v_or_b32_e32 v83, 0x400000, v70
	v_cmp_u_f32_e32 vcc_lo, v70, v70
	v_and_b32_e32 v68, 0xffff0000, v81
	v_add3_u32 v82, v82, v70, 0x7fff
	v_cndmask_b32_e32 v70, v82, v83, vcc_lo
	v_cmp_u_f32_e32 vcc_lo, v4, v4
	v_and_b32_e32 v67, 0xffff0000, v70
	v_add_f32_e32 v67, v67, v68
	v_add_f32_e32 v65, v65, v67
	v_or_b32_e32 v67, 0x400000, v4
	v_add_f32_e32 v30, v30, v65
	v_bfe_u32 v65, v4, 16, 1
	v_add3_u32 v65, v65, v4, 0x7fff
	v_cndmask_b32_e32 v4, v65, v67, vcc_lo
	v_bfe_u32 v65, v12, 16, 1
	v_or_b32_e32 v67, 0x400000, v12
	v_cmp_u_f32_e32 vcc_lo, v12, v12
	v_and_b32_e32 v4, 0xffff0000, v4
	v_add3_u32 v65, v65, v12, 0x7fff
	v_cndmask_b32_e32 v12, v65, v67, vcc_lo
	v_bfe_u32 v65, v28, 16, 1
	v_or_b32_e32 v67, 0x400000, v28
	v_cmp_u_f32_e32 vcc_lo, v28, v28
	v_and_b32_e32 v12, 0xffff0000, v12
	v_add3_u32 v65, v65, v28, 0x7fff
	v_add_f32_e32 v4, v12, v4
	v_cndmask_b32_e32 v28, v65, v67, vcc_lo
	v_bfe_u32 v65, v21, 16, 1
	v_or_b32_e32 v67, 0x400000, v21
	v_cmp_u_f32_e32 vcc_lo, v21, v21
	v_add3_u32 v65, v65, v21, 0x7fff
	v_cndmask_b32_e32 v21, v65, v67, vcc_lo
	v_lshlrev_b32_e32 v65, 16, v126
	v_and_b32_e32 v12, 0xffff0000, v21
	v_mul_f32_e32 v65, v1, v65
	v_and_b32_e32 v21, 0xffff0000, v28
	v_bfe_u32 v67, v65, 16, 1
	v_or_b32_e32 v68, 0x400000, v65
	v_cmp_u_f32_e32 vcc_lo, v65, v65
	v_add_f32_e32 v12, v12, v21
	v_add3_u32 v67, v67, v65, 0x7fff
	v_add_f32_e32 v4, v4, v12
	v_cndmask_b32_e32 v65, v67, v68, vcc_lo
	v_lshlrev_b32_e32 v67, 16, v127
	v_and_b32_e32 v21, 0xffff0000, v65
	v_mul_f32_e32 v67, v6, v67
	v_bfe_u32 v68, v67, 16, 1
	v_or_b32_e32 v69, 0x400000, v67
	v_cmp_u_f32_e32 vcc_lo, v67, v67
	v_add3_u32 v68, v68, v67, 0x7fff
	v_cndmask_b32_e32 v67, v68, v69, vcc_lo
	v_bfe_u32 v68, v13, 16, 1
	v_or_b32_e32 v69, 0x400000, v13
	v_cmp_u_f32_e32 vcc_lo, v13, v13
	v_and_b32_e32 v12, 0xffff0000, v67
	v_add3_u32 v68, v68, v13, 0x7fff
	v_add_f32_e32 v12, v12, v21
	v_cndmask_b32_e32 v13, v68, v69, vcc_lo
	v_bfe_u32 v68, v25, 16, 1
	v_or_b32_e32 v69, 0x400000, v25
	v_cmp_u_f32_e32 vcc_lo, v25, v25
	v_add_f32_e32 v4, v4, v12
	v_and_b32_e32 v13, 0xffff0000, v13
	v_add3_u32 v68, v68, v25, 0x7fff
	v_cndmask_b32_e32 v25, v68, v69, vcc_lo
	v_and_b32_e32 v12, 0xffff0000, v25
	v_add_f32_e32 v12, v12, v13
	v_add_f32_e32 v4, v4, v12
	v_add_f32_e32 v31, v31, v4
	v_lshlrev_b32_e32 v4, 16, v122
	v_mul_f32_e32 v4, v8, v4
	v_bfe_u32 v12, v4, 16, 1
	v_or_b32_e32 v13, 0x400000, v4
	v_cmp_u_f32_e32 vcc_lo, v4, v4
	v_add3_u32 v12, v12, v4, 0x7fff
	v_cndmask_b32_e32 v4, v12, v13, vcc_lo
	v_lshlrev_b32_e32 v12, 16, v123
	v_and_b32_e32 v4, 0xffff0000, v4
	v_mul_f32_e32 v12, v9, v12
	v_bfe_u32 v13, v12, 16, 1
	v_or_b32_e32 v21, 0x400000, v12
	v_cmp_u_f32_e32 vcc_lo, v12, v12
	v_add3_u32 v13, v13, v12, 0x7fff
	v_cndmask_b32_e32 v12, v13, v21, vcc_lo
	v_lshlrev_b32_e32 v13, 16, v111
	v_and_b32_e32 v12, 0xffff0000, v12
	v_mul_f32_e32 v13, v3, v13
	v_add_f32_e32 v4, v12, v4
	v_bfe_u32 v21, v13, 16, 1
	v_or_b32_e32 v25, 0x400000, v13
	v_cmp_u_f32_e32 vcc_lo, v13, v13
	v_add3_u32 v21, v21, v13, 0x7fff
	v_cndmask_b32_e32 v13, v21, v25, vcc_lo
	v_lshlrev_b32_e32 v21, 16, v120
	v_and_b32_e32 v13, 0xffff0000, v13
	v_mul_f32_e32 v21, v7, v21
	v_bfe_u32 v25, v21, 16, 1
	v_or_b32_e32 v28, 0x400000, v21
	v_cmp_u_f32_e32 vcc_lo, v21, v21
	v_add3_u32 v25, v25, v21, 0x7fff
	v_cndmask_b32_e32 v21, v25, v28, vcc_lo
	v_lshlrev_b32_e32 v25, 16, v109
	v_and_b32_e32 v12, 0xffff0000, v21
	v_mul_f32_e32 v25, v1, v25
	v_add_f32_e32 v12, v12, v13
	v_bfe_u32 v28, v25, 16, 1
	v_or_b32_e32 v65, 0x400000, v25
	v_cmp_u_f32_e32 vcc_lo, v25, v25
	v_add_f32_e32 v4, v4, v12
	v_add3_u32 v28, v28, v25, 0x7fff
	v_cndmask_b32_e32 v25, v28, v65, vcc_lo
	v_lshlrev_b32_e32 v28, 16, v110
	v_and_b32_e32 v13, 0xffff0000, v25
	v_mul_f32_e32 v28, v6, v28
	v_bfe_u32 v65, v28, 16, 1
	v_or_b32_e32 v67, 0x400000, v28
	v_cmp_u_f32_e32 vcc_lo, v28, v28
	v_add3_u32 v65, v65, v28, 0x7fff
	v_cndmask_b32_e32 v28, v65, v67, vcc_lo
	v_lshlrev_b32_e32 v65, 16, v124
	v_and_b32_e32 v12, 0xffff0000, v28
	v_mul_f32_e32 v65, v0, v65
	v_add_f32_e32 v12, v12, v13
	v_bfe_u32 v67, v65, 16, 1
	v_or_b32_e32 v68, 0x400000, v65
	v_cmp_u_f32_e32 vcc_lo, v65, v65
	v_add_f32_e32 v4, v4, v12
	v_add3_u32 v67, v67, v65, 0x7fff
	v_cndmask_b32_e32 v65, v67, v68, vcc_lo
	v_lshlrev_b32_e32 v67, 16, v121
	v_and_b32_e32 v13, 0xffff0000, v65
	v_mul_f32_e32 v67, v2, v67
	v_bfe_u32 v68, v67, 16, 1
	v_or_b32_e32 v69, 0x400000, v67
	v_cmp_u_f32_e32 vcc_lo, v67, v67
	v_add3_u32 v68, v68, v67, 0x7fff
	v_cndmask_b32_e32 v67, v68, v69, vcc_lo
	v_and_b32_e32 v12, 0xffff0000, v67
	v_add_f32_e32 v12, v12, v13
	v_add_f32_e32 v4, v4, v12
	;; [unrolled: 1-line block ×3, first 2 shown]
	v_lshlrev_b32_e32 v4, 16, v108
	v_mul_f32_e32 v4, v8, v4
	v_bfe_u32 v12, v4, 16, 1
	v_or_b32_e32 v13, 0x400000, v4
	v_cmp_u_f32_e32 vcc_lo, v4, v4
	v_add3_u32 v12, v12, v4, 0x7fff
	v_cndmask_b32_e32 v4, v12, v13, vcc_lo
	v_lshlrev_b32_e32 v12, 16, v107
	v_and_b32_e32 v4, 0xffff0000, v4
	v_mul_f32_e32 v12, v9, v12
	v_bfe_u32 v13, v12, 16, 1
	v_or_b32_e32 v21, 0x400000, v12
	v_cmp_u_f32_e32 vcc_lo, v12, v12
	v_add3_u32 v13, v13, v12, 0x7fff
	v_cndmask_b32_e32 v12, v13, v21, vcc_lo
	v_lshlrev_b32_e32 v13, 16, v105
	v_and_b32_e32 v12, 0xffff0000, v12
	v_mul_f32_e32 v13, v3, v13
	v_add_f32_e32 v4, v12, v4
	v_bfe_u32 v21, v13, 16, 1
	v_or_b32_e32 v25, 0x400000, v13
	v_cmp_u_f32_e32 vcc_lo, v13, v13
	v_add3_u32 v21, v21, v13, 0x7fff
	v_cndmask_b32_e32 v13, v21, v25, vcc_lo
	v_lshlrev_b32_e32 v21, 16, v106
	v_and_b32_e32 v13, 0xffff0000, v13
	v_mul_f32_e32 v21, v7, v21
	v_bfe_u32 v25, v21, 16, 1
	v_or_b32_e32 v28, 0x400000, v21
	v_cmp_u_f32_e32 vcc_lo, v21, v21
	v_add3_u32 v25, v25, v21, 0x7fff
	v_cndmask_b32_e32 v21, v25, v28, vcc_lo
	v_lshlrev_b32_e32 v25, 16, v94
	v_and_b32_e32 v12, 0xffff0000, v21
	v_mul_f32_e32 v25, v1, v25
	v_add_f32_e32 v12, v12, v13
	v_bfe_u32 v28, v25, 16, 1
	v_or_b32_e32 v65, 0x400000, v25
	v_cmp_u_f32_e32 vcc_lo, v25, v25
	v_add_f32_e32 v4, v4, v12
	v_add3_u32 v28, v28, v25, 0x7fff
	v_cndmask_b32_e32 v25, v28, v65, vcc_lo
	v_lshlrev_b32_e32 v28, 16, v93
	v_and_b32_e32 v13, 0xffff0000, v25
	v_mul_f32_e32 v28, v6, v28
	v_bfe_u32 v65, v28, 16, 1
	v_or_b32_e32 v67, 0x400000, v28
	v_cmp_u_f32_e32 vcc_lo, v28, v28
	v_add3_u32 v65, v65, v28, 0x7fff
	v_cndmask_b32_e32 v28, v65, v67, vcc_lo
	v_lshlrev_b32_e32 v65, 16, v104
	v_and_b32_e32 v12, 0xffff0000, v28
	v_mul_f32_e32 v65, v0, v65
	v_add_f32_e32 v12, v12, v13
	v_bfe_u32 v67, v65, 16, 1
	v_or_b32_e32 v68, 0x400000, v65
	v_cmp_u_f32_e32 vcc_lo, v65, v65
	v_add_f32_e32 v4, v4, v12
	v_add3_u32 v67, v67, v65, 0x7fff
	v_cndmask_b32_e32 v65, v67, v68, vcc_lo
	v_lshlrev_b32_e32 v67, 16, v95
	v_and_b32_e32 v13, 0xffff0000, v65
	v_mul_f32_e32 v67, v2, v67
	v_bfe_u32 v68, v67, 16, 1
	v_or_b32_e32 v69, 0x400000, v67
	v_cmp_u_f32_e32 vcc_lo, v67, v67
	v_add3_u32 v68, v68, v67, 0x7fff
	v_cndmask_b32_e32 v67, v68, v69, vcc_lo
	v_and_b32_e32 v12, 0xffff0000, v67
	v_add_f32_e32 v12, v12, v13
	v_add_f32_e32 v4, v4, v12
	;; [unrolled: 1-line block ×3, first 2 shown]
	v_lshlrev_b32_e32 v4, 16, v92
	v_mul_f32_e32 v4, v8, v4
	v_bfe_u32 v12, v4, 16, 1
	v_or_b32_e32 v13, 0x400000, v4
	v_cmp_u_f32_e32 vcc_lo, v4, v4
	v_add3_u32 v12, v12, v4, 0x7fff
	v_cndmask_b32_e32 v4, v12, v13, vcc_lo
	v_lshlrev_b32_e32 v12, 16, v91
	v_and_b32_e32 v4, 0xffff0000, v4
	v_mul_f32_e32 v12, v9, v12
	v_bfe_u32 v13, v12, 16, 1
	v_or_b32_e32 v21, 0x400000, v12
	v_cmp_u_f32_e32 vcc_lo, v12, v12
	v_add3_u32 v13, v13, v12, 0x7fff
	v_cndmask_b32_e32 v12, v13, v21, vcc_lo
	v_lshlrev_b32_e32 v13, 16, v89
	v_and_b32_e32 v12, 0xffff0000, v12
	v_mul_f32_e32 v13, v3, v13
	v_add_f32_e32 v4, v12, v4
	v_bfe_u32 v21, v13, 16, 1
	v_or_b32_e32 v25, 0x400000, v13
	v_cmp_u_f32_e32 vcc_lo, v13, v13
	v_add3_u32 v21, v21, v13, 0x7fff
	v_cndmask_b32_e32 v13, v21, v25, vcc_lo
	v_lshlrev_b32_e32 v21, 16, v90
	v_and_b32_e32 v13, 0xffff0000, v13
	v_mul_f32_e32 v21, v7, v21
	v_bfe_u32 v25, v21, 16, 1
	v_or_b32_e32 v28, 0x400000, v21
	v_cmp_u_f32_e32 vcc_lo, v21, v21
	v_add3_u32 v25, v25, v21, 0x7fff
	v_cndmask_b32_e32 v21, v25, v28, vcc_lo
	v_lshlrev_b32_e32 v25, 16, v78
	v_and_b32_e32 v12, 0xffff0000, v21
	v_mul_f32_e32 v25, v1, v25
	v_add_f32_e32 v12, v12, v13
	v_bfe_u32 v28, v25, 16, 1
	v_or_b32_e32 v65, 0x400000, v25
	v_cmp_u_f32_e32 vcc_lo, v25, v25
	v_add_f32_e32 v4, v4, v12
	v_add3_u32 v28, v28, v25, 0x7fff
	v_cndmask_b32_e32 v25, v28, v65, vcc_lo
	v_lshlrev_b32_e32 v28, 16, v77
	v_and_b32_e32 v13, 0xffff0000, v25
	v_mul_f32_e32 v28, v6, v28
	v_bfe_u32 v65, v28, 16, 1
	v_or_b32_e32 v67, 0x400000, v28
	v_cmp_u_f32_e32 vcc_lo, v28, v28
	v_add3_u32 v65, v65, v28, 0x7fff
	v_cndmask_b32_e32 v28, v65, v67, vcc_lo
	v_lshlrev_b32_e32 v65, 16, v88
	v_and_b32_e32 v12, 0xffff0000, v28
	v_mul_f32_e32 v65, v0, v65
	v_add_f32_e32 v12, v12, v13
	v_bfe_u32 v67, v65, 16, 1
	v_or_b32_e32 v68, 0x400000, v65
	v_cmp_u_f32_e32 vcc_lo, v65, v65
	v_add_f32_e32 v4, v4, v12
	v_add3_u32 v67, v67, v65, 0x7fff
	v_cndmask_b32_e32 v65, v67, v68, vcc_lo
	v_lshlrev_b32_e32 v67, 16, v79
	v_and_b32_e32 v13, 0xffff0000, v65
	v_mul_f32_e32 v67, v2, v67
	v_bfe_u32 v68, v67, 16, 1
	v_or_b32_e32 v69, 0x400000, v67
	v_cmp_u_f32_e32 vcc_lo, v67, v67
	v_add3_u32 v68, v68, v67, 0x7fff
	v_cndmask_b32_e32 v67, v68, v69, vcc_lo
	v_and_b32_e32 v12, 0xffff0000, v67
	v_add_f32_e32 v12, v12, v13
	v_add_f32_e32 v4, v4, v12
	;; [unrolled: 1-line block ×3, first 2 shown]
	v_lshlrev_b32_e32 v4, 16, v76
	v_mul_f32_e32 v4, v8, v4
	v_bfe_u32 v12, v4, 16, 1
	v_or_b32_e32 v13, 0x400000, v4
	v_cmp_u_f32_e32 vcc_lo, v4, v4
	v_add3_u32 v12, v12, v4, 0x7fff
	v_cndmask_b32_e32 v4, v12, v13, vcc_lo
	v_lshlrev_b32_e32 v12, 16, v75
	v_and_b32_e32 v4, 0xffff0000, v4
	v_mul_f32_e32 v12, v9, v12
	v_bfe_u32 v13, v12, 16, 1
	v_or_b32_e32 v21, 0x400000, v12
	v_cmp_u_f32_e32 vcc_lo, v12, v12
	v_add3_u32 v13, v13, v12, 0x7fff
	v_cndmask_b32_e32 v12, v13, v21, vcc_lo
	v_lshlrev_b32_e32 v13, 16, v73
	v_and_b32_e32 v12, 0xffff0000, v12
	v_mul_f32_e32 v13, v3, v13
	v_add_f32_e32 v4, v12, v4
	v_bfe_u32 v21, v13, 16, 1
	v_or_b32_e32 v25, 0x400000, v13
	v_cmp_u_f32_e32 vcc_lo, v13, v13
	v_add3_u32 v21, v21, v13, 0x7fff
	v_cndmask_b32_e32 v13, v21, v25, vcc_lo
	v_lshlrev_b32_e32 v21, 16, v74
	v_and_b32_e32 v13, 0xffff0000, v13
	v_mul_f32_e32 v21, v7, v21
	v_bfe_u32 v25, v21, 16, 1
	v_or_b32_e32 v28, 0x400000, v21
	v_cmp_u_f32_e32 vcc_lo, v21, v21
	v_add3_u32 v25, v25, v21, 0x7fff
	v_cndmask_b32_e32 v21, v25, v28, vcc_lo
	v_lshlrev_b32_e32 v25, 16, v62
	v_and_b32_e32 v12, 0xffff0000, v21
	v_mul_f32_e32 v25, v1, v25
	v_add_f32_e32 v12, v12, v13
	v_bfe_u32 v28, v25, 16, 1
	v_or_b32_e32 v65, 0x400000, v25
	v_cmp_u_f32_e32 vcc_lo, v25, v25
	v_add_f32_e32 v4, v4, v12
	v_add3_u32 v28, v28, v25, 0x7fff
	v_cndmask_b32_e32 v25, v28, v65, vcc_lo
	v_lshlrev_b32_e32 v28, 16, v61
	v_and_b32_e32 v13, 0xffff0000, v25
	v_mul_f32_e32 v28, v6, v28
	v_bfe_u32 v65, v28, 16, 1
	v_or_b32_e32 v67, 0x400000, v28
	v_cmp_u_f32_e32 vcc_lo, v28, v28
	v_add3_u32 v65, v65, v28, 0x7fff
	v_cndmask_b32_e32 v28, v65, v67, vcc_lo
	v_lshlrev_b32_e32 v65, 16, v72
	v_and_b32_e32 v12, 0xffff0000, v28
	v_mul_f32_e32 v65, v0, v65
	v_add_f32_e32 v12, v12, v13
	v_bfe_u32 v67, v65, 16, 1
	v_or_b32_e32 v68, 0x400000, v65
	v_cmp_u_f32_e32 vcc_lo, v65, v65
	v_add_f32_e32 v4, v4, v12
	v_add3_u32 v67, v67, v65, 0x7fff
	v_cndmask_b32_e32 v65, v67, v68, vcc_lo
	v_lshlrev_b32_e32 v67, 16, v63
	v_and_b32_e32 v13, 0xffff0000, v65
	v_mul_f32_e32 v67, v2, v67
	v_bfe_u32 v68, v67, 16, 1
	v_or_b32_e32 v69, 0x400000, v67
	v_cmp_u_f32_e32 vcc_lo, v67, v67
	v_add3_u32 v68, v68, v67, 0x7fff
	v_cndmask_b32_e32 v67, v68, v69, vcc_lo
	v_and_b32_e32 v12, 0xffff0000, v67
	v_add_f32_e32 v12, v12, v13
	v_add_f32_e32 v4, v4, v12
	;; [unrolled: 1-line block ×3, first 2 shown]
	v_lshlrev_b32_e32 v4, 16, v60
	v_mul_f32_e32 v4, v8, v4
	v_bfe_u32 v12, v4, 16, 1
	v_or_b32_e32 v13, 0x400000, v4
	v_cmp_u_f32_e32 vcc_lo, v4, v4
	v_add3_u32 v12, v12, v4, 0x7fff
	v_cndmask_b32_e32 v4, v12, v13, vcc_lo
	v_lshlrev_b32_e32 v12, 16, v38
	v_and_b32_e32 v4, 0xffff0000, v4
	v_mul_f32_e32 v12, v9, v12
	v_bfe_u32 v13, v12, 16, 1
	v_or_b32_e32 v21, 0x400000, v12
	v_cmp_u_f32_e32 vcc_lo, v12, v12
	v_add3_u32 v13, v13, v12, 0x7fff
	v_cndmask_b32_e32 v12, v13, v21, vcc_lo
	v_lshlrev_b32_e32 v13, 16, v36
	v_and_b32_e32 v12, 0xffff0000, v12
	v_mul_f32_e32 v13, v3, v13
	v_add_f32_e32 v4, v12, v4
	v_bfe_u32 v21, v13, 16, 1
	v_or_b32_e32 v25, 0x400000, v13
	v_cmp_u_f32_e32 vcc_lo, v13, v13
	v_add3_u32 v21, v21, v13, 0x7fff
	v_cndmask_b32_e32 v13, v21, v25, vcc_lo
	v_lshlrev_b32_e32 v21, 16, v37
	v_and_b32_e32 v13, 0xffff0000, v13
	v_mul_f32_e32 v21, v7, v21
	v_bfe_u32 v25, v21, 16, 1
	v_or_b32_e32 v28, 0x400000, v21
	v_cmp_u_f32_e32 vcc_lo, v21, v21
	v_add3_u32 v25, v25, v21, 0x7fff
	v_cndmask_b32_e32 v21, v25, v28, vcc_lo
	v_bfe_u32 v25, v22, 16, 1
	v_or_b32_e32 v28, 0x400000, v22
	v_cmp_u_f32_e32 vcc_lo, v22, v22
	v_and_b32_e32 v12, 0xffff0000, v21
	v_add3_u32 v25, v25, v22, 0x7fff
	v_add_f32_e32 v12, v12, v13
	v_cndmask_b32_e32 v22, v25, v28, vcc_lo
	v_bfe_u32 v25, v5, 16, 1
	v_or_b32_e32 v28, 0x400000, v5
	v_cmp_u_f32_e32 vcc_lo, v5, v5
	v_add_f32_e32 v4, v4, v12
	v_and_b32_e32 v12, 0xffff0000, v22
	v_add3_u32 v25, v25, v5, 0x7fff
	v_cndmask_b32_e32 v5, v25, v28, vcc_lo
	v_lshlrev_b32_e32 v25, 16, v34
	v_and_b32_e32 v5, 0xffff0000, v5
	v_mul_f32_e32 v25, v0, v25
	v_add_f32_e32 v5, v5, v12
	v_bfe_u32 v28, v25, 16, 1
	v_or_b32_e32 v34, 0x400000, v25
	v_cmp_u_f32_e32 vcc_lo, v25, v25
	v_add_f32_e32 v4, v4, v5
	v_add3_u32 v28, v28, v25, 0x7fff
	v_cndmask_b32_e32 v25, v28, v34, vcc_lo
	v_bfe_u32 v28, v27, 16, 1
	v_or_b32_e32 v34, 0x400000, v27
	v_cmp_u_f32_e32 vcc_lo, v27, v27
	v_and_b32_e32 v12, 0xffff0000, v25
	v_add3_u32 v28, v28, v27, 0x7fff
	v_cndmask_b32_e32 v27, v28, v34, vcc_lo
	v_and_b32_e32 v5, 0xffff0000, v27
	v_add_f32_e32 v5, v5, v12
	v_add_f32_e32 v4, v4, v5
	;; [unrolled: 1-line block ×3, first 2 shown]
	v_lshlrev_b32_e32 v4, 16, v59
	v_mul_f32_e32 v4, v8, v4
	v_bfe_u32 v5, v4, 16, 1
	v_or_b32_e32 v12, 0x400000, v4
	v_cmp_u_f32_e32 vcc_lo, v4, v4
	v_add3_u32 v5, v5, v4, 0x7fff
	v_cndmask_b32_e32 v4, v5, v12, vcc_lo
	v_lshlrev_b32_e32 v5, 16, v58
	v_and_b32_e32 v4, 0xffff0000, v4
	v_mul_f32_e32 v5, v9, v5
	v_bfe_u32 v12, v5, 16, 1
	v_or_b32_e32 v13, 0x400000, v5
	v_cmp_u_f32_e32 vcc_lo, v5, v5
	v_add3_u32 v12, v12, v5, 0x7fff
	v_cndmask_b32_e32 v5, v12, v13, vcc_lo
	v_lshlrev_b32_e32 v12, 16, v56
	v_and_b32_e32 v5, 0xffff0000, v5
	v_mul_f32_e32 v12, v3, v12
	v_add_f32_e32 v4, v5, v4
	v_bfe_u32 v13, v12, 16, 1
	v_or_b32_e32 v21, 0x400000, v12
	v_cmp_u_f32_e32 vcc_lo, v12, v12
	v_add3_u32 v13, v13, v12, 0x7fff
	v_cndmask_b32_e32 v12, v13, v21, vcc_lo
	v_lshlrev_b32_e32 v13, 16, v57
	v_and_b32_e32 v12, 0xffff0000, v12
	v_mul_f32_e32 v13, v7, v13
	v_bfe_u32 v21, v13, 16, 1
	v_or_b32_e32 v22, 0x400000, v13
	v_cmp_u_f32_e32 vcc_lo, v13, v13
	v_add3_u32 v21, v21, v13, 0x7fff
	v_cndmask_b32_e32 v13, v21, v22, vcc_lo
	v_lshlrev_b32_e32 v21, 16, v45
	v_and_b32_e32 v5, 0xffff0000, v13
	v_mul_f32_e32 v21, v1, v21
	v_add_f32_e32 v5, v5, v12
	v_bfe_u32 v22, v21, 16, 1
	v_or_b32_e32 v25, 0x400000, v21
	v_cmp_u_f32_e32 vcc_lo, v21, v21
	v_add_f32_e32 v4, v4, v5
	v_add3_u32 v22, v22, v21, 0x7fff
	v_cndmask_b32_e32 v21, v22, v25, vcc_lo
	v_lshlrev_b32_e32 v22, 16, v44
	v_and_b32_e32 v12, 0xffff0000, v21
	v_mul_f32_e32 v22, v6, v22
	v_bfe_u32 v25, v22, 16, 1
	v_or_b32_e32 v27, 0x400000, v22
	v_cmp_u_f32_e32 vcc_lo, v22, v22
	v_add3_u32 v25, v25, v22, 0x7fff
	v_cndmask_b32_e32 v22, v25, v27, vcc_lo
	v_lshlrev_b32_e32 v25, 16, v47
	v_and_b32_e32 v5, 0xffff0000, v22
	v_mul_f32_e32 v25, v0, v25
	v_add_f32_e32 v5, v5, v12
	v_bfe_u32 v27, v25, 16, 1
	v_or_b32_e32 v28, 0x400000, v25
	v_cmp_u_f32_e32 vcc_lo, v25, v25
	v_add_f32_e32 v4, v4, v5
	v_add3_u32 v27, v27, v25, 0x7fff
	v_cndmask_b32_e32 v25, v27, v28, vcc_lo
	v_lshlrev_b32_e32 v27, 16, v46
	v_and_b32_e32 v12, 0xffff0000, v25
	v_mul_f32_e32 v27, v2, v27
	v_bfe_u32 v28, v27, 16, 1
	v_or_b32_e32 v34, 0x400000, v27
	v_cmp_u_f32_e32 vcc_lo, v27, v27
	v_add3_u32 v28, v28, v27, 0x7fff
	v_cndmask_b32_e32 v27, v28, v34, vcc_lo
	v_and_b32_e32 v5, 0xffff0000, v27
	v_add_f32_e32 v5, v5, v12
	v_add_f32_e32 v4, v4, v5
	v_add_f32_e32 v51, v51, v4
	v_lshlrev_b32_e32 v4, 16, v116
	v_mul_f32_e32 v4, v8, v4
	v_bfe_u32 v5, v4, 16, 1
	v_or_b32_e32 v12, 0x400000, v4
	v_cmp_u_f32_e32 vcc_lo, v4, v4
	v_add3_u32 v5, v5, v4, 0x7fff
	v_cndmask_b32_e32 v4, v5, v12, vcc_lo
	v_lshlrev_b32_e32 v5, 16, v115
	v_and_b32_e32 v4, 0xffff0000, v4
	v_mul_f32_e32 v5, v9, v5
	v_bfe_u32 v12, v5, 16, 1
	v_or_b32_e32 v13, 0x400000, v5
	v_cmp_u_f32_e32 vcc_lo, v5, v5
	v_add3_u32 v12, v12, v5, 0x7fff
	v_cndmask_b32_e32 v5, v12, v13, vcc_lo
	v_lshlrev_b32_e32 v12, 16, v113
	v_and_b32_e32 v5, 0xffff0000, v5
	v_mul_f32_e32 v12, v3, v12
	v_add_f32_e32 v4, v5, v4
	v_bfe_u32 v13, v12, 16, 1
	v_or_b32_e32 v21, 0x400000, v12
	v_cmp_u_f32_e32 vcc_lo, v12, v12
	v_add3_u32 v13, v13, v12, 0x7fff
	v_cndmask_b32_e32 v12, v13, v21, vcc_lo
	v_lshlrev_b32_e32 v13, 16, v114
	v_and_b32_e32 v12, 0xffff0000, v12
	v_mul_f32_e32 v13, v7, v13
	v_bfe_u32 v21, v13, 16, 1
	v_or_b32_e32 v22, 0x400000, v13
	v_cmp_u_f32_e32 vcc_lo, v13, v13
	v_add3_u32 v21, v21, v13, 0x7fff
	v_cndmask_b32_e32 v13, v21, v22, vcc_lo
	v_lshlrev_b32_e32 v21, 16, v102
	v_and_b32_e32 v5, 0xffff0000, v13
	v_mul_f32_e32 v21, v1, v21
	v_add_f32_e32 v5, v5, v12
	v_bfe_u32 v22, v21, 16, 1
	v_or_b32_e32 v25, 0x400000, v21
	v_cmp_u_f32_e32 vcc_lo, v21, v21
	v_add_f32_e32 v4, v4, v5
	v_add3_u32 v22, v22, v21, 0x7fff
	v_cndmask_b32_e32 v21, v22, v25, vcc_lo
	v_lshlrev_b32_e32 v22, 16, v101
	v_and_b32_e32 v12, 0xffff0000, v21
	v_mul_f32_e32 v22, v6, v22
	v_bfe_u32 v25, v22, 16, 1
	v_or_b32_e32 v27, 0x400000, v22
	v_cmp_u_f32_e32 vcc_lo, v22, v22
	v_add3_u32 v25, v25, v22, 0x7fff
	v_cndmask_b32_e32 v22, v25, v27, vcc_lo
	v_lshlrev_b32_e32 v25, 16, v112
	v_and_b32_e32 v5, 0xffff0000, v22
	v_mul_f32_e32 v25, v0, v25
	v_add_f32_e32 v5, v5, v12
	v_bfe_u32 v27, v25, 16, 1
	v_or_b32_e32 v28, 0x400000, v25
	v_cmp_u_f32_e32 vcc_lo, v25, v25
	v_add_f32_e32 v4, v4, v5
	v_add3_u32 v27, v27, v25, 0x7fff
	v_cndmask_b32_e32 v25, v27, v28, vcc_lo
	v_lshlrev_b32_e32 v27, 16, v103
	v_and_b32_e32 v12, 0xffff0000, v25
	v_mul_f32_e32 v27, v2, v27
	v_bfe_u32 v28, v27, 16, 1
	v_or_b32_e32 v34, 0x400000, v27
	v_cmp_u_f32_e32 vcc_lo, v27, v27
	v_add3_u32 v28, v28, v27, 0x7fff
	v_cndmask_b32_e32 v27, v28, v34, vcc_lo
	v_and_b32_e32 v5, 0xffff0000, v27
	v_add_f32_e32 v5, v5, v12
	v_add_f32_e32 v4, v4, v5
	;; [unrolled: 1-line block ×3, first 2 shown]
	v_lshlrev_b32_e32 v4, 16, v100
	v_mul_f32_e32 v4, v8, v4
	v_bfe_u32 v5, v4, 16, 1
	v_or_b32_e32 v12, 0x400000, v4
	v_cmp_u_f32_e32 vcc_lo, v4, v4
	v_add3_u32 v5, v5, v4, 0x7fff
	v_cndmask_b32_e32 v4, v5, v12, vcc_lo
	v_lshlrev_b32_e32 v5, 16, v99
	v_and_b32_e32 v4, 0xffff0000, v4
	v_mul_f32_e32 v5, v9, v5
	v_bfe_u32 v12, v5, 16, 1
	v_or_b32_e32 v13, 0x400000, v5
	v_cmp_u_f32_e32 vcc_lo, v5, v5
	v_add3_u32 v12, v12, v5, 0x7fff
	v_cndmask_b32_e32 v5, v12, v13, vcc_lo
	v_lshlrev_b32_e32 v12, 16, v97
	v_and_b32_e32 v5, 0xffff0000, v5
	v_mul_f32_e32 v12, v3, v12
	v_add_f32_e32 v4, v5, v4
	v_bfe_u32 v13, v12, 16, 1
	v_or_b32_e32 v21, 0x400000, v12
	v_cmp_u_f32_e32 vcc_lo, v12, v12
	v_add3_u32 v13, v13, v12, 0x7fff
	v_cndmask_b32_e32 v12, v13, v21, vcc_lo
	v_lshlrev_b32_e32 v13, 16, v98
	v_and_b32_e32 v12, 0xffff0000, v12
	v_mul_f32_e32 v13, v7, v13
	v_bfe_u32 v21, v13, 16, 1
	v_or_b32_e32 v22, 0x400000, v13
	v_cmp_u_f32_e32 vcc_lo, v13, v13
	v_add3_u32 v21, v21, v13, 0x7fff
	v_cndmask_b32_e32 v13, v21, v22, vcc_lo
	v_lshlrev_b32_e32 v21, 16, v87
	v_and_b32_e32 v5, 0xffff0000, v13
	v_mul_f32_e32 v21, v1, v21
	v_add_f32_e32 v5, v5, v12
	v_bfe_u32 v22, v21, 16, 1
	v_or_b32_e32 v25, 0x400000, v21
	v_cmp_u_f32_e32 vcc_lo, v21, v21
	v_add_f32_e32 v4, v4, v5
	v_add3_u32 v22, v22, v21, 0x7fff
	v_cndmask_b32_e32 v21, v22, v25, vcc_lo
	buffer_load_dword v22, off, s[0:3], s32 offset:224 ; 4-byte Folded Reload
	v_and_b32_e32 v12, 0xffff0000, v21
	s_waitcnt vmcnt(0)
	v_lshlrev_b32_e32 v22, 16, v22
	v_mul_f32_e32 v22, v6, v22
	v_bfe_u32 v25, v22, 16, 1
	v_or_b32_e32 v27, 0x400000, v22
	v_cmp_u_f32_e32 vcc_lo, v22, v22
	v_add3_u32 v25, v25, v22, 0x7fff
	v_cndmask_b32_e32 v22, v25, v27, vcc_lo
	v_lshlrev_b32_e32 v25, 16, v96
	v_and_b32_e32 v5, 0xffff0000, v22
	v_mul_f32_e32 v25, v0, v25
	v_add_f32_e32 v5, v5, v12
	v_bfe_u32 v27, v25, 16, 1
	v_or_b32_e32 v28, 0x400000, v25
	v_cmp_u_f32_e32 vcc_lo, v25, v25
	v_add_f32_e32 v4, v4, v5
	v_add3_u32 v27, v27, v25, 0x7fff
	v_cndmask_b32_e32 v25, v27, v28, vcc_lo
	buffer_load_dword v27, off, s[0:3], s32 offset:228 ; 4-byte Folded Reload
	v_and_b32_e32 v12, 0xffff0000, v25
	s_waitcnt vmcnt(0)
	v_lshlrev_b32_e32 v27, 16, v27
	v_mul_f32_e32 v27, v2, v27
	v_bfe_u32 v28, v27, 16, 1
	v_or_b32_e32 v34, 0x400000, v27
	v_cmp_u_f32_e32 vcc_lo, v27, v27
	v_add3_u32 v28, v28, v27, 0x7fff
	v_cndmask_b32_e32 v27, v28, v34, vcc_lo
	v_and_b32_e32 v5, 0xffff0000, v27
	v_add_f32_e32 v5, v5, v12
	v_add_f32_e32 v4, v4, v5
	;; [unrolled: 1-line block ×3, first 2 shown]
	buffer_load_dword v4, off, s[0:3], s32 offset:220 ; 4-byte Folded Reload
	s_waitcnt vmcnt(0)
	v_lshlrev_b32_e32 v4, 16, v4
	v_mul_f32_e32 v4, v8, v4
	v_bfe_u32 v5, v4, 16, 1
	v_or_b32_e32 v12, 0x400000, v4
	v_cmp_u_f32_e32 vcc_lo, v4, v4
	v_add3_u32 v5, v5, v4, 0x7fff
	v_cndmask_b32_e32 v4, v5, v12, vcc_lo
	buffer_load_dword v5, off, s[0:3], s32 offset:216 ; 4-byte Folded Reload
	v_and_b32_e32 v4, 0xffff0000, v4
	s_waitcnt vmcnt(0)
	v_lshlrev_b32_e32 v5, 16, v5
	v_mul_f32_e32 v5, v9, v5
	v_bfe_u32 v12, v5, 16, 1
	v_or_b32_e32 v13, 0x400000, v5
	v_cmp_u_f32_e32 vcc_lo, v5, v5
	v_add3_u32 v12, v12, v5, 0x7fff
	v_cndmask_b32_e32 v5, v12, v13, vcc_lo
	buffer_load_dword v12, off, s[0:3], s32 offset:208 ; 4-byte Folded Reload
	v_and_b32_e32 v5, 0xffff0000, v5
	v_add_f32_e32 v4, v5, v4
	s_waitcnt vmcnt(0)
	v_lshlrev_b32_e32 v12, 16, v12
	v_mul_f32_e32 v12, v3, v12
	v_bfe_u32 v13, v12, 16, 1
	v_or_b32_e32 v21, 0x400000, v12
	v_cmp_u_f32_e32 vcc_lo, v12, v12
	v_add3_u32 v13, v13, v12, 0x7fff
	v_cndmask_b32_e32 v12, v13, v21, vcc_lo
	buffer_load_dword v13, off, s[0:3], s32 offset:212 ; 4-byte Folded Reload
	v_and_b32_e32 v12, 0xffff0000, v12
	s_waitcnt vmcnt(0)
	v_lshlrev_b32_e32 v13, 16, v13
	v_mul_f32_e32 v13, v7, v13
	v_bfe_u32 v21, v13, 16, 1
	v_or_b32_e32 v22, 0x400000, v13
	v_cmp_u_f32_e32 vcc_lo, v13, v13
	v_add3_u32 v21, v21, v13, 0x7fff
	v_cndmask_b32_e32 v13, v21, v22, vcc_lo
	buffer_load_dword v21, off, s[0:3], s32 offset:204 ; 4-byte Folded Reload
	v_and_b32_e32 v5, 0xffff0000, v13
	v_add_f32_e32 v5, v5, v12
	v_add_f32_e32 v4, v4, v5
	s_waitcnt vmcnt(0)
	v_lshlrev_b32_e32 v21, 16, v21
	v_mul_f32_e32 v21, v1, v21
	v_bfe_u32 v22, v21, 16, 1
	v_or_b32_e32 v25, 0x400000, v21
	v_cmp_u_f32_e32 vcc_lo, v21, v21
	v_add3_u32 v22, v22, v21, 0x7fff
	v_cndmask_b32_e32 v21, v22, v25, vcc_lo
	buffer_load_dword v22, off, s[0:3], s32 offset:196 ; 4-byte Folded Reload
	v_and_b32_e32 v12, 0xffff0000, v21
	s_waitcnt vmcnt(0)
	v_lshlrev_b32_e32 v22, 16, v22
	v_mul_f32_e32 v22, v6, v22
	v_bfe_u32 v25, v22, 16, 1
	v_or_b32_e32 v27, 0x400000, v22
	v_cmp_u_f32_e32 vcc_lo, v22, v22
	v_add3_u32 v25, v25, v22, 0x7fff
	v_cndmask_b32_e32 v22, v25, v27, vcc_lo
	buffer_load_dword v25, off, s[0:3], s32 offset:200 ; 4-byte Folded Reload
	v_and_b32_e32 v5, 0xffff0000, v22
	v_add_f32_e32 v5, v5, v12
	v_add_f32_e32 v4, v4, v5
	s_waitcnt vmcnt(0)
	v_lshlrev_b32_e32 v25, 16, v25
	v_mul_f32_e32 v25, v0, v25
	v_bfe_u32 v27, v25, 16, 1
	v_or_b32_e32 v28, 0x400000, v25
	v_cmp_u_f32_e32 vcc_lo, v25, v25
	v_add3_u32 v27, v27, v25, 0x7fff
	v_cndmask_b32_e32 v25, v27, v28, vcc_lo
	buffer_load_dword v27, off, s[0:3], s32 offset:192 ; 4-byte Folded Reload
	v_and_b32_e32 v12, 0xffff0000, v25
	s_waitcnt vmcnt(0)
	v_lshlrev_b32_e32 v27, 16, v27
	v_mul_f32_e32 v27, v2, v27
	v_bfe_u32 v28, v27, 16, 1
	v_or_b32_e32 v34, 0x400000, v27
	v_cmp_u_f32_e32 vcc_lo, v27, v27
	v_add3_u32 v28, v28, v27, 0x7fff
	v_cndmask_b32_e32 v27, v28, v34, vcc_lo
	v_and_b32_e32 v5, 0xffff0000, v27
	v_add_f32_e32 v5, v5, v12
	v_add_f32_e32 v4, v4, v5
	;; [unrolled: 1-line block ×3, first 2 shown]
	v_lshlrev_b32_e32 v4, 16, v125
	v_mul_f32_e32 v4, v9, v4
	v_bfe_u32 v5, v4, 16, 1
	v_or_b32_e32 v9, 0x400000, v4
	v_cmp_u_f32_e32 vcc_lo, v4, v4
	v_add3_u32 v5, v5, v4, 0x7fff
	v_cndmask_b32_e32 v4, v5, v9, vcc_lo
	v_lshlrev_b32_e32 v5, 16, v24
	v_and_b32_e32 v4, 0xffff0000, v4
	v_mul_f32_e32 v5, v8, v5
	v_bfe_u32 v8, v5, 16, 1
	v_or_b32_e32 v9, 0x400000, v5
	v_cmp_u_f32_e32 vcc_lo, v5, v5
	v_add3_u32 v8, v8, v5, 0x7fff
	v_cndmask_b32_e32 v5, v8, v9, vcc_lo
	v_lshlrev_b32_e32 v8, 16, v20
	v_and_b32_e32 v5, 0xffff0000, v5
	v_mul_f32_e32 v7, v7, v8
	v_add_f32_e32 v4, v4, v5
	v_bfe_u32 v8, v7, 16, 1
	v_or_b32_e32 v9, 0x400000, v7
	v_cmp_u_f32_e32 vcc_lo, v7, v7
	v_add3_u32 v8, v8, v7, 0x7fff
	v_cndmask_b32_e32 v7, v8, v9, vcc_lo
	v_lshlrev_b32_e32 v8, 16, v18
	v_and_b32_e32 v5, 0xffff0000, v7
	v_mul_f32_e32 v3, v3, v8
	v_bfe_u32 v8, v3, 16, 1
	v_or_b32_e32 v9, 0x400000, v3
	v_cmp_u_f32_e32 vcc_lo, v3, v3
	v_add3_u32 v8, v8, v3, 0x7fff
	v_cndmask_b32_e32 v3, v8, v9, vcc_lo
	v_lshlrev_b32_e32 v8, 16, v17
	v_and_b32_e32 v3, 0xffff0000, v3
	v_mul_f32_e32 v6, v6, v8
	v_add_f32_e32 v3, v5, v3
	v_bfe_u32 v8, v6, 16, 1
	v_or_b32_e32 v9, 0x400000, v6
	v_cmp_u_f32_e32 vcc_lo, v6, v6
	v_add_f32_e32 v3, v4, v3
	v_add3_u32 v8, v8, v6, 0x7fff
	v_cndmask_b32_e32 v6, v8, v9, vcc_lo
	v_lshlrev_b32_e32 v8, 16, v10
	v_and_b32_e32 v4, 0xffff0000, v6
	v_mul_f32_e32 v1, v1, v8
	v_bfe_u32 v8, v1, 16, 1
	v_or_b32_e32 v9, 0x400000, v1
	v_cmp_u_f32_e32 vcc_lo, v1, v1
	v_add3_u32 v8, v8, v1, 0x7fff
	v_cndmask_b32_e32 v1, v8, v9, vcc_lo
	v_lshlrev_b32_e32 v8, 16, v19
	v_and_b32_e32 v1, 0xffff0000, v1
	v_mul_f32_e32 v2, v2, v8
	v_add_f32_e32 v1, v4, v1
	v_bfe_u32 v8, v2, 16, 1
	v_or_b32_e32 v9, 0x400000, v2
	v_cmp_u_f32_e32 vcc_lo, v2, v2
	v_add_f32_e32 v1, v3, v1
	v_add3_u32 v8, v8, v2, 0x7fff
	v_cndmask_b32_e32 v2, v8, v9, vcc_lo
	v_lshlrev_b32_e32 v8, 16, v23
	v_and_b32_e32 v2, 0xffff0000, v2
	v_mul_f32_e32 v0, v0, v8
	v_bfe_u32 v8, v0, 16, 1
	v_or_b32_e32 v9, 0x400000, v0
	v_cmp_u_f32_e32 vcc_lo, v0, v0
	v_add3_u32 v8, v8, v0, 0x7fff
	v_cndmask_b32_e32 v0, v8, v9, vcc_lo
	v_add_co_u32 v14, vcc_lo, v14, 16
	v_add_co_ci_u32_e64 v15, null, 0, v15, vcc_lo
	v_and_b32_e32 v0, 0xffff0000, v0
	v_add_f32_e32 v0, v2, v0
	v_add_f32_e32 v0, v1, v0
	;; [unrolled: 1-line block ×3, first 2 shown]
	buffer_load_dword v0, off, s[0:3], s32 offset:236 ; 4-byte Folded Reload
	s_waitcnt vmcnt(0)
	v_cmp_ge_i32_e32 vcc_lo, v16, v0
	s_or_b32 s11, vcc_lo, s11
	s_andn2_b32 exec_lo, exec_lo, s11
	s_cbranch_execz .LBB389_1591
.LBB389_799:                            ; =>This Inner Loop Header: Depth=1
	flat_load_dword v0, v[14:15]
	s_clause 0x2
	buffer_load_dword v1, off, s[0:3], s32 offset:232
	buffer_load_dword v2, off, s[0:3], s32 offset:244
	;; [unrolled: 1-line block ×3, first 2 shown]
	v_mov_b32_e32 v4, 0
	s_waitcnt vmcnt(0) lgkmcnt(0)
	v_mad_i64_i32 v[17:18], null, v0, v1, v[2:3]
	flat_load_dwordx2 v[19:20], v[17:18]
	ds_read2_b64 v[6:9], v55 offset1:1
	ds_read2_b64 v[0:3], v55 offset0:2 offset1:3
	s_waitcnt vmcnt(0) lgkmcnt(2)
	v_cmp_ne_u16_sdwa s12, v19, v11 src0_sel:BYTE_0 src1_sel:DWORD
	s_and_saveexec_b32 s4, s12
	s_cbranch_execz .LBB389_807
; %bb.800:                              ;   in Loop: Header=BB389_799 Depth=1
	v_cmp_ne_u16_sdwa s13, v19, v64 src0_sel:BYTE_0 src1_sel:DWORD
	v_bfrev_b32_e32 v4, 1
	s_and_saveexec_b32 s12, s13
	s_cbranch_execz .LBB389_806
; %bb.801:                              ;   in Loop: Header=BB389_799 Depth=1
	v_and_b32_e32 v5, 0x7f, v19
	v_mov_b32_e32 v4, 0x7f800001
	s_mov_b32 s13, exec_lo
	v_cmpx_ne_u32_e32 0x7f, v5
	s_cbranch_execz .LBB389_805
; %bb.802:                              ;   in Loop: Header=BB389_799 Depth=1
	v_mov_b32_e32 v24, v20
	v_lshrrev_b32_e32 v4, 3, v5
	v_mov_b32_e32 v23, v19
	s_mov_b32 s15, exec_lo
	v_cmpx_gt_u32_e32 8, v5
; %bb.803:                              ;   in Loop: Header=BB389_799 Depth=1
	v_and_b32_e32 v4, 7, v19
	v_ffbh_u32_e32 v4, v4
	v_min_u32_e32 v4, 32, v4
	v_subrev_nc_u32_e32 v5, 28, v4
	v_sub_nc_u32_e32 v4, 29, v4
	v_lshlrev_b64 v[23:24], v5, v[19:20]
; %bb.804:                              ;   in Loop: Header=BB389_799 Depth=1
	s_or_b32 exec_lo, exec_lo, s15
	v_lshlrev_b32_e32 v5, 20, v23
	v_lshlrev_b32_e32 v10, 24, v19
	v_lshl_add_u32 v4, v4, 23, 0x3c000000
	v_and_b32_e32 v5, 0x700000, v5
	v_and_b32_e32 v10, 0x80000000, v10
	v_or3_b32 v4, v5, v10, v4
.LBB389_805:                            ;   in Loop: Header=BB389_799 Depth=1
	s_or_b32 exec_lo, exec_lo, s13
.LBB389_806:                            ;   in Loop: Header=BB389_799 Depth=1
	s_or_b32 exec_lo, exec_lo, s12
.LBB389_807:                            ;   in Loop: Header=BB389_799 Depth=1
	s_or_b32 exec_lo, exec_lo, s4
	v_cmp_ne_u16_sdwa s12, v19, v11 src0_sel:BYTE_1 src1_sel:DWORD
	v_mov_b32_e32 v12, 0
	v_mov_b32_e32 v5, 0
	s_and_saveexec_b32 s4, s12
	s_cbranch_execz .LBB389_815
; %bb.808:                              ;   in Loop: Header=BB389_799 Depth=1
	v_cmp_ne_u16_sdwa s13, v19, v64 src0_sel:BYTE_1 src1_sel:DWORD
	v_bfrev_b32_e32 v5, 1
	s_and_saveexec_b32 s12, s13
	s_cbranch_execz .LBB389_814
; %bb.809:                              ;   in Loop: Header=BB389_799 Depth=1
	v_mov_b32_e32 v5, 0xffff
	s_mov_b32 s13, exec_lo
	v_and_b32_sdwa v10, v5, v19 dst_sel:DWORD dst_unused:UNUSED_PAD src0_sel:DWORD src1_sel:BYTE_1
	v_mov_b32_e32 v5, 0x7f800001
	v_and_b32_e32 v13, 0x7f, v10
	v_cmpx_ne_u32_e32 0x7f, v13
	s_cbranch_execz .LBB389_813
; %bb.810:                              ;   in Loop: Header=BB389_799 Depth=1
	v_and_b32_e32 v10, 7, v10
	v_lshrrev_b32_e32 v5, 3, v13
	s_mov_b32 s15, exec_lo
	v_cmpx_gt_u32_e32 8, v13
; %bb.811:                              ;   in Loop: Header=BB389_799 Depth=1
	v_ffbh_u32_e32 v5, v10
	v_min_u32_e32 v5, 32, v5
	v_subrev_nc_u32_e32 v13, 28, v5
	v_sub_nc_u32_e32 v5, 29, v5
	v_lshlrev_b64 v[21:22], v13, v[10:11]
	v_and_b32_e32 v10, 7, v21
; %bb.812:                              ;   in Loop: Header=BB389_799 Depth=1
	s_or_b32 exec_lo, exec_lo, s15
	v_lshlrev_b32_e32 v13, 16, v19
	v_lshlrev_b32_e32 v10, 20, v10
	v_lshl_add_u32 v5, v5, 23, 0x3c000000
	v_and_b32_e32 v13, 0x80000000, v13
	v_or3_b32 v5, v10, v13, v5
.LBB389_813:                            ;   in Loop: Header=BB389_799 Depth=1
	s_or_b32 exec_lo, exec_lo, s13
.LBB389_814:                            ;   in Loop: Header=BB389_799 Depth=1
	s_or_b32 exec_lo, exec_lo, s12
.LBB389_815:                            ;   in Loop: Header=BB389_799 Depth=1
	s_or_b32 exec_lo, exec_lo, s4
	v_and_b32_sdwa v10, v19, v66 dst_sel:DWORD dst_unused:UNUSED_PAD src0_sel:WORD_1 src1_sel:DWORD
	s_mov_b32 s4, exec_lo
	v_cmpx_ne_u16_e32 0, v10
	s_cbranch_execz .LBB389_823
; %bb.816:                              ;   in Loop: Header=BB389_799 Depth=1
	v_bfrev_b32_e32 v12, 1
	s_mov_b32 s12, exec_lo
	v_cmpx_ne_u16_e32 0x80, v10
	s_cbranch_execz .LBB389_822
; %bb.817:                              ;   in Loop: Header=BB389_799 Depth=1
	v_bfe_u32 v13, v19, 16, 7
	v_mov_b32_e32 v12, 0x7f800001
	s_mov_b32 s13, exec_lo
	v_cmpx_ne_u32_e32 0x7f, v13
	s_cbranch_execz .LBB389_821
; %bb.818:                              ;   in Loop: Header=BB389_799 Depth=1
	v_mov_b32_e32 v10, 7
	v_lshrrev_b32_e32 v12, 3, v13
	s_mov_b32 s15, exec_lo
	v_and_b32_sdwa v10, v19, v10 dst_sel:DWORD dst_unused:UNUSED_PAD src0_sel:WORD_1 src1_sel:DWORD
	v_cmpx_gt_u32_e32 8, v13
; %bb.819:                              ;   in Loop: Header=BB389_799 Depth=1
	v_ffbh_u32_e32 v12, v10
	v_min_u32_e32 v12, 32, v12
	v_subrev_nc_u32_e32 v13, 28, v12
	v_sub_nc_u32_e32 v12, 29, v12
	v_lshlrev_b64 v[21:22], v13, v[10:11]
	v_and_b32_e32 v10, 7, v21
; %bb.820:                              ;   in Loop: Header=BB389_799 Depth=1
	s_or_b32 exec_lo, exec_lo, s15
	v_mov_b32_e32 v13, 24
	v_lshlrev_b32_e32 v10, 20, v10
	v_lshl_add_u32 v12, v12, 23, 0x3c000000
	v_lshlrev_b32_sdwa v13, v13, v19 dst_sel:DWORD dst_unused:UNUSED_PAD src0_sel:DWORD src1_sel:WORD_1
	v_and_b32_e32 v13, 0x80000000, v13
	v_or3_b32 v12, v10, v13, v12
.LBB389_821:                            ;   in Loop: Header=BB389_799 Depth=1
	s_or_b32 exec_lo, exec_lo, s13
.LBB389_822:                            ;   in Loop: Header=BB389_799 Depth=1
	s_or_b32 exec_lo, exec_lo, s12
.LBB389_823:                            ;   in Loop: Header=BB389_799 Depth=1
	s_or_b32 exec_lo, exec_lo, s4
	v_mov_b32_e32 v21, 0
	v_mov_b32_e32 v13, 0
	s_mov_b32 s4, exec_lo
	v_cmpx_lt_u32_e32 0xffffff, v19
	s_cbranch_execz .LBB389_831
; %bb.824:                              ;   in Loop: Header=BB389_799 Depth=1
	v_cmp_ne_u32_sdwa s13, v19, v64 src0_sel:BYTE_3 src1_sel:DWORD
	v_bfrev_b32_e32 v13, 1
	s_and_saveexec_b32 s12, s13
	s_cbranch_execz .LBB389_830
; %bb.825:                              ;   in Loop: Header=BB389_799 Depth=1
	v_bfe_u32 v22, v19, 24, 7
	v_mov_b32_e32 v13, 0x7f800001
	s_mov_b32 s13, exec_lo
	v_cmpx_ne_u32_e32 0x7f, v22
	s_cbranch_execz .LBB389_829
; %bb.826:                              ;   in Loop: Header=BB389_799 Depth=1
	v_mov_b32_e32 v10, 7
	v_lshrrev_b32_e32 v13, 3, v22
	s_mov_b32 s15, exec_lo
	v_and_b32_sdwa v10, v19, v10 dst_sel:DWORD dst_unused:UNUSED_PAD src0_sel:BYTE_3 src1_sel:DWORD
	v_cmpx_gt_u32_e32 8, v22
; %bb.827:                              ;   in Loop: Header=BB389_799 Depth=1
	v_ffbh_u32_e32 v13, v10
	v_min_u32_e32 v13, 32, v13
	v_subrev_nc_u32_e32 v22, 28, v13
	v_sub_nc_u32_e32 v13, 29, v13
	v_lshlrev_b64 v[22:23], v22, v[10:11]
	v_and_b32_e32 v10, 7, v22
; %bb.828:                              ;   in Loop: Header=BB389_799 Depth=1
	s_or_b32 exec_lo, exec_lo, s15
	v_mov_b32_e32 v22, 24
	v_lshlrev_b32_e32 v10, 20, v10
	v_lshl_add_u32 v13, v13, 23, 0x3c000000
	v_lshlrev_b32_sdwa v22, v22, v19 dst_sel:DWORD dst_unused:UNUSED_PAD src0_sel:DWORD src1_sel:BYTE_3
	v_and_b32_e32 v22, 0x80000000, v22
	v_or3_b32 v13, v10, v22, v13
.LBB389_829:                            ;   in Loop: Header=BB389_799 Depth=1
	s_or_b32 exec_lo, exec_lo, s13
.LBB389_830:                            ;   in Loop: Header=BB389_799 Depth=1
	s_or_b32 exec_lo, exec_lo, s12
.LBB389_831:                            ;   in Loop: Header=BB389_799 Depth=1
	s_or_b32 exec_lo, exec_lo, s4
	v_mov_b32_e32 v10, v20
	v_cmp_ne_u16_sdwa s12, v20, v11 src0_sel:BYTE_0 src1_sel:DWORD
	s_and_saveexec_b32 s4, s12
	s_cbranch_execz .LBB389_839
; %bb.832:                              ;   in Loop: Header=BB389_799 Depth=1
	v_cmp_ne_u16_sdwa s13, v20, v64 src0_sel:BYTE_0 src1_sel:DWORD
	v_bfrev_b32_e32 v21, 1
	s_and_saveexec_b32 s12, s13
	s_cbranch_execz .LBB389_838
; %bb.833:                              ;   in Loop: Header=BB389_799 Depth=1
	v_and_b32_e32 v22, 0x7f, v20
	v_mov_b32_e32 v21, 0x7f800001
	s_mov_b32 s13, exec_lo
	v_cmpx_ne_u32_e32 0x7f, v22
	s_cbranch_execz .LBB389_837
; %bb.834:                              ;   in Loop: Header=BB389_799 Depth=1
	v_mov_b32_e32 v24, v11
	v_lshrrev_b32_e32 v21, 3, v22
	v_mov_b32_e32 v23, v10
	s_mov_b32 s15, exec_lo
	v_cmpx_gt_u32_e32 8, v22
; %bb.835:                              ;   in Loop: Header=BB389_799 Depth=1
	v_and_b32_e32 v21, 7, v20
	v_ffbh_u32_e32 v21, v21
	v_min_u32_e32 v21, 32, v21
	v_subrev_nc_u32_e32 v22, 28, v21
	v_sub_nc_u32_e32 v21, 29, v21
	v_lshlrev_b64 v[23:24], v22, v[10:11]
; %bb.836:                              ;   in Loop: Header=BB389_799 Depth=1
	s_or_b32 exec_lo, exec_lo, s15
	v_lshlrev_b32_e32 v22, 20, v23
	v_lshlrev_b32_e32 v23, 24, v10
	v_lshl_add_u32 v21, v21, 23, 0x3c000000
	v_and_b32_e32 v22, 0x700000, v22
	v_and_b32_e32 v23, 0x80000000, v23
	v_or3_b32 v21, v22, v23, v21
.LBB389_837:                            ;   in Loop: Header=BB389_799 Depth=1
	s_or_b32 exec_lo, exec_lo, s13
.LBB389_838:                            ;   in Loop: Header=BB389_799 Depth=1
	s_or_b32 exec_lo, exec_lo, s12
.LBB389_839:                            ;   in Loop: Header=BB389_799 Depth=1
	s_or_b32 exec_lo, exec_lo, s4
	v_cmp_ne_u16_sdwa s12, v10, v11 src0_sel:BYTE_1 src1_sel:DWORD
	v_mov_b32_e32 v22, 0
	v_mov_b32_e32 v23, 0
	s_and_saveexec_b32 s4, s12
	s_cbranch_execz .LBB389_847
; %bb.840:                              ;   in Loop: Header=BB389_799 Depth=1
	v_cmp_ne_u16_sdwa s13, v10, v64 src0_sel:BYTE_1 src1_sel:DWORD
	v_bfrev_b32_e32 v23, 1
	s_and_saveexec_b32 s12, s13
	s_cbranch_execz .LBB389_846
; %bb.841:                              ;   in Loop: Header=BB389_799 Depth=1
	v_mov_b32_e32 v23, 0xffff
	s_mov_b32 s13, exec_lo
	v_and_b32_sdwa v24, v23, v10 dst_sel:DWORD dst_unused:UNUSED_PAD src0_sel:DWORD src1_sel:BYTE_1
	v_mov_b32_e32 v23, 0x7f800001
	v_and_b32_e32 v27, 0x7f, v24
	v_cmpx_ne_u32_e32 0x7f, v27
	s_cbranch_execz .LBB389_845
; %bb.842:                              ;   in Loop: Header=BB389_799 Depth=1
	v_and_b32_e32 v23, 7, v24
	v_mov_b32_e32 v24, v11
	v_lshrrev_b32_e32 v25, 3, v27
	s_mov_b32 s15, exec_lo
	v_cmpx_gt_u32_e32 8, v27
; %bb.843:                              ;   in Loop: Header=BB389_799 Depth=1
	v_ffbh_u32_e32 v25, v23
	v_min_u32_e32 v25, 32, v25
	v_subrev_nc_u32_e32 v27, 28, v25
	v_sub_nc_u32_e32 v25, 29, v25
	v_lshlrev_b64 v[23:24], v27, v[23:24]
	v_and_b32_e32 v23, 7, v23
; %bb.844:                              ;   in Loop: Header=BB389_799 Depth=1
	s_or_b32 exec_lo, exec_lo, s15
	v_lshlrev_b32_e32 v10, 16, v10
	v_lshlrev_b32_e32 v23, 20, v23
	v_lshl_add_u32 v24, v25, 23, 0x3c000000
	v_and_b32_e32 v10, 0x80000000, v10
	v_or3_b32 v23, v23, v10, v24
.LBB389_845:                            ;   in Loop: Header=BB389_799 Depth=1
	s_or_b32 exec_lo, exec_lo, s13
.LBB389_846:                            ;   in Loop: Header=BB389_799 Depth=1
	s_or_b32 exec_lo, exec_lo, s12
.LBB389_847:                            ;   in Loop: Header=BB389_799 Depth=1
	s_or_b32 exec_lo, exec_lo, s4
	v_and_b32_sdwa v10, v20, v66 dst_sel:DWORD dst_unused:UNUSED_PAD src0_sel:WORD_1 src1_sel:DWORD
	s_mov_b32 s4, exec_lo
	v_cmpx_ne_u16_e32 0, v10
	s_cbranch_execz .LBB389_855
; %bb.848:                              ;   in Loop: Header=BB389_799 Depth=1
	v_bfrev_b32_e32 v22, 1
	s_mov_b32 s12, exec_lo
	v_cmpx_ne_u16_e32 0x80, v10
	s_cbranch_execz .LBB389_854
; %bb.849:                              ;   in Loop: Header=BB389_799 Depth=1
	v_bfe_u32 v24, v20, 16, 7
	v_mov_b32_e32 v22, 0x7f800001
	s_mov_b32 s13, exec_lo
	v_cmpx_ne_u32_e32 0x7f, v24
	s_cbranch_execz .LBB389_853
; %bb.850:                              ;   in Loop: Header=BB389_799 Depth=1
	v_mov_b32_e32 v10, 7
	v_lshrrev_b32_e32 v22, 3, v24
	s_mov_b32 s15, exec_lo
	v_and_b32_sdwa v10, v20, v10 dst_sel:DWORD dst_unused:UNUSED_PAD src0_sel:WORD_1 src1_sel:DWORD
	v_cmpx_gt_u32_e32 8, v24
; %bb.851:                              ;   in Loop: Header=BB389_799 Depth=1
	v_ffbh_u32_e32 v22, v10
	v_min_u32_e32 v22, 32, v22
	v_subrev_nc_u32_e32 v24, 28, v22
	v_sub_nc_u32_e32 v22, 29, v22
	v_lshlrev_b64 v[24:25], v24, v[10:11]
	v_and_b32_e32 v10, 7, v24
; %bb.852:                              ;   in Loop: Header=BB389_799 Depth=1
	s_or_b32 exec_lo, exec_lo, s15
	v_mov_b32_e32 v24, 24
	v_lshlrev_b32_e32 v10, 20, v10
	v_lshl_add_u32 v22, v22, 23, 0x3c000000
	v_lshlrev_b32_sdwa v24, v24, v20 dst_sel:DWORD dst_unused:UNUSED_PAD src0_sel:DWORD src1_sel:WORD_1
	v_and_b32_e32 v24, 0x80000000, v24
	v_or3_b32 v22, v10, v24, v22
.LBB389_853:                            ;   in Loop: Header=BB389_799 Depth=1
	s_or_b32 exec_lo, exec_lo, s13
.LBB389_854:                            ;   in Loop: Header=BB389_799 Depth=1
	s_or_b32 exec_lo, exec_lo, s12
.LBB389_855:                            ;   in Loop: Header=BB389_799 Depth=1
	s_or_b32 exec_lo, exec_lo, s4
	v_mov_b32_e32 v10, 0
	s_mov_b32 s4, exec_lo
	v_cmpx_lt_u64_e64 s[8:9], v[19:20]
	s_cbranch_execz .LBB389_863
; %bb.856:                              ;   in Loop: Header=BB389_799 Depth=1
	v_cmp_ne_u32_sdwa s13, v20, v64 src0_sel:BYTE_3 src1_sel:DWORD
	v_bfrev_b32_e32 v10, 1
	s_and_saveexec_b32 s12, s13
	s_cbranch_execz .LBB389_862
; %bb.857:                              ;   in Loop: Header=BB389_799 Depth=1
	v_bfe_u32 v24, v20, 24, 7
	v_mov_b32_e32 v10, 0x7f800001
	s_mov_b32 s13, exec_lo
	v_cmpx_ne_u32_e32 0x7f, v24
	s_cbranch_execz .LBB389_861
; %bb.858:                              ;   in Loop: Header=BB389_799 Depth=1
	v_mov_b32_e32 v10, 7
	v_lshrrev_b32_e32 v19, 3, v24
	s_mov_b32 s15, exec_lo
	v_and_b32_sdwa v10, v20, v10 dst_sel:DWORD dst_unused:UNUSED_PAD src0_sel:BYTE_3 src1_sel:DWORD
	v_cmpx_gt_u32_e32 8, v24
; %bb.859:                              ;   in Loop: Header=BB389_799 Depth=1
	v_ffbh_u32_e32 v19, v10
	v_min_u32_e32 v19, 32, v19
	v_subrev_nc_u32_e32 v24, 28, v19
	v_sub_nc_u32_e32 v19, 29, v19
	v_lshlrev_b64 v[24:25], v24, v[10:11]
	v_and_b32_e32 v10, 7, v24
; %bb.860:                              ;   in Loop: Header=BB389_799 Depth=1
	s_or_b32 exec_lo, exec_lo, s15
	v_mov_b32_e32 v24, 24
	v_lshlrev_b32_e32 v10, 20, v10
	v_lshl_add_u32 v19, v19, 23, 0x3c000000
	v_lshlrev_b32_sdwa v20, v24, v20 dst_sel:DWORD dst_unused:UNUSED_PAD src0_sel:DWORD src1_sel:BYTE_3
	v_and_b32_e32 v20, 0x80000000, v20
	v_or3_b32 v10, v10, v20, v19
.LBB389_861:                            ;   in Loop: Header=BB389_799 Depth=1
	s_or_b32 exec_lo, exec_lo, s13
.LBB389_862:                            ;   in Loop: Header=BB389_799 Depth=1
	s_or_b32 exec_lo, exec_lo, s12
.LBB389_863:                            ;   in Loop: Header=BB389_799 Depth=1
	s_or_b32 exec_lo, exec_lo, s4
	buffer_load_dword v20, off, s[0:3], s32 offset:240 ; 4-byte Folded Reload
	v_mul_f32_e32 v19, v26, v23
	v_mul_f32_e32 v13, v26, v13
	;; [unrolled: 1-line block ×5, first 2 shown]
	v_or_b32_e32 v23, 0x400000, v19
	v_cmp_u_f32_e64 s4, v19, v19
	v_bfe_u32 v27, v13, 16, 1
	v_or_b32_e32 v28, 0x400000, v13
	v_mul_f32_e32 v10, v26, v10
	v_add_nc_u32_e32 v117, -7, v54
	v_add_nc_u32_e32 v43, -6, v54
	;; [unrolled: 1-line block ×7, first 2 shown]
	s_waitcnt vmcnt(0)
	v_cmp_eq_u32_e32 vcc_lo, v20, v16
	v_mul_f32_e32 v20, v26, v21
	v_bfe_u32 v21, v19, 16, 1
	v_bfe_u32 v24, v20, 16, 1
	v_add3_u32 v21, v21, v19, 0x7fff
	v_or_b32_e32 v25, 0x400000, v20
	v_add3_u32 v24, v24, v20, 0x7fff
	v_cndmask_b32_e64 v19, v21, v23, s4
	v_cmp_u_f32_e64 s4, v20, v20
	v_add3_u32 v23, v27, v13, 0x7fff
	v_bfe_u32 v21, v12, 16, 1
	v_lshrrev_b32_e32 v19, 16, v19
	v_cndmask_b32_e64 v20, v24, v25, s4
	v_cmp_u_f32_e64 s4, v13, v13
	v_or_b32_e32 v24, 0x400000, v10
	buffer_store_dword v19, off, s[0:3], s32 offset:204 ; 4-byte Folded Spill
	v_add3_u32 v19, v21, v12, 0x7fff
	v_cndmask_b32_e64 v13, v23, v28, s4
	v_or_b32_e32 v21, 0x400000, v12
	v_lshrrev_b32_e32 v20, 16, v20
	v_cmp_u_f32_e64 s4, v12, v12
	v_lshrrev_b32_e32 v13, 16, v13
	buffer_store_dword v20, off, s[0:3], s32 offset:196 ; 4-byte Folded Spill
	v_cndmask_b32_e64 v12, v19, v21, s4
	v_mul_f32_e32 v19, v26, v22
	buffer_store_dword v13, off, s[0:3], s32 offset:208 ; 4-byte Folded Spill
	v_bfe_u32 v13, v5, 16, 1
	v_or_b32_e32 v20, 0x400000, v5
	v_bfe_u32 v21, v4, 16, 1
	v_cmp_u_f32_e64 s4, v5, v5
	v_bfe_u32 v22, v19, 16, 1
	v_add3_u32 v13, v13, v5, 0x7fff
	v_or_b32_e32 v23, 0x400000, v19
	v_lshrrev_b32_e32 v12, 16, v12
	v_add3_u32 v22, v22, v19, 0x7fff
	v_cndmask_b32_e64 v5, v13, v20, s4
	v_add3_u32 v20, v21, v4, 0x7fff
	v_or_b32_e32 v21, 0x400000, v4
	v_cmp_u_f32_e64 s4, v4, v4
	v_bfe_u32 v13, v10, 16, 1
	v_lshrrev_b32_e32 v5, 16, v5
	buffer_store_dword v12, off, s[0:3], s32 offset:212 ; 4-byte Folded Spill
	v_cndmask_b32_e64 v4, v20, v21, s4
	v_cmp_u_f32_e64 s4, v19, v19
	v_add3_u32 v13, v13, v10, 0x7fff
	buffer_store_dword v5, off, s[0:3], s32 offset:220 ; 4-byte Folded Spill
	v_lshrrev_b32_e32 v4, 16, v4
	v_cndmask_b32_e64 v19, v22, v23, s4
	v_cmp_u_f32_e64 s4, v10, v10
	buffer_store_dword v4, off, s[0:3], s32 offset:216 ; 4-byte Folded Spill
	v_lshrrev_b32_e32 v4, 16, v19
	v_cndmask_b32_e64 v10, v13, v24, s4
	buffer_store_dword v4, off, s[0:3], s32 offset:192 ; 4-byte Folded Spill
	v_lshrrev_b32_e32 v4, 16, v10
	buffer_store_dword v4, off, s[0:3], s32 offset:200 ; 4-byte Folded Spill
	s_and_saveexec_b32 s12, vcc_lo
	s_cbranch_execz .LBB389_865
; %bb.864:                              ;   in Loop: Header=BB389_799 Depth=1
	buffer_load_dword v4, off, s[0:3], s32 offset:216 ; 4-byte Folded Reload
	v_cmp_lt_i32_e64 s4, v117, v35
	s_waitcnt vmcnt(0)
	v_cndmask_b32_e64 v4, 0, v4, s4
	v_cmp_lt_i32_e64 s4, v43, v35
	buffer_store_dword v4, off, s[0:3], s32 offset:216 ; 4-byte Folded Spill
	buffer_load_dword v4, off, s[0:3], s32 offset:220 ; 4-byte Folded Reload
	s_waitcnt vmcnt(0)
	v_cndmask_b32_e64 v4, 0, v4, s4
	v_cmp_lt_i32_e64 s4, v42, v35
	buffer_store_dword v4, off, s[0:3], s32 offset:220 ; 4-byte Folded Spill
	buffer_load_dword v4, off, s[0:3], s32 offset:212 ; 4-byte Folded Reload
	;; [unrolled: 5-line block ×7, first 2 shown]
	s_waitcnt vmcnt(0)
	v_cndmask_b32_e64 v4, 0, v4, s4
	buffer_store_dword v4, off, s[0:3], s32 offset:200 ; 4-byte Folded Spill
.LBB389_865:                            ;   in Loop: Header=BB389_799 Depth=1
	s_or_b32 exec_lo, exec_lo, s12
	flat_load_dwordx2 v[19:20], v[17:18] offset:256
	v_mov_b32_e32 v5, 0
	v_mov_b32_e32 v4, 0
	s_waitcnt vmcnt(0) lgkmcnt(0)
	v_cmp_ne_u16_sdwa s4, v19, v11 src0_sel:BYTE_0 src1_sel:DWORD
	s_and_saveexec_b32 s12, s4
	s_cbranch_execz .LBB389_873
; %bb.866:                              ;   in Loop: Header=BB389_799 Depth=1
	v_cmp_ne_u16_sdwa s4, v19, v64 src0_sel:BYTE_0 src1_sel:DWORD
	v_bfrev_b32_e32 v4, 1
	s_and_saveexec_b32 s13, s4
	s_cbranch_execz .LBB389_872
; %bb.867:                              ;   in Loop: Header=BB389_799 Depth=1
	v_and_b32_e32 v10, 0x7f, v19
	v_mov_b32_e32 v4, 0x7f800001
	s_mov_b32 s15, exec_lo
	v_cmpx_ne_u32_e32 0x7f, v10
	s_cbranch_execz .LBB389_871
; %bb.868:                              ;   in Loop: Header=BB389_799 Depth=1
	v_mov_b32_e32 v24, v20
	v_lshrrev_b32_e32 v4, 3, v10
	v_mov_b32_e32 v23, v19
	s_mov_b32 s18, exec_lo
	v_cmpx_gt_u32_e32 8, v10
; %bb.869:                              ;   in Loop: Header=BB389_799 Depth=1
	v_and_b32_e32 v4, 7, v19
	v_ffbh_u32_e32 v4, v4
	v_min_u32_e32 v4, 32, v4
	v_subrev_nc_u32_e32 v10, 28, v4
	v_sub_nc_u32_e32 v4, 29, v4
	v_lshlrev_b64 v[23:24], v10, v[19:20]
; %bb.870:                              ;   in Loop: Header=BB389_799 Depth=1
	s_or_b32 exec_lo, exec_lo, s18
	v_lshlrev_b32_e32 v10, 20, v23
	v_lshlrev_b32_e32 v12, 24, v19
	v_lshl_add_u32 v4, v4, 23, 0x3c000000
	v_and_b32_e32 v10, 0x700000, v10
	v_and_b32_e32 v12, 0x80000000, v12
	v_or3_b32 v4, v10, v12, v4
.LBB389_871:                            ;   in Loop: Header=BB389_799 Depth=1
	s_or_b32 exec_lo, exec_lo, s15
.LBB389_872:                            ;   in Loop: Header=BB389_799 Depth=1
	s_or_b32 exec_lo, exec_lo, s13
.LBB389_873:                            ;   in Loop: Header=BB389_799 Depth=1
	s_or_b32 exec_lo, exec_lo, s12
	v_cmp_ne_u16_sdwa s4, v19, v11 src0_sel:BYTE_1 src1_sel:DWORD
	s_and_saveexec_b32 s12, s4
	s_cbranch_execz .LBB389_881
; %bb.874:                              ;   in Loop: Header=BB389_799 Depth=1
	v_cmp_ne_u16_sdwa s4, v19, v64 src0_sel:BYTE_1 src1_sel:DWORD
	v_bfrev_b32_e32 v5, 1
	s_and_saveexec_b32 s13, s4
	s_cbranch_execz .LBB389_880
; %bb.875:                              ;   in Loop: Header=BB389_799 Depth=1
	v_mov_b32_e32 v5, 0xffff
	s_mov_b32 s15, exec_lo
	v_and_b32_sdwa v10, v5, v19 dst_sel:DWORD dst_unused:UNUSED_PAD src0_sel:DWORD src1_sel:BYTE_1
	v_mov_b32_e32 v5, 0x7f800001
	v_and_b32_e32 v12, 0x7f, v10
	v_cmpx_ne_u32_e32 0x7f, v12
	s_cbranch_execz .LBB389_879
; %bb.876:                              ;   in Loop: Header=BB389_799 Depth=1
	v_and_b32_e32 v10, 7, v10
	v_lshrrev_b32_e32 v5, 3, v12
	s_mov_b32 s18, exec_lo
	v_cmpx_gt_u32_e32 8, v12
; %bb.877:                              ;   in Loop: Header=BB389_799 Depth=1
	v_ffbh_u32_e32 v5, v10
	v_min_u32_e32 v5, 32, v5
	v_subrev_nc_u32_e32 v12, 28, v5
	v_sub_nc_u32_e32 v5, 29, v5
	v_lshlrev_b64 v[12:13], v12, v[10:11]
	v_and_b32_e32 v10, 7, v12
; %bb.878:                              ;   in Loop: Header=BB389_799 Depth=1
	s_or_b32 exec_lo, exec_lo, s18
	v_lshlrev_b32_e32 v12, 16, v19
	v_lshlrev_b32_e32 v10, 20, v10
	v_lshl_add_u32 v5, v5, 23, 0x3c000000
	v_and_b32_e32 v12, 0x80000000, v12
	v_or3_b32 v5, v10, v12, v5
.LBB389_879:                            ;   in Loop: Header=BB389_799 Depth=1
	s_or_b32 exec_lo, exec_lo, s15
.LBB389_880:                            ;   in Loop: Header=BB389_799 Depth=1
	s_or_b32 exec_lo, exec_lo, s13
.LBB389_881:                            ;   in Loop: Header=BB389_799 Depth=1
	s_or_b32 exec_lo, exec_lo, s12
	v_and_b32_sdwa v10, v19, v66 dst_sel:DWORD dst_unused:UNUSED_PAD src0_sel:WORD_1 src1_sel:DWORD
	v_mov_b32_e32 v13, 0
	v_mov_b32_e32 v12, 0
	s_mov_b32 s12, exec_lo
	v_cmpx_ne_u16_e32 0, v10
	s_cbranch_execz .LBB389_889
; %bb.882:                              ;   in Loop: Header=BB389_799 Depth=1
	v_bfrev_b32_e32 v12, 1
	s_mov_b32 s13, exec_lo
	v_cmpx_ne_u16_e32 0x80, v10
	s_cbranch_execz .LBB389_888
; %bb.883:                              ;   in Loop: Header=BB389_799 Depth=1
	v_bfe_u32 v21, v19, 16, 7
	v_mov_b32_e32 v12, 0x7f800001
	s_mov_b32 s15, exec_lo
	v_cmpx_ne_u32_e32 0x7f, v21
	s_cbranch_execz .LBB389_887
; %bb.884:                              ;   in Loop: Header=BB389_799 Depth=1
	v_mov_b32_e32 v10, 7
	v_lshrrev_b32_e32 v12, 3, v21
	s_mov_b32 s18, exec_lo
	v_and_b32_sdwa v10, v19, v10 dst_sel:DWORD dst_unused:UNUSED_PAD src0_sel:WORD_1 src1_sel:DWORD
	v_cmpx_gt_u32_e32 8, v21
; %bb.885:                              ;   in Loop: Header=BB389_799 Depth=1
	v_ffbh_u32_e32 v12, v10
	v_min_u32_e32 v12, 32, v12
	v_subrev_nc_u32_e32 v21, 28, v12
	v_sub_nc_u32_e32 v12, 29, v12
	v_lshlrev_b64 v[21:22], v21, v[10:11]
	v_and_b32_e32 v10, 7, v21
; %bb.886:                              ;   in Loop: Header=BB389_799 Depth=1
	s_or_b32 exec_lo, exec_lo, s18
	v_mov_b32_e32 v21, 24
	v_lshlrev_b32_e32 v10, 20, v10
	v_lshl_add_u32 v12, v12, 23, 0x3c000000
	v_lshlrev_b32_sdwa v21, v21, v19 dst_sel:DWORD dst_unused:UNUSED_PAD src0_sel:DWORD src1_sel:WORD_1
	v_and_b32_e32 v21, 0x80000000, v21
	v_or3_b32 v12, v10, v21, v12
.LBB389_887:                            ;   in Loop: Header=BB389_799 Depth=1
	s_or_b32 exec_lo, exec_lo, s15
.LBB389_888:                            ;   in Loop: Header=BB389_799 Depth=1
	s_or_b32 exec_lo, exec_lo, s13
.LBB389_889:                            ;   in Loop: Header=BB389_799 Depth=1
	s_or_b32 exec_lo, exec_lo, s12
	s_mov_b32 s12, exec_lo
	v_cmpx_lt_u32_e32 0xffffff, v19
	s_cbranch_execz .LBB389_897
; %bb.890:                              ;   in Loop: Header=BB389_799 Depth=1
	v_cmp_ne_u32_sdwa s4, v19, v64 src0_sel:BYTE_3 src1_sel:DWORD
	v_bfrev_b32_e32 v13, 1
	s_and_saveexec_b32 s13, s4
	s_cbranch_execz .LBB389_896
; %bb.891:                              ;   in Loop: Header=BB389_799 Depth=1
	v_bfe_u32 v21, v19, 24, 7
	v_mov_b32_e32 v13, 0x7f800001
	s_mov_b32 s15, exec_lo
	v_cmpx_ne_u32_e32 0x7f, v21
	s_cbranch_execz .LBB389_895
; %bb.892:                              ;   in Loop: Header=BB389_799 Depth=1
	v_mov_b32_e32 v10, 7
	v_lshrrev_b32_e32 v13, 3, v21
	s_mov_b32 s18, exec_lo
	v_and_b32_sdwa v10, v19, v10 dst_sel:DWORD dst_unused:UNUSED_PAD src0_sel:BYTE_3 src1_sel:DWORD
	v_cmpx_gt_u32_e32 8, v21
; %bb.893:                              ;   in Loop: Header=BB389_799 Depth=1
	v_ffbh_u32_e32 v13, v10
	v_min_u32_e32 v13, 32, v13
	v_subrev_nc_u32_e32 v21, 28, v13
	v_sub_nc_u32_e32 v13, 29, v13
	v_lshlrev_b64 v[21:22], v21, v[10:11]
	v_and_b32_e32 v10, 7, v21
; %bb.894:                              ;   in Loop: Header=BB389_799 Depth=1
	s_or_b32 exec_lo, exec_lo, s18
	v_mov_b32_e32 v21, 24
	v_lshlrev_b32_e32 v10, 20, v10
	v_lshl_add_u32 v13, v13, 23, 0x3c000000
	v_lshlrev_b32_sdwa v21, v21, v19 dst_sel:DWORD dst_unused:UNUSED_PAD src0_sel:DWORD src1_sel:BYTE_3
	v_and_b32_e32 v21, 0x80000000, v21
	v_or3_b32 v13, v10, v21, v13
.LBB389_895:                            ;   in Loop: Header=BB389_799 Depth=1
	s_or_b32 exec_lo, exec_lo, s15
.LBB389_896:                            ;   in Loop: Header=BB389_799 Depth=1
	s_or_b32 exec_lo, exec_lo, s13
.LBB389_897:                            ;   in Loop: Header=BB389_799 Depth=1
	s_or_b32 exec_lo, exec_lo, s12
	v_mov_b32_e32 v10, v20
	v_cmp_ne_u16_sdwa s4, v20, v11 src0_sel:BYTE_0 src1_sel:DWORD
	v_mov_b32_e32 v22, 0
	v_mov_b32_e32 v21, 0
	s_and_saveexec_b32 s12, s4
	s_cbranch_execz .LBB389_905
; %bb.898:                              ;   in Loop: Header=BB389_799 Depth=1
	v_cmp_ne_u16_sdwa s4, v20, v64 src0_sel:BYTE_0 src1_sel:DWORD
	v_bfrev_b32_e32 v21, 1
	s_and_saveexec_b32 s13, s4
	s_cbranch_execz .LBB389_904
; %bb.899:                              ;   in Loop: Header=BB389_799 Depth=1
	v_and_b32_e32 v23, 0x7f, v20
	v_mov_b32_e32 v21, 0x7f800001
	s_mov_b32 s15, exec_lo
	v_cmpx_ne_u32_e32 0x7f, v23
	s_cbranch_execz .LBB389_903
; %bb.900:                              ;   in Loop: Header=BB389_799 Depth=1
	v_lshrrev_b32_e32 v21, 3, v23
	v_cmp_gt_u32_e64 s4, 8, v23
	v_mov_b32_e32 v24, v11
	v_mov_b32_e32 v23, v10
	s_and_saveexec_b32 s18, s4
; %bb.901:                              ;   in Loop: Header=BB389_799 Depth=1
	v_and_b32_e32 v21, 7, v20
	v_ffbh_u32_e32 v21, v21
	v_min_u32_e32 v21, 32, v21
	v_subrev_nc_u32_e32 v23, 28, v21
	v_sub_nc_u32_e32 v21, 29, v21
	v_lshlrev_b64 v[23:24], v23, v[10:11]
; %bb.902:                              ;   in Loop: Header=BB389_799 Depth=1
	s_or_b32 exec_lo, exec_lo, s18
	v_lshlrev_b32_e32 v23, 20, v23
	v_lshlrev_b32_e32 v24, 24, v10
	v_lshl_add_u32 v21, v21, 23, 0x3c000000
	v_and_b32_e32 v23, 0x700000, v23
	v_and_b32_e32 v24, 0x80000000, v24
	v_or3_b32 v21, v23, v24, v21
.LBB389_903:                            ;   in Loop: Header=BB389_799 Depth=1
	s_or_b32 exec_lo, exec_lo, s15
.LBB389_904:                            ;   in Loop: Header=BB389_799 Depth=1
	s_or_b32 exec_lo, exec_lo, s13
.LBB389_905:                            ;   in Loop: Header=BB389_799 Depth=1
	s_or_b32 exec_lo, exec_lo, s12
	v_cmp_ne_u16_sdwa s4, v10, v11 src0_sel:BYTE_1 src1_sel:DWORD
	s_and_saveexec_b32 s12, s4
	s_cbranch_execz .LBB389_913
; %bb.906:                              ;   in Loop: Header=BB389_799 Depth=1
	v_cmp_ne_u16_sdwa s4, v10, v64 src0_sel:BYTE_1 src1_sel:DWORD
	v_bfrev_b32_e32 v22, 1
	s_and_saveexec_b32 s13, s4
	s_cbranch_execz .LBB389_912
; %bb.907:                              ;   in Loop: Header=BB389_799 Depth=1
	v_mov_b32_e32 v22, 0xffff
	s_mov_b32 s15, exec_lo
	v_and_b32_sdwa v23, v22, v10 dst_sel:DWORD dst_unused:UNUSED_PAD src0_sel:DWORD src1_sel:BYTE_1
	v_mov_b32_e32 v22, 0x7f800001
	v_and_b32_e32 v25, 0x7f, v23
	v_cmpx_ne_u32_e32 0x7f, v25
	s_cbranch_execz .LBB389_911
; %bb.908:                              ;   in Loop: Header=BB389_799 Depth=1
	v_and_b32_e32 v23, 7, v23
	v_mov_b32_e32 v24, v11
	v_lshrrev_b32_e32 v22, 3, v25
	s_mov_b32 s18, exec_lo
	v_cmpx_gt_u32_e32 8, v25
; %bb.909:                              ;   in Loop: Header=BB389_799 Depth=1
	v_ffbh_u32_e32 v22, v23
	v_min_u32_e32 v22, 32, v22
	v_subrev_nc_u32_e32 v25, 28, v22
	v_sub_nc_u32_e32 v22, 29, v22
	v_lshlrev_b64 v[23:24], v25, v[23:24]
	v_and_b32_e32 v23, 7, v23
; %bb.910:                              ;   in Loop: Header=BB389_799 Depth=1
	s_or_b32 exec_lo, exec_lo, s18
	v_lshlrev_b32_e32 v10, 16, v10
	v_lshlrev_b32_e32 v23, 20, v23
	v_lshl_add_u32 v22, v22, 23, 0x3c000000
	v_and_b32_e32 v10, 0x80000000, v10
	v_or3_b32 v22, v23, v10, v22
.LBB389_911:                            ;   in Loop: Header=BB389_799 Depth=1
	s_or_b32 exec_lo, exec_lo, s15
.LBB389_912:                            ;   in Loop: Header=BB389_799 Depth=1
	s_or_b32 exec_lo, exec_lo, s13
.LBB389_913:                            ;   in Loop: Header=BB389_799 Depth=1
	s_or_b32 exec_lo, exec_lo, s12
	v_and_b32_sdwa v10, v20, v66 dst_sel:DWORD dst_unused:UNUSED_PAD src0_sel:WORD_1 src1_sel:DWORD
	v_mov_b32_e32 v23, 0
	v_mov_b32_e32 v24, 0
	s_mov_b32 s12, exec_lo
	v_cmpx_ne_u16_e32 0, v10
	s_cbranch_execz .LBB389_921
; %bb.914:                              ;   in Loop: Header=BB389_799 Depth=1
	v_bfrev_b32_e32 v24, 1
	s_mov_b32 s13, exec_lo
	v_cmpx_ne_u16_e32 0x80, v10
	s_cbranch_execz .LBB389_920
; %bb.915:                              ;   in Loop: Header=BB389_799 Depth=1
	v_bfe_u32 v25, v20, 16, 7
	v_mov_b32_e32 v24, 0x7f800001
	s_mov_b32 s15, exec_lo
	v_cmpx_ne_u32_e32 0x7f, v25
	s_cbranch_execz .LBB389_919
; %bb.916:                              ;   in Loop: Header=BB389_799 Depth=1
	v_mov_b32_e32 v10, 7
	v_lshrrev_b32_e32 v24, 3, v25
	s_mov_b32 s18, exec_lo
	v_and_b32_sdwa v10, v20, v10 dst_sel:DWORD dst_unused:UNUSED_PAD src0_sel:WORD_1 src1_sel:DWORD
	v_cmpx_gt_u32_e32 8, v25
; %bb.917:                              ;   in Loop: Header=BB389_799 Depth=1
	v_ffbh_u32_e32 v24, v10
	v_min_u32_e32 v24, 32, v24
	v_subrev_nc_u32_e32 v25, 28, v24
	v_sub_nc_u32_e32 v24, 29, v24
	v_lshlrev_b64 v[27:28], v25, v[10:11]
	v_and_b32_e32 v10, 7, v27
; %bb.918:                              ;   in Loop: Header=BB389_799 Depth=1
	s_or_b32 exec_lo, exec_lo, s18
	v_mov_b32_e32 v25, 24
	v_lshlrev_b32_e32 v10, 20, v10
	v_lshl_add_u32 v24, v24, 23, 0x3c000000
	v_lshlrev_b32_sdwa v25, v25, v20 dst_sel:DWORD dst_unused:UNUSED_PAD src0_sel:DWORD src1_sel:WORD_1
	v_and_b32_e32 v25, 0x80000000, v25
	v_or3_b32 v24, v10, v25, v24
.LBB389_919:                            ;   in Loop: Header=BB389_799 Depth=1
	s_or_b32 exec_lo, exec_lo, s15
.LBB389_920:                            ;   in Loop: Header=BB389_799 Depth=1
	s_or_b32 exec_lo, exec_lo, s13
.LBB389_921:                            ;   in Loop: Header=BB389_799 Depth=1
	s_or_b32 exec_lo, exec_lo, s12
	s_mov_b32 s12, exec_lo
	v_cmpx_lt_u64_e64 s[8:9], v[19:20]
	s_cbranch_execz .LBB389_929
; %bb.922:                              ;   in Loop: Header=BB389_799 Depth=1
	v_cmp_ne_u32_sdwa s4, v20, v64 src0_sel:BYTE_3 src1_sel:DWORD
	v_bfrev_b32_e32 v23, 1
	s_and_saveexec_b32 s13, s4
	s_cbranch_execz .LBB389_928
; %bb.923:                              ;   in Loop: Header=BB389_799 Depth=1
	v_bfe_u32 v25, v20, 24, 7
	v_mov_b32_e32 v23, 0x7f800001
	s_mov_b32 s15, exec_lo
	v_cmpx_ne_u32_e32 0x7f, v25
	s_cbranch_execz .LBB389_927
; %bb.924:                              ;   in Loop: Header=BB389_799 Depth=1
	v_mov_b32_e32 v10, 7
	v_lshrrev_b32_e32 v19, 3, v25
	s_mov_b32 s18, exec_lo
	v_and_b32_sdwa v10, v20, v10 dst_sel:DWORD dst_unused:UNUSED_PAD src0_sel:BYTE_3 src1_sel:DWORD
	v_cmpx_gt_u32_e32 8, v25
; %bb.925:                              ;   in Loop: Header=BB389_799 Depth=1
	v_ffbh_u32_e32 v19, v10
	v_min_u32_e32 v19, 32, v19
	v_subrev_nc_u32_e32 v23, 28, v19
	v_sub_nc_u32_e32 v19, 29, v19
	v_lshlrev_b64 v[27:28], v23, v[10:11]
	v_and_b32_e32 v10, 7, v27
; %bb.926:                              ;   in Loop: Header=BB389_799 Depth=1
	s_or_b32 exec_lo, exec_lo, s18
	v_mov_b32_e32 v23, 24
	v_lshlrev_b32_e32 v10, 20, v10
	v_lshl_add_u32 v19, v19, 23, 0x3c000000
	v_lshlrev_b32_sdwa v20, v23, v20 dst_sel:DWORD dst_unused:UNUSED_PAD src0_sel:DWORD src1_sel:BYTE_3
	v_and_b32_e32 v20, 0x80000000, v20
	v_or3_b32 v23, v10, v20, v19
.LBB389_927:                            ;   in Loop: Header=BB389_799 Depth=1
	s_or_b32 exec_lo, exec_lo, s15
.LBB389_928:                            ;   in Loop: Header=BB389_799 Depth=1
	s_or_b32 exec_lo, exec_lo, s13
.LBB389_929:                            ;   in Loop: Header=BB389_799 Depth=1
	s_or_b32 exec_lo, exec_lo, s12
	v_mul_f32_e32 v10, v26, v22
	v_mul_f32_e32 v19, v26, v21
	;; [unrolled: 1-line block ×5, first 2 shown]
	v_bfe_u32 v20, v10, 16, 1
	v_or_b32_e32 v21, 0x400000, v10
	v_bfe_u32 v22, v19, 16, 1
	v_cmp_u_f32_e64 s4, v10, v10
	v_or_b32_e32 v25, 0x400000, v19
	v_add3_u32 v20, v20, v10, 0x7fff
	v_bfe_u32 v27, v13, 16, 1
	v_add3_u32 v22, v22, v19, 0x7fff
	v_or_b32_e32 v28, 0x400000, v13
	v_bfe_u32 v34, v12, 16, 1
	v_cndmask_b32_e64 v10, v20, v21, s4
	v_cmp_u_f32_e64 s4, v19, v19
	v_add3_u32 v27, v27, v13, 0x7fff
	v_or_b32_e32 v20, 0x400000, v12
	v_mul_f32_e32 v4, v26, v4
	v_lshrrev_b32_e32 v87, 16, v10
	v_cndmask_b32_e64 v19, v22, v25, s4
	v_cmp_u_f32_e64 s4, v13, v13
	v_add3_u32 v10, v34, v12, 0x7fff
	v_bfe_u32 v21, v4, 16, 1
	v_lshrrev_b32_e32 v19, 16, v19
	v_cndmask_b32_e64 v13, v27, v28, s4
	v_cmp_u_f32_e64 s4, v12, v12
	v_mul_f32_e32 v12, v26, v24
	buffer_store_dword v19, off, s[0:3], s32 offset:224 ; 4-byte Folded Spill
	v_lshrrev_b32_e32 v97, 16, v13
	v_bfe_u32 v13, v5, 16, 1
	v_cndmask_b32_e64 v10, v10, v20, s4
	v_or_b32_e32 v19, 0x400000, v5
	v_cmp_u_f32_e64 s4, v5, v5
	v_mul_f32_e32 v20, v26, v23
	v_add3_u32 v13, v13, v5, 0x7fff
	v_bfe_u32 v22, v12, 16, 1
	v_or_b32_e32 v23, 0x400000, v12
	v_lshrrev_b32_e32 v98, 16, v10
	v_or_b32_e32 v24, 0x400000, v20
	v_cndmask_b32_e64 v5, v13, v19, s4
	v_add3_u32 v19, v21, v4, 0x7fff
	v_or_b32_e32 v21, 0x400000, v4
	v_cmp_u_f32_e64 s4, v4, v4
	v_bfe_u32 v13, v20, 16, 1
	v_add3_u32 v22, v22, v12, 0x7fff
	v_lshrrev_b32_e32 v100, 16, v5
	v_cndmask_b32_e64 v4, v19, v21, s4
	v_cmp_u_f32_e64 s4, v12, v12
	v_add3_u32 v13, v13, v20, 0x7fff
	v_lshrrev_b32_e32 v99, 16, v4
	v_cndmask_b32_e64 v12, v22, v23, s4
	v_cmp_u_f32_e64 s4, v20, v20
	v_lshrrev_b32_e32 v4, 16, v12
	v_cndmask_b32_e64 v13, v13, v24, s4
	buffer_store_dword v4, off, s[0:3], s32 offset:228 ; 4-byte Folded Spill
	v_lshrrev_b32_e32 v96, 16, v13
	s_and_saveexec_b32 s12, vcc_lo
	s_cbranch_execz .LBB389_931
; %bb.930:                              ;   in Loop: Header=BB389_799 Depth=1
	buffer_load_dword v4, off, s[0:3], s32 offset:224 ; 4-byte Folded Reload
	v_cmp_lt_i32_e64 s4, v117, v35
	v_cndmask_b32_e64 v99, 0, v99, s4
	v_cmp_lt_i32_e64 s4, v43, v35
	v_cndmask_b32_e64 v100, 0, v100, s4
	;; [unrolled: 2-line block ×4, first 2 shown]
	v_cmp_lt_i32_e64 s4, v40, v35
	s_waitcnt vmcnt(0)
	v_cndmask_b32_e64 v4, 0, v4, s4
	v_cmp_lt_i32_e64 s4, v119, v35
	buffer_store_dword v4, off, s[0:3], s32 offset:224 ; 4-byte Folded Spill
	buffer_load_dword v4, off, s[0:3], s32 offset:228 ; 4-byte Folded Reload
	v_cndmask_b32_e64 v87, 0, v87, s4
	v_cmp_lt_i32_e64 s4, v118, v35
	s_waitcnt vmcnt(0)
	v_cndmask_b32_e64 v4, 0, v4, s4
	v_cmp_lt_i32_e64 s4, v54, v35
	buffer_store_dword v4, off, s[0:3], s32 offset:228 ; 4-byte Folded Spill
	v_cndmask_b32_e64 v96, 0, v96, s4
.LBB389_931:                            ;   in Loop: Header=BB389_799 Depth=1
	s_or_b32 exec_lo, exec_lo, s12
	flat_load_dwordx2 v[19:20], v[17:18] offset:512
	v_mov_b32_e32 v5, 0
	v_mov_b32_e32 v4, 0
	s_waitcnt vmcnt(0) lgkmcnt(0)
	v_cmp_ne_u16_sdwa s4, v19, v11 src0_sel:BYTE_0 src1_sel:DWORD
	s_and_saveexec_b32 s12, s4
	s_cbranch_execz .LBB389_939
; %bb.932:                              ;   in Loop: Header=BB389_799 Depth=1
	v_cmp_ne_u16_sdwa s4, v19, v64 src0_sel:BYTE_0 src1_sel:DWORD
	v_bfrev_b32_e32 v4, 1
	s_and_saveexec_b32 s13, s4
	s_cbranch_execz .LBB389_938
; %bb.933:                              ;   in Loop: Header=BB389_799 Depth=1
	v_and_b32_e32 v10, 0x7f, v19
	v_mov_b32_e32 v4, 0x7f800001
	s_mov_b32 s15, exec_lo
	v_cmpx_ne_u32_e32 0x7f, v10
	s_cbranch_execz .LBB389_937
; %bb.934:                              ;   in Loop: Header=BB389_799 Depth=1
	v_mov_b32_e32 v24, v20
	v_lshrrev_b32_e32 v4, 3, v10
	v_mov_b32_e32 v23, v19
	s_mov_b32 s18, exec_lo
	v_cmpx_gt_u32_e32 8, v10
; %bb.935:                              ;   in Loop: Header=BB389_799 Depth=1
	v_and_b32_e32 v4, 7, v19
	v_ffbh_u32_e32 v4, v4
	v_min_u32_e32 v4, 32, v4
	v_subrev_nc_u32_e32 v10, 28, v4
	v_sub_nc_u32_e32 v4, 29, v4
	v_lshlrev_b64 v[23:24], v10, v[19:20]
; %bb.936:                              ;   in Loop: Header=BB389_799 Depth=1
	s_or_b32 exec_lo, exec_lo, s18
	v_lshlrev_b32_e32 v10, 20, v23
	v_lshlrev_b32_e32 v12, 24, v19
	v_lshl_add_u32 v4, v4, 23, 0x3c000000
	v_and_b32_e32 v10, 0x700000, v10
	v_and_b32_e32 v12, 0x80000000, v12
	v_or3_b32 v4, v10, v12, v4
.LBB389_937:                            ;   in Loop: Header=BB389_799 Depth=1
	s_or_b32 exec_lo, exec_lo, s15
.LBB389_938:                            ;   in Loop: Header=BB389_799 Depth=1
	s_or_b32 exec_lo, exec_lo, s13
.LBB389_939:                            ;   in Loop: Header=BB389_799 Depth=1
	s_or_b32 exec_lo, exec_lo, s12
	v_cmp_ne_u16_sdwa s4, v19, v11 src0_sel:BYTE_1 src1_sel:DWORD
	s_and_saveexec_b32 s12, s4
	s_cbranch_execz .LBB389_947
; %bb.940:                              ;   in Loop: Header=BB389_799 Depth=1
	v_cmp_ne_u16_sdwa s4, v19, v64 src0_sel:BYTE_1 src1_sel:DWORD
	v_bfrev_b32_e32 v5, 1
	s_and_saveexec_b32 s13, s4
	s_cbranch_execz .LBB389_946
; %bb.941:                              ;   in Loop: Header=BB389_799 Depth=1
	v_mov_b32_e32 v5, 0xffff
	s_mov_b32 s15, exec_lo
	v_and_b32_sdwa v10, v5, v19 dst_sel:DWORD dst_unused:UNUSED_PAD src0_sel:DWORD src1_sel:BYTE_1
	v_mov_b32_e32 v5, 0x7f800001
	v_and_b32_e32 v12, 0x7f, v10
	v_cmpx_ne_u32_e32 0x7f, v12
	s_cbranch_execz .LBB389_945
; %bb.942:                              ;   in Loop: Header=BB389_799 Depth=1
	v_and_b32_e32 v10, 7, v10
	v_lshrrev_b32_e32 v5, 3, v12
	s_mov_b32 s18, exec_lo
	v_cmpx_gt_u32_e32 8, v12
; %bb.943:                              ;   in Loop: Header=BB389_799 Depth=1
	v_ffbh_u32_e32 v5, v10
	v_min_u32_e32 v5, 32, v5
	v_subrev_nc_u32_e32 v12, 28, v5
	v_sub_nc_u32_e32 v5, 29, v5
	v_lshlrev_b64 v[12:13], v12, v[10:11]
	v_and_b32_e32 v10, 7, v12
; %bb.944:                              ;   in Loop: Header=BB389_799 Depth=1
	s_or_b32 exec_lo, exec_lo, s18
	v_lshlrev_b32_e32 v12, 16, v19
	v_lshlrev_b32_e32 v10, 20, v10
	v_lshl_add_u32 v5, v5, 23, 0x3c000000
	v_and_b32_e32 v12, 0x80000000, v12
	v_or3_b32 v5, v10, v12, v5
.LBB389_945:                            ;   in Loop: Header=BB389_799 Depth=1
	s_or_b32 exec_lo, exec_lo, s15
.LBB389_946:                            ;   in Loop: Header=BB389_799 Depth=1
	s_or_b32 exec_lo, exec_lo, s13
.LBB389_947:                            ;   in Loop: Header=BB389_799 Depth=1
	s_or_b32 exec_lo, exec_lo, s12
	v_and_b32_sdwa v10, v19, v66 dst_sel:DWORD dst_unused:UNUSED_PAD src0_sel:WORD_1 src1_sel:DWORD
	v_mov_b32_e32 v13, 0
	v_mov_b32_e32 v12, 0
	s_mov_b32 s12, exec_lo
	v_cmpx_ne_u16_e32 0, v10
	s_cbranch_execz .LBB389_955
; %bb.948:                              ;   in Loop: Header=BB389_799 Depth=1
	v_bfrev_b32_e32 v12, 1
	s_mov_b32 s13, exec_lo
	v_cmpx_ne_u16_e32 0x80, v10
	s_cbranch_execz .LBB389_954
; %bb.949:                              ;   in Loop: Header=BB389_799 Depth=1
	v_bfe_u32 v21, v19, 16, 7
	v_mov_b32_e32 v12, 0x7f800001
	s_mov_b32 s15, exec_lo
	v_cmpx_ne_u32_e32 0x7f, v21
	s_cbranch_execz .LBB389_953
; %bb.950:                              ;   in Loop: Header=BB389_799 Depth=1
	v_mov_b32_e32 v10, 7
	v_lshrrev_b32_e32 v12, 3, v21
	s_mov_b32 s18, exec_lo
	v_and_b32_sdwa v10, v19, v10 dst_sel:DWORD dst_unused:UNUSED_PAD src0_sel:WORD_1 src1_sel:DWORD
	v_cmpx_gt_u32_e32 8, v21
; %bb.951:                              ;   in Loop: Header=BB389_799 Depth=1
	v_ffbh_u32_e32 v12, v10
	v_min_u32_e32 v12, 32, v12
	v_subrev_nc_u32_e32 v21, 28, v12
	v_sub_nc_u32_e32 v12, 29, v12
	v_lshlrev_b64 v[21:22], v21, v[10:11]
	v_and_b32_e32 v10, 7, v21
; %bb.952:                              ;   in Loop: Header=BB389_799 Depth=1
	s_or_b32 exec_lo, exec_lo, s18
	v_mov_b32_e32 v21, 24
	v_lshlrev_b32_e32 v10, 20, v10
	v_lshl_add_u32 v12, v12, 23, 0x3c000000
	v_lshlrev_b32_sdwa v21, v21, v19 dst_sel:DWORD dst_unused:UNUSED_PAD src0_sel:DWORD src1_sel:WORD_1
	v_and_b32_e32 v21, 0x80000000, v21
	v_or3_b32 v12, v10, v21, v12
.LBB389_953:                            ;   in Loop: Header=BB389_799 Depth=1
	s_or_b32 exec_lo, exec_lo, s15
.LBB389_954:                            ;   in Loop: Header=BB389_799 Depth=1
	s_or_b32 exec_lo, exec_lo, s13
.LBB389_955:                            ;   in Loop: Header=BB389_799 Depth=1
	s_or_b32 exec_lo, exec_lo, s12
	s_mov_b32 s12, exec_lo
	v_cmpx_lt_u32_e32 0xffffff, v19
	s_cbranch_execz .LBB389_963
; %bb.956:                              ;   in Loop: Header=BB389_799 Depth=1
	v_cmp_ne_u32_sdwa s4, v19, v64 src0_sel:BYTE_3 src1_sel:DWORD
	v_bfrev_b32_e32 v13, 1
	s_and_saveexec_b32 s13, s4
	s_cbranch_execz .LBB389_962
; %bb.957:                              ;   in Loop: Header=BB389_799 Depth=1
	v_bfe_u32 v21, v19, 24, 7
	v_mov_b32_e32 v13, 0x7f800001
	s_mov_b32 s15, exec_lo
	v_cmpx_ne_u32_e32 0x7f, v21
	s_cbranch_execz .LBB389_961
; %bb.958:                              ;   in Loop: Header=BB389_799 Depth=1
	v_mov_b32_e32 v10, 7
	v_lshrrev_b32_e32 v13, 3, v21
	s_mov_b32 s18, exec_lo
	v_and_b32_sdwa v10, v19, v10 dst_sel:DWORD dst_unused:UNUSED_PAD src0_sel:BYTE_3 src1_sel:DWORD
	v_cmpx_gt_u32_e32 8, v21
; %bb.959:                              ;   in Loop: Header=BB389_799 Depth=1
	v_ffbh_u32_e32 v13, v10
	v_min_u32_e32 v13, 32, v13
	v_subrev_nc_u32_e32 v21, 28, v13
	v_sub_nc_u32_e32 v13, 29, v13
	v_lshlrev_b64 v[21:22], v21, v[10:11]
	v_and_b32_e32 v10, 7, v21
; %bb.960:                              ;   in Loop: Header=BB389_799 Depth=1
	s_or_b32 exec_lo, exec_lo, s18
	v_mov_b32_e32 v21, 24
	v_lshlrev_b32_e32 v10, 20, v10
	v_lshl_add_u32 v13, v13, 23, 0x3c000000
	v_lshlrev_b32_sdwa v21, v21, v19 dst_sel:DWORD dst_unused:UNUSED_PAD src0_sel:DWORD src1_sel:BYTE_3
	v_and_b32_e32 v21, 0x80000000, v21
	v_or3_b32 v13, v10, v21, v13
.LBB389_961:                            ;   in Loop: Header=BB389_799 Depth=1
	s_or_b32 exec_lo, exec_lo, s15
.LBB389_962:                            ;   in Loop: Header=BB389_799 Depth=1
	s_or_b32 exec_lo, exec_lo, s13
.LBB389_963:                            ;   in Loop: Header=BB389_799 Depth=1
	s_or_b32 exec_lo, exec_lo, s12
	v_mov_b32_e32 v10, v20
	v_cmp_ne_u16_sdwa s4, v20, v11 src0_sel:BYTE_0 src1_sel:DWORD
	v_mov_b32_e32 v22, 0
	v_mov_b32_e32 v21, 0
	s_and_saveexec_b32 s12, s4
	s_cbranch_execz .LBB389_971
; %bb.964:                              ;   in Loop: Header=BB389_799 Depth=1
	v_cmp_ne_u16_sdwa s4, v20, v64 src0_sel:BYTE_0 src1_sel:DWORD
	v_bfrev_b32_e32 v21, 1
	s_and_saveexec_b32 s13, s4
	s_cbranch_execz .LBB389_970
; %bb.965:                              ;   in Loop: Header=BB389_799 Depth=1
	v_and_b32_e32 v23, 0x7f, v20
	v_mov_b32_e32 v21, 0x7f800001
	s_mov_b32 s15, exec_lo
	v_cmpx_ne_u32_e32 0x7f, v23
	s_cbranch_execz .LBB389_969
; %bb.966:                              ;   in Loop: Header=BB389_799 Depth=1
	v_lshrrev_b32_e32 v21, 3, v23
	v_cmp_gt_u32_e64 s4, 8, v23
	v_mov_b32_e32 v24, v11
	v_mov_b32_e32 v23, v10
	s_and_saveexec_b32 s18, s4
; %bb.967:                              ;   in Loop: Header=BB389_799 Depth=1
	v_and_b32_e32 v21, 7, v20
	v_ffbh_u32_e32 v21, v21
	v_min_u32_e32 v21, 32, v21
	v_subrev_nc_u32_e32 v23, 28, v21
	v_sub_nc_u32_e32 v21, 29, v21
	v_lshlrev_b64 v[23:24], v23, v[10:11]
; %bb.968:                              ;   in Loop: Header=BB389_799 Depth=1
	s_or_b32 exec_lo, exec_lo, s18
	v_lshlrev_b32_e32 v23, 20, v23
	v_lshlrev_b32_e32 v24, 24, v10
	v_lshl_add_u32 v21, v21, 23, 0x3c000000
	v_and_b32_e32 v23, 0x700000, v23
	v_and_b32_e32 v24, 0x80000000, v24
	v_or3_b32 v21, v23, v24, v21
.LBB389_969:                            ;   in Loop: Header=BB389_799 Depth=1
	s_or_b32 exec_lo, exec_lo, s15
.LBB389_970:                            ;   in Loop: Header=BB389_799 Depth=1
	s_or_b32 exec_lo, exec_lo, s13
.LBB389_971:                            ;   in Loop: Header=BB389_799 Depth=1
	s_or_b32 exec_lo, exec_lo, s12
	v_cmp_ne_u16_sdwa s4, v10, v11 src0_sel:BYTE_1 src1_sel:DWORD
	s_and_saveexec_b32 s12, s4
	s_cbranch_execz .LBB389_979
; %bb.972:                              ;   in Loop: Header=BB389_799 Depth=1
	v_cmp_ne_u16_sdwa s4, v10, v64 src0_sel:BYTE_1 src1_sel:DWORD
	v_bfrev_b32_e32 v22, 1
	s_and_saveexec_b32 s13, s4
	s_cbranch_execz .LBB389_978
; %bb.973:                              ;   in Loop: Header=BB389_799 Depth=1
	v_mov_b32_e32 v22, 0xffff
	s_mov_b32 s15, exec_lo
	v_and_b32_sdwa v23, v22, v10 dst_sel:DWORD dst_unused:UNUSED_PAD src0_sel:DWORD src1_sel:BYTE_1
	v_mov_b32_e32 v22, 0x7f800001
	v_and_b32_e32 v25, 0x7f, v23
	v_cmpx_ne_u32_e32 0x7f, v25
	s_cbranch_execz .LBB389_977
; %bb.974:                              ;   in Loop: Header=BB389_799 Depth=1
	v_and_b32_e32 v23, 7, v23
	v_mov_b32_e32 v24, v11
	v_lshrrev_b32_e32 v22, 3, v25
	s_mov_b32 s18, exec_lo
	v_cmpx_gt_u32_e32 8, v25
; %bb.975:                              ;   in Loop: Header=BB389_799 Depth=1
	v_ffbh_u32_e32 v22, v23
	v_min_u32_e32 v22, 32, v22
	v_subrev_nc_u32_e32 v25, 28, v22
	v_sub_nc_u32_e32 v22, 29, v22
	v_lshlrev_b64 v[23:24], v25, v[23:24]
	v_and_b32_e32 v23, 7, v23
; %bb.976:                              ;   in Loop: Header=BB389_799 Depth=1
	s_or_b32 exec_lo, exec_lo, s18
	v_lshlrev_b32_e32 v10, 16, v10
	v_lshlrev_b32_e32 v23, 20, v23
	v_lshl_add_u32 v22, v22, 23, 0x3c000000
	v_and_b32_e32 v10, 0x80000000, v10
	v_or3_b32 v22, v23, v10, v22
.LBB389_977:                            ;   in Loop: Header=BB389_799 Depth=1
	s_or_b32 exec_lo, exec_lo, s15
.LBB389_978:                            ;   in Loop: Header=BB389_799 Depth=1
	s_or_b32 exec_lo, exec_lo, s13
.LBB389_979:                            ;   in Loop: Header=BB389_799 Depth=1
	s_or_b32 exec_lo, exec_lo, s12
	v_and_b32_sdwa v10, v20, v66 dst_sel:DWORD dst_unused:UNUSED_PAD src0_sel:WORD_1 src1_sel:DWORD
	v_mov_b32_e32 v23, 0
	v_mov_b32_e32 v24, 0
	s_mov_b32 s12, exec_lo
	v_cmpx_ne_u16_e32 0, v10
	s_cbranch_execz .LBB389_987
; %bb.980:                              ;   in Loop: Header=BB389_799 Depth=1
	v_bfrev_b32_e32 v24, 1
	s_mov_b32 s13, exec_lo
	v_cmpx_ne_u16_e32 0x80, v10
	s_cbranch_execz .LBB389_986
; %bb.981:                              ;   in Loop: Header=BB389_799 Depth=1
	v_bfe_u32 v25, v20, 16, 7
	v_mov_b32_e32 v24, 0x7f800001
	s_mov_b32 s15, exec_lo
	v_cmpx_ne_u32_e32 0x7f, v25
	s_cbranch_execz .LBB389_985
; %bb.982:                              ;   in Loop: Header=BB389_799 Depth=1
	v_mov_b32_e32 v10, 7
	v_lshrrev_b32_e32 v24, 3, v25
	s_mov_b32 s18, exec_lo
	v_and_b32_sdwa v10, v20, v10 dst_sel:DWORD dst_unused:UNUSED_PAD src0_sel:WORD_1 src1_sel:DWORD
	v_cmpx_gt_u32_e32 8, v25
; %bb.983:                              ;   in Loop: Header=BB389_799 Depth=1
	v_ffbh_u32_e32 v24, v10
	v_min_u32_e32 v24, 32, v24
	v_subrev_nc_u32_e32 v25, 28, v24
	v_sub_nc_u32_e32 v24, 29, v24
	v_lshlrev_b64 v[27:28], v25, v[10:11]
	v_and_b32_e32 v10, 7, v27
; %bb.984:                              ;   in Loop: Header=BB389_799 Depth=1
	s_or_b32 exec_lo, exec_lo, s18
	v_mov_b32_e32 v25, 24
	v_lshlrev_b32_e32 v10, 20, v10
	v_lshl_add_u32 v24, v24, 23, 0x3c000000
	v_lshlrev_b32_sdwa v25, v25, v20 dst_sel:DWORD dst_unused:UNUSED_PAD src0_sel:DWORD src1_sel:WORD_1
	v_and_b32_e32 v25, 0x80000000, v25
	v_or3_b32 v24, v10, v25, v24
.LBB389_985:                            ;   in Loop: Header=BB389_799 Depth=1
	s_or_b32 exec_lo, exec_lo, s15
.LBB389_986:                            ;   in Loop: Header=BB389_799 Depth=1
	s_or_b32 exec_lo, exec_lo, s13
.LBB389_987:                            ;   in Loop: Header=BB389_799 Depth=1
	s_or_b32 exec_lo, exec_lo, s12
	s_mov_b32 s12, exec_lo
	v_cmpx_lt_u64_e64 s[8:9], v[19:20]
	s_cbranch_execz .LBB389_995
; %bb.988:                              ;   in Loop: Header=BB389_799 Depth=1
	v_cmp_ne_u32_sdwa s4, v20, v64 src0_sel:BYTE_3 src1_sel:DWORD
	v_bfrev_b32_e32 v23, 1
	s_and_saveexec_b32 s13, s4
	s_cbranch_execz .LBB389_994
; %bb.989:                              ;   in Loop: Header=BB389_799 Depth=1
	v_bfe_u32 v25, v20, 24, 7
	v_mov_b32_e32 v23, 0x7f800001
	s_mov_b32 s15, exec_lo
	v_cmpx_ne_u32_e32 0x7f, v25
	s_cbranch_execz .LBB389_993
; %bb.990:                              ;   in Loop: Header=BB389_799 Depth=1
	v_mov_b32_e32 v10, 7
	v_lshrrev_b32_e32 v19, 3, v25
	s_mov_b32 s18, exec_lo
	v_and_b32_sdwa v10, v20, v10 dst_sel:DWORD dst_unused:UNUSED_PAD src0_sel:BYTE_3 src1_sel:DWORD
	v_cmpx_gt_u32_e32 8, v25
; %bb.991:                              ;   in Loop: Header=BB389_799 Depth=1
	v_ffbh_u32_e32 v19, v10
	v_min_u32_e32 v19, 32, v19
	v_subrev_nc_u32_e32 v23, 28, v19
	v_sub_nc_u32_e32 v19, 29, v19
	v_lshlrev_b64 v[27:28], v23, v[10:11]
	v_and_b32_e32 v10, 7, v27
; %bb.992:                              ;   in Loop: Header=BB389_799 Depth=1
	s_or_b32 exec_lo, exec_lo, s18
	v_mov_b32_e32 v23, 24
	v_lshlrev_b32_e32 v10, 20, v10
	v_lshl_add_u32 v19, v19, 23, 0x3c000000
	v_lshlrev_b32_sdwa v20, v23, v20 dst_sel:DWORD dst_unused:UNUSED_PAD src0_sel:DWORD src1_sel:BYTE_3
	v_and_b32_e32 v20, 0x80000000, v20
	v_or3_b32 v23, v10, v20, v19
.LBB389_993:                            ;   in Loop: Header=BB389_799 Depth=1
	s_or_b32 exec_lo, exec_lo, s15
.LBB389_994:                            ;   in Loop: Header=BB389_799 Depth=1
	s_or_b32 exec_lo, exec_lo, s13
.LBB389_995:                            ;   in Loop: Header=BB389_799 Depth=1
	s_or_b32 exec_lo, exec_lo, s12
	v_mul_f32_e32 v10, v26, v22
	v_mul_f32_e32 v19, v26, v21
	;; [unrolled: 1-line block ×5, first 2 shown]
	v_bfe_u32 v20, v10, 16, 1
	v_or_b32_e32 v21, 0x400000, v10
	v_bfe_u32 v22, v19, 16, 1
	v_cmp_u_f32_e64 s4, v10, v10
	v_or_b32_e32 v25, 0x400000, v19
	v_add3_u32 v20, v20, v10, 0x7fff
	v_bfe_u32 v27, v13, 16, 1
	v_add3_u32 v22, v22, v19, 0x7fff
	v_or_b32_e32 v28, 0x400000, v13
	v_bfe_u32 v34, v12, 16, 1
	v_cndmask_b32_e64 v10, v20, v21, s4
	v_cmp_u_f32_e64 s4, v19, v19
	v_add3_u32 v27, v27, v13, 0x7fff
	v_or_b32_e32 v20, 0x400000, v12
	v_mul_f32_e32 v4, v26, v4
	v_lshrrev_b32_e32 v102, 16, v10
	v_cndmask_b32_e64 v19, v22, v25, s4
	v_cmp_u_f32_e64 s4, v13, v13
	v_add3_u32 v10, v34, v12, 0x7fff
	v_bfe_u32 v21, v4, 16, 1
	v_lshrrev_b32_e32 v101, 16, v19
	v_cndmask_b32_e64 v13, v27, v28, s4
	v_cmp_u_f32_e64 s4, v12, v12
	v_mul_f32_e32 v12, v26, v24
	v_or_b32_e32 v19, 0x400000, v5
	v_lshrrev_b32_e32 v113, 16, v13
	v_bfe_u32 v13, v5, 16, 1
	v_cndmask_b32_e64 v10, v10, v20, s4
	v_cmp_u_f32_e64 s4, v5, v5
	v_mul_f32_e32 v20, v26, v23
	v_bfe_u32 v22, v12, 16, 1
	v_add3_u32 v13, v13, v5, 0x7fff
	v_or_b32_e32 v23, 0x400000, v12
	v_lshrrev_b32_e32 v114, 16, v10
	v_or_b32_e32 v24, 0x400000, v20
	v_add3_u32 v22, v22, v12, 0x7fff
	v_cndmask_b32_e64 v5, v13, v19, s4
	v_add3_u32 v19, v21, v4, 0x7fff
	v_or_b32_e32 v21, 0x400000, v4
	v_cmp_u_f32_e64 s4, v4, v4
	v_bfe_u32 v13, v20, 16, 1
	v_lshrrev_b32_e32 v116, 16, v5
	v_cndmask_b32_e64 v4, v19, v21, s4
	v_cmp_u_f32_e64 s4, v12, v12
	v_add3_u32 v13, v13, v20, 0x7fff
	v_lshrrev_b32_e32 v115, 16, v4
	v_cndmask_b32_e64 v12, v22, v23, s4
	v_cmp_u_f32_e64 s4, v20, v20
	v_lshrrev_b32_e32 v103, 16, v12
	v_cndmask_b32_e64 v13, v13, v24, s4
	v_lshrrev_b32_e32 v112, 16, v13
	s_and_saveexec_b32 s12, vcc_lo
	s_cbranch_execz .LBB389_997
; %bb.996:                              ;   in Loop: Header=BB389_799 Depth=1
	v_cmp_lt_i32_e64 s4, v117, v35
	v_cndmask_b32_e64 v115, 0, v115, s4
	v_cmp_lt_i32_e64 s4, v43, v35
	v_cndmask_b32_e64 v116, 0, v116, s4
	;; [unrolled: 2-line block ×8, first 2 shown]
.LBB389_997:                            ;   in Loop: Header=BB389_799 Depth=1
	s_or_b32 exec_lo, exec_lo, s12
	flat_load_dwordx2 v[19:20], v[17:18] offset:768
	v_mov_b32_e32 v5, 0
	v_mov_b32_e32 v4, 0
	s_waitcnt vmcnt(0) lgkmcnt(0)
	v_cmp_ne_u16_sdwa s4, v19, v11 src0_sel:BYTE_0 src1_sel:DWORD
	s_and_saveexec_b32 s12, s4
	s_cbranch_execz .LBB389_1005
; %bb.998:                              ;   in Loop: Header=BB389_799 Depth=1
	v_cmp_ne_u16_sdwa s4, v19, v64 src0_sel:BYTE_0 src1_sel:DWORD
	v_bfrev_b32_e32 v4, 1
	s_and_saveexec_b32 s13, s4
	s_cbranch_execz .LBB389_1004
; %bb.999:                              ;   in Loop: Header=BB389_799 Depth=1
	v_and_b32_e32 v10, 0x7f, v19
	v_mov_b32_e32 v4, 0x7f800001
	s_mov_b32 s15, exec_lo
	v_cmpx_ne_u32_e32 0x7f, v10
	s_cbranch_execz .LBB389_1003
; %bb.1000:                             ;   in Loop: Header=BB389_799 Depth=1
	v_mov_b32_e32 v24, v20
	v_lshrrev_b32_e32 v4, 3, v10
	v_mov_b32_e32 v23, v19
	s_mov_b32 s18, exec_lo
	v_cmpx_gt_u32_e32 8, v10
; %bb.1001:                             ;   in Loop: Header=BB389_799 Depth=1
	v_and_b32_e32 v4, 7, v19
	v_ffbh_u32_e32 v4, v4
	v_min_u32_e32 v4, 32, v4
	v_subrev_nc_u32_e32 v10, 28, v4
	v_sub_nc_u32_e32 v4, 29, v4
	v_lshlrev_b64 v[23:24], v10, v[19:20]
; %bb.1002:                             ;   in Loop: Header=BB389_799 Depth=1
	s_or_b32 exec_lo, exec_lo, s18
	v_lshlrev_b32_e32 v10, 20, v23
	v_lshlrev_b32_e32 v12, 24, v19
	v_lshl_add_u32 v4, v4, 23, 0x3c000000
	v_and_b32_e32 v10, 0x700000, v10
	v_and_b32_e32 v12, 0x80000000, v12
	v_or3_b32 v4, v10, v12, v4
.LBB389_1003:                           ;   in Loop: Header=BB389_799 Depth=1
	s_or_b32 exec_lo, exec_lo, s15
.LBB389_1004:                           ;   in Loop: Header=BB389_799 Depth=1
	s_or_b32 exec_lo, exec_lo, s13
.LBB389_1005:                           ;   in Loop: Header=BB389_799 Depth=1
	s_or_b32 exec_lo, exec_lo, s12
	v_cmp_ne_u16_sdwa s4, v19, v11 src0_sel:BYTE_1 src1_sel:DWORD
	s_and_saveexec_b32 s12, s4
	s_cbranch_execz .LBB389_1013
; %bb.1006:                             ;   in Loop: Header=BB389_799 Depth=1
	v_cmp_ne_u16_sdwa s4, v19, v64 src0_sel:BYTE_1 src1_sel:DWORD
	v_bfrev_b32_e32 v5, 1
	s_and_saveexec_b32 s13, s4
	s_cbranch_execz .LBB389_1012
; %bb.1007:                             ;   in Loop: Header=BB389_799 Depth=1
	v_mov_b32_e32 v5, 0xffff
	s_mov_b32 s15, exec_lo
	v_and_b32_sdwa v10, v5, v19 dst_sel:DWORD dst_unused:UNUSED_PAD src0_sel:DWORD src1_sel:BYTE_1
	v_mov_b32_e32 v5, 0x7f800001
	v_and_b32_e32 v12, 0x7f, v10
	v_cmpx_ne_u32_e32 0x7f, v12
	s_cbranch_execz .LBB389_1011
; %bb.1008:                             ;   in Loop: Header=BB389_799 Depth=1
	v_and_b32_e32 v10, 7, v10
	v_lshrrev_b32_e32 v5, 3, v12
	s_mov_b32 s18, exec_lo
	v_cmpx_gt_u32_e32 8, v12
; %bb.1009:                             ;   in Loop: Header=BB389_799 Depth=1
	v_ffbh_u32_e32 v5, v10
	v_min_u32_e32 v5, 32, v5
	v_subrev_nc_u32_e32 v12, 28, v5
	v_sub_nc_u32_e32 v5, 29, v5
	v_lshlrev_b64 v[12:13], v12, v[10:11]
	v_and_b32_e32 v10, 7, v12
; %bb.1010:                             ;   in Loop: Header=BB389_799 Depth=1
	s_or_b32 exec_lo, exec_lo, s18
	v_lshlrev_b32_e32 v12, 16, v19
	v_lshlrev_b32_e32 v10, 20, v10
	v_lshl_add_u32 v5, v5, 23, 0x3c000000
	v_and_b32_e32 v12, 0x80000000, v12
	v_or3_b32 v5, v10, v12, v5
.LBB389_1011:                           ;   in Loop: Header=BB389_799 Depth=1
	s_or_b32 exec_lo, exec_lo, s15
.LBB389_1012:                           ;   in Loop: Header=BB389_799 Depth=1
	s_or_b32 exec_lo, exec_lo, s13
.LBB389_1013:                           ;   in Loop: Header=BB389_799 Depth=1
	s_or_b32 exec_lo, exec_lo, s12
	v_and_b32_sdwa v10, v19, v66 dst_sel:DWORD dst_unused:UNUSED_PAD src0_sel:WORD_1 src1_sel:DWORD
	v_mov_b32_e32 v13, 0
	v_mov_b32_e32 v12, 0
	s_mov_b32 s12, exec_lo
	v_cmpx_ne_u16_e32 0, v10
	s_cbranch_execz .LBB389_1021
; %bb.1014:                             ;   in Loop: Header=BB389_799 Depth=1
	v_bfrev_b32_e32 v12, 1
	s_mov_b32 s13, exec_lo
	v_cmpx_ne_u16_e32 0x80, v10
	s_cbranch_execz .LBB389_1020
; %bb.1015:                             ;   in Loop: Header=BB389_799 Depth=1
	v_bfe_u32 v21, v19, 16, 7
	v_mov_b32_e32 v12, 0x7f800001
	s_mov_b32 s15, exec_lo
	v_cmpx_ne_u32_e32 0x7f, v21
	s_cbranch_execz .LBB389_1019
; %bb.1016:                             ;   in Loop: Header=BB389_799 Depth=1
	v_mov_b32_e32 v10, 7
	v_lshrrev_b32_e32 v12, 3, v21
	s_mov_b32 s18, exec_lo
	v_and_b32_sdwa v10, v19, v10 dst_sel:DWORD dst_unused:UNUSED_PAD src0_sel:WORD_1 src1_sel:DWORD
	v_cmpx_gt_u32_e32 8, v21
; %bb.1017:                             ;   in Loop: Header=BB389_799 Depth=1
	v_ffbh_u32_e32 v12, v10
	v_min_u32_e32 v12, 32, v12
	v_subrev_nc_u32_e32 v21, 28, v12
	v_sub_nc_u32_e32 v12, 29, v12
	v_lshlrev_b64 v[21:22], v21, v[10:11]
	v_and_b32_e32 v10, 7, v21
; %bb.1018:                             ;   in Loop: Header=BB389_799 Depth=1
	s_or_b32 exec_lo, exec_lo, s18
	v_mov_b32_e32 v21, 24
	v_lshlrev_b32_e32 v10, 20, v10
	v_lshl_add_u32 v12, v12, 23, 0x3c000000
	v_lshlrev_b32_sdwa v21, v21, v19 dst_sel:DWORD dst_unused:UNUSED_PAD src0_sel:DWORD src1_sel:WORD_1
	v_and_b32_e32 v21, 0x80000000, v21
	v_or3_b32 v12, v10, v21, v12
.LBB389_1019:                           ;   in Loop: Header=BB389_799 Depth=1
	s_or_b32 exec_lo, exec_lo, s15
.LBB389_1020:                           ;   in Loop: Header=BB389_799 Depth=1
	s_or_b32 exec_lo, exec_lo, s13
.LBB389_1021:                           ;   in Loop: Header=BB389_799 Depth=1
	s_or_b32 exec_lo, exec_lo, s12
	s_mov_b32 s12, exec_lo
	v_cmpx_lt_u32_e32 0xffffff, v19
	s_cbranch_execz .LBB389_1029
; %bb.1022:                             ;   in Loop: Header=BB389_799 Depth=1
	v_cmp_ne_u32_sdwa s4, v19, v64 src0_sel:BYTE_3 src1_sel:DWORD
	v_bfrev_b32_e32 v13, 1
	s_and_saveexec_b32 s13, s4
	s_cbranch_execz .LBB389_1028
; %bb.1023:                             ;   in Loop: Header=BB389_799 Depth=1
	v_bfe_u32 v21, v19, 24, 7
	v_mov_b32_e32 v13, 0x7f800001
	s_mov_b32 s15, exec_lo
	v_cmpx_ne_u32_e32 0x7f, v21
	s_cbranch_execz .LBB389_1027
; %bb.1024:                             ;   in Loop: Header=BB389_799 Depth=1
	v_mov_b32_e32 v10, 7
	v_lshrrev_b32_e32 v13, 3, v21
	s_mov_b32 s18, exec_lo
	v_and_b32_sdwa v10, v19, v10 dst_sel:DWORD dst_unused:UNUSED_PAD src0_sel:BYTE_3 src1_sel:DWORD
	v_cmpx_gt_u32_e32 8, v21
; %bb.1025:                             ;   in Loop: Header=BB389_799 Depth=1
	v_ffbh_u32_e32 v13, v10
	v_min_u32_e32 v13, 32, v13
	v_subrev_nc_u32_e32 v21, 28, v13
	v_sub_nc_u32_e32 v13, 29, v13
	v_lshlrev_b64 v[21:22], v21, v[10:11]
	v_and_b32_e32 v10, 7, v21
; %bb.1026:                             ;   in Loop: Header=BB389_799 Depth=1
	s_or_b32 exec_lo, exec_lo, s18
	v_mov_b32_e32 v21, 24
	v_lshlrev_b32_e32 v10, 20, v10
	v_lshl_add_u32 v13, v13, 23, 0x3c000000
	v_lshlrev_b32_sdwa v21, v21, v19 dst_sel:DWORD dst_unused:UNUSED_PAD src0_sel:DWORD src1_sel:BYTE_3
	v_and_b32_e32 v21, 0x80000000, v21
	v_or3_b32 v13, v10, v21, v13
.LBB389_1027:                           ;   in Loop: Header=BB389_799 Depth=1
	s_or_b32 exec_lo, exec_lo, s15
.LBB389_1028:                           ;   in Loop: Header=BB389_799 Depth=1
	s_or_b32 exec_lo, exec_lo, s13
.LBB389_1029:                           ;   in Loop: Header=BB389_799 Depth=1
	s_or_b32 exec_lo, exec_lo, s12
	v_mov_b32_e32 v10, v20
	v_cmp_ne_u16_sdwa s4, v20, v11 src0_sel:BYTE_0 src1_sel:DWORD
	v_mov_b32_e32 v22, 0
	v_mov_b32_e32 v21, 0
	s_and_saveexec_b32 s12, s4
	s_cbranch_execz .LBB389_1037
; %bb.1030:                             ;   in Loop: Header=BB389_799 Depth=1
	v_cmp_ne_u16_sdwa s4, v20, v64 src0_sel:BYTE_0 src1_sel:DWORD
	v_bfrev_b32_e32 v21, 1
	s_and_saveexec_b32 s13, s4
	s_cbranch_execz .LBB389_1036
; %bb.1031:                             ;   in Loop: Header=BB389_799 Depth=1
	v_and_b32_e32 v23, 0x7f, v20
	v_mov_b32_e32 v21, 0x7f800001
	s_mov_b32 s15, exec_lo
	v_cmpx_ne_u32_e32 0x7f, v23
	s_cbranch_execz .LBB389_1035
; %bb.1032:                             ;   in Loop: Header=BB389_799 Depth=1
	v_lshrrev_b32_e32 v21, 3, v23
	v_cmp_gt_u32_e64 s4, 8, v23
	v_mov_b32_e32 v24, v11
	v_mov_b32_e32 v23, v10
	s_and_saveexec_b32 s18, s4
; %bb.1033:                             ;   in Loop: Header=BB389_799 Depth=1
	v_and_b32_e32 v21, 7, v20
	v_ffbh_u32_e32 v21, v21
	v_min_u32_e32 v21, 32, v21
	v_subrev_nc_u32_e32 v23, 28, v21
	v_sub_nc_u32_e32 v21, 29, v21
	v_lshlrev_b64 v[23:24], v23, v[10:11]
; %bb.1034:                             ;   in Loop: Header=BB389_799 Depth=1
	s_or_b32 exec_lo, exec_lo, s18
	v_lshlrev_b32_e32 v23, 20, v23
	v_lshlrev_b32_e32 v24, 24, v10
	v_lshl_add_u32 v21, v21, 23, 0x3c000000
	v_and_b32_e32 v23, 0x700000, v23
	v_and_b32_e32 v24, 0x80000000, v24
	v_or3_b32 v21, v23, v24, v21
.LBB389_1035:                           ;   in Loop: Header=BB389_799 Depth=1
	s_or_b32 exec_lo, exec_lo, s15
.LBB389_1036:                           ;   in Loop: Header=BB389_799 Depth=1
	s_or_b32 exec_lo, exec_lo, s13
.LBB389_1037:                           ;   in Loop: Header=BB389_799 Depth=1
	s_or_b32 exec_lo, exec_lo, s12
	v_cmp_ne_u16_sdwa s4, v10, v11 src0_sel:BYTE_1 src1_sel:DWORD
	s_and_saveexec_b32 s12, s4
	s_cbranch_execz .LBB389_1045
; %bb.1038:                             ;   in Loop: Header=BB389_799 Depth=1
	v_cmp_ne_u16_sdwa s4, v10, v64 src0_sel:BYTE_1 src1_sel:DWORD
	v_bfrev_b32_e32 v22, 1
	s_and_saveexec_b32 s13, s4
	s_cbranch_execz .LBB389_1044
; %bb.1039:                             ;   in Loop: Header=BB389_799 Depth=1
	v_mov_b32_e32 v22, 0xffff
	s_mov_b32 s15, exec_lo
	v_and_b32_sdwa v23, v22, v10 dst_sel:DWORD dst_unused:UNUSED_PAD src0_sel:DWORD src1_sel:BYTE_1
	v_mov_b32_e32 v22, 0x7f800001
	v_and_b32_e32 v25, 0x7f, v23
	v_cmpx_ne_u32_e32 0x7f, v25
	s_cbranch_execz .LBB389_1043
; %bb.1040:                             ;   in Loop: Header=BB389_799 Depth=1
	v_and_b32_e32 v23, 7, v23
	v_mov_b32_e32 v24, v11
	v_lshrrev_b32_e32 v22, 3, v25
	s_mov_b32 s18, exec_lo
	v_cmpx_gt_u32_e32 8, v25
; %bb.1041:                             ;   in Loop: Header=BB389_799 Depth=1
	v_ffbh_u32_e32 v22, v23
	v_min_u32_e32 v22, 32, v22
	v_subrev_nc_u32_e32 v25, 28, v22
	v_sub_nc_u32_e32 v22, 29, v22
	v_lshlrev_b64 v[23:24], v25, v[23:24]
	v_and_b32_e32 v23, 7, v23
; %bb.1042:                             ;   in Loop: Header=BB389_799 Depth=1
	s_or_b32 exec_lo, exec_lo, s18
	v_lshlrev_b32_e32 v10, 16, v10
	v_lshlrev_b32_e32 v23, 20, v23
	v_lshl_add_u32 v22, v22, 23, 0x3c000000
	v_and_b32_e32 v10, 0x80000000, v10
	v_or3_b32 v22, v23, v10, v22
.LBB389_1043:                           ;   in Loop: Header=BB389_799 Depth=1
	s_or_b32 exec_lo, exec_lo, s15
.LBB389_1044:                           ;   in Loop: Header=BB389_799 Depth=1
	s_or_b32 exec_lo, exec_lo, s13
.LBB389_1045:                           ;   in Loop: Header=BB389_799 Depth=1
	s_or_b32 exec_lo, exec_lo, s12
	v_and_b32_sdwa v10, v20, v66 dst_sel:DWORD dst_unused:UNUSED_PAD src0_sel:WORD_1 src1_sel:DWORD
	v_mov_b32_e32 v23, 0
	v_mov_b32_e32 v24, 0
	s_mov_b32 s12, exec_lo
	v_cmpx_ne_u16_e32 0, v10
	s_cbranch_execz .LBB389_1053
; %bb.1046:                             ;   in Loop: Header=BB389_799 Depth=1
	v_bfrev_b32_e32 v24, 1
	s_mov_b32 s13, exec_lo
	v_cmpx_ne_u16_e32 0x80, v10
	s_cbranch_execz .LBB389_1052
; %bb.1047:                             ;   in Loop: Header=BB389_799 Depth=1
	v_bfe_u32 v25, v20, 16, 7
	v_mov_b32_e32 v24, 0x7f800001
	s_mov_b32 s15, exec_lo
	v_cmpx_ne_u32_e32 0x7f, v25
	s_cbranch_execz .LBB389_1051
; %bb.1048:                             ;   in Loop: Header=BB389_799 Depth=1
	v_mov_b32_e32 v10, 7
	v_lshrrev_b32_e32 v24, 3, v25
	s_mov_b32 s18, exec_lo
	v_and_b32_sdwa v10, v20, v10 dst_sel:DWORD dst_unused:UNUSED_PAD src0_sel:WORD_1 src1_sel:DWORD
	v_cmpx_gt_u32_e32 8, v25
; %bb.1049:                             ;   in Loop: Header=BB389_799 Depth=1
	v_ffbh_u32_e32 v24, v10
	v_min_u32_e32 v24, 32, v24
	v_subrev_nc_u32_e32 v25, 28, v24
	v_sub_nc_u32_e32 v24, 29, v24
	v_lshlrev_b64 v[27:28], v25, v[10:11]
	v_and_b32_e32 v10, 7, v27
; %bb.1050:                             ;   in Loop: Header=BB389_799 Depth=1
	s_or_b32 exec_lo, exec_lo, s18
	v_mov_b32_e32 v25, 24
	v_lshlrev_b32_e32 v10, 20, v10
	v_lshl_add_u32 v24, v24, 23, 0x3c000000
	v_lshlrev_b32_sdwa v25, v25, v20 dst_sel:DWORD dst_unused:UNUSED_PAD src0_sel:DWORD src1_sel:WORD_1
	v_and_b32_e32 v25, 0x80000000, v25
	v_or3_b32 v24, v10, v25, v24
.LBB389_1051:                           ;   in Loop: Header=BB389_799 Depth=1
	s_or_b32 exec_lo, exec_lo, s15
.LBB389_1052:                           ;   in Loop: Header=BB389_799 Depth=1
	s_or_b32 exec_lo, exec_lo, s13
.LBB389_1053:                           ;   in Loop: Header=BB389_799 Depth=1
	s_or_b32 exec_lo, exec_lo, s12
	s_mov_b32 s12, exec_lo
	v_cmpx_lt_u64_e64 s[8:9], v[19:20]
	s_cbranch_execz .LBB389_1061
; %bb.1054:                             ;   in Loop: Header=BB389_799 Depth=1
	v_cmp_ne_u32_sdwa s4, v20, v64 src0_sel:BYTE_3 src1_sel:DWORD
	v_bfrev_b32_e32 v23, 1
	s_and_saveexec_b32 s13, s4
	s_cbranch_execz .LBB389_1060
; %bb.1055:                             ;   in Loop: Header=BB389_799 Depth=1
	v_bfe_u32 v25, v20, 24, 7
	v_mov_b32_e32 v23, 0x7f800001
	s_mov_b32 s15, exec_lo
	v_cmpx_ne_u32_e32 0x7f, v25
	s_cbranch_execz .LBB389_1059
; %bb.1056:                             ;   in Loop: Header=BB389_799 Depth=1
	v_mov_b32_e32 v10, 7
	v_lshrrev_b32_e32 v19, 3, v25
	s_mov_b32 s18, exec_lo
	v_and_b32_sdwa v10, v20, v10 dst_sel:DWORD dst_unused:UNUSED_PAD src0_sel:BYTE_3 src1_sel:DWORD
	v_cmpx_gt_u32_e32 8, v25
; %bb.1057:                             ;   in Loop: Header=BB389_799 Depth=1
	v_ffbh_u32_e32 v19, v10
	v_min_u32_e32 v19, 32, v19
	v_subrev_nc_u32_e32 v23, 28, v19
	v_sub_nc_u32_e32 v19, 29, v19
	v_lshlrev_b64 v[27:28], v23, v[10:11]
	v_and_b32_e32 v10, 7, v27
; %bb.1058:                             ;   in Loop: Header=BB389_799 Depth=1
	s_or_b32 exec_lo, exec_lo, s18
	v_mov_b32_e32 v23, 24
	v_lshlrev_b32_e32 v10, 20, v10
	v_lshl_add_u32 v19, v19, 23, 0x3c000000
	v_lshlrev_b32_sdwa v20, v23, v20 dst_sel:DWORD dst_unused:UNUSED_PAD src0_sel:DWORD src1_sel:BYTE_3
	v_and_b32_e32 v20, 0x80000000, v20
	v_or3_b32 v23, v10, v20, v19
.LBB389_1059:                           ;   in Loop: Header=BB389_799 Depth=1
	s_or_b32 exec_lo, exec_lo, s15
.LBB389_1060:                           ;   in Loop: Header=BB389_799 Depth=1
	s_or_b32 exec_lo, exec_lo, s13
.LBB389_1061:                           ;   in Loop: Header=BB389_799 Depth=1
	s_or_b32 exec_lo, exec_lo, s12
	v_mul_f32_e32 v10, v26, v22
	v_mul_f32_e32 v19, v26, v21
	;; [unrolled: 1-line block ×5, first 2 shown]
	v_bfe_u32 v20, v10, 16, 1
	v_or_b32_e32 v21, 0x400000, v10
	v_bfe_u32 v22, v19, 16, 1
	v_cmp_u_f32_e64 s4, v10, v10
	v_or_b32_e32 v25, 0x400000, v19
	v_add3_u32 v20, v20, v10, 0x7fff
	v_bfe_u32 v27, v13, 16, 1
	v_add3_u32 v22, v22, v19, 0x7fff
	v_or_b32_e32 v28, 0x400000, v13
	v_bfe_u32 v34, v12, 16, 1
	v_cndmask_b32_e64 v10, v20, v21, s4
	v_cmp_u_f32_e64 s4, v19, v19
	v_add3_u32 v27, v27, v13, 0x7fff
	v_or_b32_e32 v20, 0x400000, v12
	v_mul_f32_e32 v4, v26, v4
	v_lshrrev_b32_e32 v45, 16, v10
	v_cndmask_b32_e64 v19, v22, v25, s4
	v_cmp_u_f32_e64 s4, v13, v13
	v_add3_u32 v10, v34, v12, 0x7fff
	v_bfe_u32 v21, v4, 16, 1
	v_lshrrev_b32_e32 v44, 16, v19
	v_cndmask_b32_e64 v13, v27, v28, s4
	v_cmp_u_f32_e64 s4, v12, v12
	v_mul_f32_e32 v12, v26, v24
	v_or_b32_e32 v19, 0x400000, v5
	v_lshrrev_b32_e32 v56, 16, v13
	v_bfe_u32 v13, v5, 16, 1
	v_cndmask_b32_e64 v10, v10, v20, s4
	v_cmp_u_f32_e64 s4, v5, v5
	v_mul_f32_e32 v20, v26, v23
	v_bfe_u32 v22, v12, 16, 1
	v_add3_u32 v13, v13, v5, 0x7fff
	v_or_b32_e32 v23, 0x400000, v12
	v_lshrrev_b32_e32 v57, 16, v10
	v_or_b32_e32 v24, 0x400000, v20
	v_add3_u32 v22, v22, v12, 0x7fff
	v_cndmask_b32_e64 v5, v13, v19, s4
	v_add3_u32 v19, v21, v4, 0x7fff
	v_or_b32_e32 v21, 0x400000, v4
	v_cmp_u_f32_e64 s4, v4, v4
	v_bfe_u32 v13, v20, 16, 1
	v_lshrrev_b32_e32 v59, 16, v5
	v_cndmask_b32_e64 v4, v19, v21, s4
	v_cmp_u_f32_e64 s4, v12, v12
	v_add3_u32 v13, v13, v20, 0x7fff
	v_lshrrev_b32_e32 v58, 16, v4
	v_cndmask_b32_e64 v12, v22, v23, s4
	v_cmp_u_f32_e64 s4, v20, v20
	v_lshrrev_b32_e32 v46, 16, v12
	v_cndmask_b32_e64 v13, v13, v24, s4
	v_lshrrev_b32_e32 v47, 16, v13
	s_and_saveexec_b32 s12, vcc_lo
	s_cbranch_execz .LBB389_1063
; %bb.1062:                             ;   in Loop: Header=BB389_799 Depth=1
	v_cmp_lt_i32_e64 s4, v117, v35
	v_cndmask_b32_e64 v58, 0, v58, s4
	v_cmp_lt_i32_e64 s4, v43, v35
	v_cndmask_b32_e64 v59, 0, v59, s4
	;; [unrolled: 2-line block ×8, first 2 shown]
.LBB389_1063:                           ;   in Loop: Header=BB389_799 Depth=1
	s_or_b32 exec_lo, exec_lo, s12
	flat_load_dwordx2 v[19:20], v[17:18] offset:1024
	v_mov_b32_e32 v5, 0
	v_mov_b32_e32 v4, 0
	s_waitcnt vmcnt(0) lgkmcnt(0)
	v_cmp_ne_u16_sdwa s4, v19, v11 src0_sel:BYTE_0 src1_sel:DWORD
	s_and_saveexec_b32 s12, s4
	s_cbranch_execz .LBB389_1071
; %bb.1064:                             ;   in Loop: Header=BB389_799 Depth=1
	v_cmp_ne_u16_sdwa s4, v19, v64 src0_sel:BYTE_0 src1_sel:DWORD
	v_bfrev_b32_e32 v4, 1
	s_and_saveexec_b32 s13, s4
	s_cbranch_execz .LBB389_1070
; %bb.1065:                             ;   in Loop: Header=BB389_799 Depth=1
	v_and_b32_e32 v10, 0x7f, v19
	v_mov_b32_e32 v4, 0x7f800001
	s_mov_b32 s15, exec_lo
	v_cmpx_ne_u32_e32 0x7f, v10
	s_cbranch_execz .LBB389_1069
; %bb.1066:                             ;   in Loop: Header=BB389_799 Depth=1
	v_mov_b32_e32 v24, v20
	v_lshrrev_b32_e32 v4, 3, v10
	v_mov_b32_e32 v23, v19
	s_mov_b32 s18, exec_lo
	v_cmpx_gt_u32_e32 8, v10
; %bb.1067:                             ;   in Loop: Header=BB389_799 Depth=1
	v_and_b32_e32 v4, 7, v19
	v_ffbh_u32_e32 v4, v4
	v_min_u32_e32 v4, 32, v4
	v_subrev_nc_u32_e32 v10, 28, v4
	v_sub_nc_u32_e32 v4, 29, v4
	v_lshlrev_b64 v[23:24], v10, v[19:20]
; %bb.1068:                             ;   in Loop: Header=BB389_799 Depth=1
	s_or_b32 exec_lo, exec_lo, s18
	v_lshlrev_b32_e32 v10, 20, v23
	v_lshlrev_b32_e32 v12, 24, v19
	v_lshl_add_u32 v4, v4, 23, 0x3c000000
	v_and_b32_e32 v10, 0x700000, v10
	v_and_b32_e32 v12, 0x80000000, v12
	v_or3_b32 v4, v10, v12, v4
.LBB389_1069:                           ;   in Loop: Header=BB389_799 Depth=1
	s_or_b32 exec_lo, exec_lo, s15
.LBB389_1070:                           ;   in Loop: Header=BB389_799 Depth=1
	s_or_b32 exec_lo, exec_lo, s13
.LBB389_1071:                           ;   in Loop: Header=BB389_799 Depth=1
	s_or_b32 exec_lo, exec_lo, s12
	v_cmp_ne_u16_sdwa s4, v19, v11 src0_sel:BYTE_1 src1_sel:DWORD
	s_and_saveexec_b32 s12, s4
	s_cbranch_execz .LBB389_1079
; %bb.1072:                             ;   in Loop: Header=BB389_799 Depth=1
	v_cmp_ne_u16_sdwa s4, v19, v64 src0_sel:BYTE_1 src1_sel:DWORD
	v_bfrev_b32_e32 v5, 1
	s_and_saveexec_b32 s13, s4
	s_cbranch_execz .LBB389_1078
; %bb.1073:                             ;   in Loop: Header=BB389_799 Depth=1
	v_mov_b32_e32 v5, 0xffff
	s_mov_b32 s15, exec_lo
	v_and_b32_sdwa v10, v5, v19 dst_sel:DWORD dst_unused:UNUSED_PAD src0_sel:DWORD src1_sel:BYTE_1
	v_mov_b32_e32 v5, 0x7f800001
	v_and_b32_e32 v12, 0x7f, v10
	v_cmpx_ne_u32_e32 0x7f, v12
	s_cbranch_execz .LBB389_1077
; %bb.1074:                             ;   in Loop: Header=BB389_799 Depth=1
	v_and_b32_e32 v10, 7, v10
	v_lshrrev_b32_e32 v5, 3, v12
	s_mov_b32 s18, exec_lo
	v_cmpx_gt_u32_e32 8, v12
; %bb.1075:                             ;   in Loop: Header=BB389_799 Depth=1
	v_ffbh_u32_e32 v5, v10
	v_min_u32_e32 v5, 32, v5
	v_subrev_nc_u32_e32 v12, 28, v5
	v_sub_nc_u32_e32 v5, 29, v5
	v_lshlrev_b64 v[12:13], v12, v[10:11]
	v_and_b32_e32 v10, 7, v12
; %bb.1076:                             ;   in Loop: Header=BB389_799 Depth=1
	s_or_b32 exec_lo, exec_lo, s18
	v_lshlrev_b32_e32 v12, 16, v19
	v_lshlrev_b32_e32 v10, 20, v10
	v_lshl_add_u32 v5, v5, 23, 0x3c000000
	v_and_b32_e32 v12, 0x80000000, v12
	v_or3_b32 v5, v10, v12, v5
.LBB389_1077:                           ;   in Loop: Header=BB389_799 Depth=1
	s_or_b32 exec_lo, exec_lo, s15
.LBB389_1078:                           ;   in Loop: Header=BB389_799 Depth=1
	s_or_b32 exec_lo, exec_lo, s13
.LBB389_1079:                           ;   in Loop: Header=BB389_799 Depth=1
	s_or_b32 exec_lo, exec_lo, s12
	v_and_b32_sdwa v10, v19, v66 dst_sel:DWORD dst_unused:UNUSED_PAD src0_sel:WORD_1 src1_sel:DWORD
	v_mov_b32_e32 v13, 0
	v_mov_b32_e32 v12, 0
	s_mov_b32 s12, exec_lo
	v_cmpx_ne_u16_e32 0, v10
	s_cbranch_execz .LBB389_1087
; %bb.1080:                             ;   in Loop: Header=BB389_799 Depth=1
	v_bfrev_b32_e32 v12, 1
	s_mov_b32 s13, exec_lo
	v_cmpx_ne_u16_e32 0x80, v10
	s_cbranch_execz .LBB389_1086
; %bb.1081:                             ;   in Loop: Header=BB389_799 Depth=1
	v_bfe_u32 v21, v19, 16, 7
	v_mov_b32_e32 v12, 0x7f800001
	s_mov_b32 s15, exec_lo
	v_cmpx_ne_u32_e32 0x7f, v21
	s_cbranch_execz .LBB389_1085
; %bb.1082:                             ;   in Loop: Header=BB389_799 Depth=1
	v_mov_b32_e32 v10, 7
	v_lshrrev_b32_e32 v12, 3, v21
	s_mov_b32 s18, exec_lo
	v_and_b32_sdwa v10, v19, v10 dst_sel:DWORD dst_unused:UNUSED_PAD src0_sel:WORD_1 src1_sel:DWORD
	v_cmpx_gt_u32_e32 8, v21
; %bb.1083:                             ;   in Loop: Header=BB389_799 Depth=1
	v_ffbh_u32_e32 v12, v10
	v_min_u32_e32 v12, 32, v12
	v_subrev_nc_u32_e32 v21, 28, v12
	v_sub_nc_u32_e32 v12, 29, v12
	v_lshlrev_b64 v[21:22], v21, v[10:11]
	v_and_b32_e32 v10, 7, v21
; %bb.1084:                             ;   in Loop: Header=BB389_799 Depth=1
	s_or_b32 exec_lo, exec_lo, s18
	v_mov_b32_e32 v21, 24
	v_lshlrev_b32_e32 v10, 20, v10
	v_lshl_add_u32 v12, v12, 23, 0x3c000000
	v_lshlrev_b32_sdwa v21, v21, v19 dst_sel:DWORD dst_unused:UNUSED_PAD src0_sel:DWORD src1_sel:WORD_1
	v_and_b32_e32 v21, 0x80000000, v21
	v_or3_b32 v12, v10, v21, v12
.LBB389_1085:                           ;   in Loop: Header=BB389_799 Depth=1
	s_or_b32 exec_lo, exec_lo, s15
.LBB389_1086:                           ;   in Loop: Header=BB389_799 Depth=1
	s_or_b32 exec_lo, exec_lo, s13
.LBB389_1087:                           ;   in Loop: Header=BB389_799 Depth=1
	s_or_b32 exec_lo, exec_lo, s12
	s_mov_b32 s12, exec_lo
	v_cmpx_lt_u32_e32 0xffffff, v19
	s_cbranch_execz .LBB389_1095
; %bb.1088:                             ;   in Loop: Header=BB389_799 Depth=1
	v_cmp_ne_u32_sdwa s4, v19, v64 src0_sel:BYTE_3 src1_sel:DWORD
	v_bfrev_b32_e32 v13, 1
	s_and_saveexec_b32 s13, s4
	s_cbranch_execz .LBB389_1094
; %bb.1089:                             ;   in Loop: Header=BB389_799 Depth=1
	v_bfe_u32 v21, v19, 24, 7
	v_mov_b32_e32 v13, 0x7f800001
	s_mov_b32 s15, exec_lo
	v_cmpx_ne_u32_e32 0x7f, v21
	s_cbranch_execz .LBB389_1093
; %bb.1090:                             ;   in Loop: Header=BB389_799 Depth=1
	v_mov_b32_e32 v10, 7
	v_lshrrev_b32_e32 v13, 3, v21
	s_mov_b32 s18, exec_lo
	v_and_b32_sdwa v10, v19, v10 dst_sel:DWORD dst_unused:UNUSED_PAD src0_sel:BYTE_3 src1_sel:DWORD
	v_cmpx_gt_u32_e32 8, v21
; %bb.1091:                             ;   in Loop: Header=BB389_799 Depth=1
	v_ffbh_u32_e32 v13, v10
	v_min_u32_e32 v13, 32, v13
	v_subrev_nc_u32_e32 v21, 28, v13
	v_sub_nc_u32_e32 v13, 29, v13
	v_lshlrev_b64 v[21:22], v21, v[10:11]
	v_and_b32_e32 v10, 7, v21
; %bb.1092:                             ;   in Loop: Header=BB389_799 Depth=1
	s_or_b32 exec_lo, exec_lo, s18
	v_mov_b32_e32 v21, 24
	v_lshlrev_b32_e32 v10, 20, v10
	v_lshl_add_u32 v13, v13, 23, 0x3c000000
	v_lshlrev_b32_sdwa v21, v21, v19 dst_sel:DWORD dst_unused:UNUSED_PAD src0_sel:DWORD src1_sel:BYTE_3
	v_and_b32_e32 v21, 0x80000000, v21
	v_or3_b32 v13, v10, v21, v13
.LBB389_1093:                           ;   in Loop: Header=BB389_799 Depth=1
	s_or_b32 exec_lo, exec_lo, s15
.LBB389_1094:                           ;   in Loop: Header=BB389_799 Depth=1
	s_or_b32 exec_lo, exec_lo, s13
.LBB389_1095:                           ;   in Loop: Header=BB389_799 Depth=1
	s_or_b32 exec_lo, exec_lo, s12
	v_mov_b32_e32 v10, v20
	v_cmp_ne_u16_sdwa s4, v20, v11 src0_sel:BYTE_0 src1_sel:DWORD
	v_mov_b32_e32 v22, 0
	v_mov_b32_e32 v21, 0
	s_and_saveexec_b32 s12, s4
	s_cbranch_execz .LBB389_1103
; %bb.1096:                             ;   in Loop: Header=BB389_799 Depth=1
	v_cmp_ne_u16_sdwa s4, v20, v64 src0_sel:BYTE_0 src1_sel:DWORD
	v_bfrev_b32_e32 v21, 1
	s_and_saveexec_b32 s13, s4
	s_cbranch_execz .LBB389_1102
; %bb.1097:                             ;   in Loop: Header=BB389_799 Depth=1
	v_and_b32_e32 v23, 0x7f, v20
	v_mov_b32_e32 v21, 0x7f800001
	s_mov_b32 s15, exec_lo
	v_cmpx_ne_u32_e32 0x7f, v23
	s_cbranch_execz .LBB389_1101
; %bb.1098:                             ;   in Loop: Header=BB389_799 Depth=1
	v_lshrrev_b32_e32 v21, 3, v23
	v_cmp_gt_u32_e64 s4, 8, v23
	v_mov_b32_e32 v24, v11
	v_mov_b32_e32 v23, v10
	s_and_saveexec_b32 s18, s4
; %bb.1099:                             ;   in Loop: Header=BB389_799 Depth=1
	v_and_b32_e32 v21, 7, v20
	v_ffbh_u32_e32 v21, v21
	v_min_u32_e32 v21, 32, v21
	v_subrev_nc_u32_e32 v23, 28, v21
	v_sub_nc_u32_e32 v21, 29, v21
	v_lshlrev_b64 v[23:24], v23, v[10:11]
; %bb.1100:                             ;   in Loop: Header=BB389_799 Depth=1
	s_or_b32 exec_lo, exec_lo, s18
	v_lshlrev_b32_e32 v23, 20, v23
	v_lshlrev_b32_e32 v24, 24, v10
	v_lshl_add_u32 v21, v21, 23, 0x3c000000
	v_and_b32_e32 v23, 0x700000, v23
	v_and_b32_e32 v24, 0x80000000, v24
	v_or3_b32 v21, v23, v24, v21
.LBB389_1101:                           ;   in Loop: Header=BB389_799 Depth=1
	s_or_b32 exec_lo, exec_lo, s15
.LBB389_1102:                           ;   in Loop: Header=BB389_799 Depth=1
	s_or_b32 exec_lo, exec_lo, s13
.LBB389_1103:                           ;   in Loop: Header=BB389_799 Depth=1
	s_or_b32 exec_lo, exec_lo, s12
	v_cmp_ne_u16_sdwa s4, v10, v11 src0_sel:BYTE_1 src1_sel:DWORD
	s_and_saveexec_b32 s12, s4
	s_cbranch_execz .LBB389_1111
; %bb.1104:                             ;   in Loop: Header=BB389_799 Depth=1
	v_cmp_ne_u16_sdwa s4, v10, v64 src0_sel:BYTE_1 src1_sel:DWORD
	v_bfrev_b32_e32 v22, 1
	s_and_saveexec_b32 s13, s4
	s_cbranch_execz .LBB389_1110
; %bb.1105:                             ;   in Loop: Header=BB389_799 Depth=1
	v_mov_b32_e32 v22, 0xffff
	s_mov_b32 s15, exec_lo
	v_and_b32_sdwa v23, v22, v10 dst_sel:DWORD dst_unused:UNUSED_PAD src0_sel:DWORD src1_sel:BYTE_1
	v_mov_b32_e32 v22, 0x7f800001
	v_and_b32_e32 v25, 0x7f, v23
	v_cmpx_ne_u32_e32 0x7f, v25
	s_cbranch_execz .LBB389_1109
; %bb.1106:                             ;   in Loop: Header=BB389_799 Depth=1
	v_and_b32_e32 v23, 7, v23
	v_mov_b32_e32 v24, v11
	v_lshrrev_b32_e32 v22, 3, v25
	s_mov_b32 s18, exec_lo
	v_cmpx_gt_u32_e32 8, v25
; %bb.1107:                             ;   in Loop: Header=BB389_799 Depth=1
	v_ffbh_u32_e32 v22, v23
	v_min_u32_e32 v22, 32, v22
	v_subrev_nc_u32_e32 v25, 28, v22
	v_sub_nc_u32_e32 v22, 29, v22
	v_lshlrev_b64 v[23:24], v25, v[23:24]
	v_and_b32_e32 v23, 7, v23
; %bb.1108:                             ;   in Loop: Header=BB389_799 Depth=1
	s_or_b32 exec_lo, exec_lo, s18
	v_lshlrev_b32_e32 v10, 16, v10
	v_lshlrev_b32_e32 v23, 20, v23
	v_lshl_add_u32 v22, v22, 23, 0x3c000000
	v_and_b32_e32 v10, 0x80000000, v10
	v_or3_b32 v22, v23, v10, v22
.LBB389_1109:                           ;   in Loop: Header=BB389_799 Depth=1
	s_or_b32 exec_lo, exec_lo, s15
.LBB389_1110:                           ;   in Loop: Header=BB389_799 Depth=1
	s_or_b32 exec_lo, exec_lo, s13
.LBB389_1111:                           ;   in Loop: Header=BB389_799 Depth=1
	s_or_b32 exec_lo, exec_lo, s12
	v_and_b32_sdwa v10, v20, v66 dst_sel:DWORD dst_unused:UNUSED_PAD src0_sel:WORD_1 src1_sel:DWORD
	v_mov_b32_e32 v25, 0
	v_mov_b32_e32 v27, 0
	s_mov_b32 s12, exec_lo
	v_cmpx_ne_u16_e32 0, v10
	s_cbranch_execz .LBB389_1119
; %bb.1112:                             ;   in Loop: Header=BB389_799 Depth=1
	v_bfrev_b32_e32 v27, 1
	s_mov_b32 s13, exec_lo
	v_cmpx_ne_u16_e32 0x80, v10
	s_cbranch_execz .LBB389_1118
; %bb.1113:                             ;   in Loop: Header=BB389_799 Depth=1
	v_bfe_u32 v23, v20, 16, 7
	v_mov_b32_e32 v27, 0x7f800001
	s_mov_b32 s15, exec_lo
	v_cmpx_ne_u32_e32 0x7f, v23
	s_cbranch_execz .LBB389_1117
; %bb.1114:                             ;   in Loop: Header=BB389_799 Depth=1
	v_mov_b32_e32 v10, 7
	v_lshrrev_b32_e32 v27, 3, v23
	v_cmp_gt_u32_e64 s4, 8, v23
	v_and_b32_sdwa v10, v20, v10 dst_sel:DWORD dst_unused:UNUSED_PAD src0_sel:WORD_1 src1_sel:DWORD
	v_mov_b32_e32 v24, v11
	v_mov_b32_e32 v23, v10
	s_and_saveexec_b32 s18, s4
; %bb.1115:                             ;   in Loop: Header=BB389_799 Depth=1
	v_ffbh_u32_e32 v23, v10
	v_min_u32_e32 v27, 32, v23
	v_subrev_nc_u32_e32 v23, 28, v27
	v_sub_nc_u32_e32 v27, 29, v27
	v_lshlrev_b64 v[23:24], v23, v[10:11]
	v_and_b32_e32 v23, 7, v23
; %bb.1116:                             ;   in Loop: Header=BB389_799 Depth=1
	s_or_b32 exec_lo, exec_lo, s18
	v_mov_b32_e32 v10, 24
	v_lshlrev_b32_e32 v23, 20, v23
	v_lshl_add_u32 v24, v27, 23, 0x3c000000
	v_lshlrev_b32_sdwa v10, v10, v20 dst_sel:DWORD dst_unused:UNUSED_PAD src0_sel:DWORD src1_sel:WORD_1
	v_and_b32_e32 v10, 0x80000000, v10
	v_or3_b32 v27, v23, v10, v24
.LBB389_1117:                           ;   in Loop: Header=BB389_799 Depth=1
	s_or_b32 exec_lo, exec_lo, s15
.LBB389_1118:                           ;   in Loop: Header=BB389_799 Depth=1
	s_or_b32 exec_lo, exec_lo, s13
.LBB389_1119:                           ;   in Loop: Header=BB389_799 Depth=1
	s_or_b32 exec_lo, exec_lo, s12
	s_mov_b32 s12, exec_lo
	v_cmpx_lt_u64_e64 s[8:9], v[19:20]
	s_cbranch_execz .LBB389_1127
; %bb.1120:                             ;   in Loop: Header=BB389_799 Depth=1
	v_cmp_ne_u32_sdwa s4, v20, v64 src0_sel:BYTE_3 src1_sel:DWORD
	v_bfrev_b32_e32 v25, 1
	s_and_saveexec_b32 s13, s4
	s_cbranch_execz .LBB389_1126
; %bb.1121:                             ;   in Loop: Header=BB389_799 Depth=1
	v_bfe_u32 v23, v20, 24, 7
	v_mov_b32_e32 v25, 0x7f800001
	s_mov_b32 s15, exec_lo
	v_cmpx_ne_u32_e32 0x7f, v23
	s_cbranch_execz .LBB389_1125
; %bb.1122:                             ;   in Loop: Header=BB389_799 Depth=1
	v_mov_b32_e32 v10, 7
	v_lshrrev_b32_e32 v19, 3, v23
	v_cmp_gt_u32_e64 s4, 8, v23
	v_and_b32_sdwa v10, v20, v10 dst_sel:DWORD dst_unused:UNUSED_PAD src0_sel:BYTE_3 src1_sel:DWORD
	v_mov_b32_e32 v24, v11
	v_mov_b32_e32 v23, v10
	s_and_saveexec_b32 s18, s4
; %bb.1123:                             ;   in Loop: Header=BB389_799 Depth=1
	v_ffbh_u32_e32 v19, v10
	v_min_u32_e32 v19, 32, v19
	v_subrev_nc_u32_e32 v23, 28, v19
	v_sub_nc_u32_e32 v19, 29, v19
	v_lshlrev_b64 v[23:24], v23, v[10:11]
	v_and_b32_e32 v23, 7, v23
; %bb.1124:                             ;   in Loop: Header=BB389_799 Depth=1
	s_or_b32 exec_lo, exec_lo, s18
	v_mov_b32_e32 v10, 24
	v_lshl_add_u32 v19, v19, 23, 0x3c000000
	v_lshlrev_b32_sdwa v10, v10, v20 dst_sel:DWORD dst_unused:UNUSED_PAD src0_sel:DWORD src1_sel:BYTE_3
	v_lshlrev_b32_e32 v20, 20, v23
	v_and_b32_e32 v10, 0x80000000, v10
	v_or3_b32 v25, v20, v10, v19
.LBB389_1125:                           ;   in Loop: Header=BB389_799 Depth=1
	s_or_b32 exec_lo, exec_lo, s15
.LBB389_1126:                           ;   in Loop: Header=BB389_799 Depth=1
	s_or_b32 exec_lo, exec_lo, s13
.LBB389_1127:                           ;   in Loop: Header=BB389_799 Depth=1
	s_or_b32 exec_lo, exec_lo, s12
	v_mul_f32_e32 v10, v26, v22
	v_mul_f32_e32 v19, v26, v21
	;; [unrolled: 1-line block ×5, first 2 shown]
	v_bfe_u32 v20, v10, 16, 1
	v_or_b32_e32 v21, 0x400000, v10
	v_bfe_u32 v22, v19, 16, 1
	v_cmp_u_f32_e64 s4, v10, v10
	v_or_b32_e32 v23, 0x400000, v19
	v_add3_u32 v20, v20, v10, 0x7fff
	v_bfe_u32 v24, v13, 16, 1
	v_add3_u32 v22, v22, v19, 0x7fff
	v_or_b32_e32 v28, 0x400000, v13
	v_bfe_u32 v34, v12, 16, 1
	v_cndmask_b32_e64 v10, v20, v21, s4
	v_cmp_u_f32_e64 s4, v19, v19
	v_add3_u32 v24, v24, v13, 0x7fff
	v_or_b32_e32 v21, 0x400000, v12
	v_add3_u32 v20, v34, v12, 0x7fff
	v_cndmask_b32_e64 v19, v22, v23, s4
	v_cmp_u_f32_e64 s4, v13, v13
	v_lshrrev_b32_e32 v22, 16, v10
	v_mul_f32_e32 v10, v26, v5
	v_bfe_u32 v23, v4, 16, 1
	v_lshrrev_b32_e32 v5, 16, v19
	v_cndmask_b32_e64 v13, v24, v28, s4
	v_cmp_u_f32_e64 s4, v12, v12
	v_mul_f32_e32 v19, v26, v27
	v_lshrrev_b32_e32 v36, 16, v13
	v_bfe_u32 v13, v10, 16, 1
	v_cndmask_b32_e64 v12, v20, v21, s4
	v_or_b32_e32 v20, 0x400000, v10
	v_cmp_u_f32_e64 s4, v10, v10
	v_mul_f32_e32 v21, v26, v25
	v_add3_u32 v13, v13, v10, 0x7fff
	v_bfe_u32 v24, v19, 16, 1
	v_or_b32_e32 v25, 0x400000, v19
	v_lshrrev_b32_e32 v37, 16, v12
	v_or_b32_e32 v27, 0x400000, v21
	v_cndmask_b32_e64 v10, v13, v20, s4
	v_add3_u32 v20, v23, v4, 0x7fff
	v_or_b32_e32 v23, 0x400000, v4
	v_cmp_u_f32_e64 s4, v4, v4
	v_bfe_u32 v13, v21, 16, 1
	v_add3_u32 v24, v24, v19, 0x7fff
	v_lshrrev_b32_e32 v60, 16, v10
	v_cndmask_b32_e64 v4, v20, v23, s4
	v_cmp_u_f32_e64 s4, v19, v19
	v_add3_u32 v13, v13, v21, 0x7fff
	v_lshrrev_b32_e32 v38, 16, v4
	v_cndmask_b32_e64 v19, v24, v25, s4
	v_cmp_u_f32_e64 s4, v21, v21
	v_cndmask_b32_e64 v13, v13, v27, s4
	v_lshrrev_b32_e32 v27, 16, v19
	v_lshrrev_b32_e32 v34, 16, v13
	s_and_saveexec_b32 s12, vcc_lo
	s_cbranch_execz .LBB389_1129
; %bb.1128:                             ;   in Loop: Header=BB389_799 Depth=1
	v_cmp_lt_i32_e64 s4, v117, v35
	v_cndmask_b32_e64 v38, 0, v38, s4
	v_cmp_lt_i32_e64 s4, v43, v35
	v_cndmask_b32_e64 v60, 0, v60, s4
	;; [unrolled: 2-line block ×8, first 2 shown]
.LBB389_1129:                           ;   in Loop: Header=BB389_799 Depth=1
	s_or_b32 exec_lo, exec_lo, s12
	flat_load_dwordx2 v[19:20], v[17:18] offset:1280
	v_mov_b32_e32 v12, 0
	v_mov_b32_e32 v4, 0
	s_waitcnt vmcnt(0) lgkmcnt(0)
	v_cmp_ne_u16_sdwa s4, v19, v11 src0_sel:BYTE_0 src1_sel:DWORD
	s_and_saveexec_b32 s12, s4
	s_cbranch_execz .LBB389_1137
; %bb.1130:                             ;   in Loop: Header=BB389_799 Depth=1
	v_cmp_ne_u16_sdwa s4, v19, v64 src0_sel:BYTE_0 src1_sel:DWORD
	v_bfrev_b32_e32 v4, 1
	s_and_saveexec_b32 s13, s4
	s_cbranch_execz .LBB389_1136
; %bb.1131:                             ;   in Loop: Header=BB389_799 Depth=1
	v_and_b32_e32 v10, 0x7f, v19
	v_mov_b32_e32 v4, 0x7f800001
	s_mov_b32 s15, exec_lo
	v_cmpx_ne_u32_e32 0x7f, v10
	s_cbranch_execz .LBB389_1135
; %bb.1132:                             ;   in Loop: Header=BB389_799 Depth=1
	v_mov_b32_e32 v24, v20
	v_lshrrev_b32_e32 v4, 3, v10
	v_mov_b32_e32 v23, v19
	s_mov_b32 s18, exec_lo
	v_cmpx_gt_u32_e32 8, v10
; %bb.1133:                             ;   in Loop: Header=BB389_799 Depth=1
	v_and_b32_e32 v4, 7, v19
	v_ffbh_u32_e32 v4, v4
	v_min_u32_e32 v4, 32, v4
	v_subrev_nc_u32_e32 v10, 28, v4
	v_sub_nc_u32_e32 v4, 29, v4
	v_lshlrev_b64 v[23:24], v10, v[19:20]
; %bb.1134:                             ;   in Loop: Header=BB389_799 Depth=1
	s_or_b32 exec_lo, exec_lo, s18
	v_lshlrev_b32_e32 v10, 20, v23
	v_lshlrev_b32_e32 v13, 24, v19
	v_lshl_add_u32 v4, v4, 23, 0x3c000000
	v_and_b32_e32 v10, 0x700000, v10
	v_and_b32_e32 v13, 0x80000000, v13
	v_or3_b32 v4, v10, v13, v4
.LBB389_1135:                           ;   in Loop: Header=BB389_799 Depth=1
	s_or_b32 exec_lo, exec_lo, s15
.LBB389_1136:                           ;   in Loop: Header=BB389_799 Depth=1
	s_or_b32 exec_lo, exec_lo, s13
.LBB389_1137:                           ;   in Loop: Header=BB389_799 Depth=1
	s_or_b32 exec_lo, exec_lo, s12
	v_cmp_ne_u16_sdwa s4, v19, v11 src0_sel:BYTE_1 src1_sel:DWORD
	s_and_saveexec_b32 s12, s4
	s_cbranch_execz .LBB389_1145
; %bb.1138:                             ;   in Loop: Header=BB389_799 Depth=1
	v_cmp_ne_u16_sdwa s4, v19, v64 src0_sel:BYTE_1 src1_sel:DWORD
	v_bfrev_b32_e32 v12, 1
	s_and_saveexec_b32 s13, s4
	s_cbranch_execz .LBB389_1144
; %bb.1139:                             ;   in Loop: Header=BB389_799 Depth=1
	v_mov_b32_e32 v10, 0xffff
	v_mov_b32_e32 v12, 0x7f800001
	s_mov_b32 s15, exec_lo
	v_and_b32_sdwa v10, v10, v19 dst_sel:DWORD dst_unused:UNUSED_PAD src0_sel:DWORD src1_sel:BYTE_1
	v_and_b32_e32 v13, 0x7f, v10
	v_cmpx_ne_u32_e32 0x7f, v13
	s_cbranch_execz .LBB389_1143
; %bb.1140:                             ;   in Loop: Header=BB389_799 Depth=1
	v_and_b32_e32 v10, 7, v10
	v_mov_b32_e32 v24, v11
	v_lshrrev_b32_e32 v12, 3, v13
	s_mov_b32 s18, exec_lo
	v_mov_b32_e32 v23, v10
	v_cmpx_gt_u32_e32 8, v13
; %bb.1141:                             ;   in Loop: Header=BB389_799 Depth=1
	v_ffbh_u32_e32 v12, v10
	v_min_u32_e32 v12, 32, v12
	v_subrev_nc_u32_e32 v13, 28, v12
	v_sub_nc_u32_e32 v12, 29, v12
	v_lshlrev_b64 v[23:24], v13, v[10:11]
	v_and_b32_e32 v23, 7, v23
; %bb.1142:                             ;   in Loop: Header=BB389_799 Depth=1
	s_or_b32 exec_lo, exec_lo, s18
	v_lshlrev_b32_e32 v10, 16, v19
	v_lshlrev_b32_e32 v13, 20, v23
	v_lshl_add_u32 v12, v12, 23, 0x3c000000
	v_and_b32_e32 v10, 0x80000000, v10
	v_or3_b32 v12, v13, v10, v12
.LBB389_1143:                           ;   in Loop: Header=BB389_799 Depth=1
	s_or_b32 exec_lo, exec_lo, s15
.LBB389_1144:                           ;   in Loop: Header=BB389_799 Depth=1
	s_or_b32 exec_lo, exec_lo, s13
.LBB389_1145:                           ;   in Loop: Header=BB389_799 Depth=1
	s_or_b32 exec_lo, exec_lo, s12
	v_and_b32_sdwa v10, v19, v66 dst_sel:DWORD dst_unused:UNUSED_PAD src0_sel:WORD_1 src1_sel:DWORD
	v_mov_b32_e32 v21, 0
	v_mov_b32_e32 v13, 0
	s_mov_b32 s12, exec_lo
	v_cmpx_ne_u16_e32 0, v10
	s_cbranch_execz .LBB389_1153
; %bb.1146:                             ;   in Loop: Header=BB389_799 Depth=1
	v_bfrev_b32_e32 v13, 1
	s_mov_b32 s13, exec_lo
	v_cmpx_ne_u16_e32 0x80, v10
	s_cbranch_execz .LBB389_1152
; %bb.1147:                             ;   in Loop: Header=BB389_799 Depth=1
	v_bfe_u32 v23, v19, 16, 7
	v_mov_b32_e32 v13, 0x7f800001
	s_mov_b32 s15, exec_lo
	v_cmpx_ne_u32_e32 0x7f, v23
	s_cbranch_execz .LBB389_1151
; %bb.1148:                             ;   in Loop: Header=BB389_799 Depth=1
	v_mov_b32_e32 v10, 7
	v_lshrrev_b32_e32 v13, 3, v23
	v_cmp_gt_u32_e64 s4, 8, v23
	v_and_b32_sdwa v10, v19, v10 dst_sel:DWORD dst_unused:UNUSED_PAD src0_sel:WORD_1 src1_sel:DWORD
	v_mov_b32_e32 v24, v11
	v_mov_b32_e32 v23, v10
	s_and_saveexec_b32 s18, s4
; %bb.1149:                             ;   in Loop: Header=BB389_799 Depth=1
	v_ffbh_u32_e32 v13, v10
	v_min_u32_e32 v13, 32, v13
	v_subrev_nc_u32_e32 v23, 28, v13
	v_sub_nc_u32_e32 v13, 29, v13
	v_lshlrev_b64 v[23:24], v23, v[10:11]
	v_and_b32_e32 v23, 7, v23
; %bb.1150:                             ;   in Loop: Header=BB389_799 Depth=1
	s_or_b32 exec_lo, exec_lo, s18
	v_mov_b32_e32 v10, 24
	v_lshlrev_b32_e32 v23, 20, v23
	v_lshl_add_u32 v13, v13, 23, 0x3c000000
	v_lshlrev_b32_sdwa v10, v10, v19 dst_sel:DWORD dst_unused:UNUSED_PAD src0_sel:DWORD src1_sel:WORD_1
	v_and_b32_e32 v10, 0x80000000, v10
	v_or3_b32 v13, v23, v10, v13
.LBB389_1151:                           ;   in Loop: Header=BB389_799 Depth=1
	s_or_b32 exec_lo, exec_lo, s15
.LBB389_1152:                           ;   in Loop: Header=BB389_799 Depth=1
	s_or_b32 exec_lo, exec_lo, s13
.LBB389_1153:                           ;   in Loop: Header=BB389_799 Depth=1
	s_or_b32 exec_lo, exec_lo, s12
	s_mov_b32 s12, exec_lo
	v_cmpx_lt_u32_e32 0xffffff, v19
	s_cbranch_execz .LBB389_1161
; %bb.1154:                             ;   in Loop: Header=BB389_799 Depth=1
	v_cmp_ne_u32_sdwa s4, v19, v64 src0_sel:BYTE_3 src1_sel:DWORD
	v_bfrev_b32_e32 v21, 1
	s_and_saveexec_b32 s13, s4
	s_cbranch_execz .LBB389_1160
; %bb.1155:                             ;   in Loop: Header=BB389_799 Depth=1
	v_bfe_u32 v23, v19, 24, 7
	v_mov_b32_e32 v21, 0x7f800001
	s_mov_b32 s15, exec_lo
	v_cmpx_ne_u32_e32 0x7f, v23
	s_cbranch_execz .LBB389_1159
; %bb.1156:                             ;   in Loop: Header=BB389_799 Depth=1
	v_mov_b32_e32 v10, 7
	v_lshrrev_b32_e32 v21, 3, v23
	v_cmp_gt_u32_e64 s4, 8, v23
	v_and_b32_sdwa v10, v19, v10 dst_sel:DWORD dst_unused:UNUSED_PAD src0_sel:BYTE_3 src1_sel:DWORD
	v_mov_b32_e32 v24, v11
	v_mov_b32_e32 v23, v10
	s_and_saveexec_b32 s18, s4
; %bb.1157:                             ;   in Loop: Header=BB389_799 Depth=1
	v_ffbh_u32_e32 v21, v10
	v_min_u32_e32 v21, 32, v21
	v_subrev_nc_u32_e32 v23, 28, v21
	v_sub_nc_u32_e32 v21, 29, v21
	v_lshlrev_b64 v[23:24], v23, v[10:11]
	v_and_b32_e32 v23, 7, v23
; %bb.1158:                             ;   in Loop: Header=BB389_799 Depth=1
	s_or_b32 exec_lo, exec_lo, s18
	v_mov_b32_e32 v10, 24
	v_lshlrev_b32_e32 v23, 20, v23
	v_lshl_add_u32 v21, v21, 23, 0x3c000000
	v_lshlrev_b32_sdwa v10, v10, v19 dst_sel:DWORD dst_unused:UNUSED_PAD src0_sel:DWORD src1_sel:BYTE_3
	v_and_b32_e32 v10, 0x80000000, v10
	v_or3_b32 v21, v23, v10, v21
.LBB389_1159:                           ;   in Loop: Header=BB389_799 Depth=1
	s_or_b32 exec_lo, exec_lo, s15
.LBB389_1160:                           ;   in Loop: Header=BB389_799 Depth=1
	s_or_b32 exec_lo, exec_lo, s13
.LBB389_1161:                           ;   in Loop: Header=BB389_799 Depth=1
	s_or_b32 exec_lo, exec_lo, s12
	v_mov_b32_e32 v10, v20
	v_cmp_ne_u16_sdwa s4, v20, v11 src0_sel:BYTE_0 src1_sel:DWORD
	v_mov_b32_e32 v28, 0
	v_mov_b32_e32 v25, 0
	s_and_saveexec_b32 s12, s4
	s_cbranch_execz .LBB389_1169
; %bb.1162:                             ;   in Loop: Header=BB389_799 Depth=1
	v_cmp_ne_u16_sdwa s4, v20, v64 src0_sel:BYTE_0 src1_sel:DWORD
	v_bfrev_b32_e32 v25, 1
	s_and_saveexec_b32 s13, s4
	s_cbranch_execz .LBB389_1168
; %bb.1163:                             ;   in Loop: Header=BB389_799 Depth=1
	v_and_b32_e32 v23, 0x7f, v20
	v_mov_b32_e32 v25, 0x7f800001
	s_mov_b32 s15, exec_lo
	v_cmpx_ne_u32_e32 0x7f, v23
	s_cbranch_execz .LBB389_1167
; %bb.1164:                             ;   in Loop: Header=BB389_799 Depth=1
	v_lshrrev_b32_e32 v25, 3, v23
	v_cmp_gt_u32_e64 s4, 8, v23
	v_mov_b32_e32 v24, v11
	v_mov_b32_e32 v23, v10
	s_and_saveexec_b32 s18, s4
; %bb.1165:                             ;   in Loop: Header=BB389_799 Depth=1
	v_and_b32_e32 v23, 7, v20
	v_ffbh_u32_e32 v23, v23
	v_min_u32_e32 v25, 32, v23
	v_subrev_nc_u32_e32 v23, 28, v25
	v_sub_nc_u32_e32 v25, 29, v25
	v_lshlrev_b64 v[23:24], v23, v[10:11]
; %bb.1166:                             ;   in Loop: Header=BB389_799 Depth=1
	s_or_b32 exec_lo, exec_lo, s18
	v_lshlrev_b32_e32 v23, 20, v23
	v_lshlrev_b32_e32 v24, 24, v10
	v_lshl_add_u32 v25, v25, 23, 0x3c000000
	v_and_b32_e32 v23, 0x700000, v23
	v_and_b32_e32 v24, 0x80000000, v24
	v_or3_b32 v25, v23, v24, v25
.LBB389_1167:                           ;   in Loop: Header=BB389_799 Depth=1
	s_or_b32 exec_lo, exec_lo, s15
.LBB389_1168:                           ;   in Loop: Header=BB389_799 Depth=1
	s_or_b32 exec_lo, exec_lo, s13
.LBB389_1169:                           ;   in Loop: Header=BB389_799 Depth=1
	s_or_b32 exec_lo, exec_lo, s12
	v_cmp_ne_u16_sdwa s4, v10, v11 src0_sel:BYTE_1 src1_sel:DWORD
	s_and_saveexec_b32 s12, s4
	s_cbranch_execz .LBB389_1177
; %bb.1170:                             ;   in Loop: Header=BB389_799 Depth=1
	v_cmp_ne_u16_sdwa s4, v10, v64 src0_sel:BYTE_1 src1_sel:DWORD
	v_bfrev_b32_e32 v28, 1
	s_and_saveexec_b32 s13, s4
	s_cbranch_execz .LBB389_1176
; %bb.1171:                             ;   in Loop: Header=BB389_799 Depth=1
	v_mov_b32_e32 v23, 0xffff
	v_mov_b32_e32 v28, 0x7f800001
	s_mov_b32 s15, exec_lo
	v_and_b32_sdwa v23, v23, v10 dst_sel:DWORD dst_unused:UNUSED_PAD src0_sel:DWORD src1_sel:BYTE_1
	v_and_b32_e32 v65, 0x7f, v23
	v_cmpx_ne_u32_e32 0x7f, v65
	s_cbranch_execz .LBB389_1175
; %bb.1172:                             ;   in Loop: Header=BB389_799 Depth=1
	v_and_b32_e32 v23, 7, v23
	v_mov_b32_e32 v24, v11
	v_lshrrev_b32_e32 v28, 3, v65
	s_mov_b32 s18, exec_lo
	v_cmpx_gt_u32_e32 8, v65
; %bb.1173:                             ;   in Loop: Header=BB389_799 Depth=1
	v_ffbh_u32_e32 v28, v23
	v_min_u32_e32 v28, 32, v28
	v_subrev_nc_u32_e32 v65, 28, v28
	v_sub_nc_u32_e32 v28, 29, v28
	v_lshlrev_b64 v[23:24], v65, v[23:24]
	v_and_b32_e32 v23, 7, v23
; %bb.1174:                             ;   in Loop: Header=BB389_799 Depth=1
	s_or_b32 exec_lo, exec_lo, s18
	v_lshlrev_b32_e32 v10, 16, v10
	v_lshlrev_b32_e32 v23, 20, v23
	v_lshl_add_u32 v24, v28, 23, 0x3c000000
	v_and_b32_e32 v10, 0x80000000, v10
	v_or3_b32 v28, v23, v10, v24
.LBB389_1175:                           ;   in Loop: Header=BB389_799 Depth=1
	s_or_b32 exec_lo, exec_lo, s15
.LBB389_1176:                           ;   in Loop: Header=BB389_799 Depth=1
	s_or_b32 exec_lo, exec_lo, s13
.LBB389_1177:                           ;   in Loop: Header=BB389_799 Depth=1
	s_or_b32 exec_lo, exec_lo, s12
	v_and_b32_sdwa v10, v20, v66 dst_sel:DWORD dst_unused:UNUSED_PAD src0_sel:WORD_1 src1_sel:DWORD
	v_mov_b32_e32 v65, 0
	v_mov_b32_e32 v67, 0
	s_mov_b32 s12, exec_lo
	v_cmpx_ne_u16_e32 0, v10
	s_cbranch_execz .LBB389_1185
; %bb.1178:                             ;   in Loop: Header=BB389_799 Depth=1
	v_bfrev_b32_e32 v67, 1
	s_mov_b32 s13, exec_lo
	v_cmpx_ne_u16_e32 0x80, v10
	s_cbranch_execz .LBB389_1184
; %bb.1179:                             ;   in Loop: Header=BB389_799 Depth=1
	v_bfe_u32 v23, v20, 16, 7
	v_mov_b32_e32 v67, 0x7f800001
	s_mov_b32 s15, exec_lo
	v_cmpx_ne_u32_e32 0x7f, v23
	s_cbranch_execz .LBB389_1183
; %bb.1180:                             ;   in Loop: Header=BB389_799 Depth=1
	v_mov_b32_e32 v10, 7
	v_lshrrev_b32_e32 v67, 3, v23
	v_cmp_gt_u32_e64 s4, 8, v23
	v_and_b32_sdwa v10, v20, v10 dst_sel:DWORD dst_unused:UNUSED_PAD src0_sel:WORD_1 src1_sel:DWORD
	v_mov_b32_e32 v24, v11
	v_mov_b32_e32 v23, v10
	s_and_saveexec_b32 s18, s4
; %bb.1181:                             ;   in Loop: Header=BB389_799 Depth=1
	v_ffbh_u32_e32 v23, v10
	v_min_u32_e32 v67, 32, v23
	v_subrev_nc_u32_e32 v23, 28, v67
	v_sub_nc_u32_e32 v67, 29, v67
	v_lshlrev_b64 v[23:24], v23, v[10:11]
	v_and_b32_e32 v23, 7, v23
; %bb.1182:                             ;   in Loop: Header=BB389_799 Depth=1
	s_or_b32 exec_lo, exec_lo, s18
	v_mov_b32_e32 v10, 24
	v_lshlrev_b32_e32 v23, 20, v23
	v_lshl_add_u32 v24, v67, 23, 0x3c000000
	v_lshlrev_b32_sdwa v10, v10, v20 dst_sel:DWORD dst_unused:UNUSED_PAD src0_sel:DWORD src1_sel:WORD_1
	v_and_b32_e32 v10, 0x80000000, v10
	v_or3_b32 v67, v23, v10, v24
.LBB389_1183:                           ;   in Loop: Header=BB389_799 Depth=1
	s_or_b32 exec_lo, exec_lo, s15
.LBB389_1184:                           ;   in Loop: Header=BB389_799 Depth=1
	s_or_b32 exec_lo, exec_lo, s13
.LBB389_1185:                           ;   in Loop: Header=BB389_799 Depth=1
	s_or_b32 exec_lo, exec_lo, s12
	s_mov_b32 s12, exec_lo
	v_cmpx_lt_u64_e64 s[8:9], v[19:20]
	s_cbranch_execz .LBB389_1193
; %bb.1186:                             ;   in Loop: Header=BB389_799 Depth=1
	v_cmp_ne_u32_sdwa s4, v20, v64 src0_sel:BYTE_3 src1_sel:DWORD
	v_bfrev_b32_e32 v65, 1
	s_and_saveexec_b32 s13, s4
	s_cbranch_execz .LBB389_1192
; %bb.1187:                             ;   in Loop: Header=BB389_799 Depth=1
	v_bfe_u32 v23, v20, 24, 7
	v_mov_b32_e32 v65, 0x7f800001
	s_mov_b32 s15, exec_lo
	v_cmpx_ne_u32_e32 0x7f, v23
	s_cbranch_execz .LBB389_1191
; %bb.1188:                             ;   in Loop: Header=BB389_799 Depth=1
	v_mov_b32_e32 v10, 7
	v_lshrrev_b32_e32 v19, 3, v23
	v_cmp_gt_u32_e64 s4, 8, v23
	v_and_b32_sdwa v10, v20, v10 dst_sel:DWORD dst_unused:UNUSED_PAD src0_sel:BYTE_3 src1_sel:DWORD
	v_mov_b32_e32 v24, v11
	v_mov_b32_e32 v23, v10
	s_and_saveexec_b32 s18, s4
; %bb.1189:                             ;   in Loop: Header=BB389_799 Depth=1
	v_ffbh_u32_e32 v19, v10
	v_min_u32_e32 v19, 32, v19
	v_subrev_nc_u32_e32 v23, 28, v19
	v_sub_nc_u32_e32 v19, 29, v19
	v_lshlrev_b64 v[23:24], v23, v[10:11]
	v_and_b32_e32 v23, 7, v23
; %bb.1190:                             ;   in Loop: Header=BB389_799 Depth=1
	s_or_b32 exec_lo, exec_lo, s18
	v_mov_b32_e32 v10, 24
	v_lshl_add_u32 v19, v19, 23, 0x3c000000
	v_lshlrev_b32_sdwa v10, v10, v20 dst_sel:DWORD dst_unused:UNUSED_PAD src0_sel:DWORD src1_sel:BYTE_3
	v_lshlrev_b32_e32 v20, 20, v23
	v_and_b32_e32 v10, 0x80000000, v10
	v_or3_b32 v65, v20, v10, v19
.LBB389_1191:                           ;   in Loop: Header=BB389_799 Depth=1
	s_or_b32 exec_lo, exec_lo, s15
.LBB389_1192:                           ;   in Loop: Header=BB389_799 Depth=1
	s_or_b32 exec_lo, exec_lo, s13
.LBB389_1193:                           ;   in Loop: Header=BB389_799 Depth=1
	s_or_b32 exec_lo, exec_lo, s12
	v_mul_f32_e32 v10, v26, v28
	v_mul_f32_e32 v19, v26, v25
	;; [unrolled: 1-line block ×5, first 2 shown]
	v_bfe_u32 v21, v10, 16, 1
	v_or_b32_e32 v23, 0x400000, v10
	v_bfe_u32 v24, v19, 16, 1
	v_cmp_u_f32_e64 s4, v10, v10
	v_or_b32_e32 v25, 0x400000, v19
	v_add3_u32 v21, v21, v10, 0x7fff
	v_bfe_u32 v28, v20, 16, 1
	v_add3_u32 v24, v24, v19, 0x7fff
	v_or_b32_e32 v68, 0x400000, v20
	v_bfe_u32 v69, v13, 16, 1
	v_cndmask_b32_e64 v10, v21, v23, s4
	v_cmp_u_f32_e64 s4, v19, v19
	v_add3_u32 v28, v28, v20, 0x7fff
	v_or_b32_e32 v21, 0x400000, v13
	v_bfe_u32 v23, v4, 16, 1
	v_lshrrev_b32_e32 v62, 16, v10
	v_cndmask_b32_e64 v19, v24, v25, s4
	v_cmp_u_f32_e64 s4, v20, v20
	v_mul_f32_e32 v10, v26, v12
	v_add3_u32 v12, v69, v13, 0x7fff
	v_lshrrev_b32_e32 v61, 16, v19
	v_cndmask_b32_e64 v20, v28, v68, s4
	v_bfe_u32 v19, v10, 16, 1
	v_cmp_u_f32_e64 s4, v13, v13
	v_mul_f32_e32 v13, v26, v67
	v_lshrrev_b32_e32 v73, 16, v20
	v_add3_u32 v19, v19, v10, 0x7fff
	v_cndmask_b32_e64 v12, v12, v21, s4
	v_or_b32_e32 v20, 0x400000, v10
	v_cmp_u_f32_e64 s4, v10, v10
	v_mul_f32_e32 v21, v26, v65
	v_bfe_u32 v24, v13, 16, 1
	v_or_b32_e32 v25, 0x400000, v13
	v_lshrrev_b32_e32 v74, 16, v12
	v_cndmask_b32_e64 v10, v19, v20, s4
	v_add3_u32 v20, v23, v4, 0x7fff
	v_or_b32_e32 v23, 0x400000, v4
	v_cmp_u_f32_e64 s4, v4, v4
	v_bfe_u32 v19, v21, 16, 1
	v_add3_u32 v24, v24, v13, 0x7fff
	v_or_b32_e32 v28, 0x400000, v21
	v_lshrrev_b32_e32 v76, 16, v10
	v_cndmask_b32_e64 v4, v20, v23, s4
	v_cmp_u_f32_e64 s4, v13, v13
	v_add3_u32 v19, v19, v21, 0x7fff
	v_lshrrev_b32_e32 v75, 16, v4
	v_cndmask_b32_e64 v13, v24, v25, s4
	v_cmp_u_f32_e64 s4, v21, v21
	v_lshrrev_b32_e32 v63, 16, v13
	v_cndmask_b32_e64 v19, v19, v28, s4
	v_lshrrev_b32_e32 v72, 16, v19
	s_and_saveexec_b32 s12, vcc_lo
	s_cbranch_execz .LBB389_1195
; %bb.1194:                             ;   in Loop: Header=BB389_799 Depth=1
	v_cmp_lt_i32_e64 s4, v117, v35
	v_cndmask_b32_e64 v75, 0, v75, s4
	v_cmp_lt_i32_e64 s4, v43, v35
	v_cndmask_b32_e64 v76, 0, v76, s4
	;; [unrolled: 2-line block ×8, first 2 shown]
.LBB389_1195:                           ;   in Loop: Header=BB389_799 Depth=1
	s_or_b32 exec_lo, exec_lo, s12
	flat_load_dwordx2 v[19:20], v[17:18] offset:1536
	v_mov_b32_e32 v12, 0
	v_mov_b32_e32 v4, 0
	s_waitcnt vmcnt(0) lgkmcnt(0)
	v_cmp_ne_u16_sdwa s4, v19, v11 src0_sel:BYTE_0 src1_sel:DWORD
	s_and_saveexec_b32 s12, s4
	s_cbranch_execz .LBB389_1203
; %bb.1196:                             ;   in Loop: Header=BB389_799 Depth=1
	v_cmp_ne_u16_sdwa s4, v19, v64 src0_sel:BYTE_0 src1_sel:DWORD
	v_bfrev_b32_e32 v4, 1
	s_and_saveexec_b32 s13, s4
	s_cbranch_execz .LBB389_1202
; %bb.1197:                             ;   in Loop: Header=BB389_799 Depth=1
	v_and_b32_e32 v10, 0x7f, v19
	v_mov_b32_e32 v4, 0x7f800001
	s_mov_b32 s15, exec_lo
	v_cmpx_ne_u32_e32 0x7f, v10
	s_cbranch_execz .LBB389_1201
; %bb.1198:                             ;   in Loop: Header=BB389_799 Depth=1
	v_mov_b32_e32 v24, v20
	v_lshrrev_b32_e32 v4, 3, v10
	v_mov_b32_e32 v23, v19
	s_mov_b32 s18, exec_lo
	v_cmpx_gt_u32_e32 8, v10
; %bb.1199:                             ;   in Loop: Header=BB389_799 Depth=1
	v_and_b32_e32 v4, 7, v19
	v_ffbh_u32_e32 v4, v4
	v_min_u32_e32 v4, 32, v4
	v_subrev_nc_u32_e32 v10, 28, v4
	v_sub_nc_u32_e32 v4, 29, v4
	v_lshlrev_b64 v[23:24], v10, v[19:20]
; %bb.1200:                             ;   in Loop: Header=BB389_799 Depth=1
	s_or_b32 exec_lo, exec_lo, s18
	v_lshlrev_b32_e32 v10, 20, v23
	v_lshlrev_b32_e32 v13, 24, v19
	v_lshl_add_u32 v4, v4, 23, 0x3c000000
	v_and_b32_e32 v10, 0x700000, v10
	v_and_b32_e32 v13, 0x80000000, v13
	v_or3_b32 v4, v10, v13, v4
.LBB389_1201:                           ;   in Loop: Header=BB389_799 Depth=1
	s_or_b32 exec_lo, exec_lo, s15
.LBB389_1202:                           ;   in Loop: Header=BB389_799 Depth=1
	s_or_b32 exec_lo, exec_lo, s13
.LBB389_1203:                           ;   in Loop: Header=BB389_799 Depth=1
	s_or_b32 exec_lo, exec_lo, s12
	v_cmp_ne_u16_sdwa s4, v19, v11 src0_sel:BYTE_1 src1_sel:DWORD
	s_and_saveexec_b32 s12, s4
	s_cbranch_execz .LBB389_1211
; %bb.1204:                             ;   in Loop: Header=BB389_799 Depth=1
	v_cmp_ne_u16_sdwa s4, v19, v64 src0_sel:BYTE_1 src1_sel:DWORD
	v_bfrev_b32_e32 v12, 1
	s_and_saveexec_b32 s13, s4
	s_cbranch_execz .LBB389_1210
; %bb.1205:                             ;   in Loop: Header=BB389_799 Depth=1
	v_mov_b32_e32 v10, 0xffff
	v_mov_b32_e32 v12, 0x7f800001
	s_mov_b32 s15, exec_lo
	v_and_b32_sdwa v10, v10, v19 dst_sel:DWORD dst_unused:UNUSED_PAD src0_sel:DWORD src1_sel:BYTE_1
	v_and_b32_e32 v13, 0x7f, v10
	v_cmpx_ne_u32_e32 0x7f, v13
	s_cbranch_execz .LBB389_1209
; %bb.1206:                             ;   in Loop: Header=BB389_799 Depth=1
	v_and_b32_e32 v10, 7, v10
	v_mov_b32_e32 v24, v11
	v_lshrrev_b32_e32 v12, 3, v13
	s_mov_b32 s18, exec_lo
	v_mov_b32_e32 v23, v10
	v_cmpx_gt_u32_e32 8, v13
; %bb.1207:                             ;   in Loop: Header=BB389_799 Depth=1
	v_ffbh_u32_e32 v12, v10
	v_min_u32_e32 v12, 32, v12
	v_subrev_nc_u32_e32 v13, 28, v12
	v_sub_nc_u32_e32 v12, 29, v12
	v_lshlrev_b64 v[23:24], v13, v[10:11]
	v_and_b32_e32 v23, 7, v23
; %bb.1208:                             ;   in Loop: Header=BB389_799 Depth=1
	s_or_b32 exec_lo, exec_lo, s18
	v_lshlrev_b32_e32 v10, 16, v19
	v_lshlrev_b32_e32 v13, 20, v23
	v_lshl_add_u32 v12, v12, 23, 0x3c000000
	v_and_b32_e32 v10, 0x80000000, v10
	v_or3_b32 v12, v13, v10, v12
.LBB389_1209:                           ;   in Loop: Header=BB389_799 Depth=1
	s_or_b32 exec_lo, exec_lo, s15
.LBB389_1210:                           ;   in Loop: Header=BB389_799 Depth=1
	s_or_b32 exec_lo, exec_lo, s13
.LBB389_1211:                           ;   in Loop: Header=BB389_799 Depth=1
	s_or_b32 exec_lo, exec_lo, s12
	v_and_b32_sdwa v10, v19, v66 dst_sel:DWORD dst_unused:UNUSED_PAD src0_sel:WORD_1 src1_sel:DWORD
	v_mov_b32_e32 v21, 0
	v_mov_b32_e32 v13, 0
	s_mov_b32 s12, exec_lo
	v_cmpx_ne_u16_e32 0, v10
	s_cbranch_execz .LBB389_1219
; %bb.1212:                             ;   in Loop: Header=BB389_799 Depth=1
	v_bfrev_b32_e32 v13, 1
	s_mov_b32 s13, exec_lo
	v_cmpx_ne_u16_e32 0x80, v10
	s_cbranch_execz .LBB389_1218
; %bb.1213:                             ;   in Loop: Header=BB389_799 Depth=1
	v_bfe_u32 v23, v19, 16, 7
	v_mov_b32_e32 v13, 0x7f800001
	s_mov_b32 s15, exec_lo
	v_cmpx_ne_u32_e32 0x7f, v23
	s_cbranch_execz .LBB389_1217
; %bb.1214:                             ;   in Loop: Header=BB389_799 Depth=1
	v_mov_b32_e32 v10, 7
	v_lshrrev_b32_e32 v13, 3, v23
	v_cmp_gt_u32_e64 s4, 8, v23
	v_and_b32_sdwa v10, v19, v10 dst_sel:DWORD dst_unused:UNUSED_PAD src0_sel:WORD_1 src1_sel:DWORD
	v_mov_b32_e32 v24, v11
	v_mov_b32_e32 v23, v10
	s_and_saveexec_b32 s18, s4
; %bb.1215:                             ;   in Loop: Header=BB389_799 Depth=1
	v_ffbh_u32_e32 v13, v10
	v_min_u32_e32 v13, 32, v13
	v_subrev_nc_u32_e32 v23, 28, v13
	v_sub_nc_u32_e32 v13, 29, v13
	v_lshlrev_b64 v[23:24], v23, v[10:11]
	v_and_b32_e32 v23, 7, v23
; %bb.1216:                             ;   in Loop: Header=BB389_799 Depth=1
	s_or_b32 exec_lo, exec_lo, s18
	v_mov_b32_e32 v10, 24
	v_lshlrev_b32_e32 v23, 20, v23
	v_lshl_add_u32 v13, v13, 23, 0x3c000000
	v_lshlrev_b32_sdwa v10, v10, v19 dst_sel:DWORD dst_unused:UNUSED_PAD src0_sel:DWORD src1_sel:WORD_1
	v_and_b32_e32 v10, 0x80000000, v10
	v_or3_b32 v13, v23, v10, v13
.LBB389_1217:                           ;   in Loop: Header=BB389_799 Depth=1
	s_or_b32 exec_lo, exec_lo, s15
.LBB389_1218:                           ;   in Loop: Header=BB389_799 Depth=1
	s_or_b32 exec_lo, exec_lo, s13
.LBB389_1219:                           ;   in Loop: Header=BB389_799 Depth=1
	s_or_b32 exec_lo, exec_lo, s12
	s_mov_b32 s12, exec_lo
	v_cmpx_lt_u32_e32 0xffffff, v19
	s_cbranch_execz .LBB389_1227
; %bb.1220:                             ;   in Loop: Header=BB389_799 Depth=1
	v_cmp_ne_u32_sdwa s4, v19, v64 src0_sel:BYTE_3 src1_sel:DWORD
	v_bfrev_b32_e32 v21, 1
	s_and_saveexec_b32 s13, s4
	s_cbranch_execz .LBB389_1226
; %bb.1221:                             ;   in Loop: Header=BB389_799 Depth=1
	v_bfe_u32 v23, v19, 24, 7
	v_mov_b32_e32 v21, 0x7f800001
	s_mov_b32 s15, exec_lo
	v_cmpx_ne_u32_e32 0x7f, v23
	s_cbranch_execz .LBB389_1225
; %bb.1222:                             ;   in Loop: Header=BB389_799 Depth=1
	v_mov_b32_e32 v10, 7
	v_lshrrev_b32_e32 v21, 3, v23
	v_cmp_gt_u32_e64 s4, 8, v23
	v_and_b32_sdwa v10, v19, v10 dst_sel:DWORD dst_unused:UNUSED_PAD src0_sel:BYTE_3 src1_sel:DWORD
	v_mov_b32_e32 v24, v11
	v_mov_b32_e32 v23, v10
	s_and_saveexec_b32 s18, s4
; %bb.1223:                             ;   in Loop: Header=BB389_799 Depth=1
	v_ffbh_u32_e32 v21, v10
	v_min_u32_e32 v21, 32, v21
	v_subrev_nc_u32_e32 v23, 28, v21
	v_sub_nc_u32_e32 v21, 29, v21
	v_lshlrev_b64 v[23:24], v23, v[10:11]
	v_and_b32_e32 v23, 7, v23
; %bb.1224:                             ;   in Loop: Header=BB389_799 Depth=1
	s_or_b32 exec_lo, exec_lo, s18
	v_mov_b32_e32 v10, 24
	v_lshlrev_b32_e32 v23, 20, v23
	v_lshl_add_u32 v21, v21, 23, 0x3c000000
	v_lshlrev_b32_sdwa v10, v10, v19 dst_sel:DWORD dst_unused:UNUSED_PAD src0_sel:DWORD src1_sel:BYTE_3
	v_and_b32_e32 v10, 0x80000000, v10
	v_or3_b32 v21, v23, v10, v21
.LBB389_1225:                           ;   in Loop: Header=BB389_799 Depth=1
	s_or_b32 exec_lo, exec_lo, s15
.LBB389_1226:                           ;   in Loop: Header=BB389_799 Depth=1
	s_or_b32 exec_lo, exec_lo, s13
.LBB389_1227:                           ;   in Loop: Header=BB389_799 Depth=1
	s_or_b32 exec_lo, exec_lo, s12
	v_mov_b32_e32 v10, v20
	v_cmp_ne_u16_sdwa s4, v20, v11 src0_sel:BYTE_0 src1_sel:DWORD
	v_mov_b32_e32 v28, 0
	v_mov_b32_e32 v25, 0
	s_and_saveexec_b32 s12, s4
	s_cbranch_execz .LBB389_1235
; %bb.1228:                             ;   in Loop: Header=BB389_799 Depth=1
	v_cmp_ne_u16_sdwa s4, v20, v64 src0_sel:BYTE_0 src1_sel:DWORD
	v_bfrev_b32_e32 v25, 1
	s_and_saveexec_b32 s13, s4
	s_cbranch_execz .LBB389_1234
; %bb.1229:                             ;   in Loop: Header=BB389_799 Depth=1
	v_and_b32_e32 v23, 0x7f, v20
	v_mov_b32_e32 v25, 0x7f800001
	s_mov_b32 s15, exec_lo
	v_cmpx_ne_u32_e32 0x7f, v23
	s_cbranch_execz .LBB389_1233
; %bb.1230:                             ;   in Loop: Header=BB389_799 Depth=1
	v_lshrrev_b32_e32 v25, 3, v23
	v_cmp_gt_u32_e64 s4, 8, v23
	v_mov_b32_e32 v24, v11
	v_mov_b32_e32 v23, v10
	s_and_saveexec_b32 s18, s4
; %bb.1231:                             ;   in Loop: Header=BB389_799 Depth=1
	v_and_b32_e32 v23, 7, v20
	v_ffbh_u32_e32 v23, v23
	v_min_u32_e32 v25, 32, v23
	v_subrev_nc_u32_e32 v23, 28, v25
	v_sub_nc_u32_e32 v25, 29, v25
	v_lshlrev_b64 v[23:24], v23, v[10:11]
; %bb.1232:                             ;   in Loop: Header=BB389_799 Depth=1
	s_or_b32 exec_lo, exec_lo, s18
	v_lshlrev_b32_e32 v23, 20, v23
	v_lshlrev_b32_e32 v24, 24, v10
	v_lshl_add_u32 v25, v25, 23, 0x3c000000
	v_and_b32_e32 v23, 0x700000, v23
	v_and_b32_e32 v24, 0x80000000, v24
	v_or3_b32 v25, v23, v24, v25
.LBB389_1233:                           ;   in Loop: Header=BB389_799 Depth=1
	s_or_b32 exec_lo, exec_lo, s15
.LBB389_1234:                           ;   in Loop: Header=BB389_799 Depth=1
	s_or_b32 exec_lo, exec_lo, s13
.LBB389_1235:                           ;   in Loop: Header=BB389_799 Depth=1
	s_or_b32 exec_lo, exec_lo, s12
	v_cmp_ne_u16_sdwa s4, v10, v11 src0_sel:BYTE_1 src1_sel:DWORD
	s_and_saveexec_b32 s12, s4
	s_cbranch_execz .LBB389_1243
; %bb.1236:                             ;   in Loop: Header=BB389_799 Depth=1
	v_cmp_ne_u16_sdwa s4, v10, v64 src0_sel:BYTE_1 src1_sel:DWORD
	v_bfrev_b32_e32 v28, 1
	s_and_saveexec_b32 s13, s4
	s_cbranch_execz .LBB389_1242
; %bb.1237:                             ;   in Loop: Header=BB389_799 Depth=1
	v_mov_b32_e32 v23, 0xffff
	v_mov_b32_e32 v28, 0x7f800001
	s_mov_b32 s15, exec_lo
	v_and_b32_sdwa v23, v23, v10 dst_sel:DWORD dst_unused:UNUSED_PAD src0_sel:DWORD src1_sel:BYTE_1
	v_and_b32_e32 v65, 0x7f, v23
	v_cmpx_ne_u32_e32 0x7f, v65
	s_cbranch_execz .LBB389_1241
; %bb.1238:                             ;   in Loop: Header=BB389_799 Depth=1
	v_and_b32_e32 v23, 7, v23
	v_mov_b32_e32 v24, v11
	v_lshrrev_b32_e32 v28, 3, v65
	s_mov_b32 s18, exec_lo
	v_cmpx_gt_u32_e32 8, v65
; %bb.1239:                             ;   in Loop: Header=BB389_799 Depth=1
	v_ffbh_u32_e32 v28, v23
	v_min_u32_e32 v28, 32, v28
	v_subrev_nc_u32_e32 v65, 28, v28
	v_sub_nc_u32_e32 v28, 29, v28
	v_lshlrev_b64 v[23:24], v65, v[23:24]
	v_and_b32_e32 v23, 7, v23
; %bb.1240:                             ;   in Loop: Header=BB389_799 Depth=1
	s_or_b32 exec_lo, exec_lo, s18
	v_lshlrev_b32_e32 v10, 16, v10
	v_lshlrev_b32_e32 v23, 20, v23
	v_lshl_add_u32 v24, v28, 23, 0x3c000000
	v_and_b32_e32 v10, 0x80000000, v10
	v_or3_b32 v28, v23, v10, v24
.LBB389_1241:                           ;   in Loop: Header=BB389_799 Depth=1
	s_or_b32 exec_lo, exec_lo, s15
.LBB389_1242:                           ;   in Loop: Header=BB389_799 Depth=1
	s_or_b32 exec_lo, exec_lo, s13
.LBB389_1243:                           ;   in Loop: Header=BB389_799 Depth=1
	s_or_b32 exec_lo, exec_lo, s12
	v_and_b32_sdwa v10, v20, v66 dst_sel:DWORD dst_unused:UNUSED_PAD src0_sel:WORD_1 src1_sel:DWORD
	v_mov_b32_e32 v65, 0
	v_mov_b32_e32 v67, 0
	s_mov_b32 s12, exec_lo
	v_cmpx_ne_u16_e32 0, v10
	s_cbranch_execz .LBB389_1251
; %bb.1244:                             ;   in Loop: Header=BB389_799 Depth=1
	v_bfrev_b32_e32 v67, 1
	s_mov_b32 s13, exec_lo
	v_cmpx_ne_u16_e32 0x80, v10
	s_cbranch_execz .LBB389_1250
; %bb.1245:                             ;   in Loop: Header=BB389_799 Depth=1
	v_bfe_u32 v23, v20, 16, 7
	v_mov_b32_e32 v67, 0x7f800001
	s_mov_b32 s15, exec_lo
	v_cmpx_ne_u32_e32 0x7f, v23
	s_cbranch_execz .LBB389_1249
; %bb.1246:                             ;   in Loop: Header=BB389_799 Depth=1
	v_mov_b32_e32 v10, 7
	v_lshrrev_b32_e32 v67, 3, v23
	v_cmp_gt_u32_e64 s4, 8, v23
	v_and_b32_sdwa v10, v20, v10 dst_sel:DWORD dst_unused:UNUSED_PAD src0_sel:WORD_1 src1_sel:DWORD
	v_mov_b32_e32 v24, v11
	v_mov_b32_e32 v23, v10
	s_and_saveexec_b32 s18, s4
; %bb.1247:                             ;   in Loop: Header=BB389_799 Depth=1
	v_ffbh_u32_e32 v23, v10
	v_min_u32_e32 v67, 32, v23
	v_subrev_nc_u32_e32 v23, 28, v67
	v_sub_nc_u32_e32 v67, 29, v67
	v_lshlrev_b64 v[23:24], v23, v[10:11]
	v_and_b32_e32 v23, 7, v23
; %bb.1248:                             ;   in Loop: Header=BB389_799 Depth=1
	s_or_b32 exec_lo, exec_lo, s18
	v_mov_b32_e32 v10, 24
	v_lshlrev_b32_e32 v23, 20, v23
	v_lshl_add_u32 v24, v67, 23, 0x3c000000
	v_lshlrev_b32_sdwa v10, v10, v20 dst_sel:DWORD dst_unused:UNUSED_PAD src0_sel:DWORD src1_sel:WORD_1
	v_and_b32_e32 v10, 0x80000000, v10
	v_or3_b32 v67, v23, v10, v24
.LBB389_1249:                           ;   in Loop: Header=BB389_799 Depth=1
	s_or_b32 exec_lo, exec_lo, s15
.LBB389_1250:                           ;   in Loop: Header=BB389_799 Depth=1
	s_or_b32 exec_lo, exec_lo, s13
.LBB389_1251:                           ;   in Loop: Header=BB389_799 Depth=1
	s_or_b32 exec_lo, exec_lo, s12
	s_mov_b32 s12, exec_lo
	v_cmpx_lt_u64_e64 s[8:9], v[19:20]
	s_cbranch_execz .LBB389_1259
; %bb.1252:                             ;   in Loop: Header=BB389_799 Depth=1
	v_cmp_ne_u32_sdwa s4, v20, v64 src0_sel:BYTE_3 src1_sel:DWORD
	v_bfrev_b32_e32 v65, 1
	s_and_saveexec_b32 s13, s4
	s_cbranch_execz .LBB389_1258
; %bb.1253:                             ;   in Loop: Header=BB389_799 Depth=1
	v_bfe_u32 v23, v20, 24, 7
	v_mov_b32_e32 v65, 0x7f800001
	s_mov_b32 s15, exec_lo
	v_cmpx_ne_u32_e32 0x7f, v23
	s_cbranch_execz .LBB389_1257
; %bb.1254:                             ;   in Loop: Header=BB389_799 Depth=1
	v_mov_b32_e32 v10, 7
	v_lshrrev_b32_e32 v19, 3, v23
	v_cmp_gt_u32_e64 s4, 8, v23
	v_and_b32_sdwa v10, v20, v10 dst_sel:DWORD dst_unused:UNUSED_PAD src0_sel:BYTE_3 src1_sel:DWORD
	v_mov_b32_e32 v24, v11
	v_mov_b32_e32 v23, v10
	s_and_saveexec_b32 s18, s4
; %bb.1255:                             ;   in Loop: Header=BB389_799 Depth=1
	v_ffbh_u32_e32 v19, v10
	v_min_u32_e32 v19, 32, v19
	v_subrev_nc_u32_e32 v23, 28, v19
	v_sub_nc_u32_e32 v19, 29, v19
	v_lshlrev_b64 v[23:24], v23, v[10:11]
	v_and_b32_e32 v23, 7, v23
; %bb.1256:                             ;   in Loop: Header=BB389_799 Depth=1
	s_or_b32 exec_lo, exec_lo, s18
	v_mov_b32_e32 v10, 24
	v_lshl_add_u32 v19, v19, 23, 0x3c000000
	v_lshlrev_b32_sdwa v10, v10, v20 dst_sel:DWORD dst_unused:UNUSED_PAD src0_sel:DWORD src1_sel:BYTE_3
	v_lshlrev_b32_e32 v20, 20, v23
	v_and_b32_e32 v10, 0x80000000, v10
	v_or3_b32 v65, v20, v10, v19
.LBB389_1257:                           ;   in Loop: Header=BB389_799 Depth=1
	s_or_b32 exec_lo, exec_lo, s15
.LBB389_1258:                           ;   in Loop: Header=BB389_799 Depth=1
	s_or_b32 exec_lo, exec_lo, s13
.LBB389_1259:                           ;   in Loop: Header=BB389_799 Depth=1
	s_or_b32 exec_lo, exec_lo, s12
	v_mul_f32_e32 v10, v26, v28
	v_mul_f32_e32 v19, v26, v25
	;; [unrolled: 1-line block ×5, first 2 shown]
	v_bfe_u32 v21, v10, 16, 1
	v_or_b32_e32 v23, 0x400000, v10
	v_bfe_u32 v24, v19, 16, 1
	v_cmp_u_f32_e64 s4, v10, v10
	v_or_b32_e32 v25, 0x400000, v19
	v_add3_u32 v21, v21, v10, 0x7fff
	v_bfe_u32 v28, v20, 16, 1
	v_add3_u32 v24, v24, v19, 0x7fff
	v_or_b32_e32 v68, 0x400000, v20
	v_bfe_u32 v69, v13, 16, 1
	v_cndmask_b32_e64 v10, v21, v23, s4
	v_cmp_u_f32_e64 s4, v19, v19
	v_add3_u32 v28, v28, v20, 0x7fff
	v_or_b32_e32 v21, 0x400000, v13
	v_bfe_u32 v23, v4, 16, 1
	v_lshrrev_b32_e32 v78, 16, v10
	v_cndmask_b32_e64 v19, v24, v25, s4
	v_cmp_u_f32_e64 s4, v20, v20
	v_mul_f32_e32 v10, v26, v12
	v_add3_u32 v12, v69, v13, 0x7fff
	v_lshrrev_b32_e32 v77, 16, v19
	v_cndmask_b32_e64 v20, v28, v68, s4
	v_bfe_u32 v19, v10, 16, 1
	v_cmp_u_f32_e64 s4, v13, v13
	v_mul_f32_e32 v13, v26, v67
	v_lshrrev_b32_e32 v89, 16, v20
	v_add3_u32 v19, v19, v10, 0x7fff
	v_cndmask_b32_e64 v12, v12, v21, s4
	v_or_b32_e32 v20, 0x400000, v10
	v_cmp_u_f32_e64 s4, v10, v10
	v_mul_f32_e32 v21, v26, v65
	v_bfe_u32 v24, v13, 16, 1
	v_or_b32_e32 v25, 0x400000, v13
	v_lshrrev_b32_e32 v90, 16, v12
	v_cndmask_b32_e64 v10, v19, v20, s4
	v_add3_u32 v20, v23, v4, 0x7fff
	v_or_b32_e32 v23, 0x400000, v4
	v_cmp_u_f32_e64 s4, v4, v4
	v_bfe_u32 v19, v21, 16, 1
	v_add3_u32 v24, v24, v13, 0x7fff
	v_or_b32_e32 v28, 0x400000, v21
	v_lshrrev_b32_e32 v92, 16, v10
	v_cndmask_b32_e64 v4, v20, v23, s4
	v_cmp_u_f32_e64 s4, v13, v13
	v_add3_u32 v19, v19, v21, 0x7fff
	v_lshrrev_b32_e32 v91, 16, v4
	v_cndmask_b32_e64 v13, v24, v25, s4
	v_cmp_u_f32_e64 s4, v21, v21
	v_lshrrev_b32_e32 v79, 16, v13
	v_cndmask_b32_e64 v19, v19, v28, s4
	v_lshrrev_b32_e32 v88, 16, v19
	s_and_saveexec_b32 s12, vcc_lo
	s_cbranch_execz .LBB389_1261
; %bb.1260:                             ;   in Loop: Header=BB389_799 Depth=1
	v_cmp_lt_i32_e64 s4, v117, v35
	v_cndmask_b32_e64 v91, 0, v91, s4
	v_cmp_lt_i32_e64 s4, v43, v35
	v_cndmask_b32_e64 v92, 0, v92, s4
	;; [unrolled: 2-line block ×8, first 2 shown]
.LBB389_1261:                           ;   in Loop: Header=BB389_799 Depth=1
	s_or_b32 exec_lo, exec_lo, s12
	flat_load_dwordx2 v[19:20], v[17:18] offset:1792
	v_mov_b32_e32 v12, 0
	v_mov_b32_e32 v4, 0
	s_waitcnt vmcnt(0) lgkmcnt(0)
	v_cmp_ne_u16_sdwa s4, v19, v11 src0_sel:BYTE_0 src1_sel:DWORD
	s_and_saveexec_b32 s12, s4
	s_cbranch_execz .LBB389_1269
; %bb.1262:                             ;   in Loop: Header=BB389_799 Depth=1
	v_cmp_ne_u16_sdwa s4, v19, v64 src0_sel:BYTE_0 src1_sel:DWORD
	v_bfrev_b32_e32 v4, 1
	s_and_saveexec_b32 s13, s4
	s_cbranch_execz .LBB389_1268
; %bb.1263:                             ;   in Loop: Header=BB389_799 Depth=1
	v_and_b32_e32 v10, 0x7f, v19
	v_mov_b32_e32 v4, 0x7f800001
	s_mov_b32 s15, exec_lo
	v_cmpx_ne_u32_e32 0x7f, v10
	s_cbranch_execz .LBB389_1267
; %bb.1264:                             ;   in Loop: Header=BB389_799 Depth=1
	v_mov_b32_e32 v24, v20
	v_lshrrev_b32_e32 v4, 3, v10
	v_mov_b32_e32 v23, v19
	s_mov_b32 s18, exec_lo
	v_cmpx_gt_u32_e32 8, v10
; %bb.1265:                             ;   in Loop: Header=BB389_799 Depth=1
	v_and_b32_e32 v4, 7, v19
	v_ffbh_u32_e32 v4, v4
	v_min_u32_e32 v4, 32, v4
	v_subrev_nc_u32_e32 v10, 28, v4
	v_sub_nc_u32_e32 v4, 29, v4
	v_lshlrev_b64 v[23:24], v10, v[19:20]
; %bb.1266:                             ;   in Loop: Header=BB389_799 Depth=1
	s_or_b32 exec_lo, exec_lo, s18
	v_lshlrev_b32_e32 v10, 20, v23
	v_lshlrev_b32_e32 v13, 24, v19
	v_lshl_add_u32 v4, v4, 23, 0x3c000000
	v_and_b32_e32 v10, 0x700000, v10
	v_and_b32_e32 v13, 0x80000000, v13
	v_or3_b32 v4, v10, v13, v4
.LBB389_1267:                           ;   in Loop: Header=BB389_799 Depth=1
	s_or_b32 exec_lo, exec_lo, s15
.LBB389_1268:                           ;   in Loop: Header=BB389_799 Depth=1
	s_or_b32 exec_lo, exec_lo, s13
.LBB389_1269:                           ;   in Loop: Header=BB389_799 Depth=1
	s_or_b32 exec_lo, exec_lo, s12
	v_cmp_ne_u16_sdwa s4, v19, v11 src0_sel:BYTE_1 src1_sel:DWORD
	s_and_saveexec_b32 s12, s4
	s_cbranch_execz .LBB389_1277
; %bb.1270:                             ;   in Loop: Header=BB389_799 Depth=1
	v_cmp_ne_u16_sdwa s4, v19, v64 src0_sel:BYTE_1 src1_sel:DWORD
	v_bfrev_b32_e32 v12, 1
	s_and_saveexec_b32 s13, s4
	s_cbranch_execz .LBB389_1276
; %bb.1271:                             ;   in Loop: Header=BB389_799 Depth=1
	v_mov_b32_e32 v10, 0xffff
	v_mov_b32_e32 v12, 0x7f800001
	s_mov_b32 s15, exec_lo
	v_and_b32_sdwa v10, v10, v19 dst_sel:DWORD dst_unused:UNUSED_PAD src0_sel:DWORD src1_sel:BYTE_1
	v_and_b32_e32 v13, 0x7f, v10
	v_cmpx_ne_u32_e32 0x7f, v13
	s_cbranch_execz .LBB389_1275
; %bb.1272:                             ;   in Loop: Header=BB389_799 Depth=1
	v_and_b32_e32 v10, 7, v10
	v_mov_b32_e32 v24, v11
	v_lshrrev_b32_e32 v12, 3, v13
	s_mov_b32 s18, exec_lo
	v_mov_b32_e32 v23, v10
	v_cmpx_gt_u32_e32 8, v13
; %bb.1273:                             ;   in Loop: Header=BB389_799 Depth=1
	v_ffbh_u32_e32 v12, v10
	v_min_u32_e32 v12, 32, v12
	v_subrev_nc_u32_e32 v13, 28, v12
	v_sub_nc_u32_e32 v12, 29, v12
	v_lshlrev_b64 v[23:24], v13, v[10:11]
	v_and_b32_e32 v23, 7, v23
; %bb.1274:                             ;   in Loop: Header=BB389_799 Depth=1
	s_or_b32 exec_lo, exec_lo, s18
	v_lshlrev_b32_e32 v10, 16, v19
	v_lshlrev_b32_e32 v13, 20, v23
	v_lshl_add_u32 v12, v12, 23, 0x3c000000
	v_and_b32_e32 v10, 0x80000000, v10
	v_or3_b32 v12, v13, v10, v12
.LBB389_1275:                           ;   in Loop: Header=BB389_799 Depth=1
	s_or_b32 exec_lo, exec_lo, s15
.LBB389_1276:                           ;   in Loop: Header=BB389_799 Depth=1
	s_or_b32 exec_lo, exec_lo, s13
.LBB389_1277:                           ;   in Loop: Header=BB389_799 Depth=1
	s_or_b32 exec_lo, exec_lo, s12
	v_and_b32_sdwa v10, v19, v66 dst_sel:DWORD dst_unused:UNUSED_PAD src0_sel:WORD_1 src1_sel:DWORD
	v_mov_b32_e32 v21, 0
	v_mov_b32_e32 v13, 0
	s_mov_b32 s12, exec_lo
	v_cmpx_ne_u16_e32 0, v10
	s_cbranch_execz .LBB389_1285
; %bb.1278:                             ;   in Loop: Header=BB389_799 Depth=1
	v_bfrev_b32_e32 v13, 1
	s_mov_b32 s13, exec_lo
	v_cmpx_ne_u16_e32 0x80, v10
	s_cbranch_execz .LBB389_1284
; %bb.1279:                             ;   in Loop: Header=BB389_799 Depth=1
	v_bfe_u32 v23, v19, 16, 7
	v_mov_b32_e32 v13, 0x7f800001
	s_mov_b32 s15, exec_lo
	v_cmpx_ne_u32_e32 0x7f, v23
	s_cbranch_execz .LBB389_1283
; %bb.1280:                             ;   in Loop: Header=BB389_799 Depth=1
	v_mov_b32_e32 v10, 7
	v_lshrrev_b32_e32 v13, 3, v23
	v_cmp_gt_u32_e64 s4, 8, v23
	v_and_b32_sdwa v10, v19, v10 dst_sel:DWORD dst_unused:UNUSED_PAD src0_sel:WORD_1 src1_sel:DWORD
	v_mov_b32_e32 v24, v11
	v_mov_b32_e32 v23, v10
	s_and_saveexec_b32 s18, s4
; %bb.1281:                             ;   in Loop: Header=BB389_799 Depth=1
	v_ffbh_u32_e32 v13, v10
	v_min_u32_e32 v13, 32, v13
	v_subrev_nc_u32_e32 v23, 28, v13
	v_sub_nc_u32_e32 v13, 29, v13
	v_lshlrev_b64 v[23:24], v23, v[10:11]
	v_and_b32_e32 v23, 7, v23
; %bb.1282:                             ;   in Loop: Header=BB389_799 Depth=1
	s_or_b32 exec_lo, exec_lo, s18
	v_mov_b32_e32 v10, 24
	v_lshlrev_b32_e32 v23, 20, v23
	v_lshl_add_u32 v13, v13, 23, 0x3c000000
	v_lshlrev_b32_sdwa v10, v10, v19 dst_sel:DWORD dst_unused:UNUSED_PAD src0_sel:DWORD src1_sel:WORD_1
	v_and_b32_e32 v10, 0x80000000, v10
	v_or3_b32 v13, v23, v10, v13
.LBB389_1283:                           ;   in Loop: Header=BB389_799 Depth=1
	s_or_b32 exec_lo, exec_lo, s15
.LBB389_1284:                           ;   in Loop: Header=BB389_799 Depth=1
	s_or_b32 exec_lo, exec_lo, s13
.LBB389_1285:                           ;   in Loop: Header=BB389_799 Depth=1
	s_or_b32 exec_lo, exec_lo, s12
	s_mov_b32 s12, exec_lo
	v_cmpx_lt_u32_e32 0xffffff, v19
	s_cbranch_execz .LBB389_1293
; %bb.1286:                             ;   in Loop: Header=BB389_799 Depth=1
	v_cmp_ne_u32_sdwa s4, v19, v64 src0_sel:BYTE_3 src1_sel:DWORD
	v_bfrev_b32_e32 v21, 1
	s_and_saveexec_b32 s13, s4
	s_cbranch_execz .LBB389_1292
; %bb.1287:                             ;   in Loop: Header=BB389_799 Depth=1
	v_bfe_u32 v23, v19, 24, 7
	v_mov_b32_e32 v21, 0x7f800001
	s_mov_b32 s15, exec_lo
	v_cmpx_ne_u32_e32 0x7f, v23
	s_cbranch_execz .LBB389_1291
; %bb.1288:                             ;   in Loop: Header=BB389_799 Depth=1
	v_mov_b32_e32 v10, 7
	v_lshrrev_b32_e32 v21, 3, v23
	v_cmp_gt_u32_e64 s4, 8, v23
	v_and_b32_sdwa v10, v19, v10 dst_sel:DWORD dst_unused:UNUSED_PAD src0_sel:BYTE_3 src1_sel:DWORD
	v_mov_b32_e32 v24, v11
	v_mov_b32_e32 v23, v10
	s_and_saveexec_b32 s18, s4
; %bb.1289:                             ;   in Loop: Header=BB389_799 Depth=1
	v_ffbh_u32_e32 v21, v10
	v_min_u32_e32 v21, 32, v21
	v_subrev_nc_u32_e32 v23, 28, v21
	v_sub_nc_u32_e32 v21, 29, v21
	v_lshlrev_b64 v[23:24], v23, v[10:11]
	v_and_b32_e32 v23, 7, v23
; %bb.1290:                             ;   in Loop: Header=BB389_799 Depth=1
	s_or_b32 exec_lo, exec_lo, s18
	v_mov_b32_e32 v10, 24
	v_lshlrev_b32_e32 v23, 20, v23
	v_lshl_add_u32 v21, v21, 23, 0x3c000000
	v_lshlrev_b32_sdwa v10, v10, v19 dst_sel:DWORD dst_unused:UNUSED_PAD src0_sel:DWORD src1_sel:BYTE_3
	v_and_b32_e32 v10, 0x80000000, v10
	v_or3_b32 v21, v23, v10, v21
.LBB389_1291:                           ;   in Loop: Header=BB389_799 Depth=1
	s_or_b32 exec_lo, exec_lo, s15
.LBB389_1292:                           ;   in Loop: Header=BB389_799 Depth=1
	s_or_b32 exec_lo, exec_lo, s13
.LBB389_1293:                           ;   in Loop: Header=BB389_799 Depth=1
	s_or_b32 exec_lo, exec_lo, s12
	v_mov_b32_e32 v10, v20
	v_cmp_ne_u16_sdwa s4, v20, v11 src0_sel:BYTE_0 src1_sel:DWORD
	v_mov_b32_e32 v28, 0
	v_mov_b32_e32 v25, 0
	s_and_saveexec_b32 s12, s4
	s_cbranch_execz .LBB389_1301
; %bb.1294:                             ;   in Loop: Header=BB389_799 Depth=1
	v_cmp_ne_u16_sdwa s4, v20, v64 src0_sel:BYTE_0 src1_sel:DWORD
	v_bfrev_b32_e32 v25, 1
	s_and_saveexec_b32 s13, s4
	s_cbranch_execz .LBB389_1300
; %bb.1295:                             ;   in Loop: Header=BB389_799 Depth=1
	v_and_b32_e32 v23, 0x7f, v20
	v_mov_b32_e32 v25, 0x7f800001
	s_mov_b32 s15, exec_lo
	v_cmpx_ne_u32_e32 0x7f, v23
	s_cbranch_execz .LBB389_1299
; %bb.1296:                             ;   in Loop: Header=BB389_799 Depth=1
	v_lshrrev_b32_e32 v25, 3, v23
	v_cmp_gt_u32_e64 s4, 8, v23
	v_mov_b32_e32 v24, v11
	v_mov_b32_e32 v23, v10
	s_and_saveexec_b32 s18, s4
; %bb.1297:                             ;   in Loop: Header=BB389_799 Depth=1
	v_and_b32_e32 v23, 7, v20
	v_ffbh_u32_e32 v23, v23
	v_min_u32_e32 v25, 32, v23
	v_subrev_nc_u32_e32 v23, 28, v25
	v_sub_nc_u32_e32 v25, 29, v25
	v_lshlrev_b64 v[23:24], v23, v[10:11]
; %bb.1298:                             ;   in Loop: Header=BB389_799 Depth=1
	s_or_b32 exec_lo, exec_lo, s18
	v_lshlrev_b32_e32 v23, 20, v23
	v_lshlrev_b32_e32 v24, 24, v10
	v_lshl_add_u32 v25, v25, 23, 0x3c000000
	v_and_b32_e32 v23, 0x700000, v23
	v_and_b32_e32 v24, 0x80000000, v24
	v_or3_b32 v25, v23, v24, v25
.LBB389_1299:                           ;   in Loop: Header=BB389_799 Depth=1
	s_or_b32 exec_lo, exec_lo, s15
.LBB389_1300:                           ;   in Loop: Header=BB389_799 Depth=1
	s_or_b32 exec_lo, exec_lo, s13
.LBB389_1301:                           ;   in Loop: Header=BB389_799 Depth=1
	s_or_b32 exec_lo, exec_lo, s12
	v_cmp_ne_u16_sdwa s4, v10, v11 src0_sel:BYTE_1 src1_sel:DWORD
	s_and_saveexec_b32 s12, s4
	s_cbranch_execz .LBB389_1309
; %bb.1302:                             ;   in Loop: Header=BB389_799 Depth=1
	v_cmp_ne_u16_sdwa s4, v10, v64 src0_sel:BYTE_1 src1_sel:DWORD
	v_bfrev_b32_e32 v28, 1
	s_and_saveexec_b32 s13, s4
	s_cbranch_execz .LBB389_1308
; %bb.1303:                             ;   in Loop: Header=BB389_799 Depth=1
	v_mov_b32_e32 v23, 0xffff
	v_mov_b32_e32 v28, 0x7f800001
	s_mov_b32 s15, exec_lo
	v_and_b32_sdwa v23, v23, v10 dst_sel:DWORD dst_unused:UNUSED_PAD src0_sel:DWORD src1_sel:BYTE_1
	v_and_b32_e32 v65, 0x7f, v23
	v_cmpx_ne_u32_e32 0x7f, v65
	s_cbranch_execz .LBB389_1307
; %bb.1304:                             ;   in Loop: Header=BB389_799 Depth=1
	v_and_b32_e32 v23, 7, v23
	v_mov_b32_e32 v24, v11
	v_lshrrev_b32_e32 v28, 3, v65
	s_mov_b32 s18, exec_lo
	v_cmpx_gt_u32_e32 8, v65
; %bb.1305:                             ;   in Loop: Header=BB389_799 Depth=1
	v_ffbh_u32_e32 v28, v23
	v_min_u32_e32 v28, 32, v28
	v_subrev_nc_u32_e32 v65, 28, v28
	v_sub_nc_u32_e32 v28, 29, v28
	v_lshlrev_b64 v[23:24], v65, v[23:24]
	v_and_b32_e32 v23, 7, v23
; %bb.1306:                             ;   in Loop: Header=BB389_799 Depth=1
	s_or_b32 exec_lo, exec_lo, s18
	v_lshlrev_b32_e32 v10, 16, v10
	v_lshlrev_b32_e32 v23, 20, v23
	v_lshl_add_u32 v24, v28, 23, 0x3c000000
	v_and_b32_e32 v10, 0x80000000, v10
	v_or3_b32 v28, v23, v10, v24
.LBB389_1307:                           ;   in Loop: Header=BB389_799 Depth=1
	s_or_b32 exec_lo, exec_lo, s15
.LBB389_1308:                           ;   in Loop: Header=BB389_799 Depth=1
	s_or_b32 exec_lo, exec_lo, s13
.LBB389_1309:                           ;   in Loop: Header=BB389_799 Depth=1
	s_or_b32 exec_lo, exec_lo, s12
	v_and_b32_sdwa v10, v20, v66 dst_sel:DWORD dst_unused:UNUSED_PAD src0_sel:WORD_1 src1_sel:DWORD
	v_mov_b32_e32 v65, 0
	v_mov_b32_e32 v67, 0
	s_mov_b32 s12, exec_lo
	v_cmpx_ne_u16_e32 0, v10
	s_cbranch_execz .LBB389_1317
; %bb.1310:                             ;   in Loop: Header=BB389_799 Depth=1
	v_bfrev_b32_e32 v67, 1
	s_mov_b32 s13, exec_lo
	v_cmpx_ne_u16_e32 0x80, v10
	s_cbranch_execz .LBB389_1316
; %bb.1311:                             ;   in Loop: Header=BB389_799 Depth=1
	v_bfe_u32 v23, v20, 16, 7
	v_mov_b32_e32 v67, 0x7f800001
	s_mov_b32 s15, exec_lo
	v_cmpx_ne_u32_e32 0x7f, v23
	s_cbranch_execz .LBB389_1315
; %bb.1312:                             ;   in Loop: Header=BB389_799 Depth=1
	v_mov_b32_e32 v10, 7
	v_lshrrev_b32_e32 v67, 3, v23
	v_cmp_gt_u32_e64 s4, 8, v23
	v_and_b32_sdwa v10, v20, v10 dst_sel:DWORD dst_unused:UNUSED_PAD src0_sel:WORD_1 src1_sel:DWORD
	v_mov_b32_e32 v24, v11
	v_mov_b32_e32 v23, v10
	s_and_saveexec_b32 s18, s4
; %bb.1313:                             ;   in Loop: Header=BB389_799 Depth=1
	v_ffbh_u32_e32 v23, v10
	v_min_u32_e32 v67, 32, v23
	v_subrev_nc_u32_e32 v23, 28, v67
	v_sub_nc_u32_e32 v67, 29, v67
	v_lshlrev_b64 v[23:24], v23, v[10:11]
	v_and_b32_e32 v23, 7, v23
; %bb.1314:                             ;   in Loop: Header=BB389_799 Depth=1
	s_or_b32 exec_lo, exec_lo, s18
	v_mov_b32_e32 v10, 24
	v_lshlrev_b32_e32 v23, 20, v23
	v_lshl_add_u32 v24, v67, 23, 0x3c000000
	v_lshlrev_b32_sdwa v10, v10, v20 dst_sel:DWORD dst_unused:UNUSED_PAD src0_sel:DWORD src1_sel:WORD_1
	v_and_b32_e32 v10, 0x80000000, v10
	v_or3_b32 v67, v23, v10, v24
.LBB389_1315:                           ;   in Loop: Header=BB389_799 Depth=1
	s_or_b32 exec_lo, exec_lo, s15
.LBB389_1316:                           ;   in Loop: Header=BB389_799 Depth=1
	s_or_b32 exec_lo, exec_lo, s13
.LBB389_1317:                           ;   in Loop: Header=BB389_799 Depth=1
	s_or_b32 exec_lo, exec_lo, s12
	s_mov_b32 s12, exec_lo
	v_cmpx_lt_u64_e64 s[8:9], v[19:20]
	s_cbranch_execz .LBB389_1325
; %bb.1318:                             ;   in Loop: Header=BB389_799 Depth=1
	v_cmp_ne_u32_sdwa s4, v20, v64 src0_sel:BYTE_3 src1_sel:DWORD
	v_bfrev_b32_e32 v65, 1
	s_and_saveexec_b32 s13, s4
	s_cbranch_execz .LBB389_1324
; %bb.1319:                             ;   in Loop: Header=BB389_799 Depth=1
	v_bfe_u32 v23, v20, 24, 7
	v_mov_b32_e32 v65, 0x7f800001
	s_mov_b32 s15, exec_lo
	v_cmpx_ne_u32_e32 0x7f, v23
	s_cbranch_execz .LBB389_1323
; %bb.1320:                             ;   in Loop: Header=BB389_799 Depth=1
	v_mov_b32_e32 v10, 7
	v_lshrrev_b32_e32 v19, 3, v23
	v_cmp_gt_u32_e64 s4, 8, v23
	v_and_b32_sdwa v10, v20, v10 dst_sel:DWORD dst_unused:UNUSED_PAD src0_sel:BYTE_3 src1_sel:DWORD
	v_mov_b32_e32 v24, v11
	v_mov_b32_e32 v23, v10
	s_and_saveexec_b32 s18, s4
; %bb.1321:                             ;   in Loop: Header=BB389_799 Depth=1
	v_ffbh_u32_e32 v19, v10
	v_min_u32_e32 v19, 32, v19
	v_subrev_nc_u32_e32 v23, 28, v19
	v_sub_nc_u32_e32 v19, 29, v19
	v_lshlrev_b64 v[23:24], v23, v[10:11]
	v_and_b32_e32 v23, 7, v23
; %bb.1322:                             ;   in Loop: Header=BB389_799 Depth=1
	s_or_b32 exec_lo, exec_lo, s18
	v_mov_b32_e32 v10, 24
	v_lshl_add_u32 v19, v19, 23, 0x3c000000
	v_lshlrev_b32_sdwa v10, v10, v20 dst_sel:DWORD dst_unused:UNUSED_PAD src0_sel:DWORD src1_sel:BYTE_3
	v_lshlrev_b32_e32 v20, 20, v23
	v_and_b32_e32 v10, 0x80000000, v10
	v_or3_b32 v65, v20, v10, v19
.LBB389_1323:                           ;   in Loop: Header=BB389_799 Depth=1
	s_or_b32 exec_lo, exec_lo, s15
.LBB389_1324:                           ;   in Loop: Header=BB389_799 Depth=1
	s_or_b32 exec_lo, exec_lo, s13
.LBB389_1325:                           ;   in Loop: Header=BB389_799 Depth=1
	s_or_b32 exec_lo, exec_lo, s12
	v_mul_f32_e32 v10, v26, v28
	v_mul_f32_e32 v19, v26, v25
	;; [unrolled: 1-line block ×5, first 2 shown]
	v_bfe_u32 v21, v10, 16, 1
	v_or_b32_e32 v23, 0x400000, v10
	v_bfe_u32 v24, v19, 16, 1
	v_cmp_u_f32_e64 s4, v10, v10
	v_or_b32_e32 v25, 0x400000, v19
	v_add3_u32 v21, v21, v10, 0x7fff
	v_bfe_u32 v28, v20, 16, 1
	v_add3_u32 v24, v24, v19, 0x7fff
	v_or_b32_e32 v68, 0x400000, v20
	v_bfe_u32 v69, v13, 16, 1
	v_cndmask_b32_e64 v10, v21, v23, s4
	v_cmp_u_f32_e64 s4, v19, v19
	v_add3_u32 v28, v28, v20, 0x7fff
	v_or_b32_e32 v21, 0x400000, v13
	v_bfe_u32 v23, v4, 16, 1
	v_lshrrev_b32_e32 v94, 16, v10
	v_cndmask_b32_e64 v19, v24, v25, s4
	v_cmp_u_f32_e64 s4, v20, v20
	v_mul_f32_e32 v10, v26, v12
	v_add3_u32 v12, v69, v13, 0x7fff
	v_lshrrev_b32_e32 v93, 16, v19
	v_cndmask_b32_e64 v20, v28, v68, s4
	v_bfe_u32 v19, v10, 16, 1
	v_cmp_u_f32_e64 s4, v13, v13
	v_mul_f32_e32 v13, v26, v67
	v_lshrrev_b32_e32 v105, 16, v20
	v_add3_u32 v19, v19, v10, 0x7fff
	v_cndmask_b32_e64 v12, v12, v21, s4
	v_or_b32_e32 v20, 0x400000, v10
	v_cmp_u_f32_e64 s4, v10, v10
	v_mul_f32_e32 v21, v26, v65
	v_bfe_u32 v24, v13, 16, 1
	v_or_b32_e32 v25, 0x400000, v13
	v_lshrrev_b32_e32 v106, 16, v12
	v_cndmask_b32_e64 v10, v19, v20, s4
	v_add3_u32 v20, v23, v4, 0x7fff
	v_or_b32_e32 v23, 0x400000, v4
	v_cmp_u_f32_e64 s4, v4, v4
	v_bfe_u32 v19, v21, 16, 1
	v_add3_u32 v24, v24, v13, 0x7fff
	v_or_b32_e32 v28, 0x400000, v21
	v_lshrrev_b32_e32 v108, 16, v10
	v_cndmask_b32_e64 v4, v20, v23, s4
	v_cmp_u_f32_e64 s4, v13, v13
	v_add3_u32 v19, v19, v21, 0x7fff
	v_lshrrev_b32_e32 v107, 16, v4
	v_cndmask_b32_e64 v13, v24, v25, s4
	v_cmp_u_f32_e64 s4, v21, v21
	v_lshrrev_b32_e32 v95, 16, v13
	v_cndmask_b32_e64 v19, v19, v28, s4
	v_lshrrev_b32_e32 v104, 16, v19
	s_and_saveexec_b32 s12, vcc_lo
	s_cbranch_execz .LBB389_1327
; %bb.1326:                             ;   in Loop: Header=BB389_799 Depth=1
	v_cmp_lt_i32_e64 s4, v117, v35
	v_cndmask_b32_e64 v107, 0, v107, s4
	v_cmp_lt_i32_e64 s4, v43, v35
	v_cndmask_b32_e64 v108, 0, v108, s4
	v_cmp_lt_i32_e64 s4, v42, v35
	v_cndmask_b32_e64 v106, 0, v106, s4
	v_cmp_lt_i32_e64 s4, v41, v35
	v_cndmask_b32_e64 v105, 0, v105, s4
	v_cmp_lt_i32_e64 s4, v40, v35
	v_cndmask_b32_e64 v93, 0, v93, s4
	v_cmp_lt_i32_e64 s4, v119, v35
	v_cndmask_b32_e64 v94, 0, v94, s4
	v_cmp_lt_i32_e64 s4, v118, v35
	v_cndmask_b32_e64 v95, 0, v95, s4
	v_cmp_lt_i32_e64 s4, v54, v35
	v_cndmask_b32_e64 v104, 0, v104, s4
.LBB389_1327:                           ;   in Loop: Header=BB389_799 Depth=1
	s_or_b32 exec_lo, exec_lo, s12
	v_add_co_u32 v17, s4, 0x800, v17
	v_add_co_ci_u32_e64 v18, null, 0, v18, s4
	v_mov_b32_e32 v12, 0
	v_mov_b32_e32 v4, 0
	flat_load_dwordx2 v[19:20], v[17:18]
	s_waitcnt vmcnt(0) lgkmcnt(0)
	v_cmp_ne_u16_sdwa s4, v19, v11 src0_sel:BYTE_0 src1_sel:DWORD
	s_and_saveexec_b32 s12, s4
	s_cbranch_execz .LBB389_1335
; %bb.1328:                             ;   in Loop: Header=BB389_799 Depth=1
	v_cmp_ne_u16_sdwa s4, v19, v64 src0_sel:BYTE_0 src1_sel:DWORD
	v_bfrev_b32_e32 v4, 1
	s_and_saveexec_b32 s13, s4
	s_cbranch_execz .LBB389_1334
; %bb.1329:                             ;   in Loop: Header=BB389_799 Depth=1
	v_and_b32_e32 v10, 0x7f, v19
	v_mov_b32_e32 v4, 0x7f800001
	s_mov_b32 s15, exec_lo
	v_cmpx_ne_u32_e32 0x7f, v10
	s_cbranch_execz .LBB389_1333
; %bb.1330:                             ;   in Loop: Header=BB389_799 Depth=1
	v_mov_b32_e32 v24, v20
	v_lshrrev_b32_e32 v4, 3, v10
	v_mov_b32_e32 v23, v19
	s_mov_b32 s18, exec_lo
	v_cmpx_gt_u32_e32 8, v10
; %bb.1331:                             ;   in Loop: Header=BB389_799 Depth=1
	v_and_b32_e32 v4, 7, v19
	v_ffbh_u32_e32 v4, v4
	v_min_u32_e32 v4, 32, v4
	v_subrev_nc_u32_e32 v10, 28, v4
	v_sub_nc_u32_e32 v4, 29, v4
	v_lshlrev_b64 v[23:24], v10, v[19:20]
; %bb.1332:                             ;   in Loop: Header=BB389_799 Depth=1
	s_or_b32 exec_lo, exec_lo, s18
	v_lshlrev_b32_e32 v10, 20, v23
	v_lshlrev_b32_e32 v13, 24, v19
	v_lshl_add_u32 v4, v4, 23, 0x3c000000
	v_and_b32_e32 v10, 0x700000, v10
	v_and_b32_e32 v13, 0x80000000, v13
	v_or3_b32 v4, v10, v13, v4
.LBB389_1333:                           ;   in Loop: Header=BB389_799 Depth=1
	s_or_b32 exec_lo, exec_lo, s15
.LBB389_1334:                           ;   in Loop: Header=BB389_799 Depth=1
	s_or_b32 exec_lo, exec_lo, s13
.LBB389_1335:                           ;   in Loop: Header=BB389_799 Depth=1
	s_or_b32 exec_lo, exec_lo, s12
	v_cmp_ne_u16_sdwa s4, v19, v11 src0_sel:BYTE_1 src1_sel:DWORD
	s_and_saveexec_b32 s12, s4
	s_cbranch_execz .LBB389_1343
; %bb.1336:                             ;   in Loop: Header=BB389_799 Depth=1
	v_cmp_ne_u16_sdwa s4, v19, v64 src0_sel:BYTE_1 src1_sel:DWORD
	v_bfrev_b32_e32 v12, 1
	s_and_saveexec_b32 s13, s4
	s_cbranch_execz .LBB389_1342
; %bb.1337:                             ;   in Loop: Header=BB389_799 Depth=1
	v_mov_b32_e32 v10, 0xffff
	v_mov_b32_e32 v12, 0x7f800001
	s_mov_b32 s15, exec_lo
	v_and_b32_sdwa v10, v10, v19 dst_sel:DWORD dst_unused:UNUSED_PAD src0_sel:DWORD src1_sel:BYTE_1
	v_and_b32_e32 v13, 0x7f, v10
	v_cmpx_ne_u32_e32 0x7f, v13
	s_cbranch_execz .LBB389_1341
; %bb.1338:                             ;   in Loop: Header=BB389_799 Depth=1
	v_and_b32_e32 v10, 7, v10
	v_mov_b32_e32 v24, v11
	v_lshrrev_b32_e32 v12, 3, v13
	s_mov_b32 s18, exec_lo
	v_mov_b32_e32 v23, v10
	v_cmpx_gt_u32_e32 8, v13
; %bb.1339:                             ;   in Loop: Header=BB389_799 Depth=1
	v_ffbh_u32_e32 v12, v10
	v_min_u32_e32 v12, 32, v12
	v_subrev_nc_u32_e32 v13, 28, v12
	v_sub_nc_u32_e32 v12, 29, v12
	v_lshlrev_b64 v[23:24], v13, v[10:11]
	v_and_b32_e32 v23, 7, v23
; %bb.1340:                             ;   in Loop: Header=BB389_799 Depth=1
	s_or_b32 exec_lo, exec_lo, s18
	v_lshlrev_b32_e32 v10, 16, v19
	v_lshlrev_b32_e32 v13, 20, v23
	v_lshl_add_u32 v12, v12, 23, 0x3c000000
	v_and_b32_e32 v10, 0x80000000, v10
	v_or3_b32 v12, v13, v10, v12
.LBB389_1341:                           ;   in Loop: Header=BB389_799 Depth=1
	s_or_b32 exec_lo, exec_lo, s15
.LBB389_1342:                           ;   in Loop: Header=BB389_799 Depth=1
	s_or_b32 exec_lo, exec_lo, s13
.LBB389_1343:                           ;   in Loop: Header=BB389_799 Depth=1
	s_or_b32 exec_lo, exec_lo, s12
	v_and_b32_sdwa v10, v19, v66 dst_sel:DWORD dst_unused:UNUSED_PAD src0_sel:WORD_1 src1_sel:DWORD
	v_mov_b32_e32 v21, 0
	v_mov_b32_e32 v13, 0
	s_mov_b32 s12, exec_lo
	v_cmpx_ne_u16_e32 0, v10
	s_cbranch_execz .LBB389_1351
; %bb.1344:                             ;   in Loop: Header=BB389_799 Depth=1
	v_bfrev_b32_e32 v13, 1
	s_mov_b32 s13, exec_lo
	v_cmpx_ne_u16_e32 0x80, v10
	s_cbranch_execz .LBB389_1350
; %bb.1345:                             ;   in Loop: Header=BB389_799 Depth=1
	v_bfe_u32 v23, v19, 16, 7
	v_mov_b32_e32 v13, 0x7f800001
	s_mov_b32 s15, exec_lo
	v_cmpx_ne_u32_e32 0x7f, v23
	s_cbranch_execz .LBB389_1349
; %bb.1346:                             ;   in Loop: Header=BB389_799 Depth=1
	v_mov_b32_e32 v10, 7
	v_lshrrev_b32_e32 v13, 3, v23
	v_cmp_gt_u32_e64 s4, 8, v23
	v_and_b32_sdwa v10, v19, v10 dst_sel:DWORD dst_unused:UNUSED_PAD src0_sel:WORD_1 src1_sel:DWORD
	v_mov_b32_e32 v24, v11
	v_mov_b32_e32 v23, v10
	s_and_saveexec_b32 s18, s4
; %bb.1347:                             ;   in Loop: Header=BB389_799 Depth=1
	v_ffbh_u32_e32 v13, v10
	v_min_u32_e32 v13, 32, v13
	v_subrev_nc_u32_e32 v23, 28, v13
	v_sub_nc_u32_e32 v13, 29, v13
	v_lshlrev_b64 v[23:24], v23, v[10:11]
	v_and_b32_e32 v23, 7, v23
; %bb.1348:                             ;   in Loop: Header=BB389_799 Depth=1
	s_or_b32 exec_lo, exec_lo, s18
	v_mov_b32_e32 v10, 24
	v_lshlrev_b32_e32 v23, 20, v23
	v_lshl_add_u32 v13, v13, 23, 0x3c000000
	v_lshlrev_b32_sdwa v10, v10, v19 dst_sel:DWORD dst_unused:UNUSED_PAD src0_sel:DWORD src1_sel:WORD_1
	v_and_b32_e32 v10, 0x80000000, v10
	v_or3_b32 v13, v23, v10, v13
.LBB389_1349:                           ;   in Loop: Header=BB389_799 Depth=1
	s_or_b32 exec_lo, exec_lo, s15
.LBB389_1350:                           ;   in Loop: Header=BB389_799 Depth=1
	s_or_b32 exec_lo, exec_lo, s13
.LBB389_1351:                           ;   in Loop: Header=BB389_799 Depth=1
	s_or_b32 exec_lo, exec_lo, s12
	s_mov_b32 s12, exec_lo
	v_cmpx_lt_u32_e32 0xffffff, v19
	s_cbranch_execz .LBB389_1359
; %bb.1352:                             ;   in Loop: Header=BB389_799 Depth=1
	v_cmp_ne_u32_sdwa s4, v19, v64 src0_sel:BYTE_3 src1_sel:DWORD
	v_bfrev_b32_e32 v21, 1
	s_and_saveexec_b32 s13, s4
	s_cbranch_execz .LBB389_1358
; %bb.1353:                             ;   in Loop: Header=BB389_799 Depth=1
	v_bfe_u32 v23, v19, 24, 7
	v_mov_b32_e32 v21, 0x7f800001
	s_mov_b32 s15, exec_lo
	v_cmpx_ne_u32_e32 0x7f, v23
	s_cbranch_execz .LBB389_1357
; %bb.1354:                             ;   in Loop: Header=BB389_799 Depth=1
	v_mov_b32_e32 v10, 7
	v_lshrrev_b32_e32 v21, 3, v23
	v_cmp_gt_u32_e64 s4, 8, v23
	v_and_b32_sdwa v10, v19, v10 dst_sel:DWORD dst_unused:UNUSED_PAD src0_sel:BYTE_3 src1_sel:DWORD
	v_mov_b32_e32 v24, v11
	v_mov_b32_e32 v23, v10
	s_and_saveexec_b32 s18, s4
; %bb.1355:                             ;   in Loop: Header=BB389_799 Depth=1
	v_ffbh_u32_e32 v21, v10
	v_min_u32_e32 v21, 32, v21
	v_subrev_nc_u32_e32 v23, 28, v21
	v_sub_nc_u32_e32 v21, 29, v21
	v_lshlrev_b64 v[23:24], v23, v[10:11]
	v_and_b32_e32 v23, 7, v23
; %bb.1356:                             ;   in Loop: Header=BB389_799 Depth=1
	s_or_b32 exec_lo, exec_lo, s18
	v_mov_b32_e32 v10, 24
	v_lshlrev_b32_e32 v23, 20, v23
	v_lshl_add_u32 v21, v21, 23, 0x3c000000
	v_lshlrev_b32_sdwa v10, v10, v19 dst_sel:DWORD dst_unused:UNUSED_PAD src0_sel:DWORD src1_sel:BYTE_3
	v_and_b32_e32 v10, 0x80000000, v10
	v_or3_b32 v21, v23, v10, v21
.LBB389_1357:                           ;   in Loop: Header=BB389_799 Depth=1
	s_or_b32 exec_lo, exec_lo, s15
.LBB389_1358:                           ;   in Loop: Header=BB389_799 Depth=1
	s_or_b32 exec_lo, exec_lo, s13
.LBB389_1359:                           ;   in Loop: Header=BB389_799 Depth=1
	s_or_b32 exec_lo, exec_lo, s12
	v_mov_b32_e32 v10, v20
	v_cmp_ne_u16_sdwa s4, v20, v11 src0_sel:BYTE_0 src1_sel:DWORD
	v_mov_b32_e32 v67, 0
	v_mov_b32_e32 v65, 0
	s_and_saveexec_b32 s12, s4
	s_cbranch_execz .LBB389_1367
; %bb.1360:                             ;   in Loop: Header=BB389_799 Depth=1
	v_cmp_ne_u16_sdwa s4, v20, v64 src0_sel:BYTE_0 src1_sel:DWORD
	v_bfrev_b32_e32 v65, 1
	s_and_saveexec_b32 s13, s4
	s_cbranch_execz .LBB389_1366
; %bb.1361:                             ;   in Loop: Header=BB389_799 Depth=1
	v_and_b32_e32 v23, 0x7f, v20
	v_mov_b32_e32 v65, 0x7f800001
	s_mov_b32 s15, exec_lo
	v_cmpx_ne_u32_e32 0x7f, v23
	s_cbranch_execz .LBB389_1365
; %bb.1362:                             ;   in Loop: Header=BB389_799 Depth=1
	v_lshrrev_b32_e32 v25, 3, v23
	v_cmp_gt_u32_e64 s4, 8, v23
	v_mov_b32_e32 v24, v11
	v_mov_b32_e32 v23, v10
	s_and_saveexec_b32 s18, s4
; %bb.1363:                             ;   in Loop: Header=BB389_799 Depth=1
	v_and_b32_e32 v23, 7, v20
	v_ffbh_u32_e32 v23, v23
	v_min_u32_e32 v25, 32, v23
	v_subrev_nc_u32_e32 v23, 28, v25
	v_sub_nc_u32_e32 v25, 29, v25
	v_lshlrev_b64 v[23:24], v23, v[10:11]
; %bb.1364:                             ;   in Loop: Header=BB389_799 Depth=1
	s_or_b32 exec_lo, exec_lo, s18
	v_lshlrev_b32_e32 v23, 20, v23
	v_lshlrev_b32_e32 v24, 24, v10
	v_lshl_add_u32 v25, v25, 23, 0x3c000000
	v_and_b32_e32 v23, 0x700000, v23
	v_and_b32_e32 v24, 0x80000000, v24
	v_or3_b32 v65, v23, v24, v25
.LBB389_1365:                           ;   in Loop: Header=BB389_799 Depth=1
	s_or_b32 exec_lo, exec_lo, s15
.LBB389_1366:                           ;   in Loop: Header=BB389_799 Depth=1
	s_or_b32 exec_lo, exec_lo, s13
.LBB389_1367:                           ;   in Loop: Header=BB389_799 Depth=1
	s_or_b32 exec_lo, exec_lo, s12
	v_cmp_ne_u16_sdwa s4, v10, v11 src0_sel:BYTE_1 src1_sel:DWORD
	s_and_saveexec_b32 s12, s4
	s_cbranch_execz .LBB389_1375
; %bb.1368:                             ;   in Loop: Header=BB389_799 Depth=1
	v_cmp_ne_u16_sdwa s4, v10, v64 src0_sel:BYTE_1 src1_sel:DWORD
	v_bfrev_b32_e32 v67, 1
	s_and_saveexec_b32 s13, s4
	s_cbranch_execz .LBB389_1374
; %bb.1369:                             ;   in Loop: Header=BB389_799 Depth=1
	v_mov_b32_e32 v23, 0xffff
	v_mov_b32_e32 v67, 0x7f800001
	s_mov_b32 s15, exec_lo
	v_and_b32_sdwa v23, v23, v10 dst_sel:DWORD dst_unused:UNUSED_PAD src0_sel:DWORD src1_sel:BYTE_1
	v_and_b32_e32 v28, 0x7f, v23
	v_cmpx_ne_u32_e32 0x7f, v28
	s_cbranch_execz .LBB389_1373
; %bb.1370:                             ;   in Loop: Header=BB389_799 Depth=1
	v_and_b32_e32 v23, 7, v23
	v_mov_b32_e32 v24, v11
	v_lshrrev_b32_e32 v25, 3, v28
	s_mov_b32 s18, exec_lo
	v_cmpx_gt_u32_e32 8, v28
; %bb.1371:                             ;   in Loop: Header=BB389_799 Depth=1
	v_ffbh_u32_e32 v25, v23
	v_min_u32_e32 v25, 32, v25
	v_subrev_nc_u32_e32 v28, 28, v25
	v_sub_nc_u32_e32 v25, 29, v25
	v_lshlrev_b64 v[23:24], v28, v[23:24]
	v_and_b32_e32 v23, 7, v23
; %bb.1372:                             ;   in Loop: Header=BB389_799 Depth=1
	s_or_b32 exec_lo, exec_lo, s18
	v_lshlrev_b32_e32 v10, 16, v10
	v_lshlrev_b32_e32 v23, 20, v23
	v_lshl_add_u32 v24, v25, 23, 0x3c000000
	v_and_b32_e32 v10, 0x80000000, v10
	v_or3_b32 v67, v23, v10, v24
.LBB389_1373:                           ;   in Loop: Header=BB389_799 Depth=1
	s_or_b32 exec_lo, exec_lo, s15
.LBB389_1374:                           ;   in Loop: Header=BB389_799 Depth=1
	s_or_b32 exec_lo, exec_lo, s13
.LBB389_1375:                           ;   in Loop: Header=BB389_799 Depth=1
	s_or_b32 exec_lo, exec_lo, s12
	v_and_b32_sdwa v10, v20, v66 dst_sel:DWORD dst_unused:UNUSED_PAD src0_sel:WORD_1 src1_sel:DWORD
	v_mov_b32_e32 v25, 0
	v_mov_b32_e32 v28, 0
	s_mov_b32 s12, exec_lo
	v_cmpx_ne_u16_e32 0, v10
	s_cbranch_execz .LBB389_1383
; %bb.1376:                             ;   in Loop: Header=BB389_799 Depth=1
	v_bfrev_b32_e32 v28, 1
	s_mov_b32 s13, exec_lo
	v_cmpx_ne_u16_e32 0x80, v10
	s_cbranch_execz .LBB389_1382
; %bb.1377:                             ;   in Loop: Header=BB389_799 Depth=1
	v_bfe_u32 v23, v20, 16, 7
	v_mov_b32_e32 v28, 0x7f800001
	s_mov_b32 s15, exec_lo
	v_cmpx_ne_u32_e32 0x7f, v23
	s_cbranch_execz .LBB389_1381
; %bb.1378:                             ;   in Loop: Header=BB389_799 Depth=1
	v_mov_b32_e32 v10, 7
	v_lshrrev_b32_e32 v28, 3, v23
	v_cmp_gt_u32_e64 s4, 8, v23
	v_and_b32_sdwa v10, v20, v10 dst_sel:DWORD dst_unused:UNUSED_PAD src0_sel:WORD_1 src1_sel:DWORD
	v_mov_b32_e32 v24, v11
	v_mov_b32_e32 v23, v10
	s_and_saveexec_b32 s18, s4
; %bb.1379:                             ;   in Loop: Header=BB389_799 Depth=1
	v_ffbh_u32_e32 v23, v10
	v_min_u32_e32 v28, 32, v23
	v_subrev_nc_u32_e32 v23, 28, v28
	v_sub_nc_u32_e32 v28, 29, v28
	v_lshlrev_b64 v[23:24], v23, v[10:11]
	v_and_b32_e32 v23, 7, v23
; %bb.1380:                             ;   in Loop: Header=BB389_799 Depth=1
	s_or_b32 exec_lo, exec_lo, s18
	v_mov_b32_e32 v10, 24
	v_lshlrev_b32_e32 v23, 20, v23
	v_lshl_add_u32 v24, v28, 23, 0x3c000000
	v_lshlrev_b32_sdwa v10, v10, v20 dst_sel:DWORD dst_unused:UNUSED_PAD src0_sel:DWORD src1_sel:WORD_1
	v_and_b32_e32 v10, 0x80000000, v10
	v_or3_b32 v28, v23, v10, v24
.LBB389_1381:                           ;   in Loop: Header=BB389_799 Depth=1
	s_or_b32 exec_lo, exec_lo, s15
.LBB389_1382:                           ;   in Loop: Header=BB389_799 Depth=1
	s_or_b32 exec_lo, exec_lo, s13
.LBB389_1383:                           ;   in Loop: Header=BB389_799 Depth=1
	s_or_b32 exec_lo, exec_lo, s12
	s_mov_b32 s12, exec_lo
	v_cmpx_lt_u64_e64 s[8:9], v[19:20]
	s_cbranch_execz .LBB389_1391
; %bb.1384:                             ;   in Loop: Header=BB389_799 Depth=1
	v_cmp_ne_u32_sdwa s4, v20, v64 src0_sel:BYTE_3 src1_sel:DWORD
	v_bfrev_b32_e32 v25, 1
	s_and_saveexec_b32 s13, s4
	s_cbranch_execz .LBB389_1390
; %bb.1385:                             ;   in Loop: Header=BB389_799 Depth=1
	v_bfe_u32 v23, v20, 24, 7
	v_mov_b32_e32 v25, 0x7f800001
	s_mov_b32 s15, exec_lo
	v_cmpx_ne_u32_e32 0x7f, v23
	s_cbranch_execz .LBB389_1389
; %bb.1386:                             ;   in Loop: Header=BB389_799 Depth=1
	v_mov_b32_e32 v10, 7
	v_lshrrev_b32_e32 v19, 3, v23
	v_cmp_gt_u32_e64 s4, 8, v23
	v_and_b32_sdwa v10, v20, v10 dst_sel:DWORD dst_unused:UNUSED_PAD src0_sel:BYTE_3 src1_sel:DWORD
	v_mov_b32_e32 v24, v11
	v_mov_b32_e32 v23, v10
	s_and_saveexec_b32 s18, s4
; %bb.1387:                             ;   in Loop: Header=BB389_799 Depth=1
	v_ffbh_u32_e32 v19, v10
	v_min_u32_e32 v19, 32, v19
	v_subrev_nc_u32_e32 v23, 28, v19
	v_sub_nc_u32_e32 v19, 29, v19
	v_lshlrev_b64 v[23:24], v23, v[10:11]
	v_and_b32_e32 v23, 7, v23
; %bb.1388:                             ;   in Loop: Header=BB389_799 Depth=1
	s_or_b32 exec_lo, exec_lo, s18
	v_mov_b32_e32 v10, 24
	v_lshl_add_u32 v19, v19, 23, 0x3c000000
	v_lshlrev_b32_sdwa v10, v10, v20 dst_sel:DWORD dst_unused:UNUSED_PAD src0_sel:DWORD src1_sel:BYTE_3
	v_lshlrev_b32_e32 v20, 20, v23
	v_and_b32_e32 v10, 0x80000000, v10
	v_or3_b32 v25, v20, v10, v19
.LBB389_1389:                           ;   in Loop: Header=BB389_799 Depth=1
	s_or_b32 exec_lo, exec_lo, s15
.LBB389_1390:                           ;   in Loop: Header=BB389_799 Depth=1
	s_or_b32 exec_lo, exec_lo, s13
.LBB389_1391:                           ;   in Loop: Header=BB389_799 Depth=1
	s_or_b32 exec_lo, exec_lo, s12
	v_mul_f32_e32 v10, v26, v67
	v_mul_f32_e32 v4, v26, v4
	v_bfe_u32 v19, v10, 16, 1
	v_or_b32_e32 v20, 0x400000, v10
	v_cmp_u_f32_e64 s4, v10, v10
	v_add3_u32 v19, v19, v10, 0x7fff
	v_cndmask_b32_e64 v10, v19, v20, s4
	v_lshrrev_b32_e32 v109, 16, v10
	v_mul_f32_e32 v10, v26, v65
	v_bfe_u32 v19, v10, 16, 1
	v_or_b32_e32 v20, 0x400000, v10
	v_cmp_u_f32_e64 s4, v10, v10
	v_add3_u32 v19, v19, v10, 0x7fff
	v_cndmask_b32_e64 v10, v19, v20, s4
	v_lshrrev_b32_e32 v110, 16, v10
	;; [unrolled: 7-line block ×4, first 2 shown]
	v_mul_f32_e32 v10, v26, v12
	v_bfe_u32 v12, v10, 16, 1
	v_or_b32_e32 v13, 0x400000, v10
	v_cmp_u_f32_e64 s4, v10, v10
	v_add3_u32 v12, v12, v10, 0x7fff
	v_cndmask_b32_e64 v10, v12, v13, s4
	v_or_b32_e32 v12, 0x400000, v4
	v_cmp_u_f32_e64 s4, v4, v4
	v_lshrrev_b32_e32 v122, 16, v10
	v_bfe_u32 v10, v4, 16, 1
	v_add3_u32 v10, v10, v4, 0x7fff
	v_cndmask_b32_e64 v4, v10, v12, s4
	v_lshrrev_b32_e32 v123, 16, v4
	v_mul_f32_e32 v4, v26, v28
	v_bfe_u32 v10, v4, 16, 1
	v_or_b32_e32 v12, 0x400000, v4
	v_cmp_u_f32_e64 s4, v4, v4
	v_add3_u32 v10, v10, v4, 0x7fff
	v_cndmask_b32_e64 v4, v10, v12, s4
	v_lshrrev_b32_e32 v121, 16, v4
	v_mul_f32_e32 v4, v26, v25
	v_bfe_u32 v10, v4, 16, 1
	v_or_b32_e32 v12, 0x400000, v4
	v_cmp_u_f32_e64 s4, v4, v4
	v_add3_u32 v10, v10, v4, 0x7fff
	v_cndmask_b32_e64 v4, v10, v12, s4
	v_lshrrev_b32_e32 v124, 16, v4
	s_and_saveexec_b32 s12, vcc_lo
	s_cbranch_execz .LBB389_1393
; %bb.1392:                             ;   in Loop: Header=BB389_799 Depth=1
	v_cmp_lt_i32_e64 s4, v117, v35
	v_cndmask_b32_e64 v123, 0, v123, s4
	v_cmp_lt_i32_e64 s4, v43, v35
	v_cndmask_b32_e64 v122, 0, v122, s4
	v_cmp_lt_i32_e64 s4, v42, v35
	v_cndmask_b32_e64 v120, 0, v120, s4
	v_cmp_lt_i32_e64 s4, v41, v35
	v_cndmask_b32_e64 v111, 0, v111, s4
	v_cmp_lt_i32_e64 s4, v40, v35
	v_cndmask_b32_e64 v110, 0, v110, s4
	v_cmp_lt_i32_e64 s4, v119, v35
	v_cndmask_b32_e64 v109, 0, v109, s4
	v_cmp_lt_i32_e64 s4, v118, v35
	v_cndmask_b32_e64 v121, 0, v121, s4
	v_cmp_lt_i32_e64 s4, v54, v35
	v_cndmask_b32_e64 v124, 0, v124, s4
.LBB389_1393:                           ;   in Loop: Header=BB389_799 Depth=1
	s_or_b32 exec_lo, exec_lo, s12
	flat_load_dwordx2 v[19:20], v[17:18] offset:256
	v_mov_b32_e32 v4, 0
	v_mov_b32_e32 v12, 0
	s_waitcnt vmcnt(0) lgkmcnt(0)
	v_cmp_ne_u16_sdwa s4, v19, v11 src0_sel:BYTE_0 src1_sel:DWORD
	s_and_saveexec_b32 s12, s4
	s_cbranch_execz .LBB389_1401
; %bb.1394:                             ;   in Loop: Header=BB389_799 Depth=1
	v_cmp_ne_u16_sdwa s4, v19, v64 src0_sel:BYTE_0 src1_sel:DWORD
	v_bfrev_b32_e32 v12, 1
	s_and_saveexec_b32 s13, s4
	s_cbranch_execz .LBB389_1400
; %bb.1395:                             ;   in Loop: Header=BB389_799 Depth=1
	v_and_b32_e32 v13, 0x7f, v19
	v_mov_b32_e32 v12, 0x7f800001
	s_mov_b32 s15, exec_lo
	v_cmpx_ne_u32_e32 0x7f, v13
	s_cbranch_execz .LBB389_1399
; %bb.1396:                             ;   in Loop: Header=BB389_799 Depth=1
	v_mov_b32_e32 v24, v20
	v_lshrrev_b32_e32 v10, 3, v13
	v_mov_b32_e32 v23, v19
	s_mov_b32 s18, exec_lo
	v_cmpx_gt_u32_e32 8, v13
; %bb.1397:                             ;   in Loop: Header=BB389_799 Depth=1
	v_and_b32_e32 v10, 7, v19
	v_ffbh_u32_e32 v10, v10
	v_min_u32_e32 v10, 32, v10
	v_subrev_nc_u32_e32 v12, 28, v10
	v_sub_nc_u32_e32 v10, 29, v10
	v_lshlrev_b64 v[23:24], v12, v[19:20]
; %bb.1398:                             ;   in Loop: Header=BB389_799 Depth=1
	s_or_b32 exec_lo, exec_lo, s18
	v_lshlrev_b32_e32 v12, 20, v23
	v_lshlrev_b32_e32 v13, 24, v19
	v_lshl_add_u32 v10, v10, 23, 0x3c000000
	v_and_b32_e32 v12, 0x700000, v12
	v_and_b32_e32 v13, 0x80000000, v13
	v_or3_b32 v12, v12, v13, v10
.LBB389_1399:                           ;   in Loop: Header=BB389_799 Depth=1
	s_or_b32 exec_lo, exec_lo, s15
.LBB389_1400:                           ;   in Loop: Header=BB389_799 Depth=1
	s_or_b32 exec_lo, exec_lo, s13
.LBB389_1401:                           ;   in Loop: Header=BB389_799 Depth=1
	s_or_b32 exec_lo, exec_lo, s12
	v_cmp_ne_u16_sdwa s4, v19, v11 src0_sel:BYTE_1 src1_sel:DWORD
	s_and_saveexec_b32 s12, s4
	s_cbranch_execz .LBB389_1409
; %bb.1402:                             ;   in Loop: Header=BB389_799 Depth=1
	v_cmp_ne_u16_sdwa s4, v19, v64 src0_sel:BYTE_1 src1_sel:DWORD
	v_bfrev_b32_e32 v4, 1
	s_and_saveexec_b32 s13, s4
	s_cbranch_execz .LBB389_1408
; %bb.1403:                             ;   in Loop: Header=BB389_799 Depth=1
	v_mov_b32_e32 v4, 0xffff
	s_mov_b32 s15, exec_lo
	v_and_b32_sdwa v10, v4, v19 dst_sel:DWORD dst_unused:UNUSED_PAD src0_sel:DWORD src1_sel:BYTE_1
	v_mov_b32_e32 v4, 0x7f800001
	v_and_b32_e32 v13, 0x7f, v10
	v_cmpx_ne_u32_e32 0x7f, v13
	s_cbranch_execz .LBB389_1407
; %bb.1404:                             ;   in Loop: Header=BB389_799 Depth=1
	v_and_b32_e32 v10, 7, v10
	v_mov_b32_e32 v24, v11
	v_lshrrev_b32_e32 v4, 3, v13
	s_mov_b32 s18, exec_lo
	v_mov_b32_e32 v23, v10
	v_cmpx_gt_u32_e32 8, v13
; %bb.1405:                             ;   in Loop: Header=BB389_799 Depth=1
	v_ffbh_u32_e32 v4, v10
	v_min_u32_e32 v4, 32, v4
	v_subrev_nc_u32_e32 v13, 28, v4
	v_sub_nc_u32_e32 v4, 29, v4
	v_lshlrev_b64 v[23:24], v13, v[10:11]
	v_and_b32_e32 v23, 7, v23
; %bb.1406:                             ;   in Loop: Header=BB389_799 Depth=1
	s_or_b32 exec_lo, exec_lo, s18
	v_lshlrev_b32_e32 v10, 16, v19
	v_lshlrev_b32_e32 v13, 20, v23
	v_lshl_add_u32 v4, v4, 23, 0x3c000000
	v_and_b32_e32 v10, 0x80000000, v10
	v_or3_b32 v4, v13, v10, v4
.LBB389_1407:                           ;   in Loop: Header=BB389_799 Depth=1
	s_or_b32 exec_lo, exec_lo, s15
.LBB389_1408:                           ;   in Loop: Header=BB389_799 Depth=1
	s_or_b32 exec_lo, exec_lo, s13
.LBB389_1409:                           ;   in Loop: Header=BB389_799 Depth=1
	s_or_b32 exec_lo, exec_lo, s12
	v_and_b32_sdwa v10, v19, v66 dst_sel:DWORD dst_unused:UNUSED_PAD src0_sel:WORD_1 src1_sel:DWORD
	v_mov_b32_e32 v21, 0
	v_mov_b32_e32 v13, 0
	s_mov_b32 s12, exec_lo
	v_cmpx_ne_u16_e32 0, v10
	s_cbranch_execz .LBB389_1417
; %bb.1410:                             ;   in Loop: Header=BB389_799 Depth=1
	v_bfrev_b32_e32 v13, 1
	s_mov_b32 s13, exec_lo
	v_cmpx_ne_u16_e32 0x80, v10
	s_cbranch_execz .LBB389_1416
; %bb.1411:                             ;   in Loop: Header=BB389_799 Depth=1
	v_bfe_u32 v23, v19, 16, 7
	v_mov_b32_e32 v13, 0x7f800001
	s_mov_b32 s15, exec_lo
	v_cmpx_ne_u32_e32 0x7f, v23
	s_cbranch_execz .LBB389_1415
; %bb.1412:                             ;   in Loop: Header=BB389_799 Depth=1
	v_mov_b32_e32 v10, 7
	v_lshrrev_b32_e32 v13, 3, v23
	v_cmp_gt_u32_e64 s4, 8, v23
	v_and_b32_sdwa v10, v19, v10 dst_sel:DWORD dst_unused:UNUSED_PAD src0_sel:WORD_1 src1_sel:DWORD
	v_mov_b32_e32 v24, v11
	v_mov_b32_e32 v23, v10
	s_and_saveexec_b32 s18, s4
; %bb.1413:                             ;   in Loop: Header=BB389_799 Depth=1
	v_ffbh_u32_e32 v13, v10
	v_min_u32_e32 v13, 32, v13
	v_subrev_nc_u32_e32 v23, 28, v13
	v_sub_nc_u32_e32 v13, 29, v13
	v_lshlrev_b64 v[23:24], v23, v[10:11]
	v_and_b32_e32 v23, 7, v23
; %bb.1414:                             ;   in Loop: Header=BB389_799 Depth=1
	s_or_b32 exec_lo, exec_lo, s18
	v_mov_b32_e32 v10, 24
	v_lshlrev_b32_e32 v23, 20, v23
	v_lshl_add_u32 v13, v13, 23, 0x3c000000
	v_lshlrev_b32_sdwa v10, v10, v19 dst_sel:DWORD dst_unused:UNUSED_PAD src0_sel:DWORD src1_sel:WORD_1
	v_and_b32_e32 v10, 0x80000000, v10
	v_or3_b32 v13, v23, v10, v13
.LBB389_1415:                           ;   in Loop: Header=BB389_799 Depth=1
	s_or_b32 exec_lo, exec_lo, s15
.LBB389_1416:                           ;   in Loop: Header=BB389_799 Depth=1
	s_or_b32 exec_lo, exec_lo, s13
.LBB389_1417:                           ;   in Loop: Header=BB389_799 Depth=1
	s_or_b32 exec_lo, exec_lo, s12
	s_mov_b32 s12, exec_lo
	v_cmpx_lt_u32_e32 0xffffff, v19
	s_cbranch_execz .LBB389_1425
; %bb.1418:                             ;   in Loop: Header=BB389_799 Depth=1
	v_cmp_ne_u32_sdwa s4, v19, v64 src0_sel:BYTE_3 src1_sel:DWORD
	v_bfrev_b32_e32 v21, 1
	s_and_saveexec_b32 s13, s4
	s_cbranch_execz .LBB389_1424
; %bb.1419:                             ;   in Loop: Header=BB389_799 Depth=1
	v_bfe_u32 v23, v19, 24, 7
	v_mov_b32_e32 v21, 0x7f800001
	s_mov_b32 s15, exec_lo
	v_cmpx_ne_u32_e32 0x7f, v23
	s_cbranch_execz .LBB389_1423
; %bb.1420:                             ;   in Loop: Header=BB389_799 Depth=1
	v_mov_b32_e32 v10, 7
	v_lshrrev_b32_e32 v21, 3, v23
	v_cmp_gt_u32_e64 s4, 8, v23
	v_and_b32_sdwa v10, v19, v10 dst_sel:DWORD dst_unused:UNUSED_PAD src0_sel:BYTE_3 src1_sel:DWORD
	v_mov_b32_e32 v24, v11
	v_mov_b32_e32 v23, v10
	s_and_saveexec_b32 s18, s4
; %bb.1421:                             ;   in Loop: Header=BB389_799 Depth=1
	v_ffbh_u32_e32 v21, v10
	v_min_u32_e32 v21, 32, v21
	v_subrev_nc_u32_e32 v23, 28, v21
	v_sub_nc_u32_e32 v21, 29, v21
	v_lshlrev_b64 v[23:24], v23, v[10:11]
	v_and_b32_e32 v23, 7, v23
; %bb.1422:                             ;   in Loop: Header=BB389_799 Depth=1
	s_or_b32 exec_lo, exec_lo, s18
	v_mov_b32_e32 v10, 24
	v_lshlrev_b32_e32 v23, 20, v23
	v_lshl_add_u32 v21, v21, 23, 0x3c000000
	v_lshlrev_b32_sdwa v10, v10, v19 dst_sel:DWORD dst_unused:UNUSED_PAD src0_sel:DWORD src1_sel:BYTE_3
	v_and_b32_e32 v10, 0x80000000, v10
	v_or3_b32 v21, v23, v10, v21
.LBB389_1423:                           ;   in Loop: Header=BB389_799 Depth=1
	s_or_b32 exec_lo, exec_lo, s15
.LBB389_1424:                           ;   in Loop: Header=BB389_799 Depth=1
	s_or_b32 exec_lo, exec_lo, s13
.LBB389_1425:                           ;   in Loop: Header=BB389_799 Depth=1
	s_or_b32 exec_lo, exec_lo, s12
	v_mov_b32_e32 v10, v20
	v_cmp_ne_u16_sdwa s4, v20, v11 src0_sel:BYTE_0 src1_sel:DWORD
	v_mov_b32_e32 v67, 0
	v_mov_b32_e32 v28, 0
	s_and_saveexec_b32 s12, s4
	s_cbranch_execz .LBB389_1433
; %bb.1426:                             ;   in Loop: Header=BB389_799 Depth=1
	v_cmp_ne_u16_sdwa s4, v20, v64 src0_sel:BYTE_0 src1_sel:DWORD
	v_bfrev_b32_e32 v28, 1
	s_and_saveexec_b32 s13, s4
	s_cbranch_execz .LBB389_1432
; %bb.1427:                             ;   in Loop: Header=BB389_799 Depth=1
	v_and_b32_e32 v23, 0x7f, v20
	v_mov_b32_e32 v28, 0x7f800001
	s_mov_b32 s15, exec_lo
	v_cmpx_ne_u32_e32 0x7f, v23
	s_cbranch_execz .LBB389_1431
; %bb.1428:                             ;   in Loop: Header=BB389_799 Depth=1
	v_lshrrev_b32_e32 v25, 3, v23
	v_cmp_gt_u32_e64 s4, 8, v23
	v_mov_b32_e32 v24, v11
	v_mov_b32_e32 v23, v10
	s_and_saveexec_b32 s18, s4
; %bb.1429:                             ;   in Loop: Header=BB389_799 Depth=1
	v_and_b32_e32 v23, 7, v20
	v_ffbh_u32_e32 v23, v23
	v_min_u32_e32 v25, 32, v23
	v_subrev_nc_u32_e32 v23, 28, v25
	v_sub_nc_u32_e32 v25, 29, v25
	v_lshlrev_b64 v[23:24], v23, v[10:11]
; %bb.1430:                             ;   in Loop: Header=BB389_799 Depth=1
	s_or_b32 exec_lo, exec_lo, s18
	v_lshlrev_b32_e32 v23, 20, v23
	v_lshlrev_b32_e32 v24, 24, v10
	v_lshl_add_u32 v25, v25, 23, 0x3c000000
	v_and_b32_e32 v23, 0x700000, v23
	v_and_b32_e32 v24, 0x80000000, v24
	v_or3_b32 v28, v23, v24, v25
.LBB389_1431:                           ;   in Loop: Header=BB389_799 Depth=1
	s_or_b32 exec_lo, exec_lo, s15
.LBB389_1432:                           ;   in Loop: Header=BB389_799 Depth=1
	s_or_b32 exec_lo, exec_lo, s13
.LBB389_1433:                           ;   in Loop: Header=BB389_799 Depth=1
	s_or_b32 exec_lo, exec_lo, s12
	v_cmp_ne_u16_sdwa s4, v10, v11 src0_sel:BYTE_1 src1_sel:DWORD
	s_and_saveexec_b32 s12, s4
	s_cbranch_execz .LBB389_1441
; %bb.1434:                             ;   in Loop: Header=BB389_799 Depth=1
	v_cmp_ne_u16_sdwa s4, v10, v64 src0_sel:BYTE_1 src1_sel:DWORD
	v_bfrev_b32_e32 v67, 1
	s_and_saveexec_b32 s13, s4
	s_cbranch_execz .LBB389_1440
; %bb.1435:                             ;   in Loop: Header=BB389_799 Depth=1
	v_mov_b32_e32 v23, 0xffff
	v_mov_b32_e32 v67, 0x7f800001
	s_mov_b32 s15, exec_lo
	v_and_b32_sdwa v23, v23, v10 dst_sel:DWORD dst_unused:UNUSED_PAD src0_sel:DWORD src1_sel:BYTE_1
	v_and_b32_e32 v65, 0x7f, v23
	v_cmpx_ne_u32_e32 0x7f, v65
	s_cbranch_execz .LBB389_1439
; %bb.1436:                             ;   in Loop: Header=BB389_799 Depth=1
	v_and_b32_e32 v23, 7, v23
	v_mov_b32_e32 v24, v11
	v_lshrrev_b32_e32 v25, 3, v65
	s_mov_b32 s18, exec_lo
	v_cmpx_gt_u32_e32 8, v65
; %bb.1437:                             ;   in Loop: Header=BB389_799 Depth=1
	v_ffbh_u32_e32 v25, v23
	v_min_u32_e32 v25, 32, v25
	v_subrev_nc_u32_e32 v65, 28, v25
	v_sub_nc_u32_e32 v25, 29, v25
	v_lshlrev_b64 v[23:24], v65, v[23:24]
	v_and_b32_e32 v23, 7, v23
; %bb.1438:                             ;   in Loop: Header=BB389_799 Depth=1
	s_or_b32 exec_lo, exec_lo, s18
	v_lshlrev_b32_e32 v10, 16, v10
	v_lshlrev_b32_e32 v23, 20, v23
	v_lshl_add_u32 v24, v25, 23, 0x3c000000
	v_and_b32_e32 v10, 0x80000000, v10
	v_or3_b32 v67, v23, v10, v24
.LBB389_1439:                           ;   in Loop: Header=BB389_799 Depth=1
	s_or_b32 exec_lo, exec_lo, s15
.LBB389_1440:                           ;   in Loop: Header=BB389_799 Depth=1
	s_or_b32 exec_lo, exec_lo, s13
.LBB389_1441:                           ;   in Loop: Header=BB389_799 Depth=1
	s_or_b32 exec_lo, exec_lo, s12
	v_and_b32_sdwa v10, v20, v66 dst_sel:DWORD dst_unused:UNUSED_PAD src0_sel:WORD_1 src1_sel:DWORD
	v_mov_b32_e32 v65, 0
	v_mov_b32_e32 v25, 0
	s_mov_b32 s12, exec_lo
	v_cmpx_ne_u16_e32 0, v10
	s_cbranch_execz .LBB389_1449
; %bb.1442:                             ;   in Loop: Header=BB389_799 Depth=1
	v_bfrev_b32_e32 v25, 1
	s_mov_b32 s13, exec_lo
	v_cmpx_ne_u16_e32 0x80, v10
	s_cbranch_execz .LBB389_1448
; %bb.1443:                             ;   in Loop: Header=BB389_799 Depth=1
	v_bfe_u32 v23, v20, 16, 7
	v_mov_b32_e32 v25, 0x7f800001
	s_mov_b32 s15, exec_lo
	v_cmpx_ne_u32_e32 0x7f, v23
	s_cbranch_execz .LBB389_1447
; %bb.1444:                             ;   in Loop: Header=BB389_799 Depth=1
	v_mov_b32_e32 v10, 7
	v_lshrrev_b32_e32 v25, 3, v23
	v_cmp_gt_u32_e64 s4, 8, v23
	v_and_b32_sdwa v10, v20, v10 dst_sel:DWORD dst_unused:UNUSED_PAD src0_sel:WORD_1 src1_sel:DWORD
	v_mov_b32_e32 v24, v11
	v_mov_b32_e32 v23, v10
	s_and_saveexec_b32 s18, s4
; %bb.1445:                             ;   in Loop: Header=BB389_799 Depth=1
	v_ffbh_u32_e32 v23, v10
	v_min_u32_e32 v25, 32, v23
	v_subrev_nc_u32_e32 v23, 28, v25
	v_sub_nc_u32_e32 v25, 29, v25
	v_lshlrev_b64 v[23:24], v23, v[10:11]
	v_and_b32_e32 v23, 7, v23
; %bb.1446:                             ;   in Loop: Header=BB389_799 Depth=1
	s_or_b32 exec_lo, exec_lo, s18
	v_mov_b32_e32 v10, 24
	v_lshlrev_b32_e32 v23, 20, v23
	v_lshl_add_u32 v24, v25, 23, 0x3c000000
	v_lshlrev_b32_sdwa v10, v10, v20 dst_sel:DWORD dst_unused:UNUSED_PAD src0_sel:DWORD src1_sel:WORD_1
	v_and_b32_e32 v10, 0x80000000, v10
	v_or3_b32 v25, v23, v10, v24
.LBB389_1447:                           ;   in Loop: Header=BB389_799 Depth=1
	s_or_b32 exec_lo, exec_lo, s15
.LBB389_1448:                           ;   in Loop: Header=BB389_799 Depth=1
	s_or_b32 exec_lo, exec_lo, s13
.LBB389_1449:                           ;   in Loop: Header=BB389_799 Depth=1
	s_or_b32 exec_lo, exec_lo, s12
	s_mov_b32 s12, exec_lo
	v_cmpx_lt_u64_e64 s[8:9], v[19:20]
	s_cbranch_execz .LBB389_1457
; %bb.1450:                             ;   in Loop: Header=BB389_799 Depth=1
	v_cmp_ne_u32_sdwa s4, v20, v64 src0_sel:BYTE_3 src1_sel:DWORD
	v_bfrev_b32_e32 v65, 1
	s_and_saveexec_b32 s13, s4
	s_cbranch_execz .LBB389_1456
; %bb.1451:                             ;   in Loop: Header=BB389_799 Depth=1
	v_bfe_u32 v23, v20, 24, 7
	v_mov_b32_e32 v65, 0x7f800001
	s_mov_b32 s15, exec_lo
	v_cmpx_ne_u32_e32 0x7f, v23
	s_cbranch_execz .LBB389_1455
; %bb.1452:                             ;   in Loop: Header=BB389_799 Depth=1
	v_mov_b32_e32 v10, 7
	v_lshrrev_b32_e32 v19, 3, v23
	v_cmp_gt_u32_e64 s4, 8, v23
	v_and_b32_sdwa v10, v20, v10 dst_sel:DWORD dst_unused:UNUSED_PAD src0_sel:BYTE_3 src1_sel:DWORD
	v_mov_b32_e32 v24, v11
	v_mov_b32_e32 v23, v10
	s_and_saveexec_b32 s18, s4
; %bb.1453:                             ;   in Loop: Header=BB389_799 Depth=1
	v_ffbh_u32_e32 v19, v10
	v_min_u32_e32 v19, 32, v19
	v_subrev_nc_u32_e32 v23, 28, v19
	v_sub_nc_u32_e32 v19, 29, v19
	v_lshlrev_b64 v[23:24], v23, v[10:11]
	v_and_b32_e32 v23, 7, v23
; %bb.1454:                             ;   in Loop: Header=BB389_799 Depth=1
	s_or_b32 exec_lo, exec_lo, s18
	v_mov_b32_e32 v10, 24
	v_lshl_add_u32 v19, v19, 23, 0x3c000000
	v_lshlrev_b32_sdwa v10, v10, v20 dst_sel:DWORD dst_unused:UNUSED_PAD src0_sel:DWORD src1_sel:BYTE_3
	v_lshlrev_b32_e32 v20, 20, v23
	v_and_b32_e32 v10, 0x80000000, v10
	v_or3_b32 v65, v20, v10, v19
.LBB389_1455:                           ;   in Loop: Header=BB389_799 Depth=1
	s_or_b32 exec_lo, exec_lo, s15
.LBB389_1456:                           ;   in Loop: Header=BB389_799 Depth=1
	s_or_b32 exec_lo, exec_lo, s13
.LBB389_1457:                           ;   in Loop: Header=BB389_799 Depth=1
	s_or_b32 exec_lo, exec_lo, s12
	v_mul_f32_e32 v10, v26, v67
	v_mul_f32_e32 v4, v26, v4
	v_bfe_u32 v19, v10, 16, 1
	v_or_b32_e32 v20, 0x400000, v10
	v_cmp_u_f32_e64 s4, v10, v10
	v_add3_u32 v19, v19, v10, 0x7fff
	v_cndmask_b32_e64 v10, v19, v20, s4
	v_lshrrev_b32_e32 v126, 16, v10
	v_mul_f32_e32 v10, v26, v28
	v_bfe_u32 v19, v10, 16, 1
	v_or_b32_e32 v20, 0x400000, v10
	v_cmp_u_f32_e64 s4, v10, v10
	v_add3_u32 v19, v19, v10, 0x7fff
	v_cndmask_b32_e64 v10, v19, v20, s4
	v_lshrrev_b32_e32 v127, 16, v10
	;; [unrolled: 7-line block ×3, first 2 shown]
	v_mul_f32_e32 v10, v26, v13
	v_bfe_u32 v13, v10, 16, 1
	v_or_b32_e32 v19, 0x400000, v10
	v_cmp_u_f32_e64 s4, v10, v10
	v_add3_u32 v13, v13, v10, 0x7fff
	v_cndmask_b32_e64 v10, v13, v19, s4
	v_or_b32_e32 v13, 0x400000, v4
	v_cmp_u_f32_e64 s4, v4, v4
	v_lshrrev_b32_e32 v21, 16, v10
	v_bfe_u32 v10, v4, 16, 1
	v_add3_u32 v10, v10, v4, 0x7fff
	v_cndmask_b32_e64 v4, v10, v13, s4
	v_mul_f32_e32 v10, v26, v12
	v_lshrrev_b32_e32 v4, 16, v4
	v_bfe_u32 v12, v10, 16, 1
	v_or_b32_e32 v13, 0x400000, v10
	v_cmp_u_f32_e64 s4, v10, v10
	v_add3_u32 v12, v12, v10, 0x7fff
	v_cndmask_b32_e64 v10, v12, v13, s4
	v_lshrrev_b32_e32 v12, 16, v10
	v_mul_f32_e32 v10, v26, v25
	v_bfe_u32 v13, v10, 16, 1
	v_or_b32_e32 v19, 0x400000, v10
	v_cmp_u_f32_e64 s4, v10, v10
	v_add3_u32 v13, v13, v10, 0x7fff
	v_cndmask_b32_e64 v10, v13, v19, s4
	v_lshrrev_b32_e32 v25, 16, v10
	v_mul_f32_e32 v10, v26, v65
	v_bfe_u32 v13, v10, 16, 1
	v_or_b32_e32 v19, 0x400000, v10
	v_cmp_u_f32_e64 s4, v10, v10
	v_add3_u32 v13, v13, v10, 0x7fff
	v_cndmask_b32_e64 v10, v13, v19, s4
	v_lshrrev_b32_e32 v13, 16, v10
	s_and_saveexec_b32 s12, vcc_lo
	s_cbranch_execz .LBB389_1459
; %bb.1458:                             ;   in Loop: Header=BB389_799 Depth=1
	v_cmp_lt_i32_e64 s4, v117, v35
	v_cndmask_b32_e64 v12, 0, v12, s4
	v_cmp_lt_i32_e64 s4, v43, v35
	v_cndmask_b32_e64 v4, 0, v4, s4
	;; [unrolled: 2-line block ×8, first 2 shown]
.LBB389_1459:                           ;   in Loop: Header=BB389_799 Depth=1
	s_or_b32 exec_lo, exec_lo, s12
	flat_load_dwordx2 v[19:20], v[17:18] offset:512
	v_mov_b32_e32 v71, 0
	v_mov_b32_e32 v70, 0
	s_waitcnt vmcnt(0) lgkmcnt(0)
	v_cmp_ne_u16_sdwa s4, v19, v11 src0_sel:BYTE_0 src1_sel:DWORD
	s_and_saveexec_b32 s12, s4
	s_cbranch_execz .LBB389_1467
; %bb.1460:                             ;   in Loop: Header=BB389_799 Depth=1
	v_cmp_ne_u16_sdwa s4, v19, v64 src0_sel:BYTE_0 src1_sel:DWORD
	v_bfrev_b32_e32 v70, 1
	s_and_saveexec_b32 s13, s4
	s_cbranch_execz .LBB389_1466
; %bb.1461:                             ;   in Loop: Header=BB389_799 Depth=1
	v_and_b32_e32 v23, 0x7f, v19
	v_mov_b32_e32 v70, 0x7f800001
	s_mov_b32 s15, exec_lo
	v_cmpx_ne_u32_e32 0x7f, v23
	s_cbranch_execz .LBB389_1465
; %bb.1462:                             ;   in Loop: Header=BB389_799 Depth=1
	v_lshrrev_b32_e32 v10, 3, v23
	v_cmp_gt_u32_e64 s4, 8, v23
	v_mov_b32_e32 v24, v20
	v_mov_b32_e32 v23, v19
	s_and_saveexec_b32 s18, s4
; %bb.1463:                             ;   in Loop: Header=BB389_799 Depth=1
	v_and_b32_e32 v10, 7, v19
	v_ffbh_u32_e32 v10, v10
	v_min_u32_e32 v10, 32, v10
	v_subrev_nc_u32_e32 v23, 28, v10
	v_sub_nc_u32_e32 v10, 29, v10
	v_lshlrev_b64 v[23:24], v23, v[19:20]
; %bb.1464:                             ;   in Loop: Header=BB389_799 Depth=1
	s_or_b32 exec_lo, exec_lo, s18
	v_lshlrev_b32_e32 v23, 20, v23
	v_lshlrev_b32_e32 v24, 24, v19
	v_lshl_add_u32 v10, v10, 23, 0x3c000000
	v_and_b32_e32 v23, 0x700000, v23
	v_and_b32_e32 v24, 0x80000000, v24
	v_or3_b32 v70, v23, v24, v10
.LBB389_1465:                           ;   in Loop: Header=BB389_799 Depth=1
	s_or_b32 exec_lo, exec_lo, s15
.LBB389_1466:                           ;   in Loop: Header=BB389_799 Depth=1
	s_or_b32 exec_lo, exec_lo, s13
.LBB389_1467:                           ;   in Loop: Header=BB389_799 Depth=1
	s_or_b32 exec_lo, exec_lo, s12
	v_cmp_ne_u16_sdwa s4, v19, v11 src0_sel:BYTE_1 src1_sel:DWORD
	s_and_saveexec_b32 s12, s4
	s_cbranch_execz .LBB389_1475
; %bb.1468:                             ;   in Loop: Header=BB389_799 Depth=1
	v_cmp_ne_u16_sdwa s4, v19, v64 src0_sel:BYTE_1 src1_sel:DWORD
	v_bfrev_b32_e32 v71, 1
	s_and_saveexec_b32 s13, s4
	s_cbranch_execz .LBB389_1474
; %bb.1469:                             ;   in Loop: Header=BB389_799 Depth=1
	v_mov_b32_e32 v10, 0xffff
	v_mov_b32_e32 v71, 0x7f800001
	s_mov_b32 s15, exec_lo
	v_and_b32_sdwa v10, v10, v19 dst_sel:DWORD dst_unused:UNUSED_PAD src0_sel:DWORD src1_sel:BYTE_1
	v_and_b32_e32 v23, 0x7f, v10
	v_cmpx_ne_u32_e32 0x7f, v23
	s_cbranch_execz .LBB389_1473
; %bb.1470:                             ;   in Loop: Header=BB389_799 Depth=1
	v_and_b32_e32 v10, 7, v10
	v_lshrrev_b32_e32 v65, 3, v23
	v_cmp_gt_u32_e64 s4, 8, v23
	v_mov_b32_e32 v24, v11
	v_mov_b32_e32 v23, v10
	s_and_saveexec_b32 s18, s4
; %bb.1471:                             ;   in Loop: Header=BB389_799 Depth=1
	v_ffbh_u32_e32 v23, v10
	v_min_u32_e32 v65, 32, v23
	v_subrev_nc_u32_e32 v23, 28, v65
	v_sub_nc_u32_e32 v65, 29, v65
	v_lshlrev_b64 v[23:24], v23, v[10:11]
	v_and_b32_e32 v23, 7, v23
; %bb.1472:                             ;   in Loop: Header=BB389_799 Depth=1
	s_or_b32 exec_lo, exec_lo, s18
	v_lshlrev_b32_e32 v10, 16, v19
	v_lshlrev_b32_e32 v23, 20, v23
	v_lshl_add_u32 v24, v65, 23, 0x3c000000
	v_and_b32_e32 v10, 0x80000000, v10
	v_or3_b32 v71, v23, v10, v24
.LBB389_1473:                           ;   in Loop: Header=BB389_799 Depth=1
	s_or_b32 exec_lo, exec_lo, s15
.LBB389_1474:                           ;   in Loop: Header=BB389_799 Depth=1
	s_or_b32 exec_lo, exec_lo, s13
.LBB389_1475:                           ;   in Loop: Header=BB389_799 Depth=1
	s_or_b32 exec_lo, exec_lo, s12
	v_and_b32_sdwa v10, v19, v66 dst_sel:DWORD dst_unused:UNUSED_PAD src0_sel:WORD_1 src1_sel:DWORD
	v_mov_b32_e32 v68, 0
	v_mov_b32_e32 v69, 0
	s_mov_b32 s12, exec_lo
	v_cmpx_ne_u16_e32 0, v10
	s_cbranch_execz .LBB389_1483
; %bb.1476:                             ;   in Loop: Header=BB389_799 Depth=1
	v_bfrev_b32_e32 v69, 1
	s_mov_b32 s13, exec_lo
	v_cmpx_ne_u16_e32 0x80, v10
	s_cbranch_execz .LBB389_1482
; %bb.1477:                             ;   in Loop: Header=BB389_799 Depth=1
	v_bfe_u32 v23, v19, 16, 7
	v_mov_b32_e32 v69, 0x7f800001
	s_mov_b32 s15, exec_lo
	v_cmpx_ne_u32_e32 0x7f, v23
	s_cbranch_execz .LBB389_1481
; %bb.1478:                             ;   in Loop: Header=BB389_799 Depth=1
	v_mov_b32_e32 v10, 7
	v_lshrrev_b32_e32 v65, 3, v23
	v_cmp_gt_u32_e64 s4, 8, v23
	v_and_b32_sdwa v10, v19, v10 dst_sel:DWORD dst_unused:UNUSED_PAD src0_sel:WORD_1 src1_sel:DWORD
	v_mov_b32_e32 v24, v11
	v_mov_b32_e32 v23, v10
	s_and_saveexec_b32 s18, s4
; %bb.1479:                             ;   in Loop: Header=BB389_799 Depth=1
	v_ffbh_u32_e32 v23, v10
	v_min_u32_e32 v65, 32, v23
	v_subrev_nc_u32_e32 v23, 28, v65
	v_sub_nc_u32_e32 v65, 29, v65
	v_lshlrev_b64 v[23:24], v23, v[10:11]
	v_and_b32_e32 v23, 7, v23
; %bb.1480:                             ;   in Loop: Header=BB389_799 Depth=1
	s_or_b32 exec_lo, exec_lo, s18
	v_mov_b32_e32 v10, 24
	v_lshlrev_b32_e32 v23, 20, v23
	v_lshl_add_u32 v24, v65, 23, 0x3c000000
	v_lshlrev_b32_sdwa v10, v10, v19 dst_sel:DWORD dst_unused:UNUSED_PAD src0_sel:DWORD src1_sel:WORD_1
	v_and_b32_e32 v10, 0x80000000, v10
	v_or3_b32 v69, v23, v10, v24
.LBB389_1481:                           ;   in Loop: Header=BB389_799 Depth=1
	s_or_b32 exec_lo, exec_lo, s15
.LBB389_1482:                           ;   in Loop: Header=BB389_799 Depth=1
	s_or_b32 exec_lo, exec_lo, s13
.LBB389_1483:                           ;   in Loop: Header=BB389_799 Depth=1
	s_or_b32 exec_lo, exec_lo, s12
	s_mov_b32 s12, exec_lo
	v_cmpx_lt_u32_e32 0xffffff, v19
	s_cbranch_execz .LBB389_1491
; %bb.1484:                             ;   in Loop: Header=BB389_799 Depth=1
	v_cmp_ne_u32_sdwa s4, v19, v64 src0_sel:BYTE_3 src1_sel:DWORD
	v_bfrev_b32_e32 v68, 1
	s_and_saveexec_b32 s13, s4
	s_cbranch_execz .LBB389_1490
; %bb.1485:                             ;   in Loop: Header=BB389_799 Depth=1
	v_bfe_u32 v23, v19, 24, 7
	v_mov_b32_e32 v68, 0x7f800001
	s_mov_b32 s15, exec_lo
	v_cmpx_ne_u32_e32 0x7f, v23
	s_cbranch_execz .LBB389_1489
; %bb.1486:                             ;   in Loop: Header=BB389_799 Depth=1
	v_mov_b32_e32 v10, 7
	v_lshrrev_b32_e32 v65, 3, v23
	v_cmp_gt_u32_e64 s4, 8, v23
	v_and_b32_sdwa v10, v19, v10 dst_sel:DWORD dst_unused:UNUSED_PAD src0_sel:BYTE_3 src1_sel:DWORD
	v_mov_b32_e32 v24, v11
	v_mov_b32_e32 v23, v10
	s_and_saveexec_b32 s18, s4
; %bb.1487:                             ;   in Loop: Header=BB389_799 Depth=1
	v_ffbh_u32_e32 v23, v10
	v_min_u32_e32 v65, 32, v23
	v_subrev_nc_u32_e32 v23, 28, v65
	v_sub_nc_u32_e32 v65, 29, v65
	v_lshlrev_b64 v[23:24], v23, v[10:11]
	v_and_b32_e32 v23, 7, v23
; %bb.1488:                             ;   in Loop: Header=BB389_799 Depth=1
	s_or_b32 exec_lo, exec_lo, s18
	v_mov_b32_e32 v10, 24
	v_lshlrev_b32_e32 v23, 20, v23
	v_lshl_add_u32 v24, v65, 23, 0x3c000000
	v_lshlrev_b32_sdwa v10, v10, v19 dst_sel:DWORD dst_unused:UNUSED_PAD src0_sel:DWORD src1_sel:BYTE_3
	v_and_b32_e32 v10, 0x80000000, v10
	v_or3_b32 v68, v23, v10, v24
.LBB389_1489:                           ;   in Loop: Header=BB389_799 Depth=1
	s_or_b32 exec_lo, exec_lo, s15
.LBB389_1490:                           ;   in Loop: Header=BB389_799 Depth=1
	s_or_b32 exec_lo, exec_lo, s13
.LBB389_1491:                           ;   in Loop: Header=BB389_799 Depth=1
	s_or_b32 exec_lo, exec_lo, s12
	v_mov_b32_e32 v10, v20
	v_cmp_ne_u16_sdwa s4, v20, v11 src0_sel:BYTE_0 src1_sel:DWORD
	v_mov_b32_e32 v65, 0
	v_mov_b32_e32 v67, 0
	s_and_saveexec_b32 s12, s4
	s_cbranch_execz .LBB389_1499
; %bb.1492:                             ;   in Loop: Header=BB389_799 Depth=1
	v_cmp_ne_u16_sdwa s4, v20, v64 src0_sel:BYTE_0 src1_sel:DWORD
	v_bfrev_b32_e32 v67, 1
	s_and_saveexec_b32 s13, s4
	s_cbranch_execz .LBB389_1498
; %bb.1493:                             ;   in Loop: Header=BB389_799 Depth=1
	v_and_b32_e32 v23, 0x7f, v20
	v_mov_b32_e32 v67, 0x7f800001
	s_mov_b32 s15, exec_lo
	v_cmpx_ne_u32_e32 0x7f, v23
	s_cbranch_execz .LBB389_1497
; %bb.1494:                             ;   in Loop: Header=BB389_799 Depth=1
	v_lshrrev_b32_e32 v67, 3, v23
	v_cmp_gt_u32_e64 s4, 8, v23
	v_mov_b32_e32 v24, v11
	v_mov_b32_e32 v23, v10
	s_and_saveexec_b32 s18, s4
; %bb.1495:                             ;   in Loop: Header=BB389_799 Depth=1
	v_and_b32_e32 v23, 7, v20
	v_ffbh_u32_e32 v23, v23
	v_min_u32_e32 v67, 32, v23
	v_subrev_nc_u32_e32 v23, 28, v67
	v_sub_nc_u32_e32 v67, 29, v67
	v_lshlrev_b64 v[23:24], v23, v[10:11]
; %bb.1496:                             ;   in Loop: Header=BB389_799 Depth=1
	s_or_b32 exec_lo, exec_lo, s18
	v_lshlrev_b32_e32 v23, 20, v23
	v_lshlrev_b32_e32 v24, 24, v10
	v_lshl_add_u32 v67, v67, 23, 0x3c000000
	v_and_b32_e32 v23, 0x700000, v23
	v_and_b32_e32 v24, 0x80000000, v24
	v_or3_b32 v67, v23, v24, v67
.LBB389_1497:                           ;   in Loop: Header=BB389_799 Depth=1
	s_or_b32 exec_lo, exec_lo, s15
.LBB389_1498:                           ;   in Loop: Header=BB389_799 Depth=1
	s_or_b32 exec_lo, exec_lo, s13
.LBB389_1499:                           ;   in Loop: Header=BB389_799 Depth=1
	s_or_b32 exec_lo, exec_lo, s12
	v_cmp_ne_u16_sdwa s4, v10, v11 src0_sel:BYTE_1 src1_sel:DWORD
	s_and_saveexec_b32 s12, s4
	s_cbranch_execz .LBB389_1507
; %bb.1500:                             ;   in Loop: Header=BB389_799 Depth=1
	v_cmp_ne_u16_sdwa s4, v10, v64 src0_sel:BYTE_1 src1_sel:DWORD
	v_bfrev_b32_e32 v65, 1
	s_and_saveexec_b32 s13, s4
	s_cbranch_execz .LBB389_1506
; %bb.1501:                             ;   in Loop: Header=BB389_799 Depth=1
	v_mov_b32_e32 v23, 0xffff
	v_mov_b32_e32 v65, 0x7f800001
	s_mov_b32 s15, exec_lo
	v_and_b32_sdwa v23, v23, v10 dst_sel:DWORD dst_unused:UNUSED_PAD src0_sel:DWORD src1_sel:BYTE_1
	v_and_b32_e32 v80, 0x7f, v23
	v_cmpx_ne_u32_e32 0x7f, v80
	s_cbranch_execz .LBB389_1505
; %bb.1502:                             ;   in Loop: Header=BB389_799 Depth=1
	v_and_b32_e32 v23, 7, v23
	v_mov_b32_e32 v24, v11
	v_lshrrev_b32_e32 v65, 3, v80
	s_mov_b32 s18, exec_lo
	v_cmpx_gt_u32_e32 8, v80
; %bb.1503:                             ;   in Loop: Header=BB389_799 Depth=1
	v_ffbh_u32_e32 v65, v23
	v_min_u32_e32 v65, 32, v65
	v_subrev_nc_u32_e32 v80, 28, v65
	v_sub_nc_u32_e32 v65, 29, v65
	v_lshlrev_b64 v[23:24], v80, v[23:24]
	v_and_b32_e32 v23, 7, v23
; %bb.1504:                             ;   in Loop: Header=BB389_799 Depth=1
	s_or_b32 exec_lo, exec_lo, s18
	v_lshlrev_b32_e32 v10, 16, v10
	v_lshlrev_b32_e32 v23, 20, v23
	v_lshl_add_u32 v24, v65, 23, 0x3c000000
	v_and_b32_e32 v10, 0x80000000, v10
	v_or3_b32 v65, v23, v10, v24
.LBB389_1505:                           ;   in Loop: Header=BB389_799 Depth=1
	s_or_b32 exec_lo, exec_lo, s15
.LBB389_1506:                           ;   in Loop: Header=BB389_799 Depth=1
	s_or_b32 exec_lo, exec_lo, s13
.LBB389_1507:                           ;   in Loop: Header=BB389_799 Depth=1
	s_or_b32 exec_lo, exec_lo, s12
	v_and_b32_sdwa v10, v20, v66 dst_sel:DWORD dst_unused:UNUSED_PAD src0_sel:WORD_1 src1_sel:DWORD
	v_mov_b32_e32 v81, 0
	v_mov_b32_e32 v82, 0
	s_mov_b32 s12, exec_lo
	v_cmpx_ne_u16_e32 0, v10
	s_cbranch_execz .LBB389_1515
; %bb.1508:                             ;   in Loop: Header=BB389_799 Depth=1
	v_bfrev_b32_e32 v82, 1
	s_mov_b32 s13, exec_lo
	v_cmpx_ne_u16_e32 0x80, v10
	s_cbranch_execz .LBB389_1514
; %bb.1509:                             ;   in Loop: Header=BB389_799 Depth=1
	v_bfe_u32 v23, v20, 16, 7
	v_mov_b32_e32 v82, 0x7f800001
	s_mov_b32 s15, exec_lo
	v_cmpx_ne_u32_e32 0x7f, v23
	s_cbranch_execz .LBB389_1513
; %bb.1510:                             ;   in Loop: Header=BB389_799 Depth=1
	v_mov_b32_e32 v10, 7
	v_lshrrev_b32_e32 v80, 3, v23
	v_cmp_gt_u32_e64 s4, 8, v23
	v_and_b32_sdwa v10, v20, v10 dst_sel:DWORD dst_unused:UNUSED_PAD src0_sel:WORD_1 src1_sel:DWORD
	v_mov_b32_e32 v24, v11
	v_mov_b32_e32 v23, v10
	s_and_saveexec_b32 s18, s4
; %bb.1511:                             ;   in Loop: Header=BB389_799 Depth=1
	v_ffbh_u32_e32 v23, v10
	v_min_u32_e32 v80, 32, v23
	v_subrev_nc_u32_e32 v23, 28, v80
	v_sub_nc_u32_e32 v80, 29, v80
	v_lshlrev_b64 v[23:24], v23, v[10:11]
	v_and_b32_e32 v23, 7, v23
; %bb.1512:                             ;   in Loop: Header=BB389_799 Depth=1
	s_or_b32 exec_lo, exec_lo, s18
	v_mov_b32_e32 v10, 24
	v_lshlrev_b32_e32 v23, 20, v23
	v_lshl_add_u32 v24, v80, 23, 0x3c000000
	v_lshlrev_b32_sdwa v10, v10, v20 dst_sel:DWORD dst_unused:UNUSED_PAD src0_sel:DWORD src1_sel:WORD_1
	v_and_b32_e32 v10, 0x80000000, v10
	v_or3_b32 v82, v23, v10, v24
.LBB389_1513:                           ;   in Loop: Header=BB389_799 Depth=1
	s_or_b32 exec_lo, exec_lo, s15
.LBB389_1514:                           ;   in Loop: Header=BB389_799 Depth=1
	s_or_b32 exec_lo, exec_lo, s13
.LBB389_1515:                           ;   in Loop: Header=BB389_799 Depth=1
	s_or_b32 exec_lo, exec_lo, s12
	s_mov_b32 s12, exec_lo
	v_cmpx_lt_u64_e64 s[8:9], v[19:20]
	s_cbranch_execz .LBB389_1523
; %bb.1516:                             ;   in Loop: Header=BB389_799 Depth=1
	v_cmp_ne_u32_sdwa s4, v20, v64 src0_sel:BYTE_3 src1_sel:DWORD
	v_bfrev_b32_e32 v81, 1
	s_and_saveexec_b32 s13, s4
	s_cbranch_execz .LBB389_1522
; %bb.1517:                             ;   in Loop: Header=BB389_799 Depth=1
	v_bfe_u32 v23, v20, 24, 7
	v_mov_b32_e32 v81, 0x7f800001
	s_mov_b32 s15, exec_lo
	v_cmpx_ne_u32_e32 0x7f, v23
	s_cbranch_execz .LBB389_1521
; %bb.1518:                             ;   in Loop: Header=BB389_799 Depth=1
	v_mov_b32_e32 v10, 7
	v_lshrrev_b32_e32 v19, 3, v23
	v_cmp_gt_u32_e64 s4, 8, v23
	v_and_b32_sdwa v10, v20, v10 dst_sel:DWORD dst_unused:UNUSED_PAD src0_sel:BYTE_3 src1_sel:DWORD
	v_mov_b32_e32 v24, v11
	v_mov_b32_e32 v23, v10
	s_and_saveexec_b32 s18, s4
; %bb.1519:                             ;   in Loop: Header=BB389_799 Depth=1
	v_ffbh_u32_e32 v19, v10
	v_min_u32_e32 v19, 32, v19
	v_subrev_nc_u32_e32 v23, 28, v19
	v_sub_nc_u32_e32 v19, 29, v19
	v_lshlrev_b64 v[23:24], v23, v[10:11]
	v_and_b32_e32 v23, 7, v23
; %bb.1520:                             ;   in Loop: Header=BB389_799 Depth=1
	s_or_b32 exec_lo, exec_lo, s18
	v_mov_b32_e32 v10, 24
	v_lshl_add_u32 v19, v19, 23, 0x3c000000
	v_lshlrev_b32_sdwa v10, v10, v20 dst_sel:DWORD dst_unused:UNUSED_PAD src0_sel:DWORD src1_sel:BYTE_3
	v_lshlrev_b32_e32 v20, 20, v23
	v_and_b32_e32 v10, 0x80000000, v10
	v_or3_b32 v81, v20, v10, v19
.LBB389_1521:                           ;   in Loop: Header=BB389_799 Depth=1
	s_or_b32 exec_lo, exec_lo, s15
.LBB389_1522:                           ;   in Loop: Header=BB389_799 Depth=1
	s_or_b32 exec_lo, exec_lo, s13
.LBB389_1523:                           ;   in Loop: Header=BB389_799 Depth=1
	s_or_b32 exec_lo, exec_lo, s12
	v_mul_f32_e32 v10, v26, v65
	v_bfe_u32 v19, v10, 16, 1
	v_or_b32_e32 v20, 0x400000, v10
	v_cmp_u_f32_e64 s4, v10, v10
	v_add3_u32 v19, v19, v10, 0x7fff
	v_cndmask_b32_e64 v10, v19, v20, s4
	v_lshrrev_b32_e32 v65, 16, v10
	v_mul_f32_e32 v10, v26, v67
	v_bfe_u32 v19, v10, 16, 1
	v_or_b32_e32 v20, 0x400000, v10
	v_cmp_u_f32_e64 s4, v10, v10
	v_add3_u32 v19, v19, v10, 0x7fff
	v_cndmask_b32_e64 v10, v19, v20, s4
	v_lshrrev_b32_e32 v67, 16, v10
	;; [unrolled: 7-line block ×8, first 2 shown]
	s_and_saveexec_b32 s12, vcc_lo
	s_cbranch_execz .LBB389_1525
; %bb.1524:                             ;   in Loop: Header=BB389_799 Depth=1
	v_cmp_lt_i32_e64 s4, v117, v35
	v_cndmask_b32_e64 v80, 0, v80, s4
	v_cmp_lt_i32_e64 s4, v43, v35
	v_cndmask_b32_e64 v71, 0, v71, s4
	;; [unrolled: 2-line block ×8, first 2 shown]
.LBB389_1525:                           ;   in Loop: Header=BB389_799 Depth=1
	s_or_b32 exec_lo, exec_lo, s12
	flat_load_dwordx2 v[17:18], v[17:18] offset:768
	v_mov_b32_e32 v24, 0
	v_mov_b32_e32 v23, 0
	s_waitcnt vmcnt(0) lgkmcnt(0)
	v_cmp_ne_u16_sdwa s4, v17, v11 src0_sel:BYTE_0 src1_sel:DWORD
	s_and_saveexec_b32 s12, s4
	s_cbranch_execz .LBB389_1533
; %bb.1526:                             ;   in Loop: Header=BB389_799 Depth=1
	v_cmp_ne_u16_sdwa s4, v17, v64 src0_sel:BYTE_0 src1_sel:DWORD
	v_bfrev_b32_e32 v23, 1
	s_and_saveexec_b32 s13, s4
	s_cbranch_execz .LBB389_1532
; %bb.1527:                             ;   in Loop: Header=BB389_799 Depth=1
	v_and_b32_e32 v19, 0x7f, v17
	v_mov_b32_e32 v23, 0x7f800001
	s_mov_b32 s15, exec_lo
	v_cmpx_ne_u32_e32 0x7f, v19
	s_cbranch_execz .LBB389_1531
; %bb.1528:                             ;   in Loop: Header=BB389_799 Depth=1
	v_lshrrev_b32_e32 v10, 3, v19
	v_cmp_gt_u32_e64 s4, 8, v19
	v_mov_b32_e32 v20, v18
	v_mov_b32_e32 v19, v17
	s_and_saveexec_b32 s18, s4
; %bb.1529:                             ;   in Loop: Header=BB389_799 Depth=1
	v_and_b32_e32 v10, 7, v17
	v_ffbh_u32_e32 v10, v10
	v_min_u32_e32 v10, 32, v10
	v_subrev_nc_u32_e32 v19, 28, v10
	v_sub_nc_u32_e32 v10, 29, v10
	v_lshlrev_b64 v[19:20], v19, v[17:18]
; %bb.1530:                             ;   in Loop: Header=BB389_799 Depth=1
	s_or_b32 exec_lo, exec_lo, s18
	v_lshlrev_b32_e32 v19, 20, v19
	v_lshlrev_b32_e32 v20, 24, v17
	v_lshl_add_u32 v10, v10, 23, 0x3c000000
	v_and_b32_e32 v19, 0x700000, v19
	v_and_b32_e32 v20, 0x80000000, v20
	v_or3_b32 v23, v19, v20, v10
.LBB389_1531:                           ;   in Loop: Header=BB389_799 Depth=1
	s_or_b32 exec_lo, exec_lo, s15
.LBB389_1532:                           ;   in Loop: Header=BB389_799 Depth=1
	s_or_b32 exec_lo, exec_lo, s13
.LBB389_1533:                           ;   in Loop: Header=BB389_799 Depth=1
	s_or_b32 exec_lo, exec_lo, s12
	v_cmp_ne_u16_sdwa s4, v17, v11 src0_sel:BYTE_1 src1_sel:DWORD
	s_and_saveexec_b32 s12, s4
	s_cbranch_execz .LBB389_1541
; %bb.1534:                             ;   in Loop: Header=BB389_799 Depth=1
	v_cmp_ne_u16_sdwa s4, v17, v64 src0_sel:BYTE_1 src1_sel:DWORD
	v_bfrev_b32_e32 v24, 1
	s_and_saveexec_b32 s13, s4
	s_cbranch_execz .LBB389_1540
; %bb.1535:                             ;   in Loop: Header=BB389_799 Depth=1
	v_mov_b32_e32 v10, 0xffff
	v_mov_b32_e32 v24, 0x7f800001
	s_mov_b32 s15, exec_lo
	v_and_b32_sdwa v10, v10, v17 dst_sel:DWORD dst_unused:UNUSED_PAD src0_sel:DWORD src1_sel:BYTE_1
	v_and_b32_e32 v19, 0x7f, v10
	v_cmpx_ne_u32_e32 0x7f, v19
	s_cbranch_execz .LBB389_1539
; %bb.1536:                             ;   in Loop: Header=BB389_799 Depth=1
	v_and_b32_e32 v10, 7, v10
	v_lshrrev_b32_e32 v24, 3, v19
	v_cmp_gt_u32_e64 s4, 8, v19
	v_mov_b32_e32 v20, v11
	v_mov_b32_e32 v19, v10
	s_and_saveexec_b32 s18, s4
; %bb.1537:                             ;   in Loop: Header=BB389_799 Depth=1
	v_ffbh_u32_e32 v19, v10
	v_min_u32_e32 v24, 32, v19
	v_subrev_nc_u32_e32 v19, 28, v24
	v_sub_nc_u32_e32 v24, 29, v24
	v_lshlrev_b64 v[19:20], v19, v[10:11]
	v_and_b32_e32 v19, 7, v19
; %bb.1538:                             ;   in Loop: Header=BB389_799 Depth=1
	s_or_b32 exec_lo, exec_lo, s18
	v_lshlrev_b32_e32 v10, 16, v17
	v_lshlrev_b32_e32 v19, 20, v19
	v_lshl_add_u32 v20, v24, 23, 0x3c000000
	v_and_b32_e32 v10, 0x80000000, v10
	v_or3_b32 v24, v19, v10, v20
.LBB389_1539:                           ;   in Loop: Header=BB389_799 Depth=1
	s_or_b32 exec_lo, exec_lo, s15
.LBB389_1540:                           ;   in Loop: Header=BB389_799 Depth=1
	s_or_b32 exec_lo, exec_lo, s13
.LBB389_1541:                           ;   in Loop: Header=BB389_799 Depth=1
	s_or_b32 exec_lo, exec_lo, s12
	v_and_b32_sdwa v10, v17, v66 dst_sel:DWORD dst_unused:UNUSED_PAD src0_sel:WORD_1 src1_sel:DWORD
	v_mov_b32_e32 v82, 0
	v_mov_b32_e32 v125, 0
	s_mov_b32 s12, exec_lo
	v_cmpx_ne_u16_e32 0, v10
	s_cbranch_execz .LBB389_1549
; %bb.1542:                             ;   in Loop: Header=BB389_799 Depth=1
	v_bfrev_b32_e32 v125, 1
	s_mov_b32 s13, exec_lo
	v_cmpx_ne_u16_e32 0x80, v10
	s_cbranch_execz .LBB389_1548
; %bb.1543:                             ;   in Loop: Header=BB389_799 Depth=1
	v_bfe_u32 v19, v17, 16, 7
	v_mov_b32_e32 v125, 0x7f800001
	s_mov_b32 s15, exec_lo
	v_cmpx_ne_u32_e32 0x7f, v19
	s_cbranch_execz .LBB389_1547
; %bb.1544:                             ;   in Loop: Header=BB389_799 Depth=1
	v_mov_b32_e32 v10, 7
	v_lshrrev_b32_e32 v83, 3, v19
	v_cmp_gt_u32_e64 s4, 8, v19
	v_and_b32_sdwa v10, v17, v10 dst_sel:DWORD dst_unused:UNUSED_PAD src0_sel:WORD_1 src1_sel:DWORD
	v_mov_b32_e32 v20, v11
	v_mov_b32_e32 v19, v10
	s_and_saveexec_b32 s18, s4
; %bb.1545:                             ;   in Loop: Header=BB389_799 Depth=1
	v_ffbh_u32_e32 v19, v10
	v_min_u32_e32 v83, 32, v19
	v_subrev_nc_u32_e32 v19, 28, v83
	v_sub_nc_u32_e32 v83, 29, v83
	v_lshlrev_b64 v[19:20], v19, v[10:11]
	v_and_b32_e32 v19, 7, v19
; %bb.1546:                             ;   in Loop: Header=BB389_799 Depth=1
	s_or_b32 exec_lo, exec_lo, s18
	v_mov_b32_e32 v10, 24
	v_lshlrev_b32_e32 v19, 20, v19
	v_lshl_add_u32 v20, v83, 23, 0x3c000000
	v_lshlrev_b32_sdwa v10, v10, v17 dst_sel:DWORD dst_unused:UNUSED_PAD src0_sel:DWORD src1_sel:WORD_1
	v_and_b32_e32 v10, 0x80000000, v10
	v_or3_b32 v125, v19, v10, v20
.LBB389_1547:                           ;   in Loop: Header=BB389_799 Depth=1
	s_or_b32 exec_lo, exec_lo, s15
.LBB389_1548:                           ;   in Loop: Header=BB389_799 Depth=1
	s_or_b32 exec_lo, exec_lo, s13
.LBB389_1549:                           ;   in Loop: Header=BB389_799 Depth=1
	s_or_b32 exec_lo, exec_lo, s12
	s_mov_b32 s12, exec_lo
	v_cmpx_lt_u32_e32 0xffffff, v17
	s_cbranch_execz .LBB389_1557
; %bb.1550:                             ;   in Loop: Header=BB389_799 Depth=1
	v_cmp_ne_u32_sdwa s4, v17, v64 src0_sel:BYTE_3 src1_sel:DWORD
	v_bfrev_b32_e32 v82, 1
	s_and_saveexec_b32 s13, s4
	s_cbranch_execz .LBB389_1556
; %bb.1551:                             ;   in Loop: Header=BB389_799 Depth=1
	v_bfe_u32 v19, v17, 24, 7
	v_mov_b32_e32 v82, 0x7f800001
	s_mov_b32 s15, exec_lo
	v_cmpx_ne_u32_e32 0x7f, v19
	s_cbranch_execz .LBB389_1555
; %bb.1552:                             ;   in Loop: Header=BB389_799 Depth=1
	v_mov_b32_e32 v10, 7
	v_lshrrev_b32_e32 v82, 3, v19
	v_cmp_gt_u32_e64 s4, 8, v19
	v_and_b32_sdwa v10, v17, v10 dst_sel:DWORD dst_unused:UNUSED_PAD src0_sel:BYTE_3 src1_sel:DWORD
	v_mov_b32_e32 v20, v11
	v_mov_b32_e32 v19, v10
	s_and_saveexec_b32 s18, s4
; %bb.1553:                             ;   in Loop: Header=BB389_799 Depth=1
	v_ffbh_u32_e32 v19, v10
	v_min_u32_e32 v82, 32, v19
	v_subrev_nc_u32_e32 v19, 28, v82
	v_sub_nc_u32_e32 v82, 29, v82
	v_lshlrev_b64 v[19:20], v19, v[10:11]
	v_and_b32_e32 v19, 7, v19
; %bb.1554:                             ;   in Loop: Header=BB389_799 Depth=1
	s_or_b32 exec_lo, exec_lo, s18
	v_mov_b32_e32 v10, 24
	v_lshlrev_b32_e32 v19, 20, v19
	v_lshl_add_u32 v20, v82, 23, 0x3c000000
	v_lshlrev_b32_sdwa v10, v10, v17 dst_sel:DWORD dst_unused:UNUSED_PAD src0_sel:DWORD src1_sel:BYTE_3
	v_and_b32_e32 v10, 0x80000000, v10
	v_or3_b32 v82, v19, v10, v20
.LBB389_1555:                           ;   in Loop: Header=BB389_799 Depth=1
	s_or_b32 exec_lo, exec_lo, s15
.LBB389_1556:                           ;   in Loop: Header=BB389_799 Depth=1
	s_or_b32 exec_lo, exec_lo, s13
.LBB389_1557:                           ;   in Loop: Header=BB389_799 Depth=1
	s_or_b32 exec_lo, exec_lo, s12
	v_mov_b32_e32 v10, v18
	v_cmp_ne_u16_sdwa s4, v18, v11 src0_sel:BYTE_0 src1_sel:DWORD
	v_mov_b32_e32 v86, 0
	v_mov_b32_e32 v85, 0
	s_and_saveexec_b32 s12, s4
	s_cbranch_execz .LBB389_1565
; %bb.1558:                             ;   in Loop: Header=BB389_799 Depth=1
	v_cmp_ne_u16_sdwa s4, v18, v64 src0_sel:BYTE_0 src1_sel:DWORD
	v_bfrev_b32_e32 v85, 1
	s_and_saveexec_b32 s13, s4
	s_cbranch_execz .LBB389_1564
; %bb.1559:                             ;   in Loop: Header=BB389_799 Depth=1
	v_and_b32_e32 v19, 0x7f, v18
	v_mov_b32_e32 v85, 0x7f800001
	s_mov_b32 s15, exec_lo
	v_cmpx_ne_u32_e32 0x7f, v19
	s_cbranch_execz .LBB389_1563
; %bb.1560:                             ;   in Loop: Header=BB389_799 Depth=1
	v_lshrrev_b32_e32 v83, 3, v19
	v_cmp_gt_u32_e64 s4, 8, v19
	v_mov_b32_e32 v20, v11
	v_mov_b32_e32 v19, v10
	s_and_saveexec_b32 s18, s4
; %bb.1561:                             ;   in Loop: Header=BB389_799 Depth=1
	v_and_b32_e32 v19, 7, v18
	v_ffbh_u32_e32 v19, v19
	v_min_u32_e32 v83, 32, v19
	v_subrev_nc_u32_e32 v19, 28, v83
	v_sub_nc_u32_e32 v83, 29, v83
	v_lshlrev_b64 v[19:20], v19, v[10:11]
; %bb.1562:                             ;   in Loop: Header=BB389_799 Depth=1
	s_or_b32 exec_lo, exec_lo, s18
	v_lshlrev_b32_e32 v19, 20, v19
	v_lshlrev_b32_e32 v20, 24, v10
	v_lshl_add_u32 v83, v83, 23, 0x3c000000
	v_and_b32_e32 v19, 0x700000, v19
	v_and_b32_e32 v20, 0x80000000, v20
	v_or3_b32 v85, v19, v20, v83
.LBB389_1563:                           ;   in Loop: Header=BB389_799 Depth=1
	s_or_b32 exec_lo, exec_lo, s15
.LBB389_1564:                           ;   in Loop: Header=BB389_799 Depth=1
	s_or_b32 exec_lo, exec_lo, s13
.LBB389_1565:                           ;   in Loop: Header=BB389_799 Depth=1
	s_or_b32 exec_lo, exec_lo, s12
	v_cmp_ne_u16_sdwa s4, v10, v11 src0_sel:BYTE_1 src1_sel:DWORD
	s_and_saveexec_b32 s12, s4
	s_cbranch_execz .LBB389_1573
; %bb.1566:                             ;   in Loop: Header=BB389_799 Depth=1
	v_cmp_ne_u16_sdwa s4, v10, v64 src0_sel:BYTE_1 src1_sel:DWORD
	v_bfrev_b32_e32 v86, 1
	s_and_saveexec_b32 s13, s4
	s_cbranch_execz .LBB389_1572
; %bb.1567:                             ;   in Loop: Header=BB389_799 Depth=1
	v_mov_b32_e32 v19, 0xffff
	v_mov_b32_e32 v86, 0x7f800001
	s_mov_b32 s15, exec_lo
	v_and_b32_sdwa v19, v19, v10 dst_sel:DWORD dst_unused:UNUSED_PAD src0_sel:DWORD src1_sel:BYTE_1
	v_and_b32_e32 v84, 0x7f, v19
	v_cmpx_ne_u32_e32 0x7f, v84
	s_cbranch_execz .LBB389_1571
; %bb.1568:                             ;   in Loop: Header=BB389_799 Depth=1
	v_and_b32_e32 v19, 7, v19
	v_mov_b32_e32 v20, v11
	v_lshrrev_b32_e32 v83, 3, v84
	s_mov_b32 s18, exec_lo
	v_cmpx_gt_u32_e32 8, v84
; %bb.1569:                             ;   in Loop: Header=BB389_799 Depth=1
	v_ffbh_u32_e32 v83, v19
	v_min_u32_e32 v83, 32, v83
	v_subrev_nc_u32_e32 v84, 28, v83
	v_sub_nc_u32_e32 v83, 29, v83
	v_lshlrev_b64 v[19:20], v84, v[19:20]
	v_and_b32_e32 v19, 7, v19
; %bb.1570:                             ;   in Loop: Header=BB389_799 Depth=1
	s_or_b32 exec_lo, exec_lo, s18
	v_lshlrev_b32_e32 v10, 16, v10
	v_lshlrev_b32_e32 v19, 20, v19
	v_lshl_add_u32 v20, v83, 23, 0x3c000000
	v_and_b32_e32 v10, 0x80000000, v10
	v_or3_b32 v86, v19, v10, v20
.LBB389_1571:                           ;   in Loop: Header=BB389_799 Depth=1
	s_or_b32 exec_lo, exec_lo, s15
.LBB389_1572:                           ;   in Loop: Header=BB389_799 Depth=1
	s_or_b32 exec_lo, exec_lo, s13
.LBB389_1573:                           ;   in Loop: Header=BB389_799 Depth=1
	s_or_b32 exec_lo, exec_lo, s12
	v_and_b32_sdwa v10, v18, v66 dst_sel:DWORD dst_unused:UNUSED_PAD src0_sel:WORD_1 src1_sel:DWORD
	v_mov_b32_e32 v83, 0
	v_mov_b32_e32 v84, 0
	s_mov_b32 s12, exec_lo
	v_cmpx_ne_u16_e32 0, v10
	s_cbranch_execz .LBB389_1581
; %bb.1574:                             ;   in Loop: Header=BB389_799 Depth=1
	v_bfrev_b32_e32 v84, 1
	s_mov_b32 s13, exec_lo
	v_cmpx_ne_u16_e32 0x80, v10
	s_cbranch_execz .LBB389_1580
; %bb.1575:                             ;   in Loop: Header=BB389_799 Depth=1
	v_bfe_u32 v19, v18, 16, 7
	v_mov_b32_e32 v84, 0x7f800001
	s_mov_b32 s15, exec_lo
	v_cmpx_ne_u32_e32 0x7f, v19
	s_cbranch_execz .LBB389_1579
; %bb.1576:                             ;   in Loop: Header=BB389_799 Depth=1
	v_mov_b32_e32 v10, 7
	v_lshrrev_b32_e32 v84, 3, v19
	v_cmp_gt_u32_e64 s4, 8, v19
	v_and_b32_sdwa v10, v18, v10 dst_sel:DWORD dst_unused:UNUSED_PAD src0_sel:WORD_1 src1_sel:DWORD
	v_mov_b32_e32 v20, v11
	v_mov_b32_e32 v19, v10
	s_and_saveexec_b32 s18, s4
; %bb.1577:                             ;   in Loop: Header=BB389_799 Depth=1
	v_ffbh_u32_e32 v19, v10
	v_min_u32_e32 v84, 32, v19
	v_subrev_nc_u32_e32 v19, 28, v84
	v_sub_nc_u32_e32 v84, 29, v84
	v_lshlrev_b64 v[19:20], v19, v[10:11]
	v_and_b32_e32 v19, 7, v19
; %bb.1578:                             ;   in Loop: Header=BB389_799 Depth=1
	s_or_b32 exec_lo, exec_lo, s18
	v_mov_b32_e32 v10, 24
	v_lshlrev_b32_e32 v19, 20, v19
	v_lshl_add_u32 v20, v84, 23, 0x3c000000
	v_lshlrev_b32_sdwa v10, v10, v18 dst_sel:DWORD dst_unused:UNUSED_PAD src0_sel:DWORD src1_sel:WORD_1
	v_and_b32_e32 v10, 0x80000000, v10
	v_or3_b32 v84, v19, v10, v20
.LBB389_1579:                           ;   in Loop: Header=BB389_799 Depth=1
	s_or_b32 exec_lo, exec_lo, s15
.LBB389_1580:                           ;   in Loop: Header=BB389_799 Depth=1
	s_or_b32 exec_lo, exec_lo, s13
.LBB389_1581:                           ;   in Loop: Header=BB389_799 Depth=1
	s_or_b32 exec_lo, exec_lo, s12
	s_mov_b32 s12, exec_lo
	v_cmpx_lt_u64_e64 s[8:9], v[17:18]
	s_cbranch_execz .LBB389_1589
; %bb.1582:                             ;   in Loop: Header=BB389_799 Depth=1
	v_cmp_ne_u32_sdwa s4, v18, v64 src0_sel:BYTE_3 src1_sel:DWORD
	v_bfrev_b32_e32 v83, 1
	s_and_saveexec_b32 s13, s4
	s_cbranch_execz .LBB389_1588
; %bb.1583:                             ;   in Loop: Header=BB389_799 Depth=1
	v_bfe_u32 v19, v18, 24, 7
	v_mov_b32_e32 v83, 0x7f800001
	s_mov_b32 s15, exec_lo
	v_cmpx_ne_u32_e32 0x7f, v19
	s_cbranch_execz .LBB389_1587
; %bb.1584:                             ;   in Loop: Header=BB389_799 Depth=1
	v_mov_b32_e32 v10, 7
	v_lshrrev_b32_e32 v17, 3, v19
	v_cmp_gt_u32_e64 s4, 8, v19
	v_and_b32_sdwa v10, v18, v10 dst_sel:DWORD dst_unused:UNUSED_PAD src0_sel:BYTE_3 src1_sel:DWORD
	v_mov_b32_e32 v20, v11
	v_mov_b32_e32 v19, v10
	s_and_saveexec_b32 s18, s4
; %bb.1585:                             ;   in Loop: Header=BB389_799 Depth=1
	v_ffbh_u32_e32 v17, v10
	v_min_u32_e32 v17, 32, v17
	v_subrev_nc_u32_e32 v19, 28, v17
	v_sub_nc_u32_e32 v17, 29, v17
	v_lshlrev_b64 v[19:20], v19, v[10:11]
	v_and_b32_e32 v19, 7, v19
; %bb.1586:                             ;   in Loop: Header=BB389_799 Depth=1
	s_or_b32 exec_lo, exec_lo, s18
	v_mov_b32_e32 v10, 24
	v_lshl_add_u32 v17, v17, 23, 0x3c000000
	v_lshlrev_b32_sdwa v10, v10, v18 dst_sel:DWORD dst_unused:UNUSED_PAD src0_sel:DWORD src1_sel:BYTE_3
	v_lshlrev_b32_e32 v18, 20, v19
	v_and_b32_e32 v10, 0x80000000, v10
	v_or3_b32 v83, v18, v10, v17
.LBB389_1587:                           ;   in Loop: Header=BB389_799 Depth=1
	s_or_b32 exec_lo, exec_lo, s15
.LBB389_1588:                           ;   in Loop: Header=BB389_799 Depth=1
	s_or_b32 exec_lo, exec_lo, s13
.LBB389_1589:                           ;   in Loop: Header=BB389_799 Depth=1
	s_or_b32 exec_lo, exec_lo, s12
	v_mul_f32_e32 v10, v26, v86
	v_bfe_u32 v17, v10, 16, 1
	v_or_b32_e32 v18, 0x400000, v10
	v_cmp_u_f32_e64 s4, v10, v10
	v_add3_u32 v17, v17, v10, 0x7fff
	v_cndmask_b32_e64 v10, v17, v18, s4
	v_mul_f32_e32 v17, v26, v85
	v_lshrrev_b32_e32 v10, 16, v10
	v_bfe_u32 v18, v17, 16, 1
	v_or_b32_e32 v19, 0x400000, v17
	v_cmp_u_f32_e64 s4, v17, v17
	v_add3_u32 v18, v18, v17, 0x7fff
	v_cndmask_b32_e64 v17, v18, v19, s4
	v_mul_f32_e32 v18, v26, v82
	v_lshrrev_b32_e32 v17, 16, v17
	;; [unrolled: 7-line block ×3, first 2 shown]
	v_bfe_u32 v20, v19, 16, 1
	v_or_b32_e32 v82, 0x400000, v19
	v_cmp_u_f32_e64 s4, v19, v19
	v_add3_u32 v20, v20, v19, 0x7fff
	v_cndmask_b32_e64 v19, v20, v82, s4
	v_lshrrev_b32_e32 v20, 16, v19
	v_mul_f32_e32 v19, v26, v24
	v_bfe_u32 v24, v19, 16, 1
	v_or_b32_e32 v82, 0x400000, v19
	v_cmp_u_f32_e64 s4, v19, v19
	v_add3_u32 v24, v24, v19, 0x7fff
	v_cndmask_b32_e64 v19, v24, v82, s4
	v_lshrrev_b32_e32 v24, 16, v19
	v_mul_f32_e32 v19, v26, v23
	;; [unrolled: 7-line block ×3, first 2 shown]
	v_bfe_u32 v23, v19, 16, 1
	v_or_b32_e32 v82, 0x400000, v19
	v_cmp_u_f32_e64 s4, v19, v19
	v_add3_u32 v23, v23, v19, 0x7fff
	v_cndmask_b32_e64 v19, v23, v82, s4
	v_mul_f32_e32 v23, v26, v83
	v_lshrrev_b32_e32 v19, 16, v19
	v_bfe_u32 v82, v23, 16, 1
	v_or_b32_e32 v83, 0x400000, v23
	v_cmp_u_f32_e64 s4, v23, v23
	v_add3_u32 v82, v82, v23, 0x7fff
	v_cndmask_b32_e64 v23, v82, v83, s4
	v_lshrrev_b32_e32 v23, 16, v23
	s_and_saveexec_b32 s4, vcc_lo
	s_cbranch_execz .LBB389_798
; %bb.1590:                             ;   in Loop: Header=BB389_799 Depth=1
	v_cmp_lt_i32_e32 vcc_lo, v117, v35
	v_cndmask_b32_e32 v125, 0, v125, vcc_lo
	v_cmp_lt_i32_e32 vcc_lo, v43, v35
	v_cndmask_b32_e32 v24, 0, v24, vcc_lo
	;; [unrolled: 2-line block ×8, first 2 shown]
	s_branch .LBB389_798
.LBB389_1591:
	s_or_b32 exec_lo, exec_lo, s11
	s_clause 0x4
	buffer_load_dword v37, off, s[0:3], s32 offset:584
	buffer_load_dword v38, off, s[0:3], s32 offset:588
	;; [unrolled: 1-line block ×5, first 2 shown]
	v_mov_b32_e32 v0, s16
	v_mov_b32_e32 v1, s17
.LBB389_1592:
	s_or_b32 exec_lo, exec_lo, s7
	s_waitcnt vmcnt(1)
	ds_bpermute_b32 v9, v13, v31
	ds_bpermute_b32 v10, v13, v30
	v_lshlrev_b64 v[0:1], 2, v[0:1]
	s_getpc_b64 s[8:9]
	s_add_u32 s8, s8, llvm.amdgcn.dynlds.offset.table@rel32@lo+4
	s_addc_u32 s9, s9, llvm.amdgcn.dynlds.offset.table@rel32@hi+12
	s_waitcnt vmcnt(0) lgkmcnt(0)
	s_waitcnt_vscnt null, 0x0
	s_barrier
	buffer_gl0_inv
	ds_bpermute_b32 v2, v13, v52
	v_add_co_u32 v0, vcc_lo, s8, v0
	v_add_co_ci_u32_e64 v1, null, s9, v1, vcc_lo
	ds_bpermute_b32 v3, v13, v51
	ds_bpermute_b32 v4, v13, v49
	;; [unrolled: 1-line block ×3, first 2 shown]
	global_load_dword v12, v[0:1], off
	ds_bpermute_b32 v0, v13, v50
	ds_bpermute_b32 v1, v13, v53
	;; [unrolled: 1-line block ×4, first 2 shown]
	v_add_f32_e32 v18, v31, v9
	v_mov_b32_e32 v9, v38
	v_add_f32_e32 v19, v30, v10
	ds_bpermute_b32 v8, v13, v32
	ds_bpermute_b32 v11, v13, v29
	;; [unrolled: 1-line block ×3, first 2 shown]
	v_lshrrev_b32_e32 v14, 2, v9
	v_and_b32_e32 v30, 28, v9
	buffer_load_dword v9, off, s[0:3], s32 offset:572 ; 4-byte Folded Reload
	s_waitcnt lgkmcnt(10)
	v_add_f32_e32 v2, v52, v2
	ds_bpermute_b32 v28, v34, v19
	v_mul_u32_u24_e32 v15, 0x180, v37
	s_waitcnt lgkmcnt(10)
	v_add_f32_e32 v3, v51, v3
	s_waitcnt lgkmcnt(9)
	v_add_f32_e32 v4, v49, v4
	;; [unrolled: 2-line block ×3, first 2 shown]
	s_mov_b32 s4, exec_lo
	s_waitcnt lgkmcnt(7)
	v_add_f32_e32 v0, v50, v0
	s_waitcnt lgkmcnt(6)
	v_add_f32_e32 v1, v53, v1
	;; [unrolled: 2-line block ×4, first 2 shown]
	ds_bpermute_b32 v21, v34, v3
	ds_bpermute_b32 v6, v34, v0
	;; [unrolled: 1-line block ×3, first 2 shown]
	s_waitcnt lgkmcnt(6)
	v_add_f32_e32 v17, v32, v8
	s_waitcnt lgkmcnt(5)
	v_add_f32_e32 v20, v29, v11
	ds_bpermute_b32 v8, v34, v2
	ds_bpermute_b32 v22, v34, v4
	;; [unrolled: 1-line block ×7, first 2 shown]
	s_waitcnt lgkmcnt(8)
	v_add_f32_e32 v11, v0, v6
	s_waitcnt lgkmcnt(7)
	v_add_f32_e32 v10, v1, v7
	v_add_f32_e32 v1, v19, v28
	s_waitcnt lgkmcnt(5)
	v_add_f32_e32 v7, v4, v22
	s_waitcnt lgkmcnt(4)
	;; [unrolled: 2-line block ×5, first 2 shown]
	v_add_f32_e32 v0, v20, v29
	s_waitcnt vmcnt(1)
	v_add_nc_u32_e32 v13, v12, v30
	s_waitcnt vmcnt(0)
	v_and_b32_e32 v31, 0x3c3, v9
	v_add_f32_e32 v9, v2, v8
	v_add_f32_e32 v8, v3, v21
	;; [unrolled: 1-line block ×4, first 2 shown]
	v_cmpx_eq_u32_e32 64, v31
	s_cbranch_execz .LBB389_1594
; %bb.1593:
	v_add_nc_u32_e32 v16, v13, v15
	v_add_nc_u32_e32 v17, 0xfffffd00, v16
	;; [unrolled: 1-line block ×8, first 2 shown]
	ds_write_b32 v17, v11
	ds_write_b32 v18, v10
	;; [unrolled: 1-line block ×7, first 2 shown]
	v_add_nc_u32_e32 v17, 0xfffffde0, v16
	v_add_nc_u32_e32 v18, 0xfffffe00, v16
	;; [unrolled: 1-line block ×5, first 2 shown]
	ds_write_b32 v17, v4
	ds_write_b32 v18, v3
	;; [unrolled: 1-line block ×5, first 2 shown]
.LBB389_1594:
	s_or_b32 exec_lo, exec_lo, s4
	buffer_load_dword v17, off, s[0:3], s32 offset:572 ; 4-byte Folded Reload
	v_lshlrev_b32_e32 v14, 2, v14
	v_cmp_eq_u32_e32 vcc_lo, 0, v36
	s_waitcnt vmcnt(0) lgkmcnt(0)
	s_barrier
	buffer_gl0_inv
	v_add3_u32 v12, v12, v15, v14
	v_cmp_gt_u32_e64 s4, 64, v17
	s_mov_b32 s7, exec_lo
	s_clause 0x1
	buffer_load_dword v15, off, s[0:3], s32 offset:576
	buffer_load_dword v16, off, s[0:3], s32 offset:580
	s_and_b32 s4, s7, s4
	s_mov_b32 exec_lo, s4
	s_cbranch_execz .LBB389_1609
; %bb.1595:
	s_and_saveexec_b32 s4, vcc_lo
	s_cbranch_execnz .LBB389_1629
; %bb.1596:
	s_or_b32 exec_lo, exec_lo, s4
	s_and_saveexec_b32 s4, vcc_lo
	s_cbranch_execnz .LBB389_1630
.LBB389_1597:
	s_or_b32 exec_lo, exec_lo, s4
	s_and_saveexec_b32 s4, vcc_lo
	s_cbranch_execnz .LBB389_1631
.LBB389_1598:
	s_or_b32 exec_lo, exec_lo, s4
	s_and_saveexec_b32 s4, vcc_lo
	s_cbranch_execnz .LBB389_1632
.LBB389_1599:
	s_or_b32 exec_lo, exec_lo, s4
	s_and_saveexec_b32 s4, vcc_lo
	s_cbranch_execnz .LBB389_1633
.LBB389_1600:
	s_or_b32 exec_lo, exec_lo, s4
	s_and_saveexec_b32 s4, vcc_lo
	s_cbranch_execnz .LBB389_1634
.LBB389_1601:
	s_or_b32 exec_lo, exec_lo, s4
	s_and_saveexec_b32 s4, vcc_lo
	s_cbranch_execnz .LBB389_1635
.LBB389_1602:
	s_or_b32 exec_lo, exec_lo, s4
	s_and_saveexec_b32 s4, vcc_lo
	s_cbranch_execnz .LBB389_1636
.LBB389_1603:
	s_or_b32 exec_lo, exec_lo, s4
	s_and_saveexec_b32 s4, vcc_lo
	s_cbranch_execnz .LBB389_1637
.LBB389_1604:
	s_or_b32 exec_lo, exec_lo, s4
	s_and_saveexec_b32 s4, vcc_lo
	s_cbranch_execnz .LBB389_1638
.LBB389_1605:
	s_or_b32 exec_lo, exec_lo, s4
	s_and_saveexec_b32 s4, vcc_lo
	s_cbranch_execnz .LBB389_1639
.LBB389_1606:
	s_or_b32 exec_lo, exec_lo, s4
	s_and_saveexec_b32 s4, vcc_lo
	s_cbranch_execz .LBB389_1608
.LBB389_1607:
	ds_read_b32 v14, v12 offset:352
	s_waitcnt lgkmcnt(0)
	v_add_f32_e32 v0, v14, v0
.LBB389_1608:
	s_or_b32 exec_lo, exec_lo, s4
.LBB389_1609:
	s_or_b32 exec_lo, exec_lo, s7
	v_and_b32_e32 v14, 0x3e3, v17
	s_mov_b32 s7, exec_lo
	s_waitcnt vmcnt(0)
	s_barrier
	buffer_gl0_inv
	v_cmpx_eq_u32_e32 32, v14
	s_cbranch_execz .LBB389_1611
; %bb.1610:
	ds_write2_b32 v13, v11, v10 offset1:8
	ds_write2_b32 v13, v9, v8 offset0:16 offset1:24
	ds_write2_b32 v13, v7, v6 offset0:32 offset1:40
	ds_write2_b32 v13, v5, v4 offset0:48 offset1:56
	ds_write2_b32 v13, v3, v2 offset0:64 offset1:72
	ds_write2_b32 v13, v1, v0 offset0:80 offset1:88
.LBB389_1611:
	s_or_b32 exec_lo, exec_lo, s7
	s_mov_b32 s7, exec_lo
	s_waitcnt lgkmcnt(0)
	s_barrier
	buffer_gl0_inv
	v_cmpx_gt_u32_e32 32, v17
	s_cbranch_execz .LBB389_1626
; %bb.1612:
	s_and_saveexec_b32 s4, vcc_lo
	s_cbranch_execnz .LBB389_1640
; %bb.1613:
	s_or_b32 exec_lo, exec_lo, s4
	s_and_saveexec_b32 s4, vcc_lo
	s_cbranch_execnz .LBB389_1641
.LBB389_1614:
	s_or_b32 exec_lo, exec_lo, s4
	s_and_saveexec_b32 s4, vcc_lo
	s_cbranch_execnz .LBB389_1642
.LBB389_1615:
	s_or_b32 exec_lo, exec_lo, s4
	s_and_saveexec_b32 s4, vcc_lo
	s_cbranch_execnz .LBB389_1643
.LBB389_1616:
	s_or_b32 exec_lo, exec_lo, s4
	s_and_saveexec_b32 s4, vcc_lo
	s_cbranch_execnz .LBB389_1644
.LBB389_1617:
	s_or_b32 exec_lo, exec_lo, s4
	s_and_saveexec_b32 s4, vcc_lo
	s_cbranch_execnz .LBB389_1645
.LBB389_1618:
	s_or_b32 exec_lo, exec_lo, s4
	s_and_saveexec_b32 s4, vcc_lo
	s_cbranch_execnz .LBB389_1646
.LBB389_1619:
	s_or_b32 exec_lo, exec_lo, s4
	s_and_saveexec_b32 s4, vcc_lo
	s_cbranch_execnz .LBB389_1647
.LBB389_1620:
	s_or_b32 exec_lo, exec_lo, s4
	s_and_saveexec_b32 s4, vcc_lo
	s_cbranch_execnz .LBB389_1648
.LBB389_1621:
	s_or_b32 exec_lo, exec_lo, s4
	s_and_saveexec_b32 s4, vcc_lo
	s_cbranch_execnz .LBB389_1649
.LBB389_1622:
	s_or_b32 exec_lo, exec_lo, s4
	s_and_saveexec_b32 s4, vcc_lo
	s_cbranch_execnz .LBB389_1650
.LBB389_1623:
	s_or_b32 exec_lo, exec_lo, s4
	s_and_saveexec_b32 s4, vcc_lo
	s_cbranch_execz .LBB389_1625
.LBB389_1624:
	ds_read_b32 v12, v12 offset:352
	s_waitcnt lgkmcnt(0)
	v_add_f32_e32 v0, v12, v0
.LBB389_1625:
	s_or_b32 exec_lo, exec_lo, s4
.LBB389_1626:
	s_or_b32 exec_lo, exec_lo, s7
	v_cmp_eq_u32_e32 vcc_lo, 0, v14
	s_barrier
	buffer_gl0_inv
	s_and_b32 exec_lo, exec_lo, vcc_lo
	s_cbranch_execz .LBB389_1628
; %bb.1627:
	s_mulk_i32 s6, 0x60
	s_mul_i32 s4, s10, s5
	s_ashr_i32 s7, s6, 31
	s_ashr_i32 s5, s4, 31
	s_lshl_b64 s[6:7], s[6:7], 1
	s_lshl_b64 s[4:5], s[4:5], 1
	v_add_co_u32 v12, vcc_lo, v16, s6
	v_add_co_ci_u32_e64 v13, null, s7, v15, vcc_lo
	s_mul_i32 s6, s14, 0x60
	v_add_co_u32 v12, vcc_lo, v12, s4
	s_ashr_i32 s7, s6, 31
	v_add_co_ci_u32_e64 v13, null, s5, v13, vcc_lo
	s_lshl_b64 s[4:5], s[6:7], 1
	v_lshrrev_b32_e32 v14, 1, v17
	v_add_co_u32 v12, vcc_lo, v12, s4
	v_bfe_u32 v15, v11, 16, 1
	v_add_co_ci_u32_e64 v13, null, s5, v13, vcc_lo
	v_add_co_u32 v12, vcc_lo, v12, v14
	v_add3_u32 v15, v15, v11, 0x7fff
	v_or_b32_e32 v16, 0x400000, v11
	v_add_co_ci_u32_e64 v13, null, 0, v13, vcc_lo
	v_bfe_u32 v14, v10, 16, 1
	v_cmp_u_f32_e32 vcc_lo, v11, v11
	v_add3_u32 v14, v14, v10, 0x7fff
	v_cndmask_b32_e32 v11, v15, v16, vcc_lo
	v_bfe_u32 v15, v9, 16, 1
	v_or_b32_e32 v16, 0x400000, v10
	v_cmp_u_f32_e32 vcc_lo, v10, v10
	flat_store_short_d16_hi v[12:13], v11
	v_add3_u32 v11, v15, v9, 0x7fff
	v_or_b32_e32 v15, 0x400000, v9
	v_cndmask_b32_e32 v10, v14, v16, vcc_lo
	v_bfe_u32 v14, v8, 16, 1
	v_cmp_u_f32_e32 vcc_lo, v9, v9
	flat_store_short_d16_hi v[12:13], v10 offset:16
	v_add3_u32 v10, v14, v8, 0x7fff
	v_cndmask_b32_e32 v9, v11, v15, vcc_lo
	v_bfe_u32 v11, v7, 16, 1
	v_or_b32_e32 v14, 0x400000, v8
	v_cmp_u_f32_e32 vcc_lo, v8, v8
	flat_store_short_d16_hi v[12:13], v9 offset:32
	v_add3_u32 v9, v11, v7, 0x7fff
	v_or_b32_e32 v11, 0x400000, v7
	v_cndmask_b32_e32 v8, v10, v14, vcc_lo
	v_bfe_u32 v10, v6, 16, 1
	v_cmp_u_f32_e32 vcc_lo, v7, v7
	flat_store_short_d16_hi v[12:13], v8 offset:48
	v_add3_u32 v8, v10, v6, 0x7fff
	v_cndmask_b32_e32 v7, v9, v11, vcc_lo
	v_bfe_u32 v9, v5, 16, 1
	v_or_b32_e32 v10, 0x400000, v6
	v_cmp_u_f32_e32 vcc_lo, v6, v6
	flat_store_short_d16_hi v[12:13], v7 offset:64
	v_add3_u32 v7, v9, v5, 0x7fff
	v_or_b32_e32 v9, 0x400000, v5
	v_cndmask_b32_e32 v6, v8, v10, vcc_lo
	v_bfe_u32 v8, v4, 16, 1
	v_cmp_u_f32_e32 vcc_lo, v5, v5
	v_or_b32_e32 v10, 0x400000, v0
	flat_store_short_d16_hi v[12:13], v6 offset:80
	v_add3_u32 v6, v8, v4, 0x7fff
	v_cndmask_b32_e32 v5, v7, v9, vcc_lo
	v_bfe_u32 v7, v3, 16, 1
	v_or_b32_e32 v8, 0x400000, v4
	v_cmp_u_f32_e32 vcc_lo, v4, v4
	v_or_b32_e32 v9, 0x400000, v1
	flat_store_short_d16_hi v[12:13], v5 offset:96
	v_add3_u32 v5, v7, v3, 0x7fff
	v_or_b32_e32 v7, 0x400000, v3
	v_cndmask_b32_e32 v4, v6, v8, vcc_lo
	v_bfe_u32 v6, v2, 16, 1
	v_cmp_u_f32_e32 vcc_lo, v3, v3
	v_bfe_u32 v8, v1, 16, 1
	v_add3_u32 v6, v6, v2, 0x7fff
	v_cndmask_b32_e32 v3, v5, v7, vcc_lo
	v_or_b32_e32 v7, 0x400000, v2
	v_cmp_u_f32_e32 vcc_lo, v2, v2
	v_bfe_u32 v5, v0, 16, 1
	v_add3_u32 v8, v8, v1, 0x7fff
	v_cndmask_b32_e32 v2, v6, v7, vcc_lo
	v_cmp_u_f32_e32 vcc_lo, v1, v1
	v_add3_u32 v5, v5, v0, 0x7fff
	v_cndmask_b32_e32 v1, v8, v9, vcc_lo
	v_cmp_u_f32_e32 vcc_lo, v0, v0
	v_cndmask_b32_e32 v0, v5, v10, vcc_lo
	flat_store_short_d16_hi v[12:13], v4 offset:112
	flat_store_short_d16_hi v[12:13], v3 offset:128
	;; [unrolled: 1-line block ×5, first 2 shown]
.LBB389_1628:
	s_or_b32 exec_lo, exec_lo, s19
	s_clause 0x2f
	buffer_load_dword v127, off, s[0:3], s32
	buffer_load_dword v126, off, s[0:3], s32 offset:4
	buffer_load_dword v125, off, s[0:3], s32 offset:8
	;; [unrolled: 1-line block ×47, first 2 shown]
	s_waitcnt vmcnt(0) lgkmcnt(0)
	s_setpc_b64 s[30:31]
.LBB389_1629:
	ds_read_b32 v14, v12
	s_waitcnt lgkmcnt(0)
	v_add_f32_e32 v11, v14, v11
	s_or_b32 exec_lo, exec_lo, s4
	s_and_saveexec_b32 s4, vcc_lo
	s_cbranch_execz .LBB389_1597
.LBB389_1630:
	ds_read_b32 v14, v12 offset:32
	s_waitcnt lgkmcnt(0)
	v_add_f32_e32 v10, v14, v10
	s_or_b32 exec_lo, exec_lo, s4
	s_and_saveexec_b32 s4, vcc_lo
	s_cbranch_execz .LBB389_1598
.LBB389_1631:
	ds_read_b32 v14, v12 offset:64
	s_waitcnt lgkmcnt(0)
	v_add_f32_e32 v9, v14, v9
	s_or_b32 exec_lo, exec_lo, s4
	s_and_saveexec_b32 s4, vcc_lo
	s_cbranch_execz .LBB389_1599
.LBB389_1632:
	ds_read_b32 v14, v12 offset:96
	s_waitcnt lgkmcnt(0)
	v_add_f32_e32 v8, v14, v8
	s_or_b32 exec_lo, exec_lo, s4
	s_and_saveexec_b32 s4, vcc_lo
	s_cbranch_execz .LBB389_1600
.LBB389_1633:
	ds_read_b32 v14, v12 offset:128
	s_waitcnt lgkmcnt(0)
	v_add_f32_e32 v7, v14, v7
	s_or_b32 exec_lo, exec_lo, s4
	s_and_saveexec_b32 s4, vcc_lo
	s_cbranch_execz .LBB389_1601
.LBB389_1634:
	ds_read_b32 v14, v12 offset:160
	s_waitcnt lgkmcnt(0)
	v_add_f32_e32 v6, v14, v6
	s_or_b32 exec_lo, exec_lo, s4
	s_and_saveexec_b32 s4, vcc_lo
	s_cbranch_execz .LBB389_1602
.LBB389_1635:
	ds_read_b32 v14, v12 offset:192
	s_waitcnt lgkmcnt(0)
	v_add_f32_e32 v5, v14, v5
	s_or_b32 exec_lo, exec_lo, s4
	s_and_saveexec_b32 s4, vcc_lo
	s_cbranch_execz .LBB389_1603
.LBB389_1636:
	ds_read_b32 v14, v12 offset:224
	s_waitcnt lgkmcnt(0)
	v_add_f32_e32 v4, v14, v4
	s_or_b32 exec_lo, exec_lo, s4
	s_and_saveexec_b32 s4, vcc_lo
	s_cbranch_execz .LBB389_1604
.LBB389_1637:
	ds_read_b32 v14, v12 offset:256
	s_waitcnt lgkmcnt(0)
	v_add_f32_e32 v3, v14, v3
	s_or_b32 exec_lo, exec_lo, s4
	s_and_saveexec_b32 s4, vcc_lo
	s_cbranch_execz .LBB389_1605
.LBB389_1638:
	ds_read_b32 v14, v12 offset:288
	s_waitcnt lgkmcnt(0)
	v_add_f32_e32 v2, v14, v2
	s_or_b32 exec_lo, exec_lo, s4
	s_and_saveexec_b32 s4, vcc_lo
	s_cbranch_execz .LBB389_1606
.LBB389_1639:
	ds_read_b32 v14, v12 offset:320
	s_waitcnt lgkmcnt(0)
	v_add_f32_e32 v1, v14, v1
	s_or_b32 exec_lo, exec_lo, s4
	s_and_saveexec_b32 s4, vcc_lo
	s_cbranch_execnz .LBB389_1607
	s_branch .LBB389_1608
.LBB389_1640:
	ds_read_b32 v13, v12
	s_waitcnt lgkmcnt(0)
	v_add_f32_e32 v11, v13, v11
	s_or_b32 exec_lo, exec_lo, s4
	s_and_saveexec_b32 s4, vcc_lo
	s_cbranch_execz .LBB389_1614
.LBB389_1641:
	ds_read_b32 v13, v12 offset:32
	s_waitcnt lgkmcnt(0)
	v_add_f32_e32 v10, v13, v10
	s_or_b32 exec_lo, exec_lo, s4
	s_and_saveexec_b32 s4, vcc_lo
	s_cbranch_execz .LBB389_1615
.LBB389_1642:
	ds_read_b32 v13, v12 offset:64
	s_waitcnt lgkmcnt(0)
	v_add_f32_e32 v9, v13, v9
	s_or_b32 exec_lo, exec_lo, s4
	s_and_saveexec_b32 s4, vcc_lo
	s_cbranch_execz .LBB389_1616
.LBB389_1643:
	ds_read_b32 v13, v12 offset:96
	s_waitcnt lgkmcnt(0)
	v_add_f32_e32 v8, v13, v8
	s_or_b32 exec_lo, exec_lo, s4
	s_and_saveexec_b32 s4, vcc_lo
	s_cbranch_execz .LBB389_1617
.LBB389_1644:
	ds_read_b32 v13, v12 offset:128
	s_waitcnt lgkmcnt(0)
	v_add_f32_e32 v7, v13, v7
	s_or_b32 exec_lo, exec_lo, s4
	s_and_saveexec_b32 s4, vcc_lo
	s_cbranch_execz .LBB389_1618
.LBB389_1645:
	ds_read_b32 v13, v12 offset:160
	s_waitcnt lgkmcnt(0)
	v_add_f32_e32 v6, v13, v6
	s_or_b32 exec_lo, exec_lo, s4
	s_and_saveexec_b32 s4, vcc_lo
	s_cbranch_execz .LBB389_1619
.LBB389_1646:
	ds_read_b32 v13, v12 offset:192
	s_waitcnt lgkmcnt(0)
	v_add_f32_e32 v5, v13, v5
	s_or_b32 exec_lo, exec_lo, s4
	s_and_saveexec_b32 s4, vcc_lo
	s_cbranch_execz .LBB389_1620
.LBB389_1647:
	ds_read_b32 v13, v12 offset:224
	s_waitcnt lgkmcnt(0)
	v_add_f32_e32 v4, v13, v4
	s_or_b32 exec_lo, exec_lo, s4
	s_and_saveexec_b32 s4, vcc_lo
	s_cbranch_execz .LBB389_1621
.LBB389_1648:
	ds_read_b32 v13, v12 offset:256
	s_waitcnt lgkmcnt(0)
	v_add_f32_e32 v3, v13, v3
	s_or_b32 exec_lo, exec_lo, s4
	s_and_saveexec_b32 s4, vcc_lo
	s_cbranch_execz .LBB389_1622
.LBB389_1649:
	ds_read_b32 v13, v12 offset:288
	s_waitcnt lgkmcnt(0)
	v_add_f32_e32 v2, v13, v2
	s_or_b32 exec_lo, exec_lo, s4
	s_and_saveexec_b32 s4, vcc_lo
	s_cbranch_execz .LBB389_1623
.LBB389_1650:
	ds_read_b32 v13, v12 offset:320
	s_waitcnt lgkmcnt(0)
	v_add_f32_e32 v1, v13, v1
	s_or_b32 exec_lo, exec_lo, s4
	s_and_saveexec_b32 s4, vcc_lo
	s_cbranch_execnz .LBB389_1624
	s_branch .LBB389_1625
.Lfunc_end389:
	.size	_ZN4vllm22paged_attention_kernelI14__hip_bfloat16hLi96ELi32ELi128ELNS_18Fp8KVCacheDataTypeE1ELb0ELi512EEEvPfS3_PT_PKS4_PKT0_SA_ifPKiSC_iPKfiiiSE_SE_iiiii, .Lfunc_end389-_ZN4vllm22paged_attention_kernelI14__hip_bfloat16hLi96ELi32ELi128ELNS_18Fp8KVCacheDataTypeE1ELb0ELi512EEEvPfS3_PT_PKS4_PKT0_SA_ifPKiSC_iPKfiiiSE_SE_iiiii
                                        ; -- End function
	.set .L_ZN4vllm22paged_attention_kernelI14__hip_bfloat16hLi96ELi32ELi128ELNS_18Fp8KVCacheDataTypeE1ELb0ELi512EEEvPfS3_PT_PKS4_PKT0_SA_ifPKiSC_iPKfiiiSE_SE_iiiii.num_vgpr, 128
	.set .L_ZN4vllm22paged_attention_kernelI14__hip_bfloat16hLi96ELi32ELi128ELNS_18Fp8KVCacheDataTypeE1ELb0ELi512EEEvPfS3_PT_PKS4_PKT0_SA_ifPKiSC_iPKfiiiSE_SE_iiiii.num_agpr, 0
	.set .L_ZN4vllm22paged_attention_kernelI14__hip_bfloat16hLi96ELi32ELi128ELNS_18Fp8KVCacheDataTypeE1ELb0ELi512EEEvPfS3_PT_PKS4_PKT0_SA_ifPKiSC_iPKfiiiSE_SE_iiiii.numbered_sgpr, 33
	.set .L_ZN4vllm22paged_attention_kernelI14__hip_bfloat16hLi96ELi32ELi128ELNS_18Fp8KVCacheDataTypeE1ELb0ELi512EEEvPfS3_PT_PKS4_PKT0_SA_ifPKiSC_iPKfiiiSE_SE_iiiii.num_named_barrier, 0
	.set .L_ZN4vllm22paged_attention_kernelI14__hip_bfloat16hLi96ELi32ELi128ELNS_18Fp8KVCacheDataTypeE1ELb0ELi512EEEvPfS3_PT_PKS4_PKT0_SA_ifPKiSC_iPKfiiiSE_SE_iiiii.private_seg_size, 660
	.set .L_ZN4vllm22paged_attention_kernelI14__hip_bfloat16hLi96ELi32ELi128ELNS_18Fp8KVCacheDataTypeE1ELb0ELi512EEEvPfS3_PT_PKS4_PKT0_SA_ifPKiSC_iPKfiiiSE_SE_iiiii.uses_vcc, 1
	.set .L_ZN4vllm22paged_attention_kernelI14__hip_bfloat16hLi96ELi32ELi128ELNS_18Fp8KVCacheDataTypeE1ELb0ELi512EEEvPfS3_PT_PKS4_PKT0_SA_ifPKiSC_iPKfiiiSE_SE_iiiii.uses_flat_scratch, 0
	.set .L_ZN4vllm22paged_attention_kernelI14__hip_bfloat16hLi96ELi32ELi128ELNS_18Fp8KVCacheDataTypeE1ELb0ELi512EEEvPfS3_PT_PKS4_PKT0_SA_ifPKiSC_iPKfiiiSE_SE_iiiii.has_dyn_sized_stack, 0
	.set .L_ZN4vllm22paged_attention_kernelI14__hip_bfloat16hLi96ELi32ELi128ELNS_18Fp8KVCacheDataTypeE1ELb0ELi512EEEvPfS3_PT_PKS4_PKT0_SA_ifPKiSC_iPKfiiiSE_SE_iiiii.has_recursion, 0
	.set .L_ZN4vllm22paged_attention_kernelI14__hip_bfloat16hLi96ELi32ELi128ELNS_18Fp8KVCacheDataTypeE1ELb0ELi512EEEvPfS3_PT_PKS4_PKT0_SA_ifPKiSC_iPKfiiiSE_SE_iiiii.has_indirect_call, 0
	.section	.AMDGPU.csdata,"",@progbits
; Function info:
; codeLenInByte = 63692
; TotalNumSgprs: 35
; NumVgprs: 128
; ScratchSize: 660
; MemoryBound: 0
	.section	.text._ZN4vllm25paged_attention_v2_kernelI14__hip_bfloat16hLi96ELi32ELi128ELNS_18Fp8KVCacheDataTypeE1ELb0ELi512EEEvPfS3_PT_PKS4_PKT0_SA_ifPKiSC_iPKfiiiSE_SE_iiiii,"axG",@progbits,_ZN4vllm25paged_attention_v2_kernelI14__hip_bfloat16hLi96ELi32ELi128ELNS_18Fp8KVCacheDataTypeE1ELb0ELi512EEEvPfS3_PT_PKS4_PKT0_SA_ifPKiSC_iPKfiiiSE_SE_iiiii,comdat
	.protected	_ZN4vllm25paged_attention_v2_kernelI14__hip_bfloat16hLi96ELi32ELi128ELNS_18Fp8KVCacheDataTypeE1ELb0ELi512EEEvPfS3_PT_PKS4_PKT0_SA_ifPKiSC_iPKfiiiSE_SE_iiiii ; -- Begin function _ZN4vllm25paged_attention_v2_kernelI14__hip_bfloat16hLi96ELi32ELi128ELNS_18Fp8KVCacheDataTypeE1ELb0ELi512EEEvPfS3_PT_PKS4_PKT0_SA_ifPKiSC_iPKfiiiSE_SE_iiiii
	.globl	_ZN4vllm25paged_attention_v2_kernelI14__hip_bfloat16hLi96ELi32ELi128ELNS_18Fp8KVCacheDataTypeE1ELb0ELi512EEEvPfS3_PT_PKS4_PKT0_SA_ifPKiSC_iPKfiiiSE_SE_iiiii
	.p2align	8
	.type	_ZN4vllm25paged_attention_v2_kernelI14__hip_bfloat16hLi96ELi32ELi128ELNS_18Fp8KVCacheDataTypeE1ELb0ELi512EEEvPfS3_PT_PKS4_PKT0_SA_ifPKiSC_iPKfiiiSE_SE_iiiii,@function
_ZN4vllm25paged_attention_v2_kernelI14__hip_bfloat16hLi96ELi32ELi128ELNS_18Fp8KVCacheDataTypeE1ELb0ELi512EEEvPfS3_PT_PKS4_PKT0_SA_ifPKiSC_iPKfiiiSE_SE_iiiii: ; @_ZN4vllm25paged_attention_v2_kernelI14__hip_bfloat16hLi96ELi32ELi128ELNS_18Fp8KVCacheDataTypeE1ELb0ELi512EEEvPfS3_PT_PKS4_PKT0_SA_ifPKiSC_iPKfiiiSE_SE_iiiii
; %bb.0:
	s_clause 0x5
	s_load_dwordx8 s[24:31], s[4:5], 0x0
	s_load_dwordx8 s[16:23], s[4:5], 0x20
	s_load_dwordx2 s[10:11], s[4:5], 0x40
	s_load_dwordx2 s[34:35], s[4:5], 0x50
	s_load_dword s13, s[4:5], 0x48
	s_load_dwordx8 s[36:43], s[4:5], 0x58
	s_add_u32 s0, s0, s9
	s_addc_u32 s1, s1, 0
	v_mov_b32_e32 v31, v0
	s_mov_b32 s14, s8
	s_add_u32 s8, s4, 0x90
	s_addc_u32 s9, s5, 0
	s_getpc_b64 s[4:5]
	s_add_u32 s4, s4, _ZN4vllm22paged_attention_kernelI14__hip_bfloat16hLi96ELi32ELi128ELNS_18Fp8KVCacheDataTypeE1ELb0ELi512EEEvPfS3_PT_PKS4_PKT0_SA_ifPKiSC_iPKfiiiSE_SE_iiiii@rel32@lo+4
	s_addc_u32 s5, s5, _ZN4vllm22paged_attention_kernelI14__hip_bfloat16hLi96ELi32ELi128ELNS_18Fp8KVCacheDataTypeE1ELb0ELi512EEEvPfS3_PT_PKS4_PKT0_SA_ifPKiSC_iPKfiiiSE_SE_iiiii@rel32@hi+12
	s_mov_b32 s12, s6
	s_mov_b32 s15, 14
	;; [unrolled: 1-line block ×3, first 2 shown]
	s_waitcnt lgkmcnt(0)
	v_mov_b32_e32 v0, s24
	v_mov_b32_e32 v1, s25
	;; [unrolled: 1-line block ×28, first 2 shown]
	s_mov_b32 s13, s7
	s_swappc_b64 s[30:31], s[4:5]
	s_endpgm
	.section	.rodata,"a",@progbits
	.p2align	6, 0x0
	.amdhsa_kernel _ZN4vllm25paged_attention_v2_kernelI14__hip_bfloat16hLi96ELi32ELi128ELNS_18Fp8KVCacheDataTypeE1ELb0ELi512EEEvPfS3_PT_PKS4_PKT0_SA_ifPKiSC_iPKfiiiSE_SE_iiiii
		.amdhsa_group_segment_fixed_size 224
		.amdhsa_private_segment_fixed_size 660
		.amdhsa_kernarg_size 400
		.amdhsa_user_sgpr_count 6
		.amdhsa_user_sgpr_private_segment_buffer 1
		.amdhsa_user_sgpr_dispatch_ptr 0
		.amdhsa_user_sgpr_queue_ptr 0
		.amdhsa_user_sgpr_kernarg_segment_ptr 1
		.amdhsa_user_sgpr_dispatch_id 0
		.amdhsa_user_sgpr_flat_scratch_init 0
		.amdhsa_user_sgpr_private_segment_size 0
		.amdhsa_wavefront_size32 1
		.amdhsa_uses_dynamic_stack 0
		.amdhsa_system_sgpr_private_segment_wavefront_offset 1
		.amdhsa_system_sgpr_workgroup_id_x 1
		.amdhsa_system_sgpr_workgroup_id_y 1
		.amdhsa_system_sgpr_workgroup_id_z 1
		.amdhsa_system_sgpr_workgroup_info 0
		.amdhsa_system_vgpr_workitem_id 0
		.amdhsa_next_free_vgpr 128
		.amdhsa_next_free_sgpr 44
		.amdhsa_reserve_vcc 1
		.amdhsa_reserve_flat_scratch 0
		.amdhsa_float_round_mode_32 0
		.amdhsa_float_round_mode_16_64 0
		.amdhsa_float_denorm_mode_32 3
		.amdhsa_float_denorm_mode_16_64 3
		.amdhsa_dx10_clamp 1
		.amdhsa_ieee_mode 1
		.amdhsa_fp16_overflow 0
		.amdhsa_workgroup_processor_mode 1
		.amdhsa_memory_ordered 1
		.amdhsa_forward_progress 1
		.amdhsa_shared_vgpr_count 0
		.amdhsa_exception_fp_ieee_invalid_op 0
		.amdhsa_exception_fp_denorm_src 0
		.amdhsa_exception_fp_ieee_div_zero 0
		.amdhsa_exception_fp_ieee_overflow 0
		.amdhsa_exception_fp_ieee_underflow 0
		.amdhsa_exception_fp_ieee_inexact 0
		.amdhsa_exception_int_div_zero 0
	.end_amdhsa_kernel
	.section	.text._ZN4vllm25paged_attention_v2_kernelI14__hip_bfloat16hLi96ELi32ELi128ELNS_18Fp8KVCacheDataTypeE1ELb0ELi512EEEvPfS3_PT_PKS4_PKT0_SA_ifPKiSC_iPKfiiiSE_SE_iiiii,"axG",@progbits,_ZN4vllm25paged_attention_v2_kernelI14__hip_bfloat16hLi96ELi32ELi128ELNS_18Fp8KVCacheDataTypeE1ELb0ELi512EEEvPfS3_PT_PKS4_PKT0_SA_ifPKiSC_iPKfiiiSE_SE_iiiii,comdat
.Lfunc_end390:
	.size	_ZN4vllm25paged_attention_v2_kernelI14__hip_bfloat16hLi96ELi32ELi128ELNS_18Fp8KVCacheDataTypeE1ELb0ELi512EEEvPfS3_PT_PKS4_PKT0_SA_ifPKiSC_iPKfiiiSE_SE_iiiii, .Lfunc_end390-_ZN4vllm25paged_attention_v2_kernelI14__hip_bfloat16hLi96ELi32ELi128ELNS_18Fp8KVCacheDataTypeE1ELb0ELi512EEEvPfS3_PT_PKS4_PKT0_SA_ifPKiSC_iPKfiiiSE_SE_iiiii
                                        ; -- End function
	.set _ZN4vllm25paged_attention_v2_kernelI14__hip_bfloat16hLi96ELi32ELi128ELNS_18Fp8KVCacheDataTypeE1ELb0ELi512EEEvPfS3_PT_PKS4_PKT0_SA_ifPKiSC_iPKfiiiSE_SE_iiiii.num_vgpr, max(32, .L_ZN4vllm22paged_attention_kernelI14__hip_bfloat16hLi96ELi32ELi128ELNS_18Fp8KVCacheDataTypeE1ELb0ELi512EEEvPfS3_PT_PKS4_PKT0_SA_ifPKiSC_iPKfiiiSE_SE_iiiii.num_vgpr)
	.set _ZN4vllm25paged_attention_v2_kernelI14__hip_bfloat16hLi96ELi32ELi128ELNS_18Fp8KVCacheDataTypeE1ELb0ELi512EEEvPfS3_PT_PKS4_PKT0_SA_ifPKiSC_iPKfiiiSE_SE_iiiii.num_agpr, max(0, .L_ZN4vllm22paged_attention_kernelI14__hip_bfloat16hLi96ELi32ELi128ELNS_18Fp8KVCacheDataTypeE1ELb0ELi512EEEvPfS3_PT_PKS4_PKT0_SA_ifPKiSC_iPKfiiiSE_SE_iiiii.num_agpr)
	.set _ZN4vllm25paged_attention_v2_kernelI14__hip_bfloat16hLi96ELi32ELi128ELNS_18Fp8KVCacheDataTypeE1ELb0ELi512EEEvPfS3_PT_PKS4_PKT0_SA_ifPKiSC_iPKfiiiSE_SE_iiiii.numbered_sgpr, max(44, .L_ZN4vllm22paged_attention_kernelI14__hip_bfloat16hLi96ELi32ELi128ELNS_18Fp8KVCacheDataTypeE1ELb0ELi512EEEvPfS3_PT_PKS4_PKT0_SA_ifPKiSC_iPKfiiiSE_SE_iiiii.numbered_sgpr)
	.set _ZN4vllm25paged_attention_v2_kernelI14__hip_bfloat16hLi96ELi32ELi128ELNS_18Fp8KVCacheDataTypeE1ELb0ELi512EEEvPfS3_PT_PKS4_PKT0_SA_ifPKiSC_iPKfiiiSE_SE_iiiii.num_named_barrier, max(0, .L_ZN4vllm22paged_attention_kernelI14__hip_bfloat16hLi96ELi32ELi128ELNS_18Fp8KVCacheDataTypeE1ELb0ELi512EEEvPfS3_PT_PKS4_PKT0_SA_ifPKiSC_iPKfiiiSE_SE_iiiii.num_named_barrier)
	.set _ZN4vllm25paged_attention_v2_kernelI14__hip_bfloat16hLi96ELi32ELi128ELNS_18Fp8KVCacheDataTypeE1ELb0ELi512EEEvPfS3_PT_PKS4_PKT0_SA_ifPKiSC_iPKfiiiSE_SE_iiiii.private_seg_size, 0+max(.L_ZN4vllm22paged_attention_kernelI14__hip_bfloat16hLi96ELi32ELi128ELNS_18Fp8KVCacheDataTypeE1ELb0ELi512EEEvPfS3_PT_PKS4_PKT0_SA_ifPKiSC_iPKfiiiSE_SE_iiiii.private_seg_size)
	.set _ZN4vllm25paged_attention_v2_kernelI14__hip_bfloat16hLi96ELi32ELi128ELNS_18Fp8KVCacheDataTypeE1ELb0ELi512EEEvPfS3_PT_PKS4_PKT0_SA_ifPKiSC_iPKfiiiSE_SE_iiiii.uses_vcc, or(1, .L_ZN4vllm22paged_attention_kernelI14__hip_bfloat16hLi96ELi32ELi128ELNS_18Fp8KVCacheDataTypeE1ELb0ELi512EEEvPfS3_PT_PKS4_PKT0_SA_ifPKiSC_iPKfiiiSE_SE_iiiii.uses_vcc)
	.set _ZN4vllm25paged_attention_v2_kernelI14__hip_bfloat16hLi96ELi32ELi128ELNS_18Fp8KVCacheDataTypeE1ELb0ELi512EEEvPfS3_PT_PKS4_PKT0_SA_ifPKiSC_iPKfiiiSE_SE_iiiii.uses_flat_scratch, or(0, .L_ZN4vllm22paged_attention_kernelI14__hip_bfloat16hLi96ELi32ELi128ELNS_18Fp8KVCacheDataTypeE1ELb0ELi512EEEvPfS3_PT_PKS4_PKT0_SA_ifPKiSC_iPKfiiiSE_SE_iiiii.uses_flat_scratch)
	.set _ZN4vllm25paged_attention_v2_kernelI14__hip_bfloat16hLi96ELi32ELi128ELNS_18Fp8KVCacheDataTypeE1ELb0ELi512EEEvPfS3_PT_PKS4_PKT0_SA_ifPKiSC_iPKfiiiSE_SE_iiiii.has_dyn_sized_stack, or(0, .L_ZN4vllm22paged_attention_kernelI14__hip_bfloat16hLi96ELi32ELi128ELNS_18Fp8KVCacheDataTypeE1ELb0ELi512EEEvPfS3_PT_PKS4_PKT0_SA_ifPKiSC_iPKfiiiSE_SE_iiiii.has_dyn_sized_stack)
	.set _ZN4vllm25paged_attention_v2_kernelI14__hip_bfloat16hLi96ELi32ELi128ELNS_18Fp8KVCacheDataTypeE1ELb0ELi512EEEvPfS3_PT_PKS4_PKT0_SA_ifPKiSC_iPKfiiiSE_SE_iiiii.has_recursion, or(0, .L_ZN4vllm22paged_attention_kernelI14__hip_bfloat16hLi96ELi32ELi128ELNS_18Fp8KVCacheDataTypeE1ELb0ELi512EEEvPfS3_PT_PKS4_PKT0_SA_ifPKiSC_iPKfiiiSE_SE_iiiii.has_recursion)
	.set _ZN4vllm25paged_attention_v2_kernelI14__hip_bfloat16hLi96ELi32ELi128ELNS_18Fp8KVCacheDataTypeE1ELb0ELi512EEEvPfS3_PT_PKS4_PKT0_SA_ifPKiSC_iPKfiiiSE_SE_iiiii.has_indirect_call, or(0, .L_ZN4vllm22paged_attention_kernelI14__hip_bfloat16hLi96ELi32ELi128ELNS_18Fp8KVCacheDataTypeE1ELb0ELi512EEEvPfS3_PT_PKS4_PKT0_SA_ifPKiSC_iPKfiiiSE_SE_iiiii.has_indirect_call)
	.section	.AMDGPU.csdata,"",@progbits
; Kernel info:
; codeLenInByte = 240
; TotalNumSgprs: 46
; NumVgprs: 128
; ScratchSize: 660
; MemoryBound: 0
; FloatMode: 240
; IeeeMode: 1
; LDSByteSize: 224 bytes/workgroup (compile time only)
; SGPRBlocks: 0
; VGPRBlocks: 15
; NumSGPRsForWavesPerEU: 46
; NumVGPRsForWavesPerEU: 128
; Occupancy: 8
; WaveLimiterHint : 1
; COMPUTE_PGM_RSRC2:SCRATCH_EN: 1
; COMPUTE_PGM_RSRC2:USER_SGPR: 6
; COMPUTE_PGM_RSRC2:TRAP_HANDLER: 0
; COMPUTE_PGM_RSRC2:TGID_X_EN: 1
; COMPUTE_PGM_RSRC2:TGID_Y_EN: 1
; COMPUTE_PGM_RSRC2:TGID_Z_EN: 1
; COMPUTE_PGM_RSRC2:TIDIG_COMP_CNT: 0
	.text
	.p2align	2                               ; -- Begin function _ZN4vllm22paged_attention_kernelI14__hip_bfloat16hLi112ELi32ELi128ELNS_18Fp8KVCacheDataTypeE1ELb0ELi512EEEvPfS3_PT_PKS4_PKT0_SA_ifPKiSC_iPKfiiiSE_SE_iiiii
	.type	_ZN4vllm22paged_attention_kernelI14__hip_bfloat16hLi112ELi32ELi128ELNS_18Fp8KVCacheDataTypeE1ELb0ELi512EEEvPfS3_PT_PKS4_PKT0_SA_ifPKiSC_iPKfiiiSE_SE_iiiii,@function
_ZN4vllm22paged_attention_kernelI14__hip_bfloat16hLi112ELi32ELi128ELNS_18Fp8KVCacheDataTypeE1ELb0ELi512EEEvPfS3_PT_PKS4_PKT0_SA_ifPKiSC_iPKfiiiSE_SE_iiiii: ; @_ZN4vllm22paged_attention_kernelI14__hip_bfloat16hLi112ELi32ELi128ELNS_18Fp8KVCacheDataTypeE1ELb0ELi512EEEvPfS3_PT_PKS4_PKT0_SA_ifPKiSC_iPKfiiiSE_SE_iiiii
; %bb.0:
	s_waitcnt vmcnt(0) expcnt(0) lgkmcnt(0)
	buffer_store_dword v40, off, s[0:3], s32 offset:188 ; 4-byte Folded Spill
	buffer_store_dword v41, off, s[0:3], s32 offset:184 ; 4-byte Folded Spill
	;; [unrolled: 1-line block ×47, first 2 shown]
	buffer_store_dword v127, off, s[0:3], s32 ; 4-byte Folded Spill
	s_mov_b32 s18, s13
	s_ashr_i32 s19, s13, 31
	buffer_store_dword v24, off, s[0:3], s32 offset:212 ; 4-byte Folded Spill
	buffer_store_dword v25, off, s[0:3], s32 offset:216 ; 4-byte Folded Spill
	;; [unrolled: 1-line block ×4, first 2 shown]
	s_lshl_b64 s[4:5], s[18:19], 2
	v_mov_b32_e32 v24, v0
	v_add_co_u32 v0, vcc_lo, v16, s4
	v_mov_b32_e32 v22, v1
	v_add_co_ci_u32_e64 v1, null, s5, v17, vcc_lo
	v_mov_b32_e32 v36, v5
	v_mov_b32_e32 v37, v4
	;; [unrolled: 1-line block ×3, first 2 shown]
	flat_load_dword v35, v[0:1]
	v_mov_b32_e32 v28, v2
	s_lshl_b32 s20, s14, 9
	s_mov_b32 s19, exec_lo
	s_waitcnt vmcnt(0) lgkmcnt(0)
	v_cmpx_lt_i32_e64 s20, v35
	s_cbranch_execz .LBB391_1892
; %bb.1:
	v_sub_nc_u32_e32 v0, 0, v12
	s_clause 0x1
	s_load_dword s4, s[8:9], 0x10
	s_load_dword s5, s[8:9], 0x0
	s_mov_b32 s16, s15
	v_max_i32_e32 v0, v12, v0
	v_cvt_f32_u32_e32 v1, v0
	v_sub_nc_u32_e32 v2, 0, v0
	v_rcp_iflag_f32_e32 v1, v1
	s_waitcnt lgkmcnt(0)
	s_lshr_b32 s4, s4, 16
	s_cmp_lg_u32 s4, 0
	s_cselect_b32 s4, -1, 0
	v_mul_f32_e32 v1, 0x4f7ffffe, v1
	s_cmp_lg_u32 s4, 0
	s_addc_u32 s15, s5, 0
	s_mov_b32 s5, exec_lo
	v_cvt_u32_f32_e32 v1, v1
	s_abs_i32 s4, s15
	v_mul_lo_u32 v2, v2, v1
	v_mul_hi_u32 v2, v1, v2
	v_add_nc_u32_e32 v1, v1, v2
	v_mul_hi_u32 v1, s4, v1
	v_mul_lo_u32 v2, v1, v0
	v_add_nc_u32_e32 v3, 1, v1
	v_sub_nc_u32_e32 v2, s4, v2
	s_abs_i32 s4, s12
	v_sub_nc_u32_e32 v4, v2, v0
	v_cmp_ge_u32_e32 vcc_lo, v2, v0
	v_cndmask_b32_e32 v1, v1, v3, vcc_lo
	v_cndmask_b32_e32 v2, v2, v4, vcc_lo
	v_xor_b32_e32 v3, s15, v12
	v_add_nc_u32_e32 v4, 1, v1
	v_cmp_ge_u32_e32 vcc_lo, v2, v0
	v_ashrrev_i32_e32 v3, 31, v3
	v_cndmask_b32_e32 v0, v1, v4, vcc_lo
	v_xor_b32_e32 v0, v0, v3
	v_sub_nc_u32_e32 v1, v0, v3
	v_sub_nc_u32_e32 v0, 0, v1
	v_max_i32_e32 v0, v1, v0
	v_cvt_f32_u32_e32 v2, v0
	v_sub_nc_u32_e32 v3, 0, v0
	v_rcp_iflag_f32_e32 v2, v2
	v_mul_f32_e32 v2, 0x4f7ffffe, v2
	v_cvt_u32_f32_e32 v2, v2
	v_mul_lo_u32 v3, v3, v2
	v_mul_hi_u32 v3, v2, v3
	v_add_nc_u32_e32 v2, v2, v3
	v_mad_u64_u32 v[16:17], null, s4, v2, 0
	v_mov_b32_e32 v2, 0
	buffer_store_dword v2, off, s[0:3], s32 offset:224 ; 4-byte Folded Spill
	v_cmpx_ne_u64_e32 0, v[19:20]
	s_cbranch_execz .LBB391_3
; %bb.2:
	s_ashr_i32 s13, s12, 31
	s_lshl_b64 s[6:7], s[12:13], 2
	v_add_co_u32 v2, vcc_lo, v19, s6
	v_add_co_ci_u32_e64 v3, null, s7, v20, vcc_lo
	flat_load_dword v2, v[2:3]
	s_waitcnt vmcnt(0) lgkmcnt(0)
	buffer_store_dword v2, off, s[0:3], s32 offset:224 ; 4-byte Folded Spill
.LBB391_3:
	s_or_b32 exec_lo, exec_lo, s5
	v_and_b32_e32 v38, 0x3ff, v31
	v_ashrrev_i32_e32 v1, 31, v1
	s_ashr_i32 s5, s12, 31
	s_mul_i32 s10, s12, 0x70
	s_mov_b32 s6, exec_lo
	v_cmpx_gt_u32_e32 14, v38
	s_cbranch_execz .LBB391_5
; %bb.4:
	v_mul_lo_u32 v2, v21, s18
	s_ashr_i32 s11, s10, 31
	v_lshlrev_b32_e32 v12, 4, v38
	s_lshl_b64 s[22:23], s[10:11], 1
	v_ashrrev_i32_e32 v3, 31, v2
	v_lshlrev_b64 v[2:3], 1, v[2:3]
	v_add_co_u32 v2, vcc_lo, v6, v2
	v_add_co_ci_u32_e64 v3, null, v7, v3, vcc_lo
	v_add_co_u32 v2, vcc_lo, v2, s22
	v_add_co_ci_u32_e64 v3, null, s23, v3, vcc_lo
	;; [unrolled: 2-line block ×3, first 2 shown]
	flat_load_dwordx4 v[2:5], v[2:3]
	s_waitcnt vmcnt(0) lgkmcnt(0)
	ds_write_b128 v12, v[2:5]
.LBB391_5:
	s_or_b32 exec_lo, exec_lo, s6
	v_mul_lo_u32 v2, v17, v0
	v_add_nc_u32_e32 v3, 1, v17
	v_add_nc_u32_e32 v4, 31, v35
	v_xor_b32_e32 v1, s5, v1
	v_lshrrev_b32_e32 v64, 5, v38
	s_lshl_b32 s7, s14, 4
	s_clause 0x1
	s_load_dword s13, s[8:9], 0x14
	s_load_dword s11, s[8:9], 0x8
	v_ashrrev_i32_e32 v6, 31, v4
	v_sub_nc_u32_e32 v2, s4, v2
	s_add_i32 s4, s7, 16
	v_and_b32_e32 v34, 31, v38
	v_mov_b32_e32 v52, 0xff7fffff
	v_lshrrev_b32_e32 v6, 27, v6
	v_sub_nc_u32_e32 v5, v2, v0
	v_cmp_ge_u32_e32 vcc_lo, v2, v0
	v_lshlrev_b32_e32 v29, 2, v34
	v_cndmask_b32_e32 v3, v17, v3, vcc_lo
	v_cndmask_b32_e32 v2, v2, v5, vcc_lo
	v_add_nc_u32_e32 v5, 1, v3
	v_cmp_ge_u32_e32 vcc_lo, v2, v0
	v_mul_lo_u32 v0, v18, s18
	v_cndmask_b32_e32 v2, v3, v5, vcc_lo
	v_add_nc_u32_e32 v3, v4, v6
	v_xor_b32_e32 v2, v2, v1
	v_ashrrev_i32_e32 v12, 5, v3
	v_add_nc_u32_e32 v3, s7, v64
	v_sub_nc_u32_e32 v2, v2, v1
	v_ashrrev_i32_e32 v1, 31, v0
	v_ashrrev_i32_e32 v4, 31, v3
	v_mul_lo_u32 v66, v2, v23
	v_min_i32_e32 v2, s4, v12
	v_lshlrev_b64 v[17:18], 2, v[0:1]
	v_cmp_ge_i32_e64 s4, v3, v2
	buffer_store_dword v3, off, s[0:3], s32 offset:192 ; 4-byte Folded Spill
	buffer_store_dword v4, off, s[0:3], s32 offset:196 ; 4-byte Folded Spill
	;; [unrolled: 1-line block ×3, first 2 shown]
	v_ashrrev_i32_e32 v67, 31, v66
	s_waitcnt lgkmcnt(0)
	s_waitcnt_vscnt null, 0x0
	s_barrier
	buffer_gl0_inv
	v_cmp_lt_i32_e32 vcc_lo, v3, v2
	s_mov_b32 s21, exec_lo
	s_and_b32 s5, s21, vcc_lo
	buffer_store_dword v36, off, s[0:3], s32 offset:696 ; 4-byte Folded Spill
	buffer_store_dword v37, off, s[0:3], s32 offset:700 ; 4-byte Folded Spill
	;; [unrolled: 1-line block ×5, first 2 shown]
	s_mov_b32 exec_lo, s5
	s_cbranch_execz .LBB391_905
; %bb.6:
	v_mov_b32_e32 v19, 0
	buffer_store_dword v12, off, s[0:3], s32 offset:756 ; 4-byte Folded Spill
	buffer_store_dword v28, off, s[0:3], s32 offset:752 ; 4-byte Folded Spill
	;; [unrolled: 1-line block ×9, first 2 shown]
	s_getpc_b64 s[8:9]
	s_add_u32 s8, s8, llvm.amdgcn.dynlds.offset.table@rel32@lo+4
	s_addc_u32 s9, s9, llvm.amdgcn.dynlds.offset.table@rel32@hi+12
	s_ashr_i32 s17, s16, 31
	v_mov_b32_e32 v52, 0xff7fffff
	ds_read_b128 v[0:3], v19
	ds_read_b128 v[4:7], v19 offset:16
	ds_read_b128 v[10:13], v19 offset:32
	ds_read_b128 v[20:23], v19 offset:48
	s_lshl_b64 s[22:23], s[16:17], 2
	v_mov_b32_e32 v55, 0x80
	s_add_u32 s8, s8, s22
	s_addc_u32 s9, s9, s23
	v_mov_b32_e32 v68, 24
	s_mov_b32 s17, 0
	s_waitcnt lgkmcnt(3)
	v_lshlrev_b32_e32 v16, 16, v0
	v_and_b32_e32 v0, 0xffff0000, v0
	buffer_store_dword v16, off, s[0:3], s32 offset:228 ; 4-byte Folded Spill
	buffer_store_dword v0, off, s[0:3], s32 offset:232 ; 4-byte Folded Spill
	v_lshlrev_b32_e32 v0, 16, v1
	buffer_store_dword v0, off, s[0:3], s32 offset:236 ; 4-byte Folded Spill
	v_and_b32_e32 v0, 0xffff0000, v1
	buffer_store_dword v0, off, s[0:3], s32 offset:240 ; 4-byte Folded Spill
	v_lshlrev_b32_e32 v0, 16, v2
	buffer_store_dword v0, off, s[0:3], s32 offset:244 ; 4-byte Folded Spill
	v_and_b32_e32 v0, 0xffff0000, v2
	buffer_store_dword v0, off, s[0:3], s32 offset:248 ; 4-byte Folded Spill
	v_lshlrev_b32_e32 v0, 16, v3
	buffer_store_dword v0, off, s[0:3], s32 offset:252 ; 4-byte Folded Spill
	v_and_b32_e32 v0, 0xffff0000, v3
	buffer_store_dword v0, off, s[0:3], s32 offset:256 ; 4-byte Folded Spill
	s_waitcnt lgkmcnt(2)
	v_lshlrev_b32_e32 v0, 16, v4
	buffer_store_dword v0, off, s[0:3], s32 offset:260 ; 4-byte Folded Spill
	v_and_b32_e32 v0, 0xffff0000, v4
	buffer_store_dword v0, off, s[0:3], s32 offset:264 ; 4-byte Folded Spill
	v_lshlrev_b32_e32 v0, 16, v5
	buffer_store_dword v0, off, s[0:3], s32 offset:268 ; 4-byte Folded Spill
	v_and_b32_e32 v0, 0xffff0000, v5
	buffer_store_dword v0, off, s[0:3], s32 offset:272 ; 4-byte Folded Spill
	v_lshlrev_b32_e32 v0, 16, v6
	buffer_store_dword v0, off, s[0:3], s32 offset:276 ; 4-byte Folded Spill
	v_and_b32_e32 v0, 0xffff0000, v6
	buffer_store_dword v0, off, s[0:3], s32 offset:280 ; 4-byte Folded Spill
	v_lshlrev_b32_e32 v0, 16, v7
	buffer_store_dword v0, off, s[0:3], s32 offset:284 ; 4-byte Folded Spill
	v_and_b32_e32 v0, 0xffff0000, v7
	buffer_store_dword v0, off, s[0:3], s32 offset:288 ; 4-byte Folded Spill
	s_waitcnt lgkmcnt(1)
	v_lshlrev_b32_e32 v0, 16, v10
	buffer_store_dword v0, off, s[0:3], s32 offset:292 ; 4-byte Folded Spill
	v_and_b32_e32 v0, 0xffff0000, v10
	;; [unrolled: 17-line block ×3, first 2 shown]
	buffer_store_dword v0, off, s[0:3], s32 offset:340 ; 4-byte Folded Spill
	v_lshlrev_b32_e32 v0, 16, v21
	buffer_store_dword v0, off, s[0:3], s32 offset:344 ; 4-byte Folded Spill
	v_and_b32_e32 v0, 0xffff0000, v21
	buffer_store_dword v0, off, s[0:3], s32 offset:348 ; 4-byte Folded Spill
	v_lshlrev_b32_e32 v0, 16, v22
	buffer_store_dword v0, off, s[0:3], s32 offset:352 ; 4-byte Folded Spill
	v_and_b32_e32 v0, 0xffff0000, v22
	buffer_store_dword v0, off, s[0:3], s32 offset:356 ; 4-byte Folded Spill
	v_lshlrev_b32_e32 v0, 16, v23
	buffer_store_dword v0, off, s[0:3], s32 offset:360 ; 4-byte Folded Spill
	v_and_b32_e32 v0, 0xffff0000, v23
	buffer_store_dword v0, off, s[0:3], s32 offset:364 ; 4-byte Folded Spill
	ds_read_b128 v[0:3], v19 offset:64
	s_waitcnt lgkmcnt(0)
	v_lshlrev_b32_e32 v4, 16, v0
	v_and_b32_e32 v0, 0xffff0000, v0
	buffer_store_dword v4, off, s[0:3], s32 offset:368 ; 4-byte Folded Spill
	buffer_store_dword v0, off, s[0:3], s32 offset:372 ; 4-byte Folded Spill
	v_lshlrev_b32_e32 v0, 16, v1
	buffer_store_dword v0, off, s[0:3], s32 offset:376 ; 4-byte Folded Spill
	v_and_b32_e32 v0, 0xffff0000, v1
	buffer_store_dword v0, off, s[0:3], s32 offset:380 ; 4-byte Folded Spill
	v_lshlrev_b32_e32 v0, 16, v2
	buffer_store_dword v0, off, s[0:3], s32 offset:384 ; 4-byte Folded Spill
	v_and_b32_e32 v0, 0xffff0000, v2
	buffer_store_dword v0, off, s[0:3], s32 offset:388 ; 4-byte Folded Spill
	v_lshlrev_b32_e32 v0, 16, v3
	buffer_store_dword v0, off, s[0:3], s32 offset:392 ; 4-byte Folded Spill
	v_and_b32_e32 v0, 0xffff0000, v3
	buffer_store_dword v0, off, s[0:3], s32 offset:396 ; 4-byte Folded Spill
	ds_read_b128 v[0:3], v19 offset:80
	s_waitcnt lgkmcnt(0)
	v_lshlrev_b32_e32 v4, 16, v0
	v_and_b32_e32 v0, 0xffff0000, v0
	buffer_store_dword v4, off, s[0:3], s32 offset:400 ; 4-byte Folded Spill
	;; [unrolled: 18-line block ×10, first 2 shown]
	buffer_store_dword v0, off, s[0:3], s32 offset:660 ; 4-byte Folded Spill
	v_lshlrev_b32_e32 v0, 16, v1
	v_lshlrev_b32_e32 v4, 4, v34
	buffer_store_dword v0, off, s[0:3], s32 offset:664 ; 4-byte Folded Spill
	v_and_b32_e32 v0, 0xffff0000, v1
	buffer_store_dword v0, off, s[0:3], s32 offset:668 ; 4-byte Folded Spill
	v_lshlrev_b32_e32 v0, 16, v2
	buffer_store_dword v0, off, s[0:3], s32 offset:672 ; 4-byte Folded Spill
	v_and_b32_e32 v0, 0xffff0000, v2
	buffer_store_dword v0, off, s[0:3], s32 offset:676 ; 4-byte Folded Spill
	;; [unrolled: 4-line block ×3, first 2 shown]
	s_clause 0x1
	buffer_load_dword v5, off, s[0:3], s32 offset:192
	buffer_load_dword v6, off, s[0:3], s32 offset:196
	s_waitcnt vmcnt(1)
	v_mov_b32_e32 v69, v5
	s_waitcnt vmcnt(0)
	v_lshlrev_b64 v[0:1], 2, v[5:6]
	v_add_co_u32 v0, vcc_lo, v17, v0
	buffer_store_dword v17, off, s[0:3], s32 offset:760 ; 4-byte Folded Spill
	buffer_store_dword v18, off, s[0:3], s32 offset:764 ; 4-byte Folded Spill
	buffer_store_dword v66, off, s[0:3], s32 offset:768 ; 4-byte Folded Spill
	buffer_store_dword v67, off, s[0:3], s32 offset:772 ; 4-byte Folded Spill
	v_add_co_ci_u32_e64 v1, null, v18, v1, vcc_lo
	v_add_co_u32 v2, vcc_lo, v8, v66
	v_add_co_ci_u32_e64 v3, null, v9, v67, vcc_lo
	v_mov_b32_e32 v66, 0xff
	v_add_co_u32 v2, vcc_lo, v2, v4
	v_add_co_ci_u32_e64 v3, null, 0, v3, vcc_lo
	buffer_store_dword v2, off, s[0:3], s32 offset:688 ; 4-byte Folded Spill
	buffer_store_dword v3, off, s[0:3], s32 offset:692 ; 4-byte Folded Spill
	;; [unrolled: 1-line block ×3, first 2 shown]
	v_add_co_u32 v20, vcc_lo, v14, v0
	buffer_load_dword v0, off, s[0:3], s32 offset:224 ; 4-byte Folded Reload
	s_load_dword s5, s[8:9], 0x0
	v_add_co_ci_u32_e64 v21, null, v15, v1, vcc_lo
	v_mov_b32_e32 v67, 7
	s_mov_b32 s8, -1
	s_mov_b32 s9, 0xffffff
	buffer_store_dword v15, off, s[0:3], s32 offset:716 ; 4-byte Folded Spill
	buffer_store_dword v29, off, s[0:3], s32 offset:776 ; 4-byte Folded Spill
	s_waitcnt vmcnt(0)
	v_cmp_neq_f32_e32 vcc_lo, 0, v0
	v_lshlrev_b32_e32 v0, 5, v64
	v_add3_u32 v53, s20, v0, v34
	v_lshl_or_b32 v0, v64, 7, v29
	s_waitcnt lgkmcnt(0)
	v_add_nc_u32_e32 v54, s5, v0
	s_branch .LBB391_11
.LBB391_7:                              ;   in Loop: Header=BB391_11 Depth=1
	s_or_b32 exec_lo, exec_lo, s24
	v_lshlrev_b32_sdwa v18, v68, v29 dst_sel:DWORD dst_unused:UNUSED_PAD src0_sel:DWORD src1_sel:BYTE_3
	v_lshlrev_b32_e32 v28, 20, v30
	v_lshl_add_u32 v16, v16, 23, 0x3c000000
	v_and_b32_e32 v18, 0x80000000, v18
	v_or3_b32 v16, v28, v18, v16
.LBB391_8:                              ;   in Loop: Header=BB391_11 Depth=1
	s_or_b32 exec_lo, exec_lo, s23
.LBB391_9:                              ;   in Loop: Header=BB391_11 Depth=1
	s_or_b32 exec_lo, exec_lo, s22
.LBB391_10:                             ;   in Loop: Header=BB391_11 Depth=1
	s_or_b32 exec_lo, exec_lo, s6
	v_mul_f32_e32 v18, v70, v80
	v_mul_f32_e32 v24, v70, v24
	;; [unrolled: 1-line block ×5, first 2 shown]
	v_bfe_u32 v28, v18, 16, 1
	v_or_b32_e32 v29, 0x400000, v18
	v_cmp_u_f32_e64 s5, v18, v18
	v_mul_f32_e32 v0, v70, v0
	v_mul_f32_e32 v14, v70, v14
	v_add3_u32 v28, v28, v18, 0x7fff
	v_mul_f32_e32 v2, v70, v2
	v_mul_f32_e32 v7, v70, v7
	;; [unrolled: 1-line block ×4, first 2 shown]
	v_cndmask_b32_e64 v18, v28, v29, s5
	v_bfe_u32 v28, v24, 16, 1
	v_or_b32_e32 v29, 0x400000, v24
	v_cmp_u_f32_e64 s5, v24, v24
	v_mul_f32_e32 v11, v70, v11
	v_mul_f32_e32 v3, v70, v3
	v_add3_u32 v28, v28, v24, 0x7fff
	v_mul_f32_e32 v24, v70, v48
	v_mul_f32_e32 v4, v70, v4
	;; [unrolled: 1-line block ×4, first 2 shown]
	v_cndmask_b32_e64 v28, v28, v29, s5
	v_bfe_u32 v29, v24, 16, 1
	v_or_b32_e32 v30, 0x400000, v24
	v_cmp_u_f32_e64 s5, v24, v24
	v_mul_f32_e32 v25, v70, v25
	v_mul_f32_e32 v13, v70, v13
	v_add3_u32 v29, v29, v24, 0x7fff
	v_bfe_u32 v24, v9, 16, 1
	v_mul_f32_e32 v51, v70, v51
	v_mul_f32_e32 v33, v70, v33
	;; [unrolled: 1-line block ×3, first 2 shown]
	v_cndmask_b32_e64 v29, v29, v30, s5
	v_add3_u32 v24, v24, v9, 0x7fff
	v_or_b32_e32 v30, 0x400000, v9
	v_cmp_u_f32_e64 s5, v9, v9
	v_bfe_u32 v9, v8, 16, 1
	v_mul_f32_e32 v22, v70, v22
	v_add_nc_u32_e32 v69, 4, v69
	v_add_co_u32 v20, s6, v20, 16
	v_cndmask_b32_e64 v30, v24, v30, s5
	v_add3_u32 v9, v9, v8, 0x7fff
	v_or_b32_e32 v24, 0x400000, v8
	v_cmp_u_f32_e64 s5, v8, v8
	v_mul_f32_e32 v8, v70, v50
	v_add_co_ci_u32_e64 v21, null, 0, v21, s6
	v_cndmask_b32_e64 v48, v9, v24, s5
	v_bfe_u32 v9, v8, 16, 1
	v_or_b32_e32 v24, 0x400000, v8
	v_cmp_u_f32_e64 s5, v8, v8
	v_add3_u32 v9, v9, v8, 0x7fff
	v_cndmask_b32_e64 v8, v9, v24, s5
	v_mul_f32_e32 v9, v70, v17
	v_bfe_u32 v17, v9, 16, 1
	v_or_b32_e32 v24, 0x400000, v9
	v_cmp_u_f32_e64 s5, v9, v9
	v_add3_u32 v17, v17, v9, 0x7fff
	v_mul_f32_e32 v9, v70, v81
	v_cndmask_b32_e64 v31, v17, v24, s5
	v_bfe_u32 v17, v9, 16, 1
	v_or_b32_e32 v24, 0x400000, v9
	v_cmp_u_f32_e64 s5, v9, v9
	v_add3_u32 v17, v17, v9, 0x7fff
	v_bfe_u32 v9, v1, 16, 1
	v_cndmask_b32_e64 v50, v17, v24, s5
	v_add3_u32 v9, v9, v1, 0x7fff
	v_or_b32_e32 v17, 0x400000, v1
	v_cmp_u_f32_e64 s5, v1, v1
	v_cndmask_b32_e64 v1, v9, v17, s5
	v_mul_f32_e32 v9, v70, v27
	v_and_b32_e32 v1, 0xffff0000, v1
	v_bfe_u32 v17, v9, 16, 1
	v_or_b32_e32 v24, 0x400000, v9
	v_cmp_u_f32_e64 s5, v9, v9
	v_add3_u32 v17, v17, v9, 0x7fff
	v_cndmask_b32_e64 v9, v17, v24, s5
	v_mul_f32_e32 v17, v70, v26
	v_bfe_u32 v24, v17, 16, 1
	v_or_b32_e32 v26, 0x400000, v17
	v_cmp_u_f32_e64 s5, v17, v17
	v_add3_u32 v24, v24, v17, 0x7fff
	v_mul_f32_e32 v17, v70, v38
	v_cndmask_b32_e64 v26, v24, v26, s5
	v_bfe_u32 v24, v17, 16, 1
	v_or_b32_e32 v27, 0x400000, v17
	v_cmp_u_f32_e64 s5, v17, v17
	v_add3_u32 v24, v24, v17, 0x7fff
	v_mul_f32_e32 v17, v70, v34
	v_cndmask_b32_e64 v27, v24, v27, s5
	;; [unrolled: 6-line block ×4, first 2 shown]
	v_bfe_u32 v23, v17, 16, 1
	v_or_b32_e32 v24, 0x400000, v17
	v_cmp_u_f32_e64 s5, v17, v17
	v_add3_u32 v23, v23, v17, 0x7fff
	v_bfe_u32 v17, v0, 16, 1
	v_cndmask_b32_e64 v23, v23, v24, s5
	v_add3_u32 v17, v17, v0, 0x7fff
	v_or_b32_e32 v24, 0x400000, v0
	v_cmp_u_f32_e64 s5, v0, v0
	v_cndmask_b32_e64 v0, v17, v24, s5
	v_bfe_u32 v17, v14, 16, 1
	v_or_b32_e32 v24, 0x400000, v14
	v_cmp_u_f32_e64 s5, v14, v14
	v_and_b32_e32 v0, 0xffff0000, v0
	v_add3_u32 v17, v17, v14, 0x7fff
	v_cndmask_b32_e64 v14, v17, v24, s5
	v_bfe_u32 v17, v2, 16, 1
	v_or_b32_e32 v24, 0x400000, v2
	v_cmp_u_f32_e64 s5, v2, v2
	v_add3_u32 v17, v17, v2, 0x7fff
	v_cndmask_b32_e64 v2, v17, v24, s5
	v_bfe_u32 v17, v7, 16, 1
	v_or_b32_e32 v24, 0x400000, v7
	v_cmp_u_f32_e64 s5, v7, v7
	v_and_b32_e32 v2, 0xffff0000, v2
	v_add3_u32 v17, v17, v7, 0x7fff
	v_cndmask_b32_e64 v7, v17, v24, s5
	v_bfe_u32 v17, v6, 16, 1
	v_or_b32_e32 v24, 0x400000, v6
	v_cmp_u_f32_e64 s5, v6, v6
	v_add3_u32 v17, v17, v6, 0x7fff
	v_cndmask_b32_e64 v6, v17, v24, s5
	v_bfe_u32 v17, v10, 16, 1
	v_or_b32_e32 v24, 0x400000, v10
	v_cmp_u_f32_e64 s5, v10, v10
	;; [unrolled: 5-line block ×3, first 2 shown]
	v_add3_u32 v17, v17, v11, 0x7fff
	v_bfe_u32 v11, v3, 16, 1
	v_cndmask_b32_e64 v49, v17, v24, s5
	v_add3_u32 v11, v11, v3, 0x7fff
	v_or_b32_e32 v17, 0x400000, v3
	v_cmp_u_f32_e64 s5, v3, v3
	v_cndmask_b32_e64 v3, v11, v17, s5
	v_mul_f32_e32 v11, v70, v15
	v_bfe_u32 v15, v11, 16, 1
	v_or_b32_e32 v17, 0x400000, v11
	v_cmp_u_f32_e64 s5, v11, v11
	v_add3_u32 v15, v15, v11, 0x7fff
	v_cndmask_b32_e64 v11, v15, v17, s5
	v_mul_f32_e32 v15, v70, v64
	v_bfe_u32 v17, v15, 16, 1
	v_or_b32_e32 v24, 0x400000, v15
	v_cmp_u_f32_e64 s5, v15, v15
	v_add3_u32 v17, v17, v15, 0x7fff
	;; [unrolled: 6-line block ×3, first 2 shown]
	v_bfe_u32 v17, v4, 16, 1
	v_cndmask_b32_e64 v24, v24, v39, s5
	v_add3_u32 v17, v17, v4, 0x7fff
	v_or_b32_e32 v39, 0x400000, v4
	v_cmp_u_f32_e64 s5, v4, v4
	v_cndmask_b32_e64 v4, v17, v39, s5
	v_bfe_u32 v17, v5, 16, 1
	v_or_b32_e32 v39, 0x400000, v5
	v_cmp_u_f32_e64 s5, v5, v5
	v_and_b32_e32 v4, 0xffff0000, v4
	v_add3_u32 v17, v17, v5, 0x7fff
	v_cndmask_b32_e64 v5, v17, v39, s5
	v_mul_f32_e32 v17, v70, v36
	v_and_b32_e32 v5, 0xffff0000, v5
	v_bfe_u32 v36, v17, 16, 1
	v_or_b32_e32 v39, 0x400000, v17
	v_cmp_u_f32_e64 s5, v17, v17
	v_add3_u32 v36, v36, v17, 0x7fff
	v_mul_f32_e32 v17, v70, v127
	v_cndmask_b32_e64 v36, v36, v39, s5
	v_bfe_u32 v39, v17, 16, 1
	v_or_b32_e32 v64, 0x400000, v17
	v_cmp_u_f32_e64 s5, v17, v17
	v_and_b32_e32 v36, 0xffff0000, v36
	v_add3_u32 v39, v39, v17, 0x7fff
	v_mul_f32_e32 v17, v70, v37
	v_cndmask_b32_e64 v39, v39, v64, s5
	v_bfe_u32 v37, v17, 16, 1
	v_or_b32_e32 v64, 0x400000, v17
	v_cmp_u_f32_e64 s5, v17, v17
	v_add3_u32 v37, v37, v17, 0x7fff
	v_cndmask_b32_e64 v17, v37, v64, s5
	v_bfe_u32 v37, v12, 16, 1
	v_or_b32_e32 v64, 0x400000, v12
	v_cmp_u_f32_e64 s5, v12, v12
	v_add3_u32 v37, v37, v12, 0x7fff
	v_cndmask_b32_e64 v12, v37, v64, s5
	v_mul_f32_e32 v37, v70, v125
	v_bfe_u32 v64, v37, 16, 1
	v_or_b32_e32 v80, 0x400000, v37
	v_cmp_u_f32_e64 s5, v37, v37
	v_add3_u32 v64, v64, v37, 0x7fff
	v_cndmask_b32_e64 v37, v64, v80, s5
	v_mul_f32_e32 v64, v70, v123
	v_and_b32_e32 v37, 0xffff0000, v37
	v_bfe_u32 v80, v64, 16, 1
	v_or_b32_e32 v81, 0x400000, v64
	v_cmp_u_f32_e64 s5, v64, v64
	v_add3_u32 v80, v80, v64, 0x7fff
	v_cndmask_b32_e64 v64, v80, v81, s5
	v_mul_f32_e32 v80, v70, v122
	v_and_b32_e32 v64, 0xffff0000, v64
	v_bfe_u32 v81, v80, 16, 1
	v_or_b32_e32 v82, 0x400000, v80
	v_cmp_u_f32_e64 s5, v80, v80
	v_add3_u32 v81, v81, v80, 0x7fff
	v_mul_f32_e32 v80, v70, v121
	v_cndmask_b32_e64 v122, v81, v82, s5
	v_bfe_u32 v81, v80, 16, 1
	v_or_b32_e32 v82, 0x400000, v80
	v_cmp_u_f32_e64 s5, v80, v80
	v_add3_u32 v81, v81, v80, 0x7fff
	v_mul_f32_e32 v80, v70, v120
	v_cndmask_b32_e64 v121, v81, v82, s5
	;; [unrolled: 6-line block ×6, first 2 shown]
	v_bfe_u32 v81, v80, 16, 1
	v_or_b32_e32 v82, 0x400000, v80
	v_cmp_u_f32_e64 s5, v80, v80
	v_add3_u32 v81, v81, v80, 0x7fff
	v_cndmask_b32_e64 v80, v81, v82, s5
	v_mul_f32_e32 v81, v70, v107
	v_bfe_u32 v82, v81, 16, 1
	v_or_b32_e32 v107, 0x400000, v81
	v_cmp_u_f32_e64 s5, v81, v81
	v_add3_u32 v82, v82, v81, 0x7fff
	v_mul_f32_e32 v81, v70, v106
	v_cndmask_b32_e64 v107, v82, v107, s5
	v_bfe_u32 v82, v81, 16, 1
	v_or_b32_e32 v106, 0x400000, v81
	v_cmp_u_f32_e64 s5, v81, v81
	v_add3_u32 v82, v82, v81, 0x7fff
	v_mul_f32_e32 v81, v70, v105
	v_cndmask_b32_e64 v106, v82, v106, s5
	;; [unrolled: 6-line block ×7, first 2 shown]
	v_bfe_u32 v82, v81, 16, 1
	v_or_b32_e32 v93, 0x400000, v81
	v_cmp_u_f32_e64 s5, v81, v81
	v_add3_u32 v82, v82, v81, 0x7fff
	v_cndmask_b32_e64 v81, v82, v93, s5
	v_mul_f32_e32 v82, v70, v91
	v_bfe_u32 v91, v82, 16, 1
	v_or_b32_e32 v93, 0x400000, v82
	v_cmp_u_f32_e64 s5, v82, v82
	v_add3_u32 v91, v91, v82, 0x7fff
	v_mul_f32_e32 v82, v70, v90
	v_cndmask_b32_e64 v91, v91, v93, s5
	v_bfe_u32 v90, v82, 16, 1
	v_or_b32_e32 v93, 0x400000, v82
	v_cmp_u_f32_e64 s5, v82, v82
	v_add3_u32 v90, v90, v82, 0x7fff
	v_mul_f32_e32 v82, v70, v89
	v_cndmask_b32_e64 v90, v90, v93, s5
	;; [unrolled: 6-line block ×48, first 2 shown]
	v_bfe_u32 v83, v82, 16, 1
	v_or_b32_e32 v85, 0x400000, v82
	v_cmp_u_f32_e64 s5, v82, v82
	v_add3_u32 v83, v83, v82, 0x7fff
	buffer_load_dword v82, off, s[0:3], s32 offset:208 ; 4-byte Folded Reload
	v_cndmask_b32_e64 v85, v83, v85, s5
	s_waitcnt vmcnt(0)
	v_mul_f32_e32 v82, v70, v82
	v_bfe_u32 v83, v82, 16, 1
	v_or_b32_e32 v110, 0x400000, v82
	v_cmp_u_f32_e64 s5, v82, v82
	v_add3_u32 v83, v83, v82, 0x7fff
	buffer_load_dword v82, off, s[0:3], s32 offset:204 ; 4-byte Folded Reload
	v_cndmask_b32_e64 v110, v83, v110, s5
	s_waitcnt vmcnt(0)
	v_mul_f32_e32 v82, v70, v82
	v_bfe_u32 v83, v82, 16, 1
	v_or_b32_e32 v124, 0x400000, v82
	v_cmp_u_f32_e64 s5, v82, v82
	v_add3_u32 v83, v83, v82, 0x7fff
	v_mul_f32_e32 v82, v70, v65
	buffer_load_dword v65, off, s[0:3], s32 offset:200 ; 4-byte Folded Reload
	v_cndmask_b32_e64 v83, v83, v124, s5
	v_bfe_u32 v124, v82, 16, 1
	v_or_b32_e32 v126, 0x400000, v82
	v_cmp_u_f32_e64 s5, v82, v82
	v_add3_u32 v124, v124, v82, 0x7fff
	v_cndmask_b32_e64 v124, v124, v126, s5
	s_waitcnt vmcnt(0)
	v_mul_f32_e32 v82, v70, v65
	v_bfe_u32 v126, v82, 16, 1
	v_or_b32_e32 v127, 0x400000, v82
	v_cmp_u_f32_e64 s5, v82, v82
	v_add3_u32 v126, v126, v82, 0x7fff
	v_mul_f32_e32 v82, v70, v84
	v_cndmask_b32_e64 v126, v126, v127, s5
	v_bfe_u32 v84, v82, 16, 1
	v_or_b32_e32 v127, 0x400000, v82
	v_cmp_u_f32_e64 s5, v82, v82
	v_add3_u32 v84, v84, v82, 0x7fff
	v_mul_f32_e32 v82, v70, v86
	v_cndmask_b32_e64 v127, v84, v127, s5
	v_bfe_u32 v84, v82, 16, 1
	v_or_b32_e32 v86, 0x400000, v82
	v_cmp_u_f32_e64 s5, v82, v82
	v_add3_u32 v84, v84, v82, 0x7fff
	v_bfe_u32 v82, v25, 16, 1
	v_cndmask_b32_e64 v65, v84, v86, s5
	v_add3_u32 v82, v82, v25, 0x7fff
	v_or_b32_e32 v84, 0x400000, v25
	v_cmp_u_f32_e64 s5, v25, v25
	buffer_load_dword v86, off, s[0:3], s32 offset:264 ; 4-byte Folded Reload
	v_and_b32_e32 v65, 0xffff0000, v65
	v_cndmask_b32_e64 v25, v82, v84, s5
	v_bfe_u32 v82, v13, 16, 1
	v_or_b32_e32 v84, 0x400000, v13
	v_cmp_u_f32_e64 s5, v13, v13
	v_add3_u32 v82, v82, v13, 0x7fff
	v_cndmask_b32_e64 v13, v82, v84, s5
	v_bfe_u32 v82, v51, 16, 1
	v_or_b32_e32 v84, 0x400000, v51
	v_cmp_u_f32_e64 s5, v51, v51
	v_add3_u32 v82, v82, v51, 0x7fff
	;; [unrolled: 5-line block ×5, first 2 shown]
	v_mul_f32_e32 v22, v70, v71
	v_mul_f32_e32 v70, v70, v16
	v_cndmask_b32_e64 v82, v82, v84, s5
	buffer_load_dword v84, off, s[0:3], s32 offset:260 ; 4-byte Folded Reload
	v_bfe_u32 v16, v22, 16, 1
	v_or_b32_e32 v71, 0x400000, v22
	v_cmp_u_f32_e64 s5, v22, v22
	v_add3_u32 v16, v16, v22, 0x7fff
	v_bfe_u32 v22, v70, 16, 1
	v_cndmask_b32_e64 v16, v16, v71, s5
	v_add3_u32 v22, v22, v70, 0x7fff
	v_or_b32_e32 v71, 0x400000, v70
	v_cmp_u_f32_e64 s5, v70, v70
	v_and_b32_e32 v70, 0xffff0000, v87
	buffer_load_dword v87, off, s[0:3], s32 offset:272 ; 4-byte Folded Reload
	v_cndmask_b32_e64 v22, v22, v71, s5
	v_and_b32_e32 v71, 0xffff0000, v126
	v_cmp_lt_i32_e64 s5, v53, v35
	s_waitcnt vmcnt(1)
	v_mul_f32_e32 v70, v84, v70
	buffer_load_dword v84, off, s[0:3], s32 offset:228 ; 4-byte Folded Reload
	s_waitcnt vmcnt(0)
	v_fmac_f32_e32 v70, v84, v71
	v_and_b32_e32 v71, 0xffff0000, v96
	v_and_b32_e32 v84, 0xffff0000, v124
	buffer_load_dword v96, off, s[0:3], s32 offset:280 ; 4-byte Folded Reload
	v_mul_f32_e32 v71, v86, v71
	buffer_load_dword v86, off, s[0:3], s32 offset:232 ; 4-byte Folded Reload
	s_waitcnt vmcnt(0)
	v_fmac_f32_e32 v71, v86, v84
	v_and_b32_e32 v86, 0xffff0000, v83
	buffer_load_dword v83, off, s[0:3], s32 offset:268 ; 4-byte Folded Reload
	v_and_b32_e32 v84, 0xffff0000, v97
	buffer_load_dword v97, off, s[0:3], s32 offset:284 ; 4-byte Folded Reload
	s_waitcnt vmcnt(1)
	v_mul_f32_e32 v83, v83, v84
	buffer_load_dword v84, off, s[0:3], s32 offset:236 ; 4-byte Folded Reload
	s_waitcnt vmcnt(0)
	v_fmac_f32_e32 v83, v84, v86
	v_and_b32_e32 v84, 0xffff0000, v98
	v_and_b32_e32 v86, 0xffff0000, v110
	v_mul_f32_e32 v84, v87, v84
	buffer_load_dword v87, off, s[0:3], s32 offset:240 ; 4-byte Folded Reload
	s_waitcnt vmcnt(0)
	v_fmac_f32_e32 v84, v87, v86
	v_and_b32_e32 v87, 0xffff0000, v85
	buffer_load_dword v85, off, s[0:3], s32 offset:276 ; 4-byte Folded Reload
	v_and_b32_e32 v86, 0xffff0000, v99
	s_waitcnt vmcnt(0)
	v_mul_f32_e32 v85, v85, v86
	buffer_load_dword v86, off, s[0:3], s32 offset:244 ; 4-byte Folded Reload
	s_waitcnt vmcnt(0)
	v_fmac_f32_e32 v85, v86, v87
	v_and_b32_e32 v86, 0xffff0000, v101
	v_and_b32_e32 v87, 0xffff0000, v118
	v_mul_f32_e32 v86, v96, v86
	buffer_load_dword v96, off, s[0:3], s32 offset:248 ; 4-byte Folded Reload
	s_waitcnt vmcnt(0)
	v_fmac_f32_e32 v86, v96, v87
	v_and_b32_e32 v87, 0xffff0000, v100
	v_and_b32_e32 v96, 0xffff0000, v127
	v_mul_f32_e32 v87, v97, v87
	buffer_load_dword v97, off, s[0:3], s32 offset:252 ; 4-byte Folded Reload
	s_waitcnt vmcnt(0)
	v_fmac_f32_e32 v87, v97, v96
	buffer_load_dword v97, off, s[0:3], s32 offset:288 ; 4-byte Folded Reload
	v_and_b32_e32 v96, 0xffff0000, v102
	s_waitcnt vmcnt(0)
	v_mul_f32_e32 v96, v97, v96
	buffer_load_dword v97, off, s[0:3], s32 offset:256 ; 4-byte Folded Reload
	s_waitcnt vmcnt(0)
	v_fmac_f32_e32 v96, v97, v65
	buffer_load_dword v97, off, s[0:3], s32 offset:292 ; 4-byte Folded Reload
	v_and_b32_e32 v65, 0xffff0000, v46
	s_waitcnt vmcnt(0)
	v_fmac_f32_e32 v70, v97, v65
	buffer_load_dword v97, off, s[0:3], s32 offset:296 ; 4-byte Folded Reload
	v_and_b32_e32 v65, 0xffff0000, v112
	;; [unrolled: 4-line block ×37, first 2 shown]
	s_waitcnt vmcnt(0)
	v_fmac_f32_e32 v85, v97, v65
	v_and_b32_e32 v65, 0xffff0000, v81
	buffer_load_dword v81, off, s[0:3], s32 offset:452 ; 4-byte Folded Reload
	s_waitcnt vmcnt(0)
	v_fmac_f32_e32 v86, v81, v65
	buffer_load_dword v81, off, s[0:3], s32 offset:456 ; 4-byte Folded Reload
	v_and_b32_e32 v65, 0xffff0000, v79
	s_waitcnt vmcnt(0)
	v_fmac_f32_e32 v87, v81, v65
	buffer_load_dword v81, off, s[0:3], s32 offset:460 ; 4-byte Folded Reload
	v_and_b32_e32 v65, 0xffff0000, v92
	;; [unrolled: 4-line block ×7, first 2 shown]
	s_waitcnt vmcnt(0)
	v_fmac_f32_e32 v85, v81, v65
	v_and_b32_e32 v65, 0xffff0000, v80
	buffer_load_dword v80, off, s[0:3], s32 offset:484 ; 4-byte Folded Reload
	s_waitcnt vmcnt(0)
	v_fmac_f32_e32 v86, v80, v65
	buffer_load_dword v80, off, s[0:3], s32 offset:488 ; 4-byte Folded Reload
	v_and_b32_e32 v65, 0xffff0000, v95
	s_waitcnt vmcnt(0)
	v_fmac_f32_e32 v87, v80, v65
	buffer_load_dword v80, off, s[0:3], s32 offset:492 ; 4-byte Folded Reload
	v_and_b32_e32 v65, 0xffff0000, v108
	;; [unrolled: 4-line block ×6, first 2 shown]
	s_waitcnt vmcnt(0)
	v_fmac_f32_e32 v84, v80, v65
	buffer_load_dword v65, off, s[0:3], s32 offset:512 ; 4-byte Folded Reload
	s_waitcnt vmcnt(0)
	v_fmac_f32_e32 v85, v65, v64
	buffer_load_dword v64, off, s[0:3], s32 offset:516 ; 4-byte Folded Reload
	s_waitcnt vmcnt(0)
	v_fmac_f32_e32 v86, v64, v37
	buffer_load_dword v64, off, s[0:3], s32 offset:520 ; 4-byte Folded Reload
	v_and_b32_e32 v37, 0xffff0000, v111
	s_waitcnt vmcnt(0)
	v_fmac_f32_e32 v87, v64, v37
	buffer_load_dword v64, off, s[0:3], s32 offset:524 ; 4-byte Folded Reload
	v_and_b32_e32 v37, 0xffff0000, v123
	s_waitcnt vmcnt(0)
	v_fmac_f32_e32 v96, v64, v37
	v_and_b32_e32 v37, 0xffff0000, v39
	buffer_load_dword v39, off, s[0:3], s32 offset:528 ; 4-byte Folded Reload
	s_waitcnt vmcnt(0)
	v_fmac_f32_e32 v70, v39, v37
	buffer_load_dword v37, off, s[0:3], s32 offset:532 ; 4-byte Folded Reload
	s_waitcnt vmcnt(0)
	v_fmac_f32_e32 v71, v37, v36
	;; [unrolled: 3-line block ×4, first 2 shown]
	buffer_load_dword v5, off, s[0:3], s32 offset:544 ; 4-byte Folded Reload
	v_and_b32_e32 v4, 0xffff0000, v24
	s_waitcnt vmcnt(0)
	v_fmac_f32_e32 v85, v5, v4
	buffer_load_dword v5, off, s[0:3], s32 offset:548 ; 4-byte Folded Reload
	v_and_b32_e32 v4, 0xffff0000, v15
	s_waitcnt vmcnt(0)
	v_fmac_f32_e32 v86, v5, v4
	buffer_load_dword v5, off, s[0:3], s32 offset:552 ; 4-byte Folded Reload
	v_and_b32_e32 v4, 0xffff0000, v17
	s_waitcnt vmcnt(0)
	v_fmac_f32_e32 v87, v5, v4
	buffer_load_dword v5, off, s[0:3], s32 offset:556 ; 4-byte Folded Reload
	v_and_b32_e32 v4, 0xffff0000, v12
	s_waitcnt vmcnt(0)
	v_fmac_f32_e32 v96, v5, v4
	buffer_load_dword v5, off, s[0:3], s32 offset:560 ; 4-byte Folded Reload
	v_and_b32_e32 v4, 0xffff0000, v49
	s_waitcnt vmcnt(0)
	v_fmac_f32_e32 v70, v5, v4
	buffer_load_dword v5, off, s[0:3], s32 offset:564 ; 4-byte Folded Reload
	v_and_b32_e32 v4, 0xffff0000, v10
	s_waitcnt vmcnt(0)
	v_fmac_f32_e32 v71, v5, v4
	buffer_load_dword v5, off, s[0:3], s32 offset:568 ; 4-byte Folded Reload
	v_and_b32_e32 v4, 0xffff0000, v6
	s_waitcnt vmcnt(0)
	v_fmac_f32_e32 v83, v5, v4
	buffer_load_dword v5, off, s[0:3], s32 offset:572 ; 4-byte Folded Reload
	v_and_b32_e32 v4, 0xffff0000, v7
	s_waitcnt vmcnt(0)
	v_fmac_f32_e32 v84, v5, v4
	buffer_load_dword v4, off, s[0:3], s32 offset:576 ; 4-byte Folded Reload
	s_waitcnt vmcnt(0)
	v_fmac_f32_e32 v85, v4, v2
	buffer_load_dword v4, off, s[0:3], s32 offset:580 ; 4-byte Folded Reload
	v_and_b32_e32 v2, 0xffff0000, v14
	s_waitcnt vmcnt(0)
	v_fmac_f32_e32 v86, v4, v2
	v_and_b32_e32 v2, 0xffff0000, v3
	buffer_load_dword v3, off, s[0:3], s32 offset:584 ; 4-byte Folded Reload
	s_waitcnt vmcnt(0)
	v_fmac_f32_e32 v87, v3, v2
	buffer_load_dword v3, off, s[0:3], s32 offset:588 ; 4-byte Folded Reload
	v_and_b32_e32 v2, 0xffff0000, v11
	s_waitcnt vmcnt(0)
	v_fmac_f32_e32 v96, v3, v2
	buffer_load_dword v3, off, s[0:3], s32 offset:592 ; 4-byte Folded Reload
	v_and_b32_e32 v2, 0xffff0000, v38
	s_waitcnt vmcnt(0)
	v_fmac_f32_e32 v70, v3, v2
	buffer_load_dword v3, off, s[0:3], s32 offset:596 ; 4-byte Folded Reload
	v_and_b32_e32 v2, 0xffff0000, v34
	s_waitcnt vmcnt(0)
	v_fmac_f32_e32 v71, v3, v2
	buffer_load_dword v3, off, s[0:3], s32 offset:600 ; 4-byte Folded Reload
	v_and_b32_e32 v2, 0xffff0000, v27
	s_waitcnt vmcnt(0)
	v_fmac_f32_e32 v83, v3, v2
	buffer_load_dword v3, off, s[0:3], s32 offset:604 ; 4-byte Folded Reload
	v_and_b32_e32 v2, 0xffff0000, v26
	s_waitcnt vmcnt(0)
	v_fmac_f32_e32 v84, v3, v2
	buffer_load_dword v3, off, s[0:3], s32 offset:608 ; 4-byte Folded Reload
	v_and_b32_e32 v2, 0xffff0000, v9
	s_waitcnt vmcnt(0)
	v_fmac_f32_e32 v85, v3, v2
	buffer_load_dword v2, off, s[0:3], s32 offset:612 ; 4-byte Folded Reload
	s_waitcnt vmcnt(0)
	v_fmac_f32_e32 v86, v2, v1
	buffer_load_dword v2, off, s[0:3], s32 offset:616 ; 4-byte Folded Reload
	v_and_b32_e32 v1, 0xffff0000, v23
	s_waitcnt vmcnt(0)
	v_fmac_f32_e32 v87, v2, v1
	s_clause 0x1
	buffer_load_dword v1, off, s[0:3], s32 offset:620
	buffer_load_dword v2, off, s[0:3], s32 offset:668
	s_waitcnt vmcnt(1)
	v_fmac_f32_e32 v96, v1, v0
	buffer_load_dword v1, off, s[0:3], s32 offset:624 ; 4-byte Folded Reload
	v_and_b32_e32 v0, 0xffff0000, v8
	s_waitcnt vmcnt(0)
	v_fmac_f32_e32 v70, v1, v0
	buffer_load_dword v1, off, s[0:3], s32 offset:628 ; 4-byte Folded Reload
	v_and_b32_e32 v0, 0xffff0000, v48
	;; [unrolled: 4-line block ×11, first 2 shown]
	s_waitcnt vmcnt(0)
	v_fmac_f32_e32 v83, v1, v0
	v_and_b32_e32 v1, 0xffff0000, v51
	v_add_f32_e32 v0, v70, v71
	v_fmac_f32_e32 v84, v2, v1
	buffer_load_dword v2, off, s[0:3], s32 offset:672 ; 4-byte Folded Reload
	v_and_b32_e32 v1, 0xffff0000, v13
	v_add_f32_e32 v0, v0, v83
	v_add_f32_e32 v0, v84, v0
	s_waitcnt vmcnt(0)
	v_fmac_f32_e32 v85, v2, v1
	buffer_load_dword v2, off, s[0:3], s32 offset:676 ; 4-byte Folded Reload
	v_and_b32_e32 v1, 0xffff0000, v25
	v_add_f32_e32 v0, v85, v0
	s_waitcnt vmcnt(0)
	v_fmac_f32_e32 v86, v2, v1
	buffer_load_dword v2, off, s[0:3], s32 offset:680 ; 4-byte Folded Reload
	v_and_b32_e32 v1, 0xffff0000, v16
	;; [unrolled: 5-line block ×3, first 2 shown]
	v_add_f32_e32 v0, v87, v0
	s_waitcnt vmcnt(0)
	v_fmac_f32_e32 v96, v2, v1
	buffer_load_dword v2, off, s[0:3], s32 offset:224 ; 4-byte Folded Reload
	v_sub_nc_u32_e32 v1, 1, v35
	v_add_f32_e32 v0, v96, v0
	v_add_nc_u32_e32 v1, v1, v53
	v_add_nc_u32_e32 v53, 0x80, v53
	v_cvt_f32_i32_e32 v1, v1
	s_waitcnt vmcnt(0)
	v_mul_f32_e32 v1, v2, v1
	buffer_load_dword v2, off, s[0:3], s32 offset:220 ; 4-byte Folded Reload
	v_cndmask_b32_e32 v1, 0, v1, vcc_lo
	s_waitcnt vmcnt(0)
	v_fmac_f32_e32 v1, v2, v0
	v_max_f32_e32 v0, v52, v52
	v_max_f32_e32 v0, v0, v1
	v_cndmask_b32_e64 v1, 0, v1, s5
	v_cndmask_b32_e64 v52, v52, v0, s5
	buffer_load_dword v0, off, s[0:3], s32 offset:316 ; 4-byte Folded Reload
	ds_write_b32 v54, v1
	v_add_nc_u32_e32 v54, 0x200, v54
	s_waitcnt vmcnt(0)
	v_cmp_ge_i32_e64 s5, v69, v0
	s_or_b32 s17, s5, s17
	s_andn2_b32 exec_lo, exec_lo, s17
	s_cbranch_execz .LBB391_904
.LBB391_11:                             ; =>This Inner Loop Header: Depth=1
	flat_load_dword v0, v[20:21]
	s_clause 0x2
	buffer_load_dword v1, off, s[0:3], s32 offset:312
	buffer_load_dword v2, off, s[0:3], s32 offset:688
	buffer_load_dword v3, off, s[0:3], s32 offset:692
	s_waitcnt vmcnt(0) lgkmcnt(0)
	v_mad_i64_i32 v[28:29], null, v0, v1, v[2:3]
	flat_load_dwordx2 v[30:31], v[28:29]
	s_clause 0x1
	buffer_load_dword v0, off, s[0:3], s32 offset:212
	buffer_load_dword v1, off, s[0:3], s32 offset:216
	s_waitcnt vmcnt(2) lgkmcnt(0)
	v_cmp_ne_u16_sdwa s5, v30, v19 src0_sel:BYTE_0 src1_sel:DWORD
	s_waitcnt vmcnt(0)
	flat_load_dword v70, v[0:1]
	v_mov_b32_e32 v0, 0
	buffer_store_dword v0, off, s[0:3], s32 offset:200 ; 4-byte Folded Spill
	s_and_saveexec_b32 s6, s5
	s_cbranch_execz .LBB391_19
; %bb.12:                               ;   in Loop: Header=BB391_11 Depth=1
	v_cmp_ne_u16_sdwa s5, v30, v55 src0_sel:BYTE_0 src1_sel:DWORD
	v_bfrev_b32_e32 v0, 1
	buffer_store_dword v0, off, s[0:3], s32 offset:200 ; 4-byte Folded Spill
	s_and_saveexec_b32 s22, s5
	s_cbranch_execz .LBB391_18
; %bb.13:                               ;   in Loop: Header=BB391_11 Depth=1
	v_and_b32_e32 v1, 0x7f, v30
	v_mov_b32_e32 v0, 0x7f800001
	s_mov_b32 s23, exec_lo
	buffer_store_dword v0, off, s[0:3], s32 offset:200 ; 4-byte Folded Spill
	v_cmpx_ne_u32_e32 0x7f, v1
	s_cbranch_execz .LBB391_17
; %bb.14:                               ;   in Loop: Header=BB391_11 Depth=1
	v_mov_b32_e32 v33, v31
	v_lshrrev_b32_e32 v0, 3, v1
	v_mov_b32_e32 v32, v30
	s_mov_b32 s24, exec_lo
	v_cmpx_gt_u32_e32 8, v1
; %bb.15:                               ;   in Loop: Header=BB391_11 Depth=1
	v_and_b32_e32 v0, 7, v30
	v_ffbh_u32_e32 v0, v0
	v_min_u32_e32 v0, 32, v0
	v_subrev_nc_u32_e32 v1, 28, v0
	v_sub_nc_u32_e32 v0, 29, v0
	v_lshlrev_b64 v[32:33], v1, v[30:31]
; %bb.16:                               ;   in Loop: Header=BB391_11 Depth=1
	s_or_b32 exec_lo, exec_lo, s24
	v_lshlrev_b32_e32 v1, 20, v32
	v_lshlrev_b32_e32 v2, 24, v30
	v_lshl_add_u32 v0, v0, 23, 0x3c000000
	v_and_b32_e32 v1, 0x700000, v1
	v_and_b32_e32 v2, 0x80000000, v2
	v_or3_b32 v0, v1, v2, v0
	buffer_store_dword v0, off, s[0:3], s32 offset:200 ; 4-byte Folded Spill
.LBB391_17:                             ;   in Loop: Header=BB391_11 Depth=1
	s_or_b32 exec_lo, exec_lo, s23
.LBB391_18:                             ;   in Loop: Header=BB391_11 Depth=1
	s_or_b32 exec_lo, exec_lo, s22
.LBB391_19:                             ;   in Loop: Header=BB391_11 Depth=1
	s_or_b32 exec_lo, exec_lo, s6
	v_cmp_ne_u16_sdwa s5, v30, v19 src0_sel:BYTE_1 src1_sel:DWORD
	v_mov_b32_e32 v0, 0
	v_mov_b32_e32 v65, 0
	buffer_store_dword v0, off, s[0:3], s32 offset:204 ; 4-byte Folded Spill
	s_and_saveexec_b32 s6, s5
	s_cbranch_execz .LBB391_27
; %bb.20:                               ;   in Loop: Header=BB391_11 Depth=1
	v_cmp_ne_u16_sdwa s5, v30, v55 src0_sel:BYTE_1 src1_sel:DWORD
	v_bfrev_b32_e32 v65, 1
	s_and_saveexec_b32 s22, s5
	s_cbranch_execz .LBB391_26
; %bb.21:                               ;   in Loop: Header=BB391_11 Depth=1
	v_mov_b32_e32 v0, 0xffff
	v_mov_b32_e32 v65, 0x7f800001
	s_mov_b32 s23, exec_lo
	v_and_b32_sdwa v0, v0, v30 dst_sel:DWORD dst_unused:UNUSED_PAD src0_sel:DWORD src1_sel:BYTE_1
	v_and_b32_e32 v1, 0x7f, v0
	v_cmpx_ne_u32_e32 0x7f, v1
	s_cbranch_execz .LBB391_25
; %bb.22:                               ;   in Loop: Header=BB391_11 Depth=1
	v_and_b32_e32 v18, 7, v0
	v_lshrrev_b32_e32 v0, 3, v1
	s_mov_b32 s24, exec_lo
	v_cmpx_gt_u32_e32 8, v1
; %bb.23:                               ;   in Loop: Header=BB391_11 Depth=1
	v_ffbh_u32_e32 v0, v18
	v_min_u32_e32 v0, 32, v0
	v_subrev_nc_u32_e32 v1, 28, v0
	v_sub_nc_u32_e32 v0, 29, v0
	v_lshlrev_b64 v[1:2], v1, v[18:19]
	v_and_b32_e32 v18, 7, v1
; %bb.24:                               ;   in Loop: Header=BB391_11 Depth=1
	s_or_b32 exec_lo, exec_lo, s24
	v_lshlrev_b32_e32 v1, 16, v30
	v_lshlrev_b32_e32 v2, 20, v18
	v_lshl_add_u32 v0, v0, 23, 0x3c000000
	v_and_b32_e32 v1, 0x80000000, v1
	v_or3_b32 v65, v2, v1, v0
.LBB391_25:                             ;   in Loop: Header=BB391_11 Depth=1
	s_or_b32 exec_lo, exec_lo, s23
.LBB391_26:                             ;   in Loop: Header=BB391_11 Depth=1
	s_or_b32 exec_lo, exec_lo, s22
.LBB391_27:                             ;   in Loop: Header=BB391_11 Depth=1
	s_or_b32 exec_lo, exec_lo, s6
	v_and_b32_sdwa v0, v30, v66 dst_sel:DWORD dst_unused:UNUSED_PAD src0_sel:WORD_1 src1_sel:DWORD
	s_mov_b32 s6, exec_lo
	v_cmpx_ne_u16_e32 0, v0
	s_cbranch_execz .LBB391_35
; %bb.28:                               ;   in Loop: Header=BB391_11 Depth=1
	v_cmp_ne_u16_e64 s5, 0x80, v0
	v_bfrev_b32_e32 v0, 1
	buffer_store_dword v0, off, s[0:3], s32 offset:204 ; 4-byte Folded Spill
	s_and_saveexec_b32 s22, s5
	s_cbranch_execz .LBB391_34
; %bb.29:                               ;   in Loop: Header=BB391_11 Depth=1
	v_bfe_u32 v1, v30, 16, 7
	v_mov_b32_e32 v0, 0x7f800001
	s_mov_b32 s23, exec_lo
	buffer_store_dword v0, off, s[0:3], s32 offset:204 ; 4-byte Folded Spill
	v_cmpx_ne_u32_e32 0x7f, v1
	s_cbranch_execz .LBB391_33
; %bb.30:                               ;   in Loop: Header=BB391_11 Depth=1
	v_and_b32_sdwa v18, v30, v67 dst_sel:DWORD dst_unused:UNUSED_PAD src0_sel:WORD_1 src1_sel:DWORD
	v_lshrrev_b32_e32 v0, 3, v1
	s_mov_b32 s24, exec_lo
	v_cmpx_gt_u32_e32 8, v1
; %bb.31:                               ;   in Loop: Header=BB391_11 Depth=1
	v_ffbh_u32_e32 v0, v18
	v_min_u32_e32 v0, 32, v0
	v_subrev_nc_u32_e32 v1, 28, v0
	v_sub_nc_u32_e32 v0, 29, v0
	v_lshlrev_b64 v[1:2], v1, v[18:19]
	v_and_b32_e32 v18, 7, v1
; %bb.32:                               ;   in Loop: Header=BB391_11 Depth=1
	s_or_b32 exec_lo, exec_lo, s24
	v_lshlrev_b32_sdwa v1, v68, v30 dst_sel:DWORD dst_unused:UNUSED_PAD src0_sel:DWORD src1_sel:WORD_1
	v_lshlrev_b32_e32 v2, 20, v18
	v_lshl_add_u32 v0, v0, 23, 0x3c000000
	v_and_b32_e32 v1, 0x80000000, v1
	v_or3_b32 v0, v2, v1, v0
	buffer_store_dword v0, off, s[0:3], s32 offset:204 ; 4-byte Folded Spill
.LBB391_33:                             ;   in Loop: Header=BB391_11 Depth=1
	s_or_b32 exec_lo, exec_lo, s23
.LBB391_34:                             ;   in Loop: Header=BB391_11 Depth=1
	s_or_b32 exec_lo, exec_lo, s22
.LBB391_35:                             ;   in Loop: Header=BB391_11 Depth=1
	s_or_b32 exec_lo, exec_lo, s6
	v_mov_b32_e32 v83, 0
	v_mov_b32_e32 v0, 0
	s_mov_b32 s6, exec_lo
	buffer_store_dword v0, off, s[0:3], s32 offset:208 ; 4-byte Folded Spill
	v_cmpx_lt_u32_e32 0xffffff, v30
	s_cbranch_execz .LBB391_43
; %bb.36:                               ;   in Loop: Header=BB391_11 Depth=1
	v_cmp_ne_u32_sdwa s5, v30, v55 src0_sel:BYTE_3 src1_sel:DWORD
	v_bfrev_b32_e32 v0, 1
	buffer_store_dword v0, off, s[0:3], s32 offset:208 ; 4-byte Folded Spill
	s_and_saveexec_b32 s22, s5
	s_cbranch_execz .LBB391_42
; %bb.37:                               ;   in Loop: Header=BB391_11 Depth=1
	v_bfe_u32 v1, v30, 24, 7
	v_mov_b32_e32 v0, 0x7f800001
	s_mov_b32 s23, exec_lo
	buffer_store_dword v0, off, s[0:3], s32 offset:208 ; 4-byte Folded Spill
	v_cmpx_ne_u32_e32 0x7f, v1
	s_cbranch_execz .LBB391_41
; %bb.38:                               ;   in Loop: Header=BB391_11 Depth=1
	v_and_b32_sdwa v18, v30, v67 dst_sel:DWORD dst_unused:UNUSED_PAD src0_sel:BYTE_3 src1_sel:DWORD
	v_lshrrev_b32_e32 v0, 3, v1
	s_mov_b32 s24, exec_lo
	v_cmpx_gt_u32_e32 8, v1
; %bb.39:                               ;   in Loop: Header=BB391_11 Depth=1
	v_ffbh_u32_e32 v0, v18
	v_min_u32_e32 v0, 32, v0
	v_subrev_nc_u32_e32 v1, 28, v0
	v_sub_nc_u32_e32 v0, 29, v0
	v_lshlrev_b64 v[1:2], v1, v[18:19]
	v_and_b32_e32 v18, 7, v1
; %bb.40:                               ;   in Loop: Header=BB391_11 Depth=1
	s_or_b32 exec_lo, exec_lo, s24
	v_lshlrev_b32_sdwa v1, v68, v30 dst_sel:DWORD dst_unused:UNUSED_PAD src0_sel:DWORD src1_sel:BYTE_3
	v_lshlrev_b32_e32 v2, 20, v18
	v_lshl_add_u32 v0, v0, 23, 0x3c000000
	v_and_b32_e32 v1, 0x80000000, v1
	v_or3_b32 v0, v2, v1, v0
	buffer_store_dword v0, off, s[0:3], s32 offset:208 ; 4-byte Folded Spill
.LBB391_41:                             ;   in Loop: Header=BB391_11 Depth=1
	s_or_b32 exec_lo, exec_lo, s23
.LBB391_42:                             ;   in Loop: Header=BB391_11 Depth=1
	s_or_b32 exec_lo, exec_lo, s22
.LBB391_43:                             ;   in Loop: Header=BB391_11 Depth=1
	s_or_b32 exec_lo, exec_lo, s6
	v_mov_b32_e32 v18, v31
	v_cmp_ne_u16_sdwa s5, v31, v19 src0_sel:BYTE_0 src1_sel:DWORD
	s_and_saveexec_b32 s6, s5
	s_cbranch_execz .LBB391_51
; %bb.44:                               ;   in Loop: Header=BB391_11 Depth=1
	v_cmp_ne_u16_sdwa s5, v31, v55 src0_sel:BYTE_0 src1_sel:DWORD
	v_bfrev_b32_e32 v83, 1
	s_and_saveexec_b32 s22, s5
	s_cbranch_execz .LBB391_50
; %bb.45:                               ;   in Loop: Header=BB391_11 Depth=1
	v_and_b32_e32 v1, 0x7f, v31
	v_mov_b32_e32 v83, 0x7f800001
	s_mov_b32 s23, exec_lo
	v_cmpx_ne_u32_e32 0x7f, v1
	s_cbranch_execz .LBB391_49
; %bb.46:                               ;   in Loop: Header=BB391_11 Depth=1
	v_mov_b32_e32 v33, v19
	v_lshrrev_b32_e32 v0, 3, v1
	v_mov_b32_e32 v32, v18
	s_mov_b32 s24, exec_lo
	v_cmpx_gt_u32_e32 8, v1
; %bb.47:                               ;   in Loop: Header=BB391_11 Depth=1
	v_and_b32_e32 v0, 7, v31
	v_ffbh_u32_e32 v0, v0
	v_min_u32_e32 v0, 32, v0
	v_subrev_nc_u32_e32 v1, 28, v0
	v_sub_nc_u32_e32 v0, 29, v0
	v_lshlrev_b64 v[32:33], v1, v[18:19]
; %bb.48:                               ;   in Loop: Header=BB391_11 Depth=1
	s_or_b32 exec_lo, exec_lo, s24
	v_lshlrev_b32_e32 v1, 20, v32
	v_lshlrev_b32_e32 v2, 24, v18
	v_lshl_add_u32 v0, v0, 23, 0x3c000000
	v_and_b32_e32 v1, 0x700000, v1
	v_and_b32_e32 v2, 0x80000000, v2
	v_or3_b32 v83, v1, v2, v0
.LBB391_49:                             ;   in Loop: Header=BB391_11 Depth=1
	s_or_b32 exec_lo, exec_lo, s23
.LBB391_50:                             ;   in Loop: Header=BB391_11 Depth=1
	s_or_b32 exec_lo, exec_lo, s22
.LBB391_51:                             ;   in Loop: Header=BB391_11 Depth=1
	s_or_b32 exec_lo, exec_lo, s6
	v_cmp_ne_u16_sdwa s5, v18, v19 src0_sel:BYTE_1 src1_sel:DWORD
	v_mov_b32_e32 v84, 0
	v_mov_b32_e32 v85, 0
	s_and_saveexec_b32 s6, s5
	s_cbranch_execz .LBB391_59
; %bb.52:                               ;   in Loop: Header=BB391_11 Depth=1
	v_cmp_ne_u16_sdwa s5, v18, v55 src0_sel:BYTE_1 src1_sel:DWORD
	v_bfrev_b32_e32 v85, 1
	s_and_saveexec_b32 s22, s5
	s_cbranch_execz .LBB391_58
; %bb.53:                               ;   in Loop: Header=BB391_11 Depth=1
	v_mov_b32_e32 v0, 0xffff
	v_mov_b32_e32 v85, 0x7f800001
	s_mov_b32 s23, exec_lo
	v_and_b32_sdwa v0, v0, v18 dst_sel:DWORD dst_unused:UNUSED_PAD src0_sel:DWORD src1_sel:BYTE_1
	v_and_b32_e32 v1, 0x7f, v0
	v_cmpx_ne_u32_e32 0x7f, v1
	s_cbranch_execz .LBB391_57
; %bb.54:                               ;   in Loop: Header=BB391_11 Depth=1
	v_and_b32_e32 v32, 7, v0
	v_mov_b32_e32 v33, v19
	v_lshrrev_b32_e32 v0, 3, v1
	s_mov_b32 s24, exec_lo
	v_cmpx_gt_u32_e32 8, v1
; %bb.55:                               ;   in Loop: Header=BB391_11 Depth=1
	v_ffbh_u32_e32 v0, v32
	v_min_u32_e32 v0, 32, v0
	v_subrev_nc_u32_e32 v1, 28, v0
	v_sub_nc_u32_e32 v0, 29, v0
	v_lshlrev_b64 v[1:2], v1, v[32:33]
	v_and_b32_e32 v32, 7, v1
; %bb.56:                               ;   in Loop: Header=BB391_11 Depth=1
	s_or_b32 exec_lo, exec_lo, s24
	v_lshlrev_b32_e32 v1, 16, v18
	v_lshlrev_b32_e32 v2, 20, v32
	v_lshl_add_u32 v0, v0, 23, 0x3c000000
	v_and_b32_e32 v1, 0x80000000, v1
	v_or3_b32 v85, v2, v1, v0
.LBB391_57:                             ;   in Loop: Header=BB391_11 Depth=1
	s_or_b32 exec_lo, exec_lo, s23
.LBB391_58:                             ;   in Loop: Header=BB391_11 Depth=1
	s_or_b32 exec_lo, exec_lo, s22
.LBB391_59:                             ;   in Loop: Header=BB391_11 Depth=1
	s_or_b32 exec_lo, exec_lo, s6
	v_and_b32_sdwa v0, v31, v66 dst_sel:DWORD dst_unused:UNUSED_PAD src0_sel:WORD_1 src1_sel:DWORD
	s_mov_b32 s6, exec_lo
	v_cmpx_ne_u16_e32 0, v0
	s_cbranch_execz .LBB391_67
; %bb.60:                               ;   in Loop: Header=BB391_11 Depth=1
	v_bfrev_b32_e32 v84, 1
	s_mov_b32 s22, exec_lo
	v_cmpx_ne_u16_e32 0x80, v0
	s_cbranch_execz .LBB391_66
; %bb.61:                               ;   in Loop: Header=BB391_11 Depth=1
	v_bfe_u32 v1, v31, 16, 7
	v_mov_b32_e32 v84, 0x7f800001
	s_mov_b32 s23, exec_lo
	v_cmpx_ne_u32_e32 0x7f, v1
	s_cbranch_execz .LBB391_65
; %bb.62:                               ;   in Loop: Header=BB391_11 Depth=1
	v_and_b32_sdwa v18, v31, v67 dst_sel:DWORD dst_unused:UNUSED_PAD src0_sel:WORD_1 src1_sel:DWORD
	v_mov_b32_e32 v33, v19
	v_lshrrev_b32_e32 v0, 3, v1
	s_mov_b32 s24, exec_lo
	v_mov_b32_e32 v32, v18
	v_cmpx_gt_u32_e32 8, v1
; %bb.63:                               ;   in Loop: Header=BB391_11 Depth=1
	v_ffbh_u32_e32 v0, v18
	v_min_u32_e32 v0, 32, v0
	v_subrev_nc_u32_e32 v1, 28, v0
	v_sub_nc_u32_e32 v0, 29, v0
	v_lshlrev_b64 v[1:2], v1, v[18:19]
	v_and_b32_e32 v32, 7, v1
; %bb.64:                               ;   in Loop: Header=BB391_11 Depth=1
	s_or_b32 exec_lo, exec_lo, s24
	v_lshlrev_b32_sdwa v1, v68, v31 dst_sel:DWORD dst_unused:UNUSED_PAD src0_sel:DWORD src1_sel:WORD_1
	v_lshlrev_b32_e32 v2, 20, v32
	v_lshl_add_u32 v0, v0, 23, 0x3c000000
	v_and_b32_e32 v1, 0x80000000, v1
	v_or3_b32 v84, v2, v1, v0
.LBB391_65:                             ;   in Loop: Header=BB391_11 Depth=1
	s_or_b32 exec_lo, exec_lo, s23
.LBB391_66:                             ;   in Loop: Header=BB391_11 Depth=1
	s_or_b32 exec_lo, exec_lo, s22
.LBB391_67:                             ;   in Loop: Header=BB391_11 Depth=1
	s_or_b32 exec_lo, exec_lo, s6
	v_mov_b32_e32 v87, 0
	v_mov_b32_e32 v86, 0
	s_mov_b32 s6, exec_lo
	v_cmpx_lt_u64_e64 s[8:9], v[30:31]
	s_cbranch_execz .LBB391_75
; %bb.68:                               ;   in Loop: Header=BB391_11 Depth=1
	v_cmp_ne_u32_sdwa s5, v31, v55 src0_sel:BYTE_3 src1_sel:DWORD
	v_bfrev_b32_e32 v86, 1
	s_and_saveexec_b32 s22, s5
	s_cbranch_execz .LBB391_74
; %bb.69:                               ;   in Loop: Header=BB391_11 Depth=1
	v_bfe_u32 v1, v31, 24, 7
	v_mov_b32_e32 v86, 0x7f800001
	s_mov_b32 s23, exec_lo
	v_cmpx_ne_u32_e32 0x7f, v1
	s_cbranch_execz .LBB391_73
; %bb.70:                               ;   in Loop: Header=BB391_11 Depth=1
	v_and_b32_sdwa v18, v31, v67 dst_sel:DWORD dst_unused:UNUSED_PAD src0_sel:BYTE_3 src1_sel:DWORD
	v_mov_b32_e32 v33, v19
	v_lshrrev_b32_e32 v0, 3, v1
	s_mov_b32 s24, exec_lo
	v_mov_b32_e32 v32, v18
	v_cmpx_gt_u32_e32 8, v1
; %bb.71:                               ;   in Loop: Header=BB391_11 Depth=1
	v_ffbh_u32_e32 v0, v18
	v_min_u32_e32 v0, 32, v0
	v_subrev_nc_u32_e32 v1, 28, v0
	v_sub_nc_u32_e32 v0, 29, v0
	v_lshlrev_b64 v[1:2], v1, v[18:19]
	v_and_b32_e32 v32, 7, v1
; %bb.72:                               ;   in Loop: Header=BB391_11 Depth=1
	s_or_b32 exec_lo, exec_lo, s24
	v_lshlrev_b32_sdwa v1, v68, v31 dst_sel:DWORD dst_unused:UNUSED_PAD src0_sel:DWORD src1_sel:BYTE_3
	v_lshlrev_b32_e32 v2, 20, v32
	v_lshl_add_u32 v0, v0, 23, 0x3c000000
	v_and_b32_e32 v1, 0x80000000, v1
	v_or3_b32 v86, v2, v1, v0
.LBB391_73:                             ;   in Loop: Header=BB391_11 Depth=1
	s_or_b32 exec_lo, exec_lo, s23
.LBB391_74:                             ;   in Loop: Header=BB391_11 Depth=1
	s_or_b32 exec_lo, exec_lo, s22
.LBB391_75:                             ;   in Loop: Header=BB391_11 Depth=1
	s_or_b32 exec_lo, exec_lo, s6
	flat_load_dwordx2 v[30:31], v[28:29] offset:8
	s_waitcnt vmcnt(0) lgkmcnt(0)
	v_cmp_ne_u16_sdwa s5, v30, v19 src0_sel:BYTE_0 src1_sel:DWORD
	s_and_saveexec_b32 s6, s5
	s_cbranch_execz .LBB391_83
; %bb.76:                               ;   in Loop: Header=BB391_11 Depth=1
	v_cmp_ne_u16_sdwa s5, v30, v55 src0_sel:BYTE_0 src1_sel:DWORD
	v_bfrev_b32_e32 v87, 1
	s_and_saveexec_b32 s22, s5
	s_cbranch_execz .LBB391_82
; %bb.77:                               ;   in Loop: Header=BB391_11 Depth=1
	v_and_b32_e32 v1, 0x7f, v30
	v_mov_b32_e32 v87, 0x7f800001
	s_mov_b32 s23, exec_lo
	v_cmpx_ne_u32_e32 0x7f, v1
	s_cbranch_execz .LBB391_81
; %bb.78:                               ;   in Loop: Header=BB391_11 Depth=1
	v_mov_b32_e32 v33, v31
	v_lshrrev_b32_e32 v0, 3, v1
	v_mov_b32_e32 v32, v30
	s_mov_b32 s24, exec_lo
	v_cmpx_gt_u32_e32 8, v1
; %bb.79:                               ;   in Loop: Header=BB391_11 Depth=1
	v_and_b32_e32 v0, 7, v30
	v_ffbh_u32_e32 v0, v0
	v_min_u32_e32 v0, 32, v0
	v_subrev_nc_u32_e32 v1, 28, v0
	v_sub_nc_u32_e32 v0, 29, v0
	v_lshlrev_b64 v[32:33], v1, v[30:31]
; %bb.80:                               ;   in Loop: Header=BB391_11 Depth=1
	s_or_b32 exec_lo, exec_lo, s24
	v_lshlrev_b32_e32 v1, 20, v32
	v_lshlrev_b32_e32 v2, 24, v30
	v_lshl_add_u32 v0, v0, 23, 0x3c000000
	v_and_b32_e32 v1, 0x700000, v1
	v_and_b32_e32 v2, 0x80000000, v2
	v_or3_b32 v87, v1, v2, v0
.LBB391_81:                             ;   in Loop: Header=BB391_11 Depth=1
	s_or_b32 exec_lo, exec_lo, s23
.LBB391_82:                             ;   in Loop: Header=BB391_11 Depth=1
	s_or_b32 exec_lo, exec_lo, s22
.LBB391_83:                             ;   in Loop: Header=BB391_11 Depth=1
	s_or_b32 exec_lo, exec_lo, s6
	v_cmp_ne_u16_sdwa s5, v30, v19 src0_sel:BYTE_1 src1_sel:DWORD
	v_mov_b32_e32 v97, 0
	v_mov_b32_e32 v96, 0
	s_and_saveexec_b32 s6, s5
	s_cbranch_execz .LBB391_91
; %bb.84:                               ;   in Loop: Header=BB391_11 Depth=1
	v_cmp_ne_u16_sdwa s5, v30, v55 src0_sel:BYTE_1 src1_sel:DWORD
	v_bfrev_b32_e32 v96, 1
	s_and_saveexec_b32 s22, s5
	s_cbranch_execz .LBB391_90
; %bb.85:                               ;   in Loop: Header=BB391_11 Depth=1
	v_mov_b32_e32 v0, 0xffff
	v_mov_b32_e32 v96, 0x7f800001
	s_mov_b32 s23, exec_lo
	v_and_b32_sdwa v0, v0, v30 dst_sel:DWORD dst_unused:UNUSED_PAD src0_sel:DWORD src1_sel:BYTE_1
	v_and_b32_e32 v1, 0x7f, v0
	v_cmpx_ne_u32_e32 0x7f, v1
	s_cbranch_execz .LBB391_89
; %bb.86:                               ;   in Loop: Header=BB391_11 Depth=1
	v_and_b32_e32 v18, 7, v0
	v_mov_b32_e32 v33, v19
	v_lshrrev_b32_e32 v0, 3, v1
	s_mov_b32 s24, exec_lo
	v_mov_b32_e32 v32, v18
	v_cmpx_gt_u32_e32 8, v1
; %bb.87:                               ;   in Loop: Header=BB391_11 Depth=1
	v_ffbh_u32_e32 v0, v18
	v_min_u32_e32 v0, 32, v0
	v_subrev_nc_u32_e32 v1, 28, v0
	v_sub_nc_u32_e32 v0, 29, v0
	v_lshlrev_b64 v[1:2], v1, v[18:19]
	v_and_b32_e32 v32, 7, v1
; %bb.88:                               ;   in Loop: Header=BB391_11 Depth=1
	s_or_b32 exec_lo, exec_lo, s24
	v_lshlrev_b32_e32 v1, 16, v30
	v_lshlrev_b32_e32 v2, 20, v32
	v_lshl_add_u32 v0, v0, 23, 0x3c000000
	v_and_b32_e32 v1, 0x80000000, v1
	v_or3_b32 v96, v2, v1, v0
.LBB391_89:                             ;   in Loop: Header=BB391_11 Depth=1
	s_or_b32 exec_lo, exec_lo, s23
.LBB391_90:                             ;   in Loop: Header=BB391_11 Depth=1
	s_or_b32 exec_lo, exec_lo, s22
.LBB391_91:                             ;   in Loop: Header=BB391_11 Depth=1
	s_or_b32 exec_lo, exec_lo, s6
	v_and_b32_sdwa v0, v30, v66 dst_sel:DWORD dst_unused:UNUSED_PAD src0_sel:WORD_1 src1_sel:DWORD
	s_mov_b32 s6, exec_lo
	v_cmpx_ne_u16_e32 0, v0
	s_cbranch_execz .LBB391_99
; %bb.92:                               ;   in Loop: Header=BB391_11 Depth=1
	v_bfrev_b32_e32 v97, 1
	s_mov_b32 s22, exec_lo
	v_cmpx_ne_u16_e32 0x80, v0
	s_cbranch_execz .LBB391_98
; %bb.93:                               ;   in Loop: Header=BB391_11 Depth=1
	v_bfe_u32 v1, v30, 16, 7
	v_mov_b32_e32 v97, 0x7f800001
	s_mov_b32 s23, exec_lo
	v_cmpx_ne_u32_e32 0x7f, v1
	s_cbranch_execz .LBB391_97
; %bb.94:                               ;   in Loop: Header=BB391_11 Depth=1
	v_and_b32_sdwa v18, v30, v67 dst_sel:DWORD dst_unused:UNUSED_PAD src0_sel:WORD_1 src1_sel:DWORD
	v_mov_b32_e32 v33, v19
	v_lshrrev_b32_e32 v0, 3, v1
	s_mov_b32 s24, exec_lo
	v_mov_b32_e32 v32, v18
	v_cmpx_gt_u32_e32 8, v1
; %bb.95:                               ;   in Loop: Header=BB391_11 Depth=1
	v_ffbh_u32_e32 v0, v18
	v_min_u32_e32 v0, 32, v0
	v_subrev_nc_u32_e32 v1, 28, v0
	v_sub_nc_u32_e32 v0, 29, v0
	v_lshlrev_b64 v[1:2], v1, v[18:19]
	v_and_b32_e32 v32, 7, v1
; %bb.96:                               ;   in Loop: Header=BB391_11 Depth=1
	s_or_b32 exec_lo, exec_lo, s24
	v_lshlrev_b32_sdwa v1, v68, v30 dst_sel:DWORD dst_unused:UNUSED_PAD src0_sel:DWORD src1_sel:WORD_1
	v_lshlrev_b32_e32 v2, 20, v32
	v_lshl_add_u32 v0, v0, 23, 0x3c000000
	v_and_b32_e32 v1, 0x80000000, v1
	v_or3_b32 v97, v2, v1, v0
.LBB391_97:                             ;   in Loop: Header=BB391_11 Depth=1
	s_or_b32 exec_lo, exec_lo, s23
.LBB391_98:                             ;   in Loop: Header=BB391_11 Depth=1
	s_or_b32 exec_lo, exec_lo, s22
.LBB391_99:                             ;   in Loop: Header=BB391_11 Depth=1
	s_or_b32 exec_lo, exec_lo, s6
	v_mov_b32_e32 v99, 0
	v_mov_b32_e32 v98, 0
	s_mov_b32 s6, exec_lo
	v_cmpx_lt_u32_e32 0xffffff, v30
	s_cbranch_execz .LBB391_107
; %bb.100:                              ;   in Loop: Header=BB391_11 Depth=1
	v_cmp_ne_u32_sdwa s5, v30, v55 src0_sel:BYTE_3 src1_sel:DWORD
	v_bfrev_b32_e32 v98, 1
	s_and_saveexec_b32 s22, s5
	s_cbranch_execz .LBB391_106
; %bb.101:                              ;   in Loop: Header=BB391_11 Depth=1
	v_bfe_u32 v1, v30, 24, 7
	v_mov_b32_e32 v98, 0x7f800001
	s_mov_b32 s23, exec_lo
	v_cmpx_ne_u32_e32 0x7f, v1
	s_cbranch_execz .LBB391_105
; %bb.102:                              ;   in Loop: Header=BB391_11 Depth=1
	v_and_b32_sdwa v18, v30, v67 dst_sel:DWORD dst_unused:UNUSED_PAD src0_sel:BYTE_3 src1_sel:DWORD
	v_mov_b32_e32 v33, v19
	v_lshrrev_b32_e32 v0, 3, v1
	s_mov_b32 s24, exec_lo
	v_mov_b32_e32 v32, v18
	v_cmpx_gt_u32_e32 8, v1
; %bb.103:                              ;   in Loop: Header=BB391_11 Depth=1
	v_ffbh_u32_e32 v0, v18
	v_min_u32_e32 v0, 32, v0
	v_subrev_nc_u32_e32 v1, 28, v0
	v_sub_nc_u32_e32 v0, 29, v0
	v_lshlrev_b64 v[1:2], v1, v[18:19]
	v_and_b32_e32 v32, 7, v1
; %bb.104:                              ;   in Loop: Header=BB391_11 Depth=1
	s_or_b32 exec_lo, exec_lo, s24
	v_lshlrev_b32_sdwa v1, v68, v30 dst_sel:DWORD dst_unused:UNUSED_PAD src0_sel:DWORD src1_sel:BYTE_3
	v_lshlrev_b32_e32 v2, 20, v32
	v_lshl_add_u32 v0, v0, 23, 0x3c000000
	v_and_b32_e32 v1, 0x80000000, v1
	v_or3_b32 v98, v2, v1, v0
.LBB391_105:                            ;   in Loop: Header=BB391_11 Depth=1
	s_or_b32 exec_lo, exec_lo, s23
.LBB391_106:                            ;   in Loop: Header=BB391_11 Depth=1
	s_or_b32 exec_lo, exec_lo, s22
.LBB391_107:                            ;   in Loop: Header=BB391_11 Depth=1
	s_or_b32 exec_lo, exec_lo, s6
	v_mov_b32_e32 v18, v31
	v_cmp_ne_u16_sdwa s5, v31, v19 src0_sel:BYTE_0 src1_sel:DWORD
	s_and_saveexec_b32 s6, s5
	s_cbranch_execz .LBB391_115
; %bb.108:                              ;   in Loop: Header=BB391_11 Depth=1
	v_cmp_ne_u16_sdwa s5, v31, v55 src0_sel:BYTE_0 src1_sel:DWORD
	v_bfrev_b32_e32 v99, 1
	s_and_saveexec_b32 s22, s5
	s_cbranch_execz .LBB391_114
; %bb.109:                              ;   in Loop: Header=BB391_11 Depth=1
	v_and_b32_e32 v1, 0x7f, v31
	v_mov_b32_e32 v99, 0x7f800001
	s_mov_b32 s23, exec_lo
	v_cmpx_ne_u32_e32 0x7f, v1
	s_cbranch_execz .LBB391_113
; %bb.110:                              ;   in Loop: Header=BB391_11 Depth=1
	v_mov_b32_e32 v33, v19
	v_lshrrev_b32_e32 v0, 3, v1
	v_mov_b32_e32 v32, v18
	s_mov_b32 s24, exec_lo
	v_cmpx_gt_u32_e32 8, v1
; %bb.111:                              ;   in Loop: Header=BB391_11 Depth=1
	v_and_b32_e32 v0, 7, v31
	v_ffbh_u32_e32 v0, v0
	v_min_u32_e32 v0, 32, v0
	v_subrev_nc_u32_e32 v1, 28, v0
	v_sub_nc_u32_e32 v0, 29, v0
	v_lshlrev_b64 v[32:33], v1, v[18:19]
; %bb.112:                              ;   in Loop: Header=BB391_11 Depth=1
	s_or_b32 exec_lo, exec_lo, s24
	v_lshlrev_b32_e32 v1, 20, v32
	v_lshlrev_b32_e32 v2, 24, v18
	v_lshl_add_u32 v0, v0, 23, 0x3c000000
	v_and_b32_e32 v1, 0x700000, v1
	v_and_b32_e32 v2, 0x80000000, v2
	v_or3_b32 v99, v1, v2, v0
.LBB391_113:                            ;   in Loop: Header=BB391_11 Depth=1
	s_or_b32 exec_lo, exec_lo, s23
.LBB391_114:                            ;   in Loop: Header=BB391_11 Depth=1
	s_or_b32 exec_lo, exec_lo, s22
.LBB391_115:                            ;   in Loop: Header=BB391_11 Depth=1
	s_or_b32 exec_lo, exec_lo, s6
	v_cmp_ne_u16_sdwa s5, v18, v19 src0_sel:BYTE_1 src1_sel:DWORD
	v_mov_b32_e32 v100, 0
	v_mov_b32_e32 v101, 0
	s_and_saveexec_b32 s6, s5
	s_cbranch_execz .LBB391_123
; %bb.116:                              ;   in Loop: Header=BB391_11 Depth=1
	v_cmp_ne_u16_sdwa s5, v18, v55 src0_sel:BYTE_1 src1_sel:DWORD
	v_bfrev_b32_e32 v101, 1
	s_and_saveexec_b32 s22, s5
	s_cbranch_execz .LBB391_122
; %bb.117:                              ;   in Loop: Header=BB391_11 Depth=1
	v_mov_b32_e32 v0, 0xffff
	v_mov_b32_e32 v101, 0x7f800001
	s_mov_b32 s23, exec_lo
	v_and_b32_sdwa v0, v0, v18 dst_sel:DWORD dst_unused:UNUSED_PAD src0_sel:DWORD src1_sel:BYTE_1
	v_and_b32_e32 v1, 0x7f, v0
	v_cmpx_ne_u32_e32 0x7f, v1
	s_cbranch_execz .LBB391_121
; %bb.118:                              ;   in Loop: Header=BB391_11 Depth=1
	v_and_b32_e32 v32, 7, v0
	v_mov_b32_e32 v33, v19
	v_lshrrev_b32_e32 v0, 3, v1
	s_mov_b32 s24, exec_lo
	v_cmpx_gt_u32_e32 8, v1
; %bb.119:                              ;   in Loop: Header=BB391_11 Depth=1
	v_ffbh_u32_e32 v0, v32
	v_min_u32_e32 v0, 32, v0
	v_subrev_nc_u32_e32 v1, 28, v0
	v_sub_nc_u32_e32 v0, 29, v0
	v_lshlrev_b64 v[1:2], v1, v[32:33]
	v_and_b32_e32 v32, 7, v1
; %bb.120:                              ;   in Loop: Header=BB391_11 Depth=1
	s_or_b32 exec_lo, exec_lo, s24
	v_lshlrev_b32_e32 v1, 16, v18
	v_lshlrev_b32_e32 v2, 20, v32
	v_lshl_add_u32 v0, v0, 23, 0x3c000000
	v_and_b32_e32 v1, 0x80000000, v1
	v_or3_b32 v101, v2, v1, v0
.LBB391_121:                            ;   in Loop: Header=BB391_11 Depth=1
	s_or_b32 exec_lo, exec_lo, s23
.LBB391_122:                            ;   in Loop: Header=BB391_11 Depth=1
	s_or_b32 exec_lo, exec_lo, s22
.LBB391_123:                            ;   in Loop: Header=BB391_11 Depth=1
	s_or_b32 exec_lo, exec_lo, s6
	v_and_b32_sdwa v0, v31, v66 dst_sel:DWORD dst_unused:UNUSED_PAD src0_sel:WORD_1 src1_sel:DWORD
	s_mov_b32 s6, exec_lo
	v_cmpx_ne_u16_e32 0, v0
	s_cbranch_execz .LBB391_131
; %bb.124:                              ;   in Loop: Header=BB391_11 Depth=1
	v_bfrev_b32_e32 v100, 1
	s_mov_b32 s22, exec_lo
	v_cmpx_ne_u16_e32 0x80, v0
	s_cbranch_execz .LBB391_130
; %bb.125:                              ;   in Loop: Header=BB391_11 Depth=1
	v_bfe_u32 v1, v31, 16, 7
	v_mov_b32_e32 v100, 0x7f800001
	s_mov_b32 s23, exec_lo
	v_cmpx_ne_u32_e32 0x7f, v1
	s_cbranch_execz .LBB391_129
; %bb.126:                              ;   in Loop: Header=BB391_11 Depth=1
	v_and_b32_sdwa v18, v31, v67 dst_sel:DWORD dst_unused:UNUSED_PAD src0_sel:WORD_1 src1_sel:DWORD
	v_mov_b32_e32 v33, v19
	v_lshrrev_b32_e32 v0, 3, v1
	s_mov_b32 s24, exec_lo
	v_mov_b32_e32 v32, v18
	v_cmpx_gt_u32_e32 8, v1
; %bb.127:                              ;   in Loop: Header=BB391_11 Depth=1
	v_ffbh_u32_e32 v0, v18
	v_min_u32_e32 v0, 32, v0
	v_subrev_nc_u32_e32 v1, 28, v0
	v_sub_nc_u32_e32 v0, 29, v0
	v_lshlrev_b64 v[1:2], v1, v[18:19]
	v_and_b32_e32 v32, 7, v1
; %bb.128:                              ;   in Loop: Header=BB391_11 Depth=1
	s_or_b32 exec_lo, exec_lo, s24
	v_lshlrev_b32_sdwa v1, v68, v31 dst_sel:DWORD dst_unused:UNUSED_PAD src0_sel:DWORD src1_sel:WORD_1
	v_lshlrev_b32_e32 v2, 20, v32
	v_lshl_add_u32 v0, v0, 23, 0x3c000000
	v_and_b32_e32 v1, 0x80000000, v1
	v_or3_b32 v100, v2, v1, v0
.LBB391_129:                            ;   in Loop: Header=BB391_11 Depth=1
	s_or_b32 exec_lo, exec_lo, s23
.LBB391_130:                            ;   in Loop: Header=BB391_11 Depth=1
	s_or_b32 exec_lo, exec_lo, s22
.LBB391_131:                            ;   in Loop: Header=BB391_11 Depth=1
	s_or_b32 exec_lo, exec_lo, s6
	v_mov_b32_e32 v103, 0
	v_mov_b32_e32 v102, 0
	s_mov_b32 s6, exec_lo
	v_cmpx_lt_u64_e64 s[8:9], v[30:31]
	s_cbranch_execz .LBB391_139
; %bb.132:                              ;   in Loop: Header=BB391_11 Depth=1
	v_cmp_ne_u32_sdwa s5, v31, v55 src0_sel:BYTE_3 src1_sel:DWORD
	v_bfrev_b32_e32 v102, 1
	s_and_saveexec_b32 s22, s5
	s_cbranch_execz .LBB391_138
; %bb.133:                              ;   in Loop: Header=BB391_11 Depth=1
	v_bfe_u32 v1, v31, 24, 7
	v_mov_b32_e32 v102, 0x7f800001
	s_mov_b32 s23, exec_lo
	v_cmpx_ne_u32_e32 0x7f, v1
	s_cbranch_execz .LBB391_137
; %bb.134:                              ;   in Loop: Header=BB391_11 Depth=1
	v_and_b32_sdwa v18, v31, v67 dst_sel:DWORD dst_unused:UNUSED_PAD src0_sel:BYTE_3 src1_sel:DWORD
	v_mov_b32_e32 v33, v19
	v_lshrrev_b32_e32 v0, 3, v1
	s_mov_b32 s24, exec_lo
	v_mov_b32_e32 v32, v18
	v_cmpx_gt_u32_e32 8, v1
; %bb.135:                              ;   in Loop: Header=BB391_11 Depth=1
	v_ffbh_u32_e32 v0, v18
	v_min_u32_e32 v0, 32, v0
	v_subrev_nc_u32_e32 v1, 28, v0
	v_sub_nc_u32_e32 v0, 29, v0
	v_lshlrev_b64 v[1:2], v1, v[18:19]
	v_and_b32_e32 v32, 7, v1
; %bb.136:                              ;   in Loop: Header=BB391_11 Depth=1
	s_or_b32 exec_lo, exec_lo, s24
	v_lshlrev_b32_sdwa v1, v68, v31 dst_sel:DWORD dst_unused:UNUSED_PAD src0_sel:DWORD src1_sel:BYTE_3
	v_lshlrev_b32_e32 v2, 20, v32
	v_lshl_add_u32 v0, v0, 23, 0x3c000000
	v_and_b32_e32 v1, 0x80000000, v1
	v_or3_b32 v102, v2, v1, v0
.LBB391_137:                            ;   in Loop: Header=BB391_11 Depth=1
	s_or_b32 exec_lo, exec_lo, s23
.LBB391_138:                            ;   in Loop: Header=BB391_11 Depth=1
	s_or_b32 exec_lo, exec_lo, s22
.LBB391_139:                            ;   in Loop: Header=BB391_11 Depth=1
	s_or_b32 exec_lo, exec_lo, s6
	flat_load_dwordx2 v[30:31], v[28:29] offset:512
	s_waitcnt vmcnt(0) lgkmcnt(0)
	v_cmp_ne_u16_sdwa s5, v30, v19 src0_sel:BYTE_0 src1_sel:DWORD
	s_and_saveexec_b32 s6, s5
	s_cbranch_execz .LBB391_147
; %bb.140:                              ;   in Loop: Header=BB391_11 Depth=1
	v_cmp_ne_u16_sdwa s5, v30, v55 src0_sel:BYTE_0 src1_sel:DWORD
	v_bfrev_b32_e32 v103, 1
	s_and_saveexec_b32 s22, s5
	s_cbranch_execz .LBB391_146
; %bb.141:                              ;   in Loop: Header=BB391_11 Depth=1
	v_and_b32_e32 v1, 0x7f, v30
	v_mov_b32_e32 v103, 0x7f800001
	s_mov_b32 s23, exec_lo
	v_cmpx_ne_u32_e32 0x7f, v1
	s_cbranch_execz .LBB391_145
; %bb.142:                              ;   in Loop: Header=BB391_11 Depth=1
	v_mov_b32_e32 v33, v31
	v_lshrrev_b32_e32 v0, 3, v1
	v_mov_b32_e32 v32, v30
	s_mov_b32 s24, exec_lo
	v_cmpx_gt_u32_e32 8, v1
; %bb.143:                              ;   in Loop: Header=BB391_11 Depth=1
	v_and_b32_e32 v0, 7, v30
	v_ffbh_u32_e32 v0, v0
	v_min_u32_e32 v0, 32, v0
	v_subrev_nc_u32_e32 v1, 28, v0
	v_sub_nc_u32_e32 v0, 29, v0
	v_lshlrev_b64 v[32:33], v1, v[30:31]
; %bb.144:                              ;   in Loop: Header=BB391_11 Depth=1
	s_or_b32 exec_lo, exec_lo, s24
	v_lshlrev_b32_e32 v1, 20, v32
	v_lshlrev_b32_e32 v2, 24, v30
	v_lshl_add_u32 v0, v0, 23, 0x3c000000
	v_and_b32_e32 v1, 0x700000, v1
	v_and_b32_e32 v2, 0x80000000, v2
	v_or3_b32 v103, v1, v2, v0
.LBB391_145:                            ;   in Loop: Header=BB391_11 Depth=1
	s_or_b32 exec_lo, exec_lo, s23
.LBB391_146:                            ;   in Loop: Header=BB391_11 Depth=1
	s_or_b32 exec_lo, exec_lo, s22
.LBB391_147:                            ;   in Loop: Header=BB391_11 Depth=1
	s_or_b32 exec_lo, exec_lo, s6
	v_cmp_ne_u16_sdwa s5, v30, v19 src0_sel:BYTE_1 src1_sel:DWORD
	v_mov_b32_e32 v113, 0
	v_mov_b32_e32 v112, 0
	s_and_saveexec_b32 s6, s5
	s_cbranch_execz .LBB391_155
; %bb.148:                              ;   in Loop: Header=BB391_11 Depth=1
	v_cmp_ne_u16_sdwa s5, v30, v55 src0_sel:BYTE_1 src1_sel:DWORD
	v_bfrev_b32_e32 v112, 1
	s_and_saveexec_b32 s22, s5
	s_cbranch_execz .LBB391_154
; %bb.149:                              ;   in Loop: Header=BB391_11 Depth=1
	v_mov_b32_e32 v0, 0xffff
	v_mov_b32_e32 v112, 0x7f800001
	s_mov_b32 s23, exec_lo
	v_and_b32_sdwa v0, v0, v30 dst_sel:DWORD dst_unused:UNUSED_PAD src0_sel:DWORD src1_sel:BYTE_1
	v_and_b32_e32 v1, 0x7f, v0
	v_cmpx_ne_u32_e32 0x7f, v1
	s_cbranch_execz .LBB391_153
; %bb.150:                              ;   in Loop: Header=BB391_11 Depth=1
	v_and_b32_e32 v18, 7, v0
	v_mov_b32_e32 v33, v19
	v_lshrrev_b32_e32 v0, 3, v1
	s_mov_b32 s24, exec_lo
	v_mov_b32_e32 v32, v18
	v_cmpx_gt_u32_e32 8, v1
; %bb.151:                              ;   in Loop: Header=BB391_11 Depth=1
	v_ffbh_u32_e32 v0, v18
	v_min_u32_e32 v0, 32, v0
	v_subrev_nc_u32_e32 v1, 28, v0
	v_sub_nc_u32_e32 v0, 29, v0
	v_lshlrev_b64 v[1:2], v1, v[18:19]
	v_and_b32_e32 v32, 7, v1
; %bb.152:                              ;   in Loop: Header=BB391_11 Depth=1
	s_or_b32 exec_lo, exec_lo, s24
	v_lshlrev_b32_e32 v1, 16, v30
	v_lshlrev_b32_e32 v2, 20, v32
	v_lshl_add_u32 v0, v0, 23, 0x3c000000
	v_and_b32_e32 v1, 0x80000000, v1
	v_or3_b32 v112, v2, v1, v0
.LBB391_153:                            ;   in Loop: Header=BB391_11 Depth=1
	s_or_b32 exec_lo, exec_lo, s23
.LBB391_154:                            ;   in Loop: Header=BB391_11 Depth=1
	s_or_b32 exec_lo, exec_lo, s22
.LBB391_155:                            ;   in Loop: Header=BB391_11 Depth=1
	s_or_b32 exec_lo, exec_lo, s6
	v_and_b32_sdwa v0, v30, v66 dst_sel:DWORD dst_unused:UNUSED_PAD src0_sel:WORD_1 src1_sel:DWORD
	s_mov_b32 s6, exec_lo
	v_cmpx_ne_u16_e32 0, v0
	s_cbranch_execz .LBB391_163
; %bb.156:                              ;   in Loop: Header=BB391_11 Depth=1
	v_bfrev_b32_e32 v113, 1
	s_mov_b32 s22, exec_lo
	v_cmpx_ne_u16_e32 0x80, v0
	s_cbranch_execz .LBB391_162
; %bb.157:                              ;   in Loop: Header=BB391_11 Depth=1
	v_bfe_u32 v1, v30, 16, 7
	v_mov_b32_e32 v113, 0x7f800001
	s_mov_b32 s23, exec_lo
	v_cmpx_ne_u32_e32 0x7f, v1
	s_cbranch_execz .LBB391_161
; %bb.158:                              ;   in Loop: Header=BB391_11 Depth=1
	v_and_b32_sdwa v18, v30, v67 dst_sel:DWORD dst_unused:UNUSED_PAD src0_sel:WORD_1 src1_sel:DWORD
	v_mov_b32_e32 v33, v19
	v_lshrrev_b32_e32 v0, 3, v1
	s_mov_b32 s24, exec_lo
	v_mov_b32_e32 v32, v18
	v_cmpx_gt_u32_e32 8, v1
; %bb.159:                              ;   in Loop: Header=BB391_11 Depth=1
	v_ffbh_u32_e32 v0, v18
	v_min_u32_e32 v0, 32, v0
	v_subrev_nc_u32_e32 v1, 28, v0
	v_sub_nc_u32_e32 v0, 29, v0
	v_lshlrev_b64 v[1:2], v1, v[18:19]
	v_and_b32_e32 v32, 7, v1
; %bb.160:                              ;   in Loop: Header=BB391_11 Depth=1
	s_or_b32 exec_lo, exec_lo, s24
	v_lshlrev_b32_sdwa v1, v68, v30 dst_sel:DWORD dst_unused:UNUSED_PAD src0_sel:DWORD src1_sel:WORD_1
	v_lshlrev_b32_e32 v2, 20, v32
	v_lshl_add_u32 v0, v0, 23, 0x3c000000
	v_and_b32_e32 v1, 0x80000000, v1
	v_or3_b32 v113, v2, v1, v0
.LBB391_161:                            ;   in Loop: Header=BB391_11 Depth=1
	s_or_b32 exec_lo, exec_lo, s23
.LBB391_162:                            ;   in Loop: Header=BB391_11 Depth=1
	s_or_b32 exec_lo, exec_lo, s22
.LBB391_163:                            ;   in Loop: Header=BB391_11 Depth=1
	s_or_b32 exec_lo, exec_lo, s6
	v_mov_b32_e32 v115, 0
	v_mov_b32_e32 v114, 0
	s_mov_b32 s6, exec_lo
	v_cmpx_lt_u32_e32 0xffffff, v30
	s_cbranch_execz .LBB391_171
; %bb.164:                              ;   in Loop: Header=BB391_11 Depth=1
	v_cmp_ne_u32_sdwa s5, v30, v55 src0_sel:BYTE_3 src1_sel:DWORD
	v_bfrev_b32_e32 v114, 1
	s_and_saveexec_b32 s22, s5
	s_cbranch_execz .LBB391_170
; %bb.165:                              ;   in Loop: Header=BB391_11 Depth=1
	v_bfe_u32 v1, v30, 24, 7
	v_mov_b32_e32 v114, 0x7f800001
	s_mov_b32 s23, exec_lo
	v_cmpx_ne_u32_e32 0x7f, v1
	s_cbranch_execz .LBB391_169
; %bb.166:                              ;   in Loop: Header=BB391_11 Depth=1
	v_and_b32_sdwa v18, v30, v67 dst_sel:DWORD dst_unused:UNUSED_PAD src0_sel:BYTE_3 src1_sel:DWORD
	v_mov_b32_e32 v33, v19
	v_lshrrev_b32_e32 v0, 3, v1
	s_mov_b32 s24, exec_lo
	v_mov_b32_e32 v32, v18
	v_cmpx_gt_u32_e32 8, v1
; %bb.167:                              ;   in Loop: Header=BB391_11 Depth=1
	v_ffbh_u32_e32 v0, v18
	v_min_u32_e32 v0, 32, v0
	v_subrev_nc_u32_e32 v1, 28, v0
	v_sub_nc_u32_e32 v0, 29, v0
	v_lshlrev_b64 v[1:2], v1, v[18:19]
	v_and_b32_e32 v32, 7, v1
; %bb.168:                              ;   in Loop: Header=BB391_11 Depth=1
	s_or_b32 exec_lo, exec_lo, s24
	v_lshlrev_b32_sdwa v1, v68, v30 dst_sel:DWORD dst_unused:UNUSED_PAD src0_sel:DWORD src1_sel:BYTE_3
	v_lshlrev_b32_e32 v2, 20, v32
	v_lshl_add_u32 v0, v0, 23, 0x3c000000
	v_and_b32_e32 v1, 0x80000000, v1
	v_or3_b32 v114, v2, v1, v0
.LBB391_169:                            ;   in Loop: Header=BB391_11 Depth=1
	s_or_b32 exec_lo, exec_lo, s23
.LBB391_170:                            ;   in Loop: Header=BB391_11 Depth=1
	s_or_b32 exec_lo, exec_lo, s22
.LBB391_171:                            ;   in Loop: Header=BB391_11 Depth=1
	s_or_b32 exec_lo, exec_lo, s6
	v_mov_b32_e32 v18, v31
	v_cmp_ne_u16_sdwa s5, v31, v19 src0_sel:BYTE_0 src1_sel:DWORD
	s_and_saveexec_b32 s6, s5
	s_cbranch_execz .LBB391_179
; %bb.172:                              ;   in Loop: Header=BB391_11 Depth=1
	v_cmp_ne_u16_sdwa s5, v31, v55 src0_sel:BYTE_0 src1_sel:DWORD
	v_bfrev_b32_e32 v115, 1
	s_and_saveexec_b32 s22, s5
	s_cbranch_execz .LBB391_178
; %bb.173:                              ;   in Loop: Header=BB391_11 Depth=1
	v_and_b32_e32 v1, 0x7f, v31
	v_mov_b32_e32 v115, 0x7f800001
	s_mov_b32 s23, exec_lo
	v_cmpx_ne_u32_e32 0x7f, v1
	s_cbranch_execz .LBB391_177
; %bb.174:                              ;   in Loop: Header=BB391_11 Depth=1
	v_mov_b32_e32 v33, v19
	v_lshrrev_b32_e32 v0, 3, v1
	v_mov_b32_e32 v32, v18
	s_mov_b32 s24, exec_lo
	v_cmpx_gt_u32_e32 8, v1
; %bb.175:                              ;   in Loop: Header=BB391_11 Depth=1
	v_and_b32_e32 v0, 7, v31
	v_ffbh_u32_e32 v0, v0
	v_min_u32_e32 v0, 32, v0
	v_subrev_nc_u32_e32 v1, 28, v0
	v_sub_nc_u32_e32 v0, 29, v0
	v_lshlrev_b64 v[32:33], v1, v[18:19]
; %bb.176:                              ;   in Loop: Header=BB391_11 Depth=1
	s_or_b32 exec_lo, exec_lo, s24
	v_lshlrev_b32_e32 v1, 20, v32
	v_lshlrev_b32_e32 v2, 24, v18
	v_lshl_add_u32 v0, v0, 23, 0x3c000000
	v_and_b32_e32 v1, 0x700000, v1
	v_and_b32_e32 v2, 0x80000000, v2
	v_or3_b32 v115, v1, v2, v0
.LBB391_177:                            ;   in Loop: Header=BB391_11 Depth=1
	s_or_b32 exec_lo, exec_lo, s23
.LBB391_178:                            ;   in Loop: Header=BB391_11 Depth=1
	s_or_b32 exec_lo, exec_lo, s22
.LBB391_179:                            ;   in Loop: Header=BB391_11 Depth=1
	s_or_b32 exec_lo, exec_lo, s6
	v_cmp_ne_u16_sdwa s5, v18, v19 src0_sel:BYTE_1 src1_sel:DWORD
	v_mov_b32_e32 v116, 0
	v_mov_b32_e32 v117, 0
	s_and_saveexec_b32 s6, s5
	s_cbranch_execz .LBB391_187
; %bb.180:                              ;   in Loop: Header=BB391_11 Depth=1
	v_cmp_ne_u16_sdwa s5, v18, v55 src0_sel:BYTE_1 src1_sel:DWORD
	v_bfrev_b32_e32 v117, 1
	s_and_saveexec_b32 s22, s5
	s_cbranch_execz .LBB391_186
; %bb.181:                              ;   in Loop: Header=BB391_11 Depth=1
	v_mov_b32_e32 v0, 0xffff
	v_mov_b32_e32 v117, 0x7f800001
	s_mov_b32 s23, exec_lo
	v_and_b32_sdwa v0, v0, v18 dst_sel:DWORD dst_unused:UNUSED_PAD src0_sel:DWORD src1_sel:BYTE_1
	v_and_b32_e32 v1, 0x7f, v0
	v_cmpx_ne_u32_e32 0x7f, v1
	s_cbranch_execz .LBB391_185
; %bb.182:                              ;   in Loop: Header=BB391_11 Depth=1
	v_and_b32_e32 v32, 7, v0
	v_mov_b32_e32 v33, v19
	v_lshrrev_b32_e32 v0, 3, v1
	s_mov_b32 s24, exec_lo
	v_cmpx_gt_u32_e32 8, v1
; %bb.183:                              ;   in Loop: Header=BB391_11 Depth=1
	v_ffbh_u32_e32 v0, v32
	v_min_u32_e32 v0, 32, v0
	v_subrev_nc_u32_e32 v1, 28, v0
	v_sub_nc_u32_e32 v0, 29, v0
	v_lshlrev_b64 v[1:2], v1, v[32:33]
	v_and_b32_e32 v32, 7, v1
; %bb.184:                              ;   in Loop: Header=BB391_11 Depth=1
	s_or_b32 exec_lo, exec_lo, s24
	v_lshlrev_b32_e32 v1, 16, v18
	v_lshlrev_b32_e32 v2, 20, v32
	v_lshl_add_u32 v0, v0, 23, 0x3c000000
	v_and_b32_e32 v1, 0x80000000, v1
	v_or3_b32 v117, v2, v1, v0
.LBB391_185:                            ;   in Loop: Header=BB391_11 Depth=1
	s_or_b32 exec_lo, exec_lo, s23
.LBB391_186:                            ;   in Loop: Header=BB391_11 Depth=1
	s_or_b32 exec_lo, exec_lo, s22
.LBB391_187:                            ;   in Loop: Header=BB391_11 Depth=1
	s_or_b32 exec_lo, exec_lo, s6
	v_and_b32_sdwa v0, v31, v66 dst_sel:DWORD dst_unused:UNUSED_PAD src0_sel:WORD_1 src1_sel:DWORD
	s_mov_b32 s6, exec_lo
	v_cmpx_ne_u16_e32 0, v0
	s_cbranch_execz .LBB391_195
; %bb.188:                              ;   in Loop: Header=BB391_11 Depth=1
	v_bfrev_b32_e32 v116, 1
	s_mov_b32 s22, exec_lo
	v_cmpx_ne_u16_e32 0x80, v0
	s_cbranch_execz .LBB391_194
; %bb.189:                              ;   in Loop: Header=BB391_11 Depth=1
	v_bfe_u32 v1, v31, 16, 7
	v_mov_b32_e32 v116, 0x7f800001
	s_mov_b32 s23, exec_lo
	v_cmpx_ne_u32_e32 0x7f, v1
	s_cbranch_execz .LBB391_193
; %bb.190:                              ;   in Loop: Header=BB391_11 Depth=1
	v_and_b32_sdwa v18, v31, v67 dst_sel:DWORD dst_unused:UNUSED_PAD src0_sel:WORD_1 src1_sel:DWORD
	v_mov_b32_e32 v33, v19
	v_lshrrev_b32_e32 v0, 3, v1
	s_mov_b32 s24, exec_lo
	v_mov_b32_e32 v32, v18
	v_cmpx_gt_u32_e32 8, v1
; %bb.191:                              ;   in Loop: Header=BB391_11 Depth=1
	v_ffbh_u32_e32 v0, v18
	v_min_u32_e32 v0, 32, v0
	v_subrev_nc_u32_e32 v1, 28, v0
	v_sub_nc_u32_e32 v0, 29, v0
	v_lshlrev_b64 v[1:2], v1, v[18:19]
	v_and_b32_e32 v32, 7, v1
; %bb.192:                              ;   in Loop: Header=BB391_11 Depth=1
	s_or_b32 exec_lo, exec_lo, s24
	v_lshlrev_b32_sdwa v1, v68, v31 dst_sel:DWORD dst_unused:UNUSED_PAD src0_sel:DWORD src1_sel:WORD_1
	v_lshlrev_b32_e32 v2, 20, v32
	v_lshl_add_u32 v0, v0, 23, 0x3c000000
	v_and_b32_e32 v1, 0x80000000, v1
	v_or3_b32 v116, v2, v1, v0
.LBB391_193:                            ;   in Loop: Header=BB391_11 Depth=1
	s_or_b32 exec_lo, exec_lo, s23
.LBB391_194:                            ;   in Loop: Header=BB391_11 Depth=1
	s_or_b32 exec_lo, exec_lo, s22
.LBB391_195:                            ;   in Loop: Header=BB391_11 Depth=1
	s_or_b32 exec_lo, exec_lo, s6
	v_mov_b32_e32 v119, 0
	v_mov_b32_e32 v118, 0
	s_mov_b32 s6, exec_lo
	v_cmpx_lt_u64_e64 s[8:9], v[30:31]
	s_cbranch_execz .LBB391_203
; %bb.196:                              ;   in Loop: Header=BB391_11 Depth=1
	v_cmp_ne_u32_sdwa s5, v31, v55 src0_sel:BYTE_3 src1_sel:DWORD
	v_bfrev_b32_e32 v118, 1
	s_and_saveexec_b32 s22, s5
	s_cbranch_execz .LBB391_202
; %bb.197:                              ;   in Loop: Header=BB391_11 Depth=1
	v_bfe_u32 v1, v31, 24, 7
	v_mov_b32_e32 v118, 0x7f800001
	s_mov_b32 s23, exec_lo
	v_cmpx_ne_u32_e32 0x7f, v1
	s_cbranch_execz .LBB391_201
; %bb.198:                              ;   in Loop: Header=BB391_11 Depth=1
	v_and_b32_sdwa v18, v31, v67 dst_sel:DWORD dst_unused:UNUSED_PAD src0_sel:BYTE_3 src1_sel:DWORD
	v_mov_b32_e32 v33, v19
	v_lshrrev_b32_e32 v0, 3, v1
	s_mov_b32 s24, exec_lo
	v_mov_b32_e32 v32, v18
	v_cmpx_gt_u32_e32 8, v1
; %bb.199:                              ;   in Loop: Header=BB391_11 Depth=1
	v_ffbh_u32_e32 v0, v18
	v_min_u32_e32 v0, 32, v0
	v_subrev_nc_u32_e32 v1, 28, v0
	v_sub_nc_u32_e32 v0, 29, v0
	v_lshlrev_b64 v[1:2], v1, v[18:19]
	v_and_b32_e32 v32, 7, v1
; %bb.200:                              ;   in Loop: Header=BB391_11 Depth=1
	s_or_b32 exec_lo, exec_lo, s24
	v_lshlrev_b32_sdwa v1, v68, v31 dst_sel:DWORD dst_unused:UNUSED_PAD src0_sel:DWORD src1_sel:BYTE_3
	v_lshlrev_b32_e32 v2, 20, v32
	v_lshl_add_u32 v0, v0, 23, 0x3c000000
	v_and_b32_e32 v1, 0x80000000, v1
	v_or3_b32 v118, v2, v1, v0
.LBB391_201:                            ;   in Loop: Header=BB391_11 Depth=1
	s_or_b32 exec_lo, exec_lo, s23
.LBB391_202:                            ;   in Loop: Header=BB391_11 Depth=1
	s_or_b32 exec_lo, exec_lo, s22
.LBB391_203:                            ;   in Loop: Header=BB391_11 Depth=1
	s_or_b32 exec_lo, exec_lo, s6
	flat_load_dwordx2 v[30:31], v[28:29] offset:520
	s_waitcnt vmcnt(0) lgkmcnt(0)
	v_cmp_ne_u16_sdwa s5, v30, v19 src0_sel:BYTE_0 src1_sel:DWORD
	s_and_saveexec_b32 s6, s5
	s_cbranch_execz .LBB391_211
; %bb.204:                              ;   in Loop: Header=BB391_11 Depth=1
	v_cmp_ne_u16_sdwa s5, v30, v55 src0_sel:BYTE_0 src1_sel:DWORD
	v_bfrev_b32_e32 v119, 1
	s_and_saveexec_b32 s22, s5
	s_cbranch_execz .LBB391_210
; %bb.205:                              ;   in Loop: Header=BB391_11 Depth=1
	v_and_b32_e32 v1, 0x7f, v30
	v_mov_b32_e32 v119, 0x7f800001
	s_mov_b32 s23, exec_lo
	v_cmpx_ne_u32_e32 0x7f, v1
	s_cbranch_execz .LBB391_209
; %bb.206:                              ;   in Loop: Header=BB391_11 Depth=1
	v_mov_b32_e32 v33, v31
	v_lshrrev_b32_e32 v0, 3, v1
	v_mov_b32_e32 v32, v30
	s_mov_b32 s24, exec_lo
	v_cmpx_gt_u32_e32 8, v1
; %bb.207:                              ;   in Loop: Header=BB391_11 Depth=1
	v_and_b32_e32 v0, 7, v30
	v_ffbh_u32_e32 v0, v0
	v_min_u32_e32 v0, 32, v0
	v_subrev_nc_u32_e32 v1, 28, v0
	v_sub_nc_u32_e32 v0, 29, v0
	v_lshlrev_b64 v[32:33], v1, v[30:31]
; %bb.208:                              ;   in Loop: Header=BB391_11 Depth=1
	s_or_b32 exec_lo, exec_lo, s24
	v_lshlrev_b32_e32 v1, 20, v32
	v_lshlrev_b32_e32 v2, 24, v30
	v_lshl_add_u32 v0, v0, 23, 0x3c000000
	v_and_b32_e32 v1, 0x700000, v1
	v_and_b32_e32 v2, 0x80000000, v2
	v_or3_b32 v119, v1, v2, v0
.LBB391_209:                            ;   in Loop: Header=BB391_11 Depth=1
	s_or_b32 exec_lo, exec_lo, s23
.LBB391_210:                            ;   in Loop: Header=BB391_11 Depth=1
	s_or_b32 exec_lo, exec_lo, s22
.LBB391_211:                            ;   in Loop: Header=BB391_11 Depth=1
	s_or_b32 exec_lo, exec_lo, s6
	v_cmp_ne_u16_sdwa s5, v30, v19 src0_sel:BYTE_1 src1_sel:DWORD
	v_mov_b32_e32 v41, 0
	v_mov_b32_e32 v40, 0
	s_and_saveexec_b32 s6, s5
	s_cbranch_execz .LBB391_219
; %bb.212:                              ;   in Loop: Header=BB391_11 Depth=1
	v_cmp_ne_u16_sdwa s5, v30, v55 src0_sel:BYTE_1 src1_sel:DWORD
	v_bfrev_b32_e32 v40, 1
	s_and_saveexec_b32 s22, s5
	s_cbranch_execz .LBB391_218
; %bb.213:                              ;   in Loop: Header=BB391_11 Depth=1
	v_mov_b32_e32 v0, 0xffff
	v_mov_b32_e32 v40, 0x7f800001
	s_mov_b32 s23, exec_lo
	v_and_b32_sdwa v0, v0, v30 dst_sel:DWORD dst_unused:UNUSED_PAD src0_sel:DWORD src1_sel:BYTE_1
	v_and_b32_e32 v1, 0x7f, v0
	v_cmpx_ne_u32_e32 0x7f, v1
	s_cbranch_execz .LBB391_217
; %bb.214:                              ;   in Loop: Header=BB391_11 Depth=1
	v_and_b32_e32 v18, 7, v0
	v_mov_b32_e32 v33, v19
	v_lshrrev_b32_e32 v0, 3, v1
	s_mov_b32 s24, exec_lo
	v_mov_b32_e32 v32, v18
	v_cmpx_gt_u32_e32 8, v1
; %bb.215:                              ;   in Loop: Header=BB391_11 Depth=1
	v_ffbh_u32_e32 v0, v18
	v_min_u32_e32 v0, 32, v0
	v_subrev_nc_u32_e32 v1, 28, v0
	v_sub_nc_u32_e32 v0, 29, v0
	v_lshlrev_b64 v[1:2], v1, v[18:19]
	v_and_b32_e32 v32, 7, v1
; %bb.216:                              ;   in Loop: Header=BB391_11 Depth=1
	s_or_b32 exec_lo, exec_lo, s24
	v_lshlrev_b32_e32 v1, 16, v30
	v_lshlrev_b32_e32 v2, 20, v32
	v_lshl_add_u32 v0, v0, 23, 0x3c000000
	v_and_b32_e32 v1, 0x80000000, v1
	v_or3_b32 v40, v2, v1, v0
.LBB391_217:                            ;   in Loop: Header=BB391_11 Depth=1
	s_or_b32 exec_lo, exec_lo, s23
.LBB391_218:                            ;   in Loop: Header=BB391_11 Depth=1
	s_or_b32 exec_lo, exec_lo, s22
.LBB391_219:                            ;   in Loop: Header=BB391_11 Depth=1
	s_or_b32 exec_lo, exec_lo, s6
	v_and_b32_sdwa v0, v30, v66 dst_sel:DWORD dst_unused:UNUSED_PAD src0_sel:WORD_1 src1_sel:DWORD
	s_mov_b32 s6, exec_lo
	v_cmpx_ne_u16_e32 0, v0
	s_cbranch_execz .LBB391_227
; %bb.220:                              ;   in Loop: Header=BB391_11 Depth=1
	v_bfrev_b32_e32 v41, 1
	s_mov_b32 s22, exec_lo
	v_cmpx_ne_u16_e32 0x80, v0
	s_cbranch_execz .LBB391_226
; %bb.221:                              ;   in Loop: Header=BB391_11 Depth=1
	v_bfe_u32 v1, v30, 16, 7
	v_mov_b32_e32 v41, 0x7f800001
	s_mov_b32 s23, exec_lo
	v_cmpx_ne_u32_e32 0x7f, v1
	s_cbranch_execz .LBB391_225
; %bb.222:                              ;   in Loop: Header=BB391_11 Depth=1
	v_and_b32_sdwa v18, v30, v67 dst_sel:DWORD dst_unused:UNUSED_PAD src0_sel:WORD_1 src1_sel:DWORD
	v_mov_b32_e32 v33, v19
	v_lshrrev_b32_e32 v0, 3, v1
	s_mov_b32 s24, exec_lo
	v_mov_b32_e32 v32, v18
	v_cmpx_gt_u32_e32 8, v1
; %bb.223:                              ;   in Loop: Header=BB391_11 Depth=1
	v_ffbh_u32_e32 v0, v18
	v_min_u32_e32 v0, 32, v0
	v_subrev_nc_u32_e32 v1, 28, v0
	v_sub_nc_u32_e32 v0, 29, v0
	v_lshlrev_b64 v[1:2], v1, v[18:19]
	v_and_b32_e32 v32, 7, v1
; %bb.224:                              ;   in Loop: Header=BB391_11 Depth=1
	s_or_b32 exec_lo, exec_lo, s24
	v_lshlrev_b32_sdwa v1, v68, v30 dst_sel:DWORD dst_unused:UNUSED_PAD src0_sel:DWORD src1_sel:WORD_1
	v_lshlrev_b32_e32 v2, 20, v32
	v_lshl_add_u32 v0, v0, 23, 0x3c000000
	v_and_b32_e32 v1, 0x80000000, v1
	v_or3_b32 v41, v2, v1, v0
.LBB391_225:                            ;   in Loop: Header=BB391_11 Depth=1
	s_or_b32 exec_lo, exec_lo, s23
.LBB391_226:                            ;   in Loop: Header=BB391_11 Depth=1
	s_or_b32 exec_lo, exec_lo, s22
.LBB391_227:                            ;   in Loop: Header=BB391_11 Depth=1
	s_or_b32 exec_lo, exec_lo, s6
	v_mov_b32_e32 v43, 0
	v_mov_b32_e32 v42, 0
	s_mov_b32 s6, exec_lo
	v_cmpx_lt_u32_e32 0xffffff, v30
	s_cbranch_execz .LBB391_235
; %bb.228:                              ;   in Loop: Header=BB391_11 Depth=1
	v_cmp_ne_u32_sdwa s5, v30, v55 src0_sel:BYTE_3 src1_sel:DWORD
	v_bfrev_b32_e32 v42, 1
	s_and_saveexec_b32 s22, s5
	s_cbranch_execz .LBB391_234
; %bb.229:                              ;   in Loop: Header=BB391_11 Depth=1
	v_bfe_u32 v1, v30, 24, 7
	v_mov_b32_e32 v42, 0x7f800001
	s_mov_b32 s23, exec_lo
	v_cmpx_ne_u32_e32 0x7f, v1
	s_cbranch_execz .LBB391_233
; %bb.230:                              ;   in Loop: Header=BB391_11 Depth=1
	v_and_b32_sdwa v18, v30, v67 dst_sel:DWORD dst_unused:UNUSED_PAD src0_sel:BYTE_3 src1_sel:DWORD
	v_mov_b32_e32 v33, v19
	v_lshrrev_b32_e32 v0, 3, v1
	s_mov_b32 s24, exec_lo
	v_mov_b32_e32 v32, v18
	v_cmpx_gt_u32_e32 8, v1
; %bb.231:                              ;   in Loop: Header=BB391_11 Depth=1
	v_ffbh_u32_e32 v0, v18
	v_min_u32_e32 v0, 32, v0
	v_subrev_nc_u32_e32 v1, 28, v0
	v_sub_nc_u32_e32 v0, 29, v0
	v_lshlrev_b64 v[1:2], v1, v[18:19]
	v_and_b32_e32 v32, 7, v1
; %bb.232:                              ;   in Loop: Header=BB391_11 Depth=1
	s_or_b32 exec_lo, exec_lo, s24
	v_lshlrev_b32_sdwa v1, v68, v30 dst_sel:DWORD dst_unused:UNUSED_PAD src0_sel:DWORD src1_sel:BYTE_3
	v_lshlrev_b32_e32 v2, 20, v32
	v_lshl_add_u32 v0, v0, 23, 0x3c000000
	v_and_b32_e32 v1, 0x80000000, v1
	v_or3_b32 v42, v2, v1, v0
.LBB391_233:                            ;   in Loop: Header=BB391_11 Depth=1
	s_or_b32 exec_lo, exec_lo, s23
.LBB391_234:                            ;   in Loop: Header=BB391_11 Depth=1
	s_or_b32 exec_lo, exec_lo, s22
.LBB391_235:                            ;   in Loop: Header=BB391_11 Depth=1
	s_or_b32 exec_lo, exec_lo, s6
	v_mov_b32_e32 v18, v31
	v_cmp_ne_u16_sdwa s5, v31, v19 src0_sel:BYTE_0 src1_sel:DWORD
	s_and_saveexec_b32 s6, s5
	s_cbranch_execz .LBB391_243
; %bb.236:                              ;   in Loop: Header=BB391_11 Depth=1
	v_cmp_ne_u16_sdwa s5, v31, v55 src0_sel:BYTE_0 src1_sel:DWORD
	v_bfrev_b32_e32 v43, 1
	s_and_saveexec_b32 s22, s5
	s_cbranch_execz .LBB391_242
; %bb.237:                              ;   in Loop: Header=BB391_11 Depth=1
	v_and_b32_e32 v1, 0x7f, v31
	v_mov_b32_e32 v43, 0x7f800001
	s_mov_b32 s23, exec_lo
	v_cmpx_ne_u32_e32 0x7f, v1
	s_cbranch_execz .LBB391_241
; %bb.238:                              ;   in Loop: Header=BB391_11 Depth=1
	v_mov_b32_e32 v33, v19
	v_lshrrev_b32_e32 v0, 3, v1
	v_mov_b32_e32 v32, v18
	s_mov_b32 s24, exec_lo
	v_cmpx_gt_u32_e32 8, v1
; %bb.239:                              ;   in Loop: Header=BB391_11 Depth=1
	v_and_b32_e32 v0, 7, v31
	v_ffbh_u32_e32 v0, v0
	v_min_u32_e32 v0, 32, v0
	v_subrev_nc_u32_e32 v1, 28, v0
	v_sub_nc_u32_e32 v0, 29, v0
	v_lshlrev_b64 v[32:33], v1, v[18:19]
; %bb.240:                              ;   in Loop: Header=BB391_11 Depth=1
	s_or_b32 exec_lo, exec_lo, s24
	v_lshlrev_b32_e32 v1, 20, v32
	v_lshlrev_b32_e32 v2, 24, v18
	v_lshl_add_u32 v0, v0, 23, 0x3c000000
	v_and_b32_e32 v1, 0x700000, v1
	v_and_b32_e32 v2, 0x80000000, v2
	v_or3_b32 v43, v1, v2, v0
.LBB391_241:                            ;   in Loop: Header=BB391_11 Depth=1
	s_or_b32 exec_lo, exec_lo, s23
.LBB391_242:                            ;   in Loop: Header=BB391_11 Depth=1
	s_or_b32 exec_lo, exec_lo, s22
.LBB391_243:                            ;   in Loop: Header=BB391_11 Depth=1
	s_or_b32 exec_lo, exec_lo, s6
	v_cmp_ne_u16_sdwa s5, v18, v19 src0_sel:BYTE_1 src1_sel:DWORD
	v_mov_b32_e32 v44, 0
	v_mov_b32_e32 v45, 0
	s_and_saveexec_b32 s6, s5
	s_cbranch_execz .LBB391_251
; %bb.244:                              ;   in Loop: Header=BB391_11 Depth=1
	v_cmp_ne_u16_sdwa s5, v18, v55 src0_sel:BYTE_1 src1_sel:DWORD
	v_bfrev_b32_e32 v45, 1
	s_and_saveexec_b32 s22, s5
	s_cbranch_execz .LBB391_250
; %bb.245:                              ;   in Loop: Header=BB391_11 Depth=1
	v_mov_b32_e32 v0, 0xffff
	v_mov_b32_e32 v45, 0x7f800001
	s_mov_b32 s23, exec_lo
	v_and_b32_sdwa v0, v0, v18 dst_sel:DWORD dst_unused:UNUSED_PAD src0_sel:DWORD src1_sel:BYTE_1
	v_and_b32_e32 v1, 0x7f, v0
	v_cmpx_ne_u32_e32 0x7f, v1
	s_cbranch_execz .LBB391_249
; %bb.246:                              ;   in Loop: Header=BB391_11 Depth=1
	v_and_b32_e32 v32, 7, v0
	v_mov_b32_e32 v33, v19
	v_lshrrev_b32_e32 v0, 3, v1
	s_mov_b32 s24, exec_lo
	v_cmpx_gt_u32_e32 8, v1
; %bb.247:                              ;   in Loop: Header=BB391_11 Depth=1
	v_ffbh_u32_e32 v0, v32
	v_min_u32_e32 v0, 32, v0
	v_subrev_nc_u32_e32 v1, 28, v0
	v_sub_nc_u32_e32 v0, 29, v0
	v_lshlrev_b64 v[1:2], v1, v[32:33]
	v_and_b32_e32 v32, 7, v1
; %bb.248:                              ;   in Loop: Header=BB391_11 Depth=1
	s_or_b32 exec_lo, exec_lo, s24
	v_lshlrev_b32_e32 v1, 16, v18
	v_lshlrev_b32_e32 v2, 20, v32
	v_lshl_add_u32 v0, v0, 23, 0x3c000000
	v_and_b32_e32 v1, 0x80000000, v1
	v_or3_b32 v45, v2, v1, v0
.LBB391_249:                            ;   in Loop: Header=BB391_11 Depth=1
	s_or_b32 exec_lo, exec_lo, s23
.LBB391_250:                            ;   in Loop: Header=BB391_11 Depth=1
	s_or_b32 exec_lo, exec_lo, s22
.LBB391_251:                            ;   in Loop: Header=BB391_11 Depth=1
	s_or_b32 exec_lo, exec_lo, s6
	v_and_b32_sdwa v0, v31, v66 dst_sel:DWORD dst_unused:UNUSED_PAD src0_sel:WORD_1 src1_sel:DWORD
	s_mov_b32 s6, exec_lo
	v_cmpx_ne_u16_e32 0, v0
	s_cbranch_execz .LBB391_259
; %bb.252:                              ;   in Loop: Header=BB391_11 Depth=1
	v_bfrev_b32_e32 v44, 1
	s_mov_b32 s22, exec_lo
	v_cmpx_ne_u16_e32 0x80, v0
	s_cbranch_execz .LBB391_258
; %bb.253:                              ;   in Loop: Header=BB391_11 Depth=1
	v_bfe_u32 v1, v31, 16, 7
	v_mov_b32_e32 v44, 0x7f800001
	s_mov_b32 s23, exec_lo
	v_cmpx_ne_u32_e32 0x7f, v1
	s_cbranch_execz .LBB391_257
; %bb.254:                              ;   in Loop: Header=BB391_11 Depth=1
	v_and_b32_sdwa v18, v31, v67 dst_sel:DWORD dst_unused:UNUSED_PAD src0_sel:WORD_1 src1_sel:DWORD
	v_mov_b32_e32 v33, v19
	v_lshrrev_b32_e32 v0, 3, v1
	s_mov_b32 s24, exec_lo
	v_mov_b32_e32 v32, v18
	v_cmpx_gt_u32_e32 8, v1
; %bb.255:                              ;   in Loop: Header=BB391_11 Depth=1
	v_ffbh_u32_e32 v0, v18
	v_min_u32_e32 v0, 32, v0
	v_subrev_nc_u32_e32 v1, 28, v0
	v_sub_nc_u32_e32 v0, 29, v0
	v_lshlrev_b64 v[1:2], v1, v[18:19]
	v_and_b32_e32 v32, 7, v1
; %bb.256:                              ;   in Loop: Header=BB391_11 Depth=1
	s_or_b32 exec_lo, exec_lo, s24
	v_lshlrev_b32_sdwa v1, v68, v31 dst_sel:DWORD dst_unused:UNUSED_PAD src0_sel:DWORD src1_sel:WORD_1
	v_lshlrev_b32_e32 v2, 20, v32
	v_lshl_add_u32 v0, v0, 23, 0x3c000000
	v_and_b32_e32 v1, 0x80000000, v1
	v_or3_b32 v44, v2, v1, v0
.LBB391_257:                            ;   in Loop: Header=BB391_11 Depth=1
	s_or_b32 exec_lo, exec_lo, s23
.LBB391_258:                            ;   in Loop: Header=BB391_11 Depth=1
	s_or_b32 exec_lo, exec_lo, s22
.LBB391_259:                            ;   in Loop: Header=BB391_11 Depth=1
	s_or_b32 exec_lo, exec_lo, s6
	v_mov_b32_e32 v47, 0
	v_mov_b32_e32 v46, 0
	s_mov_b32 s6, exec_lo
	v_cmpx_lt_u64_e64 s[8:9], v[30:31]
	s_cbranch_execz .LBB391_267
; %bb.260:                              ;   in Loop: Header=BB391_11 Depth=1
	v_cmp_ne_u32_sdwa s5, v31, v55 src0_sel:BYTE_3 src1_sel:DWORD
	v_bfrev_b32_e32 v46, 1
	s_and_saveexec_b32 s22, s5
	s_cbranch_execz .LBB391_266
; %bb.261:                              ;   in Loop: Header=BB391_11 Depth=1
	v_bfe_u32 v1, v31, 24, 7
	v_mov_b32_e32 v46, 0x7f800001
	s_mov_b32 s23, exec_lo
	v_cmpx_ne_u32_e32 0x7f, v1
	s_cbranch_execz .LBB391_265
; %bb.262:                              ;   in Loop: Header=BB391_11 Depth=1
	v_and_b32_sdwa v18, v31, v67 dst_sel:DWORD dst_unused:UNUSED_PAD src0_sel:BYTE_3 src1_sel:DWORD
	v_mov_b32_e32 v33, v19
	v_lshrrev_b32_e32 v0, 3, v1
	s_mov_b32 s24, exec_lo
	v_mov_b32_e32 v32, v18
	v_cmpx_gt_u32_e32 8, v1
; %bb.263:                              ;   in Loop: Header=BB391_11 Depth=1
	v_ffbh_u32_e32 v0, v18
	v_min_u32_e32 v0, 32, v0
	v_subrev_nc_u32_e32 v1, 28, v0
	v_sub_nc_u32_e32 v0, 29, v0
	v_lshlrev_b64 v[1:2], v1, v[18:19]
	v_and_b32_e32 v32, 7, v1
; %bb.264:                              ;   in Loop: Header=BB391_11 Depth=1
	s_or_b32 exec_lo, exec_lo, s24
	v_lshlrev_b32_sdwa v1, v68, v31 dst_sel:DWORD dst_unused:UNUSED_PAD src0_sel:DWORD src1_sel:BYTE_3
	v_lshlrev_b32_e32 v2, 20, v32
	v_lshl_add_u32 v0, v0, 23, 0x3c000000
	v_and_b32_e32 v1, 0x80000000, v1
	v_or3_b32 v46, v2, v1, v0
.LBB391_265:                            ;   in Loop: Header=BB391_11 Depth=1
	s_or_b32 exec_lo, exec_lo, s23
.LBB391_266:                            ;   in Loop: Header=BB391_11 Depth=1
	s_or_b32 exec_lo, exec_lo, s22
.LBB391_267:                            ;   in Loop: Header=BB391_11 Depth=1
	s_or_b32 exec_lo, exec_lo, s6
	flat_load_dwordx2 v[30:31], v[28:29] offset:1024
	s_waitcnt vmcnt(0) lgkmcnt(0)
	v_cmp_ne_u16_sdwa s5, v30, v19 src0_sel:BYTE_0 src1_sel:DWORD
	s_and_saveexec_b32 s6, s5
	s_cbranch_execz .LBB391_275
; %bb.268:                              ;   in Loop: Header=BB391_11 Depth=1
	v_cmp_ne_u16_sdwa s5, v30, v55 src0_sel:BYTE_0 src1_sel:DWORD
	v_bfrev_b32_e32 v47, 1
	s_and_saveexec_b32 s22, s5
	s_cbranch_execz .LBB391_274
; %bb.269:                              ;   in Loop: Header=BB391_11 Depth=1
	v_and_b32_e32 v1, 0x7f, v30
	v_mov_b32_e32 v47, 0x7f800001
	s_mov_b32 s23, exec_lo
	v_cmpx_ne_u32_e32 0x7f, v1
	s_cbranch_execz .LBB391_273
; %bb.270:                              ;   in Loop: Header=BB391_11 Depth=1
	v_mov_b32_e32 v33, v31
	v_lshrrev_b32_e32 v0, 3, v1
	v_mov_b32_e32 v32, v30
	s_mov_b32 s24, exec_lo
	v_cmpx_gt_u32_e32 8, v1
; %bb.271:                              ;   in Loop: Header=BB391_11 Depth=1
	v_and_b32_e32 v0, 7, v30
	v_ffbh_u32_e32 v0, v0
	v_min_u32_e32 v0, 32, v0
	v_subrev_nc_u32_e32 v1, 28, v0
	v_sub_nc_u32_e32 v0, 29, v0
	v_lshlrev_b64 v[32:33], v1, v[30:31]
; %bb.272:                              ;   in Loop: Header=BB391_11 Depth=1
	s_or_b32 exec_lo, exec_lo, s24
	v_lshlrev_b32_e32 v1, 20, v32
	v_lshlrev_b32_e32 v2, 24, v30
	v_lshl_add_u32 v0, v0, 23, 0x3c000000
	v_and_b32_e32 v1, 0x700000, v1
	v_and_b32_e32 v2, 0x80000000, v2
	v_or3_b32 v47, v1, v2, v0
.LBB391_273:                            ;   in Loop: Header=BB391_11 Depth=1
	s_or_b32 exec_lo, exec_lo, s23
.LBB391_274:                            ;   in Loop: Header=BB391_11 Depth=1
	s_or_b32 exec_lo, exec_lo, s22
.LBB391_275:                            ;   in Loop: Header=BB391_11 Depth=1
	s_or_b32 exec_lo, exec_lo, s6
	v_cmp_ne_u16_sdwa s5, v30, v19 src0_sel:BYTE_1 src1_sel:DWORD
	v_mov_b32_e32 v57, 0
	v_mov_b32_e32 v56, 0
	s_and_saveexec_b32 s6, s5
	s_cbranch_execz .LBB391_283
; %bb.276:                              ;   in Loop: Header=BB391_11 Depth=1
	v_cmp_ne_u16_sdwa s5, v30, v55 src0_sel:BYTE_1 src1_sel:DWORD
	v_bfrev_b32_e32 v56, 1
	s_and_saveexec_b32 s22, s5
	s_cbranch_execz .LBB391_282
; %bb.277:                              ;   in Loop: Header=BB391_11 Depth=1
	v_mov_b32_e32 v0, 0xffff
	v_mov_b32_e32 v56, 0x7f800001
	s_mov_b32 s23, exec_lo
	v_and_b32_sdwa v0, v0, v30 dst_sel:DWORD dst_unused:UNUSED_PAD src0_sel:DWORD src1_sel:BYTE_1
	v_and_b32_e32 v1, 0x7f, v0
	v_cmpx_ne_u32_e32 0x7f, v1
	s_cbranch_execz .LBB391_281
; %bb.278:                              ;   in Loop: Header=BB391_11 Depth=1
	v_and_b32_e32 v18, 7, v0
	v_mov_b32_e32 v33, v19
	v_lshrrev_b32_e32 v0, 3, v1
	s_mov_b32 s24, exec_lo
	v_mov_b32_e32 v32, v18
	v_cmpx_gt_u32_e32 8, v1
; %bb.279:                              ;   in Loop: Header=BB391_11 Depth=1
	v_ffbh_u32_e32 v0, v18
	v_min_u32_e32 v0, 32, v0
	v_subrev_nc_u32_e32 v1, 28, v0
	v_sub_nc_u32_e32 v0, 29, v0
	v_lshlrev_b64 v[1:2], v1, v[18:19]
	v_and_b32_e32 v32, 7, v1
; %bb.280:                              ;   in Loop: Header=BB391_11 Depth=1
	s_or_b32 exec_lo, exec_lo, s24
	v_lshlrev_b32_e32 v1, 16, v30
	v_lshlrev_b32_e32 v2, 20, v32
	v_lshl_add_u32 v0, v0, 23, 0x3c000000
	v_and_b32_e32 v1, 0x80000000, v1
	v_or3_b32 v56, v2, v1, v0
.LBB391_281:                            ;   in Loop: Header=BB391_11 Depth=1
	s_or_b32 exec_lo, exec_lo, s23
.LBB391_282:                            ;   in Loop: Header=BB391_11 Depth=1
	s_or_b32 exec_lo, exec_lo, s22
.LBB391_283:                            ;   in Loop: Header=BB391_11 Depth=1
	s_or_b32 exec_lo, exec_lo, s6
	v_and_b32_sdwa v0, v30, v66 dst_sel:DWORD dst_unused:UNUSED_PAD src0_sel:WORD_1 src1_sel:DWORD
	s_mov_b32 s6, exec_lo
	v_cmpx_ne_u16_e32 0, v0
	s_cbranch_execz .LBB391_291
; %bb.284:                              ;   in Loop: Header=BB391_11 Depth=1
	v_bfrev_b32_e32 v57, 1
	s_mov_b32 s22, exec_lo
	v_cmpx_ne_u16_e32 0x80, v0
	s_cbranch_execz .LBB391_290
; %bb.285:                              ;   in Loop: Header=BB391_11 Depth=1
	v_bfe_u32 v1, v30, 16, 7
	v_mov_b32_e32 v57, 0x7f800001
	s_mov_b32 s23, exec_lo
	v_cmpx_ne_u32_e32 0x7f, v1
	s_cbranch_execz .LBB391_289
; %bb.286:                              ;   in Loop: Header=BB391_11 Depth=1
	v_and_b32_sdwa v18, v30, v67 dst_sel:DWORD dst_unused:UNUSED_PAD src0_sel:WORD_1 src1_sel:DWORD
	v_mov_b32_e32 v33, v19
	v_lshrrev_b32_e32 v0, 3, v1
	s_mov_b32 s24, exec_lo
	v_mov_b32_e32 v32, v18
	v_cmpx_gt_u32_e32 8, v1
; %bb.287:                              ;   in Loop: Header=BB391_11 Depth=1
	v_ffbh_u32_e32 v0, v18
	v_min_u32_e32 v0, 32, v0
	v_subrev_nc_u32_e32 v1, 28, v0
	v_sub_nc_u32_e32 v0, 29, v0
	v_lshlrev_b64 v[1:2], v1, v[18:19]
	v_and_b32_e32 v32, 7, v1
; %bb.288:                              ;   in Loop: Header=BB391_11 Depth=1
	s_or_b32 exec_lo, exec_lo, s24
	v_lshlrev_b32_sdwa v1, v68, v30 dst_sel:DWORD dst_unused:UNUSED_PAD src0_sel:DWORD src1_sel:WORD_1
	v_lshlrev_b32_e32 v2, 20, v32
	v_lshl_add_u32 v0, v0, 23, 0x3c000000
	v_and_b32_e32 v1, 0x80000000, v1
	v_or3_b32 v57, v2, v1, v0
.LBB391_289:                            ;   in Loop: Header=BB391_11 Depth=1
	s_or_b32 exec_lo, exec_lo, s23
.LBB391_290:                            ;   in Loop: Header=BB391_11 Depth=1
	s_or_b32 exec_lo, exec_lo, s22
.LBB391_291:                            ;   in Loop: Header=BB391_11 Depth=1
	s_or_b32 exec_lo, exec_lo, s6
	v_mov_b32_e32 v59, 0
	v_mov_b32_e32 v58, 0
	s_mov_b32 s6, exec_lo
	v_cmpx_lt_u32_e32 0xffffff, v30
	s_cbranch_execz .LBB391_299
; %bb.292:                              ;   in Loop: Header=BB391_11 Depth=1
	v_cmp_ne_u32_sdwa s5, v30, v55 src0_sel:BYTE_3 src1_sel:DWORD
	v_bfrev_b32_e32 v58, 1
	s_and_saveexec_b32 s22, s5
	s_cbranch_execz .LBB391_298
; %bb.293:                              ;   in Loop: Header=BB391_11 Depth=1
	v_bfe_u32 v1, v30, 24, 7
	v_mov_b32_e32 v58, 0x7f800001
	s_mov_b32 s23, exec_lo
	v_cmpx_ne_u32_e32 0x7f, v1
	s_cbranch_execz .LBB391_297
; %bb.294:                              ;   in Loop: Header=BB391_11 Depth=1
	v_and_b32_sdwa v18, v30, v67 dst_sel:DWORD dst_unused:UNUSED_PAD src0_sel:BYTE_3 src1_sel:DWORD
	v_mov_b32_e32 v33, v19
	v_lshrrev_b32_e32 v0, 3, v1
	s_mov_b32 s24, exec_lo
	v_mov_b32_e32 v32, v18
	v_cmpx_gt_u32_e32 8, v1
; %bb.295:                              ;   in Loop: Header=BB391_11 Depth=1
	v_ffbh_u32_e32 v0, v18
	v_min_u32_e32 v0, 32, v0
	v_subrev_nc_u32_e32 v1, 28, v0
	v_sub_nc_u32_e32 v0, 29, v0
	v_lshlrev_b64 v[1:2], v1, v[18:19]
	v_and_b32_e32 v32, 7, v1
; %bb.296:                              ;   in Loop: Header=BB391_11 Depth=1
	s_or_b32 exec_lo, exec_lo, s24
	v_lshlrev_b32_sdwa v1, v68, v30 dst_sel:DWORD dst_unused:UNUSED_PAD src0_sel:DWORD src1_sel:BYTE_3
	v_lshlrev_b32_e32 v2, 20, v32
	v_lshl_add_u32 v0, v0, 23, 0x3c000000
	v_and_b32_e32 v1, 0x80000000, v1
	v_or3_b32 v58, v2, v1, v0
.LBB391_297:                            ;   in Loop: Header=BB391_11 Depth=1
	s_or_b32 exec_lo, exec_lo, s23
.LBB391_298:                            ;   in Loop: Header=BB391_11 Depth=1
	s_or_b32 exec_lo, exec_lo, s22
.LBB391_299:                            ;   in Loop: Header=BB391_11 Depth=1
	s_or_b32 exec_lo, exec_lo, s6
	v_mov_b32_e32 v18, v31
	v_cmp_ne_u16_sdwa s5, v31, v19 src0_sel:BYTE_0 src1_sel:DWORD
	s_and_saveexec_b32 s6, s5
	s_cbranch_execz .LBB391_307
; %bb.300:                              ;   in Loop: Header=BB391_11 Depth=1
	v_cmp_ne_u16_sdwa s5, v31, v55 src0_sel:BYTE_0 src1_sel:DWORD
	v_bfrev_b32_e32 v59, 1
	s_and_saveexec_b32 s22, s5
	s_cbranch_execz .LBB391_306
; %bb.301:                              ;   in Loop: Header=BB391_11 Depth=1
	v_and_b32_e32 v1, 0x7f, v31
	v_mov_b32_e32 v59, 0x7f800001
	s_mov_b32 s23, exec_lo
	v_cmpx_ne_u32_e32 0x7f, v1
	s_cbranch_execz .LBB391_305
; %bb.302:                              ;   in Loop: Header=BB391_11 Depth=1
	v_mov_b32_e32 v33, v19
	v_lshrrev_b32_e32 v0, 3, v1
	v_mov_b32_e32 v32, v18
	s_mov_b32 s24, exec_lo
	v_cmpx_gt_u32_e32 8, v1
; %bb.303:                              ;   in Loop: Header=BB391_11 Depth=1
	v_and_b32_e32 v0, 7, v31
	v_ffbh_u32_e32 v0, v0
	v_min_u32_e32 v0, 32, v0
	v_subrev_nc_u32_e32 v1, 28, v0
	v_sub_nc_u32_e32 v0, 29, v0
	v_lshlrev_b64 v[32:33], v1, v[18:19]
; %bb.304:                              ;   in Loop: Header=BB391_11 Depth=1
	s_or_b32 exec_lo, exec_lo, s24
	v_lshlrev_b32_e32 v1, 20, v32
	v_lshlrev_b32_e32 v2, 24, v18
	v_lshl_add_u32 v0, v0, 23, 0x3c000000
	v_and_b32_e32 v1, 0x700000, v1
	v_and_b32_e32 v2, 0x80000000, v2
	v_or3_b32 v59, v1, v2, v0
.LBB391_305:                            ;   in Loop: Header=BB391_11 Depth=1
	s_or_b32 exec_lo, exec_lo, s23
.LBB391_306:                            ;   in Loop: Header=BB391_11 Depth=1
	s_or_b32 exec_lo, exec_lo, s22
.LBB391_307:                            ;   in Loop: Header=BB391_11 Depth=1
	s_or_b32 exec_lo, exec_lo, s6
	v_cmp_ne_u16_sdwa s5, v18, v19 src0_sel:BYTE_1 src1_sel:DWORD
	v_mov_b32_e32 v60, 0
	v_mov_b32_e32 v61, 0
	s_and_saveexec_b32 s6, s5
	s_cbranch_execz .LBB391_315
; %bb.308:                              ;   in Loop: Header=BB391_11 Depth=1
	v_cmp_ne_u16_sdwa s5, v18, v55 src0_sel:BYTE_1 src1_sel:DWORD
	v_bfrev_b32_e32 v61, 1
	s_and_saveexec_b32 s22, s5
	s_cbranch_execz .LBB391_314
; %bb.309:                              ;   in Loop: Header=BB391_11 Depth=1
	v_mov_b32_e32 v0, 0xffff
	v_mov_b32_e32 v61, 0x7f800001
	s_mov_b32 s23, exec_lo
	v_and_b32_sdwa v0, v0, v18 dst_sel:DWORD dst_unused:UNUSED_PAD src0_sel:DWORD src1_sel:BYTE_1
	v_and_b32_e32 v1, 0x7f, v0
	v_cmpx_ne_u32_e32 0x7f, v1
	s_cbranch_execz .LBB391_313
; %bb.310:                              ;   in Loop: Header=BB391_11 Depth=1
	v_and_b32_e32 v32, 7, v0
	v_mov_b32_e32 v33, v19
	v_lshrrev_b32_e32 v0, 3, v1
	s_mov_b32 s24, exec_lo
	v_cmpx_gt_u32_e32 8, v1
; %bb.311:                              ;   in Loop: Header=BB391_11 Depth=1
	v_ffbh_u32_e32 v0, v32
	v_min_u32_e32 v0, 32, v0
	v_subrev_nc_u32_e32 v1, 28, v0
	v_sub_nc_u32_e32 v0, 29, v0
	v_lshlrev_b64 v[1:2], v1, v[32:33]
	v_and_b32_e32 v32, 7, v1
; %bb.312:                              ;   in Loop: Header=BB391_11 Depth=1
	s_or_b32 exec_lo, exec_lo, s24
	v_lshlrev_b32_e32 v1, 16, v18
	v_lshlrev_b32_e32 v2, 20, v32
	v_lshl_add_u32 v0, v0, 23, 0x3c000000
	v_and_b32_e32 v1, 0x80000000, v1
	v_or3_b32 v61, v2, v1, v0
.LBB391_313:                            ;   in Loop: Header=BB391_11 Depth=1
	s_or_b32 exec_lo, exec_lo, s23
.LBB391_314:                            ;   in Loop: Header=BB391_11 Depth=1
	s_or_b32 exec_lo, exec_lo, s22
.LBB391_315:                            ;   in Loop: Header=BB391_11 Depth=1
	s_or_b32 exec_lo, exec_lo, s6
	v_and_b32_sdwa v0, v31, v66 dst_sel:DWORD dst_unused:UNUSED_PAD src0_sel:WORD_1 src1_sel:DWORD
	s_mov_b32 s6, exec_lo
	v_cmpx_ne_u16_e32 0, v0
	s_cbranch_execz .LBB391_323
; %bb.316:                              ;   in Loop: Header=BB391_11 Depth=1
	v_bfrev_b32_e32 v60, 1
	s_mov_b32 s22, exec_lo
	v_cmpx_ne_u16_e32 0x80, v0
	s_cbranch_execz .LBB391_322
; %bb.317:                              ;   in Loop: Header=BB391_11 Depth=1
	v_bfe_u32 v1, v31, 16, 7
	v_mov_b32_e32 v60, 0x7f800001
	s_mov_b32 s23, exec_lo
	v_cmpx_ne_u32_e32 0x7f, v1
	s_cbranch_execz .LBB391_321
; %bb.318:                              ;   in Loop: Header=BB391_11 Depth=1
	v_and_b32_sdwa v18, v31, v67 dst_sel:DWORD dst_unused:UNUSED_PAD src0_sel:WORD_1 src1_sel:DWORD
	v_mov_b32_e32 v33, v19
	v_lshrrev_b32_e32 v0, 3, v1
	s_mov_b32 s24, exec_lo
	v_mov_b32_e32 v32, v18
	v_cmpx_gt_u32_e32 8, v1
; %bb.319:                              ;   in Loop: Header=BB391_11 Depth=1
	v_ffbh_u32_e32 v0, v18
	v_min_u32_e32 v0, 32, v0
	v_subrev_nc_u32_e32 v1, 28, v0
	v_sub_nc_u32_e32 v0, 29, v0
	v_lshlrev_b64 v[1:2], v1, v[18:19]
	v_and_b32_e32 v32, 7, v1
; %bb.320:                              ;   in Loop: Header=BB391_11 Depth=1
	s_or_b32 exec_lo, exec_lo, s24
	v_lshlrev_b32_sdwa v1, v68, v31 dst_sel:DWORD dst_unused:UNUSED_PAD src0_sel:DWORD src1_sel:WORD_1
	v_lshlrev_b32_e32 v2, 20, v32
	v_lshl_add_u32 v0, v0, 23, 0x3c000000
	v_and_b32_e32 v1, 0x80000000, v1
	v_or3_b32 v60, v2, v1, v0
.LBB391_321:                            ;   in Loop: Header=BB391_11 Depth=1
	s_or_b32 exec_lo, exec_lo, s23
.LBB391_322:                            ;   in Loop: Header=BB391_11 Depth=1
	s_or_b32 exec_lo, exec_lo, s22
.LBB391_323:                            ;   in Loop: Header=BB391_11 Depth=1
	s_or_b32 exec_lo, exec_lo, s6
	v_mov_b32_e32 v63, 0
	v_mov_b32_e32 v62, 0
	s_mov_b32 s6, exec_lo
	v_cmpx_lt_u64_e64 s[8:9], v[30:31]
	s_cbranch_execz .LBB391_331
; %bb.324:                              ;   in Loop: Header=BB391_11 Depth=1
	v_cmp_ne_u32_sdwa s5, v31, v55 src0_sel:BYTE_3 src1_sel:DWORD
	v_bfrev_b32_e32 v62, 1
	s_and_saveexec_b32 s22, s5
	s_cbranch_execz .LBB391_330
; %bb.325:                              ;   in Loop: Header=BB391_11 Depth=1
	v_bfe_u32 v1, v31, 24, 7
	v_mov_b32_e32 v62, 0x7f800001
	s_mov_b32 s23, exec_lo
	v_cmpx_ne_u32_e32 0x7f, v1
	s_cbranch_execz .LBB391_329
; %bb.326:                              ;   in Loop: Header=BB391_11 Depth=1
	v_and_b32_sdwa v18, v31, v67 dst_sel:DWORD dst_unused:UNUSED_PAD src0_sel:BYTE_3 src1_sel:DWORD
	v_mov_b32_e32 v33, v19
	v_lshrrev_b32_e32 v0, 3, v1
	s_mov_b32 s24, exec_lo
	v_mov_b32_e32 v32, v18
	v_cmpx_gt_u32_e32 8, v1
; %bb.327:                              ;   in Loop: Header=BB391_11 Depth=1
	v_ffbh_u32_e32 v0, v18
	v_min_u32_e32 v0, 32, v0
	v_subrev_nc_u32_e32 v1, 28, v0
	v_sub_nc_u32_e32 v0, 29, v0
	v_lshlrev_b64 v[1:2], v1, v[18:19]
	v_and_b32_e32 v32, 7, v1
; %bb.328:                              ;   in Loop: Header=BB391_11 Depth=1
	s_or_b32 exec_lo, exec_lo, s24
	v_lshlrev_b32_sdwa v1, v68, v31 dst_sel:DWORD dst_unused:UNUSED_PAD src0_sel:DWORD src1_sel:BYTE_3
	v_lshlrev_b32_e32 v2, 20, v32
	v_lshl_add_u32 v0, v0, 23, 0x3c000000
	v_and_b32_e32 v1, 0x80000000, v1
	v_or3_b32 v62, v2, v1, v0
.LBB391_329:                            ;   in Loop: Header=BB391_11 Depth=1
	s_or_b32 exec_lo, exec_lo, s23
.LBB391_330:                            ;   in Loop: Header=BB391_11 Depth=1
	s_or_b32 exec_lo, exec_lo, s22
.LBB391_331:                            ;   in Loop: Header=BB391_11 Depth=1
	s_or_b32 exec_lo, exec_lo, s6
	flat_load_dwordx2 v[30:31], v[28:29] offset:1032
	s_waitcnt vmcnt(0) lgkmcnt(0)
	v_cmp_ne_u16_sdwa s5, v30, v19 src0_sel:BYTE_0 src1_sel:DWORD
	s_and_saveexec_b32 s6, s5
	s_cbranch_execz .LBB391_339
; %bb.332:                              ;   in Loop: Header=BB391_11 Depth=1
	v_cmp_ne_u16_sdwa s5, v30, v55 src0_sel:BYTE_0 src1_sel:DWORD
	v_bfrev_b32_e32 v63, 1
	s_and_saveexec_b32 s22, s5
	s_cbranch_execz .LBB391_338
; %bb.333:                              ;   in Loop: Header=BB391_11 Depth=1
	v_and_b32_e32 v1, 0x7f, v30
	v_mov_b32_e32 v63, 0x7f800001
	s_mov_b32 s23, exec_lo
	v_cmpx_ne_u32_e32 0x7f, v1
	s_cbranch_execz .LBB391_337
; %bb.334:                              ;   in Loop: Header=BB391_11 Depth=1
	v_mov_b32_e32 v33, v31
	v_lshrrev_b32_e32 v0, 3, v1
	v_mov_b32_e32 v32, v30
	s_mov_b32 s24, exec_lo
	v_cmpx_gt_u32_e32 8, v1
; %bb.335:                              ;   in Loop: Header=BB391_11 Depth=1
	v_and_b32_e32 v0, 7, v30
	v_ffbh_u32_e32 v0, v0
	v_min_u32_e32 v0, 32, v0
	v_subrev_nc_u32_e32 v1, 28, v0
	v_sub_nc_u32_e32 v0, 29, v0
	v_lshlrev_b64 v[32:33], v1, v[30:31]
; %bb.336:                              ;   in Loop: Header=BB391_11 Depth=1
	s_or_b32 exec_lo, exec_lo, s24
	v_lshlrev_b32_e32 v1, 20, v32
	v_lshlrev_b32_e32 v2, 24, v30
	v_lshl_add_u32 v0, v0, 23, 0x3c000000
	v_and_b32_e32 v1, 0x700000, v1
	v_and_b32_e32 v2, 0x80000000, v2
	v_or3_b32 v63, v1, v2, v0
.LBB391_337:                            ;   in Loop: Header=BB391_11 Depth=1
	s_or_b32 exec_lo, exec_lo, s23
.LBB391_338:                            ;   in Loop: Header=BB391_11 Depth=1
	s_or_b32 exec_lo, exec_lo, s22
.LBB391_339:                            ;   in Loop: Header=BB391_11 Depth=1
	s_or_b32 exec_lo, exec_lo, s6
	v_cmp_ne_u16_sdwa s5, v30, v19 src0_sel:BYTE_1 src1_sel:DWORD
	v_mov_b32_e32 v73, 0
	v_mov_b32_e32 v72, 0
	s_and_saveexec_b32 s6, s5
	s_cbranch_execz .LBB391_347
; %bb.340:                              ;   in Loop: Header=BB391_11 Depth=1
	v_cmp_ne_u16_sdwa s5, v30, v55 src0_sel:BYTE_1 src1_sel:DWORD
	v_bfrev_b32_e32 v72, 1
	s_and_saveexec_b32 s22, s5
	s_cbranch_execz .LBB391_346
; %bb.341:                              ;   in Loop: Header=BB391_11 Depth=1
	v_mov_b32_e32 v0, 0xffff
	v_mov_b32_e32 v72, 0x7f800001
	s_mov_b32 s23, exec_lo
	v_and_b32_sdwa v0, v0, v30 dst_sel:DWORD dst_unused:UNUSED_PAD src0_sel:DWORD src1_sel:BYTE_1
	v_and_b32_e32 v1, 0x7f, v0
	v_cmpx_ne_u32_e32 0x7f, v1
	s_cbranch_execz .LBB391_345
; %bb.342:                              ;   in Loop: Header=BB391_11 Depth=1
	v_and_b32_e32 v18, 7, v0
	v_mov_b32_e32 v33, v19
	v_lshrrev_b32_e32 v0, 3, v1
	s_mov_b32 s24, exec_lo
	v_mov_b32_e32 v32, v18
	v_cmpx_gt_u32_e32 8, v1
; %bb.343:                              ;   in Loop: Header=BB391_11 Depth=1
	v_ffbh_u32_e32 v0, v18
	v_min_u32_e32 v0, 32, v0
	v_subrev_nc_u32_e32 v1, 28, v0
	v_sub_nc_u32_e32 v0, 29, v0
	v_lshlrev_b64 v[1:2], v1, v[18:19]
	v_and_b32_e32 v32, 7, v1
; %bb.344:                              ;   in Loop: Header=BB391_11 Depth=1
	s_or_b32 exec_lo, exec_lo, s24
	v_lshlrev_b32_e32 v1, 16, v30
	v_lshlrev_b32_e32 v2, 20, v32
	v_lshl_add_u32 v0, v0, 23, 0x3c000000
	v_and_b32_e32 v1, 0x80000000, v1
	v_or3_b32 v72, v2, v1, v0
.LBB391_345:                            ;   in Loop: Header=BB391_11 Depth=1
	s_or_b32 exec_lo, exec_lo, s23
.LBB391_346:                            ;   in Loop: Header=BB391_11 Depth=1
	s_or_b32 exec_lo, exec_lo, s22
.LBB391_347:                            ;   in Loop: Header=BB391_11 Depth=1
	s_or_b32 exec_lo, exec_lo, s6
	v_and_b32_sdwa v0, v30, v66 dst_sel:DWORD dst_unused:UNUSED_PAD src0_sel:WORD_1 src1_sel:DWORD
	s_mov_b32 s6, exec_lo
	v_cmpx_ne_u16_e32 0, v0
	s_cbranch_execz .LBB391_355
; %bb.348:                              ;   in Loop: Header=BB391_11 Depth=1
	v_bfrev_b32_e32 v73, 1
	s_mov_b32 s22, exec_lo
	v_cmpx_ne_u16_e32 0x80, v0
	s_cbranch_execz .LBB391_354
; %bb.349:                              ;   in Loop: Header=BB391_11 Depth=1
	v_bfe_u32 v1, v30, 16, 7
	v_mov_b32_e32 v73, 0x7f800001
	s_mov_b32 s23, exec_lo
	v_cmpx_ne_u32_e32 0x7f, v1
	s_cbranch_execz .LBB391_353
; %bb.350:                              ;   in Loop: Header=BB391_11 Depth=1
	v_and_b32_sdwa v18, v30, v67 dst_sel:DWORD dst_unused:UNUSED_PAD src0_sel:WORD_1 src1_sel:DWORD
	v_mov_b32_e32 v33, v19
	v_lshrrev_b32_e32 v0, 3, v1
	s_mov_b32 s24, exec_lo
	v_mov_b32_e32 v32, v18
	v_cmpx_gt_u32_e32 8, v1
; %bb.351:                              ;   in Loop: Header=BB391_11 Depth=1
	v_ffbh_u32_e32 v0, v18
	v_min_u32_e32 v0, 32, v0
	v_subrev_nc_u32_e32 v1, 28, v0
	v_sub_nc_u32_e32 v0, 29, v0
	v_lshlrev_b64 v[1:2], v1, v[18:19]
	v_and_b32_e32 v32, 7, v1
; %bb.352:                              ;   in Loop: Header=BB391_11 Depth=1
	s_or_b32 exec_lo, exec_lo, s24
	v_lshlrev_b32_sdwa v1, v68, v30 dst_sel:DWORD dst_unused:UNUSED_PAD src0_sel:DWORD src1_sel:WORD_1
	v_lshlrev_b32_e32 v2, 20, v32
	v_lshl_add_u32 v0, v0, 23, 0x3c000000
	v_and_b32_e32 v1, 0x80000000, v1
	v_or3_b32 v73, v2, v1, v0
.LBB391_353:                            ;   in Loop: Header=BB391_11 Depth=1
	s_or_b32 exec_lo, exec_lo, s23
.LBB391_354:                            ;   in Loop: Header=BB391_11 Depth=1
	s_or_b32 exec_lo, exec_lo, s22
.LBB391_355:                            ;   in Loop: Header=BB391_11 Depth=1
	s_or_b32 exec_lo, exec_lo, s6
	v_mov_b32_e32 v75, 0
	v_mov_b32_e32 v74, 0
	s_mov_b32 s6, exec_lo
	v_cmpx_lt_u32_e32 0xffffff, v30
	s_cbranch_execz .LBB391_363
; %bb.356:                              ;   in Loop: Header=BB391_11 Depth=1
	v_cmp_ne_u32_sdwa s5, v30, v55 src0_sel:BYTE_3 src1_sel:DWORD
	v_bfrev_b32_e32 v74, 1
	s_and_saveexec_b32 s22, s5
	s_cbranch_execz .LBB391_362
; %bb.357:                              ;   in Loop: Header=BB391_11 Depth=1
	v_bfe_u32 v1, v30, 24, 7
	v_mov_b32_e32 v74, 0x7f800001
	s_mov_b32 s23, exec_lo
	v_cmpx_ne_u32_e32 0x7f, v1
	s_cbranch_execz .LBB391_361
; %bb.358:                              ;   in Loop: Header=BB391_11 Depth=1
	v_and_b32_sdwa v18, v30, v67 dst_sel:DWORD dst_unused:UNUSED_PAD src0_sel:BYTE_3 src1_sel:DWORD
	v_mov_b32_e32 v33, v19
	v_lshrrev_b32_e32 v0, 3, v1
	s_mov_b32 s24, exec_lo
	v_mov_b32_e32 v32, v18
	v_cmpx_gt_u32_e32 8, v1
; %bb.359:                              ;   in Loop: Header=BB391_11 Depth=1
	v_ffbh_u32_e32 v0, v18
	v_min_u32_e32 v0, 32, v0
	v_subrev_nc_u32_e32 v1, 28, v0
	v_sub_nc_u32_e32 v0, 29, v0
	v_lshlrev_b64 v[1:2], v1, v[18:19]
	v_and_b32_e32 v32, 7, v1
; %bb.360:                              ;   in Loop: Header=BB391_11 Depth=1
	s_or_b32 exec_lo, exec_lo, s24
	v_lshlrev_b32_sdwa v1, v68, v30 dst_sel:DWORD dst_unused:UNUSED_PAD src0_sel:DWORD src1_sel:BYTE_3
	v_lshlrev_b32_e32 v2, 20, v32
	v_lshl_add_u32 v0, v0, 23, 0x3c000000
	v_and_b32_e32 v1, 0x80000000, v1
	v_or3_b32 v74, v2, v1, v0
.LBB391_361:                            ;   in Loop: Header=BB391_11 Depth=1
	s_or_b32 exec_lo, exec_lo, s23
.LBB391_362:                            ;   in Loop: Header=BB391_11 Depth=1
	s_or_b32 exec_lo, exec_lo, s22
.LBB391_363:                            ;   in Loop: Header=BB391_11 Depth=1
	s_or_b32 exec_lo, exec_lo, s6
	v_mov_b32_e32 v18, v31
	v_cmp_ne_u16_sdwa s5, v31, v19 src0_sel:BYTE_0 src1_sel:DWORD
	s_and_saveexec_b32 s6, s5
	s_cbranch_execz .LBB391_371
; %bb.364:                              ;   in Loop: Header=BB391_11 Depth=1
	v_cmp_ne_u16_sdwa s5, v31, v55 src0_sel:BYTE_0 src1_sel:DWORD
	v_bfrev_b32_e32 v75, 1
	s_and_saveexec_b32 s22, s5
	s_cbranch_execz .LBB391_370
; %bb.365:                              ;   in Loop: Header=BB391_11 Depth=1
	v_and_b32_e32 v1, 0x7f, v31
	v_mov_b32_e32 v75, 0x7f800001
	s_mov_b32 s23, exec_lo
	v_cmpx_ne_u32_e32 0x7f, v1
	s_cbranch_execz .LBB391_369
; %bb.366:                              ;   in Loop: Header=BB391_11 Depth=1
	v_mov_b32_e32 v33, v19
	v_lshrrev_b32_e32 v0, 3, v1
	v_mov_b32_e32 v32, v18
	s_mov_b32 s24, exec_lo
	v_cmpx_gt_u32_e32 8, v1
; %bb.367:                              ;   in Loop: Header=BB391_11 Depth=1
	v_and_b32_e32 v0, 7, v31
	v_ffbh_u32_e32 v0, v0
	v_min_u32_e32 v0, 32, v0
	v_subrev_nc_u32_e32 v1, 28, v0
	v_sub_nc_u32_e32 v0, 29, v0
	v_lshlrev_b64 v[32:33], v1, v[18:19]
; %bb.368:                              ;   in Loop: Header=BB391_11 Depth=1
	s_or_b32 exec_lo, exec_lo, s24
	v_lshlrev_b32_e32 v1, 20, v32
	v_lshlrev_b32_e32 v2, 24, v18
	v_lshl_add_u32 v0, v0, 23, 0x3c000000
	v_and_b32_e32 v1, 0x700000, v1
	v_and_b32_e32 v2, 0x80000000, v2
	v_or3_b32 v75, v1, v2, v0
.LBB391_369:                            ;   in Loop: Header=BB391_11 Depth=1
	s_or_b32 exec_lo, exec_lo, s23
.LBB391_370:                            ;   in Loop: Header=BB391_11 Depth=1
	s_or_b32 exec_lo, exec_lo, s22
.LBB391_371:                            ;   in Loop: Header=BB391_11 Depth=1
	s_or_b32 exec_lo, exec_lo, s6
	v_cmp_ne_u16_sdwa s5, v18, v19 src0_sel:BYTE_1 src1_sel:DWORD
	v_mov_b32_e32 v76, 0
	v_mov_b32_e32 v77, 0
	s_and_saveexec_b32 s6, s5
	s_cbranch_execz .LBB391_379
; %bb.372:                              ;   in Loop: Header=BB391_11 Depth=1
	v_cmp_ne_u16_sdwa s5, v18, v55 src0_sel:BYTE_1 src1_sel:DWORD
	v_bfrev_b32_e32 v77, 1
	s_and_saveexec_b32 s22, s5
	s_cbranch_execz .LBB391_378
; %bb.373:                              ;   in Loop: Header=BB391_11 Depth=1
	v_mov_b32_e32 v0, 0xffff
	v_mov_b32_e32 v77, 0x7f800001
	s_mov_b32 s23, exec_lo
	v_and_b32_sdwa v0, v0, v18 dst_sel:DWORD dst_unused:UNUSED_PAD src0_sel:DWORD src1_sel:BYTE_1
	v_and_b32_e32 v1, 0x7f, v0
	v_cmpx_ne_u32_e32 0x7f, v1
	s_cbranch_execz .LBB391_377
; %bb.374:                              ;   in Loop: Header=BB391_11 Depth=1
	v_and_b32_e32 v32, 7, v0
	v_mov_b32_e32 v33, v19
	v_lshrrev_b32_e32 v0, 3, v1
	s_mov_b32 s24, exec_lo
	v_cmpx_gt_u32_e32 8, v1
; %bb.375:                              ;   in Loop: Header=BB391_11 Depth=1
	v_ffbh_u32_e32 v0, v32
	v_min_u32_e32 v0, 32, v0
	v_subrev_nc_u32_e32 v1, 28, v0
	v_sub_nc_u32_e32 v0, 29, v0
	v_lshlrev_b64 v[1:2], v1, v[32:33]
	v_and_b32_e32 v32, 7, v1
; %bb.376:                              ;   in Loop: Header=BB391_11 Depth=1
	s_or_b32 exec_lo, exec_lo, s24
	v_lshlrev_b32_e32 v1, 16, v18
	v_lshlrev_b32_e32 v2, 20, v32
	v_lshl_add_u32 v0, v0, 23, 0x3c000000
	v_and_b32_e32 v1, 0x80000000, v1
	v_or3_b32 v77, v2, v1, v0
.LBB391_377:                            ;   in Loop: Header=BB391_11 Depth=1
	s_or_b32 exec_lo, exec_lo, s23
.LBB391_378:                            ;   in Loop: Header=BB391_11 Depth=1
	s_or_b32 exec_lo, exec_lo, s22
.LBB391_379:                            ;   in Loop: Header=BB391_11 Depth=1
	s_or_b32 exec_lo, exec_lo, s6
	v_and_b32_sdwa v0, v31, v66 dst_sel:DWORD dst_unused:UNUSED_PAD src0_sel:WORD_1 src1_sel:DWORD
	s_mov_b32 s6, exec_lo
	v_cmpx_ne_u16_e32 0, v0
	s_cbranch_execz .LBB391_387
; %bb.380:                              ;   in Loop: Header=BB391_11 Depth=1
	v_bfrev_b32_e32 v76, 1
	s_mov_b32 s22, exec_lo
	v_cmpx_ne_u16_e32 0x80, v0
	s_cbranch_execz .LBB391_386
; %bb.381:                              ;   in Loop: Header=BB391_11 Depth=1
	v_bfe_u32 v1, v31, 16, 7
	v_mov_b32_e32 v76, 0x7f800001
	s_mov_b32 s23, exec_lo
	v_cmpx_ne_u32_e32 0x7f, v1
	s_cbranch_execz .LBB391_385
; %bb.382:                              ;   in Loop: Header=BB391_11 Depth=1
	v_and_b32_sdwa v18, v31, v67 dst_sel:DWORD dst_unused:UNUSED_PAD src0_sel:WORD_1 src1_sel:DWORD
	v_mov_b32_e32 v33, v19
	v_lshrrev_b32_e32 v0, 3, v1
	s_mov_b32 s24, exec_lo
	v_mov_b32_e32 v32, v18
	v_cmpx_gt_u32_e32 8, v1
; %bb.383:                              ;   in Loop: Header=BB391_11 Depth=1
	v_ffbh_u32_e32 v0, v18
	v_min_u32_e32 v0, 32, v0
	v_subrev_nc_u32_e32 v1, 28, v0
	v_sub_nc_u32_e32 v0, 29, v0
	v_lshlrev_b64 v[1:2], v1, v[18:19]
	v_and_b32_e32 v32, 7, v1
; %bb.384:                              ;   in Loop: Header=BB391_11 Depth=1
	s_or_b32 exec_lo, exec_lo, s24
	v_lshlrev_b32_sdwa v1, v68, v31 dst_sel:DWORD dst_unused:UNUSED_PAD src0_sel:DWORD src1_sel:WORD_1
	v_lshlrev_b32_e32 v2, 20, v32
	v_lshl_add_u32 v0, v0, 23, 0x3c000000
	v_and_b32_e32 v1, 0x80000000, v1
	v_or3_b32 v76, v2, v1, v0
.LBB391_385:                            ;   in Loop: Header=BB391_11 Depth=1
	s_or_b32 exec_lo, exec_lo, s23
.LBB391_386:                            ;   in Loop: Header=BB391_11 Depth=1
	s_or_b32 exec_lo, exec_lo, s22
.LBB391_387:                            ;   in Loop: Header=BB391_11 Depth=1
	s_or_b32 exec_lo, exec_lo, s6
	v_mov_b32_e32 v79, 0
	v_mov_b32_e32 v78, 0
	s_mov_b32 s6, exec_lo
	v_cmpx_lt_u64_e64 s[8:9], v[30:31]
	s_cbranch_execz .LBB391_395
; %bb.388:                              ;   in Loop: Header=BB391_11 Depth=1
	v_cmp_ne_u32_sdwa s5, v31, v55 src0_sel:BYTE_3 src1_sel:DWORD
	v_bfrev_b32_e32 v78, 1
	s_and_saveexec_b32 s22, s5
	s_cbranch_execz .LBB391_394
; %bb.389:                              ;   in Loop: Header=BB391_11 Depth=1
	v_bfe_u32 v1, v31, 24, 7
	v_mov_b32_e32 v78, 0x7f800001
	s_mov_b32 s23, exec_lo
	v_cmpx_ne_u32_e32 0x7f, v1
	s_cbranch_execz .LBB391_393
; %bb.390:                              ;   in Loop: Header=BB391_11 Depth=1
	v_and_b32_sdwa v18, v31, v67 dst_sel:DWORD dst_unused:UNUSED_PAD src0_sel:BYTE_3 src1_sel:DWORD
	v_mov_b32_e32 v33, v19
	v_lshrrev_b32_e32 v0, 3, v1
	s_mov_b32 s24, exec_lo
	v_mov_b32_e32 v32, v18
	v_cmpx_gt_u32_e32 8, v1
; %bb.391:                              ;   in Loop: Header=BB391_11 Depth=1
	v_ffbh_u32_e32 v0, v18
	v_min_u32_e32 v0, 32, v0
	v_subrev_nc_u32_e32 v1, 28, v0
	v_sub_nc_u32_e32 v0, 29, v0
	v_lshlrev_b64 v[1:2], v1, v[18:19]
	v_and_b32_e32 v32, 7, v1
; %bb.392:                              ;   in Loop: Header=BB391_11 Depth=1
	s_or_b32 exec_lo, exec_lo, s24
	v_lshlrev_b32_sdwa v1, v68, v31 dst_sel:DWORD dst_unused:UNUSED_PAD src0_sel:DWORD src1_sel:BYTE_3
	v_lshlrev_b32_e32 v2, 20, v32
	v_lshl_add_u32 v0, v0, 23, 0x3c000000
	v_and_b32_e32 v1, 0x80000000, v1
	v_or3_b32 v78, v2, v1, v0
.LBB391_393:                            ;   in Loop: Header=BB391_11 Depth=1
	s_or_b32 exec_lo, exec_lo, s23
.LBB391_394:                            ;   in Loop: Header=BB391_11 Depth=1
	s_or_b32 exec_lo, exec_lo, s22
.LBB391_395:                            ;   in Loop: Header=BB391_11 Depth=1
	s_or_b32 exec_lo, exec_lo, s6
	flat_load_dwordx2 v[30:31], v[28:29] offset:1536
	s_waitcnt vmcnt(0) lgkmcnt(0)
	v_cmp_ne_u16_sdwa s5, v30, v19 src0_sel:BYTE_0 src1_sel:DWORD
	s_and_saveexec_b32 s6, s5
	s_cbranch_execz .LBB391_403
; %bb.396:                              ;   in Loop: Header=BB391_11 Depth=1
	v_cmp_ne_u16_sdwa s5, v30, v55 src0_sel:BYTE_0 src1_sel:DWORD
	v_bfrev_b32_e32 v79, 1
	s_and_saveexec_b32 s22, s5
	s_cbranch_execz .LBB391_402
; %bb.397:                              ;   in Loop: Header=BB391_11 Depth=1
	v_and_b32_e32 v1, 0x7f, v30
	v_mov_b32_e32 v79, 0x7f800001
	s_mov_b32 s23, exec_lo
	v_cmpx_ne_u32_e32 0x7f, v1
	s_cbranch_execz .LBB391_401
; %bb.398:                              ;   in Loop: Header=BB391_11 Depth=1
	v_mov_b32_e32 v33, v31
	v_lshrrev_b32_e32 v0, 3, v1
	v_mov_b32_e32 v32, v30
	s_mov_b32 s24, exec_lo
	v_cmpx_gt_u32_e32 8, v1
; %bb.399:                              ;   in Loop: Header=BB391_11 Depth=1
	v_and_b32_e32 v0, 7, v30
	v_ffbh_u32_e32 v0, v0
	v_min_u32_e32 v0, 32, v0
	v_subrev_nc_u32_e32 v1, 28, v0
	v_sub_nc_u32_e32 v0, 29, v0
	v_lshlrev_b64 v[32:33], v1, v[30:31]
; %bb.400:                              ;   in Loop: Header=BB391_11 Depth=1
	s_or_b32 exec_lo, exec_lo, s24
	v_lshlrev_b32_e32 v1, 20, v32
	v_lshlrev_b32_e32 v2, 24, v30
	v_lshl_add_u32 v0, v0, 23, 0x3c000000
	v_and_b32_e32 v1, 0x700000, v1
	v_and_b32_e32 v2, 0x80000000, v2
	v_or3_b32 v79, v1, v2, v0
.LBB391_401:                            ;   in Loop: Header=BB391_11 Depth=1
	s_or_b32 exec_lo, exec_lo, s23
.LBB391_402:                            ;   in Loop: Header=BB391_11 Depth=1
	s_or_b32 exec_lo, exec_lo, s22
.LBB391_403:                            ;   in Loop: Header=BB391_11 Depth=1
	s_or_b32 exec_lo, exec_lo, s6
	v_cmp_ne_u16_sdwa s5, v30, v19 src0_sel:BYTE_1 src1_sel:DWORD
	v_mov_b32_e32 v89, 0
	v_mov_b32_e32 v88, 0
	s_and_saveexec_b32 s6, s5
	s_cbranch_execz .LBB391_411
; %bb.404:                              ;   in Loop: Header=BB391_11 Depth=1
	v_cmp_ne_u16_sdwa s5, v30, v55 src0_sel:BYTE_1 src1_sel:DWORD
	v_bfrev_b32_e32 v88, 1
	s_and_saveexec_b32 s22, s5
	s_cbranch_execz .LBB391_410
; %bb.405:                              ;   in Loop: Header=BB391_11 Depth=1
	v_mov_b32_e32 v0, 0xffff
	v_mov_b32_e32 v88, 0x7f800001
	s_mov_b32 s23, exec_lo
	v_and_b32_sdwa v0, v0, v30 dst_sel:DWORD dst_unused:UNUSED_PAD src0_sel:DWORD src1_sel:BYTE_1
	v_and_b32_e32 v1, 0x7f, v0
	v_cmpx_ne_u32_e32 0x7f, v1
	s_cbranch_execz .LBB391_409
; %bb.406:                              ;   in Loop: Header=BB391_11 Depth=1
	v_and_b32_e32 v18, 7, v0
	v_mov_b32_e32 v33, v19
	v_lshrrev_b32_e32 v0, 3, v1
	s_mov_b32 s24, exec_lo
	v_mov_b32_e32 v32, v18
	v_cmpx_gt_u32_e32 8, v1
; %bb.407:                              ;   in Loop: Header=BB391_11 Depth=1
	v_ffbh_u32_e32 v0, v18
	v_min_u32_e32 v0, 32, v0
	v_subrev_nc_u32_e32 v1, 28, v0
	v_sub_nc_u32_e32 v0, 29, v0
	v_lshlrev_b64 v[1:2], v1, v[18:19]
	v_and_b32_e32 v32, 7, v1
; %bb.408:                              ;   in Loop: Header=BB391_11 Depth=1
	s_or_b32 exec_lo, exec_lo, s24
	v_lshlrev_b32_e32 v1, 16, v30
	v_lshlrev_b32_e32 v2, 20, v32
	v_lshl_add_u32 v0, v0, 23, 0x3c000000
	v_and_b32_e32 v1, 0x80000000, v1
	v_or3_b32 v88, v2, v1, v0
.LBB391_409:                            ;   in Loop: Header=BB391_11 Depth=1
	s_or_b32 exec_lo, exec_lo, s23
.LBB391_410:                            ;   in Loop: Header=BB391_11 Depth=1
	s_or_b32 exec_lo, exec_lo, s22
.LBB391_411:                            ;   in Loop: Header=BB391_11 Depth=1
	s_or_b32 exec_lo, exec_lo, s6
	v_and_b32_sdwa v0, v30, v66 dst_sel:DWORD dst_unused:UNUSED_PAD src0_sel:WORD_1 src1_sel:DWORD
	s_mov_b32 s6, exec_lo
	v_cmpx_ne_u16_e32 0, v0
	s_cbranch_execz .LBB391_419
; %bb.412:                              ;   in Loop: Header=BB391_11 Depth=1
	v_bfrev_b32_e32 v89, 1
	s_mov_b32 s22, exec_lo
	v_cmpx_ne_u16_e32 0x80, v0
	s_cbranch_execz .LBB391_418
; %bb.413:                              ;   in Loop: Header=BB391_11 Depth=1
	v_bfe_u32 v1, v30, 16, 7
	v_mov_b32_e32 v89, 0x7f800001
	s_mov_b32 s23, exec_lo
	v_cmpx_ne_u32_e32 0x7f, v1
	s_cbranch_execz .LBB391_417
; %bb.414:                              ;   in Loop: Header=BB391_11 Depth=1
	v_and_b32_sdwa v18, v30, v67 dst_sel:DWORD dst_unused:UNUSED_PAD src0_sel:WORD_1 src1_sel:DWORD
	v_mov_b32_e32 v33, v19
	v_lshrrev_b32_e32 v0, 3, v1
	s_mov_b32 s24, exec_lo
	v_mov_b32_e32 v32, v18
	v_cmpx_gt_u32_e32 8, v1
; %bb.415:                              ;   in Loop: Header=BB391_11 Depth=1
	v_ffbh_u32_e32 v0, v18
	v_min_u32_e32 v0, 32, v0
	v_subrev_nc_u32_e32 v1, 28, v0
	v_sub_nc_u32_e32 v0, 29, v0
	v_lshlrev_b64 v[1:2], v1, v[18:19]
	v_and_b32_e32 v32, 7, v1
; %bb.416:                              ;   in Loop: Header=BB391_11 Depth=1
	s_or_b32 exec_lo, exec_lo, s24
	v_lshlrev_b32_sdwa v1, v68, v30 dst_sel:DWORD dst_unused:UNUSED_PAD src0_sel:DWORD src1_sel:WORD_1
	v_lshlrev_b32_e32 v2, 20, v32
	v_lshl_add_u32 v0, v0, 23, 0x3c000000
	v_and_b32_e32 v1, 0x80000000, v1
	v_or3_b32 v89, v2, v1, v0
.LBB391_417:                            ;   in Loop: Header=BB391_11 Depth=1
	s_or_b32 exec_lo, exec_lo, s23
.LBB391_418:                            ;   in Loop: Header=BB391_11 Depth=1
	s_or_b32 exec_lo, exec_lo, s22
.LBB391_419:                            ;   in Loop: Header=BB391_11 Depth=1
	s_or_b32 exec_lo, exec_lo, s6
	v_mov_b32_e32 v91, 0
	v_mov_b32_e32 v90, 0
	s_mov_b32 s6, exec_lo
	v_cmpx_lt_u32_e32 0xffffff, v30
	s_cbranch_execz .LBB391_427
; %bb.420:                              ;   in Loop: Header=BB391_11 Depth=1
	v_cmp_ne_u32_sdwa s5, v30, v55 src0_sel:BYTE_3 src1_sel:DWORD
	v_bfrev_b32_e32 v90, 1
	s_and_saveexec_b32 s22, s5
	s_cbranch_execz .LBB391_426
; %bb.421:                              ;   in Loop: Header=BB391_11 Depth=1
	v_bfe_u32 v1, v30, 24, 7
	v_mov_b32_e32 v90, 0x7f800001
	s_mov_b32 s23, exec_lo
	v_cmpx_ne_u32_e32 0x7f, v1
	s_cbranch_execz .LBB391_425
; %bb.422:                              ;   in Loop: Header=BB391_11 Depth=1
	v_and_b32_sdwa v18, v30, v67 dst_sel:DWORD dst_unused:UNUSED_PAD src0_sel:BYTE_3 src1_sel:DWORD
	v_mov_b32_e32 v33, v19
	v_lshrrev_b32_e32 v0, 3, v1
	s_mov_b32 s24, exec_lo
	v_mov_b32_e32 v32, v18
	v_cmpx_gt_u32_e32 8, v1
; %bb.423:                              ;   in Loop: Header=BB391_11 Depth=1
	v_ffbh_u32_e32 v0, v18
	v_min_u32_e32 v0, 32, v0
	v_subrev_nc_u32_e32 v1, 28, v0
	v_sub_nc_u32_e32 v0, 29, v0
	v_lshlrev_b64 v[1:2], v1, v[18:19]
	v_and_b32_e32 v32, 7, v1
; %bb.424:                              ;   in Loop: Header=BB391_11 Depth=1
	s_or_b32 exec_lo, exec_lo, s24
	v_lshlrev_b32_sdwa v1, v68, v30 dst_sel:DWORD dst_unused:UNUSED_PAD src0_sel:DWORD src1_sel:BYTE_3
	v_lshlrev_b32_e32 v2, 20, v32
	v_lshl_add_u32 v0, v0, 23, 0x3c000000
	v_and_b32_e32 v1, 0x80000000, v1
	v_or3_b32 v90, v2, v1, v0
.LBB391_425:                            ;   in Loop: Header=BB391_11 Depth=1
	s_or_b32 exec_lo, exec_lo, s23
.LBB391_426:                            ;   in Loop: Header=BB391_11 Depth=1
	s_or_b32 exec_lo, exec_lo, s22
.LBB391_427:                            ;   in Loop: Header=BB391_11 Depth=1
	s_or_b32 exec_lo, exec_lo, s6
	v_mov_b32_e32 v18, v31
	v_cmp_ne_u16_sdwa s5, v31, v19 src0_sel:BYTE_0 src1_sel:DWORD
	s_and_saveexec_b32 s6, s5
	s_cbranch_execz .LBB391_435
; %bb.428:                              ;   in Loop: Header=BB391_11 Depth=1
	v_cmp_ne_u16_sdwa s5, v31, v55 src0_sel:BYTE_0 src1_sel:DWORD
	v_bfrev_b32_e32 v91, 1
	s_and_saveexec_b32 s22, s5
	s_cbranch_execz .LBB391_434
; %bb.429:                              ;   in Loop: Header=BB391_11 Depth=1
	v_and_b32_e32 v1, 0x7f, v31
	v_mov_b32_e32 v91, 0x7f800001
	s_mov_b32 s23, exec_lo
	v_cmpx_ne_u32_e32 0x7f, v1
	s_cbranch_execz .LBB391_433
; %bb.430:                              ;   in Loop: Header=BB391_11 Depth=1
	v_mov_b32_e32 v33, v19
	v_lshrrev_b32_e32 v0, 3, v1
	v_mov_b32_e32 v32, v18
	s_mov_b32 s24, exec_lo
	v_cmpx_gt_u32_e32 8, v1
; %bb.431:                              ;   in Loop: Header=BB391_11 Depth=1
	v_and_b32_e32 v0, 7, v31
	v_ffbh_u32_e32 v0, v0
	v_min_u32_e32 v0, 32, v0
	v_subrev_nc_u32_e32 v1, 28, v0
	v_sub_nc_u32_e32 v0, 29, v0
	v_lshlrev_b64 v[32:33], v1, v[18:19]
; %bb.432:                              ;   in Loop: Header=BB391_11 Depth=1
	s_or_b32 exec_lo, exec_lo, s24
	v_lshlrev_b32_e32 v1, 20, v32
	v_lshlrev_b32_e32 v2, 24, v18
	v_lshl_add_u32 v0, v0, 23, 0x3c000000
	v_and_b32_e32 v1, 0x700000, v1
	v_and_b32_e32 v2, 0x80000000, v2
	v_or3_b32 v91, v1, v2, v0
.LBB391_433:                            ;   in Loop: Header=BB391_11 Depth=1
	s_or_b32 exec_lo, exec_lo, s23
.LBB391_434:                            ;   in Loop: Header=BB391_11 Depth=1
	s_or_b32 exec_lo, exec_lo, s22
.LBB391_435:                            ;   in Loop: Header=BB391_11 Depth=1
	s_or_b32 exec_lo, exec_lo, s6
	v_cmp_ne_u16_sdwa s5, v18, v19 src0_sel:BYTE_1 src1_sel:DWORD
	v_mov_b32_e32 v92, 0
	v_mov_b32_e32 v93, 0
	s_and_saveexec_b32 s6, s5
	s_cbranch_execz .LBB391_443
; %bb.436:                              ;   in Loop: Header=BB391_11 Depth=1
	v_cmp_ne_u16_sdwa s5, v18, v55 src0_sel:BYTE_1 src1_sel:DWORD
	v_bfrev_b32_e32 v93, 1
	s_and_saveexec_b32 s22, s5
	s_cbranch_execz .LBB391_442
; %bb.437:                              ;   in Loop: Header=BB391_11 Depth=1
	v_mov_b32_e32 v0, 0xffff
	v_mov_b32_e32 v93, 0x7f800001
	s_mov_b32 s23, exec_lo
	v_and_b32_sdwa v0, v0, v18 dst_sel:DWORD dst_unused:UNUSED_PAD src0_sel:DWORD src1_sel:BYTE_1
	v_and_b32_e32 v1, 0x7f, v0
	v_cmpx_ne_u32_e32 0x7f, v1
	s_cbranch_execz .LBB391_441
; %bb.438:                              ;   in Loop: Header=BB391_11 Depth=1
	v_and_b32_e32 v32, 7, v0
	v_mov_b32_e32 v33, v19
	v_lshrrev_b32_e32 v0, 3, v1
	s_mov_b32 s24, exec_lo
	v_cmpx_gt_u32_e32 8, v1
; %bb.439:                              ;   in Loop: Header=BB391_11 Depth=1
	v_ffbh_u32_e32 v0, v32
	v_min_u32_e32 v0, 32, v0
	v_subrev_nc_u32_e32 v1, 28, v0
	v_sub_nc_u32_e32 v0, 29, v0
	v_lshlrev_b64 v[1:2], v1, v[32:33]
	v_and_b32_e32 v32, 7, v1
; %bb.440:                              ;   in Loop: Header=BB391_11 Depth=1
	s_or_b32 exec_lo, exec_lo, s24
	v_lshlrev_b32_e32 v1, 16, v18
	v_lshlrev_b32_e32 v2, 20, v32
	v_lshl_add_u32 v0, v0, 23, 0x3c000000
	v_and_b32_e32 v1, 0x80000000, v1
	v_or3_b32 v93, v2, v1, v0
.LBB391_441:                            ;   in Loop: Header=BB391_11 Depth=1
	s_or_b32 exec_lo, exec_lo, s23
.LBB391_442:                            ;   in Loop: Header=BB391_11 Depth=1
	s_or_b32 exec_lo, exec_lo, s22
.LBB391_443:                            ;   in Loop: Header=BB391_11 Depth=1
	s_or_b32 exec_lo, exec_lo, s6
	v_and_b32_sdwa v0, v31, v66 dst_sel:DWORD dst_unused:UNUSED_PAD src0_sel:WORD_1 src1_sel:DWORD
	s_mov_b32 s6, exec_lo
	v_cmpx_ne_u16_e32 0, v0
	s_cbranch_execz .LBB391_451
; %bb.444:                              ;   in Loop: Header=BB391_11 Depth=1
	v_bfrev_b32_e32 v92, 1
	s_mov_b32 s22, exec_lo
	v_cmpx_ne_u16_e32 0x80, v0
	s_cbranch_execz .LBB391_450
; %bb.445:                              ;   in Loop: Header=BB391_11 Depth=1
	v_bfe_u32 v1, v31, 16, 7
	v_mov_b32_e32 v92, 0x7f800001
	s_mov_b32 s23, exec_lo
	v_cmpx_ne_u32_e32 0x7f, v1
	s_cbranch_execz .LBB391_449
; %bb.446:                              ;   in Loop: Header=BB391_11 Depth=1
	v_and_b32_sdwa v18, v31, v67 dst_sel:DWORD dst_unused:UNUSED_PAD src0_sel:WORD_1 src1_sel:DWORD
	v_mov_b32_e32 v33, v19
	v_lshrrev_b32_e32 v0, 3, v1
	s_mov_b32 s24, exec_lo
	v_mov_b32_e32 v32, v18
	v_cmpx_gt_u32_e32 8, v1
; %bb.447:                              ;   in Loop: Header=BB391_11 Depth=1
	v_ffbh_u32_e32 v0, v18
	v_min_u32_e32 v0, 32, v0
	v_subrev_nc_u32_e32 v1, 28, v0
	v_sub_nc_u32_e32 v0, 29, v0
	v_lshlrev_b64 v[1:2], v1, v[18:19]
	v_and_b32_e32 v32, 7, v1
; %bb.448:                              ;   in Loop: Header=BB391_11 Depth=1
	s_or_b32 exec_lo, exec_lo, s24
	v_lshlrev_b32_sdwa v1, v68, v31 dst_sel:DWORD dst_unused:UNUSED_PAD src0_sel:DWORD src1_sel:WORD_1
	v_lshlrev_b32_e32 v2, 20, v32
	v_lshl_add_u32 v0, v0, 23, 0x3c000000
	v_and_b32_e32 v1, 0x80000000, v1
	v_or3_b32 v92, v2, v1, v0
.LBB391_449:                            ;   in Loop: Header=BB391_11 Depth=1
	s_or_b32 exec_lo, exec_lo, s23
.LBB391_450:                            ;   in Loop: Header=BB391_11 Depth=1
	s_or_b32 exec_lo, exec_lo, s22
.LBB391_451:                            ;   in Loop: Header=BB391_11 Depth=1
	s_or_b32 exec_lo, exec_lo, s6
	v_mov_b32_e32 v95, 0
	v_mov_b32_e32 v94, 0
	s_mov_b32 s6, exec_lo
	v_cmpx_lt_u64_e64 s[8:9], v[30:31]
	s_cbranch_execz .LBB391_459
; %bb.452:                              ;   in Loop: Header=BB391_11 Depth=1
	v_cmp_ne_u32_sdwa s5, v31, v55 src0_sel:BYTE_3 src1_sel:DWORD
	v_bfrev_b32_e32 v94, 1
	s_and_saveexec_b32 s22, s5
	s_cbranch_execz .LBB391_458
; %bb.453:                              ;   in Loop: Header=BB391_11 Depth=1
	v_bfe_u32 v1, v31, 24, 7
	v_mov_b32_e32 v94, 0x7f800001
	s_mov_b32 s23, exec_lo
	v_cmpx_ne_u32_e32 0x7f, v1
	s_cbranch_execz .LBB391_457
; %bb.454:                              ;   in Loop: Header=BB391_11 Depth=1
	v_and_b32_sdwa v18, v31, v67 dst_sel:DWORD dst_unused:UNUSED_PAD src0_sel:BYTE_3 src1_sel:DWORD
	v_mov_b32_e32 v33, v19
	v_lshrrev_b32_e32 v0, 3, v1
	s_mov_b32 s24, exec_lo
	v_mov_b32_e32 v32, v18
	v_cmpx_gt_u32_e32 8, v1
; %bb.455:                              ;   in Loop: Header=BB391_11 Depth=1
	v_ffbh_u32_e32 v0, v18
	v_min_u32_e32 v0, 32, v0
	v_subrev_nc_u32_e32 v1, 28, v0
	v_sub_nc_u32_e32 v0, 29, v0
	v_lshlrev_b64 v[1:2], v1, v[18:19]
	v_and_b32_e32 v32, 7, v1
; %bb.456:                              ;   in Loop: Header=BB391_11 Depth=1
	s_or_b32 exec_lo, exec_lo, s24
	v_lshlrev_b32_sdwa v1, v68, v31 dst_sel:DWORD dst_unused:UNUSED_PAD src0_sel:DWORD src1_sel:BYTE_3
	v_lshlrev_b32_e32 v2, 20, v32
	v_lshl_add_u32 v0, v0, 23, 0x3c000000
	v_and_b32_e32 v1, 0x80000000, v1
	v_or3_b32 v94, v2, v1, v0
.LBB391_457:                            ;   in Loop: Header=BB391_11 Depth=1
	s_or_b32 exec_lo, exec_lo, s23
.LBB391_458:                            ;   in Loop: Header=BB391_11 Depth=1
	s_or_b32 exec_lo, exec_lo, s22
.LBB391_459:                            ;   in Loop: Header=BB391_11 Depth=1
	s_or_b32 exec_lo, exec_lo, s6
	flat_load_dwordx2 v[30:31], v[28:29] offset:1544
	s_waitcnt vmcnt(0) lgkmcnt(0)
	v_cmp_ne_u16_sdwa s5, v30, v19 src0_sel:BYTE_0 src1_sel:DWORD
	s_and_saveexec_b32 s6, s5
	s_cbranch_execz .LBB391_467
; %bb.460:                              ;   in Loop: Header=BB391_11 Depth=1
	v_cmp_ne_u16_sdwa s5, v30, v55 src0_sel:BYTE_0 src1_sel:DWORD
	v_bfrev_b32_e32 v95, 1
	s_and_saveexec_b32 s22, s5
	s_cbranch_execz .LBB391_466
; %bb.461:                              ;   in Loop: Header=BB391_11 Depth=1
	v_and_b32_e32 v1, 0x7f, v30
	v_mov_b32_e32 v95, 0x7f800001
	s_mov_b32 s23, exec_lo
	v_cmpx_ne_u32_e32 0x7f, v1
	s_cbranch_execz .LBB391_465
; %bb.462:                              ;   in Loop: Header=BB391_11 Depth=1
	v_mov_b32_e32 v33, v31
	v_lshrrev_b32_e32 v0, 3, v1
	v_mov_b32_e32 v32, v30
	s_mov_b32 s24, exec_lo
	v_cmpx_gt_u32_e32 8, v1
; %bb.463:                              ;   in Loop: Header=BB391_11 Depth=1
	v_and_b32_e32 v0, 7, v30
	v_ffbh_u32_e32 v0, v0
	v_min_u32_e32 v0, 32, v0
	v_subrev_nc_u32_e32 v1, 28, v0
	v_sub_nc_u32_e32 v0, 29, v0
	v_lshlrev_b64 v[32:33], v1, v[30:31]
; %bb.464:                              ;   in Loop: Header=BB391_11 Depth=1
	s_or_b32 exec_lo, exec_lo, s24
	v_lshlrev_b32_e32 v1, 20, v32
	v_lshlrev_b32_e32 v2, 24, v30
	v_lshl_add_u32 v0, v0, 23, 0x3c000000
	v_and_b32_e32 v1, 0x700000, v1
	v_and_b32_e32 v2, 0x80000000, v2
	v_or3_b32 v95, v1, v2, v0
.LBB391_465:                            ;   in Loop: Header=BB391_11 Depth=1
	s_or_b32 exec_lo, exec_lo, s23
.LBB391_466:                            ;   in Loop: Header=BB391_11 Depth=1
	s_or_b32 exec_lo, exec_lo, s22
.LBB391_467:                            ;   in Loop: Header=BB391_11 Depth=1
	s_or_b32 exec_lo, exec_lo, s6
	v_cmp_ne_u16_sdwa s5, v30, v19 src0_sel:BYTE_1 src1_sel:DWORD
	v_mov_b32_e32 v105, 0
	v_mov_b32_e32 v104, 0
	s_and_saveexec_b32 s6, s5
	s_cbranch_execz .LBB391_475
; %bb.468:                              ;   in Loop: Header=BB391_11 Depth=1
	v_cmp_ne_u16_sdwa s5, v30, v55 src0_sel:BYTE_1 src1_sel:DWORD
	v_bfrev_b32_e32 v104, 1
	s_and_saveexec_b32 s22, s5
	s_cbranch_execz .LBB391_474
; %bb.469:                              ;   in Loop: Header=BB391_11 Depth=1
	v_mov_b32_e32 v0, 0xffff
	v_mov_b32_e32 v104, 0x7f800001
	s_mov_b32 s23, exec_lo
	v_and_b32_sdwa v0, v0, v30 dst_sel:DWORD dst_unused:UNUSED_PAD src0_sel:DWORD src1_sel:BYTE_1
	v_and_b32_e32 v1, 0x7f, v0
	v_cmpx_ne_u32_e32 0x7f, v1
	s_cbranch_execz .LBB391_473
; %bb.470:                              ;   in Loop: Header=BB391_11 Depth=1
	v_and_b32_e32 v18, 7, v0
	v_mov_b32_e32 v33, v19
	v_lshrrev_b32_e32 v0, 3, v1
	s_mov_b32 s24, exec_lo
	v_mov_b32_e32 v32, v18
	v_cmpx_gt_u32_e32 8, v1
; %bb.471:                              ;   in Loop: Header=BB391_11 Depth=1
	v_ffbh_u32_e32 v0, v18
	v_min_u32_e32 v0, 32, v0
	v_subrev_nc_u32_e32 v1, 28, v0
	v_sub_nc_u32_e32 v0, 29, v0
	v_lshlrev_b64 v[1:2], v1, v[18:19]
	v_and_b32_e32 v32, 7, v1
; %bb.472:                              ;   in Loop: Header=BB391_11 Depth=1
	s_or_b32 exec_lo, exec_lo, s24
	v_lshlrev_b32_e32 v1, 16, v30
	v_lshlrev_b32_e32 v2, 20, v32
	v_lshl_add_u32 v0, v0, 23, 0x3c000000
	v_and_b32_e32 v1, 0x80000000, v1
	v_or3_b32 v104, v2, v1, v0
.LBB391_473:                            ;   in Loop: Header=BB391_11 Depth=1
	s_or_b32 exec_lo, exec_lo, s23
.LBB391_474:                            ;   in Loop: Header=BB391_11 Depth=1
	s_or_b32 exec_lo, exec_lo, s22
.LBB391_475:                            ;   in Loop: Header=BB391_11 Depth=1
	s_or_b32 exec_lo, exec_lo, s6
	v_and_b32_sdwa v0, v30, v66 dst_sel:DWORD dst_unused:UNUSED_PAD src0_sel:WORD_1 src1_sel:DWORD
	s_mov_b32 s6, exec_lo
	v_cmpx_ne_u16_e32 0, v0
	s_cbranch_execz .LBB391_483
; %bb.476:                              ;   in Loop: Header=BB391_11 Depth=1
	v_bfrev_b32_e32 v105, 1
	s_mov_b32 s22, exec_lo
	v_cmpx_ne_u16_e32 0x80, v0
	s_cbranch_execz .LBB391_482
; %bb.477:                              ;   in Loop: Header=BB391_11 Depth=1
	v_bfe_u32 v1, v30, 16, 7
	v_mov_b32_e32 v105, 0x7f800001
	s_mov_b32 s23, exec_lo
	v_cmpx_ne_u32_e32 0x7f, v1
	s_cbranch_execz .LBB391_481
; %bb.478:                              ;   in Loop: Header=BB391_11 Depth=1
	v_and_b32_sdwa v18, v30, v67 dst_sel:DWORD dst_unused:UNUSED_PAD src0_sel:WORD_1 src1_sel:DWORD
	v_mov_b32_e32 v33, v19
	v_lshrrev_b32_e32 v0, 3, v1
	s_mov_b32 s24, exec_lo
	v_mov_b32_e32 v32, v18
	v_cmpx_gt_u32_e32 8, v1
; %bb.479:                              ;   in Loop: Header=BB391_11 Depth=1
	v_ffbh_u32_e32 v0, v18
	v_min_u32_e32 v0, 32, v0
	v_subrev_nc_u32_e32 v1, 28, v0
	v_sub_nc_u32_e32 v0, 29, v0
	v_lshlrev_b64 v[1:2], v1, v[18:19]
	v_and_b32_e32 v32, 7, v1
; %bb.480:                              ;   in Loop: Header=BB391_11 Depth=1
	s_or_b32 exec_lo, exec_lo, s24
	v_lshlrev_b32_sdwa v1, v68, v30 dst_sel:DWORD dst_unused:UNUSED_PAD src0_sel:DWORD src1_sel:WORD_1
	v_lshlrev_b32_e32 v2, 20, v32
	v_lshl_add_u32 v0, v0, 23, 0x3c000000
	v_and_b32_e32 v1, 0x80000000, v1
	v_or3_b32 v105, v2, v1, v0
.LBB391_481:                            ;   in Loop: Header=BB391_11 Depth=1
	s_or_b32 exec_lo, exec_lo, s23
.LBB391_482:                            ;   in Loop: Header=BB391_11 Depth=1
	s_or_b32 exec_lo, exec_lo, s22
.LBB391_483:                            ;   in Loop: Header=BB391_11 Depth=1
	s_or_b32 exec_lo, exec_lo, s6
	v_mov_b32_e32 v107, 0
	v_mov_b32_e32 v106, 0
	s_mov_b32 s6, exec_lo
	v_cmpx_lt_u32_e32 0xffffff, v30
	s_cbranch_execz .LBB391_491
; %bb.484:                              ;   in Loop: Header=BB391_11 Depth=1
	v_cmp_ne_u32_sdwa s5, v30, v55 src0_sel:BYTE_3 src1_sel:DWORD
	v_bfrev_b32_e32 v106, 1
	s_and_saveexec_b32 s22, s5
	s_cbranch_execz .LBB391_490
; %bb.485:                              ;   in Loop: Header=BB391_11 Depth=1
	v_bfe_u32 v1, v30, 24, 7
	v_mov_b32_e32 v106, 0x7f800001
	s_mov_b32 s23, exec_lo
	v_cmpx_ne_u32_e32 0x7f, v1
	s_cbranch_execz .LBB391_489
; %bb.486:                              ;   in Loop: Header=BB391_11 Depth=1
	v_and_b32_sdwa v18, v30, v67 dst_sel:DWORD dst_unused:UNUSED_PAD src0_sel:BYTE_3 src1_sel:DWORD
	v_mov_b32_e32 v33, v19
	v_lshrrev_b32_e32 v0, 3, v1
	s_mov_b32 s24, exec_lo
	v_mov_b32_e32 v32, v18
	v_cmpx_gt_u32_e32 8, v1
; %bb.487:                              ;   in Loop: Header=BB391_11 Depth=1
	v_ffbh_u32_e32 v0, v18
	v_min_u32_e32 v0, 32, v0
	v_subrev_nc_u32_e32 v1, 28, v0
	v_sub_nc_u32_e32 v0, 29, v0
	v_lshlrev_b64 v[1:2], v1, v[18:19]
	v_and_b32_e32 v32, 7, v1
; %bb.488:                              ;   in Loop: Header=BB391_11 Depth=1
	s_or_b32 exec_lo, exec_lo, s24
	v_lshlrev_b32_sdwa v1, v68, v30 dst_sel:DWORD dst_unused:UNUSED_PAD src0_sel:DWORD src1_sel:BYTE_3
	v_lshlrev_b32_e32 v2, 20, v32
	v_lshl_add_u32 v0, v0, 23, 0x3c000000
	v_and_b32_e32 v1, 0x80000000, v1
	v_or3_b32 v106, v2, v1, v0
.LBB391_489:                            ;   in Loop: Header=BB391_11 Depth=1
	s_or_b32 exec_lo, exec_lo, s23
.LBB391_490:                            ;   in Loop: Header=BB391_11 Depth=1
	s_or_b32 exec_lo, exec_lo, s22
.LBB391_491:                            ;   in Loop: Header=BB391_11 Depth=1
	s_or_b32 exec_lo, exec_lo, s6
	v_mov_b32_e32 v18, v31
	v_cmp_ne_u16_sdwa s5, v31, v19 src0_sel:BYTE_0 src1_sel:DWORD
	s_and_saveexec_b32 s6, s5
	s_cbranch_execz .LBB391_499
; %bb.492:                              ;   in Loop: Header=BB391_11 Depth=1
	v_cmp_ne_u16_sdwa s5, v31, v55 src0_sel:BYTE_0 src1_sel:DWORD
	v_bfrev_b32_e32 v107, 1
	s_and_saveexec_b32 s22, s5
	s_cbranch_execz .LBB391_498
; %bb.493:                              ;   in Loop: Header=BB391_11 Depth=1
	v_and_b32_e32 v1, 0x7f, v31
	v_mov_b32_e32 v107, 0x7f800001
	s_mov_b32 s23, exec_lo
	v_cmpx_ne_u32_e32 0x7f, v1
	s_cbranch_execz .LBB391_497
; %bb.494:                              ;   in Loop: Header=BB391_11 Depth=1
	v_mov_b32_e32 v33, v19
	v_lshrrev_b32_e32 v0, 3, v1
	v_mov_b32_e32 v32, v18
	s_mov_b32 s24, exec_lo
	v_cmpx_gt_u32_e32 8, v1
; %bb.495:                              ;   in Loop: Header=BB391_11 Depth=1
	v_and_b32_e32 v0, 7, v31
	v_ffbh_u32_e32 v0, v0
	v_min_u32_e32 v0, 32, v0
	v_subrev_nc_u32_e32 v1, 28, v0
	v_sub_nc_u32_e32 v0, 29, v0
	v_lshlrev_b64 v[32:33], v1, v[18:19]
; %bb.496:                              ;   in Loop: Header=BB391_11 Depth=1
	s_or_b32 exec_lo, exec_lo, s24
	v_lshlrev_b32_e32 v1, 20, v32
	v_lshlrev_b32_e32 v2, 24, v18
	v_lshl_add_u32 v0, v0, 23, 0x3c000000
	v_and_b32_e32 v1, 0x700000, v1
	v_and_b32_e32 v2, 0x80000000, v2
	v_or3_b32 v107, v1, v2, v0
.LBB391_497:                            ;   in Loop: Header=BB391_11 Depth=1
	s_or_b32 exec_lo, exec_lo, s23
.LBB391_498:                            ;   in Loop: Header=BB391_11 Depth=1
	s_or_b32 exec_lo, exec_lo, s22
.LBB391_499:                            ;   in Loop: Header=BB391_11 Depth=1
	s_or_b32 exec_lo, exec_lo, s6
	v_cmp_ne_u16_sdwa s5, v18, v19 src0_sel:BYTE_1 src1_sel:DWORD
	v_mov_b32_e32 v108, 0
	v_mov_b32_e32 v109, 0
	s_and_saveexec_b32 s6, s5
	s_cbranch_execz .LBB391_507
; %bb.500:                              ;   in Loop: Header=BB391_11 Depth=1
	v_cmp_ne_u16_sdwa s5, v18, v55 src0_sel:BYTE_1 src1_sel:DWORD
	v_bfrev_b32_e32 v109, 1
	s_and_saveexec_b32 s22, s5
	s_cbranch_execz .LBB391_506
; %bb.501:                              ;   in Loop: Header=BB391_11 Depth=1
	v_mov_b32_e32 v0, 0xffff
	v_mov_b32_e32 v109, 0x7f800001
	s_mov_b32 s23, exec_lo
	v_and_b32_sdwa v0, v0, v18 dst_sel:DWORD dst_unused:UNUSED_PAD src0_sel:DWORD src1_sel:BYTE_1
	v_and_b32_e32 v1, 0x7f, v0
	v_cmpx_ne_u32_e32 0x7f, v1
	s_cbranch_execz .LBB391_505
; %bb.502:                              ;   in Loop: Header=BB391_11 Depth=1
	v_and_b32_e32 v32, 7, v0
	v_mov_b32_e32 v33, v19
	v_lshrrev_b32_e32 v0, 3, v1
	s_mov_b32 s24, exec_lo
	v_cmpx_gt_u32_e32 8, v1
; %bb.503:                              ;   in Loop: Header=BB391_11 Depth=1
	v_ffbh_u32_e32 v0, v32
	v_min_u32_e32 v0, 32, v0
	v_subrev_nc_u32_e32 v1, 28, v0
	v_sub_nc_u32_e32 v0, 29, v0
	v_lshlrev_b64 v[1:2], v1, v[32:33]
	v_and_b32_e32 v32, 7, v1
; %bb.504:                              ;   in Loop: Header=BB391_11 Depth=1
	s_or_b32 exec_lo, exec_lo, s24
	v_lshlrev_b32_e32 v1, 16, v18
	v_lshlrev_b32_e32 v2, 20, v32
	v_lshl_add_u32 v0, v0, 23, 0x3c000000
	v_and_b32_e32 v1, 0x80000000, v1
	v_or3_b32 v109, v2, v1, v0
.LBB391_505:                            ;   in Loop: Header=BB391_11 Depth=1
	s_or_b32 exec_lo, exec_lo, s23
.LBB391_506:                            ;   in Loop: Header=BB391_11 Depth=1
	s_or_b32 exec_lo, exec_lo, s22
.LBB391_507:                            ;   in Loop: Header=BB391_11 Depth=1
	s_or_b32 exec_lo, exec_lo, s6
	v_and_b32_sdwa v0, v31, v66 dst_sel:DWORD dst_unused:UNUSED_PAD src0_sel:WORD_1 src1_sel:DWORD
	s_mov_b32 s6, exec_lo
	v_cmpx_ne_u16_e32 0, v0
	s_cbranch_execz .LBB391_515
; %bb.508:                              ;   in Loop: Header=BB391_11 Depth=1
	v_bfrev_b32_e32 v108, 1
	s_mov_b32 s22, exec_lo
	v_cmpx_ne_u16_e32 0x80, v0
	s_cbranch_execz .LBB391_514
; %bb.509:                              ;   in Loop: Header=BB391_11 Depth=1
	v_bfe_u32 v1, v31, 16, 7
	v_mov_b32_e32 v108, 0x7f800001
	s_mov_b32 s23, exec_lo
	v_cmpx_ne_u32_e32 0x7f, v1
	s_cbranch_execz .LBB391_513
; %bb.510:                              ;   in Loop: Header=BB391_11 Depth=1
	v_and_b32_sdwa v18, v31, v67 dst_sel:DWORD dst_unused:UNUSED_PAD src0_sel:WORD_1 src1_sel:DWORD
	v_mov_b32_e32 v33, v19
	v_lshrrev_b32_e32 v0, 3, v1
	s_mov_b32 s24, exec_lo
	v_mov_b32_e32 v32, v18
	v_cmpx_gt_u32_e32 8, v1
; %bb.511:                              ;   in Loop: Header=BB391_11 Depth=1
	v_ffbh_u32_e32 v0, v18
	v_min_u32_e32 v0, 32, v0
	v_subrev_nc_u32_e32 v1, 28, v0
	v_sub_nc_u32_e32 v0, 29, v0
	v_lshlrev_b64 v[1:2], v1, v[18:19]
	v_and_b32_e32 v32, 7, v1
; %bb.512:                              ;   in Loop: Header=BB391_11 Depth=1
	s_or_b32 exec_lo, exec_lo, s24
	v_lshlrev_b32_sdwa v1, v68, v31 dst_sel:DWORD dst_unused:UNUSED_PAD src0_sel:DWORD src1_sel:WORD_1
	v_lshlrev_b32_e32 v2, 20, v32
	v_lshl_add_u32 v0, v0, 23, 0x3c000000
	v_and_b32_e32 v1, 0x80000000, v1
	v_or3_b32 v108, v2, v1, v0
.LBB391_513:                            ;   in Loop: Header=BB391_11 Depth=1
	s_or_b32 exec_lo, exec_lo, s23
.LBB391_514:                            ;   in Loop: Header=BB391_11 Depth=1
	s_or_b32 exec_lo, exec_lo, s22
.LBB391_515:                            ;   in Loop: Header=BB391_11 Depth=1
	s_or_b32 exec_lo, exec_lo, s6
	v_mov_b32_e32 v111, 0
	v_mov_b32_e32 v110, 0
	s_mov_b32 s6, exec_lo
	v_cmpx_lt_u64_e64 s[8:9], v[30:31]
	s_cbranch_execz .LBB391_523
; %bb.516:                              ;   in Loop: Header=BB391_11 Depth=1
	v_cmp_ne_u32_sdwa s5, v31, v55 src0_sel:BYTE_3 src1_sel:DWORD
	v_bfrev_b32_e32 v110, 1
	s_and_saveexec_b32 s22, s5
	s_cbranch_execz .LBB391_522
; %bb.517:                              ;   in Loop: Header=BB391_11 Depth=1
	v_bfe_u32 v1, v31, 24, 7
	v_mov_b32_e32 v110, 0x7f800001
	s_mov_b32 s23, exec_lo
	v_cmpx_ne_u32_e32 0x7f, v1
	s_cbranch_execz .LBB391_521
; %bb.518:                              ;   in Loop: Header=BB391_11 Depth=1
	v_and_b32_sdwa v18, v31, v67 dst_sel:DWORD dst_unused:UNUSED_PAD src0_sel:BYTE_3 src1_sel:DWORD
	v_mov_b32_e32 v33, v19
	v_lshrrev_b32_e32 v0, 3, v1
	s_mov_b32 s24, exec_lo
	v_mov_b32_e32 v32, v18
	v_cmpx_gt_u32_e32 8, v1
; %bb.519:                              ;   in Loop: Header=BB391_11 Depth=1
	v_ffbh_u32_e32 v0, v18
	v_min_u32_e32 v0, 32, v0
	v_subrev_nc_u32_e32 v1, 28, v0
	v_sub_nc_u32_e32 v0, 29, v0
	v_lshlrev_b64 v[1:2], v1, v[18:19]
	v_and_b32_e32 v32, 7, v1
; %bb.520:                              ;   in Loop: Header=BB391_11 Depth=1
	s_or_b32 exec_lo, exec_lo, s24
	v_lshlrev_b32_sdwa v1, v68, v31 dst_sel:DWORD dst_unused:UNUSED_PAD src0_sel:DWORD src1_sel:BYTE_3
	v_lshlrev_b32_e32 v2, 20, v32
	v_lshl_add_u32 v0, v0, 23, 0x3c000000
	v_and_b32_e32 v1, 0x80000000, v1
	v_or3_b32 v110, v2, v1, v0
.LBB391_521:                            ;   in Loop: Header=BB391_11 Depth=1
	s_or_b32 exec_lo, exec_lo, s23
.LBB391_522:                            ;   in Loop: Header=BB391_11 Depth=1
	s_or_b32 exec_lo, exec_lo, s22
.LBB391_523:                            ;   in Loop: Header=BB391_11 Depth=1
	s_or_b32 exec_lo, exec_lo, s6
	v_add_co_u32 v28, s5, 0x800, v28
	v_add_co_ci_u32_e64 v29, null, 0, v29, s5
	flat_load_dwordx2 v[30:31], v[28:29]
	s_waitcnt vmcnt(0) lgkmcnt(0)
	v_cmp_ne_u16_sdwa s5, v30, v19 src0_sel:BYTE_0 src1_sel:DWORD
	s_and_saveexec_b32 s6, s5
	s_cbranch_execz .LBB391_531
; %bb.524:                              ;   in Loop: Header=BB391_11 Depth=1
	v_cmp_ne_u16_sdwa s5, v30, v55 src0_sel:BYTE_0 src1_sel:DWORD
	v_bfrev_b32_e32 v111, 1
	s_and_saveexec_b32 s22, s5
	s_cbranch_execz .LBB391_530
; %bb.525:                              ;   in Loop: Header=BB391_11 Depth=1
	v_and_b32_e32 v1, 0x7f, v30
	v_mov_b32_e32 v111, 0x7f800001
	s_mov_b32 s23, exec_lo
	v_cmpx_ne_u32_e32 0x7f, v1
	s_cbranch_execz .LBB391_529
; %bb.526:                              ;   in Loop: Header=BB391_11 Depth=1
	v_mov_b32_e32 v33, v31
	v_lshrrev_b32_e32 v0, 3, v1
	v_mov_b32_e32 v32, v30
	s_mov_b32 s24, exec_lo
	v_cmpx_gt_u32_e32 8, v1
; %bb.527:                              ;   in Loop: Header=BB391_11 Depth=1
	v_and_b32_e32 v0, 7, v30
	v_ffbh_u32_e32 v0, v0
	v_min_u32_e32 v0, 32, v0
	v_subrev_nc_u32_e32 v1, 28, v0
	v_sub_nc_u32_e32 v0, 29, v0
	v_lshlrev_b64 v[32:33], v1, v[30:31]
; %bb.528:                              ;   in Loop: Header=BB391_11 Depth=1
	s_or_b32 exec_lo, exec_lo, s24
	v_lshlrev_b32_e32 v1, 20, v32
	v_lshlrev_b32_e32 v2, 24, v30
	v_lshl_add_u32 v0, v0, 23, 0x3c000000
	v_and_b32_e32 v1, 0x700000, v1
	v_and_b32_e32 v2, 0x80000000, v2
	v_or3_b32 v111, v1, v2, v0
.LBB391_529:                            ;   in Loop: Header=BB391_11 Depth=1
	s_or_b32 exec_lo, exec_lo, s23
.LBB391_530:                            ;   in Loop: Header=BB391_11 Depth=1
	s_or_b32 exec_lo, exec_lo, s22
.LBB391_531:                            ;   in Loop: Header=BB391_11 Depth=1
	s_or_b32 exec_lo, exec_lo, s6
	v_cmp_ne_u16_sdwa s5, v30, v19 src0_sel:BYTE_1 src1_sel:DWORD
	v_mov_b32_e32 v121, 0
	v_mov_b32_e32 v120, 0
	s_and_saveexec_b32 s6, s5
	s_cbranch_execz .LBB391_539
; %bb.532:                              ;   in Loop: Header=BB391_11 Depth=1
	v_cmp_ne_u16_sdwa s5, v30, v55 src0_sel:BYTE_1 src1_sel:DWORD
	v_bfrev_b32_e32 v120, 1
	s_and_saveexec_b32 s22, s5
	s_cbranch_execz .LBB391_538
; %bb.533:                              ;   in Loop: Header=BB391_11 Depth=1
	v_mov_b32_e32 v0, 0xffff
	v_mov_b32_e32 v120, 0x7f800001
	s_mov_b32 s23, exec_lo
	v_and_b32_sdwa v0, v0, v30 dst_sel:DWORD dst_unused:UNUSED_PAD src0_sel:DWORD src1_sel:BYTE_1
	v_and_b32_e32 v1, 0x7f, v0
	v_cmpx_ne_u32_e32 0x7f, v1
	s_cbranch_execz .LBB391_537
; %bb.534:                              ;   in Loop: Header=BB391_11 Depth=1
	v_and_b32_e32 v18, 7, v0
	v_mov_b32_e32 v33, v19
	v_lshrrev_b32_e32 v0, 3, v1
	s_mov_b32 s24, exec_lo
	v_mov_b32_e32 v32, v18
	v_cmpx_gt_u32_e32 8, v1
; %bb.535:                              ;   in Loop: Header=BB391_11 Depth=1
	v_ffbh_u32_e32 v0, v18
	v_min_u32_e32 v0, 32, v0
	v_subrev_nc_u32_e32 v1, 28, v0
	v_sub_nc_u32_e32 v0, 29, v0
	v_lshlrev_b64 v[1:2], v1, v[18:19]
	v_and_b32_e32 v32, 7, v1
; %bb.536:                              ;   in Loop: Header=BB391_11 Depth=1
	s_or_b32 exec_lo, exec_lo, s24
	v_lshlrev_b32_e32 v1, 16, v30
	v_lshlrev_b32_e32 v2, 20, v32
	v_lshl_add_u32 v0, v0, 23, 0x3c000000
	v_and_b32_e32 v1, 0x80000000, v1
	v_or3_b32 v120, v2, v1, v0
.LBB391_537:                            ;   in Loop: Header=BB391_11 Depth=1
	s_or_b32 exec_lo, exec_lo, s23
.LBB391_538:                            ;   in Loop: Header=BB391_11 Depth=1
	s_or_b32 exec_lo, exec_lo, s22
.LBB391_539:                            ;   in Loop: Header=BB391_11 Depth=1
	s_or_b32 exec_lo, exec_lo, s6
	v_and_b32_sdwa v0, v30, v66 dst_sel:DWORD dst_unused:UNUSED_PAD src0_sel:WORD_1 src1_sel:DWORD
	s_mov_b32 s6, exec_lo
	v_cmpx_ne_u16_e32 0, v0
	s_cbranch_execz .LBB391_547
; %bb.540:                              ;   in Loop: Header=BB391_11 Depth=1
	v_bfrev_b32_e32 v121, 1
	s_mov_b32 s22, exec_lo
	v_cmpx_ne_u16_e32 0x80, v0
	s_cbranch_execz .LBB391_546
; %bb.541:                              ;   in Loop: Header=BB391_11 Depth=1
	v_bfe_u32 v1, v30, 16, 7
	v_mov_b32_e32 v121, 0x7f800001
	s_mov_b32 s23, exec_lo
	v_cmpx_ne_u32_e32 0x7f, v1
	s_cbranch_execz .LBB391_545
; %bb.542:                              ;   in Loop: Header=BB391_11 Depth=1
	v_and_b32_sdwa v18, v30, v67 dst_sel:DWORD dst_unused:UNUSED_PAD src0_sel:WORD_1 src1_sel:DWORD
	v_mov_b32_e32 v33, v19
	v_lshrrev_b32_e32 v0, 3, v1
	s_mov_b32 s24, exec_lo
	v_mov_b32_e32 v32, v18
	v_cmpx_gt_u32_e32 8, v1
; %bb.543:                              ;   in Loop: Header=BB391_11 Depth=1
	v_ffbh_u32_e32 v0, v18
	v_min_u32_e32 v0, 32, v0
	v_subrev_nc_u32_e32 v1, 28, v0
	v_sub_nc_u32_e32 v0, 29, v0
	v_lshlrev_b64 v[1:2], v1, v[18:19]
	v_and_b32_e32 v32, 7, v1
; %bb.544:                              ;   in Loop: Header=BB391_11 Depth=1
	s_or_b32 exec_lo, exec_lo, s24
	v_lshlrev_b32_sdwa v1, v68, v30 dst_sel:DWORD dst_unused:UNUSED_PAD src0_sel:DWORD src1_sel:WORD_1
	v_lshlrev_b32_e32 v2, 20, v32
	v_lshl_add_u32 v0, v0, 23, 0x3c000000
	v_and_b32_e32 v1, 0x80000000, v1
	v_or3_b32 v121, v2, v1, v0
.LBB391_545:                            ;   in Loop: Header=BB391_11 Depth=1
	s_or_b32 exec_lo, exec_lo, s23
.LBB391_546:                            ;   in Loop: Header=BB391_11 Depth=1
	s_or_b32 exec_lo, exec_lo, s22
.LBB391_547:                            ;   in Loop: Header=BB391_11 Depth=1
	s_or_b32 exec_lo, exec_lo, s6
	v_mov_b32_e32 v123, 0
	v_mov_b32_e32 v122, 0
	s_mov_b32 s6, exec_lo
	v_cmpx_lt_u32_e32 0xffffff, v30
	s_cbranch_execz .LBB391_555
; %bb.548:                              ;   in Loop: Header=BB391_11 Depth=1
	v_cmp_ne_u32_sdwa s5, v30, v55 src0_sel:BYTE_3 src1_sel:DWORD
	v_bfrev_b32_e32 v122, 1
	s_and_saveexec_b32 s22, s5
	s_cbranch_execz .LBB391_554
; %bb.549:                              ;   in Loop: Header=BB391_11 Depth=1
	v_bfe_u32 v1, v30, 24, 7
	v_mov_b32_e32 v122, 0x7f800001
	s_mov_b32 s23, exec_lo
	v_cmpx_ne_u32_e32 0x7f, v1
	s_cbranch_execz .LBB391_553
; %bb.550:                              ;   in Loop: Header=BB391_11 Depth=1
	v_and_b32_sdwa v18, v30, v67 dst_sel:DWORD dst_unused:UNUSED_PAD src0_sel:BYTE_3 src1_sel:DWORD
	v_mov_b32_e32 v33, v19
	v_lshrrev_b32_e32 v0, 3, v1
	s_mov_b32 s24, exec_lo
	v_mov_b32_e32 v32, v18
	v_cmpx_gt_u32_e32 8, v1
; %bb.551:                              ;   in Loop: Header=BB391_11 Depth=1
	v_ffbh_u32_e32 v0, v18
	v_min_u32_e32 v0, 32, v0
	v_subrev_nc_u32_e32 v1, 28, v0
	v_sub_nc_u32_e32 v0, 29, v0
	v_lshlrev_b64 v[1:2], v1, v[18:19]
	v_and_b32_e32 v32, 7, v1
; %bb.552:                              ;   in Loop: Header=BB391_11 Depth=1
	s_or_b32 exec_lo, exec_lo, s24
	v_lshlrev_b32_sdwa v1, v68, v30 dst_sel:DWORD dst_unused:UNUSED_PAD src0_sel:DWORD src1_sel:BYTE_3
	v_lshlrev_b32_e32 v2, 20, v32
	v_lshl_add_u32 v0, v0, 23, 0x3c000000
	v_and_b32_e32 v1, 0x80000000, v1
	v_or3_b32 v122, v2, v1, v0
.LBB391_553:                            ;   in Loop: Header=BB391_11 Depth=1
	s_or_b32 exec_lo, exec_lo, s23
.LBB391_554:                            ;   in Loop: Header=BB391_11 Depth=1
	s_or_b32 exec_lo, exec_lo, s22
.LBB391_555:                            ;   in Loop: Header=BB391_11 Depth=1
	s_or_b32 exec_lo, exec_lo, s6
	v_mov_b32_e32 v18, v31
	v_cmp_ne_u16_sdwa s5, v31, v19 src0_sel:BYTE_0 src1_sel:DWORD
	s_and_saveexec_b32 s6, s5
	s_cbranch_execz .LBB391_563
; %bb.556:                              ;   in Loop: Header=BB391_11 Depth=1
	v_cmp_ne_u16_sdwa s5, v31, v55 src0_sel:BYTE_0 src1_sel:DWORD
	v_bfrev_b32_e32 v123, 1
	s_and_saveexec_b32 s22, s5
	s_cbranch_execz .LBB391_562
; %bb.557:                              ;   in Loop: Header=BB391_11 Depth=1
	v_and_b32_e32 v1, 0x7f, v31
	v_mov_b32_e32 v123, 0x7f800001
	s_mov_b32 s23, exec_lo
	v_cmpx_ne_u32_e32 0x7f, v1
	s_cbranch_execz .LBB391_561
; %bb.558:                              ;   in Loop: Header=BB391_11 Depth=1
	v_mov_b32_e32 v33, v19
	v_lshrrev_b32_e32 v0, 3, v1
	v_mov_b32_e32 v32, v18
	s_mov_b32 s24, exec_lo
	v_cmpx_gt_u32_e32 8, v1
; %bb.559:                              ;   in Loop: Header=BB391_11 Depth=1
	v_and_b32_e32 v0, 7, v31
	v_ffbh_u32_e32 v0, v0
	v_min_u32_e32 v0, 32, v0
	v_subrev_nc_u32_e32 v1, 28, v0
	v_sub_nc_u32_e32 v0, 29, v0
	v_lshlrev_b64 v[32:33], v1, v[18:19]
; %bb.560:                              ;   in Loop: Header=BB391_11 Depth=1
	s_or_b32 exec_lo, exec_lo, s24
	v_lshlrev_b32_e32 v1, 20, v32
	v_lshlrev_b32_e32 v2, 24, v18
	v_lshl_add_u32 v0, v0, 23, 0x3c000000
	v_and_b32_e32 v1, 0x700000, v1
	v_and_b32_e32 v2, 0x80000000, v2
	v_or3_b32 v123, v1, v2, v0
.LBB391_561:                            ;   in Loop: Header=BB391_11 Depth=1
	s_or_b32 exec_lo, exec_lo, s23
.LBB391_562:                            ;   in Loop: Header=BB391_11 Depth=1
	s_or_b32 exec_lo, exec_lo, s22
.LBB391_563:                            ;   in Loop: Header=BB391_11 Depth=1
	s_or_b32 exec_lo, exec_lo, s6
	v_cmp_ne_u16_sdwa s5, v18, v19 src0_sel:BYTE_1 src1_sel:DWORD
	v_mov_b32_e32 v124, 0
	v_mov_b32_e32 v125, 0
	s_and_saveexec_b32 s6, s5
	s_cbranch_execz .LBB391_571
; %bb.564:                              ;   in Loop: Header=BB391_11 Depth=1
	v_cmp_ne_u16_sdwa s5, v18, v55 src0_sel:BYTE_1 src1_sel:DWORD
	v_bfrev_b32_e32 v125, 1
	s_and_saveexec_b32 s22, s5
	s_cbranch_execz .LBB391_570
; %bb.565:                              ;   in Loop: Header=BB391_11 Depth=1
	v_mov_b32_e32 v0, 0xffff
	v_mov_b32_e32 v125, 0x7f800001
	s_mov_b32 s23, exec_lo
	v_and_b32_sdwa v0, v0, v18 dst_sel:DWORD dst_unused:UNUSED_PAD src0_sel:DWORD src1_sel:BYTE_1
	v_and_b32_e32 v1, 0x7f, v0
	v_cmpx_ne_u32_e32 0x7f, v1
	s_cbranch_execz .LBB391_569
; %bb.566:                              ;   in Loop: Header=BB391_11 Depth=1
	v_and_b32_e32 v32, 7, v0
	v_mov_b32_e32 v33, v19
	v_lshrrev_b32_e32 v0, 3, v1
	s_mov_b32 s24, exec_lo
	v_cmpx_gt_u32_e32 8, v1
; %bb.567:                              ;   in Loop: Header=BB391_11 Depth=1
	v_ffbh_u32_e32 v0, v32
	v_min_u32_e32 v0, 32, v0
	v_subrev_nc_u32_e32 v1, 28, v0
	v_sub_nc_u32_e32 v0, 29, v0
	v_lshlrev_b64 v[1:2], v1, v[32:33]
	v_and_b32_e32 v32, 7, v1
; %bb.568:                              ;   in Loop: Header=BB391_11 Depth=1
	s_or_b32 exec_lo, exec_lo, s24
	v_lshlrev_b32_e32 v1, 16, v18
	v_lshlrev_b32_e32 v2, 20, v32
	v_lshl_add_u32 v0, v0, 23, 0x3c000000
	v_and_b32_e32 v1, 0x80000000, v1
	v_or3_b32 v125, v2, v1, v0
.LBB391_569:                            ;   in Loop: Header=BB391_11 Depth=1
	s_or_b32 exec_lo, exec_lo, s23
.LBB391_570:                            ;   in Loop: Header=BB391_11 Depth=1
	s_or_b32 exec_lo, exec_lo, s22
.LBB391_571:                            ;   in Loop: Header=BB391_11 Depth=1
	s_or_b32 exec_lo, exec_lo, s6
	v_and_b32_sdwa v0, v31, v66 dst_sel:DWORD dst_unused:UNUSED_PAD src0_sel:WORD_1 src1_sel:DWORD
	s_mov_b32 s6, exec_lo
	v_cmpx_ne_u16_e32 0, v0
	s_cbranch_execz .LBB391_579
; %bb.572:                              ;   in Loop: Header=BB391_11 Depth=1
	v_bfrev_b32_e32 v124, 1
	s_mov_b32 s22, exec_lo
	v_cmpx_ne_u16_e32 0x80, v0
	s_cbranch_execz .LBB391_578
; %bb.573:                              ;   in Loop: Header=BB391_11 Depth=1
	v_bfe_u32 v1, v31, 16, 7
	v_mov_b32_e32 v124, 0x7f800001
	s_mov_b32 s23, exec_lo
	v_cmpx_ne_u32_e32 0x7f, v1
	s_cbranch_execz .LBB391_577
; %bb.574:                              ;   in Loop: Header=BB391_11 Depth=1
	v_and_b32_sdwa v18, v31, v67 dst_sel:DWORD dst_unused:UNUSED_PAD src0_sel:WORD_1 src1_sel:DWORD
	v_mov_b32_e32 v33, v19
	v_lshrrev_b32_e32 v0, 3, v1
	s_mov_b32 s24, exec_lo
	v_mov_b32_e32 v32, v18
	v_cmpx_gt_u32_e32 8, v1
; %bb.575:                              ;   in Loop: Header=BB391_11 Depth=1
	v_ffbh_u32_e32 v0, v18
	v_min_u32_e32 v0, 32, v0
	v_subrev_nc_u32_e32 v1, 28, v0
	v_sub_nc_u32_e32 v0, 29, v0
	v_lshlrev_b64 v[1:2], v1, v[18:19]
	v_and_b32_e32 v32, 7, v1
; %bb.576:                              ;   in Loop: Header=BB391_11 Depth=1
	s_or_b32 exec_lo, exec_lo, s24
	v_lshlrev_b32_sdwa v1, v68, v31 dst_sel:DWORD dst_unused:UNUSED_PAD src0_sel:DWORD src1_sel:WORD_1
	v_lshlrev_b32_e32 v2, 20, v32
	v_lshl_add_u32 v0, v0, 23, 0x3c000000
	v_and_b32_e32 v1, 0x80000000, v1
	v_or3_b32 v124, v2, v1, v0
.LBB391_577:                            ;   in Loop: Header=BB391_11 Depth=1
	s_or_b32 exec_lo, exec_lo, s23
.LBB391_578:                            ;   in Loop: Header=BB391_11 Depth=1
	s_or_b32 exec_lo, exec_lo, s22
.LBB391_579:                            ;   in Loop: Header=BB391_11 Depth=1
	s_or_b32 exec_lo, exec_lo, s6
	v_mov_b32_e32 v127, 0
	v_mov_b32_e32 v126, 0
	s_mov_b32 s6, exec_lo
	v_cmpx_lt_u64_e64 s[8:9], v[30:31]
	s_cbranch_execz .LBB391_587
; %bb.580:                              ;   in Loop: Header=BB391_11 Depth=1
	v_cmp_ne_u32_sdwa s5, v31, v55 src0_sel:BYTE_3 src1_sel:DWORD
	v_bfrev_b32_e32 v126, 1
	s_and_saveexec_b32 s22, s5
	s_cbranch_execz .LBB391_586
; %bb.581:                              ;   in Loop: Header=BB391_11 Depth=1
	v_bfe_u32 v1, v31, 24, 7
	v_mov_b32_e32 v126, 0x7f800001
	s_mov_b32 s23, exec_lo
	v_cmpx_ne_u32_e32 0x7f, v1
	s_cbranch_execz .LBB391_585
; %bb.582:                              ;   in Loop: Header=BB391_11 Depth=1
	v_and_b32_sdwa v18, v31, v67 dst_sel:DWORD dst_unused:UNUSED_PAD src0_sel:BYTE_3 src1_sel:DWORD
	v_mov_b32_e32 v33, v19
	v_lshrrev_b32_e32 v0, 3, v1
	s_mov_b32 s24, exec_lo
	v_mov_b32_e32 v32, v18
	v_cmpx_gt_u32_e32 8, v1
; %bb.583:                              ;   in Loop: Header=BB391_11 Depth=1
	v_ffbh_u32_e32 v0, v18
	v_min_u32_e32 v0, 32, v0
	v_subrev_nc_u32_e32 v1, 28, v0
	v_sub_nc_u32_e32 v0, 29, v0
	v_lshlrev_b64 v[1:2], v1, v[18:19]
	v_and_b32_e32 v32, 7, v1
; %bb.584:                              ;   in Loop: Header=BB391_11 Depth=1
	s_or_b32 exec_lo, exec_lo, s24
	v_lshlrev_b32_sdwa v1, v68, v31 dst_sel:DWORD dst_unused:UNUSED_PAD src0_sel:DWORD src1_sel:BYTE_3
	v_lshlrev_b32_e32 v2, 20, v32
	v_lshl_add_u32 v0, v0, 23, 0x3c000000
	v_and_b32_e32 v1, 0x80000000, v1
	v_or3_b32 v126, v2, v1, v0
.LBB391_585:                            ;   in Loop: Header=BB391_11 Depth=1
	s_or_b32 exec_lo, exec_lo, s23
.LBB391_586:                            ;   in Loop: Header=BB391_11 Depth=1
	s_or_b32 exec_lo, exec_lo, s22
.LBB391_587:                            ;   in Loop: Header=BB391_11 Depth=1
	s_or_b32 exec_lo, exec_lo, s6
	flat_load_dwordx2 v[30:31], v[28:29] offset:8
	s_waitcnt vmcnt(0) lgkmcnt(0)
	v_cmp_ne_u16_sdwa s5, v30, v19 src0_sel:BYTE_0 src1_sel:DWORD
	s_and_saveexec_b32 s6, s5
	s_cbranch_execz .LBB391_595
; %bb.588:                              ;   in Loop: Header=BB391_11 Depth=1
	v_cmp_ne_u16_sdwa s5, v30, v55 src0_sel:BYTE_0 src1_sel:DWORD
	v_bfrev_b32_e32 v127, 1
	s_and_saveexec_b32 s22, s5
	s_cbranch_execz .LBB391_594
; %bb.589:                              ;   in Loop: Header=BB391_11 Depth=1
	v_and_b32_e32 v1, 0x7f, v30
	v_mov_b32_e32 v127, 0x7f800001
	s_mov_b32 s23, exec_lo
	v_cmpx_ne_u32_e32 0x7f, v1
	s_cbranch_execz .LBB391_593
; %bb.590:                              ;   in Loop: Header=BB391_11 Depth=1
	v_mov_b32_e32 v33, v31
	v_lshrrev_b32_e32 v0, 3, v1
	v_mov_b32_e32 v32, v30
	s_mov_b32 s24, exec_lo
	v_cmpx_gt_u32_e32 8, v1
; %bb.591:                              ;   in Loop: Header=BB391_11 Depth=1
	v_and_b32_e32 v0, 7, v30
	v_ffbh_u32_e32 v0, v0
	v_min_u32_e32 v0, 32, v0
	v_subrev_nc_u32_e32 v1, 28, v0
	v_sub_nc_u32_e32 v0, 29, v0
	v_lshlrev_b64 v[32:33], v1, v[30:31]
; %bb.592:                              ;   in Loop: Header=BB391_11 Depth=1
	s_or_b32 exec_lo, exec_lo, s24
	v_lshlrev_b32_e32 v1, 20, v32
	v_lshlrev_b32_e32 v2, 24, v30
	v_lshl_add_u32 v0, v0, 23, 0x3c000000
	v_and_b32_e32 v1, 0x700000, v1
	v_and_b32_e32 v2, 0x80000000, v2
	v_or3_b32 v127, v1, v2, v0
.LBB391_593:                            ;   in Loop: Header=BB391_11 Depth=1
	s_or_b32 exec_lo, exec_lo, s23
.LBB391_594:                            ;   in Loop: Header=BB391_11 Depth=1
	s_or_b32 exec_lo, exec_lo, s22
.LBB391_595:                            ;   in Loop: Header=BB391_11 Depth=1
	s_or_b32 exec_lo, exec_lo, s6
	v_cmp_ne_u16_sdwa s5, v30, v19 src0_sel:BYTE_1 src1_sel:DWORD
	v_mov_b32_e32 v5, 0
	v_mov_b32_e32 v36, 0
	s_and_saveexec_b32 s6, s5
	s_cbranch_execz .LBB391_603
; %bb.596:                              ;   in Loop: Header=BB391_11 Depth=1
	v_cmp_ne_u16_sdwa s5, v30, v55 src0_sel:BYTE_1 src1_sel:DWORD
	v_bfrev_b32_e32 v36, 1
	s_and_saveexec_b32 s22, s5
	s_cbranch_execz .LBB391_602
; %bb.597:                              ;   in Loop: Header=BB391_11 Depth=1
	v_mov_b32_e32 v0, 0xffff
	v_mov_b32_e32 v36, 0x7f800001
	s_mov_b32 s23, exec_lo
	v_and_b32_sdwa v0, v0, v30 dst_sel:DWORD dst_unused:UNUSED_PAD src0_sel:DWORD src1_sel:BYTE_1
	v_and_b32_e32 v1, 0x7f, v0
	v_cmpx_ne_u32_e32 0x7f, v1
	s_cbranch_execz .LBB391_601
; %bb.598:                              ;   in Loop: Header=BB391_11 Depth=1
	v_and_b32_e32 v18, 7, v0
	v_mov_b32_e32 v33, v19
	v_lshrrev_b32_e32 v0, 3, v1
	s_mov_b32 s24, exec_lo
	v_mov_b32_e32 v32, v18
	v_cmpx_gt_u32_e32 8, v1
; %bb.599:                              ;   in Loop: Header=BB391_11 Depth=1
	v_ffbh_u32_e32 v0, v18
	v_min_u32_e32 v0, 32, v0
	v_subrev_nc_u32_e32 v1, 28, v0
	v_sub_nc_u32_e32 v0, 29, v0
	v_lshlrev_b64 v[1:2], v1, v[18:19]
	v_and_b32_e32 v32, 7, v1
; %bb.600:                              ;   in Loop: Header=BB391_11 Depth=1
	s_or_b32 exec_lo, exec_lo, s24
	v_lshlrev_b32_e32 v1, 16, v30
	v_lshlrev_b32_e32 v2, 20, v32
	v_lshl_add_u32 v0, v0, 23, 0x3c000000
	v_and_b32_e32 v1, 0x80000000, v1
	v_or3_b32 v36, v2, v1, v0
.LBB391_601:                            ;   in Loop: Header=BB391_11 Depth=1
	s_or_b32 exec_lo, exec_lo, s23
.LBB391_602:                            ;   in Loop: Header=BB391_11 Depth=1
	s_or_b32 exec_lo, exec_lo, s22
.LBB391_603:                            ;   in Loop: Header=BB391_11 Depth=1
	s_or_b32 exec_lo, exec_lo, s6
	v_and_b32_sdwa v0, v30, v66 dst_sel:DWORD dst_unused:UNUSED_PAD src0_sel:WORD_1 src1_sel:DWORD
	s_mov_b32 s6, exec_lo
	v_cmpx_ne_u16_e32 0, v0
	s_cbranch_execz .LBB391_611
; %bb.604:                              ;   in Loop: Header=BB391_11 Depth=1
	v_bfrev_b32_e32 v5, 1
	s_mov_b32 s22, exec_lo
	v_cmpx_ne_u16_e32 0x80, v0
	s_cbranch_execz .LBB391_610
; %bb.605:                              ;   in Loop: Header=BB391_11 Depth=1
	v_bfe_u32 v1, v30, 16, 7
	v_mov_b32_e32 v5, 0x7f800001
	s_mov_b32 s23, exec_lo
	v_cmpx_ne_u32_e32 0x7f, v1
	s_cbranch_execz .LBB391_609
; %bb.606:                              ;   in Loop: Header=BB391_11 Depth=1
	v_and_b32_sdwa v18, v30, v67 dst_sel:DWORD dst_unused:UNUSED_PAD src0_sel:WORD_1 src1_sel:DWORD
	v_mov_b32_e32 v33, v19
	v_lshrrev_b32_e32 v0, 3, v1
	s_mov_b32 s24, exec_lo
	v_mov_b32_e32 v32, v18
	v_cmpx_gt_u32_e32 8, v1
; %bb.607:                              ;   in Loop: Header=BB391_11 Depth=1
	v_ffbh_u32_e32 v0, v18
	v_min_u32_e32 v0, 32, v0
	v_subrev_nc_u32_e32 v1, 28, v0
	v_sub_nc_u32_e32 v0, 29, v0
	v_lshlrev_b64 v[1:2], v1, v[18:19]
	v_and_b32_e32 v32, 7, v1
; %bb.608:                              ;   in Loop: Header=BB391_11 Depth=1
	s_or_b32 exec_lo, exec_lo, s24
	v_lshlrev_b32_sdwa v1, v68, v30 dst_sel:DWORD dst_unused:UNUSED_PAD src0_sel:DWORD src1_sel:WORD_1
	v_lshlrev_b32_e32 v2, 20, v32
	v_lshl_add_u32 v0, v0, 23, 0x3c000000
	v_and_b32_e32 v1, 0x80000000, v1
	v_or3_b32 v5, v2, v1, v0
.LBB391_609:                            ;   in Loop: Header=BB391_11 Depth=1
	s_or_b32 exec_lo, exec_lo, s23
.LBB391_610:                            ;   in Loop: Header=BB391_11 Depth=1
	s_or_b32 exec_lo, exec_lo, s22
.LBB391_611:                            ;   in Loop: Header=BB391_11 Depth=1
	s_or_b32 exec_lo, exec_lo, s6
	v_mov_b32_e32 v39, 0
	v_mov_b32_e32 v4, 0
	s_mov_b32 s6, exec_lo
	v_cmpx_lt_u32_e32 0xffffff, v30
	s_cbranch_execz .LBB391_619
; %bb.612:                              ;   in Loop: Header=BB391_11 Depth=1
	v_cmp_ne_u32_sdwa s5, v30, v55 src0_sel:BYTE_3 src1_sel:DWORD
	v_bfrev_b32_e32 v4, 1
	s_and_saveexec_b32 s22, s5
	s_cbranch_execz .LBB391_618
; %bb.613:                              ;   in Loop: Header=BB391_11 Depth=1
	v_bfe_u32 v1, v30, 24, 7
	v_mov_b32_e32 v4, 0x7f800001
	s_mov_b32 s23, exec_lo
	v_cmpx_ne_u32_e32 0x7f, v1
	s_cbranch_execz .LBB391_617
; %bb.614:                              ;   in Loop: Header=BB391_11 Depth=1
	v_and_b32_sdwa v18, v30, v67 dst_sel:DWORD dst_unused:UNUSED_PAD src0_sel:BYTE_3 src1_sel:DWORD
	v_mov_b32_e32 v33, v19
	v_lshrrev_b32_e32 v0, 3, v1
	s_mov_b32 s24, exec_lo
	v_mov_b32_e32 v32, v18
	v_cmpx_gt_u32_e32 8, v1
; %bb.615:                              ;   in Loop: Header=BB391_11 Depth=1
	v_ffbh_u32_e32 v0, v18
	v_min_u32_e32 v0, 32, v0
	v_subrev_nc_u32_e32 v1, 28, v0
	v_sub_nc_u32_e32 v0, 29, v0
	v_lshlrev_b64 v[1:2], v1, v[18:19]
	v_and_b32_e32 v32, 7, v1
; %bb.616:                              ;   in Loop: Header=BB391_11 Depth=1
	s_or_b32 exec_lo, exec_lo, s24
	v_lshlrev_b32_sdwa v1, v68, v30 dst_sel:DWORD dst_unused:UNUSED_PAD src0_sel:DWORD src1_sel:BYTE_3
	v_lshlrev_b32_e32 v2, 20, v32
	v_lshl_add_u32 v0, v0, 23, 0x3c000000
	v_and_b32_e32 v1, 0x80000000, v1
	v_or3_b32 v4, v2, v1, v0
.LBB391_617:                            ;   in Loop: Header=BB391_11 Depth=1
	s_or_b32 exec_lo, exec_lo, s23
.LBB391_618:                            ;   in Loop: Header=BB391_11 Depth=1
	s_or_b32 exec_lo, exec_lo, s22
.LBB391_619:                            ;   in Loop: Header=BB391_11 Depth=1
	s_or_b32 exec_lo, exec_lo, s6
	v_mov_b32_e32 v18, v31
	v_cmp_ne_u16_sdwa s5, v31, v19 src0_sel:BYTE_0 src1_sel:DWORD
	s_and_saveexec_b32 s6, s5
	s_cbranch_execz .LBB391_627
; %bb.620:                              ;   in Loop: Header=BB391_11 Depth=1
	v_cmp_ne_u16_sdwa s5, v31, v55 src0_sel:BYTE_0 src1_sel:DWORD
	v_bfrev_b32_e32 v39, 1
	s_and_saveexec_b32 s22, s5
	s_cbranch_execz .LBB391_626
; %bb.621:                              ;   in Loop: Header=BB391_11 Depth=1
	v_and_b32_e32 v1, 0x7f, v31
	v_mov_b32_e32 v39, 0x7f800001
	s_mov_b32 s23, exec_lo
	v_cmpx_ne_u32_e32 0x7f, v1
	s_cbranch_execz .LBB391_625
; %bb.622:                              ;   in Loop: Header=BB391_11 Depth=1
	v_mov_b32_e32 v33, v19
	v_lshrrev_b32_e32 v0, 3, v1
	v_mov_b32_e32 v32, v18
	s_mov_b32 s24, exec_lo
	v_cmpx_gt_u32_e32 8, v1
; %bb.623:                              ;   in Loop: Header=BB391_11 Depth=1
	v_and_b32_e32 v0, 7, v31
	v_ffbh_u32_e32 v0, v0
	v_min_u32_e32 v0, 32, v0
	v_subrev_nc_u32_e32 v1, 28, v0
	v_sub_nc_u32_e32 v0, 29, v0
	v_lshlrev_b64 v[32:33], v1, v[18:19]
; %bb.624:                              ;   in Loop: Header=BB391_11 Depth=1
	s_or_b32 exec_lo, exec_lo, s24
	v_lshlrev_b32_e32 v1, 20, v32
	v_lshlrev_b32_e32 v2, 24, v18
	v_lshl_add_u32 v0, v0, 23, 0x3c000000
	v_and_b32_e32 v1, 0x700000, v1
	v_and_b32_e32 v2, 0x80000000, v2
	v_or3_b32 v39, v1, v2, v0
.LBB391_625:                            ;   in Loop: Header=BB391_11 Depth=1
	s_or_b32 exec_lo, exec_lo, s23
.LBB391_626:                            ;   in Loop: Header=BB391_11 Depth=1
	s_or_b32 exec_lo, exec_lo, s22
.LBB391_627:                            ;   in Loop: Header=BB391_11 Depth=1
	s_or_b32 exec_lo, exec_lo, s6
	v_cmp_ne_u16_sdwa s5, v18, v19 src0_sel:BYTE_1 src1_sel:DWORD
	v_mov_b32_e32 v37, 0
	v_mov_b32_e32 v64, 0
	s_and_saveexec_b32 s6, s5
	s_cbranch_execz .LBB391_635
; %bb.628:                              ;   in Loop: Header=BB391_11 Depth=1
	v_cmp_ne_u16_sdwa s5, v18, v55 src0_sel:BYTE_1 src1_sel:DWORD
	v_bfrev_b32_e32 v64, 1
	s_and_saveexec_b32 s22, s5
	s_cbranch_execz .LBB391_634
; %bb.629:                              ;   in Loop: Header=BB391_11 Depth=1
	v_mov_b32_e32 v0, 0xffff
	v_mov_b32_e32 v64, 0x7f800001
	s_mov_b32 s23, exec_lo
	v_and_b32_sdwa v0, v0, v18 dst_sel:DWORD dst_unused:UNUSED_PAD src0_sel:DWORD src1_sel:BYTE_1
	v_and_b32_e32 v1, 0x7f, v0
	v_cmpx_ne_u32_e32 0x7f, v1
	s_cbranch_execz .LBB391_633
; %bb.630:                              ;   in Loop: Header=BB391_11 Depth=1
	v_and_b32_e32 v32, 7, v0
	v_mov_b32_e32 v33, v19
	v_lshrrev_b32_e32 v0, 3, v1
	s_mov_b32 s24, exec_lo
	v_cmpx_gt_u32_e32 8, v1
; %bb.631:                              ;   in Loop: Header=BB391_11 Depth=1
	v_ffbh_u32_e32 v0, v32
	v_min_u32_e32 v0, 32, v0
	v_subrev_nc_u32_e32 v1, 28, v0
	v_sub_nc_u32_e32 v0, 29, v0
	v_lshlrev_b64 v[1:2], v1, v[32:33]
	v_and_b32_e32 v32, 7, v1
; %bb.632:                              ;   in Loop: Header=BB391_11 Depth=1
	s_or_b32 exec_lo, exec_lo, s24
	v_lshlrev_b32_e32 v1, 16, v18
	v_lshlrev_b32_e32 v2, 20, v32
	v_lshl_add_u32 v0, v0, 23, 0x3c000000
	v_and_b32_e32 v1, 0x80000000, v1
	v_or3_b32 v64, v2, v1, v0
.LBB391_633:                            ;   in Loop: Header=BB391_11 Depth=1
	s_or_b32 exec_lo, exec_lo, s23
.LBB391_634:                            ;   in Loop: Header=BB391_11 Depth=1
	s_or_b32 exec_lo, exec_lo, s22
.LBB391_635:                            ;   in Loop: Header=BB391_11 Depth=1
	s_or_b32 exec_lo, exec_lo, s6
	v_and_b32_sdwa v0, v31, v66 dst_sel:DWORD dst_unused:UNUSED_PAD src0_sel:WORD_1 src1_sel:DWORD
	s_mov_b32 s6, exec_lo
	v_cmpx_ne_u16_e32 0, v0
	s_cbranch_execz .LBB391_643
; %bb.636:                              ;   in Loop: Header=BB391_11 Depth=1
	v_bfrev_b32_e32 v37, 1
	s_mov_b32 s22, exec_lo
	v_cmpx_ne_u16_e32 0x80, v0
	s_cbranch_execz .LBB391_642
; %bb.637:                              ;   in Loop: Header=BB391_11 Depth=1
	v_bfe_u32 v1, v31, 16, 7
	v_mov_b32_e32 v37, 0x7f800001
	s_mov_b32 s23, exec_lo
	v_cmpx_ne_u32_e32 0x7f, v1
	s_cbranch_execz .LBB391_641
; %bb.638:                              ;   in Loop: Header=BB391_11 Depth=1
	v_and_b32_sdwa v18, v31, v67 dst_sel:DWORD dst_unused:UNUSED_PAD src0_sel:WORD_1 src1_sel:DWORD
	v_mov_b32_e32 v33, v19
	v_lshrrev_b32_e32 v0, 3, v1
	s_mov_b32 s24, exec_lo
	v_mov_b32_e32 v32, v18
	v_cmpx_gt_u32_e32 8, v1
; %bb.639:                              ;   in Loop: Header=BB391_11 Depth=1
	v_ffbh_u32_e32 v0, v18
	v_min_u32_e32 v0, 32, v0
	v_subrev_nc_u32_e32 v1, 28, v0
	v_sub_nc_u32_e32 v0, 29, v0
	v_lshlrev_b64 v[1:2], v1, v[18:19]
	v_and_b32_e32 v32, 7, v1
; %bb.640:                              ;   in Loop: Header=BB391_11 Depth=1
	s_or_b32 exec_lo, exec_lo, s24
	v_lshlrev_b32_sdwa v1, v68, v31 dst_sel:DWORD dst_unused:UNUSED_PAD src0_sel:DWORD src1_sel:WORD_1
	v_lshlrev_b32_e32 v2, 20, v32
	v_lshl_add_u32 v0, v0, 23, 0x3c000000
	v_and_b32_e32 v1, 0x80000000, v1
	v_or3_b32 v37, v2, v1, v0
.LBB391_641:                            ;   in Loop: Header=BB391_11 Depth=1
	s_or_b32 exec_lo, exec_lo, s23
.LBB391_642:                            ;   in Loop: Header=BB391_11 Depth=1
	s_or_b32 exec_lo, exec_lo, s22
.LBB391_643:                            ;   in Loop: Header=BB391_11 Depth=1
	s_or_b32 exec_lo, exec_lo, s6
	v_mov_b32_e32 v11, 0
	v_mov_b32_e32 v12, 0
	s_mov_b32 s6, exec_lo
	v_cmpx_lt_u64_e64 s[8:9], v[30:31]
	s_cbranch_execz .LBB391_651
; %bb.644:                              ;   in Loop: Header=BB391_11 Depth=1
	v_cmp_ne_u32_sdwa s5, v31, v55 src0_sel:BYTE_3 src1_sel:DWORD
	v_bfrev_b32_e32 v12, 1
	s_and_saveexec_b32 s22, s5
	s_cbranch_execz .LBB391_650
; %bb.645:                              ;   in Loop: Header=BB391_11 Depth=1
	v_bfe_u32 v1, v31, 24, 7
	v_mov_b32_e32 v12, 0x7f800001
	s_mov_b32 s23, exec_lo
	v_cmpx_ne_u32_e32 0x7f, v1
	s_cbranch_execz .LBB391_649
; %bb.646:                              ;   in Loop: Header=BB391_11 Depth=1
	v_and_b32_sdwa v18, v31, v67 dst_sel:DWORD dst_unused:UNUSED_PAD src0_sel:BYTE_3 src1_sel:DWORD
	v_mov_b32_e32 v33, v19
	v_lshrrev_b32_e32 v0, 3, v1
	s_mov_b32 s24, exec_lo
	v_mov_b32_e32 v32, v18
	v_cmpx_gt_u32_e32 8, v1
; %bb.647:                              ;   in Loop: Header=BB391_11 Depth=1
	v_ffbh_u32_e32 v0, v18
	v_min_u32_e32 v0, 32, v0
	v_subrev_nc_u32_e32 v1, 28, v0
	v_sub_nc_u32_e32 v0, 29, v0
	v_lshlrev_b64 v[1:2], v1, v[18:19]
	v_and_b32_e32 v32, 7, v1
; %bb.648:                              ;   in Loop: Header=BB391_11 Depth=1
	s_or_b32 exec_lo, exec_lo, s24
	v_lshlrev_b32_sdwa v1, v68, v31 dst_sel:DWORD dst_unused:UNUSED_PAD src0_sel:DWORD src1_sel:BYTE_3
	v_lshlrev_b32_e32 v2, 20, v32
	v_lshl_add_u32 v0, v0, 23, 0x3c000000
	v_and_b32_e32 v1, 0x80000000, v1
	v_or3_b32 v12, v2, v1, v0
.LBB391_649:                            ;   in Loop: Header=BB391_11 Depth=1
	s_or_b32 exec_lo, exec_lo, s23
.LBB391_650:                            ;   in Loop: Header=BB391_11 Depth=1
	s_or_b32 exec_lo, exec_lo, s22
.LBB391_651:                            ;   in Loop: Header=BB391_11 Depth=1
	s_or_b32 exec_lo, exec_lo, s6
	flat_load_dwordx2 v[30:31], v[28:29] offset:512
	s_waitcnt vmcnt(0) lgkmcnt(0)
	v_cmp_ne_u16_sdwa s5, v30, v19 src0_sel:BYTE_0 src1_sel:DWORD
	s_and_saveexec_b32 s6, s5
	s_cbranch_execz .LBB391_659
; %bb.652:                              ;   in Loop: Header=BB391_11 Depth=1
	v_cmp_ne_u16_sdwa s5, v30, v55 src0_sel:BYTE_0 src1_sel:DWORD
	v_bfrev_b32_e32 v11, 1
	s_and_saveexec_b32 s22, s5
	s_cbranch_execz .LBB391_658
; %bb.653:                              ;   in Loop: Header=BB391_11 Depth=1
	v_and_b32_e32 v1, 0x7f, v30
	v_mov_b32_e32 v11, 0x7f800001
	s_mov_b32 s23, exec_lo
	v_cmpx_ne_u32_e32 0x7f, v1
	s_cbranch_execz .LBB391_657
; %bb.654:                              ;   in Loop: Header=BB391_11 Depth=1
	v_mov_b32_e32 v33, v31
	v_lshrrev_b32_e32 v0, 3, v1
	v_mov_b32_e32 v32, v30
	s_mov_b32 s24, exec_lo
	v_cmpx_gt_u32_e32 8, v1
; %bb.655:                              ;   in Loop: Header=BB391_11 Depth=1
	v_and_b32_e32 v0, 7, v30
	v_ffbh_u32_e32 v0, v0
	v_min_u32_e32 v0, 32, v0
	v_subrev_nc_u32_e32 v1, 28, v0
	v_sub_nc_u32_e32 v0, 29, v0
	v_lshlrev_b64 v[32:33], v1, v[30:31]
; %bb.656:                              ;   in Loop: Header=BB391_11 Depth=1
	s_or_b32 exec_lo, exec_lo, s24
	v_lshlrev_b32_e32 v1, 20, v32
	v_lshlrev_b32_e32 v2, 24, v30
	v_lshl_add_u32 v0, v0, 23, 0x3c000000
	v_and_b32_e32 v1, 0x700000, v1
	v_and_b32_e32 v2, 0x80000000, v2
	v_or3_b32 v11, v1, v2, v0
.LBB391_657:                            ;   in Loop: Header=BB391_11 Depth=1
	s_or_b32 exec_lo, exec_lo, s23
.LBB391_658:                            ;   in Loop: Header=BB391_11 Depth=1
	s_or_b32 exec_lo, exec_lo, s22
.LBB391_659:                            ;   in Loop: Header=BB391_11 Depth=1
	s_or_b32 exec_lo, exec_lo, s6
	v_cmp_ne_u16_sdwa s5, v30, v19 src0_sel:BYTE_1 src1_sel:DWORD
	v_mov_b32_e32 v6, 0
	v_mov_b32_e32 v10, 0
	s_and_saveexec_b32 s6, s5
	s_cbranch_execz .LBB391_667
; %bb.660:                              ;   in Loop: Header=BB391_11 Depth=1
	v_cmp_ne_u16_sdwa s5, v30, v55 src0_sel:BYTE_1 src1_sel:DWORD
	v_bfrev_b32_e32 v10, 1
	s_and_saveexec_b32 s22, s5
	s_cbranch_execz .LBB391_666
; %bb.661:                              ;   in Loop: Header=BB391_11 Depth=1
	v_mov_b32_e32 v0, 0xffff
	v_mov_b32_e32 v10, 0x7f800001
	s_mov_b32 s23, exec_lo
	v_and_b32_sdwa v0, v0, v30 dst_sel:DWORD dst_unused:UNUSED_PAD src0_sel:DWORD src1_sel:BYTE_1
	v_and_b32_e32 v1, 0x7f, v0
	v_cmpx_ne_u32_e32 0x7f, v1
	s_cbranch_execz .LBB391_665
; %bb.662:                              ;   in Loop: Header=BB391_11 Depth=1
	v_and_b32_e32 v18, 7, v0
	v_mov_b32_e32 v33, v19
	v_lshrrev_b32_e32 v0, 3, v1
	s_mov_b32 s24, exec_lo
	v_mov_b32_e32 v32, v18
	v_cmpx_gt_u32_e32 8, v1
; %bb.663:                              ;   in Loop: Header=BB391_11 Depth=1
	v_ffbh_u32_e32 v0, v18
	v_min_u32_e32 v0, 32, v0
	v_subrev_nc_u32_e32 v1, 28, v0
	v_sub_nc_u32_e32 v0, 29, v0
	v_lshlrev_b64 v[1:2], v1, v[18:19]
	v_and_b32_e32 v32, 7, v1
; %bb.664:                              ;   in Loop: Header=BB391_11 Depth=1
	s_or_b32 exec_lo, exec_lo, s24
	v_lshlrev_b32_e32 v1, 16, v30
	v_lshlrev_b32_e32 v2, 20, v32
	v_lshl_add_u32 v0, v0, 23, 0x3c000000
	v_and_b32_e32 v1, 0x80000000, v1
	v_or3_b32 v10, v2, v1, v0
.LBB391_665:                            ;   in Loop: Header=BB391_11 Depth=1
	s_or_b32 exec_lo, exec_lo, s23
.LBB391_666:                            ;   in Loop: Header=BB391_11 Depth=1
	s_or_b32 exec_lo, exec_lo, s22
.LBB391_667:                            ;   in Loop: Header=BB391_11 Depth=1
	s_or_b32 exec_lo, exec_lo, s6
	v_and_b32_sdwa v0, v30, v66 dst_sel:DWORD dst_unused:UNUSED_PAD src0_sel:WORD_1 src1_sel:DWORD
	s_mov_b32 s6, exec_lo
	v_cmpx_ne_u16_e32 0, v0
	s_cbranch_execz .LBB391_675
; %bb.668:                              ;   in Loop: Header=BB391_11 Depth=1
	v_bfrev_b32_e32 v6, 1
	s_mov_b32 s22, exec_lo
	v_cmpx_ne_u16_e32 0x80, v0
	s_cbranch_execz .LBB391_674
; %bb.669:                              ;   in Loop: Header=BB391_11 Depth=1
	v_bfe_u32 v1, v30, 16, 7
	v_mov_b32_e32 v6, 0x7f800001
	s_mov_b32 s23, exec_lo
	v_cmpx_ne_u32_e32 0x7f, v1
	s_cbranch_execz .LBB391_673
; %bb.670:                              ;   in Loop: Header=BB391_11 Depth=1
	v_and_b32_sdwa v18, v30, v67 dst_sel:DWORD dst_unused:UNUSED_PAD src0_sel:WORD_1 src1_sel:DWORD
	v_mov_b32_e32 v33, v19
	v_lshrrev_b32_e32 v0, 3, v1
	s_mov_b32 s24, exec_lo
	v_mov_b32_e32 v32, v18
	v_cmpx_gt_u32_e32 8, v1
; %bb.671:                              ;   in Loop: Header=BB391_11 Depth=1
	v_ffbh_u32_e32 v0, v18
	v_min_u32_e32 v0, 32, v0
	v_subrev_nc_u32_e32 v1, 28, v0
	v_sub_nc_u32_e32 v0, 29, v0
	v_lshlrev_b64 v[1:2], v1, v[18:19]
	v_and_b32_e32 v32, 7, v1
; %bb.672:                              ;   in Loop: Header=BB391_11 Depth=1
	s_or_b32 exec_lo, exec_lo, s24
	v_lshlrev_b32_sdwa v1, v68, v30 dst_sel:DWORD dst_unused:UNUSED_PAD src0_sel:DWORD src1_sel:WORD_1
	v_lshlrev_b32_e32 v2, 20, v32
	v_lshl_add_u32 v0, v0, 23, 0x3c000000
	v_and_b32_e32 v1, 0x80000000, v1
	v_or3_b32 v6, v2, v1, v0
.LBB391_673:                            ;   in Loop: Header=BB391_11 Depth=1
	s_or_b32 exec_lo, exec_lo, s23
.LBB391_674:                            ;   in Loop: Header=BB391_11 Depth=1
	s_or_b32 exec_lo, exec_lo, s22
.LBB391_675:                            ;   in Loop: Header=BB391_11 Depth=1
	s_or_b32 exec_lo, exec_lo, s6
	v_mov_b32_e32 v2, 0
	v_mov_b32_e32 v7, 0
	s_mov_b32 s6, exec_lo
	v_cmpx_lt_u32_e32 0xffffff, v30
	s_cbranch_execz .LBB391_683
; %bb.676:                              ;   in Loop: Header=BB391_11 Depth=1
	v_cmp_ne_u32_sdwa s5, v30, v55 src0_sel:BYTE_3 src1_sel:DWORD
	v_bfrev_b32_e32 v7, 1
	s_and_saveexec_b32 s22, s5
	s_cbranch_execz .LBB391_682
; %bb.677:                              ;   in Loop: Header=BB391_11 Depth=1
	v_bfe_u32 v1, v30, 24, 7
	v_mov_b32_e32 v7, 0x7f800001
	s_mov_b32 s23, exec_lo
	v_cmpx_ne_u32_e32 0x7f, v1
	s_cbranch_execz .LBB391_681
; %bb.678:                              ;   in Loop: Header=BB391_11 Depth=1
	v_and_b32_sdwa v18, v30, v67 dst_sel:DWORD dst_unused:UNUSED_PAD src0_sel:BYTE_3 src1_sel:DWORD
	v_mov_b32_e32 v33, v19
	v_lshrrev_b32_e32 v0, 3, v1
	s_mov_b32 s24, exec_lo
	v_mov_b32_e32 v32, v18
	v_cmpx_gt_u32_e32 8, v1
; %bb.679:                              ;   in Loop: Header=BB391_11 Depth=1
	v_ffbh_u32_e32 v0, v18
	v_min_u32_e32 v0, 32, v0
	v_subrev_nc_u32_e32 v1, 28, v0
	v_sub_nc_u32_e32 v0, 29, v0
	v_lshlrev_b64 v[7:8], v1, v[18:19]
	v_and_b32_e32 v32, 7, v7
; %bb.680:                              ;   in Loop: Header=BB391_11 Depth=1
	s_or_b32 exec_lo, exec_lo, s24
	v_lshlrev_b32_sdwa v1, v68, v30 dst_sel:DWORD dst_unused:UNUSED_PAD src0_sel:DWORD src1_sel:BYTE_3
	v_lshlrev_b32_e32 v3, 20, v32
	v_lshl_add_u32 v0, v0, 23, 0x3c000000
	v_and_b32_e32 v1, 0x80000000, v1
	v_or3_b32 v7, v3, v1, v0
.LBB391_681:                            ;   in Loop: Header=BB391_11 Depth=1
	s_or_b32 exec_lo, exec_lo, s23
.LBB391_682:                            ;   in Loop: Header=BB391_11 Depth=1
	s_or_b32 exec_lo, exec_lo, s22
.LBB391_683:                            ;   in Loop: Header=BB391_11 Depth=1
	s_or_b32 exec_lo, exec_lo, s6
	v_mov_b32_e32 v18, v31
	v_cmp_ne_u16_sdwa s5, v31, v19 src0_sel:BYTE_0 src1_sel:DWORD
	s_and_saveexec_b32 s6, s5
	s_cbranch_execz .LBB391_691
; %bb.684:                              ;   in Loop: Header=BB391_11 Depth=1
	v_cmp_ne_u16_sdwa s5, v31, v55 src0_sel:BYTE_0 src1_sel:DWORD
	v_bfrev_b32_e32 v2, 1
	s_and_saveexec_b32 s22, s5
	s_cbranch_execz .LBB391_690
; %bb.685:                              ;   in Loop: Header=BB391_11 Depth=1
	v_and_b32_e32 v1, 0x7f, v31
	v_mov_b32_e32 v2, 0x7f800001
	s_mov_b32 s23, exec_lo
	v_cmpx_ne_u32_e32 0x7f, v1
	s_cbranch_execz .LBB391_689
; %bb.686:                              ;   in Loop: Header=BB391_11 Depth=1
	v_mov_b32_e32 v33, v19
	v_lshrrev_b32_e32 v0, 3, v1
	v_mov_b32_e32 v32, v18
	s_mov_b32 s24, exec_lo
	v_cmpx_gt_u32_e32 8, v1
; %bb.687:                              ;   in Loop: Header=BB391_11 Depth=1
	v_and_b32_e32 v0, 7, v31
	v_ffbh_u32_e32 v0, v0
	v_min_u32_e32 v0, 32, v0
	v_subrev_nc_u32_e32 v1, 28, v0
	v_sub_nc_u32_e32 v0, 29, v0
	v_lshlrev_b64 v[32:33], v1, v[18:19]
; %bb.688:                              ;   in Loop: Header=BB391_11 Depth=1
	s_or_b32 exec_lo, exec_lo, s24
	v_lshlrev_b32_e32 v1, 20, v32
	v_lshlrev_b32_e32 v2, 24, v18
	v_lshl_add_u32 v0, v0, 23, 0x3c000000
	v_and_b32_e32 v1, 0x700000, v1
	v_and_b32_e32 v2, 0x80000000, v2
	v_or3_b32 v2, v1, v2, v0
.LBB391_689:                            ;   in Loop: Header=BB391_11 Depth=1
	s_or_b32 exec_lo, exec_lo, s23
.LBB391_690:                            ;   in Loop: Header=BB391_11 Depth=1
	s_or_b32 exec_lo, exec_lo, s22
.LBB391_691:                            ;   in Loop: Header=BB391_11 Depth=1
	s_or_b32 exec_lo, exec_lo, s6
	v_cmp_ne_u16_sdwa s5, v18, v19 src0_sel:BYTE_1 src1_sel:DWORD
	v_mov_b32_e32 v3, 0
	v_mov_b32_e32 v14, 0
	s_and_saveexec_b32 s6, s5
	s_cbranch_execz .LBB391_699
; %bb.692:                              ;   in Loop: Header=BB391_11 Depth=1
	v_cmp_ne_u16_sdwa s5, v18, v55 src0_sel:BYTE_1 src1_sel:DWORD
	v_bfrev_b32_e32 v14, 1
	s_and_saveexec_b32 s22, s5
	s_cbranch_execz .LBB391_698
; %bb.693:                              ;   in Loop: Header=BB391_11 Depth=1
	v_mov_b32_e32 v0, 0xffff
	v_mov_b32_e32 v14, 0x7f800001
	s_mov_b32 s23, exec_lo
	v_and_b32_sdwa v0, v0, v18 dst_sel:DWORD dst_unused:UNUSED_PAD src0_sel:DWORD src1_sel:BYTE_1
	v_and_b32_e32 v1, 0x7f, v0
	v_cmpx_ne_u32_e32 0x7f, v1
	s_cbranch_execz .LBB391_697
; %bb.694:                              ;   in Loop: Header=BB391_11 Depth=1
	v_and_b32_e32 v32, 7, v0
	v_mov_b32_e32 v33, v19
	v_lshrrev_b32_e32 v0, 3, v1
	s_mov_b32 s24, exec_lo
	v_cmpx_gt_u32_e32 8, v1
; %bb.695:                              ;   in Loop: Header=BB391_11 Depth=1
	v_ffbh_u32_e32 v0, v32
	v_min_u32_e32 v0, 32, v0
	v_subrev_nc_u32_e32 v1, 28, v0
	v_sub_nc_u32_e32 v0, 29, v0
	v_lshlrev_b64 v[8:9], v1, v[32:33]
	v_and_b32_e32 v32, 7, v8
; %bb.696:                              ;   in Loop: Header=BB391_11 Depth=1
	s_or_b32 exec_lo, exec_lo, s24
	v_lshlrev_b32_e32 v1, 16, v18
	v_lshlrev_b32_e32 v8, 20, v32
	v_lshl_add_u32 v0, v0, 23, 0x3c000000
	v_and_b32_e32 v1, 0x80000000, v1
	v_or3_b32 v14, v8, v1, v0
.LBB391_697:                            ;   in Loop: Header=BB391_11 Depth=1
	s_or_b32 exec_lo, exec_lo, s23
.LBB391_698:                            ;   in Loop: Header=BB391_11 Depth=1
	s_or_b32 exec_lo, exec_lo, s22
.LBB391_699:                            ;   in Loop: Header=BB391_11 Depth=1
	s_or_b32 exec_lo, exec_lo, s6
	v_and_b32_sdwa v0, v31, v66 dst_sel:DWORD dst_unused:UNUSED_PAD src0_sel:WORD_1 src1_sel:DWORD
	s_mov_b32 s6, exec_lo
	v_cmpx_ne_u16_e32 0, v0
	s_cbranch_execz .LBB391_707
; %bb.700:                              ;   in Loop: Header=BB391_11 Depth=1
	v_bfrev_b32_e32 v3, 1
	s_mov_b32 s22, exec_lo
	v_cmpx_ne_u16_e32 0x80, v0
	s_cbranch_execz .LBB391_706
; %bb.701:                              ;   in Loop: Header=BB391_11 Depth=1
	v_bfe_u32 v1, v31, 16, 7
	v_mov_b32_e32 v3, 0x7f800001
	s_mov_b32 s23, exec_lo
	v_cmpx_ne_u32_e32 0x7f, v1
	s_cbranch_execz .LBB391_705
; %bb.702:                              ;   in Loop: Header=BB391_11 Depth=1
	v_and_b32_sdwa v18, v31, v67 dst_sel:DWORD dst_unused:UNUSED_PAD src0_sel:WORD_1 src1_sel:DWORD
	v_mov_b32_e32 v33, v19
	v_lshrrev_b32_e32 v0, 3, v1
	s_mov_b32 s24, exec_lo
	v_mov_b32_e32 v32, v18
	v_cmpx_gt_u32_e32 8, v1
; %bb.703:                              ;   in Loop: Header=BB391_11 Depth=1
	v_ffbh_u32_e32 v0, v18
	v_min_u32_e32 v0, 32, v0
	v_subrev_nc_u32_e32 v1, 28, v0
	v_sub_nc_u32_e32 v0, 29, v0
	v_lshlrev_b64 v[8:9], v1, v[18:19]
	v_and_b32_e32 v32, 7, v8
; %bb.704:                              ;   in Loop: Header=BB391_11 Depth=1
	s_or_b32 exec_lo, exec_lo, s24
	v_lshlrev_b32_sdwa v1, v68, v31 dst_sel:DWORD dst_unused:UNUSED_PAD src0_sel:DWORD src1_sel:WORD_1
	v_lshlrev_b32_e32 v3, 20, v32
	v_lshl_add_u32 v0, v0, 23, 0x3c000000
	v_and_b32_e32 v1, 0x80000000, v1
	v_or3_b32 v3, v3, v1, v0
.LBB391_705:                            ;   in Loop: Header=BB391_11 Depth=1
	s_or_b32 exec_lo, exec_lo, s23
.LBB391_706:                            ;   in Loop: Header=BB391_11 Depth=1
	s_or_b32 exec_lo, exec_lo, s22
.LBB391_707:                            ;   in Loop: Header=BB391_11 Depth=1
	s_or_b32 exec_lo, exec_lo, s6
	v_mov_b32_e32 v23, 0
	v_mov_b32_e32 v15, 0
	s_mov_b32 s6, exec_lo
	v_cmpx_lt_u64_e64 s[8:9], v[30:31]
	s_cbranch_execz .LBB391_715
; %bb.708:                              ;   in Loop: Header=BB391_11 Depth=1
	v_cmp_ne_u32_sdwa s5, v31, v55 src0_sel:BYTE_3 src1_sel:DWORD
	v_bfrev_b32_e32 v15, 1
	s_and_saveexec_b32 s22, s5
	s_cbranch_execz .LBB391_714
; %bb.709:                              ;   in Loop: Header=BB391_11 Depth=1
	v_bfe_u32 v1, v31, 24, 7
	v_mov_b32_e32 v15, 0x7f800001
	s_mov_b32 s23, exec_lo
	v_cmpx_ne_u32_e32 0x7f, v1
	s_cbranch_execz .LBB391_713
; %bb.710:                              ;   in Loop: Header=BB391_11 Depth=1
	v_and_b32_sdwa v18, v31, v67 dst_sel:DWORD dst_unused:UNUSED_PAD src0_sel:BYTE_3 src1_sel:DWORD
	v_mov_b32_e32 v33, v19
	v_lshrrev_b32_e32 v0, 3, v1
	s_mov_b32 s24, exec_lo
	v_mov_b32_e32 v32, v18
	v_cmpx_gt_u32_e32 8, v1
; %bb.711:                              ;   in Loop: Header=BB391_11 Depth=1
	v_ffbh_u32_e32 v0, v18
	v_min_u32_e32 v0, 32, v0
	v_subrev_nc_u32_e32 v1, 28, v0
	v_sub_nc_u32_e32 v0, 29, v0
	v_lshlrev_b64 v[8:9], v1, v[18:19]
	v_and_b32_e32 v32, 7, v8
; %bb.712:                              ;   in Loop: Header=BB391_11 Depth=1
	s_or_b32 exec_lo, exec_lo, s24
	v_lshlrev_b32_sdwa v1, v68, v31 dst_sel:DWORD dst_unused:UNUSED_PAD src0_sel:DWORD src1_sel:BYTE_3
	v_lshlrev_b32_e32 v8, 20, v32
	v_lshl_add_u32 v0, v0, 23, 0x3c000000
	v_and_b32_e32 v1, 0x80000000, v1
	v_or3_b32 v15, v8, v1, v0
.LBB391_713:                            ;   in Loop: Header=BB391_11 Depth=1
	s_or_b32 exec_lo, exec_lo, s23
.LBB391_714:                            ;   in Loop: Header=BB391_11 Depth=1
	s_or_b32 exec_lo, exec_lo, s22
.LBB391_715:                            ;   in Loop: Header=BB391_11 Depth=1
	s_or_b32 exec_lo, exec_lo, s6
	flat_load_dwordx2 v[30:31], v[28:29] offset:520
	s_waitcnt vmcnt(0) lgkmcnt(0)
	v_cmp_ne_u16_sdwa s5, v30, v19 src0_sel:BYTE_0 src1_sel:DWORD
	s_and_saveexec_b32 s6, s5
	s_cbranch_execz .LBB391_723
; %bb.716:                              ;   in Loop: Header=BB391_11 Depth=1
	v_cmp_ne_u16_sdwa s5, v30, v55 src0_sel:BYTE_0 src1_sel:DWORD
	v_bfrev_b32_e32 v23, 1
	s_and_saveexec_b32 s22, s5
	s_cbranch_execz .LBB391_722
; %bb.717:                              ;   in Loop: Header=BB391_11 Depth=1
	v_and_b32_e32 v1, 0x7f, v30
	v_mov_b32_e32 v23, 0x7f800001
	s_mov_b32 s23, exec_lo
	v_cmpx_ne_u32_e32 0x7f, v1
	s_cbranch_execz .LBB391_721
; %bb.718:                              ;   in Loop: Header=BB391_11 Depth=1
	v_mov_b32_e32 v33, v31
	v_lshrrev_b32_e32 v0, 3, v1
	v_mov_b32_e32 v32, v30
	s_mov_b32 s24, exec_lo
	v_cmpx_gt_u32_e32 8, v1
; %bb.719:                              ;   in Loop: Header=BB391_11 Depth=1
	v_and_b32_e32 v0, 7, v30
	v_ffbh_u32_e32 v0, v0
	v_min_u32_e32 v0, 32, v0
	v_subrev_nc_u32_e32 v1, 28, v0
	v_sub_nc_u32_e32 v0, 29, v0
	v_lshlrev_b64 v[32:33], v1, v[30:31]
; %bb.720:                              ;   in Loop: Header=BB391_11 Depth=1
	s_or_b32 exec_lo, exec_lo, s24
	v_lshlrev_b32_e32 v1, 20, v32
	v_lshlrev_b32_e32 v8, 24, v30
	v_lshl_add_u32 v0, v0, 23, 0x3c000000
	v_and_b32_e32 v1, 0x700000, v1
	v_and_b32_e32 v8, 0x80000000, v8
	v_or3_b32 v23, v1, v8, v0
.LBB391_721:                            ;   in Loop: Header=BB391_11 Depth=1
	s_or_b32 exec_lo, exec_lo, s23
.LBB391_722:                            ;   in Loop: Header=BB391_11 Depth=1
	s_or_b32 exec_lo, exec_lo, s22
.LBB391_723:                            ;   in Loop: Header=BB391_11 Depth=1
	s_or_b32 exec_lo, exec_lo, s6
	v_cmp_ne_u16_sdwa s5, v30, v19 src0_sel:BYTE_1 src1_sel:DWORD
	v_mov_b32_e32 v38, 0
	v_mov_b32_e32 v34, 0
	s_and_saveexec_b32 s6, s5
	s_cbranch_execz .LBB391_731
; %bb.724:                              ;   in Loop: Header=BB391_11 Depth=1
	v_cmp_ne_u16_sdwa s5, v30, v55 src0_sel:BYTE_1 src1_sel:DWORD
	v_bfrev_b32_e32 v34, 1
	s_and_saveexec_b32 s22, s5
	s_cbranch_execz .LBB391_730
; %bb.725:                              ;   in Loop: Header=BB391_11 Depth=1
	v_mov_b32_e32 v0, 0xffff
	v_mov_b32_e32 v34, 0x7f800001
	s_mov_b32 s23, exec_lo
	v_and_b32_sdwa v0, v0, v30 dst_sel:DWORD dst_unused:UNUSED_PAD src0_sel:DWORD src1_sel:BYTE_1
	v_and_b32_e32 v1, 0x7f, v0
	v_cmpx_ne_u32_e32 0x7f, v1
	s_cbranch_execz .LBB391_729
; %bb.726:                              ;   in Loop: Header=BB391_11 Depth=1
	v_and_b32_e32 v18, 7, v0
	v_mov_b32_e32 v33, v19
	v_lshrrev_b32_e32 v0, 3, v1
	s_mov_b32 s24, exec_lo
	v_mov_b32_e32 v32, v18
	v_cmpx_gt_u32_e32 8, v1
; %bb.727:                              ;   in Loop: Header=BB391_11 Depth=1
	v_ffbh_u32_e32 v0, v18
	v_min_u32_e32 v0, 32, v0
	v_subrev_nc_u32_e32 v1, 28, v0
	v_sub_nc_u32_e32 v0, 29, v0
	v_lshlrev_b64 v[8:9], v1, v[18:19]
	v_and_b32_e32 v32, 7, v8
; %bb.728:                              ;   in Loop: Header=BB391_11 Depth=1
	s_or_b32 exec_lo, exec_lo, s24
	v_lshlrev_b32_e32 v1, 16, v30
	v_lshlrev_b32_e32 v8, 20, v32
	v_lshl_add_u32 v0, v0, 23, 0x3c000000
	v_and_b32_e32 v1, 0x80000000, v1
	v_or3_b32 v34, v8, v1, v0
.LBB391_729:                            ;   in Loop: Header=BB391_11 Depth=1
	s_or_b32 exec_lo, exec_lo, s23
.LBB391_730:                            ;   in Loop: Header=BB391_11 Depth=1
	s_or_b32 exec_lo, exec_lo, s22
.LBB391_731:                            ;   in Loop: Header=BB391_11 Depth=1
	s_or_b32 exec_lo, exec_lo, s6
	v_and_b32_sdwa v0, v30, v66 dst_sel:DWORD dst_unused:UNUSED_PAD src0_sel:WORD_1 src1_sel:DWORD
	s_mov_b32 s6, exec_lo
	v_cmpx_ne_u16_e32 0, v0
	s_cbranch_execz .LBB391_739
; %bb.732:                              ;   in Loop: Header=BB391_11 Depth=1
	v_bfrev_b32_e32 v38, 1
	s_mov_b32 s22, exec_lo
	v_cmpx_ne_u16_e32 0x80, v0
	s_cbranch_execz .LBB391_738
; %bb.733:                              ;   in Loop: Header=BB391_11 Depth=1
	v_bfe_u32 v1, v30, 16, 7
	v_mov_b32_e32 v38, 0x7f800001
	s_mov_b32 s23, exec_lo
	v_cmpx_ne_u32_e32 0x7f, v1
	s_cbranch_execz .LBB391_737
; %bb.734:                              ;   in Loop: Header=BB391_11 Depth=1
	v_and_b32_sdwa v18, v30, v67 dst_sel:DWORD dst_unused:UNUSED_PAD src0_sel:WORD_1 src1_sel:DWORD
	v_mov_b32_e32 v33, v19
	v_lshrrev_b32_e32 v0, 3, v1
	s_mov_b32 s24, exec_lo
	v_mov_b32_e32 v32, v18
	v_cmpx_gt_u32_e32 8, v1
; %bb.735:                              ;   in Loop: Header=BB391_11 Depth=1
	v_ffbh_u32_e32 v0, v18
	v_min_u32_e32 v0, 32, v0
	v_subrev_nc_u32_e32 v1, 28, v0
	v_sub_nc_u32_e32 v0, 29, v0
	v_lshlrev_b64 v[8:9], v1, v[18:19]
	v_and_b32_e32 v32, 7, v8
; %bb.736:                              ;   in Loop: Header=BB391_11 Depth=1
	s_or_b32 exec_lo, exec_lo, s24
	v_lshlrev_b32_sdwa v1, v68, v30 dst_sel:DWORD dst_unused:UNUSED_PAD src0_sel:DWORD src1_sel:WORD_1
	v_lshlrev_b32_e32 v8, 20, v32
	v_lshl_add_u32 v0, v0, 23, 0x3c000000
	v_and_b32_e32 v1, 0x80000000, v1
	v_or3_b32 v38, v8, v1, v0
.LBB391_737:                            ;   in Loop: Header=BB391_11 Depth=1
	s_or_b32 exec_lo, exec_lo, s23
.LBB391_738:                            ;   in Loop: Header=BB391_11 Depth=1
	s_or_b32 exec_lo, exec_lo, s22
.LBB391_739:                            ;   in Loop: Header=BB391_11 Depth=1
	s_or_b32 exec_lo, exec_lo, s6
	v_mov_b32_e32 v27, 0
	v_mov_b32_e32 v26, 0
	s_mov_b32 s6, exec_lo
	v_cmpx_lt_u32_e32 0xffffff, v30
	s_cbranch_execz .LBB391_747
; %bb.740:                              ;   in Loop: Header=BB391_11 Depth=1
	v_cmp_ne_u32_sdwa s5, v30, v55 src0_sel:BYTE_3 src1_sel:DWORD
	v_bfrev_b32_e32 v26, 1
	s_and_saveexec_b32 s22, s5
	s_cbranch_execz .LBB391_746
; %bb.741:                              ;   in Loop: Header=BB391_11 Depth=1
	v_bfe_u32 v1, v30, 24, 7
	v_mov_b32_e32 v26, 0x7f800001
	s_mov_b32 s23, exec_lo
	v_cmpx_ne_u32_e32 0x7f, v1
	s_cbranch_execz .LBB391_745
; %bb.742:                              ;   in Loop: Header=BB391_11 Depth=1
	v_and_b32_sdwa v18, v30, v67 dst_sel:DWORD dst_unused:UNUSED_PAD src0_sel:BYTE_3 src1_sel:DWORD
	v_mov_b32_e32 v33, v19
	v_lshrrev_b32_e32 v0, 3, v1
	s_mov_b32 s24, exec_lo
	v_mov_b32_e32 v32, v18
	v_cmpx_gt_u32_e32 8, v1
; %bb.743:                              ;   in Loop: Header=BB391_11 Depth=1
	v_ffbh_u32_e32 v0, v18
	v_min_u32_e32 v0, 32, v0
	v_subrev_nc_u32_e32 v1, 28, v0
	v_sub_nc_u32_e32 v0, 29, v0
	v_lshlrev_b64 v[8:9], v1, v[18:19]
	v_and_b32_e32 v32, 7, v8
; %bb.744:                              ;   in Loop: Header=BB391_11 Depth=1
	s_or_b32 exec_lo, exec_lo, s24
	v_lshlrev_b32_sdwa v1, v68, v30 dst_sel:DWORD dst_unused:UNUSED_PAD src0_sel:DWORD src1_sel:BYTE_3
	v_lshlrev_b32_e32 v8, 20, v32
	v_lshl_add_u32 v0, v0, 23, 0x3c000000
	v_and_b32_e32 v1, 0x80000000, v1
	v_or3_b32 v26, v8, v1, v0
.LBB391_745:                            ;   in Loop: Header=BB391_11 Depth=1
	s_or_b32 exec_lo, exec_lo, s23
.LBB391_746:                            ;   in Loop: Header=BB391_11 Depth=1
	s_or_b32 exec_lo, exec_lo, s22
.LBB391_747:                            ;   in Loop: Header=BB391_11 Depth=1
	s_or_b32 exec_lo, exec_lo, s6
	v_mov_b32_e32 v18, v31
	v_cmp_ne_u16_sdwa s5, v31, v19 src0_sel:BYTE_0 src1_sel:DWORD
	s_and_saveexec_b32 s6, s5
	s_cbranch_execz .LBB391_755
; %bb.748:                              ;   in Loop: Header=BB391_11 Depth=1
	v_cmp_ne_u16_sdwa s5, v31, v55 src0_sel:BYTE_0 src1_sel:DWORD
	v_bfrev_b32_e32 v27, 1
	s_and_saveexec_b32 s22, s5
	s_cbranch_execz .LBB391_754
; %bb.749:                              ;   in Loop: Header=BB391_11 Depth=1
	v_and_b32_e32 v1, 0x7f, v31
	v_mov_b32_e32 v27, 0x7f800001
	s_mov_b32 s23, exec_lo
	v_cmpx_ne_u32_e32 0x7f, v1
	s_cbranch_execz .LBB391_753
; %bb.750:                              ;   in Loop: Header=BB391_11 Depth=1
	v_mov_b32_e32 v33, v19
	v_lshrrev_b32_e32 v0, 3, v1
	v_mov_b32_e32 v32, v18
	s_mov_b32 s24, exec_lo
	v_cmpx_gt_u32_e32 8, v1
; %bb.751:                              ;   in Loop: Header=BB391_11 Depth=1
	v_and_b32_e32 v0, 7, v31
	v_ffbh_u32_e32 v0, v0
	v_min_u32_e32 v0, 32, v0
	v_subrev_nc_u32_e32 v1, 28, v0
	v_sub_nc_u32_e32 v0, 29, v0
	v_lshlrev_b64 v[32:33], v1, v[18:19]
; %bb.752:                              ;   in Loop: Header=BB391_11 Depth=1
	s_or_b32 exec_lo, exec_lo, s24
	v_lshlrev_b32_e32 v1, 20, v32
	v_lshlrev_b32_e32 v8, 24, v18
	v_lshl_add_u32 v0, v0, 23, 0x3c000000
	v_and_b32_e32 v1, 0x700000, v1
	v_and_b32_e32 v8, 0x80000000, v8
	v_or3_b32 v27, v1, v8, v0
.LBB391_753:                            ;   in Loop: Header=BB391_11 Depth=1
	s_or_b32 exec_lo, exec_lo, s23
.LBB391_754:                            ;   in Loop: Header=BB391_11 Depth=1
	s_or_b32 exec_lo, exec_lo, s22
.LBB391_755:                            ;   in Loop: Header=BB391_11 Depth=1
	s_or_b32 exec_lo, exec_lo, s6
	v_cmp_ne_u16_sdwa s5, v18, v19 src0_sel:BYTE_1 src1_sel:DWORD
	v_mov_b32_e32 v49, 0
	v_mov_b32_e32 v1, 0
	s_and_saveexec_b32 s6, s5
	s_cbranch_execz .LBB391_763
; %bb.756:                              ;   in Loop: Header=BB391_11 Depth=1
	v_cmp_ne_u16_sdwa s5, v18, v55 src0_sel:BYTE_1 src1_sel:DWORD
	v_bfrev_b32_e32 v1, 1
	s_and_saveexec_b32 s22, s5
	s_cbranch_execz .LBB391_762
; %bb.757:                              ;   in Loop: Header=BB391_11 Depth=1
	v_mov_b32_e32 v0, 0xffff
	v_mov_b32_e32 v1, 0x7f800001
	s_mov_b32 s23, exec_lo
	v_and_b32_sdwa v0, v0, v18 dst_sel:DWORD dst_unused:UNUSED_PAD src0_sel:DWORD src1_sel:BYTE_1
	v_and_b32_e32 v8, 0x7f, v0
	v_cmpx_ne_u32_e32 0x7f, v8
	s_cbranch_execz .LBB391_761
; %bb.758:                              ;   in Loop: Header=BB391_11 Depth=1
	v_and_b32_e32 v32, 7, v0
	v_mov_b32_e32 v33, v19
	v_lshrrev_b32_e32 v0, 3, v8
	s_mov_b32 s24, exec_lo
	v_cmpx_gt_u32_e32 8, v8
; %bb.759:                              ;   in Loop: Header=BB391_11 Depth=1
	v_ffbh_u32_e32 v0, v32
	v_min_u32_e32 v0, 32, v0
	v_subrev_nc_u32_e32 v1, 28, v0
	v_sub_nc_u32_e32 v0, 29, v0
	v_lshlrev_b64 v[8:9], v1, v[32:33]
	v_and_b32_e32 v32, 7, v8
; %bb.760:                              ;   in Loop: Header=BB391_11 Depth=1
	s_or_b32 exec_lo, exec_lo, s24
	v_lshlrev_b32_e32 v1, 16, v18
	v_lshlrev_b32_e32 v8, 20, v32
	v_lshl_add_u32 v0, v0, 23, 0x3c000000
	v_and_b32_e32 v1, 0x80000000, v1
	v_or3_b32 v1, v8, v1, v0
.LBB391_761:                            ;   in Loop: Header=BB391_11 Depth=1
	s_or_b32 exec_lo, exec_lo, s23
.LBB391_762:                            ;   in Loop: Header=BB391_11 Depth=1
	s_or_b32 exec_lo, exec_lo, s22
.LBB391_763:                            ;   in Loop: Header=BB391_11 Depth=1
	s_or_b32 exec_lo, exec_lo, s6
	v_and_b32_sdwa v0, v31, v66 dst_sel:DWORD dst_unused:UNUSED_PAD src0_sel:WORD_1 src1_sel:DWORD
	s_mov_b32 s6, exec_lo
	v_cmpx_ne_u16_e32 0, v0
	s_cbranch_execz .LBB391_771
; %bb.764:                              ;   in Loop: Header=BB391_11 Depth=1
	v_bfrev_b32_e32 v49, 1
	s_mov_b32 s22, exec_lo
	v_cmpx_ne_u16_e32 0x80, v0
	s_cbranch_execz .LBB391_770
; %bb.765:                              ;   in Loop: Header=BB391_11 Depth=1
	v_bfe_u32 v8, v31, 16, 7
	v_mov_b32_e32 v49, 0x7f800001
	s_mov_b32 s23, exec_lo
	v_cmpx_ne_u32_e32 0x7f, v8
	s_cbranch_execz .LBB391_769
; %bb.766:                              ;   in Loop: Header=BB391_11 Depth=1
	v_and_b32_sdwa v18, v31, v67 dst_sel:DWORD dst_unused:UNUSED_PAD src0_sel:WORD_1 src1_sel:DWORD
	v_mov_b32_e32 v33, v19
	v_lshrrev_b32_e32 v0, 3, v8
	s_mov_b32 s24, exec_lo
	v_mov_b32_e32 v32, v18
	v_cmpx_gt_u32_e32 8, v8
; %bb.767:                              ;   in Loop: Header=BB391_11 Depth=1
	v_ffbh_u32_e32 v0, v18
	v_min_u32_e32 v0, 32, v0
	v_subrev_nc_u32_e32 v8, 28, v0
	v_sub_nc_u32_e32 v0, 29, v0
	v_lshlrev_b64 v[8:9], v8, v[18:19]
	v_and_b32_e32 v32, 7, v8
; %bb.768:                              ;   in Loop: Header=BB391_11 Depth=1
	s_or_b32 exec_lo, exec_lo, s24
	v_lshlrev_b32_sdwa v8, v68, v31 dst_sel:DWORD dst_unused:UNUSED_PAD src0_sel:DWORD src1_sel:WORD_1
	v_lshlrev_b32_e32 v9, 20, v32
	v_lshl_add_u32 v0, v0, 23, 0x3c000000
	v_and_b32_e32 v8, 0x80000000, v8
	v_or3_b32 v49, v9, v8, v0
.LBB391_769:                            ;   in Loop: Header=BB391_11 Depth=1
	s_or_b32 exec_lo, exec_lo, s23
.LBB391_770:                            ;   in Loop: Header=BB391_11 Depth=1
	s_or_b32 exec_lo, exec_lo, s22
.LBB391_771:                            ;   in Loop: Header=BB391_11 Depth=1
	s_or_b32 exec_lo, exec_lo, s6
	v_mov_b32_e32 v50, 0
	v_mov_b32_e32 v0, 0
	s_mov_b32 s6, exec_lo
	v_cmpx_lt_u64_e64 s[8:9], v[30:31]
	s_cbranch_execz .LBB391_779
; %bb.772:                              ;   in Loop: Header=BB391_11 Depth=1
	v_cmp_ne_u32_sdwa s5, v31, v55 src0_sel:BYTE_3 src1_sel:DWORD
	v_bfrev_b32_e32 v0, 1
	s_and_saveexec_b32 s22, s5
	s_cbranch_execz .LBB391_778
; %bb.773:                              ;   in Loop: Header=BB391_11 Depth=1
	v_bfe_u32 v8, v31, 24, 7
	v_mov_b32_e32 v0, 0x7f800001
	s_mov_b32 s23, exec_lo
	v_cmpx_ne_u32_e32 0x7f, v8
	s_cbranch_execz .LBB391_777
; %bb.774:                              ;   in Loop: Header=BB391_11 Depth=1
	v_and_b32_sdwa v18, v31, v67 dst_sel:DWORD dst_unused:UNUSED_PAD src0_sel:BYTE_3 src1_sel:DWORD
	v_mov_b32_e32 v33, v19
	v_lshrrev_b32_e32 v0, 3, v8
	s_mov_b32 s24, exec_lo
	v_mov_b32_e32 v32, v18
	v_cmpx_gt_u32_e32 8, v8
; %bb.775:                              ;   in Loop: Header=BB391_11 Depth=1
	v_ffbh_u32_e32 v0, v18
	v_min_u32_e32 v0, 32, v0
	v_subrev_nc_u32_e32 v8, 28, v0
	v_sub_nc_u32_e32 v0, 29, v0
	v_lshlrev_b64 v[8:9], v8, v[18:19]
	v_and_b32_e32 v32, 7, v8
; %bb.776:                              ;   in Loop: Header=BB391_11 Depth=1
	s_or_b32 exec_lo, exec_lo, s24
	v_lshlrev_b32_sdwa v8, v68, v31 dst_sel:DWORD dst_unused:UNUSED_PAD src0_sel:DWORD src1_sel:BYTE_3
	v_lshlrev_b32_e32 v9, 20, v32
	v_lshl_add_u32 v0, v0, 23, 0x3c000000
	v_and_b32_e32 v8, 0x80000000, v8
	v_or3_b32 v0, v9, v8, v0
.LBB391_777:                            ;   in Loop: Header=BB391_11 Depth=1
	s_or_b32 exec_lo, exec_lo, s23
.LBB391_778:                            ;   in Loop: Header=BB391_11 Depth=1
	s_or_b32 exec_lo, exec_lo, s22
.LBB391_779:                            ;   in Loop: Header=BB391_11 Depth=1
	s_or_b32 exec_lo, exec_lo, s6
	flat_load_dwordx2 v[30:31], v[28:29] offset:1024
	s_waitcnt vmcnt(0) lgkmcnt(0)
	v_cmp_ne_u16_sdwa s5, v30, v19 src0_sel:BYTE_0 src1_sel:DWORD
	s_and_saveexec_b32 s6, s5
	s_cbranch_execz .LBB391_787
; %bb.780:                              ;   in Loop: Header=BB391_11 Depth=1
	v_cmp_ne_u16_sdwa s5, v30, v55 src0_sel:BYTE_0 src1_sel:DWORD
	v_bfrev_b32_e32 v50, 1
	s_and_saveexec_b32 s22, s5
	s_cbranch_execz .LBB391_786
; %bb.781:                              ;   in Loop: Header=BB391_11 Depth=1
	v_and_b32_e32 v9, 0x7f, v30
	v_mov_b32_e32 v50, 0x7f800001
	s_mov_b32 s23, exec_lo
	v_cmpx_ne_u32_e32 0x7f, v9
	s_cbranch_execz .LBB391_785
; %bb.782:                              ;   in Loop: Header=BB391_11 Depth=1
	v_mov_b32_e32 v33, v31
	v_lshrrev_b32_e32 v8, 3, v9
	v_mov_b32_e32 v32, v30
	s_mov_b32 s24, exec_lo
	v_cmpx_gt_u32_e32 8, v9
; %bb.783:                              ;   in Loop: Header=BB391_11 Depth=1
	v_and_b32_e32 v8, 7, v30
	v_ffbh_u32_e32 v8, v8
	v_min_u32_e32 v8, 32, v8
	v_subrev_nc_u32_e32 v9, 28, v8
	v_sub_nc_u32_e32 v8, 29, v8
	v_lshlrev_b64 v[32:33], v9, v[30:31]
; %bb.784:                              ;   in Loop: Header=BB391_11 Depth=1
	s_or_b32 exec_lo, exec_lo, s24
	v_lshlrev_b32_e32 v9, 20, v32
	v_lshlrev_b32_e32 v13, 24, v30
	v_lshl_add_u32 v8, v8, 23, 0x3c000000
	v_and_b32_e32 v9, 0x700000, v9
	v_and_b32_e32 v13, 0x80000000, v13
	v_or3_b32 v50, v9, v13, v8
.LBB391_785:                            ;   in Loop: Header=BB391_11 Depth=1
	s_or_b32 exec_lo, exec_lo, s23
.LBB391_786:                            ;   in Loop: Header=BB391_11 Depth=1
	s_or_b32 exec_lo, exec_lo, s22
.LBB391_787:                            ;   in Loop: Header=BB391_11 Depth=1
	s_or_b32 exec_lo, exec_lo, s6
	v_cmp_ne_u16_sdwa s5, v30, v19 src0_sel:BYTE_1 src1_sel:DWORD
	v_mov_b32_e32 v9, 0
	v_mov_b32_e32 v8, 0
	s_and_saveexec_b32 s6, s5
	s_cbranch_execz .LBB391_795
; %bb.788:                              ;   in Loop: Header=BB391_11 Depth=1
	v_cmp_ne_u16_sdwa s5, v30, v55 src0_sel:BYTE_1 src1_sel:DWORD
	v_bfrev_b32_e32 v8, 1
	s_and_saveexec_b32 s22, s5
	s_cbranch_execz .LBB391_794
; %bb.789:                              ;   in Loop: Header=BB391_11 Depth=1
	v_mov_b32_e32 v8, 0xffff
	s_mov_b32 s23, exec_lo
	v_and_b32_sdwa v16, v8, v30 dst_sel:DWORD dst_unused:UNUSED_PAD src0_sel:DWORD src1_sel:BYTE_1
	v_mov_b32_e32 v8, 0x7f800001
	v_and_b32_e32 v13, 0x7f, v16
	v_cmpx_ne_u32_e32 0x7f, v13
	s_cbranch_execz .LBB391_793
; %bb.790:                              ;   in Loop: Header=BB391_11 Depth=1
	v_and_b32_e32 v18, 7, v16
	v_mov_b32_e32 v33, v19
	v_lshrrev_b32_e32 v8, 3, v13
	s_mov_b32 s24, exec_lo
	v_mov_b32_e32 v32, v18
	v_cmpx_gt_u32_e32 8, v13
; %bb.791:                              ;   in Loop: Header=BB391_11 Depth=1
	v_ffbh_u32_e32 v8, v18
	v_min_u32_e32 v8, 32, v8
	v_subrev_nc_u32_e32 v13, 28, v8
	v_sub_nc_u32_e32 v8, 29, v8
	v_lshlrev_b64 v[16:17], v13, v[18:19]
	v_and_b32_e32 v32, 7, v16
; %bb.792:                              ;   in Loop: Header=BB391_11 Depth=1
	s_or_b32 exec_lo, exec_lo, s24
	v_lshlrev_b32_e32 v13, 16, v30
	v_lshlrev_b32_e32 v16, 20, v32
	v_lshl_add_u32 v8, v8, 23, 0x3c000000
	v_and_b32_e32 v13, 0x80000000, v13
	v_or3_b32 v8, v16, v13, v8
.LBB391_793:                            ;   in Loop: Header=BB391_11 Depth=1
	s_or_b32 exec_lo, exec_lo, s23
.LBB391_794:                            ;   in Loop: Header=BB391_11 Depth=1
	s_or_b32 exec_lo, exec_lo, s22
.LBB391_795:                            ;   in Loop: Header=BB391_11 Depth=1
	s_or_b32 exec_lo, exec_lo, s6
	v_and_b32_sdwa v13, v30, v66 dst_sel:DWORD dst_unused:UNUSED_PAD src0_sel:WORD_1 src1_sel:DWORD
	s_mov_b32 s6, exec_lo
	v_cmpx_ne_u16_e32 0, v13
	s_cbranch_execz .LBB391_803
; %bb.796:                              ;   in Loop: Header=BB391_11 Depth=1
	v_bfrev_b32_e32 v9, 1
	s_mov_b32 s22, exec_lo
	v_cmpx_ne_u16_e32 0x80, v13
	s_cbranch_execz .LBB391_802
; %bb.797:                              ;   in Loop: Header=BB391_11 Depth=1
	v_bfe_u32 v13, v30, 16, 7
	v_mov_b32_e32 v9, 0x7f800001
	s_mov_b32 s23, exec_lo
	v_cmpx_ne_u32_e32 0x7f, v13
	s_cbranch_execz .LBB391_801
; %bb.798:                              ;   in Loop: Header=BB391_11 Depth=1
	v_and_b32_sdwa v18, v30, v67 dst_sel:DWORD dst_unused:UNUSED_PAD src0_sel:WORD_1 src1_sel:DWORD
	v_mov_b32_e32 v33, v19
	v_lshrrev_b32_e32 v9, 3, v13
	s_mov_b32 s24, exec_lo
	v_mov_b32_e32 v32, v18
	v_cmpx_gt_u32_e32 8, v13
; %bb.799:                              ;   in Loop: Header=BB391_11 Depth=1
	v_ffbh_u32_e32 v9, v18
	v_min_u32_e32 v9, 32, v9
	v_subrev_nc_u32_e32 v13, 28, v9
	v_sub_nc_u32_e32 v9, 29, v9
	v_lshlrev_b64 v[16:17], v13, v[18:19]
	v_and_b32_e32 v32, 7, v16
; %bb.800:                              ;   in Loop: Header=BB391_11 Depth=1
	s_or_b32 exec_lo, exec_lo, s24
	v_lshlrev_b32_sdwa v13, v68, v30 dst_sel:DWORD dst_unused:UNUSED_PAD src0_sel:DWORD src1_sel:WORD_1
	v_lshlrev_b32_e32 v16, 20, v32
	v_lshl_add_u32 v9, v9, 23, 0x3c000000
	v_and_b32_e32 v13, 0x80000000, v13
	v_or3_b32 v9, v16, v13, v9
.LBB391_801:                            ;   in Loop: Header=BB391_11 Depth=1
	s_or_b32 exec_lo, exec_lo, s23
.LBB391_802:                            ;   in Loop: Header=BB391_11 Depth=1
	s_or_b32 exec_lo, exec_lo, s22
.LBB391_803:                            ;   in Loop: Header=BB391_11 Depth=1
	s_or_b32 exec_lo, exec_lo, s6
	v_mov_b32_e32 v24, 0
	v_mov_b32_e32 v48, 0
	s_mov_b32 s6, exec_lo
	v_cmpx_lt_u32_e32 0xffffff, v30
	s_cbranch_execz .LBB391_811
; %bb.804:                              ;   in Loop: Header=BB391_11 Depth=1
	v_cmp_ne_u32_sdwa s5, v30, v55 src0_sel:BYTE_3 src1_sel:DWORD
	v_bfrev_b32_e32 v48, 1
	s_and_saveexec_b32 s22, s5
	s_cbranch_execz .LBB391_810
; %bb.805:                              ;   in Loop: Header=BB391_11 Depth=1
	v_bfe_u32 v16, v30, 24, 7
	v_mov_b32_e32 v48, 0x7f800001
	s_mov_b32 s23, exec_lo
	v_cmpx_ne_u32_e32 0x7f, v16
	s_cbranch_execz .LBB391_809
; %bb.806:                              ;   in Loop: Header=BB391_11 Depth=1
	v_and_b32_sdwa v18, v30, v67 dst_sel:DWORD dst_unused:UNUSED_PAD src0_sel:BYTE_3 src1_sel:DWORD
	v_mov_b32_e32 v33, v19
	v_lshrrev_b32_e32 v13, 3, v16
	s_mov_b32 s24, exec_lo
	v_mov_b32_e32 v32, v18
	v_cmpx_gt_u32_e32 8, v16
; %bb.807:                              ;   in Loop: Header=BB391_11 Depth=1
	v_ffbh_u32_e32 v13, v18
	v_min_u32_e32 v13, 32, v13
	v_subrev_nc_u32_e32 v16, 28, v13
	v_sub_nc_u32_e32 v13, 29, v13
	v_lshlrev_b64 v[16:17], v16, v[18:19]
	v_and_b32_e32 v32, 7, v16
; %bb.808:                              ;   in Loop: Header=BB391_11 Depth=1
	s_or_b32 exec_lo, exec_lo, s24
	v_lshlrev_b32_sdwa v16, v68, v30 dst_sel:DWORD dst_unused:UNUSED_PAD src0_sel:DWORD src1_sel:BYTE_3
	v_lshlrev_b32_e32 v17, 20, v32
	v_lshl_add_u32 v13, v13, 23, 0x3c000000
	v_and_b32_e32 v16, 0x80000000, v16
	v_or3_b32 v48, v17, v16, v13
.LBB391_809:                            ;   in Loop: Header=BB391_11 Depth=1
	s_or_b32 exec_lo, exec_lo, s23
.LBB391_810:                            ;   in Loop: Header=BB391_11 Depth=1
	s_or_b32 exec_lo, exec_lo, s22
.LBB391_811:                            ;   in Loop: Header=BB391_11 Depth=1
	s_or_b32 exec_lo, exec_lo, s6
	v_mov_b32_e32 v18, v31
	v_cmp_ne_u16_sdwa s5, v31, v19 src0_sel:BYTE_0 src1_sel:DWORD
	s_and_saveexec_b32 s6, s5
	s_cbranch_execz .LBB391_819
; %bb.812:                              ;   in Loop: Header=BB391_11 Depth=1
	v_cmp_ne_u16_sdwa s5, v31, v55 src0_sel:BYTE_0 src1_sel:DWORD
	v_bfrev_b32_e32 v24, 1
	s_and_saveexec_b32 s22, s5
	s_cbranch_execz .LBB391_818
; %bb.813:                              ;   in Loop: Header=BB391_11 Depth=1
	v_and_b32_e32 v16, 0x7f, v31
	v_mov_b32_e32 v24, 0x7f800001
	s_mov_b32 s23, exec_lo
	v_cmpx_ne_u32_e32 0x7f, v16
	s_cbranch_execz .LBB391_817
; %bb.814:                              ;   in Loop: Header=BB391_11 Depth=1
	v_mov_b32_e32 v33, v19
	v_lshrrev_b32_e32 v13, 3, v16
	v_mov_b32_e32 v32, v18
	s_mov_b32 s24, exec_lo
	v_cmpx_gt_u32_e32 8, v16
; %bb.815:                              ;   in Loop: Header=BB391_11 Depth=1
	v_and_b32_e32 v13, 7, v31
	v_ffbh_u32_e32 v13, v13
	v_min_u32_e32 v13, 32, v13
	v_subrev_nc_u32_e32 v16, 28, v13
	v_sub_nc_u32_e32 v13, 29, v13
	v_lshlrev_b64 v[32:33], v16, v[18:19]
; %bb.816:                              ;   in Loop: Header=BB391_11 Depth=1
	s_or_b32 exec_lo, exec_lo, s24
	v_lshlrev_b32_e32 v16, 20, v32
	v_lshlrev_b32_e32 v17, 24, v18
	v_lshl_add_u32 v13, v13, 23, 0x3c000000
	v_and_b32_e32 v16, 0x700000, v16
	v_and_b32_e32 v17, 0x80000000, v17
	v_or3_b32 v24, v16, v17, v13
.LBB391_817:                            ;   in Loop: Header=BB391_11 Depth=1
	s_or_b32 exec_lo, exec_lo, s23
.LBB391_818:                            ;   in Loop: Header=BB391_11 Depth=1
	s_or_b32 exec_lo, exec_lo, s22
.LBB391_819:                            ;   in Loop: Header=BB391_11 Depth=1
	s_or_b32 exec_lo, exec_lo, s6
	v_cmp_ne_u16_sdwa s5, v18, v19 src0_sel:BYTE_1 src1_sel:DWORD
	v_mov_b32_e32 v17, 0
	v_mov_b32_e32 v80, 0
	s_and_saveexec_b32 s6, s5
	s_cbranch_execz .LBB391_827
; %bb.820:                              ;   in Loop: Header=BB391_11 Depth=1
	v_cmp_ne_u16_sdwa s5, v18, v55 src0_sel:BYTE_1 src1_sel:DWORD
	v_bfrev_b32_e32 v80, 1
	s_and_saveexec_b32 s22, s5
	s_cbranch_execz .LBB391_826
; %bb.821:                              ;   in Loop: Header=BB391_11 Depth=1
	v_mov_b32_e32 v13, 0xffff
	v_mov_b32_e32 v80, 0x7f800001
	s_mov_b32 s23, exec_lo
	v_and_b32_sdwa v13, v13, v18 dst_sel:DWORD dst_unused:UNUSED_PAD src0_sel:DWORD src1_sel:BYTE_1
	v_and_b32_e32 v16, 0x7f, v13
	v_cmpx_ne_u32_e32 0x7f, v16
	s_cbranch_execz .LBB391_825
; %bb.822:                              ;   in Loop: Header=BB391_11 Depth=1
	v_and_b32_e32 v32, 7, v13
	v_mov_b32_e32 v33, v19
	v_lshrrev_b32_e32 v13, 3, v16
	s_mov_b32 s24, exec_lo
	v_cmpx_gt_u32_e32 8, v16
; %bb.823:                              ;   in Loop: Header=BB391_11 Depth=1
	v_ffbh_u32_e32 v13, v32
	v_min_u32_e32 v13, 32, v13
	v_subrev_nc_u32_e32 v16, 28, v13
	v_sub_nc_u32_e32 v13, 29, v13
	v_lshlrev_b64 v[32:33], v16, v[32:33]
	v_and_b32_e32 v32, 7, v32
; %bb.824:                              ;   in Loop: Header=BB391_11 Depth=1
	s_or_b32 exec_lo, exec_lo, s24
	v_lshlrev_b32_e32 v16, 16, v18
	v_lshlrev_b32_e32 v18, 20, v32
	v_lshl_add_u32 v13, v13, 23, 0x3c000000
	v_and_b32_e32 v16, 0x80000000, v16
	v_or3_b32 v80, v18, v16, v13
.LBB391_825:                            ;   in Loop: Header=BB391_11 Depth=1
	s_or_b32 exec_lo, exec_lo, s23
.LBB391_826:                            ;   in Loop: Header=BB391_11 Depth=1
	s_or_b32 exec_lo, exec_lo, s22
.LBB391_827:                            ;   in Loop: Header=BB391_11 Depth=1
	s_or_b32 exec_lo, exec_lo, s6
	v_and_b32_sdwa v13, v31, v66 dst_sel:DWORD dst_unused:UNUSED_PAD src0_sel:WORD_1 src1_sel:DWORD
	s_mov_b32 s6, exec_lo
	v_cmpx_ne_u16_e32 0, v13
	s_cbranch_execz .LBB391_835
; %bb.828:                              ;   in Loop: Header=BB391_11 Depth=1
	v_bfrev_b32_e32 v17, 1
	s_mov_b32 s22, exec_lo
	v_cmpx_ne_u16_e32 0x80, v13
	s_cbranch_execz .LBB391_834
; %bb.829:                              ;   in Loop: Header=BB391_11 Depth=1
	v_bfe_u32 v16, v31, 16, 7
	v_mov_b32_e32 v17, 0x7f800001
	s_mov_b32 s23, exec_lo
	v_cmpx_ne_u32_e32 0x7f, v16
	s_cbranch_execz .LBB391_833
; %bb.830:                              ;   in Loop: Header=BB391_11 Depth=1
	v_and_b32_sdwa v18, v31, v67 dst_sel:DWORD dst_unused:UNUSED_PAD src0_sel:WORD_1 src1_sel:DWORD
	v_mov_b32_e32 v33, v19
	v_lshrrev_b32_e32 v13, 3, v16
	s_mov_b32 s24, exec_lo
	v_mov_b32_e32 v32, v18
	v_cmpx_gt_u32_e32 8, v16
; %bb.831:                              ;   in Loop: Header=BB391_11 Depth=1
	v_ffbh_u32_e32 v13, v18
	v_min_u32_e32 v13, 32, v13
	v_subrev_nc_u32_e32 v16, 28, v13
	v_sub_nc_u32_e32 v13, 29, v13
	v_lshlrev_b64 v[16:17], v16, v[18:19]
	v_and_b32_e32 v32, 7, v16
; %bb.832:                              ;   in Loop: Header=BB391_11 Depth=1
	s_or_b32 exec_lo, exec_lo, s24
	v_lshlrev_b32_sdwa v16, v68, v31 dst_sel:DWORD dst_unused:UNUSED_PAD src0_sel:DWORD src1_sel:WORD_1
	v_lshlrev_b32_e32 v17, 20, v32
	v_lshl_add_u32 v13, v13, 23, 0x3c000000
	v_and_b32_e32 v16, 0x80000000, v16
	v_or3_b32 v17, v17, v16, v13
.LBB391_833:                            ;   in Loop: Header=BB391_11 Depth=1
	s_or_b32 exec_lo, exec_lo, s23
.LBB391_834:                            ;   in Loop: Header=BB391_11 Depth=1
	s_or_b32 exec_lo, exec_lo, s22
.LBB391_835:                            ;   in Loop: Header=BB391_11 Depth=1
	s_or_b32 exec_lo, exec_lo, s6
	v_mov_b32_e32 v22, 0
	v_mov_b32_e32 v81, 0
	s_mov_b32 s6, exec_lo
	v_cmpx_lt_u64_e64 s[8:9], v[30:31]
	s_cbranch_execz .LBB391_843
; %bb.836:                              ;   in Loop: Header=BB391_11 Depth=1
	v_cmp_ne_u32_sdwa s5, v31, v55 src0_sel:BYTE_3 src1_sel:DWORD
	v_bfrev_b32_e32 v81, 1
	s_and_saveexec_b32 s22, s5
	s_cbranch_execz .LBB391_842
; %bb.837:                              ;   in Loop: Header=BB391_11 Depth=1
	v_bfe_u32 v16, v31, 24, 7
	v_mov_b32_e32 v81, 0x7f800001
	s_mov_b32 s23, exec_lo
	v_cmpx_ne_u32_e32 0x7f, v16
	s_cbranch_execz .LBB391_841
; %bb.838:                              ;   in Loop: Header=BB391_11 Depth=1
	v_and_b32_sdwa v18, v31, v67 dst_sel:DWORD dst_unused:UNUSED_PAD src0_sel:BYTE_3 src1_sel:DWORD
	v_mov_b32_e32 v33, v19
	v_lshrrev_b32_e32 v13, 3, v16
	s_mov_b32 s24, exec_lo
	v_mov_b32_e32 v32, v18
	v_cmpx_gt_u32_e32 8, v16
; %bb.839:                              ;   in Loop: Header=BB391_11 Depth=1
	v_ffbh_u32_e32 v13, v18
	v_min_u32_e32 v13, 32, v13
	v_subrev_nc_u32_e32 v16, 28, v13
	v_sub_nc_u32_e32 v13, 29, v13
	v_lshlrev_b64 v[32:33], v16, v[18:19]
	v_and_b32_e32 v32, 7, v32
; %bb.840:                              ;   in Loop: Header=BB391_11 Depth=1
	s_or_b32 exec_lo, exec_lo, s24
	v_lshlrev_b32_sdwa v16, v68, v31 dst_sel:DWORD dst_unused:UNUSED_PAD src0_sel:DWORD src1_sel:BYTE_3
	v_lshlrev_b32_e32 v18, 20, v32
	v_lshl_add_u32 v13, v13, 23, 0x3c000000
	v_and_b32_e32 v16, 0x80000000, v16
	v_or3_b32 v81, v18, v16, v13
.LBB391_841:                            ;   in Loop: Header=BB391_11 Depth=1
	s_or_b32 exec_lo, exec_lo, s23
.LBB391_842:                            ;   in Loop: Header=BB391_11 Depth=1
	s_or_b32 exec_lo, exec_lo, s22
.LBB391_843:                            ;   in Loop: Header=BB391_11 Depth=1
	s_or_b32 exec_lo, exec_lo, s6
	flat_load_dwordx2 v[28:29], v[28:29] offset:1032
	s_waitcnt vmcnt(0) lgkmcnt(0)
	v_cmp_ne_u16_sdwa s5, v28, v19 src0_sel:BYTE_0 src1_sel:DWORD
	s_and_saveexec_b32 s6, s5
	s_cbranch_execz .LBB391_851
; %bb.844:                              ;   in Loop: Header=BB391_11 Depth=1
	v_cmp_ne_u16_sdwa s5, v28, v55 src0_sel:BYTE_0 src1_sel:DWORD
	v_bfrev_b32_e32 v22, 1
	s_and_saveexec_b32 s22, s5
	s_cbranch_execz .LBB391_850
; %bb.845:                              ;   in Loop: Header=BB391_11 Depth=1
	v_and_b32_e32 v16, 0x7f, v28
	v_mov_b32_e32 v22, 0x7f800001
	s_mov_b32 s23, exec_lo
	v_cmpx_ne_u32_e32 0x7f, v16
	s_cbranch_execz .LBB391_849
; %bb.846:                              ;   in Loop: Header=BB391_11 Depth=1
	v_mov_b32_e32 v31, v29
	v_lshrrev_b32_e32 v13, 3, v16
	v_mov_b32_e32 v30, v28
	s_mov_b32 s24, exec_lo
	v_cmpx_gt_u32_e32 8, v16
; %bb.847:                              ;   in Loop: Header=BB391_11 Depth=1
	v_and_b32_e32 v13, 7, v28
	v_ffbh_u32_e32 v13, v13
	v_min_u32_e32 v13, 32, v13
	v_subrev_nc_u32_e32 v16, 28, v13
	v_sub_nc_u32_e32 v13, 29, v13
	v_lshlrev_b64 v[30:31], v16, v[28:29]
; %bb.848:                              ;   in Loop: Header=BB391_11 Depth=1
	s_or_b32 exec_lo, exec_lo, s24
	v_lshlrev_b32_e32 v16, 20, v30
	v_lshlrev_b32_e32 v18, 24, v28
	v_lshl_add_u32 v13, v13, 23, 0x3c000000
	v_and_b32_e32 v16, 0x700000, v16
	v_and_b32_e32 v18, 0x80000000, v18
	v_or3_b32 v22, v16, v18, v13
.LBB391_849:                            ;   in Loop: Header=BB391_11 Depth=1
	s_or_b32 exec_lo, exec_lo, s23
.LBB391_850:                            ;   in Loop: Header=BB391_11 Depth=1
	s_or_b32 exec_lo, exec_lo, s22
.LBB391_851:                            ;   in Loop: Header=BB391_11 Depth=1
	s_or_b32 exec_lo, exec_lo, s6
	v_cmp_ne_u16_sdwa s5, v28, v19 src0_sel:BYTE_1 src1_sel:DWORD
	v_mov_b32_e32 v33, 0
	v_mov_b32_e32 v32, 0
	s_and_saveexec_b32 s6, s5
	s_cbranch_execz .LBB391_859
; %bb.852:                              ;   in Loop: Header=BB391_11 Depth=1
	v_cmp_ne_u16_sdwa s5, v28, v55 src0_sel:BYTE_1 src1_sel:DWORD
	v_bfrev_b32_e32 v32, 1
	s_and_saveexec_b32 s22, s5
	s_cbranch_execz .LBB391_858
; %bb.853:                              ;   in Loop: Header=BB391_11 Depth=1
	v_mov_b32_e32 v13, 0xffff
	v_mov_b32_e32 v32, 0x7f800001
	s_mov_b32 s23, exec_lo
	v_and_b32_sdwa v13, v13, v28 dst_sel:DWORD dst_unused:UNUSED_PAD src0_sel:DWORD src1_sel:BYTE_1
	v_and_b32_e32 v16, 0x7f, v13
	v_cmpx_ne_u32_e32 0x7f, v16
	s_cbranch_execz .LBB391_857
; %bb.854:                              ;   in Loop: Header=BB391_11 Depth=1
	v_and_b32_e32 v18, 7, v13
	v_mov_b32_e32 v31, v19
	v_lshrrev_b32_e32 v13, 3, v16
	s_mov_b32 s24, exec_lo
	v_mov_b32_e32 v30, v18
	v_cmpx_gt_u32_e32 8, v16
; %bb.855:                              ;   in Loop: Header=BB391_11 Depth=1
	v_ffbh_u32_e32 v13, v18
	v_min_u32_e32 v13, 32, v13
	v_subrev_nc_u32_e32 v16, 28, v13
	v_sub_nc_u32_e32 v13, 29, v13
	v_lshlrev_b64 v[30:31], v16, v[18:19]
	v_and_b32_e32 v30, 7, v30
; %bb.856:                              ;   in Loop: Header=BB391_11 Depth=1
	s_or_b32 exec_lo, exec_lo, s24
	v_lshlrev_b32_e32 v16, 16, v28
	v_lshlrev_b32_e32 v18, 20, v30
	v_lshl_add_u32 v13, v13, 23, 0x3c000000
	v_and_b32_e32 v16, 0x80000000, v16
	v_or3_b32 v32, v18, v16, v13
.LBB391_857:                            ;   in Loop: Header=BB391_11 Depth=1
	s_or_b32 exec_lo, exec_lo, s23
.LBB391_858:                            ;   in Loop: Header=BB391_11 Depth=1
	s_or_b32 exec_lo, exec_lo, s22
.LBB391_859:                            ;   in Loop: Header=BB391_11 Depth=1
	s_or_b32 exec_lo, exec_lo, s6
	v_and_b32_sdwa v13, v28, v66 dst_sel:DWORD dst_unused:UNUSED_PAD src0_sel:WORD_1 src1_sel:DWORD
	s_mov_b32 s6, exec_lo
	v_cmpx_ne_u16_e32 0, v13
	s_cbranch_execz .LBB391_867
; %bb.860:                              ;   in Loop: Header=BB391_11 Depth=1
	v_bfrev_b32_e32 v33, 1
	s_mov_b32 s22, exec_lo
	v_cmpx_ne_u16_e32 0x80, v13
	s_cbranch_execz .LBB391_866
; %bb.861:                              ;   in Loop: Header=BB391_11 Depth=1
	v_bfe_u32 v16, v28, 16, 7
	v_mov_b32_e32 v33, 0x7f800001
	s_mov_b32 s23, exec_lo
	v_cmpx_ne_u32_e32 0x7f, v16
	s_cbranch_execz .LBB391_865
; %bb.862:                              ;   in Loop: Header=BB391_11 Depth=1
	v_and_b32_sdwa v18, v28, v67 dst_sel:DWORD dst_unused:UNUSED_PAD src0_sel:WORD_1 src1_sel:DWORD
	v_mov_b32_e32 v31, v19
	v_lshrrev_b32_e32 v13, 3, v16
	s_mov_b32 s24, exec_lo
	v_mov_b32_e32 v30, v18
	v_cmpx_gt_u32_e32 8, v16
; %bb.863:                              ;   in Loop: Header=BB391_11 Depth=1
	v_ffbh_u32_e32 v13, v18
	v_min_u32_e32 v13, 32, v13
	v_subrev_nc_u32_e32 v16, 28, v13
	v_sub_nc_u32_e32 v13, 29, v13
	v_lshlrev_b64 v[30:31], v16, v[18:19]
	v_and_b32_e32 v30, 7, v30
; %bb.864:                              ;   in Loop: Header=BB391_11 Depth=1
	s_or_b32 exec_lo, exec_lo, s24
	v_lshlrev_b32_sdwa v16, v68, v28 dst_sel:DWORD dst_unused:UNUSED_PAD src0_sel:DWORD src1_sel:WORD_1
	v_lshlrev_b32_e32 v18, 20, v30
	v_lshl_add_u32 v13, v13, 23, 0x3c000000
	v_and_b32_e32 v16, 0x80000000, v16
	v_or3_b32 v33, v18, v16, v13
.LBB391_865:                            ;   in Loop: Header=BB391_11 Depth=1
	s_or_b32 exec_lo, exec_lo, s23
.LBB391_866:                            ;   in Loop: Header=BB391_11 Depth=1
	s_or_b32 exec_lo, exec_lo, s22
.LBB391_867:                            ;   in Loop: Header=BB391_11 Depth=1
	s_or_b32 exec_lo, exec_lo, s6
	v_mov_b32_e32 v13, 0
	v_mov_b32_e32 v51, 0
	s_mov_b32 s6, exec_lo
	v_cmpx_lt_u32_e32 0xffffff, v28
	s_cbranch_execz .LBB391_875
; %bb.868:                              ;   in Loop: Header=BB391_11 Depth=1
	v_cmp_ne_u32_sdwa s5, v28, v55 src0_sel:BYTE_3 src1_sel:DWORD
	v_bfrev_b32_e32 v51, 1
	s_and_saveexec_b32 s22, s5
	s_cbranch_execz .LBB391_874
; %bb.869:                              ;   in Loop: Header=BB391_11 Depth=1
	v_bfe_u32 v25, v28, 24, 7
	v_mov_b32_e32 v51, 0x7f800001
	s_mov_b32 s23, exec_lo
	v_cmpx_ne_u32_e32 0x7f, v25
	s_cbranch_execz .LBB391_873
; %bb.870:                              ;   in Loop: Header=BB391_11 Depth=1
	v_and_b32_sdwa v18, v28, v67 dst_sel:DWORD dst_unused:UNUSED_PAD src0_sel:BYTE_3 src1_sel:DWORD
	v_mov_b32_e32 v31, v19
	v_lshrrev_b32_e32 v16, 3, v25
	s_mov_b32 s24, exec_lo
	v_mov_b32_e32 v30, v18
	v_cmpx_gt_u32_e32 8, v25
; %bb.871:                              ;   in Loop: Header=BB391_11 Depth=1
	v_ffbh_u32_e32 v16, v18
	v_min_u32_e32 v16, 32, v16
	v_subrev_nc_u32_e32 v25, 28, v16
	v_sub_nc_u32_e32 v16, 29, v16
	v_lshlrev_b64 v[30:31], v25, v[18:19]
	v_and_b32_e32 v30, 7, v30
; %bb.872:                              ;   in Loop: Header=BB391_11 Depth=1
	s_or_b32 exec_lo, exec_lo, s24
	v_lshlrev_b32_sdwa v18, v68, v28 dst_sel:DWORD dst_unused:UNUSED_PAD src0_sel:DWORD src1_sel:BYTE_3
	v_lshlrev_b32_e32 v25, 20, v30
	v_lshl_add_u32 v16, v16, 23, 0x3c000000
	v_and_b32_e32 v18, 0x80000000, v18
	v_or3_b32 v51, v25, v18, v16
.LBB391_873:                            ;   in Loop: Header=BB391_11 Depth=1
	s_or_b32 exec_lo, exec_lo, s23
.LBB391_874:                            ;   in Loop: Header=BB391_11 Depth=1
	s_or_b32 exec_lo, exec_lo, s22
.LBB391_875:                            ;   in Loop: Header=BB391_11 Depth=1
	s_or_b32 exec_lo, exec_lo, s6
	v_mov_b32_e32 v18, v29
	v_cmp_ne_u16_sdwa s5, v29, v19 src0_sel:BYTE_0 src1_sel:DWORD
	s_and_saveexec_b32 s6, s5
	s_cbranch_execz .LBB391_883
; %bb.876:                              ;   in Loop: Header=BB391_11 Depth=1
	v_cmp_ne_u16_sdwa s5, v29, v55 src0_sel:BYTE_0 src1_sel:DWORD
	v_bfrev_b32_e32 v13, 1
	s_and_saveexec_b32 s22, s5
	s_cbranch_execz .LBB391_882
; %bb.877:                              ;   in Loop: Header=BB391_11 Depth=1
	v_and_b32_e32 v16, 0x7f, v29
	v_mov_b32_e32 v13, 0x7f800001
	s_mov_b32 s23, exec_lo
	v_cmpx_ne_u32_e32 0x7f, v16
	s_cbranch_execz .LBB391_881
; %bb.878:                              ;   in Loop: Header=BB391_11 Depth=1
	v_mov_b32_e32 v31, v19
	v_lshrrev_b32_e32 v13, 3, v16
	v_mov_b32_e32 v30, v18
	s_mov_b32 s24, exec_lo
	v_cmpx_gt_u32_e32 8, v16
; %bb.879:                              ;   in Loop: Header=BB391_11 Depth=1
	v_and_b32_e32 v13, 7, v29
	v_ffbh_u32_e32 v13, v13
	v_min_u32_e32 v13, 32, v13
	v_subrev_nc_u32_e32 v16, 28, v13
	v_sub_nc_u32_e32 v13, 29, v13
	v_lshlrev_b64 v[30:31], v16, v[18:19]
; %bb.880:                              ;   in Loop: Header=BB391_11 Depth=1
	s_or_b32 exec_lo, exec_lo, s24
	v_lshlrev_b32_e32 v16, 20, v30
	v_lshlrev_b32_e32 v25, 24, v18
	v_lshl_add_u32 v13, v13, 23, 0x3c000000
	v_and_b32_e32 v16, 0x700000, v16
	v_and_b32_e32 v25, 0x80000000, v25
	v_or3_b32 v13, v16, v25, v13
.LBB391_881:                            ;   in Loop: Header=BB391_11 Depth=1
	s_or_b32 exec_lo, exec_lo, s23
.LBB391_882:                            ;   in Loop: Header=BB391_11 Depth=1
	s_or_b32 exec_lo, exec_lo, s22
.LBB391_883:                            ;   in Loop: Header=BB391_11 Depth=1
	s_or_b32 exec_lo, exec_lo, s6
	v_cmp_ne_u16_sdwa s5, v18, v19 src0_sel:BYTE_1 src1_sel:DWORD
	v_mov_b32_e32 v71, 0
	v_mov_b32_e32 v25, 0
	s_and_saveexec_b32 s6, s5
	s_cbranch_execz .LBB391_891
; %bb.884:                              ;   in Loop: Header=BB391_11 Depth=1
	v_cmp_ne_u16_sdwa s5, v18, v55 src0_sel:BYTE_1 src1_sel:DWORD
	v_bfrev_b32_e32 v25, 1
	s_and_saveexec_b32 s22, s5
	s_cbranch_execz .LBB391_890
; %bb.885:                              ;   in Loop: Header=BB391_11 Depth=1
	v_mov_b32_e32 v16, 0xffff
	v_mov_b32_e32 v25, 0x7f800001
	s_mov_b32 s23, exec_lo
	v_and_b32_sdwa v16, v16, v18 dst_sel:DWORD dst_unused:UNUSED_PAD src0_sel:DWORD src1_sel:BYTE_1
	v_and_b32_e32 v82, 0x7f, v16
	v_cmpx_ne_u32_e32 0x7f, v82
	s_cbranch_execz .LBB391_889
; %bb.886:                              ;   in Loop: Header=BB391_11 Depth=1
	v_and_b32_e32 v30, 7, v16
	v_mov_b32_e32 v31, v19
	v_lshrrev_b32_e32 v16, 3, v82
	s_mov_b32 s24, exec_lo
	v_cmpx_gt_u32_e32 8, v82
; %bb.887:                              ;   in Loop: Header=BB391_11 Depth=1
	v_ffbh_u32_e32 v16, v30
	v_min_u32_e32 v16, 32, v16
	v_subrev_nc_u32_e32 v25, 28, v16
	v_sub_nc_u32_e32 v16, 29, v16
	v_lshlrev_b64 v[30:31], v25, v[30:31]
	v_and_b32_e32 v30, 7, v30
; %bb.888:                              ;   in Loop: Header=BB391_11 Depth=1
	s_or_b32 exec_lo, exec_lo, s24
	v_lshlrev_b32_e32 v18, 16, v18
	v_lshlrev_b32_e32 v25, 20, v30
	v_lshl_add_u32 v16, v16, 23, 0x3c000000
	v_and_b32_e32 v18, 0x80000000, v18
	v_or3_b32 v25, v25, v18, v16
.LBB391_889:                            ;   in Loop: Header=BB391_11 Depth=1
	s_or_b32 exec_lo, exec_lo, s23
.LBB391_890:                            ;   in Loop: Header=BB391_11 Depth=1
	s_or_b32 exec_lo, exec_lo, s22
.LBB391_891:                            ;   in Loop: Header=BB391_11 Depth=1
	s_or_b32 exec_lo, exec_lo, s6
	v_and_b32_sdwa v16, v29, v66 dst_sel:DWORD dst_unused:UNUSED_PAD src0_sel:WORD_1 src1_sel:DWORD
	s_mov_b32 s6, exec_lo
	v_cmpx_ne_u16_e32 0, v16
	s_cbranch_execz .LBB391_899
; %bb.892:                              ;   in Loop: Header=BB391_11 Depth=1
	v_bfrev_b32_e32 v71, 1
	s_mov_b32 s22, exec_lo
	v_cmpx_ne_u16_e32 0x80, v16
	s_cbranch_execz .LBB391_898
; %bb.893:                              ;   in Loop: Header=BB391_11 Depth=1
	v_bfe_u32 v30, v29, 16, 7
	v_mov_b32_e32 v71, 0x7f800001
	s_mov_b32 s23, exec_lo
	v_cmpx_ne_u32_e32 0x7f, v30
	s_cbranch_execz .LBB391_897
; %bb.894:                              ;   in Loop: Header=BB391_11 Depth=1
	v_and_b32_sdwa v18, v29, v67 dst_sel:DWORD dst_unused:UNUSED_PAD src0_sel:WORD_1 src1_sel:DWORD
	v_lshrrev_b32_e32 v16, 3, v30
	v_cmp_gt_u32_e64 s5, 8, v30
	v_mov_b32_e32 v31, v19
	v_mov_b32_e32 v30, v18
	s_and_saveexec_b32 s24, s5
; %bb.895:                              ;   in Loop: Header=BB391_11 Depth=1
	v_ffbh_u32_e32 v16, v18
	v_min_u32_e32 v16, 32, v16
	v_subrev_nc_u32_e32 v30, 28, v16
	v_sub_nc_u32_e32 v16, 29, v16
	v_lshlrev_b64 v[30:31], v30, v[18:19]
	v_and_b32_e32 v30, 7, v30
; %bb.896:                              ;   in Loop: Header=BB391_11 Depth=1
	s_or_b32 exec_lo, exec_lo, s24
	v_lshlrev_b32_sdwa v18, v68, v29 dst_sel:DWORD dst_unused:UNUSED_PAD src0_sel:DWORD src1_sel:WORD_1
	v_lshlrev_b32_e32 v30, 20, v30
	v_lshl_add_u32 v16, v16, 23, 0x3c000000
	v_and_b32_e32 v18, 0x80000000, v18
	v_or3_b32 v71, v30, v18, v16
.LBB391_897:                            ;   in Loop: Header=BB391_11 Depth=1
	s_or_b32 exec_lo, exec_lo, s23
.LBB391_898:                            ;   in Loop: Header=BB391_11 Depth=1
	s_or_b32 exec_lo, exec_lo, s22
.LBB391_899:                            ;   in Loop: Header=BB391_11 Depth=1
	s_or_b32 exec_lo, exec_lo, s6
	v_mov_b32_e32 v16, 0
	s_mov_b32 s6, exec_lo
	v_cmpx_lt_u64_e64 s[8:9], v[28:29]
	s_cbranch_execz .LBB391_10
; %bb.900:                              ;   in Loop: Header=BB391_11 Depth=1
	v_cmp_ne_u32_sdwa s5, v29, v55 src0_sel:BYTE_3 src1_sel:DWORD
	v_bfrev_b32_e32 v16, 1
	s_and_saveexec_b32 s22, s5
	s_cbranch_execz .LBB391_9
; %bb.901:                              ;   in Loop: Header=BB391_11 Depth=1
	v_bfe_u32 v28, v29, 24, 7
	v_mov_b32_e32 v16, 0x7f800001
	s_mov_b32 s23, exec_lo
	v_cmpx_ne_u32_e32 0x7f, v28
	s_cbranch_execz .LBB391_8
; %bb.902:                              ;   in Loop: Header=BB391_11 Depth=1
	v_and_b32_sdwa v18, v29, v67 dst_sel:DWORD dst_unused:UNUSED_PAD src0_sel:BYTE_3 src1_sel:DWORD
	v_mov_b32_e32 v31, v19
	v_lshrrev_b32_e32 v16, 3, v28
	s_mov_b32 s24, exec_lo
	v_mov_b32_e32 v30, v18
	v_cmpx_gt_u32_e32 8, v28
	s_cbranch_execz .LBB391_7
; %bb.903:                              ;   in Loop: Header=BB391_11 Depth=1
	v_ffbh_u32_e32 v16, v18
	v_min_u32_e32 v16, 32, v16
	v_subrev_nc_u32_e32 v28, 28, v16
	v_sub_nc_u32_e32 v16, 29, v16
	v_lshlrev_b64 v[30:31], v28, v[18:19]
	v_and_b32_e32 v30, 7, v30
	s_branch .LBB391_7
.LBB391_904:
	s_or_b32 exec_lo, exec_lo, s17
	s_clause 0x14
	buffer_load_dword v36, off, s[0:3], s32 offset:696
	buffer_load_dword v37, off, s[0:3], s32 offset:700
	;; [unrolled: 1-line block ×21, first 2 shown]
.LBB391_905:
	s_or_b32 exec_lo, exec_lo, s21
	v_mbcnt_lo_u32_b32 v0, -1, 0
	v_max_f32_e32 v4, v52, v52
	s_lshr_b32 s8, s13, 16
	v_xor_b32_e32 v1, 16, v0
	v_xor_b32_e32 v3, 8, v0
	;; [unrolled: 1-line block ×3, first 2 shown]
	v_cmp_gt_i32_e32 vcc_lo, 32, v1
	v_cndmask_b32_e32 v1, v0, v1, vcc_lo
	v_cmp_gt_i32_e32 vcc_lo, 32, v3
	v_lshlrev_b32_e32 v2, 2, v1
	v_cndmask_b32_e32 v3, v0, v3, vcc_lo
	v_cmp_gt_i32_e32 vcc_lo, 32, v5
	ds_bpermute_b32 v1, v2, v52
	v_lshlrev_b32_e32 v3, 2, v3
	v_cndmask_b32_e32 v5, v0, v5, vcc_lo
	s_waitcnt lgkmcnt(0)
	v_max_f32_e32 v1, v1, v1
	v_max_f32_e32 v1, v4, v1
	ds_bpermute_b32 v4, v3, v1
	s_waitcnt lgkmcnt(0)
	v_max_f32_e32 v6, v4, v4
	v_lshlrev_b32_e32 v4, 2, v5
	v_max_f32_e32 v1, v1, v6
	v_xor_b32_e32 v6, 2, v0
	ds_bpermute_b32 v5, v4, v1
	v_cmp_gt_i32_e32 vcc_lo, 32, v6
	v_cndmask_b32_e32 v6, v0, v6, vcc_lo
	v_lshlrev_b32_e32 v13, 2, v6
	v_xor_b32_e32 v6, 1, v0
	v_cmp_gt_i32_e32 vcc_lo, 32, v6
	s_waitcnt lgkmcnt(0)
	v_max_f32_e32 v5, v5, v5
	v_cndmask_b32_e32 v6, v0, v6, vcc_lo
	s_waitcnt vmcnt(16)
	v_cmp_eq_u32_e32 vcc_lo, 0, v34
	v_max_f32_e32 v1, v1, v5
	v_lshlrev_b32_e32 v16, 2, v6
	ds_bpermute_b32 v5, v13, v1
	s_waitcnt lgkmcnt(0)
	v_max_f32_e32 v5, v5, v5
	v_max_f32_e32 v0, v1, v5
	v_lshlrev_b32_e32 v5, 2, v64
	ds_bpermute_b32 v1, v16, v0
	s_and_saveexec_b32 s5, vcc_lo
	s_cbranch_execz .LBB391_907
; %bb.906:
	s_waitcnt lgkmcnt(0)
	v_max_f32_e32 v1, v1, v1
	v_max_f32_e32 v0, v0, v0
	v_max_f32_e32 v0, v0, v1
	ds_write_b32 v5, v0 offset:224
.LBB391_907:
	s_or_b32 exec_lo, exec_lo, s5
	v_cmp_gt_u32_e64 s5, 4, v34
	v_mov_b32_e32 v0, 0xff7fffff
	s_waitcnt vmcnt(0) lgkmcnt(0)
	s_waitcnt_vscnt null, 0x0
	s_barrier
	buffer_gl0_inv
	s_and_saveexec_b32 s6, s5
; %bb.908:
	ds_read_b32 v0, v29 offset:224
; %bb.909:
	s_or_b32 exec_lo, exec_lo, s6
	buffer_load_dword v6, off, s[0:3], s32 offset:316 ; 4-byte Folded Reload
	s_waitcnt lgkmcnt(0)
	ds_bpermute_b32 v1, v13, v0
	v_max_f32_e32 v0, v0, v0
	s_waitcnt lgkmcnt(0)
	v_max_f32_e32 v1, v1, v1
	v_max_f32_e32 v0, v0, v1
	ds_bpermute_b32 v1, v16, v0
	s_waitcnt lgkmcnt(0)
	v_max_f32_e32 v1, v1, v1
	v_max_f32_e32 v0, v0, v1
	s_waitcnt vmcnt(0)
	v_subrev_nc_u32_e32 v7, s7, v6
	v_mov_b32_e32 v6, 0
	v_lshl_add_u32 v1, v7, 5, s20
	ds_bpermute_b32 v0, v6, v0
	v_min_i32_e32 v1, v1, v35
	v_subrev_nc_u32_e32 v1, s20, v1
	v_cmp_lt_i32_e64 s6, v38, v1
	s_and_saveexec_b32 s9, s6
	s_cbranch_execz .LBB391_913
; %bb.910:
	s_getpc_b64 s[22:23]
	s_add_u32 s22, s22, llvm.amdgcn.dynlds.offset.table@rel32@lo+4
	s_addc_u32 s23, s23, llvm.amdgcn.dynlds.offset.table@rel32@hi+12
	s_ashr_i32 s17, s16, 31
	v_mov_b32_e32 v6, 0
	s_lshl_b64 s[24:25], s[16:17], 2
	v_mov_b32_e32 v8, v38
	s_add_u32 s22, s22, s24
	s_addc_u32 s23, s23, s25
	s_mov_b32 s13, 0
	s_load_dword s7, s[22:23], 0x0
	s_waitcnt lgkmcnt(0)
	v_lshl_add_u32 v7, v38, 2, s7
	.p2align	6
.LBB391_911:                            ; =>This Inner Loop Header: Depth=1
	ds_read_b32 v9, v7
	v_add_nc_u32_e32 v8, 0x80, v8
	v_cmp_ge_i32_e64 s7, v8, v1
	s_or_b32 s13, s7, s13
	s_waitcnt lgkmcnt(0)
	v_sub_f32_e32 v9, v9, v0
	v_mul_f32_e32 v9, 0x3fb8aa3b, v9
	v_exp_f32_e32 v9, v9
	ds_write_b32 v7, v9
	v_add_f32_e32 v6, v6, v9
	v_add_nc_u32_e32 v7, 0x200, v7
	s_andn2_b32 exec_lo, exec_lo, s13
	s_cbranch_execnz .LBB391_911
; %bb.912:
	s_or_b32 exec_lo, exec_lo, s13
.LBB391_913:
	s_or_b32 exec_lo, exec_lo, s9
	ds_bpermute_b32 v2, v2, v6
	s_waitcnt lgkmcnt(0)
	v_add_f32_e32 v2, v6, v2
	ds_bpermute_b32 v3, v3, v2
	s_waitcnt lgkmcnt(0)
	v_add_f32_e32 v2, v2, v3
	;; [unrolled: 3-line block ×5, first 2 shown]
	s_and_saveexec_b32 s7, vcc_lo
; %bb.914:
	ds_write_b32 v5, v2 offset:240
; %bb.915:
	s_or_b32 exec_lo, exec_lo, s7
	s_waitcnt lgkmcnt(0)
	s_barrier
	buffer_gl0_inv
	s_and_saveexec_b32 s7, s5
; %bb.916:
	ds_read_b32 v2, v29 offset:240
; %bb.917:
	s_or_b32 exec_lo, exec_lo, s7
	s_waitcnt lgkmcnt(0)
	ds_bpermute_b32 v3, v13, v2
	s_waitcnt lgkmcnt(0)
	v_add_f32_e32 v2, v2, v3
	ds_bpermute_b32 v3, v16, v2
	s_waitcnt lgkmcnt(0)
	v_add_f32_e32 v2, v2, v3
	v_mov_b32_e32 v3, 0
	ds_bpermute_b32 v2, v3, v2
	s_and_saveexec_b32 s5, s6
	s_cbranch_execz .LBB391_920
; %bb.918:
	s_waitcnt lgkmcnt(0)
	v_add_f32_e32 v4, 0x358637bd, v2
	s_getpc_b64 s[6:7]
	s_add_u32 s6, s6, llvm.amdgcn.dynlds.offset.table@rel32@lo+4
	s_addc_u32 s7, s7, llvm.amdgcn.dynlds.offset.table@rel32@hi+12
	s_ashr_i32 s17, s16, 31
	s_lshl_b64 s[22:23], s[16:17], 2
	v_div_scale_f32 v3, null, v4, v4, 1.0
	v_div_scale_f32 v7, vcc_lo, 1.0, v4, 1.0
	s_add_u32 s6, s6, s22
	v_rcp_f32_e32 v5, v3
	s_addc_u32 s7, s7, s23
	s_load_dword s6, s[6:7], 0x0
	v_fma_f32 v6, -v3, v5, 1.0
	v_fmac_f32_e32 v5, v6, v5
	v_mul_f32_e32 v6, v7, v5
	v_fma_f32 v8, -v3, v6, v7
	v_fmac_f32_e32 v6, v8, v5
	v_fma_f32 v3, -v3, v6, v7
	v_div_fmas_f32 v5, v3, v5, v6
	s_waitcnt lgkmcnt(0)
	v_lshl_add_u32 v3, v38, 2, s6
	s_mov_b32 s6, 0
	v_div_fixup_f32 v4, v5, v4, 1.0
	v_mov_b32_e32 v5, v38
.LBB391_919:                            ; =>This Inner Loop Header: Depth=1
	ds_read_b32 v6, v3
	v_add_nc_u32_e32 v5, 0x80, v5
	v_cmp_ge_i32_e32 vcc_lo, v5, v1
	s_or_b32 s6, vcc_lo, s6
	s_waitcnt lgkmcnt(0)
	v_mul_f32_e32 v6, v4, v6
	ds_write_b32 v3, v6
	v_add_nc_u32_e32 v3, 0x200, v3
	s_andn2_b32 exec_lo, exec_lo, s6
	s_cbranch_execnz .LBB391_919
.LBB391_920:
	s_or_b32 exec_lo, exec_lo, s5
	s_and_b32 s5, 0xffff, s8
	s_mov_b32 s8, exec_lo
	s_cmp_lg_u32 s5, 0
	s_waitcnt lgkmcnt(0)
	s_cselect_b32 s5, -1, 0
	s_barrier
	s_cmp_lg_u32 s5, 0
	buffer_gl0_inv
	s_addc_u32 s5, s11, 0
	s_mul_i32 s6, s5, s18
	s_mul_i32 s6, s6, s15
	v_cmpx_eq_u32_e32 0, v38
	s_cbranch_execz .LBB391_922
; %bb.921:
	s_ashr_i32 s7, s6, 31
	s_mul_i32 s12, s5, s12
	s_lshl_b64 s[22:23], s[6:7], 2
	s_ashr_i32 s13, s12, 31
	v_add_co_u32 v1, vcc_lo, v28, s22
	v_add_co_ci_u32_e64 v3, null, s23, v25, vcc_lo
	s_lshl_b64 s[12:13], s[12:13], 2
	s_ashr_i32 s15, s14, 31
	v_add_co_u32 v1, vcc_lo, v1, s12
	v_add_co_ci_u32_e64 v4, null, s13, v3, vcc_lo
	v_add_co_u32 v3, vcc_lo, v24, s22
	v_add_co_ci_u32_e64 v5, null, s23, v22, vcc_lo
	s_lshl_b64 s[22:23], s[14:15], 2
	v_add_co_u32 v6, vcc_lo, v3, s12
	v_add_co_ci_u32_e64 v7, null, s13, v5, vcc_lo
	v_add_co_u32 v3, vcc_lo, v1, s22
	v_add_co_ci_u32_e64 v4, null, s23, v4, vcc_lo
	;; [unrolled: 2-line block ×3, first 2 shown]
	flat_store_dword v[3:4], v0
	flat_store_dword v[5:6], v2
.LBB391_922:
	s_or_b32 exec_lo, exec_lo, s8
	s_and_saveexec_b32 s7, s4
	s_xor_b32 s4, exec_lo, s7
	s_cbranch_execz .LBB391_924
; %bb.923:
                                        ; implicit-def: $vgpr0
	s_ashr_i32 s17, s16, 31
                                        ; kill: killed $vgpr0
                                        ; implicit-def: $vgpr0
                                        ; implicit-def: $vgpr35
                                        ; implicit-def: $vgpr12
                                        ; implicit-def: $vgpr10
                                        ; implicit-def: $vgpr11
                                        ; implicit-def: $vgpr14
                                        ; implicit-def: $vgpr15
                                        ; implicit-def: $vgpr26_vgpr27
                                        ; implicit-def: $vgpr66
                                        ; implicit-def: $vgpr67
                                        ; implicit-def: $vgpr17_vgpr18
	buffer_store_dword v0, off, s[0:3], s32 offset:192 ; 4-byte Folded Spill
	buffer_store_dword v1, off, s[0:3], s32 offset:196 ; 4-byte Folded Spill
                                        ; implicit-def: $vgpr0
                                        ; kill: killed $vgpr0
.LBB391_924:
	s_or_saveexec_b32 s7, s4
	v_mov_b32_e32 v0, s16
	v_mov_b32_e32 v52, 0
	;; [unrolled: 1-line block ×3, first 2 shown]
	v_and_b32_e32 v65, 3, v38
	v_mov_b32_e32 v55, 0
	v_mov_b32_e32 v54, 0
	v_mov_b32_e32 v53, 0
	v_mov_b32_e32 v51, 0
	v_mov_b32_e32 v50, 0
	v_mov_b32_e32 v49, 0
	v_mov_b32_e32 v48, 0
	v_mov_b32_e32 v39, 0
	v_mov_b32_e32 v33, 0
	v_mov_b32_e32 v32, 0
	v_mov_b32_e32 v31, 0
	v_mov_b32_e32 v30, 0
	v_mov_b32_e32 v29, 0
	s_xor_b32 exec_lo, exec_lo, s7
	s_cbranch_execz .LBB391_1852
; %bb.925:
	v_lshlrev_b32_e32 v0, 3, v38
	s_getpc_b64 s[8:9]
	s_add_u32 s8, s8, llvm.amdgcn.dynlds.offset.table@rel32@lo+4
	s_addc_u32 s9, s9, llvm.amdgcn.dynlds.offset.table@rel32@hi+12
	s_ashr_i32 s17, s16, 31
	buffer_store_dword v13, off, s[0:3], s32 offset:336 ; 4-byte Folded Spill
	buffer_store_dword v16, off, s[0:3], s32 offset:332 ; 4-byte Folded Spill
	s_lshl_b64 s[12:13], s[16:17], 2
	v_and_b32_e32 v2, 24, v0
	v_and_b32_e32 v5, 0xf8, v0
	v_add_nc_u32_e32 v0, -1, v12
	s_add_u32 s8, s8, s12
	s_addc_u32 s9, s9, s13
	flat_load_dword v26, v[26:27]
	s_load_dword s4, s[8:9], 0x0
	buffer_store_dword v0, off, s[0:3], s32 offset:320 ; 4-byte Folded Spill
	s_clause 0x1
	buffer_load_dword v0, off, s[0:3], s32 offset:192
	buffer_load_dword v1, off, s[0:3], s32 offset:196
	v_add_co_u32 v3, vcc_lo, v10, v66
	v_add_co_ci_u32_e64 v4, null, v11, v67, vcc_lo
	v_mov_b32_e32 v11, 0
	v_add_co_u32 v3, vcc_lo, v3, v5
	v_add_co_ci_u32_e64 v4, null, 0, v4, vcc_lo
	buffer_store_dword v3, off, s[0:3], s32 offset:324 ; 4-byte Folded Spill
	buffer_store_dword v4, off, s[0:3], s32 offset:328 ; 4-byte Folded Spill
	buffer_store_dword v65, off, s[0:3], s32 offset:340 ; 4-byte Folded Spill
	v_lshlrev_b32_e32 v3, 5, v65
	v_lshl_add_u32 v4, v64, 5, s20
	v_mov_b32_e32 v66, 0x80
	v_mov_b32_e32 v68, 0xff
	;; [unrolled: 1-line block ×3, first 2 shown]
	v_lshl_or_b32 v3, v64, 7, v3
	v_add3_u32 v64, v4, v2, 7
	v_mov_b32_e32 v30, 0
	v_mov_b32_e32 v31, 0
	;; [unrolled: 1-line block ×3, first 2 shown]
	s_waitcnt lgkmcnt(0)
	v_add_nc_u32_e32 v65, s4, v3
	v_mov_b32_e32 v33, 0
	v_mov_b32_e32 v39, 0
	;; [unrolled: 1-line block ×10, first 2 shown]
	s_mov_b32 s8, -1
	s_mov_b32 s9, 0xffffff
	s_mov_b32 s11, 0
	s_waitcnt vmcnt(0)
	v_lshlrev_b64 v[0:1], 2, v[0:1]
	v_add_co_u32 v0, vcc_lo, v17, v0
	v_add_co_ci_u32_e64 v1, null, v18, v1, vcc_lo
	v_add_co_u32 v14, vcc_lo, v14, v0
	v_add_co_ci_u32_e64 v15, null, v15, v1, vcc_lo
	s_branch .LBB391_927
.LBB391_926:                            ;   in Loop: Header=BB391_927 Depth=1
	s_or_b32 exec_lo, exec_lo, s4
	v_bfe_u32 v16, v6, 16, 1
	v_or_b32_e32 v118, 0x400000, v6
	v_cmp_u_f32_e32 vcc_lo, v6, v6
	v_lshlrev_b32_e32 v114, 16, v114
	v_lshlrev_b32_e32 v96, 16, v96
	v_add3_u32 v16, v16, v6, 0x7fff
	v_lshlrev_b32_e32 v97, 16, v97
	v_lshlrev_b32_e32 v70, 16, v70
	;; [unrolled: 1-line block ×4, first 2 shown]
	v_cndmask_b32_e32 v6, v16, v118, vcc_lo
	v_bfe_u32 v16, v7, 16, 1
	v_or_b32_e32 v118, 0x400000, v7
	v_cmp_u_f32_e32 vcc_lo, v7, v7
	v_lshlrev_b32_e32 v82, 16, v82
	v_lshlrev_b32_e32 v83, 16, v83
	v_add3_u32 v16, v16, v7, 0x7fff
	v_lshlrev_b32_e32 v80, 16, v80
	v_lshlrev_b32_e32 v81, 16, v81
	;; [unrolled: 1-line block ×4, first 2 shown]
	v_cndmask_b32_e32 v7, v16, v118, vcc_lo
	v_bfe_u32 v16, v8, 16, 1
	v_or_b32_e32 v118, 0x400000, v8
	v_cmp_u_f32_e32 vcc_lo, v8, v8
	v_lshlrev_b32_e32 v4, 16, v4
	v_lshlrev_b32_e32 v12, 16, v12
	v_add3_u32 v16, v16, v8, 0x7fff
	v_bfe_u32 v8, v9, 16, 1
	v_lshlrev_b32_e32 v28, 16, v28
	v_lshlrev_b32_e32 v13, 16, v13
	;; [unrolled: 1-line block ×3, first 2 shown]
	v_cndmask_b32_e32 v16, v16, v118, vcc_lo
	v_add3_u32 v8, v8, v9, 0x7fff
	v_or_b32_e32 v118, 0x400000, v9
	v_cmp_u_f32_e32 vcc_lo, v9, v9
	v_or_b32_e32 v9, 0x400000, v0
	v_add_nc_u32_e32 v64, 0x80, v64
	v_add_nc_u32_e32 v65, 0x200, v65
	v_cndmask_b32_e32 v118, v8, v118, vcc_lo
	v_bfe_u32 v8, v0, 16, 1
	v_cmp_u_f32_e32 vcc_lo, v0, v0
	v_add3_u32 v8, v8, v0, 0x7fff
	v_cndmask_b32_e32 v0, v8, v9, vcc_lo
	v_bfe_u32 v8, v1, 16, 1
	v_or_b32_e32 v9, 0x400000, v1
	v_cmp_u_f32_e32 vcc_lo, v1, v1
	v_add3_u32 v8, v8, v1, 0x7fff
	v_cndmask_b32_e32 v1, v8, v9, vcc_lo
	v_bfe_u32 v8, v2, 16, 1
	v_or_b32_e32 v9, 0x400000, v2
	v_cmp_u_f32_e32 vcc_lo, v2, v2
	v_and_b32_e32 v1, 0xffff0000, v1
	v_add3_u32 v8, v8, v2, 0x7fff
	v_mul_f32_e32 v70, v1, v70
	v_cndmask_b32_e32 v2, v8, v9, vcc_lo
	v_bfe_u32 v8, v3, 16, 1
	v_or_b32_e32 v9, 0x400000, v3
	v_cmp_u_f32_e32 vcc_lo, v3, v3
	v_mul_f32_e32 v80, v1, v80
	v_and_b32_e32 v2, 0xffff0000, v2
	v_add3_u32 v8, v8, v3, 0x7fff
	v_lshlrev_b32_e32 v3, 16, v115
	v_mul_f32_e32 v114, v2, v114
	v_cndmask_b32_e32 v119, v8, v9, vcc_lo
	v_and_b32_e32 v8, 0xffff0000, v7
	v_mul_f32_e32 v98, v2, v98
	v_mul_f32_e32 v84, v2, v84
	;; [unrolled: 1-line block ×4, first 2 shown]
	v_bfe_u32 v7, v3, 16, 1
	v_or_b32_e32 v9, 0x400000, v3
	v_cmp_u_f32_e32 vcc_lo, v3, v3
	v_add3_u32 v7, v7, v3, 0x7fff
	v_lshlrev_b32_e32 v3, 16, v116
	v_cndmask_b32_e32 v115, v7, v9, vcc_lo
	v_and_b32_e32 v9, 0xffff0000, v6
	v_and_b32_e32 v115, 0xffff0000, v115
	v_mul_f32_e32 v3, v9, v3
	v_bfe_u32 v6, v3, 16, 1
	v_or_b32_e32 v7, 0x400000, v3
	v_cmp_u_f32_e32 vcc_lo, v3, v3
	v_add3_u32 v6, v6, v3, 0x7fff
	v_and_b32_e32 v3, 0xffff0000, v118
	v_cndmask_b32_e32 v116, v6, v7, vcc_lo
	v_lshlrev_b32_e32 v6, 16, v112
	v_mul_f32_e32 v96, v3, v96
	v_mul_f32_e32 v82, v3, v82
	;; [unrolled: 1-line block ×3, first 2 shown]
	v_and_b32_e32 v116, 0xffff0000, v116
	v_mul_f32_e32 v6, v3, v6
	v_add_f32_e32 v115, v116, v115
	v_bfe_u32 v7, v6, 16, 1
	v_or_b32_e32 v112, 0x400000, v6
	v_cmp_u_f32_e32 vcc_lo, v6, v6
	v_add3_u32 v7, v7, v6, 0x7fff
	v_lshlrev_b32_e32 v6, 16, v113
	v_cndmask_b32_e32 v112, v7, v112, vcc_lo
	v_and_b32_e32 v7, 0xffff0000, v16
	v_and_b32_e32 v112, 0xffff0000, v112
	v_mul_f32_e32 v6, v7, v6
	v_mul_f32_e32 v97, v7, v97
	;; [unrolled: 1-line block ×4, first 2 shown]
	v_bfe_u32 v16, v6, 16, 1
	v_or_b32_e32 v113, 0x400000, v6
	v_cmp_u_f32_e32 vcc_lo, v6, v6
	v_add3_u32 v16, v16, v6, 0x7fff
	v_lshlrev_b32_e32 v6, 16, v102
	v_cndmask_b32_e32 v16, v16, v113, vcc_lo
	v_mul_f32_e32 v6, v1, v6
	v_and_b32_e32 v16, 0xffff0000, v16
	v_bfe_u32 v102, v6, 16, 1
	v_or_b32_e32 v113, 0x400000, v6
	v_cmp_u_f32_e32 vcc_lo, v6, v6
	v_add_f32_e32 v16, v16, v112
	v_add3_u32 v102, v102, v6, 0x7fff
	v_and_b32_e32 v6, 0xffff0000, v0
	v_lshlrev_b32_e32 v0, 16, v103
	v_add_f32_e32 v16, v115, v16
	v_cndmask_b32_e32 v102, v102, v113, vcc_lo
	v_mul_f32_e32 v87, v6, v87
	v_mul_f32_e32 v0, v6, v0
	;; [unrolled: 1-line block ×4, first 2 shown]
	v_and_b32_e32 v102, 0xffff0000, v102
	v_mul_f32_e32 v5, v6, v5
	v_bfe_u32 v103, v0, 16, 1
	v_or_b32_e32 v113, 0x400000, v0
	v_cmp_u_f32_e32 vcc_lo, v0, v0
	v_add3_u32 v103, v103, v0, 0x7fff
	v_and_b32_e32 v0, 0xffff0000, v119
	v_cndmask_b32_e32 v103, v103, v113, vcc_lo
	v_lshlrev_b32_e32 v113, 16, v117
	v_mul_f32_e32 v69, v0, v69
	v_and_b32_e32 v103, 0xffff0000, v103
	v_mul_f32_e32 v113, v0, v113
	v_add_f32_e32 v102, v103, v102
	v_bfe_u32 v117, v113, 16, 1
	v_or_b32_e32 v118, 0x400000, v113
	v_cmp_u_f32_e32 vcc_lo, v113, v113
	v_add_f32_e32 v16, v16, v102
	v_add3_u32 v117, v117, v113, 0x7fff
	v_cndmask_b32_e32 v113, v117, v118, vcc_lo
	v_bfe_u32 v117, v114, 16, 1
	v_or_b32_e32 v118, 0x400000, v114
	v_cmp_u_f32_e32 vcc_lo, v114, v114
	v_and_b32_e32 v103, 0xffff0000, v113
	v_add3_u32 v117, v117, v114, 0x7fff
	v_cndmask_b32_e32 v114, v117, v118, vcc_lo
	v_and_b32_e32 v102, 0xffff0000, v114
	v_add_f32_e32 v102, v102, v103
	v_add_f32_e32 v16, v16, v102
	v_add_f32_e32 v30, v30, v16
	v_lshlrev_b32_e32 v16, 16, v99
	v_mul_f32_e32 v16, v8, v16
	v_bfe_u32 v99, v16, 16, 1
	v_or_b32_e32 v102, 0x400000, v16
	v_cmp_u_f32_e32 vcc_lo, v16, v16
	v_add3_u32 v99, v99, v16, 0x7fff
	v_cndmask_b32_e32 v16, v99, v102, vcc_lo
	v_lshlrev_b32_e32 v99, 16, v100
	v_and_b32_e32 v16, 0xffff0000, v16
	v_mul_f32_e32 v99, v9, v99
	v_bfe_u32 v100, v99, 16, 1
	v_or_b32_e32 v102, 0x400000, v99
	v_cmp_u_f32_e32 vcc_lo, v99, v99
	v_add3_u32 v100, v100, v99, 0x7fff
	v_cndmask_b32_e32 v99, v100, v102, vcc_lo
	v_bfe_u32 v100, v96, 16, 1
	v_or_b32_e32 v102, 0x400000, v96
	v_cmp_u_f32_e32 vcc_lo, v96, v96
	v_and_b32_e32 v99, 0xffff0000, v99
	v_add3_u32 v100, v100, v96, 0x7fff
	v_add_f32_e32 v16, v99, v16
	v_cndmask_b32_e32 v96, v100, v102, vcc_lo
	v_bfe_u32 v100, v97, 16, 1
	v_or_b32_e32 v102, 0x400000, v97
	v_cmp_u_f32_e32 vcc_lo, v97, v97
	v_and_b32_e32 v96, 0xffff0000, v96
	v_add3_u32 v100, v100, v97, 0x7fff
	v_cndmask_b32_e32 v97, v100, v102, vcc_lo
	v_bfe_u32 v100, v70, 16, 1
	v_or_b32_e32 v102, 0x400000, v70
	v_cmp_u_f32_e32 vcc_lo, v70, v70
	v_and_b32_e32 v97, 0xffff0000, v97
	v_add3_u32 v100, v100, v70, 0x7fff
	v_add_f32_e32 v96, v97, v96
	v_cndmask_b32_e32 v70, v100, v102, vcc_lo
	v_bfe_u32 v100, v87, 16, 1
	v_or_b32_e32 v102, 0x400000, v87
	v_cmp_u_f32_e32 vcc_lo, v87, v87
	v_add_f32_e32 v16, v16, v96
	v_and_b32_e32 v70, 0xffff0000, v70
	v_add3_u32 v100, v100, v87, 0x7fff
	v_cndmask_b32_e32 v87, v100, v102, vcc_lo
	v_lshlrev_b32_e32 v100, 16, v101
	v_and_b32_e32 v87, 0xffff0000, v87
	v_mul_f32_e32 v100, v0, v100
	v_add_f32_e32 v70, v87, v70
	v_bfe_u32 v101, v100, 16, 1
	v_or_b32_e32 v102, 0x400000, v100
	v_cmp_u_f32_e32 vcc_lo, v100, v100
	v_add_f32_e32 v16, v16, v70
	v_add3_u32 v101, v101, v100, 0x7fff
	v_cndmask_b32_e32 v100, v101, v102, vcc_lo
	v_bfe_u32 v101, v98, 16, 1
	v_or_b32_e32 v102, 0x400000, v98
	v_cmp_u_f32_e32 vcc_lo, v98, v98
	v_and_b32_e32 v87, 0xffff0000, v100
	v_add3_u32 v101, v101, v98, 0x7fff
	v_cndmask_b32_e32 v98, v101, v102, vcc_lo
	v_and_b32_e32 v70, 0xffff0000, v98
	v_add_f32_e32 v70, v70, v87
	v_add_f32_e32 v16, v16, v70
	;; [unrolled: 1-line block ×3, first 2 shown]
	v_lshlrev_b32_e32 v16, 16, v85
	v_mul_f32_e32 v16, v8, v16
	v_bfe_u32 v70, v16, 16, 1
	v_or_b32_e32 v85, 0x400000, v16
	v_cmp_u_f32_e32 vcc_lo, v16, v16
	v_add3_u32 v70, v70, v16, 0x7fff
	v_cndmask_b32_e32 v16, v70, v85, vcc_lo
	v_lshlrev_b32_e32 v70, 16, v86
	v_and_b32_e32 v16, 0xffff0000, v16
	v_mul_f32_e32 v70, v9, v70
	v_bfe_u32 v85, v70, 16, 1
	v_or_b32_e32 v86, 0x400000, v70
	v_cmp_u_f32_e32 vcc_lo, v70, v70
	v_add3_u32 v85, v85, v70, 0x7fff
	v_cndmask_b32_e32 v70, v85, v86, vcc_lo
	v_bfe_u32 v85, v82, 16, 1
	v_or_b32_e32 v86, 0x400000, v82
	v_cmp_u_f32_e32 vcc_lo, v82, v82
	v_and_b32_e32 v70, 0xffff0000, v70
	v_add3_u32 v85, v85, v82, 0x7fff
	v_add_f32_e32 v16, v70, v16
	v_cndmask_b32_e32 v82, v85, v86, vcc_lo
	v_bfe_u32 v85, v83, 16, 1
	v_or_b32_e32 v86, 0x400000, v83
	v_cmp_u_f32_e32 vcc_lo, v83, v83
	v_and_b32_e32 v82, 0xffff0000, v82
	v_add3_u32 v85, v85, v83, 0x7fff
	v_cndmask_b32_e32 v83, v85, v86, vcc_lo
	v_bfe_u32 v85, v80, 16, 1
	v_or_b32_e32 v86, 0x400000, v80
	v_cmp_u_f32_e32 vcc_lo, v80, v80
	v_and_b32_e32 v70, 0xffff0000, v83
	v_add3_u32 v85, v85, v80, 0x7fff
	v_add_f32_e32 v70, v70, v82
	v_cndmask_b32_e32 v80, v85, v86, vcc_lo
	v_bfe_u32 v85, v81, 16, 1
	v_or_b32_e32 v86, 0x400000, v81
	v_cmp_u_f32_e32 vcc_lo, v81, v81
	v_add_f32_e32 v16, v16, v70
	v_and_b32_e32 v80, 0xffff0000, v80
	v_add3_u32 v85, v85, v81, 0x7fff
	v_cndmask_b32_e32 v81, v85, v86, vcc_lo
	v_bfe_u32 v85, v69, 16, 1
	v_or_b32_e32 v86, 0x400000, v69
	v_cmp_u_f32_e32 vcc_lo, v69, v69
	v_and_b32_e32 v70, 0xffff0000, v81
	v_add3_u32 v85, v85, v69, 0x7fff
	v_add_f32_e32 v70, v70, v80
	v_cndmask_b32_e32 v69, v85, v86, vcc_lo
	v_bfe_u32 v85, v84, 16, 1
	v_or_b32_e32 v86, 0x400000, v84
	v_cmp_u_f32_e32 vcc_lo, v84, v84
	v_add_f32_e32 v16, v16, v70
	v_and_b32_e32 v69, 0xffff0000, v69
	v_add3_u32 v85, v85, v84, 0x7fff
	v_cndmask_b32_e32 v84, v85, v86, vcc_lo
	v_and_b32_e32 v70, 0xffff0000, v84
	v_add_f32_e32 v69, v70, v69
	v_add_f32_e32 v16, v16, v69
	;; [unrolled: 1-line block ×3, first 2 shown]
	v_lshlrev_b32_e32 v16, 16, v21
	v_mul_f32_e32 v16, v8, v16
	v_bfe_u32 v21, v16, 16, 1
	v_or_b32_e32 v69, 0x400000, v16
	v_cmp_u_f32_e32 vcc_lo, v16, v16
	v_add3_u32 v21, v21, v16, 0x7fff
	v_cndmask_b32_e32 v16, v21, v69, vcc_lo
	v_lshlrev_b32_e32 v21, 16, v25
	v_and_b32_e32 v16, 0xffff0000, v16
	v_mul_f32_e32 v21, v9, v21
	v_bfe_u32 v25, v21, 16, 1
	v_or_b32_e32 v69, 0x400000, v21
	v_cmp_u_f32_e32 vcc_lo, v21, v21
	v_add3_u32 v25, v25, v21, 0x7fff
	v_cndmask_b32_e32 v21, v25, v69, vcc_lo
	v_bfe_u32 v25, v4, 16, 1
	v_or_b32_e32 v69, 0x400000, v4
	v_cmp_u_f32_e32 vcc_lo, v4, v4
	v_and_b32_e32 v21, 0xffff0000, v21
	v_add3_u32 v25, v25, v4, 0x7fff
	v_add_f32_e32 v16, v21, v16
	v_cndmask_b32_e32 v4, v25, v69, vcc_lo
	v_bfe_u32 v25, v12, 16, 1
	v_or_b32_e32 v69, 0x400000, v12
	v_cmp_u_f32_e32 vcc_lo, v12, v12
	v_and_b32_e32 v4, 0xffff0000, v4
	v_add3_u32 v25, v25, v12, 0x7fff
	v_cndmask_b32_e32 v12, v25, v69, vcc_lo
	v_lshlrev_b32_e32 v25, 16, v127
	v_and_b32_e32 v12, 0xffff0000, v12
	v_mul_f32_e32 v25, v1, v25
	v_add_f32_e32 v4, v12, v4
	v_bfe_u32 v69, v25, 16, 1
	v_or_b32_e32 v70, 0x400000, v25
	v_cmp_u_f32_e32 vcc_lo, v25, v25
	v_add_f32_e32 v4, v16, v4
	v_add3_u32 v69, v69, v25, 0x7fff
	v_cndmask_b32_e32 v25, v69, v70, vcc_lo
	v_bfe_u32 v69, v28, 16, 1
	v_or_b32_e32 v70, 0x400000, v28
	v_cmp_u_f32_e32 vcc_lo, v28, v28
	v_and_b32_e32 v16, 0xffff0000, v25
	v_add3_u32 v69, v69, v28, 0x7fff
	v_cndmask_b32_e32 v28, v69, v70, vcc_lo
	v_lshlrev_b32_e32 v69, 16, v71
	v_and_b32_e32 v12, 0xffff0000, v28
	v_mul_f32_e32 v69, v0, v69
	v_add_f32_e32 v12, v12, v16
	v_bfe_u32 v70, v69, 16, 1
	v_or_b32_e32 v71, 0x400000, v69
	v_cmp_u_f32_e32 vcc_lo, v69, v69
	v_add_f32_e32 v4, v4, v12
	v_add3_u32 v70, v70, v69, 0x7fff
	v_cndmask_b32_e32 v69, v70, v71, vcc_lo
	v_bfe_u32 v70, v13, 16, 1
	v_or_b32_e32 v71, 0x400000, v13
	v_cmp_u_f32_e32 vcc_lo, v13, v13
	v_add3_u32 v70, v70, v13, 0x7fff
	v_cndmask_b32_e32 v13, v70, v71, vcc_lo
	v_and_b32_e32 v12, 0xffff0000, v13
	v_and_b32_e32 v13, 0xffff0000, v69
	v_add_f32_e32 v12, v12, v13
	v_add_f32_e32 v4, v4, v12
	;; [unrolled: 1-line block ×3, first 2 shown]
	v_lshlrev_b32_e32 v4, 16, v124
	v_mul_f32_e32 v4, v8, v4
	v_bfe_u32 v12, v4, 16, 1
	v_or_b32_e32 v13, 0x400000, v4
	v_cmp_u_f32_e32 vcc_lo, v4, v4
	v_add3_u32 v12, v12, v4, 0x7fff
	v_cndmask_b32_e32 v4, v12, v13, vcc_lo
	v_lshlrev_b32_e32 v12, 16, v125
	v_and_b32_e32 v4, 0xffff0000, v4
	v_mul_f32_e32 v12, v9, v12
	v_bfe_u32 v13, v12, 16, 1
	v_or_b32_e32 v16, 0x400000, v12
	v_cmp_u_f32_e32 vcc_lo, v12, v12
	v_add3_u32 v13, v13, v12, 0x7fff
	v_cndmask_b32_e32 v12, v13, v16, vcc_lo
	v_lshlrev_b32_e32 v13, 16, v121
	v_and_b32_e32 v12, 0xffff0000, v12
	v_mul_f32_e32 v13, v3, v13
	v_add_f32_e32 v4, v12, v4
	v_bfe_u32 v16, v13, 16, 1
	v_or_b32_e32 v21, 0x400000, v13
	v_cmp_u_f32_e32 vcc_lo, v13, v13
	v_add3_u32 v16, v16, v13, 0x7fff
	v_cndmask_b32_e32 v13, v16, v21, vcc_lo
	v_lshlrev_b32_e32 v16, 16, v122
	v_and_b32_e32 v13, 0xffff0000, v13
	v_mul_f32_e32 v16, v7, v16
	v_bfe_u32 v21, v16, 16, 1
	v_or_b32_e32 v25, 0x400000, v16
	v_cmp_u_f32_e32 vcc_lo, v16, v16
	v_add3_u32 v21, v21, v16, 0x7fff
	v_cndmask_b32_e32 v16, v21, v25, vcc_lo
	v_lshlrev_b32_e32 v21, 16, v111
	v_and_b32_e32 v12, 0xffff0000, v16
	v_mul_f32_e32 v21, v1, v21
	v_add_f32_e32 v12, v12, v13
	v_bfe_u32 v25, v21, 16, 1
	v_or_b32_e32 v28, 0x400000, v21
	v_cmp_u_f32_e32 vcc_lo, v21, v21
	v_add_f32_e32 v4, v4, v12
	v_add3_u32 v25, v25, v21, 0x7fff
	v_cndmask_b32_e32 v21, v25, v28, vcc_lo
	v_lshlrev_b32_e32 v25, 16, v120
	v_and_b32_e32 v13, 0xffff0000, v21
	v_mul_f32_e32 v25, v6, v25
	v_bfe_u32 v28, v25, 16, 1
	v_or_b32_e32 v69, 0x400000, v25
	v_cmp_u_f32_e32 vcc_lo, v25, v25
	v_add3_u32 v28, v28, v25, 0x7fff
	v_cndmask_b32_e32 v25, v28, v69, vcc_lo
	v_lshlrev_b32_e32 v28, 16, v126
	v_and_b32_e32 v12, 0xffff0000, v25
	v_mul_f32_e32 v28, v0, v28
	v_add_f32_e32 v12, v12, v13
	v_bfe_u32 v69, v28, 16, 1
	v_or_b32_e32 v70, 0x400000, v28
	v_cmp_u_f32_e32 vcc_lo, v28, v28
	v_add_f32_e32 v4, v4, v12
	v_add3_u32 v69, v69, v28, 0x7fff
	v_cndmask_b32_e32 v28, v69, v70, vcc_lo
	v_lshlrev_b32_e32 v69, 16, v123
	v_and_b32_e32 v13, 0xffff0000, v28
	v_mul_f32_e32 v69, v2, v69
	v_bfe_u32 v70, v69, 16, 1
	v_or_b32_e32 v71, 0x400000, v69
	v_cmp_u_f32_e32 vcc_lo, v69, v69
	v_add3_u32 v70, v70, v69, 0x7fff
	v_cndmask_b32_e32 v69, v70, v71, vcc_lo
	v_and_b32_e32 v12, 0xffff0000, v69
	v_add_f32_e32 v12, v12, v13
	v_add_f32_e32 v4, v4, v12
	;; [unrolled: 1-line block ×3, first 2 shown]
	v_lshlrev_b32_e32 v4, 16, v108
	v_mul_f32_e32 v4, v8, v4
	v_bfe_u32 v12, v4, 16, 1
	v_or_b32_e32 v13, 0x400000, v4
	v_cmp_u_f32_e32 vcc_lo, v4, v4
	v_add3_u32 v12, v12, v4, 0x7fff
	v_cndmask_b32_e32 v4, v12, v13, vcc_lo
	v_lshlrev_b32_e32 v12, 16, v109
	v_and_b32_e32 v4, 0xffff0000, v4
	v_mul_f32_e32 v12, v9, v12
	v_bfe_u32 v13, v12, 16, 1
	v_or_b32_e32 v16, 0x400000, v12
	v_cmp_u_f32_e32 vcc_lo, v12, v12
	v_add3_u32 v13, v13, v12, 0x7fff
	v_cndmask_b32_e32 v12, v13, v16, vcc_lo
	v_lshlrev_b32_e32 v13, 16, v105
	v_and_b32_e32 v12, 0xffff0000, v12
	v_mul_f32_e32 v13, v3, v13
	v_add_f32_e32 v4, v12, v4
	v_bfe_u32 v16, v13, 16, 1
	v_or_b32_e32 v21, 0x400000, v13
	v_cmp_u_f32_e32 vcc_lo, v13, v13
	v_add3_u32 v16, v16, v13, 0x7fff
	v_cndmask_b32_e32 v13, v16, v21, vcc_lo
	v_lshlrev_b32_e32 v16, 16, v106
	v_and_b32_e32 v13, 0xffff0000, v13
	v_mul_f32_e32 v16, v7, v16
	v_bfe_u32 v21, v16, 16, 1
	v_or_b32_e32 v25, 0x400000, v16
	v_cmp_u_f32_e32 vcc_lo, v16, v16
	v_add3_u32 v21, v21, v16, 0x7fff
	v_cndmask_b32_e32 v16, v21, v25, vcc_lo
	v_lshlrev_b32_e32 v21, 16, v95
	v_and_b32_e32 v12, 0xffff0000, v16
	v_mul_f32_e32 v21, v1, v21
	v_add_f32_e32 v12, v12, v13
	v_bfe_u32 v25, v21, 16, 1
	v_or_b32_e32 v28, 0x400000, v21
	v_cmp_u_f32_e32 vcc_lo, v21, v21
	v_add_f32_e32 v4, v4, v12
	v_add3_u32 v25, v25, v21, 0x7fff
	v_cndmask_b32_e32 v21, v25, v28, vcc_lo
	v_lshlrev_b32_e32 v25, 16, v104
	v_and_b32_e32 v13, 0xffff0000, v21
	v_mul_f32_e32 v25, v6, v25
	v_bfe_u32 v28, v25, 16, 1
	v_or_b32_e32 v69, 0x400000, v25
	v_cmp_u_f32_e32 vcc_lo, v25, v25
	v_add3_u32 v28, v28, v25, 0x7fff
	v_cndmask_b32_e32 v25, v28, v69, vcc_lo
	v_lshlrev_b32_e32 v28, 16, v110
	v_and_b32_e32 v12, 0xffff0000, v25
	v_mul_f32_e32 v28, v0, v28
	v_add_f32_e32 v12, v12, v13
	v_bfe_u32 v69, v28, 16, 1
	v_or_b32_e32 v70, 0x400000, v28
	v_cmp_u_f32_e32 vcc_lo, v28, v28
	v_add_f32_e32 v4, v4, v12
	v_add3_u32 v69, v69, v28, 0x7fff
	v_cndmask_b32_e32 v28, v69, v70, vcc_lo
	v_lshlrev_b32_e32 v69, 16, v107
	v_and_b32_e32 v13, 0xffff0000, v28
	v_mul_f32_e32 v69, v2, v69
	v_bfe_u32 v70, v69, 16, 1
	v_or_b32_e32 v71, 0x400000, v69
	v_cmp_u_f32_e32 vcc_lo, v69, v69
	v_add3_u32 v70, v70, v69, 0x7fff
	v_cndmask_b32_e32 v69, v70, v71, vcc_lo
	v_and_b32_e32 v12, 0xffff0000, v69
	v_add_f32_e32 v12, v12, v13
	v_add_f32_e32 v4, v4, v12
	;; [unrolled: 1-line block ×3, first 2 shown]
	v_lshlrev_b32_e32 v4, 16, v94
	v_mul_f32_e32 v4, v8, v4
	v_bfe_u32 v12, v4, 16, 1
	v_or_b32_e32 v13, 0x400000, v4
	v_cmp_u_f32_e32 vcc_lo, v4, v4
	v_add3_u32 v12, v12, v4, 0x7fff
	v_cndmask_b32_e32 v4, v12, v13, vcc_lo
	v_lshlrev_b32_e32 v12, 16, v93
	v_and_b32_e32 v4, 0xffff0000, v4
	v_mul_f32_e32 v12, v9, v12
	v_bfe_u32 v13, v12, 16, 1
	v_or_b32_e32 v16, 0x400000, v12
	v_cmp_u_f32_e32 vcc_lo, v12, v12
	v_add3_u32 v13, v13, v12, 0x7fff
	v_cndmask_b32_e32 v12, v13, v16, vcc_lo
	v_lshlrev_b32_e32 v13, 16, v91
	v_and_b32_e32 v12, 0xffff0000, v12
	v_mul_f32_e32 v13, v3, v13
	v_add_f32_e32 v4, v12, v4
	v_bfe_u32 v16, v13, 16, 1
	v_or_b32_e32 v21, 0x400000, v13
	v_cmp_u_f32_e32 vcc_lo, v13, v13
	v_add3_u32 v16, v16, v13, 0x7fff
	v_cndmask_b32_e32 v13, v16, v21, vcc_lo
	v_lshlrev_b32_e32 v16, 16, v92
	v_and_b32_e32 v13, 0xffff0000, v13
	v_mul_f32_e32 v16, v7, v16
	v_bfe_u32 v21, v16, 16, 1
	v_or_b32_e32 v25, 0x400000, v16
	v_cmp_u_f32_e32 vcc_lo, v16, v16
	v_add3_u32 v21, v21, v16, 0x7fff
	v_cndmask_b32_e32 v16, v21, v25, vcc_lo
	v_lshlrev_b32_e32 v21, 16, v88
	v_and_b32_e32 v12, 0xffff0000, v16
	v_mul_f32_e32 v21, v1, v21
	v_add_f32_e32 v12, v12, v13
	v_bfe_u32 v25, v21, 16, 1
	v_or_b32_e32 v28, 0x400000, v21
	v_cmp_u_f32_e32 vcc_lo, v21, v21
	v_add_f32_e32 v4, v4, v12
	v_add3_u32 v25, v25, v21, 0x7fff
	v_cndmask_b32_e32 v21, v25, v28, vcc_lo
	v_lshlrev_b32_e32 v25, 16, v79
	v_and_b32_e32 v13, 0xffff0000, v21
	v_mul_f32_e32 v25, v6, v25
	v_bfe_u32 v28, v25, 16, 1
	v_or_b32_e32 v69, 0x400000, v25
	v_cmp_u_f32_e32 vcc_lo, v25, v25
	v_add3_u32 v28, v28, v25, 0x7fff
	v_cndmask_b32_e32 v25, v28, v69, vcc_lo
	v_lshlrev_b32_e32 v28, 16, v90
	v_and_b32_e32 v12, 0xffff0000, v25
	v_mul_f32_e32 v28, v0, v28
	v_add_f32_e32 v12, v12, v13
	v_bfe_u32 v69, v28, 16, 1
	v_or_b32_e32 v70, 0x400000, v28
	v_cmp_u_f32_e32 vcc_lo, v28, v28
	v_add_f32_e32 v4, v4, v12
	v_add3_u32 v69, v69, v28, 0x7fff
	v_cndmask_b32_e32 v28, v69, v70, vcc_lo
	v_lshlrev_b32_e32 v69, 16, v89
	v_and_b32_e32 v13, 0xffff0000, v28
	v_mul_f32_e32 v69, v2, v69
	v_bfe_u32 v70, v69, 16, 1
	v_or_b32_e32 v71, 0x400000, v69
	v_cmp_u_f32_e32 vcc_lo, v69, v69
	v_add3_u32 v70, v70, v69, 0x7fff
	v_cndmask_b32_e32 v69, v70, v71, vcc_lo
	v_and_b32_e32 v12, 0xffff0000, v69
	v_add_f32_e32 v12, v12, v13
	v_add_f32_e32 v4, v4, v12
	;; [unrolled: 1-line block ×3, first 2 shown]
	v_lshlrev_b32_e32 v4, 16, v78
	v_mul_f32_e32 v4, v8, v4
	v_bfe_u32 v12, v4, 16, 1
	v_or_b32_e32 v13, 0x400000, v4
	v_cmp_u_f32_e32 vcc_lo, v4, v4
	v_add3_u32 v12, v12, v4, 0x7fff
	v_cndmask_b32_e32 v4, v12, v13, vcc_lo
	v_lshlrev_b32_e32 v12, 16, v38
	v_and_b32_e32 v4, 0xffff0000, v4
	v_mul_f32_e32 v12, v9, v12
	v_bfe_u32 v13, v12, 16, 1
	v_or_b32_e32 v16, 0x400000, v12
	v_cmp_u_f32_e32 vcc_lo, v12, v12
	v_add3_u32 v13, v13, v12, 0x7fff
	v_cndmask_b32_e32 v12, v13, v16, vcc_lo
	v_lshlrev_b32_e32 v13, 16, v36
	v_and_b32_e32 v12, 0xffff0000, v12
	v_mul_f32_e32 v13, v3, v13
	v_add_f32_e32 v4, v12, v4
	v_bfe_u32 v16, v13, 16, 1
	v_or_b32_e32 v21, 0x400000, v13
	v_cmp_u_f32_e32 vcc_lo, v13, v13
	v_add3_u32 v16, v16, v13, 0x7fff
	v_cndmask_b32_e32 v13, v16, v21, vcc_lo
	v_lshlrev_b32_e32 v16, 16, v37
	v_and_b32_e32 v13, 0xffff0000, v13
	v_mul_f32_e32 v16, v7, v16
	v_bfe_u32 v21, v16, 16, 1
	v_or_b32_e32 v25, 0x400000, v16
	v_cmp_u_f32_e32 vcc_lo, v16, v16
	v_add3_u32 v21, v21, v16, 0x7fff
	v_cndmask_b32_e32 v16, v21, v25, vcc_lo
	v_lshlrev_b32_e32 v21, 16, v22
	v_and_b32_e32 v12, 0xffff0000, v16
	v_mul_f32_e32 v21, v1, v21
	v_add_f32_e32 v12, v12, v13
	v_bfe_u32 v22, v21, 16, 1
	v_or_b32_e32 v25, 0x400000, v21
	v_cmp_u_f32_e32 vcc_lo, v21, v21
	v_add_f32_e32 v4, v4, v12
	v_add3_u32 v22, v22, v21, 0x7fff
	v_cndmask_b32_e32 v21, v22, v25, vcc_lo
	v_bfe_u32 v22, v5, 16, 1
	v_or_b32_e32 v25, 0x400000, v5
	v_cmp_u_f32_e32 vcc_lo, v5, v5
	v_and_b32_e32 v12, 0xffff0000, v21
	v_add3_u32 v22, v22, v5, 0x7fff
	v_cndmask_b32_e32 v5, v22, v25, vcc_lo
	v_lshlrev_b32_e32 v22, 16, v34
	v_and_b32_e32 v5, 0xffff0000, v5
	v_mul_f32_e32 v22, v0, v22
	v_add_f32_e32 v5, v5, v12
	v_bfe_u32 v25, v22, 16, 1
	v_or_b32_e32 v28, 0x400000, v22
	v_cmp_u_f32_e32 vcc_lo, v22, v22
	v_add_f32_e32 v4, v4, v5
	v_add3_u32 v25, v25, v22, 0x7fff
	v_cndmask_b32_e32 v22, v25, v28, vcc_lo
	v_lshlrev_b32_e32 v25, 16, v27
	v_and_b32_e32 v12, 0xffff0000, v22
	v_mul_f32_e32 v25, v2, v25
	v_bfe_u32 v27, v25, 16, 1
	v_or_b32_e32 v28, 0x400000, v25
	v_cmp_u_f32_e32 vcc_lo, v25, v25
	v_add3_u32 v27, v27, v25, 0x7fff
	v_cndmask_b32_e32 v25, v27, v28, vcc_lo
	v_and_b32_e32 v5, 0xffff0000, v25
	v_add_f32_e32 v5, v5, v12
	v_add_f32_e32 v4, v4, v5
	;; [unrolled: 1-line block ×3, first 2 shown]
	v_lshlrev_b32_e32 v4, 16, v77
	v_mul_f32_e32 v4, v8, v4
	v_bfe_u32 v5, v4, 16, 1
	v_or_b32_e32 v12, 0x400000, v4
	v_cmp_u_f32_e32 vcc_lo, v4, v4
	v_add3_u32 v5, v5, v4, 0x7fff
	v_cndmask_b32_e32 v4, v5, v12, vcc_lo
	v_lshlrev_b32_e32 v5, 16, v76
	v_and_b32_e32 v4, 0xffff0000, v4
	v_mul_f32_e32 v5, v9, v5
	v_bfe_u32 v12, v5, 16, 1
	v_or_b32_e32 v13, 0x400000, v5
	v_cmp_u_f32_e32 vcc_lo, v5, v5
	v_add3_u32 v12, v12, v5, 0x7fff
	v_cndmask_b32_e32 v5, v12, v13, vcc_lo
	v_lshlrev_b32_e32 v12, 16, v74
	v_and_b32_e32 v5, 0xffff0000, v5
	v_mul_f32_e32 v12, v3, v12
	v_add_f32_e32 v4, v5, v4
	v_bfe_u32 v13, v12, 16, 1
	v_or_b32_e32 v16, 0x400000, v12
	v_cmp_u_f32_e32 vcc_lo, v12, v12
	v_add3_u32 v13, v13, v12, 0x7fff
	v_cndmask_b32_e32 v12, v13, v16, vcc_lo
	v_lshlrev_b32_e32 v13, 16, v75
	v_and_b32_e32 v12, 0xffff0000, v12
	v_mul_f32_e32 v13, v7, v13
	v_bfe_u32 v16, v13, 16, 1
	v_or_b32_e32 v21, 0x400000, v13
	v_cmp_u_f32_e32 vcc_lo, v13, v13
	v_add3_u32 v16, v16, v13, 0x7fff
	v_cndmask_b32_e32 v13, v16, v21, vcc_lo
	v_lshlrev_b32_e32 v16, 16, v63
	v_and_b32_e32 v5, 0xffff0000, v13
	v_mul_f32_e32 v16, v1, v16
	v_add_f32_e32 v5, v5, v12
	v_bfe_u32 v21, v16, 16, 1
	v_or_b32_e32 v22, 0x400000, v16
	v_cmp_u_f32_e32 vcc_lo, v16, v16
	v_add_f32_e32 v4, v4, v5
	v_add3_u32 v21, v21, v16, 0x7fff
	v_cndmask_b32_e32 v16, v21, v22, vcc_lo
	v_lshlrev_b32_e32 v21, 16, v62
	v_and_b32_e32 v12, 0xffff0000, v16
	v_mul_f32_e32 v21, v6, v21
	v_bfe_u32 v22, v21, 16, 1
	v_or_b32_e32 v25, 0x400000, v21
	v_cmp_u_f32_e32 vcc_lo, v21, v21
	v_add3_u32 v22, v22, v21, 0x7fff
	v_cndmask_b32_e32 v21, v22, v25, vcc_lo
	v_lshlrev_b32_e32 v22, 16, v73
	v_and_b32_e32 v5, 0xffff0000, v21
	v_mul_f32_e32 v22, v0, v22
	v_add_f32_e32 v5, v5, v12
	v_bfe_u32 v25, v22, 16, 1
	v_or_b32_e32 v27, 0x400000, v22
	v_cmp_u_f32_e32 vcc_lo, v22, v22
	v_add_f32_e32 v4, v4, v5
	v_add3_u32 v25, v25, v22, 0x7fff
	v_cndmask_b32_e32 v22, v25, v27, vcc_lo
	v_lshlrev_b32_e32 v25, 16, v72
	v_and_b32_e32 v12, 0xffff0000, v22
	v_mul_f32_e32 v25, v2, v25
	v_bfe_u32 v27, v25, 16, 1
	v_or_b32_e32 v28, 0x400000, v25
	v_cmp_u_f32_e32 vcc_lo, v25, v25
	v_add3_u32 v27, v27, v25, 0x7fff
	v_cndmask_b32_e32 v25, v27, v28, vcc_lo
	v_and_b32_e32 v5, 0xffff0000, v25
	v_add_f32_e32 v5, v5, v12
	v_add_f32_e32 v4, v4, v5
	;; [unrolled: 1-line block ×3, first 2 shown]
	v_lshlrev_b32_e32 v4, 16, v61
	v_mul_f32_e32 v4, v8, v4
	v_bfe_u32 v5, v4, 16, 1
	v_or_b32_e32 v12, 0x400000, v4
	v_cmp_u_f32_e32 vcc_lo, v4, v4
	v_add3_u32 v5, v5, v4, 0x7fff
	v_cndmask_b32_e32 v4, v5, v12, vcc_lo
	v_lshlrev_b32_e32 v5, 16, v60
	v_and_b32_e32 v4, 0xffff0000, v4
	v_mul_f32_e32 v5, v9, v5
	v_bfe_u32 v12, v5, 16, 1
	v_or_b32_e32 v13, 0x400000, v5
	v_cmp_u_f32_e32 vcc_lo, v5, v5
	v_add3_u32 v12, v12, v5, 0x7fff
	v_cndmask_b32_e32 v5, v12, v13, vcc_lo
	v_lshlrev_b32_e32 v12, 16, v58
	v_and_b32_e32 v5, 0xffff0000, v5
	v_mul_f32_e32 v12, v3, v12
	v_add_f32_e32 v4, v5, v4
	v_bfe_u32 v13, v12, 16, 1
	v_or_b32_e32 v16, 0x400000, v12
	v_cmp_u_f32_e32 vcc_lo, v12, v12
	v_add3_u32 v13, v13, v12, 0x7fff
	v_cndmask_b32_e32 v12, v13, v16, vcc_lo
	v_lshlrev_b32_e32 v13, 16, v59
	v_and_b32_e32 v12, 0xffff0000, v12
	v_mul_f32_e32 v13, v7, v13
	v_bfe_u32 v16, v13, 16, 1
	v_or_b32_e32 v21, 0x400000, v13
	v_cmp_u_f32_e32 vcc_lo, v13, v13
	v_add3_u32 v16, v16, v13, 0x7fff
	v_cndmask_b32_e32 v13, v16, v21, vcc_lo
	buffer_load_dword v16, off, s[0:3], s32 offset:308 ; 4-byte Folded Reload
	v_and_b32_e32 v5, 0xffff0000, v13
	v_add_f32_e32 v5, v5, v12
	v_add_f32_e32 v4, v4, v5
	s_waitcnt vmcnt(0)
	v_lshlrev_b32_e32 v16, 16, v16
	v_mul_f32_e32 v16, v1, v16
	v_bfe_u32 v21, v16, 16, 1
	v_or_b32_e32 v22, 0x400000, v16
	v_cmp_u_f32_e32 vcc_lo, v16, v16
	v_add3_u32 v21, v21, v16, 0x7fff
	v_cndmask_b32_e32 v16, v21, v22, vcc_lo
	buffer_load_dword v21, off, s[0:3], s32 offset:304 ; 4-byte Folded Reload
	v_and_b32_e32 v12, 0xffff0000, v16
	s_waitcnt vmcnt(0)
	v_lshlrev_b32_e32 v21, 16, v21
	v_mul_f32_e32 v21, v6, v21
	v_bfe_u32 v22, v21, 16, 1
	v_or_b32_e32 v25, 0x400000, v21
	v_cmp_u_f32_e32 vcc_lo, v21, v21
	v_add3_u32 v22, v22, v21, 0x7fff
	v_cndmask_b32_e32 v21, v22, v25, vcc_lo
	v_lshlrev_b32_e32 v22, 16, v47
	v_and_b32_e32 v5, 0xffff0000, v21
	v_mul_f32_e32 v22, v0, v22
	v_add_f32_e32 v5, v5, v12
	v_bfe_u32 v25, v22, 16, 1
	v_or_b32_e32 v27, 0x400000, v22
	v_cmp_u_f32_e32 vcc_lo, v22, v22
	v_add_f32_e32 v4, v4, v5
	v_add3_u32 v25, v25, v22, 0x7fff
	v_cndmask_b32_e32 v22, v25, v27, vcc_lo
	buffer_load_dword v25, off, s[0:3], s32 offset:300 ; 4-byte Folded Reload
	v_and_b32_e32 v12, 0xffff0000, v22
	s_waitcnt vmcnt(0)
	v_lshlrev_b32_e32 v25, 16, v25
	v_mul_f32_e32 v25, v2, v25
	v_bfe_u32 v27, v25, 16, 1
	v_or_b32_e32 v28, 0x400000, v25
	v_cmp_u_f32_e32 vcc_lo, v25, v25
	v_add3_u32 v27, v27, v25, 0x7fff
	v_cndmask_b32_e32 v25, v27, v28, vcc_lo
	v_and_b32_e32 v5, 0xffff0000, v25
	v_add_f32_e32 v5, v5, v12
	v_add_f32_e32 v4, v4, v5
	;; [unrolled: 1-line block ×3, first 2 shown]
	buffer_load_dword v4, off, s[0:3], s32 offset:296 ; 4-byte Folded Reload
	s_waitcnt vmcnt(0)
	v_lshlrev_b32_e32 v4, 16, v4
	v_mul_f32_e32 v4, v8, v4
	v_bfe_u32 v5, v4, 16, 1
	v_or_b32_e32 v12, 0x400000, v4
	v_cmp_u_f32_e32 vcc_lo, v4, v4
	v_add3_u32 v5, v5, v4, 0x7fff
	v_cndmask_b32_e32 v4, v5, v12, vcc_lo
	buffer_load_dword v5, off, s[0:3], s32 offset:292 ; 4-byte Folded Reload
	v_and_b32_e32 v4, 0xffff0000, v4
	s_waitcnt vmcnt(0)
	v_lshlrev_b32_e32 v5, 16, v5
	v_mul_f32_e32 v5, v9, v5
	v_bfe_u32 v12, v5, 16, 1
	v_or_b32_e32 v13, 0x400000, v5
	v_cmp_u_f32_e32 vcc_lo, v5, v5
	v_add3_u32 v12, v12, v5, 0x7fff
	v_cndmask_b32_e32 v5, v12, v13, vcc_lo
	buffer_load_dword v12, off, s[0:3], s32 offset:284 ; 4-byte Folded Reload
	v_and_b32_e32 v5, 0xffff0000, v5
	v_add_f32_e32 v4, v5, v4
	s_waitcnt vmcnt(0)
	v_lshlrev_b32_e32 v12, 16, v12
	v_mul_f32_e32 v12, v3, v12
	v_bfe_u32 v13, v12, 16, 1
	v_or_b32_e32 v16, 0x400000, v12
	v_cmp_u_f32_e32 vcc_lo, v12, v12
	v_add3_u32 v13, v13, v12, 0x7fff
	v_cndmask_b32_e32 v12, v13, v16, vcc_lo
	buffer_load_dword v13, off, s[0:3], s32 offset:288 ; 4-byte Folded Reload
	v_and_b32_e32 v12, 0xffff0000, v12
	s_waitcnt vmcnt(0)
	v_lshlrev_b32_e32 v13, 16, v13
	v_mul_f32_e32 v13, v7, v13
	v_bfe_u32 v16, v13, 16, 1
	v_or_b32_e32 v21, 0x400000, v13
	v_cmp_u_f32_e32 vcc_lo, v13, v13
	v_add3_u32 v16, v16, v13, 0x7fff
	v_cndmask_b32_e32 v13, v16, v21, vcc_lo
	buffer_load_dword v16, off, s[0:3], s32 offset:280 ; 4-byte Folded Reload
	v_and_b32_e32 v5, 0xffff0000, v13
	v_add_f32_e32 v5, v5, v12
	v_add_f32_e32 v4, v4, v5
	s_waitcnt vmcnt(0)
	v_lshlrev_b32_e32 v16, 16, v16
	v_mul_f32_e32 v16, v1, v16
	v_bfe_u32 v21, v16, 16, 1
	v_or_b32_e32 v22, 0x400000, v16
	v_cmp_u_f32_e32 vcc_lo, v16, v16
	v_add3_u32 v21, v21, v16, 0x7fff
	v_cndmask_b32_e32 v16, v21, v22, vcc_lo
	buffer_load_dword v21, off, s[0:3], s32 offset:272 ; 4-byte Folded Reload
	v_and_b32_e32 v12, 0xffff0000, v16
	s_waitcnt vmcnt(0)
	v_lshlrev_b32_e32 v21, 16, v21
	v_mul_f32_e32 v21, v6, v21
	v_bfe_u32 v22, v21, 16, 1
	v_or_b32_e32 v25, 0x400000, v21
	v_cmp_u_f32_e32 vcc_lo, v21, v21
	v_add3_u32 v22, v22, v21, 0x7fff
	v_cndmask_b32_e32 v21, v22, v25, vcc_lo
	buffer_load_dword v22, off, s[0:3], s32 offset:276 ; 4-byte Folded Reload
	v_and_b32_e32 v5, 0xffff0000, v21
	v_add_f32_e32 v5, v5, v12
	v_add_f32_e32 v4, v4, v5
	s_waitcnt vmcnt(0)
	v_lshlrev_b32_e32 v22, 16, v22
	v_mul_f32_e32 v22, v0, v22
	v_bfe_u32 v25, v22, 16, 1
	v_or_b32_e32 v27, 0x400000, v22
	v_cmp_u_f32_e32 vcc_lo, v22, v22
	v_add3_u32 v25, v25, v22, 0x7fff
	v_cndmask_b32_e32 v22, v25, v27, vcc_lo
	buffer_load_dword v25, off, s[0:3], s32 offset:268 ; 4-byte Folded Reload
	v_and_b32_e32 v12, 0xffff0000, v22
	s_waitcnt vmcnt(0)
	v_lshlrev_b32_e32 v25, 16, v25
	v_mul_f32_e32 v25, v2, v25
	v_bfe_u32 v27, v25, 16, 1
	v_or_b32_e32 v28, 0x400000, v25
	v_cmp_u_f32_e32 vcc_lo, v25, v25
	v_add3_u32 v27, v27, v25, 0x7fff
	v_cndmask_b32_e32 v25, v27, v28, vcc_lo
	v_and_b32_e32 v5, 0xffff0000, v25
	v_add_f32_e32 v5, v5, v12
	v_add_f32_e32 v4, v4, v5
	;; [unrolled: 1-line block ×3, first 2 shown]
	buffer_load_dword v4, off, s[0:3], s32 offset:264 ; 4-byte Folded Reload
	s_waitcnt vmcnt(0)
	v_lshlrev_b32_e32 v4, 16, v4
	v_mul_f32_e32 v4, v8, v4
	v_bfe_u32 v5, v4, 16, 1
	v_or_b32_e32 v12, 0x400000, v4
	v_cmp_u_f32_e32 vcc_lo, v4, v4
	v_add3_u32 v5, v5, v4, 0x7fff
	v_cndmask_b32_e32 v4, v5, v12, vcc_lo
	buffer_load_dword v5, off, s[0:3], s32 offset:260 ; 4-byte Folded Reload
	v_and_b32_e32 v4, 0xffff0000, v4
	s_waitcnt vmcnt(0)
	v_lshlrev_b32_e32 v5, 16, v5
	v_mul_f32_e32 v5, v9, v5
	v_bfe_u32 v12, v5, 16, 1
	v_or_b32_e32 v13, 0x400000, v5
	v_cmp_u_f32_e32 vcc_lo, v5, v5
	v_add3_u32 v12, v12, v5, 0x7fff
	v_cndmask_b32_e32 v5, v12, v13, vcc_lo
	buffer_load_dword v12, off, s[0:3], s32 offset:252 ; 4-byte Folded Reload
	v_and_b32_e32 v5, 0xffff0000, v5
	v_add_f32_e32 v4, v5, v4
	s_waitcnt vmcnt(0)
	v_lshlrev_b32_e32 v12, 16, v12
	v_mul_f32_e32 v12, v3, v12
	v_bfe_u32 v13, v12, 16, 1
	v_or_b32_e32 v16, 0x400000, v12
	v_cmp_u_f32_e32 vcc_lo, v12, v12
	v_add3_u32 v13, v13, v12, 0x7fff
	v_cndmask_b32_e32 v12, v13, v16, vcc_lo
	buffer_load_dword v13, off, s[0:3], s32 offset:256 ; 4-byte Folded Reload
	v_and_b32_e32 v12, 0xffff0000, v12
	s_waitcnt vmcnt(0)
	v_lshlrev_b32_e32 v13, 16, v13
	v_mul_f32_e32 v13, v7, v13
	v_bfe_u32 v16, v13, 16, 1
	v_or_b32_e32 v21, 0x400000, v13
	v_cmp_u_f32_e32 vcc_lo, v13, v13
	v_add3_u32 v16, v16, v13, 0x7fff
	v_cndmask_b32_e32 v13, v16, v21, vcc_lo
	buffer_load_dword v16, off, s[0:3], s32 offset:248 ; 4-byte Folded Reload
	v_and_b32_e32 v5, 0xffff0000, v13
	v_add_f32_e32 v5, v5, v12
	v_add_f32_e32 v4, v4, v5
	s_waitcnt vmcnt(0)
	v_lshlrev_b32_e32 v16, 16, v16
	v_mul_f32_e32 v16, v1, v16
	v_bfe_u32 v21, v16, 16, 1
	v_or_b32_e32 v22, 0x400000, v16
	v_cmp_u_f32_e32 vcc_lo, v16, v16
	v_add3_u32 v21, v21, v16, 0x7fff
	v_cndmask_b32_e32 v16, v21, v22, vcc_lo
	buffer_load_dword v21, off, s[0:3], s32 offset:240 ; 4-byte Folded Reload
	v_and_b32_e32 v12, 0xffff0000, v16
	s_waitcnt vmcnt(0)
	v_lshlrev_b32_e32 v21, 16, v21
	v_mul_f32_e32 v21, v6, v21
	v_bfe_u32 v22, v21, 16, 1
	v_or_b32_e32 v25, 0x400000, v21
	v_cmp_u_f32_e32 vcc_lo, v21, v21
	v_add3_u32 v22, v22, v21, 0x7fff
	v_cndmask_b32_e32 v21, v22, v25, vcc_lo
	buffer_load_dword v22, off, s[0:3], s32 offset:244 ; 4-byte Folded Reload
	v_and_b32_e32 v5, 0xffff0000, v21
	v_add_f32_e32 v5, v5, v12
	v_add_f32_e32 v4, v4, v5
	s_waitcnt vmcnt(0)
	v_lshlrev_b32_e32 v22, 16, v22
	v_mul_f32_e32 v22, v0, v22
	v_bfe_u32 v25, v22, 16, 1
	v_or_b32_e32 v27, 0x400000, v22
	v_cmp_u_f32_e32 vcc_lo, v22, v22
	v_add3_u32 v25, v25, v22, 0x7fff
	v_cndmask_b32_e32 v22, v25, v27, vcc_lo
	buffer_load_dword v25, off, s[0:3], s32 offset:236 ; 4-byte Folded Reload
	v_and_b32_e32 v12, 0xffff0000, v22
	s_waitcnt vmcnt(0)
	v_lshlrev_b32_e32 v25, 16, v25
	v_mul_f32_e32 v25, v2, v25
	v_bfe_u32 v27, v25, 16, 1
	v_or_b32_e32 v28, 0x400000, v25
	v_cmp_u_f32_e32 vcc_lo, v25, v25
	v_add3_u32 v27, v27, v25, 0x7fff
	v_cndmask_b32_e32 v25, v27, v28, vcc_lo
	v_and_b32_e32 v5, 0xffff0000, v25
	v_add_f32_e32 v5, v5, v12
	v_add_f32_e32 v4, v4, v5
	;; [unrolled: 1-line block ×3, first 2 shown]
	buffer_load_dword v4, off, s[0:3], s32 offset:232 ; 4-byte Folded Reload
	s_waitcnt vmcnt(0)
	v_lshlrev_b32_e32 v4, 16, v4
	v_mul_f32_e32 v4, v8, v4
	v_bfe_u32 v5, v4, 16, 1
	v_or_b32_e32 v12, 0x400000, v4
	v_cmp_u_f32_e32 vcc_lo, v4, v4
	v_add3_u32 v5, v5, v4, 0x7fff
	v_cndmask_b32_e32 v4, v5, v12, vcc_lo
	buffer_load_dword v5, off, s[0:3], s32 offset:228 ; 4-byte Folded Reload
	v_and_b32_e32 v4, 0xffff0000, v4
	s_waitcnt vmcnt(0)
	v_lshlrev_b32_e32 v5, 16, v5
	v_mul_f32_e32 v5, v9, v5
	v_bfe_u32 v12, v5, 16, 1
	v_or_b32_e32 v13, 0x400000, v5
	v_cmp_u_f32_e32 vcc_lo, v5, v5
	v_add3_u32 v12, v12, v5, 0x7fff
	v_cndmask_b32_e32 v5, v12, v13, vcc_lo
	buffer_load_dword v12, off, s[0:3], s32 offset:220 ; 4-byte Folded Reload
	v_and_b32_e32 v5, 0xffff0000, v5
	v_add_f32_e32 v4, v5, v4
	s_waitcnt vmcnt(0)
	v_lshlrev_b32_e32 v12, 16, v12
	v_mul_f32_e32 v12, v3, v12
	v_bfe_u32 v13, v12, 16, 1
	v_or_b32_e32 v16, 0x400000, v12
	v_cmp_u_f32_e32 vcc_lo, v12, v12
	v_add3_u32 v13, v13, v12, 0x7fff
	v_cndmask_b32_e32 v12, v13, v16, vcc_lo
	buffer_load_dword v13, off, s[0:3], s32 offset:224 ; 4-byte Folded Reload
	v_and_b32_e32 v12, 0xffff0000, v12
	s_waitcnt vmcnt(0)
	v_lshlrev_b32_e32 v13, 16, v13
	v_mul_f32_e32 v13, v7, v13
	v_bfe_u32 v16, v13, 16, 1
	v_or_b32_e32 v21, 0x400000, v13
	v_cmp_u_f32_e32 vcc_lo, v13, v13
	v_add3_u32 v16, v16, v13, 0x7fff
	v_cndmask_b32_e32 v13, v16, v21, vcc_lo
	buffer_load_dword v16, off, s[0:3], s32 offset:212 ; 4-byte Folded Reload
	v_and_b32_e32 v5, 0xffff0000, v13
	v_add_f32_e32 v5, v5, v12
	v_add_f32_e32 v4, v4, v5
	s_waitcnt vmcnt(0)
	v_lshlrev_b32_e32 v16, 16, v16
	v_mul_f32_e32 v16, v1, v16
	v_bfe_u32 v21, v16, 16, 1
	v_or_b32_e32 v22, 0x400000, v16
	v_cmp_u_f32_e32 vcc_lo, v16, v16
	v_add3_u32 v21, v21, v16, 0x7fff
	v_cndmask_b32_e32 v16, v21, v22, vcc_lo
	buffer_load_dword v21, off, s[0:3], s32 offset:204 ; 4-byte Folded Reload
	v_and_b32_e32 v12, 0xffff0000, v16
	s_waitcnt vmcnt(0)
	v_lshlrev_b32_e32 v21, 16, v21
	v_mul_f32_e32 v21, v6, v21
	v_bfe_u32 v22, v21, 16, 1
	v_or_b32_e32 v25, 0x400000, v21
	v_cmp_u_f32_e32 vcc_lo, v21, v21
	v_add3_u32 v22, v22, v21, 0x7fff
	v_cndmask_b32_e32 v21, v22, v25, vcc_lo
	buffer_load_dword v22, off, s[0:3], s32 offset:208 ; 4-byte Folded Reload
	v_and_b32_e32 v5, 0xffff0000, v21
	v_add_f32_e32 v5, v5, v12
	v_add_f32_e32 v4, v4, v5
	s_waitcnt vmcnt(0)
	v_lshlrev_b32_e32 v22, 16, v22
	v_mul_f32_e32 v22, v0, v22
	v_bfe_u32 v25, v22, 16, 1
	v_or_b32_e32 v27, 0x400000, v22
	v_cmp_u_f32_e32 vcc_lo, v22, v22
	v_add3_u32 v25, v25, v22, 0x7fff
	v_cndmask_b32_e32 v22, v25, v27, vcc_lo
	buffer_load_dword v25, off, s[0:3], s32 offset:200 ; 4-byte Folded Reload
	v_and_b32_e32 v12, 0xffff0000, v22
	s_waitcnt vmcnt(0)
	v_lshlrev_b32_e32 v25, 16, v25
	v_mul_f32_e32 v25, v2, v25
	v_bfe_u32 v27, v25, 16, 1
	v_or_b32_e32 v28, 0x400000, v25
	v_cmp_u_f32_e32 vcc_lo, v25, v25
	v_add3_u32 v27, v27, v25, 0x7fff
	v_cndmask_b32_e32 v25, v27, v28, vcc_lo
	v_and_b32_e32 v5, 0xffff0000, v25
	v_add_f32_e32 v5, v5, v12
	v_add_f32_e32 v4, v4, v5
	;; [unrolled: 1-line block ×3, first 2 shown]
	v_lshlrev_b32_e32 v4, 16, v67
	v_mul_f32_e32 v4, v9, v4
	v_bfe_u32 v5, v4, 16, 1
	v_or_b32_e32 v9, 0x400000, v4
	v_cmp_u_f32_e32 vcc_lo, v4, v4
	v_add3_u32 v5, v5, v4, 0x7fff
	v_cndmask_b32_e32 v4, v5, v9, vcc_lo
	v_lshlrev_b32_e32 v5, 16, v24
	v_and_b32_e32 v4, 0xffff0000, v4
	v_mul_f32_e32 v5, v8, v5
	v_bfe_u32 v8, v5, 16, 1
	v_or_b32_e32 v9, 0x400000, v5
	v_cmp_u_f32_e32 vcc_lo, v5, v5
	v_add3_u32 v8, v8, v5, 0x7fff
	v_cndmask_b32_e32 v5, v8, v9, vcc_lo
	v_lshlrev_b32_e32 v8, 16, v20
	v_and_b32_e32 v5, 0xffff0000, v5
	v_mul_f32_e32 v7, v7, v8
	v_add_f32_e32 v4, v4, v5
	v_bfe_u32 v8, v7, 16, 1
	v_or_b32_e32 v9, 0x400000, v7
	v_cmp_u_f32_e32 vcc_lo, v7, v7
	v_add3_u32 v8, v8, v7, 0x7fff
	v_cndmask_b32_e32 v7, v8, v9, vcc_lo
	v_lshlrev_b32_e32 v8, 16, v18
	v_and_b32_e32 v5, 0xffff0000, v7
	v_mul_f32_e32 v3, v3, v8
	v_bfe_u32 v8, v3, 16, 1
	v_or_b32_e32 v9, 0x400000, v3
	v_cmp_u_f32_e32 vcc_lo, v3, v3
	v_add3_u32 v8, v8, v3, 0x7fff
	v_cndmask_b32_e32 v3, v8, v9, vcc_lo
	v_lshlrev_b32_e32 v8, 16, v17
	v_and_b32_e32 v3, 0xffff0000, v3
	v_mul_f32_e32 v6, v6, v8
	v_add_f32_e32 v3, v5, v3
	v_bfe_u32 v8, v6, 16, 1
	v_or_b32_e32 v9, 0x400000, v6
	v_cmp_u_f32_e32 vcc_lo, v6, v6
	v_add_f32_e32 v3, v4, v3
	v_add3_u32 v8, v8, v6, 0x7fff
	v_cndmask_b32_e32 v6, v8, v9, vcc_lo
	v_lshlrev_b32_e32 v8, 16, v10
	v_and_b32_e32 v4, 0xffff0000, v6
	v_mul_f32_e32 v1, v1, v8
	v_bfe_u32 v8, v1, 16, 1
	v_or_b32_e32 v9, 0x400000, v1
	v_cmp_u_f32_e32 vcc_lo, v1, v1
	v_add3_u32 v8, v8, v1, 0x7fff
	v_cndmask_b32_e32 v1, v8, v9, vcc_lo
	v_lshlrev_b32_e32 v8, 16, v19
	v_and_b32_e32 v1, 0xffff0000, v1
	v_mul_f32_e32 v2, v2, v8
	v_add_f32_e32 v1, v4, v1
	v_bfe_u32 v8, v2, 16, 1
	v_or_b32_e32 v9, 0x400000, v2
	v_cmp_u_f32_e32 vcc_lo, v2, v2
	v_add_f32_e32 v1, v3, v1
	v_add3_u32 v8, v8, v2, 0x7fff
	v_cndmask_b32_e32 v2, v8, v9, vcc_lo
	v_lshlrev_b32_e32 v8, 16, v23
	v_and_b32_e32 v2, 0xffff0000, v2
	v_mul_f32_e32 v0, v0, v8
	v_bfe_u32 v8, v0, 16, 1
	v_or_b32_e32 v9, 0x400000, v0
	v_cmp_u_f32_e32 vcc_lo, v0, v0
	v_add3_u32 v8, v8, v0, 0x7fff
	v_cndmask_b32_e32 v0, v8, v9, vcc_lo
	v_add_co_u32 v14, vcc_lo, v14, 16
	v_add_co_ci_u32_e64 v15, null, 0, v15, vcc_lo
	v_and_b32_e32 v0, 0xffff0000, v0
	v_add_f32_e32 v0, v2, v0
	v_add_f32_e32 v0, v1, v0
	;; [unrolled: 1-line block ×3, first 2 shown]
	s_clause 0x1
	buffer_load_dword v0, off, s[0:3], s32 offset:192
	buffer_load_dword v1, off, s[0:3], s32 offset:196
	s_waitcnt vmcnt(0)
	v_mov_b32_e32 v1, v0
	v_add_nc_u32_e32 v1, 4, v1
	v_mov_b32_e32 v0, v1
	buffer_store_dword v0, off, s[0:3], s32 offset:192 ; 4-byte Folded Spill
	buffer_store_dword v1, off, s[0:3], s32 offset:196 ; 4-byte Folded Spill
	buffer_load_dword v0, off, s[0:3], s32 offset:316 ; 4-byte Folded Reload
	s_waitcnt vmcnt(0)
	v_cmp_ge_i32_e32 vcc_lo, v1, v0
	s_or_b32 s11, vcc_lo, s11
	s_andn2_b32 exec_lo, exec_lo, s11
	s_cbranch_execz .LBB391_1851
.LBB391_927:                            ; =>This Inner Loop Header: Depth=1
	flat_load_dword v0, v[14:15]
	s_clause 0x2
	buffer_load_dword v1, off, s[0:3], s32 offset:312
	buffer_load_dword v2, off, s[0:3], s32 offset:324
	;; [unrolled: 1-line block ×3, first 2 shown]
	v_mov_b32_e32 v4, 0
	s_waitcnt vmcnt(0) lgkmcnt(0)
	v_mad_i64_i32 v[17:18], null, v0, v1, v[2:3]
	flat_load_dwordx2 v[19:20], v[17:18]
	ds_read2_b64 v[6:9], v65 offset1:1
	ds_read2_b64 v[0:3], v65 offset0:2 offset1:3
	s_waitcnt vmcnt(0) lgkmcnt(2)
	v_cmp_ne_u16_sdwa s12, v19, v11 src0_sel:BYTE_0 src1_sel:DWORD
	s_and_saveexec_b32 s4, s12
	s_cbranch_execz .LBB391_935
; %bb.928:                              ;   in Loop: Header=BB391_927 Depth=1
	v_cmp_ne_u16_sdwa s13, v19, v66 src0_sel:BYTE_0 src1_sel:DWORD
	v_bfrev_b32_e32 v4, 1
	s_and_saveexec_b32 s12, s13
	s_cbranch_execz .LBB391_934
; %bb.929:                              ;   in Loop: Header=BB391_927 Depth=1
	v_and_b32_e32 v5, 0x7f, v19
	v_mov_b32_e32 v4, 0x7f800001
	s_mov_b32 s13, exec_lo
	v_cmpx_ne_u32_e32 0x7f, v5
	s_cbranch_execz .LBB391_933
; %bb.930:                              ;   in Loop: Header=BB391_927 Depth=1
	v_mov_b32_e32 v24, v20
	v_lshrrev_b32_e32 v4, 3, v5
	v_mov_b32_e32 v23, v19
	s_mov_b32 s15, exec_lo
	v_cmpx_gt_u32_e32 8, v5
; %bb.931:                              ;   in Loop: Header=BB391_927 Depth=1
	v_and_b32_e32 v4, 7, v19
	v_ffbh_u32_e32 v4, v4
	v_min_u32_e32 v4, 32, v4
	v_subrev_nc_u32_e32 v5, 28, v4
	v_sub_nc_u32_e32 v4, 29, v4
	v_lshlrev_b64 v[23:24], v5, v[19:20]
; %bb.932:                              ;   in Loop: Header=BB391_927 Depth=1
	s_or_b32 exec_lo, exec_lo, s15
	v_lshlrev_b32_e32 v5, 20, v23
	v_lshlrev_b32_e32 v10, 24, v19
	v_lshl_add_u32 v4, v4, 23, 0x3c000000
	v_and_b32_e32 v5, 0x700000, v5
	v_and_b32_e32 v10, 0x80000000, v10
	v_or3_b32 v4, v5, v10, v4
.LBB391_933:                            ;   in Loop: Header=BB391_927 Depth=1
	s_or_b32 exec_lo, exec_lo, s13
.LBB391_934:                            ;   in Loop: Header=BB391_927 Depth=1
	s_or_b32 exec_lo, exec_lo, s12
.LBB391_935:                            ;   in Loop: Header=BB391_927 Depth=1
	s_or_b32 exec_lo, exec_lo, s4
	v_cmp_ne_u16_sdwa s12, v19, v11 src0_sel:BYTE_1 src1_sel:DWORD
	v_mov_b32_e32 v12, 0
	v_mov_b32_e32 v5, 0
	s_and_saveexec_b32 s4, s12
	s_cbranch_execz .LBB391_943
; %bb.936:                              ;   in Loop: Header=BB391_927 Depth=1
	v_cmp_ne_u16_sdwa s13, v19, v66 src0_sel:BYTE_1 src1_sel:DWORD
	v_bfrev_b32_e32 v5, 1
	s_and_saveexec_b32 s12, s13
	s_cbranch_execz .LBB391_942
; %bb.937:                              ;   in Loop: Header=BB391_927 Depth=1
	v_mov_b32_e32 v5, 0xffff
	s_mov_b32 s13, exec_lo
	v_and_b32_sdwa v10, v5, v19 dst_sel:DWORD dst_unused:UNUSED_PAD src0_sel:DWORD src1_sel:BYTE_1
	v_mov_b32_e32 v5, 0x7f800001
	v_and_b32_e32 v13, 0x7f, v10
	v_cmpx_ne_u32_e32 0x7f, v13
	s_cbranch_execz .LBB391_941
; %bb.938:                              ;   in Loop: Header=BB391_927 Depth=1
	v_and_b32_e32 v10, 7, v10
	v_mov_b32_e32 v24, v11
	v_lshrrev_b32_e32 v5, 3, v13
	s_mov_b32 s15, exec_lo
	v_mov_b32_e32 v23, v10
	v_cmpx_gt_u32_e32 8, v13
; %bb.939:                              ;   in Loop: Header=BB391_927 Depth=1
	v_ffbh_u32_e32 v5, v10
	v_min_u32_e32 v5, 32, v5
	v_subrev_nc_u32_e32 v13, 28, v5
	v_sub_nc_u32_e32 v5, 29, v5
	v_lshlrev_b64 v[21:22], v13, v[10:11]
	v_and_b32_e32 v23, 7, v21
; %bb.940:                              ;   in Loop: Header=BB391_927 Depth=1
	s_or_b32 exec_lo, exec_lo, s15
	v_lshlrev_b32_e32 v10, 16, v19
	v_lshlrev_b32_e32 v13, 20, v23
	v_lshl_add_u32 v5, v5, 23, 0x3c000000
	v_and_b32_e32 v10, 0x80000000, v10
	v_or3_b32 v5, v13, v10, v5
.LBB391_941:                            ;   in Loop: Header=BB391_927 Depth=1
	s_or_b32 exec_lo, exec_lo, s13
.LBB391_942:                            ;   in Loop: Header=BB391_927 Depth=1
	s_or_b32 exec_lo, exec_lo, s12
.LBB391_943:                            ;   in Loop: Header=BB391_927 Depth=1
	s_or_b32 exec_lo, exec_lo, s4
	v_and_b32_sdwa v10, v19, v68 dst_sel:DWORD dst_unused:UNUSED_PAD src0_sel:WORD_1 src1_sel:DWORD
	s_mov_b32 s4, exec_lo
	v_cmpx_ne_u16_e32 0, v10
	s_cbranch_execz .LBB391_951
; %bb.944:                              ;   in Loop: Header=BB391_927 Depth=1
	v_bfrev_b32_e32 v12, 1
	s_mov_b32 s12, exec_lo
	v_cmpx_ne_u16_e32 0x80, v10
	s_cbranch_execz .LBB391_950
; %bb.945:                              ;   in Loop: Header=BB391_927 Depth=1
	v_bfe_u32 v13, v19, 16, 7
	v_mov_b32_e32 v12, 0x7f800001
	s_mov_b32 s13, exec_lo
	v_cmpx_ne_u32_e32 0x7f, v13
	s_cbranch_execz .LBB391_949
; %bb.946:                              ;   in Loop: Header=BB391_927 Depth=1
	v_mov_b32_e32 v10, 7
	v_lshrrev_b32_e32 v12, 3, v13
	s_mov_b32 s15, exec_lo
	v_and_b32_sdwa v10, v19, v10 dst_sel:DWORD dst_unused:UNUSED_PAD src0_sel:WORD_1 src1_sel:DWORD
	v_mov_b32_e32 v24, v11
	v_mov_b32_e32 v23, v10
	v_cmpx_gt_u32_e32 8, v13
; %bb.947:                              ;   in Loop: Header=BB391_927 Depth=1
	v_ffbh_u32_e32 v12, v10
	v_min_u32_e32 v12, 32, v12
	v_subrev_nc_u32_e32 v13, 28, v12
	v_sub_nc_u32_e32 v12, 29, v12
	v_lshlrev_b64 v[21:22], v13, v[10:11]
	v_and_b32_e32 v23, 7, v21
; %bb.948:                              ;   in Loop: Header=BB391_927 Depth=1
	s_or_b32 exec_lo, exec_lo, s15
	v_mov_b32_e32 v10, 24
	v_lshlrev_b32_e32 v13, 20, v23
	v_lshl_add_u32 v12, v12, 23, 0x3c000000
	v_lshlrev_b32_sdwa v10, v10, v19 dst_sel:DWORD dst_unused:UNUSED_PAD src0_sel:DWORD src1_sel:WORD_1
	v_and_b32_e32 v10, 0x80000000, v10
	v_or3_b32 v12, v13, v10, v12
.LBB391_949:                            ;   in Loop: Header=BB391_927 Depth=1
	s_or_b32 exec_lo, exec_lo, s13
.LBB391_950:                            ;   in Loop: Header=BB391_927 Depth=1
	s_or_b32 exec_lo, exec_lo, s12
.LBB391_951:                            ;   in Loop: Header=BB391_927 Depth=1
	s_or_b32 exec_lo, exec_lo, s4
	v_mov_b32_e32 v16, 0
	v_mov_b32_e32 v13, 0
	s_mov_b32 s4, exec_lo
	v_cmpx_lt_u32_e32 0xffffff, v19
	s_cbranch_execz .LBB391_959
; %bb.952:                              ;   in Loop: Header=BB391_927 Depth=1
	v_cmp_ne_u32_sdwa s13, v19, v66 src0_sel:BYTE_3 src1_sel:DWORD
	v_bfrev_b32_e32 v13, 1
	s_and_saveexec_b32 s12, s13
	s_cbranch_execz .LBB391_958
; %bb.953:                              ;   in Loop: Header=BB391_927 Depth=1
	v_bfe_u32 v21, v19, 24, 7
	v_mov_b32_e32 v13, 0x7f800001
	s_mov_b32 s13, exec_lo
	v_cmpx_ne_u32_e32 0x7f, v21
	s_cbranch_execz .LBB391_957
; %bb.954:                              ;   in Loop: Header=BB391_927 Depth=1
	v_mov_b32_e32 v10, 7
	v_lshrrev_b32_e32 v13, 3, v21
	s_mov_b32 s15, exec_lo
	v_and_b32_sdwa v10, v19, v10 dst_sel:DWORD dst_unused:UNUSED_PAD src0_sel:BYTE_3 src1_sel:DWORD
	v_mov_b32_e32 v24, v11
	v_mov_b32_e32 v23, v10
	v_cmpx_gt_u32_e32 8, v21
; %bb.955:                              ;   in Loop: Header=BB391_927 Depth=1
	v_ffbh_u32_e32 v13, v10
	v_min_u32_e32 v13, 32, v13
	v_subrev_nc_u32_e32 v21, 28, v13
	v_sub_nc_u32_e32 v13, 29, v13
	v_lshlrev_b64 v[21:22], v21, v[10:11]
	v_and_b32_e32 v23, 7, v21
; %bb.956:                              ;   in Loop: Header=BB391_927 Depth=1
	s_or_b32 exec_lo, exec_lo, s15
	v_mov_b32_e32 v10, 24
	v_lshlrev_b32_e32 v21, 20, v23
	v_lshl_add_u32 v13, v13, 23, 0x3c000000
	v_lshlrev_b32_sdwa v10, v10, v19 dst_sel:DWORD dst_unused:UNUSED_PAD src0_sel:DWORD src1_sel:BYTE_3
	v_and_b32_e32 v10, 0x80000000, v10
	v_or3_b32 v13, v21, v10, v13
.LBB391_957:                            ;   in Loop: Header=BB391_927 Depth=1
	s_or_b32 exec_lo, exec_lo, s13
.LBB391_958:                            ;   in Loop: Header=BB391_927 Depth=1
	s_or_b32 exec_lo, exec_lo, s12
.LBB391_959:                            ;   in Loop: Header=BB391_927 Depth=1
	s_or_b32 exec_lo, exec_lo, s4
	v_mov_b32_e32 v10, v20
	v_cmp_ne_u16_sdwa s12, v20, v11 src0_sel:BYTE_0 src1_sel:DWORD
	s_and_saveexec_b32 s4, s12
	s_cbranch_execz .LBB391_967
; %bb.960:                              ;   in Loop: Header=BB391_927 Depth=1
	v_cmp_ne_u16_sdwa s13, v20, v66 src0_sel:BYTE_0 src1_sel:DWORD
	v_bfrev_b32_e32 v16, 1
	s_and_saveexec_b32 s12, s13
	s_cbranch_execz .LBB391_966
; %bb.961:                              ;   in Loop: Header=BB391_927 Depth=1
	v_and_b32_e32 v21, 0x7f, v20
	v_mov_b32_e32 v16, 0x7f800001
	s_mov_b32 s13, exec_lo
	v_cmpx_ne_u32_e32 0x7f, v21
	s_cbranch_execz .LBB391_965
; %bb.962:                              ;   in Loop: Header=BB391_927 Depth=1
	v_mov_b32_e32 v24, v11
	v_lshrrev_b32_e32 v16, 3, v21
	v_mov_b32_e32 v23, v10
	s_mov_b32 s15, exec_lo
	v_cmpx_gt_u32_e32 8, v21
; %bb.963:                              ;   in Loop: Header=BB391_927 Depth=1
	v_and_b32_e32 v16, 7, v20
	v_ffbh_u32_e32 v16, v16
	v_min_u32_e32 v16, 32, v16
	v_subrev_nc_u32_e32 v21, 28, v16
	v_sub_nc_u32_e32 v16, 29, v16
	v_lshlrev_b64 v[23:24], v21, v[10:11]
; %bb.964:                              ;   in Loop: Header=BB391_927 Depth=1
	s_or_b32 exec_lo, exec_lo, s15
	v_lshlrev_b32_e32 v21, 20, v23
	v_lshlrev_b32_e32 v22, 24, v10
	v_lshl_add_u32 v16, v16, 23, 0x3c000000
	v_and_b32_e32 v21, 0x700000, v21
	v_and_b32_e32 v22, 0x80000000, v22
	v_or3_b32 v16, v21, v22, v16
.LBB391_965:                            ;   in Loop: Header=BB391_927 Depth=1
	s_or_b32 exec_lo, exec_lo, s13
.LBB391_966:                            ;   in Loop: Header=BB391_927 Depth=1
	s_or_b32 exec_lo, exec_lo, s12
.LBB391_967:                            ;   in Loop: Header=BB391_927 Depth=1
	s_or_b32 exec_lo, exec_lo, s4
	v_cmp_ne_u16_sdwa s12, v10, v11 src0_sel:BYTE_1 src1_sel:DWORD
	v_mov_b32_e32 v21, 0
	v_mov_b32_e32 v22, 0
	s_and_saveexec_b32 s4, s12
	s_cbranch_execz .LBB391_975
; %bb.968:                              ;   in Loop: Header=BB391_927 Depth=1
	v_cmp_ne_u16_sdwa s13, v10, v66 src0_sel:BYTE_1 src1_sel:DWORD
	v_bfrev_b32_e32 v22, 1
	s_and_saveexec_b32 s12, s13
	s_cbranch_execz .LBB391_974
; %bb.969:                              ;   in Loop: Header=BB391_927 Depth=1
	v_mov_b32_e32 v22, 0xffff
	s_mov_b32 s13, exec_lo
	v_and_b32_sdwa v23, v22, v10 dst_sel:DWORD dst_unused:UNUSED_PAD src0_sel:DWORD src1_sel:BYTE_1
	v_mov_b32_e32 v22, 0x7f800001
	v_and_b32_e32 v25, 0x7f, v23
	v_cmpx_ne_u32_e32 0x7f, v25
	s_cbranch_execz .LBB391_973
; %bb.970:                              ;   in Loop: Header=BB391_927 Depth=1
	v_and_b32_e32 v23, 7, v23
	v_mov_b32_e32 v24, v11
	v_lshrrev_b32_e32 v22, 3, v25
	s_mov_b32 s15, exec_lo
	v_cmpx_gt_u32_e32 8, v25
; %bb.971:                              ;   in Loop: Header=BB391_927 Depth=1
	v_ffbh_u32_e32 v22, v23
	v_min_u32_e32 v22, 32, v22
	v_subrev_nc_u32_e32 v25, 28, v22
	v_sub_nc_u32_e32 v22, 29, v22
	v_lshlrev_b64 v[23:24], v25, v[23:24]
	v_and_b32_e32 v23, 7, v23
; %bb.972:                              ;   in Loop: Header=BB391_927 Depth=1
	s_or_b32 exec_lo, exec_lo, s15
	v_lshlrev_b32_e32 v10, 16, v10
	v_lshlrev_b32_e32 v23, 20, v23
	v_lshl_add_u32 v22, v22, 23, 0x3c000000
	v_and_b32_e32 v10, 0x80000000, v10
	v_or3_b32 v22, v23, v10, v22
.LBB391_973:                            ;   in Loop: Header=BB391_927 Depth=1
	s_or_b32 exec_lo, exec_lo, s13
.LBB391_974:                            ;   in Loop: Header=BB391_927 Depth=1
	s_or_b32 exec_lo, exec_lo, s12
.LBB391_975:                            ;   in Loop: Header=BB391_927 Depth=1
	s_or_b32 exec_lo, exec_lo, s4
	v_and_b32_sdwa v10, v20, v68 dst_sel:DWORD dst_unused:UNUSED_PAD src0_sel:WORD_1 src1_sel:DWORD
	s_mov_b32 s4, exec_lo
	v_cmpx_ne_u16_e32 0, v10
	s_cbranch_execz .LBB391_983
; %bb.976:                              ;   in Loop: Header=BB391_927 Depth=1
	v_bfrev_b32_e32 v21, 1
	s_mov_b32 s12, exec_lo
	v_cmpx_ne_u16_e32 0x80, v10
	s_cbranch_execz .LBB391_982
; %bb.977:                              ;   in Loop: Header=BB391_927 Depth=1
	v_bfe_u32 v23, v20, 16, 7
	v_mov_b32_e32 v21, 0x7f800001
	s_mov_b32 s13, exec_lo
	v_cmpx_ne_u32_e32 0x7f, v23
	s_cbranch_execz .LBB391_981
; %bb.978:                              ;   in Loop: Header=BB391_927 Depth=1
	v_mov_b32_e32 v10, 7
	v_lshrrev_b32_e32 v21, 3, v23
	v_cmp_gt_u32_e32 vcc_lo, 8, v23
	v_and_b32_sdwa v10, v20, v10 dst_sel:DWORD dst_unused:UNUSED_PAD src0_sel:WORD_1 src1_sel:DWORD
	v_mov_b32_e32 v24, v11
	v_mov_b32_e32 v23, v10
	s_and_saveexec_b32 s15, vcc_lo
; %bb.979:                              ;   in Loop: Header=BB391_927 Depth=1
	v_ffbh_u32_e32 v21, v10
	v_min_u32_e32 v21, 32, v21
	v_subrev_nc_u32_e32 v23, 28, v21
	v_sub_nc_u32_e32 v21, 29, v21
	v_lshlrev_b64 v[23:24], v23, v[10:11]
	v_and_b32_e32 v23, 7, v23
; %bb.980:                              ;   in Loop: Header=BB391_927 Depth=1
	s_or_b32 exec_lo, exec_lo, s15
	v_mov_b32_e32 v10, 24
	v_lshlrev_b32_e32 v23, 20, v23
	v_lshl_add_u32 v21, v21, 23, 0x3c000000
	v_lshlrev_b32_sdwa v10, v10, v20 dst_sel:DWORD dst_unused:UNUSED_PAD src0_sel:DWORD src1_sel:WORD_1
	v_and_b32_e32 v10, 0x80000000, v10
	v_or3_b32 v21, v23, v10, v21
.LBB391_981:                            ;   in Loop: Header=BB391_927 Depth=1
	s_or_b32 exec_lo, exec_lo, s13
.LBB391_982:                            ;   in Loop: Header=BB391_927 Depth=1
	s_or_b32 exec_lo, exec_lo, s12
.LBB391_983:                            ;   in Loop: Header=BB391_927 Depth=1
	s_or_b32 exec_lo, exec_lo, s4
	v_mov_b32_e32 v10, 0
	s_mov_b32 s4, exec_lo
	v_cmpx_lt_u64_e64 s[8:9], v[19:20]
	s_cbranch_execz .LBB391_991
; %bb.984:                              ;   in Loop: Header=BB391_927 Depth=1
	v_cmp_ne_u32_sdwa s13, v20, v66 src0_sel:BYTE_3 src1_sel:DWORD
	v_bfrev_b32_e32 v10, 1
	s_and_saveexec_b32 s12, s13
	s_cbranch_execz .LBB391_990
; %bb.985:                              ;   in Loop: Header=BB391_927 Depth=1
	v_bfe_u32 v23, v20, 24, 7
	v_mov_b32_e32 v10, 0x7f800001
	s_mov_b32 s13, exec_lo
	v_cmpx_ne_u32_e32 0x7f, v23
	s_cbranch_execz .LBB391_989
; %bb.986:                              ;   in Loop: Header=BB391_927 Depth=1
	v_mov_b32_e32 v10, 7
	v_lshrrev_b32_e32 v19, 3, v23
	v_cmp_gt_u32_e32 vcc_lo, 8, v23
	v_and_b32_sdwa v10, v20, v10 dst_sel:DWORD dst_unused:UNUSED_PAD src0_sel:BYTE_3 src1_sel:DWORD
	v_mov_b32_e32 v24, v11
	v_mov_b32_e32 v23, v10
	s_and_saveexec_b32 s15, vcc_lo
; %bb.987:                              ;   in Loop: Header=BB391_927 Depth=1
	v_ffbh_u32_e32 v19, v10
	v_min_u32_e32 v19, 32, v19
	v_subrev_nc_u32_e32 v23, 28, v19
	v_sub_nc_u32_e32 v19, 29, v19
	v_lshlrev_b64 v[23:24], v23, v[10:11]
	v_and_b32_e32 v23, 7, v23
; %bb.988:                              ;   in Loop: Header=BB391_927 Depth=1
	s_or_b32 exec_lo, exec_lo, s15
	v_mov_b32_e32 v10, 24
	v_lshl_add_u32 v19, v19, 23, 0x3c000000
	v_lshlrev_b32_sdwa v10, v10, v20 dst_sel:DWORD dst_unused:UNUSED_PAD src0_sel:DWORD src1_sel:BYTE_3
	v_lshlrev_b32_e32 v20, 20, v23
	v_and_b32_e32 v10, 0x80000000, v10
	v_or3_b32 v10, v20, v10, v19
.LBB391_989:                            ;   in Loop: Header=BB391_927 Depth=1
	s_or_b32 exec_lo, exec_lo, s13
.LBB391_990:                            ;   in Loop: Header=BB391_927 Depth=1
	s_or_b32 exec_lo, exec_lo, s12
.LBB391_991:                            ;   in Loop: Header=BB391_927 Depth=1
	s_or_b32 exec_lo, exec_lo, s4
	v_mul_f32_e32 v19, v26, v22
	s_clause 0x2
	buffer_load_dword v22, off, s[0:3], s32 offset:192
	buffer_load_dword v23, off, s[0:3], s32 offset:196
	;; [unrolled: 1-line block ×3, first 2 shown]
	v_mul_f32_e32 v16, v26, v16
	v_mul_f32_e32 v13, v26, v13
	v_mul_f32_e32 v12, v26, v12
	v_cmp_u_f32_e64 s4, v19, v19
	v_mul_f32_e32 v5, v26, v5
	s_waitcnt vmcnt(1)
	v_bfe_u32 v23, v16, 16, 1
	v_or_b32_e32 v24, 0x400000, v16
	v_bfe_u32 v25, v13, 16, 1
	v_or_b32_e32 v27, 0x400000, v13
	v_mul_f32_e32 v4, v26, v4
	v_add3_u32 v23, v23, v16, 0x7fff
	v_mul_f32_e32 v10, v26, v10
	v_add_nc_u32_e32 v119, -7, v64
	v_add_nc_u32_e32 v57, -6, v64
	;; [unrolled: 1-line block ×7, first 2 shown]
	s_waitcnt vmcnt(0)
	v_cmp_eq_u32_e32 vcc_lo, v20, v22
	v_bfe_u32 v20, v19, 16, 1
	v_or_b32_e32 v22, 0x400000, v19
	v_add3_u32 v20, v20, v19, 0x7fff
	v_cndmask_b32_e64 v19, v20, v22, s4
	v_cmp_u_f32_e64 s4, v16, v16
	v_add3_u32 v22, v25, v13, 0x7fff
	v_bfe_u32 v20, v12, 16, 1
	v_lshrrev_b32_e32 v19, 16, v19
	v_cndmask_b32_e64 v16, v23, v24, s4
	v_cmp_u_f32_e64 s4, v13, v13
	v_or_b32_e32 v23, 0x400000, v10
	buffer_store_dword v19, off, s[0:3], s32 offset:212 ; 4-byte Folded Spill
	v_add3_u32 v19, v20, v12, 0x7fff
	v_cndmask_b32_e64 v13, v22, v27, s4
	v_or_b32_e32 v20, 0x400000, v12
	v_lshrrev_b32_e32 v16, 16, v16
	v_cmp_u_f32_e64 s4, v12, v12
	v_lshrrev_b32_e32 v13, 16, v13
	buffer_store_dword v16, off, s[0:3], s32 offset:204 ; 4-byte Folded Spill
	v_cndmask_b32_e64 v12, v19, v20, s4
	v_mul_f32_e32 v16, v26, v21
	buffer_store_dword v13, off, s[0:3], s32 offset:220 ; 4-byte Folded Spill
	v_bfe_u32 v13, v5, 16, 1
	v_or_b32_e32 v19, 0x400000, v5
	v_bfe_u32 v20, v4, 16, 1
	v_cmp_u_f32_e64 s4, v5, v5
	v_bfe_u32 v21, v16, 16, 1
	v_add3_u32 v13, v13, v5, 0x7fff
	v_or_b32_e32 v22, 0x400000, v16
	v_lshrrev_b32_e32 v12, 16, v12
	v_add3_u32 v21, v21, v16, 0x7fff
	v_cndmask_b32_e64 v5, v13, v19, s4
	v_add3_u32 v19, v20, v4, 0x7fff
	v_or_b32_e32 v20, 0x400000, v4
	v_cmp_u_f32_e64 s4, v4, v4
	v_bfe_u32 v13, v10, 16, 1
	v_lshrrev_b32_e32 v5, 16, v5
	buffer_store_dword v12, off, s[0:3], s32 offset:224 ; 4-byte Folded Spill
	v_cndmask_b32_e64 v4, v19, v20, s4
	v_cmp_u_f32_e64 s4, v16, v16
	v_add3_u32 v13, v13, v10, 0x7fff
	buffer_store_dword v5, off, s[0:3], s32 offset:232 ; 4-byte Folded Spill
	v_lshrrev_b32_e32 v4, 16, v4
	v_cndmask_b32_e64 v16, v21, v22, s4
	v_cmp_u_f32_e64 s4, v10, v10
	buffer_store_dword v4, off, s[0:3], s32 offset:228 ; 4-byte Folded Spill
	v_lshrrev_b32_e32 v4, 16, v16
	v_cndmask_b32_e64 v10, v13, v23, s4
	buffer_store_dword v4, off, s[0:3], s32 offset:200 ; 4-byte Folded Spill
	v_lshrrev_b32_e32 v4, 16, v10
	buffer_store_dword v4, off, s[0:3], s32 offset:208 ; 4-byte Folded Spill
	s_and_saveexec_b32 s12, vcc_lo
	s_cbranch_execz .LBB391_993
; %bb.992:                              ;   in Loop: Header=BB391_927 Depth=1
	buffer_load_dword v4, off, s[0:3], s32 offset:228 ; 4-byte Folded Reload
	v_cmp_lt_i32_e64 s4, v119, v35
	s_waitcnt vmcnt(0)
	v_cndmask_b32_e64 v4, 0, v4, s4
	v_cmp_lt_i32_e64 s4, v57, v35
	buffer_store_dword v4, off, s[0:3], s32 offset:228 ; 4-byte Folded Spill
	buffer_load_dword v4, off, s[0:3], s32 offset:232 ; 4-byte Folded Reload
	s_waitcnt vmcnt(0)
	v_cndmask_b32_e64 v4, 0, v4, s4
	v_cmp_lt_i32_e64 s4, v56, v35
	buffer_store_dword v4, off, s[0:3], s32 offset:232 ; 4-byte Folded Spill
	buffer_load_dword v4, off, s[0:3], s32 offset:224 ; 4-byte Folded Reload
	;; [unrolled: 5-line block ×7, first 2 shown]
	s_waitcnt vmcnt(0)
	v_cndmask_b32_e64 v4, 0, v4, s4
	buffer_store_dword v4, off, s[0:3], s32 offset:208 ; 4-byte Folded Spill
.LBB391_993:                            ;   in Loop: Header=BB391_927 Depth=1
	s_or_b32 exec_lo, exec_lo, s12
	flat_load_dwordx2 v[19:20], v[17:18] offset:256
	v_mov_b32_e32 v5, 0
	v_mov_b32_e32 v4, 0
	s_waitcnt vmcnt(0) lgkmcnt(0)
	v_cmp_ne_u16_sdwa s4, v19, v11 src0_sel:BYTE_0 src1_sel:DWORD
	s_and_saveexec_b32 s12, s4
	s_cbranch_execz .LBB391_1001
; %bb.994:                              ;   in Loop: Header=BB391_927 Depth=1
	v_cmp_ne_u16_sdwa s4, v19, v66 src0_sel:BYTE_0 src1_sel:DWORD
	v_bfrev_b32_e32 v4, 1
	s_and_saveexec_b32 s13, s4
	s_cbranch_execz .LBB391_1000
; %bb.995:                              ;   in Loop: Header=BB391_927 Depth=1
	v_and_b32_e32 v10, 0x7f, v19
	v_mov_b32_e32 v4, 0x7f800001
	s_mov_b32 s15, exec_lo
	v_cmpx_ne_u32_e32 0x7f, v10
	s_cbranch_execz .LBB391_999
; %bb.996:                              ;   in Loop: Header=BB391_927 Depth=1
	v_mov_b32_e32 v24, v20
	v_lshrrev_b32_e32 v4, 3, v10
	v_mov_b32_e32 v23, v19
	s_mov_b32 s18, exec_lo
	v_cmpx_gt_u32_e32 8, v10
; %bb.997:                              ;   in Loop: Header=BB391_927 Depth=1
	v_and_b32_e32 v4, 7, v19
	v_ffbh_u32_e32 v4, v4
	v_min_u32_e32 v4, 32, v4
	v_subrev_nc_u32_e32 v10, 28, v4
	v_sub_nc_u32_e32 v4, 29, v4
	v_lshlrev_b64 v[23:24], v10, v[19:20]
; %bb.998:                              ;   in Loop: Header=BB391_927 Depth=1
	s_or_b32 exec_lo, exec_lo, s18
	v_lshlrev_b32_e32 v10, 20, v23
	v_lshlrev_b32_e32 v12, 24, v19
	v_lshl_add_u32 v4, v4, 23, 0x3c000000
	v_and_b32_e32 v10, 0x700000, v10
	v_and_b32_e32 v12, 0x80000000, v12
	v_or3_b32 v4, v10, v12, v4
.LBB391_999:                            ;   in Loop: Header=BB391_927 Depth=1
	s_or_b32 exec_lo, exec_lo, s15
.LBB391_1000:                           ;   in Loop: Header=BB391_927 Depth=1
	s_or_b32 exec_lo, exec_lo, s13
.LBB391_1001:                           ;   in Loop: Header=BB391_927 Depth=1
	s_or_b32 exec_lo, exec_lo, s12
	v_cmp_ne_u16_sdwa s4, v19, v11 src0_sel:BYTE_1 src1_sel:DWORD
	s_and_saveexec_b32 s12, s4
	s_cbranch_execz .LBB391_1009
; %bb.1002:                             ;   in Loop: Header=BB391_927 Depth=1
	v_cmp_ne_u16_sdwa s4, v19, v66 src0_sel:BYTE_1 src1_sel:DWORD
	v_bfrev_b32_e32 v5, 1
	s_and_saveexec_b32 s13, s4
	s_cbranch_execz .LBB391_1008
; %bb.1003:                             ;   in Loop: Header=BB391_927 Depth=1
	v_mov_b32_e32 v5, 0xffff
	s_mov_b32 s15, exec_lo
	v_and_b32_sdwa v10, v5, v19 dst_sel:DWORD dst_unused:UNUSED_PAD src0_sel:DWORD src1_sel:BYTE_1
	v_mov_b32_e32 v5, 0x7f800001
	v_and_b32_e32 v12, 0x7f, v10
	v_cmpx_ne_u32_e32 0x7f, v12
	s_cbranch_execz .LBB391_1007
; %bb.1004:                             ;   in Loop: Header=BB391_927 Depth=1
	v_and_b32_e32 v10, 7, v10
	v_mov_b32_e32 v24, v11
	v_lshrrev_b32_e32 v5, 3, v12
	s_mov_b32 s18, exec_lo
	v_mov_b32_e32 v23, v10
	v_cmpx_gt_u32_e32 8, v12
; %bb.1005:                             ;   in Loop: Header=BB391_927 Depth=1
	v_ffbh_u32_e32 v5, v10
	v_min_u32_e32 v5, 32, v5
	v_subrev_nc_u32_e32 v12, 28, v5
	v_sub_nc_u32_e32 v5, 29, v5
	v_lshlrev_b64 v[12:13], v12, v[10:11]
	v_and_b32_e32 v23, 7, v12
; %bb.1006:                             ;   in Loop: Header=BB391_927 Depth=1
	s_or_b32 exec_lo, exec_lo, s18
	v_lshlrev_b32_e32 v10, 16, v19
	v_lshlrev_b32_e32 v12, 20, v23
	v_lshl_add_u32 v5, v5, 23, 0x3c000000
	v_and_b32_e32 v10, 0x80000000, v10
	v_or3_b32 v5, v12, v10, v5
.LBB391_1007:                           ;   in Loop: Header=BB391_927 Depth=1
	s_or_b32 exec_lo, exec_lo, s15
.LBB391_1008:                           ;   in Loop: Header=BB391_927 Depth=1
	s_or_b32 exec_lo, exec_lo, s13
.LBB391_1009:                           ;   in Loop: Header=BB391_927 Depth=1
	s_or_b32 exec_lo, exec_lo, s12
	v_and_b32_sdwa v10, v19, v68 dst_sel:DWORD dst_unused:UNUSED_PAD src0_sel:WORD_1 src1_sel:DWORD
	v_mov_b32_e32 v13, 0
	v_mov_b32_e32 v12, 0
	s_mov_b32 s12, exec_lo
	v_cmpx_ne_u16_e32 0, v10
	s_cbranch_execz .LBB391_1017
; %bb.1010:                             ;   in Loop: Header=BB391_927 Depth=1
	v_bfrev_b32_e32 v12, 1
	s_mov_b32 s13, exec_lo
	v_cmpx_ne_u16_e32 0x80, v10
	s_cbranch_execz .LBB391_1016
; %bb.1011:                             ;   in Loop: Header=BB391_927 Depth=1
	v_bfe_u32 v16, v19, 16, 7
	v_mov_b32_e32 v12, 0x7f800001
	s_mov_b32 s15, exec_lo
	v_cmpx_ne_u32_e32 0x7f, v16
	s_cbranch_execz .LBB391_1015
; %bb.1012:                             ;   in Loop: Header=BB391_927 Depth=1
	v_mov_b32_e32 v10, 7
	v_lshrrev_b32_e32 v12, 3, v16
	s_mov_b32 s18, exec_lo
	v_and_b32_sdwa v10, v19, v10 dst_sel:DWORD dst_unused:UNUSED_PAD src0_sel:WORD_1 src1_sel:DWORD
	v_mov_b32_e32 v24, v11
	v_mov_b32_e32 v23, v10
	v_cmpx_gt_u32_e32 8, v16
; %bb.1013:                             ;   in Loop: Header=BB391_927 Depth=1
	v_ffbh_u32_e32 v12, v10
	v_min_u32_e32 v12, 32, v12
	v_subrev_nc_u32_e32 v16, 28, v12
	v_sub_nc_u32_e32 v12, 29, v12
	v_lshlrev_b64 v[21:22], v16, v[10:11]
	v_and_b32_e32 v23, 7, v21
; %bb.1014:                             ;   in Loop: Header=BB391_927 Depth=1
	s_or_b32 exec_lo, exec_lo, s18
	v_mov_b32_e32 v10, 24
	v_lshlrev_b32_e32 v16, 20, v23
	v_lshl_add_u32 v12, v12, 23, 0x3c000000
	v_lshlrev_b32_sdwa v10, v10, v19 dst_sel:DWORD dst_unused:UNUSED_PAD src0_sel:DWORD src1_sel:WORD_1
	v_and_b32_e32 v10, 0x80000000, v10
	v_or3_b32 v12, v16, v10, v12
.LBB391_1015:                           ;   in Loop: Header=BB391_927 Depth=1
	s_or_b32 exec_lo, exec_lo, s15
.LBB391_1016:                           ;   in Loop: Header=BB391_927 Depth=1
	s_or_b32 exec_lo, exec_lo, s13
.LBB391_1017:                           ;   in Loop: Header=BB391_927 Depth=1
	s_or_b32 exec_lo, exec_lo, s12
	s_mov_b32 s12, exec_lo
	v_cmpx_lt_u32_e32 0xffffff, v19
	s_cbranch_execz .LBB391_1025
; %bb.1018:                             ;   in Loop: Header=BB391_927 Depth=1
	v_cmp_ne_u32_sdwa s4, v19, v66 src0_sel:BYTE_3 src1_sel:DWORD
	v_bfrev_b32_e32 v13, 1
	s_and_saveexec_b32 s13, s4
	s_cbranch_execz .LBB391_1024
; %bb.1019:                             ;   in Loop: Header=BB391_927 Depth=1
	v_bfe_u32 v16, v19, 24, 7
	v_mov_b32_e32 v13, 0x7f800001
	s_mov_b32 s15, exec_lo
	v_cmpx_ne_u32_e32 0x7f, v16
	s_cbranch_execz .LBB391_1023
; %bb.1020:                             ;   in Loop: Header=BB391_927 Depth=1
	v_mov_b32_e32 v10, 7
	v_lshrrev_b32_e32 v13, 3, v16
	s_mov_b32 s18, exec_lo
	v_and_b32_sdwa v10, v19, v10 dst_sel:DWORD dst_unused:UNUSED_PAD src0_sel:BYTE_3 src1_sel:DWORD
	v_mov_b32_e32 v24, v11
	v_mov_b32_e32 v23, v10
	v_cmpx_gt_u32_e32 8, v16
; %bb.1021:                             ;   in Loop: Header=BB391_927 Depth=1
	v_ffbh_u32_e32 v13, v10
	v_min_u32_e32 v13, 32, v13
	v_subrev_nc_u32_e32 v16, 28, v13
	v_sub_nc_u32_e32 v13, 29, v13
	v_lshlrev_b64 v[21:22], v16, v[10:11]
	v_and_b32_e32 v23, 7, v21
; %bb.1022:                             ;   in Loop: Header=BB391_927 Depth=1
	s_or_b32 exec_lo, exec_lo, s18
	v_mov_b32_e32 v10, 24
	v_lshlrev_b32_e32 v16, 20, v23
	v_lshl_add_u32 v13, v13, 23, 0x3c000000
	v_lshlrev_b32_sdwa v10, v10, v19 dst_sel:DWORD dst_unused:UNUSED_PAD src0_sel:DWORD src1_sel:BYTE_3
	v_and_b32_e32 v10, 0x80000000, v10
	v_or3_b32 v13, v16, v10, v13
.LBB391_1023:                           ;   in Loop: Header=BB391_927 Depth=1
	s_or_b32 exec_lo, exec_lo, s15
.LBB391_1024:                           ;   in Loop: Header=BB391_927 Depth=1
	s_or_b32 exec_lo, exec_lo, s13
.LBB391_1025:                           ;   in Loop: Header=BB391_927 Depth=1
	s_or_b32 exec_lo, exec_lo, s12
	v_mov_b32_e32 v10, v20
	v_cmp_ne_u16_sdwa s4, v20, v11 src0_sel:BYTE_0 src1_sel:DWORD
	v_mov_b32_e32 v21, 0
	v_mov_b32_e32 v16, 0
	s_and_saveexec_b32 s12, s4
	s_cbranch_execz .LBB391_1033
; %bb.1026:                             ;   in Loop: Header=BB391_927 Depth=1
	v_cmp_ne_u16_sdwa s4, v20, v66 src0_sel:BYTE_0 src1_sel:DWORD
	v_bfrev_b32_e32 v16, 1
	s_and_saveexec_b32 s13, s4
	s_cbranch_execz .LBB391_1032
; %bb.1027:                             ;   in Loop: Header=BB391_927 Depth=1
	v_and_b32_e32 v22, 0x7f, v20
	v_mov_b32_e32 v16, 0x7f800001
	s_mov_b32 s15, exec_lo
	v_cmpx_ne_u32_e32 0x7f, v22
	s_cbranch_execz .LBB391_1031
; %bb.1028:                             ;   in Loop: Header=BB391_927 Depth=1
	v_mov_b32_e32 v24, v11
	v_lshrrev_b32_e32 v16, 3, v22
	v_mov_b32_e32 v23, v10
	s_mov_b32 s18, exec_lo
	v_cmpx_gt_u32_e32 8, v22
; %bb.1029:                             ;   in Loop: Header=BB391_927 Depth=1
	v_and_b32_e32 v16, 7, v20
	v_ffbh_u32_e32 v16, v16
	v_min_u32_e32 v16, 32, v16
	v_subrev_nc_u32_e32 v22, 28, v16
	v_sub_nc_u32_e32 v16, 29, v16
	v_lshlrev_b64 v[23:24], v22, v[10:11]
; %bb.1030:                             ;   in Loop: Header=BB391_927 Depth=1
	s_or_b32 exec_lo, exec_lo, s18
	v_lshlrev_b32_e32 v22, 20, v23
	v_lshlrev_b32_e32 v23, 24, v10
	v_lshl_add_u32 v16, v16, 23, 0x3c000000
	v_and_b32_e32 v22, 0x700000, v22
	v_and_b32_e32 v23, 0x80000000, v23
	v_or3_b32 v16, v22, v23, v16
.LBB391_1031:                           ;   in Loop: Header=BB391_927 Depth=1
	s_or_b32 exec_lo, exec_lo, s15
.LBB391_1032:                           ;   in Loop: Header=BB391_927 Depth=1
	s_or_b32 exec_lo, exec_lo, s13
.LBB391_1033:                           ;   in Loop: Header=BB391_927 Depth=1
	s_or_b32 exec_lo, exec_lo, s12
	v_cmp_ne_u16_sdwa s4, v10, v11 src0_sel:BYTE_1 src1_sel:DWORD
	s_and_saveexec_b32 s12, s4
	s_cbranch_execz .LBB391_1041
; %bb.1034:                             ;   in Loop: Header=BB391_927 Depth=1
	v_cmp_ne_u16_sdwa s4, v10, v66 src0_sel:BYTE_1 src1_sel:DWORD
	v_bfrev_b32_e32 v21, 1
	s_and_saveexec_b32 s13, s4
	s_cbranch_execz .LBB391_1040
; %bb.1035:                             ;   in Loop: Header=BB391_927 Depth=1
	v_mov_b32_e32 v21, 0xffff
	s_mov_b32 s15, exec_lo
	v_and_b32_sdwa v23, v21, v10 dst_sel:DWORD dst_unused:UNUSED_PAD src0_sel:DWORD src1_sel:BYTE_1
	v_mov_b32_e32 v21, 0x7f800001
	v_and_b32_e32 v22, 0x7f, v23
	v_cmpx_ne_u32_e32 0x7f, v22
	s_cbranch_execz .LBB391_1039
; %bb.1036:                             ;   in Loop: Header=BB391_927 Depth=1
	v_and_b32_e32 v23, 7, v23
	v_mov_b32_e32 v24, v11
	v_lshrrev_b32_e32 v21, 3, v22
	s_mov_b32 s18, exec_lo
	v_cmpx_gt_u32_e32 8, v22
; %bb.1037:                             ;   in Loop: Header=BB391_927 Depth=1
	v_ffbh_u32_e32 v21, v23
	v_min_u32_e32 v21, 32, v21
	v_subrev_nc_u32_e32 v22, 28, v21
	v_sub_nc_u32_e32 v21, 29, v21
	v_lshlrev_b64 v[22:23], v22, v[23:24]
	v_and_b32_e32 v23, 7, v22
; %bb.1038:                             ;   in Loop: Header=BB391_927 Depth=1
	s_or_b32 exec_lo, exec_lo, s18
	v_lshlrev_b32_e32 v10, 16, v10
	v_lshlrev_b32_e32 v22, 20, v23
	v_lshl_add_u32 v21, v21, 23, 0x3c000000
	v_and_b32_e32 v10, 0x80000000, v10
	v_or3_b32 v21, v22, v10, v21
.LBB391_1039:                           ;   in Loop: Header=BB391_927 Depth=1
	s_or_b32 exec_lo, exec_lo, s15
.LBB391_1040:                           ;   in Loop: Header=BB391_927 Depth=1
	s_or_b32 exec_lo, exec_lo, s13
.LBB391_1041:                           ;   in Loop: Header=BB391_927 Depth=1
	s_or_b32 exec_lo, exec_lo, s12
	v_and_b32_sdwa v10, v20, v68 dst_sel:DWORD dst_unused:UNUSED_PAD src0_sel:WORD_1 src1_sel:DWORD
	v_mov_b32_e32 v22, 0
	v_mov_b32_e32 v25, 0
	s_mov_b32 s12, exec_lo
	v_cmpx_ne_u16_e32 0, v10
	s_cbranch_execz .LBB391_1049
; %bb.1042:                             ;   in Loop: Header=BB391_927 Depth=1
	v_bfrev_b32_e32 v25, 1
	s_mov_b32 s13, exec_lo
	v_cmpx_ne_u16_e32 0x80, v10
	s_cbranch_execz .LBB391_1048
; %bb.1043:                             ;   in Loop: Header=BB391_927 Depth=1
	v_bfe_u32 v23, v20, 16, 7
	v_mov_b32_e32 v25, 0x7f800001
	s_mov_b32 s15, exec_lo
	v_cmpx_ne_u32_e32 0x7f, v23
	s_cbranch_execz .LBB391_1047
; %bb.1044:                             ;   in Loop: Header=BB391_927 Depth=1
	v_mov_b32_e32 v10, 7
	v_lshrrev_b32_e32 v25, 3, v23
	v_cmp_gt_u32_e64 s4, 8, v23
	v_and_b32_sdwa v10, v20, v10 dst_sel:DWORD dst_unused:UNUSED_PAD src0_sel:WORD_1 src1_sel:DWORD
	v_mov_b32_e32 v24, v11
	v_mov_b32_e32 v23, v10
	s_and_saveexec_b32 s18, s4
; %bb.1045:                             ;   in Loop: Header=BB391_927 Depth=1
	v_ffbh_u32_e32 v23, v10
	v_min_u32_e32 v25, 32, v23
	v_subrev_nc_u32_e32 v23, 28, v25
	v_sub_nc_u32_e32 v25, 29, v25
	v_lshlrev_b64 v[23:24], v23, v[10:11]
	v_and_b32_e32 v23, 7, v23
; %bb.1046:                             ;   in Loop: Header=BB391_927 Depth=1
	s_or_b32 exec_lo, exec_lo, s18
	v_mov_b32_e32 v10, 24
	v_lshlrev_b32_e32 v23, 20, v23
	v_lshl_add_u32 v24, v25, 23, 0x3c000000
	v_lshlrev_b32_sdwa v10, v10, v20 dst_sel:DWORD dst_unused:UNUSED_PAD src0_sel:DWORD src1_sel:WORD_1
	v_and_b32_e32 v10, 0x80000000, v10
	v_or3_b32 v25, v23, v10, v24
.LBB391_1047:                           ;   in Loop: Header=BB391_927 Depth=1
	s_or_b32 exec_lo, exec_lo, s15
.LBB391_1048:                           ;   in Loop: Header=BB391_927 Depth=1
	s_or_b32 exec_lo, exec_lo, s13
.LBB391_1049:                           ;   in Loop: Header=BB391_927 Depth=1
	s_or_b32 exec_lo, exec_lo, s12
	s_mov_b32 s12, exec_lo
	v_cmpx_lt_u64_e64 s[8:9], v[19:20]
	s_cbranch_execz .LBB391_1057
; %bb.1050:                             ;   in Loop: Header=BB391_927 Depth=1
	v_cmp_ne_u32_sdwa s4, v20, v66 src0_sel:BYTE_3 src1_sel:DWORD
	v_bfrev_b32_e32 v22, 1
	s_and_saveexec_b32 s13, s4
	s_cbranch_execz .LBB391_1056
; %bb.1051:                             ;   in Loop: Header=BB391_927 Depth=1
	v_bfe_u32 v23, v20, 24, 7
	v_mov_b32_e32 v22, 0x7f800001
	s_mov_b32 s15, exec_lo
	v_cmpx_ne_u32_e32 0x7f, v23
	s_cbranch_execz .LBB391_1055
; %bb.1052:                             ;   in Loop: Header=BB391_927 Depth=1
	v_mov_b32_e32 v10, 7
	v_lshrrev_b32_e32 v19, 3, v23
	v_cmp_gt_u32_e64 s4, 8, v23
	v_and_b32_sdwa v10, v20, v10 dst_sel:DWORD dst_unused:UNUSED_PAD src0_sel:BYTE_3 src1_sel:DWORD
	v_mov_b32_e32 v24, v11
	v_mov_b32_e32 v23, v10
	s_and_saveexec_b32 s18, s4
; %bb.1053:                             ;   in Loop: Header=BB391_927 Depth=1
	v_ffbh_u32_e32 v19, v10
	v_min_u32_e32 v19, 32, v19
	v_subrev_nc_u32_e32 v22, 28, v19
	v_sub_nc_u32_e32 v19, 29, v19
	v_lshlrev_b64 v[22:23], v22, v[10:11]
	v_and_b32_e32 v23, 7, v22
; %bb.1054:                             ;   in Loop: Header=BB391_927 Depth=1
	s_or_b32 exec_lo, exec_lo, s18
	v_mov_b32_e32 v10, 24
	v_lshl_add_u32 v19, v19, 23, 0x3c000000
	v_lshlrev_b32_sdwa v10, v10, v20 dst_sel:DWORD dst_unused:UNUSED_PAD src0_sel:DWORD src1_sel:BYTE_3
	v_lshlrev_b32_e32 v20, 20, v23
	v_and_b32_e32 v10, 0x80000000, v10
	v_or3_b32 v22, v20, v10, v19
.LBB391_1055:                           ;   in Loop: Header=BB391_927 Depth=1
	s_or_b32 exec_lo, exec_lo, s15
.LBB391_1056:                           ;   in Loop: Header=BB391_927 Depth=1
	s_or_b32 exec_lo, exec_lo, s13
.LBB391_1057:                           ;   in Loop: Header=BB391_927 Depth=1
	s_or_b32 exec_lo, exec_lo, s12
	v_mul_f32_e32 v10, v26, v21
	v_mul_f32_e32 v16, v26, v16
	v_mul_f32_e32 v13, v26, v13
	v_mul_f32_e32 v12, v26, v12
	v_mul_f32_e32 v5, v26, v5
	v_bfe_u32 v19, v10, 16, 1
	v_or_b32_e32 v20, 0x400000, v10
	v_bfe_u32 v21, v16, 16, 1
	v_cmp_u_f32_e64 s4, v10, v10
	v_or_b32_e32 v23, 0x400000, v16
	v_add3_u32 v19, v19, v10, 0x7fff
	v_bfe_u32 v24, v13, 16, 1
	v_add3_u32 v21, v21, v16, 0x7fff
	v_or_b32_e32 v27, 0x400000, v13
	v_bfe_u32 v28, v12, 16, 1
	v_cndmask_b32_e64 v10, v19, v20, s4
	v_cmp_u_f32_e64 s4, v16, v16
	v_add3_u32 v24, v24, v13, 0x7fff
	v_or_b32_e32 v19, 0x400000, v12
	v_mul_f32_e32 v4, v26, v4
	v_lshrrev_b32_e32 v10, 16, v10
	v_cndmask_b32_e64 v16, v21, v23, s4
	v_cmp_u_f32_e64 s4, v13, v13
	v_bfe_u32 v20, v4, 16, 1
	buffer_store_dword v10, off, s[0:3], s32 offset:248 ; 4-byte Folded Spill
	v_add3_u32 v10, v28, v12, 0x7fff
	v_cndmask_b32_e64 v13, v24, v27, s4
	v_lshrrev_b32_e32 v16, 16, v16
	v_cmp_u_f32_e64 s4, v12, v12
	v_mul_f32_e32 v12, v26, v25
	v_lshrrev_b32_e32 v13, 16, v13
	buffer_store_dword v16, off, s[0:3], s32 offset:240 ; 4-byte Folded Spill
	v_cndmask_b32_e64 v10, v10, v19, s4
	v_or_b32_e32 v16, 0x400000, v5
	v_cmp_u_f32_e64 s4, v5, v5
	buffer_store_dword v13, off, s[0:3], s32 offset:252 ; 4-byte Folded Spill
	v_bfe_u32 v13, v5, 16, 1
	v_mul_f32_e32 v19, v26, v22
	v_bfe_u32 v21, v12, 16, 1
	v_or_b32_e32 v22, 0x400000, v12
	v_lshrrev_b32_e32 v10, 16, v10
	v_add3_u32 v13, v13, v5, 0x7fff
	v_or_b32_e32 v23, 0x400000, v19
	v_add3_u32 v21, v21, v12, 0x7fff
	buffer_store_dword v10, off, s[0:3], s32 offset:256 ; 4-byte Folded Spill
	v_cndmask_b32_e64 v5, v13, v16, s4
	v_add3_u32 v16, v20, v4, 0x7fff
	v_or_b32_e32 v20, 0x400000, v4
	v_cmp_u_f32_e64 s4, v4, v4
	v_bfe_u32 v13, v19, 16, 1
	v_lshrrev_b32_e32 v5, 16, v5
	v_cndmask_b32_e64 v4, v16, v20, s4
	v_cmp_u_f32_e64 s4, v12, v12
	v_add3_u32 v13, v13, v19, 0x7fff
	buffer_store_dword v5, off, s[0:3], s32 offset:264 ; 4-byte Folded Spill
	v_lshrrev_b32_e32 v4, 16, v4
	v_cndmask_b32_e64 v12, v21, v22, s4
	v_cmp_u_f32_e64 s4, v19, v19
	buffer_store_dword v4, off, s[0:3], s32 offset:260 ; 4-byte Folded Spill
	v_lshrrev_b32_e32 v4, 16, v12
	v_cndmask_b32_e64 v13, v13, v23, s4
	buffer_store_dword v4, off, s[0:3], s32 offset:236 ; 4-byte Folded Spill
	v_lshrrev_b32_e32 v4, 16, v13
	buffer_store_dword v4, off, s[0:3], s32 offset:244 ; 4-byte Folded Spill
	s_and_saveexec_b32 s12, vcc_lo
	s_cbranch_execz .LBB391_1059
; %bb.1058:                             ;   in Loop: Header=BB391_927 Depth=1
	buffer_load_dword v4, off, s[0:3], s32 offset:260 ; 4-byte Folded Reload
	v_cmp_lt_i32_e64 s4, v119, v35
	s_waitcnt vmcnt(0)
	v_cndmask_b32_e64 v4, 0, v4, s4
	v_cmp_lt_i32_e64 s4, v57, v35
	buffer_store_dword v4, off, s[0:3], s32 offset:260 ; 4-byte Folded Spill
	buffer_load_dword v4, off, s[0:3], s32 offset:264 ; 4-byte Folded Reload
	s_waitcnt vmcnt(0)
	v_cndmask_b32_e64 v4, 0, v4, s4
	v_cmp_lt_i32_e64 s4, v56, v35
	buffer_store_dword v4, off, s[0:3], s32 offset:264 ; 4-byte Folded Spill
	buffer_load_dword v4, off, s[0:3], s32 offset:256 ; 4-byte Folded Reload
	;; [unrolled: 5-line block ×7, first 2 shown]
	s_waitcnt vmcnt(0)
	v_cndmask_b32_e64 v4, 0, v4, s4
	buffer_store_dword v4, off, s[0:3], s32 offset:244 ; 4-byte Folded Spill
.LBB391_1059:                           ;   in Loop: Header=BB391_927 Depth=1
	s_or_b32 exec_lo, exec_lo, s12
	flat_load_dwordx2 v[19:20], v[17:18] offset:512
	v_mov_b32_e32 v5, 0
	v_mov_b32_e32 v4, 0
	s_waitcnt vmcnt(0) lgkmcnt(0)
	v_cmp_ne_u16_sdwa s4, v19, v11 src0_sel:BYTE_0 src1_sel:DWORD
	s_and_saveexec_b32 s12, s4
	s_cbranch_execz .LBB391_1067
; %bb.1060:                             ;   in Loop: Header=BB391_927 Depth=1
	v_cmp_ne_u16_sdwa s4, v19, v66 src0_sel:BYTE_0 src1_sel:DWORD
	v_bfrev_b32_e32 v4, 1
	s_and_saveexec_b32 s13, s4
	s_cbranch_execz .LBB391_1066
; %bb.1061:                             ;   in Loop: Header=BB391_927 Depth=1
	v_and_b32_e32 v10, 0x7f, v19
	v_mov_b32_e32 v4, 0x7f800001
	s_mov_b32 s15, exec_lo
	v_cmpx_ne_u32_e32 0x7f, v10
	s_cbranch_execz .LBB391_1065
; %bb.1062:                             ;   in Loop: Header=BB391_927 Depth=1
	v_mov_b32_e32 v24, v20
	v_lshrrev_b32_e32 v4, 3, v10
	v_mov_b32_e32 v23, v19
	s_mov_b32 s18, exec_lo
	v_cmpx_gt_u32_e32 8, v10
; %bb.1063:                             ;   in Loop: Header=BB391_927 Depth=1
	v_and_b32_e32 v4, 7, v19
	v_ffbh_u32_e32 v4, v4
	v_min_u32_e32 v4, 32, v4
	v_subrev_nc_u32_e32 v10, 28, v4
	v_sub_nc_u32_e32 v4, 29, v4
	v_lshlrev_b64 v[23:24], v10, v[19:20]
; %bb.1064:                             ;   in Loop: Header=BB391_927 Depth=1
	s_or_b32 exec_lo, exec_lo, s18
	v_lshlrev_b32_e32 v10, 20, v23
	v_lshlrev_b32_e32 v12, 24, v19
	v_lshl_add_u32 v4, v4, 23, 0x3c000000
	v_and_b32_e32 v10, 0x700000, v10
	v_and_b32_e32 v12, 0x80000000, v12
	v_or3_b32 v4, v10, v12, v4
.LBB391_1065:                           ;   in Loop: Header=BB391_927 Depth=1
	s_or_b32 exec_lo, exec_lo, s15
.LBB391_1066:                           ;   in Loop: Header=BB391_927 Depth=1
	s_or_b32 exec_lo, exec_lo, s13
.LBB391_1067:                           ;   in Loop: Header=BB391_927 Depth=1
	s_or_b32 exec_lo, exec_lo, s12
	v_cmp_ne_u16_sdwa s4, v19, v11 src0_sel:BYTE_1 src1_sel:DWORD
	s_and_saveexec_b32 s12, s4
	s_cbranch_execz .LBB391_1075
; %bb.1068:                             ;   in Loop: Header=BB391_927 Depth=1
	v_cmp_ne_u16_sdwa s4, v19, v66 src0_sel:BYTE_1 src1_sel:DWORD
	v_bfrev_b32_e32 v5, 1
	s_and_saveexec_b32 s13, s4
	s_cbranch_execz .LBB391_1074
; %bb.1069:                             ;   in Loop: Header=BB391_927 Depth=1
	v_mov_b32_e32 v5, 0xffff
	s_mov_b32 s15, exec_lo
	v_and_b32_sdwa v10, v5, v19 dst_sel:DWORD dst_unused:UNUSED_PAD src0_sel:DWORD src1_sel:BYTE_1
	v_mov_b32_e32 v5, 0x7f800001
	v_and_b32_e32 v12, 0x7f, v10
	v_cmpx_ne_u32_e32 0x7f, v12
	s_cbranch_execz .LBB391_1073
; %bb.1070:                             ;   in Loop: Header=BB391_927 Depth=1
	v_and_b32_e32 v10, 7, v10
	v_mov_b32_e32 v24, v11
	v_lshrrev_b32_e32 v5, 3, v12
	s_mov_b32 s18, exec_lo
	v_mov_b32_e32 v23, v10
	v_cmpx_gt_u32_e32 8, v12
; %bb.1071:                             ;   in Loop: Header=BB391_927 Depth=1
	v_ffbh_u32_e32 v5, v10
	v_min_u32_e32 v5, 32, v5
	v_subrev_nc_u32_e32 v12, 28, v5
	v_sub_nc_u32_e32 v5, 29, v5
	v_lshlrev_b64 v[12:13], v12, v[10:11]
	v_and_b32_e32 v23, 7, v12
; %bb.1072:                             ;   in Loop: Header=BB391_927 Depth=1
	s_or_b32 exec_lo, exec_lo, s18
	v_lshlrev_b32_e32 v10, 16, v19
	v_lshlrev_b32_e32 v12, 20, v23
	v_lshl_add_u32 v5, v5, 23, 0x3c000000
	v_and_b32_e32 v10, 0x80000000, v10
	v_or3_b32 v5, v12, v10, v5
.LBB391_1073:                           ;   in Loop: Header=BB391_927 Depth=1
	s_or_b32 exec_lo, exec_lo, s15
.LBB391_1074:                           ;   in Loop: Header=BB391_927 Depth=1
	s_or_b32 exec_lo, exec_lo, s13
.LBB391_1075:                           ;   in Loop: Header=BB391_927 Depth=1
	s_or_b32 exec_lo, exec_lo, s12
	v_and_b32_sdwa v10, v19, v68 dst_sel:DWORD dst_unused:UNUSED_PAD src0_sel:WORD_1 src1_sel:DWORD
	v_mov_b32_e32 v13, 0
	v_mov_b32_e32 v12, 0
	s_mov_b32 s12, exec_lo
	v_cmpx_ne_u16_e32 0, v10
	s_cbranch_execz .LBB391_1083
; %bb.1076:                             ;   in Loop: Header=BB391_927 Depth=1
	v_bfrev_b32_e32 v12, 1
	s_mov_b32 s13, exec_lo
	v_cmpx_ne_u16_e32 0x80, v10
	s_cbranch_execz .LBB391_1082
; %bb.1077:                             ;   in Loop: Header=BB391_927 Depth=1
	v_bfe_u32 v16, v19, 16, 7
	v_mov_b32_e32 v12, 0x7f800001
	s_mov_b32 s15, exec_lo
	v_cmpx_ne_u32_e32 0x7f, v16
	s_cbranch_execz .LBB391_1081
; %bb.1078:                             ;   in Loop: Header=BB391_927 Depth=1
	v_mov_b32_e32 v10, 7
	v_lshrrev_b32_e32 v12, 3, v16
	s_mov_b32 s18, exec_lo
	v_and_b32_sdwa v10, v19, v10 dst_sel:DWORD dst_unused:UNUSED_PAD src0_sel:WORD_1 src1_sel:DWORD
	v_mov_b32_e32 v24, v11
	v_mov_b32_e32 v23, v10
	v_cmpx_gt_u32_e32 8, v16
; %bb.1079:                             ;   in Loop: Header=BB391_927 Depth=1
	v_ffbh_u32_e32 v12, v10
	v_min_u32_e32 v12, 32, v12
	v_subrev_nc_u32_e32 v16, 28, v12
	v_sub_nc_u32_e32 v12, 29, v12
	v_lshlrev_b64 v[21:22], v16, v[10:11]
	v_and_b32_e32 v23, 7, v21
; %bb.1080:                             ;   in Loop: Header=BB391_927 Depth=1
	s_or_b32 exec_lo, exec_lo, s18
	v_mov_b32_e32 v10, 24
	v_lshlrev_b32_e32 v16, 20, v23
	v_lshl_add_u32 v12, v12, 23, 0x3c000000
	v_lshlrev_b32_sdwa v10, v10, v19 dst_sel:DWORD dst_unused:UNUSED_PAD src0_sel:DWORD src1_sel:WORD_1
	v_and_b32_e32 v10, 0x80000000, v10
	v_or3_b32 v12, v16, v10, v12
.LBB391_1081:                           ;   in Loop: Header=BB391_927 Depth=1
	s_or_b32 exec_lo, exec_lo, s15
.LBB391_1082:                           ;   in Loop: Header=BB391_927 Depth=1
	s_or_b32 exec_lo, exec_lo, s13
.LBB391_1083:                           ;   in Loop: Header=BB391_927 Depth=1
	s_or_b32 exec_lo, exec_lo, s12
	s_mov_b32 s12, exec_lo
	v_cmpx_lt_u32_e32 0xffffff, v19
	s_cbranch_execz .LBB391_1091
; %bb.1084:                             ;   in Loop: Header=BB391_927 Depth=1
	v_cmp_ne_u32_sdwa s4, v19, v66 src0_sel:BYTE_3 src1_sel:DWORD
	v_bfrev_b32_e32 v13, 1
	s_and_saveexec_b32 s13, s4
	s_cbranch_execz .LBB391_1090
; %bb.1085:                             ;   in Loop: Header=BB391_927 Depth=1
	v_bfe_u32 v16, v19, 24, 7
	v_mov_b32_e32 v13, 0x7f800001
	s_mov_b32 s15, exec_lo
	v_cmpx_ne_u32_e32 0x7f, v16
	s_cbranch_execz .LBB391_1089
; %bb.1086:                             ;   in Loop: Header=BB391_927 Depth=1
	v_mov_b32_e32 v10, 7
	v_lshrrev_b32_e32 v13, 3, v16
	s_mov_b32 s18, exec_lo
	v_and_b32_sdwa v10, v19, v10 dst_sel:DWORD dst_unused:UNUSED_PAD src0_sel:BYTE_3 src1_sel:DWORD
	v_mov_b32_e32 v24, v11
	v_mov_b32_e32 v23, v10
	v_cmpx_gt_u32_e32 8, v16
; %bb.1087:                             ;   in Loop: Header=BB391_927 Depth=1
	v_ffbh_u32_e32 v13, v10
	v_min_u32_e32 v13, 32, v13
	v_subrev_nc_u32_e32 v16, 28, v13
	v_sub_nc_u32_e32 v13, 29, v13
	v_lshlrev_b64 v[21:22], v16, v[10:11]
	v_and_b32_e32 v23, 7, v21
; %bb.1088:                             ;   in Loop: Header=BB391_927 Depth=1
	s_or_b32 exec_lo, exec_lo, s18
	v_mov_b32_e32 v10, 24
	v_lshlrev_b32_e32 v16, 20, v23
	v_lshl_add_u32 v13, v13, 23, 0x3c000000
	v_lshlrev_b32_sdwa v10, v10, v19 dst_sel:DWORD dst_unused:UNUSED_PAD src0_sel:DWORD src1_sel:BYTE_3
	v_and_b32_e32 v10, 0x80000000, v10
	v_or3_b32 v13, v16, v10, v13
.LBB391_1089:                           ;   in Loop: Header=BB391_927 Depth=1
	s_or_b32 exec_lo, exec_lo, s15
.LBB391_1090:                           ;   in Loop: Header=BB391_927 Depth=1
	s_or_b32 exec_lo, exec_lo, s13
.LBB391_1091:                           ;   in Loop: Header=BB391_927 Depth=1
	s_or_b32 exec_lo, exec_lo, s12
	v_mov_b32_e32 v10, v20
	v_cmp_ne_u16_sdwa s4, v20, v11 src0_sel:BYTE_0 src1_sel:DWORD
	v_mov_b32_e32 v21, 0
	v_mov_b32_e32 v16, 0
	s_and_saveexec_b32 s12, s4
	s_cbranch_execz .LBB391_1099
; %bb.1092:                             ;   in Loop: Header=BB391_927 Depth=1
	v_cmp_ne_u16_sdwa s4, v20, v66 src0_sel:BYTE_0 src1_sel:DWORD
	v_bfrev_b32_e32 v16, 1
	s_and_saveexec_b32 s13, s4
	s_cbranch_execz .LBB391_1098
; %bb.1093:                             ;   in Loop: Header=BB391_927 Depth=1
	v_and_b32_e32 v22, 0x7f, v20
	v_mov_b32_e32 v16, 0x7f800001
	s_mov_b32 s15, exec_lo
	v_cmpx_ne_u32_e32 0x7f, v22
	s_cbranch_execz .LBB391_1097
; %bb.1094:                             ;   in Loop: Header=BB391_927 Depth=1
	v_mov_b32_e32 v24, v11
	v_lshrrev_b32_e32 v16, 3, v22
	v_mov_b32_e32 v23, v10
	s_mov_b32 s18, exec_lo
	v_cmpx_gt_u32_e32 8, v22
; %bb.1095:                             ;   in Loop: Header=BB391_927 Depth=1
	v_and_b32_e32 v16, 7, v20
	v_ffbh_u32_e32 v16, v16
	v_min_u32_e32 v16, 32, v16
	v_subrev_nc_u32_e32 v22, 28, v16
	v_sub_nc_u32_e32 v16, 29, v16
	v_lshlrev_b64 v[23:24], v22, v[10:11]
; %bb.1096:                             ;   in Loop: Header=BB391_927 Depth=1
	s_or_b32 exec_lo, exec_lo, s18
	v_lshlrev_b32_e32 v22, 20, v23
	v_lshlrev_b32_e32 v23, 24, v10
	v_lshl_add_u32 v16, v16, 23, 0x3c000000
	v_and_b32_e32 v22, 0x700000, v22
	v_and_b32_e32 v23, 0x80000000, v23
	v_or3_b32 v16, v22, v23, v16
.LBB391_1097:                           ;   in Loop: Header=BB391_927 Depth=1
	s_or_b32 exec_lo, exec_lo, s15
.LBB391_1098:                           ;   in Loop: Header=BB391_927 Depth=1
	s_or_b32 exec_lo, exec_lo, s13
.LBB391_1099:                           ;   in Loop: Header=BB391_927 Depth=1
	s_or_b32 exec_lo, exec_lo, s12
	v_cmp_ne_u16_sdwa s4, v10, v11 src0_sel:BYTE_1 src1_sel:DWORD
	s_and_saveexec_b32 s12, s4
	s_cbranch_execz .LBB391_1107
; %bb.1100:                             ;   in Loop: Header=BB391_927 Depth=1
	v_cmp_ne_u16_sdwa s4, v10, v66 src0_sel:BYTE_1 src1_sel:DWORD
	v_bfrev_b32_e32 v21, 1
	s_and_saveexec_b32 s13, s4
	s_cbranch_execz .LBB391_1106
; %bb.1101:                             ;   in Loop: Header=BB391_927 Depth=1
	v_mov_b32_e32 v21, 0xffff
	s_mov_b32 s15, exec_lo
	v_and_b32_sdwa v23, v21, v10 dst_sel:DWORD dst_unused:UNUSED_PAD src0_sel:DWORD src1_sel:BYTE_1
	v_mov_b32_e32 v21, 0x7f800001
	v_and_b32_e32 v22, 0x7f, v23
	v_cmpx_ne_u32_e32 0x7f, v22
	s_cbranch_execz .LBB391_1105
; %bb.1102:                             ;   in Loop: Header=BB391_927 Depth=1
	v_and_b32_e32 v23, 7, v23
	v_mov_b32_e32 v24, v11
	v_lshrrev_b32_e32 v21, 3, v22
	s_mov_b32 s18, exec_lo
	v_cmpx_gt_u32_e32 8, v22
; %bb.1103:                             ;   in Loop: Header=BB391_927 Depth=1
	v_ffbh_u32_e32 v21, v23
	v_min_u32_e32 v21, 32, v21
	v_subrev_nc_u32_e32 v22, 28, v21
	v_sub_nc_u32_e32 v21, 29, v21
	v_lshlrev_b64 v[22:23], v22, v[23:24]
	v_and_b32_e32 v23, 7, v22
; %bb.1104:                             ;   in Loop: Header=BB391_927 Depth=1
	s_or_b32 exec_lo, exec_lo, s18
	v_lshlrev_b32_e32 v10, 16, v10
	v_lshlrev_b32_e32 v22, 20, v23
	v_lshl_add_u32 v21, v21, 23, 0x3c000000
	v_and_b32_e32 v10, 0x80000000, v10
	v_or3_b32 v21, v22, v10, v21
.LBB391_1105:                           ;   in Loop: Header=BB391_927 Depth=1
	s_or_b32 exec_lo, exec_lo, s15
.LBB391_1106:                           ;   in Loop: Header=BB391_927 Depth=1
	s_or_b32 exec_lo, exec_lo, s13
.LBB391_1107:                           ;   in Loop: Header=BB391_927 Depth=1
	s_or_b32 exec_lo, exec_lo, s12
	v_and_b32_sdwa v10, v20, v68 dst_sel:DWORD dst_unused:UNUSED_PAD src0_sel:WORD_1 src1_sel:DWORD
	v_mov_b32_e32 v22, 0
	v_mov_b32_e32 v25, 0
	s_mov_b32 s12, exec_lo
	v_cmpx_ne_u16_e32 0, v10
	s_cbranch_execz .LBB391_1115
; %bb.1108:                             ;   in Loop: Header=BB391_927 Depth=1
	v_bfrev_b32_e32 v25, 1
	s_mov_b32 s13, exec_lo
	v_cmpx_ne_u16_e32 0x80, v10
	s_cbranch_execz .LBB391_1114
; %bb.1109:                             ;   in Loop: Header=BB391_927 Depth=1
	v_bfe_u32 v23, v20, 16, 7
	v_mov_b32_e32 v25, 0x7f800001
	s_mov_b32 s15, exec_lo
	v_cmpx_ne_u32_e32 0x7f, v23
	s_cbranch_execz .LBB391_1113
; %bb.1110:                             ;   in Loop: Header=BB391_927 Depth=1
	v_mov_b32_e32 v10, 7
	v_lshrrev_b32_e32 v25, 3, v23
	v_cmp_gt_u32_e64 s4, 8, v23
	v_and_b32_sdwa v10, v20, v10 dst_sel:DWORD dst_unused:UNUSED_PAD src0_sel:WORD_1 src1_sel:DWORD
	v_mov_b32_e32 v24, v11
	v_mov_b32_e32 v23, v10
	s_and_saveexec_b32 s18, s4
; %bb.1111:                             ;   in Loop: Header=BB391_927 Depth=1
	v_ffbh_u32_e32 v23, v10
	v_min_u32_e32 v25, 32, v23
	v_subrev_nc_u32_e32 v23, 28, v25
	v_sub_nc_u32_e32 v25, 29, v25
	v_lshlrev_b64 v[23:24], v23, v[10:11]
	v_and_b32_e32 v23, 7, v23
; %bb.1112:                             ;   in Loop: Header=BB391_927 Depth=1
	s_or_b32 exec_lo, exec_lo, s18
	v_mov_b32_e32 v10, 24
	v_lshlrev_b32_e32 v23, 20, v23
	v_lshl_add_u32 v24, v25, 23, 0x3c000000
	v_lshlrev_b32_sdwa v10, v10, v20 dst_sel:DWORD dst_unused:UNUSED_PAD src0_sel:DWORD src1_sel:WORD_1
	v_and_b32_e32 v10, 0x80000000, v10
	v_or3_b32 v25, v23, v10, v24
.LBB391_1113:                           ;   in Loop: Header=BB391_927 Depth=1
	s_or_b32 exec_lo, exec_lo, s15
.LBB391_1114:                           ;   in Loop: Header=BB391_927 Depth=1
	s_or_b32 exec_lo, exec_lo, s13
.LBB391_1115:                           ;   in Loop: Header=BB391_927 Depth=1
	s_or_b32 exec_lo, exec_lo, s12
	s_mov_b32 s12, exec_lo
	v_cmpx_lt_u64_e64 s[8:9], v[19:20]
	s_cbranch_execz .LBB391_1123
; %bb.1116:                             ;   in Loop: Header=BB391_927 Depth=1
	v_cmp_ne_u32_sdwa s4, v20, v66 src0_sel:BYTE_3 src1_sel:DWORD
	v_bfrev_b32_e32 v22, 1
	s_and_saveexec_b32 s13, s4
	s_cbranch_execz .LBB391_1122
; %bb.1117:                             ;   in Loop: Header=BB391_927 Depth=1
	v_bfe_u32 v23, v20, 24, 7
	v_mov_b32_e32 v22, 0x7f800001
	s_mov_b32 s15, exec_lo
	v_cmpx_ne_u32_e32 0x7f, v23
	s_cbranch_execz .LBB391_1121
; %bb.1118:                             ;   in Loop: Header=BB391_927 Depth=1
	v_mov_b32_e32 v10, 7
	v_lshrrev_b32_e32 v19, 3, v23
	v_cmp_gt_u32_e64 s4, 8, v23
	v_and_b32_sdwa v10, v20, v10 dst_sel:DWORD dst_unused:UNUSED_PAD src0_sel:BYTE_3 src1_sel:DWORD
	v_mov_b32_e32 v24, v11
	v_mov_b32_e32 v23, v10
	s_and_saveexec_b32 s18, s4
; %bb.1119:                             ;   in Loop: Header=BB391_927 Depth=1
	v_ffbh_u32_e32 v19, v10
	v_min_u32_e32 v19, 32, v19
	v_subrev_nc_u32_e32 v22, 28, v19
	v_sub_nc_u32_e32 v19, 29, v19
	v_lshlrev_b64 v[22:23], v22, v[10:11]
	v_and_b32_e32 v23, 7, v22
; %bb.1120:                             ;   in Loop: Header=BB391_927 Depth=1
	s_or_b32 exec_lo, exec_lo, s18
	v_mov_b32_e32 v10, 24
	v_lshl_add_u32 v19, v19, 23, 0x3c000000
	v_lshlrev_b32_sdwa v10, v10, v20 dst_sel:DWORD dst_unused:UNUSED_PAD src0_sel:DWORD src1_sel:BYTE_3
	v_lshlrev_b32_e32 v20, 20, v23
	v_and_b32_e32 v10, 0x80000000, v10
	v_or3_b32 v22, v20, v10, v19
.LBB391_1121:                           ;   in Loop: Header=BB391_927 Depth=1
	s_or_b32 exec_lo, exec_lo, s15
.LBB391_1122:                           ;   in Loop: Header=BB391_927 Depth=1
	s_or_b32 exec_lo, exec_lo, s13
.LBB391_1123:                           ;   in Loop: Header=BB391_927 Depth=1
	s_or_b32 exec_lo, exec_lo, s12
	v_mul_f32_e32 v10, v26, v21
	v_mul_f32_e32 v16, v26, v16
	;; [unrolled: 1-line block ×5, first 2 shown]
	v_bfe_u32 v19, v10, 16, 1
	v_or_b32_e32 v20, 0x400000, v10
	v_bfe_u32 v21, v16, 16, 1
	v_cmp_u_f32_e64 s4, v10, v10
	v_or_b32_e32 v23, 0x400000, v16
	v_add3_u32 v19, v19, v10, 0x7fff
	v_bfe_u32 v24, v13, 16, 1
	v_add3_u32 v21, v21, v16, 0x7fff
	v_or_b32_e32 v27, 0x400000, v13
	v_bfe_u32 v28, v12, 16, 1
	v_cndmask_b32_e64 v10, v19, v20, s4
	v_cmp_u_f32_e64 s4, v16, v16
	v_add3_u32 v24, v24, v13, 0x7fff
	v_or_b32_e32 v19, 0x400000, v12
	v_mul_f32_e32 v4, v26, v4
	v_lshrrev_b32_e32 v10, 16, v10
	v_cndmask_b32_e64 v16, v21, v23, s4
	v_cmp_u_f32_e64 s4, v13, v13
	v_bfe_u32 v20, v4, 16, 1
	buffer_store_dword v10, off, s[0:3], s32 offset:280 ; 4-byte Folded Spill
	v_add3_u32 v10, v28, v12, 0x7fff
	v_cndmask_b32_e64 v13, v24, v27, s4
	v_lshrrev_b32_e32 v16, 16, v16
	v_cmp_u_f32_e64 s4, v12, v12
	v_mul_f32_e32 v12, v26, v25
	v_lshrrev_b32_e32 v13, 16, v13
	buffer_store_dword v16, off, s[0:3], s32 offset:272 ; 4-byte Folded Spill
	v_cndmask_b32_e64 v10, v10, v19, s4
	v_or_b32_e32 v16, 0x400000, v5
	v_cmp_u_f32_e64 s4, v5, v5
	buffer_store_dword v13, off, s[0:3], s32 offset:284 ; 4-byte Folded Spill
	v_bfe_u32 v13, v5, 16, 1
	v_mul_f32_e32 v19, v26, v22
	v_bfe_u32 v21, v12, 16, 1
	v_or_b32_e32 v22, 0x400000, v12
	v_lshrrev_b32_e32 v10, 16, v10
	v_add3_u32 v13, v13, v5, 0x7fff
	v_or_b32_e32 v23, 0x400000, v19
	v_add3_u32 v21, v21, v12, 0x7fff
	buffer_store_dword v10, off, s[0:3], s32 offset:288 ; 4-byte Folded Spill
	v_cndmask_b32_e64 v5, v13, v16, s4
	v_add3_u32 v16, v20, v4, 0x7fff
	v_or_b32_e32 v20, 0x400000, v4
	v_cmp_u_f32_e64 s4, v4, v4
	v_bfe_u32 v13, v19, 16, 1
	v_lshrrev_b32_e32 v5, 16, v5
	v_cndmask_b32_e64 v4, v16, v20, s4
	v_cmp_u_f32_e64 s4, v12, v12
	v_add3_u32 v13, v13, v19, 0x7fff
	buffer_store_dword v5, off, s[0:3], s32 offset:296 ; 4-byte Folded Spill
	v_lshrrev_b32_e32 v4, 16, v4
	v_cndmask_b32_e64 v12, v21, v22, s4
	v_cmp_u_f32_e64 s4, v19, v19
	buffer_store_dword v4, off, s[0:3], s32 offset:292 ; 4-byte Folded Spill
	v_lshrrev_b32_e32 v4, 16, v12
	v_cndmask_b32_e64 v13, v13, v23, s4
	buffer_store_dword v4, off, s[0:3], s32 offset:268 ; 4-byte Folded Spill
	v_lshrrev_b32_e32 v4, 16, v13
	buffer_store_dword v4, off, s[0:3], s32 offset:276 ; 4-byte Folded Spill
	s_and_saveexec_b32 s12, vcc_lo
	s_cbranch_execz .LBB391_1125
; %bb.1124:                             ;   in Loop: Header=BB391_927 Depth=1
	buffer_load_dword v4, off, s[0:3], s32 offset:292 ; 4-byte Folded Reload
	v_cmp_lt_i32_e64 s4, v119, v35
	s_waitcnt vmcnt(0)
	v_cndmask_b32_e64 v4, 0, v4, s4
	v_cmp_lt_i32_e64 s4, v57, v35
	buffer_store_dword v4, off, s[0:3], s32 offset:292 ; 4-byte Folded Spill
	buffer_load_dword v4, off, s[0:3], s32 offset:296 ; 4-byte Folded Reload
	s_waitcnt vmcnt(0)
	v_cndmask_b32_e64 v4, 0, v4, s4
	v_cmp_lt_i32_e64 s4, v56, v35
	buffer_store_dword v4, off, s[0:3], s32 offset:296 ; 4-byte Folded Spill
	buffer_load_dword v4, off, s[0:3], s32 offset:288 ; 4-byte Folded Reload
	s_waitcnt vmcnt(0)
	v_cndmask_b32_e64 v4, 0, v4, s4
	v_cmp_lt_i32_e64 s4, v46, v35
	buffer_store_dword v4, off, s[0:3], s32 offset:288 ; 4-byte Folded Spill
	buffer_load_dword v4, off, s[0:3], s32 offset:284 ; 4-byte Folded Reload
	s_waitcnt vmcnt(0)
	v_cndmask_b32_e64 v4, 0, v4, s4
	v_cmp_lt_i32_e64 s4, v44, v35
	buffer_store_dword v4, off, s[0:3], s32 offset:284 ; 4-byte Folded Spill
	buffer_load_dword v4, off, s[0:3], s32 offset:272 ; 4-byte Folded Reload
	s_waitcnt vmcnt(0)
	v_cndmask_b32_e64 v4, 0, v4, s4
	v_cmp_lt_i32_e64 s4, v43, v35
	buffer_store_dword v4, off, s[0:3], s32 offset:272 ; 4-byte Folded Spill
	buffer_load_dword v4, off, s[0:3], s32 offset:280 ; 4-byte Folded Reload
	s_waitcnt vmcnt(0)
	v_cndmask_b32_e64 v4, 0, v4, s4
	v_cmp_lt_i32_e64 s4, v42, v35
	buffer_store_dword v4, off, s[0:3], s32 offset:280 ; 4-byte Folded Spill
	buffer_load_dword v4, off, s[0:3], s32 offset:268 ; 4-byte Folded Reload
	s_waitcnt vmcnt(0)
	v_cndmask_b32_e64 v4, 0, v4, s4
	v_cmp_lt_i32_e64 s4, v64, v35
	buffer_store_dword v4, off, s[0:3], s32 offset:268 ; 4-byte Folded Spill
	buffer_load_dword v4, off, s[0:3], s32 offset:276 ; 4-byte Folded Reload
	s_waitcnt vmcnt(0)
	v_cndmask_b32_e64 v4, 0, v4, s4
	buffer_store_dword v4, off, s[0:3], s32 offset:276 ; 4-byte Folded Spill
.LBB391_1125:                           ;   in Loop: Header=BB391_927 Depth=1
	s_or_b32 exec_lo, exec_lo, s12
	flat_load_dwordx2 v[19:20], v[17:18] offset:768
	v_mov_b32_e32 v5, 0
	v_mov_b32_e32 v4, 0
	s_waitcnt vmcnt(0) lgkmcnt(0)
	v_cmp_ne_u16_sdwa s4, v19, v11 src0_sel:BYTE_0 src1_sel:DWORD
	s_and_saveexec_b32 s12, s4
	s_cbranch_execz .LBB391_1133
; %bb.1126:                             ;   in Loop: Header=BB391_927 Depth=1
	v_cmp_ne_u16_sdwa s4, v19, v66 src0_sel:BYTE_0 src1_sel:DWORD
	v_bfrev_b32_e32 v4, 1
	s_and_saveexec_b32 s13, s4
	s_cbranch_execz .LBB391_1132
; %bb.1127:                             ;   in Loop: Header=BB391_927 Depth=1
	v_and_b32_e32 v10, 0x7f, v19
	v_mov_b32_e32 v4, 0x7f800001
	s_mov_b32 s15, exec_lo
	v_cmpx_ne_u32_e32 0x7f, v10
	s_cbranch_execz .LBB391_1131
; %bb.1128:                             ;   in Loop: Header=BB391_927 Depth=1
	v_mov_b32_e32 v24, v20
	v_lshrrev_b32_e32 v4, 3, v10
	v_mov_b32_e32 v23, v19
	s_mov_b32 s18, exec_lo
	v_cmpx_gt_u32_e32 8, v10
; %bb.1129:                             ;   in Loop: Header=BB391_927 Depth=1
	v_and_b32_e32 v4, 7, v19
	v_ffbh_u32_e32 v4, v4
	v_min_u32_e32 v4, 32, v4
	v_subrev_nc_u32_e32 v10, 28, v4
	v_sub_nc_u32_e32 v4, 29, v4
	v_lshlrev_b64 v[23:24], v10, v[19:20]
; %bb.1130:                             ;   in Loop: Header=BB391_927 Depth=1
	s_or_b32 exec_lo, exec_lo, s18
	v_lshlrev_b32_e32 v10, 20, v23
	v_lshlrev_b32_e32 v12, 24, v19
	v_lshl_add_u32 v4, v4, 23, 0x3c000000
	v_and_b32_e32 v10, 0x700000, v10
	v_and_b32_e32 v12, 0x80000000, v12
	v_or3_b32 v4, v10, v12, v4
.LBB391_1131:                           ;   in Loop: Header=BB391_927 Depth=1
	s_or_b32 exec_lo, exec_lo, s15
.LBB391_1132:                           ;   in Loop: Header=BB391_927 Depth=1
	s_or_b32 exec_lo, exec_lo, s13
.LBB391_1133:                           ;   in Loop: Header=BB391_927 Depth=1
	s_or_b32 exec_lo, exec_lo, s12
	v_cmp_ne_u16_sdwa s4, v19, v11 src0_sel:BYTE_1 src1_sel:DWORD
	s_and_saveexec_b32 s12, s4
	s_cbranch_execz .LBB391_1141
; %bb.1134:                             ;   in Loop: Header=BB391_927 Depth=1
	v_cmp_ne_u16_sdwa s4, v19, v66 src0_sel:BYTE_1 src1_sel:DWORD
	v_bfrev_b32_e32 v5, 1
	s_and_saveexec_b32 s13, s4
	s_cbranch_execz .LBB391_1140
; %bb.1135:                             ;   in Loop: Header=BB391_927 Depth=1
	v_mov_b32_e32 v5, 0xffff
	s_mov_b32 s15, exec_lo
	v_and_b32_sdwa v10, v5, v19 dst_sel:DWORD dst_unused:UNUSED_PAD src0_sel:DWORD src1_sel:BYTE_1
	v_mov_b32_e32 v5, 0x7f800001
	v_and_b32_e32 v12, 0x7f, v10
	v_cmpx_ne_u32_e32 0x7f, v12
	s_cbranch_execz .LBB391_1139
; %bb.1136:                             ;   in Loop: Header=BB391_927 Depth=1
	v_and_b32_e32 v10, 7, v10
	v_mov_b32_e32 v24, v11
	v_lshrrev_b32_e32 v5, 3, v12
	s_mov_b32 s18, exec_lo
	v_mov_b32_e32 v23, v10
	v_cmpx_gt_u32_e32 8, v12
; %bb.1137:                             ;   in Loop: Header=BB391_927 Depth=1
	v_ffbh_u32_e32 v5, v10
	v_min_u32_e32 v5, 32, v5
	v_subrev_nc_u32_e32 v12, 28, v5
	v_sub_nc_u32_e32 v5, 29, v5
	v_lshlrev_b64 v[12:13], v12, v[10:11]
	v_and_b32_e32 v23, 7, v12
; %bb.1138:                             ;   in Loop: Header=BB391_927 Depth=1
	s_or_b32 exec_lo, exec_lo, s18
	v_lshlrev_b32_e32 v10, 16, v19
	v_lshlrev_b32_e32 v12, 20, v23
	v_lshl_add_u32 v5, v5, 23, 0x3c000000
	v_and_b32_e32 v10, 0x80000000, v10
	v_or3_b32 v5, v12, v10, v5
.LBB391_1139:                           ;   in Loop: Header=BB391_927 Depth=1
	s_or_b32 exec_lo, exec_lo, s15
.LBB391_1140:                           ;   in Loop: Header=BB391_927 Depth=1
	s_or_b32 exec_lo, exec_lo, s13
.LBB391_1141:                           ;   in Loop: Header=BB391_927 Depth=1
	s_or_b32 exec_lo, exec_lo, s12
	v_and_b32_sdwa v10, v19, v68 dst_sel:DWORD dst_unused:UNUSED_PAD src0_sel:WORD_1 src1_sel:DWORD
	v_mov_b32_e32 v13, 0
	v_mov_b32_e32 v12, 0
	s_mov_b32 s12, exec_lo
	v_cmpx_ne_u16_e32 0, v10
	s_cbranch_execz .LBB391_1149
; %bb.1142:                             ;   in Loop: Header=BB391_927 Depth=1
	v_bfrev_b32_e32 v12, 1
	s_mov_b32 s13, exec_lo
	v_cmpx_ne_u16_e32 0x80, v10
	s_cbranch_execz .LBB391_1148
; %bb.1143:                             ;   in Loop: Header=BB391_927 Depth=1
	v_bfe_u32 v16, v19, 16, 7
	v_mov_b32_e32 v12, 0x7f800001
	s_mov_b32 s15, exec_lo
	v_cmpx_ne_u32_e32 0x7f, v16
	s_cbranch_execz .LBB391_1147
; %bb.1144:                             ;   in Loop: Header=BB391_927 Depth=1
	v_mov_b32_e32 v10, 7
	v_lshrrev_b32_e32 v12, 3, v16
	s_mov_b32 s18, exec_lo
	v_and_b32_sdwa v10, v19, v10 dst_sel:DWORD dst_unused:UNUSED_PAD src0_sel:WORD_1 src1_sel:DWORD
	v_mov_b32_e32 v24, v11
	v_mov_b32_e32 v23, v10
	v_cmpx_gt_u32_e32 8, v16
; %bb.1145:                             ;   in Loop: Header=BB391_927 Depth=1
	v_ffbh_u32_e32 v12, v10
	v_min_u32_e32 v12, 32, v12
	v_subrev_nc_u32_e32 v16, 28, v12
	v_sub_nc_u32_e32 v12, 29, v12
	v_lshlrev_b64 v[21:22], v16, v[10:11]
	v_and_b32_e32 v23, 7, v21
; %bb.1146:                             ;   in Loop: Header=BB391_927 Depth=1
	s_or_b32 exec_lo, exec_lo, s18
	v_mov_b32_e32 v10, 24
	v_lshlrev_b32_e32 v16, 20, v23
	v_lshl_add_u32 v12, v12, 23, 0x3c000000
	v_lshlrev_b32_sdwa v10, v10, v19 dst_sel:DWORD dst_unused:UNUSED_PAD src0_sel:DWORD src1_sel:WORD_1
	v_and_b32_e32 v10, 0x80000000, v10
	v_or3_b32 v12, v16, v10, v12
.LBB391_1147:                           ;   in Loop: Header=BB391_927 Depth=1
	s_or_b32 exec_lo, exec_lo, s15
.LBB391_1148:                           ;   in Loop: Header=BB391_927 Depth=1
	s_or_b32 exec_lo, exec_lo, s13
.LBB391_1149:                           ;   in Loop: Header=BB391_927 Depth=1
	s_or_b32 exec_lo, exec_lo, s12
	s_mov_b32 s12, exec_lo
	v_cmpx_lt_u32_e32 0xffffff, v19
	s_cbranch_execz .LBB391_1157
; %bb.1150:                             ;   in Loop: Header=BB391_927 Depth=1
	v_cmp_ne_u32_sdwa s4, v19, v66 src0_sel:BYTE_3 src1_sel:DWORD
	v_bfrev_b32_e32 v13, 1
	s_and_saveexec_b32 s13, s4
	s_cbranch_execz .LBB391_1156
; %bb.1151:                             ;   in Loop: Header=BB391_927 Depth=1
	v_bfe_u32 v16, v19, 24, 7
	v_mov_b32_e32 v13, 0x7f800001
	s_mov_b32 s15, exec_lo
	v_cmpx_ne_u32_e32 0x7f, v16
	s_cbranch_execz .LBB391_1155
; %bb.1152:                             ;   in Loop: Header=BB391_927 Depth=1
	v_mov_b32_e32 v10, 7
	v_lshrrev_b32_e32 v13, 3, v16
	s_mov_b32 s18, exec_lo
	v_and_b32_sdwa v10, v19, v10 dst_sel:DWORD dst_unused:UNUSED_PAD src0_sel:BYTE_3 src1_sel:DWORD
	v_mov_b32_e32 v24, v11
	v_mov_b32_e32 v23, v10
	v_cmpx_gt_u32_e32 8, v16
; %bb.1153:                             ;   in Loop: Header=BB391_927 Depth=1
	v_ffbh_u32_e32 v13, v10
	v_min_u32_e32 v13, 32, v13
	v_subrev_nc_u32_e32 v16, 28, v13
	v_sub_nc_u32_e32 v13, 29, v13
	v_lshlrev_b64 v[21:22], v16, v[10:11]
	v_and_b32_e32 v23, 7, v21
; %bb.1154:                             ;   in Loop: Header=BB391_927 Depth=1
	s_or_b32 exec_lo, exec_lo, s18
	v_mov_b32_e32 v10, 24
	v_lshlrev_b32_e32 v16, 20, v23
	v_lshl_add_u32 v13, v13, 23, 0x3c000000
	v_lshlrev_b32_sdwa v10, v10, v19 dst_sel:DWORD dst_unused:UNUSED_PAD src0_sel:DWORD src1_sel:BYTE_3
	v_and_b32_e32 v10, 0x80000000, v10
	v_or3_b32 v13, v16, v10, v13
.LBB391_1155:                           ;   in Loop: Header=BB391_927 Depth=1
	s_or_b32 exec_lo, exec_lo, s15
.LBB391_1156:                           ;   in Loop: Header=BB391_927 Depth=1
	s_or_b32 exec_lo, exec_lo, s13
.LBB391_1157:                           ;   in Loop: Header=BB391_927 Depth=1
	s_or_b32 exec_lo, exec_lo, s12
	v_mov_b32_e32 v10, v20
	v_cmp_ne_u16_sdwa s4, v20, v11 src0_sel:BYTE_0 src1_sel:DWORD
	v_mov_b32_e32 v21, 0
	v_mov_b32_e32 v16, 0
	s_and_saveexec_b32 s12, s4
	s_cbranch_execz .LBB391_1165
; %bb.1158:                             ;   in Loop: Header=BB391_927 Depth=1
	v_cmp_ne_u16_sdwa s4, v20, v66 src0_sel:BYTE_0 src1_sel:DWORD
	v_bfrev_b32_e32 v16, 1
	s_and_saveexec_b32 s13, s4
	s_cbranch_execz .LBB391_1164
; %bb.1159:                             ;   in Loop: Header=BB391_927 Depth=1
	v_and_b32_e32 v22, 0x7f, v20
	v_mov_b32_e32 v16, 0x7f800001
	s_mov_b32 s15, exec_lo
	v_cmpx_ne_u32_e32 0x7f, v22
	s_cbranch_execz .LBB391_1163
; %bb.1160:                             ;   in Loop: Header=BB391_927 Depth=1
	v_mov_b32_e32 v24, v11
	v_lshrrev_b32_e32 v16, 3, v22
	v_mov_b32_e32 v23, v10
	s_mov_b32 s18, exec_lo
	v_cmpx_gt_u32_e32 8, v22
; %bb.1161:                             ;   in Loop: Header=BB391_927 Depth=1
	v_and_b32_e32 v16, 7, v20
	v_ffbh_u32_e32 v16, v16
	v_min_u32_e32 v16, 32, v16
	v_subrev_nc_u32_e32 v22, 28, v16
	v_sub_nc_u32_e32 v16, 29, v16
	v_lshlrev_b64 v[23:24], v22, v[10:11]
; %bb.1162:                             ;   in Loop: Header=BB391_927 Depth=1
	s_or_b32 exec_lo, exec_lo, s18
	v_lshlrev_b32_e32 v22, 20, v23
	v_lshlrev_b32_e32 v23, 24, v10
	v_lshl_add_u32 v16, v16, 23, 0x3c000000
	v_and_b32_e32 v22, 0x700000, v22
	v_and_b32_e32 v23, 0x80000000, v23
	v_or3_b32 v16, v22, v23, v16
.LBB391_1163:                           ;   in Loop: Header=BB391_927 Depth=1
	s_or_b32 exec_lo, exec_lo, s15
.LBB391_1164:                           ;   in Loop: Header=BB391_927 Depth=1
	s_or_b32 exec_lo, exec_lo, s13
.LBB391_1165:                           ;   in Loop: Header=BB391_927 Depth=1
	s_or_b32 exec_lo, exec_lo, s12
	v_cmp_ne_u16_sdwa s4, v10, v11 src0_sel:BYTE_1 src1_sel:DWORD
	s_and_saveexec_b32 s12, s4
	s_cbranch_execz .LBB391_1173
; %bb.1166:                             ;   in Loop: Header=BB391_927 Depth=1
	v_cmp_ne_u16_sdwa s4, v10, v66 src0_sel:BYTE_1 src1_sel:DWORD
	v_bfrev_b32_e32 v21, 1
	s_and_saveexec_b32 s13, s4
	s_cbranch_execz .LBB391_1172
; %bb.1167:                             ;   in Loop: Header=BB391_927 Depth=1
	v_mov_b32_e32 v21, 0xffff
	s_mov_b32 s15, exec_lo
	v_and_b32_sdwa v23, v21, v10 dst_sel:DWORD dst_unused:UNUSED_PAD src0_sel:DWORD src1_sel:BYTE_1
	v_mov_b32_e32 v21, 0x7f800001
	v_and_b32_e32 v22, 0x7f, v23
	v_cmpx_ne_u32_e32 0x7f, v22
	s_cbranch_execz .LBB391_1171
; %bb.1168:                             ;   in Loop: Header=BB391_927 Depth=1
	v_and_b32_e32 v23, 7, v23
	v_mov_b32_e32 v24, v11
	v_lshrrev_b32_e32 v21, 3, v22
	s_mov_b32 s18, exec_lo
	v_cmpx_gt_u32_e32 8, v22
; %bb.1169:                             ;   in Loop: Header=BB391_927 Depth=1
	v_ffbh_u32_e32 v21, v23
	v_min_u32_e32 v21, 32, v21
	v_subrev_nc_u32_e32 v22, 28, v21
	v_sub_nc_u32_e32 v21, 29, v21
	v_lshlrev_b64 v[22:23], v22, v[23:24]
	v_and_b32_e32 v23, 7, v22
; %bb.1170:                             ;   in Loop: Header=BB391_927 Depth=1
	s_or_b32 exec_lo, exec_lo, s18
	v_lshlrev_b32_e32 v10, 16, v10
	v_lshlrev_b32_e32 v22, 20, v23
	v_lshl_add_u32 v21, v21, 23, 0x3c000000
	v_and_b32_e32 v10, 0x80000000, v10
	v_or3_b32 v21, v22, v10, v21
.LBB391_1171:                           ;   in Loop: Header=BB391_927 Depth=1
	s_or_b32 exec_lo, exec_lo, s15
.LBB391_1172:                           ;   in Loop: Header=BB391_927 Depth=1
	s_or_b32 exec_lo, exec_lo, s13
.LBB391_1173:                           ;   in Loop: Header=BB391_927 Depth=1
	s_or_b32 exec_lo, exec_lo, s12
	v_and_b32_sdwa v10, v20, v68 dst_sel:DWORD dst_unused:UNUSED_PAD src0_sel:WORD_1 src1_sel:DWORD
	v_mov_b32_e32 v22, 0
	v_mov_b32_e32 v25, 0
	s_mov_b32 s12, exec_lo
	v_cmpx_ne_u16_e32 0, v10
	s_cbranch_execz .LBB391_1181
; %bb.1174:                             ;   in Loop: Header=BB391_927 Depth=1
	v_bfrev_b32_e32 v25, 1
	s_mov_b32 s13, exec_lo
	v_cmpx_ne_u16_e32 0x80, v10
	s_cbranch_execz .LBB391_1180
; %bb.1175:                             ;   in Loop: Header=BB391_927 Depth=1
	v_bfe_u32 v23, v20, 16, 7
	v_mov_b32_e32 v25, 0x7f800001
	s_mov_b32 s15, exec_lo
	v_cmpx_ne_u32_e32 0x7f, v23
	s_cbranch_execz .LBB391_1179
; %bb.1176:                             ;   in Loop: Header=BB391_927 Depth=1
	v_mov_b32_e32 v10, 7
	v_lshrrev_b32_e32 v25, 3, v23
	v_cmp_gt_u32_e64 s4, 8, v23
	v_and_b32_sdwa v10, v20, v10 dst_sel:DWORD dst_unused:UNUSED_PAD src0_sel:WORD_1 src1_sel:DWORD
	v_mov_b32_e32 v24, v11
	v_mov_b32_e32 v23, v10
	s_and_saveexec_b32 s18, s4
; %bb.1177:                             ;   in Loop: Header=BB391_927 Depth=1
	v_ffbh_u32_e32 v23, v10
	v_min_u32_e32 v25, 32, v23
	v_subrev_nc_u32_e32 v23, 28, v25
	v_sub_nc_u32_e32 v25, 29, v25
	v_lshlrev_b64 v[23:24], v23, v[10:11]
	v_and_b32_e32 v23, 7, v23
; %bb.1178:                             ;   in Loop: Header=BB391_927 Depth=1
	s_or_b32 exec_lo, exec_lo, s18
	v_mov_b32_e32 v10, 24
	v_lshlrev_b32_e32 v23, 20, v23
	v_lshl_add_u32 v24, v25, 23, 0x3c000000
	v_lshlrev_b32_sdwa v10, v10, v20 dst_sel:DWORD dst_unused:UNUSED_PAD src0_sel:DWORD src1_sel:WORD_1
	v_and_b32_e32 v10, 0x80000000, v10
	v_or3_b32 v25, v23, v10, v24
.LBB391_1179:                           ;   in Loop: Header=BB391_927 Depth=1
	s_or_b32 exec_lo, exec_lo, s15
.LBB391_1180:                           ;   in Loop: Header=BB391_927 Depth=1
	s_or_b32 exec_lo, exec_lo, s13
.LBB391_1181:                           ;   in Loop: Header=BB391_927 Depth=1
	s_or_b32 exec_lo, exec_lo, s12
	s_mov_b32 s12, exec_lo
	v_cmpx_lt_u64_e64 s[8:9], v[19:20]
	s_cbranch_execz .LBB391_1189
; %bb.1182:                             ;   in Loop: Header=BB391_927 Depth=1
	v_cmp_ne_u32_sdwa s4, v20, v66 src0_sel:BYTE_3 src1_sel:DWORD
	v_bfrev_b32_e32 v22, 1
	s_and_saveexec_b32 s13, s4
	s_cbranch_execz .LBB391_1188
; %bb.1183:                             ;   in Loop: Header=BB391_927 Depth=1
	v_bfe_u32 v23, v20, 24, 7
	v_mov_b32_e32 v22, 0x7f800001
	s_mov_b32 s15, exec_lo
	v_cmpx_ne_u32_e32 0x7f, v23
	s_cbranch_execz .LBB391_1187
; %bb.1184:                             ;   in Loop: Header=BB391_927 Depth=1
	v_mov_b32_e32 v10, 7
	v_lshrrev_b32_e32 v19, 3, v23
	v_cmp_gt_u32_e64 s4, 8, v23
	v_and_b32_sdwa v10, v20, v10 dst_sel:DWORD dst_unused:UNUSED_PAD src0_sel:BYTE_3 src1_sel:DWORD
	v_mov_b32_e32 v24, v11
	v_mov_b32_e32 v23, v10
	s_and_saveexec_b32 s18, s4
; %bb.1185:                             ;   in Loop: Header=BB391_927 Depth=1
	v_ffbh_u32_e32 v19, v10
	v_min_u32_e32 v19, 32, v19
	v_subrev_nc_u32_e32 v22, 28, v19
	v_sub_nc_u32_e32 v19, 29, v19
	v_lshlrev_b64 v[22:23], v22, v[10:11]
	v_and_b32_e32 v23, 7, v22
; %bb.1186:                             ;   in Loop: Header=BB391_927 Depth=1
	s_or_b32 exec_lo, exec_lo, s18
	v_mov_b32_e32 v10, 24
	v_lshl_add_u32 v19, v19, 23, 0x3c000000
	v_lshlrev_b32_sdwa v10, v10, v20 dst_sel:DWORD dst_unused:UNUSED_PAD src0_sel:DWORD src1_sel:BYTE_3
	v_lshlrev_b32_e32 v20, 20, v23
	v_and_b32_e32 v10, 0x80000000, v10
	v_or3_b32 v22, v20, v10, v19
.LBB391_1187:                           ;   in Loop: Header=BB391_927 Depth=1
	s_or_b32 exec_lo, exec_lo, s15
.LBB391_1188:                           ;   in Loop: Header=BB391_927 Depth=1
	s_or_b32 exec_lo, exec_lo, s13
.LBB391_1189:                           ;   in Loop: Header=BB391_927 Depth=1
	s_or_b32 exec_lo, exec_lo, s12
	v_mul_f32_e32 v10, v26, v21
	v_mul_f32_e32 v16, v26, v16
	;; [unrolled: 1-line block ×5, first 2 shown]
	v_bfe_u32 v19, v10, 16, 1
	v_or_b32_e32 v20, 0x400000, v10
	v_bfe_u32 v21, v16, 16, 1
	v_cmp_u_f32_e64 s4, v10, v10
	v_or_b32_e32 v23, 0x400000, v16
	v_add3_u32 v19, v19, v10, 0x7fff
	v_bfe_u32 v24, v13, 16, 1
	v_add3_u32 v21, v21, v16, 0x7fff
	v_or_b32_e32 v27, 0x400000, v13
	v_bfe_u32 v28, v12, 16, 1
	v_cndmask_b32_e64 v10, v19, v20, s4
	v_cmp_u_f32_e64 s4, v16, v16
	v_add3_u32 v24, v24, v13, 0x7fff
	v_or_b32_e32 v19, 0x400000, v12
	v_mul_f32_e32 v4, v26, v4
	v_lshrrev_b32_e32 v10, 16, v10
	v_cndmask_b32_e64 v16, v21, v23, s4
	v_cmp_u_f32_e64 s4, v13, v13
	v_bfe_u32 v20, v4, 16, 1
	buffer_store_dword v10, off, s[0:3], s32 offset:308 ; 4-byte Folded Spill
	v_add3_u32 v10, v28, v12, 0x7fff
	v_cndmask_b32_e64 v13, v24, v27, s4
	v_lshrrev_b32_e32 v16, 16, v16
	v_cmp_u_f32_e64 s4, v12, v12
	v_mul_f32_e32 v12, v26, v25
	v_lshrrev_b32_e32 v58, 16, v13
	v_bfe_u32 v13, v5, 16, 1
	buffer_store_dword v16, off, s[0:3], s32 offset:304 ; 4-byte Folded Spill
	v_cndmask_b32_e64 v10, v10, v19, s4
	v_or_b32_e32 v16, 0x400000, v5
	v_cmp_u_f32_e64 s4, v5, v5
	v_add3_u32 v13, v13, v5, 0x7fff
	v_mul_f32_e32 v19, v26, v22
	v_bfe_u32 v21, v12, 16, 1
	v_or_b32_e32 v22, 0x400000, v12
	v_lshrrev_b32_e32 v59, 16, v10
	v_cndmask_b32_e64 v5, v13, v16, s4
	v_add3_u32 v16, v20, v4, 0x7fff
	v_or_b32_e32 v20, 0x400000, v4
	v_cmp_u_f32_e64 s4, v4, v4
	v_bfe_u32 v13, v19, 16, 1
	v_add3_u32 v21, v21, v12, 0x7fff
	v_or_b32_e32 v23, 0x400000, v19
	v_lshrrev_b32_e32 v61, 16, v5
	v_cndmask_b32_e64 v4, v16, v20, s4
	v_cmp_u_f32_e64 s4, v12, v12
	v_add3_u32 v13, v13, v19, 0x7fff
	v_lshrrev_b32_e32 v60, 16, v4
	v_cndmask_b32_e64 v12, v21, v22, s4
	v_cmp_u_f32_e64 s4, v19, v19
	v_lshrrev_b32_e32 v4, 16, v12
	v_cndmask_b32_e64 v13, v13, v23, s4
	buffer_store_dword v4, off, s[0:3], s32 offset:300 ; 4-byte Folded Spill
	v_lshrrev_b32_e32 v47, 16, v13
	s_and_saveexec_b32 s12, vcc_lo
	s_cbranch_execz .LBB391_1191
; %bb.1190:                             ;   in Loop: Header=BB391_927 Depth=1
	buffer_load_dword v4, off, s[0:3], s32 offset:304 ; 4-byte Folded Reload
	v_cmp_lt_i32_e64 s4, v119, v35
	v_cndmask_b32_e64 v60, 0, v60, s4
	v_cmp_lt_i32_e64 s4, v57, v35
	v_cndmask_b32_e64 v61, 0, v61, s4
	;; [unrolled: 2-line block ×4, first 2 shown]
	v_cmp_lt_i32_e64 s4, v44, v35
	s_waitcnt vmcnt(0)
	v_cndmask_b32_e64 v4, 0, v4, s4
	v_cmp_lt_i32_e64 s4, v43, v35
	buffer_store_dword v4, off, s[0:3], s32 offset:304 ; 4-byte Folded Spill
	buffer_load_dword v4, off, s[0:3], s32 offset:308 ; 4-byte Folded Reload
	s_waitcnt vmcnt(0)
	v_cndmask_b32_e64 v4, 0, v4, s4
	v_cmp_lt_i32_e64 s4, v42, v35
	buffer_store_dword v4, off, s[0:3], s32 offset:308 ; 4-byte Folded Spill
	buffer_load_dword v4, off, s[0:3], s32 offset:300 ; 4-byte Folded Reload
	s_waitcnt vmcnt(0)
	v_cndmask_b32_e64 v4, 0, v4, s4
	v_cmp_lt_i32_e64 s4, v64, v35
	buffer_store_dword v4, off, s[0:3], s32 offset:300 ; 4-byte Folded Spill
	v_cndmask_b32_e64 v47, 0, v47, s4
.LBB391_1191:                           ;   in Loop: Header=BB391_927 Depth=1
	s_or_b32 exec_lo, exec_lo, s12
	flat_load_dwordx2 v[19:20], v[17:18] offset:1024
	v_mov_b32_e32 v5, 0
	v_mov_b32_e32 v4, 0
	s_waitcnt vmcnt(0) lgkmcnt(0)
	v_cmp_ne_u16_sdwa s4, v19, v11 src0_sel:BYTE_0 src1_sel:DWORD
	s_and_saveexec_b32 s12, s4
	s_cbranch_execz .LBB391_1199
; %bb.1192:                             ;   in Loop: Header=BB391_927 Depth=1
	v_cmp_ne_u16_sdwa s4, v19, v66 src0_sel:BYTE_0 src1_sel:DWORD
	v_bfrev_b32_e32 v4, 1
	s_and_saveexec_b32 s13, s4
	s_cbranch_execz .LBB391_1198
; %bb.1193:                             ;   in Loop: Header=BB391_927 Depth=1
	v_and_b32_e32 v10, 0x7f, v19
	v_mov_b32_e32 v4, 0x7f800001
	s_mov_b32 s15, exec_lo
	v_cmpx_ne_u32_e32 0x7f, v10
	s_cbranch_execz .LBB391_1197
; %bb.1194:                             ;   in Loop: Header=BB391_927 Depth=1
	v_mov_b32_e32 v24, v20
	v_lshrrev_b32_e32 v4, 3, v10
	v_mov_b32_e32 v23, v19
	s_mov_b32 s18, exec_lo
	v_cmpx_gt_u32_e32 8, v10
; %bb.1195:                             ;   in Loop: Header=BB391_927 Depth=1
	v_and_b32_e32 v4, 7, v19
	v_ffbh_u32_e32 v4, v4
	v_min_u32_e32 v4, 32, v4
	v_subrev_nc_u32_e32 v10, 28, v4
	v_sub_nc_u32_e32 v4, 29, v4
	v_lshlrev_b64 v[23:24], v10, v[19:20]
; %bb.1196:                             ;   in Loop: Header=BB391_927 Depth=1
	s_or_b32 exec_lo, exec_lo, s18
	v_lshlrev_b32_e32 v10, 20, v23
	v_lshlrev_b32_e32 v12, 24, v19
	v_lshl_add_u32 v4, v4, 23, 0x3c000000
	v_and_b32_e32 v10, 0x700000, v10
	v_and_b32_e32 v12, 0x80000000, v12
	v_or3_b32 v4, v10, v12, v4
.LBB391_1197:                           ;   in Loop: Header=BB391_927 Depth=1
	s_or_b32 exec_lo, exec_lo, s15
.LBB391_1198:                           ;   in Loop: Header=BB391_927 Depth=1
	s_or_b32 exec_lo, exec_lo, s13
.LBB391_1199:                           ;   in Loop: Header=BB391_927 Depth=1
	s_or_b32 exec_lo, exec_lo, s12
	v_cmp_ne_u16_sdwa s4, v19, v11 src0_sel:BYTE_1 src1_sel:DWORD
	s_and_saveexec_b32 s12, s4
	s_cbranch_execz .LBB391_1207
; %bb.1200:                             ;   in Loop: Header=BB391_927 Depth=1
	v_cmp_ne_u16_sdwa s4, v19, v66 src0_sel:BYTE_1 src1_sel:DWORD
	v_bfrev_b32_e32 v5, 1
	s_and_saveexec_b32 s13, s4
	s_cbranch_execz .LBB391_1206
; %bb.1201:                             ;   in Loop: Header=BB391_927 Depth=1
	v_mov_b32_e32 v5, 0xffff
	s_mov_b32 s15, exec_lo
	v_and_b32_sdwa v10, v5, v19 dst_sel:DWORD dst_unused:UNUSED_PAD src0_sel:DWORD src1_sel:BYTE_1
	v_mov_b32_e32 v5, 0x7f800001
	v_and_b32_e32 v12, 0x7f, v10
	v_cmpx_ne_u32_e32 0x7f, v12
	s_cbranch_execz .LBB391_1205
; %bb.1202:                             ;   in Loop: Header=BB391_927 Depth=1
	v_and_b32_e32 v10, 7, v10
	v_mov_b32_e32 v24, v11
	v_lshrrev_b32_e32 v5, 3, v12
	s_mov_b32 s18, exec_lo
	v_mov_b32_e32 v23, v10
	v_cmpx_gt_u32_e32 8, v12
; %bb.1203:                             ;   in Loop: Header=BB391_927 Depth=1
	v_ffbh_u32_e32 v5, v10
	v_min_u32_e32 v5, 32, v5
	v_subrev_nc_u32_e32 v12, 28, v5
	v_sub_nc_u32_e32 v5, 29, v5
	v_lshlrev_b64 v[12:13], v12, v[10:11]
	v_and_b32_e32 v23, 7, v12
; %bb.1204:                             ;   in Loop: Header=BB391_927 Depth=1
	s_or_b32 exec_lo, exec_lo, s18
	v_lshlrev_b32_e32 v10, 16, v19
	v_lshlrev_b32_e32 v12, 20, v23
	v_lshl_add_u32 v5, v5, 23, 0x3c000000
	v_and_b32_e32 v10, 0x80000000, v10
	v_or3_b32 v5, v12, v10, v5
.LBB391_1205:                           ;   in Loop: Header=BB391_927 Depth=1
	s_or_b32 exec_lo, exec_lo, s15
.LBB391_1206:                           ;   in Loop: Header=BB391_927 Depth=1
	s_or_b32 exec_lo, exec_lo, s13
.LBB391_1207:                           ;   in Loop: Header=BB391_927 Depth=1
	s_or_b32 exec_lo, exec_lo, s12
	v_and_b32_sdwa v10, v19, v68 dst_sel:DWORD dst_unused:UNUSED_PAD src0_sel:WORD_1 src1_sel:DWORD
	v_mov_b32_e32 v13, 0
	v_mov_b32_e32 v12, 0
	s_mov_b32 s12, exec_lo
	v_cmpx_ne_u16_e32 0, v10
	s_cbranch_execz .LBB391_1215
; %bb.1208:                             ;   in Loop: Header=BB391_927 Depth=1
	v_bfrev_b32_e32 v12, 1
	s_mov_b32 s13, exec_lo
	v_cmpx_ne_u16_e32 0x80, v10
	s_cbranch_execz .LBB391_1214
; %bb.1209:                             ;   in Loop: Header=BB391_927 Depth=1
	v_bfe_u32 v16, v19, 16, 7
	v_mov_b32_e32 v12, 0x7f800001
	s_mov_b32 s15, exec_lo
	v_cmpx_ne_u32_e32 0x7f, v16
	s_cbranch_execz .LBB391_1213
; %bb.1210:                             ;   in Loop: Header=BB391_927 Depth=1
	v_mov_b32_e32 v10, 7
	v_lshrrev_b32_e32 v12, 3, v16
	s_mov_b32 s18, exec_lo
	v_and_b32_sdwa v10, v19, v10 dst_sel:DWORD dst_unused:UNUSED_PAD src0_sel:WORD_1 src1_sel:DWORD
	v_mov_b32_e32 v24, v11
	v_mov_b32_e32 v23, v10
	v_cmpx_gt_u32_e32 8, v16
; %bb.1211:                             ;   in Loop: Header=BB391_927 Depth=1
	v_ffbh_u32_e32 v12, v10
	v_min_u32_e32 v12, 32, v12
	v_subrev_nc_u32_e32 v16, 28, v12
	v_sub_nc_u32_e32 v12, 29, v12
	v_lshlrev_b64 v[21:22], v16, v[10:11]
	v_and_b32_e32 v23, 7, v21
; %bb.1212:                             ;   in Loop: Header=BB391_927 Depth=1
	s_or_b32 exec_lo, exec_lo, s18
	v_mov_b32_e32 v10, 24
	v_lshlrev_b32_e32 v16, 20, v23
	v_lshl_add_u32 v12, v12, 23, 0x3c000000
	v_lshlrev_b32_sdwa v10, v10, v19 dst_sel:DWORD dst_unused:UNUSED_PAD src0_sel:DWORD src1_sel:WORD_1
	v_and_b32_e32 v10, 0x80000000, v10
	v_or3_b32 v12, v16, v10, v12
.LBB391_1213:                           ;   in Loop: Header=BB391_927 Depth=1
	s_or_b32 exec_lo, exec_lo, s15
.LBB391_1214:                           ;   in Loop: Header=BB391_927 Depth=1
	s_or_b32 exec_lo, exec_lo, s13
.LBB391_1215:                           ;   in Loop: Header=BB391_927 Depth=1
	s_or_b32 exec_lo, exec_lo, s12
	s_mov_b32 s12, exec_lo
	v_cmpx_lt_u32_e32 0xffffff, v19
	s_cbranch_execz .LBB391_1223
; %bb.1216:                             ;   in Loop: Header=BB391_927 Depth=1
	v_cmp_ne_u32_sdwa s4, v19, v66 src0_sel:BYTE_3 src1_sel:DWORD
	v_bfrev_b32_e32 v13, 1
	s_and_saveexec_b32 s13, s4
	s_cbranch_execz .LBB391_1222
; %bb.1217:                             ;   in Loop: Header=BB391_927 Depth=1
	v_bfe_u32 v16, v19, 24, 7
	v_mov_b32_e32 v13, 0x7f800001
	s_mov_b32 s15, exec_lo
	v_cmpx_ne_u32_e32 0x7f, v16
	s_cbranch_execz .LBB391_1221
; %bb.1218:                             ;   in Loop: Header=BB391_927 Depth=1
	v_mov_b32_e32 v10, 7
	v_lshrrev_b32_e32 v13, 3, v16
	s_mov_b32 s18, exec_lo
	v_and_b32_sdwa v10, v19, v10 dst_sel:DWORD dst_unused:UNUSED_PAD src0_sel:BYTE_3 src1_sel:DWORD
	v_mov_b32_e32 v24, v11
	v_mov_b32_e32 v23, v10
	v_cmpx_gt_u32_e32 8, v16
; %bb.1219:                             ;   in Loop: Header=BB391_927 Depth=1
	v_ffbh_u32_e32 v13, v10
	v_min_u32_e32 v13, 32, v13
	v_subrev_nc_u32_e32 v16, 28, v13
	v_sub_nc_u32_e32 v13, 29, v13
	v_lshlrev_b64 v[21:22], v16, v[10:11]
	v_and_b32_e32 v23, 7, v21
; %bb.1220:                             ;   in Loop: Header=BB391_927 Depth=1
	s_or_b32 exec_lo, exec_lo, s18
	v_mov_b32_e32 v10, 24
	v_lshlrev_b32_e32 v16, 20, v23
	v_lshl_add_u32 v13, v13, 23, 0x3c000000
	v_lshlrev_b32_sdwa v10, v10, v19 dst_sel:DWORD dst_unused:UNUSED_PAD src0_sel:DWORD src1_sel:BYTE_3
	v_and_b32_e32 v10, 0x80000000, v10
	v_or3_b32 v13, v16, v10, v13
.LBB391_1221:                           ;   in Loop: Header=BB391_927 Depth=1
	s_or_b32 exec_lo, exec_lo, s15
.LBB391_1222:                           ;   in Loop: Header=BB391_927 Depth=1
	s_or_b32 exec_lo, exec_lo, s13
.LBB391_1223:                           ;   in Loop: Header=BB391_927 Depth=1
	s_or_b32 exec_lo, exec_lo, s12
	v_mov_b32_e32 v10, v20
	v_cmp_ne_u16_sdwa s4, v20, v11 src0_sel:BYTE_0 src1_sel:DWORD
	v_mov_b32_e32 v21, 0
	v_mov_b32_e32 v16, 0
	s_and_saveexec_b32 s12, s4
	s_cbranch_execz .LBB391_1231
; %bb.1224:                             ;   in Loop: Header=BB391_927 Depth=1
	v_cmp_ne_u16_sdwa s4, v20, v66 src0_sel:BYTE_0 src1_sel:DWORD
	v_bfrev_b32_e32 v16, 1
	s_and_saveexec_b32 s13, s4
	s_cbranch_execz .LBB391_1230
; %bb.1225:                             ;   in Loop: Header=BB391_927 Depth=1
	v_and_b32_e32 v22, 0x7f, v20
	v_mov_b32_e32 v16, 0x7f800001
	s_mov_b32 s15, exec_lo
	v_cmpx_ne_u32_e32 0x7f, v22
	s_cbranch_execz .LBB391_1229
; %bb.1226:                             ;   in Loop: Header=BB391_927 Depth=1
	v_mov_b32_e32 v24, v11
	v_lshrrev_b32_e32 v16, 3, v22
	v_mov_b32_e32 v23, v10
	s_mov_b32 s18, exec_lo
	v_cmpx_gt_u32_e32 8, v22
; %bb.1227:                             ;   in Loop: Header=BB391_927 Depth=1
	v_and_b32_e32 v16, 7, v20
	v_ffbh_u32_e32 v16, v16
	v_min_u32_e32 v16, 32, v16
	v_subrev_nc_u32_e32 v22, 28, v16
	v_sub_nc_u32_e32 v16, 29, v16
	v_lshlrev_b64 v[23:24], v22, v[10:11]
; %bb.1228:                             ;   in Loop: Header=BB391_927 Depth=1
	s_or_b32 exec_lo, exec_lo, s18
	v_lshlrev_b32_e32 v22, 20, v23
	v_lshlrev_b32_e32 v23, 24, v10
	v_lshl_add_u32 v16, v16, 23, 0x3c000000
	v_and_b32_e32 v22, 0x700000, v22
	v_and_b32_e32 v23, 0x80000000, v23
	v_or3_b32 v16, v22, v23, v16
.LBB391_1229:                           ;   in Loop: Header=BB391_927 Depth=1
	s_or_b32 exec_lo, exec_lo, s15
.LBB391_1230:                           ;   in Loop: Header=BB391_927 Depth=1
	s_or_b32 exec_lo, exec_lo, s13
.LBB391_1231:                           ;   in Loop: Header=BB391_927 Depth=1
	s_or_b32 exec_lo, exec_lo, s12
	v_cmp_ne_u16_sdwa s4, v10, v11 src0_sel:BYTE_1 src1_sel:DWORD
	s_and_saveexec_b32 s12, s4
	s_cbranch_execz .LBB391_1239
; %bb.1232:                             ;   in Loop: Header=BB391_927 Depth=1
	v_cmp_ne_u16_sdwa s4, v10, v66 src0_sel:BYTE_1 src1_sel:DWORD
	v_bfrev_b32_e32 v21, 1
	s_and_saveexec_b32 s13, s4
	s_cbranch_execz .LBB391_1238
; %bb.1233:                             ;   in Loop: Header=BB391_927 Depth=1
	v_mov_b32_e32 v21, 0xffff
	s_mov_b32 s15, exec_lo
	v_and_b32_sdwa v23, v21, v10 dst_sel:DWORD dst_unused:UNUSED_PAD src0_sel:DWORD src1_sel:BYTE_1
	v_mov_b32_e32 v21, 0x7f800001
	v_and_b32_e32 v22, 0x7f, v23
	v_cmpx_ne_u32_e32 0x7f, v22
	s_cbranch_execz .LBB391_1237
; %bb.1234:                             ;   in Loop: Header=BB391_927 Depth=1
	v_and_b32_e32 v23, 7, v23
	v_mov_b32_e32 v24, v11
	v_lshrrev_b32_e32 v21, 3, v22
	s_mov_b32 s18, exec_lo
	v_cmpx_gt_u32_e32 8, v22
; %bb.1235:                             ;   in Loop: Header=BB391_927 Depth=1
	v_ffbh_u32_e32 v21, v23
	v_min_u32_e32 v21, 32, v21
	v_subrev_nc_u32_e32 v22, 28, v21
	v_sub_nc_u32_e32 v21, 29, v21
	v_lshlrev_b64 v[22:23], v22, v[23:24]
	v_and_b32_e32 v23, 7, v22
; %bb.1236:                             ;   in Loop: Header=BB391_927 Depth=1
	s_or_b32 exec_lo, exec_lo, s18
	v_lshlrev_b32_e32 v10, 16, v10
	v_lshlrev_b32_e32 v22, 20, v23
	v_lshl_add_u32 v21, v21, 23, 0x3c000000
	v_and_b32_e32 v10, 0x80000000, v10
	v_or3_b32 v21, v22, v10, v21
.LBB391_1237:                           ;   in Loop: Header=BB391_927 Depth=1
	s_or_b32 exec_lo, exec_lo, s15
.LBB391_1238:                           ;   in Loop: Header=BB391_927 Depth=1
	s_or_b32 exec_lo, exec_lo, s13
.LBB391_1239:                           ;   in Loop: Header=BB391_927 Depth=1
	s_or_b32 exec_lo, exec_lo, s12
	v_and_b32_sdwa v10, v20, v68 dst_sel:DWORD dst_unused:UNUSED_PAD src0_sel:WORD_1 src1_sel:DWORD
	v_mov_b32_e32 v22, 0
	v_mov_b32_e32 v25, 0
	s_mov_b32 s12, exec_lo
	v_cmpx_ne_u16_e32 0, v10
	s_cbranch_execz .LBB391_1247
; %bb.1240:                             ;   in Loop: Header=BB391_927 Depth=1
	v_bfrev_b32_e32 v25, 1
	s_mov_b32 s13, exec_lo
	v_cmpx_ne_u16_e32 0x80, v10
	s_cbranch_execz .LBB391_1246
; %bb.1241:                             ;   in Loop: Header=BB391_927 Depth=1
	v_bfe_u32 v23, v20, 16, 7
	v_mov_b32_e32 v25, 0x7f800001
	s_mov_b32 s15, exec_lo
	v_cmpx_ne_u32_e32 0x7f, v23
	s_cbranch_execz .LBB391_1245
; %bb.1242:                             ;   in Loop: Header=BB391_927 Depth=1
	v_mov_b32_e32 v10, 7
	v_lshrrev_b32_e32 v25, 3, v23
	v_cmp_gt_u32_e64 s4, 8, v23
	v_and_b32_sdwa v10, v20, v10 dst_sel:DWORD dst_unused:UNUSED_PAD src0_sel:WORD_1 src1_sel:DWORD
	v_mov_b32_e32 v24, v11
	v_mov_b32_e32 v23, v10
	s_and_saveexec_b32 s18, s4
; %bb.1243:                             ;   in Loop: Header=BB391_927 Depth=1
	v_ffbh_u32_e32 v23, v10
	v_min_u32_e32 v25, 32, v23
	v_subrev_nc_u32_e32 v23, 28, v25
	v_sub_nc_u32_e32 v25, 29, v25
	v_lshlrev_b64 v[23:24], v23, v[10:11]
	v_and_b32_e32 v23, 7, v23
; %bb.1244:                             ;   in Loop: Header=BB391_927 Depth=1
	s_or_b32 exec_lo, exec_lo, s18
	v_mov_b32_e32 v10, 24
	v_lshlrev_b32_e32 v23, 20, v23
	v_lshl_add_u32 v24, v25, 23, 0x3c000000
	v_lshlrev_b32_sdwa v10, v10, v20 dst_sel:DWORD dst_unused:UNUSED_PAD src0_sel:DWORD src1_sel:WORD_1
	v_and_b32_e32 v10, 0x80000000, v10
	v_or3_b32 v25, v23, v10, v24
.LBB391_1245:                           ;   in Loop: Header=BB391_927 Depth=1
	s_or_b32 exec_lo, exec_lo, s15
.LBB391_1246:                           ;   in Loop: Header=BB391_927 Depth=1
	s_or_b32 exec_lo, exec_lo, s13
.LBB391_1247:                           ;   in Loop: Header=BB391_927 Depth=1
	s_or_b32 exec_lo, exec_lo, s12
	s_mov_b32 s12, exec_lo
	v_cmpx_lt_u64_e64 s[8:9], v[19:20]
	s_cbranch_execz .LBB391_1255
; %bb.1248:                             ;   in Loop: Header=BB391_927 Depth=1
	v_cmp_ne_u32_sdwa s4, v20, v66 src0_sel:BYTE_3 src1_sel:DWORD
	v_bfrev_b32_e32 v22, 1
	s_and_saveexec_b32 s13, s4
	s_cbranch_execz .LBB391_1254
; %bb.1249:                             ;   in Loop: Header=BB391_927 Depth=1
	v_bfe_u32 v23, v20, 24, 7
	v_mov_b32_e32 v22, 0x7f800001
	s_mov_b32 s15, exec_lo
	v_cmpx_ne_u32_e32 0x7f, v23
	s_cbranch_execz .LBB391_1253
; %bb.1250:                             ;   in Loop: Header=BB391_927 Depth=1
	v_mov_b32_e32 v10, 7
	v_lshrrev_b32_e32 v19, 3, v23
	v_cmp_gt_u32_e64 s4, 8, v23
	v_and_b32_sdwa v10, v20, v10 dst_sel:DWORD dst_unused:UNUSED_PAD src0_sel:BYTE_3 src1_sel:DWORD
	v_mov_b32_e32 v24, v11
	v_mov_b32_e32 v23, v10
	s_and_saveexec_b32 s18, s4
; %bb.1251:                             ;   in Loop: Header=BB391_927 Depth=1
	v_ffbh_u32_e32 v19, v10
	v_min_u32_e32 v19, 32, v19
	v_subrev_nc_u32_e32 v22, 28, v19
	v_sub_nc_u32_e32 v19, 29, v19
	v_lshlrev_b64 v[22:23], v22, v[10:11]
	v_and_b32_e32 v23, 7, v22
; %bb.1252:                             ;   in Loop: Header=BB391_927 Depth=1
	s_or_b32 exec_lo, exec_lo, s18
	v_mov_b32_e32 v10, 24
	v_lshl_add_u32 v19, v19, 23, 0x3c000000
	v_lshlrev_b32_sdwa v10, v10, v20 dst_sel:DWORD dst_unused:UNUSED_PAD src0_sel:DWORD src1_sel:BYTE_3
	v_lshlrev_b32_e32 v20, 20, v23
	v_and_b32_e32 v10, 0x80000000, v10
	v_or3_b32 v22, v20, v10, v19
.LBB391_1253:                           ;   in Loop: Header=BB391_927 Depth=1
	s_or_b32 exec_lo, exec_lo, s15
.LBB391_1254:                           ;   in Loop: Header=BB391_927 Depth=1
	s_or_b32 exec_lo, exec_lo, s13
.LBB391_1255:                           ;   in Loop: Header=BB391_927 Depth=1
	s_or_b32 exec_lo, exec_lo, s12
	v_mul_f32_e32 v10, v26, v21
	v_mul_f32_e32 v16, v26, v16
	;; [unrolled: 1-line block ×5, first 2 shown]
	v_bfe_u32 v19, v10, 16, 1
	v_or_b32_e32 v20, 0x400000, v10
	v_bfe_u32 v21, v16, 16, 1
	v_cmp_u_f32_e64 s4, v10, v10
	v_or_b32_e32 v23, 0x400000, v16
	v_add3_u32 v19, v19, v10, 0x7fff
	v_bfe_u32 v24, v13, 16, 1
	v_add3_u32 v21, v21, v16, 0x7fff
	v_or_b32_e32 v27, 0x400000, v13
	v_bfe_u32 v28, v12, 16, 1
	v_cndmask_b32_e64 v10, v19, v20, s4
	v_cmp_u_f32_e64 s4, v16, v16
	v_add3_u32 v24, v24, v13, 0x7fff
	v_or_b32_e32 v19, 0x400000, v12
	v_mul_f32_e32 v4, v26, v4
	v_lshrrev_b32_e32 v63, 16, v10
	v_cndmask_b32_e64 v16, v21, v23, s4
	v_cmp_u_f32_e64 s4, v13, v13
	v_add3_u32 v10, v28, v12, 0x7fff
	v_bfe_u32 v20, v4, 16, 1
	v_lshrrev_b32_e32 v62, 16, v16
	v_cndmask_b32_e64 v13, v24, v27, s4
	v_cmp_u_f32_e64 s4, v12, v12
	v_mul_f32_e32 v12, v26, v25
	v_or_b32_e32 v16, 0x400000, v5
	v_lshrrev_b32_e32 v74, 16, v13
	v_bfe_u32 v13, v5, 16, 1
	v_cndmask_b32_e64 v10, v10, v19, s4
	v_cmp_u_f32_e64 s4, v5, v5
	v_mul_f32_e32 v19, v26, v22
	v_bfe_u32 v21, v12, 16, 1
	v_add3_u32 v13, v13, v5, 0x7fff
	v_or_b32_e32 v22, 0x400000, v12
	v_lshrrev_b32_e32 v75, 16, v10
	v_or_b32_e32 v23, 0x400000, v19
	v_add3_u32 v21, v21, v12, 0x7fff
	v_cndmask_b32_e64 v5, v13, v16, s4
	v_add3_u32 v16, v20, v4, 0x7fff
	v_or_b32_e32 v20, 0x400000, v4
	v_cmp_u_f32_e64 s4, v4, v4
	v_bfe_u32 v13, v19, 16, 1
	v_lshrrev_b32_e32 v77, 16, v5
	v_cndmask_b32_e64 v4, v16, v20, s4
	v_cmp_u_f32_e64 s4, v12, v12
	v_add3_u32 v13, v13, v19, 0x7fff
	v_lshrrev_b32_e32 v76, 16, v4
	v_cndmask_b32_e64 v12, v21, v22, s4
	v_cmp_u_f32_e64 s4, v19, v19
	v_lshrrev_b32_e32 v72, 16, v12
	v_cndmask_b32_e64 v13, v13, v23, s4
	v_lshrrev_b32_e32 v73, 16, v13
	s_and_saveexec_b32 s12, vcc_lo
	s_cbranch_execz .LBB391_1257
; %bb.1256:                             ;   in Loop: Header=BB391_927 Depth=1
	v_cmp_lt_i32_e64 s4, v119, v35
	v_cndmask_b32_e64 v76, 0, v76, s4
	v_cmp_lt_i32_e64 s4, v57, v35
	v_cndmask_b32_e64 v77, 0, v77, s4
	v_cmp_lt_i32_e64 s4, v56, v35
	v_cndmask_b32_e64 v75, 0, v75, s4
	v_cmp_lt_i32_e64 s4, v46, v35
	v_cndmask_b32_e64 v74, 0, v74, s4
	v_cmp_lt_i32_e64 s4, v44, v35
	v_cndmask_b32_e64 v62, 0, v62, s4
	v_cmp_lt_i32_e64 s4, v43, v35
	v_cndmask_b32_e64 v63, 0, v63, s4
	v_cmp_lt_i32_e64 s4, v42, v35
	v_cndmask_b32_e64 v72, 0, v72, s4
	v_cmp_lt_i32_e64 s4, v64, v35
	v_cndmask_b32_e64 v73, 0, v73, s4
.LBB391_1257:                           ;   in Loop: Header=BB391_927 Depth=1
	s_or_b32 exec_lo, exec_lo, s12
	flat_load_dwordx2 v[19:20], v[17:18] offset:1280
	v_mov_b32_e32 v5, 0
	v_mov_b32_e32 v4, 0
	s_waitcnt vmcnt(0) lgkmcnt(0)
	v_cmp_ne_u16_sdwa s4, v19, v11 src0_sel:BYTE_0 src1_sel:DWORD
	s_and_saveexec_b32 s12, s4
	s_cbranch_execz .LBB391_1265
; %bb.1258:                             ;   in Loop: Header=BB391_927 Depth=1
	v_cmp_ne_u16_sdwa s4, v19, v66 src0_sel:BYTE_0 src1_sel:DWORD
	v_bfrev_b32_e32 v4, 1
	s_and_saveexec_b32 s13, s4
	s_cbranch_execz .LBB391_1264
; %bb.1259:                             ;   in Loop: Header=BB391_927 Depth=1
	v_and_b32_e32 v10, 0x7f, v19
	v_mov_b32_e32 v4, 0x7f800001
	s_mov_b32 s15, exec_lo
	v_cmpx_ne_u32_e32 0x7f, v10
	s_cbranch_execz .LBB391_1263
; %bb.1260:                             ;   in Loop: Header=BB391_927 Depth=1
	v_mov_b32_e32 v24, v20
	v_lshrrev_b32_e32 v4, 3, v10
	v_mov_b32_e32 v23, v19
	s_mov_b32 s18, exec_lo
	v_cmpx_gt_u32_e32 8, v10
; %bb.1261:                             ;   in Loop: Header=BB391_927 Depth=1
	v_and_b32_e32 v4, 7, v19
	v_ffbh_u32_e32 v4, v4
	v_min_u32_e32 v4, 32, v4
	v_subrev_nc_u32_e32 v10, 28, v4
	v_sub_nc_u32_e32 v4, 29, v4
	v_lshlrev_b64 v[23:24], v10, v[19:20]
; %bb.1262:                             ;   in Loop: Header=BB391_927 Depth=1
	s_or_b32 exec_lo, exec_lo, s18
	v_lshlrev_b32_e32 v10, 20, v23
	v_lshlrev_b32_e32 v12, 24, v19
	v_lshl_add_u32 v4, v4, 23, 0x3c000000
	v_and_b32_e32 v10, 0x700000, v10
	v_and_b32_e32 v12, 0x80000000, v12
	v_or3_b32 v4, v10, v12, v4
.LBB391_1263:                           ;   in Loop: Header=BB391_927 Depth=1
	s_or_b32 exec_lo, exec_lo, s15
.LBB391_1264:                           ;   in Loop: Header=BB391_927 Depth=1
	s_or_b32 exec_lo, exec_lo, s13
.LBB391_1265:                           ;   in Loop: Header=BB391_927 Depth=1
	s_or_b32 exec_lo, exec_lo, s12
	v_cmp_ne_u16_sdwa s4, v19, v11 src0_sel:BYTE_1 src1_sel:DWORD
	s_and_saveexec_b32 s12, s4
	s_cbranch_execz .LBB391_1273
; %bb.1266:                             ;   in Loop: Header=BB391_927 Depth=1
	v_cmp_ne_u16_sdwa s4, v19, v66 src0_sel:BYTE_1 src1_sel:DWORD
	v_bfrev_b32_e32 v5, 1
	s_and_saveexec_b32 s13, s4
	s_cbranch_execz .LBB391_1272
; %bb.1267:                             ;   in Loop: Header=BB391_927 Depth=1
	v_mov_b32_e32 v5, 0xffff
	s_mov_b32 s15, exec_lo
	v_and_b32_sdwa v10, v5, v19 dst_sel:DWORD dst_unused:UNUSED_PAD src0_sel:DWORD src1_sel:BYTE_1
	v_mov_b32_e32 v5, 0x7f800001
	v_and_b32_e32 v12, 0x7f, v10
	v_cmpx_ne_u32_e32 0x7f, v12
	s_cbranch_execz .LBB391_1271
; %bb.1268:                             ;   in Loop: Header=BB391_927 Depth=1
	v_and_b32_e32 v10, 7, v10
	v_mov_b32_e32 v24, v11
	v_lshrrev_b32_e32 v5, 3, v12
	s_mov_b32 s18, exec_lo
	v_mov_b32_e32 v23, v10
	v_cmpx_gt_u32_e32 8, v12
; %bb.1269:                             ;   in Loop: Header=BB391_927 Depth=1
	v_ffbh_u32_e32 v5, v10
	v_min_u32_e32 v5, 32, v5
	v_subrev_nc_u32_e32 v12, 28, v5
	v_sub_nc_u32_e32 v5, 29, v5
	v_lshlrev_b64 v[12:13], v12, v[10:11]
	v_and_b32_e32 v23, 7, v12
; %bb.1270:                             ;   in Loop: Header=BB391_927 Depth=1
	s_or_b32 exec_lo, exec_lo, s18
	v_lshlrev_b32_e32 v10, 16, v19
	v_lshlrev_b32_e32 v12, 20, v23
	v_lshl_add_u32 v5, v5, 23, 0x3c000000
	v_and_b32_e32 v10, 0x80000000, v10
	v_or3_b32 v5, v12, v10, v5
.LBB391_1271:                           ;   in Loop: Header=BB391_927 Depth=1
	s_or_b32 exec_lo, exec_lo, s15
.LBB391_1272:                           ;   in Loop: Header=BB391_927 Depth=1
	s_or_b32 exec_lo, exec_lo, s13
.LBB391_1273:                           ;   in Loop: Header=BB391_927 Depth=1
	s_or_b32 exec_lo, exec_lo, s12
	v_and_b32_sdwa v10, v19, v68 dst_sel:DWORD dst_unused:UNUSED_PAD src0_sel:WORD_1 src1_sel:DWORD
	v_mov_b32_e32 v13, 0
	v_mov_b32_e32 v12, 0
	s_mov_b32 s12, exec_lo
	v_cmpx_ne_u16_e32 0, v10
	s_cbranch_execz .LBB391_1281
; %bb.1274:                             ;   in Loop: Header=BB391_927 Depth=1
	v_bfrev_b32_e32 v12, 1
	s_mov_b32 s13, exec_lo
	v_cmpx_ne_u16_e32 0x80, v10
	s_cbranch_execz .LBB391_1280
; %bb.1275:                             ;   in Loop: Header=BB391_927 Depth=1
	v_bfe_u32 v16, v19, 16, 7
	v_mov_b32_e32 v12, 0x7f800001
	s_mov_b32 s15, exec_lo
	v_cmpx_ne_u32_e32 0x7f, v16
	s_cbranch_execz .LBB391_1279
; %bb.1276:                             ;   in Loop: Header=BB391_927 Depth=1
	v_mov_b32_e32 v10, 7
	v_lshrrev_b32_e32 v12, 3, v16
	s_mov_b32 s18, exec_lo
	v_and_b32_sdwa v10, v19, v10 dst_sel:DWORD dst_unused:UNUSED_PAD src0_sel:WORD_1 src1_sel:DWORD
	v_mov_b32_e32 v24, v11
	v_mov_b32_e32 v23, v10
	v_cmpx_gt_u32_e32 8, v16
; %bb.1277:                             ;   in Loop: Header=BB391_927 Depth=1
	v_ffbh_u32_e32 v12, v10
	v_min_u32_e32 v12, 32, v12
	v_subrev_nc_u32_e32 v16, 28, v12
	v_sub_nc_u32_e32 v12, 29, v12
	v_lshlrev_b64 v[21:22], v16, v[10:11]
	v_and_b32_e32 v23, 7, v21
; %bb.1278:                             ;   in Loop: Header=BB391_927 Depth=1
	s_or_b32 exec_lo, exec_lo, s18
	v_mov_b32_e32 v10, 24
	v_lshlrev_b32_e32 v16, 20, v23
	v_lshl_add_u32 v12, v12, 23, 0x3c000000
	v_lshlrev_b32_sdwa v10, v10, v19 dst_sel:DWORD dst_unused:UNUSED_PAD src0_sel:DWORD src1_sel:WORD_1
	v_and_b32_e32 v10, 0x80000000, v10
	v_or3_b32 v12, v16, v10, v12
.LBB391_1279:                           ;   in Loop: Header=BB391_927 Depth=1
	s_or_b32 exec_lo, exec_lo, s15
.LBB391_1280:                           ;   in Loop: Header=BB391_927 Depth=1
	s_or_b32 exec_lo, exec_lo, s13
.LBB391_1281:                           ;   in Loop: Header=BB391_927 Depth=1
	s_or_b32 exec_lo, exec_lo, s12
	s_mov_b32 s12, exec_lo
	v_cmpx_lt_u32_e32 0xffffff, v19
	s_cbranch_execz .LBB391_1289
; %bb.1282:                             ;   in Loop: Header=BB391_927 Depth=1
	v_cmp_ne_u32_sdwa s4, v19, v66 src0_sel:BYTE_3 src1_sel:DWORD
	v_bfrev_b32_e32 v13, 1
	s_and_saveexec_b32 s13, s4
	s_cbranch_execz .LBB391_1288
; %bb.1283:                             ;   in Loop: Header=BB391_927 Depth=1
	v_bfe_u32 v16, v19, 24, 7
	v_mov_b32_e32 v13, 0x7f800001
	s_mov_b32 s15, exec_lo
	v_cmpx_ne_u32_e32 0x7f, v16
	s_cbranch_execz .LBB391_1287
; %bb.1284:                             ;   in Loop: Header=BB391_927 Depth=1
	v_mov_b32_e32 v10, 7
	v_lshrrev_b32_e32 v13, 3, v16
	s_mov_b32 s18, exec_lo
	v_and_b32_sdwa v10, v19, v10 dst_sel:DWORD dst_unused:UNUSED_PAD src0_sel:BYTE_3 src1_sel:DWORD
	v_mov_b32_e32 v24, v11
	v_mov_b32_e32 v23, v10
	v_cmpx_gt_u32_e32 8, v16
; %bb.1285:                             ;   in Loop: Header=BB391_927 Depth=1
	v_ffbh_u32_e32 v13, v10
	v_min_u32_e32 v13, 32, v13
	v_subrev_nc_u32_e32 v16, 28, v13
	v_sub_nc_u32_e32 v13, 29, v13
	v_lshlrev_b64 v[21:22], v16, v[10:11]
	v_and_b32_e32 v23, 7, v21
; %bb.1286:                             ;   in Loop: Header=BB391_927 Depth=1
	s_or_b32 exec_lo, exec_lo, s18
	v_mov_b32_e32 v10, 24
	v_lshlrev_b32_e32 v16, 20, v23
	v_lshl_add_u32 v13, v13, 23, 0x3c000000
	v_lshlrev_b32_sdwa v10, v10, v19 dst_sel:DWORD dst_unused:UNUSED_PAD src0_sel:DWORD src1_sel:BYTE_3
	v_and_b32_e32 v10, 0x80000000, v10
	v_or3_b32 v13, v16, v10, v13
.LBB391_1287:                           ;   in Loop: Header=BB391_927 Depth=1
	s_or_b32 exec_lo, exec_lo, s15
.LBB391_1288:                           ;   in Loop: Header=BB391_927 Depth=1
	s_or_b32 exec_lo, exec_lo, s13
.LBB391_1289:                           ;   in Loop: Header=BB391_927 Depth=1
	s_or_b32 exec_lo, exec_lo, s12
	v_mov_b32_e32 v10, v20
	v_cmp_ne_u16_sdwa s4, v20, v11 src0_sel:BYTE_0 src1_sel:DWORD
	v_mov_b32_e32 v21, 0
	v_mov_b32_e32 v16, 0
	s_and_saveexec_b32 s12, s4
	s_cbranch_execz .LBB391_1297
; %bb.1290:                             ;   in Loop: Header=BB391_927 Depth=1
	v_cmp_ne_u16_sdwa s4, v20, v66 src0_sel:BYTE_0 src1_sel:DWORD
	v_bfrev_b32_e32 v16, 1
	s_and_saveexec_b32 s13, s4
	s_cbranch_execz .LBB391_1296
; %bb.1291:                             ;   in Loop: Header=BB391_927 Depth=1
	v_and_b32_e32 v22, 0x7f, v20
	v_mov_b32_e32 v16, 0x7f800001
	s_mov_b32 s15, exec_lo
	v_cmpx_ne_u32_e32 0x7f, v22
	s_cbranch_execz .LBB391_1295
; %bb.1292:                             ;   in Loop: Header=BB391_927 Depth=1
	v_mov_b32_e32 v24, v11
	v_lshrrev_b32_e32 v16, 3, v22
	v_mov_b32_e32 v23, v10
	s_mov_b32 s18, exec_lo
	v_cmpx_gt_u32_e32 8, v22
; %bb.1293:                             ;   in Loop: Header=BB391_927 Depth=1
	v_and_b32_e32 v16, 7, v20
	v_ffbh_u32_e32 v16, v16
	v_min_u32_e32 v16, 32, v16
	v_subrev_nc_u32_e32 v22, 28, v16
	v_sub_nc_u32_e32 v16, 29, v16
	v_lshlrev_b64 v[23:24], v22, v[10:11]
; %bb.1294:                             ;   in Loop: Header=BB391_927 Depth=1
	s_or_b32 exec_lo, exec_lo, s18
	v_lshlrev_b32_e32 v22, 20, v23
	v_lshlrev_b32_e32 v23, 24, v10
	v_lshl_add_u32 v16, v16, 23, 0x3c000000
	v_and_b32_e32 v22, 0x700000, v22
	v_and_b32_e32 v23, 0x80000000, v23
	v_or3_b32 v16, v22, v23, v16
.LBB391_1295:                           ;   in Loop: Header=BB391_927 Depth=1
	s_or_b32 exec_lo, exec_lo, s15
.LBB391_1296:                           ;   in Loop: Header=BB391_927 Depth=1
	s_or_b32 exec_lo, exec_lo, s13
.LBB391_1297:                           ;   in Loop: Header=BB391_927 Depth=1
	s_or_b32 exec_lo, exec_lo, s12
	v_cmp_ne_u16_sdwa s4, v10, v11 src0_sel:BYTE_1 src1_sel:DWORD
	s_and_saveexec_b32 s12, s4
	s_cbranch_execz .LBB391_1305
; %bb.1298:                             ;   in Loop: Header=BB391_927 Depth=1
	v_cmp_ne_u16_sdwa s4, v10, v66 src0_sel:BYTE_1 src1_sel:DWORD
	v_bfrev_b32_e32 v21, 1
	s_and_saveexec_b32 s13, s4
	s_cbranch_execz .LBB391_1304
; %bb.1299:                             ;   in Loop: Header=BB391_927 Depth=1
	v_mov_b32_e32 v21, 0xffff
	s_mov_b32 s15, exec_lo
	v_and_b32_sdwa v23, v21, v10 dst_sel:DWORD dst_unused:UNUSED_PAD src0_sel:DWORD src1_sel:BYTE_1
	v_mov_b32_e32 v21, 0x7f800001
	v_and_b32_e32 v22, 0x7f, v23
	v_cmpx_ne_u32_e32 0x7f, v22
	s_cbranch_execz .LBB391_1303
; %bb.1300:                             ;   in Loop: Header=BB391_927 Depth=1
	v_and_b32_e32 v23, 7, v23
	v_mov_b32_e32 v24, v11
	v_lshrrev_b32_e32 v21, 3, v22
	s_mov_b32 s18, exec_lo
	v_cmpx_gt_u32_e32 8, v22
; %bb.1301:                             ;   in Loop: Header=BB391_927 Depth=1
	v_ffbh_u32_e32 v21, v23
	v_min_u32_e32 v21, 32, v21
	v_subrev_nc_u32_e32 v22, 28, v21
	v_sub_nc_u32_e32 v21, 29, v21
	v_lshlrev_b64 v[22:23], v22, v[23:24]
	v_and_b32_e32 v23, 7, v22
; %bb.1302:                             ;   in Loop: Header=BB391_927 Depth=1
	s_or_b32 exec_lo, exec_lo, s18
	v_lshlrev_b32_e32 v10, 16, v10
	v_lshlrev_b32_e32 v22, 20, v23
	v_lshl_add_u32 v21, v21, 23, 0x3c000000
	v_and_b32_e32 v10, 0x80000000, v10
	v_or3_b32 v21, v22, v10, v21
.LBB391_1303:                           ;   in Loop: Header=BB391_927 Depth=1
	s_or_b32 exec_lo, exec_lo, s15
.LBB391_1304:                           ;   in Loop: Header=BB391_927 Depth=1
	s_or_b32 exec_lo, exec_lo, s13
.LBB391_1305:                           ;   in Loop: Header=BB391_927 Depth=1
	s_or_b32 exec_lo, exec_lo, s12
	v_and_b32_sdwa v10, v20, v68 dst_sel:DWORD dst_unused:UNUSED_PAD src0_sel:WORD_1 src1_sel:DWORD
	v_mov_b32_e32 v25, 0
	v_mov_b32_e32 v27, 0
	s_mov_b32 s12, exec_lo
	v_cmpx_ne_u16_e32 0, v10
	s_cbranch_execz .LBB391_1313
; %bb.1306:                             ;   in Loop: Header=BB391_927 Depth=1
	v_bfrev_b32_e32 v27, 1
	s_mov_b32 s13, exec_lo
	v_cmpx_ne_u16_e32 0x80, v10
	s_cbranch_execz .LBB391_1312
; %bb.1307:                             ;   in Loop: Header=BB391_927 Depth=1
	v_bfe_u32 v23, v20, 16, 7
	v_mov_b32_e32 v27, 0x7f800001
	s_mov_b32 s15, exec_lo
	v_cmpx_ne_u32_e32 0x7f, v23
	s_cbranch_execz .LBB391_1311
; %bb.1308:                             ;   in Loop: Header=BB391_927 Depth=1
	v_mov_b32_e32 v10, 7
	v_lshrrev_b32_e32 v22, 3, v23
	v_cmp_gt_u32_e64 s4, 8, v23
	v_and_b32_sdwa v10, v20, v10 dst_sel:DWORD dst_unused:UNUSED_PAD src0_sel:WORD_1 src1_sel:DWORD
	v_mov_b32_e32 v24, v11
	v_mov_b32_e32 v23, v10
	s_and_saveexec_b32 s18, s4
; %bb.1309:                             ;   in Loop: Header=BB391_927 Depth=1
	v_ffbh_u32_e32 v22, v10
	v_min_u32_e32 v22, 32, v22
	v_subrev_nc_u32_e32 v23, 28, v22
	v_sub_nc_u32_e32 v22, 29, v22
	v_lshlrev_b64 v[23:24], v23, v[10:11]
	v_and_b32_e32 v23, 7, v23
; %bb.1310:                             ;   in Loop: Header=BB391_927 Depth=1
	s_or_b32 exec_lo, exec_lo, s18
	v_mov_b32_e32 v10, 24
	v_lshlrev_b32_e32 v23, 20, v23
	v_lshl_add_u32 v22, v22, 23, 0x3c000000
	v_lshlrev_b32_sdwa v10, v10, v20 dst_sel:DWORD dst_unused:UNUSED_PAD src0_sel:DWORD src1_sel:WORD_1
	v_and_b32_e32 v10, 0x80000000, v10
	v_or3_b32 v27, v23, v10, v22
.LBB391_1311:                           ;   in Loop: Header=BB391_927 Depth=1
	s_or_b32 exec_lo, exec_lo, s15
.LBB391_1312:                           ;   in Loop: Header=BB391_927 Depth=1
	s_or_b32 exec_lo, exec_lo, s13
.LBB391_1313:                           ;   in Loop: Header=BB391_927 Depth=1
	s_or_b32 exec_lo, exec_lo, s12
	s_mov_b32 s12, exec_lo
	v_cmpx_lt_u64_e64 s[8:9], v[19:20]
	s_cbranch_execz .LBB391_1321
; %bb.1314:                             ;   in Loop: Header=BB391_927 Depth=1
	v_cmp_ne_u32_sdwa s4, v20, v66 src0_sel:BYTE_3 src1_sel:DWORD
	v_bfrev_b32_e32 v25, 1
	s_and_saveexec_b32 s13, s4
	s_cbranch_execz .LBB391_1320
; %bb.1315:                             ;   in Loop: Header=BB391_927 Depth=1
	v_bfe_u32 v22, v20, 24, 7
	v_mov_b32_e32 v25, 0x7f800001
	s_mov_b32 s15, exec_lo
	v_cmpx_ne_u32_e32 0x7f, v22
	s_cbranch_execz .LBB391_1319
; %bb.1316:                             ;   in Loop: Header=BB391_927 Depth=1
	v_mov_b32_e32 v10, 7
	v_lshrrev_b32_e32 v19, 3, v22
	s_mov_b32 s18, exec_lo
	v_and_b32_sdwa v10, v20, v10 dst_sel:DWORD dst_unused:UNUSED_PAD src0_sel:BYTE_3 src1_sel:DWORD
	v_mov_b32_e32 v24, v11
	v_mov_b32_e32 v23, v10
	v_cmpx_gt_u32_e32 8, v22
; %bb.1317:                             ;   in Loop: Header=BB391_927 Depth=1
	v_ffbh_u32_e32 v19, v10
	v_min_u32_e32 v19, 32, v19
	v_subrev_nc_u32_e32 v22, 28, v19
	v_sub_nc_u32_e32 v19, 29, v19
	v_lshlrev_b64 v[22:23], v22, v[10:11]
	v_and_b32_e32 v23, 7, v22
; %bb.1318:                             ;   in Loop: Header=BB391_927 Depth=1
	s_or_b32 exec_lo, exec_lo, s18
	v_mov_b32_e32 v10, 24
	v_lshl_add_u32 v19, v19, 23, 0x3c000000
	v_lshlrev_b32_sdwa v10, v10, v20 dst_sel:DWORD dst_unused:UNUSED_PAD src0_sel:DWORD src1_sel:BYTE_3
	v_lshlrev_b32_e32 v20, 20, v23
	v_and_b32_e32 v10, 0x80000000, v10
	v_or3_b32 v25, v20, v10, v19
.LBB391_1319:                           ;   in Loop: Header=BB391_927 Depth=1
	s_or_b32 exec_lo, exec_lo, s15
.LBB391_1320:                           ;   in Loop: Header=BB391_927 Depth=1
	s_or_b32 exec_lo, exec_lo, s13
.LBB391_1321:                           ;   in Loop: Header=BB391_927 Depth=1
	s_or_b32 exec_lo, exec_lo, s12
	v_mul_f32_e32 v10, v26, v21
	v_mul_f32_e32 v16, v26, v16
	;; [unrolled: 1-line block ×5, first 2 shown]
	v_bfe_u32 v19, v10, 16, 1
	v_or_b32_e32 v20, 0x400000, v10
	v_bfe_u32 v21, v16, 16, 1
	v_cmp_u_f32_e64 s4, v10, v10
	v_or_b32_e32 v22, 0x400000, v16
	v_add3_u32 v19, v19, v10, 0x7fff
	v_bfe_u32 v23, v13, 16, 1
	v_add3_u32 v21, v21, v16, 0x7fff
	v_or_b32_e32 v24, 0x400000, v13
	v_bfe_u32 v28, v12, 16, 1
	v_cndmask_b32_e64 v10, v19, v20, s4
	v_cmp_u_f32_e64 s4, v16, v16
	v_add3_u32 v23, v23, v13, 0x7fff
	v_or_b32_e32 v20, 0x400000, v12
	v_add3_u32 v19, v28, v12, 0x7fff
	v_cndmask_b32_e64 v16, v21, v22, s4
	v_cmp_u_f32_e64 s4, v13, v13
	v_lshrrev_b32_e32 v22, 16, v10
	v_mul_f32_e32 v10, v26, v5
	v_bfe_u32 v21, v4, 16, 1
	v_lshrrev_b32_e32 v5, 16, v16
	v_cndmask_b32_e64 v13, v23, v24, s4
	v_cmp_u_f32_e64 s4, v12, v12
	v_mul_f32_e32 v16, v26, v27
	v_lshrrev_b32_e32 v36, 16, v13
	v_bfe_u32 v13, v10, 16, 1
	v_cndmask_b32_e64 v12, v19, v20, s4
	v_or_b32_e32 v19, 0x400000, v10
	v_cmp_u_f32_e64 s4, v10, v10
	v_mul_f32_e32 v20, v26, v25
	v_add3_u32 v13, v13, v10, 0x7fff
	v_bfe_u32 v23, v16, 16, 1
	v_or_b32_e32 v24, 0x400000, v16
	v_lshrrev_b32_e32 v37, 16, v12
	v_or_b32_e32 v25, 0x400000, v20
	v_cndmask_b32_e64 v10, v13, v19, s4
	v_add3_u32 v19, v21, v4, 0x7fff
	v_or_b32_e32 v21, 0x400000, v4
	v_cmp_u_f32_e64 s4, v4, v4
	v_bfe_u32 v13, v20, 16, 1
	v_add3_u32 v23, v23, v16, 0x7fff
	v_lshrrev_b32_e32 v78, 16, v10
	v_cndmask_b32_e64 v4, v19, v21, s4
	v_cmp_u_f32_e64 s4, v16, v16
	v_add3_u32 v13, v13, v20, 0x7fff
	v_lshrrev_b32_e32 v38, 16, v4
	v_cndmask_b32_e64 v16, v23, v24, s4
	v_cmp_u_f32_e64 s4, v20, v20
	v_lshrrev_b32_e32 v27, 16, v16
	v_cndmask_b32_e64 v13, v13, v25, s4
	v_lshrrev_b32_e32 v34, 16, v13
	s_and_saveexec_b32 s12, vcc_lo
	s_cbranch_execz .LBB391_1323
; %bb.1322:                             ;   in Loop: Header=BB391_927 Depth=1
	v_cmp_lt_i32_e64 s4, v119, v35
	v_cndmask_b32_e64 v38, 0, v38, s4
	v_cmp_lt_i32_e64 s4, v57, v35
	v_cndmask_b32_e64 v78, 0, v78, s4
	;; [unrolled: 2-line block ×8, first 2 shown]
.LBB391_1323:                           ;   in Loop: Header=BB391_927 Depth=1
	s_or_b32 exec_lo, exec_lo, s12
	flat_load_dwordx2 v[19:20], v[17:18] offset:1536
	v_mov_b32_e32 v12, 0
	v_mov_b32_e32 v4, 0
	s_waitcnt vmcnt(0) lgkmcnt(0)
	v_cmp_ne_u16_sdwa s4, v19, v11 src0_sel:BYTE_0 src1_sel:DWORD
	s_and_saveexec_b32 s12, s4
	s_cbranch_execz .LBB391_1331
; %bb.1324:                             ;   in Loop: Header=BB391_927 Depth=1
	v_cmp_ne_u16_sdwa s4, v19, v66 src0_sel:BYTE_0 src1_sel:DWORD
	v_bfrev_b32_e32 v4, 1
	s_and_saveexec_b32 s13, s4
	s_cbranch_execz .LBB391_1330
; %bb.1325:                             ;   in Loop: Header=BB391_927 Depth=1
	v_and_b32_e32 v10, 0x7f, v19
	v_mov_b32_e32 v4, 0x7f800001
	s_mov_b32 s15, exec_lo
	v_cmpx_ne_u32_e32 0x7f, v10
	s_cbranch_execz .LBB391_1329
; %bb.1326:                             ;   in Loop: Header=BB391_927 Depth=1
	v_mov_b32_e32 v24, v20
	v_lshrrev_b32_e32 v4, 3, v10
	v_mov_b32_e32 v23, v19
	s_mov_b32 s18, exec_lo
	v_cmpx_gt_u32_e32 8, v10
; %bb.1327:                             ;   in Loop: Header=BB391_927 Depth=1
	v_and_b32_e32 v4, 7, v19
	v_ffbh_u32_e32 v4, v4
	v_min_u32_e32 v4, 32, v4
	v_subrev_nc_u32_e32 v10, 28, v4
	v_sub_nc_u32_e32 v4, 29, v4
	v_lshlrev_b64 v[23:24], v10, v[19:20]
; %bb.1328:                             ;   in Loop: Header=BB391_927 Depth=1
	s_or_b32 exec_lo, exec_lo, s18
	v_lshlrev_b32_e32 v10, 20, v23
	v_lshlrev_b32_e32 v13, 24, v19
	v_lshl_add_u32 v4, v4, 23, 0x3c000000
	v_and_b32_e32 v10, 0x700000, v10
	v_and_b32_e32 v13, 0x80000000, v13
	v_or3_b32 v4, v10, v13, v4
.LBB391_1329:                           ;   in Loop: Header=BB391_927 Depth=1
	s_or_b32 exec_lo, exec_lo, s15
.LBB391_1330:                           ;   in Loop: Header=BB391_927 Depth=1
	s_or_b32 exec_lo, exec_lo, s13
.LBB391_1331:                           ;   in Loop: Header=BB391_927 Depth=1
	s_or_b32 exec_lo, exec_lo, s12
	v_cmp_ne_u16_sdwa s4, v19, v11 src0_sel:BYTE_1 src1_sel:DWORD
	s_and_saveexec_b32 s12, s4
	s_cbranch_execz .LBB391_1339
; %bb.1332:                             ;   in Loop: Header=BB391_927 Depth=1
	v_cmp_ne_u16_sdwa s4, v19, v66 src0_sel:BYTE_1 src1_sel:DWORD
	v_bfrev_b32_e32 v12, 1
	s_and_saveexec_b32 s13, s4
	s_cbranch_execz .LBB391_1338
; %bb.1333:                             ;   in Loop: Header=BB391_927 Depth=1
	v_mov_b32_e32 v10, 0xffff
	v_mov_b32_e32 v12, 0x7f800001
	s_mov_b32 s15, exec_lo
	v_and_b32_sdwa v10, v10, v19 dst_sel:DWORD dst_unused:UNUSED_PAD src0_sel:DWORD src1_sel:BYTE_1
	v_and_b32_e32 v13, 0x7f, v10
	v_cmpx_ne_u32_e32 0x7f, v13
	s_cbranch_execz .LBB391_1337
; %bb.1334:                             ;   in Loop: Header=BB391_927 Depth=1
	v_and_b32_e32 v10, 7, v10
	v_mov_b32_e32 v24, v11
	v_lshrrev_b32_e32 v12, 3, v13
	s_mov_b32 s18, exec_lo
	v_mov_b32_e32 v23, v10
	v_cmpx_gt_u32_e32 8, v13
; %bb.1335:                             ;   in Loop: Header=BB391_927 Depth=1
	v_ffbh_u32_e32 v12, v10
	v_min_u32_e32 v12, 32, v12
	v_subrev_nc_u32_e32 v13, 28, v12
	v_sub_nc_u32_e32 v12, 29, v12
	v_lshlrev_b64 v[23:24], v13, v[10:11]
	v_and_b32_e32 v23, 7, v23
; %bb.1336:                             ;   in Loop: Header=BB391_927 Depth=1
	s_or_b32 exec_lo, exec_lo, s18
	v_lshlrev_b32_e32 v10, 16, v19
	v_lshlrev_b32_e32 v13, 20, v23
	v_lshl_add_u32 v12, v12, 23, 0x3c000000
	v_and_b32_e32 v10, 0x80000000, v10
	v_or3_b32 v12, v13, v10, v12
.LBB391_1337:                           ;   in Loop: Header=BB391_927 Depth=1
	s_or_b32 exec_lo, exec_lo, s15
.LBB391_1338:                           ;   in Loop: Header=BB391_927 Depth=1
	s_or_b32 exec_lo, exec_lo, s13
.LBB391_1339:                           ;   in Loop: Header=BB391_927 Depth=1
	s_or_b32 exec_lo, exec_lo, s12
	v_and_b32_sdwa v10, v19, v68 dst_sel:DWORD dst_unused:UNUSED_PAD src0_sel:WORD_1 src1_sel:DWORD
	v_mov_b32_e32 v16, 0
	v_mov_b32_e32 v13, 0
	s_mov_b32 s12, exec_lo
	v_cmpx_ne_u16_e32 0, v10
	s_cbranch_execz .LBB391_1347
; %bb.1340:                             ;   in Loop: Header=BB391_927 Depth=1
	v_bfrev_b32_e32 v13, 1
	s_mov_b32 s13, exec_lo
	v_cmpx_ne_u16_e32 0x80, v10
	s_cbranch_execz .LBB391_1346
; %bb.1341:                             ;   in Loop: Header=BB391_927 Depth=1
	v_bfe_u32 v21, v19, 16, 7
	v_mov_b32_e32 v13, 0x7f800001
	s_mov_b32 s15, exec_lo
	v_cmpx_ne_u32_e32 0x7f, v21
	s_cbranch_execz .LBB391_1345
; %bb.1342:                             ;   in Loop: Header=BB391_927 Depth=1
	v_mov_b32_e32 v10, 7
	v_lshrrev_b32_e32 v13, 3, v21
	s_mov_b32 s18, exec_lo
	v_and_b32_sdwa v10, v19, v10 dst_sel:DWORD dst_unused:UNUSED_PAD src0_sel:WORD_1 src1_sel:DWORD
	v_mov_b32_e32 v24, v11
	v_mov_b32_e32 v23, v10
	v_cmpx_gt_u32_e32 8, v21
; %bb.1343:                             ;   in Loop: Header=BB391_927 Depth=1
	v_ffbh_u32_e32 v13, v10
	v_min_u32_e32 v13, 32, v13
	v_subrev_nc_u32_e32 v21, 28, v13
	v_sub_nc_u32_e32 v13, 29, v13
	v_lshlrev_b64 v[23:24], v21, v[10:11]
	v_and_b32_e32 v23, 7, v23
; %bb.1344:                             ;   in Loop: Header=BB391_927 Depth=1
	s_or_b32 exec_lo, exec_lo, s18
	v_mov_b32_e32 v10, 24
	v_lshlrev_b32_e32 v21, 20, v23
	v_lshl_add_u32 v13, v13, 23, 0x3c000000
	v_lshlrev_b32_sdwa v10, v10, v19 dst_sel:DWORD dst_unused:UNUSED_PAD src0_sel:DWORD src1_sel:WORD_1
	v_and_b32_e32 v10, 0x80000000, v10
	v_or3_b32 v13, v21, v10, v13
.LBB391_1345:                           ;   in Loop: Header=BB391_927 Depth=1
	s_or_b32 exec_lo, exec_lo, s15
.LBB391_1346:                           ;   in Loop: Header=BB391_927 Depth=1
	s_or_b32 exec_lo, exec_lo, s13
.LBB391_1347:                           ;   in Loop: Header=BB391_927 Depth=1
	s_or_b32 exec_lo, exec_lo, s12
	s_mov_b32 s12, exec_lo
	v_cmpx_lt_u32_e32 0xffffff, v19
	s_cbranch_execz .LBB391_1355
; %bb.1348:                             ;   in Loop: Header=BB391_927 Depth=1
	v_cmp_ne_u32_sdwa s4, v19, v66 src0_sel:BYTE_3 src1_sel:DWORD
	v_bfrev_b32_e32 v16, 1
	s_and_saveexec_b32 s13, s4
	s_cbranch_execz .LBB391_1354
; %bb.1349:                             ;   in Loop: Header=BB391_927 Depth=1
	v_bfe_u32 v21, v19, 24, 7
	v_mov_b32_e32 v16, 0x7f800001
	s_mov_b32 s15, exec_lo
	v_cmpx_ne_u32_e32 0x7f, v21
	s_cbranch_execz .LBB391_1353
; %bb.1350:                             ;   in Loop: Header=BB391_927 Depth=1
	v_mov_b32_e32 v10, 7
	v_lshrrev_b32_e32 v16, 3, v21
	s_mov_b32 s18, exec_lo
	v_and_b32_sdwa v10, v19, v10 dst_sel:DWORD dst_unused:UNUSED_PAD src0_sel:BYTE_3 src1_sel:DWORD
	v_mov_b32_e32 v24, v11
	v_mov_b32_e32 v23, v10
	v_cmpx_gt_u32_e32 8, v21
; %bb.1351:                             ;   in Loop: Header=BB391_927 Depth=1
	v_ffbh_u32_e32 v16, v10
	v_min_u32_e32 v16, 32, v16
	v_subrev_nc_u32_e32 v21, 28, v16
	v_sub_nc_u32_e32 v16, 29, v16
	v_lshlrev_b64 v[23:24], v21, v[10:11]
	v_and_b32_e32 v23, 7, v23
; %bb.1352:                             ;   in Loop: Header=BB391_927 Depth=1
	s_or_b32 exec_lo, exec_lo, s18
	v_mov_b32_e32 v10, 24
	v_lshlrev_b32_e32 v21, 20, v23
	v_lshl_add_u32 v16, v16, 23, 0x3c000000
	v_lshlrev_b32_sdwa v10, v10, v19 dst_sel:DWORD dst_unused:UNUSED_PAD src0_sel:DWORD src1_sel:BYTE_3
	v_and_b32_e32 v10, 0x80000000, v10
	v_or3_b32 v16, v21, v10, v16
.LBB391_1353:                           ;   in Loop: Header=BB391_927 Depth=1
	s_or_b32 exec_lo, exec_lo, s15
.LBB391_1354:                           ;   in Loop: Header=BB391_927 Depth=1
	s_or_b32 exec_lo, exec_lo, s13
.LBB391_1355:                           ;   in Loop: Header=BB391_927 Depth=1
	s_or_b32 exec_lo, exec_lo, s12
	v_mov_b32_e32 v10, v20
	v_cmp_ne_u16_sdwa s4, v20, v11 src0_sel:BYTE_0 src1_sel:DWORD
	v_mov_b32_e32 v25, 0
	v_mov_b32_e32 v21, 0
	s_and_saveexec_b32 s12, s4
	s_cbranch_execz .LBB391_1363
; %bb.1356:                             ;   in Loop: Header=BB391_927 Depth=1
	v_cmp_ne_u16_sdwa s4, v20, v66 src0_sel:BYTE_0 src1_sel:DWORD
	v_bfrev_b32_e32 v21, 1
	s_and_saveexec_b32 s13, s4
	s_cbranch_execz .LBB391_1362
; %bb.1357:                             ;   in Loop: Header=BB391_927 Depth=1
	v_and_b32_e32 v23, 0x7f, v20
	v_mov_b32_e32 v21, 0x7f800001
	s_mov_b32 s15, exec_lo
	v_cmpx_ne_u32_e32 0x7f, v23
	s_cbranch_execz .LBB391_1361
; %bb.1358:                             ;   in Loop: Header=BB391_927 Depth=1
	v_lshrrev_b32_e32 v21, 3, v23
	v_cmp_gt_u32_e64 s4, 8, v23
	v_mov_b32_e32 v24, v11
	v_mov_b32_e32 v23, v10
	s_and_saveexec_b32 s18, s4
; %bb.1359:                             ;   in Loop: Header=BB391_927 Depth=1
	v_and_b32_e32 v21, 7, v20
	v_ffbh_u32_e32 v21, v21
	v_min_u32_e32 v21, 32, v21
	v_subrev_nc_u32_e32 v23, 28, v21
	v_sub_nc_u32_e32 v21, 29, v21
	v_lshlrev_b64 v[23:24], v23, v[10:11]
; %bb.1360:                             ;   in Loop: Header=BB391_927 Depth=1
	s_or_b32 exec_lo, exec_lo, s18
	v_lshlrev_b32_e32 v23, 20, v23
	v_lshlrev_b32_e32 v24, 24, v10
	v_lshl_add_u32 v21, v21, 23, 0x3c000000
	v_and_b32_e32 v23, 0x700000, v23
	v_and_b32_e32 v24, 0x80000000, v24
	v_or3_b32 v21, v23, v24, v21
.LBB391_1361:                           ;   in Loop: Header=BB391_927 Depth=1
	s_or_b32 exec_lo, exec_lo, s15
.LBB391_1362:                           ;   in Loop: Header=BB391_927 Depth=1
	s_or_b32 exec_lo, exec_lo, s13
.LBB391_1363:                           ;   in Loop: Header=BB391_927 Depth=1
	s_or_b32 exec_lo, exec_lo, s12
	v_cmp_ne_u16_sdwa s4, v10, v11 src0_sel:BYTE_1 src1_sel:DWORD
	s_and_saveexec_b32 s12, s4
	s_cbranch_execz .LBB391_1371
; %bb.1364:                             ;   in Loop: Header=BB391_927 Depth=1
	v_cmp_ne_u16_sdwa s4, v10, v66 src0_sel:BYTE_1 src1_sel:DWORD
	v_bfrev_b32_e32 v25, 1
	s_and_saveexec_b32 s13, s4
	s_cbranch_execz .LBB391_1370
; %bb.1365:                             ;   in Loop: Header=BB391_927 Depth=1
	v_mov_b32_e32 v23, 0xffff
	v_mov_b32_e32 v25, 0x7f800001
	s_mov_b32 s15, exec_lo
	v_and_b32_sdwa v23, v23, v10 dst_sel:DWORD dst_unused:UNUSED_PAD src0_sel:DWORD src1_sel:BYTE_1
	v_and_b32_e32 v28, 0x7f, v23
	v_cmpx_ne_u32_e32 0x7f, v28
	s_cbranch_execz .LBB391_1369
; %bb.1366:                             ;   in Loop: Header=BB391_927 Depth=1
	v_and_b32_e32 v23, 7, v23
	v_mov_b32_e32 v24, v11
	v_lshrrev_b32_e32 v25, 3, v28
	s_mov_b32 s18, exec_lo
	v_cmpx_gt_u32_e32 8, v28
; %bb.1367:                             ;   in Loop: Header=BB391_927 Depth=1
	v_ffbh_u32_e32 v25, v23
	v_min_u32_e32 v25, 32, v25
	v_subrev_nc_u32_e32 v28, 28, v25
	v_sub_nc_u32_e32 v25, 29, v25
	v_lshlrev_b64 v[23:24], v28, v[23:24]
	v_and_b32_e32 v23, 7, v23
; %bb.1368:                             ;   in Loop: Header=BB391_927 Depth=1
	s_or_b32 exec_lo, exec_lo, s18
	v_lshlrev_b32_e32 v10, 16, v10
	v_lshlrev_b32_e32 v23, 20, v23
	v_lshl_add_u32 v24, v25, 23, 0x3c000000
	v_and_b32_e32 v10, 0x80000000, v10
	v_or3_b32 v25, v23, v10, v24
.LBB391_1369:                           ;   in Loop: Header=BB391_927 Depth=1
	s_or_b32 exec_lo, exec_lo, s15
.LBB391_1370:                           ;   in Loop: Header=BB391_927 Depth=1
	s_or_b32 exec_lo, exec_lo, s13
.LBB391_1371:                           ;   in Loop: Header=BB391_927 Depth=1
	s_or_b32 exec_lo, exec_lo, s12
	v_and_b32_sdwa v10, v20, v68 dst_sel:DWORD dst_unused:UNUSED_PAD src0_sel:WORD_1 src1_sel:DWORD
	v_mov_b32_e32 v28, 0
	v_mov_b32_e32 v67, 0
	s_mov_b32 s12, exec_lo
	v_cmpx_ne_u16_e32 0, v10
	s_cbranch_execz .LBB391_1379
; %bb.1372:                             ;   in Loop: Header=BB391_927 Depth=1
	v_bfrev_b32_e32 v67, 1
	s_mov_b32 s13, exec_lo
	v_cmpx_ne_u16_e32 0x80, v10
	s_cbranch_execz .LBB391_1378
; %bb.1373:                             ;   in Loop: Header=BB391_927 Depth=1
	v_bfe_u32 v23, v20, 16, 7
	v_mov_b32_e32 v67, 0x7f800001
	s_mov_b32 s15, exec_lo
	v_cmpx_ne_u32_e32 0x7f, v23
	s_cbranch_execz .LBB391_1377
; %bb.1374:                             ;   in Loop: Header=BB391_927 Depth=1
	v_mov_b32_e32 v10, 7
	v_lshrrev_b32_e32 v67, 3, v23
	v_cmp_gt_u32_e64 s4, 8, v23
	v_and_b32_sdwa v10, v20, v10 dst_sel:DWORD dst_unused:UNUSED_PAD src0_sel:WORD_1 src1_sel:DWORD
	v_mov_b32_e32 v24, v11
	v_mov_b32_e32 v23, v10
	s_and_saveexec_b32 s18, s4
; %bb.1375:                             ;   in Loop: Header=BB391_927 Depth=1
	v_ffbh_u32_e32 v23, v10
	v_min_u32_e32 v67, 32, v23
	v_subrev_nc_u32_e32 v23, 28, v67
	v_sub_nc_u32_e32 v67, 29, v67
	v_lshlrev_b64 v[23:24], v23, v[10:11]
	v_and_b32_e32 v23, 7, v23
; %bb.1376:                             ;   in Loop: Header=BB391_927 Depth=1
	s_or_b32 exec_lo, exec_lo, s18
	v_mov_b32_e32 v10, 24
	v_lshlrev_b32_e32 v23, 20, v23
	v_lshl_add_u32 v24, v67, 23, 0x3c000000
	v_lshlrev_b32_sdwa v10, v10, v20 dst_sel:DWORD dst_unused:UNUSED_PAD src0_sel:DWORD src1_sel:WORD_1
	v_and_b32_e32 v10, 0x80000000, v10
	v_or3_b32 v67, v23, v10, v24
.LBB391_1377:                           ;   in Loop: Header=BB391_927 Depth=1
	s_or_b32 exec_lo, exec_lo, s15
.LBB391_1378:                           ;   in Loop: Header=BB391_927 Depth=1
	s_or_b32 exec_lo, exec_lo, s13
.LBB391_1379:                           ;   in Loop: Header=BB391_927 Depth=1
	s_or_b32 exec_lo, exec_lo, s12
	s_mov_b32 s12, exec_lo
	v_cmpx_lt_u64_e64 s[8:9], v[19:20]
	s_cbranch_execz .LBB391_1387
; %bb.1380:                             ;   in Loop: Header=BB391_927 Depth=1
	v_cmp_ne_u32_sdwa s4, v20, v66 src0_sel:BYTE_3 src1_sel:DWORD
	v_bfrev_b32_e32 v28, 1
	s_and_saveexec_b32 s13, s4
	s_cbranch_execz .LBB391_1386
; %bb.1381:                             ;   in Loop: Header=BB391_927 Depth=1
	v_bfe_u32 v23, v20, 24, 7
	v_mov_b32_e32 v28, 0x7f800001
	s_mov_b32 s15, exec_lo
	v_cmpx_ne_u32_e32 0x7f, v23
	s_cbranch_execz .LBB391_1385
; %bb.1382:                             ;   in Loop: Header=BB391_927 Depth=1
	v_mov_b32_e32 v10, 7
	v_lshrrev_b32_e32 v19, 3, v23
	v_cmp_gt_u32_e64 s4, 8, v23
	v_and_b32_sdwa v10, v20, v10 dst_sel:DWORD dst_unused:UNUSED_PAD src0_sel:BYTE_3 src1_sel:DWORD
	v_mov_b32_e32 v24, v11
	v_mov_b32_e32 v23, v10
	s_and_saveexec_b32 s18, s4
; %bb.1383:                             ;   in Loop: Header=BB391_927 Depth=1
	v_ffbh_u32_e32 v19, v10
	v_min_u32_e32 v19, 32, v19
	v_subrev_nc_u32_e32 v23, 28, v19
	v_sub_nc_u32_e32 v19, 29, v19
	v_lshlrev_b64 v[23:24], v23, v[10:11]
	v_and_b32_e32 v23, 7, v23
; %bb.1384:                             ;   in Loop: Header=BB391_927 Depth=1
	s_or_b32 exec_lo, exec_lo, s18
	v_mov_b32_e32 v10, 24
	v_lshl_add_u32 v19, v19, 23, 0x3c000000
	v_lshlrev_b32_sdwa v10, v10, v20 dst_sel:DWORD dst_unused:UNUSED_PAD src0_sel:DWORD src1_sel:BYTE_3
	v_lshlrev_b32_e32 v20, 20, v23
	v_and_b32_e32 v10, 0x80000000, v10
	v_or3_b32 v28, v20, v10, v19
.LBB391_1385:                           ;   in Loop: Header=BB391_927 Depth=1
	s_or_b32 exec_lo, exec_lo, s15
.LBB391_1386:                           ;   in Loop: Header=BB391_927 Depth=1
	s_or_b32 exec_lo, exec_lo, s13
.LBB391_1387:                           ;   in Loop: Header=BB391_927 Depth=1
	s_or_b32 exec_lo, exec_lo, s12
	v_mul_f32_e32 v10, v26, v25
	v_mul_f32_e32 v19, v26, v21
	;; [unrolled: 1-line block ×5, first 2 shown]
	v_bfe_u32 v20, v10, 16, 1
	v_or_b32_e32 v21, 0x400000, v10
	v_bfe_u32 v23, v19, 16, 1
	v_cmp_u_f32_e64 s4, v10, v10
	v_or_b32_e32 v24, 0x400000, v19
	v_add3_u32 v20, v20, v10, 0x7fff
	v_bfe_u32 v25, v16, 16, 1
	v_add3_u32 v23, v23, v19, 0x7fff
	v_or_b32_e32 v69, 0x400000, v16
	v_bfe_u32 v70, v13, 16, 1
	v_cndmask_b32_e64 v10, v20, v21, s4
	v_cmp_u_f32_e64 s4, v19, v19
	v_add3_u32 v25, v25, v16, 0x7fff
	v_or_b32_e32 v20, 0x400000, v13
	v_bfe_u32 v21, v4, 16, 1
	v_lshrrev_b32_e32 v88, 16, v10
	v_cndmask_b32_e64 v19, v23, v24, s4
	v_cmp_u_f32_e64 s4, v16, v16
	v_mul_f32_e32 v10, v26, v12
	v_add3_u32 v12, v70, v13, 0x7fff
	v_lshrrev_b32_e32 v79, 16, v19
	v_cndmask_b32_e64 v16, v25, v69, s4
	v_cmp_u_f32_e64 s4, v13, v13
	v_mul_f32_e32 v13, v26, v67
	v_or_b32_e32 v19, 0x400000, v10
	v_lshrrev_b32_e32 v91, 16, v16
	v_bfe_u32 v16, v10, 16, 1
	v_cndmask_b32_e64 v12, v12, v20, s4
	v_cmp_u_f32_e64 s4, v10, v10
	v_mul_f32_e32 v20, v26, v28
	v_bfe_u32 v23, v13, 16, 1
	v_add3_u32 v16, v16, v10, 0x7fff
	v_or_b32_e32 v24, 0x400000, v13
	v_lshrrev_b32_e32 v92, 16, v12
	v_or_b32_e32 v25, 0x400000, v20
	v_add3_u32 v23, v23, v13, 0x7fff
	v_cndmask_b32_e64 v10, v16, v19, s4
	v_add3_u32 v19, v21, v4, 0x7fff
	v_or_b32_e32 v21, 0x400000, v4
	v_cmp_u_f32_e64 s4, v4, v4
	v_bfe_u32 v16, v20, 16, 1
	v_lshrrev_b32_e32 v94, 16, v10
	v_cndmask_b32_e64 v4, v19, v21, s4
	v_cmp_u_f32_e64 s4, v13, v13
	v_add3_u32 v16, v16, v20, 0x7fff
	v_lshrrev_b32_e32 v93, 16, v4
	v_cndmask_b32_e64 v13, v23, v24, s4
	v_cmp_u_f32_e64 s4, v20, v20
	v_lshrrev_b32_e32 v89, 16, v13
	v_cndmask_b32_e64 v16, v16, v25, s4
	v_lshrrev_b32_e32 v90, 16, v16
	s_and_saveexec_b32 s12, vcc_lo
	s_cbranch_execz .LBB391_1389
; %bb.1388:                             ;   in Loop: Header=BB391_927 Depth=1
	v_cmp_lt_i32_e64 s4, v119, v35
	v_cndmask_b32_e64 v93, 0, v93, s4
	v_cmp_lt_i32_e64 s4, v57, v35
	v_cndmask_b32_e64 v94, 0, v94, s4
	;; [unrolled: 2-line block ×8, first 2 shown]
.LBB391_1389:                           ;   in Loop: Header=BB391_927 Depth=1
	s_or_b32 exec_lo, exec_lo, s12
	flat_load_dwordx2 v[19:20], v[17:18] offset:1792
	v_mov_b32_e32 v12, 0
	v_mov_b32_e32 v4, 0
	s_waitcnt vmcnt(0) lgkmcnt(0)
	v_cmp_ne_u16_sdwa s4, v19, v11 src0_sel:BYTE_0 src1_sel:DWORD
	s_and_saveexec_b32 s12, s4
	s_cbranch_execz .LBB391_1397
; %bb.1390:                             ;   in Loop: Header=BB391_927 Depth=1
	v_cmp_ne_u16_sdwa s4, v19, v66 src0_sel:BYTE_0 src1_sel:DWORD
	v_bfrev_b32_e32 v4, 1
	s_and_saveexec_b32 s13, s4
	s_cbranch_execz .LBB391_1396
; %bb.1391:                             ;   in Loop: Header=BB391_927 Depth=1
	v_and_b32_e32 v10, 0x7f, v19
	v_mov_b32_e32 v4, 0x7f800001
	s_mov_b32 s15, exec_lo
	v_cmpx_ne_u32_e32 0x7f, v10
	s_cbranch_execz .LBB391_1395
; %bb.1392:                             ;   in Loop: Header=BB391_927 Depth=1
	v_mov_b32_e32 v24, v20
	v_lshrrev_b32_e32 v4, 3, v10
	v_mov_b32_e32 v23, v19
	s_mov_b32 s18, exec_lo
	v_cmpx_gt_u32_e32 8, v10
; %bb.1393:                             ;   in Loop: Header=BB391_927 Depth=1
	v_and_b32_e32 v4, 7, v19
	v_ffbh_u32_e32 v4, v4
	v_min_u32_e32 v4, 32, v4
	v_subrev_nc_u32_e32 v10, 28, v4
	v_sub_nc_u32_e32 v4, 29, v4
	v_lshlrev_b64 v[23:24], v10, v[19:20]
; %bb.1394:                             ;   in Loop: Header=BB391_927 Depth=1
	s_or_b32 exec_lo, exec_lo, s18
	v_lshlrev_b32_e32 v10, 20, v23
	v_lshlrev_b32_e32 v13, 24, v19
	v_lshl_add_u32 v4, v4, 23, 0x3c000000
	v_and_b32_e32 v10, 0x700000, v10
	v_and_b32_e32 v13, 0x80000000, v13
	v_or3_b32 v4, v10, v13, v4
.LBB391_1395:                           ;   in Loop: Header=BB391_927 Depth=1
	s_or_b32 exec_lo, exec_lo, s15
.LBB391_1396:                           ;   in Loop: Header=BB391_927 Depth=1
	s_or_b32 exec_lo, exec_lo, s13
.LBB391_1397:                           ;   in Loop: Header=BB391_927 Depth=1
	s_or_b32 exec_lo, exec_lo, s12
	v_cmp_ne_u16_sdwa s4, v19, v11 src0_sel:BYTE_1 src1_sel:DWORD
	s_and_saveexec_b32 s12, s4
	s_cbranch_execz .LBB391_1405
; %bb.1398:                             ;   in Loop: Header=BB391_927 Depth=1
	v_cmp_ne_u16_sdwa s4, v19, v66 src0_sel:BYTE_1 src1_sel:DWORD
	v_bfrev_b32_e32 v12, 1
	s_and_saveexec_b32 s13, s4
	s_cbranch_execz .LBB391_1404
; %bb.1399:                             ;   in Loop: Header=BB391_927 Depth=1
	v_mov_b32_e32 v10, 0xffff
	v_mov_b32_e32 v12, 0x7f800001
	s_mov_b32 s15, exec_lo
	v_and_b32_sdwa v10, v10, v19 dst_sel:DWORD dst_unused:UNUSED_PAD src0_sel:DWORD src1_sel:BYTE_1
	v_and_b32_e32 v13, 0x7f, v10
	v_cmpx_ne_u32_e32 0x7f, v13
	s_cbranch_execz .LBB391_1403
; %bb.1400:                             ;   in Loop: Header=BB391_927 Depth=1
	v_and_b32_e32 v10, 7, v10
	v_mov_b32_e32 v24, v11
	v_lshrrev_b32_e32 v12, 3, v13
	s_mov_b32 s18, exec_lo
	v_mov_b32_e32 v23, v10
	v_cmpx_gt_u32_e32 8, v13
; %bb.1401:                             ;   in Loop: Header=BB391_927 Depth=1
	v_ffbh_u32_e32 v12, v10
	v_min_u32_e32 v12, 32, v12
	v_subrev_nc_u32_e32 v13, 28, v12
	v_sub_nc_u32_e32 v12, 29, v12
	v_lshlrev_b64 v[23:24], v13, v[10:11]
	v_and_b32_e32 v23, 7, v23
; %bb.1402:                             ;   in Loop: Header=BB391_927 Depth=1
	s_or_b32 exec_lo, exec_lo, s18
	v_lshlrev_b32_e32 v10, 16, v19
	v_lshlrev_b32_e32 v13, 20, v23
	v_lshl_add_u32 v12, v12, 23, 0x3c000000
	v_and_b32_e32 v10, 0x80000000, v10
	v_or3_b32 v12, v13, v10, v12
.LBB391_1403:                           ;   in Loop: Header=BB391_927 Depth=1
	s_or_b32 exec_lo, exec_lo, s15
.LBB391_1404:                           ;   in Loop: Header=BB391_927 Depth=1
	s_or_b32 exec_lo, exec_lo, s13
.LBB391_1405:                           ;   in Loop: Header=BB391_927 Depth=1
	s_or_b32 exec_lo, exec_lo, s12
	v_and_b32_sdwa v10, v19, v68 dst_sel:DWORD dst_unused:UNUSED_PAD src0_sel:WORD_1 src1_sel:DWORD
	v_mov_b32_e32 v16, 0
	v_mov_b32_e32 v13, 0
	s_mov_b32 s12, exec_lo
	v_cmpx_ne_u16_e32 0, v10
	s_cbranch_execz .LBB391_1413
; %bb.1406:                             ;   in Loop: Header=BB391_927 Depth=1
	v_bfrev_b32_e32 v13, 1
	s_mov_b32 s13, exec_lo
	v_cmpx_ne_u16_e32 0x80, v10
	s_cbranch_execz .LBB391_1412
; %bb.1407:                             ;   in Loop: Header=BB391_927 Depth=1
	v_bfe_u32 v21, v19, 16, 7
	v_mov_b32_e32 v13, 0x7f800001
	s_mov_b32 s15, exec_lo
	v_cmpx_ne_u32_e32 0x7f, v21
	s_cbranch_execz .LBB391_1411
; %bb.1408:                             ;   in Loop: Header=BB391_927 Depth=1
	v_mov_b32_e32 v10, 7
	v_lshrrev_b32_e32 v13, 3, v21
	s_mov_b32 s18, exec_lo
	v_and_b32_sdwa v10, v19, v10 dst_sel:DWORD dst_unused:UNUSED_PAD src0_sel:WORD_1 src1_sel:DWORD
	v_mov_b32_e32 v24, v11
	v_mov_b32_e32 v23, v10
	v_cmpx_gt_u32_e32 8, v21
; %bb.1409:                             ;   in Loop: Header=BB391_927 Depth=1
	v_ffbh_u32_e32 v13, v10
	v_min_u32_e32 v13, 32, v13
	v_subrev_nc_u32_e32 v21, 28, v13
	v_sub_nc_u32_e32 v13, 29, v13
	v_lshlrev_b64 v[23:24], v21, v[10:11]
	v_and_b32_e32 v23, 7, v23
; %bb.1410:                             ;   in Loop: Header=BB391_927 Depth=1
	s_or_b32 exec_lo, exec_lo, s18
	v_mov_b32_e32 v10, 24
	v_lshlrev_b32_e32 v21, 20, v23
	v_lshl_add_u32 v13, v13, 23, 0x3c000000
	v_lshlrev_b32_sdwa v10, v10, v19 dst_sel:DWORD dst_unused:UNUSED_PAD src0_sel:DWORD src1_sel:WORD_1
	v_and_b32_e32 v10, 0x80000000, v10
	v_or3_b32 v13, v21, v10, v13
.LBB391_1411:                           ;   in Loop: Header=BB391_927 Depth=1
	s_or_b32 exec_lo, exec_lo, s15
.LBB391_1412:                           ;   in Loop: Header=BB391_927 Depth=1
	s_or_b32 exec_lo, exec_lo, s13
.LBB391_1413:                           ;   in Loop: Header=BB391_927 Depth=1
	s_or_b32 exec_lo, exec_lo, s12
	s_mov_b32 s12, exec_lo
	v_cmpx_lt_u32_e32 0xffffff, v19
	s_cbranch_execz .LBB391_1421
; %bb.1414:                             ;   in Loop: Header=BB391_927 Depth=1
	v_cmp_ne_u32_sdwa s4, v19, v66 src0_sel:BYTE_3 src1_sel:DWORD
	v_bfrev_b32_e32 v16, 1
	s_and_saveexec_b32 s13, s4
	s_cbranch_execz .LBB391_1420
; %bb.1415:                             ;   in Loop: Header=BB391_927 Depth=1
	v_bfe_u32 v21, v19, 24, 7
	v_mov_b32_e32 v16, 0x7f800001
	s_mov_b32 s15, exec_lo
	v_cmpx_ne_u32_e32 0x7f, v21
	s_cbranch_execz .LBB391_1419
; %bb.1416:                             ;   in Loop: Header=BB391_927 Depth=1
	v_mov_b32_e32 v10, 7
	v_lshrrev_b32_e32 v16, 3, v21
	s_mov_b32 s18, exec_lo
	v_and_b32_sdwa v10, v19, v10 dst_sel:DWORD dst_unused:UNUSED_PAD src0_sel:BYTE_3 src1_sel:DWORD
	v_mov_b32_e32 v24, v11
	v_mov_b32_e32 v23, v10
	v_cmpx_gt_u32_e32 8, v21
; %bb.1417:                             ;   in Loop: Header=BB391_927 Depth=1
	v_ffbh_u32_e32 v16, v10
	v_min_u32_e32 v16, 32, v16
	v_subrev_nc_u32_e32 v21, 28, v16
	v_sub_nc_u32_e32 v16, 29, v16
	v_lshlrev_b64 v[23:24], v21, v[10:11]
	v_and_b32_e32 v23, 7, v23
; %bb.1418:                             ;   in Loop: Header=BB391_927 Depth=1
	s_or_b32 exec_lo, exec_lo, s18
	v_mov_b32_e32 v10, 24
	v_lshlrev_b32_e32 v21, 20, v23
	v_lshl_add_u32 v16, v16, 23, 0x3c000000
	v_lshlrev_b32_sdwa v10, v10, v19 dst_sel:DWORD dst_unused:UNUSED_PAD src0_sel:DWORD src1_sel:BYTE_3
	v_and_b32_e32 v10, 0x80000000, v10
	v_or3_b32 v16, v21, v10, v16
.LBB391_1419:                           ;   in Loop: Header=BB391_927 Depth=1
	s_or_b32 exec_lo, exec_lo, s15
.LBB391_1420:                           ;   in Loop: Header=BB391_927 Depth=1
	s_or_b32 exec_lo, exec_lo, s13
.LBB391_1421:                           ;   in Loop: Header=BB391_927 Depth=1
	s_or_b32 exec_lo, exec_lo, s12
	v_mov_b32_e32 v10, v20
	v_cmp_ne_u16_sdwa s4, v20, v11 src0_sel:BYTE_0 src1_sel:DWORD
	v_mov_b32_e32 v67, 0
	v_mov_b32_e32 v28, 0
	s_and_saveexec_b32 s12, s4
	s_cbranch_execz .LBB391_1429
; %bb.1422:                             ;   in Loop: Header=BB391_927 Depth=1
	v_cmp_ne_u16_sdwa s4, v20, v66 src0_sel:BYTE_0 src1_sel:DWORD
	v_bfrev_b32_e32 v28, 1
	s_and_saveexec_b32 s13, s4
	s_cbranch_execz .LBB391_1428
; %bb.1423:                             ;   in Loop: Header=BB391_927 Depth=1
	v_and_b32_e32 v23, 0x7f, v20
	v_mov_b32_e32 v28, 0x7f800001
	s_mov_b32 s15, exec_lo
	v_cmpx_ne_u32_e32 0x7f, v23
	s_cbranch_execz .LBB391_1427
; %bb.1424:                             ;   in Loop: Header=BB391_927 Depth=1
	v_lshrrev_b32_e32 v21, 3, v23
	v_cmp_gt_u32_e64 s4, 8, v23
	v_mov_b32_e32 v24, v11
	v_mov_b32_e32 v23, v10
	s_and_saveexec_b32 s18, s4
; %bb.1425:                             ;   in Loop: Header=BB391_927 Depth=1
	v_and_b32_e32 v21, 7, v20
	v_ffbh_u32_e32 v21, v21
	v_min_u32_e32 v21, 32, v21
	v_subrev_nc_u32_e32 v23, 28, v21
	v_sub_nc_u32_e32 v21, 29, v21
	v_lshlrev_b64 v[23:24], v23, v[10:11]
; %bb.1426:                             ;   in Loop: Header=BB391_927 Depth=1
	s_or_b32 exec_lo, exec_lo, s18
	v_lshlrev_b32_e32 v23, 20, v23
	v_lshlrev_b32_e32 v24, 24, v10
	v_lshl_add_u32 v21, v21, 23, 0x3c000000
	v_and_b32_e32 v23, 0x700000, v23
	v_and_b32_e32 v24, 0x80000000, v24
	v_or3_b32 v28, v23, v24, v21
.LBB391_1427:                           ;   in Loop: Header=BB391_927 Depth=1
	s_or_b32 exec_lo, exec_lo, s15
.LBB391_1428:                           ;   in Loop: Header=BB391_927 Depth=1
	s_or_b32 exec_lo, exec_lo, s13
.LBB391_1429:                           ;   in Loop: Header=BB391_927 Depth=1
	s_or_b32 exec_lo, exec_lo, s12
	v_cmp_ne_u16_sdwa s4, v10, v11 src0_sel:BYTE_1 src1_sel:DWORD
	s_and_saveexec_b32 s12, s4
	s_cbranch_execz .LBB391_1437
; %bb.1430:                             ;   in Loop: Header=BB391_927 Depth=1
	v_cmp_ne_u16_sdwa s4, v10, v66 src0_sel:BYTE_1 src1_sel:DWORD
	v_bfrev_b32_e32 v67, 1
	s_and_saveexec_b32 s13, s4
	s_cbranch_execz .LBB391_1436
; %bb.1431:                             ;   in Loop: Header=BB391_927 Depth=1
	v_mov_b32_e32 v21, 0xffff
	v_mov_b32_e32 v67, 0x7f800001
	s_mov_b32 s15, exec_lo
	v_and_b32_sdwa v21, v21, v10 dst_sel:DWORD dst_unused:UNUSED_PAD src0_sel:DWORD src1_sel:BYTE_1
	v_and_b32_e32 v25, 0x7f, v21
	v_cmpx_ne_u32_e32 0x7f, v25
	s_cbranch_execz .LBB391_1435
; %bb.1432:                             ;   in Loop: Header=BB391_927 Depth=1
	v_and_b32_e32 v23, 7, v21
	v_mov_b32_e32 v24, v11
	v_lshrrev_b32_e32 v21, 3, v25
	s_mov_b32 s18, exec_lo
	v_cmpx_gt_u32_e32 8, v25
; %bb.1433:                             ;   in Loop: Header=BB391_927 Depth=1
	v_ffbh_u32_e32 v21, v23
	v_min_u32_e32 v21, 32, v21
	v_subrev_nc_u32_e32 v25, 28, v21
	v_sub_nc_u32_e32 v21, 29, v21
	v_lshlrev_b64 v[23:24], v25, v[23:24]
	v_and_b32_e32 v23, 7, v23
; %bb.1434:                             ;   in Loop: Header=BB391_927 Depth=1
	s_or_b32 exec_lo, exec_lo, s18
	v_lshlrev_b32_e32 v10, 16, v10
	v_lshlrev_b32_e32 v23, 20, v23
	v_lshl_add_u32 v21, v21, 23, 0x3c000000
	v_and_b32_e32 v10, 0x80000000, v10
	v_or3_b32 v67, v23, v10, v21
.LBB391_1435:                           ;   in Loop: Header=BB391_927 Depth=1
	s_or_b32 exec_lo, exec_lo, s15
.LBB391_1436:                           ;   in Loop: Header=BB391_927 Depth=1
	s_or_b32 exec_lo, exec_lo, s13
.LBB391_1437:                           ;   in Loop: Header=BB391_927 Depth=1
	s_or_b32 exec_lo, exec_lo, s12
	v_and_b32_sdwa v10, v20, v68 dst_sel:DWORD dst_unused:UNUSED_PAD src0_sel:WORD_1 src1_sel:DWORD
	v_mov_b32_e32 v21, 0
	v_mov_b32_e32 v25, 0
	s_mov_b32 s12, exec_lo
	v_cmpx_ne_u16_e32 0, v10
	s_cbranch_execz .LBB391_1445
; %bb.1438:                             ;   in Loop: Header=BB391_927 Depth=1
	v_bfrev_b32_e32 v25, 1
	s_mov_b32 s13, exec_lo
	v_cmpx_ne_u16_e32 0x80, v10
	s_cbranch_execz .LBB391_1444
; %bb.1439:                             ;   in Loop: Header=BB391_927 Depth=1
	v_bfe_u32 v23, v20, 16, 7
	v_mov_b32_e32 v25, 0x7f800001
	s_mov_b32 s15, exec_lo
	v_cmpx_ne_u32_e32 0x7f, v23
	s_cbranch_execz .LBB391_1443
; %bb.1440:                             ;   in Loop: Header=BB391_927 Depth=1
	v_mov_b32_e32 v10, 7
	v_lshrrev_b32_e32 v25, 3, v23
	v_cmp_gt_u32_e64 s4, 8, v23
	v_and_b32_sdwa v10, v20, v10 dst_sel:DWORD dst_unused:UNUSED_PAD src0_sel:WORD_1 src1_sel:DWORD
	v_mov_b32_e32 v24, v11
	v_mov_b32_e32 v23, v10
	s_and_saveexec_b32 s18, s4
; %bb.1441:                             ;   in Loop: Header=BB391_927 Depth=1
	v_ffbh_u32_e32 v23, v10
	v_min_u32_e32 v25, 32, v23
	v_subrev_nc_u32_e32 v23, 28, v25
	v_sub_nc_u32_e32 v25, 29, v25
	v_lshlrev_b64 v[23:24], v23, v[10:11]
	v_and_b32_e32 v23, 7, v23
; %bb.1442:                             ;   in Loop: Header=BB391_927 Depth=1
	s_or_b32 exec_lo, exec_lo, s18
	v_mov_b32_e32 v10, 24
	v_lshlrev_b32_e32 v23, 20, v23
	v_lshl_add_u32 v24, v25, 23, 0x3c000000
	v_lshlrev_b32_sdwa v10, v10, v20 dst_sel:DWORD dst_unused:UNUSED_PAD src0_sel:DWORD src1_sel:WORD_1
	v_and_b32_e32 v10, 0x80000000, v10
	v_or3_b32 v25, v23, v10, v24
.LBB391_1443:                           ;   in Loop: Header=BB391_927 Depth=1
	s_or_b32 exec_lo, exec_lo, s15
.LBB391_1444:                           ;   in Loop: Header=BB391_927 Depth=1
	s_or_b32 exec_lo, exec_lo, s13
.LBB391_1445:                           ;   in Loop: Header=BB391_927 Depth=1
	s_or_b32 exec_lo, exec_lo, s12
	s_mov_b32 s12, exec_lo
	v_cmpx_lt_u64_e64 s[8:9], v[19:20]
	s_cbranch_execz .LBB391_1453
; %bb.1446:                             ;   in Loop: Header=BB391_927 Depth=1
	v_cmp_ne_u32_sdwa s4, v20, v66 src0_sel:BYTE_3 src1_sel:DWORD
	v_bfrev_b32_e32 v21, 1
	s_and_saveexec_b32 s13, s4
	s_cbranch_execz .LBB391_1452
; %bb.1447:                             ;   in Loop: Header=BB391_927 Depth=1
	v_bfe_u32 v23, v20, 24, 7
	v_mov_b32_e32 v21, 0x7f800001
	s_mov_b32 s15, exec_lo
	v_cmpx_ne_u32_e32 0x7f, v23
	s_cbranch_execz .LBB391_1451
; %bb.1448:                             ;   in Loop: Header=BB391_927 Depth=1
	v_mov_b32_e32 v10, 7
	v_lshrrev_b32_e32 v19, 3, v23
	v_cmp_gt_u32_e64 s4, 8, v23
	v_and_b32_sdwa v10, v20, v10 dst_sel:DWORD dst_unused:UNUSED_PAD src0_sel:BYTE_3 src1_sel:DWORD
	v_mov_b32_e32 v24, v11
	v_mov_b32_e32 v23, v10
	s_and_saveexec_b32 s18, s4
; %bb.1449:                             ;   in Loop: Header=BB391_927 Depth=1
	v_ffbh_u32_e32 v19, v10
	v_min_u32_e32 v19, 32, v19
	v_subrev_nc_u32_e32 v21, 28, v19
	v_sub_nc_u32_e32 v19, 29, v19
	v_lshlrev_b64 v[23:24], v21, v[10:11]
	v_and_b32_e32 v23, 7, v23
; %bb.1450:                             ;   in Loop: Header=BB391_927 Depth=1
	s_or_b32 exec_lo, exec_lo, s18
	v_mov_b32_e32 v10, 24
	v_lshl_add_u32 v19, v19, 23, 0x3c000000
	v_lshlrev_b32_sdwa v10, v10, v20 dst_sel:DWORD dst_unused:UNUSED_PAD src0_sel:DWORD src1_sel:BYTE_3
	v_lshlrev_b32_e32 v20, 20, v23
	v_and_b32_e32 v10, 0x80000000, v10
	v_or3_b32 v21, v20, v10, v19
.LBB391_1451:                           ;   in Loop: Header=BB391_927 Depth=1
	s_or_b32 exec_lo, exec_lo, s15
.LBB391_1452:                           ;   in Loop: Header=BB391_927 Depth=1
	s_or_b32 exec_lo, exec_lo, s13
.LBB391_1453:                           ;   in Loop: Header=BB391_927 Depth=1
	s_or_b32 exec_lo, exec_lo, s12
	v_mul_f32_e32 v10, v26, v67
	v_mul_f32_e32 v4, v26, v4
	v_bfe_u32 v19, v10, 16, 1
	v_or_b32_e32 v20, 0x400000, v10
	v_cmp_u_f32_e64 s4, v10, v10
	v_add3_u32 v19, v19, v10, 0x7fff
	v_cndmask_b32_e64 v10, v19, v20, s4
	v_lshrrev_b32_e32 v95, 16, v10
	v_mul_f32_e32 v10, v26, v28
	v_bfe_u32 v19, v10, 16, 1
	v_or_b32_e32 v20, 0x400000, v10
	v_cmp_u_f32_e64 s4, v10, v10
	v_add3_u32 v19, v19, v10, 0x7fff
	v_cndmask_b32_e64 v10, v19, v20, s4
	v_lshrrev_b32_e32 v104, 16, v10
	;; [unrolled: 7-line block ×4, first 2 shown]
	v_mul_f32_e32 v10, v26, v12
	v_bfe_u32 v12, v10, 16, 1
	v_or_b32_e32 v13, 0x400000, v10
	v_cmp_u_f32_e64 s4, v10, v10
	v_add3_u32 v12, v12, v10, 0x7fff
	v_cndmask_b32_e64 v10, v12, v13, s4
	v_or_b32_e32 v12, 0x400000, v4
	v_cmp_u_f32_e64 s4, v4, v4
	v_lshrrev_b32_e32 v108, 16, v10
	v_bfe_u32 v10, v4, 16, 1
	v_add3_u32 v10, v10, v4, 0x7fff
	v_cndmask_b32_e64 v4, v10, v12, s4
	v_lshrrev_b32_e32 v109, 16, v4
	v_mul_f32_e32 v4, v26, v25
	v_bfe_u32 v10, v4, 16, 1
	v_or_b32_e32 v12, 0x400000, v4
	v_cmp_u_f32_e64 s4, v4, v4
	v_add3_u32 v10, v10, v4, 0x7fff
	v_cndmask_b32_e64 v4, v10, v12, s4
	v_lshrrev_b32_e32 v107, 16, v4
	v_mul_f32_e32 v4, v26, v21
	v_bfe_u32 v10, v4, 16, 1
	v_or_b32_e32 v12, 0x400000, v4
	v_cmp_u_f32_e64 s4, v4, v4
	v_add3_u32 v10, v10, v4, 0x7fff
	v_cndmask_b32_e64 v4, v10, v12, s4
	v_lshrrev_b32_e32 v110, 16, v4
	s_and_saveexec_b32 s12, vcc_lo
	s_cbranch_execz .LBB391_1455
; %bb.1454:                             ;   in Loop: Header=BB391_927 Depth=1
	v_cmp_lt_i32_e64 s4, v119, v35
	v_cndmask_b32_e64 v109, 0, v109, s4
	v_cmp_lt_i32_e64 s4, v57, v35
	v_cndmask_b32_e64 v108, 0, v108, s4
	;; [unrolled: 2-line block ×8, first 2 shown]
.LBB391_1455:                           ;   in Loop: Header=BB391_927 Depth=1
	s_or_b32 exec_lo, exec_lo, s12
	v_add_co_u32 v17, s4, 0x800, v17
	v_add_co_ci_u32_e64 v18, null, 0, v18, s4
	v_mov_b32_e32 v12, 0
	v_mov_b32_e32 v4, 0
	flat_load_dwordx2 v[19:20], v[17:18]
	s_waitcnt vmcnt(0) lgkmcnt(0)
	v_cmp_ne_u16_sdwa s4, v19, v11 src0_sel:BYTE_0 src1_sel:DWORD
	s_and_saveexec_b32 s12, s4
	s_cbranch_execz .LBB391_1463
; %bb.1456:                             ;   in Loop: Header=BB391_927 Depth=1
	v_cmp_ne_u16_sdwa s4, v19, v66 src0_sel:BYTE_0 src1_sel:DWORD
	v_bfrev_b32_e32 v4, 1
	s_and_saveexec_b32 s13, s4
	s_cbranch_execz .LBB391_1462
; %bb.1457:                             ;   in Loop: Header=BB391_927 Depth=1
	v_and_b32_e32 v10, 0x7f, v19
	v_mov_b32_e32 v4, 0x7f800001
	s_mov_b32 s15, exec_lo
	v_cmpx_ne_u32_e32 0x7f, v10
	s_cbranch_execz .LBB391_1461
; %bb.1458:                             ;   in Loop: Header=BB391_927 Depth=1
	v_mov_b32_e32 v24, v20
	v_lshrrev_b32_e32 v4, 3, v10
	v_mov_b32_e32 v23, v19
	s_mov_b32 s18, exec_lo
	v_cmpx_gt_u32_e32 8, v10
; %bb.1459:                             ;   in Loop: Header=BB391_927 Depth=1
	v_and_b32_e32 v4, 7, v19
	v_ffbh_u32_e32 v4, v4
	v_min_u32_e32 v4, 32, v4
	v_subrev_nc_u32_e32 v10, 28, v4
	v_sub_nc_u32_e32 v4, 29, v4
	v_lshlrev_b64 v[23:24], v10, v[19:20]
; %bb.1460:                             ;   in Loop: Header=BB391_927 Depth=1
	s_or_b32 exec_lo, exec_lo, s18
	v_lshlrev_b32_e32 v10, 20, v23
	v_lshlrev_b32_e32 v13, 24, v19
	v_lshl_add_u32 v4, v4, 23, 0x3c000000
	v_and_b32_e32 v10, 0x700000, v10
	v_and_b32_e32 v13, 0x80000000, v13
	v_or3_b32 v4, v10, v13, v4
.LBB391_1461:                           ;   in Loop: Header=BB391_927 Depth=1
	s_or_b32 exec_lo, exec_lo, s15
.LBB391_1462:                           ;   in Loop: Header=BB391_927 Depth=1
	s_or_b32 exec_lo, exec_lo, s13
.LBB391_1463:                           ;   in Loop: Header=BB391_927 Depth=1
	s_or_b32 exec_lo, exec_lo, s12
	v_cmp_ne_u16_sdwa s4, v19, v11 src0_sel:BYTE_1 src1_sel:DWORD
	s_and_saveexec_b32 s12, s4
	s_cbranch_execz .LBB391_1471
; %bb.1464:                             ;   in Loop: Header=BB391_927 Depth=1
	v_cmp_ne_u16_sdwa s4, v19, v66 src0_sel:BYTE_1 src1_sel:DWORD
	v_bfrev_b32_e32 v12, 1
	s_and_saveexec_b32 s13, s4
	s_cbranch_execz .LBB391_1470
; %bb.1465:                             ;   in Loop: Header=BB391_927 Depth=1
	v_mov_b32_e32 v10, 0xffff
	v_mov_b32_e32 v12, 0x7f800001
	s_mov_b32 s15, exec_lo
	v_and_b32_sdwa v10, v10, v19 dst_sel:DWORD dst_unused:UNUSED_PAD src0_sel:DWORD src1_sel:BYTE_1
	v_and_b32_e32 v13, 0x7f, v10
	v_cmpx_ne_u32_e32 0x7f, v13
	s_cbranch_execz .LBB391_1469
; %bb.1466:                             ;   in Loop: Header=BB391_927 Depth=1
	v_and_b32_e32 v10, 7, v10
	v_mov_b32_e32 v24, v11
	v_lshrrev_b32_e32 v12, 3, v13
	s_mov_b32 s18, exec_lo
	v_mov_b32_e32 v23, v10
	v_cmpx_gt_u32_e32 8, v13
; %bb.1467:                             ;   in Loop: Header=BB391_927 Depth=1
	v_ffbh_u32_e32 v12, v10
	v_min_u32_e32 v12, 32, v12
	v_subrev_nc_u32_e32 v13, 28, v12
	v_sub_nc_u32_e32 v12, 29, v12
	v_lshlrev_b64 v[23:24], v13, v[10:11]
	v_and_b32_e32 v23, 7, v23
; %bb.1468:                             ;   in Loop: Header=BB391_927 Depth=1
	s_or_b32 exec_lo, exec_lo, s18
	v_lshlrev_b32_e32 v10, 16, v19
	v_lshlrev_b32_e32 v13, 20, v23
	v_lshl_add_u32 v12, v12, 23, 0x3c000000
	v_and_b32_e32 v10, 0x80000000, v10
	v_or3_b32 v12, v13, v10, v12
.LBB391_1469:                           ;   in Loop: Header=BB391_927 Depth=1
	s_or_b32 exec_lo, exec_lo, s15
.LBB391_1470:                           ;   in Loop: Header=BB391_927 Depth=1
	s_or_b32 exec_lo, exec_lo, s13
.LBB391_1471:                           ;   in Loop: Header=BB391_927 Depth=1
	s_or_b32 exec_lo, exec_lo, s12
	v_and_b32_sdwa v10, v19, v68 dst_sel:DWORD dst_unused:UNUSED_PAD src0_sel:WORD_1 src1_sel:DWORD
	v_mov_b32_e32 v16, 0
	v_mov_b32_e32 v13, 0
	s_mov_b32 s12, exec_lo
	v_cmpx_ne_u16_e32 0, v10
	s_cbranch_execz .LBB391_1479
; %bb.1472:                             ;   in Loop: Header=BB391_927 Depth=1
	v_bfrev_b32_e32 v13, 1
	s_mov_b32 s13, exec_lo
	v_cmpx_ne_u16_e32 0x80, v10
	s_cbranch_execz .LBB391_1478
; %bb.1473:                             ;   in Loop: Header=BB391_927 Depth=1
	v_bfe_u32 v21, v19, 16, 7
	v_mov_b32_e32 v13, 0x7f800001
	s_mov_b32 s15, exec_lo
	v_cmpx_ne_u32_e32 0x7f, v21
	s_cbranch_execz .LBB391_1477
; %bb.1474:                             ;   in Loop: Header=BB391_927 Depth=1
	v_mov_b32_e32 v10, 7
	v_lshrrev_b32_e32 v13, 3, v21
	s_mov_b32 s18, exec_lo
	v_and_b32_sdwa v10, v19, v10 dst_sel:DWORD dst_unused:UNUSED_PAD src0_sel:WORD_1 src1_sel:DWORD
	v_mov_b32_e32 v24, v11
	v_mov_b32_e32 v23, v10
	v_cmpx_gt_u32_e32 8, v21
; %bb.1475:                             ;   in Loop: Header=BB391_927 Depth=1
	v_ffbh_u32_e32 v13, v10
	v_min_u32_e32 v13, 32, v13
	v_subrev_nc_u32_e32 v21, 28, v13
	v_sub_nc_u32_e32 v13, 29, v13
	v_lshlrev_b64 v[23:24], v21, v[10:11]
	v_and_b32_e32 v23, 7, v23
; %bb.1476:                             ;   in Loop: Header=BB391_927 Depth=1
	s_or_b32 exec_lo, exec_lo, s18
	v_mov_b32_e32 v10, 24
	v_lshlrev_b32_e32 v21, 20, v23
	v_lshl_add_u32 v13, v13, 23, 0x3c000000
	v_lshlrev_b32_sdwa v10, v10, v19 dst_sel:DWORD dst_unused:UNUSED_PAD src0_sel:DWORD src1_sel:WORD_1
	v_and_b32_e32 v10, 0x80000000, v10
	v_or3_b32 v13, v21, v10, v13
.LBB391_1477:                           ;   in Loop: Header=BB391_927 Depth=1
	s_or_b32 exec_lo, exec_lo, s15
.LBB391_1478:                           ;   in Loop: Header=BB391_927 Depth=1
	s_or_b32 exec_lo, exec_lo, s13
.LBB391_1479:                           ;   in Loop: Header=BB391_927 Depth=1
	s_or_b32 exec_lo, exec_lo, s12
	s_mov_b32 s12, exec_lo
	v_cmpx_lt_u32_e32 0xffffff, v19
	s_cbranch_execz .LBB391_1487
; %bb.1480:                             ;   in Loop: Header=BB391_927 Depth=1
	v_cmp_ne_u32_sdwa s4, v19, v66 src0_sel:BYTE_3 src1_sel:DWORD
	v_bfrev_b32_e32 v16, 1
	s_and_saveexec_b32 s13, s4
	s_cbranch_execz .LBB391_1486
; %bb.1481:                             ;   in Loop: Header=BB391_927 Depth=1
	v_bfe_u32 v21, v19, 24, 7
	v_mov_b32_e32 v16, 0x7f800001
	s_mov_b32 s15, exec_lo
	v_cmpx_ne_u32_e32 0x7f, v21
	s_cbranch_execz .LBB391_1485
; %bb.1482:                             ;   in Loop: Header=BB391_927 Depth=1
	v_mov_b32_e32 v10, 7
	v_lshrrev_b32_e32 v16, 3, v21
	s_mov_b32 s18, exec_lo
	v_and_b32_sdwa v10, v19, v10 dst_sel:DWORD dst_unused:UNUSED_PAD src0_sel:BYTE_3 src1_sel:DWORD
	v_mov_b32_e32 v24, v11
	v_mov_b32_e32 v23, v10
	v_cmpx_gt_u32_e32 8, v21
; %bb.1483:                             ;   in Loop: Header=BB391_927 Depth=1
	v_ffbh_u32_e32 v16, v10
	v_min_u32_e32 v16, 32, v16
	v_subrev_nc_u32_e32 v21, 28, v16
	v_sub_nc_u32_e32 v16, 29, v16
	v_lshlrev_b64 v[23:24], v21, v[10:11]
	v_and_b32_e32 v23, 7, v23
; %bb.1484:                             ;   in Loop: Header=BB391_927 Depth=1
	s_or_b32 exec_lo, exec_lo, s18
	v_mov_b32_e32 v10, 24
	v_lshlrev_b32_e32 v21, 20, v23
	v_lshl_add_u32 v16, v16, 23, 0x3c000000
	v_lshlrev_b32_sdwa v10, v10, v19 dst_sel:DWORD dst_unused:UNUSED_PAD src0_sel:DWORD src1_sel:BYTE_3
	v_and_b32_e32 v10, 0x80000000, v10
	v_or3_b32 v16, v21, v10, v16
.LBB391_1485:                           ;   in Loop: Header=BB391_927 Depth=1
	s_or_b32 exec_lo, exec_lo, s15
.LBB391_1486:                           ;   in Loop: Header=BB391_927 Depth=1
	s_or_b32 exec_lo, exec_lo, s13
.LBB391_1487:                           ;   in Loop: Header=BB391_927 Depth=1
	s_or_b32 exec_lo, exec_lo, s12
	v_mov_b32_e32 v10, v20
	v_cmp_ne_u16_sdwa s4, v20, v11 src0_sel:BYTE_0 src1_sel:DWORD
	v_mov_b32_e32 v67, 0
	v_mov_b32_e32 v28, 0
	s_and_saveexec_b32 s12, s4
	s_cbranch_execz .LBB391_1495
; %bb.1488:                             ;   in Loop: Header=BB391_927 Depth=1
	v_cmp_ne_u16_sdwa s4, v20, v66 src0_sel:BYTE_0 src1_sel:DWORD
	v_bfrev_b32_e32 v28, 1
	s_and_saveexec_b32 s13, s4
	s_cbranch_execz .LBB391_1494
; %bb.1489:                             ;   in Loop: Header=BB391_927 Depth=1
	v_and_b32_e32 v23, 0x7f, v20
	v_mov_b32_e32 v28, 0x7f800001
	s_mov_b32 s15, exec_lo
	v_cmpx_ne_u32_e32 0x7f, v23
	s_cbranch_execz .LBB391_1493
; %bb.1490:                             ;   in Loop: Header=BB391_927 Depth=1
	v_lshrrev_b32_e32 v21, 3, v23
	v_cmp_gt_u32_e64 s4, 8, v23
	v_mov_b32_e32 v24, v11
	v_mov_b32_e32 v23, v10
	s_and_saveexec_b32 s18, s4
; %bb.1491:                             ;   in Loop: Header=BB391_927 Depth=1
	v_and_b32_e32 v21, 7, v20
	v_ffbh_u32_e32 v21, v21
	v_min_u32_e32 v21, 32, v21
	v_subrev_nc_u32_e32 v23, 28, v21
	v_sub_nc_u32_e32 v21, 29, v21
	v_lshlrev_b64 v[23:24], v23, v[10:11]
; %bb.1492:                             ;   in Loop: Header=BB391_927 Depth=1
	s_or_b32 exec_lo, exec_lo, s18
	v_lshlrev_b32_e32 v23, 20, v23
	v_lshlrev_b32_e32 v24, 24, v10
	v_lshl_add_u32 v21, v21, 23, 0x3c000000
	v_and_b32_e32 v23, 0x700000, v23
	v_and_b32_e32 v24, 0x80000000, v24
	v_or3_b32 v28, v23, v24, v21
.LBB391_1493:                           ;   in Loop: Header=BB391_927 Depth=1
	s_or_b32 exec_lo, exec_lo, s15
.LBB391_1494:                           ;   in Loop: Header=BB391_927 Depth=1
	s_or_b32 exec_lo, exec_lo, s13
.LBB391_1495:                           ;   in Loop: Header=BB391_927 Depth=1
	s_or_b32 exec_lo, exec_lo, s12
	v_cmp_ne_u16_sdwa s4, v10, v11 src0_sel:BYTE_1 src1_sel:DWORD
	s_and_saveexec_b32 s12, s4
	s_cbranch_execz .LBB391_1503
; %bb.1496:                             ;   in Loop: Header=BB391_927 Depth=1
	v_cmp_ne_u16_sdwa s4, v10, v66 src0_sel:BYTE_1 src1_sel:DWORD
	v_bfrev_b32_e32 v67, 1
	s_and_saveexec_b32 s13, s4
	s_cbranch_execz .LBB391_1502
; %bb.1497:                             ;   in Loop: Header=BB391_927 Depth=1
	v_mov_b32_e32 v21, 0xffff
	v_mov_b32_e32 v67, 0x7f800001
	s_mov_b32 s15, exec_lo
	v_and_b32_sdwa v21, v21, v10 dst_sel:DWORD dst_unused:UNUSED_PAD src0_sel:DWORD src1_sel:BYTE_1
	v_and_b32_e32 v25, 0x7f, v21
	v_cmpx_ne_u32_e32 0x7f, v25
	s_cbranch_execz .LBB391_1501
; %bb.1498:                             ;   in Loop: Header=BB391_927 Depth=1
	v_and_b32_e32 v23, 7, v21
	v_mov_b32_e32 v24, v11
	v_lshrrev_b32_e32 v21, 3, v25
	s_mov_b32 s18, exec_lo
	v_cmpx_gt_u32_e32 8, v25
; %bb.1499:                             ;   in Loop: Header=BB391_927 Depth=1
	v_ffbh_u32_e32 v21, v23
	v_min_u32_e32 v21, 32, v21
	v_subrev_nc_u32_e32 v25, 28, v21
	v_sub_nc_u32_e32 v21, 29, v21
	v_lshlrev_b64 v[23:24], v25, v[23:24]
	v_and_b32_e32 v23, 7, v23
; %bb.1500:                             ;   in Loop: Header=BB391_927 Depth=1
	s_or_b32 exec_lo, exec_lo, s18
	v_lshlrev_b32_e32 v10, 16, v10
	v_lshlrev_b32_e32 v23, 20, v23
	v_lshl_add_u32 v21, v21, 23, 0x3c000000
	v_and_b32_e32 v10, 0x80000000, v10
	v_or3_b32 v67, v23, v10, v21
.LBB391_1501:                           ;   in Loop: Header=BB391_927 Depth=1
	s_or_b32 exec_lo, exec_lo, s15
.LBB391_1502:                           ;   in Loop: Header=BB391_927 Depth=1
	s_or_b32 exec_lo, exec_lo, s13
.LBB391_1503:                           ;   in Loop: Header=BB391_927 Depth=1
	s_or_b32 exec_lo, exec_lo, s12
	v_and_b32_sdwa v10, v20, v68 dst_sel:DWORD dst_unused:UNUSED_PAD src0_sel:WORD_1 src1_sel:DWORD
	v_mov_b32_e32 v21, 0
	v_mov_b32_e32 v25, 0
	s_mov_b32 s12, exec_lo
	v_cmpx_ne_u16_e32 0, v10
	s_cbranch_execz .LBB391_1511
; %bb.1504:                             ;   in Loop: Header=BB391_927 Depth=1
	v_bfrev_b32_e32 v25, 1
	s_mov_b32 s13, exec_lo
	v_cmpx_ne_u16_e32 0x80, v10
	s_cbranch_execz .LBB391_1510
; %bb.1505:                             ;   in Loop: Header=BB391_927 Depth=1
	v_bfe_u32 v23, v20, 16, 7
	v_mov_b32_e32 v25, 0x7f800001
	s_mov_b32 s15, exec_lo
	v_cmpx_ne_u32_e32 0x7f, v23
	s_cbranch_execz .LBB391_1509
; %bb.1506:                             ;   in Loop: Header=BB391_927 Depth=1
	v_mov_b32_e32 v10, 7
	v_lshrrev_b32_e32 v25, 3, v23
	v_cmp_gt_u32_e64 s4, 8, v23
	v_and_b32_sdwa v10, v20, v10 dst_sel:DWORD dst_unused:UNUSED_PAD src0_sel:WORD_1 src1_sel:DWORD
	v_mov_b32_e32 v24, v11
	v_mov_b32_e32 v23, v10
	s_and_saveexec_b32 s18, s4
; %bb.1507:                             ;   in Loop: Header=BB391_927 Depth=1
	v_ffbh_u32_e32 v23, v10
	v_min_u32_e32 v25, 32, v23
	v_subrev_nc_u32_e32 v23, 28, v25
	v_sub_nc_u32_e32 v25, 29, v25
	v_lshlrev_b64 v[23:24], v23, v[10:11]
	v_and_b32_e32 v23, 7, v23
; %bb.1508:                             ;   in Loop: Header=BB391_927 Depth=1
	s_or_b32 exec_lo, exec_lo, s18
	v_mov_b32_e32 v10, 24
	v_lshlrev_b32_e32 v23, 20, v23
	v_lshl_add_u32 v24, v25, 23, 0x3c000000
	v_lshlrev_b32_sdwa v10, v10, v20 dst_sel:DWORD dst_unused:UNUSED_PAD src0_sel:DWORD src1_sel:WORD_1
	v_and_b32_e32 v10, 0x80000000, v10
	v_or3_b32 v25, v23, v10, v24
.LBB391_1509:                           ;   in Loop: Header=BB391_927 Depth=1
	s_or_b32 exec_lo, exec_lo, s15
.LBB391_1510:                           ;   in Loop: Header=BB391_927 Depth=1
	s_or_b32 exec_lo, exec_lo, s13
.LBB391_1511:                           ;   in Loop: Header=BB391_927 Depth=1
	s_or_b32 exec_lo, exec_lo, s12
	s_mov_b32 s12, exec_lo
	v_cmpx_lt_u64_e64 s[8:9], v[19:20]
	s_cbranch_execz .LBB391_1519
; %bb.1512:                             ;   in Loop: Header=BB391_927 Depth=1
	v_cmp_ne_u32_sdwa s4, v20, v66 src0_sel:BYTE_3 src1_sel:DWORD
	v_bfrev_b32_e32 v21, 1
	s_and_saveexec_b32 s13, s4
	s_cbranch_execz .LBB391_1518
; %bb.1513:                             ;   in Loop: Header=BB391_927 Depth=1
	v_bfe_u32 v23, v20, 24, 7
	v_mov_b32_e32 v21, 0x7f800001
	s_mov_b32 s15, exec_lo
	v_cmpx_ne_u32_e32 0x7f, v23
	s_cbranch_execz .LBB391_1517
; %bb.1514:                             ;   in Loop: Header=BB391_927 Depth=1
	v_mov_b32_e32 v10, 7
	v_lshrrev_b32_e32 v19, 3, v23
	v_cmp_gt_u32_e64 s4, 8, v23
	v_and_b32_sdwa v10, v20, v10 dst_sel:DWORD dst_unused:UNUSED_PAD src0_sel:BYTE_3 src1_sel:DWORD
	v_mov_b32_e32 v24, v11
	v_mov_b32_e32 v23, v10
	s_and_saveexec_b32 s18, s4
; %bb.1515:                             ;   in Loop: Header=BB391_927 Depth=1
	v_ffbh_u32_e32 v19, v10
	v_min_u32_e32 v19, 32, v19
	v_subrev_nc_u32_e32 v21, 28, v19
	v_sub_nc_u32_e32 v19, 29, v19
	v_lshlrev_b64 v[23:24], v21, v[10:11]
	v_and_b32_e32 v23, 7, v23
; %bb.1516:                             ;   in Loop: Header=BB391_927 Depth=1
	s_or_b32 exec_lo, exec_lo, s18
	v_mov_b32_e32 v10, 24
	v_lshl_add_u32 v19, v19, 23, 0x3c000000
	v_lshlrev_b32_sdwa v10, v10, v20 dst_sel:DWORD dst_unused:UNUSED_PAD src0_sel:DWORD src1_sel:BYTE_3
	v_lshlrev_b32_e32 v20, 20, v23
	v_and_b32_e32 v10, 0x80000000, v10
	v_or3_b32 v21, v20, v10, v19
.LBB391_1517:                           ;   in Loop: Header=BB391_927 Depth=1
	s_or_b32 exec_lo, exec_lo, s15
.LBB391_1518:                           ;   in Loop: Header=BB391_927 Depth=1
	s_or_b32 exec_lo, exec_lo, s13
.LBB391_1519:                           ;   in Loop: Header=BB391_927 Depth=1
	s_or_b32 exec_lo, exec_lo, s12
	v_mul_f32_e32 v10, v26, v67
	v_mul_f32_e32 v4, v26, v4
	v_bfe_u32 v19, v10, 16, 1
	v_or_b32_e32 v20, 0x400000, v10
	v_cmp_u_f32_e64 s4, v10, v10
	v_add3_u32 v19, v19, v10, 0x7fff
	v_cndmask_b32_e64 v10, v19, v20, s4
	v_lshrrev_b32_e32 v111, 16, v10
	v_mul_f32_e32 v10, v26, v28
	v_bfe_u32 v19, v10, 16, 1
	v_or_b32_e32 v20, 0x400000, v10
	v_cmp_u_f32_e64 s4, v10, v10
	v_add3_u32 v19, v19, v10, 0x7fff
	v_cndmask_b32_e64 v10, v19, v20, s4
	v_lshrrev_b32_e32 v120, 16, v10
	;; [unrolled: 7-line block ×4, first 2 shown]
	v_mul_f32_e32 v10, v26, v12
	v_bfe_u32 v12, v10, 16, 1
	v_or_b32_e32 v13, 0x400000, v10
	v_cmp_u_f32_e64 s4, v10, v10
	v_add3_u32 v12, v12, v10, 0x7fff
	v_cndmask_b32_e64 v10, v12, v13, s4
	v_or_b32_e32 v12, 0x400000, v4
	v_cmp_u_f32_e64 s4, v4, v4
	v_lshrrev_b32_e32 v124, 16, v10
	v_bfe_u32 v10, v4, 16, 1
	v_add3_u32 v10, v10, v4, 0x7fff
	v_cndmask_b32_e64 v4, v10, v12, s4
	v_lshrrev_b32_e32 v125, 16, v4
	v_mul_f32_e32 v4, v26, v25
	v_bfe_u32 v10, v4, 16, 1
	v_or_b32_e32 v12, 0x400000, v4
	v_cmp_u_f32_e64 s4, v4, v4
	v_add3_u32 v10, v10, v4, 0x7fff
	v_cndmask_b32_e64 v4, v10, v12, s4
	v_lshrrev_b32_e32 v123, 16, v4
	v_mul_f32_e32 v4, v26, v21
	v_bfe_u32 v10, v4, 16, 1
	v_or_b32_e32 v12, 0x400000, v4
	v_cmp_u_f32_e64 s4, v4, v4
	v_add3_u32 v10, v10, v4, 0x7fff
	v_cndmask_b32_e64 v4, v10, v12, s4
	v_lshrrev_b32_e32 v126, 16, v4
	s_and_saveexec_b32 s12, vcc_lo
	s_cbranch_execz .LBB391_1521
; %bb.1520:                             ;   in Loop: Header=BB391_927 Depth=1
	v_cmp_lt_i32_e64 s4, v119, v35
	v_cndmask_b32_e64 v125, 0, v125, s4
	v_cmp_lt_i32_e64 s4, v57, v35
	v_cndmask_b32_e64 v124, 0, v124, s4
	;; [unrolled: 2-line block ×8, first 2 shown]
.LBB391_1521:                           ;   in Loop: Header=BB391_927 Depth=1
	s_or_b32 exec_lo, exec_lo, s12
	flat_load_dwordx2 v[19:20], v[17:18] offset:256
	v_mov_b32_e32 v16, 0
	v_mov_b32_e32 v13, 0
	s_waitcnt vmcnt(0) lgkmcnt(0)
	v_cmp_ne_u16_sdwa s4, v19, v11 src0_sel:BYTE_0 src1_sel:DWORD
	s_and_saveexec_b32 s12, s4
	s_cbranch_execz .LBB391_1529
; %bb.1522:                             ;   in Loop: Header=BB391_927 Depth=1
	v_cmp_ne_u16_sdwa s4, v19, v66 src0_sel:BYTE_0 src1_sel:DWORD
	v_bfrev_b32_e32 v13, 1
	s_and_saveexec_b32 s13, s4
	s_cbranch_execz .LBB391_1528
; %bb.1523:                             ;   in Loop: Header=BB391_927 Depth=1
	v_and_b32_e32 v10, 0x7f, v19
	v_mov_b32_e32 v13, 0x7f800001
	s_mov_b32 s15, exec_lo
	v_cmpx_ne_u32_e32 0x7f, v10
	s_cbranch_execz .LBB391_1527
; %bb.1524:                             ;   in Loop: Header=BB391_927 Depth=1
	v_mov_b32_e32 v24, v20
	v_lshrrev_b32_e32 v4, 3, v10
	v_mov_b32_e32 v23, v19
	s_mov_b32 s18, exec_lo
	v_cmpx_gt_u32_e32 8, v10
; %bb.1525:                             ;   in Loop: Header=BB391_927 Depth=1
	v_and_b32_e32 v4, 7, v19
	v_ffbh_u32_e32 v4, v4
	v_min_u32_e32 v4, 32, v4
	v_subrev_nc_u32_e32 v10, 28, v4
	v_sub_nc_u32_e32 v4, 29, v4
	v_lshlrev_b64 v[23:24], v10, v[19:20]
; %bb.1526:                             ;   in Loop: Header=BB391_927 Depth=1
	s_or_b32 exec_lo, exec_lo, s18
	v_lshlrev_b32_e32 v10, 20, v23
	v_lshlrev_b32_e32 v12, 24, v19
	v_lshl_add_u32 v4, v4, 23, 0x3c000000
	v_and_b32_e32 v10, 0x700000, v10
	v_and_b32_e32 v12, 0x80000000, v12
	v_or3_b32 v13, v10, v12, v4
.LBB391_1527:                           ;   in Loop: Header=BB391_927 Depth=1
	s_or_b32 exec_lo, exec_lo, s15
.LBB391_1528:                           ;   in Loop: Header=BB391_927 Depth=1
	s_or_b32 exec_lo, exec_lo, s13
.LBB391_1529:                           ;   in Loop: Header=BB391_927 Depth=1
	s_or_b32 exec_lo, exec_lo, s12
	v_cmp_ne_u16_sdwa s4, v19, v11 src0_sel:BYTE_1 src1_sel:DWORD
	s_and_saveexec_b32 s12, s4
	s_cbranch_execz .LBB391_1537
; %bb.1530:                             ;   in Loop: Header=BB391_927 Depth=1
	v_cmp_ne_u16_sdwa s4, v19, v66 src0_sel:BYTE_1 src1_sel:DWORD
	v_bfrev_b32_e32 v16, 1
	s_and_saveexec_b32 s13, s4
	s_cbranch_execz .LBB391_1536
; %bb.1531:                             ;   in Loop: Header=BB391_927 Depth=1
	v_mov_b32_e32 v4, 0xffff
	v_mov_b32_e32 v16, 0x7f800001
	s_mov_b32 s15, exec_lo
	v_and_b32_sdwa v4, v4, v19 dst_sel:DWORD dst_unused:UNUSED_PAD src0_sel:DWORD src1_sel:BYTE_1
	v_and_b32_e32 v12, 0x7f, v4
	v_cmpx_ne_u32_e32 0x7f, v12
	s_cbranch_execz .LBB391_1535
; %bb.1532:                             ;   in Loop: Header=BB391_927 Depth=1
	v_and_b32_e32 v10, 7, v4
	v_mov_b32_e32 v24, v11
	v_lshrrev_b32_e32 v4, 3, v12
	s_mov_b32 s18, exec_lo
	v_mov_b32_e32 v23, v10
	v_cmpx_gt_u32_e32 8, v12
; %bb.1533:                             ;   in Loop: Header=BB391_927 Depth=1
	v_ffbh_u32_e32 v4, v10
	v_min_u32_e32 v4, 32, v4
	v_subrev_nc_u32_e32 v12, 28, v4
	v_sub_nc_u32_e32 v4, 29, v4
	v_lshlrev_b64 v[23:24], v12, v[10:11]
	v_and_b32_e32 v23, 7, v23
; %bb.1534:                             ;   in Loop: Header=BB391_927 Depth=1
	s_or_b32 exec_lo, exec_lo, s18
	v_lshlrev_b32_e32 v10, 16, v19
	v_lshlrev_b32_e32 v12, 20, v23
	v_lshl_add_u32 v4, v4, 23, 0x3c000000
	v_and_b32_e32 v10, 0x80000000, v10
	v_or3_b32 v16, v12, v10, v4
.LBB391_1535:                           ;   in Loop: Header=BB391_927 Depth=1
	s_or_b32 exec_lo, exec_lo, s15
.LBB391_1536:                           ;   in Loop: Header=BB391_927 Depth=1
	s_or_b32 exec_lo, exec_lo, s13
.LBB391_1537:                           ;   in Loop: Header=BB391_927 Depth=1
	s_or_b32 exec_lo, exec_lo, s12
	v_and_b32_sdwa v10, v19, v68 dst_sel:DWORD dst_unused:UNUSED_PAD src0_sel:WORD_1 src1_sel:DWORD
	v_mov_b32_e32 v4, 0
	v_mov_b32_e32 v12, 0
	s_mov_b32 s12, exec_lo
	v_cmpx_ne_u16_e32 0, v10
	s_cbranch_execz .LBB391_1545
; %bb.1538:                             ;   in Loop: Header=BB391_927 Depth=1
	v_bfrev_b32_e32 v12, 1
	s_mov_b32 s13, exec_lo
	v_cmpx_ne_u16_e32 0x80, v10
	s_cbranch_execz .LBB391_1544
; %bb.1539:                             ;   in Loop: Header=BB391_927 Depth=1
	v_bfe_u32 v21, v19, 16, 7
	v_mov_b32_e32 v12, 0x7f800001
	s_mov_b32 s15, exec_lo
	v_cmpx_ne_u32_e32 0x7f, v21
	s_cbranch_execz .LBB391_1543
; %bb.1540:                             ;   in Loop: Header=BB391_927 Depth=1
	v_mov_b32_e32 v10, 7
	v_lshrrev_b32_e32 v12, 3, v21
	s_mov_b32 s18, exec_lo
	v_and_b32_sdwa v10, v19, v10 dst_sel:DWORD dst_unused:UNUSED_PAD src0_sel:WORD_1 src1_sel:DWORD
	v_mov_b32_e32 v24, v11
	v_mov_b32_e32 v23, v10
	v_cmpx_gt_u32_e32 8, v21
; %bb.1541:                             ;   in Loop: Header=BB391_927 Depth=1
	v_ffbh_u32_e32 v12, v10
	v_min_u32_e32 v12, 32, v12
	v_subrev_nc_u32_e32 v21, 28, v12
	v_sub_nc_u32_e32 v12, 29, v12
	v_lshlrev_b64 v[23:24], v21, v[10:11]
	v_and_b32_e32 v23, 7, v23
; %bb.1542:                             ;   in Loop: Header=BB391_927 Depth=1
	s_or_b32 exec_lo, exec_lo, s18
	v_mov_b32_e32 v10, 24
	v_lshlrev_b32_e32 v21, 20, v23
	v_lshl_add_u32 v12, v12, 23, 0x3c000000
	v_lshlrev_b32_sdwa v10, v10, v19 dst_sel:DWORD dst_unused:UNUSED_PAD src0_sel:DWORD src1_sel:WORD_1
	v_and_b32_e32 v10, 0x80000000, v10
	v_or3_b32 v12, v21, v10, v12
.LBB391_1543:                           ;   in Loop: Header=BB391_927 Depth=1
	s_or_b32 exec_lo, exec_lo, s15
.LBB391_1544:                           ;   in Loop: Header=BB391_927 Depth=1
	s_or_b32 exec_lo, exec_lo, s13
.LBB391_1545:                           ;   in Loop: Header=BB391_927 Depth=1
	s_or_b32 exec_lo, exec_lo, s12
	s_mov_b32 s12, exec_lo
	v_cmpx_lt_u32_e32 0xffffff, v19
	s_cbranch_execz .LBB391_1553
; %bb.1546:                             ;   in Loop: Header=BB391_927 Depth=1
	v_cmp_ne_u32_sdwa s4, v19, v66 src0_sel:BYTE_3 src1_sel:DWORD
	v_bfrev_b32_e32 v4, 1
	s_and_saveexec_b32 s13, s4
	s_cbranch_execz .LBB391_1552
; %bb.1547:                             ;   in Loop: Header=BB391_927 Depth=1
	v_bfe_u32 v21, v19, 24, 7
	v_mov_b32_e32 v4, 0x7f800001
	s_mov_b32 s15, exec_lo
	v_cmpx_ne_u32_e32 0x7f, v21
	s_cbranch_execz .LBB391_1551
; %bb.1548:                             ;   in Loop: Header=BB391_927 Depth=1
	v_mov_b32_e32 v4, 7
	s_mov_b32 s18, exec_lo
	v_and_b32_sdwa v10, v19, v4 dst_sel:DWORD dst_unused:UNUSED_PAD src0_sel:BYTE_3 src1_sel:DWORD
	v_mov_b32_e32 v24, v11
	v_lshrrev_b32_e32 v4, 3, v21
	v_mov_b32_e32 v23, v10
	v_cmpx_gt_u32_e32 8, v21
; %bb.1549:                             ;   in Loop: Header=BB391_927 Depth=1
	v_ffbh_u32_e32 v4, v10
	v_min_u32_e32 v4, 32, v4
	v_subrev_nc_u32_e32 v21, 28, v4
	v_sub_nc_u32_e32 v4, 29, v4
	v_lshlrev_b64 v[23:24], v21, v[10:11]
	v_and_b32_e32 v23, 7, v23
; %bb.1550:                             ;   in Loop: Header=BB391_927 Depth=1
	s_or_b32 exec_lo, exec_lo, s18
	v_mov_b32_e32 v10, 24
	v_lshlrev_b32_e32 v21, 20, v23
	v_lshl_add_u32 v4, v4, 23, 0x3c000000
	v_lshlrev_b32_sdwa v10, v10, v19 dst_sel:DWORD dst_unused:UNUSED_PAD src0_sel:DWORD src1_sel:BYTE_3
	v_and_b32_e32 v10, 0x80000000, v10
	v_or3_b32 v4, v21, v10, v4
.LBB391_1551:                           ;   in Loop: Header=BB391_927 Depth=1
	s_or_b32 exec_lo, exec_lo, s15
.LBB391_1552:                           ;   in Loop: Header=BB391_927 Depth=1
	s_or_b32 exec_lo, exec_lo, s13
.LBB391_1553:                           ;   in Loop: Header=BB391_927 Depth=1
	s_or_b32 exec_lo, exec_lo, s12
	v_mov_b32_e32 v10, v20
	v_cmp_ne_u16_sdwa s4, v20, v11 src0_sel:BYTE_0 src1_sel:DWORD
	v_mov_b32_e32 v25, 0
	v_mov_b32_e32 v21, 0
	s_and_saveexec_b32 s12, s4
	s_cbranch_execz .LBB391_1561
; %bb.1554:                             ;   in Loop: Header=BB391_927 Depth=1
	v_cmp_ne_u16_sdwa s4, v20, v66 src0_sel:BYTE_0 src1_sel:DWORD
	v_bfrev_b32_e32 v21, 1
	s_and_saveexec_b32 s13, s4
	s_cbranch_execz .LBB391_1560
; %bb.1555:                             ;   in Loop: Header=BB391_927 Depth=1
	v_and_b32_e32 v23, 0x7f, v20
	v_mov_b32_e32 v21, 0x7f800001
	s_mov_b32 s15, exec_lo
	v_cmpx_ne_u32_e32 0x7f, v23
	s_cbranch_execz .LBB391_1559
; %bb.1556:                             ;   in Loop: Header=BB391_927 Depth=1
	v_lshrrev_b32_e32 v21, 3, v23
	v_cmp_gt_u32_e64 s4, 8, v23
	v_mov_b32_e32 v24, v11
	v_mov_b32_e32 v23, v10
	s_and_saveexec_b32 s18, s4
; %bb.1557:                             ;   in Loop: Header=BB391_927 Depth=1
	v_and_b32_e32 v21, 7, v20
	v_ffbh_u32_e32 v21, v21
	v_min_u32_e32 v21, 32, v21
	v_subrev_nc_u32_e32 v23, 28, v21
	v_sub_nc_u32_e32 v21, 29, v21
	v_lshlrev_b64 v[23:24], v23, v[10:11]
; %bb.1558:                             ;   in Loop: Header=BB391_927 Depth=1
	s_or_b32 exec_lo, exec_lo, s18
	v_lshlrev_b32_e32 v23, 20, v23
	v_lshlrev_b32_e32 v24, 24, v10
	v_lshl_add_u32 v21, v21, 23, 0x3c000000
	v_and_b32_e32 v23, 0x700000, v23
	v_and_b32_e32 v24, 0x80000000, v24
	v_or3_b32 v21, v23, v24, v21
.LBB391_1559:                           ;   in Loop: Header=BB391_927 Depth=1
	s_or_b32 exec_lo, exec_lo, s15
.LBB391_1560:                           ;   in Loop: Header=BB391_927 Depth=1
	s_or_b32 exec_lo, exec_lo, s13
.LBB391_1561:                           ;   in Loop: Header=BB391_927 Depth=1
	s_or_b32 exec_lo, exec_lo, s12
	v_cmp_ne_u16_sdwa s4, v10, v11 src0_sel:BYTE_1 src1_sel:DWORD
	s_and_saveexec_b32 s12, s4
	s_cbranch_execz .LBB391_1569
; %bb.1562:                             ;   in Loop: Header=BB391_927 Depth=1
	v_cmp_ne_u16_sdwa s4, v10, v66 src0_sel:BYTE_1 src1_sel:DWORD
	v_bfrev_b32_e32 v25, 1
	s_and_saveexec_b32 s13, s4
	s_cbranch_execz .LBB391_1568
; %bb.1563:                             ;   in Loop: Header=BB391_927 Depth=1
	v_mov_b32_e32 v23, 0xffff
	v_mov_b32_e32 v25, 0x7f800001
	s_mov_b32 s15, exec_lo
	v_and_b32_sdwa v23, v23, v10 dst_sel:DWORD dst_unused:UNUSED_PAD src0_sel:DWORD src1_sel:BYTE_1
	v_and_b32_e32 v28, 0x7f, v23
	v_cmpx_ne_u32_e32 0x7f, v28
	s_cbranch_execz .LBB391_1567
; %bb.1564:                             ;   in Loop: Header=BB391_927 Depth=1
	v_and_b32_e32 v23, 7, v23
	v_mov_b32_e32 v24, v11
	v_lshrrev_b32_e32 v25, 3, v28
	s_mov_b32 s18, exec_lo
	v_cmpx_gt_u32_e32 8, v28
; %bb.1565:                             ;   in Loop: Header=BB391_927 Depth=1
	v_ffbh_u32_e32 v25, v23
	v_min_u32_e32 v25, 32, v25
	v_subrev_nc_u32_e32 v28, 28, v25
	v_sub_nc_u32_e32 v25, 29, v25
	v_lshlrev_b64 v[23:24], v28, v[23:24]
	v_and_b32_e32 v23, 7, v23
; %bb.1566:                             ;   in Loop: Header=BB391_927 Depth=1
	s_or_b32 exec_lo, exec_lo, s18
	v_lshlrev_b32_e32 v10, 16, v10
	v_lshlrev_b32_e32 v23, 20, v23
	v_lshl_add_u32 v24, v25, 23, 0x3c000000
	v_and_b32_e32 v10, 0x80000000, v10
	v_or3_b32 v25, v23, v10, v24
.LBB391_1567:                           ;   in Loop: Header=BB391_927 Depth=1
	s_or_b32 exec_lo, exec_lo, s15
.LBB391_1568:                           ;   in Loop: Header=BB391_927 Depth=1
	s_or_b32 exec_lo, exec_lo, s13
.LBB391_1569:                           ;   in Loop: Header=BB391_927 Depth=1
	s_or_b32 exec_lo, exec_lo, s12
	v_and_b32_sdwa v10, v20, v68 dst_sel:DWORD dst_unused:UNUSED_PAD src0_sel:WORD_1 src1_sel:DWORD
	v_mov_b32_e32 v67, 0
	v_mov_b32_e32 v69, 0
	s_mov_b32 s12, exec_lo
	v_cmpx_ne_u16_e32 0, v10
	s_cbranch_execz .LBB391_1577
; %bb.1570:                             ;   in Loop: Header=BB391_927 Depth=1
	v_bfrev_b32_e32 v69, 1
	s_mov_b32 s13, exec_lo
	v_cmpx_ne_u16_e32 0x80, v10
	s_cbranch_execz .LBB391_1576
; %bb.1571:                             ;   in Loop: Header=BB391_927 Depth=1
	v_bfe_u32 v23, v20, 16, 7
	v_mov_b32_e32 v69, 0x7f800001
	s_mov_b32 s15, exec_lo
	v_cmpx_ne_u32_e32 0x7f, v23
	s_cbranch_execz .LBB391_1575
; %bb.1572:                             ;   in Loop: Header=BB391_927 Depth=1
	v_mov_b32_e32 v10, 7
	v_lshrrev_b32_e32 v28, 3, v23
	v_cmp_gt_u32_e64 s4, 8, v23
	v_and_b32_sdwa v10, v20, v10 dst_sel:DWORD dst_unused:UNUSED_PAD src0_sel:WORD_1 src1_sel:DWORD
	v_mov_b32_e32 v24, v11
	v_mov_b32_e32 v23, v10
	s_and_saveexec_b32 s18, s4
; %bb.1573:                             ;   in Loop: Header=BB391_927 Depth=1
	v_ffbh_u32_e32 v23, v10
	v_min_u32_e32 v28, 32, v23
	v_subrev_nc_u32_e32 v23, 28, v28
	v_sub_nc_u32_e32 v28, 29, v28
	v_lshlrev_b64 v[23:24], v23, v[10:11]
	v_and_b32_e32 v23, 7, v23
; %bb.1574:                             ;   in Loop: Header=BB391_927 Depth=1
	s_or_b32 exec_lo, exec_lo, s18
	v_mov_b32_e32 v10, 24
	v_lshlrev_b32_e32 v23, 20, v23
	v_lshl_add_u32 v24, v28, 23, 0x3c000000
	v_lshlrev_b32_sdwa v10, v10, v20 dst_sel:DWORD dst_unused:UNUSED_PAD src0_sel:DWORD src1_sel:WORD_1
	v_and_b32_e32 v10, 0x80000000, v10
	v_or3_b32 v69, v23, v10, v24
.LBB391_1575:                           ;   in Loop: Header=BB391_927 Depth=1
	s_or_b32 exec_lo, exec_lo, s15
.LBB391_1576:                           ;   in Loop: Header=BB391_927 Depth=1
	s_or_b32 exec_lo, exec_lo, s13
.LBB391_1577:                           ;   in Loop: Header=BB391_927 Depth=1
	s_or_b32 exec_lo, exec_lo, s12
	s_mov_b32 s12, exec_lo
	v_cmpx_lt_u64_e64 s[8:9], v[19:20]
	s_cbranch_execz .LBB391_1585
; %bb.1578:                             ;   in Loop: Header=BB391_927 Depth=1
	v_cmp_ne_u32_sdwa s4, v20, v66 src0_sel:BYTE_3 src1_sel:DWORD
	v_bfrev_b32_e32 v67, 1
	s_and_saveexec_b32 s13, s4
	s_cbranch_execz .LBB391_1584
; %bb.1579:                             ;   in Loop: Header=BB391_927 Depth=1
	v_bfe_u32 v23, v20, 24, 7
	v_mov_b32_e32 v67, 0x7f800001
	s_mov_b32 s15, exec_lo
	v_cmpx_ne_u32_e32 0x7f, v23
	s_cbranch_execz .LBB391_1583
; %bb.1580:                             ;   in Loop: Header=BB391_927 Depth=1
	v_mov_b32_e32 v10, 7
	v_lshrrev_b32_e32 v19, 3, v23
	v_cmp_gt_u32_e64 s4, 8, v23
	v_and_b32_sdwa v10, v20, v10 dst_sel:DWORD dst_unused:UNUSED_PAD src0_sel:BYTE_3 src1_sel:DWORD
	v_mov_b32_e32 v24, v11
	v_mov_b32_e32 v23, v10
	s_and_saveexec_b32 s18, s4
; %bb.1581:                             ;   in Loop: Header=BB391_927 Depth=1
	v_ffbh_u32_e32 v19, v10
	v_min_u32_e32 v19, 32, v19
	v_subrev_nc_u32_e32 v23, 28, v19
	v_sub_nc_u32_e32 v19, 29, v19
	v_lshlrev_b64 v[23:24], v23, v[10:11]
	v_and_b32_e32 v23, 7, v23
; %bb.1582:                             ;   in Loop: Header=BB391_927 Depth=1
	s_or_b32 exec_lo, exec_lo, s18
	v_mov_b32_e32 v10, 24
	v_lshl_add_u32 v19, v19, 23, 0x3c000000
	v_lshlrev_b32_sdwa v10, v10, v20 dst_sel:DWORD dst_unused:UNUSED_PAD src0_sel:DWORD src1_sel:BYTE_3
	v_lshlrev_b32_e32 v20, 20, v23
	v_and_b32_e32 v10, 0x80000000, v10
	v_or3_b32 v67, v20, v10, v19
.LBB391_1583:                           ;   in Loop: Header=BB391_927 Depth=1
	s_or_b32 exec_lo, exec_lo, s15
.LBB391_1584:                           ;   in Loop: Header=BB391_927 Depth=1
	s_or_b32 exec_lo, exec_lo, s13
.LBB391_1585:                           ;   in Loop: Header=BB391_927 Depth=1
	s_or_b32 exec_lo, exec_lo, s12
	v_mul_f32_e32 v10, v26, v25
	v_mul_f32_e32 v4, v26, v4
	v_bfe_u32 v19, v10, 16, 1
	v_or_b32_e32 v20, 0x400000, v10
	v_cmp_u_f32_e64 s4, v10, v10
	v_add3_u32 v19, v19, v10, 0x7fff
	v_cndmask_b32_e64 v10, v19, v20, s4
	v_lshrrev_b32_e32 v127, 16, v10
	v_mul_f32_e32 v10, v26, v21
	v_bfe_u32 v19, v10, 16, 1
	v_or_b32_e32 v20, 0x400000, v10
	v_cmp_u_f32_e64 s4, v10, v10
	v_add3_u32 v19, v19, v10, 0x7fff
	v_cndmask_b32_e64 v10, v19, v20, s4
	v_or_b32_e32 v19, 0x400000, v4
	v_cmp_u_f32_e64 s4, v4, v4
	v_lshrrev_b32_e32 v28, 16, v10
	v_bfe_u32 v10, v4, 16, 1
	v_add3_u32 v10, v10, v4, 0x7fff
	v_cndmask_b32_e64 v4, v10, v19, s4
	v_mul_f32_e32 v10, v26, v12
	v_lshrrev_b32_e32 v4, 16, v4
	v_bfe_u32 v12, v10, 16, 1
	v_or_b32_e32 v19, 0x400000, v10
	v_cmp_u_f32_e64 s4, v10, v10
	v_add3_u32 v12, v12, v10, 0x7fff
	v_cndmask_b32_e64 v10, v12, v19, s4
	v_lshrrev_b32_e32 v12, 16, v10
	v_mul_f32_e32 v10, v26, v16
	v_bfe_u32 v16, v10, 16, 1
	v_or_b32_e32 v19, 0x400000, v10
	v_cmp_u_f32_e64 s4, v10, v10
	v_add3_u32 v16, v16, v10, 0x7fff
	v_cndmask_b32_e64 v10, v16, v19, s4
	v_lshrrev_b32_e32 v21, 16, v10
	v_mul_f32_e32 v10, v26, v13
	;; [unrolled: 7-line block ×4, first 2 shown]
	v_bfe_u32 v16, v10, 16, 1
	v_or_b32_e32 v19, 0x400000, v10
	v_cmp_u_f32_e64 s4, v10, v10
	v_add3_u32 v16, v16, v10, 0x7fff
	v_cndmask_b32_e64 v10, v16, v19, s4
	v_lshrrev_b32_e32 v71, 16, v10
	s_and_saveexec_b32 s12, vcc_lo
	s_cbranch_execz .LBB391_1587
; %bb.1586:                             ;   in Loop: Header=BB391_927 Depth=1
	v_cmp_lt_i32_e64 s4, v119, v35
	v_cndmask_b32_e64 v25, 0, v25, s4
	v_cmp_lt_i32_e64 s4, v57, v35
	v_cndmask_b32_e64 v21, 0, v21, s4
	;; [unrolled: 2-line block ×8, first 2 shown]
.LBB391_1587:                           ;   in Loop: Header=BB391_927 Depth=1
	s_or_b32 exec_lo, exec_lo, s12
	flat_load_dwordx2 v[19:20], v[17:18] offset:512
	v_mov_b32_e32 v67, 0
	v_mov_b32_e32 v16, 0
	s_waitcnt vmcnt(0) lgkmcnt(0)
	v_cmp_ne_u16_sdwa s4, v19, v11 src0_sel:BYTE_0 src1_sel:DWORD
	s_and_saveexec_b32 s12, s4
	s_cbranch_execz .LBB391_1595
; %bb.1588:                             ;   in Loop: Header=BB391_927 Depth=1
	v_cmp_ne_u16_sdwa s4, v19, v66 src0_sel:BYTE_0 src1_sel:DWORD
	v_bfrev_b32_e32 v16, 1
	s_and_saveexec_b32 s13, s4
	s_cbranch_execz .LBB391_1594
; %bb.1589:                             ;   in Loop: Header=BB391_927 Depth=1
	v_and_b32_e32 v23, 0x7f, v19
	v_mov_b32_e32 v16, 0x7f800001
	s_mov_b32 s15, exec_lo
	v_cmpx_ne_u32_e32 0x7f, v23
	s_cbranch_execz .LBB391_1593
; %bb.1590:                             ;   in Loop: Header=BB391_927 Depth=1
	v_lshrrev_b32_e32 v10, 3, v23
	v_cmp_gt_u32_e64 s4, 8, v23
	v_mov_b32_e32 v24, v20
	v_mov_b32_e32 v23, v19
	s_and_saveexec_b32 s18, s4
; %bb.1591:                             ;   in Loop: Header=BB391_927 Depth=1
	v_and_b32_e32 v10, 7, v19
	v_ffbh_u32_e32 v10, v10
	v_min_u32_e32 v10, 32, v10
	v_subrev_nc_u32_e32 v16, 28, v10
	v_sub_nc_u32_e32 v10, 29, v10
	v_lshlrev_b64 v[23:24], v16, v[19:20]
; %bb.1592:                             ;   in Loop: Header=BB391_927 Depth=1
	s_or_b32 exec_lo, exec_lo, s18
	v_lshlrev_b32_e32 v16, 20, v23
	v_lshlrev_b32_e32 v23, 24, v19
	v_lshl_add_u32 v10, v10, 23, 0x3c000000
	v_and_b32_e32 v16, 0x700000, v16
	v_and_b32_e32 v23, 0x80000000, v23
	v_or3_b32 v16, v16, v23, v10
.LBB391_1593:                           ;   in Loop: Header=BB391_927 Depth=1
	s_or_b32 exec_lo, exec_lo, s15
.LBB391_1594:                           ;   in Loop: Header=BB391_927 Depth=1
	s_or_b32 exec_lo, exec_lo, s13
.LBB391_1595:                           ;   in Loop: Header=BB391_927 Depth=1
	s_or_b32 exec_lo, exec_lo, s12
	v_cmp_ne_u16_sdwa s4, v19, v11 src0_sel:BYTE_1 src1_sel:DWORD
	s_and_saveexec_b32 s12, s4
	s_cbranch_execz .LBB391_1603
; %bb.1596:                             ;   in Loop: Header=BB391_927 Depth=1
	v_cmp_ne_u16_sdwa s4, v19, v66 src0_sel:BYTE_1 src1_sel:DWORD
	v_bfrev_b32_e32 v67, 1
	s_and_saveexec_b32 s13, s4
	s_cbranch_execz .LBB391_1602
; %bb.1597:                             ;   in Loop: Header=BB391_927 Depth=1
	v_mov_b32_e32 v10, 0xffff
	v_mov_b32_e32 v67, 0x7f800001
	s_mov_b32 s15, exec_lo
	v_and_b32_sdwa v10, v10, v19 dst_sel:DWORD dst_unused:UNUSED_PAD src0_sel:DWORD src1_sel:BYTE_1
	v_and_b32_e32 v23, 0x7f, v10
	v_cmpx_ne_u32_e32 0x7f, v23
	s_cbranch_execz .LBB391_1601
; %bb.1598:                             ;   in Loop: Header=BB391_927 Depth=1
	v_and_b32_e32 v10, 7, v10
	v_lshrrev_b32_e32 v67, 3, v23
	v_cmp_gt_u32_e64 s4, 8, v23
	v_mov_b32_e32 v24, v11
	v_mov_b32_e32 v23, v10
	s_and_saveexec_b32 s18, s4
; %bb.1599:                             ;   in Loop: Header=BB391_927 Depth=1
	v_ffbh_u32_e32 v23, v10
	v_min_u32_e32 v67, 32, v23
	v_subrev_nc_u32_e32 v23, 28, v67
	v_sub_nc_u32_e32 v67, 29, v67
	v_lshlrev_b64 v[23:24], v23, v[10:11]
	v_and_b32_e32 v23, 7, v23
; %bb.1600:                             ;   in Loop: Header=BB391_927 Depth=1
	s_or_b32 exec_lo, exec_lo, s18
	v_lshlrev_b32_e32 v10, 16, v19
	v_lshlrev_b32_e32 v23, 20, v23
	v_lshl_add_u32 v24, v67, 23, 0x3c000000
	v_and_b32_e32 v10, 0x80000000, v10
	v_or3_b32 v67, v23, v10, v24
.LBB391_1601:                           ;   in Loop: Header=BB391_927 Depth=1
	s_or_b32 exec_lo, exec_lo, s15
.LBB391_1602:                           ;   in Loop: Header=BB391_927 Depth=1
	s_or_b32 exec_lo, exec_lo, s13
.LBB391_1603:                           ;   in Loop: Header=BB391_927 Depth=1
	s_or_b32 exec_lo, exec_lo, s12
	v_and_b32_sdwa v10, v19, v68 dst_sel:DWORD dst_unused:UNUSED_PAD src0_sel:WORD_1 src1_sel:DWORD
	v_mov_b32_e32 v70, 0
	v_mov_b32_e32 v69, 0
	s_mov_b32 s12, exec_lo
	v_cmpx_ne_u16_e32 0, v10
	s_cbranch_execz .LBB391_1611
; %bb.1604:                             ;   in Loop: Header=BB391_927 Depth=1
	v_bfrev_b32_e32 v69, 1
	s_mov_b32 s13, exec_lo
	v_cmpx_ne_u16_e32 0x80, v10
	s_cbranch_execz .LBB391_1610
; %bb.1605:                             ;   in Loop: Header=BB391_927 Depth=1
	v_bfe_u32 v23, v19, 16, 7
	v_mov_b32_e32 v69, 0x7f800001
	s_mov_b32 s15, exec_lo
	v_cmpx_ne_u32_e32 0x7f, v23
	s_cbranch_execz .LBB391_1609
; %bb.1606:                             ;   in Loop: Header=BB391_927 Depth=1
	v_mov_b32_e32 v10, 7
	v_lshrrev_b32_e32 v69, 3, v23
	v_cmp_gt_u32_e64 s4, 8, v23
	v_and_b32_sdwa v10, v19, v10 dst_sel:DWORD dst_unused:UNUSED_PAD src0_sel:WORD_1 src1_sel:DWORD
	v_mov_b32_e32 v24, v11
	v_mov_b32_e32 v23, v10
	s_and_saveexec_b32 s18, s4
; %bb.1607:                             ;   in Loop: Header=BB391_927 Depth=1
	v_ffbh_u32_e32 v23, v10
	v_min_u32_e32 v69, 32, v23
	v_subrev_nc_u32_e32 v23, 28, v69
	v_sub_nc_u32_e32 v69, 29, v69
	v_lshlrev_b64 v[23:24], v23, v[10:11]
	v_and_b32_e32 v23, 7, v23
; %bb.1608:                             ;   in Loop: Header=BB391_927 Depth=1
	s_or_b32 exec_lo, exec_lo, s18
	v_mov_b32_e32 v10, 24
	v_lshlrev_b32_e32 v23, 20, v23
	v_lshl_add_u32 v24, v69, 23, 0x3c000000
	v_lshlrev_b32_sdwa v10, v10, v19 dst_sel:DWORD dst_unused:UNUSED_PAD src0_sel:DWORD src1_sel:WORD_1
	v_and_b32_e32 v10, 0x80000000, v10
	v_or3_b32 v69, v23, v10, v24
.LBB391_1609:                           ;   in Loop: Header=BB391_927 Depth=1
	s_or_b32 exec_lo, exec_lo, s15
.LBB391_1610:                           ;   in Loop: Header=BB391_927 Depth=1
	s_or_b32 exec_lo, exec_lo, s13
.LBB391_1611:                           ;   in Loop: Header=BB391_927 Depth=1
	s_or_b32 exec_lo, exec_lo, s12
	s_mov_b32 s12, exec_lo
	v_cmpx_lt_u32_e32 0xffffff, v19
	s_cbranch_execz .LBB391_1619
; %bb.1612:                             ;   in Loop: Header=BB391_927 Depth=1
	v_cmp_ne_u32_sdwa s4, v19, v66 src0_sel:BYTE_3 src1_sel:DWORD
	v_bfrev_b32_e32 v70, 1
	s_and_saveexec_b32 s13, s4
	s_cbranch_execz .LBB391_1618
; %bb.1613:                             ;   in Loop: Header=BB391_927 Depth=1
	v_bfe_u32 v23, v19, 24, 7
	v_mov_b32_e32 v70, 0x7f800001
	s_mov_b32 s15, exec_lo
	v_cmpx_ne_u32_e32 0x7f, v23
	s_cbranch_execz .LBB391_1617
; %bb.1614:                             ;   in Loop: Header=BB391_927 Depth=1
	v_mov_b32_e32 v10, 7
	v_lshrrev_b32_e32 v70, 3, v23
	v_cmp_gt_u32_e64 s4, 8, v23
	v_and_b32_sdwa v10, v19, v10 dst_sel:DWORD dst_unused:UNUSED_PAD src0_sel:BYTE_3 src1_sel:DWORD
	v_mov_b32_e32 v24, v11
	v_mov_b32_e32 v23, v10
	s_and_saveexec_b32 s18, s4
; %bb.1615:                             ;   in Loop: Header=BB391_927 Depth=1
	v_ffbh_u32_e32 v23, v10
	v_min_u32_e32 v70, 32, v23
	v_subrev_nc_u32_e32 v23, 28, v70
	v_sub_nc_u32_e32 v70, 29, v70
	v_lshlrev_b64 v[23:24], v23, v[10:11]
	v_and_b32_e32 v23, 7, v23
; %bb.1616:                             ;   in Loop: Header=BB391_927 Depth=1
	s_or_b32 exec_lo, exec_lo, s18
	v_mov_b32_e32 v10, 24
	v_lshlrev_b32_e32 v23, 20, v23
	v_lshl_add_u32 v24, v70, 23, 0x3c000000
	v_lshlrev_b32_sdwa v10, v10, v19 dst_sel:DWORD dst_unused:UNUSED_PAD src0_sel:DWORD src1_sel:BYTE_3
	v_and_b32_e32 v10, 0x80000000, v10
	v_or3_b32 v70, v23, v10, v24
.LBB391_1617:                           ;   in Loop: Header=BB391_927 Depth=1
	s_or_b32 exec_lo, exec_lo, s15
.LBB391_1618:                           ;   in Loop: Header=BB391_927 Depth=1
	s_or_b32 exec_lo, exec_lo, s13
.LBB391_1619:                           ;   in Loop: Header=BB391_927 Depth=1
	s_or_b32 exec_lo, exec_lo, s12
	v_mov_b32_e32 v10, v20
	v_cmp_ne_u16_sdwa s4, v20, v11 src0_sel:BYTE_0 src1_sel:DWORD
	v_mov_b32_e32 v80, 0
	v_mov_b32_e32 v81, 0
	s_and_saveexec_b32 s12, s4
	s_cbranch_execz .LBB391_1627
; %bb.1620:                             ;   in Loop: Header=BB391_927 Depth=1
	v_cmp_ne_u16_sdwa s4, v20, v66 src0_sel:BYTE_0 src1_sel:DWORD
	v_bfrev_b32_e32 v81, 1
	s_and_saveexec_b32 s13, s4
	s_cbranch_execz .LBB391_1626
; %bb.1621:                             ;   in Loop: Header=BB391_927 Depth=1
	v_and_b32_e32 v23, 0x7f, v20
	v_mov_b32_e32 v81, 0x7f800001
	s_mov_b32 s15, exec_lo
	v_cmpx_ne_u32_e32 0x7f, v23
	s_cbranch_execz .LBB391_1625
; %bb.1622:                             ;   in Loop: Header=BB391_927 Depth=1
	v_lshrrev_b32_e32 v81, 3, v23
	v_cmp_gt_u32_e64 s4, 8, v23
	v_mov_b32_e32 v24, v11
	v_mov_b32_e32 v23, v10
	s_and_saveexec_b32 s18, s4
; %bb.1623:                             ;   in Loop: Header=BB391_927 Depth=1
	v_and_b32_e32 v23, 7, v20
	v_ffbh_u32_e32 v23, v23
	v_min_u32_e32 v81, 32, v23
	v_subrev_nc_u32_e32 v23, 28, v81
	v_sub_nc_u32_e32 v81, 29, v81
	v_lshlrev_b64 v[23:24], v23, v[10:11]
; %bb.1624:                             ;   in Loop: Header=BB391_927 Depth=1
	s_or_b32 exec_lo, exec_lo, s18
	v_lshlrev_b32_e32 v23, 20, v23
	v_lshlrev_b32_e32 v24, 24, v10
	v_lshl_add_u32 v81, v81, 23, 0x3c000000
	v_and_b32_e32 v23, 0x700000, v23
	v_and_b32_e32 v24, 0x80000000, v24
	v_or3_b32 v81, v23, v24, v81
.LBB391_1625:                           ;   in Loop: Header=BB391_927 Depth=1
	s_or_b32 exec_lo, exec_lo, s15
.LBB391_1626:                           ;   in Loop: Header=BB391_927 Depth=1
	s_or_b32 exec_lo, exec_lo, s13
.LBB391_1627:                           ;   in Loop: Header=BB391_927 Depth=1
	s_or_b32 exec_lo, exec_lo, s12
	v_cmp_ne_u16_sdwa s4, v10, v11 src0_sel:BYTE_1 src1_sel:DWORD
	s_and_saveexec_b32 s12, s4
	s_cbranch_execz .LBB391_1635
; %bb.1628:                             ;   in Loop: Header=BB391_927 Depth=1
	v_cmp_ne_u16_sdwa s4, v10, v66 src0_sel:BYTE_1 src1_sel:DWORD
	v_bfrev_b32_e32 v80, 1
	s_and_saveexec_b32 s13, s4
	s_cbranch_execz .LBB391_1634
; %bb.1629:                             ;   in Loop: Header=BB391_927 Depth=1
	v_mov_b32_e32 v23, 0xffff
	v_mov_b32_e32 v80, 0x7f800001
	s_mov_b32 s15, exec_lo
	v_and_b32_sdwa v23, v23, v10 dst_sel:DWORD dst_unused:UNUSED_PAD src0_sel:DWORD src1_sel:BYTE_1
	v_and_b32_e32 v82, 0x7f, v23
	v_cmpx_ne_u32_e32 0x7f, v82
	s_cbranch_execz .LBB391_1633
; %bb.1630:                             ;   in Loop: Header=BB391_927 Depth=1
	v_and_b32_e32 v23, 7, v23
	v_mov_b32_e32 v24, v11
	v_lshrrev_b32_e32 v80, 3, v82
	s_mov_b32 s18, exec_lo
	v_cmpx_gt_u32_e32 8, v82
; %bb.1631:                             ;   in Loop: Header=BB391_927 Depth=1
	v_ffbh_u32_e32 v80, v23
	v_min_u32_e32 v80, 32, v80
	v_subrev_nc_u32_e32 v82, 28, v80
	v_sub_nc_u32_e32 v80, 29, v80
	v_lshlrev_b64 v[23:24], v82, v[23:24]
	v_and_b32_e32 v23, 7, v23
; %bb.1632:                             ;   in Loop: Header=BB391_927 Depth=1
	s_or_b32 exec_lo, exec_lo, s18
	v_lshlrev_b32_e32 v10, 16, v10
	v_lshlrev_b32_e32 v23, 20, v23
	v_lshl_add_u32 v24, v80, 23, 0x3c000000
	v_and_b32_e32 v10, 0x80000000, v10
	v_or3_b32 v80, v23, v10, v24
.LBB391_1633:                           ;   in Loop: Header=BB391_927 Depth=1
	s_or_b32 exec_lo, exec_lo, s15
.LBB391_1634:                           ;   in Loop: Header=BB391_927 Depth=1
	s_or_b32 exec_lo, exec_lo, s13
.LBB391_1635:                           ;   in Loop: Header=BB391_927 Depth=1
	s_or_b32 exec_lo, exec_lo, s12
	v_and_b32_sdwa v10, v20, v68 dst_sel:DWORD dst_unused:UNUSED_PAD src0_sel:WORD_1 src1_sel:DWORD
	v_mov_b32_e32 v87, 0
	v_mov_b32_e32 v84, 0
	s_mov_b32 s12, exec_lo
	v_cmpx_ne_u16_e32 0, v10
	s_cbranch_execz .LBB391_1643
; %bb.1636:                             ;   in Loop: Header=BB391_927 Depth=1
	v_bfrev_b32_e32 v84, 1
	s_mov_b32 s13, exec_lo
	v_cmpx_ne_u16_e32 0x80, v10
	s_cbranch_execz .LBB391_1642
; %bb.1637:                             ;   in Loop: Header=BB391_927 Depth=1
	v_bfe_u32 v23, v20, 16, 7
	v_mov_b32_e32 v84, 0x7f800001
	s_mov_b32 s15, exec_lo
	v_cmpx_ne_u32_e32 0x7f, v23
	s_cbranch_execz .LBB391_1641
; %bb.1638:                             ;   in Loop: Header=BB391_927 Depth=1
	v_mov_b32_e32 v10, 7
	v_lshrrev_b32_e32 v82, 3, v23
	v_cmp_gt_u32_e64 s4, 8, v23
	v_and_b32_sdwa v10, v20, v10 dst_sel:DWORD dst_unused:UNUSED_PAD src0_sel:WORD_1 src1_sel:DWORD
	v_mov_b32_e32 v24, v11
	v_mov_b32_e32 v23, v10
	s_and_saveexec_b32 s18, s4
; %bb.1639:                             ;   in Loop: Header=BB391_927 Depth=1
	v_ffbh_u32_e32 v23, v10
	v_min_u32_e32 v82, 32, v23
	v_subrev_nc_u32_e32 v23, 28, v82
	v_sub_nc_u32_e32 v82, 29, v82
	v_lshlrev_b64 v[23:24], v23, v[10:11]
	v_and_b32_e32 v23, 7, v23
; %bb.1640:                             ;   in Loop: Header=BB391_927 Depth=1
	s_or_b32 exec_lo, exec_lo, s18
	v_mov_b32_e32 v10, 24
	v_lshlrev_b32_e32 v23, 20, v23
	v_lshl_add_u32 v24, v82, 23, 0x3c000000
	v_lshlrev_b32_sdwa v10, v10, v20 dst_sel:DWORD dst_unused:UNUSED_PAD src0_sel:DWORD src1_sel:WORD_1
	v_and_b32_e32 v10, 0x80000000, v10
	v_or3_b32 v84, v23, v10, v24
.LBB391_1641:                           ;   in Loop: Header=BB391_927 Depth=1
	s_or_b32 exec_lo, exec_lo, s15
.LBB391_1642:                           ;   in Loop: Header=BB391_927 Depth=1
	s_or_b32 exec_lo, exec_lo, s13
.LBB391_1643:                           ;   in Loop: Header=BB391_927 Depth=1
	s_or_b32 exec_lo, exec_lo, s12
	s_mov_b32 s12, exec_lo
	v_cmpx_lt_u64_e64 s[8:9], v[19:20]
	s_cbranch_execz .LBB391_1651
; %bb.1644:                             ;   in Loop: Header=BB391_927 Depth=1
	v_cmp_ne_u32_sdwa s4, v20, v66 src0_sel:BYTE_3 src1_sel:DWORD
	v_bfrev_b32_e32 v87, 1
	s_and_saveexec_b32 s13, s4
	s_cbranch_execz .LBB391_1650
; %bb.1645:                             ;   in Loop: Header=BB391_927 Depth=1
	v_bfe_u32 v23, v20, 24, 7
	v_mov_b32_e32 v87, 0x7f800001
	s_mov_b32 s15, exec_lo
	v_cmpx_ne_u32_e32 0x7f, v23
	s_cbranch_execz .LBB391_1649
; %bb.1646:                             ;   in Loop: Header=BB391_927 Depth=1
	v_mov_b32_e32 v10, 7
	v_lshrrev_b32_e32 v19, 3, v23
	v_cmp_gt_u32_e64 s4, 8, v23
	v_and_b32_sdwa v10, v20, v10 dst_sel:DWORD dst_unused:UNUSED_PAD src0_sel:BYTE_3 src1_sel:DWORD
	v_mov_b32_e32 v24, v11
	v_mov_b32_e32 v23, v10
	s_and_saveexec_b32 s18, s4
; %bb.1647:                             ;   in Loop: Header=BB391_927 Depth=1
	v_ffbh_u32_e32 v19, v10
	v_min_u32_e32 v19, 32, v19
	v_subrev_nc_u32_e32 v23, 28, v19
	v_sub_nc_u32_e32 v19, 29, v19
	v_lshlrev_b64 v[23:24], v23, v[10:11]
	v_and_b32_e32 v23, 7, v23
; %bb.1648:                             ;   in Loop: Header=BB391_927 Depth=1
	s_or_b32 exec_lo, exec_lo, s18
	v_mov_b32_e32 v10, 24
	v_lshl_add_u32 v19, v19, 23, 0x3c000000
	v_lshlrev_b32_sdwa v10, v10, v20 dst_sel:DWORD dst_unused:UNUSED_PAD src0_sel:DWORD src1_sel:BYTE_3
	v_lshlrev_b32_e32 v20, 20, v23
	v_and_b32_e32 v10, 0x80000000, v10
	v_or3_b32 v87, v20, v10, v19
.LBB391_1649:                           ;   in Loop: Header=BB391_927 Depth=1
	s_or_b32 exec_lo, exec_lo, s15
.LBB391_1650:                           ;   in Loop: Header=BB391_927 Depth=1
	s_or_b32 exec_lo, exec_lo, s13
.LBB391_1651:                           ;   in Loop: Header=BB391_927 Depth=1
	s_or_b32 exec_lo, exec_lo, s12
	v_mul_f32_e32 v10, v26, v80
	v_bfe_u32 v19, v10, 16, 1
	v_or_b32_e32 v20, 0x400000, v10
	v_cmp_u_f32_e64 s4, v10, v10
	v_add3_u32 v19, v19, v10, 0x7fff
	v_cndmask_b32_e64 v10, v19, v20, s4
	v_lshrrev_b32_e32 v80, 16, v10
	v_mul_f32_e32 v10, v26, v81
	v_bfe_u32 v19, v10, 16, 1
	v_or_b32_e32 v20, 0x400000, v10
	v_cmp_u_f32_e64 s4, v10, v10
	v_add3_u32 v19, v19, v10, 0x7fff
	v_cndmask_b32_e64 v10, v19, v20, s4
	v_lshrrev_b32_e32 v81, 16, v10
	;; [unrolled: 7-line block ×8, first 2 shown]
	s_and_saveexec_b32 s12, vcc_lo
	s_cbranch_execz .LBB391_1653
; %bb.1652:                             ;   in Loop: Header=BB391_927 Depth=1
	v_cmp_lt_i32_e64 s4, v119, v35
	v_cndmask_b32_e64 v86, 0, v86, s4
	v_cmp_lt_i32_e64 s4, v57, v35
	v_cndmask_b32_e64 v85, 0, v85, s4
	;; [unrolled: 2-line block ×8, first 2 shown]
.LBB391_1653:                           ;   in Loop: Header=BB391_927 Depth=1
	s_or_b32 exec_lo, exec_lo, s12
	flat_load_dwordx2 v[19:20], v[17:18] offset:768
	v_mov_b32_e32 v67, 0
	v_mov_b32_e32 v16, 0
	s_waitcnt vmcnt(0) lgkmcnt(0)
	v_cmp_ne_u16_sdwa s4, v19, v11 src0_sel:BYTE_0 src1_sel:DWORD
	s_and_saveexec_b32 s12, s4
	s_cbranch_execz .LBB391_1661
; %bb.1654:                             ;   in Loop: Header=BB391_927 Depth=1
	v_cmp_ne_u16_sdwa s4, v19, v66 src0_sel:BYTE_0 src1_sel:DWORD
	v_bfrev_b32_e32 v16, 1
	s_and_saveexec_b32 s13, s4
	s_cbranch_execz .LBB391_1660
; %bb.1655:                             ;   in Loop: Header=BB391_927 Depth=1
	v_and_b32_e32 v23, 0x7f, v19
	v_mov_b32_e32 v16, 0x7f800001
	s_mov_b32 s15, exec_lo
	v_cmpx_ne_u32_e32 0x7f, v23
	s_cbranch_execz .LBB391_1659
; %bb.1656:                             ;   in Loop: Header=BB391_927 Depth=1
	v_lshrrev_b32_e32 v10, 3, v23
	v_cmp_gt_u32_e64 s4, 8, v23
	v_mov_b32_e32 v24, v20
	v_mov_b32_e32 v23, v19
	s_and_saveexec_b32 s18, s4
; %bb.1657:                             ;   in Loop: Header=BB391_927 Depth=1
	v_and_b32_e32 v10, 7, v19
	v_ffbh_u32_e32 v10, v10
	v_min_u32_e32 v10, 32, v10
	v_subrev_nc_u32_e32 v16, 28, v10
	v_sub_nc_u32_e32 v10, 29, v10
	v_lshlrev_b64 v[23:24], v16, v[19:20]
; %bb.1658:                             ;   in Loop: Header=BB391_927 Depth=1
	s_or_b32 exec_lo, exec_lo, s18
	v_lshlrev_b32_e32 v16, 20, v23
	v_lshlrev_b32_e32 v23, 24, v19
	v_lshl_add_u32 v10, v10, 23, 0x3c000000
	v_and_b32_e32 v16, 0x700000, v16
	v_and_b32_e32 v23, 0x80000000, v23
	v_or3_b32 v16, v16, v23, v10
.LBB391_1659:                           ;   in Loop: Header=BB391_927 Depth=1
	s_or_b32 exec_lo, exec_lo, s15
.LBB391_1660:                           ;   in Loop: Header=BB391_927 Depth=1
	s_or_b32 exec_lo, exec_lo, s13
.LBB391_1661:                           ;   in Loop: Header=BB391_927 Depth=1
	s_or_b32 exec_lo, exec_lo, s12
	v_cmp_ne_u16_sdwa s4, v19, v11 src0_sel:BYTE_1 src1_sel:DWORD
	s_and_saveexec_b32 s12, s4
	s_cbranch_execz .LBB391_1669
; %bb.1662:                             ;   in Loop: Header=BB391_927 Depth=1
	v_cmp_ne_u16_sdwa s4, v19, v66 src0_sel:BYTE_1 src1_sel:DWORD
	v_bfrev_b32_e32 v67, 1
	s_and_saveexec_b32 s13, s4
	s_cbranch_execz .LBB391_1668
; %bb.1663:                             ;   in Loop: Header=BB391_927 Depth=1
	v_mov_b32_e32 v10, 0xffff
	v_mov_b32_e32 v67, 0x7f800001
	s_mov_b32 s15, exec_lo
	v_and_b32_sdwa v10, v10, v19 dst_sel:DWORD dst_unused:UNUSED_PAD src0_sel:DWORD src1_sel:BYTE_1
	v_and_b32_e32 v23, 0x7f, v10
	v_cmpx_ne_u32_e32 0x7f, v23
	s_cbranch_execz .LBB391_1667
; %bb.1664:                             ;   in Loop: Header=BB391_927 Depth=1
	v_and_b32_e32 v10, 7, v10
	v_lshrrev_b32_e32 v67, 3, v23
	v_cmp_gt_u32_e64 s4, 8, v23
	v_mov_b32_e32 v24, v11
	v_mov_b32_e32 v23, v10
	s_and_saveexec_b32 s18, s4
; %bb.1665:                             ;   in Loop: Header=BB391_927 Depth=1
	v_ffbh_u32_e32 v23, v10
	v_min_u32_e32 v67, 32, v23
	v_subrev_nc_u32_e32 v23, 28, v67
	v_sub_nc_u32_e32 v67, 29, v67
	v_lshlrev_b64 v[23:24], v23, v[10:11]
	v_and_b32_e32 v23, 7, v23
; %bb.1666:                             ;   in Loop: Header=BB391_927 Depth=1
	s_or_b32 exec_lo, exec_lo, s18
	v_lshlrev_b32_e32 v10, 16, v19
	v_lshlrev_b32_e32 v23, 20, v23
	v_lshl_add_u32 v24, v67, 23, 0x3c000000
	v_and_b32_e32 v10, 0x80000000, v10
	v_or3_b32 v67, v23, v10, v24
.LBB391_1667:                           ;   in Loop: Header=BB391_927 Depth=1
	s_or_b32 exec_lo, exec_lo, s15
.LBB391_1668:                           ;   in Loop: Header=BB391_927 Depth=1
	s_or_b32 exec_lo, exec_lo, s13
.LBB391_1669:                           ;   in Loop: Header=BB391_927 Depth=1
	s_or_b32 exec_lo, exec_lo, s12
	v_and_b32_sdwa v10, v19, v68 dst_sel:DWORD dst_unused:UNUSED_PAD src0_sel:WORD_1 src1_sel:DWORD
	v_mov_b32_e32 v96, 0
	v_mov_b32_e32 v97, 0
	s_mov_b32 s12, exec_lo
	v_cmpx_ne_u16_e32 0, v10
	s_cbranch_execz .LBB391_1677
; %bb.1670:                             ;   in Loop: Header=BB391_927 Depth=1
	v_bfrev_b32_e32 v97, 1
	s_mov_b32 s13, exec_lo
	v_cmpx_ne_u16_e32 0x80, v10
	s_cbranch_execz .LBB391_1676
; %bb.1671:                             ;   in Loop: Header=BB391_927 Depth=1
	v_bfe_u32 v23, v19, 16, 7
	v_mov_b32_e32 v97, 0x7f800001
	s_mov_b32 s15, exec_lo
	v_cmpx_ne_u32_e32 0x7f, v23
	s_cbranch_execz .LBB391_1675
; %bb.1672:                             ;   in Loop: Header=BB391_927 Depth=1
	v_mov_b32_e32 v10, 7
	v_lshrrev_b32_e32 v70, 3, v23
	v_cmp_gt_u32_e64 s4, 8, v23
	v_and_b32_sdwa v10, v19, v10 dst_sel:DWORD dst_unused:UNUSED_PAD src0_sel:WORD_1 src1_sel:DWORD
	v_mov_b32_e32 v24, v11
	v_mov_b32_e32 v23, v10
	s_and_saveexec_b32 s18, s4
; %bb.1673:                             ;   in Loop: Header=BB391_927 Depth=1
	v_ffbh_u32_e32 v23, v10
	v_min_u32_e32 v70, 32, v23
	v_subrev_nc_u32_e32 v23, 28, v70
	v_sub_nc_u32_e32 v70, 29, v70
	v_lshlrev_b64 v[23:24], v23, v[10:11]
	v_and_b32_e32 v23, 7, v23
; %bb.1674:                             ;   in Loop: Header=BB391_927 Depth=1
	s_or_b32 exec_lo, exec_lo, s18
	v_mov_b32_e32 v10, 24
	v_lshlrev_b32_e32 v23, 20, v23
	v_lshl_add_u32 v24, v70, 23, 0x3c000000
	v_lshlrev_b32_sdwa v10, v10, v19 dst_sel:DWORD dst_unused:UNUSED_PAD src0_sel:DWORD src1_sel:WORD_1
	v_and_b32_e32 v10, 0x80000000, v10
	v_or3_b32 v97, v23, v10, v24
.LBB391_1675:                           ;   in Loop: Header=BB391_927 Depth=1
	s_or_b32 exec_lo, exec_lo, s15
.LBB391_1676:                           ;   in Loop: Header=BB391_927 Depth=1
	s_or_b32 exec_lo, exec_lo, s13
.LBB391_1677:                           ;   in Loop: Header=BB391_927 Depth=1
	s_or_b32 exec_lo, exec_lo, s12
	s_mov_b32 s12, exec_lo
	v_cmpx_lt_u32_e32 0xffffff, v19
	s_cbranch_execz .LBB391_1685
; %bb.1678:                             ;   in Loop: Header=BB391_927 Depth=1
	v_cmp_ne_u32_sdwa s4, v19, v66 src0_sel:BYTE_3 src1_sel:DWORD
	v_bfrev_b32_e32 v96, 1
	s_and_saveexec_b32 s13, s4
	s_cbranch_execz .LBB391_1684
; %bb.1679:                             ;   in Loop: Header=BB391_927 Depth=1
	v_bfe_u32 v23, v19, 24, 7
	v_mov_b32_e32 v96, 0x7f800001
	s_mov_b32 s15, exec_lo
	v_cmpx_ne_u32_e32 0x7f, v23
	s_cbranch_execz .LBB391_1683
; %bb.1680:                             ;   in Loop: Header=BB391_927 Depth=1
	v_mov_b32_e32 v10, 7
	v_lshrrev_b32_e32 v70, 3, v23
	v_cmp_gt_u32_e64 s4, 8, v23
	v_and_b32_sdwa v10, v19, v10 dst_sel:DWORD dst_unused:UNUSED_PAD src0_sel:BYTE_3 src1_sel:DWORD
	v_mov_b32_e32 v24, v11
	v_mov_b32_e32 v23, v10
	s_and_saveexec_b32 s18, s4
; %bb.1681:                             ;   in Loop: Header=BB391_927 Depth=1
	v_ffbh_u32_e32 v23, v10
	v_min_u32_e32 v70, 32, v23
	v_subrev_nc_u32_e32 v23, 28, v70
	v_sub_nc_u32_e32 v70, 29, v70
	v_lshlrev_b64 v[23:24], v23, v[10:11]
	v_and_b32_e32 v23, 7, v23
; %bb.1682:                             ;   in Loop: Header=BB391_927 Depth=1
	s_or_b32 exec_lo, exec_lo, s18
	v_mov_b32_e32 v10, 24
	v_lshlrev_b32_e32 v23, 20, v23
	v_lshl_add_u32 v24, v70, 23, 0x3c000000
	v_lshlrev_b32_sdwa v10, v10, v19 dst_sel:DWORD dst_unused:UNUSED_PAD src0_sel:DWORD src1_sel:BYTE_3
	v_and_b32_e32 v10, 0x80000000, v10
	v_or3_b32 v96, v23, v10, v24
.LBB391_1683:                           ;   in Loop: Header=BB391_927 Depth=1
	s_or_b32 exec_lo, exec_lo, s15
.LBB391_1684:                           ;   in Loop: Header=BB391_927 Depth=1
	s_or_b32 exec_lo, exec_lo, s13
.LBB391_1685:                           ;   in Loop: Header=BB391_927 Depth=1
	s_or_b32 exec_lo, exec_lo, s12
	v_mov_b32_e32 v10, v20
	v_cmp_ne_u16_sdwa s4, v20, v11 src0_sel:BYTE_0 src1_sel:DWORD
	v_mov_b32_e32 v70, 0
	v_mov_b32_e32 v87, 0
	s_and_saveexec_b32 s12, s4
	s_cbranch_execz .LBB391_1693
; %bb.1686:                             ;   in Loop: Header=BB391_927 Depth=1
	v_cmp_ne_u16_sdwa s4, v20, v66 src0_sel:BYTE_0 src1_sel:DWORD
	v_bfrev_b32_e32 v87, 1
	s_and_saveexec_b32 s13, s4
	s_cbranch_execz .LBB391_1692
; %bb.1687:                             ;   in Loop: Header=BB391_927 Depth=1
	v_and_b32_e32 v23, 0x7f, v20
	v_mov_b32_e32 v87, 0x7f800001
	s_mov_b32 s15, exec_lo
	v_cmpx_ne_u32_e32 0x7f, v23
	s_cbranch_execz .LBB391_1691
; %bb.1688:                             ;   in Loop: Header=BB391_927 Depth=1
	v_lshrrev_b32_e32 v87, 3, v23
	v_cmp_gt_u32_e64 s4, 8, v23
	v_mov_b32_e32 v24, v11
	v_mov_b32_e32 v23, v10
	s_and_saveexec_b32 s18, s4
; %bb.1689:                             ;   in Loop: Header=BB391_927 Depth=1
	v_and_b32_e32 v23, 7, v20
	v_ffbh_u32_e32 v23, v23
	v_min_u32_e32 v87, 32, v23
	v_subrev_nc_u32_e32 v23, 28, v87
	v_sub_nc_u32_e32 v87, 29, v87
	v_lshlrev_b64 v[23:24], v23, v[10:11]
; %bb.1690:                             ;   in Loop: Header=BB391_927 Depth=1
	s_or_b32 exec_lo, exec_lo, s18
	v_lshlrev_b32_e32 v23, 20, v23
	v_lshlrev_b32_e32 v24, 24, v10
	v_lshl_add_u32 v87, v87, 23, 0x3c000000
	v_and_b32_e32 v23, 0x700000, v23
	v_and_b32_e32 v24, 0x80000000, v24
	v_or3_b32 v87, v23, v24, v87
.LBB391_1691:                           ;   in Loop: Header=BB391_927 Depth=1
	s_or_b32 exec_lo, exec_lo, s15
.LBB391_1692:                           ;   in Loop: Header=BB391_927 Depth=1
	s_or_b32 exec_lo, exec_lo, s13
.LBB391_1693:                           ;   in Loop: Header=BB391_927 Depth=1
	s_or_b32 exec_lo, exec_lo, s12
	v_cmp_ne_u16_sdwa s4, v10, v11 src0_sel:BYTE_1 src1_sel:DWORD
	s_and_saveexec_b32 s12, s4
	s_cbranch_execz .LBB391_1701
; %bb.1694:                             ;   in Loop: Header=BB391_927 Depth=1
	v_cmp_ne_u16_sdwa s4, v10, v66 src0_sel:BYTE_1 src1_sel:DWORD
	v_bfrev_b32_e32 v70, 1
	s_and_saveexec_b32 s13, s4
	s_cbranch_execz .LBB391_1700
; %bb.1695:                             ;   in Loop: Header=BB391_927 Depth=1
	v_mov_b32_e32 v23, 0xffff
	v_mov_b32_e32 v70, 0x7f800001
	s_mov_b32 s15, exec_lo
	v_and_b32_sdwa v23, v23, v10 dst_sel:DWORD dst_unused:UNUSED_PAD src0_sel:DWORD src1_sel:BYTE_1
	v_and_b32_e32 v98, 0x7f, v23
	v_cmpx_ne_u32_e32 0x7f, v98
	s_cbranch_execz .LBB391_1699
; %bb.1696:                             ;   in Loop: Header=BB391_927 Depth=1
	v_and_b32_e32 v23, 7, v23
	v_mov_b32_e32 v24, v11
	v_lshrrev_b32_e32 v70, 3, v98
	s_mov_b32 s18, exec_lo
	v_cmpx_gt_u32_e32 8, v98
; %bb.1697:                             ;   in Loop: Header=BB391_927 Depth=1
	v_ffbh_u32_e32 v70, v23
	v_min_u32_e32 v70, 32, v70
	v_subrev_nc_u32_e32 v98, 28, v70
	v_sub_nc_u32_e32 v70, 29, v70
	v_lshlrev_b64 v[23:24], v98, v[23:24]
	v_and_b32_e32 v23, 7, v23
; %bb.1698:                             ;   in Loop: Header=BB391_927 Depth=1
	s_or_b32 exec_lo, exec_lo, s18
	v_lshlrev_b32_e32 v10, 16, v10
	v_lshlrev_b32_e32 v23, 20, v23
	v_lshl_add_u32 v24, v70, 23, 0x3c000000
	v_and_b32_e32 v10, 0x80000000, v10
	v_or3_b32 v70, v23, v10, v24
.LBB391_1699:                           ;   in Loop: Header=BB391_927 Depth=1
	s_or_b32 exec_lo, exec_lo, s15
.LBB391_1700:                           ;   in Loop: Header=BB391_927 Depth=1
	s_or_b32 exec_lo, exec_lo, s13
.LBB391_1701:                           ;   in Loop: Header=BB391_927 Depth=1
	s_or_b32 exec_lo, exec_lo, s12
	v_and_b32_sdwa v10, v20, v68 dst_sel:DWORD dst_unused:UNUSED_PAD src0_sel:WORD_1 src1_sel:DWORD
	v_mov_b32_e32 v101, 0
	v_mov_b32_e32 v98, 0
	s_mov_b32 s12, exec_lo
	v_cmpx_ne_u16_e32 0, v10
	s_cbranch_execz .LBB391_1709
; %bb.1702:                             ;   in Loop: Header=BB391_927 Depth=1
	v_bfrev_b32_e32 v98, 1
	s_mov_b32 s13, exec_lo
	v_cmpx_ne_u16_e32 0x80, v10
	s_cbranch_execz .LBB391_1708
; %bb.1703:                             ;   in Loop: Header=BB391_927 Depth=1
	v_bfe_u32 v23, v20, 16, 7
	v_mov_b32_e32 v98, 0x7f800001
	s_mov_b32 s15, exec_lo
	v_cmpx_ne_u32_e32 0x7f, v23
	s_cbranch_execz .LBB391_1707
; %bb.1704:                             ;   in Loop: Header=BB391_927 Depth=1
	v_mov_b32_e32 v10, 7
	v_lshrrev_b32_e32 v98, 3, v23
	v_cmp_gt_u32_e64 s4, 8, v23
	v_and_b32_sdwa v10, v20, v10 dst_sel:DWORD dst_unused:UNUSED_PAD src0_sel:WORD_1 src1_sel:DWORD
	v_mov_b32_e32 v24, v11
	v_mov_b32_e32 v23, v10
	s_and_saveexec_b32 s18, s4
; %bb.1705:                             ;   in Loop: Header=BB391_927 Depth=1
	v_ffbh_u32_e32 v23, v10
	v_min_u32_e32 v98, 32, v23
	v_subrev_nc_u32_e32 v23, 28, v98
	v_sub_nc_u32_e32 v98, 29, v98
	v_lshlrev_b64 v[23:24], v23, v[10:11]
	v_and_b32_e32 v23, 7, v23
; %bb.1706:                             ;   in Loop: Header=BB391_927 Depth=1
	s_or_b32 exec_lo, exec_lo, s18
	v_mov_b32_e32 v10, 24
	v_lshlrev_b32_e32 v23, 20, v23
	v_lshl_add_u32 v24, v98, 23, 0x3c000000
	v_lshlrev_b32_sdwa v10, v10, v20 dst_sel:DWORD dst_unused:UNUSED_PAD src0_sel:DWORD src1_sel:WORD_1
	v_and_b32_e32 v10, 0x80000000, v10
	v_or3_b32 v98, v23, v10, v24
.LBB391_1707:                           ;   in Loop: Header=BB391_927 Depth=1
	s_or_b32 exec_lo, exec_lo, s15
.LBB391_1708:                           ;   in Loop: Header=BB391_927 Depth=1
	s_or_b32 exec_lo, exec_lo, s13
.LBB391_1709:                           ;   in Loop: Header=BB391_927 Depth=1
	s_or_b32 exec_lo, exec_lo, s12
	s_mov_b32 s12, exec_lo
	v_cmpx_lt_u64_e64 s[8:9], v[19:20]
	s_cbranch_execz .LBB391_1717
; %bb.1710:                             ;   in Loop: Header=BB391_927 Depth=1
	v_cmp_ne_u32_sdwa s4, v20, v66 src0_sel:BYTE_3 src1_sel:DWORD
	v_bfrev_b32_e32 v101, 1
	s_and_saveexec_b32 s13, s4
	s_cbranch_execz .LBB391_1716
; %bb.1711:                             ;   in Loop: Header=BB391_927 Depth=1
	v_bfe_u32 v23, v20, 24, 7
	v_mov_b32_e32 v101, 0x7f800001
	s_mov_b32 s15, exec_lo
	v_cmpx_ne_u32_e32 0x7f, v23
	s_cbranch_execz .LBB391_1715
; %bb.1712:                             ;   in Loop: Header=BB391_927 Depth=1
	v_mov_b32_e32 v10, 7
	v_lshrrev_b32_e32 v19, 3, v23
	v_cmp_gt_u32_e64 s4, 8, v23
	v_and_b32_sdwa v10, v20, v10 dst_sel:DWORD dst_unused:UNUSED_PAD src0_sel:BYTE_3 src1_sel:DWORD
	v_mov_b32_e32 v24, v11
	v_mov_b32_e32 v23, v10
	s_and_saveexec_b32 s18, s4
; %bb.1713:                             ;   in Loop: Header=BB391_927 Depth=1
	v_ffbh_u32_e32 v19, v10
	v_min_u32_e32 v19, 32, v19
	v_subrev_nc_u32_e32 v23, 28, v19
	v_sub_nc_u32_e32 v19, 29, v19
	v_lshlrev_b64 v[23:24], v23, v[10:11]
	v_and_b32_e32 v23, 7, v23
; %bb.1714:                             ;   in Loop: Header=BB391_927 Depth=1
	s_or_b32 exec_lo, exec_lo, s18
	v_mov_b32_e32 v10, 24
	v_lshl_add_u32 v19, v19, 23, 0x3c000000
	v_lshlrev_b32_sdwa v10, v10, v20 dst_sel:DWORD dst_unused:UNUSED_PAD src0_sel:DWORD src1_sel:BYTE_3
	v_lshlrev_b32_e32 v20, 20, v23
	v_and_b32_e32 v10, 0x80000000, v10
	v_or3_b32 v101, v20, v10, v19
.LBB391_1715:                           ;   in Loop: Header=BB391_927 Depth=1
	s_or_b32 exec_lo, exec_lo, s15
.LBB391_1716:                           ;   in Loop: Header=BB391_927 Depth=1
	s_or_b32 exec_lo, exec_lo, s13
.LBB391_1717:                           ;   in Loop: Header=BB391_927 Depth=1
	s_or_b32 exec_lo, exec_lo, s12
	v_mul_f32_e32 v10, v26, v70
	v_bfe_u32 v19, v10, 16, 1
	v_or_b32_e32 v20, 0x400000, v10
	v_cmp_u_f32_e64 s4, v10, v10
	v_add3_u32 v19, v19, v10, 0x7fff
	v_cndmask_b32_e64 v10, v19, v20, s4
	v_lshrrev_b32_e32 v70, 16, v10
	v_mul_f32_e32 v10, v26, v87
	v_bfe_u32 v19, v10, 16, 1
	v_or_b32_e32 v20, 0x400000, v10
	v_cmp_u_f32_e64 s4, v10, v10
	v_add3_u32 v19, v19, v10, 0x7fff
	v_cndmask_b32_e64 v10, v19, v20, s4
	v_lshrrev_b32_e32 v87, 16, v10
	;; [unrolled: 7-line block ×8, first 2 shown]
	s_and_saveexec_b32 s12, vcc_lo
	s_cbranch_execz .LBB391_1719
; %bb.1718:                             ;   in Loop: Header=BB391_927 Depth=1
	v_cmp_lt_i32_e64 s4, v119, v35
	v_cndmask_b32_e64 v100, 0, v100, s4
	v_cmp_lt_i32_e64 s4, v57, v35
	v_cndmask_b32_e64 v99, 0, v99, s4
	;; [unrolled: 2-line block ×8, first 2 shown]
.LBB391_1719:                           ;   in Loop: Header=BB391_927 Depth=1
	s_or_b32 exec_lo, exec_lo, s12
	flat_load_dwordx2 v[19:20], v[17:18] offset:1024
	v_mov_b32_e32 v67, 0
	v_mov_b32_e32 v16, 0
	s_waitcnt vmcnt(0) lgkmcnt(0)
	v_cmp_ne_u16_sdwa s4, v19, v11 src0_sel:BYTE_0 src1_sel:DWORD
	s_and_saveexec_b32 s12, s4
	s_cbranch_execz .LBB391_1727
; %bb.1720:                             ;   in Loop: Header=BB391_927 Depth=1
	v_cmp_ne_u16_sdwa s4, v19, v66 src0_sel:BYTE_0 src1_sel:DWORD
	v_bfrev_b32_e32 v16, 1
	s_and_saveexec_b32 s13, s4
	s_cbranch_execz .LBB391_1726
; %bb.1721:                             ;   in Loop: Header=BB391_927 Depth=1
	v_and_b32_e32 v23, 0x7f, v19
	v_mov_b32_e32 v16, 0x7f800001
	s_mov_b32 s15, exec_lo
	v_cmpx_ne_u32_e32 0x7f, v23
	s_cbranch_execz .LBB391_1725
; %bb.1722:                             ;   in Loop: Header=BB391_927 Depth=1
	v_lshrrev_b32_e32 v10, 3, v23
	v_cmp_gt_u32_e64 s4, 8, v23
	v_mov_b32_e32 v24, v20
	v_mov_b32_e32 v23, v19
	s_and_saveexec_b32 s18, s4
; %bb.1723:                             ;   in Loop: Header=BB391_927 Depth=1
	v_and_b32_e32 v10, 7, v19
	v_ffbh_u32_e32 v10, v10
	v_min_u32_e32 v10, 32, v10
	v_subrev_nc_u32_e32 v16, 28, v10
	v_sub_nc_u32_e32 v10, 29, v10
	v_lshlrev_b64 v[23:24], v16, v[19:20]
; %bb.1724:                             ;   in Loop: Header=BB391_927 Depth=1
	s_or_b32 exec_lo, exec_lo, s18
	v_lshlrev_b32_e32 v16, 20, v23
	v_lshlrev_b32_e32 v23, 24, v19
	v_lshl_add_u32 v10, v10, 23, 0x3c000000
	v_and_b32_e32 v16, 0x700000, v16
	v_and_b32_e32 v23, 0x80000000, v23
	v_or3_b32 v16, v16, v23, v10
.LBB391_1725:                           ;   in Loop: Header=BB391_927 Depth=1
	s_or_b32 exec_lo, exec_lo, s15
.LBB391_1726:                           ;   in Loop: Header=BB391_927 Depth=1
	s_or_b32 exec_lo, exec_lo, s13
.LBB391_1727:                           ;   in Loop: Header=BB391_927 Depth=1
	s_or_b32 exec_lo, exec_lo, s12
	v_cmp_ne_u16_sdwa s4, v19, v11 src0_sel:BYTE_1 src1_sel:DWORD
	s_and_saveexec_b32 s12, s4
	s_cbranch_execz .LBB391_1735
; %bb.1728:                             ;   in Loop: Header=BB391_927 Depth=1
	v_cmp_ne_u16_sdwa s4, v19, v66 src0_sel:BYTE_1 src1_sel:DWORD
	v_bfrev_b32_e32 v67, 1
	s_and_saveexec_b32 s13, s4
	s_cbranch_execz .LBB391_1734
; %bb.1729:                             ;   in Loop: Header=BB391_927 Depth=1
	v_mov_b32_e32 v10, 0xffff
	v_mov_b32_e32 v67, 0x7f800001
	s_mov_b32 s15, exec_lo
	v_and_b32_sdwa v10, v10, v19 dst_sel:DWORD dst_unused:UNUSED_PAD src0_sel:DWORD src1_sel:BYTE_1
	v_and_b32_e32 v23, 0x7f, v10
	v_cmpx_ne_u32_e32 0x7f, v23
	s_cbranch_execz .LBB391_1733
; %bb.1730:                             ;   in Loop: Header=BB391_927 Depth=1
	v_and_b32_e32 v10, 7, v10
	v_lshrrev_b32_e32 v67, 3, v23
	v_cmp_gt_u32_e64 s4, 8, v23
	v_mov_b32_e32 v24, v11
	v_mov_b32_e32 v23, v10
	s_and_saveexec_b32 s18, s4
; %bb.1731:                             ;   in Loop: Header=BB391_927 Depth=1
	v_ffbh_u32_e32 v23, v10
	v_min_u32_e32 v67, 32, v23
	v_subrev_nc_u32_e32 v23, 28, v67
	v_sub_nc_u32_e32 v67, 29, v67
	v_lshlrev_b64 v[23:24], v23, v[10:11]
	v_and_b32_e32 v23, 7, v23
; %bb.1732:                             ;   in Loop: Header=BB391_927 Depth=1
	s_or_b32 exec_lo, exec_lo, s18
	v_lshlrev_b32_e32 v10, 16, v19
	v_lshlrev_b32_e32 v23, 20, v23
	v_lshl_add_u32 v24, v67, 23, 0x3c000000
	v_and_b32_e32 v10, 0x80000000, v10
	v_or3_b32 v67, v23, v10, v24
.LBB391_1733:                           ;   in Loop: Header=BB391_927 Depth=1
	s_or_b32 exec_lo, exec_lo, s15
.LBB391_1734:                           ;   in Loop: Header=BB391_927 Depth=1
	s_or_b32 exec_lo, exec_lo, s13
.LBB391_1735:                           ;   in Loop: Header=BB391_927 Depth=1
	s_or_b32 exec_lo, exec_lo, s12
	v_and_b32_sdwa v10, v19, v68 dst_sel:DWORD dst_unused:UNUSED_PAD src0_sel:WORD_1 src1_sel:DWORD
	v_mov_b32_e32 v112, 0
	v_mov_b32_e32 v113, 0
	s_mov_b32 s12, exec_lo
	v_cmpx_ne_u16_e32 0, v10
	s_cbranch_execz .LBB391_1743
; %bb.1736:                             ;   in Loop: Header=BB391_927 Depth=1
	v_bfrev_b32_e32 v113, 1
	s_mov_b32 s13, exec_lo
	v_cmpx_ne_u16_e32 0x80, v10
	s_cbranch_execz .LBB391_1742
; %bb.1737:                             ;   in Loop: Header=BB391_927 Depth=1
	v_bfe_u32 v23, v19, 16, 7
	v_mov_b32_e32 v113, 0x7f800001
	s_mov_b32 s15, exec_lo
	v_cmpx_ne_u32_e32 0x7f, v23
	s_cbranch_execz .LBB391_1741
; %bb.1738:                             ;   in Loop: Header=BB391_927 Depth=1
	v_mov_b32_e32 v10, 7
	v_lshrrev_b32_e32 v102, 3, v23
	v_cmp_gt_u32_e64 s4, 8, v23
	v_and_b32_sdwa v10, v19, v10 dst_sel:DWORD dst_unused:UNUSED_PAD src0_sel:WORD_1 src1_sel:DWORD
	v_mov_b32_e32 v24, v11
	v_mov_b32_e32 v23, v10
	s_and_saveexec_b32 s18, s4
; %bb.1739:                             ;   in Loop: Header=BB391_927 Depth=1
	v_ffbh_u32_e32 v23, v10
	v_min_u32_e32 v102, 32, v23
	v_subrev_nc_u32_e32 v23, 28, v102
	v_sub_nc_u32_e32 v102, 29, v102
	v_lshlrev_b64 v[23:24], v23, v[10:11]
	v_and_b32_e32 v23, 7, v23
; %bb.1740:                             ;   in Loop: Header=BB391_927 Depth=1
	s_or_b32 exec_lo, exec_lo, s18
	v_mov_b32_e32 v10, 24
	v_lshlrev_b32_e32 v23, 20, v23
	v_lshl_add_u32 v24, v102, 23, 0x3c000000
	v_lshlrev_b32_sdwa v10, v10, v19 dst_sel:DWORD dst_unused:UNUSED_PAD src0_sel:DWORD src1_sel:WORD_1
	v_and_b32_e32 v10, 0x80000000, v10
	v_or3_b32 v113, v23, v10, v24
.LBB391_1741:                           ;   in Loop: Header=BB391_927 Depth=1
	s_or_b32 exec_lo, exec_lo, s15
.LBB391_1742:                           ;   in Loop: Header=BB391_927 Depth=1
	s_or_b32 exec_lo, exec_lo, s13
.LBB391_1743:                           ;   in Loop: Header=BB391_927 Depth=1
	s_or_b32 exec_lo, exec_lo, s12
	s_mov_b32 s12, exec_lo
	v_cmpx_lt_u32_e32 0xffffff, v19
	s_cbranch_execz .LBB391_1751
; %bb.1744:                             ;   in Loop: Header=BB391_927 Depth=1
	v_cmp_ne_u32_sdwa s4, v19, v66 src0_sel:BYTE_3 src1_sel:DWORD
	v_bfrev_b32_e32 v112, 1
	s_and_saveexec_b32 s13, s4
	s_cbranch_execz .LBB391_1750
; %bb.1745:                             ;   in Loop: Header=BB391_927 Depth=1
	v_bfe_u32 v23, v19, 24, 7
	v_mov_b32_e32 v112, 0x7f800001
	s_mov_b32 s15, exec_lo
	v_cmpx_ne_u32_e32 0x7f, v23
	s_cbranch_execz .LBB391_1749
; %bb.1746:                             ;   in Loop: Header=BB391_927 Depth=1
	v_mov_b32_e32 v10, 7
	v_lshrrev_b32_e32 v102, 3, v23
	v_cmp_gt_u32_e64 s4, 8, v23
	v_and_b32_sdwa v10, v19, v10 dst_sel:DWORD dst_unused:UNUSED_PAD src0_sel:BYTE_3 src1_sel:DWORD
	v_mov_b32_e32 v24, v11
	v_mov_b32_e32 v23, v10
	s_and_saveexec_b32 s18, s4
; %bb.1747:                             ;   in Loop: Header=BB391_927 Depth=1
	v_ffbh_u32_e32 v23, v10
	v_min_u32_e32 v102, 32, v23
	v_subrev_nc_u32_e32 v23, 28, v102
	v_sub_nc_u32_e32 v102, 29, v102
	v_lshlrev_b64 v[23:24], v23, v[10:11]
	v_and_b32_e32 v23, 7, v23
; %bb.1748:                             ;   in Loop: Header=BB391_927 Depth=1
	s_or_b32 exec_lo, exec_lo, s18
	v_mov_b32_e32 v10, 24
	v_lshlrev_b32_e32 v23, 20, v23
	v_lshl_add_u32 v24, v102, 23, 0x3c000000
	v_lshlrev_b32_sdwa v10, v10, v19 dst_sel:DWORD dst_unused:UNUSED_PAD src0_sel:DWORD src1_sel:BYTE_3
	v_and_b32_e32 v10, 0x80000000, v10
	v_or3_b32 v112, v23, v10, v24
.LBB391_1749:                           ;   in Loop: Header=BB391_927 Depth=1
	s_or_b32 exec_lo, exec_lo, s15
.LBB391_1750:                           ;   in Loop: Header=BB391_927 Depth=1
	s_or_b32 exec_lo, exec_lo, s13
.LBB391_1751:                           ;   in Loop: Header=BB391_927 Depth=1
	s_or_b32 exec_lo, exec_lo, s12
	v_mov_b32_e32 v10, v20
	v_cmp_ne_u16_sdwa s4, v20, v11 src0_sel:BYTE_0 src1_sel:DWORD
	v_mov_b32_e32 v102, 0
	v_mov_b32_e32 v103, 0
	s_and_saveexec_b32 s12, s4
	s_cbranch_execz .LBB391_1759
; %bb.1752:                             ;   in Loop: Header=BB391_927 Depth=1
	v_cmp_ne_u16_sdwa s4, v20, v66 src0_sel:BYTE_0 src1_sel:DWORD
	v_bfrev_b32_e32 v103, 1
	s_and_saveexec_b32 s13, s4
	s_cbranch_execz .LBB391_1758
; %bb.1753:                             ;   in Loop: Header=BB391_927 Depth=1
	v_and_b32_e32 v23, 0x7f, v20
	v_mov_b32_e32 v103, 0x7f800001
	s_mov_b32 s15, exec_lo
	v_cmpx_ne_u32_e32 0x7f, v23
	s_cbranch_execz .LBB391_1757
; %bb.1754:                             ;   in Loop: Header=BB391_927 Depth=1
	v_lshrrev_b32_e32 v103, 3, v23
	v_cmp_gt_u32_e64 s4, 8, v23
	v_mov_b32_e32 v24, v11
	v_mov_b32_e32 v23, v10
	s_and_saveexec_b32 s18, s4
; %bb.1755:                             ;   in Loop: Header=BB391_927 Depth=1
	v_and_b32_e32 v23, 7, v20
	v_ffbh_u32_e32 v23, v23
	v_min_u32_e32 v103, 32, v23
	v_subrev_nc_u32_e32 v23, 28, v103
	v_sub_nc_u32_e32 v103, 29, v103
	v_lshlrev_b64 v[23:24], v23, v[10:11]
; %bb.1756:                             ;   in Loop: Header=BB391_927 Depth=1
	s_or_b32 exec_lo, exec_lo, s18
	v_lshlrev_b32_e32 v23, 20, v23
	v_lshlrev_b32_e32 v24, 24, v10
	v_lshl_add_u32 v103, v103, 23, 0x3c000000
	v_and_b32_e32 v23, 0x700000, v23
	v_and_b32_e32 v24, 0x80000000, v24
	v_or3_b32 v103, v23, v24, v103
.LBB391_1757:                           ;   in Loop: Header=BB391_927 Depth=1
	s_or_b32 exec_lo, exec_lo, s15
.LBB391_1758:                           ;   in Loop: Header=BB391_927 Depth=1
	s_or_b32 exec_lo, exec_lo, s13
.LBB391_1759:                           ;   in Loop: Header=BB391_927 Depth=1
	s_or_b32 exec_lo, exec_lo, s12
	v_cmp_ne_u16_sdwa s4, v10, v11 src0_sel:BYTE_1 src1_sel:DWORD
	s_and_saveexec_b32 s12, s4
	s_cbranch_execz .LBB391_1767
; %bb.1760:                             ;   in Loop: Header=BB391_927 Depth=1
	v_cmp_ne_u16_sdwa s4, v10, v66 src0_sel:BYTE_1 src1_sel:DWORD
	v_bfrev_b32_e32 v102, 1
	s_and_saveexec_b32 s13, s4
	s_cbranch_execz .LBB391_1766
; %bb.1761:                             ;   in Loop: Header=BB391_927 Depth=1
	v_mov_b32_e32 v23, 0xffff
	v_mov_b32_e32 v102, 0x7f800001
	s_mov_b32 s15, exec_lo
	v_and_b32_sdwa v23, v23, v10 dst_sel:DWORD dst_unused:UNUSED_PAD src0_sel:DWORD src1_sel:BYTE_1
	v_and_b32_e32 v114, 0x7f, v23
	v_cmpx_ne_u32_e32 0x7f, v114
	s_cbranch_execz .LBB391_1765
; %bb.1762:                             ;   in Loop: Header=BB391_927 Depth=1
	v_and_b32_e32 v23, 7, v23
	v_mov_b32_e32 v24, v11
	v_lshrrev_b32_e32 v102, 3, v114
	s_mov_b32 s18, exec_lo
	v_cmpx_gt_u32_e32 8, v114
; %bb.1763:                             ;   in Loop: Header=BB391_927 Depth=1
	v_ffbh_u32_e32 v102, v23
	v_min_u32_e32 v102, 32, v102
	v_subrev_nc_u32_e32 v114, 28, v102
	v_sub_nc_u32_e32 v102, 29, v102
	v_lshlrev_b64 v[23:24], v114, v[23:24]
	v_and_b32_e32 v23, 7, v23
; %bb.1764:                             ;   in Loop: Header=BB391_927 Depth=1
	s_or_b32 exec_lo, exec_lo, s18
	v_lshlrev_b32_e32 v10, 16, v10
	v_lshlrev_b32_e32 v23, 20, v23
	v_lshl_add_u32 v24, v102, 23, 0x3c000000
	v_and_b32_e32 v10, 0x80000000, v10
	v_or3_b32 v102, v23, v10, v24
.LBB391_1765:                           ;   in Loop: Header=BB391_927 Depth=1
	s_or_b32 exec_lo, exec_lo, s15
.LBB391_1766:                           ;   in Loop: Header=BB391_927 Depth=1
	s_or_b32 exec_lo, exec_lo, s13
.LBB391_1767:                           ;   in Loop: Header=BB391_927 Depth=1
	s_or_b32 exec_lo, exec_lo, s12
	v_and_b32_sdwa v10, v20, v68 dst_sel:DWORD dst_unused:UNUSED_PAD src0_sel:WORD_1 src1_sel:DWORD
	v_mov_b32_e32 v117, 0
	v_mov_b32_e32 v114, 0
	s_mov_b32 s12, exec_lo
	v_cmpx_ne_u16_e32 0, v10
	s_cbranch_execz .LBB391_1775
; %bb.1768:                             ;   in Loop: Header=BB391_927 Depth=1
	v_bfrev_b32_e32 v114, 1
	s_mov_b32 s13, exec_lo
	v_cmpx_ne_u16_e32 0x80, v10
	s_cbranch_execz .LBB391_1774
; %bb.1769:                             ;   in Loop: Header=BB391_927 Depth=1
	v_bfe_u32 v23, v20, 16, 7
	v_mov_b32_e32 v114, 0x7f800001
	s_mov_b32 s15, exec_lo
	v_cmpx_ne_u32_e32 0x7f, v23
	s_cbranch_execz .LBB391_1773
; %bb.1770:                             ;   in Loop: Header=BB391_927 Depth=1
	v_mov_b32_e32 v10, 7
	v_lshrrev_b32_e32 v114, 3, v23
	v_cmp_gt_u32_e64 s4, 8, v23
	v_and_b32_sdwa v10, v20, v10 dst_sel:DWORD dst_unused:UNUSED_PAD src0_sel:WORD_1 src1_sel:DWORD
	v_mov_b32_e32 v24, v11
	v_mov_b32_e32 v23, v10
	s_and_saveexec_b32 s18, s4
; %bb.1771:                             ;   in Loop: Header=BB391_927 Depth=1
	v_ffbh_u32_e32 v23, v10
	v_min_u32_e32 v114, 32, v23
	v_subrev_nc_u32_e32 v23, 28, v114
	v_sub_nc_u32_e32 v114, 29, v114
	v_lshlrev_b64 v[23:24], v23, v[10:11]
	v_and_b32_e32 v23, 7, v23
; %bb.1772:                             ;   in Loop: Header=BB391_927 Depth=1
	s_or_b32 exec_lo, exec_lo, s18
	v_mov_b32_e32 v10, 24
	v_lshlrev_b32_e32 v23, 20, v23
	v_lshl_add_u32 v24, v114, 23, 0x3c000000
	v_lshlrev_b32_sdwa v10, v10, v20 dst_sel:DWORD dst_unused:UNUSED_PAD src0_sel:DWORD src1_sel:WORD_1
	v_and_b32_e32 v10, 0x80000000, v10
	v_or3_b32 v114, v23, v10, v24
.LBB391_1773:                           ;   in Loop: Header=BB391_927 Depth=1
	s_or_b32 exec_lo, exec_lo, s15
.LBB391_1774:                           ;   in Loop: Header=BB391_927 Depth=1
	s_or_b32 exec_lo, exec_lo, s13
.LBB391_1775:                           ;   in Loop: Header=BB391_927 Depth=1
	s_or_b32 exec_lo, exec_lo, s12
	s_mov_b32 s12, exec_lo
	v_cmpx_lt_u64_e64 s[8:9], v[19:20]
	s_cbranch_execz .LBB391_1783
; %bb.1776:                             ;   in Loop: Header=BB391_927 Depth=1
	v_cmp_ne_u32_sdwa s4, v20, v66 src0_sel:BYTE_3 src1_sel:DWORD
	v_bfrev_b32_e32 v117, 1
	s_and_saveexec_b32 s13, s4
	s_cbranch_execz .LBB391_1782
; %bb.1777:                             ;   in Loop: Header=BB391_927 Depth=1
	v_bfe_u32 v23, v20, 24, 7
	v_mov_b32_e32 v117, 0x7f800001
	s_mov_b32 s15, exec_lo
	v_cmpx_ne_u32_e32 0x7f, v23
	s_cbranch_execz .LBB391_1781
; %bb.1778:                             ;   in Loop: Header=BB391_927 Depth=1
	v_mov_b32_e32 v10, 7
	v_lshrrev_b32_e32 v19, 3, v23
	v_cmp_gt_u32_e64 s4, 8, v23
	v_and_b32_sdwa v10, v20, v10 dst_sel:DWORD dst_unused:UNUSED_PAD src0_sel:BYTE_3 src1_sel:DWORD
	v_mov_b32_e32 v24, v11
	v_mov_b32_e32 v23, v10
	s_and_saveexec_b32 s18, s4
; %bb.1779:                             ;   in Loop: Header=BB391_927 Depth=1
	v_ffbh_u32_e32 v19, v10
	v_min_u32_e32 v19, 32, v19
	v_subrev_nc_u32_e32 v23, 28, v19
	v_sub_nc_u32_e32 v19, 29, v19
	v_lshlrev_b64 v[23:24], v23, v[10:11]
	v_and_b32_e32 v23, 7, v23
; %bb.1780:                             ;   in Loop: Header=BB391_927 Depth=1
	s_or_b32 exec_lo, exec_lo, s18
	v_mov_b32_e32 v10, 24
	v_lshl_add_u32 v19, v19, 23, 0x3c000000
	v_lshlrev_b32_sdwa v10, v10, v20 dst_sel:DWORD dst_unused:UNUSED_PAD src0_sel:DWORD src1_sel:BYTE_3
	v_lshlrev_b32_e32 v20, 20, v23
	v_and_b32_e32 v10, 0x80000000, v10
	v_or3_b32 v117, v20, v10, v19
.LBB391_1781:                           ;   in Loop: Header=BB391_927 Depth=1
	s_or_b32 exec_lo, exec_lo, s15
.LBB391_1782:                           ;   in Loop: Header=BB391_927 Depth=1
	s_or_b32 exec_lo, exec_lo, s13
.LBB391_1783:                           ;   in Loop: Header=BB391_927 Depth=1
	s_or_b32 exec_lo, exec_lo, s12
	v_mul_f32_e32 v10, v26, v102
	v_bfe_u32 v19, v10, 16, 1
	v_or_b32_e32 v20, 0x400000, v10
	v_cmp_u_f32_e64 s4, v10, v10
	v_add3_u32 v19, v19, v10, 0x7fff
	v_cndmask_b32_e64 v10, v19, v20, s4
	v_lshrrev_b32_e32 v102, 16, v10
	v_mul_f32_e32 v10, v26, v103
	v_bfe_u32 v19, v10, 16, 1
	v_or_b32_e32 v20, 0x400000, v10
	v_cmp_u_f32_e64 s4, v10, v10
	v_add3_u32 v19, v19, v10, 0x7fff
	v_cndmask_b32_e64 v10, v19, v20, s4
	v_lshrrev_b32_e32 v103, 16, v10
	;; [unrolled: 7-line block ×8, first 2 shown]
	s_and_saveexec_b32 s12, vcc_lo
	s_cbranch_execz .LBB391_1785
; %bb.1784:                             ;   in Loop: Header=BB391_927 Depth=1
	v_cmp_lt_i32_e64 s4, v119, v35
	v_cndmask_b32_e64 v116, 0, v116, s4
	v_cmp_lt_i32_e64 s4, v57, v35
	v_cndmask_b32_e64 v115, 0, v115, s4
	;; [unrolled: 2-line block ×8, first 2 shown]
.LBB391_1785:                           ;   in Loop: Header=BB391_927 Depth=1
	s_or_b32 exec_lo, exec_lo, s12
	flat_load_dwordx2 v[17:18], v[17:18] offset:1280
	v_mov_b32_e32 v23, 0
	v_mov_b32_e32 v16, 0
	s_waitcnt vmcnt(0) lgkmcnt(0)
	v_cmp_ne_u16_sdwa s4, v17, v11 src0_sel:BYTE_0 src1_sel:DWORD
	s_and_saveexec_b32 s12, s4
	s_cbranch_execz .LBB391_1793
; %bb.1786:                             ;   in Loop: Header=BB391_927 Depth=1
	v_cmp_ne_u16_sdwa s4, v17, v66 src0_sel:BYTE_0 src1_sel:DWORD
	v_bfrev_b32_e32 v16, 1
	s_and_saveexec_b32 s13, s4
	s_cbranch_execz .LBB391_1792
; %bb.1787:                             ;   in Loop: Header=BB391_927 Depth=1
	v_and_b32_e32 v19, 0x7f, v17
	v_mov_b32_e32 v16, 0x7f800001
	s_mov_b32 s15, exec_lo
	v_cmpx_ne_u32_e32 0x7f, v19
	s_cbranch_execz .LBB391_1791
; %bb.1788:                             ;   in Loop: Header=BB391_927 Depth=1
	v_lshrrev_b32_e32 v10, 3, v19
	v_cmp_gt_u32_e64 s4, 8, v19
	v_mov_b32_e32 v20, v18
	v_mov_b32_e32 v19, v17
	s_and_saveexec_b32 s18, s4
; %bb.1789:                             ;   in Loop: Header=BB391_927 Depth=1
	v_and_b32_e32 v10, 7, v17
	v_ffbh_u32_e32 v10, v10
	v_min_u32_e32 v10, 32, v10
	v_subrev_nc_u32_e32 v16, 28, v10
	v_sub_nc_u32_e32 v10, 29, v10
	v_lshlrev_b64 v[19:20], v16, v[17:18]
; %bb.1790:                             ;   in Loop: Header=BB391_927 Depth=1
	s_or_b32 exec_lo, exec_lo, s18
	v_lshlrev_b32_e32 v16, 20, v19
	v_lshlrev_b32_e32 v19, 24, v17
	v_lshl_add_u32 v10, v10, 23, 0x3c000000
	v_and_b32_e32 v16, 0x700000, v16
	v_and_b32_e32 v19, 0x80000000, v19
	v_or3_b32 v16, v16, v19, v10
.LBB391_1791:                           ;   in Loop: Header=BB391_927 Depth=1
	s_or_b32 exec_lo, exec_lo, s15
.LBB391_1792:                           ;   in Loop: Header=BB391_927 Depth=1
	s_or_b32 exec_lo, exec_lo, s13
.LBB391_1793:                           ;   in Loop: Header=BB391_927 Depth=1
	s_or_b32 exec_lo, exec_lo, s12
	v_cmp_ne_u16_sdwa s4, v17, v11 src0_sel:BYTE_1 src1_sel:DWORD
	s_and_saveexec_b32 s12, s4
	s_cbranch_execz .LBB391_1801
; %bb.1794:                             ;   in Loop: Header=BB391_927 Depth=1
	v_cmp_ne_u16_sdwa s4, v17, v66 src0_sel:BYTE_1 src1_sel:DWORD
	v_bfrev_b32_e32 v23, 1
	s_and_saveexec_b32 s13, s4
	s_cbranch_execz .LBB391_1800
; %bb.1795:                             ;   in Loop: Header=BB391_927 Depth=1
	v_mov_b32_e32 v10, 0xffff
	v_mov_b32_e32 v23, 0x7f800001
	s_mov_b32 s15, exec_lo
	v_and_b32_sdwa v10, v10, v17 dst_sel:DWORD dst_unused:UNUSED_PAD src0_sel:DWORD src1_sel:BYTE_1
	v_and_b32_e32 v19, 0x7f, v10
	v_cmpx_ne_u32_e32 0x7f, v19
	s_cbranch_execz .LBB391_1799
; %bb.1796:                             ;   in Loop: Header=BB391_927 Depth=1
	v_and_b32_e32 v10, 7, v10
	v_lshrrev_b32_e32 v23, 3, v19
	v_cmp_gt_u32_e64 s4, 8, v19
	v_mov_b32_e32 v20, v11
	v_mov_b32_e32 v19, v10
	s_and_saveexec_b32 s18, s4
; %bb.1797:                             ;   in Loop: Header=BB391_927 Depth=1
	v_ffbh_u32_e32 v19, v10
	v_min_u32_e32 v23, 32, v19
	v_subrev_nc_u32_e32 v19, 28, v23
	v_sub_nc_u32_e32 v23, 29, v23
	v_lshlrev_b64 v[19:20], v19, v[10:11]
	v_and_b32_e32 v19, 7, v19
; %bb.1798:                             ;   in Loop: Header=BB391_927 Depth=1
	s_or_b32 exec_lo, exec_lo, s18
	v_lshlrev_b32_e32 v10, 16, v17
	v_lshlrev_b32_e32 v19, 20, v19
	v_lshl_add_u32 v20, v23, 23, 0x3c000000
	v_and_b32_e32 v10, 0x80000000, v10
	v_or3_b32 v23, v19, v10, v20
.LBB391_1799:                           ;   in Loop: Header=BB391_927 Depth=1
	s_or_b32 exec_lo, exec_lo, s15
.LBB391_1800:                           ;   in Loop: Header=BB391_927 Depth=1
	s_or_b32 exec_lo, exec_lo, s13
.LBB391_1801:                           ;   in Loop: Header=BB391_927 Depth=1
	s_or_b32 exec_lo, exec_lo, s12
	v_and_b32_sdwa v10, v17, v68 dst_sel:DWORD dst_unused:UNUSED_PAD src0_sel:WORD_1 src1_sel:DWORD
	v_mov_b32_e32 v67, 0
	v_mov_b32_e32 v24, 0
	s_mov_b32 s12, exec_lo
	v_cmpx_ne_u16_e32 0, v10
	s_cbranch_execz .LBB391_1809
; %bb.1802:                             ;   in Loop: Header=BB391_927 Depth=1
	v_bfrev_b32_e32 v24, 1
	s_mov_b32 s13, exec_lo
	v_cmpx_ne_u16_e32 0x80, v10
	s_cbranch_execz .LBB391_1808
; %bb.1803:                             ;   in Loop: Header=BB391_927 Depth=1
	v_bfe_u32 v19, v17, 16, 7
	v_mov_b32_e32 v24, 0x7f800001
	s_mov_b32 s15, exec_lo
	v_cmpx_ne_u32_e32 0x7f, v19
	s_cbranch_execz .LBB391_1807
; %bb.1804:                             ;   in Loop: Header=BB391_927 Depth=1
	v_mov_b32_e32 v10, 7
	v_lshrrev_b32_e32 v24, 3, v19
	v_cmp_gt_u32_e64 s4, 8, v19
	v_and_b32_sdwa v10, v17, v10 dst_sel:DWORD dst_unused:UNUSED_PAD src0_sel:WORD_1 src1_sel:DWORD
	v_mov_b32_e32 v20, v11
	v_mov_b32_e32 v19, v10
	s_and_saveexec_b32 s18, s4
; %bb.1805:                             ;   in Loop: Header=BB391_927 Depth=1
	v_ffbh_u32_e32 v19, v10
	v_min_u32_e32 v24, 32, v19
	v_subrev_nc_u32_e32 v19, 28, v24
	v_sub_nc_u32_e32 v24, 29, v24
	v_lshlrev_b64 v[19:20], v19, v[10:11]
	v_and_b32_e32 v19, 7, v19
; %bb.1806:                             ;   in Loop: Header=BB391_927 Depth=1
	s_or_b32 exec_lo, exec_lo, s18
	v_mov_b32_e32 v10, 24
	v_lshlrev_b32_e32 v19, 20, v19
	v_lshl_add_u32 v20, v24, 23, 0x3c000000
	v_lshlrev_b32_sdwa v10, v10, v17 dst_sel:DWORD dst_unused:UNUSED_PAD src0_sel:DWORD src1_sel:WORD_1
	v_and_b32_e32 v10, 0x80000000, v10
	v_or3_b32 v24, v19, v10, v20
.LBB391_1807:                           ;   in Loop: Header=BB391_927 Depth=1
	s_or_b32 exec_lo, exec_lo, s15
.LBB391_1808:                           ;   in Loop: Header=BB391_927 Depth=1
	s_or_b32 exec_lo, exec_lo, s13
.LBB391_1809:                           ;   in Loop: Header=BB391_927 Depth=1
	s_or_b32 exec_lo, exec_lo, s12
	s_mov_b32 s12, exec_lo
	v_cmpx_lt_u32_e32 0xffffff, v17
	s_cbranch_execz .LBB391_1817
; %bb.1810:                             ;   in Loop: Header=BB391_927 Depth=1
	v_cmp_ne_u32_sdwa s4, v17, v66 src0_sel:BYTE_3 src1_sel:DWORD
	v_bfrev_b32_e32 v67, 1
	s_and_saveexec_b32 s13, s4
	s_cbranch_execz .LBB391_1816
; %bb.1811:                             ;   in Loop: Header=BB391_927 Depth=1
	v_bfe_u32 v19, v17, 24, 7
	v_mov_b32_e32 v67, 0x7f800001
	s_mov_b32 s15, exec_lo
	v_cmpx_ne_u32_e32 0x7f, v19
	s_cbranch_execz .LBB391_1815
; %bb.1812:                             ;   in Loop: Header=BB391_927 Depth=1
	v_mov_b32_e32 v10, 7
	v_lshrrev_b32_e32 v67, 3, v19
	v_cmp_gt_u32_e64 s4, 8, v19
	v_and_b32_sdwa v10, v17, v10 dst_sel:DWORD dst_unused:UNUSED_PAD src0_sel:BYTE_3 src1_sel:DWORD
	v_mov_b32_e32 v20, v11
	v_mov_b32_e32 v19, v10
	s_and_saveexec_b32 s18, s4
; %bb.1813:                             ;   in Loop: Header=BB391_927 Depth=1
	v_ffbh_u32_e32 v19, v10
	v_min_u32_e32 v67, 32, v19
	v_subrev_nc_u32_e32 v19, 28, v67
	v_sub_nc_u32_e32 v67, 29, v67
	v_lshlrev_b64 v[19:20], v19, v[10:11]
	v_and_b32_e32 v19, 7, v19
; %bb.1814:                             ;   in Loop: Header=BB391_927 Depth=1
	s_or_b32 exec_lo, exec_lo, s18
	v_mov_b32_e32 v10, 24
	v_lshlrev_b32_e32 v19, 20, v19
	v_lshl_add_u32 v20, v67, 23, 0x3c000000
	v_lshlrev_b32_sdwa v10, v10, v17 dst_sel:DWORD dst_unused:UNUSED_PAD src0_sel:DWORD src1_sel:BYTE_3
	v_and_b32_e32 v10, 0x80000000, v10
	v_or3_b32 v67, v19, v10, v20
.LBB391_1815:                           ;   in Loop: Header=BB391_927 Depth=1
	s_or_b32 exec_lo, exec_lo, s15
.LBB391_1816:                           ;   in Loop: Header=BB391_927 Depth=1
	s_or_b32 exec_lo, exec_lo, s13
.LBB391_1817:                           ;   in Loop: Header=BB391_927 Depth=1
	s_or_b32 exec_lo, exec_lo, s12
	v_mov_b32_e32 v10, v18
	v_cmp_ne_u16_sdwa s4, v18, v11 src0_sel:BYTE_0 src1_sel:DWORD
	v_mov_b32_e32 v45, 0
	v_mov_b32_e32 v41, 0
	s_and_saveexec_b32 s12, s4
	s_cbranch_execz .LBB391_1825
; %bb.1818:                             ;   in Loop: Header=BB391_927 Depth=1
	v_cmp_ne_u16_sdwa s4, v18, v66 src0_sel:BYTE_0 src1_sel:DWORD
	v_bfrev_b32_e32 v41, 1
	s_and_saveexec_b32 s13, s4
	s_cbranch_execz .LBB391_1824
; %bb.1819:                             ;   in Loop: Header=BB391_927 Depth=1
	v_and_b32_e32 v19, 0x7f, v18
	v_mov_b32_e32 v41, 0x7f800001
	s_mov_b32 s15, exec_lo
	v_cmpx_ne_u32_e32 0x7f, v19
	s_cbranch_execz .LBB391_1823
; %bb.1820:                             ;   in Loop: Header=BB391_927 Depth=1
	v_lshrrev_b32_e32 v118, 3, v19
	v_cmp_gt_u32_e64 s4, 8, v19
	v_mov_b32_e32 v20, v11
	v_mov_b32_e32 v19, v10
	s_and_saveexec_b32 s18, s4
; %bb.1821:                             ;   in Loop: Header=BB391_927 Depth=1
	v_and_b32_e32 v19, 7, v18
	v_ffbh_u32_e32 v19, v19
	v_min_u32_e32 v118, 32, v19
	v_subrev_nc_u32_e32 v19, 28, v118
	v_sub_nc_u32_e32 v118, 29, v118
	v_lshlrev_b64 v[19:20], v19, v[10:11]
; %bb.1822:                             ;   in Loop: Header=BB391_927 Depth=1
	s_or_b32 exec_lo, exec_lo, s18
	v_lshlrev_b32_e32 v19, 20, v19
	v_lshlrev_b32_e32 v20, 24, v10
	v_lshl_add_u32 v118, v118, 23, 0x3c000000
	v_and_b32_e32 v19, 0x700000, v19
	v_and_b32_e32 v20, 0x80000000, v20
	v_or3_b32 v41, v19, v20, v118
.LBB391_1823:                           ;   in Loop: Header=BB391_927 Depth=1
	s_or_b32 exec_lo, exec_lo, s15
.LBB391_1824:                           ;   in Loop: Header=BB391_927 Depth=1
	s_or_b32 exec_lo, exec_lo, s13
.LBB391_1825:                           ;   in Loop: Header=BB391_927 Depth=1
	s_or_b32 exec_lo, exec_lo, s12
	v_cmp_ne_u16_sdwa s4, v10, v11 src0_sel:BYTE_1 src1_sel:DWORD
	s_and_saveexec_b32 s12, s4
	s_cbranch_execz .LBB391_1833
; %bb.1826:                             ;   in Loop: Header=BB391_927 Depth=1
	v_cmp_ne_u16_sdwa s4, v10, v66 src0_sel:BYTE_1 src1_sel:DWORD
	v_bfrev_b32_e32 v45, 1
	s_and_saveexec_b32 s13, s4
	s_cbranch_execz .LBB391_1832
; %bb.1827:                             ;   in Loop: Header=BB391_927 Depth=1
	v_mov_b32_e32 v19, 0xffff
	v_mov_b32_e32 v45, 0x7f800001
	s_mov_b32 s15, exec_lo
	v_and_b32_sdwa v19, v19, v10 dst_sel:DWORD dst_unused:UNUSED_PAD src0_sel:DWORD src1_sel:BYTE_1
	v_and_b32_e32 v40, 0x7f, v19
	v_cmpx_ne_u32_e32 0x7f, v40
	s_cbranch_execz .LBB391_1831
; %bb.1828:                             ;   in Loop: Header=BB391_927 Depth=1
	v_and_b32_e32 v19, 7, v19
	v_mov_b32_e32 v20, v11
	v_lshrrev_b32_e32 v118, 3, v40
	s_mov_b32 s18, exec_lo
	v_cmpx_gt_u32_e32 8, v40
; %bb.1829:                             ;   in Loop: Header=BB391_927 Depth=1
	v_ffbh_u32_e32 v118, v19
	v_min_u32_e32 v118, 32, v118
	v_subrev_nc_u32_e32 v40, 28, v118
	v_sub_nc_u32_e32 v118, 29, v118
	v_lshlrev_b64 v[19:20], v40, v[19:20]
	v_and_b32_e32 v19, 7, v19
; %bb.1830:                             ;   in Loop: Header=BB391_927 Depth=1
	s_or_b32 exec_lo, exec_lo, s18
	v_lshlrev_b32_e32 v10, 16, v10
	v_lshlrev_b32_e32 v19, 20, v19
	v_lshl_add_u32 v20, v118, 23, 0x3c000000
	v_and_b32_e32 v10, 0x80000000, v10
	v_or3_b32 v45, v19, v10, v20
.LBB391_1831:                           ;   in Loop: Header=BB391_927 Depth=1
	s_or_b32 exec_lo, exec_lo, s15
.LBB391_1832:                           ;   in Loop: Header=BB391_927 Depth=1
	s_or_b32 exec_lo, exec_lo, s13
.LBB391_1833:                           ;   in Loop: Header=BB391_927 Depth=1
	s_or_b32 exec_lo, exec_lo, s12
	v_and_b32_sdwa v10, v18, v68 dst_sel:DWORD dst_unused:UNUSED_PAD src0_sel:WORD_1 src1_sel:DWORD
	v_mov_b32_e32 v118, 0
	v_mov_b32_e32 v40, 0
	s_mov_b32 s12, exec_lo
	v_cmpx_ne_u16_e32 0, v10
	s_cbranch_execz .LBB391_1841
; %bb.1834:                             ;   in Loop: Header=BB391_927 Depth=1
	v_bfrev_b32_e32 v40, 1
	s_mov_b32 s13, exec_lo
	v_cmpx_ne_u16_e32 0x80, v10
	s_cbranch_execz .LBB391_1840
; %bb.1835:                             ;   in Loop: Header=BB391_927 Depth=1
	v_bfe_u32 v19, v18, 16, 7
	v_mov_b32_e32 v40, 0x7f800001
	s_mov_b32 s15, exec_lo
	v_cmpx_ne_u32_e32 0x7f, v19
	s_cbranch_execz .LBB391_1839
; %bb.1836:                             ;   in Loop: Header=BB391_927 Depth=1
	v_mov_b32_e32 v10, 7
	v_lshrrev_b32_e32 v40, 3, v19
	v_cmp_gt_u32_e64 s4, 8, v19
	v_and_b32_sdwa v10, v18, v10 dst_sel:DWORD dst_unused:UNUSED_PAD src0_sel:WORD_1 src1_sel:DWORD
	v_mov_b32_e32 v20, v11
	v_mov_b32_e32 v19, v10
	s_and_saveexec_b32 s18, s4
; %bb.1837:                             ;   in Loop: Header=BB391_927 Depth=1
	v_ffbh_u32_e32 v19, v10
	v_min_u32_e32 v40, 32, v19
	v_subrev_nc_u32_e32 v19, 28, v40
	v_sub_nc_u32_e32 v40, 29, v40
	v_lshlrev_b64 v[19:20], v19, v[10:11]
	v_and_b32_e32 v19, 7, v19
; %bb.1838:                             ;   in Loop: Header=BB391_927 Depth=1
	s_or_b32 exec_lo, exec_lo, s18
	v_mov_b32_e32 v10, 24
	v_lshlrev_b32_e32 v19, 20, v19
	v_lshl_add_u32 v20, v40, 23, 0x3c000000
	v_lshlrev_b32_sdwa v10, v10, v18 dst_sel:DWORD dst_unused:UNUSED_PAD src0_sel:DWORD src1_sel:WORD_1
	v_and_b32_e32 v10, 0x80000000, v10
	v_or3_b32 v40, v19, v10, v20
.LBB391_1839:                           ;   in Loop: Header=BB391_927 Depth=1
	s_or_b32 exec_lo, exec_lo, s15
.LBB391_1840:                           ;   in Loop: Header=BB391_927 Depth=1
	s_or_b32 exec_lo, exec_lo, s13
.LBB391_1841:                           ;   in Loop: Header=BB391_927 Depth=1
	s_or_b32 exec_lo, exec_lo, s12
	s_mov_b32 s12, exec_lo
	v_cmpx_lt_u64_e64 s[8:9], v[17:18]
	s_cbranch_execz .LBB391_1849
; %bb.1842:                             ;   in Loop: Header=BB391_927 Depth=1
	v_cmp_ne_u32_sdwa s4, v18, v66 src0_sel:BYTE_3 src1_sel:DWORD
	v_bfrev_b32_e32 v118, 1
	s_and_saveexec_b32 s13, s4
	s_cbranch_execz .LBB391_1848
; %bb.1843:                             ;   in Loop: Header=BB391_927 Depth=1
	v_bfe_u32 v19, v18, 24, 7
	v_mov_b32_e32 v118, 0x7f800001
	s_mov_b32 s15, exec_lo
	v_cmpx_ne_u32_e32 0x7f, v19
	s_cbranch_execz .LBB391_1847
; %bb.1844:                             ;   in Loop: Header=BB391_927 Depth=1
	v_mov_b32_e32 v10, 7
	v_lshrrev_b32_e32 v17, 3, v19
	v_cmp_gt_u32_e64 s4, 8, v19
	v_and_b32_sdwa v10, v18, v10 dst_sel:DWORD dst_unused:UNUSED_PAD src0_sel:BYTE_3 src1_sel:DWORD
	v_mov_b32_e32 v20, v11
	v_mov_b32_e32 v19, v10
	s_and_saveexec_b32 s18, s4
; %bb.1845:                             ;   in Loop: Header=BB391_927 Depth=1
	v_ffbh_u32_e32 v17, v10
	v_min_u32_e32 v17, 32, v17
	v_subrev_nc_u32_e32 v19, 28, v17
	v_sub_nc_u32_e32 v17, 29, v17
	v_lshlrev_b64 v[19:20], v19, v[10:11]
	v_and_b32_e32 v19, 7, v19
; %bb.1846:                             ;   in Loop: Header=BB391_927 Depth=1
	s_or_b32 exec_lo, exec_lo, s18
	v_mov_b32_e32 v10, 24
	v_lshl_add_u32 v17, v17, 23, 0x3c000000
	v_lshlrev_b32_sdwa v10, v10, v18 dst_sel:DWORD dst_unused:UNUSED_PAD src0_sel:DWORD src1_sel:BYTE_3
	v_lshlrev_b32_e32 v18, 20, v19
	v_and_b32_e32 v10, 0x80000000, v10
	v_or3_b32 v118, v18, v10, v17
.LBB391_1847:                           ;   in Loop: Header=BB391_927 Depth=1
	s_or_b32 exec_lo, exec_lo, s15
.LBB391_1848:                           ;   in Loop: Header=BB391_927 Depth=1
	s_or_b32 exec_lo, exec_lo, s13
.LBB391_1849:                           ;   in Loop: Header=BB391_927 Depth=1
	s_or_b32 exec_lo, exec_lo, s12
	v_mul_f32_e32 v10, v26, v45
	v_mul_f32_e32 v16, v26, v16
	v_bfe_u32 v17, v10, 16, 1
	v_or_b32_e32 v18, 0x400000, v10
	v_cmp_u_f32_e64 s4, v10, v10
	v_add3_u32 v17, v17, v10, 0x7fff
	v_cndmask_b32_e64 v10, v17, v18, s4
	v_mul_f32_e32 v17, v26, v41
	v_lshrrev_b32_e32 v10, 16, v10
	v_bfe_u32 v18, v17, 16, 1
	v_or_b32_e32 v19, 0x400000, v17
	v_cmp_u_f32_e64 s4, v17, v17
	v_add3_u32 v18, v18, v17, 0x7fff
	v_cndmask_b32_e64 v17, v18, v19, s4
	v_mul_f32_e32 v18, v26, v67
	v_lshrrev_b32_e32 v17, 16, v17
	;; [unrolled: 7-line block ×3, first 2 shown]
	v_bfe_u32 v20, v19, 16, 1
	v_or_b32_e32 v24, 0x400000, v19
	v_cmp_u_f32_e64 s4, v19, v19
	v_add3_u32 v20, v20, v19, 0x7fff
	v_cndmask_b32_e64 v19, v20, v24, s4
	v_lshrrev_b32_e32 v20, 16, v19
	v_mul_f32_e32 v19, v26, v23
	v_bfe_u32 v23, v19, 16, 1
	v_or_b32_e32 v24, 0x400000, v19
	v_cmp_u_f32_e64 s4, v19, v19
	v_add3_u32 v23, v23, v19, 0x7fff
	v_cndmask_b32_e64 v19, v23, v24, s4
	v_or_b32_e32 v23, 0x400000, v16
	v_cmp_u_f32_e64 s4, v16, v16
	v_lshrrev_b32_e32 v24, 16, v19
	v_bfe_u32 v19, v16, 16, 1
	v_add3_u32 v19, v19, v16, 0x7fff
	v_cndmask_b32_e64 v16, v19, v23, s4
	v_lshrrev_b32_e32 v67, 16, v16
	v_mul_f32_e32 v16, v26, v40
	v_bfe_u32 v19, v16, 16, 1
	v_or_b32_e32 v23, 0x400000, v16
	v_cmp_u_f32_e64 s4, v16, v16
	v_add3_u32 v19, v19, v16, 0x7fff
	v_cndmask_b32_e64 v16, v19, v23, s4
	v_lshrrev_b32_e32 v19, 16, v16
	v_mul_f32_e32 v16, v26, v118
	v_bfe_u32 v23, v16, 16, 1
	v_or_b32_e32 v118, 0x400000, v16
	v_cmp_u_f32_e64 s4, v16, v16
	v_add3_u32 v23, v23, v16, 0x7fff
	v_cndmask_b32_e64 v16, v23, v118, s4
	v_lshrrev_b32_e32 v23, 16, v16
	s_and_saveexec_b32 s4, vcc_lo
	s_cbranch_execz .LBB391_926
; %bb.1850:                             ;   in Loop: Header=BB391_927 Depth=1
	v_cmp_lt_i32_e32 vcc_lo, v119, v35
	v_cndmask_b32_e32 v67, 0, v67, vcc_lo
	v_cmp_lt_i32_e32 vcc_lo, v57, v35
	v_cndmask_b32_e32 v24, 0, v24, vcc_lo
	;; [unrolled: 2-line block ×8, first 2 shown]
	s_branch .LBB391_926
.LBB391_1851:
	s_or_b32 exec_lo, exec_lo, s11
	s_clause 0x7
	buffer_load_dword v36, off, s[0:3], s32 offset:696
	buffer_load_dword v37, off, s[0:3], s32 offset:700
	;; [unrolled: 1-line block ×8, first 2 shown]
	v_mov_b32_e32 v0, s16
	v_mov_b32_e32 v1, s17
.LBB391_1852:
	s_or_b32 exec_lo, exec_lo, s7
	v_lshlrev_b64 v[0:1], 2, v[0:1]
	s_getpc_b64 s[8:9]
	s_add_u32 s8, s8, llvm.amdgcn.dynlds.offset.table@rel32@lo+4
	s_addc_u32 s9, s9, llvm.amdgcn.dynlds.offset.table@rel32@hi+12
	s_waitcnt vmcnt(0) lgkmcnt(0)
	s_waitcnt_vscnt null, 0x0
	s_barrier
	buffer_gl0_inv
	ds_bpermute_b32 v2, v13, v54
	v_add_co_u32 v0, vcc_lo, s8, v0
	v_add_co_ci_u32_e64 v1, null, s9, v1, vcc_lo
	ds_bpermute_b32 v3, v13, v53
	ds_bpermute_b32 v4, v13, v51
	;; [unrolled: 1-line block ×3, first 2 shown]
	global_load_dword v14, v[0:1], off
	ds_bpermute_b32 v0, v13, v52
	ds_bpermute_b32 v1, v13, v55
	;; [unrolled: 1-line block ×10, first 2 shown]
	v_mul_u32_u24_e32 v17, 0x1c0, v64
	s_waitcnt lgkmcnt(13)
	v_add_f32_e32 v2, v54, v2
	v_and_b32_e32 v35, 0x3c3, v38
	s_mov_b32 s4, exec_lo
	s_waitcnt lgkmcnt(12)
	v_add_f32_e32 v3, v53, v3
	s_waitcnt lgkmcnt(11)
	v_add_f32_e32 v4, v51, v4
	;; [unrolled: 2-line block ×13, first 2 shown]
	ds_bpermute_b32 v7, v16, v0
	ds_bpermute_b32 v8, v16, v1
	;; [unrolled: 1-line block ×14, first 2 shown]
	v_lshrrev_b32_e32 v16, 2, v34
	v_and_b32_e32 v34, 28, v34
	s_waitcnt lgkmcnt(13)
	v_add_f32_e32 v13, v0, v7
	s_waitcnt lgkmcnt(12)
	v_add_f32_e32 v12, v1, v8
	;; [unrolled: 2-line block ×14, first 2 shown]
	s_waitcnt vmcnt(0)
	v_add_nc_u32_e32 v15, v14, v34
	v_cmpx_eq_u32_e32 64, v35
	s_cbranch_execz .LBB391_1854
; %bb.1853:
	v_add_nc_u32_e32 v18, v15, v17
	v_add_nc_u32_e32 v19, 0xfffffc80, v18
	;; [unrolled: 1-line block ×7, first 2 shown]
	ds_write_b32 v19, v13
	ds_write_b32 v20, v12
	;; [unrolled: 1-line block ×4, first 2 shown]
	v_add_nc_u32_e32 v19, 0xfffffd40, v18
	v_add_nc_u32_e32 v20, 0xfffffd60, v18
	;; [unrolled: 1-line block ×3, first 2 shown]
	ds_write_b32 v23, v9
	ds_write_b32 v24, v8
	;; [unrolled: 1-line block ×5, first 2 shown]
	v_add_nc_u32_e32 v19, 0xfffffda0, v18
	v_add_nc_u32_e32 v20, 0xfffffdc0, v18
	;; [unrolled: 1-line block ×5, first 2 shown]
	ds_write_b32 v19, v4
	ds_write_b32 v20, v3
	;; [unrolled: 1-line block ×5, first 2 shown]
.LBB391_1854:
	s_or_b32 exec_lo, exec_lo, s4
	v_lshlrev_b32_e32 v16, 2, v16
	s_mov_b32 s7, exec_lo
	v_cmp_eq_u32_e32 vcc_lo, 0, v65
	s_waitcnt lgkmcnt(0)
	s_barrier
	v_add3_u32 v14, v14, v17, v16
	buffer_gl0_inv
	v_cmpx_gt_u32_e32 64, v38
	s_cbranch_execz .LBB391_1871
; %bb.1855:
	s_and_saveexec_b32 s4, vcc_lo
	s_cbranch_execnz .LBB391_1893
; %bb.1856:
	s_or_b32 exec_lo, exec_lo, s4
	s_and_saveexec_b32 s4, vcc_lo
	s_cbranch_execnz .LBB391_1894
.LBB391_1857:
	s_or_b32 exec_lo, exec_lo, s4
	s_and_saveexec_b32 s4, vcc_lo
	s_cbranch_execnz .LBB391_1895
.LBB391_1858:
	s_or_b32 exec_lo, exec_lo, s4
	s_and_saveexec_b32 s4, vcc_lo
	s_cbranch_execnz .LBB391_1896
.LBB391_1859:
	s_or_b32 exec_lo, exec_lo, s4
	s_and_saveexec_b32 s4, vcc_lo
	s_cbranch_execnz .LBB391_1897
.LBB391_1860:
	s_or_b32 exec_lo, exec_lo, s4
	s_and_saveexec_b32 s4, vcc_lo
	s_cbranch_execnz .LBB391_1898
.LBB391_1861:
	s_or_b32 exec_lo, exec_lo, s4
	s_and_saveexec_b32 s4, vcc_lo
	s_cbranch_execnz .LBB391_1899
.LBB391_1862:
	s_or_b32 exec_lo, exec_lo, s4
	s_and_saveexec_b32 s4, vcc_lo
	s_cbranch_execnz .LBB391_1900
.LBB391_1863:
	s_or_b32 exec_lo, exec_lo, s4
	s_and_saveexec_b32 s4, vcc_lo
	s_cbranch_execnz .LBB391_1901
.LBB391_1864:
	s_or_b32 exec_lo, exec_lo, s4
	s_and_saveexec_b32 s4, vcc_lo
	s_cbranch_execnz .LBB391_1902
.LBB391_1865:
	s_or_b32 exec_lo, exec_lo, s4
	s_and_saveexec_b32 s4, vcc_lo
	s_cbranch_execnz .LBB391_1903
.LBB391_1866:
	s_or_b32 exec_lo, exec_lo, s4
	s_and_saveexec_b32 s4, vcc_lo
	s_cbranch_execnz .LBB391_1904
.LBB391_1867:
	s_or_b32 exec_lo, exec_lo, s4
	s_and_saveexec_b32 s4, vcc_lo
	s_cbranch_execnz .LBB391_1905
.LBB391_1868:
	s_or_b32 exec_lo, exec_lo, s4
	s_and_saveexec_b32 s4, vcc_lo
	s_cbranch_execz .LBB391_1870
.LBB391_1869:
	ds_read_b32 v16, v14 offset:416
	s_waitcnt lgkmcnt(0)
	v_add_f32_e32 v0, v16, v0
.LBB391_1870:
	s_or_b32 exec_lo, exec_lo, s4
.LBB391_1871:
	s_or_b32 exec_lo, exec_lo, s7
	v_and_b32_e32 v16, 0x3e3, v38
	s_mov_b32 s7, exec_lo
	s_barrier
	buffer_gl0_inv
	v_cmpx_eq_u32_e32 32, v16
	s_cbranch_execz .LBB391_1873
; %bb.1872:
	ds_write2_b32 v15, v13, v12 offset1:8
	ds_write2_b32 v15, v11, v10 offset0:16 offset1:24
	ds_write2_b32 v15, v9, v8 offset0:32 offset1:40
	ds_write2_b32 v15, v7, v6 offset0:48 offset1:56
	ds_write2_b32 v15, v5, v4 offset0:64 offset1:72
	ds_write2_b32 v15, v3, v2 offset0:80 offset1:88
	ds_write2_b32 v15, v1, v0 offset0:96 offset1:104
.LBB391_1873:
	s_or_b32 exec_lo, exec_lo, s7
	s_mov_b32 s7, exec_lo
	s_waitcnt lgkmcnt(0)
	s_barrier
	buffer_gl0_inv
	v_cmpx_gt_u32_e32 32, v38
	s_cbranch_execz .LBB391_1890
; %bb.1874:
	s_and_saveexec_b32 s4, vcc_lo
	s_cbranch_execnz .LBB391_1906
; %bb.1875:
	s_or_b32 exec_lo, exec_lo, s4
	s_and_saveexec_b32 s4, vcc_lo
	s_cbranch_execnz .LBB391_1907
.LBB391_1876:
	s_or_b32 exec_lo, exec_lo, s4
	s_and_saveexec_b32 s4, vcc_lo
	s_cbranch_execnz .LBB391_1908
.LBB391_1877:
	s_or_b32 exec_lo, exec_lo, s4
	s_and_saveexec_b32 s4, vcc_lo
	s_cbranch_execnz .LBB391_1909
.LBB391_1878:
	s_or_b32 exec_lo, exec_lo, s4
	s_and_saveexec_b32 s4, vcc_lo
	s_cbranch_execnz .LBB391_1910
.LBB391_1879:
	s_or_b32 exec_lo, exec_lo, s4
	s_and_saveexec_b32 s4, vcc_lo
	s_cbranch_execnz .LBB391_1911
.LBB391_1880:
	s_or_b32 exec_lo, exec_lo, s4
	s_and_saveexec_b32 s4, vcc_lo
	s_cbranch_execnz .LBB391_1912
.LBB391_1881:
	s_or_b32 exec_lo, exec_lo, s4
	s_and_saveexec_b32 s4, vcc_lo
	s_cbranch_execnz .LBB391_1913
.LBB391_1882:
	s_or_b32 exec_lo, exec_lo, s4
	s_and_saveexec_b32 s4, vcc_lo
	s_cbranch_execnz .LBB391_1914
.LBB391_1883:
	s_or_b32 exec_lo, exec_lo, s4
	s_and_saveexec_b32 s4, vcc_lo
	s_cbranch_execnz .LBB391_1915
.LBB391_1884:
	s_or_b32 exec_lo, exec_lo, s4
	s_and_saveexec_b32 s4, vcc_lo
	s_cbranch_execnz .LBB391_1916
.LBB391_1885:
	s_or_b32 exec_lo, exec_lo, s4
	s_and_saveexec_b32 s4, vcc_lo
	s_cbranch_execnz .LBB391_1917
.LBB391_1886:
	s_or_b32 exec_lo, exec_lo, s4
	s_and_saveexec_b32 s4, vcc_lo
	s_cbranch_execnz .LBB391_1918
.LBB391_1887:
	s_or_b32 exec_lo, exec_lo, s4
	s_and_saveexec_b32 s4, vcc_lo
	s_cbranch_execz .LBB391_1889
.LBB391_1888:
	ds_read_b32 v14, v14 offset:416
	s_waitcnt lgkmcnt(0)
	v_add_f32_e32 v0, v14, v0
.LBB391_1889:
	s_or_b32 exec_lo, exec_lo, s4
.LBB391_1890:
	s_or_b32 exec_lo, exec_lo, s7
	v_cmp_eq_u32_e32 vcc_lo, 0, v16
	s_barrier
	buffer_gl0_inv
	s_and_b32 exec_lo, exec_lo, vcc_lo
	s_cbranch_execz .LBB391_1892
; %bb.1891:
	s_mulk_i32 s6, 0x70
	s_mul_i32 s4, s10, s5
	s_ashr_i32 s7, s6, 31
	s_ashr_i32 s5, s4, 31
	s_lshl_b64 s[6:7], s[6:7], 1
	s_lshl_b64 s[4:5], s[4:5], 1
	v_add_co_u32 v14, vcc_lo, v37, s6
	v_add_co_ci_u32_e64 v15, null, s7, v36, vcc_lo
	s_mul_i32 s6, s14, 0x70
	v_add_co_u32 v14, vcc_lo, v14, s4
	s_ashr_i32 s7, s6, 31
	v_add_co_ci_u32_e64 v15, null, s5, v15, vcc_lo
	s_lshl_b64 s[4:5], s[6:7], 1
	v_lshrrev_b32_e32 v16, 1, v38
	v_add_co_u32 v14, vcc_lo, v14, s4
	v_bfe_u32 v17, v13, 16, 1
	v_add_co_ci_u32_e64 v15, null, s5, v15, vcc_lo
	v_add_co_u32 v14, vcc_lo, v14, v16
	v_add3_u32 v17, v17, v13, 0x7fff
	v_or_b32_e32 v18, 0x400000, v13
	v_add_co_ci_u32_e64 v15, null, 0, v15, vcc_lo
	v_bfe_u32 v16, v12, 16, 1
	v_cmp_u_f32_e32 vcc_lo, v13, v13
	v_add3_u32 v16, v16, v12, 0x7fff
	v_cndmask_b32_e32 v13, v17, v18, vcc_lo
	v_bfe_u32 v17, v11, 16, 1
	v_or_b32_e32 v18, 0x400000, v12
	v_cmp_u_f32_e32 vcc_lo, v12, v12
	flat_store_short_d16_hi v[14:15], v13
	v_add3_u32 v13, v17, v11, 0x7fff
	v_or_b32_e32 v17, 0x400000, v11
	v_cndmask_b32_e32 v12, v16, v18, vcc_lo
	v_bfe_u32 v16, v10, 16, 1
	v_cmp_u_f32_e32 vcc_lo, v11, v11
	flat_store_short_d16_hi v[14:15], v12 offset:16
	v_add3_u32 v12, v16, v10, 0x7fff
	v_cndmask_b32_e32 v11, v13, v17, vcc_lo
	v_bfe_u32 v13, v9, 16, 1
	v_or_b32_e32 v16, 0x400000, v10
	v_cmp_u_f32_e32 vcc_lo, v10, v10
	flat_store_short_d16_hi v[14:15], v11 offset:32
	v_add3_u32 v11, v13, v9, 0x7fff
	v_or_b32_e32 v13, 0x400000, v9
	v_cndmask_b32_e32 v10, v12, v16, vcc_lo
	v_bfe_u32 v12, v8, 16, 1
	v_cmp_u_f32_e32 vcc_lo, v9, v9
	flat_store_short_d16_hi v[14:15], v10 offset:48
	v_add3_u32 v10, v12, v8, 0x7fff
	v_cndmask_b32_e32 v9, v11, v13, vcc_lo
	v_bfe_u32 v11, v7, 16, 1
	v_or_b32_e32 v12, 0x400000, v8
	v_cmp_u_f32_e32 vcc_lo, v8, v8
	flat_store_short_d16_hi v[14:15], v9 offset:64
	v_add3_u32 v9, v11, v7, 0x7fff
	v_or_b32_e32 v11, 0x400000, v7
	v_cndmask_b32_e32 v8, v10, v12, vcc_lo
	v_bfe_u32 v10, v6, 16, 1
	v_cmp_u_f32_e32 vcc_lo, v7, v7
	flat_store_short_d16_hi v[14:15], v8 offset:80
	v_add3_u32 v8, v10, v6, 0x7fff
	v_cndmask_b32_e32 v7, v9, v11, vcc_lo
	v_bfe_u32 v9, v5, 16, 1
	v_or_b32_e32 v10, 0x400000, v6
	v_cmp_u_f32_e32 vcc_lo, v6, v6
	flat_store_short_d16_hi v[14:15], v7 offset:96
	v_add3_u32 v7, v9, v5, 0x7fff
	v_or_b32_e32 v9, 0x400000, v5
	v_cndmask_b32_e32 v6, v8, v10, vcc_lo
	v_bfe_u32 v8, v4, 16, 1
	v_cmp_u_f32_e32 vcc_lo, v5, v5
	v_or_b32_e32 v10, 0x400000, v0
	flat_store_short_d16_hi v[14:15], v6 offset:112
	v_add3_u32 v6, v8, v4, 0x7fff
	v_cndmask_b32_e32 v5, v7, v9, vcc_lo
	v_bfe_u32 v7, v3, 16, 1
	v_or_b32_e32 v8, 0x400000, v4
	v_cmp_u_f32_e32 vcc_lo, v4, v4
	v_or_b32_e32 v9, 0x400000, v1
	flat_store_short_d16_hi v[14:15], v5 offset:128
	v_add3_u32 v5, v7, v3, 0x7fff
	v_or_b32_e32 v7, 0x400000, v3
	v_cndmask_b32_e32 v4, v6, v8, vcc_lo
	v_bfe_u32 v6, v2, 16, 1
	v_cmp_u_f32_e32 vcc_lo, v3, v3
	v_bfe_u32 v8, v1, 16, 1
	v_add3_u32 v6, v6, v2, 0x7fff
	v_cndmask_b32_e32 v3, v5, v7, vcc_lo
	v_or_b32_e32 v7, 0x400000, v2
	v_cmp_u_f32_e32 vcc_lo, v2, v2
	v_bfe_u32 v5, v0, 16, 1
	v_add3_u32 v8, v8, v1, 0x7fff
	v_cndmask_b32_e32 v2, v6, v7, vcc_lo
	v_cmp_u_f32_e32 vcc_lo, v1, v1
	v_add3_u32 v5, v5, v0, 0x7fff
	v_cndmask_b32_e32 v1, v8, v9, vcc_lo
	v_cmp_u_f32_e32 vcc_lo, v0, v0
	v_cndmask_b32_e32 v0, v5, v10, vcc_lo
	flat_store_short_d16_hi v[14:15], v4 offset:144
	flat_store_short_d16_hi v[14:15], v3 offset:160
	;; [unrolled: 1-line block ×5, first 2 shown]
.LBB391_1892:
	s_or_b32 exec_lo, exec_lo, s19
	s_clause 0x2f
	buffer_load_dword v127, off, s[0:3], s32
	buffer_load_dword v126, off, s[0:3], s32 offset:4
	buffer_load_dword v125, off, s[0:3], s32 offset:8
	buffer_load_dword v124, off, s[0:3], s32 offset:12
	buffer_load_dword v123, off, s[0:3], s32 offset:16
	buffer_load_dword v122, off, s[0:3], s32 offset:20
	buffer_load_dword v121, off, s[0:3], s32 offset:24
	buffer_load_dword v120, off, s[0:3], s32 offset:28
	buffer_load_dword v111, off, s[0:3], s32 offset:32
	buffer_load_dword v110, off, s[0:3], s32 offset:36
	buffer_load_dword v109, off, s[0:3], s32 offset:40
	buffer_load_dword v108, off, s[0:3], s32 offset:44
	buffer_load_dword v107, off, s[0:3], s32 offset:48
	buffer_load_dword v106, off, s[0:3], s32 offset:52
	buffer_load_dword v105, off, s[0:3], s32 offset:56
	buffer_load_dword v104, off, s[0:3], s32 offset:60
	buffer_load_dword v95, off, s[0:3], s32 offset:64
	buffer_load_dword v94, off, s[0:3], s32 offset:68
	buffer_load_dword v93, off, s[0:3], s32 offset:72
	buffer_load_dword v92, off, s[0:3], s32 offset:76
	buffer_load_dword v91, off, s[0:3], s32 offset:80
	buffer_load_dword v90, off, s[0:3], s32 offset:84
	buffer_load_dword v89, off, s[0:3], s32 offset:88
	buffer_load_dword v88, off, s[0:3], s32 offset:92
	buffer_load_dword v79, off, s[0:3], s32 offset:96
	buffer_load_dword v78, off, s[0:3], s32 offset:100
	buffer_load_dword v77, off, s[0:3], s32 offset:104
	buffer_load_dword v76, off, s[0:3], s32 offset:108
	buffer_load_dword v75, off, s[0:3], s32 offset:112
	buffer_load_dword v74, off, s[0:3], s32 offset:116
	buffer_load_dword v73, off, s[0:3], s32 offset:120
	buffer_load_dword v72, off, s[0:3], s32 offset:124
	buffer_load_dword v63, off, s[0:3], s32 offset:128
	buffer_load_dword v62, off, s[0:3], s32 offset:132
	buffer_load_dword v61, off, s[0:3], s32 offset:136
	buffer_load_dword v60, off, s[0:3], s32 offset:140
	buffer_load_dword v59, off, s[0:3], s32 offset:144
	buffer_load_dword v58, off, s[0:3], s32 offset:148
	buffer_load_dword v57, off, s[0:3], s32 offset:152
	buffer_load_dword v56, off, s[0:3], s32 offset:156
	buffer_load_dword v47, off, s[0:3], s32 offset:160
	buffer_load_dword v46, off, s[0:3], s32 offset:164
	buffer_load_dword v45, off, s[0:3], s32 offset:168
	buffer_load_dword v44, off, s[0:3], s32 offset:172
	buffer_load_dword v43, off, s[0:3], s32 offset:176
	buffer_load_dword v42, off, s[0:3], s32 offset:180
	buffer_load_dword v41, off, s[0:3], s32 offset:184
	buffer_load_dword v40, off, s[0:3], s32 offset:188
	s_waitcnt vmcnt(0) lgkmcnt(0)
	s_setpc_b64 s[30:31]
.LBB391_1893:
	ds_read_b32 v16, v14
	s_waitcnt lgkmcnt(0)
	v_add_f32_e32 v13, v16, v13
	s_or_b32 exec_lo, exec_lo, s4
	s_and_saveexec_b32 s4, vcc_lo
	s_cbranch_execz .LBB391_1857
.LBB391_1894:
	ds_read_b32 v16, v14 offset:32
	s_waitcnt lgkmcnt(0)
	v_add_f32_e32 v12, v16, v12
	s_or_b32 exec_lo, exec_lo, s4
	s_and_saveexec_b32 s4, vcc_lo
	s_cbranch_execz .LBB391_1858
.LBB391_1895:
	ds_read_b32 v16, v14 offset:64
	s_waitcnt lgkmcnt(0)
	v_add_f32_e32 v11, v16, v11
	s_or_b32 exec_lo, exec_lo, s4
	s_and_saveexec_b32 s4, vcc_lo
	s_cbranch_execz .LBB391_1859
.LBB391_1896:
	ds_read_b32 v16, v14 offset:96
	s_waitcnt lgkmcnt(0)
	v_add_f32_e32 v10, v16, v10
	s_or_b32 exec_lo, exec_lo, s4
	s_and_saveexec_b32 s4, vcc_lo
	s_cbranch_execz .LBB391_1860
.LBB391_1897:
	ds_read_b32 v16, v14 offset:128
	s_waitcnt lgkmcnt(0)
	v_add_f32_e32 v9, v16, v9
	s_or_b32 exec_lo, exec_lo, s4
	s_and_saveexec_b32 s4, vcc_lo
	s_cbranch_execz .LBB391_1861
.LBB391_1898:
	ds_read_b32 v16, v14 offset:160
	s_waitcnt lgkmcnt(0)
	v_add_f32_e32 v8, v16, v8
	s_or_b32 exec_lo, exec_lo, s4
	s_and_saveexec_b32 s4, vcc_lo
	s_cbranch_execz .LBB391_1862
.LBB391_1899:
	ds_read_b32 v16, v14 offset:192
	s_waitcnt lgkmcnt(0)
	v_add_f32_e32 v7, v16, v7
	s_or_b32 exec_lo, exec_lo, s4
	s_and_saveexec_b32 s4, vcc_lo
	s_cbranch_execz .LBB391_1863
.LBB391_1900:
	ds_read_b32 v16, v14 offset:224
	s_waitcnt lgkmcnt(0)
	v_add_f32_e32 v6, v16, v6
	s_or_b32 exec_lo, exec_lo, s4
	s_and_saveexec_b32 s4, vcc_lo
	s_cbranch_execz .LBB391_1864
.LBB391_1901:
	ds_read_b32 v16, v14 offset:256
	s_waitcnt lgkmcnt(0)
	v_add_f32_e32 v5, v16, v5
	s_or_b32 exec_lo, exec_lo, s4
	s_and_saveexec_b32 s4, vcc_lo
	s_cbranch_execz .LBB391_1865
.LBB391_1902:
	ds_read_b32 v16, v14 offset:288
	s_waitcnt lgkmcnt(0)
	v_add_f32_e32 v4, v16, v4
	s_or_b32 exec_lo, exec_lo, s4
	s_and_saveexec_b32 s4, vcc_lo
	s_cbranch_execz .LBB391_1866
.LBB391_1903:
	ds_read_b32 v16, v14 offset:320
	s_waitcnt lgkmcnt(0)
	v_add_f32_e32 v3, v16, v3
	s_or_b32 exec_lo, exec_lo, s4
	s_and_saveexec_b32 s4, vcc_lo
	s_cbranch_execz .LBB391_1867
.LBB391_1904:
	ds_read_b32 v16, v14 offset:352
	s_waitcnt lgkmcnt(0)
	v_add_f32_e32 v2, v16, v2
	s_or_b32 exec_lo, exec_lo, s4
	s_and_saveexec_b32 s4, vcc_lo
	s_cbranch_execz .LBB391_1868
.LBB391_1905:
	ds_read_b32 v16, v14 offset:384
	s_waitcnt lgkmcnt(0)
	v_add_f32_e32 v1, v16, v1
	s_or_b32 exec_lo, exec_lo, s4
	s_and_saveexec_b32 s4, vcc_lo
	s_cbranch_execnz .LBB391_1869
	s_branch .LBB391_1870
.LBB391_1906:
	ds_read_b32 v15, v14
	s_waitcnt lgkmcnt(0)
	v_add_f32_e32 v13, v15, v13
	s_or_b32 exec_lo, exec_lo, s4
	s_and_saveexec_b32 s4, vcc_lo
	s_cbranch_execz .LBB391_1876
.LBB391_1907:
	ds_read_b32 v15, v14 offset:32
	s_waitcnt lgkmcnt(0)
	v_add_f32_e32 v12, v15, v12
	s_or_b32 exec_lo, exec_lo, s4
	s_and_saveexec_b32 s4, vcc_lo
	s_cbranch_execz .LBB391_1877
.LBB391_1908:
	ds_read_b32 v15, v14 offset:64
	s_waitcnt lgkmcnt(0)
	v_add_f32_e32 v11, v15, v11
	s_or_b32 exec_lo, exec_lo, s4
	s_and_saveexec_b32 s4, vcc_lo
	s_cbranch_execz .LBB391_1878
.LBB391_1909:
	ds_read_b32 v15, v14 offset:96
	s_waitcnt lgkmcnt(0)
	v_add_f32_e32 v10, v15, v10
	s_or_b32 exec_lo, exec_lo, s4
	s_and_saveexec_b32 s4, vcc_lo
	s_cbranch_execz .LBB391_1879
.LBB391_1910:
	ds_read_b32 v15, v14 offset:128
	s_waitcnt lgkmcnt(0)
	v_add_f32_e32 v9, v15, v9
	s_or_b32 exec_lo, exec_lo, s4
	s_and_saveexec_b32 s4, vcc_lo
	s_cbranch_execz .LBB391_1880
.LBB391_1911:
	ds_read_b32 v15, v14 offset:160
	s_waitcnt lgkmcnt(0)
	v_add_f32_e32 v8, v15, v8
	s_or_b32 exec_lo, exec_lo, s4
	s_and_saveexec_b32 s4, vcc_lo
	s_cbranch_execz .LBB391_1881
.LBB391_1912:
	ds_read_b32 v15, v14 offset:192
	s_waitcnt lgkmcnt(0)
	v_add_f32_e32 v7, v15, v7
	s_or_b32 exec_lo, exec_lo, s4
	s_and_saveexec_b32 s4, vcc_lo
	s_cbranch_execz .LBB391_1882
.LBB391_1913:
	ds_read_b32 v15, v14 offset:224
	s_waitcnt lgkmcnt(0)
	v_add_f32_e32 v6, v15, v6
	s_or_b32 exec_lo, exec_lo, s4
	s_and_saveexec_b32 s4, vcc_lo
	s_cbranch_execz .LBB391_1883
.LBB391_1914:
	ds_read_b32 v15, v14 offset:256
	s_waitcnt lgkmcnt(0)
	v_add_f32_e32 v5, v15, v5
	s_or_b32 exec_lo, exec_lo, s4
	s_and_saveexec_b32 s4, vcc_lo
	s_cbranch_execz .LBB391_1884
.LBB391_1915:
	ds_read_b32 v15, v14 offset:288
	s_waitcnt lgkmcnt(0)
	v_add_f32_e32 v4, v15, v4
	s_or_b32 exec_lo, exec_lo, s4
	s_and_saveexec_b32 s4, vcc_lo
	s_cbranch_execz .LBB391_1885
.LBB391_1916:
	ds_read_b32 v15, v14 offset:320
	s_waitcnt lgkmcnt(0)
	v_add_f32_e32 v3, v15, v3
	s_or_b32 exec_lo, exec_lo, s4
	s_and_saveexec_b32 s4, vcc_lo
	s_cbranch_execz .LBB391_1886
.LBB391_1917:
	ds_read_b32 v15, v14 offset:352
	s_waitcnt lgkmcnt(0)
	v_add_f32_e32 v2, v15, v2
	s_or_b32 exec_lo, exec_lo, s4
	s_and_saveexec_b32 s4, vcc_lo
	s_cbranch_execz .LBB391_1887
.LBB391_1918:
	ds_read_b32 v15, v14 offset:384
	s_waitcnt lgkmcnt(0)
	v_add_f32_e32 v1, v15, v1
	s_or_b32 exec_lo, exec_lo, s4
	s_and_saveexec_b32 s4, vcc_lo
	s_cbranch_execnz .LBB391_1888
	s_branch .LBB391_1889
.Lfunc_end391:
	.size	_ZN4vllm22paged_attention_kernelI14__hip_bfloat16hLi112ELi32ELi128ELNS_18Fp8KVCacheDataTypeE1ELb0ELi512EEEvPfS3_PT_PKS4_PKT0_SA_ifPKiSC_iPKfiiiSE_SE_iiiii, .Lfunc_end391-_ZN4vllm22paged_attention_kernelI14__hip_bfloat16hLi112ELi32ELi128ELNS_18Fp8KVCacheDataTypeE1ELb0ELi512EEEvPfS3_PT_PKS4_PKT0_SA_ifPKiSC_iPKfiiiSE_SE_iiiii
                                        ; -- End function
	.set .L_ZN4vllm22paged_attention_kernelI14__hip_bfloat16hLi112ELi32ELi128ELNS_18Fp8KVCacheDataTypeE1ELb0ELi512EEEvPfS3_PT_PKS4_PKT0_SA_ifPKiSC_iPKfiiiSE_SE_iiiii.num_vgpr, 128
	.set .L_ZN4vllm22paged_attention_kernelI14__hip_bfloat16hLi112ELi32ELi128ELNS_18Fp8KVCacheDataTypeE1ELb0ELi512EEEvPfS3_PT_PKS4_PKT0_SA_ifPKiSC_iPKfiiiSE_SE_iiiii.num_agpr, 0
	.set .L_ZN4vllm22paged_attention_kernelI14__hip_bfloat16hLi112ELi32ELi128ELNS_18Fp8KVCacheDataTypeE1ELb0ELi512EEEvPfS3_PT_PKS4_PKT0_SA_ifPKiSC_iPKfiiiSE_SE_iiiii.numbered_sgpr, 33
	.set .L_ZN4vllm22paged_attention_kernelI14__hip_bfloat16hLi112ELi32ELi128ELNS_18Fp8KVCacheDataTypeE1ELb0ELi512EEEvPfS3_PT_PKS4_PKT0_SA_ifPKiSC_iPKfiiiSE_SE_iiiii.num_named_barrier, 0
	.set .L_ZN4vllm22paged_attention_kernelI14__hip_bfloat16hLi112ELi32ELi128ELNS_18Fp8KVCacheDataTypeE1ELb0ELi512EEEvPfS3_PT_PKS4_PKT0_SA_ifPKiSC_iPKfiiiSE_SE_iiiii.private_seg_size, 784
	.set .L_ZN4vllm22paged_attention_kernelI14__hip_bfloat16hLi112ELi32ELi128ELNS_18Fp8KVCacheDataTypeE1ELb0ELi512EEEvPfS3_PT_PKS4_PKT0_SA_ifPKiSC_iPKfiiiSE_SE_iiiii.uses_vcc, 1
	.set .L_ZN4vllm22paged_attention_kernelI14__hip_bfloat16hLi112ELi32ELi128ELNS_18Fp8KVCacheDataTypeE1ELb0ELi512EEEvPfS3_PT_PKS4_PKT0_SA_ifPKiSC_iPKfiiiSE_SE_iiiii.uses_flat_scratch, 0
	.set .L_ZN4vllm22paged_attention_kernelI14__hip_bfloat16hLi112ELi32ELi128ELNS_18Fp8KVCacheDataTypeE1ELb0ELi512EEEvPfS3_PT_PKS4_PKT0_SA_ifPKiSC_iPKfiiiSE_SE_iiiii.has_dyn_sized_stack, 0
	.set .L_ZN4vllm22paged_attention_kernelI14__hip_bfloat16hLi112ELi32ELi128ELNS_18Fp8KVCacheDataTypeE1ELb0ELi512EEEvPfS3_PT_PKS4_PKT0_SA_ifPKiSC_iPKfiiiSE_SE_iiiii.has_recursion, 0
	.set .L_ZN4vllm22paged_attention_kernelI14__hip_bfloat16hLi112ELi32ELi128ELNS_18Fp8KVCacheDataTypeE1ELb0ELi512EEEvPfS3_PT_PKS4_PKT0_SA_ifPKiSC_iPKfiiiSE_SE_iiiii.has_indirect_call, 0
	.section	.AMDGPU.csdata,"",@progbits
; Function info:
; codeLenInByte = 75252
; TotalNumSgprs: 35
; NumVgprs: 128
; ScratchSize: 784
; MemoryBound: 0
	.section	.text._ZN4vllm25paged_attention_v2_kernelI14__hip_bfloat16hLi112ELi32ELi128ELNS_18Fp8KVCacheDataTypeE1ELb0ELi512EEEvPfS3_PT_PKS4_PKT0_SA_ifPKiSC_iPKfiiiSE_SE_iiiii,"axG",@progbits,_ZN4vllm25paged_attention_v2_kernelI14__hip_bfloat16hLi112ELi32ELi128ELNS_18Fp8KVCacheDataTypeE1ELb0ELi512EEEvPfS3_PT_PKS4_PKT0_SA_ifPKiSC_iPKfiiiSE_SE_iiiii,comdat
	.protected	_ZN4vllm25paged_attention_v2_kernelI14__hip_bfloat16hLi112ELi32ELi128ELNS_18Fp8KVCacheDataTypeE1ELb0ELi512EEEvPfS3_PT_PKS4_PKT0_SA_ifPKiSC_iPKfiiiSE_SE_iiiii ; -- Begin function _ZN4vllm25paged_attention_v2_kernelI14__hip_bfloat16hLi112ELi32ELi128ELNS_18Fp8KVCacheDataTypeE1ELb0ELi512EEEvPfS3_PT_PKS4_PKT0_SA_ifPKiSC_iPKfiiiSE_SE_iiiii
	.globl	_ZN4vllm25paged_attention_v2_kernelI14__hip_bfloat16hLi112ELi32ELi128ELNS_18Fp8KVCacheDataTypeE1ELb0ELi512EEEvPfS3_PT_PKS4_PKT0_SA_ifPKiSC_iPKfiiiSE_SE_iiiii
	.p2align	8
	.type	_ZN4vllm25paged_attention_v2_kernelI14__hip_bfloat16hLi112ELi32ELi128ELNS_18Fp8KVCacheDataTypeE1ELb0ELi512EEEvPfS3_PT_PKS4_PKT0_SA_ifPKiSC_iPKfiiiSE_SE_iiiii,@function
_ZN4vllm25paged_attention_v2_kernelI14__hip_bfloat16hLi112ELi32ELi128ELNS_18Fp8KVCacheDataTypeE1ELb0ELi512EEEvPfS3_PT_PKS4_PKT0_SA_ifPKiSC_iPKfiiiSE_SE_iiiii: ; @_ZN4vllm25paged_attention_v2_kernelI14__hip_bfloat16hLi112ELi32ELi128ELNS_18Fp8KVCacheDataTypeE1ELb0ELi512EEEvPfS3_PT_PKS4_PKT0_SA_ifPKiSC_iPKfiiiSE_SE_iiiii
; %bb.0:
	s_clause 0x5
	s_load_dwordx8 s[24:31], s[4:5], 0x0
	s_load_dwordx8 s[16:23], s[4:5], 0x20
	s_load_dwordx2 s[10:11], s[4:5], 0x40
	s_load_dwordx2 s[34:35], s[4:5], 0x50
	s_load_dword s13, s[4:5], 0x48
	s_load_dwordx8 s[36:43], s[4:5], 0x58
	s_add_u32 s0, s0, s9
	s_addc_u32 s1, s1, 0
	v_mov_b32_e32 v31, v0
	s_mov_b32 s14, s8
	s_add_u32 s8, s4, 0x90
	s_addc_u32 s9, s5, 0
	s_getpc_b64 s[4:5]
	s_add_u32 s4, s4, _ZN4vllm22paged_attention_kernelI14__hip_bfloat16hLi112ELi32ELi128ELNS_18Fp8KVCacheDataTypeE1ELb0ELi512EEEvPfS3_PT_PKS4_PKT0_SA_ifPKiSC_iPKfiiiSE_SE_iiiii@rel32@lo+4
	s_addc_u32 s5, s5, _ZN4vllm22paged_attention_kernelI14__hip_bfloat16hLi112ELi32ELi128ELNS_18Fp8KVCacheDataTypeE1ELb0ELi512EEEvPfS3_PT_PKS4_PKT0_SA_ifPKiSC_iPKfiiiSE_SE_iiiii@rel32@hi+12
	s_mov_b32 s12, s6
	s_mov_b32 s15, 0
	;; [unrolled: 1-line block ×3, first 2 shown]
	s_waitcnt lgkmcnt(0)
	v_mov_b32_e32 v0, s24
	v_mov_b32_e32 v1, s25
	;; [unrolled: 1-line block ×28, first 2 shown]
	s_mov_b32 s13, s7
	s_swappc_b64 s[30:31], s[4:5]
	s_endpgm
	.section	.rodata,"a",@progbits
	.p2align	6, 0x0
	.amdhsa_kernel _ZN4vllm25paged_attention_v2_kernelI14__hip_bfloat16hLi112ELi32ELi128ELNS_18Fp8KVCacheDataTypeE1ELb0ELi512EEEvPfS3_PT_PKS4_PKT0_SA_ifPKiSC_iPKfiiiSE_SE_iiiii
		.amdhsa_group_segment_fixed_size 256
		.amdhsa_private_segment_fixed_size 784
		.amdhsa_kernarg_size 400
		.amdhsa_user_sgpr_count 6
		.amdhsa_user_sgpr_private_segment_buffer 1
		.amdhsa_user_sgpr_dispatch_ptr 0
		.amdhsa_user_sgpr_queue_ptr 0
		.amdhsa_user_sgpr_kernarg_segment_ptr 1
		.amdhsa_user_sgpr_dispatch_id 0
		.amdhsa_user_sgpr_flat_scratch_init 0
		.amdhsa_user_sgpr_private_segment_size 0
		.amdhsa_wavefront_size32 1
		.amdhsa_uses_dynamic_stack 0
		.amdhsa_system_sgpr_private_segment_wavefront_offset 1
		.amdhsa_system_sgpr_workgroup_id_x 1
		.amdhsa_system_sgpr_workgroup_id_y 1
		.amdhsa_system_sgpr_workgroup_id_z 1
		.amdhsa_system_sgpr_workgroup_info 0
		.amdhsa_system_vgpr_workitem_id 0
		.amdhsa_next_free_vgpr 128
		.amdhsa_next_free_sgpr 44
		.amdhsa_reserve_vcc 1
		.amdhsa_reserve_flat_scratch 0
		.amdhsa_float_round_mode_32 0
		.amdhsa_float_round_mode_16_64 0
		.amdhsa_float_denorm_mode_32 3
		.amdhsa_float_denorm_mode_16_64 3
		.amdhsa_dx10_clamp 1
		.amdhsa_ieee_mode 1
		.amdhsa_fp16_overflow 0
		.amdhsa_workgroup_processor_mode 1
		.amdhsa_memory_ordered 1
		.amdhsa_forward_progress 1
		.amdhsa_shared_vgpr_count 0
		.amdhsa_exception_fp_ieee_invalid_op 0
		.amdhsa_exception_fp_denorm_src 0
		.amdhsa_exception_fp_ieee_div_zero 0
		.amdhsa_exception_fp_ieee_overflow 0
		.amdhsa_exception_fp_ieee_underflow 0
		.amdhsa_exception_fp_ieee_inexact 0
		.amdhsa_exception_int_div_zero 0
	.end_amdhsa_kernel
	.section	.text._ZN4vllm25paged_attention_v2_kernelI14__hip_bfloat16hLi112ELi32ELi128ELNS_18Fp8KVCacheDataTypeE1ELb0ELi512EEEvPfS3_PT_PKS4_PKT0_SA_ifPKiSC_iPKfiiiSE_SE_iiiii,"axG",@progbits,_ZN4vllm25paged_attention_v2_kernelI14__hip_bfloat16hLi112ELi32ELi128ELNS_18Fp8KVCacheDataTypeE1ELb0ELi512EEEvPfS3_PT_PKS4_PKT0_SA_ifPKiSC_iPKfiiiSE_SE_iiiii,comdat
.Lfunc_end392:
	.size	_ZN4vllm25paged_attention_v2_kernelI14__hip_bfloat16hLi112ELi32ELi128ELNS_18Fp8KVCacheDataTypeE1ELb0ELi512EEEvPfS3_PT_PKS4_PKT0_SA_ifPKiSC_iPKfiiiSE_SE_iiiii, .Lfunc_end392-_ZN4vllm25paged_attention_v2_kernelI14__hip_bfloat16hLi112ELi32ELi128ELNS_18Fp8KVCacheDataTypeE1ELb0ELi512EEEvPfS3_PT_PKS4_PKT0_SA_ifPKiSC_iPKfiiiSE_SE_iiiii
                                        ; -- End function
	.set _ZN4vllm25paged_attention_v2_kernelI14__hip_bfloat16hLi112ELi32ELi128ELNS_18Fp8KVCacheDataTypeE1ELb0ELi512EEEvPfS3_PT_PKS4_PKT0_SA_ifPKiSC_iPKfiiiSE_SE_iiiii.num_vgpr, max(32, .L_ZN4vllm22paged_attention_kernelI14__hip_bfloat16hLi112ELi32ELi128ELNS_18Fp8KVCacheDataTypeE1ELb0ELi512EEEvPfS3_PT_PKS4_PKT0_SA_ifPKiSC_iPKfiiiSE_SE_iiiii.num_vgpr)
	.set _ZN4vllm25paged_attention_v2_kernelI14__hip_bfloat16hLi112ELi32ELi128ELNS_18Fp8KVCacheDataTypeE1ELb0ELi512EEEvPfS3_PT_PKS4_PKT0_SA_ifPKiSC_iPKfiiiSE_SE_iiiii.num_agpr, max(0, .L_ZN4vllm22paged_attention_kernelI14__hip_bfloat16hLi112ELi32ELi128ELNS_18Fp8KVCacheDataTypeE1ELb0ELi512EEEvPfS3_PT_PKS4_PKT0_SA_ifPKiSC_iPKfiiiSE_SE_iiiii.num_agpr)
	.set _ZN4vllm25paged_attention_v2_kernelI14__hip_bfloat16hLi112ELi32ELi128ELNS_18Fp8KVCacheDataTypeE1ELb0ELi512EEEvPfS3_PT_PKS4_PKT0_SA_ifPKiSC_iPKfiiiSE_SE_iiiii.numbered_sgpr, max(44, .L_ZN4vllm22paged_attention_kernelI14__hip_bfloat16hLi112ELi32ELi128ELNS_18Fp8KVCacheDataTypeE1ELb0ELi512EEEvPfS3_PT_PKS4_PKT0_SA_ifPKiSC_iPKfiiiSE_SE_iiiii.numbered_sgpr)
	.set _ZN4vllm25paged_attention_v2_kernelI14__hip_bfloat16hLi112ELi32ELi128ELNS_18Fp8KVCacheDataTypeE1ELb0ELi512EEEvPfS3_PT_PKS4_PKT0_SA_ifPKiSC_iPKfiiiSE_SE_iiiii.num_named_barrier, max(0, .L_ZN4vllm22paged_attention_kernelI14__hip_bfloat16hLi112ELi32ELi128ELNS_18Fp8KVCacheDataTypeE1ELb0ELi512EEEvPfS3_PT_PKS4_PKT0_SA_ifPKiSC_iPKfiiiSE_SE_iiiii.num_named_barrier)
	.set _ZN4vllm25paged_attention_v2_kernelI14__hip_bfloat16hLi112ELi32ELi128ELNS_18Fp8KVCacheDataTypeE1ELb0ELi512EEEvPfS3_PT_PKS4_PKT0_SA_ifPKiSC_iPKfiiiSE_SE_iiiii.private_seg_size, 0+max(.L_ZN4vllm22paged_attention_kernelI14__hip_bfloat16hLi112ELi32ELi128ELNS_18Fp8KVCacheDataTypeE1ELb0ELi512EEEvPfS3_PT_PKS4_PKT0_SA_ifPKiSC_iPKfiiiSE_SE_iiiii.private_seg_size)
	.set _ZN4vllm25paged_attention_v2_kernelI14__hip_bfloat16hLi112ELi32ELi128ELNS_18Fp8KVCacheDataTypeE1ELb0ELi512EEEvPfS3_PT_PKS4_PKT0_SA_ifPKiSC_iPKfiiiSE_SE_iiiii.uses_vcc, or(1, .L_ZN4vllm22paged_attention_kernelI14__hip_bfloat16hLi112ELi32ELi128ELNS_18Fp8KVCacheDataTypeE1ELb0ELi512EEEvPfS3_PT_PKS4_PKT0_SA_ifPKiSC_iPKfiiiSE_SE_iiiii.uses_vcc)
	.set _ZN4vllm25paged_attention_v2_kernelI14__hip_bfloat16hLi112ELi32ELi128ELNS_18Fp8KVCacheDataTypeE1ELb0ELi512EEEvPfS3_PT_PKS4_PKT0_SA_ifPKiSC_iPKfiiiSE_SE_iiiii.uses_flat_scratch, or(0, .L_ZN4vllm22paged_attention_kernelI14__hip_bfloat16hLi112ELi32ELi128ELNS_18Fp8KVCacheDataTypeE1ELb0ELi512EEEvPfS3_PT_PKS4_PKT0_SA_ifPKiSC_iPKfiiiSE_SE_iiiii.uses_flat_scratch)
	.set _ZN4vllm25paged_attention_v2_kernelI14__hip_bfloat16hLi112ELi32ELi128ELNS_18Fp8KVCacheDataTypeE1ELb0ELi512EEEvPfS3_PT_PKS4_PKT0_SA_ifPKiSC_iPKfiiiSE_SE_iiiii.has_dyn_sized_stack, or(0, .L_ZN4vllm22paged_attention_kernelI14__hip_bfloat16hLi112ELi32ELi128ELNS_18Fp8KVCacheDataTypeE1ELb0ELi512EEEvPfS3_PT_PKS4_PKT0_SA_ifPKiSC_iPKfiiiSE_SE_iiiii.has_dyn_sized_stack)
	.set _ZN4vllm25paged_attention_v2_kernelI14__hip_bfloat16hLi112ELi32ELi128ELNS_18Fp8KVCacheDataTypeE1ELb0ELi512EEEvPfS3_PT_PKS4_PKT0_SA_ifPKiSC_iPKfiiiSE_SE_iiiii.has_recursion, or(0, .L_ZN4vllm22paged_attention_kernelI14__hip_bfloat16hLi112ELi32ELi128ELNS_18Fp8KVCacheDataTypeE1ELb0ELi512EEEvPfS3_PT_PKS4_PKT0_SA_ifPKiSC_iPKfiiiSE_SE_iiiii.has_recursion)
	.set _ZN4vllm25paged_attention_v2_kernelI14__hip_bfloat16hLi112ELi32ELi128ELNS_18Fp8KVCacheDataTypeE1ELb0ELi512EEEvPfS3_PT_PKS4_PKT0_SA_ifPKiSC_iPKfiiiSE_SE_iiiii.has_indirect_call, or(0, .L_ZN4vllm22paged_attention_kernelI14__hip_bfloat16hLi112ELi32ELi128ELNS_18Fp8KVCacheDataTypeE1ELb0ELi512EEEvPfS3_PT_PKS4_PKT0_SA_ifPKiSC_iPKfiiiSE_SE_iiiii.has_indirect_call)
	.section	.AMDGPU.csdata,"",@progbits
; Kernel info:
; codeLenInByte = 240
; TotalNumSgprs: 46
; NumVgprs: 128
; ScratchSize: 784
; MemoryBound: 0
; FloatMode: 240
; IeeeMode: 1
; LDSByteSize: 256 bytes/workgroup (compile time only)
; SGPRBlocks: 0
; VGPRBlocks: 15
; NumSGPRsForWavesPerEU: 46
; NumVGPRsForWavesPerEU: 128
; Occupancy: 8
; WaveLimiterHint : 1
; COMPUTE_PGM_RSRC2:SCRATCH_EN: 1
; COMPUTE_PGM_RSRC2:USER_SGPR: 6
; COMPUTE_PGM_RSRC2:TRAP_HANDLER: 0
; COMPUTE_PGM_RSRC2:TGID_X_EN: 1
; COMPUTE_PGM_RSRC2:TGID_Y_EN: 1
; COMPUTE_PGM_RSRC2:TGID_Z_EN: 1
; COMPUTE_PGM_RSRC2:TIDIG_COMP_CNT: 0
	.text
	.p2align	2                               ; -- Begin function _ZN4vllm22paged_attention_kernelI14__hip_bfloat16hLi120ELi32ELi128ELNS_18Fp8KVCacheDataTypeE1ELb0ELi512EEEvPfS3_PT_PKS4_PKT0_SA_ifPKiSC_iPKfiiiSE_SE_iiiii
	.type	_ZN4vllm22paged_attention_kernelI14__hip_bfloat16hLi120ELi32ELi128ELNS_18Fp8KVCacheDataTypeE1ELb0ELi512EEEvPfS3_PT_PKS4_PKT0_SA_ifPKiSC_iPKfiiiSE_SE_iiiii,@function
_ZN4vllm22paged_attention_kernelI14__hip_bfloat16hLi120ELi32ELi128ELNS_18Fp8KVCacheDataTypeE1ELb0ELi512EEEvPfS3_PT_PKS4_PKT0_SA_ifPKiSC_iPKfiiiSE_SE_iiiii: ; @_ZN4vllm22paged_attention_kernelI14__hip_bfloat16hLi120ELi32ELi128ELNS_18Fp8KVCacheDataTypeE1ELb0ELi512EEEvPfS3_PT_PKS4_PKT0_SA_ifPKiSC_iPKfiiiSE_SE_iiiii
; %bb.0:
	s_waitcnt vmcnt(0) expcnt(0) lgkmcnt(0)
	buffer_store_dword v40, off, s[0:3], s32 offset:188 ; 4-byte Folded Spill
	buffer_store_dword v41, off, s[0:3], s32 offset:184 ; 4-byte Folded Spill
	buffer_store_dword v42, off, s[0:3], s32 offset:180 ; 4-byte Folded Spill
	buffer_store_dword v43, off, s[0:3], s32 offset:176 ; 4-byte Folded Spill
	buffer_store_dword v44, off, s[0:3], s32 offset:172 ; 4-byte Folded Spill
	buffer_store_dword v45, off, s[0:3], s32 offset:168 ; 4-byte Folded Spill
	buffer_store_dword v46, off, s[0:3], s32 offset:164 ; 4-byte Folded Spill
	buffer_store_dword v47, off, s[0:3], s32 offset:160 ; 4-byte Folded Spill
	buffer_store_dword v56, off, s[0:3], s32 offset:156 ; 4-byte Folded Spill
	buffer_store_dword v57, off, s[0:3], s32 offset:152 ; 4-byte Folded Spill
	buffer_store_dword v58, off, s[0:3], s32 offset:148 ; 4-byte Folded Spill
	buffer_store_dword v59, off, s[0:3], s32 offset:144 ; 4-byte Folded Spill
	buffer_store_dword v60, off, s[0:3], s32 offset:140 ; 4-byte Folded Spill
	buffer_store_dword v61, off, s[0:3], s32 offset:136 ; 4-byte Folded Spill
	buffer_store_dword v62, off, s[0:3], s32 offset:132 ; 4-byte Folded Spill
	buffer_store_dword v63, off, s[0:3], s32 offset:128 ; 4-byte Folded Spill
	buffer_store_dword v72, off, s[0:3], s32 offset:124 ; 4-byte Folded Spill
	buffer_store_dword v73, off, s[0:3], s32 offset:120 ; 4-byte Folded Spill
	buffer_store_dword v74, off, s[0:3], s32 offset:116 ; 4-byte Folded Spill
	buffer_store_dword v75, off, s[0:3], s32 offset:112 ; 4-byte Folded Spill
	buffer_store_dword v76, off, s[0:3], s32 offset:108 ; 4-byte Folded Spill
	buffer_store_dword v77, off, s[0:3], s32 offset:104 ; 4-byte Folded Spill
	buffer_store_dword v78, off, s[0:3], s32 offset:100 ; 4-byte Folded Spill
	buffer_store_dword v79, off, s[0:3], s32 offset:96 ; 4-byte Folded Spill
	buffer_store_dword v88, off, s[0:3], s32 offset:92 ; 4-byte Folded Spill
	buffer_store_dword v89, off, s[0:3], s32 offset:88 ; 4-byte Folded Spill
	buffer_store_dword v90, off, s[0:3], s32 offset:84 ; 4-byte Folded Spill
	buffer_store_dword v91, off, s[0:3], s32 offset:80 ; 4-byte Folded Spill
	buffer_store_dword v92, off, s[0:3], s32 offset:76 ; 4-byte Folded Spill
	buffer_store_dword v93, off, s[0:3], s32 offset:72 ; 4-byte Folded Spill
	buffer_store_dword v94, off, s[0:3], s32 offset:68 ; 4-byte Folded Spill
	buffer_store_dword v95, off, s[0:3], s32 offset:64 ; 4-byte Folded Spill
	buffer_store_dword v104, off, s[0:3], s32 offset:60 ; 4-byte Folded Spill
	buffer_store_dword v105, off, s[0:3], s32 offset:56 ; 4-byte Folded Spill
	buffer_store_dword v106, off, s[0:3], s32 offset:52 ; 4-byte Folded Spill
	buffer_store_dword v107, off, s[0:3], s32 offset:48 ; 4-byte Folded Spill
	buffer_store_dword v108, off, s[0:3], s32 offset:44 ; 4-byte Folded Spill
	buffer_store_dword v109, off, s[0:3], s32 offset:40 ; 4-byte Folded Spill
	buffer_store_dword v110, off, s[0:3], s32 offset:36 ; 4-byte Folded Spill
	buffer_store_dword v111, off, s[0:3], s32 offset:32 ; 4-byte Folded Spill
	buffer_store_dword v120, off, s[0:3], s32 offset:28 ; 4-byte Folded Spill
	buffer_store_dword v121, off, s[0:3], s32 offset:24 ; 4-byte Folded Spill
	buffer_store_dword v122, off, s[0:3], s32 offset:20 ; 4-byte Folded Spill
	buffer_store_dword v123, off, s[0:3], s32 offset:16 ; 4-byte Folded Spill
	buffer_store_dword v124, off, s[0:3], s32 offset:12 ; 4-byte Folded Spill
	buffer_store_dword v125, off, s[0:3], s32 offset:8 ; 4-byte Folded Spill
	buffer_store_dword v126, off, s[0:3], s32 offset:4 ; 4-byte Folded Spill
	buffer_store_dword v127, off, s[0:3], s32 ; 4-byte Folded Spill
	s_mov_b32 s18, s13
	s_ashr_i32 s19, s13, 31
	buffer_store_dword v24, off, s[0:3], s32 offset:236 ; 4-byte Folded Spill
	buffer_store_dword v25, off, s[0:3], s32 offset:240 ; 4-byte Folded Spill
	;; [unrolled: 1-line block ×6, first 2 shown]
	s_lshl_b64 s[4:5], s[18:19], 2
	v_mov_b32_e32 v24, v0
	v_add_co_u32 v0, vcc_lo, v16, s4
	v_mov_b32_e32 v22, v1
	v_add_co_ci_u32_e64 v1, null, s5, v17, vcc_lo
	v_mov_b32_e32 v25, v3
	v_mov_b32_e32 v28, v2
	s_lshl_b32 s20, s14, 9
	flat_load_dword v35, v[0:1]
	s_mov_b32 s19, exec_lo
	s_waitcnt vmcnt(0) lgkmcnt(0)
	v_cmpx_lt_i32_e64 s20, v35
	s_cbranch_execz .LBB393_2024
; %bb.1:
	v_sub_nc_u32_e32 v0, 0, v12
	s_clause 0x1
	s_load_dword s4, s[8:9], 0x10
	s_load_dword s5, s[8:9], 0x0
	s_mov_b32 s16, s15
	v_max_i32_e32 v0, v12, v0
	v_cvt_f32_u32_e32 v1, v0
	v_sub_nc_u32_e32 v2, 0, v0
	v_rcp_iflag_f32_e32 v1, v1
	s_waitcnt lgkmcnt(0)
	s_lshr_b32 s4, s4, 16
	s_cmp_lg_u32 s4, 0
	s_cselect_b32 s4, -1, 0
	v_mul_f32_e32 v1, 0x4f7ffffe, v1
	s_cmp_lg_u32 s4, 0
	s_addc_u32 s15, s5, 0
	s_mov_b32 s5, exec_lo
	v_cvt_u32_f32_e32 v1, v1
	s_abs_i32 s4, s15
	v_mul_lo_u32 v2, v2, v1
	v_mul_hi_u32 v2, v1, v2
	v_add_nc_u32_e32 v1, v1, v2
	v_mul_hi_u32 v1, s4, v1
	v_mul_lo_u32 v2, v1, v0
	v_add_nc_u32_e32 v3, 1, v1
	v_sub_nc_u32_e32 v2, s4, v2
	s_abs_i32 s4, s12
	v_sub_nc_u32_e32 v4, v2, v0
	v_cmp_ge_u32_e32 vcc_lo, v2, v0
	v_cndmask_b32_e32 v1, v1, v3, vcc_lo
	v_cndmask_b32_e32 v2, v2, v4, vcc_lo
	v_xor_b32_e32 v3, s15, v12
	v_add_nc_u32_e32 v4, 1, v1
	v_cmp_ge_u32_e32 vcc_lo, v2, v0
	v_ashrrev_i32_e32 v3, 31, v3
	v_cndmask_b32_e32 v0, v1, v4, vcc_lo
	v_xor_b32_e32 v0, v0, v3
	v_sub_nc_u32_e32 v1, v0, v3
	v_sub_nc_u32_e32 v0, 0, v1
	v_max_i32_e32 v0, v1, v0
	v_cvt_f32_u32_e32 v2, v0
	v_sub_nc_u32_e32 v3, 0, v0
	v_rcp_iflag_f32_e32 v2, v2
	v_mul_f32_e32 v2, 0x4f7ffffe, v2
	v_cvt_u32_f32_e32 v2, v2
	v_mul_lo_u32 v3, v3, v2
	v_mul_hi_u32 v3, v2, v3
	v_add_nc_u32_e32 v2, v2, v3
	v_mad_u64_u32 v[16:17], null, s4, v2, 0
	v_mov_b32_e32 v2, 0
	buffer_store_dword v2, off, s[0:3], s32 offset:248 ; 4-byte Folded Spill
	v_cmpx_ne_u64_e32 0, v[19:20]
	s_cbranch_execz .LBB393_3
; %bb.2:
	s_ashr_i32 s13, s12, 31
	s_lshl_b64 s[6:7], s[12:13], 2
	v_add_co_u32 v2, vcc_lo, v19, s6
	v_add_co_ci_u32_e64 v3, null, s7, v20, vcc_lo
	flat_load_dword v2, v[2:3]
	s_waitcnt vmcnt(0) lgkmcnt(0)
	buffer_store_dword v2, off, s[0:3], s32 offset:248 ; 4-byte Folded Spill
.LBB393_3:
	s_or_b32 exec_lo, exec_lo, s5
	v_and_b32_e32 v12, 0x3ff, v31
	v_ashrrev_i32_e32 v1, 31, v1
	s_ashr_i32 s5, s12, 31
	s_mul_i32 s10, s12, 0x78
	s_mov_b32 s6, exec_lo
	v_cmpx_gt_u32_e32 15, v12
	s_cbranch_execz .LBB393_5
; %bb.4:
	v_mul_lo_u32 v2, v21, s18
	s_ashr_i32 s11, s10, 31
	v_lshlrev_b32_e32 v13, 4, v12
	s_lshl_b64 s[22:23], s[10:11], 1
	v_ashrrev_i32_e32 v3, 31, v2
	v_lshlrev_b64 v[2:3], 1, v[2:3]
	v_add_co_u32 v2, vcc_lo, v6, v2
	v_add_co_ci_u32_e64 v3, null, v7, v3, vcc_lo
	v_add_co_u32 v2, vcc_lo, v2, s22
	v_add_co_ci_u32_e64 v3, null, s23, v3, vcc_lo
	;; [unrolled: 2-line block ×3, first 2 shown]
	flat_load_dwordx4 v[2:5], v[2:3]
	s_waitcnt vmcnt(0) lgkmcnt(0)
	ds_write_b128 v13, v[2:5]
.LBB393_5:
	s_or_b32 exec_lo, exec_lo, s6
	v_mul_lo_u32 v2, v17, v0
	v_add_nc_u32_e32 v3, 1, v17
	v_add_nc_u32_e32 v4, 31, v35
	s_lshl_b32 s7, s14, 4
	s_clause 0x1
	s_load_dword s13, s[8:9], 0x14
	s_load_dword s11, s[8:9], 0x8
	v_xor_b32_e32 v1, s5, v1
	v_mov_b32_e32 v83, 0xff7fffff
	v_ashrrev_i32_e32 v6, 31, v4
	v_sub_nc_u32_e32 v2, s4, v2
	s_add_i32 s4, s7, 16
	v_lshrrev_b32_e32 v6, 27, v6
	v_sub_nc_u32_e32 v5, v2, v0
	v_cmp_ge_u32_e32 vcc_lo, v2, v0
	v_cndmask_b32_e32 v3, v17, v3, vcc_lo
	v_cndmask_b32_e32 v2, v2, v5, vcc_lo
	v_add_nc_u32_e32 v5, 1, v3
	v_cmp_ge_u32_e32 vcc_lo, v2, v0
	v_mul_lo_u32 v0, v18, s18
	v_cndmask_b32_e32 v2, v3, v5, vcc_lo
	v_add_nc_u32_e32 v3, v4, v6
	v_lshrrev_b32_e32 v4, 5, v12
	v_xor_b32_e32 v2, v2, v1
	v_ashrrev_i32_e32 v13, 5, v3
	v_add_nc_u32_e32 v3, s7, v4
	buffer_store_dword v4, off, s[0:3], s32 offset:764 ; 4-byte Folded Spill
	v_sub_nc_u32_e32 v2, v2, v1
	v_min_i32_e32 v5, s4, v13
	v_ashrrev_i32_e32 v4, 31, v3
	v_ashrrev_i32_e32 v1, 31, v0
	v_mul_lo_u32 v18, v2, v23
	v_cmp_ge_i32_e64 s4, v3, v5
	buffer_store_dword v3, off, s[0:3], s32 offset:192 ; 4-byte Folded Spill
	buffer_store_dword v4, off, s[0:3], s32 offset:196 ; 4-byte Folded Spill
	;; [unrolled: 1-line block ×3, first 2 shown]
	v_and_b32_e32 v2, 31, v12
	v_lshlrev_b64 v[36:37], 2, v[0:1]
	v_lshlrev_b32_e32 v29, 2, v2
	v_ashrrev_i32_e32 v34, 31, v18
	buffer_store_dword v2, off, s[0:3], s32 offset:760 ; 4-byte Folded Spill
	s_waitcnt lgkmcnt(0)
	s_waitcnt_vscnt null, 0x0
	s_barrier
	buffer_gl0_inv
	v_cmp_lt_i32_e32 vcc_lo, v3, v5
	s_mov_b32 s21, exec_lo
	s_and_b32 s5, s21, vcc_lo
	buffer_store_dword v12, off, s[0:3], s32 offset:756 ; 4-byte Folded Spill
	s_mov_b32 exec_lo, s5
	s_cbranch_execz .LBB393_969
; %bb.6:
	v_mov_b32_e32 v19, 0
	buffer_store_dword v35, off, s[0:3], s32 offset:252 ; 4-byte Folded Spill
	buffer_store_dword v13, off, s[0:3], s32 offset:816 ; 4-byte Folded Spill
	;; [unrolled: 1-line block ×10, first 2 shown]
	s_getpc_b64 s[8:9]
	s_add_u32 s8, s8, llvm.amdgcn.dynlds.offset.table@rel32@lo+4
	s_addc_u32 s9, s9, llvm.amdgcn.dynlds.offset.table@rel32@hi+12
	s_ashr_i32 s17, s16, 31
	v_mov_b32_e32 v83, 0xff7fffff
	ds_read_b128 v[0:3], v19
	ds_read_b128 v[4:7], v19 offset:16
	ds_read_b128 v[10:13], v19 offset:32
	;; [unrolled: 1-line block ×3, first 2 shown]
	s_lshl_b64 s[22:23], s[16:17], 2
	s_mov_b32 s17, 0
	s_add_u32 s8, s8, s22
	s_addc_u32 s9, s9, s23
	s_waitcnt lgkmcnt(3)
	v_lshlrev_b32_e32 v16, 16, v0
	v_and_b32_e32 v0, 0xffff0000, v0
	buffer_store_dword v16, off, s[0:3], s32 offset:256 ; 4-byte Folded Spill
	buffer_store_dword v0, off, s[0:3], s32 offset:260 ; 4-byte Folded Spill
	v_lshlrev_b32_e32 v0, 16, v1
	buffer_store_dword v0, off, s[0:3], s32 offset:264 ; 4-byte Folded Spill
	v_and_b32_e32 v0, 0xffff0000, v1
	buffer_store_dword v0, off, s[0:3], s32 offset:268 ; 4-byte Folded Spill
	v_lshlrev_b32_e32 v0, 16, v2
	buffer_store_dword v0, off, s[0:3], s32 offset:272 ; 4-byte Folded Spill
	v_and_b32_e32 v0, 0xffff0000, v2
	buffer_store_dword v0, off, s[0:3], s32 offset:276 ; 4-byte Folded Spill
	v_lshlrev_b32_e32 v0, 16, v3
	buffer_store_dword v0, off, s[0:3], s32 offset:280 ; 4-byte Folded Spill
	v_and_b32_e32 v0, 0xffff0000, v3
	buffer_store_dword v0, off, s[0:3], s32 offset:284 ; 4-byte Folded Spill
	s_waitcnt lgkmcnt(2)
	v_lshlrev_b32_e32 v0, 16, v4
	buffer_store_dword v0, off, s[0:3], s32 offset:288 ; 4-byte Folded Spill
	v_and_b32_e32 v0, 0xffff0000, v4
	buffer_store_dword v0, off, s[0:3], s32 offset:292 ; 4-byte Folded Spill
	v_lshlrev_b32_e32 v0, 16, v5
	buffer_store_dword v0, off, s[0:3], s32 offset:296 ; 4-byte Folded Spill
	v_and_b32_e32 v0, 0xffff0000, v5
	buffer_store_dword v0, off, s[0:3], s32 offset:300 ; 4-byte Folded Spill
	v_lshlrev_b32_e32 v0, 16, v6
	buffer_store_dword v0, off, s[0:3], s32 offset:304 ; 4-byte Folded Spill
	v_and_b32_e32 v0, 0xffff0000, v6
	buffer_store_dword v0, off, s[0:3], s32 offset:308 ; 4-byte Folded Spill
	v_lshlrev_b32_e32 v0, 16, v7
	buffer_store_dword v0, off, s[0:3], s32 offset:312 ; 4-byte Folded Spill
	v_and_b32_e32 v0, 0xffff0000, v7
	buffer_store_dword v0, off, s[0:3], s32 offset:316 ; 4-byte Folded Spill
	s_waitcnt lgkmcnt(1)
	v_lshlrev_b32_e32 v0, 16, v10
	buffer_store_dword v0, off, s[0:3], s32 offset:320 ; 4-byte Folded Spill
	v_and_b32_e32 v0, 0xffff0000, v10
	buffer_store_dword v0, off, s[0:3], s32 offset:324 ; 4-byte Folded Spill
	v_lshlrev_b32_e32 v0, 16, v11
	buffer_store_dword v0, off, s[0:3], s32 offset:328 ; 4-byte Folded Spill
	v_and_b32_e32 v0, 0xffff0000, v11
	buffer_store_dword v0, off, s[0:3], s32 offset:332 ; 4-byte Folded Spill
	v_lshlrev_b32_e32 v0, 16, v12
	buffer_store_dword v0, off, s[0:3], s32 offset:336 ; 4-byte Folded Spill
	v_and_b32_e32 v0, 0xffff0000, v12
	buffer_store_dword v0, off, s[0:3], s32 offset:340 ; 4-byte Folded Spill
	v_lshlrev_b32_e32 v0, 16, v13
	buffer_store_dword v0, off, s[0:3], s32 offset:344 ; 4-byte Folded Spill
	v_and_b32_e32 v0, 0xffff0000, v13
	buffer_store_dword v0, off, s[0:3], s32 offset:348 ; 4-byte Folded Spill
	s_waitcnt lgkmcnt(0)
	v_lshlrev_b32_e32 v0, 16, v20
	buffer_store_dword v0, off, s[0:3], s32 offset:360 ; 4-byte Folded Spill
	v_and_b32_e32 v0, 0xffff0000, v20
	buffer_store_dword v0, off, s[0:3], s32 offset:364 ; 4-byte Folded Spill
	v_lshlrev_b32_e32 v0, 16, v21
	buffer_store_dword v0, off, s[0:3], s32 offset:372 ; 4-byte Folded Spill
	v_and_b32_e32 v0, 0xffff0000, v21
	buffer_store_dword v0, off, s[0:3], s32 offset:376 ; 4-byte Folded Spill
	v_lshlrev_b32_e32 v0, 16, v22
	buffer_store_dword v0, off, s[0:3], s32 offset:380 ; 4-byte Folded Spill
	v_and_b32_e32 v0, 0xffff0000, v22
	buffer_store_dword v0, off, s[0:3], s32 offset:384 ; 4-byte Folded Spill
	v_lshlrev_b32_e32 v0, 16, v23
	buffer_store_dword v0, off, s[0:3], s32 offset:388 ; 4-byte Folded Spill
	v_and_b32_e32 v0, 0xffff0000, v23
	buffer_store_dword v0, off, s[0:3], s32 offset:392 ; 4-byte Folded Spill
	ds_read_b128 v[0:3], v19 offset:64
	s_waitcnt lgkmcnt(0)
	v_lshlrev_b32_e32 v4, 16, v0
	v_and_b32_e32 v0, 0xffff0000, v0
	buffer_store_dword v4, off, s[0:3], s32 offset:396 ; 4-byte Folded Spill
	buffer_store_dword v0, off, s[0:3], s32 offset:400 ; 4-byte Folded Spill
	v_lshlrev_b32_e32 v0, 16, v1
	buffer_store_dword v0, off, s[0:3], s32 offset:404 ; 4-byte Folded Spill
	v_and_b32_e32 v0, 0xffff0000, v1
	buffer_store_dword v0, off, s[0:3], s32 offset:408 ; 4-byte Folded Spill
	v_lshlrev_b32_e32 v0, 16, v2
	buffer_store_dword v0, off, s[0:3], s32 offset:412 ; 4-byte Folded Spill
	v_and_b32_e32 v0, 0xffff0000, v2
	buffer_store_dword v0, off, s[0:3], s32 offset:416 ; 4-byte Folded Spill
	v_lshlrev_b32_e32 v0, 16, v3
	buffer_store_dword v0, off, s[0:3], s32 offset:420 ; 4-byte Folded Spill
	v_and_b32_e32 v0, 0xffff0000, v3
	buffer_store_dword v0, off, s[0:3], s32 offset:424 ; 4-byte Folded Spill
	ds_read_b128 v[0:3], v19 offset:80
	s_waitcnt lgkmcnt(0)
	v_lshlrev_b32_e32 v4, 16, v0
	v_and_b32_e32 v0, 0xffff0000, v0
	buffer_store_dword v4, off, s[0:3], s32 offset:428 ; 4-byte Folded Spill
	;; [unrolled: 18-line block ×11, first 2 shown]
	buffer_store_dword v0, off, s[0:3], s32 offset:720 ; 4-byte Folded Spill
	v_lshlrev_b32_e32 v0, 16, v1
	buffer_store_dword v0, off, s[0:3], s32 offset:724 ; 4-byte Folded Spill
	v_and_b32_e32 v0, 0xffff0000, v1
	buffer_store_dword v0, off, s[0:3], s32 offset:728 ; 4-byte Folded Spill
	v_lshlrev_b32_e32 v0, 16, v2
	buffer_store_dword v0, off, s[0:3], s32 offset:732 ; 4-byte Folded Spill
	v_and_b32_e32 v0, 0xffff0000, v2
	buffer_store_dword v0, off, s[0:3], s32 offset:736 ; 4-byte Folded Spill
	v_lshlrev_b32_e32 v0, 16, v3
	buffer_store_dword v0, off, s[0:3], s32 offset:740 ; 4-byte Folded Spill
	v_and_b32_e32 v0, 0xffff0000, v3
	buffer_store_dword v0, off, s[0:3], s32 offset:744 ; 4-byte Folded Spill
	s_clause 0x1
	buffer_load_dword v6, off, s[0:3], s32 offset:192
	buffer_load_dword v7, off, s[0:3], s32 offset:196
	s_waitcnt vmcnt(1)
	v_mov_b32_e32 v35, v6
	s_waitcnt vmcnt(0)
	v_lshlrev_b64 v[0:1], 2, v[6:7]
	v_add_co_u32 v0, vcc_lo, v36, v0
	buffer_store_dword v36, off, s[0:3], s32 offset:820 ; 4-byte Folded Spill
	buffer_store_dword v37, off, s[0:3], s32 offset:824 ; 4-byte Folded Spill
	buffer_load_dword v5, off, s[0:3], s32 offset:760 ; 4-byte Folded Reload
	buffer_store_dword v18, off, s[0:3], s32 offset:828 ; 4-byte Folded Spill
	buffer_store_dword v34, off, s[0:3], s32 offset:832 ; 4-byte Folded Spill
	v_add_co_ci_u32_e64 v1, null, v37, v1, vcc_lo
	v_add_co_u32 v2, vcc_lo, v8, v18
	s_waitcnt vmcnt(0)
	v_lshlrev_b32_e32 v4, 4, v5
	v_add_co_ci_u32_e64 v3, null, v9, v34, vcc_lo
	v_add_co_u32 v2, vcc_lo, v2, v4
	v_add_co_ci_u32_e64 v3, null, 0, v3, vcc_lo
	buffer_store_dword v2, off, s[0:3], s32 offset:748 ; 4-byte Folded Spill
	buffer_store_dword v3, off, s[0:3], s32 offset:752 ; 4-byte Folded Spill
	;; [unrolled: 1-line block ×3, first 2 shown]
	v_add_co_u32 v2, vcc_lo, v14, v0
	v_add_co_ci_u32_e64 v3, null, v15, v1, vcc_lo
	s_clause 0x1
	buffer_load_dword v0, off, s[0:3], s32 offset:248
	buffer_load_dword v1, off, s[0:3], s32 offset:764
	s_load_dword s5, s[8:9], 0x0
	s_mov_b32 s8, -1
	s_mov_b32 s9, 0xffffff
	buffer_store_dword v15, off, s[0:3], s32 offset:776 ; 4-byte Folded Spill
	buffer_store_dword v29, off, s[0:3], s32 offset:836 ; 4-byte Folded Spill
	s_waitcnt vmcnt(1)
	v_cmp_neq_f32_e32 vcc_lo, 0, v0
	s_waitcnt vmcnt(0)
	v_lshlrev_b32_e32 v0, 5, v1
	v_add3_u32 v82, s20, v0, v5
	v_lshl_or_b32 v0, v1, 7, v29
	s_waitcnt lgkmcnt(0)
	v_add_nc_u32_e32 v80, s5, v0
	s_branch .LBB393_11
.LBB393_7:                              ;   in Loop: Header=BB393_11 Depth=1
	s_or_b32 exec_lo, exec_lo, s24
	v_mov_b32_e32 v18, 24
	v_lshl_add_u32 v28, v28, 23, 0x3c000000
	v_lshlrev_b32_sdwa v18, v18, v29 dst_sel:DWORD dst_unused:UNUSED_PAD src0_sel:DWORD src1_sel:BYTE_3
	v_lshlrev_b32_e32 v29, 20, v30
	v_and_b32_e32 v18, 0x80000000, v18
	v_or3_b32 v101, v29, v18, v28
.LBB393_8:                              ;   in Loop: Header=BB393_11 Depth=1
	s_or_b32 exec_lo, exec_lo, s23
.LBB393_9:                              ;   in Loop: Header=BB393_11 Depth=1
	s_or_b32 exec_lo, exec_lo, s22
	v_mov_b32_e32 v80, v81
	v_mov_b32_e32 v35, v71
.LBB393_10:                             ;   in Loop: Header=BB393_11 Depth=1
	s_or_b32 exec_lo, exec_lo, s6
	v_mul_f32_e32 v18, v86, v113
	v_mul_f32_e32 v17, v86, v17
	v_mul_f32_e32 v16, v86, v16
	v_mul_f32_e32 v13, v86, v13
	v_mul_f32_e32 v8, v86, v8
	v_bfe_u32 v28, v18, 16, 1
	v_or_b32_e32 v29, 0x400000, v18
	v_cmp_u_f32_e64 s5, v18, v18
	v_mul_f32_e32 v48, v86, v48
	v_mul_f32_e32 v68, v86, v68
	v_add3_u32 v28, v28, v18, 0x7fff
	v_mul_f32_e32 v67, v86, v67
	v_mul_f32_e32 v66, v86, v66
	v_mul_f32_e32 v24, v86, v24
	v_mul_f32_e32 v55, v86, v55
	v_cndmask_b32_e64 v18, v28, v29, s5
	v_mul_f32_e32 v28, v86, v103
	v_mul_f32_e32 v53, v86, v53
	v_mul_f32_e32 v52, v86, v52
	v_mul_f32_e32 v51, v86, v51
	v_mul_f32_e32 v50, v86, v50
	v_bfe_u32 v29, v28, 16, 1
	v_or_b32_e32 v30, 0x400000, v28
	v_cmp_u_f32_e64 s5, v28, v28
	v_mul_f32_e32 v0, v86, v0
	v_mul_f32_e32 v49, v86, v49
	v_add3_u32 v29, v29, v28, 0x7fff
	v_mul_f32_e32 v27, v86, v27
	v_mul_f32_e32 v26, v86, v26
	v_mul_f32_e32 v38, v86, v38
	v_mul_f32_e32 v34, v86, v34
	v_cndmask_b32_e64 v28, v29, v30, s5
	;; [unrolled: 16-line block ×3, first 2 shown]
	v_bfe_u32 v30, v17, 16, 1
	v_or_b32_e32 v31, 0x400000, v17
	v_cmp_u_f32_e64 s5, v17, v17
	v_mul_f32_e32 v39, v86, v39
	v_mul_f32_e32 v4, v86, v4
	v_add3_u32 v30, v30, v17, 0x7fff
	v_mul_f32_e32 v5, v86, v5
	v_mul_f32_e32 v36, v86, v36
	;; [unrolled: 1-line block ×4, first 2 shown]
	v_cndmask_b32_e64 v17, v30, v31, s5
	v_mul_f32_e32 v30, v86, v98
	v_mul_f32_e32 v106, v86, v106
	;; [unrolled: 1-line block ×5, first 2 shown]
	v_bfe_u32 v31, v30, 16, 1
	v_or_b32_e32 v33, 0x400000, v30
	v_cmp_u_f32_e64 s5, v30, v30
	v_mul_f32_e32 v93, v86, v93
	v_mul_f32_e32 v91, v86, v91
	v_add3_u32 v31, v31, v30, 0x7fff
	buffer_load_dword v71, off, s[0:3], s32 offset:220 ; 4-byte Folded Reload
	v_mul_f32_e32 v90, v86, v90
	v_mul_f32_e32 v89, v86, v89
	;; [unrolled: 1-line block ×3, first 2 shown]
	v_cndmask_b32_e64 v30, v31, v33, s5
	v_bfe_u32 v31, v16, 16, 1
	v_or_b32_e32 v33, 0x400000, v16
	v_cmp_u_f32_e64 s5, v16, v16
	v_mul_f32_e32 v79, v86, v79
	v_mul_f32_e32 v77, v86, v77
	v_add3_u32 v31, v31, v16, 0x7fff
	v_mul_f32_e32 v16, v86, v112
	v_mul_f32_e32 v75, v86, v75
	;; [unrolled: 1-line block ×4, first 2 shown]
	v_cndmask_b32_e64 v33, v31, v33, s5
	v_bfe_u32 v31, v16, 16, 1
	v_or_b32_e32 v98, 0x400000, v16
	v_cmp_u_f32_e64 s5, v16, v16
	v_mul_f32_e32 v72, v86, v72
	v_mul_f32_e32 v63, v86, v63
	v_add3_u32 v31, v31, v16, 0x7fff
	v_mul_f32_e32 v61, v86, v61
	v_mul_f32_e32 v59, v86, v59
	;; [unrolled: 1-line block ×4, first 2 shown]
	v_cndmask_b32_e64 v16, v31, v98, s5
	v_mul_f32_e32 v31, v86, v114
	v_mul_f32_e32 v56, v86, v56
	;; [unrolled: 1-line block ×5, first 2 shown]
	v_bfe_u32 v98, v31, 16, 1
	v_or_b32_e32 v102, 0x400000, v31
	v_cmp_u_f32_e64 s5, v31, v31
	v_mul_f32_e32 v42, v86, v42
	v_mul_f32_e32 v41, v86, v41
	v_add3_u32 v98, v98, v31, 0x7fff
	v_mul_f32_e32 v40, v86, v40
	v_mul_f32_e32 v119, v86, v119
	;; [unrolled: 1-line block ×4, first 2 shown]
	v_cndmask_b32_e64 v31, v98, v102, s5
	v_bfe_u32 v98, v13, 16, 1
	v_or_b32_e32 v102, 0x400000, v13
	v_cmp_u_f32_e64 s5, v13, v13
	v_mul_f32_e32 v9, v86, v9
	v_add_nc_u32_e32 v35, 4, v35
	v_add3_u32 v98, v98, v13, 0x7fff
	v_cndmask_b32_e64 v13, v98, v102, s5
	v_bfe_u32 v98, v8, 16, 1
	v_or_b32_e32 v102, 0x400000, v8
	v_cmp_u_f32_e64 s5, v8, v8
	v_add3_u32 v98, v98, v8, 0x7fff
	v_cndmask_b32_e64 v8, v98, v102, s5
	v_bfe_u32 v98, v48, 16, 1
	v_or_b32_e32 v102, 0x400000, v48
	v_cmp_u_f32_e64 s5, v48, v48
	;; [unrolled: 5-line block ×5, first 2 shown]
	v_add3_u32 v98, v98, v66, 0x7fff
	v_mul_f32_e32 v66, v86, v87
	v_cndmask_b32_e64 v98, v98, v102, s5
	v_bfe_u32 v87, v66, 16, 1
	v_or_b32_e32 v102, 0x400000, v66
	v_cmp_u_f32_e64 s5, v66, v66
	v_add3_u32 v87, v87, v66, 0x7fff
	v_cndmask_b32_e64 v66, v87, v102, s5
	v_bfe_u32 v87, v24, 16, 1
	v_or_b32_e32 v102, 0x400000, v24
	v_cmp_u_f32_e64 s5, v24, v24
	v_add3_u32 v87, v87, v24, 0x7fff
	;; [unrolled: 5-line block ×8, first 2 shown]
	v_mul_f32_e32 v0, v86, v54
	v_cndmask_b32_e64 v87, v87, v102, s5
	v_bfe_u32 v54, v0, 16, 1
	v_or_b32_e32 v102, 0x400000, v0
	v_cmp_u_f32_e64 s5, v0, v0
	v_add3_u32 v54, v54, v0, 0x7fff
	v_cndmask_b32_e64 v0, v54, v102, s5
	v_mul_f32_e32 v54, v86, v64
	v_and_b32_e32 v0, 0xffff0000, v0
	v_bfe_u32 v64, v54, 16, 1
	v_or_b32_e32 v102, 0x400000, v54
	v_cmp_u_f32_e64 s5, v54, v54
	v_add3_u32 v64, v64, v54, 0x7fff
	v_cndmask_b32_e64 v54, v64, v102, s5
	v_bfe_u32 v64, v49, 16, 1
	v_or_b32_e32 v102, 0x400000, v49
	v_cmp_u_f32_e64 s5, v49, v49
	v_add3_u32 v64, v64, v49, 0x7fff
	v_cndmask_b32_e64 v49, v64, v102, s5
	v_bfe_u32 v64, v27, 16, 1
	v_or_b32_e32 v102, 0x400000, v27
	v_cmp_u_f32_e64 s5, v27, v27
	v_add3_u32 v64, v64, v27, 0x7fff
	v_cndmask_b32_e64 v27, v64, v102, s5
	v_bfe_u32 v64, v26, 16, 1
	v_or_b32_e32 v102, 0x400000, v26
	v_cmp_u_f32_e64 s5, v26, v26
	v_add3_u32 v64, v64, v26, 0x7fff
	v_cndmask_b32_e64 v26, v64, v102, s5
	v_bfe_u32 v64, v38, 16, 1
	v_or_b32_e32 v102, 0x400000, v38
	v_cmp_u_f32_e64 s5, v38, v38
	v_add3_u32 v64, v64, v38, 0x7fff
	v_cndmask_b32_e64 v38, v64, v102, s5
	v_bfe_u32 v64, v34, 16, 1
	v_or_b32_e32 v102, 0x400000, v34
	v_cmp_u_f32_e64 s5, v34, v34
	v_add3_u32 v64, v64, v34, 0x7fff
	v_cndmask_b32_e64 v34, v64, v102, s5
	v_bfe_u32 v64, v23, 16, 1
	v_or_b32_e32 v102, 0x400000, v23
	v_cmp_u_f32_e64 s5, v23, v23
	v_add3_u32 v64, v64, v23, 0x7fff
	v_cndmask_b32_e64 v23, v64, v102, s5
	v_bfe_u32 v64, v22, 16, 1
	v_or_b32_e32 v102, 0x400000, v22
	v_cmp_u_f32_e64 s5, v22, v22
	v_add3_u32 v64, v64, v22, 0x7fff
	v_cndmask_b32_e64 v22, v64, v102, s5
	v_bfe_u32 v64, v1, 16, 1
	v_or_b32_e32 v102, 0x400000, v1
	v_cmp_u_f32_e64 s5, v1, v1
	v_add3_u32 v64, v64, v1, 0x7fff
	v_cndmask_b32_e64 v1, v64, v102, s5
	v_bfe_u32 v64, v14, 16, 1
	v_or_b32_e32 v102, 0x400000, v14
	v_cmp_u_f32_e64 s5, v14, v14
	v_and_b32_e32 v1, 0xffff0000, v1
	v_add3_u32 v64, v64, v14, 0x7fff
	v_cndmask_b32_e64 v14, v64, v102, s5
	v_bfe_u32 v64, v2, 16, 1
	v_or_b32_e32 v102, 0x400000, v2
	v_cmp_u_f32_e64 s5, v2, v2
	v_add3_u32 v64, v64, v2, 0x7fff
	v_cndmask_b32_e64 v2, v64, v102, s5
	v_bfe_u32 v64, v7, 16, 1
	v_or_b32_e32 v102, 0x400000, v7
	v_cmp_u_f32_e64 s5, v7, v7
	v_and_b32_e32 v2, 0xffff0000, v2
	v_add3_u32 v64, v64, v7, 0x7fff
	v_cndmask_b32_e64 v7, v64, v102, s5
	v_bfe_u32 v64, v6, 16, 1
	v_or_b32_e32 v102, 0x400000, v6
	v_cmp_u_f32_e64 s5, v6, v6
	v_add3_u32 v64, v64, v6, 0x7fff
	v_cndmask_b32_e64 v6, v64, v102, s5
	v_bfe_u32 v64, v10, 16, 1
	v_or_b32_e32 v102, 0x400000, v10
	v_cmp_u_f32_e64 s5, v10, v10
	;; [unrolled: 5-line block ×3, first 2 shown]
	v_add3_u32 v64, v64, v11, 0x7fff
	v_bfe_u32 v11, v3, 16, 1
	v_cndmask_b32_e64 v64, v64, v102, s5
	v_add3_u32 v11, v11, v3, 0x7fff
	v_or_b32_e32 v102, 0x400000, v3
	v_cmp_u_f32_e64 s5, v3, v3
	v_cndmask_b32_e64 v3, v11, v102, s5
	v_mul_f32_e32 v11, v86, v15
	v_bfe_u32 v15, v11, 16, 1
	v_or_b32_e32 v102, 0x400000, v11
	v_cmp_u_f32_e64 s5, v11, v11
	v_add3_u32 v15, v15, v11, 0x7fff
	v_cndmask_b32_e64 v11, v15, v102, s5
	v_mul_f32_e32 v15, v86, v65
	v_bfe_u32 v65, v15, 16, 1
	v_or_b32_e32 v102, 0x400000, v15
	v_cmp_u_f32_e64 s5, v15, v15
	v_add3_u32 v65, v65, v15, 0x7fff
	v_cndmask_b32_e64 v15, v65, v102, s5
	v_bfe_u32 v65, v39, 16, 1
	v_or_b32_e32 v102, 0x400000, v39
	v_cmp_u_f32_e64 s5, v39, v39
	v_add3_u32 v65, v65, v39, 0x7fff
	v_cndmask_b32_e64 v39, v65, v102, s5
	;; [unrolled: 5-line block ×3, first 2 shown]
	v_bfe_u32 v65, v5, 16, 1
	v_or_b32_e32 v102, 0x400000, v5
	v_cmp_u_f32_e64 s5, v5, v5
	v_and_b32_e32 v4, 0xffff0000, v4
	v_add3_u32 v65, v65, v5, 0x7fff
	v_cndmask_b32_e64 v5, v65, v102, s5
	v_bfe_u32 v65, v36, 16, 1
	v_or_b32_e32 v102, 0x400000, v36
	v_cmp_u_f32_e64 s5, v36, v36
	v_and_b32_e32 v5, 0xffff0000, v5
	v_add3_u32 v65, v65, v36, 0x7fff
	v_mul_f32_e32 v36, v86, v127
	v_cndmask_b32_e64 v65, v65, v102, s5
	v_bfe_u32 v102, v36, 16, 1
	v_or_b32_e32 v103, 0x400000, v36
	v_cmp_u_f32_e64 s5, v36, v36
	v_add3_u32 v102, v102, v36, 0x7fff
	v_mul_f32_e32 v36, v86, v37
	v_cndmask_b32_e64 v102, v102, v103, s5
	v_bfe_u32 v37, v36, 16, 1
	v_or_b32_e32 v103, 0x400000, v36
	v_cmp_u_f32_e64 s5, v36, v36
	v_add3_u32 v37, v37, v36, 0x7fff
	v_cndmask_b32_e64 v36, v37, v103, s5
	v_bfe_u32 v37, v12, 16, 1
	v_or_b32_e32 v103, 0x400000, v12
	v_cmp_u_f32_e64 s5, v12, v12
	v_add3_u32 v37, v37, v12, 0x7fff
	v_cndmask_b32_e64 v12, v37, v103, s5
	v_mul_f32_e32 v37, v86, v125
	v_bfe_u32 v103, v37, 16, 1
	v_or_b32_e32 v112, 0x400000, v37
	v_cmp_u_f32_e64 s5, v37, v37
	v_add3_u32 v103, v103, v37, 0x7fff
	v_cndmask_b32_e64 v37, v103, v112, s5
	v_mul_f32_e32 v103, v86, v123
	;; [unrolled: 6-line block ×5, first 2 shown]
	v_bfe_u32 v120, v114, 16, 1
	v_or_b32_e32 v121, 0x400000, v114
	v_cmp_u_f32_e64 s5, v114, v114
	v_add3_u32 v120, v120, v114, 0x7fff
	v_mul_f32_e32 v114, v86, v111
	v_cndmask_b32_e64 v120, v120, v121, s5
	v_bfe_u32 v111, v114, 16, 1
	v_or_b32_e32 v121, 0x400000, v114
	v_cmp_u_f32_e64 s5, v114, v114
	v_add3_u32 v111, v111, v114, 0x7fff
	v_mul_f32_e32 v114, v86, v124
	v_cndmask_b32_e64 v122, v111, v121, s5
	v_bfe_u32 v111, v114, 16, 1
	v_or_b32_e32 v121, 0x400000, v114
	v_cmp_u_f32_e64 s5, v114, v114
	v_add3_u32 v111, v111, v114, 0x7fff
	v_mul_f32_e32 v114, v86, v126
	v_cndmask_b32_e64 v111, v111, v121, s5
	v_bfe_u32 v121, v114, 16, 1
	v_or_b32_e32 v123, 0x400000, v114
	v_cmp_u_f32_e64 s5, v114, v114
	v_add3_u32 v121, v121, v114, 0x7fff
	v_mul_f32_e32 v114, v86, v109
	v_cndmask_b32_e64 v121, v121, v123, s5
	v_bfe_u32 v109, v114, 16, 1
	v_or_b32_e32 v123, 0x400000, v114
	v_cmp_u_f32_e64 s5, v114, v114
	v_add3_u32 v109, v109, v114, 0x7fff
	v_cndmask_b32_e64 v114, v109, v123, s5
	v_bfe_u32 v109, v107, 16, 1
	v_or_b32_e32 v123, 0x400000, v107
	v_cmp_u_f32_e64 s5, v107, v107
	v_add3_u32 v109, v109, v107, 0x7fff
	v_cndmask_b32_e64 v107, v109, v123, s5
	v_bfe_u32 v109, v106, 16, 1
	v_or_b32_e32 v123, 0x400000, v106
	v_cmp_u_f32_e64 s5, v106, v106
	v_add3_u32 v109, v109, v106, 0x7fff
	v_cndmask_b32_e64 v106, v109, v123, s5
	v_bfe_u32 v109, v105, 16, 1
	v_or_b32_e32 v123, 0x400000, v105
	v_cmp_u_f32_e64 s5, v105, v105
	v_add3_u32 v109, v109, v105, 0x7fff
	v_cndmask_b32_e64 v105, v109, v123, s5
	v_bfe_u32 v109, v104, 16, 1
	v_or_b32_e32 v123, 0x400000, v104
	v_cmp_u_f32_e64 s5, v104, v104
	v_add3_u32 v109, v109, v104, 0x7fff
	v_cndmask_b32_e64 v104, v109, v123, s5
	v_bfe_u32 v109, v95, 16, 1
	v_or_b32_e32 v123, 0x400000, v95
	v_cmp_u_f32_e64 s5, v95, v95
	v_add3_u32 v109, v109, v95, 0x7fff
	v_mul_f32_e32 v95, v86, v108
	v_cndmask_b32_e64 v109, v109, v123, s5
	v_bfe_u32 v108, v95, 16, 1
	v_or_b32_e32 v123, 0x400000, v95
	v_cmp_u_f32_e64 s5, v95, v95
	v_add3_u32 v108, v108, v95, 0x7fff
	v_cndmask_b32_e64 v95, v108, v123, s5
	v_mul_f32_e32 v108, v86, v110
	v_bfe_u32 v110, v108, 16, 1
	v_or_b32_e32 v123, 0x400000, v108
	v_cmp_u_f32_e64 s5, v108, v108
	v_add3_u32 v110, v110, v108, 0x7fff
	v_cndmask_b32_e64 v108, v110, v123, s5
	v_bfe_u32 v110, v93, 16, 1
	v_or_b32_e32 v123, 0x400000, v93
	v_cmp_u_f32_e64 s5, v93, v93
	v_add3_u32 v110, v110, v93, 0x7fff
	v_cndmask_b32_e64 v93, v110, v123, s5
	v_bfe_u32 v110, v91, 16, 1
	v_or_b32_e32 v123, 0x400000, v91
	v_cmp_u_f32_e64 s5, v91, v91
	v_add3_u32 v110, v110, v91, 0x7fff
	v_cndmask_b32_e64 v91, v110, v123, s5
	v_bfe_u32 v110, v90, 16, 1
	v_or_b32_e32 v123, 0x400000, v90
	v_cmp_u_f32_e64 s5, v90, v90
	v_add3_u32 v110, v110, v90, 0x7fff
	v_cndmask_b32_e64 v90, v110, v123, s5
	v_bfe_u32 v110, v89, 16, 1
	v_or_b32_e32 v123, 0x400000, v89
	v_cmp_u_f32_e64 s5, v89, v89
	v_add3_u32 v110, v110, v89, 0x7fff
	v_cndmask_b32_e64 v89, v110, v123, s5
	v_bfe_u32 v110, v88, 16, 1
	v_or_b32_e32 v123, 0x400000, v88
	v_cmp_u_f32_e64 s5, v88, v88
	v_add3_u32 v110, v110, v88, 0x7fff
	v_cndmask_b32_e64 v88, v110, v123, s5
	v_bfe_u32 v110, v79, 16, 1
	v_or_b32_e32 v123, 0x400000, v79
	v_cmp_u_f32_e64 s5, v79, v79
	v_add3_u32 v110, v110, v79, 0x7fff
	v_mul_f32_e32 v79, v86, v92
	v_cndmask_b32_e64 v110, v110, v123, s5
	v_bfe_u32 v92, v79, 16, 1
	v_or_b32_e32 v123, 0x400000, v79
	v_cmp_u_f32_e64 s5, v79, v79
	v_add3_u32 v92, v92, v79, 0x7fff
	v_cndmask_b32_e64 v79, v92, v123, s5
	v_mul_f32_e32 v92, v86, v94
	v_bfe_u32 v94, v92, 16, 1
	v_or_b32_e32 v123, 0x400000, v92
	v_cmp_u_f32_e64 s5, v92, v92
	v_add3_u32 v94, v94, v92, 0x7fff
	v_cndmask_b32_e64 v92, v94, v123, s5
	;; [unrolled: 42-line block ×4, first 2 shown]
	v_bfe_u32 v62, v45, 16, 1
	v_or_b32_e32 v123, 0x400000, v45
	v_cmp_u_f32_e64 s5, v45, v45
	v_add3_u32 v62, v62, v45, 0x7fff
	v_cndmask_b32_e64 v45, v62, v123, s5
	v_bfe_u32 v62, v43, 16, 1
	v_or_b32_e32 v123, 0x400000, v43
	v_cmp_u_f32_e64 s5, v43, v43
	v_add3_u32 v62, v62, v43, 0x7fff
	v_cndmask_b32_e64 v43, v62, v123, s5
	;; [unrolled: 5-line block ×3, first 2 shown]
	v_bfe_u32 v62, v41, 16, 1
	v_or_b32_e32 v123, 0x400000, v41
	v_cmp_u_f32_e64 s5, v41, v41
	v_add3_u32 v62, v62, v41, 0x7fff
	v_bfe_u32 v41, v40, 16, 1
	v_cndmask_b32_e64 v62, v62, v123, s5
	v_add3_u32 v41, v41, v40, 0x7fff
	v_or_b32_e32 v123, 0x400000, v40
	v_cmp_u_f32_e64 s5, v40, v40
	v_bfe_u32 v40, v119, 16, 1
	v_cndmask_b32_e64 v123, v41, v123, s5
	v_add3_u32 v40, v40, v119, 0x7fff
	v_or_b32_e32 v41, 0x400000, v119
	v_cmp_u_f32_e64 s5, v119, v119
	v_mul_f32_e32 v119, v86, v44
	v_cndmask_b32_e64 v124, v40, v41, s5
	v_bfe_u32 v40, v119, 16, 1
	v_or_b32_e32 v41, 0x400000, v119
	v_cmp_u_f32_e64 s5, v119, v119
	v_add3_u32 v40, v40, v119, 0x7fff
	v_mul_f32_e32 v119, v86, v46
	v_cndmask_b32_e64 v44, v40, v41, s5
	v_bfe_u32 v40, v119, 16, 1
	v_or_b32_e32 v41, 0x400000, v119
	v_cmp_u_f32_e64 s5, v119, v119
	v_add3_u32 v40, v40, v119, 0x7fff
	v_bfe_u32 v119, v117, 16, 1
	v_cndmask_b32_e64 v46, v40, v41, s5
	v_add3_u32 v119, v119, v117, 0x7fff
	v_or_b32_e32 v40, 0x400000, v117
	v_cmp_u_f32_e64 s5, v117, v117
	v_bfe_u32 v117, v115, 16, 1
	v_cndmask_b32_e64 v119, v119, v40, s5
	v_add3_u32 v117, v117, v115, 0x7fff
	v_or_b32_e32 v40, 0x400000, v115
	v_cmp_u_f32_e64 s5, v115, v115
	s_waitcnt vmcnt(0)
	v_mul_f32_e32 v115, v86, v71
	buffer_load_dword v71, off, s[0:3], s32 offset:216 ; 4-byte Folded Reload
	v_cndmask_b32_e64 v40, v117, v40, s5
	v_bfe_u32 v117, v115, 16, 1
	v_or_b32_e32 v41, 0x400000, v115
	v_cmp_u_f32_e64 s5, v115, v115
	v_add3_u32 v117, v117, v115, 0x7fff
	v_cndmask_b32_e64 v117, v117, v41, s5
	s_waitcnt vmcnt(0)
	v_mul_f32_e32 v115, v86, v71
	buffer_load_dword v71, off, s[0:3], s32 offset:212 ; 4-byte Folded Reload
	v_bfe_u32 v41, v115, 16, 1
	v_or_b32_e32 v125, 0x400000, v115
	v_cmp_u_f32_e64 s5, v115, v115
	v_add3_u32 v41, v41, v115, 0x7fff
	v_cndmask_b32_e64 v41, v41, v125, s5
	s_waitcnt vmcnt(0)
	v_mul_f32_e32 v115, v86, v71
	buffer_load_dword v71, off, s[0:3], s32 offset:208 ; 4-byte Folded Reload
	;; [unrolled: 8-line block ×3, first 2 shown]
	v_bfe_u32 v126, v115, 16, 1
	v_or_b32_e32 v127, 0x400000, v115
	v_cmp_u_f32_e64 s5, v115, v115
	v_add3_u32 v126, v126, v115, 0x7fff
	v_mul_f32_e32 v115, v86, v116
	v_cndmask_b32_e64 v126, v126, v127, s5
	v_bfe_u32 v116, v115, 16, 1
	v_or_b32_e32 v127, 0x400000, v115
	v_cmp_u_f32_e64 s5, v115, v115
	v_add3_u32 v116, v116, v115, 0x7fff
	v_mul_f32_e32 v115, v86, v118
	v_cndmask_b32_e64 v127, v116, v127, s5
	v_bfe_u32 v116, v115, 16, 1
	v_or_b32_e32 v118, 0x400000, v115
	v_cmp_u_f32_e64 s5, v115, v115
	v_add3_u32 v116, v116, v115, 0x7fff
	v_cndmask_b32_e64 v81, v116, v118, s5
	s_waitcnt vmcnt(0)
	v_mul_f32_e32 v115, v86, v71
	v_bfe_u32 v116, v115, 16, 1
	v_or_b32_e32 v118, 0x400000, v115
	v_cmp_u_f32_e64 s5, v115, v115
	v_add3_u32 v116, v116, v115, 0x7fff
	v_mul_f32_e32 v115, v86, v69
	v_cndmask_b32_e64 v83, v116, v118, s5
	v_bfe_u32 v116, v115, 16, 1
	v_or_b32_e32 v118, 0x400000, v115
	v_cmp_u_f32_e64 s5, v115, v115
	v_add3_u32 v116, v116, v115, 0x7fff
	v_mul_f32_e32 v115, v86, v84
	v_cndmask_b32_e64 v118, v116, v118, s5
	;; [unrolled: 6-line block ×4, first 2 shown]
	v_bfe_u32 v116, v115, 16, 1
	v_or_b32_e32 v85, 0x400000, v115
	v_cmp_u_f32_e64 s5, v115, v115
	v_add3_u32 v116, v116, v115, 0x7fff
	v_mul_f32_e32 v115, v86, v21
	v_mul_f32_e32 v21, v86, v100
	v_cndmask_b32_e64 v85, v116, v85, s5
	v_bfe_u32 v116, v115, 16, 1
	v_or_b32_e32 v69, 0x400000, v115
	v_cmp_u_f32_e64 s5, v115, v115
	v_bfe_u32 v100, v21, 16, 1
	v_add3_u32 v116, v116, v115, 0x7fff
	v_mul_f32_e32 v115, v86, v20
	buffer_load_dword v20, off, s[0:3], s32 offset:204 ; 4-byte Folded Reload
	v_add3_u32 v100, v100, v21, 0x7fff
	v_cndmask_b32_e64 v69, v116, v69, s5
	v_bfe_u32 v116, v115, 16, 1
	v_or_b32_e32 v70, 0x400000, v115
	v_cmp_u_f32_e64 s5, v115, v115
	v_and_b32_e32 v69, 0xffff0000, v69
	v_add3_u32 v116, v116, v115, 0x7fff
	v_cndmask_b32_e64 v70, v116, v70, s5
	s_waitcnt vmcnt(0)
	v_mul_f32_e32 v115, v86, v20
	v_bfe_u32 v116, v115, 16, 1
	v_or_b32_e32 v20, 0x400000, v115
	v_cmp_u_f32_e64 s5, v115, v115
	v_add3_u32 v116, v116, v115, 0x7fff
	v_or_b32_e32 v115, 0x400000, v21
	v_cndmask_b32_e64 v20, v116, v20, s5
	v_cmp_u_f32_e64 s5, v21, v21
	v_mul_f32_e32 v21, v86, v97
	v_and_b32_e32 v20, 0xffff0000, v20
	v_cndmask_b32_e64 v100, v100, v115, s5
	v_bfe_u32 v97, v21, 16, 1
	v_or_b32_e32 v115, 0x400000, v21
	v_cmp_u_f32_e64 s5, v21, v21
	v_add3_u32 v97, v97, v21, 0x7fff
	v_mul_f32_e32 v21, v86, v96
	v_cndmask_b32_e64 v97, v97, v115, s5
	v_bfe_u32 v96, v21, 16, 1
	v_or_b32_e32 v115, 0x400000, v21
	v_cmp_u_f32_e64 s5, v21, v21
	v_add3_u32 v96, v96, v21, 0x7fff
	v_mul_f32_e32 v21, v86, v32
	;; [unrolled: 6-line block ×3, first 2 shown]
	v_cndmask_b32_e64 v32, v32, v115, s5
	v_bfe_u32 v25, v21, 16, 1
	v_or_b32_e32 v115, 0x400000, v21
	v_cmp_u_f32_e64 s5, v21, v21
	v_add3_u32 v25, v25, v21, 0x7fff
	v_bfe_u32 v21, v9, 16, 1
	v_cndmask_b32_e64 v115, v25, v115, s5
	v_add3_u32 v21, v21, v9, 0x7fff
	v_or_b32_e32 v25, 0x400000, v9
	v_cmp_u_f32_e64 s5, v9, v9
	v_mul_f32_e32 v9, v86, v99
	v_cndmask_b32_e64 v116, v21, v25, s5
	v_bfe_u32 v25, v9, 16, 1
	v_mul_f32_e32 v21, v86, v101
	v_or_b32_e32 v86, 0x400000, v9
	v_cmp_u_f32_e64 s5, v9, v9
	v_add3_u32 v25, v25, v9, 0x7fff
	v_cndmask_b32_e64 v9, v25, v86, s5
	v_bfe_u32 v25, v21, 16, 1
	v_or_b32_e32 v86, 0x400000, v21
	v_cmp_u_f32_e64 s5, v21, v21
	v_add3_u32 v25, v25, v21, 0x7fff
	v_and_b32_e32 v21, 0xffff0000, v126
	v_cndmask_b32_e64 v25, v25, v86, s5
	buffer_load_dword v86, off, s[0:3], s32 offset:288 ; 4-byte Folded Reload
	s_waitcnt vmcnt(0)
	v_mul_f32_e32 v86, v86, v21
	buffer_load_dword v21, off, s[0:3], s32 offset:256 ; 4-byte Folded Reload
	s_waitcnt vmcnt(0)
	v_fmac_f32_e32 v86, v21, v69
	v_and_b32_e32 v69, 0xffff0000, v85
	buffer_load_dword v85, off, s[0:3], s32 offset:292 ; 4-byte Folded Reload
	v_and_b32_e32 v21, 0xffff0000, v125
	s_waitcnt vmcnt(0)
	v_mul_f32_e32 v99, v85, v21
	buffer_load_dword v21, off, s[0:3], s32 offset:260 ; 4-byte Folded Reload
	s_waitcnt vmcnt(0)
	v_fmac_f32_e32 v99, v21, v69
	v_and_b32_e32 v69, 0xffff0000, v71
	buffer_load_dword v71, off, s[0:3], s32 offset:296 ; 4-byte Folded Reload
	v_and_b32_e32 v21, 0xffff0000, v41
	s_waitcnt vmcnt(0)
	v_mul_f32_e32 v101, v71, v21
	s_clause 0x1
	buffer_load_dword v21, off, s[0:3], s32 offset:264
	buffer_load_dword v71, off, s[0:3], s32 offset:300
	s_waitcnt vmcnt(1)
	v_fmac_f32_e32 v101, v21, v69
	v_and_b32_e32 v21, 0xffff0000, v117
	v_and_b32_e32 v69, 0xffff0000, v84
	s_waitcnt vmcnt(0)
	v_mul_f32_e32 v117, v71, v21
	s_clause 0x1
	buffer_load_dword v21, off, s[0:3], s32 offset:268
	buffer_load_dword v71, off, s[0:3], s32 offset:304
	s_waitcnt vmcnt(1)
	v_fmac_f32_e32 v117, v21, v69
	v_and_b32_e32 v21, 0xffff0000, v40
	;; [unrolled: 9-line block ×3, first 2 shown]
	v_and_b32_e32 v69, 0xffff0000, v83
	buffer_load_dword v83, off, s[0:3], s32 offset:224 ; 4-byte Folded Reload
	s_waitcnt vmcnt(1)
	v_mul_f32_e32 v119, v71, v21
	buffer_load_dword v21, off, s[0:3], s32 offset:276 ; 4-byte Folded Reload
	s_waitcnt vmcnt(0)
	v_fmac_f32_e32 v119, v21, v69
	v_and_b32_e32 v69, 0xffff0000, v70
	buffer_load_dword v70, off, s[0:3], s32 offset:312 ; 4-byte Folded Reload
	v_and_b32_e32 v21, 0xffff0000, v127
	s_waitcnt vmcnt(0)
	v_mul_f32_e32 v40, v70, v21
	buffer_load_dword v21, off, s[0:3], s32 offset:280 ; 4-byte Folded Reload
	s_waitcnt vmcnt(0)
	v_fmac_f32_e32 v40, v21, v69
	buffer_load_dword v69, off, s[0:3], s32 offset:316 ; 4-byte Folded Reload
	v_and_b32_e32 v21, 0xffff0000, v81
	s_waitcnt vmcnt(0)
	v_mul_f32_e32 v41, v69, v21
	buffer_load_dword v21, off, s[0:3], s32 offset:284 ; 4-byte Folded Reload
	s_waitcnt vmcnt(0)
	v_fmac_f32_e32 v41, v21, v20
	buffer_load_dword v21, off, s[0:3], s32 offset:320 ; 4-byte Folded Reload
	v_and_b32_e32 v20, 0xffff0000, v124
	s_waitcnt vmcnt(0)
	v_fmac_f32_e32 v86, v21, v20
	buffer_load_dword v21, off, s[0:3], s32 offset:324 ; 4-byte Folded Reload
	v_and_b32_e32 v20, 0xffff0000, v123
	;; [unrolled: 4-line block ×50, first 2 shown]
	s_waitcnt vmcnt(0)
	v_fmac_f32_e32 v99, v21, v20
	buffer_load_dword v20, off, s[0:3], s32 offset:532 ; 4-byte Folded Reload
	s_waitcnt vmcnt(0)
	v_fmac_f32_e32 v101, v20, v5
	buffer_load_dword v5, off, s[0:3], s32 offset:536 ; 4-byte Folded Reload
	;; [unrolled: 3-line block ×3, first 2 shown]
	v_and_b32_e32 v4, 0xffff0000, v39
	s_waitcnt vmcnt(0)
	v_fmac_f32_e32 v118, v5, v4
	buffer_load_dword v5, off, s[0:3], s32 offset:544 ; 4-byte Folded Reload
	v_and_b32_e32 v4, 0xffff0000, v15
	s_waitcnt vmcnt(0)
	v_fmac_f32_e32 v119, v5, v4
	buffer_load_dword v5, off, s[0:3], s32 offset:548 ; 4-byte Folded Reload
	;; [unrolled: 4-line block ×8, first 2 shown]
	s_waitcnt vmcnt(0)
	v_fmac_f32_e32 v118, v4, v2
	buffer_load_dword v4, off, s[0:3], s32 offset:576 ; 4-byte Folded Reload
	v_and_b32_e32 v2, 0xffff0000, v14
	s_waitcnt vmcnt(0)
	v_fmac_f32_e32 v119, v4, v2
	v_and_b32_e32 v2, 0xffff0000, v3
	buffer_load_dword v3, off, s[0:3], s32 offset:580 ; 4-byte Folded Reload
	s_waitcnt vmcnt(0)
	v_fmac_f32_e32 v40, v3, v2
	buffer_load_dword v3, off, s[0:3], s32 offset:584 ; 4-byte Folded Reload
	v_and_b32_e32 v2, 0xffff0000, v11
	s_waitcnt vmcnt(0)
	v_fmac_f32_e32 v41, v3, v2
	buffer_load_dword v3, off, s[0:3], s32 offset:588 ; 4-byte Folded Reload
	v_and_b32_e32 v2, 0xffff0000, v23
	;; [unrolled: 4-line block ×8, first 2 shown]
	s_waitcnt vmcnt(0)
	v_fmac_f32_e32 v40, v3, v2
	s_clause 0x1
	buffer_load_dword v2, off, s[0:3], s32 offset:616
	buffer_load_dword v3, off, s[0:3], s32 offset:252
	s_waitcnt vmcnt(1)
	v_fmac_f32_e32 v41, v2, v1
	buffer_load_dword v2, off, s[0:3], s32 offset:620 ; 4-byte Folded Reload
	v_and_b32_e32 v1, 0xffff0000, v87
	s_waitcnt vmcnt(0)
	v_fmac_f32_e32 v86, v2, v1
	buffer_load_dword v2, off, s[0:3], s32 offset:624 ; 4-byte Folded Reload
	v_and_b32_e32 v1, 0xffff0000, v50
	;; [unrolled: 4-line block ×6, first 2 shown]
	s_waitcnt vmcnt(0)
	v_fmac_f32_e32 v119, v2, v1
	s_clause 0x1
	buffer_load_dword v1, off, s[0:3], s32 offset:644
	buffer_load_dword v2, off, s[0:3], s32 offset:728
	s_waitcnt vmcnt(1)
	v_fmac_f32_e32 v40, v1, v0
	buffer_load_dword v1, off, s[0:3], s32 offset:648 ; 4-byte Folded Reload
	v_and_b32_e32 v0, 0xffff0000, v54
	s_waitcnt vmcnt(0)
	v_fmac_f32_e32 v41, v1, v0
	buffer_load_dword v1, off, s[0:3], s32 offset:652 ; 4-byte Folded Reload
	v_and_b32_e32 v0, 0xffff0000, v98
	;; [unrolled: 4-line block ×20, first 2 shown]
	s_waitcnt vmcnt(0)
	v_fmac_f32_e32 v101, v1, v0
	v_and_b32_e32 v1, 0xffff0000, v96
	v_add_f32_e32 v0, v86, v99
	v_fmac_f32_e32 v117, v2, v1
	buffer_load_dword v2, off, s[0:3], s32 offset:732 ; 4-byte Folded Reload
	v_and_b32_e32 v1, 0xffff0000, v97
	v_add_f32_e32 v0, v0, v101
	v_add_f32_e32 v0, v117, v0
	s_waitcnt vmcnt(0)
	v_fmac_f32_e32 v118, v2, v1
	buffer_load_dword v2, off, s[0:3], s32 offset:736 ; 4-byte Folded Reload
	v_and_b32_e32 v1, 0xffff0000, v100
	v_add_f32_e32 v0, v118, v0
	s_waitcnt vmcnt(0)
	v_fmac_f32_e32 v119, v2, v1
	buffer_load_dword v2, off, s[0:3], s32 offset:740 ; 4-byte Folded Reload
	v_and_b32_e32 v1, 0xffff0000, v9
	;; [unrolled: 5-line block ×3, first 2 shown]
	v_add_f32_e32 v0, v40, v0
	s_waitcnt vmcnt(0)
	v_fmac_f32_e32 v41, v2, v1
	buffer_load_dword v2, off, s[0:3], s32 offset:248 ; 4-byte Folded Reload
	v_sub_nc_u32_e32 v1, 1, v3
	v_cmp_lt_i32_e64 s5, v82, v3
	v_add_f32_e32 v0, v41, v0
	v_add_nc_u32_e32 v1, v1, v82
	v_add_nc_u32_e32 v82, 0x80, v82
	v_cvt_f32_i32_e32 v1, v1
	s_waitcnt vmcnt(0)
	v_mul_f32_e32 v1, v2, v1
	buffer_load_dword v2, off, s[0:3], s32 offset:244 ; 4-byte Folded Reload
	v_cndmask_b32_e32 v1, 0, v1, vcc_lo
	s_waitcnt vmcnt(0)
	v_fmac_f32_e32 v1, v2, v0
	v_max_f32_e32 v0, v83, v83
	v_max_f32_e32 v0, v0, v1
	v_cndmask_b32_e64 v1, 0, v1, s5
	v_cndmask_b32_e64 v83, v83, v0, s5
	ds_write_b32 v80, v1
	s_clause 0x2
	buffer_load_dword v0, off, s[0:3], s32 offset:356
	buffer_load_dword v2, off, s[0:3], s32 offset:228
	;; [unrolled: 1-line block ×3, first 2 shown]
	v_add_nc_u32_e32 v80, 0x200, v80
	s_waitcnt vmcnt(2)
	v_cmp_ge_i32_e64 s5, v35, v0
	s_waitcnt vmcnt(1)
	v_add_co_u32 v2, s6, v2, 16
	s_waitcnt vmcnt(0)
	v_add_co_ci_u32_e64 v3, null, 0, v3, s6
	s_or_b32 s17, s5, s17
	s_andn2_b32 exec_lo, exec_lo, s17
	s_cbranch_execz .LBB393_968
.LBB393_11:                             ; =>This Inner Loop Header: Depth=1
	buffer_store_dword v2, off, s[0:3], s32 offset:228 ; 4-byte Folded Spill
	buffer_store_dword v3, off, s[0:3], s32 offset:232 ; 4-byte Folded Spill
	v_mov_b32_e32 v71, v35
	v_mov_b32_e32 v81, v80
	;; [unrolled: 1-line block ×3, first 2 shown]
	flat_load_dword v0, v[2:3]
	s_clause 0x2
	buffer_load_dword v1, off, s[0:3], s32 offset:352
	buffer_load_dword v2, off, s[0:3], s32 offset:748
	;; [unrolled: 1-line block ×3, first 2 shown]
	s_waitcnt vmcnt(0) lgkmcnt(0)
	v_mad_i64_i32 v[28:29], null, v0, v1, v[2:3]
	flat_load_dwordx2 v[30:31], v[28:29]
	s_clause 0x1
	buffer_load_dword v0, off, s[0:3], s32 offset:236
	buffer_load_dword v1, off, s[0:3], s32 offset:240
	s_waitcnt vmcnt(2) lgkmcnt(0)
	v_cmp_ne_u16_sdwa s5, v30, v19 src0_sel:BYTE_0 src1_sel:DWORD
	s_waitcnt vmcnt(0)
	flat_load_dword v86, v[0:1]
	s_and_saveexec_b32 s6, s5
	s_cbranch_execz .LBB393_19
; %bb.12:                               ;   in Loop: Header=BB393_11 Depth=1
	v_mov_b32_e32 v0, 0x80
	v_bfrev_b32_e32 v35, 1
	v_cmp_ne_u16_sdwa s5, v30, v0 src0_sel:BYTE_0 src1_sel:DWORD
	s_and_saveexec_b32 s22, s5
	s_cbranch_execz .LBB393_18
; %bb.13:                               ;   in Loop: Header=BB393_11 Depth=1
	v_and_b32_e32 v1, 0x7f, v30
	v_mov_b32_e32 v35, 0x7f800001
	s_mov_b32 s23, exec_lo
	v_cmpx_ne_u32_e32 0x7f, v1
	s_cbranch_execz .LBB393_17
; %bb.14:                               ;   in Loop: Header=BB393_11 Depth=1
	v_mov_b32_e32 v33, v31
	v_lshrrev_b32_e32 v0, 3, v1
	v_mov_b32_e32 v32, v30
	s_mov_b32 s24, exec_lo
	v_cmpx_gt_u32_e32 8, v1
; %bb.15:                               ;   in Loop: Header=BB393_11 Depth=1
	v_and_b32_e32 v0, 7, v30
	v_ffbh_u32_e32 v0, v0
	v_min_u32_e32 v0, 32, v0
	v_subrev_nc_u32_e32 v1, 28, v0
	v_sub_nc_u32_e32 v0, 29, v0
	v_lshlrev_b64 v[32:33], v1, v[30:31]
; %bb.16:                               ;   in Loop: Header=BB393_11 Depth=1
	s_or_b32 exec_lo, exec_lo, s24
	v_lshlrev_b32_e32 v1, 20, v32
	v_lshlrev_b32_e32 v2, 24, v30
	v_lshl_add_u32 v0, v0, 23, 0x3c000000
	v_and_b32_e32 v1, 0x700000, v1
	v_and_b32_e32 v2, 0x80000000, v2
	v_or3_b32 v35, v1, v2, v0
.LBB393_17:                             ;   in Loop: Header=BB393_11 Depth=1
	s_or_b32 exec_lo, exec_lo, s23
.LBB393_18:                             ;   in Loop: Header=BB393_11 Depth=1
	s_or_b32 exec_lo, exec_lo, s22
.LBB393_19:                             ;   in Loop: Header=BB393_11 Depth=1
	s_or_b32 exec_lo, exec_lo, s6
	v_cmp_ne_u16_sdwa s5, v30, v19 src0_sel:BYTE_1 src1_sel:DWORD
	v_mov_b32_e32 v70, 0
	v_mov_b32_e32 v85, 0
	s_and_saveexec_b32 s6, s5
	s_cbranch_execz .LBB393_27
; %bb.20:                               ;   in Loop: Header=BB393_11 Depth=1
	v_mov_b32_e32 v0, 0x80
	v_bfrev_b32_e32 v85, 1
	v_cmp_ne_u16_sdwa s5, v30, v0 src0_sel:BYTE_1 src1_sel:DWORD
	s_and_saveexec_b32 s22, s5
	s_cbranch_execz .LBB393_26
; %bb.21:                               ;   in Loop: Header=BB393_11 Depth=1
	v_mov_b32_e32 v0, 0xffff
	v_mov_b32_e32 v85, 0x7f800001
	s_mov_b32 s23, exec_lo
	v_and_b32_sdwa v0, v0, v30 dst_sel:DWORD dst_unused:UNUSED_PAD src0_sel:DWORD src1_sel:BYTE_1
	v_and_b32_e32 v1, 0x7f, v0
	v_cmpx_ne_u32_e32 0x7f, v1
	s_cbranch_execz .LBB393_25
; %bb.22:                               ;   in Loop: Header=BB393_11 Depth=1
	v_and_b32_e32 v18, 7, v0
	v_mov_b32_e32 v33, v19
	v_lshrrev_b32_e32 v0, 3, v1
	s_mov_b32 s24, exec_lo
	v_mov_b32_e32 v32, v18
	v_cmpx_gt_u32_e32 8, v1
; %bb.23:                               ;   in Loop: Header=BB393_11 Depth=1
	v_ffbh_u32_e32 v0, v18
	v_min_u32_e32 v0, 32, v0
	v_subrev_nc_u32_e32 v1, 28, v0
	v_sub_nc_u32_e32 v0, 29, v0
	v_lshlrev_b64 v[1:2], v1, v[18:19]
	v_and_b32_e32 v32, 7, v1
; %bb.24:                               ;   in Loop: Header=BB393_11 Depth=1
	s_or_b32 exec_lo, exec_lo, s24
	v_lshlrev_b32_e32 v1, 16, v30
	v_lshlrev_b32_e32 v2, 20, v32
	v_lshl_add_u32 v0, v0, 23, 0x3c000000
	v_and_b32_e32 v1, 0x80000000, v1
	v_or3_b32 v85, v2, v1, v0
.LBB393_25:                             ;   in Loop: Header=BB393_11 Depth=1
	s_or_b32 exec_lo, exec_lo, s23
.LBB393_26:                             ;   in Loop: Header=BB393_11 Depth=1
	s_or_b32 exec_lo, exec_lo, s22
.LBB393_27:                             ;   in Loop: Header=BB393_11 Depth=1
	s_or_b32 exec_lo, exec_lo, s6
	v_mov_b32_e32 v0, 0xff
	s_mov_b32 s6, exec_lo
	v_and_b32_sdwa v0, v30, v0 dst_sel:DWORD dst_unused:UNUSED_PAD src0_sel:WORD_1 src1_sel:DWORD
	v_cmpx_ne_u16_e32 0, v0
	s_cbranch_execz .LBB393_35
; %bb.28:                               ;   in Loop: Header=BB393_11 Depth=1
	v_bfrev_b32_e32 v70, 1
	s_mov_b32 s22, exec_lo
	v_cmpx_ne_u16_e32 0x80, v0
	s_cbranch_execz .LBB393_34
; %bb.29:                               ;   in Loop: Header=BB393_11 Depth=1
	v_bfe_u32 v1, v30, 16, 7
	v_mov_b32_e32 v70, 0x7f800001
	s_mov_b32 s23, exec_lo
	v_cmpx_ne_u32_e32 0x7f, v1
	s_cbranch_execz .LBB393_33
; %bb.30:                               ;   in Loop: Header=BB393_11 Depth=1
	v_mov_b32_e32 v0, 7
	s_mov_b32 s24, exec_lo
	v_and_b32_sdwa v18, v30, v0 dst_sel:DWORD dst_unused:UNUSED_PAD src0_sel:WORD_1 src1_sel:DWORD
	v_mov_b32_e32 v33, v19
	v_lshrrev_b32_e32 v0, 3, v1
	v_mov_b32_e32 v32, v18
	v_cmpx_gt_u32_e32 8, v1
; %bb.31:                               ;   in Loop: Header=BB393_11 Depth=1
	v_ffbh_u32_e32 v0, v18
	v_min_u32_e32 v0, 32, v0
	v_subrev_nc_u32_e32 v1, 28, v0
	v_sub_nc_u32_e32 v0, 29, v0
	v_lshlrev_b64 v[1:2], v1, v[18:19]
	v_and_b32_e32 v32, 7, v1
; %bb.32:                               ;   in Loop: Header=BB393_11 Depth=1
	s_or_b32 exec_lo, exec_lo, s24
	v_mov_b32_e32 v1, 24
	v_lshlrev_b32_e32 v2, 20, v32
	v_lshl_add_u32 v0, v0, 23, 0x3c000000
	v_lshlrev_b32_sdwa v1, v1, v30 dst_sel:DWORD dst_unused:UNUSED_PAD src0_sel:DWORD src1_sel:WORD_1
	v_and_b32_e32 v1, 0x80000000, v1
	v_or3_b32 v70, v2, v1, v0
.LBB393_33:                             ;   in Loop: Header=BB393_11 Depth=1
	s_or_b32 exec_lo, exec_lo, s23
.LBB393_34:                             ;   in Loop: Header=BB393_11 Depth=1
	s_or_b32 exec_lo, exec_lo, s22
.LBB393_35:                             ;   in Loop: Header=BB393_11 Depth=1
	s_or_b32 exec_lo, exec_lo, s6
	v_mov_b32_e32 v69, 0
	v_mov_b32_e32 v84, 0
	s_mov_b32 s6, exec_lo
	v_cmpx_lt_u32_e32 0xffffff, v30
	s_cbranch_execz .LBB393_43
; %bb.36:                               ;   in Loop: Header=BB393_11 Depth=1
	v_mov_b32_e32 v0, 0x80
	v_bfrev_b32_e32 v84, 1
	v_cmp_ne_u32_sdwa s5, v30, v0 src0_sel:BYTE_3 src1_sel:DWORD
	s_and_saveexec_b32 s22, s5
	s_cbranch_execz .LBB393_42
; %bb.37:                               ;   in Loop: Header=BB393_11 Depth=1
	v_bfe_u32 v1, v30, 24, 7
	v_mov_b32_e32 v84, 0x7f800001
	s_mov_b32 s23, exec_lo
	v_cmpx_ne_u32_e32 0x7f, v1
	s_cbranch_execz .LBB393_41
; %bb.38:                               ;   in Loop: Header=BB393_11 Depth=1
	v_mov_b32_e32 v0, 7
	s_mov_b32 s24, exec_lo
	v_and_b32_sdwa v18, v30, v0 dst_sel:DWORD dst_unused:UNUSED_PAD src0_sel:BYTE_3 src1_sel:DWORD
	v_mov_b32_e32 v33, v19
	v_lshrrev_b32_e32 v0, 3, v1
	v_mov_b32_e32 v32, v18
	v_cmpx_gt_u32_e32 8, v1
; %bb.39:                               ;   in Loop: Header=BB393_11 Depth=1
	v_ffbh_u32_e32 v0, v18
	v_min_u32_e32 v0, 32, v0
	v_subrev_nc_u32_e32 v1, 28, v0
	v_sub_nc_u32_e32 v0, 29, v0
	v_lshlrev_b64 v[1:2], v1, v[18:19]
	v_and_b32_e32 v32, 7, v1
; %bb.40:                               ;   in Loop: Header=BB393_11 Depth=1
	s_or_b32 exec_lo, exec_lo, s24
	v_mov_b32_e32 v1, 24
	v_lshlrev_b32_e32 v2, 20, v32
	v_lshl_add_u32 v0, v0, 23, 0x3c000000
	v_lshlrev_b32_sdwa v1, v1, v30 dst_sel:DWORD dst_unused:UNUSED_PAD src0_sel:DWORD src1_sel:BYTE_3
	v_and_b32_e32 v1, 0x80000000, v1
	v_or3_b32 v84, v2, v1, v0
.LBB393_41:                             ;   in Loop: Header=BB393_11 Depth=1
	s_or_b32 exec_lo, exec_lo, s23
.LBB393_42:                             ;   in Loop: Header=BB393_11 Depth=1
	s_or_b32 exec_lo, exec_lo, s22
.LBB393_43:                             ;   in Loop: Header=BB393_11 Depth=1
	s_or_b32 exec_lo, exec_lo, s6
	v_mov_b32_e32 v18, v31
	v_cmp_ne_u16_sdwa s5, v31, v19 src0_sel:BYTE_0 src1_sel:DWORD
	s_and_saveexec_b32 s6, s5
	s_cbranch_execz .LBB393_51
; %bb.44:                               ;   in Loop: Header=BB393_11 Depth=1
	v_mov_b32_e32 v0, 0x80
	v_bfrev_b32_e32 v69, 1
	v_cmp_ne_u16_sdwa s5, v31, v0 src0_sel:BYTE_0 src1_sel:DWORD
	s_and_saveexec_b32 s22, s5
	s_cbranch_execz .LBB393_50
; %bb.45:                               ;   in Loop: Header=BB393_11 Depth=1
	v_and_b32_e32 v1, 0x7f, v31
	v_mov_b32_e32 v69, 0x7f800001
	s_mov_b32 s23, exec_lo
	v_cmpx_ne_u32_e32 0x7f, v1
	s_cbranch_execz .LBB393_49
; %bb.46:                               ;   in Loop: Header=BB393_11 Depth=1
	v_mov_b32_e32 v33, v19
	v_lshrrev_b32_e32 v0, 3, v1
	v_mov_b32_e32 v32, v18
	s_mov_b32 s24, exec_lo
	v_cmpx_gt_u32_e32 8, v1
; %bb.47:                               ;   in Loop: Header=BB393_11 Depth=1
	v_and_b32_e32 v0, 7, v31
	v_ffbh_u32_e32 v0, v0
	v_min_u32_e32 v0, 32, v0
	v_subrev_nc_u32_e32 v1, 28, v0
	v_sub_nc_u32_e32 v0, 29, v0
	v_lshlrev_b64 v[32:33], v1, v[18:19]
; %bb.48:                               ;   in Loop: Header=BB393_11 Depth=1
	s_or_b32 exec_lo, exec_lo, s24
	v_lshlrev_b32_e32 v1, 20, v32
	v_lshlrev_b32_e32 v2, 24, v18
	v_lshl_add_u32 v0, v0, 23, 0x3c000000
	v_and_b32_e32 v1, 0x700000, v1
	v_and_b32_e32 v2, 0x80000000, v2
	v_or3_b32 v69, v1, v2, v0
.LBB393_49:                             ;   in Loop: Header=BB393_11 Depth=1
	s_or_b32 exec_lo, exec_lo, s23
.LBB393_50:                             ;   in Loop: Header=BB393_11 Depth=1
	s_or_b32 exec_lo, exec_lo, s22
.LBB393_51:                             ;   in Loop: Header=BB393_11 Depth=1
	s_or_b32 exec_lo, exec_lo, s6
	v_cmp_ne_u16_sdwa s5, v18, v19 src0_sel:BYTE_1 src1_sel:DWORD
	v_mov_b32_e32 v20, 0
	v_mov_b32_e32 v0, 0
	buffer_store_dword v0, off, s[0:3], s32 offset:200 ; 4-byte Folded Spill
	s_and_saveexec_b32 s6, s5
	s_cbranch_execz .LBB393_59
; %bb.52:                               ;   in Loop: Header=BB393_11 Depth=1
	v_mov_b32_e32 v0, 0x80
	v_cmp_ne_u16_sdwa s5, v18, v0 src0_sel:BYTE_1 src1_sel:DWORD
	v_bfrev_b32_e32 v0, 1
	buffer_store_dword v0, off, s[0:3], s32 offset:200 ; 4-byte Folded Spill
	s_and_saveexec_b32 s22, s5
	s_cbranch_execz .LBB393_58
; %bb.53:                               ;   in Loop: Header=BB393_11 Depth=1
	v_mov_b32_e32 v0, 0xffff
	v_mov_b32_e32 v2, 0x7f800001
	s_mov_b32 s23, exec_lo
	v_and_b32_sdwa v0, v0, v18 dst_sel:DWORD dst_unused:UNUSED_PAD src0_sel:DWORD src1_sel:BYTE_1
	buffer_store_dword v2, off, s[0:3], s32 offset:200 ; 4-byte Folded Spill
	v_and_b32_e32 v1, 0x7f, v0
	v_cmpx_ne_u32_e32 0x7f, v1
	s_cbranch_execz .LBB393_57
; %bb.54:                               ;   in Loop: Header=BB393_11 Depth=1
	v_and_b32_e32 v32, 7, v0
	v_mov_b32_e32 v33, v19
	v_lshrrev_b32_e32 v0, 3, v1
	s_mov_b32 s24, exec_lo
	v_cmpx_gt_u32_e32 8, v1
; %bb.55:                               ;   in Loop: Header=BB393_11 Depth=1
	v_ffbh_u32_e32 v0, v32
	v_min_u32_e32 v0, 32, v0
	v_subrev_nc_u32_e32 v1, 28, v0
	v_sub_nc_u32_e32 v0, 29, v0
	v_lshlrev_b64 v[1:2], v1, v[32:33]
	v_and_b32_e32 v32, 7, v1
; %bb.56:                               ;   in Loop: Header=BB393_11 Depth=1
	s_or_b32 exec_lo, exec_lo, s24
	v_lshlrev_b32_e32 v1, 16, v18
	v_lshlrev_b32_e32 v2, 20, v32
	v_lshl_add_u32 v0, v0, 23, 0x3c000000
	v_and_b32_e32 v1, 0x80000000, v1
	v_or3_b32 v0, v2, v1, v0
	buffer_store_dword v0, off, s[0:3], s32 offset:200 ; 4-byte Folded Spill
.LBB393_57:                             ;   in Loop: Header=BB393_11 Depth=1
	s_or_b32 exec_lo, exec_lo, s23
.LBB393_58:                             ;   in Loop: Header=BB393_11 Depth=1
	s_or_b32 exec_lo, exec_lo, s22
.LBB393_59:                             ;   in Loop: Header=BB393_11 Depth=1
	s_or_b32 exec_lo, exec_lo, s6
	v_mov_b32_e32 v0, 0xff
	s_mov_b32 s6, exec_lo
	v_and_b32_sdwa v0, v31, v0 dst_sel:DWORD dst_unused:UNUSED_PAD src0_sel:WORD_1 src1_sel:DWORD
	v_cmpx_ne_u16_e32 0, v0
	s_cbranch_execz .LBB393_67
; %bb.60:                               ;   in Loop: Header=BB393_11 Depth=1
	v_bfrev_b32_e32 v20, 1
	s_mov_b32 s22, exec_lo
	v_cmpx_ne_u16_e32 0x80, v0
	s_cbranch_execz .LBB393_66
; %bb.61:                               ;   in Loop: Header=BB393_11 Depth=1
	v_bfe_u32 v1, v31, 16, 7
	v_mov_b32_e32 v20, 0x7f800001
	s_mov_b32 s23, exec_lo
	v_cmpx_ne_u32_e32 0x7f, v1
	s_cbranch_execz .LBB393_65
; %bb.62:                               ;   in Loop: Header=BB393_11 Depth=1
	v_mov_b32_e32 v0, 7
	s_mov_b32 s24, exec_lo
	v_and_b32_sdwa v18, v31, v0 dst_sel:DWORD dst_unused:UNUSED_PAD src0_sel:WORD_1 src1_sel:DWORD
	v_mov_b32_e32 v33, v19
	v_lshrrev_b32_e32 v0, 3, v1
	v_mov_b32_e32 v32, v18
	v_cmpx_gt_u32_e32 8, v1
; %bb.63:                               ;   in Loop: Header=BB393_11 Depth=1
	v_ffbh_u32_e32 v0, v18
	v_min_u32_e32 v0, 32, v0
	v_subrev_nc_u32_e32 v1, 28, v0
	v_sub_nc_u32_e32 v0, 29, v0
	v_lshlrev_b64 v[1:2], v1, v[18:19]
	v_and_b32_e32 v32, 7, v1
; %bb.64:                               ;   in Loop: Header=BB393_11 Depth=1
	s_or_b32 exec_lo, exec_lo, s24
	v_mov_b32_e32 v1, 24
	v_lshlrev_b32_e32 v2, 20, v32
	v_lshl_add_u32 v0, v0, 23, 0x3c000000
	v_lshlrev_b32_sdwa v1, v1, v31 dst_sel:DWORD dst_unused:UNUSED_PAD src0_sel:DWORD src1_sel:WORD_1
	v_and_b32_e32 v1, 0x80000000, v1
	v_or3_b32 v20, v2, v1, v0
.LBB393_65:                             ;   in Loop: Header=BB393_11 Depth=1
	s_or_b32 exec_lo, exec_lo, s23
.LBB393_66:                             ;   in Loop: Header=BB393_11 Depth=1
	s_or_b32 exec_lo, exec_lo, s22
.LBB393_67:                             ;   in Loop: Header=BB393_11 Depth=1
	s_or_b32 exec_lo, exec_lo, s6
	v_mov_b32_e32 v0, 0
	s_mov_b32 s6, exec_lo
	buffer_store_dword v0, off, s[0:3], s32 offset:208 ; 4-byte Folded Spill
	v_mov_b32_e32 v0, 0
	buffer_store_dword v0, off, s[0:3], s32 offset:204 ; 4-byte Folded Spill
	v_cmpx_lt_u64_e64 s[8:9], v[30:31]
	s_cbranch_execz .LBB393_75
; %bb.68:                               ;   in Loop: Header=BB393_11 Depth=1
	v_mov_b32_e32 v0, 0x80
	v_cmp_ne_u32_sdwa s5, v31, v0 src0_sel:BYTE_3 src1_sel:DWORD
	v_bfrev_b32_e32 v0, 1
	buffer_store_dword v0, off, s[0:3], s32 offset:204 ; 4-byte Folded Spill
	s_and_saveexec_b32 s22, s5
	s_cbranch_execz .LBB393_74
; %bb.69:                               ;   in Loop: Header=BB393_11 Depth=1
	v_bfe_u32 v1, v31, 24, 7
	v_mov_b32_e32 v0, 0x7f800001
	s_mov_b32 s23, exec_lo
	buffer_store_dword v0, off, s[0:3], s32 offset:204 ; 4-byte Folded Spill
	v_cmpx_ne_u32_e32 0x7f, v1
	s_cbranch_execz .LBB393_73
; %bb.70:                               ;   in Loop: Header=BB393_11 Depth=1
	v_mov_b32_e32 v0, 7
	s_mov_b32 s24, exec_lo
	v_and_b32_sdwa v18, v31, v0 dst_sel:DWORD dst_unused:UNUSED_PAD src0_sel:BYTE_3 src1_sel:DWORD
	v_mov_b32_e32 v33, v19
	v_lshrrev_b32_e32 v0, 3, v1
	v_mov_b32_e32 v32, v18
	v_cmpx_gt_u32_e32 8, v1
; %bb.71:                               ;   in Loop: Header=BB393_11 Depth=1
	v_ffbh_u32_e32 v0, v18
	v_min_u32_e32 v0, 32, v0
	v_subrev_nc_u32_e32 v1, 28, v0
	v_sub_nc_u32_e32 v0, 29, v0
	v_lshlrev_b64 v[1:2], v1, v[18:19]
	v_and_b32_e32 v32, 7, v1
; %bb.72:                               ;   in Loop: Header=BB393_11 Depth=1
	s_or_b32 exec_lo, exec_lo, s24
	v_mov_b32_e32 v1, 24
	v_lshlrev_b32_e32 v2, 20, v32
	v_lshl_add_u32 v0, v0, 23, 0x3c000000
	v_lshlrev_b32_sdwa v1, v1, v31 dst_sel:DWORD dst_unused:UNUSED_PAD src0_sel:DWORD src1_sel:BYTE_3
	v_and_b32_e32 v1, 0x80000000, v1
	v_or3_b32 v0, v2, v1, v0
	buffer_store_dword v0, off, s[0:3], s32 offset:204 ; 4-byte Folded Spill
.LBB393_73:                             ;   in Loop: Header=BB393_11 Depth=1
	s_or_b32 exec_lo, exec_lo, s23
.LBB393_74:                             ;   in Loop: Header=BB393_11 Depth=1
	s_or_b32 exec_lo, exec_lo, s22
.LBB393_75:                             ;   in Loop: Header=BB393_11 Depth=1
	s_or_b32 exec_lo, exec_lo, s6
	flat_load_dwordx2 v[30:31], v[28:29] offset:8
	s_waitcnt vmcnt(0) lgkmcnt(0)
	v_cmp_ne_u16_sdwa s5, v30, v19 src0_sel:BYTE_0 src1_sel:DWORD
	s_and_saveexec_b32 s6, s5
	s_cbranch_execz .LBB393_83
; %bb.76:                               ;   in Loop: Header=BB393_11 Depth=1
	v_mov_b32_e32 v0, 0x80
	v_cmp_ne_u16_sdwa s5, v30, v0 src0_sel:BYTE_0 src1_sel:DWORD
	v_bfrev_b32_e32 v0, 1
	buffer_store_dword v0, off, s[0:3], s32 offset:208 ; 4-byte Folded Spill
	s_and_saveexec_b32 s22, s5
	s_cbranch_execz .LBB393_82
; %bb.77:                               ;   in Loop: Header=BB393_11 Depth=1
	v_and_b32_e32 v1, 0x7f, v30
	v_mov_b32_e32 v0, 0x7f800001
	s_mov_b32 s23, exec_lo
	buffer_store_dword v0, off, s[0:3], s32 offset:208 ; 4-byte Folded Spill
	v_cmpx_ne_u32_e32 0x7f, v1
	s_cbranch_execz .LBB393_81
; %bb.78:                               ;   in Loop: Header=BB393_11 Depth=1
	v_mov_b32_e32 v33, v31
	v_lshrrev_b32_e32 v0, 3, v1
	v_mov_b32_e32 v32, v30
	s_mov_b32 s24, exec_lo
	v_cmpx_gt_u32_e32 8, v1
; %bb.79:                               ;   in Loop: Header=BB393_11 Depth=1
	v_and_b32_e32 v0, 7, v30
	v_ffbh_u32_e32 v0, v0
	v_min_u32_e32 v0, 32, v0
	v_subrev_nc_u32_e32 v1, 28, v0
	v_sub_nc_u32_e32 v0, 29, v0
	v_lshlrev_b64 v[32:33], v1, v[30:31]
; %bb.80:                               ;   in Loop: Header=BB393_11 Depth=1
	s_or_b32 exec_lo, exec_lo, s24
	v_lshlrev_b32_e32 v1, 20, v32
	v_lshlrev_b32_e32 v2, 24, v30
	v_lshl_add_u32 v0, v0, 23, 0x3c000000
	v_and_b32_e32 v1, 0x700000, v1
	v_and_b32_e32 v2, 0x80000000, v2
	v_or3_b32 v0, v1, v2, v0
	buffer_store_dword v0, off, s[0:3], s32 offset:208 ; 4-byte Folded Spill
.LBB393_81:                             ;   in Loop: Header=BB393_11 Depth=1
	s_or_b32 exec_lo, exec_lo, s23
.LBB393_82:                             ;   in Loop: Header=BB393_11 Depth=1
	s_or_b32 exec_lo, exec_lo, s22
.LBB393_83:                             ;   in Loop: Header=BB393_11 Depth=1
	s_or_b32 exec_lo, exec_lo, s6
	v_mov_b32_e32 v0, 0
	v_cmp_ne_u16_sdwa s5, v30, v19 src0_sel:BYTE_1 src1_sel:DWORD
	buffer_store_dword v0, off, s[0:3], s32 offset:216 ; 4-byte Folded Spill
	v_mov_b32_e32 v0, 0
	buffer_store_dword v0, off, s[0:3], s32 offset:212 ; 4-byte Folded Spill
	s_and_saveexec_b32 s6, s5
	s_cbranch_execz .LBB393_91
; %bb.84:                               ;   in Loop: Header=BB393_11 Depth=1
	v_mov_b32_e32 v0, 0x80
	v_cmp_ne_u16_sdwa s5, v30, v0 src0_sel:BYTE_1 src1_sel:DWORD
	v_bfrev_b32_e32 v0, 1
	buffer_store_dword v0, off, s[0:3], s32 offset:212 ; 4-byte Folded Spill
	s_and_saveexec_b32 s22, s5
	s_cbranch_execz .LBB393_90
; %bb.85:                               ;   in Loop: Header=BB393_11 Depth=1
	v_mov_b32_e32 v0, 0xffff
	v_mov_b32_e32 v2, 0x7f800001
	s_mov_b32 s23, exec_lo
	v_and_b32_sdwa v0, v0, v30 dst_sel:DWORD dst_unused:UNUSED_PAD src0_sel:DWORD src1_sel:BYTE_1
	buffer_store_dword v2, off, s[0:3], s32 offset:212 ; 4-byte Folded Spill
	v_and_b32_e32 v1, 0x7f, v0
	v_cmpx_ne_u32_e32 0x7f, v1
	s_cbranch_execz .LBB393_89
; %bb.86:                               ;   in Loop: Header=BB393_11 Depth=1
	v_and_b32_e32 v18, 7, v0
	v_mov_b32_e32 v33, v19
	v_lshrrev_b32_e32 v0, 3, v1
	s_mov_b32 s24, exec_lo
	v_mov_b32_e32 v32, v18
	v_cmpx_gt_u32_e32 8, v1
; %bb.87:                               ;   in Loop: Header=BB393_11 Depth=1
	v_ffbh_u32_e32 v0, v18
	v_min_u32_e32 v0, 32, v0
	v_subrev_nc_u32_e32 v1, 28, v0
	v_sub_nc_u32_e32 v0, 29, v0
	v_lshlrev_b64 v[1:2], v1, v[18:19]
	v_and_b32_e32 v32, 7, v1
; %bb.88:                               ;   in Loop: Header=BB393_11 Depth=1
	s_or_b32 exec_lo, exec_lo, s24
	v_lshlrev_b32_e32 v1, 16, v30
	v_lshlrev_b32_e32 v2, 20, v32
	v_lshl_add_u32 v0, v0, 23, 0x3c000000
	v_and_b32_e32 v1, 0x80000000, v1
	v_or3_b32 v0, v2, v1, v0
	buffer_store_dword v0, off, s[0:3], s32 offset:212 ; 4-byte Folded Spill
.LBB393_89:                             ;   in Loop: Header=BB393_11 Depth=1
	s_or_b32 exec_lo, exec_lo, s23
.LBB393_90:                             ;   in Loop: Header=BB393_11 Depth=1
	s_or_b32 exec_lo, exec_lo, s22
.LBB393_91:                             ;   in Loop: Header=BB393_11 Depth=1
	s_or_b32 exec_lo, exec_lo, s6
	v_mov_b32_e32 v0, 0xff
	s_mov_b32 s6, exec_lo
	v_and_b32_sdwa v0, v30, v0 dst_sel:DWORD dst_unused:UNUSED_PAD src0_sel:WORD_1 src1_sel:DWORD
	v_cmpx_ne_u16_e32 0, v0
	s_cbranch_execz .LBB393_99
; %bb.92:                               ;   in Loop: Header=BB393_11 Depth=1
	v_cmp_ne_u16_e64 s5, 0x80, v0
	v_bfrev_b32_e32 v0, 1
	buffer_store_dword v0, off, s[0:3], s32 offset:216 ; 4-byte Folded Spill
	s_and_saveexec_b32 s22, s5
	s_cbranch_execz .LBB393_98
; %bb.93:                               ;   in Loop: Header=BB393_11 Depth=1
	v_bfe_u32 v1, v30, 16, 7
	v_mov_b32_e32 v0, 0x7f800001
	s_mov_b32 s23, exec_lo
	buffer_store_dword v0, off, s[0:3], s32 offset:216 ; 4-byte Folded Spill
	v_cmpx_ne_u32_e32 0x7f, v1
	s_cbranch_execz .LBB393_97
; %bb.94:                               ;   in Loop: Header=BB393_11 Depth=1
	v_mov_b32_e32 v0, 7
	s_mov_b32 s24, exec_lo
	v_and_b32_sdwa v18, v30, v0 dst_sel:DWORD dst_unused:UNUSED_PAD src0_sel:WORD_1 src1_sel:DWORD
	v_mov_b32_e32 v33, v19
	v_lshrrev_b32_e32 v0, 3, v1
	v_mov_b32_e32 v32, v18
	v_cmpx_gt_u32_e32 8, v1
; %bb.95:                               ;   in Loop: Header=BB393_11 Depth=1
	v_ffbh_u32_e32 v0, v18
	v_min_u32_e32 v0, 32, v0
	v_subrev_nc_u32_e32 v1, 28, v0
	v_sub_nc_u32_e32 v0, 29, v0
	v_lshlrev_b64 v[1:2], v1, v[18:19]
	v_and_b32_e32 v32, 7, v1
; %bb.96:                               ;   in Loop: Header=BB393_11 Depth=1
	s_or_b32 exec_lo, exec_lo, s24
	v_mov_b32_e32 v1, 24
	v_lshlrev_b32_e32 v2, 20, v32
	v_lshl_add_u32 v0, v0, 23, 0x3c000000
	v_lshlrev_b32_sdwa v1, v1, v30 dst_sel:DWORD dst_unused:UNUSED_PAD src0_sel:DWORD src1_sel:WORD_1
	v_and_b32_e32 v1, 0x80000000, v1
	v_or3_b32 v0, v2, v1, v0
	buffer_store_dword v0, off, s[0:3], s32 offset:216 ; 4-byte Folded Spill
.LBB393_97:                             ;   in Loop: Header=BB393_11 Depth=1
	s_or_b32 exec_lo, exec_lo, s23
.LBB393_98:                             ;   in Loop: Header=BB393_11 Depth=1
	s_or_b32 exec_lo, exec_lo, s22
.LBB393_99:                             ;   in Loop: Header=BB393_11 Depth=1
	s_or_b32 exec_lo, exec_lo, s6
	v_mov_b32_e32 v115, 0
	v_mov_b32_e32 v0, 0
	s_mov_b32 s6, exec_lo
	buffer_store_dword v0, off, s[0:3], s32 offset:220 ; 4-byte Folded Spill
	v_cmpx_lt_u32_e32 0xffffff, v30
	s_cbranch_execz .LBB393_107
; %bb.100:                              ;   in Loop: Header=BB393_11 Depth=1
	v_mov_b32_e32 v0, 0x80
	v_cmp_ne_u32_sdwa s5, v30, v0 src0_sel:BYTE_3 src1_sel:DWORD
	v_bfrev_b32_e32 v0, 1
	buffer_store_dword v0, off, s[0:3], s32 offset:220 ; 4-byte Folded Spill
	s_and_saveexec_b32 s22, s5
	s_cbranch_execz .LBB393_106
; %bb.101:                              ;   in Loop: Header=BB393_11 Depth=1
	v_bfe_u32 v1, v30, 24, 7
	v_mov_b32_e32 v0, 0x7f800001
	s_mov_b32 s23, exec_lo
	buffer_store_dword v0, off, s[0:3], s32 offset:220 ; 4-byte Folded Spill
	v_cmpx_ne_u32_e32 0x7f, v1
	s_cbranch_execz .LBB393_105
; %bb.102:                              ;   in Loop: Header=BB393_11 Depth=1
	v_mov_b32_e32 v0, 7
	s_mov_b32 s24, exec_lo
	v_and_b32_sdwa v18, v30, v0 dst_sel:DWORD dst_unused:UNUSED_PAD src0_sel:BYTE_3 src1_sel:DWORD
	v_mov_b32_e32 v33, v19
	v_lshrrev_b32_e32 v0, 3, v1
	v_mov_b32_e32 v32, v18
	v_cmpx_gt_u32_e32 8, v1
; %bb.103:                              ;   in Loop: Header=BB393_11 Depth=1
	v_ffbh_u32_e32 v0, v18
	v_min_u32_e32 v0, 32, v0
	v_subrev_nc_u32_e32 v1, 28, v0
	v_sub_nc_u32_e32 v0, 29, v0
	v_lshlrev_b64 v[1:2], v1, v[18:19]
	v_and_b32_e32 v32, 7, v1
; %bb.104:                              ;   in Loop: Header=BB393_11 Depth=1
	s_or_b32 exec_lo, exec_lo, s24
	v_mov_b32_e32 v1, 24
	v_lshlrev_b32_e32 v2, 20, v32
	v_lshl_add_u32 v0, v0, 23, 0x3c000000
	v_lshlrev_b32_sdwa v1, v1, v30 dst_sel:DWORD dst_unused:UNUSED_PAD src0_sel:DWORD src1_sel:BYTE_3
	v_and_b32_e32 v1, 0x80000000, v1
	v_or3_b32 v0, v2, v1, v0
	buffer_store_dword v0, off, s[0:3], s32 offset:220 ; 4-byte Folded Spill
.LBB393_105:                            ;   in Loop: Header=BB393_11 Depth=1
	s_or_b32 exec_lo, exec_lo, s23
.LBB393_106:                            ;   in Loop: Header=BB393_11 Depth=1
	s_or_b32 exec_lo, exec_lo, s22
.LBB393_107:                            ;   in Loop: Header=BB393_11 Depth=1
	s_or_b32 exec_lo, exec_lo, s6
	v_mov_b32_e32 v18, v31
	v_cmp_ne_u16_sdwa s5, v31, v19 src0_sel:BYTE_0 src1_sel:DWORD
	s_and_saveexec_b32 s6, s5
	s_cbranch_execz .LBB393_115
; %bb.108:                              ;   in Loop: Header=BB393_11 Depth=1
	v_mov_b32_e32 v0, 0x80
	v_bfrev_b32_e32 v115, 1
	v_cmp_ne_u16_sdwa s5, v31, v0 src0_sel:BYTE_0 src1_sel:DWORD
	s_and_saveexec_b32 s22, s5
	s_cbranch_execz .LBB393_114
; %bb.109:                              ;   in Loop: Header=BB393_11 Depth=1
	v_and_b32_e32 v1, 0x7f, v31
	v_mov_b32_e32 v115, 0x7f800001
	s_mov_b32 s23, exec_lo
	v_cmpx_ne_u32_e32 0x7f, v1
	s_cbranch_execz .LBB393_113
; %bb.110:                              ;   in Loop: Header=BB393_11 Depth=1
	v_mov_b32_e32 v33, v19
	v_lshrrev_b32_e32 v0, 3, v1
	v_mov_b32_e32 v32, v18
	s_mov_b32 s24, exec_lo
	v_cmpx_gt_u32_e32 8, v1
; %bb.111:                              ;   in Loop: Header=BB393_11 Depth=1
	v_and_b32_e32 v0, 7, v31
	v_ffbh_u32_e32 v0, v0
	v_min_u32_e32 v0, 32, v0
	v_subrev_nc_u32_e32 v1, 28, v0
	v_sub_nc_u32_e32 v0, 29, v0
	v_lshlrev_b64 v[32:33], v1, v[18:19]
; %bb.112:                              ;   in Loop: Header=BB393_11 Depth=1
	s_or_b32 exec_lo, exec_lo, s24
	v_lshlrev_b32_e32 v1, 20, v32
	v_lshlrev_b32_e32 v2, 24, v18
	v_lshl_add_u32 v0, v0, 23, 0x3c000000
	v_and_b32_e32 v1, 0x700000, v1
	v_and_b32_e32 v2, 0x80000000, v2
	v_or3_b32 v115, v1, v2, v0
.LBB393_113:                            ;   in Loop: Header=BB393_11 Depth=1
	s_or_b32 exec_lo, exec_lo, s23
.LBB393_114:                            ;   in Loop: Header=BB393_11 Depth=1
	s_or_b32 exec_lo, exec_lo, s22
.LBB393_115:                            ;   in Loop: Header=BB393_11 Depth=1
	s_or_b32 exec_lo, exec_lo, s6
	v_cmp_ne_u16_sdwa s5, v18, v19 src0_sel:BYTE_1 src1_sel:DWORD
	v_mov_b32_e32 v116, 0
	v_mov_b32_e32 v117, 0
	s_and_saveexec_b32 s6, s5
	s_cbranch_execz .LBB393_123
; %bb.116:                              ;   in Loop: Header=BB393_11 Depth=1
	v_mov_b32_e32 v0, 0x80
	v_bfrev_b32_e32 v117, 1
	v_cmp_ne_u16_sdwa s5, v18, v0 src0_sel:BYTE_1 src1_sel:DWORD
	s_and_saveexec_b32 s22, s5
	s_cbranch_execz .LBB393_122
; %bb.117:                              ;   in Loop: Header=BB393_11 Depth=1
	v_mov_b32_e32 v0, 0xffff
	v_mov_b32_e32 v117, 0x7f800001
	s_mov_b32 s23, exec_lo
	v_and_b32_sdwa v0, v0, v18 dst_sel:DWORD dst_unused:UNUSED_PAD src0_sel:DWORD src1_sel:BYTE_1
	v_and_b32_e32 v1, 0x7f, v0
	v_cmpx_ne_u32_e32 0x7f, v1
	s_cbranch_execz .LBB393_121
; %bb.118:                              ;   in Loop: Header=BB393_11 Depth=1
	v_and_b32_e32 v32, 7, v0
	v_mov_b32_e32 v33, v19
	v_lshrrev_b32_e32 v0, 3, v1
	s_mov_b32 s24, exec_lo
	v_cmpx_gt_u32_e32 8, v1
; %bb.119:                              ;   in Loop: Header=BB393_11 Depth=1
	v_ffbh_u32_e32 v0, v32
	v_min_u32_e32 v0, 32, v0
	v_subrev_nc_u32_e32 v1, 28, v0
	v_sub_nc_u32_e32 v0, 29, v0
	v_lshlrev_b64 v[1:2], v1, v[32:33]
	v_and_b32_e32 v32, 7, v1
; %bb.120:                              ;   in Loop: Header=BB393_11 Depth=1
	s_or_b32 exec_lo, exec_lo, s24
	v_lshlrev_b32_e32 v1, 16, v18
	v_lshlrev_b32_e32 v2, 20, v32
	v_lshl_add_u32 v0, v0, 23, 0x3c000000
	v_and_b32_e32 v1, 0x80000000, v1
	v_or3_b32 v117, v2, v1, v0
.LBB393_121:                            ;   in Loop: Header=BB393_11 Depth=1
	s_or_b32 exec_lo, exec_lo, s23
.LBB393_122:                            ;   in Loop: Header=BB393_11 Depth=1
	s_or_b32 exec_lo, exec_lo, s22
.LBB393_123:                            ;   in Loop: Header=BB393_11 Depth=1
	s_or_b32 exec_lo, exec_lo, s6
	v_mov_b32_e32 v0, 0xff
	s_mov_b32 s6, exec_lo
	v_and_b32_sdwa v0, v31, v0 dst_sel:DWORD dst_unused:UNUSED_PAD src0_sel:WORD_1 src1_sel:DWORD
	v_cmpx_ne_u16_e32 0, v0
	s_cbranch_execz .LBB393_131
; %bb.124:                              ;   in Loop: Header=BB393_11 Depth=1
	v_bfrev_b32_e32 v116, 1
	s_mov_b32 s22, exec_lo
	v_cmpx_ne_u16_e32 0x80, v0
	s_cbranch_execz .LBB393_130
; %bb.125:                              ;   in Loop: Header=BB393_11 Depth=1
	v_bfe_u32 v1, v31, 16, 7
	v_mov_b32_e32 v116, 0x7f800001
	s_mov_b32 s23, exec_lo
	v_cmpx_ne_u32_e32 0x7f, v1
	s_cbranch_execz .LBB393_129
; %bb.126:                              ;   in Loop: Header=BB393_11 Depth=1
	v_mov_b32_e32 v0, 7
	s_mov_b32 s24, exec_lo
	v_and_b32_sdwa v18, v31, v0 dst_sel:DWORD dst_unused:UNUSED_PAD src0_sel:WORD_1 src1_sel:DWORD
	v_mov_b32_e32 v33, v19
	v_lshrrev_b32_e32 v0, 3, v1
	v_mov_b32_e32 v32, v18
	v_cmpx_gt_u32_e32 8, v1
; %bb.127:                              ;   in Loop: Header=BB393_11 Depth=1
	v_ffbh_u32_e32 v0, v18
	v_min_u32_e32 v0, 32, v0
	v_subrev_nc_u32_e32 v1, 28, v0
	v_sub_nc_u32_e32 v0, 29, v0
	v_lshlrev_b64 v[1:2], v1, v[18:19]
	v_and_b32_e32 v32, 7, v1
; %bb.128:                              ;   in Loop: Header=BB393_11 Depth=1
	s_or_b32 exec_lo, exec_lo, s24
	v_mov_b32_e32 v1, 24
	v_lshlrev_b32_e32 v2, 20, v32
	v_lshl_add_u32 v0, v0, 23, 0x3c000000
	v_lshlrev_b32_sdwa v1, v1, v31 dst_sel:DWORD dst_unused:UNUSED_PAD src0_sel:DWORD src1_sel:WORD_1
	v_and_b32_e32 v1, 0x80000000, v1
	v_or3_b32 v116, v2, v1, v0
.LBB393_129:                            ;   in Loop: Header=BB393_11 Depth=1
	s_or_b32 exec_lo, exec_lo, s23
.LBB393_130:                            ;   in Loop: Header=BB393_11 Depth=1
	s_or_b32 exec_lo, exec_lo, s22
.LBB393_131:                            ;   in Loop: Header=BB393_11 Depth=1
	s_or_b32 exec_lo, exec_lo, s6
	v_mov_b32_e32 v119, 0
	v_mov_b32_e32 v118, 0
	s_mov_b32 s6, exec_lo
	v_cmpx_lt_u64_e64 s[8:9], v[30:31]
	s_cbranch_execz .LBB393_139
; %bb.132:                              ;   in Loop: Header=BB393_11 Depth=1
	v_mov_b32_e32 v0, 0x80
	v_bfrev_b32_e32 v118, 1
	v_cmp_ne_u32_sdwa s5, v31, v0 src0_sel:BYTE_3 src1_sel:DWORD
	s_and_saveexec_b32 s22, s5
	s_cbranch_execz .LBB393_138
; %bb.133:                              ;   in Loop: Header=BB393_11 Depth=1
	v_bfe_u32 v1, v31, 24, 7
	v_mov_b32_e32 v118, 0x7f800001
	s_mov_b32 s23, exec_lo
	v_cmpx_ne_u32_e32 0x7f, v1
	s_cbranch_execz .LBB393_137
; %bb.134:                              ;   in Loop: Header=BB393_11 Depth=1
	v_mov_b32_e32 v0, 7
	s_mov_b32 s24, exec_lo
	v_and_b32_sdwa v18, v31, v0 dst_sel:DWORD dst_unused:UNUSED_PAD src0_sel:BYTE_3 src1_sel:DWORD
	v_mov_b32_e32 v33, v19
	v_lshrrev_b32_e32 v0, 3, v1
	v_mov_b32_e32 v32, v18
	v_cmpx_gt_u32_e32 8, v1
; %bb.135:                              ;   in Loop: Header=BB393_11 Depth=1
	v_ffbh_u32_e32 v0, v18
	v_min_u32_e32 v0, 32, v0
	v_subrev_nc_u32_e32 v1, 28, v0
	v_sub_nc_u32_e32 v0, 29, v0
	v_lshlrev_b64 v[1:2], v1, v[18:19]
	v_and_b32_e32 v32, 7, v1
; %bb.136:                              ;   in Loop: Header=BB393_11 Depth=1
	s_or_b32 exec_lo, exec_lo, s24
	v_mov_b32_e32 v1, 24
	v_lshlrev_b32_e32 v2, 20, v32
	v_lshl_add_u32 v0, v0, 23, 0x3c000000
	v_lshlrev_b32_sdwa v1, v1, v31 dst_sel:DWORD dst_unused:UNUSED_PAD src0_sel:DWORD src1_sel:BYTE_3
	v_and_b32_e32 v1, 0x80000000, v1
	v_or3_b32 v118, v2, v1, v0
.LBB393_137:                            ;   in Loop: Header=BB393_11 Depth=1
	s_or_b32 exec_lo, exec_lo, s23
.LBB393_138:                            ;   in Loop: Header=BB393_11 Depth=1
	s_or_b32 exec_lo, exec_lo, s22
.LBB393_139:                            ;   in Loop: Header=BB393_11 Depth=1
	s_or_b32 exec_lo, exec_lo, s6
	flat_load_dwordx2 v[30:31], v[28:29] offset:512
	s_waitcnt vmcnt(0) lgkmcnt(0)
	v_cmp_ne_u16_sdwa s5, v30, v19 src0_sel:BYTE_0 src1_sel:DWORD
	s_and_saveexec_b32 s6, s5
	s_cbranch_execz .LBB393_147
; %bb.140:                              ;   in Loop: Header=BB393_11 Depth=1
	v_mov_b32_e32 v0, 0x80
	v_bfrev_b32_e32 v119, 1
	v_cmp_ne_u16_sdwa s5, v30, v0 src0_sel:BYTE_0 src1_sel:DWORD
	s_and_saveexec_b32 s22, s5
	s_cbranch_execz .LBB393_146
; %bb.141:                              ;   in Loop: Header=BB393_11 Depth=1
	v_and_b32_e32 v1, 0x7f, v30
	v_mov_b32_e32 v119, 0x7f800001
	s_mov_b32 s23, exec_lo
	v_cmpx_ne_u32_e32 0x7f, v1
	s_cbranch_execz .LBB393_145
; %bb.142:                              ;   in Loop: Header=BB393_11 Depth=1
	v_mov_b32_e32 v33, v31
	v_lshrrev_b32_e32 v0, 3, v1
	v_mov_b32_e32 v32, v30
	s_mov_b32 s24, exec_lo
	v_cmpx_gt_u32_e32 8, v1
; %bb.143:                              ;   in Loop: Header=BB393_11 Depth=1
	v_and_b32_e32 v0, 7, v30
	v_ffbh_u32_e32 v0, v0
	v_min_u32_e32 v0, 32, v0
	v_subrev_nc_u32_e32 v1, 28, v0
	v_sub_nc_u32_e32 v0, 29, v0
	v_lshlrev_b64 v[32:33], v1, v[30:31]
; %bb.144:                              ;   in Loop: Header=BB393_11 Depth=1
	s_or_b32 exec_lo, exec_lo, s24
	v_lshlrev_b32_e32 v1, 20, v32
	v_lshlrev_b32_e32 v2, 24, v30
	v_lshl_add_u32 v0, v0, 23, 0x3c000000
	v_and_b32_e32 v1, 0x700000, v1
	v_and_b32_e32 v2, 0x80000000, v2
	v_or3_b32 v119, v1, v2, v0
.LBB393_145:                            ;   in Loop: Header=BB393_11 Depth=1
	s_or_b32 exec_lo, exec_lo, s23
.LBB393_146:                            ;   in Loop: Header=BB393_11 Depth=1
	s_or_b32 exec_lo, exec_lo, s22
.LBB393_147:                            ;   in Loop: Header=BB393_11 Depth=1
	s_or_b32 exec_lo, exec_lo, s6
	v_cmp_ne_u16_sdwa s5, v30, v19 src0_sel:BYTE_1 src1_sel:DWORD
	v_mov_b32_e32 v41, 0
	v_mov_b32_e32 v40, 0
	s_and_saveexec_b32 s6, s5
	s_cbranch_execz .LBB393_155
; %bb.148:                              ;   in Loop: Header=BB393_11 Depth=1
	v_mov_b32_e32 v0, 0x80
	v_bfrev_b32_e32 v40, 1
	v_cmp_ne_u16_sdwa s5, v30, v0 src0_sel:BYTE_1 src1_sel:DWORD
	s_and_saveexec_b32 s22, s5
	s_cbranch_execz .LBB393_154
; %bb.149:                              ;   in Loop: Header=BB393_11 Depth=1
	v_mov_b32_e32 v0, 0xffff
	v_mov_b32_e32 v40, 0x7f800001
	s_mov_b32 s23, exec_lo
	v_and_b32_sdwa v0, v0, v30 dst_sel:DWORD dst_unused:UNUSED_PAD src0_sel:DWORD src1_sel:BYTE_1
	v_and_b32_e32 v1, 0x7f, v0
	v_cmpx_ne_u32_e32 0x7f, v1
	s_cbranch_execz .LBB393_153
; %bb.150:                              ;   in Loop: Header=BB393_11 Depth=1
	v_and_b32_e32 v18, 7, v0
	v_mov_b32_e32 v33, v19
	v_lshrrev_b32_e32 v0, 3, v1
	s_mov_b32 s24, exec_lo
	v_mov_b32_e32 v32, v18
	v_cmpx_gt_u32_e32 8, v1
; %bb.151:                              ;   in Loop: Header=BB393_11 Depth=1
	v_ffbh_u32_e32 v0, v18
	v_min_u32_e32 v0, 32, v0
	v_subrev_nc_u32_e32 v1, 28, v0
	v_sub_nc_u32_e32 v0, 29, v0
	v_lshlrev_b64 v[1:2], v1, v[18:19]
	v_and_b32_e32 v32, 7, v1
; %bb.152:                              ;   in Loop: Header=BB393_11 Depth=1
	s_or_b32 exec_lo, exec_lo, s24
	v_lshlrev_b32_e32 v1, 16, v30
	v_lshlrev_b32_e32 v2, 20, v32
	v_lshl_add_u32 v0, v0, 23, 0x3c000000
	v_and_b32_e32 v1, 0x80000000, v1
	v_or3_b32 v40, v2, v1, v0
.LBB393_153:                            ;   in Loop: Header=BB393_11 Depth=1
	s_or_b32 exec_lo, exec_lo, s23
.LBB393_154:                            ;   in Loop: Header=BB393_11 Depth=1
	s_or_b32 exec_lo, exec_lo, s22
.LBB393_155:                            ;   in Loop: Header=BB393_11 Depth=1
	s_or_b32 exec_lo, exec_lo, s6
	v_mov_b32_e32 v0, 0xff
	s_mov_b32 s6, exec_lo
	v_and_b32_sdwa v0, v30, v0 dst_sel:DWORD dst_unused:UNUSED_PAD src0_sel:WORD_1 src1_sel:DWORD
	v_cmpx_ne_u16_e32 0, v0
	s_cbranch_execz .LBB393_163
; %bb.156:                              ;   in Loop: Header=BB393_11 Depth=1
	v_bfrev_b32_e32 v41, 1
	s_mov_b32 s22, exec_lo
	v_cmpx_ne_u16_e32 0x80, v0
	s_cbranch_execz .LBB393_162
; %bb.157:                              ;   in Loop: Header=BB393_11 Depth=1
	v_bfe_u32 v1, v30, 16, 7
	v_mov_b32_e32 v41, 0x7f800001
	s_mov_b32 s23, exec_lo
	v_cmpx_ne_u32_e32 0x7f, v1
	s_cbranch_execz .LBB393_161
; %bb.158:                              ;   in Loop: Header=BB393_11 Depth=1
	v_mov_b32_e32 v0, 7
	s_mov_b32 s24, exec_lo
	v_and_b32_sdwa v18, v30, v0 dst_sel:DWORD dst_unused:UNUSED_PAD src0_sel:WORD_1 src1_sel:DWORD
	v_mov_b32_e32 v33, v19
	v_lshrrev_b32_e32 v0, 3, v1
	v_mov_b32_e32 v32, v18
	v_cmpx_gt_u32_e32 8, v1
; %bb.159:                              ;   in Loop: Header=BB393_11 Depth=1
	v_ffbh_u32_e32 v0, v18
	v_min_u32_e32 v0, 32, v0
	v_subrev_nc_u32_e32 v1, 28, v0
	v_sub_nc_u32_e32 v0, 29, v0
	v_lshlrev_b64 v[1:2], v1, v[18:19]
	v_and_b32_e32 v32, 7, v1
; %bb.160:                              ;   in Loop: Header=BB393_11 Depth=1
	s_or_b32 exec_lo, exec_lo, s24
	v_mov_b32_e32 v1, 24
	v_lshlrev_b32_e32 v2, 20, v32
	v_lshl_add_u32 v0, v0, 23, 0x3c000000
	v_lshlrev_b32_sdwa v1, v1, v30 dst_sel:DWORD dst_unused:UNUSED_PAD src0_sel:DWORD src1_sel:WORD_1
	v_and_b32_e32 v1, 0x80000000, v1
	v_or3_b32 v41, v2, v1, v0
.LBB393_161:                            ;   in Loop: Header=BB393_11 Depth=1
	s_or_b32 exec_lo, exec_lo, s23
.LBB393_162:                            ;   in Loop: Header=BB393_11 Depth=1
	s_or_b32 exec_lo, exec_lo, s22
.LBB393_163:                            ;   in Loop: Header=BB393_11 Depth=1
	s_or_b32 exec_lo, exec_lo, s6
	v_mov_b32_e32 v43, 0
	v_mov_b32_e32 v42, 0
	s_mov_b32 s6, exec_lo
	v_cmpx_lt_u32_e32 0xffffff, v30
	s_cbranch_execz .LBB393_171
; %bb.164:                              ;   in Loop: Header=BB393_11 Depth=1
	v_mov_b32_e32 v0, 0x80
	v_bfrev_b32_e32 v42, 1
	v_cmp_ne_u32_sdwa s5, v30, v0 src0_sel:BYTE_3 src1_sel:DWORD
	s_and_saveexec_b32 s22, s5
	s_cbranch_execz .LBB393_170
; %bb.165:                              ;   in Loop: Header=BB393_11 Depth=1
	v_bfe_u32 v1, v30, 24, 7
	v_mov_b32_e32 v42, 0x7f800001
	s_mov_b32 s23, exec_lo
	v_cmpx_ne_u32_e32 0x7f, v1
	s_cbranch_execz .LBB393_169
; %bb.166:                              ;   in Loop: Header=BB393_11 Depth=1
	v_mov_b32_e32 v0, 7
	s_mov_b32 s24, exec_lo
	v_and_b32_sdwa v18, v30, v0 dst_sel:DWORD dst_unused:UNUSED_PAD src0_sel:BYTE_3 src1_sel:DWORD
	v_mov_b32_e32 v33, v19
	v_lshrrev_b32_e32 v0, 3, v1
	v_mov_b32_e32 v32, v18
	v_cmpx_gt_u32_e32 8, v1
; %bb.167:                              ;   in Loop: Header=BB393_11 Depth=1
	v_ffbh_u32_e32 v0, v18
	v_min_u32_e32 v0, 32, v0
	v_subrev_nc_u32_e32 v1, 28, v0
	v_sub_nc_u32_e32 v0, 29, v0
	v_lshlrev_b64 v[1:2], v1, v[18:19]
	v_and_b32_e32 v32, 7, v1
; %bb.168:                              ;   in Loop: Header=BB393_11 Depth=1
	s_or_b32 exec_lo, exec_lo, s24
	v_mov_b32_e32 v1, 24
	v_lshlrev_b32_e32 v2, 20, v32
	v_lshl_add_u32 v0, v0, 23, 0x3c000000
	v_lshlrev_b32_sdwa v1, v1, v30 dst_sel:DWORD dst_unused:UNUSED_PAD src0_sel:DWORD src1_sel:BYTE_3
	v_and_b32_e32 v1, 0x80000000, v1
	v_or3_b32 v42, v2, v1, v0
.LBB393_169:                            ;   in Loop: Header=BB393_11 Depth=1
	s_or_b32 exec_lo, exec_lo, s23
.LBB393_170:                            ;   in Loop: Header=BB393_11 Depth=1
	s_or_b32 exec_lo, exec_lo, s22
.LBB393_171:                            ;   in Loop: Header=BB393_11 Depth=1
	s_or_b32 exec_lo, exec_lo, s6
	v_mov_b32_e32 v18, v31
	v_cmp_ne_u16_sdwa s5, v31, v19 src0_sel:BYTE_0 src1_sel:DWORD
	s_and_saveexec_b32 s6, s5
	s_cbranch_execz .LBB393_179
; %bb.172:                              ;   in Loop: Header=BB393_11 Depth=1
	v_mov_b32_e32 v0, 0x80
	v_bfrev_b32_e32 v43, 1
	v_cmp_ne_u16_sdwa s5, v31, v0 src0_sel:BYTE_0 src1_sel:DWORD
	s_and_saveexec_b32 s22, s5
	s_cbranch_execz .LBB393_178
; %bb.173:                              ;   in Loop: Header=BB393_11 Depth=1
	v_and_b32_e32 v1, 0x7f, v31
	v_mov_b32_e32 v43, 0x7f800001
	s_mov_b32 s23, exec_lo
	v_cmpx_ne_u32_e32 0x7f, v1
	s_cbranch_execz .LBB393_177
; %bb.174:                              ;   in Loop: Header=BB393_11 Depth=1
	v_mov_b32_e32 v33, v19
	v_lshrrev_b32_e32 v0, 3, v1
	v_mov_b32_e32 v32, v18
	s_mov_b32 s24, exec_lo
	v_cmpx_gt_u32_e32 8, v1
; %bb.175:                              ;   in Loop: Header=BB393_11 Depth=1
	v_and_b32_e32 v0, 7, v31
	v_ffbh_u32_e32 v0, v0
	v_min_u32_e32 v0, 32, v0
	v_subrev_nc_u32_e32 v1, 28, v0
	v_sub_nc_u32_e32 v0, 29, v0
	v_lshlrev_b64 v[32:33], v1, v[18:19]
; %bb.176:                              ;   in Loop: Header=BB393_11 Depth=1
	s_or_b32 exec_lo, exec_lo, s24
	v_lshlrev_b32_e32 v1, 20, v32
	v_lshlrev_b32_e32 v2, 24, v18
	v_lshl_add_u32 v0, v0, 23, 0x3c000000
	v_and_b32_e32 v1, 0x700000, v1
	v_and_b32_e32 v2, 0x80000000, v2
	v_or3_b32 v43, v1, v2, v0
.LBB393_177:                            ;   in Loop: Header=BB393_11 Depth=1
	s_or_b32 exec_lo, exec_lo, s23
.LBB393_178:                            ;   in Loop: Header=BB393_11 Depth=1
	s_or_b32 exec_lo, exec_lo, s22
.LBB393_179:                            ;   in Loop: Header=BB393_11 Depth=1
	s_or_b32 exec_lo, exec_lo, s6
	v_cmp_ne_u16_sdwa s5, v18, v19 src0_sel:BYTE_1 src1_sel:DWORD
	v_mov_b32_e32 v44, 0
	v_mov_b32_e32 v45, 0
	s_and_saveexec_b32 s6, s5
	s_cbranch_execz .LBB393_187
; %bb.180:                              ;   in Loop: Header=BB393_11 Depth=1
	v_mov_b32_e32 v0, 0x80
	v_bfrev_b32_e32 v45, 1
	v_cmp_ne_u16_sdwa s5, v18, v0 src0_sel:BYTE_1 src1_sel:DWORD
	s_and_saveexec_b32 s22, s5
	s_cbranch_execz .LBB393_186
; %bb.181:                              ;   in Loop: Header=BB393_11 Depth=1
	v_mov_b32_e32 v0, 0xffff
	v_mov_b32_e32 v45, 0x7f800001
	s_mov_b32 s23, exec_lo
	v_and_b32_sdwa v0, v0, v18 dst_sel:DWORD dst_unused:UNUSED_PAD src0_sel:DWORD src1_sel:BYTE_1
	v_and_b32_e32 v1, 0x7f, v0
	v_cmpx_ne_u32_e32 0x7f, v1
	s_cbranch_execz .LBB393_185
; %bb.182:                              ;   in Loop: Header=BB393_11 Depth=1
	v_and_b32_e32 v32, 7, v0
	v_mov_b32_e32 v33, v19
	v_lshrrev_b32_e32 v0, 3, v1
	s_mov_b32 s24, exec_lo
	v_cmpx_gt_u32_e32 8, v1
; %bb.183:                              ;   in Loop: Header=BB393_11 Depth=1
	v_ffbh_u32_e32 v0, v32
	v_min_u32_e32 v0, 32, v0
	v_subrev_nc_u32_e32 v1, 28, v0
	v_sub_nc_u32_e32 v0, 29, v0
	v_lshlrev_b64 v[1:2], v1, v[32:33]
	v_and_b32_e32 v32, 7, v1
; %bb.184:                              ;   in Loop: Header=BB393_11 Depth=1
	s_or_b32 exec_lo, exec_lo, s24
	v_lshlrev_b32_e32 v1, 16, v18
	v_lshlrev_b32_e32 v2, 20, v32
	v_lshl_add_u32 v0, v0, 23, 0x3c000000
	v_and_b32_e32 v1, 0x80000000, v1
	v_or3_b32 v45, v2, v1, v0
.LBB393_185:                            ;   in Loop: Header=BB393_11 Depth=1
	s_or_b32 exec_lo, exec_lo, s23
.LBB393_186:                            ;   in Loop: Header=BB393_11 Depth=1
	s_or_b32 exec_lo, exec_lo, s22
.LBB393_187:                            ;   in Loop: Header=BB393_11 Depth=1
	s_or_b32 exec_lo, exec_lo, s6
	v_mov_b32_e32 v0, 0xff
	s_mov_b32 s6, exec_lo
	v_and_b32_sdwa v0, v31, v0 dst_sel:DWORD dst_unused:UNUSED_PAD src0_sel:WORD_1 src1_sel:DWORD
	v_cmpx_ne_u16_e32 0, v0
	s_cbranch_execz .LBB393_195
; %bb.188:                              ;   in Loop: Header=BB393_11 Depth=1
	v_bfrev_b32_e32 v44, 1
	s_mov_b32 s22, exec_lo
	v_cmpx_ne_u16_e32 0x80, v0
	s_cbranch_execz .LBB393_194
; %bb.189:                              ;   in Loop: Header=BB393_11 Depth=1
	v_bfe_u32 v1, v31, 16, 7
	v_mov_b32_e32 v44, 0x7f800001
	s_mov_b32 s23, exec_lo
	v_cmpx_ne_u32_e32 0x7f, v1
	s_cbranch_execz .LBB393_193
; %bb.190:                              ;   in Loop: Header=BB393_11 Depth=1
	v_mov_b32_e32 v0, 7
	s_mov_b32 s24, exec_lo
	v_and_b32_sdwa v18, v31, v0 dst_sel:DWORD dst_unused:UNUSED_PAD src0_sel:WORD_1 src1_sel:DWORD
	v_mov_b32_e32 v33, v19
	v_lshrrev_b32_e32 v0, 3, v1
	v_mov_b32_e32 v32, v18
	v_cmpx_gt_u32_e32 8, v1
; %bb.191:                              ;   in Loop: Header=BB393_11 Depth=1
	v_ffbh_u32_e32 v0, v18
	v_min_u32_e32 v0, 32, v0
	v_subrev_nc_u32_e32 v1, 28, v0
	v_sub_nc_u32_e32 v0, 29, v0
	v_lshlrev_b64 v[1:2], v1, v[18:19]
	v_and_b32_e32 v32, 7, v1
; %bb.192:                              ;   in Loop: Header=BB393_11 Depth=1
	s_or_b32 exec_lo, exec_lo, s24
	v_mov_b32_e32 v1, 24
	v_lshlrev_b32_e32 v2, 20, v32
	v_lshl_add_u32 v0, v0, 23, 0x3c000000
	v_lshlrev_b32_sdwa v1, v1, v31 dst_sel:DWORD dst_unused:UNUSED_PAD src0_sel:DWORD src1_sel:WORD_1
	v_and_b32_e32 v1, 0x80000000, v1
	v_or3_b32 v44, v2, v1, v0
.LBB393_193:                            ;   in Loop: Header=BB393_11 Depth=1
	s_or_b32 exec_lo, exec_lo, s23
.LBB393_194:                            ;   in Loop: Header=BB393_11 Depth=1
	s_or_b32 exec_lo, exec_lo, s22
.LBB393_195:                            ;   in Loop: Header=BB393_11 Depth=1
	s_or_b32 exec_lo, exec_lo, s6
	v_mov_b32_e32 v47, 0
	v_mov_b32_e32 v46, 0
	s_mov_b32 s6, exec_lo
	v_cmpx_lt_u64_e64 s[8:9], v[30:31]
	s_cbranch_execz .LBB393_203
; %bb.196:                              ;   in Loop: Header=BB393_11 Depth=1
	v_mov_b32_e32 v0, 0x80
	v_bfrev_b32_e32 v46, 1
	v_cmp_ne_u32_sdwa s5, v31, v0 src0_sel:BYTE_3 src1_sel:DWORD
	s_and_saveexec_b32 s22, s5
	s_cbranch_execz .LBB393_202
; %bb.197:                              ;   in Loop: Header=BB393_11 Depth=1
	v_bfe_u32 v1, v31, 24, 7
	v_mov_b32_e32 v46, 0x7f800001
	s_mov_b32 s23, exec_lo
	v_cmpx_ne_u32_e32 0x7f, v1
	s_cbranch_execz .LBB393_201
; %bb.198:                              ;   in Loop: Header=BB393_11 Depth=1
	v_mov_b32_e32 v0, 7
	s_mov_b32 s24, exec_lo
	v_and_b32_sdwa v18, v31, v0 dst_sel:DWORD dst_unused:UNUSED_PAD src0_sel:BYTE_3 src1_sel:DWORD
	v_mov_b32_e32 v33, v19
	v_lshrrev_b32_e32 v0, 3, v1
	v_mov_b32_e32 v32, v18
	v_cmpx_gt_u32_e32 8, v1
; %bb.199:                              ;   in Loop: Header=BB393_11 Depth=1
	v_ffbh_u32_e32 v0, v18
	v_min_u32_e32 v0, 32, v0
	v_subrev_nc_u32_e32 v1, 28, v0
	v_sub_nc_u32_e32 v0, 29, v0
	v_lshlrev_b64 v[1:2], v1, v[18:19]
	v_and_b32_e32 v32, 7, v1
; %bb.200:                              ;   in Loop: Header=BB393_11 Depth=1
	s_or_b32 exec_lo, exec_lo, s24
	v_mov_b32_e32 v1, 24
	v_lshlrev_b32_e32 v2, 20, v32
	v_lshl_add_u32 v0, v0, 23, 0x3c000000
	v_lshlrev_b32_sdwa v1, v1, v31 dst_sel:DWORD dst_unused:UNUSED_PAD src0_sel:DWORD src1_sel:BYTE_3
	v_and_b32_e32 v1, 0x80000000, v1
	v_or3_b32 v46, v2, v1, v0
.LBB393_201:                            ;   in Loop: Header=BB393_11 Depth=1
	s_or_b32 exec_lo, exec_lo, s23
.LBB393_202:                            ;   in Loop: Header=BB393_11 Depth=1
	s_or_b32 exec_lo, exec_lo, s22
.LBB393_203:                            ;   in Loop: Header=BB393_11 Depth=1
	s_or_b32 exec_lo, exec_lo, s6
	flat_load_dwordx2 v[30:31], v[28:29] offset:520
	s_waitcnt vmcnt(0) lgkmcnt(0)
	v_cmp_ne_u16_sdwa s5, v30, v19 src0_sel:BYTE_0 src1_sel:DWORD
	s_and_saveexec_b32 s6, s5
	s_cbranch_execz .LBB393_211
; %bb.204:                              ;   in Loop: Header=BB393_11 Depth=1
	v_mov_b32_e32 v0, 0x80
	v_bfrev_b32_e32 v47, 1
	v_cmp_ne_u16_sdwa s5, v30, v0 src0_sel:BYTE_0 src1_sel:DWORD
	s_and_saveexec_b32 s22, s5
	s_cbranch_execz .LBB393_210
; %bb.205:                              ;   in Loop: Header=BB393_11 Depth=1
	v_and_b32_e32 v1, 0x7f, v30
	v_mov_b32_e32 v47, 0x7f800001
	s_mov_b32 s23, exec_lo
	v_cmpx_ne_u32_e32 0x7f, v1
	s_cbranch_execz .LBB393_209
; %bb.206:                              ;   in Loop: Header=BB393_11 Depth=1
	v_mov_b32_e32 v33, v31
	v_lshrrev_b32_e32 v0, 3, v1
	v_mov_b32_e32 v32, v30
	s_mov_b32 s24, exec_lo
	v_cmpx_gt_u32_e32 8, v1
; %bb.207:                              ;   in Loop: Header=BB393_11 Depth=1
	v_and_b32_e32 v0, 7, v30
	v_ffbh_u32_e32 v0, v0
	v_min_u32_e32 v0, 32, v0
	v_subrev_nc_u32_e32 v1, 28, v0
	v_sub_nc_u32_e32 v0, 29, v0
	v_lshlrev_b64 v[32:33], v1, v[30:31]
; %bb.208:                              ;   in Loop: Header=BB393_11 Depth=1
	s_or_b32 exec_lo, exec_lo, s24
	v_lshlrev_b32_e32 v1, 20, v32
	v_lshlrev_b32_e32 v2, 24, v30
	v_lshl_add_u32 v0, v0, 23, 0x3c000000
	v_and_b32_e32 v1, 0x700000, v1
	v_and_b32_e32 v2, 0x80000000, v2
	v_or3_b32 v47, v1, v2, v0
.LBB393_209:                            ;   in Loop: Header=BB393_11 Depth=1
	s_or_b32 exec_lo, exec_lo, s23
.LBB393_210:                            ;   in Loop: Header=BB393_11 Depth=1
	s_or_b32 exec_lo, exec_lo, s22
.LBB393_211:                            ;   in Loop: Header=BB393_11 Depth=1
	s_or_b32 exec_lo, exec_lo, s6
	v_cmp_ne_u16_sdwa s5, v30, v19 src0_sel:BYTE_1 src1_sel:DWORD
	v_mov_b32_e32 v57, 0
	v_mov_b32_e32 v56, 0
	s_and_saveexec_b32 s6, s5
	s_cbranch_execz .LBB393_219
; %bb.212:                              ;   in Loop: Header=BB393_11 Depth=1
	v_mov_b32_e32 v0, 0x80
	v_bfrev_b32_e32 v56, 1
	v_cmp_ne_u16_sdwa s5, v30, v0 src0_sel:BYTE_1 src1_sel:DWORD
	s_and_saveexec_b32 s22, s5
	s_cbranch_execz .LBB393_218
; %bb.213:                              ;   in Loop: Header=BB393_11 Depth=1
	v_mov_b32_e32 v0, 0xffff
	v_mov_b32_e32 v56, 0x7f800001
	s_mov_b32 s23, exec_lo
	v_and_b32_sdwa v0, v0, v30 dst_sel:DWORD dst_unused:UNUSED_PAD src0_sel:DWORD src1_sel:BYTE_1
	v_and_b32_e32 v1, 0x7f, v0
	v_cmpx_ne_u32_e32 0x7f, v1
	s_cbranch_execz .LBB393_217
; %bb.214:                              ;   in Loop: Header=BB393_11 Depth=1
	v_and_b32_e32 v18, 7, v0
	v_mov_b32_e32 v33, v19
	v_lshrrev_b32_e32 v0, 3, v1
	s_mov_b32 s24, exec_lo
	v_mov_b32_e32 v32, v18
	v_cmpx_gt_u32_e32 8, v1
; %bb.215:                              ;   in Loop: Header=BB393_11 Depth=1
	v_ffbh_u32_e32 v0, v18
	v_min_u32_e32 v0, 32, v0
	v_subrev_nc_u32_e32 v1, 28, v0
	v_sub_nc_u32_e32 v0, 29, v0
	v_lshlrev_b64 v[1:2], v1, v[18:19]
	v_and_b32_e32 v32, 7, v1
; %bb.216:                              ;   in Loop: Header=BB393_11 Depth=1
	s_or_b32 exec_lo, exec_lo, s24
	v_lshlrev_b32_e32 v1, 16, v30
	v_lshlrev_b32_e32 v2, 20, v32
	v_lshl_add_u32 v0, v0, 23, 0x3c000000
	v_and_b32_e32 v1, 0x80000000, v1
	v_or3_b32 v56, v2, v1, v0
.LBB393_217:                            ;   in Loop: Header=BB393_11 Depth=1
	s_or_b32 exec_lo, exec_lo, s23
.LBB393_218:                            ;   in Loop: Header=BB393_11 Depth=1
	s_or_b32 exec_lo, exec_lo, s22
.LBB393_219:                            ;   in Loop: Header=BB393_11 Depth=1
	s_or_b32 exec_lo, exec_lo, s6
	v_mov_b32_e32 v0, 0xff
	s_mov_b32 s6, exec_lo
	v_and_b32_sdwa v0, v30, v0 dst_sel:DWORD dst_unused:UNUSED_PAD src0_sel:WORD_1 src1_sel:DWORD
	v_cmpx_ne_u16_e32 0, v0
	s_cbranch_execz .LBB393_227
; %bb.220:                              ;   in Loop: Header=BB393_11 Depth=1
	v_bfrev_b32_e32 v57, 1
	s_mov_b32 s22, exec_lo
	v_cmpx_ne_u16_e32 0x80, v0
	s_cbranch_execz .LBB393_226
; %bb.221:                              ;   in Loop: Header=BB393_11 Depth=1
	v_bfe_u32 v1, v30, 16, 7
	v_mov_b32_e32 v57, 0x7f800001
	s_mov_b32 s23, exec_lo
	v_cmpx_ne_u32_e32 0x7f, v1
	s_cbranch_execz .LBB393_225
; %bb.222:                              ;   in Loop: Header=BB393_11 Depth=1
	v_mov_b32_e32 v0, 7
	s_mov_b32 s24, exec_lo
	v_and_b32_sdwa v18, v30, v0 dst_sel:DWORD dst_unused:UNUSED_PAD src0_sel:WORD_1 src1_sel:DWORD
	v_mov_b32_e32 v33, v19
	v_lshrrev_b32_e32 v0, 3, v1
	v_mov_b32_e32 v32, v18
	v_cmpx_gt_u32_e32 8, v1
; %bb.223:                              ;   in Loop: Header=BB393_11 Depth=1
	v_ffbh_u32_e32 v0, v18
	v_min_u32_e32 v0, 32, v0
	v_subrev_nc_u32_e32 v1, 28, v0
	v_sub_nc_u32_e32 v0, 29, v0
	v_lshlrev_b64 v[1:2], v1, v[18:19]
	v_and_b32_e32 v32, 7, v1
; %bb.224:                              ;   in Loop: Header=BB393_11 Depth=1
	s_or_b32 exec_lo, exec_lo, s24
	v_mov_b32_e32 v1, 24
	v_lshlrev_b32_e32 v2, 20, v32
	v_lshl_add_u32 v0, v0, 23, 0x3c000000
	v_lshlrev_b32_sdwa v1, v1, v30 dst_sel:DWORD dst_unused:UNUSED_PAD src0_sel:DWORD src1_sel:WORD_1
	v_and_b32_e32 v1, 0x80000000, v1
	v_or3_b32 v57, v2, v1, v0
.LBB393_225:                            ;   in Loop: Header=BB393_11 Depth=1
	s_or_b32 exec_lo, exec_lo, s23
.LBB393_226:                            ;   in Loop: Header=BB393_11 Depth=1
	s_or_b32 exec_lo, exec_lo, s22
.LBB393_227:                            ;   in Loop: Header=BB393_11 Depth=1
	s_or_b32 exec_lo, exec_lo, s6
	v_mov_b32_e32 v59, 0
	v_mov_b32_e32 v58, 0
	s_mov_b32 s6, exec_lo
	v_cmpx_lt_u32_e32 0xffffff, v30
	s_cbranch_execz .LBB393_235
; %bb.228:                              ;   in Loop: Header=BB393_11 Depth=1
	v_mov_b32_e32 v0, 0x80
	v_bfrev_b32_e32 v58, 1
	v_cmp_ne_u32_sdwa s5, v30, v0 src0_sel:BYTE_3 src1_sel:DWORD
	s_and_saveexec_b32 s22, s5
	s_cbranch_execz .LBB393_234
; %bb.229:                              ;   in Loop: Header=BB393_11 Depth=1
	v_bfe_u32 v1, v30, 24, 7
	v_mov_b32_e32 v58, 0x7f800001
	s_mov_b32 s23, exec_lo
	v_cmpx_ne_u32_e32 0x7f, v1
	s_cbranch_execz .LBB393_233
; %bb.230:                              ;   in Loop: Header=BB393_11 Depth=1
	v_mov_b32_e32 v0, 7
	s_mov_b32 s24, exec_lo
	v_and_b32_sdwa v18, v30, v0 dst_sel:DWORD dst_unused:UNUSED_PAD src0_sel:BYTE_3 src1_sel:DWORD
	v_mov_b32_e32 v33, v19
	v_lshrrev_b32_e32 v0, 3, v1
	v_mov_b32_e32 v32, v18
	v_cmpx_gt_u32_e32 8, v1
; %bb.231:                              ;   in Loop: Header=BB393_11 Depth=1
	v_ffbh_u32_e32 v0, v18
	v_min_u32_e32 v0, 32, v0
	v_subrev_nc_u32_e32 v1, 28, v0
	v_sub_nc_u32_e32 v0, 29, v0
	v_lshlrev_b64 v[1:2], v1, v[18:19]
	v_and_b32_e32 v32, 7, v1
; %bb.232:                              ;   in Loop: Header=BB393_11 Depth=1
	s_or_b32 exec_lo, exec_lo, s24
	v_mov_b32_e32 v1, 24
	v_lshlrev_b32_e32 v2, 20, v32
	v_lshl_add_u32 v0, v0, 23, 0x3c000000
	v_lshlrev_b32_sdwa v1, v1, v30 dst_sel:DWORD dst_unused:UNUSED_PAD src0_sel:DWORD src1_sel:BYTE_3
	v_and_b32_e32 v1, 0x80000000, v1
	v_or3_b32 v58, v2, v1, v0
.LBB393_233:                            ;   in Loop: Header=BB393_11 Depth=1
	s_or_b32 exec_lo, exec_lo, s23
.LBB393_234:                            ;   in Loop: Header=BB393_11 Depth=1
	s_or_b32 exec_lo, exec_lo, s22
.LBB393_235:                            ;   in Loop: Header=BB393_11 Depth=1
	s_or_b32 exec_lo, exec_lo, s6
	v_mov_b32_e32 v18, v31
	v_cmp_ne_u16_sdwa s5, v31, v19 src0_sel:BYTE_0 src1_sel:DWORD
	s_and_saveexec_b32 s6, s5
	s_cbranch_execz .LBB393_243
; %bb.236:                              ;   in Loop: Header=BB393_11 Depth=1
	v_mov_b32_e32 v0, 0x80
	v_bfrev_b32_e32 v59, 1
	v_cmp_ne_u16_sdwa s5, v31, v0 src0_sel:BYTE_0 src1_sel:DWORD
	s_and_saveexec_b32 s22, s5
	s_cbranch_execz .LBB393_242
; %bb.237:                              ;   in Loop: Header=BB393_11 Depth=1
	v_and_b32_e32 v1, 0x7f, v31
	v_mov_b32_e32 v59, 0x7f800001
	s_mov_b32 s23, exec_lo
	v_cmpx_ne_u32_e32 0x7f, v1
	s_cbranch_execz .LBB393_241
; %bb.238:                              ;   in Loop: Header=BB393_11 Depth=1
	v_mov_b32_e32 v33, v19
	v_lshrrev_b32_e32 v0, 3, v1
	v_mov_b32_e32 v32, v18
	s_mov_b32 s24, exec_lo
	v_cmpx_gt_u32_e32 8, v1
; %bb.239:                              ;   in Loop: Header=BB393_11 Depth=1
	v_and_b32_e32 v0, 7, v31
	v_ffbh_u32_e32 v0, v0
	v_min_u32_e32 v0, 32, v0
	v_subrev_nc_u32_e32 v1, 28, v0
	v_sub_nc_u32_e32 v0, 29, v0
	v_lshlrev_b64 v[32:33], v1, v[18:19]
; %bb.240:                              ;   in Loop: Header=BB393_11 Depth=1
	s_or_b32 exec_lo, exec_lo, s24
	v_lshlrev_b32_e32 v1, 20, v32
	v_lshlrev_b32_e32 v2, 24, v18
	v_lshl_add_u32 v0, v0, 23, 0x3c000000
	v_and_b32_e32 v1, 0x700000, v1
	v_and_b32_e32 v2, 0x80000000, v2
	v_or3_b32 v59, v1, v2, v0
.LBB393_241:                            ;   in Loop: Header=BB393_11 Depth=1
	s_or_b32 exec_lo, exec_lo, s23
.LBB393_242:                            ;   in Loop: Header=BB393_11 Depth=1
	s_or_b32 exec_lo, exec_lo, s22
.LBB393_243:                            ;   in Loop: Header=BB393_11 Depth=1
	s_or_b32 exec_lo, exec_lo, s6
	v_cmp_ne_u16_sdwa s5, v18, v19 src0_sel:BYTE_1 src1_sel:DWORD
	v_mov_b32_e32 v60, 0
	v_mov_b32_e32 v61, 0
	s_and_saveexec_b32 s6, s5
	s_cbranch_execz .LBB393_251
; %bb.244:                              ;   in Loop: Header=BB393_11 Depth=1
	v_mov_b32_e32 v0, 0x80
	v_bfrev_b32_e32 v61, 1
	v_cmp_ne_u16_sdwa s5, v18, v0 src0_sel:BYTE_1 src1_sel:DWORD
	s_and_saveexec_b32 s22, s5
	s_cbranch_execz .LBB393_250
; %bb.245:                              ;   in Loop: Header=BB393_11 Depth=1
	v_mov_b32_e32 v0, 0xffff
	v_mov_b32_e32 v61, 0x7f800001
	s_mov_b32 s23, exec_lo
	v_and_b32_sdwa v0, v0, v18 dst_sel:DWORD dst_unused:UNUSED_PAD src0_sel:DWORD src1_sel:BYTE_1
	v_and_b32_e32 v1, 0x7f, v0
	v_cmpx_ne_u32_e32 0x7f, v1
	s_cbranch_execz .LBB393_249
; %bb.246:                              ;   in Loop: Header=BB393_11 Depth=1
	v_and_b32_e32 v32, 7, v0
	v_mov_b32_e32 v33, v19
	v_lshrrev_b32_e32 v0, 3, v1
	s_mov_b32 s24, exec_lo
	v_cmpx_gt_u32_e32 8, v1
; %bb.247:                              ;   in Loop: Header=BB393_11 Depth=1
	v_ffbh_u32_e32 v0, v32
	v_min_u32_e32 v0, 32, v0
	v_subrev_nc_u32_e32 v1, 28, v0
	v_sub_nc_u32_e32 v0, 29, v0
	v_lshlrev_b64 v[1:2], v1, v[32:33]
	v_and_b32_e32 v32, 7, v1
; %bb.248:                              ;   in Loop: Header=BB393_11 Depth=1
	s_or_b32 exec_lo, exec_lo, s24
	v_lshlrev_b32_e32 v1, 16, v18
	v_lshlrev_b32_e32 v2, 20, v32
	v_lshl_add_u32 v0, v0, 23, 0x3c000000
	v_and_b32_e32 v1, 0x80000000, v1
	v_or3_b32 v61, v2, v1, v0
.LBB393_249:                            ;   in Loop: Header=BB393_11 Depth=1
	s_or_b32 exec_lo, exec_lo, s23
.LBB393_250:                            ;   in Loop: Header=BB393_11 Depth=1
	s_or_b32 exec_lo, exec_lo, s22
.LBB393_251:                            ;   in Loop: Header=BB393_11 Depth=1
	s_or_b32 exec_lo, exec_lo, s6
	v_mov_b32_e32 v0, 0xff
	s_mov_b32 s6, exec_lo
	v_and_b32_sdwa v0, v31, v0 dst_sel:DWORD dst_unused:UNUSED_PAD src0_sel:WORD_1 src1_sel:DWORD
	v_cmpx_ne_u16_e32 0, v0
	s_cbranch_execz .LBB393_259
; %bb.252:                              ;   in Loop: Header=BB393_11 Depth=1
	v_bfrev_b32_e32 v60, 1
	s_mov_b32 s22, exec_lo
	v_cmpx_ne_u16_e32 0x80, v0
	s_cbranch_execz .LBB393_258
; %bb.253:                              ;   in Loop: Header=BB393_11 Depth=1
	v_bfe_u32 v1, v31, 16, 7
	v_mov_b32_e32 v60, 0x7f800001
	s_mov_b32 s23, exec_lo
	v_cmpx_ne_u32_e32 0x7f, v1
	s_cbranch_execz .LBB393_257
; %bb.254:                              ;   in Loop: Header=BB393_11 Depth=1
	v_mov_b32_e32 v0, 7
	s_mov_b32 s24, exec_lo
	v_and_b32_sdwa v18, v31, v0 dst_sel:DWORD dst_unused:UNUSED_PAD src0_sel:WORD_1 src1_sel:DWORD
	v_mov_b32_e32 v33, v19
	v_lshrrev_b32_e32 v0, 3, v1
	v_mov_b32_e32 v32, v18
	v_cmpx_gt_u32_e32 8, v1
; %bb.255:                              ;   in Loop: Header=BB393_11 Depth=1
	v_ffbh_u32_e32 v0, v18
	v_min_u32_e32 v0, 32, v0
	v_subrev_nc_u32_e32 v1, 28, v0
	v_sub_nc_u32_e32 v0, 29, v0
	v_lshlrev_b64 v[1:2], v1, v[18:19]
	v_and_b32_e32 v32, 7, v1
; %bb.256:                              ;   in Loop: Header=BB393_11 Depth=1
	s_or_b32 exec_lo, exec_lo, s24
	v_mov_b32_e32 v1, 24
	v_lshlrev_b32_e32 v2, 20, v32
	v_lshl_add_u32 v0, v0, 23, 0x3c000000
	v_lshlrev_b32_sdwa v1, v1, v31 dst_sel:DWORD dst_unused:UNUSED_PAD src0_sel:DWORD src1_sel:WORD_1
	v_and_b32_e32 v1, 0x80000000, v1
	v_or3_b32 v60, v2, v1, v0
.LBB393_257:                            ;   in Loop: Header=BB393_11 Depth=1
	s_or_b32 exec_lo, exec_lo, s23
.LBB393_258:                            ;   in Loop: Header=BB393_11 Depth=1
	s_or_b32 exec_lo, exec_lo, s22
.LBB393_259:                            ;   in Loop: Header=BB393_11 Depth=1
	s_or_b32 exec_lo, exec_lo, s6
	v_mov_b32_e32 v63, 0
	v_mov_b32_e32 v62, 0
	s_mov_b32 s6, exec_lo
	v_cmpx_lt_u64_e64 s[8:9], v[30:31]
	s_cbranch_execz .LBB393_267
; %bb.260:                              ;   in Loop: Header=BB393_11 Depth=1
	v_mov_b32_e32 v0, 0x80
	v_bfrev_b32_e32 v62, 1
	v_cmp_ne_u32_sdwa s5, v31, v0 src0_sel:BYTE_3 src1_sel:DWORD
	s_and_saveexec_b32 s22, s5
	s_cbranch_execz .LBB393_266
; %bb.261:                              ;   in Loop: Header=BB393_11 Depth=1
	v_bfe_u32 v1, v31, 24, 7
	v_mov_b32_e32 v62, 0x7f800001
	s_mov_b32 s23, exec_lo
	v_cmpx_ne_u32_e32 0x7f, v1
	s_cbranch_execz .LBB393_265
; %bb.262:                              ;   in Loop: Header=BB393_11 Depth=1
	v_mov_b32_e32 v0, 7
	s_mov_b32 s24, exec_lo
	v_and_b32_sdwa v18, v31, v0 dst_sel:DWORD dst_unused:UNUSED_PAD src0_sel:BYTE_3 src1_sel:DWORD
	v_mov_b32_e32 v33, v19
	v_lshrrev_b32_e32 v0, 3, v1
	v_mov_b32_e32 v32, v18
	v_cmpx_gt_u32_e32 8, v1
; %bb.263:                              ;   in Loop: Header=BB393_11 Depth=1
	v_ffbh_u32_e32 v0, v18
	v_min_u32_e32 v0, 32, v0
	v_subrev_nc_u32_e32 v1, 28, v0
	v_sub_nc_u32_e32 v0, 29, v0
	v_lshlrev_b64 v[1:2], v1, v[18:19]
	v_and_b32_e32 v32, 7, v1
; %bb.264:                              ;   in Loop: Header=BB393_11 Depth=1
	s_or_b32 exec_lo, exec_lo, s24
	v_mov_b32_e32 v1, 24
	v_lshlrev_b32_e32 v2, 20, v32
	v_lshl_add_u32 v0, v0, 23, 0x3c000000
	v_lshlrev_b32_sdwa v1, v1, v31 dst_sel:DWORD dst_unused:UNUSED_PAD src0_sel:DWORD src1_sel:BYTE_3
	v_and_b32_e32 v1, 0x80000000, v1
	v_or3_b32 v62, v2, v1, v0
.LBB393_265:                            ;   in Loop: Header=BB393_11 Depth=1
	s_or_b32 exec_lo, exec_lo, s23
.LBB393_266:                            ;   in Loop: Header=BB393_11 Depth=1
	s_or_b32 exec_lo, exec_lo, s22
.LBB393_267:                            ;   in Loop: Header=BB393_11 Depth=1
	s_or_b32 exec_lo, exec_lo, s6
	flat_load_dwordx2 v[30:31], v[28:29] offset:1024
	s_waitcnt vmcnt(0) lgkmcnt(0)
	v_cmp_ne_u16_sdwa s5, v30, v19 src0_sel:BYTE_0 src1_sel:DWORD
	s_and_saveexec_b32 s6, s5
	s_cbranch_execz .LBB393_275
; %bb.268:                              ;   in Loop: Header=BB393_11 Depth=1
	v_mov_b32_e32 v0, 0x80
	v_bfrev_b32_e32 v63, 1
	v_cmp_ne_u16_sdwa s5, v30, v0 src0_sel:BYTE_0 src1_sel:DWORD
	s_and_saveexec_b32 s22, s5
	s_cbranch_execz .LBB393_274
; %bb.269:                              ;   in Loop: Header=BB393_11 Depth=1
	v_and_b32_e32 v1, 0x7f, v30
	v_mov_b32_e32 v63, 0x7f800001
	s_mov_b32 s23, exec_lo
	v_cmpx_ne_u32_e32 0x7f, v1
	s_cbranch_execz .LBB393_273
; %bb.270:                              ;   in Loop: Header=BB393_11 Depth=1
	v_mov_b32_e32 v33, v31
	v_lshrrev_b32_e32 v0, 3, v1
	v_mov_b32_e32 v32, v30
	s_mov_b32 s24, exec_lo
	v_cmpx_gt_u32_e32 8, v1
; %bb.271:                              ;   in Loop: Header=BB393_11 Depth=1
	v_and_b32_e32 v0, 7, v30
	v_ffbh_u32_e32 v0, v0
	v_min_u32_e32 v0, 32, v0
	v_subrev_nc_u32_e32 v1, 28, v0
	v_sub_nc_u32_e32 v0, 29, v0
	v_lshlrev_b64 v[32:33], v1, v[30:31]
; %bb.272:                              ;   in Loop: Header=BB393_11 Depth=1
	s_or_b32 exec_lo, exec_lo, s24
	v_lshlrev_b32_e32 v1, 20, v32
	v_lshlrev_b32_e32 v2, 24, v30
	v_lshl_add_u32 v0, v0, 23, 0x3c000000
	v_and_b32_e32 v1, 0x700000, v1
	v_and_b32_e32 v2, 0x80000000, v2
	v_or3_b32 v63, v1, v2, v0
.LBB393_273:                            ;   in Loop: Header=BB393_11 Depth=1
	s_or_b32 exec_lo, exec_lo, s23
.LBB393_274:                            ;   in Loop: Header=BB393_11 Depth=1
	s_or_b32 exec_lo, exec_lo, s22
.LBB393_275:                            ;   in Loop: Header=BB393_11 Depth=1
	s_or_b32 exec_lo, exec_lo, s6
	v_cmp_ne_u16_sdwa s5, v30, v19 src0_sel:BYTE_1 src1_sel:DWORD
	v_mov_b32_e32 v73, 0
	v_mov_b32_e32 v72, 0
	s_and_saveexec_b32 s6, s5
	s_cbranch_execz .LBB393_283
; %bb.276:                              ;   in Loop: Header=BB393_11 Depth=1
	v_mov_b32_e32 v0, 0x80
	v_bfrev_b32_e32 v72, 1
	v_cmp_ne_u16_sdwa s5, v30, v0 src0_sel:BYTE_1 src1_sel:DWORD
	s_and_saveexec_b32 s22, s5
	s_cbranch_execz .LBB393_282
; %bb.277:                              ;   in Loop: Header=BB393_11 Depth=1
	v_mov_b32_e32 v0, 0xffff
	v_mov_b32_e32 v72, 0x7f800001
	s_mov_b32 s23, exec_lo
	v_and_b32_sdwa v0, v0, v30 dst_sel:DWORD dst_unused:UNUSED_PAD src0_sel:DWORD src1_sel:BYTE_1
	v_and_b32_e32 v1, 0x7f, v0
	v_cmpx_ne_u32_e32 0x7f, v1
	s_cbranch_execz .LBB393_281
; %bb.278:                              ;   in Loop: Header=BB393_11 Depth=1
	v_and_b32_e32 v18, 7, v0
	v_mov_b32_e32 v33, v19
	v_lshrrev_b32_e32 v0, 3, v1
	s_mov_b32 s24, exec_lo
	v_mov_b32_e32 v32, v18
	v_cmpx_gt_u32_e32 8, v1
; %bb.279:                              ;   in Loop: Header=BB393_11 Depth=1
	v_ffbh_u32_e32 v0, v18
	v_min_u32_e32 v0, 32, v0
	v_subrev_nc_u32_e32 v1, 28, v0
	v_sub_nc_u32_e32 v0, 29, v0
	v_lshlrev_b64 v[1:2], v1, v[18:19]
	v_and_b32_e32 v32, 7, v1
; %bb.280:                              ;   in Loop: Header=BB393_11 Depth=1
	s_or_b32 exec_lo, exec_lo, s24
	v_lshlrev_b32_e32 v1, 16, v30
	v_lshlrev_b32_e32 v2, 20, v32
	v_lshl_add_u32 v0, v0, 23, 0x3c000000
	v_and_b32_e32 v1, 0x80000000, v1
	v_or3_b32 v72, v2, v1, v0
.LBB393_281:                            ;   in Loop: Header=BB393_11 Depth=1
	s_or_b32 exec_lo, exec_lo, s23
.LBB393_282:                            ;   in Loop: Header=BB393_11 Depth=1
	s_or_b32 exec_lo, exec_lo, s22
.LBB393_283:                            ;   in Loop: Header=BB393_11 Depth=1
	s_or_b32 exec_lo, exec_lo, s6
	v_mov_b32_e32 v0, 0xff
	s_mov_b32 s6, exec_lo
	v_and_b32_sdwa v0, v30, v0 dst_sel:DWORD dst_unused:UNUSED_PAD src0_sel:WORD_1 src1_sel:DWORD
	v_cmpx_ne_u16_e32 0, v0
	s_cbranch_execz .LBB393_291
; %bb.284:                              ;   in Loop: Header=BB393_11 Depth=1
	v_bfrev_b32_e32 v73, 1
	s_mov_b32 s22, exec_lo
	v_cmpx_ne_u16_e32 0x80, v0
	s_cbranch_execz .LBB393_290
; %bb.285:                              ;   in Loop: Header=BB393_11 Depth=1
	v_bfe_u32 v1, v30, 16, 7
	v_mov_b32_e32 v73, 0x7f800001
	s_mov_b32 s23, exec_lo
	v_cmpx_ne_u32_e32 0x7f, v1
	s_cbranch_execz .LBB393_289
; %bb.286:                              ;   in Loop: Header=BB393_11 Depth=1
	v_mov_b32_e32 v0, 7
	s_mov_b32 s24, exec_lo
	v_and_b32_sdwa v18, v30, v0 dst_sel:DWORD dst_unused:UNUSED_PAD src0_sel:WORD_1 src1_sel:DWORD
	v_mov_b32_e32 v33, v19
	v_lshrrev_b32_e32 v0, 3, v1
	v_mov_b32_e32 v32, v18
	v_cmpx_gt_u32_e32 8, v1
; %bb.287:                              ;   in Loop: Header=BB393_11 Depth=1
	v_ffbh_u32_e32 v0, v18
	v_min_u32_e32 v0, 32, v0
	v_subrev_nc_u32_e32 v1, 28, v0
	v_sub_nc_u32_e32 v0, 29, v0
	v_lshlrev_b64 v[1:2], v1, v[18:19]
	v_and_b32_e32 v32, 7, v1
; %bb.288:                              ;   in Loop: Header=BB393_11 Depth=1
	s_or_b32 exec_lo, exec_lo, s24
	v_mov_b32_e32 v1, 24
	v_lshlrev_b32_e32 v2, 20, v32
	v_lshl_add_u32 v0, v0, 23, 0x3c000000
	v_lshlrev_b32_sdwa v1, v1, v30 dst_sel:DWORD dst_unused:UNUSED_PAD src0_sel:DWORD src1_sel:WORD_1
	v_and_b32_e32 v1, 0x80000000, v1
	v_or3_b32 v73, v2, v1, v0
.LBB393_289:                            ;   in Loop: Header=BB393_11 Depth=1
	s_or_b32 exec_lo, exec_lo, s23
.LBB393_290:                            ;   in Loop: Header=BB393_11 Depth=1
	s_or_b32 exec_lo, exec_lo, s22
.LBB393_291:                            ;   in Loop: Header=BB393_11 Depth=1
	s_or_b32 exec_lo, exec_lo, s6
	v_mov_b32_e32 v75, 0
	v_mov_b32_e32 v74, 0
	s_mov_b32 s6, exec_lo
	v_cmpx_lt_u32_e32 0xffffff, v30
	s_cbranch_execz .LBB393_299
; %bb.292:                              ;   in Loop: Header=BB393_11 Depth=1
	v_mov_b32_e32 v0, 0x80
	v_bfrev_b32_e32 v74, 1
	v_cmp_ne_u32_sdwa s5, v30, v0 src0_sel:BYTE_3 src1_sel:DWORD
	s_and_saveexec_b32 s22, s5
	s_cbranch_execz .LBB393_298
; %bb.293:                              ;   in Loop: Header=BB393_11 Depth=1
	v_bfe_u32 v1, v30, 24, 7
	v_mov_b32_e32 v74, 0x7f800001
	s_mov_b32 s23, exec_lo
	v_cmpx_ne_u32_e32 0x7f, v1
	s_cbranch_execz .LBB393_297
; %bb.294:                              ;   in Loop: Header=BB393_11 Depth=1
	v_mov_b32_e32 v0, 7
	s_mov_b32 s24, exec_lo
	v_and_b32_sdwa v18, v30, v0 dst_sel:DWORD dst_unused:UNUSED_PAD src0_sel:BYTE_3 src1_sel:DWORD
	v_mov_b32_e32 v33, v19
	v_lshrrev_b32_e32 v0, 3, v1
	v_mov_b32_e32 v32, v18
	v_cmpx_gt_u32_e32 8, v1
; %bb.295:                              ;   in Loop: Header=BB393_11 Depth=1
	v_ffbh_u32_e32 v0, v18
	v_min_u32_e32 v0, 32, v0
	v_subrev_nc_u32_e32 v1, 28, v0
	v_sub_nc_u32_e32 v0, 29, v0
	v_lshlrev_b64 v[1:2], v1, v[18:19]
	v_and_b32_e32 v32, 7, v1
; %bb.296:                              ;   in Loop: Header=BB393_11 Depth=1
	s_or_b32 exec_lo, exec_lo, s24
	v_mov_b32_e32 v1, 24
	v_lshlrev_b32_e32 v2, 20, v32
	v_lshl_add_u32 v0, v0, 23, 0x3c000000
	v_lshlrev_b32_sdwa v1, v1, v30 dst_sel:DWORD dst_unused:UNUSED_PAD src0_sel:DWORD src1_sel:BYTE_3
	v_and_b32_e32 v1, 0x80000000, v1
	v_or3_b32 v74, v2, v1, v0
.LBB393_297:                            ;   in Loop: Header=BB393_11 Depth=1
	s_or_b32 exec_lo, exec_lo, s23
.LBB393_298:                            ;   in Loop: Header=BB393_11 Depth=1
	s_or_b32 exec_lo, exec_lo, s22
.LBB393_299:                            ;   in Loop: Header=BB393_11 Depth=1
	s_or_b32 exec_lo, exec_lo, s6
	v_mov_b32_e32 v18, v31
	v_cmp_ne_u16_sdwa s5, v31, v19 src0_sel:BYTE_0 src1_sel:DWORD
	s_and_saveexec_b32 s6, s5
	s_cbranch_execz .LBB393_307
; %bb.300:                              ;   in Loop: Header=BB393_11 Depth=1
	v_mov_b32_e32 v0, 0x80
	v_bfrev_b32_e32 v75, 1
	v_cmp_ne_u16_sdwa s5, v31, v0 src0_sel:BYTE_0 src1_sel:DWORD
	s_and_saveexec_b32 s22, s5
	s_cbranch_execz .LBB393_306
; %bb.301:                              ;   in Loop: Header=BB393_11 Depth=1
	v_and_b32_e32 v1, 0x7f, v31
	v_mov_b32_e32 v75, 0x7f800001
	s_mov_b32 s23, exec_lo
	v_cmpx_ne_u32_e32 0x7f, v1
	s_cbranch_execz .LBB393_305
; %bb.302:                              ;   in Loop: Header=BB393_11 Depth=1
	v_mov_b32_e32 v33, v19
	v_lshrrev_b32_e32 v0, 3, v1
	v_mov_b32_e32 v32, v18
	s_mov_b32 s24, exec_lo
	v_cmpx_gt_u32_e32 8, v1
; %bb.303:                              ;   in Loop: Header=BB393_11 Depth=1
	v_and_b32_e32 v0, 7, v31
	v_ffbh_u32_e32 v0, v0
	v_min_u32_e32 v0, 32, v0
	v_subrev_nc_u32_e32 v1, 28, v0
	v_sub_nc_u32_e32 v0, 29, v0
	v_lshlrev_b64 v[32:33], v1, v[18:19]
; %bb.304:                              ;   in Loop: Header=BB393_11 Depth=1
	s_or_b32 exec_lo, exec_lo, s24
	v_lshlrev_b32_e32 v1, 20, v32
	v_lshlrev_b32_e32 v2, 24, v18
	v_lshl_add_u32 v0, v0, 23, 0x3c000000
	v_and_b32_e32 v1, 0x700000, v1
	v_and_b32_e32 v2, 0x80000000, v2
	v_or3_b32 v75, v1, v2, v0
.LBB393_305:                            ;   in Loop: Header=BB393_11 Depth=1
	s_or_b32 exec_lo, exec_lo, s23
.LBB393_306:                            ;   in Loop: Header=BB393_11 Depth=1
	s_or_b32 exec_lo, exec_lo, s22
.LBB393_307:                            ;   in Loop: Header=BB393_11 Depth=1
	s_or_b32 exec_lo, exec_lo, s6
	v_cmp_ne_u16_sdwa s5, v18, v19 src0_sel:BYTE_1 src1_sel:DWORD
	v_mov_b32_e32 v76, 0
	v_mov_b32_e32 v77, 0
	s_and_saveexec_b32 s6, s5
	s_cbranch_execz .LBB393_315
; %bb.308:                              ;   in Loop: Header=BB393_11 Depth=1
	v_mov_b32_e32 v0, 0x80
	v_bfrev_b32_e32 v77, 1
	v_cmp_ne_u16_sdwa s5, v18, v0 src0_sel:BYTE_1 src1_sel:DWORD
	s_and_saveexec_b32 s22, s5
	s_cbranch_execz .LBB393_314
; %bb.309:                              ;   in Loop: Header=BB393_11 Depth=1
	v_mov_b32_e32 v0, 0xffff
	v_mov_b32_e32 v77, 0x7f800001
	s_mov_b32 s23, exec_lo
	v_and_b32_sdwa v0, v0, v18 dst_sel:DWORD dst_unused:UNUSED_PAD src0_sel:DWORD src1_sel:BYTE_1
	v_and_b32_e32 v1, 0x7f, v0
	v_cmpx_ne_u32_e32 0x7f, v1
	s_cbranch_execz .LBB393_313
; %bb.310:                              ;   in Loop: Header=BB393_11 Depth=1
	v_and_b32_e32 v32, 7, v0
	v_mov_b32_e32 v33, v19
	v_lshrrev_b32_e32 v0, 3, v1
	s_mov_b32 s24, exec_lo
	v_cmpx_gt_u32_e32 8, v1
; %bb.311:                              ;   in Loop: Header=BB393_11 Depth=1
	v_ffbh_u32_e32 v0, v32
	v_min_u32_e32 v0, 32, v0
	v_subrev_nc_u32_e32 v1, 28, v0
	v_sub_nc_u32_e32 v0, 29, v0
	v_lshlrev_b64 v[1:2], v1, v[32:33]
	v_and_b32_e32 v32, 7, v1
; %bb.312:                              ;   in Loop: Header=BB393_11 Depth=1
	s_or_b32 exec_lo, exec_lo, s24
	v_lshlrev_b32_e32 v1, 16, v18
	v_lshlrev_b32_e32 v2, 20, v32
	v_lshl_add_u32 v0, v0, 23, 0x3c000000
	v_and_b32_e32 v1, 0x80000000, v1
	v_or3_b32 v77, v2, v1, v0
.LBB393_313:                            ;   in Loop: Header=BB393_11 Depth=1
	s_or_b32 exec_lo, exec_lo, s23
.LBB393_314:                            ;   in Loop: Header=BB393_11 Depth=1
	s_or_b32 exec_lo, exec_lo, s22
.LBB393_315:                            ;   in Loop: Header=BB393_11 Depth=1
	s_or_b32 exec_lo, exec_lo, s6
	v_mov_b32_e32 v0, 0xff
	s_mov_b32 s6, exec_lo
	v_and_b32_sdwa v0, v31, v0 dst_sel:DWORD dst_unused:UNUSED_PAD src0_sel:WORD_1 src1_sel:DWORD
	v_cmpx_ne_u16_e32 0, v0
	s_cbranch_execz .LBB393_323
; %bb.316:                              ;   in Loop: Header=BB393_11 Depth=1
	v_bfrev_b32_e32 v76, 1
	s_mov_b32 s22, exec_lo
	v_cmpx_ne_u16_e32 0x80, v0
	s_cbranch_execz .LBB393_322
; %bb.317:                              ;   in Loop: Header=BB393_11 Depth=1
	v_bfe_u32 v1, v31, 16, 7
	v_mov_b32_e32 v76, 0x7f800001
	s_mov_b32 s23, exec_lo
	v_cmpx_ne_u32_e32 0x7f, v1
	s_cbranch_execz .LBB393_321
; %bb.318:                              ;   in Loop: Header=BB393_11 Depth=1
	v_mov_b32_e32 v0, 7
	s_mov_b32 s24, exec_lo
	v_and_b32_sdwa v18, v31, v0 dst_sel:DWORD dst_unused:UNUSED_PAD src0_sel:WORD_1 src1_sel:DWORD
	v_mov_b32_e32 v33, v19
	v_lshrrev_b32_e32 v0, 3, v1
	v_mov_b32_e32 v32, v18
	v_cmpx_gt_u32_e32 8, v1
; %bb.319:                              ;   in Loop: Header=BB393_11 Depth=1
	v_ffbh_u32_e32 v0, v18
	v_min_u32_e32 v0, 32, v0
	v_subrev_nc_u32_e32 v1, 28, v0
	v_sub_nc_u32_e32 v0, 29, v0
	v_lshlrev_b64 v[1:2], v1, v[18:19]
	v_and_b32_e32 v32, 7, v1
; %bb.320:                              ;   in Loop: Header=BB393_11 Depth=1
	s_or_b32 exec_lo, exec_lo, s24
	v_mov_b32_e32 v1, 24
	v_lshlrev_b32_e32 v2, 20, v32
	v_lshl_add_u32 v0, v0, 23, 0x3c000000
	v_lshlrev_b32_sdwa v1, v1, v31 dst_sel:DWORD dst_unused:UNUSED_PAD src0_sel:DWORD src1_sel:WORD_1
	v_and_b32_e32 v1, 0x80000000, v1
	v_or3_b32 v76, v2, v1, v0
.LBB393_321:                            ;   in Loop: Header=BB393_11 Depth=1
	s_or_b32 exec_lo, exec_lo, s23
.LBB393_322:                            ;   in Loop: Header=BB393_11 Depth=1
	s_or_b32 exec_lo, exec_lo, s22
.LBB393_323:                            ;   in Loop: Header=BB393_11 Depth=1
	s_or_b32 exec_lo, exec_lo, s6
	v_mov_b32_e32 v79, 0
	v_mov_b32_e32 v78, 0
	s_mov_b32 s6, exec_lo
	v_cmpx_lt_u64_e64 s[8:9], v[30:31]
	s_cbranch_execz .LBB393_331
; %bb.324:                              ;   in Loop: Header=BB393_11 Depth=1
	v_mov_b32_e32 v0, 0x80
	v_bfrev_b32_e32 v78, 1
	v_cmp_ne_u32_sdwa s5, v31, v0 src0_sel:BYTE_3 src1_sel:DWORD
	s_and_saveexec_b32 s22, s5
	s_cbranch_execz .LBB393_330
; %bb.325:                              ;   in Loop: Header=BB393_11 Depth=1
	v_bfe_u32 v1, v31, 24, 7
	v_mov_b32_e32 v78, 0x7f800001
	s_mov_b32 s23, exec_lo
	v_cmpx_ne_u32_e32 0x7f, v1
	s_cbranch_execz .LBB393_329
; %bb.326:                              ;   in Loop: Header=BB393_11 Depth=1
	v_mov_b32_e32 v0, 7
	s_mov_b32 s24, exec_lo
	v_and_b32_sdwa v18, v31, v0 dst_sel:DWORD dst_unused:UNUSED_PAD src0_sel:BYTE_3 src1_sel:DWORD
	v_mov_b32_e32 v33, v19
	v_lshrrev_b32_e32 v0, 3, v1
	v_mov_b32_e32 v32, v18
	v_cmpx_gt_u32_e32 8, v1
; %bb.327:                              ;   in Loop: Header=BB393_11 Depth=1
	v_ffbh_u32_e32 v0, v18
	v_min_u32_e32 v0, 32, v0
	v_subrev_nc_u32_e32 v1, 28, v0
	v_sub_nc_u32_e32 v0, 29, v0
	v_lshlrev_b64 v[1:2], v1, v[18:19]
	v_and_b32_e32 v32, 7, v1
; %bb.328:                              ;   in Loop: Header=BB393_11 Depth=1
	s_or_b32 exec_lo, exec_lo, s24
	v_mov_b32_e32 v1, 24
	v_lshlrev_b32_e32 v2, 20, v32
	v_lshl_add_u32 v0, v0, 23, 0x3c000000
	v_lshlrev_b32_sdwa v1, v1, v31 dst_sel:DWORD dst_unused:UNUSED_PAD src0_sel:DWORD src1_sel:BYTE_3
	v_and_b32_e32 v1, 0x80000000, v1
	v_or3_b32 v78, v2, v1, v0
.LBB393_329:                            ;   in Loop: Header=BB393_11 Depth=1
	s_or_b32 exec_lo, exec_lo, s23
.LBB393_330:                            ;   in Loop: Header=BB393_11 Depth=1
	s_or_b32 exec_lo, exec_lo, s22
.LBB393_331:                            ;   in Loop: Header=BB393_11 Depth=1
	s_or_b32 exec_lo, exec_lo, s6
	flat_load_dwordx2 v[30:31], v[28:29] offset:1032
	s_waitcnt vmcnt(0) lgkmcnt(0)
	v_cmp_ne_u16_sdwa s5, v30, v19 src0_sel:BYTE_0 src1_sel:DWORD
	s_and_saveexec_b32 s6, s5
	s_cbranch_execz .LBB393_339
; %bb.332:                              ;   in Loop: Header=BB393_11 Depth=1
	v_mov_b32_e32 v0, 0x80
	v_bfrev_b32_e32 v79, 1
	v_cmp_ne_u16_sdwa s5, v30, v0 src0_sel:BYTE_0 src1_sel:DWORD
	s_and_saveexec_b32 s22, s5
	s_cbranch_execz .LBB393_338
; %bb.333:                              ;   in Loop: Header=BB393_11 Depth=1
	v_and_b32_e32 v1, 0x7f, v30
	v_mov_b32_e32 v79, 0x7f800001
	s_mov_b32 s23, exec_lo
	v_cmpx_ne_u32_e32 0x7f, v1
	s_cbranch_execz .LBB393_337
; %bb.334:                              ;   in Loop: Header=BB393_11 Depth=1
	v_mov_b32_e32 v33, v31
	v_lshrrev_b32_e32 v0, 3, v1
	v_mov_b32_e32 v32, v30
	s_mov_b32 s24, exec_lo
	v_cmpx_gt_u32_e32 8, v1
; %bb.335:                              ;   in Loop: Header=BB393_11 Depth=1
	v_and_b32_e32 v0, 7, v30
	v_ffbh_u32_e32 v0, v0
	v_min_u32_e32 v0, 32, v0
	v_subrev_nc_u32_e32 v1, 28, v0
	v_sub_nc_u32_e32 v0, 29, v0
	v_lshlrev_b64 v[32:33], v1, v[30:31]
; %bb.336:                              ;   in Loop: Header=BB393_11 Depth=1
	s_or_b32 exec_lo, exec_lo, s24
	v_lshlrev_b32_e32 v1, 20, v32
	v_lshlrev_b32_e32 v2, 24, v30
	v_lshl_add_u32 v0, v0, 23, 0x3c000000
	v_and_b32_e32 v1, 0x700000, v1
	v_and_b32_e32 v2, 0x80000000, v2
	v_or3_b32 v79, v1, v2, v0
.LBB393_337:                            ;   in Loop: Header=BB393_11 Depth=1
	s_or_b32 exec_lo, exec_lo, s23
.LBB393_338:                            ;   in Loop: Header=BB393_11 Depth=1
	s_or_b32 exec_lo, exec_lo, s22
.LBB393_339:                            ;   in Loop: Header=BB393_11 Depth=1
	s_or_b32 exec_lo, exec_lo, s6
	v_cmp_ne_u16_sdwa s5, v30, v19 src0_sel:BYTE_1 src1_sel:DWORD
	v_mov_b32_e32 v89, 0
	v_mov_b32_e32 v88, 0
	s_and_saveexec_b32 s6, s5
	s_cbranch_execz .LBB393_347
; %bb.340:                              ;   in Loop: Header=BB393_11 Depth=1
	v_mov_b32_e32 v0, 0x80
	v_bfrev_b32_e32 v88, 1
	v_cmp_ne_u16_sdwa s5, v30, v0 src0_sel:BYTE_1 src1_sel:DWORD
	s_and_saveexec_b32 s22, s5
	s_cbranch_execz .LBB393_346
; %bb.341:                              ;   in Loop: Header=BB393_11 Depth=1
	v_mov_b32_e32 v0, 0xffff
	v_mov_b32_e32 v88, 0x7f800001
	s_mov_b32 s23, exec_lo
	v_and_b32_sdwa v0, v0, v30 dst_sel:DWORD dst_unused:UNUSED_PAD src0_sel:DWORD src1_sel:BYTE_1
	v_and_b32_e32 v1, 0x7f, v0
	v_cmpx_ne_u32_e32 0x7f, v1
	s_cbranch_execz .LBB393_345
; %bb.342:                              ;   in Loop: Header=BB393_11 Depth=1
	v_and_b32_e32 v18, 7, v0
	v_mov_b32_e32 v33, v19
	v_lshrrev_b32_e32 v0, 3, v1
	s_mov_b32 s24, exec_lo
	v_mov_b32_e32 v32, v18
	v_cmpx_gt_u32_e32 8, v1
; %bb.343:                              ;   in Loop: Header=BB393_11 Depth=1
	v_ffbh_u32_e32 v0, v18
	v_min_u32_e32 v0, 32, v0
	v_subrev_nc_u32_e32 v1, 28, v0
	v_sub_nc_u32_e32 v0, 29, v0
	v_lshlrev_b64 v[1:2], v1, v[18:19]
	v_and_b32_e32 v32, 7, v1
; %bb.344:                              ;   in Loop: Header=BB393_11 Depth=1
	s_or_b32 exec_lo, exec_lo, s24
	v_lshlrev_b32_e32 v1, 16, v30
	v_lshlrev_b32_e32 v2, 20, v32
	v_lshl_add_u32 v0, v0, 23, 0x3c000000
	v_and_b32_e32 v1, 0x80000000, v1
	v_or3_b32 v88, v2, v1, v0
.LBB393_345:                            ;   in Loop: Header=BB393_11 Depth=1
	s_or_b32 exec_lo, exec_lo, s23
.LBB393_346:                            ;   in Loop: Header=BB393_11 Depth=1
	s_or_b32 exec_lo, exec_lo, s22
.LBB393_347:                            ;   in Loop: Header=BB393_11 Depth=1
	s_or_b32 exec_lo, exec_lo, s6
	v_mov_b32_e32 v0, 0xff
	s_mov_b32 s6, exec_lo
	v_and_b32_sdwa v0, v30, v0 dst_sel:DWORD dst_unused:UNUSED_PAD src0_sel:WORD_1 src1_sel:DWORD
	v_cmpx_ne_u16_e32 0, v0
	s_cbranch_execz .LBB393_355
; %bb.348:                              ;   in Loop: Header=BB393_11 Depth=1
	v_bfrev_b32_e32 v89, 1
	s_mov_b32 s22, exec_lo
	v_cmpx_ne_u16_e32 0x80, v0
	s_cbranch_execz .LBB393_354
; %bb.349:                              ;   in Loop: Header=BB393_11 Depth=1
	v_bfe_u32 v1, v30, 16, 7
	v_mov_b32_e32 v89, 0x7f800001
	s_mov_b32 s23, exec_lo
	v_cmpx_ne_u32_e32 0x7f, v1
	s_cbranch_execz .LBB393_353
; %bb.350:                              ;   in Loop: Header=BB393_11 Depth=1
	v_mov_b32_e32 v0, 7
	s_mov_b32 s24, exec_lo
	v_and_b32_sdwa v18, v30, v0 dst_sel:DWORD dst_unused:UNUSED_PAD src0_sel:WORD_1 src1_sel:DWORD
	v_mov_b32_e32 v33, v19
	v_lshrrev_b32_e32 v0, 3, v1
	v_mov_b32_e32 v32, v18
	v_cmpx_gt_u32_e32 8, v1
; %bb.351:                              ;   in Loop: Header=BB393_11 Depth=1
	v_ffbh_u32_e32 v0, v18
	v_min_u32_e32 v0, 32, v0
	v_subrev_nc_u32_e32 v1, 28, v0
	v_sub_nc_u32_e32 v0, 29, v0
	v_lshlrev_b64 v[1:2], v1, v[18:19]
	v_and_b32_e32 v32, 7, v1
; %bb.352:                              ;   in Loop: Header=BB393_11 Depth=1
	s_or_b32 exec_lo, exec_lo, s24
	v_mov_b32_e32 v1, 24
	v_lshlrev_b32_e32 v2, 20, v32
	v_lshl_add_u32 v0, v0, 23, 0x3c000000
	v_lshlrev_b32_sdwa v1, v1, v30 dst_sel:DWORD dst_unused:UNUSED_PAD src0_sel:DWORD src1_sel:WORD_1
	v_and_b32_e32 v1, 0x80000000, v1
	v_or3_b32 v89, v2, v1, v0
.LBB393_353:                            ;   in Loop: Header=BB393_11 Depth=1
	s_or_b32 exec_lo, exec_lo, s23
.LBB393_354:                            ;   in Loop: Header=BB393_11 Depth=1
	s_or_b32 exec_lo, exec_lo, s22
.LBB393_355:                            ;   in Loop: Header=BB393_11 Depth=1
	s_or_b32 exec_lo, exec_lo, s6
	v_mov_b32_e32 v91, 0
	v_mov_b32_e32 v90, 0
	s_mov_b32 s6, exec_lo
	v_cmpx_lt_u32_e32 0xffffff, v30
	s_cbranch_execz .LBB393_363
; %bb.356:                              ;   in Loop: Header=BB393_11 Depth=1
	v_mov_b32_e32 v0, 0x80
	v_bfrev_b32_e32 v90, 1
	v_cmp_ne_u32_sdwa s5, v30, v0 src0_sel:BYTE_3 src1_sel:DWORD
	s_and_saveexec_b32 s22, s5
	s_cbranch_execz .LBB393_362
; %bb.357:                              ;   in Loop: Header=BB393_11 Depth=1
	v_bfe_u32 v1, v30, 24, 7
	v_mov_b32_e32 v90, 0x7f800001
	s_mov_b32 s23, exec_lo
	v_cmpx_ne_u32_e32 0x7f, v1
	s_cbranch_execz .LBB393_361
; %bb.358:                              ;   in Loop: Header=BB393_11 Depth=1
	v_mov_b32_e32 v0, 7
	s_mov_b32 s24, exec_lo
	v_and_b32_sdwa v18, v30, v0 dst_sel:DWORD dst_unused:UNUSED_PAD src0_sel:BYTE_3 src1_sel:DWORD
	v_mov_b32_e32 v33, v19
	v_lshrrev_b32_e32 v0, 3, v1
	v_mov_b32_e32 v32, v18
	v_cmpx_gt_u32_e32 8, v1
; %bb.359:                              ;   in Loop: Header=BB393_11 Depth=1
	v_ffbh_u32_e32 v0, v18
	v_min_u32_e32 v0, 32, v0
	v_subrev_nc_u32_e32 v1, 28, v0
	v_sub_nc_u32_e32 v0, 29, v0
	v_lshlrev_b64 v[1:2], v1, v[18:19]
	v_and_b32_e32 v32, 7, v1
; %bb.360:                              ;   in Loop: Header=BB393_11 Depth=1
	s_or_b32 exec_lo, exec_lo, s24
	v_mov_b32_e32 v1, 24
	v_lshlrev_b32_e32 v2, 20, v32
	v_lshl_add_u32 v0, v0, 23, 0x3c000000
	v_lshlrev_b32_sdwa v1, v1, v30 dst_sel:DWORD dst_unused:UNUSED_PAD src0_sel:DWORD src1_sel:BYTE_3
	v_and_b32_e32 v1, 0x80000000, v1
	v_or3_b32 v90, v2, v1, v0
.LBB393_361:                            ;   in Loop: Header=BB393_11 Depth=1
	s_or_b32 exec_lo, exec_lo, s23
.LBB393_362:                            ;   in Loop: Header=BB393_11 Depth=1
	s_or_b32 exec_lo, exec_lo, s22
.LBB393_363:                            ;   in Loop: Header=BB393_11 Depth=1
	s_or_b32 exec_lo, exec_lo, s6
	v_mov_b32_e32 v18, v31
	v_cmp_ne_u16_sdwa s5, v31, v19 src0_sel:BYTE_0 src1_sel:DWORD
	s_and_saveexec_b32 s6, s5
	s_cbranch_execz .LBB393_371
; %bb.364:                              ;   in Loop: Header=BB393_11 Depth=1
	v_mov_b32_e32 v0, 0x80
	v_bfrev_b32_e32 v91, 1
	v_cmp_ne_u16_sdwa s5, v31, v0 src0_sel:BYTE_0 src1_sel:DWORD
	s_and_saveexec_b32 s22, s5
	s_cbranch_execz .LBB393_370
; %bb.365:                              ;   in Loop: Header=BB393_11 Depth=1
	v_and_b32_e32 v1, 0x7f, v31
	v_mov_b32_e32 v91, 0x7f800001
	s_mov_b32 s23, exec_lo
	v_cmpx_ne_u32_e32 0x7f, v1
	s_cbranch_execz .LBB393_369
; %bb.366:                              ;   in Loop: Header=BB393_11 Depth=1
	v_mov_b32_e32 v33, v19
	v_lshrrev_b32_e32 v0, 3, v1
	v_mov_b32_e32 v32, v18
	s_mov_b32 s24, exec_lo
	v_cmpx_gt_u32_e32 8, v1
; %bb.367:                              ;   in Loop: Header=BB393_11 Depth=1
	v_and_b32_e32 v0, 7, v31
	v_ffbh_u32_e32 v0, v0
	v_min_u32_e32 v0, 32, v0
	v_subrev_nc_u32_e32 v1, 28, v0
	v_sub_nc_u32_e32 v0, 29, v0
	v_lshlrev_b64 v[32:33], v1, v[18:19]
; %bb.368:                              ;   in Loop: Header=BB393_11 Depth=1
	s_or_b32 exec_lo, exec_lo, s24
	v_lshlrev_b32_e32 v1, 20, v32
	v_lshlrev_b32_e32 v2, 24, v18
	v_lshl_add_u32 v0, v0, 23, 0x3c000000
	v_and_b32_e32 v1, 0x700000, v1
	v_and_b32_e32 v2, 0x80000000, v2
	v_or3_b32 v91, v1, v2, v0
.LBB393_369:                            ;   in Loop: Header=BB393_11 Depth=1
	s_or_b32 exec_lo, exec_lo, s23
.LBB393_370:                            ;   in Loop: Header=BB393_11 Depth=1
	s_or_b32 exec_lo, exec_lo, s22
.LBB393_371:                            ;   in Loop: Header=BB393_11 Depth=1
	s_or_b32 exec_lo, exec_lo, s6
	v_cmp_ne_u16_sdwa s5, v18, v19 src0_sel:BYTE_1 src1_sel:DWORD
	v_mov_b32_e32 v92, 0
	v_mov_b32_e32 v93, 0
	s_and_saveexec_b32 s6, s5
	s_cbranch_execz .LBB393_379
; %bb.372:                              ;   in Loop: Header=BB393_11 Depth=1
	v_mov_b32_e32 v0, 0x80
	v_bfrev_b32_e32 v93, 1
	v_cmp_ne_u16_sdwa s5, v18, v0 src0_sel:BYTE_1 src1_sel:DWORD
	s_and_saveexec_b32 s22, s5
	s_cbranch_execz .LBB393_378
; %bb.373:                              ;   in Loop: Header=BB393_11 Depth=1
	v_mov_b32_e32 v0, 0xffff
	v_mov_b32_e32 v93, 0x7f800001
	s_mov_b32 s23, exec_lo
	v_and_b32_sdwa v0, v0, v18 dst_sel:DWORD dst_unused:UNUSED_PAD src0_sel:DWORD src1_sel:BYTE_1
	v_and_b32_e32 v1, 0x7f, v0
	v_cmpx_ne_u32_e32 0x7f, v1
	s_cbranch_execz .LBB393_377
; %bb.374:                              ;   in Loop: Header=BB393_11 Depth=1
	v_and_b32_e32 v32, 7, v0
	v_mov_b32_e32 v33, v19
	v_lshrrev_b32_e32 v0, 3, v1
	s_mov_b32 s24, exec_lo
	v_cmpx_gt_u32_e32 8, v1
; %bb.375:                              ;   in Loop: Header=BB393_11 Depth=1
	v_ffbh_u32_e32 v0, v32
	v_min_u32_e32 v0, 32, v0
	v_subrev_nc_u32_e32 v1, 28, v0
	v_sub_nc_u32_e32 v0, 29, v0
	v_lshlrev_b64 v[1:2], v1, v[32:33]
	v_and_b32_e32 v32, 7, v1
; %bb.376:                              ;   in Loop: Header=BB393_11 Depth=1
	s_or_b32 exec_lo, exec_lo, s24
	v_lshlrev_b32_e32 v1, 16, v18
	v_lshlrev_b32_e32 v2, 20, v32
	v_lshl_add_u32 v0, v0, 23, 0x3c000000
	v_and_b32_e32 v1, 0x80000000, v1
	v_or3_b32 v93, v2, v1, v0
.LBB393_377:                            ;   in Loop: Header=BB393_11 Depth=1
	s_or_b32 exec_lo, exec_lo, s23
.LBB393_378:                            ;   in Loop: Header=BB393_11 Depth=1
	s_or_b32 exec_lo, exec_lo, s22
.LBB393_379:                            ;   in Loop: Header=BB393_11 Depth=1
	s_or_b32 exec_lo, exec_lo, s6
	v_mov_b32_e32 v0, 0xff
	s_mov_b32 s6, exec_lo
	v_and_b32_sdwa v0, v31, v0 dst_sel:DWORD dst_unused:UNUSED_PAD src0_sel:WORD_1 src1_sel:DWORD
	v_cmpx_ne_u16_e32 0, v0
	s_cbranch_execz .LBB393_387
; %bb.380:                              ;   in Loop: Header=BB393_11 Depth=1
	v_bfrev_b32_e32 v92, 1
	s_mov_b32 s22, exec_lo
	v_cmpx_ne_u16_e32 0x80, v0
	s_cbranch_execz .LBB393_386
; %bb.381:                              ;   in Loop: Header=BB393_11 Depth=1
	v_bfe_u32 v1, v31, 16, 7
	v_mov_b32_e32 v92, 0x7f800001
	s_mov_b32 s23, exec_lo
	v_cmpx_ne_u32_e32 0x7f, v1
	s_cbranch_execz .LBB393_385
; %bb.382:                              ;   in Loop: Header=BB393_11 Depth=1
	v_mov_b32_e32 v0, 7
	s_mov_b32 s24, exec_lo
	v_and_b32_sdwa v18, v31, v0 dst_sel:DWORD dst_unused:UNUSED_PAD src0_sel:WORD_1 src1_sel:DWORD
	v_mov_b32_e32 v33, v19
	v_lshrrev_b32_e32 v0, 3, v1
	v_mov_b32_e32 v32, v18
	v_cmpx_gt_u32_e32 8, v1
; %bb.383:                              ;   in Loop: Header=BB393_11 Depth=1
	v_ffbh_u32_e32 v0, v18
	v_min_u32_e32 v0, 32, v0
	v_subrev_nc_u32_e32 v1, 28, v0
	v_sub_nc_u32_e32 v0, 29, v0
	v_lshlrev_b64 v[1:2], v1, v[18:19]
	v_and_b32_e32 v32, 7, v1
; %bb.384:                              ;   in Loop: Header=BB393_11 Depth=1
	s_or_b32 exec_lo, exec_lo, s24
	v_mov_b32_e32 v1, 24
	v_lshlrev_b32_e32 v2, 20, v32
	v_lshl_add_u32 v0, v0, 23, 0x3c000000
	v_lshlrev_b32_sdwa v1, v1, v31 dst_sel:DWORD dst_unused:UNUSED_PAD src0_sel:DWORD src1_sel:WORD_1
	v_and_b32_e32 v1, 0x80000000, v1
	v_or3_b32 v92, v2, v1, v0
.LBB393_385:                            ;   in Loop: Header=BB393_11 Depth=1
	s_or_b32 exec_lo, exec_lo, s23
.LBB393_386:                            ;   in Loop: Header=BB393_11 Depth=1
	s_or_b32 exec_lo, exec_lo, s22
.LBB393_387:                            ;   in Loop: Header=BB393_11 Depth=1
	s_or_b32 exec_lo, exec_lo, s6
	v_mov_b32_e32 v95, 0
	v_mov_b32_e32 v94, 0
	s_mov_b32 s6, exec_lo
	v_cmpx_lt_u64_e64 s[8:9], v[30:31]
	s_cbranch_execz .LBB393_395
; %bb.388:                              ;   in Loop: Header=BB393_11 Depth=1
	v_mov_b32_e32 v0, 0x80
	v_bfrev_b32_e32 v94, 1
	v_cmp_ne_u32_sdwa s5, v31, v0 src0_sel:BYTE_3 src1_sel:DWORD
	s_and_saveexec_b32 s22, s5
	s_cbranch_execz .LBB393_394
; %bb.389:                              ;   in Loop: Header=BB393_11 Depth=1
	v_bfe_u32 v1, v31, 24, 7
	v_mov_b32_e32 v94, 0x7f800001
	s_mov_b32 s23, exec_lo
	v_cmpx_ne_u32_e32 0x7f, v1
	s_cbranch_execz .LBB393_393
; %bb.390:                              ;   in Loop: Header=BB393_11 Depth=1
	v_mov_b32_e32 v0, 7
	s_mov_b32 s24, exec_lo
	v_and_b32_sdwa v18, v31, v0 dst_sel:DWORD dst_unused:UNUSED_PAD src0_sel:BYTE_3 src1_sel:DWORD
	v_mov_b32_e32 v33, v19
	v_lshrrev_b32_e32 v0, 3, v1
	v_mov_b32_e32 v32, v18
	v_cmpx_gt_u32_e32 8, v1
; %bb.391:                              ;   in Loop: Header=BB393_11 Depth=1
	v_ffbh_u32_e32 v0, v18
	v_min_u32_e32 v0, 32, v0
	v_subrev_nc_u32_e32 v1, 28, v0
	v_sub_nc_u32_e32 v0, 29, v0
	v_lshlrev_b64 v[1:2], v1, v[18:19]
	v_and_b32_e32 v32, 7, v1
; %bb.392:                              ;   in Loop: Header=BB393_11 Depth=1
	s_or_b32 exec_lo, exec_lo, s24
	v_mov_b32_e32 v1, 24
	v_lshlrev_b32_e32 v2, 20, v32
	v_lshl_add_u32 v0, v0, 23, 0x3c000000
	v_lshlrev_b32_sdwa v1, v1, v31 dst_sel:DWORD dst_unused:UNUSED_PAD src0_sel:DWORD src1_sel:BYTE_3
	v_and_b32_e32 v1, 0x80000000, v1
	v_or3_b32 v94, v2, v1, v0
.LBB393_393:                            ;   in Loop: Header=BB393_11 Depth=1
	s_or_b32 exec_lo, exec_lo, s23
.LBB393_394:                            ;   in Loop: Header=BB393_11 Depth=1
	s_or_b32 exec_lo, exec_lo, s22
.LBB393_395:                            ;   in Loop: Header=BB393_11 Depth=1
	s_or_b32 exec_lo, exec_lo, s6
	flat_load_dwordx2 v[30:31], v[28:29] offset:1536
	s_waitcnt vmcnt(0) lgkmcnt(0)
	v_cmp_ne_u16_sdwa s5, v30, v19 src0_sel:BYTE_0 src1_sel:DWORD
	s_and_saveexec_b32 s6, s5
	s_cbranch_execz .LBB393_403
; %bb.396:                              ;   in Loop: Header=BB393_11 Depth=1
	v_mov_b32_e32 v0, 0x80
	v_bfrev_b32_e32 v95, 1
	v_cmp_ne_u16_sdwa s5, v30, v0 src0_sel:BYTE_0 src1_sel:DWORD
	s_and_saveexec_b32 s22, s5
	s_cbranch_execz .LBB393_402
; %bb.397:                              ;   in Loop: Header=BB393_11 Depth=1
	v_and_b32_e32 v1, 0x7f, v30
	v_mov_b32_e32 v95, 0x7f800001
	s_mov_b32 s23, exec_lo
	v_cmpx_ne_u32_e32 0x7f, v1
	s_cbranch_execz .LBB393_401
; %bb.398:                              ;   in Loop: Header=BB393_11 Depth=1
	v_mov_b32_e32 v33, v31
	v_lshrrev_b32_e32 v0, 3, v1
	v_mov_b32_e32 v32, v30
	s_mov_b32 s24, exec_lo
	v_cmpx_gt_u32_e32 8, v1
; %bb.399:                              ;   in Loop: Header=BB393_11 Depth=1
	v_and_b32_e32 v0, 7, v30
	v_ffbh_u32_e32 v0, v0
	v_min_u32_e32 v0, 32, v0
	v_subrev_nc_u32_e32 v1, 28, v0
	v_sub_nc_u32_e32 v0, 29, v0
	v_lshlrev_b64 v[32:33], v1, v[30:31]
; %bb.400:                              ;   in Loop: Header=BB393_11 Depth=1
	s_or_b32 exec_lo, exec_lo, s24
	v_lshlrev_b32_e32 v1, 20, v32
	v_lshlrev_b32_e32 v2, 24, v30
	v_lshl_add_u32 v0, v0, 23, 0x3c000000
	v_and_b32_e32 v1, 0x700000, v1
	v_and_b32_e32 v2, 0x80000000, v2
	v_or3_b32 v95, v1, v2, v0
.LBB393_401:                            ;   in Loop: Header=BB393_11 Depth=1
	s_or_b32 exec_lo, exec_lo, s23
.LBB393_402:                            ;   in Loop: Header=BB393_11 Depth=1
	s_or_b32 exec_lo, exec_lo, s22
.LBB393_403:                            ;   in Loop: Header=BB393_11 Depth=1
	s_or_b32 exec_lo, exec_lo, s6
	v_cmp_ne_u16_sdwa s5, v30, v19 src0_sel:BYTE_1 src1_sel:DWORD
	v_mov_b32_e32 v105, 0
	v_mov_b32_e32 v104, 0
	s_and_saveexec_b32 s6, s5
	s_cbranch_execz .LBB393_411
; %bb.404:                              ;   in Loop: Header=BB393_11 Depth=1
	v_mov_b32_e32 v0, 0x80
	v_bfrev_b32_e32 v104, 1
	v_cmp_ne_u16_sdwa s5, v30, v0 src0_sel:BYTE_1 src1_sel:DWORD
	s_and_saveexec_b32 s22, s5
	s_cbranch_execz .LBB393_410
; %bb.405:                              ;   in Loop: Header=BB393_11 Depth=1
	v_mov_b32_e32 v0, 0xffff
	v_mov_b32_e32 v104, 0x7f800001
	s_mov_b32 s23, exec_lo
	v_and_b32_sdwa v0, v0, v30 dst_sel:DWORD dst_unused:UNUSED_PAD src0_sel:DWORD src1_sel:BYTE_1
	v_and_b32_e32 v1, 0x7f, v0
	v_cmpx_ne_u32_e32 0x7f, v1
	s_cbranch_execz .LBB393_409
; %bb.406:                              ;   in Loop: Header=BB393_11 Depth=1
	v_and_b32_e32 v18, 7, v0
	v_mov_b32_e32 v33, v19
	v_lshrrev_b32_e32 v0, 3, v1
	s_mov_b32 s24, exec_lo
	v_mov_b32_e32 v32, v18
	v_cmpx_gt_u32_e32 8, v1
; %bb.407:                              ;   in Loop: Header=BB393_11 Depth=1
	v_ffbh_u32_e32 v0, v18
	v_min_u32_e32 v0, 32, v0
	v_subrev_nc_u32_e32 v1, 28, v0
	v_sub_nc_u32_e32 v0, 29, v0
	v_lshlrev_b64 v[1:2], v1, v[18:19]
	v_and_b32_e32 v32, 7, v1
; %bb.408:                              ;   in Loop: Header=BB393_11 Depth=1
	s_or_b32 exec_lo, exec_lo, s24
	v_lshlrev_b32_e32 v1, 16, v30
	v_lshlrev_b32_e32 v2, 20, v32
	v_lshl_add_u32 v0, v0, 23, 0x3c000000
	v_and_b32_e32 v1, 0x80000000, v1
	v_or3_b32 v104, v2, v1, v0
.LBB393_409:                            ;   in Loop: Header=BB393_11 Depth=1
	s_or_b32 exec_lo, exec_lo, s23
.LBB393_410:                            ;   in Loop: Header=BB393_11 Depth=1
	s_or_b32 exec_lo, exec_lo, s22
.LBB393_411:                            ;   in Loop: Header=BB393_11 Depth=1
	s_or_b32 exec_lo, exec_lo, s6
	v_mov_b32_e32 v0, 0xff
	s_mov_b32 s6, exec_lo
	v_and_b32_sdwa v0, v30, v0 dst_sel:DWORD dst_unused:UNUSED_PAD src0_sel:WORD_1 src1_sel:DWORD
	v_cmpx_ne_u16_e32 0, v0
	s_cbranch_execz .LBB393_419
; %bb.412:                              ;   in Loop: Header=BB393_11 Depth=1
	v_bfrev_b32_e32 v105, 1
	s_mov_b32 s22, exec_lo
	v_cmpx_ne_u16_e32 0x80, v0
	s_cbranch_execz .LBB393_418
; %bb.413:                              ;   in Loop: Header=BB393_11 Depth=1
	v_bfe_u32 v1, v30, 16, 7
	v_mov_b32_e32 v105, 0x7f800001
	s_mov_b32 s23, exec_lo
	v_cmpx_ne_u32_e32 0x7f, v1
	s_cbranch_execz .LBB393_417
; %bb.414:                              ;   in Loop: Header=BB393_11 Depth=1
	v_mov_b32_e32 v0, 7
	s_mov_b32 s24, exec_lo
	v_and_b32_sdwa v18, v30, v0 dst_sel:DWORD dst_unused:UNUSED_PAD src0_sel:WORD_1 src1_sel:DWORD
	v_mov_b32_e32 v33, v19
	v_lshrrev_b32_e32 v0, 3, v1
	v_mov_b32_e32 v32, v18
	v_cmpx_gt_u32_e32 8, v1
; %bb.415:                              ;   in Loop: Header=BB393_11 Depth=1
	v_ffbh_u32_e32 v0, v18
	v_min_u32_e32 v0, 32, v0
	v_subrev_nc_u32_e32 v1, 28, v0
	v_sub_nc_u32_e32 v0, 29, v0
	v_lshlrev_b64 v[1:2], v1, v[18:19]
	v_and_b32_e32 v32, 7, v1
; %bb.416:                              ;   in Loop: Header=BB393_11 Depth=1
	s_or_b32 exec_lo, exec_lo, s24
	v_mov_b32_e32 v1, 24
	v_lshlrev_b32_e32 v2, 20, v32
	v_lshl_add_u32 v0, v0, 23, 0x3c000000
	v_lshlrev_b32_sdwa v1, v1, v30 dst_sel:DWORD dst_unused:UNUSED_PAD src0_sel:DWORD src1_sel:WORD_1
	v_and_b32_e32 v1, 0x80000000, v1
	v_or3_b32 v105, v2, v1, v0
.LBB393_417:                            ;   in Loop: Header=BB393_11 Depth=1
	s_or_b32 exec_lo, exec_lo, s23
.LBB393_418:                            ;   in Loop: Header=BB393_11 Depth=1
	s_or_b32 exec_lo, exec_lo, s22
.LBB393_419:                            ;   in Loop: Header=BB393_11 Depth=1
	s_or_b32 exec_lo, exec_lo, s6
	v_mov_b32_e32 v107, 0
	v_mov_b32_e32 v106, 0
	s_mov_b32 s6, exec_lo
	v_cmpx_lt_u32_e32 0xffffff, v30
	s_cbranch_execz .LBB393_427
; %bb.420:                              ;   in Loop: Header=BB393_11 Depth=1
	v_mov_b32_e32 v0, 0x80
	v_bfrev_b32_e32 v106, 1
	v_cmp_ne_u32_sdwa s5, v30, v0 src0_sel:BYTE_3 src1_sel:DWORD
	s_and_saveexec_b32 s22, s5
	s_cbranch_execz .LBB393_426
; %bb.421:                              ;   in Loop: Header=BB393_11 Depth=1
	v_bfe_u32 v1, v30, 24, 7
	v_mov_b32_e32 v106, 0x7f800001
	s_mov_b32 s23, exec_lo
	v_cmpx_ne_u32_e32 0x7f, v1
	s_cbranch_execz .LBB393_425
; %bb.422:                              ;   in Loop: Header=BB393_11 Depth=1
	v_mov_b32_e32 v0, 7
	s_mov_b32 s24, exec_lo
	v_and_b32_sdwa v18, v30, v0 dst_sel:DWORD dst_unused:UNUSED_PAD src0_sel:BYTE_3 src1_sel:DWORD
	v_mov_b32_e32 v33, v19
	v_lshrrev_b32_e32 v0, 3, v1
	v_mov_b32_e32 v32, v18
	v_cmpx_gt_u32_e32 8, v1
; %bb.423:                              ;   in Loop: Header=BB393_11 Depth=1
	v_ffbh_u32_e32 v0, v18
	v_min_u32_e32 v0, 32, v0
	v_subrev_nc_u32_e32 v1, 28, v0
	v_sub_nc_u32_e32 v0, 29, v0
	v_lshlrev_b64 v[1:2], v1, v[18:19]
	v_and_b32_e32 v32, 7, v1
; %bb.424:                              ;   in Loop: Header=BB393_11 Depth=1
	s_or_b32 exec_lo, exec_lo, s24
	v_mov_b32_e32 v1, 24
	v_lshlrev_b32_e32 v2, 20, v32
	v_lshl_add_u32 v0, v0, 23, 0x3c000000
	v_lshlrev_b32_sdwa v1, v1, v30 dst_sel:DWORD dst_unused:UNUSED_PAD src0_sel:DWORD src1_sel:BYTE_3
	v_and_b32_e32 v1, 0x80000000, v1
	v_or3_b32 v106, v2, v1, v0
.LBB393_425:                            ;   in Loop: Header=BB393_11 Depth=1
	s_or_b32 exec_lo, exec_lo, s23
.LBB393_426:                            ;   in Loop: Header=BB393_11 Depth=1
	s_or_b32 exec_lo, exec_lo, s22
.LBB393_427:                            ;   in Loop: Header=BB393_11 Depth=1
	s_or_b32 exec_lo, exec_lo, s6
	v_mov_b32_e32 v18, v31
	v_cmp_ne_u16_sdwa s5, v31, v19 src0_sel:BYTE_0 src1_sel:DWORD
	s_and_saveexec_b32 s6, s5
	s_cbranch_execz .LBB393_435
; %bb.428:                              ;   in Loop: Header=BB393_11 Depth=1
	v_mov_b32_e32 v0, 0x80
	v_bfrev_b32_e32 v107, 1
	v_cmp_ne_u16_sdwa s5, v31, v0 src0_sel:BYTE_0 src1_sel:DWORD
	s_and_saveexec_b32 s22, s5
	s_cbranch_execz .LBB393_434
; %bb.429:                              ;   in Loop: Header=BB393_11 Depth=1
	v_and_b32_e32 v1, 0x7f, v31
	v_mov_b32_e32 v107, 0x7f800001
	s_mov_b32 s23, exec_lo
	v_cmpx_ne_u32_e32 0x7f, v1
	s_cbranch_execz .LBB393_433
; %bb.430:                              ;   in Loop: Header=BB393_11 Depth=1
	v_mov_b32_e32 v33, v19
	v_lshrrev_b32_e32 v0, 3, v1
	v_mov_b32_e32 v32, v18
	s_mov_b32 s24, exec_lo
	v_cmpx_gt_u32_e32 8, v1
; %bb.431:                              ;   in Loop: Header=BB393_11 Depth=1
	v_and_b32_e32 v0, 7, v31
	v_ffbh_u32_e32 v0, v0
	v_min_u32_e32 v0, 32, v0
	v_subrev_nc_u32_e32 v1, 28, v0
	v_sub_nc_u32_e32 v0, 29, v0
	v_lshlrev_b64 v[32:33], v1, v[18:19]
; %bb.432:                              ;   in Loop: Header=BB393_11 Depth=1
	s_or_b32 exec_lo, exec_lo, s24
	v_lshlrev_b32_e32 v1, 20, v32
	v_lshlrev_b32_e32 v2, 24, v18
	v_lshl_add_u32 v0, v0, 23, 0x3c000000
	v_and_b32_e32 v1, 0x700000, v1
	v_and_b32_e32 v2, 0x80000000, v2
	v_or3_b32 v107, v1, v2, v0
.LBB393_433:                            ;   in Loop: Header=BB393_11 Depth=1
	s_or_b32 exec_lo, exec_lo, s23
.LBB393_434:                            ;   in Loop: Header=BB393_11 Depth=1
	s_or_b32 exec_lo, exec_lo, s22
.LBB393_435:                            ;   in Loop: Header=BB393_11 Depth=1
	s_or_b32 exec_lo, exec_lo, s6
	v_cmp_ne_u16_sdwa s5, v18, v19 src0_sel:BYTE_1 src1_sel:DWORD
	v_mov_b32_e32 v108, 0
	v_mov_b32_e32 v109, 0
	s_and_saveexec_b32 s6, s5
	s_cbranch_execz .LBB393_443
; %bb.436:                              ;   in Loop: Header=BB393_11 Depth=1
	v_mov_b32_e32 v0, 0x80
	v_bfrev_b32_e32 v109, 1
	v_cmp_ne_u16_sdwa s5, v18, v0 src0_sel:BYTE_1 src1_sel:DWORD
	s_and_saveexec_b32 s22, s5
	s_cbranch_execz .LBB393_442
; %bb.437:                              ;   in Loop: Header=BB393_11 Depth=1
	v_mov_b32_e32 v0, 0xffff
	v_mov_b32_e32 v109, 0x7f800001
	s_mov_b32 s23, exec_lo
	v_and_b32_sdwa v0, v0, v18 dst_sel:DWORD dst_unused:UNUSED_PAD src0_sel:DWORD src1_sel:BYTE_1
	v_and_b32_e32 v1, 0x7f, v0
	v_cmpx_ne_u32_e32 0x7f, v1
	s_cbranch_execz .LBB393_441
; %bb.438:                              ;   in Loop: Header=BB393_11 Depth=1
	v_and_b32_e32 v32, 7, v0
	v_mov_b32_e32 v33, v19
	v_lshrrev_b32_e32 v0, 3, v1
	s_mov_b32 s24, exec_lo
	v_cmpx_gt_u32_e32 8, v1
; %bb.439:                              ;   in Loop: Header=BB393_11 Depth=1
	v_ffbh_u32_e32 v0, v32
	v_min_u32_e32 v0, 32, v0
	v_subrev_nc_u32_e32 v1, 28, v0
	v_sub_nc_u32_e32 v0, 29, v0
	v_lshlrev_b64 v[1:2], v1, v[32:33]
	v_and_b32_e32 v32, 7, v1
; %bb.440:                              ;   in Loop: Header=BB393_11 Depth=1
	s_or_b32 exec_lo, exec_lo, s24
	v_lshlrev_b32_e32 v1, 16, v18
	v_lshlrev_b32_e32 v2, 20, v32
	v_lshl_add_u32 v0, v0, 23, 0x3c000000
	v_and_b32_e32 v1, 0x80000000, v1
	v_or3_b32 v109, v2, v1, v0
.LBB393_441:                            ;   in Loop: Header=BB393_11 Depth=1
	s_or_b32 exec_lo, exec_lo, s23
.LBB393_442:                            ;   in Loop: Header=BB393_11 Depth=1
	s_or_b32 exec_lo, exec_lo, s22
.LBB393_443:                            ;   in Loop: Header=BB393_11 Depth=1
	s_or_b32 exec_lo, exec_lo, s6
	v_mov_b32_e32 v0, 0xff
	s_mov_b32 s6, exec_lo
	v_and_b32_sdwa v0, v31, v0 dst_sel:DWORD dst_unused:UNUSED_PAD src0_sel:WORD_1 src1_sel:DWORD
	v_cmpx_ne_u16_e32 0, v0
	s_cbranch_execz .LBB393_451
; %bb.444:                              ;   in Loop: Header=BB393_11 Depth=1
	v_bfrev_b32_e32 v108, 1
	s_mov_b32 s22, exec_lo
	v_cmpx_ne_u16_e32 0x80, v0
	s_cbranch_execz .LBB393_450
; %bb.445:                              ;   in Loop: Header=BB393_11 Depth=1
	v_bfe_u32 v1, v31, 16, 7
	v_mov_b32_e32 v108, 0x7f800001
	s_mov_b32 s23, exec_lo
	v_cmpx_ne_u32_e32 0x7f, v1
	s_cbranch_execz .LBB393_449
; %bb.446:                              ;   in Loop: Header=BB393_11 Depth=1
	v_mov_b32_e32 v0, 7
	s_mov_b32 s24, exec_lo
	v_and_b32_sdwa v18, v31, v0 dst_sel:DWORD dst_unused:UNUSED_PAD src0_sel:WORD_1 src1_sel:DWORD
	v_mov_b32_e32 v33, v19
	v_lshrrev_b32_e32 v0, 3, v1
	v_mov_b32_e32 v32, v18
	v_cmpx_gt_u32_e32 8, v1
; %bb.447:                              ;   in Loop: Header=BB393_11 Depth=1
	v_ffbh_u32_e32 v0, v18
	v_min_u32_e32 v0, 32, v0
	v_subrev_nc_u32_e32 v1, 28, v0
	v_sub_nc_u32_e32 v0, 29, v0
	v_lshlrev_b64 v[1:2], v1, v[18:19]
	v_and_b32_e32 v32, 7, v1
; %bb.448:                              ;   in Loop: Header=BB393_11 Depth=1
	s_or_b32 exec_lo, exec_lo, s24
	v_mov_b32_e32 v1, 24
	v_lshlrev_b32_e32 v2, 20, v32
	v_lshl_add_u32 v0, v0, 23, 0x3c000000
	v_lshlrev_b32_sdwa v1, v1, v31 dst_sel:DWORD dst_unused:UNUSED_PAD src0_sel:DWORD src1_sel:WORD_1
	v_and_b32_e32 v1, 0x80000000, v1
	v_or3_b32 v108, v2, v1, v0
.LBB393_449:                            ;   in Loop: Header=BB393_11 Depth=1
	s_or_b32 exec_lo, exec_lo, s23
.LBB393_450:                            ;   in Loop: Header=BB393_11 Depth=1
	s_or_b32 exec_lo, exec_lo, s22
.LBB393_451:                            ;   in Loop: Header=BB393_11 Depth=1
	s_or_b32 exec_lo, exec_lo, s6
	v_mov_b32_e32 v111, 0
	v_mov_b32_e32 v110, 0
	s_mov_b32 s6, exec_lo
	v_cmpx_lt_u64_e64 s[8:9], v[30:31]
	s_cbranch_execz .LBB393_459
; %bb.452:                              ;   in Loop: Header=BB393_11 Depth=1
	v_mov_b32_e32 v0, 0x80
	v_bfrev_b32_e32 v110, 1
	v_cmp_ne_u32_sdwa s5, v31, v0 src0_sel:BYTE_3 src1_sel:DWORD
	s_and_saveexec_b32 s22, s5
	s_cbranch_execz .LBB393_458
; %bb.453:                              ;   in Loop: Header=BB393_11 Depth=1
	v_bfe_u32 v1, v31, 24, 7
	v_mov_b32_e32 v110, 0x7f800001
	s_mov_b32 s23, exec_lo
	v_cmpx_ne_u32_e32 0x7f, v1
	s_cbranch_execz .LBB393_457
; %bb.454:                              ;   in Loop: Header=BB393_11 Depth=1
	v_mov_b32_e32 v0, 7
	s_mov_b32 s24, exec_lo
	v_and_b32_sdwa v18, v31, v0 dst_sel:DWORD dst_unused:UNUSED_PAD src0_sel:BYTE_3 src1_sel:DWORD
	v_mov_b32_e32 v33, v19
	v_lshrrev_b32_e32 v0, 3, v1
	v_mov_b32_e32 v32, v18
	v_cmpx_gt_u32_e32 8, v1
; %bb.455:                              ;   in Loop: Header=BB393_11 Depth=1
	v_ffbh_u32_e32 v0, v18
	v_min_u32_e32 v0, 32, v0
	v_subrev_nc_u32_e32 v1, 28, v0
	v_sub_nc_u32_e32 v0, 29, v0
	v_lshlrev_b64 v[1:2], v1, v[18:19]
	v_and_b32_e32 v32, 7, v1
; %bb.456:                              ;   in Loop: Header=BB393_11 Depth=1
	s_or_b32 exec_lo, exec_lo, s24
	v_mov_b32_e32 v1, 24
	v_lshlrev_b32_e32 v2, 20, v32
	v_lshl_add_u32 v0, v0, 23, 0x3c000000
	v_lshlrev_b32_sdwa v1, v1, v31 dst_sel:DWORD dst_unused:UNUSED_PAD src0_sel:DWORD src1_sel:BYTE_3
	v_and_b32_e32 v1, 0x80000000, v1
	v_or3_b32 v110, v2, v1, v0
.LBB393_457:                            ;   in Loop: Header=BB393_11 Depth=1
	s_or_b32 exec_lo, exec_lo, s23
.LBB393_458:                            ;   in Loop: Header=BB393_11 Depth=1
	s_or_b32 exec_lo, exec_lo, s22
.LBB393_459:                            ;   in Loop: Header=BB393_11 Depth=1
	s_or_b32 exec_lo, exec_lo, s6
	flat_load_dwordx2 v[30:31], v[28:29] offset:1544
	s_waitcnt vmcnt(0) lgkmcnt(0)
	v_cmp_ne_u16_sdwa s5, v30, v19 src0_sel:BYTE_0 src1_sel:DWORD
	s_and_saveexec_b32 s6, s5
	s_cbranch_execz .LBB393_467
; %bb.460:                              ;   in Loop: Header=BB393_11 Depth=1
	v_mov_b32_e32 v0, 0x80
	v_bfrev_b32_e32 v111, 1
	v_cmp_ne_u16_sdwa s5, v30, v0 src0_sel:BYTE_0 src1_sel:DWORD
	s_and_saveexec_b32 s22, s5
	s_cbranch_execz .LBB393_466
; %bb.461:                              ;   in Loop: Header=BB393_11 Depth=1
	v_and_b32_e32 v1, 0x7f, v30
	v_mov_b32_e32 v111, 0x7f800001
	s_mov_b32 s23, exec_lo
	v_cmpx_ne_u32_e32 0x7f, v1
	s_cbranch_execz .LBB393_465
; %bb.462:                              ;   in Loop: Header=BB393_11 Depth=1
	v_mov_b32_e32 v33, v31
	v_lshrrev_b32_e32 v0, 3, v1
	v_mov_b32_e32 v32, v30
	s_mov_b32 s24, exec_lo
	v_cmpx_gt_u32_e32 8, v1
; %bb.463:                              ;   in Loop: Header=BB393_11 Depth=1
	v_and_b32_e32 v0, 7, v30
	v_ffbh_u32_e32 v0, v0
	v_min_u32_e32 v0, 32, v0
	v_subrev_nc_u32_e32 v1, 28, v0
	v_sub_nc_u32_e32 v0, 29, v0
	v_lshlrev_b64 v[32:33], v1, v[30:31]
; %bb.464:                              ;   in Loop: Header=BB393_11 Depth=1
	s_or_b32 exec_lo, exec_lo, s24
	v_lshlrev_b32_e32 v1, 20, v32
	v_lshlrev_b32_e32 v2, 24, v30
	v_lshl_add_u32 v0, v0, 23, 0x3c000000
	v_and_b32_e32 v1, 0x700000, v1
	v_and_b32_e32 v2, 0x80000000, v2
	v_or3_b32 v111, v1, v2, v0
.LBB393_465:                            ;   in Loop: Header=BB393_11 Depth=1
	s_or_b32 exec_lo, exec_lo, s23
.LBB393_466:                            ;   in Loop: Header=BB393_11 Depth=1
	s_or_b32 exec_lo, exec_lo, s22
.LBB393_467:                            ;   in Loop: Header=BB393_11 Depth=1
	s_or_b32 exec_lo, exec_lo, s6
	v_cmp_ne_u16_sdwa s5, v30, v19 src0_sel:BYTE_1 src1_sel:DWORD
	v_mov_b32_e32 v121, 0
	v_mov_b32_e32 v120, 0
	s_and_saveexec_b32 s6, s5
	s_cbranch_execz .LBB393_475
; %bb.468:                              ;   in Loop: Header=BB393_11 Depth=1
	v_mov_b32_e32 v0, 0x80
	v_bfrev_b32_e32 v120, 1
	v_cmp_ne_u16_sdwa s5, v30, v0 src0_sel:BYTE_1 src1_sel:DWORD
	s_and_saveexec_b32 s22, s5
	s_cbranch_execz .LBB393_474
; %bb.469:                              ;   in Loop: Header=BB393_11 Depth=1
	v_mov_b32_e32 v0, 0xffff
	v_mov_b32_e32 v120, 0x7f800001
	s_mov_b32 s23, exec_lo
	v_and_b32_sdwa v0, v0, v30 dst_sel:DWORD dst_unused:UNUSED_PAD src0_sel:DWORD src1_sel:BYTE_1
	v_and_b32_e32 v1, 0x7f, v0
	v_cmpx_ne_u32_e32 0x7f, v1
	s_cbranch_execz .LBB393_473
; %bb.470:                              ;   in Loop: Header=BB393_11 Depth=1
	v_and_b32_e32 v18, 7, v0
	v_mov_b32_e32 v33, v19
	v_lshrrev_b32_e32 v0, 3, v1
	s_mov_b32 s24, exec_lo
	v_mov_b32_e32 v32, v18
	v_cmpx_gt_u32_e32 8, v1
; %bb.471:                              ;   in Loop: Header=BB393_11 Depth=1
	v_ffbh_u32_e32 v0, v18
	v_min_u32_e32 v0, 32, v0
	v_subrev_nc_u32_e32 v1, 28, v0
	v_sub_nc_u32_e32 v0, 29, v0
	v_lshlrev_b64 v[1:2], v1, v[18:19]
	v_and_b32_e32 v32, 7, v1
; %bb.472:                              ;   in Loop: Header=BB393_11 Depth=1
	s_or_b32 exec_lo, exec_lo, s24
	v_lshlrev_b32_e32 v1, 16, v30
	v_lshlrev_b32_e32 v2, 20, v32
	v_lshl_add_u32 v0, v0, 23, 0x3c000000
	v_and_b32_e32 v1, 0x80000000, v1
	v_or3_b32 v120, v2, v1, v0
.LBB393_473:                            ;   in Loop: Header=BB393_11 Depth=1
	s_or_b32 exec_lo, exec_lo, s23
.LBB393_474:                            ;   in Loop: Header=BB393_11 Depth=1
	s_or_b32 exec_lo, exec_lo, s22
.LBB393_475:                            ;   in Loop: Header=BB393_11 Depth=1
	s_or_b32 exec_lo, exec_lo, s6
	v_mov_b32_e32 v0, 0xff
	s_mov_b32 s6, exec_lo
	v_and_b32_sdwa v0, v30, v0 dst_sel:DWORD dst_unused:UNUSED_PAD src0_sel:WORD_1 src1_sel:DWORD
	v_cmpx_ne_u16_e32 0, v0
	s_cbranch_execz .LBB393_483
; %bb.476:                              ;   in Loop: Header=BB393_11 Depth=1
	v_bfrev_b32_e32 v121, 1
	s_mov_b32 s22, exec_lo
	v_cmpx_ne_u16_e32 0x80, v0
	s_cbranch_execz .LBB393_482
; %bb.477:                              ;   in Loop: Header=BB393_11 Depth=1
	v_bfe_u32 v1, v30, 16, 7
	v_mov_b32_e32 v121, 0x7f800001
	s_mov_b32 s23, exec_lo
	v_cmpx_ne_u32_e32 0x7f, v1
	s_cbranch_execz .LBB393_481
; %bb.478:                              ;   in Loop: Header=BB393_11 Depth=1
	v_mov_b32_e32 v0, 7
	s_mov_b32 s24, exec_lo
	v_and_b32_sdwa v18, v30, v0 dst_sel:DWORD dst_unused:UNUSED_PAD src0_sel:WORD_1 src1_sel:DWORD
	v_mov_b32_e32 v33, v19
	v_lshrrev_b32_e32 v0, 3, v1
	v_mov_b32_e32 v32, v18
	v_cmpx_gt_u32_e32 8, v1
; %bb.479:                              ;   in Loop: Header=BB393_11 Depth=1
	v_ffbh_u32_e32 v0, v18
	v_min_u32_e32 v0, 32, v0
	v_subrev_nc_u32_e32 v1, 28, v0
	v_sub_nc_u32_e32 v0, 29, v0
	v_lshlrev_b64 v[1:2], v1, v[18:19]
	v_and_b32_e32 v32, 7, v1
; %bb.480:                              ;   in Loop: Header=BB393_11 Depth=1
	s_or_b32 exec_lo, exec_lo, s24
	v_mov_b32_e32 v1, 24
	v_lshlrev_b32_e32 v2, 20, v32
	v_lshl_add_u32 v0, v0, 23, 0x3c000000
	v_lshlrev_b32_sdwa v1, v1, v30 dst_sel:DWORD dst_unused:UNUSED_PAD src0_sel:DWORD src1_sel:WORD_1
	v_and_b32_e32 v1, 0x80000000, v1
	v_or3_b32 v121, v2, v1, v0
.LBB393_481:                            ;   in Loop: Header=BB393_11 Depth=1
	s_or_b32 exec_lo, exec_lo, s23
.LBB393_482:                            ;   in Loop: Header=BB393_11 Depth=1
	s_or_b32 exec_lo, exec_lo, s22
.LBB393_483:                            ;   in Loop: Header=BB393_11 Depth=1
	s_or_b32 exec_lo, exec_lo, s6
	v_mov_b32_e32 v123, 0
	v_mov_b32_e32 v122, 0
	s_mov_b32 s6, exec_lo
	v_cmpx_lt_u32_e32 0xffffff, v30
	s_cbranch_execz .LBB393_491
; %bb.484:                              ;   in Loop: Header=BB393_11 Depth=1
	v_mov_b32_e32 v0, 0x80
	v_bfrev_b32_e32 v122, 1
	v_cmp_ne_u32_sdwa s5, v30, v0 src0_sel:BYTE_3 src1_sel:DWORD
	s_and_saveexec_b32 s22, s5
	s_cbranch_execz .LBB393_490
; %bb.485:                              ;   in Loop: Header=BB393_11 Depth=1
	v_bfe_u32 v1, v30, 24, 7
	v_mov_b32_e32 v122, 0x7f800001
	s_mov_b32 s23, exec_lo
	v_cmpx_ne_u32_e32 0x7f, v1
	s_cbranch_execz .LBB393_489
; %bb.486:                              ;   in Loop: Header=BB393_11 Depth=1
	v_mov_b32_e32 v0, 7
	s_mov_b32 s24, exec_lo
	v_and_b32_sdwa v18, v30, v0 dst_sel:DWORD dst_unused:UNUSED_PAD src0_sel:BYTE_3 src1_sel:DWORD
	v_mov_b32_e32 v33, v19
	v_lshrrev_b32_e32 v0, 3, v1
	v_mov_b32_e32 v32, v18
	v_cmpx_gt_u32_e32 8, v1
; %bb.487:                              ;   in Loop: Header=BB393_11 Depth=1
	v_ffbh_u32_e32 v0, v18
	v_min_u32_e32 v0, 32, v0
	v_subrev_nc_u32_e32 v1, 28, v0
	v_sub_nc_u32_e32 v0, 29, v0
	v_lshlrev_b64 v[1:2], v1, v[18:19]
	v_and_b32_e32 v32, 7, v1
; %bb.488:                              ;   in Loop: Header=BB393_11 Depth=1
	s_or_b32 exec_lo, exec_lo, s24
	v_mov_b32_e32 v1, 24
	v_lshlrev_b32_e32 v2, 20, v32
	v_lshl_add_u32 v0, v0, 23, 0x3c000000
	v_lshlrev_b32_sdwa v1, v1, v30 dst_sel:DWORD dst_unused:UNUSED_PAD src0_sel:DWORD src1_sel:BYTE_3
	v_and_b32_e32 v1, 0x80000000, v1
	v_or3_b32 v122, v2, v1, v0
.LBB393_489:                            ;   in Loop: Header=BB393_11 Depth=1
	s_or_b32 exec_lo, exec_lo, s23
.LBB393_490:                            ;   in Loop: Header=BB393_11 Depth=1
	s_or_b32 exec_lo, exec_lo, s22
.LBB393_491:                            ;   in Loop: Header=BB393_11 Depth=1
	s_or_b32 exec_lo, exec_lo, s6
	v_mov_b32_e32 v18, v31
	v_cmp_ne_u16_sdwa s5, v31, v19 src0_sel:BYTE_0 src1_sel:DWORD
	s_and_saveexec_b32 s6, s5
	s_cbranch_execz .LBB393_499
; %bb.492:                              ;   in Loop: Header=BB393_11 Depth=1
	v_mov_b32_e32 v0, 0x80
	v_bfrev_b32_e32 v123, 1
	v_cmp_ne_u16_sdwa s5, v31, v0 src0_sel:BYTE_0 src1_sel:DWORD
	s_and_saveexec_b32 s22, s5
	s_cbranch_execz .LBB393_498
; %bb.493:                              ;   in Loop: Header=BB393_11 Depth=1
	v_and_b32_e32 v1, 0x7f, v31
	v_mov_b32_e32 v123, 0x7f800001
	s_mov_b32 s23, exec_lo
	v_cmpx_ne_u32_e32 0x7f, v1
	s_cbranch_execz .LBB393_497
; %bb.494:                              ;   in Loop: Header=BB393_11 Depth=1
	v_mov_b32_e32 v33, v19
	v_lshrrev_b32_e32 v0, 3, v1
	v_mov_b32_e32 v32, v18
	s_mov_b32 s24, exec_lo
	v_cmpx_gt_u32_e32 8, v1
; %bb.495:                              ;   in Loop: Header=BB393_11 Depth=1
	v_and_b32_e32 v0, 7, v31
	v_ffbh_u32_e32 v0, v0
	v_min_u32_e32 v0, 32, v0
	v_subrev_nc_u32_e32 v1, 28, v0
	v_sub_nc_u32_e32 v0, 29, v0
	v_lshlrev_b64 v[32:33], v1, v[18:19]
; %bb.496:                              ;   in Loop: Header=BB393_11 Depth=1
	s_or_b32 exec_lo, exec_lo, s24
	v_lshlrev_b32_e32 v1, 20, v32
	v_lshlrev_b32_e32 v2, 24, v18
	v_lshl_add_u32 v0, v0, 23, 0x3c000000
	v_and_b32_e32 v1, 0x700000, v1
	v_and_b32_e32 v2, 0x80000000, v2
	v_or3_b32 v123, v1, v2, v0
.LBB393_497:                            ;   in Loop: Header=BB393_11 Depth=1
	s_or_b32 exec_lo, exec_lo, s23
.LBB393_498:                            ;   in Loop: Header=BB393_11 Depth=1
	s_or_b32 exec_lo, exec_lo, s22
.LBB393_499:                            ;   in Loop: Header=BB393_11 Depth=1
	s_or_b32 exec_lo, exec_lo, s6
	v_cmp_ne_u16_sdwa s5, v18, v19 src0_sel:BYTE_1 src1_sel:DWORD
	v_mov_b32_e32 v124, 0
	v_mov_b32_e32 v125, 0
	s_and_saveexec_b32 s6, s5
	s_cbranch_execz .LBB393_507
; %bb.500:                              ;   in Loop: Header=BB393_11 Depth=1
	v_mov_b32_e32 v0, 0x80
	v_bfrev_b32_e32 v125, 1
	v_cmp_ne_u16_sdwa s5, v18, v0 src0_sel:BYTE_1 src1_sel:DWORD
	s_and_saveexec_b32 s22, s5
	s_cbranch_execz .LBB393_506
; %bb.501:                              ;   in Loop: Header=BB393_11 Depth=1
	v_mov_b32_e32 v0, 0xffff
	v_mov_b32_e32 v125, 0x7f800001
	s_mov_b32 s23, exec_lo
	v_and_b32_sdwa v0, v0, v18 dst_sel:DWORD dst_unused:UNUSED_PAD src0_sel:DWORD src1_sel:BYTE_1
	v_and_b32_e32 v1, 0x7f, v0
	v_cmpx_ne_u32_e32 0x7f, v1
	s_cbranch_execz .LBB393_505
; %bb.502:                              ;   in Loop: Header=BB393_11 Depth=1
	v_and_b32_e32 v32, 7, v0
	v_mov_b32_e32 v33, v19
	v_lshrrev_b32_e32 v0, 3, v1
	s_mov_b32 s24, exec_lo
	v_cmpx_gt_u32_e32 8, v1
; %bb.503:                              ;   in Loop: Header=BB393_11 Depth=1
	v_ffbh_u32_e32 v0, v32
	v_min_u32_e32 v0, 32, v0
	v_subrev_nc_u32_e32 v1, 28, v0
	v_sub_nc_u32_e32 v0, 29, v0
	v_lshlrev_b64 v[1:2], v1, v[32:33]
	v_and_b32_e32 v32, 7, v1
; %bb.504:                              ;   in Loop: Header=BB393_11 Depth=1
	s_or_b32 exec_lo, exec_lo, s24
	v_lshlrev_b32_e32 v1, 16, v18
	v_lshlrev_b32_e32 v2, 20, v32
	v_lshl_add_u32 v0, v0, 23, 0x3c000000
	v_and_b32_e32 v1, 0x80000000, v1
	v_or3_b32 v125, v2, v1, v0
.LBB393_505:                            ;   in Loop: Header=BB393_11 Depth=1
	s_or_b32 exec_lo, exec_lo, s23
.LBB393_506:                            ;   in Loop: Header=BB393_11 Depth=1
	s_or_b32 exec_lo, exec_lo, s22
.LBB393_507:                            ;   in Loop: Header=BB393_11 Depth=1
	s_or_b32 exec_lo, exec_lo, s6
	v_mov_b32_e32 v0, 0xff
	s_mov_b32 s6, exec_lo
	v_and_b32_sdwa v0, v31, v0 dst_sel:DWORD dst_unused:UNUSED_PAD src0_sel:WORD_1 src1_sel:DWORD
	v_cmpx_ne_u16_e32 0, v0
	s_cbranch_execz .LBB393_515
; %bb.508:                              ;   in Loop: Header=BB393_11 Depth=1
	v_bfrev_b32_e32 v124, 1
	s_mov_b32 s22, exec_lo
	v_cmpx_ne_u16_e32 0x80, v0
	s_cbranch_execz .LBB393_514
; %bb.509:                              ;   in Loop: Header=BB393_11 Depth=1
	v_bfe_u32 v1, v31, 16, 7
	v_mov_b32_e32 v124, 0x7f800001
	s_mov_b32 s23, exec_lo
	v_cmpx_ne_u32_e32 0x7f, v1
	s_cbranch_execz .LBB393_513
; %bb.510:                              ;   in Loop: Header=BB393_11 Depth=1
	v_mov_b32_e32 v0, 7
	s_mov_b32 s24, exec_lo
	v_and_b32_sdwa v18, v31, v0 dst_sel:DWORD dst_unused:UNUSED_PAD src0_sel:WORD_1 src1_sel:DWORD
	v_mov_b32_e32 v33, v19
	v_lshrrev_b32_e32 v0, 3, v1
	v_mov_b32_e32 v32, v18
	v_cmpx_gt_u32_e32 8, v1
; %bb.511:                              ;   in Loop: Header=BB393_11 Depth=1
	v_ffbh_u32_e32 v0, v18
	v_min_u32_e32 v0, 32, v0
	v_subrev_nc_u32_e32 v1, 28, v0
	v_sub_nc_u32_e32 v0, 29, v0
	v_lshlrev_b64 v[1:2], v1, v[18:19]
	v_and_b32_e32 v32, 7, v1
; %bb.512:                              ;   in Loop: Header=BB393_11 Depth=1
	s_or_b32 exec_lo, exec_lo, s24
	v_mov_b32_e32 v1, 24
	v_lshlrev_b32_e32 v2, 20, v32
	v_lshl_add_u32 v0, v0, 23, 0x3c000000
	v_lshlrev_b32_sdwa v1, v1, v31 dst_sel:DWORD dst_unused:UNUSED_PAD src0_sel:DWORD src1_sel:WORD_1
	v_and_b32_e32 v1, 0x80000000, v1
	v_or3_b32 v124, v2, v1, v0
.LBB393_513:                            ;   in Loop: Header=BB393_11 Depth=1
	s_or_b32 exec_lo, exec_lo, s23
.LBB393_514:                            ;   in Loop: Header=BB393_11 Depth=1
	s_or_b32 exec_lo, exec_lo, s22
.LBB393_515:                            ;   in Loop: Header=BB393_11 Depth=1
	s_or_b32 exec_lo, exec_lo, s6
	v_mov_b32_e32 v127, 0
	v_mov_b32_e32 v126, 0
	s_mov_b32 s6, exec_lo
	v_cmpx_lt_u64_e64 s[8:9], v[30:31]
	s_cbranch_execz .LBB393_523
; %bb.516:                              ;   in Loop: Header=BB393_11 Depth=1
	v_mov_b32_e32 v0, 0x80
	v_bfrev_b32_e32 v126, 1
	v_cmp_ne_u32_sdwa s5, v31, v0 src0_sel:BYTE_3 src1_sel:DWORD
	s_and_saveexec_b32 s22, s5
	s_cbranch_execz .LBB393_522
; %bb.517:                              ;   in Loop: Header=BB393_11 Depth=1
	v_bfe_u32 v1, v31, 24, 7
	v_mov_b32_e32 v126, 0x7f800001
	s_mov_b32 s23, exec_lo
	v_cmpx_ne_u32_e32 0x7f, v1
	s_cbranch_execz .LBB393_521
; %bb.518:                              ;   in Loop: Header=BB393_11 Depth=1
	v_mov_b32_e32 v0, 7
	s_mov_b32 s24, exec_lo
	v_and_b32_sdwa v18, v31, v0 dst_sel:DWORD dst_unused:UNUSED_PAD src0_sel:BYTE_3 src1_sel:DWORD
	v_mov_b32_e32 v33, v19
	v_lshrrev_b32_e32 v0, 3, v1
	v_mov_b32_e32 v32, v18
	v_cmpx_gt_u32_e32 8, v1
; %bb.519:                              ;   in Loop: Header=BB393_11 Depth=1
	v_ffbh_u32_e32 v0, v18
	v_min_u32_e32 v0, 32, v0
	v_subrev_nc_u32_e32 v1, 28, v0
	v_sub_nc_u32_e32 v0, 29, v0
	v_lshlrev_b64 v[1:2], v1, v[18:19]
	v_and_b32_e32 v32, 7, v1
; %bb.520:                              ;   in Loop: Header=BB393_11 Depth=1
	s_or_b32 exec_lo, exec_lo, s24
	v_mov_b32_e32 v1, 24
	v_lshlrev_b32_e32 v2, 20, v32
	v_lshl_add_u32 v0, v0, 23, 0x3c000000
	v_lshlrev_b32_sdwa v1, v1, v31 dst_sel:DWORD dst_unused:UNUSED_PAD src0_sel:DWORD src1_sel:BYTE_3
	v_and_b32_e32 v1, 0x80000000, v1
	v_or3_b32 v126, v2, v1, v0
.LBB393_521:                            ;   in Loop: Header=BB393_11 Depth=1
	s_or_b32 exec_lo, exec_lo, s23
.LBB393_522:                            ;   in Loop: Header=BB393_11 Depth=1
	s_or_b32 exec_lo, exec_lo, s22
.LBB393_523:                            ;   in Loop: Header=BB393_11 Depth=1
	s_or_b32 exec_lo, exec_lo, s6
	v_add_co_u32 v28, s5, 0x800, v28
	v_add_co_ci_u32_e64 v29, null, 0, v29, s5
	flat_load_dwordx2 v[30:31], v[28:29]
	s_waitcnt vmcnt(0) lgkmcnt(0)
	v_cmp_ne_u16_sdwa s5, v30, v19 src0_sel:BYTE_0 src1_sel:DWORD
	s_and_saveexec_b32 s6, s5
	s_cbranch_execz .LBB393_531
; %bb.524:                              ;   in Loop: Header=BB393_11 Depth=1
	v_mov_b32_e32 v0, 0x80
	v_bfrev_b32_e32 v127, 1
	v_cmp_ne_u16_sdwa s5, v30, v0 src0_sel:BYTE_0 src1_sel:DWORD
	s_and_saveexec_b32 s22, s5
	s_cbranch_execz .LBB393_530
; %bb.525:                              ;   in Loop: Header=BB393_11 Depth=1
	v_and_b32_e32 v1, 0x7f, v30
	v_mov_b32_e32 v127, 0x7f800001
	s_mov_b32 s23, exec_lo
	v_cmpx_ne_u32_e32 0x7f, v1
	s_cbranch_execz .LBB393_529
; %bb.526:                              ;   in Loop: Header=BB393_11 Depth=1
	v_mov_b32_e32 v33, v31
	v_lshrrev_b32_e32 v0, 3, v1
	v_mov_b32_e32 v32, v30
	s_mov_b32 s24, exec_lo
	v_cmpx_gt_u32_e32 8, v1
; %bb.527:                              ;   in Loop: Header=BB393_11 Depth=1
	v_and_b32_e32 v0, 7, v30
	v_ffbh_u32_e32 v0, v0
	v_min_u32_e32 v0, 32, v0
	v_subrev_nc_u32_e32 v1, 28, v0
	v_sub_nc_u32_e32 v0, 29, v0
	v_lshlrev_b64 v[32:33], v1, v[30:31]
; %bb.528:                              ;   in Loop: Header=BB393_11 Depth=1
	s_or_b32 exec_lo, exec_lo, s24
	v_lshlrev_b32_e32 v1, 20, v32
	v_lshlrev_b32_e32 v2, 24, v30
	v_lshl_add_u32 v0, v0, 23, 0x3c000000
	v_and_b32_e32 v1, 0x700000, v1
	v_and_b32_e32 v2, 0x80000000, v2
	v_or3_b32 v127, v1, v2, v0
.LBB393_529:                            ;   in Loop: Header=BB393_11 Depth=1
	s_or_b32 exec_lo, exec_lo, s23
.LBB393_530:                            ;   in Loop: Header=BB393_11 Depth=1
	s_or_b32 exec_lo, exec_lo, s22
.LBB393_531:                            ;   in Loop: Header=BB393_11 Depth=1
	s_or_b32 exec_lo, exec_lo, s6
	v_cmp_ne_u16_sdwa s5, v30, v19 src0_sel:BYTE_1 src1_sel:DWORD
	v_mov_b32_e32 v5, 0
	v_mov_b32_e32 v36, 0
	s_and_saveexec_b32 s6, s5
	s_cbranch_execz .LBB393_539
; %bb.532:                              ;   in Loop: Header=BB393_11 Depth=1
	v_mov_b32_e32 v0, 0x80
	v_bfrev_b32_e32 v36, 1
	v_cmp_ne_u16_sdwa s5, v30, v0 src0_sel:BYTE_1 src1_sel:DWORD
	s_and_saveexec_b32 s22, s5
	s_cbranch_execz .LBB393_538
; %bb.533:                              ;   in Loop: Header=BB393_11 Depth=1
	v_mov_b32_e32 v0, 0xffff
	v_mov_b32_e32 v36, 0x7f800001
	s_mov_b32 s23, exec_lo
	v_and_b32_sdwa v0, v0, v30 dst_sel:DWORD dst_unused:UNUSED_PAD src0_sel:DWORD src1_sel:BYTE_1
	v_and_b32_e32 v1, 0x7f, v0
	v_cmpx_ne_u32_e32 0x7f, v1
	s_cbranch_execz .LBB393_537
; %bb.534:                              ;   in Loop: Header=BB393_11 Depth=1
	v_and_b32_e32 v18, 7, v0
	v_mov_b32_e32 v33, v19
	v_lshrrev_b32_e32 v0, 3, v1
	s_mov_b32 s24, exec_lo
	v_mov_b32_e32 v32, v18
	v_cmpx_gt_u32_e32 8, v1
; %bb.535:                              ;   in Loop: Header=BB393_11 Depth=1
	v_ffbh_u32_e32 v0, v18
	v_min_u32_e32 v0, 32, v0
	v_subrev_nc_u32_e32 v1, 28, v0
	v_sub_nc_u32_e32 v0, 29, v0
	v_lshlrev_b64 v[1:2], v1, v[18:19]
	v_and_b32_e32 v32, 7, v1
; %bb.536:                              ;   in Loop: Header=BB393_11 Depth=1
	s_or_b32 exec_lo, exec_lo, s24
	v_lshlrev_b32_e32 v1, 16, v30
	v_lshlrev_b32_e32 v2, 20, v32
	v_lshl_add_u32 v0, v0, 23, 0x3c000000
	v_and_b32_e32 v1, 0x80000000, v1
	v_or3_b32 v36, v2, v1, v0
.LBB393_537:                            ;   in Loop: Header=BB393_11 Depth=1
	s_or_b32 exec_lo, exec_lo, s23
.LBB393_538:                            ;   in Loop: Header=BB393_11 Depth=1
	s_or_b32 exec_lo, exec_lo, s22
.LBB393_539:                            ;   in Loop: Header=BB393_11 Depth=1
	s_or_b32 exec_lo, exec_lo, s6
	v_mov_b32_e32 v0, 0xff
	s_mov_b32 s6, exec_lo
	v_and_b32_sdwa v0, v30, v0 dst_sel:DWORD dst_unused:UNUSED_PAD src0_sel:WORD_1 src1_sel:DWORD
	v_cmpx_ne_u16_e32 0, v0
	s_cbranch_execz .LBB393_547
; %bb.540:                              ;   in Loop: Header=BB393_11 Depth=1
	v_bfrev_b32_e32 v5, 1
	s_mov_b32 s22, exec_lo
	v_cmpx_ne_u16_e32 0x80, v0
	s_cbranch_execz .LBB393_546
; %bb.541:                              ;   in Loop: Header=BB393_11 Depth=1
	v_bfe_u32 v1, v30, 16, 7
	v_mov_b32_e32 v5, 0x7f800001
	s_mov_b32 s23, exec_lo
	v_cmpx_ne_u32_e32 0x7f, v1
	s_cbranch_execz .LBB393_545
; %bb.542:                              ;   in Loop: Header=BB393_11 Depth=1
	v_mov_b32_e32 v0, 7
	s_mov_b32 s24, exec_lo
	v_and_b32_sdwa v18, v30, v0 dst_sel:DWORD dst_unused:UNUSED_PAD src0_sel:WORD_1 src1_sel:DWORD
	v_mov_b32_e32 v33, v19
	v_lshrrev_b32_e32 v0, 3, v1
	v_mov_b32_e32 v32, v18
	v_cmpx_gt_u32_e32 8, v1
; %bb.543:                              ;   in Loop: Header=BB393_11 Depth=1
	v_ffbh_u32_e32 v0, v18
	v_min_u32_e32 v0, 32, v0
	v_subrev_nc_u32_e32 v1, 28, v0
	v_sub_nc_u32_e32 v0, 29, v0
	v_lshlrev_b64 v[1:2], v1, v[18:19]
	v_and_b32_e32 v32, 7, v1
; %bb.544:                              ;   in Loop: Header=BB393_11 Depth=1
	s_or_b32 exec_lo, exec_lo, s24
	v_mov_b32_e32 v1, 24
	v_lshlrev_b32_e32 v2, 20, v32
	v_lshl_add_u32 v0, v0, 23, 0x3c000000
	v_lshlrev_b32_sdwa v1, v1, v30 dst_sel:DWORD dst_unused:UNUSED_PAD src0_sel:DWORD src1_sel:WORD_1
	v_and_b32_e32 v1, 0x80000000, v1
	v_or3_b32 v5, v2, v1, v0
.LBB393_545:                            ;   in Loop: Header=BB393_11 Depth=1
	s_or_b32 exec_lo, exec_lo, s23
.LBB393_546:                            ;   in Loop: Header=BB393_11 Depth=1
	s_or_b32 exec_lo, exec_lo, s22
.LBB393_547:                            ;   in Loop: Header=BB393_11 Depth=1
	s_or_b32 exec_lo, exec_lo, s6
	v_mov_b32_e32 v39, 0
	v_mov_b32_e32 v4, 0
	s_mov_b32 s6, exec_lo
	v_cmpx_lt_u32_e32 0xffffff, v30
	s_cbranch_execz .LBB393_555
; %bb.548:                              ;   in Loop: Header=BB393_11 Depth=1
	v_mov_b32_e32 v0, 0x80
	v_bfrev_b32_e32 v4, 1
	v_cmp_ne_u32_sdwa s5, v30, v0 src0_sel:BYTE_3 src1_sel:DWORD
	s_and_saveexec_b32 s22, s5
	s_cbranch_execz .LBB393_554
; %bb.549:                              ;   in Loop: Header=BB393_11 Depth=1
	v_bfe_u32 v1, v30, 24, 7
	v_mov_b32_e32 v4, 0x7f800001
	s_mov_b32 s23, exec_lo
	v_cmpx_ne_u32_e32 0x7f, v1
	s_cbranch_execz .LBB393_553
; %bb.550:                              ;   in Loop: Header=BB393_11 Depth=1
	v_mov_b32_e32 v0, 7
	s_mov_b32 s24, exec_lo
	v_and_b32_sdwa v18, v30, v0 dst_sel:DWORD dst_unused:UNUSED_PAD src0_sel:BYTE_3 src1_sel:DWORD
	v_mov_b32_e32 v33, v19
	v_lshrrev_b32_e32 v0, 3, v1
	v_mov_b32_e32 v32, v18
	v_cmpx_gt_u32_e32 8, v1
; %bb.551:                              ;   in Loop: Header=BB393_11 Depth=1
	v_ffbh_u32_e32 v0, v18
	v_min_u32_e32 v0, 32, v0
	v_subrev_nc_u32_e32 v1, 28, v0
	v_sub_nc_u32_e32 v0, 29, v0
	v_lshlrev_b64 v[1:2], v1, v[18:19]
	v_and_b32_e32 v32, 7, v1
; %bb.552:                              ;   in Loop: Header=BB393_11 Depth=1
	s_or_b32 exec_lo, exec_lo, s24
	v_mov_b32_e32 v1, 24
	v_lshlrev_b32_e32 v2, 20, v32
	v_lshl_add_u32 v0, v0, 23, 0x3c000000
	v_lshlrev_b32_sdwa v1, v1, v30 dst_sel:DWORD dst_unused:UNUSED_PAD src0_sel:DWORD src1_sel:BYTE_3
	v_and_b32_e32 v1, 0x80000000, v1
	v_or3_b32 v4, v2, v1, v0
.LBB393_553:                            ;   in Loop: Header=BB393_11 Depth=1
	s_or_b32 exec_lo, exec_lo, s23
.LBB393_554:                            ;   in Loop: Header=BB393_11 Depth=1
	s_or_b32 exec_lo, exec_lo, s22
.LBB393_555:                            ;   in Loop: Header=BB393_11 Depth=1
	s_or_b32 exec_lo, exec_lo, s6
	v_mov_b32_e32 v18, v31
	v_cmp_ne_u16_sdwa s5, v31, v19 src0_sel:BYTE_0 src1_sel:DWORD
	s_and_saveexec_b32 s6, s5
	s_cbranch_execz .LBB393_563
; %bb.556:                              ;   in Loop: Header=BB393_11 Depth=1
	v_mov_b32_e32 v0, 0x80
	v_bfrev_b32_e32 v39, 1
	v_cmp_ne_u16_sdwa s5, v31, v0 src0_sel:BYTE_0 src1_sel:DWORD
	s_and_saveexec_b32 s22, s5
	s_cbranch_execz .LBB393_562
; %bb.557:                              ;   in Loop: Header=BB393_11 Depth=1
	v_and_b32_e32 v1, 0x7f, v31
	v_mov_b32_e32 v39, 0x7f800001
	s_mov_b32 s23, exec_lo
	v_cmpx_ne_u32_e32 0x7f, v1
	s_cbranch_execz .LBB393_561
; %bb.558:                              ;   in Loop: Header=BB393_11 Depth=1
	v_mov_b32_e32 v33, v19
	v_lshrrev_b32_e32 v0, 3, v1
	v_mov_b32_e32 v32, v18
	s_mov_b32 s24, exec_lo
	v_cmpx_gt_u32_e32 8, v1
; %bb.559:                              ;   in Loop: Header=BB393_11 Depth=1
	v_and_b32_e32 v0, 7, v31
	v_ffbh_u32_e32 v0, v0
	v_min_u32_e32 v0, 32, v0
	v_subrev_nc_u32_e32 v1, 28, v0
	v_sub_nc_u32_e32 v0, 29, v0
	v_lshlrev_b64 v[32:33], v1, v[18:19]
; %bb.560:                              ;   in Loop: Header=BB393_11 Depth=1
	s_or_b32 exec_lo, exec_lo, s24
	v_lshlrev_b32_e32 v1, 20, v32
	v_lshlrev_b32_e32 v2, 24, v18
	v_lshl_add_u32 v0, v0, 23, 0x3c000000
	v_and_b32_e32 v1, 0x700000, v1
	v_and_b32_e32 v2, 0x80000000, v2
	v_or3_b32 v39, v1, v2, v0
.LBB393_561:                            ;   in Loop: Header=BB393_11 Depth=1
	s_or_b32 exec_lo, exec_lo, s23
.LBB393_562:                            ;   in Loop: Header=BB393_11 Depth=1
	s_or_b32 exec_lo, exec_lo, s22
.LBB393_563:                            ;   in Loop: Header=BB393_11 Depth=1
	s_or_b32 exec_lo, exec_lo, s6
	v_cmp_ne_u16_sdwa s5, v18, v19 src0_sel:BYTE_1 src1_sel:DWORD
	v_mov_b32_e32 v37, 0
	v_mov_b32_e32 v65, 0
	s_and_saveexec_b32 s6, s5
	s_cbranch_execz .LBB393_571
; %bb.564:                              ;   in Loop: Header=BB393_11 Depth=1
	v_mov_b32_e32 v0, 0x80
	v_bfrev_b32_e32 v65, 1
	v_cmp_ne_u16_sdwa s5, v18, v0 src0_sel:BYTE_1 src1_sel:DWORD
	s_and_saveexec_b32 s22, s5
	s_cbranch_execz .LBB393_570
; %bb.565:                              ;   in Loop: Header=BB393_11 Depth=1
	v_mov_b32_e32 v0, 0xffff
	v_mov_b32_e32 v65, 0x7f800001
	s_mov_b32 s23, exec_lo
	v_and_b32_sdwa v0, v0, v18 dst_sel:DWORD dst_unused:UNUSED_PAD src0_sel:DWORD src1_sel:BYTE_1
	v_and_b32_e32 v1, 0x7f, v0
	v_cmpx_ne_u32_e32 0x7f, v1
	s_cbranch_execz .LBB393_569
; %bb.566:                              ;   in Loop: Header=BB393_11 Depth=1
	v_and_b32_e32 v32, 7, v0
	v_mov_b32_e32 v33, v19
	v_lshrrev_b32_e32 v0, 3, v1
	s_mov_b32 s24, exec_lo
	v_cmpx_gt_u32_e32 8, v1
; %bb.567:                              ;   in Loop: Header=BB393_11 Depth=1
	v_ffbh_u32_e32 v0, v32
	v_min_u32_e32 v0, 32, v0
	v_subrev_nc_u32_e32 v1, 28, v0
	v_sub_nc_u32_e32 v0, 29, v0
	v_lshlrev_b64 v[1:2], v1, v[32:33]
	v_and_b32_e32 v32, 7, v1
; %bb.568:                              ;   in Loop: Header=BB393_11 Depth=1
	s_or_b32 exec_lo, exec_lo, s24
	v_lshlrev_b32_e32 v1, 16, v18
	v_lshlrev_b32_e32 v2, 20, v32
	v_lshl_add_u32 v0, v0, 23, 0x3c000000
	v_and_b32_e32 v1, 0x80000000, v1
	v_or3_b32 v65, v2, v1, v0
.LBB393_569:                            ;   in Loop: Header=BB393_11 Depth=1
	s_or_b32 exec_lo, exec_lo, s23
.LBB393_570:                            ;   in Loop: Header=BB393_11 Depth=1
	s_or_b32 exec_lo, exec_lo, s22
.LBB393_571:                            ;   in Loop: Header=BB393_11 Depth=1
	s_or_b32 exec_lo, exec_lo, s6
	v_mov_b32_e32 v0, 0xff
	s_mov_b32 s6, exec_lo
	v_and_b32_sdwa v0, v31, v0 dst_sel:DWORD dst_unused:UNUSED_PAD src0_sel:WORD_1 src1_sel:DWORD
	v_cmpx_ne_u16_e32 0, v0
	s_cbranch_execz .LBB393_579
; %bb.572:                              ;   in Loop: Header=BB393_11 Depth=1
	v_bfrev_b32_e32 v37, 1
	s_mov_b32 s22, exec_lo
	v_cmpx_ne_u16_e32 0x80, v0
	s_cbranch_execz .LBB393_578
; %bb.573:                              ;   in Loop: Header=BB393_11 Depth=1
	v_bfe_u32 v1, v31, 16, 7
	v_mov_b32_e32 v37, 0x7f800001
	s_mov_b32 s23, exec_lo
	v_cmpx_ne_u32_e32 0x7f, v1
	s_cbranch_execz .LBB393_577
; %bb.574:                              ;   in Loop: Header=BB393_11 Depth=1
	v_mov_b32_e32 v0, 7
	s_mov_b32 s24, exec_lo
	v_and_b32_sdwa v18, v31, v0 dst_sel:DWORD dst_unused:UNUSED_PAD src0_sel:WORD_1 src1_sel:DWORD
	v_mov_b32_e32 v33, v19
	v_lshrrev_b32_e32 v0, 3, v1
	v_mov_b32_e32 v32, v18
	v_cmpx_gt_u32_e32 8, v1
; %bb.575:                              ;   in Loop: Header=BB393_11 Depth=1
	v_ffbh_u32_e32 v0, v18
	v_min_u32_e32 v0, 32, v0
	v_subrev_nc_u32_e32 v1, 28, v0
	v_sub_nc_u32_e32 v0, 29, v0
	v_lshlrev_b64 v[1:2], v1, v[18:19]
	v_and_b32_e32 v32, 7, v1
; %bb.576:                              ;   in Loop: Header=BB393_11 Depth=1
	s_or_b32 exec_lo, exec_lo, s24
	v_mov_b32_e32 v1, 24
	v_lshlrev_b32_e32 v2, 20, v32
	v_lshl_add_u32 v0, v0, 23, 0x3c000000
	v_lshlrev_b32_sdwa v1, v1, v31 dst_sel:DWORD dst_unused:UNUSED_PAD src0_sel:DWORD src1_sel:WORD_1
	v_and_b32_e32 v1, 0x80000000, v1
	v_or3_b32 v37, v2, v1, v0
.LBB393_577:                            ;   in Loop: Header=BB393_11 Depth=1
	s_or_b32 exec_lo, exec_lo, s23
.LBB393_578:                            ;   in Loop: Header=BB393_11 Depth=1
	s_or_b32 exec_lo, exec_lo, s22
.LBB393_579:                            ;   in Loop: Header=BB393_11 Depth=1
	s_or_b32 exec_lo, exec_lo, s6
	v_mov_b32_e32 v11, 0
	v_mov_b32_e32 v12, 0
	s_mov_b32 s6, exec_lo
	v_cmpx_lt_u64_e64 s[8:9], v[30:31]
	s_cbranch_execz .LBB393_587
; %bb.580:                              ;   in Loop: Header=BB393_11 Depth=1
	v_mov_b32_e32 v0, 0x80
	v_bfrev_b32_e32 v12, 1
	v_cmp_ne_u32_sdwa s5, v31, v0 src0_sel:BYTE_3 src1_sel:DWORD
	s_and_saveexec_b32 s22, s5
	s_cbranch_execz .LBB393_586
; %bb.581:                              ;   in Loop: Header=BB393_11 Depth=1
	v_bfe_u32 v1, v31, 24, 7
	v_mov_b32_e32 v12, 0x7f800001
	s_mov_b32 s23, exec_lo
	v_cmpx_ne_u32_e32 0x7f, v1
	s_cbranch_execz .LBB393_585
; %bb.582:                              ;   in Loop: Header=BB393_11 Depth=1
	v_mov_b32_e32 v0, 7
	s_mov_b32 s24, exec_lo
	v_and_b32_sdwa v18, v31, v0 dst_sel:DWORD dst_unused:UNUSED_PAD src0_sel:BYTE_3 src1_sel:DWORD
	v_mov_b32_e32 v33, v19
	v_lshrrev_b32_e32 v0, 3, v1
	v_mov_b32_e32 v32, v18
	v_cmpx_gt_u32_e32 8, v1
; %bb.583:                              ;   in Loop: Header=BB393_11 Depth=1
	v_ffbh_u32_e32 v0, v18
	v_min_u32_e32 v0, 32, v0
	v_subrev_nc_u32_e32 v1, 28, v0
	v_sub_nc_u32_e32 v0, 29, v0
	v_lshlrev_b64 v[1:2], v1, v[18:19]
	v_and_b32_e32 v32, 7, v1
; %bb.584:                              ;   in Loop: Header=BB393_11 Depth=1
	s_or_b32 exec_lo, exec_lo, s24
	v_mov_b32_e32 v1, 24
	v_lshlrev_b32_e32 v2, 20, v32
	v_lshl_add_u32 v0, v0, 23, 0x3c000000
	v_lshlrev_b32_sdwa v1, v1, v31 dst_sel:DWORD dst_unused:UNUSED_PAD src0_sel:DWORD src1_sel:BYTE_3
	v_and_b32_e32 v1, 0x80000000, v1
	v_or3_b32 v12, v2, v1, v0
.LBB393_585:                            ;   in Loop: Header=BB393_11 Depth=1
	s_or_b32 exec_lo, exec_lo, s23
.LBB393_586:                            ;   in Loop: Header=BB393_11 Depth=1
	s_or_b32 exec_lo, exec_lo, s22
.LBB393_587:                            ;   in Loop: Header=BB393_11 Depth=1
	s_or_b32 exec_lo, exec_lo, s6
	flat_load_dwordx2 v[30:31], v[28:29] offset:8
	s_waitcnt vmcnt(0) lgkmcnt(0)
	v_cmp_ne_u16_sdwa s5, v30, v19 src0_sel:BYTE_0 src1_sel:DWORD
	s_and_saveexec_b32 s6, s5
	s_cbranch_execz .LBB393_595
; %bb.588:                              ;   in Loop: Header=BB393_11 Depth=1
	v_mov_b32_e32 v0, 0x80
	v_bfrev_b32_e32 v11, 1
	v_cmp_ne_u16_sdwa s5, v30, v0 src0_sel:BYTE_0 src1_sel:DWORD
	s_and_saveexec_b32 s22, s5
	s_cbranch_execz .LBB393_594
; %bb.589:                              ;   in Loop: Header=BB393_11 Depth=1
	v_and_b32_e32 v1, 0x7f, v30
	v_mov_b32_e32 v11, 0x7f800001
	s_mov_b32 s23, exec_lo
	v_cmpx_ne_u32_e32 0x7f, v1
	s_cbranch_execz .LBB393_593
; %bb.590:                              ;   in Loop: Header=BB393_11 Depth=1
	v_mov_b32_e32 v33, v31
	v_lshrrev_b32_e32 v0, 3, v1
	v_mov_b32_e32 v32, v30
	s_mov_b32 s24, exec_lo
	v_cmpx_gt_u32_e32 8, v1
; %bb.591:                              ;   in Loop: Header=BB393_11 Depth=1
	v_and_b32_e32 v0, 7, v30
	v_ffbh_u32_e32 v0, v0
	v_min_u32_e32 v0, 32, v0
	v_subrev_nc_u32_e32 v1, 28, v0
	v_sub_nc_u32_e32 v0, 29, v0
	v_lshlrev_b64 v[32:33], v1, v[30:31]
; %bb.592:                              ;   in Loop: Header=BB393_11 Depth=1
	s_or_b32 exec_lo, exec_lo, s24
	v_lshlrev_b32_e32 v1, 20, v32
	v_lshlrev_b32_e32 v2, 24, v30
	v_lshl_add_u32 v0, v0, 23, 0x3c000000
	v_and_b32_e32 v1, 0x700000, v1
	v_and_b32_e32 v2, 0x80000000, v2
	v_or3_b32 v11, v1, v2, v0
.LBB393_593:                            ;   in Loop: Header=BB393_11 Depth=1
	s_or_b32 exec_lo, exec_lo, s23
.LBB393_594:                            ;   in Loop: Header=BB393_11 Depth=1
	s_or_b32 exec_lo, exec_lo, s22
.LBB393_595:                            ;   in Loop: Header=BB393_11 Depth=1
	s_or_b32 exec_lo, exec_lo, s6
	v_cmp_ne_u16_sdwa s5, v30, v19 src0_sel:BYTE_1 src1_sel:DWORD
	v_mov_b32_e32 v6, 0
	v_mov_b32_e32 v10, 0
	s_and_saveexec_b32 s6, s5
	s_cbranch_execz .LBB393_603
; %bb.596:                              ;   in Loop: Header=BB393_11 Depth=1
	v_mov_b32_e32 v0, 0x80
	v_bfrev_b32_e32 v10, 1
	v_cmp_ne_u16_sdwa s5, v30, v0 src0_sel:BYTE_1 src1_sel:DWORD
	s_and_saveexec_b32 s22, s5
	s_cbranch_execz .LBB393_602
; %bb.597:                              ;   in Loop: Header=BB393_11 Depth=1
	v_mov_b32_e32 v0, 0xffff
	v_mov_b32_e32 v10, 0x7f800001
	s_mov_b32 s23, exec_lo
	v_and_b32_sdwa v0, v0, v30 dst_sel:DWORD dst_unused:UNUSED_PAD src0_sel:DWORD src1_sel:BYTE_1
	v_and_b32_e32 v1, 0x7f, v0
	v_cmpx_ne_u32_e32 0x7f, v1
	s_cbranch_execz .LBB393_601
; %bb.598:                              ;   in Loop: Header=BB393_11 Depth=1
	v_and_b32_e32 v18, 7, v0
	v_mov_b32_e32 v33, v19
	v_lshrrev_b32_e32 v0, 3, v1
	s_mov_b32 s24, exec_lo
	v_mov_b32_e32 v32, v18
	v_cmpx_gt_u32_e32 8, v1
; %bb.599:                              ;   in Loop: Header=BB393_11 Depth=1
	v_ffbh_u32_e32 v0, v18
	v_min_u32_e32 v0, 32, v0
	v_subrev_nc_u32_e32 v1, 28, v0
	v_sub_nc_u32_e32 v0, 29, v0
	v_lshlrev_b64 v[1:2], v1, v[18:19]
	v_and_b32_e32 v32, 7, v1
; %bb.600:                              ;   in Loop: Header=BB393_11 Depth=1
	s_or_b32 exec_lo, exec_lo, s24
	v_lshlrev_b32_e32 v1, 16, v30
	v_lshlrev_b32_e32 v2, 20, v32
	v_lshl_add_u32 v0, v0, 23, 0x3c000000
	v_and_b32_e32 v1, 0x80000000, v1
	v_or3_b32 v10, v2, v1, v0
.LBB393_601:                            ;   in Loop: Header=BB393_11 Depth=1
	s_or_b32 exec_lo, exec_lo, s23
.LBB393_602:                            ;   in Loop: Header=BB393_11 Depth=1
	s_or_b32 exec_lo, exec_lo, s22
.LBB393_603:                            ;   in Loop: Header=BB393_11 Depth=1
	s_or_b32 exec_lo, exec_lo, s6
	v_mov_b32_e32 v0, 0xff
	s_mov_b32 s6, exec_lo
	v_and_b32_sdwa v0, v30, v0 dst_sel:DWORD dst_unused:UNUSED_PAD src0_sel:WORD_1 src1_sel:DWORD
	v_cmpx_ne_u16_e32 0, v0
	s_cbranch_execz .LBB393_611
; %bb.604:                              ;   in Loop: Header=BB393_11 Depth=1
	v_bfrev_b32_e32 v6, 1
	s_mov_b32 s22, exec_lo
	v_cmpx_ne_u16_e32 0x80, v0
	s_cbranch_execz .LBB393_610
; %bb.605:                              ;   in Loop: Header=BB393_11 Depth=1
	v_bfe_u32 v1, v30, 16, 7
	v_mov_b32_e32 v6, 0x7f800001
	s_mov_b32 s23, exec_lo
	v_cmpx_ne_u32_e32 0x7f, v1
	s_cbranch_execz .LBB393_609
; %bb.606:                              ;   in Loop: Header=BB393_11 Depth=1
	v_mov_b32_e32 v0, 7
	s_mov_b32 s24, exec_lo
	v_and_b32_sdwa v18, v30, v0 dst_sel:DWORD dst_unused:UNUSED_PAD src0_sel:WORD_1 src1_sel:DWORD
	v_mov_b32_e32 v33, v19
	v_lshrrev_b32_e32 v0, 3, v1
	v_mov_b32_e32 v32, v18
	v_cmpx_gt_u32_e32 8, v1
; %bb.607:                              ;   in Loop: Header=BB393_11 Depth=1
	v_ffbh_u32_e32 v0, v18
	v_min_u32_e32 v0, 32, v0
	v_subrev_nc_u32_e32 v1, 28, v0
	v_sub_nc_u32_e32 v0, 29, v0
	v_lshlrev_b64 v[1:2], v1, v[18:19]
	v_and_b32_e32 v32, 7, v1
; %bb.608:                              ;   in Loop: Header=BB393_11 Depth=1
	s_or_b32 exec_lo, exec_lo, s24
	v_mov_b32_e32 v1, 24
	v_lshlrev_b32_e32 v2, 20, v32
	v_lshl_add_u32 v0, v0, 23, 0x3c000000
	v_lshlrev_b32_sdwa v1, v1, v30 dst_sel:DWORD dst_unused:UNUSED_PAD src0_sel:DWORD src1_sel:WORD_1
	v_and_b32_e32 v1, 0x80000000, v1
	v_or3_b32 v6, v2, v1, v0
.LBB393_609:                            ;   in Loop: Header=BB393_11 Depth=1
	s_or_b32 exec_lo, exec_lo, s23
.LBB393_610:                            ;   in Loop: Header=BB393_11 Depth=1
	s_or_b32 exec_lo, exec_lo, s22
.LBB393_611:                            ;   in Loop: Header=BB393_11 Depth=1
	s_or_b32 exec_lo, exec_lo, s6
	v_mov_b32_e32 v2, 0
	v_mov_b32_e32 v7, 0
	s_mov_b32 s6, exec_lo
	v_cmpx_lt_u32_e32 0xffffff, v30
	s_cbranch_execz .LBB393_619
; %bb.612:                              ;   in Loop: Header=BB393_11 Depth=1
	v_mov_b32_e32 v0, 0x80
	v_bfrev_b32_e32 v7, 1
	v_cmp_ne_u32_sdwa s5, v30, v0 src0_sel:BYTE_3 src1_sel:DWORD
	s_and_saveexec_b32 s22, s5
	s_cbranch_execz .LBB393_618
; %bb.613:                              ;   in Loop: Header=BB393_11 Depth=1
	v_bfe_u32 v1, v30, 24, 7
	v_mov_b32_e32 v7, 0x7f800001
	s_mov_b32 s23, exec_lo
	v_cmpx_ne_u32_e32 0x7f, v1
	s_cbranch_execz .LBB393_617
; %bb.614:                              ;   in Loop: Header=BB393_11 Depth=1
	v_mov_b32_e32 v0, 7
	s_mov_b32 s24, exec_lo
	v_and_b32_sdwa v18, v30, v0 dst_sel:DWORD dst_unused:UNUSED_PAD src0_sel:BYTE_3 src1_sel:DWORD
	v_mov_b32_e32 v33, v19
	v_lshrrev_b32_e32 v0, 3, v1
	v_mov_b32_e32 v32, v18
	v_cmpx_gt_u32_e32 8, v1
; %bb.615:                              ;   in Loop: Header=BB393_11 Depth=1
	v_ffbh_u32_e32 v0, v18
	v_min_u32_e32 v0, 32, v0
	v_subrev_nc_u32_e32 v1, 28, v0
	v_sub_nc_u32_e32 v0, 29, v0
	v_lshlrev_b64 v[7:8], v1, v[18:19]
	v_and_b32_e32 v32, 7, v7
; %bb.616:                              ;   in Loop: Header=BB393_11 Depth=1
	s_or_b32 exec_lo, exec_lo, s24
	v_mov_b32_e32 v1, 24
	v_lshlrev_b32_e32 v3, 20, v32
	v_lshl_add_u32 v0, v0, 23, 0x3c000000
	v_lshlrev_b32_sdwa v1, v1, v30 dst_sel:DWORD dst_unused:UNUSED_PAD src0_sel:DWORD src1_sel:BYTE_3
	v_and_b32_e32 v1, 0x80000000, v1
	v_or3_b32 v7, v3, v1, v0
.LBB393_617:                            ;   in Loop: Header=BB393_11 Depth=1
	s_or_b32 exec_lo, exec_lo, s23
.LBB393_618:                            ;   in Loop: Header=BB393_11 Depth=1
	s_or_b32 exec_lo, exec_lo, s22
.LBB393_619:                            ;   in Loop: Header=BB393_11 Depth=1
	s_or_b32 exec_lo, exec_lo, s6
	v_mov_b32_e32 v18, v31
	v_cmp_ne_u16_sdwa s5, v31, v19 src0_sel:BYTE_0 src1_sel:DWORD
	s_and_saveexec_b32 s6, s5
	s_cbranch_execz .LBB393_627
; %bb.620:                              ;   in Loop: Header=BB393_11 Depth=1
	v_mov_b32_e32 v0, 0x80
	v_bfrev_b32_e32 v2, 1
	v_cmp_ne_u16_sdwa s5, v31, v0 src0_sel:BYTE_0 src1_sel:DWORD
	s_and_saveexec_b32 s22, s5
	s_cbranch_execz .LBB393_626
; %bb.621:                              ;   in Loop: Header=BB393_11 Depth=1
	v_and_b32_e32 v1, 0x7f, v31
	v_mov_b32_e32 v2, 0x7f800001
	s_mov_b32 s23, exec_lo
	v_cmpx_ne_u32_e32 0x7f, v1
	s_cbranch_execz .LBB393_625
; %bb.622:                              ;   in Loop: Header=BB393_11 Depth=1
	v_mov_b32_e32 v33, v19
	v_lshrrev_b32_e32 v0, 3, v1
	v_mov_b32_e32 v32, v18
	s_mov_b32 s24, exec_lo
	v_cmpx_gt_u32_e32 8, v1
; %bb.623:                              ;   in Loop: Header=BB393_11 Depth=1
	v_and_b32_e32 v0, 7, v31
	v_ffbh_u32_e32 v0, v0
	v_min_u32_e32 v0, 32, v0
	v_subrev_nc_u32_e32 v1, 28, v0
	v_sub_nc_u32_e32 v0, 29, v0
	v_lshlrev_b64 v[32:33], v1, v[18:19]
; %bb.624:                              ;   in Loop: Header=BB393_11 Depth=1
	s_or_b32 exec_lo, exec_lo, s24
	v_lshlrev_b32_e32 v1, 20, v32
	v_lshlrev_b32_e32 v2, 24, v18
	v_lshl_add_u32 v0, v0, 23, 0x3c000000
	v_and_b32_e32 v1, 0x700000, v1
	v_and_b32_e32 v2, 0x80000000, v2
	v_or3_b32 v2, v1, v2, v0
.LBB393_625:                            ;   in Loop: Header=BB393_11 Depth=1
	s_or_b32 exec_lo, exec_lo, s23
.LBB393_626:                            ;   in Loop: Header=BB393_11 Depth=1
	s_or_b32 exec_lo, exec_lo, s22
.LBB393_627:                            ;   in Loop: Header=BB393_11 Depth=1
	s_or_b32 exec_lo, exec_lo, s6
	v_cmp_ne_u16_sdwa s5, v18, v19 src0_sel:BYTE_1 src1_sel:DWORD
	v_mov_b32_e32 v3, 0
	v_mov_b32_e32 v14, 0
	s_and_saveexec_b32 s6, s5
	s_cbranch_execz .LBB393_635
; %bb.628:                              ;   in Loop: Header=BB393_11 Depth=1
	v_mov_b32_e32 v0, 0x80
	v_bfrev_b32_e32 v14, 1
	v_cmp_ne_u16_sdwa s5, v18, v0 src0_sel:BYTE_1 src1_sel:DWORD
	s_and_saveexec_b32 s22, s5
	s_cbranch_execz .LBB393_634
; %bb.629:                              ;   in Loop: Header=BB393_11 Depth=1
	v_mov_b32_e32 v0, 0xffff
	v_mov_b32_e32 v14, 0x7f800001
	s_mov_b32 s23, exec_lo
	v_and_b32_sdwa v0, v0, v18 dst_sel:DWORD dst_unused:UNUSED_PAD src0_sel:DWORD src1_sel:BYTE_1
	v_and_b32_e32 v1, 0x7f, v0
	v_cmpx_ne_u32_e32 0x7f, v1
	s_cbranch_execz .LBB393_633
; %bb.630:                              ;   in Loop: Header=BB393_11 Depth=1
	v_and_b32_e32 v32, 7, v0
	v_mov_b32_e32 v33, v19
	v_lshrrev_b32_e32 v0, 3, v1
	s_mov_b32 s24, exec_lo
	v_cmpx_gt_u32_e32 8, v1
; %bb.631:                              ;   in Loop: Header=BB393_11 Depth=1
	v_ffbh_u32_e32 v0, v32
	v_min_u32_e32 v0, 32, v0
	v_subrev_nc_u32_e32 v1, 28, v0
	v_sub_nc_u32_e32 v0, 29, v0
	v_lshlrev_b64 v[8:9], v1, v[32:33]
	v_and_b32_e32 v32, 7, v8
; %bb.632:                              ;   in Loop: Header=BB393_11 Depth=1
	s_or_b32 exec_lo, exec_lo, s24
	v_lshlrev_b32_e32 v1, 16, v18
	v_lshlrev_b32_e32 v8, 20, v32
	v_lshl_add_u32 v0, v0, 23, 0x3c000000
	v_and_b32_e32 v1, 0x80000000, v1
	v_or3_b32 v14, v8, v1, v0
.LBB393_633:                            ;   in Loop: Header=BB393_11 Depth=1
	s_or_b32 exec_lo, exec_lo, s23
.LBB393_634:                            ;   in Loop: Header=BB393_11 Depth=1
	s_or_b32 exec_lo, exec_lo, s22
.LBB393_635:                            ;   in Loop: Header=BB393_11 Depth=1
	s_or_b32 exec_lo, exec_lo, s6
	v_mov_b32_e32 v0, 0xff
	s_mov_b32 s6, exec_lo
	v_and_b32_sdwa v0, v31, v0 dst_sel:DWORD dst_unused:UNUSED_PAD src0_sel:WORD_1 src1_sel:DWORD
	v_cmpx_ne_u16_e32 0, v0
	s_cbranch_execz .LBB393_643
; %bb.636:                              ;   in Loop: Header=BB393_11 Depth=1
	v_bfrev_b32_e32 v3, 1
	s_mov_b32 s22, exec_lo
	v_cmpx_ne_u16_e32 0x80, v0
	s_cbranch_execz .LBB393_642
; %bb.637:                              ;   in Loop: Header=BB393_11 Depth=1
	v_bfe_u32 v1, v31, 16, 7
	v_mov_b32_e32 v3, 0x7f800001
	s_mov_b32 s23, exec_lo
	v_cmpx_ne_u32_e32 0x7f, v1
	s_cbranch_execz .LBB393_641
; %bb.638:                              ;   in Loop: Header=BB393_11 Depth=1
	v_mov_b32_e32 v0, 7
	s_mov_b32 s24, exec_lo
	v_and_b32_sdwa v18, v31, v0 dst_sel:DWORD dst_unused:UNUSED_PAD src0_sel:WORD_1 src1_sel:DWORD
	v_mov_b32_e32 v33, v19
	v_lshrrev_b32_e32 v0, 3, v1
	v_mov_b32_e32 v32, v18
	v_cmpx_gt_u32_e32 8, v1
; %bb.639:                              ;   in Loop: Header=BB393_11 Depth=1
	v_ffbh_u32_e32 v0, v18
	v_min_u32_e32 v0, 32, v0
	v_subrev_nc_u32_e32 v1, 28, v0
	v_sub_nc_u32_e32 v0, 29, v0
	v_lshlrev_b64 v[8:9], v1, v[18:19]
	v_and_b32_e32 v32, 7, v8
; %bb.640:                              ;   in Loop: Header=BB393_11 Depth=1
	s_or_b32 exec_lo, exec_lo, s24
	v_mov_b32_e32 v1, 24
	v_lshlrev_b32_e32 v3, 20, v32
	v_lshl_add_u32 v0, v0, 23, 0x3c000000
	v_lshlrev_b32_sdwa v1, v1, v31 dst_sel:DWORD dst_unused:UNUSED_PAD src0_sel:DWORD src1_sel:WORD_1
	v_and_b32_e32 v1, 0x80000000, v1
	v_or3_b32 v3, v3, v1, v0
.LBB393_641:                            ;   in Loop: Header=BB393_11 Depth=1
	s_or_b32 exec_lo, exec_lo, s23
.LBB393_642:                            ;   in Loop: Header=BB393_11 Depth=1
	s_or_b32 exec_lo, exec_lo, s22
.LBB393_643:                            ;   in Loop: Header=BB393_11 Depth=1
	s_or_b32 exec_lo, exec_lo, s6
	v_mov_b32_e32 v23, 0
	v_mov_b32_e32 v15, 0
	s_mov_b32 s6, exec_lo
	v_cmpx_lt_u64_e64 s[8:9], v[30:31]
	s_cbranch_execz .LBB393_651
; %bb.644:                              ;   in Loop: Header=BB393_11 Depth=1
	v_mov_b32_e32 v0, 0x80
	v_bfrev_b32_e32 v15, 1
	v_cmp_ne_u32_sdwa s5, v31, v0 src0_sel:BYTE_3 src1_sel:DWORD
	s_and_saveexec_b32 s22, s5
	s_cbranch_execz .LBB393_650
; %bb.645:                              ;   in Loop: Header=BB393_11 Depth=1
	v_bfe_u32 v1, v31, 24, 7
	v_mov_b32_e32 v15, 0x7f800001
	s_mov_b32 s23, exec_lo
	v_cmpx_ne_u32_e32 0x7f, v1
	s_cbranch_execz .LBB393_649
; %bb.646:                              ;   in Loop: Header=BB393_11 Depth=1
	v_mov_b32_e32 v0, 7
	s_mov_b32 s24, exec_lo
	v_and_b32_sdwa v18, v31, v0 dst_sel:DWORD dst_unused:UNUSED_PAD src0_sel:BYTE_3 src1_sel:DWORD
	v_mov_b32_e32 v33, v19
	v_lshrrev_b32_e32 v0, 3, v1
	v_mov_b32_e32 v32, v18
	v_cmpx_gt_u32_e32 8, v1
; %bb.647:                              ;   in Loop: Header=BB393_11 Depth=1
	v_ffbh_u32_e32 v0, v18
	v_min_u32_e32 v0, 32, v0
	v_subrev_nc_u32_e32 v1, 28, v0
	v_sub_nc_u32_e32 v0, 29, v0
	v_lshlrev_b64 v[8:9], v1, v[18:19]
	v_and_b32_e32 v32, 7, v8
; %bb.648:                              ;   in Loop: Header=BB393_11 Depth=1
	s_or_b32 exec_lo, exec_lo, s24
	v_mov_b32_e32 v1, 24
	v_lshlrev_b32_e32 v8, 20, v32
	v_lshl_add_u32 v0, v0, 23, 0x3c000000
	v_lshlrev_b32_sdwa v1, v1, v31 dst_sel:DWORD dst_unused:UNUSED_PAD src0_sel:DWORD src1_sel:BYTE_3
	v_and_b32_e32 v1, 0x80000000, v1
	v_or3_b32 v15, v8, v1, v0
.LBB393_649:                            ;   in Loop: Header=BB393_11 Depth=1
	s_or_b32 exec_lo, exec_lo, s23
.LBB393_650:                            ;   in Loop: Header=BB393_11 Depth=1
	s_or_b32 exec_lo, exec_lo, s22
.LBB393_651:                            ;   in Loop: Header=BB393_11 Depth=1
	s_or_b32 exec_lo, exec_lo, s6
	flat_load_dwordx2 v[30:31], v[28:29] offset:512
	s_waitcnt vmcnt(0) lgkmcnt(0)
	v_cmp_ne_u16_sdwa s5, v30, v19 src0_sel:BYTE_0 src1_sel:DWORD
	s_and_saveexec_b32 s6, s5
	s_cbranch_execz .LBB393_659
; %bb.652:                              ;   in Loop: Header=BB393_11 Depth=1
	v_mov_b32_e32 v0, 0x80
	v_bfrev_b32_e32 v23, 1
	v_cmp_ne_u16_sdwa s5, v30, v0 src0_sel:BYTE_0 src1_sel:DWORD
	s_and_saveexec_b32 s22, s5
	s_cbranch_execz .LBB393_658
; %bb.653:                              ;   in Loop: Header=BB393_11 Depth=1
	v_and_b32_e32 v1, 0x7f, v30
	v_mov_b32_e32 v23, 0x7f800001
	s_mov_b32 s23, exec_lo
	v_cmpx_ne_u32_e32 0x7f, v1
	s_cbranch_execz .LBB393_657
; %bb.654:                              ;   in Loop: Header=BB393_11 Depth=1
	v_mov_b32_e32 v33, v31
	v_lshrrev_b32_e32 v0, 3, v1
	v_mov_b32_e32 v32, v30
	s_mov_b32 s24, exec_lo
	v_cmpx_gt_u32_e32 8, v1
; %bb.655:                              ;   in Loop: Header=BB393_11 Depth=1
	v_and_b32_e32 v0, 7, v30
	v_ffbh_u32_e32 v0, v0
	v_min_u32_e32 v0, 32, v0
	v_subrev_nc_u32_e32 v1, 28, v0
	v_sub_nc_u32_e32 v0, 29, v0
	v_lshlrev_b64 v[32:33], v1, v[30:31]
; %bb.656:                              ;   in Loop: Header=BB393_11 Depth=1
	s_or_b32 exec_lo, exec_lo, s24
	v_lshlrev_b32_e32 v1, 20, v32
	v_lshlrev_b32_e32 v8, 24, v30
	v_lshl_add_u32 v0, v0, 23, 0x3c000000
	v_and_b32_e32 v1, 0x700000, v1
	v_and_b32_e32 v8, 0x80000000, v8
	v_or3_b32 v23, v1, v8, v0
.LBB393_657:                            ;   in Loop: Header=BB393_11 Depth=1
	s_or_b32 exec_lo, exec_lo, s23
.LBB393_658:                            ;   in Loop: Header=BB393_11 Depth=1
	s_or_b32 exec_lo, exec_lo, s22
.LBB393_659:                            ;   in Loop: Header=BB393_11 Depth=1
	s_or_b32 exec_lo, exec_lo, s6
	v_cmp_ne_u16_sdwa s5, v30, v19 src0_sel:BYTE_1 src1_sel:DWORD
	v_mov_b32_e32 v38, 0
	v_mov_b32_e32 v34, 0
	s_and_saveexec_b32 s6, s5
	s_cbranch_execz .LBB393_667
; %bb.660:                              ;   in Loop: Header=BB393_11 Depth=1
	v_mov_b32_e32 v0, 0x80
	v_bfrev_b32_e32 v34, 1
	v_cmp_ne_u16_sdwa s5, v30, v0 src0_sel:BYTE_1 src1_sel:DWORD
	s_and_saveexec_b32 s22, s5
	s_cbranch_execz .LBB393_666
; %bb.661:                              ;   in Loop: Header=BB393_11 Depth=1
	v_mov_b32_e32 v0, 0xffff
	v_mov_b32_e32 v34, 0x7f800001
	s_mov_b32 s23, exec_lo
	v_and_b32_sdwa v0, v0, v30 dst_sel:DWORD dst_unused:UNUSED_PAD src0_sel:DWORD src1_sel:BYTE_1
	v_and_b32_e32 v1, 0x7f, v0
	v_cmpx_ne_u32_e32 0x7f, v1
	s_cbranch_execz .LBB393_665
; %bb.662:                              ;   in Loop: Header=BB393_11 Depth=1
	v_and_b32_e32 v18, 7, v0
	v_mov_b32_e32 v33, v19
	v_lshrrev_b32_e32 v0, 3, v1
	s_mov_b32 s24, exec_lo
	v_mov_b32_e32 v32, v18
	v_cmpx_gt_u32_e32 8, v1
; %bb.663:                              ;   in Loop: Header=BB393_11 Depth=1
	v_ffbh_u32_e32 v0, v18
	v_min_u32_e32 v0, 32, v0
	v_subrev_nc_u32_e32 v1, 28, v0
	v_sub_nc_u32_e32 v0, 29, v0
	v_lshlrev_b64 v[8:9], v1, v[18:19]
	v_and_b32_e32 v32, 7, v8
; %bb.664:                              ;   in Loop: Header=BB393_11 Depth=1
	s_or_b32 exec_lo, exec_lo, s24
	v_lshlrev_b32_e32 v1, 16, v30
	v_lshlrev_b32_e32 v8, 20, v32
	v_lshl_add_u32 v0, v0, 23, 0x3c000000
	v_and_b32_e32 v1, 0x80000000, v1
	v_or3_b32 v34, v8, v1, v0
.LBB393_665:                            ;   in Loop: Header=BB393_11 Depth=1
	s_or_b32 exec_lo, exec_lo, s23
.LBB393_666:                            ;   in Loop: Header=BB393_11 Depth=1
	s_or_b32 exec_lo, exec_lo, s22
.LBB393_667:                            ;   in Loop: Header=BB393_11 Depth=1
	s_or_b32 exec_lo, exec_lo, s6
	v_mov_b32_e32 v0, 0xff
	s_mov_b32 s6, exec_lo
	v_and_b32_sdwa v0, v30, v0 dst_sel:DWORD dst_unused:UNUSED_PAD src0_sel:WORD_1 src1_sel:DWORD
	v_cmpx_ne_u16_e32 0, v0
	s_cbranch_execz .LBB393_675
; %bb.668:                              ;   in Loop: Header=BB393_11 Depth=1
	v_bfrev_b32_e32 v38, 1
	s_mov_b32 s22, exec_lo
	v_cmpx_ne_u16_e32 0x80, v0
	s_cbranch_execz .LBB393_674
; %bb.669:                              ;   in Loop: Header=BB393_11 Depth=1
	v_bfe_u32 v1, v30, 16, 7
	v_mov_b32_e32 v38, 0x7f800001
	s_mov_b32 s23, exec_lo
	v_cmpx_ne_u32_e32 0x7f, v1
	s_cbranch_execz .LBB393_673
; %bb.670:                              ;   in Loop: Header=BB393_11 Depth=1
	v_mov_b32_e32 v0, 7
	s_mov_b32 s24, exec_lo
	v_and_b32_sdwa v18, v30, v0 dst_sel:DWORD dst_unused:UNUSED_PAD src0_sel:WORD_1 src1_sel:DWORD
	v_mov_b32_e32 v33, v19
	v_lshrrev_b32_e32 v0, 3, v1
	v_mov_b32_e32 v32, v18
	v_cmpx_gt_u32_e32 8, v1
; %bb.671:                              ;   in Loop: Header=BB393_11 Depth=1
	v_ffbh_u32_e32 v0, v18
	v_min_u32_e32 v0, 32, v0
	v_subrev_nc_u32_e32 v1, 28, v0
	v_sub_nc_u32_e32 v0, 29, v0
	v_lshlrev_b64 v[8:9], v1, v[18:19]
	v_and_b32_e32 v32, 7, v8
; %bb.672:                              ;   in Loop: Header=BB393_11 Depth=1
	s_or_b32 exec_lo, exec_lo, s24
	v_mov_b32_e32 v1, 24
	v_lshlrev_b32_e32 v8, 20, v32
	v_lshl_add_u32 v0, v0, 23, 0x3c000000
	v_lshlrev_b32_sdwa v1, v1, v30 dst_sel:DWORD dst_unused:UNUSED_PAD src0_sel:DWORD src1_sel:WORD_1
	v_and_b32_e32 v1, 0x80000000, v1
	v_or3_b32 v38, v8, v1, v0
.LBB393_673:                            ;   in Loop: Header=BB393_11 Depth=1
	s_or_b32 exec_lo, exec_lo, s23
.LBB393_674:                            ;   in Loop: Header=BB393_11 Depth=1
	s_or_b32 exec_lo, exec_lo, s22
.LBB393_675:                            ;   in Loop: Header=BB393_11 Depth=1
	s_or_b32 exec_lo, exec_lo, s6
	v_mov_b32_e32 v27, 0
	v_mov_b32_e32 v26, 0
	s_mov_b32 s6, exec_lo
	v_cmpx_lt_u32_e32 0xffffff, v30
	s_cbranch_execz .LBB393_683
; %bb.676:                              ;   in Loop: Header=BB393_11 Depth=1
	v_mov_b32_e32 v0, 0x80
	v_bfrev_b32_e32 v26, 1
	v_cmp_ne_u32_sdwa s5, v30, v0 src0_sel:BYTE_3 src1_sel:DWORD
	s_and_saveexec_b32 s22, s5
	s_cbranch_execz .LBB393_682
; %bb.677:                              ;   in Loop: Header=BB393_11 Depth=1
	v_bfe_u32 v1, v30, 24, 7
	v_mov_b32_e32 v26, 0x7f800001
	s_mov_b32 s23, exec_lo
	v_cmpx_ne_u32_e32 0x7f, v1
	s_cbranch_execz .LBB393_681
; %bb.678:                              ;   in Loop: Header=BB393_11 Depth=1
	v_mov_b32_e32 v0, 7
	s_mov_b32 s24, exec_lo
	v_and_b32_sdwa v18, v30, v0 dst_sel:DWORD dst_unused:UNUSED_PAD src0_sel:BYTE_3 src1_sel:DWORD
	v_mov_b32_e32 v33, v19
	v_lshrrev_b32_e32 v0, 3, v1
	v_mov_b32_e32 v32, v18
	v_cmpx_gt_u32_e32 8, v1
; %bb.679:                              ;   in Loop: Header=BB393_11 Depth=1
	v_ffbh_u32_e32 v0, v18
	v_min_u32_e32 v0, 32, v0
	v_subrev_nc_u32_e32 v1, 28, v0
	v_sub_nc_u32_e32 v0, 29, v0
	v_lshlrev_b64 v[8:9], v1, v[18:19]
	v_and_b32_e32 v32, 7, v8
; %bb.680:                              ;   in Loop: Header=BB393_11 Depth=1
	s_or_b32 exec_lo, exec_lo, s24
	v_mov_b32_e32 v1, 24
	v_lshlrev_b32_e32 v8, 20, v32
	v_lshl_add_u32 v0, v0, 23, 0x3c000000
	v_lshlrev_b32_sdwa v1, v1, v30 dst_sel:DWORD dst_unused:UNUSED_PAD src0_sel:DWORD src1_sel:BYTE_3
	v_and_b32_e32 v1, 0x80000000, v1
	v_or3_b32 v26, v8, v1, v0
.LBB393_681:                            ;   in Loop: Header=BB393_11 Depth=1
	s_or_b32 exec_lo, exec_lo, s23
.LBB393_682:                            ;   in Loop: Header=BB393_11 Depth=1
	s_or_b32 exec_lo, exec_lo, s22
.LBB393_683:                            ;   in Loop: Header=BB393_11 Depth=1
	s_or_b32 exec_lo, exec_lo, s6
	v_mov_b32_e32 v18, v31
	v_cmp_ne_u16_sdwa s5, v31, v19 src0_sel:BYTE_0 src1_sel:DWORD
	s_and_saveexec_b32 s6, s5
	s_cbranch_execz .LBB393_691
; %bb.684:                              ;   in Loop: Header=BB393_11 Depth=1
	v_mov_b32_e32 v0, 0x80
	v_bfrev_b32_e32 v27, 1
	v_cmp_ne_u16_sdwa s5, v31, v0 src0_sel:BYTE_0 src1_sel:DWORD
	s_and_saveexec_b32 s22, s5
	s_cbranch_execz .LBB393_690
; %bb.685:                              ;   in Loop: Header=BB393_11 Depth=1
	v_and_b32_e32 v1, 0x7f, v31
	v_mov_b32_e32 v27, 0x7f800001
	s_mov_b32 s23, exec_lo
	v_cmpx_ne_u32_e32 0x7f, v1
	s_cbranch_execz .LBB393_689
; %bb.686:                              ;   in Loop: Header=BB393_11 Depth=1
	v_mov_b32_e32 v33, v19
	v_lshrrev_b32_e32 v0, 3, v1
	v_mov_b32_e32 v32, v18
	s_mov_b32 s24, exec_lo
	v_cmpx_gt_u32_e32 8, v1
; %bb.687:                              ;   in Loop: Header=BB393_11 Depth=1
	v_and_b32_e32 v0, 7, v31
	v_ffbh_u32_e32 v0, v0
	v_min_u32_e32 v0, 32, v0
	v_subrev_nc_u32_e32 v1, 28, v0
	v_sub_nc_u32_e32 v0, 29, v0
	v_lshlrev_b64 v[32:33], v1, v[18:19]
; %bb.688:                              ;   in Loop: Header=BB393_11 Depth=1
	s_or_b32 exec_lo, exec_lo, s24
	v_lshlrev_b32_e32 v1, 20, v32
	v_lshlrev_b32_e32 v8, 24, v18
	v_lshl_add_u32 v0, v0, 23, 0x3c000000
	v_and_b32_e32 v1, 0x700000, v1
	v_and_b32_e32 v8, 0x80000000, v8
	v_or3_b32 v27, v1, v8, v0
.LBB393_689:                            ;   in Loop: Header=BB393_11 Depth=1
	s_or_b32 exec_lo, exec_lo, s23
.LBB393_690:                            ;   in Loop: Header=BB393_11 Depth=1
	s_or_b32 exec_lo, exec_lo, s22
.LBB393_691:                            ;   in Loop: Header=BB393_11 Depth=1
	s_or_b32 exec_lo, exec_lo, s6
	v_cmp_ne_u16_sdwa s5, v18, v19 src0_sel:BYTE_1 src1_sel:DWORD
	v_mov_b32_e32 v22, 0
	v_mov_b32_e32 v49, 0
	s_and_saveexec_b32 s6, s5
	s_cbranch_execz .LBB393_699
; %bb.692:                              ;   in Loop: Header=BB393_11 Depth=1
	v_mov_b32_e32 v0, 0x80
	v_bfrev_b32_e32 v49, 1
	v_cmp_ne_u16_sdwa s5, v18, v0 src0_sel:BYTE_1 src1_sel:DWORD
	s_and_saveexec_b32 s22, s5
	s_cbranch_execz .LBB393_698
; %bb.693:                              ;   in Loop: Header=BB393_11 Depth=1
	v_mov_b32_e32 v0, 0xffff
	v_mov_b32_e32 v49, 0x7f800001
	s_mov_b32 s23, exec_lo
	v_and_b32_sdwa v0, v0, v18 dst_sel:DWORD dst_unused:UNUSED_PAD src0_sel:DWORD src1_sel:BYTE_1
	v_and_b32_e32 v1, 0x7f, v0
	v_cmpx_ne_u32_e32 0x7f, v1
	s_cbranch_execz .LBB393_697
; %bb.694:                              ;   in Loop: Header=BB393_11 Depth=1
	v_and_b32_e32 v32, 7, v0
	v_mov_b32_e32 v33, v19
	v_lshrrev_b32_e32 v0, 3, v1
	s_mov_b32 s24, exec_lo
	v_cmpx_gt_u32_e32 8, v1
; %bb.695:                              ;   in Loop: Header=BB393_11 Depth=1
	v_ffbh_u32_e32 v0, v32
	v_min_u32_e32 v0, 32, v0
	v_subrev_nc_u32_e32 v1, 28, v0
	v_sub_nc_u32_e32 v0, 29, v0
	v_lshlrev_b64 v[8:9], v1, v[32:33]
	v_and_b32_e32 v32, 7, v8
; %bb.696:                              ;   in Loop: Header=BB393_11 Depth=1
	s_or_b32 exec_lo, exec_lo, s24
	v_lshlrev_b32_e32 v1, 16, v18
	v_lshlrev_b32_e32 v8, 20, v32
	v_lshl_add_u32 v0, v0, 23, 0x3c000000
	v_and_b32_e32 v1, 0x80000000, v1
	v_or3_b32 v49, v8, v1, v0
.LBB393_697:                            ;   in Loop: Header=BB393_11 Depth=1
	s_or_b32 exec_lo, exec_lo, s23
.LBB393_698:                            ;   in Loop: Header=BB393_11 Depth=1
	s_or_b32 exec_lo, exec_lo, s22
.LBB393_699:                            ;   in Loop: Header=BB393_11 Depth=1
	s_or_b32 exec_lo, exec_lo, s6
	v_mov_b32_e32 v0, 0xff
	s_mov_b32 s6, exec_lo
	v_and_b32_sdwa v0, v31, v0 dst_sel:DWORD dst_unused:UNUSED_PAD src0_sel:WORD_1 src1_sel:DWORD
	v_cmpx_ne_u16_e32 0, v0
	s_cbranch_execz .LBB393_707
; %bb.700:                              ;   in Loop: Header=BB393_11 Depth=1
	v_bfrev_b32_e32 v22, 1
	s_mov_b32 s22, exec_lo
	v_cmpx_ne_u16_e32 0x80, v0
	s_cbranch_execz .LBB393_706
; %bb.701:                              ;   in Loop: Header=BB393_11 Depth=1
	v_bfe_u32 v1, v31, 16, 7
	v_mov_b32_e32 v22, 0x7f800001
	s_mov_b32 s23, exec_lo
	v_cmpx_ne_u32_e32 0x7f, v1
	s_cbranch_execz .LBB393_705
; %bb.702:                              ;   in Loop: Header=BB393_11 Depth=1
	v_mov_b32_e32 v0, 7
	s_mov_b32 s24, exec_lo
	v_and_b32_sdwa v18, v31, v0 dst_sel:DWORD dst_unused:UNUSED_PAD src0_sel:WORD_1 src1_sel:DWORD
	v_mov_b32_e32 v33, v19
	v_lshrrev_b32_e32 v0, 3, v1
	v_mov_b32_e32 v32, v18
	v_cmpx_gt_u32_e32 8, v1
; %bb.703:                              ;   in Loop: Header=BB393_11 Depth=1
	v_ffbh_u32_e32 v0, v18
	v_min_u32_e32 v0, 32, v0
	v_subrev_nc_u32_e32 v1, 28, v0
	v_sub_nc_u32_e32 v0, 29, v0
	v_lshlrev_b64 v[8:9], v1, v[18:19]
	v_and_b32_e32 v32, 7, v8
; %bb.704:                              ;   in Loop: Header=BB393_11 Depth=1
	s_or_b32 exec_lo, exec_lo, s24
	v_mov_b32_e32 v1, 24
	v_lshlrev_b32_e32 v8, 20, v32
	v_lshl_add_u32 v0, v0, 23, 0x3c000000
	v_lshlrev_b32_sdwa v1, v1, v31 dst_sel:DWORD dst_unused:UNUSED_PAD src0_sel:DWORD src1_sel:WORD_1
	v_and_b32_e32 v1, 0x80000000, v1
	v_or3_b32 v22, v8, v1, v0
.LBB393_705:                            ;   in Loop: Header=BB393_11 Depth=1
	s_or_b32 exec_lo, exec_lo, s23
.LBB393_706:                            ;   in Loop: Header=BB393_11 Depth=1
	s_or_b32 exec_lo, exec_lo, s22
.LBB393_707:                            ;   in Loop: Header=BB393_11 Depth=1
	s_or_b32 exec_lo, exec_lo, s6
	v_mov_b32_e32 v0, 0
	v_mov_b32_e32 v1, 0
	s_mov_b32 s6, exec_lo
	v_cmpx_lt_u64_e64 s[8:9], v[30:31]
	s_cbranch_execz .LBB393_715
; %bb.708:                              ;   in Loop: Header=BB393_11 Depth=1
	v_mov_b32_e32 v1, 0x80
	v_cmp_ne_u32_sdwa s5, v31, v1 src0_sel:BYTE_3 src1_sel:DWORD
	v_bfrev_b32_e32 v1, 1
	s_and_saveexec_b32 s22, s5
	s_cbranch_execz .LBB393_714
; %bb.709:                              ;   in Loop: Header=BB393_11 Depth=1
	v_bfe_u32 v8, v31, 24, 7
	v_mov_b32_e32 v1, 0x7f800001
	s_mov_b32 s23, exec_lo
	v_cmpx_ne_u32_e32 0x7f, v8
	s_cbranch_execz .LBB393_713
; %bb.710:                              ;   in Loop: Header=BB393_11 Depth=1
	v_mov_b32_e32 v1, 7
	s_mov_b32 s24, exec_lo
	v_and_b32_sdwa v18, v31, v1 dst_sel:DWORD dst_unused:UNUSED_PAD src0_sel:BYTE_3 src1_sel:DWORD
	v_mov_b32_e32 v33, v19
	v_lshrrev_b32_e32 v1, 3, v8
	v_mov_b32_e32 v32, v18
	v_cmpx_gt_u32_e32 8, v8
; %bb.711:                              ;   in Loop: Header=BB393_11 Depth=1
	v_ffbh_u32_e32 v1, v18
	v_min_u32_e32 v1, 32, v1
	v_subrev_nc_u32_e32 v8, 28, v1
	v_sub_nc_u32_e32 v1, 29, v1
	v_lshlrev_b64 v[8:9], v8, v[18:19]
	v_and_b32_e32 v32, 7, v8
; %bb.712:                              ;   in Loop: Header=BB393_11 Depth=1
	s_or_b32 exec_lo, exec_lo, s24
	v_mov_b32_e32 v8, 24
	v_lshlrev_b32_e32 v9, 20, v32
	v_lshl_add_u32 v1, v1, 23, 0x3c000000
	v_lshlrev_b32_sdwa v8, v8, v31 dst_sel:DWORD dst_unused:UNUSED_PAD src0_sel:DWORD src1_sel:BYTE_3
	v_and_b32_e32 v8, 0x80000000, v8
	v_or3_b32 v1, v9, v8, v1
.LBB393_713:                            ;   in Loop: Header=BB393_11 Depth=1
	s_or_b32 exec_lo, exec_lo, s23
.LBB393_714:                            ;   in Loop: Header=BB393_11 Depth=1
	s_or_b32 exec_lo, exec_lo, s22
.LBB393_715:                            ;   in Loop: Header=BB393_11 Depth=1
	s_or_b32 exec_lo, exec_lo, s6
	flat_load_dwordx2 v[30:31], v[28:29] offset:520
	s_waitcnt vmcnt(0) lgkmcnt(0)
	v_cmp_ne_u16_sdwa s5, v30, v19 src0_sel:BYTE_0 src1_sel:DWORD
	s_and_saveexec_b32 s6, s5
	s_cbranch_execz .LBB393_723
; %bb.716:                              ;   in Loop: Header=BB393_11 Depth=1
	v_mov_b32_e32 v0, 0x80
	v_cmp_ne_u16_sdwa s5, v30, v0 src0_sel:BYTE_0 src1_sel:DWORD
	v_bfrev_b32_e32 v0, 1
	s_and_saveexec_b32 s22, s5
	s_cbranch_execz .LBB393_722
; %bb.717:                              ;   in Loop: Header=BB393_11 Depth=1
	v_and_b32_e32 v8, 0x7f, v30
	v_mov_b32_e32 v0, 0x7f800001
	s_mov_b32 s23, exec_lo
	v_cmpx_ne_u32_e32 0x7f, v8
	s_cbranch_execz .LBB393_721
; %bb.718:                              ;   in Loop: Header=BB393_11 Depth=1
	v_mov_b32_e32 v33, v31
	v_lshrrev_b32_e32 v0, 3, v8
	v_mov_b32_e32 v32, v30
	s_mov_b32 s24, exec_lo
	v_cmpx_gt_u32_e32 8, v8
; %bb.719:                              ;   in Loop: Header=BB393_11 Depth=1
	v_and_b32_e32 v0, 7, v30
	v_ffbh_u32_e32 v0, v0
	v_min_u32_e32 v0, 32, v0
	v_subrev_nc_u32_e32 v8, 28, v0
	v_sub_nc_u32_e32 v0, 29, v0
	v_lshlrev_b64 v[32:33], v8, v[30:31]
; %bb.720:                              ;   in Loop: Header=BB393_11 Depth=1
	s_or_b32 exec_lo, exec_lo, s24
	v_lshlrev_b32_e32 v8, 20, v32
	v_lshlrev_b32_e32 v9, 24, v30
	v_lshl_add_u32 v0, v0, 23, 0x3c000000
	v_and_b32_e32 v8, 0x700000, v8
	v_and_b32_e32 v9, 0x80000000, v9
	v_or3_b32 v0, v8, v9, v0
.LBB393_721:                            ;   in Loop: Header=BB393_11 Depth=1
	s_or_b32 exec_lo, exec_lo, s23
.LBB393_722:                            ;   in Loop: Header=BB393_11 Depth=1
	s_or_b32 exec_lo, exec_lo, s22
.LBB393_723:                            ;   in Loop: Header=BB393_11 Depth=1
	s_or_b32 exec_lo, exec_lo, s6
	v_cmp_ne_u16_sdwa s5, v30, v19 src0_sel:BYTE_1 src1_sel:DWORD
	v_mov_b32_e32 v51, 0
	v_mov_b32_e32 v50, 0
	s_and_saveexec_b32 s6, s5
	s_cbranch_execz .LBB393_731
; %bb.724:                              ;   in Loop: Header=BB393_11 Depth=1
	v_mov_b32_e32 v8, 0x80
	v_bfrev_b32_e32 v50, 1
	v_cmp_ne_u16_sdwa s5, v30, v8 src0_sel:BYTE_1 src1_sel:DWORD
	s_and_saveexec_b32 s22, s5
	s_cbranch_execz .LBB393_730
; %bb.725:                              ;   in Loop: Header=BB393_11 Depth=1
	v_mov_b32_e32 v8, 0xffff
	v_mov_b32_e32 v50, 0x7f800001
	s_mov_b32 s23, exec_lo
	v_and_b32_sdwa v8, v8, v30 dst_sel:DWORD dst_unused:UNUSED_PAD src0_sel:DWORD src1_sel:BYTE_1
	v_and_b32_e32 v9, 0x7f, v8
	v_cmpx_ne_u32_e32 0x7f, v9
	s_cbranch_execz .LBB393_729
; %bb.726:                              ;   in Loop: Header=BB393_11 Depth=1
	v_and_b32_e32 v18, 7, v8
	v_mov_b32_e32 v33, v19
	v_lshrrev_b32_e32 v8, 3, v9
	s_mov_b32 s24, exec_lo
	v_mov_b32_e32 v32, v18
	v_cmpx_gt_u32_e32 8, v9
; %bb.727:                              ;   in Loop: Header=BB393_11 Depth=1
	v_ffbh_u32_e32 v8, v18
	v_min_u32_e32 v8, 32, v8
	v_subrev_nc_u32_e32 v9, 28, v8
	v_sub_nc_u32_e32 v8, 29, v8
	v_lshlrev_b64 v[16:17], v9, v[18:19]
	v_and_b32_e32 v32, 7, v16
; %bb.728:                              ;   in Loop: Header=BB393_11 Depth=1
	s_or_b32 exec_lo, exec_lo, s24
	v_lshlrev_b32_e32 v9, 16, v30
	v_lshlrev_b32_e32 v13, 20, v32
	v_lshl_add_u32 v8, v8, 23, 0x3c000000
	v_and_b32_e32 v9, 0x80000000, v9
	v_or3_b32 v50, v13, v9, v8
.LBB393_729:                            ;   in Loop: Header=BB393_11 Depth=1
	s_or_b32 exec_lo, exec_lo, s23
.LBB393_730:                            ;   in Loop: Header=BB393_11 Depth=1
	s_or_b32 exec_lo, exec_lo, s22
.LBB393_731:                            ;   in Loop: Header=BB393_11 Depth=1
	s_or_b32 exec_lo, exec_lo, s6
	v_mov_b32_e32 v8, 0xff
	s_mov_b32 s6, exec_lo
	v_and_b32_sdwa v8, v30, v8 dst_sel:DWORD dst_unused:UNUSED_PAD src0_sel:WORD_1 src1_sel:DWORD
	v_cmpx_ne_u16_e32 0, v8
	s_cbranch_execz .LBB393_739
; %bb.732:                              ;   in Loop: Header=BB393_11 Depth=1
	v_bfrev_b32_e32 v51, 1
	s_mov_b32 s22, exec_lo
	v_cmpx_ne_u16_e32 0x80, v8
	s_cbranch_execz .LBB393_738
; %bb.733:                              ;   in Loop: Header=BB393_11 Depth=1
	v_bfe_u32 v9, v30, 16, 7
	v_mov_b32_e32 v51, 0x7f800001
	s_mov_b32 s23, exec_lo
	v_cmpx_ne_u32_e32 0x7f, v9
	s_cbranch_execz .LBB393_737
; %bb.734:                              ;   in Loop: Header=BB393_11 Depth=1
	v_mov_b32_e32 v8, 7
	s_mov_b32 s24, exec_lo
	v_and_b32_sdwa v18, v30, v8 dst_sel:DWORD dst_unused:UNUSED_PAD src0_sel:WORD_1 src1_sel:DWORD
	v_mov_b32_e32 v33, v19
	v_lshrrev_b32_e32 v8, 3, v9
	v_mov_b32_e32 v32, v18
	v_cmpx_gt_u32_e32 8, v9
; %bb.735:                              ;   in Loop: Header=BB393_11 Depth=1
	v_ffbh_u32_e32 v8, v18
	v_min_u32_e32 v8, 32, v8
	v_subrev_nc_u32_e32 v9, 28, v8
	v_sub_nc_u32_e32 v8, 29, v8
	v_lshlrev_b64 v[16:17], v9, v[18:19]
	v_and_b32_e32 v32, 7, v16
; %bb.736:                              ;   in Loop: Header=BB393_11 Depth=1
	s_or_b32 exec_lo, exec_lo, s24
	v_mov_b32_e32 v9, 24
	v_lshlrev_b32_e32 v13, 20, v32
	v_lshl_add_u32 v8, v8, 23, 0x3c000000
	v_lshlrev_b32_sdwa v9, v9, v30 dst_sel:DWORD dst_unused:UNUSED_PAD src0_sel:DWORD src1_sel:WORD_1
	v_and_b32_e32 v9, 0x80000000, v9
	v_or3_b32 v51, v13, v9, v8
.LBB393_737:                            ;   in Loop: Header=BB393_11 Depth=1
	s_or_b32 exec_lo, exec_lo, s23
.LBB393_738:                            ;   in Loop: Header=BB393_11 Depth=1
	s_or_b32 exec_lo, exec_lo, s22
.LBB393_739:                            ;   in Loop: Header=BB393_11 Depth=1
	s_or_b32 exec_lo, exec_lo, s6
	v_mov_b32_e32 v53, 0
	v_mov_b32_e32 v52, 0
	s_mov_b32 s6, exec_lo
	v_cmpx_lt_u32_e32 0xffffff, v30
	s_cbranch_execz .LBB393_747
; %bb.740:                              ;   in Loop: Header=BB393_11 Depth=1
	v_mov_b32_e32 v8, 0x80
	v_bfrev_b32_e32 v52, 1
	v_cmp_ne_u32_sdwa s5, v30, v8 src0_sel:BYTE_3 src1_sel:DWORD
	s_and_saveexec_b32 s22, s5
	s_cbranch_execz .LBB393_746
; %bb.741:                              ;   in Loop: Header=BB393_11 Depth=1
	v_bfe_u32 v9, v30, 24, 7
	v_mov_b32_e32 v52, 0x7f800001
	s_mov_b32 s23, exec_lo
	v_cmpx_ne_u32_e32 0x7f, v9
	s_cbranch_execz .LBB393_745
; %bb.742:                              ;   in Loop: Header=BB393_11 Depth=1
	v_mov_b32_e32 v8, 7
	s_mov_b32 s24, exec_lo
	v_and_b32_sdwa v18, v30, v8 dst_sel:DWORD dst_unused:UNUSED_PAD src0_sel:BYTE_3 src1_sel:DWORD
	v_mov_b32_e32 v33, v19
	v_lshrrev_b32_e32 v8, 3, v9
	v_mov_b32_e32 v32, v18
	v_cmpx_gt_u32_e32 8, v9
; %bb.743:                              ;   in Loop: Header=BB393_11 Depth=1
	v_ffbh_u32_e32 v8, v18
	v_min_u32_e32 v8, 32, v8
	v_subrev_nc_u32_e32 v9, 28, v8
	v_sub_nc_u32_e32 v8, 29, v8
	v_lshlrev_b64 v[16:17], v9, v[18:19]
	v_and_b32_e32 v32, 7, v16
; %bb.744:                              ;   in Loop: Header=BB393_11 Depth=1
	s_or_b32 exec_lo, exec_lo, s24
	v_mov_b32_e32 v9, 24
	v_lshlrev_b32_e32 v13, 20, v32
	v_lshl_add_u32 v8, v8, 23, 0x3c000000
	v_lshlrev_b32_sdwa v9, v9, v30 dst_sel:DWORD dst_unused:UNUSED_PAD src0_sel:DWORD src1_sel:BYTE_3
	v_and_b32_e32 v9, 0x80000000, v9
	v_or3_b32 v52, v13, v9, v8
.LBB393_745:                            ;   in Loop: Header=BB393_11 Depth=1
	s_or_b32 exec_lo, exec_lo, s23
.LBB393_746:                            ;   in Loop: Header=BB393_11 Depth=1
	s_or_b32 exec_lo, exec_lo, s22
.LBB393_747:                            ;   in Loop: Header=BB393_11 Depth=1
	s_or_b32 exec_lo, exec_lo, s6
	v_mov_b32_e32 v18, v31
	v_cmp_ne_u16_sdwa s5, v31, v19 src0_sel:BYTE_0 src1_sel:DWORD
	s_and_saveexec_b32 s6, s5
	s_cbranch_execz .LBB393_755
; %bb.748:                              ;   in Loop: Header=BB393_11 Depth=1
	v_mov_b32_e32 v8, 0x80
	v_bfrev_b32_e32 v53, 1
	v_cmp_ne_u16_sdwa s5, v31, v8 src0_sel:BYTE_0 src1_sel:DWORD
	s_and_saveexec_b32 s22, s5
	s_cbranch_execz .LBB393_754
; %bb.749:                              ;   in Loop: Header=BB393_11 Depth=1
	v_and_b32_e32 v9, 0x7f, v31
	v_mov_b32_e32 v53, 0x7f800001
	s_mov_b32 s23, exec_lo
	v_cmpx_ne_u32_e32 0x7f, v9
	s_cbranch_execz .LBB393_753
; %bb.750:                              ;   in Loop: Header=BB393_11 Depth=1
	v_mov_b32_e32 v33, v19
	v_lshrrev_b32_e32 v8, 3, v9
	v_mov_b32_e32 v32, v18
	s_mov_b32 s24, exec_lo
	v_cmpx_gt_u32_e32 8, v9
; %bb.751:                              ;   in Loop: Header=BB393_11 Depth=1
	v_and_b32_e32 v8, 7, v31
	v_ffbh_u32_e32 v8, v8
	v_min_u32_e32 v8, 32, v8
	v_subrev_nc_u32_e32 v9, 28, v8
	v_sub_nc_u32_e32 v8, 29, v8
	v_lshlrev_b64 v[32:33], v9, v[18:19]
; %bb.752:                              ;   in Loop: Header=BB393_11 Depth=1
	s_or_b32 exec_lo, exec_lo, s24
	v_lshlrev_b32_e32 v9, 20, v32
	v_lshlrev_b32_e32 v13, 24, v18
	v_lshl_add_u32 v8, v8, 23, 0x3c000000
	v_and_b32_e32 v9, 0x700000, v9
	v_and_b32_e32 v13, 0x80000000, v13
	v_or3_b32 v53, v9, v13, v8
.LBB393_753:                            ;   in Loop: Header=BB393_11 Depth=1
	s_or_b32 exec_lo, exec_lo, s23
.LBB393_754:                            ;   in Loop: Header=BB393_11 Depth=1
	s_or_b32 exec_lo, exec_lo, s22
.LBB393_755:                            ;   in Loop: Header=BB393_11 Depth=1
	s_or_b32 exec_lo, exec_lo, s6
	v_cmp_ne_u16_sdwa s5, v18, v19 src0_sel:BYTE_1 src1_sel:DWORD
	v_mov_b32_e32 v54, 0
	v_mov_b32_e32 v55, 0
	s_and_saveexec_b32 s6, s5
	s_cbranch_execz .LBB393_763
; %bb.756:                              ;   in Loop: Header=BB393_11 Depth=1
	v_mov_b32_e32 v8, 0x80
	v_bfrev_b32_e32 v55, 1
	v_cmp_ne_u16_sdwa s5, v18, v8 src0_sel:BYTE_1 src1_sel:DWORD
	s_and_saveexec_b32 s22, s5
	s_cbranch_execz .LBB393_762
; %bb.757:                              ;   in Loop: Header=BB393_11 Depth=1
	v_mov_b32_e32 v8, 0xffff
	v_mov_b32_e32 v55, 0x7f800001
	s_mov_b32 s23, exec_lo
	v_and_b32_sdwa v8, v8, v18 dst_sel:DWORD dst_unused:UNUSED_PAD src0_sel:DWORD src1_sel:BYTE_1
	v_and_b32_e32 v9, 0x7f, v8
	v_cmpx_ne_u32_e32 0x7f, v9
	s_cbranch_execz .LBB393_761
; %bb.758:                              ;   in Loop: Header=BB393_11 Depth=1
	v_and_b32_e32 v32, 7, v8
	v_mov_b32_e32 v33, v19
	v_lshrrev_b32_e32 v8, 3, v9
	s_mov_b32 s24, exec_lo
	v_cmpx_gt_u32_e32 8, v9
; %bb.759:                              ;   in Loop: Header=BB393_11 Depth=1
	v_ffbh_u32_e32 v8, v32
	v_min_u32_e32 v8, 32, v8
	v_subrev_nc_u32_e32 v9, 28, v8
	v_sub_nc_u32_e32 v8, 29, v8
	v_lshlrev_b64 v[16:17], v9, v[32:33]
	v_and_b32_e32 v32, 7, v16
; %bb.760:                              ;   in Loop: Header=BB393_11 Depth=1
	s_or_b32 exec_lo, exec_lo, s24
	v_lshlrev_b32_e32 v9, 16, v18
	v_lshlrev_b32_e32 v13, 20, v32
	v_lshl_add_u32 v8, v8, 23, 0x3c000000
	v_and_b32_e32 v9, 0x80000000, v9
	v_or3_b32 v55, v13, v9, v8
.LBB393_761:                            ;   in Loop: Header=BB393_11 Depth=1
	s_or_b32 exec_lo, exec_lo, s23
.LBB393_762:                            ;   in Loop: Header=BB393_11 Depth=1
	s_or_b32 exec_lo, exec_lo, s22
.LBB393_763:                            ;   in Loop: Header=BB393_11 Depth=1
	s_or_b32 exec_lo, exec_lo, s6
	v_mov_b32_e32 v8, 0xff
	s_mov_b32 s6, exec_lo
	v_and_b32_sdwa v8, v31, v8 dst_sel:DWORD dst_unused:UNUSED_PAD src0_sel:WORD_1 src1_sel:DWORD
	v_cmpx_ne_u16_e32 0, v8
	s_cbranch_execz .LBB393_771
; %bb.764:                              ;   in Loop: Header=BB393_11 Depth=1
	v_bfrev_b32_e32 v54, 1
	s_mov_b32 s22, exec_lo
	v_cmpx_ne_u16_e32 0x80, v8
	s_cbranch_execz .LBB393_770
; %bb.765:                              ;   in Loop: Header=BB393_11 Depth=1
	v_bfe_u32 v9, v31, 16, 7
	v_mov_b32_e32 v54, 0x7f800001
	s_mov_b32 s23, exec_lo
	v_cmpx_ne_u32_e32 0x7f, v9
	s_cbranch_execz .LBB393_769
; %bb.766:                              ;   in Loop: Header=BB393_11 Depth=1
	v_mov_b32_e32 v8, 7
	s_mov_b32 s24, exec_lo
	v_and_b32_sdwa v18, v31, v8 dst_sel:DWORD dst_unused:UNUSED_PAD src0_sel:WORD_1 src1_sel:DWORD
	v_mov_b32_e32 v33, v19
	v_lshrrev_b32_e32 v8, 3, v9
	v_mov_b32_e32 v32, v18
	v_cmpx_gt_u32_e32 8, v9
; %bb.767:                              ;   in Loop: Header=BB393_11 Depth=1
	v_ffbh_u32_e32 v8, v18
	v_min_u32_e32 v8, 32, v8
	v_subrev_nc_u32_e32 v9, 28, v8
	v_sub_nc_u32_e32 v8, 29, v8
	v_lshlrev_b64 v[16:17], v9, v[18:19]
	v_and_b32_e32 v32, 7, v16
; %bb.768:                              ;   in Loop: Header=BB393_11 Depth=1
	s_or_b32 exec_lo, exec_lo, s24
	v_mov_b32_e32 v9, 24
	v_lshlrev_b32_e32 v13, 20, v32
	v_lshl_add_u32 v8, v8, 23, 0x3c000000
	v_lshlrev_b32_sdwa v9, v9, v31 dst_sel:DWORD dst_unused:UNUSED_PAD src0_sel:DWORD src1_sel:WORD_1
	v_and_b32_e32 v9, 0x80000000, v9
	v_or3_b32 v54, v13, v9, v8
.LBB393_769:                            ;   in Loop: Header=BB393_11 Depth=1
	s_or_b32 exec_lo, exec_lo, s23
.LBB393_770:                            ;   in Loop: Header=BB393_11 Depth=1
	s_or_b32 exec_lo, exec_lo, s22
.LBB393_771:                            ;   in Loop: Header=BB393_11 Depth=1
	s_or_b32 exec_lo, exec_lo, s6
	v_mov_b32_e32 v66, 0
	v_mov_b32_e32 v64, 0
	s_mov_b32 s6, exec_lo
	v_cmpx_lt_u64_e64 s[8:9], v[30:31]
	s_cbranch_execz .LBB393_779
; %bb.772:                              ;   in Loop: Header=BB393_11 Depth=1
	v_mov_b32_e32 v8, 0x80
	v_bfrev_b32_e32 v64, 1
	v_cmp_ne_u32_sdwa s5, v31, v8 src0_sel:BYTE_3 src1_sel:DWORD
	s_and_saveexec_b32 s22, s5
	s_cbranch_execz .LBB393_778
; %bb.773:                              ;   in Loop: Header=BB393_11 Depth=1
	v_bfe_u32 v9, v31, 24, 7
	v_mov_b32_e32 v64, 0x7f800001
	s_mov_b32 s23, exec_lo
	v_cmpx_ne_u32_e32 0x7f, v9
	s_cbranch_execz .LBB393_777
; %bb.774:                              ;   in Loop: Header=BB393_11 Depth=1
	v_mov_b32_e32 v8, 7
	s_mov_b32 s24, exec_lo
	v_and_b32_sdwa v18, v31, v8 dst_sel:DWORD dst_unused:UNUSED_PAD src0_sel:BYTE_3 src1_sel:DWORD
	v_mov_b32_e32 v33, v19
	v_lshrrev_b32_e32 v8, 3, v9
	v_mov_b32_e32 v32, v18
	v_cmpx_gt_u32_e32 8, v9
; %bb.775:                              ;   in Loop: Header=BB393_11 Depth=1
	v_ffbh_u32_e32 v8, v18
	v_min_u32_e32 v8, 32, v8
	v_subrev_nc_u32_e32 v9, 28, v8
	v_sub_nc_u32_e32 v8, 29, v8
	v_lshlrev_b64 v[16:17], v9, v[18:19]
	v_and_b32_e32 v32, 7, v16
; %bb.776:                              ;   in Loop: Header=BB393_11 Depth=1
	s_or_b32 exec_lo, exec_lo, s24
	v_mov_b32_e32 v9, 24
	v_lshlrev_b32_e32 v13, 20, v32
	v_lshl_add_u32 v8, v8, 23, 0x3c000000
	v_lshlrev_b32_sdwa v9, v9, v31 dst_sel:DWORD dst_unused:UNUSED_PAD src0_sel:DWORD src1_sel:BYTE_3
	v_and_b32_e32 v9, 0x80000000, v9
	v_or3_b32 v64, v13, v9, v8
.LBB393_777:                            ;   in Loop: Header=BB393_11 Depth=1
	s_or_b32 exec_lo, exec_lo, s23
.LBB393_778:                            ;   in Loop: Header=BB393_11 Depth=1
	s_or_b32 exec_lo, exec_lo, s22
.LBB393_779:                            ;   in Loop: Header=BB393_11 Depth=1
	s_or_b32 exec_lo, exec_lo, s6
	flat_load_dwordx2 v[30:31], v[28:29] offset:1024
	s_waitcnt vmcnt(0) lgkmcnt(0)
	v_cmp_ne_u16_sdwa s5, v30, v19 src0_sel:BYTE_0 src1_sel:DWORD
	s_and_saveexec_b32 s6, s5
	s_cbranch_execz .LBB393_787
; %bb.780:                              ;   in Loop: Header=BB393_11 Depth=1
	v_mov_b32_e32 v8, 0x80
	v_bfrev_b32_e32 v66, 1
	v_cmp_ne_u16_sdwa s5, v30, v8 src0_sel:BYTE_0 src1_sel:DWORD
	s_and_saveexec_b32 s22, s5
	s_cbranch_execz .LBB393_786
; %bb.781:                              ;   in Loop: Header=BB393_11 Depth=1
	v_and_b32_e32 v9, 0x7f, v30
	v_mov_b32_e32 v66, 0x7f800001
	s_mov_b32 s23, exec_lo
	v_cmpx_ne_u32_e32 0x7f, v9
	s_cbranch_execz .LBB393_785
; %bb.782:                              ;   in Loop: Header=BB393_11 Depth=1
	v_mov_b32_e32 v33, v31
	v_lshrrev_b32_e32 v8, 3, v9
	v_mov_b32_e32 v32, v30
	s_mov_b32 s24, exec_lo
	v_cmpx_gt_u32_e32 8, v9
; %bb.783:                              ;   in Loop: Header=BB393_11 Depth=1
	v_and_b32_e32 v8, 7, v30
	v_ffbh_u32_e32 v8, v8
	v_min_u32_e32 v8, 32, v8
	v_subrev_nc_u32_e32 v9, 28, v8
	v_sub_nc_u32_e32 v8, 29, v8
	v_lshlrev_b64 v[32:33], v9, v[30:31]
; %bb.784:                              ;   in Loop: Header=BB393_11 Depth=1
	s_or_b32 exec_lo, exec_lo, s24
	v_lshlrev_b32_e32 v9, 20, v32
	v_lshlrev_b32_e32 v13, 24, v30
	v_lshl_add_u32 v8, v8, 23, 0x3c000000
	v_and_b32_e32 v9, 0x700000, v9
	v_and_b32_e32 v13, 0x80000000, v13
	v_or3_b32 v66, v9, v13, v8
.LBB393_785:                            ;   in Loop: Header=BB393_11 Depth=1
	s_or_b32 exec_lo, exec_lo, s23
.LBB393_786:                            ;   in Loop: Header=BB393_11 Depth=1
	s_or_b32 exec_lo, exec_lo, s22
.LBB393_787:                            ;   in Loop: Header=BB393_11 Depth=1
	s_or_b32 exec_lo, exec_lo, s6
	v_cmp_ne_u16_sdwa s5, v30, v19 src0_sel:BYTE_1 src1_sel:DWORD
	v_mov_b32_e32 v68, 0
	v_mov_b32_e32 v67, 0
	s_and_saveexec_b32 s6, s5
	s_cbranch_execz .LBB393_795
; %bb.788:                              ;   in Loop: Header=BB393_11 Depth=1
	v_mov_b32_e32 v8, 0x80
	v_bfrev_b32_e32 v67, 1
	v_cmp_ne_u16_sdwa s5, v30, v8 src0_sel:BYTE_1 src1_sel:DWORD
	s_and_saveexec_b32 s22, s5
	s_cbranch_execz .LBB393_794
; %bb.789:                              ;   in Loop: Header=BB393_11 Depth=1
	v_mov_b32_e32 v8, 0xffff
	v_mov_b32_e32 v67, 0x7f800001
	s_mov_b32 s23, exec_lo
	v_and_b32_sdwa v8, v8, v30 dst_sel:DWORD dst_unused:UNUSED_PAD src0_sel:DWORD src1_sel:BYTE_1
	v_and_b32_e32 v9, 0x7f, v8
	v_cmpx_ne_u32_e32 0x7f, v9
	s_cbranch_execz .LBB393_793
; %bb.790:                              ;   in Loop: Header=BB393_11 Depth=1
	v_and_b32_e32 v18, 7, v8
	v_mov_b32_e32 v33, v19
	v_lshrrev_b32_e32 v8, 3, v9
	s_mov_b32 s24, exec_lo
	v_mov_b32_e32 v32, v18
	v_cmpx_gt_u32_e32 8, v9
; %bb.791:                              ;   in Loop: Header=BB393_11 Depth=1
	v_ffbh_u32_e32 v8, v18
	v_min_u32_e32 v8, 32, v8
	v_subrev_nc_u32_e32 v9, 28, v8
	v_sub_nc_u32_e32 v8, 29, v8
	v_lshlrev_b64 v[16:17], v9, v[18:19]
	v_and_b32_e32 v32, 7, v16
; %bb.792:                              ;   in Loop: Header=BB393_11 Depth=1
	s_or_b32 exec_lo, exec_lo, s24
	v_lshlrev_b32_e32 v9, 16, v30
	v_lshlrev_b32_e32 v13, 20, v32
	v_lshl_add_u32 v8, v8, 23, 0x3c000000
	v_and_b32_e32 v9, 0x80000000, v9
	v_or3_b32 v67, v13, v9, v8
.LBB393_793:                            ;   in Loop: Header=BB393_11 Depth=1
	s_or_b32 exec_lo, exec_lo, s23
.LBB393_794:                            ;   in Loop: Header=BB393_11 Depth=1
	s_or_b32 exec_lo, exec_lo, s22
.LBB393_795:                            ;   in Loop: Header=BB393_11 Depth=1
	s_or_b32 exec_lo, exec_lo, s6
	v_mov_b32_e32 v8, 0xff
	s_mov_b32 s6, exec_lo
	v_and_b32_sdwa v8, v30, v8 dst_sel:DWORD dst_unused:UNUSED_PAD src0_sel:WORD_1 src1_sel:DWORD
	v_cmpx_ne_u16_e32 0, v8
	s_cbranch_execz .LBB393_803
; %bb.796:                              ;   in Loop: Header=BB393_11 Depth=1
	v_bfrev_b32_e32 v68, 1
	s_mov_b32 s22, exec_lo
	v_cmpx_ne_u16_e32 0x80, v8
	s_cbranch_execz .LBB393_802
; %bb.797:                              ;   in Loop: Header=BB393_11 Depth=1
	v_bfe_u32 v9, v30, 16, 7
	v_mov_b32_e32 v68, 0x7f800001
	s_mov_b32 s23, exec_lo
	v_cmpx_ne_u32_e32 0x7f, v9
	s_cbranch_execz .LBB393_801
; %bb.798:                              ;   in Loop: Header=BB393_11 Depth=1
	v_mov_b32_e32 v8, 7
	s_mov_b32 s24, exec_lo
	v_and_b32_sdwa v18, v30, v8 dst_sel:DWORD dst_unused:UNUSED_PAD src0_sel:WORD_1 src1_sel:DWORD
	v_mov_b32_e32 v33, v19
	v_lshrrev_b32_e32 v8, 3, v9
	v_mov_b32_e32 v32, v18
	v_cmpx_gt_u32_e32 8, v9
; %bb.799:                              ;   in Loop: Header=BB393_11 Depth=1
	v_ffbh_u32_e32 v8, v18
	v_min_u32_e32 v8, 32, v8
	v_subrev_nc_u32_e32 v9, 28, v8
	v_sub_nc_u32_e32 v8, 29, v8
	v_lshlrev_b64 v[16:17], v9, v[18:19]
	v_and_b32_e32 v32, 7, v16
; %bb.800:                              ;   in Loop: Header=BB393_11 Depth=1
	s_or_b32 exec_lo, exec_lo, s24
	v_mov_b32_e32 v9, 24
	v_lshlrev_b32_e32 v13, 20, v32
	v_lshl_add_u32 v8, v8, 23, 0x3c000000
	v_lshlrev_b32_sdwa v9, v9, v30 dst_sel:DWORD dst_unused:UNUSED_PAD src0_sel:DWORD src1_sel:WORD_1
	v_and_b32_e32 v9, 0x80000000, v9
	v_or3_b32 v68, v13, v9, v8
.LBB393_801:                            ;   in Loop: Header=BB393_11 Depth=1
	s_or_b32 exec_lo, exec_lo, s23
.LBB393_802:                            ;   in Loop: Header=BB393_11 Depth=1
	s_or_b32 exec_lo, exec_lo, s22
.LBB393_803:                            ;   in Loop: Header=BB393_11 Depth=1
	s_or_b32 exec_lo, exec_lo, s6
	v_mov_b32_e32 v8, 0
	v_mov_b32_e32 v48, 0
	s_mov_b32 s6, exec_lo
	v_cmpx_lt_u32_e32 0xffffff, v30
	s_cbranch_execz .LBB393_811
; %bb.804:                              ;   in Loop: Header=BB393_11 Depth=1
	v_mov_b32_e32 v9, 0x80
	v_bfrev_b32_e32 v48, 1
	v_cmp_ne_u32_sdwa s5, v30, v9 src0_sel:BYTE_3 src1_sel:DWORD
	s_and_saveexec_b32 s22, s5
	s_cbranch_execz .LBB393_810
; %bb.805:                              ;   in Loop: Header=BB393_11 Depth=1
	v_bfe_u32 v13, v30, 24, 7
	v_mov_b32_e32 v48, 0x7f800001
	s_mov_b32 s23, exec_lo
	v_cmpx_ne_u32_e32 0x7f, v13
	s_cbranch_execz .LBB393_809
; %bb.806:                              ;   in Loop: Header=BB393_11 Depth=1
	v_mov_b32_e32 v9, 7
	s_mov_b32 s24, exec_lo
	v_and_b32_sdwa v18, v30, v9 dst_sel:DWORD dst_unused:UNUSED_PAD src0_sel:BYTE_3 src1_sel:DWORD
	v_mov_b32_e32 v33, v19
	v_lshrrev_b32_e32 v9, 3, v13
	v_mov_b32_e32 v32, v18
	v_cmpx_gt_u32_e32 8, v13
; %bb.807:                              ;   in Loop: Header=BB393_11 Depth=1
	v_ffbh_u32_e32 v9, v18
	v_min_u32_e32 v9, 32, v9
	v_subrev_nc_u32_e32 v13, 28, v9
	v_sub_nc_u32_e32 v9, 29, v9
	v_lshlrev_b64 v[16:17], v13, v[18:19]
	v_and_b32_e32 v32, 7, v16
; %bb.808:                              ;   in Loop: Header=BB393_11 Depth=1
	s_or_b32 exec_lo, exec_lo, s24
	v_mov_b32_e32 v13, 24
	v_lshlrev_b32_e32 v16, 20, v32
	v_lshl_add_u32 v9, v9, 23, 0x3c000000
	v_lshlrev_b32_sdwa v13, v13, v30 dst_sel:DWORD dst_unused:UNUSED_PAD src0_sel:DWORD src1_sel:BYTE_3
	v_and_b32_e32 v13, 0x80000000, v13
	v_or3_b32 v48, v16, v13, v9
.LBB393_809:                            ;   in Loop: Header=BB393_11 Depth=1
	s_or_b32 exec_lo, exec_lo, s23
.LBB393_810:                            ;   in Loop: Header=BB393_11 Depth=1
	s_or_b32 exec_lo, exec_lo, s22
.LBB393_811:                            ;   in Loop: Header=BB393_11 Depth=1
	s_or_b32 exec_lo, exec_lo, s6
	v_mov_b32_e32 v18, v31
	v_cmp_ne_u16_sdwa s5, v31, v19 src0_sel:BYTE_0 src1_sel:DWORD
	s_and_saveexec_b32 s6, s5
	s_cbranch_execz .LBB393_819
; %bb.812:                              ;   in Loop: Header=BB393_11 Depth=1
	v_mov_b32_e32 v8, 0x80
	v_cmp_ne_u16_sdwa s5, v31, v8 src0_sel:BYTE_0 src1_sel:DWORD
	v_bfrev_b32_e32 v8, 1
	s_and_saveexec_b32 s22, s5
	s_cbranch_execz .LBB393_818
; %bb.813:                              ;   in Loop: Header=BB393_11 Depth=1
	v_and_b32_e32 v9, 0x7f, v31
	v_mov_b32_e32 v8, 0x7f800001
	s_mov_b32 s23, exec_lo
	v_cmpx_ne_u32_e32 0x7f, v9
	s_cbranch_execz .LBB393_817
; %bb.814:                              ;   in Loop: Header=BB393_11 Depth=1
	v_mov_b32_e32 v33, v19
	v_lshrrev_b32_e32 v8, 3, v9
	v_mov_b32_e32 v32, v18
	s_mov_b32 s24, exec_lo
	v_cmpx_gt_u32_e32 8, v9
; %bb.815:                              ;   in Loop: Header=BB393_11 Depth=1
	v_and_b32_e32 v8, 7, v31
	v_ffbh_u32_e32 v8, v8
	v_min_u32_e32 v8, 32, v8
	v_subrev_nc_u32_e32 v9, 28, v8
	v_sub_nc_u32_e32 v8, 29, v8
	v_lshlrev_b64 v[32:33], v9, v[18:19]
; %bb.816:                              ;   in Loop: Header=BB393_11 Depth=1
	s_or_b32 exec_lo, exec_lo, s24
	v_lshlrev_b32_e32 v9, 20, v32
	v_lshlrev_b32_e32 v13, 24, v18
	v_lshl_add_u32 v8, v8, 23, 0x3c000000
	v_and_b32_e32 v9, 0x700000, v9
	v_and_b32_e32 v13, 0x80000000, v13
	v_or3_b32 v8, v9, v13, v8
.LBB393_817:                            ;   in Loop: Header=BB393_11 Depth=1
	s_or_b32 exec_lo, exec_lo, s23
.LBB393_818:                            ;   in Loop: Header=BB393_11 Depth=1
	s_or_b32 exec_lo, exec_lo, s22
.LBB393_819:                            ;   in Loop: Header=BB393_11 Depth=1
	s_or_b32 exec_lo, exec_lo, s6
	v_cmp_ne_u16_sdwa s5, v18, v19 src0_sel:BYTE_1 src1_sel:DWORD
	v_mov_b32_e32 v87, 0
	v_mov_b32_e32 v13, 0
	s_and_saveexec_b32 s6, s5
	s_cbranch_execz .LBB393_827
; %bb.820:                              ;   in Loop: Header=BB393_11 Depth=1
	v_mov_b32_e32 v9, 0x80
	v_bfrev_b32_e32 v13, 1
	v_cmp_ne_u16_sdwa s5, v18, v9 src0_sel:BYTE_1 src1_sel:DWORD
	s_and_saveexec_b32 s22, s5
	s_cbranch_execz .LBB393_826
; %bb.821:                              ;   in Loop: Header=BB393_11 Depth=1
	v_mov_b32_e32 v9, 0xffff
	v_mov_b32_e32 v13, 0x7f800001
	s_mov_b32 s23, exec_lo
	v_and_b32_sdwa v9, v9, v18 dst_sel:DWORD dst_unused:UNUSED_PAD src0_sel:DWORD src1_sel:BYTE_1
	v_and_b32_e32 v16, 0x7f, v9
	v_cmpx_ne_u32_e32 0x7f, v16
	s_cbranch_execz .LBB393_825
; %bb.822:                              ;   in Loop: Header=BB393_11 Depth=1
	v_and_b32_e32 v32, 7, v9
	v_mov_b32_e32 v33, v19
	v_lshrrev_b32_e32 v9, 3, v16
	s_mov_b32 s24, exec_lo
	v_cmpx_gt_u32_e32 8, v16
; %bb.823:                              ;   in Loop: Header=BB393_11 Depth=1
	v_ffbh_u32_e32 v9, v32
	v_min_u32_e32 v9, 32, v9
	v_subrev_nc_u32_e32 v13, 28, v9
	v_sub_nc_u32_e32 v9, 29, v9
	v_lshlrev_b64 v[16:17], v13, v[32:33]
	v_and_b32_e32 v32, 7, v16
; %bb.824:                              ;   in Loop: Header=BB393_11 Depth=1
	s_or_b32 exec_lo, exec_lo, s24
	v_lshlrev_b32_e32 v13, 16, v18
	v_lshlrev_b32_e32 v16, 20, v32
	v_lshl_add_u32 v9, v9, 23, 0x3c000000
	v_and_b32_e32 v13, 0x80000000, v13
	v_or3_b32 v13, v16, v13, v9
.LBB393_825:                            ;   in Loop: Header=BB393_11 Depth=1
	s_or_b32 exec_lo, exec_lo, s23
.LBB393_826:                            ;   in Loop: Header=BB393_11 Depth=1
	s_or_b32 exec_lo, exec_lo, s22
.LBB393_827:                            ;   in Loop: Header=BB393_11 Depth=1
	s_or_b32 exec_lo, exec_lo, s6
	v_mov_b32_e32 v9, 0xff
	s_mov_b32 s6, exec_lo
	v_and_b32_sdwa v9, v31, v9 dst_sel:DWORD dst_unused:UNUSED_PAD src0_sel:WORD_1 src1_sel:DWORD
	v_cmpx_ne_u16_e32 0, v9
	s_cbranch_execz .LBB393_835
; %bb.828:                              ;   in Loop: Header=BB393_11 Depth=1
	v_bfrev_b32_e32 v87, 1
	s_mov_b32 s22, exec_lo
	v_cmpx_ne_u16_e32 0x80, v9
	s_cbranch_execz .LBB393_834
; %bb.829:                              ;   in Loop: Header=BB393_11 Depth=1
	v_bfe_u32 v16, v31, 16, 7
	v_mov_b32_e32 v87, 0x7f800001
	s_mov_b32 s23, exec_lo
	v_cmpx_ne_u32_e32 0x7f, v16
	s_cbranch_execz .LBB393_833
; %bb.830:                              ;   in Loop: Header=BB393_11 Depth=1
	v_mov_b32_e32 v9, 7
	s_mov_b32 s24, exec_lo
	v_and_b32_sdwa v18, v31, v9 dst_sel:DWORD dst_unused:UNUSED_PAD src0_sel:WORD_1 src1_sel:DWORD
	v_mov_b32_e32 v33, v19
	v_lshrrev_b32_e32 v9, 3, v16
	v_mov_b32_e32 v32, v18
	v_cmpx_gt_u32_e32 8, v16
; %bb.831:                              ;   in Loop: Header=BB393_11 Depth=1
	v_ffbh_u32_e32 v9, v18
	v_min_u32_e32 v9, 32, v9
	v_subrev_nc_u32_e32 v16, 28, v9
	v_sub_nc_u32_e32 v9, 29, v9
	v_lshlrev_b64 v[16:17], v16, v[18:19]
	v_and_b32_e32 v32, 7, v16
; %bb.832:                              ;   in Loop: Header=BB393_11 Depth=1
	s_or_b32 exec_lo, exec_lo, s24
	v_mov_b32_e32 v16, 24
	v_lshlrev_b32_e32 v17, 20, v32
	v_lshl_add_u32 v9, v9, 23, 0x3c000000
	v_lshlrev_b32_sdwa v16, v16, v31 dst_sel:DWORD dst_unused:UNUSED_PAD src0_sel:DWORD src1_sel:WORD_1
	v_and_b32_e32 v16, 0x80000000, v16
	v_or3_b32 v87, v17, v16, v9
.LBB393_833:                            ;   in Loop: Header=BB393_11 Depth=1
	s_or_b32 exec_lo, exec_lo, s23
.LBB393_834:                            ;   in Loop: Header=BB393_11 Depth=1
	s_or_b32 exec_lo, exec_lo, s22
.LBB393_835:                            ;   in Loop: Header=BB393_11 Depth=1
	s_or_b32 exec_lo, exec_lo, s6
	v_mov_b32_e32 v16, 0
	v_mov_b32_e32 v24, 0
	s_mov_b32 s6, exec_lo
	v_cmpx_lt_u64_e64 s[8:9], v[30:31]
	s_cbranch_execz .LBB393_843
; %bb.836:                              ;   in Loop: Header=BB393_11 Depth=1
	v_mov_b32_e32 v9, 0x80
	v_bfrev_b32_e32 v24, 1
	v_cmp_ne_u32_sdwa s5, v31, v9 src0_sel:BYTE_3 src1_sel:DWORD
	s_and_saveexec_b32 s22, s5
	s_cbranch_execz .LBB393_842
; %bb.837:                              ;   in Loop: Header=BB393_11 Depth=1
	v_bfe_u32 v17, v31, 24, 7
	v_mov_b32_e32 v24, 0x7f800001
	s_mov_b32 s23, exec_lo
	v_cmpx_ne_u32_e32 0x7f, v17
	s_cbranch_execz .LBB393_841
; %bb.838:                              ;   in Loop: Header=BB393_11 Depth=1
	v_mov_b32_e32 v9, 7
	s_mov_b32 s24, exec_lo
	v_and_b32_sdwa v18, v31, v9 dst_sel:DWORD dst_unused:UNUSED_PAD src0_sel:BYTE_3 src1_sel:DWORD
	v_mov_b32_e32 v33, v19
	v_lshrrev_b32_e32 v9, 3, v17
	v_mov_b32_e32 v32, v18
	v_cmpx_gt_u32_e32 8, v17
; %bb.839:                              ;   in Loop: Header=BB393_11 Depth=1
	v_ffbh_u32_e32 v9, v18
	v_min_u32_e32 v9, 32, v9
	v_subrev_nc_u32_e32 v17, 28, v9
	v_sub_nc_u32_e32 v9, 29, v9
	v_lshlrev_b64 v[17:18], v17, v[18:19]
	v_and_b32_e32 v32, 7, v17
; %bb.840:                              ;   in Loop: Header=BB393_11 Depth=1
	s_or_b32 exec_lo, exec_lo, s24
	v_mov_b32_e32 v17, 24
	v_lshlrev_b32_e32 v18, 20, v32
	v_lshl_add_u32 v9, v9, 23, 0x3c000000
	v_lshlrev_b32_sdwa v17, v17, v31 dst_sel:DWORD dst_unused:UNUSED_PAD src0_sel:DWORD src1_sel:BYTE_3
	v_and_b32_e32 v17, 0x80000000, v17
	v_or3_b32 v24, v18, v17, v9
.LBB393_841:                            ;   in Loop: Header=BB393_11 Depth=1
	s_or_b32 exec_lo, exec_lo, s23
.LBB393_842:                            ;   in Loop: Header=BB393_11 Depth=1
	s_or_b32 exec_lo, exec_lo, s22
.LBB393_843:                            ;   in Loop: Header=BB393_11 Depth=1
	s_or_b32 exec_lo, exec_lo, s6
	flat_load_dwordx2 v[30:31], v[28:29] offset:1032
	s_waitcnt vmcnt(0) lgkmcnt(0)
	v_cmp_ne_u16_sdwa s5, v30, v19 src0_sel:BYTE_0 src1_sel:DWORD
	s_and_saveexec_b32 s6, s5
	s_cbranch_execz .LBB393_851
; %bb.844:                              ;   in Loop: Header=BB393_11 Depth=1
	v_mov_b32_e32 v9, 0x80
	v_bfrev_b32_e32 v16, 1
	v_cmp_ne_u16_sdwa s5, v30, v9 src0_sel:BYTE_0 src1_sel:DWORD
	s_and_saveexec_b32 s22, s5
	s_cbranch_execz .LBB393_850
; %bb.845:                              ;   in Loop: Header=BB393_11 Depth=1
	v_and_b32_e32 v17, 0x7f, v30
	v_mov_b32_e32 v16, 0x7f800001
	s_mov_b32 s23, exec_lo
	v_cmpx_ne_u32_e32 0x7f, v17
	s_cbranch_execz .LBB393_849
; %bb.846:                              ;   in Loop: Header=BB393_11 Depth=1
	v_mov_b32_e32 v33, v31
	v_lshrrev_b32_e32 v9, 3, v17
	v_mov_b32_e32 v32, v30
	s_mov_b32 s24, exec_lo
	v_cmpx_gt_u32_e32 8, v17
; %bb.847:                              ;   in Loop: Header=BB393_11 Depth=1
	v_and_b32_e32 v9, 7, v30
	v_ffbh_u32_e32 v9, v9
	v_min_u32_e32 v9, 32, v9
	v_subrev_nc_u32_e32 v16, 28, v9
	v_sub_nc_u32_e32 v9, 29, v9
	v_lshlrev_b64 v[32:33], v16, v[30:31]
; %bb.848:                              ;   in Loop: Header=BB393_11 Depth=1
	s_or_b32 exec_lo, exec_lo, s24
	v_lshlrev_b32_e32 v16, 20, v32
	v_lshlrev_b32_e32 v17, 24, v30
	v_lshl_add_u32 v9, v9, 23, 0x3c000000
	v_and_b32_e32 v16, 0x700000, v16
	v_and_b32_e32 v17, 0x80000000, v17
	v_or3_b32 v16, v16, v17, v9
.LBB393_849:                            ;   in Loop: Header=BB393_11 Depth=1
	s_or_b32 exec_lo, exec_lo, s23
.LBB393_850:                            ;   in Loop: Header=BB393_11 Depth=1
	s_or_b32 exec_lo, exec_lo, s22
.LBB393_851:                            ;   in Loop: Header=BB393_11 Depth=1
	s_or_b32 exec_lo, exec_lo, s6
	v_cmp_ne_u16_sdwa s5, v30, v19 src0_sel:BYTE_1 src1_sel:DWORD
	v_mov_b32_e32 v17, 0
	v_mov_b32_e32 v98, 0
	s_and_saveexec_b32 s6, s5
	s_cbranch_execz .LBB393_859
; %bb.852:                              ;   in Loop: Header=BB393_11 Depth=1
	v_mov_b32_e32 v9, 0x80
	v_bfrev_b32_e32 v98, 1
	v_cmp_ne_u16_sdwa s5, v30, v9 src0_sel:BYTE_1 src1_sel:DWORD
	s_and_saveexec_b32 s22, s5
	s_cbranch_execz .LBB393_858
; %bb.853:                              ;   in Loop: Header=BB393_11 Depth=1
	v_mov_b32_e32 v9, 0xffff
	v_mov_b32_e32 v98, 0x7f800001
	s_mov_b32 s23, exec_lo
	v_and_b32_sdwa v9, v9, v30 dst_sel:DWORD dst_unused:UNUSED_PAD src0_sel:DWORD src1_sel:BYTE_1
	v_and_b32_e32 v25, 0x7f, v9
	v_cmpx_ne_u32_e32 0x7f, v25
	s_cbranch_execz .LBB393_857
; %bb.854:                              ;   in Loop: Header=BB393_11 Depth=1
	v_and_b32_e32 v18, 7, v9
	v_mov_b32_e32 v33, v19
	v_lshrrev_b32_e32 v9, 3, v25
	s_mov_b32 s24, exec_lo
	v_mov_b32_e32 v32, v18
	v_cmpx_gt_u32_e32 8, v25
; %bb.855:                              ;   in Loop: Header=BB393_11 Depth=1
	v_ffbh_u32_e32 v9, v18
	v_min_u32_e32 v9, 32, v9
	v_subrev_nc_u32_e32 v25, 28, v9
	v_sub_nc_u32_e32 v9, 29, v9
	v_lshlrev_b64 v[32:33], v25, v[18:19]
	v_and_b32_e32 v32, 7, v32
; %bb.856:                              ;   in Loop: Header=BB393_11 Depth=1
	s_or_b32 exec_lo, exec_lo, s24
	v_lshlrev_b32_e32 v18, 16, v30
	v_lshlrev_b32_e32 v25, 20, v32
	v_lshl_add_u32 v9, v9, 23, 0x3c000000
	v_and_b32_e32 v18, 0x80000000, v18
	v_or3_b32 v98, v25, v18, v9
.LBB393_857:                            ;   in Loop: Header=BB393_11 Depth=1
	s_or_b32 exec_lo, exec_lo, s23
.LBB393_858:                            ;   in Loop: Header=BB393_11 Depth=1
	s_or_b32 exec_lo, exec_lo, s22
.LBB393_859:                            ;   in Loop: Header=BB393_11 Depth=1
	s_or_b32 exec_lo, exec_lo, s6
	v_mov_b32_e32 v9, 0xff
	s_mov_b32 s6, exec_lo
	v_and_b32_sdwa v9, v30, v9 dst_sel:DWORD dst_unused:UNUSED_PAD src0_sel:WORD_1 src1_sel:DWORD
	v_cmpx_ne_u16_e32 0, v9
	s_cbranch_execz .LBB393_867
; %bb.860:                              ;   in Loop: Header=BB393_11 Depth=1
	v_bfrev_b32_e32 v17, 1
	s_mov_b32 s22, exec_lo
	v_cmpx_ne_u16_e32 0x80, v9
	s_cbranch_execz .LBB393_866
; %bb.861:                              ;   in Loop: Header=BB393_11 Depth=1
	v_bfe_u32 v25, v30, 16, 7
	v_mov_b32_e32 v17, 0x7f800001
	s_mov_b32 s23, exec_lo
	v_cmpx_ne_u32_e32 0x7f, v25
	s_cbranch_execz .LBB393_865
; %bb.862:                              ;   in Loop: Header=BB393_11 Depth=1
	v_mov_b32_e32 v9, 7
	s_mov_b32 s24, exec_lo
	v_and_b32_sdwa v18, v30, v9 dst_sel:DWORD dst_unused:UNUSED_PAD src0_sel:WORD_1 src1_sel:DWORD
	v_mov_b32_e32 v33, v19
	v_lshrrev_b32_e32 v9, 3, v25
	v_mov_b32_e32 v32, v18
	v_cmpx_gt_u32_e32 8, v25
; %bb.863:                              ;   in Loop: Header=BB393_11 Depth=1
	v_ffbh_u32_e32 v9, v18
	v_min_u32_e32 v9, 32, v9
	v_subrev_nc_u32_e32 v17, 28, v9
	v_sub_nc_u32_e32 v9, 29, v9
	v_lshlrev_b64 v[17:18], v17, v[18:19]
	v_and_b32_e32 v32, 7, v17
; %bb.864:                              ;   in Loop: Header=BB393_11 Depth=1
	s_or_b32 exec_lo, exec_lo, s24
	v_mov_b32_e32 v17, 24
	v_lshlrev_b32_e32 v18, 20, v32
	v_lshl_add_u32 v9, v9, 23, 0x3c000000
	v_lshlrev_b32_sdwa v17, v17, v30 dst_sel:DWORD dst_unused:UNUSED_PAD src0_sel:DWORD src1_sel:WORD_1
	v_and_b32_e32 v17, 0x80000000, v17
	v_or3_b32 v17, v18, v17, v9
.LBB393_865:                            ;   in Loop: Header=BB393_11 Depth=1
	s_or_b32 exec_lo, exec_lo, s23
.LBB393_866:                            ;   in Loop: Header=BB393_11 Depth=1
	s_or_b32 exec_lo, exec_lo, s22
.LBB393_867:                            ;   in Loop: Header=BB393_11 Depth=1
	s_or_b32 exec_lo, exec_lo, s6
	v_mov_b32_e32 v103, 0
	v_mov_b32_e32 v102, 0
	s_mov_b32 s6, exec_lo
	v_cmpx_lt_u32_e32 0xffffff, v30
	s_cbranch_execz .LBB393_875
; %bb.868:                              ;   in Loop: Header=BB393_11 Depth=1
	v_mov_b32_e32 v9, 0x80
	v_bfrev_b32_e32 v102, 1
	v_cmp_ne_u32_sdwa s5, v30, v9 src0_sel:BYTE_3 src1_sel:DWORD
	s_and_saveexec_b32 s22, s5
	s_cbranch_execz .LBB393_874
; %bb.869:                              ;   in Loop: Header=BB393_11 Depth=1
	v_bfe_u32 v25, v30, 24, 7
	v_mov_b32_e32 v102, 0x7f800001
	s_mov_b32 s23, exec_lo
	v_cmpx_ne_u32_e32 0x7f, v25
	s_cbranch_execz .LBB393_873
; %bb.870:                              ;   in Loop: Header=BB393_11 Depth=1
	v_mov_b32_e32 v9, 7
	s_mov_b32 s24, exec_lo
	v_and_b32_sdwa v18, v30, v9 dst_sel:DWORD dst_unused:UNUSED_PAD src0_sel:BYTE_3 src1_sel:DWORD
	v_mov_b32_e32 v33, v19
	v_lshrrev_b32_e32 v9, 3, v25
	v_mov_b32_e32 v32, v18
	v_cmpx_gt_u32_e32 8, v25
; %bb.871:                              ;   in Loop: Header=BB393_11 Depth=1
	v_ffbh_u32_e32 v9, v18
	v_min_u32_e32 v9, 32, v9
	v_subrev_nc_u32_e32 v25, 28, v9
	v_sub_nc_u32_e32 v9, 29, v9
	v_lshlrev_b64 v[32:33], v25, v[18:19]
	v_and_b32_e32 v32, 7, v32
; %bb.872:                              ;   in Loop: Header=BB393_11 Depth=1
	s_or_b32 exec_lo, exec_lo, s24
	v_mov_b32_e32 v18, 24
	v_lshlrev_b32_e32 v25, 20, v32
	v_lshl_add_u32 v9, v9, 23, 0x3c000000
	v_lshlrev_b32_sdwa v18, v18, v30 dst_sel:DWORD dst_unused:UNUSED_PAD src0_sel:DWORD src1_sel:BYTE_3
	v_and_b32_e32 v18, 0x80000000, v18
	v_or3_b32 v102, v25, v18, v9
.LBB393_873:                            ;   in Loop: Header=BB393_11 Depth=1
	s_or_b32 exec_lo, exec_lo, s23
.LBB393_874:                            ;   in Loop: Header=BB393_11 Depth=1
	s_or_b32 exec_lo, exec_lo, s22
.LBB393_875:                            ;   in Loop: Header=BB393_11 Depth=1
	s_or_b32 exec_lo, exec_lo, s6
	v_mov_b32_e32 v18, v31
	v_cmp_ne_u16_sdwa s5, v31, v19 src0_sel:BYTE_0 src1_sel:DWORD
	s_and_saveexec_b32 s6, s5
	s_cbranch_execz .LBB393_883
; %bb.876:                              ;   in Loop: Header=BB393_11 Depth=1
	v_mov_b32_e32 v9, 0x80
	v_bfrev_b32_e32 v103, 1
	v_cmp_ne_u16_sdwa s5, v31, v9 src0_sel:BYTE_0 src1_sel:DWORD
	s_and_saveexec_b32 s22, s5
	s_cbranch_execz .LBB393_882
; %bb.877:                              ;   in Loop: Header=BB393_11 Depth=1
	v_and_b32_e32 v25, 0x7f, v31
	v_mov_b32_e32 v103, 0x7f800001
	s_mov_b32 s23, exec_lo
	v_cmpx_ne_u32_e32 0x7f, v25
	s_cbranch_execz .LBB393_881
; %bb.878:                              ;   in Loop: Header=BB393_11 Depth=1
	v_mov_b32_e32 v33, v19
	v_lshrrev_b32_e32 v9, 3, v25
	v_mov_b32_e32 v32, v18
	s_mov_b32 s24, exec_lo
	v_cmpx_gt_u32_e32 8, v25
; %bb.879:                              ;   in Loop: Header=BB393_11 Depth=1
	v_and_b32_e32 v9, 7, v31
	v_ffbh_u32_e32 v9, v9
	v_min_u32_e32 v9, 32, v9
	v_subrev_nc_u32_e32 v25, 28, v9
	v_sub_nc_u32_e32 v9, 29, v9
	v_lshlrev_b64 v[32:33], v25, v[18:19]
; %bb.880:                              ;   in Loop: Header=BB393_11 Depth=1
	s_or_b32 exec_lo, exec_lo, s24
	v_lshlrev_b32_e32 v25, 20, v32
	v_lshlrev_b32_e32 v32, 24, v18
	v_lshl_add_u32 v9, v9, 23, 0x3c000000
	v_and_b32_e32 v25, 0x700000, v25
	v_and_b32_e32 v32, 0x80000000, v32
	v_or3_b32 v103, v25, v32, v9
.LBB393_881:                            ;   in Loop: Header=BB393_11 Depth=1
	s_or_b32 exec_lo, exec_lo, s23
.LBB393_882:                            ;   in Loop: Header=BB393_11 Depth=1
	s_or_b32 exec_lo, exec_lo, s22
.LBB393_883:                            ;   in Loop: Header=BB393_11 Depth=1
	s_or_b32 exec_lo, exec_lo, s6
	v_cmp_ne_u16_sdwa s5, v18, v19 src0_sel:BYTE_1 src1_sel:DWORD
	v_mov_b32_e32 v112, 0
	v_mov_b32_e32 v113, 0
	s_and_saveexec_b32 s6, s5
	s_cbranch_execz .LBB393_891
; %bb.884:                              ;   in Loop: Header=BB393_11 Depth=1
	v_mov_b32_e32 v9, 0x80
	v_bfrev_b32_e32 v113, 1
	v_cmp_ne_u16_sdwa s5, v18, v9 src0_sel:BYTE_1 src1_sel:DWORD
	s_and_saveexec_b32 s22, s5
	s_cbranch_execz .LBB393_890
; %bb.885:                              ;   in Loop: Header=BB393_11 Depth=1
	v_mov_b32_e32 v9, 0xffff
	v_mov_b32_e32 v113, 0x7f800001
	s_mov_b32 s23, exec_lo
	v_and_b32_sdwa v9, v9, v18 dst_sel:DWORD dst_unused:UNUSED_PAD src0_sel:DWORD src1_sel:BYTE_1
	v_and_b32_e32 v25, 0x7f, v9
	v_cmpx_ne_u32_e32 0x7f, v25
	s_cbranch_execz .LBB393_889
; %bb.886:                              ;   in Loop: Header=BB393_11 Depth=1
	v_and_b32_e32 v32, 7, v9
	v_mov_b32_e32 v33, v19
	v_lshrrev_b32_e32 v9, 3, v25
	s_mov_b32 s24, exec_lo
	v_cmpx_gt_u32_e32 8, v25
; %bb.887:                              ;   in Loop: Header=BB393_11 Depth=1
	v_ffbh_u32_e32 v9, v32
	v_min_u32_e32 v9, 32, v9
	v_subrev_nc_u32_e32 v25, 28, v9
	v_sub_nc_u32_e32 v9, 29, v9
	v_lshlrev_b64 v[32:33], v25, v[32:33]
	v_and_b32_e32 v32, 7, v32
; %bb.888:                              ;   in Loop: Header=BB393_11 Depth=1
	s_or_b32 exec_lo, exec_lo, s24
	v_lshlrev_b32_e32 v18, 16, v18
	v_lshlrev_b32_e32 v25, 20, v32
	v_lshl_add_u32 v9, v9, 23, 0x3c000000
	v_and_b32_e32 v18, 0x80000000, v18
	v_or3_b32 v113, v25, v18, v9
.LBB393_889:                            ;   in Loop: Header=BB393_11 Depth=1
	s_or_b32 exec_lo, exec_lo, s23
.LBB393_890:                            ;   in Loop: Header=BB393_11 Depth=1
	s_or_b32 exec_lo, exec_lo, s22
.LBB393_891:                            ;   in Loop: Header=BB393_11 Depth=1
	s_or_b32 exec_lo, exec_lo, s6
	v_mov_b32_e32 v9, 0xff
	s_mov_b32 s6, exec_lo
	v_and_b32_sdwa v9, v31, v9 dst_sel:DWORD dst_unused:UNUSED_PAD src0_sel:WORD_1 src1_sel:DWORD
	v_cmpx_ne_u16_e32 0, v9
	s_cbranch_execz .LBB393_899
; %bb.892:                              ;   in Loop: Header=BB393_11 Depth=1
	v_bfrev_b32_e32 v112, 1
	s_mov_b32 s22, exec_lo
	v_cmpx_ne_u16_e32 0x80, v9
	s_cbranch_execz .LBB393_898
; %bb.893:                              ;   in Loop: Header=BB393_11 Depth=1
	v_bfe_u32 v25, v31, 16, 7
	v_mov_b32_e32 v112, 0x7f800001
	s_mov_b32 s23, exec_lo
	v_cmpx_ne_u32_e32 0x7f, v25
	s_cbranch_execz .LBB393_897
; %bb.894:                              ;   in Loop: Header=BB393_11 Depth=1
	v_mov_b32_e32 v9, 7
	s_mov_b32 s24, exec_lo
	v_and_b32_sdwa v18, v31, v9 dst_sel:DWORD dst_unused:UNUSED_PAD src0_sel:WORD_1 src1_sel:DWORD
	v_mov_b32_e32 v33, v19
	v_lshrrev_b32_e32 v9, 3, v25
	v_mov_b32_e32 v32, v18
	v_cmpx_gt_u32_e32 8, v25
; %bb.895:                              ;   in Loop: Header=BB393_11 Depth=1
	v_ffbh_u32_e32 v9, v18
	v_min_u32_e32 v9, 32, v9
	v_subrev_nc_u32_e32 v25, 28, v9
	v_sub_nc_u32_e32 v9, 29, v9
	v_lshlrev_b64 v[32:33], v25, v[18:19]
	v_and_b32_e32 v32, 7, v32
; %bb.896:                              ;   in Loop: Header=BB393_11 Depth=1
	s_or_b32 exec_lo, exec_lo, s24
	v_mov_b32_e32 v18, 24
	v_lshlrev_b32_e32 v25, 20, v32
	v_lshl_add_u32 v9, v9, 23, 0x3c000000
	v_lshlrev_b32_sdwa v18, v18, v31 dst_sel:DWORD dst_unused:UNUSED_PAD src0_sel:DWORD src1_sel:WORD_1
	v_and_b32_e32 v18, 0x80000000, v18
	v_or3_b32 v112, v25, v18, v9
.LBB393_897:                            ;   in Loop: Header=BB393_11 Depth=1
	s_or_b32 exec_lo, exec_lo, s23
.LBB393_898:                            ;   in Loop: Header=BB393_11 Depth=1
	s_or_b32 exec_lo, exec_lo, s22
.LBB393_899:                            ;   in Loop: Header=BB393_11 Depth=1
	s_or_b32 exec_lo, exec_lo, s6
	v_mov_b32_e32 v9, 0
	v_mov_b32_e32 v114, 0
	s_mov_b32 s6, exec_lo
	v_cmpx_lt_u64_e64 s[8:9], v[30:31]
	s_cbranch_execz .LBB393_907
; %bb.900:                              ;   in Loop: Header=BB393_11 Depth=1
	v_mov_b32_e32 v18, 0x80
	v_bfrev_b32_e32 v114, 1
	v_cmp_ne_u32_sdwa s5, v31, v18 src0_sel:BYTE_3 src1_sel:DWORD
	s_and_saveexec_b32 s22, s5
	s_cbranch_execz .LBB393_906
; %bb.901:                              ;   in Loop: Header=BB393_11 Depth=1
	v_bfe_u32 v30, v31, 24, 7
	v_mov_b32_e32 v114, 0x7f800001
	s_mov_b32 s23, exec_lo
	v_cmpx_ne_u32_e32 0x7f, v30
	s_cbranch_execz .LBB393_905
; %bb.902:                              ;   in Loop: Header=BB393_11 Depth=1
	v_mov_b32_e32 v18, 7
	v_lshrrev_b32_e32 v25, 3, v30
	s_mov_b32 s24, exec_lo
	v_and_b32_sdwa v18, v31, v18 dst_sel:DWORD dst_unused:UNUSED_PAD src0_sel:BYTE_3 src1_sel:DWORD
	v_mov_b32_e32 v33, v19
	v_mov_b32_e32 v32, v18
	v_cmpx_gt_u32_e32 8, v30
; %bb.903:                              ;   in Loop: Header=BB393_11 Depth=1
	v_ffbh_u32_e32 v25, v18
	v_min_u32_e32 v25, 32, v25
	v_subrev_nc_u32_e32 v30, 28, v25
	v_sub_nc_u32_e32 v25, 29, v25
	v_lshlrev_b64 v[32:33], v30, v[18:19]
	v_and_b32_e32 v32, 7, v32
; %bb.904:                              ;   in Loop: Header=BB393_11 Depth=1
	s_or_b32 exec_lo, exec_lo, s24
	v_mov_b32_e32 v18, 24
	v_lshlrev_b32_e32 v30, 20, v32
	v_lshl_add_u32 v25, v25, 23, 0x3c000000
	v_lshlrev_b32_sdwa v18, v18, v31 dst_sel:DWORD dst_unused:UNUSED_PAD src0_sel:DWORD src1_sel:BYTE_3
	v_and_b32_e32 v18, 0x80000000, v18
	v_or3_b32 v114, v30, v18, v25
.LBB393_905:                            ;   in Loop: Header=BB393_11 Depth=1
	s_or_b32 exec_lo, exec_lo, s23
.LBB393_906:                            ;   in Loop: Header=BB393_11 Depth=1
	s_or_b32 exec_lo, exec_lo, s22
.LBB393_907:                            ;   in Loop: Header=BB393_11 Depth=1
	s_or_b32 exec_lo, exec_lo, s6
	flat_load_dwordx2 v[28:29], v[28:29] offset:1536
	s_waitcnt vmcnt(0) lgkmcnt(0)
	v_cmp_ne_u16_sdwa s5, v28, v19 src0_sel:BYTE_0 src1_sel:DWORD
	s_and_saveexec_b32 s6, s5
	s_cbranch_execz .LBB393_915
; %bb.908:                              ;   in Loop: Header=BB393_11 Depth=1
	v_mov_b32_e32 v9, 0x80
	v_cmp_ne_u16_sdwa s5, v28, v9 src0_sel:BYTE_0 src1_sel:DWORD
	v_bfrev_b32_e32 v9, 1
	s_and_saveexec_b32 s22, s5
	s_cbranch_execz .LBB393_914
; %bb.909:                              ;   in Loop: Header=BB393_11 Depth=1
	v_and_b32_e32 v18, 0x7f, v28
	v_mov_b32_e32 v9, 0x7f800001
	s_mov_b32 s23, exec_lo
	v_cmpx_ne_u32_e32 0x7f, v18
	s_cbranch_execz .LBB393_913
; %bb.910:                              ;   in Loop: Header=BB393_11 Depth=1
	v_mov_b32_e32 v31, v29
	v_lshrrev_b32_e32 v9, 3, v18
	v_mov_b32_e32 v30, v28
	s_mov_b32 s24, exec_lo
	v_cmpx_gt_u32_e32 8, v18
; %bb.911:                              ;   in Loop: Header=BB393_11 Depth=1
	v_and_b32_e32 v9, 7, v28
	v_ffbh_u32_e32 v9, v9
	v_min_u32_e32 v9, 32, v9
	v_subrev_nc_u32_e32 v18, 28, v9
	v_sub_nc_u32_e32 v9, 29, v9
	v_lshlrev_b64 v[30:31], v18, v[28:29]
; %bb.912:                              ;   in Loop: Header=BB393_11 Depth=1
	s_or_b32 exec_lo, exec_lo, s24
	v_lshlrev_b32_e32 v18, 20, v30
	v_lshlrev_b32_e32 v25, 24, v28
	v_lshl_add_u32 v9, v9, 23, 0x3c000000
	v_and_b32_e32 v18, 0x700000, v18
	v_and_b32_e32 v25, 0x80000000, v25
	v_or3_b32 v9, v18, v25, v9
.LBB393_913:                            ;   in Loop: Header=BB393_11 Depth=1
	s_or_b32 exec_lo, exec_lo, s23
.LBB393_914:                            ;   in Loop: Header=BB393_11 Depth=1
	s_or_b32 exec_lo, exec_lo, s22
.LBB393_915:                            ;   in Loop: Header=BB393_11 Depth=1
	s_or_b32 exec_lo, exec_lo, s6
	v_cmp_ne_u16_sdwa s5, v28, v19 src0_sel:BYTE_1 src1_sel:DWORD
	v_mov_b32_e32 v32, 0
	v_mov_b32_e32 v25, 0
	s_and_saveexec_b32 s6, s5
	s_cbranch_execz .LBB393_923
; %bb.916:                              ;   in Loop: Header=BB393_11 Depth=1
	v_mov_b32_e32 v18, 0x80
	v_bfrev_b32_e32 v25, 1
	v_cmp_ne_u16_sdwa s5, v28, v18 src0_sel:BYTE_1 src1_sel:DWORD
	s_and_saveexec_b32 s22, s5
	s_cbranch_execz .LBB393_922
; %bb.917:                              ;   in Loop: Header=BB393_11 Depth=1
	v_mov_b32_e32 v18, 0xffff
	v_mov_b32_e32 v25, 0x7f800001
	s_mov_b32 s23, exec_lo
	v_and_b32_sdwa v18, v18, v28 dst_sel:DWORD dst_unused:UNUSED_PAD src0_sel:DWORD src1_sel:BYTE_1
	v_and_b32_e32 v30, 0x7f, v18
	v_cmpx_ne_u32_e32 0x7f, v30
	s_cbranch_execz .LBB393_921
; %bb.918:                              ;   in Loop: Header=BB393_11 Depth=1
	v_and_b32_e32 v18, 7, v18
	v_lshrrev_b32_e32 v25, 3, v30
	v_cmp_gt_u32_e64 s5, 8, v30
	v_mov_b32_e32 v31, v19
	v_mov_b32_e32 v30, v18
	s_and_saveexec_b32 s24, s5
; %bb.919:                              ;   in Loop: Header=BB393_11 Depth=1
	v_ffbh_u32_e32 v25, v18
	v_min_u32_e32 v25, 32, v25
	v_subrev_nc_u32_e32 v30, 28, v25
	v_sub_nc_u32_e32 v25, 29, v25
	v_lshlrev_b64 v[30:31], v30, v[18:19]
	v_and_b32_e32 v30, 7, v30
; %bb.920:                              ;   in Loop: Header=BB393_11 Depth=1
	s_or_b32 exec_lo, exec_lo, s24
	v_lshlrev_b32_e32 v18, 16, v28
	v_lshlrev_b32_e32 v30, 20, v30
	v_lshl_add_u32 v25, v25, 23, 0x3c000000
	v_and_b32_e32 v18, 0x80000000, v18
	v_or3_b32 v25, v30, v18, v25
.LBB393_921:                            ;   in Loop: Header=BB393_11 Depth=1
	s_or_b32 exec_lo, exec_lo, s23
.LBB393_922:                            ;   in Loop: Header=BB393_11 Depth=1
	s_or_b32 exec_lo, exec_lo, s22
.LBB393_923:                            ;   in Loop: Header=BB393_11 Depth=1
	s_or_b32 exec_lo, exec_lo, s6
	v_mov_b32_e32 v18, 0xff
	s_mov_b32 s6, exec_lo
	v_and_b32_sdwa v18, v28, v18 dst_sel:DWORD dst_unused:UNUSED_PAD src0_sel:WORD_1 src1_sel:DWORD
	v_cmpx_ne_u16_e32 0, v18
	s_cbranch_execz .LBB393_931
; %bb.924:                              ;   in Loop: Header=BB393_11 Depth=1
	v_bfrev_b32_e32 v32, 1
	s_mov_b32 s22, exec_lo
	v_cmpx_ne_u16_e32 0x80, v18
	s_cbranch_execz .LBB393_930
; %bb.925:                              ;   in Loop: Header=BB393_11 Depth=1
	v_bfe_u32 v30, v28, 16, 7
	v_mov_b32_e32 v32, 0x7f800001
	s_mov_b32 s23, exec_lo
	v_cmpx_ne_u32_e32 0x7f, v30
	s_cbranch_execz .LBB393_929
; %bb.926:                              ;   in Loop: Header=BB393_11 Depth=1
	v_mov_b32_e32 v18, 7
	v_lshrrev_b32_e32 v32, 3, v30
	v_cmp_gt_u32_e64 s5, 8, v30
	v_and_b32_sdwa v18, v28, v18 dst_sel:DWORD dst_unused:UNUSED_PAD src0_sel:WORD_1 src1_sel:DWORD
	v_mov_b32_e32 v31, v19
	v_mov_b32_e32 v30, v18
	s_and_saveexec_b32 s24, s5
; %bb.927:                              ;   in Loop: Header=BB393_11 Depth=1
	v_ffbh_u32_e32 v30, v18
	v_min_u32_e32 v32, 32, v30
	v_subrev_nc_u32_e32 v30, 28, v32
	v_sub_nc_u32_e32 v32, 29, v32
	v_lshlrev_b64 v[30:31], v30, v[18:19]
	v_and_b32_e32 v30, 7, v30
; %bb.928:                              ;   in Loop: Header=BB393_11 Depth=1
	s_or_b32 exec_lo, exec_lo, s24
	v_mov_b32_e32 v18, 24
	v_lshlrev_b32_e32 v30, 20, v30
	v_lshl_add_u32 v31, v32, 23, 0x3c000000
	v_lshlrev_b32_sdwa v18, v18, v28 dst_sel:DWORD dst_unused:UNUSED_PAD src0_sel:DWORD src1_sel:WORD_1
	v_and_b32_e32 v18, 0x80000000, v18
	v_or3_b32 v32, v30, v18, v31
.LBB393_929:                            ;   in Loop: Header=BB393_11 Depth=1
	s_or_b32 exec_lo, exec_lo, s23
.LBB393_930:                            ;   in Loop: Header=BB393_11 Depth=1
	s_or_b32 exec_lo, exec_lo, s22
.LBB393_931:                            ;   in Loop: Header=BB393_11 Depth=1
	s_or_b32 exec_lo, exec_lo, s6
	v_mov_b32_e32 v97, 0
	v_mov_b32_e32 v96, 0
	s_mov_b32 s6, exec_lo
	v_cmpx_lt_u32_e32 0xffffff, v28
	s_cbranch_execz .LBB393_939
; %bb.932:                              ;   in Loop: Header=BB393_11 Depth=1
	v_mov_b32_e32 v18, 0x80
	v_bfrev_b32_e32 v96, 1
	v_cmp_ne_u32_sdwa s5, v28, v18 src0_sel:BYTE_3 src1_sel:DWORD
	s_and_saveexec_b32 s22, s5
	s_cbranch_execz .LBB393_938
; %bb.933:                              ;   in Loop: Header=BB393_11 Depth=1
	v_bfe_u32 v30, v28, 24, 7
	v_mov_b32_e32 v96, 0x7f800001
	s_mov_b32 s23, exec_lo
	v_cmpx_ne_u32_e32 0x7f, v30
	s_cbranch_execz .LBB393_937
; %bb.934:                              ;   in Loop: Header=BB393_11 Depth=1
	v_mov_b32_e32 v18, 7
	v_lshrrev_b32_e32 v33, 3, v30
	v_cmp_gt_u32_e64 s5, 8, v30
	v_and_b32_sdwa v18, v28, v18 dst_sel:DWORD dst_unused:UNUSED_PAD src0_sel:BYTE_3 src1_sel:DWORD
	v_mov_b32_e32 v31, v19
	v_mov_b32_e32 v30, v18
	s_and_saveexec_b32 s24, s5
; %bb.935:                              ;   in Loop: Header=BB393_11 Depth=1
	v_ffbh_u32_e32 v30, v18
	v_min_u32_e32 v33, 32, v30
	v_subrev_nc_u32_e32 v30, 28, v33
	v_sub_nc_u32_e32 v33, 29, v33
	v_lshlrev_b64 v[30:31], v30, v[18:19]
	v_and_b32_e32 v30, 7, v30
; %bb.936:                              ;   in Loop: Header=BB393_11 Depth=1
	s_or_b32 exec_lo, exec_lo, s24
	v_mov_b32_e32 v18, 24
	v_lshlrev_b32_e32 v30, 20, v30
	v_lshl_add_u32 v31, v33, 23, 0x3c000000
	v_lshlrev_b32_sdwa v18, v18, v28 dst_sel:DWORD dst_unused:UNUSED_PAD src0_sel:DWORD src1_sel:BYTE_3
	v_and_b32_e32 v18, 0x80000000, v18
	v_or3_b32 v96, v30, v18, v31
.LBB393_937:                            ;   in Loop: Header=BB393_11 Depth=1
	s_or_b32 exec_lo, exec_lo, s23
.LBB393_938:                            ;   in Loop: Header=BB393_11 Depth=1
	s_or_b32 exec_lo, exec_lo, s22
.LBB393_939:                            ;   in Loop: Header=BB393_11 Depth=1
	s_or_b32 exec_lo, exec_lo, s6
	v_mov_b32_e32 v18, v29
	v_cmp_ne_u16_sdwa s5, v29, v19 src0_sel:BYTE_0 src1_sel:DWORD
	s_and_saveexec_b32 s6, s5
	s_cbranch_execz .LBB393_947
; %bb.940:                              ;   in Loop: Header=BB393_11 Depth=1
	v_mov_b32_e32 v30, 0x80
	v_bfrev_b32_e32 v97, 1
	v_cmp_ne_u16_sdwa s5, v29, v30 src0_sel:BYTE_0 src1_sel:DWORD
	s_and_saveexec_b32 s22, s5
	s_cbranch_execz .LBB393_946
; %bb.941:                              ;   in Loop: Header=BB393_11 Depth=1
	v_and_b32_e32 v30, 0x7f, v29
	v_mov_b32_e32 v97, 0x7f800001
	s_mov_b32 s23, exec_lo
	v_cmpx_ne_u32_e32 0x7f, v30
	s_cbranch_execz .LBB393_945
; %bb.942:                              ;   in Loop: Header=BB393_11 Depth=1
	v_lshrrev_b32_e32 v33, 3, v30
	v_cmp_gt_u32_e64 s5, 8, v30
	v_mov_b32_e32 v31, v19
	v_mov_b32_e32 v30, v18
	s_and_saveexec_b32 s24, s5
; %bb.943:                              ;   in Loop: Header=BB393_11 Depth=1
	v_and_b32_e32 v30, 7, v29
	v_ffbh_u32_e32 v30, v30
	v_min_u32_e32 v33, 32, v30
	v_subrev_nc_u32_e32 v30, 28, v33
	v_sub_nc_u32_e32 v33, 29, v33
	v_lshlrev_b64 v[30:31], v30, v[18:19]
; %bb.944:                              ;   in Loop: Header=BB393_11 Depth=1
	s_or_b32 exec_lo, exec_lo, s24
	v_lshlrev_b32_e32 v30, 20, v30
	v_lshlrev_b32_e32 v31, 24, v18
	v_lshl_add_u32 v33, v33, 23, 0x3c000000
	v_and_b32_e32 v30, 0x700000, v30
	v_and_b32_e32 v31, 0x80000000, v31
	v_or3_b32 v97, v30, v31, v33
.LBB393_945:                            ;   in Loop: Header=BB393_11 Depth=1
	s_or_b32 exec_lo, exec_lo, s23
.LBB393_946:                            ;   in Loop: Header=BB393_11 Depth=1
	s_or_b32 exec_lo, exec_lo, s22
.LBB393_947:                            ;   in Loop: Header=BB393_11 Depth=1
	s_or_b32 exec_lo, exec_lo, s6
	v_cmp_ne_u16_sdwa s5, v18, v19 src0_sel:BYTE_1 src1_sel:DWORD
	v_mov_b32_e32 v99, 0
	v_mov_b32_e32 v100, 0
	s_and_saveexec_b32 s6, s5
	s_cbranch_execz .LBB393_955
; %bb.948:                              ;   in Loop: Header=BB393_11 Depth=1
	v_mov_b32_e32 v30, 0x80
	v_bfrev_b32_e32 v100, 1
	v_cmp_ne_u16_sdwa s5, v18, v30 src0_sel:BYTE_1 src1_sel:DWORD
	s_and_saveexec_b32 s22, s5
	s_cbranch_execz .LBB393_954
; %bb.949:                              ;   in Loop: Header=BB393_11 Depth=1
	v_mov_b32_e32 v30, 0xffff
	v_mov_b32_e32 v100, 0x7f800001
	s_mov_b32 s23, exec_lo
	v_and_b32_sdwa v30, v30, v18 dst_sel:DWORD dst_unused:UNUSED_PAD src0_sel:DWORD src1_sel:BYTE_1
	v_and_b32_e32 v101, 0x7f, v30
	v_cmpx_ne_u32_e32 0x7f, v101
	s_cbranch_execz .LBB393_953
; %bb.950:                              ;   in Loop: Header=BB393_11 Depth=1
	v_and_b32_e32 v30, 7, v30
	v_mov_b32_e32 v31, v19
	v_lshrrev_b32_e32 v33, 3, v101
	s_mov_b32 s24, exec_lo
	v_cmpx_gt_u32_e32 8, v101
; %bb.951:                              ;   in Loop: Header=BB393_11 Depth=1
	v_ffbh_u32_e32 v33, v30
	v_min_u32_e32 v33, 32, v33
	v_subrev_nc_u32_e32 v100, 28, v33
	v_sub_nc_u32_e32 v33, 29, v33
	v_lshlrev_b64 v[30:31], v100, v[30:31]
	v_and_b32_e32 v30, 7, v30
; %bb.952:                              ;   in Loop: Header=BB393_11 Depth=1
	s_or_b32 exec_lo, exec_lo, s24
	v_lshlrev_b32_e32 v18, 16, v18
	v_lshlrev_b32_e32 v30, 20, v30
	v_lshl_add_u32 v31, v33, 23, 0x3c000000
	v_and_b32_e32 v18, 0x80000000, v18
	v_or3_b32 v100, v30, v18, v31
.LBB393_953:                            ;   in Loop: Header=BB393_11 Depth=1
	s_or_b32 exec_lo, exec_lo, s23
.LBB393_954:                            ;   in Loop: Header=BB393_11 Depth=1
	s_or_b32 exec_lo, exec_lo, s22
.LBB393_955:                            ;   in Loop: Header=BB393_11 Depth=1
	s_or_b32 exec_lo, exec_lo, s6
	v_mov_b32_e32 v18, 0xff
	s_mov_b32 s6, exec_lo
	v_and_b32_sdwa v18, v29, v18 dst_sel:DWORD dst_unused:UNUSED_PAD src0_sel:WORD_1 src1_sel:DWORD
	v_cmpx_ne_u16_e32 0, v18
	s_cbranch_execz .LBB393_963
; %bb.956:                              ;   in Loop: Header=BB393_11 Depth=1
	v_bfrev_b32_e32 v99, 1
	s_mov_b32 s22, exec_lo
	v_cmpx_ne_u16_e32 0x80, v18
	s_cbranch_execz .LBB393_962
; %bb.957:                              ;   in Loop: Header=BB393_11 Depth=1
	v_bfe_u32 v30, v29, 16, 7
	v_mov_b32_e32 v99, 0x7f800001
	s_mov_b32 s23, exec_lo
	v_cmpx_ne_u32_e32 0x7f, v30
	s_cbranch_execz .LBB393_961
; %bb.958:                              ;   in Loop: Header=BB393_11 Depth=1
	v_mov_b32_e32 v18, 7
	v_lshrrev_b32_e32 v33, 3, v30
	v_cmp_gt_u32_e64 s5, 8, v30
	v_and_b32_sdwa v18, v29, v18 dst_sel:DWORD dst_unused:UNUSED_PAD src0_sel:WORD_1 src1_sel:DWORD
	v_mov_b32_e32 v31, v19
	v_mov_b32_e32 v30, v18
	s_and_saveexec_b32 s24, s5
; %bb.959:                              ;   in Loop: Header=BB393_11 Depth=1
	v_ffbh_u32_e32 v30, v18
	v_min_u32_e32 v33, 32, v30
	v_subrev_nc_u32_e32 v30, 28, v33
	v_sub_nc_u32_e32 v33, 29, v33
	v_lshlrev_b64 v[30:31], v30, v[18:19]
	v_and_b32_e32 v30, 7, v30
; %bb.960:                              ;   in Loop: Header=BB393_11 Depth=1
	s_or_b32 exec_lo, exec_lo, s24
	v_mov_b32_e32 v18, 24
	v_lshlrev_b32_e32 v30, 20, v30
	v_lshl_add_u32 v31, v33, 23, 0x3c000000
	v_lshlrev_b32_sdwa v18, v18, v29 dst_sel:DWORD dst_unused:UNUSED_PAD src0_sel:DWORD src1_sel:WORD_1
	v_and_b32_e32 v18, 0x80000000, v18
	v_or3_b32 v99, v30, v18, v31
.LBB393_961:                            ;   in Loop: Header=BB393_11 Depth=1
	s_or_b32 exec_lo, exec_lo, s23
.LBB393_962:                            ;   in Loop: Header=BB393_11 Depth=1
	s_or_b32 exec_lo, exec_lo, s22
.LBB393_963:                            ;   in Loop: Header=BB393_11 Depth=1
	s_or_b32 exec_lo, exec_lo, s6
	v_mov_b32_e32 v21, v35
	v_mov_b32_e32 v101, 0
	buffer_store_dword v83, off, s[0:3], s32 offset:224 ; 4-byte Folded Spill
	v_cmp_lt_u64_e64 s5, s[8:9], v[28:29]
	s_mov_b32 s6, exec_lo
	v_mov_b32_e32 v80, v81
	v_mov_b32_e32 v35, v71
	s_and_b32 s5, s6, s5
	s_mov_b32 exec_lo, s5
	s_cbranch_execz .LBB393_10
; %bb.964:                              ;   in Loop: Header=BB393_11 Depth=1
	v_mov_b32_e32 v18, 0x80
	v_bfrev_b32_e32 v101, 1
	v_cmp_ne_u32_sdwa s5, v29, v18 src0_sel:BYTE_3 src1_sel:DWORD
	s_and_saveexec_b32 s22, s5
	s_cbranch_execz .LBB393_9
; %bb.965:                              ;   in Loop: Header=BB393_11 Depth=1
	v_bfe_u32 v30, v29, 24, 7
	v_mov_b32_e32 v101, 0x7f800001
	s_mov_b32 s23, exec_lo
	v_cmpx_ne_u32_e32 0x7f, v30
	s_cbranch_execz .LBB393_8
; %bb.966:                              ;   in Loop: Header=BB393_11 Depth=1
	v_mov_b32_e32 v18, 7
	v_lshrrev_b32_e32 v28, 3, v30
	v_cmp_gt_u32_e64 s5, 8, v30
	v_and_b32_sdwa v18, v29, v18 dst_sel:DWORD dst_unused:UNUSED_PAD src0_sel:BYTE_3 src1_sel:DWORD
	v_mov_b32_e32 v31, v19
	v_mov_b32_e32 v30, v18
	s_and_saveexec_b32 s24, s5
	s_cbranch_execz .LBB393_7
; %bb.967:                              ;   in Loop: Header=BB393_11 Depth=1
	v_ffbh_u32_e32 v28, v18
	v_min_u32_e32 v28, 32, v28
	v_subrev_nc_u32_e32 v30, 28, v28
	v_sub_nc_u32_e32 v28, 29, v28
	v_lshlrev_b64 v[30:31], v30, v[18:19]
	v_and_b32_e32 v30, 7, v30
	s_branch .LBB393_7
.LBB393_968:
	s_or_b32 exec_lo, exec_lo, s17
	s_clause 0x11
	buffer_load_dword v12, off, s[0:3], s32 offset:756
	buffer_load_dword v15, off, s[0:3], s32 offset:776
	;; [unrolled: 1-line block ×18, first 2 shown]
.LBB393_969:
	s_or_b32 exec_lo, exec_lo, s21
	v_mbcnt_lo_u32_b32 v0, -1, 0
	v_max_f32_e32 v4, v83, v83
	s_lshr_b32 s8, s13, 16
	v_xor_b32_e32 v1, 16, v0
	v_xor_b32_e32 v3, 8, v0
	;; [unrolled: 1-line block ×3, first 2 shown]
	v_cmp_gt_i32_e32 vcc_lo, 32, v1
	v_cndmask_b32_e32 v1, v0, v1, vcc_lo
	v_cmp_gt_i32_e32 vcc_lo, 32, v3
	v_lshlrev_b32_e32 v2, 2, v1
	v_cndmask_b32_e32 v3, v0, v3, vcc_lo
	v_cmp_gt_i32_e32 vcc_lo, 32, v5
	ds_bpermute_b32 v1, v2, v83
	v_lshlrev_b32_e32 v3, 2, v3
	v_cndmask_b32_e32 v5, v0, v5, vcc_lo
	s_waitcnt lgkmcnt(0)
	v_max_f32_e32 v1, v1, v1
	v_max_f32_e32 v1, v4, v1
	ds_bpermute_b32 v4, v3, v1
	s_waitcnt lgkmcnt(0)
	v_max_f32_e32 v6, v4, v4
	v_lshlrev_b32_e32 v4, 2, v5
	v_max_f32_e32 v1, v1, v6
	v_xor_b32_e32 v6, 2, v0
	ds_bpermute_b32 v5, v4, v1
	v_cmp_gt_i32_e32 vcc_lo, 32, v6
	v_cndmask_b32_e32 v6, v0, v6, vcc_lo
	v_lshlrev_b32_e32 v16, 2, v6
	v_xor_b32_e32 v6, 1, v0
	v_cmp_gt_i32_e32 vcc_lo, 32, v6
	s_waitcnt lgkmcnt(0)
	v_max_f32_e32 v5, v5, v5
	v_cndmask_b32_e32 v6, v0, v6, vcc_lo
	v_max_f32_e32 v1, v1, v5
	v_lshlrev_b32_e32 v17, 2, v6
	ds_bpermute_b32 v5, v16, v1
	s_waitcnt lgkmcnt(0)
	v_max_f32_e32 v5, v5, v5
	v_max_f32_e32 v0, v1, v5
	buffer_load_dword v5, off, s[0:3], s32 offset:760 ; 4-byte Folded Reload
	ds_bpermute_b32 v1, v17, v0
	s_waitcnt vmcnt(0)
	v_cmp_eq_u32_e32 vcc_lo, 0, v5
	buffer_load_dword v5, off, s[0:3], s32 offset:764 ; 4-byte Folded Reload
	s_waitcnt vmcnt(0)
	v_lshlrev_b32_e32 v5, 2, v5
	s_and_saveexec_b32 s5, vcc_lo
	s_cbranch_execz .LBB393_971
; %bb.970:
	s_waitcnt lgkmcnt(0)
	v_max_f32_e32 v1, v1, v1
	v_max_f32_e32 v0, v0, v0
	;; [unrolled: 1-line block ×3, first 2 shown]
	ds_write_b32 v5, v0 offset:240
.LBB393_971:
	s_or_b32 exec_lo, exec_lo, s5
	buffer_load_dword v0, off, s[0:3], s32 offset:760 ; 4-byte Folded Reload
	s_waitcnt vmcnt(0) lgkmcnt(0)
	s_waitcnt_vscnt null, 0x0
	s_barrier
	buffer_gl0_inv
	v_cmp_gt_u32_e64 s5, 4, v0
	v_mov_b32_e32 v0, 0xff7fffff
	s_and_saveexec_b32 s6, s5
; %bb.972:
	ds_read_b32 v0, v29 offset:240
; %bb.973:
	s_or_b32 exec_lo, exec_lo, s6
	buffer_load_dword v6, off, s[0:3], s32 offset:356 ; 4-byte Folded Reload
	s_waitcnt lgkmcnt(0)
	ds_bpermute_b32 v1, v16, v0
	v_max_f32_e32 v0, v0, v0
	s_waitcnt lgkmcnt(0)
	v_max_f32_e32 v1, v1, v1
	v_max_f32_e32 v0, v0, v1
	ds_bpermute_b32 v1, v17, v0
	s_waitcnt lgkmcnt(0)
	v_max_f32_e32 v1, v1, v1
	v_max_f32_e32 v0, v0, v1
	s_waitcnt vmcnt(0)
	v_subrev_nc_u32_e32 v7, s7, v6
	v_mov_b32_e32 v6, 0
	v_lshl_add_u32 v1, v7, 5, s20
	ds_bpermute_b32 v0, v6, v0
	v_min_i32_e32 v1, v1, v35
	v_subrev_nc_u32_e32 v1, s20, v1
	v_cmp_lt_i32_e64 s6, v12, v1
	s_and_saveexec_b32 s9, s6
	s_cbranch_execz .LBB393_977
; %bb.974:
	s_getpc_b64 s[22:23]
	s_add_u32 s22, s22, llvm.amdgcn.dynlds.offset.table@rel32@lo+4
	s_addc_u32 s23, s23, llvm.amdgcn.dynlds.offset.table@rel32@hi+12
	s_ashr_i32 s17, s16, 31
	v_mov_b32_e32 v6, 0
	s_lshl_b64 s[24:25], s[16:17], 2
	v_mov_b32_e32 v8, v12
	s_add_u32 s22, s22, s24
	s_addc_u32 s23, s23, s25
	s_mov_b32 s13, 0
	s_load_dword s7, s[22:23], 0x0
	s_waitcnt lgkmcnt(0)
	v_lshl_add_u32 v7, v12, 2, s7
	.p2align	6
.LBB393_975:                            ; =>This Inner Loop Header: Depth=1
	ds_read_b32 v9, v7
	v_add_nc_u32_e32 v8, 0x80, v8
	v_cmp_ge_i32_e64 s7, v8, v1
	s_or_b32 s13, s7, s13
	s_waitcnt lgkmcnt(0)
	v_sub_f32_e32 v9, v9, v0
	v_mul_f32_e32 v9, 0x3fb8aa3b, v9
	v_exp_f32_e32 v9, v9
	ds_write_b32 v7, v9
	v_add_f32_e32 v6, v6, v9
	v_add_nc_u32_e32 v7, 0x200, v7
	s_andn2_b32 exec_lo, exec_lo, s13
	s_cbranch_execnz .LBB393_975
; %bb.976:
	s_or_b32 exec_lo, exec_lo, s13
.LBB393_977:
	s_or_b32 exec_lo, exec_lo, s9
	ds_bpermute_b32 v2, v2, v6
	s_waitcnt lgkmcnt(0)
	v_add_f32_e32 v2, v6, v2
	ds_bpermute_b32 v3, v3, v2
	s_waitcnt lgkmcnt(0)
	v_add_f32_e32 v2, v2, v3
	;; [unrolled: 3-line block ×5, first 2 shown]
	s_and_saveexec_b32 s7, vcc_lo
; %bb.978:
	ds_write_b32 v5, v2 offset:256
; %bb.979:
	s_or_b32 exec_lo, exec_lo, s7
	s_waitcnt lgkmcnt(0)
	s_barrier
	buffer_gl0_inv
	s_and_saveexec_b32 s7, s5
; %bb.980:
	ds_read_b32 v2, v29 offset:256
; %bb.981:
	s_or_b32 exec_lo, exec_lo, s7
	s_waitcnt lgkmcnt(0)
	ds_bpermute_b32 v3, v16, v2
	s_waitcnt lgkmcnt(0)
	v_add_f32_e32 v2, v2, v3
	ds_bpermute_b32 v3, v17, v2
	s_waitcnt lgkmcnt(0)
	v_add_f32_e32 v2, v2, v3
	v_mov_b32_e32 v3, 0
	ds_bpermute_b32 v2, v3, v2
	s_and_saveexec_b32 s5, s6
	s_cbranch_execz .LBB393_984
; %bb.982:
	s_waitcnt lgkmcnt(0)
	v_add_f32_e32 v4, 0x358637bd, v2
	s_getpc_b64 s[6:7]
	s_add_u32 s6, s6, llvm.amdgcn.dynlds.offset.table@rel32@lo+4
	s_addc_u32 s7, s7, llvm.amdgcn.dynlds.offset.table@rel32@hi+12
	s_ashr_i32 s17, s16, 31
	s_lshl_b64 s[22:23], s[16:17], 2
	v_div_scale_f32 v3, null, v4, v4, 1.0
	v_div_scale_f32 v7, vcc_lo, 1.0, v4, 1.0
	s_add_u32 s6, s6, s22
	v_rcp_f32_e32 v5, v3
	s_addc_u32 s7, s7, s23
	s_load_dword s6, s[6:7], 0x0
	v_fma_f32 v6, -v3, v5, 1.0
	v_fmac_f32_e32 v5, v6, v5
	v_mul_f32_e32 v6, v7, v5
	v_fma_f32 v8, -v3, v6, v7
	v_fmac_f32_e32 v6, v8, v5
	v_fma_f32 v3, -v3, v6, v7
	v_div_fmas_f32 v5, v3, v5, v6
	s_waitcnt lgkmcnt(0)
	v_lshl_add_u32 v3, v12, 2, s6
	s_mov_b32 s6, 0
	v_div_fixup_f32 v4, v5, v4, 1.0
	v_mov_b32_e32 v5, v12
.LBB393_983:                            ; =>This Inner Loop Header: Depth=1
	ds_read_b32 v6, v3
	v_add_nc_u32_e32 v5, 0x80, v5
	v_cmp_ge_i32_e32 vcc_lo, v5, v1
	s_or_b32 s6, vcc_lo, s6
	s_waitcnt lgkmcnt(0)
	v_mul_f32_e32 v6, v4, v6
	ds_write_b32 v3, v6
	v_add_nc_u32_e32 v3, 0x200, v3
	s_andn2_b32 exec_lo, exec_lo, s6
	s_cbranch_execnz .LBB393_983
.LBB393_984:
	s_or_b32 exec_lo, exec_lo, s5
	s_and_b32 s5, 0xffff, s8
	s_mov_b32 s8, exec_lo
	s_cmp_lg_u32 s5, 0
	s_waitcnt lgkmcnt(0)
	s_cselect_b32 s5, -1, 0
	s_barrier
	s_cmp_lg_u32 s5, 0
	buffer_gl0_inv
	s_addc_u32 s5, s11, 0
	s_mul_i32 s6, s5, s18
	s_mul_i32 s6, s6, s15
	v_cmpx_eq_u32_e32 0, v12
	s_cbranch_execz .LBB393_986
; %bb.985:
	s_ashr_i32 s7, s6, 31
	s_mul_i32 s12, s5, s12
	s_lshl_b64 s[22:23], s[6:7], 2
	s_ashr_i32 s13, s12, 31
	v_add_co_u32 v1, vcc_lo, v28, s22
	v_add_co_ci_u32_e64 v3, null, s23, v25, vcc_lo
	s_lshl_b64 s[12:13], s[12:13], 2
	s_ashr_i32 s15, s14, 31
	v_add_co_u32 v1, vcc_lo, v1, s12
	v_add_co_ci_u32_e64 v4, null, s13, v3, vcc_lo
	v_add_co_u32 v3, vcc_lo, v24, s22
	v_add_co_ci_u32_e64 v5, null, s23, v22, vcc_lo
	s_lshl_b64 s[22:23], s[14:15], 2
	v_add_co_u32 v6, vcc_lo, v3, s12
	v_add_co_ci_u32_e64 v7, null, s13, v5, vcc_lo
	v_add_co_u32 v3, vcc_lo, v1, s22
	v_add_co_ci_u32_e64 v4, null, s23, v4, vcc_lo
	;; [unrolled: 2-line block ×3, first 2 shown]
	flat_store_dword v[3:4], v0
	flat_store_dword v[5:6], v2
.LBB393_986:
	s_or_b32 exec_lo, exec_lo, s8
	s_and_saveexec_b32 s7, s4
	s_xor_b32 s4, exec_lo, s7
	s_cbranch_execz .LBB393_988
; %bb.987:
                                        ; implicit-def: $vgpr0
	s_ashr_i32 s17, s16, 31
                                        ; kill: killed $vgpr0
                                        ; implicit-def: $vgpr0
                                        ; implicit-def: $vgpr35
                                        ; implicit-def: $vgpr13
                                        ; implicit-def: $vgpr10
                                        ; implicit-def: $vgpr11
                                        ; implicit-def: $vgpr14
                                        ; implicit-def: $vgpr15
                                        ; implicit-def: $vgpr26_vgpr27
                                        ; implicit-def: $vgpr18
                                        ; implicit-def: $vgpr34
                                        ; implicit-def: $vgpr36_vgpr37
	buffer_store_dword v0, off, s[0:3], s32 offset:192 ; 4-byte Folded Spill
	buffer_store_dword v1, off, s[0:3], s32 offset:196 ; 4-byte Folded Spill
                                        ; implicit-def: $vgpr0
                                        ; kill: killed $vgpr0
.LBB393_988:
	s_or_saveexec_b32 s7, s4
	v_mov_b32_e32 v0, s16
	v_mov_b32_e32 v53, 0
	;; [unrolled: 1-line block ×3, first 2 shown]
	v_and_b32_e32 v38, 3, v12
	v_mov_b32_e32 v64, 0
	v_mov_b32_e32 v55, 0
	;; [unrolled: 1-line block ×14, first 2 shown]
	s_xor_b32 exec_lo, exec_lo, s7
	s_cbranch_execz .LBB393_1982
; %bb.989:
	v_lshlrev_b32_e32 v0, 3, v12
	s_getpc_b64 s[8:9]
	s_add_u32 s8, s8, llvm.amdgcn.dynlds.offset.table@rel32@lo+4
	s_addc_u32 s9, s9, llvm.amdgcn.dynlds.offset.table@rel32@hi+12
	s_ashr_i32 s17, s16, 31
	v_add_co_u32 v3, vcc_lo, v10, v18
	v_and_b32_e32 v2, 24, v0
	v_and_b32_e32 v5, 0xf8, v0
	v_add_nc_u32_e32 v0, -1, v13
	s_lshl_b64 s[12:13], s[16:17], 2
	v_add_co_ci_u32_e64 v4, null, v11, v34, vcc_lo
	s_add_u32 s8, s8, s12
	s_addc_u32 s9, s9, s13
	buffer_store_dword v16, off, s[0:3], s32 offset:376 ; 4-byte Folded Spill
	buffer_store_dword v17, off, s[0:3], s32 offset:372 ; 4-byte Folded Spill
	;; [unrolled: 1-line block ×3, first 2 shown]
	flat_load_dword v26, v[26:27]
	s_load_dword s4, s[8:9], 0x0
	s_clause 0x1
	buffer_load_dword v0, off, s[0:3], s32 offset:192
	buffer_load_dword v1, off, s[0:3], s32 offset:196
	v_add_co_u32 v3, vcc_lo, v3, v5
	v_add_co_ci_u32_e64 v4, null, 0, v4, vcc_lo
	buffer_store_dword v3, off, s[0:3], s32 offset:364 ; 4-byte Folded Spill
	buffer_store_dword v4, off, s[0:3], s32 offset:368 ; 4-byte Folded Spill
	;; [unrolled: 1-line block ×3, first 2 shown]
	buffer_load_dword v5, off, s[0:3], s32 offset:764 ; 4-byte Folded Reload
	v_lshlrev_b32_e32 v3, 5, v38
	v_mov_b32_e32 v11, 0
	v_mov_b32_e32 v67, 0x80
	;; [unrolled: 1-line block ×18, first 2 shown]
	s_mov_b32 s8, -1
	s_mov_b32 s9, 0xffffff
	s_mov_b32 s11, 0
	s_waitcnt vmcnt(1)
	v_lshlrev_b64 v[0:1], 2, v[0:1]
	v_add_co_u32 v0, vcc_lo, v36, v0
	v_add_co_ci_u32_e64 v1, null, v37, v1, vcc_lo
	s_waitcnt vmcnt(0)
	v_lshl_add_u32 v4, v5, 5, s20
	v_lshl_or_b32 v3, v5, 7, v3
	v_add_co_u32 v14, vcc_lo, v14, v0
	v_add_co_ci_u32_e64 v15, null, v15, v1, vcc_lo
	v_add3_u32 v65, v4, v2, 7
	s_waitcnt lgkmcnt(0)
	v_add_nc_u32_e32 v66, s4, v3
	s_branch .LBB393_991
.LBB393_990:                            ;   in Loop: Header=BB393_991 Depth=1
	s_or_b32 exec_lo, exec_lo, s4
	v_bfe_u32 v44, v6, 16, 1
	v_or_b32_e32 v56, 0x400000, v6
	v_cmp_u_f32_e32 vcc_lo, v6, v6
	v_lshlrev_b32_e32 v16, 16, v16
	v_lshlrev_b32_e32 v114, 16, v114
	v_add3_u32 v44, v44, v6, 0x7fff
	v_lshlrev_b32_e32 v115, 16, v115
	v_lshlrev_b32_e32 v112, 16, v112
	v_lshlrev_b32_e32 v113, 16, v113
	v_lshlrev_b32_e32 v116, 16, v116
	v_cndmask_b32_e32 v6, v44, v56, vcc_lo
	v_bfe_u32 v44, v7, 16, 1
	v_or_b32_e32 v56, 0x400000, v7
	v_cmp_u_f32_e32 vcc_lo, v7, v7
	v_lshlrev_b32_e32 v98, 16, v98
	v_lshlrev_b32_e32 v100, 16, v100
	v_add3_u32 v44, v44, v7, 0x7fff
	v_lshlrev_b32_e32 v71, 16, v71
	v_lshlrev_b32_e32 v82, 16, v82
	;; [unrolled: 1-line block ×4, first 2 shown]
	v_cndmask_b32_e32 v7, v44, v56, vcc_lo
	v_bfe_u32 v44, v8, 16, 1
	v_or_b32_e32 v56, 0x400000, v8
	v_cmp_u_f32_e32 vcc_lo, v8, v8
	v_lshlrev_b32_e32 v13, 16, v13
	v_lshlrev_b32_e32 v28, 16, v28
	v_add3_u32 v44, v44, v8, 0x7fff
	v_bfe_u32 v8, v9, 16, 1
	v_lshlrev_b32_e32 v4, 16, v4
	v_lshlrev_b32_e32 v21, 16, v21
	;; [unrolled: 1-line block ×3, first 2 shown]
	v_cndmask_b32_e32 v44, v44, v56, vcc_lo
	v_add3_u32 v8, v8, v9, 0x7fff
	v_or_b32_e32 v56, 0x400000, v9
	v_cmp_u_f32_e32 vcc_lo, v9, v9
	v_or_b32_e32 v9, 0x400000, v0
	v_add_nc_u32_e32 v65, 0x80, v65
	v_add_nc_u32_e32 v66, 0x200, v66
	v_cndmask_b32_e32 v56, v8, v56, vcc_lo
	v_bfe_u32 v8, v0, 16, 1
	v_cmp_u_f32_e32 vcc_lo, v0, v0
	v_add3_u32 v8, v8, v0, 0x7fff
	v_cndmask_b32_e32 v0, v8, v9, vcc_lo
	v_bfe_u32 v8, v1, 16, 1
	v_or_b32_e32 v9, 0x400000, v1
	v_cmp_u_f32_e32 vcc_lo, v1, v1
	v_add3_u32 v8, v8, v1, 0x7fff
	v_cndmask_b32_e32 v1, v8, v9, vcc_lo
	v_bfe_u32 v8, v2, 16, 1
	v_or_b32_e32 v9, 0x400000, v2
	v_cmp_u_f32_e32 vcc_lo, v2, v2
	v_and_b32_e32 v1, 0xffff0000, v1
	v_add3_u32 v8, v8, v2, 0x7fff
	v_mul_f32_e32 v112, v1, v112
	v_cndmask_b32_e32 v2, v8, v9, vcc_lo
	v_bfe_u32 v8, v3, 16, 1
	v_or_b32_e32 v9, 0x400000, v3
	v_cmp_u_f32_e32 vcc_lo, v3, v3
	v_mul_f32_e32 v98, v1, v98
	v_and_b32_e32 v2, 0xffff0000, v2
	v_add3_u32 v8, v8, v3, 0x7fff
	v_lshlrev_b32_e32 v3, 16, v46
	v_mul_f32_e32 v82, v1, v82
	v_mul_f32_e32 v28, v1, v28
	;; [unrolled: 1-line block ×3, first 2 shown]
	v_cndmask_b32_e32 v57, v8, v9, vcc_lo
	v_and_b32_e32 v8, 0xffff0000, v7
	v_mul_f32_e32 v21, v2, v21
	v_mul_f32_e32 v3, v8, v3
	v_bfe_u32 v7, v3, 16, 1
	v_or_b32_e32 v9, 0x400000, v3
	v_cmp_u_f32_e32 vcc_lo, v3, v3
	v_add3_u32 v7, v7, v3, 0x7fff
	v_lshlrev_b32_e32 v3, 16, v47
	v_cndmask_b32_e32 v46, v7, v9, vcc_lo
	v_and_b32_e32 v9, 0xffff0000, v6
	v_and_b32_e32 v46, 0xffff0000, v46
	v_mul_f32_e32 v3, v9, v3
	v_bfe_u32 v6, v3, 16, 1
	v_or_b32_e32 v7, 0x400000, v3
	v_cmp_u_f32_e32 vcc_lo, v3, v3
	v_add3_u32 v6, v6, v3, 0x7fff
	v_and_b32_e32 v3, 0xffff0000, v56
	v_cndmask_b32_e32 v47, v6, v7, vcc_lo
	v_lshlrev_b32_e32 v6, 16, v42
	v_mul_f32_e32 v114, v3, v114
	v_mul_f32_e32 v12, v3, v12
	;; [unrolled: 1-line block ×3, first 2 shown]
	v_bfe_u32 v7, v6, 16, 1
	v_or_b32_e32 v42, 0x400000, v6
	v_cmp_u_f32_e32 vcc_lo, v6, v6
	v_add3_u32 v7, v7, v6, 0x7fff
	v_lshlrev_b32_e32 v6, 16, v43
	v_cndmask_b32_e32 v42, v7, v42, vcc_lo
	v_and_b32_e32 v7, 0xffff0000, v44
	v_and_b32_e32 v42, 0xffff0000, v42
	v_mul_f32_e32 v6, v7, v6
	v_mul_f32_e32 v115, v7, v115
	;; [unrolled: 1-line block ×3, first 2 shown]
	v_bfe_u32 v43, v6, 16, 1
	v_or_b32_e32 v44, 0x400000, v6
	v_cmp_u_f32_e32 vcc_lo, v6, v6
	v_add3_u32 v43, v43, v6, 0x7fff
	v_lshlrev_b32_e32 v6, 16, v40
	v_cndmask_b32_e32 v43, v43, v44, vcc_lo
	v_mul_f32_e32 v6, v1, v6
	v_and_b32_e32 v43, 0xffff0000, v43
	v_bfe_u32 v40, v6, 16, 1
	v_or_b32_e32 v44, 0x400000, v6
	v_cmp_u_f32_e32 vcc_lo, v6, v6
	v_add_f32_e32 v42, v43, v42
	v_add3_u32 v40, v40, v6, 0x7fff
	v_and_b32_e32 v6, 0xffff0000, v0
	v_lshlrev_b32_e32 v0, 16, v41
	v_cndmask_b32_e32 v40, v40, v44, vcc_lo
	v_mul_f32_e32 v113, v6, v113
	v_mul_f32_e32 v0, v6, v0
	;; [unrolled: 1-line block ×4, first 2 shown]
	v_and_b32_e32 v40, 0xffff0000, v40
	v_mul_f32_e32 v4, v6, v4
	v_bfe_u32 v41, v0, 16, 1
	v_or_b32_e32 v44, 0x400000, v0
	v_cmp_u_f32_e32 vcc_lo, v0, v0
	v_mul_f32_e32 v5, v6, v5
	v_add3_u32 v41, v41, v0, 0x7fff
	v_and_b32_e32 v0, 0xffff0000, v57
	v_cndmask_b32_e32 v41, v41, v44, vcc_lo
	v_mul_f32_e32 v16, v0, v16
	v_mul_f32_e32 v71, v0, v71
	v_and_b32_e32 v41, 0xffff0000, v41
	v_bfe_u32 v44, v16, 16, 1
	v_or_b32_e32 v56, 0x400000, v16
	v_cmp_u_f32_e32 vcc_lo, v16, v16
	v_add_f32_e32 v40, v41, v40
	v_add3_u32 v44, v44, v16, 0x7fff
	v_cndmask_b32_e32 v16, v44, v56, vcc_lo
	v_lshlrev_b32_e32 v44, 16, v45
	v_and_b32_e32 v16, 0xffff0000, v16
	v_mul_f32_e32 v44, v2, v44
	v_bfe_u32 v45, v44, 16, 1
	v_or_b32_e32 v56, 0x400000, v44
	v_cmp_u_f32_e32 vcc_lo, v44, v44
	v_add3_u32 v45, v45, v44, 0x7fff
	v_cndmask_b32_e32 v44, v45, v56, vcc_lo
	v_and_b32_e32 v45, 0xffff0000, v47
	v_and_b32_e32 v41, 0xffff0000, v44
	v_add_f32_e32 v45, v45, v46
	v_add_f32_e32 v16, v41, v16
	;; [unrolled: 1-line block ×6, first 2 shown]
	v_lshlrev_b32_e32 v16, 16, v117
	v_mul_f32_e32 v16, v8, v16
	v_bfe_u32 v117, v16, 16, 1
	v_or_b32_e32 v40, 0x400000, v16
	v_cmp_u_f32_e32 vcc_lo, v16, v16
	v_add3_u32 v117, v117, v16, 0x7fff
	v_cndmask_b32_e32 v16, v117, v40, vcc_lo
	v_lshlrev_b32_e32 v117, 16, v118
	v_and_b32_e32 v16, 0xffff0000, v16
	v_mul_f32_e32 v117, v9, v117
	v_bfe_u32 v118, v117, 16, 1
	v_or_b32_e32 v40, 0x400000, v117
	v_cmp_u_f32_e32 vcc_lo, v117, v117
	v_add3_u32 v118, v118, v117, 0x7fff
	v_cndmask_b32_e32 v117, v118, v40, vcc_lo
	v_bfe_u32 v118, v114, 16, 1
	v_or_b32_e32 v40, 0x400000, v114
	v_cmp_u_f32_e32 vcc_lo, v114, v114
	v_and_b32_e32 v117, 0xffff0000, v117
	v_add3_u32 v118, v118, v114, 0x7fff
	v_add_f32_e32 v16, v117, v16
	v_cndmask_b32_e32 v114, v118, v40, vcc_lo
	v_bfe_u32 v118, v115, 16, 1
	v_or_b32_e32 v40, 0x400000, v115
	v_cmp_u_f32_e32 vcc_lo, v115, v115
	v_and_b32_e32 v114, 0xffff0000, v114
	v_add3_u32 v118, v118, v115, 0x7fff
	v_cndmask_b32_e32 v115, v118, v40, vcc_lo
	v_bfe_u32 v118, v112, 16, 1
	v_or_b32_e32 v40, 0x400000, v112
	v_cmp_u_f32_e32 vcc_lo, v112, v112
	v_and_b32_e32 v115, 0xffff0000, v115
	v_add3_u32 v118, v118, v112, 0x7fff
	v_add_f32_e32 v114, v115, v114
	v_cndmask_b32_e32 v112, v118, v40, vcc_lo
	v_bfe_u32 v118, v113, 16, 1
	v_or_b32_e32 v40, 0x400000, v113
	v_cmp_u_f32_e32 vcc_lo, v113, v113
	v_add_f32_e32 v16, v16, v114
	v_and_b32_e32 v112, 0xffff0000, v112
	v_add3_u32 v118, v118, v113, 0x7fff
	v_cndmask_b32_e32 v113, v118, v40, vcc_lo
	v_lshlrev_b32_e32 v118, 16, v119
	v_and_b32_e32 v113, 0xffff0000, v113
	v_mul_f32_e32 v118, v0, v118
	v_add_f32_e32 v112, v113, v112
	v_bfe_u32 v119, v118, 16, 1
	v_or_b32_e32 v40, 0x400000, v118
	v_cmp_u_f32_e32 vcc_lo, v118, v118
	v_add_f32_e32 v16, v16, v112
	v_add3_u32 v119, v119, v118, 0x7fff
	v_cndmask_b32_e32 v118, v119, v40, vcc_lo
	v_bfe_u32 v119, v116, 16, 1
	v_or_b32_e32 v40, 0x400000, v116
	v_cmp_u_f32_e32 vcc_lo, v116, v116
	v_and_b32_e32 v113, 0xffff0000, v118
	v_add3_u32 v119, v119, v116, 0x7fff
	v_cndmask_b32_e32 v116, v119, v40, vcc_lo
	v_and_b32_e32 v112, 0xffff0000, v116
	v_add_f32_e32 v112, v112, v113
	v_add_f32_e32 v16, v16, v112
	;; [unrolled: 1-line block ×3, first 2 shown]
	v_lshlrev_b32_e32 v16, 16, v68
	v_mul_f32_e32 v16, v8, v16
	v_bfe_u32 v68, v16, 16, 1
	v_or_b32_e32 v112, 0x400000, v16
	v_cmp_u_f32_e32 vcc_lo, v16, v16
	v_add3_u32 v68, v68, v16, 0x7fff
	v_cndmask_b32_e32 v16, v68, v112, vcc_lo
	v_lshlrev_b32_e32 v68, 16, v70
	v_and_b32_e32 v16, 0xffff0000, v16
	v_mul_f32_e32 v68, v9, v68
	v_bfe_u32 v70, v68, 16, 1
	v_or_b32_e32 v112, 0x400000, v68
	v_cmp_u_f32_e32 vcc_lo, v68, v68
	v_add3_u32 v70, v70, v68, 0x7fff
	v_cndmask_b32_e32 v68, v70, v112, vcc_lo
	v_lshlrev_b32_e32 v70, 16, v101
	v_and_b32_e32 v68, 0xffff0000, v68
	v_mul_f32_e32 v70, v3, v70
	v_add_f32_e32 v16, v68, v16
	v_bfe_u32 v101, v70, 16, 1
	v_or_b32_e32 v112, 0x400000, v70
	v_cmp_u_f32_e32 vcc_lo, v70, v70
	v_add3_u32 v101, v101, v70, 0x7fff
	v_cndmask_b32_e32 v70, v101, v112, vcc_lo
	v_lshlrev_b32_e32 v101, 16, v102
	v_and_b32_e32 v70, 0xffff0000, v70
	v_mul_f32_e32 v101, v7, v101
	v_bfe_u32 v102, v101, 16, 1
	v_or_b32_e32 v112, 0x400000, v101
	v_cmp_u_f32_e32 vcc_lo, v101, v101
	v_add3_u32 v102, v102, v101, 0x7fff
	v_cndmask_b32_e32 v101, v102, v112, vcc_lo
	v_bfe_u32 v102, v98, 16, 1
	v_or_b32_e32 v112, 0x400000, v98
	v_cmp_u_f32_e32 vcc_lo, v98, v98
	v_and_b32_e32 v68, 0xffff0000, v101
	v_add3_u32 v102, v102, v98, 0x7fff
	v_add_f32_e32 v68, v68, v70
	v_cndmask_b32_e32 v98, v102, v112, vcc_lo
	v_bfe_u32 v102, v100, 16, 1
	v_or_b32_e32 v112, 0x400000, v100
	v_cmp_u_f32_e32 vcc_lo, v100, v100
	v_add_f32_e32 v16, v16, v68
	v_and_b32_e32 v70, 0xffff0000, v98
	v_add3_u32 v102, v102, v100, 0x7fff
	v_cndmask_b32_e32 v100, v102, v112, vcc_lo
	v_bfe_u32 v102, v71, 16, 1
	v_or_b32_e32 v112, 0x400000, v71
	v_cmp_u_f32_e32 vcc_lo, v71, v71
	v_and_b32_e32 v68, 0xffff0000, v100
	v_add3_u32 v102, v102, v71, 0x7fff
	v_add_f32_e32 v68, v68, v70
	v_cndmask_b32_e32 v71, v102, v112, vcc_lo
	v_lshlrev_b32_e32 v102, 16, v103
	v_add_f32_e32 v16, v16, v68
	v_and_b32_e32 v70, 0xffff0000, v71
	v_mul_f32_e32 v102, v2, v102
	v_bfe_u32 v103, v102, 16, 1
	v_or_b32_e32 v112, 0x400000, v102
	v_cmp_u_f32_e32 vcc_lo, v102, v102
	v_add3_u32 v103, v103, v102, 0x7fff
	v_cndmask_b32_e32 v102, v103, v112, vcc_lo
	v_and_b32_e32 v68, 0xffff0000, v102
	v_add_f32_e32 v68, v68, v70
	v_add_f32_e32 v16, v16, v68
	;; [unrolled: 1-line block ×3, first 2 shown]
	v_lshlrev_b32_e32 v16, 16, v87
	v_mul_f32_e32 v16, v8, v16
	v_bfe_u32 v68, v16, 16, 1
	v_or_b32_e32 v70, 0x400000, v16
	v_cmp_u_f32_e32 vcc_lo, v16, v16
	v_add3_u32 v68, v68, v16, 0x7fff
	v_cndmask_b32_e32 v16, v68, v70, vcc_lo
	v_lshlrev_b32_e32 v68, 16, v96
	v_and_b32_e32 v16, 0xffff0000, v16
	v_mul_f32_e32 v68, v9, v68
	v_bfe_u32 v70, v68, 16, 1
	v_or_b32_e32 v71, 0x400000, v68
	v_cmp_u_f32_e32 vcc_lo, v68, v68
	v_add3_u32 v70, v70, v68, 0x7fff
	v_cndmask_b32_e32 v68, v70, v71, vcc_lo
	v_lshlrev_b32_e32 v70, 16, v84
	v_and_b32_e32 v68, 0xffff0000, v68
	v_mul_f32_e32 v70, v3, v70
	v_add_f32_e32 v16, v68, v16
	v_bfe_u32 v71, v70, 16, 1
	v_or_b32_e32 v84, 0x400000, v70
	v_cmp_u_f32_e32 vcc_lo, v70, v70
	v_add3_u32 v71, v71, v70, 0x7fff
	v_cndmask_b32_e32 v70, v71, v84, vcc_lo
	v_lshlrev_b32_e32 v71, 16, v85
	v_and_b32_e32 v70, 0xffff0000, v70
	v_mul_f32_e32 v71, v7, v71
	v_bfe_u32 v84, v71, 16, 1
	v_or_b32_e32 v85, 0x400000, v71
	v_cmp_u_f32_e32 vcc_lo, v71, v71
	v_add3_u32 v84, v84, v71, 0x7fff
	v_cndmask_b32_e32 v71, v84, v85, vcc_lo
	v_bfe_u32 v84, v82, 16, 1
	v_or_b32_e32 v85, 0x400000, v82
	v_cmp_u_f32_e32 vcc_lo, v82, v82
	v_and_b32_e32 v68, 0xffff0000, v71
	v_add3_u32 v84, v84, v82, 0x7fff
	v_add_f32_e32 v68, v68, v70
	v_cndmask_b32_e32 v82, v84, v85, vcc_lo
	v_bfe_u32 v84, v83, 16, 1
	v_or_b32_e32 v85, 0x400000, v83
	v_cmp_u_f32_e32 vcc_lo, v83, v83
	v_add_f32_e32 v16, v16, v68
	v_and_b32_e32 v70, 0xffff0000, v82
	v_add3_u32 v84, v84, v83, 0x7fff
	v_cndmask_b32_e32 v83, v84, v85, vcc_lo
	v_lshlrev_b32_e32 v84, 16, v97
	v_and_b32_e32 v68, 0xffff0000, v83
	v_mul_f32_e32 v84, v0, v84
	v_add_f32_e32 v68, v68, v70
	v_bfe_u32 v85, v84, 16, 1
	v_or_b32_e32 v87, 0x400000, v84
	v_cmp_u_f32_e32 vcc_lo, v84, v84
	v_add_f32_e32 v16, v16, v68
	v_add3_u32 v85, v85, v84, 0x7fff
	v_cndmask_b32_e32 v84, v85, v87, vcc_lo
	v_lshlrev_b32_e32 v85, 16, v86
	v_and_b32_e32 v70, 0xffff0000, v84
	v_mul_f32_e32 v85, v2, v85
	v_bfe_u32 v86, v85, 16, 1
	v_or_b32_e32 v87, 0x400000, v85
	v_cmp_u_f32_e32 vcc_lo, v85, v85
	v_add3_u32 v86, v86, v85, 0x7fff
	v_cndmask_b32_e32 v85, v86, v87, vcc_lo
	v_and_b32_e32 v68, 0xffff0000, v85
	v_add_f32_e32 v68, v68, v70
	v_add_f32_e32 v16, v16, v68
	;; [unrolled: 1-line block ×3, first 2 shown]
	v_lshlrev_b32_e32 v16, 16, v25
	v_mul_f32_e32 v16, v8, v16
	v_bfe_u32 v25, v16, 16, 1
	v_or_b32_e32 v68, 0x400000, v16
	v_cmp_u_f32_e32 vcc_lo, v16, v16
	v_add3_u32 v25, v25, v16, 0x7fff
	v_cndmask_b32_e32 v16, v25, v68, vcc_lo
	v_lshlrev_b32_e32 v25, 16, v80
	v_and_b32_e32 v16, 0xffff0000, v16
	v_mul_f32_e32 v25, v9, v25
	v_bfe_u32 v68, v25, 16, 1
	v_or_b32_e32 v70, 0x400000, v25
	v_cmp_u_f32_e32 vcc_lo, v25, v25
	v_add3_u32 v68, v68, v25, 0x7fff
	v_cndmask_b32_e32 v25, v68, v70, vcc_lo
	v_bfe_u32 v68, v12, 16, 1
	v_or_b32_e32 v70, 0x400000, v12
	v_cmp_u_f32_e32 vcc_lo, v12, v12
	v_and_b32_e32 v25, 0xffff0000, v25
	v_add3_u32 v68, v68, v12, 0x7fff
	v_add_f32_e32 v16, v25, v16
	v_cndmask_b32_e32 v12, v68, v70, vcc_lo
	v_bfe_u32 v68, v13, 16, 1
	v_or_b32_e32 v70, 0x400000, v13
	v_cmp_u_f32_e32 vcc_lo, v13, v13
	v_and_b32_e32 v12, 0xffff0000, v12
	v_add3_u32 v68, v68, v13, 0x7fff
	v_cndmask_b32_e32 v13, v68, v70, vcc_lo
	v_bfe_u32 v68, v28, 16, 1
	v_or_b32_e32 v70, 0x400000, v28
	v_cmp_u_f32_e32 vcc_lo, v28, v28
	v_and_b32_e32 v13, 0xffff0000, v13
	v_add3_u32 v68, v68, v28, 0x7fff
	v_add_f32_e32 v12, v13, v12
	v_cndmask_b32_e32 v28, v68, v70, vcc_lo
	v_bfe_u32 v68, v4, 16, 1
	v_or_b32_e32 v70, 0x400000, v4
	v_cmp_u_f32_e32 vcc_lo, v4, v4
	v_add_f32_e32 v12, v16, v12
	v_and_b32_e32 v13, 0xffff0000, v28
	v_add3_u32 v68, v68, v4, 0x7fff
	v_cndmask_b32_e32 v4, v68, v70, vcc_lo
	v_lshlrev_b32_e32 v68, 16, v81
	v_and_b32_e32 v4, 0xffff0000, v4
	v_mul_f32_e32 v68, v0, v68
	v_add_f32_e32 v4, v4, v13
	v_bfe_u32 v70, v68, 16, 1
	v_or_b32_e32 v71, 0x400000, v68
	v_cmp_u_f32_e32 vcc_lo, v68, v68
	v_add_f32_e32 v4, v12, v4
	v_add3_u32 v70, v70, v68, 0x7fff
	v_cndmask_b32_e32 v68, v70, v71, vcc_lo
	v_bfe_u32 v70, v21, 16, 1
	v_or_b32_e32 v71, 0x400000, v21
	v_cmp_u_f32_e32 vcc_lo, v21, v21
	v_and_b32_e32 v13, 0xffff0000, v68
	v_add3_u32 v70, v70, v21, 0x7fff
	v_cndmask_b32_e32 v21, v70, v71, vcc_lo
	v_and_b32_e32 v12, 0xffff0000, v21
	v_add_f32_e32 v12, v12, v13
	v_add_f32_e32 v4, v4, v12
	;; [unrolled: 1-line block ×3, first 2 shown]
	v_lshlrev_b32_e32 v4, 16, v125
	v_mul_f32_e32 v4, v8, v4
	v_bfe_u32 v12, v4, 16, 1
	v_or_b32_e32 v13, 0x400000, v4
	v_cmp_u_f32_e32 vcc_lo, v4, v4
	v_add3_u32 v12, v12, v4, 0x7fff
	v_cndmask_b32_e32 v4, v12, v13, vcc_lo
	v_lshlrev_b32_e32 v12, 16, v126
	v_and_b32_e32 v4, 0xffff0000, v4
	v_mul_f32_e32 v12, v9, v12
	v_bfe_u32 v13, v12, 16, 1
	v_or_b32_e32 v16, 0x400000, v12
	v_cmp_u_f32_e32 vcc_lo, v12, v12
	v_add3_u32 v13, v13, v12, 0x7fff
	v_cndmask_b32_e32 v12, v13, v16, vcc_lo
	v_lshlrev_b32_e32 v13, 16, v122
	v_and_b32_e32 v12, 0xffff0000, v12
	v_mul_f32_e32 v13, v3, v13
	v_add_f32_e32 v4, v12, v4
	v_bfe_u32 v16, v13, 16, 1
	v_or_b32_e32 v21, 0x400000, v13
	v_cmp_u_f32_e32 vcc_lo, v13, v13
	v_add3_u32 v16, v16, v13, 0x7fff
	v_cndmask_b32_e32 v13, v16, v21, vcc_lo
	v_lshlrev_b32_e32 v16, 16, v123
	v_and_b32_e32 v13, 0xffff0000, v13
	v_mul_f32_e32 v16, v7, v16
	v_bfe_u32 v21, v16, 16, 1
	v_or_b32_e32 v25, 0x400000, v16
	v_cmp_u_f32_e32 vcc_lo, v16, v16
	v_add3_u32 v21, v21, v16, 0x7fff
	v_cndmask_b32_e32 v16, v21, v25, vcc_lo
	v_lshlrev_b32_e32 v21, 16, v120
	v_and_b32_e32 v12, 0xffff0000, v16
	v_mul_f32_e32 v21, v1, v21
	v_add_f32_e32 v12, v12, v13
	v_bfe_u32 v25, v21, 16, 1
	v_or_b32_e32 v28, 0x400000, v21
	v_cmp_u_f32_e32 vcc_lo, v21, v21
	v_add_f32_e32 v4, v4, v12
	v_add3_u32 v25, v25, v21, 0x7fff
	v_cndmask_b32_e32 v21, v25, v28, vcc_lo
	v_lshlrev_b32_e32 v25, 16, v121
	v_and_b32_e32 v13, 0xffff0000, v21
	v_mul_f32_e32 v25, v6, v25
	v_bfe_u32 v28, v25, 16, 1
	v_or_b32_e32 v68, 0x400000, v25
	v_cmp_u_f32_e32 vcc_lo, v25, v25
	v_add3_u32 v28, v28, v25, 0x7fff
	v_cndmask_b32_e32 v25, v28, v68, vcc_lo
	v_lshlrev_b32_e32 v28, 16, v127
	v_and_b32_e32 v12, 0xffff0000, v25
	v_mul_f32_e32 v28, v0, v28
	v_add_f32_e32 v12, v12, v13
	v_bfe_u32 v68, v28, 16, 1
	v_or_b32_e32 v70, 0x400000, v28
	v_cmp_u_f32_e32 vcc_lo, v28, v28
	v_add_f32_e32 v4, v4, v12
	v_add3_u32 v68, v68, v28, 0x7fff
	v_cndmask_b32_e32 v28, v68, v70, vcc_lo
	v_lshlrev_b32_e32 v68, 16, v124
	v_and_b32_e32 v13, 0xffff0000, v28
	v_mul_f32_e32 v68, v2, v68
	v_bfe_u32 v70, v68, 16, 1
	v_or_b32_e32 v71, 0x400000, v68
	v_cmp_u_f32_e32 vcc_lo, v68, v68
	v_add3_u32 v70, v70, v68, 0x7fff
	v_cndmask_b32_e32 v68, v70, v71, vcc_lo
	v_and_b32_e32 v12, 0xffff0000, v68
	v_add_f32_e32 v12, v12, v13
	v_add_f32_e32 v4, v4, v12
	;; [unrolled: 1-line block ×3, first 2 shown]
	v_lshlrev_b32_e32 v4, 16, v109
	v_mul_f32_e32 v4, v8, v4
	v_bfe_u32 v12, v4, 16, 1
	v_or_b32_e32 v13, 0x400000, v4
	v_cmp_u_f32_e32 vcc_lo, v4, v4
	v_add3_u32 v12, v12, v4, 0x7fff
	v_cndmask_b32_e32 v4, v12, v13, vcc_lo
	v_lshlrev_b32_e32 v12, 16, v110
	v_and_b32_e32 v4, 0xffff0000, v4
	v_mul_f32_e32 v12, v9, v12
	v_bfe_u32 v13, v12, 16, 1
	v_or_b32_e32 v16, 0x400000, v12
	v_cmp_u_f32_e32 vcc_lo, v12, v12
	v_add3_u32 v13, v13, v12, 0x7fff
	v_cndmask_b32_e32 v12, v13, v16, vcc_lo
	v_lshlrev_b32_e32 v13, 16, v106
	v_and_b32_e32 v12, 0xffff0000, v12
	v_mul_f32_e32 v13, v3, v13
	v_add_f32_e32 v4, v12, v4
	v_bfe_u32 v16, v13, 16, 1
	v_or_b32_e32 v21, 0x400000, v13
	v_cmp_u_f32_e32 vcc_lo, v13, v13
	v_add3_u32 v16, v16, v13, 0x7fff
	v_cndmask_b32_e32 v13, v16, v21, vcc_lo
	v_lshlrev_b32_e32 v16, 16, v107
	v_and_b32_e32 v13, 0xffff0000, v13
	v_mul_f32_e32 v16, v7, v16
	v_bfe_u32 v21, v16, 16, 1
	v_or_b32_e32 v25, 0x400000, v16
	v_cmp_u_f32_e32 vcc_lo, v16, v16
	v_add3_u32 v21, v21, v16, 0x7fff
	v_cndmask_b32_e32 v16, v21, v25, vcc_lo
	v_lshlrev_b32_e32 v21, 16, v104
	v_and_b32_e32 v12, 0xffff0000, v16
	v_mul_f32_e32 v21, v1, v21
	v_add_f32_e32 v12, v12, v13
	v_bfe_u32 v25, v21, 16, 1
	v_or_b32_e32 v28, 0x400000, v21
	v_cmp_u_f32_e32 vcc_lo, v21, v21
	v_add_f32_e32 v4, v4, v12
	v_add3_u32 v25, v25, v21, 0x7fff
	v_cndmask_b32_e32 v21, v25, v28, vcc_lo
	v_lshlrev_b32_e32 v25, 16, v105
	v_and_b32_e32 v13, 0xffff0000, v21
	v_mul_f32_e32 v25, v6, v25
	v_bfe_u32 v28, v25, 16, 1
	v_or_b32_e32 v68, 0x400000, v25
	v_cmp_u_f32_e32 vcc_lo, v25, v25
	v_add3_u32 v28, v28, v25, 0x7fff
	v_cndmask_b32_e32 v25, v28, v68, vcc_lo
	v_lshlrev_b32_e32 v28, 16, v111
	v_and_b32_e32 v12, 0xffff0000, v25
	v_mul_f32_e32 v28, v0, v28
	v_add_f32_e32 v12, v12, v13
	v_bfe_u32 v68, v28, 16, 1
	v_or_b32_e32 v70, 0x400000, v28
	v_cmp_u_f32_e32 vcc_lo, v28, v28
	v_add_f32_e32 v4, v4, v12
	v_add3_u32 v68, v68, v28, 0x7fff
	v_cndmask_b32_e32 v28, v68, v70, vcc_lo
	v_lshlrev_b32_e32 v68, 16, v108
	v_and_b32_e32 v13, 0xffff0000, v28
	v_mul_f32_e32 v68, v2, v68
	v_bfe_u32 v70, v68, 16, 1
	v_or_b32_e32 v71, 0x400000, v68
	v_cmp_u_f32_e32 vcc_lo, v68, v68
	v_add3_u32 v70, v70, v68, 0x7fff
	v_cndmask_b32_e32 v68, v70, v71, vcc_lo
	v_and_b32_e32 v12, 0xffff0000, v68
	v_add_f32_e32 v12, v12, v13
	v_add_f32_e32 v4, v4, v12
	;; [unrolled: 1-line block ×3, first 2 shown]
	v_lshlrev_b32_e32 v4, 16, v95
	v_mul_f32_e32 v4, v8, v4
	v_bfe_u32 v12, v4, 16, 1
	v_or_b32_e32 v13, 0x400000, v4
	v_cmp_u_f32_e32 vcc_lo, v4, v4
	v_add3_u32 v12, v12, v4, 0x7fff
	v_cndmask_b32_e32 v4, v12, v13, vcc_lo
	v_lshlrev_b32_e32 v12, 16, v94
	v_and_b32_e32 v4, 0xffff0000, v4
	v_mul_f32_e32 v12, v9, v12
	v_bfe_u32 v13, v12, 16, 1
	v_or_b32_e32 v16, 0x400000, v12
	v_cmp_u_f32_e32 vcc_lo, v12, v12
	v_add3_u32 v13, v13, v12, 0x7fff
	v_cndmask_b32_e32 v12, v13, v16, vcc_lo
	v_lshlrev_b32_e32 v13, 16, v92
	v_and_b32_e32 v12, 0xffff0000, v12
	v_mul_f32_e32 v13, v3, v13
	v_add_f32_e32 v4, v12, v4
	v_bfe_u32 v16, v13, 16, 1
	v_or_b32_e32 v21, 0x400000, v13
	v_cmp_u_f32_e32 vcc_lo, v13, v13
	v_add3_u32 v16, v16, v13, 0x7fff
	v_cndmask_b32_e32 v13, v16, v21, vcc_lo
	v_lshlrev_b32_e32 v16, 16, v93
	v_and_b32_e32 v13, 0xffff0000, v13
	v_mul_f32_e32 v16, v7, v16
	v_bfe_u32 v21, v16, 16, 1
	v_or_b32_e32 v25, 0x400000, v16
	v_cmp_u_f32_e32 vcc_lo, v16, v16
	v_add3_u32 v21, v21, v16, 0x7fff
	v_cndmask_b32_e32 v16, v21, v25, vcc_lo
	v_lshlrev_b32_e32 v21, 16, v89
	v_and_b32_e32 v12, 0xffff0000, v16
	v_mul_f32_e32 v21, v1, v21
	v_add_f32_e32 v12, v12, v13
	v_bfe_u32 v25, v21, 16, 1
	v_or_b32_e32 v28, 0x400000, v21
	v_cmp_u_f32_e32 vcc_lo, v21, v21
	v_add_f32_e32 v4, v4, v12
	v_add3_u32 v25, v25, v21, 0x7fff
	v_cndmask_b32_e32 v21, v25, v28, vcc_lo
	v_lshlrev_b32_e32 v25, 16, v88
	v_and_b32_e32 v13, 0xffff0000, v21
	v_mul_f32_e32 v25, v6, v25
	v_bfe_u32 v28, v25, 16, 1
	v_or_b32_e32 v68, 0x400000, v25
	v_cmp_u_f32_e32 vcc_lo, v25, v25
	v_add3_u32 v28, v28, v25, 0x7fff
	v_cndmask_b32_e32 v25, v28, v68, vcc_lo
	v_lshlrev_b32_e32 v28, 16, v91
	v_and_b32_e32 v12, 0xffff0000, v25
	v_mul_f32_e32 v28, v0, v28
	v_add_f32_e32 v12, v12, v13
	v_bfe_u32 v68, v28, 16, 1
	v_or_b32_e32 v70, 0x400000, v28
	v_cmp_u_f32_e32 vcc_lo, v28, v28
	v_add_f32_e32 v4, v4, v12
	v_add3_u32 v68, v68, v28, 0x7fff
	v_cndmask_b32_e32 v28, v68, v70, vcc_lo
	v_lshlrev_b32_e32 v68, 16, v90
	v_and_b32_e32 v13, 0xffff0000, v28
	v_mul_f32_e32 v68, v2, v68
	v_bfe_u32 v70, v68, 16, 1
	v_or_b32_e32 v71, 0x400000, v68
	v_cmp_u_f32_e32 vcc_lo, v68, v68
	v_add3_u32 v70, v70, v68, 0x7fff
	v_cndmask_b32_e32 v68, v70, v71, vcc_lo
	v_and_b32_e32 v12, 0xffff0000, v68
	v_add_f32_e32 v12, v12, v13
	v_add_f32_e32 v4, v4, v12
	;; [unrolled: 1-line block ×3, first 2 shown]
	v_lshlrev_b32_e32 v4, 16, v79
	v_mul_f32_e32 v4, v8, v4
	v_bfe_u32 v12, v4, 16, 1
	v_or_b32_e32 v13, 0x400000, v4
	v_cmp_u_f32_e32 vcc_lo, v4, v4
	v_add3_u32 v12, v12, v4, 0x7fff
	v_cndmask_b32_e32 v4, v12, v13, vcc_lo
	v_lshlrev_b32_e32 v12, 16, v38
	v_and_b32_e32 v4, 0xffff0000, v4
	v_mul_f32_e32 v12, v9, v12
	v_bfe_u32 v13, v12, 16, 1
	v_or_b32_e32 v16, 0x400000, v12
	v_cmp_u_f32_e32 vcc_lo, v12, v12
	v_add3_u32 v13, v13, v12, 0x7fff
	v_cndmask_b32_e32 v12, v13, v16, vcc_lo
	v_lshlrev_b32_e32 v13, 16, v36
	v_and_b32_e32 v12, 0xffff0000, v12
	v_mul_f32_e32 v13, v3, v13
	v_add_f32_e32 v4, v12, v4
	v_bfe_u32 v16, v13, 16, 1
	v_or_b32_e32 v21, 0x400000, v13
	v_cmp_u_f32_e32 vcc_lo, v13, v13
	v_add3_u32 v16, v16, v13, 0x7fff
	v_cndmask_b32_e32 v13, v16, v21, vcc_lo
	v_lshlrev_b32_e32 v16, 16, v37
	v_and_b32_e32 v13, 0xffff0000, v13
	v_mul_f32_e32 v16, v7, v16
	v_bfe_u32 v21, v16, 16, 1
	v_or_b32_e32 v25, 0x400000, v16
	v_cmp_u_f32_e32 vcc_lo, v16, v16
	v_add3_u32 v21, v21, v16, 0x7fff
	v_cndmask_b32_e32 v16, v21, v25, vcc_lo
	v_lshlrev_b32_e32 v21, 16, v22
	v_and_b32_e32 v12, 0xffff0000, v16
	v_mul_f32_e32 v21, v1, v21
	v_add_f32_e32 v12, v12, v13
	v_bfe_u32 v22, v21, 16, 1
	v_or_b32_e32 v25, 0x400000, v21
	v_cmp_u_f32_e32 vcc_lo, v21, v21
	v_add_f32_e32 v4, v4, v12
	v_add3_u32 v22, v22, v21, 0x7fff
	v_cndmask_b32_e32 v21, v22, v25, vcc_lo
	v_bfe_u32 v22, v5, 16, 1
	v_or_b32_e32 v25, 0x400000, v5
	v_cmp_u_f32_e32 vcc_lo, v5, v5
	v_and_b32_e32 v12, 0xffff0000, v21
	v_add3_u32 v22, v22, v5, 0x7fff
	v_cndmask_b32_e32 v5, v22, v25, vcc_lo
	v_lshlrev_b32_e32 v22, 16, v34
	v_and_b32_e32 v5, 0xffff0000, v5
	v_mul_f32_e32 v22, v0, v22
	v_add_f32_e32 v5, v5, v12
	v_bfe_u32 v25, v22, 16, 1
	v_or_b32_e32 v28, 0x400000, v22
	v_cmp_u_f32_e32 vcc_lo, v22, v22
	v_add_f32_e32 v4, v4, v5
	v_add3_u32 v25, v25, v22, 0x7fff
	v_cndmask_b32_e32 v22, v25, v28, vcc_lo
	v_lshlrev_b32_e32 v25, 16, v27
	v_and_b32_e32 v12, 0xffff0000, v22
	v_mul_f32_e32 v25, v2, v25
	v_bfe_u32 v27, v25, 16, 1
	v_or_b32_e32 v28, 0x400000, v25
	v_cmp_u_f32_e32 vcc_lo, v25, v25
	v_add3_u32 v27, v27, v25, 0x7fff
	v_cndmask_b32_e32 v25, v27, v28, vcc_lo
	v_and_b32_e32 v5, 0xffff0000, v25
	v_add_f32_e32 v5, v5, v12
	v_add_f32_e32 v4, v4, v5
	;; [unrolled: 1-line block ×3, first 2 shown]
	v_lshlrev_b32_e32 v4, 16, v78
	v_mul_f32_e32 v4, v8, v4
	v_bfe_u32 v5, v4, 16, 1
	v_or_b32_e32 v12, 0x400000, v4
	v_cmp_u_f32_e32 vcc_lo, v4, v4
	v_add3_u32 v5, v5, v4, 0x7fff
	v_cndmask_b32_e32 v4, v5, v12, vcc_lo
	v_lshlrev_b32_e32 v5, 16, v77
	v_and_b32_e32 v4, 0xffff0000, v4
	v_mul_f32_e32 v5, v9, v5
	v_bfe_u32 v12, v5, 16, 1
	v_or_b32_e32 v13, 0x400000, v5
	v_cmp_u_f32_e32 vcc_lo, v5, v5
	v_add3_u32 v12, v12, v5, 0x7fff
	v_cndmask_b32_e32 v5, v12, v13, vcc_lo
	v_lshlrev_b32_e32 v12, 16, v75
	v_and_b32_e32 v5, 0xffff0000, v5
	v_mul_f32_e32 v12, v3, v12
	v_add_f32_e32 v4, v5, v4
	v_bfe_u32 v13, v12, 16, 1
	v_or_b32_e32 v16, 0x400000, v12
	v_cmp_u_f32_e32 vcc_lo, v12, v12
	v_add3_u32 v13, v13, v12, 0x7fff
	v_cndmask_b32_e32 v12, v13, v16, vcc_lo
	v_lshlrev_b32_e32 v13, 16, v76
	v_and_b32_e32 v12, 0xffff0000, v12
	v_mul_f32_e32 v13, v7, v13
	v_bfe_u32 v16, v13, 16, 1
	v_or_b32_e32 v21, 0x400000, v13
	v_cmp_u_f32_e32 vcc_lo, v13, v13
	v_add3_u32 v16, v16, v13, 0x7fff
	v_cndmask_b32_e32 v13, v16, v21, vcc_lo
	buffer_load_dword v16, off, s[0:3], s32 offset:340 ; 4-byte Folded Reload
	v_and_b32_e32 v5, 0xffff0000, v13
	v_add_f32_e32 v5, v5, v12
	v_add_f32_e32 v4, v4, v5
	s_waitcnt vmcnt(0)
	v_lshlrev_b32_e32 v16, 16, v16
	v_mul_f32_e32 v16, v1, v16
	v_bfe_u32 v21, v16, 16, 1
	v_or_b32_e32 v22, 0x400000, v16
	v_cmp_u_f32_e32 vcc_lo, v16, v16
	v_add3_u32 v21, v21, v16, 0x7fff
	v_cndmask_b32_e32 v16, v21, v22, vcc_lo
	buffer_load_dword v21, off, s[0:3], s32 offset:336 ; 4-byte Folded Reload
	v_and_b32_e32 v12, 0xffff0000, v16
	s_waitcnt vmcnt(0)
	v_lshlrev_b32_e32 v21, 16, v21
	v_mul_f32_e32 v21, v6, v21
	v_bfe_u32 v22, v21, 16, 1
	v_or_b32_e32 v25, 0x400000, v21
	v_cmp_u_f32_e32 vcc_lo, v21, v21
	v_add3_u32 v22, v22, v21, 0x7fff
	v_cndmask_b32_e32 v21, v22, v25, vcc_lo
	buffer_load_dword v22, off, s[0:3], s32 offset:348 ; 4-byte Folded Reload
	v_and_b32_e32 v5, 0xffff0000, v21
	v_add_f32_e32 v5, v5, v12
	v_add_f32_e32 v4, v4, v5
	s_waitcnt vmcnt(0)
	v_lshlrev_b32_e32 v22, 16, v22
	v_mul_f32_e32 v22, v0, v22
	v_bfe_u32 v25, v22, 16, 1
	v_or_b32_e32 v27, 0x400000, v22
	v_cmp_u_f32_e32 vcc_lo, v22, v22
	v_add3_u32 v25, v25, v22, 0x7fff
	v_cndmask_b32_e32 v22, v25, v27, vcc_lo
	buffer_load_dword v25, off, s[0:3], s32 offset:344 ; 4-byte Folded Reload
	v_and_b32_e32 v12, 0xffff0000, v22
	s_waitcnt vmcnt(0)
	v_lshlrev_b32_e32 v25, 16, v25
	v_mul_f32_e32 v25, v2, v25
	v_bfe_u32 v27, v25, 16, 1
	v_or_b32_e32 v28, 0x400000, v25
	v_cmp_u_f32_e32 vcc_lo, v25, v25
	v_add3_u32 v27, v27, v25, 0x7fff
	v_cndmask_b32_e32 v25, v27, v28, vcc_lo
	v_and_b32_e32 v5, 0xffff0000, v25
	v_add_f32_e32 v5, v5, v12
	v_add_f32_e32 v4, v4, v5
	;; [unrolled: 1-line block ×3, first 2 shown]
	buffer_load_dword v4, off, s[0:3], s32 offset:332 ; 4-byte Folded Reload
	s_waitcnt vmcnt(0)
	v_lshlrev_b32_e32 v4, 16, v4
	v_mul_f32_e32 v4, v8, v4
	v_bfe_u32 v5, v4, 16, 1
	v_or_b32_e32 v12, 0x400000, v4
	v_cmp_u_f32_e32 vcc_lo, v4, v4
	v_add3_u32 v5, v5, v4, 0x7fff
	v_cndmask_b32_e32 v4, v5, v12, vcc_lo
	buffer_load_dword v5, off, s[0:3], s32 offset:328 ; 4-byte Folded Reload
	v_and_b32_e32 v4, 0xffff0000, v4
	s_waitcnt vmcnt(0)
	v_lshlrev_b32_e32 v5, 16, v5
	v_mul_f32_e32 v5, v9, v5
	v_bfe_u32 v12, v5, 16, 1
	v_or_b32_e32 v13, 0x400000, v5
	v_cmp_u_f32_e32 vcc_lo, v5, v5
	v_add3_u32 v12, v12, v5, 0x7fff
	v_cndmask_b32_e32 v5, v12, v13, vcc_lo
	buffer_load_dword v12, off, s[0:3], s32 offset:320 ; 4-byte Folded Reload
	v_and_b32_e32 v5, 0xffff0000, v5
	v_add_f32_e32 v4, v5, v4
	s_waitcnt vmcnt(0)
	v_lshlrev_b32_e32 v12, 16, v12
	v_mul_f32_e32 v12, v3, v12
	v_bfe_u32 v13, v12, 16, 1
	v_or_b32_e32 v16, 0x400000, v12
	v_cmp_u_f32_e32 vcc_lo, v12, v12
	v_add3_u32 v13, v13, v12, 0x7fff
	v_cndmask_b32_e32 v12, v13, v16, vcc_lo
	buffer_load_dword v13, off, s[0:3], s32 offset:324 ; 4-byte Folded Reload
	v_and_b32_e32 v12, 0xffff0000, v12
	s_waitcnt vmcnt(0)
	v_lshlrev_b32_e32 v13, 16, v13
	v_mul_f32_e32 v13, v7, v13
	v_bfe_u32 v16, v13, 16, 1
	v_or_b32_e32 v21, 0x400000, v13
	v_cmp_u_f32_e32 vcc_lo, v13, v13
	v_add3_u32 v16, v16, v13, 0x7fff
	v_cndmask_b32_e32 v13, v16, v21, vcc_lo
	buffer_load_dword v16, off, s[0:3], s32 offset:312 ; 4-byte Folded Reload
	v_and_b32_e32 v5, 0xffff0000, v13
	v_add_f32_e32 v5, v5, v12
	v_add_f32_e32 v4, v4, v5
	s_waitcnt vmcnt(0)
	v_lshlrev_b32_e32 v16, 16, v16
	v_mul_f32_e32 v16, v1, v16
	v_bfe_u32 v21, v16, 16, 1
	v_or_b32_e32 v22, 0x400000, v16
	v_cmp_u_f32_e32 vcc_lo, v16, v16
	v_add3_u32 v21, v21, v16, 0x7fff
	v_cndmask_b32_e32 v16, v21, v22, vcc_lo
	buffer_load_dword v21, off, s[0:3], s32 offset:308 ; 4-byte Folded Reload
	v_and_b32_e32 v12, 0xffff0000, v16
	s_waitcnt vmcnt(0)
	v_lshlrev_b32_e32 v21, 16, v21
	v_mul_f32_e32 v21, v6, v21
	v_bfe_u32 v22, v21, 16, 1
	v_or_b32_e32 v25, 0x400000, v21
	v_cmp_u_f32_e32 vcc_lo, v21, v21
	v_add3_u32 v22, v22, v21, 0x7fff
	v_cndmask_b32_e32 v21, v22, v25, vcc_lo
	buffer_load_dword v22, off, s[0:3], s32 offset:316 ; 4-byte Folded Reload
	v_and_b32_e32 v5, 0xffff0000, v21
	v_add_f32_e32 v5, v5, v12
	v_add_f32_e32 v4, v4, v5
	s_waitcnt vmcnt(0)
	v_lshlrev_b32_e32 v22, 16, v22
	v_mul_f32_e32 v22, v0, v22
	v_bfe_u32 v25, v22, 16, 1
	v_or_b32_e32 v27, 0x400000, v22
	v_cmp_u_f32_e32 vcc_lo, v22, v22
	v_add3_u32 v25, v25, v22, 0x7fff
	v_cndmask_b32_e32 v22, v25, v27, vcc_lo
	buffer_load_dword v25, off, s[0:3], s32 offset:304 ; 4-byte Folded Reload
	v_and_b32_e32 v12, 0xffff0000, v22
	s_waitcnt vmcnt(0)
	v_lshlrev_b32_e32 v25, 16, v25
	v_mul_f32_e32 v25, v2, v25
	v_bfe_u32 v27, v25, 16, 1
	v_or_b32_e32 v28, 0x400000, v25
	v_cmp_u_f32_e32 vcc_lo, v25, v25
	v_add3_u32 v27, v27, v25, 0x7fff
	v_cndmask_b32_e32 v25, v27, v28, vcc_lo
	v_and_b32_e32 v5, 0xffff0000, v25
	v_add_f32_e32 v5, v5, v12
	v_add_f32_e32 v4, v4, v5
	;; [unrolled: 1-line block ×3, first 2 shown]
	buffer_load_dword v4, off, s[0:3], s32 offset:300 ; 4-byte Folded Reload
	s_waitcnt vmcnt(0)
	v_lshlrev_b32_e32 v4, 16, v4
	v_mul_f32_e32 v4, v8, v4
	v_bfe_u32 v5, v4, 16, 1
	v_or_b32_e32 v12, 0x400000, v4
	v_cmp_u_f32_e32 vcc_lo, v4, v4
	v_add3_u32 v5, v5, v4, 0x7fff
	v_cndmask_b32_e32 v4, v5, v12, vcc_lo
	buffer_load_dword v5, off, s[0:3], s32 offset:296 ; 4-byte Folded Reload
	v_and_b32_e32 v4, 0xffff0000, v4
	s_waitcnt vmcnt(0)
	v_lshlrev_b32_e32 v5, 16, v5
	v_mul_f32_e32 v5, v9, v5
	v_bfe_u32 v12, v5, 16, 1
	v_or_b32_e32 v13, 0x400000, v5
	v_cmp_u_f32_e32 vcc_lo, v5, v5
	v_add3_u32 v12, v12, v5, 0x7fff
	v_cndmask_b32_e32 v5, v12, v13, vcc_lo
	buffer_load_dword v12, off, s[0:3], s32 offset:288 ; 4-byte Folded Reload
	v_and_b32_e32 v5, 0xffff0000, v5
	v_add_f32_e32 v4, v5, v4
	s_waitcnt vmcnt(0)
	v_lshlrev_b32_e32 v12, 16, v12
	v_mul_f32_e32 v12, v3, v12
	v_bfe_u32 v13, v12, 16, 1
	v_or_b32_e32 v16, 0x400000, v12
	v_cmp_u_f32_e32 vcc_lo, v12, v12
	v_add3_u32 v13, v13, v12, 0x7fff
	v_cndmask_b32_e32 v12, v13, v16, vcc_lo
	buffer_load_dword v13, off, s[0:3], s32 offset:292 ; 4-byte Folded Reload
	v_and_b32_e32 v12, 0xffff0000, v12
	s_waitcnt vmcnt(0)
	v_lshlrev_b32_e32 v13, 16, v13
	v_mul_f32_e32 v13, v7, v13
	v_bfe_u32 v16, v13, 16, 1
	v_or_b32_e32 v21, 0x400000, v13
	v_cmp_u_f32_e32 vcc_lo, v13, v13
	v_add3_u32 v16, v16, v13, 0x7fff
	v_cndmask_b32_e32 v13, v16, v21, vcc_lo
	buffer_load_dword v16, off, s[0:3], s32 offset:284 ; 4-byte Folded Reload
	v_and_b32_e32 v5, 0xffff0000, v13
	v_add_f32_e32 v5, v5, v12
	v_add_f32_e32 v4, v4, v5
	s_waitcnt vmcnt(0)
	v_lshlrev_b32_e32 v16, 16, v16
	v_mul_f32_e32 v16, v1, v16
	v_bfe_u32 v21, v16, 16, 1
	v_or_b32_e32 v22, 0x400000, v16
	v_cmp_u_f32_e32 vcc_lo, v16, v16
	v_add3_u32 v21, v21, v16, 0x7fff
	v_cndmask_b32_e32 v16, v21, v22, vcc_lo
	buffer_load_dword v21, off, s[0:3], s32 offset:276 ; 4-byte Folded Reload
	v_and_b32_e32 v12, 0xffff0000, v16
	s_waitcnt vmcnt(0)
	v_lshlrev_b32_e32 v21, 16, v21
	v_mul_f32_e32 v21, v6, v21
	v_bfe_u32 v22, v21, 16, 1
	v_or_b32_e32 v25, 0x400000, v21
	v_cmp_u_f32_e32 vcc_lo, v21, v21
	v_add3_u32 v22, v22, v21, 0x7fff
	v_cndmask_b32_e32 v21, v22, v25, vcc_lo
	buffer_load_dword v22, off, s[0:3], s32 offset:280 ; 4-byte Folded Reload
	v_and_b32_e32 v5, 0xffff0000, v21
	v_add_f32_e32 v5, v5, v12
	v_add_f32_e32 v4, v4, v5
	s_waitcnt vmcnt(0)
	v_lshlrev_b32_e32 v22, 16, v22
	v_mul_f32_e32 v22, v0, v22
	v_bfe_u32 v25, v22, 16, 1
	v_or_b32_e32 v27, 0x400000, v22
	v_cmp_u_f32_e32 vcc_lo, v22, v22
	v_add3_u32 v25, v25, v22, 0x7fff
	v_cndmask_b32_e32 v22, v25, v27, vcc_lo
	buffer_load_dword v25, off, s[0:3], s32 offset:272 ; 4-byte Folded Reload
	v_and_b32_e32 v12, 0xffff0000, v22
	s_waitcnt vmcnt(0)
	v_lshlrev_b32_e32 v25, 16, v25
	v_mul_f32_e32 v25, v2, v25
	v_bfe_u32 v27, v25, 16, 1
	v_or_b32_e32 v28, 0x400000, v25
	v_cmp_u_f32_e32 vcc_lo, v25, v25
	v_add3_u32 v27, v27, v25, 0x7fff
	v_cndmask_b32_e32 v25, v27, v28, vcc_lo
	v_and_b32_e32 v5, 0xffff0000, v25
	v_add_f32_e32 v5, v5, v12
	v_add_f32_e32 v4, v4, v5
	;; [unrolled: 1-line block ×3, first 2 shown]
	buffer_load_dword v4, off, s[0:3], s32 offset:268 ; 4-byte Folded Reload
	s_waitcnt vmcnt(0)
	v_lshlrev_b32_e32 v4, 16, v4
	v_mul_f32_e32 v4, v8, v4
	v_bfe_u32 v5, v4, 16, 1
	v_or_b32_e32 v12, 0x400000, v4
	v_cmp_u_f32_e32 vcc_lo, v4, v4
	v_add3_u32 v5, v5, v4, 0x7fff
	v_cndmask_b32_e32 v4, v5, v12, vcc_lo
	buffer_load_dword v5, off, s[0:3], s32 offset:264 ; 4-byte Folded Reload
	v_and_b32_e32 v4, 0xffff0000, v4
	s_waitcnt vmcnt(0)
	v_lshlrev_b32_e32 v5, 16, v5
	v_mul_f32_e32 v5, v9, v5
	v_bfe_u32 v12, v5, 16, 1
	v_or_b32_e32 v13, 0x400000, v5
	v_cmp_u_f32_e32 vcc_lo, v5, v5
	v_add3_u32 v12, v12, v5, 0x7fff
	v_cndmask_b32_e32 v5, v12, v13, vcc_lo
	buffer_load_dword v12, off, s[0:3], s32 offset:256 ; 4-byte Folded Reload
	v_and_b32_e32 v5, 0xffff0000, v5
	v_add_f32_e32 v4, v5, v4
	s_waitcnt vmcnt(0)
	v_lshlrev_b32_e32 v12, 16, v12
	v_mul_f32_e32 v12, v3, v12
	v_bfe_u32 v13, v12, 16, 1
	v_or_b32_e32 v16, 0x400000, v12
	v_cmp_u_f32_e32 vcc_lo, v12, v12
	v_add3_u32 v13, v13, v12, 0x7fff
	v_cndmask_b32_e32 v12, v13, v16, vcc_lo
	buffer_load_dword v13, off, s[0:3], s32 offset:260 ; 4-byte Folded Reload
	v_and_b32_e32 v12, 0xffff0000, v12
	s_waitcnt vmcnt(0)
	v_lshlrev_b32_e32 v13, 16, v13
	v_mul_f32_e32 v13, v7, v13
	v_bfe_u32 v16, v13, 16, 1
	v_or_b32_e32 v21, 0x400000, v13
	v_cmp_u_f32_e32 vcc_lo, v13, v13
	v_add3_u32 v16, v16, v13, 0x7fff
	v_cndmask_b32_e32 v13, v16, v21, vcc_lo
	buffer_load_dword v16, off, s[0:3], s32 offset:252 ; 4-byte Folded Reload
	v_and_b32_e32 v5, 0xffff0000, v13
	v_add_f32_e32 v5, v5, v12
	v_add_f32_e32 v4, v4, v5
	s_waitcnt vmcnt(0)
	v_lshlrev_b32_e32 v16, 16, v16
	v_mul_f32_e32 v16, v1, v16
	v_bfe_u32 v21, v16, 16, 1
	v_or_b32_e32 v22, 0x400000, v16
	v_cmp_u_f32_e32 vcc_lo, v16, v16
	v_add3_u32 v21, v21, v16, 0x7fff
	v_cndmask_b32_e32 v16, v21, v22, vcc_lo
	buffer_load_dword v21, off, s[0:3], s32 offset:244 ; 4-byte Folded Reload
	v_and_b32_e32 v12, 0xffff0000, v16
	s_waitcnt vmcnt(0)
	v_lshlrev_b32_e32 v21, 16, v21
	v_mul_f32_e32 v21, v6, v21
	v_bfe_u32 v22, v21, 16, 1
	v_or_b32_e32 v25, 0x400000, v21
	v_cmp_u_f32_e32 vcc_lo, v21, v21
	v_add3_u32 v22, v22, v21, 0x7fff
	v_cndmask_b32_e32 v21, v22, v25, vcc_lo
	buffer_load_dword v22, off, s[0:3], s32 offset:248 ; 4-byte Folded Reload
	v_and_b32_e32 v5, 0xffff0000, v21
	v_add_f32_e32 v5, v5, v12
	v_add_f32_e32 v4, v4, v5
	s_waitcnt vmcnt(0)
	v_lshlrev_b32_e32 v22, 16, v22
	v_mul_f32_e32 v22, v0, v22
	v_bfe_u32 v25, v22, 16, 1
	v_or_b32_e32 v27, 0x400000, v22
	v_cmp_u_f32_e32 vcc_lo, v22, v22
	v_add3_u32 v25, v25, v22, 0x7fff
	v_cndmask_b32_e32 v22, v25, v27, vcc_lo
	buffer_load_dword v25, off, s[0:3], s32 offset:236 ; 4-byte Folded Reload
	v_and_b32_e32 v12, 0xffff0000, v22
	s_waitcnt vmcnt(0)
	v_lshlrev_b32_e32 v25, 16, v25
	v_mul_f32_e32 v25, v2, v25
	v_bfe_u32 v27, v25, 16, 1
	v_or_b32_e32 v28, 0x400000, v25
	v_cmp_u_f32_e32 vcc_lo, v25, v25
	v_add3_u32 v27, v27, v25, 0x7fff
	v_cndmask_b32_e32 v25, v27, v28, vcc_lo
	v_and_b32_e32 v5, 0xffff0000, v25
	v_add_f32_e32 v5, v5, v12
	v_add_f32_e32 v4, v4, v5
	;; [unrolled: 1-line block ×3, first 2 shown]
	buffer_load_dword v4, off, s[0:3], s32 offset:228 ; 4-byte Folded Reload
	s_waitcnt vmcnt(0)
	v_lshlrev_b32_e32 v4, 16, v4
	v_mul_f32_e32 v4, v8, v4
	v_bfe_u32 v5, v4, 16, 1
	v_or_b32_e32 v12, 0x400000, v4
	v_cmp_u_f32_e32 vcc_lo, v4, v4
	v_add3_u32 v5, v5, v4, 0x7fff
	v_cndmask_b32_e32 v4, v5, v12, vcc_lo
	buffer_load_dword v5, off, s[0:3], s32 offset:224 ; 4-byte Folded Reload
	v_and_b32_e32 v4, 0xffff0000, v4
	s_waitcnt vmcnt(0)
	v_lshlrev_b32_e32 v5, 16, v5
	v_mul_f32_e32 v5, v9, v5
	v_bfe_u32 v12, v5, 16, 1
	v_or_b32_e32 v13, 0x400000, v5
	v_cmp_u_f32_e32 vcc_lo, v5, v5
	v_add3_u32 v12, v12, v5, 0x7fff
	v_cndmask_b32_e32 v5, v12, v13, vcc_lo
	buffer_load_dword v12, off, s[0:3], s32 offset:216 ; 4-byte Folded Reload
	v_and_b32_e32 v5, 0xffff0000, v5
	v_add_f32_e32 v4, v5, v4
	s_waitcnt vmcnt(0)
	v_lshlrev_b32_e32 v12, 16, v12
	v_mul_f32_e32 v12, v3, v12
	v_bfe_u32 v13, v12, 16, 1
	v_or_b32_e32 v16, 0x400000, v12
	v_cmp_u_f32_e32 vcc_lo, v12, v12
	v_add3_u32 v13, v13, v12, 0x7fff
	v_cndmask_b32_e32 v12, v13, v16, vcc_lo
	buffer_load_dword v13, off, s[0:3], s32 offset:220 ; 4-byte Folded Reload
	v_and_b32_e32 v12, 0xffff0000, v12
	s_waitcnt vmcnt(0)
	v_lshlrev_b32_e32 v13, 16, v13
	v_mul_f32_e32 v13, v7, v13
	v_bfe_u32 v16, v13, 16, 1
	v_or_b32_e32 v21, 0x400000, v13
	v_cmp_u_f32_e32 vcc_lo, v13, v13
	v_add3_u32 v16, v16, v13, 0x7fff
	v_cndmask_b32_e32 v13, v16, v21, vcc_lo
	buffer_load_dword v16, off, s[0:3], s32 offset:212 ; 4-byte Folded Reload
	v_and_b32_e32 v5, 0xffff0000, v13
	v_add_f32_e32 v5, v5, v12
	v_add_f32_e32 v4, v4, v5
	s_waitcnt vmcnt(0)
	v_lshlrev_b32_e32 v16, 16, v16
	v_mul_f32_e32 v16, v1, v16
	v_bfe_u32 v21, v16, 16, 1
	v_or_b32_e32 v22, 0x400000, v16
	v_cmp_u_f32_e32 vcc_lo, v16, v16
	v_add3_u32 v21, v21, v16, 0x7fff
	v_cndmask_b32_e32 v16, v21, v22, vcc_lo
	buffer_load_dword v21, off, s[0:3], s32 offset:204 ; 4-byte Folded Reload
	v_and_b32_e32 v12, 0xffff0000, v16
	s_waitcnt vmcnt(0)
	v_lshlrev_b32_e32 v21, 16, v21
	v_mul_f32_e32 v21, v6, v21
	v_bfe_u32 v22, v21, 16, 1
	v_or_b32_e32 v25, 0x400000, v21
	v_cmp_u_f32_e32 vcc_lo, v21, v21
	v_add3_u32 v22, v22, v21, 0x7fff
	v_cndmask_b32_e32 v21, v22, v25, vcc_lo
	buffer_load_dword v22, off, s[0:3], s32 offset:208 ; 4-byte Folded Reload
	v_and_b32_e32 v5, 0xffff0000, v21
	v_add_f32_e32 v5, v5, v12
	v_add_f32_e32 v4, v4, v5
	s_waitcnt vmcnt(0)
	v_lshlrev_b32_e32 v22, 16, v22
	v_mul_f32_e32 v22, v0, v22
	v_bfe_u32 v25, v22, 16, 1
	v_or_b32_e32 v27, 0x400000, v22
	v_cmp_u_f32_e32 vcc_lo, v22, v22
	v_add3_u32 v25, v25, v22, 0x7fff
	v_cndmask_b32_e32 v22, v25, v27, vcc_lo
	buffer_load_dword v25, off, s[0:3], s32 offset:200 ; 4-byte Folded Reload
	v_and_b32_e32 v12, 0xffff0000, v22
	s_waitcnt vmcnt(0)
	v_lshlrev_b32_e32 v25, 16, v25
	v_mul_f32_e32 v25, v2, v25
	v_bfe_u32 v27, v25, 16, 1
	v_or_b32_e32 v28, 0x400000, v25
	v_cmp_u_f32_e32 vcc_lo, v25, v25
	v_add3_u32 v27, v27, v25, 0x7fff
	v_cndmask_b32_e32 v25, v27, v28, vcc_lo
	v_and_b32_e32 v5, 0xffff0000, v25
	v_add_f32_e32 v5, v5, v12
	v_add_f32_e32 v4, v4, v5
	v_add_f32_e32 v53, v53, v4
	v_lshlrev_b32_e32 v4, 16, v99
	v_mul_f32_e32 v4, v9, v4
	v_bfe_u32 v5, v4, 16, 1
	v_or_b32_e32 v9, 0x400000, v4
	v_cmp_u_f32_e32 vcc_lo, v4, v4
	v_add3_u32 v5, v5, v4, 0x7fff
	v_cndmask_b32_e32 v4, v5, v9, vcc_lo
	v_lshlrev_b32_e32 v5, 16, v24
	v_and_b32_e32 v4, 0xffff0000, v4
	v_mul_f32_e32 v5, v8, v5
	v_bfe_u32 v8, v5, 16, 1
	v_or_b32_e32 v9, 0x400000, v5
	v_cmp_u_f32_e32 vcc_lo, v5, v5
	v_add3_u32 v8, v8, v5, 0x7fff
	v_cndmask_b32_e32 v5, v8, v9, vcc_lo
	v_lshlrev_b32_e32 v8, 16, v20
	v_and_b32_e32 v5, 0xffff0000, v5
	v_mul_f32_e32 v7, v7, v8
	v_add_f32_e32 v4, v4, v5
	v_bfe_u32 v8, v7, 16, 1
	v_or_b32_e32 v9, 0x400000, v7
	v_cmp_u_f32_e32 vcc_lo, v7, v7
	v_add3_u32 v8, v8, v7, 0x7fff
	v_cndmask_b32_e32 v7, v8, v9, vcc_lo
	v_lshlrev_b32_e32 v8, 16, v18
	v_and_b32_e32 v5, 0xffff0000, v7
	v_mul_f32_e32 v3, v3, v8
	v_bfe_u32 v8, v3, 16, 1
	v_or_b32_e32 v9, 0x400000, v3
	v_cmp_u_f32_e32 vcc_lo, v3, v3
	v_add3_u32 v8, v8, v3, 0x7fff
	v_cndmask_b32_e32 v3, v8, v9, vcc_lo
	v_lshlrev_b32_e32 v8, 16, v17
	v_and_b32_e32 v3, 0xffff0000, v3
	v_mul_f32_e32 v6, v6, v8
	v_add_f32_e32 v3, v5, v3
	v_bfe_u32 v8, v6, 16, 1
	v_or_b32_e32 v9, 0x400000, v6
	v_cmp_u_f32_e32 vcc_lo, v6, v6
	v_add_f32_e32 v3, v4, v3
	v_add3_u32 v8, v8, v6, 0x7fff
	v_cndmask_b32_e32 v6, v8, v9, vcc_lo
	v_lshlrev_b32_e32 v8, 16, v10
	v_and_b32_e32 v4, 0xffff0000, v6
	v_mul_f32_e32 v1, v1, v8
	v_bfe_u32 v8, v1, 16, 1
	v_or_b32_e32 v9, 0x400000, v1
	v_cmp_u_f32_e32 vcc_lo, v1, v1
	v_add3_u32 v8, v8, v1, 0x7fff
	v_cndmask_b32_e32 v1, v8, v9, vcc_lo
	v_lshlrev_b32_e32 v8, 16, v19
	v_and_b32_e32 v1, 0xffff0000, v1
	v_mul_f32_e32 v2, v2, v8
	v_add_f32_e32 v1, v4, v1
	v_bfe_u32 v8, v2, 16, 1
	v_or_b32_e32 v9, 0x400000, v2
	v_cmp_u_f32_e32 vcc_lo, v2, v2
	v_add_f32_e32 v1, v3, v1
	v_add3_u32 v8, v8, v2, 0x7fff
	v_cndmask_b32_e32 v2, v8, v9, vcc_lo
	v_lshlrev_b32_e32 v8, 16, v23
	v_and_b32_e32 v2, 0xffff0000, v2
	v_mul_f32_e32 v0, v0, v8
	v_bfe_u32 v8, v0, 16, 1
	v_or_b32_e32 v9, 0x400000, v0
	v_cmp_u_f32_e32 vcc_lo, v0, v0
	v_add3_u32 v8, v8, v0, 0x7fff
	v_cndmask_b32_e32 v0, v8, v9, vcc_lo
	v_add_co_u32 v14, vcc_lo, v14, 16
	v_add_co_ci_u32_e64 v15, null, 0, v15, vcc_lo
	v_and_b32_e32 v0, 0xffff0000, v0
	v_add_f32_e32 v0, v2, v0
	v_add_f32_e32 v0, v1, v0
	;; [unrolled: 1-line block ×3, first 2 shown]
	s_clause 0x1
	buffer_load_dword v0, off, s[0:3], s32 offset:192
	buffer_load_dword v1, off, s[0:3], s32 offset:196
	s_waitcnt vmcnt(0)
	v_mov_b32_e32 v1, v0
	v_add_nc_u32_e32 v1, 4, v1
	v_mov_b32_e32 v0, v1
	buffer_store_dword v0, off, s[0:3], s32 offset:192 ; 4-byte Folded Spill
	buffer_store_dword v1, off, s[0:3], s32 offset:196 ; 4-byte Folded Spill
	buffer_load_dword v0, off, s[0:3], s32 offset:356 ; 4-byte Folded Reload
	s_waitcnt vmcnt(0)
	v_cmp_ge_i32_e32 vcc_lo, v1, v0
	s_or_b32 s11, vcc_lo, s11
	s_andn2_b32 exec_lo, exec_lo, s11
	s_cbranch_execz .LBB393_1981
.LBB393_991:                            ; =>This Inner Loop Header: Depth=1
	flat_load_dword v0, v[14:15]
	s_clause 0x2
	buffer_load_dword v1, off, s[0:3], s32 offset:352
	buffer_load_dword v2, off, s[0:3], s32 offset:364
	;; [unrolled: 1-line block ×3, first 2 shown]
	v_mov_b32_e32 v4, 0
	s_waitcnt vmcnt(0) lgkmcnt(0)
	v_mad_i64_i32 v[17:18], null, v0, v1, v[2:3]
	flat_load_dwordx2 v[19:20], v[17:18]
	ds_read2_b64 v[6:9], v66 offset1:1
	ds_read2_b64 v[0:3], v66 offset0:2 offset1:3
	s_waitcnt vmcnt(0) lgkmcnt(2)
	v_cmp_ne_u16_sdwa s12, v19, v11 src0_sel:BYTE_0 src1_sel:DWORD
	s_and_saveexec_b32 s4, s12
	s_cbranch_execz .LBB393_999
; %bb.992:                              ;   in Loop: Header=BB393_991 Depth=1
	v_cmp_ne_u16_sdwa s13, v19, v67 src0_sel:BYTE_0 src1_sel:DWORD
	v_bfrev_b32_e32 v4, 1
	s_and_saveexec_b32 s12, s13
	s_cbranch_execz .LBB393_998
; %bb.993:                              ;   in Loop: Header=BB393_991 Depth=1
	v_and_b32_e32 v5, 0x7f, v19
	v_mov_b32_e32 v4, 0x7f800001
	s_mov_b32 s13, exec_lo
	v_cmpx_ne_u32_e32 0x7f, v5
	s_cbranch_execz .LBB393_997
; %bb.994:                              ;   in Loop: Header=BB393_991 Depth=1
	v_mov_b32_e32 v24, v20
	v_lshrrev_b32_e32 v4, 3, v5
	v_mov_b32_e32 v23, v19
	s_mov_b32 s15, exec_lo
	v_cmpx_gt_u32_e32 8, v5
; %bb.995:                              ;   in Loop: Header=BB393_991 Depth=1
	v_and_b32_e32 v4, 7, v19
	v_ffbh_u32_e32 v4, v4
	v_min_u32_e32 v4, 32, v4
	v_subrev_nc_u32_e32 v5, 28, v4
	v_sub_nc_u32_e32 v4, 29, v4
	v_lshlrev_b64 v[23:24], v5, v[19:20]
; %bb.996:                              ;   in Loop: Header=BB393_991 Depth=1
	s_or_b32 exec_lo, exec_lo, s15
	v_lshlrev_b32_e32 v5, 20, v23
	v_lshlrev_b32_e32 v10, 24, v19
	v_lshl_add_u32 v4, v4, 23, 0x3c000000
	v_and_b32_e32 v5, 0x700000, v5
	v_and_b32_e32 v10, 0x80000000, v10
	v_or3_b32 v4, v5, v10, v4
.LBB393_997:                            ;   in Loop: Header=BB393_991 Depth=1
	s_or_b32 exec_lo, exec_lo, s13
.LBB393_998:                            ;   in Loop: Header=BB393_991 Depth=1
	s_or_b32 exec_lo, exec_lo, s12
.LBB393_999:                            ;   in Loop: Header=BB393_991 Depth=1
	s_or_b32 exec_lo, exec_lo, s4
	v_cmp_ne_u16_sdwa s12, v19, v11 src0_sel:BYTE_1 src1_sel:DWORD
	v_mov_b32_e32 v12, 0
	v_mov_b32_e32 v5, 0
	s_and_saveexec_b32 s4, s12
	s_cbranch_execz .LBB393_1007
; %bb.1000:                             ;   in Loop: Header=BB393_991 Depth=1
	v_cmp_ne_u16_sdwa s13, v19, v67 src0_sel:BYTE_1 src1_sel:DWORD
	v_bfrev_b32_e32 v5, 1
	s_and_saveexec_b32 s12, s13
	s_cbranch_execz .LBB393_1006
; %bb.1001:                             ;   in Loop: Header=BB393_991 Depth=1
	v_mov_b32_e32 v5, 0xffff
	s_mov_b32 s13, exec_lo
	v_and_b32_sdwa v10, v5, v19 dst_sel:DWORD dst_unused:UNUSED_PAD src0_sel:DWORD src1_sel:BYTE_1
	v_mov_b32_e32 v5, 0x7f800001
	v_and_b32_e32 v13, 0x7f, v10
	v_cmpx_ne_u32_e32 0x7f, v13
	s_cbranch_execz .LBB393_1005
; %bb.1002:                             ;   in Loop: Header=BB393_991 Depth=1
	v_and_b32_e32 v10, 7, v10
	v_mov_b32_e32 v24, v11
	v_lshrrev_b32_e32 v5, 3, v13
	s_mov_b32 s15, exec_lo
	v_mov_b32_e32 v23, v10
	v_cmpx_gt_u32_e32 8, v13
; %bb.1003:                             ;   in Loop: Header=BB393_991 Depth=1
	v_ffbh_u32_e32 v5, v10
	v_min_u32_e32 v5, 32, v5
	v_subrev_nc_u32_e32 v13, 28, v5
	v_sub_nc_u32_e32 v5, 29, v5
	v_lshlrev_b64 v[21:22], v13, v[10:11]
	v_and_b32_e32 v23, 7, v21
; %bb.1004:                             ;   in Loop: Header=BB393_991 Depth=1
	s_or_b32 exec_lo, exec_lo, s15
	v_lshlrev_b32_e32 v10, 16, v19
	v_lshlrev_b32_e32 v13, 20, v23
	v_lshl_add_u32 v5, v5, 23, 0x3c000000
	v_and_b32_e32 v10, 0x80000000, v10
	v_or3_b32 v5, v13, v10, v5
.LBB393_1005:                           ;   in Loop: Header=BB393_991 Depth=1
	s_or_b32 exec_lo, exec_lo, s13
.LBB393_1006:                           ;   in Loop: Header=BB393_991 Depth=1
	s_or_b32 exec_lo, exec_lo, s12
.LBB393_1007:                           ;   in Loop: Header=BB393_991 Depth=1
	s_or_b32 exec_lo, exec_lo, s4
	v_and_b32_sdwa v10, v19, v69 dst_sel:DWORD dst_unused:UNUSED_PAD src0_sel:WORD_1 src1_sel:DWORD
	s_mov_b32 s4, exec_lo
	v_cmpx_ne_u16_e32 0, v10
	s_cbranch_execz .LBB393_1015
; %bb.1008:                             ;   in Loop: Header=BB393_991 Depth=1
	v_bfrev_b32_e32 v12, 1
	s_mov_b32 s12, exec_lo
	v_cmpx_ne_u16_e32 0x80, v10
	s_cbranch_execz .LBB393_1014
; %bb.1009:                             ;   in Loop: Header=BB393_991 Depth=1
	v_bfe_u32 v13, v19, 16, 7
	v_mov_b32_e32 v12, 0x7f800001
	s_mov_b32 s13, exec_lo
	v_cmpx_ne_u32_e32 0x7f, v13
	s_cbranch_execz .LBB393_1013
; %bb.1010:                             ;   in Loop: Header=BB393_991 Depth=1
	v_mov_b32_e32 v10, 7
	v_lshrrev_b32_e32 v12, 3, v13
	s_mov_b32 s15, exec_lo
	v_and_b32_sdwa v10, v19, v10 dst_sel:DWORD dst_unused:UNUSED_PAD src0_sel:WORD_1 src1_sel:DWORD
	v_mov_b32_e32 v24, v11
	v_mov_b32_e32 v23, v10
	v_cmpx_gt_u32_e32 8, v13
; %bb.1011:                             ;   in Loop: Header=BB393_991 Depth=1
	v_ffbh_u32_e32 v12, v10
	v_min_u32_e32 v12, 32, v12
	v_subrev_nc_u32_e32 v13, 28, v12
	v_sub_nc_u32_e32 v12, 29, v12
	v_lshlrev_b64 v[21:22], v13, v[10:11]
	v_and_b32_e32 v23, 7, v21
; %bb.1012:                             ;   in Loop: Header=BB393_991 Depth=1
	s_or_b32 exec_lo, exec_lo, s15
	v_mov_b32_e32 v10, 24
	v_lshlrev_b32_e32 v13, 20, v23
	v_lshl_add_u32 v12, v12, 23, 0x3c000000
	v_lshlrev_b32_sdwa v10, v10, v19 dst_sel:DWORD dst_unused:UNUSED_PAD src0_sel:DWORD src1_sel:WORD_1
	v_and_b32_e32 v10, 0x80000000, v10
	v_or3_b32 v12, v13, v10, v12
.LBB393_1013:                           ;   in Loop: Header=BB393_991 Depth=1
	s_or_b32 exec_lo, exec_lo, s13
.LBB393_1014:                           ;   in Loop: Header=BB393_991 Depth=1
	s_or_b32 exec_lo, exec_lo, s12
.LBB393_1015:                           ;   in Loop: Header=BB393_991 Depth=1
	s_or_b32 exec_lo, exec_lo, s4
	v_mov_b32_e32 v16, 0
	v_mov_b32_e32 v13, 0
	s_mov_b32 s4, exec_lo
	v_cmpx_lt_u32_e32 0xffffff, v19
	s_cbranch_execz .LBB393_1023
; %bb.1016:                             ;   in Loop: Header=BB393_991 Depth=1
	v_cmp_ne_u32_sdwa s13, v19, v67 src0_sel:BYTE_3 src1_sel:DWORD
	v_bfrev_b32_e32 v13, 1
	s_and_saveexec_b32 s12, s13
	s_cbranch_execz .LBB393_1022
; %bb.1017:                             ;   in Loop: Header=BB393_991 Depth=1
	v_bfe_u32 v21, v19, 24, 7
	v_mov_b32_e32 v13, 0x7f800001
	s_mov_b32 s13, exec_lo
	v_cmpx_ne_u32_e32 0x7f, v21
	s_cbranch_execz .LBB393_1021
; %bb.1018:                             ;   in Loop: Header=BB393_991 Depth=1
	v_mov_b32_e32 v10, 7
	v_lshrrev_b32_e32 v13, 3, v21
	s_mov_b32 s15, exec_lo
	v_and_b32_sdwa v10, v19, v10 dst_sel:DWORD dst_unused:UNUSED_PAD src0_sel:BYTE_3 src1_sel:DWORD
	v_mov_b32_e32 v24, v11
	v_mov_b32_e32 v23, v10
	v_cmpx_gt_u32_e32 8, v21
; %bb.1019:                             ;   in Loop: Header=BB393_991 Depth=1
	v_ffbh_u32_e32 v13, v10
	v_min_u32_e32 v13, 32, v13
	v_subrev_nc_u32_e32 v21, 28, v13
	v_sub_nc_u32_e32 v13, 29, v13
	v_lshlrev_b64 v[21:22], v21, v[10:11]
	v_and_b32_e32 v23, 7, v21
; %bb.1020:                             ;   in Loop: Header=BB393_991 Depth=1
	s_or_b32 exec_lo, exec_lo, s15
	v_mov_b32_e32 v10, 24
	v_lshlrev_b32_e32 v21, 20, v23
	v_lshl_add_u32 v13, v13, 23, 0x3c000000
	v_lshlrev_b32_sdwa v10, v10, v19 dst_sel:DWORD dst_unused:UNUSED_PAD src0_sel:DWORD src1_sel:BYTE_3
	v_and_b32_e32 v10, 0x80000000, v10
	v_or3_b32 v13, v21, v10, v13
.LBB393_1021:                           ;   in Loop: Header=BB393_991 Depth=1
	s_or_b32 exec_lo, exec_lo, s13
.LBB393_1022:                           ;   in Loop: Header=BB393_991 Depth=1
	s_or_b32 exec_lo, exec_lo, s12
.LBB393_1023:                           ;   in Loop: Header=BB393_991 Depth=1
	s_or_b32 exec_lo, exec_lo, s4
	v_mov_b32_e32 v10, v20
	v_cmp_ne_u16_sdwa s12, v20, v11 src0_sel:BYTE_0 src1_sel:DWORD
	s_and_saveexec_b32 s4, s12
	s_cbranch_execz .LBB393_1031
; %bb.1024:                             ;   in Loop: Header=BB393_991 Depth=1
	v_cmp_ne_u16_sdwa s13, v20, v67 src0_sel:BYTE_0 src1_sel:DWORD
	v_bfrev_b32_e32 v16, 1
	s_and_saveexec_b32 s12, s13
	s_cbranch_execz .LBB393_1030
; %bb.1025:                             ;   in Loop: Header=BB393_991 Depth=1
	v_and_b32_e32 v21, 0x7f, v20
	v_mov_b32_e32 v16, 0x7f800001
	s_mov_b32 s13, exec_lo
	v_cmpx_ne_u32_e32 0x7f, v21
	s_cbranch_execz .LBB393_1029
; %bb.1026:                             ;   in Loop: Header=BB393_991 Depth=1
	v_mov_b32_e32 v24, v11
	v_lshrrev_b32_e32 v16, 3, v21
	v_mov_b32_e32 v23, v10
	s_mov_b32 s15, exec_lo
	v_cmpx_gt_u32_e32 8, v21
; %bb.1027:                             ;   in Loop: Header=BB393_991 Depth=1
	v_and_b32_e32 v16, 7, v20
	v_ffbh_u32_e32 v16, v16
	v_min_u32_e32 v16, 32, v16
	v_subrev_nc_u32_e32 v21, 28, v16
	v_sub_nc_u32_e32 v16, 29, v16
	v_lshlrev_b64 v[23:24], v21, v[10:11]
; %bb.1028:                             ;   in Loop: Header=BB393_991 Depth=1
	s_or_b32 exec_lo, exec_lo, s15
	v_lshlrev_b32_e32 v21, 20, v23
	v_lshlrev_b32_e32 v22, 24, v10
	v_lshl_add_u32 v16, v16, 23, 0x3c000000
	v_and_b32_e32 v21, 0x700000, v21
	v_and_b32_e32 v22, 0x80000000, v22
	v_or3_b32 v16, v21, v22, v16
.LBB393_1029:                           ;   in Loop: Header=BB393_991 Depth=1
	s_or_b32 exec_lo, exec_lo, s13
.LBB393_1030:                           ;   in Loop: Header=BB393_991 Depth=1
	s_or_b32 exec_lo, exec_lo, s12
.LBB393_1031:                           ;   in Loop: Header=BB393_991 Depth=1
	s_or_b32 exec_lo, exec_lo, s4
	v_cmp_ne_u16_sdwa s12, v10, v11 src0_sel:BYTE_1 src1_sel:DWORD
	v_mov_b32_e32 v21, 0
	v_mov_b32_e32 v22, 0
	s_and_saveexec_b32 s4, s12
	s_cbranch_execz .LBB393_1039
; %bb.1032:                             ;   in Loop: Header=BB393_991 Depth=1
	v_cmp_ne_u16_sdwa s13, v10, v67 src0_sel:BYTE_1 src1_sel:DWORD
	v_bfrev_b32_e32 v22, 1
	s_and_saveexec_b32 s12, s13
	s_cbranch_execz .LBB393_1038
; %bb.1033:                             ;   in Loop: Header=BB393_991 Depth=1
	v_mov_b32_e32 v22, 0xffff
	s_mov_b32 s13, exec_lo
	v_and_b32_sdwa v23, v22, v10 dst_sel:DWORD dst_unused:UNUSED_PAD src0_sel:DWORD src1_sel:BYTE_1
	v_mov_b32_e32 v22, 0x7f800001
	v_and_b32_e32 v25, 0x7f, v23
	v_cmpx_ne_u32_e32 0x7f, v25
	s_cbranch_execz .LBB393_1037
; %bb.1034:                             ;   in Loop: Header=BB393_991 Depth=1
	v_and_b32_e32 v23, 7, v23
	v_mov_b32_e32 v24, v11
	v_lshrrev_b32_e32 v22, 3, v25
	s_mov_b32 s15, exec_lo
	v_cmpx_gt_u32_e32 8, v25
; %bb.1035:                             ;   in Loop: Header=BB393_991 Depth=1
	v_ffbh_u32_e32 v22, v23
	v_min_u32_e32 v22, 32, v22
	v_subrev_nc_u32_e32 v25, 28, v22
	v_sub_nc_u32_e32 v22, 29, v22
	v_lshlrev_b64 v[23:24], v25, v[23:24]
	v_and_b32_e32 v23, 7, v23
; %bb.1036:                             ;   in Loop: Header=BB393_991 Depth=1
	s_or_b32 exec_lo, exec_lo, s15
	v_lshlrev_b32_e32 v10, 16, v10
	v_lshlrev_b32_e32 v23, 20, v23
	v_lshl_add_u32 v22, v22, 23, 0x3c000000
	v_and_b32_e32 v10, 0x80000000, v10
	v_or3_b32 v22, v23, v10, v22
.LBB393_1037:                           ;   in Loop: Header=BB393_991 Depth=1
	s_or_b32 exec_lo, exec_lo, s13
.LBB393_1038:                           ;   in Loop: Header=BB393_991 Depth=1
	s_or_b32 exec_lo, exec_lo, s12
.LBB393_1039:                           ;   in Loop: Header=BB393_991 Depth=1
	s_or_b32 exec_lo, exec_lo, s4
	v_and_b32_sdwa v10, v20, v69 dst_sel:DWORD dst_unused:UNUSED_PAD src0_sel:WORD_1 src1_sel:DWORD
	s_mov_b32 s4, exec_lo
	v_cmpx_ne_u16_e32 0, v10
	s_cbranch_execz .LBB393_1047
; %bb.1040:                             ;   in Loop: Header=BB393_991 Depth=1
	v_bfrev_b32_e32 v21, 1
	s_mov_b32 s12, exec_lo
	v_cmpx_ne_u16_e32 0x80, v10
	s_cbranch_execz .LBB393_1046
; %bb.1041:                             ;   in Loop: Header=BB393_991 Depth=1
	v_bfe_u32 v23, v20, 16, 7
	v_mov_b32_e32 v21, 0x7f800001
	s_mov_b32 s13, exec_lo
	v_cmpx_ne_u32_e32 0x7f, v23
	s_cbranch_execz .LBB393_1045
; %bb.1042:                             ;   in Loop: Header=BB393_991 Depth=1
	v_mov_b32_e32 v10, 7
	v_lshrrev_b32_e32 v21, 3, v23
	v_cmp_gt_u32_e32 vcc_lo, 8, v23
	v_and_b32_sdwa v10, v20, v10 dst_sel:DWORD dst_unused:UNUSED_PAD src0_sel:WORD_1 src1_sel:DWORD
	v_mov_b32_e32 v24, v11
	v_mov_b32_e32 v23, v10
	s_and_saveexec_b32 s15, vcc_lo
; %bb.1043:                             ;   in Loop: Header=BB393_991 Depth=1
	v_ffbh_u32_e32 v21, v10
	v_min_u32_e32 v21, 32, v21
	v_subrev_nc_u32_e32 v23, 28, v21
	v_sub_nc_u32_e32 v21, 29, v21
	v_lshlrev_b64 v[23:24], v23, v[10:11]
	v_and_b32_e32 v23, 7, v23
; %bb.1044:                             ;   in Loop: Header=BB393_991 Depth=1
	s_or_b32 exec_lo, exec_lo, s15
	v_mov_b32_e32 v10, 24
	v_lshlrev_b32_e32 v23, 20, v23
	v_lshl_add_u32 v21, v21, 23, 0x3c000000
	v_lshlrev_b32_sdwa v10, v10, v20 dst_sel:DWORD dst_unused:UNUSED_PAD src0_sel:DWORD src1_sel:WORD_1
	v_and_b32_e32 v10, 0x80000000, v10
	v_or3_b32 v21, v23, v10, v21
.LBB393_1045:                           ;   in Loop: Header=BB393_991 Depth=1
	s_or_b32 exec_lo, exec_lo, s13
.LBB393_1046:                           ;   in Loop: Header=BB393_991 Depth=1
	s_or_b32 exec_lo, exec_lo, s12
.LBB393_1047:                           ;   in Loop: Header=BB393_991 Depth=1
	s_or_b32 exec_lo, exec_lo, s4
	v_mov_b32_e32 v10, 0
	s_mov_b32 s4, exec_lo
	v_cmpx_lt_u64_e64 s[8:9], v[19:20]
	s_cbranch_execz .LBB393_1055
; %bb.1048:                             ;   in Loop: Header=BB393_991 Depth=1
	v_cmp_ne_u32_sdwa s13, v20, v67 src0_sel:BYTE_3 src1_sel:DWORD
	v_bfrev_b32_e32 v10, 1
	s_and_saveexec_b32 s12, s13
	s_cbranch_execz .LBB393_1054
; %bb.1049:                             ;   in Loop: Header=BB393_991 Depth=1
	v_bfe_u32 v23, v20, 24, 7
	v_mov_b32_e32 v10, 0x7f800001
	s_mov_b32 s13, exec_lo
	v_cmpx_ne_u32_e32 0x7f, v23
	s_cbranch_execz .LBB393_1053
; %bb.1050:                             ;   in Loop: Header=BB393_991 Depth=1
	v_mov_b32_e32 v10, 7
	v_lshrrev_b32_e32 v19, 3, v23
	v_cmp_gt_u32_e32 vcc_lo, 8, v23
	v_and_b32_sdwa v10, v20, v10 dst_sel:DWORD dst_unused:UNUSED_PAD src0_sel:BYTE_3 src1_sel:DWORD
	v_mov_b32_e32 v24, v11
	v_mov_b32_e32 v23, v10
	s_and_saveexec_b32 s15, vcc_lo
; %bb.1051:                             ;   in Loop: Header=BB393_991 Depth=1
	v_ffbh_u32_e32 v19, v10
	v_min_u32_e32 v19, 32, v19
	v_subrev_nc_u32_e32 v23, 28, v19
	v_sub_nc_u32_e32 v19, 29, v19
	v_lshlrev_b64 v[23:24], v23, v[10:11]
	v_and_b32_e32 v23, 7, v23
; %bb.1052:                             ;   in Loop: Header=BB393_991 Depth=1
	s_or_b32 exec_lo, exec_lo, s15
	v_mov_b32_e32 v10, 24
	v_lshl_add_u32 v19, v19, 23, 0x3c000000
	v_lshlrev_b32_sdwa v10, v10, v20 dst_sel:DWORD dst_unused:UNUSED_PAD src0_sel:DWORD src1_sel:BYTE_3
	v_lshlrev_b32_e32 v20, 20, v23
	v_and_b32_e32 v10, 0x80000000, v10
	v_or3_b32 v10, v20, v10, v19
.LBB393_1053:                           ;   in Loop: Header=BB393_991 Depth=1
	s_or_b32 exec_lo, exec_lo, s13
.LBB393_1054:                           ;   in Loop: Header=BB393_991 Depth=1
	s_or_b32 exec_lo, exec_lo, s12
.LBB393_1055:                           ;   in Loop: Header=BB393_991 Depth=1
	s_or_b32 exec_lo, exec_lo, s4
	v_mul_f32_e32 v19, v26, v22
	s_clause 0x2
	buffer_load_dword v22, off, s[0:3], s32 offset:192
	buffer_load_dword v23, off, s[0:3], s32 offset:196
	;; [unrolled: 1-line block ×3, first 2 shown]
	v_mul_f32_e32 v16, v26, v16
	v_mul_f32_e32 v13, v26, v13
	;; [unrolled: 1-line block ×3, first 2 shown]
	v_cmp_u_f32_e64 s4, v19, v19
	v_mul_f32_e32 v5, v26, v5
	s_waitcnt vmcnt(1)
	v_bfe_u32 v23, v16, 16, 1
	v_or_b32_e32 v24, 0x400000, v16
	v_bfe_u32 v25, v13, 16, 1
	v_or_b32_e32 v27, 0x400000, v13
	v_mul_f32_e32 v4, v26, v4
	v_add3_u32 v23, v23, v16, 0x7fff
	v_mul_f32_e32 v10, v26, v10
	v_add_nc_u32_e32 v44, -7, v65
	v_add_nc_u32_e32 v61, -6, v65
	;; [unrolled: 1-line block ×7, first 2 shown]
	s_waitcnt vmcnt(0)
	v_cmp_eq_u32_e32 vcc_lo, v20, v22
	v_bfe_u32 v20, v19, 16, 1
	v_or_b32_e32 v22, 0x400000, v19
	v_add3_u32 v20, v20, v19, 0x7fff
	v_cndmask_b32_e64 v19, v20, v22, s4
	v_cmp_u_f32_e64 s4, v16, v16
	v_add3_u32 v22, v25, v13, 0x7fff
	v_bfe_u32 v20, v12, 16, 1
	v_lshrrev_b32_e32 v19, 16, v19
	v_cndmask_b32_e64 v16, v23, v24, s4
	v_cmp_u_f32_e64 s4, v13, v13
	v_or_b32_e32 v23, 0x400000, v10
	buffer_store_dword v19, off, s[0:3], s32 offset:212 ; 4-byte Folded Spill
	v_add3_u32 v19, v20, v12, 0x7fff
	v_cndmask_b32_e64 v13, v22, v27, s4
	v_or_b32_e32 v20, 0x400000, v12
	v_lshrrev_b32_e32 v16, 16, v16
	v_cmp_u_f32_e64 s4, v12, v12
	v_lshrrev_b32_e32 v13, 16, v13
	buffer_store_dword v16, off, s[0:3], s32 offset:204 ; 4-byte Folded Spill
	v_cndmask_b32_e64 v12, v19, v20, s4
	v_mul_f32_e32 v16, v26, v21
	buffer_store_dword v13, off, s[0:3], s32 offset:216 ; 4-byte Folded Spill
	v_bfe_u32 v13, v5, 16, 1
	v_or_b32_e32 v19, 0x400000, v5
	v_bfe_u32 v20, v4, 16, 1
	v_cmp_u_f32_e64 s4, v5, v5
	v_bfe_u32 v21, v16, 16, 1
	v_add3_u32 v13, v13, v5, 0x7fff
	v_or_b32_e32 v22, 0x400000, v16
	v_lshrrev_b32_e32 v12, 16, v12
	v_add3_u32 v21, v21, v16, 0x7fff
	v_cndmask_b32_e64 v5, v13, v19, s4
	v_add3_u32 v19, v20, v4, 0x7fff
	v_or_b32_e32 v20, 0x400000, v4
	v_cmp_u_f32_e64 s4, v4, v4
	v_bfe_u32 v13, v10, 16, 1
	v_lshrrev_b32_e32 v5, 16, v5
	buffer_store_dword v12, off, s[0:3], s32 offset:220 ; 4-byte Folded Spill
	v_cndmask_b32_e64 v4, v19, v20, s4
	v_cmp_u_f32_e64 s4, v16, v16
	v_add3_u32 v13, v13, v10, 0x7fff
	buffer_store_dword v5, off, s[0:3], s32 offset:228 ; 4-byte Folded Spill
	v_lshrrev_b32_e32 v4, 16, v4
	v_cndmask_b32_e64 v16, v21, v22, s4
	v_cmp_u_f32_e64 s4, v10, v10
	buffer_store_dword v4, off, s[0:3], s32 offset:224 ; 4-byte Folded Spill
	v_lshrrev_b32_e32 v4, 16, v16
	v_cndmask_b32_e64 v10, v13, v23, s4
	buffer_store_dword v4, off, s[0:3], s32 offset:200 ; 4-byte Folded Spill
	v_lshrrev_b32_e32 v4, 16, v10
	buffer_store_dword v4, off, s[0:3], s32 offset:208 ; 4-byte Folded Spill
	s_and_saveexec_b32 s12, vcc_lo
	s_cbranch_execz .LBB393_1057
; %bb.1056:                             ;   in Loop: Header=BB393_991 Depth=1
	buffer_load_dword v4, off, s[0:3], s32 offset:224 ; 4-byte Folded Reload
	v_cmp_lt_i32_e64 s4, v44, v35
	s_waitcnt vmcnt(0)
	v_cndmask_b32_e64 v4, 0, v4, s4
	v_cmp_lt_i32_e64 s4, v61, v35
	buffer_store_dword v4, off, s[0:3], s32 offset:224 ; 4-byte Folded Spill
	buffer_load_dword v4, off, s[0:3], s32 offset:228 ; 4-byte Folded Reload
	s_waitcnt vmcnt(0)
	v_cndmask_b32_e64 v4, 0, v4, s4
	v_cmp_lt_i32_e64 s4, v60, v35
	buffer_store_dword v4, off, s[0:3], s32 offset:228 ; 4-byte Folded Spill
	buffer_load_dword v4, off, s[0:3], s32 offset:220 ; 4-byte Folded Reload
	;; [unrolled: 5-line block ×7, first 2 shown]
	s_waitcnt vmcnt(0)
	v_cndmask_b32_e64 v4, 0, v4, s4
	buffer_store_dword v4, off, s[0:3], s32 offset:208 ; 4-byte Folded Spill
.LBB393_1057:                           ;   in Loop: Header=BB393_991 Depth=1
	s_or_b32 exec_lo, exec_lo, s12
	flat_load_dwordx2 v[19:20], v[17:18] offset:256
	v_mov_b32_e32 v5, 0
	v_mov_b32_e32 v4, 0
	s_waitcnt vmcnt(0) lgkmcnt(0)
	v_cmp_ne_u16_sdwa s4, v19, v11 src0_sel:BYTE_0 src1_sel:DWORD
	s_and_saveexec_b32 s12, s4
	s_cbranch_execz .LBB393_1065
; %bb.1058:                             ;   in Loop: Header=BB393_991 Depth=1
	v_cmp_ne_u16_sdwa s4, v19, v67 src0_sel:BYTE_0 src1_sel:DWORD
	v_bfrev_b32_e32 v4, 1
	s_and_saveexec_b32 s13, s4
	s_cbranch_execz .LBB393_1064
; %bb.1059:                             ;   in Loop: Header=BB393_991 Depth=1
	v_and_b32_e32 v10, 0x7f, v19
	v_mov_b32_e32 v4, 0x7f800001
	s_mov_b32 s15, exec_lo
	v_cmpx_ne_u32_e32 0x7f, v10
	s_cbranch_execz .LBB393_1063
; %bb.1060:                             ;   in Loop: Header=BB393_991 Depth=1
	v_mov_b32_e32 v24, v20
	v_lshrrev_b32_e32 v4, 3, v10
	v_mov_b32_e32 v23, v19
	s_mov_b32 s18, exec_lo
	v_cmpx_gt_u32_e32 8, v10
; %bb.1061:                             ;   in Loop: Header=BB393_991 Depth=1
	v_and_b32_e32 v4, 7, v19
	v_ffbh_u32_e32 v4, v4
	v_min_u32_e32 v4, 32, v4
	v_subrev_nc_u32_e32 v10, 28, v4
	v_sub_nc_u32_e32 v4, 29, v4
	v_lshlrev_b64 v[23:24], v10, v[19:20]
; %bb.1062:                             ;   in Loop: Header=BB393_991 Depth=1
	s_or_b32 exec_lo, exec_lo, s18
	v_lshlrev_b32_e32 v10, 20, v23
	v_lshlrev_b32_e32 v12, 24, v19
	v_lshl_add_u32 v4, v4, 23, 0x3c000000
	v_and_b32_e32 v10, 0x700000, v10
	v_and_b32_e32 v12, 0x80000000, v12
	v_or3_b32 v4, v10, v12, v4
.LBB393_1063:                           ;   in Loop: Header=BB393_991 Depth=1
	s_or_b32 exec_lo, exec_lo, s15
.LBB393_1064:                           ;   in Loop: Header=BB393_991 Depth=1
	s_or_b32 exec_lo, exec_lo, s13
.LBB393_1065:                           ;   in Loop: Header=BB393_991 Depth=1
	s_or_b32 exec_lo, exec_lo, s12
	v_cmp_ne_u16_sdwa s4, v19, v11 src0_sel:BYTE_1 src1_sel:DWORD
	s_and_saveexec_b32 s12, s4
	s_cbranch_execz .LBB393_1073
; %bb.1066:                             ;   in Loop: Header=BB393_991 Depth=1
	v_cmp_ne_u16_sdwa s4, v19, v67 src0_sel:BYTE_1 src1_sel:DWORD
	v_bfrev_b32_e32 v5, 1
	s_and_saveexec_b32 s13, s4
	s_cbranch_execz .LBB393_1072
; %bb.1067:                             ;   in Loop: Header=BB393_991 Depth=1
	v_mov_b32_e32 v5, 0xffff
	s_mov_b32 s15, exec_lo
	v_and_b32_sdwa v10, v5, v19 dst_sel:DWORD dst_unused:UNUSED_PAD src0_sel:DWORD src1_sel:BYTE_1
	v_mov_b32_e32 v5, 0x7f800001
	v_and_b32_e32 v12, 0x7f, v10
	v_cmpx_ne_u32_e32 0x7f, v12
	s_cbranch_execz .LBB393_1071
; %bb.1068:                             ;   in Loop: Header=BB393_991 Depth=1
	v_and_b32_e32 v10, 7, v10
	v_mov_b32_e32 v24, v11
	v_lshrrev_b32_e32 v5, 3, v12
	s_mov_b32 s18, exec_lo
	v_mov_b32_e32 v23, v10
	v_cmpx_gt_u32_e32 8, v12
; %bb.1069:                             ;   in Loop: Header=BB393_991 Depth=1
	v_ffbh_u32_e32 v5, v10
	v_min_u32_e32 v5, 32, v5
	v_subrev_nc_u32_e32 v12, 28, v5
	v_sub_nc_u32_e32 v5, 29, v5
	v_lshlrev_b64 v[12:13], v12, v[10:11]
	v_and_b32_e32 v23, 7, v12
; %bb.1070:                             ;   in Loop: Header=BB393_991 Depth=1
	s_or_b32 exec_lo, exec_lo, s18
	v_lshlrev_b32_e32 v10, 16, v19
	v_lshlrev_b32_e32 v12, 20, v23
	v_lshl_add_u32 v5, v5, 23, 0x3c000000
	v_and_b32_e32 v10, 0x80000000, v10
	v_or3_b32 v5, v12, v10, v5
.LBB393_1071:                           ;   in Loop: Header=BB393_991 Depth=1
	s_or_b32 exec_lo, exec_lo, s15
.LBB393_1072:                           ;   in Loop: Header=BB393_991 Depth=1
	s_or_b32 exec_lo, exec_lo, s13
.LBB393_1073:                           ;   in Loop: Header=BB393_991 Depth=1
	s_or_b32 exec_lo, exec_lo, s12
	v_and_b32_sdwa v10, v19, v69 dst_sel:DWORD dst_unused:UNUSED_PAD src0_sel:WORD_1 src1_sel:DWORD
	v_mov_b32_e32 v13, 0
	v_mov_b32_e32 v12, 0
	s_mov_b32 s12, exec_lo
	v_cmpx_ne_u16_e32 0, v10
	s_cbranch_execz .LBB393_1081
; %bb.1074:                             ;   in Loop: Header=BB393_991 Depth=1
	v_bfrev_b32_e32 v12, 1
	s_mov_b32 s13, exec_lo
	v_cmpx_ne_u16_e32 0x80, v10
	s_cbranch_execz .LBB393_1080
; %bb.1075:                             ;   in Loop: Header=BB393_991 Depth=1
	v_bfe_u32 v16, v19, 16, 7
	v_mov_b32_e32 v12, 0x7f800001
	s_mov_b32 s15, exec_lo
	v_cmpx_ne_u32_e32 0x7f, v16
	s_cbranch_execz .LBB393_1079
; %bb.1076:                             ;   in Loop: Header=BB393_991 Depth=1
	v_mov_b32_e32 v10, 7
	v_lshrrev_b32_e32 v12, 3, v16
	s_mov_b32 s18, exec_lo
	v_and_b32_sdwa v10, v19, v10 dst_sel:DWORD dst_unused:UNUSED_PAD src0_sel:WORD_1 src1_sel:DWORD
	v_mov_b32_e32 v24, v11
	v_mov_b32_e32 v23, v10
	v_cmpx_gt_u32_e32 8, v16
; %bb.1077:                             ;   in Loop: Header=BB393_991 Depth=1
	v_ffbh_u32_e32 v12, v10
	v_min_u32_e32 v12, 32, v12
	v_subrev_nc_u32_e32 v16, 28, v12
	v_sub_nc_u32_e32 v12, 29, v12
	v_lshlrev_b64 v[21:22], v16, v[10:11]
	v_and_b32_e32 v23, 7, v21
; %bb.1078:                             ;   in Loop: Header=BB393_991 Depth=1
	s_or_b32 exec_lo, exec_lo, s18
	v_mov_b32_e32 v10, 24
	v_lshlrev_b32_e32 v16, 20, v23
	v_lshl_add_u32 v12, v12, 23, 0x3c000000
	v_lshlrev_b32_sdwa v10, v10, v19 dst_sel:DWORD dst_unused:UNUSED_PAD src0_sel:DWORD src1_sel:WORD_1
	v_and_b32_e32 v10, 0x80000000, v10
	v_or3_b32 v12, v16, v10, v12
.LBB393_1079:                           ;   in Loop: Header=BB393_991 Depth=1
	s_or_b32 exec_lo, exec_lo, s15
.LBB393_1080:                           ;   in Loop: Header=BB393_991 Depth=1
	s_or_b32 exec_lo, exec_lo, s13
.LBB393_1081:                           ;   in Loop: Header=BB393_991 Depth=1
	s_or_b32 exec_lo, exec_lo, s12
	s_mov_b32 s12, exec_lo
	v_cmpx_lt_u32_e32 0xffffff, v19
	s_cbranch_execz .LBB393_1089
; %bb.1082:                             ;   in Loop: Header=BB393_991 Depth=1
	v_cmp_ne_u32_sdwa s4, v19, v67 src0_sel:BYTE_3 src1_sel:DWORD
	v_bfrev_b32_e32 v13, 1
	s_and_saveexec_b32 s13, s4
	s_cbranch_execz .LBB393_1088
; %bb.1083:                             ;   in Loop: Header=BB393_991 Depth=1
	v_bfe_u32 v16, v19, 24, 7
	v_mov_b32_e32 v13, 0x7f800001
	s_mov_b32 s15, exec_lo
	v_cmpx_ne_u32_e32 0x7f, v16
	s_cbranch_execz .LBB393_1087
; %bb.1084:                             ;   in Loop: Header=BB393_991 Depth=1
	v_mov_b32_e32 v10, 7
	v_lshrrev_b32_e32 v13, 3, v16
	s_mov_b32 s18, exec_lo
	v_and_b32_sdwa v10, v19, v10 dst_sel:DWORD dst_unused:UNUSED_PAD src0_sel:BYTE_3 src1_sel:DWORD
	v_mov_b32_e32 v24, v11
	v_mov_b32_e32 v23, v10
	v_cmpx_gt_u32_e32 8, v16
; %bb.1085:                             ;   in Loop: Header=BB393_991 Depth=1
	v_ffbh_u32_e32 v13, v10
	v_min_u32_e32 v13, 32, v13
	v_subrev_nc_u32_e32 v16, 28, v13
	v_sub_nc_u32_e32 v13, 29, v13
	v_lshlrev_b64 v[21:22], v16, v[10:11]
	v_and_b32_e32 v23, 7, v21
; %bb.1086:                             ;   in Loop: Header=BB393_991 Depth=1
	s_or_b32 exec_lo, exec_lo, s18
	v_mov_b32_e32 v10, 24
	v_lshlrev_b32_e32 v16, 20, v23
	v_lshl_add_u32 v13, v13, 23, 0x3c000000
	v_lshlrev_b32_sdwa v10, v10, v19 dst_sel:DWORD dst_unused:UNUSED_PAD src0_sel:DWORD src1_sel:BYTE_3
	v_and_b32_e32 v10, 0x80000000, v10
	v_or3_b32 v13, v16, v10, v13
.LBB393_1087:                           ;   in Loop: Header=BB393_991 Depth=1
	s_or_b32 exec_lo, exec_lo, s15
.LBB393_1088:                           ;   in Loop: Header=BB393_991 Depth=1
	s_or_b32 exec_lo, exec_lo, s13
.LBB393_1089:                           ;   in Loop: Header=BB393_991 Depth=1
	s_or_b32 exec_lo, exec_lo, s12
	v_mov_b32_e32 v10, v20
	v_cmp_ne_u16_sdwa s4, v20, v11 src0_sel:BYTE_0 src1_sel:DWORD
	v_mov_b32_e32 v21, 0
	v_mov_b32_e32 v16, 0
	s_and_saveexec_b32 s12, s4
	s_cbranch_execz .LBB393_1097
; %bb.1090:                             ;   in Loop: Header=BB393_991 Depth=1
	v_cmp_ne_u16_sdwa s4, v20, v67 src0_sel:BYTE_0 src1_sel:DWORD
	v_bfrev_b32_e32 v16, 1
	s_and_saveexec_b32 s13, s4
	s_cbranch_execz .LBB393_1096
; %bb.1091:                             ;   in Loop: Header=BB393_991 Depth=1
	v_and_b32_e32 v22, 0x7f, v20
	v_mov_b32_e32 v16, 0x7f800001
	s_mov_b32 s15, exec_lo
	v_cmpx_ne_u32_e32 0x7f, v22
	s_cbranch_execz .LBB393_1095
; %bb.1092:                             ;   in Loop: Header=BB393_991 Depth=1
	v_mov_b32_e32 v24, v11
	v_lshrrev_b32_e32 v16, 3, v22
	v_mov_b32_e32 v23, v10
	s_mov_b32 s18, exec_lo
	v_cmpx_gt_u32_e32 8, v22
; %bb.1093:                             ;   in Loop: Header=BB393_991 Depth=1
	v_and_b32_e32 v16, 7, v20
	v_ffbh_u32_e32 v16, v16
	v_min_u32_e32 v16, 32, v16
	v_subrev_nc_u32_e32 v22, 28, v16
	v_sub_nc_u32_e32 v16, 29, v16
	v_lshlrev_b64 v[23:24], v22, v[10:11]
; %bb.1094:                             ;   in Loop: Header=BB393_991 Depth=1
	s_or_b32 exec_lo, exec_lo, s18
	v_lshlrev_b32_e32 v22, 20, v23
	v_lshlrev_b32_e32 v23, 24, v10
	v_lshl_add_u32 v16, v16, 23, 0x3c000000
	v_and_b32_e32 v22, 0x700000, v22
	v_and_b32_e32 v23, 0x80000000, v23
	v_or3_b32 v16, v22, v23, v16
.LBB393_1095:                           ;   in Loop: Header=BB393_991 Depth=1
	s_or_b32 exec_lo, exec_lo, s15
.LBB393_1096:                           ;   in Loop: Header=BB393_991 Depth=1
	s_or_b32 exec_lo, exec_lo, s13
.LBB393_1097:                           ;   in Loop: Header=BB393_991 Depth=1
	s_or_b32 exec_lo, exec_lo, s12
	v_cmp_ne_u16_sdwa s4, v10, v11 src0_sel:BYTE_1 src1_sel:DWORD
	s_and_saveexec_b32 s12, s4
	s_cbranch_execz .LBB393_1105
; %bb.1098:                             ;   in Loop: Header=BB393_991 Depth=1
	v_cmp_ne_u16_sdwa s4, v10, v67 src0_sel:BYTE_1 src1_sel:DWORD
	v_bfrev_b32_e32 v21, 1
	s_and_saveexec_b32 s13, s4
	s_cbranch_execz .LBB393_1104
; %bb.1099:                             ;   in Loop: Header=BB393_991 Depth=1
	v_mov_b32_e32 v21, 0xffff
	s_mov_b32 s15, exec_lo
	v_and_b32_sdwa v23, v21, v10 dst_sel:DWORD dst_unused:UNUSED_PAD src0_sel:DWORD src1_sel:BYTE_1
	v_mov_b32_e32 v21, 0x7f800001
	v_and_b32_e32 v22, 0x7f, v23
	v_cmpx_ne_u32_e32 0x7f, v22
	s_cbranch_execz .LBB393_1103
; %bb.1100:                             ;   in Loop: Header=BB393_991 Depth=1
	v_and_b32_e32 v23, 7, v23
	v_mov_b32_e32 v24, v11
	v_lshrrev_b32_e32 v21, 3, v22
	s_mov_b32 s18, exec_lo
	v_cmpx_gt_u32_e32 8, v22
; %bb.1101:                             ;   in Loop: Header=BB393_991 Depth=1
	v_ffbh_u32_e32 v21, v23
	v_min_u32_e32 v21, 32, v21
	v_subrev_nc_u32_e32 v22, 28, v21
	v_sub_nc_u32_e32 v21, 29, v21
	v_lshlrev_b64 v[22:23], v22, v[23:24]
	v_and_b32_e32 v23, 7, v22
; %bb.1102:                             ;   in Loop: Header=BB393_991 Depth=1
	s_or_b32 exec_lo, exec_lo, s18
	v_lshlrev_b32_e32 v10, 16, v10
	v_lshlrev_b32_e32 v22, 20, v23
	v_lshl_add_u32 v21, v21, 23, 0x3c000000
	v_and_b32_e32 v10, 0x80000000, v10
	v_or3_b32 v21, v22, v10, v21
.LBB393_1103:                           ;   in Loop: Header=BB393_991 Depth=1
	s_or_b32 exec_lo, exec_lo, s15
.LBB393_1104:                           ;   in Loop: Header=BB393_991 Depth=1
	s_or_b32 exec_lo, exec_lo, s13
.LBB393_1105:                           ;   in Loop: Header=BB393_991 Depth=1
	s_or_b32 exec_lo, exec_lo, s12
	v_and_b32_sdwa v10, v20, v69 dst_sel:DWORD dst_unused:UNUSED_PAD src0_sel:WORD_1 src1_sel:DWORD
	v_mov_b32_e32 v22, 0
	v_mov_b32_e32 v25, 0
	s_mov_b32 s12, exec_lo
	v_cmpx_ne_u16_e32 0, v10
	s_cbranch_execz .LBB393_1113
; %bb.1106:                             ;   in Loop: Header=BB393_991 Depth=1
	v_bfrev_b32_e32 v25, 1
	s_mov_b32 s13, exec_lo
	v_cmpx_ne_u16_e32 0x80, v10
	s_cbranch_execz .LBB393_1112
; %bb.1107:                             ;   in Loop: Header=BB393_991 Depth=1
	v_bfe_u32 v23, v20, 16, 7
	v_mov_b32_e32 v25, 0x7f800001
	s_mov_b32 s15, exec_lo
	v_cmpx_ne_u32_e32 0x7f, v23
	s_cbranch_execz .LBB393_1111
; %bb.1108:                             ;   in Loop: Header=BB393_991 Depth=1
	v_mov_b32_e32 v10, 7
	v_lshrrev_b32_e32 v25, 3, v23
	v_cmp_gt_u32_e64 s4, 8, v23
	v_and_b32_sdwa v10, v20, v10 dst_sel:DWORD dst_unused:UNUSED_PAD src0_sel:WORD_1 src1_sel:DWORD
	v_mov_b32_e32 v24, v11
	v_mov_b32_e32 v23, v10
	s_and_saveexec_b32 s18, s4
; %bb.1109:                             ;   in Loop: Header=BB393_991 Depth=1
	v_ffbh_u32_e32 v23, v10
	v_min_u32_e32 v25, 32, v23
	v_subrev_nc_u32_e32 v23, 28, v25
	v_sub_nc_u32_e32 v25, 29, v25
	v_lshlrev_b64 v[23:24], v23, v[10:11]
	v_and_b32_e32 v23, 7, v23
; %bb.1110:                             ;   in Loop: Header=BB393_991 Depth=1
	s_or_b32 exec_lo, exec_lo, s18
	v_mov_b32_e32 v10, 24
	v_lshlrev_b32_e32 v23, 20, v23
	v_lshl_add_u32 v24, v25, 23, 0x3c000000
	v_lshlrev_b32_sdwa v10, v10, v20 dst_sel:DWORD dst_unused:UNUSED_PAD src0_sel:DWORD src1_sel:WORD_1
	v_and_b32_e32 v10, 0x80000000, v10
	v_or3_b32 v25, v23, v10, v24
.LBB393_1111:                           ;   in Loop: Header=BB393_991 Depth=1
	s_or_b32 exec_lo, exec_lo, s15
.LBB393_1112:                           ;   in Loop: Header=BB393_991 Depth=1
	s_or_b32 exec_lo, exec_lo, s13
.LBB393_1113:                           ;   in Loop: Header=BB393_991 Depth=1
	s_or_b32 exec_lo, exec_lo, s12
	s_mov_b32 s12, exec_lo
	v_cmpx_lt_u64_e64 s[8:9], v[19:20]
	s_cbranch_execz .LBB393_1121
; %bb.1114:                             ;   in Loop: Header=BB393_991 Depth=1
	v_cmp_ne_u32_sdwa s4, v20, v67 src0_sel:BYTE_3 src1_sel:DWORD
	v_bfrev_b32_e32 v22, 1
	s_and_saveexec_b32 s13, s4
	s_cbranch_execz .LBB393_1120
; %bb.1115:                             ;   in Loop: Header=BB393_991 Depth=1
	v_bfe_u32 v23, v20, 24, 7
	v_mov_b32_e32 v22, 0x7f800001
	s_mov_b32 s15, exec_lo
	v_cmpx_ne_u32_e32 0x7f, v23
	s_cbranch_execz .LBB393_1119
; %bb.1116:                             ;   in Loop: Header=BB393_991 Depth=1
	v_mov_b32_e32 v10, 7
	v_lshrrev_b32_e32 v19, 3, v23
	v_cmp_gt_u32_e64 s4, 8, v23
	v_and_b32_sdwa v10, v20, v10 dst_sel:DWORD dst_unused:UNUSED_PAD src0_sel:BYTE_3 src1_sel:DWORD
	v_mov_b32_e32 v24, v11
	v_mov_b32_e32 v23, v10
	s_and_saveexec_b32 s18, s4
; %bb.1117:                             ;   in Loop: Header=BB393_991 Depth=1
	v_ffbh_u32_e32 v19, v10
	v_min_u32_e32 v19, 32, v19
	v_subrev_nc_u32_e32 v22, 28, v19
	v_sub_nc_u32_e32 v19, 29, v19
	v_lshlrev_b64 v[22:23], v22, v[10:11]
	v_and_b32_e32 v23, 7, v22
; %bb.1118:                             ;   in Loop: Header=BB393_991 Depth=1
	s_or_b32 exec_lo, exec_lo, s18
	v_mov_b32_e32 v10, 24
	v_lshl_add_u32 v19, v19, 23, 0x3c000000
	v_lshlrev_b32_sdwa v10, v10, v20 dst_sel:DWORD dst_unused:UNUSED_PAD src0_sel:DWORD src1_sel:BYTE_3
	v_lshlrev_b32_e32 v20, 20, v23
	v_and_b32_e32 v10, 0x80000000, v10
	v_or3_b32 v22, v20, v10, v19
.LBB393_1119:                           ;   in Loop: Header=BB393_991 Depth=1
	s_or_b32 exec_lo, exec_lo, s15
.LBB393_1120:                           ;   in Loop: Header=BB393_991 Depth=1
	s_or_b32 exec_lo, exec_lo, s13
.LBB393_1121:                           ;   in Loop: Header=BB393_991 Depth=1
	s_or_b32 exec_lo, exec_lo, s12
	v_mul_f32_e32 v10, v26, v21
	v_mul_f32_e32 v16, v26, v16
	;; [unrolled: 1-line block ×5, first 2 shown]
	v_bfe_u32 v19, v10, 16, 1
	v_or_b32_e32 v20, 0x400000, v10
	v_bfe_u32 v21, v16, 16, 1
	v_cmp_u_f32_e64 s4, v10, v10
	v_or_b32_e32 v23, 0x400000, v16
	v_add3_u32 v19, v19, v10, 0x7fff
	v_bfe_u32 v24, v13, 16, 1
	v_add3_u32 v21, v21, v16, 0x7fff
	v_or_b32_e32 v27, 0x400000, v13
	v_bfe_u32 v28, v12, 16, 1
	v_cndmask_b32_e64 v10, v19, v20, s4
	v_cmp_u_f32_e64 s4, v16, v16
	v_add3_u32 v24, v24, v13, 0x7fff
	v_or_b32_e32 v19, 0x400000, v12
	v_mul_f32_e32 v4, v26, v4
	v_lshrrev_b32_e32 v10, 16, v10
	v_cndmask_b32_e64 v16, v21, v23, s4
	v_cmp_u_f32_e64 s4, v13, v13
	v_bfe_u32 v20, v4, 16, 1
	buffer_store_dword v10, off, s[0:3], s32 offset:252 ; 4-byte Folded Spill
	v_add3_u32 v10, v28, v12, 0x7fff
	v_cndmask_b32_e64 v13, v24, v27, s4
	v_lshrrev_b32_e32 v16, 16, v16
	v_cmp_u_f32_e64 s4, v12, v12
	v_mul_f32_e32 v12, v26, v25
	v_lshrrev_b32_e32 v13, 16, v13
	buffer_store_dword v16, off, s[0:3], s32 offset:244 ; 4-byte Folded Spill
	v_cndmask_b32_e64 v10, v10, v19, s4
	v_or_b32_e32 v16, 0x400000, v5
	v_cmp_u_f32_e64 s4, v5, v5
	buffer_store_dword v13, off, s[0:3], s32 offset:256 ; 4-byte Folded Spill
	v_bfe_u32 v13, v5, 16, 1
	v_mul_f32_e32 v19, v26, v22
	v_bfe_u32 v21, v12, 16, 1
	v_or_b32_e32 v22, 0x400000, v12
	v_lshrrev_b32_e32 v10, 16, v10
	v_add3_u32 v13, v13, v5, 0x7fff
	v_or_b32_e32 v23, 0x400000, v19
	v_add3_u32 v21, v21, v12, 0x7fff
	buffer_store_dword v10, off, s[0:3], s32 offset:260 ; 4-byte Folded Spill
	v_cndmask_b32_e64 v5, v13, v16, s4
	v_add3_u32 v16, v20, v4, 0x7fff
	v_or_b32_e32 v20, 0x400000, v4
	v_cmp_u_f32_e64 s4, v4, v4
	v_bfe_u32 v13, v19, 16, 1
	v_lshrrev_b32_e32 v5, 16, v5
	v_cndmask_b32_e64 v4, v16, v20, s4
	v_cmp_u_f32_e64 s4, v12, v12
	v_add3_u32 v13, v13, v19, 0x7fff
	buffer_store_dword v5, off, s[0:3], s32 offset:268 ; 4-byte Folded Spill
	v_lshrrev_b32_e32 v4, 16, v4
	v_cndmask_b32_e64 v12, v21, v22, s4
	v_cmp_u_f32_e64 s4, v19, v19
	buffer_store_dword v4, off, s[0:3], s32 offset:264 ; 4-byte Folded Spill
	v_lshrrev_b32_e32 v4, 16, v12
	v_cndmask_b32_e64 v13, v13, v23, s4
	buffer_store_dword v4, off, s[0:3], s32 offset:236 ; 4-byte Folded Spill
	v_lshrrev_b32_e32 v4, 16, v13
	buffer_store_dword v4, off, s[0:3], s32 offset:248 ; 4-byte Folded Spill
	s_and_saveexec_b32 s12, vcc_lo
	s_cbranch_execz .LBB393_1123
; %bb.1122:                             ;   in Loop: Header=BB393_991 Depth=1
	buffer_load_dword v4, off, s[0:3], s32 offset:264 ; 4-byte Folded Reload
	v_cmp_lt_i32_e64 s4, v44, v35
	s_waitcnt vmcnt(0)
	v_cndmask_b32_e64 v4, 0, v4, s4
	v_cmp_lt_i32_e64 s4, v61, v35
	buffer_store_dword v4, off, s[0:3], s32 offset:264 ; 4-byte Folded Spill
	buffer_load_dword v4, off, s[0:3], s32 offset:268 ; 4-byte Folded Reload
	s_waitcnt vmcnt(0)
	v_cndmask_b32_e64 v4, 0, v4, s4
	v_cmp_lt_i32_e64 s4, v60, v35
	buffer_store_dword v4, off, s[0:3], s32 offset:268 ; 4-byte Folded Spill
	buffer_load_dword v4, off, s[0:3], s32 offset:260 ; 4-byte Folded Reload
	;; [unrolled: 5-line block ×7, first 2 shown]
	s_waitcnt vmcnt(0)
	v_cndmask_b32_e64 v4, 0, v4, s4
	buffer_store_dword v4, off, s[0:3], s32 offset:248 ; 4-byte Folded Spill
.LBB393_1123:                           ;   in Loop: Header=BB393_991 Depth=1
	s_or_b32 exec_lo, exec_lo, s12
	flat_load_dwordx2 v[19:20], v[17:18] offset:512
	v_mov_b32_e32 v5, 0
	v_mov_b32_e32 v4, 0
	s_waitcnt vmcnt(0) lgkmcnt(0)
	v_cmp_ne_u16_sdwa s4, v19, v11 src0_sel:BYTE_0 src1_sel:DWORD
	s_and_saveexec_b32 s12, s4
	s_cbranch_execz .LBB393_1131
; %bb.1124:                             ;   in Loop: Header=BB393_991 Depth=1
	v_cmp_ne_u16_sdwa s4, v19, v67 src0_sel:BYTE_0 src1_sel:DWORD
	v_bfrev_b32_e32 v4, 1
	s_and_saveexec_b32 s13, s4
	s_cbranch_execz .LBB393_1130
; %bb.1125:                             ;   in Loop: Header=BB393_991 Depth=1
	v_and_b32_e32 v10, 0x7f, v19
	v_mov_b32_e32 v4, 0x7f800001
	s_mov_b32 s15, exec_lo
	v_cmpx_ne_u32_e32 0x7f, v10
	s_cbranch_execz .LBB393_1129
; %bb.1126:                             ;   in Loop: Header=BB393_991 Depth=1
	v_mov_b32_e32 v24, v20
	v_lshrrev_b32_e32 v4, 3, v10
	v_mov_b32_e32 v23, v19
	s_mov_b32 s18, exec_lo
	v_cmpx_gt_u32_e32 8, v10
; %bb.1127:                             ;   in Loop: Header=BB393_991 Depth=1
	v_and_b32_e32 v4, 7, v19
	v_ffbh_u32_e32 v4, v4
	v_min_u32_e32 v4, 32, v4
	v_subrev_nc_u32_e32 v10, 28, v4
	v_sub_nc_u32_e32 v4, 29, v4
	v_lshlrev_b64 v[23:24], v10, v[19:20]
; %bb.1128:                             ;   in Loop: Header=BB393_991 Depth=1
	s_or_b32 exec_lo, exec_lo, s18
	v_lshlrev_b32_e32 v10, 20, v23
	v_lshlrev_b32_e32 v12, 24, v19
	v_lshl_add_u32 v4, v4, 23, 0x3c000000
	v_and_b32_e32 v10, 0x700000, v10
	v_and_b32_e32 v12, 0x80000000, v12
	v_or3_b32 v4, v10, v12, v4
.LBB393_1129:                           ;   in Loop: Header=BB393_991 Depth=1
	s_or_b32 exec_lo, exec_lo, s15
.LBB393_1130:                           ;   in Loop: Header=BB393_991 Depth=1
	s_or_b32 exec_lo, exec_lo, s13
.LBB393_1131:                           ;   in Loop: Header=BB393_991 Depth=1
	s_or_b32 exec_lo, exec_lo, s12
	v_cmp_ne_u16_sdwa s4, v19, v11 src0_sel:BYTE_1 src1_sel:DWORD
	s_and_saveexec_b32 s12, s4
	s_cbranch_execz .LBB393_1139
; %bb.1132:                             ;   in Loop: Header=BB393_991 Depth=1
	v_cmp_ne_u16_sdwa s4, v19, v67 src0_sel:BYTE_1 src1_sel:DWORD
	v_bfrev_b32_e32 v5, 1
	s_and_saveexec_b32 s13, s4
	s_cbranch_execz .LBB393_1138
; %bb.1133:                             ;   in Loop: Header=BB393_991 Depth=1
	v_mov_b32_e32 v5, 0xffff
	s_mov_b32 s15, exec_lo
	v_and_b32_sdwa v10, v5, v19 dst_sel:DWORD dst_unused:UNUSED_PAD src0_sel:DWORD src1_sel:BYTE_1
	v_mov_b32_e32 v5, 0x7f800001
	v_and_b32_e32 v12, 0x7f, v10
	v_cmpx_ne_u32_e32 0x7f, v12
	s_cbranch_execz .LBB393_1137
; %bb.1134:                             ;   in Loop: Header=BB393_991 Depth=1
	v_and_b32_e32 v10, 7, v10
	v_mov_b32_e32 v24, v11
	v_lshrrev_b32_e32 v5, 3, v12
	s_mov_b32 s18, exec_lo
	v_mov_b32_e32 v23, v10
	v_cmpx_gt_u32_e32 8, v12
; %bb.1135:                             ;   in Loop: Header=BB393_991 Depth=1
	v_ffbh_u32_e32 v5, v10
	v_min_u32_e32 v5, 32, v5
	v_subrev_nc_u32_e32 v12, 28, v5
	v_sub_nc_u32_e32 v5, 29, v5
	v_lshlrev_b64 v[12:13], v12, v[10:11]
	v_and_b32_e32 v23, 7, v12
; %bb.1136:                             ;   in Loop: Header=BB393_991 Depth=1
	s_or_b32 exec_lo, exec_lo, s18
	v_lshlrev_b32_e32 v10, 16, v19
	v_lshlrev_b32_e32 v12, 20, v23
	v_lshl_add_u32 v5, v5, 23, 0x3c000000
	v_and_b32_e32 v10, 0x80000000, v10
	v_or3_b32 v5, v12, v10, v5
.LBB393_1137:                           ;   in Loop: Header=BB393_991 Depth=1
	s_or_b32 exec_lo, exec_lo, s15
.LBB393_1138:                           ;   in Loop: Header=BB393_991 Depth=1
	s_or_b32 exec_lo, exec_lo, s13
.LBB393_1139:                           ;   in Loop: Header=BB393_991 Depth=1
	s_or_b32 exec_lo, exec_lo, s12
	v_and_b32_sdwa v10, v19, v69 dst_sel:DWORD dst_unused:UNUSED_PAD src0_sel:WORD_1 src1_sel:DWORD
	v_mov_b32_e32 v13, 0
	v_mov_b32_e32 v12, 0
	s_mov_b32 s12, exec_lo
	v_cmpx_ne_u16_e32 0, v10
	s_cbranch_execz .LBB393_1147
; %bb.1140:                             ;   in Loop: Header=BB393_991 Depth=1
	v_bfrev_b32_e32 v12, 1
	s_mov_b32 s13, exec_lo
	v_cmpx_ne_u16_e32 0x80, v10
	s_cbranch_execz .LBB393_1146
; %bb.1141:                             ;   in Loop: Header=BB393_991 Depth=1
	v_bfe_u32 v16, v19, 16, 7
	v_mov_b32_e32 v12, 0x7f800001
	s_mov_b32 s15, exec_lo
	v_cmpx_ne_u32_e32 0x7f, v16
	s_cbranch_execz .LBB393_1145
; %bb.1142:                             ;   in Loop: Header=BB393_991 Depth=1
	v_mov_b32_e32 v10, 7
	v_lshrrev_b32_e32 v12, 3, v16
	s_mov_b32 s18, exec_lo
	v_and_b32_sdwa v10, v19, v10 dst_sel:DWORD dst_unused:UNUSED_PAD src0_sel:WORD_1 src1_sel:DWORD
	v_mov_b32_e32 v24, v11
	v_mov_b32_e32 v23, v10
	v_cmpx_gt_u32_e32 8, v16
; %bb.1143:                             ;   in Loop: Header=BB393_991 Depth=1
	v_ffbh_u32_e32 v12, v10
	v_min_u32_e32 v12, 32, v12
	v_subrev_nc_u32_e32 v16, 28, v12
	v_sub_nc_u32_e32 v12, 29, v12
	v_lshlrev_b64 v[21:22], v16, v[10:11]
	v_and_b32_e32 v23, 7, v21
; %bb.1144:                             ;   in Loop: Header=BB393_991 Depth=1
	s_or_b32 exec_lo, exec_lo, s18
	v_mov_b32_e32 v10, 24
	v_lshlrev_b32_e32 v16, 20, v23
	v_lshl_add_u32 v12, v12, 23, 0x3c000000
	v_lshlrev_b32_sdwa v10, v10, v19 dst_sel:DWORD dst_unused:UNUSED_PAD src0_sel:DWORD src1_sel:WORD_1
	v_and_b32_e32 v10, 0x80000000, v10
	v_or3_b32 v12, v16, v10, v12
.LBB393_1145:                           ;   in Loop: Header=BB393_991 Depth=1
	s_or_b32 exec_lo, exec_lo, s15
.LBB393_1146:                           ;   in Loop: Header=BB393_991 Depth=1
	s_or_b32 exec_lo, exec_lo, s13
.LBB393_1147:                           ;   in Loop: Header=BB393_991 Depth=1
	s_or_b32 exec_lo, exec_lo, s12
	s_mov_b32 s12, exec_lo
	v_cmpx_lt_u32_e32 0xffffff, v19
	s_cbranch_execz .LBB393_1155
; %bb.1148:                             ;   in Loop: Header=BB393_991 Depth=1
	v_cmp_ne_u32_sdwa s4, v19, v67 src0_sel:BYTE_3 src1_sel:DWORD
	v_bfrev_b32_e32 v13, 1
	s_and_saveexec_b32 s13, s4
	s_cbranch_execz .LBB393_1154
; %bb.1149:                             ;   in Loop: Header=BB393_991 Depth=1
	v_bfe_u32 v16, v19, 24, 7
	v_mov_b32_e32 v13, 0x7f800001
	s_mov_b32 s15, exec_lo
	v_cmpx_ne_u32_e32 0x7f, v16
	s_cbranch_execz .LBB393_1153
; %bb.1150:                             ;   in Loop: Header=BB393_991 Depth=1
	v_mov_b32_e32 v10, 7
	v_lshrrev_b32_e32 v13, 3, v16
	s_mov_b32 s18, exec_lo
	v_and_b32_sdwa v10, v19, v10 dst_sel:DWORD dst_unused:UNUSED_PAD src0_sel:BYTE_3 src1_sel:DWORD
	v_mov_b32_e32 v24, v11
	v_mov_b32_e32 v23, v10
	v_cmpx_gt_u32_e32 8, v16
; %bb.1151:                             ;   in Loop: Header=BB393_991 Depth=1
	v_ffbh_u32_e32 v13, v10
	v_min_u32_e32 v13, 32, v13
	v_subrev_nc_u32_e32 v16, 28, v13
	v_sub_nc_u32_e32 v13, 29, v13
	v_lshlrev_b64 v[21:22], v16, v[10:11]
	v_and_b32_e32 v23, 7, v21
; %bb.1152:                             ;   in Loop: Header=BB393_991 Depth=1
	s_or_b32 exec_lo, exec_lo, s18
	v_mov_b32_e32 v10, 24
	v_lshlrev_b32_e32 v16, 20, v23
	v_lshl_add_u32 v13, v13, 23, 0x3c000000
	v_lshlrev_b32_sdwa v10, v10, v19 dst_sel:DWORD dst_unused:UNUSED_PAD src0_sel:DWORD src1_sel:BYTE_3
	v_and_b32_e32 v10, 0x80000000, v10
	v_or3_b32 v13, v16, v10, v13
.LBB393_1153:                           ;   in Loop: Header=BB393_991 Depth=1
	s_or_b32 exec_lo, exec_lo, s15
.LBB393_1154:                           ;   in Loop: Header=BB393_991 Depth=1
	s_or_b32 exec_lo, exec_lo, s13
.LBB393_1155:                           ;   in Loop: Header=BB393_991 Depth=1
	s_or_b32 exec_lo, exec_lo, s12
	v_mov_b32_e32 v10, v20
	v_cmp_ne_u16_sdwa s4, v20, v11 src0_sel:BYTE_0 src1_sel:DWORD
	v_mov_b32_e32 v21, 0
	v_mov_b32_e32 v16, 0
	s_and_saveexec_b32 s12, s4
	s_cbranch_execz .LBB393_1163
; %bb.1156:                             ;   in Loop: Header=BB393_991 Depth=1
	v_cmp_ne_u16_sdwa s4, v20, v67 src0_sel:BYTE_0 src1_sel:DWORD
	v_bfrev_b32_e32 v16, 1
	s_and_saveexec_b32 s13, s4
	s_cbranch_execz .LBB393_1162
; %bb.1157:                             ;   in Loop: Header=BB393_991 Depth=1
	v_and_b32_e32 v22, 0x7f, v20
	v_mov_b32_e32 v16, 0x7f800001
	s_mov_b32 s15, exec_lo
	v_cmpx_ne_u32_e32 0x7f, v22
	s_cbranch_execz .LBB393_1161
; %bb.1158:                             ;   in Loop: Header=BB393_991 Depth=1
	v_mov_b32_e32 v24, v11
	v_lshrrev_b32_e32 v16, 3, v22
	v_mov_b32_e32 v23, v10
	s_mov_b32 s18, exec_lo
	v_cmpx_gt_u32_e32 8, v22
; %bb.1159:                             ;   in Loop: Header=BB393_991 Depth=1
	v_and_b32_e32 v16, 7, v20
	v_ffbh_u32_e32 v16, v16
	v_min_u32_e32 v16, 32, v16
	v_subrev_nc_u32_e32 v22, 28, v16
	v_sub_nc_u32_e32 v16, 29, v16
	v_lshlrev_b64 v[23:24], v22, v[10:11]
; %bb.1160:                             ;   in Loop: Header=BB393_991 Depth=1
	s_or_b32 exec_lo, exec_lo, s18
	v_lshlrev_b32_e32 v22, 20, v23
	v_lshlrev_b32_e32 v23, 24, v10
	v_lshl_add_u32 v16, v16, 23, 0x3c000000
	v_and_b32_e32 v22, 0x700000, v22
	v_and_b32_e32 v23, 0x80000000, v23
	v_or3_b32 v16, v22, v23, v16
.LBB393_1161:                           ;   in Loop: Header=BB393_991 Depth=1
	s_or_b32 exec_lo, exec_lo, s15
.LBB393_1162:                           ;   in Loop: Header=BB393_991 Depth=1
	s_or_b32 exec_lo, exec_lo, s13
.LBB393_1163:                           ;   in Loop: Header=BB393_991 Depth=1
	s_or_b32 exec_lo, exec_lo, s12
	v_cmp_ne_u16_sdwa s4, v10, v11 src0_sel:BYTE_1 src1_sel:DWORD
	s_and_saveexec_b32 s12, s4
	s_cbranch_execz .LBB393_1171
; %bb.1164:                             ;   in Loop: Header=BB393_991 Depth=1
	v_cmp_ne_u16_sdwa s4, v10, v67 src0_sel:BYTE_1 src1_sel:DWORD
	v_bfrev_b32_e32 v21, 1
	s_and_saveexec_b32 s13, s4
	s_cbranch_execz .LBB393_1170
; %bb.1165:                             ;   in Loop: Header=BB393_991 Depth=1
	v_mov_b32_e32 v21, 0xffff
	s_mov_b32 s15, exec_lo
	v_and_b32_sdwa v23, v21, v10 dst_sel:DWORD dst_unused:UNUSED_PAD src0_sel:DWORD src1_sel:BYTE_1
	v_mov_b32_e32 v21, 0x7f800001
	v_and_b32_e32 v22, 0x7f, v23
	v_cmpx_ne_u32_e32 0x7f, v22
	s_cbranch_execz .LBB393_1169
; %bb.1166:                             ;   in Loop: Header=BB393_991 Depth=1
	v_and_b32_e32 v23, 7, v23
	v_mov_b32_e32 v24, v11
	v_lshrrev_b32_e32 v21, 3, v22
	s_mov_b32 s18, exec_lo
	v_cmpx_gt_u32_e32 8, v22
; %bb.1167:                             ;   in Loop: Header=BB393_991 Depth=1
	v_ffbh_u32_e32 v21, v23
	v_min_u32_e32 v21, 32, v21
	v_subrev_nc_u32_e32 v22, 28, v21
	v_sub_nc_u32_e32 v21, 29, v21
	v_lshlrev_b64 v[22:23], v22, v[23:24]
	v_and_b32_e32 v23, 7, v22
; %bb.1168:                             ;   in Loop: Header=BB393_991 Depth=1
	s_or_b32 exec_lo, exec_lo, s18
	v_lshlrev_b32_e32 v10, 16, v10
	v_lshlrev_b32_e32 v22, 20, v23
	v_lshl_add_u32 v21, v21, 23, 0x3c000000
	v_and_b32_e32 v10, 0x80000000, v10
	v_or3_b32 v21, v22, v10, v21
.LBB393_1169:                           ;   in Loop: Header=BB393_991 Depth=1
	s_or_b32 exec_lo, exec_lo, s15
.LBB393_1170:                           ;   in Loop: Header=BB393_991 Depth=1
	s_or_b32 exec_lo, exec_lo, s13
.LBB393_1171:                           ;   in Loop: Header=BB393_991 Depth=1
	s_or_b32 exec_lo, exec_lo, s12
	v_and_b32_sdwa v10, v20, v69 dst_sel:DWORD dst_unused:UNUSED_PAD src0_sel:WORD_1 src1_sel:DWORD
	v_mov_b32_e32 v22, 0
	v_mov_b32_e32 v25, 0
	s_mov_b32 s12, exec_lo
	v_cmpx_ne_u16_e32 0, v10
	s_cbranch_execz .LBB393_1179
; %bb.1172:                             ;   in Loop: Header=BB393_991 Depth=1
	v_bfrev_b32_e32 v25, 1
	s_mov_b32 s13, exec_lo
	v_cmpx_ne_u16_e32 0x80, v10
	s_cbranch_execz .LBB393_1178
; %bb.1173:                             ;   in Loop: Header=BB393_991 Depth=1
	v_bfe_u32 v23, v20, 16, 7
	v_mov_b32_e32 v25, 0x7f800001
	s_mov_b32 s15, exec_lo
	v_cmpx_ne_u32_e32 0x7f, v23
	s_cbranch_execz .LBB393_1177
; %bb.1174:                             ;   in Loop: Header=BB393_991 Depth=1
	v_mov_b32_e32 v10, 7
	v_lshrrev_b32_e32 v25, 3, v23
	v_cmp_gt_u32_e64 s4, 8, v23
	v_and_b32_sdwa v10, v20, v10 dst_sel:DWORD dst_unused:UNUSED_PAD src0_sel:WORD_1 src1_sel:DWORD
	v_mov_b32_e32 v24, v11
	v_mov_b32_e32 v23, v10
	s_and_saveexec_b32 s18, s4
; %bb.1175:                             ;   in Loop: Header=BB393_991 Depth=1
	v_ffbh_u32_e32 v23, v10
	v_min_u32_e32 v25, 32, v23
	v_subrev_nc_u32_e32 v23, 28, v25
	v_sub_nc_u32_e32 v25, 29, v25
	v_lshlrev_b64 v[23:24], v23, v[10:11]
	v_and_b32_e32 v23, 7, v23
; %bb.1176:                             ;   in Loop: Header=BB393_991 Depth=1
	s_or_b32 exec_lo, exec_lo, s18
	v_mov_b32_e32 v10, 24
	v_lshlrev_b32_e32 v23, 20, v23
	v_lshl_add_u32 v24, v25, 23, 0x3c000000
	v_lshlrev_b32_sdwa v10, v10, v20 dst_sel:DWORD dst_unused:UNUSED_PAD src0_sel:DWORD src1_sel:WORD_1
	v_and_b32_e32 v10, 0x80000000, v10
	v_or3_b32 v25, v23, v10, v24
.LBB393_1177:                           ;   in Loop: Header=BB393_991 Depth=1
	s_or_b32 exec_lo, exec_lo, s15
.LBB393_1178:                           ;   in Loop: Header=BB393_991 Depth=1
	s_or_b32 exec_lo, exec_lo, s13
.LBB393_1179:                           ;   in Loop: Header=BB393_991 Depth=1
	s_or_b32 exec_lo, exec_lo, s12
	s_mov_b32 s12, exec_lo
	v_cmpx_lt_u64_e64 s[8:9], v[19:20]
	s_cbranch_execz .LBB393_1187
; %bb.1180:                             ;   in Loop: Header=BB393_991 Depth=1
	v_cmp_ne_u32_sdwa s4, v20, v67 src0_sel:BYTE_3 src1_sel:DWORD
	v_bfrev_b32_e32 v22, 1
	s_and_saveexec_b32 s13, s4
	s_cbranch_execz .LBB393_1186
; %bb.1181:                             ;   in Loop: Header=BB393_991 Depth=1
	v_bfe_u32 v23, v20, 24, 7
	v_mov_b32_e32 v22, 0x7f800001
	s_mov_b32 s15, exec_lo
	v_cmpx_ne_u32_e32 0x7f, v23
	s_cbranch_execz .LBB393_1185
; %bb.1182:                             ;   in Loop: Header=BB393_991 Depth=1
	v_mov_b32_e32 v10, 7
	v_lshrrev_b32_e32 v19, 3, v23
	v_cmp_gt_u32_e64 s4, 8, v23
	v_and_b32_sdwa v10, v20, v10 dst_sel:DWORD dst_unused:UNUSED_PAD src0_sel:BYTE_3 src1_sel:DWORD
	v_mov_b32_e32 v24, v11
	v_mov_b32_e32 v23, v10
	s_and_saveexec_b32 s18, s4
; %bb.1183:                             ;   in Loop: Header=BB393_991 Depth=1
	v_ffbh_u32_e32 v19, v10
	v_min_u32_e32 v19, 32, v19
	v_subrev_nc_u32_e32 v22, 28, v19
	v_sub_nc_u32_e32 v19, 29, v19
	v_lshlrev_b64 v[22:23], v22, v[10:11]
	v_and_b32_e32 v23, 7, v22
; %bb.1184:                             ;   in Loop: Header=BB393_991 Depth=1
	s_or_b32 exec_lo, exec_lo, s18
	v_mov_b32_e32 v10, 24
	v_lshl_add_u32 v19, v19, 23, 0x3c000000
	v_lshlrev_b32_sdwa v10, v10, v20 dst_sel:DWORD dst_unused:UNUSED_PAD src0_sel:DWORD src1_sel:BYTE_3
	v_lshlrev_b32_e32 v20, 20, v23
	v_and_b32_e32 v10, 0x80000000, v10
	v_or3_b32 v22, v20, v10, v19
.LBB393_1185:                           ;   in Loop: Header=BB393_991 Depth=1
	s_or_b32 exec_lo, exec_lo, s15
.LBB393_1186:                           ;   in Loop: Header=BB393_991 Depth=1
	s_or_b32 exec_lo, exec_lo, s13
.LBB393_1187:                           ;   in Loop: Header=BB393_991 Depth=1
	s_or_b32 exec_lo, exec_lo, s12
	v_mul_f32_e32 v10, v26, v21
	v_mul_f32_e32 v16, v26, v16
	;; [unrolled: 1-line block ×5, first 2 shown]
	v_bfe_u32 v19, v10, 16, 1
	v_or_b32_e32 v20, 0x400000, v10
	v_bfe_u32 v21, v16, 16, 1
	v_cmp_u_f32_e64 s4, v10, v10
	v_or_b32_e32 v23, 0x400000, v16
	v_add3_u32 v19, v19, v10, 0x7fff
	v_bfe_u32 v24, v13, 16, 1
	v_add3_u32 v21, v21, v16, 0x7fff
	v_or_b32_e32 v27, 0x400000, v13
	v_bfe_u32 v28, v12, 16, 1
	v_cndmask_b32_e64 v10, v19, v20, s4
	v_cmp_u_f32_e64 s4, v16, v16
	v_add3_u32 v24, v24, v13, 0x7fff
	v_or_b32_e32 v19, 0x400000, v12
	v_mul_f32_e32 v4, v26, v4
	v_lshrrev_b32_e32 v10, 16, v10
	v_cndmask_b32_e64 v16, v21, v23, s4
	v_cmp_u_f32_e64 s4, v13, v13
	v_bfe_u32 v20, v4, 16, 1
	buffer_store_dword v10, off, s[0:3], s32 offset:284 ; 4-byte Folded Spill
	v_add3_u32 v10, v28, v12, 0x7fff
	v_cndmask_b32_e64 v13, v24, v27, s4
	v_lshrrev_b32_e32 v16, 16, v16
	v_cmp_u_f32_e64 s4, v12, v12
	v_mul_f32_e32 v12, v26, v25
	v_lshrrev_b32_e32 v13, 16, v13
	buffer_store_dword v16, off, s[0:3], s32 offset:276 ; 4-byte Folded Spill
	v_cndmask_b32_e64 v10, v10, v19, s4
	v_or_b32_e32 v16, 0x400000, v5
	v_cmp_u_f32_e64 s4, v5, v5
	buffer_store_dword v13, off, s[0:3], s32 offset:288 ; 4-byte Folded Spill
	v_bfe_u32 v13, v5, 16, 1
	v_mul_f32_e32 v19, v26, v22
	v_bfe_u32 v21, v12, 16, 1
	v_or_b32_e32 v22, 0x400000, v12
	v_lshrrev_b32_e32 v10, 16, v10
	v_add3_u32 v13, v13, v5, 0x7fff
	v_or_b32_e32 v23, 0x400000, v19
	v_add3_u32 v21, v21, v12, 0x7fff
	buffer_store_dword v10, off, s[0:3], s32 offset:292 ; 4-byte Folded Spill
	v_cndmask_b32_e64 v5, v13, v16, s4
	v_add3_u32 v16, v20, v4, 0x7fff
	v_or_b32_e32 v20, 0x400000, v4
	v_cmp_u_f32_e64 s4, v4, v4
	v_bfe_u32 v13, v19, 16, 1
	v_lshrrev_b32_e32 v5, 16, v5
	v_cndmask_b32_e64 v4, v16, v20, s4
	v_cmp_u_f32_e64 s4, v12, v12
	v_add3_u32 v13, v13, v19, 0x7fff
	buffer_store_dword v5, off, s[0:3], s32 offset:300 ; 4-byte Folded Spill
	v_lshrrev_b32_e32 v4, 16, v4
	v_cndmask_b32_e64 v12, v21, v22, s4
	v_cmp_u_f32_e64 s4, v19, v19
	buffer_store_dword v4, off, s[0:3], s32 offset:296 ; 4-byte Folded Spill
	v_lshrrev_b32_e32 v4, 16, v12
	v_cndmask_b32_e64 v13, v13, v23, s4
	buffer_store_dword v4, off, s[0:3], s32 offset:272 ; 4-byte Folded Spill
	v_lshrrev_b32_e32 v4, 16, v13
	buffer_store_dword v4, off, s[0:3], s32 offset:280 ; 4-byte Folded Spill
	s_and_saveexec_b32 s12, vcc_lo
	s_cbranch_execz .LBB393_1189
; %bb.1188:                             ;   in Loop: Header=BB393_991 Depth=1
	buffer_load_dword v4, off, s[0:3], s32 offset:296 ; 4-byte Folded Reload
	v_cmp_lt_i32_e64 s4, v44, v35
	s_waitcnt vmcnt(0)
	v_cndmask_b32_e64 v4, 0, v4, s4
	v_cmp_lt_i32_e64 s4, v61, v35
	buffer_store_dword v4, off, s[0:3], s32 offset:296 ; 4-byte Folded Spill
	buffer_load_dword v4, off, s[0:3], s32 offset:300 ; 4-byte Folded Reload
	s_waitcnt vmcnt(0)
	v_cndmask_b32_e64 v4, 0, v4, s4
	v_cmp_lt_i32_e64 s4, v60, v35
	buffer_store_dword v4, off, s[0:3], s32 offset:300 ; 4-byte Folded Spill
	buffer_load_dword v4, off, s[0:3], s32 offset:292 ; 4-byte Folded Reload
	;; [unrolled: 5-line block ×7, first 2 shown]
	s_waitcnt vmcnt(0)
	v_cndmask_b32_e64 v4, 0, v4, s4
	buffer_store_dword v4, off, s[0:3], s32 offset:280 ; 4-byte Folded Spill
.LBB393_1189:                           ;   in Loop: Header=BB393_991 Depth=1
	s_or_b32 exec_lo, exec_lo, s12
	flat_load_dwordx2 v[19:20], v[17:18] offset:768
	v_mov_b32_e32 v5, 0
	v_mov_b32_e32 v4, 0
	s_waitcnt vmcnt(0) lgkmcnt(0)
	v_cmp_ne_u16_sdwa s4, v19, v11 src0_sel:BYTE_0 src1_sel:DWORD
	s_and_saveexec_b32 s12, s4
	s_cbranch_execz .LBB393_1197
; %bb.1190:                             ;   in Loop: Header=BB393_991 Depth=1
	v_cmp_ne_u16_sdwa s4, v19, v67 src0_sel:BYTE_0 src1_sel:DWORD
	v_bfrev_b32_e32 v4, 1
	s_and_saveexec_b32 s13, s4
	s_cbranch_execz .LBB393_1196
; %bb.1191:                             ;   in Loop: Header=BB393_991 Depth=1
	v_and_b32_e32 v10, 0x7f, v19
	v_mov_b32_e32 v4, 0x7f800001
	s_mov_b32 s15, exec_lo
	v_cmpx_ne_u32_e32 0x7f, v10
	s_cbranch_execz .LBB393_1195
; %bb.1192:                             ;   in Loop: Header=BB393_991 Depth=1
	v_mov_b32_e32 v24, v20
	v_lshrrev_b32_e32 v4, 3, v10
	v_mov_b32_e32 v23, v19
	s_mov_b32 s18, exec_lo
	v_cmpx_gt_u32_e32 8, v10
; %bb.1193:                             ;   in Loop: Header=BB393_991 Depth=1
	v_and_b32_e32 v4, 7, v19
	v_ffbh_u32_e32 v4, v4
	v_min_u32_e32 v4, 32, v4
	v_subrev_nc_u32_e32 v10, 28, v4
	v_sub_nc_u32_e32 v4, 29, v4
	v_lshlrev_b64 v[23:24], v10, v[19:20]
; %bb.1194:                             ;   in Loop: Header=BB393_991 Depth=1
	s_or_b32 exec_lo, exec_lo, s18
	v_lshlrev_b32_e32 v10, 20, v23
	v_lshlrev_b32_e32 v12, 24, v19
	v_lshl_add_u32 v4, v4, 23, 0x3c000000
	v_and_b32_e32 v10, 0x700000, v10
	v_and_b32_e32 v12, 0x80000000, v12
	v_or3_b32 v4, v10, v12, v4
.LBB393_1195:                           ;   in Loop: Header=BB393_991 Depth=1
	s_or_b32 exec_lo, exec_lo, s15
.LBB393_1196:                           ;   in Loop: Header=BB393_991 Depth=1
	s_or_b32 exec_lo, exec_lo, s13
.LBB393_1197:                           ;   in Loop: Header=BB393_991 Depth=1
	s_or_b32 exec_lo, exec_lo, s12
	v_cmp_ne_u16_sdwa s4, v19, v11 src0_sel:BYTE_1 src1_sel:DWORD
	s_and_saveexec_b32 s12, s4
	s_cbranch_execz .LBB393_1205
; %bb.1198:                             ;   in Loop: Header=BB393_991 Depth=1
	v_cmp_ne_u16_sdwa s4, v19, v67 src0_sel:BYTE_1 src1_sel:DWORD
	v_bfrev_b32_e32 v5, 1
	s_and_saveexec_b32 s13, s4
	s_cbranch_execz .LBB393_1204
; %bb.1199:                             ;   in Loop: Header=BB393_991 Depth=1
	v_mov_b32_e32 v5, 0xffff
	s_mov_b32 s15, exec_lo
	v_and_b32_sdwa v10, v5, v19 dst_sel:DWORD dst_unused:UNUSED_PAD src0_sel:DWORD src1_sel:BYTE_1
	v_mov_b32_e32 v5, 0x7f800001
	v_and_b32_e32 v12, 0x7f, v10
	v_cmpx_ne_u32_e32 0x7f, v12
	s_cbranch_execz .LBB393_1203
; %bb.1200:                             ;   in Loop: Header=BB393_991 Depth=1
	v_and_b32_e32 v10, 7, v10
	v_mov_b32_e32 v24, v11
	v_lshrrev_b32_e32 v5, 3, v12
	s_mov_b32 s18, exec_lo
	v_mov_b32_e32 v23, v10
	v_cmpx_gt_u32_e32 8, v12
; %bb.1201:                             ;   in Loop: Header=BB393_991 Depth=1
	v_ffbh_u32_e32 v5, v10
	v_min_u32_e32 v5, 32, v5
	v_subrev_nc_u32_e32 v12, 28, v5
	v_sub_nc_u32_e32 v5, 29, v5
	v_lshlrev_b64 v[12:13], v12, v[10:11]
	v_and_b32_e32 v23, 7, v12
; %bb.1202:                             ;   in Loop: Header=BB393_991 Depth=1
	s_or_b32 exec_lo, exec_lo, s18
	v_lshlrev_b32_e32 v10, 16, v19
	v_lshlrev_b32_e32 v12, 20, v23
	v_lshl_add_u32 v5, v5, 23, 0x3c000000
	v_and_b32_e32 v10, 0x80000000, v10
	v_or3_b32 v5, v12, v10, v5
.LBB393_1203:                           ;   in Loop: Header=BB393_991 Depth=1
	s_or_b32 exec_lo, exec_lo, s15
.LBB393_1204:                           ;   in Loop: Header=BB393_991 Depth=1
	s_or_b32 exec_lo, exec_lo, s13
.LBB393_1205:                           ;   in Loop: Header=BB393_991 Depth=1
	s_or_b32 exec_lo, exec_lo, s12
	v_and_b32_sdwa v10, v19, v69 dst_sel:DWORD dst_unused:UNUSED_PAD src0_sel:WORD_1 src1_sel:DWORD
	v_mov_b32_e32 v13, 0
	v_mov_b32_e32 v12, 0
	s_mov_b32 s12, exec_lo
	v_cmpx_ne_u16_e32 0, v10
	s_cbranch_execz .LBB393_1213
; %bb.1206:                             ;   in Loop: Header=BB393_991 Depth=1
	v_bfrev_b32_e32 v12, 1
	s_mov_b32 s13, exec_lo
	v_cmpx_ne_u16_e32 0x80, v10
	s_cbranch_execz .LBB393_1212
; %bb.1207:                             ;   in Loop: Header=BB393_991 Depth=1
	v_bfe_u32 v16, v19, 16, 7
	v_mov_b32_e32 v12, 0x7f800001
	s_mov_b32 s15, exec_lo
	v_cmpx_ne_u32_e32 0x7f, v16
	s_cbranch_execz .LBB393_1211
; %bb.1208:                             ;   in Loop: Header=BB393_991 Depth=1
	v_mov_b32_e32 v10, 7
	v_lshrrev_b32_e32 v12, 3, v16
	s_mov_b32 s18, exec_lo
	v_and_b32_sdwa v10, v19, v10 dst_sel:DWORD dst_unused:UNUSED_PAD src0_sel:WORD_1 src1_sel:DWORD
	v_mov_b32_e32 v24, v11
	v_mov_b32_e32 v23, v10
	v_cmpx_gt_u32_e32 8, v16
; %bb.1209:                             ;   in Loop: Header=BB393_991 Depth=1
	v_ffbh_u32_e32 v12, v10
	v_min_u32_e32 v12, 32, v12
	v_subrev_nc_u32_e32 v16, 28, v12
	v_sub_nc_u32_e32 v12, 29, v12
	v_lshlrev_b64 v[21:22], v16, v[10:11]
	v_and_b32_e32 v23, 7, v21
; %bb.1210:                             ;   in Loop: Header=BB393_991 Depth=1
	s_or_b32 exec_lo, exec_lo, s18
	v_mov_b32_e32 v10, 24
	v_lshlrev_b32_e32 v16, 20, v23
	v_lshl_add_u32 v12, v12, 23, 0x3c000000
	v_lshlrev_b32_sdwa v10, v10, v19 dst_sel:DWORD dst_unused:UNUSED_PAD src0_sel:DWORD src1_sel:WORD_1
	v_and_b32_e32 v10, 0x80000000, v10
	v_or3_b32 v12, v16, v10, v12
.LBB393_1211:                           ;   in Loop: Header=BB393_991 Depth=1
	s_or_b32 exec_lo, exec_lo, s15
.LBB393_1212:                           ;   in Loop: Header=BB393_991 Depth=1
	s_or_b32 exec_lo, exec_lo, s13
.LBB393_1213:                           ;   in Loop: Header=BB393_991 Depth=1
	s_or_b32 exec_lo, exec_lo, s12
	s_mov_b32 s12, exec_lo
	v_cmpx_lt_u32_e32 0xffffff, v19
	s_cbranch_execz .LBB393_1221
; %bb.1214:                             ;   in Loop: Header=BB393_991 Depth=1
	v_cmp_ne_u32_sdwa s4, v19, v67 src0_sel:BYTE_3 src1_sel:DWORD
	v_bfrev_b32_e32 v13, 1
	s_and_saveexec_b32 s13, s4
	s_cbranch_execz .LBB393_1220
; %bb.1215:                             ;   in Loop: Header=BB393_991 Depth=1
	v_bfe_u32 v16, v19, 24, 7
	v_mov_b32_e32 v13, 0x7f800001
	s_mov_b32 s15, exec_lo
	v_cmpx_ne_u32_e32 0x7f, v16
	s_cbranch_execz .LBB393_1219
; %bb.1216:                             ;   in Loop: Header=BB393_991 Depth=1
	v_mov_b32_e32 v10, 7
	v_lshrrev_b32_e32 v13, 3, v16
	s_mov_b32 s18, exec_lo
	v_and_b32_sdwa v10, v19, v10 dst_sel:DWORD dst_unused:UNUSED_PAD src0_sel:BYTE_3 src1_sel:DWORD
	v_mov_b32_e32 v24, v11
	v_mov_b32_e32 v23, v10
	v_cmpx_gt_u32_e32 8, v16
; %bb.1217:                             ;   in Loop: Header=BB393_991 Depth=1
	v_ffbh_u32_e32 v13, v10
	v_min_u32_e32 v13, 32, v13
	v_subrev_nc_u32_e32 v16, 28, v13
	v_sub_nc_u32_e32 v13, 29, v13
	v_lshlrev_b64 v[21:22], v16, v[10:11]
	v_and_b32_e32 v23, 7, v21
; %bb.1218:                             ;   in Loop: Header=BB393_991 Depth=1
	s_or_b32 exec_lo, exec_lo, s18
	v_mov_b32_e32 v10, 24
	v_lshlrev_b32_e32 v16, 20, v23
	v_lshl_add_u32 v13, v13, 23, 0x3c000000
	v_lshlrev_b32_sdwa v10, v10, v19 dst_sel:DWORD dst_unused:UNUSED_PAD src0_sel:DWORD src1_sel:BYTE_3
	v_and_b32_e32 v10, 0x80000000, v10
	v_or3_b32 v13, v16, v10, v13
.LBB393_1219:                           ;   in Loop: Header=BB393_991 Depth=1
	s_or_b32 exec_lo, exec_lo, s15
.LBB393_1220:                           ;   in Loop: Header=BB393_991 Depth=1
	s_or_b32 exec_lo, exec_lo, s13
.LBB393_1221:                           ;   in Loop: Header=BB393_991 Depth=1
	s_or_b32 exec_lo, exec_lo, s12
	v_mov_b32_e32 v10, v20
	v_cmp_ne_u16_sdwa s4, v20, v11 src0_sel:BYTE_0 src1_sel:DWORD
	v_mov_b32_e32 v21, 0
	v_mov_b32_e32 v16, 0
	s_and_saveexec_b32 s12, s4
	s_cbranch_execz .LBB393_1229
; %bb.1222:                             ;   in Loop: Header=BB393_991 Depth=1
	v_cmp_ne_u16_sdwa s4, v20, v67 src0_sel:BYTE_0 src1_sel:DWORD
	v_bfrev_b32_e32 v16, 1
	s_and_saveexec_b32 s13, s4
	s_cbranch_execz .LBB393_1228
; %bb.1223:                             ;   in Loop: Header=BB393_991 Depth=1
	v_and_b32_e32 v22, 0x7f, v20
	v_mov_b32_e32 v16, 0x7f800001
	s_mov_b32 s15, exec_lo
	v_cmpx_ne_u32_e32 0x7f, v22
	s_cbranch_execz .LBB393_1227
; %bb.1224:                             ;   in Loop: Header=BB393_991 Depth=1
	v_mov_b32_e32 v24, v11
	v_lshrrev_b32_e32 v16, 3, v22
	v_mov_b32_e32 v23, v10
	s_mov_b32 s18, exec_lo
	v_cmpx_gt_u32_e32 8, v22
; %bb.1225:                             ;   in Loop: Header=BB393_991 Depth=1
	v_and_b32_e32 v16, 7, v20
	v_ffbh_u32_e32 v16, v16
	v_min_u32_e32 v16, 32, v16
	v_subrev_nc_u32_e32 v22, 28, v16
	v_sub_nc_u32_e32 v16, 29, v16
	v_lshlrev_b64 v[23:24], v22, v[10:11]
; %bb.1226:                             ;   in Loop: Header=BB393_991 Depth=1
	s_or_b32 exec_lo, exec_lo, s18
	v_lshlrev_b32_e32 v22, 20, v23
	v_lshlrev_b32_e32 v23, 24, v10
	v_lshl_add_u32 v16, v16, 23, 0x3c000000
	v_and_b32_e32 v22, 0x700000, v22
	v_and_b32_e32 v23, 0x80000000, v23
	v_or3_b32 v16, v22, v23, v16
.LBB393_1227:                           ;   in Loop: Header=BB393_991 Depth=1
	s_or_b32 exec_lo, exec_lo, s15
.LBB393_1228:                           ;   in Loop: Header=BB393_991 Depth=1
	s_or_b32 exec_lo, exec_lo, s13
.LBB393_1229:                           ;   in Loop: Header=BB393_991 Depth=1
	s_or_b32 exec_lo, exec_lo, s12
	v_cmp_ne_u16_sdwa s4, v10, v11 src0_sel:BYTE_1 src1_sel:DWORD
	s_and_saveexec_b32 s12, s4
	s_cbranch_execz .LBB393_1237
; %bb.1230:                             ;   in Loop: Header=BB393_991 Depth=1
	v_cmp_ne_u16_sdwa s4, v10, v67 src0_sel:BYTE_1 src1_sel:DWORD
	v_bfrev_b32_e32 v21, 1
	s_and_saveexec_b32 s13, s4
	s_cbranch_execz .LBB393_1236
; %bb.1231:                             ;   in Loop: Header=BB393_991 Depth=1
	v_mov_b32_e32 v21, 0xffff
	s_mov_b32 s15, exec_lo
	v_and_b32_sdwa v23, v21, v10 dst_sel:DWORD dst_unused:UNUSED_PAD src0_sel:DWORD src1_sel:BYTE_1
	v_mov_b32_e32 v21, 0x7f800001
	v_and_b32_e32 v22, 0x7f, v23
	v_cmpx_ne_u32_e32 0x7f, v22
	s_cbranch_execz .LBB393_1235
; %bb.1232:                             ;   in Loop: Header=BB393_991 Depth=1
	v_and_b32_e32 v23, 7, v23
	v_mov_b32_e32 v24, v11
	v_lshrrev_b32_e32 v21, 3, v22
	s_mov_b32 s18, exec_lo
	v_cmpx_gt_u32_e32 8, v22
; %bb.1233:                             ;   in Loop: Header=BB393_991 Depth=1
	v_ffbh_u32_e32 v21, v23
	v_min_u32_e32 v21, 32, v21
	v_subrev_nc_u32_e32 v22, 28, v21
	v_sub_nc_u32_e32 v21, 29, v21
	v_lshlrev_b64 v[22:23], v22, v[23:24]
	v_and_b32_e32 v23, 7, v22
; %bb.1234:                             ;   in Loop: Header=BB393_991 Depth=1
	s_or_b32 exec_lo, exec_lo, s18
	v_lshlrev_b32_e32 v10, 16, v10
	v_lshlrev_b32_e32 v22, 20, v23
	v_lshl_add_u32 v21, v21, 23, 0x3c000000
	v_and_b32_e32 v10, 0x80000000, v10
	v_or3_b32 v21, v22, v10, v21
.LBB393_1235:                           ;   in Loop: Header=BB393_991 Depth=1
	s_or_b32 exec_lo, exec_lo, s15
.LBB393_1236:                           ;   in Loop: Header=BB393_991 Depth=1
	s_or_b32 exec_lo, exec_lo, s13
.LBB393_1237:                           ;   in Loop: Header=BB393_991 Depth=1
	s_or_b32 exec_lo, exec_lo, s12
	v_and_b32_sdwa v10, v20, v69 dst_sel:DWORD dst_unused:UNUSED_PAD src0_sel:WORD_1 src1_sel:DWORD
	v_mov_b32_e32 v22, 0
	v_mov_b32_e32 v25, 0
	s_mov_b32 s12, exec_lo
	v_cmpx_ne_u16_e32 0, v10
	s_cbranch_execz .LBB393_1245
; %bb.1238:                             ;   in Loop: Header=BB393_991 Depth=1
	v_bfrev_b32_e32 v25, 1
	s_mov_b32 s13, exec_lo
	v_cmpx_ne_u16_e32 0x80, v10
	s_cbranch_execz .LBB393_1244
; %bb.1239:                             ;   in Loop: Header=BB393_991 Depth=1
	v_bfe_u32 v23, v20, 16, 7
	v_mov_b32_e32 v25, 0x7f800001
	s_mov_b32 s15, exec_lo
	v_cmpx_ne_u32_e32 0x7f, v23
	s_cbranch_execz .LBB393_1243
; %bb.1240:                             ;   in Loop: Header=BB393_991 Depth=1
	v_mov_b32_e32 v10, 7
	v_lshrrev_b32_e32 v25, 3, v23
	v_cmp_gt_u32_e64 s4, 8, v23
	v_and_b32_sdwa v10, v20, v10 dst_sel:DWORD dst_unused:UNUSED_PAD src0_sel:WORD_1 src1_sel:DWORD
	v_mov_b32_e32 v24, v11
	v_mov_b32_e32 v23, v10
	s_and_saveexec_b32 s18, s4
; %bb.1241:                             ;   in Loop: Header=BB393_991 Depth=1
	v_ffbh_u32_e32 v23, v10
	v_min_u32_e32 v25, 32, v23
	v_subrev_nc_u32_e32 v23, 28, v25
	v_sub_nc_u32_e32 v25, 29, v25
	v_lshlrev_b64 v[23:24], v23, v[10:11]
	v_and_b32_e32 v23, 7, v23
; %bb.1242:                             ;   in Loop: Header=BB393_991 Depth=1
	s_or_b32 exec_lo, exec_lo, s18
	v_mov_b32_e32 v10, 24
	v_lshlrev_b32_e32 v23, 20, v23
	v_lshl_add_u32 v24, v25, 23, 0x3c000000
	v_lshlrev_b32_sdwa v10, v10, v20 dst_sel:DWORD dst_unused:UNUSED_PAD src0_sel:DWORD src1_sel:WORD_1
	v_and_b32_e32 v10, 0x80000000, v10
	v_or3_b32 v25, v23, v10, v24
.LBB393_1243:                           ;   in Loop: Header=BB393_991 Depth=1
	s_or_b32 exec_lo, exec_lo, s15
.LBB393_1244:                           ;   in Loop: Header=BB393_991 Depth=1
	s_or_b32 exec_lo, exec_lo, s13
.LBB393_1245:                           ;   in Loop: Header=BB393_991 Depth=1
	s_or_b32 exec_lo, exec_lo, s12
	s_mov_b32 s12, exec_lo
	v_cmpx_lt_u64_e64 s[8:9], v[19:20]
	s_cbranch_execz .LBB393_1253
; %bb.1246:                             ;   in Loop: Header=BB393_991 Depth=1
	v_cmp_ne_u32_sdwa s4, v20, v67 src0_sel:BYTE_3 src1_sel:DWORD
	v_bfrev_b32_e32 v22, 1
	s_and_saveexec_b32 s13, s4
	s_cbranch_execz .LBB393_1252
; %bb.1247:                             ;   in Loop: Header=BB393_991 Depth=1
	v_bfe_u32 v23, v20, 24, 7
	v_mov_b32_e32 v22, 0x7f800001
	s_mov_b32 s15, exec_lo
	v_cmpx_ne_u32_e32 0x7f, v23
	s_cbranch_execz .LBB393_1251
; %bb.1248:                             ;   in Loop: Header=BB393_991 Depth=1
	v_mov_b32_e32 v10, 7
	v_lshrrev_b32_e32 v19, 3, v23
	v_cmp_gt_u32_e64 s4, 8, v23
	v_and_b32_sdwa v10, v20, v10 dst_sel:DWORD dst_unused:UNUSED_PAD src0_sel:BYTE_3 src1_sel:DWORD
	v_mov_b32_e32 v24, v11
	v_mov_b32_e32 v23, v10
	s_and_saveexec_b32 s18, s4
; %bb.1249:                             ;   in Loop: Header=BB393_991 Depth=1
	v_ffbh_u32_e32 v19, v10
	v_min_u32_e32 v19, 32, v19
	v_subrev_nc_u32_e32 v22, 28, v19
	v_sub_nc_u32_e32 v19, 29, v19
	v_lshlrev_b64 v[22:23], v22, v[10:11]
	v_and_b32_e32 v23, 7, v22
; %bb.1250:                             ;   in Loop: Header=BB393_991 Depth=1
	s_or_b32 exec_lo, exec_lo, s18
	v_mov_b32_e32 v10, 24
	v_lshl_add_u32 v19, v19, 23, 0x3c000000
	v_lshlrev_b32_sdwa v10, v10, v20 dst_sel:DWORD dst_unused:UNUSED_PAD src0_sel:DWORD src1_sel:BYTE_3
	v_lshlrev_b32_e32 v20, 20, v23
	v_and_b32_e32 v10, 0x80000000, v10
	v_or3_b32 v22, v20, v10, v19
.LBB393_1251:                           ;   in Loop: Header=BB393_991 Depth=1
	s_or_b32 exec_lo, exec_lo, s15
.LBB393_1252:                           ;   in Loop: Header=BB393_991 Depth=1
	s_or_b32 exec_lo, exec_lo, s13
.LBB393_1253:                           ;   in Loop: Header=BB393_991 Depth=1
	s_or_b32 exec_lo, exec_lo, s12
	v_mul_f32_e32 v10, v26, v21
	v_mul_f32_e32 v16, v26, v16
	;; [unrolled: 1-line block ×5, first 2 shown]
	v_bfe_u32 v19, v10, 16, 1
	v_or_b32_e32 v20, 0x400000, v10
	v_bfe_u32 v21, v16, 16, 1
	v_cmp_u_f32_e64 s4, v10, v10
	v_or_b32_e32 v23, 0x400000, v16
	v_add3_u32 v19, v19, v10, 0x7fff
	v_bfe_u32 v24, v13, 16, 1
	v_add3_u32 v21, v21, v16, 0x7fff
	v_or_b32_e32 v27, 0x400000, v13
	v_bfe_u32 v28, v12, 16, 1
	v_cndmask_b32_e64 v10, v19, v20, s4
	v_cmp_u_f32_e64 s4, v16, v16
	v_add3_u32 v24, v24, v13, 0x7fff
	v_or_b32_e32 v19, 0x400000, v12
	v_mul_f32_e32 v4, v26, v4
	v_lshrrev_b32_e32 v10, 16, v10
	v_cndmask_b32_e64 v16, v21, v23, s4
	v_cmp_u_f32_e64 s4, v13, v13
	v_bfe_u32 v20, v4, 16, 1
	buffer_store_dword v10, off, s[0:3], s32 offset:312 ; 4-byte Folded Spill
	v_add3_u32 v10, v28, v12, 0x7fff
	v_cndmask_b32_e64 v13, v24, v27, s4
	v_lshrrev_b32_e32 v16, 16, v16
	v_cmp_u_f32_e64 s4, v12, v12
	v_mul_f32_e32 v12, v26, v25
	v_lshrrev_b32_e32 v13, 16, v13
	buffer_store_dword v16, off, s[0:3], s32 offset:308 ; 4-byte Folded Spill
	v_cndmask_b32_e64 v10, v10, v19, s4
	v_or_b32_e32 v16, 0x400000, v5
	v_cmp_u_f32_e64 s4, v5, v5
	buffer_store_dword v13, off, s[0:3], s32 offset:320 ; 4-byte Folded Spill
	v_bfe_u32 v13, v5, 16, 1
	v_mul_f32_e32 v19, v26, v22
	v_bfe_u32 v21, v12, 16, 1
	v_or_b32_e32 v22, 0x400000, v12
	v_lshrrev_b32_e32 v10, 16, v10
	v_add3_u32 v13, v13, v5, 0x7fff
	v_or_b32_e32 v23, 0x400000, v19
	v_add3_u32 v21, v21, v12, 0x7fff
	buffer_store_dword v10, off, s[0:3], s32 offset:324 ; 4-byte Folded Spill
	v_cndmask_b32_e64 v5, v13, v16, s4
	v_add3_u32 v16, v20, v4, 0x7fff
	v_or_b32_e32 v20, 0x400000, v4
	v_cmp_u_f32_e64 s4, v4, v4
	v_bfe_u32 v13, v19, 16, 1
	v_lshrrev_b32_e32 v5, 16, v5
	v_cndmask_b32_e64 v4, v16, v20, s4
	v_cmp_u_f32_e64 s4, v12, v12
	v_add3_u32 v13, v13, v19, 0x7fff
	buffer_store_dword v5, off, s[0:3], s32 offset:332 ; 4-byte Folded Spill
	v_lshrrev_b32_e32 v4, 16, v4
	v_cndmask_b32_e64 v12, v21, v22, s4
	v_cmp_u_f32_e64 s4, v19, v19
	buffer_store_dword v4, off, s[0:3], s32 offset:328 ; 4-byte Folded Spill
	v_lshrrev_b32_e32 v4, 16, v12
	v_cndmask_b32_e64 v13, v13, v23, s4
	buffer_store_dword v4, off, s[0:3], s32 offset:304 ; 4-byte Folded Spill
	v_lshrrev_b32_e32 v4, 16, v13
	buffer_store_dword v4, off, s[0:3], s32 offset:316 ; 4-byte Folded Spill
	s_and_saveexec_b32 s12, vcc_lo
	s_cbranch_execz .LBB393_1255
; %bb.1254:                             ;   in Loop: Header=BB393_991 Depth=1
	buffer_load_dword v4, off, s[0:3], s32 offset:328 ; 4-byte Folded Reload
	v_cmp_lt_i32_e64 s4, v44, v35
	s_waitcnt vmcnt(0)
	v_cndmask_b32_e64 v4, 0, v4, s4
	v_cmp_lt_i32_e64 s4, v61, v35
	buffer_store_dword v4, off, s[0:3], s32 offset:328 ; 4-byte Folded Spill
	buffer_load_dword v4, off, s[0:3], s32 offset:332 ; 4-byte Folded Reload
	s_waitcnt vmcnt(0)
	v_cndmask_b32_e64 v4, 0, v4, s4
	v_cmp_lt_i32_e64 s4, v60, v35
	buffer_store_dword v4, off, s[0:3], s32 offset:332 ; 4-byte Folded Spill
	buffer_load_dword v4, off, s[0:3], s32 offset:324 ; 4-byte Folded Reload
	;; [unrolled: 5-line block ×7, first 2 shown]
	s_waitcnt vmcnt(0)
	v_cndmask_b32_e64 v4, 0, v4, s4
	buffer_store_dword v4, off, s[0:3], s32 offset:316 ; 4-byte Folded Spill
.LBB393_1255:                           ;   in Loop: Header=BB393_991 Depth=1
	s_or_b32 exec_lo, exec_lo, s12
	flat_load_dwordx2 v[19:20], v[17:18] offset:1024
	v_mov_b32_e32 v5, 0
	v_mov_b32_e32 v4, 0
	s_waitcnt vmcnt(0) lgkmcnt(0)
	v_cmp_ne_u16_sdwa s4, v19, v11 src0_sel:BYTE_0 src1_sel:DWORD
	s_and_saveexec_b32 s12, s4
	s_cbranch_execz .LBB393_1263
; %bb.1256:                             ;   in Loop: Header=BB393_991 Depth=1
	v_cmp_ne_u16_sdwa s4, v19, v67 src0_sel:BYTE_0 src1_sel:DWORD
	v_bfrev_b32_e32 v4, 1
	s_and_saveexec_b32 s13, s4
	s_cbranch_execz .LBB393_1262
; %bb.1257:                             ;   in Loop: Header=BB393_991 Depth=1
	v_and_b32_e32 v10, 0x7f, v19
	v_mov_b32_e32 v4, 0x7f800001
	s_mov_b32 s15, exec_lo
	v_cmpx_ne_u32_e32 0x7f, v10
	s_cbranch_execz .LBB393_1261
; %bb.1258:                             ;   in Loop: Header=BB393_991 Depth=1
	v_mov_b32_e32 v24, v20
	v_lshrrev_b32_e32 v4, 3, v10
	v_mov_b32_e32 v23, v19
	s_mov_b32 s18, exec_lo
	v_cmpx_gt_u32_e32 8, v10
; %bb.1259:                             ;   in Loop: Header=BB393_991 Depth=1
	v_and_b32_e32 v4, 7, v19
	v_ffbh_u32_e32 v4, v4
	v_min_u32_e32 v4, 32, v4
	v_subrev_nc_u32_e32 v10, 28, v4
	v_sub_nc_u32_e32 v4, 29, v4
	v_lshlrev_b64 v[23:24], v10, v[19:20]
; %bb.1260:                             ;   in Loop: Header=BB393_991 Depth=1
	s_or_b32 exec_lo, exec_lo, s18
	v_lshlrev_b32_e32 v10, 20, v23
	v_lshlrev_b32_e32 v12, 24, v19
	v_lshl_add_u32 v4, v4, 23, 0x3c000000
	v_and_b32_e32 v10, 0x700000, v10
	v_and_b32_e32 v12, 0x80000000, v12
	v_or3_b32 v4, v10, v12, v4
.LBB393_1261:                           ;   in Loop: Header=BB393_991 Depth=1
	s_or_b32 exec_lo, exec_lo, s15
.LBB393_1262:                           ;   in Loop: Header=BB393_991 Depth=1
	s_or_b32 exec_lo, exec_lo, s13
.LBB393_1263:                           ;   in Loop: Header=BB393_991 Depth=1
	s_or_b32 exec_lo, exec_lo, s12
	v_cmp_ne_u16_sdwa s4, v19, v11 src0_sel:BYTE_1 src1_sel:DWORD
	s_and_saveexec_b32 s12, s4
	s_cbranch_execz .LBB393_1271
; %bb.1264:                             ;   in Loop: Header=BB393_991 Depth=1
	v_cmp_ne_u16_sdwa s4, v19, v67 src0_sel:BYTE_1 src1_sel:DWORD
	v_bfrev_b32_e32 v5, 1
	s_and_saveexec_b32 s13, s4
	s_cbranch_execz .LBB393_1270
; %bb.1265:                             ;   in Loop: Header=BB393_991 Depth=1
	v_mov_b32_e32 v5, 0xffff
	s_mov_b32 s15, exec_lo
	v_and_b32_sdwa v10, v5, v19 dst_sel:DWORD dst_unused:UNUSED_PAD src0_sel:DWORD src1_sel:BYTE_1
	v_mov_b32_e32 v5, 0x7f800001
	v_and_b32_e32 v12, 0x7f, v10
	v_cmpx_ne_u32_e32 0x7f, v12
	s_cbranch_execz .LBB393_1269
; %bb.1266:                             ;   in Loop: Header=BB393_991 Depth=1
	v_and_b32_e32 v10, 7, v10
	v_mov_b32_e32 v24, v11
	v_lshrrev_b32_e32 v5, 3, v12
	s_mov_b32 s18, exec_lo
	v_mov_b32_e32 v23, v10
	v_cmpx_gt_u32_e32 8, v12
; %bb.1267:                             ;   in Loop: Header=BB393_991 Depth=1
	v_ffbh_u32_e32 v5, v10
	v_min_u32_e32 v5, 32, v5
	v_subrev_nc_u32_e32 v12, 28, v5
	v_sub_nc_u32_e32 v5, 29, v5
	v_lshlrev_b64 v[12:13], v12, v[10:11]
	v_and_b32_e32 v23, 7, v12
; %bb.1268:                             ;   in Loop: Header=BB393_991 Depth=1
	s_or_b32 exec_lo, exec_lo, s18
	v_lshlrev_b32_e32 v10, 16, v19
	v_lshlrev_b32_e32 v12, 20, v23
	v_lshl_add_u32 v5, v5, 23, 0x3c000000
	v_and_b32_e32 v10, 0x80000000, v10
	v_or3_b32 v5, v12, v10, v5
.LBB393_1269:                           ;   in Loop: Header=BB393_991 Depth=1
	s_or_b32 exec_lo, exec_lo, s15
.LBB393_1270:                           ;   in Loop: Header=BB393_991 Depth=1
	s_or_b32 exec_lo, exec_lo, s13
.LBB393_1271:                           ;   in Loop: Header=BB393_991 Depth=1
	s_or_b32 exec_lo, exec_lo, s12
	v_and_b32_sdwa v10, v19, v69 dst_sel:DWORD dst_unused:UNUSED_PAD src0_sel:WORD_1 src1_sel:DWORD
	v_mov_b32_e32 v13, 0
	v_mov_b32_e32 v12, 0
	s_mov_b32 s12, exec_lo
	v_cmpx_ne_u16_e32 0, v10
	s_cbranch_execz .LBB393_1279
; %bb.1272:                             ;   in Loop: Header=BB393_991 Depth=1
	v_bfrev_b32_e32 v12, 1
	s_mov_b32 s13, exec_lo
	v_cmpx_ne_u16_e32 0x80, v10
	s_cbranch_execz .LBB393_1278
; %bb.1273:                             ;   in Loop: Header=BB393_991 Depth=1
	v_bfe_u32 v16, v19, 16, 7
	v_mov_b32_e32 v12, 0x7f800001
	s_mov_b32 s15, exec_lo
	v_cmpx_ne_u32_e32 0x7f, v16
	s_cbranch_execz .LBB393_1277
; %bb.1274:                             ;   in Loop: Header=BB393_991 Depth=1
	v_mov_b32_e32 v10, 7
	v_lshrrev_b32_e32 v12, 3, v16
	s_mov_b32 s18, exec_lo
	v_and_b32_sdwa v10, v19, v10 dst_sel:DWORD dst_unused:UNUSED_PAD src0_sel:WORD_1 src1_sel:DWORD
	v_mov_b32_e32 v24, v11
	v_mov_b32_e32 v23, v10
	v_cmpx_gt_u32_e32 8, v16
; %bb.1275:                             ;   in Loop: Header=BB393_991 Depth=1
	v_ffbh_u32_e32 v12, v10
	v_min_u32_e32 v12, 32, v12
	v_subrev_nc_u32_e32 v16, 28, v12
	v_sub_nc_u32_e32 v12, 29, v12
	v_lshlrev_b64 v[21:22], v16, v[10:11]
	v_and_b32_e32 v23, 7, v21
; %bb.1276:                             ;   in Loop: Header=BB393_991 Depth=1
	s_or_b32 exec_lo, exec_lo, s18
	v_mov_b32_e32 v10, 24
	v_lshlrev_b32_e32 v16, 20, v23
	v_lshl_add_u32 v12, v12, 23, 0x3c000000
	v_lshlrev_b32_sdwa v10, v10, v19 dst_sel:DWORD dst_unused:UNUSED_PAD src0_sel:DWORD src1_sel:WORD_1
	v_and_b32_e32 v10, 0x80000000, v10
	v_or3_b32 v12, v16, v10, v12
.LBB393_1277:                           ;   in Loop: Header=BB393_991 Depth=1
	s_or_b32 exec_lo, exec_lo, s15
.LBB393_1278:                           ;   in Loop: Header=BB393_991 Depth=1
	s_or_b32 exec_lo, exec_lo, s13
.LBB393_1279:                           ;   in Loop: Header=BB393_991 Depth=1
	s_or_b32 exec_lo, exec_lo, s12
	s_mov_b32 s12, exec_lo
	v_cmpx_lt_u32_e32 0xffffff, v19
	s_cbranch_execz .LBB393_1287
; %bb.1280:                             ;   in Loop: Header=BB393_991 Depth=1
	v_cmp_ne_u32_sdwa s4, v19, v67 src0_sel:BYTE_3 src1_sel:DWORD
	v_bfrev_b32_e32 v13, 1
	s_and_saveexec_b32 s13, s4
	s_cbranch_execz .LBB393_1286
; %bb.1281:                             ;   in Loop: Header=BB393_991 Depth=1
	v_bfe_u32 v16, v19, 24, 7
	v_mov_b32_e32 v13, 0x7f800001
	s_mov_b32 s15, exec_lo
	v_cmpx_ne_u32_e32 0x7f, v16
	s_cbranch_execz .LBB393_1285
; %bb.1282:                             ;   in Loop: Header=BB393_991 Depth=1
	v_mov_b32_e32 v10, 7
	v_lshrrev_b32_e32 v13, 3, v16
	s_mov_b32 s18, exec_lo
	v_and_b32_sdwa v10, v19, v10 dst_sel:DWORD dst_unused:UNUSED_PAD src0_sel:BYTE_3 src1_sel:DWORD
	v_mov_b32_e32 v24, v11
	v_mov_b32_e32 v23, v10
	v_cmpx_gt_u32_e32 8, v16
; %bb.1283:                             ;   in Loop: Header=BB393_991 Depth=1
	v_ffbh_u32_e32 v13, v10
	v_min_u32_e32 v13, 32, v13
	v_subrev_nc_u32_e32 v16, 28, v13
	v_sub_nc_u32_e32 v13, 29, v13
	v_lshlrev_b64 v[21:22], v16, v[10:11]
	v_and_b32_e32 v23, 7, v21
; %bb.1284:                             ;   in Loop: Header=BB393_991 Depth=1
	s_or_b32 exec_lo, exec_lo, s18
	v_mov_b32_e32 v10, 24
	v_lshlrev_b32_e32 v16, 20, v23
	v_lshl_add_u32 v13, v13, 23, 0x3c000000
	v_lshlrev_b32_sdwa v10, v10, v19 dst_sel:DWORD dst_unused:UNUSED_PAD src0_sel:DWORD src1_sel:BYTE_3
	v_and_b32_e32 v10, 0x80000000, v10
	v_or3_b32 v13, v16, v10, v13
.LBB393_1285:                           ;   in Loop: Header=BB393_991 Depth=1
	s_or_b32 exec_lo, exec_lo, s15
.LBB393_1286:                           ;   in Loop: Header=BB393_991 Depth=1
	s_or_b32 exec_lo, exec_lo, s13
.LBB393_1287:                           ;   in Loop: Header=BB393_991 Depth=1
	s_or_b32 exec_lo, exec_lo, s12
	v_mov_b32_e32 v10, v20
	v_cmp_ne_u16_sdwa s4, v20, v11 src0_sel:BYTE_0 src1_sel:DWORD
	v_mov_b32_e32 v21, 0
	v_mov_b32_e32 v16, 0
	s_and_saveexec_b32 s12, s4
	s_cbranch_execz .LBB393_1295
; %bb.1288:                             ;   in Loop: Header=BB393_991 Depth=1
	v_cmp_ne_u16_sdwa s4, v20, v67 src0_sel:BYTE_0 src1_sel:DWORD
	v_bfrev_b32_e32 v16, 1
	s_and_saveexec_b32 s13, s4
	s_cbranch_execz .LBB393_1294
; %bb.1289:                             ;   in Loop: Header=BB393_991 Depth=1
	v_and_b32_e32 v22, 0x7f, v20
	v_mov_b32_e32 v16, 0x7f800001
	s_mov_b32 s15, exec_lo
	v_cmpx_ne_u32_e32 0x7f, v22
	s_cbranch_execz .LBB393_1293
; %bb.1290:                             ;   in Loop: Header=BB393_991 Depth=1
	v_mov_b32_e32 v24, v11
	v_lshrrev_b32_e32 v16, 3, v22
	v_mov_b32_e32 v23, v10
	s_mov_b32 s18, exec_lo
	v_cmpx_gt_u32_e32 8, v22
; %bb.1291:                             ;   in Loop: Header=BB393_991 Depth=1
	v_and_b32_e32 v16, 7, v20
	v_ffbh_u32_e32 v16, v16
	v_min_u32_e32 v16, 32, v16
	v_subrev_nc_u32_e32 v22, 28, v16
	v_sub_nc_u32_e32 v16, 29, v16
	v_lshlrev_b64 v[23:24], v22, v[10:11]
; %bb.1292:                             ;   in Loop: Header=BB393_991 Depth=1
	s_or_b32 exec_lo, exec_lo, s18
	v_lshlrev_b32_e32 v22, 20, v23
	v_lshlrev_b32_e32 v23, 24, v10
	v_lshl_add_u32 v16, v16, 23, 0x3c000000
	v_and_b32_e32 v22, 0x700000, v22
	v_and_b32_e32 v23, 0x80000000, v23
	v_or3_b32 v16, v22, v23, v16
.LBB393_1293:                           ;   in Loop: Header=BB393_991 Depth=1
	s_or_b32 exec_lo, exec_lo, s15
.LBB393_1294:                           ;   in Loop: Header=BB393_991 Depth=1
	s_or_b32 exec_lo, exec_lo, s13
.LBB393_1295:                           ;   in Loop: Header=BB393_991 Depth=1
	s_or_b32 exec_lo, exec_lo, s12
	v_cmp_ne_u16_sdwa s4, v10, v11 src0_sel:BYTE_1 src1_sel:DWORD
	s_and_saveexec_b32 s12, s4
	s_cbranch_execz .LBB393_1303
; %bb.1296:                             ;   in Loop: Header=BB393_991 Depth=1
	v_cmp_ne_u16_sdwa s4, v10, v67 src0_sel:BYTE_1 src1_sel:DWORD
	v_bfrev_b32_e32 v21, 1
	s_and_saveexec_b32 s13, s4
	s_cbranch_execz .LBB393_1302
; %bb.1297:                             ;   in Loop: Header=BB393_991 Depth=1
	v_mov_b32_e32 v21, 0xffff
	s_mov_b32 s15, exec_lo
	v_and_b32_sdwa v23, v21, v10 dst_sel:DWORD dst_unused:UNUSED_PAD src0_sel:DWORD src1_sel:BYTE_1
	v_mov_b32_e32 v21, 0x7f800001
	v_and_b32_e32 v22, 0x7f, v23
	v_cmpx_ne_u32_e32 0x7f, v22
	s_cbranch_execz .LBB393_1301
; %bb.1298:                             ;   in Loop: Header=BB393_991 Depth=1
	v_and_b32_e32 v23, 7, v23
	v_mov_b32_e32 v24, v11
	v_lshrrev_b32_e32 v21, 3, v22
	s_mov_b32 s18, exec_lo
	v_cmpx_gt_u32_e32 8, v22
; %bb.1299:                             ;   in Loop: Header=BB393_991 Depth=1
	v_ffbh_u32_e32 v21, v23
	v_min_u32_e32 v21, 32, v21
	v_subrev_nc_u32_e32 v22, 28, v21
	v_sub_nc_u32_e32 v21, 29, v21
	v_lshlrev_b64 v[22:23], v22, v[23:24]
	v_and_b32_e32 v23, 7, v22
; %bb.1300:                             ;   in Loop: Header=BB393_991 Depth=1
	s_or_b32 exec_lo, exec_lo, s18
	v_lshlrev_b32_e32 v10, 16, v10
	v_lshlrev_b32_e32 v22, 20, v23
	v_lshl_add_u32 v21, v21, 23, 0x3c000000
	v_and_b32_e32 v10, 0x80000000, v10
	v_or3_b32 v21, v22, v10, v21
.LBB393_1301:                           ;   in Loop: Header=BB393_991 Depth=1
	s_or_b32 exec_lo, exec_lo, s15
.LBB393_1302:                           ;   in Loop: Header=BB393_991 Depth=1
	s_or_b32 exec_lo, exec_lo, s13
.LBB393_1303:                           ;   in Loop: Header=BB393_991 Depth=1
	s_or_b32 exec_lo, exec_lo, s12
	v_and_b32_sdwa v10, v20, v69 dst_sel:DWORD dst_unused:UNUSED_PAD src0_sel:WORD_1 src1_sel:DWORD
	v_mov_b32_e32 v22, 0
	v_mov_b32_e32 v25, 0
	s_mov_b32 s12, exec_lo
	v_cmpx_ne_u16_e32 0, v10
	s_cbranch_execz .LBB393_1311
; %bb.1304:                             ;   in Loop: Header=BB393_991 Depth=1
	v_bfrev_b32_e32 v25, 1
	s_mov_b32 s13, exec_lo
	v_cmpx_ne_u16_e32 0x80, v10
	s_cbranch_execz .LBB393_1310
; %bb.1305:                             ;   in Loop: Header=BB393_991 Depth=1
	v_bfe_u32 v23, v20, 16, 7
	v_mov_b32_e32 v25, 0x7f800001
	s_mov_b32 s15, exec_lo
	v_cmpx_ne_u32_e32 0x7f, v23
	s_cbranch_execz .LBB393_1309
; %bb.1306:                             ;   in Loop: Header=BB393_991 Depth=1
	v_mov_b32_e32 v10, 7
	v_lshrrev_b32_e32 v25, 3, v23
	v_cmp_gt_u32_e64 s4, 8, v23
	v_and_b32_sdwa v10, v20, v10 dst_sel:DWORD dst_unused:UNUSED_PAD src0_sel:WORD_1 src1_sel:DWORD
	v_mov_b32_e32 v24, v11
	v_mov_b32_e32 v23, v10
	s_and_saveexec_b32 s18, s4
; %bb.1307:                             ;   in Loop: Header=BB393_991 Depth=1
	v_ffbh_u32_e32 v23, v10
	v_min_u32_e32 v25, 32, v23
	v_subrev_nc_u32_e32 v23, 28, v25
	v_sub_nc_u32_e32 v25, 29, v25
	v_lshlrev_b64 v[23:24], v23, v[10:11]
	v_and_b32_e32 v23, 7, v23
; %bb.1308:                             ;   in Loop: Header=BB393_991 Depth=1
	s_or_b32 exec_lo, exec_lo, s18
	v_mov_b32_e32 v10, 24
	v_lshlrev_b32_e32 v23, 20, v23
	v_lshl_add_u32 v24, v25, 23, 0x3c000000
	v_lshlrev_b32_sdwa v10, v10, v20 dst_sel:DWORD dst_unused:UNUSED_PAD src0_sel:DWORD src1_sel:WORD_1
	v_and_b32_e32 v10, 0x80000000, v10
	v_or3_b32 v25, v23, v10, v24
.LBB393_1309:                           ;   in Loop: Header=BB393_991 Depth=1
	s_or_b32 exec_lo, exec_lo, s15
.LBB393_1310:                           ;   in Loop: Header=BB393_991 Depth=1
	s_or_b32 exec_lo, exec_lo, s13
.LBB393_1311:                           ;   in Loop: Header=BB393_991 Depth=1
	s_or_b32 exec_lo, exec_lo, s12
	s_mov_b32 s12, exec_lo
	v_cmpx_lt_u64_e64 s[8:9], v[19:20]
	s_cbranch_execz .LBB393_1319
; %bb.1312:                             ;   in Loop: Header=BB393_991 Depth=1
	v_cmp_ne_u32_sdwa s4, v20, v67 src0_sel:BYTE_3 src1_sel:DWORD
	v_bfrev_b32_e32 v22, 1
	s_and_saveexec_b32 s13, s4
	s_cbranch_execz .LBB393_1318
; %bb.1313:                             ;   in Loop: Header=BB393_991 Depth=1
	v_bfe_u32 v23, v20, 24, 7
	v_mov_b32_e32 v22, 0x7f800001
	s_mov_b32 s15, exec_lo
	v_cmpx_ne_u32_e32 0x7f, v23
	s_cbranch_execz .LBB393_1317
; %bb.1314:                             ;   in Loop: Header=BB393_991 Depth=1
	v_mov_b32_e32 v10, 7
	v_lshrrev_b32_e32 v19, 3, v23
	v_cmp_gt_u32_e64 s4, 8, v23
	v_and_b32_sdwa v10, v20, v10 dst_sel:DWORD dst_unused:UNUSED_PAD src0_sel:BYTE_3 src1_sel:DWORD
	v_mov_b32_e32 v24, v11
	v_mov_b32_e32 v23, v10
	s_and_saveexec_b32 s18, s4
; %bb.1315:                             ;   in Loop: Header=BB393_991 Depth=1
	v_ffbh_u32_e32 v19, v10
	v_min_u32_e32 v19, 32, v19
	v_subrev_nc_u32_e32 v22, 28, v19
	v_sub_nc_u32_e32 v19, 29, v19
	v_lshlrev_b64 v[22:23], v22, v[10:11]
	v_and_b32_e32 v23, 7, v22
; %bb.1316:                             ;   in Loop: Header=BB393_991 Depth=1
	s_or_b32 exec_lo, exec_lo, s18
	v_mov_b32_e32 v10, 24
	v_lshl_add_u32 v19, v19, 23, 0x3c000000
	v_lshlrev_b32_sdwa v10, v10, v20 dst_sel:DWORD dst_unused:UNUSED_PAD src0_sel:DWORD src1_sel:BYTE_3
	v_lshlrev_b32_e32 v20, 20, v23
	v_and_b32_e32 v10, 0x80000000, v10
	v_or3_b32 v22, v20, v10, v19
.LBB393_1317:                           ;   in Loop: Header=BB393_991 Depth=1
	s_or_b32 exec_lo, exec_lo, s15
.LBB393_1318:                           ;   in Loop: Header=BB393_991 Depth=1
	s_or_b32 exec_lo, exec_lo, s13
.LBB393_1319:                           ;   in Loop: Header=BB393_991 Depth=1
	s_or_b32 exec_lo, exec_lo, s12
	v_mul_f32_e32 v10, v26, v21
	v_mul_f32_e32 v16, v26, v16
	;; [unrolled: 1-line block ×5, first 2 shown]
	v_bfe_u32 v19, v10, 16, 1
	v_or_b32_e32 v20, 0x400000, v10
	v_bfe_u32 v21, v16, 16, 1
	v_cmp_u_f32_e64 s4, v10, v10
	v_or_b32_e32 v23, 0x400000, v16
	v_add3_u32 v19, v19, v10, 0x7fff
	v_bfe_u32 v24, v13, 16, 1
	v_add3_u32 v21, v21, v16, 0x7fff
	v_or_b32_e32 v27, 0x400000, v13
	v_bfe_u32 v28, v12, 16, 1
	v_cndmask_b32_e64 v10, v19, v20, s4
	v_cmp_u_f32_e64 s4, v16, v16
	v_add3_u32 v24, v24, v13, 0x7fff
	v_or_b32_e32 v19, 0x400000, v12
	v_mul_f32_e32 v4, v26, v4
	v_lshrrev_b32_e32 v10, 16, v10
	v_cndmask_b32_e64 v16, v21, v23, s4
	v_cmp_u_f32_e64 s4, v13, v13
	v_bfe_u32 v20, v4, 16, 1
	buffer_store_dword v10, off, s[0:3], s32 offset:340 ; 4-byte Folded Spill
	v_add3_u32 v10, v28, v12, 0x7fff
	v_cndmask_b32_e64 v13, v24, v27, s4
	v_lshrrev_b32_e32 v16, 16, v16
	v_cmp_u_f32_e64 s4, v12, v12
	v_mul_f32_e32 v12, v26, v25
	v_lshrrev_b32_e32 v75, 16, v13
	v_bfe_u32 v13, v5, 16, 1
	buffer_store_dword v16, off, s[0:3], s32 offset:336 ; 4-byte Folded Spill
	v_cndmask_b32_e64 v10, v10, v19, s4
	v_or_b32_e32 v16, 0x400000, v5
	v_cmp_u_f32_e64 s4, v5, v5
	v_add3_u32 v13, v13, v5, 0x7fff
	v_mul_f32_e32 v19, v26, v22
	v_bfe_u32 v21, v12, 16, 1
	v_or_b32_e32 v22, 0x400000, v12
	v_lshrrev_b32_e32 v76, 16, v10
	v_cndmask_b32_e64 v5, v13, v16, s4
	v_add3_u32 v16, v20, v4, 0x7fff
	v_or_b32_e32 v20, 0x400000, v4
	v_cmp_u_f32_e64 s4, v4, v4
	v_bfe_u32 v13, v19, 16, 1
	v_add3_u32 v21, v21, v12, 0x7fff
	v_or_b32_e32 v23, 0x400000, v19
	v_lshrrev_b32_e32 v78, 16, v5
	v_cndmask_b32_e64 v4, v16, v20, s4
	v_cmp_u_f32_e64 s4, v12, v12
	v_add3_u32 v13, v13, v19, 0x7fff
	v_lshrrev_b32_e32 v77, 16, v4
	v_cndmask_b32_e64 v12, v21, v22, s4
	v_cmp_u_f32_e64 s4, v19, v19
	v_lshrrev_b32_e32 v4, 16, v12
	v_cndmask_b32_e64 v13, v13, v23, s4
	buffer_store_dword v4, off, s[0:3], s32 offset:344 ; 4-byte Folded Spill
	v_lshrrev_b32_e32 v4, 16, v13
	buffer_store_dword v4, off, s[0:3], s32 offset:348 ; 4-byte Folded Spill
	s_and_saveexec_b32 s12, vcc_lo
	s_cbranch_execz .LBB393_1321
; %bb.1320:                             ;   in Loop: Header=BB393_991 Depth=1
	buffer_load_dword v4, off, s[0:3], s32 offset:336 ; 4-byte Folded Reload
	v_cmp_lt_i32_e64 s4, v44, v35
	v_cndmask_b32_e64 v77, 0, v77, s4
	v_cmp_lt_i32_e64 s4, v61, v35
	v_cndmask_b32_e64 v78, 0, v78, s4
	;; [unrolled: 2-line block ×4, first 2 shown]
	v_cmp_lt_i32_e64 s4, v58, v35
	s_waitcnt vmcnt(0)
	v_cndmask_b32_e64 v4, 0, v4, s4
	v_cmp_lt_i32_e64 s4, v57, v35
	buffer_store_dword v4, off, s[0:3], s32 offset:336 ; 4-byte Folded Spill
	buffer_load_dword v4, off, s[0:3], s32 offset:340 ; 4-byte Folded Reload
	s_waitcnt vmcnt(0)
	v_cndmask_b32_e64 v4, 0, v4, s4
	v_cmp_lt_i32_e64 s4, v56, v35
	buffer_store_dword v4, off, s[0:3], s32 offset:340 ; 4-byte Folded Spill
	buffer_load_dword v4, off, s[0:3], s32 offset:344 ; 4-byte Folded Reload
	;; [unrolled: 5-line block ×3, first 2 shown]
	s_waitcnt vmcnt(0)
	v_cndmask_b32_e64 v4, 0, v4, s4
	buffer_store_dword v4, off, s[0:3], s32 offset:348 ; 4-byte Folded Spill
.LBB393_1321:                           ;   in Loop: Header=BB393_991 Depth=1
	s_or_b32 exec_lo, exec_lo, s12
	flat_load_dwordx2 v[19:20], v[17:18] offset:1280
	v_mov_b32_e32 v5, 0
	v_mov_b32_e32 v4, 0
	s_waitcnt vmcnt(0) lgkmcnt(0)
	v_cmp_ne_u16_sdwa s4, v19, v11 src0_sel:BYTE_0 src1_sel:DWORD
	s_and_saveexec_b32 s12, s4
	s_cbranch_execz .LBB393_1329
; %bb.1322:                             ;   in Loop: Header=BB393_991 Depth=1
	v_cmp_ne_u16_sdwa s4, v19, v67 src0_sel:BYTE_0 src1_sel:DWORD
	v_bfrev_b32_e32 v4, 1
	s_and_saveexec_b32 s13, s4
	s_cbranch_execz .LBB393_1328
; %bb.1323:                             ;   in Loop: Header=BB393_991 Depth=1
	v_and_b32_e32 v10, 0x7f, v19
	v_mov_b32_e32 v4, 0x7f800001
	s_mov_b32 s15, exec_lo
	v_cmpx_ne_u32_e32 0x7f, v10
	s_cbranch_execz .LBB393_1327
; %bb.1324:                             ;   in Loop: Header=BB393_991 Depth=1
	v_mov_b32_e32 v24, v20
	v_lshrrev_b32_e32 v4, 3, v10
	v_mov_b32_e32 v23, v19
	s_mov_b32 s18, exec_lo
	v_cmpx_gt_u32_e32 8, v10
; %bb.1325:                             ;   in Loop: Header=BB393_991 Depth=1
	v_and_b32_e32 v4, 7, v19
	v_ffbh_u32_e32 v4, v4
	v_min_u32_e32 v4, 32, v4
	v_subrev_nc_u32_e32 v10, 28, v4
	v_sub_nc_u32_e32 v4, 29, v4
	v_lshlrev_b64 v[23:24], v10, v[19:20]
; %bb.1326:                             ;   in Loop: Header=BB393_991 Depth=1
	s_or_b32 exec_lo, exec_lo, s18
	v_lshlrev_b32_e32 v10, 20, v23
	v_lshlrev_b32_e32 v12, 24, v19
	v_lshl_add_u32 v4, v4, 23, 0x3c000000
	v_and_b32_e32 v10, 0x700000, v10
	v_and_b32_e32 v12, 0x80000000, v12
	v_or3_b32 v4, v10, v12, v4
.LBB393_1327:                           ;   in Loop: Header=BB393_991 Depth=1
	s_or_b32 exec_lo, exec_lo, s15
.LBB393_1328:                           ;   in Loop: Header=BB393_991 Depth=1
	s_or_b32 exec_lo, exec_lo, s13
.LBB393_1329:                           ;   in Loop: Header=BB393_991 Depth=1
	s_or_b32 exec_lo, exec_lo, s12
	v_cmp_ne_u16_sdwa s4, v19, v11 src0_sel:BYTE_1 src1_sel:DWORD
	s_and_saveexec_b32 s12, s4
	s_cbranch_execz .LBB393_1337
; %bb.1330:                             ;   in Loop: Header=BB393_991 Depth=1
	v_cmp_ne_u16_sdwa s4, v19, v67 src0_sel:BYTE_1 src1_sel:DWORD
	v_bfrev_b32_e32 v5, 1
	s_and_saveexec_b32 s13, s4
	s_cbranch_execz .LBB393_1336
; %bb.1331:                             ;   in Loop: Header=BB393_991 Depth=1
	v_mov_b32_e32 v5, 0xffff
	s_mov_b32 s15, exec_lo
	v_and_b32_sdwa v10, v5, v19 dst_sel:DWORD dst_unused:UNUSED_PAD src0_sel:DWORD src1_sel:BYTE_1
	v_mov_b32_e32 v5, 0x7f800001
	v_and_b32_e32 v12, 0x7f, v10
	v_cmpx_ne_u32_e32 0x7f, v12
	s_cbranch_execz .LBB393_1335
; %bb.1332:                             ;   in Loop: Header=BB393_991 Depth=1
	v_and_b32_e32 v10, 7, v10
	v_mov_b32_e32 v24, v11
	v_lshrrev_b32_e32 v5, 3, v12
	s_mov_b32 s18, exec_lo
	v_mov_b32_e32 v23, v10
	v_cmpx_gt_u32_e32 8, v12
; %bb.1333:                             ;   in Loop: Header=BB393_991 Depth=1
	v_ffbh_u32_e32 v5, v10
	v_min_u32_e32 v5, 32, v5
	v_subrev_nc_u32_e32 v12, 28, v5
	v_sub_nc_u32_e32 v5, 29, v5
	v_lshlrev_b64 v[12:13], v12, v[10:11]
	v_and_b32_e32 v23, 7, v12
; %bb.1334:                             ;   in Loop: Header=BB393_991 Depth=1
	s_or_b32 exec_lo, exec_lo, s18
	v_lshlrev_b32_e32 v10, 16, v19
	v_lshlrev_b32_e32 v12, 20, v23
	v_lshl_add_u32 v5, v5, 23, 0x3c000000
	v_and_b32_e32 v10, 0x80000000, v10
	v_or3_b32 v5, v12, v10, v5
.LBB393_1335:                           ;   in Loop: Header=BB393_991 Depth=1
	s_or_b32 exec_lo, exec_lo, s15
.LBB393_1336:                           ;   in Loop: Header=BB393_991 Depth=1
	s_or_b32 exec_lo, exec_lo, s13
.LBB393_1337:                           ;   in Loop: Header=BB393_991 Depth=1
	s_or_b32 exec_lo, exec_lo, s12
	v_and_b32_sdwa v10, v19, v69 dst_sel:DWORD dst_unused:UNUSED_PAD src0_sel:WORD_1 src1_sel:DWORD
	v_mov_b32_e32 v13, 0
	v_mov_b32_e32 v12, 0
	s_mov_b32 s12, exec_lo
	v_cmpx_ne_u16_e32 0, v10
	s_cbranch_execz .LBB393_1345
; %bb.1338:                             ;   in Loop: Header=BB393_991 Depth=1
	v_bfrev_b32_e32 v12, 1
	s_mov_b32 s13, exec_lo
	v_cmpx_ne_u16_e32 0x80, v10
	s_cbranch_execz .LBB393_1344
; %bb.1339:                             ;   in Loop: Header=BB393_991 Depth=1
	v_bfe_u32 v16, v19, 16, 7
	v_mov_b32_e32 v12, 0x7f800001
	s_mov_b32 s15, exec_lo
	v_cmpx_ne_u32_e32 0x7f, v16
	s_cbranch_execz .LBB393_1343
; %bb.1340:                             ;   in Loop: Header=BB393_991 Depth=1
	v_mov_b32_e32 v10, 7
	v_lshrrev_b32_e32 v12, 3, v16
	s_mov_b32 s18, exec_lo
	v_and_b32_sdwa v10, v19, v10 dst_sel:DWORD dst_unused:UNUSED_PAD src0_sel:WORD_1 src1_sel:DWORD
	v_mov_b32_e32 v24, v11
	v_mov_b32_e32 v23, v10
	v_cmpx_gt_u32_e32 8, v16
; %bb.1341:                             ;   in Loop: Header=BB393_991 Depth=1
	v_ffbh_u32_e32 v12, v10
	v_min_u32_e32 v12, 32, v12
	v_subrev_nc_u32_e32 v16, 28, v12
	v_sub_nc_u32_e32 v12, 29, v12
	v_lshlrev_b64 v[21:22], v16, v[10:11]
	v_and_b32_e32 v23, 7, v21
; %bb.1342:                             ;   in Loop: Header=BB393_991 Depth=1
	s_or_b32 exec_lo, exec_lo, s18
	v_mov_b32_e32 v10, 24
	v_lshlrev_b32_e32 v16, 20, v23
	v_lshl_add_u32 v12, v12, 23, 0x3c000000
	v_lshlrev_b32_sdwa v10, v10, v19 dst_sel:DWORD dst_unused:UNUSED_PAD src0_sel:DWORD src1_sel:WORD_1
	v_and_b32_e32 v10, 0x80000000, v10
	v_or3_b32 v12, v16, v10, v12
.LBB393_1343:                           ;   in Loop: Header=BB393_991 Depth=1
	s_or_b32 exec_lo, exec_lo, s15
.LBB393_1344:                           ;   in Loop: Header=BB393_991 Depth=1
	s_or_b32 exec_lo, exec_lo, s13
.LBB393_1345:                           ;   in Loop: Header=BB393_991 Depth=1
	s_or_b32 exec_lo, exec_lo, s12
	s_mov_b32 s12, exec_lo
	v_cmpx_lt_u32_e32 0xffffff, v19
	s_cbranch_execz .LBB393_1353
; %bb.1346:                             ;   in Loop: Header=BB393_991 Depth=1
	v_cmp_ne_u32_sdwa s4, v19, v67 src0_sel:BYTE_3 src1_sel:DWORD
	v_bfrev_b32_e32 v13, 1
	s_and_saveexec_b32 s13, s4
	s_cbranch_execz .LBB393_1352
; %bb.1347:                             ;   in Loop: Header=BB393_991 Depth=1
	v_bfe_u32 v16, v19, 24, 7
	v_mov_b32_e32 v13, 0x7f800001
	s_mov_b32 s15, exec_lo
	v_cmpx_ne_u32_e32 0x7f, v16
	s_cbranch_execz .LBB393_1351
; %bb.1348:                             ;   in Loop: Header=BB393_991 Depth=1
	v_mov_b32_e32 v10, 7
	v_lshrrev_b32_e32 v13, 3, v16
	s_mov_b32 s18, exec_lo
	v_and_b32_sdwa v10, v19, v10 dst_sel:DWORD dst_unused:UNUSED_PAD src0_sel:BYTE_3 src1_sel:DWORD
	v_mov_b32_e32 v24, v11
	v_mov_b32_e32 v23, v10
	v_cmpx_gt_u32_e32 8, v16
; %bb.1349:                             ;   in Loop: Header=BB393_991 Depth=1
	v_ffbh_u32_e32 v13, v10
	v_min_u32_e32 v13, 32, v13
	v_subrev_nc_u32_e32 v16, 28, v13
	v_sub_nc_u32_e32 v13, 29, v13
	v_lshlrev_b64 v[21:22], v16, v[10:11]
	v_and_b32_e32 v23, 7, v21
; %bb.1350:                             ;   in Loop: Header=BB393_991 Depth=1
	s_or_b32 exec_lo, exec_lo, s18
	v_mov_b32_e32 v10, 24
	v_lshlrev_b32_e32 v16, 20, v23
	v_lshl_add_u32 v13, v13, 23, 0x3c000000
	v_lshlrev_b32_sdwa v10, v10, v19 dst_sel:DWORD dst_unused:UNUSED_PAD src0_sel:DWORD src1_sel:BYTE_3
	v_and_b32_e32 v10, 0x80000000, v10
	v_or3_b32 v13, v16, v10, v13
.LBB393_1351:                           ;   in Loop: Header=BB393_991 Depth=1
	s_or_b32 exec_lo, exec_lo, s15
.LBB393_1352:                           ;   in Loop: Header=BB393_991 Depth=1
	s_or_b32 exec_lo, exec_lo, s13
.LBB393_1353:                           ;   in Loop: Header=BB393_991 Depth=1
	s_or_b32 exec_lo, exec_lo, s12
	v_mov_b32_e32 v10, v20
	v_cmp_ne_u16_sdwa s4, v20, v11 src0_sel:BYTE_0 src1_sel:DWORD
	v_mov_b32_e32 v21, 0
	v_mov_b32_e32 v16, 0
	s_and_saveexec_b32 s12, s4
	s_cbranch_execz .LBB393_1361
; %bb.1354:                             ;   in Loop: Header=BB393_991 Depth=1
	v_cmp_ne_u16_sdwa s4, v20, v67 src0_sel:BYTE_0 src1_sel:DWORD
	v_bfrev_b32_e32 v16, 1
	s_and_saveexec_b32 s13, s4
	s_cbranch_execz .LBB393_1360
; %bb.1355:                             ;   in Loop: Header=BB393_991 Depth=1
	v_and_b32_e32 v22, 0x7f, v20
	v_mov_b32_e32 v16, 0x7f800001
	s_mov_b32 s15, exec_lo
	v_cmpx_ne_u32_e32 0x7f, v22
	s_cbranch_execz .LBB393_1359
; %bb.1356:                             ;   in Loop: Header=BB393_991 Depth=1
	v_mov_b32_e32 v24, v11
	v_lshrrev_b32_e32 v16, 3, v22
	v_mov_b32_e32 v23, v10
	s_mov_b32 s18, exec_lo
	v_cmpx_gt_u32_e32 8, v22
; %bb.1357:                             ;   in Loop: Header=BB393_991 Depth=1
	v_and_b32_e32 v16, 7, v20
	v_ffbh_u32_e32 v16, v16
	v_min_u32_e32 v16, 32, v16
	v_subrev_nc_u32_e32 v22, 28, v16
	v_sub_nc_u32_e32 v16, 29, v16
	v_lshlrev_b64 v[23:24], v22, v[10:11]
; %bb.1358:                             ;   in Loop: Header=BB393_991 Depth=1
	s_or_b32 exec_lo, exec_lo, s18
	v_lshlrev_b32_e32 v22, 20, v23
	v_lshlrev_b32_e32 v23, 24, v10
	v_lshl_add_u32 v16, v16, 23, 0x3c000000
	v_and_b32_e32 v22, 0x700000, v22
	v_and_b32_e32 v23, 0x80000000, v23
	v_or3_b32 v16, v22, v23, v16
.LBB393_1359:                           ;   in Loop: Header=BB393_991 Depth=1
	s_or_b32 exec_lo, exec_lo, s15
.LBB393_1360:                           ;   in Loop: Header=BB393_991 Depth=1
	s_or_b32 exec_lo, exec_lo, s13
.LBB393_1361:                           ;   in Loop: Header=BB393_991 Depth=1
	s_or_b32 exec_lo, exec_lo, s12
	v_cmp_ne_u16_sdwa s4, v10, v11 src0_sel:BYTE_1 src1_sel:DWORD
	s_and_saveexec_b32 s12, s4
	s_cbranch_execz .LBB393_1369
; %bb.1362:                             ;   in Loop: Header=BB393_991 Depth=1
	v_cmp_ne_u16_sdwa s4, v10, v67 src0_sel:BYTE_1 src1_sel:DWORD
	v_bfrev_b32_e32 v21, 1
	s_and_saveexec_b32 s13, s4
	s_cbranch_execz .LBB393_1368
; %bb.1363:                             ;   in Loop: Header=BB393_991 Depth=1
	v_mov_b32_e32 v21, 0xffff
	s_mov_b32 s15, exec_lo
	v_and_b32_sdwa v23, v21, v10 dst_sel:DWORD dst_unused:UNUSED_PAD src0_sel:DWORD src1_sel:BYTE_1
	v_mov_b32_e32 v21, 0x7f800001
	v_and_b32_e32 v22, 0x7f, v23
	v_cmpx_ne_u32_e32 0x7f, v22
	s_cbranch_execz .LBB393_1367
; %bb.1364:                             ;   in Loop: Header=BB393_991 Depth=1
	v_and_b32_e32 v23, 7, v23
	v_mov_b32_e32 v24, v11
	v_lshrrev_b32_e32 v21, 3, v22
	s_mov_b32 s18, exec_lo
	v_cmpx_gt_u32_e32 8, v22
; %bb.1365:                             ;   in Loop: Header=BB393_991 Depth=1
	v_ffbh_u32_e32 v21, v23
	v_min_u32_e32 v21, 32, v21
	v_subrev_nc_u32_e32 v22, 28, v21
	v_sub_nc_u32_e32 v21, 29, v21
	v_lshlrev_b64 v[22:23], v22, v[23:24]
	v_and_b32_e32 v23, 7, v22
; %bb.1366:                             ;   in Loop: Header=BB393_991 Depth=1
	s_or_b32 exec_lo, exec_lo, s18
	v_lshlrev_b32_e32 v10, 16, v10
	v_lshlrev_b32_e32 v22, 20, v23
	v_lshl_add_u32 v21, v21, 23, 0x3c000000
	v_and_b32_e32 v10, 0x80000000, v10
	v_or3_b32 v21, v22, v10, v21
.LBB393_1367:                           ;   in Loop: Header=BB393_991 Depth=1
	s_or_b32 exec_lo, exec_lo, s15
.LBB393_1368:                           ;   in Loop: Header=BB393_991 Depth=1
	s_or_b32 exec_lo, exec_lo, s13
.LBB393_1369:                           ;   in Loop: Header=BB393_991 Depth=1
	s_or_b32 exec_lo, exec_lo, s12
	v_and_b32_sdwa v10, v20, v69 dst_sel:DWORD dst_unused:UNUSED_PAD src0_sel:WORD_1 src1_sel:DWORD
	v_mov_b32_e32 v25, 0
	v_mov_b32_e32 v27, 0
	s_mov_b32 s12, exec_lo
	v_cmpx_ne_u16_e32 0, v10
	s_cbranch_execz .LBB393_1377
; %bb.1370:                             ;   in Loop: Header=BB393_991 Depth=1
	v_bfrev_b32_e32 v27, 1
	s_mov_b32 s13, exec_lo
	v_cmpx_ne_u16_e32 0x80, v10
	s_cbranch_execz .LBB393_1376
; %bb.1371:                             ;   in Loop: Header=BB393_991 Depth=1
	v_bfe_u32 v23, v20, 16, 7
	v_mov_b32_e32 v27, 0x7f800001
	s_mov_b32 s15, exec_lo
	v_cmpx_ne_u32_e32 0x7f, v23
	s_cbranch_execz .LBB393_1375
; %bb.1372:                             ;   in Loop: Header=BB393_991 Depth=1
	v_mov_b32_e32 v10, 7
	v_lshrrev_b32_e32 v22, 3, v23
	v_cmp_gt_u32_e64 s4, 8, v23
	v_and_b32_sdwa v10, v20, v10 dst_sel:DWORD dst_unused:UNUSED_PAD src0_sel:WORD_1 src1_sel:DWORD
	v_mov_b32_e32 v24, v11
	v_mov_b32_e32 v23, v10
	s_and_saveexec_b32 s18, s4
; %bb.1373:                             ;   in Loop: Header=BB393_991 Depth=1
	v_ffbh_u32_e32 v22, v10
	v_min_u32_e32 v22, 32, v22
	v_subrev_nc_u32_e32 v23, 28, v22
	v_sub_nc_u32_e32 v22, 29, v22
	v_lshlrev_b64 v[23:24], v23, v[10:11]
	v_and_b32_e32 v23, 7, v23
; %bb.1374:                             ;   in Loop: Header=BB393_991 Depth=1
	s_or_b32 exec_lo, exec_lo, s18
	v_mov_b32_e32 v10, 24
	v_lshlrev_b32_e32 v23, 20, v23
	v_lshl_add_u32 v22, v22, 23, 0x3c000000
	v_lshlrev_b32_sdwa v10, v10, v20 dst_sel:DWORD dst_unused:UNUSED_PAD src0_sel:DWORD src1_sel:WORD_1
	v_and_b32_e32 v10, 0x80000000, v10
	v_or3_b32 v27, v23, v10, v22
.LBB393_1375:                           ;   in Loop: Header=BB393_991 Depth=1
	s_or_b32 exec_lo, exec_lo, s15
.LBB393_1376:                           ;   in Loop: Header=BB393_991 Depth=1
	s_or_b32 exec_lo, exec_lo, s13
.LBB393_1377:                           ;   in Loop: Header=BB393_991 Depth=1
	s_or_b32 exec_lo, exec_lo, s12
	s_mov_b32 s12, exec_lo
	v_cmpx_lt_u64_e64 s[8:9], v[19:20]
	s_cbranch_execz .LBB393_1385
; %bb.1378:                             ;   in Loop: Header=BB393_991 Depth=1
	v_cmp_ne_u32_sdwa s4, v20, v67 src0_sel:BYTE_3 src1_sel:DWORD
	v_bfrev_b32_e32 v25, 1
	s_and_saveexec_b32 s13, s4
	s_cbranch_execz .LBB393_1384
; %bb.1379:                             ;   in Loop: Header=BB393_991 Depth=1
	v_bfe_u32 v22, v20, 24, 7
	v_mov_b32_e32 v25, 0x7f800001
	s_mov_b32 s15, exec_lo
	v_cmpx_ne_u32_e32 0x7f, v22
	s_cbranch_execz .LBB393_1383
; %bb.1380:                             ;   in Loop: Header=BB393_991 Depth=1
	v_mov_b32_e32 v10, 7
	v_lshrrev_b32_e32 v19, 3, v22
	s_mov_b32 s18, exec_lo
	v_and_b32_sdwa v10, v20, v10 dst_sel:DWORD dst_unused:UNUSED_PAD src0_sel:BYTE_3 src1_sel:DWORD
	v_mov_b32_e32 v24, v11
	v_mov_b32_e32 v23, v10
	v_cmpx_gt_u32_e32 8, v22
; %bb.1381:                             ;   in Loop: Header=BB393_991 Depth=1
	v_ffbh_u32_e32 v19, v10
	v_min_u32_e32 v19, 32, v19
	v_subrev_nc_u32_e32 v22, 28, v19
	v_sub_nc_u32_e32 v19, 29, v19
	v_lshlrev_b64 v[22:23], v22, v[10:11]
	v_and_b32_e32 v23, 7, v22
; %bb.1382:                             ;   in Loop: Header=BB393_991 Depth=1
	s_or_b32 exec_lo, exec_lo, s18
	v_mov_b32_e32 v10, 24
	v_lshl_add_u32 v19, v19, 23, 0x3c000000
	v_lshlrev_b32_sdwa v10, v10, v20 dst_sel:DWORD dst_unused:UNUSED_PAD src0_sel:DWORD src1_sel:BYTE_3
	v_lshlrev_b32_e32 v20, 20, v23
	v_and_b32_e32 v10, 0x80000000, v10
	v_or3_b32 v25, v20, v10, v19
.LBB393_1383:                           ;   in Loop: Header=BB393_991 Depth=1
	s_or_b32 exec_lo, exec_lo, s15
.LBB393_1384:                           ;   in Loop: Header=BB393_991 Depth=1
	s_or_b32 exec_lo, exec_lo, s13
.LBB393_1385:                           ;   in Loop: Header=BB393_991 Depth=1
	s_or_b32 exec_lo, exec_lo, s12
	v_mul_f32_e32 v10, v26, v21
	v_mul_f32_e32 v16, v26, v16
	;; [unrolled: 1-line block ×5, first 2 shown]
	v_bfe_u32 v19, v10, 16, 1
	v_or_b32_e32 v20, 0x400000, v10
	v_bfe_u32 v21, v16, 16, 1
	v_cmp_u_f32_e64 s4, v10, v10
	v_or_b32_e32 v22, 0x400000, v16
	v_add3_u32 v19, v19, v10, 0x7fff
	v_bfe_u32 v23, v13, 16, 1
	v_add3_u32 v21, v21, v16, 0x7fff
	v_or_b32_e32 v24, 0x400000, v13
	v_bfe_u32 v28, v12, 16, 1
	v_cndmask_b32_e64 v10, v19, v20, s4
	v_cmp_u_f32_e64 s4, v16, v16
	v_add3_u32 v23, v23, v13, 0x7fff
	v_or_b32_e32 v20, 0x400000, v12
	v_add3_u32 v19, v28, v12, 0x7fff
	v_cndmask_b32_e64 v16, v21, v22, s4
	v_cmp_u_f32_e64 s4, v13, v13
	v_lshrrev_b32_e32 v22, 16, v10
	v_mul_f32_e32 v10, v26, v5
	v_bfe_u32 v21, v4, 16, 1
	v_lshrrev_b32_e32 v5, 16, v16
	v_cndmask_b32_e64 v13, v23, v24, s4
	v_cmp_u_f32_e64 s4, v12, v12
	v_mul_f32_e32 v16, v26, v27
	v_lshrrev_b32_e32 v36, 16, v13
	v_bfe_u32 v13, v10, 16, 1
	v_cndmask_b32_e64 v12, v19, v20, s4
	v_or_b32_e32 v19, 0x400000, v10
	v_cmp_u_f32_e64 s4, v10, v10
	v_mul_f32_e32 v20, v26, v25
	v_add3_u32 v13, v13, v10, 0x7fff
	v_bfe_u32 v23, v16, 16, 1
	v_or_b32_e32 v24, 0x400000, v16
	v_lshrrev_b32_e32 v37, 16, v12
	v_or_b32_e32 v25, 0x400000, v20
	v_cndmask_b32_e64 v10, v13, v19, s4
	v_add3_u32 v19, v21, v4, 0x7fff
	v_or_b32_e32 v21, 0x400000, v4
	v_cmp_u_f32_e64 s4, v4, v4
	v_bfe_u32 v13, v20, 16, 1
	v_add3_u32 v23, v23, v16, 0x7fff
	v_lshrrev_b32_e32 v79, 16, v10
	v_cndmask_b32_e64 v4, v19, v21, s4
	v_cmp_u_f32_e64 s4, v16, v16
	v_add3_u32 v13, v13, v20, 0x7fff
	v_lshrrev_b32_e32 v38, 16, v4
	v_cndmask_b32_e64 v16, v23, v24, s4
	v_cmp_u_f32_e64 s4, v20, v20
	v_lshrrev_b32_e32 v27, 16, v16
	v_cndmask_b32_e64 v13, v13, v25, s4
	v_lshrrev_b32_e32 v34, 16, v13
	s_and_saveexec_b32 s12, vcc_lo
	s_cbranch_execz .LBB393_1387
; %bb.1386:                             ;   in Loop: Header=BB393_991 Depth=1
	v_cmp_lt_i32_e64 s4, v44, v35
	v_cndmask_b32_e64 v38, 0, v38, s4
	v_cmp_lt_i32_e64 s4, v61, v35
	v_cndmask_b32_e64 v79, 0, v79, s4
	;; [unrolled: 2-line block ×8, first 2 shown]
.LBB393_1387:                           ;   in Loop: Header=BB393_991 Depth=1
	s_or_b32 exec_lo, exec_lo, s12
	flat_load_dwordx2 v[19:20], v[17:18] offset:1536
	v_mov_b32_e32 v12, 0
	v_mov_b32_e32 v4, 0
	s_waitcnt vmcnt(0) lgkmcnt(0)
	v_cmp_ne_u16_sdwa s4, v19, v11 src0_sel:BYTE_0 src1_sel:DWORD
	s_and_saveexec_b32 s12, s4
	s_cbranch_execz .LBB393_1395
; %bb.1388:                             ;   in Loop: Header=BB393_991 Depth=1
	v_cmp_ne_u16_sdwa s4, v19, v67 src0_sel:BYTE_0 src1_sel:DWORD
	v_bfrev_b32_e32 v4, 1
	s_and_saveexec_b32 s13, s4
	s_cbranch_execz .LBB393_1394
; %bb.1389:                             ;   in Loop: Header=BB393_991 Depth=1
	v_and_b32_e32 v10, 0x7f, v19
	v_mov_b32_e32 v4, 0x7f800001
	s_mov_b32 s15, exec_lo
	v_cmpx_ne_u32_e32 0x7f, v10
	s_cbranch_execz .LBB393_1393
; %bb.1390:                             ;   in Loop: Header=BB393_991 Depth=1
	v_mov_b32_e32 v24, v20
	v_lshrrev_b32_e32 v4, 3, v10
	v_mov_b32_e32 v23, v19
	s_mov_b32 s18, exec_lo
	v_cmpx_gt_u32_e32 8, v10
; %bb.1391:                             ;   in Loop: Header=BB393_991 Depth=1
	v_and_b32_e32 v4, 7, v19
	v_ffbh_u32_e32 v4, v4
	v_min_u32_e32 v4, 32, v4
	v_subrev_nc_u32_e32 v10, 28, v4
	v_sub_nc_u32_e32 v4, 29, v4
	v_lshlrev_b64 v[23:24], v10, v[19:20]
; %bb.1392:                             ;   in Loop: Header=BB393_991 Depth=1
	s_or_b32 exec_lo, exec_lo, s18
	v_lshlrev_b32_e32 v10, 20, v23
	v_lshlrev_b32_e32 v13, 24, v19
	v_lshl_add_u32 v4, v4, 23, 0x3c000000
	v_and_b32_e32 v10, 0x700000, v10
	v_and_b32_e32 v13, 0x80000000, v13
	v_or3_b32 v4, v10, v13, v4
.LBB393_1393:                           ;   in Loop: Header=BB393_991 Depth=1
	s_or_b32 exec_lo, exec_lo, s15
.LBB393_1394:                           ;   in Loop: Header=BB393_991 Depth=1
	s_or_b32 exec_lo, exec_lo, s13
.LBB393_1395:                           ;   in Loop: Header=BB393_991 Depth=1
	s_or_b32 exec_lo, exec_lo, s12
	v_cmp_ne_u16_sdwa s4, v19, v11 src0_sel:BYTE_1 src1_sel:DWORD
	s_and_saveexec_b32 s12, s4
	s_cbranch_execz .LBB393_1403
; %bb.1396:                             ;   in Loop: Header=BB393_991 Depth=1
	v_cmp_ne_u16_sdwa s4, v19, v67 src0_sel:BYTE_1 src1_sel:DWORD
	v_bfrev_b32_e32 v12, 1
	s_and_saveexec_b32 s13, s4
	s_cbranch_execz .LBB393_1402
; %bb.1397:                             ;   in Loop: Header=BB393_991 Depth=1
	v_mov_b32_e32 v10, 0xffff
	v_mov_b32_e32 v12, 0x7f800001
	s_mov_b32 s15, exec_lo
	v_and_b32_sdwa v10, v10, v19 dst_sel:DWORD dst_unused:UNUSED_PAD src0_sel:DWORD src1_sel:BYTE_1
	v_and_b32_e32 v13, 0x7f, v10
	v_cmpx_ne_u32_e32 0x7f, v13
	s_cbranch_execz .LBB393_1401
; %bb.1398:                             ;   in Loop: Header=BB393_991 Depth=1
	v_and_b32_e32 v10, 7, v10
	v_mov_b32_e32 v24, v11
	v_lshrrev_b32_e32 v12, 3, v13
	s_mov_b32 s18, exec_lo
	v_mov_b32_e32 v23, v10
	v_cmpx_gt_u32_e32 8, v13
; %bb.1399:                             ;   in Loop: Header=BB393_991 Depth=1
	v_ffbh_u32_e32 v12, v10
	v_min_u32_e32 v12, 32, v12
	v_subrev_nc_u32_e32 v13, 28, v12
	v_sub_nc_u32_e32 v12, 29, v12
	v_lshlrev_b64 v[23:24], v13, v[10:11]
	v_and_b32_e32 v23, 7, v23
; %bb.1400:                             ;   in Loop: Header=BB393_991 Depth=1
	s_or_b32 exec_lo, exec_lo, s18
	v_lshlrev_b32_e32 v10, 16, v19
	v_lshlrev_b32_e32 v13, 20, v23
	v_lshl_add_u32 v12, v12, 23, 0x3c000000
	v_and_b32_e32 v10, 0x80000000, v10
	v_or3_b32 v12, v13, v10, v12
.LBB393_1401:                           ;   in Loop: Header=BB393_991 Depth=1
	s_or_b32 exec_lo, exec_lo, s15
.LBB393_1402:                           ;   in Loop: Header=BB393_991 Depth=1
	s_or_b32 exec_lo, exec_lo, s13
.LBB393_1403:                           ;   in Loop: Header=BB393_991 Depth=1
	s_or_b32 exec_lo, exec_lo, s12
	v_and_b32_sdwa v10, v19, v69 dst_sel:DWORD dst_unused:UNUSED_PAD src0_sel:WORD_1 src1_sel:DWORD
	v_mov_b32_e32 v16, 0
	v_mov_b32_e32 v13, 0
	s_mov_b32 s12, exec_lo
	v_cmpx_ne_u16_e32 0, v10
	s_cbranch_execz .LBB393_1411
; %bb.1404:                             ;   in Loop: Header=BB393_991 Depth=1
	v_bfrev_b32_e32 v13, 1
	s_mov_b32 s13, exec_lo
	v_cmpx_ne_u16_e32 0x80, v10
	s_cbranch_execz .LBB393_1410
; %bb.1405:                             ;   in Loop: Header=BB393_991 Depth=1
	v_bfe_u32 v21, v19, 16, 7
	v_mov_b32_e32 v13, 0x7f800001
	s_mov_b32 s15, exec_lo
	v_cmpx_ne_u32_e32 0x7f, v21
	s_cbranch_execz .LBB393_1409
; %bb.1406:                             ;   in Loop: Header=BB393_991 Depth=1
	v_mov_b32_e32 v10, 7
	v_lshrrev_b32_e32 v13, 3, v21
	s_mov_b32 s18, exec_lo
	v_and_b32_sdwa v10, v19, v10 dst_sel:DWORD dst_unused:UNUSED_PAD src0_sel:WORD_1 src1_sel:DWORD
	v_mov_b32_e32 v24, v11
	v_mov_b32_e32 v23, v10
	v_cmpx_gt_u32_e32 8, v21
; %bb.1407:                             ;   in Loop: Header=BB393_991 Depth=1
	v_ffbh_u32_e32 v13, v10
	v_min_u32_e32 v13, 32, v13
	v_subrev_nc_u32_e32 v21, 28, v13
	v_sub_nc_u32_e32 v13, 29, v13
	v_lshlrev_b64 v[23:24], v21, v[10:11]
	v_and_b32_e32 v23, 7, v23
; %bb.1408:                             ;   in Loop: Header=BB393_991 Depth=1
	s_or_b32 exec_lo, exec_lo, s18
	v_mov_b32_e32 v10, 24
	v_lshlrev_b32_e32 v21, 20, v23
	v_lshl_add_u32 v13, v13, 23, 0x3c000000
	v_lshlrev_b32_sdwa v10, v10, v19 dst_sel:DWORD dst_unused:UNUSED_PAD src0_sel:DWORD src1_sel:WORD_1
	v_and_b32_e32 v10, 0x80000000, v10
	v_or3_b32 v13, v21, v10, v13
.LBB393_1409:                           ;   in Loop: Header=BB393_991 Depth=1
	s_or_b32 exec_lo, exec_lo, s15
.LBB393_1410:                           ;   in Loop: Header=BB393_991 Depth=1
	s_or_b32 exec_lo, exec_lo, s13
.LBB393_1411:                           ;   in Loop: Header=BB393_991 Depth=1
	s_or_b32 exec_lo, exec_lo, s12
	s_mov_b32 s12, exec_lo
	v_cmpx_lt_u32_e32 0xffffff, v19
	s_cbranch_execz .LBB393_1419
; %bb.1412:                             ;   in Loop: Header=BB393_991 Depth=1
	v_cmp_ne_u32_sdwa s4, v19, v67 src0_sel:BYTE_3 src1_sel:DWORD
	v_bfrev_b32_e32 v16, 1
	s_and_saveexec_b32 s13, s4
	s_cbranch_execz .LBB393_1418
; %bb.1413:                             ;   in Loop: Header=BB393_991 Depth=1
	v_bfe_u32 v21, v19, 24, 7
	v_mov_b32_e32 v16, 0x7f800001
	s_mov_b32 s15, exec_lo
	v_cmpx_ne_u32_e32 0x7f, v21
	s_cbranch_execz .LBB393_1417
; %bb.1414:                             ;   in Loop: Header=BB393_991 Depth=1
	v_mov_b32_e32 v10, 7
	v_lshrrev_b32_e32 v16, 3, v21
	s_mov_b32 s18, exec_lo
	v_and_b32_sdwa v10, v19, v10 dst_sel:DWORD dst_unused:UNUSED_PAD src0_sel:BYTE_3 src1_sel:DWORD
	v_mov_b32_e32 v24, v11
	v_mov_b32_e32 v23, v10
	v_cmpx_gt_u32_e32 8, v21
; %bb.1415:                             ;   in Loop: Header=BB393_991 Depth=1
	v_ffbh_u32_e32 v16, v10
	v_min_u32_e32 v16, 32, v16
	v_subrev_nc_u32_e32 v21, 28, v16
	v_sub_nc_u32_e32 v16, 29, v16
	v_lshlrev_b64 v[23:24], v21, v[10:11]
	v_and_b32_e32 v23, 7, v23
; %bb.1416:                             ;   in Loop: Header=BB393_991 Depth=1
	s_or_b32 exec_lo, exec_lo, s18
	v_mov_b32_e32 v10, 24
	v_lshlrev_b32_e32 v21, 20, v23
	v_lshl_add_u32 v16, v16, 23, 0x3c000000
	v_lshlrev_b32_sdwa v10, v10, v19 dst_sel:DWORD dst_unused:UNUSED_PAD src0_sel:DWORD src1_sel:BYTE_3
	v_and_b32_e32 v10, 0x80000000, v10
	v_or3_b32 v16, v21, v10, v16
.LBB393_1417:                           ;   in Loop: Header=BB393_991 Depth=1
	s_or_b32 exec_lo, exec_lo, s15
.LBB393_1418:                           ;   in Loop: Header=BB393_991 Depth=1
	s_or_b32 exec_lo, exec_lo, s13
.LBB393_1419:                           ;   in Loop: Header=BB393_991 Depth=1
	s_or_b32 exec_lo, exec_lo, s12
	v_mov_b32_e32 v10, v20
	v_cmp_ne_u16_sdwa s4, v20, v11 src0_sel:BYTE_0 src1_sel:DWORD
	v_mov_b32_e32 v25, 0
	v_mov_b32_e32 v21, 0
	s_and_saveexec_b32 s12, s4
	s_cbranch_execz .LBB393_1427
; %bb.1420:                             ;   in Loop: Header=BB393_991 Depth=1
	v_cmp_ne_u16_sdwa s4, v20, v67 src0_sel:BYTE_0 src1_sel:DWORD
	v_bfrev_b32_e32 v21, 1
	s_and_saveexec_b32 s13, s4
	s_cbranch_execz .LBB393_1426
; %bb.1421:                             ;   in Loop: Header=BB393_991 Depth=1
	v_and_b32_e32 v23, 0x7f, v20
	v_mov_b32_e32 v21, 0x7f800001
	s_mov_b32 s15, exec_lo
	v_cmpx_ne_u32_e32 0x7f, v23
	s_cbranch_execz .LBB393_1425
; %bb.1422:                             ;   in Loop: Header=BB393_991 Depth=1
	v_lshrrev_b32_e32 v21, 3, v23
	v_cmp_gt_u32_e64 s4, 8, v23
	v_mov_b32_e32 v24, v11
	v_mov_b32_e32 v23, v10
	s_and_saveexec_b32 s18, s4
; %bb.1423:                             ;   in Loop: Header=BB393_991 Depth=1
	v_and_b32_e32 v21, 7, v20
	v_ffbh_u32_e32 v21, v21
	v_min_u32_e32 v21, 32, v21
	v_subrev_nc_u32_e32 v23, 28, v21
	v_sub_nc_u32_e32 v21, 29, v21
	v_lshlrev_b64 v[23:24], v23, v[10:11]
; %bb.1424:                             ;   in Loop: Header=BB393_991 Depth=1
	s_or_b32 exec_lo, exec_lo, s18
	v_lshlrev_b32_e32 v23, 20, v23
	v_lshlrev_b32_e32 v24, 24, v10
	v_lshl_add_u32 v21, v21, 23, 0x3c000000
	v_and_b32_e32 v23, 0x700000, v23
	v_and_b32_e32 v24, 0x80000000, v24
	v_or3_b32 v21, v23, v24, v21
.LBB393_1425:                           ;   in Loop: Header=BB393_991 Depth=1
	s_or_b32 exec_lo, exec_lo, s15
.LBB393_1426:                           ;   in Loop: Header=BB393_991 Depth=1
	s_or_b32 exec_lo, exec_lo, s13
.LBB393_1427:                           ;   in Loop: Header=BB393_991 Depth=1
	s_or_b32 exec_lo, exec_lo, s12
	v_cmp_ne_u16_sdwa s4, v10, v11 src0_sel:BYTE_1 src1_sel:DWORD
	s_and_saveexec_b32 s12, s4
	s_cbranch_execz .LBB393_1435
; %bb.1428:                             ;   in Loop: Header=BB393_991 Depth=1
	v_cmp_ne_u16_sdwa s4, v10, v67 src0_sel:BYTE_1 src1_sel:DWORD
	v_bfrev_b32_e32 v25, 1
	s_and_saveexec_b32 s13, s4
	s_cbranch_execz .LBB393_1434
; %bb.1429:                             ;   in Loop: Header=BB393_991 Depth=1
	v_mov_b32_e32 v23, 0xffff
	v_mov_b32_e32 v25, 0x7f800001
	s_mov_b32 s15, exec_lo
	v_and_b32_sdwa v23, v23, v10 dst_sel:DWORD dst_unused:UNUSED_PAD src0_sel:DWORD src1_sel:BYTE_1
	v_and_b32_e32 v28, 0x7f, v23
	v_cmpx_ne_u32_e32 0x7f, v28
	s_cbranch_execz .LBB393_1433
; %bb.1430:                             ;   in Loop: Header=BB393_991 Depth=1
	v_and_b32_e32 v23, 7, v23
	v_mov_b32_e32 v24, v11
	v_lshrrev_b32_e32 v25, 3, v28
	s_mov_b32 s18, exec_lo
	v_cmpx_gt_u32_e32 8, v28
; %bb.1431:                             ;   in Loop: Header=BB393_991 Depth=1
	v_ffbh_u32_e32 v25, v23
	v_min_u32_e32 v25, 32, v25
	v_subrev_nc_u32_e32 v28, 28, v25
	v_sub_nc_u32_e32 v25, 29, v25
	v_lshlrev_b64 v[23:24], v28, v[23:24]
	v_and_b32_e32 v23, 7, v23
; %bb.1432:                             ;   in Loop: Header=BB393_991 Depth=1
	s_or_b32 exec_lo, exec_lo, s18
	v_lshlrev_b32_e32 v10, 16, v10
	v_lshlrev_b32_e32 v23, 20, v23
	v_lshl_add_u32 v24, v25, 23, 0x3c000000
	v_and_b32_e32 v10, 0x80000000, v10
	v_or3_b32 v25, v23, v10, v24
.LBB393_1433:                           ;   in Loop: Header=BB393_991 Depth=1
	s_or_b32 exec_lo, exec_lo, s15
.LBB393_1434:                           ;   in Loop: Header=BB393_991 Depth=1
	s_or_b32 exec_lo, exec_lo, s13
.LBB393_1435:                           ;   in Loop: Header=BB393_991 Depth=1
	s_or_b32 exec_lo, exec_lo, s12
	v_and_b32_sdwa v10, v20, v69 dst_sel:DWORD dst_unused:UNUSED_PAD src0_sel:WORD_1 src1_sel:DWORD
	v_mov_b32_e32 v28, 0
	v_mov_b32_e32 v68, 0
	s_mov_b32 s12, exec_lo
	v_cmpx_ne_u16_e32 0, v10
	s_cbranch_execz .LBB393_1443
; %bb.1436:                             ;   in Loop: Header=BB393_991 Depth=1
	v_bfrev_b32_e32 v68, 1
	s_mov_b32 s13, exec_lo
	v_cmpx_ne_u16_e32 0x80, v10
	s_cbranch_execz .LBB393_1442
; %bb.1437:                             ;   in Loop: Header=BB393_991 Depth=1
	v_bfe_u32 v23, v20, 16, 7
	v_mov_b32_e32 v68, 0x7f800001
	s_mov_b32 s15, exec_lo
	v_cmpx_ne_u32_e32 0x7f, v23
	s_cbranch_execz .LBB393_1441
; %bb.1438:                             ;   in Loop: Header=BB393_991 Depth=1
	v_mov_b32_e32 v10, 7
	v_lshrrev_b32_e32 v68, 3, v23
	v_cmp_gt_u32_e64 s4, 8, v23
	v_and_b32_sdwa v10, v20, v10 dst_sel:DWORD dst_unused:UNUSED_PAD src0_sel:WORD_1 src1_sel:DWORD
	v_mov_b32_e32 v24, v11
	v_mov_b32_e32 v23, v10
	s_and_saveexec_b32 s18, s4
; %bb.1439:                             ;   in Loop: Header=BB393_991 Depth=1
	v_ffbh_u32_e32 v23, v10
	v_min_u32_e32 v68, 32, v23
	v_subrev_nc_u32_e32 v23, 28, v68
	v_sub_nc_u32_e32 v68, 29, v68
	v_lshlrev_b64 v[23:24], v23, v[10:11]
	v_and_b32_e32 v23, 7, v23
; %bb.1440:                             ;   in Loop: Header=BB393_991 Depth=1
	s_or_b32 exec_lo, exec_lo, s18
	v_mov_b32_e32 v10, 24
	v_lshlrev_b32_e32 v23, 20, v23
	v_lshl_add_u32 v24, v68, 23, 0x3c000000
	v_lshlrev_b32_sdwa v10, v10, v20 dst_sel:DWORD dst_unused:UNUSED_PAD src0_sel:DWORD src1_sel:WORD_1
	v_and_b32_e32 v10, 0x80000000, v10
	v_or3_b32 v68, v23, v10, v24
.LBB393_1441:                           ;   in Loop: Header=BB393_991 Depth=1
	s_or_b32 exec_lo, exec_lo, s15
.LBB393_1442:                           ;   in Loop: Header=BB393_991 Depth=1
	s_or_b32 exec_lo, exec_lo, s13
.LBB393_1443:                           ;   in Loop: Header=BB393_991 Depth=1
	s_or_b32 exec_lo, exec_lo, s12
	s_mov_b32 s12, exec_lo
	v_cmpx_lt_u64_e64 s[8:9], v[19:20]
	s_cbranch_execz .LBB393_1451
; %bb.1444:                             ;   in Loop: Header=BB393_991 Depth=1
	v_cmp_ne_u32_sdwa s4, v20, v67 src0_sel:BYTE_3 src1_sel:DWORD
	v_bfrev_b32_e32 v28, 1
	s_and_saveexec_b32 s13, s4
	s_cbranch_execz .LBB393_1450
; %bb.1445:                             ;   in Loop: Header=BB393_991 Depth=1
	v_bfe_u32 v23, v20, 24, 7
	v_mov_b32_e32 v28, 0x7f800001
	s_mov_b32 s15, exec_lo
	v_cmpx_ne_u32_e32 0x7f, v23
	s_cbranch_execz .LBB393_1449
; %bb.1446:                             ;   in Loop: Header=BB393_991 Depth=1
	v_mov_b32_e32 v10, 7
	v_lshrrev_b32_e32 v19, 3, v23
	v_cmp_gt_u32_e64 s4, 8, v23
	v_and_b32_sdwa v10, v20, v10 dst_sel:DWORD dst_unused:UNUSED_PAD src0_sel:BYTE_3 src1_sel:DWORD
	v_mov_b32_e32 v24, v11
	v_mov_b32_e32 v23, v10
	s_and_saveexec_b32 s18, s4
; %bb.1447:                             ;   in Loop: Header=BB393_991 Depth=1
	v_ffbh_u32_e32 v19, v10
	v_min_u32_e32 v19, 32, v19
	v_subrev_nc_u32_e32 v23, 28, v19
	v_sub_nc_u32_e32 v19, 29, v19
	v_lshlrev_b64 v[23:24], v23, v[10:11]
	v_and_b32_e32 v23, 7, v23
; %bb.1448:                             ;   in Loop: Header=BB393_991 Depth=1
	s_or_b32 exec_lo, exec_lo, s18
	v_mov_b32_e32 v10, 24
	v_lshl_add_u32 v19, v19, 23, 0x3c000000
	v_lshlrev_b32_sdwa v10, v10, v20 dst_sel:DWORD dst_unused:UNUSED_PAD src0_sel:DWORD src1_sel:BYTE_3
	v_lshlrev_b32_e32 v20, 20, v23
	v_and_b32_e32 v10, 0x80000000, v10
	v_or3_b32 v28, v20, v10, v19
.LBB393_1449:                           ;   in Loop: Header=BB393_991 Depth=1
	s_or_b32 exec_lo, exec_lo, s15
.LBB393_1450:                           ;   in Loop: Header=BB393_991 Depth=1
	s_or_b32 exec_lo, exec_lo, s13
.LBB393_1451:                           ;   in Loop: Header=BB393_991 Depth=1
	s_or_b32 exec_lo, exec_lo, s12
	v_mul_f32_e32 v10, v26, v25
	v_mul_f32_e32 v19, v26, v21
	;; [unrolled: 1-line block ×5, first 2 shown]
	v_bfe_u32 v20, v10, 16, 1
	v_or_b32_e32 v21, 0x400000, v10
	v_bfe_u32 v23, v19, 16, 1
	v_cmp_u_f32_e64 s4, v10, v10
	v_or_b32_e32 v24, 0x400000, v19
	v_add3_u32 v20, v20, v10, 0x7fff
	v_bfe_u32 v25, v16, 16, 1
	v_add3_u32 v23, v23, v19, 0x7fff
	v_or_b32_e32 v70, 0x400000, v16
	v_bfe_u32 v71, v13, 16, 1
	v_cndmask_b32_e64 v10, v20, v21, s4
	v_cmp_u_f32_e64 s4, v19, v19
	v_add3_u32 v25, v25, v16, 0x7fff
	v_or_b32_e32 v20, 0x400000, v13
	v_bfe_u32 v21, v4, 16, 1
	v_lshrrev_b32_e32 v89, 16, v10
	v_cndmask_b32_e64 v19, v23, v24, s4
	v_cmp_u_f32_e64 s4, v16, v16
	v_mul_f32_e32 v10, v26, v12
	v_add3_u32 v12, v71, v13, 0x7fff
	v_lshrrev_b32_e32 v88, 16, v19
	v_cndmask_b32_e64 v16, v25, v70, s4
	v_cmp_u_f32_e64 s4, v13, v13
	v_mul_f32_e32 v13, v26, v68
	v_or_b32_e32 v19, 0x400000, v10
	v_lshrrev_b32_e32 v92, 16, v16
	v_bfe_u32 v16, v10, 16, 1
	v_cndmask_b32_e64 v12, v12, v20, s4
	v_cmp_u_f32_e64 s4, v10, v10
	v_mul_f32_e32 v20, v26, v28
	v_bfe_u32 v23, v13, 16, 1
	v_add3_u32 v16, v16, v10, 0x7fff
	v_or_b32_e32 v24, 0x400000, v13
	v_lshrrev_b32_e32 v93, 16, v12
	v_or_b32_e32 v25, 0x400000, v20
	v_add3_u32 v23, v23, v13, 0x7fff
	v_cndmask_b32_e64 v10, v16, v19, s4
	v_add3_u32 v19, v21, v4, 0x7fff
	v_or_b32_e32 v21, 0x400000, v4
	v_cmp_u_f32_e64 s4, v4, v4
	v_bfe_u32 v16, v20, 16, 1
	v_lshrrev_b32_e32 v95, 16, v10
	v_cndmask_b32_e64 v4, v19, v21, s4
	v_cmp_u_f32_e64 s4, v13, v13
	v_add3_u32 v16, v16, v20, 0x7fff
	v_lshrrev_b32_e32 v94, 16, v4
	v_cndmask_b32_e64 v13, v23, v24, s4
	v_cmp_u_f32_e64 s4, v20, v20
	v_lshrrev_b32_e32 v90, 16, v13
	v_cndmask_b32_e64 v16, v16, v25, s4
	v_lshrrev_b32_e32 v91, 16, v16
	s_and_saveexec_b32 s12, vcc_lo
	s_cbranch_execz .LBB393_1453
; %bb.1452:                             ;   in Loop: Header=BB393_991 Depth=1
	v_cmp_lt_i32_e64 s4, v44, v35
	v_cndmask_b32_e64 v94, 0, v94, s4
	v_cmp_lt_i32_e64 s4, v61, v35
	v_cndmask_b32_e64 v95, 0, v95, s4
	;; [unrolled: 2-line block ×8, first 2 shown]
.LBB393_1453:                           ;   in Loop: Header=BB393_991 Depth=1
	s_or_b32 exec_lo, exec_lo, s12
	flat_load_dwordx2 v[19:20], v[17:18] offset:1792
	v_mov_b32_e32 v12, 0
	v_mov_b32_e32 v4, 0
	s_waitcnt vmcnt(0) lgkmcnt(0)
	v_cmp_ne_u16_sdwa s4, v19, v11 src0_sel:BYTE_0 src1_sel:DWORD
	s_and_saveexec_b32 s12, s4
	s_cbranch_execz .LBB393_1461
; %bb.1454:                             ;   in Loop: Header=BB393_991 Depth=1
	v_cmp_ne_u16_sdwa s4, v19, v67 src0_sel:BYTE_0 src1_sel:DWORD
	v_bfrev_b32_e32 v4, 1
	s_and_saveexec_b32 s13, s4
	s_cbranch_execz .LBB393_1460
; %bb.1455:                             ;   in Loop: Header=BB393_991 Depth=1
	v_and_b32_e32 v10, 0x7f, v19
	v_mov_b32_e32 v4, 0x7f800001
	s_mov_b32 s15, exec_lo
	v_cmpx_ne_u32_e32 0x7f, v10
	s_cbranch_execz .LBB393_1459
; %bb.1456:                             ;   in Loop: Header=BB393_991 Depth=1
	v_mov_b32_e32 v24, v20
	v_lshrrev_b32_e32 v4, 3, v10
	v_mov_b32_e32 v23, v19
	s_mov_b32 s18, exec_lo
	v_cmpx_gt_u32_e32 8, v10
; %bb.1457:                             ;   in Loop: Header=BB393_991 Depth=1
	v_and_b32_e32 v4, 7, v19
	v_ffbh_u32_e32 v4, v4
	v_min_u32_e32 v4, 32, v4
	v_subrev_nc_u32_e32 v10, 28, v4
	v_sub_nc_u32_e32 v4, 29, v4
	v_lshlrev_b64 v[23:24], v10, v[19:20]
; %bb.1458:                             ;   in Loop: Header=BB393_991 Depth=1
	s_or_b32 exec_lo, exec_lo, s18
	v_lshlrev_b32_e32 v10, 20, v23
	v_lshlrev_b32_e32 v13, 24, v19
	v_lshl_add_u32 v4, v4, 23, 0x3c000000
	v_and_b32_e32 v10, 0x700000, v10
	v_and_b32_e32 v13, 0x80000000, v13
	v_or3_b32 v4, v10, v13, v4
.LBB393_1459:                           ;   in Loop: Header=BB393_991 Depth=1
	s_or_b32 exec_lo, exec_lo, s15
.LBB393_1460:                           ;   in Loop: Header=BB393_991 Depth=1
	s_or_b32 exec_lo, exec_lo, s13
.LBB393_1461:                           ;   in Loop: Header=BB393_991 Depth=1
	s_or_b32 exec_lo, exec_lo, s12
	v_cmp_ne_u16_sdwa s4, v19, v11 src0_sel:BYTE_1 src1_sel:DWORD
	s_and_saveexec_b32 s12, s4
	s_cbranch_execz .LBB393_1469
; %bb.1462:                             ;   in Loop: Header=BB393_991 Depth=1
	v_cmp_ne_u16_sdwa s4, v19, v67 src0_sel:BYTE_1 src1_sel:DWORD
	v_bfrev_b32_e32 v12, 1
	s_and_saveexec_b32 s13, s4
	s_cbranch_execz .LBB393_1468
; %bb.1463:                             ;   in Loop: Header=BB393_991 Depth=1
	v_mov_b32_e32 v10, 0xffff
	v_mov_b32_e32 v12, 0x7f800001
	s_mov_b32 s15, exec_lo
	v_and_b32_sdwa v10, v10, v19 dst_sel:DWORD dst_unused:UNUSED_PAD src0_sel:DWORD src1_sel:BYTE_1
	v_and_b32_e32 v13, 0x7f, v10
	v_cmpx_ne_u32_e32 0x7f, v13
	s_cbranch_execz .LBB393_1467
; %bb.1464:                             ;   in Loop: Header=BB393_991 Depth=1
	v_and_b32_e32 v10, 7, v10
	v_mov_b32_e32 v24, v11
	v_lshrrev_b32_e32 v12, 3, v13
	s_mov_b32 s18, exec_lo
	v_mov_b32_e32 v23, v10
	v_cmpx_gt_u32_e32 8, v13
; %bb.1465:                             ;   in Loop: Header=BB393_991 Depth=1
	v_ffbh_u32_e32 v12, v10
	v_min_u32_e32 v12, 32, v12
	v_subrev_nc_u32_e32 v13, 28, v12
	v_sub_nc_u32_e32 v12, 29, v12
	v_lshlrev_b64 v[23:24], v13, v[10:11]
	v_and_b32_e32 v23, 7, v23
; %bb.1466:                             ;   in Loop: Header=BB393_991 Depth=1
	s_or_b32 exec_lo, exec_lo, s18
	v_lshlrev_b32_e32 v10, 16, v19
	v_lshlrev_b32_e32 v13, 20, v23
	v_lshl_add_u32 v12, v12, 23, 0x3c000000
	v_and_b32_e32 v10, 0x80000000, v10
	v_or3_b32 v12, v13, v10, v12
.LBB393_1467:                           ;   in Loop: Header=BB393_991 Depth=1
	s_or_b32 exec_lo, exec_lo, s15
.LBB393_1468:                           ;   in Loop: Header=BB393_991 Depth=1
	s_or_b32 exec_lo, exec_lo, s13
.LBB393_1469:                           ;   in Loop: Header=BB393_991 Depth=1
	s_or_b32 exec_lo, exec_lo, s12
	v_and_b32_sdwa v10, v19, v69 dst_sel:DWORD dst_unused:UNUSED_PAD src0_sel:WORD_1 src1_sel:DWORD
	v_mov_b32_e32 v16, 0
	v_mov_b32_e32 v13, 0
	s_mov_b32 s12, exec_lo
	v_cmpx_ne_u16_e32 0, v10
	s_cbranch_execz .LBB393_1477
; %bb.1470:                             ;   in Loop: Header=BB393_991 Depth=1
	v_bfrev_b32_e32 v13, 1
	s_mov_b32 s13, exec_lo
	v_cmpx_ne_u16_e32 0x80, v10
	s_cbranch_execz .LBB393_1476
; %bb.1471:                             ;   in Loop: Header=BB393_991 Depth=1
	v_bfe_u32 v21, v19, 16, 7
	v_mov_b32_e32 v13, 0x7f800001
	s_mov_b32 s15, exec_lo
	v_cmpx_ne_u32_e32 0x7f, v21
	s_cbranch_execz .LBB393_1475
; %bb.1472:                             ;   in Loop: Header=BB393_991 Depth=1
	v_mov_b32_e32 v10, 7
	v_lshrrev_b32_e32 v13, 3, v21
	s_mov_b32 s18, exec_lo
	v_and_b32_sdwa v10, v19, v10 dst_sel:DWORD dst_unused:UNUSED_PAD src0_sel:WORD_1 src1_sel:DWORD
	v_mov_b32_e32 v24, v11
	v_mov_b32_e32 v23, v10
	v_cmpx_gt_u32_e32 8, v21
; %bb.1473:                             ;   in Loop: Header=BB393_991 Depth=1
	v_ffbh_u32_e32 v13, v10
	v_min_u32_e32 v13, 32, v13
	v_subrev_nc_u32_e32 v21, 28, v13
	v_sub_nc_u32_e32 v13, 29, v13
	v_lshlrev_b64 v[23:24], v21, v[10:11]
	v_and_b32_e32 v23, 7, v23
; %bb.1474:                             ;   in Loop: Header=BB393_991 Depth=1
	s_or_b32 exec_lo, exec_lo, s18
	v_mov_b32_e32 v10, 24
	v_lshlrev_b32_e32 v21, 20, v23
	v_lshl_add_u32 v13, v13, 23, 0x3c000000
	v_lshlrev_b32_sdwa v10, v10, v19 dst_sel:DWORD dst_unused:UNUSED_PAD src0_sel:DWORD src1_sel:WORD_1
	v_and_b32_e32 v10, 0x80000000, v10
	v_or3_b32 v13, v21, v10, v13
.LBB393_1475:                           ;   in Loop: Header=BB393_991 Depth=1
	s_or_b32 exec_lo, exec_lo, s15
.LBB393_1476:                           ;   in Loop: Header=BB393_991 Depth=1
	s_or_b32 exec_lo, exec_lo, s13
.LBB393_1477:                           ;   in Loop: Header=BB393_991 Depth=1
	s_or_b32 exec_lo, exec_lo, s12
	s_mov_b32 s12, exec_lo
	v_cmpx_lt_u32_e32 0xffffff, v19
	s_cbranch_execz .LBB393_1485
; %bb.1478:                             ;   in Loop: Header=BB393_991 Depth=1
	v_cmp_ne_u32_sdwa s4, v19, v67 src0_sel:BYTE_3 src1_sel:DWORD
	v_bfrev_b32_e32 v16, 1
	s_and_saveexec_b32 s13, s4
	s_cbranch_execz .LBB393_1484
; %bb.1479:                             ;   in Loop: Header=BB393_991 Depth=1
	v_bfe_u32 v21, v19, 24, 7
	v_mov_b32_e32 v16, 0x7f800001
	s_mov_b32 s15, exec_lo
	v_cmpx_ne_u32_e32 0x7f, v21
	s_cbranch_execz .LBB393_1483
; %bb.1480:                             ;   in Loop: Header=BB393_991 Depth=1
	v_mov_b32_e32 v10, 7
	v_lshrrev_b32_e32 v16, 3, v21
	s_mov_b32 s18, exec_lo
	v_and_b32_sdwa v10, v19, v10 dst_sel:DWORD dst_unused:UNUSED_PAD src0_sel:BYTE_3 src1_sel:DWORD
	v_mov_b32_e32 v24, v11
	v_mov_b32_e32 v23, v10
	v_cmpx_gt_u32_e32 8, v21
; %bb.1481:                             ;   in Loop: Header=BB393_991 Depth=1
	v_ffbh_u32_e32 v16, v10
	v_min_u32_e32 v16, 32, v16
	v_subrev_nc_u32_e32 v21, 28, v16
	v_sub_nc_u32_e32 v16, 29, v16
	v_lshlrev_b64 v[23:24], v21, v[10:11]
	v_and_b32_e32 v23, 7, v23
; %bb.1482:                             ;   in Loop: Header=BB393_991 Depth=1
	s_or_b32 exec_lo, exec_lo, s18
	v_mov_b32_e32 v10, 24
	v_lshlrev_b32_e32 v21, 20, v23
	v_lshl_add_u32 v16, v16, 23, 0x3c000000
	v_lshlrev_b32_sdwa v10, v10, v19 dst_sel:DWORD dst_unused:UNUSED_PAD src0_sel:DWORD src1_sel:BYTE_3
	v_and_b32_e32 v10, 0x80000000, v10
	v_or3_b32 v16, v21, v10, v16
.LBB393_1483:                           ;   in Loop: Header=BB393_991 Depth=1
	s_or_b32 exec_lo, exec_lo, s15
.LBB393_1484:                           ;   in Loop: Header=BB393_991 Depth=1
	s_or_b32 exec_lo, exec_lo, s13
.LBB393_1485:                           ;   in Loop: Header=BB393_991 Depth=1
	s_or_b32 exec_lo, exec_lo, s12
	v_mov_b32_e32 v10, v20
	v_cmp_ne_u16_sdwa s4, v20, v11 src0_sel:BYTE_0 src1_sel:DWORD
	v_mov_b32_e32 v68, 0
	v_mov_b32_e32 v28, 0
	s_and_saveexec_b32 s12, s4
	s_cbranch_execz .LBB393_1493
; %bb.1486:                             ;   in Loop: Header=BB393_991 Depth=1
	v_cmp_ne_u16_sdwa s4, v20, v67 src0_sel:BYTE_0 src1_sel:DWORD
	v_bfrev_b32_e32 v28, 1
	s_and_saveexec_b32 s13, s4
	s_cbranch_execz .LBB393_1492
; %bb.1487:                             ;   in Loop: Header=BB393_991 Depth=1
	v_and_b32_e32 v23, 0x7f, v20
	v_mov_b32_e32 v28, 0x7f800001
	s_mov_b32 s15, exec_lo
	v_cmpx_ne_u32_e32 0x7f, v23
	s_cbranch_execz .LBB393_1491
; %bb.1488:                             ;   in Loop: Header=BB393_991 Depth=1
	v_lshrrev_b32_e32 v21, 3, v23
	v_cmp_gt_u32_e64 s4, 8, v23
	v_mov_b32_e32 v24, v11
	v_mov_b32_e32 v23, v10
	s_and_saveexec_b32 s18, s4
; %bb.1489:                             ;   in Loop: Header=BB393_991 Depth=1
	v_and_b32_e32 v21, 7, v20
	v_ffbh_u32_e32 v21, v21
	v_min_u32_e32 v21, 32, v21
	v_subrev_nc_u32_e32 v23, 28, v21
	v_sub_nc_u32_e32 v21, 29, v21
	v_lshlrev_b64 v[23:24], v23, v[10:11]
; %bb.1490:                             ;   in Loop: Header=BB393_991 Depth=1
	s_or_b32 exec_lo, exec_lo, s18
	v_lshlrev_b32_e32 v23, 20, v23
	v_lshlrev_b32_e32 v24, 24, v10
	v_lshl_add_u32 v21, v21, 23, 0x3c000000
	v_and_b32_e32 v23, 0x700000, v23
	v_and_b32_e32 v24, 0x80000000, v24
	v_or3_b32 v28, v23, v24, v21
.LBB393_1491:                           ;   in Loop: Header=BB393_991 Depth=1
	s_or_b32 exec_lo, exec_lo, s15
.LBB393_1492:                           ;   in Loop: Header=BB393_991 Depth=1
	s_or_b32 exec_lo, exec_lo, s13
.LBB393_1493:                           ;   in Loop: Header=BB393_991 Depth=1
	s_or_b32 exec_lo, exec_lo, s12
	v_cmp_ne_u16_sdwa s4, v10, v11 src0_sel:BYTE_1 src1_sel:DWORD
	s_and_saveexec_b32 s12, s4
	s_cbranch_execz .LBB393_1501
; %bb.1494:                             ;   in Loop: Header=BB393_991 Depth=1
	v_cmp_ne_u16_sdwa s4, v10, v67 src0_sel:BYTE_1 src1_sel:DWORD
	v_bfrev_b32_e32 v68, 1
	s_and_saveexec_b32 s13, s4
	s_cbranch_execz .LBB393_1500
; %bb.1495:                             ;   in Loop: Header=BB393_991 Depth=1
	v_mov_b32_e32 v21, 0xffff
	v_mov_b32_e32 v68, 0x7f800001
	s_mov_b32 s15, exec_lo
	v_and_b32_sdwa v21, v21, v10 dst_sel:DWORD dst_unused:UNUSED_PAD src0_sel:DWORD src1_sel:BYTE_1
	v_and_b32_e32 v25, 0x7f, v21
	v_cmpx_ne_u32_e32 0x7f, v25
	s_cbranch_execz .LBB393_1499
; %bb.1496:                             ;   in Loop: Header=BB393_991 Depth=1
	v_and_b32_e32 v23, 7, v21
	v_mov_b32_e32 v24, v11
	v_lshrrev_b32_e32 v21, 3, v25
	s_mov_b32 s18, exec_lo
	v_cmpx_gt_u32_e32 8, v25
; %bb.1497:                             ;   in Loop: Header=BB393_991 Depth=1
	v_ffbh_u32_e32 v21, v23
	v_min_u32_e32 v21, 32, v21
	v_subrev_nc_u32_e32 v25, 28, v21
	v_sub_nc_u32_e32 v21, 29, v21
	v_lshlrev_b64 v[23:24], v25, v[23:24]
	v_and_b32_e32 v23, 7, v23
; %bb.1498:                             ;   in Loop: Header=BB393_991 Depth=1
	s_or_b32 exec_lo, exec_lo, s18
	v_lshlrev_b32_e32 v10, 16, v10
	v_lshlrev_b32_e32 v23, 20, v23
	v_lshl_add_u32 v21, v21, 23, 0x3c000000
	v_and_b32_e32 v10, 0x80000000, v10
	v_or3_b32 v68, v23, v10, v21
.LBB393_1499:                           ;   in Loop: Header=BB393_991 Depth=1
	s_or_b32 exec_lo, exec_lo, s15
.LBB393_1500:                           ;   in Loop: Header=BB393_991 Depth=1
	s_or_b32 exec_lo, exec_lo, s13
.LBB393_1501:                           ;   in Loop: Header=BB393_991 Depth=1
	s_or_b32 exec_lo, exec_lo, s12
	v_and_b32_sdwa v10, v20, v69 dst_sel:DWORD dst_unused:UNUSED_PAD src0_sel:WORD_1 src1_sel:DWORD
	v_mov_b32_e32 v21, 0
	v_mov_b32_e32 v25, 0
	s_mov_b32 s12, exec_lo
	v_cmpx_ne_u16_e32 0, v10
	s_cbranch_execz .LBB393_1509
; %bb.1502:                             ;   in Loop: Header=BB393_991 Depth=1
	v_bfrev_b32_e32 v25, 1
	s_mov_b32 s13, exec_lo
	v_cmpx_ne_u16_e32 0x80, v10
	s_cbranch_execz .LBB393_1508
; %bb.1503:                             ;   in Loop: Header=BB393_991 Depth=1
	v_bfe_u32 v23, v20, 16, 7
	v_mov_b32_e32 v25, 0x7f800001
	s_mov_b32 s15, exec_lo
	v_cmpx_ne_u32_e32 0x7f, v23
	s_cbranch_execz .LBB393_1507
; %bb.1504:                             ;   in Loop: Header=BB393_991 Depth=1
	v_mov_b32_e32 v10, 7
	v_lshrrev_b32_e32 v25, 3, v23
	v_cmp_gt_u32_e64 s4, 8, v23
	v_and_b32_sdwa v10, v20, v10 dst_sel:DWORD dst_unused:UNUSED_PAD src0_sel:WORD_1 src1_sel:DWORD
	v_mov_b32_e32 v24, v11
	v_mov_b32_e32 v23, v10
	s_and_saveexec_b32 s18, s4
; %bb.1505:                             ;   in Loop: Header=BB393_991 Depth=1
	v_ffbh_u32_e32 v23, v10
	v_min_u32_e32 v25, 32, v23
	v_subrev_nc_u32_e32 v23, 28, v25
	v_sub_nc_u32_e32 v25, 29, v25
	v_lshlrev_b64 v[23:24], v23, v[10:11]
	v_and_b32_e32 v23, 7, v23
; %bb.1506:                             ;   in Loop: Header=BB393_991 Depth=1
	s_or_b32 exec_lo, exec_lo, s18
	v_mov_b32_e32 v10, 24
	v_lshlrev_b32_e32 v23, 20, v23
	v_lshl_add_u32 v24, v25, 23, 0x3c000000
	v_lshlrev_b32_sdwa v10, v10, v20 dst_sel:DWORD dst_unused:UNUSED_PAD src0_sel:DWORD src1_sel:WORD_1
	v_and_b32_e32 v10, 0x80000000, v10
	v_or3_b32 v25, v23, v10, v24
.LBB393_1507:                           ;   in Loop: Header=BB393_991 Depth=1
	s_or_b32 exec_lo, exec_lo, s15
.LBB393_1508:                           ;   in Loop: Header=BB393_991 Depth=1
	s_or_b32 exec_lo, exec_lo, s13
.LBB393_1509:                           ;   in Loop: Header=BB393_991 Depth=1
	s_or_b32 exec_lo, exec_lo, s12
	s_mov_b32 s12, exec_lo
	v_cmpx_lt_u64_e64 s[8:9], v[19:20]
	s_cbranch_execz .LBB393_1517
; %bb.1510:                             ;   in Loop: Header=BB393_991 Depth=1
	v_cmp_ne_u32_sdwa s4, v20, v67 src0_sel:BYTE_3 src1_sel:DWORD
	v_bfrev_b32_e32 v21, 1
	s_and_saveexec_b32 s13, s4
	s_cbranch_execz .LBB393_1516
; %bb.1511:                             ;   in Loop: Header=BB393_991 Depth=1
	v_bfe_u32 v23, v20, 24, 7
	v_mov_b32_e32 v21, 0x7f800001
	s_mov_b32 s15, exec_lo
	v_cmpx_ne_u32_e32 0x7f, v23
	s_cbranch_execz .LBB393_1515
; %bb.1512:                             ;   in Loop: Header=BB393_991 Depth=1
	v_mov_b32_e32 v10, 7
	v_lshrrev_b32_e32 v19, 3, v23
	v_cmp_gt_u32_e64 s4, 8, v23
	v_and_b32_sdwa v10, v20, v10 dst_sel:DWORD dst_unused:UNUSED_PAD src0_sel:BYTE_3 src1_sel:DWORD
	v_mov_b32_e32 v24, v11
	v_mov_b32_e32 v23, v10
	s_and_saveexec_b32 s18, s4
; %bb.1513:                             ;   in Loop: Header=BB393_991 Depth=1
	v_ffbh_u32_e32 v19, v10
	v_min_u32_e32 v19, 32, v19
	v_subrev_nc_u32_e32 v21, 28, v19
	v_sub_nc_u32_e32 v19, 29, v19
	v_lshlrev_b64 v[23:24], v21, v[10:11]
	v_and_b32_e32 v23, 7, v23
; %bb.1514:                             ;   in Loop: Header=BB393_991 Depth=1
	s_or_b32 exec_lo, exec_lo, s18
	v_mov_b32_e32 v10, 24
	v_lshl_add_u32 v19, v19, 23, 0x3c000000
	v_lshlrev_b32_sdwa v10, v10, v20 dst_sel:DWORD dst_unused:UNUSED_PAD src0_sel:DWORD src1_sel:BYTE_3
	v_lshlrev_b32_e32 v20, 20, v23
	v_and_b32_e32 v10, 0x80000000, v10
	v_or3_b32 v21, v20, v10, v19
.LBB393_1515:                           ;   in Loop: Header=BB393_991 Depth=1
	s_or_b32 exec_lo, exec_lo, s15
.LBB393_1516:                           ;   in Loop: Header=BB393_991 Depth=1
	s_or_b32 exec_lo, exec_lo, s13
.LBB393_1517:                           ;   in Loop: Header=BB393_991 Depth=1
	s_or_b32 exec_lo, exec_lo, s12
	v_mul_f32_e32 v10, v26, v68
	v_mul_f32_e32 v4, v26, v4
	v_bfe_u32 v19, v10, 16, 1
	v_or_b32_e32 v20, 0x400000, v10
	v_cmp_u_f32_e64 s4, v10, v10
	v_add3_u32 v19, v19, v10, 0x7fff
	v_cndmask_b32_e64 v10, v19, v20, s4
	v_lshrrev_b32_e32 v104, 16, v10
	v_mul_f32_e32 v10, v26, v28
	v_bfe_u32 v19, v10, 16, 1
	v_or_b32_e32 v20, 0x400000, v10
	v_cmp_u_f32_e64 s4, v10, v10
	v_add3_u32 v19, v19, v10, 0x7fff
	v_cndmask_b32_e64 v10, v19, v20, s4
	v_lshrrev_b32_e32 v105, 16, v10
	;; [unrolled: 7-line block ×4, first 2 shown]
	v_mul_f32_e32 v10, v26, v12
	v_bfe_u32 v12, v10, 16, 1
	v_or_b32_e32 v13, 0x400000, v10
	v_cmp_u_f32_e64 s4, v10, v10
	v_add3_u32 v12, v12, v10, 0x7fff
	v_cndmask_b32_e64 v10, v12, v13, s4
	v_or_b32_e32 v12, 0x400000, v4
	v_cmp_u_f32_e64 s4, v4, v4
	v_lshrrev_b32_e32 v109, 16, v10
	v_bfe_u32 v10, v4, 16, 1
	v_add3_u32 v10, v10, v4, 0x7fff
	v_cndmask_b32_e64 v4, v10, v12, s4
	v_lshrrev_b32_e32 v110, 16, v4
	v_mul_f32_e32 v4, v26, v25
	v_bfe_u32 v10, v4, 16, 1
	v_or_b32_e32 v12, 0x400000, v4
	v_cmp_u_f32_e64 s4, v4, v4
	v_add3_u32 v10, v10, v4, 0x7fff
	v_cndmask_b32_e64 v4, v10, v12, s4
	v_lshrrev_b32_e32 v108, 16, v4
	v_mul_f32_e32 v4, v26, v21
	v_bfe_u32 v10, v4, 16, 1
	v_or_b32_e32 v12, 0x400000, v4
	v_cmp_u_f32_e64 s4, v4, v4
	v_add3_u32 v10, v10, v4, 0x7fff
	v_cndmask_b32_e64 v4, v10, v12, s4
	v_lshrrev_b32_e32 v111, 16, v4
	s_and_saveexec_b32 s12, vcc_lo
	s_cbranch_execz .LBB393_1519
; %bb.1518:                             ;   in Loop: Header=BB393_991 Depth=1
	v_cmp_lt_i32_e64 s4, v44, v35
	v_cndmask_b32_e64 v110, 0, v110, s4
	v_cmp_lt_i32_e64 s4, v61, v35
	v_cndmask_b32_e64 v109, 0, v109, s4
	;; [unrolled: 2-line block ×8, first 2 shown]
.LBB393_1519:                           ;   in Loop: Header=BB393_991 Depth=1
	s_or_b32 exec_lo, exec_lo, s12
	v_add_co_u32 v17, s4, 0x800, v17
	v_add_co_ci_u32_e64 v18, null, 0, v18, s4
	v_mov_b32_e32 v12, 0
	v_mov_b32_e32 v4, 0
	flat_load_dwordx2 v[19:20], v[17:18]
	s_waitcnt vmcnt(0) lgkmcnt(0)
	v_cmp_ne_u16_sdwa s4, v19, v11 src0_sel:BYTE_0 src1_sel:DWORD
	s_and_saveexec_b32 s12, s4
	s_cbranch_execz .LBB393_1527
; %bb.1520:                             ;   in Loop: Header=BB393_991 Depth=1
	v_cmp_ne_u16_sdwa s4, v19, v67 src0_sel:BYTE_0 src1_sel:DWORD
	v_bfrev_b32_e32 v4, 1
	s_and_saveexec_b32 s13, s4
	s_cbranch_execz .LBB393_1526
; %bb.1521:                             ;   in Loop: Header=BB393_991 Depth=1
	v_and_b32_e32 v10, 0x7f, v19
	v_mov_b32_e32 v4, 0x7f800001
	s_mov_b32 s15, exec_lo
	v_cmpx_ne_u32_e32 0x7f, v10
	s_cbranch_execz .LBB393_1525
; %bb.1522:                             ;   in Loop: Header=BB393_991 Depth=1
	v_mov_b32_e32 v24, v20
	v_lshrrev_b32_e32 v4, 3, v10
	v_mov_b32_e32 v23, v19
	s_mov_b32 s18, exec_lo
	v_cmpx_gt_u32_e32 8, v10
; %bb.1523:                             ;   in Loop: Header=BB393_991 Depth=1
	v_and_b32_e32 v4, 7, v19
	v_ffbh_u32_e32 v4, v4
	v_min_u32_e32 v4, 32, v4
	v_subrev_nc_u32_e32 v10, 28, v4
	v_sub_nc_u32_e32 v4, 29, v4
	v_lshlrev_b64 v[23:24], v10, v[19:20]
; %bb.1524:                             ;   in Loop: Header=BB393_991 Depth=1
	s_or_b32 exec_lo, exec_lo, s18
	v_lshlrev_b32_e32 v10, 20, v23
	v_lshlrev_b32_e32 v13, 24, v19
	v_lshl_add_u32 v4, v4, 23, 0x3c000000
	v_and_b32_e32 v10, 0x700000, v10
	v_and_b32_e32 v13, 0x80000000, v13
	v_or3_b32 v4, v10, v13, v4
.LBB393_1525:                           ;   in Loop: Header=BB393_991 Depth=1
	s_or_b32 exec_lo, exec_lo, s15
.LBB393_1526:                           ;   in Loop: Header=BB393_991 Depth=1
	s_or_b32 exec_lo, exec_lo, s13
.LBB393_1527:                           ;   in Loop: Header=BB393_991 Depth=1
	s_or_b32 exec_lo, exec_lo, s12
	v_cmp_ne_u16_sdwa s4, v19, v11 src0_sel:BYTE_1 src1_sel:DWORD
	s_and_saveexec_b32 s12, s4
	s_cbranch_execz .LBB393_1535
; %bb.1528:                             ;   in Loop: Header=BB393_991 Depth=1
	v_cmp_ne_u16_sdwa s4, v19, v67 src0_sel:BYTE_1 src1_sel:DWORD
	v_bfrev_b32_e32 v12, 1
	s_and_saveexec_b32 s13, s4
	s_cbranch_execz .LBB393_1534
; %bb.1529:                             ;   in Loop: Header=BB393_991 Depth=1
	v_mov_b32_e32 v10, 0xffff
	v_mov_b32_e32 v12, 0x7f800001
	s_mov_b32 s15, exec_lo
	v_and_b32_sdwa v10, v10, v19 dst_sel:DWORD dst_unused:UNUSED_PAD src0_sel:DWORD src1_sel:BYTE_1
	v_and_b32_e32 v13, 0x7f, v10
	v_cmpx_ne_u32_e32 0x7f, v13
	s_cbranch_execz .LBB393_1533
; %bb.1530:                             ;   in Loop: Header=BB393_991 Depth=1
	v_and_b32_e32 v10, 7, v10
	v_mov_b32_e32 v24, v11
	v_lshrrev_b32_e32 v12, 3, v13
	s_mov_b32 s18, exec_lo
	v_mov_b32_e32 v23, v10
	v_cmpx_gt_u32_e32 8, v13
; %bb.1531:                             ;   in Loop: Header=BB393_991 Depth=1
	v_ffbh_u32_e32 v12, v10
	v_min_u32_e32 v12, 32, v12
	v_subrev_nc_u32_e32 v13, 28, v12
	v_sub_nc_u32_e32 v12, 29, v12
	v_lshlrev_b64 v[23:24], v13, v[10:11]
	v_and_b32_e32 v23, 7, v23
; %bb.1532:                             ;   in Loop: Header=BB393_991 Depth=1
	s_or_b32 exec_lo, exec_lo, s18
	v_lshlrev_b32_e32 v10, 16, v19
	v_lshlrev_b32_e32 v13, 20, v23
	v_lshl_add_u32 v12, v12, 23, 0x3c000000
	v_and_b32_e32 v10, 0x80000000, v10
	v_or3_b32 v12, v13, v10, v12
.LBB393_1533:                           ;   in Loop: Header=BB393_991 Depth=1
	s_or_b32 exec_lo, exec_lo, s15
.LBB393_1534:                           ;   in Loop: Header=BB393_991 Depth=1
	s_or_b32 exec_lo, exec_lo, s13
.LBB393_1535:                           ;   in Loop: Header=BB393_991 Depth=1
	s_or_b32 exec_lo, exec_lo, s12
	v_and_b32_sdwa v10, v19, v69 dst_sel:DWORD dst_unused:UNUSED_PAD src0_sel:WORD_1 src1_sel:DWORD
	v_mov_b32_e32 v16, 0
	v_mov_b32_e32 v13, 0
	s_mov_b32 s12, exec_lo
	v_cmpx_ne_u16_e32 0, v10
	s_cbranch_execz .LBB393_1543
; %bb.1536:                             ;   in Loop: Header=BB393_991 Depth=1
	v_bfrev_b32_e32 v13, 1
	s_mov_b32 s13, exec_lo
	v_cmpx_ne_u16_e32 0x80, v10
	s_cbranch_execz .LBB393_1542
; %bb.1537:                             ;   in Loop: Header=BB393_991 Depth=1
	v_bfe_u32 v21, v19, 16, 7
	v_mov_b32_e32 v13, 0x7f800001
	s_mov_b32 s15, exec_lo
	v_cmpx_ne_u32_e32 0x7f, v21
	s_cbranch_execz .LBB393_1541
; %bb.1538:                             ;   in Loop: Header=BB393_991 Depth=1
	v_mov_b32_e32 v10, 7
	v_lshrrev_b32_e32 v13, 3, v21
	s_mov_b32 s18, exec_lo
	v_and_b32_sdwa v10, v19, v10 dst_sel:DWORD dst_unused:UNUSED_PAD src0_sel:WORD_1 src1_sel:DWORD
	v_mov_b32_e32 v24, v11
	v_mov_b32_e32 v23, v10
	v_cmpx_gt_u32_e32 8, v21
; %bb.1539:                             ;   in Loop: Header=BB393_991 Depth=1
	v_ffbh_u32_e32 v13, v10
	v_min_u32_e32 v13, 32, v13
	v_subrev_nc_u32_e32 v21, 28, v13
	v_sub_nc_u32_e32 v13, 29, v13
	v_lshlrev_b64 v[23:24], v21, v[10:11]
	v_and_b32_e32 v23, 7, v23
; %bb.1540:                             ;   in Loop: Header=BB393_991 Depth=1
	s_or_b32 exec_lo, exec_lo, s18
	v_mov_b32_e32 v10, 24
	v_lshlrev_b32_e32 v21, 20, v23
	v_lshl_add_u32 v13, v13, 23, 0x3c000000
	v_lshlrev_b32_sdwa v10, v10, v19 dst_sel:DWORD dst_unused:UNUSED_PAD src0_sel:DWORD src1_sel:WORD_1
	v_and_b32_e32 v10, 0x80000000, v10
	v_or3_b32 v13, v21, v10, v13
.LBB393_1541:                           ;   in Loop: Header=BB393_991 Depth=1
	s_or_b32 exec_lo, exec_lo, s15
.LBB393_1542:                           ;   in Loop: Header=BB393_991 Depth=1
	s_or_b32 exec_lo, exec_lo, s13
.LBB393_1543:                           ;   in Loop: Header=BB393_991 Depth=1
	s_or_b32 exec_lo, exec_lo, s12
	s_mov_b32 s12, exec_lo
	v_cmpx_lt_u32_e32 0xffffff, v19
	s_cbranch_execz .LBB393_1551
; %bb.1544:                             ;   in Loop: Header=BB393_991 Depth=1
	v_cmp_ne_u32_sdwa s4, v19, v67 src0_sel:BYTE_3 src1_sel:DWORD
	v_bfrev_b32_e32 v16, 1
	s_and_saveexec_b32 s13, s4
	s_cbranch_execz .LBB393_1550
; %bb.1545:                             ;   in Loop: Header=BB393_991 Depth=1
	v_bfe_u32 v21, v19, 24, 7
	v_mov_b32_e32 v16, 0x7f800001
	s_mov_b32 s15, exec_lo
	v_cmpx_ne_u32_e32 0x7f, v21
	s_cbranch_execz .LBB393_1549
; %bb.1546:                             ;   in Loop: Header=BB393_991 Depth=1
	v_mov_b32_e32 v10, 7
	v_lshrrev_b32_e32 v16, 3, v21
	s_mov_b32 s18, exec_lo
	v_and_b32_sdwa v10, v19, v10 dst_sel:DWORD dst_unused:UNUSED_PAD src0_sel:BYTE_3 src1_sel:DWORD
	v_mov_b32_e32 v24, v11
	v_mov_b32_e32 v23, v10
	v_cmpx_gt_u32_e32 8, v21
; %bb.1547:                             ;   in Loop: Header=BB393_991 Depth=1
	v_ffbh_u32_e32 v16, v10
	v_min_u32_e32 v16, 32, v16
	v_subrev_nc_u32_e32 v21, 28, v16
	v_sub_nc_u32_e32 v16, 29, v16
	v_lshlrev_b64 v[23:24], v21, v[10:11]
	v_and_b32_e32 v23, 7, v23
; %bb.1548:                             ;   in Loop: Header=BB393_991 Depth=1
	s_or_b32 exec_lo, exec_lo, s18
	v_mov_b32_e32 v10, 24
	v_lshlrev_b32_e32 v21, 20, v23
	v_lshl_add_u32 v16, v16, 23, 0x3c000000
	v_lshlrev_b32_sdwa v10, v10, v19 dst_sel:DWORD dst_unused:UNUSED_PAD src0_sel:DWORD src1_sel:BYTE_3
	v_and_b32_e32 v10, 0x80000000, v10
	v_or3_b32 v16, v21, v10, v16
.LBB393_1549:                           ;   in Loop: Header=BB393_991 Depth=1
	s_or_b32 exec_lo, exec_lo, s15
.LBB393_1550:                           ;   in Loop: Header=BB393_991 Depth=1
	s_or_b32 exec_lo, exec_lo, s13
.LBB393_1551:                           ;   in Loop: Header=BB393_991 Depth=1
	s_or_b32 exec_lo, exec_lo, s12
	v_mov_b32_e32 v10, v20
	v_cmp_ne_u16_sdwa s4, v20, v11 src0_sel:BYTE_0 src1_sel:DWORD
	v_mov_b32_e32 v68, 0
	v_mov_b32_e32 v28, 0
	s_and_saveexec_b32 s12, s4
	s_cbranch_execz .LBB393_1559
; %bb.1552:                             ;   in Loop: Header=BB393_991 Depth=1
	v_cmp_ne_u16_sdwa s4, v20, v67 src0_sel:BYTE_0 src1_sel:DWORD
	v_bfrev_b32_e32 v28, 1
	s_and_saveexec_b32 s13, s4
	s_cbranch_execz .LBB393_1558
; %bb.1553:                             ;   in Loop: Header=BB393_991 Depth=1
	v_and_b32_e32 v23, 0x7f, v20
	v_mov_b32_e32 v28, 0x7f800001
	s_mov_b32 s15, exec_lo
	v_cmpx_ne_u32_e32 0x7f, v23
	s_cbranch_execz .LBB393_1557
; %bb.1554:                             ;   in Loop: Header=BB393_991 Depth=1
	v_lshrrev_b32_e32 v21, 3, v23
	v_cmp_gt_u32_e64 s4, 8, v23
	v_mov_b32_e32 v24, v11
	v_mov_b32_e32 v23, v10
	s_and_saveexec_b32 s18, s4
; %bb.1555:                             ;   in Loop: Header=BB393_991 Depth=1
	v_and_b32_e32 v21, 7, v20
	v_ffbh_u32_e32 v21, v21
	v_min_u32_e32 v21, 32, v21
	v_subrev_nc_u32_e32 v23, 28, v21
	v_sub_nc_u32_e32 v21, 29, v21
	v_lshlrev_b64 v[23:24], v23, v[10:11]
; %bb.1556:                             ;   in Loop: Header=BB393_991 Depth=1
	s_or_b32 exec_lo, exec_lo, s18
	v_lshlrev_b32_e32 v23, 20, v23
	v_lshlrev_b32_e32 v24, 24, v10
	v_lshl_add_u32 v21, v21, 23, 0x3c000000
	v_and_b32_e32 v23, 0x700000, v23
	v_and_b32_e32 v24, 0x80000000, v24
	v_or3_b32 v28, v23, v24, v21
.LBB393_1557:                           ;   in Loop: Header=BB393_991 Depth=1
	s_or_b32 exec_lo, exec_lo, s15
.LBB393_1558:                           ;   in Loop: Header=BB393_991 Depth=1
	s_or_b32 exec_lo, exec_lo, s13
.LBB393_1559:                           ;   in Loop: Header=BB393_991 Depth=1
	s_or_b32 exec_lo, exec_lo, s12
	v_cmp_ne_u16_sdwa s4, v10, v11 src0_sel:BYTE_1 src1_sel:DWORD
	s_and_saveexec_b32 s12, s4
	s_cbranch_execz .LBB393_1567
; %bb.1560:                             ;   in Loop: Header=BB393_991 Depth=1
	v_cmp_ne_u16_sdwa s4, v10, v67 src0_sel:BYTE_1 src1_sel:DWORD
	v_bfrev_b32_e32 v68, 1
	s_and_saveexec_b32 s13, s4
	s_cbranch_execz .LBB393_1566
; %bb.1561:                             ;   in Loop: Header=BB393_991 Depth=1
	v_mov_b32_e32 v21, 0xffff
	v_mov_b32_e32 v68, 0x7f800001
	s_mov_b32 s15, exec_lo
	v_and_b32_sdwa v21, v21, v10 dst_sel:DWORD dst_unused:UNUSED_PAD src0_sel:DWORD src1_sel:BYTE_1
	v_and_b32_e32 v25, 0x7f, v21
	v_cmpx_ne_u32_e32 0x7f, v25
	s_cbranch_execz .LBB393_1565
; %bb.1562:                             ;   in Loop: Header=BB393_991 Depth=1
	v_and_b32_e32 v23, 7, v21
	v_mov_b32_e32 v24, v11
	v_lshrrev_b32_e32 v21, 3, v25
	s_mov_b32 s18, exec_lo
	v_cmpx_gt_u32_e32 8, v25
; %bb.1563:                             ;   in Loop: Header=BB393_991 Depth=1
	v_ffbh_u32_e32 v21, v23
	v_min_u32_e32 v21, 32, v21
	v_subrev_nc_u32_e32 v25, 28, v21
	v_sub_nc_u32_e32 v21, 29, v21
	v_lshlrev_b64 v[23:24], v25, v[23:24]
	v_and_b32_e32 v23, 7, v23
; %bb.1564:                             ;   in Loop: Header=BB393_991 Depth=1
	s_or_b32 exec_lo, exec_lo, s18
	v_lshlrev_b32_e32 v10, 16, v10
	v_lshlrev_b32_e32 v23, 20, v23
	v_lshl_add_u32 v21, v21, 23, 0x3c000000
	v_and_b32_e32 v10, 0x80000000, v10
	v_or3_b32 v68, v23, v10, v21
.LBB393_1565:                           ;   in Loop: Header=BB393_991 Depth=1
	s_or_b32 exec_lo, exec_lo, s15
.LBB393_1566:                           ;   in Loop: Header=BB393_991 Depth=1
	s_or_b32 exec_lo, exec_lo, s13
.LBB393_1567:                           ;   in Loop: Header=BB393_991 Depth=1
	s_or_b32 exec_lo, exec_lo, s12
	v_and_b32_sdwa v10, v20, v69 dst_sel:DWORD dst_unused:UNUSED_PAD src0_sel:WORD_1 src1_sel:DWORD
	v_mov_b32_e32 v21, 0
	v_mov_b32_e32 v25, 0
	s_mov_b32 s12, exec_lo
	v_cmpx_ne_u16_e32 0, v10
	s_cbranch_execz .LBB393_1575
; %bb.1568:                             ;   in Loop: Header=BB393_991 Depth=1
	v_bfrev_b32_e32 v25, 1
	s_mov_b32 s13, exec_lo
	v_cmpx_ne_u16_e32 0x80, v10
	s_cbranch_execz .LBB393_1574
; %bb.1569:                             ;   in Loop: Header=BB393_991 Depth=1
	v_bfe_u32 v23, v20, 16, 7
	v_mov_b32_e32 v25, 0x7f800001
	s_mov_b32 s15, exec_lo
	v_cmpx_ne_u32_e32 0x7f, v23
	s_cbranch_execz .LBB393_1573
; %bb.1570:                             ;   in Loop: Header=BB393_991 Depth=1
	v_mov_b32_e32 v10, 7
	v_lshrrev_b32_e32 v25, 3, v23
	v_cmp_gt_u32_e64 s4, 8, v23
	v_and_b32_sdwa v10, v20, v10 dst_sel:DWORD dst_unused:UNUSED_PAD src0_sel:WORD_1 src1_sel:DWORD
	v_mov_b32_e32 v24, v11
	v_mov_b32_e32 v23, v10
	s_and_saveexec_b32 s18, s4
; %bb.1571:                             ;   in Loop: Header=BB393_991 Depth=1
	v_ffbh_u32_e32 v23, v10
	v_min_u32_e32 v25, 32, v23
	v_subrev_nc_u32_e32 v23, 28, v25
	v_sub_nc_u32_e32 v25, 29, v25
	v_lshlrev_b64 v[23:24], v23, v[10:11]
	v_and_b32_e32 v23, 7, v23
; %bb.1572:                             ;   in Loop: Header=BB393_991 Depth=1
	s_or_b32 exec_lo, exec_lo, s18
	v_mov_b32_e32 v10, 24
	v_lshlrev_b32_e32 v23, 20, v23
	v_lshl_add_u32 v24, v25, 23, 0x3c000000
	v_lshlrev_b32_sdwa v10, v10, v20 dst_sel:DWORD dst_unused:UNUSED_PAD src0_sel:DWORD src1_sel:WORD_1
	v_and_b32_e32 v10, 0x80000000, v10
	v_or3_b32 v25, v23, v10, v24
.LBB393_1573:                           ;   in Loop: Header=BB393_991 Depth=1
	s_or_b32 exec_lo, exec_lo, s15
.LBB393_1574:                           ;   in Loop: Header=BB393_991 Depth=1
	s_or_b32 exec_lo, exec_lo, s13
.LBB393_1575:                           ;   in Loop: Header=BB393_991 Depth=1
	s_or_b32 exec_lo, exec_lo, s12
	s_mov_b32 s12, exec_lo
	v_cmpx_lt_u64_e64 s[8:9], v[19:20]
	s_cbranch_execz .LBB393_1583
; %bb.1576:                             ;   in Loop: Header=BB393_991 Depth=1
	v_cmp_ne_u32_sdwa s4, v20, v67 src0_sel:BYTE_3 src1_sel:DWORD
	v_bfrev_b32_e32 v21, 1
	s_and_saveexec_b32 s13, s4
	s_cbranch_execz .LBB393_1582
; %bb.1577:                             ;   in Loop: Header=BB393_991 Depth=1
	v_bfe_u32 v23, v20, 24, 7
	v_mov_b32_e32 v21, 0x7f800001
	s_mov_b32 s15, exec_lo
	v_cmpx_ne_u32_e32 0x7f, v23
	s_cbranch_execz .LBB393_1581
; %bb.1578:                             ;   in Loop: Header=BB393_991 Depth=1
	v_mov_b32_e32 v10, 7
	v_lshrrev_b32_e32 v19, 3, v23
	v_cmp_gt_u32_e64 s4, 8, v23
	v_and_b32_sdwa v10, v20, v10 dst_sel:DWORD dst_unused:UNUSED_PAD src0_sel:BYTE_3 src1_sel:DWORD
	v_mov_b32_e32 v24, v11
	v_mov_b32_e32 v23, v10
	s_and_saveexec_b32 s18, s4
; %bb.1579:                             ;   in Loop: Header=BB393_991 Depth=1
	v_ffbh_u32_e32 v19, v10
	v_min_u32_e32 v19, 32, v19
	v_subrev_nc_u32_e32 v21, 28, v19
	v_sub_nc_u32_e32 v19, 29, v19
	v_lshlrev_b64 v[23:24], v21, v[10:11]
	v_and_b32_e32 v23, 7, v23
; %bb.1580:                             ;   in Loop: Header=BB393_991 Depth=1
	s_or_b32 exec_lo, exec_lo, s18
	v_mov_b32_e32 v10, 24
	v_lshl_add_u32 v19, v19, 23, 0x3c000000
	v_lshlrev_b32_sdwa v10, v10, v20 dst_sel:DWORD dst_unused:UNUSED_PAD src0_sel:DWORD src1_sel:BYTE_3
	v_lshlrev_b32_e32 v20, 20, v23
	v_and_b32_e32 v10, 0x80000000, v10
	v_or3_b32 v21, v20, v10, v19
.LBB393_1581:                           ;   in Loop: Header=BB393_991 Depth=1
	s_or_b32 exec_lo, exec_lo, s15
.LBB393_1582:                           ;   in Loop: Header=BB393_991 Depth=1
	s_or_b32 exec_lo, exec_lo, s13
.LBB393_1583:                           ;   in Loop: Header=BB393_991 Depth=1
	s_or_b32 exec_lo, exec_lo, s12
	v_mul_f32_e32 v10, v26, v68
	v_mul_f32_e32 v4, v26, v4
	v_bfe_u32 v19, v10, 16, 1
	v_or_b32_e32 v20, 0x400000, v10
	v_cmp_u_f32_e64 s4, v10, v10
	v_add3_u32 v19, v19, v10, 0x7fff
	v_cndmask_b32_e64 v10, v19, v20, s4
	v_lshrrev_b32_e32 v120, 16, v10
	v_mul_f32_e32 v10, v26, v28
	v_bfe_u32 v19, v10, 16, 1
	v_or_b32_e32 v20, 0x400000, v10
	v_cmp_u_f32_e64 s4, v10, v10
	v_add3_u32 v19, v19, v10, 0x7fff
	v_cndmask_b32_e64 v10, v19, v20, s4
	v_lshrrev_b32_e32 v121, 16, v10
	;; [unrolled: 7-line block ×4, first 2 shown]
	v_mul_f32_e32 v10, v26, v12
	v_bfe_u32 v12, v10, 16, 1
	v_or_b32_e32 v13, 0x400000, v10
	v_cmp_u_f32_e64 s4, v10, v10
	v_add3_u32 v12, v12, v10, 0x7fff
	v_cndmask_b32_e64 v10, v12, v13, s4
	v_or_b32_e32 v12, 0x400000, v4
	v_cmp_u_f32_e64 s4, v4, v4
	v_lshrrev_b32_e32 v125, 16, v10
	v_bfe_u32 v10, v4, 16, 1
	v_add3_u32 v10, v10, v4, 0x7fff
	v_cndmask_b32_e64 v4, v10, v12, s4
	v_lshrrev_b32_e32 v126, 16, v4
	v_mul_f32_e32 v4, v26, v25
	v_bfe_u32 v10, v4, 16, 1
	v_or_b32_e32 v12, 0x400000, v4
	v_cmp_u_f32_e64 s4, v4, v4
	v_add3_u32 v10, v10, v4, 0x7fff
	v_cndmask_b32_e64 v4, v10, v12, s4
	v_lshrrev_b32_e32 v124, 16, v4
	v_mul_f32_e32 v4, v26, v21
	v_bfe_u32 v10, v4, 16, 1
	v_or_b32_e32 v12, 0x400000, v4
	v_cmp_u_f32_e64 s4, v4, v4
	v_add3_u32 v10, v10, v4, 0x7fff
	v_cndmask_b32_e64 v4, v10, v12, s4
	v_lshrrev_b32_e32 v127, 16, v4
	s_and_saveexec_b32 s12, vcc_lo
	s_cbranch_execz .LBB393_1585
; %bb.1584:                             ;   in Loop: Header=BB393_991 Depth=1
	v_cmp_lt_i32_e64 s4, v44, v35
	v_cndmask_b32_e64 v126, 0, v126, s4
	v_cmp_lt_i32_e64 s4, v61, v35
	v_cndmask_b32_e64 v125, 0, v125, s4
	v_cmp_lt_i32_e64 s4, v60, v35
	v_cndmask_b32_e64 v123, 0, v123, s4
	v_cmp_lt_i32_e64 s4, v59, v35
	v_cndmask_b32_e64 v122, 0, v122, s4
	v_cmp_lt_i32_e64 s4, v58, v35
	v_cndmask_b32_e64 v121, 0, v121, s4
	v_cmp_lt_i32_e64 s4, v57, v35
	v_cndmask_b32_e64 v120, 0, v120, s4
	v_cmp_lt_i32_e64 s4, v56, v35
	v_cndmask_b32_e64 v124, 0, v124, s4
	v_cmp_lt_i32_e64 s4, v65, v35
	v_cndmask_b32_e64 v127, 0, v127, s4
.LBB393_1585:                           ;   in Loop: Header=BB393_991 Depth=1
	s_or_b32 exec_lo, exec_lo, s12
	flat_load_dwordx2 v[19:20], v[17:18] offset:256
	v_mov_b32_e32 v21, 0
	v_mov_b32_e32 v16, 0
	s_waitcnt vmcnt(0) lgkmcnt(0)
	v_cmp_ne_u16_sdwa s4, v19, v11 src0_sel:BYTE_0 src1_sel:DWORD
	s_and_saveexec_b32 s12, s4
	s_cbranch_execz .LBB393_1593
; %bb.1586:                             ;   in Loop: Header=BB393_991 Depth=1
	v_cmp_ne_u16_sdwa s4, v19, v67 src0_sel:BYTE_0 src1_sel:DWORD
	v_bfrev_b32_e32 v16, 1
	s_and_saveexec_b32 s13, s4
	s_cbranch_execz .LBB393_1592
; %bb.1587:                             ;   in Loop: Header=BB393_991 Depth=1
	v_and_b32_e32 v10, 0x7f, v19
	v_mov_b32_e32 v16, 0x7f800001
	s_mov_b32 s15, exec_lo
	v_cmpx_ne_u32_e32 0x7f, v10
	s_cbranch_execz .LBB393_1591
; %bb.1588:                             ;   in Loop: Header=BB393_991 Depth=1
	v_mov_b32_e32 v24, v20
	v_lshrrev_b32_e32 v4, 3, v10
	v_mov_b32_e32 v23, v19
	s_mov_b32 s18, exec_lo
	v_cmpx_gt_u32_e32 8, v10
; %bb.1589:                             ;   in Loop: Header=BB393_991 Depth=1
	v_and_b32_e32 v4, 7, v19
	v_ffbh_u32_e32 v4, v4
	v_min_u32_e32 v4, 32, v4
	v_subrev_nc_u32_e32 v10, 28, v4
	v_sub_nc_u32_e32 v4, 29, v4
	v_lshlrev_b64 v[23:24], v10, v[19:20]
; %bb.1590:                             ;   in Loop: Header=BB393_991 Depth=1
	s_or_b32 exec_lo, exec_lo, s18
	v_lshlrev_b32_e32 v10, 20, v23
	v_lshlrev_b32_e32 v12, 24, v19
	v_lshl_add_u32 v4, v4, 23, 0x3c000000
	v_and_b32_e32 v10, 0x700000, v10
	v_and_b32_e32 v12, 0x80000000, v12
	v_or3_b32 v16, v10, v12, v4
.LBB393_1591:                           ;   in Loop: Header=BB393_991 Depth=1
	s_or_b32 exec_lo, exec_lo, s15
.LBB393_1592:                           ;   in Loop: Header=BB393_991 Depth=1
	s_or_b32 exec_lo, exec_lo, s13
.LBB393_1593:                           ;   in Loop: Header=BB393_991 Depth=1
	s_or_b32 exec_lo, exec_lo, s12
	v_cmp_ne_u16_sdwa s4, v19, v11 src0_sel:BYTE_1 src1_sel:DWORD
	s_and_saveexec_b32 s12, s4
	s_cbranch_execz .LBB393_1601
; %bb.1594:                             ;   in Loop: Header=BB393_991 Depth=1
	v_cmp_ne_u16_sdwa s4, v19, v67 src0_sel:BYTE_1 src1_sel:DWORD
	v_bfrev_b32_e32 v21, 1
	s_and_saveexec_b32 s13, s4
	s_cbranch_execz .LBB393_1600
; %bb.1595:                             ;   in Loop: Header=BB393_991 Depth=1
	v_mov_b32_e32 v4, 0xffff
	v_mov_b32_e32 v21, 0x7f800001
	s_mov_b32 s15, exec_lo
	v_and_b32_sdwa v4, v4, v19 dst_sel:DWORD dst_unused:UNUSED_PAD src0_sel:DWORD src1_sel:BYTE_1
	v_and_b32_e32 v12, 0x7f, v4
	v_cmpx_ne_u32_e32 0x7f, v12
	s_cbranch_execz .LBB393_1599
; %bb.1596:                             ;   in Loop: Header=BB393_991 Depth=1
	v_and_b32_e32 v10, 7, v4
	v_mov_b32_e32 v24, v11
	v_lshrrev_b32_e32 v4, 3, v12
	s_mov_b32 s18, exec_lo
	v_mov_b32_e32 v23, v10
	v_cmpx_gt_u32_e32 8, v12
; %bb.1597:                             ;   in Loop: Header=BB393_991 Depth=1
	v_ffbh_u32_e32 v4, v10
	v_min_u32_e32 v4, 32, v4
	v_subrev_nc_u32_e32 v12, 28, v4
	v_sub_nc_u32_e32 v4, 29, v4
	v_lshlrev_b64 v[12:13], v12, v[10:11]
	v_and_b32_e32 v23, 7, v12
; %bb.1598:                             ;   in Loop: Header=BB393_991 Depth=1
	s_or_b32 exec_lo, exec_lo, s18
	v_lshlrev_b32_e32 v10, 16, v19
	v_lshlrev_b32_e32 v12, 20, v23
	v_lshl_add_u32 v4, v4, 23, 0x3c000000
	v_and_b32_e32 v10, 0x80000000, v10
	v_or3_b32 v21, v12, v10, v4
.LBB393_1599:                           ;   in Loop: Header=BB393_991 Depth=1
	s_or_b32 exec_lo, exec_lo, s15
.LBB393_1600:                           ;   in Loop: Header=BB393_991 Depth=1
	s_or_b32 exec_lo, exec_lo, s13
.LBB393_1601:                           ;   in Loop: Header=BB393_991 Depth=1
	s_or_b32 exec_lo, exec_lo, s12
	v_and_b32_sdwa v4, v19, v69 dst_sel:DWORD dst_unused:UNUSED_PAD src0_sel:WORD_1 src1_sel:DWORD
	v_mov_b32_e32 v12, 0
	v_mov_b32_e32 v13, 0
	s_mov_b32 s12, exec_lo
	v_cmpx_ne_u16_e32 0, v4
	s_cbranch_execz .LBB393_1609
; %bb.1602:                             ;   in Loop: Header=BB393_991 Depth=1
	v_bfrev_b32_e32 v13, 1
	s_mov_b32 s13, exec_lo
	v_cmpx_ne_u16_e32 0x80, v4
	s_cbranch_execz .LBB393_1608
; %bb.1603:                             ;   in Loop: Header=BB393_991 Depth=1
	v_bfe_u32 v23, v19, 16, 7
	v_mov_b32_e32 v13, 0x7f800001
	s_mov_b32 s15, exec_lo
	v_cmpx_ne_u32_e32 0x7f, v23
	s_cbranch_execz .LBB393_1607
; %bb.1604:                             ;   in Loop: Header=BB393_991 Depth=1
	v_mov_b32_e32 v4, 7
	v_cmp_gt_u32_e64 s4, 8, v23
	v_and_b32_sdwa v10, v19, v4 dst_sel:DWORD dst_unused:UNUSED_PAD src0_sel:WORD_1 src1_sel:DWORD
	v_lshrrev_b32_e32 v4, 3, v23
	v_mov_b32_e32 v24, v11
	v_mov_b32_e32 v23, v10
	s_and_saveexec_b32 s18, s4
; %bb.1605:                             ;   in Loop: Header=BB393_991 Depth=1
	v_ffbh_u32_e32 v4, v10
	v_min_u32_e32 v4, 32, v4
	v_subrev_nc_u32_e32 v13, 28, v4
	v_sub_nc_u32_e32 v4, 29, v4
	v_lshlrev_b64 v[23:24], v13, v[10:11]
	v_and_b32_e32 v23, 7, v23
; %bb.1606:                             ;   in Loop: Header=BB393_991 Depth=1
	s_or_b32 exec_lo, exec_lo, s18
	v_mov_b32_e32 v10, 24
	v_lshlrev_b32_e32 v13, 20, v23
	v_lshl_add_u32 v4, v4, 23, 0x3c000000
	v_lshlrev_b32_sdwa v10, v10, v19 dst_sel:DWORD dst_unused:UNUSED_PAD src0_sel:DWORD src1_sel:WORD_1
	v_and_b32_e32 v10, 0x80000000, v10
	v_or3_b32 v13, v13, v10, v4
.LBB393_1607:                           ;   in Loop: Header=BB393_991 Depth=1
	s_or_b32 exec_lo, exec_lo, s15
.LBB393_1608:                           ;   in Loop: Header=BB393_991 Depth=1
	s_or_b32 exec_lo, exec_lo, s13
.LBB393_1609:                           ;   in Loop: Header=BB393_991 Depth=1
	s_or_b32 exec_lo, exec_lo, s12
	s_mov_b32 s12, exec_lo
	v_cmpx_lt_u32_e32 0xffffff, v19
	s_cbranch_execz .LBB393_1617
; %bb.1610:                             ;   in Loop: Header=BB393_991 Depth=1
	v_cmp_ne_u32_sdwa s4, v19, v67 src0_sel:BYTE_3 src1_sel:DWORD
	v_bfrev_b32_e32 v12, 1
	s_and_saveexec_b32 s13, s4
	s_cbranch_execz .LBB393_1616
; %bb.1611:                             ;   in Loop: Header=BB393_991 Depth=1
	v_bfe_u32 v23, v19, 24, 7
	v_mov_b32_e32 v12, 0x7f800001
	s_mov_b32 s15, exec_lo
	v_cmpx_ne_u32_e32 0x7f, v23
	s_cbranch_execz .LBB393_1615
; %bb.1612:                             ;   in Loop: Header=BB393_991 Depth=1
	v_mov_b32_e32 v4, 7
	v_cmp_gt_u32_e64 s4, 8, v23
	v_and_b32_sdwa v10, v19, v4 dst_sel:DWORD dst_unused:UNUSED_PAD src0_sel:BYTE_3 src1_sel:DWORD
	v_lshrrev_b32_e32 v4, 3, v23
	v_mov_b32_e32 v24, v11
	v_mov_b32_e32 v23, v10
	s_and_saveexec_b32 s18, s4
; %bb.1613:                             ;   in Loop: Header=BB393_991 Depth=1
	v_ffbh_u32_e32 v4, v10
	v_min_u32_e32 v4, 32, v4
	v_subrev_nc_u32_e32 v12, 28, v4
	v_sub_nc_u32_e32 v4, 29, v4
	v_lshlrev_b64 v[23:24], v12, v[10:11]
	v_and_b32_e32 v23, 7, v23
; %bb.1614:                             ;   in Loop: Header=BB393_991 Depth=1
	s_or_b32 exec_lo, exec_lo, s18
	v_mov_b32_e32 v10, 24
	v_lshlrev_b32_e32 v12, 20, v23
	v_lshl_add_u32 v4, v4, 23, 0x3c000000
	v_lshlrev_b32_sdwa v10, v10, v19 dst_sel:DWORD dst_unused:UNUSED_PAD src0_sel:DWORD src1_sel:BYTE_3
	v_and_b32_e32 v10, 0x80000000, v10
	v_or3_b32 v12, v12, v10, v4
.LBB393_1615:                           ;   in Loop: Header=BB393_991 Depth=1
	s_or_b32 exec_lo, exec_lo, s15
.LBB393_1616:                           ;   in Loop: Header=BB393_991 Depth=1
	s_or_b32 exec_lo, exec_lo, s13
.LBB393_1617:                           ;   in Loop: Header=BB393_991 Depth=1
	s_or_b32 exec_lo, exec_lo, s12
	v_mov_b32_e32 v10, v20
	v_cmp_ne_u16_sdwa s4, v20, v11 src0_sel:BYTE_0 src1_sel:DWORD
	v_mov_b32_e32 v25, 0
	v_mov_b32_e32 v4, 0
	s_and_saveexec_b32 s12, s4
	s_cbranch_execz .LBB393_1625
; %bb.1618:                             ;   in Loop: Header=BB393_991 Depth=1
	v_cmp_ne_u16_sdwa s4, v20, v67 src0_sel:BYTE_0 src1_sel:DWORD
	v_bfrev_b32_e32 v4, 1
	s_and_saveexec_b32 s13, s4
	s_cbranch_execz .LBB393_1624
; %bb.1619:                             ;   in Loop: Header=BB393_991 Depth=1
	v_and_b32_e32 v23, 0x7f, v20
	v_mov_b32_e32 v4, 0x7f800001
	s_mov_b32 s15, exec_lo
	v_cmpx_ne_u32_e32 0x7f, v23
	s_cbranch_execz .LBB393_1623
; %bb.1620:                             ;   in Loop: Header=BB393_991 Depth=1
	v_lshrrev_b32_e32 v4, 3, v23
	v_cmp_gt_u32_e64 s4, 8, v23
	v_mov_b32_e32 v24, v11
	v_mov_b32_e32 v23, v10
	s_and_saveexec_b32 s18, s4
; %bb.1621:                             ;   in Loop: Header=BB393_991 Depth=1
	v_and_b32_e32 v4, 7, v20
	v_ffbh_u32_e32 v4, v4
	v_min_u32_e32 v4, 32, v4
	v_subrev_nc_u32_e32 v23, 28, v4
	v_sub_nc_u32_e32 v4, 29, v4
	v_lshlrev_b64 v[23:24], v23, v[10:11]
; %bb.1622:                             ;   in Loop: Header=BB393_991 Depth=1
	s_or_b32 exec_lo, exec_lo, s18
	v_lshlrev_b32_e32 v23, 20, v23
	v_lshlrev_b32_e32 v24, 24, v10
	v_lshl_add_u32 v4, v4, 23, 0x3c000000
	v_and_b32_e32 v23, 0x700000, v23
	v_and_b32_e32 v24, 0x80000000, v24
	v_or3_b32 v4, v23, v24, v4
.LBB393_1623:                           ;   in Loop: Header=BB393_991 Depth=1
	s_or_b32 exec_lo, exec_lo, s15
.LBB393_1624:                           ;   in Loop: Header=BB393_991 Depth=1
	s_or_b32 exec_lo, exec_lo, s13
.LBB393_1625:                           ;   in Loop: Header=BB393_991 Depth=1
	s_or_b32 exec_lo, exec_lo, s12
	v_cmp_ne_u16_sdwa s4, v10, v11 src0_sel:BYTE_1 src1_sel:DWORD
	s_and_saveexec_b32 s12, s4
	s_cbranch_execz .LBB393_1633
; %bb.1626:                             ;   in Loop: Header=BB393_991 Depth=1
	v_cmp_ne_u16_sdwa s4, v10, v67 src0_sel:BYTE_1 src1_sel:DWORD
	v_bfrev_b32_e32 v25, 1
	s_and_saveexec_b32 s13, s4
	s_cbranch_execz .LBB393_1632
; %bb.1627:                             ;   in Loop: Header=BB393_991 Depth=1
	v_mov_b32_e32 v23, 0xffff
	v_mov_b32_e32 v25, 0x7f800001
	s_mov_b32 s15, exec_lo
	v_and_b32_sdwa v23, v23, v10 dst_sel:DWORD dst_unused:UNUSED_PAD src0_sel:DWORD src1_sel:BYTE_1
	v_and_b32_e32 v28, 0x7f, v23
	v_cmpx_ne_u32_e32 0x7f, v28
	s_cbranch_execz .LBB393_1631
; %bb.1628:                             ;   in Loop: Header=BB393_991 Depth=1
	v_and_b32_e32 v23, 7, v23
	v_mov_b32_e32 v24, v11
	v_lshrrev_b32_e32 v25, 3, v28
	s_mov_b32 s18, exec_lo
	v_cmpx_gt_u32_e32 8, v28
; %bb.1629:                             ;   in Loop: Header=BB393_991 Depth=1
	v_ffbh_u32_e32 v25, v23
	v_min_u32_e32 v25, 32, v25
	v_subrev_nc_u32_e32 v28, 28, v25
	v_sub_nc_u32_e32 v25, 29, v25
	v_lshlrev_b64 v[23:24], v28, v[23:24]
	v_and_b32_e32 v23, 7, v23
; %bb.1630:                             ;   in Loop: Header=BB393_991 Depth=1
	s_or_b32 exec_lo, exec_lo, s18
	v_lshlrev_b32_e32 v10, 16, v10
	v_lshlrev_b32_e32 v23, 20, v23
	v_lshl_add_u32 v24, v25, 23, 0x3c000000
	v_and_b32_e32 v10, 0x80000000, v10
	v_or3_b32 v25, v23, v10, v24
.LBB393_1631:                           ;   in Loop: Header=BB393_991 Depth=1
	s_or_b32 exec_lo, exec_lo, s15
.LBB393_1632:                           ;   in Loop: Header=BB393_991 Depth=1
	s_or_b32 exec_lo, exec_lo, s13
.LBB393_1633:                           ;   in Loop: Header=BB393_991 Depth=1
	s_or_b32 exec_lo, exec_lo, s12
	v_and_b32_sdwa v10, v20, v69 dst_sel:DWORD dst_unused:UNUSED_PAD src0_sel:WORD_1 src1_sel:DWORD
	v_mov_b32_e32 v68, 0
	v_mov_b32_e32 v70, 0
	s_mov_b32 s12, exec_lo
	v_cmpx_ne_u16_e32 0, v10
	s_cbranch_execz .LBB393_1641
; %bb.1634:                             ;   in Loop: Header=BB393_991 Depth=1
	v_bfrev_b32_e32 v70, 1
	s_mov_b32 s13, exec_lo
	v_cmpx_ne_u16_e32 0x80, v10
	s_cbranch_execz .LBB393_1640
; %bb.1635:                             ;   in Loop: Header=BB393_991 Depth=1
	v_bfe_u32 v23, v20, 16, 7
	v_mov_b32_e32 v70, 0x7f800001
	s_mov_b32 s15, exec_lo
	v_cmpx_ne_u32_e32 0x7f, v23
	s_cbranch_execz .LBB393_1639
; %bb.1636:                             ;   in Loop: Header=BB393_991 Depth=1
	v_mov_b32_e32 v10, 7
	v_lshrrev_b32_e32 v28, 3, v23
	v_cmp_gt_u32_e64 s4, 8, v23
	v_and_b32_sdwa v10, v20, v10 dst_sel:DWORD dst_unused:UNUSED_PAD src0_sel:WORD_1 src1_sel:DWORD
	v_mov_b32_e32 v24, v11
	v_mov_b32_e32 v23, v10
	s_and_saveexec_b32 s18, s4
; %bb.1637:                             ;   in Loop: Header=BB393_991 Depth=1
	v_ffbh_u32_e32 v23, v10
	v_min_u32_e32 v28, 32, v23
	v_subrev_nc_u32_e32 v23, 28, v28
	v_sub_nc_u32_e32 v28, 29, v28
	v_lshlrev_b64 v[23:24], v23, v[10:11]
	v_and_b32_e32 v23, 7, v23
; %bb.1638:                             ;   in Loop: Header=BB393_991 Depth=1
	s_or_b32 exec_lo, exec_lo, s18
	v_mov_b32_e32 v10, 24
	v_lshlrev_b32_e32 v23, 20, v23
	v_lshl_add_u32 v24, v28, 23, 0x3c000000
	v_lshlrev_b32_sdwa v10, v10, v20 dst_sel:DWORD dst_unused:UNUSED_PAD src0_sel:DWORD src1_sel:WORD_1
	v_and_b32_e32 v10, 0x80000000, v10
	v_or3_b32 v70, v23, v10, v24
.LBB393_1639:                           ;   in Loop: Header=BB393_991 Depth=1
	s_or_b32 exec_lo, exec_lo, s15
.LBB393_1640:                           ;   in Loop: Header=BB393_991 Depth=1
	s_or_b32 exec_lo, exec_lo, s13
.LBB393_1641:                           ;   in Loop: Header=BB393_991 Depth=1
	s_or_b32 exec_lo, exec_lo, s12
	s_mov_b32 s12, exec_lo
	v_cmpx_lt_u64_e64 s[8:9], v[19:20]
	s_cbranch_execz .LBB393_1649
; %bb.1642:                             ;   in Loop: Header=BB393_991 Depth=1
	v_cmp_ne_u32_sdwa s4, v20, v67 src0_sel:BYTE_3 src1_sel:DWORD
	v_bfrev_b32_e32 v68, 1
	s_and_saveexec_b32 s13, s4
	s_cbranch_execz .LBB393_1648
; %bb.1643:                             ;   in Loop: Header=BB393_991 Depth=1
	v_bfe_u32 v23, v20, 24, 7
	v_mov_b32_e32 v68, 0x7f800001
	s_mov_b32 s15, exec_lo
	v_cmpx_ne_u32_e32 0x7f, v23
	s_cbranch_execz .LBB393_1647
; %bb.1644:                             ;   in Loop: Header=BB393_991 Depth=1
	v_mov_b32_e32 v10, 7
	v_lshrrev_b32_e32 v19, 3, v23
	v_cmp_gt_u32_e64 s4, 8, v23
	v_and_b32_sdwa v10, v20, v10 dst_sel:DWORD dst_unused:UNUSED_PAD src0_sel:BYTE_3 src1_sel:DWORD
	v_mov_b32_e32 v24, v11
	v_mov_b32_e32 v23, v10
	s_and_saveexec_b32 s18, s4
; %bb.1645:                             ;   in Loop: Header=BB393_991 Depth=1
	v_ffbh_u32_e32 v19, v10
	v_min_u32_e32 v19, 32, v19
	v_subrev_nc_u32_e32 v23, 28, v19
	v_sub_nc_u32_e32 v19, 29, v19
	v_lshlrev_b64 v[23:24], v23, v[10:11]
	v_and_b32_e32 v23, 7, v23
; %bb.1646:                             ;   in Loop: Header=BB393_991 Depth=1
	s_or_b32 exec_lo, exec_lo, s18
	v_mov_b32_e32 v10, 24
	v_lshl_add_u32 v19, v19, 23, 0x3c000000
	v_lshlrev_b32_sdwa v10, v10, v20 dst_sel:DWORD dst_unused:UNUSED_PAD src0_sel:DWORD src1_sel:BYTE_3
	v_lshlrev_b32_e32 v20, 20, v23
	v_and_b32_e32 v10, 0x80000000, v10
	v_or3_b32 v68, v20, v10, v19
.LBB393_1647:                           ;   in Loop: Header=BB393_991 Depth=1
	s_or_b32 exec_lo, exec_lo, s15
.LBB393_1648:                           ;   in Loop: Header=BB393_991 Depth=1
	s_or_b32 exec_lo, exec_lo, s13
.LBB393_1649:                           ;   in Loop: Header=BB393_991 Depth=1
	s_or_b32 exec_lo, exec_lo, s12
	v_mul_f32_e32 v10, v26, v25
	v_mul_f32_e32 v4, v26, v4
	v_bfe_u32 v19, v10, 16, 1
	v_or_b32_e32 v20, 0x400000, v10
	v_cmp_u_f32_e64 s4, v10, v10
	v_add3_u32 v19, v19, v10, 0x7fff
	v_cndmask_b32_e64 v10, v19, v20, s4
	v_or_b32_e32 v19, 0x400000, v4
	v_cmp_u_f32_e64 s4, v4, v4
	v_lshrrev_b32_e32 v28, 16, v10
	v_bfe_u32 v10, v4, 16, 1
	v_add3_u32 v10, v10, v4, 0x7fff
	v_cndmask_b32_e64 v4, v10, v19, s4
	v_mul_f32_e32 v10, v26, v12
	v_lshrrev_b32_e32 v4, 16, v4
	v_bfe_u32 v12, v10, 16, 1
	v_or_b32_e32 v19, 0x400000, v10
	v_cmp_u_f32_e64 s4, v10, v10
	v_add3_u32 v12, v12, v10, 0x7fff
	v_cndmask_b32_e64 v10, v12, v19, s4
	v_lshrrev_b32_e32 v12, 16, v10
	v_mul_f32_e32 v10, v26, v13
	v_bfe_u32 v13, v10, 16, 1
	v_or_b32_e32 v19, 0x400000, v10
	v_cmp_u_f32_e64 s4, v10, v10
	v_add3_u32 v13, v13, v10, 0x7fff
	v_cndmask_b32_e64 v10, v13, v19, s4
	v_lshrrev_b32_e32 v13, 16, v10
	v_mul_f32_e32 v10, v26, v21
	;; [unrolled: 7-line block ×5, first 2 shown]
	v_bfe_u32 v16, v10, 16, 1
	v_or_b32_e32 v19, 0x400000, v10
	v_cmp_u_f32_e64 s4, v10, v10
	v_add3_u32 v16, v16, v10, 0x7fff
	v_cndmask_b32_e64 v10, v16, v19, s4
	v_lshrrev_b32_e32 v81, 16, v10
	s_and_saveexec_b32 s12, vcc_lo
	s_cbranch_execz .LBB393_1651
; %bb.1650:                             ;   in Loop: Header=BB393_991 Depth=1
	v_cmp_lt_i32_e64 s4, v44, v35
	v_cndmask_b32_e64 v80, 0, v80, s4
	v_cmp_lt_i32_e64 s4, v61, v35
	v_cndmask_b32_e64 v25, 0, v25, s4
	;; [unrolled: 2-line block ×8, first 2 shown]
.LBB393_1651:                           ;   in Loop: Header=BB393_991 Depth=1
	s_or_b32 exec_lo, exec_lo, s12
	flat_load_dwordx2 v[19:20], v[17:18] offset:512
	v_mov_b32_e32 v68, 0
	v_mov_b32_e32 v16, 0
	s_waitcnt vmcnt(0) lgkmcnt(0)
	v_cmp_ne_u16_sdwa s4, v19, v11 src0_sel:BYTE_0 src1_sel:DWORD
	s_and_saveexec_b32 s12, s4
	s_cbranch_execz .LBB393_1659
; %bb.1652:                             ;   in Loop: Header=BB393_991 Depth=1
	v_cmp_ne_u16_sdwa s4, v19, v67 src0_sel:BYTE_0 src1_sel:DWORD
	v_bfrev_b32_e32 v16, 1
	s_and_saveexec_b32 s13, s4
	s_cbranch_execz .LBB393_1658
; %bb.1653:                             ;   in Loop: Header=BB393_991 Depth=1
	v_and_b32_e32 v23, 0x7f, v19
	v_mov_b32_e32 v16, 0x7f800001
	s_mov_b32 s15, exec_lo
	v_cmpx_ne_u32_e32 0x7f, v23
	s_cbranch_execz .LBB393_1657
; %bb.1654:                             ;   in Loop: Header=BB393_991 Depth=1
	v_lshrrev_b32_e32 v10, 3, v23
	v_cmp_gt_u32_e64 s4, 8, v23
	v_mov_b32_e32 v24, v20
	v_mov_b32_e32 v23, v19
	s_and_saveexec_b32 s18, s4
; %bb.1655:                             ;   in Loop: Header=BB393_991 Depth=1
	v_and_b32_e32 v10, 7, v19
	v_ffbh_u32_e32 v10, v10
	v_min_u32_e32 v10, 32, v10
	v_subrev_nc_u32_e32 v16, 28, v10
	v_sub_nc_u32_e32 v10, 29, v10
	v_lshlrev_b64 v[23:24], v16, v[19:20]
; %bb.1656:                             ;   in Loop: Header=BB393_991 Depth=1
	s_or_b32 exec_lo, exec_lo, s18
	v_lshlrev_b32_e32 v16, 20, v23
	v_lshlrev_b32_e32 v23, 24, v19
	v_lshl_add_u32 v10, v10, 23, 0x3c000000
	v_and_b32_e32 v16, 0x700000, v16
	v_and_b32_e32 v23, 0x80000000, v23
	v_or3_b32 v16, v16, v23, v10
.LBB393_1657:                           ;   in Loop: Header=BB393_991 Depth=1
	s_or_b32 exec_lo, exec_lo, s15
.LBB393_1658:                           ;   in Loop: Header=BB393_991 Depth=1
	s_or_b32 exec_lo, exec_lo, s13
.LBB393_1659:                           ;   in Loop: Header=BB393_991 Depth=1
	s_or_b32 exec_lo, exec_lo, s12
	v_cmp_ne_u16_sdwa s4, v19, v11 src0_sel:BYTE_1 src1_sel:DWORD
	s_and_saveexec_b32 s12, s4
	s_cbranch_execz .LBB393_1667
; %bb.1660:                             ;   in Loop: Header=BB393_991 Depth=1
	v_cmp_ne_u16_sdwa s4, v19, v67 src0_sel:BYTE_1 src1_sel:DWORD
	v_bfrev_b32_e32 v68, 1
	s_and_saveexec_b32 s13, s4
	s_cbranch_execz .LBB393_1666
; %bb.1661:                             ;   in Loop: Header=BB393_991 Depth=1
	v_mov_b32_e32 v10, 0xffff
	v_mov_b32_e32 v68, 0x7f800001
	s_mov_b32 s15, exec_lo
	v_and_b32_sdwa v10, v10, v19 dst_sel:DWORD dst_unused:UNUSED_PAD src0_sel:DWORD src1_sel:BYTE_1
	v_and_b32_e32 v23, 0x7f, v10
	v_cmpx_ne_u32_e32 0x7f, v23
	s_cbranch_execz .LBB393_1665
; %bb.1662:                             ;   in Loop: Header=BB393_991 Depth=1
	v_and_b32_e32 v10, 7, v10
	v_lshrrev_b32_e32 v68, 3, v23
	v_cmp_gt_u32_e64 s4, 8, v23
	v_mov_b32_e32 v24, v11
	v_mov_b32_e32 v23, v10
	s_and_saveexec_b32 s18, s4
; %bb.1663:                             ;   in Loop: Header=BB393_991 Depth=1
	v_ffbh_u32_e32 v23, v10
	v_min_u32_e32 v68, 32, v23
	v_subrev_nc_u32_e32 v23, 28, v68
	v_sub_nc_u32_e32 v68, 29, v68
	v_lshlrev_b64 v[23:24], v23, v[10:11]
	v_and_b32_e32 v23, 7, v23
; %bb.1664:                             ;   in Loop: Header=BB393_991 Depth=1
	s_or_b32 exec_lo, exec_lo, s18
	v_lshlrev_b32_e32 v10, 16, v19
	v_lshlrev_b32_e32 v23, 20, v23
	v_lshl_add_u32 v24, v68, 23, 0x3c000000
	v_and_b32_e32 v10, 0x80000000, v10
	v_or3_b32 v68, v23, v10, v24
.LBB393_1665:                           ;   in Loop: Header=BB393_991 Depth=1
	s_or_b32 exec_lo, exec_lo, s15
.LBB393_1666:                           ;   in Loop: Header=BB393_991 Depth=1
	s_or_b32 exec_lo, exec_lo, s13
.LBB393_1667:                           ;   in Loop: Header=BB393_991 Depth=1
	s_or_b32 exec_lo, exec_lo, s12
	v_and_b32_sdwa v10, v19, v69 dst_sel:DWORD dst_unused:UNUSED_PAD src0_sel:WORD_1 src1_sel:DWORD
	v_mov_b32_e32 v71, 0
	v_mov_b32_e32 v70, 0
	s_mov_b32 s12, exec_lo
	v_cmpx_ne_u16_e32 0, v10
	s_cbranch_execz .LBB393_1675
; %bb.1668:                             ;   in Loop: Header=BB393_991 Depth=1
	v_bfrev_b32_e32 v70, 1
	s_mov_b32 s13, exec_lo
	v_cmpx_ne_u16_e32 0x80, v10
	s_cbranch_execz .LBB393_1674
; %bb.1669:                             ;   in Loop: Header=BB393_991 Depth=1
	v_bfe_u32 v23, v19, 16, 7
	v_mov_b32_e32 v70, 0x7f800001
	s_mov_b32 s15, exec_lo
	v_cmpx_ne_u32_e32 0x7f, v23
	s_cbranch_execz .LBB393_1673
; %bb.1670:                             ;   in Loop: Header=BB393_991 Depth=1
	v_mov_b32_e32 v10, 7
	v_lshrrev_b32_e32 v70, 3, v23
	v_cmp_gt_u32_e64 s4, 8, v23
	v_and_b32_sdwa v10, v19, v10 dst_sel:DWORD dst_unused:UNUSED_PAD src0_sel:WORD_1 src1_sel:DWORD
	v_mov_b32_e32 v24, v11
	v_mov_b32_e32 v23, v10
	s_and_saveexec_b32 s18, s4
; %bb.1671:                             ;   in Loop: Header=BB393_991 Depth=1
	v_ffbh_u32_e32 v23, v10
	v_min_u32_e32 v70, 32, v23
	v_subrev_nc_u32_e32 v23, 28, v70
	v_sub_nc_u32_e32 v70, 29, v70
	v_lshlrev_b64 v[23:24], v23, v[10:11]
	v_and_b32_e32 v23, 7, v23
; %bb.1672:                             ;   in Loop: Header=BB393_991 Depth=1
	s_or_b32 exec_lo, exec_lo, s18
	v_mov_b32_e32 v10, 24
	v_lshlrev_b32_e32 v23, 20, v23
	v_lshl_add_u32 v24, v70, 23, 0x3c000000
	v_lshlrev_b32_sdwa v10, v10, v19 dst_sel:DWORD dst_unused:UNUSED_PAD src0_sel:DWORD src1_sel:WORD_1
	v_and_b32_e32 v10, 0x80000000, v10
	v_or3_b32 v70, v23, v10, v24
.LBB393_1673:                           ;   in Loop: Header=BB393_991 Depth=1
	s_or_b32 exec_lo, exec_lo, s15
.LBB393_1674:                           ;   in Loop: Header=BB393_991 Depth=1
	s_or_b32 exec_lo, exec_lo, s13
.LBB393_1675:                           ;   in Loop: Header=BB393_991 Depth=1
	s_or_b32 exec_lo, exec_lo, s12
	s_mov_b32 s12, exec_lo
	v_cmpx_lt_u32_e32 0xffffff, v19
	s_cbranch_execz .LBB393_1683
; %bb.1676:                             ;   in Loop: Header=BB393_991 Depth=1
	v_cmp_ne_u32_sdwa s4, v19, v67 src0_sel:BYTE_3 src1_sel:DWORD
	v_bfrev_b32_e32 v71, 1
	s_and_saveexec_b32 s13, s4
	s_cbranch_execz .LBB393_1682
; %bb.1677:                             ;   in Loop: Header=BB393_991 Depth=1
	v_bfe_u32 v23, v19, 24, 7
	v_mov_b32_e32 v71, 0x7f800001
	s_mov_b32 s15, exec_lo
	v_cmpx_ne_u32_e32 0x7f, v23
	s_cbranch_execz .LBB393_1681
; %bb.1678:                             ;   in Loop: Header=BB393_991 Depth=1
	v_mov_b32_e32 v10, 7
	v_lshrrev_b32_e32 v71, 3, v23
	v_cmp_gt_u32_e64 s4, 8, v23
	v_and_b32_sdwa v10, v19, v10 dst_sel:DWORD dst_unused:UNUSED_PAD src0_sel:BYTE_3 src1_sel:DWORD
	v_mov_b32_e32 v24, v11
	v_mov_b32_e32 v23, v10
	s_and_saveexec_b32 s18, s4
; %bb.1679:                             ;   in Loop: Header=BB393_991 Depth=1
	v_ffbh_u32_e32 v23, v10
	v_min_u32_e32 v71, 32, v23
	v_subrev_nc_u32_e32 v23, 28, v71
	v_sub_nc_u32_e32 v71, 29, v71
	v_lshlrev_b64 v[23:24], v23, v[10:11]
	v_and_b32_e32 v23, 7, v23
; %bb.1680:                             ;   in Loop: Header=BB393_991 Depth=1
	s_or_b32 exec_lo, exec_lo, s18
	v_mov_b32_e32 v10, 24
	v_lshlrev_b32_e32 v23, 20, v23
	v_lshl_add_u32 v24, v71, 23, 0x3c000000
	v_lshlrev_b32_sdwa v10, v10, v19 dst_sel:DWORD dst_unused:UNUSED_PAD src0_sel:DWORD src1_sel:BYTE_3
	v_and_b32_e32 v10, 0x80000000, v10
	v_or3_b32 v71, v23, v10, v24
.LBB393_1681:                           ;   in Loop: Header=BB393_991 Depth=1
	s_or_b32 exec_lo, exec_lo, s15
.LBB393_1682:                           ;   in Loop: Header=BB393_991 Depth=1
	s_or_b32 exec_lo, exec_lo, s13
.LBB393_1683:                           ;   in Loop: Header=BB393_991 Depth=1
	s_or_b32 exec_lo, exec_lo, s12
	v_mov_b32_e32 v10, v20
	v_cmp_ne_u16_sdwa s4, v20, v11 src0_sel:BYTE_0 src1_sel:DWORD
	v_mov_b32_e32 v82, 0
	v_mov_b32_e32 v83, 0
	s_and_saveexec_b32 s12, s4
	s_cbranch_execz .LBB393_1691
; %bb.1684:                             ;   in Loop: Header=BB393_991 Depth=1
	v_cmp_ne_u16_sdwa s4, v20, v67 src0_sel:BYTE_0 src1_sel:DWORD
	v_bfrev_b32_e32 v83, 1
	s_and_saveexec_b32 s13, s4
	s_cbranch_execz .LBB393_1690
; %bb.1685:                             ;   in Loop: Header=BB393_991 Depth=1
	v_and_b32_e32 v23, 0x7f, v20
	v_mov_b32_e32 v83, 0x7f800001
	s_mov_b32 s15, exec_lo
	v_cmpx_ne_u32_e32 0x7f, v23
	s_cbranch_execz .LBB393_1689
; %bb.1686:                             ;   in Loop: Header=BB393_991 Depth=1
	v_lshrrev_b32_e32 v83, 3, v23
	v_cmp_gt_u32_e64 s4, 8, v23
	v_mov_b32_e32 v24, v11
	v_mov_b32_e32 v23, v10
	s_and_saveexec_b32 s18, s4
; %bb.1687:                             ;   in Loop: Header=BB393_991 Depth=1
	v_and_b32_e32 v23, 7, v20
	v_ffbh_u32_e32 v23, v23
	v_min_u32_e32 v83, 32, v23
	v_subrev_nc_u32_e32 v23, 28, v83
	v_sub_nc_u32_e32 v83, 29, v83
	v_lshlrev_b64 v[23:24], v23, v[10:11]
; %bb.1688:                             ;   in Loop: Header=BB393_991 Depth=1
	s_or_b32 exec_lo, exec_lo, s18
	v_lshlrev_b32_e32 v23, 20, v23
	v_lshlrev_b32_e32 v24, 24, v10
	v_lshl_add_u32 v83, v83, 23, 0x3c000000
	v_and_b32_e32 v23, 0x700000, v23
	v_and_b32_e32 v24, 0x80000000, v24
	v_or3_b32 v83, v23, v24, v83
.LBB393_1689:                           ;   in Loop: Header=BB393_991 Depth=1
	s_or_b32 exec_lo, exec_lo, s15
.LBB393_1690:                           ;   in Loop: Header=BB393_991 Depth=1
	s_or_b32 exec_lo, exec_lo, s13
.LBB393_1691:                           ;   in Loop: Header=BB393_991 Depth=1
	s_or_b32 exec_lo, exec_lo, s12
	v_cmp_ne_u16_sdwa s4, v10, v11 src0_sel:BYTE_1 src1_sel:DWORD
	s_and_saveexec_b32 s12, s4
	s_cbranch_execz .LBB393_1699
; %bb.1692:                             ;   in Loop: Header=BB393_991 Depth=1
	v_cmp_ne_u16_sdwa s4, v10, v67 src0_sel:BYTE_1 src1_sel:DWORD
	v_bfrev_b32_e32 v82, 1
	s_and_saveexec_b32 s13, s4
	s_cbranch_execz .LBB393_1698
; %bb.1693:                             ;   in Loop: Header=BB393_991 Depth=1
	v_mov_b32_e32 v23, 0xffff
	v_mov_b32_e32 v82, 0x7f800001
	s_mov_b32 s15, exec_lo
	v_and_b32_sdwa v23, v23, v10 dst_sel:DWORD dst_unused:UNUSED_PAD src0_sel:DWORD src1_sel:BYTE_1
	v_and_b32_e32 v84, 0x7f, v23
	v_cmpx_ne_u32_e32 0x7f, v84
	s_cbranch_execz .LBB393_1697
; %bb.1694:                             ;   in Loop: Header=BB393_991 Depth=1
	v_and_b32_e32 v23, 7, v23
	v_mov_b32_e32 v24, v11
	v_lshrrev_b32_e32 v82, 3, v84
	s_mov_b32 s18, exec_lo
	v_cmpx_gt_u32_e32 8, v84
; %bb.1695:                             ;   in Loop: Header=BB393_991 Depth=1
	v_ffbh_u32_e32 v82, v23
	v_min_u32_e32 v82, 32, v82
	v_subrev_nc_u32_e32 v84, 28, v82
	v_sub_nc_u32_e32 v82, 29, v82
	v_lshlrev_b64 v[23:24], v84, v[23:24]
	v_and_b32_e32 v23, 7, v23
; %bb.1696:                             ;   in Loop: Header=BB393_991 Depth=1
	s_or_b32 exec_lo, exec_lo, s18
	v_lshlrev_b32_e32 v10, 16, v10
	v_lshlrev_b32_e32 v23, 20, v23
	v_lshl_add_u32 v24, v82, 23, 0x3c000000
	v_and_b32_e32 v10, 0x80000000, v10
	v_or3_b32 v82, v23, v10, v24
.LBB393_1697:                           ;   in Loop: Header=BB393_991 Depth=1
	s_or_b32 exec_lo, exec_lo, s15
.LBB393_1698:                           ;   in Loop: Header=BB393_991 Depth=1
	s_or_b32 exec_lo, exec_lo, s13
.LBB393_1699:                           ;   in Loop: Header=BB393_991 Depth=1
	s_or_b32 exec_lo, exec_lo, s12
	v_and_b32_sdwa v10, v20, v69 dst_sel:DWORD dst_unused:UNUSED_PAD src0_sel:WORD_1 src1_sel:DWORD
	v_mov_b32_e32 v97, 0
	v_mov_b32_e32 v86, 0
	s_mov_b32 s12, exec_lo
	v_cmpx_ne_u16_e32 0, v10
	s_cbranch_execz .LBB393_1707
; %bb.1700:                             ;   in Loop: Header=BB393_991 Depth=1
	v_bfrev_b32_e32 v86, 1
	s_mov_b32 s13, exec_lo
	v_cmpx_ne_u16_e32 0x80, v10
	s_cbranch_execz .LBB393_1706
; %bb.1701:                             ;   in Loop: Header=BB393_991 Depth=1
	v_bfe_u32 v23, v20, 16, 7
	v_mov_b32_e32 v86, 0x7f800001
	s_mov_b32 s15, exec_lo
	v_cmpx_ne_u32_e32 0x7f, v23
	s_cbranch_execz .LBB393_1705
; %bb.1702:                             ;   in Loop: Header=BB393_991 Depth=1
	v_mov_b32_e32 v10, 7
	v_lshrrev_b32_e32 v84, 3, v23
	v_cmp_gt_u32_e64 s4, 8, v23
	v_and_b32_sdwa v10, v20, v10 dst_sel:DWORD dst_unused:UNUSED_PAD src0_sel:WORD_1 src1_sel:DWORD
	v_mov_b32_e32 v24, v11
	v_mov_b32_e32 v23, v10
	s_and_saveexec_b32 s18, s4
; %bb.1703:                             ;   in Loop: Header=BB393_991 Depth=1
	v_ffbh_u32_e32 v23, v10
	v_min_u32_e32 v84, 32, v23
	v_subrev_nc_u32_e32 v23, 28, v84
	v_sub_nc_u32_e32 v84, 29, v84
	v_lshlrev_b64 v[23:24], v23, v[10:11]
	v_and_b32_e32 v23, 7, v23
; %bb.1704:                             ;   in Loop: Header=BB393_991 Depth=1
	s_or_b32 exec_lo, exec_lo, s18
	v_mov_b32_e32 v10, 24
	v_lshlrev_b32_e32 v23, 20, v23
	v_lshl_add_u32 v24, v84, 23, 0x3c000000
	v_lshlrev_b32_sdwa v10, v10, v20 dst_sel:DWORD dst_unused:UNUSED_PAD src0_sel:DWORD src1_sel:WORD_1
	v_and_b32_e32 v10, 0x80000000, v10
	v_or3_b32 v86, v23, v10, v24
.LBB393_1705:                           ;   in Loop: Header=BB393_991 Depth=1
	s_or_b32 exec_lo, exec_lo, s15
.LBB393_1706:                           ;   in Loop: Header=BB393_991 Depth=1
	s_or_b32 exec_lo, exec_lo, s13
.LBB393_1707:                           ;   in Loop: Header=BB393_991 Depth=1
	s_or_b32 exec_lo, exec_lo, s12
	s_mov_b32 s12, exec_lo
	v_cmpx_lt_u64_e64 s[8:9], v[19:20]
	s_cbranch_execz .LBB393_1715
; %bb.1708:                             ;   in Loop: Header=BB393_991 Depth=1
	v_cmp_ne_u32_sdwa s4, v20, v67 src0_sel:BYTE_3 src1_sel:DWORD
	v_bfrev_b32_e32 v97, 1
	s_and_saveexec_b32 s13, s4
	s_cbranch_execz .LBB393_1714
; %bb.1709:                             ;   in Loop: Header=BB393_991 Depth=1
	v_bfe_u32 v23, v20, 24, 7
	v_mov_b32_e32 v97, 0x7f800001
	s_mov_b32 s15, exec_lo
	v_cmpx_ne_u32_e32 0x7f, v23
	s_cbranch_execz .LBB393_1713
; %bb.1710:                             ;   in Loop: Header=BB393_991 Depth=1
	v_mov_b32_e32 v10, 7
	v_lshrrev_b32_e32 v19, 3, v23
	v_cmp_gt_u32_e64 s4, 8, v23
	v_and_b32_sdwa v10, v20, v10 dst_sel:DWORD dst_unused:UNUSED_PAD src0_sel:BYTE_3 src1_sel:DWORD
	v_mov_b32_e32 v24, v11
	v_mov_b32_e32 v23, v10
	s_and_saveexec_b32 s18, s4
; %bb.1711:                             ;   in Loop: Header=BB393_991 Depth=1
	v_ffbh_u32_e32 v19, v10
	v_min_u32_e32 v19, 32, v19
	v_subrev_nc_u32_e32 v23, 28, v19
	v_sub_nc_u32_e32 v19, 29, v19
	v_lshlrev_b64 v[23:24], v23, v[10:11]
	v_and_b32_e32 v23, 7, v23
; %bb.1712:                             ;   in Loop: Header=BB393_991 Depth=1
	s_or_b32 exec_lo, exec_lo, s18
	v_mov_b32_e32 v10, 24
	v_lshl_add_u32 v19, v19, 23, 0x3c000000
	v_lshlrev_b32_sdwa v10, v10, v20 dst_sel:DWORD dst_unused:UNUSED_PAD src0_sel:DWORD src1_sel:BYTE_3
	v_lshlrev_b32_e32 v20, 20, v23
	v_and_b32_e32 v10, 0x80000000, v10
	v_or3_b32 v97, v20, v10, v19
.LBB393_1713:                           ;   in Loop: Header=BB393_991 Depth=1
	s_or_b32 exec_lo, exec_lo, s15
.LBB393_1714:                           ;   in Loop: Header=BB393_991 Depth=1
	s_or_b32 exec_lo, exec_lo, s13
.LBB393_1715:                           ;   in Loop: Header=BB393_991 Depth=1
	s_or_b32 exec_lo, exec_lo, s12
	v_mul_f32_e32 v10, v26, v82
	v_bfe_u32 v19, v10, 16, 1
	v_or_b32_e32 v20, 0x400000, v10
	v_cmp_u_f32_e64 s4, v10, v10
	v_add3_u32 v19, v19, v10, 0x7fff
	v_cndmask_b32_e64 v10, v19, v20, s4
	v_lshrrev_b32_e32 v82, 16, v10
	v_mul_f32_e32 v10, v26, v83
	v_bfe_u32 v19, v10, 16, 1
	v_or_b32_e32 v20, 0x400000, v10
	v_cmp_u_f32_e64 s4, v10, v10
	v_add3_u32 v19, v19, v10, 0x7fff
	v_cndmask_b32_e64 v10, v19, v20, s4
	v_lshrrev_b32_e32 v83, 16, v10
	;; [unrolled: 7-line block ×8, first 2 shown]
	s_and_saveexec_b32 s12, vcc_lo
	s_cbranch_execz .LBB393_1717
; %bb.1716:                             ;   in Loop: Header=BB393_991 Depth=1
	v_cmp_lt_i32_e64 s4, v44, v35
	v_cndmask_b32_e64 v96, 0, v96, s4
	v_cmp_lt_i32_e64 s4, v61, v35
	v_cndmask_b32_e64 v87, 0, v87, s4
	;; [unrolled: 2-line block ×8, first 2 shown]
.LBB393_1717:                           ;   in Loop: Header=BB393_991 Depth=1
	s_or_b32 exec_lo, exec_lo, s12
	flat_load_dwordx2 v[19:20], v[17:18] offset:768
	v_mov_b32_e32 v68, 0
	v_mov_b32_e32 v16, 0
	s_waitcnt vmcnt(0) lgkmcnt(0)
	v_cmp_ne_u16_sdwa s4, v19, v11 src0_sel:BYTE_0 src1_sel:DWORD
	s_and_saveexec_b32 s12, s4
	s_cbranch_execz .LBB393_1725
; %bb.1718:                             ;   in Loop: Header=BB393_991 Depth=1
	v_cmp_ne_u16_sdwa s4, v19, v67 src0_sel:BYTE_0 src1_sel:DWORD
	v_bfrev_b32_e32 v16, 1
	s_and_saveexec_b32 s13, s4
	s_cbranch_execz .LBB393_1724
; %bb.1719:                             ;   in Loop: Header=BB393_991 Depth=1
	v_and_b32_e32 v23, 0x7f, v19
	v_mov_b32_e32 v16, 0x7f800001
	s_mov_b32 s15, exec_lo
	v_cmpx_ne_u32_e32 0x7f, v23
	s_cbranch_execz .LBB393_1723
; %bb.1720:                             ;   in Loop: Header=BB393_991 Depth=1
	v_lshrrev_b32_e32 v10, 3, v23
	v_cmp_gt_u32_e64 s4, 8, v23
	v_mov_b32_e32 v24, v20
	v_mov_b32_e32 v23, v19
	s_and_saveexec_b32 s18, s4
; %bb.1721:                             ;   in Loop: Header=BB393_991 Depth=1
	v_and_b32_e32 v10, 7, v19
	v_ffbh_u32_e32 v10, v10
	v_min_u32_e32 v10, 32, v10
	v_subrev_nc_u32_e32 v16, 28, v10
	v_sub_nc_u32_e32 v10, 29, v10
	v_lshlrev_b64 v[23:24], v16, v[19:20]
; %bb.1722:                             ;   in Loop: Header=BB393_991 Depth=1
	s_or_b32 exec_lo, exec_lo, s18
	v_lshlrev_b32_e32 v16, 20, v23
	v_lshlrev_b32_e32 v23, 24, v19
	v_lshl_add_u32 v10, v10, 23, 0x3c000000
	v_and_b32_e32 v16, 0x700000, v16
	v_and_b32_e32 v23, 0x80000000, v23
	v_or3_b32 v16, v16, v23, v10
.LBB393_1723:                           ;   in Loop: Header=BB393_991 Depth=1
	s_or_b32 exec_lo, exec_lo, s15
.LBB393_1724:                           ;   in Loop: Header=BB393_991 Depth=1
	s_or_b32 exec_lo, exec_lo, s13
.LBB393_1725:                           ;   in Loop: Header=BB393_991 Depth=1
	s_or_b32 exec_lo, exec_lo, s12
	v_cmp_ne_u16_sdwa s4, v19, v11 src0_sel:BYTE_1 src1_sel:DWORD
	s_and_saveexec_b32 s12, s4
	s_cbranch_execz .LBB393_1733
; %bb.1726:                             ;   in Loop: Header=BB393_991 Depth=1
	v_cmp_ne_u16_sdwa s4, v19, v67 src0_sel:BYTE_1 src1_sel:DWORD
	v_bfrev_b32_e32 v68, 1
	s_and_saveexec_b32 s13, s4
	s_cbranch_execz .LBB393_1732
; %bb.1727:                             ;   in Loop: Header=BB393_991 Depth=1
	v_mov_b32_e32 v10, 0xffff
	v_mov_b32_e32 v68, 0x7f800001
	s_mov_b32 s15, exec_lo
	v_and_b32_sdwa v10, v10, v19 dst_sel:DWORD dst_unused:UNUSED_PAD src0_sel:DWORD src1_sel:BYTE_1
	v_and_b32_e32 v23, 0x7f, v10
	v_cmpx_ne_u32_e32 0x7f, v23
	s_cbranch_execz .LBB393_1731
; %bb.1728:                             ;   in Loop: Header=BB393_991 Depth=1
	v_and_b32_e32 v10, 7, v10
	v_lshrrev_b32_e32 v68, 3, v23
	v_cmp_gt_u32_e64 s4, 8, v23
	v_mov_b32_e32 v24, v11
	v_mov_b32_e32 v23, v10
	s_and_saveexec_b32 s18, s4
; %bb.1729:                             ;   in Loop: Header=BB393_991 Depth=1
	v_ffbh_u32_e32 v23, v10
	v_min_u32_e32 v68, 32, v23
	v_subrev_nc_u32_e32 v23, 28, v68
	v_sub_nc_u32_e32 v68, 29, v68
	v_lshlrev_b64 v[23:24], v23, v[10:11]
	v_and_b32_e32 v23, 7, v23
; %bb.1730:                             ;   in Loop: Header=BB393_991 Depth=1
	s_or_b32 exec_lo, exec_lo, s18
	v_lshlrev_b32_e32 v10, 16, v19
	v_lshlrev_b32_e32 v23, 20, v23
	v_lshl_add_u32 v24, v68, 23, 0x3c000000
	v_and_b32_e32 v10, 0x80000000, v10
	v_or3_b32 v68, v23, v10, v24
.LBB393_1731:                           ;   in Loop: Header=BB393_991 Depth=1
	s_or_b32 exec_lo, exec_lo, s15
.LBB393_1732:                           ;   in Loop: Header=BB393_991 Depth=1
	s_or_b32 exec_lo, exec_lo, s13
.LBB393_1733:                           ;   in Loop: Header=BB393_991 Depth=1
	s_or_b32 exec_lo, exec_lo, s12
	v_and_b32_sdwa v10, v19, v69 dst_sel:DWORD dst_unused:UNUSED_PAD src0_sel:WORD_1 src1_sel:DWORD
	v_mov_b32_e32 v71, 0
	v_mov_b32_e32 v70, 0
	s_mov_b32 s12, exec_lo
	v_cmpx_ne_u16_e32 0, v10
	s_cbranch_execz .LBB393_1741
; %bb.1734:                             ;   in Loop: Header=BB393_991 Depth=1
	v_bfrev_b32_e32 v70, 1
	s_mov_b32 s13, exec_lo
	v_cmpx_ne_u16_e32 0x80, v10
	s_cbranch_execz .LBB393_1740
; %bb.1735:                             ;   in Loop: Header=BB393_991 Depth=1
	v_bfe_u32 v23, v19, 16, 7
	v_mov_b32_e32 v70, 0x7f800001
	s_mov_b32 s15, exec_lo
	v_cmpx_ne_u32_e32 0x7f, v23
	s_cbranch_execz .LBB393_1739
; %bb.1736:                             ;   in Loop: Header=BB393_991 Depth=1
	v_mov_b32_e32 v10, 7
	v_lshrrev_b32_e32 v70, 3, v23
	v_cmp_gt_u32_e64 s4, 8, v23
	v_and_b32_sdwa v10, v19, v10 dst_sel:DWORD dst_unused:UNUSED_PAD src0_sel:WORD_1 src1_sel:DWORD
	v_mov_b32_e32 v24, v11
	v_mov_b32_e32 v23, v10
	s_and_saveexec_b32 s18, s4
; %bb.1737:                             ;   in Loop: Header=BB393_991 Depth=1
	v_ffbh_u32_e32 v23, v10
	v_min_u32_e32 v70, 32, v23
	v_subrev_nc_u32_e32 v23, 28, v70
	v_sub_nc_u32_e32 v70, 29, v70
	v_lshlrev_b64 v[23:24], v23, v[10:11]
	v_and_b32_e32 v23, 7, v23
; %bb.1738:                             ;   in Loop: Header=BB393_991 Depth=1
	s_or_b32 exec_lo, exec_lo, s18
	v_mov_b32_e32 v10, 24
	v_lshlrev_b32_e32 v23, 20, v23
	v_lshl_add_u32 v24, v70, 23, 0x3c000000
	v_lshlrev_b32_sdwa v10, v10, v19 dst_sel:DWORD dst_unused:UNUSED_PAD src0_sel:DWORD src1_sel:WORD_1
	v_and_b32_e32 v10, 0x80000000, v10
	v_or3_b32 v70, v23, v10, v24
.LBB393_1739:                           ;   in Loop: Header=BB393_991 Depth=1
	s_or_b32 exec_lo, exec_lo, s15
.LBB393_1740:                           ;   in Loop: Header=BB393_991 Depth=1
	s_or_b32 exec_lo, exec_lo, s13
.LBB393_1741:                           ;   in Loop: Header=BB393_991 Depth=1
	s_or_b32 exec_lo, exec_lo, s12
	s_mov_b32 s12, exec_lo
	v_cmpx_lt_u32_e32 0xffffff, v19
	s_cbranch_execz .LBB393_1749
; %bb.1742:                             ;   in Loop: Header=BB393_991 Depth=1
	v_cmp_ne_u32_sdwa s4, v19, v67 src0_sel:BYTE_3 src1_sel:DWORD
	v_bfrev_b32_e32 v71, 1
	s_and_saveexec_b32 s13, s4
	s_cbranch_execz .LBB393_1748
; %bb.1743:                             ;   in Loop: Header=BB393_991 Depth=1
	v_bfe_u32 v23, v19, 24, 7
	v_mov_b32_e32 v71, 0x7f800001
	s_mov_b32 s15, exec_lo
	v_cmpx_ne_u32_e32 0x7f, v23
	s_cbranch_execz .LBB393_1747
; %bb.1744:                             ;   in Loop: Header=BB393_991 Depth=1
	v_mov_b32_e32 v10, 7
	v_lshrrev_b32_e32 v71, 3, v23
	v_cmp_gt_u32_e64 s4, 8, v23
	v_and_b32_sdwa v10, v19, v10 dst_sel:DWORD dst_unused:UNUSED_PAD src0_sel:BYTE_3 src1_sel:DWORD
	v_mov_b32_e32 v24, v11
	v_mov_b32_e32 v23, v10
	s_and_saveexec_b32 s18, s4
; %bb.1745:                             ;   in Loop: Header=BB393_991 Depth=1
	v_ffbh_u32_e32 v23, v10
	v_min_u32_e32 v71, 32, v23
	v_subrev_nc_u32_e32 v23, 28, v71
	v_sub_nc_u32_e32 v71, 29, v71
	v_lshlrev_b64 v[23:24], v23, v[10:11]
	v_and_b32_e32 v23, 7, v23
; %bb.1746:                             ;   in Loop: Header=BB393_991 Depth=1
	s_or_b32 exec_lo, exec_lo, s18
	v_mov_b32_e32 v10, 24
	v_lshlrev_b32_e32 v23, 20, v23
	v_lshl_add_u32 v24, v71, 23, 0x3c000000
	v_lshlrev_b32_sdwa v10, v10, v19 dst_sel:DWORD dst_unused:UNUSED_PAD src0_sel:DWORD src1_sel:BYTE_3
	v_and_b32_e32 v10, 0x80000000, v10
	v_or3_b32 v71, v23, v10, v24
.LBB393_1747:                           ;   in Loop: Header=BB393_991 Depth=1
	s_or_b32 exec_lo, exec_lo, s15
.LBB393_1748:                           ;   in Loop: Header=BB393_991 Depth=1
	s_or_b32 exec_lo, exec_lo, s13
.LBB393_1749:                           ;   in Loop: Header=BB393_991 Depth=1
	s_or_b32 exec_lo, exec_lo, s12
	v_mov_b32_e32 v10, v20
	v_cmp_ne_u16_sdwa s4, v20, v11 src0_sel:BYTE_0 src1_sel:DWORD
	v_mov_b32_e32 v98, 0
	v_mov_b32_e32 v100, 0
	s_and_saveexec_b32 s12, s4
	s_cbranch_execz .LBB393_1757
; %bb.1750:                             ;   in Loop: Header=BB393_991 Depth=1
	v_cmp_ne_u16_sdwa s4, v20, v67 src0_sel:BYTE_0 src1_sel:DWORD
	v_bfrev_b32_e32 v100, 1
	s_and_saveexec_b32 s13, s4
	s_cbranch_execz .LBB393_1756
; %bb.1751:                             ;   in Loop: Header=BB393_991 Depth=1
	v_and_b32_e32 v23, 0x7f, v20
	v_mov_b32_e32 v100, 0x7f800001
	s_mov_b32 s15, exec_lo
	v_cmpx_ne_u32_e32 0x7f, v23
	s_cbranch_execz .LBB393_1755
; %bb.1752:                             ;   in Loop: Header=BB393_991 Depth=1
	v_lshrrev_b32_e32 v99, 3, v23
	v_cmp_gt_u32_e64 s4, 8, v23
	v_mov_b32_e32 v24, v11
	v_mov_b32_e32 v23, v10
	s_and_saveexec_b32 s18, s4
; %bb.1753:                             ;   in Loop: Header=BB393_991 Depth=1
	v_and_b32_e32 v23, 7, v20
	v_ffbh_u32_e32 v23, v23
	v_min_u32_e32 v99, 32, v23
	v_subrev_nc_u32_e32 v23, 28, v99
	v_sub_nc_u32_e32 v99, 29, v99
	v_lshlrev_b64 v[23:24], v23, v[10:11]
; %bb.1754:                             ;   in Loop: Header=BB393_991 Depth=1
	s_or_b32 exec_lo, exec_lo, s18
	v_lshlrev_b32_e32 v23, 20, v23
	v_lshlrev_b32_e32 v24, 24, v10
	v_lshl_add_u32 v99, v99, 23, 0x3c000000
	v_and_b32_e32 v23, 0x700000, v23
	v_and_b32_e32 v24, 0x80000000, v24
	v_or3_b32 v100, v23, v24, v99
.LBB393_1755:                           ;   in Loop: Header=BB393_991 Depth=1
	s_or_b32 exec_lo, exec_lo, s15
.LBB393_1756:                           ;   in Loop: Header=BB393_991 Depth=1
	s_or_b32 exec_lo, exec_lo, s13
.LBB393_1757:                           ;   in Loop: Header=BB393_991 Depth=1
	s_or_b32 exec_lo, exec_lo, s12
	v_cmp_ne_u16_sdwa s4, v10, v11 src0_sel:BYTE_1 src1_sel:DWORD
	s_and_saveexec_b32 s12, s4
	s_cbranch_execz .LBB393_1765
; %bb.1758:                             ;   in Loop: Header=BB393_991 Depth=1
	v_cmp_ne_u16_sdwa s4, v10, v67 src0_sel:BYTE_1 src1_sel:DWORD
	v_bfrev_b32_e32 v98, 1
	s_and_saveexec_b32 s13, s4
	s_cbranch_execz .LBB393_1764
; %bb.1759:                             ;   in Loop: Header=BB393_991 Depth=1
	v_mov_b32_e32 v23, 0xffff
	v_mov_b32_e32 v98, 0x7f800001
	s_mov_b32 s15, exec_lo
	v_and_b32_sdwa v23, v23, v10 dst_sel:DWORD dst_unused:UNUSED_PAD src0_sel:DWORD src1_sel:BYTE_1
	v_and_b32_e32 v99, 0x7f, v23
	v_cmpx_ne_u32_e32 0x7f, v99
	s_cbranch_execz .LBB393_1763
; %bb.1760:                             ;   in Loop: Header=BB393_991 Depth=1
	v_and_b32_e32 v23, 7, v23
	v_mov_b32_e32 v24, v11
	v_lshrrev_b32_e32 v98, 3, v99
	s_mov_b32 s18, exec_lo
	v_cmpx_gt_u32_e32 8, v99
; %bb.1761:                             ;   in Loop: Header=BB393_991 Depth=1
	v_ffbh_u32_e32 v98, v23
	v_min_u32_e32 v98, 32, v98
	v_subrev_nc_u32_e32 v99, 28, v98
	v_sub_nc_u32_e32 v98, 29, v98
	v_lshlrev_b64 v[23:24], v99, v[23:24]
	v_and_b32_e32 v23, 7, v23
; %bb.1762:                             ;   in Loop: Header=BB393_991 Depth=1
	s_or_b32 exec_lo, exec_lo, s18
	v_lshlrev_b32_e32 v10, 16, v10
	v_lshlrev_b32_e32 v23, 20, v23
	v_lshl_add_u32 v24, v98, 23, 0x3c000000
	v_and_b32_e32 v10, 0x80000000, v10
	v_or3_b32 v98, v23, v10, v24
.LBB393_1763:                           ;   in Loop: Header=BB393_991 Depth=1
	s_or_b32 exec_lo, exec_lo, s15
.LBB393_1764:                           ;   in Loop: Header=BB393_991 Depth=1
	s_or_b32 exec_lo, exec_lo, s13
.LBB393_1765:                           ;   in Loop: Header=BB393_991 Depth=1
	s_or_b32 exec_lo, exec_lo, s12
	v_and_b32_sdwa v10, v20, v69 dst_sel:DWORD dst_unused:UNUSED_PAD src0_sel:WORD_1 src1_sel:DWORD
	v_mov_b32_e32 v99, 0
	v_mov_b32_e32 v103, 0
	s_mov_b32 s12, exec_lo
	v_cmpx_ne_u16_e32 0, v10
	s_cbranch_execz .LBB393_1773
; %bb.1766:                             ;   in Loop: Header=BB393_991 Depth=1
	v_bfrev_b32_e32 v103, 1
	s_mov_b32 s13, exec_lo
	v_cmpx_ne_u16_e32 0x80, v10
	s_cbranch_execz .LBB393_1772
; %bb.1767:                             ;   in Loop: Header=BB393_991 Depth=1
	v_bfe_u32 v23, v20, 16, 7
	v_mov_b32_e32 v103, 0x7f800001
	s_mov_b32 s15, exec_lo
	v_cmpx_ne_u32_e32 0x7f, v23
	s_cbranch_execz .LBB393_1771
; %bb.1768:                             ;   in Loop: Header=BB393_991 Depth=1
	v_mov_b32_e32 v10, 7
	v_lshrrev_b32_e32 v101, 3, v23
	v_cmp_gt_u32_e64 s4, 8, v23
	v_and_b32_sdwa v10, v20, v10 dst_sel:DWORD dst_unused:UNUSED_PAD src0_sel:WORD_1 src1_sel:DWORD
	v_mov_b32_e32 v24, v11
	v_mov_b32_e32 v23, v10
	s_and_saveexec_b32 s18, s4
; %bb.1769:                             ;   in Loop: Header=BB393_991 Depth=1
	v_ffbh_u32_e32 v23, v10
	v_min_u32_e32 v101, 32, v23
	v_subrev_nc_u32_e32 v23, 28, v101
	v_sub_nc_u32_e32 v101, 29, v101
	v_lshlrev_b64 v[23:24], v23, v[10:11]
	v_and_b32_e32 v23, 7, v23
; %bb.1770:                             ;   in Loop: Header=BB393_991 Depth=1
	s_or_b32 exec_lo, exec_lo, s18
	v_mov_b32_e32 v10, 24
	v_lshlrev_b32_e32 v23, 20, v23
	v_lshl_add_u32 v24, v101, 23, 0x3c000000
	v_lshlrev_b32_sdwa v10, v10, v20 dst_sel:DWORD dst_unused:UNUSED_PAD src0_sel:DWORD src1_sel:WORD_1
	v_and_b32_e32 v10, 0x80000000, v10
	v_or3_b32 v103, v23, v10, v24
.LBB393_1771:                           ;   in Loop: Header=BB393_991 Depth=1
	s_or_b32 exec_lo, exec_lo, s15
.LBB393_1772:                           ;   in Loop: Header=BB393_991 Depth=1
	s_or_b32 exec_lo, exec_lo, s13
.LBB393_1773:                           ;   in Loop: Header=BB393_991 Depth=1
	s_or_b32 exec_lo, exec_lo, s12
	s_mov_b32 s12, exec_lo
	v_cmpx_lt_u64_e64 s[8:9], v[19:20]
	s_cbranch_execz .LBB393_1781
; %bb.1774:                             ;   in Loop: Header=BB393_991 Depth=1
	v_cmp_ne_u32_sdwa s4, v20, v67 src0_sel:BYTE_3 src1_sel:DWORD
	v_bfrev_b32_e32 v99, 1
	s_and_saveexec_b32 s13, s4
	s_cbranch_execz .LBB393_1780
; %bb.1775:                             ;   in Loop: Header=BB393_991 Depth=1
	v_bfe_u32 v23, v20, 24, 7
	v_mov_b32_e32 v99, 0x7f800001
	s_mov_b32 s15, exec_lo
	v_cmpx_ne_u32_e32 0x7f, v23
	s_cbranch_execz .LBB393_1779
; %bb.1776:                             ;   in Loop: Header=BB393_991 Depth=1
	v_mov_b32_e32 v10, 7
	v_lshrrev_b32_e32 v19, 3, v23
	v_cmp_gt_u32_e64 s4, 8, v23
	v_and_b32_sdwa v10, v20, v10 dst_sel:DWORD dst_unused:UNUSED_PAD src0_sel:BYTE_3 src1_sel:DWORD
	v_mov_b32_e32 v24, v11
	v_mov_b32_e32 v23, v10
	s_and_saveexec_b32 s18, s4
; %bb.1777:                             ;   in Loop: Header=BB393_991 Depth=1
	v_ffbh_u32_e32 v19, v10
	v_min_u32_e32 v19, 32, v19
	v_subrev_nc_u32_e32 v23, 28, v19
	v_sub_nc_u32_e32 v19, 29, v19
	v_lshlrev_b64 v[23:24], v23, v[10:11]
	v_and_b32_e32 v23, 7, v23
; %bb.1778:                             ;   in Loop: Header=BB393_991 Depth=1
	s_or_b32 exec_lo, exec_lo, s18
	v_mov_b32_e32 v10, 24
	v_lshl_add_u32 v19, v19, 23, 0x3c000000
	v_lshlrev_b32_sdwa v10, v10, v20 dst_sel:DWORD dst_unused:UNUSED_PAD src0_sel:DWORD src1_sel:BYTE_3
	v_lshlrev_b32_e32 v20, 20, v23
	v_and_b32_e32 v10, 0x80000000, v10
	v_or3_b32 v99, v20, v10, v19
.LBB393_1779:                           ;   in Loop: Header=BB393_991 Depth=1
	s_or_b32 exec_lo, exec_lo, s15
.LBB393_1780:                           ;   in Loop: Header=BB393_991 Depth=1
	s_or_b32 exec_lo, exec_lo, s13
.LBB393_1781:                           ;   in Loop: Header=BB393_991 Depth=1
	s_or_b32 exec_lo, exec_lo, s12
	v_mul_f32_e32 v10, v26, v98
	v_bfe_u32 v19, v10, 16, 1
	v_or_b32_e32 v20, 0x400000, v10
	v_cmp_u_f32_e64 s4, v10, v10
	v_add3_u32 v19, v19, v10, 0x7fff
	v_cndmask_b32_e64 v10, v19, v20, s4
	v_lshrrev_b32_e32 v98, 16, v10
	v_mul_f32_e32 v10, v26, v100
	v_bfe_u32 v19, v10, 16, 1
	v_or_b32_e32 v20, 0x400000, v10
	v_cmp_u_f32_e64 s4, v10, v10
	v_add3_u32 v19, v19, v10, 0x7fff
	v_cndmask_b32_e64 v10, v19, v20, s4
	v_lshrrev_b32_e32 v100, 16, v10
	;; [unrolled: 7-line block ×8, first 2 shown]
	s_and_saveexec_b32 s12, vcc_lo
	s_cbranch_execz .LBB393_1783
; %bb.1782:                             ;   in Loop: Header=BB393_991 Depth=1
	v_cmp_lt_i32_e64 s4, v44, v35
	v_cndmask_b32_e64 v70, 0, v70, s4
	v_cmp_lt_i32_e64 s4, v61, v35
	v_cndmask_b32_e64 v68, 0, v68, s4
	;; [unrolled: 2-line block ×8, first 2 shown]
.LBB393_1783:                           ;   in Loop: Header=BB393_991 Depth=1
	s_or_b32 exec_lo, exec_lo, s12
	flat_load_dwordx2 v[19:20], v[17:18] offset:1024
	v_mov_b32_e32 v99, 0
	v_mov_b32_e32 v16, 0
	s_waitcnt vmcnt(0) lgkmcnt(0)
	v_cmp_ne_u16_sdwa s4, v19, v11 src0_sel:BYTE_0 src1_sel:DWORD
	s_and_saveexec_b32 s12, s4
	s_cbranch_execz .LBB393_1791
; %bb.1784:                             ;   in Loop: Header=BB393_991 Depth=1
	v_cmp_ne_u16_sdwa s4, v19, v67 src0_sel:BYTE_0 src1_sel:DWORD
	v_bfrev_b32_e32 v16, 1
	s_and_saveexec_b32 s13, s4
	s_cbranch_execz .LBB393_1790
; %bb.1785:                             ;   in Loop: Header=BB393_991 Depth=1
	v_and_b32_e32 v23, 0x7f, v19
	v_mov_b32_e32 v16, 0x7f800001
	s_mov_b32 s15, exec_lo
	v_cmpx_ne_u32_e32 0x7f, v23
	s_cbranch_execz .LBB393_1789
; %bb.1786:                             ;   in Loop: Header=BB393_991 Depth=1
	v_lshrrev_b32_e32 v10, 3, v23
	v_cmp_gt_u32_e64 s4, 8, v23
	v_mov_b32_e32 v24, v20
	v_mov_b32_e32 v23, v19
	s_and_saveexec_b32 s18, s4
; %bb.1787:                             ;   in Loop: Header=BB393_991 Depth=1
	v_and_b32_e32 v10, 7, v19
	v_ffbh_u32_e32 v10, v10
	v_min_u32_e32 v10, 32, v10
	v_subrev_nc_u32_e32 v16, 28, v10
	v_sub_nc_u32_e32 v10, 29, v10
	v_lshlrev_b64 v[23:24], v16, v[19:20]
; %bb.1788:                             ;   in Loop: Header=BB393_991 Depth=1
	s_or_b32 exec_lo, exec_lo, s18
	v_lshlrev_b32_e32 v16, 20, v23
	v_lshlrev_b32_e32 v23, 24, v19
	v_lshl_add_u32 v10, v10, 23, 0x3c000000
	v_and_b32_e32 v16, 0x700000, v16
	v_and_b32_e32 v23, 0x80000000, v23
	v_or3_b32 v16, v16, v23, v10
.LBB393_1789:                           ;   in Loop: Header=BB393_991 Depth=1
	s_or_b32 exec_lo, exec_lo, s15
.LBB393_1790:                           ;   in Loop: Header=BB393_991 Depth=1
	s_or_b32 exec_lo, exec_lo, s13
.LBB393_1791:                           ;   in Loop: Header=BB393_991 Depth=1
	s_or_b32 exec_lo, exec_lo, s12
	v_cmp_ne_u16_sdwa s4, v19, v11 src0_sel:BYTE_1 src1_sel:DWORD
	s_and_saveexec_b32 s12, s4
	s_cbranch_execz .LBB393_1799
; %bb.1792:                             ;   in Loop: Header=BB393_991 Depth=1
	v_cmp_ne_u16_sdwa s4, v19, v67 src0_sel:BYTE_1 src1_sel:DWORD
	v_bfrev_b32_e32 v99, 1
	s_and_saveexec_b32 s13, s4
	s_cbranch_execz .LBB393_1798
; %bb.1793:                             ;   in Loop: Header=BB393_991 Depth=1
	v_mov_b32_e32 v10, 0xffff
	v_mov_b32_e32 v99, 0x7f800001
	s_mov_b32 s15, exec_lo
	v_and_b32_sdwa v10, v10, v19 dst_sel:DWORD dst_unused:UNUSED_PAD src0_sel:DWORD src1_sel:BYTE_1
	v_and_b32_e32 v23, 0x7f, v10
	v_cmpx_ne_u32_e32 0x7f, v23
	s_cbranch_execz .LBB393_1797
; %bb.1794:                             ;   in Loop: Header=BB393_991 Depth=1
	v_and_b32_e32 v10, 7, v10
	v_lshrrev_b32_e32 v99, 3, v23
	v_cmp_gt_u32_e64 s4, 8, v23
	v_mov_b32_e32 v24, v11
	v_mov_b32_e32 v23, v10
	s_and_saveexec_b32 s18, s4
; %bb.1795:                             ;   in Loop: Header=BB393_991 Depth=1
	v_ffbh_u32_e32 v23, v10
	v_min_u32_e32 v99, 32, v23
	v_subrev_nc_u32_e32 v23, 28, v99
	v_sub_nc_u32_e32 v99, 29, v99
	v_lshlrev_b64 v[23:24], v23, v[10:11]
	v_and_b32_e32 v23, 7, v23
; %bb.1796:                             ;   in Loop: Header=BB393_991 Depth=1
	s_or_b32 exec_lo, exec_lo, s18
	v_lshlrev_b32_e32 v10, 16, v19
	v_lshlrev_b32_e32 v23, 20, v23
	v_lshl_add_u32 v24, v99, 23, 0x3c000000
	v_and_b32_e32 v10, 0x80000000, v10
	v_or3_b32 v99, v23, v10, v24
.LBB393_1797:                           ;   in Loop: Header=BB393_991 Depth=1
	s_or_b32 exec_lo, exec_lo, s15
.LBB393_1798:                           ;   in Loop: Header=BB393_991 Depth=1
	s_or_b32 exec_lo, exec_lo, s13
.LBB393_1799:                           ;   in Loop: Header=BB393_991 Depth=1
	s_or_b32 exec_lo, exec_lo, s12
	v_and_b32_sdwa v10, v19, v69 dst_sel:DWORD dst_unused:UNUSED_PAD src0_sel:WORD_1 src1_sel:DWORD
	v_mov_b32_e32 v114, 0
	v_mov_b32_e32 v115, 0
	s_mov_b32 s12, exec_lo
	v_cmpx_ne_u16_e32 0, v10
	s_cbranch_execz .LBB393_1807
; %bb.1800:                             ;   in Loop: Header=BB393_991 Depth=1
	v_bfrev_b32_e32 v115, 1
	s_mov_b32 s13, exec_lo
	v_cmpx_ne_u16_e32 0x80, v10
	s_cbranch_execz .LBB393_1806
; %bb.1801:                             ;   in Loop: Header=BB393_991 Depth=1
	v_bfe_u32 v23, v19, 16, 7
	v_mov_b32_e32 v115, 0x7f800001
	s_mov_b32 s15, exec_lo
	v_cmpx_ne_u32_e32 0x7f, v23
	s_cbranch_execz .LBB393_1805
; %bb.1802:                             ;   in Loop: Header=BB393_991 Depth=1
	v_mov_b32_e32 v10, 7
	v_lshrrev_b32_e32 v112, 3, v23
	v_cmp_gt_u32_e64 s4, 8, v23
	v_and_b32_sdwa v10, v19, v10 dst_sel:DWORD dst_unused:UNUSED_PAD src0_sel:WORD_1 src1_sel:DWORD
	v_mov_b32_e32 v24, v11
	v_mov_b32_e32 v23, v10
	s_and_saveexec_b32 s18, s4
; %bb.1803:                             ;   in Loop: Header=BB393_991 Depth=1
	v_ffbh_u32_e32 v23, v10
	v_min_u32_e32 v112, 32, v23
	v_subrev_nc_u32_e32 v23, 28, v112
	v_sub_nc_u32_e32 v112, 29, v112
	v_lshlrev_b64 v[23:24], v23, v[10:11]
	v_and_b32_e32 v23, 7, v23
; %bb.1804:                             ;   in Loop: Header=BB393_991 Depth=1
	s_or_b32 exec_lo, exec_lo, s18
	v_mov_b32_e32 v10, 24
	v_lshlrev_b32_e32 v23, 20, v23
	v_lshl_add_u32 v24, v112, 23, 0x3c000000
	v_lshlrev_b32_sdwa v10, v10, v19 dst_sel:DWORD dst_unused:UNUSED_PAD src0_sel:DWORD src1_sel:WORD_1
	v_and_b32_e32 v10, 0x80000000, v10
	v_or3_b32 v115, v23, v10, v24
.LBB393_1805:                           ;   in Loop: Header=BB393_991 Depth=1
	s_or_b32 exec_lo, exec_lo, s15
.LBB393_1806:                           ;   in Loop: Header=BB393_991 Depth=1
	s_or_b32 exec_lo, exec_lo, s13
.LBB393_1807:                           ;   in Loop: Header=BB393_991 Depth=1
	s_or_b32 exec_lo, exec_lo, s12
	s_mov_b32 s12, exec_lo
	v_cmpx_lt_u32_e32 0xffffff, v19
	s_cbranch_execz .LBB393_1815
; %bb.1808:                             ;   in Loop: Header=BB393_991 Depth=1
	v_cmp_ne_u32_sdwa s4, v19, v67 src0_sel:BYTE_3 src1_sel:DWORD
	v_bfrev_b32_e32 v114, 1
	s_and_saveexec_b32 s13, s4
	s_cbranch_execz .LBB393_1814
; %bb.1809:                             ;   in Loop: Header=BB393_991 Depth=1
	v_bfe_u32 v23, v19, 24, 7
	v_mov_b32_e32 v114, 0x7f800001
	s_mov_b32 s15, exec_lo
	v_cmpx_ne_u32_e32 0x7f, v23
	s_cbranch_execz .LBB393_1813
; %bb.1810:                             ;   in Loop: Header=BB393_991 Depth=1
	v_mov_b32_e32 v10, 7
	v_lshrrev_b32_e32 v112, 3, v23
	v_cmp_gt_u32_e64 s4, 8, v23
	v_and_b32_sdwa v10, v19, v10 dst_sel:DWORD dst_unused:UNUSED_PAD src0_sel:BYTE_3 src1_sel:DWORD
	v_mov_b32_e32 v24, v11
	v_mov_b32_e32 v23, v10
	s_and_saveexec_b32 s18, s4
; %bb.1811:                             ;   in Loop: Header=BB393_991 Depth=1
	v_ffbh_u32_e32 v23, v10
	v_min_u32_e32 v112, 32, v23
	v_subrev_nc_u32_e32 v23, 28, v112
	v_sub_nc_u32_e32 v112, 29, v112
	v_lshlrev_b64 v[23:24], v23, v[10:11]
	v_and_b32_e32 v23, 7, v23
; %bb.1812:                             ;   in Loop: Header=BB393_991 Depth=1
	s_or_b32 exec_lo, exec_lo, s18
	v_mov_b32_e32 v10, 24
	v_lshlrev_b32_e32 v23, 20, v23
	v_lshl_add_u32 v24, v112, 23, 0x3c000000
	v_lshlrev_b32_sdwa v10, v10, v19 dst_sel:DWORD dst_unused:UNUSED_PAD src0_sel:DWORD src1_sel:BYTE_3
	v_and_b32_e32 v10, 0x80000000, v10
	v_or3_b32 v114, v23, v10, v24
.LBB393_1813:                           ;   in Loop: Header=BB393_991 Depth=1
	s_or_b32 exec_lo, exec_lo, s15
.LBB393_1814:                           ;   in Loop: Header=BB393_991 Depth=1
	s_or_b32 exec_lo, exec_lo, s13
.LBB393_1815:                           ;   in Loop: Header=BB393_991 Depth=1
	s_or_b32 exec_lo, exec_lo, s12
	v_mov_b32_e32 v10, v20
	v_cmp_ne_u16_sdwa s4, v20, v11 src0_sel:BYTE_0 src1_sel:DWORD
	v_mov_b32_e32 v112, 0
	v_mov_b32_e32 v113, 0
	s_and_saveexec_b32 s12, s4
	s_cbranch_execz .LBB393_1823
; %bb.1816:                             ;   in Loop: Header=BB393_991 Depth=1
	v_cmp_ne_u16_sdwa s4, v20, v67 src0_sel:BYTE_0 src1_sel:DWORD
	v_bfrev_b32_e32 v113, 1
	s_and_saveexec_b32 s13, s4
	s_cbranch_execz .LBB393_1822
; %bb.1817:                             ;   in Loop: Header=BB393_991 Depth=1
	v_and_b32_e32 v23, 0x7f, v20
	v_mov_b32_e32 v113, 0x7f800001
	s_mov_b32 s15, exec_lo
	v_cmpx_ne_u32_e32 0x7f, v23
	s_cbranch_execz .LBB393_1821
; %bb.1818:                             ;   in Loop: Header=BB393_991 Depth=1
	v_lshrrev_b32_e32 v113, 3, v23
	v_cmp_gt_u32_e64 s4, 8, v23
	v_mov_b32_e32 v24, v11
	v_mov_b32_e32 v23, v10
	s_and_saveexec_b32 s18, s4
; %bb.1819:                             ;   in Loop: Header=BB393_991 Depth=1
	v_and_b32_e32 v23, 7, v20
	v_ffbh_u32_e32 v23, v23
	v_min_u32_e32 v113, 32, v23
	v_subrev_nc_u32_e32 v23, 28, v113
	v_sub_nc_u32_e32 v113, 29, v113
	v_lshlrev_b64 v[23:24], v23, v[10:11]
; %bb.1820:                             ;   in Loop: Header=BB393_991 Depth=1
	s_or_b32 exec_lo, exec_lo, s18
	v_lshlrev_b32_e32 v23, 20, v23
	v_lshlrev_b32_e32 v24, 24, v10
	v_lshl_add_u32 v113, v113, 23, 0x3c000000
	v_and_b32_e32 v23, 0x700000, v23
	v_and_b32_e32 v24, 0x80000000, v24
	v_or3_b32 v113, v23, v24, v113
.LBB393_1821:                           ;   in Loop: Header=BB393_991 Depth=1
	s_or_b32 exec_lo, exec_lo, s15
.LBB393_1822:                           ;   in Loop: Header=BB393_991 Depth=1
	s_or_b32 exec_lo, exec_lo, s13
.LBB393_1823:                           ;   in Loop: Header=BB393_991 Depth=1
	s_or_b32 exec_lo, exec_lo, s12
	v_cmp_ne_u16_sdwa s4, v10, v11 src0_sel:BYTE_1 src1_sel:DWORD
	s_and_saveexec_b32 s12, s4
	s_cbranch_execz .LBB393_1831
; %bb.1824:                             ;   in Loop: Header=BB393_991 Depth=1
	v_cmp_ne_u16_sdwa s4, v10, v67 src0_sel:BYTE_1 src1_sel:DWORD
	v_bfrev_b32_e32 v112, 1
	s_and_saveexec_b32 s13, s4
	s_cbranch_execz .LBB393_1830
; %bb.1825:                             ;   in Loop: Header=BB393_991 Depth=1
	v_mov_b32_e32 v23, 0xffff
	v_mov_b32_e32 v112, 0x7f800001
	s_mov_b32 s15, exec_lo
	v_and_b32_sdwa v23, v23, v10 dst_sel:DWORD dst_unused:UNUSED_PAD src0_sel:DWORD src1_sel:BYTE_1
	v_and_b32_e32 v116, 0x7f, v23
	v_cmpx_ne_u32_e32 0x7f, v116
	s_cbranch_execz .LBB393_1829
; %bb.1826:                             ;   in Loop: Header=BB393_991 Depth=1
	v_and_b32_e32 v23, 7, v23
	v_mov_b32_e32 v24, v11
	v_lshrrev_b32_e32 v112, 3, v116
	s_mov_b32 s18, exec_lo
	v_cmpx_gt_u32_e32 8, v116
; %bb.1827:                             ;   in Loop: Header=BB393_991 Depth=1
	v_ffbh_u32_e32 v112, v23
	v_min_u32_e32 v112, 32, v112
	v_subrev_nc_u32_e32 v116, 28, v112
	v_sub_nc_u32_e32 v112, 29, v112
	v_lshlrev_b64 v[23:24], v116, v[23:24]
	v_and_b32_e32 v23, 7, v23
; %bb.1828:                             ;   in Loop: Header=BB393_991 Depth=1
	s_or_b32 exec_lo, exec_lo, s18
	v_lshlrev_b32_e32 v10, 16, v10
	v_lshlrev_b32_e32 v23, 20, v23
	v_lshl_add_u32 v24, v112, 23, 0x3c000000
	v_and_b32_e32 v10, 0x80000000, v10
	v_or3_b32 v112, v23, v10, v24
.LBB393_1829:                           ;   in Loop: Header=BB393_991 Depth=1
	s_or_b32 exec_lo, exec_lo, s15
.LBB393_1830:                           ;   in Loop: Header=BB393_991 Depth=1
	s_or_b32 exec_lo, exec_lo, s13
.LBB393_1831:                           ;   in Loop: Header=BB393_991 Depth=1
	s_or_b32 exec_lo, exec_lo, s12
	v_and_b32_sdwa v10, v20, v69 dst_sel:DWORD dst_unused:UNUSED_PAD src0_sel:WORD_1 src1_sel:DWORD
	v_mov_b32_e32 v119, 0
	v_mov_b32_e32 v116, 0
	s_mov_b32 s12, exec_lo
	v_cmpx_ne_u16_e32 0, v10
	s_cbranch_execz .LBB393_1839
; %bb.1832:                             ;   in Loop: Header=BB393_991 Depth=1
	v_bfrev_b32_e32 v116, 1
	s_mov_b32 s13, exec_lo
	v_cmpx_ne_u16_e32 0x80, v10
	s_cbranch_execz .LBB393_1838
; %bb.1833:                             ;   in Loop: Header=BB393_991 Depth=1
	v_bfe_u32 v23, v20, 16, 7
	v_mov_b32_e32 v116, 0x7f800001
	s_mov_b32 s15, exec_lo
	v_cmpx_ne_u32_e32 0x7f, v23
	s_cbranch_execz .LBB393_1837
; %bb.1834:                             ;   in Loop: Header=BB393_991 Depth=1
	v_mov_b32_e32 v10, 7
	v_lshrrev_b32_e32 v116, 3, v23
	v_cmp_gt_u32_e64 s4, 8, v23
	v_and_b32_sdwa v10, v20, v10 dst_sel:DWORD dst_unused:UNUSED_PAD src0_sel:WORD_1 src1_sel:DWORD
	v_mov_b32_e32 v24, v11
	v_mov_b32_e32 v23, v10
	s_and_saveexec_b32 s18, s4
; %bb.1835:                             ;   in Loop: Header=BB393_991 Depth=1
	v_ffbh_u32_e32 v23, v10
	v_min_u32_e32 v116, 32, v23
	v_subrev_nc_u32_e32 v23, 28, v116
	v_sub_nc_u32_e32 v116, 29, v116
	v_lshlrev_b64 v[23:24], v23, v[10:11]
	v_and_b32_e32 v23, 7, v23
; %bb.1836:                             ;   in Loop: Header=BB393_991 Depth=1
	s_or_b32 exec_lo, exec_lo, s18
	v_mov_b32_e32 v10, 24
	v_lshlrev_b32_e32 v23, 20, v23
	v_lshl_add_u32 v24, v116, 23, 0x3c000000
	v_lshlrev_b32_sdwa v10, v10, v20 dst_sel:DWORD dst_unused:UNUSED_PAD src0_sel:DWORD src1_sel:WORD_1
	v_and_b32_e32 v10, 0x80000000, v10
	v_or3_b32 v116, v23, v10, v24
.LBB393_1837:                           ;   in Loop: Header=BB393_991 Depth=1
	s_or_b32 exec_lo, exec_lo, s15
.LBB393_1838:                           ;   in Loop: Header=BB393_991 Depth=1
	s_or_b32 exec_lo, exec_lo, s13
.LBB393_1839:                           ;   in Loop: Header=BB393_991 Depth=1
	s_or_b32 exec_lo, exec_lo, s12
	s_mov_b32 s12, exec_lo
	v_cmpx_lt_u64_e64 s[8:9], v[19:20]
	s_cbranch_execz .LBB393_1847
; %bb.1840:                             ;   in Loop: Header=BB393_991 Depth=1
	v_cmp_ne_u32_sdwa s4, v20, v67 src0_sel:BYTE_3 src1_sel:DWORD
	v_bfrev_b32_e32 v119, 1
	s_and_saveexec_b32 s13, s4
	s_cbranch_execz .LBB393_1846
; %bb.1841:                             ;   in Loop: Header=BB393_991 Depth=1
	v_bfe_u32 v23, v20, 24, 7
	v_mov_b32_e32 v119, 0x7f800001
	s_mov_b32 s15, exec_lo
	v_cmpx_ne_u32_e32 0x7f, v23
	s_cbranch_execz .LBB393_1845
; %bb.1842:                             ;   in Loop: Header=BB393_991 Depth=1
	v_mov_b32_e32 v10, 7
	v_lshrrev_b32_e32 v19, 3, v23
	v_cmp_gt_u32_e64 s4, 8, v23
	v_and_b32_sdwa v10, v20, v10 dst_sel:DWORD dst_unused:UNUSED_PAD src0_sel:BYTE_3 src1_sel:DWORD
	v_mov_b32_e32 v24, v11
	v_mov_b32_e32 v23, v10
	s_and_saveexec_b32 s18, s4
; %bb.1843:                             ;   in Loop: Header=BB393_991 Depth=1
	v_ffbh_u32_e32 v19, v10
	v_min_u32_e32 v19, 32, v19
	v_subrev_nc_u32_e32 v23, 28, v19
	v_sub_nc_u32_e32 v19, 29, v19
	v_lshlrev_b64 v[23:24], v23, v[10:11]
	v_and_b32_e32 v23, 7, v23
; %bb.1844:                             ;   in Loop: Header=BB393_991 Depth=1
	s_or_b32 exec_lo, exec_lo, s18
	v_mov_b32_e32 v10, 24
	v_lshl_add_u32 v19, v19, 23, 0x3c000000
	v_lshlrev_b32_sdwa v10, v10, v20 dst_sel:DWORD dst_unused:UNUSED_PAD src0_sel:DWORD src1_sel:BYTE_3
	v_lshlrev_b32_e32 v20, 20, v23
	v_and_b32_e32 v10, 0x80000000, v10
	v_or3_b32 v119, v20, v10, v19
.LBB393_1845:                           ;   in Loop: Header=BB393_991 Depth=1
	s_or_b32 exec_lo, exec_lo, s15
.LBB393_1846:                           ;   in Loop: Header=BB393_991 Depth=1
	s_or_b32 exec_lo, exec_lo, s13
.LBB393_1847:                           ;   in Loop: Header=BB393_991 Depth=1
	s_or_b32 exec_lo, exec_lo, s12
	v_mul_f32_e32 v10, v26, v112
	v_bfe_u32 v19, v10, 16, 1
	v_or_b32_e32 v20, 0x400000, v10
	v_cmp_u_f32_e64 s4, v10, v10
	v_add3_u32 v19, v19, v10, 0x7fff
	v_cndmask_b32_e64 v10, v19, v20, s4
	v_lshrrev_b32_e32 v112, 16, v10
	v_mul_f32_e32 v10, v26, v113
	v_bfe_u32 v19, v10, 16, 1
	v_or_b32_e32 v20, 0x400000, v10
	v_cmp_u_f32_e64 s4, v10, v10
	v_add3_u32 v19, v19, v10, 0x7fff
	v_cndmask_b32_e64 v10, v19, v20, s4
	v_lshrrev_b32_e32 v113, 16, v10
	v_mul_f32_e32 v10, v26, v114
	v_bfe_u32 v19, v10, 16, 1
	v_or_b32_e32 v20, 0x400000, v10
	v_cmp_u_f32_e64 s4, v10, v10
	v_add3_u32 v19, v19, v10, 0x7fff
	v_cndmask_b32_e64 v10, v19, v20, s4
	v_lshrrev_b32_e32 v114, 16, v10
	v_mul_f32_e32 v10, v26, v115
	v_bfe_u32 v19, v10, 16, 1
	v_or_b32_e32 v20, 0x400000, v10
	v_cmp_u_f32_e64 s4, v10, v10
	v_add3_u32 v19, v19, v10, 0x7fff
	v_cndmask_b32_e64 v10, v19, v20, s4
	v_lshrrev_b32_e32 v115, 16, v10
	v_mul_f32_e32 v10, v26, v99
	v_bfe_u32 v19, v10, 16, 1
	v_or_b32_e32 v20, 0x400000, v10
	v_cmp_u_f32_e64 s4, v10, v10
	v_add3_u32 v19, v19, v10, 0x7fff
	v_cndmask_b32_e64 v10, v19, v20, s4
	v_lshrrev_b32_e32 v117, 16, v10
	v_mul_f32_e32 v10, v26, v16
	v_bfe_u32 v16, v10, 16, 1
	v_or_b32_e32 v19, 0x400000, v10
	v_cmp_u_f32_e64 s4, v10, v10
	v_add3_u32 v16, v16, v10, 0x7fff
	v_cndmask_b32_e64 v10, v16, v19, s4
	v_lshrrev_b32_e32 v118, 16, v10
	v_mul_f32_e32 v10, v26, v116
	v_bfe_u32 v16, v10, 16, 1
	v_or_b32_e32 v19, 0x400000, v10
	v_cmp_u_f32_e64 s4, v10, v10
	v_add3_u32 v16, v16, v10, 0x7fff
	v_cndmask_b32_e64 v10, v16, v19, s4
	v_lshrrev_b32_e32 v116, 16, v10
	v_mul_f32_e32 v10, v26, v119
	v_bfe_u32 v16, v10, 16, 1
	v_or_b32_e32 v19, 0x400000, v10
	v_cmp_u_f32_e64 s4, v10, v10
	v_add3_u32 v16, v16, v10, 0x7fff
	v_cndmask_b32_e64 v10, v16, v19, s4
	v_lshrrev_b32_e32 v119, 16, v10
	s_and_saveexec_b32 s12, vcc_lo
	s_cbranch_execz .LBB393_1849
; %bb.1848:                             ;   in Loop: Header=BB393_991 Depth=1
	v_cmp_lt_i32_e64 s4, v44, v35
	v_cndmask_b32_e64 v118, 0, v118, s4
	v_cmp_lt_i32_e64 s4, v61, v35
	v_cndmask_b32_e64 v117, 0, v117, s4
	;; [unrolled: 2-line block ×8, first 2 shown]
.LBB393_1849:                           ;   in Loop: Header=BB393_991 Depth=1
	s_or_b32 exec_lo, exec_lo, s12
	flat_load_dwordx2 v[19:20], v[17:18] offset:1280
	v_mov_b32_e32 v99, 0
	v_mov_b32_e32 v16, 0
	s_waitcnt vmcnt(0) lgkmcnt(0)
	v_cmp_ne_u16_sdwa s4, v19, v11 src0_sel:BYTE_0 src1_sel:DWORD
	s_and_saveexec_b32 s12, s4
	s_cbranch_execz .LBB393_1857
; %bb.1850:                             ;   in Loop: Header=BB393_991 Depth=1
	v_cmp_ne_u16_sdwa s4, v19, v67 src0_sel:BYTE_0 src1_sel:DWORD
	v_bfrev_b32_e32 v16, 1
	s_and_saveexec_b32 s13, s4
	s_cbranch_execz .LBB393_1856
; %bb.1851:                             ;   in Loop: Header=BB393_991 Depth=1
	v_and_b32_e32 v23, 0x7f, v19
	v_mov_b32_e32 v16, 0x7f800001
	s_mov_b32 s15, exec_lo
	v_cmpx_ne_u32_e32 0x7f, v23
	s_cbranch_execz .LBB393_1855
; %bb.1852:                             ;   in Loop: Header=BB393_991 Depth=1
	v_lshrrev_b32_e32 v10, 3, v23
	v_cmp_gt_u32_e64 s4, 8, v23
	v_mov_b32_e32 v24, v20
	v_mov_b32_e32 v23, v19
	s_and_saveexec_b32 s18, s4
; %bb.1853:                             ;   in Loop: Header=BB393_991 Depth=1
	v_and_b32_e32 v10, 7, v19
	v_ffbh_u32_e32 v10, v10
	v_min_u32_e32 v10, 32, v10
	v_subrev_nc_u32_e32 v16, 28, v10
	v_sub_nc_u32_e32 v10, 29, v10
	v_lshlrev_b64 v[23:24], v16, v[19:20]
; %bb.1854:                             ;   in Loop: Header=BB393_991 Depth=1
	s_or_b32 exec_lo, exec_lo, s18
	v_lshlrev_b32_e32 v16, 20, v23
	v_lshlrev_b32_e32 v23, 24, v19
	v_lshl_add_u32 v10, v10, 23, 0x3c000000
	v_and_b32_e32 v16, 0x700000, v16
	v_and_b32_e32 v23, 0x80000000, v23
	v_or3_b32 v16, v16, v23, v10
.LBB393_1855:                           ;   in Loop: Header=BB393_991 Depth=1
	s_or_b32 exec_lo, exec_lo, s15
.LBB393_1856:                           ;   in Loop: Header=BB393_991 Depth=1
	s_or_b32 exec_lo, exec_lo, s13
.LBB393_1857:                           ;   in Loop: Header=BB393_991 Depth=1
	s_or_b32 exec_lo, exec_lo, s12
	v_cmp_ne_u16_sdwa s4, v19, v11 src0_sel:BYTE_1 src1_sel:DWORD
	s_and_saveexec_b32 s12, s4
	s_cbranch_execz .LBB393_1865
; %bb.1858:                             ;   in Loop: Header=BB393_991 Depth=1
	v_cmp_ne_u16_sdwa s4, v19, v67 src0_sel:BYTE_1 src1_sel:DWORD
	v_bfrev_b32_e32 v99, 1
	s_and_saveexec_b32 s13, s4
	s_cbranch_execz .LBB393_1864
; %bb.1859:                             ;   in Loop: Header=BB393_991 Depth=1
	v_mov_b32_e32 v10, 0xffff
	v_mov_b32_e32 v99, 0x7f800001
	s_mov_b32 s15, exec_lo
	v_and_b32_sdwa v10, v10, v19 dst_sel:DWORD dst_unused:UNUSED_PAD src0_sel:DWORD src1_sel:BYTE_1
	v_and_b32_e32 v23, 0x7f, v10
	v_cmpx_ne_u32_e32 0x7f, v23
	s_cbranch_execz .LBB393_1863
; %bb.1860:                             ;   in Loop: Header=BB393_991 Depth=1
	v_and_b32_e32 v10, 7, v10
	v_lshrrev_b32_e32 v99, 3, v23
	v_cmp_gt_u32_e64 s4, 8, v23
	v_mov_b32_e32 v24, v11
	v_mov_b32_e32 v23, v10
	s_and_saveexec_b32 s18, s4
; %bb.1861:                             ;   in Loop: Header=BB393_991 Depth=1
	v_ffbh_u32_e32 v23, v10
	v_min_u32_e32 v99, 32, v23
	v_subrev_nc_u32_e32 v23, 28, v99
	v_sub_nc_u32_e32 v99, 29, v99
	v_lshlrev_b64 v[23:24], v23, v[10:11]
	v_and_b32_e32 v23, 7, v23
; %bb.1862:                             ;   in Loop: Header=BB393_991 Depth=1
	s_or_b32 exec_lo, exec_lo, s18
	v_lshlrev_b32_e32 v10, 16, v19
	v_lshlrev_b32_e32 v23, 20, v23
	v_lshl_add_u32 v24, v99, 23, 0x3c000000
	v_and_b32_e32 v10, 0x80000000, v10
	v_or3_b32 v99, v23, v10, v24
.LBB393_1863:                           ;   in Loop: Header=BB393_991 Depth=1
	s_or_b32 exec_lo, exec_lo, s15
.LBB393_1864:                           ;   in Loop: Header=BB393_991 Depth=1
	s_or_b32 exec_lo, exec_lo, s13
.LBB393_1865:                           ;   in Loop: Header=BB393_991 Depth=1
	s_or_b32 exec_lo, exec_lo, s12
	v_and_b32_sdwa v10, v19, v69 dst_sel:DWORD dst_unused:UNUSED_PAD src0_sel:WORD_1 src1_sel:DWORD
	v_mov_b32_e32 v42, 0
	v_mov_b32_e32 v43, 0
	s_mov_b32 s12, exec_lo
	v_cmpx_ne_u16_e32 0, v10
	s_cbranch_execz .LBB393_1873
; %bb.1866:                             ;   in Loop: Header=BB393_991 Depth=1
	v_bfrev_b32_e32 v43, 1
	s_mov_b32 s13, exec_lo
	v_cmpx_ne_u16_e32 0x80, v10
	s_cbranch_execz .LBB393_1872
; %bb.1867:                             ;   in Loop: Header=BB393_991 Depth=1
	v_bfe_u32 v23, v19, 16, 7
	v_mov_b32_e32 v43, 0x7f800001
	s_mov_b32 s15, exec_lo
	v_cmpx_ne_u32_e32 0x7f, v23
	s_cbranch_execz .LBB393_1871
; %bb.1868:                             ;   in Loop: Header=BB393_991 Depth=1
	v_mov_b32_e32 v10, 7
	v_lshrrev_b32_e32 v40, 3, v23
	v_cmp_gt_u32_e64 s4, 8, v23
	v_and_b32_sdwa v10, v19, v10 dst_sel:DWORD dst_unused:UNUSED_PAD src0_sel:WORD_1 src1_sel:DWORD
	v_mov_b32_e32 v24, v11
	v_mov_b32_e32 v23, v10
	s_and_saveexec_b32 s18, s4
; %bb.1869:                             ;   in Loop: Header=BB393_991 Depth=1
	v_ffbh_u32_e32 v23, v10
	v_min_u32_e32 v40, 32, v23
	v_subrev_nc_u32_e32 v23, 28, v40
	v_sub_nc_u32_e32 v40, 29, v40
	v_lshlrev_b64 v[23:24], v23, v[10:11]
	v_and_b32_e32 v23, 7, v23
; %bb.1870:                             ;   in Loop: Header=BB393_991 Depth=1
	s_or_b32 exec_lo, exec_lo, s18
	v_mov_b32_e32 v10, 24
	v_lshlrev_b32_e32 v23, 20, v23
	v_lshl_add_u32 v24, v40, 23, 0x3c000000
	v_lshlrev_b32_sdwa v10, v10, v19 dst_sel:DWORD dst_unused:UNUSED_PAD src0_sel:DWORD src1_sel:WORD_1
	v_and_b32_e32 v10, 0x80000000, v10
	v_or3_b32 v43, v23, v10, v24
.LBB393_1871:                           ;   in Loop: Header=BB393_991 Depth=1
	s_or_b32 exec_lo, exec_lo, s15
.LBB393_1872:                           ;   in Loop: Header=BB393_991 Depth=1
	s_or_b32 exec_lo, exec_lo, s13
.LBB393_1873:                           ;   in Loop: Header=BB393_991 Depth=1
	s_or_b32 exec_lo, exec_lo, s12
	s_mov_b32 s12, exec_lo
	v_cmpx_lt_u32_e32 0xffffff, v19
	s_cbranch_execz .LBB393_1881
; %bb.1874:                             ;   in Loop: Header=BB393_991 Depth=1
	v_cmp_ne_u32_sdwa s4, v19, v67 src0_sel:BYTE_3 src1_sel:DWORD
	v_bfrev_b32_e32 v42, 1
	s_and_saveexec_b32 s13, s4
	s_cbranch_execz .LBB393_1880
; %bb.1875:                             ;   in Loop: Header=BB393_991 Depth=1
	v_bfe_u32 v23, v19, 24, 7
	v_mov_b32_e32 v42, 0x7f800001
	s_mov_b32 s15, exec_lo
	v_cmpx_ne_u32_e32 0x7f, v23
	s_cbranch_execz .LBB393_1879
; %bb.1876:                             ;   in Loop: Header=BB393_991 Depth=1
	v_mov_b32_e32 v10, 7
	v_lshrrev_b32_e32 v40, 3, v23
	v_cmp_gt_u32_e64 s4, 8, v23
	v_and_b32_sdwa v10, v19, v10 dst_sel:DWORD dst_unused:UNUSED_PAD src0_sel:BYTE_3 src1_sel:DWORD
	v_mov_b32_e32 v24, v11
	v_mov_b32_e32 v23, v10
	s_and_saveexec_b32 s18, s4
; %bb.1877:                             ;   in Loop: Header=BB393_991 Depth=1
	v_ffbh_u32_e32 v23, v10
	v_min_u32_e32 v40, 32, v23
	v_subrev_nc_u32_e32 v23, 28, v40
	v_sub_nc_u32_e32 v40, 29, v40
	v_lshlrev_b64 v[23:24], v23, v[10:11]
	v_and_b32_e32 v23, 7, v23
; %bb.1878:                             ;   in Loop: Header=BB393_991 Depth=1
	s_or_b32 exec_lo, exec_lo, s18
	v_mov_b32_e32 v10, 24
	v_lshlrev_b32_e32 v23, 20, v23
	v_lshl_add_u32 v24, v40, 23, 0x3c000000
	v_lshlrev_b32_sdwa v10, v10, v19 dst_sel:DWORD dst_unused:UNUSED_PAD src0_sel:DWORD src1_sel:BYTE_3
	v_and_b32_e32 v10, 0x80000000, v10
	v_or3_b32 v42, v23, v10, v24
.LBB393_1879:                           ;   in Loop: Header=BB393_991 Depth=1
	s_or_b32 exec_lo, exec_lo, s15
.LBB393_1880:                           ;   in Loop: Header=BB393_991 Depth=1
	s_or_b32 exec_lo, exec_lo, s13
.LBB393_1881:                           ;   in Loop: Header=BB393_991 Depth=1
	s_or_b32 exec_lo, exec_lo, s12
	v_mov_b32_e32 v10, v20
	v_cmp_ne_u16_sdwa s4, v20, v11 src0_sel:BYTE_0 src1_sel:DWORD
	v_mov_b32_e32 v40, 0
	v_mov_b32_e32 v41, 0
	s_and_saveexec_b32 s12, s4
	s_cbranch_execz .LBB393_1889
; %bb.1882:                             ;   in Loop: Header=BB393_991 Depth=1
	v_cmp_ne_u16_sdwa s4, v20, v67 src0_sel:BYTE_0 src1_sel:DWORD
	v_bfrev_b32_e32 v41, 1
	s_and_saveexec_b32 s13, s4
	s_cbranch_execz .LBB393_1888
; %bb.1883:                             ;   in Loop: Header=BB393_991 Depth=1
	v_and_b32_e32 v23, 0x7f, v20
	v_mov_b32_e32 v41, 0x7f800001
	s_mov_b32 s15, exec_lo
	v_cmpx_ne_u32_e32 0x7f, v23
	s_cbranch_execz .LBB393_1887
; %bb.1884:                             ;   in Loop: Header=BB393_991 Depth=1
	v_lshrrev_b32_e32 v41, 3, v23
	v_cmp_gt_u32_e64 s4, 8, v23
	v_mov_b32_e32 v24, v11
	v_mov_b32_e32 v23, v10
	s_and_saveexec_b32 s18, s4
; %bb.1885:                             ;   in Loop: Header=BB393_991 Depth=1
	v_and_b32_e32 v23, 7, v20
	v_ffbh_u32_e32 v23, v23
	v_min_u32_e32 v41, 32, v23
	v_subrev_nc_u32_e32 v23, 28, v41
	v_sub_nc_u32_e32 v41, 29, v41
	v_lshlrev_b64 v[23:24], v23, v[10:11]
; %bb.1886:                             ;   in Loop: Header=BB393_991 Depth=1
	s_or_b32 exec_lo, exec_lo, s18
	v_lshlrev_b32_e32 v23, 20, v23
	v_lshlrev_b32_e32 v24, 24, v10
	v_lshl_add_u32 v41, v41, 23, 0x3c000000
	v_and_b32_e32 v23, 0x700000, v23
	v_and_b32_e32 v24, 0x80000000, v24
	v_or3_b32 v41, v23, v24, v41
.LBB393_1887:                           ;   in Loop: Header=BB393_991 Depth=1
	s_or_b32 exec_lo, exec_lo, s15
.LBB393_1888:                           ;   in Loop: Header=BB393_991 Depth=1
	s_or_b32 exec_lo, exec_lo, s13
.LBB393_1889:                           ;   in Loop: Header=BB393_991 Depth=1
	s_or_b32 exec_lo, exec_lo, s12
	v_cmp_ne_u16_sdwa s4, v10, v11 src0_sel:BYTE_1 src1_sel:DWORD
	s_and_saveexec_b32 s12, s4
	s_cbranch_execz .LBB393_1897
; %bb.1890:                             ;   in Loop: Header=BB393_991 Depth=1
	v_cmp_ne_u16_sdwa s4, v10, v67 src0_sel:BYTE_1 src1_sel:DWORD
	v_bfrev_b32_e32 v40, 1
	s_and_saveexec_b32 s13, s4
	s_cbranch_execz .LBB393_1896
; %bb.1891:                             ;   in Loop: Header=BB393_991 Depth=1
	v_mov_b32_e32 v23, 0xffff
	v_mov_b32_e32 v40, 0x7f800001
	s_mov_b32 s15, exec_lo
	v_and_b32_sdwa v23, v23, v10 dst_sel:DWORD dst_unused:UNUSED_PAD src0_sel:DWORD src1_sel:BYTE_1
	v_and_b32_e32 v45, 0x7f, v23
	v_cmpx_ne_u32_e32 0x7f, v45
	s_cbranch_execz .LBB393_1895
; %bb.1892:                             ;   in Loop: Header=BB393_991 Depth=1
	v_and_b32_e32 v23, 7, v23
	v_mov_b32_e32 v24, v11
	v_lshrrev_b32_e32 v40, 3, v45
	s_mov_b32 s18, exec_lo
	v_cmpx_gt_u32_e32 8, v45
; %bb.1893:                             ;   in Loop: Header=BB393_991 Depth=1
	v_ffbh_u32_e32 v40, v23
	v_min_u32_e32 v40, 32, v40
	v_subrev_nc_u32_e32 v45, 28, v40
	v_sub_nc_u32_e32 v40, 29, v40
	v_lshlrev_b64 v[23:24], v45, v[23:24]
	v_and_b32_e32 v23, 7, v23
; %bb.1894:                             ;   in Loop: Header=BB393_991 Depth=1
	s_or_b32 exec_lo, exec_lo, s18
	v_lshlrev_b32_e32 v10, 16, v10
	v_lshlrev_b32_e32 v23, 20, v23
	v_lshl_add_u32 v24, v40, 23, 0x3c000000
	v_and_b32_e32 v10, 0x80000000, v10
	v_or3_b32 v40, v23, v10, v24
.LBB393_1895:                           ;   in Loop: Header=BB393_991 Depth=1
	s_or_b32 exec_lo, exec_lo, s15
.LBB393_1896:                           ;   in Loop: Header=BB393_991 Depth=1
	s_or_b32 exec_lo, exec_lo, s13
.LBB393_1897:                           ;   in Loop: Header=BB393_991 Depth=1
	s_or_b32 exec_lo, exec_lo, s12
	v_and_b32_sdwa v10, v20, v69 dst_sel:DWORD dst_unused:UNUSED_PAD src0_sel:WORD_1 src1_sel:DWORD
	v_mov_b32_e32 v62, 0
	v_mov_b32_e32 v45, 0
	s_mov_b32 s12, exec_lo
	v_cmpx_ne_u16_e32 0, v10
	s_cbranch_execz .LBB393_1905
; %bb.1898:                             ;   in Loop: Header=BB393_991 Depth=1
	v_bfrev_b32_e32 v45, 1
	s_mov_b32 s13, exec_lo
	v_cmpx_ne_u16_e32 0x80, v10
	s_cbranch_execz .LBB393_1904
; %bb.1899:                             ;   in Loop: Header=BB393_991 Depth=1
	v_bfe_u32 v23, v20, 16, 7
	v_mov_b32_e32 v45, 0x7f800001
	s_mov_b32 s15, exec_lo
	v_cmpx_ne_u32_e32 0x7f, v23
	s_cbranch_execz .LBB393_1903
; %bb.1900:                             ;   in Loop: Header=BB393_991 Depth=1
	v_mov_b32_e32 v10, 7
	v_lshrrev_b32_e32 v45, 3, v23
	v_cmp_gt_u32_e64 s4, 8, v23
	v_and_b32_sdwa v10, v20, v10 dst_sel:DWORD dst_unused:UNUSED_PAD src0_sel:WORD_1 src1_sel:DWORD
	v_mov_b32_e32 v24, v11
	v_mov_b32_e32 v23, v10
	s_and_saveexec_b32 s18, s4
; %bb.1901:                             ;   in Loop: Header=BB393_991 Depth=1
	v_ffbh_u32_e32 v23, v10
	v_min_u32_e32 v45, 32, v23
	v_subrev_nc_u32_e32 v23, 28, v45
	v_sub_nc_u32_e32 v45, 29, v45
	v_lshlrev_b64 v[23:24], v23, v[10:11]
	v_and_b32_e32 v23, 7, v23
; %bb.1902:                             ;   in Loop: Header=BB393_991 Depth=1
	s_or_b32 exec_lo, exec_lo, s18
	v_mov_b32_e32 v10, 24
	v_lshlrev_b32_e32 v23, 20, v23
	v_lshl_add_u32 v24, v45, 23, 0x3c000000
	v_lshlrev_b32_sdwa v10, v10, v20 dst_sel:DWORD dst_unused:UNUSED_PAD src0_sel:DWORD src1_sel:WORD_1
	v_and_b32_e32 v10, 0x80000000, v10
	v_or3_b32 v45, v23, v10, v24
.LBB393_1903:                           ;   in Loop: Header=BB393_991 Depth=1
	s_or_b32 exec_lo, exec_lo, s15
.LBB393_1904:                           ;   in Loop: Header=BB393_991 Depth=1
	s_or_b32 exec_lo, exec_lo, s13
.LBB393_1905:                           ;   in Loop: Header=BB393_991 Depth=1
	s_or_b32 exec_lo, exec_lo, s12
	s_mov_b32 s12, exec_lo
	v_cmpx_lt_u64_e64 s[8:9], v[19:20]
	s_cbranch_execz .LBB393_1913
; %bb.1906:                             ;   in Loop: Header=BB393_991 Depth=1
	v_cmp_ne_u32_sdwa s4, v20, v67 src0_sel:BYTE_3 src1_sel:DWORD
	v_bfrev_b32_e32 v62, 1
	s_and_saveexec_b32 s13, s4
	s_cbranch_execz .LBB393_1912
; %bb.1907:                             ;   in Loop: Header=BB393_991 Depth=1
	v_bfe_u32 v23, v20, 24, 7
	v_mov_b32_e32 v62, 0x7f800001
	s_mov_b32 s15, exec_lo
	v_cmpx_ne_u32_e32 0x7f, v23
	s_cbranch_execz .LBB393_1911
; %bb.1908:                             ;   in Loop: Header=BB393_991 Depth=1
	v_mov_b32_e32 v10, 7
	v_lshrrev_b32_e32 v19, 3, v23
	v_cmp_gt_u32_e64 s4, 8, v23
	v_and_b32_sdwa v10, v20, v10 dst_sel:DWORD dst_unused:UNUSED_PAD src0_sel:BYTE_3 src1_sel:DWORD
	v_mov_b32_e32 v24, v11
	v_mov_b32_e32 v23, v10
	s_and_saveexec_b32 s18, s4
; %bb.1909:                             ;   in Loop: Header=BB393_991 Depth=1
	v_ffbh_u32_e32 v19, v10
	v_min_u32_e32 v19, 32, v19
	v_subrev_nc_u32_e32 v23, 28, v19
	v_sub_nc_u32_e32 v19, 29, v19
	v_lshlrev_b64 v[23:24], v23, v[10:11]
	v_and_b32_e32 v23, 7, v23
; %bb.1910:                             ;   in Loop: Header=BB393_991 Depth=1
	s_or_b32 exec_lo, exec_lo, s18
	v_mov_b32_e32 v10, 24
	v_lshl_add_u32 v19, v19, 23, 0x3c000000
	v_lshlrev_b32_sdwa v10, v10, v20 dst_sel:DWORD dst_unused:UNUSED_PAD src0_sel:DWORD src1_sel:BYTE_3
	v_lshlrev_b32_e32 v20, 20, v23
	v_and_b32_e32 v10, 0x80000000, v10
	v_or3_b32 v62, v20, v10, v19
.LBB393_1911:                           ;   in Loop: Header=BB393_991 Depth=1
	s_or_b32 exec_lo, exec_lo, s15
.LBB393_1912:                           ;   in Loop: Header=BB393_991 Depth=1
	s_or_b32 exec_lo, exec_lo, s13
.LBB393_1913:                           ;   in Loop: Header=BB393_991 Depth=1
	s_or_b32 exec_lo, exec_lo, s12
	v_mul_f32_e32 v10, v26, v40
	v_bfe_u32 v19, v10, 16, 1
	v_or_b32_e32 v20, 0x400000, v10
	v_cmp_u_f32_e64 s4, v10, v10
	v_add3_u32 v19, v19, v10, 0x7fff
	v_cndmask_b32_e64 v10, v19, v20, s4
	v_lshrrev_b32_e32 v40, 16, v10
	v_mul_f32_e32 v10, v26, v41
	v_bfe_u32 v19, v10, 16, 1
	v_or_b32_e32 v20, 0x400000, v10
	v_cmp_u_f32_e64 s4, v10, v10
	v_add3_u32 v19, v19, v10, 0x7fff
	v_cndmask_b32_e64 v10, v19, v20, s4
	v_lshrrev_b32_e32 v41, 16, v10
	;; [unrolled: 7-line block ×8, first 2 shown]
	s_and_saveexec_b32 s12, vcc_lo
	s_cbranch_execz .LBB393_1915
; %bb.1914:                             ;   in Loop: Header=BB393_991 Depth=1
	v_cmp_lt_i32_e64 s4, v44, v35
	v_cndmask_b32_e64 v47, 0, v47, s4
	v_cmp_lt_i32_e64 s4, v61, v35
	v_cndmask_b32_e64 v46, 0, v46, s4
	;; [unrolled: 2-line block ×8, first 2 shown]
.LBB393_1915:                           ;   in Loop: Header=BB393_991 Depth=1
	s_or_b32 exec_lo, exec_lo, s12
	flat_load_dwordx2 v[17:18], v[17:18] offset:1536
	v_mov_b32_e32 v24, 0
	v_mov_b32_e32 v23, 0
	s_waitcnt vmcnt(0) lgkmcnt(0)
	v_cmp_ne_u16_sdwa s4, v17, v11 src0_sel:BYTE_0 src1_sel:DWORD
	s_and_saveexec_b32 s12, s4
	s_cbranch_execz .LBB393_1923
; %bb.1916:                             ;   in Loop: Header=BB393_991 Depth=1
	v_cmp_ne_u16_sdwa s4, v17, v67 src0_sel:BYTE_0 src1_sel:DWORD
	v_bfrev_b32_e32 v23, 1
	s_and_saveexec_b32 s13, s4
	s_cbranch_execz .LBB393_1922
; %bb.1917:                             ;   in Loop: Header=BB393_991 Depth=1
	v_and_b32_e32 v19, 0x7f, v17
	v_mov_b32_e32 v23, 0x7f800001
	s_mov_b32 s15, exec_lo
	v_cmpx_ne_u32_e32 0x7f, v19
	s_cbranch_execz .LBB393_1921
; %bb.1918:                             ;   in Loop: Header=BB393_991 Depth=1
	v_lshrrev_b32_e32 v10, 3, v19
	v_cmp_gt_u32_e64 s4, 8, v19
	v_mov_b32_e32 v20, v18
	v_mov_b32_e32 v19, v17
	s_and_saveexec_b32 s18, s4
; %bb.1919:                             ;   in Loop: Header=BB393_991 Depth=1
	v_and_b32_e32 v10, 7, v17
	v_ffbh_u32_e32 v10, v10
	v_min_u32_e32 v10, 32, v10
	v_subrev_nc_u32_e32 v19, 28, v10
	v_sub_nc_u32_e32 v10, 29, v10
	v_lshlrev_b64 v[19:20], v19, v[17:18]
; %bb.1920:                             ;   in Loop: Header=BB393_991 Depth=1
	s_or_b32 exec_lo, exec_lo, s18
	v_lshlrev_b32_e32 v19, 20, v19
	v_lshlrev_b32_e32 v20, 24, v17
	v_lshl_add_u32 v10, v10, 23, 0x3c000000
	v_and_b32_e32 v19, 0x700000, v19
	v_and_b32_e32 v20, 0x80000000, v20
	v_or3_b32 v23, v19, v20, v10
.LBB393_1921:                           ;   in Loop: Header=BB393_991 Depth=1
	s_or_b32 exec_lo, exec_lo, s15
.LBB393_1922:                           ;   in Loop: Header=BB393_991 Depth=1
	s_or_b32 exec_lo, exec_lo, s13
.LBB393_1923:                           ;   in Loop: Header=BB393_991 Depth=1
	s_or_b32 exec_lo, exec_lo, s12
	v_cmp_ne_u16_sdwa s4, v17, v11 src0_sel:BYTE_1 src1_sel:DWORD
	s_and_saveexec_b32 s12, s4
	s_cbranch_execz .LBB393_1931
; %bb.1924:                             ;   in Loop: Header=BB393_991 Depth=1
	v_cmp_ne_u16_sdwa s4, v17, v67 src0_sel:BYTE_1 src1_sel:DWORD
	v_bfrev_b32_e32 v24, 1
	s_and_saveexec_b32 s13, s4
	s_cbranch_execz .LBB393_1930
; %bb.1925:                             ;   in Loop: Header=BB393_991 Depth=1
	v_mov_b32_e32 v10, 0xffff
	v_mov_b32_e32 v24, 0x7f800001
	s_mov_b32 s15, exec_lo
	v_and_b32_sdwa v10, v10, v17 dst_sel:DWORD dst_unused:UNUSED_PAD src0_sel:DWORD src1_sel:BYTE_1
	v_and_b32_e32 v19, 0x7f, v10
	v_cmpx_ne_u32_e32 0x7f, v19
	s_cbranch_execz .LBB393_1929
; %bb.1926:                             ;   in Loop: Header=BB393_991 Depth=1
	v_and_b32_e32 v10, 7, v10
	v_lshrrev_b32_e32 v24, 3, v19
	v_cmp_gt_u32_e64 s4, 8, v19
	v_mov_b32_e32 v20, v11
	v_mov_b32_e32 v19, v10
	s_and_saveexec_b32 s18, s4
; %bb.1927:                             ;   in Loop: Header=BB393_991 Depth=1
	v_ffbh_u32_e32 v19, v10
	v_min_u32_e32 v24, 32, v19
	v_subrev_nc_u32_e32 v19, 28, v24
	v_sub_nc_u32_e32 v24, 29, v24
	v_lshlrev_b64 v[19:20], v19, v[10:11]
	v_and_b32_e32 v19, 7, v19
; %bb.1928:                             ;   in Loop: Header=BB393_991 Depth=1
	s_or_b32 exec_lo, exec_lo, s18
	v_lshlrev_b32_e32 v10, 16, v17
	v_lshlrev_b32_e32 v19, 20, v19
	v_lshl_add_u32 v20, v24, 23, 0x3c000000
	v_and_b32_e32 v10, 0x80000000, v10
	v_or3_b32 v24, v19, v10, v20
.LBB393_1929:                           ;   in Loop: Header=BB393_991 Depth=1
	s_or_b32 exec_lo, exec_lo, s15
.LBB393_1930:                           ;   in Loop: Header=BB393_991 Depth=1
	s_or_b32 exec_lo, exec_lo, s13
.LBB393_1931:                           ;   in Loop: Header=BB393_991 Depth=1
	s_or_b32 exec_lo, exec_lo, s12
	v_and_b32_sdwa v10, v17, v69 dst_sel:DWORD dst_unused:UNUSED_PAD src0_sel:WORD_1 src1_sel:DWORD
	v_mov_b32_e32 v62, 0
	v_mov_b32_e32 v99, 0
	s_mov_b32 s12, exec_lo
	v_cmpx_ne_u16_e32 0, v10
	s_cbranch_execz .LBB393_1939
; %bb.1932:                             ;   in Loop: Header=BB393_991 Depth=1
	v_bfrev_b32_e32 v99, 1
	s_mov_b32 s13, exec_lo
	v_cmpx_ne_u16_e32 0x80, v10
	s_cbranch_execz .LBB393_1938
; %bb.1933:                             ;   in Loop: Header=BB393_991 Depth=1
	v_bfe_u32 v19, v17, 16, 7
	v_mov_b32_e32 v99, 0x7f800001
	s_mov_b32 s15, exec_lo
	v_cmpx_ne_u32_e32 0x7f, v19
	s_cbranch_execz .LBB393_1937
; %bb.1934:                             ;   in Loop: Header=BB393_991 Depth=1
	v_mov_b32_e32 v10, 7
	v_lshrrev_b32_e32 v99, 3, v19
	v_cmp_gt_u32_e64 s4, 8, v19
	v_and_b32_sdwa v10, v17, v10 dst_sel:DWORD dst_unused:UNUSED_PAD src0_sel:WORD_1 src1_sel:DWORD
	v_mov_b32_e32 v20, v11
	v_mov_b32_e32 v19, v10
	s_and_saveexec_b32 s18, s4
; %bb.1935:                             ;   in Loop: Header=BB393_991 Depth=1
	v_ffbh_u32_e32 v19, v10
	v_min_u32_e32 v99, 32, v19
	v_subrev_nc_u32_e32 v19, 28, v99
	v_sub_nc_u32_e32 v99, 29, v99
	v_lshlrev_b64 v[19:20], v19, v[10:11]
	v_and_b32_e32 v19, 7, v19
; %bb.1936:                             ;   in Loop: Header=BB393_991 Depth=1
	s_or_b32 exec_lo, exec_lo, s18
	v_mov_b32_e32 v10, 24
	v_lshlrev_b32_e32 v19, 20, v19
	v_lshl_add_u32 v20, v99, 23, 0x3c000000
	v_lshlrev_b32_sdwa v10, v10, v17 dst_sel:DWORD dst_unused:UNUSED_PAD src0_sel:DWORD src1_sel:WORD_1
	v_and_b32_e32 v10, 0x80000000, v10
	v_or3_b32 v99, v19, v10, v20
.LBB393_1937:                           ;   in Loop: Header=BB393_991 Depth=1
	s_or_b32 exec_lo, exec_lo, s15
.LBB393_1938:                           ;   in Loop: Header=BB393_991 Depth=1
	s_or_b32 exec_lo, exec_lo, s13
.LBB393_1939:                           ;   in Loop: Header=BB393_991 Depth=1
	s_or_b32 exec_lo, exec_lo, s12
	s_mov_b32 s12, exec_lo
	v_cmpx_lt_u32_e32 0xffffff, v17
	s_cbranch_execz .LBB393_1947
; %bb.1940:                             ;   in Loop: Header=BB393_991 Depth=1
	v_cmp_ne_u32_sdwa s4, v17, v67 src0_sel:BYTE_3 src1_sel:DWORD
	v_bfrev_b32_e32 v62, 1
	s_and_saveexec_b32 s13, s4
	s_cbranch_execz .LBB393_1946
; %bb.1941:                             ;   in Loop: Header=BB393_991 Depth=1
	v_bfe_u32 v19, v17, 24, 7
	v_mov_b32_e32 v62, 0x7f800001
	s_mov_b32 s15, exec_lo
	v_cmpx_ne_u32_e32 0x7f, v19
	s_cbranch_execz .LBB393_1945
; %bb.1942:                             ;   in Loop: Header=BB393_991 Depth=1
	v_mov_b32_e32 v10, 7
	v_lshrrev_b32_e32 v62, 3, v19
	v_cmp_gt_u32_e64 s4, 8, v19
	v_and_b32_sdwa v10, v17, v10 dst_sel:DWORD dst_unused:UNUSED_PAD src0_sel:BYTE_3 src1_sel:DWORD
	v_mov_b32_e32 v20, v11
	v_mov_b32_e32 v19, v10
	s_and_saveexec_b32 s18, s4
; %bb.1943:                             ;   in Loop: Header=BB393_991 Depth=1
	v_ffbh_u32_e32 v19, v10
	v_min_u32_e32 v62, 32, v19
	v_subrev_nc_u32_e32 v19, 28, v62
	v_sub_nc_u32_e32 v62, 29, v62
	v_lshlrev_b64 v[19:20], v19, v[10:11]
	v_and_b32_e32 v19, 7, v19
; %bb.1944:                             ;   in Loop: Header=BB393_991 Depth=1
	s_or_b32 exec_lo, exec_lo, s18
	v_mov_b32_e32 v10, 24
	v_lshlrev_b32_e32 v19, 20, v19
	v_lshl_add_u32 v20, v62, 23, 0x3c000000
	v_lshlrev_b32_sdwa v10, v10, v17 dst_sel:DWORD dst_unused:UNUSED_PAD src0_sel:DWORD src1_sel:BYTE_3
	v_and_b32_e32 v10, 0x80000000, v10
	v_or3_b32 v62, v19, v10, v20
.LBB393_1945:                           ;   in Loop: Header=BB393_991 Depth=1
	s_or_b32 exec_lo, exec_lo, s15
.LBB393_1946:                           ;   in Loop: Header=BB393_991 Depth=1
	s_or_b32 exec_lo, exec_lo, s13
.LBB393_1947:                           ;   in Loop: Header=BB393_991 Depth=1
	s_or_b32 exec_lo, exec_lo, s12
	v_mov_b32_e32 v10, v18
	v_cmp_ne_u16_sdwa s4, v18, v11 src0_sel:BYTE_0 src1_sel:DWORD
	v_mov_b32_e32 v74, 0
	v_mov_b32_e32 v73, 0
	s_and_saveexec_b32 s12, s4
	s_cbranch_execz .LBB393_1955
; %bb.1948:                             ;   in Loop: Header=BB393_991 Depth=1
	v_cmp_ne_u16_sdwa s4, v18, v67 src0_sel:BYTE_0 src1_sel:DWORD
	v_bfrev_b32_e32 v73, 1
	s_and_saveexec_b32 s13, s4
	s_cbranch_execz .LBB393_1954
; %bb.1949:                             ;   in Loop: Header=BB393_991 Depth=1
	v_and_b32_e32 v19, 0x7f, v18
	v_mov_b32_e32 v73, 0x7f800001
	s_mov_b32 s15, exec_lo
	v_cmpx_ne_u32_e32 0x7f, v19
	s_cbranch_execz .LBB393_1953
; %bb.1950:                             ;   in Loop: Header=BB393_991 Depth=1
	v_lshrrev_b32_e32 v63, 3, v19
	v_cmp_gt_u32_e64 s4, 8, v19
	v_mov_b32_e32 v20, v11
	v_mov_b32_e32 v19, v10
	s_and_saveexec_b32 s18, s4
; %bb.1951:                             ;   in Loop: Header=BB393_991 Depth=1
	v_and_b32_e32 v19, 7, v18
	v_ffbh_u32_e32 v19, v19
	v_min_u32_e32 v63, 32, v19
	v_subrev_nc_u32_e32 v19, 28, v63
	v_sub_nc_u32_e32 v63, 29, v63
	v_lshlrev_b64 v[19:20], v19, v[10:11]
; %bb.1952:                             ;   in Loop: Header=BB393_991 Depth=1
	s_or_b32 exec_lo, exec_lo, s18
	v_lshlrev_b32_e32 v19, 20, v19
	v_lshlrev_b32_e32 v20, 24, v10
	v_lshl_add_u32 v63, v63, 23, 0x3c000000
	v_and_b32_e32 v19, 0x700000, v19
	v_and_b32_e32 v20, 0x80000000, v20
	v_or3_b32 v73, v19, v20, v63
.LBB393_1953:                           ;   in Loop: Header=BB393_991 Depth=1
	s_or_b32 exec_lo, exec_lo, s15
.LBB393_1954:                           ;   in Loop: Header=BB393_991 Depth=1
	s_or_b32 exec_lo, exec_lo, s13
.LBB393_1955:                           ;   in Loop: Header=BB393_991 Depth=1
	s_or_b32 exec_lo, exec_lo, s12
	v_cmp_ne_u16_sdwa s4, v10, v11 src0_sel:BYTE_1 src1_sel:DWORD
	s_and_saveexec_b32 s12, s4
	s_cbranch_execz .LBB393_1963
; %bb.1956:                             ;   in Loop: Header=BB393_991 Depth=1
	v_cmp_ne_u16_sdwa s4, v10, v67 src0_sel:BYTE_1 src1_sel:DWORD
	v_bfrev_b32_e32 v74, 1
	s_and_saveexec_b32 s13, s4
	s_cbranch_execz .LBB393_1962
; %bb.1957:                             ;   in Loop: Header=BB393_991 Depth=1
	v_mov_b32_e32 v19, 0xffff
	v_mov_b32_e32 v74, 0x7f800001
	s_mov_b32 s15, exec_lo
	v_and_b32_sdwa v19, v19, v10 dst_sel:DWORD dst_unused:UNUSED_PAD src0_sel:DWORD src1_sel:BYTE_1
	v_and_b32_e32 v72, 0x7f, v19
	v_cmpx_ne_u32_e32 0x7f, v72
	s_cbranch_execz .LBB393_1961
; %bb.1958:                             ;   in Loop: Header=BB393_991 Depth=1
	v_and_b32_e32 v19, 7, v19
	v_mov_b32_e32 v20, v11
	v_lshrrev_b32_e32 v63, 3, v72
	s_mov_b32 s18, exec_lo
	v_cmpx_gt_u32_e32 8, v72
; %bb.1959:                             ;   in Loop: Header=BB393_991 Depth=1
	v_ffbh_u32_e32 v63, v19
	v_min_u32_e32 v63, 32, v63
	v_subrev_nc_u32_e32 v72, 28, v63
	v_sub_nc_u32_e32 v63, 29, v63
	v_lshlrev_b64 v[19:20], v72, v[19:20]
	v_and_b32_e32 v19, 7, v19
; %bb.1960:                             ;   in Loop: Header=BB393_991 Depth=1
	s_or_b32 exec_lo, exec_lo, s18
	v_lshlrev_b32_e32 v10, 16, v10
	v_lshlrev_b32_e32 v19, 20, v19
	v_lshl_add_u32 v20, v63, 23, 0x3c000000
	v_and_b32_e32 v10, 0x80000000, v10
	v_or3_b32 v74, v19, v10, v20
.LBB393_1961:                           ;   in Loop: Header=BB393_991 Depth=1
	s_or_b32 exec_lo, exec_lo, s15
.LBB393_1962:                           ;   in Loop: Header=BB393_991 Depth=1
	s_or_b32 exec_lo, exec_lo, s13
.LBB393_1963:                           ;   in Loop: Header=BB393_991 Depth=1
	s_or_b32 exec_lo, exec_lo, s12
	v_and_b32_sdwa v10, v18, v69 dst_sel:DWORD dst_unused:UNUSED_PAD src0_sel:WORD_1 src1_sel:DWORD
	v_mov_b32_e32 v63, 0
	v_mov_b32_e32 v72, 0
	s_mov_b32 s12, exec_lo
	v_cmpx_ne_u16_e32 0, v10
	s_cbranch_execz .LBB393_1971
; %bb.1964:                             ;   in Loop: Header=BB393_991 Depth=1
	v_bfrev_b32_e32 v72, 1
	s_mov_b32 s13, exec_lo
	v_cmpx_ne_u16_e32 0x80, v10
	s_cbranch_execz .LBB393_1970
; %bb.1965:                             ;   in Loop: Header=BB393_991 Depth=1
	v_bfe_u32 v19, v18, 16, 7
	v_mov_b32_e32 v72, 0x7f800001
	s_mov_b32 s15, exec_lo
	v_cmpx_ne_u32_e32 0x7f, v19
	s_cbranch_execz .LBB393_1969
; %bb.1966:                             ;   in Loop: Header=BB393_991 Depth=1
	v_mov_b32_e32 v10, 7
	v_lshrrev_b32_e32 v72, 3, v19
	v_cmp_gt_u32_e64 s4, 8, v19
	v_and_b32_sdwa v10, v18, v10 dst_sel:DWORD dst_unused:UNUSED_PAD src0_sel:WORD_1 src1_sel:DWORD
	v_mov_b32_e32 v20, v11
	v_mov_b32_e32 v19, v10
	s_and_saveexec_b32 s18, s4
; %bb.1967:                             ;   in Loop: Header=BB393_991 Depth=1
	v_ffbh_u32_e32 v19, v10
	v_min_u32_e32 v72, 32, v19
	v_subrev_nc_u32_e32 v19, 28, v72
	v_sub_nc_u32_e32 v72, 29, v72
	v_lshlrev_b64 v[19:20], v19, v[10:11]
	v_and_b32_e32 v19, 7, v19
; %bb.1968:                             ;   in Loop: Header=BB393_991 Depth=1
	s_or_b32 exec_lo, exec_lo, s18
	v_mov_b32_e32 v10, 24
	v_lshlrev_b32_e32 v19, 20, v19
	v_lshl_add_u32 v20, v72, 23, 0x3c000000
	v_lshlrev_b32_sdwa v10, v10, v18 dst_sel:DWORD dst_unused:UNUSED_PAD src0_sel:DWORD src1_sel:WORD_1
	v_and_b32_e32 v10, 0x80000000, v10
	v_or3_b32 v72, v19, v10, v20
.LBB393_1969:                           ;   in Loop: Header=BB393_991 Depth=1
	s_or_b32 exec_lo, exec_lo, s15
.LBB393_1970:                           ;   in Loop: Header=BB393_991 Depth=1
	s_or_b32 exec_lo, exec_lo, s13
.LBB393_1971:                           ;   in Loop: Header=BB393_991 Depth=1
	s_or_b32 exec_lo, exec_lo, s12
	s_mov_b32 s12, exec_lo
	v_cmpx_lt_u64_e64 s[8:9], v[17:18]
	s_cbranch_execz .LBB393_1979
; %bb.1972:                             ;   in Loop: Header=BB393_991 Depth=1
	v_cmp_ne_u32_sdwa s4, v18, v67 src0_sel:BYTE_3 src1_sel:DWORD
	v_bfrev_b32_e32 v63, 1
	s_and_saveexec_b32 s13, s4
	s_cbranch_execz .LBB393_1978
; %bb.1973:                             ;   in Loop: Header=BB393_991 Depth=1
	v_bfe_u32 v19, v18, 24, 7
	v_mov_b32_e32 v63, 0x7f800001
	s_mov_b32 s15, exec_lo
	v_cmpx_ne_u32_e32 0x7f, v19
	s_cbranch_execz .LBB393_1977
; %bb.1974:                             ;   in Loop: Header=BB393_991 Depth=1
	v_mov_b32_e32 v10, 7
	v_lshrrev_b32_e32 v17, 3, v19
	v_cmp_gt_u32_e64 s4, 8, v19
	v_and_b32_sdwa v10, v18, v10 dst_sel:DWORD dst_unused:UNUSED_PAD src0_sel:BYTE_3 src1_sel:DWORD
	v_mov_b32_e32 v20, v11
	v_mov_b32_e32 v19, v10
	s_and_saveexec_b32 s18, s4
; %bb.1975:                             ;   in Loop: Header=BB393_991 Depth=1
	v_ffbh_u32_e32 v17, v10
	v_min_u32_e32 v17, 32, v17
	v_subrev_nc_u32_e32 v19, 28, v17
	v_sub_nc_u32_e32 v17, 29, v17
	v_lshlrev_b64 v[19:20], v19, v[10:11]
	v_and_b32_e32 v19, 7, v19
; %bb.1976:                             ;   in Loop: Header=BB393_991 Depth=1
	s_or_b32 exec_lo, exec_lo, s18
	v_mov_b32_e32 v10, 24
	v_lshl_add_u32 v17, v17, 23, 0x3c000000
	v_lshlrev_b32_sdwa v10, v10, v18 dst_sel:DWORD dst_unused:UNUSED_PAD src0_sel:DWORD src1_sel:BYTE_3
	v_lshlrev_b32_e32 v18, 20, v19
	v_and_b32_e32 v10, 0x80000000, v10
	v_or3_b32 v63, v18, v10, v17
.LBB393_1977:                           ;   in Loop: Header=BB393_991 Depth=1
	s_or_b32 exec_lo, exec_lo, s15
.LBB393_1978:                           ;   in Loop: Header=BB393_991 Depth=1
	s_or_b32 exec_lo, exec_lo, s13
.LBB393_1979:                           ;   in Loop: Header=BB393_991 Depth=1
	s_or_b32 exec_lo, exec_lo, s12
	v_mul_f32_e32 v10, v26, v74
	v_bfe_u32 v17, v10, 16, 1
	v_or_b32_e32 v18, 0x400000, v10
	v_cmp_u_f32_e64 s4, v10, v10
	v_add3_u32 v17, v17, v10, 0x7fff
	v_cndmask_b32_e64 v10, v17, v18, s4
	v_mul_f32_e32 v17, v26, v73
	v_lshrrev_b32_e32 v10, 16, v10
	v_bfe_u32 v18, v17, 16, 1
	v_or_b32_e32 v19, 0x400000, v17
	v_cmp_u_f32_e64 s4, v17, v17
	v_add3_u32 v18, v18, v17, 0x7fff
	v_cndmask_b32_e64 v17, v18, v19, s4
	v_mul_f32_e32 v18, v26, v62
	v_lshrrev_b32_e32 v17, 16, v17
	;; [unrolled: 7-line block ×3, first 2 shown]
	v_bfe_u32 v20, v19, 16, 1
	v_or_b32_e32 v99, 0x400000, v19
	v_cmp_u_f32_e64 s4, v19, v19
	v_add3_u32 v20, v20, v19, 0x7fff
	v_cndmask_b32_e64 v19, v20, v99, s4
	v_lshrrev_b32_e32 v20, 16, v19
	v_mul_f32_e32 v19, v26, v24
	v_bfe_u32 v24, v19, 16, 1
	v_or_b32_e32 v99, 0x400000, v19
	v_cmp_u_f32_e64 s4, v19, v19
	v_add3_u32 v24, v24, v19, 0x7fff
	v_cndmask_b32_e64 v19, v24, v99, s4
	v_lshrrev_b32_e32 v24, 16, v19
	v_mul_f32_e32 v19, v26, v23
	;; [unrolled: 7-line block ×3, first 2 shown]
	v_bfe_u32 v23, v19, 16, 1
	v_or_b32_e32 v62, 0x400000, v19
	v_cmp_u_f32_e64 s4, v19, v19
	v_add3_u32 v23, v23, v19, 0x7fff
	v_cndmask_b32_e64 v19, v23, v62, s4
	v_mul_f32_e32 v23, v26, v63
	v_lshrrev_b32_e32 v19, 16, v19
	v_bfe_u32 v62, v23, 16, 1
	v_or_b32_e32 v63, 0x400000, v23
	v_cmp_u_f32_e64 s4, v23, v23
	v_add3_u32 v62, v62, v23, 0x7fff
	v_cndmask_b32_e64 v23, v62, v63, s4
	v_lshrrev_b32_e32 v23, 16, v23
	s_and_saveexec_b32 s4, vcc_lo
	s_cbranch_execz .LBB393_990
; %bb.1980:                             ;   in Loop: Header=BB393_991 Depth=1
	v_cmp_lt_i32_e32 vcc_lo, v44, v35
	v_cndmask_b32_e32 v99, 0, v99, vcc_lo
	v_cmp_lt_i32_e32 vcc_lo, v61, v35
	v_cndmask_b32_e32 v24, 0, v24, vcc_lo
	;; [unrolled: 2-line block ×8, first 2 shown]
	s_branch .LBB393_990
.LBB393_1981:
	s_or_b32 exec_lo, exec_lo, s11
	s_clause 0x2
	buffer_load_dword v17, off, s[0:3], s32 offset:372
	buffer_load_dword v16, off, s[0:3], s32 offset:376
	;; [unrolled: 1-line block ×3, first 2 shown]
	v_mov_b32_e32 v0, s16
	v_mov_b32_e32 v1, s17
.LBB393_1982:
	s_or_b32 exec_lo, exec_lo, s7
	s_waitcnt vmcnt(1)
	ds_bpermute_b32 v12, v16, v31
	s_waitcnt vmcnt(0) lgkmcnt(0)
	s_waitcnt_vscnt null, 0x0
	s_barrier
	buffer_gl0_inv
	v_lshlrev_b64 v[0:1], 2, v[0:1]
	s_getpc_b64 s[8:9]
	s_add_u32 s8, s8, llvm.amdgcn.dynlds.offset.table@rel32@lo+4
	s_addc_u32 s9, s9, llvm.amdgcn.dynlds.offset.table@rel32@hi+12
	ds_bpermute_b32 v2, v16, v55
	ds_bpermute_b32 v3, v16, v54
	;; [unrolled: 1-line block ×4, first 2 shown]
	v_add_co_u32 v0, vcc_lo, s8, v0
	v_add_co_ci_u32_e64 v1, null, s9, v1, vcc_lo
	ds_bpermute_b32 v6, v16, v50
	ds_bpermute_b32 v7, v16, v49
	;; [unrolled: 1-line block ×3, first 2 shown]
	global_load_dword v15, v[0:1], off
	ds_bpermute_b32 v0, v16, v53
	ds_bpermute_b32 v1, v16, v64
	v_add_f32_e32 v22, v31, v12
	buffer_load_dword v12, off, s[0:3], s32 offset:760 ; 4-byte Folded Reload
	ds_bpermute_b32 v9, v16, v39
	ds_bpermute_b32 v10, v16, v33
	;; [unrolled: 1-line block ×5, first 2 shown]
	s_waitcnt lgkmcnt(13)
	v_add_f32_e32 v2, v55, v2
	s_waitcnt lgkmcnt(12)
	v_add_f32_e32 v3, v54, v3
	s_waitcnt lgkmcnt(11)
	v_add_f32_e32 v4, v52, v4
	s_waitcnt lgkmcnt(10)
	v_add_f32_e32 v5, v51, v5
	s_mov_b32 s4, exec_lo
	s_waitcnt lgkmcnt(9)
	v_add_f32_e32 v6, v50, v6
	s_waitcnt lgkmcnt(8)
	v_add_f32_e32 v7, v49, v7
	;; [unrolled: 2-line block ×3, first 2 shown]
	ds_bpermute_b32 v25, v17, v4
	s_waitcnt lgkmcnt(7)
	v_add_f32_e32 v0, v53, v0
	s_waitcnt lgkmcnt(6)
	v_add_f32_e32 v1, v64, v1
	ds_bpermute_b32 v26, v17, v5
	ds_bpermute_b32 v27, v17, v6
	s_waitcnt lgkmcnt(7)
	v_add_f32_e32 v19, v39, v9
	s_waitcnt lgkmcnt(6)
	v_add_f32_e32 v20, v33, v10
	s_waitcnt lgkmcnt(5)
	v_add_f32_e32 v21, v32, v11
	s_waitcnt lgkmcnt(4)
	v_add_f32_e32 v23, v30, v13
	s_waitcnt lgkmcnt(3)
	v_add_f32_e32 v24, v29, v14
	ds_bpermute_b32 v8, v17, v0
	ds_bpermute_b32 v9, v17, v1
	;; [unrolled: 1-line block ×12, first 2 shown]
	s_waitcnt lgkmcnt(11)
	v_add_f32_e32 v14, v0, v8
	s_waitcnt lgkmcnt(10)
	v_add_f32_e32 v13, v1, v9
	v_add_f32_e32 v9, v5, v26
	s_waitcnt lgkmcnt(8)
	v_add_f32_e32 v11, v3, v11
	v_add_f32_e32 v8, v6, v27
	s_waitcnt lgkmcnt(7)
	v_add_f32_e32 v7, v7, v28
	s_waitcnt lgkmcnt(6)
	v_add_f32_e32 v6, v16, v29
	s_waitcnt lgkmcnt(5)
	v_add_f32_e32 v5, v19, v30
	;; [unrolled: 2-line block ×5, first 2 shown]
	s_waitcnt vmcnt(0)
	v_lshrrev_b32_e32 v17, 2, v12
	v_and_b32_e32 v36, 28, v12
	buffer_load_dword v12, off, s[0:3], s32 offset:764 ; 4-byte Folded Reload
	v_add_nc_u32_e32 v16, v15, v36
	s_waitcnt vmcnt(0)
	v_mul_u32_u24_e32 v18, 0x1e0, v12
	buffer_load_dword v12, off, s[0:3], s32 offset:756 ; 4-byte Folded Reload
	s_waitcnt vmcnt(0)
	v_and_b32_e32 v37, 0x3c3, v12
	v_add_f32_e32 v12, v2, v10
	v_add_f32_e32 v10, v4, v25
	;; [unrolled: 1-line block ×4, first 2 shown]
	v_cmpx_eq_u32_e32 64, v37
	s_cbranch_execz .LBB393_1984
; %bb.1983:
	v_add_nc_u32_e32 v19, v16, v18
	v_add_nc_u32_e32 v20, 0xfffffc40, v19
	;; [unrolled: 1-line block ×6, first 2 shown]
	ds_write_b32 v20, v14
	ds_write_b32 v21, v13
	ds_write_b32 v22, v12
	ds_write_b32 v23, v11
	ds_write_b32 v24, v10
	v_add_nc_u32_e32 v20, 0xfffffce0, v19
	v_add_nc_u32_e32 v21, 0xfffffd00, v19
	;; [unrolled: 1-line block ×5, first 2 shown]
	ds_write_b32 v20, v9
	ds_write_b32 v21, v8
	;; [unrolled: 1-line block ×5, first 2 shown]
	v_add_nc_u32_e32 v20, 0xfffffd80, v19
	v_add_nc_u32_e32 v21, 0xfffffda0, v19
	;; [unrolled: 1-line block ×5, first 2 shown]
	ds_write_b32 v20, v4
	ds_write_b32 v21, v3
	;; [unrolled: 1-line block ×5, first 2 shown]
.LBB393_1984:
	s_or_b32 exec_lo, exec_lo, s4
	v_lshlrev_b32_e32 v17, 2, v17
	s_mov_b32 s7, exec_lo
	v_cmp_eq_u32_e32 vcc_lo, 0, v38
	v_add3_u32 v15, v15, v18, v17
	buffer_load_dword v17, off, s[0:3], s32 offset:756 ; 4-byte Folded Reload
	s_waitcnt vmcnt(0) lgkmcnt(0)
	s_barrier
	buffer_gl0_inv
	v_cmpx_gt_u32_e32 64, v17
	s_cbranch_execz .LBB393_2002
; %bb.1985:
	s_and_saveexec_b32 s4, vcc_lo
	s_cbranch_execnz .LBB393_2025
; %bb.1986:
	s_or_b32 exec_lo, exec_lo, s4
	s_and_saveexec_b32 s4, vcc_lo
	s_cbranch_execnz .LBB393_2026
.LBB393_1987:
	s_or_b32 exec_lo, exec_lo, s4
	s_and_saveexec_b32 s4, vcc_lo
	s_cbranch_execnz .LBB393_2027
.LBB393_1988:
	s_or_b32 exec_lo, exec_lo, s4
	s_and_saveexec_b32 s4, vcc_lo
	s_cbranch_execnz .LBB393_2028
.LBB393_1989:
	s_or_b32 exec_lo, exec_lo, s4
	s_and_saveexec_b32 s4, vcc_lo
	s_cbranch_execnz .LBB393_2029
.LBB393_1990:
	s_or_b32 exec_lo, exec_lo, s4
	s_and_saveexec_b32 s4, vcc_lo
	s_cbranch_execnz .LBB393_2030
.LBB393_1991:
	s_or_b32 exec_lo, exec_lo, s4
	s_and_saveexec_b32 s4, vcc_lo
	s_cbranch_execnz .LBB393_2031
.LBB393_1992:
	s_or_b32 exec_lo, exec_lo, s4
	s_and_saveexec_b32 s4, vcc_lo
	s_cbranch_execnz .LBB393_2032
.LBB393_1993:
	s_or_b32 exec_lo, exec_lo, s4
	s_and_saveexec_b32 s4, vcc_lo
	s_cbranch_execnz .LBB393_2033
.LBB393_1994:
	s_or_b32 exec_lo, exec_lo, s4
	s_and_saveexec_b32 s4, vcc_lo
	s_cbranch_execnz .LBB393_2034
.LBB393_1995:
	s_or_b32 exec_lo, exec_lo, s4
	s_and_saveexec_b32 s4, vcc_lo
	s_cbranch_execnz .LBB393_2035
.LBB393_1996:
	s_or_b32 exec_lo, exec_lo, s4
	s_and_saveexec_b32 s4, vcc_lo
	s_cbranch_execnz .LBB393_2036
.LBB393_1997:
	s_or_b32 exec_lo, exec_lo, s4
	s_and_saveexec_b32 s4, vcc_lo
	s_cbranch_execnz .LBB393_2037
.LBB393_1998:
	s_or_b32 exec_lo, exec_lo, s4
	s_and_saveexec_b32 s4, vcc_lo
	s_cbranch_execnz .LBB393_2038
.LBB393_1999:
	s_or_b32 exec_lo, exec_lo, s4
	s_and_saveexec_b32 s4, vcc_lo
	s_cbranch_execz .LBB393_2001
.LBB393_2000:
	ds_read_b32 v17, v15 offset:448
	s_waitcnt lgkmcnt(0)
	v_add_f32_e32 v0, v17, v0
.LBB393_2001:
	s_or_b32 exec_lo, exec_lo, s4
.LBB393_2002:
	s_or_b32 exec_lo, exec_lo, s7
	buffer_load_dword v17, off, s[0:3], s32 offset:756 ; 4-byte Folded Reload
	s_mov_b32 s7, exec_lo
	s_waitcnt vmcnt(0)
	s_barrier
	buffer_gl0_inv
	v_and_b32_e32 v17, 0x3e3, v17
	v_cmpx_eq_u32_e32 32, v17
	s_cbranch_execz .LBB393_2004
; %bb.2003:
	ds_write2_b32 v16, v14, v13 offset1:8
	ds_write2_b32 v16, v12, v11 offset0:16 offset1:24
	ds_write2_b32 v16, v10, v9 offset0:32 offset1:40
	;; [unrolled: 1-line block ×6, first 2 shown]
	ds_write_b32 v16, v0 offset:448
.LBB393_2004:
	s_or_b32 exec_lo, exec_lo, s7
	buffer_load_dword v16, off, s[0:3], s32 offset:756 ; 4-byte Folded Reload
	s_mov_b32 s7, exec_lo
	s_waitcnt vmcnt(0) lgkmcnt(0)
	s_barrier
	buffer_gl0_inv
	v_cmpx_gt_u32_e32 32, v16
	s_cbranch_execz .LBB393_2022
; %bb.2005:
	s_and_saveexec_b32 s4, vcc_lo
	s_cbranch_execnz .LBB393_2039
; %bb.2006:
	s_or_b32 exec_lo, exec_lo, s4
	s_and_saveexec_b32 s4, vcc_lo
	s_cbranch_execnz .LBB393_2040
.LBB393_2007:
	s_or_b32 exec_lo, exec_lo, s4
	s_and_saveexec_b32 s4, vcc_lo
	s_cbranch_execnz .LBB393_2041
.LBB393_2008:
	s_or_b32 exec_lo, exec_lo, s4
	s_and_saveexec_b32 s4, vcc_lo
	s_cbranch_execnz .LBB393_2042
.LBB393_2009:
	s_or_b32 exec_lo, exec_lo, s4
	s_and_saveexec_b32 s4, vcc_lo
	s_cbranch_execnz .LBB393_2043
.LBB393_2010:
	s_or_b32 exec_lo, exec_lo, s4
	s_and_saveexec_b32 s4, vcc_lo
	s_cbranch_execnz .LBB393_2044
.LBB393_2011:
	s_or_b32 exec_lo, exec_lo, s4
	s_and_saveexec_b32 s4, vcc_lo
	s_cbranch_execnz .LBB393_2045
.LBB393_2012:
	s_or_b32 exec_lo, exec_lo, s4
	s_and_saveexec_b32 s4, vcc_lo
	s_cbranch_execnz .LBB393_2046
.LBB393_2013:
	s_or_b32 exec_lo, exec_lo, s4
	s_and_saveexec_b32 s4, vcc_lo
	s_cbranch_execnz .LBB393_2047
.LBB393_2014:
	s_or_b32 exec_lo, exec_lo, s4
	s_and_saveexec_b32 s4, vcc_lo
	s_cbranch_execnz .LBB393_2048
.LBB393_2015:
	s_or_b32 exec_lo, exec_lo, s4
	s_and_saveexec_b32 s4, vcc_lo
	s_cbranch_execnz .LBB393_2049
.LBB393_2016:
	s_or_b32 exec_lo, exec_lo, s4
	s_and_saveexec_b32 s4, vcc_lo
	s_cbranch_execnz .LBB393_2050
.LBB393_2017:
	s_or_b32 exec_lo, exec_lo, s4
	s_and_saveexec_b32 s4, vcc_lo
	s_cbranch_execnz .LBB393_2051
.LBB393_2018:
	s_or_b32 exec_lo, exec_lo, s4
	s_and_saveexec_b32 s4, vcc_lo
	s_cbranch_execnz .LBB393_2052
.LBB393_2019:
	s_or_b32 exec_lo, exec_lo, s4
	s_and_saveexec_b32 s4, vcc_lo
	s_cbranch_execz .LBB393_2021
.LBB393_2020:
	ds_read_b32 v15, v15 offset:448
	s_waitcnt lgkmcnt(0)
	v_add_f32_e32 v0, v15, v0
.LBB393_2021:
	s_or_b32 exec_lo, exec_lo, s4
.LBB393_2022:
	s_or_b32 exec_lo, exec_lo, s7
	v_cmp_eq_u32_e32 vcc_lo, 0, v17
	s_barrier
	buffer_gl0_inv
	s_and_b32 exec_lo, exec_lo, vcc_lo
	s_cbranch_execz .LBB393_2024
; %bb.2023:
	s_clause 0x2
	buffer_load_dword v15, off, s[0:3], s32 offset:772
	buffer_load_dword v16, off, s[0:3], s32 offset:768
	;; [unrolled: 1-line block ×3, first 2 shown]
	s_mulk_i32 s6, 0x78
	s_mul_i32 s4, s10, s5
	s_ashr_i32 s7, s6, 31
	s_ashr_i32 s5, s4, 31
	s_lshl_b64 s[6:7], s[6:7], 1
	s_lshl_b64 s[4:5], s[4:5], 1
	v_bfe_u32 v17, v14, 16, 1
	v_or_b32_e32 v19, 0x400000, v14
	v_bfe_u32 v20, v13, 16, 1
	v_add3_u32 v17, v17, v14, 0x7fff
	s_waitcnt vmcnt(2)
	v_add_co_u32 v15, vcc_lo, v15, s6
	s_waitcnt vmcnt(1)
	v_add_co_ci_u32_e64 v16, null, s7, v16, vcc_lo
	s_mul_i32 s6, s14, 0x78
	v_add_co_u32 v15, vcc_lo, v15, s4
	s_ashr_i32 s7, s6, 31
	v_add_co_ci_u32_e64 v16, null, s5, v16, vcc_lo
	s_lshl_b64 s[4:5], s[6:7], 1
	s_waitcnt vmcnt(0)
	v_lshrrev_b32_e32 v18, 1, v18
	v_add_co_u32 v15, vcc_lo, v15, s4
	v_add_co_ci_u32_e64 v16, null, s5, v16, vcc_lo
	v_add_co_u32 v15, vcc_lo, v15, v18
	v_add_co_ci_u32_e64 v16, null, 0, v16, vcc_lo
	v_cmp_u_f32_e32 vcc_lo, v14, v14
	v_add3_u32 v18, v20, v13, 0x7fff
	v_or_b32_e32 v20, 0x400000, v13
	v_cndmask_b32_e32 v14, v17, v19, vcc_lo
	v_bfe_u32 v17, v12, 16, 1
	v_cmp_u_f32_e32 vcc_lo, v13, v13
	flat_store_short_d16_hi v[15:16], v14
	v_add3_u32 v14, v17, v12, 0x7fff
	v_cndmask_b32_e32 v13, v18, v20, vcc_lo
	v_bfe_u32 v18, v11, 16, 1
	v_or_b32_e32 v17, 0x400000, v12
	v_cmp_u_f32_e32 vcc_lo, v12, v12
	flat_store_short_d16_hi v[15:16], v13 offset:16
	v_add3_u32 v13, v18, v11, 0x7fff
	v_or_b32_e32 v18, 0x400000, v11
	v_cndmask_b32_e32 v12, v14, v17, vcc_lo
	v_bfe_u32 v14, v10, 16, 1
	v_cmp_u_f32_e32 vcc_lo, v11, v11
	flat_store_short_d16_hi v[15:16], v12 offset:32
	v_add3_u32 v12, v14, v10, 0x7fff
	v_cndmask_b32_e32 v11, v13, v18, vcc_lo
	v_bfe_u32 v13, v9, 16, 1
	v_or_b32_e32 v14, 0x400000, v10
	v_cmp_u_f32_e32 vcc_lo, v10, v10
	flat_store_short_d16_hi v[15:16], v11 offset:48
	v_add3_u32 v11, v13, v9, 0x7fff
	v_or_b32_e32 v13, 0x400000, v9
	v_cndmask_b32_e32 v10, v12, v14, vcc_lo
	v_bfe_u32 v12, v8, 16, 1
	v_cmp_u_f32_e32 vcc_lo, v9, v9
	flat_store_short_d16_hi v[15:16], v10 offset:64
	;; [unrolled: 12-line block ×3, first 2 shown]
	v_add3_u32 v8, v10, v6, 0x7fff
	v_cndmask_b32_e32 v7, v9, v11, vcc_lo
	v_bfe_u32 v9, v5, 16, 1
	v_or_b32_e32 v10, 0x400000, v6
	v_cmp_u_f32_e32 vcc_lo, v6, v6
	flat_store_short_d16_hi v[15:16], v7 offset:112
	v_add3_u32 v7, v9, v5, 0x7fff
	v_or_b32_e32 v9, 0x400000, v5
	v_cndmask_b32_e32 v6, v8, v10, vcc_lo
	v_bfe_u32 v8, v4, 16, 1
	v_cmp_u_f32_e32 vcc_lo, v5, v5
	v_or_b32_e32 v10, 0x400000, v0
	flat_store_short_d16_hi v[15:16], v6 offset:128
	v_add3_u32 v6, v8, v4, 0x7fff
	v_cndmask_b32_e32 v5, v7, v9, vcc_lo
	v_bfe_u32 v7, v3, 16, 1
	v_or_b32_e32 v8, 0x400000, v4
	v_cmp_u_f32_e32 vcc_lo, v4, v4
	v_or_b32_e32 v9, 0x400000, v1
	flat_store_short_d16_hi v[15:16], v5 offset:144
	v_add3_u32 v5, v7, v3, 0x7fff
	v_or_b32_e32 v7, 0x400000, v3
	v_cndmask_b32_e32 v4, v6, v8, vcc_lo
	v_bfe_u32 v6, v2, 16, 1
	v_cmp_u_f32_e32 vcc_lo, v3, v3
	v_bfe_u32 v8, v1, 16, 1
	v_add3_u32 v6, v6, v2, 0x7fff
	v_cndmask_b32_e32 v3, v5, v7, vcc_lo
	v_or_b32_e32 v7, 0x400000, v2
	v_cmp_u_f32_e32 vcc_lo, v2, v2
	v_bfe_u32 v5, v0, 16, 1
	v_add3_u32 v8, v8, v1, 0x7fff
	v_cndmask_b32_e32 v2, v6, v7, vcc_lo
	v_cmp_u_f32_e32 vcc_lo, v1, v1
	v_add3_u32 v5, v5, v0, 0x7fff
	v_cndmask_b32_e32 v1, v8, v9, vcc_lo
	v_cmp_u_f32_e32 vcc_lo, v0, v0
	v_cndmask_b32_e32 v0, v5, v10, vcc_lo
	flat_store_short_d16_hi v[15:16], v4 offset:160
	flat_store_short_d16_hi v[15:16], v3 offset:176
	;; [unrolled: 1-line block ×5, first 2 shown]
.LBB393_2024:
	s_or_b32 exec_lo, exec_lo, s19
	s_clause 0x2f
	buffer_load_dword v127, off, s[0:3], s32
	buffer_load_dword v126, off, s[0:3], s32 offset:4
	buffer_load_dword v125, off, s[0:3], s32 offset:8
	;; [unrolled: 1-line block ×47, first 2 shown]
	s_waitcnt vmcnt(0) lgkmcnt(0)
	s_setpc_b64 s[30:31]
.LBB393_2025:
	ds_read_b32 v17, v15
	s_waitcnt lgkmcnt(0)
	v_add_f32_e32 v14, v17, v14
	s_or_b32 exec_lo, exec_lo, s4
	s_and_saveexec_b32 s4, vcc_lo
	s_cbranch_execz .LBB393_1987
.LBB393_2026:
	ds_read_b32 v17, v15 offset:32
	s_waitcnt lgkmcnt(0)
	v_add_f32_e32 v13, v17, v13
	s_or_b32 exec_lo, exec_lo, s4
	s_and_saveexec_b32 s4, vcc_lo
	s_cbranch_execz .LBB393_1988
.LBB393_2027:
	ds_read_b32 v17, v15 offset:64
	s_waitcnt lgkmcnt(0)
	v_add_f32_e32 v12, v17, v12
	s_or_b32 exec_lo, exec_lo, s4
	s_and_saveexec_b32 s4, vcc_lo
	s_cbranch_execz .LBB393_1989
.LBB393_2028:
	ds_read_b32 v17, v15 offset:96
	s_waitcnt lgkmcnt(0)
	v_add_f32_e32 v11, v17, v11
	s_or_b32 exec_lo, exec_lo, s4
	s_and_saveexec_b32 s4, vcc_lo
	s_cbranch_execz .LBB393_1990
.LBB393_2029:
	ds_read_b32 v17, v15 offset:128
	s_waitcnt lgkmcnt(0)
	v_add_f32_e32 v10, v17, v10
	s_or_b32 exec_lo, exec_lo, s4
	s_and_saveexec_b32 s4, vcc_lo
	s_cbranch_execz .LBB393_1991
.LBB393_2030:
	ds_read_b32 v17, v15 offset:160
	s_waitcnt lgkmcnt(0)
	v_add_f32_e32 v9, v17, v9
	s_or_b32 exec_lo, exec_lo, s4
	s_and_saveexec_b32 s4, vcc_lo
	s_cbranch_execz .LBB393_1992
.LBB393_2031:
	ds_read_b32 v17, v15 offset:192
	s_waitcnt lgkmcnt(0)
	v_add_f32_e32 v8, v17, v8
	s_or_b32 exec_lo, exec_lo, s4
	s_and_saveexec_b32 s4, vcc_lo
	s_cbranch_execz .LBB393_1993
.LBB393_2032:
	ds_read_b32 v17, v15 offset:224
	s_waitcnt lgkmcnt(0)
	v_add_f32_e32 v7, v17, v7
	s_or_b32 exec_lo, exec_lo, s4
	s_and_saveexec_b32 s4, vcc_lo
	s_cbranch_execz .LBB393_1994
.LBB393_2033:
	ds_read_b32 v17, v15 offset:256
	s_waitcnt lgkmcnt(0)
	v_add_f32_e32 v6, v17, v6
	s_or_b32 exec_lo, exec_lo, s4
	s_and_saveexec_b32 s4, vcc_lo
	s_cbranch_execz .LBB393_1995
.LBB393_2034:
	ds_read_b32 v17, v15 offset:288
	s_waitcnt lgkmcnt(0)
	v_add_f32_e32 v5, v17, v5
	s_or_b32 exec_lo, exec_lo, s4
	s_and_saveexec_b32 s4, vcc_lo
	s_cbranch_execz .LBB393_1996
.LBB393_2035:
	ds_read_b32 v17, v15 offset:320
	s_waitcnt lgkmcnt(0)
	v_add_f32_e32 v4, v17, v4
	s_or_b32 exec_lo, exec_lo, s4
	s_and_saveexec_b32 s4, vcc_lo
	s_cbranch_execz .LBB393_1997
.LBB393_2036:
	ds_read_b32 v17, v15 offset:352
	s_waitcnt lgkmcnt(0)
	v_add_f32_e32 v3, v17, v3
	s_or_b32 exec_lo, exec_lo, s4
	s_and_saveexec_b32 s4, vcc_lo
	s_cbranch_execz .LBB393_1998
.LBB393_2037:
	ds_read_b32 v17, v15 offset:384
	s_waitcnt lgkmcnt(0)
	v_add_f32_e32 v2, v17, v2
	s_or_b32 exec_lo, exec_lo, s4
	s_and_saveexec_b32 s4, vcc_lo
	s_cbranch_execz .LBB393_1999
.LBB393_2038:
	ds_read_b32 v17, v15 offset:416
	s_waitcnt lgkmcnt(0)
	v_add_f32_e32 v1, v17, v1
	s_or_b32 exec_lo, exec_lo, s4
	s_and_saveexec_b32 s4, vcc_lo
	s_cbranch_execnz .LBB393_2000
	s_branch .LBB393_2001
.LBB393_2039:
	ds_read_b32 v16, v15
	s_waitcnt lgkmcnt(0)
	v_add_f32_e32 v14, v16, v14
	s_or_b32 exec_lo, exec_lo, s4
	s_and_saveexec_b32 s4, vcc_lo
	s_cbranch_execz .LBB393_2007
.LBB393_2040:
	ds_read_b32 v16, v15 offset:32
	s_waitcnt lgkmcnt(0)
	v_add_f32_e32 v13, v16, v13
	s_or_b32 exec_lo, exec_lo, s4
	s_and_saveexec_b32 s4, vcc_lo
	s_cbranch_execz .LBB393_2008
.LBB393_2041:
	ds_read_b32 v16, v15 offset:64
	s_waitcnt lgkmcnt(0)
	v_add_f32_e32 v12, v16, v12
	s_or_b32 exec_lo, exec_lo, s4
	s_and_saveexec_b32 s4, vcc_lo
	s_cbranch_execz .LBB393_2009
.LBB393_2042:
	ds_read_b32 v16, v15 offset:96
	s_waitcnt lgkmcnt(0)
	v_add_f32_e32 v11, v16, v11
	s_or_b32 exec_lo, exec_lo, s4
	s_and_saveexec_b32 s4, vcc_lo
	s_cbranch_execz .LBB393_2010
.LBB393_2043:
	ds_read_b32 v16, v15 offset:128
	s_waitcnt lgkmcnt(0)
	v_add_f32_e32 v10, v16, v10
	s_or_b32 exec_lo, exec_lo, s4
	s_and_saveexec_b32 s4, vcc_lo
	s_cbranch_execz .LBB393_2011
.LBB393_2044:
	ds_read_b32 v16, v15 offset:160
	s_waitcnt lgkmcnt(0)
	v_add_f32_e32 v9, v16, v9
	s_or_b32 exec_lo, exec_lo, s4
	s_and_saveexec_b32 s4, vcc_lo
	s_cbranch_execz .LBB393_2012
.LBB393_2045:
	ds_read_b32 v16, v15 offset:192
	s_waitcnt lgkmcnt(0)
	v_add_f32_e32 v8, v16, v8
	s_or_b32 exec_lo, exec_lo, s4
	s_and_saveexec_b32 s4, vcc_lo
	s_cbranch_execz .LBB393_2013
.LBB393_2046:
	ds_read_b32 v16, v15 offset:224
	s_waitcnt lgkmcnt(0)
	v_add_f32_e32 v7, v16, v7
	s_or_b32 exec_lo, exec_lo, s4
	s_and_saveexec_b32 s4, vcc_lo
	s_cbranch_execz .LBB393_2014
.LBB393_2047:
	ds_read_b32 v16, v15 offset:256
	s_waitcnt lgkmcnt(0)
	v_add_f32_e32 v6, v16, v6
	s_or_b32 exec_lo, exec_lo, s4
	s_and_saveexec_b32 s4, vcc_lo
	s_cbranch_execz .LBB393_2015
.LBB393_2048:
	ds_read_b32 v16, v15 offset:288
	s_waitcnt lgkmcnt(0)
	v_add_f32_e32 v5, v16, v5
	s_or_b32 exec_lo, exec_lo, s4
	s_and_saveexec_b32 s4, vcc_lo
	s_cbranch_execz .LBB393_2016
.LBB393_2049:
	ds_read_b32 v16, v15 offset:320
	s_waitcnt lgkmcnt(0)
	v_add_f32_e32 v4, v16, v4
	s_or_b32 exec_lo, exec_lo, s4
	s_and_saveexec_b32 s4, vcc_lo
	s_cbranch_execz .LBB393_2017
.LBB393_2050:
	ds_read_b32 v16, v15 offset:352
	s_waitcnt lgkmcnt(0)
	v_add_f32_e32 v3, v16, v3
	s_or_b32 exec_lo, exec_lo, s4
	s_and_saveexec_b32 s4, vcc_lo
	s_cbranch_execz .LBB393_2018
.LBB393_2051:
	ds_read_b32 v16, v15 offset:384
	s_waitcnt lgkmcnt(0)
	v_add_f32_e32 v2, v16, v2
	s_or_b32 exec_lo, exec_lo, s4
	s_and_saveexec_b32 s4, vcc_lo
	s_cbranch_execz .LBB393_2019
.LBB393_2052:
	ds_read_b32 v16, v15 offset:416
	s_waitcnt lgkmcnt(0)
	v_add_f32_e32 v1, v16, v1
	s_or_b32 exec_lo, exec_lo, s4
	s_and_saveexec_b32 s4, vcc_lo
	s_cbranch_execnz .LBB393_2020
	s_branch .LBB393_2021
.Lfunc_end393:
	.size	_ZN4vllm22paged_attention_kernelI14__hip_bfloat16hLi120ELi32ELi128ELNS_18Fp8KVCacheDataTypeE1ELb0ELi512EEEvPfS3_PT_PKS4_PKT0_SA_ifPKiSC_iPKfiiiSE_SE_iiiii, .Lfunc_end393-_ZN4vllm22paged_attention_kernelI14__hip_bfloat16hLi120ELi32ELi128ELNS_18Fp8KVCacheDataTypeE1ELb0ELi512EEEvPfS3_PT_PKS4_PKT0_SA_ifPKiSC_iPKfiiiSE_SE_iiiii
                                        ; -- End function
	.set .L_ZN4vllm22paged_attention_kernelI14__hip_bfloat16hLi120ELi32ELi128ELNS_18Fp8KVCacheDataTypeE1ELb0ELi512EEEvPfS3_PT_PKS4_PKT0_SA_ifPKiSC_iPKfiiiSE_SE_iiiii.num_vgpr, 128
	.set .L_ZN4vllm22paged_attention_kernelI14__hip_bfloat16hLi120ELi32ELi128ELNS_18Fp8KVCacheDataTypeE1ELb0ELi512EEEvPfS3_PT_PKS4_PKT0_SA_ifPKiSC_iPKfiiiSE_SE_iiiii.num_agpr, 0
	.set .L_ZN4vllm22paged_attention_kernelI14__hip_bfloat16hLi120ELi32ELi128ELNS_18Fp8KVCacheDataTypeE1ELb0ELi512EEEvPfS3_PT_PKS4_PKT0_SA_ifPKiSC_iPKfiiiSE_SE_iiiii.numbered_sgpr, 33
	.set .L_ZN4vllm22paged_attention_kernelI14__hip_bfloat16hLi120ELi32ELi128ELNS_18Fp8KVCacheDataTypeE1ELb0ELi512EEEvPfS3_PT_PKS4_PKT0_SA_ifPKiSC_iPKfiiiSE_SE_iiiii.num_named_barrier, 0
	.set .L_ZN4vllm22paged_attention_kernelI14__hip_bfloat16hLi120ELi32ELi128ELNS_18Fp8KVCacheDataTypeE1ELb0ELi512EEEvPfS3_PT_PKS4_PKT0_SA_ifPKiSC_iPKfiiiSE_SE_iiiii.private_seg_size, 844
	.set .L_ZN4vllm22paged_attention_kernelI14__hip_bfloat16hLi120ELi32ELi128ELNS_18Fp8KVCacheDataTypeE1ELb0ELi512EEEvPfS3_PT_PKS4_PKT0_SA_ifPKiSC_iPKfiiiSE_SE_iiiii.uses_vcc, 1
	.set .L_ZN4vllm22paged_attention_kernelI14__hip_bfloat16hLi120ELi32ELi128ELNS_18Fp8KVCacheDataTypeE1ELb0ELi512EEEvPfS3_PT_PKS4_PKT0_SA_ifPKiSC_iPKfiiiSE_SE_iiiii.uses_flat_scratch, 0
	.set .L_ZN4vllm22paged_attention_kernelI14__hip_bfloat16hLi120ELi32ELi128ELNS_18Fp8KVCacheDataTypeE1ELb0ELi512EEEvPfS3_PT_PKS4_PKT0_SA_ifPKiSC_iPKfiiiSE_SE_iiiii.has_dyn_sized_stack, 0
	.set .L_ZN4vllm22paged_attention_kernelI14__hip_bfloat16hLi120ELi32ELi128ELNS_18Fp8KVCacheDataTypeE1ELb0ELi512EEEvPfS3_PT_PKS4_PKT0_SA_ifPKiSC_iPKfiiiSE_SE_iiiii.has_recursion, 0
	.set .L_ZN4vllm22paged_attention_kernelI14__hip_bfloat16hLi120ELi32ELi128ELNS_18Fp8KVCacheDataTypeE1ELb0ELi512EEEvPfS3_PT_PKS4_PKT0_SA_ifPKiSC_iPKfiiiSE_SE_iiiii.has_indirect_call, 0
	.section	.AMDGPU.csdata,"",@progbits
; Function info:
; codeLenInByte = 82388
; TotalNumSgprs: 35
; NumVgprs: 128
; ScratchSize: 844
; MemoryBound: 0
	.section	.text._ZN4vllm25paged_attention_v2_kernelI14__hip_bfloat16hLi120ELi32ELi128ELNS_18Fp8KVCacheDataTypeE1ELb0ELi512EEEvPfS3_PT_PKS4_PKT0_SA_ifPKiSC_iPKfiiiSE_SE_iiiii,"axG",@progbits,_ZN4vllm25paged_attention_v2_kernelI14__hip_bfloat16hLi120ELi32ELi128ELNS_18Fp8KVCacheDataTypeE1ELb0ELi512EEEvPfS3_PT_PKS4_PKT0_SA_ifPKiSC_iPKfiiiSE_SE_iiiii,comdat
	.protected	_ZN4vllm25paged_attention_v2_kernelI14__hip_bfloat16hLi120ELi32ELi128ELNS_18Fp8KVCacheDataTypeE1ELb0ELi512EEEvPfS3_PT_PKS4_PKT0_SA_ifPKiSC_iPKfiiiSE_SE_iiiii ; -- Begin function _ZN4vllm25paged_attention_v2_kernelI14__hip_bfloat16hLi120ELi32ELi128ELNS_18Fp8KVCacheDataTypeE1ELb0ELi512EEEvPfS3_PT_PKS4_PKT0_SA_ifPKiSC_iPKfiiiSE_SE_iiiii
	.globl	_ZN4vllm25paged_attention_v2_kernelI14__hip_bfloat16hLi120ELi32ELi128ELNS_18Fp8KVCacheDataTypeE1ELb0ELi512EEEvPfS3_PT_PKS4_PKT0_SA_ifPKiSC_iPKfiiiSE_SE_iiiii
	.p2align	8
	.type	_ZN4vllm25paged_attention_v2_kernelI14__hip_bfloat16hLi120ELi32ELi128ELNS_18Fp8KVCacheDataTypeE1ELb0ELi512EEEvPfS3_PT_PKS4_PKT0_SA_ifPKiSC_iPKfiiiSE_SE_iiiii,@function
_ZN4vllm25paged_attention_v2_kernelI14__hip_bfloat16hLi120ELi32ELi128ELNS_18Fp8KVCacheDataTypeE1ELb0ELi512EEEvPfS3_PT_PKS4_PKT0_SA_ifPKiSC_iPKfiiiSE_SE_iiiii: ; @_ZN4vllm25paged_attention_v2_kernelI14__hip_bfloat16hLi120ELi32ELi128ELNS_18Fp8KVCacheDataTypeE1ELb0ELi512EEEvPfS3_PT_PKS4_PKT0_SA_ifPKiSC_iPKfiiiSE_SE_iiiii
; %bb.0:
	s_clause 0x5
	s_load_dwordx8 s[24:31], s[4:5], 0x0
	s_load_dwordx8 s[16:23], s[4:5], 0x20
	s_load_dwordx2 s[10:11], s[4:5], 0x40
	s_load_dwordx2 s[34:35], s[4:5], 0x50
	s_load_dword s13, s[4:5], 0x48
	s_load_dwordx8 s[36:43], s[4:5], 0x58
	s_add_u32 s0, s0, s9
	s_addc_u32 s1, s1, 0
	v_mov_b32_e32 v31, v0
	s_mov_b32 s14, s8
	s_add_u32 s8, s4, 0x90
	s_addc_u32 s9, s5, 0
	s_getpc_b64 s[4:5]
	s_add_u32 s4, s4, _ZN4vllm22paged_attention_kernelI14__hip_bfloat16hLi120ELi32ELi128ELNS_18Fp8KVCacheDataTypeE1ELb0ELi512EEEvPfS3_PT_PKS4_PKT0_SA_ifPKiSC_iPKfiiiSE_SE_iiiii@rel32@lo+4
	s_addc_u32 s5, s5, _ZN4vllm22paged_attention_kernelI14__hip_bfloat16hLi120ELi32ELi128ELNS_18Fp8KVCacheDataTypeE1ELb0ELi512EEEvPfS3_PT_PKS4_PKT0_SA_ifPKiSC_iPKfiiiSE_SE_iiiii@rel32@hi+12
	s_mov_b32 s12, s6
	s_mov_b32 s15, 2
	;; [unrolled: 1-line block ×3, first 2 shown]
	s_waitcnt lgkmcnt(0)
	v_mov_b32_e32 v0, s24
	v_mov_b32_e32 v1, s25
	;; [unrolled: 1-line block ×28, first 2 shown]
	s_mov_b32 s13, s7
	s_swappc_b64 s[30:31], s[4:5]
	s_endpgm
	.section	.rodata,"a",@progbits
	.p2align	6, 0x0
	.amdhsa_kernel _ZN4vllm25paged_attention_v2_kernelI14__hip_bfloat16hLi120ELi32ELi128ELNS_18Fp8KVCacheDataTypeE1ELb0ELi512EEEvPfS3_PT_PKS4_PKT0_SA_ifPKiSC_iPKfiiiSE_SE_iiiii
		.amdhsa_group_segment_fixed_size 272
		.amdhsa_private_segment_fixed_size 844
		.amdhsa_kernarg_size 400
		.amdhsa_user_sgpr_count 6
		.amdhsa_user_sgpr_private_segment_buffer 1
		.amdhsa_user_sgpr_dispatch_ptr 0
		.amdhsa_user_sgpr_queue_ptr 0
		.amdhsa_user_sgpr_kernarg_segment_ptr 1
		.amdhsa_user_sgpr_dispatch_id 0
		.amdhsa_user_sgpr_flat_scratch_init 0
		.amdhsa_user_sgpr_private_segment_size 0
		.amdhsa_wavefront_size32 1
		.amdhsa_uses_dynamic_stack 0
		.amdhsa_system_sgpr_private_segment_wavefront_offset 1
		.amdhsa_system_sgpr_workgroup_id_x 1
		.amdhsa_system_sgpr_workgroup_id_y 1
		.amdhsa_system_sgpr_workgroup_id_z 1
		.amdhsa_system_sgpr_workgroup_info 0
		.amdhsa_system_vgpr_workitem_id 0
		.amdhsa_next_free_vgpr 128
		.amdhsa_next_free_sgpr 44
		.amdhsa_reserve_vcc 1
		.amdhsa_reserve_flat_scratch 0
		.amdhsa_float_round_mode_32 0
		.amdhsa_float_round_mode_16_64 0
		.amdhsa_float_denorm_mode_32 3
		.amdhsa_float_denorm_mode_16_64 3
		.amdhsa_dx10_clamp 1
		.amdhsa_ieee_mode 1
		.amdhsa_fp16_overflow 0
		.amdhsa_workgroup_processor_mode 1
		.amdhsa_memory_ordered 1
		.amdhsa_forward_progress 1
		.amdhsa_shared_vgpr_count 0
		.amdhsa_exception_fp_ieee_invalid_op 0
		.amdhsa_exception_fp_denorm_src 0
		.amdhsa_exception_fp_ieee_div_zero 0
		.amdhsa_exception_fp_ieee_overflow 0
		.amdhsa_exception_fp_ieee_underflow 0
		.amdhsa_exception_fp_ieee_inexact 0
		.amdhsa_exception_int_div_zero 0
	.end_amdhsa_kernel
	.section	.text._ZN4vllm25paged_attention_v2_kernelI14__hip_bfloat16hLi120ELi32ELi128ELNS_18Fp8KVCacheDataTypeE1ELb0ELi512EEEvPfS3_PT_PKS4_PKT0_SA_ifPKiSC_iPKfiiiSE_SE_iiiii,"axG",@progbits,_ZN4vllm25paged_attention_v2_kernelI14__hip_bfloat16hLi120ELi32ELi128ELNS_18Fp8KVCacheDataTypeE1ELb0ELi512EEEvPfS3_PT_PKS4_PKT0_SA_ifPKiSC_iPKfiiiSE_SE_iiiii,comdat
.Lfunc_end394:
	.size	_ZN4vllm25paged_attention_v2_kernelI14__hip_bfloat16hLi120ELi32ELi128ELNS_18Fp8KVCacheDataTypeE1ELb0ELi512EEEvPfS3_PT_PKS4_PKT0_SA_ifPKiSC_iPKfiiiSE_SE_iiiii, .Lfunc_end394-_ZN4vllm25paged_attention_v2_kernelI14__hip_bfloat16hLi120ELi32ELi128ELNS_18Fp8KVCacheDataTypeE1ELb0ELi512EEEvPfS3_PT_PKS4_PKT0_SA_ifPKiSC_iPKfiiiSE_SE_iiiii
                                        ; -- End function
	.set _ZN4vllm25paged_attention_v2_kernelI14__hip_bfloat16hLi120ELi32ELi128ELNS_18Fp8KVCacheDataTypeE1ELb0ELi512EEEvPfS3_PT_PKS4_PKT0_SA_ifPKiSC_iPKfiiiSE_SE_iiiii.num_vgpr, max(32, .L_ZN4vllm22paged_attention_kernelI14__hip_bfloat16hLi120ELi32ELi128ELNS_18Fp8KVCacheDataTypeE1ELb0ELi512EEEvPfS3_PT_PKS4_PKT0_SA_ifPKiSC_iPKfiiiSE_SE_iiiii.num_vgpr)
	.set _ZN4vllm25paged_attention_v2_kernelI14__hip_bfloat16hLi120ELi32ELi128ELNS_18Fp8KVCacheDataTypeE1ELb0ELi512EEEvPfS3_PT_PKS4_PKT0_SA_ifPKiSC_iPKfiiiSE_SE_iiiii.num_agpr, max(0, .L_ZN4vllm22paged_attention_kernelI14__hip_bfloat16hLi120ELi32ELi128ELNS_18Fp8KVCacheDataTypeE1ELb0ELi512EEEvPfS3_PT_PKS4_PKT0_SA_ifPKiSC_iPKfiiiSE_SE_iiiii.num_agpr)
	.set _ZN4vllm25paged_attention_v2_kernelI14__hip_bfloat16hLi120ELi32ELi128ELNS_18Fp8KVCacheDataTypeE1ELb0ELi512EEEvPfS3_PT_PKS4_PKT0_SA_ifPKiSC_iPKfiiiSE_SE_iiiii.numbered_sgpr, max(44, .L_ZN4vllm22paged_attention_kernelI14__hip_bfloat16hLi120ELi32ELi128ELNS_18Fp8KVCacheDataTypeE1ELb0ELi512EEEvPfS3_PT_PKS4_PKT0_SA_ifPKiSC_iPKfiiiSE_SE_iiiii.numbered_sgpr)
	.set _ZN4vllm25paged_attention_v2_kernelI14__hip_bfloat16hLi120ELi32ELi128ELNS_18Fp8KVCacheDataTypeE1ELb0ELi512EEEvPfS3_PT_PKS4_PKT0_SA_ifPKiSC_iPKfiiiSE_SE_iiiii.num_named_barrier, max(0, .L_ZN4vllm22paged_attention_kernelI14__hip_bfloat16hLi120ELi32ELi128ELNS_18Fp8KVCacheDataTypeE1ELb0ELi512EEEvPfS3_PT_PKS4_PKT0_SA_ifPKiSC_iPKfiiiSE_SE_iiiii.num_named_barrier)
	.set _ZN4vllm25paged_attention_v2_kernelI14__hip_bfloat16hLi120ELi32ELi128ELNS_18Fp8KVCacheDataTypeE1ELb0ELi512EEEvPfS3_PT_PKS4_PKT0_SA_ifPKiSC_iPKfiiiSE_SE_iiiii.private_seg_size, 0+max(.L_ZN4vllm22paged_attention_kernelI14__hip_bfloat16hLi120ELi32ELi128ELNS_18Fp8KVCacheDataTypeE1ELb0ELi512EEEvPfS3_PT_PKS4_PKT0_SA_ifPKiSC_iPKfiiiSE_SE_iiiii.private_seg_size)
	.set _ZN4vllm25paged_attention_v2_kernelI14__hip_bfloat16hLi120ELi32ELi128ELNS_18Fp8KVCacheDataTypeE1ELb0ELi512EEEvPfS3_PT_PKS4_PKT0_SA_ifPKiSC_iPKfiiiSE_SE_iiiii.uses_vcc, or(1, .L_ZN4vllm22paged_attention_kernelI14__hip_bfloat16hLi120ELi32ELi128ELNS_18Fp8KVCacheDataTypeE1ELb0ELi512EEEvPfS3_PT_PKS4_PKT0_SA_ifPKiSC_iPKfiiiSE_SE_iiiii.uses_vcc)
	.set _ZN4vllm25paged_attention_v2_kernelI14__hip_bfloat16hLi120ELi32ELi128ELNS_18Fp8KVCacheDataTypeE1ELb0ELi512EEEvPfS3_PT_PKS4_PKT0_SA_ifPKiSC_iPKfiiiSE_SE_iiiii.uses_flat_scratch, or(0, .L_ZN4vllm22paged_attention_kernelI14__hip_bfloat16hLi120ELi32ELi128ELNS_18Fp8KVCacheDataTypeE1ELb0ELi512EEEvPfS3_PT_PKS4_PKT0_SA_ifPKiSC_iPKfiiiSE_SE_iiiii.uses_flat_scratch)
	.set _ZN4vllm25paged_attention_v2_kernelI14__hip_bfloat16hLi120ELi32ELi128ELNS_18Fp8KVCacheDataTypeE1ELb0ELi512EEEvPfS3_PT_PKS4_PKT0_SA_ifPKiSC_iPKfiiiSE_SE_iiiii.has_dyn_sized_stack, or(0, .L_ZN4vllm22paged_attention_kernelI14__hip_bfloat16hLi120ELi32ELi128ELNS_18Fp8KVCacheDataTypeE1ELb0ELi512EEEvPfS3_PT_PKS4_PKT0_SA_ifPKiSC_iPKfiiiSE_SE_iiiii.has_dyn_sized_stack)
	.set _ZN4vllm25paged_attention_v2_kernelI14__hip_bfloat16hLi120ELi32ELi128ELNS_18Fp8KVCacheDataTypeE1ELb0ELi512EEEvPfS3_PT_PKS4_PKT0_SA_ifPKiSC_iPKfiiiSE_SE_iiiii.has_recursion, or(0, .L_ZN4vllm22paged_attention_kernelI14__hip_bfloat16hLi120ELi32ELi128ELNS_18Fp8KVCacheDataTypeE1ELb0ELi512EEEvPfS3_PT_PKS4_PKT0_SA_ifPKiSC_iPKfiiiSE_SE_iiiii.has_recursion)
	.set _ZN4vllm25paged_attention_v2_kernelI14__hip_bfloat16hLi120ELi32ELi128ELNS_18Fp8KVCacheDataTypeE1ELb0ELi512EEEvPfS3_PT_PKS4_PKT0_SA_ifPKiSC_iPKfiiiSE_SE_iiiii.has_indirect_call, or(0, .L_ZN4vllm22paged_attention_kernelI14__hip_bfloat16hLi120ELi32ELi128ELNS_18Fp8KVCacheDataTypeE1ELb0ELi512EEEvPfS3_PT_PKS4_PKT0_SA_ifPKiSC_iPKfiiiSE_SE_iiiii.has_indirect_call)
	.section	.AMDGPU.csdata,"",@progbits
; Kernel info:
; codeLenInByte = 240
; TotalNumSgprs: 46
; NumVgprs: 128
; ScratchSize: 844
; MemoryBound: 0
; FloatMode: 240
; IeeeMode: 1
; LDSByteSize: 272 bytes/workgroup (compile time only)
; SGPRBlocks: 0
; VGPRBlocks: 15
; NumSGPRsForWavesPerEU: 46
; NumVGPRsForWavesPerEU: 128
; Occupancy: 8
; WaveLimiterHint : 1
; COMPUTE_PGM_RSRC2:SCRATCH_EN: 1
; COMPUTE_PGM_RSRC2:USER_SGPR: 6
; COMPUTE_PGM_RSRC2:TRAP_HANDLER: 0
; COMPUTE_PGM_RSRC2:TGID_X_EN: 1
; COMPUTE_PGM_RSRC2:TGID_Y_EN: 1
; COMPUTE_PGM_RSRC2:TGID_Z_EN: 1
; COMPUTE_PGM_RSRC2:TIDIG_COMP_CNT: 0
	.text
	.p2align	2                               ; -- Begin function _ZN4vllm22paged_attention_kernelI14__hip_bfloat16hLi128ELi32ELi128ELNS_18Fp8KVCacheDataTypeE1ELb0ELi512EEEvPfS3_PT_PKS4_PKT0_SA_ifPKiSC_iPKfiiiSE_SE_iiiii
	.type	_ZN4vllm22paged_attention_kernelI14__hip_bfloat16hLi128ELi32ELi128ELNS_18Fp8KVCacheDataTypeE1ELb0ELi512EEEvPfS3_PT_PKS4_PKT0_SA_ifPKiSC_iPKfiiiSE_SE_iiiii,@function
_ZN4vllm22paged_attention_kernelI14__hip_bfloat16hLi128ELi32ELi128ELNS_18Fp8KVCacheDataTypeE1ELb0ELi512EEEvPfS3_PT_PKS4_PKT0_SA_ifPKiSC_iPKfiiiSE_SE_iiiii: ; @_ZN4vllm22paged_attention_kernelI14__hip_bfloat16hLi128ELi32ELi128ELNS_18Fp8KVCacheDataTypeE1ELb0ELi512EEEvPfS3_PT_PKS4_PKT0_SA_ifPKiSC_iPKfiiiSE_SE_iiiii
; %bb.0:
	s_waitcnt vmcnt(0) expcnt(0) lgkmcnt(0)
	buffer_store_dword v40, off, s[0:3], s32 offset:188 ; 4-byte Folded Spill
	buffer_store_dword v41, off, s[0:3], s32 offset:184 ; 4-byte Folded Spill
	;; [unrolled: 1-line block ×47, first 2 shown]
	buffer_store_dword v127, off, s[0:3], s32 ; 4-byte Folded Spill
	s_mov_b32 s18, s13
	s_ashr_i32 s19, s13, 31
	buffer_store_dword v24, off, s[0:3], s32 offset:304 ; 4-byte Folded Spill
	buffer_store_dword v25, off, s[0:3], s32 offset:308 ; 4-byte Folded Spill
	;; [unrolled: 1-line block ×6, first 2 shown]
	s_lshl_b64 s[4:5], s[18:19], 2
	v_mov_b32_e32 v24, v0
	v_add_co_u32 v0, vcc_lo, v16, s4
	v_mov_b32_e32 v22, v1
	v_add_co_ci_u32_e64 v1, null, s5, v17, vcc_lo
	v_mov_b32_e32 v25, v3
	v_mov_b32_e32 v28, v2
	s_lshl_b32 s20, s14, 9
	flat_load_dword v36, v[0:1]
	s_mov_b32 s19, exec_lo
	s_waitcnt vmcnt(0) lgkmcnt(0)
	v_cmpx_lt_i32_e64 s20, v36
	s_cbranch_execz .LBB395_2156
; %bb.1:
	v_sub_nc_u32_e32 v0, 0, v12
	s_clause 0x1
	s_load_dword s4, s[8:9], 0x10
	s_load_dword s5, s[8:9], 0x0
	s_mov_b32 s16, s15
	v_max_i32_e32 v0, v12, v0
	v_cvt_f32_u32_e32 v1, v0
	v_sub_nc_u32_e32 v2, 0, v0
	v_rcp_iflag_f32_e32 v1, v1
	s_waitcnt lgkmcnt(0)
	s_lshr_b32 s4, s4, 16
	s_cmp_lg_u32 s4, 0
	s_cselect_b32 s4, -1, 0
	v_mul_f32_e32 v1, 0x4f7ffffe, v1
	s_cmp_lg_u32 s4, 0
	s_addc_u32 s15, s5, 0
	s_mov_b32 s5, exec_lo
	v_cvt_u32_f32_e32 v1, v1
	s_abs_i32 s4, s15
	v_mul_lo_u32 v2, v2, v1
	v_mul_hi_u32 v2, v1, v2
	v_add_nc_u32_e32 v1, v1, v2
	v_mul_hi_u32 v1, s4, v1
	v_mul_lo_u32 v2, v1, v0
	v_add_nc_u32_e32 v3, 1, v1
	v_sub_nc_u32_e32 v2, s4, v2
	s_abs_i32 s4, s12
	v_sub_nc_u32_e32 v4, v2, v0
	v_cmp_ge_u32_e32 vcc_lo, v2, v0
	v_cndmask_b32_e32 v1, v1, v3, vcc_lo
	v_cndmask_b32_e32 v2, v2, v4, vcc_lo
	v_xor_b32_e32 v3, s15, v12
	v_add_nc_u32_e32 v4, 1, v1
	v_cmp_ge_u32_e32 vcc_lo, v2, v0
	v_ashrrev_i32_e32 v3, 31, v3
	v_cndmask_b32_e32 v0, v1, v4, vcc_lo
	v_xor_b32_e32 v0, v0, v3
	v_sub_nc_u32_e32 v1, v0, v3
	v_sub_nc_u32_e32 v0, 0, v1
	v_max_i32_e32 v0, v1, v0
	v_cvt_f32_u32_e32 v2, v0
	v_sub_nc_u32_e32 v3, 0, v0
	v_rcp_iflag_f32_e32 v2, v2
	v_mul_f32_e32 v2, 0x4f7ffffe, v2
	v_cvt_u32_f32_e32 v2, v2
	v_mul_lo_u32 v3, v3, v2
	v_mul_hi_u32 v3, v2, v3
	v_add_nc_u32_e32 v2, v2, v3
	v_mad_u64_u32 v[16:17], null, s4, v2, 0
	v_mov_b32_e32 v2, 0
	buffer_store_dword v2, off, s[0:3], s32 offset:316 ; 4-byte Folded Spill
	v_cmpx_ne_u64_e32 0, v[19:20]
	s_cbranch_execz .LBB395_3
; %bb.2:
	s_ashr_i32 s13, s12, 31
	s_lshl_b64 s[6:7], s[12:13], 2
	v_add_co_u32 v2, vcc_lo, v19, s6
	v_add_co_ci_u32_e64 v3, null, s7, v20, vcc_lo
	flat_load_dword v2, v[2:3]
	s_waitcnt vmcnt(0) lgkmcnt(0)
	buffer_store_dword v2, off, s[0:3], s32 offset:316 ; 4-byte Folded Spill
.LBB395_3:
	s_or_b32 exec_lo, exec_lo, s5
	v_and_b32_e32 v12, 0x3ff, v31
	v_ashrrev_i32_e32 v1, 31, v1
	s_ashr_i32 s5, s12, 31
	s_lshl_b32 s10, s12, 7
	s_mov_b32 s6, exec_lo
	v_cmpx_gt_u32_e32 16, v12
	s_cbranch_execz .LBB395_5
; %bb.4:
	v_mul_lo_u32 v2, v21, s18
	s_ashr_i32 s11, s10, 31
	v_lshlrev_b32_e32 v13, 4, v12
	s_lshl_b64 s[22:23], s[10:11], 1
	v_ashrrev_i32_e32 v3, 31, v2
	v_lshlrev_b64 v[2:3], 1, v[2:3]
	v_add_co_u32 v2, vcc_lo, v6, v2
	v_add_co_ci_u32_e64 v3, null, v7, v3, vcc_lo
	v_add_co_u32 v2, vcc_lo, v2, s22
	v_add_co_ci_u32_e64 v3, null, s23, v3, vcc_lo
	;; [unrolled: 2-line block ×3, first 2 shown]
	flat_load_dwordx4 v[2:5], v[2:3]
	s_waitcnt vmcnt(0) lgkmcnt(0)
	ds_write_b128 v13, v[2:5]
.LBB395_5:
	s_or_b32 exec_lo, exec_lo, s6
	v_mul_lo_u32 v2, v17, v0
	v_add_nc_u32_e32 v3, 1, v17
	v_add_nc_u32_e32 v4, 31, v36
	s_lshl_b32 s7, s14, 4
	s_clause 0x1
	s_load_dword s13, s[8:9], 0x14
	s_load_dword s11, s[8:9], 0x8
	v_xor_b32_e32 v1, s5, v1
	v_mov_b32_e32 v7, 0xff7fffff
	v_ashrrev_i32_e32 v6, 31, v4
	v_sub_nc_u32_e32 v2, s4, v2
	s_add_i32 s4, s7, 16
	v_lshrrev_b32_e32 v6, 27, v6
	v_sub_nc_u32_e32 v5, v2, v0
	v_cmp_ge_u32_e32 vcc_lo, v2, v0
	v_cndmask_b32_e32 v3, v17, v3, vcc_lo
	v_cndmask_b32_e32 v2, v2, v5, vcc_lo
	v_add_nc_u32_e32 v5, 1, v3
	v_cmp_ge_u32_e32 vcc_lo, v2, v0
	v_mul_lo_u32 v0, v18, s18
	v_cndmask_b32_e32 v2, v3, v5, vcc_lo
	v_add_nc_u32_e32 v3, v4, v6
	v_lshrrev_b32_e32 v4, 5, v12
	v_xor_b32_e32 v2, v2, v1
	v_ashrrev_i32_e32 v13, 5, v3
	v_add_nc_u32_e32 v3, s7, v4
	buffer_store_dword v4, off, s[0:3], s32 offset:864 ; 4-byte Folded Spill
	v_sub_nc_u32_e32 v2, v2, v1
	v_min_i32_e32 v5, s4, v13
	v_ashrrev_i32_e32 v4, 31, v3
	v_ashrrev_i32_e32 v1, 31, v0
	v_mul_lo_u32 v16, v2, v23
	v_cmp_ge_i32_e64 s4, v3, v5
	buffer_store_dword v3, off, s[0:3], s32 offset:192 ; 4-byte Folded Spill
	buffer_store_dword v4, off, s[0:3], s32 offset:196 ; 4-byte Folded Spill
	;; [unrolled: 1-line block ×3, first 2 shown]
	v_and_b32_e32 v2, 31, v12
	v_lshlrev_b64 v[34:35], 2, v[0:1]
	v_lshlrev_b32_e32 v29, 2, v2
	v_ashrrev_i32_e32 v37, 31, v16
	buffer_store_dword v2, off, s[0:3], s32 offset:860 ; 4-byte Folded Spill
	s_waitcnt lgkmcnt(0)
	s_waitcnt_vscnt null, 0x0
	s_barrier
	buffer_gl0_inv
	v_cmp_lt_i32_e32 vcc_lo, v3, v5
	s_mov_b32 s21, exec_lo
	s_and_b32 s5, s21, vcc_lo
	buffer_store_dword v12, off, s[0:3], s32 offset:856 ; 4-byte Folded Spill
	s_mov_b32 exec_lo, s5
	s_cbranch_execz .LBB395_1033
; %bb.6:
	v_mov_b32_e32 v19, 0
	buffer_store_dword v36, off, s[0:3], s32 offset:320 ; 4-byte Folded Spill
	buffer_store_dword v13, off, s[0:3], s32 offset:916 ; 4-byte Folded Spill
	;; [unrolled: 1-line block ×10, first 2 shown]
	s_getpc_b64 s[8:9]
	s_add_u32 s8, s8, llvm.amdgcn.dynlds.offset.table@rel32@lo+4
	s_addc_u32 s9, s9, llvm.amdgcn.dynlds.offset.table@rel32@hi+12
	s_ashr_i32 s17, s16, 31
	ds_read_b128 v[0:3], v19
	ds_read_b128 v[4:7], v19 offset:16
	ds_read_b128 v[10:13], v19 offset:32
	;; [unrolled: 1-line block ×3, first 2 shown]
	s_lshl_b64 s[22:23], s[16:17], 2
	s_mov_b32 s17, 0
	s_add_u32 s8, s8, s22
	s_addc_u32 s9, s9, s23
	s_waitcnt lgkmcnt(3)
	v_lshlrev_b32_e32 v17, 16, v0
	v_and_b32_e32 v0, 0xffff0000, v0
	buffer_store_dword v17, off, s[0:3], s32 offset:324 ; 4-byte Folded Spill
	buffer_store_dword v0, off, s[0:3], s32 offset:328 ; 4-byte Folded Spill
	v_lshlrev_b32_e32 v0, 16, v1
	buffer_store_dword v0, off, s[0:3], s32 offset:332 ; 4-byte Folded Spill
	v_and_b32_e32 v0, 0xffff0000, v1
	buffer_store_dword v0, off, s[0:3], s32 offset:336 ; 4-byte Folded Spill
	v_lshlrev_b32_e32 v0, 16, v2
	buffer_store_dword v0, off, s[0:3], s32 offset:340 ; 4-byte Folded Spill
	v_and_b32_e32 v0, 0xffff0000, v2
	buffer_store_dword v0, off, s[0:3], s32 offset:344 ; 4-byte Folded Spill
	v_lshlrev_b32_e32 v0, 16, v3
	buffer_store_dword v0, off, s[0:3], s32 offset:348 ; 4-byte Folded Spill
	v_and_b32_e32 v0, 0xffff0000, v3
	buffer_store_dword v0, off, s[0:3], s32 offset:352 ; 4-byte Folded Spill
	s_waitcnt lgkmcnt(2)
	v_lshlrev_b32_e32 v0, 16, v4
	buffer_store_dword v0, off, s[0:3], s32 offset:356 ; 4-byte Folded Spill
	v_and_b32_e32 v0, 0xffff0000, v4
	buffer_store_dword v0, off, s[0:3], s32 offset:360 ; 4-byte Folded Spill
	v_lshlrev_b32_e32 v0, 16, v5
	buffer_store_dword v0, off, s[0:3], s32 offset:364 ; 4-byte Folded Spill
	v_and_b32_e32 v0, 0xffff0000, v5
	buffer_store_dword v0, off, s[0:3], s32 offset:368 ; 4-byte Folded Spill
	v_lshlrev_b32_e32 v0, 16, v6
	buffer_store_dword v0, off, s[0:3], s32 offset:372 ; 4-byte Folded Spill
	v_and_b32_e32 v0, 0xffff0000, v6
	buffer_store_dword v0, off, s[0:3], s32 offset:376 ; 4-byte Folded Spill
	v_lshlrev_b32_e32 v0, 16, v7
	buffer_store_dword v0, off, s[0:3], s32 offset:380 ; 4-byte Folded Spill
	v_and_b32_e32 v0, 0xffff0000, v7
	buffer_store_dword v0, off, s[0:3], s32 offset:384 ; 4-byte Folded Spill
	s_waitcnt lgkmcnt(1)
	v_lshlrev_b32_e32 v0, 16, v10
	buffer_store_dword v0, off, s[0:3], s32 offset:388 ; 4-byte Folded Spill
	v_and_b32_e32 v0, 0xffff0000, v10
	;; [unrolled: 17-line block ×3, first 2 shown]
	buffer_store_dword v0, off, s[0:3], s32 offset:436 ; 4-byte Folded Spill
	v_lshlrev_b32_e32 v0, 16, v21
	buffer_store_dword v0, off, s[0:3], s32 offset:440 ; 4-byte Folded Spill
	v_and_b32_e32 v0, 0xffff0000, v21
	buffer_store_dword v0, off, s[0:3], s32 offset:444 ; 4-byte Folded Spill
	v_lshlrev_b32_e32 v0, 16, v22
	buffer_store_dword v0, off, s[0:3], s32 offset:448 ; 4-byte Folded Spill
	v_and_b32_e32 v0, 0xffff0000, v22
	buffer_store_dword v0, off, s[0:3], s32 offset:452 ; 4-byte Folded Spill
	v_lshlrev_b32_e32 v0, 16, v23
	buffer_store_dword v0, off, s[0:3], s32 offset:456 ; 4-byte Folded Spill
	v_and_b32_e32 v0, 0xffff0000, v23
	buffer_store_dword v0, off, s[0:3], s32 offset:460 ; 4-byte Folded Spill
	ds_read_b128 v[0:3], v19 offset:64
	s_waitcnt lgkmcnt(0)
	v_lshlrev_b32_e32 v4, 16, v0
	v_and_b32_e32 v0, 0xffff0000, v0
	buffer_store_dword v4, off, s[0:3], s32 offset:464 ; 4-byte Folded Spill
	buffer_store_dword v0, off, s[0:3], s32 offset:468 ; 4-byte Folded Spill
	v_lshlrev_b32_e32 v0, 16, v1
	buffer_store_dword v0, off, s[0:3], s32 offset:472 ; 4-byte Folded Spill
	v_and_b32_e32 v0, 0xffff0000, v1
	buffer_store_dword v0, off, s[0:3], s32 offset:476 ; 4-byte Folded Spill
	v_lshlrev_b32_e32 v0, 16, v2
	buffer_store_dword v0, off, s[0:3], s32 offset:480 ; 4-byte Folded Spill
	v_and_b32_e32 v0, 0xffff0000, v2
	buffer_store_dword v0, off, s[0:3], s32 offset:484 ; 4-byte Folded Spill
	v_lshlrev_b32_e32 v0, 16, v3
	buffer_store_dword v0, off, s[0:3], s32 offset:488 ; 4-byte Folded Spill
	v_and_b32_e32 v0, 0xffff0000, v3
	buffer_store_dword v0, off, s[0:3], s32 offset:492 ; 4-byte Folded Spill
	ds_read_b128 v[0:3], v19 offset:80
	s_waitcnt lgkmcnt(0)
	v_lshlrev_b32_e32 v4, 16, v0
	v_and_b32_e32 v0, 0xffff0000, v0
	buffer_store_dword v4, off, s[0:3], s32 offset:496 ; 4-byte Folded Spill
	;; [unrolled: 18-line block ×12, first 2 shown]
	buffer_store_dword v0, off, s[0:3], s32 offset:820 ; 4-byte Folded Spill
	v_lshlrev_b32_e32 v0, 16, v1
	buffer_store_dword v0, off, s[0:3], s32 offset:824 ; 4-byte Folded Spill
	v_and_b32_e32 v0, 0xffff0000, v1
	buffer_store_dword v0, off, s[0:3], s32 offset:828 ; 4-byte Folded Spill
	v_lshlrev_b32_e32 v0, 16, v2
	buffer_store_dword v0, off, s[0:3], s32 offset:832 ; 4-byte Folded Spill
	v_and_b32_e32 v0, 0xffff0000, v2
	;; [unrolled: 4-line block ×3, first 2 shown]
	buffer_store_dword v0, off, s[0:3], s32 offset:844 ; 4-byte Folded Spill
	s_clause 0x1
	buffer_load_dword v6, off, s[0:3], s32 offset:192
	buffer_load_dword v7, off, s[0:3], s32 offset:196
	s_waitcnt vmcnt(1)
	v_mov_b32_e32 v117, v6
	s_waitcnt vmcnt(0)
	v_lshlrev_b64 v[0:1], 2, v[6:7]
	v_mov_b32_e32 v7, 0xff7fffff
	v_add_co_u32 v0, vcc_lo, v34, v0
	buffer_store_dword v34, off, s[0:3], s32 offset:920 ; 4-byte Folded Spill
	buffer_store_dword v35, off, s[0:3], s32 offset:924 ; 4-byte Folded Spill
	buffer_load_dword v5, off, s[0:3], s32 offset:860 ; 4-byte Folded Reload
	buffer_store_dword v16, off, s[0:3], s32 offset:928 ; 4-byte Folded Spill
	buffer_store_dword v37, off, s[0:3], s32 offset:932 ; 4-byte Folded Spill
	v_add_co_ci_u32_e64 v1, null, v35, v1, vcc_lo
	v_add_co_u32 v2, vcc_lo, v8, v16
	s_waitcnt vmcnt(0)
	v_lshlrev_b32_e32 v4, 4, v5
	v_add_co_ci_u32_e64 v3, null, v9, v37, vcc_lo
	v_add_co_u32 v2, vcc_lo, v2, v4
	v_add_co_ci_u32_e64 v3, null, 0, v3, vcc_lo
	buffer_store_dword v2, off, s[0:3], s32 offset:848 ; 4-byte Folded Spill
	buffer_store_dword v3, off, s[0:3], s32 offset:852 ; 4-byte Folded Spill
	;; [unrolled: 1-line block ×3, first 2 shown]
	v_add_co_u32 v2, vcc_lo, v14, v0
	v_add_co_ci_u32_e64 v3, null, v15, v1, vcc_lo
	s_clause 0x1
	buffer_load_dword v0, off, s[0:3], s32 offset:316
	buffer_load_dword v1, off, s[0:3], s32 offset:864
	s_load_dword s5, s[8:9], 0x0
	s_mov_b32 s8, -1
	s_mov_b32 s9, 0xffffff
	buffer_store_dword v15, off, s[0:3], s32 offset:876 ; 4-byte Folded Spill
	buffer_store_dword v29, off, s[0:3], s32 offset:936 ; 4-byte Folded Spill
	s_waitcnt vmcnt(1)
	v_cmp_neq_f32_e32 vcc_lo, 0, v0
	s_waitcnt vmcnt(0)
	v_lshlrev_b32_e32 v0, 5, v1
	v_add3_u32 v118, s20, v0, v5
	v_lshl_or_b32 v0, v1, 7, v29
	s_waitcnt lgkmcnt(0)
	v_add_nc_u32_e32 v36, s5, v0
	s_branch .LBB395_11
.LBB395_7:                              ;   in Loop: Header=BB395_11 Depth=1
	s_or_b32 exec_lo, exec_lo, s24
	v_mov_b32_e32 v18, 24
	v_lshl_add_u32 v28, v28, 23, 0x3c000000
	v_lshlrev_b32_sdwa v18, v18, v29 dst_sel:DWORD dst_unused:UNUSED_PAD src0_sel:DWORD src1_sel:BYTE_3
	v_lshlrev_b32_e32 v29, 20, v30
	v_and_b32_e32 v18, 0x80000000, v18
	v_or3_b32 v46, v29, v18, v28
.LBB395_8:                              ;   in Loop: Header=BB395_11 Depth=1
	s_or_b32 exec_lo, exec_lo, s23
.LBB395_9:                              ;   in Loop: Header=BB395_11 Depth=1
	s_or_b32 exec_lo, exec_lo, s22
	v_mov_b32_e32 v118, v98
	v_mov_b32_e32 v36, v99
	;; [unrolled: 1-line block ×3, first 2 shown]
.LBB395_10:                             ;   in Loop: Header=BB395_11 Depth=1
	s_or_b32 exec_lo, exec_lo, s6
	v_mul_f32_e32 v18, v102, v56
	v_mul_f32_e32 v17, v102, v17
	;; [unrolled: 1-line block ×5, first 2 shown]
	v_bfe_u32 v28, v18, 16, 1
	v_or_b32_e32 v29, 0x400000, v18
	v_cmp_u_f32_e64 s5, v18, v18
	v_mul_f32_e32 v48, v102, v48
	v_mul_f32_e32 v84, v102, v84
	v_add3_u32 v28, v28, v18, 0x7fff
	v_mul_f32_e32 v83, v102, v83
	v_mul_f32_e32 v82, v102, v82
	v_mul_f32_e32 v9, v102, v9
	v_mul_f32_e32 v13, v102, v13
	v_cndmask_b32_e64 v18, v28, v29, s5
	v_mul_f32_e32 v28, v102, v43
	v_mul_f32_e32 v80, v102, v80
	v_mul_f32_e32 v70, v102, v70
	v_mul_f32_e32 v69, v102, v69
	buffer_store_dword v18, off, s[0:3], s32 offset:276 ; 4-byte Folded Spill
	v_bfe_u32 v29, v28, 16, 1
	v_or_b32_e32 v30, 0x400000, v28
	v_cmp_u_f32_e64 s5, v28, v28
	v_mul_f32_e32 v68, v102, v68
	v_mul_f32_e32 v67, v102, v67
	v_add3_u32 v29, v29, v28, 0x7fff
	v_mul_f32_e32 v65, v102, v65
	v_mul_f32_e32 v55, v102, v55
	v_mul_f32_e32 v53, v102, v53
	v_mul_f32_e32 v52, v102, v52
	v_cndmask_b32_e64 v18, v29, v30, s5
	v_mul_f32_e32 v29, v102, v42
	v_mul_f32_e32 v51, v102, v51
	v_mul_f32_e32 v50, v102, v50
	v_mul_f32_e32 v0, v102, v0
	buffer_store_dword v18, off, s[0:3], s32 offset:280 ; 4-byte Folded Spill
	v_bfe_u32 v30, v29, 16, 1
	v_or_b32_e32 v31, 0x400000, v29
	v_cmp_u_f32_e64 s5, v29, v29
	v_mul_f32_e32 v49, v102, v49
	v_mul_f32_e32 v27, v102, v27
	v_add3_u32 v30, v30, v29, 0x7fff
	v_mul_f32_e32 v26, v102, v26
	v_mul_f32_e32 v38, v102, v38
	v_mul_f32_e32 v34, v102, v34
	v_mul_f32_e32 v23, v102, v23
	v_cndmask_b32_e64 v18, v30, v31, s5
	v_mul_f32_e32 v30, v102, v119
	v_mul_f32_e32 v22, v102, v22
	v_mul_f32_e32 v1, v102, v1
	v_mul_f32_e32 v14, v102, v14
	buffer_store_dword v18, off, s[0:3], s32 offset:284 ; 4-byte Folded Spill
	v_bfe_u32 v31, v30, 16, 1
	v_or_b32_e32 v87, 0x400000, v30
	v_cmp_u_f32_e64 s5, v30, v30
	v_mul_f32_e32 v2, v102, v2
	v_mul_f32_e32 v7, v102, v7
	v_add3_u32 v31, v31, v30, 0x7fff
	v_mul_f32_e32 v6, v102, v6
	v_mul_f32_e32 v10, v102, v10
	v_mul_f32_e32 v11, v102, v11
	v_mul_f32_e32 v3, v102, v3
	v_cndmask_b32_e64 v18, v31, v87, s5
	v_mul_f32_e32 v31, v102, v101
	v_mul_f32_e32 v39, v102, v39
	v_mul_f32_e32 v4, v102, v4
	v_mul_f32_e32 v5, v102, v5
	buffer_store_dword v18, off, s[0:3], s32 offset:288 ; 4-byte Folded Spill
	v_bfe_u32 v87, v31, 16, 1
	v_or_b32_e32 v97, 0x400000, v31
	v_cmp_u_f32_e64 s5, v31, v31
	v_mul_f32_e32 v35, v102, v35
	v_mul_f32_e32 v12, v102, v12
	v_add3_u32 v87, v87, v31, 0x7fff
	v_mul_f32_e32 v31, v102, v96
	v_add_nc_u32_e32 v117, 4, v117
	v_cndmask_b32_e64 v18, v87, v97, s5
	v_bfe_u32 v87, v31, 16, 1
	v_or_b32_e32 v97, 0x400000, v31
	v_cmp_u_f32_e64 s5, v31, v31
	buffer_store_dword v18, off, s[0:3], s32 offset:296 ; 4-byte Folded Spill
	v_add3_u32 v87, v87, v31, 0x7fff
	v_mul_f32_e32 v31, v102, v47
	v_cndmask_b32_e64 v119, v87, v97, s5
	v_bfe_u32 v87, v31, 16, 1
	v_or_b32_e32 v97, 0x400000, v31
	v_cmp_u_f32_e64 s5, v31, v31
	v_add3_u32 v87, v87, v31, 0x7fff
	v_cndmask_b32_e64 v18, v87, v97, s5
	v_mul_f32_e32 v87, v102, v57
	buffer_store_dword v18, off, s[0:3], s32 offset:292 ; 4-byte Folded Spill
	v_bfe_u32 v97, v87, 16, 1
	v_or_b32_e32 v99, 0x400000, v87
	v_cmp_u_f32_e64 s5, v87, v87
	v_add3_u32 v97, v97, v87, 0x7fff
	v_mul_f32_e32 v87, v102, v86
	v_cndmask_b32_e64 v18, v97, v99, s5
	v_bfe_u32 v97, v87, 16, 1
	v_or_b32_e32 v99, 0x400000, v87
	v_cmp_u_f32_e64 s5, v87, v87
	buffer_store_dword v18, off, s[0:3], s32 offset:300 ; 4-byte Folded Spill
	v_add3_u32 v97, v97, v87, 0x7fff
	v_bfe_u32 v87, v17, 16, 1
	v_cndmask_b32_e64 v31, v97, v99, s5
	v_add3_u32 v87, v87, v17, 0x7fff
	v_or_b32_e32 v97, 0x400000, v17
	v_cmp_u_f32_e64 s5, v17, v17
	v_cndmask_b32_e64 v30, v87, v97, s5
	v_bfe_u32 v87, v16, 16, 1
	v_or_b32_e32 v97, 0x400000, v16
	v_cmp_u_f32_e64 s5, v16, v16
	v_add3_u32 v87, v87, v16, 0x7fff
	v_cndmask_b32_e64 v29, v87, v97, s5
	v_mul_f32_e32 v87, v102, v20
	v_bfe_u32 v97, v87, 16, 1
	v_or_b32_e32 v99, 0x400000, v87
	v_cmp_u_f32_e64 s5, v87, v87
	v_add3_u32 v97, v97, v87, 0x7fff
	v_bfe_u32 v87, v24, 16, 1
	v_cndmask_b32_e64 v28, v97, v99, s5
	v_add3_u32 v87, v87, v24, 0x7fff
	v_or_b32_e32 v97, 0x400000, v24
	v_cmp_u_f32_e64 s5, v24, v24
	v_mul_f32_e32 v24, v102, v25
	v_cndmask_b32_e64 v42, v87, v97, s5
	v_bfe_u32 v25, v24, 16, 1
	v_or_b32_e32 v87, 0x400000, v24
	v_cmp_u_f32_e64 s5, v24, v24
	v_add3_u32 v25, v25, v24, 0x7fff
	v_mul_f32_e32 v24, v102, v85
	v_cndmask_b32_e64 v43, v25, v87, s5
	v_bfe_u32 v25, v24, 16, 1
	v_or_b32_e32 v87, 0x400000, v24
	v_cmp_u_f32_e64 s5, v24, v24
	v_add3_u32 v25, v25, v24, 0x7fff
	v_cndmask_b32_e64 v24, v25, v87, s5
	v_mul_f32_e32 v25, v102, v116
	v_bfe_u32 v87, v25, 16, 1
	v_or_b32_e32 v97, 0x400000, v25
	v_cmp_u_f32_e64 s5, v25, v25
	v_add3_u32 v87, v87, v25, 0x7fff
	v_cndmask_b32_e64 v25, v87, v97, s5
	v_mul_f32_e32 v87, v102, v21
	v_bfe_u32 v97, v87, 16, 1
	v_or_b32_e32 v99, 0x400000, v87
	v_cmp_u_f32_e64 s5, v87, v87
	v_add3_u32 v97, v97, v87, 0x7fff
	v_bfe_u32 v87, v8, 16, 1
	v_cndmask_b32_e64 v18, v97, v99, s5
	v_add3_u32 v87, v87, v8, 0x7fff
	v_or_b32_e32 v97, 0x400000, v8
	v_cmp_u_f32_e64 s5, v8, v8
	v_cndmask_b32_e64 v17, v87, v97, s5
	v_bfe_u32 v87, v48, 16, 1
	v_or_b32_e32 v97, 0x400000, v48
	v_cmp_u_f32_e64 s5, v48, v48
	v_add3_u32 v87, v87, v48, 0x7fff
	v_cndmask_b32_e64 v48, v87, v97, s5
	v_bfe_u32 v87, v84, 16, 1
	v_or_b32_e32 v97, 0x400000, v84
	v_cmp_u_f32_e64 s5, v84, v84
	v_add3_u32 v87, v87, v84, 0x7fff
	;; [unrolled: 5-line block ×12, first 2 shown]
	v_mul_f32_e32 v65, v102, v71
	v_cndmask_b32_e64 v9, v87, v97, s5
	v_bfe_u32 v71, v65, 16, 1
	v_or_b32_e32 v87, 0x400000, v65
	v_cmp_u_f32_e64 s5, v65, v65
	v_add3_u32 v71, v71, v65, 0x7fff
	v_cndmask_b32_e64 v65, v71, v87, s5
	v_mul_f32_e32 v71, v102, v81
	v_bfe_u32 v81, v71, 16, 1
	v_or_b32_e32 v87, 0x400000, v71
	v_cmp_u_f32_e64 s5, v71, v71
	v_add3_u32 v81, v81, v71, 0x7fff
	v_cndmask_b32_e64 v71, v81, v87, s5
	v_bfe_u32 v81, v55, 16, 1
	v_or_b32_e32 v87, 0x400000, v55
	v_cmp_u_f32_e64 s5, v55, v55
	v_add3_u32 v81, v81, v55, 0x7fff
	v_cndmask_b32_e64 v55, v81, v87, s5
	v_bfe_u32 v81, v53, 16, 1
	v_or_b32_e32 v87, 0x400000, v53
	v_cmp_u_f32_e64 s5, v53, v53
	v_add3_u32 v81, v81, v53, 0x7fff
	v_cndmask_b32_e64 v53, v81, v87, s5
	v_bfe_u32 v81, v52, 16, 1
	v_or_b32_e32 v87, 0x400000, v52
	v_cmp_u_f32_e64 s5, v52, v52
	v_add3_u32 v81, v81, v52, 0x7fff
	v_cndmask_b32_e64 v52, v81, v87, s5
	v_bfe_u32 v81, v51, 16, 1
	v_or_b32_e32 v87, 0x400000, v51
	v_cmp_u_f32_e64 s5, v51, v51
	v_add3_u32 v81, v81, v51, 0x7fff
	v_cndmask_b32_e64 v51, v81, v87, s5
	v_bfe_u32 v81, v50, 16, 1
	v_or_b32_e32 v87, 0x400000, v50
	v_cmp_u_f32_e64 s5, v50, v50
	v_add3_u32 v81, v81, v50, 0x7fff
	v_cndmask_b32_e64 v50, v81, v87, s5
	v_bfe_u32 v81, v0, 16, 1
	v_or_b32_e32 v87, 0x400000, v0
	v_cmp_u_f32_e64 s5, v0, v0
	v_add3_u32 v81, v81, v0, 0x7fff
	v_mul_f32_e32 v0, v102, v54
	v_cndmask_b32_e64 v81, v81, v87, s5
	v_bfe_u32 v54, v0, 16, 1
	v_or_b32_e32 v87, 0x400000, v0
	v_cmp_u_f32_e64 s5, v0, v0
	v_add3_u32 v54, v54, v0, 0x7fff
	buffer_load_dword v0, off, s[0:3], s32 offset:252 ; 4-byte Folded Reload
	v_cndmask_b32_e64 v8, v54, v87, s5
	v_mul_f32_e32 v54, v102, v64
	v_bfe_u32 v64, v54, 16, 1
	v_or_b32_e32 v87, 0x400000, v54
	v_cmp_u_f32_e64 s5, v54, v54
	v_add3_u32 v64, v64, v54, 0x7fff
	v_cndmask_b32_e64 v54, v64, v87, s5
	v_bfe_u32 v64, v49, 16, 1
	v_or_b32_e32 v87, 0x400000, v49
	v_cmp_u_f32_e64 s5, v49, v49
	v_add3_u32 v64, v64, v49, 0x7fff
	v_cndmask_b32_e64 v49, v64, v87, s5
	;; [unrolled: 5-line block ×14, first 2 shown]
	v_bfe_u32 v64, v11, 16, 1
	v_or_b32_e32 v87, 0x400000, v11
	v_cmp_u_f32_e64 s5, v11, v11
	v_add3_u32 v64, v64, v11, 0x7fff
	v_bfe_u32 v11, v3, 16, 1
	v_cndmask_b32_e64 v64, v64, v87, s5
	v_add3_u32 v11, v11, v3, 0x7fff
	v_or_b32_e32 v87, 0x400000, v3
	v_cmp_u_f32_e64 s5, v3, v3
	v_cndmask_b32_e64 v3, v11, v87, s5
	v_mul_f32_e32 v11, v102, v15
	v_bfe_u32 v15, v11, 16, 1
	v_or_b32_e32 v87, 0x400000, v11
	v_cmp_u_f32_e64 s5, v11, v11
	v_add3_u32 v15, v15, v11, 0x7fff
	v_cndmask_b32_e64 v11, v15, v87, s5
	v_mul_f32_e32 v15, v102, v66
	v_bfe_u32 v66, v15, 16, 1
	v_or_b32_e32 v87, 0x400000, v15
	v_cmp_u_f32_e64 s5, v15, v15
	v_add3_u32 v66, v66, v15, 0x7fff
	v_cndmask_b32_e64 v15, v66, v87, s5
	v_bfe_u32 v66, v39, 16, 1
	v_or_b32_e32 v87, 0x400000, v39
	v_cmp_u_f32_e64 s5, v39, v39
	v_add3_u32 v66, v66, v39, 0x7fff
	v_cndmask_b32_e64 v39, v66, v87, s5
	;; [unrolled: 5-line block ×4, first 2 shown]
	v_bfe_u32 v66, v35, 16, 1
	v_or_b32_e32 v87, 0x400000, v35
	v_cmp_u_f32_e64 s5, v35, v35
	v_add3_u32 v66, v66, v35, 0x7fff
	v_mul_f32_e32 v35, v102, v127
	v_cndmask_b32_e64 v66, v66, v87, s5
	v_bfe_u32 v87, v35, 16, 1
	v_or_b32_e32 v97, 0x400000, v35
	v_cmp_u_f32_e64 s5, v35, v35
	v_add3_u32 v87, v87, v35, 0x7fff
	v_mul_f32_e32 v35, v102, v37
	v_cndmask_b32_e64 v116, v87, v97, s5
	v_bfe_u32 v37, v35, 16, 1
	v_or_b32_e32 v87, 0x400000, v35
	v_cmp_u_f32_e64 s5, v35, v35
	v_add3_u32 v37, v37, v35, 0x7fff
	v_cndmask_b32_e64 v35, v37, v87, s5
	v_bfe_u32 v37, v12, 16, 1
	v_or_b32_e32 v87, 0x400000, v12
	v_cmp_u_f32_e64 s5, v12, v12
	v_add3_u32 v37, v37, v12, 0x7fff
	v_cndmask_b32_e64 v12, v37, v87, s5
	v_mul_f32_e32 v37, v102, v125
	v_bfe_u32 v87, v37, 16, 1
	v_or_b32_e32 v97, 0x400000, v37
	v_cmp_u_f32_e64 s5, v37, v37
	v_add3_u32 v87, v87, v37, 0x7fff
	v_cndmask_b32_e64 v37, v87, v97, s5
	v_mul_f32_e32 v87, v102, v123
	v_bfe_u32 v97, v87, 16, 1
	v_or_b32_e32 v99, 0x400000, v87
	v_cmp_u_f32_e64 s5, v87, v87
	v_add3_u32 v97, v97, v87, 0x7fff
	v_mul_f32_e32 v87, v102, v122
	v_cndmask_b32_e64 v47, v97, v99, s5
	v_bfe_u32 v97, v87, 16, 1
	v_or_b32_e32 v99, 0x400000, v87
	v_cmp_u_f32_e64 s5, v87, v87
	v_add3_u32 v97, v97, v87, 0x7fff
	v_mul_f32_e32 v87, v102, v121
	v_cndmask_b32_e64 v56, v97, v99, s5
	;; [unrolled: 6-line block ×33, first 2 shown]
	v_bfe_u32 v97, v87, 16, 1
	v_or_b32_e32 v99, 0x400000, v87
	v_cmp_u_f32_e64 s5, v87, v87
	v_add3_u32 v97, v97, v87, 0x7fff
	s_waitcnt vmcnt(0)
	v_mul_f32_e32 v87, v102, v0
	buffer_load_dword v0, off, s[0:3], s32 offset:248 ; 4-byte Folded Reload
	v_cndmask_b32_e64 v127, v97, v99, s5
	v_bfe_u32 v97, v87, 16, 1
	v_or_b32_e32 v99, 0x400000, v87
	v_cmp_u_f32_e64 s5, v87, v87
	v_add3_u32 v97, v97, v87, 0x7fff
	v_cndmask_b32_e64 v97, v97, v99, s5
	s_waitcnt vmcnt(0)
	v_mul_f32_e32 v87, v102, v0
	buffer_load_dword v0, off, s[0:3], s32 offset:244 ; 4-byte Folded Reload
	v_bfe_u32 v99, v87, 16, 1
	v_or_b32_e32 v100, 0x400000, v87
	v_cmp_u_f32_e64 s5, v87, v87
	v_add3_u32 v99, v99, v87, 0x7fff
	v_cndmask_b32_e64 v100, v99, v100, s5
	s_waitcnt vmcnt(0)
	v_mul_f32_e32 v87, v102, v0
	buffer_load_dword v0, off, s[0:3], s32 offset:236 ; 4-byte Folded Reload
	v_bfe_u32 v99, v87, 16, 1
	v_or_b32_e32 v101, 0x400000, v87
	v_cmp_u_f32_e64 s5, v87, v87
	v_add3_u32 v99, v99, v87, 0x7fff
	v_mul_f32_e32 v87, v102, v60
	v_cndmask_b32_e64 v101, v99, v101, s5
	v_bfe_u32 v99, v87, 16, 1
	v_or_b32_e32 v58, 0x400000, v87
	v_cmp_u_f32_e64 s5, v87, v87
	v_add3_u32 v99, v99, v87, 0x7fff
	v_mul_f32_e32 v87, v102, v62
	v_cndmask_b32_e64 v99, v99, v58, s5
	v_bfe_u32 v58, v87, 16, 1
	v_or_b32_e32 v59, 0x400000, v87
	v_cmp_u_f32_e64 s5, v87, v87
	v_add3_u32 v58, v58, v87, 0x7fff
	v_cndmask_b32_e64 v87, v58, v59, s5
	s_waitcnt vmcnt(0)
	v_mul_f32_e32 v58, v102, v0
	buffer_load_dword v0, off, s[0:3], s32 offset:228 ; 4-byte Folded Reload
	v_bfe_u32 v59, v58, 16, 1
	v_or_b32_e32 v60, 0x400000, v58
	v_cmp_u_f32_e64 s5, v58, v58
	v_add3_u32 v59, v59, v58, 0x7fff
	v_cndmask_b32_e64 v62, v59, v60, s5
	s_waitcnt vmcnt(0)
	v_mul_f32_e32 v58, v102, v0
	buffer_load_dword v0, off, s[0:3], s32 offset:224 ; 4-byte Folded Reload
	v_bfe_u32 v59, v58, 16, 1
	v_or_b32_e32 v60, 0x400000, v58
	v_cmp_u_f32_e64 s5, v58, v58
	v_add3_u32 v59, v59, v58, 0x7fff
	v_cndmask_b32_e64 v61, v59, v60, s5
	s_waitcnt vmcnt(0)
	v_mul_f32_e32 v58, v102, v0
	buffer_load_dword v0, off, s[0:3], s32 offset:220 ; 4-byte Folded Reload
	v_bfe_u32 v59, v58, 16, 1
	v_or_b32_e32 v60, 0x400000, v58
	v_cmp_u_f32_e64 s5, v58, v58
	v_add3_u32 v59, v59, v58, 0x7fff
	v_cndmask_b32_e64 v60, v59, v60, s5
	s_waitcnt vmcnt(0)
	v_mul_f32_e32 v58, v102, v0
	buffer_load_dword v0, off, s[0:3], s32 offset:216 ; 4-byte Folded Reload
	v_bfe_u32 v59, v58, 16, 1
	v_or_b32_e32 v63, 0x400000, v58
	v_cmp_u_f32_e64 s5, v58, v58
	v_add3_u32 v59, v59, v58, 0x7fff
	v_cndmask_b32_e64 v59, v59, v63, s5
	s_waitcnt vmcnt(0)
	v_mul_f32_e32 v58, v102, v0
	buffer_load_dword v0, off, s[0:3], s32 offset:212 ; 4-byte Folded Reload
	v_bfe_u32 v63, v58, 16, 1
	v_or_b32_e32 v72, 0x400000, v58
	v_cmp_u_f32_e64 s5, v58, v58
	v_add3_u32 v63, v63, v58, 0x7fff
	v_cndmask_b32_e64 v63, v63, v72, s5
	s_waitcnt vmcnt(0)
	v_mul_f32_e32 v58, v102, v0
	buffer_load_dword v0, off, s[0:3], s32 offset:232 ; 4-byte Folded Reload
	v_bfe_u32 v72, v58, 16, 1
	v_or_b32_e32 v85, 0x400000, v58
	v_cmp_u_f32_e64 s5, v58, v58
	v_add3_u32 v72, v72, v58, 0x7fff
	v_cndmask_b32_e64 v85, v72, v85, s5
	v_and_b32_e32 v85, 0xffff0000, v85
	s_waitcnt vmcnt(0)
	v_mul_f32_e32 v58, v102, v0
	buffer_load_dword v0, off, s[0:3], s32 offset:240 ; 4-byte Folded Reload
	v_bfe_u32 v72, v58, 16, 1
	v_or_b32_e32 v86, 0x400000, v58
	v_cmp_u_f32_e64 s5, v58, v58
	v_add3_u32 v72, v72, v58, 0x7fff
	v_cndmask_b32_e64 v86, v72, v86, s5
	s_waitcnt vmcnt(0)
	v_mul_f32_e32 v58, v102, v0
	buffer_load_dword v0, off, s[0:3], s32 offset:204 ; 4-byte Folded Reload
	v_bfe_u32 v72, v58, 16, 1
	v_or_b32_e32 v20, 0x400000, v58
	v_cmp_u_f32_e64 s5, v58, v58
	v_add3_u32 v72, v72, v58, 0x7fff
	v_cndmask_b32_e64 v20, v72, v20, s5
	;; [unrolled: 8-line block ×3, first 2 shown]
	v_and_b32_e32 v21, 0xffff0000, v21
	s_waitcnt vmcnt(0)
	v_mul_f32_e32 v58, v102, v0
	buffer_load_dword v0, off, s[0:3], s32 offset:200 ; 4-byte Folded Reload
	v_bfe_u32 v72, v58, 16, 1
	v_or_b32_e32 v98, 0x400000, v58
	v_cmp_u_f32_e64 s5, v58, v58
	v_add3_u32 v72, v72, v58, 0x7fff
	v_mul_f32_e32 v58, v102, v113
	v_cndmask_b32_e64 v98, v72, v98, s5
	v_bfe_u32 v72, v58, 16, 1
	v_or_b32_e32 v113, 0x400000, v58
	v_cmp_u_f32_e64 s5, v58, v58
	v_and_b32_e32 v98, 0xffff0000, v98
	v_add3_u32 v72, v72, v58, 0x7fff
	v_cndmask_b32_e64 v72, v72, v113, s5
	v_mul_f32_e32 v113, v102, v112
	v_bfe_u32 v58, v113, 16, 1
	v_or_b32_e32 v112, 0x400000, v113
	v_cmp_u_f32_e64 s5, v113, v113
	v_add3_u32 v58, v58, v113, 0x7fff
	v_mul_f32_e32 v113, v102, v103
	v_cndmask_b32_e64 v112, v58, v112, s5
	v_bfe_u32 v58, v113, 16, 1
	v_or_b32_e32 v103, 0x400000, v113
	v_cmp_u_f32_e64 s5, v113, v113
	v_add3_u32 v58, v58, v113, 0x7fff
	v_mul_f32_e32 v113, v102, v114
	v_cndmask_b32_e64 v103, v58, v103, s5
	v_bfe_u32 v58, v113, 16, 1
	v_or_b32_e32 v32, 0x400000, v113
	v_cmp_u_f32_e64 s5, v113, v113
	v_and_b32_e32 v103, 0xffff0000, v103
	v_add3_u32 v58, v58, v113, 0x7fff
	v_cndmask_b32_e64 v114, v58, v32, s5
	v_and_b32_e32 v114, 0xffff0000, v114
	s_waitcnt vmcnt(0)
	v_mul_f32_e32 v32, v102, v0
	v_bfe_u32 v113, v32, 16, 1
	v_or_b32_e32 v58, 0x400000, v32
	v_cmp_u_f32_e64 s5, v32, v32
	v_add3_u32 v113, v113, v32, 0x7fff
	buffer_load_dword v32, off, s[0:3], s32 offset:208 ; 4-byte Folded Reload
	v_cndmask_b32_e64 v0, v113, v58, s5
	v_and_b32_e32 v0, 0xffff0000, v0
	s_waitcnt vmcnt(0)
	v_mul_f32_e32 v32, v102, v32
	v_bfe_u32 v113, v32, 16, 1
	v_or_b32_e32 v58, 0x400000, v32
	v_cmp_u_f32_e64 s5, v32, v32
	v_add3_u32 v113, v113, v32, 0x7fff
	v_mul_f32_e32 v32, v102, v45
	v_cndmask_b32_e64 v96, v113, v58, s5
	v_bfe_u32 v113, v32, 16, 1
	v_or_b32_e32 v45, 0x400000, v32
	v_cmp_u_f32_e64 s5, v32, v32
	v_add3_u32 v113, v113, v32, 0x7fff
	v_mul_f32_e32 v32, v102, v40
	v_cndmask_b32_e64 v45, v113, v45, s5
	;; [unrolled: 6-line block ×4, first 2 shown]
	v_bfe_u32 v33, v32, 16, 1
	v_or_b32_e32 v113, 0x400000, v32
	v_cmp_u_f32_e64 s5, v32, v32
	v_add3_u32 v33, v33, v32, 0x7fff
	buffer_load_dword v32, off, s[0:3], s32 offset:272 ; 4-byte Folded Reload
	v_cndmask_b32_e64 v33, v33, v113, s5
	s_waitcnt vmcnt(0)
	v_mul_f32_e32 v32, v102, v32
	v_bfe_u32 v113, v32, 16, 1
	v_or_b32_e32 v58, 0x400000, v32
	v_cmp_u_f32_e64 s5, v32, v32
	v_add3_u32 v113, v113, v32, 0x7fff
	v_mul_f32_e32 v32, v102, v115
	v_cndmask_b32_e64 v58, v113, v58, s5
	v_bfe_u32 v113, v32, 16, 1
	v_or_b32_e32 v115, 0x400000, v32
	v_cmp_u_f32_e64 s5, v32, v32
	v_add3_u32 v113, v113, v32, 0x7fff
	v_mul_f32_e32 v32, v102, v44
	v_mul_f32_e32 v102, v102, v46
	v_cndmask_b32_e64 v113, v113, v115, s5
	v_bfe_u32 v115, v32, 16, 1
	v_or_b32_e32 v44, 0x400000, v32
	v_cmp_u_f32_e64 s5, v32, v32
	v_add3_u32 v115, v115, v32, 0x7fff
	v_cndmask_b32_e64 v32, v115, v44, s5
	v_bfe_u32 v115, v102, 16, 1
	v_or_b32_e32 v44, 0x400000, v102
	v_cmp_u_f32_e64 s5, v102, v102
	v_add3_u32 v115, v115, v102, 0x7fff
	v_cndmask_b32_e64 v102, v115, v44, s5
	buffer_load_dword v115, off, s[0:3], s32 offset:356 ; 4-byte Folded Reload
	s_waitcnt vmcnt(0)
	v_mul_f32_e32 v44, v115, v85
	buffer_load_dword v85, off, s[0:3], s32 offset:324 ; 4-byte Folded Reload
	s_waitcnt vmcnt(0)
	v_fmac_f32_e32 v44, v85, v114
	buffer_load_dword v114, off, s[0:3], s32 offset:360 ; 4-byte Folded Reload
	v_and_b32_e32 v85, 0xffff0000, v63
	s_waitcnt vmcnt(0)
	v_mul_f32_e32 v46, v114, v85
	buffer_load_dword v85, off, s[0:3], s32 offset:328 ; 4-byte Folded Reload
	s_waitcnt vmcnt(0)
	v_fmac_f32_e32 v46, v85, v103
	v_and_b32_e32 v103, 0xffff0000, v112
	buffer_load_dword v112, off, s[0:3], s32 offset:364 ; 4-byte Folded Reload
	v_and_b32_e32 v85, 0xffff0000, v59
	s_waitcnt vmcnt(0)
	v_mul_f32_e32 v59, v112, v85
	s_clause 0x1
	buffer_load_dword v85, off, s[0:3], s32 offset:332
	buffer_load_dword v112, off, s[0:3], s32 offset:368
	s_waitcnt vmcnt(1)
	v_fmac_f32_e32 v59, v85, v103
	v_and_b32_e32 v85, 0xffff0000, v60
	v_and_b32_e32 v103, 0xffff0000, v72
	s_waitcnt vmcnt(0)
	v_mul_f32_e32 v60, v112, v85
	buffer_load_dword v85, off, s[0:3], s32 offset:336 ; 4-byte Folded Reload
	s_waitcnt vmcnt(0)
	v_fmac_f32_e32 v60, v85, v103
	buffer_load_dword v103, off, s[0:3], s32 offset:372 ; 4-byte Folded Reload
	v_and_b32_e32 v85, 0xffff0000, v61
	s_waitcnt vmcnt(0)
	v_mul_f32_e32 v61, v103, v85
	buffer_load_dword v85, off, s[0:3], s32 offset:340 ; 4-byte Folded Reload
	s_waitcnt vmcnt(0)
	v_fmac_f32_e32 v61, v85, v98
	buffer_load_dword v98, off, s[0:3], s32 offset:376 ; 4-byte Folded Reload
	;; [unrolled: 7-line block ×4, first 2 shown]
	v_and_b32_e32 v0, 0xffff0000, v20
	v_and_b32_e32 v20, 0xffff0000, v96
	s_waitcnt vmcnt(0)
	v_mul_f32_e32 v72, v21, v0
	buffer_load_dword v0, off, s[0:3], s32 offset:352 ; 4-byte Folded Reload
	s_waitcnt vmcnt(0)
	v_fmac_f32_e32 v72, v0, v20
	buffer_load_dword v20, off, s[0:3], s32 offset:388 ; 4-byte Folded Reload
	v_and_b32_e32 v0, 0xffff0000, v101
	s_waitcnt vmcnt(0)
	v_fmac_f32_e32 v44, v20, v0
	buffer_load_dword v20, off, s[0:3], s32 offset:400 ; 4-byte Folded Reload
	v_and_b32_e32 v0, 0xffff0000, v100
	;; [unrolled: 4-line block ×42, first 2 shown]
	s_waitcnt vmcnt(0)
	v_fmac_f32_e32 v46, v20, v0
	v_and_b32_e32 v0, 0xffff0000, v5
	buffer_load_dword v5, off, s[0:3], s32 offset:568 ; 4-byte Folded Reload
	s_waitcnt vmcnt(0)
	v_fmac_f32_e32 v59, v5, v0
	v_and_b32_e32 v0, 0xffff0000, v4
	buffer_load_dword v4, off, s[0:3], s32 offset:572 ; 4-byte Folded Reload
	s_waitcnt vmcnt(0)
	v_fmac_f32_e32 v60, v4, v0
	buffer_load_dword v4, off, s[0:3], s32 offset:576 ; 4-byte Folded Reload
	v_and_b32_e32 v0, 0xffff0000, v39
	s_waitcnt vmcnt(0)
	v_fmac_f32_e32 v61, v4, v0
	buffer_load_dword v4, off, s[0:3], s32 offset:580 ; 4-byte Folded Reload
	v_and_b32_e32 v0, 0xffff0000, v15
	;; [unrolled: 4-line block ×8, first 2 shown]
	s_waitcnt vmcnt(0)
	v_fmac_f32_e32 v60, v4, v0
	v_and_b32_e32 v0, 0xffff0000, v2
	buffer_load_dword v2, off, s[0:3], s32 offset:608 ; 4-byte Folded Reload
	s_waitcnt vmcnt(0)
	v_fmac_f32_e32 v61, v2, v0
	buffer_load_dword v2, off, s[0:3], s32 offset:612 ; 4-byte Folded Reload
	v_and_b32_e32 v0, 0xffff0000, v14
	s_waitcnt vmcnt(0)
	v_fmac_f32_e32 v62, v2, v0
	buffer_load_dword v2, off, s[0:3], s32 offset:616 ; 4-byte Folded Reload
	v_and_b32_e32 v0, 0xffff0000, v3
	s_clause 0x1
	buffer_load_dword v3, off, s[0:3], s32 offset:320
	buffer_load_dword v7, off, s[0:3], s32 offset:260
	s_waitcnt vmcnt(2)
	v_fmac_f32_e32 v63, v2, v0
	buffer_load_dword v2, off, s[0:3], s32 offset:620 ; 4-byte Folded Reload
	v_and_b32_e32 v0, 0xffff0000, v11
	s_waitcnt vmcnt(2)
	v_cmp_lt_i32_e64 s5, v118, v3
	s_waitcnt vmcnt(0)
	v_fmac_f32_e32 v72, v2, v0
	buffer_load_dword v2, off, s[0:3], s32 offset:624 ; 4-byte Folded Reload
	v_and_b32_e32 v0, 0xffff0000, v23
	s_waitcnt vmcnt(0)
	v_fmac_f32_e32 v44, v2, v0
	buffer_load_dword v2, off, s[0:3], s32 offset:628 ; 4-byte Folded Reload
	v_and_b32_e32 v0, 0xffff0000, v34
	;; [unrolled: 4-line block ×7, first 2 shown]
	s_waitcnt vmcnt(0)
	v_fmac_f32_e32 v63, v2, v0
	v_and_b32_e32 v0, 0xffff0000, v1
	s_clause 0x1
	buffer_load_dword v1, off, s[0:3], s32 offset:652
	buffer_load_dword v2, off, s[0:3], s32 offset:828
	s_waitcnt vmcnt(1)
	v_fmac_f32_e32 v72, v1, v0
	buffer_load_dword v1, off, s[0:3], s32 offset:656 ; 4-byte Folded Reload
	v_and_b32_e32 v0, 0xffff0000, v81
	s_waitcnt vmcnt(0)
	v_fmac_f32_e32 v44, v1, v0
	buffer_load_dword v1, off, s[0:3], s32 offset:660 ; 4-byte Folded Reload
	v_and_b32_e32 v0, 0xffff0000, v50
	;; [unrolled: 4-line block ×33, first 2 shown]
	s_waitcnt vmcnt(0)
	v_fmac_f32_e32 v44, v1, v0
	s_clause 0x1
	buffer_load_dword v0, off, s[0:3], s32 offset:296
	buffer_load_dword v1, off, s[0:3], s32 offset:788
	s_waitcnt vmcnt(1)
	v_and_b32_e32 v0, 0xffff0000, v0
	s_waitcnt vmcnt(0)
	v_fmac_f32_e32 v46, v1, v0
	s_clause 0x1
	buffer_load_dword v0, off, s[0:3], s32 offset:288
	buffer_load_dword v1, off, s[0:3], s32 offset:792
	s_waitcnt vmcnt(1)
	v_and_b32_e32 v0, 0xffff0000, v0
	;; [unrolled: 7-line block ×7, first 2 shown]
	s_waitcnt vmcnt(0)
	v_fmac_f32_e32 v72, v1, v0
	buffer_load_dword v1, off, s[0:3], s32 offset:816 ; 4-byte Folded Reload
	v_and_b32_e32 v0, 0xffff0000, v113
	s_waitcnt vmcnt(0)
	v_fmac_f32_e32 v44, v1, v0
	buffer_load_dword v1, off, s[0:3], s32 offset:820 ; 4-byte Folded Reload
	v_and_b32_e32 v0, 0xffff0000, v58
	;; [unrolled: 4-line block ×3, first 2 shown]
	s_waitcnt vmcnt(0)
	v_fmac_f32_e32 v59, v1, v0
	v_and_b32_e32 v1, 0xffff0000, v41
	v_add_f32_e32 v0, v44, v46
	v_fmac_f32_e32 v60, v2, v1
	buffer_load_dword v2, off, s[0:3], s32 offset:832 ; 4-byte Folded Reload
	v_and_b32_e32 v1, 0xffff0000, v40
	v_add_f32_e32 v0, v0, v59
	v_add_f32_e32 v0, v60, v0
	s_waitcnt vmcnt(0)
	v_fmac_f32_e32 v61, v2, v1
	buffer_load_dword v2, off, s[0:3], s32 offset:836 ; 4-byte Folded Reload
	v_and_b32_e32 v1, 0xffff0000, v45
	v_add_f32_e32 v0, v61, v0
	s_waitcnt vmcnt(0)
	v_fmac_f32_e32 v62, v2, v1
	buffer_load_dword v2, off, s[0:3], s32 offset:840 ; 4-byte Folded Reload
	v_and_b32_e32 v1, 0xffff0000, v32
	;; [unrolled: 5-line block ×3, first 2 shown]
	v_add_f32_e32 v0, v63, v0
	s_waitcnt vmcnt(0)
	v_fmac_f32_e32 v72, v2, v1
	buffer_load_dword v2, off, s[0:3], s32 offset:316 ; 4-byte Folded Reload
	v_sub_nc_u32_e32 v1, 1, v3
	v_add_f32_e32 v0, v72, v0
	v_add_nc_u32_e32 v1, v1, v118
	v_add_nc_u32_e32 v118, 0x80, v118
	v_cvt_f32_i32_e32 v1, v1
	s_waitcnt vmcnt(0)
	v_mul_f32_e32 v1, v2, v1
	buffer_load_dword v2, off, s[0:3], s32 offset:312 ; 4-byte Folded Reload
	v_cndmask_b32_e32 v1, 0, v1, vcc_lo
	s_waitcnt vmcnt(0)
	v_fmac_f32_e32 v1, v2, v0
	v_max_f32_e32 v0, v7, v7
	v_max_f32_e32 v0, v0, v1
	v_cndmask_b32_e64 v1, 0, v1, s5
	v_cndmask_b32_e64 v7, v7, v0, s5
	ds_write_b32 v36, v1
	s_clause 0x2
	buffer_load_dword v0, off, s[0:3], s32 offset:396
	buffer_load_dword v2, off, s[0:3], s32 offset:264
	buffer_load_dword v3, off, s[0:3], s32 offset:268
	v_add_nc_u32_e32 v36, 0x200, v36
	s_waitcnt vmcnt(2)
	v_cmp_ge_i32_e64 s5, v117, v0
	s_waitcnt vmcnt(1)
	v_add_co_u32 v2, s6, v2, 16
	s_waitcnt vmcnt(0)
	v_add_co_ci_u32_e64 v3, null, 0, v3, s6
	s_or_b32 s17, s5, s17
	s_andn2_b32 exec_lo, exec_lo, s17
	s_cbranch_execz .LBB395_1032
.LBB395_11:                             ; =>This Inner Loop Header: Depth=1
	buffer_store_dword v7, off, s[0:3], s32 offset:260 ; 4-byte Folded Spill
	buffer_store_dword v2, off, s[0:3], s32 offset:264 ; 4-byte Folded Spill
	;; [unrolled: 1-line block ×3, first 2 shown]
	v_mov_b32_e32 v100, v117
	v_mov_b32_e32 v99, v36
	;; [unrolled: 1-line block ×4, first 2 shown]
	flat_load_dword v0, v[2:3]
	s_clause 0x2
	buffer_load_dword v1, off, s[0:3], s32 offset:392
	buffer_load_dword v2, off, s[0:3], s32 offset:848
	;; [unrolled: 1-line block ×3, first 2 shown]
	s_waitcnt vmcnt(0) lgkmcnt(0)
	v_mad_i64_i32 v[28:29], null, v0, v1, v[2:3]
	flat_load_dwordx2 v[30:31], v[28:29]
	s_clause 0x1
	buffer_load_dword v0, off, s[0:3], s32 offset:304
	buffer_load_dword v1, off, s[0:3], s32 offset:308
	s_waitcnt vmcnt(2) lgkmcnt(0)
	v_cmp_ne_u16_sdwa s5, v30, v19 src0_sel:BYTE_0 src1_sel:DWORD
	s_waitcnt vmcnt(0)
	flat_load_dword v102, v[0:1]
	s_and_saveexec_b32 s6, s5
	s_cbranch_execz .LBB395_19
; %bb.12:                               ;   in Loop: Header=BB395_11 Depth=1
	v_mov_b32_e32 v0, 0x80
	v_bfrev_b32_e32 v114, 1
	v_cmp_ne_u16_sdwa s5, v30, v0 src0_sel:BYTE_0 src1_sel:DWORD
	s_and_saveexec_b32 s22, s5
	s_cbranch_execz .LBB395_18
; %bb.13:                               ;   in Loop: Header=BB395_11 Depth=1
	v_and_b32_e32 v1, 0x7f, v30
	v_mov_b32_e32 v114, 0x7f800001
	s_mov_b32 s23, exec_lo
	v_cmpx_ne_u32_e32 0x7f, v1
	s_cbranch_execz .LBB395_17
; %bb.14:                               ;   in Loop: Header=BB395_11 Depth=1
	v_mov_b32_e32 v33, v31
	v_lshrrev_b32_e32 v0, 3, v1
	v_mov_b32_e32 v32, v30
	s_mov_b32 s24, exec_lo
	v_cmpx_gt_u32_e32 8, v1
; %bb.15:                               ;   in Loop: Header=BB395_11 Depth=1
	v_and_b32_e32 v0, 7, v30
	v_ffbh_u32_e32 v0, v0
	v_min_u32_e32 v0, 32, v0
	v_subrev_nc_u32_e32 v1, 28, v0
	v_sub_nc_u32_e32 v0, 29, v0
	v_lshlrev_b64 v[32:33], v1, v[30:31]
; %bb.16:                               ;   in Loop: Header=BB395_11 Depth=1
	s_or_b32 exec_lo, exec_lo, s24
	v_lshlrev_b32_e32 v1, 20, v32
	v_lshlrev_b32_e32 v2, 24, v30
	v_lshl_add_u32 v0, v0, 23, 0x3c000000
	v_and_b32_e32 v1, 0x700000, v1
	v_and_b32_e32 v2, 0x80000000, v2
	v_or3_b32 v114, v1, v2, v0
.LBB395_17:                             ;   in Loop: Header=BB395_11 Depth=1
	s_or_b32 exec_lo, exec_lo, s23
.LBB395_18:                             ;   in Loop: Header=BB395_11 Depth=1
	s_or_b32 exec_lo, exec_lo, s22
.LBB395_19:                             ;   in Loop: Header=BB395_11 Depth=1
	s_or_b32 exec_lo, exec_lo, s6
	v_cmp_ne_u16_sdwa s5, v30, v19 src0_sel:BYTE_1 src1_sel:DWORD
	v_mov_b32_e32 v112, 0
	v_mov_b32_e32 v103, 0
	s_and_saveexec_b32 s6, s5
	s_cbranch_execz .LBB395_27
; %bb.20:                               ;   in Loop: Header=BB395_11 Depth=1
	v_mov_b32_e32 v0, 0x80
	v_bfrev_b32_e32 v103, 1
	v_cmp_ne_u16_sdwa s5, v30, v0 src0_sel:BYTE_1 src1_sel:DWORD
	s_and_saveexec_b32 s22, s5
	s_cbranch_execz .LBB395_26
; %bb.21:                               ;   in Loop: Header=BB395_11 Depth=1
	v_mov_b32_e32 v0, 0xffff
	v_mov_b32_e32 v103, 0x7f800001
	s_mov_b32 s23, exec_lo
	v_and_b32_sdwa v0, v0, v30 dst_sel:DWORD dst_unused:UNUSED_PAD src0_sel:DWORD src1_sel:BYTE_1
	v_and_b32_e32 v1, 0x7f, v0
	v_cmpx_ne_u32_e32 0x7f, v1
	s_cbranch_execz .LBB395_25
; %bb.22:                               ;   in Loop: Header=BB395_11 Depth=1
	v_and_b32_e32 v18, 7, v0
	v_mov_b32_e32 v33, v19
	v_lshrrev_b32_e32 v0, 3, v1
	s_mov_b32 s24, exec_lo
	v_mov_b32_e32 v32, v18
	v_cmpx_gt_u32_e32 8, v1
; %bb.23:                               ;   in Loop: Header=BB395_11 Depth=1
	v_ffbh_u32_e32 v0, v18
	v_min_u32_e32 v0, 32, v0
	v_subrev_nc_u32_e32 v1, 28, v0
	v_sub_nc_u32_e32 v0, 29, v0
	v_lshlrev_b64 v[1:2], v1, v[18:19]
	v_and_b32_e32 v32, 7, v1
; %bb.24:                               ;   in Loop: Header=BB395_11 Depth=1
	s_or_b32 exec_lo, exec_lo, s24
	v_lshlrev_b32_e32 v1, 16, v30
	v_lshlrev_b32_e32 v2, 20, v32
	v_lshl_add_u32 v0, v0, 23, 0x3c000000
	v_and_b32_e32 v1, 0x80000000, v1
	v_or3_b32 v103, v2, v1, v0
.LBB395_25:                             ;   in Loop: Header=BB395_11 Depth=1
	s_or_b32 exec_lo, exec_lo, s23
.LBB395_26:                             ;   in Loop: Header=BB395_11 Depth=1
	s_or_b32 exec_lo, exec_lo, s22
.LBB395_27:                             ;   in Loop: Header=BB395_11 Depth=1
	s_or_b32 exec_lo, exec_lo, s6
	v_mov_b32_e32 v0, 0xff
	s_mov_b32 s6, exec_lo
	v_and_b32_sdwa v0, v30, v0 dst_sel:DWORD dst_unused:UNUSED_PAD src0_sel:WORD_1 src1_sel:DWORD
	v_cmpx_ne_u16_e32 0, v0
	s_cbranch_execz .LBB395_35
; %bb.28:                               ;   in Loop: Header=BB395_11 Depth=1
	v_bfrev_b32_e32 v112, 1
	s_mov_b32 s22, exec_lo
	v_cmpx_ne_u16_e32 0x80, v0
	s_cbranch_execz .LBB395_34
; %bb.29:                               ;   in Loop: Header=BB395_11 Depth=1
	v_bfe_u32 v1, v30, 16, 7
	v_mov_b32_e32 v112, 0x7f800001
	s_mov_b32 s23, exec_lo
	v_cmpx_ne_u32_e32 0x7f, v1
	s_cbranch_execz .LBB395_33
; %bb.30:                               ;   in Loop: Header=BB395_11 Depth=1
	v_mov_b32_e32 v0, 7
	s_mov_b32 s24, exec_lo
	v_and_b32_sdwa v18, v30, v0 dst_sel:DWORD dst_unused:UNUSED_PAD src0_sel:WORD_1 src1_sel:DWORD
	v_mov_b32_e32 v33, v19
	v_lshrrev_b32_e32 v0, 3, v1
	v_mov_b32_e32 v32, v18
	v_cmpx_gt_u32_e32 8, v1
; %bb.31:                               ;   in Loop: Header=BB395_11 Depth=1
	v_ffbh_u32_e32 v0, v18
	v_min_u32_e32 v0, 32, v0
	v_subrev_nc_u32_e32 v1, 28, v0
	v_sub_nc_u32_e32 v0, 29, v0
	v_lshlrev_b64 v[1:2], v1, v[18:19]
	v_and_b32_e32 v32, 7, v1
; %bb.32:                               ;   in Loop: Header=BB395_11 Depth=1
	s_or_b32 exec_lo, exec_lo, s24
	v_mov_b32_e32 v1, 24
	v_lshlrev_b32_e32 v2, 20, v32
	v_lshl_add_u32 v0, v0, 23, 0x3c000000
	v_lshlrev_b32_sdwa v1, v1, v30 dst_sel:DWORD dst_unused:UNUSED_PAD src0_sel:DWORD src1_sel:WORD_1
	v_and_b32_e32 v1, 0x80000000, v1
	v_or3_b32 v112, v2, v1, v0
.LBB395_33:                             ;   in Loop: Header=BB395_11 Depth=1
	s_or_b32 exec_lo, exec_lo, s23
.LBB395_34:                             ;   in Loop: Header=BB395_11 Depth=1
	s_or_b32 exec_lo, exec_lo, s22
.LBB395_35:                             ;   in Loop: Header=BB395_11 Depth=1
	s_or_b32 exec_lo, exec_lo, s6
	v_mov_b32_e32 v0, 0
	v_mov_b32_e32 v113, 0
	s_mov_b32 s6, exec_lo
	buffer_store_dword v0, off, s[0:3], s32 offset:256 ; 4-byte Folded Spill
	v_cmpx_lt_u32_e32 0xffffff, v30
	s_cbranch_execz .LBB395_43
; %bb.36:                               ;   in Loop: Header=BB395_11 Depth=1
	v_mov_b32_e32 v0, 0x80
	v_bfrev_b32_e32 v113, 1
	v_cmp_ne_u32_sdwa s5, v30, v0 src0_sel:BYTE_3 src1_sel:DWORD
	s_and_saveexec_b32 s22, s5
	s_cbranch_execz .LBB395_42
; %bb.37:                               ;   in Loop: Header=BB395_11 Depth=1
	v_bfe_u32 v1, v30, 24, 7
	v_mov_b32_e32 v113, 0x7f800001
	s_mov_b32 s23, exec_lo
	v_cmpx_ne_u32_e32 0x7f, v1
	s_cbranch_execz .LBB395_41
; %bb.38:                               ;   in Loop: Header=BB395_11 Depth=1
	v_mov_b32_e32 v0, 7
	s_mov_b32 s24, exec_lo
	v_and_b32_sdwa v18, v30, v0 dst_sel:DWORD dst_unused:UNUSED_PAD src0_sel:BYTE_3 src1_sel:DWORD
	v_mov_b32_e32 v33, v19
	v_lshrrev_b32_e32 v0, 3, v1
	v_mov_b32_e32 v32, v18
	v_cmpx_gt_u32_e32 8, v1
; %bb.39:                               ;   in Loop: Header=BB395_11 Depth=1
	v_ffbh_u32_e32 v0, v18
	v_min_u32_e32 v0, 32, v0
	v_subrev_nc_u32_e32 v1, 28, v0
	v_sub_nc_u32_e32 v0, 29, v0
	v_lshlrev_b64 v[1:2], v1, v[18:19]
	v_and_b32_e32 v32, 7, v1
; %bb.40:                               ;   in Loop: Header=BB395_11 Depth=1
	s_or_b32 exec_lo, exec_lo, s24
	v_mov_b32_e32 v1, 24
	v_lshlrev_b32_e32 v2, 20, v32
	v_lshl_add_u32 v0, v0, 23, 0x3c000000
	v_lshlrev_b32_sdwa v1, v1, v30 dst_sel:DWORD dst_unused:UNUSED_PAD src0_sel:DWORD src1_sel:BYTE_3
	v_and_b32_e32 v1, 0x80000000, v1
	v_or3_b32 v113, v2, v1, v0
.LBB395_41:                             ;   in Loop: Header=BB395_11 Depth=1
	s_or_b32 exec_lo, exec_lo, s23
.LBB395_42:                             ;   in Loop: Header=BB395_11 Depth=1
	s_or_b32 exec_lo, exec_lo, s22
.LBB395_43:                             ;   in Loop: Header=BB395_11 Depth=1
	s_or_b32 exec_lo, exec_lo, s6
	v_mov_b32_e32 v18, v31
	v_cmp_ne_u16_sdwa s5, v31, v19 src0_sel:BYTE_0 src1_sel:DWORD
	s_and_saveexec_b32 s6, s5
	s_cbranch_execz .LBB395_51
; %bb.44:                               ;   in Loop: Header=BB395_11 Depth=1
	v_mov_b32_e32 v0, 0x80
	v_cmp_ne_u16_sdwa s5, v31, v0 src0_sel:BYTE_0 src1_sel:DWORD
	v_bfrev_b32_e32 v0, 1
	buffer_store_dword v0, off, s[0:3], s32 offset:256 ; 4-byte Folded Spill
	s_and_saveexec_b32 s22, s5
	s_cbranch_execz .LBB395_50
; %bb.45:                               ;   in Loop: Header=BB395_11 Depth=1
	v_and_b32_e32 v1, 0x7f, v31
	v_mov_b32_e32 v0, 0x7f800001
	s_mov_b32 s23, exec_lo
	buffer_store_dword v0, off, s[0:3], s32 offset:256 ; 4-byte Folded Spill
	v_cmpx_ne_u32_e32 0x7f, v1
	s_cbranch_execz .LBB395_49
; %bb.46:                               ;   in Loop: Header=BB395_11 Depth=1
	v_mov_b32_e32 v33, v19
	v_lshrrev_b32_e32 v0, 3, v1
	v_mov_b32_e32 v32, v18
	s_mov_b32 s24, exec_lo
	v_cmpx_gt_u32_e32 8, v1
; %bb.47:                               ;   in Loop: Header=BB395_11 Depth=1
	v_and_b32_e32 v0, 7, v31
	v_ffbh_u32_e32 v0, v0
	v_min_u32_e32 v0, 32, v0
	v_subrev_nc_u32_e32 v1, 28, v0
	v_sub_nc_u32_e32 v0, 29, v0
	v_lshlrev_b64 v[32:33], v1, v[18:19]
; %bb.48:                               ;   in Loop: Header=BB395_11 Depth=1
	s_or_b32 exec_lo, exec_lo, s24
	v_lshlrev_b32_e32 v1, 20, v32
	v_lshlrev_b32_e32 v2, 24, v18
	v_lshl_add_u32 v0, v0, 23, 0x3c000000
	v_and_b32_e32 v1, 0x700000, v1
	v_and_b32_e32 v2, 0x80000000, v2
	v_or3_b32 v0, v1, v2, v0
	buffer_store_dword v0, off, s[0:3], s32 offset:256 ; 4-byte Folded Spill
.LBB395_49:                             ;   in Loop: Header=BB395_11 Depth=1
	s_or_b32 exec_lo, exec_lo, s23
.LBB395_50:                             ;   in Loop: Header=BB395_11 Depth=1
	s_or_b32 exec_lo, exec_lo, s22
.LBB395_51:                             ;   in Loop: Header=BB395_11 Depth=1
	s_or_b32 exec_lo, exec_lo, s6
	v_mov_b32_e32 v0, 0
	v_cmp_ne_u16_sdwa s5, v18, v19 src0_sel:BYTE_1 src1_sel:DWORD
	buffer_store_dword v0, off, s[0:3], s32 offset:200 ; 4-byte Folded Spill
	v_mov_b32_e32 v0, 0
	buffer_store_dword v0, off, s[0:3], s32 offset:204 ; 4-byte Folded Spill
	s_and_saveexec_b32 s6, s5
	s_cbranch_execz .LBB395_59
; %bb.52:                               ;   in Loop: Header=BB395_11 Depth=1
	v_mov_b32_e32 v0, 0x80
	v_cmp_ne_u16_sdwa s5, v18, v0 src0_sel:BYTE_1 src1_sel:DWORD
	v_bfrev_b32_e32 v0, 1
	buffer_store_dword v0, off, s[0:3], s32 offset:204 ; 4-byte Folded Spill
	s_and_saveexec_b32 s22, s5
	s_cbranch_execz .LBB395_58
; %bb.53:                               ;   in Loop: Header=BB395_11 Depth=1
	v_mov_b32_e32 v0, 0xffff
	v_mov_b32_e32 v2, 0x7f800001
	s_mov_b32 s23, exec_lo
	v_and_b32_sdwa v0, v0, v18 dst_sel:DWORD dst_unused:UNUSED_PAD src0_sel:DWORD src1_sel:BYTE_1
	buffer_store_dword v2, off, s[0:3], s32 offset:204 ; 4-byte Folded Spill
	v_and_b32_e32 v1, 0x7f, v0
	v_cmpx_ne_u32_e32 0x7f, v1
	s_cbranch_execz .LBB395_57
; %bb.54:                               ;   in Loop: Header=BB395_11 Depth=1
	v_and_b32_e32 v32, 7, v0
	v_mov_b32_e32 v33, v19
	v_lshrrev_b32_e32 v0, 3, v1
	s_mov_b32 s24, exec_lo
	v_cmpx_gt_u32_e32 8, v1
; %bb.55:                               ;   in Loop: Header=BB395_11 Depth=1
	v_ffbh_u32_e32 v0, v32
	v_min_u32_e32 v0, 32, v0
	v_subrev_nc_u32_e32 v1, 28, v0
	v_sub_nc_u32_e32 v0, 29, v0
	v_lshlrev_b64 v[1:2], v1, v[32:33]
	v_and_b32_e32 v32, 7, v1
; %bb.56:                               ;   in Loop: Header=BB395_11 Depth=1
	s_or_b32 exec_lo, exec_lo, s24
	v_lshlrev_b32_e32 v1, 16, v18
	v_lshlrev_b32_e32 v2, 20, v32
	v_lshl_add_u32 v0, v0, 23, 0x3c000000
	v_and_b32_e32 v1, 0x80000000, v1
	v_or3_b32 v0, v2, v1, v0
	buffer_store_dword v0, off, s[0:3], s32 offset:204 ; 4-byte Folded Spill
.LBB395_57:                             ;   in Loop: Header=BB395_11 Depth=1
	s_or_b32 exec_lo, exec_lo, s23
.LBB395_58:                             ;   in Loop: Header=BB395_11 Depth=1
	s_or_b32 exec_lo, exec_lo, s22
.LBB395_59:                             ;   in Loop: Header=BB395_11 Depth=1
	s_or_b32 exec_lo, exec_lo, s6
	v_mov_b32_e32 v0, 0xff
	s_mov_b32 s6, exec_lo
	v_and_b32_sdwa v0, v31, v0 dst_sel:DWORD dst_unused:UNUSED_PAD src0_sel:WORD_1 src1_sel:DWORD
	v_cmpx_ne_u16_e32 0, v0
	s_cbranch_execz .LBB395_67
; %bb.60:                               ;   in Loop: Header=BB395_11 Depth=1
	v_cmp_ne_u16_e64 s5, 0x80, v0
	v_bfrev_b32_e32 v0, 1
	buffer_store_dword v0, off, s[0:3], s32 offset:200 ; 4-byte Folded Spill
	s_and_saveexec_b32 s22, s5
	s_cbranch_execz .LBB395_66
; %bb.61:                               ;   in Loop: Header=BB395_11 Depth=1
	v_bfe_u32 v1, v31, 16, 7
	v_mov_b32_e32 v0, 0x7f800001
	s_mov_b32 s23, exec_lo
	buffer_store_dword v0, off, s[0:3], s32 offset:200 ; 4-byte Folded Spill
	v_cmpx_ne_u32_e32 0x7f, v1
	s_cbranch_execz .LBB395_65
; %bb.62:                               ;   in Loop: Header=BB395_11 Depth=1
	v_mov_b32_e32 v0, 7
	s_mov_b32 s24, exec_lo
	v_and_b32_sdwa v18, v31, v0 dst_sel:DWORD dst_unused:UNUSED_PAD src0_sel:WORD_1 src1_sel:DWORD
	v_mov_b32_e32 v33, v19
	v_lshrrev_b32_e32 v0, 3, v1
	v_mov_b32_e32 v32, v18
	v_cmpx_gt_u32_e32 8, v1
; %bb.63:                               ;   in Loop: Header=BB395_11 Depth=1
	v_ffbh_u32_e32 v0, v18
	v_min_u32_e32 v0, 32, v0
	v_subrev_nc_u32_e32 v1, 28, v0
	v_sub_nc_u32_e32 v0, 29, v0
	v_lshlrev_b64 v[1:2], v1, v[18:19]
	v_and_b32_e32 v32, 7, v1
; %bb.64:                               ;   in Loop: Header=BB395_11 Depth=1
	s_or_b32 exec_lo, exec_lo, s24
	v_mov_b32_e32 v1, 24
	v_lshlrev_b32_e32 v2, 20, v32
	v_lshl_add_u32 v0, v0, 23, 0x3c000000
	v_lshlrev_b32_sdwa v1, v1, v31 dst_sel:DWORD dst_unused:UNUSED_PAD src0_sel:DWORD src1_sel:WORD_1
	v_and_b32_e32 v1, 0x80000000, v1
	v_or3_b32 v0, v2, v1, v0
	buffer_store_dword v0, off, s[0:3], s32 offset:200 ; 4-byte Folded Spill
.LBB395_65:                             ;   in Loop: Header=BB395_11 Depth=1
	s_or_b32 exec_lo, exec_lo, s23
.LBB395_66:                             ;   in Loop: Header=BB395_11 Depth=1
	s_or_b32 exec_lo, exec_lo, s22
.LBB395_67:                             ;   in Loop: Header=BB395_11 Depth=1
	s_or_b32 exec_lo, exec_lo, s6
	v_mov_b32_e32 v0, 0
	s_mov_b32 s6, exec_lo
	buffer_store_dword v0, off, s[0:3], s32 offset:212 ; 4-byte Folded Spill
	v_mov_b32_e32 v0, 0
	buffer_store_dword v0, off, s[0:3], s32 offset:208 ; 4-byte Folded Spill
	v_cmpx_lt_u64_e64 s[8:9], v[30:31]
	s_cbranch_execz .LBB395_75
; %bb.68:                               ;   in Loop: Header=BB395_11 Depth=1
	v_mov_b32_e32 v0, 0x80
	v_cmp_ne_u32_sdwa s5, v31, v0 src0_sel:BYTE_3 src1_sel:DWORD
	v_bfrev_b32_e32 v0, 1
	buffer_store_dword v0, off, s[0:3], s32 offset:208 ; 4-byte Folded Spill
	s_and_saveexec_b32 s22, s5
	s_cbranch_execz .LBB395_74
; %bb.69:                               ;   in Loop: Header=BB395_11 Depth=1
	v_bfe_u32 v1, v31, 24, 7
	v_mov_b32_e32 v0, 0x7f800001
	s_mov_b32 s23, exec_lo
	buffer_store_dword v0, off, s[0:3], s32 offset:208 ; 4-byte Folded Spill
	v_cmpx_ne_u32_e32 0x7f, v1
	s_cbranch_execz .LBB395_73
; %bb.70:                               ;   in Loop: Header=BB395_11 Depth=1
	v_mov_b32_e32 v0, 7
	s_mov_b32 s24, exec_lo
	v_and_b32_sdwa v18, v31, v0 dst_sel:DWORD dst_unused:UNUSED_PAD src0_sel:BYTE_3 src1_sel:DWORD
	v_mov_b32_e32 v33, v19
	v_lshrrev_b32_e32 v0, 3, v1
	v_mov_b32_e32 v32, v18
	v_cmpx_gt_u32_e32 8, v1
; %bb.71:                               ;   in Loop: Header=BB395_11 Depth=1
	v_ffbh_u32_e32 v0, v18
	v_min_u32_e32 v0, 32, v0
	v_subrev_nc_u32_e32 v1, 28, v0
	v_sub_nc_u32_e32 v0, 29, v0
	v_lshlrev_b64 v[1:2], v1, v[18:19]
	v_and_b32_e32 v32, 7, v1
; %bb.72:                               ;   in Loop: Header=BB395_11 Depth=1
	s_or_b32 exec_lo, exec_lo, s24
	v_mov_b32_e32 v1, 24
	v_lshlrev_b32_e32 v2, 20, v32
	v_lshl_add_u32 v0, v0, 23, 0x3c000000
	v_lshlrev_b32_sdwa v1, v1, v31 dst_sel:DWORD dst_unused:UNUSED_PAD src0_sel:DWORD src1_sel:BYTE_3
	v_and_b32_e32 v1, 0x80000000, v1
	v_or3_b32 v0, v2, v1, v0
	buffer_store_dword v0, off, s[0:3], s32 offset:208 ; 4-byte Folded Spill
.LBB395_73:                             ;   in Loop: Header=BB395_11 Depth=1
	s_or_b32 exec_lo, exec_lo, s23
.LBB395_74:                             ;   in Loop: Header=BB395_11 Depth=1
	s_or_b32 exec_lo, exec_lo, s22
.LBB395_75:                             ;   in Loop: Header=BB395_11 Depth=1
	s_or_b32 exec_lo, exec_lo, s6
	flat_load_dwordx2 v[30:31], v[28:29] offset:8
	s_waitcnt vmcnt(0) lgkmcnt(0)
	v_cmp_ne_u16_sdwa s5, v30, v19 src0_sel:BYTE_0 src1_sel:DWORD
	s_and_saveexec_b32 s6, s5
	s_cbranch_execz .LBB395_83
; %bb.76:                               ;   in Loop: Header=BB395_11 Depth=1
	v_mov_b32_e32 v0, 0x80
	v_cmp_ne_u16_sdwa s5, v30, v0 src0_sel:BYTE_0 src1_sel:DWORD
	v_bfrev_b32_e32 v0, 1
	buffer_store_dword v0, off, s[0:3], s32 offset:212 ; 4-byte Folded Spill
	s_and_saveexec_b32 s22, s5
	s_cbranch_execz .LBB395_82
; %bb.77:                               ;   in Loop: Header=BB395_11 Depth=1
	v_and_b32_e32 v1, 0x7f, v30
	v_mov_b32_e32 v0, 0x7f800001
	s_mov_b32 s23, exec_lo
	buffer_store_dword v0, off, s[0:3], s32 offset:212 ; 4-byte Folded Spill
	v_cmpx_ne_u32_e32 0x7f, v1
	s_cbranch_execz .LBB395_81
; %bb.78:                               ;   in Loop: Header=BB395_11 Depth=1
	v_mov_b32_e32 v33, v31
	v_lshrrev_b32_e32 v0, 3, v1
	v_mov_b32_e32 v32, v30
	s_mov_b32 s24, exec_lo
	v_cmpx_gt_u32_e32 8, v1
; %bb.79:                               ;   in Loop: Header=BB395_11 Depth=1
	v_and_b32_e32 v0, 7, v30
	v_ffbh_u32_e32 v0, v0
	v_min_u32_e32 v0, 32, v0
	v_subrev_nc_u32_e32 v1, 28, v0
	v_sub_nc_u32_e32 v0, 29, v0
	v_lshlrev_b64 v[32:33], v1, v[30:31]
; %bb.80:                               ;   in Loop: Header=BB395_11 Depth=1
	s_or_b32 exec_lo, exec_lo, s24
	v_lshlrev_b32_e32 v1, 20, v32
	v_lshlrev_b32_e32 v2, 24, v30
	v_lshl_add_u32 v0, v0, 23, 0x3c000000
	v_and_b32_e32 v1, 0x700000, v1
	v_and_b32_e32 v2, 0x80000000, v2
	v_or3_b32 v0, v1, v2, v0
	buffer_store_dword v0, off, s[0:3], s32 offset:212 ; 4-byte Folded Spill
.LBB395_81:                             ;   in Loop: Header=BB395_11 Depth=1
	s_or_b32 exec_lo, exec_lo, s23
.LBB395_82:                             ;   in Loop: Header=BB395_11 Depth=1
	s_or_b32 exec_lo, exec_lo, s22
.LBB395_83:                             ;   in Loop: Header=BB395_11 Depth=1
	s_or_b32 exec_lo, exec_lo, s6
	v_mov_b32_e32 v0, 0
	v_cmp_ne_u16_sdwa s5, v30, v19 src0_sel:BYTE_1 src1_sel:DWORD
	buffer_store_dword v0, off, s[0:3], s32 offset:220 ; 4-byte Folded Spill
	v_mov_b32_e32 v0, 0
	buffer_store_dword v0, off, s[0:3], s32 offset:216 ; 4-byte Folded Spill
	s_and_saveexec_b32 s6, s5
	s_cbranch_execz .LBB395_91
; %bb.84:                               ;   in Loop: Header=BB395_11 Depth=1
	v_mov_b32_e32 v0, 0x80
	v_cmp_ne_u16_sdwa s5, v30, v0 src0_sel:BYTE_1 src1_sel:DWORD
	v_bfrev_b32_e32 v0, 1
	buffer_store_dword v0, off, s[0:3], s32 offset:216 ; 4-byte Folded Spill
	s_and_saveexec_b32 s22, s5
	s_cbranch_execz .LBB395_90
; %bb.85:                               ;   in Loop: Header=BB395_11 Depth=1
	v_mov_b32_e32 v0, 0xffff
	v_mov_b32_e32 v2, 0x7f800001
	s_mov_b32 s23, exec_lo
	v_and_b32_sdwa v0, v0, v30 dst_sel:DWORD dst_unused:UNUSED_PAD src0_sel:DWORD src1_sel:BYTE_1
	buffer_store_dword v2, off, s[0:3], s32 offset:216 ; 4-byte Folded Spill
	v_and_b32_e32 v1, 0x7f, v0
	v_cmpx_ne_u32_e32 0x7f, v1
	s_cbranch_execz .LBB395_89
; %bb.86:                               ;   in Loop: Header=BB395_11 Depth=1
	v_and_b32_e32 v18, 7, v0
	v_mov_b32_e32 v33, v19
	v_lshrrev_b32_e32 v0, 3, v1
	s_mov_b32 s24, exec_lo
	v_mov_b32_e32 v32, v18
	v_cmpx_gt_u32_e32 8, v1
; %bb.87:                               ;   in Loop: Header=BB395_11 Depth=1
	v_ffbh_u32_e32 v0, v18
	v_min_u32_e32 v0, 32, v0
	v_subrev_nc_u32_e32 v1, 28, v0
	v_sub_nc_u32_e32 v0, 29, v0
	v_lshlrev_b64 v[1:2], v1, v[18:19]
	v_and_b32_e32 v32, 7, v1
; %bb.88:                               ;   in Loop: Header=BB395_11 Depth=1
	s_or_b32 exec_lo, exec_lo, s24
	v_lshlrev_b32_e32 v1, 16, v30
	v_lshlrev_b32_e32 v2, 20, v32
	v_lshl_add_u32 v0, v0, 23, 0x3c000000
	v_and_b32_e32 v1, 0x80000000, v1
	v_or3_b32 v0, v2, v1, v0
	buffer_store_dword v0, off, s[0:3], s32 offset:216 ; 4-byte Folded Spill
.LBB395_89:                             ;   in Loop: Header=BB395_11 Depth=1
	s_or_b32 exec_lo, exec_lo, s23
.LBB395_90:                             ;   in Loop: Header=BB395_11 Depth=1
	s_or_b32 exec_lo, exec_lo, s22
.LBB395_91:                             ;   in Loop: Header=BB395_11 Depth=1
	s_or_b32 exec_lo, exec_lo, s6
	v_mov_b32_e32 v0, 0xff
	s_mov_b32 s6, exec_lo
	v_and_b32_sdwa v0, v30, v0 dst_sel:DWORD dst_unused:UNUSED_PAD src0_sel:WORD_1 src1_sel:DWORD
	v_cmpx_ne_u16_e32 0, v0
	s_cbranch_execz .LBB395_99
; %bb.92:                               ;   in Loop: Header=BB395_11 Depth=1
	v_cmp_ne_u16_e64 s5, 0x80, v0
	v_bfrev_b32_e32 v0, 1
	buffer_store_dword v0, off, s[0:3], s32 offset:220 ; 4-byte Folded Spill
	s_and_saveexec_b32 s22, s5
	s_cbranch_execz .LBB395_98
; %bb.93:                               ;   in Loop: Header=BB395_11 Depth=1
	v_bfe_u32 v1, v30, 16, 7
	v_mov_b32_e32 v0, 0x7f800001
	s_mov_b32 s23, exec_lo
	buffer_store_dword v0, off, s[0:3], s32 offset:220 ; 4-byte Folded Spill
	v_cmpx_ne_u32_e32 0x7f, v1
	s_cbranch_execz .LBB395_97
; %bb.94:                               ;   in Loop: Header=BB395_11 Depth=1
	v_mov_b32_e32 v0, 7
	s_mov_b32 s24, exec_lo
	v_and_b32_sdwa v18, v30, v0 dst_sel:DWORD dst_unused:UNUSED_PAD src0_sel:WORD_1 src1_sel:DWORD
	v_mov_b32_e32 v33, v19
	v_lshrrev_b32_e32 v0, 3, v1
	v_mov_b32_e32 v32, v18
	v_cmpx_gt_u32_e32 8, v1
; %bb.95:                               ;   in Loop: Header=BB395_11 Depth=1
	v_ffbh_u32_e32 v0, v18
	v_min_u32_e32 v0, 32, v0
	v_subrev_nc_u32_e32 v1, 28, v0
	v_sub_nc_u32_e32 v0, 29, v0
	v_lshlrev_b64 v[1:2], v1, v[18:19]
	v_and_b32_e32 v32, 7, v1
; %bb.96:                               ;   in Loop: Header=BB395_11 Depth=1
	s_or_b32 exec_lo, exec_lo, s24
	v_mov_b32_e32 v1, 24
	v_lshlrev_b32_e32 v2, 20, v32
	v_lshl_add_u32 v0, v0, 23, 0x3c000000
	v_lshlrev_b32_sdwa v1, v1, v30 dst_sel:DWORD dst_unused:UNUSED_PAD src0_sel:DWORD src1_sel:WORD_1
	v_and_b32_e32 v1, 0x80000000, v1
	v_or3_b32 v0, v2, v1, v0
	buffer_store_dword v0, off, s[0:3], s32 offset:220 ; 4-byte Folded Spill
.LBB395_97:                             ;   in Loop: Header=BB395_11 Depth=1
	s_or_b32 exec_lo, exec_lo, s23
.LBB395_98:                             ;   in Loop: Header=BB395_11 Depth=1
	s_or_b32 exec_lo, exec_lo, s22
.LBB395_99:                             ;   in Loop: Header=BB395_11 Depth=1
	s_or_b32 exec_lo, exec_lo, s6
	v_mov_b32_e32 v0, 0
	s_mov_b32 s6, exec_lo
	buffer_store_dword v0, off, s[0:3], s32 offset:228 ; 4-byte Folded Spill
	v_mov_b32_e32 v0, 0
	buffer_store_dword v0, off, s[0:3], s32 offset:224 ; 4-byte Folded Spill
	v_cmpx_lt_u32_e32 0xffffff, v30
	s_cbranch_execz .LBB395_107
; %bb.100:                              ;   in Loop: Header=BB395_11 Depth=1
	v_mov_b32_e32 v0, 0x80
	v_cmp_ne_u32_sdwa s5, v30, v0 src0_sel:BYTE_3 src1_sel:DWORD
	v_bfrev_b32_e32 v0, 1
	buffer_store_dword v0, off, s[0:3], s32 offset:224 ; 4-byte Folded Spill
	s_and_saveexec_b32 s22, s5
	s_cbranch_execz .LBB395_106
; %bb.101:                              ;   in Loop: Header=BB395_11 Depth=1
	v_bfe_u32 v1, v30, 24, 7
	v_mov_b32_e32 v0, 0x7f800001
	s_mov_b32 s23, exec_lo
	buffer_store_dword v0, off, s[0:3], s32 offset:224 ; 4-byte Folded Spill
	v_cmpx_ne_u32_e32 0x7f, v1
	s_cbranch_execz .LBB395_105
; %bb.102:                              ;   in Loop: Header=BB395_11 Depth=1
	v_mov_b32_e32 v0, 7
	s_mov_b32 s24, exec_lo
	v_and_b32_sdwa v18, v30, v0 dst_sel:DWORD dst_unused:UNUSED_PAD src0_sel:BYTE_3 src1_sel:DWORD
	v_mov_b32_e32 v33, v19
	v_lshrrev_b32_e32 v0, 3, v1
	v_mov_b32_e32 v32, v18
	v_cmpx_gt_u32_e32 8, v1
; %bb.103:                              ;   in Loop: Header=BB395_11 Depth=1
	v_ffbh_u32_e32 v0, v18
	v_min_u32_e32 v0, 32, v0
	v_subrev_nc_u32_e32 v1, 28, v0
	v_sub_nc_u32_e32 v0, 29, v0
	v_lshlrev_b64 v[1:2], v1, v[18:19]
	v_and_b32_e32 v32, 7, v1
; %bb.104:                              ;   in Loop: Header=BB395_11 Depth=1
	s_or_b32 exec_lo, exec_lo, s24
	v_mov_b32_e32 v1, 24
	v_lshlrev_b32_e32 v2, 20, v32
	v_lshl_add_u32 v0, v0, 23, 0x3c000000
	v_lshlrev_b32_sdwa v1, v1, v30 dst_sel:DWORD dst_unused:UNUSED_PAD src0_sel:DWORD src1_sel:BYTE_3
	v_and_b32_e32 v1, 0x80000000, v1
	v_or3_b32 v0, v2, v1, v0
	buffer_store_dword v0, off, s[0:3], s32 offset:224 ; 4-byte Folded Spill
.LBB395_105:                            ;   in Loop: Header=BB395_11 Depth=1
	s_or_b32 exec_lo, exec_lo, s23
.LBB395_106:                            ;   in Loop: Header=BB395_11 Depth=1
	s_or_b32 exec_lo, exec_lo, s22
.LBB395_107:                            ;   in Loop: Header=BB395_11 Depth=1
	s_or_b32 exec_lo, exec_lo, s6
	v_mov_b32_e32 v18, v31
	v_cmp_ne_u16_sdwa s5, v31, v19 src0_sel:BYTE_0 src1_sel:DWORD
	s_and_saveexec_b32 s6, s5
	s_cbranch_execz .LBB395_115
; %bb.108:                              ;   in Loop: Header=BB395_11 Depth=1
	v_mov_b32_e32 v0, 0x80
	v_cmp_ne_u16_sdwa s5, v31, v0 src0_sel:BYTE_0 src1_sel:DWORD
	v_bfrev_b32_e32 v0, 1
	buffer_store_dword v0, off, s[0:3], s32 offset:228 ; 4-byte Folded Spill
	s_and_saveexec_b32 s22, s5
	s_cbranch_execz .LBB395_114
; %bb.109:                              ;   in Loop: Header=BB395_11 Depth=1
	v_and_b32_e32 v1, 0x7f, v31
	v_mov_b32_e32 v0, 0x7f800001
	s_mov_b32 s23, exec_lo
	buffer_store_dword v0, off, s[0:3], s32 offset:228 ; 4-byte Folded Spill
	v_cmpx_ne_u32_e32 0x7f, v1
	s_cbranch_execz .LBB395_113
; %bb.110:                              ;   in Loop: Header=BB395_11 Depth=1
	v_mov_b32_e32 v33, v19
	v_lshrrev_b32_e32 v0, 3, v1
	v_mov_b32_e32 v32, v18
	s_mov_b32 s24, exec_lo
	v_cmpx_gt_u32_e32 8, v1
; %bb.111:                              ;   in Loop: Header=BB395_11 Depth=1
	v_and_b32_e32 v0, 7, v31
	v_ffbh_u32_e32 v0, v0
	v_min_u32_e32 v0, 32, v0
	v_subrev_nc_u32_e32 v1, 28, v0
	v_sub_nc_u32_e32 v0, 29, v0
	v_lshlrev_b64 v[32:33], v1, v[18:19]
; %bb.112:                              ;   in Loop: Header=BB395_11 Depth=1
	s_or_b32 exec_lo, exec_lo, s24
	v_lshlrev_b32_e32 v1, 20, v32
	v_lshlrev_b32_e32 v2, 24, v18
	v_lshl_add_u32 v0, v0, 23, 0x3c000000
	v_and_b32_e32 v1, 0x700000, v1
	v_and_b32_e32 v2, 0x80000000, v2
	v_or3_b32 v0, v1, v2, v0
	buffer_store_dword v0, off, s[0:3], s32 offset:228 ; 4-byte Folded Spill
.LBB395_113:                            ;   in Loop: Header=BB395_11 Depth=1
	s_or_b32 exec_lo, exec_lo, s23
.LBB395_114:                            ;   in Loop: Header=BB395_11 Depth=1
	s_or_b32 exec_lo, exec_lo, s22
.LBB395_115:                            ;   in Loop: Header=BB395_11 Depth=1
	s_or_b32 exec_lo, exec_lo, s6
	v_mov_b32_e32 v0, 0
	v_cmp_ne_u16_sdwa s5, v18, v19 src0_sel:BYTE_1 src1_sel:DWORD
	buffer_store_dword v0, off, s[0:3], s32 offset:232 ; 4-byte Folded Spill
	v_mov_b32_e32 v0, 0
	buffer_store_dword v0, off, s[0:3], s32 offset:236 ; 4-byte Folded Spill
	s_and_saveexec_b32 s6, s5
	s_cbranch_execz .LBB395_123
; %bb.116:                              ;   in Loop: Header=BB395_11 Depth=1
	v_mov_b32_e32 v0, 0x80
	v_cmp_ne_u16_sdwa s5, v18, v0 src0_sel:BYTE_1 src1_sel:DWORD
	v_bfrev_b32_e32 v0, 1
	buffer_store_dword v0, off, s[0:3], s32 offset:236 ; 4-byte Folded Spill
	s_and_saveexec_b32 s22, s5
	s_cbranch_execz .LBB395_122
; %bb.117:                              ;   in Loop: Header=BB395_11 Depth=1
	v_mov_b32_e32 v0, 0xffff
	v_mov_b32_e32 v2, 0x7f800001
	s_mov_b32 s23, exec_lo
	v_and_b32_sdwa v0, v0, v18 dst_sel:DWORD dst_unused:UNUSED_PAD src0_sel:DWORD src1_sel:BYTE_1
	buffer_store_dword v2, off, s[0:3], s32 offset:236 ; 4-byte Folded Spill
	v_and_b32_e32 v1, 0x7f, v0
	v_cmpx_ne_u32_e32 0x7f, v1
	s_cbranch_execz .LBB395_121
; %bb.118:                              ;   in Loop: Header=BB395_11 Depth=1
	v_and_b32_e32 v32, 7, v0
	v_mov_b32_e32 v33, v19
	v_lshrrev_b32_e32 v0, 3, v1
	s_mov_b32 s24, exec_lo
	v_cmpx_gt_u32_e32 8, v1
; %bb.119:                              ;   in Loop: Header=BB395_11 Depth=1
	v_ffbh_u32_e32 v0, v32
	v_min_u32_e32 v0, 32, v0
	v_subrev_nc_u32_e32 v1, 28, v0
	v_sub_nc_u32_e32 v0, 29, v0
	v_lshlrev_b64 v[1:2], v1, v[32:33]
	v_and_b32_e32 v32, 7, v1
; %bb.120:                              ;   in Loop: Header=BB395_11 Depth=1
	s_or_b32 exec_lo, exec_lo, s24
	v_lshlrev_b32_e32 v1, 16, v18
	v_lshlrev_b32_e32 v2, 20, v32
	v_lshl_add_u32 v0, v0, 23, 0x3c000000
	v_and_b32_e32 v1, 0x80000000, v1
	v_or3_b32 v0, v2, v1, v0
	buffer_store_dword v0, off, s[0:3], s32 offset:236 ; 4-byte Folded Spill
.LBB395_121:                            ;   in Loop: Header=BB395_11 Depth=1
	s_or_b32 exec_lo, exec_lo, s23
.LBB395_122:                            ;   in Loop: Header=BB395_11 Depth=1
	s_or_b32 exec_lo, exec_lo, s22
.LBB395_123:                            ;   in Loop: Header=BB395_11 Depth=1
	s_or_b32 exec_lo, exec_lo, s6
	v_mov_b32_e32 v0, 0xff
	s_mov_b32 s6, exec_lo
	v_and_b32_sdwa v0, v31, v0 dst_sel:DWORD dst_unused:UNUSED_PAD src0_sel:WORD_1 src1_sel:DWORD
	v_cmpx_ne_u16_e32 0, v0
	s_cbranch_execz .LBB395_131
; %bb.124:                              ;   in Loop: Header=BB395_11 Depth=1
	v_cmp_ne_u16_e64 s5, 0x80, v0
	v_bfrev_b32_e32 v0, 1
	buffer_store_dword v0, off, s[0:3], s32 offset:232 ; 4-byte Folded Spill
	s_and_saveexec_b32 s22, s5
	s_cbranch_execz .LBB395_130
; %bb.125:                              ;   in Loop: Header=BB395_11 Depth=1
	v_bfe_u32 v1, v31, 16, 7
	v_mov_b32_e32 v0, 0x7f800001
	s_mov_b32 s23, exec_lo
	buffer_store_dword v0, off, s[0:3], s32 offset:232 ; 4-byte Folded Spill
	v_cmpx_ne_u32_e32 0x7f, v1
	s_cbranch_execz .LBB395_129
; %bb.126:                              ;   in Loop: Header=BB395_11 Depth=1
	v_mov_b32_e32 v0, 7
	s_mov_b32 s24, exec_lo
	v_and_b32_sdwa v18, v31, v0 dst_sel:DWORD dst_unused:UNUSED_PAD src0_sel:WORD_1 src1_sel:DWORD
	v_mov_b32_e32 v33, v19
	v_lshrrev_b32_e32 v0, 3, v1
	v_mov_b32_e32 v32, v18
	v_cmpx_gt_u32_e32 8, v1
; %bb.127:                              ;   in Loop: Header=BB395_11 Depth=1
	v_ffbh_u32_e32 v0, v18
	v_min_u32_e32 v0, 32, v0
	v_subrev_nc_u32_e32 v1, 28, v0
	v_sub_nc_u32_e32 v0, 29, v0
	v_lshlrev_b64 v[1:2], v1, v[18:19]
	v_and_b32_e32 v32, 7, v1
; %bb.128:                              ;   in Loop: Header=BB395_11 Depth=1
	s_or_b32 exec_lo, exec_lo, s24
	v_mov_b32_e32 v1, 24
	v_lshlrev_b32_e32 v2, 20, v32
	v_lshl_add_u32 v0, v0, 23, 0x3c000000
	v_lshlrev_b32_sdwa v1, v1, v31 dst_sel:DWORD dst_unused:UNUSED_PAD src0_sel:DWORD src1_sel:WORD_1
	v_and_b32_e32 v1, 0x80000000, v1
	v_or3_b32 v0, v2, v1, v0
	buffer_store_dword v0, off, s[0:3], s32 offset:232 ; 4-byte Folded Spill
.LBB395_129:                            ;   in Loop: Header=BB395_11 Depth=1
	s_or_b32 exec_lo, exec_lo, s23
.LBB395_130:                            ;   in Loop: Header=BB395_11 Depth=1
	s_or_b32 exec_lo, exec_lo, s22
.LBB395_131:                            ;   in Loop: Header=BB395_11 Depth=1
	s_or_b32 exec_lo, exec_lo, s6
	v_mov_b32_e32 v0, 0
	s_mov_b32 s6, exec_lo
	buffer_store_dword v0, off, s[0:3], s32 offset:244 ; 4-byte Folded Spill
	v_mov_b32_e32 v0, 0
	buffer_store_dword v0, off, s[0:3], s32 offset:240 ; 4-byte Folded Spill
	v_cmpx_lt_u64_e64 s[8:9], v[30:31]
	s_cbranch_execz .LBB395_139
; %bb.132:                              ;   in Loop: Header=BB395_11 Depth=1
	v_mov_b32_e32 v0, 0x80
	v_cmp_ne_u32_sdwa s5, v31, v0 src0_sel:BYTE_3 src1_sel:DWORD
	v_bfrev_b32_e32 v0, 1
	buffer_store_dword v0, off, s[0:3], s32 offset:240 ; 4-byte Folded Spill
	s_and_saveexec_b32 s22, s5
	s_cbranch_execz .LBB395_138
; %bb.133:                              ;   in Loop: Header=BB395_11 Depth=1
	v_bfe_u32 v1, v31, 24, 7
	v_mov_b32_e32 v0, 0x7f800001
	s_mov_b32 s23, exec_lo
	buffer_store_dword v0, off, s[0:3], s32 offset:240 ; 4-byte Folded Spill
	v_cmpx_ne_u32_e32 0x7f, v1
	s_cbranch_execz .LBB395_137
; %bb.134:                              ;   in Loop: Header=BB395_11 Depth=1
	v_mov_b32_e32 v0, 7
	s_mov_b32 s24, exec_lo
	v_and_b32_sdwa v18, v31, v0 dst_sel:DWORD dst_unused:UNUSED_PAD src0_sel:BYTE_3 src1_sel:DWORD
	v_mov_b32_e32 v33, v19
	v_lshrrev_b32_e32 v0, 3, v1
	v_mov_b32_e32 v32, v18
	v_cmpx_gt_u32_e32 8, v1
; %bb.135:                              ;   in Loop: Header=BB395_11 Depth=1
	v_ffbh_u32_e32 v0, v18
	v_min_u32_e32 v0, 32, v0
	v_subrev_nc_u32_e32 v1, 28, v0
	v_sub_nc_u32_e32 v0, 29, v0
	v_lshlrev_b64 v[1:2], v1, v[18:19]
	v_and_b32_e32 v32, 7, v1
; %bb.136:                              ;   in Loop: Header=BB395_11 Depth=1
	s_or_b32 exec_lo, exec_lo, s24
	v_mov_b32_e32 v1, 24
	v_lshlrev_b32_e32 v2, 20, v32
	v_lshl_add_u32 v0, v0, 23, 0x3c000000
	v_lshlrev_b32_sdwa v1, v1, v31 dst_sel:DWORD dst_unused:UNUSED_PAD src0_sel:DWORD src1_sel:BYTE_3
	v_and_b32_e32 v1, 0x80000000, v1
	v_or3_b32 v0, v2, v1, v0
	buffer_store_dword v0, off, s[0:3], s32 offset:240 ; 4-byte Folded Spill
.LBB395_137:                            ;   in Loop: Header=BB395_11 Depth=1
	s_or_b32 exec_lo, exec_lo, s23
.LBB395_138:                            ;   in Loop: Header=BB395_11 Depth=1
	s_or_b32 exec_lo, exec_lo, s22
.LBB395_139:                            ;   in Loop: Header=BB395_11 Depth=1
	s_or_b32 exec_lo, exec_lo, s6
	flat_load_dwordx2 v[30:31], v[28:29] offset:512
	s_waitcnt vmcnt(0) lgkmcnt(0)
	v_cmp_ne_u16_sdwa s5, v30, v19 src0_sel:BYTE_0 src1_sel:DWORD
	s_and_saveexec_b32 s6, s5
	s_cbranch_execz .LBB395_147
; %bb.140:                              ;   in Loop: Header=BB395_11 Depth=1
	v_mov_b32_e32 v0, 0x80
	v_cmp_ne_u16_sdwa s5, v30, v0 src0_sel:BYTE_0 src1_sel:DWORD
	v_bfrev_b32_e32 v0, 1
	buffer_store_dword v0, off, s[0:3], s32 offset:244 ; 4-byte Folded Spill
	s_and_saveexec_b32 s22, s5
	s_cbranch_execz .LBB395_146
; %bb.141:                              ;   in Loop: Header=BB395_11 Depth=1
	v_and_b32_e32 v1, 0x7f, v30
	v_mov_b32_e32 v0, 0x7f800001
	s_mov_b32 s23, exec_lo
	buffer_store_dword v0, off, s[0:3], s32 offset:244 ; 4-byte Folded Spill
	v_cmpx_ne_u32_e32 0x7f, v1
	s_cbranch_execz .LBB395_145
; %bb.142:                              ;   in Loop: Header=BB395_11 Depth=1
	v_mov_b32_e32 v33, v31
	v_lshrrev_b32_e32 v0, 3, v1
	v_mov_b32_e32 v32, v30
	s_mov_b32 s24, exec_lo
	v_cmpx_gt_u32_e32 8, v1
; %bb.143:                              ;   in Loop: Header=BB395_11 Depth=1
	v_and_b32_e32 v0, 7, v30
	v_ffbh_u32_e32 v0, v0
	v_min_u32_e32 v0, 32, v0
	v_subrev_nc_u32_e32 v1, 28, v0
	v_sub_nc_u32_e32 v0, 29, v0
	v_lshlrev_b64 v[32:33], v1, v[30:31]
; %bb.144:                              ;   in Loop: Header=BB395_11 Depth=1
	s_or_b32 exec_lo, exec_lo, s24
	v_lshlrev_b32_e32 v1, 20, v32
	v_lshlrev_b32_e32 v2, 24, v30
	v_lshl_add_u32 v0, v0, 23, 0x3c000000
	v_and_b32_e32 v1, 0x700000, v1
	v_and_b32_e32 v2, 0x80000000, v2
	v_or3_b32 v0, v1, v2, v0
	buffer_store_dword v0, off, s[0:3], s32 offset:244 ; 4-byte Folded Spill
.LBB395_145:                            ;   in Loop: Header=BB395_11 Depth=1
	s_or_b32 exec_lo, exec_lo, s23
.LBB395_146:                            ;   in Loop: Header=BB395_11 Depth=1
	s_or_b32 exec_lo, exec_lo, s22
.LBB395_147:                            ;   in Loop: Header=BB395_11 Depth=1
	s_or_b32 exec_lo, exec_lo, s6
	v_mov_b32_e32 v0, 0
	v_cmp_ne_u16_sdwa s5, v30, v19 src0_sel:BYTE_1 src1_sel:DWORD
	buffer_store_dword v0, off, s[0:3], s32 offset:252 ; 4-byte Folded Spill
	v_mov_b32_e32 v0, 0
	buffer_store_dword v0, off, s[0:3], s32 offset:248 ; 4-byte Folded Spill
	s_and_saveexec_b32 s6, s5
	s_cbranch_execz .LBB395_155
; %bb.148:                              ;   in Loop: Header=BB395_11 Depth=1
	v_mov_b32_e32 v0, 0x80
	v_cmp_ne_u16_sdwa s5, v30, v0 src0_sel:BYTE_1 src1_sel:DWORD
	v_bfrev_b32_e32 v0, 1
	buffer_store_dword v0, off, s[0:3], s32 offset:248 ; 4-byte Folded Spill
	s_and_saveexec_b32 s22, s5
	s_cbranch_execz .LBB395_154
; %bb.149:                              ;   in Loop: Header=BB395_11 Depth=1
	v_mov_b32_e32 v0, 0xffff
	v_mov_b32_e32 v2, 0x7f800001
	s_mov_b32 s23, exec_lo
	v_and_b32_sdwa v0, v0, v30 dst_sel:DWORD dst_unused:UNUSED_PAD src0_sel:DWORD src1_sel:BYTE_1
	buffer_store_dword v2, off, s[0:3], s32 offset:248 ; 4-byte Folded Spill
	v_and_b32_e32 v1, 0x7f, v0
	v_cmpx_ne_u32_e32 0x7f, v1
	s_cbranch_execz .LBB395_153
; %bb.150:                              ;   in Loop: Header=BB395_11 Depth=1
	v_and_b32_e32 v18, 7, v0
	v_mov_b32_e32 v33, v19
	v_lshrrev_b32_e32 v0, 3, v1
	s_mov_b32 s24, exec_lo
	v_mov_b32_e32 v32, v18
	v_cmpx_gt_u32_e32 8, v1
; %bb.151:                              ;   in Loop: Header=BB395_11 Depth=1
	v_ffbh_u32_e32 v0, v18
	v_min_u32_e32 v0, 32, v0
	v_subrev_nc_u32_e32 v1, 28, v0
	v_sub_nc_u32_e32 v0, 29, v0
	v_lshlrev_b64 v[1:2], v1, v[18:19]
	v_and_b32_e32 v32, 7, v1
; %bb.152:                              ;   in Loop: Header=BB395_11 Depth=1
	s_or_b32 exec_lo, exec_lo, s24
	v_lshlrev_b32_e32 v1, 16, v30
	v_lshlrev_b32_e32 v2, 20, v32
	v_lshl_add_u32 v0, v0, 23, 0x3c000000
	v_and_b32_e32 v1, 0x80000000, v1
	v_or3_b32 v0, v2, v1, v0
	buffer_store_dword v0, off, s[0:3], s32 offset:248 ; 4-byte Folded Spill
.LBB395_153:                            ;   in Loop: Header=BB395_11 Depth=1
	s_or_b32 exec_lo, exec_lo, s23
.LBB395_154:                            ;   in Loop: Header=BB395_11 Depth=1
	s_or_b32 exec_lo, exec_lo, s22
.LBB395_155:                            ;   in Loop: Header=BB395_11 Depth=1
	s_or_b32 exec_lo, exec_lo, s6
	v_mov_b32_e32 v0, 0xff
	s_mov_b32 s6, exec_lo
	v_and_b32_sdwa v0, v30, v0 dst_sel:DWORD dst_unused:UNUSED_PAD src0_sel:WORD_1 src1_sel:DWORD
	v_cmpx_ne_u16_e32 0, v0
	s_cbranch_execz .LBB395_163
; %bb.156:                              ;   in Loop: Header=BB395_11 Depth=1
	v_cmp_ne_u16_e64 s5, 0x80, v0
	v_bfrev_b32_e32 v0, 1
	buffer_store_dword v0, off, s[0:3], s32 offset:252 ; 4-byte Folded Spill
	s_and_saveexec_b32 s22, s5
	s_cbranch_execz .LBB395_162
; %bb.157:                              ;   in Loop: Header=BB395_11 Depth=1
	v_bfe_u32 v1, v30, 16, 7
	v_mov_b32_e32 v0, 0x7f800001
	s_mov_b32 s23, exec_lo
	buffer_store_dword v0, off, s[0:3], s32 offset:252 ; 4-byte Folded Spill
	v_cmpx_ne_u32_e32 0x7f, v1
	s_cbranch_execz .LBB395_161
; %bb.158:                              ;   in Loop: Header=BB395_11 Depth=1
	v_mov_b32_e32 v0, 7
	s_mov_b32 s24, exec_lo
	v_and_b32_sdwa v18, v30, v0 dst_sel:DWORD dst_unused:UNUSED_PAD src0_sel:WORD_1 src1_sel:DWORD
	v_mov_b32_e32 v33, v19
	v_lshrrev_b32_e32 v0, 3, v1
	v_mov_b32_e32 v32, v18
	v_cmpx_gt_u32_e32 8, v1
; %bb.159:                              ;   in Loop: Header=BB395_11 Depth=1
	v_ffbh_u32_e32 v0, v18
	v_min_u32_e32 v0, 32, v0
	v_subrev_nc_u32_e32 v1, 28, v0
	v_sub_nc_u32_e32 v0, 29, v0
	v_lshlrev_b64 v[1:2], v1, v[18:19]
	v_and_b32_e32 v32, 7, v1
; %bb.160:                              ;   in Loop: Header=BB395_11 Depth=1
	s_or_b32 exec_lo, exec_lo, s24
	v_mov_b32_e32 v1, 24
	v_lshlrev_b32_e32 v2, 20, v32
	v_lshl_add_u32 v0, v0, 23, 0x3c000000
	v_lshlrev_b32_sdwa v1, v1, v30 dst_sel:DWORD dst_unused:UNUSED_PAD src0_sel:DWORD src1_sel:WORD_1
	v_and_b32_e32 v1, 0x80000000, v1
	v_or3_b32 v0, v2, v1, v0
	buffer_store_dword v0, off, s[0:3], s32 offset:252 ; 4-byte Folded Spill
.LBB395_161:                            ;   in Loop: Header=BB395_11 Depth=1
	s_or_b32 exec_lo, exec_lo, s23
.LBB395_162:                            ;   in Loop: Header=BB395_11 Depth=1
	s_or_b32 exec_lo, exec_lo, s22
.LBB395_163:                            ;   in Loop: Header=BB395_11 Depth=1
	s_or_b32 exec_lo, exec_lo, s6
	v_mov_b32_e32 v59, 0
	v_mov_b32_e32 v58, 0
	s_mov_b32 s6, exec_lo
	v_cmpx_lt_u32_e32 0xffffff, v30
	s_cbranch_execz .LBB395_171
; %bb.164:                              ;   in Loop: Header=BB395_11 Depth=1
	v_mov_b32_e32 v0, 0x80
	v_bfrev_b32_e32 v58, 1
	v_cmp_ne_u32_sdwa s5, v30, v0 src0_sel:BYTE_3 src1_sel:DWORD
	s_and_saveexec_b32 s22, s5
	s_cbranch_execz .LBB395_170
; %bb.165:                              ;   in Loop: Header=BB395_11 Depth=1
	v_bfe_u32 v1, v30, 24, 7
	v_mov_b32_e32 v58, 0x7f800001
	s_mov_b32 s23, exec_lo
	v_cmpx_ne_u32_e32 0x7f, v1
	s_cbranch_execz .LBB395_169
; %bb.166:                              ;   in Loop: Header=BB395_11 Depth=1
	v_mov_b32_e32 v0, 7
	s_mov_b32 s24, exec_lo
	v_and_b32_sdwa v18, v30, v0 dst_sel:DWORD dst_unused:UNUSED_PAD src0_sel:BYTE_3 src1_sel:DWORD
	v_mov_b32_e32 v33, v19
	v_lshrrev_b32_e32 v0, 3, v1
	v_mov_b32_e32 v32, v18
	v_cmpx_gt_u32_e32 8, v1
; %bb.167:                              ;   in Loop: Header=BB395_11 Depth=1
	v_ffbh_u32_e32 v0, v18
	v_min_u32_e32 v0, 32, v0
	v_subrev_nc_u32_e32 v1, 28, v0
	v_sub_nc_u32_e32 v0, 29, v0
	v_lshlrev_b64 v[1:2], v1, v[18:19]
	v_and_b32_e32 v32, 7, v1
; %bb.168:                              ;   in Loop: Header=BB395_11 Depth=1
	s_or_b32 exec_lo, exec_lo, s24
	v_mov_b32_e32 v1, 24
	v_lshlrev_b32_e32 v2, 20, v32
	v_lshl_add_u32 v0, v0, 23, 0x3c000000
	v_lshlrev_b32_sdwa v1, v1, v30 dst_sel:DWORD dst_unused:UNUSED_PAD src0_sel:DWORD src1_sel:BYTE_3
	v_and_b32_e32 v1, 0x80000000, v1
	v_or3_b32 v58, v2, v1, v0
.LBB395_169:                            ;   in Loop: Header=BB395_11 Depth=1
	s_or_b32 exec_lo, exec_lo, s23
.LBB395_170:                            ;   in Loop: Header=BB395_11 Depth=1
	s_or_b32 exec_lo, exec_lo, s22
.LBB395_171:                            ;   in Loop: Header=BB395_11 Depth=1
	s_or_b32 exec_lo, exec_lo, s6
	v_mov_b32_e32 v18, v31
	v_cmp_ne_u16_sdwa s5, v31, v19 src0_sel:BYTE_0 src1_sel:DWORD
	s_and_saveexec_b32 s6, s5
	s_cbranch_execz .LBB395_179
; %bb.172:                              ;   in Loop: Header=BB395_11 Depth=1
	v_mov_b32_e32 v0, 0x80
	v_bfrev_b32_e32 v59, 1
	v_cmp_ne_u16_sdwa s5, v31, v0 src0_sel:BYTE_0 src1_sel:DWORD
	s_and_saveexec_b32 s22, s5
	s_cbranch_execz .LBB395_178
; %bb.173:                              ;   in Loop: Header=BB395_11 Depth=1
	v_and_b32_e32 v1, 0x7f, v31
	v_mov_b32_e32 v59, 0x7f800001
	s_mov_b32 s23, exec_lo
	v_cmpx_ne_u32_e32 0x7f, v1
	s_cbranch_execz .LBB395_177
; %bb.174:                              ;   in Loop: Header=BB395_11 Depth=1
	v_mov_b32_e32 v33, v19
	v_lshrrev_b32_e32 v0, 3, v1
	v_mov_b32_e32 v32, v18
	s_mov_b32 s24, exec_lo
	v_cmpx_gt_u32_e32 8, v1
; %bb.175:                              ;   in Loop: Header=BB395_11 Depth=1
	v_and_b32_e32 v0, 7, v31
	v_ffbh_u32_e32 v0, v0
	v_min_u32_e32 v0, 32, v0
	v_subrev_nc_u32_e32 v1, 28, v0
	v_sub_nc_u32_e32 v0, 29, v0
	v_lshlrev_b64 v[32:33], v1, v[18:19]
; %bb.176:                              ;   in Loop: Header=BB395_11 Depth=1
	s_or_b32 exec_lo, exec_lo, s24
	v_lshlrev_b32_e32 v1, 20, v32
	v_lshlrev_b32_e32 v2, 24, v18
	v_lshl_add_u32 v0, v0, 23, 0x3c000000
	v_and_b32_e32 v1, 0x700000, v1
	v_and_b32_e32 v2, 0x80000000, v2
	v_or3_b32 v59, v1, v2, v0
.LBB395_177:                            ;   in Loop: Header=BB395_11 Depth=1
	s_or_b32 exec_lo, exec_lo, s23
.LBB395_178:                            ;   in Loop: Header=BB395_11 Depth=1
	s_or_b32 exec_lo, exec_lo, s22
.LBB395_179:                            ;   in Loop: Header=BB395_11 Depth=1
	s_or_b32 exec_lo, exec_lo, s6
	v_cmp_ne_u16_sdwa s5, v18, v19 src0_sel:BYTE_1 src1_sel:DWORD
	v_mov_b32_e32 v60, 0
	v_mov_b32_e32 v61, 0
	s_and_saveexec_b32 s6, s5
	s_cbranch_execz .LBB395_187
; %bb.180:                              ;   in Loop: Header=BB395_11 Depth=1
	v_mov_b32_e32 v0, 0x80
	v_bfrev_b32_e32 v61, 1
	v_cmp_ne_u16_sdwa s5, v18, v0 src0_sel:BYTE_1 src1_sel:DWORD
	s_and_saveexec_b32 s22, s5
	s_cbranch_execz .LBB395_186
; %bb.181:                              ;   in Loop: Header=BB395_11 Depth=1
	v_mov_b32_e32 v0, 0xffff
	v_mov_b32_e32 v61, 0x7f800001
	s_mov_b32 s23, exec_lo
	v_and_b32_sdwa v0, v0, v18 dst_sel:DWORD dst_unused:UNUSED_PAD src0_sel:DWORD src1_sel:BYTE_1
	v_and_b32_e32 v1, 0x7f, v0
	v_cmpx_ne_u32_e32 0x7f, v1
	s_cbranch_execz .LBB395_185
; %bb.182:                              ;   in Loop: Header=BB395_11 Depth=1
	v_and_b32_e32 v32, 7, v0
	v_mov_b32_e32 v33, v19
	v_lshrrev_b32_e32 v0, 3, v1
	s_mov_b32 s24, exec_lo
	v_cmpx_gt_u32_e32 8, v1
; %bb.183:                              ;   in Loop: Header=BB395_11 Depth=1
	v_ffbh_u32_e32 v0, v32
	v_min_u32_e32 v0, 32, v0
	v_subrev_nc_u32_e32 v1, 28, v0
	v_sub_nc_u32_e32 v0, 29, v0
	v_lshlrev_b64 v[1:2], v1, v[32:33]
	v_and_b32_e32 v32, 7, v1
; %bb.184:                              ;   in Loop: Header=BB395_11 Depth=1
	s_or_b32 exec_lo, exec_lo, s24
	v_lshlrev_b32_e32 v1, 16, v18
	v_lshlrev_b32_e32 v2, 20, v32
	v_lshl_add_u32 v0, v0, 23, 0x3c000000
	v_and_b32_e32 v1, 0x80000000, v1
	v_or3_b32 v61, v2, v1, v0
.LBB395_185:                            ;   in Loop: Header=BB395_11 Depth=1
	s_or_b32 exec_lo, exec_lo, s23
.LBB395_186:                            ;   in Loop: Header=BB395_11 Depth=1
	s_or_b32 exec_lo, exec_lo, s22
.LBB395_187:                            ;   in Loop: Header=BB395_11 Depth=1
	s_or_b32 exec_lo, exec_lo, s6
	v_mov_b32_e32 v0, 0xff
	s_mov_b32 s6, exec_lo
	v_and_b32_sdwa v0, v31, v0 dst_sel:DWORD dst_unused:UNUSED_PAD src0_sel:WORD_1 src1_sel:DWORD
	v_cmpx_ne_u16_e32 0, v0
	s_cbranch_execz .LBB395_195
; %bb.188:                              ;   in Loop: Header=BB395_11 Depth=1
	v_bfrev_b32_e32 v60, 1
	s_mov_b32 s22, exec_lo
	v_cmpx_ne_u16_e32 0x80, v0
	s_cbranch_execz .LBB395_194
; %bb.189:                              ;   in Loop: Header=BB395_11 Depth=1
	v_bfe_u32 v1, v31, 16, 7
	v_mov_b32_e32 v60, 0x7f800001
	s_mov_b32 s23, exec_lo
	v_cmpx_ne_u32_e32 0x7f, v1
	s_cbranch_execz .LBB395_193
; %bb.190:                              ;   in Loop: Header=BB395_11 Depth=1
	v_mov_b32_e32 v0, 7
	s_mov_b32 s24, exec_lo
	v_and_b32_sdwa v18, v31, v0 dst_sel:DWORD dst_unused:UNUSED_PAD src0_sel:WORD_1 src1_sel:DWORD
	v_mov_b32_e32 v33, v19
	v_lshrrev_b32_e32 v0, 3, v1
	v_mov_b32_e32 v32, v18
	v_cmpx_gt_u32_e32 8, v1
; %bb.191:                              ;   in Loop: Header=BB395_11 Depth=1
	v_ffbh_u32_e32 v0, v18
	v_min_u32_e32 v0, 32, v0
	v_subrev_nc_u32_e32 v1, 28, v0
	v_sub_nc_u32_e32 v0, 29, v0
	v_lshlrev_b64 v[1:2], v1, v[18:19]
	v_and_b32_e32 v32, 7, v1
; %bb.192:                              ;   in Loop: Header=BB395_11 Depth=1
	s_or_b32 exec_lo, exec_lo, s24
	v_mov_b32_e32 v1, 24
	v_lshlrev_b32_e32 v2, 20, v32
	v_lshl_add_u32 v0, v0, 23, 0x3c000000
	v_lshlrev_b32_sdwa v1, v1, v31 dst_sel:DWORD dst_unused:UNUSED_PAD src0_sel:DWORD src1_sel:WORD_1
	v_and_b32_e32 v1, 0x80000000, v1
	v_or3_b32 v60, v2, v1, v0
.LBB395_193:                            ;   in Loop: Header=BB395_11 Depth=1
	s_or_b32 exec_lo, exec_lo, s23
.LBB395_194:                            ;   in Loop: Header=BB395_11 Depth=1
	s_or_b32 exec_lo, exec_lo, s22
.LBB395_195:                            ;   in Loop: Header=BB395_11 Depth=1
	s_or_b32 exec_lo, exec_lo, s6
	v_mov_b32_e32 v63, 0
	v_mov_b32_e32 v62, 0
	s_mov_b32 s6, exec_lo
	v_cmpx_lt_u64_e64 s[8:9], v[30:31]
	s_cbranch_execz .LBB395_203
; %bb.196:                              ;   in Loop: Header=BB395_11 Depth=1
	v_mov_b32_e32 v0, 0x80
	v_bfrev_b32_e32 v62, 1
	v_cmp_ne_u32_sdwa s5, v31, v0 src0_sel:BYTE_3 src1_sel:DWORD
	s_and_saveexec_b32 s22, s5
	s_cbranch_execz .LBB395_202
; %bb.197:                              ;   in Loop: Header=BB395_11 Depth=1
	v_bfe_u32 v1, v31, 24, 7
	v_mov_b32_e32 v62, 0x7f800001
	s_mov_b32 s23, exec_lo
	v_cmpx_ne_u32_e32 0x7f, v1
	s_cbranch_execz .LBB395_201
; %bb.198:                              ;   in Loop: Header=BB395_11 Depth=1
	v_mov_b32_e32 v0, 7
	s_mov_b32 s24, exec_lo
	v_and_b32_sdwa v18, v31, v0 dst_sel:DWORD dst_unused:UNUSED_PAD src0_sel:BYTE_3 src1_sel:DWORD
	v_mov_b32_e32 v33, v19
	v_lshrrev_b32_e32 v0, 3, v1
	v_mov_b32_e32 v32, v18
	v_cmpx_gt_u32_e32 8, v1
; %bb.199:                              ;   in Loop: Header=BB395_11 Depth=1
	v_ffbh_u32_e32 v0, v18
	v_min_u32_e32 v0, 32, v0
	v_subrev_nc_u32_e32 v1, 28, v0
	v_sub_nc_u32_e32 v0, 29, v0
	v_lshlrev_b64 v[1:2], v1, v[18:19]
	v_and_b32_e32 v32, 7, v1
; %bb.200:                              ;   in Loop: Header=BB395_11 Depth=1
	s_or_b32 exec_lo, exec_lo, s24
	v_mov_b32_e32 v1, 24
	v_lshlrev_b32_e32 v2, 20, v32
	v_lshl_add_u32 v0, v0, 23, 0x3c000000
	v_lshlrev_b32_sdwa v1, v1, v31 dst_sel:DWORD dst_unused:UNUSED_PAD src0_sel:DWORD src1_sel:BYTE_3
	v_and_b32_e32 v1, 0x80000000, v1
	v_or3_b32 v62, v2, v1, v0
.LBB395_201:                            ;   in Loop: Header=BB395_11 Depth=1
	s_or_b32 exec_lo, exec_lo, s23
.LBB395_202:                            ;   in Loop: Header=BB395_11 Depth=1
	s_or_b32 exec_lo, exec_lo, s22
.LBB395_203:                            ;   in Loop: Header=BB395_11 Depth=1
	s_or_b32 exec_lo, exec_lo, s6
	flat_load_dwordx2 v[30:31], v[28:29] offset:520
	s_waitcnt vmcnt(0) lgkmcnt(0)
	v_cmp_ne_u16_sdwa s5, v30, v19 src0_sel:BYTE_0 src1_sel:DWORD
	s_and_saveexec_b32 s6, s5
	s_cbranch_execz .LBB395_211
; %bb.204:                              ;   in Loop: Header=BB395_11 Depth=1
	v_mov_b32_e32 v0, 0x80
	v_bfrev_b32_e32 v63, 1
	v_cmp_ne_u16_sdwa s5, v30, v0 src0_sel:BYTE_0 src1_sel:DWORD
	s_and_saveexec_b32 s22, s5
	s_cbranch_execz .LBB395_210
; %bb.205:                              ;   in Loop: Header=BB395_11 Depth=1
	v_and_b32_e32 v1, 0x7f, v30
	v_mov_b32_e32 v63, 0x7f800001
	s_mov_b32 s23, exec_lo
	v_cmpx_ne_u32_e32 0x7f, v1
	s_cbranch_execz .LBB395_209
; %bb.206:                              ;   in Loop: Header=BB395_11 Depth=1
	v_mov_b32_e32 v33, v31
	v_lshrrev_b32_e32 v0, 3, v1
	v_mov_b32_e32 v32, v30
	s_mov_b32 s24, exec_lo
	v_cmpx_gt_u32_e32 8, v1
; %bb.207:                              ;   in Loop: Header=BB395_11 Depth=1
	v_and_b32_e32 v0, 7, v30
	v_ffbh_u32_e32 v0, v0
	v_min_u32_e32 v0, 32, v0
	v_subrev_nc_u32_e32 v1, 28, v0
	v_sub_nc_u32_e32 v0, 29, v0
	v_lshlrev_b64 v[32:33], v1, v[30:31]
; %bb.208:                              ;   in Loop: Header=BB395_11 Depth=1
	s_or_b32 exec_lo, exec_lo, s24
	v_lshlrev_b32_e32 v1, 20, v32
	v_lshlrev_b32_e32 v2, 24, v30
	v_lshl_add_u32 v0, v0, 23, 0x3c000000
	v_and_b32_e32 v1, 0x700000, v1
	v_and_b32_e32 v2, 0x80000000, v2
	v_or3_b32 v63, v1, v2, v0
.LBB395_209:                            ;   in Loop: Header=BB395_11 Depth=1
	s_or_b32 exec_lo, exec_lo, s23
.LBB395_210:                            ;   in Loop: Header=BB395_11 Depth=1
	s_or_b32 exec_lo, exec_lo, s22
.LBB395_211:                            ;   in Loop: Header=BB395_11 Depth=1
	s_or_b32 exec_lo, exec_lo, s6
	v_cmp_ne_u16_sdwa s5, v30, v19 src0_sel:BYTE_1 src1_sel:DWORD
	v_mov_b32_e32 v73, 0
	v_mov_b32_e32 v72, 0
	s_and_saveexec_b32 s6, s5
	s_cbranch_execz .LBB395_219
; %bb.212:                              ;   in Loop: Header=BB395_11 Depth=1
	v_mov_b32_e32 v0, 0x80
	v_bfrev_b32_e32 v72, 1
	v_cmp_ne_u16_sdwa s5, v30, v0 src0_sel:BYTE_1 src1_sel:DWORD
	s_and_saveexec_b32 s22, s5
	s_cbranch_execz .LBB395_218
; %bb.213:                              ;   in Loop: Header=BB395_11 Depth=1
	v_mov_b32_e32 v0, 0xffff
	v_mov_b32_e32 v72, 0x7f800001
	s_mov_b32 s23, exec_lo
	v_and_b32_sdwa v0, v0, v30 dst_sel:DWORD dst_unused:UNUSED_PAD src0_sel:DWORD src1_sel:BYTE_1
	v_and_b32_e32 v1, 0x7f, v0
	v_cmpx_ne_u32_e32 0x7f, v1
	s_cbranch_execz .LBB395_217
; %bb.214:                              ;   in Loop: Header=BB395_11 Depth=1
	v_and_b32_e32 v18, 7, v0
	v_mov_b32_e32 v33, v19
	v_lshrrev_b32_e32 v0, 3, v1
	s_mov_b32 s24, exec_lo
	v_mov_b32_e32 v32, v18
	v_cmpx_gt_u32_e32 8, v1
; %bb.215:                              ;   in Loop: Header=BB395_11 Depth=1
	v_ffbh_u32_e32 v0, v18
	v_min_u32_e32 v0, 32, v0
	v_subrev_nc_u32_e32 v1, 28, v0
	v_sub_nc_u32_e32 v0, 29, v0
	v_lshlrev_b64 v[1:2], v1, v[18:19]
	v_and_b32_e32 v32, 7, v1
; %bb.216:                              ;   in Loop: Header=BB395_11 Depth=1
	s_or_b32 exec_lo, exec_lo, s24
	v_lshlrev_b32_e32 v1, 16, v30
	v_lshlrev_b32_e32 v2, 20, v32
	v_lshl_add_u32 v0, v0, 23, 0x3c000000
	v_and_b32_e32 v1, 0x80000000, v1
	v_or3_b32 v72, v2, v1, v0
.LBB395_217:                            ;   in Loop: Header=BB395_11 Depth=1
	s_or_b32 exec_lo, exec_lo, s23
.LBB395_218:                            ;   in Loop: Header=BB395_11 Depth=1
	s_or_b32 exec_lo, exec_lo, s22
.LBB395_219:                            ;   in Loop: Header=BB395_11 Depth=1
	s_or_b32 exec_lo, exec_lo, s6
	v_mov_b32_e32 v0, 0xff
	s_mov_b32 s6, exec_lo
	v_and_b32_sdwa v0, v30, v0 dst_sel:DWORD dst_unused:UNUSED_PAD src0_sel:WORD_1 src1_sel:DWORD
	v_cmpx_ne_u16_e32 0, v0
	s_cbranch_execz .LBB395_227
; %bb.220:                              ;   in Loop: Header=BB395_11 Depth=1
	v_bfrev_b32_e32 v73, 1
	s_mov_b32 s22, exec_lo
	v_cmpx_ne_u16_e32 0x80, v0
	s_cbranch_execz .LBB395_226
; %bb.221:                              ;   in Loop: Header=BB395_11 Depth=1
	v_bfe_u32 v1, v30, 16, 7
	v_mov_b32_e32 v73, 0x7f800001
	s_mov_b32 s23, exec_lo
	v_cmpx_ne_u32_e32 0x7f, v1
	s_cbranch_execz .LBB395_225
; %bb.222:                              ;   in Loop: Header=BB395_11 Depth=1
	v_mov_b32_e32 v0, 7
	s_mov_b32 s24, exec_lo
	v_and_b32_sdwa v18, v30, v0 dst_sel:DWORD dst_unused:UNUSED_PAD src0_sel:WORD_1 src1_sel:DWORD
	v_mov_b32_e32 v33, v19
	v_lshrrev_b32_e32 v0, 3, v1
	v_mov_b32_e32 v32, v18
	v_cmpx_gt_u32_e32 8, v1
; %bb.223:                              ;   in Loop: Header=BB395_11 Depth=1
	v_ffbh_u32_e32 v0, v18
	v_min_u32_e32 v0, 32, v0
	v_subrev_nc_u32_e32 v1, 28, v0
	v_sub_nc_u32_e32 v0, 29, v0
	v_lshlrev_b64 v[1:2], v1, v[18:19]
	v_and_b32_e32 v32, 7, v1
; %bb.224:                              ;   in Loop: Header=BB395_11 Depth=1
	s_or_b32 exec_lo, exec_lo, s24
	v_mov_b32_e32 v1, 24
	v_lshlrev_b32_e32 v2, 20, v32
	v_lshl_add_u32 v0, v0, 23, 0x3c000000
	v_lshlrev_b32_sdwa v1, v1, v30 dst_sel:DWORD dst_unused:UNUSED_PAD src0_sel:DWORD src1_sel:WORD_1
	v_and_b32_e32 v1, 0x80000000, v1
	v_or3_b32 v73, v2, v1, v0
.LBB395_225:                            ;   in Loop: Header=BB395_11 Depth=1
	s_or_b32 exec_lo, exec_lo, s23
.LBB395_226:                            ;   in Loop: Header=BB395_11 Depth=1
	s_or_b32 exec_lo, exec_lo, s22
.LBB395_227:                            ;   in Loop: Header=BB395_11 Depth=1
	s_or_b32 exec_lo, exec_lo, s6
	v_mov_b32_e32 v75, 0
	v_mov_b32_e32 v74, 0
	s_mov_b32 s6, exec_lo
	v_cmpx_lt_u32_e32 0xffffff, v30
	s_cbranch_execz .LBB395_235
; %bb.228:                              ;   in Loop: Header=BB395_11 Depth=1
	v_mov_b32_e32 v0, 0x80
	v_bfrev_b32_e32 v74, 1
	v_cmp_ne_u32_sdwa s5, v30, v0 src0_sel:BYTE_3 src1_sel:DWORD
	s_and_saveexec_b32 s22, s5
	s_cbranch_execz .LBB395_234
; %bb.229:                              ;   in Loop: Header=BB395_11 Depth=1
	v_bfe_u32 v1, v30, 24, 7
	v_mov_b32_e32 v74, 0x7f800001
	s_mov_b32 s23, exec_lo
	v_cmpx_ne_u32_e32 0x7f, v1
	s_cbranch_execz .LBB395_233
; %bb.230:                              ;   in Loop: Header=BB395_11 Depth=1
	v_mov_b32_e32 v0, 7
	s_mov_b32 s24, exec_lo
	v_and_b32_sdwa v18, v30, v0 dst_sel:DWORD dst_unused:UNUSED_PAD src0_sel:BYTE_3 src1_sel:DWORD
	v_mov_b32_e32 v33, v19
	v_lshrrev_b32_e32 v0, 3, v1
	v_mov_b32_e32 v32, v18
	v_cmpx_gt_u32_e32 8, v1
; %bb.231:                              ;   in Loop: Header=BB395_11 Depth=1
	v_ffbh_u32_e32 v0, v18
	v_min_u32_e32 v0, 32, v0
	v_subrev_nc_u32_e32 v1, 28, v0
	v_sub_nc_u32_e32 v0, 29, v0
	v_lshlrev_b64 v[1:2], v1, v[18:19]
	v_and_b32_e32 v32, 7, v1
; %bb.232:                              ;   in Loop: Header=BB395_11 Depth=1
	s_or_b32 exec_lo, exec_lo, s24
	v_mov_b32_e32 v1, 24
	v_lshlrev_b32_e32 v2, 20, v32
	v_lshl_add_u32 v0, v0, 23, 0x3c000000
	v_lshlrev_b32_sdwa v1, v1, v30 dst_sel:DWORD dst_unused:UNUSED_PAD src0_sel:DWORD src1_sel:BYTE_3
	v_and_b32_e32 v1, 0x80000000, v1
	v_or3_b32 v74, v2, v1, v0
.LBB395_233:                            ;   in Loop: Header=BB395_11 Depth=1
	s_or_b32 exec_lo, exec_lo, s23
.LBB395_234:                            ;   in Loop: Header=BB395_11 Depth=1
	s_or_b32 exec_lo, exec_lo, s22
.LBB395_235:                            ;   in Loop: Header=BB395_11 Depth=1
	s_or_b32 exec_lo, exec_lo, s6
	v_mov_b32_e32 v18, v31
	v_cmp_ne_u16_sdwa s5, v31, v19 src0_sel:BYTE_0 src1_sel:DWORD
	s_and_saveexec_b32 s6, s5
	s_cbranch_execz .LBB395_243
; %bb.236:                              ;   in Loop: Header=BB395_11 Depth=1
	v_mov_b32_e32 v0, 0x80
	v_bfrev_b32_e32 v75, 1
	v_cmp_ne_u16_sdwa s5, v31, v0 src0_sel:BYTE_0 src1_sel:DWORD
	s_and_saveexec_b32 s22, s5
	s_cbranch_execz .LBB395_242
; %bb.237:                              ;   in Loop: Header=BB395_11 Depth=1
	v_and_b32_e32 v1, 0x7f, v31
	v_mov_b32_e32 v75, 0x7f800001
	s_mov_b32 s23, exec_lo
	v_cmpx_ne_u32_e32 0x7f, v1
	s_cbranch_execz .LBB395_241
; %bb.238:                              ;   in Loop: Header=BB395_11 Depth=1
	v_mov_b32_e32 v33, v19
	v_lshrrev_b32_e32 v0, 3, v1
	v_mov_b32_e32 v32, v18
	s_mov_b32 s24, exec_lo
	v_cmpx_gt_u32_e32 8, v1
; %bb.239:                              ;   in Loop: Header=BB395_11 Depth=1
	v_and_b32_e32 v0, 7, v31
	v_ffbh_u32_e32 v0, v0
	v_min_u32_e32 v0, 32, v0
	v_subrev_nc_u32_e32 v1, 28, v0
	v_sub_nc_u32_e32 v0, 29, v0
	v_lshlrev_b64 v[32:33], v1, v[18:19]
; %bb.240:                              ;   in Loop: Header=BB395_11 Depth=1
	s_or_b32 exec_lo, exec_lo, s24
	v_lshlrev_b32_e32 v1, 20, v32
	v_lshlrev_b32_e32 v2, 24, v18
	v_lshl_add_u32 v0, v0, 23, 0x3c000000
	v_and_b32_e32 v1, 0x700000, v1
	v_and_b32_e32 v2, 0x80000000, v2
	v_or3_b32 v75, v1, v2, v0
.LBB395_241:                            ;   in Loop: Header=BB395_11 Depth=1
	s_or_b32 exec_lo, exec_lo, s23
.LBB395_242:                            ;   in Loop: Header=BB395_11 Depth=1
	s_or_b32 exec_lo, exec_lo, s22
.LBB395_243:                            ;   in Loop: Header=BB395_11 Depth=1
	s_or_b32 exec_lo, exec_lo, s6
	v_cmp_ne_u16_sdwa s5, v18, v19 src0_sel:BYTE_1 src1_sel:DWORD
	v_mov_b32_e32 v76, 0
	v_mov_b32_e32 v77, 0
	s_and_saveexec_b32 s6, s5
	s_cbranch_execz .LBB395_251
; %bb.244:                              ;   in Loop: Header=BB395_11 Depth=1
	v_mov_b32_e32 v0, 0x80
	v_bfrev_b32_e32 v77, 1
	v_cmp_ne_u16_sdwa s5, v18, v0 src0_sel:BYTE_1 src1_sel:DWORD
	s_and_saveexec_b32 s22, s5
	s_cbranch_execz .LBB395_250
; %bb.245:                              ;   in Loop: Header=BB395_11 Depth=1
	v_mov_b32_e32 v0, 0xffff
	v_mov_b32_e32 v77, 0x7f800001
	s_mov_b32 s23, exec_lo
	v_and_b32_sdwa v0, v0, v18 dst_sel:DWORD dst_unused:UNUSED_PAD src0_sel:DWORD src1_sel:BYTE_1
	v_and_b32_e32 v1, 0x7f, v0
	v_cmpx_ne_u32_e32 0x7f, v1
	s_cbranch_execz .LBB395_249
; %bb.246:                              ;   in Loop: Header=BB395_11 Depth=1
	v_and_b32_e32 v32, 7, v0
	v_mov_b32_e32 v33, v19
	v_lshrrev_b32_e32 v0, 3, v1
	s_mov_b32 s24, exec_lo
	v_cmpx_gt_u32_e32 8, v1
; %bb.247:                              ;   in Loop: Header=BB395_11 Depth=1
	v_ffbh_u32_e32 v0, v32
	v_min_u32_e32 v0, 32, v0
	v_subrev_nc_u32_e32 v1, 28, v0
	v_sub_nc_u32_e32 v0, 29, v0
	v_lshlrev_b64 v[1:2], v1, v[32:33]
	v_and_b32_e32 v32, 7, v1
; %bb.248:                              ;   in Loop: Header=BB395_11 Depth=1
	s_or_b32 exec_lo, exec_lo, s24
	v_lshlrev_b32_e32 v1, 16, v18
	v_lshlrev_b32_e32 v2, 20, v32
	v_lshl_add_u32 v0, v0, 23, 0x3c000000
	v_and_b32_e32 v1, 0x80000000, v1
	v_or3_b32 v77, v2, v1, v0
.LBB395_249:                            ;   in Loop: Header=BB395_11 Depth=1
	s_or_b32 exec_lo, exec_lo, s23
.LBB395_250:                            ;   in Loop: Header=BB395_11 Depth=1
	s_or_b32 exec_lo, exec_lo, s22
.LBB395_251:                            ;   in Loop: Header=BB395_11 Depth=1
	s_or_b32 exec_lo, exec_lo, s6
	v_mov_b32_e32 v0, 0xff
	s_mov_b32 s6, exec_lo
	v_and_b32_sdwa v0, v31, v0 dst_sel:DWORD dst_unused:UNUSED_PAD src0_sel:WORD_1 src1_sel:DWORD
	v_cmpx_ne_u16_e32 0, v0
	s_cbranch_execz .LBB395_259
; %bb.252:                              ;   in Loop: Header=BB395_11 Depth=1
	v_bfrev_b32_e32 v76, 1
	s_mov_b32 s22, exec_lo
	v_cmpx_ne_u16_e32 0x80, v0
	s_cbranch_execz .LBB395_258
; %bb.253:                              ;   in Loop: Header=BB395_11 Depth=1
	v_bfe_u32 v1, v31, 16, 7
	v_mov_b32_e32 v76, 0x7f800001
	s_mov_b32 s23, exec_lo
	v_cmpx_ne_u32_e32 0x7f, v1
	s_cbranch_execz .LBB395_257
; %bb.254:                              ;   in Loop: Header=BB395_11 Depth=1
	v_mov_b32_e32 v0, 7
	s_mov_b32 s24, exec_lo
	v_and_b32_sdwa v18, v31, v0 dst_sel:DWORD dst_unused:UNUSED_PAD src0_sel:WORD_1 src1_sel:DWORD
	v_mov_b32_e32 v33, v19
	v_lshrrev_b32_e32 v0, 3, v1
	v_mov_b32_e32 v32, v18
	v_cmpx_gt_u32_e32 8, v1
; %bb.255:                              ;   in Loop: Header=BB395_11 Depth=1
	v_ffbh_u32_e32 v0, v18
	v_min_u32_e32 v0, 32, v0
	v_subrev_nc_u32_e32 v1, 28, v0
	v_sub_nc_u32_e32 v0, 29, v0
	v_lshlrev_b64 v[1:2], v1, v[18:19]
	v_and_b32_e32 v32, 7, v1
; %bb.256:                              ;   in Loop: Header=BB395_11 Depth=1
	s_or_b32 exec_lo, exec_lo, s24
	v_mov_b32_e32 v1, 24
	v_lshlrev_b32_e32 v2, 20, v32
	v_lshl_add_u32 v0, v0, 23, 0x3c000000
	v_lshlrev_b32_sdwa v1, v1, v31 dst_sel:DWORD dst_unused:UNUSED_PAD src0_sel:DWORD src1_sel:WORD_1
	v_and_b32_e32 v1, 0x80000000, v1
	v_or3_b32 v76, v2, v1, v0
.LBB395_257:                            ;   in Loop: Header=BB395_11 Depth=1
	s_or_b32 exec_lo, exec_lo, s23
.LBB395_258:                            ;   in Loop: Header=BB395_11 Depth=1
	s_or_b32 exec_lo, exec_lo, s22
.LBB395_259:                            ;   in Loop: Header=BB395_11 Depth=1
	s_or_b32 exec_lo, exec_lo, s6
	v_mov_b32_e32 v79, 0
	v_mov_b32_e32 v78, 0
	s_mov_b32 s6, exec_lo
	v_cmpx_lt_u64_e64 s[8:9], v[30:31]
	s_cbranch_execz .LBB395_267
; %bb.260:                              ;   in Loop: Header=BB395_11 Depth=1
	v_mov_b32_e32 v0, 0x80
	v_bfrev_b32_e32 v78, 1
	v_cmp_ne_u32_sdwa s5, v31, v0 src0_sel:BYTE_3 src1_sel:DWORD
	s_and_saveexec_b32 s22, s5
	s_cbranch_execz .LBB395_266
; %bb.261:                              ;   in Loop: Header=BB395_11 Depth=1
	v_bfe_u32 v1, v31, 24, 7
	v_mov_b32_e32 v78, 0x7f800001
	s_mov_b32 s23, exec_lo
	v_cmpx_ne_u32_e32 0x7f, v1
	s_cbranch_execz .LBB395_265
; %bb.262:                              ;   in Loop: Header=BB395_11 Depth=1
	v_mov_b32_e32 v0, 7
	s_mov_b32 s24, exec_lo
	v_and_b32_sdwa v18, v31, v0 dst_sel:DWORD dst_unused:UNUSED_PAD src0_sel:BYTE_3 src1_sel:DWORD
	v_mov_b32_e32 v33, v19
	v_lshrrev_b32_e32 v0, 3, v1
	v_mov_b32_e32 v32, v18
	v_cmpx_gt_u32_e32 8, v1
; %bb.263:                              ;   in Loop: Header=BB395_11 Depth=1
	v_ffbh_u32_e32 v0, v18
	v_min_u32_e32 v0, 32, v0
	v_subrev_nc_u32_e32 v1, 28, v0
	v_sub_nc_u32_e32 v0, 29, v0
	v_lshlrev_b64 v[1:2], v1, v[18:19]
	v_and_b32_e32 v32, 7, v1
; %bb.264:                              ;   in Loop: Header=BB395_11 Depth=1
	s_or_b32 exec_lo, exec_lo, s24
	v_mov_b32_e32 v1, 24
	v_lshlrev_b32_e32 v2, 20, v32
	v_lshl_add_u32 v0, v0, 23, 0x3c000000
	v_lshlrev_b32_sdwa v1, v1, v31 dst_sel:DWORD dst_unused:UNUSED_PAD src0_sel:DWORD src1_sel:BYTE_3
	v_and_b32_e32 v1, 0x80000000, v1
	v_or3_b32 v78, v2, v1, v0
.LBB395_265:                            ;   in Loop: Header=BB395_11 Depth=1
	s_or_b32 exec_lo, exec_lo, s23
.LBB395_266:                            ;   in Loop: Header=BB395_11 Depth=1
	s_or_b32 exec_lo, exec_lo, s22
.LBB395_267:                            ;   in Loop: Header=BB395_11 Depth=1
	s_or_b32 exec_lo, exec_lo, s6
	flat_load_dwordx2 v[30:31], v[28:29] offset:1024
	s_waitcnt vmcnt(0) lgkmcnt(0)
	v_cmp_ne_u16_sdwa s5, v30, v19 src0_sel:BYTE_0 src1_sel:DWORD
	s_and_saveexec_b32 s6, s5
	s_cbranch_execz .LBB395_275
; %bb.268:                              ;   in Loop: Header=BB395_11 Depth=1
	v_mov_b32_e32 v0, 0x80
	v_bfrev_b32_e32 v79, 1
	v_cmp_ne_u16_sdwa s5, v30, v0 src0_sel:BYTE_0 src1_sel:DWORD
	s_and_saveexec_b32 s22, s5
	s_cbranch_execz .LBB395_274
; %bb.269:                              ;   in Loop: Header=BB395_11 Depth=1
	v_and_b32_e32 v1, 0x7f, v30
	v_mov_b32_e32 v79, 0x7f800001
	s_mov_b32 s23, exec_lo
	v_cmpx_ne_u32_e32 0x7f, v1
	s_cbranch_execz .LBB395_273
; %bb.270:                              ;   in Loop: Header=BB395_11 Depth=1
	v_mov_b32_e32 v33, v31
	v_lshrrev_b32_e32 v0, 3, v1
	v_mov_b32_e32 v32, v30
	s_mov_b32 s24, exec_lo
	v_cmpx_gt_u32_e32 8, v1
; %bb.271:                              ;   in Loop: Header=BB395_11 Depth=1
	v_and_b32_e32 v0, 7, v30
	v_ffbh_u32_e32 v0, v0
	v_min_u32_e32 v0, 32, v0
	v_subrev_nc_u32_e32 v1, 28, v0
	v_sub_nc_u32_e32 v0, 29, v0
	v_lshlrev_b64 v[32:33], v1, v[30:31]
; %bb.272:                              ;   in Loop: Header=BB395_11 Depth=1
	s_or_b32 exec_lo, exec_lo, s24
	v_lshlrev_b32_e32 v1, 20, v32
	v_lshlrev_b32_e32 v2, 24, v30
	v_lshl_add_u32 v0, v0, 23, 0x3c000000
	v_and_b32_e32 v1, 0x700000, v1
	v_and_b32_e32 v2, 0x80000000, v2
	v_or3_b32 v79, v1, v2, v0
.LBB395_273:                            ;   in Loop: Header=BB395_11 Depth=1
	s_or_b32 exec_lo, exec_lo, s23
.LBB395_274:                            ;   in Loop: Header=BB395_11 Depth=1
	s_or_b32 exec_lo, exec_lo, s22
.LBB395_275:                            ;   in Loop: Header=BB395_11 Depth=1
	s_or_b32 exec_lo, exec_lo, s6
	v_cmp_ne_u16_sdwa s5, v30, v19 src0_sel:BYTE_1 src1_sel:DWORD
	v_mov_b32_e32 v89, 0
	v_mov_b32_e32 v88, 0
	s_and_saveexec_b32 s6, s5
	s_cbranch_execz .LBB395_283
; %bb.276:                              ;   in Loop: Header=BB395_11 Depth=1
	v_mov_b32_e32 v0, 0x80
	v_bfrev_b32_e32 v88, 1
	v_cmp_ne_u16_sdwa s5, v30, v0 src0_sel:BYTE_1 src1_sel:DWORD
	s_and_saveexec_b32 s22, s5
	s_cbranch_execz .LBB395_282
; %bb.277:                              ;   in Loop: Header=BB395_11 Depth=1
	v_mov_b32_e32 v0, 0xffff
	v_mov_b32_e32 v88, 0x7f800001
	s_mov_b32 s23, exec_lo
	v_and_b32_sdwa v0, v0, v30 dst_sel:DWORD dst_unused:UNUSED_PAD src0_sel:DWORD src1_sel:BYTE_1
	v_and_b32_e32 v1, 0x7f, v0
	v_cmpx_ne_u32_e32 0x7f, v1
	s_cbranch_execz .LBB395_281
; %bb.278:                              ;   in Loop: Header=BB395_11 Depth=1
	v_and_b32_e32 v18, 7, v0
	v_mov_b32_e32 v33, v19
	v_lshrrev_b32_e32 v0, 3, v1
	s_mov_b32 s24, exec_lo
	v_mov_b32_e32 v32, v18
	v_cmpx_gt_u32_e32 8, v1
; %bb.279:                              ;   in Loop: Header=BB395_11 Depth=1
	v_ffbh_u32_e32 v0, v18
	v_min_u32_e32 v0, 32, v0
	v_subrev_nc_u32_e32 v1, 28, v0
	v_sub_nc_u32_e32 v0, 29, v0
	v_lshlrev_b64 v[1:2], v1, v[18:19]
	v_and_b32_e32 v32, 7, v1
; %bb.280:                              ;   in Loop: Header=BB395_11 Depth=1
	s_or_b32 exec_lo, exec_lo, s24
	v_lshlrev_b32_e32 v1, 16, v30
	v_lshlrev_b32_e32 v2, 20, v32
	v_lshl_add_u32 v0, v0, 23, 0x3c000000
	v_and_b32_e32 v1, 0x80000000, v1
	v_or3_b32 v88, v2, v1, v0
.LBB395_281:                            ;   in Loop: Header=BB395_11 Depth=1
	s_or_b32 exec_lo, exec_lo, s23
.LBB395_282:                            ;   in Loop: Header=BB395_11 Depth=1
	s_or_b32 exec_lo, exec_lo, s22
.LBB395_283:                            ;   in Loop: Header=BB395_11 Depth=1
	s_or_b32 exec_lo, exec_lo, s6
	v_mov_b32_e32 v0, 0xff
	s_mov_b32 s6, exec_lo
	v_and_b32_sdwa v0, v30, v0 dst_sel:DWORD dst_unused:UNUSED_PAD src0_sel:WORD_1 src1_sel:DWORD
	v_cmpx_ne_u16_e32 0, v0
	s_cbranch_execz .LBB395_291
; %bb.284:                              ;   in Loop: Header=BB395_11 Depth=1
	v_bfrev_b32_e32 v89, 1
	s_mov_b32 s22, exec_lo
	v_cmpx_ne_u16_e32 0x80, v0
	s_cbranch_execz .LBB395_290
; %bb.285:                              ;   in Loop: Header=BB395_11 Depth=1
	v_bfe_u32 v1, v30, 16, 7
	v_mov_b32_e32 v89, 0x7f800001
	s_mov_b32 s23, exec_lo
	v_cmpx_ne_u32_e32 0x7f, v1
	s_cbranch_execz .LBB395_289
; %bb.286:                              ;   in Loop: Header=BB395_11 Depth=1
	v_mov_b32_e32 v0, 7
	s_mov_b32 s24, exec_lo
	v_and_b32_sdwa v18, v30, v0 dst_sel:DWORD dst_unused:UNUSED_PAD src0_sel:WORD_1 src1_sel:DWORD
	v_mov_b32_e32 v33, v19
	v_lshrrev_b32_e32 v0, 3, v1
	v_mov_b32_e32 v32, v18
	v_cmpx_gt_u32_e32 8, v1
; %bb.287:                              ;   in Loop: Header=BB395_11 Depth=1
	v_ffbh_u32_e32 v0, v18
	v_min_u32_e32 v0, 32, v0
	v_subrev_nc_u32_e32 v1, 28, v0
	v_sub_nc_u32_e32 v0, 29, v0
	v_lshlrev_b64 v[1:2], v1, v[18:19]
	v_and_b32_e32 v32, 7, v1
; %bb.288:                              ;   in Loop: Header=BB395_11 Depth=1
	s_or_b32 exec_lo, exec_lo, s24
	v_mov_b32_e32 v1, 24
	v_lshlrev_b32_e32 v2, 20, v32
	v_lshl_add_u32 v0, v0, 23, 0x3c000000
	v_lshlrev_b32_sdwa v1, v1, v30 dst_sel:DWORD dst_unused:UNUSED_PAD src0_sel:DWORD src1_sel:WORD_1
	v_and_b32_e32 v1, 0x80000000, v1
	v_or3_b32 v89, v2, v1, v0
.LBB395_289:                            ;   in Loop: Header=BB395_11 Depth=1
	s_or_b32 exec_lo, exec_lo, s23
.LBB395_290:                            ;   in Loop: Header=BB395_11 Depth=1
	s_or_b32 exec_lo, exec_lo, s22
.LBB395_291:                            ;   in Loop: Header=BB395_11 Depth=1
	s_or_b32 exec_lo, exec_lo, s6
	v_mov_b32_e32 v91, 0
	v_mov_b32_e32 v90, 0
	s_mov_b32 s6, exec_lo
	v_cmpx_lt_u32_e32 0xffffff, v30
	s_cbranch_execz .LBB395_299
; %bb.292:                              ;   in Loop: Header=BB395_11 Depth=1
	v_mov_b32_e32 v0, 0x80
	v_bfrev_b32_e32 v90, 1
	v_cmp_ne_u32_sdwa s5, v30, v0 src0_sel:BYTE_3 src1_sel:DWORD
	s_and_saveexec_b32 s22, s5
	s_cbranch_execz .LBB395_298
; %bb.293:                              ;   in Loop: Header=BB395_11 Depth=1
	v_bfe_u32 v1, v30, 24, 7
	v_mov_b32_e32 v90, 0x7f800001
	s_mov_b32 s23, exec_lo
	v_cmpx_ne_u32_e32 0x7f, v1
	s_cbranch_execz .LBB395_297
; %bb.294:                              ;   in Loop: Header=BB395_11 Depth=1
	v_mov_b32_e32 v0, 7
	s_mov_b32 s24, exec_lo
	v_and_b32_sdwa v18, v30, v0 dst_sel:DWORD dst_unused:UNUSED_PAD src0_sel:BYTE_3 src1_sel:DWORD
	v_mov_b32_e32 v33, v19
	v_lshrrev_b32_e32 v0, 3, v1
	v_mov_b32_e32 v32, v18
	v_cmpx_gt_u32_e32 8, v1
; %bb.295:                              ;   in Loop: Header=BB395_11 Depth=1
	v_ffbh_u32_e32 v0, v18
	v_min_u32_e32 v0, 32, v0
	v_subrev_nc_u32_e32 v1, 28, v0
	v_sub_nc_u32_e32 v0, 29, v0
	v_lshlrev_b64 v[1:2], v1, v[18:19]
	v_and_b32_e32 v32, 7, v1
; %bb.296:                              ;   in Loop: Header=BB395_11 Depth=1
	s_or_b32 exec_lo, exec_lo, s24
	v_mov_b32_e32 v1, 24
	v_lshlrev_b32_e32 v2, 20, v32
	v_lshl_add_u32 v0, v0, 23, 0x3c000000
	v_lshlrev_b32_sdwa v1, v1, v30 dst_sel:DWORD dst_unused:UNUSED_PAD src0_sel:DWORD src1_sel:BYTE_3
	v_and_b32_e32 v1, 0x80000000, v1
	v_or3_b32 v90, v2, v1, v0
.LBB395_297:                            ;   in Loop: Header=BB395_11 Depth=1
	s_or_b32 exec_lo, exec_lo, s23
.LBB395_298:                            ;   in Loop: Header=BB395_11 Depth=1
	s_or_b32 exec_lo, exec_lo, s22
.LBB395_299:                            ;   in Loop: Header=BB395_11 Depth=1
	s_or_b32 exec_lo, exec_lo, s6
	v_mov_b32_e32 v18, v31
	v_cmp_ne_u16_sdwa s5, v31, v19 src0_sel:BYTE_0 src1_sel:DWORD
	s_and_saveexec_b32 s6, s5
	s_cbranch_execz .LBB395_307
; %bb.300:                              ;   in Loop: Header=BB395_11 Depth=1
	v_mov_b32_e32 v0, 0x80
	v_bfrev_b32_e32 v91, 1
	v_cmp_ne_u16_sdwa s5, v31, v0 src0_sel:BYTE_0 src1_sel:DWORD
	s_and_saveexec_b32 s22, s5
	s_cbranch_execz .LBB395_306
; %bb.301:                              ;   in Loop: Header=BB395_11 Depth=1
	v_and_b32_e32 v1, 0x7f, v31
	v_mov_b32_e32 v91, 0x7f800001
	s_mov_b32 s23, exec_lo
	v_cmpx_ne_u32_e32 0x7f, v1
	s_cbranch_execz .LBB395_305
; %bb.302:                              ;   in Loop: Header=BB395_11 Depth=1
	v_mov_b32_e32 v33, v19
	v_lshrrev_b32_e32 v0, 3, v1
	v_mov_b32_e32 v32, v18
	s_mov_b32 s24, exec_lo
	v_cmpx_gt_u32_e32 8, v1
; %bb.303:                              ;   in Loop: Header=BB395_11 Depth=1
	v_and_b32_e32 v0, 7, v31
	v_ffbh_u32_e32 v0, v0
	v_min_u32_e32 v0, 32, v0
	v_subrev_nc_u32_e32 v1, 28, v0
	v_sub_nc_u32_e32 v0, 29, v0
	v_lshlrev_b64 v[32:33], v1, v[18:19]
; %bb.304:                              ;   in Loop: Header=BB395_11 Depth=1
	s_or_b32 exec_lo, exec_lo, s24
	v_lshlrev_b32_e32 v1, 20, v32
	v_lshlrev_b32_e32 v2, 24, v18
	v_lshl_add_u32 v0, v0, 23, 0x3c000000
	v_and_b32_e32 v1, 0x700000, v1
	v_and_b32_e32 v2, 0x80000000, v2
	v_or3_b32 v91, v1, v2, v0
.LBB395_305:                            ;   in Loop: Header=BB395_11 Depth=1
	s_or_b32 exec_lo, exec_lo, s23
.LBB395_306:                            ;   in Loop: Header=BB395_11 Depth=1
	s_or_b32 exec_lo, exec_lo, s22
.LBB395_307:                            ;   in Loop: Header=BB395_11 Depth=1
	s_or_b32 exec_lo, exec_lo, s6
	v_cmp_ne_u16_sdwa s5, v18, v19 src0_sel:BYTE_1 src1_sel:DWORD
	v_mov_b32_e32 v92, 0
	v_mov_b32_e32 v93, 0
	s_and_saveexec_b32 s6, s5
	s_cbranch_execz .LBB395_315
; %bb.308:                              ;   in Loop: Header=BB395_11 Depth=1
	v_mov_b32_e32 v0, 0x80
	v_bfrev_b32_e32 v93, 1
	v_cmp_ne_u16_sdwa s5, v18, v0 src0_sel:BYTE_1 src1_sel:DWORD
	s_and_saveexec_b32 s22, s5
	s_cbranch_execz .LBB395_314
; %bb.309:                              ;   in Loop: Header=BB395_11 Depth=1
	v_mov_b32_e32 v0, 0xffff
	v_mov_b32_e32 v93, 0x7f800001
	s_mov_b32 s23, exec_lo
	v_and_b32_sdwa v0, v0, v18 dst_sel:DWORD dst_unused:UNUSED_PAD src0_sel:DWORD src1_sel:BYTE_1
	v_and_b32_e32 v1, 0x7f, v0
	v_cmpx_ne_u32_e32 0x7f, v1
	s_cbranch_execz .LBB395_313
; %bb.310:                              ;   in Loop: Header=BB395_11 Depth=1
	v_and_b32_e32 v32, 7, v0
	v_mov_b32_e32 v33, v19
	v_lshrrev_b32_e32 v0, 3, v1
	s_mov_b32 s24, exec_lo
	v_cmpx_gt_u32_e32 8, v1
; %bb.311:                              ;   in Loop: Header=BB395_11 Depth=1
	v_ffbh_u32_e32 v0, v32
	v_min_u32_e32 v0, 32, v0
	v_subrev_nc_u32_e32 v1, 28, v0
	v_sub_nc_u32_e32 v0, 29, v0
	v_lshlrev_b64 v[1:2], v1, v[32:33]
	v_and_b32_e32 v32, 7, v1
; %bb.312:                              ;   in Loop: Header=BB395_11 Depth=1
	s_or_b32 exec_lo, exec_lo, s24
	v_lshlrev_b32_e32 v1, 16, v18
	v_lshlrev_b32_e32 v2, 20, v32
	v_lshl_add_u32 v0, v0, 23, 0x3c000000
	v_and_b32_e32 v1, 0x80000000, v1
	v_or3_b32 v93, v2, v1, v0
.LBB395_313:                            ;   in Loop: Header=BB395_11 Depth=1
	s_or_b32 exec_lo, exec_lo, s23
.LBB395_314:                            ;   in Loop: Header=BB395_11 Depth=1
	s_or_b32 exec_lo, exec_lo, s22
.LBB395_315:                            ;   in Loop: Header=BB395_11 Depth=1
	s_or_b32 exec_lo, exec_lo, s6
	v_mov_b32_e32 v0, 0xff
	s_mov_b32 s6, exec_lo
	v_and_b32_sdwa v0, v31, v0 dst_sel:DWORD dst_unused:UNUSED_PAD src0_sel:WORD_1 src1_sel:DWORD
	v_cmpx_ne_u16_e32 0, v0
	s_cbranch_execz .LBB395_323
; %bb.316:                              ;   in Loop: Header=BB395_11 Depth=1
	v_bfrev_b32_e32 v92, 1
	s_mov_b32 s22, exec_lo
	v_cmpx_ne_u16_e32 0x80, v0
	s_cbranch_execz .LBB395_322
; %bb.317:                              ;   in Loop: Header=BB395_11 Depth=1
	v_bfe_u32 v1, v31, 16, 7
	v_mov_b32_e32 v92, 0x7f800001
	s_mov_b32 s23, exec_lo
	v_cmpx_ne_u32_e32 0x7f, v1
	s_cbranch_execz .LBB395_321
; %bb.318:                              ;   in Loop: Header=BB395_11 Depth=1
	v_mov_b32_e32 v0, 7
	s_mov_b32 s24, exec_lo
	v_and_b32_sdwa v18, v31, v0 dst_sel:DWORD dst_unused:UNUSED_PAD src0_sel:WORD_1 src1_sel:DWORD
	v_mov_b32_e32 v33, v19
	v_lshrrev_b32_e32 v0, 3, v1
	v_mov_b32_e32 v32, v18
	v_cmpx_gt_u32_e32 8, v1
; %bb.319:                              ;   in Loop: Header=BB395_11 Depth=1
	v_ffbh_u32_e32 v0, v18
	v_min_u32_e32 v0, 32, v0
	v_subrev_nc_u32_e32 v1, 28, v0
	v_sub_nc_u32_e32 v0, 29, v0
	v_lshlrev_b64 v[1:2], v1, v[18:19]
	v_and_b32_e32 v32, 7, v1
; %bb.320:                              ;   in Loop: Header=BB395_11 Depth=1
	s_or_b32 exec_lo, exec_lo, s24
	v_mov_b32_e32 v1, 24
	v_lshlrev_b32_e32 v2, 20, v32
	v_lshl_add_u32 v0, v0, 23, 0x3c000000
	v_lshlrev_b32_sdwa v1, v1, v31 dst_sel:DWORD dst_unused:UNUSED_PAD src0_sel:DWORD src1_sel:WORD_1
	v_and_b32_e32 v1, 0x80000000, v1
	v_or3_b32 v92, v2, v1, v0
.LBB395_321:                            ;   in Loop: Header=BB395_11 Depth=1
	s_or_b32 exec_lo, exec_lo, s23
.LBB395_322:                            ;   in Loop: Header=BB395_11 Depth=1
	s_or_b32 exec_lo, exec_lo, s22
.LBB395_323:                            ;   in Loop: Header=BB395_11 Depth=1
	s_or_b32 exec_lo, exec_lo, s6
	v_mov_b32_e32 v95, 0
	v_mov_b32_e32 v94, 0
	s_mov_b32 s6, exec_lo
	v_cmpx_lt_u64_e64 s[8:9], v[30:31]
	s_cbranch_execz .LBB395_331
; %bb.324:                              ;   in Loop: Header=BB395_11 Depth=1
	v_mov_b32_e32 v0, 0x80
	v_bfrev_b32_e32 v94, 1
	v_cmp_ne_u32_sdwa s5, v31, v0 src0_sel:BYTE_3 src1_sel:DWORD
	s_and_saveexec_b32 s22, s5
	s_cbranch_execz .LBB395_330
; %bb.325:                              ;   in Loop: Header=BB395_11 Depth=1
	v_bfe_u32 v1, v31, 24, 7
	v_mov_b32_e32 v94, 0x7f800001
	s_mov_b32 s23, exec_lo
	v_cmpx_ne_u32_e32 0x7f, v1
	s_cbranch_execz .LBB395_329
; %bb.326:                              ;   in Loop: Header=BB395_11 Depth=1
	v_mov_b32_e32 v0, 7
	s_mov_b32 s24, exec_lo
	v_and_b32_sdwa v18, v31, v0 dst_sel:DWORD dst_unused:UNUSED_PAD src0_sel:BYTE_3 src1_sel:DWORD
	v_mov_b32_e32 v33, v19
	v_lshrrev_b32_e32 v0, 3, v1
	v_mov_b32_e32 v32, v18
	v_cmpx_gt_u32_e32 8, v1
; %bb.327:                              ;   in Loop: Header=BB395_11 Depth=1
	v_ffbh_u32_e32 v0, v18
	v_min_u32_e32 v0, 32, v0
	v_subrev_nc_u32_e32 v1, 28, v0
	v_sub_nc_u32_e32 v0, 29, v0
	v_lshlrev_b64 v[1:2], v1, v[18:19]
	v_and_b32_e32 v32, 7, v1
; %bb.328:                              ;   in Loop: Header=BB395_11 Depth=1
	s_or_b32 exec_lo, exec_lo, s24
	v_mov_b32_e32 v1, 24
	v_lshlrev_b32_e32 v2, 20, v32
	v_lshl_add_u32 v0, v0, 23, 0x3c000000
	v_lshlrev_b32_sdwa v1, v1, v31 dst_sel:DWORD dst_unused:UNUSED_PAD src0_sel:DWORD src1_sel:BYTE_3
	v_and_b32_e32 v1, 0x80000000, v1
	v_or3_b32 v94, v2, v1, v0
.LBB395_329:                            ;   in Loop: Header=BB395_11 Depth=1
	s_or_b32 exec_lo, exec_lo, s23
.LBB395_330:                            ;   in Loop: Header=BB395_11 Depth=1
	s_or_b32 exec_lo, exec_lo, s22
.LBB395_331:                            ;   in Loop: Header=BB395_11 Depth=1
	s_or_b32 exec_lo, exec_lo, s6
	flat_load_dwordx2 v[30:31], v[28:29] offset:1032
	s_waitcnt vmcnt(0) lgkmcnt(0)
	v_cmp_ne_u16_sdwa s5, v30, v19 src0_sel:BYTE_0 src1_sel:DWORD
	s_and_saveexec_b32 s6, s5
	s_cbranch_execz .LBB395_339
; %bb.332:                              ;   in Loop: Header=BB395_11 Depth=1
	v_mov_b32_e32 v0, 0x80
	v_bfrev_b32_e32 v95, 1
	v_cmp_ne_u16_sdwa s5, v30, v0 src0_sel:BYTE_0 src1_sel:DWORD
	s_and_saveexec_b32 s22, s5
	s_cbranch_execz .LBB395_338
; %bb.333:                              ;   in Loop: Header=BB395_11 Depth=1
	v_and_b32_e32 v1, 0x7f, v30
	v_mov_b32_e32 v95, 0x7f800001
	s_mov_b32 s23, exec_lo
	v_cmpx_ne_u32_e32 0x7f, v1
	s_cbranch_execz .LBB395_337
; %bb.334:                              ;   in Loop: Header=BB395_11 Depth=1
	v_mov_b32_e32 v33, v31
	v_lshrrev_b32_e32 v0, 3, v1
	v_mov_b32_e32 v32, v30
	s_mov_b32 s24, exec_lo
	v_cmpx_gt_u32_e32 8, v1
; %bb.335:                              ;   in Loop: Header=BB395_11 Depth=1
	v_and_b32_e32 v0, 7, v30
	v_ffbh_u32_e32 v0, v0
	v_min_u32_e32 v0, 32, v0
	v_subrev_nc_u32_e32 v1, 28, v0
	v_sub_nc_u32_e32 v0, 29, v0
	v_lshlrev_b64 v[32:33], v1, v[30:31]
; %bb.336:                              ;   in Loop: Header=BB395_11 Depth=1
	s_or_b32 exec_lo, exec_lo, s24
	v_lshlrev_b32_e32 v1, 20, v32
	v_lshlrev_b32_e32 v2, 24, v30
	v_lshl_add_u32 v0, v0, 23, 0x3c000000
	v_and_b32_e32 v1, 0x700000, v1
	v_and_b32_e32 v2, 0x80000000, v2
	v_or3_b32 v95, v1, v2, v0
.LBB395_337:                            ;   in Loop: Header=BB395_11 Depth=1
	s_or_b32 exec_lo, exec_lo, s23
.LBB395_338:                            ;   in Loop: Header=BB395_11 Depth=1
	s_or_b32 exec_lo, exec_lo, s22
.LBB395_339:                            ;   in Loop: Header=BB395_11 Depth=1
	s_or_b32 exec_lo, exec_lo, s6
	v_cmp_ne_u16_sdwa s5, v30, v19 src0_sel:BYTE_1 src1_sel:DWORD
	v_mov_b32_e32 v105, 0
	v_mov_b32_e32 v104, 0
	s_and_saveexec_b32 s6, s5
	s_cbranch_execz .LBB395_347
; %bb.340:                              ;   in Loop: Header=BB395_11 Depth=1
	v_mov_b32_e32 v0, 0x80
	v_bfrev_b32_e32 v104, 1
	v_cmp_ne_u16_sdwa s5, v30, v0 src0_sel:BYTE_1 src1_sel:DWORD
	s_and_saveexec_b32 s22, s5
	s_cbranch_execz .LBB395_346
; %bb.341:                              ;   in Loop: Header=BB395_11 Depth=1
	v_mov_b32_e32 v0, 0xffff
	v_mov_b32_e32 v104, 0x7f800001
	s_mov_b32 s23, exec_lo
	v_and_b32_sdwa v0, v0, v30 dst_sel:DWORD dst_unused:UNUSED_PAD src0_sel:DWORD src1_sel:BYTE_1
	v_and_b32_e32 v1, 0x7f, v0
	v_cmpx_ne_u32_e32 0x7f, v1
	s_cbranch_execz .LBB395_345
; %bb.342:                              ;   in Loop: Header=BB395_11 Depth=1
	v_and_b32_e32 v18, 7, v0
	v_mov_b32_e32 v33, v19
	v_lshrrev_b32_e32 v0, 3, v1
	s_mov_b32 s24, exec_lo
	v_mov_b32_e32 v32, v18
	v_cmpx_gt_u32_e32 8, v1
; %bb.343:                              ;   in Loop: Header=BB395_11 Depth=1
	v_ffbh_u32_e32 v0, v18
	v_min_u32_e32 v0, 32, v0
	v_subrev_nc_u32_e32 v1, 28, v0
	v_sub_nc_u32_e32 v0, 29, v0
	v_lshlrev_b64 v[1:2], v1, v[18:19]
	v_and_b32_e32 v32, 7, v1
; %bb.344:                              ;   in Loop: Header=BB395_11 Depth=1
	s_or_b32 exec_lo, exec_lo, s24
	v_lshlrev_b32_e32 v1, 16, v30
	v_lshlrev_b32_e32 v2, 20, v32
	v_lshl_add_u32 v0, v0, 23, 0x3c000000
	v_and_b32_e32 v1, 0x80000000, v1
	v_or3_b32 v104, v2, v1, v0
.LBB395_345:                            ;   in Loop: Header=BB395_11 Depth=1
	s_or_b32 exec_lo, exec_lo, s23
.LBB395_346:                            ;   in Loop: Header=BB395_11 Depth=1
	s_or_b32 exec_lo, exec_lo, s22
.LBB395_347:                            ;   in Loop: Header=BB395_11 Depth=1
	s_or_b32 exec_lo, exec_lo, s6
	v_mov_b32_e32 v0, 0xff
	s_mov_b32 s6, exec_lo
	v_and_b32_sdwa v0, v30, v0 dst_sel:DWORD dst_unused:UNUSED_PAD src0_sel:WORD_1 src1_sel:DWORD
	v_cmpx_ne_u16_e32 0, v0
	s_cbranch_execz .LBB395_355
; %bb.348:                              ;   in Loop: Header=BB395_11 Depth=1
	v_bfrev_b32_e32 v105, 1
	s_mov_b32 s22, exec_lo
	v_cmpx_ne_u16_e32 0x80, v0
	s_cbranch_execz .LBB395_354
; %bb.349:                              ;   in Loop: Header=BB395_11 Depth=1
	v_bfe_u32 v1, v30, 16, 7
	v_mov_b32_e32 v105, 0x7f800001
	s_mov_b32 s23, exec_lo
	v_cmpx_ne_u32_e32 0x7f, v1
	s_cbranch_execz .LBB395_353
; %bb.350:                              ;   in Loop: Header=BB395_11 Depth=1
	v_mov_b32_e32 v0, 7
	s_mov_b32 s24, exec_lo
	v_and_b32_sdwa v18, v30, v0 dst_sel:DWORD dst_unused:UNUSED_PAD src0_sel:WORD_1 src1_sel:DWORD
	v_mov_b32_e32 v33, v19
	v_lshrrev_b32_e32 v0, 3, v1
	v_mov_b32_e32 v32, v18
	v_cmpx_gt_u32_e32 8, v1
; %bb.351:                              ;   in Loop: Header=BB395_11 Depth=1
	v_ffbh_u32_e32 v0, v18
	v_min_u32_e32 v0, 32, v0
	v_subrev_nc_u32_e32 v1, 28, v0
	v_sub_nc_u32_e32 v0, 29, v0
	v_lshlrev_b64 v[1:2], v1, v[18:19]
	v_and_b32_e32 v32, 7, v1
; %bb.352:                              ;   in Loop: Header=BB395_11 Depth=1
	s_or_b32 exec_lo, exec_lo, s24
	v_mov_b32_e32 v1, 24
	v_lshlrev_b32_e32 v2, 20, v32
	v_lshl_add_u32 v0, v0, 23, 0x3c000000
	v_lshlrev_b32_sdwa v1, v1, v30 dst_sel:DWORD dst_unused:UNUSED_PAD src0_sel:DWORD src1_sel:WORD_1
	v_and_b32_e32 v1, 0x80000000, v1
	v_or3_b32 v105, v2, v1, v0
.LBB395_353:                            ;   in Loop: Header=BB395_11 Depth=1
	s_or_b32 exec_lo, exec_lo, s23
.LBB395_354:                            ;   in Loop: Header=BB395_11 Depth=1
	s_or_b32 exec_lo, exec_lo, s22
.LBB395_355:                            ;   in Loop: Header=BB395_11 Depth=1
	s_or_b32 exec_lo, exec_lo, s6
	v_mov_b32_e32 v107, 0
	v_mov_b32_e32 v106, 0
	s_mov_b32 s6, exec_lo
	v_cmpx_lt_u32_e32 0xffffff, v30
	s_cbranch_execz .LBB395_363
; %bb.356:                              ;   in Loop: Header=BB395_11 Depth=1
	v_mov_b32_e32 v0, 0x80
	v_bfrev_b32_e32 v106, 1
	v_cmp_ne_u32_sdwa s5, v30, v0 src0_sel:BYTE_3 src1_sel:DWORD
	s_and_saveexec_b32 s22, s5
	s_cbranch_execz .LBB395_362
; %bb.357:                              ;   in Loop: Header=BB395_11 Depth=1
	v_bfe_u32 v1, v30, 24, 7
	v_mov_b32_e32 v106, 0x7f800001
	s_mov_b32 s23, exec_lo
	v_cmpx_ne_u32_e32 0x7f, v1
	s_cbranch_execz .LBB395_361
; %bb.358:                              ;   in Loop: Header=BB395_11 Depth=1
	v_mov_b32_e32 v0, 7
	s_mov_b32 s24, exec_lo
	v_and_b32_sdwa v18, v30, v0 dst_sel:DWORD dst_unused:UNUSED_PAD src0_sel:BYTE_3 src1_sel:DWORD
	v_mov_b32_e32 v33, v19
	v_lshrrev_b32_e32 v0, 3, v1
	v_mov_b32_e32 v32, v18
	v_cmpx_gt_u32_e32 8, v1
; %bb.359:                              ;   in Loop: Header=BB395_11 Depth=1
	v_ffbh_u32_e32 v0, v18
	v_min_u32_e32 v0, 32, v0
	v_subrev_nc_u32_e32 v1, 28, v0
	v_sub_nc_u32_e32 v0, 29, v0
	v_lshlrev_b64 v[1:2], v1, v[18:19]
	v_and_b32_e32 v32, 7, v1
; %bb.360:                              ;   in Loop: Header=BB395_11 Depth=1
	s_or_b32 exec_lo, exec_lo, s24
	v_mov_b32_e32 v1, 24
	v_lshlrev_b32_e32 v2, 20, v32
	v_lshl_add_u32 v0, v0, 23, 0x3c000000
	v_lshlrev_b32_sdwa v1, v1, v30 dst_sel:DWORD dst_unused:UNUSED_PAD src0_sel:DWORD src1_sel:BYTE_3
	v_and_b32_e32 v1, 0x80000000, v1
	v_or3_b32 v106, v2, v1, v0
.LBB395_361:                            ;   in Loop: Header=BB395_11 Depth=1
	s_or_b32 exec_lo, exec_lo, s23
.LBB395_362:                            ;   in Loop: Header=BB395_11 Depth=1
	s_or_b32 exec_lo, exec_lo, s22
.LBB395_363:                            ;   in Loop: Header=BB395_11 Depth=1
	s_or_b32 exec_lo, exec_lo, s6
	v_mov_b32_e32 v18, v31
	v_cmp_ne_u16_sdwa s5, v31, v19 src0_sel:BYTE_0 src1_sel:DWORD
	s_and_saveexec_b32 s6, s5
	s_cbranch_execz .LBB395_371
; %bb.364:                              ;   in Loop: Header=BB395_11 Depth=1
	v_mov_b32_e32 v0, 0x80
	v_bfrev_b32_e32 v107, 1
	v_cmp_ne_u16_sdwa s5, v31, v0 src0_sel:BYTE_0 src1_sel:DWORD
	s_and_saveexec_b32 s22, s5
	s_cbranch_execz .LBB395_370
; %bb.365:                              ;   in Loop: Header=BB395_11 Depth=1
	v_and_b32_e32 v1, 0x7f, v31
	v_mov_b32_e32 v107, 0x7f800001
	s_mov_b32 s23, exec_lo
	v_cmpx_ne_u32_e32 0x7f, v1
	s_cbranch_execz .LBB395_369
; %bb.366:                              ;   in Loop: Header=BB395_11 Depth=1
	v_mov_b32_e32 v33, v19
	v_lshrrev_b32_e32 v0, 3, v1
	v_mov_b32_e32 v32, v18
	s_mov_b32 s24, exec_lo
	v_cmpx_gt_u32_e32 8, v1
; %bb.367:                              ;   in Loop: Header=BB395_11 Depth=1
	v_and_b32_e32 v0, 7, v31
	v_ffbh_u32_e32 v0, v0
	v_min_u32_e32 v0, 32, v0
	v_subrev_nc_u32_e32 v1, 28, v0
	v_sub_nc_u32_e32 v0, 29, v0
	v_lshlrev_b64 v[32:33], v1, v[18:19]
; %bb.368:                              ;   in Loop: Header=BB395_11 Depth=1
	s_or_b32 exec_lo, exec_lo, s24
	v_lshlrev_b32_e32 v1, 20, v32
	v_lshlrev_b32_e32 v2, 24, v18
	v_lshl_add_u32 v0, v0, 23, 0x3c000000
	v_and_b32_e32 v1, 0x700000, v1
	v_and_b32_e32 v2, 0x80000000, v2
	v_or3_b32 v107, v1, v2, v0
.LBB395_369:                            ;   in Loop: Header=BB395_11 Depth=1
	s_or_b32 exec_lo, exec_lo, s23
.LBB395_370:                            ;   in Loop: Header=BB395_11 Depth=1
	s_or_b32 exec_lo, exec_lo, s22
.LBB395_371:                            ;   in Loop: Header=BB395_11 Depth=1
	s_or_b32 exec_lo, exec_lo, s6
	v_cmp_ne_u16_sdwa s5, v18, v19 src0_sel:BYTE_1 src1_sel:DWORD
	v_mov_b32_e32 v108, 0
	v_mov_b32_e32 v109, 0
	s_and_saveexec_b32 s6, s5
	s_cbranch_execz .LBB395_379
; %bb.372:                              ;   in Loop: Header=BB395_11 Depth=1
	v_mov_b32_e32 v0, 0x80
	v_bfrev_b32_e32 v109, 1
	v_cmp_ne_u16_sdwa s5, v18, v0 src0_sel:BYTE_1 src1_sel:DWORD
	s_and_saveexec_b32 s22, s5
	s_cbranch_execz .LBB395_378
; %bb.373:                              ;   in Loop: Header=BB395_11 Depth=1
	v_mov_b32_e32 v0, 0xffff
	v_mov_b32_e32 v109, 0x7f800001
	s_mov_b32 s23, exec_lo
	v_and_b32_sdwa v0, v0, v18 dst_sel:DWORD dst_unused:UNUSED_PAD src0_sel:DWORD src1_sel:BYTE_1
	v_and_b32_e32 v1, 0x7f, v0
	v_cmpx_ne_u32_e32 0x7f, v1
	s_cbranch_execz .LBB395_377
; %bb.374:                              ;   in Loop: Header=BB395_11 Depth=1
	v_and_b32_e32 v32, 7, v0
	v_mov_b32_e32 v33, v19
	v_lshrrev_b32_e32 v0, 3, v1
	s_mov_b32 s24, exec_lo
	v_cmpx_gt_u32_e32 8, v1
; %bb.375:                              ;   in Loop: Header=BB395_11 Depth=1
	v_ffbh_u32_e32 v0, v32
	v_min_u32_e32 v0, 32, v0
	v_subrev_nc_u32_e32 v1, 28, v0
	v_sub_nc_u32_e32 v0, 29, v0
	v_lshlrev_b64 v[1:2], v1, v[32:33]
	v_and_b32_e32 v32, 7, v1
; %bb.376:                              ;   in Loop: Header=BB395_11 Depth=1
	s_or_b32 exec_lo, exec_lo, s24
	v_lshlrev_b32_e32 v1, 16, v18
	v_lshlrev_b32_e32 v2, 20, v32
	v_lshl_add_u32 v0, v0, 23, 0x3c000000
	v_and_b32_e32 v1, 0x80000000, v1
	v_or3_b32 v109, v2, v1, v0
.LBB395_377:                            ;   in Loop: Header=BB395_11 Depth=1
	s_or_b32 exec_lo, exec_lo, s23
.LBB395_378:                            ;   in Loop: Header=BB395_11 Depth=1
	s_or_b32 exec_lo, exec_lo, s22
.LBB395_379:                            ;   in Loop: Header=BB395_11 Depth=1
	s_or_b32 exec_lo, exec_lo, s6
	v_mov_b32_e32 v0, 0xff
	s_mov_b32 s6, exec_lo
	v_and_b32_sdwa v0, v31, v0 dst_sel:DWORD dst_unused:UNUSED_PAD src0_sel:WORD_1 src1_sel:DWORD
	v_cmpx_ne_u16_e32 0, v0
	s_cbranch_execz .LBB395_387
; %bb.380:                              ;   in Loop: Header=BB395_11 Depth=1
	v_bfrev_b32_e32 v108, 1
	s_mov_b32 s22, exec_lo
	v_cmpx_ne_u16_e32 0x80, v0
	s_cbranch_execz .LBB395_386
; %bb.381:                              ;   in Loop: Header=BB395_11 Depth=1
	v_bfe_u32 v1, v31, 16, 7
	v_mov_b32_e32 v108, 0x7f800001
	s_mov_b32 s23, exec_lo
	v_cmpx_ne_u32_e32 0x7f, v1
	s_cbranch_execz .LBB395_385
; %bb.382:                              ;   in Loop: Header=BB395_11 Depth=1
	v_mov_b32_e32 v0, 7
	s_mov_b32 s24, exec_lo
	v_and_b32_sdwa v18, v31, v0 dst_sel:DWORD dst_unused:UNUSED_PAD src0_sel:WORD_1 src1_sel:DWORD
	v_mov_b32_e32 v33, v19
	v_lshrrev_b32_e32 v0, 3, v1
	v_mov_b32_e32 v32, v18
	v_cmpx_gt_u32_e32 8, v1
; %bb.383:                              ;   in Loop: Header=BB395_11 Depth=1
	v_ffbh_u32_e32 v0, v18
	v_min_u32_e32 v0, 32, v0
	v_subrev_nc_u32_e32 v1, 28, v0
	v_sub_nc_u32_e32 v0, 29, v0
	v_lshlrev_b64 v[1:2], v1, v[18:19]
	v_and_b32_e32 v32, 7, v1
; %bb.384:                              ;   in Loop: Header=BB395_11 Depth=1
	s_or_b32 exec_lo, exec_lo, s24
	v_mov_b32_e32 v1, 24
	v_lshlrev_b32_e32 v2, 20, v32
	v_lshl_add_u32 v0, v0, 23, 0x3c000000
	v_lshlrev_b32_sdwa v1, v1, v31 dst_sel:DWORD dst_unused:UNUSED_PAD src0_sel:DWORD src1_sel:WORD_1
	v_and_b32_e32 v1, 0x80000000, v1
	v_or3_b32 v108, v2, v1, v0
.LBB395_385:                            ;   in Loop: Header=BB395_11 Depth=1
	s_or_b32 exec_lo, exec_lo, s23
.LBB395_386:                            ;   in Loop: Header=BB395_11 Depth=1
	s_or_b32 exec_lo, exec_lo, s22
.LBB395_387:                            ;   in Loop: Header=BB395_11 Depth=1
	s_or_b32 exec_lo, exec_lo, s6
	v_mov_b32_e32 v111, 0
	v_mov_b32_e32 v110, 0
	s_mov_b32 s6, exec_lo
	v_cmpx_lt_u64_e64 s[8:9], v[30:31]
	s_cbranch_execz .LBB395_395
; %bb.388:                              ;   in Loop: Header=BB395_11 Depth=1
	v_mov_b32_e32 v0, 0x80
	v_bfrev_b32_e32 v110, 1
	v_cmp_ne_u32_sdwa s5, v31, v0 src0_sel:BYTE_3 src1_sel:DWORD
	s_and_saveexec_b32 s22, s5
	s_cbranch_execz .LBB395_394
; %bb.389:                              ;   in Loop: Header=BB395_11 Depth=1
	v_bfe_u32 v1, v31, 24, 7
	v_mov_b32_e32 v110, 0x7f800001
	s_mov_b32 s23, exec_lo
	v_cmpx_ne_u32_e32 0x7f, v1
	s_cbranch_execz .LBB395_393
; %bb.390:                              ;   in Loop: Header=BB395_11 Depth=1
	v_mov_b32_e32 v0, 7
	s_mov_b32 s24, exec_lo
	v_and_b32_sdwa v18, v31, v0 dst_sel:DWORD dst_unused:UNUSED_PAD src0_sel:BYTE_3 src1_sel:DWORD
	v_mov_b32_e32 v33, v19
	v_lshrrev_b32_e32 v0, 3, v1
	v_mov_b32_e32 v32, v18
	v_cmpx_gt_u32_e32 8, v1
; %bb.391:                              ;   in Loop: Header=BB395_11 Depth=1
	v_ffbh_u32_e32 v0, v18
	v_min_u32_e32 v0, 32, v0
	v_subrev_nc_u32_e32 v1, 28, v0
	v_sub_nc_u32_e32 v0, 29, v0
	v_lshlrev_b64 v[1:2], v1, v[18:19]
	v_and_b32_e32 v32, 7, v1
; %bb.392:                              ;   in Loop: Header=BB395_11 Depth=1
	s_or_b32 exec_lo, exec_lo, s24
	v_mov_b32_e32 v1, 24
	v_lshlrev_b32_e32 v2, 20, v32
	v_lshl_add_u32 v0, v0, 23, 0x3c000000
	v_lshlrev_b32_sdwa v1, v1, v31 dst_sel:DWORD dst_unused:UNUSED_PAD src0_sel:DWORD src1_sel:BYTE_3
	v_and_b32_e32 v1, 0x80000000, v1
	v_or3_b32 v110, v2, v1, v0
.LBB395_393:                            ;   in Loop: Header=BB395_11 Depth=1
	s_or_b32 exec_lo, exec_lo, s23
.LBB395_394:                            ;   in Loop: Header=BB395_11 Depth=1
	s_or_b32 exec_lo, exec_lo, s22
.LBB395_395:                            ;   in Loop: Header=BB395_11 Depth=1
	s_or_b32 exec_lo, exec_lo, s6
	flat_load_dwordx2 v[30:31], v[28:29] offset:1536
	s_waitcnt vmcnt(0) lgkmcnt(0)
	v_cmp_ne_u16_sdwa s5, v30, v19 src0_sel:BYTE_0 src1_sel:DWORD
	s_and_saveexec_b32 s6, s5
	s_cbranch_execz .LBB395_403
; %bb.396:                              ;   in Loop: Header=BB395_11 Depth=1
	v_mov_b32_e32 v0, 0x80
	v_bfrev_b32_e32 v111, 1
	v_cmp_ne_u16_sdwa s5, v30, v0 src0_sel:BYTE_0 src1_sel:DWORD
	s_and_saveexec_b32 s22, s5
	s_cbranch_execz .LBB395_402
; %bb.397:                              ;   in Loop: Header=BB395_11 Depth=1
	v_and_b32_e32 v1, 0x7f, v30
	v_mov_b32_e32 v111, 0x7f800001
	s_mov_b32 s23, exec_lo
	v_cmpx_ne_u32_e32 0x7f, v1
	s_cbranch_execz .LBB395_401
; %bb.398:                              ;   in Loop: Header=BB395_11 Depth=1
	v_mov_b32_e32 v33, v31
	v_lshrrev_b32_e32 v0, 3, v1
	v_mov_b32_e32 v32, v30
	s_mov_b32 s24, exec_lo
	v_cmpx_gt_u32_e32 8, v1
; %bb.399:                              ;   in Loop: Header=BB395_11 Depth=1
	v_and_b32_e32 v0, 7, v30
	v_ffbh_u32_e32 v0, v0
	v_min_u32_e32 v0, 32, v0
	v_subrev_nc_u32_e32 v1, 28, v0
	v_sub_nc_u32_e32 v0, 29, v0
	v_lshlrev_b64 v[32:33], v1, v[30:31]
; %bb.400:                              ;   in Loop: Header=BB395_11 Depth=1
	s_or_b32 exec_lo, exec_lo, s24
	v_lshlrev_b32_e32 v1, 20, v32
	v_lshlrev_b32_e32 v2, 24, v30
	v_lshl_add_u32 v0, v0, 23, 0x3c000000
	v_and_b32_e32 v1, 0x700000, v1
	v_and_b32_e32 v2, 0x80000000, v2
	v_or3_b32 v111, v1, v2, v0
.LBB395_401:                            ;   in Loop: Header=BB395_11 Depth=1
	s_or_b32 exec_lo, exec_lo, s23
.LBB395_402:                            ;   in Loop: Header=BB395_11 Depth=1
	s_or_b32 exec_lo, exec_lo, s22
.LBB395_403:                            ;   in Loop: Header=BB395_11 Depth=1
	s_or_b32 exec_lo, exec_lo, s6
	v_cmp_ne_u16_sdwa s5, v30, v19 src0_sel:BYTE_1 src1_sel:DWORD
	v_mov_b32_e32 v121, 0
	v_mov_b32_e32 v120, 0
	s_and_saveexec_b32 s6, s5
	s_cbranch_execz .LBB395_411
; %bb.404:                              ;   in Loop: Header=BB395_11 Depth=1
	v_mov_b32_e32 v0, 0x80
	v_bfrev_b32_e32 v120, 1
	v_cmp_ne_u16_sdwa s5, v30, v0 src0_sel:BYTE_1 src1_sel:DWORD
	s_and_saveexec_b32 s22, s5
	s_cbranch_execz .LBB395_410
; %bb.405:                              ;   in Loop: Header=BB395_11 Depth=1
	v_mov_b32_e32 v0, 0xffff
	v_mov_b32_e32 v120, 0x7f800001
	s_mov_b32 s23, exec_lo
	v_and_b32_sdwa v0, v0, v30 dst_sel:DWORD dst_unused:UNUSED_PAD src0_sel:DWORD src1_sel:BYTE_1
	v_and_b32_e32 v1, 0x7f, v0
	v_cmpx_ne_u32_e32 0x7f, v1
	s_cbranch_execz .LBB395_409
; %bb.406:                              ;   in Loop: Header=BB395_11 Depth=1
	v_and_b32_e32 v18, 7, v0
	v_mov_b32_e32 v33, v19
	v_lshrrev_b32_e32 v0, 3, v1
	s_mov_b32 s24, exec_lo
	v_mov_b32_e32 v32, v18
	v_cmpx_gt_u32_e32 8, v1
; %bb.407:                              ;   in Loop: Header=BB395_11 Depth=1
	v_ffbh_u32_e32 v0, v18
	v_min_u32_e32 v0, 32, v0
	v_subrev_nc_u32_e32 v1, 28, v0
	v_sub_nc_u32_e32 v0, 29, v0
	v_lshlrev_b64 v[1:2], v1, v[18:19]
	v_and_b32_e32 v32, 7, v1
; %bb.408:                              ;   in Loop: Header=BB395_11 Depth=1
	s_or_b32 exec_lo, exec_lo, s24
	v_lshlrev_b32_e32 v1, 16, v30
	v_lshlrev_b32_e32 v2, 20, v32
	v_lshl_add_u32 v0, v0, 23, 0x3c000000
	v_and_b32_e32 v1, 0x80000000, v1
	v_or3_b32 v120, v2, v1, v0
.LBB395_409:                            ;   in Loop: Header=BB395_11 Depth=1
	s_or_b32 exec_lo, exec_lo, s23
.LBB395_410:                            ;   in Loop: Header=BB395_11 Depth=1
	s_or_b32 exec_lo, exec_lo, s22
.LBB395_411:                            ;   in Loop: Header=BB395_11 Depth=1
	s_or_b32 exec_lo, exec_lo, s6
	v_mov_b32_e32 v0, 0xff
	s_mov_b32 s6, exec_lo
	v_and_b32_sdwa v0, v30, v0 dst_sel:DWORD dst_unused:UNUSED_PAD src0_sel:WORD_1 src1_sel:DWORD
	v_cmpx_ne_u16_e32 0, v0
	s_cbranch_execz .LBB395_419
; %bb.412:                              ;   in Loop: Header=BB395_11 Depth=1
	v_bfrev_b32_e32 v121, 1
	s_mov_b32 s22, exec_lo
	v_cmpx_ne_u16_e32 0x80, v0
	s_cbranch_execz .LBB395_418
; %bb.413:                              ;   in Loop: Header=BB395_11 Depth=1
	v_bfe_u32 v1, v30, 16, 7
	v_mov_b32_e32 v121, 0x7f800001
	s_mov_b32 s23, exec_lo
	v_cmpx_ne_u32_e32 0x7f, v1
	s_cbranch_execz .LBB395_417
; %bb.414:                              ;   in Loop: Header=BB395_11 Depth=1
	v_mov_b32_e32 v0, 7
	s_mov_b32 s24, exec_lo
	v_and_b32_sdwa v18, v30, v0 dst_sel:DWORD dst_unused:UNUSED_PAD src0_sel:WORD_1 src1_sel:DWORD
	v_mov_b32_e32 v33, v19
	v_lshrrev_b32_e32 v0, 3, v1
	v_mov_b32_e32 v32, v18
	v_cmpx_gt_u32_e32 8, v1
; %bb.415:                              ;   in Loop: Header=BB395_11 Depth=1
	v_ffbh_u32_e32 v0, v18
	v_min_u32_e32 v0, 32, v0
	v_subrev_nc_u32_e32 v1, 28, v0
	v_sub_nc_u32_e32 v0, 29, v0
	v_lshlrev_b64 v[1:2], v1, v[18:19]
	v_and_b32_e32 v32, 7, v1
; %bb.416:                              ;   in Loop: Header=BB395_11 Depth=1
	s_or_b32 exec_lo, exec_lo, s24
	v_mov_b32_e32 v1, 24
	v_lshlrev_b32_e32 v2, 20, v32
	v_lshl_add_u32 v0, v0, 23, 0x3c000000
	v_lshlrev_b32_sdwa v1, v1, v30 dst_sel:DWORD dst_unused:UNUSED_PAD src0_sel:DWORD src1_sel:WORD_1
	v_and_b32_e32 v1, 0x80000000, v1
	v_or3_b32 v121, v2, v1, v0
.LBB395_417:                            ;   in Loop: Header=BB395_11 Depth=1
	s_or_b32 exec_lo, exec_lo, s23
.LBB395_418:                            ;   in Loop: Header=BB395_11 Depth=1
	s_or_b32 exec_lo, exec_lo, s22
.LBB395_419:                            ;   in Loop: Header=BB395_11 Depth=1
	s_or_b32 exec_lo, exec_lo, s6
	v_mov_b32_e32 v123, 0
	v_mov_b32_e32 v122, 0
	s_mov_b32 s6, exec_lo
	v_cmpx_lt_u32_e32 0xffffff, v30
	s_cbranch_execz .LBB395_427
; %bb.420:                              ;   in Loop: Header=BB395_11 Depth=1
	v_mov_b32_e32 v0, 0x80
	v_bfrev_b32_e32 v122, 1
	v_cmp_ne_u32_sdwa s5, v30, v0 src0_sel:BYTE_3 src1_sel:DWORD
	s_and_saveexec_b32 s22, s5
	s_cbranch_execz .LBB395_426
; %bb.421:                              ;   in Loop: Header=BB395_11 Depth=1
	v_bfe_u32 v1, v30, 24, 7
	v_mov_b32_e32 v122, 0x7f800001
	s_mov_b32 s23, exec_lo
	v_cmpx_ne_u32_e32 0x7f, v1
	s_cbranch_execz .LBB395_425
; %bb.422:                              ;   in Loop: Header=BB395_11 Depth=1
	v_mov_b32_e32 v0, 7
	s_mov_b32 s24, exec_lo
	v_and_b32_sdwa v18, v30, v0 dst_sel:DWORD dst_unused:UNUSED_PAD src0_sel:BYTE_3 src1_sel:DWORD
	v_mov_b32_e32 v33, v19
	v_lshrrev_b32_e32 v0, 3, v1
	v_mov_b32_e32 v32, v18
	v_cmpx_gt_u32_e32 8, v1
; %bb.423:                              ;   in Loop: Header=BB395_11 Depth=1
	v_ffbh_u32_e32 v0, v18
	v_min_u32_e32 v0, 32, v0
	v_subrev_nc_u32_e32 v1, 28, v0
	v_sub_nc_u32_e32 v0, 29, v0
	v_lshlrev_b64 v[1:2], v1, v[18:19]
	v_and_b32_e32 v32, 7, v1
; %bb.424:                              ;   in Loop: Header=BB395_11 Depth=1
	s_or_b32 exec_lo, exec_lo, s24
	v_mov_b32_e32 v1, 24
	v_lshlrev_b32_e32 v2, 20, v32
	v_lshl_add_u32 v0, v0, 23, 0x3c000000
	v_lshlrev_b32_sdwa v1, v1, v30 dst_sel:DWORD dst_unused:UNUSED_PAD src0_sel:DWORD src1_sel:BYTE_3
	v_and_b32_e32 v1, 0x80000000, v1
	v_or3_b32 v122, v2, v1, v0
.LBB395_425:                            ;   in Loop: Header=BB395_11 Depth=1
	s_or_b32 exec_lo, exec_lo, s23
.LBB395_426:                            ;   in Loop: Header=BB395_11 Depth=1
	s_or_b32 exec_lo, exec_lo, s22
.LBB395_427:                            ;   in Loop: Header=BB395_11 Depth=1
	s_or_b32 exec_lo, exec_lo, s6
	v_mov_b32_e32 v18, v31
	v_cmp_ne_u16_sdwa s5, v31, v19 src0_sel:BYTE_0 src1_sel:DWORD
	s_and_saveexec_b32 s6, s5
	s_cbranch_execz .LBB395_435
; %bb.428:                              ;   in Loop: Header=BB395_11 Depth=1
	v_mov_b32_e32 v0, 0x80
	v_bfrev_b32_e32 v123, 1
	v_cmp_ne_u16_sdwa s5, v31, v0 src0_sel:BYTE_0 src1_sel:DWORD
	s_and_saveexec_b32 s22, s5
	s_cbranch_execz .LBB395_434
; %bb.429:                              ;   in Loop: Header=BB395_11 Depth=1
	v_and_b32_e32 v1, 0x7f, v31
	v_mov_b32_e32 v123, 0x7f800001
	s_mov_b32 s23, exec_lo
	v_cmpx_ne_u32_e32 0x7f, v1
	s_cbranch_execz .LBB395_433
; %bb.430:                              ;   in Loop: Header=BB395_11 Depth=1
	v_mov_b32_e32 v33, v19
	v_lshrrev_b32_e32 v0, 3, v1
	v_mov_b32_e32 v32, v18
	s_mov_b32 s24, exec_lo
	v_cmpx_gt_u32_e32 8, v1
; %bb.431:                              ;   in Loop: Header=BB395_11 Depth=1
	v_and_b32_e32 v0, 7, v31
	v_ffbh_u32_e32 v0, v0
	v_min_u32_e32 v0, 32, v0
	v_subrev_nc_u32_e32 v1, 28, v0
	v_sub_nc_u32_e32 v0, 29, v0
	v_lshlrev_b64 v[32:33], v1, v[18:19]
; %bb.432:                              ;   in Loop: Header=BB395_11 Depth=1
	s_or_b32 exec_lo, exec_lo, s24
	v_lshlrev_b32_e32 v1, 20, v32
	v_lshlrev_b32_e32 v2, 24, v18
	v_lshl_add_u32 v0, v0, 23, 0x3c000000
	v_and_b32_e32 v1, 0x700000, v1
	v_and_b32_e32 v2, 0x80000000, v2
	v_or3_b32 v123, v1, v2, v0
.LBB395_433:                            ;   in Loop: Header=BB395_11 Depth=1
	s_or_b32 exec_lo, exec_lo, s23
.LBB395_434:                            ;   in Loop: Header=BB395_11 Depth=1
	s_or_b32 exec_lo, exec_lo, s22
.LBB395_435:                            ;   in Loop: Header=BB395_11 Depth=1
	s_or_b32 exec_lo, exec_lo, s6
	v_cmp_ne_u16_sdwa s5, v18, v19 src0_sel:BYTE_1 src1_sel:DWORD
	v_mov_b32_e32 v124, 0
	v_mov_b32_e32 v125, 0
	s_and_saveexec_b32 s6, s5
	s_cbranch_execz .LBB395_443
; %bb.436:                              ;   in Loop: Header=BB395_11 Depth=1
	v_mov_b32_e32 v0, 0x80
	v_bfrev_b32_e32 v125, 1
	v_cmp_ne_u16_sdwa s5, v18, v0 src0_sel:BYTE_1 src1_sel:DWORD
	s_and_saveexec_b32 s22, s5
	s_cbranch_execz .LBB395_442
; %bb.437:                              ;   in Loop: Header=BB395_11 Depth=1
	v_mov_b32_e32 v0, 0xffff
	v_mov_b32_e32 v125, 0x7f800001
	s_mov_b32 s23, exec_lo
	v_and_b32_sdwa v0, v0, v18 dst_sel:DWORD dst_unused:UNUSED_PAD src0_sel:DWORD src1_sel:BYTE_1
	v_and_b32_e32 v1, 0x7f, v0
	v_cmpx_ne_u32_e32 0x7f, v1
	s_cbranch_execz .LBB395_441
; %bb.438:                              ;   in Loop: Header=BB395_11 Depth=1
	v_and_b32_e32 v32, 7, v0
	v_mov_b32_e32 v33, v19
	v_lshrrev_b32_e32 v0, 3, v1
	s_mov_b32 s24, exec_lo
	v_cmpx_gt_u32_e32 8, v1
; %bb.439:                              ;   in Loop: Header=BB395_11 Depth=1
	v_ffbh_u32_e32 v0, v32
	v_min_u32_e32 v0, 32, v0
	v_subrev_nc_u32_e32 v1, 28, v0
	v_sub_nc_u32_e32 v0, 29, v0
	v_lshlrev_b64 v[1:2], v1, v[32:33]
	v_and_b32_e32 v32, 7, v1
; %bb.440:                              ;   in Loop: Header=BB395_11 Depth=1
	s_or_b32 exec_lo, exec_lo, s24
	v_lshlrev_b32_e32 v1, 16, v18
	v_lshlrev_b32_e32 v2, 20, v32
	v_lshl_add_u32 v0, v0, 23, 0x3c000000
	v_and_b32_e32 v1, 0x80000000, v1
	v_or3_b32 v125, v2, v1, v0
.LBB395_441:                            ;   in Loop: Header=BB395_11 Depth=1
	s_or_b32 exec_lo, exec_lo, s23
.LBB395_442:                            ;   in Loop: Header=BB395_11 Depth=1
	s_or_b32 exec_lo, exec_lo, s22
.LBB395_443:                            ;   in Loop: Header=BB395_11 Depth=1
	s_or_b32 exec_lo, exec_lo, s6
	v_mov_b32_e32 v0, 0xff
	s_mov_b32 s6, exec_lo
	v_and_b32_sdwa v0, v31, v0 dst_sel:DWORD dst_unused:UNUSED_PAD src0_sel:WORD_1 src1_sel:DWORD
	v_cmpx_ne_u16_e32 0, v0
	s_cbranch_execz .LBB395_451
; %bb.444:                              ;   in Loop: Header=BB395_11 Depth=1
	v_bfrev_b32_e32 v124, 1
	s_mov_b32 s22, exec_lo
	v_cmpx_ne_u16_e32 0x80, v0
	s_cbranch_execz .LBB395_450
; %bb.445:                              ;   in Loop: Header=BB395_11 Depth=1
	v_bfe_u32 v1, v31, 16, 7
	v_mov_b32_e32 v124, 0x7f800001
	s_mov_b32 s23, exec_lo
	v_cmpx_ne_u32_e32 0x7f, v1
	s_cbranch_execz .LBB395_449
; %bb.446:                              ;   in Loop: Header=BB395_11 Depth=1
	v_mov_b32_e32 v0, 7
	s_mov_b32 s24, exec_lo
	v_and_b32_sdwa v18, v31, v0 dst_sel:DWORD dst_unused:UNUSED_PAD src0_sel:WORD_1 src1_sel:DWORD
	v_mov_b32_e32 v33, v19
	v_lshrrev_b32_e32 v0, 3, v1
	v_mov_b32_e32 v32, v18
	v_cmpx_gt_u32_e32 8, v1
; %bb.447:                              ;   in Loop: Header=BB395_11 Depth=1
	v_ffbh_u32_e32 v0, v18
	v_min_u32_e32 v0, 32, v0
	v_subrev_nc_u32_e32 v1, 28, v0
	v_sub_nc_u32_e32 v0, 29, v0
	v_lshlrev_b64 v[1:2], v1, v[18:19]
	v_and_b32_e32 v32, 7, v1
; %bb.448:                              ;   in Loop: Header=BB395_11 Depth=1
	s_or_b32 exec_lo, exec_lo, s24
	v_mov_b32_e32 v1, 24
	v_lshlrev_b32_e32 v2, 20, v32
	v_lshl_add_u32 v0, v0, 23, 0x3c000000
	v_lshlrev_b32_sdwa v1, v1, v31 dst_sel:DWORD dst_unused:UNUSED_PAD src0_sel:DWORD src1_sel:WORD_1
	v_and_b32_e32 v1, 0x80000000, v1
	v_or3_b32 v124, v2, v1, v0
.LBB395_449:                            ;   in Loop: Header=BB395_11 Depth=1
	s_or_b32 exec_lo, exec_lo, s23
.LBB395_450:                            ;   in Loop: Header=BB395_11 Depth=1
	s_or_b32 exec_lo, exec_lo, s22
.LBB395_451:                            ;   in Loop: Header=BB395_11 Depth=1
	s_or_b32 exec_lo, exec_lo, s6
	v_mov_b32_e32 v127, 0
	v_mov_b32_e32 v126, 0
	s_mov_b32 s6, exec_lo
	v_cmpx_lt_u64_e64 s[8:9], v[30:31]
	s_cbranch_execz .LBB395_459
; %bb.452:                              ;   in Loop: Header=BB395_11 Depth=1
	v_mov_b32_e32 v0, 0x80
	v_bfrev_b32_e32 v126, 1
	v_cmp_ne_u32_sdwa s5, v31, v0 src0_sel:BYTE_3 src1_sel:DWORD
	s_and_saveexec_b32 s22, s5
	s_cbranch_execz .LBB395_458
; %bb.453:                              ;   in Loop: Header=BB395_11 Depth=1
	v_bfe_u32 v1, v31, 24, 7
	v_mov_b32_e32 v126, 0x7f800001
	s_mov_b32 s23, exec_lo
	v_cmpx_ne_u32_e32 0x7f, v1
	s_cbranch_execz .LBB395_457
; %bb.454:                              ;   in Loop: Header=BB395_11 Depth=1
	v_mov_b32_e32 v0, 7
	s_mov_b32 s24, exec_lo
	v_and_b32_sdwa v18, v31, v0 dst_sel:DWORD dst_unused:UNUSED_PAD src0_sel:BYTE_3 src1_sel:DWORD
	v_mov_b32_e32 v33, v19
	v_lshrrev_b32_e32 v0, 3, v1
	v_mov_b32_e32 v32, v18
	v_cmpx_gt_u32_e32 8, v1
; %bb.455:                              ;   in Loop: Header=BB395_11 Depth=1
	v_ffbh_u32_e32 v0, v18
	v_min_u32_e32 v0, 32, v0
	v_subrev_nc_u32_e32 v1, 28, v0
	v_sub_nc_u32_e32 v0, 29, v0
	v_lshlrev_b64 v[1:2], v1, v[18:19]
	v_and_b32_e32 v32, 7, v1
; %bb.456:                              ;   in Loop: Header=BB395_11 Depth=1
	s_or_b32 exec_lo, exec_lo, s24
	v_mov_b32_e32 v1, 24
	v_lshlrev_b32_e32 v2, 20, v32
	v_lshl_add_u32 v0, v0, 23, 0x3c000000
	v_lshlrev_b32_sdwa v1, v1, v31 dst_sel:DWORD dst_unused:UNUSED_PAD src0_sel:DWORD src1_sel:BYTE_3
	v_and_b32_e32 v1, 0x80000000, v1
	v_or3_b32 v126, v2, v1, v0
.LBB395_457:                            ;   in Loop: Header=BB395_11 Depth=1
	s_or_b32 exec_lo, exec_lo, s23
.LBB395_458:                            ;   in Loop: Header=BB395_11 Depth=1
	s_or_b32 exec_lo, exec_lo, s22
.LBB395_459:                            ;   in Loop: Header=BB395_11 Depth=1
	s_or_b32 exec_lo, exec_lo, s6
	flat_load_dwordx2 v[30:31], v[28:29] offset:1544
	s_waitcnt vmcnt(0) lgkmcnt(0)
	v_cmp_ne_u16_sdwa s5, v30, v19 src0_sel:BYTE_0 src1_sel:DWORD
	s_and_saveexec_b32 s6, s5
	s_cbranch_execz .LBB395_467
; %bb.460:                              ;   in Loop: Header=BB395_11 Depth=1
	v_mov_b32_e32 v0, 0x80
	v_bfrev_b32_e32 v127, 1
	v_cmp_ne_u16_sdwa s5, v30, v0 src0_sel:BYTE_0 src1_sel:DWORD
	s_and_saveexec_b32 s22, s5
	s_cbranch_execz .LBB395_466
; %bb.461:                              ;   in Loop: Header=BB395_11 Depth=1
	v_and_b32_e32 v1, 0x7f, v30
	v_mov_b32_e32 v127, 0x7f800001
	s_mov_b32 s23, exec_lo
	v_cmpx_ne_u32_e32 0x7f, v1
	s_cbranch_execz .LBB395_465
; %bb.462:                              ;   in Loop: Header=BB395_11 Depth=1
	v_mov_b32_e32 v33, v31
	v_lshrrev_b32_e32 v0, 3, v1
	v_mov_b32_e32 v32, v30
	s_mov_b32 s24, exec_lo
	v_cmpx_gt_u32_e32 8, v1
; %bb.463:                              ;   in Loop: Header=BB395_11 Depth=1
	v_and_b32_e32 v0, 7, v30
	v_ffbh_u32_e32 v0, v0
	v_min_u32_e32 v0, 32, v0
	v_subrev_nc_u32_e32 v1, 28, v0
	v_sub_nc_u32_e32 v0, 29, v0
	v_lshlrev_b64 v[32:33], v1, v[30:31]
; %bb.464:                              ;   in Loop: Header=BB395_11 Depth=1
	s_or_b32 exec_lo, exec_lo, s24
	v_lshlrev_b32_e32 v1, 20, v32
	v_lshlrev_b32_e32 v2, 24, v30
	v_lshl_add_u32 v0, v0, 23, 0x3c000000
	v_and_b32_e32 v1, 0x700000, v1
	v_and_b32_e32 v2, 0x80000000, v2
	v_or3_b32 v127, v1, v2, v0
.LBB395_465:                            ;   in Loop: Header=BB395_11 Depth=1
	s_or_b32 exec_lo, exec_lo, s23
.LBB395_466:                            ;   in Loop: Header=BB395_11 Depth=1
	s_or_b32 exec_lo, exec_lo, s22
.LBB395_467:                            ;   in Loop: Header=BB395_11 Depth=1
	s_or_b32 exec_lo, exec_lo, s6
	v_cmp_ne_u16_sdwa s5, v30, v19 src0_sel:BYTE_1 src1_sel:DWORD
	v_mov_b32_e32 v5, 0
	v_mov_b32_e32 v35, 0
	s_and_saveexec_b32 s6, s5
	s_cbranch_execz .LBB395_475
; %bb.468:                              ;   in Loop: Header=BB395_11 Depth=1
	v_mov_b32_e32 v0, 0x80
	v_bfrev_b32_e32 v35, 1
	v_cmp_ne_u16_sdwa s5, v30, v0 src0_sel:BYTE_1 src1_sel:DWORD
	s_and_saveexec_b32 s22, s5
	s_cbranch_execz .LBB395_474
; %bb.469:                              ;   in Loop: Header=BB395_11 Depth=1
	v_mov_b32_e32 v0, 0xffff
	v_mov_b32_e32 v35, 0x7f800001
	s_mov_b32 s23, exec_lo
	v_and_b32_sdwa v0, v0, v30 dst_sel:DWORD dst_unused:UNUSED_PAD src0_sel:DWORD src1_sel:BYTE_1
	v_and_b32_e32 v1, 0x7f, v0
	v_cmpx_ne_u32_e32 0x7f, v1
	s_cbranch_execz .LBB395_473
; %bb.470:                              ;   in Loop: Header=BB395_11 Depth=1
	v_and_b32_e32 v18, 7, v0
	v_mov_b32_e32 v33, v19
	v_lshrrev_b32_e32 v0, 3, v1
	s_mov_b32 s24, exec_lo
	v_mov_b32_e32 v32, v18
	v_cmpx_gt_u32_e32 8, v1
; %bb.471:                              ;   in Loop: Header=BB395_11 Depth=1
	v_ffbh_u32_e32 v0, v18
	v_min_u32_e32 v0, 32, v0
	v_subrev_nc_u32_e32 v1, 28, v0
	v_sub_nc_u32_e32 v0, 29, v0
	v_lshlrev_b64 v[1:2], v1, v[18:19]
	v_and_b32_e32 v32, 7, v1
; %bb.472:                              ;   in Loop: Header=BB395_11 Depth=1
	s_or_b32 exec_lo, exec_lo, s24
	v_lshlrev_b32_e32 v1, 16, v30
	v_lshlrev_b32_e32 v2, 20, v32
	v_lshl_add_u32 v0, v0, 23, 0x3c000000
	v_and_b32_e32 v1, 0x80000000, v1
	v_or3_b32 v35, v2, v1, v0
.LBB395_473:                            ;   in Loop: Header=BB395_11 Depth=1
	s_or_b32 exec_lo, exec_lo, s23
.LBB395_474:                            ;   in Loop: Header=BB395_11 Depth=1
	s_or_b32 exec_lo, exec_lo, s22
.LBB395_475:                            ;   in Loop: Header=BB395_11 Depth=1
	s_or_b32 exec_lo, exec_lo, s6
	v_mov_b32_e32 v0, 0xff
	s_mov_b32 s6, exec_lo
	v_and_b32_sdwa v0, v30, v0 dst_sel:DWORD dst_unused:UNUSED_PAD src0_sel:WORD_1 src1_sel:DWORD
	v_cmpx_ne_u16_e32 0, v0
	s_cbranch_execz .LBB395_483
; %bb.476:                              ;   in Loop: Header=BB395_11 Depth=1
	v_bfrev_b32_e32 v5, 1
	s_mov_b32 s22, exec_lo
	v_cmpx_ne_u16_e32 0x80, v0
	s_cbranch_execz .LBB395_482
; %bb.477:                              ;   in Loop: Header=BB395_11 Depth=1
	v_bfe_u32 v1, v30, 16, 7
	v_mov_b32_e32 v5, 0x7f800001
	s_mov_b32 s23, exec_lo
	v_cmpx_ne_u32_e32 0x7f, v1
	s_cbranch_execz .LBB395_481
; %bb.478:                              ;   in Loop: Header=BB395_11 Depth=1
	v_mov_b32_e32 v0, 7
	s_mov_b32 s24, exec_lo
	v_and_b32_sdwa v18, v30, v0 dst_sel:DWORD dst_unused:UNUSED_PAD src0_sel:WORD_1 src1_sel:DWORD
	v_mov_b32_e32 v33, v19
	v_lshrrev_b32_e32 v0, 3, v1
	v_mov_b32_e32 v32, v18
	v_cmpx_gt_u32_e32 8, v1
; %bb.479:                              ;   in Loop: Header=BB395_11 Depth=1
	v_ffbh_u32_e32 v0, v18
	v_min_u32_e32 v0, 32, v0
	v_subrev_nc_u32_e32 v1, 28, v0
	v_sub_nc_u32_e32 v0, 29, v0
	v_lshlrev_b64 v[1:2], v1, v[18:19]
	v_and_b32_e32 v32, 7, v1
; %bb.480:                              ;   in Loop: Header=BB395_11 Depth=1
	s_or_b32 exec_lo, exec_lo, s24
	v_mov_b32_e32 v1, 24
	v_lshlrev_b32_e32 v2, 20, v32
	v_lshl_add_u32 v0, v0, 23, 0x3c000000
	v_lshlrev_b32_sdwa v1, v1, v30 dst_sel:DWORD dst_unused:UNUSED_PAD src0_sel:DWORD src1_sel:WORD_1
	v_and_b32_e32 v1, 0x80000000, v1
	v_or3_b32 v5, v2, v1, v0
.LBB395_481:                            ;   in Loop: Header=BB395_11 Depth=1
	s_or_b32 exec_lo, exec_lo, s23
.LBB395_482:                            ;   in Loop: Header=BB395_11 Depth=1
	s_or_b32 exec_lo, exec_lo, s22
.LBB395_483:                            ;   in Loop: Header=BB395_11 Depth=1
	s_or_b32 exec_lo, exec_lo, s6
	v_mov_b32_e32 v39, 0
	v_mov_b32_e32 v4, 0
	s_mov_b32 s6, exec_lo
	v_cmpx_lt_u32_e32 0xffffff, v30
	s_cbranch_execz .LBB395_491
; %bb.484:                              ;   in Loop: Header=BB395_11 Depth=1
	v_mov_b32_e32 v0, 0x80
	v_bfrev_b32_e32 v4, 1
	v_cmp_ne_u32_sdwa s5, v30, v0 src0_sel:BYTE_3 src1_sel:DWORD
	s_and_saveexec_b32 s22, s5
	s_cbranch_execz .LBB395_490
; %bb.485:                              ;   in Loop: Header=BB395_11 Depth=1
	v_bfe_u32 v1, v30, 24, 7
	v_mov_b32_e32 v4, 0x7f800001
	s_mov_b32 s23, exec_lo
	v_cmpx_ne_u32_e32 0x7f, v1
	s_cbranch_execz .LBB395_489
; %bb.486:                              ;   in Loop: Header=BB395_11 Depth=1
	v_mov_b32_e32 v0, 7
	s_mov_b32 s24, exec_lo
	v_and_b32_sdwa v18, v30, v0 dst_sel:DWORD dst_unused:UNUSED_PAD src0_sel:BYTE_3 src1_sel:DWORD
	v_mov_b32_e32 v33, v19
	v_lshrrev_b32_e32 v0, 3, v1
	v_mov_b32_e32 v32, v18
	v_cmpx_gt_u32_e32 8, v1
; %bb.487:                              ;   in Loop: Header=BB395_11 Depth=1
	v_ffbh_u32_e32 v0, v18
	v_min_u32_e32 v0, 32, v0
	v_subrev_nc_u32_e32 v1, 28, v0
	v_sub_nc_u32_e32 v0, 29, v0
	v_lshlrev_b64 v[1:2], v1, v[18:19]
	v_and_b32_e32 v32, 7, v1
; %bb.488:                              ;   in Loop: Header=BB395_11 Depth=1
	s_or_b32 exec_lo, exec_lo, s24
	v_mov_b32_e32 v1, 24
	v_lshlrev_b32_e32 v2, 20, v32
	v_lshl_add_u32 v0, v0, 23, 0x3c000000
	v_lshlrev_b32_sdwa v1, v1, v30 dst_sel:DWORD dst_unused:UNUSED_PAD src0_sel:DWORD src1_sel:BYTE_3
	v_and_b32_e32 v1, 0x80000000, v1
	v_or3_b32 v4, v2, v1, v0
.LBB395_489:                            ;   in Loop: Header=BB395_11 Depth=1
	s_or_b32 exec_lo, exec_lo, s23
.LBB395_490:                            ;   in Loop: Header=BB395_11 Depth=1
	s_or_b32 exec_lo, exec_lo, s22
.LBB395_491:                            ;   in Loop: Header=BB395_11 Depth=1
	s_or_b32 exec_lo, exec_lo, s6
	v_mov_b32_e32 v18, v31
	v_cmp_ne_u16_sdwa s5, v31, v19 src0_sel:BYTE_0 src1_sel:DWORD
	s_and_saveexec_b32 s6, s5
	s_cbranch_execz .LBB395_499
; %bb.492:                              ;   in Loop: Header=BB395_11 Depth=1
	v_mov_b32_e32 v0, 0x80
	v_bfrev_b32_e32 v39, 1
	v_cmp_ne_u16_sdwa s5, v31, v0 src0_sel:BYTE_0 src1_sel:DWORD
	s_and_saveexec_b32 s22, s5
	s_cbranch_execz .LBB395_498
; %bb.493:                              ;   in Loop: Header=BB395_11 Depth=1
	v_and_b32_e32 v1, 0x7f, v31
	v_mov_b32_e32 v39, 0x7f800001
	s_mov_b32 s23, exec_lo
	v_cmpx_ne_u32_e32 0x7f, v1
	s_cbranch_execz .LBB395_497
; %bb.494:                              ;   in Loop: Header=BB395_11 Depth=1
	v_mov_b32_e32 v33, v19
	v_lshrrev_b32_e32 v0, 3, v1
	v_mov_b32_e32 v32, v18
	s_mov_b32 s24, exec_lo
	v_cmpx_gt_u32_e32 8, v1
; %bb.495:                              ;   in Loop: Header=BB395_11 Depth=1
	v_and_b32_e32 v0, 7, v31
	v_ffbh_u32_e32 v0, v0
	v_min_u32_e32 v0, 32, v0
	v_subrev_nc_u32_e32 v1, 28, v0
	v_sub_nc_u32_e32 v0, 29, v0
	v_lshlrev_b64 v[32:33], v1, v[18:19]
; %bb.496:                              ;   in Loop: Header=BB395_11 Depth=1
	s_or_b32 exec_lo, exec_lo, s24
	v_lshlrev_b32_e32 v1, 20, v32
	v_lshlrev_b32_e32 v2, 24, v18
	v_lshl_add_u32 v0, v0, 23, 0x3c000000
	v_and_b32_e32 v1, 0x700000, v1
	v_and_b32_e32 v2, 0x80000000, v2
	v_or3_b32 v39, v1, v2, v0
.LBB395_497:                            ;   in Loop: Header=BB395_11 Depth=1
	s_or_b32 exec_lo, exec_lo, s23
.LBB395_498:                            ;   in Loop: Header=BB395_11 Depth=1
	s_or_b32 exec_lo, exec_lo, s22
.LBB395_499:                            ;   in Loop: Header=BB395_11 Depth=1
	s_or_b32 exec_lo, exec_lo, s6
	v_cmp_ne_u16_sdwa s5, v18, v19 src0_sel:BYTE_1 src1_sel:DWORD
	v_mov_b32_e32 v37, 0
	v_mov_b32_e32 v66, 0
	s_and_saveexec_b32 s6, s5
	s_cbranch_execz .LBB395_507
; %bb.500:                              ;   in Loop: Header=BB395_11 Depth=1
	v_mov_b32_e32 v0, 0x80
	v_bfrev_b32_e32 v66, 1
	v_cmp_ne_u16_sdwa s5, v18, v0 src0_sel:BYTE_1 src1_sel:DWORD
	s_and_saveexec_b32 s22, s5
	s_cbranch_execz .LBB395_506
; %bb.501:                              ;   in Loop: Header=BB395_11 Depth=1
	v_mov_b32_e32 v0, 0xffff
	v_mov_b32_e32 v66, 0x7f800001
	s_mov_b32 s23, exec_lo
	v_and_b32_sdwa v0, v0, v18 dst_sel:DWORD dst_unused:UNUSED_PAD src0_sel:DWORD src1_sel:BYTE_1
	v_and_b32_e32 v1, 0x7f, v0
	v_cmpx_ne_u32_e32 0x7f, v1
	s_cbranch_execz .LBB395_505
; %bb.502:                              ;   in Loop: Header=BB395_11 Depth=1
	v_and_b32_e32 v32, 7, v0
	v_mov_b32_e32 v33, v19
	v_lshrrev_b32_e32 v0, 3, v1
	s_mov_b32 s24, exec_lo
	v_cmpx_gt_u32_e32 8, v1
; %bb.503:                              ;   in Loop: Header=BB395_11 Depth=1
	v_ffbh_u32_e32 v0, v32
	v_min_u32_e32 v0, 32, v0
	v_subrev_nc_u32_e32 v1, 28, v0
	v_sub_nc_u32_e32 v0, 29, v0
	v_lshlrev_b64 v[1:2], v1, v[32:33]
	v_and_b32_e32 v32, 7, v1
; %bb.504:                              ;   in Loop: Header=BB395_11 Depth=1
	s_or_b32 exec_lo, exec_lo, s24
	v_lshlrev_b32_e32 v1, 16, v18
	v_lshlrev_b32_e32 v2, 20, v32
	v_lshl_add_u32 v0, v0, 23, 0x3c000000
	v_and_b32_e32 v1, 0x80000000, v1
	v_or3_b32 v66, v2, v1, v0
.LBB395_505:                            ;   in Loop: Header=BB395_11 Depth=1
	s_or_b32 exec_lo, exec_lo, s23
.LBB395_506:                            ;   in Loop: Header=BB395_11 Depth=1
	s_or_b32 exec_lo, exec_lo, s22
.LBB395_507:                            ;   in Loop: Header=BB395_11 Depth=1
	s_or_b32 exec_lo, exec_lo, s6
	v_mov_b32_e32 v0, 0xff
	s_mov_b32 s6, exec_lo
	v_and_b32_sdwa v0, v31, v0 dst_sel:DWORD dst_unused:UNUSED_PAD src0_sel:WORD_1 src1_sel:DWORD
	v_cmpx_ne_u16_e32 0, v0
	s_cbranch_execz .LBB395_515
; %bb.508:                              ;   in Loop: Header=BB395_11 Depth=1
	v_bfrev_b32_e32 v37, 1
	s_mov_b32 s22, exec_lo
	v_cmpx_ne_u16_e32 0x80, v0
	s_cbranch_execz .LBB395_514
; %bb.509:                              ;   in Loop: Header=BB395_11 Depth=1
	v_bfe_u32 v1, v31, 16, 7
	v_mov_b32_e32 v37, 0x7f800001
	s_mov_b32 s23, exec_lo
	v_cmpx_ne_u32_e32 0x7f, v1
	s_cbranch_execz .LBB395_513
; %bb.510:                              ;   in Loop: Header=BB395_11 Depth=1
	v_mov_b32_e32 v0, 7
	s_mov_b32 s24, exec_lo
	v_and_b32_sdwa v18, v31, v0 dst_sel:DWORD dst_unused:UNUSED_PAD src0_sel:WORD_1 src1_sel:DWORD
	v_mov_b32_e32 v33, v19
	v_lshrrev_b32_e32 v0, 3, v1
	v_mov_b32_e32 v32, v18
	v_cmpx_gt_u32_e32 8, v1
; %bb.511:                              ;   in Loop: Header=BB395_11 Depth=1
	v_ffbh_u32_e32 v0, v18
	v_min_u32_e32 v0, 32, v0
	v_subrev_nc_u32_e32 v1, 28, v0
	v_sub_nc_u32_e32 v0, 29, v0
	v_lshlrev_b64 v[1:2], v1, v[18:19]
	v_and_b32_e32 v32, 7, v1
; %bb.512:                              ;   in Loop: Header=BB395_11 Depth=1
	s_or_b32 exec_lo, exec_lo, s24
	v_mov_b32_e32 v1, 24
	v_lshlrev_b32_e32 v2, 20, v32
	v_lshl_add_u32 v0, v0, 23, 0x3c000000
	v_lshlrev_b32_sdwa v1, v1, v31 dst_sel:DWORD dst_unused:UNUSED_PAD src0_sel:DWORD src1_sel:WORD_1
	v_and_b32_e32 v1, 0x80000000, v1
	v_or3_b32 v37, v2, v1, v0
.LBB395_513:                            ;   in Loop: Header=BB395_11 Depth=1
	s_or_b32 exec_lo, exec_lo, s23
.LBB395_514:                            ;   in Loop: Header=BB395_11 Depth=1
	s_or_b32 exec_lo, exec_lo, s22
.LBB395_515:                            ;   in Loop: Header=BB395_11 Depth=1
	s_or_b32 exec_lo, exec_lo, s6
	v_mov_b32_e32 v11, 0
	v_mov_b32_e32 v12, 0
	s_mov_b32 s6, exec_lo
	v_cmpx_lt_u64_e64 s[8:9], v[30:31]
	s_cbranch_execz .LBB395_523
; %bb.516:                              ;   in Loop: Header=BB395_11 Depth=1
	v_mov_b32_e32 v0, 0x80
	v_bfrev_b32_e32 v12, 1
	v_cmp_ne_u32_sdwa s5, v31, v0 src0_sel:BYTE_3 src1_sel:DWORD
	s_and_saveexec_b32 s22, s5
	s_cbranch_execz .LBB395_522
; %bb.517:                              ;   in Loop: Header=BB395_11 Depth=1
	v_bfe_u32 v1, v31, 24, 7
	v_mov_b32_e32 v12, 0x7f800001
	s_mov_b32 s23, exec_lo
	v_cmpx_ne_u32_e32 0x7f, v1
	s_cbranch_execz .LBB395_521
; %bb.518:                              ;   in Loop: Header=BB395_11 Depth=1
	v_mov_b32_e32 v0, 7
	s_mov_b32 s24, exec_lo
	v_and_b32_sdwa v18, v31, v0 dst_sel:DWORD dst_unused:UNUSED_PAD src0_sel:BYTE_3 src1_sel:DWORD
	v_mov_b32_e32 v33, v19
	v_lshrrev_b32_e32 v0, 3, v1
	v_mov_b32_e32 v32, v18
	v_cmpx_gt_u32_e32 8, v1
; %bb.519:                              ;   in Loop: Header=BB395_11 Depth=1
	v_ffbh_u32_e32 v0, v18
	v_min_u32_e32 v0, 32, v0
	v_subrev_nc_u32_e32 v1, 28, v0
	v_sub_nc_u32_e32 v0, 29, v0
	v_lshlrev_b64 v[1:2], v1, v[18:19]
	v_and_b32_e32 v32, 7, v1
; %bb.520:                              ;   in Loop: Header=BB395_11 Depth=1
	s_or_b32 exec_lo, exec_lo, s24
	v_mov_b32_e32 v1, 24
	v_lshlrev_b32_e32 v2, 20, v32
	v_lshl_add_u32 v0, v0, 23, 0x3c000000
	v_lshlrev_b32_sdwa v1, v1, v31 dst_sel:DWORD dst_unused:UNUSED_PAD src0_sel:DWORD src1_sel:BYTE_3
	v_and_b32_e32 v1, 0x80000000, v1
	v_or3_b32 v12, v2, v1, v0
.LBB395_521:                            ;   in Loop: Header=BB395_11 Depth=1
	s_or_b32 exec_lo, exec_lo, s23
.LBB395_522:                            ;   in Loop: Header=BB395_11 Depth=1
	s_or_b32 exec_lo, exec_lo, s22
.LBB395_523:                            ;   in Loop: Header=BB395_11 Depth=1
	s_or_b32 exec_lo, exec_lo, s6
	v_add_co_u32 v28, s5, 0x800, v28
	v_add_co_ci_u32_e64 v29, null, 0, v29, s5
	flat_load_dwordx2 v[30:31], v[28:29]
	s_waitcnt vmcnt(0) lgkmcnt(0)
	v_cmp_ne_u16_sdwa s5, v30, v19 src0_sel:BYTE_0 src1_sel:DWORD
	s_and_saveexec_b32 s6, s5
	s_cbranch_execz .LBB395_531
; %bb.524:                              ;   in Loop: Header=BB395_11 Depth=1
	v_mov_b32_e32 v0, 0x80
	v_bfrev_b32_e32 v11, 1
	v_cmp_ne_u16_sdwa s5, v30, v0 src0_sel:BYTE_0 src1_sel:DWORD
	s_and_saveexec_b32 s22, s5
	s_cbranch_execz .LBB395_530
; %bb.525:                              ;   in Loop: Header=BB395_11 Depth=1
	v_and_b32_e32 v1, 0x7f, v30
	v_mov_b32_e32 v11, 0x7f800001
	s_mov_b32 s23, exec_lo
	v_cmpx_ne_u32_e32 0x7f, v1
	s_cbranch_execz .LBB395_529
; %bb.526:                              ;   in Loop: Header=BB395_11 Depth=1
	v_mov_b32_e32 v33, v31
	v_lshrrev_b32_e32 v0, 3, v1
	v_mov_b32_e32 v32, v30
	s_mov_b32 s24, exec_lo
	v_cmpx_gt_u32_e32 8, v1
; %bb.527:                              ;   in Loop: Header=BB395_11 Depth=1
	v_and_b32_e32 v0, 7, v30
	v_ffbh_u32_e32 v0, v0
	v_min_u32_e32 v0, 32, v0
	v_subrev_nc_u32_e32 v1, 28, v0
	v_sub_nc_u32_e32 v0, 29, v0
	v_lshlrev_b64 v[32:33], v1, v[30:31]
; %bb.528:                              ;   in Loop: Header=BB395_11 Depth=1
	s_or_b32 exec_lo, exec_lo, s24
	v_lshlrev_b32_e32 v1, 20, v32
	v_lshlrev_b32_e32 v2, 24, v30
	v_lshl_add_u32 v0, v0, 23, 0x3c000000
	v_and_b32_e32 v1, 0x700000, v1
	v_and_b32_e32 v2, 0x80000000, v2
	v_or3_b32 v11, v1, v2, v0
.LBB395_529:                            ;   in Loop: Header=BB395_11 Depth=1
	s_or_b32 exec_lo, exec_lo, s23
.LBB395_530:                            ;   in Loop: Header=BB395_11 Depth=1
	s_or_b32 exec_lo, exec_lo, s22
.LBB395_531:                            ;   in Loop: Header=BB395_11 Depth=1
	s_or_b32 exec_lo, exec_lo, s6
	v_cmp_ne_u16_sdwa s5, v30, v19 src0_sel:BYTE_1 src1_sel:DWORD
	v_mov_b32_e32 v6, 0
	v_mov_b32_e32 v10, 0
	s_and_saveexec_b32 s6, s5
	s_cbranch_execz .LBB395_539
; %bb.532:                              ;   in Loop: Header=BB395_11 Depth=1
	v_mov_b32_e32 v0, 0x80
	v_bfrev_b32_e32 v10, 1
	v_cmp_ne_u16_sdwa s5, v30, v0 src0_sel:BYTE_1 src1_sel:DWORD
	s_and_saveexec_b32 s22, s5
	s_cbranch_execz .LBB395_538
; %bb.533:                              ;   in Loop: Header=BB395_11 Depth=1
	v_mov_b32_e32 v0, 0xffff
	v_mov_b32_e32 v10, 0x7f800001
	s_mov_b32 s23, exec_lo
	v_and_b32_sdwa v0, v0, v30 dst_sel:DWORD dst_unused:UNUSED_PAD src0_sel:DWORD src1_sel:BYTE_1
	v_and_b32_e32 v1, 0x7f, v0
	v_cmpx_ne_u32_e32 0x7f, v1
	s_cbranch_execz .LBB395_537
; %bb.534:                              ;   in Loop: Header=BB395_11 Depth=1
	v_and_b32_e32 v18, 7, v0
	v_mov_b32_e32 v33, v19
	v_lshrrev_b32_e32 v0, 3, v1
	s_mov_b32 s24, exec_lo
	v_mov_b32_e32 v32, v18
	v_cmpx_gt_u32_e32 8, v1
; %bb.535:                              ;   in Loop: Header=BB395_11 Depth=1
	v_ffbh_u32_e32 v0, v18
	v_min_u32_e32 v0, 32, v0
	v_subrev_nc_u32_e32 v1, 28, v0
	v_sub_nc_u32_e32 v0, 29, v0
	v_lshlrev_b64 v[1:2], v1, v[18:19]
	v_and_b32_e32 v32, 7, v1
; %bb.536:                              ;   in Loop: Header=BB395_11 Depth=1
	s_or_b32 exec_lo, exec_lo, s24
	v_lshlrev_b32_e32 v1, 16, v30
	v_lshlrev_b32_e32 v2, 20, v32
	v_lshl_add_u32 v0, v0, 23, 0x3c000000
	v_and_b32_e32 v1, 0x80000000, v1
	v_or3_b32 v10, v2, v1, v0
.LBB395_537:                            ;   in Loop: Header=BB395_11 Depth=1
	s_or_b32 exec_lo, exec_lo, s23
.LBB395_538:                            ;   in Loop: Header=BB395_11 Depth=1
	s_or_b32 exec_lo, exec_lo, s22
.LBB395_539:                            ;   in Loop: Header=BB395_11 Depth=1
	s_or_b32 exec_lo, exec_lo, s6
	v_mov_b32_e32 v0, 0xff
	s_mov_b32 s6, exec_lo
	v_and_b32_sdwa v0, v30, v0 dst_sel:DWORD dst_unused:UNUSED_PAD src0_sel:WORD_1 src1_sel:DWORD
	v_cmpx_ne_u16_e32 0, v0
	s_cbranch_execz .LBB395_547
; %bb.540:                              ;   in Loop: Header=BB395_11 Depth=1
	v_bfrev_b32_e32 v6, 1
	s_mov_b32 s22, exec_lo
	v_cmpx_ne_u16_e32 0x80, v0
	s_cbranch_execz .LBB395_546
; %bb.541:                              ;   in Loop: Header=BB395_11 Depth=1
	v_bfe_u32 v1, v30, 16, 7
	v_mov_b32_e32 v6, 0x7f800001
	s_mov_b32 s23, exec_lo
	v_cmpx_ne_u32_e32 0x7f, v1
	s_cbranch_execz .LBB395_545
; %bb.542:                              ;   in Loop: Header=BB395_11 Depth=1
	v_mov_b32_e32 v0, 7
	s_mov_b32 s24, exec_lo
	v_and_b32_sdwa v18, v30, v0 dst_sel:DWORD dst_unused:UNUSED_PAD src0_sel:WORD_1 src1_sel:DWORD
	v_mov_b32_e32 v33, v19
	v_lshrrev_b32_e32 v0, 3, v1
	v_mov_b32_e32 v32, v18
	v_cmpx_gt_u32_e32 8, v1
; %bb.543:                              ;   in Loop: Header=BB395_11 Depth=1
	v_ffbh_u32_e32 v0, v18
	v_min_u32_e32 v0, 32, v0
	v_subrev_nc_u32_e32 v1, 28, v0
	v_sub_nc_u32_e32 v0, 29, v0
	v_lshlrev_b64 v[1:2], v1, v[18:19]
	v_and_b32_e32 v32, 7, v1
; %bb.544:                              ;   in Loop: Header=BB395_11 Depth=1
	s_or_b32 exec_lo, exec_lo, s24
	v_mov_b32_e32 v1, 24
	v_lshlrev_b32_e32 v2, 20, v32
	v_lshl_add_u32 v0, v0, 23, 0x3c000000
	v_lshlrev_b32_sdwa v1, v1, v30 dst_sel:DWORD dst_unused:UNUSED_PAD src0_sel:DWORD src1_sel:WORD_1
	v_and_b32_e32 v1, 0x80000000, v1
	v_or3_b32 v6, v2, v1, v0
.LBB395_545:                            ;   in Loop: Header=BB395_11 Depth=1
	s_or_b32 exec_lo, exec_lo, s23
.LBB395_546:                            ;   in Loop: Header=BB395_11 Depth=1
	s_or_b32 exec_lo, exec_lo, s22
.LBB395_547:                            ;   in Loop: Header=BB395_11 Depth=1
	s_or_b32 exec_lo, exec_lo, s6
	v_mov_b32_e32 v2, 0
	v_mov_b32_e32 v7, 0
	s_mov_b32 s6, exec_lo
	v_cmpx_lt_u32_e32 0xffffff, v30
	s_cbranch_execz .LBB395_555
; %bb.548:                              ;   in Loop: Header=BB395_11 Depth=1
	v_mov_b32_e32 v0, 0x80
	v_bfrev_b32_e32 v7, 1
	v_cmp_ne_u32_sdwa s5, v30, v0 src0_sel:BYTE_3 src1_sel:DWORD
	s_and_saveexec_b32 s22, s5
	s_cbranch_execz .LBB395_554
; %bb.549:                              ;   in Loop: Header=BB395_11 Depth=1
	v_bfe_u32 v1, v30, 24, 7
	v_mov_b32_e32 v7, 0x7f800001
	s_mov_b32 s23, exec_lo
	v_cmpx_ne_u32_e32 0x7f, v1
	s_cbranch_execz .LBB395_553
; %bb.550:                              ;   in Loop: Header=BB395_11 Depth=1
	v_mov_b32_e32 v0, 7
	s_mov_b32 s24, exec_lo
	v_and_b32_sdwa v18, v30, v0 dst_sel:DWORD dst_unused:UNUSED_PAD src0_sel:BYTE_3 src1_sel:DWORD
	v_mov_b32_e32 v33, v19
	v_lshrrev_b32_e32 v0, 3, v1
	v_mov_b32_e32 v32, v18
	v_cmpx_gt_u32_e32 8, v1
; %bb.551:                              ;   in Loop: Header=BB395_11 Depth=1
	v_ffbh_u32_e32 v0, v18
	v_min_u32_e32 v0, 32, v0
	v_subrev_nc_u32_e32 v1, 28, v0
	v_sub_nc_u32_e32 v0, 29, v0
	v_lshlrev_b64 v[7:8], v1, v[18:19]
	v_and_b32_e32 v32, 7, v7
; %bb.552:                              ;   in Loop: Header=BB395_11 Depth=1
	s_or_b32 exec_lo, exec_lo, s24
	v_mov_b32_e32 v1, 24
	v_lshlrev_b32_e32 v3, 20, v32
	v_lshl_add_u32 v0, v0, 23, 0x3c000000
	v_lshlrev_b32_sdwa v1, v1, v30 dst_sel:DWORD dst_unused:UNUSED_PAD src0_sel:DWORD src1_sel:BYTE_3
	v_and_b32_e32 v1, 0x80000000, v1
	v_or3_b32 v7, v3, v1, v0
.LBB395_553:                            ;   in Loop: Header=BB395_11 Depth=1
	s_or_b32 exec_lo, exec_lo, s23
.LBB395_554:                            ;   in Loop: Header=BB395_11 Depth=1
	s_or_b32 exec_lo, exec_lo, s22
.LBB395_555:                            ;   in Loop: Header=BB395_11 Depth=1
	s_or_b32 exec_lo, exec_lo, s6
	v_mov_b32_e32 v18, v31
	v_cmp_ne_u16_sdwa s5, v31, v19 src0_sel:BYTE_0 src1_sel:DWORD
	s_and_saveexec_b32 s6, s5
	s_cbranch_execz .LBB395_563
; %bb.556:                              ;   in Loop: Header=BB395_11 Depth=1
	v_mov_b32_e32 v0, 0x80
	v_bfrev_b32_e32 v2, 1
	v_cmp_ne_u16_sdwa s5, v31, v0 src0_sel:BYTE_0 src1_sel:DWORD
	s_and_saveexec_b32 s22, s5
	s_cbranch_execz .LBB395_562
; %bb.557:                              ;   in Loop: Header=BB395_11 Depth=1
	v_and_b32_e32 v1, 0x7f, v31
	v_mov_b32_e32 v2, 0x7f800001
	s_mov_b32 s23, exec_lo
	v_cmpx_ne_u32_e32 0x7f, v1
	s_cbranch_execz .LBB395_561
; %bb.558:                              ;   in Loop: Header=BB395_11 Depth=1
	v_mov_b32_e32 v33, v19
	v_lshrrev_b32_e32 v0, 3, v1
	v_mov_b32_e32 v32, v18
	s_mov_b32 s24, exec_lo
	v_cmpx_gt_u32_e32 8, v1
; %bb.559:                              ;   in Loop: Header=BB395_11 Depth=1
	v_and_b32_e32 v0, 7, v31
	v_ffbh_u32_e32 v0, v0
	v_min_u32_e32 v0, 32, v0
	v_subrev_nc_u32_e32 v1, 28, v0
	v_sub_nc_u32_e32 v0, 29, v0
	v_lshlrev_b64 v[32:33], v1, v[18:19]
; %bb.560:                              ;   in Loop: Header=BB395_11 Depth=1
	s_or_b32 exec_lo, exec_lo, s24
	v_lshlrev_b32_e32 v1, 20, v32
	v_lshlrev_b32_e32 v2, 24, v18
	v_lshl_add_u32 v0, v0, 23, 0x3c000000
	v_and_b32_e32 v1, 0x700000, v1
	v_and_b32_e32 v2, 0x80000000, v2
	v_or3_b32 v2, v1, v2, v0
.LBB395_561:                            ;   in Loop: Header=BB395_11 Depth=1
	s_or_b32 exec_lo, exec_lo, s23
.LBB395_562:                            ;   in Loop: Header=BB395_11 Depth=1
	s_or_b32 exec_lo, exec_lo, s22
.LBB395_563:                            ;   in Loop: Header=BB395_11 Depth=1
	s_or_b32 exec_lo, exec_lo, s6
	v_cmp_ne_u16_sdwa s5, v18, v19 src0_sel:BYTE_1 src1_sel:DWORD
	v_mov_b32_e32 v3, 0
	v_mov_b32_e32 v14, 0
	s_and_saveexec_b32 s6, s5
	s_cbranch_execz .LBB395_571
; %bb.564:                              ;   in Loop: Header=BB395_11 Depth=1
	v_mov_b32_e32 v0, 0x80
	v_bfrev_b32_e32 v14, 1
	v_cmp_ne_u16_sdwa s5, v18, v0 src0_sel:BYTE_1 src1_sel:DWORD
	s_and_saveexec_b32 s22, s5
	s_cbranch_execz .LBB395_570
; %bb.565:                              ;   in Loop: Header=BB395_11 Depth=1
	v_mov_b32_e32 v0, 0xffff
	v_mov_b32_e32 v14, 0x7f800001
	s_mov_b32 s23, exec_lo
	v_and_b32_sdwa v0, v0, v18 dst_sel:DWORD dst_unused:UNUSED_PAD src0_sel:DWORD src1_sel:BYTE_1
	v_and_b32_e32 v1, 0x7f, v0
	v_cmpx_ne_u32_e32 0x7f, v1
	s_cbranch_execz .LBB395_569
; %bb.566:                              ;   in Loop: Header=BB395_11 Depth=1
	v_and_b32_e32 v32, 7, v0
	v_mov_b32_e32 v33, v19
	v_lshrrev_b32_e32 v0, 3, v1
	s_mov_b32 s24, exec_lo
	v_cmpx_gt_u32_e32 8, v1
; %bb.567:                              ;   in Loop: Header=BB395_11 Depth=1
	v_ffbh_u32_e32 v0, v32
	v_min_u32_e32 v0, 32, v0
	v_subrev_nc_u32_e32 v1, 28, v0
	v_sub_nc_u32_e32 v0, 29, v0
	v_lshlrev_b64 v[8:9], v1, v[32:33]
	v_and_b32_e32 v32, 7, v8
; %bb.568:                              ;   in Loop: Header=BB395_11 Depth=1
	s_or_b32 exec_lo, exec_lo, s24
	v_lshlrev_b32_e32 v1, 16, v18
	v_lshlrev_b32_e32 v8, 20, v32
	v_lshl_add_u32 v0, v0, 23, 0x3c000000
	v_and_b32_e32 v1, 0x80000000, v1
	v_or3_b32 v14, v8, v1, v0
.LBB395_569:                            ;   in Loop: Header=BB395_11 Depth=1
	s_or_b32 exec_lo, exec_lo, s23
.LBB395_570:                            ;   in Loop: Header=BB395_11 Depth=1
	s_or_b32 exec_lo, exec_lo, s22
.LBB395_571:                            ;   in Loop: Header=BB395_11 Depth=1
	s_or_b32 exec_lo, exec_lo, s6
	v_mov_b32_e32 v0, 0xff
	s_mov_b32 s6, exec_lo
	v_and_b32_sdwa v0, v31, v0 dst_sel:DWORD dst_unused:UNUSED_PAD src0_sel:WORD_1 src1_sel:DWORD
	v_cmpx_ne_u16_e32 0, v0
	s_cbranch_execz .LBB395_579
; %bb.572:                              ;   in Loop: Header=BB395_11 Depth=1
	v_bfrev_b32_e32 v3, 1
	s_mov_b32 s22, exec_lo
	v_cmpx_ne_u16_e32 0x80, v0
	s_cbranch_execz .LBB395_578
; %bb.573:                              ;   in Loop: Header=BB395_11 Depth=1
	v_bfe_u32 v1, v31, 16, 7
	v_mov_b32_e32 v3, 0x7f800001
	s_mov_b32 s23, exec_lo
	v_cmpx_ne_u32_e32 0x7f, v1
	s_cbranch_execz .LBB395_577
; %bb.574:                              ;   in Loop: Header=BB395_11 Depth=1
	v_mov_b32_e32 v0, 7
	s_mov_b32 s24, exec_lo
	v_and_b32_sdwa v18, v31, v0 dst_sel:DWORD dst_unused:UNUSED_PAD src0_sel:WORD_1 src1_sel:DWORD
	v_mov_b32_e32 v33, v19
	v_lshrrev_b32_e32 v0, 3, v1
	v_mov_b32_e32 v32, v18
	v_cmpx_gt_u32_e32 8, v1
; %bb.575:                              ;   in Loop: Header=BB395_11 Depth=1
	v_ffbh_u32_e32 v0, v18
	v_min_u32_e32 v0, 32, v0
	v_subrev_nc_u32_e32 v1, 28, v0
	v_sub_nc_u32_e32 v0, 29, v0
	v_lshlrev_b64 v[8:9], v1, v[18:19]
	v_and_b32_e32 v32, 7, v8
; %bb.576:                              ;   in Loop: Header=BB395_11 Depth=1
	s_or_b32 exec_lo, exec_lo, s24
	v_mov_b32_e32 v1, 24
	v_lshlrev_b32_e32 v3, 20, v32
	v_lshl_add_u32 v0, v0, 23, 0x3c000000
	v_lshlrev_b32_sdwa v1, v1, v31 dst_sel:DWORD dst_unused:UNUSED_PAD src0_sel:DWORD src1_sel:WORD_1
	v_and_b32_e32 v1, 0x80000000, v1
	v_or3_b32 v3, v3, v1, v0
.LBB395_577:                            ;   in Loop: Header=BB395_11 Depth=1
	s_or_b32 exec_lo, exec_lo, s23
.LBB395_578:                            ;   in Loop: Header=BB395_11 Depth=1
	s_or_b32 exec_lo, exec_lo, s22
.LBB395_579:                            ;   in Loop: Header=BB395_11 Depth=1
	s_or_b32 exec_lo, exec_lo, s6
	v_mov_b32_e32 v23, 0
	v_mov_b32_e32 v15, 0
	s_mov_b32 s6, exec_lo
	v_cmpx_lt_u64_e64 s[8:9], v[30:31]
	s_cbranch_execz .LBB395_587
; %bb.580:                              ;   in Loop: Header=BB395_11 Depth=1
	v_mov_b32_e32 v0, 0x80
	v_bfrev_b32_e32 v15, 1
	v_cmp_ne_u32_sdwa s5, v31, v0 src0_sel:BYTE_3 src1_sel:DWORD
	s_and_saveexec_b32 s22, s5
	s_cbranch_execz .LBB395_586
; %bb.581:                              ;   in Loop: Header=BB395_11 Depth=1
	v_bfe_u32 v1, v31, 24, 7
	v_mov_b32_e32 v15, 0x7f800001
	s_mov_b32 s23, exec_lo
	v_cmpx_ne_u32_e32 0x7f, v1
	s_cbranch_execz .LBB395_585
; %bb.582:                              ;   in Loop: Header=BB395_11 Depth=1
	v_mov_b32_e32 v0, 7
	s_mov_b32 s24, exec_lo
	v_and_b32_sdwa v18, v31, v0 dst_sel:DWORD dst_unused:UNUSED_PAD src0_sel:BYTE_3 src1_sel:DWORD
	v_mov_b32_e32 v33, v19
	v_lshrrev_b32_e32 v0, 3, v1
	v_mov_b32_e32 v32, v18
	v_cmpx_gt_u32_e32 8, v1
; %bb.583:                              ;   in Loop: Header=BB395_11 Depth=1
	v_ffbh_u32_e32 v0, v18
	v_min_u32_e32 v0, 32, v0
	v_subrev_nc_u32_e32 v1, 28, v0
	v_sub_nc_u32_e32 v0, 29, v0
	v_lshlrev_b64 v[8:9], v1, v[18:19]
	v_and_b32_e32 v32, 7, v8
; %bb.584:                              ;   in Loop: Header=BB395_11 Depth=1
	s_or_b32 exec_lo, exec_lo, s24
	v_mov_b32_e32 v1, 24
	v_lshlrev_b32_e32 v8, 20, v32
	v_lshl_add_u32 v0, v0, 23, 0x3c000000
	v_lshlrev_b32_sdwa v1, v1, v31 dst_sel:DWORD dst_unused:UNUSED_PAD src0_sel:DWORD src1_sel:BYTE_3
	v_and_b32_e32 v1, 0x80000000, v1
	v_or3_b32 v15, v8, v1, v0
.LBB395_585:                            ;   in Loop: Header=BB395_11 Depth=1
	s_or_b32 exec_lo, exec_lo, s23
.LBB395_586:                            ;   in Loop: Header=BB395_11 Depth=1
	s_or_b32 exec_lo, exec_lo, s22
.LBB395_587:                            ;   in Loop: Header=BB395_11 Depth=1
	s_or_b32 exec_lo, exec_lo, s6
	flat_load_dwordx2 v[30:31], v[28:29] offset:8
	s_waitcnt vmcnt(0) lgkmcnt(0)
	v_cmp_ne_u16_sdwa s5, v30, v19 src0_sel:BYTE_0 src1_sel:DWORD
	s_and_saveexec_b32 s6, s5
	s_cbranch_execz .LBB395_595
; %bb.588:                              ;   in Loop: Header=BB395_11 Depth=1
	v_mov_b32_e32 v0, 0x80
	v_bfrev_b32_e32 v23, 1
	v_cmp_ne_u16_sdwa s5, v30, v0 src0_sel:BYTE_0 src1_sel:DWORD
	s_and_saveexec_b32 s22, s5
	s_cbranch_execz .LBB395_594
; %bb.589:                              ;   in Loop: Header=BB395_11 Depth=1
	v_and_b32_e32 v1, 0x7f, v30
	v_mov_b32_e32 v23, 0x7f800001
	s_mov_b32 s23, exec_lo
	v_cmpx_ne_u32_e32 0x7f, v1
	s_cbranch_execz .LBB395_593
; %bb.590:                              ;   in Loop: Header=BB395_11 Depth=1
	v_mov_b32_e32 v33, v31
	v_lshrrev_b32_e32 v0, 3, v1
	v_mov_b32_e32 v32, v30
	s_mov_b32 s24, exec_lo
	v_cmpx_gt_u32_e32 8, v1
; %bb.591:                              ;   in Loop: Header=BB395_11 Depth=1
	v_and_b32_e32 v0, 7, v30
	v_ffbh_u32_e32 v0, v0
	v_min_u32_e32 v0, 32, v0
	v_subrev_nc_u32_e32 v1, 28, v0
	v_sub_nc_u32_e32 v0, 29, v0
	v_lshlrev_b64 v[32:33], v1, v[30:31]
; %bb.592:                              ;   in Loop: Header=BB395_11 Depth=1
	s_or_b32 exec_lo, exec_lo, s24
	v_lshlrev_b32_e32 v1, 20, v32
	v_lshlrev_b32_e32 v8, 24, v30
	v_lshl_add_u32 v0, v0, 23, 0x3c000000
	v_and_b32_e32 v1, 0x700000, v1
	v_and_b32_e32 v8, 0x80000000, v8
	v_or3_b32 v23, v1, v8, v0
.LBB395_593:                            ;   in Loop: Header=BB395_11 Depth=1
	s_or_b32 exec_lo, exec_lo, s23
.LBB395_594:                            ;   in Loop: Header=BB395_11 Depth=1
	s_or_b32 exec_lo, exec_lo, s22
.LBB395_595:                            ;   in Loop: Header=BB395_11 Depth=1
	s_or_b32 exec_lo, exec_lo, s6
	v_cmp_ne_u16_sdwa s5, v30, v19 src0_sel:BYTE_1 src1_sel:DWORD
	v_mov_b32_e32 v38, 0
	v_mov_b32_e32 v34, 0
	s_and_saveexec_b32 s6, s5
	s_cbranch_execz .LBB395_603
; %bb.596:                              ;   in Loop: Header=BB395_11 Depth=1
	v_mov_b32_e32 v0, 0x80
	v_bfrev_b32_e32 v34, 1
	v_cmp_ne_u16_sdwa s5, v30, v0 src0_sel:BYTE_1 src1_sel:DWORD
	s_and_saveexec_b32 s22, s5
	s_cbranch_execz .LBB395_602
; %bb.597:                              ;   in Loop: Header=BB395_11 Depth=1
	v_mov_b32_e32 v0, 0xffff
	v_mov_b32_e32 v34, 0x7f800001
	s_mov_b32 s23, exec_lo
	v_and_b32_sdwa v0, v0, v30 dst_sel:DWORD dst_unused:UNUSED_PAD src0_sel:DWORD src1_sel:BYTE_1
	v_and_b32_e32 v1, 0x7f, v0
	v_cmpx_ne_u32_e32 0x7f, v1
	s_cbranch_execz .LBB395_601
; %bb.598:                              ;   in Loop: Header=BB395_11 Depth=1
	v_and_b32_e32 v18, 7, v0
	v_mov_b32_e32 v33, v19
	v_lshrrev_b32_e32 v0, 3, v1
	s_mov_b32 s24, exec_lo
	v_mov_b32_e32 v32, v18
	v_cmpx_gt_u32_e32 8, v1
; %bb.599:                              ;   in Loop: Header=BB395_11 Depth=1
	v_ffbh_u32_e32 v0, v18
	v_min_u32_e32 v0, 32, v0
	v_subrev_nc_u32_e32 v1, 28, v0
	v_sub_nc_u32_e32 v0, 29, v0
	v_lshlrev_b64 v[8:9], v1, v[18:19]
	v_and_b32_e32 v32, 7, v8
; %bb.600:                              ;   in Loop: Header=BB395_11 Depth=1
	s_or_b32 exec_lo, exec_lo, s24
	v_lshlrev_b32_e32 v1, 16, v30
	v_lshlrev_b32_e32 v8, 20, v32
	v_lshl_add_u32 v0, v0, 23, 0x3c000000
	v_and_b32_e32 v1, 0x80000000, v1
	v_or3_b32 v34, v8, v1, v0
.LBB395_601:                            ;   in Loop: Header=BB395_11 Depth=1
	s_or_b32 exec_lo, exec_lo, s23
.LBB395_602:                            ;   in Loop: Header=BB395_11 Depth=1
	s_or_b32 exec_lo, exec_lo, s22
.LBB395_603:                            ;   in Loop: Header=BB395_11 Depth=1
	s_or_b32 exec_lo, exec_lo, s6
	v_mov_b32_e32 v0, 0xff
	s_mov_b32 s6, exec_lo
	v_and_b32_sdwa v0, v30, v0 dst_sel:DWORD dst_unused:UNUSED_PAD src0_sel:WORD_1 src1_sel:DWORD
	v_cmpx_ne_u16_e32 0, v0
	s_cbranch_execz .LBB395_611
; %bb.604:                              ;   in Loop: Header=BB395_11 Depth=1
	v_bfrev_b32_e32 v38, 1
	s_mov_b32 s22, exec_lo
	v_cmpx_ne_u16_e32 0x80, v0
	s_cbranch_execz .LBB395_610
; %bb.605:                              ;   in Loop: Header=BB395_11 Depth=1
	v_bfe_u32 v1, v30, 16, 7
	v_mov_b32_e32 v38, 0x7f800001
	s_mov_b32 s23, exec_lo
	v_cmpx_ne_u32_e32 0x7f, v1
	s_cbranch_execz .LBB395_609
; %bb.606:                              ;   in Loop: Header=BB395_11 Depth=1
	v_mov_b32_e32 v0, 7
	s_mov_b32 s24, exec_lo
	v_and_b32_sdwa v18, v30, v0 dst_sel:DWORD dst_unused:UNUSED_PAD src0_sel:WORD_1 src1_sel:DWORD
	v_mov_b32_e32 v33, v19
	v_lshrrev_b32_e32 v0, 3, v1
	v_mov_b32_e32 v32, v18
	v_cmpx_gt_u32_e32 8, v1
; %bb.607:                              ;   in Loop: Header=BB395_11 Depth=1
	v_ffbh_u32_e32 v0, v18
	v_min_u32_e32 v0, 32, v0
	v_subrev_nc_u32_e32 v1, 28, v0
	v_sub_nc_u32_e32 v0, 29, v0
	v_lshlrev_b64 v[8:9], v1, v[18:19]
	v_and_b32_e32 v32, 7, v8
; %bb.608:                              ;   in Loop: Header=BB395_11 Depth=1
	s_or_b32 exec_lo, exec_lo, s24
	v_mov_b32_e32 v1, 24
	v_lshlrev_b32_e32 v8, 20, v32
	v_lshl_add_u32 v0, v0, 23, 0x3c000000
	v_lshlrev_b32_sdwa v1, v1, v30 dst_sel:DWORD dst_unused:UNUSED_PAD src0_sel:DWORD src1_sel:WORD_1
	v_and_b32_e32 v1, 0x80000000, v1
	v_or3_b32 v38, v8, v1, v0
.LBB395_609:                            ;   in Loop: Header=BB395_11 Depth=1
	s_or_b32 exec_lo, exec_lo, s23
.LBB395_610:                            ;   in Loop: Header=BB395_11 Depth=1
	s_or_b32 exec_lo, exec_lo, s22
.LBB395_611:                            ;   in Loop: Header=BB395_11 Depth=1
	s_or_b32 exec_lo, exec_lo, s6
	v_mov_b32_e32 v27, 0
	v_mov_b32_e32 v26, 0
	s_mov_b32 s6, exec_lo
	v_cmpx_lt_u32_e32 0xffffff, v30
	s_cbranch_execz .LBB395_619
; %bb.612:                              ;   in Loop: Header=BB395_11 Depth=1
	v_mov_b32_e32 v0, 0x80
	v_bfrev_b32_e32 v26, 1
	v_cmp_ne_u32_sdwa s5, v30, v0 src0_sel:BYTE_3 src1_sel:DWORD
	s_and_saveexec_b32 s22, s5
	s_cbranch_execz .LBB395_618
; %bb.613:                              ;   in Loop: Header=BB395_11 Depth=1
	v_bfe_u32 v1, v30, 24, 7
	v_mov_b32_e32 v26, 0x7f800001
	s_mov_b32 s23, exec_lo
	v_cmpx_ne_u32_e32 0x7f, v1
	s_cbranch_execz .LBB395_617
; %bb.614:                              ;   in Loop: Header=BB395_11 Depth=1
	v_mov_b32_e32 v0, 7
	s_mov_b32 s24, exec_lo
	v_and_b32_sdwa v18, v30, v0 dst_sel:DWORD dst_unused:UNUSED_PAD src0_sel:BYTE_3 src1_sel:DWORD
	v_mov_b32_e32 v33, v19
	v_lshrrev_b32_e32 v0, 3, v1
	v_mov_b32_e32 v32, v18
	v_cmpx_gt_u32_e32 8, v1
; %bb.615:                              ;   in Loop: Header=BB395_11 Depth=1
	v_ffbh_u32_e32 v0, v18
	v_min_u32_e32 v0, 32, v0
	v_subrev_nc_u32_e32 v1, 28, v0
	v_sub_nc_u32_e32 v0, 29, v0
	v_lshlrev_b64 v[8:9], v1, v[18:19]
	v_and_b32_e32 v32, 7, v8
; %bb.616:                              ;   in Loop: Header=BB395_11 Depth=1
	s_or_b32 exec_lo, exec_lo, s24
	v_mov_b32_e32 v1, 24
	v_lshlrev_b32_e32 v8, 20, v32
	v_lshl_add_u32 v0, v0, 23, 0x3c000000
	v_lshlrev_b32_sdwa v1, v1, v30 dst_sel:DWORD dst_unused:UNUSED_PAD src0_sel:DWORD src1_sel:BYTE_3
	v_and_b32_e32 v1, 0x80000000, v1
	v_or3_b32 v26, v8, v1, v0
.LBB395_617:                            ;   in Loop: Header=BB395_11 Depth=1
	s_or_b32 exec_lo, exec_lo, s23
.LBB395_618:                            ;   in Loop: Header=BB395_11 Depth=1
	s_or_b32 exec_lo, exec_lo, s22
.LBB395_619:                            ;   in Loop: Header=BB395_11 Depth=1
	s_or_b32 exec_lo, exec_lo, s6
	v_mov_b32_e32 v18, v31
	v_cmp_ne_u16_sdwa s5, v31, v19 src0_sel:BYTE_0 src1_sel:DWORD
	s_and_saveexec_b32 s6, s5
	s_cbranch_execz .LBB395_627
; %bb.620:                              ;   in Loop: Header=BB395_11 Depth=1
	v_mov_b32_e32 v0, 0x80
	v_bfrev_b32_e32 v27, 1
	v_cmp_ne_u16_sdwa s5, v31, v0 src0_sel:BYTE_0 src1_sel:DWORD
	s_and_saveexec_b32 s22, s5
	s_cbranch_execz .LBB395_626
; %bb.621:                              ;   in Loop: Header=BB395_11 Depth=1
	v_and_b32_e32 v1, 0x7f, v31
	v_mov_b32_e32 v27, 0x7f800001
	s_mov_b32 s23, exec_lo
	v_cmpx_ne_u32_e32 0x7f, v1
	s_cbranch_execz .LBB395_625
; %bb.622:                              ;   in Loop: Header=BB395_11 Depth=1
	v_mov_b32_e32 v33, v19
	v_lshrrev_b32_e32 v0, 3, v1
	v_mov_b32_e32 v32, v18
	s_mov_b32 s24, exec_lo
	v_cmpx_gt_u32_e32 8, v1
; %bb.623:                              ;   in Loop: Header=BB395_11 Depth=1
	v_and_b32_e32 v0, 7, v31
	v_ffbh_u32_e32 v0, v0
	v_min_u32_e32 v0, 32, v0
	v_subrev_nc_u32_e32 v1, 28, v0
	v_sub_nc_u32_e32 v0, 29, v0
	v_lshlrev_b64 v[32:33], v1, v[18:19]
; %bb.624:                              ;   in Loop: Header=BB395_11 Depth=1
	s_or_b32 exec_lo, exec_lo, s24
	v_lshlrev_b32_e32 v1, 20, v32
	v_lshlrev_b32_e32 v8, 24, v18
	v_lshl_add_u32 v0, v0, 23, 0x3c000000
	v_and_b32_e32 v1, 0x700000, v1
	v_and_b32_e32 v8, 0x80000000, v8
	v_or3_b32 v27, v1, v8, v0
.LBB395_625:                            ;   in Loop: Header=BB395_11 Depth=1
	s_or_b32 exec_lo, exec_lo, s23
.LBB395_626:                            ;   in Loop: Header=BB395_11 Depth=1
	s_or_b32 exec_lo, exec_lo, s22
.LBB395_627:                            ;   in Loop: Header=BB395_11 Depth=1
	s_or_b32 exec_lo, exec_lo, s6
	v_cmp_ne_u16_sdwa s5, v18, v19 src0_sel:BYTE_1 src1_sel:DWORD
	v_mov_b32_e32 v22, 0
	v_mov_b32_e32 v49, 0
	s_and_saveexec_b32 s6, s5
	s_cbranch_execz .LBB395_635
; %bb.628:                              ;   in Loop: Header=BB395_11 Depth=1
	v_mov_b32_e32 v0, 0x80
	v_bfrev_b32_e32 v49, 1
	v_cmp_ne_u16_sdwa s5, v18, v0 src0_sel:BYTE_1 src1_sel:DWORD
	s_and_saveexec_b32 s22, s5
	s_cbranch_execz .LBB395_634
; %bb.629:                              ;   in Loop: Header=BB395_11 Depth=1
	v_mov_b32_e32 v0, 0xffff
	v_mov_b32_e32 v49, 0x7f800001
	s_mov_b32 s23, exec_lo
	v_and_b32_sdwa v0, v0, v18 dst_sel:DWORD dst_unused:UNUSED_PAD src0_sel:DWORD src1_sel:BYTE_1
	v_and_b32_e32 v1, 0x7f, v0
	v_cmpx_ne_u32_e32 0x7f, v1
	s_cbranch_execz .LBB395_633
; %bb.630:                              ;   in Loop: Header=BB395_11 Depth=1
	v_and_b32_e32 v32, 7, v0
	v_mov_b32_e32 v33, v19
	v_lshrrev_b32_e32 v0, 3, v1
	s_mov_b32 s24, exec_lo
	v_cmpx_gt_u32_e32 8, v1
; %bb.631:                              ;   in Loop: Header=BB395_11 Depth=1
	v_ffbh_u32_e32 v0, v32
	v_min_u32_e32 v0, 32, v0
	v_subrev_nc_u32_e32 v1, 28, v0
	v_sub_nc_u32_e32 v0, 29, v0
	v_lshlrev_b64 v[8:9], v1, v[32:33]
	v_and_b32_e32 v32, 7, v8
; %bb.632:                              ;   in Loop: Header=BB395_11 Depth=1
	s_or_b32 exec_lo, exec_lo, s24
	v_lshlrev_b32_e32 v1, 16, v18
	v_lshlrev_b32_e32 v8, 20, v32
	v_lshl_add_u32 v0, v0, 23, 0x3c000000
	v_and_b32_e32 v1, 0x80000000, v1
	v_or3_b32 v49, v8, v1, v0
.LBB395_633:                            ;   in Loop: Header=BB395_11 Depth=1
	s_or_b32 exec_lo, exec_lo, s23
.LBB395_634:                            ;   in Loop: Header=BB395_11 Depth=1
	s_or_b32 exec_lo, exec_lo, s22
.LBB395_635:                            ;   in Loop: Header=BB395_11 Depth=1
	s_or_b32 exec_lo, exec_lo, s6
	v_mov_b32_e32 v0, 0xff
	s_mov_b32 s6, exec_lo
	v_and_b32_sdwa v0, v31, v0 dst_sel:DWORD dst_unused:UNUSED_PAD src0_sel:WORD_1 src1_sel:DWORD
	v_cmpx_ne_u16_e32 0, v0
	s_cbranch_execz .LBB395_643
; %bb.636:                              ;   in Loop: Header=BB395_11 Depth=1
	v_bfrev_b32_e32 v22, 1
	s_mov_b32 s22, exec_lo
	v_cmpx_ne_u16_e32 0x80, v0
	s_cbranch_execz .LBB395_642
; %bb.637:                              ;   in Loop: Header=BB395_11 Depth=1
	v_bfe_u32 v1, v31, 16, 7
	v_mov_b32_e32 v22, 0x7f800001
	s_mov_b32 s23, exec_lo
	v_cmpx_ne_u32_e32 0x7f, v1
	s_cbranch_execz .LBB395_641
; %bb.638:                              ;   in Loop: Header=BB395_11 Depth=1
	v_mov_b32_e32 v0, 7
	s_mov_b32 s24, exec_lo
	v_and_b32_sdwa v18, v31, v0 dst_sel:DWORD dst_unused:UNUSED_PAD src0_sel:WORD_1 src1_sel:DWORD
	v_mov_b32_e32 v33, v19
	v_lshrrev_b32_e32 v0, 3, v1
	v_mov_b32_e32 v32, v18
	v_cmpx_gt_u32_e32 8, v1
; %bb.639:                              ;   in Loop: Header=BB395_11 Depth=1
	v_ffbh_u32_e32 v0, v18
	v_min_u32_e32 v0, 32, v0
	v_subrev_nc_u32_e32 v1, 28, v0
	v_sub_nc_u32_e32 v0, 29, v0
	v_lshlrev_b64 v[8:9], v1, v[18:19]
	v_and_b32_e32 v32, 7, v8
; %bb.640:                              ;   in Loop: Header=BB395_11 Depth=1
	s_or_b32 exec_lo, exec_lo, s24
	v_mov_b32_e32 v1, 24
	v_lshlrev_b32_e32 v8, 20, v32
	v_lshl_add_u32 v0, v0, 23, 0x3c000000
	v_lshlrev_b32_sdwa v1, v1, v31 dst_sel:DWORD dst_unused:UNUSED_PAD src0_sel:DWORD src1_sel:WORD_1
	v_and_b32_e32 v1, 0x80000000, v1
	v_or3_b32 v22, v8, v1, v0
.LBB395_641:                            ;   in Loop: Header=BB395_11 Depth=1
	s_or_b32 exec_lo, exec_lo, s23
.LBB395_642:                            ;   in Loop: Header=BB395_11 Depth=1
	s_or_b32 exec_lo, exec_lo, s22
.LBB395_643:                            ;   in Loop: Header=BB395_11 Depth=1
	s_or_b32 exec_lo, exec_lo, s6
	v_mov_b32_e32 v0, 0
	v_mov_b32_e32 v1, 0
	s_mov_b32 s6, exec_lo
	v_cmpx_lt_u64_e64 s[8:9], v[30:31]
	s_cbranch_execz .LBB395_651
; %bb.644:                              ;   in Loop: Header=BB395_11 Depth=1
	v_mov_b32_e32 v1, 0x80
	v_cmp_ne_u32_sdwa s5, v31, v1 src0_sel:BYTE_3 src1_sel:DWORD
	v_bfrev_b32_e32 v1, 1
	s_and_saveexec_b32 s22, s5
	s_cbranch_execz .LBB395_650
; %bb.645:                              ;   in Loop: Header=BB395_11 Depth=1
	v_bfe_u32 v8, v31, 24, 7
	v_mov_b32_e32 v1, 0x7f800001
	s_mov_b32 s23, exec_lo
	v_cmpx_ne_u32_e32 0x7f, v8
	s_cbranch_execz .LBB395_649
; %bb.646:                              ;   in Loop: Header=BB395_11 Depth=1
	v_mov_b32_e32 v1, 7
	s_mov_b32 s24, exec_lo
	v_and_b32_sdwa v18, v31, v1 dst_sel:DWORD dst_unused:UNUSED_PAD src0_sel:BYTE_3 src1_sel:DWORD
	v_mov_b32_e32 v33, v19
	v_lshrrev_b32_e32 v1, 3, v8
	v_mov_b32_e32 v32, v18
	v_cmpx_gt_u32_e32 8, v8
; %bb.647:                              ;   in Loop: Header=BB395_11 Depth=1
	v_ffbh_u32_e32 v1, v18
	v_min_u32_e32 v1, 32, v1
	v_subrev_nc_u32_e32 v8, 28, v1
	v_sub_nc_u32_e32 v1, 29, v1
	v_lshlrev_b64 v[8:9], v8, v[18:19]
	v_and_b32_e32 v32, 7, v8
; %bb.648:                              ;   in Loop: Header=BB395_11 Depth=1
	s_or_b32 exec_lo, exec_lo, s24
	v_mov_b32_e32 v8, 24
	v_lshlrev_b32_e32 v9, 20, v32
	v_lshl_add_u32 v1, v1, 23, 0x3c000000
	v_lshlrev_b32_sdwa v8, v8, v31 dst_sel:DWORD dst_unused:UNUSED_PAD src0_sel:DWORD src1_sel:BYTE_3
	v_and_b32_e32 v8, 0x80000000, v8
	v_or3_b32 v1, v9, v8, v1
.LBB395_649:                            ;   in Loop: Header=BB395_11 Depth=1
	s_or_b32 exec_lo, exec_lo, s23
.LBB395_650:                            ;   in Loop: Header=BB395_11 Depth=1
	s_or_b32 exec_lo, exec_lo, s22
.LBB395_651:                            ;   in Loop: Header=BB395_11 Depth=1
	s_or_b32 exec_lo, exec_lo, s6
	flat_load_dwordx2 v[30:31], v[28:29] offset:512
	s_waitcnt vmcnt(0) lgkmcnt(0)
	v_cmp_ne_u16_sdwa s5, v30, v19 src0_sel:BYTE_0 src1_sel:DWORD
	s_and_saveexec_b32 s6, s5
	s_cbranch_execz .LBB395_659
; %bb.652:                              ;   in Loop: Header=BB395_11 Depth=1
	v_mov_b32_e32 v0, 0x80
	v_cmp_ne_u16_sdwa s5, v30, v0 src0_sel:BYTE_0 src1_sel:DWORD
	v_bfrev_b32_e32 v0, 1
	s_and_saveexec_b32 s22, s5
	s_cbranch_execz .LBB395_658
; %bb.653:                              ;   in Loop: Header=BB395_11 Depth=1
	v_and_b32_e32 v8, 0x7f, v30
	v_mov_b32_e32 v0, 0x7f800001
	s_mov_b32 s23, exec_lo
	v_cmpx_ne_u32_e32 0x7f, v8
	s_cbranch_execz .LBB395_657
; %bb.654:                              ;   in Loop: Header=BB395_11 Depth=1
	v_mov_b32_e32 v33, v31
	v_lshrrev_b32_e32 v0, 3, v8
	v_mov_b32_e32 v32, v30
	s_mov_b32 s24, exec_lo
	v_cmpx_gt_u32_e32 8, v8
; %bb.655:                              ;   in Loop: Header=BB395_11 Depth=1
	v_and_b32_e32 v0, 7, v30
	v_ffbh_u32_e32 v0, v0
	v_min_u32_e32 v0, 32, v0
	v_subrev_nc_u32_e32 v8, 28, v0
	v_sub_nc_u32_e32 v0, 29, v0
	v_lshlrev_b64 v[32:33], v8, v[30:31]
; %bb.656:                              ;   in Loop: Header=BB395_11 Depth=1
	s_or_b32 exec_lo, exec_lo, s24
	v_lshlrev_b32_e32 v8, 20, v32
	v_lshlrev_b32_e32 v9, 24, v30
	v_lshl_add_u32 v0, v0, 23, 0x3c000000
	v_and_b32_e32 v8, 0x700000, v8
	v_and_b32_e32 v9, 0x80000000, v9
	v_or3_b32 v0, v8, v9, v0
.LBB395_657:                            ;   in Loop: Header=BB395_11 Depth=1
	s_or_b32 exec_lo, exec_lo, s23
.LBB395_658:                            ;   in Loop: Header=BB395_11 Depth=1
	s_or_b32 exec_lo, exec_lo, s22
.LBB395_659:                            ;   in Loop: Header=BB395_11 Depth=1
	s_or_b32 exec_lo, exec_lo, s6
	v_cmp_ne_u16_sdwa s5, v30, v19 src0_sel:BYTE_1 src1_sel:DWORD
	v_mov_b32_e32 v51, 0
	v_mov_b32_e32 v50, 0
	s_and_saveexec_b32 s6, s5
	s_cbranch_execz .LBB395_667
; %bb.660:                              ;   in Loop: Header=BB395_11 Depth=1
	v_mov_b32_e32 v8, 0x80
	v_bfrev_b32_e32 v50, 1
	v_cmp_ne_u16_sdwa s5, v30, v8 src0_sel:BYTE_1 src1_sel:DWORD
	s_and_saveexec_b32 s22, s5
	s_cbranch_execz .LBB395_666
; %bb.661:                              ;   in Loop: Header=BB395_11 Depth=1
	v_mov_b32_e32 v8, 0xffff
	v_mov_b32_e32 v50, 0x7f800001
	s_mov_b32 s23, exec_lo
	v_and_b32_sdwa v8, v8, v30 dst_sel:DWORD dst_unused:UNUSED_PAD src0_sel:DWORD src1_sel:BYTE_1
	v_and_b32_e32 v9, 0x7f, v8
	v_cmpx_ne_u32_e32 0x7f, v9
	s_cbranch_execz .LBB395_665
; %bb.662:                              ;   in Loop: Header=BB395_11 Depth=1
	v_and_b32_e32 v18, 7, v8
	v_mov_b32_e32 v33, v19
	v_lshrrev_b32_e32 v8, 3, v9
	s_mov_b32 s24, exec_lo
	v_mov_b32_e32 v32, v18
	v_cmpx_gt_u32_e32 8, v9
; %bb.663:                              ;   in Loop: Header=BB395_11 Depth=1
	v_ffbh_u32_e32 v8, v18
	v_min_u32_e32 v8, 32, v8
	v_subrev_nc_u32_e32 v9, 28, v8
	v_sub_nc_u32_e32 v8, 29, v8
	v_lshlrev_b64 v[16:17], v9, v[18:19]
	v_and_b32_e32 v32, 7, v16
; %bb.664:                              ;   in Loop: Header=BB395_11 Depth=1
	s_or_b32 exec_lo, exec_lo, s24
	v_lshlrev_b32_e32 v9, 16, v30
	v_lshlrev_b32_e32 v13, 20, v32
	v_lshl_add_u32 v8, v8, 23, 0x3c000000
	v_and_b32_e32 v9, 0x80000000, v9
	v_or3_b32 v50, v13, v9, v8
.LBB395_665:                            ;   in Loop: Header=BB395_11 Depth=1
	s_or_b32 exec_lo, exec_lo, s23
.LBB395_666:                            ;   in Loop: Header=BB395_11 Depth=1
	s_or_b32 exec_lo, exec_lo, s22
.LBB395_667:                            ;   in Loop: Header=BB395_11 Depth=1
	s_or_b32 exec_lo, exec_lo, s6
	v_mov_b32_e32 v8, 0xff
	s_mov_b32 s6, exec_lo
	v_and_b32_sdwa v8, v30, v8 dst_sel:DWORD dst_unused:UNUSED_PAD src0_sel:WORD_1 src1_sel:DWORD
	v_cmpx_ne_u16_e32 0, v8
	s_cbranch_execz .LBB395_675
; %bb.668:                              ;   in Loop: Header=BB395_11 Depth=1
	v_bfrev_b32_e32 v51, 1
	s_mov_b32 s22, exec_lo
	v_cmpx_ne_u16_e32 0x80, v8
	s_cbranch_execz .LBB395_674
; %bb.669:                              ;   in Loop: Header=BB395_11 Depth=1
	v_bfe_u32 v9, v30, 16, 7
	v_mov_b32_e32 v51, 0x7f800001
	s_mov_b32 s23, exec_lo
	v_cmpx_ne_u32_e32 0x7f, v9
	s_cbranch_execz .LBB395_673
; %bb.670:                              ;   in Loop: Header=BB395_11 Depth=1
	v_mov_b32_e32 v8, 7
	s_mov_b32 s24, exec_lo
	v_and_b32_sdwa v18, v30, v8 dst_sel:DWORD dst_unused:UNUSED_PAD src0_sel:WORD_1 src1_sel:DWORD
	v_mov_b32_e32 v33, v19
	v_lshrrev_b32_e32 v8, 3, v9
	v_mov_b32_e32 v32, v18
	v_cmpx_gt_u32_e32 8, v9
; %bb.671:                              ;   in Loop: Header=BB395_11 Depth=1
	v_ffbh_u32_e32 v8, v18
	v_min_u32_e32 v8, 32, v8
	v_subrev_nc_u32_e32 v9, 28, v8
	v_sub_nc_u32_e32 v8, 29, v8
	v_lshlrev_b64 v[16:17], v9, v[18:19]
	v_and_b32_e32 v32, 7, v16
; %bb.672:                              ;   in Loop: Header=BB395_11 Depth=1
	s_or_b32 exec_lo, exec_lo, s24
	v_mov_b32_e32 v9, 24
	v_lshlrev_b32_e32 v13, 20, v32
	v_lshl_add_u32 v8, v8, 23, 0x3c000000
	v_lshlrev_b32_sdwa v9, v9, v30 dst_sel:DWORD dst_unused:UNUSED_PAD src0_sel:DWORD src1_sel:WORD_1
	v_and_b32_e32 v9, 0x80000000, v9
	v_or3_b32 v51, v13, v9, v8
.LBB395_673:                            ;   in Loop: Header=BB395_11 Depth=1
	s_or_b32 exec_lo, exec_lo, s23
.LBB395_674:                            ;   in Loop: Header=BB395_11 Depth=1
	s_or_b32 exec_lo, exec_lo, s22
.LBB395_675:                            ;   in Loop: Header=BB395_11 Depth=1
	s_or_b32 exec_lo, exec_lo, s6
	v_mov_b32_e32 v53, 0
	v_mov_b32_e32 v52, 0
	s_mov_b32 s6, exec_lo
	v_cmpx_lt_u32_e32 0xffffff, v30
	s_cbranch_execz .LBB395_683
; %bb.676:                              ;   in Loop: Header=BB395_11 Depth=1
	v_mov_b32_e32 v8, 0x80
	v_bfrev_b32_e32 v52, 1
	v_cmp_ne_u32_sdwa s5, v30, v8 src0_sel:BYTE_3 src1_sel:DWORD
	s_and_saveexec_b32 s22, s5
	s_cbranch_execz .LBB395_682
; %bb.677:                              ;   in Loop: Header=BB395_11 Depth=1
	v_bfe_u32 v9, v30, 24, 7
	v_mov_b32_e32 v52, 0x7f800001
	s_mov_b32 s23, exec_lo
	v_cmpx_ne_u32_e32 0x7f, v9
	s_cbranch_execz .LBB395_681
; %bb.678:                              ;   in Loop: Header=BB395_11 Depth=1
	v_mov_b32_e32 v8, 7
	s_mov_b32 s24, exec_lo
	v_and_b32_sdwa v18, v30, v8 dst_sel:DWORD dst_unused:UNUSED_PAD src0_sel:BYTE_3 src1_sel:DWORD
	v_mov_b32_e32 v33, v19
	v_lshrrev_b32_e32 v8, 3, v9
	v_mov_b32_e32 v32, v18
	v_cmpx_gt_u32_e32 8, v9
; %bb.679:                              ;   in Loop: Header=BB395_11 Depth=1
	v_ffbh_u32_e32 v8, v18
	v_min_u32_e32 v8, 32, v8
	v_subrev_nc_u32_e32 v9, 28, v8
	v_sub_nc_u32_e32 v8, 29, v8
	v_lshlrev_b64 v[16:17], v9, v[18:19]
	v_and_b32_e32 v32, 7, v16
; %bb.680:                              ;   in Loop: Header=BB395_11 Depth=1
	s_or_b32 exec_lo, exec_lo, s24
	v_mov_b32_e32 v9, 24
	v_lshlrev_b32_e32 v13, 20, v32
	v_lshl_add_u32 v8, v8, 23, 0x3c000000
	v_lshlrev_b32_sdwa v9, v9, v30 dst_sel:DWORD dst_unused:UNUSED_PAD src0_sel:DWORD src1_sel:BYTE_3
	v_and_b32_e32 v9, 0x80000000, v9
	v_or3_b32 v52, v13, v9, v8
.LBB395_681:                            ;   in Loop: Header=BB395_11 Depth=1
	s_or_b32 exec_lo, exec_lo, s23
.LBB395_682:                            ;   in Loop: Header=BB395_11 Depth=1
	s_or_b32 exec_lo, exec_lo, s22
.LBB395_683:                            ;   in Loop: Header=BB395_11 Depth=1
	s_or_b32 exec_lo, exec_lo, s6
	v_mov_b32_e32 v18, v31
	v_cmp_ne_u16_sdwa s5, v31, v19 src0_sel:BYTE_0 src1_sel:DWORD
	s_and_saveexec_b32 s6, s5
	s_cbranch_execz .LBB395_691
; %bb.684:                              ;   in Loop: Header=BB395_11 Depth=1
	v_mov_b32_e32 v8, 0x80
	v_bfrev_b32_e32 v53, 1
	v_cmp_ne_u16_sdwa s5, v31, v8 src0_sel:BYTE_0 src1_sel:DWORD
	s_and_saveexec_b32 s22, s5
	s_cbranch_execz .LBB395_690
; %bb.685:                              ;   in Loop: Header=BB395_11 Depth=1
	v_and_b32_e32 v9, 0x7f, v31
	v_mov_b32_e32 v53, 0x7f800001
	s_mov_b32 s23, exec_lo
	v_cmpx_ne_u32_e32 0x7f, v9
	s_cbranch_execz .LBB395_689
; %bb.686:                              ;   in Loop: Header=BB395_11 Depth=1
	v_mov_b32_e32 v33, v19
	v_lshrrev_b32_e32 v8, 3, v9
	v_mov_b32_e32 v32, v18
	s_mov_b32 s24, exec_lo
	v_cmpx_gt_u32_e32 8, v9
; %bb.687:                              ;   in Loop: Header=BB395_11 Depth=1
	v_and_b32_e32 v8, 7, v31
	v_ffbh_u32_e32 v8, v8
	v_min_u32_e32 v8, 32, v8
	v_subrev_nc_u32_e32 v9, 28, v8
	v_sub_nc_u32_e32 v8, 29, v8
	v_lshlrev_b64 v[32:33], v9, v[18:19]
; %bb.688:                              ;   in Loop: Header=BB395_11 Depth=1
	s_or_b32 exec_lo, exec_lo, s24
	v_lshlrev_b32_e32 v9, 20, v32
	v_lshlrev_b32_e32 v13, 24, v18
	v_lshl_add_u32 v8, v8, 23, 0x3c000000
	v_and_b32_e32 v9, 0x700000, v9
	v_and_b32_e32 v13, 0x80000000, v13
	v_or3_b32 v53, v9, v13, v8
.LBB395_689:                            ;   in Loop: Header=BB395_11 Depth=1
	s_or_b32 exec_lo, exec_lo, s23
.LBB395_690:                            ;   in Loop: Header=BB395_11 Depth=1
	s_or_b32 exec_lo, exec_lo, s22
.LBB395_691:                            ;   in Loop: Header=BB395_11 Depth=1
	s_or_b32 exec_lo, exec_lo, s6
	v_cmp_ne_u16_sdwa s5, v18, v19 src0_sel:BYTE_1 src1_sel:DWORD
	v_mov_b32_e32 v54, 0
	v_mov_b32_e32 v55, 0
	s_and_saveexec_b32 s6, s5
	s_cbranch_execz .LBB395_699
; %bb.692:                              ;   in Loop: Header=BB395_11 Depth=1
	v_mov_b32_e32 v8, 0x80
	v_bfrev_b32_e32 v55, 1
	v_cmp_ne_u16_sdwa s5, v18, v8 src0_sel:BYTE_1 src1_sel:DWORD
	s_and_saveexec_b32 s22, s5
	s_cbranch_execz .LBB395_698
; %bb.693:                              ;   in Loop: Header=BB395_11 Depth=1
	v_mov_b32_e32 v8, 0xffff
	v_mov_b32_e32 v55, 0x7f800001
	s_mov_b32 s23, exec_lo
	v_and_b32_sdwa v8, v8, v18 dst_sel:DWORD dst_unused:UNUSED_PAD src0_sel:DWORD src1_sel:BYTE_1
	v_and_b32_e32 v9, 0x7f, v8
	v_cmpx_ne_u32_e32 0x7f, v9
	s_cbranch_execz .LBB395_697
; %bb.694:                              ;   in Loop: Header=BB395_11 Depth=1
	v_and_b32_e32 v32, 7, v8
	v_mov_b32_e32 v33, v19
	v_lshrrev_b32_e32 v8, 3, v9
	s_mov_b32 s24, exec_lo
	v_cmpx_gt_u32_e32 8, v9
; %bb.695:                              ;   in Loop: Header=BB395_11 Depth=1
	v_ffbh_u32_e32 v8, v32
	v_min_u32_e32 v8, 32, v8
	v_subrev_nc_u32_e32 v9, 28, v8
	v_sub_nc_u32_e32 v8, 29, v8
	v_lshlrev_b64 v[16:17], v9, v[32:33]
	v_and_b32_e32 v32, 7, v16
; %bb.696:                              ;   in Loop: Header=BB395_11 Depth=1
	s_or_b32 exec_lo, exec_lo, s24
	v_lshlrev_b32_e32 v9, 16, v18
	v_lshlrev_b32_e32 v13, 20, v32
	v_lshl_add_u32 v8, v8, 23, 0x3c000000
	v_and_b32_e32 v9, 0x80000000, v9
	v_or3_b32 v55, v13, v9, v8
.LBB395_697:                            ;   in Loop: Header=BB395_11 Depth=1
	s_or_b32 exec_lo, exec_lo, s23
.LBB395_698:                            ;   in Loop: Header=BB395_11 Depth=1
	s_or_b32 exec_lo, exec_lo, s22
.LBB395_699:                            ;   in Loop: Header=BB395_11 Depth=1
	s_or_b32 exec_lo, exec_lo, s6
	v_mov_b32_e32 v8, 0xff
	s_mov_b32 s6, exec_lo
	v_and_b32_sdwa v8, v31, v8 dst_sel:DWORD dst_unused:UNUSED_PAD src0_sel:WORD_1 src1_sel:DWORD
	v_cmpx_ne_u16_e32 0, v8
	s_cbranch_execz .LBB395_707
; %bb.700:                              ;   in Loop: Header=BB395_11 Depth=1
	v_bfrev_b32_e32 v54, 1
	s_mov_b32 s22, exec_lo
	v_cmpx_ne_u16_e32 0x80, v8
	s_cbranch_execz .LBB395_706
; %bb.701:                              ;   in Loop: Header=BB395_11 Depth=1
	v_bfe_u32 v9, v31, 16, 7
	v_mov_b32_e32 v54, 0x7f800001
	s_mov_b32 s23, exec_lo
	v_cmpx_ne_u32_e32 0x7f, v9
	s_cbranch_execz .LBB395_705
; %bb.702:                              ;   in Loop: Header=BB395_11 Depth=1
	v_mov_b32_e32 v8, 7
	s_mov_b32 s24, exec_lo
	v_and_b32_sdwa v18, v31, v8 dst_sel:DWORD dst_unused:UNUSED_PAD src0_sel:WORD_1 src1_sel:DWORD
	v_mov_b32_e32 v33, v19
	v_lshrrev_b32_e32 v8, 3, v9
	v_mov_b32_e32 v32, v18
	v_cmpx_gt_u32_e32 8, v9
; %bb.703:                              ;   in Loop: Header=BB395_11 Depth=1
	v_ffbh_u32_e32 v8, v18
	v_min_u32_e32 v8, 32, v8
	v_subrev_nc_u32_e32 v9, 28, v8
	v_sub_nc_u32_e32 v8, 29, v8
	v_lshlrev_b64 v[16:17], v9, v[18:19]
	v_and_b32_e32 v32, 7, v16
; %bb.704:                              ;   in Loop: Header=BB395_11 Depth=1
	s_or_b32 exec_lo, exec_lo, s24
	v_mov_b32_e32 v9, 24
	v_lshlrev_b32_e32 v13, 20, v32
	v_lshl_add_u32 v8, v8, 23, 0x3c000000
	v_lshlrev_b32_sdwa v9, v9, v31 dst_sel:DWORD dst_unused:UNUSED_PAD src0_sel:DWORD src1_sel:WORD_1
	v_and_b32_e32 v9, 0x80000000, v9
	v_or3_b32 v54, v13, v9, v8
.LBB395_705:                            ;   in Loop: Header=BB395_11 Depth=1
	s_or_b32 exec_lo, exec_lo, s23
.LBB395_706:                            ;   in Loop: Header=BB395_11 Depth=1
	s_or_b32 exec_lo, exec_lo, s22
.LBB395_707:                            ;   in Loop: Header=BB395_11 Depth=1
	s_or_b32 exec_lo, exec_lo, s6
	v_mov_b32_e32 v65, 0
	v_mov_b32_e32 v64, 0
	s_mov_b32 s6, exec_lo
	v_cmpx_lt_u64_e64 s[8:9], v[30:31]
	s_cbranch_execz .LBB395_715
; %bb.708:                              ;   in Loop: Header=BB395_11 Depth=1
	v_mov_b32_e32 v8, 0x80
	v_bfrev_b32_e32 v64, 1
	v_cmp_ne_u32_sdwa s5, v31, v8 src0_sel:BYTE_3 src1_sel:DWORD
	s_and_saveexec_b32 s22, s5
	s_cbranch_execz .LBB395_714
; %bb.709:                              ;   in Loop: Header=BB395_11 Depth=1
	v_bfe_u32 v9, v31, 24, 7
	v_mov_b32_e32 v64, 0x7f800001
	s_mov_b32 s23, exec_lo
	v_cmpx_ne_u32_e32 0x7f, v9
	s_cbranch_execz .LBB395_713
; %bb.710:                              ;   in Loop: Header=BB395_11 Depth=1
	v_mov_b32_e32 v8, 7
	s_mov_b32 s24, exec_lo
	v_and_b32_sdwa v18, v31, v8 dst_sel:DWORD dst_unused:UNUSED_PAD src0_sel:BYTE_3 src1_sel:DWORD
	v_mov_b32_e32 v33, v19
	v_lshrrev_b32_e32 v8, 3, v9
	v_mov_b32_e32 v32, v18
	v_cmpx_gt_u32_e32 8, v9
; %bb.711:                              ;   in Loop: Header=BB395_11 Depth=1
	v_ffbh_u32_e32 v8, v18
	v_min_u32_e32 v8, 32, v8
	v_subrev_nc_u32_e32 v9, 28, v8
	v_sub_nc_u32_e32 v8, 29, v8
	v_lshlrev_b64 v[16:17], v9, v[18:19]
	v_and_b32_e32 v32, 7, v16
; %bb.712:                              ;   in Loop: Header=BB395_11 Depth=1
	s_or_b32 exec_lo, exec_lo, s24
	v_mov_b32_e32 v9, 24
	v_lshlrev_b32_e32 v13, 20, v32
	v_lshl_add_u32 v8, v8, 23, 0x3c000000
	v_lshlrev_b32_sdwa v9, v9, v31 dst_sel:DWORD dst_unused:UNUSED_PAD src0_sel:DWORD src1_sel:BYTE_3
	v_and_b32_e32 v9, 0x80000000, v9
	v_or3_b32 v64, v13, v9, v8
.LBB395_713:                            ;   in Loop: Header=BB395_11 Depth=1
	s_or_b32 exec_lo, exec_lo, s23
.LBB395_714:                            ;   in Loop: Header=BB395_11 Depth=1
	s_or_b32 exec_lo, exec_lo, s22
.LBB395_715:                            ;   in Loop: Header=BB395_11 Depth=1
	s_or_b32 exec_lo, exec_lo, s6
	flat_load_dwordx2 v[30:31], v[28:29] offset:520
	s_waitcnt vmcnt(0) lgkmcnt(0)
	v_cmp_ne_u16_sdwa s5, v30, v19 src0_sel:BYTE_0 src1_sel:DWORD
	s_and_saveexec_b32 s6, s5
	s_cbranch_execz .LBB395_723
; %bb.716:                              ;   in Loop: Header=BB395_11 Depth=1
	v_mov_b32_e32 v8, 0x80
	v_bfrev_b32_e32 v65, 1
	v_cmp_ne_u16_sdwa s5, v30, v8 src0_sel:BYTE_0 src1_sel:DWORD
	s_and_saveexec_b32 s22, s5
	s_cbranch_execz .LBB395_722
; %bb.717:                              ;   in Loop: Header=BB395_11 Depth=1
	v_and_b32_e32 v9, 0x7f, v30
	v_mov_b32_e32 v65, 0x7f800001
	s_mov_b32 s23, exec_lo
	v_cmpx_ne_u32_e32 0x7f, v9
	s_cbranch_execz .LBB395_721
; %bb.718:                              ;   in Loop: Header=BB395_11 Depth=1
	v_mov_b32_e32 v33, v31
	v_lshrrev_b32_e32 v8, 3, v9
	v_mov_b32_e32 v32, v30
	s_mov_b32 s24, exec_lo
	v_cmpx_gt_u32_e32 8, v9
; %bb.719:                              ;   in Loop: Header=BB395_11 Depth=1
	v_and_b32_e32 v8, 7, v30
	v_ffbh_u32_e32 v8, v8
	v_min_u32_e32 v8, 32, v8
	v_subrev_nc_u32_e32 v9, 28, v8
	v_sub_nc_u32_e32 v8, 29, v8
	v_lshlrev_b64 v[32:33], v9, v[30:31]
; %bb.720:                              ;   in Loop: Header=BB395_11 Depth=1
	s_or_b32 exec_lo, exec_lo, s24
	v_lshlrev_b32_e32 v9, 20, v32
	v_lshlrev_b32_e32 v13, 24, v30
	v_lshl_add_u32 v8, v8, 23, 0x3c000000
	v_and_b32_e32 v9, 0x700000, v9
	v_and_b32_e32 v13, 0x80000000, v13
	v_or3_b32 v65, v9, v13, v8
.LBB395_721:                            ;   in Loop: Header=BB395_11 Depth=1
	s_or_b32 exec_lo, exec_lo, s23
.LBB395_722:                            ;   in Loop: Header=BB395_11 Depth=1
	s_or_b32 exec_lo, exec_lo, s22
.LBB395_723:                            ;   in Loop: Header=BB395_11 Depth=1
	s_or_b32 exec_lo, exec_lo, s6
	v_cmp_ne_u16_sdwa s5, v30, v19 src0_sel:BYTE_1 src1_sel:DWORD
	v_mov_b32_e32 v68, 0
	v_mov_b32_e32 v67, 0
	s_and_saveexec_b32 s6, s5
	s_cbranch_execz .LBB395_731
; %bb.724:                              ;   in Loop: Header=BB395_11 Depth=1
	v_mov_b32_e32 v8, 0x80
	v_bfrev_b32_e32 v67, 1
	v_cmp_ne_u16_sdwa s5, v30, v8 src0_sel:BYTE_1 src1_sel:DWORD
	s_and_saveexec_b32 s22, s5
	s_cbranch_execz .LBB395_730
; %bb.725:                              ;   in Loop: Header=BB395_11 Depth=1
	v_mov_b32_e32 v8, 0xffff
	v_mov_b32_e32 v67, 0x7f800001
	s_mov_b32 s23, exec_lo
	v_and_b32_sdwa v8, v8, v30 dst_sel:DWORD dst_unused:UNUSED_PAD src0_sel:DWORD src1_sel:BYTE_1
	v_and_b32_e32 v9, 0x7f, v8
	v_cmpx_ne_u32_e32 0x7f, v9
	s_cbranch_execz .LBB395_729
; %bb.726:                              ;   in Loop: Header=BB395_11 Depth=1
	v_and_b32_e32 v18, 7, v8
	v_mov_b32_e32 v33, v19
	v_lshrrev_b32_e32 v8, 3, v9
	s_mov_b32 s24, exec_lo
	v_mov_b32_e32 v32, v18
	v_cmpx_gt_u32_e32 8, v9
; %bb.727:                              ;   in Loop: Header=BB395_11 Depth=1
	v_ffbh_u32_e32 v8, v18
	v_min_u32_e32 v8, 32, v8
	v_subrev_nc_u32_e32 v9, 28, v8
	v_sub_nc_u32_e32 v8, 29, v8
	v_lshlrev_b64 v[16:17], v9, v[18:19]
	v_and_b32_e32 v32, 7, v16
; %bb.728:                              ;   in Loop: Header=BB395_11 Depth=1
	s_or_b32 exec_lo, exec_lo, s24
	v_lshlrev_b32_e32 v9, 16, v30
	v_lshlrev_b32_e32 v13, 20, v32
	v_lshl_add_u32 v8, v8, 23, 0x3c000000
	v_and_b32_e32 v9, 0x80000000, v9
	v_or3_b32 v67, v13, v9, v8
.LBB395_729:                            ;   in Loop: Header=BB395_11 Depth=1
	s_or_b32 exec_lo, exec_lo, s23
.LBB395_730:                            ;   in Loop: Header=BB395_11 Depth=1
	s_or_b32 exec_lo, exec_lo, s22
.LBB395_731:                            ;   in Loop: Header=BB395_11 Depth=1
	s_or_b32 exec_lo, exec_lo, s6
	v_mov_b32_e32 v8, 0xff
	s_mov_b32 s6, exec_lo
	v_and_b32_sdwa v8, v30, v8 dst_sel:DWORD dst_unused:UNUSED_PAD src0_sel:WORD_1 src1_sel:DWORD
	v_cmpx_ne_u16_e32 0, v8
	s_cbranch_execz .LBB395_739
; %bb.732:                              ;   in Loop: Header=BB395_11 Depth=1
	v_bfrev_b32_e32 v68, 1
	s_mov_b32 s22, exec_lo
	v_cmpx_ne_u16_e32 0x80, v8
	s_cbranch_execz .LBB395_738
; %bb.733:                              ;   in Loop: Header=BB395_11 Depth=1
	v_bfe_u32 v9, v30, 16, 7
	v_mov_b32_e32 v68, 0x7f800001
	s_mov_b32 s23, exec_lo
	v_cmpx_ne_u32_e32 0x7f, v9
	s_cbranch_execz .LBB395_737
; %bb.734:                              ;   in Loop: Header=BB395_11 Depth=1
	v_mov_b32_e32 v8, 7
	s_mov_b32 s24, exec_lo
	v_and_b32_sdwa v18, v30, v8 dst_sel:DWORD dst_unused:UNUSED_PAD src0_sel:WORD_1 src1_sel:DWORD
	v_mov_b32_e32 v33, v19
	v_lshrrev_b32_e32 v8, 3, v9
	v_mov_b32_e32 v32, v18
	v_cmpx_gt_u32_e32 8, v9
; %bb.735:                              ;   in Loop: Header=BB395_11 Depth=1
	v_ffbh_u32_e32 v8, v18
	v_min_u32_e32 v8, 32, v8
	v_subrev_nc_u32_e32 v9, 28, v8
	v_sub_nc_u32_e32 v8, 29, v8
	v_lshlrev_b64 v[16:17], v9, v[18:19]
	v_and_b32_e32 v32, 7, v16
; %bb.736:                              ;   in Loop: Header=BB395_11 Depth=1
	s_or_b32 exec_lo, exec_lo, s24
	v_mov_b32_e32 v9, 24
	v_lshlrev_b32_e32 v13, 20, v32
	v_lshl_add_u32 v8, v8, 23, 0x3c000000
	v_lshlrev_b32_sdwa v9, v9, v30 dst_sel:DWORD dst_unused:UNUSED_PAD src0_sel:DWORD src1_sel:WORD_1
	v_and_b32_e32 v9, 0x80000000, v9
	v_or3_b32 v68, v13, v9, v8
.LBB395_737:                            ;   in Loop: Header=BB395_11 Depth=1
	s_or_b32 exec_lo, exec_lo, s23
.LBB395_738:                            ;   in Loop: Header=BB395_11 Depth=1
	s_or_b32 exec_lo, exec_lo, s22
.LBB395_739:                            ;   in Loop: Header=BB395_11 Depth=1
	s_or_b32 exec_lo, exec_lo, s6
	v_mov_b32_e32 v70, 0
	v_mov_b32_e32 v69, 0
	s_mov_b32 s6, exec_lo
	v_cmpx_lt_u32_e32 0xffffff, v30
	s_cbranch_execz .LBB395_747
; %bb.740:                              ;   in Loop: Header=BB395_11 Depth=1
	v_mov_b32_e32 v8, 0x80
	v_bfrev_b32_e32 v69, 1
	v_cmp_ne_u32_sdwa s5, v30, v8 src0_sel:BYTE_3 src1_sel:DWORD
	s_and_saveexec_b32 s22, s5
	s_cbranch_execz .LBB395_746
; %bb.741:                              ;   in Loop: Header=BB395_11 Depth=1
	v_bfe_u32 v9, v30, 24, 7
	v_mov_b32_e32 v69, 0x7f800001
	s_mov_b32 s23, exec_lo
	v_cmpx_ne_u32_e32 0x7f, v9
	s_cbranch_execz .LBB395_745
; %bb.742:                              ;   in Loop: Header=BB395_11 Depth=1
	v_mov_b32_e32 v8, 7
	s_mov_b32 s24, exec_lo
	v_and_b32_sdwa v18, v30, v8 dst_sel:DWORD dst_unused:UNUSED_PAD src0_sel:BYTE_3 src1_sel:DWORD
	v_mov_b32_e32 v33, v19
	v_lshrrev_b32_e32 v8, 3, v9
	v_mov_b32_e32 v32, v18
	v_cmpx_gt_u32_e32 8, v9
; %bb.743:                              ;   in Loop: Header=BB395_11 Depth=1
	v_ffbh_u32_e32 v8, v18
	v_min_u32_e32 v8, 32, v8
	v_subrev_nc_u32_e32 v9, 28, v8
	v_sub_nc_u32_e32 v8, 29, v8
	v_lshlrev_b64 v[16:17], v9, v[18:19]
	v_and_b32_e32 v32, 7, v16
; %bb.744:                              ;   in Loop: Header=BB395_11 Depth=1
	s_or_b32 exec_lo, exec_lo, s24
	v_mov_b32_e32 v9, 24
	v_lshlrev_b32_e32 v13, 20, v32
	v_lshl_add_u32 v8, v8, 23, 0x3c000000
	v_lshlrev_b32_sdwa v9, v9, v30 dst_sel:DWORD dst_unused:UNUSED_PAD src0_sel:DWORD src1_sel:BYTE_3
	v_and_b32_e32 v9, 0x80000000, v9
	v_or3_b32 v69, v13, v9, v8
.LBB395_745:                            ;   in Loop: Header=BB395_11 Depth=1
	s_or_b32 exec_lo, exec_lo, s23
.LBB395_746:                            ;   in Loop: Header=BB395_11 Depth=1
	s_or_b32 exec_lo, exec_lo, s22
.LBB395_747:                            ;   in Loop: Header=BB395_11 Depth=1
	s_or_b32 exec_lo, exec_lo, s6
	v_mov_b32_e32 v18, v31
	v_cmp_ne_u16_sdwa s5, v31, v19 src0_sel:BYTE_0 src1_sel:DWORD
	s_and_saveexec_b32 s6, s5
	s_cbranch_execz .LBB395_755
; %bb.748:                              ;   in Loop: Header=BB395_11 Depth=1
	v_mov_b32_e32 v8, 0x80
	v_bfrev_b32_e32 v70, 1
	v_cmp_ne_u16_sdwa s5, v31, v8 src0_sel:BYTE_0 src1_sel:DWORD
	s_and_saveexec_b32 s22, s5
	s_cbranch_execz .LBB395_754
; %bb.749:                              ;   in Loop: Header=BB395_11 Depth=1
	v_and_b32_e32 v9, 0x7f, v31
	v_mov_b32_e32 v70, 0x7f800001
	s_mov_b32 s23, exec_lo
	v_cmpx_ne_u32_e32 0x7f, v9
	s_cbranch_execz .LBB395_753
; %bb.750:                              ;   in Loop: Header=BB395_11 Depth=1
	v_mov_b32_e32 v33, v19
	v_lshrrev_b32_e32 v8, 3, v9
	v_mov_b32_e32 v32, v18
	s_mov_b32 s24, exec_lo
	v_cmpx_gt_u32_e32 8, v9
; %bb.751:                              ;   in Loop: Header=BB395_11 Depth=1
	v_and_b32_e32 v8, 7, v31
	v_ffbh_u32_e32 v8, v8
	v_min_u32_e32 v8, 32, v8
	v_subrev_nc_u32_e32 v9, 28, v8
	v_sub_nc_u32_e32 v8, 29, v8
	v_lshlrev_b64 v[32:33], v9, v[18:19]
; %bb.752:                              ;   in Loop: Header=BB395_11 Depth=1
	s_or_b32 exec_lo, exec_lo, s24
	v_lshlrev_b32_e32 v9, 20, v32
	v_lshlrev_b32_e32 v13, 24, v18
	v_lshl_add_u32 v8, v8, 23, 0x3c000000
	v_and_b32_e32 v9, 0x700000, v9
	v_and_b32_e32 v13, 0x80000000, v13
	v_or3_b32 v70, v9, v13, v8
.LBB395_753:                            ;   in Loop: Header=BB395_11 Depth=1
	s_or_b32 exec_lo, exec_lo, s23
.LBB395_754:                            ;   in Loop: Header=BB395_11 Depth=1
	s_or_b32 exec_lo, exec_lo, s22
.LBB395_755:                            ;   in Loop: Header=BB395_11 Depth=1
	s_or_b32 exec_lo, exec_lo, s6
	v_cmp_ne_u16_sdwa s5, v18, v19 src0_sel:BYTE_1 src1_sel:DWORD
	v_mov_b32_e32 v71, 0
	v_mov_b32_e32 v80, 0
	s_and_saveexec_b32 s6, s5
	s_cbranch_execz .LBB395_763
; %bb.756:                              ;   in Loop: Header=BB395_11 Depth=1
	v_mov_b32_e32 v8, 0x80
	v_bfrev_b32_e32 v80, 1
	v_cmp_ne_u16_sdwa s5, v18, v8 src0_sel:BYTE_1 src1_sel:DWORD
	s_and_saveexec_b32 s22, s5
	s_cbranch_execz .LBB395_762
; %bb.757:                              ;   in Loop: Header=BB395_11 Depth=1
	v_mov_b32_e32 v8, 0xffff
	v_mov_b32_e32 v80, 0x7f800001
	s_mov_b32 s23, exec_lo
	v_and_b32_sdwa v8, v8, v18 dst_sel:DWORD dst_unused:UNUSED_PAD src0_sel:DWORD src1_sel:BYTE_1
	v_and_b32_e32 v9, 0x7f, v8
	v_cmpx_ne_u32_e32 0x7f, v9
	s_cbranch_execz .LBB395_761
; %bb.758:                              ;   in Loop: Header=BB395_11 Depth=1
	v_and_b32_e32 v32, 7, v8
	v_mov_b32_e32 v33, v19
	v_lshrrev_b32_e32 v8, 3, v9
	s_mov_b32 s24, exec_lo
	v_cmpx_gt_u32_e32 8, v9
; %bb.759:                              ;   in Loop: Header=BB395_11 Depth=1
	v_ffbh_u32_e32 v8, v32
	v_min_u32_e32 v8, 32, v8
	v_subrev_nc_u32_e32 v9, 28, v8
	v_sub_nc_u32_e32 v8, 29, v8
	v_lshlrev_b64 v[16:17], v9, v[32:33]
	v_and_b32_e32 v32, 7, v16
; %bb.760:                              ;   in Loop: Header=BB395_11 Depth=1
	s_or_b32 exec_lo, exec_lo, s24
	v_lshlrev_b32_e32 v9, 16, v18
	v_lshlrev_b32_e32 v13, 20, v32
	v_lshl_add_u32 v8, v8, 23, 0x3c000000
	v_and_b32_e32 v9, 0x80000000, v9
	v_or3_b32 v80, v13, v9, v8
.LBB395_761:                            ;   in Loop: Header=BB395_11 Depth=1
	s_or_b32 exec_lo, exec_lo, s23
.LBB395_762:                            ;   in Loop: Header=BB395_11 Depth=1
	s_or_b32 exec_lo, exec_lo, s22
.LBB395_763:                            ;   in Loop: Header=BB395_11 Depth=1
	s_or_b32 exec_lo, exec_lo, s6
	v_mov_b32_e32 v8, 0xff
	s_mov_b32 s6, exec_lo
	v_and_b32_sdwa v8, v31, v8 dst_sel:DWORD dst_unused:UNUSED_PAD src0_sel:WORD_1 src1_sel:DWORD
	v_cmpx_ne_u16_e32 0, v8
	s_cbranch_execz .LBB395_771
; %bb.764:                              ;   in Loop: Header=BB395_11 Depth=1
	v_bfrev_b32_e32 v71, 1
	s_mov_b32 s22, exec_lo
	v_cmpx_ne_u16_e32 0x80, v8
	s_cbranch_execz .LBB395_770
; %bb.765:                              ;   in Loop: Header=BB395_11 Depth=1
	v_bfe_u32 v9, v31, 16, 7
	v_mov_b32_e32 v71, 0x7f800001
	s_mov_b32 s23, exec_lo
	v_cmpx_ne_u32_e32 0x7f, v9
	s_cbranch_execz .LBB395_769
; %bb.766:                              ;   in Loop: Header=BB395_11 Depth=1
	v_mov_b32_e32 v8, 7
	s_mov_b32 s24, exec_lo
	v_and_b32_sdwa v18, v31, v8 dst_sel:DWORD dst_unused:UNUSED_PAD src0_sel:WORD_1 src1_sel:DWORD
	v_mov_b32_e32 v33, v19
	v_lshrrev_b32_e32 v8, 3, v9
	v_mov_b32_e32 v32, v18
	v_cmpx_gt_u32_e32 8, v9
; %bb.767:                              ;   in Loop: Header=BB395_11 Depth=1
	v_ffbh_u32_e32 v8, v18
	v_min_u32_e32 v8, 32, v8
	v_subrev_nc_u32_e32 v9, 28, v8
	v_sub_nc_u32_e32 v8, 29, v8
	v_lshlrev_b64 v[16:17], v9, v[18:19]
	v_and_b32_e32 v32, 7, v16
; %bb.768:                              ;   in Loop: Header=BB395_11 Depth=1
	s_or_b32 exec_lo, exec_lo, s24
	v_mov_b32_e32 v9, 24
	v_lshlrev_b32_e32 v13, 20, v32
	v_lshl_add_u32 v8, v8, 23, 0x3c000000
	v_lshlrev_b32_sdwa v9, v9, v31 dst_sel:DWORD dst_unused:UNUSED_PAD src0_sel:DWORD src1_sel:WORD_1
	v_and_b32_e32 v9, 0x80000000, v9
	v_or3_b32 v71, v13, v9, v8
.LBB395_769:                            ;   in Loop: Header=BB395_11 Depth=1
	s_or_b32 exec_lo, exec_lo, s23
.LBB395_770:                            ;   in Loop: Header=BB395_11 Depth=1
	s_or_b32 exec_lo, exec_lo, s22
.LBB395_771:                            ;   in Loop: Header=BB395_11 Depth=1
	s_or_b32 exec_lo, exec_lo, s6
	v_mov_b32_e32 v82, 0
	v_mov_b32_e32 v81, 0
	s_mov_b32 s6, exec_lo
	v_cmpx_lt_u64_e64 s[8:9], v[30:31]
	s_cbranch_execz .LBB395_779
; %bb.772:                              ;   in Loop: Header=BB395_11 Depth=1
	v_mov_b32_e32 v8, 0x80
	v_bfrev_b32_e32 v81, 1
	v_cmp_ne_u32_sdwa s5, v31, v8 src0_sel:BYTE_3 src1_sel:DWORD
	s_and_saveexec_b32 s22, s5
	s_cbranch_execz .LBB395_778
; %bb.773:                              ;   in Loop: Header=BB395_11 Depth=1
	v_bfe_u32 v9, v31, 24, 7
	v_mov_b32_e32 v81, 0x7f800001
	s_mov_b32 s23, exec_lo
	v_cmpx_ne_u32_e32 0x7f, v9
	s_cbranch_execz .LBB395_777
; %bb.774:                              ;   in Loop: Header=BB395_11 Depth=1
	v_mov_b32_e32 v8, 7
	s_mov_b32 s24, exec_lo
	v_and_b32_sdwa v18, v31, v8 dst_sel:DWORD dst_unused:UNUSED_PAD src0_sel:BYTE_3 src1_sel:DWORD
	v_mov_b32_e32 v33, v19
	v_lshrrev_b32_e32 v8, 3, v9
	v_mov_b32_e32 v32, v18
	v_cmpx_gt_u32_e32 8, v9
; %bb.775:                              ;   in Loop: Header=BB395_11 Depth=1
	v_ffbh_u32_e32 v8, v18
	v_min_u32_e32 v8, 32, v8
	v_subrev_nc_u32_e32 v9, 28, v8
	v_sub_nc_u32_e32 v8, 29, v8
	v_lshlrev_b64 v[16:17], v9, v[18:19]
	v_and_b32_e32 v32, 7, v16
; %bb.776:                              ;   in Loop: Header=BB395_11 Depth=1
	s_or_b32 exec_lo, exec_lo, s24
	v_mov_b32_e32 v9, 24
	v_lshlrev_b32_e32 v13, 20, v32
	v_lshl_add_u32 v8, v8, 23, 0x3c000000
	v_lshlrev_b32_sdwa v9, v9, v31 dst_sel:DWORD dst_unused:UNUSED_PAD src0_sel:DWORD src1_sel:BYTE_3
	v_and_b32_e32 v9, 0x80000000, v9
	v_or3_b32 v81, v13, v9, v8
.LBB395_777:                            ;   in Loop: Header=BB395_11 Depth=1
	s_or_b32 exec_lo, exec_lo, s23
.LBB395_778:                            ;   in Loop: Header=BB395_11 Depth=1
	s_or_b32 exec_lo, exec_lo, s22
.LBB395_779:                            ;   in Loop: Header=BB395_11 Depth=1
	s_or_b32 exec_lo, exec_lo, s6
	flat_load_dwordx2 v[30:31], v[28:29] offset:1024
	s_waitcnt vmcnt(0) lgkmcnt(0)
	v_cmp_ne_u16_sdwa s5, v30, v19 src0_sel:BYTE_0 src1_sel:DWORD
	s_and_saveexec_b32 s6, s5
	s_cbranch_execz .LBB395_787
; %bb.780:                              ;   in Loop: Header=BB395_11 Depth=1
	v_mov_b32_e32 v8, 0x80
	v_bfrev_b32_e32 v82, 1
	v_cmp_ne_u16_sdwa s5, v30, v8 src0_sel:BYTE_0 src1_sel:DWORD
	s_and_saveexec_b32 s22, s5
	s_cbranch_execz .LBB395_786
; %bb.781:                              ;   in Loop: Header=BB395_11 Depth=1
	v_and_b32_e32 v9, 0x7f, v30
	v_mov_b32_e32 v82, 0x7f800001
	s_mov_b32 s23, exec_lo
	v_cmpx_ne_u32_e32 0x7f, v9
	s_cbranch_execz .LBB395_785
; %bb.782:                              ;   in Loop: Header=BB395_11 Depth=1
	v_mov_b32_e32 v33, v31
	v_lshrrev_b32_e32 v8, 3, v9
	v_mov_b32_e32 v32, v30
	s_mov_b32 s24, exec_lo
	v_cmpx_gt_u32_e32 8, v9
; %bb.783:                              ;   in Loop: Header=BB395_11 Depth=1
	v_and_b32_e32 v8, 7, v30
	v_ffbh_u32_e32 v8, v8
	v_min_u32_e32 v8, 32, v8
	v_subrev_nc_u32_e32 v9, 28, v8
	v_sub_nc_u32_e32 v8, 29, v8
	v_lshlrev_b64 v[32:33], v9, v[30:31]
; %bb.784:                              ;   in Loop: Header=BB395_11 Depth=1
	s_or_b32 exec_lo, exec_lo, s24
	v_lshlrev_b32_e32 v9, 20, v32
	v_lshlrev_b32_e32 v13, 24, v30
	v_lshl_add_u32 v8, v8, 23, 0x3c000000
	v_and_b32_e32 v9, 0x700000, v9
	v_and_b32_e32 v13, 0x80000000, v13
	v_or3_b32 v82, v9, v13, v8
.LBB395_785:                            ;   in Loop: Header=BB395_11 Depth=1
	s_or_b32 exec_lo, exec_lo, s23
.LBB395_786:                            ;   in Loop: Header=BB395_11 Depth=1
	s_or_b32 exec_lo, exec_lo, s22
.LBB395_787:                            ;   in Loop: Header=BB395_11 Depth=1
	s_or_b32 exec_lo, exec_lo, s6
	v_cmp_ne_u16_sdwa s5, v30, v19 src0_sel:BYTE_1 src1_sel:DWORD
	v_mov_b32_e32 v84, 0
	v_mov_b32_e32 v83, 0
	s_and_saveexec_b32 s6, s5
	s_cbranch_execz .LBB395_795
; %bb.788:                              ;   in Loop: Header=BB395_11 Depth=1
	v_mov_b32_e32 v8, 0x80
	v_bfrev_b32_e32 v83, 1
	v_cmp_ne_u16_sdwa s5, v30, v8 src0_sel:BYTE_1 src1_sel:DWORD
	s_and_saveexec_b32 s22, s5
	s_cbranch_execz .LBB395_794
; %bb.789:                              ;   in Loop: Header=BB395_11 Depth=1
	v_mov_b32_e32 v8, 0xffff
	v_mov_b32_e32 v83, 0x7f800001
	s_mov_b32 s23, exec_lo
	v_and_b32_sdwa v8, v8, v30 dst_sel:DWORD dst_unused:UNUSED_PAD src0_sel:DWORD src1_sel:BYTE_1
	v_and_b32_e32 v9, 0x7f, v8
	v_cmpx_ne_u32_e32 0x7f, v9
	s_cbranch_execz .LBB395_793
; %bb.790:                              ;   in Loop: Header=BB395_11 Depth=1
	v_and_b32_e32 v18, 7, v8
	v_mov_b32_e32 v33, v19
	v_lshrrev_b32_e32 v8, 3, v9
	s_mov_b32 s24, exec_lo
	v_mov_b32_e32 v32, v18
	v_cmpx_gt_u32_e32 8, v9
; %bb.791:                              ;   in Loop: Header=BB395_11 Depth=1
	v_ffbh_u32_e32 v8, v18
	v_min_u32_e32 v8, 32, v8
	v_subrev_nc_u32_e32 v9, 28, v8
	v_sub_nc_u32_e32 v8, 29, v8
	v_lshlrev_b64 v[16:17], v9, v[18:19]
	v_and_b32_e32 v32, 7, v16
; %bb.792:                              ;   in Loop: Header=BB395_11 Depth=1
	s_or_b32 exec_lo, exec_lo, s24
	v_lshlrev_b32_e32 v9, 16, v30
	v_lshlrev_b32_e32 v13, 20, v32
	v_lshl_add_u32 v8, v8, 23, 0x3c000000
	v_and_b32_e32 v9, 0x80000000, v9
	v_or3_b32 v83, v13, v9, v8
.LBB395_793:                            ;   in Loop: Header=BB395_11 Depth=1
	s_or_b32 exec_lo, exec_lo, s23
.LBB395_794:                            ;   in Loop: Header=BB395_11 Depth=1
	s_or_b32 exec_lo, exec_lo, s22
.LBB395_795:                            ;   in Loop: Header=BB395_11 Depth=1
	s_or_b32 exec_lo, exec_lo, s6
	v_mov_b32_e32 v8, 0xff
	s_mov_b32 s6, exec_lo
	v_and_b32_sdwa v8, v30, v8 dst_sel:DWORD dst_unused:UNUSED_PAD src0_sel:WORD_1 src1_sel:DWORD
	v_cmpx_ne_u16_e32 0, v8
	s_cbranch_execz .LBB395_803
; %bb.796:                              ;   in Loop: Header=BB395_11 Depth=1
	v_bfrev_b32_e32 v84, 1
	s_mov_b32 s22, exec_lo
	v_cmpx_ne_u16_e32 0x80, v8
	s_cbranch_execz .LBB395_802
; %bb.797:                              ;   in Loop: Header=BB395_11 Depth=1
	v_bfe_u32 v9, v30, 16, 7
	v_mov_b32_e32 v84, 0x7f800001
	s_mov_b32 s23, exec_lo
	v_cmpx_ne_u32_e32 0x7f, v9
	s_cbranch_execz .LBB395_801
; %bb.798:                              ;   in Loop: Header=BB395_11 Depth=1
	v_mov_b32_e32 v8, 7
	s_mov_b32 s24, exec_lo
	v_and_b32_sdwa v18, v30, v8 dst_sel:DWORD dst_unused:UNUSED_PAD src0_sel:WORD_1 src1_sel:DWORD
	v_mov_b32_e32 v33, v19
	v_lshrrev_b32_e32 v8, 3, v9
	v_mov_b32_e32 v32, v18
	v_cmpx_gt_u32_e32 8, v9
; %bb.799:                              ;   in Loop: Header=BB395_11 Depth=1
	v_ffbh_u32_e32 v8, v18
	v_min_u32_e32 v8, 32, v8
	v_subrev_nc_u32_e32 v9, 28, v8
	v_sub_nc_u32_e32 v8, 29, v8
	v_lshlrev_b64 v[16:17], v9, v[18:19]
	v_and_b32_e32 v32, 7, v16
; %bb.800:                              ;   in Loop: Header=BB395_11 Depth=1
	s_or_b32 exec_lo, exec_lo, s24
	v_mov_b32_e32 v9, 24
	v_lshlrev_b32_e32 v13, 20, v32
	v_lshl_add_u32 v8, v8, 23, 0x3c000000
	v_lshlrev_b32_sdwa v9, v9, v30 dst_sel:DWORD dst_unused:UNUSED_PAD src0_sel:DWORD src1_sel:WORD_1
	v_and_b32_e32 v9, 0x80000000, v9
	v_or3_b32 v84, v13, v9, v8
.LBB395_801:                            ;   in Loop: Header=BB395_11 Depth=1
	s_or_b32 exec_lo, exec_lo, s23
.LBB395_802:                            ;   in Loop: Header=BB395_11 Depth=1
	s_or_b32 exec_lo, exec_lo, s22
.LBB395_803:                            ;   in Loop: Header=BB395_11 Depth=1
	s_or_b32 exec_lo, exec_lo, s6
	v_mov_b32_e32 v8, 0
	v_mov_b32_e32 v48, 0
	s_mov_b32 s6, exec_lo
	v_cmpx_lt_u32_e32 0xffffff, v30
	s_cbranch_execz .LBB395_811
; %bb.804:                              ;   in Loop: Header=BB395_11 Depth=1
	v_mov_b32_e32 v9, 0x80
	v_bfrev_b32_e32 v48, 1
	v_cmp_ne_u32_sdwa s5, v30, v9 src0_sel:BYTE_3 src1_sel:DWORD
	s_and_saveexec_b32 s22, s5
	s_cbranch_execz .LBB395_810
; %bb.805:                              ;   in Loop: Header=BB395_11 Depth=1
	v_bfe_u32 v13, v30, 24, 7
	v_mov_b32_e32 v48, 0x7f800001
	s_mov_b32 s23, exec_lo
	v_cmpx_ne_u32_e32 0x7f, v13
	s_cbranch_execz .LBB395_809
; %bb.806:                              ;   in Loop: Header=BB395_11 Depth=1
	v_mov_b32_e32 v9, 7
	s_mov_b32 s24, exec_lo
	v_and_b32_sdwa v18, v30, v9 dst_sel:DWORD dst_unused:UNUSED_PAD src0_sel:BYTE_3 src1_sel:DWORD
	v_mov_b32_e32 v33, v19
	v_lshrrev_b32_e32 v9, 3, v13
	v_mov_b32_e32 v32, v18
	v_cmpx_gt_u32_e32 8, v13
; %bb.807:                              ;   in Loop: Header=BB395_11 Depth=1
	v_ffbh_u32_e32 v9, v18
	v_min_u32_e32 v9, 32, v9
	v_subrev_nc_u32_e32 v13, 28, v9
	v_sub_nc_u32_e32 v9, 29, v9
	v_lshlrev_b64 v[16:17], v13, v[18:19]
	v_and_b32_e32 v32, 7, v16
; %bb.808:                              ;   in Loop: Header=BB395_11 Depth=1
	s_or_b32 exec_lo, exec_lo, s24
	v_mov_b32_e32 v13, 24
	v_lshlrev_b32_e32 v16, 20, v32
	v_lshl_add_u32 v9, v9, 23, 0x3c000000
	v_lshlrev_b32_sdwa v13, v13, v30 dst_sel:DWORD dst_unused:UNUSED_PAD src0_sel:DWORD src1_sel:BYTE_3
	v_and_b32_e32 v13, 0x80000000, v13
	v_or3_b32 v48, v16, v13, v9
.LBB395_809:                            ;   in Loop: Header=BB395_11 Depth=1
	s_or_b32 exec_lo, exec_lo, s23
.LBB395_810:                            ;   in Loop: Header=BB395_11 Depth=1
	s_or_b32 exec_lo, exec_lo, s22
.LBB395_811:                            ;   in Loop: Header=BB395_11 Depth=1
	s_or_b32 exec_lo, exec_lo, s6
	v_mov_b32_e32 v18, v31
	v_cmp_ne_u16_sdwa s5, v31, v19 src0_sel:BYTE_0 src1_sel:DWORD
	s_and_saveexec_b32 s6, s5
	s_cbranch_execz .LBB395_819
; %bb.812:                              ;   in Loop: Header=BB395_11 Depth=1
	v_mov_b32_e32 v8, 0x80
	v_cmp_ne_u16_sdwa s5, v31, v8 src0_sel:BYTE_0 src1_sel:DWORD
	v_bfrev_b32_e32 v8, 1
	s_and_saveexec_b32 s22, s5
	s_cbranch_execz .LBB395_818
; %bb.813:                              ;   in Loop: Header=BB395_11 Depth=1
	v_and_b32_e32 v9, 0x7f, v31
	v_mov_b32_e32 v8, 0x7f800001
	s_mov_b32 s23, exec_lo
	v_cmpx_ne_u32_e32 0x7f, v9
	s_cbranch_execz .LBB395_817
; %bb.814:                              ;   in Loop: Header=BB395_11 Depth=1
	v_mov_b32_e32 v33, v19
	v_lshrrev_b32_e32 v8, 3, v9
	v_mov_b32_e32 v32, v18
	s_mov_b32 s24, exec_lo
	v_cmpx_gt_u32_e32 8, v9
; %bb.815:                              ;   in Loop: Header=BB395_11 Depth=1
	v_and_b32_e32 v8, 7, v31
	v_ffbh_u32_e32 v8, v8
	v_min_u32_e32 v8, 32, v8
	v_subrev_nc_u32_e32 v9, 28, v8
	v_sub_nc_u32_e32 v8, 29, v8
	v_lshlrev_b64 v[32:33], v9, v[18:19]
; %bb.816:                              ;   in Loop: Header=BB395_11 Depth=1
	s_or_b32 exec_lo, exec_lo, s24
	v_lshlrev_b32_e32 v9, 20, v32
	v_lshlrev_b32_e32 v13, 24, v18
	v_lshl_add_u32 v8, v8, 23, 0x3c000000
	v_and_b32_e32 v9, 0x700000, v9
	v_and_b32_e32 v13, 0x80000000, v13
	v_or3_b32 v8, v9, v13, v8
.LBB395_817:                            ;   in Loop: Header=BB395_11 Depth=1
	s_or_b32 exec_lo, exec_lo, s23
.LBB395_818:                            ;   in Loop: Header=BB395_11 Depth=1
	s_or_b32 exec_lo, exec_lo, s22
.LBB395_819:                            ;   in Loop: Header=BB395_11 Depth=1
	s_or_b32 exec_lo, exec_lo, s6
	v_cmp_ne_u16_sdwa s5, v18, v19 src0_sel:BYTE_1 src1_sel:DWORD
	v_mov_b32_e32 v9, 0
	v_mov_b32_e32 v21, 0
	s_and_saveexec_b32 s6, s5
	s_cbranch_execz .LBB395_827
; %bb.820:                              ;   in Loop: Header=BB395_11 Depth=1
	v_mov_b32_e32 v13, 0x80
	v_bfrev_b32_e32 v21, 1
	v_cmp_ne_u16_sdwa s5, v18, v13 src0_sel:BYTE_1 src1_sel:DWORD
	s_and_saveexec_b32 s22, s5
	s_cbranch_execz .LBB395_826
; %bb.821:                              ;   in Loop: Header=BB395_11 Depth=1
	v_mov_b32_e32 v13, 0xffff
	v_mov_b32_e32 v21, 0x7f800001
	s_mov_b32 s23, exec_lo
	v_and_b32_sdwa v13, v13, v18 dst_sel:DWORD dst_unused:UNUSED_PAD src0_sel:DWORD src1_sel:BYTE_1
	v_and_b32_e32 v16, 0x7f, v13
	v_cmpx_ne_u32_e32 0x7f, v16
	s_cbranch_execz .LBB395_825
; %bb.822:                              ;   in Loop: Header=BB395_11 Depth=1
	v_and_b32_e32 v32, 7, v13
	v_mov_b32_e32 v33, v19
	v_lshrrev_b32_e32 v13, 3, v16
	s_mov_b32 s24, exec_lo
	v_cmpx_gt_u32_e32 8, v16
; %bb.823:                              ;   in Loop: Header=BB395_11 Depth=1
	v_ffbh_u32_e32 v13, v32
	v_min_u32_e32 v13, 32, v13
	v_subrev_nc_u32_e32 v16, 28, v13
	v_sub_nc_u32_e32 v13, 29, v13
	v_lshlrev_b64 v[16:17], v16, v[32:33]
	v_and_b32_e32 v32, 7, v16
; %bb.824:                              ;   in Loop: Header=BB395_11 Depth=1
	s_or_b32 exec_lo, exec_lo, s24
	v_lshlrev_b32_e32 v16, 16, v18
	v_lshlrev_b32_e32 v17, 20, v32
	v_lshl_add_u32 v13, v13, 23, 0x3c000000
	v_and_b32_e32 v16, 0x80000000, v16
	v_or3_b32 v21, v17, v16, v13
.LBB395_825:                            ;   in Loop: Header=BB395_11 Depth=1
	s_or_b32 exec_lo, exec_lo, s23
.LBB395_826:                            ;   in Loop: Header=BB395_11 Depth=1
	s_or_b32 exec_lo, exec_lo, s22
.LBB395_827:                            ;   in Loop: Header=BB395_11 Depth=1
	s_or_b32 exec_lo, exec_lo, s6
	v_mov_b32_e32 v13, 0xff
	s_mov_b32 s6, exec_lo
	v_and_b32_sdwa v13, v31, v13 dst_sel:DWORD dst_unused:UNUSED_PAD src0_sel:WORD_1 src1_sel:DWORD
	v_cmpx_ne_u16_e32 0, v13
	s_cbranch_execz .LBB395_835
; %bb.828:                              ;   in Loop: Header=BB395_11 Depth=1
	v_bfrev_b32_e32 v9, 1
	s_mov_b32 s22, exec_lo
	v_cmpx_ne_u16_e32 0x80, v13
	s_cbranch_execz .LBB395_834
; %bb.829:                              ;   in Loop: Header=BB395_11 Depth=1
	v_bfe_u32 v13, v31, 16, 7
	v_mov_b32_e32 v9, 0x7f800001
	s_mov_b32 s23, exec_lo
	v_cmpx_ne_u32_e32 0x7f, v13
	s_cbranch_execz .LBB395_833
; %bb.830:                              ;   in Loop: Header=BB395_11 Depth=1
	v_mov_b32_e32 v9, 7
	s_mov_b32 s24, exec_lo
	v_and_b32_sdwa v18, v31, v9 dst_sel:DWORD dst_unused:UNUSED_PAD src0_sel:WORD_1 src1_sel:DWORD
	v_mov_b32_e32 v33, v19
	v_lshrrev_b32_e32 v9, 3, v13
	v_mov_b32_e32 v32, v18
	v_cmpx_gt_u32_e32 8, v13
; %bb.831:                              ;   in Loop: Header=BB395_11 Depth=1
	v_ffbh_u32_e32 v9, v18
	v_min_u32_e32 v9, 32, v9
	v_subrev_nc_u32_e32 v13, 28, v9
	v_sub_nc_u32_e32 v9, 29, v9
	v_lshlrev_b64 v[16:17], v13, v[18:19]
	v_and_b32_e32 v32, 7, v16
; %bb.832:                              ;   in Loop: Header=BB395_11 Depth=1
	s_or_b32 exec_lo, exec_lo, s24
	v_mov_b32_e32 v13, 24
	v_lshlrev_b32_e32 v16, 20, v32
	v_lshl_add_u32 v9, v9, 23, 0x3c000000
	v_lshlrev_b32_sdwa v13, v13, v31 dst_sel:DWORD dst_unused:UNUSED_PAD src0_sel:DWORD src1_sel:WORD_1
	v_and_b32_e32 v13, 0x80000000, v13
	v_or3_b32 v9, v16, v13, v9
.LBB395_833:                            ;   in Loop: Header=BB395_11 Depth=1
	s_or_b32 exec_lo, exec_lo, s23
.LBB395_834:                            ;   in Loop: Header=BB395_11 Depth=1
	s_or_b32 exec_lo, exec_lo, s22
.LBB395_835:                            ;   in Loop: Header=BB395_11 Depth=1
	s_or_b32 exec_lo, exec_lo, s6
	v_mov_b32_e32 v25, 0
	v_mov_b32_e32 v13, 0
	s_mov_b32 s6, exec_lo
	v_cmpx_lt_u64_e64 s[8:9], v[30:31]
	s_cbranch_execz .LBB395_843
; %bb.836:                              ;   in Loop: Header=BB395_11 Depth=1
	v_mov_b32_e32 v13, 0x80
	v_cmp_ne_u32_sdwa s5, v31, v13 src0_sel:BYTE_3 src1_sel:DWORD
	v_bfrev_b32_e32 v13, 1
	s_and_saveexec_b32 s22, s5
	s_cbranch_execz .LBB395_842
; %bb.837:                              ;   in Loop: Header=BB395_11 Depth=1
	v_bfe_u32 v16, v31, 24, 7
	v_mov_b32_e32 v13, 0x7f800001
	s_mov_b32 s23, exec_lo
	v_cmpx_ne_u32_e32 0x7f, v16
	s_cbranch_execz .LBB395_841
; %bb.838:                              ;   in Loop: Header=BB395_11 Depth=1
	v_mov_b32_e32 v13, 7
	s_mov_b32 s24, exec_lo
	v_and_b32_sdwa v18, v31, v13 dst_sel:DWORD dst_unused:UNUSED_PAD src0_sel:BYTE_3 src1_sel:DWORD
	v_mov_b32_e32 v33, v19
	v_lshrrev_b32_e32 v13, 3, v16
	v_mov_b32_e32 v32, v18
	v_cmpx_gt_u32_e32 8, v16
; %bb.839:                              ;   in Loop: Header=BB395_11 Depth=1
	v_ffbh_u32_e32 v13, v18
	v_min_u32_e32 v13, 32, v13
	v_subrev_nc_u32_e32 v16, 28, v13
	v_sub_nc_u32_e32 v13, 29, v13
	v_lshlrev_b64 v[16:17], v16, v[18:19]
	v_and_b32_e32 v32, 7, v16
; %bb.840:                              ;   in Loop: Header=BB395_11 Depth=1
	s_or_b32 exec_lo, exec_lo, s24
	v_mov_b32_e32 v16, 24
	v_lshlrev_b32_e32 v17, 20, v32
	v_lshl_add_u32 v13, v13, 23, 0x3c000000
	v_lshlrev_b32_sdwa v16, v16, v31 dst_sel:DWORD dst_unused:UNUSED_PAD src0_sel:DWORD src1_sel:BYTE_3
	v_and_b32_e32 v16, 0x80000000, v16
	v_or3_b32 v13, v17, v16, v13
.LBB395_841:                            ;   in Loop: Header=BB395_11 Depth=1
	s_or_b32 exec_lo, exec_lo, s23
.LBB395_842:                            ;   in Loop: Header=BB395_11 Depth=1
	s_or_b32 exec_lo, exec_lo, s22
.LBB395_843:                            ;   in Loop: Header=BB395_11 Depth=1
	s_or_b32 exec_lo, exec_lo, s6
	flat_load_dwordx2 v[30:31], v[28:29] offset:1032
	s_waitcnt vmcnt(0) lgkmcnt(0)
	v_cmp_ne_u16_sdwa s5, v30, v19 src0_sel:BYTE_0 src1_sel:DWORD
	s_and_saveexec_b32 s6, s5
	s_cbranch_execz .LBB395_851
; %bb.844:                              ;   in Loop: Header=BB395_11 Depth=1
	v_mov_b32_e32 v16, 0x80
	v_bfrev_b32_e32 v25, 1
	v_cmp_ne_u16_sdwa s5, v30, v16 src0_sel:BYTE_0 src1_sel:DWORD
	s_and_saveexec_b32 s22, s5
	s_cbranch_execz .LBB395_850
; %bb.845:                              ;   in Loop: Header=BB395_11 Depth=1
	v_and_b32_e32 v17, 0x7f, v30
	v_mov_b32_e32 v25, 0x7f800001
	s_mov_b32 s23, exec_lo
	v_cmpx_ne_u32_e32 0x7f, v17
	s_cbranch_execz .LBB395_849
; %bb.846:                              ;   in Loop: Header=BB395_11 Depth=1
	v_mov_b32_e32 v33, v31
	v_lshrrev_b32_e32 v16, 3, v17
	v_mov_b32_e32 v32, v30
	s_mov_b32 s24, exec_lo
	v_cmpx_gt_u32_e32 8, v17
; %bb.847:                              ;   in Loop: Header=BB395_11 Depth=1
	v_and_b32_e32 v16, 7, v30
	v_ffbh_u32_e32 v16, v16
	v_min_u32_e32 v16, 32, v16
	v_subrev_nc_u32_e32 v17, 28, v16
	v_sub_nc_u32_e32 v16, 29, v16
	v_lshlrev_b64 v[32:33], v17, v[30:31]
; %bb.848:                              ;   in Loop: Header=BB395_11 Depth=1
	s_or_b32 exec_lo, exec_lo, s24
	v_lshlrev_b32_e32 v17, 20, v32
	v_lshlrev_b32_e32 v18, 24, v30
	v_lshl_add_u32 v16, v16, 23, 0x3c000000
	v_and_b32_e32 v17, 0x700000, v17
	v_and_b32_e32 v18, 0x80000000, v18
	v_or3_b32 v25, v17, v18, v16
.LBB395_849:                            ;   in Loop: Header=BB395_11 Depth=1
	s_or_b32 exec_lo, exec_lo, s23
.LBB395_850:                            ;   in Loop: Header=BB395_11 Depth=1
	s_or_b32 exec_lo, exec_lo, s22
.LBB395_851:                            ;   in Loop: Header=BB395_11 Depth=1
	s_or_b32 exec_lo, exec_lo, s6
	v_cmp_ne_u16_sdwa s5, v30, v19 src0_sel:BYTE_1 src1_sel:DWORD
	v_mov_b32_e32 v20, 0
	v_mov_b32_e32 v24, 0
	s_and_saveexec_b32 s6, s5
	s_cbranch_execz .LBB395_859
; %bb.852:                              ;   in Loop: Header=BB395_11 Depth=1
	v_mov_b32_e32 v16, 0x80
	v_bfrev_b32_e32 v24, 1
	v_cmp_ne_u16_sdwa s5, v30, v16 src0_sel:BYTE_1 src1_sel:DWORD
	s_and_saveexec_b32 s22, s5
	s_cbranch_execz .LBB395_858
; %bb.853:                              ;   in Loop: Header=BB395_11 Depth=1
	v_mov_b32_e32 v16, 0xffff
	v_mov_b32_e32 v24, 0x7f800001
	s_mov_b32 s23, exec_lo
	v_and_b32_sdwa v16, v16, v30 dst_sel:DWORD dst_unused:UNUSED_PAD src0_sel:DWORD src1_sel:BYTE_1
	v_and_b32_e32 v17, 0x7f, v16
	v_cmpx_ne_u32_e32 0x7f, v17
	s_cbranch_execz .LBB395_857
; %bb.854:                              ;   in Loop: Header=BB395_11 Depth=1
	v_and_b32_e32 v18, 7, v16
	v_mov_b32_e32 v33, v19
	v_lshrrev_b32_e32 v16, 3, v17
	s_mov_b32 s24, exec_lo
	v_mov_b32_e32 v32, v18
	v_cmpx_gt_u32_e32 8, v17
; %bb.855:                              ;   in Loop: Header=BB395_11 Depth=1
	v_ffbh_u32_e32 v16, v18
	v_min_u32_e32 v16, 32, v16
	v_subrev_nc_u32_e32 v17, 28, v16
	v_sub_nc_u32_e32 v16, 29, v16
	v_lshlrev_b64 v[17:18], v17, v[18:19]
	v_and_b32_e32 v32, 7, v17
; %bb.856:                              ;   in Loop: Header=BB395_11 Depth=1
	s_or_b32 exec_lo, exec_lo, s24
	v_lshlrev_b32_e32 v17, 16, v30
	v_lshlrev_b32_e32 v18, 20, v32
	v_lshl_add_u32 v16, v16, 23, 0x3c000000
	v_and_b32_e32 v17, 0x80000000, v17
	v_or3_b32 v24, v18, v17, v16
.LBB395_857:                            ;   in Loop: Header=BB395_11 Depth=1
	s_or_b32 exec_lo, exec_lo, s23
.LBB395_858:                            ;   in Loop: Header=BB395_11 Depth=1
	s_or_b32 exec_lo, exec_lo, s22
.LBB395_859:                            ;   in Loop: Header=BB395_11 Depth=1
	s_or_b32 exec_lo, exec_lo, s6
	v_mov_b32_e32 v16, 0xff
	s_mov_b32 s6, exec_lo
	v_and_b32_sdwa v16, v30, v16 dst_sel:DWORD dst_unused:UNUSED_PAD src0_sel:WORD_1 src1_sel:DWORD
	v_cmpx_ne_u16_e32 0, v16
	s_cbranch_execz .LBB395_867
; %bb.860:                              ;   in Loop: Header=BB395_11 Depth=1
	v_bfrev_b32_e32 v20, 1
	s_mov_b32 s22, exec_lo
	v_cmpx_ne_u16_e32 0x80, v16
	s_cbranch_execz .LBB395_866
; %bb.861:                              ;   in Loop: Header=BB395_11 Depth=1
	v_bfe_u32 v17, v30, 16, 7
	v_mov_b32_e32 v20, 0x7f800001
	s_mov_b32 s23, exec_lo
	v_cmpx_ne_u32_e32 0x7f, v17
	s_cbranch_execz .LBB395_865
; %bb.862:                              ;   in Loop: Header=BB395_11 Depth=1
	v_mov_b32_e32 v16, 7
	s_mov_b32 s24, exec_lo
	v_and_b32_sdwa v18, v30, v16 dst_sel:DWORD dst_unused:UNUSED_PAD src0_sel:WORD_1 src1_sel:DWORD
	v_mov_b32_e32 v33, v19
	v_lshrrev_b32_e32 v16, 3, v17
	v_mov_b32_e32 v32, v18
	v_cmpx_gt_u32_e32 8, v17
; %bb.863:                              ;   in Loop: Header=BB395_11 Depth=1
	v_ffbh_u32_e32 v16, v18
	v_min_u32_e32 v16, 32, v16
	v_subrev_nc_u32_e32 v17, 28, v16
	v_sub_nc_u32_e32 v16, 29, v16
	v_lshlrev_b64 v[17:18], v17, v[18:19]
	v_and_b32_e32 v32, 7, v17
; %bb.864:                              ;   in Loop: Header=BB395_11 Depth=1
	s_or_b32 exec_lo, exec_lo, s24
	v_mov_b32_e32 v17, 24
	v_lshlrev_b32_e32 v18, 20, v32
	v_lshl_add_u32 v16, v16, 23, 0x3c000000
	v_lshlrev_b32_sdwa v17, v17, v30 dst_sel:DWORD dst_unused:UNUSED_PAD src0_sel:DWORD src1_sel:WORD_1
	v_and_b32_e32 v17, 0x80000000, v17
	v_or3_b32 v20, v18, v17, v16
.LBB395_865:                            ;   in Loop: Header=BB395_11 Depth=1
	s_or_b32 exec_lo, exec_lo, s23
.LBB395_866:                            ;   in Loop: Header=BB395_11 Depth=1
	s_or_b32 exec_lo, exec_lo, s22
.LBB395_867:                            ;   in Loop: Header=BB395_11 Depth=1
	s_or_b32 exec_lo, exec_lo, s6
	v_mov_b32_e32 v17, 0
	v_mov_b32_e32 v16, 0
	s_mov_b32 s6, exec_lo
	v_cmpx_lt_u32_e32 0xffffff, v30
	s_cbranch_execz .LBB395_875
; %bb.868:                              ;   in Loop: Header=BB395_11 Depth=1
	v_mov_b32_e32 v16, 0x80
	v_cmp_ne_u32_sdwa s5, v30, v16 src0_sel:BYTE_3 src1_sel:DWORD
	v_bfrev_b32_e32 v16, 1
	s_and_saveexec_b32 s22, s5
	s_cbranch_execz .LBB395_874
; %bb.869:                              ;   in Loop: Header=BB395_11 Depth=1
	v_bfe_u32 v32, v30, 24, 7
	v_mov_b32_e32 v16, 0x7f800001
	s_mov_b32 s23, exec_lo
	v_cmpx_ne_u32_e32 0x7f, v32
	s_cbranch_execz .LBB395_873
; %bb.870:                              ;   in Loop: Header=BB395_11 Depth=1
	v_mov_b32_e32 v16, 7
	v_cmp_gt_u32_e64 s5, 8, v32
	v_and_b32_sdwa v18, v30, v16 dst_sel:DWORD dst_unused:UNUSED_PAD src0_sel:BYTE_3 src1_sel:DWORD
	v_lshrrev_b32_e32 v16, 3, v32
	v_mov_b32_e32 v33, v19
	v_mov_b32_e32 v32, v18
	s_and_saveexec_b32 s24, s5
; %bb.871:                              ;   in Loop: Header=BB395_11 Depth=1
	v_ffbh_u32_e32 v16, v18
	v_min_u32_e32 v16, 32, v16
	v_subrev_nc_u32_e32 v32, 28, v16
	v_sub_nc_u32_e32 v16, 29, v16
	v_lshlrev_b64 v[32:33], v32, v[18:19]
	v_and_b32_e32 v32, 7, v32
; %bb.872:                              ;   in Loop: Header=BB395_11 Depth=1
	s_or_b32 exec_lo, exec_lo, s24
	v_mov_b32_e32 v18, 24
	v_lshlrev_b32_e32 v32, 20, v32
	v_lshl_add_u32 v16, v16, 23, 0x3c000000
	v_lshlrev_b32_sdwa v18, v18, v30 dst_sel:DWORD dst_unused:UNUSED_PAD src0_sel:DWORD src1_sel:BYTE_3
	v_and_b32_e32 v18, 0x80000000, v18
	v_or3_b32 v16, v32, v18, v16
.LBB395_873:                            ;   in Loop: Header=BB395_11 Depth=1
	s_or_b32 exec_lo, exec_lo, s23
.LBB395_874:                            ;   in Loop: Header=BB395_11 Depth=1
	s_or_b32 exec_lo, exec_lo, s22
.LBB395_875:                            ;   in Loop: Header=BB395_11 Depth=1
	s_or_b32 exec_lo, exec_lo, s6
	v_mov_b32_e32 v18, v31
	v_cmp_ne_u16_sdwa s5, v31, v19 src0_sel:BYTE_0 src1_sel:DWORD
	s_and_saveexec_b32 s6, s5
	s_cbranch_execz .LBB395_883
; %bb.876:                              ;   in Loop: Header=BB395_11 Depth=1
	v_mov_b32_e32 v17, 0x80
	v_cmp_ne_u16_sdwa s5, v31, v17 src0_sel:BYTE_0 src1_sel:DWORD
	v_bfrev_b32_e32 v17, 1
	s_and_saveexec_b32 s22, s5
	s_cbranch_execz .LBB395_882
; %bb.877:                              ;   in Loop: Header=BB395_11 Depth=1
	v_and_b32_e32 v32, 0x7f, v31
	v_mov_b32_e32 v17, 0x7f800001
	s_mov_b32 s23, exec_lo
	v_cmpx_ne_u32_e32 0x7f, v32
	s_cbranch_execz .LBB395_881
; %bb.878:                              ;   in Loop: Header=BB395_11 Depth=1
	v_lshrrev_b32_e32 v17, 3, v32
	v_cmp_gt_u32_e64 s5, 8, v32
	v_mov_b32_e32 v33, v19
	v_mov_b32_e32 v32, v18
	s_and_saveexec_b32 s24, s5
; %bb.879:                              ;   in Loop: Header=BB395_11 Depth=1
	v_and_b32_e32 v17, 7, v31
	v_ffbh_u32_e32 v17, v17
	v_min_u32_e32 v17, 32, v17
	v_subrev_nc_u32_e32 v32, 28, v17
	v_sub_nc_u32_e32 v17, 29, v17
	v_lshlrev_b64 v[32:33], v32, v[18:19]
; %bb.880:                              ;   in Loop: Header=BB395_11 Depth=1
	s_or_b32 exec_lo, exec_lo, s24
	v_lshlrev_b32_e32 v32, 20, v32
	v_lshlrev_b32_e32 v33, 24, v18
	v_lshl_add_u32 v17, v17, 23, 0x3c000000
	v_and_b32_e32 v32, 0x700000, v32
	v_and_b32_e32 v33, 0x80000000, v33
	v_or3_b32 v17, v32, v33, v17
.LBB395_881:                            ;   in Loop: Header=BB395_11 Depth=1
	s_or_b32 exec_lo, exec_lo, s23
.LBB395_882:                            ;   in Loop: Header=BB395_11 Depth=1
	s_or_b32 exec_lo, exec_lo, s22
.LBB395_883:                            ;   in Loop: Header=BB395_11 Depth=1
	s_or_b32 exec_lo, exec_lo, s6
	v_cmp_ne_u16_sdwa s5, v18, v19 src0_sel:BYTE_1 src1_sel:DWORD
	v_mov_b32_e32 v85, 0
	v_mov_b32_e32 v86, 0
	s_and_saveexec_b32 s6, s5
	s_cbranch_execz .LBB395_891
; %bb.884:                              ;   in Loop: Header=BB395_11 Depth=1
	v_mov_b32_e32 v32, 0x80
	v_bfrev_b32_e32 v86, 1
	v_cmp_ne_u16_sdwa s5, v18, v32 src0_sel:BYTE_1 src1_sel:DWORD
	s_and_saveexec_b32 s22, s5
	s_cbranch_execz .LBB395_890
; %bb.885:                              ;   in Loop: Header=BB395_11 Depth=1
	v_mov_b32_e32 v32, 0xffff
	v_mov_b32_e32 v86, 0x7f800001
	s_mov_b32 s23, exec_lo
	v_and_b32_sdwa v32, v32, v18 dst_sel:DWORD dst_unused:UNUSED_PAD src0_sel:DWORD src1_sel:BYTE_1
	v_and_b32_e32 v97, 0x7f, v32
	v_cmpx_ne_u32_e32 0x7f, v97
	s_cbranch_execz .LBB395_889
; %bb.886:                              ;   in Loop: Header=BB395_11 Depth=1
	v_and_b32_e32 v32, 7, v32
	v_mov_b32_e32 v33, v19
	v_lshrrev_b32_e32 v87, 3, v97
	s_mov_b32 s24, exec_lo
	v_cmpx_gt_u32_e32 8, v97
; %bb.887:                              ;   in Loop: Header=BB395_11 Depth=1
	v_ffbh_u32_e32 v87, v32
	v_min_u32_e32 v87, 32, v87
	v_subrev_nc_u32_e32 v97, 28, v87
	v_sub_nc_u32_e32 v87, 29, v87
	v_lshlrev_b64 v[32:33], v97, v[32:33]
	v_and_b32_e32 v32, 7, v32
; %bb.888:                              ;   in Loop: Header=BB395_11 Depth=1
	s_or_b32 exec_lo, exec_lo, s24
	v_lshlrev_b32_e32 v18, 16, v18
	v_lshlrev_b32_e32 v32, 20, v32
	v_lshl_add_u32 v33, v87, 23, 0x3c000000
	v_and_b32_e32 v18, 0x80000000, v18
	v_or3_b32 v86, v32, v18, v33
.LBB395_889:                            ;   in Loop: Header=BB395_11 Depth=1
	s_or_b32 exec_lo, exec_lo, s23
.LBB395_890:                            ;   in Loop: Header=BB395_11 Depth=1
	s_or_b32 exec_lo, exec_lo, s22
.LBB395_891:                            ;   in Loop: Header=BB395_11 Depth=1
	s_or_b32 exec_lo, exec_lo, s6
	v_mov_b32_e32 v18, 0xff
	s_mov_b32 s6, exec_lo
	v_and_b32_sdwa v18, v31, v18 dst_sel:DWORD dst_unused:UNUSED_PAD src0_sel:WORD_1 src1_sel:DWORD
	v_cmpx_ne_u16_e32 0, v18
	s_cbranch_execz .LBB395_899
; %bb.892:                              ;   in Loop: Header=BB395_11 Depth=1
	v_bfrev_b32_e32 v85, 1
	s_mov_b32 s22, exec_lo
	v_cmpx_ne_u16_e32 0x80, v18
	s_cbranch_execz .LBB395_898
; %bb.893:                              ;   in Loop: Header=BB395_11 Depth=1
	v_bfe_u32 v32, v31, 16, 7
	v_mov_b32_e32 v85, 0x7f800001
	s_mov_b32 s23, exec_lo
	v_cmpx_ne_u32_e32 0x7f, v32
	s_cbranch_execz .LBB395_897
; %bb.894:                              ;   in Loop: Header=BB395_11 Depth=1
	v_mov_b32_e32 v18, 7
	v_lshrrev_b32_e32 v87, 3, v32
	v_cmp_gt_u32_e64 s5, 8, v32
	v_and_b32_sdwa v18, v31, v18 dst_sel:DWORD dst_unused:UNUSED_PAD src0_sel:WORD_1 src1_sel:DWORD
	v_mov_b32_e32 v33, v19
	v_mov_b32_e32 v32, v18
	s_and_saveexec_b32 s24, s5
; %bb.895:                              ;   in Loop: Header=BB395_11 Depth=1
	v_ffbh_u32_e32 v32, v18
	v_min_u32_e32 v87, 32, v32
	v_subrev_nc_u32_e32 v32, 28, v87
	v_sub_nc_u32_e32 v87, 29, v87
	v_lshlrev_b64 v[32:33], v32, v[18:19]
	v_and_b32_e32 v32, 7, v32
; %bb.896:                              ;   in Loop: Header=BB395_11 Depth=1
	s_or_b32 exec_lo, exec_lo, s24
	v_mov_b32_e32 v18, 24
	v_lshlrev_b32_e32 v32, 20, v32
	v_lshl_add_u32 v33, v87, 23, 0x3c000000
	v_lshlrev_b32_sdwa v18, v18, v31 dst_sel:DWORD dst_unused:UNUSED_PAD src0_sel:DWORD src1_sel:WORD_1
	v_and_b32_e32 v18, 0x80000000, v18
	v_or3_b32 v85, v32, v18, v33
.LBB395_897:                            ;   in Loop: Header=BB395_11 Depth=1
	s_or_b32 exec_lo, exec_lo, s23
.LBB395_898:                            ;   in Loop: Header=BB395_11 Depth=1
	s_or_b32 exec_lo, exec_lo, s22
.LBB395_899:                            ;   in Loop: Header=BB395_11 Depth=1
	s_or_b32 exec_lo, exec_lo, s6
	v_mov_b32_e32 v96, 0
	v_mov_b32_e32 v116, 0
	s_mov_b32 s6, exec_lo
	v_cmpx_lt_u64_e64 s[8:9], v[30:31]
	s_cbranch_execz .LBB395_907
; %bb.900:                              ;   in Loop: Header=BB395_11 Depth=1
	v_mov_b32_e32 v18, 0x80
	v_bfrev_b32_e32 v116, 1
	v_cmp_ne_u32_sdwa s5, v31, v18 src0_sel:BYTE_3 src1_sel:DWORD
	s_and_saveexec_b32 s22, s5
	s_cbranch_execz .LBB395_906
; %bb.901:                              ;   in Loop: Header=BB395_11 Depth=1
	v_bfe_u32 v32, v31, 24, 7
	v_mov_b32_e32 v116, 0x7f800001
	s_mov_b32 s23, exec_lo
	v_cmpx_ne_u32_e32 0x7f, v32
	s_cbranch_execz .LBB395_905
; %bb.902:                              ;   in Loop: Header=BB395_11 Depth=1
	v_mov_b32_e32 v18, 7
	v_lshrrev_b32_e32 v30, 3, v32
	v_cmp_gt_u32_e64 s5, 8, v32
	v_and_b32_sdwa v18, v31, v18 dst_sel:DWORD dst_unused:UNUSED_PAD src0_sel:BYTE_3 src1_sel:DWORD
	v_mov_b32_e32 v33, v19
	v_mov_b32_e32 v32, v18
	s_and_saveexec_b32 s24, s5
; %bb.903:                              ;   in Loop: Header=BB395_11 Depth=1
	v_ffbh_u32_e32 v30, v18
	v_min_u32_e32 v30, 32, v30
	v_subrev_nc_u32_e32 v32, 28, v30
	v_sub_nc_u32_e32 v30, 29, v30
	v_lshlrev_b64 v[32:33], v32, v[18:19]
	v_and_b32_e32 v32, 7, v32
; %bb.904:                              ;   in Loop: Header=BB395_11 Depth=1
	s_or_b32 exec_lo, exec_lo, s24
	v_mov_b32_e32 v18, 24
	v_lshl_add_u32 v30, v30, 23, 0x3c000000
	v_lshlrev_b32_sdwa v18, v18, v31 dst_sel:DWORD dst_unused:UNUSED_PAD src0_sel:DWORD src1_sel:BYTE_3
	v_lshlrev_b32_e32 v31, 20, v32
	v_and_b32_e32 v18, 0x80000000, v18
	v_or3_b32 v116, v31, v18, v30
.LBB395_905:                            ;   in Loop: Header=BB395_11 Depth=1
	s_or_b32 exec_lo, exec_lo, s23
.LBB395_906:                            ;   in Loop: Header=BB395_11 Depth=1
	s_or_b32 exec_lo, exec_lo, s22
.LBB395_907:                            ;   in Loop: Header=BB395_11 Depth=1
	s_or_b32 exec_lo, exec_lo, s6
	flat_load_dwordx2 v[30:31], v[28:29] offset:1536
	s_waitcnt vmcnt(0) lgkmcnt(0)
	v_cmp_ne_u16_sdwa s5, v30, v19 src0_sel:BYTE_0 src1_sel:DWORD
	s_and_saveexec_b32 s6, s5
	s_cbranch_execz .LBB395_915
; %bb.908:                              ;   in Loop: Header=BB395_11 Depth=1
	v_mov_b32_e32 v18, 0x80
	v_bfrev_b32_e32 v96, 1
	v_cmp_ne_u16_sdwa s5, v30, v18 src0_sel:BYTE_0 src1_sel:DWORD
	s_and_saveexec_b32 s22, s5
	s_cbranch_execz .LBB395_914
; %bb.909:                              ;   in Loop: Header=BB395_11 Depth=1
	v_and_b32_e32 v32, 0x7f, v30
	v_mov_b32_e32 v96, 0x7f800001
	s_mov_b32 s23, exec_lo
	v_cmpx_ne_u32_e32 0x7f, v32
	s_cbranch_execz .LBB395_913
; %bb.910:                              ;   in Loop: Header=BB395_11 Depth=1
	v_lshrrev_b32_e32 v18, 3, v32
	v_cmp_gt_u32_e64 s5, 8, v32
	v_mov_b32_e32 v33, v31
	v_mov_b32_e32 v32, v30
	s_and_saveexec_b32 s24, s5
; %bb.911:                              ;   in Loop: Header=BB395_11 Depth=1
	v_and_b32_e32 v18, 7, v30
	v_ffbh_u32_e32 v18, v18
	v_min_u32_e32 v18, 32, v18
	v_subrev_nc_u32_e32 v32, 28, v18
	v_sub_nc_u32_e32 v18, 29, v18
	v_lshlrev_b64 v[32:33], v32, v[30:31]
; %bb.912:                              ;   in Loop: Header=BB395_11 Depth=1
	s_or_b32 exec_lo, exec_lo, s24
	v_lshlrev_b32_e32 v32, 20, v32
	v_lshlrev_b32_e32 v33, 24, v30
	v_lshl_add_u32 v18, v18, 23, 0x3c000000
	v_and_b32_e32 v32, 0x700000, v32
	v_and_b32_e32 v33, 0x80000000, v33
	v_or3_b32 v96, v32, v33, v18
.LBB395_913:                            ;   in Loop: Header=BB395_11 Depth=1
	s_or_b32 exec_lo, exec_lo, s23
.LBB395_914:                            ;   in Loop: Header=BB395_11 Depth=1
	s_or_b32 exec_lo, exec_lo, s22
.LBB395_915:                            ;   in Loop: Header=BB395_11 Depth=1
	s_or_b32 exec_lo, exec_lo, s6
	v_cmp_ne_u16_sdwa s5, v30, v19 src0_sel:BYTE_1 src1_sel:DWORD
	v_mov_b32_e32 v119, 0
	v_mov_b32_e32 v101, 0
	s_and_saveexec_b32 s6, s5
	s_cbranch_execz .LBB395_923
; %bb.916:                              ;   in Loop: Header=BB395_11 Depth=1
	v_mov_b32_e32 v18, 0x80
	v_bfrev_b32_e32 v101, 1
	v_cmp_ne_u16_sdwa s5, v30, v18 src0_sel:BYTE_1 src1_sel:DWORD
	s_and_saveexec_b32 s22, s5
	s_cbranch_execz .LBB395_922
; %bb.917:                              ;   in Loop: Header=BB395_11 Depth=1
	v_mov_b32_e32 v18, 0xffff
	v_mov_b32_e32 v101, 0x7f800001
	s_mov_b32 s23, exec_lo
	v_and_b32_sdwa v18, v18, v30 dst_sel:DWORD dst_unused:UNUSED_PAD src0_sel:DWORD src1_sel:BYTE_1
	v_and_b32_e32 v32, 0x7f, v18
	v_cmpx_ne_u32_e32 0x7f, v32
	s_cbranch_execz .LBB395_921
; %bb.918:                              ;   in Loop: Header=BB395_11 Depth=1
	v_and_b32_e32 v18, 7, v18
	v_lshrrev_b32_e32 v87, 3, v32
	v_cmp_gt_u32_e64 s5, 8, v32
	v_mov_b32_e32 v33, v19
	v_mov_b32_e32 v32, v18
	s_and_saveexec_b32 s24, s5
; %bb.919:                              ;   in Loop: Header=BB395_11 Depth=1
	v_ffbh_u32_e32 v32, v18
	v_min_u32_e32 v87, 32, v32
	v_subrev_nc_u32_e32 v32, 28, v87
	v_sub_nc_u32_e32 v87, 29, v87
	v_lshlrev_b64 v[32:33], v32, v[18:19]
	v_and_b32_e32 v32, 7, v32
; %bb.920:                              ;   in Loop: Header=BB395_11 Depth=1
	s_or_b32 exec_lo, exec_lo, s24
	v_lshlrev_b32_e32 v18, 16, v30
	v_lshlrev_b32_e32 v32, 20, v32
	v_lshl_add_u32 v33, v87, 23, 0x3c000000
	v_and_b32_e32 v18, 0x80000000, v18
	v_or3_b32 v101, v32, v18, v33
.LBB395_921:                            ;   in Loop: Header=BB395_11 Depth=1
	s_or_b32 exec_lo, exec_lo, s23
.LBB395_922:                            ;   in Loop: Header=BB395_11 Depth=1
	s_or_b32 exec_lo, exec_lo, s22
.LBB395_923:                            ;   in Loop: Header=BB395_11 Depth=1
	s_or_b32 exec_lo, exec_lo, s6
	v_mov_b32_e32 v18, 0xff
	s_mov_b32 s6, exec_lo
	v_and_b32_sdwa v18, v30, v18 dst_sel:DWORD dst_unused:UNUSED_PAD src0_sel:WORD_1 src1_sel:DWORD
	v_cmpx_ne_u16_e32 0, v18
	s_cbranch_execz .LBB395_931
; %bb.924:                              ;   in Loop: Header=BB395_11 Depth=1
	v_bfrev_b32_e32 v119, 1
	s_mov_b32 s22, exec_lo
	v_cmpx_ne_u16_e32 0x80, v18
	s_cbranch_execz .LBB395_930
; %bb.925:                              ;   in Loop: Header=BB395_11 Depth=1
	v_bfe_u32 v32, v30, 16, 7
	v_mov_b32_e32 v119, 0x7f800001
	s_mov_b32 s23, exec_lo
	v_cmpx_ne_u32_e32 0x7f, v32
	s_cbranch_execz .LBB395_929
; %bb.926:                              ;   in Loop: Header=BB395_11 Depth=1
	v_mov_b32_e32 v18, 7
	v_lshrrev_b32_e32 v87, 3, v32
	v_cmp_gt_u32_e64 s5, 8, v32
	v_and_b32_sdwa v18, v30, v18 dst_sel:DWORD dst_unused:UNUSED_PAD src0_sel:WORD_1 src1_sel:DWORD
	v_mov_b32_e32 v33, v19
	v_mov_b32_e32 v32, v18
	s_and_saveexec_b32 s24, s5
; %bb.927:                              ;   in Loop: Header=BB395_11 Depth=1
	v_ffbh_u32_e32 v32, v18
	v_min_u32_e32 v87, 32, v32
	v_subrev_nc_u32_e32 v32, 28, v87
	v_sub_nc_u32_e32 v87, 29, v87
	v_lshlrev_b64 v[32:33], v32, v[18:19]
	v_and_b32_e32 v32, 7, v32
; %bb.928:                              ;   in Loop: Header=BB395_11 Depth=1
	s_or_b32 exec_lo, exec_lo, s24
	v_mov_b32_e32 v18, 24
	v_lshlrev_b32_e32 v32, 20, v32
	v_lshl_add_u32 v33, v87, 23, 0x3c000000
	v_lshlrev_b32_sdwa v18, v18, v30 dst_sel:DWORD dst_unused:UNUSED_PAD src0_sel:DWORD src1_sel:WORD_1
	v_and_b32_e32 v18, 0x80000000, v18
	v_or3_b32 v119, v32, v18, v33
.LBB395_929:                            ;   in Loop: Header=BB395_11 Depth=1
	s_or_b32 exec_lo, exec_lo, s23
.LBB395_930:                            ;   in Loop: Header=BB395_11 Depth=1
	s_or_b32 exec_lo, exec_lo, s22
.LBB395_931:                            ;   in Loop: Header=BB395_11 Depth=1
	s_or_b32 exec_lo, exec_lo, s6
	v_mov_b32_e32 v43, 0
	v_mov_b32_e32 v42, 0
	s_mov_b32 s6, exec_lo
	v_cmpx_lt_u32_e32 0xffffff, v30
	s_cbranch_execz .LBB395_939
; %bb.932:                              ;   in Loop: Header=BB395_11 Depth=1
	v_mov_b32_e32 v18, 0x80
	v_bfrev_b32_e32 v42, 1
	v_cmp_ne_u32_sdwa s5, v30, v18 src0_sel:BYTE_3 src1_sel:DWORD
	s_and_saveexec_b32 s22, s5
	s_cbranch_execz .LBB395_938
; %bb.933:                              ;   in Loop: Header=BB395_11 Depth=1
	v_bfe_u32 v32, v30, 24, 7
	v_mov_b32_e32 v42, 0x7f800001
	s_mov_b32 s23, exec_lo
	v_cmpx_ne_u32_e32 0x7f, v32
	s_cbranch_execz .LBB395_937
; %bb.934:                              ;   in Loop: Header=BB395_11 Depth=1
	v_mov_b32_e32 v18, 7
	v_lshrrev_b32_e32 v87, 3, v32
	v_cmp_gt_u32_e64 s5, 8, v32
	v_and_b32_sdwa v18, v30, v18 dst_sel:DWORD dst_unused:UNUSED_PAD src0_sel:BYTE_3 src1_sel:DWORD
	v_mov_b32_e32 v33, v19
	v_mov_b32_e32 v32, v18
	s_and_saveexec_b32 s24, s5
; %bb.935:                              ;   in Loop: Header=BB395_11 Depth=1
	v_ffbh_u32_e32 v32, v18
	v_min_u32_e32 v87, 32, v32
	v_subrev_nc_u32_e32 v32, 28, v87
	v_sub_nc_u32_e32 v87, 29, v87
	v_lshlrev_b64 v[32:33], v32, v[18:19]
	v_and_b32_e32 v32, 7, v32
; %bb.936:                              ;   in Loop: Header=BB395_11 Depth=1
	s_or_b32 exec_lo, exec_lo, s24
	v_mov_b32_e32 v18, 24
	v_lshlrev_b32_e32 v32, 20, v32
	v_lshl_add_u32 v33, v87, 23, 0x3c000000
	v_lshlrev_b32_sdwa v18, v18, v30 dst_sel:DWORD dst_unused:UNUSED_PAD src0_sel:DWORD src1_sel:BYTE_3
	v_and_b32_e32 v18, 0x80000000, v18
	v_or3_b32 v42, v32, v18, v33
.LBB395_937:                            ;   in Loop: Header=BB395_11 Depth=1
	s_or_b32 exec_lo, exec_lo, s23
.LBB395_938:                            ;   in Loop: Header=BB395_11 Depth=1
	s_or_b32 exec_lo, exec_lo, s22
.LBB395_939:                            ;   in Loop: Header=BB395_11 Depth=1
	s_or_b32 exec_lo, exec_lo, s6
	v_mov_b32_e32 v18, v31
	v_cmp_ne_u16_sdwa s5, v31, v19 src0_sel:BYTE_0 src1_sel:DWORD
	s_and_saveexec_b32 s6, s5
	s_cbranch_execz .LBB395_947
; %bb.940:                              ;   in Loop: Header=BB395_11 Depth=1
	v_mov_b32_e32 v32, 0x80
	v_bfrev_b32_e32 v43, 1
	v_cmp_ne_u16_sdwa s5, v31, v32 src0_sel:BYTE_0 src1_sel:DWORD
	s_and_saveexec_b32 s22, s5
	s_cbranch_execz .LBB395_946
; %bb.941:                              ;   in Loop: Header=BB395_11 Depth=1
	v_and_b32_e32 v32, 0x7f, v31
	v_mov_b32_e32 v43, 0x7f800001
	s_mov_b32 s23, exec_lo
	v_cmpx_ne_u32_e32 0x7f, v32
	s_cbranch_execz .LBB395_945
; %bb.942:                              ;   in Loop: Header=BB395_11 Depth=1
	v_lshrrev_b32_e32 v87, 3, v32
	v_cmp_gt_u32_e64 s5, 8, v32
	v_mov_b32_e32 v33, v19
	v_mov_b32_e32 v32, v18
	s_and_saveexec_b32 s24, s5
; %bb.943:                              ;   in Loop: Header=BB395_11 Depth=1
	v_and_b32_e32 v32, 7, v31
	v_ffbh_u32_e32 v32, v32
	v_min_u32_e32 v87, 32, v32
	v_subrev_nc_u32_e32 v32, 28, v87
	v_sub_nc_u32_e32 v87, 29, v87
	v_lshlrev_b64 v[32:33], v32, v[18:19]
; %bb.944:                              ;   in Loop: Header=BB395_11 Depth=1
	s_or_b32 exec_lo, exec_lo, s24
	v_lshlrev_b32_e32 v32, 20, v32
	v_lshlrev_b32_e32 v33, 24, v18
	v_lshl_add_u32 v87, v87, 23, 0x3c000000
	v_and_b32_e32 v32, 0x700000, v32
	v_and_b32_e32 v33, 0x80000000, v33
	v_or3_b32 v43, v32, v33, v87
.LBB395_945:                            ;   in Loop: Header=BB395_11 Depth=1
	s_or_b32 exec_lo, exec_lo, s23
.LBB395_946:                            ;   in Loop: Header=BB395_11 Depth=1
	s_or_b32 exec_lo, exec_lo, s22
.LBB395_947:                            ;   in Loop: Header=BB395_11 Depth=1
	s_or_b32 exec_lo, exec_lo, s6
	v_cmp_ne_u16_sdwa s5, v18, v19 src0_sel:BYTE_1 src1_sel:DWORD
	v_mov_b32_e32 v47, 0
	v_mov_b32_e32 v56, 0
	s_and_saveexec_b32 s6, s5
	s_cbranch_execz .LBB395_955
; %bb.948:                              ;   in Loop: Header=BB395_11 Depth=1
	v_mov_b32_e32 v32, 0x80
	v_bfrev_b32_e32 v56, 1
	v_cmp_ne_u16_sdwa s5, v18, v32 src0_sel:BYTE_1 src1_sel:DWORD
	s_and_saveexec_b32 s22, s5
	s_cbranch_execz .LBB395_954
; %bb.949:                              ;   in Loop: Header=BB395_11 Depth=1
	v_mov_b32_e32 v32, 0xffff
	v_mov_b32_e32 v56, 0x7f800001
	s_mov_b32 s23, exec_lo
	v_and_b32_sdwa v32, v32, v18 dst_sel:DWORD dst_unused:UNUSED_PAD src0_sel:DWORD src1_sel:BYTE_1
	v_and_b32_e32 v97, 0x7f, v32
	v_cmpx_ne_u32_e32 0x7f, v97
	s_cbranch_execz .LBB395_953
; %bb.950:                              ;   in Loop: Header=BB395_11 Depth=1
	v_and_b32_e32 v32, 7, v32
	v_mov_b32_e32 v33, v19
	v_lshrrev_b32_e32 v87, 3, v97
	s_mov_b32 s24, exec_lo
	v_cmpx_gt_u32_e32 8, v97
; %bb.951:                              ;   in Loop: Header=BB395_11 Depth=1
	v_ffbh_u32_e32 v87, v32
	v_min_u32_e32 v87, 32, v87
	v_subrev_nc_u32_e32 v97, 28, v87
	v_sub_nc_u32_e32 v87, 29, v87
	v_lshlrev_b64 v[32:33], v97, v[32:33]
	v_and_b32_e32 v32, 7, v32
; %bb.952:                              ;   in Loop: Header=BB395_11 Depth=1
	s_or_b32 exec_lo, exec_lo, s24
	v_lshlrev_b32_e32 v18, 16, v18
	v_lshlrev_b32_e32 v32, 20, v32
	v_lshl_add_u32 v33, v87, 23, 0x3c000000
	v_and_b32_e32 v18, 0x80000000, v18
	v_or3_b32 v56, v32, v18, v33
.LBB395_953:                            ;   in Loop: Header=BB395_11 Depth=1
	s_or_b32 exec_lo, exec_lo, s23
.LBB395_954:                            ;   in Loop: Header=BB395_11 Depth=1
	s_or_b32 exec_lo, exec_lo, s22
.LBB395_955:                            ;   in Loop: Header=BB395_11 Depth=1
	s_or_b32 exec_lo, exec_lo, s6
	v_mov_b32_e32 v18, 0xff
	s_mov_b32 s6, exec_lo
	v_and_b32_sdwa v18, v31, v18 dst_sel:DWORD dst_unused:UNUSED_PAD src0_sel:WORD_1 src1_sel:DWORD
	v_cmpx_ne_u16_e32 0, v18
	s_cbranch_execz .LBB395_963
; %bb.956:                              ;   in Loop: Header=BB395_11 Depth=1
	v_bfrev_b32_e32 v47, 1
	s_mov_b32 s22, exec_lo
	v_cmpx_ne_u16_e32 0x80, v18
	s_cbranch_execz .LBB395_962
; %bb.957:                              ;   in Loop: Header=BB395_11 Depth=1
	v_bfe_u32 v32, v31, 16, 7
	v_mov_b32_e32 v47, 0x7f800001
	s_mov_b32 s23, exec_lo
	v_cmpx_ne_u32_e32 0x7f, v32
	s_cbranch_execz .LBB395_961
; %bb.958:                              ;   in Loop: Header=BB395_11 Depth=1
	v_mov_b32_e32 v18, 7
	v_lshrrev_b32_e32 v87, 3, v32
	v_cmp_gt_u32_e64 s5, 8, v32
	v_and_b32_sdwa v18, v31, v18 dst_sel:DWORD dst_unused:UNUSED_PAD src0_sel:WORD_1 src1_sel:DWORD
	v_mov_b32_e32 v33, v19
	v_mov_b32_e32 v32, v18
	s_and_saveexec_b32 s24, s5
; %bb.959:                              ;   in Loop: Header=BB395_11 Depth=1
	v_ffbh_u32_e32 v32, v18
	v_min_u32_e32 v87, 32, v32
	v_subrev_nc_u32_e32 v32, 28, v87
	v_sub_nc_u32_e32 v87, 29, v87
	v_lshlrev_b64 v[32:33], v32, v[18:19]
	v_and_b32_e32 v32, 7, v32
; %bb.960:                              ;   in Loop: Header=BB395_11 Depth=1
	s_or_b32 exec_lo, exec_lo, s24
	v_mov_b32_e32 v18, 24
	v_lshlrev_b32_e32 v32, 20, v32
	v_lshl_add_u32 v33, v87, 23, 0x3c000000
	v_lshlrev_b32_sdwa v18, v18, v31 dst_sel:DWORD dst_unused:UNUSED_PAD src0_sel:DWORD src1_sel:WORD_1
	v_and_b32_e32 v18, 0x80000000, v18
	v_or3_b32 v47, v32, v18, v33
.LBB395_961:                            ;   in Loop: Header=BB395_11 Depth=1
	s_or_b32 exec_lo, exec_lo, s23
.LBB395_962:                            ;   in Loop: Header=BB395_11 Depth=1
	s_or_b32 exec_lo, exec_lo, s22
.LBB395_963:                            ;   in Loop: Header=BB395_11 Depth=1
	s_or_b32 exec_lo, exec_lo, s6
	v_mov_b32_e32 v115, 0
	v_mov_b32_e32 v57, 0
	s_mov_b32 s6, exec_lo
	v_cmpx_lt_u64_e64 s[8:9], v[30:31]
	s_cbranch_execz .LBB395_971
; %bb.964:                              ;   in Loop: Header=BB395_11 Depth=1
	v_mov_b32_e32 v18, 0x80
	v_bfrev_b32_e32 v57, 1
	v_cmp_ne_u32_sdwa s5, v31, v18 src0_sel:BYTE_3 src1_sel:DWORD
	s_and_saveexec_b32 s22, s5
	s_cbranch_execz .LBB395_970
; %bb.965:                              ;   in Loop: Header=BB395_11 Depth=1
	v_bfe_u32 v32, v31, 24, 7
	v_mov_b32_e32 v57, 0x7f800001
	s_mov_b32 s23, exec_lo
	v_cmpx_ne_u32_e32 0x7f, v32
	s_cbranch_execz .LBB395_969
; %bb.966:                              ;   in Loop: Header=BB395_11 Depth=1
	v_mov_b32_e32 v18, 7
	v_lshrrev_b32_e32 v30, 3, v32
	v_cmp_gt_u32_e64 s5, 8, v32
	v_and_b32_sdwa v18, v31, v18 dst_sel:DWORD dst_unused:UNUSED_PAD src0_sel:BYTE_3 src1_sel:DWORD
	v_mov_b32_e32 v33, v19
	v_mov_b32_e32 v32, v18
	s_and_saveexec_b32 s24, s5
; %bb.967:                              ;   in Loop: Header=BB395_11 Depth=1
	v_ffbh_u32_e32 v30, v18
	v_min_u32_e32 v30, 32, v30
	v_subrev_nc_u32_e32 v32, 28, v30
	v_sub_nc_u32_e32 v30, 29, v30
	v_lshlrev_b64 v[32:33], v32, v[18:19]
	v_and_b32_e32 v32, 7, v32
; %bb.968:                              ;   in Loop: Header=BB395_11 Depth=1
	s_or_b32 exec_lo, exec_lo, s24
	v_mov_b32_e32 v18, 24
	v_lshl_add_u32 v30, v30, 23, 0x3c000000
	v_lshlrev_b32_sdwa v18, v18, v31 dst_sel:DWORD dst_unused:UNUSED_PAD src0_sel:DWORD src1_sel:BYTE_3
	v_lshlrev_b32_e32 v31, 20, v32
	v_and_b32_e32 v18, 0x80000000, v18
	v_or3_b32 v57, v31, v18, v30
.LBB395_969:                            ;   in Loop: Header=BB395_11 Depth=1
	s_or_b32 exec_lo, exec_lo, s23
.LBB395_970:                            ;   in Loop: Header=BB395_11 Depth=1
	s_or_b32 exec_lo, exec_lo, s22
.LBB395_971:                            ;   in Loop: Header=BB395_11 Depth=1
	s_or_b32 exec_lo, exec_lo, s6
	flat_load_dwordx2 v[28:29], v[28:29] offset:1544
	s_waitcnt vmcnt(0) lgkmcnt(0)
	v_cmp_ne_u16_sdwa s5, v28, v19 src0_sel:BYTE_0 src1_sel:DWORD
	s_and_saveexec_b32 s6, s5
	s_cbranch_execz .LBB395_979
; %bb.972:                              ;   in Loop: Header=BB395_11 Depth=1
	v_mov_b32_e32 v18, 0x80
	v_bfrev_b32_e32 v115, 1
	v_cmp_ne_u16_sdwa s5, v28, v18 src0_sel:BYTE_0 src1_sel:DWORD
	s_and_saveexec_b32 s22, s5
	s_cbranch_execz .LBB395_978
; %bb.973:                              ;   in Loop: Header=BB395_11 Depth=1
	v_and_b32_e32 v30, 0x7f, v28
	v_mov_b32_e32 v115, 0x7f800001
	s_mov_b32 s23, exec_lo
	v_cmpx_ne_u32_e32 0x7f, v30
	s_cbranch_execz .LBB395_977
; %bb.974:                              ;   in Loop: Header=BB395_11 Depth=1
	v_lshrrev_b32_e32 v18, 3, v30
	v_cmp_gt_u32_e64 s5, 8, v30
	v_mov_b32_e32 v31, v29
	v_mov_b32_e32 v30, v28
	s_and_saveexec_b32 s24, s5
; %bb.975:                              ;   in Loop: Header=BB395_11 Depth=1
	v_and_b32_e32 v18, 7, v28
	v_ffbh_u32_e32 v18, v18
	v_min_u32_e32 v18, 32, v18
	v_subrev_nc_u32_e32 v30, 28, v18
	v_sub_nc_u32_e32 v18, 29, v18
	v_lshlrev_b64 v[30:31], v30, v[28:29]
; %bb.976:                              ;   in Loop: Header=BB395_11 Depth=1
	s_or_b32 exec_lo, exec_lo, s24
	v_lshlrev_b32_e32 v30, 20, v30
	v_lshlrev_b32_e32 v31, 24, v28
	v_lshl_add_u32 v18, v18, 23, 0x3c000000
	v_and_b32_e32 v30, 0x700000, v30
	v_and_b32_e32 v31, 0x80000000, v31
	v_or3_b32 v115, v30, v31, v18
.LBB395_977:                            ;   in Loop: Header=BB395_11 Depth=1
	s_or_b32 exec_lo, exec_lo, s23
.LBB395_978:                            ;   in Loop: Header=BB395_11 Depth=1
	s_or_b32 exec_lo, exec_lo, s22
.LBB395_979:                            ;   in Loop: Header=BB395_11 Depth=1
	s_or_b32 exec_lo, exec_lo, s6
	v_cmp_ne_u16_sdwa s5, v28, v19 src0_sel:BYTE_1 src1_sel:DWORD
	v_mov_b32_e32 v33, 0
	v_mov_b32_e32 v32, 0
	s_and_saveexec_b32 s6, s5
	s_cbranch_execz .LBB395_987
; %bb.980:                              ;   in Loop: Header=BB395_11 Depth=1
	v_mov_b32_e32 v18, 0x80
	v_bfrev_b32_e32 v32, 1
	v_cmp_ne_u16_sdwa s5, v28, v18 src0_sel:BYTE_1 src1_sel:DWORD
	s_and_saveexec_b32 s22, s5
	s_cbranch_execz .LBB395_986
; %bb.981:                              ;   in Loop: Header=BB395_11 Depth=1
	v_mov_b32_e32 v18, 0xffff
	v_mov_b32_e32 v32, 0x7f800001
	s_mov_b32 s23, exec_lo
	v_and_b32_sdwa v18, v18, v28 dst_sel:DWORD dst_unused:UNUSED_PAD src0_sel:DWORD src1_sel:BYTE_1
	v_and_b32_e32 v87, 0x7f, v18
	v_cmpx_ne_u32_e32 0x7f, v87
	s_cbranch_execz .LBB395_985
; %bb.982:                              ;   in Loop: Header=BB395_11 Depth=1
	v_and_b32_e32 v18, 7, v18
	v_mov_b32_e32 v31, v19
	v_lshrrev_b32_e32 v31, 3, v87
	s_mov_b32 s24, exec_lo
	v_mov_b32_e32 v30, v18
	v_cmpx_gt_u32_e32 8, v87
; %bb.983:                              ;   in Loop: Header=BB395_11 Depth=1
	v_ffbh_u32_e32 v30, v18
	v_min_u32_e32 v32, 32, v30
	v_subrev_nc_u32_e32 v30, 28, v32
	v_lshlrev_b64 v[30:31], v30, v[18:19]
	v_sub_nc_u32_e32 v31, 29, v32
	v_and_b32_e32 v30, 7, v30
; %bb.984:                              ;   in Loop: Header=BB395_11 Depth=1
	s_or_b32 exec_lo, exec_lo, s24
	v_lshlrev_b32_e32 v18, 16, v28
	v_lshlrev_b32_e32 v30, 20, v30
	v_lshl_add_u32 v31, v31, 23, 0x3c000000
	v_and_b32_e32 v18, 0x80000000, v18
	v_or3_b32 v32, v30, v18, v31
.LBB395_985:                            ;   in Loop: Header=BB395_11 Depth=1
	s_or_b32 exec_lo, exec_lo, s23
.LBB395_986:                            ;   in Loop: Header=BB395_11 Depth=1
	s_or_b32 exec_lo, exec_lo, s22
.LBB395_987:                            ;   in Loop: Header=BB395_11 Depth=1
	s_or_b32 exec_lo, exec_lo, s6
	v_mov_b32_e32 v18, 0xff
	s_mov_b32 s6, exec_lo
	v_and_b32_sdwa v18, v28, v18 dst_sel:DWORD dst_unused:UNUSED_PAD src0_sel:WORD_1 src1_sel:DWORD
	v_cmpx_ne_u16_e32 0, v18
	s_cbranch_execz .LBB395_995
; %bb.988:                              ;   in Loop: Header=BB395_11 Depth=1
	v_bfrev_b32_e32 v33, 1
	s_mov_b32 s22, exec_lo
	v_cmpx_ne_u16_e32 0x80, v18
	s_cbranch_execz .LBB395_994
; %bb.989:                              ;   in Loop: Header=BB395_11 Depth=1
	v_bfe_u32 v87, v28, 16, 7
	v_mov_b32_e32 v33, 0x7f800001
	s_mov_b32 s23, exec_lo
	v_cmpx_ne_u32_e32 0x7f, v87
	s_cbranch_execz .LBB395_993
; %bb.990:                              ;   in Loop: Header=BB395_11 Depth=1
	v_mov_b32_e32 v18, 7
	s_mov_b32 s24, exec_lo
	v_and_b32_sdwa v18, v28, v18 dst_sel:DWORD dst_unused:UNUSED_PAD src0_sel:WORD_1 src1_sel:DWORD
	v_mov_b32_e32 v31, v19
	v_lshrrev_b32_e32 v31, 3, v87
	v_mov_b32_e32 v30, v18
	v_cmpx_gt_u32_e32 8, v87
; %bb.991:                              ;   in Loop: Header=BB395_11 Depth=1
	v_ffbh_u32_e32 v30, v18
	v_min_u32_e32 v33, 32, v30
	v_subrev_nc_u32_e32 v30, 28, v33
	v_lshlrev_b64 v[30:31], v30, v[18:19]
	v_sub_nc_u32_e32 v31, 29, v33
	v_and_b32_e32 v30, 7, v30
; %bb.992:                              ;   in Loop: Header=BB395_11 Depth=1
	s_or_b32 exec_lo, exec_lo, s24
	v_mov_b32_e32 v18, 24
	v_lshlrev_b32_e32 v30, 20, v30
	v_lshl_add_u32 v31, v31, 23, 0x3c000000
	v_lshlrev_b32_sdwa v18, v18, v28 dst_sel:DWORD dst_unused:UNUSED_PAD src0_sel:DWORD src1_sel:WORD_1
	v_and_b32_e32 v18, 0x80000000, v18
	v_or3_b32 v33, v30, v18, v31
.LBB395_993:                            ;   in Loop: Header=BB395_11 Depth=1
	s_or_b32 exec_lo, exec_lo, s23
.LBB395_994:                            ;   in Loop: Header=BB395_11 Depth=1
	s_or_b32 exec_lo, exec_lo, s22
.LBB395_995:                            ;   in Loop: Header=BB395_11 Depth=1
	s_or_b32 exec_lo, exec_lo, s6
	v_mov_b32_e32 v40, 0
	v_mov_b32_e32 v41, 0
	s_mov_b32 s6, exec_lo
	v_cmpx_lt_u32_e32 0xffffff, v28
	s_cbranch_execz .LBB395_1003
; %bb.996:                              ;   in Loop: Header=BB395_11 Depth=1
	v_mov_b32_e32 v18, 0x80
	v_bfrev_b32_e32 v41, 1
	v_cmp_ne_u32_sdwa s5, v28, v18 src0_sel:BYTE_3 src1_sel:DWORD
	s_and_saveexec_b32 s22, s5
	s_cbranch_execz .LBB395_1002
; %bb.997:                              ;   in Loop: Header=BB395_11 Depth=1
	v_bfe_u32 v87, v28, 24, 7
	v_mov_b32_e32 v41, 0x7f800001
	s_mov_b32 s23, exec_lo
	v_cmpx_ne_u32_e32 0x7f, v87
	s_cbranch_execz .LBB395_1001
; %bb.998:                              ;   in Loop: Header=BB395_11 Depth=1
	v_mov_b32_e32 v18, 7
	s_mov_b32 s24, exec_lo
	v_and_b32_sdwa v18, v28, v18 dst_sel:DWORD dst_unused:UNUSED_PAD src0_sel:BYTE_3 src1_sel:DWORD
	v_mov_b32_e32 v31, v19
	v_lshrrev_b32_e32 v31, 3, v87
	v_mov_b32_e32 v30, v18
	v_cmpx_gt_u32_e32 8, v87
; %bb.999:                              ;   in Loop: Header=BB395_11 Depth=1
	v_ffbh_u32_e32 v30, v18
	v_min_u32_e32 v87, 32, v30
	v_subrev_nc_u32_e32 v30, 28, v87
	v_lshlrev_b64 v[30:31], v30, v[18:19]
	v_sub_nc_u32_e32 v31, 29, v87
	v_and_b32_e32 v30, 7, v30
; %bb.1000:                             ;   in Loop: Header=BB395_11 Depth=1
	s_or_b32 exec_lo, exec_lo, s24
	v_mov_b32_e32 v18, 24
	v_lshlrev_b32_e32 v30, 20, v30
	v_lshl_add_u32 v31, v31, 23, 0x3c000000
	v_lshlrev_b32_sdwa v18, v18, v28 dst_sel:DWORD dst_unused:UNUSED_PAD src0_sel:DWORD src1_sel:BYTE_3
	v_and_b32_e32 v18, 0x80000000, v18
	v_or3_b32 v41, v30, v18, v31
.LBB395_1001:                           ;   in Loop: Header=BB395_11 Depth=1
	s_or_b32 exec_lo, exec_lo, s23
.LBB395_1002:                           ;   in Loop: Header=BB395_11 Depth=1
	s_or_b32 exec_lo, exec_lo, s22
.LBB395_1003:                           ;   in Loop: Header=BB395_11 Depth=1
	s_or_b32 exec_lo, exec_lo, s6
	v_mov_b32_e32 v18, v29
	v_cmp_ne_u16_sdwa s5, v29, v19 src0_sel:BYTE_0 src1_sel:DWORD
	s_and_saveexec_b32 s6, s5
	s_cbranch_execz .LBB395_1011
; %bb.1004:                             ;   in Loop: Header=BB395_11 Depth=1
	v_mov_b32_e32 v30, 0x80
	v_bfrev_b32_e32 v40, 1
	v_cmp_ne_u16_sdwa s5, v29, v30 src0_sel:BYTE_0 src1_sel:DWORD
	s_and_saveexec_b32 s22, s5
	s_cbranch_execz .LBB395_1010
; %bb.1005:                             ;   in Loop: Header=BB395_11 Depth=1
	v_and_b32_e32 v87, 0x7f, v29
	v_mov_b32_e32 v40, 0x7f800001
	s_mov_b32 s23, exec_lo
	v_cmpx_ne_u32_e32 0x7f, v87
	s_cbranch_execz .LBB395_1009
; %bb.1006:                             ;   in Loop: Header=BB395_11 Depth=1
	v_mov_b32_e32 v31, v19
	v_mov_b32_e32 v30, v18
	v_lshrrev_b32_e32 v31, 3, v87
	s_mov_b32 s24, exec_lo
	v_cmpx_gt_u32_e32 8, v87
; %bb.1007:                             ;   in Loop: Header=BB395_11 Depth=1
	v_and_b32_e32 v30, 7, v29
	v_ffbh_u32_e32 v30, v30
	v_min_u32_e32 v87, 32, v30
	v_subrev_nc_u32_e32 v30, 28, v87
	v_lshlrev_b64 v[30:31], v30, v[18:19]
	v_sub_nc_u32_e32 v31, 29, v87
; %bb.1008:                             ;   in Loop: Header=BB395_11 Depth=1
	s_or_b32 exec_lo, exec_lo, s24
	v_lshlrev_b32_e32 v30, 20, v30
	v_lshlrev_b32_e32 v87, 24, v18
	v_lshl_add_u32 v31, v31, 23, 0x3c000000
	v_and_b32_e32 v30, 0x700000, v30
	v_and_b32_e32 v87, 0x80000000, v87
	v_or3_b32 v40, v30, v87, v31
.LBB395_1009:                           ;   in Loop: Header=BB395_11 Depth=1
	s_or_b32 exec_lo, exec_lo, s23
.LBB395_1010:                           ;   in Loop: Header=BB395_11 Depth=1
	s_or_b32 exec_lo, exec_lo, s22
.LBB395_1011:                           ;   in Loop: Header=BB395_11 Depth=1
	s_or_b32 exec_lo, exec_lo, s6
	v_cmp_ne_u16_sdwa s5, v18, v19 src0_sel:BYTE_1 src1_sel:DWORD
	v_mov_b32_e32 v44, 0
	v_mov_b32_e32 v45, 0
	s_and_saveexec_b32 s6, s5
	s_cbranch_execz .LBB395_1019
; %bb.1012:                             ;   in Loop: Header=BB395_11 Depth=1
	v_mov_b32_e32 v30, 0x80
	v_bfrev_b32_e32 v45, 1
	v_cmp_ne_u16_sdwa s5, v18, v30 src0_sel:BYTE_1 src1_sel:DWORD
	s_and_saveexec_b32 s22, s5
	s_cbranch_execz .LBB395_1018
; %bb.1013:                             ;   in Loop: Header=BB395_11 Depth=1
	v_mov_b32_e32 v30, 0xffff
	v_mov_b32_e32 v45, 0x7f800001
	s_mov_b32 s23, exec_lo
	v_and_b32_sdwa v30, v30, v18 dst_sel:DWORD dst_unused:UNUSED_PAD src0_sel:DWORD src1_sel:BYTE_1
	v_and_b32_e32 v97, 0x7f, v30
	v_cmpx_ne_u32_e32 0x7f, v97
	s_cbranch_execz .LBB395_1017
; %bb.1014:                             ;   in Loop: Header=BB395_11 Depth=1
	v_and_b32_e32 v30, 7, v30
	v_mov_b32_e32 v31, v19
	v_lshrrev_b32_e32 v87, 3, v97
	s_mov_b32 s24, exec_lo
	v_cmpx_gt_u32_e32 8, v97
; %bb.1015:                             ;   in Loop: Header=BB395_11 Depth=1
	v_ffbh_u32_e32 v87, v30
	v_min_u32_e32 v87, 32, v87
	v_subrev_nc_u32_e32 v97, 28, v87
	v_sub_nc_u32_e32 v87, 29, v87
	v_lshlrev_b64 v[30:31], v97, v[30:31]
	v_and_b32_e32 v30, 7, v30
; %bb.1016:                             ;   in Loop: Header=BB395_11 Depth=1
	s_or_b32 exec_lo, exec_lo, s24
	v_lshlrev_b32_e32 v18, 16, v18
	v_lshlrev_b32_e32 v30, 20, v30
	v_lshl_add_u32 v31, v87, 23, 0x3c000000
	v_and_b32_e32 v18, 0x80000000, v18
	v_or3_b32 v45, v30, v18, v31
.LBB395_1017:                           ;   in Loop: Header=BB395_11 Depth=1
	s_or_b32 exec_lo, exec_lo, s23
.LBB395_1018:                           ;   in Loop: Header=BB395_11 Depth=1
	s_or_b32 exec_lo, exec_lo, s22
.LBB395_1019:                           ;   in Loop: Header=BB395_11 Depth=1
	s_or_b32 exec_lo, exec_lo, s6
	v_mov_b32_e32 v18, 0xff
	s_mov_b32 s6, exec_lo
	v_and_b32_sdwa v18, v29, v18 dst_sel:DWORD dst_unused:UNUSED_PAD src0_sel:WORD_1 src1_sel:DWORD
	v_cmpx_ne_u16_e32 0, v18
	s_cbranch_execz .LBB395_1027
; %bb.1020:                             ;   in Loop: Header=BB395_11 Depth=1
	v_bfrev_b32_e32 v44, 1
	s_mov_b32 s22, exec_lo
	v_cmpx_ne_u16_e32 0x80, v18
	s_cbranch_execz .LBB395_1026
; %bb.1021:                             ;   in Loop: Header=BB395_11 Depth=1
	v_bfe_u32 v87, v29, 16, 7
	v_mov_b32_e32 v44, 0x7f800001
	s_mov_b32 s23, exec_lo
	v_cmpx_ne_u32_e32 0x7f, v87
	s_cbranch_execz .LBB395_1025
; %bb.1022:                             ;   in Loop: Header=BB395_11 Depth=1
	v_mov_b32_e32 v18, 7
	s_mov_b32 s24, exec_lo
	v_and_b32_sdwa v18, v29, v18 dst_sel:DWORD dst_unused:UNUSED_PAD src0_sel:WORD_1 src1_sel:DWORD
	v_mov_b32_e32 v31, v19
	v_lshrrev_b32_e32 v31, 3, v87
	v_mov_b32_e32 v30, v18
	v_cmpx_gt_u32_e32 8, v87
; %bb.1023:                             ;   in Loop: Header=BB395_11 Depth=1
	v_ffbh_u32_e32 v30, v18
	v_min_u32_e32 v87, 32, v30
	v_subrev_nc_u32_e32 v30, 28, v87
	v_lshlrev_b64 v[30:31], v30, v[18:19]
	v_sub_nc_u32_e32 v31, 29, v87
	v_and_b32_e32 v30, 7, v30
; %bb.1024:                             ;   in Loop: Header=BB395_11 Depth=1
	s_or_b32 exec_lo, exec_lo, s24
	v_mov_b32_e32 v18, 24
	v_lshlrev_b32_e32 v30, 20, v30
	v_lshl_add_u32 v31, v31, 23, 0x3c000000
	v_lshlrev_b32_sdwa v18, v18, v29 dst_sel:DWORD dst_unused:UNUSED_PAD src0_sel:DWORD src1_sel:WORD_1
	v_and_b32_e32 v18, 0x80000000, v18
	v_or3_b32 v44, v30, v18, v31
.LBB395_1025:                           ;   in Loop: Header=BB395_11 Depth=1
	s_or_b32 exec_lo, exec_lo, s23
.LBB395_1026:                           ;   in Loop: Header=BB395_11 Depth=1
	s_or_b32 exec_lo, exec_lo, s22
.LBB395_1027:                           ;   in Loop: Header=BB395_11 Depth=1
	s_or_b32 exec_lo, exec_lo, s6
	v_mov_b32_e32 v46, 0
	buffer_store_dword v32, off, s[0:3], s32 offset:272 ; 4-byte Folded Spill
	v_cmp_lt_u64_e64 s5, s[8:9], v[28:29]
	s_mov_b32 s6, exec_lo
	v_mov_b32_e32 v118, v98
	v_mov_b32_e32 v36, v99
	;; [unrolled: 1-line block ×3, first 2 shown]
	s_and_b32 s5, s6, s5
	s_mov_b32 exec_lo, s5
	s_cbranch_execz .LBB395_10
; %bb.1028:                             ;   in Loop: Header=BB395_11 Depth=1
	v_mov_b32_e32 v18, 0x80
	v_bfrev_b32_e32 v46, 1
	v_cmp_ne_u32_sdwa s5, v29, v18 src0_sel:BYTE_3 src1_sel:DWORD
	s_and_saveexec_b32 s22, s5
	s_cbranch_execz .LBB395_9
; %bb.1029:                             ;   in Loop: Header=BB395_11 Depth=1
	v_bfe_u32 v87, v29, 24, 7
	v_mov_b32_e32 v46, 0x7f800001
	s_mov_b32 s23, exec_lo
	v_cmpx_ne_u32_e32 0x7f, v87
	s_cbranch_execz .LBB395_8
; %bb.1030:                             ;   in Loop: Header=BB395_11 Depth=1
	v_mov_b32_e32 v18, 7
	v_lshrrev_b32_e32 v28, 3, v87
	s_mov_b32 s24, exec_lo
	v_and_b32_sdwa v18, v29, v18 dst_sel:DWORD dst_unused:UNUSED_PAD src0_sel:BYTE_3 src1_sel:DWORD
	v_mov_b32_e32 v31, v19
	v_mov_b32_e32 v30, v18
	v_cmpx_gt_u32_e32 8, v87
	s_cbranch_execz .LBB395_7
; %bb.1031:                             ;   in Loop: Header=BB395_11 Depth=1
	v_ffbh_u32_e32 v28, v18
	v_min_u32_e32 v28, 32, v28
	v_subrev_nc_u32_e32 v30, 28, v28
	v_sub_nc_u32_e32 v28, 29, v28
	v_lshlrev_b64 v[30:31], v30, v[18:19]
	v_and_b32_e32 v30, 7, v30
	s_branch .LBB395_7
.LBB395_1032:
	s_or_b32 exec_lo, exec_lo, s17
	s_clause 0x11
	buffer_load_dword v12, off, s[0:3], s32 offset:856
	buffer_load_dword v15, off, s[0:3], s32 offset:876
	;; [unrolled: 1-line block ×18, first 2 shown]
.LBB395_1033:
	s_or_b32 exec_lo, exec_lo, s21
	v_mbcnt_lo_u32_b32 v0, -1, 0
	v_max_f32_e32 v4, v7, v7
	s_lshr_b32 s8, s13, 16
	v_xor_b32_e32 v1, 16, v0
	v_xor_b32_e32 v3, 8, v0
	;; [unrolled: 1-line block ×3, first 2 shown]
	v_cmp_gt_i32_e32 vcc_lo, 32, v1
	v_cndmask_b32_e32 v1, v0, v1, vcc_lo
	v_cmp_gt_i32_e32 vcc_lo, 32, v3
	v_lshlrev_b32_e32 v2, 2, v1
	v_cndmask_b32_e32 v3, v0, v3, vcc_lo
	v_cmp_gt_i32_e32 vcc_lo, 32, v5
	ds_bpermute_b32 v1, v2, v7
	v_lshlrev_b32_e32 v3, 2, v3
	v_cndmask_b32_e32 v5, v0, v5, vcc_lo
	s_waitcnt lgkmcnt(0)
	v_max_f32_e32 v1, v1, v1
	v_max_f32_e32 v1, v4, v1
	ds_bpermute_b32 v4, v3, v1
	s_waitcnt lgkmcnt(0)
	v_max_f32_e32 v6, v4, v4
	v_lshlrev_b32_e32 v4, 2, v5
	v_max_f32_e32 v1, v1, v6
	v_xor_b32_e32 v6, 2, v0
	ds_bpermute_b32 v5, v4, v1
	v_cmp_gt_i32_e32 vcc_lo, 32, v6
	v_cndmask_b32_e32 v6, v0, v6, vcc_lo
	v_lshlrev_b32_e32 v17, 2, v6
	v_xor_b32_e32 v6, 1, v0
	v_cmp_gt_i32_e32 vcc_lo, 32, v6
	s_waitcnt lgkmcnt(0)
	v_max_f32_e32 v5, v5, v5
	v_cndmask_b32_e32 v6, v0, v6, vcc_lo
	v_max_f32_e32 v1, v1, v5
	v_lshlrev_b32_e32 v18, 2, v6
	ds_bpermute_b32 v5, v17, v1
	s_waitcnt lgkmcnt(0)
	v_max_f32_e32 v5, v5, v5
	v_max_f32_e32 v0, v1, v5
	buffer_load_dword v5, off, s[0:3], s32 offset:860 ; 4-byte Folded Reload
	ds_bpermute_b32 v1, v18, v0
	s_waitcnt vmcnt(0)
	v_cmp_eq_u32_e32 vcc_lo, 0, v5
	buffer_load_dword v5, off, s[0:3], s32 offset:864 ; 4-byte Folded Reload
	s_waitcnt vmcnt(0)
	v_lshlrev_b32_e32 v5, 2, v5
	s_and_saveexec_b32 s5, vcc_lo
	s_cbranch_execz .LBB395_1035
; %bb.1034:
	s_waitcnt lgkmcnt(0)
	v_max_f32_e32 v1, v1, v1
	v_max_f32_e32 v0, v0, v0
	;; [unrolled: 1-line block ×3, first 2 shown]
	ds_write_b32 v5, v0 offset:256
.LBB395_1035:
	s_or_b32 exec_lo, exec_lo, s5
	buffer_load_dword v0, off, s[0:3], s32 offset:860 ; 4-byte Folded Reload
	s_waitcnt vmcnt(0) lgkmcnt(0)
	s_waitcnt_vscnt null, 0x0
	s_barrier
	buffer_gl0_inv
	v_cmp_gt_u32_e64 s5, 4, v0
	v_mov_b32_e32 v0, 0xff7fffff
	s_and_saveexec_b32 s6, s5
; %bb.1036:
	ds_read_b32 v0, v29 offset:256
; %bb.1037:
	s_or_b32 exec_lo, exec_lo, s6
	buffer_load_dword v6, off, s[0:3], s32 offset:396 ; 4-byte Folded Reload
	s_waitcnt lgkmcnt(0)
	ds_bpermute_b32 v1, v17, v0
	v_max_f32_e32 v0, v0, v0
	s_waitcnt lgkmcnt(0)
	v_max_f32_e32 v1, v1, v1
	v_max_f32_e32 v0, v0, v1
	ds_bpermute_b32 v1, v18, v0
	s_waitcnt lgkmcnt(0)
	v_max_f32_e32 v1, v1, v1
	v_max_f32_e32 v0, v0, v1
	s_waitcnt vmcnt(0)
	v_subrev_nc_u32_e32 v7, s7, v6
	v_mov_b32_e32 v6, 0
	v_lshl_add_u32 v1, v7, 5, s20
	ds_bpermute_b32 v0, v6, v0
	v_min_i32_e32 v1, v1, v36
	v_subrev_nc_u32_e32 v1, s20, v1
	v_cmp_lt_i32_e64 s6, v12, v1
	s_and_saveexec_b32 s9, s6
	s_cbranch_execz .LBB395_1041
; %bb.1038:
	s_getpc_b64 s[22:23]
	s_add_u32 s22, s22, llvm.amdgcn.dynlds.offset.table@rel32@lo+4
	s_addc_u32 s23, s23, llvm.amdgcn.dynlds.offset.table@rel32@hi+12
	s_ashr_i32 s17, s16, 31
	v_mov_b32_e32 v6, 0
	s_lshl_b64 s[24:25], s[16:17], 2
	v_mov_b32_e32 v8, v12
	s_add_u32 s22, s22, s24
	s_addc_u32 s23, s23, s25
	s_mov_b32 s13, 0
	s_load_dword s7, s[22:23], 0x0
	s_waitcnt lgkmcnt(0)
	v_lshl_add_u32 v7, v12, 2, s7
	.p2align	6
.LBB395_1039:                           ; =>This Inner Loop Header: Depth=1
	ds_read_b32 v9, v7
	v_add_nc_u32_e32 v8, 0x80, v8
	v_cmp_ge_i32_e64 s7, v8, v1
	s_or_b32 s13, s7, s13
	s_waitcnt lgkmcnt(0)
	v_sub_f32_e32 v9, v9, v0
	v_mul_f32_e32 v9, 0x3fb8aa3b, v9
	v_exp_f32_e32 v9, v9
	ds_write_b32 v7, v9
	v_add_f32_e32 v6, v6, v9
	v_add_nc_u32_e32 v7, 0x200, v7
	s_andn2_b32 exec_lo, exec_lo, s13
	s_cbranch_execnz .LBB395_1039
; %bb.1040:
	s_or_b32 exec_lo, exec_lo, s13
.LBB395_1041:
	s_or_b32 exec_lo, exec_lo, s9
	ds_bpermute_b32 v2, v2, v6
	s_waitcnt lgkmcnt(0)
	v_add_f32_e32 v2, v6, v2
	ds_bpermute_b32 v3, v3, v2
	s_waitcnt lgkmcnt(0)
	v_add_f32_e32 v2, v2, v3
	;; [unrolled: 3-line block ×5, first 2 shown]
	s_and_saveexec_b32 s7, vcc_lo
; %bb.1042:
	ds_write_b32 v5, v2 offset:272
; %bb.1043:
	s_or_b32 exec_lo, exec_lo, s7
	s_waitcnt lgkmcnt(0)
	s_barrier
	buffer_gl0_inv
	s_and_saveexec_b32 s7, s5
; %bb.1044:
	ds_read_b32 v2, v29 offset:272
; %bb.1045:
	s_or_b32 exec_lo, exec_lo, s7
	s_waitcnt lgkmcnt(0)
	ds_bpermute_b32 v3, v17, v2
	s_waitcnt lgkmcnt(0)
	v_add_f32_e32 v2, v2, v3
	ds_bpermute_b32 v3, v18, v2
	s_waitcnt lgkmcnt(0)
	v_add_f32_e32 v2, v2, v3
	v_mov_b32_e32 v3, 0
	ds_bpermute_b32 v2, v3, v2
	s_and_saveexec_b32 s5, s6
	s_cbranch_execz .LBB395_1048
; %bb.1046:
	s_waitcnt lgkmcnt(0)
	v_add_f32_e32 v4, 0x358637bd, v2
	s_getpc_b64 s[6:7]
	s_add_u32 s6, s6, llvm.amdgcn.dynlds.offset.table@rel32@lo+4
	s_addc_u32 s7, s7, llvm.amdgcn.dynlds.offset.table@rel32@hi+12
	s_ashr_i32 s17, s16, 31
	s_lshl_b64 s[22:23], s[16:17], 2
	v_div_scale_f32 v3, null, v4, v4, 1.0
	v_div_scale_f32 v7, vcc_lo, 1.0, v4, 1.0
	s_add_u32 s6, s6, s22
	v_rcp_f32_e32 v5, v3
	s_addc_u32 s7, s7, s23
	s_load_dword s6, s[6:7], 0x0
	v_fma_f32 v6, -v3, v5, 1.0
	v_fmac_f32_e32 v5, v6, v5
	v_mul_f32_e32 v6, v7, v5
	v_fma_f32 v8, -v3, v6, v7
	v_fmac_f32_e32 v6, v8, v5
	v_fma_f32 v3, -v3, v6, v7
	v_div_fmas_f32 v5, v3, v5, v6
	s_waitcnt lgkmcnt(0)
	v_lshl_add_u32 v3, v12, 2, s6
	s_mov_b32 s6, 0
	v_div_fixup_f32 v4, v5, v4, 1.0
	v_mov_b32_e32 v5, v12
.LBB395_1047:                           ; =>This Inner Loop Header: Depth=1
	ds_read_b32 v6, v3
	v_add_nc_u32_e32 v5, 0x80, v5
	v_cmp_ge_i32_e32 vcc_lo, v5, v1
	s_or_b32 s6, vcc_lo, s6
	s_waitcnt lgkmcnt(0)
	v_mul_f32_e32 v6, v4, v6
	ds_write_b32 v3, v6
	v_add_nc_u32_e32 v3, 0x200, v3
	s_andn2_b32 exec_lo, exec_lo, s6
	s_cbranch_execnz .LBB395_1047
.LBB395_1048:
	s_or_b32 exec_lo, exec_lo, s5
	s_and_b32 s5, 0xffff, s8
	s_mov_b32 s8, exec_lo
	s_cmp_lg_u32 s5, 0
	s_waitcnt lgkmcnt(0)
	s_cselect_b32 s5, -1, 0
	s_barrier
	s_cmp_lg_u32 s5, 0
	buffer_gl0_inv
	s_addc_u32 s5, s11, 0
	s_mul_i32 s6, s5, s18
	s_mul_i32 s6, s6, s15
	v_cmpx_eq_u32_e32 0, v12
	s_cbranch_execz .LBB395_1050
; %bb.1049:
	s_ashr_i32 s7, s6, 31
	s_mul_i32 s12, s5, s12
	s_lshl_b64 s[22:23], s[6:7], 2
	s_ashr_i32 s13, s12, 31
	v_add_co_u32 v1, vcc_lo, v28, s22
	v_add_co_ci_u32_e64 v3, null, s23, v25, vcc_lo
	s_lshl_b64 s[12:13], s[12:13], 2
	s_ashr_i32 s15, s14, 31
	v_add_co_u32 v1, vcc_lo, v1, s12
	v_add_co_ci_u32_e64 v4, null, s13, v3, vcc_lo
	v_add_co_u32 v3, vcc_lo, v24, s22
	v_add_co_ci_u32_e64 v5, null, s23, v22, vcc_lo
	s_lshl_b64 s[22:23], s[14:15], 2
	v_add_co_u32 v6, vcc_lo, v3, s12
	v_add_co_ci_u32_e64 v7, null, s13, v5, vcc_lo
	v_add_co_u32 v3, vcc_lo, v1, s22
	v_add_co_ci_u32_e64 v4, null, s23, v4, vcc_lo
	;; [unrolled: 2-line block ×3, first 2 shown]
	flat_store_dword v[3:4], v0
	flat_store_dword v[5:6], v2
.LBB395_1050:
	s_or_b32 exec_lo, exec_lo, s8
	s_and_saveexec_b32 s7, s4
	s_xor_b32 s4, exec_lo, s7
	s_cbranch_execz .LBB395_1052
; %bb.1051:
                                        ; implicit-def: $vgpr0
	s_ashr_i32 s17, s16, 31
                                        ; kill: killed $vgpr0
                                        ; implicit-def: $vgpr0
                                        ; implicit-def: $vgpr36
                                        ; implicit-def: $vgpr13
                                        ; implicit-def: $vgpr10
                                        ; implicit-def: $vgpr11
                                        ; implicit-def: $vgpr14
                                        ; implicit-def: $vgpr15
                                        ; implicit-def: $vgpr26_vgpr27
                                        ; implicit-def: $vgpr16
                                        ; implicit-def: $vgpr37
                                        ; implicit-def: $vgpr34_vgpr35
	buffer_store_dword v0, off, s[0:3], s32 offset:192 ; 4-byte Folded Spill
	buffer_store_dword v1, off, s[0:3], s32 offset:196 ; 4-byte Folded Spill
                                        ; implicit-def: $vgpr0
                                        ; kill: killed $vgpr0
.LBB395_1052:
	s_or_saveexec_b32 s7, s4
	v_mov_b32_e32 v0, s16
	v_mov_b32_e32 v54, 0
	;; [unrolled: 1-line block ×3, first 2 shown]
	v_and_b32_e32 v66, 3, v12
	v_mov_b32_e32 v65, 0
	v_mov_b32_e32 v64, 0
	;; [unrolled: 1-line block ×15, first 2 shown]
	s_xor_b32 exec_lo, exec_lo, s7
	s_cbranch_execz .LBB395_2112
; %bb.1053:
	v_lshlrev_b32_e32 v0, 3, v12
	s_getpc_b64 s[8:9]
	s_add_u32 s8, s8, llvm.amdgcn.dynlds.offset.table@rel32@lo+4
	s_addc_u32 s9, s9, llvm.amdgcn.dynlds.offset.table@rel32@hi+12
	s_ashr_i32 s17, s16, 31
	v_add_co_u32 v3, vcc_lo, v10, v16
	v_and_b32_e32 v2, 24, v0
	v_and_b32_e32 v5, 0xf8, v0
	v_add_nc_u32_e32 v0, -1, v13
	s_lshl_b64 s[12:13], s[16:17], 2
	v_add_co_ci_u32_e64 v4, null, v11, v37, vcc_lo
	s_add_u32 s8, s8, s12
	s_addc_u32 s9, s9, s13
	buffer_store_dword v17, off, s[0:3], s32 offset:416 ; 4-byte Folded Spill
	buffer_store_dword v18, off, s[0:3], s32 offset:412 ; 4-byte Folded Spill
	;; [unrolled: 1-line block ×3, first 2 shown]
	flat_load_dword v26, v[26:27]
	s_load_dword s4, s[8:9], 0x0
	s_clause 0x1
	buffer_load_dword v0, off, s[0:3], s32 offset:192
	buffer_load_dword v1, off, s[0:3], s32 offset:196
	v_add_co_u32 v3, vcc_lo, v3, v5
	v_add_co_ci_u32_e64 v4, null, 0, v4, vcc_lo
	buffer_store_dword v3, off, s[0:3], s32 offset:404 ; 4-byte Folded Spill
	buffer_store_dword v4, off, s[0:3], s32 offset:408 ; 4-byte Folded Spill
	;; [unrolled: 1-line block ×3, first 2 shown]
	buffer_load_dword v5, off, s[0:3], s32 offset:864 ; 4-byte Folded Reload
	v_lshlrev_b32_e32 v3, 5, v66
	v_mov_b32_e32 v11, 0
	v_mov_b32_e32 v68, 0x80
	;; [unrolled: 1-line block ×19, first 2 shown]
	s_mov_b32 s8, -1
	s_mov_b32 s9, 0xffffff
	s_mov_b32 s11, 0
	s_waitcnt vmcnt(1)
	v_lshlrev_b64 v[0:1], 2, v[0:1]
	v_add_co_u32 v0, vcc_lo, v34, v0
	v_add_co_ci_u32_e64 v1, null, v35, v1, vcc_lo
	s_waitcnt vmcnt(0)
	v_lshl_add_u32 v4, v5, 5, s20
	v_lshl_or_b32 v3, v5, 7, v3
	v_add_co_u32 v14, vcc_lo, v14, v0
	v_add_co_ci_u32_e64 v15, null, v15, v1, vcc_lo
	v_add3_u32 v66, v4, v2, 7
	s_waitcnt lgkmcnt(0)
	v_add_nc_u32_e32 v67, s4, v3
	s_branch .LBB395_1055
.LBB395_1054:                           ;   in Loop: Header=BB395_1055 Depth=1
	s_or_b32 exec_lo, exec_lo, s4
	v_bfe_u32 v5, v6, 16, 1
	v_or_b32_e32 v34, 0x400000, v6
	v_cmp_u_f32_e32 vcc_lo, v6, v6
	v_lshlrev_b32_e32 v42, 16, v42
	v_lshlrev_b32_e32 v43, 16, v43
	v_add3_u32 v5, v5, v6, 0x7fff
	v_bfe_u32 v6, v7, 16, 1
	v_lshlrev_b32_e32 v69, 16, v69
	v_lshlrev_b32_e32 v13, 16, v13
	;; [unrolled: 1-line block ×3, first 2 shown]
	v_cndmask_b32_e32 v5, v5, v34, vcc_lo
	v_add3_u32 v6, v6, v7, 0x7fff
	v_or_b32_e32 v34, 0x400000, v7
	v_cmp_u_f32_e32 vcc_lo, v7, v7
	v_bfe_u32 v7, v8, 16, 1
	v_lshlrev_b32_e32 v4, 16, v4
	v_lshlrev_b32_e32 v12, 16, v12
	;; [unrolled: 1-line block ×3, first 2 shown]
	v_cndmask_b32_e32 v6, v6, v34, vcc_lo
	v_add3_u32 v7, v7, v8, 0x7fff
	v_or_b32_e32 v34, 0x400000, v8
	v_cmp_u_f32_e32 vcc_lo, v8, v8
	v_bfe_u32 v8, v9, 16, 1
	v_add_nc_u32_e32 v66, 0x80, v66
	v_add_nc_u32_e32 v67, 0x200, v67
	v_cndmask_b32_e32 v7, v7, v34, vcc_lo
	v_add3_u32 v8, v8, v9, 0x7fff
	v_or_b32_e32 v34, 0x400000, v9
	v_cmp_u_f32_e32 vcc_lo, v9, v9
	v_or_b32_e32 v9, 0x400000, v0
	v_and_b32_e32 v7, 0xffff0000, v7
	v_cndmask_b32_e32 v34, v8, v34, vcc_lo
	v_bfe_u32 v8, v0, 16, 1
	v_cmp_u_f32_e32 vcc_lo, v0, v0
	v_mul_f32_e32 v21, v7, v21
	v_add3_u32 v8, v8, v0, 0x7fff
	v_cndmask_b32_e32 v0, v8, v9, vcc_lo
	v_bfe_u32 v8, v1, 16, 1
	v_or_b32_e32 v9, 0x400000, v1
	v_cmp_u_f32_e32 vcc_lo, v1, v1
	v_add3_u32 v8, v8, v1, 0x7fff
	v_cndmask_b32_e32 v1, v8, v9, vcc_lo
	v_bfe_u32 v8, v2, 16, 1
	v_or_b32_e32 v9, 0x400000, v2
	v_cmp_u_f32_e32 vcc_lo, v2, v2
	v_and_b32_e32 v1, 0xffff0000, v1
	v_add3_u32 v8, v8, v2, 0x7fff
	v_mul_f32_e32 v42, v1, v42
	v_cndmask_b32_e32 v2, v8, v9, vcc_lo
	v_bfe_u32 v8, v3, 16, 1
	v_or_b32_e32 v9, 0x400000, v3
	v_cmp_u_f32_e32 vcc_lo, v3, v3
	v_mul_f32_e32 v4, v1, v4
	v_and_b32_e32 v2, 0xffff0000, v2
	v_add3_u32 v8, v8, v3, 0x7fff
	v_lshlrev_b32_e32 v3, 16, v77
	v_mul_f32_e32 v69, v2, v69
	v_cndmask_b32_e32 v35, v8, v9, vcc_lo
	v_and_b32_e32 v8, 0xffff0000, v6
	v_mul_f32_e32 v25, v2, v25
	v_mul_f32_e32 v3, v8, v3
	v_bfe_u32 v6, v3, 16, 1
	v_or_b32_e32 v9, 0x400000, v3
	v_cmp_u_f32_e32 vcc_lo, v3, v3
	v_add3_u32 v6, v6, v3, 0x7fff
	v_lshlrev_b32_e32 v3, 16, v78
	v_cndmask_b32_e32 v57, v6, v9, vcc_lo
	v_and_b32_e32 v9, 0xffff0000, v5
	v_and_b32_e32 v57, 0xffff0000, v57
	v_mul_f32_e32 v3, v9, v3
	v_bfe_u32 v5, v3, 16, 1
	v_or_b32_e32 v6, 0x400000, v3
	v_cmp_u_f32_e32 vcc_lo, v3, v3
	v_add3_u32 v5, v5, v3, 0x7fff
	v_and_b32_e32 v3, 0xffff0000, v34
	v_cndmask_b32_e32 v5, v5, v6, vcc_lo
	v_lshlrev_b32_e32 v6, 16, v74
	v_mul_f32_e32 v13, v3, v13
	v_and_b32_e32 v5, 0xffff0000, v5
	v_mul_f32_e32 v6, v3, v6
	v_add_f32_e32 v5, v5, v57
	v_bfe_u32 v34, v6, 16, 1
	v_or_b32_e32 v58, 0x400000, v6
	v_cmp_u_f32_e32 vcc_lo, v6, v6
	v_add3_u32 v34, v34, v6, 0x7fff
	v_lshlrev_b32_e32 v6, 16, v75
	v_cndmask_b32_e32 v34, v34, v58, vcc_lo
	v_mul_f32_e32 v6, v7, v6
	v_and_b32_e32 v34, 0xffff0000, v34
	v_bfe_u32 v58, v6, 16, 1
	v_or_b32_e32 v59, 0x400000, v6
	v_cmp_u_f32_e32 vcc_lo, v6, v6
	v_add3_u32 v58, v58, v6, 0x7fff
	v_lshlrev_b32_e32 v6, 16, v16
	v_cndmask_b32_e32 v58, v58, v59, vcc_lo
	v_mul_f32_e32 v6, v1, v6
	v_and_b32_e32 v57, 0xffff0000, v58
	v_bfe_u32 v16, v6, 16, 1
	v_or_b32_e32 v59, 0x400000, v6
	v_cmp_u_f32_e32 vcc_lo, v6, v6
	v_add_f32_e32 v34, v57, v34
	v_add3_u32 v16, v16, v6, 0x7fff
	v_and_b32_e32 v6, 0xffff0000, v0
	v_lshlrev_b32_e32 v0, 16, v73
	v_add_f32_e32 v5, v5, v34
	v_cndmask_b32_e32 v16, v16, v59, vcc_lo
	v_mul_f32_e32 v43, v6, v43
	v_mul_f32_e32 v0, v6, v0
	v_mul_f32_e32 v12, v6, v12
	v_and_b32_e32 v16, 0xffff0000, v16
	v_bfe_u32 v59, v0, 16, 1
	v_or_b32_e32 v60, 0x400000, v0
	v_cmp_u_f32_e32 vcc_lo, v0, v0
	v_add3_u32 v59, v59, v0, 0x7fff
	v_and_b32_e32 v0, 0xffff0000, v35
	v_lshlrev_b32_e32 v35, 16, v79
	v_cndmask_b32_e32 v59, v59, v60, vcc_lo
	v_mul_f32_e32 v35, v0, v35
	v_and_b32_e32 v34, 0xffff0000, v59
	v_bfe_u32 v60, v35, 16, 1
	v_or_b32_e32 v61, 0x400000, v35
	v_cmp_u_f32_e32 vcc_lo, v35, v35
	v_add_f32_e32 v16, v34, v16
	v_add3_u32 v60, v60, v35, 0x7fff
	v_add_f32_e32 v5, v5, v16
	v_cndmask_b32_e32 v35, v60, v61, vcc_lo
	v_lshlrev_b32_e32 v60, 16, v76
	v_and_b32_e32 v34, 0xffff0000, v35
	v_mul_f32_e32 v60, v2, v60
	v_bfe_u32 v61, v60, 16, 1
	v_or_b32_e32 v62, 0x400000, v60
	v_cmp_u_f32_e32 vcc_lo, v60, v60
	v_add3_u32 v61, v61, v60, 0x7fff
	v_cndmask_b32_e32 v60, v61, v62, vcc_lo
	v_and_b32_e32 v16, 0xffff0000, v60
	v_add_f32_e32 v16, v16, v34
	v_add_f32_e32 v5, v5, v16
	;; [unrolled: 1-line block ×3, first 2 shown]
	v_lshlrev_b32_e32 v5, 16, v47
	v_mul_f32_e32 v5, v8, v5
	v_bfe_u32 v16, v5, 16, 1
	v_or_b32_e32 v34, 0x400000, v5
	v_cmp_u_f32_e32 vcc_lo, v5, v5
	v_add3_u32 v16, v16, v5, 0x7fff
	v_cndmask_b32_e32 v5, v16, v34, vcc_lo
	v_lshlrev_b32_e32 v16, 16, v56
	v_and_b32_e32 v5, 0xffff0000, v5
	v_mul_f32_e32 v16, v9, v16
	v_bfe_u32 v34, v16, 16, 1
	v_or_b32_e32 v35, 0x400000, v16
	v_cmp_u_f32_e32 vcc_lo, v16, v16
	v_add3_u32 v34, v34, v16, 0x7fff
	v_cndmask_b32_e32 v16, v34, v35, vcc_lo
	v_lshlrev_b32_e32 v34, 16, v44
	v_and_b32_e32 v16, 0xffff0000, v16
	v_mul_f32_e32 v34, v3, v34
	v_add_f32_e32 v5, v16, v5
	v_bfe_u32 v35, v34, 16, 1
	v_or_b32_e32 v44, 0x400000, v34
	v_cmp_u_f32_e32 vcc_lo, v34, v34
	v_add3_u32 v35, v35, v34, 0x7fff
	v_cndmask_b32_e32 v34, v35, v44, vcc_lo
	v_lshlrev_b32_e32 v35, 16, v45
	v_and_b32_e32 v34, 0xffff0000, v34
	v_mul_f32_e32 v35, v7, v35
	v_bfe_u32 v44, v35, 16, 1
	v_or_b32_e32 v45, 0x400000, v35
	v_cmp_u_f32_e32 vcc_lo, v35, v35
	v_add3_u32 v44, v44, v35, 0x7fff
	v_cndmask_b32_e32 v35, v44, v45, vcc_lo
	v_bfe_u32 v44, v42, 16, 1
	v_or_b32_e32 v45, 0x400000, v42
	v_cmp_u_f32_e32 vcc_lo, v42, v42
	v_and_b32_e32 v16, 0xffff0000, v35
	v_add3_u32 v44, v44, v42, 0x7fff
	v_add_f32_e32 v16, v16, v34
	v_cndmask_b32_e32 v42, v44, v45, vcc_lo
	v_bfe_u32 v44, v43, 16, 1
	v_or_b32_e32 v45, 0x400000, v43
	v_cmp_u_f32_e32 vcc_lo, v43, v43
	v_add_f32_e32 v5, v5, v16
	v_and_b32_e32 v34, 0xffff0000, v42
	v_add3_u32 v44, v44, v43, 0x7fff
	v_cndmask_b32_e32 v43, v44, v45, vcc_lo
	v_lshlrev_b32_e32 v44, 16, v72
	v_and_b32_e32 v16, 0xffff0000, v43
	v_mul_f32_e32 v44, v0, v44
	v_add_f32_e32 v16, v16, v34
	v_bfe_u32 v45, v44, 16, 1
	v_or_b32_e32 v47, 0x400000, v44
	v_cmp_u_f32_e32 vcc_lo, v44, v44
	v_add_f32_e32 v5, v5, v16
	v_add3_u32 v45, v45, v44, 0x7fff
	v_cndmask_b32_e32 v44, v45, v47, vcc_lo
	v_lshlrev_b32_e32 v45, 16, v46
	v_and_b32_e32 v34, 0xffff0000, v44
	v_mul_f32_e32 v45, v2, v45
	v_bfe_u32 v46, v45, 16, 1
	v_or_b32_e32 v47, 0x400000, v45
	v_cmp_u_f32_e32 vcc_lo, v45, v45
	v_add3_u32 v46, v46, v45, 0x7fff
	v_cndmask_b32_e32 v45, v46, v47, vcc_lo
	v_and_b32_e32 v16, 0xffff0000, v45
	v_add_f32_e32 v16, v16, v34
	v_add_f32_e32 v5, v5, v16
	;; [unrolled: 1-line block ×3, first 2 shown]
	v_lshlrev_b32_e32 v5, 16, v71
	v_mul_f32_e32 v5, v8, v5
	v_bfe_u32 v16, v5, 16, 1
	v_or_b32_e32 v34, 0x400000, v5
	v_cmp_u_f32_e32 vcc_lo, v5, v5
	v_add3_u32 v16, v16, v5, 0x7fff
	v_cndmask_b32_e32 v5, v16, v34, vcc_lo
	v_lshlrev_b32_e32 v16, 16, v80
	v_and_b32_e32 v5, 0xffff0000, v5
	v_mul_f32_e32 v16, v9, v16
	v_bfe_u32 v34, v16, 16, 1
	v_or_b32_e32 v35, 0x400000, v16
	v_cmp_u_f32_e32 vcc_lo, v16, v16
	v_add3_u32 v34, v34, v16, 0x7fff
	v_cndmask_b32_e32 v16, v34, v35, vcc_lo
	v_lshlrev_b32_e32 v34, 16, v119
	v_and_b32_e32 v16, 0xffff0000, v16
	v_mul_f32_e32 v34, v3, v34
	v_add_f32_e32 v5, v16, v5
	v_bfe_u32 v35, v34, 16, 1
	v_or_b32_e32 v71, 0x400000, v34
	v_cmp_u_f32_e32 vcc_lo, v34, v34
	v_add3_u32 v35, v35, v34, 0x7fff
	v_cndmask_b32_e32 v34, v35, v71, vcc_lo
	v_lshlrev_b32_e32 v35, 16, v40
	v_and_b32_e32 v34, 0xffff0000, v34
	v_mul_f32_e32 v35, v7, v35
	v_bfe_u32 v71, v35, 16, 1
	v_or_b32_e32 v80, 0x400000, v35
	v_cmp_u_f32_e32 vcc_lo, v35, v35
	v_add3_u32 v71, v71, v35, 0x7fff
	v_cndmask_b32_e32 v35, v71, v80, vcc_lo
	v_lshlrev_b32_e32 v71, 16, v117
	v_and_b32_e32 v16, 0xffff0000, v35
	v_mul_f32_e32 v71, v1, v71
	v_add_f32_e32 v16, v16, v34
	v_bfe_u32 v80, v71, 16, 1
	v_or_b32_e32 v117, 0x400000, v71
	v_cmp_u_f32_e32 vcc_lo, v71, v71
	v_add_f32_e32 v5, v5, v16
	v_add3_u32 v80, v80, v71, 0x7fff
	v_cndmask_b32_e32 v71, v80, v117, vcc_lo
	v_lshlrev_b32_e32 v80, 16, v118
	v_and_b32_e32 v34, 0xffff0000, v71
	v_mul_f32_e32 v80, v6, v80
	v_bfe_u32 v117, v80, 16, 1
	v_or_b32_e32 v118, 0x400000, v80
	v_cmp_u_f32_e32 vcc_lo, v80, v80
	v_add3_u32 v117, v117, v80, 0x7fff
	v_cndmask_b32_e32 v80, v117, v118, vcc_lo
	v_lshlrev_b32_e32 v117, 16, v41
	v_and_b32_e32 v16, 0xffff0000, v80
	v_mul_f32_e32 v117, v0, v117
	v_add_f32_e32 v16, v16, v34
	v_bfe_u32 v118, v117, 16, 1
	v_or_b32_e32 v119, 0x400000, v117
	v_cmp_u_f32_e32 vcc_lo, v117, v117
	v_add_f32_e32 v5, v5, v16
	v_add3_u32 v118, v118, v117, 0x7fff
	v_cndmask_b32_e32 v117, v118, v119, vcc_lo
	v_bfe_u32 v118, v69, 16, 1
	v_or_b32_e32 v119, 0x400000, v69
	v_cmp_u_f32_e32 vcc_lo, v69, v69
	v_and_b32_e32 v34, 0xffff0000, v117
	v_add3_u32 v118, v118, v69, 0x7fff
	v_cndmask_b32_e32 v69, v118, v119, vcc_lo
	v_and_b32_e32 v16, 0xffff0000, v69
	v_add_f32_e32 v16, v16, v34
	v_add_f32_e32 v5, v5, v16
	;; [unrolled: 1-line block ×3, first 2 shown]
	v_lshlrev_b32_e32 v5, 16, v113
	v_mul_f32_e32 v5, v8, v5
	v_bfe_u32 v16, v5, 16, 1
	v_or_b32_e32 v34, 0x400000, v5
	v_cmp_u_f32_e32 vcc_lo, v5, v5
	v_add3_u32 v16, v16, v5, 0x7fff
	v_cndmask_b32_e32 v5, v16, v34, vcc_lo
	v_lshlrev_b32_e32 v16, 16, v114
	v_and_b32_e32 v5, 0xffff0000, v5
	v_mul_f32_e32 v16, v9, v16
	v_bfe_u32 v34, v16, 16, 1
	v_or_b32_e32 v35, 0x400000, v16
	v_cmp_u_f32_e32 vcc_lo, v16, v16
	v_add3_u32 v34, v34, v16, 0x7fff
	v_cndmask_b32_e32 v16, v34, v35, vcc_lo
	v_lshlrev_b32_e32 v34, 16, v102
	v_and_b32_e32 v16, 0xffff0000, v16
	v_mul_f32_e32 v34, v3, v34
	v_add_f32_e32 v5, v16, v5
	v_bfe_u32 v35, v34, 16, 1
	v_or_b32_e32 v69, 0x400000, v34
	v_cmp_u_f32_e32 vcc_lo, v34, v34
	v_add3_u32 v35, v35, v34, 0x7fff
	v_cndmask_b32_e32 v34, v35, v69, vcc_lo
	v_lshlrev_b32_e32 v35, 16, v103
	v_and_b32_e32 v34, 0xffff0000, v34
	v_mul_f32_e32 v35, v7, v35
	v_bfe_u32 v69, v35, 16, 1
	v_or_b32_e32 v71, 0x400000, v35
	v_cmp_u_f32_e32 vcc_lo, v35, v35
	v_add3_u32 v69, v69, v35, 0x7fff
	v_cndmask_b32_e32 v35, v69, v71, vcc_lo
	v_lshlrev_b32_e32 v69, 16, v100
	v_and_b32_e32 v16, 0xffff0000, v35
	v_mul_f32_e32 v69, v1, v69
	v_add_f32_e32 v16, v16, v34
	v_bfe_u32 v71, v69, 16, 1
	v_or_b32_e32 v80, 0x400000, v69
	v_cmp_u_f32_e32 vcc_lo, v69, v69
	v_add_f32_e32 v5, v5, v16
	v_add3_u32 v71, v71, v69, 0x7fff
	v_cndmask_b32_e32 v69, v71, v80, vcc_lo
	v_lshlrev_b32_e32 v71, 16, v101
	v_and_b32_e32 v34, 0xffff0000, v69
	v_mul_f32_e32 v71, v6, v71
	v_bfe_u32 v80, v71, 16, 1
	v_or_b32_e32 v100, 0x400000, v71
	v_cmp_u_f32_e32 vcc_lo, v71, v71
	v_add3_u32 v80, v80, v71, 0x7fff
	v_cndmask_b32_e32 v71, v80, v100, vcc_lo
	v_lshlrev_b32_e32 v80, 16, v115
	v_and_b32_e32 v16, 0xffff0000, v71
	v_mul_f32_e32 v80, v0, v80
	v_add_f32_e32 v16, v16, v34
	v_bfe_u32 v100, v80, 16, 1
	v_or_b32_e32 v101, 0x400000, v80
	v_cmp_u_f32_e32 vcc_lo, v80, v80
	v_add_f32_e32 v5, v5, v16
	v_add3_u32 v100, v100, v80, 0x7fff
	v_cndmask_b32_e32 v80, v100, v101, vcc_lo
	v_lshlrev_b32_e32 v100, 16, v112
	v_and_b32_e32 v34, 0xffff0000, v80
	v_mul_f32_e32 v100, v2, v100
	v_bfe_u32 v101, v100, 16, 1
	v_or_b32_e32 v102, 0x400000, v100
	v_cmp_u_f32_e32 vcc_lo, v100, v100
	v_add3_u32 v101, v101, v100, 0x7fff
	v_cndmask_b32_e32 v100, v101, v102, vcc_lo
	v_and_b32_e32 v16, 0xffff0000, v100
	v_add_f32_e32 v16, v16, v34
	v_add_f32_e32 v5, v5, v16
	;; [unrolled: 1-line block ×3, first 2 shown]
	v_lshlrev_b32_e32 v5, 16, v97
	v_mul_f32_e32 v5, v8, v5
	v_bfe_u32 v16, v5, 16, 1
	v_or_b32_e32 v34, 0x400000, v5
	v_cmp_u_f32_e32 vcc_lo, v5, v5
	v_add3_u32 v16, v16, v5, 0x7fff
	v_cndmask_b32_e32 v5, v16, v34, vcc_lo
	v_lshlrev_b32_e32 v16, 16, v98
	v_and_b32_e32 v5, 0xffff0000, v5
	v_mul_f32_e32 v16, v9, v16
	v_bfe_u32 v34, v16, 16, 1
	v_or_b32_e32 v35, 0x400000, v16
	v_cmp_u_f32_e32 vcc_lo, v16, v16
	v_add3_u32 v34, v34, v16, 0x7fff
	v_cndmask_b32_e32 v16, v34, v35, vcc_lo
	v_lshlrev_b32_e32 v34, 16, v86
	v_and_b32_e32 v16, 0xffff0000, v16
	v_mul_f32_e32 v34, v3, v34
	v_add_f32_e32 v5, v16, v5
	v_bfe_u32 v35, v34, 16, 1
	v_or_b32_e32 v69, 0x400000, v34
	v_cmp_u_f32_e32 vcc_lo, v34, v34
	v_add3_u32 v35, v35, v34, 0x7fff
	v_cndmask_b32_e32 v34, v35, v69, vcc_lo
	v_lshlrev_b32_e32 v35, 16, v87
	v_and_b32_e32 v34, 0xffff0000, v34
	v_mul_f32_e32 v35, v7, v35
	v_bfe_u32 v69, v35, 16, 1
	v_or_b32_e32 v71, 0x400000, v35
	v_cmp_u_f32_e32 vcc_lo, v35, v35
	v_add3_u32 v69, v69, v35, 0x7fff
	v_cndmask_b32_e32 v35, v69, v71, vcc_lo
	v_lshlrev_b32_e32 v69, 16, v84
	v_and_b32_e32 v16, 0xffff0000, v35
	v_mul_f32_e32 v69, v1, v69
	v_add_f32_e32 v16, v16, v34
	v_bfe_u32 v71, v69, 16, 1
	v_or_b32_e32 v80, 0x400000, v69
	v_cmp_u_f32_e32 vcc_lo, v69, v69
	v_add_f32_e32 v5, v5, v16
	v_add3_u32 v71, v71, v69, 0x7fff
	v_cndmask_b32_e32 v69, v71, v80, vcc_lo
	v_lshlrev_b32_e32 v71, 16, v85
	v_and_b32_e32 v34, 0xffff0000, v69
	v_mul_f32_e32 v71, v6, v71
	v_bfe_u32 v80, v71, 16, 1
	v_or_b32_e32 v84, 0x400000, v71
	v_cmp_u_f32_e32 vcc_lo, v71, v71
	v_add3_u32 v80, v80, v71, 0x7fff
	v_cndmask_b32_e32 v71, v80, v84, vcc_lo
	v_lshlrev_b32_e32 v80, 16, v99
	v_and_b32_e32 v16, 0xffff0000, v71
	v_mul_f32_e32 v80, v0, v80
	v_add_f32_e32 v16, v16, v34
	v_bfe_u32 v84, v80, 16, 1
	v_or_b32_e32 v85, 0x400000, v80
	v_cmp_u_f32_e32 vcc_lo, v80, v80
	v_add_f32_e32 v5, v5, v16
	v_add3_u32 v84, v84, v80, 0x7fff
	v_cndmask_b32_e32 v80, v84, v85, vcc_lo
	v_lshlrev_b32_e32 v84, 16, v96
	v_and_b32_e32 v34, 0xffff0000, v80
	v_mul_f32_e32 v84, v2, v84
	v_bfe_u32 v85, v84, 16, 1
	v_or_b32_e32 v86, 0x400000, v84
	v_cmp_u_f32_e32 vcc_lo, v84, v84
	v_add3_u32 v85, v85, v84, 0x7fff
	v_cndmask_b32_e32 v84, v85, v86, vcc_lo
	v_and_b32_e32 v16, 0xffff0000, v84
	v_add_f32_e32 v16, v16, v34
	v_add_f32_e32 v5, v5, v16
	;; [unrolled: 1-line block ×3, first 2 shown]
	v_lshlrev_b32_e32 v5, 16, v81
	v_mul_f32_e32 v5, v8, v5
	v_bfe_u32 v16, v5, 16, 1
	v_or_b32_e32 v34, 0x400000, v5
	v_cmp_u_f32_e32 vcc_lo, v5, v5
	v_add3_u32 v16, v16, v5, 0x7fff
	v_cndmask_b32_e32 v5, v16, v34, vcc_lo
	v_lshlrev_b32_e32 v16, 16, v82
	v_and_b32_e32 v5, 0xffff0000, v5
	v_mul_f32_e32 v16, v9, v16
	v_bfe_u32 v34, v16, 16, 1
	v_or_b32_e32 v35, 0x400000, v16
	v_cmp_u_f32_e32 vcc_lo, v16, v16
	v_add3_u32 v34, v34, v16, 0x7fff
	v_cndmask_b32_e32 v16, v34, v35, vcc_lo
	v_bfe_u32 v34, v13, 16, 1
	v_or_b32_e32 v35, 0x400000, v13
	v_cmp_u_f32_e32 vcc_lo, v13, v13
	v_and_b32_e32 v16, 0xffff0000, v16
	v_add3_u32 v34, v34, v13, 0x7fff
	v_add_f32_e32 v5, v16, v5
	v_cndmask_b32_e32 v13, v34, v35, vcc_lo
	v_bfe_u32 v34, v21, 16, 1
	v_or_b32_e32 v35, 0x400000, v21
	v_cmp_u_f32_e32 vcc_lo, v21, v21
	v_and_b32_e32 v13, 0xffff0000, v13
	v_add3_u32 v34, v34, v21, 0x7fff
	v_cndmask_b32_e32 v21, v34, v35, vcc_lo
	v_bfe_u32 v34, v4, 16, 1
	v_or_b32_e32 v35, 0x400000, v4
	v_cmp_u_f32_e32 vcc_lo, v4, v4
	v_and_b32_e32 v16, 0xffff0000, v21
	v_add3_u32 v34, v34, v4, 0x7fff
	v_add_f32_e32 v13, v16, v13
	v_cndmask_b32_e32 v4, v34, v35, vcc_lo
	v_bfe_u32 v34, v12, 16, 1
	v_or_b32_e32 v35, 0x400000, v12
	v_cmp_u_f32_e32 vcc_lo, v12, v12
	v_add_f32_e32 v5, v5, v13
	v_and_b32_e32 v4, 0xffff0000, v4
	v_add3_u32 v34, v34, v12, 0x7fff
	v_cndmask_b32_e32 v12, v34, v35, vcc_lo
	v_lshlrev_b32_e32 v34, 16, v83
	v_and_b32_e32 v12, 0xffff0000, v12
	v_mul_f32_e32 v34, v0, v34
	v_add_f32_e32 v4, v12, v4
	v_bfe_u32 v35, v34, 16, 1
	v_or_b32_e32 v69, 0x400000, v34
	v_cmp_u_f32_e32 vcc_lo, v34, v34
	v_add_f32_e32 v4, v5, v4
	v_add3_u32 v35, v35, v34, 0x7fff
	v_cndmask_b32_e32 v34, v35, v69, vcc_lo
	v_bfe_u32 v35, v25, 16, 1
	v_or_b32_e32 v69, 0x400000, v25
	v_cmp_u_f32_e32 vcc_lo, v25, v25
	v_and_b32_e32 v12, 0xffff0000, v34
	v_add3_u32 v35, v35, v25, 0x7fff
	v_cndmask_b32_e32 v25, v35, v69, vcc_lo
	v_and_b32_e32 v5, 0xffff0000, v25
	v_add_f32_e32 v5, v5, v12
	v_add_f32_e32 v4, v4, v5
	;; [unrolled: 1-line block ×3, first 2 shown]
	v_lshlrev_b32_e32 v4, 16, v126
	v_mul_f32_e32 v4, v8, v4
	v_bfe_u32 v5, v4, 16, 1
	v_or_b32_e32 v12, 0x400000, v4
	v_cmp_u_f32_e32 vcc_lo, v4, v4
	v_add3_u32 v5, v5, v4, 0x7fff
	v_cndmask_b32_e32 v4, v5, v12, vcc_lo
	v_lshlrev_b32_e32 v5, 16, v127
	v_and_b32_e32 v4, 0xffff0000, v4
	v_mul_f32_e32 v5, v9, v5
	v_bfe_u32 v12, v5, 16, 1
	v_or_b32_e32 v13, 0x400000, v5
	v_cmp_u_f32_e32 vcc_lo, v5, v5
	v_add3_u32 v12, v12, v5, 0x7fff
	v_cndmask_b32_e32 v5, v12, v13, vcc_lo
	v_lshlrev_b32_e32 v12, 16, v123
	v_and_b32_e32 v5, 0xffff0000, v5
	v_mul_f32_e32 v12, v3, v12
	v_add_f32_e32 v4, v5, v4
	v_bfe_u32 v13, v12, 16, 1
	v_or_b32_e32 v16, 0x400000, v12
	v_cmp_u_f32_e32 vcc_lo, v12, v12
	v_add3_u32 v13, v13, v12, 0x7fff
	v_cndmask_b32_e32 v12, v13, v16, vcc_lo
	v_lshlrev_b32_e32 v13, 16, v124
	v_and_b32_e32 v12, 0xffff0000, v12
	v_mul_f32_e32 v13, v7, v13
	v_bfe_u32 v16, v13, 16, 1
	v_or_b32_e32 v21, 0x400000, v13
	v_cmp_u_f32_e32 vcc_lo, v13, v13
	v_add3_u32 v16, v16, v13, 0x7fff
	v_cndmask_b32_e32 v13, v16, v21, vcc_lo
	v_lshlrev_b32_e32 v16, 16, v121
	v_and_b32_e32 v5, 0xffff0000, v13
	v_mul_f32_e32 v16, v1, v16
	v_add_f32_e32 v5, v5, v12
	v_bfe_u32 v21, v16, 16, 1
	v_or_b32_e32 v25, 0x400000, v16
	v_cmp_u_f32_e32 vcc_lo, v16, v16
	v_add_f32_e32 v4, v4, v5
	v_add3_u32 v21, v21, v16, 0x7fff
	v_cndmask_b32_e32 v16, v21, v25, vcc_lo
	v_lshlrev_b32_e32 v21, 16, v122
	v_and_b32_e32 v12, 0xffff0000, v16
	v_mul_f32_e32 v21, v6, v21
	v_bfe_u32 v25, v21, 16, 1
	v_or_b32_e32 v34, 0x400000, v21
	v_cmp_u_f32_e32 vcc_lo, v21, v21
	v_add3_u32 v25, v25, v21, 0x7fff
	v_cndmask_b32_e32 v21, v25, v34, vcc_lo
	v_lshlrev_b32_e32 v25, 16, v28
	v_and_b32_e32 v5, 0xffff0000, v21
	v_mul_f32_e32 v25, v0, v25
	v_add_f32_e32 v5, v5, v12
	v_bfe_u32 v28, v25, 16, 1
	v_or_b32_e32 v34, 0x400000, v25
	v_cmp_u_f32_e32 vcc_lo, v25, v25
	v_add_f32_e32 v4, v4, v5
	v_add3_u32 v28, v28, v25, 0x7fff
	v_cndmask_b32_e32 v25, v28, v34, vcc_lo
	v_lshlrev_b32_e32 v28, 16, v125
	v_and_b32_e32 v12, 0xffff0000, v25
	v_mul_f32_e32 v28, v2, v28
	v_bfe_u32 v34, v28, 16, 1
	v_or_b32_e32 v35, 0x400000, v28
	v_cmp_u_f32_e32 vcc_lo, v28, v28
	v_add3_u32 v34, v34, v28, 0x7fff
	v_cndmask_b32_e32 v28, v34, v35, vcc_lo
	v_and_b32_e32 v5, 0xffff0000, v28
	v_add_f32_e32 v5, v5, v12
	v_add_f32_e32 v4, v4, v5
	v_add_f32_e32 v49, v49, v4
	v_lshlrev_b32_e32 v4, 16, v110
	v_mul_f32_e32 v4, v8, v4
	v_bfe_u32 v5, v4, 16, 1
	v_or_b32_e32 v12, 0x400000, v4
	v_cmp_u_f32_e32 vcc_lo, v4, v4
	v_add3_u32 v5, v5, v4, 0x7fff
	v_cndmask_b32_e32 v4, v5, v12, vcc_lo
	v_lshlrev_b32_e32 v5, 16, v111
	v_and_b32_e32 v4, 0xffff0000, v4
	v_mul_f32_e32 v5, v9, v5
	v_bfe_u32 v12, v5, 16, 1
	v_or_b32_e32 v13, 0x400000, v5
	v_cmp_u_f32_e32 vcc_lo, v5, v5
	v_add3_u32 v12, v12, v5, 0x7fff
	v_cndmask_b32_e32 v5, v12, v13, vcc_lo
	v_lshlrev_b32_e32 v12, 16, v107
	v_and_b32_e32 v5, 0xffff0000, v5
	v_mul_f32_e32 v12, v3, v12
	v_add_f32_e32 v4, v5, v4
	v_bfe_u32 v13, v12, 16, 1
	v_or_b32_e32 v16, 0x400000, v12
	v_cmp_u_f32_e32 vcc_lo, v12, v12
	v_add3_u32 v13, v13, v12, 0x7fff
	v_cndmask_b32_e32 v12, v13, v16, vcc_lo
	v_lshlrev_b32_e32 v13, 16, v108
	v_and_b32_e32 v12, 0xffff0000, v12
	v_mul_f32_e32 v13, v7, v13
	v_bfe_u32 v16, v13, 16, 1
	v_or_b32_e32 v21, 0x400000, v13
	v_cmp_u_f32_e32 vcc_lo, v13, v13
	v_add3_u32 v16, v16, v13, 0x7fff
	v_cndmask_b32_e32 v13, v16, v21, vcc_lo
	v_lshlrev_b32_e32 v16, 16, v105
	v_and_b32_e32 v5, 0xffff0000, v13
	v_mul_f32_e32 v16, v1, v16
	v_add_f32_e32 v5, v5, v12
	v_bfe_u32 v21, v16, 16, 1
	v_or_b32_e32 v25, 0x400000, v16
	v_cmp_u_f32_e32 vcc_lo, v16, v16
	v_add_f32_e32 v4, v4, v5
	v_add3_u32 v21, v21, v16, 0x7fff
	v_cndmask_b32_e32 v16, v21, v25, vcc_lo
	v_lshlrev_b32_e32 v21, 16, v106
	v_and_b32_e32 v12, 0xffff0000, v16
	v_mul_f32_e32 v21, v6, v21
	v_bfe_u32 v25, v21, 16, 1
	v_or_b32_e32 v28, 0x400000, v21
	v_cmp_u_f32_e32 vcc_lo, v21, v21
	v_add3_u32 v25, v25, v21, 0x7fff
	v_cndmask_b32_e32 v21, v25, v28, vcc_lo
	v_lshlrev_b32_e32 v25, 16, v120
	v_and_b32_e32 v5, 0xffff0000, v21
	v_mul_f32_e32 v25, v0, v25
	v_add_f32_e32 v5, v5, v12
	v_bfe_u32 v28, v25, 16, 1
	v_or_b32_e32 v34, 0x400000, v25
	v_cmp_u_f32_e32 vcc_lo, v25, v25
	v_add_f32_e32 v4, v4, v5
	v_add3_u32 v28, v28, v25, 0x7fff
	v_cndmask_b32_e32 v25, v28, v34, vcc_lo
	v_lshlrev_b32_e32 v28, 16, v109
	v_and_b32_e32 v12, 0xffff0000, v25
	v_mul_f32_e32 v28, v2, v28
	v_bfe_u32 v34, v28, 16, 1
	v_or_b32_e32 v35, 0x400000, v28
	v_cmp_u_f32_e32 vcc_lo, v28, v28
	v_add3_u32 v34, v34, v28, 0x7fff
	v_cndmask_b32_e32 v28, v34, v35, vcc_lo
	v_and_b32_e32 v5, 0xffff0000, v28
	v_add_f32_e32 v5, v5, v12
	v_add_f32_e32 v4, v4, v5
	;; [unrolled: 1-line block ×3, first 2 shown]
	v_lshlrev_b32_e32 v4, 16, v104
	v_mul_f32_e32 v4, v8, v4
	v_bfe_u32 v5, v4, 16, 1
	v_or_b32_e32 v12, 0x400000, v4
	v_cmp_u_f32_e32 vcc_lo, v4, v4
	v_add3_u32 v5, v5, v4, 0x7fff
	v_cndmask_b32_e32 v4, v5, v12, vcc_lo
	v_lshlrev_b32_e32 v5, 16, v95
	v_and_b32_e32 v4, 0xffff0000, v4
	v_mul_f32_e32 v5, v9, v5
	v_bfe_u32 v12, v5, 16, 1
	v_or_b32_e32 v13, 0x400000, v5
	v_cmp_u_f32_e32 vcc_lo, v5, v5
	v_add3_u32 v12, v12, v5, 0x7fff
	v_cndmask_b32_e32 v5, v12, v13, vcc_lo
	v_lshlrev_b32_e32 v12, 16, v93
	v_and_b32_e32 v5, 0xffff0000, v5
	v_mul_f32_e32 v12, v3, v12
	v_add_f32_e32 v4, v5, v4
	v_bfe_u32 v13, v12, 16, 1
	v_or_b32_e32 v16, 0x400000, v12
	v_cmp_u_f32_e32 vcc_lo, v12, v12
	v_add3_u32 v13, v13, v12, 0x7fff
	v_cndmask_b32_e32 v12, v13, v16, vcc_lo
	v_lshlrev_b32_e32 v13, 16, v94
	v_and_b32_e32 v12, 0xffff0000, v12
	v_mul_f32_e32 v13, v7, v13
	v_bfe_u32 v16, v13, 16, 1
	v_or_b32_e32 v21, 0x400000, v13
	v_cmp_u_f32_e32 vcc_lo, v13, v13
	v_add3_u32 v16, v16, v13, 0x7fff
	v_cndmask_b32_e32 v13, v16, v21, vcc_lo
	v_lshlrev_b32_e32 v16, 16, v38
	v_and_b32_e32 v5, 0xffff0000, v13
	v_mul_f32_e32 v16, v1, v16
	v_add_f32_e32 v5, v5, v12
	v_bfe_u32 v21, v16, 16, 1
	v_or_b32_e32 v25, 0x400000, v16
	v_cmp_u_f32_e32 vcc_lo, v16, v16
	v_add_f32_e32 v4, v4, v5
	v_add3_u32 v21, v21, v16, 0x7fff
	v_cndmask_b32_e32 v16, v21, v25, vcc_lo
	v_lshlrev_b32_e32 v21, 16, v27
	v_and_b32_e32 v12, 0xffff0000, v16
	v_mul_f32_e32 v21, v6, v21
	v_bfe_u32 v25, v21, 16, 1
	v_or_b32_e32 v27, 0x400000, v21
	v_cmp_u_f32_e32 vcc_lo, v21, v21
	v_add3_u32 v25, v25, v21, 0x7fff
	v_cndmask_b32_e32 v21, v25, v27, vcc_lo
	v_lshlrev_b32_e32 v25, 16, v92
	v_and_b32_e32 v5, 0xffff0000, v21
	v_mul_f32_e32 v25, v0, v25
	v_add_f32_e32 v5, v5, v12
	v_bfe_u32 v27, v25, 16, 1
	v_or_b32_e32 v28, 0x400000, v25
	v_cmp_u_f32_e32 vcc_lo, v25, v25
	v_add_f32_e32 v4, v4, v5
	v_add3_u32 v27, v27, v25, 0x7fff
	v_cndmask_b32_e32 v25, v27, v28, vcc_lo
	v_lshlrev_b32_e32 v27, 16, v91
	v_and_b32_e32 v12, 0xffff0000, v25
	v_mul_f32_e32 v27, v2, v27
	v_bfe_u32 v28, v27, 16, 1
	v_or_b32_e32 v34, 0x400000, v27
	v_cmp_u_f32_e32 vcc_lo, v27, v27
	v_add3_u32 v28, v28, v27, 0x7fff
	v_cndmask_b32_e32 v27, v28, v34, vcc_lo
	v_and_b32_e32 v5, 0xffff0000, v27
	v_add_f32_e32 v5, v5, v12
	v_add_f32_e32 v4, v4, v5
	;; [unrolled: 1-line block ×3, first 2 shown]
	v_lshlrev_b32_e32 v4, 16, v22
	v_mul_f32_e32 v4, v8, v4
	v_bfe_u32 v5, v4, 16, 1
	v_or_b32_e32 v12, 0x400000, v4
	v_cmp_u_f32_e32 vcc_lo, v4, v4
	v_add3_u32 v5, v5, v4, 0x7fff
	v_cndmask_b32_e32 v4, v5, v12, vcc_lo
	v_lshlrev_b32_e32 v5, 16, v37
	v_and_b32_e32 v4, 0xffff0000, v4
	v_mul_f32_e32 v5, v9, v5
	v_bfe_u32 v12, v5, 16, 1
	v_or_b32_e32 v13, 0x400000, v5
	v_cmp_u_f32_e32 vcc_lo, v5, v5
	v_add3_u32 v12, v12, v5, 0x7fff
	v_cndmask_b32_e32 v5, v12, v13, vcc_lo
	buffer_load_dword v12, off, s[0:3], s32 offset:384 ; 4-byte Folded Reload
	v_and_b32_e32 v5, 0xffff0000, v5
	v_add_f32_e32 v4, v5, v4
	s_waitcnt vmcnt(0)
	v_lshlrev_b32_e32 v12, 16, v12
	v_mul_f32_e32 v12, v3, v12
	v_bfe_u32 v13, v12, 16, 1
	v_or_b32_e32 v16, 0x400000, v12
	v_cmp_u_f32_e32 vcc_lo, v12, v12
	v_add3_u32 v13, v13, v12, 0x7fff
	v_cndmask_b32_e32 v12, v13, v16, vcc_lo
	buffer_load_dword v13, off, s[0:3], s32 offset:388 ; 4-byte Folded Reload
	v_and_b32_e32 v12, 0xffff0000, v12
	s_waitcnt vmcnt(0)
	v_lshlrev_b32_e32 v13, 16, v13
	v_mul_f32_e32 v13, v7, v13
	v_bfe_u32 v16, v13, 16, 1
	v_or_b32_e32 v21, 0x400000, v13
	v_cmp_u_f32_e32 vcc_lo, v13, v13
	v_add3_u32 v16, v16, v13, 0x7fff
	v_cndmask_b32_e32 v13, v16, v21, vcc_lo
	buffer_load_dword v16, off, s[0:3], s32 offset:372 ; 4-byte Folded Reload
	v_and_b32_e32 v5, 0xffff0000, v13
	v_add_f32_e32 v5, v5, v12
	v_add_f32_e32 v4, v4, v5
	s_waitcnt vmcnt(0)
	v_lshlrev_b32_e32 v16, 16, v16
	v_mul_f32_e32 v16, v1, v16
	v_bfe_u32 v21, v16, 16, 1
	v_or_b32_e32 v22, 0x400000, v16
	v_cmp_u_f32_e32 vcc_lo, v16, v16
	v_add3_u32 v21, v21, v16, 0x7fff
	v_cndmask_b32_e32 v16, v21, v22, vcc_lo
	buffer_load_dword v21, off, s[0:3], s32 offset:368 ; 4-byte Folded Reload
	v_and_b32_e32 v12, 0xffff0000, v16
	s_waitcnt vmcnt(0)
	v_lshlrev_b32_e32 v21, 16, v21
	v_mul_f32_e32 v21, v6, v21
	v_bfe_u32 v22, v21, 16, 1
	v_or_b32_e32 v25, 0x400000, v21
	v_cmp_u_f32_e32 vcc_lo, v21, v21
	v_add3_u32 v22, v22, v21, 0x7fff
	v_cndmask_b32_e32 v21, v22, v25, vcc_lo
	buffer_load_dword v22, off, s[0:3], s32 offset:380 ; 4-byte Folded Reload
	v_and_b32_e32 v5, 0xffff0000, v21
	v_add_f32_e32 v5, v5, v12
	v_add_f32_e32 v4, v4, v5
	s_waitcnt vmcnt(0)
	v_lshlrev_b32_e32 v22, 16, v22
	v_mul_f32_e32 v22, v0, v22
	v_bfe_u32 v25, v22, 16, 1
	v_or_b32_e32 v27, 0x400000, v22
	v_cmp_u_f32_e32 vcc_lo, v22, v22
	v_add3_u32 v25, v25, v22, 0x7fff
	v_cndmask_b32_e32 v22, v25, v27, vcc_lo
	buffer_load_dword v25, off, s[0:3], s32 offset:376 ; 4-byte Folded Reload
	v_and_b32_e32 v12, 0xffff0000, v22
	s_waitcnt vmcnt(0)
	v_lshlrev_b32_e32 v25, 16, v25
	v_mul_f32_e32 v25, v2, v25
	v_bfe_u32 v27, v25, 16, 1
	v_or_b32_e32 v28, 0x400000, v25
	v_cmp_u_f32_e32 vcc_lo, v25, v25
	v_add3_u32 v27, v27, v25, 0x7fff
	v_cndmask_b32_e32 v25, v27, v28, vcc_lo
	v_and_b32_e32 v5, 0xffff0000, v25
	v_add_f32_e32 v5, v5, v12
	v_add_f32_e32 v4, v4, v5
	;; [unrolled: 1-line block ×3, first 2 shown]
	buffer_load_dword v4, off, s[0:3], s32 offset:364 ; 4-byte Folded Reload
	s_waitcnt vmcnt(0)
	v_lshlrev_b32_e32 v4, 16, v4
	v_mul_f32_e32 v4, v8, v4
	v_bfe_u32 v5, v4, 16, 1
	v_or_b32_e32 v12, 0x400000, v4
	v_cmp_u_f32_e32 vcc_lo, v4, v4
	v_add3_u32 v5, v5, v4, 0x7fff
	v_cndmask_b32_e32 v4, v5, v12, vcc_lo
	buffer_load_dword v5, off, s[0:3], s32 offset:360 ; 4-byte Folded Reload
	v_and_b32_e32 v4, 0xffff0000, v4
	s_waitcnt vmcnt(0)
	v_lshlrev_b32_e32 v5, 16, v5
	v_mul_f32_e32 v5, v9, v5
	v_bfe_u32 v12, v5, 16, 1
	v_or_b32_e32 v13, 0x400000, v5
	v_cmp_u_f32_e32 vcc_lo, v5, v5
	v_add3_u32 v12, v12, v5, 0x7fff
	v_cndmask_b32_e32 v5, v12, v13, vcc_lo
	buffer_load_dword v12, off, s[0:3], s32 offset:352 ; 4-byte Folded Reload
	v_and_b32_e32 v5, 0xffff0000, v5
	v_add_f32_e32 v4, v5, v4
	s_waitcnt vmcnt(0)
	v_lshlrev_b32_e32 v12, 16, v12
	v_mul_f32_e32 v12, v3, v12
	v_bfe_u32 v13, v12, 16, 1
	v_or_b32_e32 v16, 0x400000, v12
	v_cmp_u_f32_e32 vcc_lo, v12, v12
	v_add3_u32 v13, v13, v12, 0x7fff
	v_cndmask_b32_e32 v12, v13, v16, vcc_lo
	buffer_load_dword v13, off, s[0:3], s32 offset:356 ; 4-byte Folded Reload
	v_and_b32_e32 v12, 0xffff0000, v12
	s_waitcnt vmcnt(0)
	v_lshlrev_b32_e32 v13, 16, v13
	v_mul_f32_e32 v13, v7, v13
	v_bfe_u32 v16, v13, 16, 1
	v_or_b32_e32 v21, 0x400000, v13
	v_cmp_u_f32_e32 vcc_lo, v13, v13
	v_add3_u32 v16, v16, v13, 0x7fff
	v_cndmask_b32_e32 v13, v16, v21, vcc_lo
	buffer_load_dword v16, off, s[0:3], s32 offset:340 ; 4-byte Folded Reload
	v_and_b32_e32 v5, 0xffff0000, v13
	v_add_f32_e32 v5, v5, v12
	v_add_f32_e32 v4, v4, v5
	s_waitcnt vmcnt(0)
	v_lshlrev_b32_e32 v16, 16, v16
	v_mul_f32_e32 v16, v1, v16
	v_bfe_u32 v21, v16, 16, 1
	v_or_b32_e32 v22, 0x400000, v16
	v_cmp_u_f32_e32 vcc_lo, v16, v16
	v_add3_u32 v21, v21, v16, 0x7fff
	v_cndmask_b32_e32 v16, v21, v22, vcc_lo
	buffer_load_dword v21, off, s[0:3], s32 offset:336 ; 4-byte Folded Reload
	v_and_b32_e32 v12, 0xffff0000, v16
	s_waitcnt vmcnt(0)
	v_lshlrev_b32_e32 v21, 16, v21
	v_mul_f32_e32 v21, v6, v21
	v_bfe_u32 v22, v21, 16, 1
	v_or_b32_e32 v25, 0x400000, v21
	v_cmp_u_f32_e32 vcc_lo, v21, v21
	v_add3_u32 v22, v22, v21, 0x7fff
	v_cndmask_b32_e32 v21, v22, v25, vcc_lo
	buffer_load_dword v22, off, s[0:3], s32 offset:348 ; 4-byte Folded Reload
	v_and_b32_e32 v5, 0xffff0000, v21
	v_add_f32_e32 v5, v5, v12
	v_add_f32_e32 v4, v4, v5
	s_waitcnt vmcnt(0)
	v_lshlrev_b32_e32 v22, 16, v22
	v_mul_f32_e32 v22, v0, v22
	v_bfe_u32 v25, v22, 16, 1
	v_or_b32_e32 v27, 0x400000, v22
	v_cmp_u_f32_e32 vcc_lo, v22, v22
	v_add3_u32 v25, v25, v22, 0x7fff
	v_cndmask_b32_e32 v22, v25, v27, vcc_lo
	buffer_load_dword v25, off, s[0:3], s32 offset:344 ; 4-byte Folded Reload
	v_and_b32_e32 v12, 0xffff0000, v22
	s_waitcnt vmcnt(0)
	v_lshlrev_b32_e32 v25, 16, v25
	v_mul_f32_e32 v25, v2, v25
	v_bfe_u32 v27, v25, 16, 1
	v_or_b32_e32 v28, 0x400000, v25
	v_cmp_u_f32_e32 vcc_lo, v25, v25
	v_add3_u32 v27, v27, v25, 0x7fff
	v_cndmask_b32_e32 v25, v27, v28, vcc_lo
	v_and_b32_e32 v5, 0xffff0000, v25
	v_add_f32_e32 v5, v5, v12
	v_add_f32_e32 v4, v4, v5
	;; [unrolled: 1-line block ×3, first 2 shown]
	buffer_load_dword v4, off, s[0:3], s32 offset:332 ; 4-byte Folded Reload
	s_waitcnt vmcnt(0)
	v_lshlrev_b32_e32 v4, 16, v4
	v_mul_f32_e32 v4, v8, v4
	v_bfe_u32 v5, v4, 16, 1
	v_or_b32_e32 v12, 0x400000, v4
	v_cmp_u_f32_e32 vcc_lo, v4, v4
	v_add3_u32 v5, v5, v4, 0x7fff
	v_cndmask_b32_e32 v4, v5, v12, vcc_lo
	buffer_load_dword v5, off, s[0:3], s32 offset:328 ; 4-byte Folded Reload
	v_and_b32_e32 v4, 0xffff0000, v4
	s_waitcnt vmcnt(0)
	v_lshlrev_b32_e32 v5, 16, v5
	v_mul_f32_e32 v5, v9, v5
	v_bfe_u32 v12, v5, 16, 1
	v_or_b32_e32 v13, 0x400000, v5
	v_cmp_u_f32_e32 vcc_lo, v5, v5
	v_add3_u32 v12, v12, v5, 0x7fff
	v_cndmask_b32_e32 v5, v12, v13, vcc_lo
	buffer_load_dword v12, off, s[0:3], s32 offset:320 ; 4-byte Folded Reload
	v_and_b32_e32 v5, 0xffff0000, v5
	v_add_f32_e32 v4, v5, v4
	s_waitcnt vmcnt(0)
	v_lshlrev_b32_e32 v12, 16, v12
	v_mul_f32_e32 v12, v3, v12
	v_bfe_u32 v13, v12, 16, 1
	v_or_b32_e32 v16, 0x400000, v12
	v_cmp_u_f32_e32 vcc_lo, v12, v12
	v_add3_u32 v13, v13, v12, 0x7fff
	v_cndmask_b32_e32 v12, v13, v16, vcc_lo
	buffer_load_dword v13, off, s[0:3], s32 offset:324 ; 4-byte Folded Reload
	v_and_b32_e32 v12, 0xffff0000, v12
	s_waitcnt vmcnt(0)
	v_lshlrev_b32_e32 v13, 16, v13
	v_mul_f32_e32 v13, v7, v13
	v_bfe_u32 v16, v13, 16, 1
	v_or_b32_e32 v21, 0x400000, v13
	v_cmp_u_f32_e32 vcc_lo, v13, v13
	v_add3_u32 v16, v16, v13, 0x7fff
	v_cndmask_b32_e32 v13, v16, v21, vcc_lo
	buffer_load_dword v16, off, s[0:3], s32 offset:312 ; 4-byte Folded Reload
	v_and_b32_e32 v5, 0xffff0000, v13
	v_add_f32_e32 v5, v5, v12
	v_add_f32_e32 v4, v4, v5
	s_waitcnt vmcnt(0)
	v_lshlrev_b32_e32 v16, 16, v16
	v_mul_f32_e32 v16, v1, v16
	v_bfe_u32 v21, v16, 16, 1
	v_or_b32_e32 v22, 0x400000, v16
	v_cmp_u_f32_e32 vcc_lo, v16, v16
	v_add3_u32 v21, v21, v16, 0x7fff
	v_cndmask_b32_e32 v16, v21, v22, vcc_lo
	buffer_load_dword v21, off, s[0:3], s32 offset:304 ; 4-byte Folded Reload
	v_and_b32_e32 v12, 0xffff0000, v16
	s_waitcnt vmcnt(0)
	v_lshlrev_b32_e32 v21, 16, v21
	v_mul_f32_e32 v21, v6, v21
	v_bfe_u32 v22, v21, 16, 1
	v_or_b32_e32 v25, 0x400000, v21
	v_cmp_u_f32_e32 vcc_lo, v21, v21
	v_add3_u32 v22, v22, v21, 0x7fff
	v_cndmask_b32_e32 v21, v22, v25, vcc_lo
	buffer_load_dword v22, off, s[0:3], s32 offset:316 ; 4-byte Folded Reload
	v_and_b32_e32 v5, 0xffff0000, v21
	v_add_f32_e32 v5, v5, v12
	v_add_f32_e32 v4, v4, v5
	s_waitcnt vmcnt(0)
	v_lshlrev_b32_e32 v22, 16, v22
	v_mul_f32_e32 v22, v0, v22
	v_bfe_u32 v25, v22, 16, 1
	v_or_b32_e32 v27, 0x400000, v22
	v_cmp_u_f32_e32 vcc_lo, v22, v22
	v_add3_u32 v25, v25, v22, 0x7fff
	v_cndmask_b32_e32 v22, v25, v27, vcc_lo
	buffer_load_dword v25, off, s[0:3], s32 offset:300 ; 4-byte Folded Reload
	v_and_b32_e32 v12, 0xffff0000, v22
	s_waitcnt vmcnt(0)
	v_lshlrev_b32_e32 v25, 16, v25
	v_mul_f32_e32 v25, v2, v25
	v_bfe_u32 v27, v25, 16, 1
	v_or_b32_e32 v28, 0x400000, v25
	v_cmp_u_f32_e32 vcc_lo, v25, v25
	v_add3_u32 v27, v27, v25, 0x7fff
	v_cndmask_b32_e32 v25, v27, v28, vcc_lo
	v_and_b32_e32 v5, 0xffff0000, v25
	v_add_f32_e32 v5, v5, v12
	v_add_f32_e32 v4, v4, v5
	;; [unrolled: 1-line block ×3, first 2 shown]
	buffer_load_dword v4, off, s[0:3], s32 offset:296 ; 4-byte Folded Reload
	s_waitcnt vmcnt(0)
	v_lshlrev_b32_e32 v4, 16, v4
	v_mul_f32_e32 v4, v8, v4
	v_bfe_u32 v5, v4, 16, 1
	v_or_b32_e32 v12, 0x400000, v4
	v_cmp_u_f32_e32 vcc_lo, v4, v4
	v_add3_u32 v5, v5, v4, 0x7fff
	v_cndmask_b32_e32 v4, v5, v12, vcc_lo
	buffer_load_dword v5, off, s[0:3], s32 offset:292 ; 4-byte Folded Reload
	v_and_b32_e32 v4, 0xffff0000, v4
	s_waitcnt vmcnt(0)
	v_lshlrev_b32_e32 v5, 16, v5
	v_mul_f32_e32 v5, v9, v5
	v_bfe_u32 v12, v5, 16, 1
	v_or_b32_e32 v13, 0x400000, v5
	v_cmp_u_f32_e32 vcc_lo, v5, v5
	v_add3_u32 v12, v12, v5, 0x7fff
	v_cndmask_b32_e32 v5, v12, v13, vcc_lo
	buffer_load_dword v12, off, s[0:3], s32 offset:284 ; 4-byte Folded Reload
	v_and_b32_e32 v5, 0xffff0000, v5
	v_add_f32_e32 v4, v5, v4
	s_waitcnt vmcnt(0)
	v_lshlrev_b32_e32 v12, 16, v12
	v_mul_f32_e32 v12, v3, v12
	v_bfe_u32 v13, v12, 16, 1
	v_or_b32_e32 v16, 0x400000, v12
	v_cmp_u_f32_e32 vcc_lo, v12, v12
	v_add3_u32 v13, v13, v12, 0x7fff
	v_cndmask_b32_e32 v12, v13, v16, vcc_lo
	buffer_load_dword v13, off, s[0:3], s32 offset:288 ; 4-byte Folded Reload
	v_and_b32_e32 v12, 0xffff0000, v12
	s_waitcnt vmcnt(0)
	v_lshlrev_b32_e32 v13, 16, v13
	v_mul_f32_e32 v13, v7, v13
	v_bfe_u32 v16, v13, 16, 1
	v_or_b32_e32 v21, 0x400000, v13
	v_cmp_u_f32_e32 vcc_lo, v13, v13
	v_add3_u32 v16, v16, v13, 0x7fff
	v_cndmask_b32_e32 v13, v16, v21, vcc_lo
	buffer_load_dword v16, off, s[0:3], s32 offset:280 ; 4-byte Folded Reload
	v_and_b32_e32 v5, 0xffff0000, v13
	v_add_f32_e32 v5, v5, v12
	v_add_f32_e32 v4, v4, v5
	s_waitcnt vmcnt(0)
	v_lshlrev_b32_e32 v16, 16, v16
	v_mul_f32_e32 v16, v1, v16
	v_bfe_u32 v21, v16, 16, 1
	v_or_b32_e32 v22, 0x400000, v16
	v_cmp_u_f32_e32 vcc_lo, v16, v16
	v_add3_u32 v21, v21, v16, 0x7fff
	v_cndmask_b32_e32 v16, v21, v22, vcc_lo
	buffer_load_dword v21, off, s[0:3], s32 offset:272 ; 4-byte Folded Reload
	v_and_b32_e32 v12, 0xffff0000, v16
	s_waitcnt vmcnt(0)
	v_lshlrev_b32_e32 v21, 16, v21
	v_mul_f32_e32 v21, v6, v21
	v_bfe_u32 v22, v21, 16, 1
	v_or_b32_e32 v25, 0x400000, v21
	v_cmp_u_f32_e32 vcc_lo, v21, v21
	v_add3_u32 v22, v22, v21, 0x7fff
	v_cndmask_b32_e32 v21, v22, v25, vcc_lo
	buffer_load_dword v22, off, s[0:3], s32 offset:276 ; 4-byte Folded Reload
	v_and_b32_e32 v5, 0xffff0000, v21
	v_add_f32_e32 v5, v5, v12
	v_add_f32_e32 v4, v4, v5
	s_waitcnt vmcnt(0)
	v_lshlrev_b32_e32 v22, 16, v22
	v_mul_f32_e32 v22, v0, v22
	v_bfe_u32 v25, v22, 16, 1
	v_or_b32_e32 v27, 0x400000, v22
	v_cmp_u_f32_e32 vcc_lo, v22, v22
	v_add3_u32 v25, v25, v22, 0x7fff
	v_cndmask_b32_e32 v22, v25, v27, vcc_lo
	buffer_load_dword v25, off, s[0:3], s32 offset:264 ; 4-byte Folded Reload
	v_and_b32_e32 v12, 0xffff0000, v22
	s_waitcnt vmcnt(0)
	v_lshlrev_b32_e32 v25, 16, v25
	v_mul_f32_e32 v25, v2, v25
	v_bfe_u32 v27, v25, 16, 1
	v_or_b32_e32 v28, 0x400000, v25
	v_cmp_u_f32_e32 vcc_lo, v25, v25
	v_add3_u32 v27, v27, v25, 0x7fff
	v_cndmask_b32_e32 v25, v27, v28, vcc_lo
	v_and_b32_e32 v5, 0xffff0000, v25
	v_add_f32_e32 v5, v5, v12
	v_add_f32_e32 v4, v4, v5
	;; [unrolled: 1-line block ×3, first 2 shown]
	buffer_load_dword v4, off, s[0:3], s32 offset:260 ; 4-byte Folded Reload
	s_waitcnt vmcnt(0)
	v_lshlrev_b32_e32 v4, 16, v4
	v_mul_f32_e32 v4, v8, v4
	v_bfe_u32 v5, v4, 16, 1
	v_or_b32_e32 v12, 0x400000, v4
	v_cmp_u_f32_e32 vcc_lo, v4, v4
	v_add3_u32 v5, v5, v4, 0x7fff
	v_cndmask_b32_e32 v4, v5, v12, vcc_lo
	buffer_load_dword v5, off, s[0:3], s32 offset:256 ; 4-byte Folded Reload
	v_and_b32_e32 v4, 0xffff0000, v4
	s_waitcnt vmcnt(0)
	v_lshlrev_b32_e32 v5, 16, v5
	v_mul_f32_e32 v5, v9, v5
	v_bfe_u32 v12, v5, 16, 1
	v_or_b32_e32 v13, 0x400000, v5
	v_cmp_u_f32_e32 vcc_lo, v5, v5
	v_add3_u32 v12, v12, v5, 0x7fff
	v_cndmask_b32_e32 v5, v12, v13, vcc_lo
	buffer_load_dword v12, off, s[0:3], s32 offset:248 ; 4-byte Folded Reload
	v_and_b32_e32 v5, 0xffff0000, v5
	v_add_f32_e32 v4, v5, v4
	s_waitcnt vmcnt(0)
	v_lshlrev_b32_e32 v12, 16, v12
	v_mul_f32_e32 v12, v3, v12
	v_bfe_u32 v13, v12, 16, 1
	v_or_b32_e32 v16, 0x400000, v12
	v_cmp_u_f32_e32 vcc_lo, v12, v12
	v_add3_u32 v13, v13, v12, 0x7fff
	v_cndmask_b32_e32 v12, v13, v16, vcc_lo
	buffer_load_dword v13, off, s[0:3], s32 offset:252 ; 4-byte Folded Reload
	v_and_b32_e32 v12, 0xffff0000, v12
	s_waitcnt vmcnt(0)
	v_lshlrev_b32_e32 v13, 16, v13
	v_mul_f32_e32 v13, v7, v13
	v_bfe_u32 v16, v13, 16, 1
	v_or_b32_e32 v21, 0x400000, v13
	v_cmp_u_f32_e32 vcc_lo, v13, v13
	v_add3_u32 v16, v16, v13, 0x7fff
	v_cndmask_b32_e32 v13, v16, v21, vcc_lo
	buffer_load_dword v16, off, s[0:3], s32 offset:244 ; 4-byte Folded Reload
	v_and_b32_e32 v5, 0xffff0000, v13
	v_add_f32_e32 v5, v5, v12
	v_add_f32_e32 v4, v4, v5
	s_waitcnt vmcnt(0)
	v_lshlrev_b32_e32 v16, 16, v16
	v_mul_f32_e32 v16, v1, v16
	v_bfe_u32 v21, v16, 16, 1
	v_or_b32_e32 v22, 0x400000, v16
	v_cmp_u_f32_e32 vcc_lo, v16, v16
	v_add3_u32 v21, v21, v16, 0x7fff
	v_cndmask_b32_e32 v16, v21, v22, vcc_lo
	buffer_load_dword v21, off, s[0:3], s32 offset:236 ; 4-byte Folded Reload
	v_and_b32_e32 v12, 0xffff0000, v16
	s_waitcnt vmcnt(0)
	v_lshlrev_b32_e32 v21, 16, v21
	v_mul_f32_e32 v21, v6, v21
	v_bfe_u32 v22, v21, 16, 1
	v_or_b32_e32 v25, 0x400000, v21
	v_cmp_u_f32_e32 vcc_lo, v21, v21
	v_add3_u32 v22, v22, v21, 0x7fff
	v_cndmask_b32_e32 v21, v22, v25, vcc_lo
	buffer_load_dword v22, off, s[0:3], s32 offset:240 ; 4-byte Folded Reload
	v_and_b32_e32 v5, 0xffff0000, v21
	v_add_f32_e32 v5, v5, v12
	v_add_f32_e32 v4, v4, v5
	s_waitcnt vmcnt(0)
	v_lshlrev_b32_e32 v22, 16, v22
	v_mul_f32_e32 v22, v0, v22
	v_bfe_u32 v25, v22, 16, 1
	v_or_b32_e32 v27, 0x400000, v22
	v_cmp_u_f32_e32 vcc_lo, v22, v22
	v_add3_u32 v25, v25, v22, 0x7fff
	v_cndmask_b32_e32 v22, v25, v27, vcc_lo
	buffer_load_dword v25, off, s[0:3], s32 offset:232 ; 4-byte Folded Reload
	v_and_b32_e32 v12, 0xffff0000, v22
	s_waitcnt vmcnt(0)
	v_lshlrev_b32_e32 v25, 16, v25
	v_mul_f32_e32 v25, v2, v25
	v_bfe_u32 v27, v25, 16, 1
	v_or_b32_e32 v28, 0x400000, v25
	v_cmp_u_f32_e32 vcc_lo, v25, v25
	v_add3_u32 v27, v27, v25, 0x7fff
	v_cndmask_b32_e32 v25, v27, v28, vcc_lo
	v_and_b32_e32 v5, 0xffff0000, v25
	v_add_f32_e32 v5, v5, v12
	v_add_f32_e32 v4, v4, v5
	v_add_f32_e32 v65, v65, v4
	buffer_load_dword v4, off, s[0:3], s32 offset:228 ; 4-byte Folded Reload
	s_waitcnt vmcnt(0)
	v_lshlrev_b32_e32 v4, 16, v4
	v_mul_f32_e32 v4, v8, v4
	v_bfe_u32 v5, v4, 16, 1
	v_or_b32_e32 v12, 0x400000, v4
	v_cmp_u_f32_e32 vcc_lo, v4, v4
	v_add3_u32 v5, v5, v4, 0x7fff
	v_cndmask_b32_e32 v4, v5, v12, vcc_lo
	buffer_load_dword v5, off, s[0:3], s32 offset:224 ; 4-byte Folded Reload
	v_and_b32_e32 v4, 0xffff0000, v4
	s_waitcnt vmcnt(0)
	v_lshlrev_b32_e32 v5, 16, v5
	v_mul_f32_e32 v5, v9, v5
	v_bfe_u32 v12, v5, 16, 1
	v_or_b32_e32 v13, 0x400000, v5
	v_cmp_u_f32_e32 vcc_lo, v5, v5
	v_add3_u32 v12, v12, v5, 0x7fff
	v_cndmask_b32_e32 v5, v12, v13, vcc_lo
	buffer_load_dword v12, off, s[0:3], s32 offset:216 ; 4-byte Folded Reload
	v_and_b32_e32 v5, 0xffff0000, v5
	v_add_f32_e32 v4, v5, v4
	s_waitcnt vmcnt(0)
	v_lshlrev_b32_e32 v12, 16, v12
	v_mul_f32_e32 v12, v3, v12
	v_bfe_u32 v13, v12, 16, 1
	v_or_b32_e32 v16, 0x400000, v12
	v_cmp_u_f32_e32 vcc_lo, v12, v12
	v_add3_u32 v13, v13, v12, 0x7fff
	v_cndmask_b32_e32 v12, v13, v16, vcc_lo
	buffer_load_dword v13, off, s[0:3], s32 offset:220 ; 4-byte Folded Reload
	v_and_b32_e32 v12, 0xffff0000, v12
	s_waitcnt vmcnt(0)
	v_lshlrev_b32_e32 v13, 16, v13
	v_mul_f32_e32 v13, v7, v13
	v_bfe_u32 v16, v13, 16, 1
	v_or_b32_e32 v21, 0x400000, v13
	v_cmp_u_f32_e32 vcc_lo, v13, v13
	v_add3_u32 v16, v16, v13, 0x7fff
	v_cndmask_b32_e32 v13, v16, v21, vcc_lo
	buffer_load_dword v16, off, s[0:3], s32 offset:212 ; 4-byte Folded Reload
	v_and_b32_e32 v5, 0xffff0000, v13
	v_add_f32_e32 v5, v5, v12
	v_add_f32_e32 v4, v4, v5
	s_waitcnt vmcnt(0)
	v_lshlrev_b32_e32 v16, 16, v16
	v_mul_f32_e32 v16, v1, v16
	v_bfe_u32 v21, v16, 16, 1
	v_or_b32_e32 v22, 0x400000, v16
	v_cmp_u_f32_e32 vcc_lo, v16, v16
	v_add3_u32 v21, v21, v16, 0x7fff
	v_cndmask_b32_e32 v16, v21, v22, vcc_lo
	buffer_load_dword v21, off, s[0:3], s32 offset:204 ; 4-byte Folded Reload
	v_and_b32_e32 v12, 0xffff0000, v16
	s_waitcnt vmcnt(0)
	v_lshlrev_b32_e32 v21, 16, v21
	v_mul_f32_e32 v21, v6, v21
	v_bfe_u32 v22, v21, 16, 1
	v_or_b32_e32 v25, 0x400000, v21
	v_cmp_u_f32_e32 vcc_lo, v21, v21
	v_add3_u32 v22, v22, v21, 0x7fff
	v_cndmask_b32_e32 v21, v22, v25, vcc_lo
	buffer_load_dword v22, off, s[0:3], s32 offset:208 ; 4-byte Folded Reload
	v_and_b32_e32 v5, 0xffff0000, v21
	v_add_f32_e32 v5, v5, v12
	v_add_f32_e32 v4, v4, v5
	s_waitcnt vmcnt(0)
	v_lshlrev_b32_e32 v22, 16, v22
	v_mul_f32_e32 v22, v0, v22
	v_bfe_u32 v25, v22, 16, 1
	v_or_b32_e32 v27, 0x400000, v22
	v_cmp_u_f32_e32 vcc_lo, v22, v22
	v_add3_u32 v25, v25, v22, 0x7fff
	v_cndmask_b32_e32 v22, v25, v27, vcc_lo
	buffer_load_dword v25, off, s[0:3], s32 offset:200 ; 4-byte Folded Reload
	v_and_b32_e32 v12, 0xffff0000, v22
	s_waitcnt vmcnt(0)
	v_lshlrev_b32_e32 v25, 16, v25
	v_mul_f32_e32 v25, v2, v25
	v_bfe_u32 v27, v25, 16, 1
	v_or_b32_e32 v28, 0x400000, v25
	v_cmp_u_f32_e32 vcc_lo, v25, v25
	v_add3_u32 v27, v27, v25, 0x7fff
	v_cndmask_b32_e32 v25, v27, v28, vcc_lo
	v_and_b32_e32 v5, 0xffff0000, v25
	v_add_f32_e32 v5, v5, v12
	v_add_f32_e32 v4, v4, v5
	;; [unrolled: 1-line block ×3, first 2 shown]
	v_lshlrev_b32_e32 v4, 16, v116
	v_mul_f32_e32 v4, v9, v4
	v_bfe_u32 v5, v4, 16, 1
	v_or_b32_e32 v9, 0x400000, v4
	v_cmp_u_f32_e32 vcc_lo, v4, v4
	v_add3_u32 v5, v5, v4, 0x7fff
	v_cndmask_b32_e32 v4, v5, v9, vcc_lo
	v_lshlrev_b32_e32 v5, 16, v24
	v_and_b32_e32 v4, 0xffff0000, v4
	v_mul_f32_e32 v5, v8, v5
	v_bfe_u32 v8, v5, 16, 1
	v_or_b32_e32 v9, 0x400000, v5
	v_cmp_u_f32_e32 vcc_lo, v5, v5
	v_add3_u32 v8, v8, v5, 0x7fff
	v_cndmask_b32_e32 v5, v8, v9, vcc_lo
	v_lshlrev_b32_e32 v8, 16, v20
	v_and_b32_e32 v5, 0xffff0000, v5
	v_mul_f32_e32 v7, v7, v8
	v_add_f32_e32 v4, v4, v5
	v_bfe_u32 v8, v7, 16, 1
	v_or_b32_e32 v9, 0x400000, v7
	v_cmp_u_f32_e32 vcc_lo, v7, v7
	v_add3_u32 v8, v8, v7, 0x7fff
	v_cndmask_b32_e32 v7, v8, v9, vcc_lo
	v_lshlrev_b32_e32 v8, 16, v18
	v_and_b32_e32 v5, 0xffff0000, v7
	v_mul_f32_e32 v3, v3, v8
	v_bfe_u32 v8, v3, 16, 1
	v_or_b32_e32 v9, 0x400000, v3
	v_cmp_u_f32_e32 vcc_lo, v3, v3
	v_add3_u32 v8, v8, v3, 0x7fff
	v_cndmask_b32_e32 v3, v8, v9, vcc_lo
	v_lshlrev_b32_e32 v8, 16, v17
	v_and_b32_e32 v3, 0xffff0000, v3
	v_mul_f32_e32 v6, v6, v8
	v_add_f32_e32 v3, v5, v3
	v_bfe_u32 v8, v6, 16, 1
	v_or_b32_e32 v9, 0x400000, v6
	v_cmp_u_f32_e32 vcc_lo, v6, v6
	v_add_f32_e32 v3, v4, v3
	v_add3_u32 v8, v8, v6, 0x7fff
	v_cndmask_b32_e32 v6, v8, v9, vcc_lo
	v_lshlrev_b32_e32 v8, 16, v10
	v_and_b32_e32 v4, 0xffff0000, v6
	v_mul_f32_e32 v1, v1, v8
	v_bfe_u32 v8, v1, 16, 1
	v_or_b32_e32 v9, 0x400000, v1
	v_cmp_u_f32_e32 vcc_lo, v1, v1
	v_add3_u32 v8, v8, v1, 0x7fff
	v_cndmask_b32_e32 v1, v8, v9, vcc_lo
	v_lshlrev_b32_e32 v8, 16, v19
	v_and_b32_e32 v1, 0xffff0000, v1
	v_mul_f32_e32 v2, v2, v8
	v_add_f32_e32 v1, v4, v1
	v_bfe_u32 v8, v2, 16, 1
	v_or_b32_e32 v9, 0x400000, v2
	v_cmp_u_f32_e32 vcc_lo, v2, v2
	v_add_f32_e32 v1, v3, v1
	v_add3_u32 v8, v8, v2, 0x7fff
	v_cndmask_b32_e32 v2, v8, v9, vcc_lo
	v_lshlrev_b32_e32 v8, 16, v23
	v_and_b32_e32 v2, 0xffff0000, v2
	v_mul_f32_e32 v0, v0, v8
	v_bfe_u32 v8, v0, 16, 1
	v_or_b32_e32 v9, 0x400000, v0
	v_cmp_u_f32_e32 vcc_lo, v0, v0
	v_add3_u32 v8, v8, v0, 0x7fff
	v_cndmask_b32_e32 v0, v8, v9, vcc_lo
	v_add_co_u32 v14, vcc_lo, v14, 16
	v_add_co_ci_u32_e64 v15, null, 0, v15, vcc_lo
	v_and_b32_e32 v0, 0xffff0000, v0
	v_add_f32_e32 v0, v2, v0
	v_add_f32_e32 v0, v1, v0
	;; [unrolled: 1-line block ×3, first 2 shown]
	s_clause 0x1
	buffer_load_dword v0, off, s[0:3], s32 offset:192
	buffer_load_dword v1, off, s[0:3], s32 offset:196
	s_waitcnt vmcnt(0)
	v_mov_b32_e32 v1, v0
	v_add_nc_u32_e32 v1, 4, v1
	v_mov_b32_e32 v0, v1
	buffer_store_dword v0, off, s[0:3], s32 offset:192 ; 4-byte Folded Spill
	buffer_store_dword v1, off, s[0:3], s32 offset:196 ; 4-byte Folded Spill
	buffer_load_dword v0, off, s[0:3], s32 offset:396 ; 4-byte Folded Reload
	s_waitcnt vmcnt(0)
	v_cmp_ge_i32_e32 vcc_lo, v1, v0
	s_or_b32 s11, vcc_lo, s11
	s_andn2_b32 exec_lo, exec_lo, s11
	s_cbranch_execz .LBB395_2111
.LBB395_1055:                           ; =>This Inner Loop Header: Depth=1
	flat_load_dword v0, v[14:15]
	s_clause 0x2
	buffer_load_dword v1, off, s[0:3], s32 offset:392
	buffer_load_dword v2, off, s[0:3], s32 offset:404
	;; [unrolled: 1-line block ×3, first 2 shown]
	v_mov_b32_e32 v4, 0
	s_waitcnt vmcnt(0) lgkmcnt(0)
	v_mad_i64_i32 v[17:18], null, v0, v1, v[2:3]
	flat_load_dwordx2 v[19:20], v[17:18]
	ds_read2_b64 v[6:9], v67 offset1:1
	ds_read2_b64 v[0:3], v67 offset0:2 offset1:3
	s_waitcnt vmcnt(0) lgkmcnt(2)
	v_cmp_ne_u16_sdwa s12, v19, v11 src0_sel:BYTE_0 src1_sel:DWORD
	s_and_saveexec_b32 s4, s12
	s_cbranch_execz .LBB395_1063
; %bb.1056:                             ;   in Loop: Header=BB395_1055 Depth=1
	v_cmp_ne_u16_sdwa s13, v19, v68 src0_sel:BYTE_0 src1_sel:DWORD
	v_bfrev_b32_e32 v4, 1
	s_and_saveexec_b32 s12, s13
	s_cbranch_execz .LBB395_1062
; %bb.1057:                             ;   in Loop: Header=BB395_1055 Depth=1
	v_and_b32_e32 v5, 0x7f, v19
	v_mov_b32_e32 v4, 0x7f800001
	s_mov_b32 s13, exec_lo
	v_cmpx_ne_u32_e32 0x7f, v5
	s_cbranch_execz .LBB395_1061
; %bb.1058:                             ;   in Loop: Header=BB395_1055 Depth=1
	v_mov_b32_e32 v24, v20
	v_lshrrev_b32_e32 v4, 3, v5
	v_mov_b32_e32 v23, v19
	s_mov_b32 s15, exec_lo
	v_cmpx_gt_u32_e32 8, v5
; %bb.1059:                             ;   in Loop: Header=BB395_1055 Depth=1
	v_and_b32_e32 v4, 7, v19
	v_ffbh_u32_e32 v4, v4
	v_min_u32_e32 v4, 32, v4
	v_subrev_nc_u32_e32 v5, 28, v4
	v_sub_nc_u32_e32 v4, 29, v4
	v_lshlrev_b64 v[23:24], v5, v[19:20]
; %bb.1060:                             ;   in Loop: Header=BB395_1055 Depth=1
	s_or_b32 exec_lo, exec_lo, s15
	v_lshlrev_b32_e32 v5, 20, v23
	v_lshlrev_b32_e32 v10, 24, v19
	v_lshl_add_u32 v4, v4, 23, 0x3c000000
	v_and_b32_e32 v5, 0x700000, v5
	v_and_b32_e32 v10, 0x80000000, v10
	v_or3_b32 v4, v5, v10, v4
.LBB395_1061:                           ;   in Loop: Header=BB395_1055 Depth=1
	s_or_b32 exec_lo, exec_lo, s13
.LBB395_1062:                           ;   in Loop: Header=BB395_1055 Depth=1
	s_or_b32 exec_lo, exec_lo, s12
.LBB395_1063:                           ;   in Loop: Header=BB395_1055 Depth=1
	s_or_b32 exec_lo, exec_lo, s4
	v_cmp_ne_u16_sdwa s12, v19, v11 src0_sel:BYTE_1 src1_sel:DWORD
	v_mov_b32_e32 v12, 0
	v_mov_b32_e32 v5, 0
	s_and_saveexec_b32 s4, s12
	s_cbranch_execz .LBB395_1071
; %bb.1064:                             ;   in Loop: Header=BB395_1055 Depth=1
	v_cmp_ne_u16_sdwa s13, v19, v68 src0_sel:BYTE_1 src1_sel:DWORD
	v_bfrev_b32_e32 v5, 1
	s_and_saveexec_b32 s12, s13
	s_cbranch_execz .LBB395_1070
; %bb.1065:                             ;   in Loop: Header=BB395_1055 Depth=1
	v_mov_b32_e32 v5, 0xffff
	s_mov_b32 s13, exec_lo
	v_and_b32_sdwa v10, v5, v19 dst_sel:DWORD dst_unused:UNUSED_PAD src0_sel:DWORD src1_sel:BYTE_1
	v_mov_b32_e32 v5, 0x7f800001
	v_and_b32_e32 v13, 0x7f, v10
	v_cmpx_ne_u32_e32 0x7f, v13
	s_cbranch_execz .LBB395_1069
; %bb.1066:                             ;   in Loop: Header=BB395_1055 Depth=1
	v_and_b32_e32 v10, 7, v10
	v_mov_b32_e32 v24, v11
	v_lshrrev_b32_e32 v5, 3, v13
	s_mov_b32 s15, exec_lo
	v_mov_b32_e32 v23, v10
	v_cmpx_gt_u32_e32 8, v13
; %bb.1067:                             ;   in Loop: Header=BB395_1055 Depth=1
	v_ffbh_u32_e32 v5, v10
	v_min_u32_e32 v5, 32, v5
	v_subrev_nc_u32_e32 v13, 28, v5
	v_sub_nc_u32_e32 v5, 29, v5
	v_lshlrev_b64 v[21:22], v13, v[10:11]
	v_and_b32_e32 v23, 7, v21
; %bb.1068:                             ;   in Loop: Header=BB395_1055 Depth=1
	s_or_b32 exec_lo, exec_lo, s15
	v_lshlrev_b32_e32 v10, 16, v19
	v_lshlrev_b32_e32 v13, 20, v23
	v_lshl_add_u32 v5, v5, 23, 0x3c000000
	v_and_b32_e32 v10, 0x80000000, v10
	v_or3_b32 v5, v13, v10, v5
.LBB395_1069:                           ;   in Loop: Header=BB395_1055 Depth=1
	s_or_b32 exec_lo, exec_lo, s13
.LBB395_1070:                           ;   in Loop: Header=BB395_1055 Depth=1
	s_or_b32 exec_lo, exec_lo, s12
.LBB395_1071:                           ;   in Loop: Header=BB395_1055 Depth=1
	s_or_b32 exec_lo, exec_lo, s4
	v_and_b32_sdwa v10, v19, v70 dst_sel:DWORD dst_unused:UNUSED_PAD src0_sel:WORD_1 src1_sel:DWORD
	s_mov_b32 s4, exec_lo
	v_cmpx_ne_u16_e32 0, v10
	s_cbranch_execz .LBB395_1079
; %bb.1072:                             ;   in Loop: Header=BB395_1055 Depth=1
	v_bfrev_b32_e32 v12, 1
	s_mov_b32 s12, exec_lo
	v_cmpx_ne_u16_e32 0x80, v10
	s_cbranch_execz .LBB395_1078
; %bb.1073:                             ;   in Loop: Header=BB395_1055 Depth=1
	v_bfe_u32 v13, v19, 16, 7
	v_mov_b32_e32 v12, 0x7f800001
	s_mov_b32 s13, exec_lo
	v_cmpx_ne_u32_e32 0x7f, v13
	s_cbranch_execz .LBB395_1077
; %bb.1074:                             ;   in Loop: Header=BB395_1055 Depth=1
	v_mov_b32_e32 v10, 7
	v_lshrrev_b32_e32 v12, 3, v13
	s_mov_b32 s15, exec_lo
	v_and_b32_sdwa v10, v19, v10 dst_sel:DWORD dst_unused:UNUSED_PAD src0_sel:WORD_1 src1_sel:DWORD
	v_mov_b32_e32 v24, v11
	v_mov_b32_e32 v23, v10
	v_cmpx_gt_u32_e32 8, v13
; %bb.1075:                             ;   in Loop: Header=BB395_1055 Depth=1
	v_ffbh_u32_e32 v12, v10
	v_min_u32_e32 v12, 32, v12
	v_subrev_nc_u32_e32 v13, 28, v12
	v_sub_nc_u32_e32 v12, 29, v12
	v_lshlrev_b64 v[21:22], v13, v[10:11]
	v_and_b32_e32 v23, 7, v21
; %bb.1076:                             ;   in Loop: Header=BB395_1055 Depth=1
	s_or_b32 exec_lo, exec_lo, s15
	v_mov_b32_e32 v10, 24
	v_lshlrev_b32_e32 v13, 20, v23
	v_lshl_add_u32 v12, v12, 23, 0x3c000000
	v_lshlrev_b32_sdwa v10, v10, v19 dst_sel:DWORD dst_unused:UNUSED_PAD src0_sel:DWORD src1_sel:WORD_1
	v_and_b32_e32 v10, 0x80000000, v10
	v_or3_b32 v12, v13, v10, v12
.LBB395_1077:                           ;   in Loop: Header=BB395_1055 Depth=1
	s_or_b32 exec_lo, exec_lo, s13
.LBB395_1078:                           ;   in Loop: Header=BB395_1055 Depth=1
	s_or_b32 exec_lo, exec_lo, s12
.LBB395_1079:                           ;   in Loop: Header=BB395_1055 Depth=1
	s_or_b32 exec_lo, exec_lo, s4
	v_mov_b32_e32 v16, 0
	v_mov_b32_e32 v13, 0
	s_mov_b32 s4, exec_lo
	v_cmpx_lt_u32_e32 0xffffff, v19
	s_cbranch_execz .LBB395_1087
; %bb.1080:                             ;   in Loop: Header=BB395_1055 Depth=1
	v_cmp_ne_u32_sdwa s13, v19, v68 src0_sel:BYTE_3 src1_sel:DWORD
	v_bfrev_b32_e32 v13, 1
	s_and_saveexec_b32 s12, s13
	s_cbranch_execz .LBB395_1086
; %bb.1081:                             ;   in Loop: Header=BB395_1055 Depth=1
	v_bfe_u32 v21, v19, 24, 7
	v_mov_b32_e32 v13, 0x7f800001
	s_mov_b32 s13, exec_lo
	v_cmpx_ne_u32_e32 0x7f, v21
	s_cbranch_execz .LBB395_1085
; %bb.1082:                             ;   in Loop: Header=BB395_1055 Depth=1
	v_mov_b32_e32 v10, 7
	v_lshrrev_b32_e32 v13, 3, v21
	s_mov_b32 s15, exec_lo
	v_and_b32_sdwa v10, v19, v10 dst_sel:DWORD dst_unused:UNUSED_PAD src0_sel:BYTE_3 src1_sel:DWORD
	v_mov_b32_e32 v24, v11
	v_mov_b32_e32 v23, v10
	v_cmpx_gt_u32_e32 8, v21
; %bb.1083:                             ;   in Loop: Header=BB395_1055 Depth=1
	v_ffbh_u32_e32 v13, v10
	v_min_u32_e32 v13, 32, v13
	v_subrev_nc_u32_e32 v21, 28, v13
	v_sub_nc_u32_e32 v13, 29, v13
	v_lshlrev_b64 v[21:22], v21, v[10:11]
	v_and_b32_e32 v23, 7, v21
; %bb.1084:                             ;   in Loop: Header=BB395_1055 Depth=1
	s_or_b32 exec_lo, exec_lo, s15
	v_mov_b32_e32 v10, 24
	v_lshlrev_b32_e32 v21, 20, v23
	v_lshl_add_u32 v13, v13, 23, 0x3c000000
	v_lshlrev_b32_sdwa v10, v10, v19 dst_sel:DWORD dst_unused:UNUSED_PAD src0_sel:DWORD src1_sel:BYTE_3
	v_and_b32_e32 v10, 0x80000000, v10
	v_or3_b32 v13, v21, v10, v13
.LBB395_1085:                           ;   in Loop: Header=BB395_1055 Depth=1
	s_or_b32 exec_lo, exec_lo, s13
.LBB395_1086:                           ;   in Loop: Header=BB395_1055 Depth=1
	s_or_b32 exec_lo, exec_lo, s12
.LBB395_1087:                           ;   in Loop: Header=BB395_1055 Depth=1
	s_or_b32 exec_lo, exec_lo, s4
	v_mov_b32_e32 v10, v20
	v_cmp_ne_u16_sdwa s12, v20, v11 src0_sel:BYTE_0 src1_sel:DWORD
	s_and_saveexec_b32 s4, s12
	s_cbranch_execz .LBB395_1095
; %bb.1088:                             ;   in Loop: Header=BB395_1055 Depth=1
	v_cmp_ne_u16_sdwa s13, v20, v68 src0_sel:BYTE_0 src1_sel:DWORD
	v_bfrev_b32_e32 v16, 1
	s_and_saveexec_b32 s12, s13
	s_cbranch_execz .LBB395_1094
; %bb.1089:                             ;   in Loop: Header=BB395_1055 Depth=1
	v_and_b32_e32 v21, 0x7f, v20
	v_mov_b32_e32 v16, 0x7f800001
	s_mov_b32 s13, exec_lo
	v_cmpx_ne_u32_e32 0x7f, v21
	s_cbranch_execz .LBB395_1093
; %bb.1090:                             ;   in Loop: Header=BB395_1055 Depth=1
	v_mov_b32_e32 v24, v11
	v_lshrrev_b32_e32 v16, 3, v21
	v_mov_b32_e32 v23, v10
	s_mov_b32 s15, exec_lo
	v_cmpx_gt_u32_e32 8, v21
; %bb.1091:                             ;   in Loop: Header=BB395_1055 Depth=1
	v_and_b32_e32 v16, 7, v20
	v_ffbh_u32_e32 v16, v16
	v_min_u32_e32 v16, 32, v16
	v_subrev_nc_u32_e32 v21, 28, v16
	v_sub_nc_u32_e32 v16, 29, v16
	v_lshlrev_b64 v[23:24], v21, v[10:11]
; %bb.1092:                             ;   in Loop: Header=BB395_1055 Depth=1
	s_or_b32 exec_lo, exec_lo, s15
	v_lshlrev_b32_e32 v21, 20, v23
	v_lshlrev_b32_e32 v22, 24, v10
	v_lshl_add_u32 v16, v16, 23, 0x3c000000
	v_and_b32_e32 v21, 0x700000, v21
	v_and_b32_e32 v22, 0x80000000, v22
	v_or3_b32 v16, v21, v22, v16
.LBB395_1093:                           ;   in Loop: Header=BB395_1055 Depth=1
	s_or_b32 exec_lo, exec_lo, s13
.LBB395_1094:                           ;   in Loop: Header=BB395_1055 Depth=1
	s_or_b32 exec_lo, exec_lo, s12
.LBB395_1095:                           ;   in Loop: Header=BB395_1055 Depth=1
	s_or_b32 exec_lo, exec_lo, s4
	v_cmp_ne_u16_sdwa s12, v10, v11 src0_sel:BYTE_1 src1_sel:DWORD
	v_mov_b32_e32 v21, 0
	v_mov_b32_e32 v22, 0
	s_and_saveexec_b32 s4, s12
	s_cbranch_execz .LBB395_1103
; %bb.1096:                             ;   in Loop: Header=BB395_1055 Depth=1
	v_cmp_ne_u16_sdwa s13, v10, v68 src0_sel:BYTE_1 src1_sel:DWORD
	v_bfrev_b32_e32 v22, 1
	s_and_saveexec_b32 s12, s13
	s_cbranch_execz .LBB395_1102
; %bb.1097:                             ;   in Loop: Header=BB395_1055 Depth=1
	v_mov_b32_e32 v22, 0xffff
	s_mov_b32 s13, exec_lo
	v_and_b32_sdwa v23, v22, v10 dst_sel:DWORD dst_unused:UNUSED_PAD src0_sel:DWORD src1_sel:BYTE_1
	v_mov_b32_e32 v22, 0x7f800001
	v_and_b32_e32 v25, 0x7f, v23
	v_cmpx_ne_u32_e32 0x7f, v25
	s_cbranch_execz .LBB395_1101
; %bb.1098:                             ;   in Loop: Header=BB395_1055 Depth=1
	v_and_b32_e32 v23, 7, v23
	v_mov_b32_e32 v24, v11
	v_lshrrev_b32_e32 v22, 3, v25
	s_mov_b32 s15, exec_lo
	v_cmpx_gt_u32_e32 8, v25
; %bb.1099:                             ;   in Loop: Header=BB395_1055 Depth=1
	v_ffbh_u32_e32 v22, v23
	v_min_u32_e32 v22, 32, v22
	v_subrev_nc_u32_e32 v25, 28, v22
	v_sub_nc_u32_e32 v22, 29, v22
	v_lshlrev_b64 v[23:24], v25, v[23:24]
	v_and_b32_e32 v23, 7, v23
; %bb.1100:                             ;   in Loop: Header=BB395_1055 Depth=1
	s_or_b32 exec_lo, exec_lo, s15
	v_lshlrev_b32_e32 v10, 16, v10
	v_lshlrev_b32_e32 v23, 20, v23
	v_lshl_add_u32 v22, v22, 23, 0x3c000000
	v_and_b32_e32 v10, 0x80000000, v10
	v_or3_b32 v22, v23, v10, v22
.LBB395_1101:                           ;   in Loop: Header=BB395_1055 Depth=1
	s_or_b32 exec_lo, exec_lo, s13
.LBB395_1102:                           ;   in Loop: Header=BB395_1055 Depth=1
	s_or_b32 exec_lo, exec_lo, s12
.LBB395_1103:                           ;   in Loop: Header=BB395_1055 Depth=1
	s_or_b32 exec_lo, exec_lo, s4
	v_and_b32_sdwa v10, v20, v70 dst_sel:DWORD dst_unused:UNUSED_PAD src0_sel:WORD_1 src1_sel:DWORD
	s_mov_b32 s4, exec_lo
	v_cmpx_ne_u16_e32 0, v10
	s_cbranch_execz .LBB395_1111
; %bb.1104:                             ;   in Loop: Header=BB395_1055 Depth=1
	v_bfrev_b32_e32 v21, 1
	s_mov_b32 s12, exec_lo
	v_cmpx_ne_u16_e32 0x80, v10
	s_cbranch_execz .LBB395_1110
; %bb.1105:                             ;   in Loop: Header=BB395_1055 Depth=1
	v_bfe_u32 v23, v20, 16, 7
	v_mov_b32_e32 v21, 0x7f800001
	s_mov_b32 s13, exec_lo
	v_cmpx_ne_u32_e32 0x7f, v23
	s_cbranch_execz .LBB395_1109
; %bb.1106:                             ;   in Loop: Header=BB395_1055 Depth=1
	v_mov_b32_e32 v10, 7
	v_lshrrev_b32_e32 v21, 3, v23
	v_cmp_gt_u32_e32 vcc_lo, 8, v23
	v_and_b32_sdwa v10, v20, v10 dst_sel:DWORD dst_unused:UNUSED_PAD src0_sel:WORD_1 src1_sel:DWORD
	v_mov_b32_e32 v24, v11
	v_mov_b32_e32 v23, v10
	s_and_saveexec_b32 s15, vcc_lo
; %bb.1107:                             ;   in Loop: Header=BB395_1055 Depth=1
	v_ffbh_u32_e32 v21, v10
	v_min_u32_e32 v21, 32, v21
	v_subrev_nc_u32_e32 v23, 28, v21
	v_sub_nc_u32_e32 v21, 29, v21
	v_lshlrev_b64 v[23:24], v23, v[10:11]
	v_and_b32_e32 v23, 7, v23
; %bb.1108:                             ;   in Loop: Header=BB395_1055 Depth=1
	s_or_b32 exec_lo, exec_lo, s15
	v_mov_b32_e32 v10, 24
	v_lshlrev_b32_e32 v23, 20, v23
	v_lshl_add_u32 v21, v21, 23, 0x3c000000
	v_lshlrev_b32_sdwa v10, v10, v20 dst_sel:DWORD dst_unused:UNUSED_PAD src0_sel:DWORD src1_sel:WORD_1
	v_and_b32_e32 v10, 0x80000000, v10
	v_or3_b32 v21, v23, v10, v21
.LBB395_1109:                           ;   in Loop: Header=BB395_1055 Depth=1
	s_or_b32 exec_lo, exec_lo, s13
.LBB395_1110:                           ;   in Loop: Header=BB395_1055 Depth=1
	s_or_b32 exec_lo, exec_lo, s12
.LBB395_1111:                           ;   in Loop: Header=BB395_1055 Depth=1
	s_or_b32 exec_lo, exec_lo, s4
	v_mov_b32_e32 v10, 0
	s_mov_b32 s4, exec_lo
	v_cmpx_lt_u64_e64 s[8:9], v[19:20]
	s_cbranch_execz .LBB395_1119
; %bb.1112:                             ;   in Loop: Header=BB395_1055 Depth=1
	v_cmp_ne_u32_sdwa s13, v20, v68 src0_sel:BYTE_3 src1_sel:DWORD
	v_bfrev_b32_e32 v10, 1
	s_and_saveexec_b32 s12, s13
	s_cbranch_execz .LBB395_1118
; %bb.1113:                             ;   in Loop: Header=BB395_1055 Depth=1
	v_bfe_u32 v23, v20, 24, 7
	v_mov_b32_e32 v10, 0x7f800001
	s_mov_b32 s13, exec_lo
	v_cmpx_ne_u32_e32 0x7f, v23
	s_cbranch_execz .LBB395_1117
; %bb.1114:                             ;   in Loop: Header=BB395_1055 Depth=1
	v_mov_b32_e32 v10, 7
	v_lshrrev_b32_e32 v19, 3, v23
	v_cmp_gt_u32_e32 vcc_lo, 8, v23
	v_and_b32_sdwa v10, v20, v10 dst_sel:DWORD dst_unused:UNUSED_PAD src0_sel:BYTE_3 src1_sel:DWORD
	v_mov_b32_e32 v24, v11
	v_mov_b32_e32 v23, v10
	s_and_saveexec_b32 s15, vcc_lo
; %bb.1115:                             ;   in Loop: Header=BB395_1055 Depth=1
	v_ffbh_u32_e32 v19, v10
	v_min_u32_e32 v19, 32, v19
	v_subrev_nc_u32_e32 v23, 28, v19
	v_sub_nc_u32_e32 v19, 29, v19
	v_lshlrev_b64 v[23:24], v23, v[10:11]
	v_and_b32_e32 v23, 7, v23
; %bb.1116:                             ;   in Loop: Header=BB395_1055 Depth=1
	s_or_b32 exec_lo, exec_lo, s15
	v_mov_b32_e32 v10, 24
	v_lshl_add_u32 v19, v19, 23, 0x3c000000
	v_lshlrev_b32_sdwa v10, v10, v20 dst_sel:DWORD dst_unused:UNUSED_PAD src0_sel:DWORD src1_sel:BYTE_3
	v_lshlrev_b32_e32 v20, 20, v23
	v_and_b32_e32 v10, 0x80000000, v10
	v_or3_b32 v10, v20, v10, v19
.LBB395_1117:                           ;   in Loop: Header=BB395_1055 Depth=1
	s_or_b32 exec_lo, exec_lo, s13
.LBB395_1118:                           ;   in Loop: Header=BB395_1055 Depth=1
	s_or_b32 exec_lo, exec_lo, s12
.LBB395_1119:                           ;   in Loop: Header=BB395_1055 Depth=1
	s_or_b32 exec_lo, exec_lo, s4
	v_mul_f32_e32 v19, v26, v22
	s_clause 0x2
	buffer_load_dword v22, off, s[0:3], s32 offset:192
	buffer_load_dword v23, off, s[0:3], s32 offset:196
	;; [unrolled: 1-line block ×3, first 2 shown]
	v_mul_f32_e32 v16, v26, v16
	v_mul_f32_e32 v13, v26, v13
	;; [unrolled: 1-line block ×3, first 2 shown]
	v_cmp_u_f32_e64 s4, v19, v19
	v_mul_f32_e32 v5, v26, v5
	s_waitcnt vmcnt(1)
	v_bfe_u32 v23, v16, 16, 1
	v_or_b32_e32 v24, 0x400000, v16
	v_bfe_u32 v25, v13, 16, 1
	v_or_b32_e32 v27, 0x400000, v13
	v_mul_f32_e32 v4, v26, v4
	v_add3_u32 v23, v23, v16, 0x7fff
	v_mul_f32_e32 v10, v26, v10
	v_add_nc_u32_e32 v57, -7, v66
	v_add_nc_u32_e32 v63, -6, v66
	;; [unrolled: 1-line block ×7, first 2 shown]
	s_waitcnt vmcnt(0)
	v_cmp_eq_u32_e32 vcc_lo, v20, v22
	v_bfe_u32 v20, v19, 16, 1
	v_or_b32_e32 v22, 0x400000, v19
	v_add3_u32 v20, v20, v19, 0x7fff
	v_cndmask_b32_e64 v19, v20, v22, s4
	v_cmp_u_f32_e64 s4, v16, v16
	v_add3_u32 v22, v25, v13, 0x7fff
	v_bfe_u32 v20, v12, 16, 1
	v_lshrrev_b32_e32 v19, 16, v19
	v_cndmask_b32_e64 v16, v23, v24, s4
	v_cmp_u_f32_e64 s4, v13, v13
	v_or_b32_e32 v23, 0x400000, v10
	buffer_store_dword v19, off, s[0:3], s32 offset:212 ; 4-byte Folded Spill
	v_add3_u32 v19, v20, v12, 0x7fff
	v_cndmask_b32_e64 v13, v22, v27, s4
	v_or_b32_e32 v20, 0x400000, v12
	v_lshrrev_b32_e32 v16, 16, v16
	v_cmp_u_f32_e64 s4, v12, v12
	v_lshrrev_b32_e32 v13, 16, v13
	buffer_store_dword v16, off, s[0:3], s32 offset:204 ; 4-byte Folded Spill
	v_cndmask_b32_e64 v12, v19, v20, s4
	v_mul_f32_e32 v16, v26, v21
	buffer_store_dword v13, off, s[0:3], s32 offset:216 ; 4-byte Folded Spill
	v_bfe_u32 v13, v5, 16, 1
	v_or_b32_e32 v19, 0x400000, v5
	v_bfe_u32 v20, v4, 16, 1
	v_cmp_u_f32_e64 s4, v5, v5
	v_bfe_u32 v21, v16, 16, 1
	v_add3_u32 v13, v13, v5, 0x7fff
	v_or_b32_e32 v22, 0x400000, v16
	v_lshrrev_b32_e32 v12, 16, v12
	v_add3_u32 v21, v21, v16, 0x7fff
	v_cndmask_b32_e64 v5, v13, v19, s4
	v_add3_u32 v19, v20, v4, 0x7fff
	v_or_b32_e32 v20, 0x400000, v4
	v_cmp_u_f32_e64 s4, v4, v4
	v_bfe_u32 v13, v10, 16, 1
	v_lshrrev_b32_e32 v5, 16, v5
	buffer_store_dword v12, off, s[0:3], s32 offset:220 ; 4-byte Folded Spill
	v_cndmask_b32_e64 v4, v19, v20, s4
	v_cmp_u_f32_e64 s4, v16, v16
	v_add3_u32 v13, v13, v10, 0x7fff
	buffer_store_dword v5, off, s[0:3], s32 offset:228 ; 4-byte Folded Spill
	v_lshrrev_b32_e32 v4, 16, v4
	v_cndmask_b32_e64 v16, v21, v22, s4
	v_cmp_u_f32_e64 s4, v10, v10
	buffer_store_dword v4, off, s[0:3], s32 offset:224 ; 4-byte Folded Spill
	v_lshrrev_b32_e32 v4, 16, v16
	v_cndmask_b32_e64 v10, v13, v23, s4
	buffer_store_dword v4, off, s[0:3], s32 offset:200 ; 4-byte Folded Spill
	v_lshrrev_b32_e32 v4, 16, v10
	buffer_store_dword v4, off, s[0:3], s32 offset:208 ; 4-byte Folded Spill
	s_and_saveexec_b32 s12, vcc_lo
	s_cbranch_execz .LBB395_1121
; %bb.1120:                             ;   in Loop: Header=BB395_1055 Depth=1
	buffer_load_dword v4, off, s[0:3], s32 offset:224 ; 4-byte Folded Reload
	v_cmp_lt_i32_e64 s4, v57, v36
	s_waitcnt vmcnt(0)
	v_cndmask_b32_e64 v4, 0, v4, s4
	v_cmp_lt_i32_e64 s4, v63, v36
	buffer_store_dword v4, off, s[0:3], s32 offset:224 ; 4-byte Folded Spill
	buffer_load_dword v4, off, s[0:3], s32 offset:228 ; 4-byte Folded Reload
	s_waitcnt vmcnt(0)
	v_cndmask_b32_e64 v4, 0, v4, s4
	v_cmp_lt_i32_e64 s4, v62, v36
	buffer_store_dword v4, off, s[0:3], s32 offset:228 ; 4-byte Folded Spill
	buffer_load_dword v4, off, s[0:3], s32 offset:220 ; 4-byte Folded Reload
	;; [unrolled: 5-line block ×7, first 2 shown]
	s_waitcnt vmcnt(0)
	v_cndmask_b32_e64 v4, 0, v4, s4
	buffer_store_dword v4, off, s[0:3], s32 offset:208 ; 4-byte Folded Spill
.LBB395_1121:                           ;   in Loop: Header=BB395_1055 Depth=1
	s_or_b32 exec_lo, exec_lo, s12
	flat_load_dwordx2 v[19:20], v[17:18] offset:256
	v_mov_b32_e32 v5, 0
	v_mov_b32_e32 v4, 0
	s_waitcnt vmcnt(0) lgkmcnt(0)
	v_cmp_ne_u16_sdwa s4, v19, v11 src0_sel:BYTE_0 src1_sel:DWORD
	s_and_saveexec_b32 s12, s4
	s_cbranch_execz .LBB395_1129
; %bb.1122:                             ;   in Loop: Header=BB395_1055 Depth=1
	v_cmp_ne_u16_sdwa s4, v19, v68 src0_sel:BYTE_0 src1_sel:DWORD
	v_bfrev_b32_e32 v4, 1
	s_and_saveexec_b32 s13, s4
	s_cbranch_execz .LBB395_1128
; %bb.1123:                             ;   in Loop: Header=BB395_1055 Depth=1
	v_and_b32_e32 v10, 0x7f, v19
	v_mov_b32_e32 v4, 0x7f800001
	s_mov_b32 s15, exec_lo
	v_cmpx_ne_u32_e32 0x7f, v10
	s_cbranch_execz .LBB395_1127
; %bb.1124:                             ;   in Loop: Header=BB395_1055 Depth=1
	v_mov_b32_e32 v24, v20
	v_lshrrev_b32_e32 v4, 3, v10
	v_mov_b32_e32 v23, v19
	s_mov_b32 s18, exec_lo
	v_cmpx_gt_u32_e32 8, v10
; %bb.1125:                             ;   in Loop: Header=BB395_1055 Depth=1
	v_and_b32_e32 v4, 7, v19
	v_ffbh_u32_e32 v4, v4
	v_min_u32_e32 v4, 32, v4
	v_subrev_nc_u32_e32 v10, 28, v4
	v_sub_nc_u32_e32 v4, 29, v4
	v_lshlrev_b64 v[23:24], v10, v[19:20]
; %bb.1126:                             ;   in Loop: Header=BB395_1055 Depth=1
	s_or_b32 exec_lo, exec_lo, s18
	v_lshlrev_b32_e32 v10, 20, v23
	v_lshlrev_b32_e32 v12, 24, v19
	v_lshl_add_u32 v4, v4, 23, 0x3c000000
	v_and_b32_e32 v10, 0x700000, v10
	v_and_b32_e32 v12, 0x80000000, v12
	v_or3_b32 v4, v10, v12, v4
.LBB395_1127:                           ;   in Loop: Header=BB395_1055 Depth=1
	s_or_b32 exec_lo, exec_lo, s15
.LBB395_1128:                           ;   in Loop: Header=BB395_1055 Depth=1
	s_or_b32 exec_lo, exec_lo, s13
.LBB395_1129:                           ;   in Loop: Header=BB395_1055 Depth=1
	s_or_b32 exec_lo, exec_lo, s12
	v_cmp_ne_u16_sdwa s4, v19, v11 src0_sel:BYTE_1 src1_sel:DWORD
	s_and_saveexec_b32 s12, s4
	s_cbranch_execz .LBB395_1137
; %bb.1130:                             ;   in Loop: Header=BB395_1055 Depth=1
	v_cmp_ne_u16_sdwa s4, v19, v68 src0_sel:BYTE_1 src1_sel:DWORD
	v_bfrev_b32_e32 v5, 1
	s_and_saveexec_b32 s13, s4
	s_cbranch_execz .LBB395_1136
; %bb.1131:                             ;   in Loop: Header=BB395_1055 Depth=1
	v_mov_b32_e32 v5, 0xffff
	s_mov_b32 s15, exec_lo
	v_and_b32_sdwa v10, v5, v19 dst_sel:DWORD dst_unused:UNUSED_PAD src0_sel:DWORD src1_sel:BYTE_1
	v_mov_b32_e32 v5, 0x7f800001
	v_and_b32_e32 v12, 0x7f, v10
	v_cmpx_ne_u32_e32 0x7f, v12
	s_cbranch_execz .LBB395_1135
; %bb.1132:                             ;   in Loop: Header=BB395_1055 Depth=1
	v_and_b32_e32 v10, 7, v10
	v_mov_b32_e32 v24, v11
	v_lshrrev_b32_e32 v5, 3, v12
	s_mov_b32 s18, exec_lo
	v_mov_b32_e32 v23, v10
	v_cmpx_gt_u32_e32 8, v12
; %bb.1133:                             ;   in Loop: Header=BB395_1055 Depth=1
	v_ffbh_u32_e32 v5, v10
	v_min_u32_e32 v5, 32, v5
	v_subrev_nc_u32_e32 v12, 28, v5
	v_sub_nc_u32_e32 v5, 29, v5
	v_lshlrev_b64 v[12:13], v12, v[10:11]
	v_and_b32_e32 v23, 7, v12
; %bb.1134:                             ;   in Loop: Header=BB395_1055 Depth=1
	s_or_b32 exec_lo, exec_lo, s18
	v_lshlrev_b32_e32 v10, 16, v19
	v_lshlrev_b32_e32 v12, 20, v23
	v_lshl_add_u32 v5, v5, 23, 0x3c000000
	v_and_b32_e32 v10, 0x80000000, v10
	v_or3_b32 v5, v12, v10, v5
.LBB395_1135:                           ;   in Loop: Header=BB395_1055 Depth=1
	s_or_b32 exec_lo, exec_lo, s15
.LBB395_1136:                           ;   in Loop: Header=BB395_1055 Depth=1
	s_or_b32 exec_lo, exec_lo, s13
.LBB395_1137:                           ;   in Loop: Header=BB395_1055 Depth=1
	s_or_b32 exec_lo, exec_lo, s12
	v_and_b32_sdwa v10, v19, v70 dst_sel:DWORD dst_unused:UNUSED_PAD src0_sel:WORD_1 src1_sel:DWORD
	v_mov_b32_e32 v13, 0
	v_mov_b32_e32 v12, 0
	s_mov_b32 s12, exec_lo
	v_cmpx_ne_u16_e32 0, v10
	s_cbranch_execz .LBB395_1145
; %bb.1138:                             ;   in Loop: Header=BB395_1055 Depth=1
	v_bfrev_b32_e32 v12, 1
	s_mov_b32 s13, exec_lo
	v_cmpx_ne_u16_e32 0x80, v10
	s_cbranch_execz .LBB395_1144
; %bb.1139:                             ;   in Loop: Header=BB395_1055 Depth=1
	v_bfe_u32 v16, v19, 16, 7
	v_mov_b32_e32 v12, 0x7f800001
	s_mov_b32 s15, exec_lo
	v_cmpx_ne_u32_e32 0x7f, v16
	s_cbranch_execz .LBB395_1143
; %bb.1140:                             ;   in Loop: Header=BB395_1055 Depth=1
	v_mov_b32_e32 v10, 7
	v_lshrrev_b32_e32 v12, 3, v16
	s_mov_b32 s18, exec_lo
	v_and_b32_sdwa v10, v19, v10 dst_sel:DWORD dst_unused:UNUSED_PAD src0_sel:WORD_1 src1_sel:DWORD
	v_mov_b32_e32 v24, v11
	v_mov_b32_e32 v23, v10
	v_cmpx_gt_u32_e32 8, v16
; %bb.1141:                             ;   in Loop: Header=BB395_1055 Depth=1
	v_ffbh_u32_e32 v12, v10
	v_min_u32_e32 v12, 32, v12
	v_subrev_nc_u32_e32 v16, 28, v12
	v_sub_nc_u32_e32 v12, 29, v12
	v_lshlrev_b64 v[21:22], v16, v[10:11]
	v_and_b32_e32 v23, 7, v21
; %bb.1142:                             ;   in Loop: Header=BB395_1055 Depth=1
	s_or_b32 exec_lo, exec_lo, s18
	v_mov_b32_e32 v10, 24
	v_lshlrev_b32_e32 v16, 20, v23
	v_lshl_add_u32 v12, v12, 23, 0x3c000000
	v_lshlrev_b32_sdwa v10, v10, v19 dst_sel:DWORD dst_unused:UNUSED_PAD src0_sel:DWORD src1_sel:WORD_1
	v_and_b32_e32 v10, 0x80000000, v10
	v_or3_b32 v12, v16, v10, v12
.LBB395_1143:                           ;   in Loop: Header=BB395_1055 Depth=1
	s_or_b32 exec_lo, exec_lo, s15
.LBB395_1144:                           ;   in Loop: Header=BB395_1055 Depth=1
	s_or_b32 exec_lo, exec_lo, s13
.LBB395_1145:                           ;   in Loop: Header=BB395_1055 Depth=1
	s_or_b32 exec_lo, exec_lo, s12
	s_mov_b32 s12, exec_lo
	v_cmpx_lt_u32_e32 0xffffff, v19
	s_cbranch_execz .LBB395_1153
; %bb.1146:                             ;   in Loop: Header=BB395_1055 Depth=1
	v_cmp_ne_u32_sdwa s4, v19, v68 src0_sel:BYTE_3 src1_sel:DWORD
	v_bfrev_b32_e32 v13, 1
	s_and_saveexec_b32 s13, s4
	s_cbranch_execz .LBB395_1152
; %bb.1147:                             ;   in Loop: Header=BB395_1055 Depth=1
	v_bfe_u32 v16, v19, 24, 7
	v_mov_b32_e32 v13, 0x7f800001
	s_mov_b32 s15, exec_lo
	v_cmpx_ne_u32_e32 0x7f, v16
	s_cbranch_execz .LBB395_1151
; %bb.1148:                             ;   in Loop: Header=BB395_1055 Depth=1
	v_mov_b32_e32 v10, 7
	v_lshrrev_b32_e32 v13, 3, v16
	s_mov_b32 s18, exec_lo
	v_and_b32_sdwa v10, v19, v10 dst_sel:DWORD dst_unused:UNUSED_PAD src0_sel:BYTE_3 src1_sel:DWORD
	v_mov_b32_e32 v24, v11
	v_mov_b32_e32 v23, v10
	v_cmpx_gt_u32_e32 8, v16
; %bb.1149:                             ;   in Loop: Header=BB395_1055 Depth=1
	v_ffbh_u32_e32 v13, v10
	v_min_u32_e32 v13, 32, v13
	v_subrev_nc_u32_e32 v16, 28, v13
	v_sub_nc_u32_e32 v13, 29, v13
	v_lshlrev_b64 v[21:22], v16, v[10:11]
	v_and_b32_e32 v23, 7, v21
; %bb.1150:                             ;   in Loop: Header=BB395_1055 Depth=1
	s_or_b32 exec_lo, exec_lo, s18
	v_mov_b32_e32 v10, 24
	v_lshlrev_b32_e32 v16, 20, v23
	v_lshl_add_u32 v13, v13, 23, 0x3c000000
	v_lshlrev_b32_sdwa v10, v10, v19 dst_sel:DWORD dst_unused:UNUSED_PAD src0_sel:DWORD src1_sel:BYTE_3
	v_and_b32_e32 v10, 0x80000000, v10
	v_or3_b32 v13, v16, v10, v13
.LBB395_1151:                           ;   in Loop: Header=BB395_1055 Depth=1
	s_or_b32 exec_lo, exec_lo, s15
.LBB395_1152:                           ;   in Loop: Header=BB395_1055 Depth=1
	s_or_b32 exec_lo, exec_lo, s13
.LBB395_1153:                           ;   in Loop: Header=BB395_1055 Depth=1
	s_or_b32 exec_lo, exec_lo, s12
	v_mov_b32_e32 v10, v20
	v_cmp_ne_u16_sdwa s4, v20, v11 src0_sel:BYTE_0 src1_sel:DWORD
	v_mov_b32_e32 v21, 0
	v_mov_b32_e32 v16, 0
	s_and_saveexec_b32 s12, s4
	s_cbranch_execz .LBB395_1161
; %bb.1154:                             ;   in Loop: Header=BB395_1055 Depth=1
	v_cmp_ne_u16_sdwa s4, v20, v68 src0_sel:BYTE_0 src1_sel:DWORD
	v_bfrev_b32_e32 v16, 1
	s_and_saveexec_b32 s13, s4
	s_cbranch_execz .LBB395_1160
; %bb.1155:                             ;   in Loop: Header=BB395_1055 Depth=1
	v_and_b32_e32 v22, 0x7f, v20
	v_mov_b32_e32 v16, 0x7f800001
	s_mov_b32 s15, exec_lo
	v_cmpx_ne_u32_e32 0x7f, v22
	s_cbranch_execz .LBB395_1159
; %bb.1156:                             ;   in Loop: Header=BB395_1055 Depth=1
	v_mov_b32_e32 v24, v11
	v_lshrrev_b32_e32 v16, 3, v22
	v_mov_b32_e32 v23, v10
	s_mov_b32 s18, exec_lo
	v_cmpx_gt_u32_e32 8, v22
; %bb.1157:                             ;   in Loop: Header=BB395_1055 Depth=1
	v_and_b32_e32 v16, 7, v20
	v_ffbh_u32_e32 v16, v16
	v_min_u32_e32 v16, 32, v16
	v_subrev_nc_u32_e32 v22, 28, v16
	v_sub_nc_u32_e32 v16, 29, v16
	v_lshlrev_b64 v[23:24], v22, v[10:11]
; %bb.1158:                             ;   in Loop: Header=BB395_1055 Depth=1
	s_or_b32 exec_lo, exec_lo, s18
	v_lshlrev_b32_e32 v22, 20, v23
	v_lshlrev_b32_e32 v23, 24, v10
	v_lshl_add_u32 v16, v16, 23, 0x3c000000
	v_and_b32_e32 v22, 0x700000, v22
	v_and_b32_e32 v23, 0x80000000, v23
	v_or3_b32 v16, v22, v23, v16
.LBB395_1159:                           ;   in Loop: Header=BB395_1055 Depth=1
	s_or_b32 exec_lo, exec_lo, s15
.LBB395_1160:                           ;   in Loop: Header=BB395_1055 Depth=1
	s_or_b32 exec_lo, exec_lo, s13
.LBB395_1161:                           ;   in Loop: Header=BB395_1055 Depth=1
	s_or_b32 exec_lo, exec_lo, s12
	v_cmp_ne_u16_sdwa s4, v10, v11 src0_sel:BYTE_1 src1_sel:DWORD
	s_and_saveexec_b32 s12, s4
	s_cbranch_execz .LBB395_1169
; %bb.1162:                             ;   in Loop: Header=BB395_1055 Depth=1
	v_cmp_ne_u16_sdwa s4, v10, v68 src0_sel:BYTE_1 src1_sel:DWORD
	v_bfrev_b32_e32 v21, 1
	s_and_saveexec_b32 s13, s4
	s_cbranch_execz .LBB395_1168
; %bb.1163:                             ;   in Loop: Header=BB395_1055 Depth=1
	v_mov_b32_e32 v21, 0xffff
	s_mov_b32 s15, exec_lo
	v_and_b32_sdwa v23, v21, v10 dst_sel:DWORD dst_unused:UNUSED_PAD src0_sel:DWORD src1_sel:BYTE_1
	v_mov_b32_e32 v21, 0x7f800001
	v_and_b32_e32 v22, 0x7f, v23
	v_cmpx_ne_u32_e32 0x7f, v22
	s_cbranch_execz .LBB395_1167
; %bb.1164:                             ;   in Loop: Header=BB395_1055 Depth=1
	v_and_b32_e32 v23, 7, v23
	v_mov_b32_e32 v24, v11
	v_lshrrev_b32_e32 v21, 3, v22
	s_mov_b32 s18, exec_lo
	v_cmpx_gt_u32_e32 8, v22
; %bb.1165:                             ;   in Loop: Header=BB395_1055 Depth=1
	v_ffbh_u32_e32 v21, v23
	v_min_u32_e32 v21, 32, v21
	v_subrev_nc_u32_e32 v22, 28, v21
	v_sub_nc_u32_e32 v21, 29, v21
	v_lshlrev_b64 v[22:23], v22, v[23:24]
	v_and_b32_e32 v23, 7, v22
; %bb.1166:                             ;   in Loop: Header=BB395_1055 Depth=1
	s_or_b32 exec_lo, exec_lo, s18
	v_lshlrev_b32_e32 v10, 16, v10
	v_lshlrev_b32_e32 v22, 20, v23
	v_lshl_add_u32 v21, v21, 23, 0x3c000000
	v_and_b32_e32 v10, 0x80000000, v10
	v_or3_b32 v21, v22, v10, v21
.LBB395_1167:                           ;   in Loop: Header=BB395_1055 Depth=1
	s_or_b32 exec_lo, exec_lo, s15
.LBB395_1168:                           ;   in Loop: Header=BB395_1055 Depth=1
	s_or_b32 exec_lo, exec_lo, s13
.LBB395_1169:                           ;   in Loop: Header=BB395_1055 Depth=1
	s_or_b32 exec_lo, exec_lo, s12
	v_and_b32_sdwa v10, v20, v70 dst_sel:DWORD dst_unused:UNUSED_PAD src0_sel:WORD_1 src1_sel:DWORD
	v_mov_b32_e32 v22, 0
	v_mov_b32_e32 v25, 0
	s_mov_b32 s12, exec_lo
	v_cmpx_ne_u16_e32 0, v10
	s_cbranch_execz .LBB395_1177
; %bb.1170:                             ;   in Loop: Header=BB395_1055 Depth=1
	v_bfrev_b32_e32 v25, 1
	s_mov_b32 s13, exec_lo
	v_cmpx_ne_u16_e32 0x80, v10
	s_cbranch_execz .LBB395_1176
; %bb.1171:                             ;   in Loop: Header=BB395_1055 Depth=1
	v_bfe_u32 v23, v20, 16, 7
	v_mov_b32_e32 v25, 0x7f800001
	s_mov_b32 s15, exec_lo
	v_cmpx_ne_u32_e32 0x7f, v23
	s_cbranch_execz .LBB395_1175
; %bb.1172:                             ;   in Loop: Header=BB395_1055 Depth=1
	v_mov_b32_e32 v10, 7
	v_lshrrev_b32_e32 v25, 3, v23
	v_cmp_gt_u32_e64 s4, 8, v23
	v_and_b32_sdwa v10, v20, v10 dst_sel:DWORD dst_unused:UNUSED_PAD src0_sel:WORD_1 src1_sel:DWORD
	v_mov_b32_e32 v24, v11
	v_mov_b32_e32 v23, v10
	s_and_saveexec_b32 s18, s4
; %bb.1173:                             ;   in Loop: Header=BB395_1055 Depth=1
	v_ffbh_u32_e32 v23, v10
	v_min_u32_e32 v25, 32, v23
	v_subrev_nc_u32_e32 v23, 28, v25
	v_sub_nc_u32_e32 v25, 29, v25
	v_lshlrev_b64 v[23:24], v23, v[10:11]
	v_and_b32_e32 v23, 7, v23
; %bb.1174:                             ;   in Loop: Header=BB395_1055 Depth=1
	s_or_b32 exec_lo, exec_lo, s18
	v_mov_b32_e32 v10, 24
	v_lshlrev_b32_e32 v23, 20, v23
	v_lshl_add_u32 v24, v25, 23, 0x3c000000
	v_lshlrev_b32_sdwa v10, v10, v20 dst_sel:DWORD dst_unused:UNUSED_PAD src0_sel:DWORD src1_sel:WORD_1
	v_and_b32_e32 v10, 0x80000000, v10
	v_or3_b32 v25, v23, v10, v24
.LBB395_1175:                           ;   in Loop: Header=BB395_1055 Depth=1
	s_or_b32 exec_lo, exec_lo, s15
.LBB395_1176:                           ;   in Loop: Header=BB395_1055 Depth=1
	s_or_b32 exec_lo, exec_lo, s13
.LBB395_1177:                           ;   in Loop: Header=BB395_1055 Depth=1
	s_or_b32 exec_lo, exec_lo, s12
	s_mov_b32 s12, exec_lo
	v_cmpx_lt_u64_e64 s[8:9], v[19:20]
	s_cbranch_execz .LBB395_1185
; %bb.1178:                             ;   in Loop: Header=BB395_1055 Depth=1
	v_cmp_ne_u32_sdwa s4, v20, v68 src0_sel:BYTE_3 src1_sel:DWORD
	v_bfrev_b32_e32 v22, 1
	s_and_saveexec_b32 s13, s4
	s_cbranch_execz .LBB395_1184
; %bb.1179:                             ;   in Loop: Header=BB395_1055 Depth=1
	v_bfe_u32 v23, v20, 24, 7
	v_mov_b32_e32 v22, 0x7f800001
	s_mov_b32 s15, exec_lo
	v_cmpx_ne_u32_e32 0x7f, v23
	s_cbranch_execz .LBB395_1183
; %bb.1180:                             ;   in Loop: Header=BB395_1055 Depth=1
	v_mov_b32_e32 v10, 7
	v_lshrrev_b32_e32 v19, 3, v23
	v_cmp_gt_u32_e64 s4, 8, v23
	v_and_b32_sdwa v10, v20, v10 dst_sel:DWORD dst_unused:UNUSED_PAD src0_sel:BYTE_3 src1_sel:DWORD
	v_mov_b32_e32 v24, v11
	v_mov_b32_e32 v23, v10
	s_and_saveexec_b32 s18, s4
; %bb.1181:                             ;   in Loop: Header=BB395_1055 Depth=1
	v_ffbh_u32_e32 v19, v10
	v_min_u32_e32 v19, 32, v19
	v_subrev_nc_u32_e32 v22, 28, v19
	v_sub_nc_u32_e32 v19, 29, v19
	v_lshlrev_b64 v[22:23], v22, v[10:11]
	v_and_b32_e32 v23, 7, v22
; %bb.1182:                             ;   in Loop: Header=BB395_1055 Depth=1
	s_or_b32 exec_lo, exec_lo, s18
	v_mov_b32_e32 v10, 24
	v_lshl_add_u32 v19, v19, 23, 0x3c000000
	v_lshlrev_b32_sdwa v10, v10, v20 dst_sel:DWORD dst_unused:UNUSED_PAD src0_sel:DWORD src1_sel:BYTE_3
	v_lshlrev_b32_e32 v20, 20, v23
	v_and_b32_e32 v10, 0x80000000, v10
	v_or3_b32 v22, v20, v10, v19
.LBB395_1183:                           ;   in Loop: Header=BB395_1055 Depth=1
	s_or_b32 exec_lo, exec_lo, s15
.LBB395_1184:                           ;   in Loop: Header=BB395_1055 Depth=1
	s_or_b32 exec_lo, exec_lo, s13
.LBB395_1185:                           ;   in Loop: Header=BB395_1055 Depth=1
	s_or_b32 exec_lo, exec_lo, s12
	v_mul_f32_e32 v10, v26, v21
	v_mul_f32_e32 v16, v26, v16
	;; [unrolled: 1-line block ×5, first 2 shown]
	v_bfe_u32 v19, v10, 16, 1
	v_or_b32_e32 v20, 0x400000, v10
	v_bfe_u32 v21, v16, 16, 1
	v_cmp_u_f32_e64 s4, v10, v10
	v_or_b32_e32 v23, 0x400000, v16
	v_add3_u32 v19, v19, v10, 0x7fff
	v_bfe_u32 v24, v13, 16, 1
	v_add3_u32 v21, v21, v16, 0x7fff
	v_or_b32_e32 v27, 0x400000, v13
	v_bfe_u32 v28, v12, 16, 1
	v_cndmask_b32_e64 v10, v19, v20, s4
	v_cmp_u_f32_e64 s4, v16, v16
	v_add3_u32 v24, v24, v13, 0x7fff
	v_or_b32_e32 v19, 0x400000, v12
	v_mul_f32_e32 v4, v26, v4
	v_lshrrev_b32_e32 v10, 16, v10
	v_cndmask_b32_e64 v16, v21, v23, s4
	v_cmp_u_f32_e64 s4, v13, v13
	v_bfe_u32 v20, v4, 16, 1
	buffer_store_dword v10, off, s[0:3], s32 offset:244 ; 4-byte Folded Spill
	v_add3_u32 v10, v28, v12, 0x7fff
	v_cndmask_b32_e64 v13, v24, v27, s4
	v_lshrrev_b32_e32 v16, 16, v16
	v_cmp_u_f32_e64 s4, v12, v12
	v_mul_f32_e32 v12, v26, v25
	v_lshrrev_b32_e32 v13, 16, v13
	buffer_store_dword v16, off, s[0:3], s32 offset:236 ; 4-byte Folded Spill
	v_cndmask_b32_e64 v10, v10, v19, s4
	v_or_b32_e32 v16, 0x400000, v5
	v_cmp_u_f32_e64 s4, v5, v5
	buffer_store_dword v13, off, s[0:3], s32 offset:248 ; 4-byte Folded Spill
	v_bfe_u32 v13, v5, 16, 1
	v_mul_f32_e32 v19, v26, v22
	v_bfe_u32 v21, v12, 16, 1
	v_or_b32_e32 v22, 0x400000, v12
	v_lshrrev_b32_e32 v10, 16, v10
	v_add3_u32 v13, v13, v5, 0x7fff
	v_or_b32_e32 v23, 0x400000, v19
	v_add3_u32 v21, v21, v12, 0x7fff
	buffer_store_dword v10, off, s[0:3], s32 offset:252 ; 4-byte Folded Spill
	v_cndmask_b32_e64 v5, v13, v16, s4
	v_add3_u32 v16, v20, v4, 0x7fff
	v_or_b32_e32 v20, 0x400000, v4
	v_cmp_u_f32_e64 s4, v4, v4
	v_bfe_u32 v13, v19, 16, 1
	v_lshrrev_b32_e32 v5, 16, v5
	v_cndmask_b32_e64 v4, v16, v20, s4
	v_cmp_u_f32_e64 s4, v12, v12
	v_add3_u32 v13, v13, v19, 0x7fff
	buffer_store_dword v5, off, s[0:3], s32 offset:260 ; 4-byte Folded Spill
	v_lshrrev_b32_e32 v4, 16, v4
	v_cndmask_b32_e64 v12, v21, v22, s4
	v_cmp_u_f32_e64 s4, v19, v19
	buffer_store_dword v4, off, s[0:3], s32 offset:256 ; 4-byte Folded Spill
	v_lshrrev_b32_e32 v4, 16, v12
	v_cndmask_b32_e64 v13, v13, v23, s4
	buffer_store_dword v4, off, s[0:3], s32 offset:232 ; 4-byte Folded Spill
	v_lshrrev_b32_e32 v4, 16, v13
	buffer_store_dword v4, off, s[0:3], s32 offset:240 ; 4-byte Folded Spill
	s_and_saveexec_b32 s12, vcc_lo
	s_cbranch_execz .LBB395_1187
; %bb.1186:                             ;   in Loop: Header=BB395_1055 Depth=1
	buffer_load_dword v4, off, s[0:3], s32 offset:256 ; 4-byte Folded Reload
	v_cmp_lt_i32_e64 s4, v57, v36
	s_waitcnt vmcnt(0)
	v_cndmask_b32_e64 v4, 0, v4, s4
	v_cmp_lt_i32_e64 s4, v63, v36
	buffer_store_dword v4, off, s[0:3], s32 offset:256 ; 4-byte Folded Spill
	buffer_load_dword v4, off, s[0:3], s32 offset:260 ; 4-byte Folded Reload
	s_waitcnt vmcnt(0)
	v_cndmask_b32_e64 v4, 0, v4, s4
	v_cmp_lt_i32_e64 s4, v62, v36
	buffer_store_dword v4, off, s[0:3], s32 offset:260 ; 4-byte Folded Spill
	buffer_load_dword v4, off, s[0:3], s32 offset:252 ; 4-byte Folded Reload
	;; [unrolled: 5-line block ×7, first 2 shown]
	s_waitcnt vmcnt(0)
	v_cndmask_b32_e64 v4, 0, v4, s4
	buffer_store_dword v4, off, s[0:3], s32 offset:240 ; 4-byte Folded Spill
.LBB395_1187:                           ;   in Loop: Header=BB395_1055 Depth=1
	s_or_b32 exec_lo, exec_lo, s12
	flat_load_dwordx2 v[19:20], v[17:18] offset:512
	v_mov_b32_e32 v5, 0
	v_mov_b32_e32 v4, 0
	s_waitcnt vmcnt(0) lgkmcnt(0)
	v_cmp_ne_u16_sdwa s4, v19, v11 src0_sel:BYTE_0 src1_sel:DWORD
	s_and_saveexec_b32 s12, s4
	s_cbranch_execz .LBB395_1195
; %bb.1188:                             ;   in Loop: Header=BB395_1055 Depth=1
	v_cmp_ne_u16_sdwa s4, v19, v68 src0_sel:BYTE_0 src1_sel:DWORD
	v_bfrev_b32_e32 v4, 1
	s_and_saveexec_b32 s13, s4
	s_cbranch_execz .LBB395_1194
; %bb.1189:                             ;   in Loop: Header=BB395_1055 Depth=1
	v_and_b32_e32 v10, 0x7f, v19
	v_mov_b32_e32 v4, 0x7f800001
	s_mov_b32 s15, exec_lo
	v_cmpx_ne_u32_e32 0x7f, v10
	s_cbranch_execz .LBB395_1193
; %bb.1190:                             ;   in Loop: Header=BB395_1055 Depth=1
	v_mov_b32_e32 v24, v20
	v_lshrrev_b32_e32 v4, 3, v10
	v_mov_b32_e32 v23, v19
	s_mov_b32 s18, exec_lo
	v_cmpx_gt_u32_e32 8, v10
; %bb.1191:                             ;   in Loop: Header=BB395_1055 Depth=1
	v_and_b32_e32 v4, 7, v19
	v_ffbh_u32_e32 v4, v4
	v_min_u32_e32 v4, 32, v4
	v_subrev_nc_u32_e32 v10, 28, v4
	v_sub_nc_u32_e32 v4, 29, v4
	v_lshlrev_b64 v[23:24], v10, v[19:20]
; %bb.1192:                             ;   in Loop: Header=BB395_1055 Depth=1
	s_or_b32 exec_lo, exec_lo, s18
	v_lshlrev_b32_e32 v10, 20, v23
	v_lshlrev_b32_e32 v12, 24, v19
	v_lshl_add_u32 v4, v4, 23, 0x3c000000
	v_and_b32_e32 v10, 0x700000, v10
	v_and_b32_e32 v12, 0x80000000, v12
	v_or3_b32 v4, v10, v12, v4
.LBB395_1193:                           ;   in Loop: Header=BB395_1055 Depth=1
	s_or_b32 exec_lo, exec_lo, s15
.LBB395_1194:                           ;   in Loop: Header=BB395_1055 Depth=1
	s_or_b32 exec_lo, exec_lo, s13
.LBB395_1195:                           ;   in Loop: Header=BB395_1055 Depth=1
	s_or_b32 exec_lo, exec_lo, s12
	v_cmp_ne_u16_sdwa s4, v19, v11 src0_sel:BYTE_1 src1_sel:DWORD
	s_and_saveexec_b32 s12, s4
	s_cbranch_execz .LBB395_1203
; %bb.1196:                             ;   in Loop: Header=BB395_1055 Depth=1
	v_cmp_ne_u16_sdwa s4, v19, v68 src0_sel:BYTE_1 src1_sel:DWORD
	v_bfrev_b32_e32 v5, 1
	s_and_saveexec_b32 s13, s4
	s_cbranch_execz .LBB395_1202
; %bb.1197:                             ;   in Loop: Header=BB395_1055 Depth=1
	v_mov_b32_e32 v5, 0xffff
	s_mov_b32 s15, exec_lo
	v_and_b32_sdwa v10, v5, v19 dst_sel:DWORD dst_unused:UNUSED_PAD src0_sel:DWORD src1_sel:BYTE_1
	v_mov_b32_e32 v5, 0x7f800001
	v_and_b32_e32 v12, 0x7f, v10
	v_cmpx_ne_u32_e32 0x7f, v12
	s_cbranch_execz .LBB395_1201
; %bb.1198:                             ;   in Loop: Header=BB395_1055 Depth=1
	v_and_b32_e32 v10, 7, v10
	v_mov_b32_e32 v24, v11
	v_lshrrev_b32_e32 v5, 3, v12
	s_mov_b32 s18, exec_lo
	v_mov_b32_e32 v23, v10
	v_cmpx_gt_u32_e32 8, v12
; %bb.1199:                             ;   in Loop: Header=BB395_1055 Depth=1
	v_ffbh_u32_e32 v5, v10
	v_min_u32_e32 v5, 32, v5
	v_subrev_nc_u32_e32 v12, 28, v5
	v_sub_nc_u32_e32 v5, 29, v5
	v_lshlrev_b64 v[12:13], v12, v[10:11]
	v_and_b32_e32 v23, 7, v12
; %bb.1200:                             ;   in Loop: Header=BB395_1055 Depth=1
	s_or_b32 exec_lo, exec_lo, s18
	v_lshlrev_b32_e32 v10, 16, v19
	v_lshlrev_b32_e32 v12, 20, v23
	v_lshl_add_u32 v5, v5, 23, 0x3c000000
	v_and_b32_e32 v10, 0x80000000, v10
	v_or3_b32 v5, v12, v10, v5
.LBB395_1201:                           ;   in Loop: Header=BB395_1055 Depth=1
	s_or_b32 exec_lo, exec_lo, s15
.LBB395_1202:                           ;   in Loop: Header=BB395_1055 Depth=1
	s_or_b32 exec_lo, exec_lo, s13
.LBB395_1203:                           ;   in Loop: Header=BB395_1055 Depth=1
	s_or_b32 exec_lo, exec_lo, s12
	v_and_b32_sdwa v10, v19, v70 dst_sel:DWORD dst_unused:UNUSED_PAD src0_sel:WORD_1 src1_sel:DWORD
	v_mov_b32_e32 v13, 0
	v_mov_b32_e32 v12, 0
	s_mov_b32 s12, exec_lo
	v_cmpx_ne_u16_e32 0, v10
	s_cbranch_execz .LBB395_1211
; %bb.1204:                             ;   in Loop: Header=BB395_1055 Depth=1
	v_bfrev_b32_e32 v12, 1
	s_mov_b32 s13, exec_lo
	v_cmpx_ne_u16_e32 0x80, v10
	s_cbranch_execz .LBB395_1210
; %bb.1205:                             ;   in Loop: Header=BB395_1055 Depth=1
	v_bfe_u32 v16, v19, 16, 7
	v_mov_b32_e32 v12, 0x7f800001
	s_mov_b32 s15, exec_lo
	v_cmpx_ne_u32_e32 0x7f, v16
	s_cbranch_execz .LBB395_1209
; %bb.1206:                             ;   in Loop: Header=BB395_1055 Depth=1
	v_mov_b32_e32 v10, 7
	v_lshrrev_b32_e32 v12, 3, v16
	s_mov_b32 s18, exec_lo
	v_and_b32_sdwa v10, v19, v10 dst_sel:DWORD dst_unused:UNUSED_PAD src0_sel:WORD_1 src1_sel:DWORD
	v_mov_b32_e32 v24, v11
	v_mov_b32_e32 v23, v10
	v_cmpx_gt_u32_e32 8, v16
; %bb.1207:                             ;   in Loop: Header=BB395_1055 Depth=1
	v_ffbh_u32_e32 v12, v10
	v_min_u32_e32 v12, 32, v12
	v_subrev_nc_u32_e32 v16, 28, v12
	v_sub_nc_u32_e32 v12, 29, v12
	v_lshlrev_b64 v[21:22], v16, v[10:11]
	v_and_b32_e32 v23, 7, v21
; %bb.1208:                             ;   in Loop: Header=BB395_1055 Depth=1
	s_or_b32 exec_lo, exec_lo, s18
	v_mov_b32_e32 v10, 24
	v_lshlrev_b32_e32 v16, 20, v23
	v_lshl_add_u32 v12, v12, 23, 0x3c000000
	v_lshlrev_b32_sdwa v10, v10, v19 dst_sel:DWORD dst_unused:UNUSED_PAD src0_sel:DWORD src1_sel:WORD_1
	v_and_b32_e32 v10, 0x80000000, v10
	v_or3_b32 v12, v16, v10, v12
.LBB395_1209:                           ;   in Loop: Header=BB395_1055 Depth=1
	s_or_b32 exec_lo, exec_lo, s15
.LBB395_1210:                           ;   in Loop: Header=BB395_1055 Depth=1
	s_or_b32 exec_lo, exec_lo, s13
.LBB395_1211:                           ;   in Loop: Header=BB395_1055 Depth=1
	s_or_b32 exec_lo, exec_lo, s12
	s_mov_b32 s12, exec_lo
	v_cmpx_lt_u32_e32 0xffffff, v19
	s_cbranch_execz .LBB395_1219
; %bb.1212:                             ;   in Loop: Header=BB395_1055 Depth=1
	v_cmp_ne_u32_sdwa s4, v19, v68 src0_sel:BYTE_3 src1_sel:DWORD
	v_bfrev_b32_e32 v13, 1
	s_and_saveexec_b32 s13, s4
	s_cbranch_execz .LBB395_1218
; %bb.1213:                             ;   in Loop: Header=BB395_1055 Depth=1
	v_bfe_u32 v16, v19, 24, 7
	v_mov_b32_e32 v13, 0x7f800001
	s_mov_b32 s15, exec_lo
	v_cmpx_ne_u32_e32 0x7f, v16
	s_cbranch_execz .LBB395_1217
; %bb.1214:                             ;   in Loop: Header=BB395_1055 Depth=1
	v_mov_b32_e32 v10, 7
	v_lshrrev_b32_e32 v13, 3, v16
	s_mov_b32 s18, exec_lo
	v_and_b32_sdwa v10, v19, v10 dst_sel:DWORD dst_unused:UNUSED_PAD src0_sel:BYTE_3 src1_sel:DWORD
	v_mov_b32_e32 v24, v11
	v_mov_b32_e32 v23, v10
	v_cmpx_gt_u32_e32 8, v16
; %bb.1215:                             ;   in Loop: Header=BB395_1055 Depth=1
	v_ffbh_u32_e32 v13, v10
	v_min_u32_e32 v13, 32, v13
	v_subrev_nc_u32_e32 v16, 28, v13
	v_sub_nc_u32_e32 v13, 29, v13
	v_lshlrev_b64 v[21:22], v16, v[10:11]
	v_and_b32_e32 v23, 7, v21
; %bb.1216:                             ;   in Loop: Header=BB395_1055 Depth=1
	s_or_b32 exec_lo, exec_lo, s18
	v_mov_b32_e32 v10, 24
	v_lshlrev_b32_e32 v16, 20, v23
	v_lshl_add_u32 v13, v13, 23, 0x3c000000
	v_lshlrev_b32_sdwa v10, v10, v19 dst_sel:DWORD dst_unused:UNUSED_PAD src0_sel:DWORD src1_sel:BYTE_3
	v_and_b32_e32 v10, 0x80000000, v10
	v_or3_b32 v13, v16, v10, v13
.LBB395_1217:                           ;   in Loop: Header=BB395_1055 Depth=1
	s_or_b32 exec_lo, exec_lo, s15
.LBB395_1218:                           ;   in Loop: Header=BB395_1055 Depth=1
	s_or_b32 exec_lo, exec_lo, s13
.LBB395_1219:                           ;   in Loop: Header=BB395_1055 Depth=1
	s_or_b32 exec_lo, exec_lo, s12
	v_mov_b32_e32 v10, v20
	v_cmp_ne_u16_sdwa s4, v20, v11 src0_sel:BYTE_0 src1_sel:DWORD
	v_mov_b32_e32 v21, 0
	v_mov_b32_e32 v16, 0
	s_and_saveexec_b32 s12, s4
	s_cbranch_execz .LBB395_1227
; %bb.1220:                             ;   in Loop: Header=BB395_1055 Depth=1
	v_cmp_ne_u16_sdwa s4, v20, v68 src0_sel:BYTE_0 src1_sel:DWORD
	v_bfrev_b32_e32 v16, 1
	s_and_saveexec_b32 s13, s4
	s_cbranch_execz .LBB395_1226
; %bb.1221:                             ;   in Loop: Header=BB395_1055 Depth=1
	v_and_b32_e32 v22, 0x7f, v20
	v_mov_b32_e32 v16, 0x7f800001
	s_mov_b32 s15, exec_lo
	v_cmpx_ne_u32_e32 0x7f, v22
	s_cbranch_execz .LBB395_1225
; %bb.1222:                             ;   in Loop: Header=BB395_1055 Depth=1
	v_mov_b32_e32 v24, v11
	v_lshrrev_b32_e32 v16, 3, v22
	v_mov_b32_e32 v23, v10
	s_mov_b32 s18, exec_lo
	v_cmpx_gt_u32_e32 8, v22
; %bb.1223:                             ;   in Loop: Header=BB395_1055 Depth=1
	v_and_b32_e32 v16, 7, v20
	v_ffbh_u32_e32 v16, v16
	v_min_u32_e32 v16, 32, v16
	v_subrev_nc_u32_e32 v22, 28, v16
	v_sub_nc_u32_e32 v16, 29, v16
	v_lshlrev_b64 v[23:24], v22, v[10:11]
; %bb.1224:                             ;   in Loop: Header=BB395_1055 Depth=1
	s_or_b32 exec_lo, exec_lo, s18
	v_lshlrev_b32_e32 v22, 20, v23
	v_lshlrev_b32_e32 v23, 24, v10
	v_lshl_add_u32 v16, v16, 23, 0x3c000000
	v_and_b32_e32 v22, 0x700000, v22
	v_and_b32_e32 v23, 0x80000000, v23
	v_or3_b32 v16, v22, v23, v16
.LBB395_1225:                           ;   in Loop: Header=BB395_1055 Depth=1
	s_or_b32 exec_lo, exec_lo, s15
.LBB395_1226:                           ;   in Loop: Header=BB395_1055 Depth=1
	s_or_b32 exec_lo, exec_lo, s13
.LBB395_1227:                           ;   in Loop: Header=BB395_1055 Depth=1
	s_or_b32 exec_lo, exec_lo, s12
	v_cmp_ne_u16_sdwa s4, v10, v11 src0_sel:BYTE_1 src1_sel:DWORD
	s_and_saveexec_b32 s12, s4
	s_cbranch_execz .LBB395_1235
; %bb.1228:                             ;   in Loop: Header=BB395_1055 Depth=1
	v_cmp_ne_u16_sdwa s4, v10, v68 src0_sel:BYTE_1 src1_sel:DWORD
	v_bfrev_b32_e32 v21, 1
	s_and_saveexec_b32 s13, s4
	s_cbranch_execz .LBB395_1234
; %bb.1229:                             ;   in Loop: Header=BB395_1055 Depth=1
	v_mov_b32_e32 v21, 0xffff
	s_mov_b32 s15, exec_lo
	v_and_b32_sdwa v23, v21, v10 dst_sel:DWORD dst_unused:UNUSED_PAD src0_sel:DWORD src1_sel:BYTE_1
	v_mov_b32_e32 v21, 0x7f800001
	v_and_b32_e32 v22, 0x7f, v23
	v_cmpx_ne_u32_e32 0x7f, v22
	s_cbranch_execz .LBB395_1233
; %bb.1230:                             ;   in Loop: Header=BB395_1055 Depth=1
	v_and_b32_e32 v23, 7, v23
	v_mov_b32_e32 v24, v11
	v_lshrrev_b32_e32 v21, 3, v22
	s_mov_b32 s18, exec_lo
	v_cmpx_gt_u32_e32 8, v22
; %bb.1231:                             ;   in Loop: Header=BB395_1055 Depth=1
	v_ffbh_u32_e32 v21, v23
	v_min_u32_e32 v21, 32, v21
	v_subrev_nc_u32_e32 v22, 28, v21
	v_sub_nc_u32_e32 v21, 29, v21
	v_lshlrev_b64 v[22:23], v22, v[23:24]
	v_and_b32_e32 v23, 7, v22
; %bb.1232:                             ;   in Loop: Header=BB395_1055 Depth=1
	s_or_b32 exec_lo, exec_lo, s18
	v_lshlrev_b32_e32 v10, 16, v10
	v_lshlrev_b32_e32 v22, 20, v23
	v_lshl_add_u32 v21, v21, 23, 0x3c000000
	v_and_b32_e32 v10, 0x80000000, v10
	v_or3_b32 v21, v22, v10, v21
.LBB395_1233:                           ;   in Loop: Header=BB395_1055 Depth=1
	s_or_b32 exec_lo, exec_lo, s15
.LBB395_1234:                           ;   in Loop: Header=BB395_1055 Depth=1
	s_or_b32 exec_lo, exec_lo, s13
.LBB395_1235:                           ;   in Loop: Header=BB395_1055 Depth=1
	s_or_b32 exec_lo, exec_lo, s12
	v_and_b32_sdwa v10, v20, v70 dst_sel:DWORD dst_unused:UNUSED_PAD src0_sel:WORD_1 src1_sel:DWORD
	v_mov_b32_e32 v22, 0
	v_mov_b32_e32 v25, 0
	s_mov_b32 s12, exec_lo
	v_cmpx_ne_u16_e32 0, v10
	s_cbranch_execz .LBB395_1243
; %bb.1236:                             ;   in Loop: Header=BB395_1055 Depth=1
	v_bfrev_b32_e32 v25, 1
	s_mov_b32 s13, exec_lo
	v_cmpx_ne_u16_e32 0x80, v10
	s_cbranch_execz .LBB395_1242
; %bb.1237:                             ;   in Loop: Header=BB395_1055 Depth=1
	v_bfe_u32 v23, v20, 16, 7
	v_mov_b32_e32 v25, 0x7f800001
	s_mov_b32 s15, exec_lo
	v_cmpx_ne_u32_e32 0x7f, v23
	s_cbranch_execz .LBB395_1241
; %bb.1238:                             ;   in Loop: Header=BB395_1055 Depth=1
	v_mov_b32_e32 v10, 7
	v_lshrrev_b32_e32 v25, 3, v23
	v_cmp_gt_u32_e64 s4, 8, v23
	v_and_b32_sdwa v10, v20, v10 dst_sel:DWORD dst_unused:UNUSED_PAD src0_sel:WORD_1 src1_sel:DWORD
	v_mov_b32_e32 v24, v11
	v_mov_b32_e32 v23, v10
	s_and_saveexec_b32 s18, s4
; %bb.1239:                             ;   in Loop: Header=BB395_1055 Depth=1
	v_ffbh_u32_e32 v23, v10
	v_min_u32_e32 v25, 32, v23
	v_subrev_nc_u32_e32 v23, 28, v25
	v_sub_nc_u32_e32 v25, 29, v25
	v_lshlrev_b64 v[23:24], v23, v[10:11]
	v_and_b32_e32 v23, 7, v23
; %bb.1240:                             ;   in Loop: Header=BB395_1055 Depth=1
	s_or_b32 exec_lo, exec_lo, s18
	v_mov_b32_e32 v10, 24
	v_lshlrev_b32_e32 v23, 20, v23
	v_lshl_add_u32 v24, v25, 23, 0x3c000000
	v_lshlrev_b32_sdwa v10, v10, v20 dst_sel:DWORD dst_unused:UNUSED_PAD src0_sel:DWORD src1_sel:WORD_1
	v_and_b32_e32 v10, 0x80000000, v10
	v_or3_b32 v25, v23, v10, v24
.LBB395_1241:                           ;   in Loop: Header=BB395_1055 Depth=1
	s_or_b32 exec_lo, exec_lo, s15
.LBB395_1242:                           ;   in Loop: Header=BB395_1055 Depth=1
	s_or_b32 exec_lo, exec_lo, s13
.LBB395_1243:                           ;   in Loop: Header=BB395_1055 Depth=1
	s_or_b32 exec_lo, exec_lo, s12
	s_mov_b32 s12, exec_lo
	v_cmpx_lt_u64_e64 s[8:9], v[19:20]
	s_cbranch_execz .LBB395_1251
; %bb.1244:                             ;   in Loop: Header=BB395_1055 Depth=1
	v_cmp_ne_u32_sdwa s4, v20, v68 src0_sel:BYTE_3 src1_sel:DWORD
	v_bfrev_b32_e32 v22, 1
	s_and_saveexec_b32 s13, s4
	s_cbranch_execz .LBB395_1250
; %bb.1245:                             ;   in Loop: Header=BB395_1055 Depth=1
	v_bfe_u32 v23, v20, 24, 7
	v_mov_b32_e32 v22, 0x7f800001
	s_mov_b32 s15, exec_lo
	v_cmpx_ne_u32_e32 0x7f, v23
	s_cbranch_execz .LBB395_1249
; %bb.1246:                             ;   in Loop: Header=BB395_1055 Depth=1
	v_mov_b32_e32 v10, 7
	v_lshrrev_b32_e32 v19, 3, v23
	v_cmp_gt_u32_e64 s4, 8, v23
	v_and_b32_sdwa v10, v20, v10 dst_sel:DWORD dst_unused:UNUSED_PAD src0_sel:BYTE_3 src1_sel:DWORD
	v_mov_b32_e32 v24, v11
	v_mov_b32_e32 v23, v10
	s_and_saveexec_b32 s18, s4
; %bb.1247:                             ;   in Loop: Header=BB395_1055 Depth=1
	v_ffbh_u32_e32 v19, v10
	v_min_u32_e32 v19, 32, v19
	v_subrev_nc_u32_e32 v22, 28, v19
	v_sub_nc_u32_e32 v19, 29, v19
	v_lshlrev_b64 v[22:23], v22, v[10:11]
	v_and_b32_e32 v23, 7, v22
; %bb.1248:                             ;   in Loop: Header=BB395_1055 Depth=1
	s_or_b32 exec_lo, exec_lo, s18
	v_mov_b32_e32 v10, 24
	v_lshl_add_u32 v19, v19, 23, 0x3c000000
	v_lshlrev_b32_sdwa v10, v10, v20 dst_sel:DWORD dst_unused:UNUSED_PAD src0_sel:DWORD src1_sel:BYTE_3
	v_lshlrev_b32_e32 v20, 20, v23
	v_and_b32_e32 v10, 0x80000000, v10
	v_or3_b32 v22, v20, v10, v19
.LBB395_1249:                           ;   in Loop: Header=BB395_1055 Depth=1
	s_or_b32 exec_lo, exec_lo, s15
.LBB395_1250:                           ;   in Loop: Header=BB395_1055 Depth=1
	s_or_b32 exec_lo, exec_lo, s13
.LBB395_1251:                           ;   in Loop: Header=BB395_1055 Depth=1
	s_or_b32 exec_lo, exec_lo, s12
	v_mul_f32_e32 v10, v26, v21
	v_mul_f32_e32 v16, v26, v16
	;; [unrolled: 1-line block ×5, first 2 shown]
	v_bfe_u32 v19, v10, 16, 1
	v_or_b32_e32 v20, 0x400000, v10
	v_bfe_u32 v21, v16, 16, 1
	v_cmp_u_f32_e64 s4, v10, v10
	v_or_b32_e32 v23, 0x400000, v16
	v_add3_u32 v19, v19, v10, 0x7fff
	v_bfe_u32 v24, v13, 16, 1
	v_add3_u32 v21, v21, v16, 0x7fff
	v_or_b32_e32 v27, 0x400000, v13
	v_bfe_u32 v28, v12, 16, 1
	v_cndmask_b32_e64 v10, v19, v20, s4
	v_cmp_u_f32_e64 s4, v16, v16
	v_add3_u32 v24, v24, v13, 0x7fff
	v_or_b32_e32 v19, 0x400000, v12
	v_mul_f32_e32 v4, v26, v4
	v_lshrrev_b32_e32 v10, 16, v10
	v_cndmask_b32_e64 v16, v21, v23, s4
	v_cmp_u_f32_e64 s4, v13, v13
	v_bfe_u32 v20, v4, 16, 1
	buffer_store_dword v10, off, s[0:3], s32 offset:280 ; 4-byte Folded Spill
	v_add3_u32 v10, v28, v12, 0x7fff
	v_cndmask_b32_e64 v13, v24, v27, s4
	v_lshrrev_b32_e32 v16, 16, v16
	v_cmp_u_f32_e64 s4, v12, v12
	v_mul_f32_e32 v12, v26, v25
	v_lshrrev_b32_e32 v13, 16, v13
	buffer_store_dword v16, off, s[0:3], s32 offset:272 ; 4-byte Folded Spill
	v_cndmask_b32_e64 v10, v10, v19, s4
	v_or_b32_e32 v16, 0x400000, v5
	v_cmp_u_f32_e64 s4, v5, v5
	buffer_store_dword v13, off, s[0:3], s32 offset:284 ; 4-byte Folded Spill
	v_bfe_u32 v13, v5, 16, 1
	v_mul_f32_e32 v19, v26, v22
	v_bfe_u32 v21, v12, 16, 1
	v_or_b32_e32 v22, 0x400000, v12
	v_lshrrev_b32_e32 v10, 16, v10
	v_add3_u32 v13, v13, v5, 0x7fff
	v_or_b32_e32 v23, 0x400000, v19
	v_add3_u32 v21, v21, v12, 0x7fff
	buffer_store_dword v10, off, s[0:3], s32 offset:288 ; 4-byte Folded Spill
	v_cndmask_b32_e64 v5, v13, v16, s4
	v_add3_u32 v16, v20, v4, 0x7fff
	v_or_b32_e32 v20, 0x400000, v4
	v_cmp_u_f32_e64 s4, v4, v4
	v_bfe_u32 v13, v19, 16, 1
	v_lshrrev_b32_e32 v5, 16, v5
	v_cndmask_b32_e64 v4, v16, v20, s4
	v_cmp_u_f32_e64 s4, v12, v12
	v_add3_u32 v13, v13, v19, 0x7fff
	buffer_store_dword v5, off, s[0:3], s32 offset:296 ; 4-byte Folded Spill
	v_lshrrev_b32_e32 v4, 16, v4
	v_cndmask_b32_e64 v12, v21, v22, s4
	v_cmp_u_f32_e64 s4, v19, v19
	buffer_store_dword v4, off, s[0:3], s32 offset:292 ; 4-byte Folded Spill
	v_lshrrev_b32_e32 v4, 16, v12
	v_cndmask_b32_e64 v13, v13, v23, s4
	buffer_store_dword v4, off, s[0:3], s32 offset:264 ; 4-byte Folded Spill
	v_lshrrev_b32_e32 v4, 16, v13
	buffer_store_dword v4, off, s[0:3], s32 offset:276 ; 4-byte Folded Spill
	s_and_saveexec_b32 s12, vcc_lo
	s_cbranch_execz .LBB395_1253
; %bb.1252:                             ;   in Loop: Header=BB395_1055 Depth=1
	buffer_load_dword v4, off, s[0:3], s32 offset:292 ; 4-byte Folded Reload
	v_cmp_lt_i32_e64 s4, v57, v36
	s_waitcnt vmcnt(0)
	v_cndmask_b32_e64 v4, 0, v4, s4
	v_cmp_lt_i32_e64 s4, v63, v36
	buffer_store_dword v4, off, s[0:3], s32 offset:292 ; 4-byte Folded Spill
	buffer_load_dword v4, off, s[0:3], s32 offset:296 ; 4-byte Folded Reload
	s_waitcnt vmcnt(0)
	v_cndmask_b32_e64 v4, 0, v4, s4
	v_cmp_lt_i32_e64 s4, v62, v36
	buffer_store_dword v4, off, s[0:3], s32 offset:296 ; 4-byte Folded Spill
	buffer_load_dword v4, off, s[0:3], s32 offset:288 ; 4-byte Folded Reload
	;; [unrolled: 5-line block ×7, first 2 shown]
	s_waitcnt vmcnt(0)
	v_cndmask_b32_e64 v4, 0, v4, s4
	buffer_store_dword v4, off, s[0:3], s32 offset:276 ; 4-byte Folded Spill
.LBB395_1253:                           ;   in Loop: Header=BB395_1055 Depth=1
	s_or_b32 exec_lo, exec_lo, s12
	flat_load_dwordx2 v[19:20], v[17:18] offset:768
	v_mov_b32_e32 v5, 0
	v_mov_b32_e32 v4, 0
	s_waitcnt vmcnt(0) lgkmcnt(0)
	v_cmp_ne_u16_sdwa s4, v19, v11 src0_sel:BYTE_0 src1_sel:DWORD
	s_and_saveexec_b32 s12, s4
	s_cbranch_execz .LBB395_1261
; %bb.1254:                             ;   in Loop: Header=BB395_1055 Depth=1
	v_cmp_ne_u16_sdwa s4, v19, v68 src0_sel:BYTE_0 src1_sel:DWORD
	v_bfrev_b32_e32 v4, 1
	s_and_saveexec_b32 s13, s4
	s_cbranch_execz .LBB395_1260
; %bb.1255:                             ;   in Loop: Header=BB395_1055 Depth=1
	v_and_b32_e32 v10, 0x7f, v19
	v_mov_b32_e32 v4, 0x7f800001
	s_mov_b32 s15, exec_lo
	v_cmpx_ne_u32_e32 0x7f, v10
	s_cbranch_execz .LBB395_1259
; %bb.1256:                             ;   in Loop: Header=BB395_1055 Depth=1
	v_mov_b32_e32 v24, v20
	v_lshrrev_b32_e32 v4, 3, v10
	v_mov_b32_e32 v23, v19
	s_mov_b32 s18, exec_lo
	v_cmpx_gt_u32_e32 8, v10
; %bb.1257:                             ;   in Loop: Header=BB395_1055 Depth=1
	v_and_b32_e32 v4, 7, v19
	v_ffbh_u32_e32 v4, v4
	v_min_u32_e32 v4, 32, v4
	v_subrev_nc_u32_e32 v10, 28, v4
	v_sub_nc_u32_e32 v4, 29, v4
	v_lshlrev_b64 v[23:24], v10, v[19:20]
; %bb.1258:                             ;   in Loop: Header=BB395_1055 Depth=1
	s_or_b32 exec_lo, exec_lo, s18
	v_lshlrev_b32_e32 v10, 20, v23
	v_lshlrev_b32_e32 v12, 24, v19
	v_lshl_add_u32 v4, v4, 23, 0x3c000000
	v_and_b32_e32 v10, 0x700000, v10
	v_and_b32_e32 v12, 0x80000000, v12
	v_or3_b32 v4, v10, v12, v4
.LBB395_1259:                           ;   in Loop: Header=BB395_1055 Depth=1
	s_or_b32 exec_lo, exec_lo, s15
.LBB395_1260:                           ;   in Loop: Header=BB395_1055 Depth=1
	s_or_b32 exec_lo, exec_lo, s13
.LBB395_1261:                           ;   in Loop: Header=BB395_1055 Depth=1
	s_or_b32 exec_lo, exec_lo, s12
	v_cmp_ne_u16_sdwa s4, v19, v11 src0_sel:BYTE_1 src1_sel:DWORD
	s_and_saveexec_b32 s12, s4
	s_cbranch_execz .LBB395_1269
; %bb.1262:                             ;   in Loop: Header=BB395_1055 Depth=1
	v_cmp_ne_u16_sdwa s4, v19, v68 src0_sel:BYTE_1 src1_sel:DWORD
	v_bfrev_b32_e32 v5, 1
	s_and_saveexec_b32 s13, s4
	s_cbranch_execz .LBB395_1268
; %bb.1263:                             ;   in Loop: Header=BB395_1055 Depth=1
	v_mov_b32_e32 v5, 0xffff
	s_mov_b32 s15, exec_lo
	v_and_b32_sdwa v10, v5, v19 dst_sel:DWORD dst_unused:UNUSED_PAD src0_sel:DWORD src1_sel:BYTE_1
	v_mov_b32_e32 v5, 0x7f800001
	v_and_b32_e32 v12, 0x7f, v10
	v_cmpx_ne_u32_e32 0x7f, v12
	s_cbranch_execz .LBB395_1267
; %bb.1264:                             ;   in Loop: Header=BB395_1055 Depth=1
	v_and_b32_e32 v10, 7, v10
	v_mov_b32_e32 v24, v11
	v_lshrrev_b32_e32 v5, 3, v12
	s_mov_b32 s18, exec_lo
	v_mov_b32_e32 v23, v10
	v_cmpx_gt_u32_e32 8, v12
; %bb.1265:                             ;   in Loop: Header=BB395_1055 Depth=1
	v_ffbh_u32_e32 v5, v10
	v_min_u32_e32 v5, 32, v5
	v_subrev_nc_u32_e32 v12, 28, v5
	v_sub_nc_u32_e32 v5, 29, v5
	v_lshlrev_b64 v[12:13], v12, v[10:11]
	v_and_b32_e32 v23, 7, v12
; %bb.1266:                             ;   in Loop: Header=BB395_1055 Depth=1
	s_or_b32 exec_lo, exec_lo, s18
	v_lshlrev_b32_e32 v10, 16, v19
	v_lshlrev_b32_e32 v12, 20, v23
	v_lshl_add_u32 v5, v5, 23, 0x3c000000
	v_and_b32_e32 v10, 0x80000000, v10
	v_or3_b32 v5, v12, v10, v5
.LBB395_1267:                           ;   in Loop: Header=BB395_1055 Depth=1
	s_or_b32 exec_lo, exec_lo, s15
.LBB395_1268:                           ;   in Loop: Header=BB395_1055 Depth=1
	s_or_b32 exec_lo, exec_lo, s13
.LBB395_1269:                           ;   in Loop: Header=BB395_1055 Depth=1
	s_or_b32 exec_lo, exec_lo, s12
	v_and_b32_sdwa v10, v19, v70 dst_sel:DWORD dst_unused:UNUSED_PAD src0_sel:WORD_1 src1_sel:DWORD
	v_mov_b32_e32 v13, 0
	v_mov_b32_e32 v12, 0
	s_mov_b32 s12, exec_lo
	v_cmpx_ne_u16_e32 0, v10
	s_cbranch_execz .LBB395_1277
; %bb.1270:                             ;   in Loop: Header=BB395_1055 Depth=1
	v_bfrev_b32_e32 v12, 1
	s_mov_b32 s13, exec_lo
	v_cmpx_ne_u16_e32 0x80, v10
	s_cbranch_execz .LBB395_1276
; %bb.1271:                             ;   in Loop: Header=BB395_1055 Depth=1
	v_bfe_u32 v16, v19, 16, 7
	v_mov_b32_e32 v12, 0x7f800001
	s_mov_b32 s15, exec_lo
	v_cmpx_ne_u32_e32 0x7f, v16
	s_cbranch_execz .LBB395_1275
; %bb.1272:                             ;   in Loop: Header=BB395_1055 Depth=1
	v_mov_b32_e32 v10, 7
	v_lshrrev_b32_e32 v12, 3, v16
	s_mov_b32 s18, exec_lo
	v_and_b32_sdwa v10, v19, v10 dst_sel:DWORD dst_unused:UNUSED_PAD src0_sel:WORD_1 src1_sel:DWORD
	v_mov_b32_e32 v24, v11
	v_mov_b32_e32 v23, v10
	v_cmpx_gt_u32_e32 8, v16
; %bb.1273:                             ;   in Loop: Header=BB395_1055 Depth=1
	v_ffbh_u32_e32 v12, v10
	v_min_u32_e32 v12, 32, v12
	v_subrev_nc_u32_e32 v16, 28, v12
	v_sub_nc_u32_e32 v12, 29, v12
	v_lshlrev_b64 v[21:22], v16, v[10:11]
	v_and_b32_e32 v23, 7, v21
; %bb.1274:                             ;   in Loop: Header=BB395_1055 Depth=1
	s_or_b32 exec_lo, exec_lo, s18
	v_mov_b32_e32 v10, 24
	v_lshlrev_b32_e32 v16, 20, v23
	v_lshl_add_u32 v12, v12, 23, 0x3c000000
	v_lshlrev_b32_sdwa v10, v10, v19 dst_sel:DWORD dst_unused:UNUSED_PAD src0_sel:DWORD src1_sel:WORD_1
	v_and_b32_e32 v10, 0x80000000, v10
	v_or3_b32 v12, v16, v10, v12
.LBB395_1275:                           ;   in Loop: Header=BB395_1055 Depth=1
	s_or_b32 exec_lo, exec_lo, s15
.LBB395_1276:                           ;   in Loop: Header=BB395_1055 Depth=1
	s_or_b32 exec_lo, exec_lo, s13
.LBB395_1277:                           ;   in Loop: Header=BB395_1055 Depth=1
	s_or_b32 exec_lo, exec_lo, s12
	s_mov_b32 s12, exec_lo
	v_cmpx_lt_u32_e32 0xffffff, v19
	s_cbranch_execz .LBB395_1285
; %bb.1278:                             ;   in Loop: Header=BB395_1055 Depth=1
	v_cmp_ne_u32_sdwa s4, v19, v68 src0_sel:BYTE_3 src1_sel:DWORD
	v_bfrev_b32_e32 v13, 1
	s_and_saveexec_b32 s13, s4
	s_cbranch_execz .LBB395_1284
; %bb.1279:                             ;   in Loop: Header=BB395_1055 Depth=1
	v_bfe_u32 v16, v19, 24, 7
	v_mov_b32_e32 v13, 0x7f800001
	s_mov_b32 s15, exec_lo
	v_cmpx_ne_u32_e32 0x7f, v16
	s_cbranch_execz .LBB395_1283
; %bb.1280:                             ;   in Loop: Header=BB395_1055 Depth=1
	v_mov_b32_e32 v10, 7
	v_lshrrev_b32_e32 v13, 3, v16
	s_mov_b32 s18, exec_lo
	v_and_b32_sdwa v10, v19, v10 dst_sel:DWORD dst_unused:UNUSED_PAD src0_sel:BYTE_3 src1_sel:DWORD
	v_mov_b32_e32 v24, v11
	v_mov_b32_e32 v23, v10
	v_cmpx_gt_u32_e32 8, v16
; %bb.1281:                             ;   in Loop: Header=BB395_1055 Depth=1
	v_ffbh_u32_e32 v13, v10
	v_min_u32_e32 v13, 32, v13
	v_subrev_nc_u32_e32 v16, 28, v13
	v_sub_nc_u32_e32 v13, 29, v13
	v_lshlrev_b64 v[21:22], v16, v[10:11]
	v_and_b32_e32 v23, 7, v21
; %bb.1282:                             ;   in Loop: Header=BB395_1055 Depth=1
	s_or_b32 exec_lo, exec_lo, s18
	v_mov_b32_e32 v10, 24
	v_lshlrev_b32_e32 v16, 20, v23
	v_lshl_add_u32 v13, v13, 23, 0x3c000000
	v_lshlrev_b32_sdwa v10, v10, v19 dst_sel:DWORD dst_unused:UNUSED_PAD src0_sel:DWORD src1_sel:BYTE_3
	v_and_b32_e32 v10, 0x80000000, v10
	v_or3_b32 v13, v16, v10, v13
.LBB395_1283:                           ;   in Loop: Header=BB395_1055 Depth=1
	s_or_b32 exec_lo, exec_lo, s15
.LBB395_1284:                           ;   in Loop: Header=BB395_1055 Depth=1
	s_or_b32 exec_lo, exec_lo, s13
.LBB395_1285:                           ;   in Loop: Header=BB395_1055 Depth=1
	s_or_b32 exec_lo, exec_lo, s12
	v_mov_b32_e32 v10, v20
	v_cmp_ne_u16_sdwa s4, v20, v11 src0_sel:BYTE_0 src1_sel:DWORD
	v_mov_b32_e32 v21, 0
	v_mov_b32_e32 v16, 0
	s_and_saveexec_b32 s12, s4
	s_cbranch_execz .LBB395_1293
; %bb.1286:                             ;   in Loop: Header=BB395_1055 Depth=1
	v_cmp_ne_u16_sdwa s4, v20, v68 src0_sel:BYTE_0 src1_sel:DWORD
	v_bfrev_b32_e32 v16, 1
	s_and_saveexec_b32 s13, s4
	s_cbranch_execz .LBB395_1292
; %bb.1287:                             ;   in Loop: Header=BB395_1055 Depth=1
	v_and_b32_e32 v22, 0x7f, v20
	v_mov_b32_e32 v16, 0x7f800001
	s_mov_b32 s15, exec_lo
	v_cmpx_ne_u32_e32 0x7f, v22
	s_cbranch_execz .LBB395_1291
; %bb.1288:                             ;   in Loop: Header=BB395_1055 Depth=1
	v_mov_b32_e32 v24, v11
	v_lshrrev_b32_e32 v16, 3, v22
	v_mov_b32_e32 v23, v10
	s_mov_b32 s18, exec_lo
	v_cmpx_gt_u32_e32 8, v22
; %bb.1289:                             ;   in Loop: Header=BB395_1055 Depth=1
	v_and_b32_e32 v16, 7, v20
	v_ffbh_u32_e32 v16, v16
	v_min_u32_e32 v16, 32, v16
	v_subrev_nc_u32_e32 v22, 28, v16
	v_sub_nc_u32_e32 v16, 29, v16
	v_lshlrev_b64 v[23:24], v22, v[10:11]
; %bb.1290:                             ;   in Loop: Header=BB395_1055 Depth=1
	s_or_b32 exec_lo, exec_lo, s18
	v_lshlrev_b32_e32 v22, 20, v23
	v_lshlrev_b32_e32 v23, 24, v10
	v_lshl_add_u32 v16, v16, 23, 0x3c000000
	v_and_b32_e32 v22, 0x700000, v22
	v_and_b32_e32 v23, 0x80000000, v23
	v_or3_b32 v16, v22, v23, v16
.LBB395_1291:                           ;   in Loop: Header=BB395_1055 Depth=1
	s_or_b32 exec_lo, exec_lo, s15
.LBB395_1292:                           ;   in Loop: Header=BB395_1055 Depth=1
	s_or_b32 exec_lo, exec_lo, s13
.LBB395_1293:                           ;   in Loop: Header=BB395_1055 Depth=1
	s_or_b32 exec_lo, exec_lo, s12
	v_cmp_ne_u16_sdwa s4, v10, v11 src0_sel:BYTE_1 src1_sel:DWORD
	s_and_saveexec_b32 s12, s4
	s_cbranch_execz .LBB395_1301
; %bb.1294:                             ;   in Loop: Header=BB395_1055 Depth=1
	v_cmp_ne_u16_sdwa s4, v10, v68 src0_sel:BYTE_1 src1_sel:DWORD
	v_bfrev_b32_e32 v21, 1
	s_and_saveexec_b32 s13, s4
	s_cbranch_execz .LBB395_1300
; %bb.1295:                             ;   in Loop: Header=BB395_1055 Depth=1
	v_mov_b32_e32 v21, 0xffff
	s_mov_b32 s15, exec_lo
	v_and_b32_sdwa v23, v21, v10 dst_sel:DWORD dst_unused:UNUSED_PAD src0_sel:DWORD src1_sel:BYTE_1
	v_mov_b32_e32 v21, 0x7f800001
	v_and_b32_e32 v22, 0x7f, v23
	v_cmpx_ne_u32_e32 0x7f, v22
	s_cbranch_execz .LBB395_1299
; %bb.1296:                             ;   in Loop: Header=BB395_1055 Depth=1
	v_and_b32_e32 v23, 7, v23
	v_mov_b32_e32 v24, v11
	v_lshrrev_b32_e32 v21, 3, v22
	s_mov_b32 s18, exec_lo
	v_cmpx_gt_u32_e32 8, v22
; %bb.1297:                             ;   in Loop: Header=BB395_1055 Depth=1
	v_ffbh_u32_e32 v21, v23
	v_min_u32_e32 v21, 32, v21
	v_subrev_nc_u32_e32 v22, 28, v21
	v_sub_nc_u32_e32 v21, 29, v21
	v_lshlrev_b64 v[22:23], v22, v[23:24]
	v_and_b32_e32 v23, 7, v22
; %bb.1298:                             ;   in Loop: Header=BB395_1055 Depth=1
	s_or_b32 exec_lo, exec_lo, s18
	v_lshlrev_b32_e32 v10, 16, v10
	v_lshlrev_b32_e32 v22, 20, v23
	v_lshl_add_u32 v21, v21, 23, 0x3c000000
	v_and_b32_e32 v10, 0x80000000, v10
	v_or3_b32 v21, v22, v10, v21
.LBB395_1299:                           ;   in Loop: Header=BB395_1055 Depth=1
	s_or_b32 exec_lo, exec_lo, s15
.LBB395_1300:                           ;   in Loop: Header=BB395_1055 Depth=1
	s_or_b32 exec_lo, exec_lo, s13
.LBB395_1301:                           ;   in Loop: Header=BB395_1055 Depth=1
	s_or_b32 exec_lo, exec_lo, s12
	v_and_b32_sdwa v10, v20, v70 dst_sel:DWORD dst_unused:UNUSED_PAD src0_sel:WORD_1 src1_sel:DWORD
	v_mov_b32_e32 v22, 0
	v_mov_b32_e32 v25, 0
	s_mov_b32 s12, exec_lo
	v_cmpx_ne_u16_e32 0, v10
	s_cbranch_execz .LBB395_1309
; %bb.1302:                             ;   in Loop: Header=BB395_1055 Depth=1
	v_bfrev_b32_e32 v25, 1
	s_mov_b32 s13, exec_lo
	v_cmpx_ne_u16_e32 0x80, v10
	s_cbranch_execz .LBB395_1308
; %bb.1303:                             ;   in Loop: Header=BB395_1055 Depth=1
	v_bfe_u32 v23, v20, 16, 7
	v_mov_b32_e32 v25, 0x7f800001
	s_mov_b32 s15, exec_lo
	v_cmpx_ne_u32_e32 0x7f, v23
	s_cbranch_execz .LBB395_1307
; %bb.1304:                             ;   in Loop: Header=BB395_1055 Depth=1
	v_mov_b32_e32 v10, 7
	v_lshrrev_b32_e32 v25, 3, v23
	v_cmp_gt_u32_e64 s4, 8, v23
	v_and_b32_sdwa v10, v20, v10 dst_sel:DWORD dst_unused:UNUSED_PAD src0_sel:WORD_1 src1_sel:DWORD
	v_mov_b32_e32 v24, v11
	v_mov_b32_e32 v23, v10
	s_and_saveexec_b32 s18, s4
; %bb.1305:                             ;   in Loop: Header=BB395_1055 Depth=1
	v_ffbh_u32_e32 v23, v10
	v_min_u32_e32 v25, 32, v23
	v_subrev_nc_u32_e32 v23, 28, v25
	v_sub_nc_u32_e32 v25, 29, v25
	v_lshlrev_b64 v[23:24], v23, v[10:11]
	v_and_b32_e32 v23, 7, v23
; %bb.1306:                             ;   in Loop: Header=BB395_1055 Depth=1
	s_or_b32 exec_lo, exec_lo, s18
	v_mov_b32_e32 v10, 24
	v_lshlrev_b32_e32 v23, 20, v23
	v_lshl_add_u32 v24, v25, 23, 0x3c000000
	v_lshlrev_b32_sdwa v10, v10, v20 dst_sel:DWORD dst_unused:UNUSED_PAD src0_sel:DWORD src1_sel:WORD_1
	v_and_b32_e32 v10, 0x80000000, v10
	v_or3_b32 v25, v23, v10, v24
.LBB395_1307:                           ;   in Loop: Header=BB395_1055 Depth=1
	s_or_b32 exec_lo, exec_lo, s15
.LBB395_1308:                           ;   in Loop: Header=BB395_1055 Depth=1
	s_or_b32 exec_lo, exec_lo, s13
.LBB395_1309:                           ;   in Loop: Header=BB395_1055 Depth=1
	s_or_b32 exec_lo, exec_lo, s12
	s_mov_b32 s12, exec_lo
	v_cmpx_lt_u64_e64 s[8:9], v[19:20]
	s_cbranch_execz .LBB395_1317
; %bb.1310:                             ;   in Loop: Header=BB395_1055 Depth=1
	v_cmp_ne_u32_sdwa s4, v20, v68 src0_sel:BYTE_3 src1_sel:DWORD
	v_bfrev_b32_e32 v22, 1
	s_and_saveexec_b32 s13, s4
	s_cbranch_execz .LBB395_1316
; %bb.1311:                             ;   in Loop: Header=BB395_1055 Depth=1
	v_bfe_u32 v23, v20, 24, 7
	v_mov_b32_e32 v22, 0x7f800001
	s_mov_b32 s15, exec_lo
	v_cmpx_ne_u32_e32 0x7f, v23
	s_cbranch_execz .LBB395_1315
; %bb.1312:                             ;   in Loop: Header=BB395_1055 Depth=1
	v_mov_b32_e32 v10, 7
	v_lshrrev_b32_e32 v19, 3, v23
	v_cmp_gt_u32_e64 s4, 8, v23
	v_and_b32_sdwa v10, v20, v10 dst_sel:DWORD dst_unused:UNUSED_PAD src0_sel:BYTE_3 src1_sel:DWORD
	v_mov_b32_e32 v24, v11
	v_mov_b32_e32 v23, v10
	s_and_saveexec_b32 s18, s4
; %bb.1313:                             ;   in Loop: Header=BB395_1055 Depth=1
	v_ffbh_u32_e32 v19, v10
	v_min_u32_e32 v19, 32, v19
	v_subrev_nc_u32_e32 v22, 28, v19
	v_sub_nc_u32_e32 v19, 29, v19
	v_lshlrev_b64 v[22:23], v22, v[10:11]
	v_and_b32_e32 v23, 7, v22
; %bb.1314:                             ;   in Loop: Header=BB395_1055 Depth=1
	s_or_b32 exec_lo, exec_lo, s18
	v_mov_b32_e32 v10, 24
	v_lshl_add_u32 v19, v19, 23, 0x3c000000
	v_lshlrev_b32_sdwa v10, v10, v20 dst_sel:DWORD dst_unused:UNUSED_PAD src0_sel:DWORD src1_sel:BYTE_3
	v_lshlrev_b32_e32 v20, 20, v23
	v_and_b32_e32 v10, 0x80000000, v10
	v_or3_b32 v22, v20, v10, v19
.LBB395_1315:                           ;   in Loop: Header=BB395_1055 Depth=1
	s_or_b32 exec_lo, exec_lo, s15
.LBB395_1316:                           ;   in Loop: Header=BB395_1055 Depth=1
	s_or_b32 exec_lo, exec_lo, s13
.LBB395_1317:                           ;   in Loop: Header=BB395_1055 Depth=1
	s_or_b32 exec_lo, exec_lo, s12
	v_mul_f32_e32 v10, v26, v21
	v_mul_f32_e32 v16, v26, v16
	;; [unrolled: 1-line block ×5, first 2 shown]
	v_bfe_u32 v19, v10, 16, 1
	v_or_b32_e32 v20, 0x400000, v10
	v_bfe_u32 v21, v16, 16, 1
	v_cmp_u_f32_e64 s4, v10, v10
	v_or_b32_e32 v23, 0x400000, v16
	v_add3_u32 v19, v19, v10, 0x7fff
	v_bfe_u32 v24, v13, 16, 1
	v_add3_u32 v21, v21, v16, 0x7fff
	v_or_b32_e32 v27, 0x400000, v13
	v_bfe_u32 v28, v12, 16, 1
	v_cndmask_b32_e64 v10, v19, v20, s4
	v_cmp_u_f32_e64 s4, v16, v16
	v_add3_u32 v24, v24, v13, 0x7fff
	v_or_b32_e32 v19, 0x400000, v12
	v_mul_f32_e32 v4, v26, v4
	v_lshrrev_b32_e32 v10, 16, v10
	v_cndmask_b32_e64 v16, v21, v23, s4
	v_cmp_u_f32_e64 s4, v13, v13
	v_bfe_u32 v20, v4, 16, 1
	buffer_store_dword v10, off, s[0:3], s32 offset:312 ; 4-byte Folded Spill
	v_add3_u32 v10, v28, v12, 0x7fff
	v_cndmask_b32_e64 v13, v24, v27, s4
	v_lshrrev_b32_e32 v16, 16, v16
	v_cmp_u_f32_e64 s4, v12, v12
	v_mul_f32_e32 v12, v26, v25
	v_lshrrev_b32_e32 v13, 16, v13
	buffer_store_dword v16, off, s[0:3], s32 offset:304 ; 4-byte Folded Spill
	v_cndmask_b32_e64 v10, v10, v19, s4
	v_or_b32_e32 v16, 0x400000, v5
	v_cmp_u_f32_e64 s4, v5, v5
	buffer_store_dword v13, off, s[0:3], s32 offset:320 ; 4-byte Folded Spill
	v_bfe_u32 v13, v5, 16, 1
	v_mul_f32_e32 v19, v26, v22
	v_bfe_u32 v21, v12, 16, 1
	v_or_b32_e32 v22, 0x400000, v12
	v_lshrrev_b32_e32 v10, 16, v10
	v_add3_u32 v13, v13, v5, 0x7fff
	v_or_b32_e32 v23, 0x400000, v19
	v_add3_u32 v21, v21, v12, 0x7fff
	buffer_store_dword v10, off, s[0:3], s32 offset:324 ; 4-byte Folded Spill
	v_cndmask_b32_e64 v5, v13, v16, s4
	v_add3_u32 v16, v20, v4, 0x7fff
	v_or_b32_e32 v20, 0x400000, v4
	v_cmp_u_f32_e64 s4, v4, v4
	v_bfe_u32 v13, v19, 16, 1
	v_lshrrev_b32_e32 v5, 16, v5
	v_cndmask_b32_e64 v4, v16, v20, s4
	v_cmp_u_f32_e64 s4, v12, v12
	v_add3_u32 v13, v13, v19, 0x7fff
	buffer_store_dword v5, off, s[0:3], s32 offset:332 ; 4-byte Folded Spill
	v_lshrrev_b32_e32 v4, 16, v4
	v_cndmask_b32_e64 v12, v21, v22, s4
	v_cmp_u_f32_e64 s4, v19, v19
	buffer_store_dword v4, off, s[0:3], s32 offset:328 ; 4-byte Folded Spill
	v_lshrrev_b32_e32 v4, 16, v12
	v_cndmask_b32_e64 v13, v13, v23, s4
	buffer_store_dword v4, off, s[0:3], s32 offset:300 ; 4-byte Folded Spill
	v_lshrrev_b32_e32 v4, 16, v13
	buffer_store_dword v4, off, s[0:3], s32 offset:316 ; 4-byte Folded Spill
	s_and_saveexec_b32 s12, vcc_lo
	s_cbranch_execz .LBB395_1319
; %bb.1318:                             ;   in Loop: Header=BB395_1055 Depth=1
	buffer_load_dword v4, off, s[0:3], s32 offset:328 ; 4-byte Folded Reload
	v_cmp_lt_i32_e64 s4, v57, v36
	s_waitcnt vmcnt(0)
	v_cndmask_b32_e64 v4, 0, v4, s4
	v_cmp_lt_i32_e64 s4, v63, v36
	buffer_store_dword v4, off, s[0:3], s32 offset:328 ; 4-byte Folded Spill
	buffer_load_dword v4, off, s[0:3], s32 offset:332 ; 4-byte Folded Reload
	s_waitcnt vmcnt(0)
	v_cndmask_b32_e64 v4, 0, v4, s4
	v_cmp_lt_i32_e64 s4, v62, v36
	buffer_store_dword v4, off, s[0:3], s32 offset:332 ; 4-byte Folded Spill
	buffer_load_dword v4, off, s[0:3], s32 offset:324 ; 4-byte Folded Reload
	;; [unrolled: 5-line block ×7, first 2 shown]
	s_waitcnt vmcnt(0)
	v_cndmask_b32_e64 v4, 0, v4, s4
	buffer_store_dword v4, off, s[0:3], s32 offset:316 ; 4-byte Folded Spill
.LBB395_1319:                           ;   in Loop: Header=BB395_1055 Depth=1
	s_or_b32 exec_lo, exec_lo, s12
	flat_load_dwordx2 v[19:20], v[17:18] offset:1024
	v_mov_b32_e32 v5, 0
	v_mov_b32_e32 v4, 0
	s_waitcnt vmcnt(0) lgkmcnt(0)
	v_cmp_ne_u16_sdwa s4, v19, v11 src0_sel:BYTE_0 src1_sel:DWORD
	s_and_saveexec_b32 s12, s4
	s_cbranch_execz .LBB395_1327
; %bb.1320:                             ;   in Loop: Header=BB395_1055 Depth=1
	v_cmp_ne_u16_sdwa s4, v19, v68 src0_sel:BYTE_0 src1_sel:DWORD
	v_bfrev_b32_e32 v4, 1
	s_and_saveexec_b32 s13, s4
	s_cbranch_execz .LBB395_1326
; %bb.1321:                             ;   in Loop: Header=BB395_1055 Depth=1
	v_and_b32_e32 v10, 0x7f, v19
	v_mov_b32_e32 v4, 0x7f800001
	s_mov_b32 s15, exec_lo
	v_cmpx_ne_u32_e32 0x7f, v10
	s_cbranch_execz .LBB395_1325
; %bb.1322:                             ;   in Loop: Header=BB395_1055 Depth=1
	v_mov_b32_e32 v24, v20
	v_lshrrev_b32_e32 v4, 3, v10
	v_mov_b32_e32 v23, v19
	s_mov_b32 s18, exec_lo
	v_cmpx_gt_u32_e32 8, v10
; %bb.1323:                             ;   in Loop: Header=BB395_1055 Depth=1
	v_and_b32_e32 v4, 7, v19
	v_ffbh_u32_e32 v4, v4
	v_min_u32_e32 v4, 32, v4
	v_subrev_nc_u32_e32 v10, 28, v4
	v_sub_nc_u32_e32 v4, 29, v4
	v_lshlrev_b64 v[23:24], v10, v[19:20]
; %bb.1324:                             ;   in Loop: Header=BB395_1055 Depth=1
	s_or_b32 exec_lo, exec_lo, s18
	v_lshlrev_b32_e32 v10, 20, v23
	v_lshlrev_b32_e32 v12, 24, v19
	v_lshl_add_u32 v4, v4, 23, 0x3c000000
	v_and_b32_e32 v10, 0x700000, v10
	v_and_b32_e32 v12, 0x80000000, v12
	v_or3_b32 v4, v10, v12, v4
.LBB395_1325:                           ;   in Loop: Header=BB395_1055 Depth=1
	s_or_b32 exec_lo, exec_lo, s15
.LBB395_1326:                           ;   in Loop: Header=BB395_1055 Depth=1
	s_or_b32 exec_lo, exec_lo, s13
.LBB395_1327:                           ;   in Loop: Header=BB395_1055 Depth=1
	s_or_b32 exec_lo, exec_lo, s12
	v_cmp_ne_u16_sdwa s4, v19, v11 src0_sel:BYTE_1 src1_sel:DWORD
	s_and_saveexec_b32 s12, s4
	s_cbranch_execz .LBB395_1335
; %bb.1328:                             ;   in Loop: Header=BB395_1055 Depth=1
	v_cmp_ne_u16_sdwa s4, v19, v68 src0_sel:BYTE_1 src1_sel:DWORD
	v_bfrev_b32_e32 v5, 1
	s_and_saveexec_b32 s13, s4
	s_cbranch_execz .LBB395_1334
; %bb.1329:                             ;   in Loop: Header=BB395_1055 Depth=1
	v_mov_b32_e32 v5, 0xffff
	s_mov_b32 s15, exec_lo
	v_and_b32_sdwa v10, v5, v19 dst_sel:DWORD dst_unused:UNUSED_PAD src0_sel:DWORD src1_sel:BYTE_1
	v_mov_b32_e32 v5, 0x7f800001
	v_and_b32_e32 v12, 0x7f, v10
	v_cmpx_ne_u32_e32 0x7f, v12
	s_cbranch_execz .LBB395_1333
; %bb.1330:                             ;   in Loop: Header=BB395_1055 Depth=1
	v_and_b32_e32 v10, 7, v10
	v_mov_b32_e32 v24, v11
	v_lshrrev_b32_e32 v5, 3, v12
	s_mov_b32 s18, exec_lo
	v_mov_b32_e32 v23, v10
	v_cmpx_gt_u32_e32 8, v12
; %bb.1331:                             ;   in Loop: Header=BB395_1055 Depth=1
	v_ffbh_u32_e32 v5, v10
	v_min_u32_e32 v5, 32, v5
	v_subrev_nc_u32_e32 v12, 28, v5
	v_sub_nc_u32_e32 v5, 29, v5
	v_lshlrev_b64 v[12:13], v12, v[10:11]
	v_and_b32_e32 v23, 7, v12
; %bb.1332:                             ;   in Loop: Header=BB395_1055 Depth=1
	s_or_b32 exec_lo, exec_lo, s18
	v_lshlrev_b32_e32 v10, 16, v19
	v_lshlrev_b32_e32 v12, 20, v23
	v_lshl_add_u32 v5, v5, 23, 0x3c000000
	v_and_b32_e32 v10, 0x80000000, v10
	v_or3_b32 v5, v12, v10, v5
.LBB395_1333:                           ;   in Loop: Header=BB395_1055 Depth=1
	s_or_b32 exec_lo, exec_lo, s15
.LBB395_1334:                           ;   in Loop: Header=BB395_1055 Depth=1
	s_or_b32 exec_lo, exec_lo, s13
.LBB395_1335:                           ;   in Loop: Header=BB395_1055 Depth=1
	s_or_b32 exec_lo, exec_lo, s12
	v_and_b32_sdwa v10, v19, v70 dst_sel:DWORD dst_unused:UNUSED_PAD src0_sel:WORD_1 src1_sel:DWORD
	v_mov_b32_e32 v13, 0
	v_mov_b32_e32 v12, 0
	s_mov_b32 s12, exec_lo
	v_cmpx_ne_u16_e32 0, v10
	s_cbranch_execz .LBB395_1343
; %bb.1336:                             ;   in Loop: Header=BB395_1055 Depth=1
	v_bfrev_b32_e32 v12, 1
	s_mov_b32 s13, exec_lo
	v_cmpx_ne_u16_e32 0x80, v10
	s_cbranch_execz .LBB395_1342
; %bb.1337:                             ;   in Loop: Header=BB395_1055 Depth=1
	v_bfe_u32 v16, v19, 16, 7
	v_mov_b32_e32 v12, 0x7f800001
	s_mov_b32 s15, exec_lo
	v_cmpx_ne_u32_e32 0x7f, v16
	s_cbranch_execz .LBB395_1341
; %bb.1338:                             ;   in Loop: Header=BB395_1055 Depth=1
	v_mov_b32_e32 v10, 7
	v_lshrrev_b32_e32 v12, 3, v16
	s_mov_b32 s18, exec_lo
	v_and_b32_sdwa v10, v19, v10 dst_sel:DWORD dst_unused:UNUSED_PAD src0_sel:WORD_1 src1_sel:DWORD
	v_mov_b32_e32 v24, v11
	v_mov_b32_e32 v23, v10
	v_cmpx_gt_u32_e32 8, v16
; %bb.1339:                             ;   in Loop: Header=BB395_1055 Depth=1
	v_ffbh_u32_e32 v12, v10
	v_min_u32_e32 v12, 32, v12
	v_subrev_nc_u32_e32 v16, 28, v12
	v_sub_nc_u32_e32 v12, 29, v12
	v_lshlrev_b64 v[21:22], v16, v[10:11]
	v_and_b32_e32 v23, 7, v21
; %bb.1340:                             ;   in Loop: Header=BB395_1055 Depth=1
	s_or_b32 exec_lo, exec_lo, s18
	v_mov_b32_e32 v10, 24
	v_lshlrev_b32_e32 v16, 20, v23
	v_lshl_add_u32 v12, v12, 23, 0x3c000000
	v_lshlrev_b32_sdwa v10, v10, v19 dst_sel:DWORD dst_unused:UNUSED_PAD src0_sel:DWORD src1_sel:WORD_1
	v_and_b32_e32 v10, 0x80000000, v10
	v_or3_b32 v12, v16, v10, v12
.LBB395_1341:                           ;   in Loop: Header=BB395_1055 Depth=1
	s_or_b32 exec_lo, exec_lo, s15
.LBB395_1342:                           ;   in Loop: Header=BB395_1055 Depth=1
	s_or_b32 exec_lo, exec_lo, s13
.LBB395_1343:                           ;   in Loop: Header=BB395_1055 Depth=1
	s_or_b32 exec_lo, exec_lo, s12
	s_mov_b32 s12, exec_lo
	v_cmpx_lt_u32_e32 0xffffff, v19
	s_cbranch_execz .LBB395_1351
; %bb.1344:                             ;   in Loop: Header=BB395_1055 Depth=1
	v_cmp_ne_u32_sdwa s4, v19, v68 src0_sel:BYTE_3 src1_sel:DWORD
	v_bfrev_b32_e32 v13, 1
	s_and_saveexec_b32 s13, s4
	s_cbranch_execz .LBB395_1350
; %bb.1345:                             ;   in Loop: Header=BB395_1055 Depth=1
	v_bfe_u32 v16, v19, 24, 7
	v_mov_b32_e32 v13, 0x7f800001
	s_mov_b32 s15, exec_lo
	v_cmpx_ne_u32_e32 0x7f, v16
	s_cbranch_execz .LBB395_1349
; %bb.1346:                             ;   in Loop: Header=BB395_1055 Depth=1
	v_mov_b32_e32 v10, 7
	v_lshrrev_b32_e32 v13, 3, v16
	s_mov_b32 s18, exec_lo
	v_and_b32_sdwa v10, v19, v10 dst_sel:DWORD dst_unused:UNUSED_PAD src0_sel:BYTE_3 src1_sel:DWORD
	v_mov_b32_e32 v24, v11
	v_mov_b32_e32 v23, v10
	v_cmpx_gt_u32_e32 8, v16
; %bb.1347:                             ;   in Loop: Header=BB395_1055 Depth=1
	v_ffbh_u32_e32 v13, v10
	v_min_u32_e32 v13, 32, v13
	v_subrev_nc_u32_e32 v16, 28, v13
	v_sub_nc_u32_e32 v13, 29, v13
	v_lshlrev_b64 v[21:22], v16, v[10:11]
	v_and_b32_e32 v23, 7, v21
; %bb.1348:                             ;   in Loop: Header=BB395_1055 Depth=1
	s_or_b32 exec_lo, exec_lo, s18
	v_mov_b32_e32 v10, 24
	v_lshlrev_b32_e32 v16, 20, v23
	v_lshl_add_u32 v13, v13, 23, 0x3c000000
	v_lshlrev_b32_sdwa v10, v10, v19 dst_sel:DWORD dst_unused:UNUSED_PAD src0_sel:DWORD src1_sel:BYTE_3
	v_and_b32_e32 v10, 0x80000000, v10
	v_or3_b32 v13, v16, v10, v13
.LBB395_1349:                           ;   in Loop: Header=BB395_1055 Depth=1
	s_or_b32 exec_lo, exec_lo, s15
.LBB395_1350:                           ;   in Loop: Header=BB395_1055 Depth=1
	s_or_b32 exec_lo, exec_lo, s13
.LBB395_1351:                           ;   in Loop: Header=BB395_1055 Depth=1
	s_or_b32 exec_lo, exec_lo, s12
	v_mov_b32_e32 v10, v20
	v_cmp_ne_u16_sdwa s4, v20, v11 src0_sel:BYTE_0 src1_sel:DWORD
	v_mov_b32_e32 v21, 0
	v_mov_b32_e32 v16, 0
	s_and_saveexec_b32 s12, s4
	s_cbranch_execz .LBB395_1359
; %bb.1352:                             ;   in Loop: Header=BB395_1055 Depth=1
	v_cmp_ne_u16_sdwa s4, v20, v68 src0_sel:BYTE_0 src1_sel:DWORD
	v_bfrev_b32_e32 v16, 1
	s_and_saveexec_b32 s13, s4
	s_cbranch_execz .LBB395_1358
; %bb.1353:                             ;   in Loop: Header=BB395_1055 Depth=1
	v_and_b32_e32 v22, 0x7f, v20
	v_mov_b32_e32 v16, 0x7f800001
	s_mov_b32 s15, exec_lo
	v_cmpx_ne_u32_e32 0x7f, v22
	s_cbranch_execz .LBB395_1357
; %bb.1354:                             ;   in Loop: Header=BB395_1055 Depth=1
	v_mov_b32_e32 v24, v11
	v_lshrrev_b32_e32 v16, 3, v22
	v_mov_b32_e32 v23, v10
	s_mov_b32 s18, exec_lo
	v_cmpx_gt_u32_e32 8, v22
; %bb.1355:                             ;   in Loop: Header=BB395_1055 Depth=1
	v_and_b32_e32 v16, 7, v20
	v_ffbh_u32_e32 v16, v16
	v_min_u32_e32 v16, 32, v16
	v_subrev_nc_u32_e32 v22, 28, v16
	v_sub_nc_u32_e32 v16, 29, v16
	v_lshlrev_b64 v[23:24], v22, v[10:11]
; %bb.1356:                             ;   in Loop: Header=BB395_1055 Depth=1
	s_or_b32 exec_lo, exec_lo, s18
	v_lshlrev_b32_e32 v22, 20, v23
	v_lshlrev_b32_e32 v23, 24, v10
	v_lshl_add_u32 v16, v16, 23, 0x3c000000
	v_and_b32_e32 v22, 0x700000, v22
	v_and_b32_e32 v23, 0x80000000, v23
	v_or3_b32 v16, v22, v23, v16
.LBB395_1357:                           ;   in Loop: Header=BB395_1055 Depth=1
	s_or_b32 exec_lo, exec_lo, s15
.LBB395_1358:                           ;   in Loop: Header=BB395_1055 Depth=1
	s_or_b32 exec_lo, exec_lo, s13
.LBB395_1359:                           ;   in Loop: Header=BB395_1055 Depth=1
	s_or_b32 exec_lo, exec_lo, s12
	v_cmp_ne_u16_sdwa s4, v10, v11 src0_sel:BYTE_1 src1_sel:DWORD
	s_and_saveexec_b32 s12, s4
	s_cbranch_execz .LBB395_1367
; %bb.1360:                             ;   in Loop: Header=BB395_1055 Depth=1
	v_cmp_ne_u16_sdwa s4, v10, v68 src0_sel:BYTE_1 src1_sel:DWORD
	v_bfrev_b32_e32 v21, 1
	s_and_saveexec_b32 s13, s4
	s_cbranch_execz .LBB395_1366
; %bb.1361:                             ;   in Loop: Header=BB395_1055 Depth=1
	v_mov_b32_e32 v21, 0xffff
	s_mov_b32 s15, exec_lo
	v_and_b32_sdwa v23, v21, v10 dst_sel:DWORD dst_unused:UNUSED_PAD src0_sel:DWORD src1_sel:BYTE_1
	v_mov_b32_e32 v21, 0x7f800001
	v_and_b32_e32 v22, 0x7f, v23
	v_cmpx_ne_u32_e32 0x7f, v22
	s_cbranch_execz .LBB395_1365
; %bb.1362:                             ;   in Loop: Header=BB395_1055 Depth=1
	v_and_b32_e32 v23, 7, v23
	v_mov_b32_e32 v24, v11
	v_lshrrev_b32_e32 v21, 3, v22
	s_mov_b32 s18, exec_lo
	v_cmpx_gt_u32_e32 8, v22
; %bb.1363:                             ;   in Loop: Header=BB395_1055 Depth=1
	v_ffbh_u32_e32 v21, v23
	v_min_u32_e32 v21, 32, v21
	v_subrev_nc_u32_e32 v22, 28, v21
	v_sub_nc_u32_e32 v21, 29, v21
	v_lshlrev_b64 v[22:23], v22, v[23:24]
	v_and_b32_e32 v23, 7, v22
; %bb.1364:                             ;   in Loop: Header=BB395_1055 Depth=1
	s_or_b32 exec_lo, exec_lo, s18
	v_lshlrev_b32_e32 v10, 16, v10
	v_lshlrev_b32_e32 v22, 20, v23
	v_lshl_add_u32 v21, v21, 23, 0x3c000000
	v_and_b32_e32 v10, 0x80000000, v10
	v_or3_b32 v21, v22, v10, v21
.LBB395_1365:                           ;   in Loop: Header=BB395_1055 Depth=1
	s_or_b32 exec_lo, exec_lo, s15
.LBB395_1366:                           ;   in Loop: Header=BB395_1055 Depth=1
	s_or_b32 exec_lo, exec_lo, s13
.LBB395_1367:                           ;   in Loop: Header=BB395_1055 Depth=1
	s_or_b32 exec_lo, exec_lo, s12
	v_and_b32_sdwa v10, v20, v70 dst_sel:DWORD dst_unused:UNUSED_PAD src0_sel:WORD_1 src1_sel:DWORD
	v_mov_b32_e32 v22, 0
	v_mov_b32_e32 v25, 0
	s_mov_b32 s12, exec_lo
	v_cmpx_ne_u16_e32 0, v10
	s_cbranch_execz .LBB395_1375
; %bb.1368:                             ;   in Loop: Header=BB395_1055 Depth=1
	v_bfrev_b32_e32 v25, 1
	s_mov_b32 s13, exec_lo
	v_cmpx_ne_u16_e32 0x80, v10
	s_cbranch_execz .LBB395_1374
; %bb.1369:                             ;   in Loop: Header=BB395_1055 Depth=1
	v_bfe_u32 v23, v20, 16, 7
	v_mov_b32_e32 v25, 0x7f800001
	s_mov_b32 s15, exec_lo
	v_cmpx_ne_u32_e32 0x7f, v23
	s_cbranch_execz .LBB395_1373
; %bb.1370:                             ;   in Loop: Header=BB395_1055 Depth=1
	v_mov_b32_e32 v10, 7
	v_lshrrev_b32_e32 v25, 3, v23
	v_cmp_gt_u32_e64 s4, 8, v23
	v_and_b32_sdwa v10, v20, v10 dst_sel:DWORD dst_unused:UNUSED_PAD src0_sel:WORD_1 src1_sel:DWORD
	v_mov_b32_e32 v24, v11
	v_mov_b32_e32 v23, v10
	s_and_saveexec_b32 s18, s4
; %bb.1371:                             ;   in Loop: Header=BB395_1055 Depth=1
	v_ffbh_u32_e32 v23, v10
	v_min_u32_e32 v25, 32, v23
	v_subrev_nc_u32_e32 v23, 28, v25
	v_sub_nc_u32_e32 v25, 29, v25
	v_lshlrev_b64 v[23:24], v23, v[10:11]
	v_and_b32_e32 v23, 7, v23
; %bb.1372:                             ;   in Loop: Header=BB395_1055 Depth=1
	s_or_b32 exec_lo, exec_lo, s18
	v_mov_b32_e32 v10, 24
	v_lshlrev_b32_e32 v23, 20, v23
	v_lshl_add_u32 v24, v25, 23, 0x3c000000
	v_lshlrev_b32_sdwa v10, v10, v20 dst_sel:DWORD dst_unused:UNUSED_PAD src0_sel:DWORD src1_sel:WORD_1
	v_and_b32_e32 v10, 0x80000000, v10
	v_or3_b32 v25, v23, v10, v24
.LBB395_1373:                           ;   in Loop: Header=BB395_1055 Depth=1
	s_or_b32 exec_lo, exec_lo, s15
.LBB395_1374:                           ;   in Loop: Header=BB395_1055 Depth=1
	s_or_b32 exec_lo, exec_lo, s13
.LBB395_1375:                           ;   in Loop: Header=BB395_1055 Depth=1
	s_or_b32 exec_lo, exec_lo, s12
	s_mov_b32 s12, exec_lo
	v_cmpx_lt_u64_e64 s[8:9], v[19:20]
	s_cbranch_execz .LBB395_1383
; %bb.1376:                             ;   in Loop: Header=BB395_1055 Depth=1
	v_cmp_ne_u32_sdwa s4, v20, v68 src0_sel:BYTE_3 src1_sel:DWORD
	v_bfrev_b32_e32 v22, 1
	s_and_saveexec_b32 s13, s4
	s_cbranch_execz .LBB395_1382
; %bb.1377:                             ;   in Loop: Header=BB395_1055 Depth=1
	v_bfe_u32 v23, v20, 24, 7
	v_mov_b32_e32 v22, 0x7f800001
	s_mov_b32 s15, exec_lo
	v_cmpx_ne_u32_e32 0x7f, v23
	s_cbranch_execz .LBB395_1381
; %bb.1378:                             ;   in Loop: Header=BB395_1055 Depth=1
	v_mov_b32_e32 v10, 7
	v_lshrrev_b32_e32 v19, 3, v23
	v_cmp_gt_u32_e64 s4, 8, v23
	v_and_b32_sdwa v10, v20, v10 dst_sel:DWORD dst_unused:UNUSED_PAD src0_sel:BYTE_3 src1_sel:DWORD
	v_mov_b32_e32 v24, v11
	v_mov_b32_e32 v23, v10
	s_and_saveexec_b32 s18, s4
; %bb.1379:                             ;   in Loop: Header=BB395_1055 Depth=1
	v_ffbh_u32_e32 v19, v10
	v_min_u32_e32 v19, 32, v19
	v_subrev_nc_u32_e32 v22, 28, v19
	v_sub_nc_u32_e32 v19, 29, v19
	v_lshlrev_b64 v[22:23], v22, v[10:11]
	v_and_b32_e32 v23, 7, v22
; %bb.1380:                             ;   in Loop: Header=BB395_1055 Depth=1
	s_or_b32 exec_lo, exec_lo, s18
	v_mov_b32_e32 v10, 24
	v_lshl_add_u32 v19, v19, 23, 0x3c000000
	v_lshlrev_b32_sdwa v10, v10, v20 dst_sel:DWORD dst_unused:UNUSED_PAD src0_sel:DWORD src1_sel:BYTE_3
	v_lshlrev_b32_e32 v20, 20, v23
	v_and_b32_e32 v10, 0x80000000, v10
	v_or3_b32 v22, v20, v10, v19
.LBB395_1381:                           ;   in Loop: Header=BB395_1055 Depth=1
	s_or_b32 exec_lo, exec_lo, s15
.LBB395_1382:                           ;   in Loop: Header=BB395_1055 Depth=1
	s_or_b32 exec_lo, exec_lo, s13
.LBB395_1383:                           ;   in Loop: Header=BB395_1055 Depth=1
	s_or_b32 exec_lo, exec_lo, s12
	v_mul_f32_e32 v10, v26, v21
	v_mul_f32_e32 v16, v26, v16
	;; [unrolled: 1-line block ×5, first 2 shown]
	v_bfe_u32 v19, v10, 16, 1
	v_or_b32_e32 v20, 0x400000, v10
	v_bfe_u32 v21, v16, 16, 1
	v_cmp_u_f32_e64 s4, v10, v10
	v_or_b32_e32 v23, 0x400000, v16
	v_add3_u32 v19, v19, v10, 0x7fff
	v_bfe_u32 v24, v13, 16, 1
	v_add3_u32 v21, v21, v16, 0x7fff
	v_or_b32_e32 v27, 0x400000, v13
	v_bfe_u32 v28, v12, 16, 1
	v_cndmask_b32_e64 v10, v19, v20, s4
	v_cmp_u_f32_e64 s4, v16, v16
	v_add3_u32 v24, v24, v13, 0x7fff
	v_or_b32_e32 v19, 0x400000, v12
	v_mul_f32_e32 v4, v26, v4
	v_lshrrev_b32_e32 v10, 16, v10
	v_cndmask_b32_e64 v16, v21, v23, s4
	v_cmp_u_f32_e64 s4, v13, v13
	v_bfe_u32 v20, v4, 16, 1
	buffer_store_dword v10, off, s[0:3], s32 offset:340 ; 4-byte Folded Spill
	v_add3_u32 v10, v28, v12, 0x7fff
	v_cndmask_b32_e64 v13, v24, v27, s4
	v_lshrrev_b32_e32 v16, 16, v16
	v_cmp_u_f32_e64 s4, v12, v12
	v_mul_f32_e32 v12, v26, v25
	v_lshrrev_b32_e32 v13, 16, v13
	buffer_store_dword v16, off, s[0:3], s32 offset:336 ; 4-byte Folded Spill
	v_cndmask_b32_e64 v10, v10, v19, s4
	v_or_b32_e32 v16, 0x400000, v5
	v_cmp_u_f32_e64 s4, v5, v5
	buffer_store_dword v13, off, s[0:3], s32 offset:352 ; 4-byte Folded Spill
	v_bfe_u32 v13, v5, 16, 1
	v_mul_f32_e32 v19, v26, v22
	v_bfe_u32 v21, v12, 16, 1
	v_or_b32_e32 v22, 0x400000, v12
	v_lshrrev_b32_e32 v10, 16, v10
	v_add3_u32 v13, v13, v5, 0x7fff
	v_or_b32_e32 v23, 0x400000, v19
	v_add3_u32 v21, v21, v12, 0x7fff
	buffer_store_dword v10, off, s[0:3], s32 offset:356 ; 4-byte Folded Spill
	v_cndmask_b32_e64 v5, v13, v16, s4
	v_add3_u32 v16, v20, v4, 0x7fff
	v_or_b32_e32 v20, 0x400000, v4
	v_cmp_u_f32_e64 s4, v4, v4
	v_bfe_u32 v13, v19, 16, 1
	v_lshrrev_b32_e32 v5, 16, v5
	v_cndmask_b32_e64 v4, v16, v20, s4
	v_cmp_u_f32_e64 s4, v12, v12
	v_add3_u32 v13, v13, v19, 0x7fff
	buffer_store_dword v5, off, s[0:3], s32 offset:364 ; 4-byte Folded Spill
	v_lshrrev_b32_e32 v4, 16, v4
	v_cndmask_b32_e64 v12, v21, v22, s4
	v_cmp_u_f32_e64 s4, v19, v19
	buffer_store_dword v4, off, s[0:3], s32 offset:360 ; 4-byte Folded Spill
	v_lshrrev_b32_e32 v4, 16, v12
	v_cndmask_b32_e64 v13, v13, v23, s4
	buffer_store_dword v4, off, s[0:3], s32 offset:344 ; 4-byte Folded Spill
	v_lshrrev_b32_e32 v4, 16, v13
	buffer_store_dword v4, off, s[0:3], s32 offset:348 ; 4-byte Folded Spill
	s_and_saveexec_b32 s12, vcc_lo
	s_cbranch_execz .LBB395_1385
; %bb.1384:                             ;   in Loop: Header=BB395_1055 Depth=1
	buffer_load_dword v4, off, s[0:3], s32 offset:360 ; 4-byte Folded Reload
	v_cmp_lt_i32_e64 s4, v57, v36
	s_waitcnt vmcnt(0)
	v_cndmask_b32_e64 v4, 0, v4, s4
	v_cmp_lt_i32_e64 s4, v63, v36
	buffer_store_dword v4, off, s[0:3], s32 offset:360 ; 4-byte Folded Spill
	buffer_load_dword v4, off, s[0:3], s32 offset:364 ; 4-byte Folded Reload
	s_waitcnt vmcnt(0)
	v_cndmask_b32_e64 v4, 0, v4, s4
	v_cmp_lt_i32_e64 s4, v62, v36
	buffer_store_dword v4, off, s[0:3], s32 offset:364 ; 4-byte Folded Spill
	buffer_load_dword v4, off, s[0:3], s32 offset:356 ; 4-byte Folded Reload
	;; [unrolled: 5-line block ×7, first 2 shown]
	s_waitcnt vmcnt(0)
	v_cndmask_b32_e64 v4, 0, v4, s4
	buffer_store_dword v4, off, s[0:3], s32 offset:348 ; 4-byte Folded Spill
.LBB395_1385:                           ;   in Loop: Header=BB395_1055 Depth=1
	s_or_b32 exec_lo, exec_lo, s12
	flat_load_dwordx2 v[19:20], v[17:18] offset:1280
	v_mov_b32_e32 v12, 0
	v_mov_b32_e32 v4, 0
	s_waitcnt vmcnt(0) lgkmcnt(0)
	v_cmp_ne_u16_sdwa s4, v19, v11 src0_sel:BYTE_0 src1_sel:DWORD
	s_and_saveexec_b32 s12, s4
	s_cbranch_execz .LBB395_1393
; %bb.1386:                             ;   in Loop: Header=BB395_1055 Depth=1
	v_cmp_ne_u16_sdwa s4, v19, v68 src0_sel:BYTE_0 src1_sel:DWORD
	v_bfrev_b32_e32 v4, 1
	s_and_saveexec_b32 s13, s4
	s_cbranch_execz .LBB395_1392
; %bb.1387:                             ;   in Loop: Header=BB395_1055 Depth=1
	v_and_b32_e32 v5, 0x7f, v19
	v_mov_b32_e32 v4, 0x7f800001
	s_mov_b32 s15, exec_lo
	v_cmpx_ne_u32_e32 0x7f, v5
	s_cbranch_execz .LBB395_1391
; %bb.1388:                             ;   in Loop: Header=BB395_1055 Depth=1
	v_mov_b32_e32 v24, v20
	v_lshrrev_b32_e32 v4, 3, v5
	v_mov_b32_e32 v23, v19
	s_mov_b32 s18, exec_lo
	v_cmpx_gt_u32_e32 8, v5
; %bb.1389:                             ;   in Loop: Header=BB395_1055 Depth=1
	v_and_b32_e32 v4, 7, v19
	v_ffbh_u32_e32 v4, v4
	v_min_u32_e32 v4, 32, v4
	v_subrev_nc_u32_e32 v5, 28, v4
	v_sub_nc_u32_e32 v4, 29, v4
	v_lshlrev_b64 v[23:24], v5, v[19:20]
; %bb.1390:                             ;   in Loop: Header=BB395_1055 Depth=1
	s_or_b32 exec_lo, exec_lo, s18
	v_lshlrev_b32_e32 v5, 20, v23
	v_lshlrev_b32_e32 v10, 24, v19
	v_lshl_add_u32 v4, v4, 23, 0x3c000000
	v_and_b32_e32 v5, 0x700000, v5
	v_and_b32_e32 v10, 0x80000000, v10
	v_or3_b32 v4, v5, v10, v4
.LBB395_1391:                           ;   in Loop: Header=BB395_1055 Depth=1
	s_or_b32 exec_lo, exec_lo, s15
.LBB395_1392:                           ;   in Loop: Header=BB395_1055 Depth=1
	s_or_b32 exec_lo, exec_lo, s13
.LBB395_1393:                           ;   in Loop: Header=BB395_1055 Depth=1
	s_or_b32 exec_lo, exec_lo, s12
	v_cmp_ne_u16_sdwa s4, v19, v11 src0_sel:BYTE_1 src1_sel:DWORD
	s_and_saveexec_b32 s12, s4
	s_cbranch_execz .LBB395_1401
; %bb.1394:                             ;   in Loop: Header=BB395_1055 Depth=1
	v_cmp_ne_u16_sdwa s4, v19, v68 src0_sel:BYTE_1 src1_sel:DWORD
	v_bfrev_b32_e32 v12, 1
	s_and_saveexec_b32 s13, s4
	s_cbranch_execz .LBB395_1400
; %bb.1395:                             ;   in Loop: Header=BB395_1055 Depth=1
	v_mov_b32_e32 v5, 0xffff
	v_mov_b32_e32 v12, 0x7f800001
	s_mov_b32 s15, exec_lo
	v_and_b32_sdwa v5, v5, v19 dst_sel:DWORD dst_unused:UNUSED_PAD src0_sel:DWORD src1_sel:BYTE_1
	v_and_b32_e32 v13, 0x7f, v5
	v_cmpx_ne_u32_e32 0x7f, v13
	s_cbranch_execz .LBB395_1399
; %bb.1396:                             ;   in Loop: Header=BB395_1055 Depth=1
	v_and_b32_e32 v10, 7, v5
	v_mov_b32_e32 v24, v11
	v_lshrrev_b32_e32 v5, 3, v13
	s_mov_b32 s18, exec_lo
	v_mov_b32_e32 v23, v10
	v_cmpx_gt_u32_e32 8, v13
; %bb.1397:                             ;   in Loop: Header=BB395_1055 Depth=1
	v_ffbh_u32_e32 v5, v10
	v_min_u32_e32 v5, 32, v5
	v_subrev_nc_u32_e32 v12, 28, v5
	v_sub_nc_u32_e32 v5, 29, v5
	v_lshlrev_b64 v[12:13], v12, v[10:11]
	v_and_b32_e32 v23, 7, v12
; %bb.1398:                             ;   in Loop: Header=BB395_1055 Depth=1
	s_or_b32 exec_lo, exec_lo, s18
	v_lshlrev_b32_e32 v10, 16, v19
	v_lshlrev_b32_e32 v12, 20, v23
	v_lshl_add_u32 v5, v5, 23, 0x3c000000
	v_and_b32_e32 v10, 0x80000000, v10
	v_or3_b32 v12, v12, v10, v5
.LBB395_1399:                           ;   in Loop: Header=BB395_1055 Depth=1
	s_or_b32 exec_lo, exec_lo, s15
.LBB395_1400:                           ;   in Loop: Header=BB395_1055 Depth=1
	s_or_b32 exec_lo, exec_lo, s13
.LBB395_1401:                           ;   in Loop: Header=BB395_1055 Depth=1
	s_or_b32 exec_lo, exec_lo, s12
	v_and_b32_sdwa v10, v19, v70 dst_sel:DWORD dst_unused:UNUSED_PAD src0_sel:WORD_1 src1_sel:DWORD
	v_mov_b32_e32 v13, 0
	v_mov_b32_e32 v5, 0
	s_mov_b32 s12, exec_lo
	v_cmpx_ne_u16_e32 0, v10
	s_cbranch_execz .LBB395_1409
; %bb.1402:                             ;   in Loop: Header=BB395_1055 Depth=1
	v_bfrev_b32_e32 v5, 1
	s_mov_b32 s13, exec_lo
	v_cmpx_ne_u16_e32 0x80, v10
	s_cbranch_execz .LBB395_1408
; %bb.1403:                             ;   in Loop: Header=BB395_1055 Depth=1
	v_bfe_u32 v16, v19, 16, 7
	v_mov_b32_e32 v5, 0x7f800001
	s_mov_b32 s15, exec_lo
	v_cmpx_ne_u32_e32 0x7f, v16
	s_cbranch_execz .LBB395_1407
; %bb.1404:                             ;   in Loop: Header=BB395_1055 Depth=1
	v_mov_b32_e32 v5, 7
	s_mov_b32 s18, exec_lo
	v_and_b32_sdwa v10, v19, v5 dst_sel:DWORD dst_unused:UNUSED_PAD src0_sel:WORD_1 src1_sel:DWORD
	v_mov_b32_e32 v24, v11
	v_lshrrev_b32_e32 v5, 3, v16
	v_mov_b32_e32 v23, v10
	v_cmpx_gt_u32_e32 8, v16
; %bb.1405:                             ;   in Loop: Header=BB395_1055 Depth=1
	v_ffbh_u32_e32 v5, v10
	v_min_u32_e32 v5, 32, v5
	v_subrev_nc_u32_e32 v16, 28, v5
	v_sub_nc_u32_e32 v5, 29, v5
	v_lshlrev_b64 v[21:22], v16, v[10:11]
	v_and_b32_e32 v23, 7, v21
; %bb.1406:                             ;   in Loop: Header=BB395_1055 Depth=1
	s_or_b32 exec_lo, exec_lo, s18
	v_mov_b32_e32 v10, 24
	v_lshlrev_b32_e32 v16, 20, v23
	v_lshl_add_u32 v5, v5, 23, 0x3c000000
	v_lshlrev_b32_sdwa v10, v10, v19 dst_sel:DWORD dst_unused:UNUSED_PAD src0_sel:DWORD src1_sel:WORD_1
	v_and_b32_e32 v10, 0x80000000, v10
	v_or3_b32 v5, v16, v10, v5
.LBB395_1407:                           ;   in Loop: Header=BB395_1055 Depth=1
	s_or_b32 exec_lo, exec_lo, s15
.LBB395_1408:                           ;   in Loop: Header=BB395_1055 Depth=1
	s_or_b32 exec_lo, exec_lo, s13
.LBB395_1409:                           ;   in Loop: Header=BB395_1055 Depth=1
	s_or_b32 exec_lo, exec_lo, s12
	s_mov_b32 s12, exec_lo
	v_cmpx_lt_u32_e32 0xffffff, v19
	s_cbranch_execz .LBB395_1417
; %bb.1410:                             ;   in Loop: Header=BB395_1055 Depth=1
	v_cmp_ne_u32_sdwa s4, v19, v68 src0_sel:BYTE_3 src1_sel:DWORD
	v_bfrev_b32_e32 v13, 1
	s_and_saveexec_b32 s13, s4
	s_cbranch_execz .LBB395_1416
; %bb.1411:                             ;   in Loop: Header=BB395_1055 Depth=1
	v_bfe_u32 v16, v19, 24, 7
	v_mov_b32_e32 v13, 0x7f800001
	s_mov_b32 s15, exec_lo
	v_cmpx_ne_u32_e32 0x7f, v16
	s_cbranch_execz .LBB395_1415
; %bb.1412:                             ;   in Loop: Header=BB395_1055 Depth=1
	v_mov_b32_e32 v10, 7
	v_lshrrev_b32_e32 v13, 3, v16
	s_mov_b32 s18, exec_lo
	v_and_b32_sdwa v10, v19, v10 dst_sel:DWORD dst_unused:UNUSED_PAD src0_sel:BYTE_3 src1_sel:DWORD
	v_mov_b32_e32 v24, v11
	v_mov_b32_e32 v23, v10
	v_cmpx_gt_u32_e32 8, v16
; %bb.1413:                             ;   in Loop: Header=BB395_1055 Depth=1
	v_ffbh_u32_e32 v13, v10
	v_min_u32_e32 v13, 32, v13
	v_subrev_nc_u32_e32 v16, 28, v13
	v_sub_nc_u32_e32 v13, 29, v13
	v_lshlrev_b64 v[21:22], v16, v[10:11]
	v_and_b32_e32 v23, 7, v21
; %bb.1414:                             ;   in Loop: Header=BB395_1055 Depth=1
	s_or_b32 exec_lo, exec_lo, s18
	v_mov_b32_e32 v10, 24
	v_lshlrev_b32_e32 v16, 20, v23
	v_lshl_add_u32 v13, v13, 23, 0x3c000000
	v_lshlrev_b32_sdwa v10, v10, v19 dst_sel:DWORD dst_unused:UNUSED_PAD src0_sel:DWORD src1_sel:BYTE_3
	v_and_b32_e32 v10, 0x80000000, v10
	v_or3_b32 v13, v16, v10, v13
.LBB395_1415:                           ;   in Loop: Header=BB395_1055 Depth=1
	s_or_b32 exec_lo, exec_lo, s15
.LBB395_1416:                           ;   in Loop: Header=BB395_1055 Depth=1
	s_or_b32 exec_lo, exec_lo, s13
.LBB395_1417:                           ;   in Loop: Header=BB395_1055 Depth=1
	s_or_b32 exec_lo, exec_lo, s12
	v_mov_b32_e32 v10, v20
	v_cmp_ne_u16_sdwa s4, v20, v11 src0_sel:BYTE_0 src1_sel:DWORD
	v_mov_b32_e32 v21, 0
	v_mov_b32_e32 v16, 0
	s_and_saveexec_b32 s12, s4
	s_cbranch_execz .LBB395_1425
; %bb.1418:                             ;   in Loop: Header=BB395_1055 Depth=1
	v_cmp_ne_u16_sdwa s4, v20, v68 src0_sel:BYTE_0 src1_sel:DWORD
	v_bfrev_b32_e32 v16, 1
	s_and_saveexec_b32 s13, s4
	s_cbranch_execz .LBB395_1424
; %bb.1419:                             ;   in Loop: Header=BB395_1055 Depth=1
	v_and_b32_e32 v22, 0x7f, v20
	v_mov_b32_e32 v16, 0x7f800001
	s_mov_b32 s15, exec_lo
	v_cmpx_ne_u32_e32 0x7f, v22
	s_cbranch_execz .LBB395_1423
; %bb.1420:                             ;   in Loop: Header=BB395_1055 Depth=1
	v_mov_b32_e32 v24, v11
	v_lshrrev_b32_e32 v16, 3, v22
	v_mov_b32_e32 v23, v10
	s_mov_b32 s18, exec_lo
	v_cmpx_gt_u32_e32 8, v22
; %bb.1421:                             ;   in Loop: Header=BB395_1055 Depth=1
	v_and_b32_e32 v16, 7, v20
	v_ffbh_u32_e32 v16, v16
	v_min_u32_e32 v16, 32, v16
	v_subrev_nc_u32_e32 v22, 28, v16
	v_sub_nc_u32_e32 v16, 29, v16
	v_lshlrev_b64 v[23:24], v22, v[10:11]
; %bb.1422:                             ;   in Loop: Header=BB395_1055 Depth=1
	s_or_b32 exec_lo, exec_lo, s18
	v_lshlrev_b32_e32 v22, 20, v23
	v_lshlrev_b32_e32 v23, 24, v10
	v_lshl_add_u32 v16, v16, 23, 0x3c000000
	v_and_b32_e32 v22, 0x700000, v22
	v_and_b32_e32 v23, 0x80000000, v23
	v_or3_b32 v16, v22, v23, v16
.LBB395_1423:                           ;   in Loop: Header=BB395_1055 Depth=1
	s_or_b32 exec_lo, exec_lo, s15
.LBB395_1424:                           ;   in Loop: Header=BB395_1055 Depth=1
	s_or_b32 exec_lo, exec_lo, s13
.LBB395_1425:                           ;   in Loop: Header=BB395_1055 Depth=1
	s_or_b32 exec_lo, exec_lo, s12
	v_cmp_ne_u16_sdwa s4, v10, v11 src0_sel:BYTE_1 src1_sel:DWORD
	s_and_saveexec_b32 s12, s4
	s_cbranch_execz .LBB395_1433
; %bb.1426:                             ;   in Loop: Header=BB395_1055 Depth=1
	v_cmp_ne_u16_sdwa s4, v10, v68 src0_sel:BYTE_1 src1_sel:DWORD
	v_bfrev_b32_e32 v21, 1
	s_and_saveexec_b32 s13, s4
	s_cbranch_execz .LBB395_1432
; %bb.1427:                             ;   in Loop: Header=BB395_1055 Depth=1
	v_mov_b32_e32 v21, 0xffff
	s_mov_b32 s15, exec_lo
	v_and_b32_sdwa v23, v21, v10 dst_sel:DWORD dst_unused:UNUSED_PAD src0_sel:DWORD src1_sel:BYTE_1
	v_mov_b32_e32 v21, 0x7f800001
	v_and_b32_e32 v22, 0x7f, v23
	v_cmpx_ne_u32_e32 0x7f, v22
	s_cbranch_execz .LBB395_1431
; %bb.1428:                             ;   in Loop: Header=BB395_1055 Depth=1
	v_and_b32_e32 v23, 7, v23
	v_mov_b32_e32 v24, v11
	v_lshrrev_b32_e32 v21, 3, v22
	s_mov_b32 s18, exec_lo
	v_cmpx_gt_u32_e32 8, v22
; %bb.1429:                             ;   in Loop: Header=BB395_1055 Depth=1
	v_ffbh_u32_e32 v21, v23
	v_min_u32_e32 v21, 32, v21
	v_subrev_nc_u32_e32 v22, 28, v21
	v_sub_nc_u32_e32 v21, 29, v21
	v_lshlrev_b64 v[22:23], v22, v[23:24]
	v_and_b32_e32 v23, 7, v22
; %bb.1430:                             ;   in Loop: Header=BB395_1055 Depth=1
	s_or_b32 exec_lo, exec_lo, s18
	v_lshlrev_b32_e32 v10, 16, v10
	v_lshlrev_b32_e32 v22, 20, v23
	v_lshl_add_u32 v21, v21, 23, 0x3c000000
	v_and_b32_e32 v10, 0x80000000, v10
	v_or3_b32 v21, v22, v10, v21
.LBB395_1431:                           ;   in Loop: Header=BB395_1055 Depth=1
	s_or_b32 exec_lo, exec_lo, s15
.LBB395_1432:                           ;   in Loop: Header=BB395_1055 Depth=1
	s_or_b32 exec_lo, exec_lo, s13
.LBB395_1433:                           ;   in Loop: Header=BB395_1055 Depth=1
	s_or_b32 exec_lo, exec_lo, s12
	v_and_b32_sdwa v10, v20, v70 dst_sel:DWORD dst_unused:UNUSED_PAD src0_sel:WORD_1 src1_sel:DWORD
	v_mov_b32_e32 v22, 0
	v_mov_b32_e32 v25, 0
	s_mov_b32 s12, exec_lo
	v_cmpx_ne_u16_e32 0, v10
	s_cbranch_execz .LBB395_1441
; %bb.1434:                             ;   in Loop: Header=BB395_1055 Depth=1
	v_bfrev_b32_e32 v25, 1
	s_mov_b32 s13, exec_lo
	v_cmpx_ne_u16_e32 0x80, v10
	s_cbranch_execz .LBB395_1440
; %bb.1435:                             ;   in Loop: Header=BB395_1055 Depth=1
	v_bfe_u32 v23, v20, 16, 7
	v_mov_b32_e32 v25, 0x7f800001
	s_mov_b32 s15, exec_lo
	v_cmpx_ne_u32_e32 0x7f, v23
	s_cbranch_execz .LBB395_1439
; %bb.1436:                             ;   in Loop: Header=BB395_1055 Depth=1
	v_mov_b32_e32 v10, 7
	v_lshrrev_b32_e32 v25, 3, v23
	v_cmp_gt_u32_e64 s4, 8, v23
	v_and_b32_sdwa v10, v20, v10 dst_sel:DWORD dst_unused:UNUSED_PAD src0_sel:WORD_1 src1_sel:DWORD
	v_mov_b32_e32 v24, v11
	v_mov_b32_e32 v23, v10
	s_and_saveexec_b32 s18, s4
; %bb.1437:                             ;   in Loop: Header=BB395_1055 Depth=1
	v_ffbh_u32_e32 v23, v10
	v_min_u32_e32 v25, 32, v23
	v_subrev_nc_u32_e32 v23, 28, v25
	v_sub_nc_u32_e32 v25, 29, v25
	v_lshlrev_b64 v[23:24], v23, v[10:11]
	v_and_b32_e32 v23, 7, v23
; %bb.1438:                             ;   in Loop: Header=BB395_1055 Depth=1
	s_or_b32 exec_lo, exec_lo, s18
	v_mov_b32_e32 v10, 24
	v_lshlrev_b32_e32 v23, 20, v23
	v_lshl_add_u32 v24, v25, 23, 0x3c000000
	v_lshlrev_b32_sdwa v10, v10, v20 dst_sel:DWORD dst_unused:UNUSED_PAD src0_sel:DWORD src1_sel:WORD_1
	v_and_b32_e32 v10, 0x80000000, v10
	v_or3_b32 v25, v23, v10, v24
.LBB395_1439:                           ;   in Loop: Header=BB395_1055 Depth=1
	s_or_b32 exec_lo, exec_lo, s15
.LBB395_1440:                           ;   in Loop: Header=BB395_1055 Depth=1
	s_or_b32 exec_lo, exec_lo, s13
.LBB395_1441:                           ;   in Loop: Header=BB395_1055 Depth=1
	s_or_b32 exec_lo, exec_lo, s12
	s_mov_b32 s12, exec_lo
	v_cmpx_lt_u64_e64 s[8:9], v[19:20]
	s_cbranch_execz .LBB395_1449
; %bb.1442:                             ;   in Loop: Header=BB395_1055 Depth=1
	v_cmp_ne_u32_sdwa s4, v20, v68 src0_sel:BYTE_3 src1_sel:DWORD
	v_bfrev_b32_e32 v22, 1
	s_and_saveexec_b32 s13, s4
	s_cbranch_execz .LBB395_1448
; %bb.1443:                             ;   in Loop: Header=BB395_1055 Depth=1
	v_bfe_u32 v23, v20, 24, 7
	v_mov_b32_e32 v22, 0x7f800001
	s_mov_b32 s15, exec_lo
	v_cmpx_ne_u32_e32 0x7f, v23
	s_cbranch_execz .LBB395_1447
; %bb.1444:                             ;   in Loop: Header=BB395_1055 Depth=1
	v_mov_b32_e32 v10, 7
	v_lshrrev_b32_e32 v19, 3, v23
	v_cmp_gt_u32_e64 s4, 8, v23
	v_and_b32_sdwa v10, v20, v10 dst_sel:DWORD dst_unused:UNUSED_PAD src0_sel:BYTE_3 src1_sel:DWORD
	v_mov_b32_e32 v24, v11
	v_mov_b32_e32 v23, v10
	s_and_saveexec_b32 s18, s4
; %bb.1445:                             ;   in Loop: Header=BB395_1055 Depth=1
	v_ffbh_u32_e32 v19, v10
	v_min_u32_e32 v19, 32, v19
	v_subrev_nc_u32_e32 v22, 28, v19
	v_sub_nc_u32_e32 v19, 29, v19
	v_lshlrev_b64 v[22:23], v22, v[10:11]
	v_and_b32_e32 v23, 7, v22
; %bb.1446:                             ;   in Loop: Header=BB395_1055 Depth=1
	s_or_b32 exec_lo, exec_lo, s18
	v_mov_b32_e32 v10, 24
	v_lshl_add_u32 v19, v19, 23, 0x3c000000
	v_lshlrev_b32_sdwa v10, v10, v20 dst_sel:DWORD dst_unused:UNUSED_PAD src0_sel:DWORD src1_sel:BYTE_3
	v_lshlrev_b32_e32 v20, 20, v23
	v_and_b32_e32 v10, 0x80000000, v10
	v_or3_b32 v22, v20, v10, v19
.LBB395_1447:                           ;   in Loop: Header=BB395_1055 Depth=1
	s_or_b32 exec_lo, exec_lo, s15
.LBB395_1448:                           ;   in Loop: Header=BB395_1055 Depth=1
	s_or_b32 exec_lo, exec_lo, s13
.LBB395_1449:                           ;   in Loop: Header=BB395_1055 Depth=1
	s_or_b32 exec_lo, exec_lo, s12
	v_mul_f32_e32 v10, v26, v21
	v_mul_f32_e32 v16, v26, v16
	;; [unrolled: 1-line block ×5, first 2 shown]
	v_bfe_u32 v19, v10, 16, 1
	v_or_b32_e32 v20, 0x400000, v10
	v_bfe_u32 v21, v16, 16, 1
	v_cmp_u_f32_e64 s4, v10, v10
	v_or_b32_e32 v23, 0x400000, v16
	v_add3_u32 v19, v19, v10, 0x7fff
	v_bfe_u32 v24, v13, 16, 1
	v_add3_u32 v21, v21, v16, 0x7fff
	v_or_b32_e32 v27, 0x400000, v13
	v_bfe_u32 v28, v5, 16, 1
	v_cndmask_b32_e64 v10, v19, v20, s4
	v_cmp_u_f32_e64 s4, v16, v16
	v_add3_u32 v24, v24, v13, 0x7fff
	v_or_b32_e32 v19, 0x400000, v5
	v_bfe_u32 v20, v4, 16, 1
	v_lshrrev_b32_e32 v10, 16, v10
	v_cndmask_b32_e64 v16, v21, v23, s4
	v_cmp_u_f32_e64 s4, v13, v13
	buffer_store_dword v10, off, s[0:3], s32 offset:372 ; 4-byte Folded Spill
	v_mul_f32_e32 v10, v26, v12
	v_cndmask_b32_e64 v13, v24, v27, s4
	v_add3_u32 v12, v28, v5, 0x7fff
	v_lshrrev_b32_e32 v16, 16, v16
	v_cmp_u_f32_e64 s4, v5, v5
	v_lshrrev_b32_e32 v13, 16, v13
	buffer_store_dword v16, off, s[0:3], s32 offset:368 ; 4-byte Folded Spill
	v_cndmask_b32_e64 v5, v12, v19, s4
	v_mul_f32_e32 v12, v26, v25
	buffer_store_dword v13, off, s[0:3], s32 offset:384 ; 4-byte Folded Spill
	v_bfe_u32 v13, v10, 16, 1
	v_or_b32_e32 v16, 0x400000, v10
	v_cmp_u_f32_e64 s4, v10, v10
	v_mul_f32_e32 v19, v26, v22
	v_bfe_u32 v21, v12, 16, 1
	v_add3_u32 v13, v13, v10, 0x7fff
	v_or_b32_e32 v22, 0x400000, v12
	v_lshrrev_b32_e32 v5, 16, v5
	v_or_b32_e32 v23, 0x400000, v19
	v_add3_u32 v21, v21, v12, 0x7fff
	v_cndmask_b32_e64 v10, v13, v16, s4
	v_add3_u32 v16, v20, v4, 0x7fff
	v_or_b32_e32 v20, 0x400000, v4
	v_cmp_u_f32_e64 s4, v4, v4
	v_bfe_u32 v13, v19, 16, 1
	buffer_store_dword v5, off, s[0:3], s32 offset:388 ; 4-byte Folded Spill
	v_cndmask_b32_e64 v4, v16, v20, s4
	v_cmp_u_f32_e64 s4, v12, v12
	v_add3_u32 v13, v13, v19, 0x7fff
	v_lshrrev_b32_e32 v37, 16, v4
	v_cndmask_b32_e64 v12, v21, v22, s4
	v_cmp_u_f32_e64 s4, v19, v19
	v_lshrrev_b32_e32 v22, 16, v10
	v_lshrrev_b32_e32 v4, 16, v12
	v_cndmask_b32_e64 v13, v13, v23, s4
	buffer_store_dword v4, off, s[0:3], s32 offset:376 ; 4-byte Folded Spill
	v_lshrrev_b32_e32 v4, 16, v13
	buffer_store_dword v4, off, s[0:3], s32 offset:380 ; 4-byte Folded Spill
	s_and_saveexec_b32 s12, vcc_lo
	s_cbranch_execz .LBB395_1451
; %bb.1450:                             ;   in Loop: Header=BB395_1055 Depth=1
	buffer_load_dword v4, off, s[0:3], s32 offset:388 ; 4-byte Folded Reload
	v_cmp_lt_i32_e64 s4, v57, v36
	v_cndmask_b32_e64 v37, 0, v37, s4
	v_cmp_lt_i32_e64 s4, v63, v36
	v_cndmask_b32_e64 v22, 0, v22, s4
	v_cmp_lt_i32_e64 s4, v62, v36
	s_waitcnt vmcnt(0)
	v_cndmask_b32_e64 v4, 0, v4, s4
	v_cmp_lt_i32_e64 s4, v61, v36
	buffer_store_dword v4, off, s[0:3], s32 offset:388 ; 4-byte Folded Spill
	buffer_load_dword v4, off, s[0:3], s32 offset:384 ; 4-byte Folded Reload
	s_waitcnt vmcnt(0)
	v_cndmask_b32_e64 v4, 0, v4, s4
	v_cmp_lt_i32_e64 s4, v60, v36
	buffer_store_dword v4, off, s[0:3], s32 offset:384 ; 4-byte Folded Spill
	buffer_load_dword v4, off, s[0:3], s32 offset:368 ; 4-byte Folded Reload
	;; [unrolled: 5-line block ×5, first 2 shown]
	s_waitcnt vmcnt(0)
	v_cndmask_b32_e64 v4, 0, v4, s4
	buffer_store_dword v4, off, s[0:3], s32 offset:380 ; 4-byte Folded Spill
.LBB395_1451:                           ;   in Loop: Header=BB395_1055 Depth=1
	s_or_b32 exec_lo, exec_lo, s12
	flat_load_dwordx2 v[19:20], v[17:18] offset:1536
	v_mov_b32_e32 v12, 0
	v_mov_b32_e32 v4, 0
	s_waitcnt vmcnt(0) lgkmcnt(0)
	v_cmp_ne_u16_sdwa s4, v19, v11 src0_sel:BYTE_0 src1_sel:DWORD
	s_and_saveexec_b32 s12, s4
	s_cbranch_execz .LBB395_1459
; %bb.1452:                             ;   in Loop: Header=BB395_1055 Depth=1
	v_cmp_ne_u16_sdwa s4, v19, v68 src0_sel:BYTE_0 src1_sel:DWORD
	v_bfrev_b32_e32 v4, 1
	s_and_saveexec_b32 s13, s4
	s_cbranch_execz .LBB395_1458
; %bb.1453:                             ;   in Loop: Header=BB395_1055 Depth=1
	v_and_b32_e32 v5, 0x7f, v19
	v_mov_b32_e32 v4, 0x7f800001
	s_mov_b32 s15, exec_lo
	v_cmpx_ne_u32_e32 0x7f, v5
	s_cbranch_execz .LBB395_1457
; %bb.1454:                             ;   in Loop: Header=BB395_1055 Depth=1
	v_mov_b32_e32 v24, v20
	v_lshrrev_b32_e32 v4, 3, v5
	v_mov_b32_e32 v23, v19
	s_mov_b32 s18, exec_lo
	v_cmpx_gt_u32_e32 8, v5
; %bb.1455:                             ;   in Loop: Header=BB395_1055 Depth=1
	v_and_b32_e32 v4, 7, v19
	v_ffbh_u32_e32 v4, v4
	v_min_u32_e32 v4, 32, v4
	v_subrev_nc_u32_e32 v5, 28, v4
	v_sub_nc_u32_e32 v4, 29, v4
	v_lshlrev_b64 v[23:24], v5, v[19:20]
; %bb.1456:                             ;   in Loop: Header=BB395_1055 Depth=1
	s_or_b32 exec_lo, exec_lo, s18
	v_lshlrev_b32_e32 v5, 20, v23
	v_lshlrev_b32_e32 v10, 24, v19
	v_lshl_add_u32 v4, v4, 23, 0x3c000000
	v_and_b32_e32 v5, 0x700000, v5
	v_and_b32_e32 v10, 0x80000000, v10
	v_or3_b32 v4, v5, v10, v4
.LBB395_1457:                           ;   in Loop: Header=BB395_1055 Depth=1
	s_or_b32 exec_lo, exec_lo, s15
.LBB395_1458:                           ;   in Loop: Header=BB395_1055 Depth=1
	s_or_b32 exec_lo, exec_lo, s13
.LBB395_1459:                           ;   in Loop: Header=BB395_1055 Depth=1
	s_or_b32 exec_lo, exec_lo, s12
	v_cmp_ne_u16_sdwa s4, v19, v11 src0_sel:BYTE_1 src1_sel:DWORD
	s_and_saveexec_b32 s12, s4
	s_cbranch_execz .LBB395_1467
; %bb.1460:                             ;   in Loop: Header=BB395_1055 Depth=1
	v_cmp_ne_u16_sdwa s4, v19, v68 src0_sel:BYTE_1 src1_sel:DWORD
	v_bfrev_b32_e32 v12, 1
	s_and_saveexec_b32 s13, s4
	s_cbranch_execz .LBB395_1466
; %bb.1461:                             ;   in Loop: Header=BB395_1055 Depth=1
	v_mov_b32_e32 v5, 0xffff
	v_mov_b32_e32 v12, 0x7f800001
	s_mov_b32 s15, exec_lo
	v_and_b32_sdwa v5, v5, v19 dst_sel:DWORD dst_unused:UNUSED_PAD src0_sel:DWORD src1_sel:BYTE_1
	v_and_b32_e32 v13, 0x7f, v5
	v_cmpx_ne_u32_e32 0x7f, v13
	s_cbranch_execz .LBB395_1465
; %bb.1462:                             ;   in Loop: Header=BB395_1055 Depth=1
	v_and_b32_e32 v10, 7, v5
	v_mov_b32_e32 v24, v11
	v_lshrrev_b32_e32 v5, 3, v13
	s_mov_b32 s18, exec_lo
	v_mov_b32_e32 v23, v10
	v_cmpx_gt_u32_e32 8, v13
; %bb.1463:                             ;   in Loop: Header=BB395_1055 Depth=1
	v_ffbh_u32_e32 v5, v10
	v_min_u32_e32 v5, 32, v5
	v_subrev_nc_u32_e32 v12, 28, v5
	v_sub_nc_u32_e32 v5, 29, v5
	v_lshlrev_b64 v[12:13], v12, v[10:11]
	v_and_b32_e32 v23, 7, v12
; %bb.1464:                             ;   in Loop: Header=BB395_1055 Depth=1
	s_or_b32 exec_lo, exec_lo, s18
	v_lshlrev_b32_e32 v10, 16, v19
	v_lshlrev_b32_e32 v12, 20, v23
	v_lshl_add_u32 v5, v5, 23, 0x3c000000
	v_and_b32_e32 v10, 0x80000000, v10
	v_or3_b32 v12, v12, v10, v5
.LBB395_1465:                           ;   in Loop: Header=BB395_1055 Depth=1
	s_or_b32 exec_lo, exec_lo, s15
.LBB395_1466:                           ;   in Loop: Header=BB395_1055 Depth=1
	s_or_b32 exec_lo, exec_lo, s13
.LBB395_1467:                           ;   in Loop: Header=BB395_1055 Depth=1
	s_or_b32 exec_lo, exec_lo, s12
	v_and_b32_sdwa v5, v19, v70 dst_sel:DWORD dst_unused:UNUSED_PAD src0_sel:WORD_1 src1_sel:DWORD
	v_mov_b32_e32 v16, 0
	v_mov_b32_e32 v13, 0
	s_mov_b32 s12, exec_lo
	v_cmpx_ne_u16_e32 0, v5
	s_cbranch_execz .LBB395_1475
; %bb.1468:                             ;   in Loop: Header=BB395_1055 Depth=1
	v_bfrev_b32_e32 v13, 1
	s_mov_b32 s13, exec_lo
	v_cmpx_ne_u16_e32 0x80, v5
	s_cbranch_execz .LBB395_1474
; %bb.1469:                             ;   in Loop: Header=BB395_1055 Depth=1
	v_bfe_u32 v21, v19, 16, 7
	v_mov_b32_e32 v13, 0x7f800001
	s_mov_b32 s15, exec_lo
	v_cmpx_ne_u32_e32 0x7f, v21
	s_cbranch_execz .LBB395_1473
; %bb.1470:                             ;   in Loop: Header=BB395_1055 Depth=1
	v_mov_b32_e32 v5, 7
	s_mov_b32 s18, exec_lo
	v_and_b32_sdwa v10, v19, v5 dst_sel:DWORD dst_unused:UNUSED_PAD src0_sel:WORD_1 src1_sel:DWORD
	v_mov_b32_e32 v24, v11
	v_lshrrev_b32_e32 v5, 3, v21
	v_mov_b32_e32 v23, v10
	v_cmpx_gt_u32_e32 8, v21
; %bb.1471:                             ;   in Loop: Header=BB395_1055 Depth=1
	v_ffbh_u32_e32 v5, v10
	v_min_u32_e32 v5, 32, v5
	v_subrev_nc_u32_e32 v13, 28, v5
	v_sub_nc_u32_e32 v5, 29, v5
	v_lshlrev_b64 v[23:24], v13, v[10:11]
	v_and_b32_e32 v23, 7, v23
; %bb.1472:                             ;   in Loop: Header=BB395_1055 Depth=1
	s_or_b32 exec_lo, exec_lo, s18
	v_mov_b32_e32 v10, 24
	v_lshlrev_b32_e32 v13, 20, v23
	v_lshl_add_u32 v5, v5, 23, 0x3c000000
	v_lshlrev_b32_sdwa v10, v10, v19 dst_sel:DWORD dst_unused:UNUSED_PAD src0_sel:DWORD src1_sel:WORD_1
	v_and_b32_e32 v10, 0x80000000, v10
	v_or3_b32 v13, v13, v10, v5
.LBB395_1473:                           ;   in Loop: Header=BB395_1055 Depth=1
	s_or_b32 exec_lo, exec_lo, s15
.LBB395_1474:                           ;   in Loop: Header=BB395_1055 Depth=1
	s_or_b32 exec_lo, exec_lo, s13
.LBB395_1475:                           ;   in Loop: Header=BB395_1055 Depth=1
	s_or_b32 exec_lo, exec_lo, s12
	s_mov_b32 s12, exec_lo
	v_cmpx_lt_u32_e32 0xffffff, v19
	s_cbranch_execz .LBB395_1483
; %bb.1476:                             ;   in Loop: Header=BB395_1055 Depth=1
	v_cmp_ne_u32_sdwa s4, v19, v68 src0_sel:BYTE_3 src1_sel:DWORD
	v_bfrev_b32_e32 v16, 1
	s_and_saveexec_b32 s13, s4
	s_cbranch_execz .LBB395_1482
; %bb.1477:                             ;   in Loop: Header=BB395_1055 Depth=1
	v_bfe_u32 v21, v19, 24, 7
	v_mov_b32_e32 v16, 0x7f800001
	s_mov_b32 s15, exec_lo
	v_cmpx_ne_u32_e32 0x7f, v21
	s_cbranch_execz .LBB395_1481
; %bb.1478:                             ;   in Loop: Header=BB395_1055 Depth=1
	v_mov_b32_e32 v5, 7
	s_mov_b32 s18, exec_lo
	v_and_b32_sdwa v10, v19, v5 dst_sel:DWORD dst_unused:UNUSED_PAD src0_sel:BYTE_3 src1_sel:DWORD
	v_mov_b32_e32 v24, v11
	v_lshrrev_b32_e32 v5, 3, v21
	v_mov_b32_e32 v23, v10
	v_cmpx_gt_u32_e32 8, v21
; %bb.1479:                             ;   in Loop: Header=BB395_1055 Depth=1
	v_ffbh_u32_e32 v5, v10
	v_min_u32_e32 v5, 32, v5
	v_subrev_nc_u32_e32 v16, 28, v5
	v_sub_nc_u32_e32 v5, 29, v5
	v_lshlrev_b64 v[23:24], v16, v[10:11]
	v_and_b32_e32 v23, 7, v23
; %bb.1480:                             ;   in Loop: Header=BB395_1055 Depth=1
	s_or_b32 exec_lo, exec_lo, s18
	v_mov_b32_e32 v10, 24
	v_lshlrev_b32_e32 v16, 20, v23
	v_lshl_add_u32 v5, v5, 23, 0x3c000000
	v_lshlrev_b32_sdwa v10, v10, v19 dst_sel:DWORD dst_unused:UNUSED_PAD src0_sel:DWORD src1_sel:BYTE_3
	v_and_b32_e32 v10, 0x80000000, v10
	v_or3_b32 v16, v16, v10, v5
.LBB395_1481:                           ;   in Loop: Header=BB395_1055 Depth=1
	s_or_b32 exec_lo, exec_lo, s15
.LBB395_1482:                           ;   in Loop: Header=BB395_1055 Depth=1
	s_or_b32 exec_lo, exec_lo, s13
.LBB395_1483:                           ;   in Loop: Header=BB395_1055 Depth=1
	s_or_b32 exec_lo, exec_lo, s12
	v_mov_b32_e32 v10, v20
	v_cmp_ne_u16_sdwa s4, v20, v11 src0_sel:BYTE_0 src1_sel:DWORD
	v_mov_b32_e32 v21, 0
	v_mov_b32_e32 v5, 0
	s_and_saveexec_b32 s12, s4
	s_cbranch_execz .LBB395_1491
; %bb.1484:                             ;   in Loop: Header=BB395_1055 Depth=1
	v_cmp_ne_u16_sdwa s4, v20, v68 src0_sel:BYTE_0 src1_sel:DWORD
	v_bfrev_b32_e32 v5, 1
	s_and_saveexec_b32 s13, s4
	s_cbranch_execz .LBB395_1490
; %bb.1485:                             ;   in Loop: Header=BB395_1055 Depth=1
	v_and_b32_e32 v23, 0x7f, v20
	v_mov_b32_e32 v5, 0x7f800001
	s_mov_b32 s15, exec_lo
	v_cmpx_ne_u32_e32 0x7f, v23
	s_cbranch_execz .LBB395_1489
; %bb.1486:                             ;   in Loop: Header=BB395_1055 Depth=1
	v_lshrrev_b32_e32 v5, 3, v23
	v_cmp_gt_u32_e64 s4, 8, v23
	v_mov_b32_e32 v24, v11
	v_mov_b32_e32 v23, v10
	s_and_saveexec_b32 s18, s4
; %bb.1487:                             ;   in Loop: Header=BB395_1055 Depth=1
	v_and_b32_e32 v5, 7, v20
	v_ffbh_u32_e32 v5, v5
	v_min_u32_e32 v5, 32, v5
	v_subrev_nc_u32_e32 v23, 28, v5
	v_sub_nc_u32_e32 v5, 29, v5
	v_lshlrev_b64 v[23:24], v23, v[10:11]
; %bb.1488:                             ;   in Loop: Header=BB395_1055 Depth=1
	s_or_b32 exec_lo, exec_lo, s18
	v_lshlrev_b32_e32 v23, 20, v23
	v_lshlrev_b32_e32 v24, 24, v10
	v_lshl_add_u32 v5, v5, 23, 0x3c000000
	v_and_b32_e32 v23, 0x700000, v23
	v_and_b32_e32 v24, 0x80000000, v24
	v_or3_b32 v5, v23, v24, v5
.LBB395_1489:                           ;   in Loop: Header=BB395_1055 Depth=1
	s_or_b32 exec_lo, exec_lo, s15
.LBB395_1490:                           ;   in Loop: Header=BB395_1055 Depth=1
	s_or_b32 exec_lo, exec_lo, s13
.LBB395_1491:                           ;   in Loop: Header=BB395_1055 Depth=1
	s_or_b32 exec_lo, exec_lo, s12
	v_cmp_ne_u16_sdwa s4, v10, v11 src0_sel:BYTE_1 src1_sel:DWORD
	s_and_saveexec_b32 s12, s4
	s_cbranch_execz .LBB395_1499
; %bb.1492:                             ;   in Loop: Header=BB395_1055 Depth=1
	v_cmp_ne_u16_sdwa s4, v10, v68 src0_sel:BYTE_1 src1_sel:DWORD
	v_bfrev_b32_e32 v21, 1
	s_and_saveexec_b32 s13, s4
	s_cbranch_execz .LBB395_1498
; %bb.1493:                             ;   in Loop: Header=BB395_1055 Depth=1
	v_mov_b32_e32 v21, 0xffff
	s_mov_b32 s15, exec_lo
	v_and_b32_sdwa v23, v21, v10 dst_sel:DWORD dst_unused:UNUSED_PAD src0_sel:DWORD src1_sel:BYTE_1
	v_mov_b32_e32 v21, 0x7f800001
	v_and_b32_e32 v25, 0x7f, v23
	v_cmpx_ne_u32_e32 0x7f, v25
	s_cbranch_execz .LBB395_1497
; %bb.1494:                             ;   in Loop: Header=BB395_1055 Depth=1
	v_and_b32_e32 v23, 7, v23
	v_mov_b32_e32 v24, v11
	v_lshrrev_b32_e32 v21, 3, v25
	s_mov_b32 s18, exec_lo
	v_cmpx_gt_u32_e32 8, v25
; %bb.1495:                             ;   in Loop: Header=BB395_1055 Depth=1
	v_ffbh_u32_e32 v21, v23
	v_min_u32_e32 v21, 32, v21
	v_subrev_nc_u32_e32 v25, 28, v21
	v_sub_nc_u32_e32 v21, 29, v21
	v_lshlrev_b64 v[23:24], v25, v[23:24]
	v_and_b32_e32 v23, 7, v23
; %bb.1496:                             ;   in Loop: Header=BB395_1055 Depth=1
	s_or_b32 exec_lo, exec_lo, s18
	v_lshlrev_b32_e32 v10, 16, v10
	v_lshlrev_b32_e32 v23, 20, v23
	v_lshl_add_u32 v21, v21, 23, 0x3c000000
	v_and_b32_e32 v10, 0x80000000, v10
	v_or3_b32 v21, v23, v10, v21
.LBB395_1497:                           ;   in Loop: Header=BB395_1055 Depth=1
	s_or_b32 exec_lo, exec_lo, s15
.LBB395_1498:                           ;   in Loop: Header=BB395_1055 Depth=1
	s_or_b32 exec_lo, exec_lo, s13
.LBB395_1499:                           ;   in Loop: Header=BB395_1055 Depth=1
	s_or_b32 exec_lo, exec_lo, s12
	v_and_b32_sdwa v10, v20, v70 dst_sel:DWORD dst_unused:UNUSED_PAD src0_sel:WORD_1 src1_sel:DWORD
	v_mov_b32_e32 v25, 0
	v_mov_b32_e32 v28, 0
	s_mov_b32 s12, exec_lo
	v_cmpx_ne_u16_e32 0, v10
	s_cbranch_execz .LBB395_1507
; %bb.1500:                             ;   in Loop: Header=BB395_1055 Depth=1
	v_bfrev_b32_e32 v28, 1
	s_mov_b32 s13, exec_lo
	v_cmpx_ne_u16_e32 0x80, v10
	s_cbranch_execz .LBB395_1506
; %bb.1501:                             ;   in Loop: Header=BB395_1055 Depth=1
	v_bfe_u32 v23, v20, 16, 7
	v_mov_b32_e32 v28, 0x7f800001
	s_mov_b32 s15, exec_lo
	v_cmpx_ne_u32_e32 0x7f, v23
	s_cbranch_execz .LBB395_1505
; %bb.1502:                             ;   in Loop: Header=BB395_1055 Depth=1
	v_mov_b32_e32 v10, 7
	v_lshrrev_b32_e32 v27, 3, v23
	v_cmp_gt_u32_e64 s4, 8, v23
	v_and_b32_sdwa v10, v20, v10 dst_sel:DWORD dst_unused:UNUSED_PAD src0_sel:WORD_1 src1_sel:DWORD
	v_mov_b32_e32 v24, v11
	v_mov_b32_e32 v23, v10
	s_and_saveexec_b32 s18, s4
; %bb.1503:                             ;   in Loop: Header=BB395_1055 Depth=1
	v_ffbh_u32_e32 v23, v10
	v_min_u32_e32 v27, 32, v23
	v_subrev_nc_u32_e32 v23, 28, v27
	v_sub_nc_u32_e32 v27, 29, v27
	v_lshlrev_b64 v[23:24], v23, v[10:11]
	v_and_b32_e32 v23, 7, v23
; %bb.1504:                             ;   in Loop: Header=BB395_1055 Depth=1
	s_or_b32 exec_lo, exec_lo, s18
	v_mov_b32_e32 v10, 24
	v_lshlrev_b32_e32 v23, 20, v23
	v_lshl_add_u32 v24, v27, 23, 0x3c000000
	v_lshlrev_b32_sdwa v10, v10, v20 dst_sel:DWORD dst_unused:UNUSED_PAD src0_sel:DWORD src1_sel:WORD_1
	v_and_b32_e32 v10, 0x80000000, v10
	v_or3_b32 v28, v23, v10, v24
.LBB395_1505:                           ;   in Loop: Header=BB395_1055 Depth=1
	s_or_b32 exec_lo, exec_lo, s15
.LBB395_1506:                           ;   in Loop: Header=BB395_1055 Depth=1
	s_or_b32 exec_lo, exec_lo, s13
.LBB395_1507:                           ;   in Loop: Header=BB395_1055 Depth=1
	s_or_b32 exec_lo, exec_lo, s12
	s_mov_b32 s12, exec_lo
	v_cmpx_lt_u64_e64 s[8:9], v[19:20]
	s_cbranch_execz .LBB395_1515
; %bb.1508:                             ;   in Loop: Header=BB395_1055 Depth=1
	v_cmp_ne_u32_sdwa s4, v20, v68 src0_sel:BYTE_3 src1_sel:DWORD
	v_bfrev_b32_e32 v25, 1
	s_and_saveexec_b32 s13, s4
	s_cbranch_execz .LBB395_1514
; %bb.1509:                             ;   in Loop: Header=BB395_1055 Depth=1
	v_bfe_u32 v23, v20, 24, 7
	v_mov_b32_e32 v25, 0x7f800001
	s_mov_b32 s15, exec_lo
	v_cmpx_ne_u32_e32 0x7f, v23
	s_cbranch_execz .LBB395_1513
; %bb.1510:                             ;   in Loop: Header=BB395_1055 Depth=1
	v_mov_b32_e32 v10, 7
	v_lshrrev_b32_e32 v19, 3, v23
	v_cmp_gt_u32_e64 s4, 8, v23
	v_and_b32_sdwa v10, v20, v10 dst_sel:DWORD dst_unused:UNUSED_PAD src0_sel:BYTE_3 src1_sel:DWORD
	v_mov_b32_e32 v24, v11
	v_mov_b32_e32 v23, v10
	s_and_saveexec_b32 s18, s4
; %bb.1511:                             ;   in Loop: Header=BB395_1055 Depth=1
	v_ffbh_u32_e32 v19, v10
	v_min_u32_e32 v19, 32, v19
	v_subrev_nc_u32_e32 v23, 28, v19
	v_sub_nc_u32_e32 v19, 29, v19
	v_lshlrev_b64 v[23:24], v23, v[10:11]
	v_and_b32_e32 v23, 7, v23
; %bb.1512:                             ;   in Loop: Header=BB395_1055 Depth=1
	s_or_b32 exec_lo, exec_lo, s18
	v_mov_b32_e32 v10, 24
	v_lshl_add_u32 v19, v19, 23, 0x3c000000
	v_lshlrev_b32_sdwa v10, v10, v20 dst_sel:DWORD dst_unused:UNUSED_PAD src0_sel:DWORD src1_sel:BYTE_3
	v_lshlrev_b32_e32 v20, 20, v23
	v_and_b32_e32 v10, 0x80000000, v10
	v_or3_b32 v25, v20, v10, v19
.LBB395_1513:                           ;   in Loop: Header=BB395_1055 Depth=1
	s_or_b32 exec_lo, exec_lo, s15
.LBB395_1514:                           ;   in Loop: Header=BB395_1055 Depth=1
	s_or_b32 exec_lo, exec_lo, s13
.LBB395_1515:                           ;   in Loop: Header=BB395_1055 Depth=1
	s_or_b32 exec_lo, exec_lo, s12
	v_mul_f32_e32 v10, v26, v21
	v_mul_f32_e32 v5, v26, v5
	;; [unrolled: 1-line block ×5, first 2 shown]
	v_bfe_u32 v19, v10, 16, 1
	v_or_b32_e32 v20, 0x400000, v10
	v_bfe_u32 v21, v5, 16, 1
	v_cmp_u_f32_e64 s4, v10, v10
	v_or_b32_e32 v23, 0x400000, v5
	v_add3_u32 v19, v19, v10, 0x7fff
	v_bfe_u32 v24, v16, 16, 1
	v_add3_u32 v21, v21, v5, 0x7fff
	v_or_b32_e32 v27, 0x400000, v16
	v_bfe_u32 v34, v13, 16, 1
	v_cndmask_b32_e64 v10, v19, v20, s4
	v_cmp_u_f32_e64 s4, v5, v5
	v_add3_u32 v24, v24, v16, 0x7fff
	v_or_b32_e32 v19, 0x400000, v13
	v_bfe_u32 v20, v4, 16, 1
	v_lshrrev_b32_e32 v38, 16, v10
	v_cndmask_b32_e64 v5, v21, v23, s4
	v_cmp_u_f32_e64 s4, v16, v16
	v_mul_f32_e32 v10, v26, v12
	v_add3_u32 v12, v34, v13, 0x7fff
	v_cndmask_b32_e64 v16, v24, v27, s4
	v_lshrrev_b32_e32 v27, 16, v5
	v_bfe_u32 v5, v10, 16, 1
	v_cmp_u_f32_e64 s4, v13, v13
	v_mul_f32_e32 v13, v26, v28
	v_lshrrev_b32_e32 v93, 16, v16
	v_or_b32_e32 v16, 0x400000, v10
	v_add3_u32 v5, v5, v10, 0x7fff
	v_cndmask_b32_e64 v12, v12, v19, s4
	v_cmp_u_f32_e64 s4, v10, v10
	v_mul_f32_e32 v19, v26, v25
	v_bfe_u32 v21, v13, 16, 1
	v_or_b32_e32 v23, 0x400000, v13
	v_lshrrev_b32_e32 v94, 16, v12
	v_cndmask_b32_e64 v5, v5, v16, s4
	v_add3_u32 v16, v20, v4, 0x7fff
	v_or_b32_e32 v20, 0x400000, v4
	v_cmp_u_f32_e64 s4, v4, v4
	v_bfe_u32 v10, v19, 16, 1
	v_add3_u32 v21, v21, v13, 0x7fff
	v_or_b32_e32 v24, 0x400000, v19
	v_lshrrev_b32_e32 v104, 16, v5
	v_cndmask_b32_e64 v4, v16, v20, s4
	v_cmp_u_f32_e64 s4, v13, v13
	v_add3_u32 v10, v10, v19, 0x7fff
	v_lshrrev_b32_e32 v95, 16, v4
	v_cndmask_b32_e64 v13, v21, v23, s4
	v_cmp_u_f32_e64 s4, v19, v19
	v_lshrrev_b32_e32 v91, 16, v13
	v_cndmask_b32_e64 v10, v10, v24, s4
	v_lshrrev_b32_e32 v92, 16, v10
	s_and_saveexec_b32 s12, vcc_lo
	s_cbranch_execz .LBB395_1517
; %bb.1516:                             ;   in Loop: Header=BB395_1055 Depth=1
	v_cmp_lt_i32_e64 s4, v57, v36
	v_cndmask_b32_e64 v95, 0, v95, s4
	v_cmp_lt_i32_e64 s4, v63, v36
	v_cndmask_b32_e64 v104, 0, v104, s4
	;; [unrolled: 2-line block ×8, first 2 shown]
.LBB395_1517:                           ;   in Loop: Header=BB395_1055 Depth=1
	s_or_b32 exec_lo, exec_lo, s12
	flat_load_dwordx2 v[19:20], v[17:18] offset:1792
	v_mov_b32_e32 v12, 0
	v_mov_b32_e32 v4, 0
	s_waitcnt vmcnt(0) lgkmcnt(0)
	v_cmp_ne_u16_sdwa s4, v19, v11 src0_sel:BYTE_0 src1_sel:DWORD
	s_and_saveexec_b32 s12, s4
	s_cbranch_execz .LBB395_1525
; %bb.1518:                             ;   in Loop: Header=BB395_1055 Depth=1
	v_cmp_ne_u16_sdwa s4, v19, v68 src0_sel:BYTE_0 src1_sel:DWORD
	v_bfrev_b32_e32 v4, 1
	s_and_saveexec_b32 s13, s4
	s_cbranch_execz .LBB395_1524
; %bb.1519:                             ;   in Loop: Header=BB395_1055 Depth=1
	v_and_b32_e32 v5, 0x7f, v19
	v_mov_b32_e32 v4, 0x7f800001
	s_mov_b32 s15, exec_lo
	v_cmpx_ne_u32_e32 0x7f, v5
	s_cbranch_execz .LBB395_1523
; %bb.1520:                             ;   in Loop: Header=BB395_1055 Depth=1
	v_mov_b32_e32 v24, v20
	v_lshrrev_b32_e32 v4, 3, v5
	v_mov_b32_e32 v23, v19
	s_mov_b32 s18, exec_lo
	v_cmpx_gt_u32_e32 8, v5
; %bb.1521:                             ;   in Loop: Header=BB395_1055 Depth=1
	v_and_b32_e32 v4, 7, v19
	v_ffbh_u32_e32 v4, v4
	v_min_u32_e32 v4, 32, v4
	v_subrev_nc_u32_e32 v5, 28, v4
	v_sub_nc_u32_e32 v4, 29, v4
	v_lshlrev_b64 v[23:24], v5, v[19:20]
; %bb.1522:                             ;   in Loop: Header=BB395_1055 Depth=1
	s_or_b32 exec_lo, exec_lo, s18
	v_lshlrev_b32_e32 v5, 20, v23
	v_lshlrev_b32_e32 v10, 24, v19
	v_lshl_add_u32 v4, v4, 23, 0x3c000000
	v_and_b32_e32 v5, 0x700000, v5
	v_and_b32_e32 v10, 0x80000000, v10
	v_or3_b32 v4, v5, v10, v4
.LBB395_1523:                           ;   in Loop: Header=BB395_1055 Depth=1
	s_or_b32 exec_lo, exec_lo, s15
.LBB395_1524:                           ;   in Loop: Header=BB395_1055 Depth=1
	s_or_b32 exec_lo, exec_lo, s13
.LBB395_1525:                           ;   in Loop: Header=BB395_1055 Depth=1
	s_or_b32 exec_lo, exec_lo, s12
	v_cmp_ne_u16_sdwa s4, v19, v11 src0_sel:BYTE_1 src1_sel:DWORD
	s_and_saveexec_b32 s12, s4
	s_cbranch_execz .LBB395_1533
; %bb.1526:                             ;   in Loop: Header=BB395_1055 Depth=1
	v_cmp_ne_u16_sdwa s4, v19, v68 src0_sel:BYTE_1 src1_sel:DWORD
	v_bfrev_b32_e32 v12, 1
	s_and_saveexec_b32 s13, s4
	s_cbranch_execz .LBB395_1532
; %bb.1527:                             ;   in Loop: Header=BB395_1055 Depth=1
	v_mov_b32_e32 v5, 0xffff
	v_mov_b32_e32 v12, 0x7f800001
	s_mov_b32 s15, exec_lo
	v_and_b32_sdwa v5, v5, v19 dst_sel:DWORD dst_unused:UNUSED_PAD src0_sel:DWORD src1_sel:BYTE_1
	v_and_b32_e32 v13, 0x7f, v5
	v_cmpx_ne_u32_e32 0x7f, v13
	s_cbranch_execz .LBB395_1531
; %bb.1528:                             ;   in Loop: Header=BB395_1055 Depth=1
	v_and_b32_e32 v10, 7, v5
	v_mov_b32_e32 v24, v11
	v_lshrrev_b32_e32 v5, 3, v13
	s_mov_b32 s18, exec_lo
	v_mov_b32_e32 v23, v10
	v_cmpx_gt_u32_e32 8, v13
; %bb.1529:                             ;   in Loop: Header=BB395_1055 Depth=1
	v_ffbh_u32_e32 v5, v10
	v_min_u32_e32 v5, 32, v5
	v_subrev_nc_u32_e32 v12, 28, v5
	v_sub_nc_u32_e32 v5, 29, v5
	v_lshlrev_b64 v[12:13], v12, v[10:11]
	v_and_b32_e32 v23, 7, v12
; %bb.1530:                             ;   in Loop: Header=BB395_1055 Depth=1
	s_or_b32 exec_lo, exec_lo, s18
	v_lshlrev_b32_e32 v10, 16, v19
	v_lshlrev_b32_e32 v12, 20, v23
	v_lshl_add_u32 v5, v5, 23, 0x3c000000
	v_and_b32_e32 v10, 0x80000000, v10
	v_or3_b32 v12, v12, v10, v5
.LBB395_1531:                           ;   in Loop: Header=BB395_1055 Depth=1
	s_or_b32 exec_lo, exec_lo, s15
.LBB395_1532:                           ;   in Loop: Header=BB395_1055 Depth=1
	s_or_b32 exec_lo, exec_lo, s13
.LBB395_1533:                           ;   in Loop: Header=BB395_1055 Depth=1
	s_or_b32 exec_lo, exec_lo, s12
	v_and_b32_sdwa v5, v19, v70 dst_sel:DWORD dst_unused:UNUSED_PAD src0_sel:WORD_1 src1_sel:DWORD
	v_mov_b32_e32 v16, 0
	v_mov_b32_e32 v13, 0
	s_mov_b32 s12, exec_lo
	v_cmpx_ne_u16_e32 0, v5
	s_cbranch_execz .LBB395_1541
; %bb.1534:                             ;   in Loop: Header=BB395_1055 Depth=1
	v_bfrev_b32_e32 v13, 1
	s_mov_b32 s13, exec_lo
	v_cmpx_ne_u16_e32 0x80, v5
	s_cbranch_execz .LBB395_1540
; %bb.1535:                             ;   in Loop: Header=BB395_1055 Depth=1
	v_bfe_u32 v21, v19, 16, 7
	v_mov_b32_e32 v13, 0x7f800001
	s_mov_b32 s15, exec_lo
	v_cmpx_ne_u32_e32 0x7f, v21
	s_cbranch_execz .LBB395_1539
; %bb.1536:                             ;   in Loop: Header=BB395_1055 Depth=1
	v_mov_b32_e32 v5, 7
	s_mov_b32 s18, exec_lo
	v_and_b32_sdwa v10, v19, v5 dst_sel:DWORD dst_unused:UNUSED_PAD src0_sel:WORD_1 src1_sel:DWORD
	v_mov_b32_e32 v24, v11
	v_lshrrev_b32_e32 v5, 3, v21
	v_mov_b32_e32 v23, v10
	v_cmpx_gt_u32_e32 8, v21
; %bb.1537:                             ;   in Loop: Header=BB395_1055 Depth=1
	v_ffbh_u32_e32 v5, v10
	v_min_u32_e32 v5, 32, v5
	v_subrev_nc_u32_e32 v13, 28, v5
	v_sub_nc_u32_e32 v5, 29, v5
	v_lshlrev_b64 v[23:24], v13, v[10:11]
	v_and_b32_e32 v23, 7, v23
; %bb.1538:                             ;   in Loop: Header=BB395_1055 Depth=1
	s_or_b32 exec_lo, exec_lo, s18
	v_mov_b32_e32 v10, 24
	v_lshlrev_b32_e32 v13, 20, v23
	v_lshl_add_u32 v5, v5, 23, 0x3c000000
	v_lshlrev_b32_sdwa v10, v10, v19 dst_sel:DWORD dst_unused:UNUSED_PAD src0_sel:DWORD src1_sel:WORD_1
	v_and_b32_e32 v10, 0x80000000, v10
	v_or3_b32 v13, v13, v10, v5
.LBB395_1539:                           ;   in Loop: Header=BB395_1055 Depth=1
	s_or_b32 exec_lo, exec_lo, s15
.LBB395_1540:                           ;   in Loop: Header=BB395_1055 Depth=1
	s_or_b32 exec_lo, exec_lo, s13
.LBB395_1541:                           ;   in Loop: Header=BB395_1055 Depth=1
	s_or_b32 exec_lo, exec_lo, s12
	s_mov_b32 s12, exec_lo
	v_cmpx_lt_u32_e32 0xffffff, v19
	s_cbranch_execz .LBB395_1549
; %bb.1542:                             ;   in Loop: Header=BB395_1055 Depth=1
	v_cmp_ne_u32_sdwa s4, v19, v68 src0_sel:BYTE_3 src1_sel:DWORD
	v_bfrev_b32_e32 v16, 1
	s_and_saveexec_b32 s13, s4
	s_cbranch_execz .LBB395_1548
; %bb.1543:                             ;   in Loop: Header=BB395_1055 Depth=1
	v_bfe_u32 v21, v19, 24, 7
	v_mov_b32_e32 v16, 0x7f800001
	s_mov_b32 s15, exec_lo
	v_cmpx_ne_u32_e32 0x7f, v21
	s_cbranch_execz .LBB395_1547
; %bb.1544:                             ;   in Loop: Header=BB395_1055 Depth=1
	v_mov_b32_e32 v5, 7
	s_mov_b32 s18, exec_lo
	v_and_b32_sdwa v10, v19, v5 dst_sel:DWORD dst_unused:UNUSED_PAD src0_sel:BYTE_3 src1_sel:DWORD
	v_mov_b32_e32 v24, v11
	v_lshrrev_b32_e32 v5, 3, v21
	v_mov_b32_e32 v23, v10
	v_cmpx_gt_u32_e32 8, v21
; %bb.1545:                             ;   in Loop: Header=BB395_1055 Depth=1
	v_ffbh_u32_e32 v5, v10
	v_min_u32_e32 v5, 32, v5
	v_subrev_nc_u32_e32 v16, 28, v5
	v_sub_nc_u32_e32 v5, 29, v5
	v_lshlrev_b64 v[23:24], v16, v[10:11]
	v_and_b32_e32 v23, 7, v23
; %bb.1546:                             ;   in Loop: Header=BB395_1055 Depth=1
	s_or_b32 exec_lo, exec_lo, s18
	v_mov_b32_e32 v10, 24
	v_lshlrev_b32_e32 v16, 20, v23
	v_lshl_add_u32 v5, v5, 23, 0x3c000000
	v_lshlrev_b32_sdwa v10, v10, v19 dst_sel:DWORD dst_unused:UNUSED_PAD src0_sel:DWORD src1_sel:BYTE_3
	v_and_b32_e32 v10, 0x80000000, v10
	v_or3_b32 v16, v16, v10, v5
.LBB395_1547:                           ;   in Loop: Header=BB395_1055 Depth=1
	s_or_b32 exec_lo, exec_lo, s15
.LBB395_1548:                           ;   in Loop: Header=BB395_1055 Depth=1
	s_or_b32 exec_lo, exec_lo, s13
.LBB395_1549:                           ;   in Loop: Header=BB395_1055 Depth=1
	s_or_b32 exec_lo, exec_lo, s12
	v_mov_b32_e32 v10, v20
	v_cmp_ne_u16_sdwa s4, v20, v11 src0_sel:BYTE_0 src1_sel:DWORD
	v_mov_b32_e32 v28, 0
	v_mov_b32_e32 v25, 0
	s_and_saveexec_b32 s12, s4
	s_cbranch_execz .LBB395_1557
; %bb.1550:                             ;   in Loop: Header=BB395_1055 Depth=1
	v_cmp_ne_u16_sdwa s4, v20, v68 src0_sel:BYTE_0 src1_sel:DWORD
	v_bfrev_b32_e32 v25, 1
	s_and_saveexec_b32 s13, s4
	s_cbranch_execz .LBB395_1556
; %bb.1551:                             ;   in Loop: Header=BB395_1055 Depth=1
	v_and_b32_e32 v21, 0x7f, v20
	v_mov_b32_e32 v25, 0x7f800001
	s_mov_b32 s15, exec_lo
	v_cmpx_ne_u32_e32 0x7f, v21
	s_cbranch_execz .LBB395_1555
; %bb.1552:                             ;   in Loop: Header=BB395_1055 Depth=1
	v_mov_b32_e32 v24, v11
	v_lshrrev_b32_e32 v5, 3, v21
	v_mov_b32_e32 v23, v10
	s_mov_b32 s18, exec_lo
	v_cmpx_gt_u32_e32 8, v21
; %bb.1553:                             ;   in Loop: Header=BB395_1055 Depth=1
	v_and_b32_e32 v5, 7, v20
	v_ffbh_u32_e32 v5, v5
	v_min_u32_e32 v5, 32, v5
	v_subrev_nc_u32_e32 v21, 28, v5
	v_sub_nc_u32_e32 v5, 29, v5
	v_lshlrev_b64 v[23:24], v21, v[10:11]
; %bb.1554:                             ;   in Loop: Header=BB395_1055 Depth=1
	s_or_b32 exec_lo, exec_lo, s18
	v_lshlrev_b32_e32 v21, 20, v23
	v_lshlrev_b32_e32 v23, 24, v10
	v_lshl_add_u32 v5, v5, 23, 0x3c000000
	v_and_b32_e32 v21, 0x700000, v21
	v_and_b32_e32 v23, 0x80000000, v23
	v_or3_b32 v25, v21, v23, v5
.LBB395_1555:                           ;   in Loop: Header=BB395_1055 Depth=1
	s_or_b32 exec_lo, exec_lo, s15
.LBB395_1556:                           ;   in Loop: Header=BB395_1055 Depth=1
	s_or_b32 exec_lo, exec_lo, s13
.LBB395_1557:                           ;   in Loop: Header=BB395_1055 Depth=1
	s_or_b32 exec_lo, exec_lo, s12
	v_cmp_ne_u16_sdwa s4, v10, v11 src0_sel:BYTE_1 src1_sel:DWORD
	s_and_saveexec_b32 s12, s4
	s_cbranch_execz .LBB395_1565
; %bb.1558:                             ;   in Loop: Header=BB395_1055 Depth=1
	v_cmp_ne_u16_sdwa s4, v10, v68 src0_sel:BYTE_1 src1_sel:DWORD
	v_bfrev_b32_e32 v28, 1
	s_and_saveexec_b32 s13, s4
	s_cbranch_execz .LBB395_1564
; %bb.1559:                             ;   in Loop: Header=BB395_1055 Depth=1
	v_mov_b32_e32 v5, 0xffff
	v_mov_b32_e32 v28, 0x7f800001
	s_mov_b32 s15, exec_lo
	v_and_b32_sdwa v5, v5, v10 dst_sel:DWORD dst_unused:UNUSED_PAD src0_sel:DWORD src1_sel:BYTE_1
	v_and_b32_e32 v21, 0x7f, v5
	v_cmpx_ne_u32_e32 0x7f, v21
	s_cbranch_execz .LBB395_1563
; %bb.1560:                             ;   in Loop: Header=BB395_1055 Depth=1
	v_and_b32_e32 v23, 7, v5
	v_mov_b32_e32 v24, v11
	v_lshrrev_b32_e32 v5, 3, v21
	s_mov_b32 s18, exec_lo
	v_cmpx_gt_u32_e32 8, v21
; %bb.1561:                             ;   in Loop: Header=BB395_1055 Depth=1
	v_ffbh_u32_e32 v5, v23
	v_min_u32_e32 v5, 32, v5
	v_subrev_nc_u32_e32 v21, 28, v5
	v_sub_nc_u32_e32 v5, 29, v5
	v_lshlrev_b64 v[23:24], v21, v[23:24]
	v_and_b32_e32 v23, 7, v23
; %bb.1562:                             ;   in Loop: Header=BB395_1055 Depth=1
	s_or_b32 exec_lo, exec_lo, s18
	v_lshlrev_b32_e32 v10, 16, v10
	v_lshlrev_b32_e32 v21, 20, v23
	v_lshl_add_u32 v5, v5, 23, 0x3c000000
	v_and_b32_e32 v10, 0x80000000, v10
	v_or3_b32 v28, v21, v10, v5
.LBB395_1563:                           ;   in Loop: Header=BB395_1055 Depth=1
	s_or_b32 exec_lo, exec_lo, s15
.LBB395_1564:                           ;   in Loop: Header=BB395_1055 Depth=1
	s_or_b32 exec_lo, exec_lo, s13
.LBB395_1565:                           ;   in Loop: Header=BB395_1055 Depth=1
	s_or_b32 exec_lo, exec_lo, s12
	v_and_b32_sdwa v10, v20, v70 dst_sel:DWORD dst_unused:UNUSED_PAD src0_sel:WORD_1 src1_sel:DWORD
	v_mov_b32_e32 v5, 0
	v_mov_b32_e32 v21, 0
	s_mov_b32 s12, exec_lo
	v_cmpx_ne_u16_e32 0, v10
	s_cbranch_execz .LBB395_1573
; %bb.1566:                             ;   in Loop: Header=BB395_1055 Depth=1
	v_bfrev_b32_e32 v21, 1
	s_mov_b32 s13, exec_lo
	v_cmpx_ne_u16_e32 0x80, v10
	s_cbranch_execz .LBB395_1572
; %bb.1567:                             ;   in Loop: Header=BB395_1055 Depth=1
	v_bfe_u32 v23, v20, 16, 7
	v_mov_b32_e32 v21, 0x7f800001
	s_mov_b32 s15, exec_lo
	v_cmpx_ne_u32_e32 0x7f, v23
	s_cbranch_execz .LBB395_1571
; %bb.1568:                             ;   in Loop: Header=BB395_1055 Depth=1
	v_mov_b32_e32 v10, 7
	v_lshrrev_b32_e32 v21, 3, v23
	v_cmp_gt_u32_e64 s4, 8, v23
	v_and_b32_sdwa v10, v20, v10 dst_sel:DWORD dst_unused:UNUSED_PAD src0_sel:WORD_1 src1_sel:DWORD
	v_mov_b32_e32 v24, v11
	v_mov_b32_e32 v23, v10
	s_and_saveexec_b32 s18, s4
; %bb.1569:                             ;   in Loop: Header=BB395_1055 Depth=1
	v_ffbh_u32_e32 v21, v10
	v_min_u32_e32 v21, 32, v21
	v_subrev_nc_u32_e32 v23, 28, v21
	v_sub_nc_u32_e32 v21, 29, v21
	v_lshlrev_b64 v[23:24], v23, v[10:11]
	v_and_b32_e32 v23, 7, v23
; %bb.1570:                             ;   in Loop: Header=BB395_1055 Depth=1
	s_or_b32 exec_lo, exec_lo, s18
	v_mov_b32_e32 v10, 24
	v_lshlrev_b32_e32 v23, 20, v23
	v_lshl_add_u32 v21, v21, 23, 0x3c000000
	v_lshlrev_b32_sdwa v10, v10, v20 dst_sel:DWORD dst_unused:UNUSED_PAD src0_sel:DWORD src1_sel:WORD_1
	v_and_b32_e32 v10, 0x80000000, v10
	v_or3_b32 v21, v23, v10, v21
.LBB395_1571:                           ;   in Loop: Header=BB395_1055 Depth=1
	s_or_b32 exec_lo, exec_lo, s15
.LBB395_1572:                           ;   in Loop: Header=BB395_1055 Depth=1
	s_or_b32 exec_lo, exec_lo, s13
.LBB395_1573:                           ;   in Loop: Header=BB395_1055 Depth=1
	s_or_b32 exec_lo, exec_lo, s12
	s_mov_b32 s12, exec_lo
	v_cmpx_lt_u64_e64 s[8:9], v[19:20]
	s_cbranch_execz .LBB395_1581
; %bb.1574:                             ;   in Loop: Header=BB395_1055 Depth=1
	v_cmp_ne_u32_sdwa s4, v20, v68 src0_sel:BYTE_3 src1_sel:DWORD
	v_bfrev_b32_e32 v5, 1
	s_and_saveexec_b32 s13, s4
	s_cbranch_execz .LBB395_1580
; %bb.1575:                             ;   in Loop: Header=BB395_1055 Depth=1
	v_bfe_u32 v19, v20, 24, 7
	v_mov_b32_e32 v5, 0x7f800001
	s_mov_b32 s15, exec_lo
	v_cmpx_ne_u32_e32 0x7f, v19
	s_cbranch_execz .LBB395_1579
; %bb.1576:                             ;   in Loop: Header=BB395_1055 Depth=1
	v_mov_b32_e32 v5, 7
	s_mov_b32 s18, exec_lo
	v_and_b32_sdwa v10, v20, v5 dst_sel:DWORD dst_unused:UNUSED_PAD src0_sel:BYTE_3 src1_sel:DWORD
	v_mov_b32_e32 v24, v11
	v_lshrrev_b32_e32 v5, 3, v19
	v_mov_b32_e32 v23, v10
	v_cmpx_gt_u32_e32 8, v19
; %bb.1577:                             ;   in Loop: Header=BB395_1055 Depth=1
	v_ffbh_u32_e32 v5, v10
	v_min_u32_e32 v5, 32, v5
	v_subrev_nc_u32_e32 v19, 28, v5
	v_sub_nc_u32_e32 v5, 29, v5
	v_lshlrev_b64 v[23:24], v19, v[10:11]
	v_and_b32_e32 v23, 7, v23
; %bb.1578:                             ;   in Loop: Header=BB395_1055 Depth=1
	s_or_b32 exec_lo, exec_lo, s18
	v_mov_b32_e32 v10, 24
	v_lshlrev_b32_e32 v19, 20, v23
	v_lshl_add_u32 v5, v5, 23, 0x3c000000
	v_lshlrev_b32_sdwa v10, v10, v20 dst_sel:DWORD dst_unused:UNUSED_PAD src0_sel:DWORD src1_sel:BYTE_3
	v_and_b32_e32 v10, 0x80000000, v10
	v_or3_b32 v5, v19, v10, v5
.LBB395_1579:                           ;   in Loop: Header=BB395_1055 Depth=1
	s_or_b32 exec_lo, exec_lo, s15
.LBB395_1580:                           ;   in Loop: Header=BB395_1055 Depth=1
	s_or_b32 exec_lo, exec_lo, s13
.LBB395_1581:                           ;   in Loop: Header=BB395_1055 Depth=1
	s_or_b32 exec_lo, exec_lo, s12
	v_mul_f32_e32 v10, v26, v28
	v_mul_f32_e32 v4, v26, v4
	v_bfe_u32 v19, v10, 16, 1
	v_or_b32_e32 v20, 0x400000, v10
	v_cmp_u_f32_e64 s4, v10, v10
	v_add3_u32 v19, v19, v10, 0x7fff
	v_cndmask_b32_e64 v10, v19, v20, s4
	v_lshrrev_b32_e32 v105, 16, v10
	v_mul_f32_e32 v10, v26, v25
	v_bfe_u32 v19, v10, 16, 1
	v_or_b32_e32 v20, 0x400000, v10
	v_cmp_u_f32_e64 s4, v10, v10
	v_add3_u32 v19, v19, v10, 0x7fff
	v_cndmask_b32_e64 v10, v19, v20, s4
	v_lshrrev_b32_e32 v106, 16, v10
	;; [unrolled: 7-line block ×4, first 2 shown]
	v_mul_f32_e32 v10, v26, v12
	v_bfe_u32 v12, v10, 16, 1
	v_or_b32_e32 v13, 0x400000, v10
	v_cmp_u_f32_e64 s4, v10, v10
	v_add3_u32 v12, v12, v10, 0x7fff
	v_cndmask_b32_e64 v10, v12, v13, s4
	v_or_b32_e32 v12, 0x400000, v4
	v_cmp_u_f32_e64 s4, v4, v4
	v_lshrrev_b32_e32 v110, 16, v10
	v_bfe_u32 v10, v4, 16, 1
	v_add3_u32 v10, v10, v4, 0x7fff
	v_cndmask_b32_e64 v4, v10, v12, s4
	v_lshrrev_b32_e32 v111, 16, v4
	v_mul_f32_e32 v4, v26, v21
	v_bfe_u32 v10, v4, 16, 1
	v_or_b32_e32 v12, 0x400000, v4
	v_cmp_u_f32_e64 s4, v4, v4
	v_add3_u32 v10, v10, v4, 0x7fff
	v_cndmask_b32_e64 v4, v10, v12, s4
	v_lshrrev_b32_e32 v109, 16, v4
	v_mul_f32_e32 v4, v26, v5
	v_bfe_u32 v5, v4, 16, 1
	v_or_b32_e32 v10, 0x400000, v4
	v_cmp_u_f32_e64 s4, v4, v4
	v_add3_u32 v5, v5, v4, 0x7fff
	v_cndmask_b32_e64 v4, v5, v10, s4
	v_lshrrev_b32_e32 v120, 16, v4
	s_and_saveexec_b32 s12, vcc_lo
	s_cbranch_execz .LBB395_1583
; %bb.1582:                             ;   in Loop: Header=BB395_1055 Depth=1
	v_cmp_lt_i32_e64 s4, v57, v36
	v_cndmask_b32_e64 v111, 0, v111, s4
	v_cmp_lt_i32_e64 s4, v63, v36
	v_cndmask_b32_e64 v110, 0, v110, s4
	v_cmp_lt_i32_e64 s4, v62, v36
	v_cndmask_b32_e64 v108, 0, v108, s4
	v_cmp_lt_i32_e64 s4, v61, v36
	v_cndmask_b32_e64 v107, 0, v107, s4
	v_cmp_lt_i32_e64 s4, v60, v36
	v_cndmask_b32_e64 v106, 0, v106, s4
	v_cmp_lt_i32_e64 s4, v59, v36
	v_cndmask_b32_e64 v105, 0, v105, s4
	v_cmp_lt_i32_e64 s4, v58, v36
	v_cndmask_b32_e64 v109, 0, v109, s4
	v_cmp_lt_i32_e64 s4, v66, v36
	v_cndmask_b32_e64 v120, 0, v120, s4
.LBB395_1583:                           ;   in Loop: Header=BB395_1055 Depth=1
	s_or_b32 exec_lo, exec_lo, s12
	v_add_co_u32 v17, s4, 0x800, v17
	v_add_co_ci_u32_e64 v18, null, 0, v18, s4
	v_mov_b32_e32 v12, 0
	v_mov_b32_e32 v4, 0
	flat_load_dwordx2 v[19:20], v[17:18]
	s_waitcnt vmcnt(0) lgkmcnt(0)
	v_cmp_ne_u16_sdwa s4, v19, v11 src0_sel:BYTE_0 src1_sel:DWORD
	s_and_saveexec_b32 s12, s4
	s_cbranch_execz .LBB395_1591
; %bb.1584:                             ;   in Loop: Header=BB395_1055 Depth=1
	v_cmp_ne_u16_sdwa s4, v19, v68 src0_sel:BYTE_0 src1_sel:DWORD
	v_bfrev_b32_e32 v4, 1
	s_and_saveexec_b32 s13, s4
	s_cbranch_execz .LBB395_1590
; %bb.1585:                             ;   in Loop: Header=BB395_1055 Depth=1
	v_and_b32_e32 v5, 0x7f, v19
	v_mov_b32_e32 v4, 0x7f800001
	s_mov_b32 s15, exec_lo
	v_cmpx_ne_u32_e32 0x7f, v5
	s_cbranch_execz .LBB395_1589
; %bb.1586:                             ;   in Loop: Header=BB395_1055 Depth=1
	v_mov_b32_e32 v24, v20
	v_lshrrev_b32_e32 v4, 3, v5
	v_mov_b32_e32 v23, v19
	s_mov_b32 s18, exec_lo
	v_cmpx_gt_u32_e32 8, v5
; %bb.1587:                             ;   in Loop: Header=BB395_1055 Depth=1
	v_and_b32_e32 v4, 7, v19
	v_ffbh_u32_e32 v4, v4
	v_min_u32_e32 v4, 32, v4
	v_subrev_nc_u32_e32 v5, 28, v4
	v_sub_nc_u32_e32 v4, 29, v4
	v_lshlrev_b64 v[23:24], v5, v[19:20]
; %bb.1588:                             ;   in Loop: Header=BB395_1055 Depth=1
	s_or_b32 exec_lo, exec_lo, s18
	v_lshlrev_b32_e32 v5, 20, v23
	v_lshlrev_b32_e32 v10, 24, v19
	v_lshl_add_u32 v4, v4, 23, 0x3c000000
	v_and_b32_e32 v5, 0x700000, v5
	v_and_b32_e32 v10, 0x80000000, v10
	v_or3_b32 v4, v5, v10, v4
.LBB395_1589:                           ;   in Loop: Header=BB395_1055 Depth=1
	s_or_b32 exec_lo, exec_lo, s15
.LBB395_1590:                           ;   in Loop: Header=BB395_1055 Depth=1
	s_or_b32 exec_lo, exec_lo, s13
.LBB395_1591:                           ;   in Loop: Header=BB395_1055 Depth=1
	s_or_b32 exec_lo, exec_lo, s12
	v_cmp_ne_u16_sdwa s4, v19, v11 src0_sel:BYTE_1 src1_sel:DWORD
	s_and_saveexec_b32 s12, s4
	s_cbranch_execz .LBB395_1599
; %bb.1592:                             ;   in Loop: Header=BB395_1055 Depth=1
	v_cmp_ne_u16_sdwa s4, v19, v68 src0_sel:BYTE_1 src1_sel:DWORD
	v_bfrev_b32_e32 v12, 1
	s_and_saveexec_b32 s13, s4
	s_cbranch_execz .LBB395_1598
; %bb.1593:                             ;   in Loop: Header=BB395_1055 Depth=1
	v_mov_b32_e32 v5, 0xffff
	v_mov_b32_e32 v12, 0x7f800001
	s_mov_b32 s15, exec_lo
	v_and_b32_sdwa v5, v5, v19 dst_sel:DWORD dst_unused:UNUSED_PAD src0_sel:DWORD src1_sel:BYTE_1
	v_and_b32_e32 v13, 0x7f, v5
	v_cmpx_ne_u32_e32 0x7f, v13
	s_cbranch_execz .LBB395_1597
; %bb.1594:                             ;   in Loop: Header=BB395_1055 Depth=1
	v_and_b32_e32 v10, 7, v5
	v_mov_b32_e32 v24, v11
	v_lshrrev_b32_e32 v5, 3, v13
	s_mov_b32 s18, exec_lo
	v_mov_b32_e32 v23, v10
	v_cmpx_gt_u32_e32 8, v13
; %bb.1595:                             ;   in Loop: Header=BB395_1055 Depth=1
	v_ffbh_u32_e32 v5, v10
	v_min_u32_e32 v5, 32, v5
	v_subrev_nc_u32_e32 v12, 28, v5
	v_sub_nc_u32_e32 v5, 29, v5
	v_lshlrev_b64 v[12:13], v12, v[10:11]
	v_and_b32_e32 v23, 7, v12
; %bb.1596:                             ;   in Loop: Header=BB395_1055 Depth=1
	s_or_b32 exec_lo, exec_lo, s18
	v_lshlrev_b32_e32 v10, 16, v19
	v_lshlrev_b32_e32 v12, 20, v23
	v_lshl_add_u32 v5, v5, 23, 0x3c000000
	v_and_b32_e32 v10, 0x80000000, v10
	v_or3_b32 v12, v12, v10, v5
.LBB395_1597:                           ;   in Loop: Header=BB395_1055 Depth=1
	s_or_b32 exec_lo, exec_lo, s15
.LBB395_1598:                           ;   in Loop: Header=BB395_1055 Depth=1
	s_or_b32 exec_lo, exec_lo, s13
.LBB395_1599:                           ;   in Loop: Header=BB395_1055 Depth=1
	s_or_b32 exec_lo, exec_lo, s12
	v_and_b32_sdwa v5, v19, v70 dst_sel:DWORD dst_unused:UNUSED_PAD src0_sel:WORD_1 src1_sel:DWORD
	v_mov_b32_e32 v16, 0
	v_mov_b32_e32 v13, 0
	s_mov_b32 s12, exec_lo
	v_cmpx_ne_u16_e32 0, v5
	s_cbranch_execz .LBB395_1607
; %bb.1600:                             ;   in Loop: Header=BB395_1055 Depth=1
	v_bfrev_b32_e32 v13, 1
	s_mov_b32 s13, exec_lo
	v_cmpx_ne_u16_e32 0x80, v5
	s_cbranch_execz .LBB395_1606
; %bb.1601:                             ;   in Loop: Header=BB395_1055 Depth=1
	v_bfe_u32 v21, v19, 16, 7
	v_mov_b32_e32 v13, 0x7f800001
	s_mov_b32 s15, exec_lo
	v_cmpx_ne_u32_e32 0x7f, v21
	s_cbranch_execz .LBB395_1605
; %bb.1602:                             ;   in Loop: Header=BB395_1055 Depth=1
	v_mov_b32_e32 v5, 7
	s_mov_b32 s18, exec_lo
	v_and_b32_sdwa v10, v19, v5 dst_sel:DWORD dst_unused:UNUSED_PAD src0_sel:WORD_1 src1_sel:DWORD
	v_mov_b32_e32 v24, v11
	v_lshrrev_b32_e32 v5, 3, v21
	v_mov_b32_e32 v23, v10
	v_cmpx_gt_u32_e32 8, v21
; %bb.1603:                             ;   in Loop: Header=BB395_1055 Depth=1
	v_ffbh_u32_e32 v5, v10
	v_min_u32_e32 v5, 32, v5
	v_subrev_nc_u32_e32 v13, 28, v5
	v_sub_nc_u32_e32 v5, 29, v5
	v_lshlrev_b64 v[23:24], v13, v[10:11]
	v_and_b32_e32 v23, 7, v23
; %bb.1604:                             ;   in Loop: Header=BB395_1055 Depth=1
	s_or_b32 exec_lo, exec_lo, s18
	v_mov_b32_e32 v10, 24
	v_lshlrev_b32_e32 v13, 20, v23
	v_lshl_add_u32 v5, v5, 23, 0x3c000000
	v_lshlrev_b32_sdwa v10, v10, v19 dst_sel:DWORD dst_unused:UNUSED_PAD src0_sel:DWORD src1_sel:WORD_1
	v_and_b32_e32 v10, 0x80000000, v10
	v_or3_b32 v13, v13, v10, v5
.LBB395_1605:                           ;   in Loop: Header=BB395_1055 Depth=1
	s_or_b32 exec_lo, exec_lo, s15
.LBB395_1606:                           ;   in Loop: Header=BB395_1055 Depth=1
	s_or_b32 exec_lo, exec_lo, s13
.LBB395_1607:                           ;   in Loop: Header=BB395_1055 Depth=1
	s_or_b32 exec_lo, exec_lo, s12
	s_mov_b32 s12, exec_lo
	v_cmpx_lt_u32_e32 0xffffff, v19
	s_cbranch_execz .LBB395_1615
; %bb.1608:                             ;   in Loop: Header=BB395_1055 Depth=1
	v_cmp_ne_u32_sdwa s4, v19, v68 src0_sel:BYTE_3 src1_sel:DWORD
	v_bfrev_b32_e32 v16, 1
	s_and_saveexec_b32 s13, s4
	s_cbranch_execz .LBB395_1614
; %bb.1609:                             ;   in Loop: Header=BB395_1055 Depth=1
	v_bfe_u32 v21, v19, 24, 7
	v_mov_b32_e32 v16, 0x7f800001
	s_mov_b32 s15, exec_lo
	v_cmpx_ne_u32_e32 0x7f, v21
	s_cbranch_execz .LBB395_1613
; %bb.1610:                             ;   in Loop: Header=BB395_1055 Depth=1
	v_mov_b32_e32 v5, 7
	s_mov_b32 s18, exec_lo
	v_and_b32_sdwa v10, v19, v5 dst_sel:DWORD dst_unused:UNUSED_PAD src0_sel:BYTE_3 src1_sel:DWORD
	v_mov_b32_e32 v24, v11
	v_lshrrev_b32_e32 v5, 3, v21
	v_mov_b32_e32 v23, v10
	v_cmpx_gt_u32_e32 8, v21
; %bb.1611:                             ;   in Loop: Header=BB395_1055 Depth=1
	v_ffbh_u32_e32 v5, v10
	v_min_u32_e32 v5, 32, v5
	v_subrev_nc_u32_e32 v16, 28, v5
	v_sub_nc_u32_e32 v5, 29, v5
	v_lshlrev_b64 v[23:24], v16, v[10:11]
	v_and_b32_e32 v23, 7, v23
; %bb.1612:                             ;   in Loop: Header=BB395_1055 Depth=1
	s_or_b32 exec_lo, exec_lo, s18
	v_mov_b32_e32 v10, 24
	v_lshlrev_b32_e32 v16, 20, v23
	v_lshl_add_u32 v5, v5, 23, 0x3c000000
	v_lshlrev_b32_sdwa v10, v10, v19 dst_sel:DWORD dst_unused:UNUSED_PAD src0_sel:DWORD src1_sel:BYTE_3
	v_and_b32_e32 v10, 0x80000000, v10
	v_or3_b32 v16, v16, v10, v5
.LBB395_1613:                           ;   in Loop: Header=BB395_1055 Depth=1
	s_or_b32 exec_lo, exec_lo, s15
.LBB395_1614:                           ;   in Loop: Header=BB395_1055 Depth=1
	s_or_b32 exec_lo, exec_lo, s13
.LBB395_1615:                           ;   in Loop: Header=BB395_1055 Depth=1
	s_or_b32 exec_lo, exec_lo, s12
	v_mov_b32_e32 v10, v20
	v_cmp_ne_u16_sdwa s4, v20, v11 src0_sel:BYTE_0 src1_sel:DWORD
	v_mov_b32_e32 v28, 0
	v_mov_b32_e32 v25, 0
	s_and_saveexec_b32 s12, s4
	s_cbranch_execz .LBB395_1623
; %bb.1616:                             ;   in Loop: Header=BB395_1055 Depth=1
	v_cmp_ne_u16_sdwa s4, v20, v68 src0_sel:BYTE_0 src1_sel:DWORD
	v_bfrev_b32_e32 v25, 1
	s_and_saveexec_b32 s13, s4
	s_cbranch_execz .LBB395_1622
; %bb.1617:                             ;   in Loop: Header=BB395_1055 Depth=1
	v_and_b32_e32 v21, 0x7f, v20
	v_mov_b32_e32 v25, 0x7f800001
	s_mov_b32 s15, exec_lo
	v_cmpx_ne_u32_e32 0x7f, v21
	s_cbranch_execz .LBB395_1621
; %bb.1618:                             ;   in Loop: Header=BB395_1055 Depth=1
	v_mov_b32_e32 v24, v11
	v_lshrrev_b32_e32 v5, 3, v21
	v_mov_b32_e32 v23, v10
	s_mov_b32 s18, exec_lo
	v_cmpx_gt_u32_e32 8, v21
; %bb.1619:                             ;   in Loop: Header=BB395_1055 Depth=1
	v_and_b32_e32 v5, 7, v20
	v_ffbh_u32_e32 v5, v5
	v_min_u32_e32 v5, 32, v5
	v_subrev_nc_u32_e32 v21, 28, v5
	v_sub_nc_u32_e32 v5, 29, v5
	v_lshlrev_b64 v[23:24], v21, v[10:11]
; %bb.1620:                             ;   in Loop: Header=BB395_1055 Depth=1
	s_or_b32 exec_lo, exec_lo, s18
	v_lshlrev_b32_e32 v21, 20, v23
	v_lshlrev_b32_e32 v23, 24, v10
	v_lshl_add_u32 v5, v5, 23, 0x3c000000
	v_and_b32_e32 v21, 0x700000, v21
	v_and_b32_e32 v23, 0x80000000, v23
	v_or3_b32 v25, v21, v23, v5
.LBB395_1621:                           ;   in Loop: Header=BB395_1055 Depth=1
	s_or_b32 exec_lo, exec_lo, s15
.LBB395_1622:                           ;   in Loop: Header=BB395_1055 Depth=1
	s_or_b32 exec_lo, exec_lo, s13
.LBB395_1623:                           ;   in Loop: Header=BB395_1055 Depth=1
	s_or_b32 exec_lo, exec_lo, s12
	v_cmp_ne_u16_sdwa s4, v10, v11 src0_sel:BYTE_1 src1_sel:DWORD
	s_and_saveexec_b32 s12, s4
	s_cbranch_execz .LBB395_1631
; %bb.1624:                             ;   in Loop: Header=BB395_1055 Depth=1
	v_cmp_ne_u16_sdwa s4, v10, v68 src0_sel:BYTE_1 src1_sel:DWORD
	v_bfrev_b32_e32 v28, 1
	s_and_saveexec_b32 s13, s4
	s_cbranch_execz .LBB395_1630
; %bb.1625:                             ;   in Loop: Header=BB395_1055 Depth=1
	v_mov_b32_e32 v5, 0xffff
	v_mov_b32_e32 v28, 0x7f800001
	s_mov_b32 s15, exec_lo
	v_and_b32_sdwa v5, v5, v10 dst_sel:DWORD dst_unused:UNUSED_PAD src0_sel:DWORD src1_sel:BYTE_1
	v_and_b32_e32 v21, 0x7f, v5
	v_cmpx_ne_u32_e32 0x7f, v21
	s_cbranch_execz .LBB395_1629
; %bb.1626:                             ;   in Loop: Header=BB395_1055 Depth=1
	v_and_b32_e32 v23, 7, v5
	v_mov_b32_e32 v24, v11
	v_lshrrev_b32_e32 v5, 3, v21
	s_mov_b32 s18, exec_lo
	v_cmpx_gt_u32_e32 8, v21
; %bb.1627:                             ;   in Loop: Header=BB395_1055 Depth=1
	v_ffbh_u32_e32 v5, v23
	v_min_u32_e32 v5, 32, v5
	v_subrev_nc_u32_e32 v21, 28, v5
	v_sub_nc_u32_e32 v5, 29, v5
	v_lshlrev_b64 v[23:24], v21, v[23:24]
	v_and_b32_e32 v23, 7, v23
; %bb.1628:                             ;   in Loop: Header=BB395_1055 Depth=1
	s_or_b32 exec_lo, exec_lo, s18
	v_lshlrev_b32_e32 v10, 16, v10
	v_lshlrev_b32_e32 v21, 20, v23
	v_lshl_add_u32 v5, v5, 23, 0x3c000000
	v_and_b32_e32 v10, 0x80000000, v10
	v_or3_b32 v28, v21, v10, v5
.LBB395_1629:                           ;   in Loop: Header=BB395_1055 Depth=1
	s_or_b32 exec_lo, exec_lo, s15
.LBB395_1630:                           ;   in Loop: Header=BB395_1055 Depth=1
	s_or_b32 exec_lo, exec_lo, s13
.LBB395_1631:                           ;   in Loop: Header=BB395_1055 Depth=1
	s_or_b32 exec_lo, exec_lo, s12
	v_and_b32_sdwa v10, v20, v70 dst_sel:DWORD dst_unused:UNUSED_PAD src0_sel:WORD_1 src1_sel:DWORD
	v_mov_b32_e32 v5, 0
	v_mov_b32_e32 v21, 0
	s_mov_b32 s12, exec_lo
	v_cmpx_ne_u16_e32 0, v10
	s_cbranch_execz .LBB395_1639
; %bb.1632:                             ;   in Loop: Header=BB395_1055 Depth=1
	v_bfrev_b32_e32 v21, 1
	s_mov_b32 s13, exec_lo
	v_cmpx_ne_u16_e32 0x80, v10
	s_cbranch_execz .LBB395_1638
; %bb.1633:                             ;   in Loop: Header=BB395_1055 Depth=1
	v_bfe_u32 v23, v20, 16, 7
	v_mov_b32_e32 v21, 0x7f800001
	s_mov_b32 s15, exec_lo
	v_cmpx_ne_u32_e32 0x7f, v23
	s_cbranch_execz .LBB395_1637
; %bb.1634:                             ;   in Loop: Header=BB395_1055 Depth=1
	v_mov_b32_e32 v10, 7
	v_lshrrev_b32_e32 v21, 3, v23
	v_cmp_gt_u32_e64 s4, 8, v23
	v_and_b32_sdwa v10, v20, v10 dst_sel:DWORD dst_unused:UNUSED_PAD src0_sel:WORD_1 src1_sel:DWORD
	v_mov_b32_e32 v24, v11
	v_mov_b32_e32 v23, v10
	s_and_saveexec_b32 s18, s4
; %bb.1635:                             ;   in Loop: Header=BB395_1055 Depth=1
	v_ffbh_u32_e32 v21, v10
	v_min_u32_e32 v21, 32, v21
	v_subrev_nc_u32_e32 v23, 28, v21
	v_sub_nc_u32_e32 v21, 29, v21
	v_lshlrev_b64 v[23:24], v23, v[10:11]
	v_and_b32_e32 v23, 7, v23
; %bb.1636:                             ;   in Loop: Header=BB395_1055 Depth=1
	s_or_b32 exec_lo, exec_lo, s18
	v_mov_b32_e32 v10, 24
	v_lshlrev_b32_e32 v23, 20, v23
	v_lshl_add_u32 v21, v21, 23, 0x3c000000
	v_lshlrev_b32_sdwa v10, v10, v20 dst_sel:DWORD dst_unused:UNUSED_PAD src0_sel:DWORD src1_sel:WORD_1
	v_and_b32_e32 v10, 0x80000000, v10
	v_or3_b32 v21, v23, v10, v21
.LBB395_1637:                           ;   in Loop: Header=BB395_1055 Depth=1
	s_or_b32 exec_lo, exec_lo, s15
.LBB395_1638:                           ;   in Loop: Header=BB395_1055 Depth=1
	s_or_b32 exec_lo, exec_lo, s13
.LBB395_1639:                           ;   in Loop: Header=BB395_1055 Depth=1
	s_or_b32 exec_lo, exec_lo, s12
	s_mov_b32 s12, exec_lo
	v_cmpx_lt_u64_e64 s[8:9], v[19:20]
	s_cbranch_execz .LBB395_1647
; %bb.1640:                             ;   in Loop: Header=BB395_1055 Depth=1
	v_cmp_ne_u32_sdwa s4, v20, v68 src0_sel:BYTE_3 src1_sel:DWORD
	v_bfrev_b32_e32 v5, 1
	s_and_saveexec_b32 s13, s4
	s_cbranch_execz .LBB395_1646
; %bb.1641:                             ;   in Loop: Header=BB395_1055 Depth=1
	v_bfe_u32 v19, v20, 24, 7
	v_mov_b32_e32 v5, 0x7f800001
	s_mov_b32 s15, exec_lo
	v_cmpx_ne_u32_e32 0x7f, v19
	s_cbranch_execz .LBB395_1645
; %bb.1642:                             ;   in Loop: Header=BB395_1055 Depth=1
	v_mov_b32_e32 v5, 7
	s_mov_b32 s18, exec_lo
	v_and_b32_sdwa v10, v20, v5 dst_sel:DWORD dst_unused:UNUSED_PAD src0_sel:BYTE_3 src1_sel:DWORD
	v_mov_b32_e32 v24, v11
	v_lshrrev_b32_e32 v5, 3, v19
	v_mov_b32_e32 v23, v10
	v_cmpx_gt_u32_e32 8, v19
; %bb.1643:                             ;   in Loop: Header=BB395_1055 Depth=1
	v_ffbh_u32_e32 v5, v10
	v_min_u32_e32 v5, 32, v5
	v_subrev_nc_u32_e32 v19, 28, v5
	v_sub_nc_u32_e32 v5, 29, v5
	v_lshlrev_b64 v[23:24], v19, v[10:11]
	v_and_b32_e32 v23, 7, v23
; %bb.1644:                             ;   in Loop: Header=BB395_1055 Depth=1
	s_or_b32 exec_lo, exec_lo, s18
	v_mov_b32_e32 v10, 24
	v_lshlrev_b32_e32 v19, 20, v23
	v_lshl_add_u32 v5, v5, 23, 0x3c000000
	v_lshlrev_b32_sdwa v10, v10, v20 dst_sel:DWORD dst_unused:UNUSED_PAD src0_sel:DWORD src1_sel:BYTE_3
	v_and_b32_e32 v10, 0x80000000, v10
	v_or3_b32 v5, v19, v10, v5
.LBB395_1645:                           ;   in Loop: Header=BB395_1055 Depth=1
	s_or_b32 exec_lo, exec_lo, s15
.LBB395_1646:                           ;   in Loop: Header=BB395_1055 Depth=1
	s_or_b32 exec_lo, exec_lo, s13
.LBB395_1647:                           ;   in Loop: Header=BB395_1055 Depth=1
	s_or_b32 exec_lo, exec_lo, s12
	v_mul_f32_e32 v10, v26, v28
	v_mul_f32_e32 v4, v26, v4
	v_bfe_u32 v19, v10, 16, 1
	v_or_b32_e32 v20, 0x400000, v10
	v_cmp_u_f32_e64 s4, v10, v10
	v_add3_u32 v19, v19, v10, 0x7fff
	v_cndmask_b32_e64 v10, v19, v20, s4
	v_lshrrev_b32_e32 v121, 16, v10
	v_mul_f32_e32 v10, v26, v25
	v_bfe_u32 v19, v10, 16, 1
	v_or_b32_e32 v20, 0x400000, v10
	v_cmp_u_f32_e64 s4, v10, v10
	v_add3_u32 v19, v19, v10, 0x7fff
	v_cndmask_b32_e64 v10, v19, v20, s4
	v_lshrrev_b32_e32 v122, 16, v10
	v_mul_f32_e32 v10, v26, v16
	v_bfe_u32 v16, v10, 16, 1
	v_or_b32_e32 v19, 0x400000, v10
	v_cmp_u_f32_e64 s4, v10, v10
	v_add3_u32 v16, v16, v10, 0x7fff
	v_cndmask_b32_e64 v10, v16, v19, s4
	v_lshrrev_b32_e32 v123, 16, v10
	v_mul_f32_e32 v10, v26, v13
	v_bfe_u32 v13, v10, 16, 1
	v_or_b32_e32 v16, 0x400000, v10
	v_cmp_u_f32_e64 s4, v10, v10
	v_add3_u32 v13, v13, v10, 0x7fff
	v_cndmask_b32_e64 v10, v13, v16, s4
	v_lshrrev_b32_e32 v124, 16, v10
	v_mul_f32_e32 v10, v26, v12
	v_bfe_u32 v12, v10, 16, 1
	v_or_b32_e32 v13, 0x400000, v10
	v_cmp_u_f32_e64 s4, v10, v10
	v_add3_u32 v12, v12, v10, 0x7fff
	v_cndmask_b32_e64 v10, v12, v13, s4
	v_or_b32_e32 v12, 0x400000, v4
	v_cmp_u_f32_e64 s4, v4, v4
	v_lshrrev_b32_e32 v126, 16, v10
	v_bfe_u32 v10, v4, 16, 1
	v_add3_u32 v10, v10, v4, 0x7fff
	v_cndmask_b32_e64 v4, v10, v12, s4
	v_lshrrev_b32_e32 v127, 16, v4
	v_mul_f32_e32 v4, v26, v21
	v_bfe_u32 v10, v4, 16, 1
	v_or_b32_e32 v12, 0x400000, v4
	v_cmp_u_f32_e64 s4, v4, v4
	v_add3_u32 v10, v10, v4, 0x7fff
	v_cndmask_b32_e64 v4, v10, v12, s4
	v_lshrrev_b32_e32 v125, 16, v4
	v_mul_f32_e32 v4, v26, v5
	v_bfe_u32 v5, v4, 16, 1
	v_or_b32_e32 v10, 0x400000, v4
	v_cmp_u_f32_e64 s4, v4, v4
	v_add3_u32 v5, v5, v4, 0x7fff
	v_cndmask_b32_e64 v4, v5, v10, s4
	v_lshrrev_b32_e32 v28, 16, v4
	s_and_saveexec_b32 s12, vcc_lo
	s_cbranch_execz .LBB395_1649
; %bb.1648:                             ;   in Loop: Header=BB395_1055 Depth=1
	v_cmp_lt_i32_e64 s4, v57, v36
	v_cndmask_b32_e64 v127, 0, v127, s4
	v_cmp_lt_i32_e64 s4, v63, v36
	v_cndmask_b32_e64 v126, 0, v126, s4
	;; [unrolled: 2-line block ×8, first 2 shown]
.LBB395_1649:                           ;   in Loop: Header=BB395_1055 Depth=1
	s_or_b32 exec_lo, exec_lo, s12
	flat_load_dwordx2 v[19:20], v[17:18] offset:256
	v_mov_b32_e32 v25, 0
	v_mov_b32_e32 v16, 0
	s_waitcnt vmcnt(0) lgkmcnt(0)
	v_cmp_ne_u16_sdwa s4, v19, v11 src0_sel:BYTE_0 src1_sel:DWORD
	s_and_saveexec_b32 s12, s4
	s_cbranch_execz .LBB395_1657
; %bb.1650:                             ;   in Loop: Header=BB395_1055 Depth=1
	v_cmp_ne_u16_sdwa s4, v19, v68 src0_sel:BYTE_0 src1_sel:DWORD
	v_bfrev_b32_e32 v16, 1
	s_and_saveexec_b32 s13, s4
	s_cbranch_execz .LBB395_1656
; %bb.1651:                             ;   in Loop: Header=BB395_1055 Depth=1
	v_and_b32_e32 v5, 0x7f, v19
	v_mov_b32_e32 v16, 0x7f800001
	s_mov_b32 s15, exec_lo
	v_cmpx_ne_u32_e32 0x7f, v5
	s_cbranch_execz .LBB395_1655
; %bb.1652:                             ;   in Loop: Header=BB395_1055 Depth=1
	v_mov_b32_e32 v24, v20
	v_lshrrev_b32_e32 v4, 3, v5
	v_mov_b32_e32 v23, v19
	s_mov_b32 s18, exec_lo
	v_cmpx_gt_u32_e32 8, v5
; %bb.1653:                             ;   in Loop: Header=BB395_1055 Depth=1
	v_and_b32_e32 v4, 7, v19
	v_ffbh_u32_e32 v4, v4
	v_min_u32_e32 v4, 32, v4
	v_subrev_nc_u32_e32 v5, 28, v4
	v_sub_nc_u32_e32 v4, 29, v4
	v_lshlrev_b64 v[23:24], v5, v[19:20]
; %bb.1654:                             ;   in Loop: Header=BB395_1055 Depth=1
	s_or_b32 exec_lo, exec_lo, s18
	v_lshlrev_b32_e32 v5, 20, v23
	v_lshlrev_b32_e32 v10, 24, v19
	v_lshl_add_u32 v4, v4, 23, 0x3c000000
	v_and_b32_e32 v5, 0x700000, v5
	v_and_b32_e32 v10, 0x80000000, v10
	v_or3_b32 v16, v5, v10, v4
.LBB395_1655:                           ;   in Loop: Header=BB395_1055 Depth=1
	s_or_b32 exec_lo, exec_lo, s15
.LBB395_1656:                           ;   in Loop: Header=BB395_1055 Depth=1
	s_or_b32 exec_lo, exec_lo, s13
.LBB395_1657:                           ;   in Loop: Header=BB395_1055 Depth=1
	s_or_b32 exec_lo, exec_lo, s12
	v_cmp_ne_u16_sdwa s4, v19, v11 src0_sel:BYTE_1 src1_sel:DWORD
	s_and_saveexec_b32 s12, s4
	s_cbranch_execz .LBB395_1665
; %bb.1658:                             ;   in Loop: Header=BB395_1055 Depth=1
	v_cmp_ne_u16_sdwa s4, v19, v68 src0_sel:BYTE_1 src1_sel:DWORD
	v_bfrev_b32_e32 v25, 1
	s_and_saveexec_b32 s13, s4
	s_cbranch_execz .LBB395_1664
; %bb.1659:                             ;   in Loop: Header=BB395_1055 Depth=1
	v_mov_b32_e32 v4, 0xffff
	v_mov_b32_e32 v25, 0x7f800001
	s_mov_b32 s15, exec_lo
	v_and_b32_sdwa v4, v4, v19 dst_sel:DWORD dst_unused:UNUSED_PAD src0_sel:DWORD src1_sel:BYTE_1
	v_and_b32_e32 v5, 0x7f, v4
	v_cmpx_ne_u32_e32 0x7f, v5
	s_cbranch_execz .LBB395_1663
; %bb.1660:                             ;   in Loop: Header=BB395_1055 Depth=1
	v_and_b32_e32 v10, 7, v4
	v_mov_b32_e32 v24, v11
	v_lshrrev_b32_e32 v4, 3, v5
	s_mov_b32 s18, exec_lo
	v_mov_b32_e32 v23, v10
	v_cmpx_gt_u32_e32 8, v5
; %bb.1661:                             ;   in Loop: Header=BB395_1055 Depth=1
	v_ffbh_u32_e32 v4, v10
	v_min_u32_e32 v4, 32, v4
	v_subrev_nc_u32_e32 v5, 28, v4
	v_sub_nc_u32_e32 v4, 29, v4
	v_lshlrev_b64 v[12:13], v5, v[10:11]
	v_and_b32_e32 v23, 7, v12
; %bb.1662:                             ;   in Loop: Header=BB395_1055 Depth=1
	s_or_b32 exec_lo, exec_lo, s18
	v_lshlrev_b32_e32 v5, 16, v19
	v_lshlrev_b32_e32 v10, 20, v23
	v_lshl_add_u32 v4, v4, 23, 0x3c000000
	v_and_b32_e32 v5, 0x80000000, v5
	v_or3_b32 v25, v10, v5, v4
.LBB395_1663:                           ;   in Loop: Header=BB395_1055 Depth=1
	s_or_b32 exec_lo, exec_lo, s15
.LBB395_1664:                           ;   in Loop: Header=BB395_1055 Depth=1
	s_or_b32 exec_lo, exec_lo, s13
.LBB395_1665:                           ;   in Loop: Header=BB395_1055 Depth=1
	s_or_b32 exec_lo, exec_lo, s12
	v_and_b32_sdwa v4, v19, v70 dst_sel:DWORD dst_unused:UNUSED_PAD src0_sel:WORD_1 src1_sel:DWORD
	v_mov_b32_e32 v13, 0
	v_mov_b32_e32 v21, 0
	s_mov_b32 s12, exec_lo
	v_cmpx_ne_u16_e32 0, v4
	s_cbranch_execz .LBB395_1673
; %bb.1666:                             ;   in Loop: Header=BB395_1055 Depth=1
	v_bfrev_b32_e32 v21, 1
	s_mov_b32 s13, exec_lo
	v_cmpx_ne_u16_e32 0x80, v4
	s_cbranch_execz .LBB395_1672
; %bb.1667:                             ;   in Loop: Header=BB395_1055 Depth=1
	v_bfe_u32 v5, v19, 16, 7
	v_mov_b32_e32 v21, 0x7f800001
	s_mov_b32 s15, exec_lo
	v_cmpx_ne_u32_e32 0x7f, v5
	s_cbranch_execz .LBB395_1671
; %bb.1668:                             ;   in Loop: Header=BB395_1055 Depth=1
	v_mov_b32_e32 v4, 7
	s_mov_b32 s18, exec_lo
	v_and_b32_sdwa v10, v19, v4 dst_sel:DWORD dst_unused:UNUSED_PAD src0_sel:WORD_1 src1_sel:DWORD
	v_mov_b32_e32 v24, v11
	v_lshrrev_b32_e32 v4, 3, v5
	v_mov_b32_e32 v23, v10
	v_cmpx_gt_u32_e32 8, v5
; %bb.1669:                             ;   in Loop: Header=BB395_1055 Depth=1
	v_ffbh_u32_e32 v4, v10
	v_min_u32_e32 v4, 32, v4
	v_subrev_nc_u32_e32 v5, 28, v4
	v_sub_nc_u32_e32 v4, 29, v4
	v_lshlrev_b64 v[23:24], v5, v[10:11]
	v_and_b32_e32 v23, 7, v23
; %bb.1670:                             ;   in Loop: Header=BB395_1055 Depth=1
	s_or_b32 exec_lo, exec_lo, s18
	v_mov_b32_e32 v5, 24
	v_lshlrev_b32_e32 v10, 20, v23
	v_lshl_add_u32 v4, v4, 23, 0x3c000000
	v_lshlrev_b32_sdwa v5, v5, v19 dst_sel:DWORD dst_unused:UNUSED_PAD src0_sel:DWORD src1_sel:WORD_1
	v_and_b32_e32 v5, 0x80000000, v5
	v_or3_b32 v21, v10, v5, v4
.LBB395_1671:                           ;   in Loop: Header=BB395_1055 Depth=1
	s_or_b32 exec_lo, exec_lo, s15
.LBB395_1672:                           ;   in Loop: Header=BB395_1055 Depth=1
	s_or_b32 exec_lo, exec_lo, s13
.LBB395_1673:                           ;   in Loop: Header=BB395_1055 Depth=1
	s_or_b32 exec_lo, exec_lo, s12
	s_mov_b32 s12, exec_lo
	v_cmpx_lt_u32_e32 0xffffff, v19
	s_cbranch_execz .LBB395_1681
; %bb.1674:                             ;   in Loop: Header=BB395_1055 Depth=1
	v_cmp_ne_u32_sdwa s4, v19, v68 src0_sel:BYTE_3 src1_sel:DWORD
	v_bfrev_b32_e32 v13, 1
	s_and_saveexec_b32 s13, s4
	s_cbranch_execz .LBB395_1680
; %bb.1675:                             ;   in Loop: Header=BB395_1055 Depth=1
	v_bfe_u32 v5, v19, 24, 7
	v_mov_b32_e32 v13, 0x7f800001
	s_mov_b32 s15, exec_lo
	v_cmpx_ne_u32_e32 0x7f, v5
	s_cbranch_execz .LBB395_1679
; %bb.1676:                             ;   in Loop: Header=BB395_1055 Depth=1
	v_mov_b32_e32 v4, 7
	s_mov_b32 s18, exec_lo
	v_and_b32_sdwa v10, v19, v4 dst_sel:DWORD dst_unused:UNUSED_PAD src0_sel:BYTE_3 src1_sel:DWORD
	v_mov_b32_e32 v24, v11
	v_lshrrev_b32_e32 v4, 3, v5
	v_mov_b32_e32 v23, v10
	v_cmpx_gt_u32_e32 8, v5
; %bb.1677:                             ;   in Loop: Header=BB395_1055 Depth=1
	v_ffbh_u32_e32 v4, v10
	v_min_u32_e32 v4, 32, v4
	v_subrev_nc_u32_e32 v5, 28, v4
	v_sub_nc_u32_e32 v4, 29, v4
	v_lshlrev_b64 v[12:13], v5, v[10:11]
	v_and_b32_e32 v23, 7, v12
; %bb.1678:                             ;   in Loop: Header=BB395_1055 Depth=1
	s_or_b32 exec_lo, exec_lo, s18
	v_mov_b32_e32 v5, 24
	v_lshlrev_b32_e32 v10, 20, v23
	v_lshl_add_u32 v4, v4, 23, 0x3c000000
	v_lshlrev_b32_sdwa v5, v5, v19 dst_sel:DWORD dst_unused:UNUSED_PAD src0_sel:DWORD src1_sel:BYTE_3
	v_and_b32_e32 v5, 0x80000000, v5
	v_or3_b32 v13, v10, v5, v4
.LBB395_1679:                           ;   in Loop: Header=BB395_1055 Depth=1
	s_or_b32 exec_lo, exec_lo, s15
.LBB395_1680:                           ;   in Loop: Header=BB395_1055 Depth=1
	s_or_b32 exec_lo, exec_lo, s13
.LBB395_1681:                           ;   in Loop: Header=BB395_1055 Depth=1
	s_or_b32 exec_lo, exec_lo, s12
	v_mov_b32_e32 v10, v20
	v_cmp_ne_u16_sdwa s4, v20, v11 src0_sel:BYTE_0 src1_sel:DWORD
	v_mov_b32_e32 v4, 0
	v_mov_b32_e32 v12, 0
	s_and_saveexec_b32 s12, s4
	s_cbranch_execz .LBB395_1689
; %bb.1682:                             ;   in Loop: Header=BB395_1055 Depth=1
	v_cmp_ne_u16_sdwa s4, v20, v68 src0_sel:BYTE_0 src1_sel:DWORD
	v_bfrev_b32_e32 v12, 1
	s_and_saveexec_b32 s13, s4
	s_cbranch_execz .LBB395_1688
; %bb.1683:                             ;   in Loop: Header=BB395_1055 Depth=1
	v_and_b32_e32 v23, 0x7f, v20
	v_mov_b32_e32 v12, 0x7f800001
	s_mov_b32 s15, exec_lo
	v_cmpx_ne_u32_e32 0x7f, v23
	s_cbranch_execz .LBB395_1687
; %bb.1684:                             ;   in Loop: Header=BB395_1055 Depth=1
	v_lshrrev_b32_e32 v5, 3, v23
	v_cmp_gt_u32_e64 s4, 8, v23
	v_mov_b32_e32 v24, v11
	v_mov_b32_e32 v23, v10
	s_and_saveexec_b32 s18, s4
; %bb.1685:                             ;   in Loop: Header=BB395_1055 Depth=1
	v_and_b32_e32 v5, 7, v20
	v_ffbh_u32_e32 v5, v5
	v_min_u32_e32 v5, 32, v5
	v_subrev_nc_u32_e32 v12, 28, v5
	v_sub_nc_u32_e32 v5, 29, v5
	v_lshlrev_b64 v[23:24], v12, v[10:11]
; %bb.1686:                             ;   in Loop: Header=BB395_1055 Depth=1
	s_or_b32 exec_lo, exec_lo, s18
	v_lshlrev_b32_e32 v12, 20, v23
	v_lshlrev_b32_e32 v23, 24, v10
	v_lshl_add_u32 v5, v5, 23, 0x3c000000
	v_and_b32_e32 v12, 0x700000, v12
	v_and_b32_e32 v23, 0x80000000, v23
	v_or3_b32 v12, v12, v23, v5
.LBB395_1687:                           ;   in Loop: Header=BB395_1055 Depth=1
	s_or_b32 exec_lo, exec_lo, s15
.LBB395_1688:                           ;   in Loop: Header=BB395_1055 Depth=1
	s_or_b32 exec_lo, exec_lo, s13
.LBB395_1689:                           ;   in Loop: Header=BB395_1055 Depth=1
	s_or_b32 exec_lo, exec_lo, s12
	v_cmp_ne_u16_sdwa s4, v10, v11 src0_sel:BYTE_1 src1_sel:DWORD
	s_and_saveexec_b32 s12, s4
	s_cbranch_execz .LBB395_1697
; %bb.1690:                             ;   in Loop: Header=BB395_1055 Depth=1
	v_cmp_ne_u16_sdwa s4, v10, v68 src0_sel:BYTE_1 src1_sel:DWORD
	v_bfrev_b32_e32 v4, 1
	s_and_saveexec_b32 s13, s4
	s_cbranch_execz .LBB395_1696
; %bb.1691:                             ;   in Loop: Header=BB395_1055 Depth=1
	v_mov_b32_e32 v4, 0xffff
	s_mov_b32 s15, exec_lo
	v_and_b32_sdwa v23, v4, v10 dst_sel:DWORD dst_unused:UNUSED_PAD src0_sel:DWORD src1_sel:BYTE_1
	v_mov_b32_e32 v4, 0x7f800001
	v_and_b32_e32 v5, 0x7f, v23
	v_cmpx_ne_u32_e32 0x7f, v5
	s_cbranch_execz .LBB395_1695
; %bb.1692:                             ;   in Loop: Header=BB395_1055 Depth=1
	v_and_b32_e32 v23, 7, v23
	v_mov_b32_e32 v24, v11
	v_lshrrev_b32_e32 v4, 3, v5
	s_mov_b32 s18, exec_lo
	v_cmpx_gt_u32_e32 8, v5
; %bb.1693:                             ;   in Loop: Header=BB395_1055 Depth=1
	v_ffbh_u32_e32 v4, v23
	v_min_u32_e32 v4, 32, v4
	v_subrev_nc_u32_e32 v5, 28, v4
	v_sub_nc_u32_e32 v4, 29, v4
	v_lshlrev_b64 v[23:24], v5, v[23:24]
	v_and_b32_e32 v23, 7, v23
; %bb.1694:                             ;   in Loop: Header=BB395_1055 Depth=1
	s_or_b32 exec_lo, exec_lo, s18
	v_lshlrev_b32_e32 v5, 16, v10
	v_lshlrev_b32_e32 v10, 20, v23
	v_lshl_add_u32 v4, v4, 23, 0x3c000000
	v_and_b32_e32 v5, 0x80000000, v5
	v_or3_b32 v4, v10, v5, v4
.LBB395_1695:                           ;   in Loop: Header=BB395_1055 Depth=1
	s_or_b32 exec_lo, exec_lo, s15
.LBB395_1696:                           ;   in Loop: Header=BB395_1055 Depth=1
	s_or_b32 exec_lo, exec_lo, s13
.LBB395_1697:                           ;   in Loop: Header=BB395_1055 Depth=1
	s_or_b32 exec_lo, exec_lo, s12
	v_and_b32_sdwa v10, v20, v70 dst_sel:DWORD dst_unused:UNUSED_PAD src0_sel:WORD_1 src1_sel:DWORD
	v_mov_b32_e32 v5, 0
	v_mov_b32_e32 v35, 0
	s_mov_b32 s12, exec_lo
	v_cmpx_ne_u16_e32 0, v10
	s_cbranch_execz .LBB395_1705
; %bb.1698:                             ;   in Loop: Header=BB395_1055 Depth=1
	v_bfrev_b32_e32 v35, 1
	s_mov_b32 s13, exec_lo
	v_cmpx_ne_u16_e32 0x80, v10
	s_cbranch_execz .LBB395_1704
; %bb.1699:                             ;   in Loop: Header=BB395_1055 Depth=1
	v_bfe_u32 v23, v20, 16, 7
	v_mov_b32_e32 v35, 0x7f800001
	s_mov_b32 s15, exec_lo
	v_cmpx_ne_u32_e32 0x7f, v23
	s_cbranch_execz .LBB395_1703
; %bb.1700:                             ;   in Loop: Header=BB395_1055 Depth=1
	v_mov_b32_e32 v10, 7
	v_lshrrev_b32_e32 v35, 3, v23
	v_cmp_gt_u32_e64 s4, 8, v23
	v_and_b32_sdwa v10, v20, v10 dst_sel:DWORD dst_unused:UNUSED_PAD src0_sel:WORD_1 src1_sel:DWORD
	v_mov_b32_e32 v24, v11
	v_mov_b32_e32 v23, v10
	s_and_saveexec_b32 s18, s4
; %bb.1701:                             ;   in Loop: Header=BB395_1055 Depth=1
	v_ffbh_u32_e32 v23, v10
	v_min_u32_e32 v34, 32, v23
	v_subrev_nc_u32_e32 v23, 28, v34
	v_sub_nc_u32_e32 v35, 29, v34
	v_lshlrev_b64 v[23:24], v23, v[10:11]
	v_and_b32_e32 v23, 7, v23
; %bb.1702:                             ;   in Loop: Header=BB395_1055 Depth=1
	s_or_b32 exec_lo, exec_lo, s18
	v_mov_b32_e32 v10, 24
	v_lshlrev_b32_e32 v23, 20, v23
	v_lshl_add_u32 v24, v35, 23, 0x3c000000
	v_lshlrev_b32_sdwa v10, v10, v20 dst_sel:DWORD dst_unused:UNUSED_PAD src0_sel:DWORD src1_sel:WORD_1
	v_and_b32_e32 v10, 0x80000000, v10
	v_or3_b32 v35, v23, v10, v24
.LBB395_1703:                           ;   in Loop: Header=BB395_1055 Depth=1
	s_or_b32 exec_lo, exec_lo, s15
.LBB395_1704:                           ;   in Loop: Header=BB395_1055 Depth=1
	s_or_b32 exec_lo, exec_lo, s13
.LBB395_1705:                           ;   in Loop: Header=BB395_1055 Depth=1
	s_or_b32 exec_lo, exec_lo, s12
	s_mov_b32 s12, exec_lo
	v_cmpx_lt_u64_e64 s[8:9], v[19:20]
	s_cbranch_execz .LBB395_1713
; %bb.1706:                             ;   in Loop: Header=BB395_1055 Depth=1
	v_cmp_ne_u32_sdwa s4, v20, v68 src0_sel:BYTE_3 src1_sel:DWORD
	v_bfrev_b32_e32 v5, 1
	s_and_saveexec_b32 s13, s4
	s_cbranch_execz .LBB395_1712
; %bb.1707:                             ;   in Loop: Header=BB395_1055 Depth=1
	v_bfe_u32 v19, v20, 24, 7
	v_mov_b32_e32 v5, 0x7f800001
	s_mov_b32 s15, exec_lo
	v_cmpx_ne_u32_e32 0x7f, v19
	s_cbranch_execz .LBB395_1711
; %bb.1708:                             ;   in Loop: Header=BB395_1055 Depth=1
	v_mov_b32_e32 v5, 7
	s_mov_b32 s18, exec_lo
	v_and_b32_sdwa v10, v20, v5 dst_sel:DWORD dst_unused:UNUSED_PAD src0_sel:BYTE_3 src1_sel:DWORD
	v_mov_b32_e32 v24, v11
	v_lshrrev_b32_e32 v5, 3, v19
	v_mov_b32_e32 v23, v10
	v_cmpx_gt_u32_e32 8, v19
; %bb.1709:                             ;   in Loop: Header=BB395_1055 Depth=1
	v_ffbh_u32_e32 v5, v10
	v_min_u32_e32 v5, 32, v5
	v_subrev_nc_u32_e32 v19, 28, v5
	v_sub_nc_u32_e32 v5, 29, v5
	v_lshlrev_b64 v[23:24], v19, v[10:11]
	v_and_b32_e32 v23, 7, v23
; %bb.1710:                             ;   in Loop: Header=BB395_1055 Depth=1
	s_or_b32 exec_lo, exec_lo, s18
	v_mov_b32_e32 v10, 24
	v_lshlrev_b32_e32 v19, 20, v23
	v_lshl_add_u32 v5, v5, 23, 0x3c000000
	v_lshlrev_b32_sdwa v10, v10, v20 dst_sel:DWORD dst_unused:UNUSED_PAD src0_sel:DWORD src1_sel:BYTE_3
	v_and_b32_e32 v10, 0x80000000, v10
	v_or3_b32 v5, v19, v10, v5
.LBB395_1711:                           ;   in Loop: Header=BB395_1055 Depth=1
	s_or_b32 exec_lo, exec_lo, s15
.LBB395_1712:                           ;   in Loop: Header=BB395_1055 Depth=1
	s_or_b32 exec_lo, exec_lo, s13
.LBB395_1713:                           ;   in Loop: Header=BB395_1055 Depth=1
	s_or_b32 exec_lo, exec_lo, s12
	v_mul_f32_e32 v4, v26, v4
	v_mul_f32_e32 v5, v26, v5
	v_bfe_u32 v10, v4, 16, 1
	v_or_b32_e32 v19, 0x400000, v4
	v_cmp_u_f32_e64 s4, v4, v4
	v_add3_u32 v10, v10, v4, 0x7fff
	v_cndmask_b32_e64 v4, v10, v19, s4
	v_mul_f32_e32 v10, v26, v12
	v_lshrrev_b32_e32 v4, 16, v4
	v_bfe_u32 v12, v10, 16, 1
	v_or_b32_e32 v19, 0x400000, v10
	v_cmp_u_f32_e64 s4, v10, v10
	v_add3_u32 v12, v12, v10, 0x7fff
	v_cndmask_b32_e64 v10, v12, v19, s4
	v_lshrrev_b32_e32 v12, 16, v10
	v_mul_f32_e32 v10, v26, v13
	v_bfe_u32 v13, v10, 16, 1
	v_or_b32_e32 v19, 0x400000, v10
	v_cmp_u_f32_e64 s4, v10, v10
	v_add3_u32 v13, v13, v10, 0x7fff
	v_cndmask_b32_e64 v10, v13, v19, s4
	v_lshrrev_b32_e32 v13, 16, v10
	v_mul_f32_e32 v10, v26, v21
	;; [unrolled: 7-line block ×5, first 2 shown]
	v_bfe_u32 v16, v10, 16, 1
	v_or_b32_e32 v19, 0x400000, v10
	v_cmp_u_f32_e64 s4, v10, v10
	v_add3_u32 v16, v16, v10, 0x7fff
	v_cndmask_b32_e64 v10, v16, v19, s4
	v_or_b32_e32 v16, 0x400000, v5
	v_cmp_u_f32_e64 s4, v5, v5
	v_lshrrev_b32_e32 v25, 16, v10
	v_bfe_u32 v10, v5, 16, 1
	v_add3_u32 v10, v10, v5, 0x7fff
	v_cndmask_b32_e64 v5, v10, v16, s4
	v_lshrrev_b32_e32 v83, 16, v5
	s_and_saveexec_b32 s12, vcc_lo
	s_cbranch_execz .LBB395_1715
; %bb.1714:                             ;   in Loop: Header=BB395_1055 Depth=1
	v_cmp_lt_i32_e64 s4, v57, v36
	v_cndmask_b32_e64 v82, 0, v82, s4
	v_cmp_lt_i32_e64 s4, v63, v36
	v_cndmask_b32_e64 v81, 0, v81, s4
	;; [unrolled: 2-line block ×8, first 2 shown]
.LBB395_1715:                           ;   in Loop: Header=BB395_1055 Depth=1
	s_or_b32 exec_lo, exec_lo, s12
	flat_load_dwordx2 v[19:20], v[17:18] offset:512
	v_mov_b32_e32 v69, 0
	v_mov_b32_e32 v16, 0
	s_waitcnt vmcnt(0) lgkmcnt(0)
	v_cmp_ne_u16_sdwa s4, v19, v11 src0_sel:BYTE_0 src1_sel:DWORD
	s_and_saveexec_b32 s12, s4
	s_cbranch_execz .LBB395_1723
; %bb.1716:                             ;   in Loop: Header=BB395_1055 Depth=1
	v_cmp_ne_u16_sdwa s4, v19, v68 src0_sel:BYTE_0 src1_sel:DWORD
	v_bfrev_b32_e32 v16, 1
	s_and_saveexec_b32 s13, s4
	s_cbranch_execz .LBB395_1722
; %bb.1717:                             ;   in Loop: Header=BB395_1055 Depth=1
	v_and_b32_e32 v10, 0x7f, v19
	v_mov_b32_e32 v16, 0x7f800001
	s_mov_b32 s15, exec_lo
	v_cmpx_ne_u32_e32 0x7f, v10
	s_cbranch_execz .LBB395_1721
; %bb.1718:                             ;   in Loop: Header=BB395_1055 Depth=1
	v_mov_b32_e32 v24, v20
	v_lshrrev_b32_e32 v5, 3, v10
	v_mov_b32_e32 v23, v19
	s_mov_b32 s18, exec_lo
	v_cmpx_gt_u32_e32 8, v10
; %bb.1719:                             ;   in Loop: Header=BB395_1055 Depth=1
	v_and_b32_e32 v5, 7, v19
	v_ffbh_u32_e32 v5, v5
	v_min_u32_e32 v5, 32, v5
	v_subrev_nc_u32_e32 v10, 28, v5
	v_sub_nc_u32_e32 v5, 29, v5
	v_lshlrev_b64 v[23:24], v10, v[19:20]
; %bb.1720:                             ;   in Loop: Header=BB395_1055 Depth=1
	s_or_b32 exec_lo, exec_lo, s18
	v_lshlrev_b32_e32 v10, 20, v23
	v_lshlrev_b32_e32 v16, 24, v19
	v_lshl_add_u32 v5, v5, 23, 0x3c000000
	v_and_b32_e32 v10, 0x700000, v10
	v_and_b32_e32 v16, 0x80000000, v16
	v_or3_b32 v16, v10, v16, v5
.LBB395_1721:                           ;   in Loop: Header=BB395_1055 Depth=1
	s_or_b32 exec_lo, exec_lo, s15
.LBB395_1722:                           ;   in Loop: Header=BB395_1055 Depth=1
	s_or_b32 exec_lo, exec_lo, s13
.LBB395_1723:                           ;   in Loop: Header=BB395_1055 Depth=1
	s_or_b32 exec_lo, exec_lo, s12
	v_cmp_ne_u16_sdwa s4, v19, v11 src0_sel:BYTE_1 src1_sel:DWORD
	s_and_saveexec_b32 s12, s4
	s_cbranch_execz .LBB395_1731
; %bb.1724:                             ;   in Loop: Header=BB395_1055 Depth=1
	v_cmp_ne_u16_sdwa s4, v19, v68 src0_sel:BYTE_1 src1_sel:DWORD
	v_bfrev_b32_e32 v69, 1
	s_and_saveexec_b32 s13, s4
	s_cbranch_execz .LBB395_1730
; %bb.1725:                             ;   in Loop: Header=BB395_1055 Depth=1
	v_mov_b32_e32 v5, 0xffff
	v_mov_b32_e32 v69, 0x7f800001
	s_mov_b32 s15, exec_lo
	v_and_b32_sdwa v5, v5, v19 dst_sel:DWORD dst_unused:UNUSED_PAD src0_sel:DWORD src1_sel:BYTE_1
	v_and_b32_e32 v23, 0x7f, v5
	v_cmpx_ne_u32_e32 0x7f, v23
	s_cbranch_execz .LBB395_1729
; %bb.1726:                             ;   in Loop: Header=BB395_1055 Depth=1
	v_and_b32_e32 v10, 7, v5
	v_lshrrev_b32_e32 v5, 3, v23
	v_cmp_gt_u32_e64 s4, 8, v23
	v_mov_b32_e32 v24, v11
	v_mov_b32_e32 v23, v10
	s_and_saveexec_b32 s18, s4
; %bb.1727:                             ;   in Loop: Header=BB395_1055 Depth=1
	v_ffbh_u32_e32 v5, v10
	v_min_u32_e32 v5, 32, v5
	v_subrev_nc_u32_e32 v23, 28, v5
	v_sub_nc_u32_e32 v5, 29, v5
	v_lshlrev_b64 v[23:24], v23, v[10:11]
	v_and_b32_e32 v23, 7, v23
; %bb.1728:                             ;   in Loop: Header=BB395_1055 Depth=1
	s_or_b32 exec_lo, exec_lo, s18
	v_lshlrev_b32_e32 v10, 16, v19
	v_lshlrev_b32_e32 v23, 20, v23
	v_lshl_add_u32 v5, v5, 23, 0x3c000000
	v_and_b32_e32 v10, 0x80000000, v10
	v_or3_b32 v69, v23, v10, v5
.LBB395_1729:                           ;   in Loop: Header=BB395_1055 Depth=1
	s_or_b32 exec_lo, exec_lo, s15
.LBB395_1730:                           ;   in Loop: Header=BB395_1055 Depth=1
	s_or_b32 exec_lo, exec_lo, s13
.LBB395_1731:                           ;   in Loop: Header=BB395_1055 Depth=1
	s_or_b32 exec_lo, exec_lo, s12
	v_and_b32_sdwa v5, v19, v70 dst_sel:DWORD dst_unused:UNUSED_PAD src0_sel:WORD_1 src1_sel:DWORD
	v_mov_b32_e32 v80, 0
	v_mov_b32_e32 v71, 0
	s_mov_b32 s12, exec_lo
	v_cmpx_ne_u16_e32 0, v5
	s_cbranch_execz .LBB395_1739
; %bb.1732:                             ;   in Loop: Header=BB395_1055 Depth=1
	v_bfrev_b32_e32 v71, 1
	s_mov_b32 s13, exec_lo
	v_cmpx_ne_u16_e32 0x80, v5
	s_cbranch_execz .LBB395_1738
; %bb.1733:                             ;   in Loop: Header=BB395_1055 Depth=1
	v_bfe_u32 v23, v19, 16, 7
	v_mov_b32_e32 v71, 0x7f800001
	s_mov_b32 s15, exec_lo
	v_cmpx_ne_u32_e32 0x7f, v23
	s_cbranch_execz .LBB395_1737
; %bb.1734:                             ;   in Loop: Header=BB395_1055 Depth=1
	v_mov_b32_e32 v5, 7
	v_cmp_gt_u32_e64 s4, 8, v23
	v_and_b32_sdwa v10, v19, v5 dst_sel:DWORD dst_unused:UNUSED_PAD src0_sel:WORD_1 src1_sel:DWORD
	v_lshrrev_b32_e32 v5, 3, v23
	v_mov_b32_e32 v24, v11
	v_mov_b32_e32 v23, v10
	s_and_saveexec_b32 s18, s4
; %bb.1735:                             ;   in Loop: Header=BB395_1055 Depth=1
	v_ffbh_u32_e32 v5, v10
	v_min_u32_e32 v5, 32, v5
	v_subrev_nc_u32_e32 v23, 28, v5
	v_sub_nc_u32_e32 v5, 29, v5
	v_lshlrev_b64 v[23:24], v23, v[10:11]
	v_and_b32_e32 v23, 7, v23
; %bb.1736:                             ;   in Loop: Header=BB395_1055 Depth=1
	s_or_b32 exec_lo, exec_lo, s18
	v_mov_b32_e32 v10, 24
	v_lshlrev_b32_e32 v23, 20, v23
	v_lshl_add_u32 v5, v5, 23, 0x3c000000
	v_lshlrev_b32_sdwa v10, v10, v19 dst_sel:DWORD dst_unused:UNUSED_PAD src0_sel:DWORD src1_sel:WORD_1
	v_and_b32_e32 v10, 0x80000000, v10
	v_or3_b32 v71, v23, v10, v5
.LBB395_1737:                           ;   in Loop: Header=BB395_1055 Depth=1
	s_or_b32 exec_lo, exec_lo, s15
.LBB395_1738:                           ;   in Loop: Header=BB395_1055 Depth=1
	s_or_b32 exec_lo, exec_lo, s13
.LBB395_1739:                           ;   in Loop: Header=BB395_1055 Depth=1
	s_or_b32 exec_lo, exec_lo, s12
	s_mov_b32 s12, exec_lo
	v_cmpx_lt_u32_e32 0xffffff, v19
	s_cbranch_execz .LBB395_1747
; %bb.1740:                             ;   in Loop: Header=BB395_1055 Depth=1
	v_cmp_ne_u32_sdwa s4, v19, v68 src0_sel:BYTE_3 src1_sel:DWORD
	v_bfrev_b32_e32 v80, 1
	s_and_saveexec_b32 s13, s4
	s_cbranch_execz .LBB395_1746
; %bb.1741:                             ;   in Loop: Header=BB395_1055 Depth=1
	v_bfe_u32 v23, v19, 24, 7
	v_mov_b32_e32 v80, 0x7f800001
	s_mov_b32 s15, exec_lo
	v_cmpx_ne_u32_e32 0x7f, v23
	s_cbranch_execz .LBB395_1745
; %bb.1742:                             ;   in Loop: Header=BB395_1055 Depth=1
	v_mov_b32_e32 v5, 7
	v_cmp_gt_u32_e64 s4, 8, v23
	v_and_b32_sdwa v10, v19, v5 dst_sel:DWORD dst_unused:UNUSED_PAD src0_sel:BYTE_3 src1_sel:DWORD
	v_lshrrev_b32_e32 v5, 3, v23
	v_mov_b32_e32 v24, v11
	v_mov_b32_e32 v23, v10
	s_and_saveexec_b32 s18, s4
; %bb.1743:                             ;   in Loop: Header=BB395_1055 Depth=1
	v_ffbh_u32_e32 v5, v10
	v_min_u32_e32 v5, 32, v5
	v_subrev_nc_u32_e32 v23, 28, v5
	v_sub_nc_u32_e32 v5, 29, v5
	v_lshlrev_b64 v[23:24], v23, v[10:11]
	v_and_b32_e32 v23, 7, v23
; %bb.1744:                             ;   in Loop: Header=BB395_1055 Depth=1
	s_or_b32 exec_lo, exec_lo, s18
	v_mov_b32_e32 v10, 24
	v_lshlrev_b32_e32 v23, 20, v23
	v_lshl_add_u32 v5, v5, 23, 0x3c000000
	v_lshlrev_b32_sdwa v10, v10, v19 dst_sel:DWORD dst_unused:UNUSED_PAD src0_sel:DWORD src1_sel:BYTE_3
	v_and_b32_e32 v10, 0x80000000, v10
	v_or3_b32 v80, v23, v10, v5
.LBB395_1745:                           ;   in Loop: Header=BB395_1055 Depth=1
	s_or_b32 exec_lo, exec_lo, s15
.LBB395_1746:                           ;   in Loop: Header=BB395_1055 Depth=1
	s_or_b32 exec_lo, exec_lo, s13
.LBB395_1747:                           ;   in Loop: Header=BB395_1055 Depth=1
	s_or_b32 exec_lo, exec_lo, s12
	v_mov_b32_e32 v10, v20
	v_cmp_ne_u16_sdwa s4, v20, v11 src0_sel:BYTE_0 src1_sel:DWORD
	v_mov_b32_e32 v84, 0
	v_mov_b32_e32 v85, 0
	s_and_saveexec_b32 s12, s4
	s_cbranch_execz .LBB395_1755
; %bb.1748:                             ;   in Loop: Header=BB395_1055 Depth=1
	v_cmp_ne_u16_sdwa s4, v20, v68 src0_sel:BYTE_0 src1_sel:DWORD
	v_bfrev_b32_e32 v85, 1
	s_and_saveexec_b32 s13, s4
	s_cbranch_execz .LBB395_1754
; %bb.1749:                             ;   in Loop: Header=BB395_1055 Depth=1
	v_and_b32_e32 v23, 0x7f, v20
	v_mov_b32_e32 v85, 0x7f800001
	s_mov_b32 s15, exec_lo
	v_cmpx_ne_u32_e32 0x7f, v23
	s_cbranch_execz .LBB395_1753
; %bb.1750:                             ;   in Loop: Header=BB395_1055 Depth=1
	v_lshrrev_b32_e32 v5, 3, v23
	v_cmp_gt_u32_e64 s4, 8, v23
	v_mov_b32_e32 v24, v11
	v_mov_b32_e32 v23, v10
	s_and_saveexec_b32 s18, s4
; %bb.1751:                             ;   in Loop: Header=BB395_1055 Depth=1
	v_and_b32_e32 v5, 7, v20
	v_ffbh_u32_e32 v5, v5
	v_min_u32_e32 v5, 32, v5
	v_subrev_nc_u32_e32 v23, 28, v5
	v_sub_nc_u32_e32 v5, 29, v5
	v_lshlrev_b64 v[23:24], v23, v[10:11]
; %bb.1752:                             ;   in Loop: Header=BB395_1055 Depth=1
	s_or_b32 exec_lo, exec_lo, s18
	v_lshlrev_b32_e32 v23, 20, v23
	v_lshlrev_b32_e32 v24, 24, v10
	v_lshl_add_u32 v5, v5, 23, 0x3c000000
	v_and_b32_e32 v23, 0x700000, v23
	v_and_b32_e32 v24, 0x80000000, v24
	v_or3_b32 v85, v23, v24, v5
.LBB395_1753:                           ;   in Loop: Header=BB395_1055 Depth=1
	s_or_b32 exec_lo, exec_lo, s15
.LBB395_1754:                           ;   in Loop: Header=BB395_1055 Depth=1
	s_or_b32 exec_lo, exec_lo, s13
.LBB395_1755:                           ;   in Loop: Header=BB395_1055 Depth=1
	s_or_b32 exec_lo, exec_lo, s12
	v_cmp_ne_u16_sdwa s4, v10, v11 src0_sel:BYTE_1 src1_sel:DWORD
	s_and_saveexec_b32 s12, s4
	s_cbranch_execz .LBB395_1763
; %bb.1756:                             ;   in Loop: Header=BB395_1055 Depth=1
	v_cmp_ne_u16_sdwa s4, v10, v68 src0_sel:BYTE_1 src1_sel:DWORD
	v_bfrev_b32_e32 v84, 1
	s_and_saveexec_b32 s13, s4
	s_cbranch_execz .LBB395_1762
; %bb.1757:                             ;   in Loop: Header=BB395_1055 Depth=1
	v_mov_b32_e32 v5, 0xffff
	v_mov_b32_e32 v84, 0x7f800001
	s_mov_b32 s15, exec_lo
	v_and_b32_sdwa v5, v5, v10 dst_sel:DWORD dst_unused:UNUSED_PAD src0_sel:DWORD src1_sel:BYTE_1
	v_and_b32_e32 v34, 0x7f, v5
	v_cmpx_ne_u32_e32 0x7f, v34
	s_cbranch_execz .LBB395_1761
; %bb.1758:                             ;   in Loop: Header=BB395_1055 Depth=1
	v_and_b32_e32 v23, 7, v5
	v_mov_b32_e32 v24, v11
	v_lshrrev_b32_e32 v5, 3, v34
	s_mov_b32 s18, exec_lo
	v_cmpx_gt_u32_e32 8, v34
; %bb.1759:                             ;   in Loop: Header=BB395_1055 Depth=1
	v_ffbh_u32_e32 v5, v23
	v_min_u32_e32 v5, 32, v5
	v_subrev_nc_u32_e32 v34, 28, v5
	v_sub_nc_u32_e32 v5, 29, v5
	v_lshlrev_b64 v[23:24], v34, v[23:24]
	v_and_b32_e32 v23, 7, v23
; %bb.1760:                             ;   in Loop: Header=BB395_1055 Depth=1
	s_or_b32 exec_lo, exec_lo, s18
	v_lshlrev_b32_e32 v10, 16, v10
	v_lshlrev_b32_e32 v23, 20, v23
	v_lshl_add_u32 v5, v5, 23, 0x3c000000
	v_and_b32_e32 v10, 0x80000000, v10
	v_or3_b32 v84, v23, v10, v5
.LBB395_1761:                           ;   in Loop: Header=BB395_1055 Depth=1
	s_or_b32 exec_lo, exec_lo, s15
.LBB395_1762:                           ;   in Loop: Header=BB395_1055 Depth=1
	s_or_b32 exec_lo, exec_lo, s13
.LBB395_1763:                           ;   in Loop: Header=BB395_1055 Depth=1
	s_or_b32 exec_lo, exec_lo, s12
	v_and_b32_sdwa v10, v20, v70 dst_sel:DWORD dst_unused:UNUSED_PAD src0_sel:WORD_1 src1_sel:DWORD
	v_mov_b32_e32 v5, 0
	v_mov_b32_e32 v35, 0
	s_mov_b32 s12, exec_lo
	v_cmpx_ne_u16_e32 0, v10
	s_cbranch_execz .LBB395_1771
; %bb.1764:                             ;   in Loop: Header=BB395_1055 Depth=1
	v_bfrev_b32_e32 v35, 1
	s_mov_b32 s13, exec_lo
	v_cmpx_ne_u16_e32 0x80, v10
	s_cbranch_execz .LBB395_1770
; %bb.1765:                             ;   in Loop: Header=BB395_1055 Depth=1
	v_bfe_u32 v23, v20, 16, 7
	v_mov_b32_e32 v35, 0x7f800001
	s_mov_b32 s15, exec_lo
	v_cmpx_ne_u32_e32 0x7f, v23
	s_cbranch_execz .LBB395_1769
; %bb.1766:                             ;   in Loop: Header=BB395_1055 Depth=1
	v_mov_b32_e32 v10, 7
	v_lshrrev_b32_e32 v35, 3, v23
	v_cmp_gt_u32_e64 s4, 8, v23
	v_and_b32_sdwa v10, v20, v10 dst_sel:DWORD dst_unused:UNUSED_PAD src0_sel:WORD_1 src1_sel:DWORD
	v_mov_b32_e32 v24, v11
	v_mov_b32_e32 v23, v10
	s_and_saveexec_b32 s18, s4
; %bb.1767:                             ;   in Loop: Header=BB395_1055 Depth=1
	v_ffbh_u32_e32 v23, v10
	v_min_u32_e32 v34, 32, v23
	v_subrev_nc_u32_e32 v23, 28, v34
	v_sub_nc_u32_e32 v35, 29, v34
	v_lshlrev_b64 v[23:24], v23, v[10:11]
	v_and_b32_e32 v23, 7, v23
; %bb.1768:                             ;   in Loop: Header=BB395_1055 Depth=1
	s_or_b32 exec_lo, exec_lo, s18
	v_mov_b32_e32 v10, 24
	v_lshlrev_b32_e32 v23, 20, v23
	v_lshl_add_u32 v24, v35, 23, 0x3c000000
	v_lshlrev_b32_sdwa v10, v10, v20 dst_sel:DWORD dst_unused:UNUSED_PAD src0_sel:DWORD src1_sel:WORD_1
	v_and_b32_e32 v10, 0x80000000, v10
	v_or3_b32 v35, v23, v10, v24
.LBB395_1769:                           ;   in Loop: Header=BB395_1055 Depth=1
	s_or_b32 exec_lo, exec_lo, s15
.LBB395_1770:                           ;   in Loop: Header=BB395_1055 Depth=1
	s_or_b32 exec_lo, exec_lo, s13
.LBB395_1771:                           ;   in Loop: Header=BB395_1055 Depth=1
	s_or_b32 exec_lo, exec_lo, s12
	s_mov_b32 s12, exec_lo
	v_cmpx_lt_u64_e64 s[8:9], v[19:20]
	s_cbranch_execz .LBB395_1779
; %bb.1772:                             ;   in Loop: Header=BB395_1055 Depth=1
	v_cmp_ne_u32_sdwa s4, v20, v68 src0_sel:BYTE_3 src1_sel:DWORD
	v_bfrev_b32_e32 v5, 1
	s_and_saveexec_b32 s13, s4
	s_cbranch_execz .LBB395_1778
; %bb.1773:                             ;   in Loop: Header=BB395_1055 Depth=1
	v_bfe_u32 v19, v20, 24, 7
	v_mov_b32_e32 v5, 0x7f800001
	s_mov_b32 s15, exec_lo
	v_cmpx_ne_u32_e32 0x7f, v19
	s_cbranch_execz .LBB395_1777
; %bb.1774:                             ;   in Loop: Header=BB395_1055 Depth=1
	v_mov_b32_e32 v5, 7
	s_mov_b32 s18, exec_lo
	v_and_b32_sdwa v10, v20, v5 dst_sel:DWORD dst_unused:UNUSED_PAD src0_sel:BYTE_3 src1_sel:DWORD
	v_mov_b32_e32 v24, v11
	v_lshrrev_b32_e32 v5, 3, v19
	v_mov_b32_e32 v23, v10
	v_cmpx_gt_u32_e32 8, v19
; %bb.1775:                             ;   in Loop: Header=BB395_1055 Depth=1
	v_ffbh_u32_e32 v5, v10
	v_min_u32_e32 v5, 32, v5
	v_subrev_nc_u32_e32 v19, 28, v5
	v_sub_nc_u32_e32 v5, 29, v5
	v_lshlrev_b64 v[23:24], v19, v[10:11]
	v_and_b32_e32 v23, 7, v23
; %bb.1776:                             ;   in Loop: Header=BB395_1055 Depth=1
	s_or_b32 exec_lo, exec_lo, s18
	v_mov_b32_e32 v10, 24
	v_lshlrev_b32_e32 v19, 20, v23
	v_lshl_add_u32 v5, v5, 23, 0x3c000000
	v_lshlrev_b32_sdwa v10, v10, v20 dst_sel:DWORD dst_unused:UNUSED_PAD src0_sel:DWORD src1_sel:BYTE_3
	v_and_b32_e32 v10, 0x80000000, v10
	v_or3_b32 v5, v19, v10, v5
.LBB395_1777:                           ;   in Loop: Header=BB395_1055 Depth=1
	s_or_b32 exec_lo, exec_lo, s15
.LBB395_1778:                           ;   in Loop: Header=BB395_1055 Depth=1
	s_or_b32 exec_lo, exec_lo, s13
.LBB395_1779:                           ;   in Loop: Header=BB395_1055 Depth=1
	s_or_b32 exec_lo, exec_lo, s12
	v_mul_f32_e32 v10, v26, v84
	v_mul_f32_e32 v5, v26, v5
	v_bfe_u32 v19, v10, 16, 1
	v_or_b32_e32 v20, 0x400000, v10
	v_cmp_u_f32_e64 s4, v10, v10
	v_add3_u32 v19, v19, v10, 0x7fff
	v_cndmask_b32_e64 v10, v19, v20, s4
	v_lshrrev_b32_e32 v84, 16, v10
	v_mul_f32_e32 v10, v26, v85
	v_bfe_u32 v19, v10, 16, 1
	v_or_b32_e32 v20, 0x400000, v10
	v_cmp_u_f32_e64 s4, v10, v10
	v_add3_u32 v19, v19, v10, 0x7fff
	v_cndmask_b32_e64 v10, v19, v20, s4
	v_lshrrev_b32_e32 v85, 16, v10
	;; [unrolled: 7-line block ×6, first 2 shown]
	v_mul_f32_e32 v10, v26, v35
	v_bfe_u32 v16, v10, 16, 1
	v_or_b32_e32 v19, 0x400000, v10
	v_cmp_u_f32_e64 s4, v10, v10
	v_add3_u32 v16, v16, v10, 0x7fff
	v_cndmask_b32_e64 v10, v16, v19, s4
	v_or_b32_e32 v16, 0x400000, v5
	v_cmp_u_f32_e64 s4, v5, v5
	v_lshrrev_b32_e32 v96, 16, v10
	v_bfe_u32 v10, v5, 16, 1
	v_add3_u32 v10, v10, v5, 0x7fff
	v_cndmask_b32_e64 v5, v10, v16, s4
	v_lshrrev_b32_e32 v99, 16, v5
	s_and_saveexec_b32 s12, vcc_lo
	s_cbranch_execz .LBB395_1781
; %bb.1780:                             ;   in Loop: Header=BB395_1055 Depth=1
	v_cmp_lt_i32_e64 s4, v57, v36
	v_cndmask_b32_e64 v98, 0, v98, s4
	v_cmp_lt_i32_e64 s4, v63, v36
	v_cndmask_b32_e64 v97, 0, v97, s4
	;; [unrolled: 2-line block ×8, first 2 shown]
.LBB395_1781:                           ;   in Loop: Header=BB395_1055 Depth=1
	s_or_b32 exec_lo, exec_lo, s12
	flat_load_dwordx2 v[19:20], v[17:18] offset:768
	v_mov_b32_e32 v69, 0
	v_mov_b32_e32 v16, 0
	s_waitcnt vmcnt(0) lgkmcnt(0)
	v_cmp_ne_u16_sdwa s4, v19, v11 src0_sel:BYTE_0 src1_sel:DWORD
	s_and_saveexec_b32 s12, s4
	s_cbranch_execz .LBB395_1789
; %bb.1782:                             ;   in Loop: Header=BB395_1055 Depth=1
	v_cmp_ne_u16_sdwa s4, v19, v68 src0_sel:BYTE_0 src1_sel:DWORD
	v_bfrev_b32_e32 v16, 1
	s_and_saveexec_b32 s13, s4
	s_cbranch_execz .LBB395_1788
; %bb.1783:                             ;   in Loop: Header=BB395_1055 Depth=1
	v_and_b32_e32 v10, 0x7f, v19
	v_mov_b32_e32 v16, 0x7f800001
	s_mov_b32 s15, exec_lo
	v_cmpx_ne_u32_e32 0x7f, v10
	s_cbranch_execz .LBB395_1787
; %bb.1784:                             ;   in Loop: Header=BB395_1055 Depth=1
	v_mov_b32_e32 v24, v20
	v_lshrrev_b32_e32 v5, 3, v10
	v_mov_b32_e32 v23, v19
	s_mov_b32 s18, exec_lo
	v_cmpx_gt_u32_e32 8, v10
; %bb.1785:                             ;   in Loop: Header=BB395_1055 Depth=1
	v_and_b32_e32 v5, 7, v19
	v_ffbh_u32_e32 v5, v5
	v_min_u32_e32 v5, 32, v5
	v_subrev_nc_u32_e32 v10, 28, v5
	v_sub_nc_u32_e32 v5, 29, v5
	v_lshlrev_b64 v[23:24], v10, v[19:20]
; %bb.1786:                             ;   in Loop: Header=BB395_1055 Depth=1
	s_or_b32 exec_lo, exec_lo, s18
	v_lshlrev_b32_e32 v10, 20, v23
	v_lshlrev_b32_e32 v16, 24, v19
	v_lshl_add_u32 v5, v5, 23, 0x3c000000
	v_and_b32_e32 v10, 0x700000, v10
	v_and_b32_e32 v16, 0x80000000, v16
	v_or3_b32 v16, v10, v16, v5
.LBB395_1787:                           ;   in Loop: Header=BB395_1055 Depth=1
	s_or_b32 exec_lo, exec_lo, s15
.LBB395_1788:                           ;   in Loop: Header=BB395_1055 Depth=1
	s_or_b32 exec_lo, exec_lo, s13
.LBB395_1789:                           ;   in Loop: Header=BB395_1055 Depth=1
	s_or_b32 exec_lo, exec_lo, s12
	v_cmp_ne_u16_sdwa s4, v19, v11 src0_sel:BYTE_1 src1_sel:DWORD
	s_and_saveexec_b32 s12, s4
	s_cbranch_execz .LBB395_1797
; %bb.1790:                             ;   in Loop: Header=BB395_1055 Depth=1
	v_cmp_ne_u16_sdwa s4, v19, v68 src0_sel:BYTE_1 src1_sel:DWORD
	v_bfrev_b32_e32 v69, 1
	s_and_saveexec_b32 s13, s4
	s_cbranch_execz .LBB395_1796
; %bb.1791:                             ;   in Loop: Header=BB395_1055 Depth=1
	v_mov_b32_e32 v5, 0xffff
	v_mov_b32_e32 v69, 0x7f800001
	s_mov_b32 s15, exec_lo
	v_and_b32_sdwa v5, v5, v19 dst_sel:DWORD dst_unused:UNUSED_PAD src0_sel:DWORD src1_sel:BYTE_1
	v_and_b32_e32 v23, 0x7f, v5
	v_cmpx_ne_u32_e32 0x7f, v23
	s_cbranch_execz .LBB395_1795
; %bb.1792:                             ;   in Loop: Header=BB395_1055 Depth=1
	v_and_b32_e32 v10, 7, v5
	v_lshrrev_b32_e32 v5, 3, v23
	v_cmp_gt_u32_e64 s4, 8, v23
	v_mov_b32_e32 v24, v11
	v_mov_b32_e32 v23, v10
	s_and_saveexec_b32 s18, s4
; %bb.1793:                             ;   in Loop: Header=BB395_1055 Depth=1
	v_ffbh_u32_e32 v5, v10
	v_min_u32_e32 v5, 32, v5
	v_subrev_nc_u32_e32 v23, 28, v5
	v_sub_nc_u32_e32 v5, 29, v5
	v_lshlrev_b64 v[23:24], v23, v[10:11]
	v_and_b32_e32 v23, 7, v23
; %bb.1794:                             ;   in Loop: Header=BB395_1055 Depth=1
	s_or_b32 exec_lo, exec_lo, s18
	v_lshlrev_b32_e32 v10, 16, v19
	v_lshlrev_b32_e32 v23, 20, v23
	v_lshl_add_u32 v5, v5, 23, 0x3c000000
	v_and_b32_e32 v10, 0x80000000, v10
	v_or3_b32 v69, v23, v10, v5
.LBB395_1795:                           ;   in Loop: Header=BB395_1055 Depth=1
	s_or_b32 exec_lo, exec_lo, s15
.LBB395_1796:                           ;   in Loop: Header=BB395_1055 Depth=1
	s_or_b32 exec_lo, exec_lo, s13
.LBB395_1797:                           ;   in Loop: Header=BB395_1055 Depth=1
	s_or_b32 exec_lo, exec_lo, s12
	v_and_b32_sdwa v5, v19, v70 dst_sel:DWORD dst_unused:UNUSED_PAD src0_sel:WORD_1 src1_sel:DWORD
	v_mov_b32_e32 v80, 0
	v_mov_b32_e32 v71, 0
	s_mov_b32 s12, exec_lo
	v_cmpx_ne_u16_e32 0, v5
	s_cbranch_execz .LBB395_1805
; %bb.1798:                             ;   in Loop: Header=BB395_1055 Depth=1
	v_bfrev_b32_e32 v71, 1
	s_mov_b32 s13, exec_lo
	v_cmpx_ne_u16_e32 0x80, v5
	s_cbranch_execz .LBB395_1804
; %bb.1799:                             ;   in Loop: Header=BB395_1055 Depth=1
	v_bfe_u32 v23, v19, 16, 7
	v_mov_b32_e32 v71, 0x7f800001
	s_mov_b32 s15, exec_lo
	v_cmpx_ne_u32_e32 0x7f, v23
	s_cbranch_execz .LBB395_1803
; %bb.1800:                             ;   in Loop: Header=BB395_1055 Depth=1
	v_mov_b32_e32 v5, 7
	v_cmp_gt_u32_e64 s4, 8, v23
	v_and_b32_sdwa v10, v19, v5 dst_sel:DWORD dst_unused:UNUSED_PAD src0_sel:WORD_1 src1_sel:DWORD
	v_lshrrev_b32_e32 v5, 3, v23
	v_mov_b32_e32 v24, v11
	v_mov_b32_e32 v23, v10
	s_and_saveexec_b32 s18, s4
; %bb.1801:                             ;   in Loop: Header=BB395_1055 Depth=1
	v_ffbh_u32_e32 v5, v10
	v_min_u32_e32 v5, 32, v5
	v_subrev_nc_u32_e32 v23, 28, v5
	v_sub_nc_u32_e32 v5, 29, v5
	v_lshlrev_b64 v[23:24], v23, v[10:11]
	v_and_b32_e32 v23, 7, v23
; %bb.1802:                             ;   in Loop: Header=BB395_1055 Depth=1
	s_or_b32 exec_lo, exec_lo, s18
	v_mov_b32_e32 v10, 24
	v_lshlrev_b32_e32 v23, 20, v23
	v_lshl_add_u32 v5, v5, 23, 0x3c000000
	v_lshlrev_b32_sdwa v10, v10, v19 dst_sel:DWORD dst_unused:UNUSED_PAD src0_sel:DWORD src1_sel:WORD_1
	v_and_b32_e32 v10, 0x80000000, v10
	v_or3_b32 v71, v23, v10, v5
.LBB395_1803:                           ;   in Loop: Header=BB395_1055 Depth=1
	s_or_b32 exec_lo, exec_lo, s15
.LBB395_1804:                           ;   in Loop: Header=BB395_1055 Depth=1
	s_or_b32 exec_lo, exec_lo, s13
.LBB395_1805:                           ;   in Loop: Header=BB395_1055 Depth=1
	s_or_b32 exec_lo, exec_lo, s12
	s_mov_b32 s12, exec_lo
	v_cmpx_lt_u32_e32 0xffffff, v19
	s_cbranch_execz .LBB395_1813
; %bb.1806:                             ;   in Loop: Header=BB395_1055 Depth=1
	v_cmp_ne_u32_sdwa s4, v19, v68 src0_sel:BYTE_3 src1_sel:DWORD
	v_bfrev_b32_e32 v80, 1
	s_and_saveexec_b32 s13, s4
	s_cbranch_execz .LBB395_1812
; %bb.1807:                             ;   in Loop: Header=BB395_1055 Depth=1
	v_bfe_u32 v23, v19, 24, 7
	v_mov_b32_e32 v80, 0x7f800001
	s_mov_b32 s15, exec_lo
	v_cmpx_ne_u32_e32 0x7f, v23
	s_cbranch_execz .LBB395_1811
; %bb.1808:                             ;   in Loop: Header=BB395_1055 Depth=1
	v_mov_b32_e32 v5, 7
	v_cmp_gt_u32_e64 s4, 8, v23
	v_and_b32_sdwa v10, v19, v5 dst_sel:DWORD dst_unused:UNUSED_PAD src0_sel:BYTE_3 src1_sel:DWORD
	v_lshrrev_b32_e32 v5, 3, v23
	v_mov_b32_e32 v24, v11
	v_mov_b32_e32 v23, v10
	s_and_saveexec_b32 s18, s4
; %bb.1809:                             ;   in Loop: Header=BB395_1055 Depth=1
	v_ffbh_u32_e32 v5, v10
	v_min_u32_e32 v5, 32, v5
	v_subrev_nc_u32_e32 v23, 28, v5
	v_sub_nc_u32_e32 v5, 29, v5
	v_lshlrev_b64 v[23:24], v23, v[10:11]
	v_and_b32_e32 v23, 7, v23
; %bb.1810:                             ;   in Loop: Header=BB395_1055 Depth=1
	s_or_b32 exec_lo, exec_lo, s18
	v_mov_b32_e32 v10, 24
	v_lshlrev_b32_e32 v23, 20, v23
	v_lshl_add_u32 v5, v5, 23, 0x3c000000
	v_lshlrev_b32_sdwa v10, v10, v19 dst_sel:DWORD dst_unused:UNUSED_PAD src0_sel:DWORD src1_sel:BYTE_3
	v_and_b32_e32 v10, 0x80000000, v10
	v_or3_b32 v80, v23, v10, v5
.LBB395_1811:                           ;   in Loop: Header=BB395_1055 Depth=1
	s_or_b32 exec_lo, exec_lo, s15
.LBB395_1812:                           ;   in Loop: Header=BB395_1055 Depth=1
	s_or_b32 exec_lo, exec_lo, s13
.LBB395_1813:                           ;   in Loop: Header=BB395_1055 Depth=1
	s_or_b32 exec_lo, exec_lo, s12
	v_mov_b32_e32 v10, v20
	v_cmp_ne_u16_sdwa s4, v20, v11 src0_sel:BYTE_0 src1_sel:DWORD
	v_mov_b32_e32 v100, 0
	v_mov_b32_e32 v101, 0
	s_and_saveexec_b32 s12, s4
	s_cbranch_execz .LBB395_1821
; %bb.1814:                             ;   in Loop: Header=BB395_1055 Depth=1
	v_cmp_ne_u16_sdwa s4, v20, v68 src0_sel:BYTE_0 src1_sel:DWORD
	v_bfrev_b32_e32 v101, 1
	s_and_saveexec_b32 s13, s4
	s_cbranch_execz .LBB395_1820
; %bb.1815:                             ;   in Loop: Header=BB395_1055 Depth=1
	v_and_b32_e32 v23, 0x7f, v20
	v_mov_b32_e32 v101, 0x7f800001
	s_mov_b32 s15, exec_lo
	v_cmpx_ne_u32_e32 0x7f, v23
	s_cbranch_execz .LBB395_1819
; %bb.1816:                             ;   in Loop: Header=BB395_1055 Depth=1
	v_lshrrev_b32_e32 v5, 3, v23
	v_cmp_gt_u32_e64 s4, 8, v23
	v_mov_b32_e32 v24, v11
	v_mov_b32_e32 v23, v10
	s_and_saveexec_b32 s18, s4
; %bb.1817:                             ;   in Loop: Header=BB395_1055 Depth=1
	v_and_b32_e32 v5, 7, v20
	v_ffbh_u32_e32 v5, v5
	v_min_u32_e32 v5, 32, v5
	v_subrev_nc_u32_e32 v23, 28, v5
	v_sub_nc_u32_e32 v5, 29, v5
	v_lshlrev_b64 v[23:24], v23, v[10:11]
; %bb.1818:                             ;   in Loop: Header=BB395_1055 Depth=1
	s_or_b32 exec_lo, exec_lo, s18
	v_lshlrev_b32_e32 v23, 20, v23
	v_lshlrev_b32_e32 v24, 24, v10
	v_lshl_add_u32 v5, v5, 23, 0x3c000000
	v_and_b32_e32 v23, 0x700000, v23
	v_and_b32_e32 v24, 0x80000000, v24
	v_or3_b32 v101, v23, v24, v5
.LBB395_1819:                           ;   in Loop: Header=BB395_1055 Depth=1
	s_or_b32 exec_lo, exec_lo, s15
.LBB395_1820:                           ;   in Loop: Header=BB395_1055 Depth=1
	s_or_b32 exec_lo, exec_lo, s13
.LBB395_1821:                           ;   in Loop: Header=BB395_1055 Depth=1
	s_or_b32 exec_lo, exec_lo, s12
	v_cmp_ne_u16_sdwa s4, v10, v11 src0_sel:BYTE_1 src1_sel:DWORD
	s_and_saveexec_b32 s12, s4
	s_cbranch_execz .LBB395_1829
; %bb.1822:                             ;   in Loop: Header=BB395_1055 Depth=1
	v_cmp_ne_u16_sdwa s4, v10, v68 src0_sel:BYTE_1 src1_sel:DWORD
	v_bfrev_b32_e32 v100, 1
	s_and_saveexec_b32 s13, s4
	s_cbranch_execz .LBB395_1828
; %bb.1823:                             ;   in Loop: Header=BB395_1055 Depth=1
	v_mov_b32_e32 v5, 0xffff
	v_mov_b32_e32 v100, 0x7f800001
	s_mov_b32 s15, exec_lo
	v_and_b32_sdwa v5, v5, v10 dst_sel:DWORD dst_unused:UNUSED_PAD src0_sel:DWORD src1_sel:BYTE_1
	v_and_b32_e32 v34, 0x7f, v5
	v_cmpx_ne_u32_e32 0x7f, v34
	s_cbranch_execz .LBB395_1827
; %bb.1824:                             ;   in Loop: Header=BB395_1055 Depth=1
	v_and_b32_e32 v23, 7, v5
	v_mov_b32_e32 v24, v11
	v_lshrrev_b32_e32 v5, 3, v34
	s_mov_b32 s18, exec_lo
	v_cmpx_gt_u32_e32 8, v34
; %bb.1825:                             ;   in Loop: Header=BB395_1055 Depth=1
	v_ffbh_u32_e32 v5, v23
	v_min_u32_e32 v5, 32, v5
	v_subrev_nc_u32_e32 v34, 28, v5
	v_sub_nc_u32_e32 v5, 29, v5
	v_lshlrev_b64 v[23:24], v34, v[23:24]
	v_and_b32_e32 v23, 7, v23
; %bb.1826:                             ;   in Loop: Header=BB395_1055 Depth=1
	s_or_b32 exec_lo, exec_lo, s18
	v_lshlrev_b32_e32 v10, 16, v10
	v_lshlrev_b32_e32 v23, 20, v23
	v_lshl_add_u32 v5, v5, 23, 0x3c000000
	v_and_b32_e32 v10, 0x80000000, v10
	v_or3_b32 v100, v23, v10, v5
.LBB395_1827:                           ;   in Loop: Header=BB395_1055 Depth=1
	s_or_b32 exec_lo, exec_lo, s15
.LBB395_1828:                           ;   in Loop: Header=BB395_1055 Depth=1
	s_or_b32 exec_lo, exec_lo, s13
.LBB395_1829:                           ;   in Loop: Header=BB395_1055 Depth=1
	s_or_b32 exec_lo, exec_lo, s12
	v_and_b32_sdwa v10, v20, v70 dst_sel:DWORD dst_unused:UNUSED_PAD src0_sel:WORD_1 src1_sel:DWORD
	v_mov_b32_e32 v5, 0
	v_mov_b32_e32 v35, 0
	s_mov_b32 s12, exec_lo
	v_cmpx_ne_u16_e32 0, v10
	s_cbranch_execz .LBB395_1837
; %bb.1830:                             ;   in Loop: Header=BB395_1055 Depth=1
	v_bfrev_b32_e32 v35, 1
	s_mov_b32 s13, exec_lo
	v_cmpx_ne_u16_e32 0x80, v10
	s_cbranch_execz .LBB395_1836
; %bb.1831:                             ;   in Loop: Header=BB395_1055 Depth=1
	v_bfe_u32 v23, v20, 16, 7
	v_mov_b32_e32 v35, 0x7f800001
	s_mov_b32 s15, exec_lo
	v_cmpx_ne_u32_e32 0x7f, v23
	s_cbranch_execz .LBB395_1835
; %bb.1832:                             ;   in Loop: Header=BB395_1055 Depth=1
	v_mov_b32_e32 v10, 7
	v_lshrrev_b32_e32 v35, 3, v23
	v_cmp_gt_u32_e64 s4, 8, v23
	v_and_b32_sdwa v10, v20, v10 dst_sel:DWORD dst_unused:UNUSED_PAD src0_sel:WORD_1 src1_sel:DWORD
	v_mov_b32_e32 v24, v11
	v_mov_b32_e32 v23, v10
	s_and_saveexec_b32 s18, s4
; %bb.1833:                             ;   in Loop: Header=BB395_1055 Depth=1
	v_ffbh_u32_e32 v23, v10
	v_min_u32_e32 v34, 32, v23
	v_subrev_nc_u32_e32 v23, 28, v34
	v_sub_nc_u32_e32 v35, 29, v34
	v_lshlrev_b64 v[23:24], v23, v[10:11]
	v_and_b32_e32 v23, 7, v23
; %bb.1834:                             ;   in Loop: Header=BB395_1055 Depth=1
	s_or_b32 exec_lo, exec_lo, s18
	v_mov_b32_e32 v10, 24
	v_lshlrev_b32_e32 v23, 20, v23
	v_lshl_add_u32 v24, v35, 23, 0x3c000000
	v_lshlrev_b32_sdwa v10, v10, v20 dst_sel:DWORD dst_unused:UNUSED_PAD src0_sel:DWORD src1_sel:WORD_1
	v_and_b32_e32 v10, 0x80000000, v10
	v_or3_b32 v35, v23, v10, v24
.LBB395_1835:                           ;   in Loop: Header=BB395_1055 Depth=1
	s_or_b32 exec_lo, exec_lo, s15
.LBB395_1836:                           ;   in Loop: Header=BB395_1055 Depth=1
	s_or_b32 exec_lo, exec_lo, s13
.LBB395_1837:                           ;   in Loop: Header=BB395_1055 Depth=1
	s_or_b32 exec_lo, exec_lo, s12
	s_mov_b32 s12, exec_lo
	v_cmpx_lt_u64_e64 s[8:9], v[19:20]
	s_cbranch_execz .LBB395_1845
; %bb.1838:                             ;   in Loop: Header=BB395_1055 Depth=1
	v_cmp_ne_u32_sdwa s4, v20, v68 src0_sel:BYTE_3 src1_sel:DWORD
	v_bfrev_b32_e32 v5, 1
	s_and_saveexec_b32 s13, s4
	s_cbranch_execz .LBB395_1844
; %bb.1839:                             ;   in Loop: Header=BB395_1055 Depth=1
	v_bfe_u32 v19, v20, 24, 7
	v_mov_b32_e32 v5, 0x7f800001
	s_mov_b32 s15, exec_lo
	v_cmpx_ne_u32_e32 0x7f, v19
	s_cbranch_execz .LBB395_1843
; %bb.1840:                             ;   in Loop: Header=BB395_1055 Depth=1
	v_mov_b32_e32 v5, 7
	s_mov_b32 s18, exec_lo
	v_and_b32_sdwa v10, v20, v5 dst_sel:DWORD dst_unused:UNUSED_PAD src0_sel:BYTE_3 src1_sel:DWORD
	v_mov_b32_e32 v24, v11
	v_lshrrev_b32_e32 v5, 3, v19
	v_mov_b32_e32 v23, v10
	v_cmpx_gt_u32_e32 8, v19
; %bb.1841:                             ;   in Loop: Header=BB395_1055 Depth=1
	v_ffbh_u32_e32 v5, v10
	v_min_u32_e32 v5, 32, v5
	v_subrev_nc_u32_e32 v19, 28, v5
	v_sub_nc_u32_e32 v5, 29, v5
	v_lshlrev_b64 v[23:24], v19, v[10:11]
	v_and_b32_e32 v23, 7, v23
; %bb.1842:                             ;   in Loop: Header=BB395_1055 Depth=1
	s_or_b32 exec_lo, exec_lo, s18
	v_mov_b32_e32 v10, 24
	v_lshlrev_b32_e32 v19, 20, v23
	v_lshl_add_u32 v5, v5, 23, 0x3c000000
	v_lshlrev_b32_sdwa v10, v10, v20 dst_sel:DWORD dst_unused:UNUSED_PAD src0_sel:DWORD src1_sel:BYTE_3
	v_and_b32_e32 v10, 0x80000000, v10
	v_or3_b32 v5, v19, v10, v5
.LBB395_1843:                           ;   in Loop: Header=BB395_1055 Depth=1
	s_or_b32 exec_lo, exec_lo, s15
.LBB395_1844:                           ;   in Loop: Header=BB395_1055 Depth=1
	s_or_b32 exec_lo, exec_lo, s13
.LBB395_1845:                           ;   in Loop: Header=BB395_1055 Depth=1
	s_or_b32 exec_lo, exec_lo, s12
	v_mul_f32_e32 v10, v26, v100
	v_mul_f32_e32 v5, v26, v5
	v_bfe_u32 v19, v10, 16, 1
	v_or_b32_e32 v20, 0x400000, v10
	v_cmp_u_f32_e64 s4, v10, v10
	v_add3_u32 v19, v19, v10, 0x7fff
	v_cndmask_b32_e64 v10, v19, v20, s4
	v_lshrrev_b32_e32 v100, 16, v10
	v_mul_f32_e32 v10, v26, v101
	v_bfe_u32 v19, v10, 16, 1
	v_or_b32_e32 v20, 0x400000, v10
	v_cmp_u_f32_e64 s4, v10, v10
	v_add3_u32 v19, v19, v10, 0x7fff
	v_cndmask_b32_e64 v10, v19, v20, s4
	v_lshrrev_b32_e32 v101, 16, v10
	;; [unrolled: 7-line block ×6, first 2 shown]
	v_mul_f32_e32 v10, v26, v35
	v_bfe_u32 v16, v10, 16, 1
	v_or_b32_e32 v19, 0x400000, v10
	v_cmp_u_f32_e64 s4, v10, v10
	v_add3_u32 v16, v16, v10, 0x7fff
	v_cndmask_b32_e64 v10, v16, v19, s4
	v_or_b32_e32 v16, 0x400000, v5
	v_cmp_u_f32_e64 s4, v5, v5
	v_lshrrev_b32_e32 v112, 16, v10
	v_bfe_u32 v10, v5, 16, 1
	v_add3_u32 v10, v10, v5, 0x7fff
	v_cndmask_b32_e64 v5, v10, v16, s4
	v_lshrrev_b32_e32 v115, 16, v5
	s_and_saveexec_b32 s12, vcc_lo
	s_cbranch_execz .LBB395_1847
; %bb.1846:                             ;   in Loop: Header=BB395_1055 Depth=1
	v_cmp_lt_i32_e64 s4, v57, v36
	v_cndmask_b32_e64 v114, 0, v114, s4
	v_cmp_lt_i32_e64 s4, v63, v36
	v_cndmask_b32_e64 v113, 0, v113, s4
	;; [unrolled: 2-line block ×8, first 2 shown]
.LBB395_1847:                           ;   in Loop: Header=BB395_1055 Depth=1
	s_or_b32 exec_lo, exec_lo, s12
	flat_load_dwordx2 v[19:20], v[17:18] offset:1024
	v_mov_b32_e32 v69, 0
	v_mov_b32_e32 v16, 0
	s_waitcnt vmcnt(0) lgkmcnt(0)
	v_cmp_ne_u16_sdwa s4, v19, v11 src0_sel:BYTE_0 src1_sel:DWORD
	s_and_saveexec_b32 s12, s4
	s_cbranch_execz .LBB395_1855
; %bb.1848:                             ;   in Loop: Header=BB395_1055 Depth=1
	v_cmp_ne_u16_sdwa s4, v19, v68 src0_sel:BYTE_0 src1_sel:DWORD
	v_bfrev_b32_e32 v16, 1
	s_and_saveexec_b32 s13, s4
	s_cbranch_execz .LBB395_1854
; %bb.1849:                             ;   in Loop: Header=BB395_1055 Depth=1
	v_and_b32_e32 v10, 0x7f, v19
	v_mov_b32_e32 v16, 0x7f800001
	s_mov_b32 s15, exec_lo
	v_cmpx_ne_u32_e32 0x7f, v10
	s_cbranch_execz .LBB395_1853
; %bb.1850:                             ;   in Loop: Header=BB395_1055 Depth=1
	v_mov_b32_e32 v24, v20
	v_lshrrev_b32_e32 v5, 3, v10
	v_mov_b32_e32 v23, v19
	s_mov_b32 s18, exec_lo
	v_cmpx_gt_u32_e32 8, v10
; %bb.1851:                             ;   in Loop: Header=BB395_1055 Depth=1
	v_and_b32_e32 v5, 7, v19
	v_ffbh_u32_e32 v5, v5
	v_min_u32_e32 v5, 32, v5
	v_subrev_nc_u32_e32 v10, 28, v5
	v_sub_nc_u32_e32 v5, 29, v5
	v_lshlrev_b64 v[23:24], v10, v[19:20]
; %bb.1852:                             ;   in Loop: Header=BB395_1055 Depth=1
	s_or_b32 exec_lo, exec_lo, s18
	v_lshlrev_b32_e32 v10, 20, v23
	v_lshlrev_b32_e32 v16, 24, v19
	v_lshl_add_u32 v5, v5, 23, 0x3c000000
	v_and_b32_e32 v10, 0x700000, v10
	v_and_b32_e32 v16, 0x80000000, v16
	v_or3_b32 v16, v10, v16, v5
.LBB395_1853:                           ;   in Loop: Header=BB395_1055 Depth=1
	s_or_b32 exec_lo, exec_lo, s15
.LBB395_1854:                           ;   in Loop: Header=BB395_1055 Depth=1
	s_or_b32 exec_lo, exec_lo, s13
.LBB395_1855:                           ;   in Loop: Header=BB395_1055 Depth=1
	s_or_b32 exec_lo, exec_lo, s12
	v_cmp_ne_u16_sdwa s4, v19, v11 src0_sel:BYTE_1 src1_sel:DWORD
	s_and_saveexec_b32 s12, s4
	s_cbranch_execz .LBB395_1863
; %bb.1856:                             ;   in Loop: Header=BB395_1055 Depth=1
	v_cmp_ne_u16_sdwa s4, v19, v68 src0_sel:BYTE_1 src1_sel:DWORD
	v_bfrev_b32_e32 v69, 1
	s_and_saveexec_b32 s13, s4
	s_cbranch_execz .LBB395_1862
; %bb.1857:                             ;   in Loop: Header=BB395_1055 Depth=1
	v_mov_b32_e32 v5, 0xffff
	v_mov_b32_e32 v69, 0x7f800001
	s_mov_b32 s15, exec_lo
	v_and_b32_sdwa v5, v5, v19 dst_sel:DWORD dst_unused:UNUSED_PAD src0_sel:DWORD src1_sel:BYTE_1
	v_and_b32_e32 v23, 0x7f, v5
	v_cmpx_ne_u32_e32 0x7f, v23
	s_cbranch_execz .LBB395_1861
; %bb.1858:                             ;   in Loop: Header=BB395_1055 Depth=1
	v_and_b32_e32 v10, 7, v5
	v_lshrrev_b32_e32 v5, 3, v23
	v_cmp_gt_u32_e64 s4, 8, v23
	v_mov_b32_e32 v24, v11
	v_mov_b32_e32 v23, v10
	s_and_saveexec_b32 s18, s4
; %bb.1859:                             ;   in Loop: Header=BB395_1055 Depth=1
	v_ffbh_u32_e32 v5, v10
	v_min_u32_e32 v5, 32, v5
	v_subrev_nc_u32_e32 v23, 28, v5
	v_sub_nc_u32_e32 v5, 29, v5
	v_lshlrev_b64 v[23:24], v23, v[10:11]
	v_and_b32_e32 v23, 7, v23
; %bb.1860:                             ;   in Loop: Header=BB395_1055 Depth=1
	s_or_b32 exec_lo, exec_lo, s18
	v_lshlrev_b32_e32 v10, 16, v19
	v_lshlrev_b32_e32 v23, 20, v23
	v_lshl_add_u32 v5, v5, 23, 0x3c000000
	v_and_b32_e32 v10, 0x80000000, v10
	v_or3_b32 v69, v23, v10, v5
.LBB395_1861:                           ;   in Loop: Header=BB395_1055 Depth=1
	s_or_b32 exec_lo, exec_lo, s15
.LBB395_1862:                           ;   in Loop: Header=BB395_1055 Depth=1
	s_or_b32 exec_lo, exec_lo, s13
.LBB395_1863:                           ;   in Loop: Header=BB395_1055 Depth=1
	s_or_b32 exec_lo, exec_lo, s12
	v_and_b32_sdwa v5, v19, v70 dst_sel:DWORD dst_unused:UNUSED_PAD src0_sel:WORD_1 src1_sel:DWORD
	v_mov_b32_e32 v80, 0
	v_mov_b32_e32 v71, 0
	s_mov_b32 s12, exec_lo
	v_cmpx_ne_u16_e32 0, v5
	s_cbranch_execz .LBB395_1871
; %bb.1864:                             ;   in Loop: Header=BB395_1055 Depth=1
	v_bfrev_b32_e32 v71, 1
	s_mov_b32 s13, exec_lo
	v_cmpx_ne_u16_e32 0x80, v5
	s_cbranch_execz .LBB395_1870
; %bb.1865:                             ;   in Loop: Header=BB395_1055 Depth=1
	v_bfe_u32 v23, v19, 16, 7
	v_mov_b32_e32 v71, 0x7f800001
	s_mov_b32 s15, exec_lo
	v_cmpx_ne_u32_e32 0x7f, v23
	s_cbranch_execz .LBB395_1869
; %bb.1866:                             ;   in Loop: Header=BB395_1055 Depth=1
	v_mov_b32_e32 v5, 7
	v_cmp_gt_u32_e64 s4, 8, v23
	v_and_b32_sdwa v10, v19, v5 dst_sel:DWORD dst_unused:UNUSED_PAD src0_sel:WORD_1 src1_sel:DWORD
	v_lshrrev_b32_e32 v5, 3, v23
	v_mov_b32_e32 v24, v11
	v_mov_b32_e32 v23, v10
	s_and_saveexec_b32 s18, s4
; %bb.1867:                             ;   in Loop: Header=BB395_1055 Depth=1
	v_ffbh_u32_e32 v5, v10
	v_min_u32_e32 v5, 32, v5
	v_subrev_nc_u32_e32 v23, 28, v5
	v_sub_nc_u32_e32 v5, 29, v5
	v_lshlrev_b64 v[23:24], v23, v[10:11]
	v_and_b32_e32 v23, 7, v23
; %bb.1868:                             ;   in Loop: Header=BB395_1055 Depth=1
	s_or_b32 exec_lo, exec_lo, s18
	v_mov_b32_e32 v10, 24
	v_lshlrev_b32_e32 v23, 20, v23
	v_lshl_add_u32 v5, v5, 23, 0x3c000000
	v_lshlrev_b32_sdwa v10, v10, v19 dst_sel:DWORD dst_unused:UNUSED_PAD src0_sel:DWORD src1_sel:WORD_1
	v_and_b32_e32 v10, 0x80000000, v10
	v_or3_b32 v71, v23, v10, v5
.LBB395_1869:                           ;   in Loop: Header=BB395_1055 Depth=1
	s_or_b32 exec_lo, exec_lo, s15
.LBB395_1870:                           ;   in Loop: Header=BB395_1055 Depth=1
	s_or_b32 exec_lo, exec_lo, s13
.LBB395_1871:                           ;   in Loop: Header=BB395_1055 Depth=1
	s_or_b32 exec_lo, exec_lo, s12
	s_mov_b32 s12, exec_lo
	v_cmpx_lt_u32_e32 0xffffff, v19
	s_cbranch_execz .LBB395_1879
; %bb.1872:                             ;   in Loop: Header=BB395_1055 Depth=1
	v_cmp_ne_u32_sdwa s4, v19, v68 src0_sel:BYTE_3 src1_sel:DWORD
	v_bfrev_b32_e32 v80, 1
	s_and_saveexec_b32 s13, s4
	s_cbranch_execz .LBB395_1878
; %bb.1873:                             ;   in Loop: Header=BB395_1055 Depth=1
	v_bfe_u32 v23, v19, 24, 7
	v_mov_b32_e32 v80, 0x7f800001
	s_mov_b32 s15, exec_lo
	v_cmpx_ne_u32_e32 0x7f, v23
	s_cbranch_execz .LBB395_1877
; %bb.1874:                             ;   in Loop: Header=BB395_1055 Depth=1
	v_mov_b32_e32 v5, 7
	v_cmp_gt_u32_e64 s4, 8, v23
	v_and_b32_sdwa v10, v19, v5 dst_sel:DWORD dst_unused:UNUSED_PAD src0_sel:BYTE_3 src1_sel:DWORD
	v_lshrrev_b32_e32 v5, 3, v23
	v_mov_b32_e32 v24, v11
	v_mov_b32_e32 v23, v10
	s_and_saveexec_b32 s18, s4
; %bb.1875:                             ;   in Loop: Header=BB395_1055 Depth=1
	v_ffbh_u32_e32 v5, v10
	v_min_u32_e32 v5, 32, v5
	v_subrev_nc_u32_e32 v23, 28, v5
	v_sub_nc_u32_e32 v5, 29, v5
	v_lshlrev_b64 v[23:24], v23, v[10:11]
	v_and_b32_e32 v23, 7, v23
; %bb.1876:                             ;   in Loop: Header=BB395_1055 Depth=1
	s_or_b32 exec_lo, exec_lo, s18
	v_mov_b32_e32 v10, 24
	v_lshlrev_b32_e32 v23, 20, v23
	v_lshl_add_u32 v5, v5, 23, 0x3c000000
	v_lshlrev_b32_sdwa v10, v10, v19 dst_sel:DWORD dst_unused:UNUSED_PAD src0_sel:DWORD src1_sel:BYTE_3
	v_and_b32_e32 v10, 0x80000000, v10
	v_or3_b32 v80, v23, v10, v5
.LBB395_1877:                           ;   in Loop: Header=BB395_1055 Depth=1
	s_or_b32 exec_lo, exec_lo, s15
.LBB395_1878:                           ;   in Loop: Header=BB395_1055 Depth=1
	s_or_b32 exec_lo, exec_lo, s13
.LBB395_1879:                           ;   in Loop: Header=BB395_1055 Depth=1
	s_or_b32 exec_lo, exec_lo, s12
	v_mov_b32_e32 v10, v20
	v_cmp_ne_u16_sdwa s4, v20, v11 src0_sel:BYTE_0 src1_sel:DWORD
	v_mov_b32_e32 v117, 0
	v_mov_b32_e32 v116, 0
	s_and_saveexec_b32 s12, s4
	s_cbranch_execz .LBB395_1887
; %bb.1880:                             ;   in Loop: Header=BB395_1055 Depth=1
	v_cmp_ne_u16_sdwa s4, v20, v68 src0_sel:BYTE_0 src1_sel:DWORD
	v_bfrev_b32_e32 v116, 1
	s_and_saveexec_b32 s13, s4
	s_cbranch_execz .LBB395_1886
; %bb.1881:                             ;   in Loop: Header=BB395_1055 Depth=1
	v_and_b32_e32 v23, 0x7f, v20
	v_mov_b32_e32 v116, 0x7f800001
	s_mov_b32 s15, exec_lo
	v_cmpx_ne_u32_e32 0x7f, v23
	s_cbranch_execz .LBB395_1885
; %bb.1882:                             ;   in Loop: Header=BB395_1055 Depth=1
	v_lshrrev_b32_e32 v5, 3, v23
	v_cmp_gt_u32_e64 s4, 8, v23
	v_mov_b32_e32 v24, v11
	v_mov_b32_e32 v23, v10
	s_and_saveexec_b32 s18, s4
; %bb.1883:                             ;   in Loop: Header=BB395_1055 Depth=1
	v_and_b32_e32 v5, 7, v20
	v_ffbh_u32_e32 v5, v5
	v_min_u32_e32 v5, 32, v5
	v_subrev_nc_u32_e32 v23, 28, v5
	v_sub_nc_u32_e32 v5, 29, v5
	v_lshlrev_b64 v[23:24], v23, v[10:11]
; %bb.1884:                             ;   in Loop: Header=BB395_1055 Depth=1
	s_or_b32 exec_lo, exec_lo, s18
	v_lshlrev_b32_e32 v23, 20, v23
	v_lshlrev_b32_e32 v24, 24, v10
	v_lshl_add_u32 v5, v5, 23, 0x3c000000
	v_and_b32_e32 v23, 0x700000, v23
	v_and_b32_e32 v24, 0x80000000, v24
	v_or3_b32 v116, v23, v24, v5
.LBB395_1885:                           ;   in Loop: Header=BB395_1055 Depth=1
	s_or_b32 exec_lo, exec_lo, s15
.LBB395_1886:                           ;   in Loop: Header=BB395_1055 Depth=1
	s_or_b32 exec_lo, exec_lo, s13
.LBB395_1887:                           ;   in Loop: Header=BB395_1055 Depth=1
	s_or_b32 exec_lo, exec_lo, s12
	v_cmp_ne_u16_sdwa s4, v10, v11 src0_sel:BYTE_1 src1_sel:DWORD
	s_and_saveexec_b32 s12, s4
	s_cbranch_execz .LBB395_1895
; %bb.1888:                             ;   in Loop: Header=BB395_1055 Depth=1
	v_cmp_ne_u16_sdwa s4, v10, v68 src0_sel:BYTE_1 src1_sel:DWORD
	v_bfrev_b32_e32 v117, 1
	s_and_saveexec_b32 s13, s4
	s_cbranch_execz .LBB395_1894
; %bb.1889:                             ;   in Loop: Header=BB395_1055 Depth=1
	v_mov_b32_e32 v5, 0xffff
	v_mov_b32_e32 v117, 0x7f800001
	s_mov_b32 s15, exec_lo
	v_and_b32_sdwa v5, v5, v10 dst_sel:DWORD dst_unused:UNUSED_PAD src0_sel:DWORD src1_sel:BYTE_1
	v_and_b32_e32 v34, 0x7f, v5
	v_cmpx_ne_u32_e32 0x7f, v34
	s_cbranch_execz .LBB395_1893
; %bb.1890:                             ;   in Loop: Header=BB395_1055 Depth=1
	v_and_b32_e32 v23, 7, v5
	v_mov_b32_e32 v24, v11
	v_lshrrev_b32_e32 v5, 3, v34
	s_mov_b32 s18, exec_lo
	v_cmpx_gt_u32_e32 8, v34
; %bb.1891:                             ;   in Loop: Header=BB395_1055 Depth=1
	v_ffbh_u32_e32 v5, v23
	v_min_u32_e32 v5, 32, v5
	v_subrev_nc_u32_e32 v34, 28, v5
	v_sub_nc_u32_e32 v5, 29, v5
	v_lshlrev_b64 v[23:24], v34, v[23:24]
	v_and_b32_e32 v23, 7, v23
; %bb.1892:                             ;   in Loop: Header=BB395_1055 Depth=1
	s_or_b32 exec_lo, exec_lo, s18
	v_lshlrev_b32_e32 v10, 16, v10
	v_lshlrev_b32_e32 v23, 20, v23
	v_lshl_add_u32 v5, v5, 23, 0x3c000000
	v_and_b32_e32 v10, 0x80000000, v10
	v_or3_b32 v117, v23, v10, v5
.LBB395_1893:                           ;   in Loop: Header=BB395_1055 Depth=1
	s_or_b32 exec_lo, exec_lo, s15
.LBB395_1894:                           ;   in Loop: Header=BB395_1055 Depth=1
	s_or_b32 exec_lo, exec_lo, s13
.LBB395_1895:                           ;   in Loop: Header=BB395_1055 Depth=1
	s_or_b32 exec_lo, exec_lo, s12
	v_and_b32_sdwa v10, v20, v70 dst_sel:DWORD dst_unused:UNUSED_PAD src0_sel:WORD_1 src1_sel:DWORD
	v_mov_b32_e32 v5, 0
	v_mov_b32_e32 v35, 0
	s_mov_b32 s12, exec_lo
	v_cmpx_ne_u16_e32 0, v10
	s_cbranch_execz .LBB395_1903
; %bb.1896:                             ;   in Loop: Header=BB395_1055 Depth=1
	v_bfrev_b32_e32 v35, 1
	s_mov_b32 s13, exec_lo
	v_cmpx_ne_u16_e32 0x80, v10
	s_cbranch_execz .LBB395_1902
; %bb.1897:                             ;   in Loop: Header=BB395_1055 Depth=1
	v_bfe_u32 v23, v20, 16, 7
	v_mov_b32_e32 v35, 0x7f800001
	s_mov_b32 s15, exec_lo
	v_cmpx_ne_u32_e32 0x7f, v23
	s_cbranch_execz .LBB395_1901
; %bb.1898:                             ;   in Loop: Header=BB395_1055 Depth=1
	v_mov_b32_e32 v10, 7
	v_lshrrev_b32_e32 v35, 3, v23
	v_cmp_gt_u32_e64 s4, 8, v23
	v_and_b32_sdwa v10, v20, v10 dst_sel:DWORD dst_unused:UNUSED_PAD src0_sel:WORD_1 src1_sel:DWORD
	v_mov_b32_e32 v24, v11
	v_mov_b32_e32 v23, v10
	s_and_saveexec_b32 s18, s4
; %bb.1899:                             ;   in Loop: Header=BB395_1055 Depth=1
	v_ffbh_u32_e32 v23, v10
	v_min_u32_e32 v34, 32, v23
	v_subrev_nc_u32_e32 v23, 28, v34
	v_sub_nc_u32_e32 v35, 29, v34
	v_lshlrev_b64 v[23:24], v23, v[10:11]
	v_and_b32_e32 v23, 7, v23
; %bb.1900:                             ;   in Loop: Header=BB395_1055 Depth=1
	s_or_b32 exec_lo, exec_lo, s18
	v_mov_b32_e32 v10, 24
	v_lshlrev_b32_e32 v23, 20, v23
	v_lshl_add_u32 v24, v35, 23, 0x3c000000
	v_lshlrev_b32_sdwa v10, v10, v20 dst_sel:DWORD dst_unused:UNUSED_PAD src0_sel:DWORD src1_sel:WORD_1
	v_and_b32_e32 v10, 0x80000000, v10
	v_or3_b32 v35, v23, v10, v24
.LBB395_1901:                           ;   in Loop: Header=BB395_1055 Depth=1
	s_or_b32 exec_lo, exec_lo, s15
.LBB395_1902:                           ;   in Loop: Header=BB395_1055 Depth=1
	s_or_b32 exec_lo, exec_lo, s13
.LBB395_1903:                           ;   in Loop: Header=BB395_1055 Depth=1
	s_or_b32 exec_lo, exec_lo, s12
	s_mov_b32 s12, exec_lo
	v_cmpx_lt_u64_e64 s[8:9], v[19:20]
	s_cbranch_execz .LBB395_1911
; %bb.1904:                             ;   in Loop: Header=BB395_1055 Depth=1
	v_cmp_ne_u32_sdwa s4, v20, v68 src0_sel:BYTE_3 src1_sel:DWORD
	v_bfrev_b32_e32 v5, 1
	s_and_saveexec_b32 s13, s4
	s_cbranch_execz .LBB395_1910
; %bb.1905:                             ;   in Loop: Header=BB395_1055 Depth=1
	v_bfe_u32 v19, v20, 24, 7
	v_mov_b32_e32 v5, 0x7f800001
	s_mov_b32 s15, exec_lo
	v_cmpx_ne_u32_e32 0x7f, v19
	s_cbranch_execz .LBB395_1909
; %bb.1906:                             ;   in Loop: Header=BB395_1055 Depth=1
	v_mov_b32_e32 v5, 7
	s_mov_b32 s18, exec_lo
	v_and_b32_sdwa v10, v20, v5 dst_sel:DWORD dst_unused:UNUSED_PAD src0_sel:BYTE_3 src1_sel:DWORD
	v_mov_b32_e32 v24, v11
	v_lshrrev_b32_e32 v5, 3, v19
	v_mov_b32_e32 v23, v10
	v_cmpx_gt_u32_e32 8, v19
; %bb.1907:                             ;   in Loop: Header=BB395_1055 Depth=1
	v_ffbh_u32_e32 v5, v10
	v_min_u32_e32 v5, 32, v5
	v_subrev_nc_u32_e32 v19, 28, v5
	v_sub_nc_u32_e32 v5, 29, v5
	v_lshlrev_b64 v[23:24], v19, v[10:11]
	v_and_b32_e32 v23, 7, v23
; %bb.1908:                             ;   in Loop: Header=BB395_1055 Depth=1
	s_or_b32 exec_lo, exec_lo, s18
	v_mov_b32_e32 v10, 24
	v_lshlrev_b32_e32 v19, 20, v23
	v_lshl_add_u32 v5, v5, 23, 0x3c000000
	v_lshlrev_b32_sdwa v10, v10, v20 dst_sel:DWORD dst_unused:UNUSED_PAD src0_sel:DWORD src1_sel:BYTE_3
	v_and_b32_e32 v10, 0x80000000, v10
	v_or3_b32 v5, v19, v10, v5
.LBB395_1909:                           ;   in Loop: Header=BB395_1055 Depth=1
	s_or_b32 exec_lo, exec_lo, s15
.LBB395_1910:                           ;   in Loop: Header=BB395_1055 Depth=1
	s_or_b32 exec_lo, exec_lo, s13
.LBB395_1911:                           ;   in Loop: Header=BB395_1055 Depth=1
	s_or_b32 exec_lo, exec_lo, s12
	v_mul_f32_e32 v10, v26, v117
	v_mul_f32_e32 v5, v26, v5
	v_bfe_u32 v19, v10, 16, 1
	v_or_b32_e32 v20, 0x400000, v10
	v_cmp_u_f32_e64 s4, v10, v10
	v_add3_u32 v19, v19, v10, 0x7fff
	v_cndmask_b32_e64 v10, v19, v20, s4
	v_lshrrev_b32_e32 v117, 16, v10
	v_mul_f32_e32 v10, v26, v116
	v_bfe_u32 v19, v10, 16, 1
	v_or_b32_e32 v20, 0x400000, v10
	v_cmp_u_f32_e64 s4, v10, v10
	v_add3_u32 v19, v19, v10, 0x7fff
	v_cndmask_b32_e64 v10, v19, v20, s4
	v_lshrrev_b32_e32 v118, 16, v10
	;; [unrolled: 7-line block ×6, first 2 shown]
	v_mul_f32_e32 v10, v26, v35
	v_bfe_u32 v16, v10, 16, 1
	v_or_b32_e32 v19, 0x400000, v10
	v_cmp_u_f32_e64 s4, v10, v10
	v_add3_u32 v16, v16, v10, 0x7fff
	v_cndmask_b32_e64 v10, v16, v19, s4
	v_or_b32_e32 v16, 0x400000, v5
	v_cmp_u_f32_e64 s4, v5, v5
	v_lshrrev_b32_e32 v69, 16, v10
	v_bfe_u32 v10, v5, 16, 1
	v_add3_u32 v10, v10, v5, 0x7fff
	v_cndmask_b32_e64 v5, v10, v16, s4
	v_lshrrev_b32_e32 v41, 16, v5
	s_and_saveexec_b32 s12, vcc_lo
	s_cbranch_execz .LBB395_1913
; %bb.1912:                             ;   in Loop: Header=BB395_1055 Depth=1
	v_cmp_lt_i32_e64 s4, v57, v36
	v_cndmask_b32_e64 v80, 0, v80, s4
	v_cmp_lt_i32_e64 s4, v63, v36
	v_cndmask_b32_e64 v71, 0, v71, s4
	;; [unrolled: 2-line block ×8, first 2 shown]
.LBB395_1913:                           ;   in Loop: Header=BB395_1055 Depth=1
	s_or_b32 exec_lo, exec_lo, s12
	flat_load_dwordx2 v[19:20], v[17:18] offset:1280
	v_mov_b32_e32 v116, 0
	v_mov_b32_e32 v16, 0
	s_waitcnt vmcnt(0) lgkmcnt(0)
	v_cmp_ne_u16_sdwa s4, v19, v11 src0_sel:BYTE_0 src1_sel:DWORD
	s_and_saveexec_b32 s12, s4
	s_cbranch_execz .LBB395_1921
; %bb.1914:                             ;   in Loop: Header=BB395_1055 Depth=1
	v_cmp_ne_u16_sdwa s4, v19, v68 src0_sel:BYTE_0 src1_sel:DWORD
	v_bfrev_b32_e32 v16, 1
	s_and_saveexec_b32 s13, s4
	s_cbranch_execz .LBB395_1920
; %bb.1915:                             ;   in Loop: Header=BB395_1055 Depth=1
	v_and_b32_e32 v10, 0x7f, v19
	v_mov_b32_e32 v16, 0x7f800001
	s_mov_b32 s15, exec_lo
	v_cmpx_ne_u32_e32 0x7f, v10
	s_cbranch_execz .LBB395_1919
; %bb.1916:                             ;   in Loop: Header=BB395_1055 Depth=1
	v_mov_b32_e32 v24, v20
	v_lshrrev_b32_e32 v5, 3, v10
	v_mov_b32_e32 v23, v19
	s_mov_b32 s18, exec_lo
	v_cmpx_gt_u32_e32 8, v10
; %bb.1917:                             ;   in Loop: Header=BB395_1055 Depth=1
	v_and_b32_e32 v5, 7, v19
	v_ffbh_u32_e32 v5, v5
	v_min_u32_e32 v5, 32, v5
	v_subrev_nc_u32_e32 v10, 28, v5
	v_sub_nc_u32_e32 v5, 29, v5
	v_lshlrev_b64 v[23:24], v10, v[19:20]
; %bb.1918:                             ;   in Loop: Header=BB395_1055 Depth=1
	s_or_b32 exec_lo, exec_lo, s18
	v_lshlrev_b32_e32 v10, 20, v23
	v_lshlrev_b32_e32 v16, 24, v19
	v_lshl_add_u32 v5, v5, 23, 0x3c000000
	v_and_b32_e32 v10, 0x700000, v10
	v_and_b32_e32 v16, 0x80000000, v16
	v_or3_b32 v16, v10, v16, v5
.LBB395_1919:                           ;   in Loop: Header=BB395_1055 Depth=1
	s_or_b32 exec_lo, exec_lo, s15
.LBB395_1920:                           ;   in Loop: Header=BB395_1055 Depth=1
	s_or_b32 exec_lo, exec_lo, s13
.LBB395_1921:                           ;   in Loop: Header=BB395_1055 Depth=1
	s_or_b32 exec_lo, exec_lo, s12
	v_cmp_ne_u16_sdwa s4, v19, v11 src0_sel:BYTE_1 src1_sel:DWORD
	s_and_saveexec_b32 s12, s4
	s_cbranch_execz .LBB395_1929
; %bb.1922:                             ;   in Loop: Header=BB395_1055 Depth=1
	v_cmp_ne_u16_sdwa s4, v19, v68 src0_sel:BYTE_1 src1_sel:DWORD
	v_bfrev_b32_e32 v116, 1
	s_and_saveexec_b32 s13, s4
	s_cbranch_execz .LBB395_1928
; %bb.1923:                             ;   in Loop: Header=BB395_1055 Depth=1
	v_mov_b32_e32 v5, 0xffff
	v_mov_b32_e32 v116, 0x7f800001
	s_mov_b32 s15, exec_lo
	v_and_b32_sdwa v5, v5, v19 dst_sel:DWORD dst_unused:UNUSED_PAD src0_sel:DWORD src1_sel:BYTE_1
	v_and_b32_e32 v23, 0x7f, v5
	v_cmpx_ne_u32_e32 0x7f, v23
	s_cbranch_execz .LBB395_1927
; %bb.1924:                             ;   in Loop: Header=BB395_1055 Depth=1
	v_and_b32_e32 v10, 7, v5
	v_lshrrev_b32_e32 v5, 3, v23
	v_cmp_gt_u32_e64 s4, 8, v23
	v_mov_b32_e32 v24, v11
	v_mov_b32_e32 v23, v10
	s_and_saveexec_b32 s18, s4
; %bb.1925:                             ;   in Loop: Header=BB395_1055 Depth=1
	v_ffbh_u32_e32 v5, v10
	v_min_u32_e32 v5, 32, v5
	v_subrev_nc_u32_e32 v23, 28, v5
	v_sub_nc_u32_e32 v5, 29, v5
	v_lshlrev_b64 v[23:24], v23, v[10:11]
	v_and_b32_e32 v23, 7, v23
; %bb.1926:                             ;   in Loop: Header=BB395_1055 Depth=1
	s_or_b32 exec_lo, exec_lo, s18
	v_lshlrev_b32_e32 v10, 16, v19
	v_lshlrev_b32_e32 v23, 20, v23
	v_lshl_add_u32 v5, v5, 23, 0x3c000000
	v_and_b32_e32 v10, 0x80000000, v10
	v_or3_b32 v116, v23, v10, v5
.LBB395_1927:                           ;   in Loop: Header=BB395_1055 Depth=1
	s_or_b32 exec_lo, exec_lo, s15
.LBB395_1928:                           ;   in Loop: Header=BB395_1055 Depth=1
	s_or_b32 exec_lo, exec_lo, s13
.LBB395_1929:                           ;   in Loop: Header=BB395_1055 Depth=1
	s_or_b32 exec_lo, exec_lo, s12
	v_and_b32_sdwa v5, v19, v70 dst_sel:DWORD dst_unused:UNUSED_PAD src0_sel:WORD_1 src1_sel:DWORD
	v_mov_b32_e32 v44, 0
	v_mov_b32_e32 v45, 0
	s_mov_b32 s12, exec_lo
	v_cmpx_ne_u16_e32 0, v5
	s_cbranch_execz .LBB395_1937
; %bb.1930:                             ;   in Loop: Header=BB395_1055 Depth=1
	v_bfrev_b32_e32 v45, 1
	s_mov_b32 s13, exec_lo
	v_cmpx_ne_u16_e32 0x80, v5
	s_cbranch_execz .LBB395_1936
; %bb.1931:                             ;   in Loop: Header=BB395_1055 Depth=1
	v_bfe_u32 v23, v19, 16, 7
	v_mov_b32_e32 v45, 0x7f800001
	s_mov_b32 s15, exec_lo
	v_cmpx_ne_u32_e32 0x7f, v23
	s_cbranch_execz .LBB395_1935
; %bb.1932:                             ;   in Loop: Header=BB395_1055 Depth=1
	v_mov_b32_e32 v5, 7
	v_cmp_gt_u32_e64 s4, 8, v23
	v_and_b32_sdwa v10, v19, v5 dst_sel:DWORD dst_unused:UNUSED_PAD src0_sel:WORD_1 src1_sel:DWORD
	v_lshrrev_b32_e32 v5, 3, v23
	v_mov_b32_e32 v24, v11
	v_mov_b32_e32 v23, v10
	s_and_saveexec_b32 s18, s4
; %bb.1933:                             ;   in Loop: Header=BB395_1055 Depth=1
	v_ffbh_u32_e32 v5, v10
	v_min_u32_e32 v5, 32, v5
	v_subrev_nc_u32_e32 v23, 28, v5
	v_sub_nc_u32_e32 v5, 29, v5
	v_lshlrev_b64 v[23:24], v23, v[10:11]
	v_and_b32_e32 v23, 7, v23
; %bb.1934:                             ;   in Loop: Header=BB395_1055 Depth=1
	s_or_b32 exec_lo, exec_lo, s18
	v_mov_b32_e32 v10, 24
	v_lshlrev_b32_e32 v23, 20, v23
	v_lshl_add_u32 v5, v5, 23, 0x3c000000
	v_lshlrev_b32_sdwa v10, v10, v19 dst_sel:DWORD dst_unused:UNUSED_PAD src0_sel:DWORD src1_sel:WORD_1
	v_and_b32_e32 v10, 0x80000000, v10
	v_or3_b32 v45, v23, v10, v5
.LBB395_1935:                           ;   in Loop: Header=BB395_1055 Depth=1
	s_or_b32 exec_lo, exec_lo, s15
.LBB395_1936:                           ;   in Loop: Header=BB395_1055 Depth=1
	s_or_b32 exec_lo, exec_lo, s13
.LBB395_1937:                           ;   in Loop: Header=BB395_1055 Depth=1
	s_or_b32 exec_lo, exec_lo, s12
	s_mov_b32 s12, exec_lo
	v_cmpx_lt_u32_e32 0xffffff, v19
	s_cbranch_execz .LBB395_1945
; %bb.1938:                             ;   in Loop: Header=BB395_1055 Depth=1
	v_cmp_ne_u32_sdwa s4, v19, v68 src0_sel:BYTE_3 src1_sel:DWORD
	v_bfrev_b32_e32 v44, 1
	s_and_saveexec_b32 s13, s4
	s_cbranch_execz .LBB395_1944
; %bb.1939:                             ;   in Loop: Header=BB395_1055 Depth=1
	v_bfe_u32 v23, v19, 24, 7
	v_mov_b32_e32 v44, 0x7f800001
	s_mov_b32 s15, exec_lo
	v_cmpx_ne_u32_e32 0x7f, v23
	s_cbranch_execz .LBB395_1943
; %bb.1940:                             ;   in Loop: Header=BB395_1055 Depth=1
	v_mov_b32_e32 v5, 7
	v_cmp_gt_u32_e64 s4, 8, v23
	v_and_b32_sdwa v10, v19, v5 dst_sel:DWORD dst_unused:UNUSED_PAD src0_sel:BYTE_3 src1_sel:DWORD
	v_lshrrev_b32_e32 v5, 3, v23
	v_mov_b32_e32 v24, v11
	v_mov_b32_e32 v23, v10
	s_and_saveexec_b32 s18, s4
; %bb.1941:                             ;   in Loop: Header=BB395_1055 Depth=1
	v_ffbh_u32_e32 v5, v10
	v_min_u32_e32 v5, 32, v5
	v_subrev_nc_u32_e32 v23, 28, v5
	v_sub_nc_u32_e32 v5, 29, v5
	v_lshlrev_b64 v[23:24], v23, v[10:11]
	v_and_b32_e32 v23, 7, v23
; %bb.1942:                             ;   in Loop: Header=BB395_1055 Depth=1
	s_or_b32 exec_lo, exec_lo, s18
	v_mov_b32_e32 v10, 24
	v_lshlrev_b32_e32 v23, 20, v23
	v_lshl_add_u32 v5, v5, 23, 0x3c000000
	v_lshlrev_b32_sdwa v10, v10, v19 dst_sel:DWORD dst_unused:UNUSED_PAD src0_sel:DWORD src1_sel:BYTE_3
	v_and_b32_e32 v10, 0x80000000, v10
	v_or3_b32 v44, v23, v10, v5
.LBB395_1943:                           ;   in Loop: Header=BB395_1055 Depth=1
	s_or_b32 exec_lo, exec_lo, s15
.LBB395_1944:                           ;   in Loop: Header=BB395_1055 Depth=1
	s_or_b32 exec_lo, exec_lo, s13
.LBB395_1945:                           ;   in Loop: Header=BB395_1055 Depth=1
	s_or_b32 exec_lo, exec_lo, s12
	v_mov_b32_e32 v10, v20
	v_cmp_ne_u16_sdwa s4, v20, v11 src0_sel:BYTE_0 src1_sel:DWORD
	v_mov_b32_e32 v42, 0
	v_mov_b32_e32 v43, 0
	s_and_saveexec_b32 s12, s4
	s_cbranch_execz .LBB395_1953
; %bb.1946:                             ;   in Loop: Header=BB395_1055 Depth=1
	v_cmp_ne_u16_sdwa s4, v20, v68 src0_sel:BYTE_0 src1_sel:DWORD
	v_bfrev_b32_e32 v43, 1
	s_and_saveexec_b32 s13, s4
	s_cbranch_execz .LBB395_1952
; %bb.1947:                             ;   in Loop: Header=BB395_1055 Depth=1
	v_and_b32_e32 v23, 0x7f, v20
	v_mov_b32_e32 v43, 0x7f800001
	s_mov_b32 s15, exec_lo
	v_cmpx_ne_u32_e32 0x7f, v23
	s_cbranch_execz .LBB395_1951
; %bb.1948:                             ;   in Loop: Header=BB395_1055 Depth=1
	v_lshrrev_b32_e32 v5, 3, v23
	v_cmp_gt_u32_e64 s4, 8, v23
	v_mov_b32_e32 v24, v11
	v_mov_b32_e32 v23, v10
	s_and_saveexec_b32 s18, s4
; %bb.1949:                             ;   in Loop: Header=BB395_1055 Depth=1
	v_and_b32_e32 v5, 7, v20
	v_ffbh_u32_e32 v5, v5
	v_min_u32_e32 v5, 32, v5
	v_subrev_nc_u32_e32 v23, 28, v5
	v_sub_nc_u32_e32 v5, 29, v5
	v_lshlrev_b64 v[23:24], v23, v[10:11]
; %bb.1950:                             ;   in Loop: Header=BB395_1055 Depth=1
	s_or_b32 exec_lo, exec_lo, s18
	v_lshlrev_b32_e32 v23, 20, v23
	v_lshlrev_b32_e32 v24, 24, v10
	v_lshl_add_u32 v5, v5, 23, 0x3c000000
	v_and_b32_e32 v23, 0x700000, v23
	v_and_b32_e32 v24, 0x80000000, v24
	v_or3_b32 v43, v23, v24, v5
.LBB395_1951:                           ;   in Loop: Header=BB395_1055 Depth=1
	s_or_b32 exec_lo, exec_lo, s15
.LBB395_1952:                           ;   in Loop: Header=BB395_1055 Depth=1
	s_or_b32 exec_lo, exec_lo, s13
.LBB395_1953:                           ;   in Loop: Header=BB395_1055 Depth=1
	s_or_b32 exec_lo, exec_lo, s12
	v_cmp_ne_u16_sdwa s4, v10, v11 src0_sel:BYTE_1 src1_sel:DWORD
	s_and_saveexec_b32 s12, s4
	s_cbranch_execz .LBB395_1961
; %bb.1954:                             ;   in Loop: Header=BB395_1055 Depth=1
	v_cmp_ne_u16_sdwa s4, v10, v68 src0_sel:BYTE_1 src1_sel:DWORD
	v_bfrev_b32_e32 v42, 1
	s_and_saveexec_b32 s13, s4
	s_cbranch_execz .LBB395_1960
; %bb.1955:                             ;   in Loop: Header=BB395_1055 Depth=1
	v_mov_b32_e32 v5, 0xffff
	v_mov_b32_e32 v42, 0x7f800001
	s_mov_b32 s15, exec_lo
	v_and_b32_sdwa v5, v5, v10 dst_sel:DWORD dst_unused:UNUSED_PAD src0_sel:DWORD src1_sel:BYTE_1
	v_and_b32_e32 v34, 0x7f, v5
	v_cmpx_ne_u32_e32 0x7f, v34
	s_cbranch_execz .LBB395_1959
; %bb.1956:                             ;   in Loop: Header=BB395_1055 Depth=1
	v_and_b32_e32 v23, 7, v5
	v_mov_b32_e32 v24, v11
	v_lshrrev_b32_e32 v5, 3, v34
	s_mov_b32 s18, exec_lo
	v_cmpx_gt_u32_e32 8, v34
; %bb.1957:                             ;   in Loop: Header=BB395_1055 Depth=1
	v_ffbh_u32_e32 v5, v23
	v_min_u32_e32 v5, 32, v5
	v_subrev_nc_u32_e32 v34, 28, v5
	v_sub_nc_u32_e32 v5, 29, v5
	v_lshlrev_b64 v[23:24], v34, v[23:24]
	v_and_b32_e32 v23, 7, v23
; %bb.1958:                             ;   in Loop: Header=BB395_1055 Depth=1
	s_or_b32 exec_lo, exec_lo, s18
	v_lshlrev_b32_e32 v10, 16, v10
	v_lshlrev_b32_e32 v23, 20, v23
	v_lshl_add_u32 v5, v5, 23, 0x3c000000
	v_and_b32_e32 v10, 0x80000000, v10
	v_or3_b32 v42, v23, v10, v5
.LBB395_1959:                           ;   in Loop: Header=BB395_1055 Depth=1
	s_or_b32 exec_lo, exec_lo, s15
.LBB395_1960:                           ;   in Loop: Header=BB395_1055 Depth=1
	s_or_b32 exec_lo, exec_lo, s13
.LBB395_1961:                           ;   in Loop: Header=BB395_1055 Depth=1
	s_or_b32 exec_lo, exec_lo, s12
	v_and_b32_sdwa v10, v20, v70 dst_sel:DWORD dst_unused:UNUSED_PAD src0_sel:WORD_1 src1_sel:DWORD
	v_mov_b32_e32 v5, 0
	v_mov_b32_e32 v35, 0
	s_mov_b32 s12, exec_lo
	v_cmpx_ne_u16_e32 0, v10
	s_cbranch_execz .LBB395_1969
; %bb.1962:                             ;   in Loop: Header=BB395_1055 Depth=1
	v_bfrev_b32_e32 v35, 1
	s_mov_b32 s13, exec_lo
	v_cmpx_ne_u16_e32 0x80, v10
	s_cbranch_execz .LBB395_1968
; %bb.1963:                             ;   in Loop: Header=BB395_1055 Depth=1
	v_bfe_u32 v23, v20, 16, 7
	v_mov_b32_e32 v35, 0x7f800001
	s_mov_b32 s15, exec_lo
	v_cmpx_ne_u32_e32 0x7f, v23
	s_cbranch_execz .LBB395_1967
; %bb.1964:                             ;   in Loop: Header=BB395_1055 Depth=1
	v_mov_b32_e32 v10, 7
	v_lshrrev_b32_e32 v35, 3, v23
	v_cmp_gt_u32_e64 s4, 8, v23
	v_and_b32_sdwa v10, v20, v10 dst_sel:DWORD dst_unused:UNUSED_PAD src0_sel:WORD_1 src1_sel:DWORD
	v_mov_b32_e32 v24, v11
	v_mov_b32_e32 v23, v10
	s_and_saveexec_b32 s18, s4
; %bb.1965:                             ;   in Loop: Header=BB395_1055 Depth=1
	v_ffbh_u32_e32 v23, v10
	v_min_u32_e32 v34, 32, v23
	v_subrev_nc_u32_e32 v23, 28, v34
	v_sub_nc_u32_e32 v35, 29, v34
	v_lshlrev_b64 v[23:24], v23, v[10:11]
	v_and_b32_e32 v23, 7, v23
; %bb.1966:                             ;   in Loop: Header=BB395_1055 Depth=1
	s_or_b32 exec_lo, exec_lo, s18
	v_mov_b32_e32 v10, 24
	v_lshlrev_b32_e32 v23, 20, v23
	v_lshl_add_u32 v24, v35, 23, 0x3c000000
	v_lshlrev_b32_sdwa v10, v10, v20 dst_sel:DWORD dst_unused:UNUSED_PAD src0_sel:DWORD src1_sel:WORD_1
	v_and_b32_e32 v10, 0x80000000, v10
	v_or3_b32 v35, v23, v10, v24
.LBB395_1967:                           ;   in Loop: Header=BB395_1055 Depth=1
	s_or_b32 exec_lo, exec_lo, s15
.LBB395_1968:                           ;   in Loop: Header=BB395_1055 Depth=1
	s_or_b32 exec_lo, exec_lo, s13
.LBB395_1969:                           ;   in Loop: Header=BB395_1055 Depth=1
	s_or_b32 exec_lo, exec_lo, s12
	s_mov_b32 s12, exec_lo
	v_cmpx_lt_u64_e64 s[8:9], v[19:20]
	s_cbranch_execz .LBB395_1977
; %bb.1970:                             ;   in Loop: Header=BB395_1055 Depth=1
	v_cmp_ne_u32_sdwa s4, v20, v68 src0_sel:BYTE_3 src1_sel:DWORD
	v_bfrev_b32_e32 v5, 1
	s_and_saveexec_b32 s13, s4
	s_cbranch_execz .LBB395_1976
; %bb.1971:                             ;   in Loop: Header=BB395_1055 Depth=1
	v_bfe_u32 v19, v20, 24, 7
	v_mov_b32_e32 v5, 0x7f800001
	s_mov_b32 s15, exec_lo
	v_cmpx_ne_u32_e32 0x7f, v19
	s_cbranch_execz .LBB395_1975
; %bb.1972:                             ;   in Loop: Header=BB395_1055 Depth=1
	v_mov_b32_e32 v5, 7
	s_mov_b32 s18, exec_lo
	v_and_b32_sdwa v10, v20, v5 dst_sel:DWORD dst_unused:UNUSED_PAD src0_sel:BYTE_3 src1_sel:DWORD
	v_mov_b32_e32 v24, v11
	v_lshrrev_b32_e32 v5, 3, v19
	v_mov_b32_e32 v23, v10
	v_cmpx_gt_u32_e32 8, v19
; %bb.1973:                             ;   in Loop: Header=BB395_1055 Depth=1
	v_ffbh_u32_e32 v5, v10
	v_min_u32_e32 v5, 32, v5
	v_subrev_nc_u32_e32 v19, 28, v5
	v_sub_nc_u32_e32 v5, 29, v5
	v_lshlrev_b64 v[23:24], v19, v[10:11]
	v_and_b32_e32 v23, 7, v23
; %bb.1974:                             ;   in Loop: Header=BB395_1055 Depth=1
	s_or_b32 exec_lo, exec_lo, s18
	v_mov_b32_e32 v10, 24
	v_lshlrev_b32_e32 v19, 20, v23
	v_lshl_add_u32 v5, v5, 23, 0x3c000000
	v_lshlrev_b32_sdwa v10, v10, v20 dst_sel:DWORD dst_unused:UNUSED_PAD src0_sel:DWORD src1_sel:BYTE_3
	v_and_b32_e32 v10, 0x80000000, v10
	v_or3_b32 v5, v19, v10, v5
.LBB395_1975:                           ;   in Loop: Header=BB395_1055 Depth=1
	s_or_b32 exec_lo, exec_lo, s15
.LBB395_1976:                           ;   in Loop: Header=BB395_1055 Depth=1
	s_or_b32 exec_lo, exec_lo, s13
.LBB395_1977:                           ;   in Loop: Header=BB395_1055 Depth=1
	s_or_b32 exec_lo, exec_lo, s12
	v_mul_f32_e32 v10, v26, v42
	v_mul_f32_e32 v5, v26, v5
	v_bfe_u32 v19, v10, 16, 1
	v_or_b32_e32 v20, 0x400000, v10
	v_cmp_u_f32_e64 s4, v10, v10
	v_add3_u32 v19, v19, v10, 0x7fff
	v_cndmask_b32_e64 v10, v19, v20, s4
	v_lshrrev_b32_e32 v42, 16, v10
	v_mul_f32_e32 v10, v26, v43
	v_bfe_u32 v19, v10, 16, 1
	v_or_b32_e32 v20, 0x400000, v10
	v_cmp_u_f32_e64 s4, v10, v10
	v_add3_u32 v19, v19, v10, 0x7fff
	v_cndmask_b32_e64 v10, v19, v20, s4
	v_lshrrev_b32_e32 v43, 16, v10
	;; [unrolled: 7-line block ×6, first 2 shown]
	v_mul_f32_e32 v10, v26, v35
	v_bfe_u32 v16, v10, 16, 1
	v_or_b32_e32 v19, 0x400000, v10
	v_cmp_u_f32_e64 s4, v10, v10
	v_add3_u32 v16, v16, v10, 0x7fff
	v_cndmask_b32_e64 v10, v16, v19, s4
	v_or_b32_e32 v16, 0x400000, v5
	v_cmp_u_f32_e64 s4, v5, v5
	v_lshrrev_b32_e32 v46, 16, v10
	v_bfe_u32 v10, v5, 16, 1
	v_add3_u32 v10, v10, v5, 0x7fff
	v_cndmask_b32_e64 v5, v10, v16, s4
	v_lshrrev_b32_e32 v72, 16, v5
	s_and_saveexec_b32 s12, vcc_lo
	s_cbranch_execz .LBB395_1979
; %bb.1978:                             ;   in Loop: Header=BB395_1055 Depth=1
	v_cmp_lt_i32_e64 s4, v57, v36
	v_cndmask_b32_e64 v56, 0, v56, s4
	v_cmp_lt_i32_e64 s4, v63, v36
	v_cndmask_b32_e64 v47, 0, v47, s4
	v_cmp_lt_i32_e64 s4, v62, v36
	v_cndmask_b32_e64 v45, 0, v45, s4
	v_cmp_lt_i32_e64 s4, v61, v36
	v_cndmask_b32_e64 v44, 0, v44, s4
	v_cmp_lt_i32_e64 s4, v60, v36
	v_cndmask_b32_e64 v43, 0, v43, s4
	v_cmp_lt_i32_e64 s4, v59, v36
	v_cndmask_b32_e64 v42, 0, v42, s4
	v_cmp_lt_i32_e64 s4, v58, v36
	v_cndmask_b32_e64 v46, 0, v46, s4
	v_cmp_lt_i32_e64 s4, v66, v36
	v_cndmask_b32_e64 v72, 0, v72, s4
.LBB395_1979:                           ;   in Loop: Header=BB395_1055 Depth=1
	s_or_b32 exec_lo, exec_lo, s12
	flat_load_dwordx2 v[19:20], v[17:18] offset:1536
	v_mov_b32_e32 v76, 0
	v_mov_b32_e32 v116, 0
	s_waitcnt vmcnt(0) lgkmcnt(0)
	v_cmp_ne_u16_sdwa s4, v19, v11 src0_sel:BYTE_0 src1_sel:DWORD
	s_and_saveexec_b32 s12, s4
	s_cbranch_execz .LBB395_1987
; %bb.1980:                             ;   in Loop: Header=BB395_1055 Depth=1
	v_cmp_ne_u16_sdwa s4, v19, v68 src0_sel:BYTE_0 src1_sel:DWORD
	v_bfrev_b32_e32 v116, 1
	s_and_saveexec_b32 s13, s4
	s_cbranch_execz .LBB395_1986
; %bb.1981:                             ;   in Loop: Header=BB395_1055 Depth=1
	v_and_b32_e32 v10, 0x7f, v19
	v_mov_b32_e32 v116, 0x7f800001
	s_mov_b32 s15, exec_lo
	v_cmpx_ne_u32_e32 0x7f, v10
	s_cbranch_execz .LBB395_1985
; %bb.1982:                             ;   in Loop: Header=BB395_1055 Depth=1
	v_mov_b32_e32 v24, v20
	v_lshrrev_b32_e32 v5, 3, v10
	v_mov_b32_e32 v23, v19
	s_mov_b32 s18, exec_lo
	v_cmpx_gt_u32_e32 8, v10
; %bb.1983:                             ;   in Loop: Header=BB395_1055 Depth=1
	v_and_b32_e32 v5, 7, v19
	v_ffbh_u32_e32 v5, v5
	v_min_u32_e32 v5, 32, v5
	v_subrev_nc_u32_e32 v10, 28, v5
	v_sub_nc_u32_e32 v5, 29, v5
	v_lshlrev_b64 v[23:24], v10, v[19:20]
; %bb.1984:                             ;   in Loop: Header=BB395_1055 Depth=1
	s_or_b32 exec_lo, exec_lo, s18
	v_lshlrev_b32_e32 v10, 20, v23
	v_lshlrev_b32_e32 v16, 24, v19
	v_lshl_add_u32 v5, v5, 23, 0x3c000000
	v_and_b32_e32 v10, 0x700000, v10
	v_and_b32_e32 v16, 0x80000000, v16
	v_or3_b32 v116, v10, v16, v5
.LBB395_1985:                           ;   in Loop: Header=BB395_1055 Depth=1
	s_or_b32 exec_lo, exec_lo, s15
.LBB395_1986:                           ;   in Loop: Header=BB395_1055 Depth=1
	s_or_b32 exec_lo, exec_lo, s13
.LBB395_1987:                           ;   in Loop: Header=BB395_1055 Depth=1
	s_or_b32 exec_lo, exec_lo, s12
	v_cmp_ne_u16_sdwa s4, v19, v11 src0_sel:BYTE_1 src1_sel:DWORD
	s_and_saveexec_b32 s12, s4
	s_cbranch_execz .LBB395_1995
; %bb.1988:                             ;   in Loop: Header=BB395_1055 Depth=1
	v_cmp_ne_u16_sdwa s4, v19, v68 src0_sel:BYTE_1 src1_sel:DWORD
	v_bfrev_b32_e32 v76, 1
	s_and_saveexec_b32 s13, s4
	s_cbranch_execz .LBB395_1994
; %bb.1989:                             ;   in Loop: Header=BB395_1055 Depth=1
	v_mov_b32_e32 v5, 0xffff
	v_mov_b32_e32 v76, 0x7f800001
	s_mov_b32 s15, exec_lo
	v_and_b32_sdwa v5, v5, v19 dst_sel:DWORD dst_unused:UNUSED_PAD src0_sel:DWORD src1_sel:BYTE_1
	v_and_b32_e32 v16, 0x7f, v5
	v_cmpx_ne_u32_e32 0x7f, v16
	s_cbranch_execz .LBB395_1993
; %bb.1990:                             ;   in Loop: Header=BB395_1055 Depth=1
	v_and_b32_e32 v10, 7, v5
	v_mov_b32_e32 v24, v11
	v_lshrrev_b32_e32 v5, 3, v16
	s_mov_b32 s18, exec_lo
	v_mov_b32_e32 v23, v10
	v_cmpx_gt_u32_e32 8, v16
; %bb.1991:                             ;   in Loop: Header=BB395_1055 Depth=1
	v_ffbh_u32_e32 v5, v10
	v_min_u32_e32 v5, 32, v5
	v_subrev_nc_u32_e32 v16, 28, v5
	v_sub_nc_u32_e32 v5, 29, v5
	v_lshlrev_b64 v[23:24], v16, v[10:11]
	v_and_b32_e32 v23, 7, v23
; %bb.1992:                             ;   in Loop: Header=BB395_1055 Depth=1
	s_or_b32 exec_lo, exec_lo, s18
	v_lshlrev_b32_e32 v10, 16, v19
	v_lshlrev_b32_e32 v16, 20, v23
	v_lshl_add_u32 v5, v5, 23, 0x3c000000
	v_and_b32_e32 v10, 0x80000000, v10
	v_or3_b32 v76, v16, v10, v5
.LBB395_1993:                           ;   in Loop: Header=BB395_1055 Depth=1
	s_or_b32 exec_lo, exec_lo, s15
.LBB395_1994:                           ;   in Loop: Header=BB395_1055 Depth=1
	s_or_b32 exec_lo, exec_lo, s13
.LBB395_1995:                           ;   in Loop: Header=BB395_1055 Depth=1
	s_or_b32 exec_lo, exec_lo, s12
	v_and_b32_sdwa v5, v19, v70 dst_sel:DWORD dst_unused:UNUSED_PAD src0_sel:WORD_1 src1_sel:DWORD
	v_mov_b32_e32 v74, 0
	v_mov_b32_e32 v75, 0
	s_mov_b32 s12, exec_lo
	v_cmpx_ne_u16_e32 0, v5
	s_cbranch_execz .LBB395_2003
; %bb.1996:                             ;   in Loop: Header=BB395_1055 Depth=1
	v_bfrev_b32_e32 v75, 1
	s_mov_b32 s13, exec_lo
	v_cmpx_ne_u16_e32 0x80, v5
	s_cbranch_execz .LBB395_2002
; %bb.1997:                             ;   in Loop: Header=BB395_1055 Depth=1
	v_bfe_u32 v16, v19, 16, 7
	v_mov_b32_e32 v75, 0x7f800001
	s_mov_b32 s15, exec_lo
	v_cmpx_ne_u32_e32 0x7f, v16
	s_cbranch_execz .LBB395_2001
; %bb.1998:                             ;   in Loop: Header=BB395_1055 Depth=1
	v_mov_b32_e32 v5, 7
	s_mov_b32 s18, exec_lo
	v_and_b32_sdwa v10, v19, v5 dst_sel:DWORD dst_unused:UNUSED_PAD src0_sel:WORD_1 src1_sel:DWORD
	v_mov_b32_e32 v24, v11
	v_lshrrev_b32_e32 v5, 3, v16
	v_mov_b32_e32 v23, v10
	v_cmpx_gt_u32_e32 8, v16
; %bb.1999:                             ;   in Loop: Header=BB395_1055 Depth=1
	v_ffbh_u32_e32 v5, v10
	v_min_u32_e32 v5, 32, v5
	v_subrev_nc_u32_e32 v16, 28, v5
	v_sub_nc_u32_e32 v5, 29, v5
	v_lshlrev_b64 v[23:24], v16, v[10:11]
	v_and_b32_e32 v23, 7, v23
; %bb.2000:                             ;   in Loop: Header=BB395_1055 Depth=1
	s_or_b32 exec_lo, exec_lo, s18
	v_mov_b32_e32 v10, 24
	v_lshlrev_b32_e32 v16, 20, v23
	v_lshl_add_u32 v5, v5, 23, 0x3c000000
	v_lshlrev_b32_sdwa v10, v10, v19 dst_sel:DWORD dst_unused:UNUSED_PAD src0_sel:DWORD src1_sel:WORD_1
	v_and_b32_e32 v10, 0x80000000, v10
	v_or3_b32 v75, v16, v10, v5
.LBB395_2001:                           ;   in Loop: Header=BB395_1055 Depth=1
	s_or_b32 exec_lo, exec_lo, s15
.LBB395_2002:                           ;   in Loop: Header=BB395_1055 Depth=1
	s_or_b32 exec_lo, exec_lo, s13
.LBB395_2003:                           ;   in Loop: Header=BB395_1055 Depth=1
	s_or_b32 exec_lo, exec_lo, s12
	s_mov_b32 s12, exec_lo
	v_cmpx_lt_u32_e32 0xffffff, v19
	s_cbranch_execz .LBB395_2011
; %bb.2004:                             ;   in Loop: Header=BB395_1055 Depth=1
	v_cmp_ne_u32_sdwa s4, v19, v68 src0_sel:BYTE_3 src1_sel:DWORD
	v_bfrev_b32_e32 v74, 1
	s_and_saveexec_b32 s13, s4
	s_cbranch_execz .LBB395_2010
; %bb.2005:                             ;   in Loop: Header=BB395_1055 Depth=1
	v_bfe_u32 v16, v19, 24, 7
	v_mov_b32_e32 v74, 0x7f800001
	s_mov_b32 s15, exec_lo
	v_cmpx_ne_u32_e32 0x7f, v16
	s_cbranch_execz .LBB395_2009
; %bb.2006:                             ;   in Loop: Header=BB395_1055 Depth=1
	v_mov_b32_e32 v5, 7
	s_mov_b32 s18, exec_lo
	v_and_b32_sdwa v10, v19, v5 dst_sel:DWORD dst_unused:UNUSED_PAD src0_sel:BYTE_3 src1_sel:DWORD
	v_mov_b32_e32 v24, v11
	v_lshrrev_b32_e32 v5, 3, v16
	v_mov_b32_e32 v23, v10
	v_cmpx_gt_u32_e32 8, v16
; %bb.2007:                             ;   in Loop: Header=BB395_1055 Depth=1
	v_ffbh_u32_e32 v5, v10
	v_min_u32_e32 v5, 32, v5
	v_subrev_nc_u32_e32 v16, 28, v5
	v_sub_nc_u32_e32 v5, 29, v5
	v_lshlrev_b64 v[23:24], v16, v[10:11]
	v_and_b32_e32 v23, 7, v23
; %bb.2008:                             ;   in Loop: Header=BB395_1055 Depth=1
	s_or_b32 exec_lo, exec_lo, s18
	v_mov_b32_e32 v10, 24
	v_lshlrev_b32_e32 v16, 20, v23
	v_lshl_add_u32 v5, v5, 23, 0x3c000000
	v_lshlrev_b32_sdwa v10, v10, v19 dst_sel:DWORD dst_unused:UNUSED_PAD src0_sel:DWORD src1_sel:BYTE_3
	v_and_b32_e32 v10, 0x80000000, v10
	v_or3_b32 v74, v16, v10, v5
.LBB395_2009:                           ;   in Loop: Header=BB395_1055 Depth=1
	s_or_b32 exec_lo, exec_lo, s15
.LBB395_2010:                           ;   in Loop: Header=BB395_1055 Depth=1
	s_or_b32 exec_lo, exec_lo, s13
.LBB395_2011:                           ;   in Loop: Header=BB395_1055 Depth=1
	s_or_b32 exec_lo, exec_lo, s12
	v_mov_b32_e32 v10, v20
	v_cmp_ne_u16_sdwa s4, v20, v11 src0_sel:BYTE_0 src1_sel:DWORD
	v_mov_b32_e32 v16, 0
	v_mov_b32_e32 v73, 0
	s_and_saveexec_b32 s12, s4
	s_cbranch_execz .LBB395_2019
; %bb.2012:                             ;   in Loop: Header=BB395_1055 Depth=1
	v_cmp_ne_u16_sdwa s4, v20, v68 src0_sel:BYTE_0 src1_sel:DWORD
	v_bfrev_b32_e32 v73, 1
	s_and_saveexec_b32 s13, s4
	s_cbranch_execz .LBB395_2018
; %bb.2013:                             ;   in Loop: Header=BB395_1055 Depth=1
	v_and_b32_e32 v23, 0x7f, v20
	v_mov_b32_e32 v73, 0x7f800001
	s_mov_b32 s15, exec_lo
	v_cmpx_ne_u32_e32 0x7f, v23
	s_cbranch_execz .LBB395_2017
; %bb.2014:                             ;   in Loop: Header=BB395_1055 Depth=1
	v_lshrrev_b32_e32 v5, 3, v23
	v_cmp_gt_u32_e64 s4, 8, v23
	v_mov_b32_e32 v24, v11
	v_mov_b32_e32 v23, v10
	s_and_saveexec_b32 s18, s4
; %bb.2015:                             ;   in Loop: Header=BB395_1055 Depth=1
	v_and_b32_e32 v5, 7, v20
	v_ffbh_u32_e32 v5, v5
	v_min_u32_e32 v5, 32, v5
	v_subrev_nc_u32_e32 v23, 28, v5
	v_sub_nc_u32_e32 v5, 29, v5
	v_lshlrev_b64 v[23:24], v23, v[10:11]
; %bb.2016:                             ;   in Loop: Header=BB395_1055 Depth=1
	s_or_b32 exec_lo, exec_lo, s18
	v_lshlrev_b32_e32 v23, 20, v23
	v_lshlrev_b32_e32 v24, 24, v10
	v_lshl_add_u32 v5, v5, 23, 0x3c000000
	v_and_b32_e32 v23, 0x700000, v23
	v_and_b32_e32 v24, 0x80000000, v24
	v_or3_b32 v73, v23, v24, v5
.LBB395_2017:                           ;   in Loop: Header=BB395_1055 Depth=1
	s_or_b32 exec_lo, exec_lo, s15
.LBB395_2018:                           ;   in Loop: Header=BB395_1055 Depth=1
	s_or_b32 exec_lo, exec_lo, s13
.LBB395_2019:                           ;   in Loop: Header=BB395_1055 Depth=1
	s_or_b32 exec_lo, exec_lo, s12
	v_cmp_ne_u16_sdwa s4, v10, v11 src0_sel:BYTE_1 src1_sel:DWORD
	s_and_saveexec_b32 s12, s4
	s_cbranch_execz .LBB395_2027
; %bb.2020:                             ;   in Loop: Header=BB395_1055 Depth=1
	v_cmp_ne_u16_sdwa s4, v10, v68 src0_sel:BYTE_1 src1_sel:DWORD
	v_bfrev_b32_e32 v16, 1
	s_and_saveexec_b32 s13, s4
	s_cbranch_execz .LBB395_2026
; %bb.2021:                             ;   in Loop: Header=BB395_1055 Depth=1
	v_mov_b32_e32 v5, 0xffff
	v_mov_b32_e32 v16, 0x7f800001
	s_mov_b32 s15, exec_lo
	v_and_b32_sdwa v5, v5, v10 dst_sel:DWORD dst_unused:UNUSED_PAD src0_sel:DWORD src1_sel:BYTE_1
	v_and_b32_e32 v34, 0x7f, v5
	v_cmpx_ne_u32_e32 0x7f, v34
	s_cbranch_execz .LBB395_2025
; %bb.2022:                             ;   in Loop: Header=BB395_1055 Depth=1
	v_and_b32_e32 v23, 7, v5
	v_mov_b32_e32 v24, v11
	v_lshrrev_b32_e32 v5, 3, v34
	s_mov_b32 s18, exec_lo
	v_cmpx_gt_u32_e32 8, v34
; %bb.2023:                             ;   in Loop: Header=BB395_1055 Depth=1
	v_ffbh_u32_e32 v5, v23
	v_min_u32_e32 v5, 32, v5
	v_subrev_nc_u32_e32 v16, 28, v5
	v_sub_nc_u32_e32 v5, 29, v5
	v_lshlrev_b64 v[23:24], v16, v[23:24]
	v_and_b32_e32 v23, 7, v23
; %bb.2024:                             ;   in Loop: Header=BB395_1055 Depth=1
	s_or_b32 exec_lo, exec_lo, s18
	v_lshlrev_b32_e32 v10, 16, v10
	v_lshlrev_b32_e32 v16, 20, v23
	v_lshl_add_u32 v5, v5, 23, 0x3c000000
	v_and_b32_e32 v10, 0x80000000, v10
	v_or3_b32 v16, v16, v10, v5
.LBB395_2025:                           ;   in Loop: Header=BB395_1055 Depth=1
	s_or_b32 exec_lo, exec_lo, s15
.LBB395_2026:                           ;   in Loop: Header=BB395_1055 Depth=1
	s_or_b32 exec_lo, exec_lo, s13
.LBB395_2027:                           ;   in Loop: Header=BB395_1055 Depth=1
	s_or_b32 exec_lo, exec_lo, s12
	v_and_b32_sdwa v10, v20, v70 dst_sel:DWORD dst_unused:UNUSED_PAD src0_sel:WORD_1 src1_sel:DWORD
	v_mov_b32_e32 v5, 0
	v_mov_b32_e32 v35, 0
	s_mov_b32 s12, exec_lo
	v_cmpx_ne_u16_e32 0, v10
	s_cbranch_execz .LBB395_2035
; %bb.2028:                             ;   in Loop: Header=BB395_1055 Depth=1
	v_bfrev_b32_e32 v35, 1
	s_mov_b32 s13, exec_lo
	v_cmpx_ne_u16_e32 0x80, v10
	s_cbranch_execz .LBB395_2034
; %bb.2029:                             ;   in Loop: Header=BB395_1055 Depth=1
	v_bfe_u32 v23, v20, 16, 7
	v_mov_b32_e32 v35, 0x7f800001
	s_mov_b32 s15, exec_lo
	v_cmpx_ne_u32_e32 0x7f, v23
	s_cbranch_execz .LBB395_2033
; %bb.2030:                             ;   in Loop: Header=BB395_1055 Depth=1
	v_mov_b32_e32 v10, 7
	v_lshrrev_b32_e32 v35, 3, v23
	v_cmp_gt_u32_e64 s4, 8, v23
	v_and_b32_sdwa v10, v20, v10 dst_sel:DWORD dst_unused:UNUSED_PAD src0_sel:WORD_1 src1_sel:DWORD
	v_mov_b32_e32 v24, v11
	v_mov_b32_e32 v23, v10
	s_and_saveexec_b32 s18, s4
; %bb.2031:                             ;   in Loop: Header=BB395_1055 Depth=1
	v_ffbh_u32_e32 v23, v10
	v_min_u32_e32 v34, 32, v23
	v_subrev_nc_u32_e32 v23, 28, v34
	v_sub_nc_u32_e32 v35, 29, v34
	v_lshlrev_b64 v[23:24], v23, v[10:11]
	v_and_b32_e32 v23, 7, v23
; %bb.2032:                             ;   in Loop: Header=BB395_1055 Depth=1
	s_or_b32 exec_lo, exec_lo, s18
	v_mov_b32_e32 v10, 24
	v_lshlrev_b32_e32 v23, 20, v23
	v_lshl_add_u32 v24, v35, 23, 0x3c000000
	v_lshlrev_b32_sdwa v10, v10, v20 dst_sel:DWORD dst_unused:UNUSED_PAD src0_sel:DWORD src1_sel:WORD_1
	v_and_b32_e32 v10, 0x80000000, v10
	v_or3_b32 v35, v23, v10, v24
.LBB395_2033:                           ;   in Loop: Header=BB395_1055 Depth=1
	s_or_b32 exec_lo, exec_lo, s15
.LBB395_2034:                           ;   in Loop: Header=BB395_1055 Depth=1
	s_or_b32 exec_lo, exec_lo, s13
.LBB395_2035:                           ;   in Loop: Header=BB395_1055 Depth=1
	s_or_b32 exec_lo, exec_lo, s12
	s_mov_b32 s12, exec_lo
	v_cmpx_lt_u64_e64 s[8:9], v[19:20]
	s_cbranch_execz .LBB395_2043
; %bb.2036:                             ;   in Loop: Header=BB395_1055 Depth=1
	v_cmp_ne_u32_sdwa s4, v20, v68 src0_sel:BYTE_3 src1_sel:DWORD
	v_bfrev_b32_e32 v5, 1
	s_and_saveexec_b32 s13, s4
	s_cbranch_execz .LBB395_2042
; %bb.2037:                             ;   in Loop: Header=BB395_1055 Depth=1
	v_bfe_u32 v19, v20, 24, 7
	v_mov_b32_e32 v5, 0x7f800001
	s_mov_b32 s15, exec_lo
	v_cmpx_ne_u32_e32 0x7f, v19
	s_cbranch_execz .LBB395_2041
; %bb.2038:                             ;   in Loop: Header=BB395_1055 Depth=1
	v_mov_b32_e32 v5, 7
	s_mov_b32 s18, exec_lo
	v_and_b32_sdwa v10, v20, v5 dst_sel:DWORD dst_unused:UNUSED_PAD src0_sel:BYTE_3 src1_sel:DWORD
	v_mov_b32_e32 v24, v11
	v_lshrrev_b32_e32 v5, 3, v19
	v_mov_b32_e32 v23, v10
	v_cmpx_gt_u32_e32 8, v19
; %bb.2039:                             ;   in Loop: Header=BB395_1055 Depth=1
	v_ffbh_u32_e32 v5, v10
	v_min_u32_e32 v5, 32, v5
	v_subrev_nc_u32_e32 v19, 28, v5
	v_sub_nc_u32_e32 v5, 29, v5
	v_lshlrev_b64 v[23:24], v19, v[10:11]
	v_and_b32_e32 v23, 7, v23
; %bb.2040:                             ;   in Loop: Header=BB395_1055 Depth=1
	s_or_b32 exec_lo, exec_lo, s18
	v_mov_b32_e32 v10, 24
	v_lshlrev_b32_e32 v19, 20, v23
	v_lshl_add_u32 v5, v5, 23, 0x3c000000
	v_lshlrev_b32_sdwa v10, v10, v20 dst_sel:DWORD dst_unused:UNUSED_PAD src0_sel:DWORD src1_sel:BYTE_3
	v_and_b32_e32 v10, 0x80000000, v10
	v_or3_b32 v5, v19, v10, v5
.LBB395_2041:                           ;   in Loop: Header=BB395_1055 Depth=1
	s_or_b32 exec_lo, exec_lo, s15
.LBB395_2042:                           ;   in Loop: Header=BB395_1055 Depth=1
	s_or_b32 exec_lo, exec_lo, s13
.LBB395_2043:                           ;   in Loop: Header=BB395_1055 Depth=1
	s_or_b32 exec_lo, exec_lo, s12
	v_mul_f32_e32 v10, v26, v16
	v_mul_f32_e32 v5, v26, v5
	v_bfe_u32 v16, v10, 16, 1
	v_or_b32_e32 v19, 0x400000, v10
	v_cmp_u_f32_e64 s4, v10, v10
	v_add3_u32 v16, v16, v10, 0x7fff
	v_cndmask_b32_e64 v10, v16, v19, s4
	v_lshrrev_b32_e32 v16, 16, v10
	v_mul_f32_e32 v10, v26, v73
	v_bfe_u32 v19, v10, 16, 1
	v_or_b32_e32 v20, 0x400000, v10
	v_cmp_u_f32_e64 s4, v10, v10
	v_add3_u32 v19, v19, v10, 0x7fff
	v_cndmask_b32_e64 v10, v19, v20, s4
	v_lshrrev_b32_e32 v73, 16, v10
	v_mul_f32_e32 v10, v26, v74
	v_bfe_u32 v19, v10, 16, 1
	v_or_b32_e32 v20, 0x400000, v10
	v_cmp_u_f32_e64 s4, v10, v10
	v_add3_u32 v19, v19, v10, 0x7fff
	v_cndmask_b32_e64 v10, v19, v20, s4
	v_lshrrev_b32_e32 v74, 16, v10
	v_mul_f32_e32 v10, v26, v75
	v_bfe_u32 v19, v10, 16, 1
	v_or_b32_e32 v20, 0x400000, v10
	v_cmp_u_f32_e64 s4, v10, v10
	v_add3_u32 v19, v19, v10, 0x7fff
	v_cndmask_b32_e64 v10, v19, v20, s4
	v_lshrrev_b32_e32 v75, 16, v10
	v_mul_f32_e32 v10, v26, v76
	v_bfe_u32 v19, v10, 16, 1
	v_or_b32_e32 v20, 0x400000, v10
	v_cmp_u_f32_e64 s4, v10, v10
	v_add3_u32 v19, v19, v10, 0x7fff
	v_cndmask_b32_e64 v10, v19, v20, s4
	v_lshrrev_b32_e32 v77, 16, v10
	v_mul_f32_e32 v10, v26, v116
	v_bfe_u32 v19, v10, 16, 1
	v_or_b32_e32 v20, 0x400000, v10
	v_cmp_u_f32_e64 s4, v10, v10
	v_add3_u32 v19, v19, v10, 0x7fff
	v_cndmask_b32_e64 v10, v19, v20, s4
	v_lshrrev_b32_e32 v78, 16, v10
	v_mul_f32_e32 v10, v26, v35
	v_bfe_u32 v19, v10, 16, 1
	v_or_b32_e32 v20, 0x400000, v10
	v_cmp_u_f32_e64 s4, v10, v10
	v_add3_u32 v19, v19, v10, 0x7fff
	v_cndmask_b32_e64 v10, v19, v20, s4
	v_or_b32_e32 v19, 0x400000, v5
	v_cmp_u_f32_e64 s4, v5, v5
	v_lshrrev_b32_e32 v76, 16, v10
	v_bfe_u32 v10, v5, 16, 1
	v_add3_u32 v10, v10, v5, 0x7fff
	v_cndmask_b32_e64 v5, v10, v19, s4
	v_lshrrev_b32_e32 v79, 16, v5
	s_and_saveexec_b32 s12, vcc_lo
	s_cbranch_execz .LBB395_2045
; %bb.2044:                             ;   in Loop: Header=BB395_1055 Depth=1
	v_cmp_lt_i32_e64 s4, v57, v36
	v_cndmask_b32_e64 v78, 0, v78, s4
	v_cmp_lt_i32_e64 s4, v63, v36
	v_cndmask_b32_e64 v77, 0, v77, s4
	;; [unrolled: 2-line block ×8, first 2 shown]
.LBB395_2045:                           ;   in Loop: Header=BB395_1055 Depth=1
	s_or_b32 exec_lo, exec_lo, s12
	flat_load_dwordx2 v[17:18], v[17:18] offset:1792
	v_mov_b32_e32 v24, 0
	v_mov_b32_e32 v23, 0
	s_waitcnt vmcnt(0) lgkmcnt(0)
	v_cmp_ne_u16_sdwa s4, v17, v11 src0_sel:BYTE_0 src1_sel:DWORD
	s_and_saveexec_b32 s12, s4
	s_cbranch_execz .LBB395_2053
; %bb.2046:                             ;   in Loop: Header=BB395_1055 Depth=1
	v_cmp_ne_u16_sdwa s4, v17, v68 src0_sel:BYTE_0 src1_sel:DWORD
	v_bfrev_b32_e32 v23, 1
	s_and_saveexec_b32 s13, s4
	s_cbranch_execz .LBB395_2052
; %bb.2047:                             ;   in Loop: Header=BB395_1055 Depth=1
	v_and_b32_e32 v10, 0x7f, v17
	v_mov_b32_e32 v23, 0x7f800001
	s_mov_b32 s15, exec_lo
	v_cmpx_ne_u32_e32 0x7f, v10
	s_cbranch_execz .LBB395_2051
; %bb.2048:                             ;   in Loop: Header=BB395_1055 Depth=1
	v_mov_b32_e32 v20, v18
	v_lshrrev_b32_e32 v5, 3, v10
	v_mov_b32_e32 v19, v17
	s_mov_b32 s18, exec_lo
	v_cmpx_gt_u32_e32 8, v10
; %bb.2049:                             ;   in Loop: Header=BB395_1055 Depth=1
	v_and_b32_e32 v5, 7, v17
	v_ffbh_u32_e32 v5, v5
	v_min_u32_e32 v5, 32, v5
	v_subrev_nc_u32_e32 v10, 28, v5
	v_sub_nc_u32_e32 v5, 29, v5
	v_lshlrev_b64 v[19:20], v10, v[17:18]
; %bb.2050:                             ;   in Loop: Header=BB395_1055 Depth=1
	s_or_b32 exec_lo, exec_lo, s18
	v_lshlrev_b32_e32 v10, 20, v19
	v_lshlrev_b32_e32 v19, 24, v17
	v_lshl_add_u32 v5, v5, 23, 0x3c000000
	v_and_b32_e32 v10, 0x700000, v10
	v_and_b32_e32 v19, 0x80000000, v19
	v_or3_b32 v23, v10, v19, v5
.LBB395_2051:                           ;   in Loop: Header=BB395_1055 Depth=1
	s_or_b32 exec_lo, exec_lo, s15
.LBB395_2052:                           ;   in Loop: Header=BB395_1055 Depth=1
	s_or_b32 exec_lo, exec_lo, s13
.LBB395_2053:                           ;   in Loop: Header=BB395_1055 Depth=1
	s_or_b32 exec_lo, exec_lo, s12
	v_cmp_ne_u16_sdwa s4, v17, v11 src0_sel:BYTE_1 src1_sel:DWORD
	s_and_saveexec_b32 s12, s4
	s_cbranch_execz .LBB395_2061
; %bb.2054:                             ;   in Loop: Header=BB395_1055 Depth=1
	v_cmp_ne_u16_sdwa s4, v17, v68 src0_sel:BYTE_1 src1_sel:DWORD
	v_bfrev_b32_e32 v24, 1
	s_and_saveexec_b32 s13, s4
	s_cbranch_execz .LBB395_2060
; %bb.2055:                             ;   in Loop: Header=BB395_1055 Depth=1
	v_mov_b32_e32 v5, 0xffff
	v_mov_b32_e32 v24, 0x7f800001
	s_mov_b32 s15, exec_lo
	v_and_b32_sdwa v5, v5, v17 dst_sel:DWORD dst_unused:UNUSED_PAD src0_sel:DWORD src1_sel:BYTE_1
	v_and_b32_e32 v35, 0x7f, v5
	v_cmpx_ne_u32_e32 0x7f, v35
	s_cbranch_execz .LBB395_2059
; %bb.2056:                             ;   in Loop: Header=BB395_1055 Depth=1
	v_and_b32_e32 v10, 7, v5
	v_mov_b32_e32 v20, v11
	v_lshrrev_b32_e32 v5, 3, v35
	s_mov_b32 s18, exec_lo
	v_mov_b32_e32 v19, v10
	v_cmpx_gt_u32_e32 8, v35
; %bb.2057:                             ;   in Loop: Header=BB395_1055 Depth=1
	v_ffbh_u32_e32 v5, v10
	v_min_u32_e32 v5, 32, v5
	v_subrev_nc_u32_e32 v19, 28, v5
	v_sub_nc_u32_e32 v5, 29, v5
	v_lshlrev_b64 v[19:20], v19, v[10:11]
	v_and_b32_e32 v19, 7, v19
; %bb.2058:                             ;   in Loop: Header=BB395_1055 Depth=1
	s_or_b32 exec_lo, exec_lo, s18
	v_lshlrev_b32_e32 v10, 16, v17
	v_lshlrev_b32_e32 v19, 20, v19
	v_lshl_add_u32 v5, v5, 23, 0x3c000000
	v_and_b32_e32 v10, 0x80000000, v10
	v_or3_b32 v24, v19, v10, v5
.LBB395_2059:                           ;   in Loop: Header=BB395_1055 Depth=1
	s_or_b32 exec_lo, exec_lo, s15
.LBB395_2060:                           ;   in Loop: Header=BB395_1055 Depth=1
	s_or_b32 exec_lo, exec_lo, s13
.LBB395_2061:                           ;   in Loop: Header=BB395_1055 Depth=1
	s_or_b32 exec_lo, exec_lo, s12
	v_and_b32_sdwa v5, v17, v70 dst_sel:DWORD dst_unused:UNUSED_PAD src0_sel:WORD_1 src1_sel:DWORD
	v_mov_b32_e32 v88, 0
	v_mov_b32_e32 v116, 0
	s_mov_b32 s12, exec_lo
	v_cmpx_ne_u16_e32 0, v5
	s_cbranch_execz .LBB395_2069
; %bb.2062:                             ;   in Loop: Header=BB395_1055 Depth=1
	v_bfrev_b32_e32 v116, 1
	s_mov_b32 s13, exec_lo
	v_cmpx_ne_u16_e32 0x80, v5
	s_cbranch_execz .LBB395_2068
; %bb.2063:                             ;   in Loop: Header=BB395_1055 Depth=1
	v_bfe_u32 v35, v17, 16, 7
	v_mov_b32_e32 v116, 0x7f800001
	s_mov_b32 s15, exec_lo
	v_cmpx_ne_u32_e32 0x7f, v35
	s_cbranch_execz .LBB395_2067
; %bb.2064:                             ;   in Loop: Header=BB395_1055 Depth=1
	v_mov_b32_e32 v5, 7
	s_mov_b32 s18, exec_lo
	v_and_b32_sdwa v10, v17, v5 dst_sel:DWORD dst_unused:UNUSED_PAD src0_sel:WORD_1 src1_sel:DWORD
	v_mov_b32_e32 v20, v11
	v_lshrrev_b32_e32 v5, 3, v35
	v_mov_b32_e32 v19, v10
	v_cmpx_gt_u32_e32 8, v35
; %bb.2065:                             ;   in Loop: Header=BB395_1055 Depth=1
	v_ffbh_u32_e32 v5, v10
	v_min_u32_e32 v5, 32, v5
	v_subrev_nc_u32_e32 v19, 28, v5
	v_sub_nc_u32_e32 v5, 29, v5
	v_lshlrev_b64 v[19:20], v19, v[10:11]
	v_and_b32_e32 v19, 7, v19
; %bb.2066:                             ;   in Loop: Header=BB395_1055 Depth=1
	s_or_b32 exec_lo, exec_lo, s18
	v_mov_b32_e32 v10, 24
	v_lshlrev_b32_e32 v19, 20, v19
	v_lshl_add_u32 v5, v5, 23, 0x3c000000
	v_lshlrev_b32_sdwa v10, v10, v17 dst_sel:DWORD dst_unused:UNUSED_PAD src0_sel:DWORD src1_sel:WORD_1
	v_and_b32_e32 v10, 0x80000000, v10
	v_or3_b32 v116, v19, v10, v5
.LBB395_2067:                           ;   in Loop: Header=BB395_1055 Depth=1
	s_or_b32 exec_lo, exec_lo, s15
.LBB395_2068:                           ;   in Loop: Header=BB395_1055 Depth=1
	s_or_b32 exec_lo, exec_lo, s13
.LBB395_2069:                           ;   in Loop: Header=BB395_1055 Depth=1
	s_or_b32 exec_lo, exec_lo, s12
	s_mov_b32 s12, exec_lo
	v_cmpx_lt_u32_e32 0xffffff, v17
	s_cbranch_execz .LBB395_2077
; %bb.2070:                             ;   in Loop: Header=BB395_1055 Depth=1
	v_cmp_ne_u32_sdwa s4, v17, v68 src0_sel:BYTE_3 src1_sel:DWORD
	v_bfrev_b32_e32 v88, 1
	s_and_saveexec_b32 s13, s4
	s_cbranch_execz .LBB395_2076
; %bb.2071:                             ;   in Loop: Header=BB395_1055 Depth=1
	v_bfe_u32 v35, v17, 24, 7
	v_mov_b32_e32 v88, 0x7f800001
	s_mov_b32 s15, exec_lo
	v_cmpx_ne_u32_e32 0x7f, v35
	s_cbranch_execz .LBB395_2075
; %bb.2072:                             ;   in Loop: Header=BB395_1055 Depth=1
	v_mov_b32_e32 v5, 7
	s_mov_b32 s18, exec_lo
	v_and_b32_sdwa v10, v17, v5 dst_sel:DWORD dst_unused:UNUSED_PAD src0_sel:BYTE_3 src1_sel:DWORD
	v_mov_b32_e32 v20, v11
	v_lshrrev_b32_e32 v5, 3, v35
	v_mov_b32_e32 v19, v10
	v_cmpx_gt_u32_e32 8, v35
; %bb.2073:                             ;   in Loop: Header=BB395_1055 Depth=1
	v_ffbh_u32_e32 v5, v10
	v_min_u32_e32 v5, 32, v5
	v_subrev_nc_u32_e32 v19, 28, v5
	v_sub_nc_u32_e32 v5, 29, v5
	v_lshlrev_b64 v[19:20], v19, v[10:11]
	v_and_b32_e32 v19, 7, v19
; %bb.2074:                             ;   in Loop: Header=BB395_1055 Depth=1
	s_or_b32 exec_lo, exec_lo, s18
	v_mov_b32_e32 v10, 24
	v_lshlrev_b32_e32 v19, 20, v19
	v_lshl_add_u32 v5, v5, 23, 0x3c000000
	v_lshlrev_b32_sdwa v10, v10, v17 dst_sel:DWORD dst_unused:UNUSED_PAD src0_sel:DWORD src1_sel:BYTE_3
	v_and_b32_e32 v10, 0x80000000, v10
	v_or3_b32 v88, v19, v10, v5
.LBB395_2075:                           ;   in Loop: Header=BB395_1055 Depth=1
	s_or_b32 exec_lo, exec_lo, s15
.LBB395_2076:                           ;   in Loop: Header=BB395_1055 Depth=1
	s_or_b32 exec_lo, exec_lo, s13
.LBB395_2077:                           ;   in Loop: Header=BB395_1055 Depth=1
	s_or_b32 exec_lo, exec_lo, s12
	v_mov_b32_e32 v10, v18
	v_cmp_ne_u16_sdwa s4, v18, v11 src0_sel:BYTE_0 src1_sel:DWORD
	v_mov_b32_e32 v90, 0
	v_mov_b32_e32 v89, 0
	s_and_saveexec_b32 s12, s4
	s_cbranch_execz .LBB395_2085
; %bb.2078:                             ;   in Loop: Header=BB395_1055 Depth=1
	v_cmp_ne_u16_sdwa s4, v18, v68 src0_sel:BYTE_0 src1_sel:DWORD
	v_bfrev_b32_e32 v89, 1
	s_and_saveexec_b32 s13, s4
	s_cbranch_execz .LBB395_2084
; %bb.2079:                             ;   in Loop: Header=BB395_1055 Depth=1
	v_and_b32_e32 v34, 0x7f, v18
	v_mov_b32_e32 v89, 0x7f800001
	s_mov_b32 s15, exec_lo
	v_cmpx_ne_u32_e32 0x7f, v34
	s_cbranch_execz .LBB395_2083
; %bb.2080:                             ;   in Loop: Header=BB395_1055 Depth=1
	v_mov_b32_e32 v20, v11
	v_mov_b32_e32 v19, v10
	v_lshrrev_b32_e32 v5, 3, v34
	s_mov_b32 s18, exec_lo
	v_cmpx_gt_u32_e32 8, v34
; %bb.2081:                             ;   in Loop: Header=BB395_1055 Depth=1
	v_and_b32_e32 v5, 7, v18
	v_ffbh_u32_e32 v5, v5
	v_min_u32_e32 v5, 32, v5
	v_subrev_nc_u32_e32 v19, 28, v5
	v_sub_nc_u32_e32 v5, 29, v5
	v_lshlrev_b64 v[19:20], v19, v[10:11]
; %bb.2082:                             ;   in Loop: Header=BB395_1055 Depth=1
	s_or_b32 exec_lo, exec_lo, s18
	v_lshlrev_b32_e32 v19, 20, v19
	v_lshlrev_b32_e32 v20, 24, v10
	v_lshl_add_u32 v5, v5, 23, 0x3c000000
	v_and_b32_e32 v19, 0x700000, v19
	v_and_b32_e32 v20, 0x80000000, v20
	v_or3_b32 v89, v19, v20, v5
.LBB395_2083:                           ;   in Loop: Header=BB395_1055 Depth=1
	s_or_b32 exec_lo, exec_lo, s15
.LBB395_2084:                           ;   in Loop: Header=BB395_1055 Depth=1
	s_or_b32 exec_lo, exec_lo, s13
.LBB395_2085:                           ;   in Loop: Header=BB395_1055 Depth=1
	s_or_b32 exec_lo, exec_lo, s12
	v_cmp_ne_u16_sdwa s4, v10, v11 src0_sel:BYTE_1 src1_sel:DWORD
	s_and_saveexec_b32 s12, s4
	s_cbranch_execz .LBB395_2093
; %bb.2086:                             ;   in Loop: Header=BB395_1055 Depth=1
	v_cmp_ne_u16_sdwa s4, v10, v68 src0_sel:BYTE_1 src1_sel:DWORD
	v_bfrev_b32_e32 v90, 1
	s_and_saveexec_b32 s13, s4
	s_cbranch_execz .LBB395_2092
; %bb.2087:                             ;   in Loop: Header=BB395_1055 Depth=1
	v_mov_b32_e32 v5, 0xffff
	v_mov_b32_e32 v90, 0x7f800001
	s_mov_b32 s15, exec_lo
	v_and_b32_sdwa v5, v5, v10 dst_sel:DWORD dst_unused:UNUSED_PAD src0_sel:DWORD src1_sel:BYTE_1
	v_and_b32_e32 v34, 0x7f, v5
	v_cmpx_ne_u32_e32 0x7f, v34
	s_cbranch_execz .LBB395_2091
; %bb.2088:                             ;   in Loop: Header=BB395_1055 Depth=1
	v_and_b32_e32 v19, 7, v5
	v_mov_b32_e32 v20, v11
	v_lshrrev_b32_e32 v5, 3, v34
	s_mov_b32 s18, exec_lo
	v_cmpx_gt_u32_e32 8, v34
; %bb.2089:                             ;   in Loop: Header=BB395_1055 Depth=1
	v_ffbh_u32_e32 v5, v19
	v_min_u32_e32 v5, 32, v5
	v_subrev_nc_u32_e32 v34, 28, v5
	v_sub_nc_u32_e32 v5, 29, v5
	v_lshlrev_b64 v[19:20], v34, v[19:20]
	v_and_b32_e32 v19, 7, v19
; %bb.2090:                             ;   in Loop: Header=BB395_1055 Depth=1
	s_or_b32 exec_lo, exec_lo, s18
	v_lshlrev_b32_e32 v10, 16, v10
	v_lshlrev_b32_e32 v19, 20, v19
	v_lshl_add_u32 v5, v5, 23, 0x3c000000
	v_and_b32_e32 v10, 0x80000000, v10
	v_or3_b32 v90, v19, v10, v5
.LBB395_2091:                           ;   in Loop: Header=BB395_1055 Depth=1
	s_or_b32 exec_lo, exec_lo, s15
.LBB395_2092:                           ;   in Loop: Header=BB395_1055 Depth=1
	s_or_b32 exec_lo, exec_lo, s13
.LBB395_2093:                           ;   in Loop: Header=BB395_1055 Depth=1
	s_or_b32 exec_lo, exec_lo, s12
	v_and_b32_sdwa v10, v18, v70 dst_sel:DWORD dst_unused:UNUSED_PAD src0_sel:WORD_1 src1_sel:DWORD
	v_mov_b32_e32 v5, 0
	v_mov_b32_e32 v35, 0
	s_mov_b32 s12, exec_lo
	v_cmpx_ne_u16_e32 0, v10
	s_cbranch_execz .LBB395_2101
; %bb.2094:                             ;   in Loop: Header=BB395_1055 Depth=1
	v_bfrev_b32_e32 v35, 1
	s_mov_b32 s13, exec_lo
	v_cmpx_ne_u16_e32 0x80, v10
	s_cbranch_execz .LBB395_2100
; %bb.2095:                             ;   in Loop: Header=BB395_1055 Depth=1
	v_bfe_u32 v34, v18, 16, 7
	v_mov_b32_e32 v35, 0x7f800001
	s_mov_b32 s15, exec_lo
	v_cmpx_ne_u32_e32 0x7f, v34
	s_cbranch_execz .LBB395_2099
; %bb.2096:                             ;   in Loop: Header=BB395_1055 Depth=1
	v_mov_b32_e32 v10, 7
	s_mov_b32 s18, exec_lo
	v_and_b32_sdwa v10, v18, v10 dst_sel:DWORD dst_unused:UNUSED_PAD src0_sel:WORD_1 src1_sel:DWORD
	v_mov_b32_e32 v20, v11
	v_lshrrev_b32_e32 v20, 3, v34
	v_mov_b32_e32 v19, v10
	v_cmpx_gt_u32_e32 8, v34
; %bb.2097:                             ;   in Loop: Header=BB395_1055 Depth=1
	v_ffbh_u32_e32 v19, v10
	v_min_u32_e32 v34, 32, v19
	v_subrev_nc_u32_e32 v19, 28, v34
	v_lshlrev_b64 v[19:20], v19, v[10:11]
	v_sub_nc_u32_e32 v20, 29, v34
	v_and_b32_e32 v19, 7, v19
; %bb.2098:                             ;   in Loop: Header=BB395_1055 Depth=1
	s_or_b32 exec_lo, exec_lo, s18
	v_mov_b32_e32 v10, 24
	v_lshlrev_b32_e32 v19, 20, v19
	v_lshl_add_u32 v20, v20, 23, 0x3c000000
	v_lshlrev_b32_sdwa v10, v10, v18 dst_sel:DWORD dst_unused:UNUSED_PAD src0_sel:DWORD src1_sel:WORD_1
	v_and_b32_e32 v10, 0x80000000, v10
	v_or3_b32 v35, v19, v10, v20
.LBB395_2099:                           ;   in Loop: Header=BB395_1055 Depth=1
	s_or_b32 exec_lo, exec_lo, s15
.LBB395_2100:                           ;   in Loop: Header=BB395_1055 Depth=1
	s_or_b32 exec_lo, exec_lo, s13
.LBB395_2101:                           ;   in Loop: Header=BB395_1055 Depth=1
	s_or_b32 exec_lo, exec_lo, s12
	s_mov_b32 s12, exec_lo
	v_cmpx_lt_u64_e64 s[8:9], v[17:18]
	s_cbranch_execz .LBB395_2109
; %bb.2102:                             ;   in Loop: Header=BB395_1055 Depth=1
	v_cmp_ne_u32_sdwa s4, v18, v68 src0_sel:BYTE_3 src1_sel:DWORD
	v_bfrev_b32_e32 v5, 1
	s_and_saveexec_b32 s13, s4
	s_cbranch_execz .LBB395_2108
; %bb.2103:                             ;   in Loop: Header=BB395_1055 Depth=1
	v_bfe_u32 v17, v18, 24, 7
	v_mov_b32_e32 v5, 0x7f800001
	s_mov_b32 s15, exec_lo
	v_cmpx_ne_u32_e32 0x7f, v17
	s_cbranch_execz .LBB395_2107
; %bb.2104:                             ;   in Loop: Header=BB395_1055 Depth=1
	v_mov_b32_e32 v5, 7
	s_mov_b32 s18, exec_lo
	v_and_b32_sdwa v10, v18, v5 dst_sel:DWORD dst_unused:UNUSED_PAD src0_sel:BYTE_3 src1_sel:DWORD
	v_mov_b32_e32 v20, v11
	v_lshrrev_b32_e32 v5, 3, v17
	v_mov_b32_e32 v19, v10
	v_cmpx_gt_u32_e32 8, v17
; %bb.2105:                             ;   in Loop: Header=BB395_1055 Depth=1
	v_ffbh_u32_e32 v5, v10
	v_min_u32_e32 v5, 32, v5
	v_subrev_nc_u32_e32 v17, 28, v5
	v_sub_nc_u32_e32 v5, 29, v5
	v_lshlrev_b64 v[19:20], v17, v[10:11]
	v_and_b32_e32 v19, 7, v19
; %bb.2106:                             ;   in Loop: Header=BB395_1055 Depth=1
	s_or_b32 exec_lo, exec_lo, s18
	v_mov_b32_e32 v10, 24
	v_lshlrev_b32_e32 v17, 20, v19
	v_lshl_add_u32 v5, v5, 23, 0x3c000000
	v_lshlrev_b32_sdwa v10, v10, v18 dst_sel:DWORD dst_unused:UNUSED_PAD src0_sel:DWORD src1_sel:BYTE_3
	v_and_b32_e32 v10, 0x80000000, v10
	v_or3_b32 v5, v17, v10, v5
.LBB395_2107:                           ;   in Loop: Header=BB395_1055 Depth=1
	s_or_b32 exec_lo, exec_lo, s15
.LBB395_2108:                           ;   in Loop: Header=BB395_1055 Depth=1
	s_or_b32 exec_lo, exec_lo, s13
.LBB395_2109:                           ;   in Loop: Header=BB395_1055 Depth=1
	s_or_b32 exec_lo, exec_lo, s12
	v_mul_f32_e32 v10, v26, v90
	v_mul_f32_e32 v5, v26, v5
	v_bfe_u32 v17, v10, 16, 1
	v_or_b32_e32 v18, 0x400000, v10
	v_cmp_u_f32_e64 s4, v10, v10
	v_add3_u32 v17, v17, v10, 0x7fff
	v_cndmask_b32_e64 v10, v17, v18, s4
	v_mul_f32_e32 v17, v26, v89
	v_lshrrev_b32_e32 v10, 16, v10
	v_bfe_u32 v18, v17, 16, 1
	v_or_b32_e32 v19, 0x400000, v17
	v_cmp_u_f32_e64 s4, v17, v17
	v_add3_u32 v18, v18, v17, 0x7fff
	v_cndmask_b32_e64 v17, v18, v19, s4
	v_mul_f32_e32 v18, v26, v88
	v_lshrrev_b32_e32 v17, 16, v17
	;; [unrolled: 7-line block ×3, first 2 shown]
	v_bfe_u32 v20, v19, 16, 1
	v_or_b32_e32 v34, 0x400000, v19
	v_cmp_u_f32_e64 s4, v19, v19
	v_add3_u32 v20, v20, v19, 0x7fff
	v_cndmask_b32_e64 v19, v20, v34, s4
	v_lshrrev_b32_e32 v20, 16, v19
	v_mul_f32_e32 v19, v26, v24
	v_bfe_u32 v24, v19, 16, 1
	v_or_b32_e32 v34, 0x400000, v19
	v_cmp_u_f32_e64 s4, v19, v19
	v_add3_u32 v24, v24, v19, 0x7fff
	v_cndmask_b32_e64 v19, v24, v34, s4
	v_lshrrev_b32_e32 v24, 16, v19
	v_mul_f32_e32 v19, v26, v23
	;; [unrolled: 7-line block ×3, first 2 shown]
	v_bfe_u32 v23, v19, 16, 1
	v_or_b32_e32 v34, 0x400000, v19
	v_cmp_u_f32_e64 s4, v19, v19
	v_add3_u32 v23, v23, v19, 0x7fff
	v_cndmask_b32_e64 v19, v23, v34, s4
	v_bfe_u32 v23, v5, 16, 1
	v_or_b32_e32 v34, 0x400000, v5
	v_cmp_u_f32_e64 s4, v5, v5
	v_lshrrev_b32_e32 v19, 16, v19
	v_add3_u32 v23, v23, v5, 0x7fff
	v_cndmask_b32_e64 v5, v23, v34, s4
	v_lshrrev_b32_e32 v23, 16, v5
	s_and_saveexec_b32 s4, vcc_lo
	s_cbranch_execz .LBB395_1054
; %bb.2110:                             ;   in Loop: Header=BB395_1055 Depth=1
	v_cmp_lt_i32_e32 vcc_lo, v57, v36
	v_cndmask_b32_e32 v116, 0, v116, vcc_lo
	v_cmp_lt_i32_e32 vcc_lo, v63, v36
	v_cndmask_b32_e32 v24, 0, v24, vcc_lo
	;; [unrolled: 2-line block ×8, first 2 shown]
	s_branch .LBB395_1054
.LBB395_2111:
	s_or_b32 exec_lo, exec_lo, s11
	s_clause 0x2
	buffer_load_dword v18, off, s[0:3], s32 offset:412
	buffer_load_dword v17, off, s[0:3], s32 offset:416
	;; [unrolled: 1-line block ×3, first 2 shown]
	v_mov_b32_e32 v0, s16
	v_mov_b32_e32 v1, s17
.LBB395_2112:
	s_or_b32 exec_lo, exec_lo, s7
	s_waitcnt vmcnt(1)
	ds_bpermute_b32 v12, v17, v32
	s_waitcnt vmcnt(0) lgkmcnt(0)
	s_waitcnt_vscnt null, 0x0
	s_barrier
	buffer_gl0_inv
	v_lshlrev_b64 v[0:1], 2, v[0:1]
	s_getpc_b64 s[8:9]
	s_add_u32 s8, s8, llvm.amdgcn.dynlds.offset.table@rel32@lo+4
	s_addc_u32 s9, s9, llvm.amdgcn.dynlds.offset.table@rel32@hi+12
	ds_bpermute_b32 v2, v17, v64
	ds_bpermute_b32 v3, v17, v55
	;; [unrolled: 1-line block ×4, first 2 shown]
	v_add_co_u32 v0, vcc_lo, s8, v0
	v_add_co_ci_u32_e64 v1, null, s9, v1, vcc_lo
	ds_bpermute_b32 v6, v17, v51
	ds_bpermute_b32 v7, v17, v50
	;; [unrolled: 1-line block ×3, first 2 shown]
	global_load_dword v16, v[0:1], off
	ds_bpermute_b32 v0, v17, v54
	ds_bpermute_b32 v1, v17, v65
	v_add_f32_e32 v23, v32, v12
	buffer_load_dword v12, off, s[0:3], s32 offset:860 ; 4-byte Folded Reload
	ds_bpermute_b32 v9, v17, v48
	ds_bpermute_b32 v10, v17, v39
	;; [unrolled: 1-line block ×6, first 2 shown]
	s_waitcnt lgkmcnt(14)
	v_add_f32_e32 v2, v64, v2
	s_waitcnt lgkmcnt(13)
	v_add_f32_e32 v3, v55, v3
	;; [unrolled: 2-line block ×4, first 2 shown]
	ds_bpermute_b32 v35, v18, v23
	s_mov_b32 s4, exec_lo
	s_waitcnt lgkmcnt(11)
	v_add_f32_e32 v6, v51, v6
	s_waitcnt lgkmcnt(10)
	v_add_f32_e32 v7, v50, v7
	;; [unrolled: 2-line block ×3, first 2 shown]
	ds_bpermute_b32 v27, v18, v4
	s_waitcnt lgkmcnt(9)
	v_add_f32_e32 v0, v54, v0
	s_waitcnt lgkmcnt(8)
	v_add_f32_e32 v1, v65, v1
	ds_bpermute_b32 v28, v18, v5
	s_waitcnt lgkmcnt(8)
	v_add_f32_e32 v20, v48, v9
	s_waitcnt lgkmcnt(7)
	v_add_f32_e32 v21, v39, v10
	;; [unrolled: 2-line block ×6, first 2 shown]
	ds_bpermute_b32 v8, v18, v0
	ds_bpermute_b32 v9, v18, v1
	;; [unrolled: 1-line block ×13, first 2 shown]
	s_waitcnt lgkmcnt(12)
	v_add_f32_e32 v15, v0, v8
	s_waitcnt lgkmcnt(11)
	v_add_f32_e32 v14, v1, v9
	;; [unrolled: 2-line block ×3, first 2 shown]
	v_add_f32_e32 v10, v5, v28
	s_waitcnt lgkmcnt(8)
	v_add_f32_e32 v9, v6, v29
	s_waitcnt lgkmcnt(7)
	;; [unrolled: 2-line block ×8, first 2 shown]
	v_add_f32_e32 v0, v26, v38
	s_waitcnt vmcnt(0)
	v_lshrrev_b32_e32 v18, 2, v12
	v_and_b32_e32 v39, 28, v12
	buffer_load_dword v12, off, s[0:3], s32 offset:864 ; 4-byte Folded Reload
	v_add_nc_u32_e32 v17, v16, v39
	s_waitcnt vmcnt(0)
	v_lshlrev_b32_e32 v19, 9, v12
	buffer_load_dword v12, off, s[0:3], s32 offset:856 ; 4-byte Folded Reload
	s_waitcnt vmcnt(0)
	v_and_b32_e32 v48, 0x3c3, v12
	v_add_f32_e32 v12, v3, v11
	v_add_f32_e32 v11, v4, v27
	;; [unrolled: 1-line block ×4, first 2 shown]
	v_cmpx_eq_u32_e32 64, v48
	s_cbranch_execz .LBB395_2114
; %bb.2113:
	v_add_nc_u32_e32 v20, v17, v19
	v_add_nc_u32_e32 v21, 0xfffffc00, v20
	v_add_nc_u32_e32 v22, 0xfffffc20, v20
	v_add_nc_u32_e32 v23, 0xfffffc40, v20
	v_add_nc_u32_e32 v24, 0xfffffc60, v20
	v_add_nc_u32_e32 v25, 0xfffffc80, v20
	v_add_nc_u32_e32 v26, 0xfffffca0, v20
	ds_write_b32 v21, v15
	ds_write_b32 v22, v14
	;; [unrolled: 1-line block ×6, first 2 shown]
	v_add_nc_u32_e32 v21, 0xfffffcc0, v20
	v_add_nc_u32_e32 v22, 0xfffffce0, v20
	;; [unrolled: 1-line block ×5, first 2 shown]
	ds_write_b32 v21, v9
	ds_write_b32 v22, v8
	;; [unrolled: 1-line block ×5, first 2 shown]
	v_add_nc_u32_e32 v21, 0xfffffd60, v20
	v_add_nc_u32_e32 v22, 0xfffffd80, v20
	;; [unrolled: 1-line block ×5, first 2 shown]
	ds_write_b32 v21, v4
	ds_write_b32 v22, v3
	;; [unrolled: 1-line block ×5, first 2 shown]
.LBB395_2114:
	s_or_b32 exec_lo, exec_lo, s4
	v_lshlrev_b32_e32 v18, 2, v18
	s_mov_b32 s7, exec_lo
	v_cmp_eq_u32_e32 vcc_lo, 0, v66
	v_add3_u32 v16, v16, v19, v18
	buffer_load_dword v18, off, s[0:3], s32 offset:856 ; 4-byte Folded Reload
	s_waitcnt vmcnt(0) lgkmcnt(0)
	s_barrier
	buffer_gl0_inv
	v_cmpx_gt_u32_e32 64, v18
	s_cbranch_execz .LBB395_2133
; %bb.2115:
	s_and_saveexec_b32 s4, vcc_lo
	s_cbranch_execnz .LBB395_2157
; %bb.2116:
	s_or_b32 exec_lo, exec_lo, s4
	s_and_saveexec_b32 s4, vcc_lo
	s_cbranch_execnz .LBB395_2158
.LBB395_2117:
	s_or_b32 exec_lo, exec_lo, s4
	s_and_saveexec_b32 s4, vcc_lo
	s_cbranch_execnz .LBB395_2159
.LBB395_2118:
	s_or_b32 exec_lo, exec_lo, s4
	s_and_saveexec_b32 s4, vcc_lo
	s_cbranch_execnz .LBB395_2160
.LBB395_2119:
	s_or_b32 exec_lo, exec_lo, s4
	s_and_saveexec_b32 s4, vcc_lo
	s_cbranch_execnz .LBB395_2161
.LBB395_2120:
	s_or_b32 exec_lo, exec_lo, s4
	s_and_saveexec_b32 s4, vcc_lo
	s_cbranch_execnz .LBB395_2162
.LBB395_2121:
	s_or_b32 exec_lo, exec_lo, s4
	s_and_saveexec_b32 s4, vcc_lo
	s_cbranch_execnz .LBB395_2163
.LBB395_2122:
	s_or_b32 exec_lo, exec_lo, s4
	s_and_saveexec_b32 s4, vcc_lo
	s_cbranch_execnz .LBB395_2164
.LBB395_2123:
	s_or_b32 exec_lo, exec_lo, s4
	s_and_saveexec_b32 s4, vcc_lo
	s_cbranch_execnz .LBB395_2165
.LBB395_2124:
	s_or_b32 exec_lo, exec_lo, s4
	s_and_saveexec_b32 s4, vcc_lo
	s_cbranch_execnz .LBB395_2166
.LBB395_2125:
	s_or_b32 exec_lo, exec_lo, s4
	s_and_saveexec_b32 s4, vcc_lo
	s_cbranch_execnz .LBB395_2167
.LBB395_2126:
	s_or_b32 exec_lo, exec_lo, s4
	s_and_saveexec_b32 s4, vcc_lo
	s_cbranch_execnz .LBB395_2168
.LBB395_2127:
	s_or_b32 exec_lo, exec_lo, s4
	s_and_saveexec_b32 s4, vcc_lo
	s_cbranch_execnz .LBB395_2169
.LBB395_2128:
	s_or_b32 exec_lo, exec_lo, s4
	s_and_saveexec_b32 s4, vcc_lo
	s_cbranch_execnz .LBB395_2170
.LBB395_2129:
	s_or_b32 exec_lo, exec_lo, s4
	s_and_saveexec_b32 s4, vcc_lo
	s_cbranch_execnz .LBB395_2171
.LBB395_2130:
	s_or_b32 exec_lo, exec_lo, s4
	s_and_saveexec_b32 s4, vcc_lo
	s_cbranch_execz .LBB395_2132
.LBB395_2131:
	ds_read_b32 v18, v16 offset:480
	s_waitcnt lgkmcnt(0)
	v_add_f32_e32 v0, v18, v0
.LBB395_2132:
	s_or_b32 exec_lo, exec_lo, s4
.LBB395_2133:
	s_or_b32 exec_lo, exec_lo, s7
	buffer_load_dword v18, off, s[0:3], s32 offset:856 ; 4-byte Folded Reload
	s_mov_b32 s7, exec_lo
	s_waitcnt vmcnt(0)
	s_barrier
	buffer_gl0_inv
	v_and_b32_e32 v18, 0x3e3, v18
	v_cmpx_eq_u32_e32 32, v18
	s_cbranch_execz .LBB395_2135
; %bb.2134:
	ds_write2_b32 v17, v15, v14 offset1:8
	ds_write2_b32 v17, v13, v12 offset0:16 offset1:24
	ds_write2_b32 v17, v11, v10 offset0:32 offset1:40
	;; [unrolled: 1-line block ×7, first 2 shown]
.LBB395_2135:
	s_or_b32 exec_lo, exec_lo, s7
	buffer_load_dword v17, off, s[0:3], s32 offset:856 ; 4-byte Folded Reload
	s_mov_b32 s7, exec_lo
	s_waitcnt vmcnt(0) lgkmcnt(0)
	s_barrier
	buffer_gl0_inv
	v_cmpx_gt_u32_e32 32, v17
	s_cbranch_execz .LBB395_2154
; %bb.2136:
	s_and_saveexec_b32 s4, vcc_lo
	s_cbranch_execnz .LBB395_2172
; %bb.2137:
	s_or_b32 exec_lo, exec_lo, s4
	s_and_saveexec_b32 s4, vcc_lo
	s_cbranch_execnz .LBB395_2173
.LBB395_2138:
	s_or_b32 exec_lo, exec_lo, s4
	s_and_saveexec_b32 s4, vcc_lo
	s_cbranch_execnz .LBB395_2174
.LBB395_2139:
	s_or_b32 exec_lo, exec_lo, s4
	s_and_saveexec_b32 s4, vcc_lo
	s_cbranch_execnz .LBB395_2175
.LBB395_2140:
	s_or_b32 exec_lo, exec_lo, s4
	s_and_saveexec_b32 s4, vcc_lo
	s_cbranch_execnz .LBB395_2176
.LBB395_2141:
	s_or_b32 exec_lo, exec_lo, s4
	s_and_saveexec_b32 s4, vcc_lo
	s_cbranch_execnz .LBB395_2177
.LBB395_2142:
	s_or_b32 exec_lo, exec_lo, s4
	s_and_saveexec_b32 s4, vcc_lo
	s_cbranch_execnz .LBB395_2178
.LBB395_2143:
	s_or_b32 exec_lo, exec_lo, s4
	s_and_saveexec_b32 s4, vcc_lo
	s_cbranch_execnz .LBB395_2179
.LBB395_2144:
	s_or_b32 exec_lo, exec_lo, s4
	s_and_saveexec_b32 s4, vcc_lo
	s_cbranch_execnz .LBB395_2180
.LBB395_2145:
	s_or_b32 exec_lo, exec_lo, s4
	s_and_saveexec_b32 s4, vcc_lo
	s_cbranch_execnz .LBB395_2181
.LBB395_2146:
	s_or_b32 exec_lo, exec_lo, s4
	s_and_saveexec_b32 s4, vcc_lo
	s_cbranch_execnz .LBB395_2182
.LBB395_2147:
	s_or_b32 exec_lo, exec_lo, s4
	s_and_saveexec_b32 s4, vcc_lo
	s_cbranch_execnz .LBB395_2183
.LBB395_2148:
	s_or_b32 exec_lo, exec_lo, s4
	s_and_saveexec_b32 s4, vcc_lo
	s_cbranch_execnz .LBB395_2184
.LBB395_2149:
	s_or_b32 exec_lo, exec_lo, s4
	s_and_saveexec_b32 s4, vcc_lo
	s_cbranch_execnz .LBB395_2185
.LBB395_2150:
	s_or_b32 exec_lo, exec_lo, s4
	s_and_saveexec_b32 s4, vcc_lo
	s_cbranch_execnz .LBB395_2186
.LBB395_2151:
	s_or_b32 exec_lo, exec_lo, s4
	s_and_saveexec_b32 s4, vcc_lo
	s_cbranch_execz .LBB395_2153
.LBB395_2152:
	ds_read_b32 v16, v16 offset:480
	s_waitcnt lgkmcnt(0)
	v_add_f32_e32 v0, v16, v0
.LBB395_2153:
	s_or_b32 exec_lo, exec_lo, s4
.LBB395_2154:
	s_or_b32 exec_lo, exec_lo, s7
	v_cmp_eq_u32_e32 vcc_lo, 0, v18
	s_barrier
	buffer_gl0_inv
	s_and_b32 exec_lo, exec_lo, vcc_lo
	s_cbranch_execz .LBB395_2156
; %bb.2155:
	s_clause 0x2
	buffer_load_dword v16, off, s[0:3], s32 offset:872
	buffer_load_dword v17, off, s[0:3], s32 offset:868
	;; [unrolled: 1-line block ×3, first 2 shown]
	s_lshl_b32 s6, s6, 7
	s_mul_i32 s4, s10, s5
	s_ashr_i32 s7, s6, 31
	s_ashr_i32 s5, s4, 31
	s_lshl_b64 s[6:7], s[6:7], 1
	s_lshl_b64 s[4:5], s[4:5], 1
	v_bfe_u32 v19, v15, 16, 1
	v_or_b32_e32 v20, 0x400000, v15
	v_add3_u32 v19, v19, v15, 0x7fff
	s_waitcnt vmcnt(2)
	v_add_co_u32 v16, vcc_lo, v16, s6
	s_waitcnt vmcnt(1)
	v_add_co_ci_u32_e64 v17, null, s7, v17, vcc_lo
	s_lshl_b32 s6, s14, 7
	v_add_co_u32 v16, vcc_lo, v16, s4
	s_ashr_i32 s7, s6, 31
	v_add_co_ci_u32_e64 v17, null, s5, v17, vcc_lo
	s_lshl_b64 s[4:5], s[6:7], 1
	s_waitcnt vmcnt(0)
	v_lshrrev_b32_e32 v18, 1, v18
	v_add_co_u32 v16, vcc_lo, v16, s4
	v_add_co_ci_u32_e64 v17, null, s5, v17, vcc_lo
	v_add_co_u32 v16, vcc_lo, v16, v18
	v_add_co_ci_u32_e64 v17, null, 0, v17, vcc_lo
	v_bfe_u32 v18, v14, 16, 1
	v_cmp_u_f32_e32 vcc_lo, v15, v15
	v_add3_u32 v18, v18, v14, 0x7fff
	v_cndmask_b32_e32 v15, v19, v20, vcc_lo
	v_bfe_u32 v19, v13, 16, 1
	v_or_b32_e32 v20, 0x400000, v14
	v_cmp_u_f32_e32 vcc_lo, v14, v14
	flat_store_short_d16_hi v[16:17], v15
	v_add3_u32 v15, v19, v13, 0x7fff
	v_or_b32_e32 v19, 0x400000, v13
	v_cndmask_b32_e32 v14, v18, v20, vcc_lo
	v_bfe_u32 v18, v12, 16, 1
	v_cmp_u_f32_e32 vcc_lo, v13, v13
	flat_store_short_d16_hi v[16:17], v14 offset:16
	v_add3_u32 v14, v18, v12, 0x7fff
	v_cndmask_b32_e32 v13, v15, v19, vcc_lo
	v_bfe_u32 v15, v11, 16, 1
	v_or_b32_e32 v18, 0x400000, v12
	v_cmp_u_f32_e32 vcc_lo, v12, v12
	flat_store_short_d16_hi v[16:17], v13 offset:32
	v_add3_u32 v13, v15, v11, 0x7fff
	v_or_b32_e32 v15, 0x400000, v11
	v_cndmask_b32_e32 v12, v14, v18, vcc_lo
	v_bfe_u32 v14, v10, 16, 1
	v_cmp_u_f32_e32 vcc_lo, v11, v11
	flat_store_short_d16_hi v[16:17], v12 offset:48
	v_add3_u32 v12, v14, v10, 0x7fff
	v_cndmask_b32_e32 v11, v13, v15, vcc_lo
	v_bfe_u32 v13, v9, 16, 1
	v_or_b32_e32 v14, 0x400000, v10
	v_cmp_u_f32_e32 vcc_lo, v10, v10
	flat_store_short_d16_hi v[16:17], v11 offset:64
	v_add3_u32 v11, v13, v9, 0x7fff
	v_or_b32_e32 v13, 0x400000, v9
	v_cndmask_b32_e32 v10, v12, v14, vcc_lo
	v_bfe_u32 v12, v8, 16, 1
	v_cmp_u_f32_e32 vcc_lo, v9, v9
	flat_store_short_d16_hi v[16:17], v10 offset:80
	v_add3_u32 v10, v12, v8, 0x7fff
	v_cndmask_b32_e32 v9, v11, v13, vcc_lo
	v_bfe_u32 v11, v7, 16, 1
	v_or_b32_e32 v12, 0x400000, v8
	v_cmp_u_f32_e32 vcc_lo, v8, v8
	flat_store_short_d16_hi v[16:17], v9 offset:96
	v_add3_u32 v9, v11, v7, 0x7fff
	v_or_b32_e32 v11, 0x400000, v7
	v_cndmask_b32_e32 v8, v10, v12, vcc_lo
	v_bfe_u32 v10, v6, 16, 1
	v_cmp_u_f32_e32 vcc_lo, v7, v7
	flat_store_short_d16_hi v[16:17], v8 offset:112
	v_add3_u32 v8, v10, v6, 0x7fff
	v_cndmask_b32_e32 v7, v9, v11, vcc_lo
	v_bfe_u32 v9, v5, 16, 1
	v_or_b32_e32 v10, 0x400000, v6
	v_cmp_u_f32_e32 vcc_lo, v6, v6
	flat_store_short_d16_hi v[16:17], v7 offset:128
	v_add3_u32 v7, v9, v5, 0x7fff
	v_or_b32_e32 v9, 0x400000, v5
	v_cndmask_b32_e32 v6, v8, v10, vcc_lo
	v_bfe_u32 v8, v4, 16, 1
	v_cmp_u_f32_e32 vcc_lo, v5, v5
	v_or_b32_e32 v10, 0x400000, v0
	flat_store_short_d16_hi v[16:17], v6 offset:144
	v_add3_u32 v6, v8, v4, 0x7fff
	v_cndmask_b32_e32 v5, v7, v9, vcc_lo
	v_bfe_u32 v7, v3, 16, 1
	v_or_b32_e32 v8, 0x400000, v4
	v_cmp_u_f32_e32 vcc_lo, v4, v4
	v_or_b32_e32 v9, 0x400000, v1
	flat_store_short_d16_hi v[16:17], v5 offset:160
	v_add3_u32 v5, v7, v3, 0x7fff
	v_or_b32_e32 v7, 0x400000, v3
	v_cndmask_b32_e32 v4, v6, v8, vcc_lo
	v_bfe_u32 v6, v2, 16, 1
	v_cmp_u_f32_e32 vcc_lo, v3, v3
	v_bfe_u32 v8, v1, 16, 1
	v_add3_u32 v6, v6, v2, 0x7fff
	v_cndmask_b32_e32 v3, v5, v7, vcc_lo
	v_or_b32_e32 v7, 0x400000, v2
	v_cmp_u_f32_e32 vcc_lo, v2, v2
	v_bfe_u32 v5, v0, 16, 1
	v_add3_u32 v8, v8, v1, 0x7fff
	v_cndmask_b32_e32 v2, v6, v7, vcc_lo
	v_cmp_u_f32_e32 vcc_lo, v1, v1
	v_add3_u32 v5, v5, v0, 0x7fff
	v_cndmask_b32_e32 v1, v8, v9, vcc_lo
	v_cmp_u_f32_e32 vcc_lo, v0, v0
	v_cndmask_b32_e32 v0, v5, v10, vcc_lo
	flat_store_short_d16_hi v[16:17], v4 offset:176
	flat_store_short_d16_hi v[16:17], v3 offset:192
	;; [unrolled: 1-line block ×5, first 2 shown]
.LBB395_2156:
	s_or_b32 exec_lo, exec_lo, s19
	s_clause 0x2f
	buffer_load_dword v127, off, s[0:3], s32
	buffer_load_dword v126, off, s[0:3], s32 offset:4
	buffer_load_dword v125, off, s[0:3], s32 offset:8
	;; [unrolled: 1-line block ×47, first 2 shown]
	s_waitcnt vmcnt(0) lgkmcnt(0)
	s_setpc_b64 s[30:31]
.LBB395_2157:
	ds_read_b32 v18, v16
	s_waitcnt lgkmcnt(0)
	v_add_f32_e32 v15, v18, v15
	s_or_b32 exec_lo, exec_lo, s4
	s_and_saveexec_b32 s4, vcc_lo
	s_cbranch_execz .LBB395_2117
.LBB395_2158:
	ds_read_b32 v18, v16 offset:32
	s_waitcnt lgkmcnt(0)
	v_add_f32_e32 v14, v18, v14
	s_or_b32 exec_lo, exec_lo, s4
	s_and_saveexec_b32 s4, vcc_lo
	s_cbranch_execz .LBB395_2118
.LBB395_2159:
	ds_read_b32 v18, v16 offset:64
	s_waitcnt lgkmcnt(0)
	v_add_f32_e32 v13, v18, v13
	s_or_b32 exec_lo, exec_lo, s4
	s_and_saveexec_b32 s4, vcc_lo
	s_cbranch_execz .LBB395_2119
.LBB395_2160:
	ds_read_b32 v18, v16 offset:96
	s_waitcnt lgkmcnt(0)
	v_add_f32_e32 v12, v18, v12
	s_or_b32 exec_lo, exec_lo, s4
	s_and_saveexec_b32 s4, vcc_lo
	s_cbranch_execz .LBB395_2120
.LBB395_2161:
	ds_read_b32 v18, v16 offset:128
	s_waitcnt lgkmcnt(0)
	v_add_f32_e32 v11, v18, v11
	s_or_b32 exec_lo, exec_lo, s4
	s_and_saveexec_b32 s4, vcc_lo
	s_cbranch_execz .LBB395_2121
.LBB395_2162:
	ds_read_b32 v18, v16 offset:160
	s_waitcnt lgkmcnt(0)
	v_add_f32_e32 v10, v18, v10
	s_or_b32 exec_lo, exec_lo, s4
	s_and_saveexec_b32 s4, vcc_lo
	s_cbranch_execz .LBB395_2122
.LBB395_2163:
	ds_read_b32 v18, v16 offset:192
	s_waitcnt lgkmcnt(0)
	v_add_f32_e32 v9, v18, v9
	s_or_b32 exec_lo, exec_lo, s4
	s_and_saveexec_b32 s4, vcc_lo
	s_cbranch_execz .LBB395_2123
.LBB395_2164:
	ds_read_b32 v18, v16 offset:224
	s_waitcnt lgkmcnt(0)
	v_add_f32_e32 v8, v18, v8
	s_or_b32 exec_lo, exec_lo, s4
	s_and_saveexec_b32 s4, vcc_lo
	s_cbranch_execz .LBB395_2124
.LBB395_2165:
	ds_read_b32 v18, v16 offset:256
	s_waitcnt lgkmcnt(0)
	v_add_f32_e32 v7, v18, v7
	s_or_b32 exec_lo, exec_lo, s4
	s_and_saveexec_b32 s4, vcc_lo
	s_cbranch_execz .LBB395_2125
.LBB395_2166:
	ds_read_b32 v18, v16 offset:288
	s_waitcnt lgkmcnt(0)
	v_add_f32_e32 v6, v18, v6
	s_or_b32 exec_lo, exec_lo, s4
	s_and_saveexec_b32 s4, vcc_lo
	s_cbranch_execz .LBB395_2126
.LBB395_2167:
	ds_read_b32 v18, v16 offset:320
	s_waitcnt lgkmcnt(0)
	v_add_f32_e32 v5, v18, v5
	s_or_b32 exec_lo, exec_lo, s4
	s_and_saveexec_b32 s4, vcc_lo
	s_cbranch_execz .LBB395_2127
.LBB395_2168:
	ds_read_b32 v18, v16 offset:352
	s_waitcnt lgkmcnt(0)
	v_add_f32_e32 v4, v18, v4
	s_or_b32 exec_lo, exec_lo, s4
	s_and_saveexec_b32 s4, vcc_lo
	s_cbranch_execz .LBB395_2128
.LBB395_2169:
	ds_read_b32 v18, v16 offset:384
	s_waitcnt lgkmcnt(0)
	v_add_f32_e32 v3, v18, v3
	s_or_b32 exec_lo, exec_lo, s4
	s_and_saveexec_b32 s4, vcc_lo
	s_cbranch_execz .LBB395_2129
.LBB395_2170:
	ds_read_b32 v18, v16 offset:416
	s_waitcnt lgkmcnt(0)
	v_add_f32_e32 v2, v18, v2
	s_or_b32 exec_lo, exec_lo, s4
	s_and_saveexec_b32 s4, vcc_lo
	s_cbranch_execz .LBB395_2130
.LBB395_2171:
	ds_read_b32 v18, v16 offset:448
	s_waitcnt lgkmcnt(0)
	v_add_f32_e32 v1, v18, v1
	s_or_b32 exec_lo, exec_lo, s4
	s_and_saveexec_b32 s4, vcc_lo
	s_cbranch_execnz .LBB395_2131
	s_branch .LBB395_2132
.LBB395_2172:
	ds_read_b32 v17, v16
	s_waitcnt lgkmcnt(0)
	v_add_f32_e32 v15, v17, v15
	s_or_b32 exec_lo, exec_lo, s4
	s_and_saveexec_b32 s4, vcc_lo
	s_cbranch_execz .LBB395_2138
.LBB395_2173:
	ds_read_b32 v17, v16 offset:32
	s_waitcnt lgkmcnt(0)
	v_add_f32_e32 v14, v17, v14
	s_or_b32 exec_lo, exec_lo, s4
	s_and_saveexec_b32 s4, vcc_lo
	s_cbranch_execz .LBB395_2139
.LBB395_2174:
	ds_read_b32 v17, v16 offset:64
	s_waitcnt lgkmcnt(0)
	v_add_f32_e32 v13, v17, v13
	s_or_b32 exec_lo, exec_lo, s4
	s_and_saveexec_b32 s4, vcc_lo
	s_cbranch_execz .LBB395_2140
.LBB395_2175:
	ds_read_b32 v17, v16 offset:96
	s_waitcnt lgkmcnt(0)
	v_add_f32_e32 v12, v17, v12
	s_or_b32 exec_lo, exec_lo, s4
	s_and_saveexec_b32 s4, vcc_lo
	s_cbranch_execz .LBB395_2141
.LBB395_2176:
	ds_read_b32 v17, v16 offset:128
	s_waitcnt lgkmcnt(0)
	v_add_f32_e32 v11, v17, v11
	s_or_b32 exec_lo, exec_lo, s4
	s_and_saveexec_b32 s4, vcc_lo
	s_cbranch_execz .LBB395_2142
.LBB395_2177:
	ds_read_b32 v17, v16 offset:160
	s_waitcnt lgkmcnt(0)
	v_add_f32_e32 v10, v17, v10
	s_or_b32 exec_lo, exec_lo, s4
	s_and_saveexec_b32 s4, vcc_lo
	s_cbranch_execz .LBB395_2143
.LBB395_2178:
	ds_read_b32 v17, v16 offset:192
	s_waitcnt lgkmcnt(0)
	v_add_f32_e32 v9, v17, v9
	s_or_b32 exec_lo, exec_lo, s4
	s_and_saveexec_b32 s4, vcc_lo
	s_cbranch_execz .LBB395_2144
.LBB395_2179:
	ds_read_b32 v17, v16 offset:224
	s_waitcnt lgkmcnt(0)
	v_add_f32_e32 v8, v17, v8
	s_or_b32 exec_lo, exec_lo, s4
	s_and_saveexec_b32 s4, vcc_lo
	s_cbranch_execz .LBB395_2145
.LBB395_2180:
	ds_read_b32 v17, v16 offset:256
	s_waitcnt lgkmcnt(0)
	v_add_f32_e32 v7, v17, v7
	s_or_b32 exec_lo, exec_lo, s4
	s_and_saveexec_b32 s4, vcc_lo
	s_cbranch_execz .LBB395_2146
.LBB395_2181:
	ds_read_b32 v17, v16 offset:288
	s_waitcnt lgkmcnt(0)
	v_add_f32_e32 v6, v17, v6
	s_or_b32 exec_lo, exec_lo, s4
	s_and_saveexec_b32 s4, vcc_lo
	s_cbranch_execz .LBB395_2147
.LBB395_2182:
	ds_read_b32 v17, v16 offset:320
	s_waitcnt lgkmcnt(0)
	v_add_f32_e32 v5, v17, v5
	s_or_b32 exec_lo, exec_lo, s4
	s_and_saveexec_b32 s4, vcc_lo
	s_cbranch_execz .LBB395_2148
.LBB395_2183:
	ds_read_b32 v17, v16 offset:352
	s_waitcnt lgkmcnt(0)
	v_add_f32_e32 v4, v17, v4
	s_or_b32 exec_lo, exec_lo, s4
	s_and_saveexec_b32 s4, vcc_lo
	s_cbranch_execz .LBB395_2149
.LBB395_2184:
	ds_read_b32 v17, v16 offset:384
	s_waitcnt lgkmcnt(0)
	v_add_f32_e32 v3, v17, v3
	s_or_b32 exec_lo, exec_lo, s4
	s_and_saveexec_b32 s4, vcc_lo
	s_cbranch_execz .LBB395_2150
.LBB395_2185:
	ds_read_b32 v17, v16 offset:416
	s_waitcnt lgkmcnt(0)
	v_add_f32_e32 v2, v17, v2
	s_or_b32 exec_lo, exec_lo, s4
	s_and_saveexec_b32 s4, vcc_lo
	s_cbranch_execz .LBB395_2151
.LBB395_2186:
	ds_read_b32 v17, v16 offset:448
	s_waitcnt lgkmcnt(0)
	v_add_f32_e32 v1, v17, v1
	s_or_b32 exec_lo, exec_lo, s4
	s_and_saveexec_b32 s4, vcc_lo
	s_cbranch_execnz .LBB395_2152
	s_branch .LBB395_2153
.Lfunc_end395:
	.size	_ZN4vllm22paged_attention_kernelI14__hip_bfloat16hLi128ELi32ELi128ELNS_18Fp8KVCacheDataTypeE1ELb0ELi512EEEvPfS3_PT_PKS4_PKT0_SA_ifPKiSC_iPKfiiiSE_SE_iiiii, .Lfunc_end395-_ZN4vllm22paged_attention_kernelI14__hip_bfloat16hLi128ELi32ELi128ELNS_18Fp8KVCacheDataTypeE1ELb0ELi512EEEvPfS3_PT_PKS4_PKT0_SA_ifPKiSC_iPKfiiiSE_SE_iiiii
                                        ; -- End function
	.set .L_ZN4vllm22paged_attention_kernelI14__hip_bfloat16hLi128ELi32ELi128ELNS_18Fp8KVCacheDataTypeE1ELb0ELi512EEEvPfS3_PT_PKS4_PKT0_SA_ifPKiSC_iPKfiiiSE_SE_iiiii.num_vgpr, 128
	.set .L_ZN4vllm22paged_attention_kernelI14__hip_bfloat16hLi128ELi32ELi128ELNS_18Fp8KVCacheDataTypeE1ELb0ELi512EEEvPfS3_PT_PKS4_PKT0_SA_ifPKiSC_iPKfiiiSE_SE_iiiii.num_agpr, 0
	.set .L_ZN4vllm22paged_attention_kernelI14__hip_bfloat16hLi128ELi32ELi128ELNS_18Fp8KVCacheDataTypeE1ELb0ELi512EEEvPfS3_PT_PKS4_PKT0_SA_ifPKiSC_iPKfiiiSE_SE_iiiii.numbered_sgpr, 33
	.set .L_ZN4vllm22paged_attention_kernelI14__hip_bfloat16hLi128ELi32ELi128ELNS_18Fp8KVCacheDataTypeE1ELb0ELi512EEEvPfS3_PT_PKS4_PKT0_SA_ifPKiSC_iPKfiiiSE_SE_iiiii.num_named_barrier, 0
	.set .L_ZN4vllm22paged_attention_kernelI14__hip_bfloat16hLi128ELi32ELi128ELNS_18Fp8KVCacheDataTypeE1ELb0ELi512EEEvPfS3_PT_PKS4_PKT0_SA_ifPKiSC_iPKfiiiSE_SE_iiiii.private_seg_size, 944
	.set .L_ZN4vllm22paged_attention_kernelI14__hip_bfloat16hLi128ELi32ELi128ELNS_18Fp8KVCacheDataTypeE1ELb0ELi512EEEvPfS3_PT_PKS4_PKT0_SA_ifPKiSC_iPKfiiiSE_SE_iiiii.uses_vcc, 1
	.set .L_ZN4vllm22paged_attention_kernelI14__hip_bfloat16hLi128ELi32ELi128ELNS_18Fp8KVCacheDataTypeE1ELb0ELi512EEEvPfS3_PT_PKS4_PKT0_SA_ifPKiSC_iPKfiiiSE_SE_iiiii.uses_flat_scratch, 0
	.set .L_ZN4vllm22paged_attention_kernelI14__hip_bfloat16hLi128ELi32ELi128ELNS_18Fp8KVCacheDataTypeE1ELb0ELi512EEEvPfS3_PT_PKS4_PKT0_SA_ifPKiSC_iPKfiiiSE_SE_iiiii.has_dyn_sized_stack, 0
	.set .L_ZN4vllm22paged_attention_kernelI14__hip_bfloat16hLi128ELi32ELi128ELNS_18Fp8KVCacheDataTypeE1ELb0ELi512EEEvPfS3_PT_PKS4_PKT0_SA_ifPKiSC_iPKfiiiSE_SE_iiiii.has_recursion, 0
	.set .L_ZN4vllm22paged_attention_kernelI14__hip_bfloat16hLi128ELi32ELi128ELNS_18Fp8KVCacheDataTypeE1ELb0ELi512EEEvPfS3_PT_PKS4_PKT0_SA_ifPKiSC_iPKfiiiSE_SE_iiiii.has_indirect_call, 0
	.section	.AMDGPU.csdata,"",@progbits
; Function info:
; codeLenInByte = 88368
; TotalNumSgprs: 35
; NumVgprs: 128
; ScratchSize: 944
; MemoryBound: 0
	.section	.text._ZN4vllm25paged_attention_v2_kernelI14__hip_bfloat16hLi128ELi32ELi128ELNS_18Fp8KVCacheDataTypeE1ELb0ELi512EEEvPfS3_PT_PKS4_PKT0_SA_ifPKiSC_iPKfiiiSE_SE_iiiii,"axG",@progbits,_ZN4vllm25paged_attention_v2_kernelI14__hip_bfloat16hLi128ELi32ELi128ELNS_18Fp8KVCacheDataTypeE1ELb0ELi512EEEvPfS3_PT_PKS4_PKT0_SA_ifPKiSC_iPKfiiiSE_SE_iiiii,comdat
	.protected	_ZN4vllm25paged_attention_v2_kernelI14__hip_bfloat16hLi128ELi32ELi128ELNS_18Fp8KVCacheDataTypeE1ELb0ELi512EEEvPfS3_PT_PKS4_PKT0_SA_ifPKiSC_iPKfiiiSE_SE_iiiii ; -- Begin function _ZN4vllm25paged_attention_v2_kernelI14__hip_bfloat16hLi128ELi32ELi128ELNS_18Fp8KVCacheDataTypeE1ELb0ELi512EEEvPfS3_PT_PKS4_PKT0_SA_ifPKiSC_iPKfiiiSE_SE_iiiii
	.globl	_ZN4vllm25paged_attention_v2_kernelI14__hip_bfloat16hLi128ELi32ELi128ELNS_18Fp8KVCacheDataTypeE1ELb0ELi512EEEvPfS3_PT_PKS4_PKT0_SA_ifPKiSC_iPKfiiiSE_SE_iiiii
	.p2align	8
	.type	_ZN4vllm25paged_attention_v2_kernelI14__hip_bfloat16hLi128ELi32ELi128ELNS_18Fp8KVCacheDataTypeE1ELb0ELi512EEEvPfS3_PT_PKS4_PKT0_SA_ifPKiSC_iPKfiiiSE_SE_iiiii,@function
_ZN4vllm25paged_attention_v2_kernelI14__hip_bfloat16hLi128ELi32ELi128ELNS_18Fp8KVCacheDataTypeE1ELb0ELi512EEEvPfS3_PT_PKS4_PKT0_SA_ifPKiSC_iPKfiiiSE_SE_iiiii: ; @_ZN4vllm25paged_attention_v2_kernelI14__hip_bfloat16hLi128ELi32ELi128ELNS_18Fp8KVCacheDataTypeE1ELb0ELi512EEEvPfS3_PT_PKS4_PKT0_SA_ifPKiSC_iPKfiiiSE_SE_iiiii
; %bb.0:
	s_clause 0x5
	s_load_dwordx8 s[24:31], s[4:5], 0x0
	s_load_dwordx8 s[16:23], s[4:5], 0x20
	s_load_dwordx2 s[10:11], s[4:5], 0x40
	s_load_dwordx2 s[34:35], s[4:5], 0x50
	s_load_dword s13, s[4:5], 0x48
	s_load_dwordx8 s[36:43], s[4:5], 0x58
	s_add_u32 s0, s0, s9
	s_addc_u32 s1, s1, 0
	v_mov_b32_e32 v31, v0
	s_mov_b32 s14, s8
	s_add_u32 s8, s4, 0x90
	s_addc_u32 s9, s5, 0
	s_getpc_b64 s[4:5]
	s_add_u32 s4, s4, _ZN4vllm22paged_attention_kernelI14__hip_bfloat16hLi128ELi32ELi128ELNS_18Fp8KVCacheDataTypeE1ELb0ELi512EEEvPfS3_PT_PKS4_PKT0_SA_ifPKiSC_iPKfiiiSE_SE_iiiii@rel32@lo+4
	s_addc_u32 s5, s5, _ZN4vllm22paged_attention_kernelI14__hip_bfloat16hLi128ELi32ELi128ELNS_18Fp8KVCacheDataTypeE1ELb0ELi512EEEvPfS3_PT_PKS4_PKT0_SA_ifPKiSC_iPKfiiiSE_SE_iiiii@rel32@hi+12
	s_mov_b32 s12, s6
	s_mov_b32 s15, 4
	s_mov_b32 s32, 0
	s_waitcnt lgkmcnt(0)
	v_mov_b32_e32 v0, s24
	v_mov_b32_e32 v1, s25
	;; [unrolled: 1-line block ×28, first 2 shown]
	s_mov_b32 s13, s7
	s_swappc_b64 s[30:31], s[4:5]
	s_endpgm
	.section	.rodata,"a",@progbits
	.p2align	6, 0x0
	.amdhsa_kernel _ZN4vllm25paged_attention_v2_kernelI14__hip_bfloat16hLi128ELi32ELi128ELNS_18Fp8KVCacheDataTypeE1ELb0ELi512EEEvPfS3_PT_PKS4_PKT0_SA_ifPKiSC_iPKfiiiSE_SE_iiiii
		.amdhsa_group_segment_fixed_size 288
		.amdhsa_private_segment_fixed_size 944
		.amdhsa_kernarg_size 400
		.amdhsa_user_sgpr_count 6
		.amdhsa_user_sgpr_private_segment_buffer 1
		.amdhsa_user_sgpr_dispatch_ptr 0
		.amdhsa_user_sgpr_queue_ptr 0
		.amdhsa_user_sgpr_kernarg_segment_ptr 1
		.amdhsa_user_sgpr_dispatch_id 0
		.amdhsa_user_sgpr_flat_scratch_init 0
		.amdhsa_user_sgpr_private_segment_size 0
		.amdhsa_wavefront_size32 1
		.amdhsa_uses_dynamic_stack 0
		.amdhsa_system_sgpr_private_segment_wavefront_offset 1
		.amdhsa_system_sgpr_workgroup_id_x 1
		.amdhsa_system_sgpr_workgroup_id_y 1
		.amdhsa_system_sgpr_workgroup_id_z 1
		.amdhsa_system_sgpr_workgroup_info 0
		.amdhsa_system_vgpr_workitem_id 0
		.amdhsa_next_free_vgpr 128
		.amdhsa_next_free_sgpr 44
		.amdhsa_reserve_vcc 1
		.amdhsa_reserve_flat_scratch 0
		.amdhsa_float_round_mode_32 0
		.amdhsa_float_round_mode_16_64 0
		.amdhsa_float_denorm_mode_32 3
		.amdhsa_float_denorm_mode_16_64 3
		.amdhsa_dx10_clamp 1
		.amdhsa_ieee_mode 1
		.amdhsa_fp16_overflow 0
		.amdhsa_workgroup_processor_mode 1
		.amdhsa_memory_ordered 1
		.amdhsa_forward_progress 1
		.amdhsa_shared_vgpr_count 0
		.amdhsa_exception_fp_ieee_invalid_op 0
		.amdhsa_exception_fp_denorm_src 0
		.amdhsa_exception_fp_ieee_div_zero 0
		.amdhsa_exception_fp_ieee_overflow 0
		.amdhsa_exception_fp_ieee_underflow 0
		.amdhsa_exception_fp_ieee_inexact 0
		.amdhsa_exception_int_div_zero 0
	.end_amdhsa_kernel
	.section	.text._ZN4vllm25paged_attention_v2_kernelI14__hip_bfloat16hLi128ELi32ELi128ELNS_18Fp8KVCacheDataTypeE1ELb0ELi512EEEvPfS3_PT_PKS4_PKT0_SA_ifPKiSC_iPKfiiiSE_SE_iiiii,"axG",@progbits,_ZN4vllm25paged_attention_v2_kernelI14__hip_bfloat16hLi128ELi32ELi128ELNS_18Fp8KVCacheDataTypeE1ELb0ELi512EEEvPfS3_PT_PKS4_PKT0_SA_ifPKiSC_iPKfiiiSE_SE_iiiii,comdat
.Lfunc_end396:
	.size	_ZN4vllm25paged_attention_v2_kernelI14__hip_bfloat16hLi128ELi32ELi128ELNS_18Fp8KVCacheDataTypeE1ELb0ELi512EEEvPfS3_PT_PKS4_PKT0_SA_ifPKiSC_iPKfiiiSE_SE_iiiii, .Lfunc_end396-_ZN4vllm25paged_attention_v2_kernelI14__hip_bfloat16hLi128ELi32ELi128ELNS_18Fp8KVCacheDataTypeE1ELb0ELi512EEEvPfS3_PT_PKS4_PKT0_SA_ifPKiSC_iPKfiiiSE_SE_iiiii
                                        ; -- End function
	.set _ZN4vllm25paged_attention_v2_kernelI14__hip_bfloat16hLi128ELi32ELi128ELNS_18Fp8KVCacheDataTypeE1ELb0ELi512EEEvPfS3_PT_PKS4_PKT0_SA_ifPKiSC_iPKfiiiSE_SE_iiiii.num_vgpr, max(32, .L_ZN4vllm22paged_attention_kernelI14__hip_bfloat16hLi128ELi32ELi128ELNS_18Fp8KVCacheDataTypeE1ELb0ELi512EEEvPfS3_PT_PKS4_PKT0_SA_ifPKiSC_iPKfiiiSE_SE_iiiii.num_vgpr)
	.set _ZN4vllm25paged_attention_v2_kernelI14__hip_bfloat16hLi128ELi32ELi128ELNS_18Fp8KVCacheDataTypeE1ELb0ELi512EEEvPfS3_PT_PKS4_PKT0_SA_ifPKiSC_iPKfiiiSE_SE_iiiii.num_agpr, max(0, .L_ZN4vllm22paged_attention_kernelI14__hip_bfloat16hLi128ELi32ELi128ELNS_18Fp8KVCacheDataTypeE1ELb0ELi512EEEvPfS3_PT_PKS4_PKT0_SA_ifPKiSC_iPKfiiiSE_SE_iiiii.num_agpr)
	.set _ZN4vllm25paged_attention_v2_kernelI14__hip_bfloat16hLi128ELi32ELi128ELNS_18Fp8KVCacheDataTypeE1ELb0ELi512EEEvPfS3_PT_PKS4_PKT0_SA_ifPKiSC_iPKfiiiSE_SE_iiiii.numbered_sgpr, max(44, .L_ZN4vllm22paged_attention_kernelI14__hip_bfloat16hLi128ELi32ELi128ELNS_18Fp8KVCacheDataTypeE1ELb0ELi512EEEvPfS3_PT_PKS4_PKT0_SA_ifPKiSC_iPKfiiiSE_SE_iiiii.numbered_sgpr)
	.set _ZN4vllm25paged_attention_v2_kernelI14__hip_bfloat16hLi128ELi32ELi128ELNS_18Fp8KVCacheDataTypeE1ELb0ELi512EEEvPfS3_PT_PKS4_PKT0_SA_ifPKiSC_iPKfiiiSE_SE_iiiii.num_named_barrier, max(0, .L_ZN4vllm22paged_attention_kernelI14__hip_bfloat16hLi128ELi32ELi128ELNS_18Fp8KVCacheDataTypeE1ELb0ELi512EEEvPfS3_PT_PKS4_PKT0_SA_ifPKiSC_iPKfiiiSE_SE_iiiii.num_named_barrier)
	.set _ZN4vllm25paged_attention_v2_kernelI14__hip_bfloat16hLi128ELi32ELi128ELNS_18Fp8KVCacheDataTypeE1ELb0ELi512EEEvPfS3_PT_PKS4_PKT0_SA_ifPKiSC_iPKfiiiSE_SE_iiiii.private_seg_size, 0+max(.L_ZN4vllm22paged_attention_kernelI14__hip_bfloat16hLi128ELi32ELi128ELNS_18Fp8KVCacheDataTypeE1ELb0ELi512EEEvPfS3_PT_PKS4_PKT0_SA_ifPKiSC_iPKfiiiSE_SE_iiiii.private_seg_size)
	.set _ZN4vllm25paged_attention_v2_kernelI14__hip_bfloat16hLi128ELi32ELi128ELNS_18Fp8KVCacheDataTypeE1ELb0ELi512EEEvPfS3_PT_PKS4_PKT0_SA_ifPKiSC_iPKfiiiSE_SE_iiiii.uses_vcc, or(1, .L_ZN4vllm22paged_attention_kernelI14__hip_bfloat16hLi128ELi32ELi128ELNS_18Fp8KVCacheDataTypeE1ELb0ELi512EEEvPfS3_PT_PKS4_PKT0_SA_ifPKiSC_iPKfiiiSE_SE_iiiii.uses_vcc)
	.set _ZN4vllm25paged_attention_v2_kernelI14__hip_bfloat16hLi128ELi32ELi128ELNS_18Fp8KVCacheDataTypeE1ELb0ELi512EEEvPfS3_PT_PKS4_PKT0_SA_ifPKiSC_iPKfiiiSE_SE_iiiii.uses_flat_scratch, or(0, .L_ZN4vllm22paged_attention_kernelI14__hip_bfloat16hLi128ELi32ELi128ELNS_18Fp8KVCacheDataTypeE1ELb0ELi512EEEvPfS3_PT_PKS4_PKT0_SA_ifPKiSC_iPKfiiiSE_SE_iiiii.uses_flat_scratch)
	.set _ZN4vllm25paged_attention_v2_kernelI14__hip_bfloat16hLi128ELi32ELi128ELNS_18Fp8KVCacheDataTypeE1ELb0ELi512EEEvPfS3_PT_PKS4_PKT0_SA_ifPKiSC_iPKfiiiSE_SE_iiiii.has_dyn_sized_stack, or(0, .L_ZN4vllm22paged_attention_kernelI14__hip_bfloat16hLi128ELi32ELi128ELNS_18Fp8KVCacheDataTypeE1ELb0ELi512EEEvPfS3_PT_PKS4_PKT0_SA_ifPKiSC_iPKfiiiSE_SE_iiiii.has_dyn_sized_stack)
	.set _ZN4vllm25paged_attention_v2_kernelI14__hip_bfloat16hLi128ELi32ELi128ELNS_18Fp8KVCacheDataTypeE1ELb0ELi512EEEvPfS3_PT_PKS4_PKT0_SA_ifPKiSC_iPKfiiiSE_SE_iiiii.has_recursion, or(0, .L_ZN4vllm22paged_attention_kernelI14__hip_bfloat16hLi128ELi32ELi128ELNS_18Fp8KVCacheDataTypeE1ELb0ELi512EEEvPfS3_PT_PKS4_PKT0_SA_ifPKiSC_iPKfiiiSE_SE_iiiii.has_recursion)
	.set _ZN4vllm25paged_attention_v2_kernelI14__hip_bfloat16hLi128ELi32ELi128ELNS_18Fp8KVCacheDataTypeE1ELb0ELi512EEEvPfS3_PT_PKS4_PKT0_SA_ifPKiSC_iPKfiiiSE_SE_iiiii.has_indirect_call, or(0, .L_ZN4vllm22paged_attention_kernelI14__hip_bfloat16hLi128ELi32ELi128ELNS_18Fp8KVCacheDataTypeE1ELb0ELi512EEEvPfS3_PT_PKS4_PKT0_SA_ifPKiSC_iPKfiiiSE_SE_iiiii.has_indirect_call)
	.section	.AMDGPU.csdata,"",@progbits
; Kernel info:
; codeLenInByte = 240
; TotalNumSgprs: 46
; NumVgprs: 128
; ScratchSize: 944
; MemoryBound: 0
; FloatMode: 240
; IeeeMode: 1
; LDSByteSize: 288 bytes/workgroup (compile time only)
; SGPRBlocks: 0
; VGPRBlocks: 15
; NumSGPRsForWavesPerEU: 46
; NumVGPRsForWavesPerEU: 128
; Occupancy: 8
; WaveLimiterHint : 1
; COMPUTE_PGM_RSRC2:SCRATCH_EN: 1
; COMPUTE_PGM_RSRC2:USER_SGPR: 6
; COMPUTE_PGM_RSRC2:TRAP_HANDLER: 0
; COMPUTE_PGM_RSRC2:TGID_X_EN: 1
; COMPUTE_PGM_RSRC2:TGID_Y_EN: 1
; COMPUTE_PGM_RSRC2:TGID_Z_EN: 1
; COMPUTE_PGM_RSRC2:TIDIG_COMP_CNT: 0
	.text
	.p2align	2                               ; -- Begin function _ZN4vllm22paged_attention_kernelI14__hip_bfloat16hLi192ELi32ELi128ELNS_18Fp8KVCacheDataTypeE1ELb0ELi512EEEvPfS3_PT_PKS4_PKT0_SA_ifPKiSC_iPKfiiiSE_SE_iiiii
	.type	_ZN4vllm22paged_attention_kernelI14__hip_bfloat16hLi192ELi32ELi128ELNS_18Fp8KVCacheDataTypeE1ELb0ELi512EEEvPfS3_PT_PKS4_PKT0_SA_ifPKiSC_iPKfiiiSE_SE_iiiii,@function
_ZN4vllm22paged_attention_kernelI14__hip_bfloat16hLi192ELi32ELi128ELNS_18Fp8KVCacheDataTypeE1ELb0ELi512EEEvPfS3_PT_PKS4_PKT0_SA_ifPKiSC_iPKfiiiSE_SE_iiiii: ; @_ZN4vllm22paged_attention_kernelI14__hip_bfloat16hLi192ELi32ELi128ELNS_18Fp8KVCacheDataTypeE1ELb0ELi512EEEvPfS3_PT_PKS4_PKT0_SA_ifPKiSC_iPKfiiiSE_SE_iiiii
; %bb.0:
	s_waitcnt vmcnt(0) expcnt(0) lgkmcnt(0)
	buffer_store_dword v40, off, s[0:3], s32 offset:188 ; 4-byte Folded Spill
	buffer_store_dword v41, off, s[0:3], s32 offset:184 ; 4-byte Folded Spill
	buffer_store_dword v42, off, s[0:3], s32 offset:180 ; 4-byte Folded Spill
	buffer_store_dword v43, off, s[0:3], s32 offset:176 ; 4-byte Folded Spill
	buffer_store_dword v44, off, s[0:3], s32 offset:172 ; 4-byte Folded Spill
	buffer_store_dword v45, off, s[0:3], s32 offset:168 ; 4-byte Folded Spill
	buffer_store_dword v46, off, s[0:3], s32 offset:164 ; 4-byte Folded Spill
	buffer_store_dword v47, off, s[0:3], s32 offset:160 ; 4-byte Folded Spill
	buffer_store_dword v56, off, s[0:3], s32 offset:156 ; 4-byte Folded Spill
	buffer_store_dword v57, off, s[0:3], s32 offset:152 ; 4-byte Folded Spill
	buffer_store_dword v58, off, s[0:3], s32 offset:148 ; 4-byte Folded Spill
	buffer_store_dword v59, off, s[0:3], s32 offset:144 ; 4-byte Folded Spill
	buffer_store_dword v60, off, s[0:3], s32 offset:140 ; 4-byte Folded Spill
	buffer_store_dword v61, off, s[0:3], s32 offset:136 ; 4-byte Folded Spill
	buffer_store_dword v62, off, s[0:3], s32 offset:132 ; 4-byte Folded Spill
	buffer_store_dword v63, off, s[0:3], s32 offset:128 ; 4-byte Folded Spill
	buffer_store_dword v72, off, s[0:3], s32 offset:124 ; 4-byte Folded Spill
	buffer_store_dword v73, off, s[0:3], s32 offset:120 ; 4-byte Folded Spill
	buffer_store_dword v74, off, s[0:3], s32 offset:116 ; 4-byte Folded Spill
	buffer_store_dword v75, off, s[0:3], s32 offset:112 ; 4-byte Folded Spill
	buffer_store_dword v76, off, s[0:3], s32 offset:108 ; 4-byte Folded Spill
	buffer_store_dword v77, off, s[0:3], s32 offset:104 ; 4-byte Folded Spill
	buffer_store_dword v78, off, s[0:3], s32 offset:100 ; 4-byte Folded Spill
	buffer_store_dword v79, off, s[0:3], s32 offset:96 ; 4-byte Folded Spill
	buffer_store_dword v88, off, s[0:3], s32 offset:92 ; 4-byte Folded Spill
	buffer_store_dword v89, off, s[0:3], s32 offset:88 ; 4-byte Folded Spill
	buffer_store_dword v90, off, s[0:3], s32 offset:84 ; 4-byte Folded Spill
	buffer_store_dword v91, off, s[0:3], s32 offset:80 ; 4-byte Folded Spill
	buffer_store_dword v92, off, s[0:3], s32 offset:76 ; 4-byte Folded Spill
	buffer_store_dword v93, off, s[0:3], s32 offset:72 ; 4-byte Folded Spill
	buffer_store_dword v94, off, s[0:3], s32 offset:68 ; 4-byte Folded Spill
	buffer_store_dword v95, off, s[0:3], s32 offset:64 ; 4-byte Folded Spill
	buffer_store_dword v104, off, s[0:3], s32 offset:60 ; 4-byte Folded Spill
	buffer_store_dword v105, off, s[0:3], s32 offset:56 ; 4-byte Folded Spill
	buffer_store_dword v106, off, s[0:3], s32 offset:52 ; 4-byte Folded Spill
	buffer_store_dword v107, off, s[0:3], s32 offset:48 ; 4-byte Folded Spill
	buffer_store_dword v108, off, s[0:3], s32 offset:44 ; 4-byte Folded Spill
	buffer_store_dword v109, off, s[0:3], s32 offset:40 ; 4-byte Folded Spill
	buffer_store_dword v110, off, s[0:3], s32 offset:36 ; 4-byte Folded Spill
	buffer_store_dword v111, off, s[0:3], s32 offset:32 ; 4-byte Folded Spill
	buffer_store_dword v120, off, s[0:3], s32 offset:28 ; 4-byte Folded Spill
	buffer_store_dword v121, off, s[0:3], s32 offset:24 ; 4-byte Folded Spill
	buffer_store_dword v122, off, s[0:3], s32 offset:20 ; 4-byte Folded Spill
	buffer_store_dword v123, off, s[0:3], s32 offset:16 ; 4-byte Folded Spill
	buffer_store_dword v124, off, s[0:3], s32 offset:12 ; 4-byte Folded Spill
	buffer_store_dword v125, off, s[0:3], s32 offset:8 ; 4-byte Folded Spill
	buffer_store_dword v126, off, s[0:3], s32 offset:4 ; 4-byte Folded Spill
	buffer_store_dword v127, off, s[0:3], s32 ; 4-byte Folded Spill
	s_mov_b32 s18, s13
	s_ashr_i32 s19, s13, 31
	buffer_store_dword v24, off, s[0:3], s32 offset:828 ; 4-byte Folded Spill
	buffer_store_dword v25, off, s[0:3], s32 offset:832 ; 4-byte Folded Spill
	;; [unrolled: 1-line block ×4, first 2 shown]
	s_lshl_b64 s[4:5], s[18:19], 2
	v_mov_b32_e32 v24, v0
	v_add_co_u32 v0, vcc_lo, v16, s4
	v_mov_b32_e32 v22, v1
	v_add_co_ci_u32_e64 v1, null, s5, v17, vcc_lo
	buffer_store_dword v5, off, s[0:3], s32 offset:1632 ; 4-byte Folded Spill
	buffer_store_dword v4, off, s[0:3], s32 offset:1636 ; 4-byte Folded Spill
	v_mov_b32_e32 v13, v10
	v_mov_b32_e32 v25, v3
	flat_load_dword v107, v[0:1]
	v_mov_b32_e32 v28, v2
	s_lshl_b32 s20, s14, 9
	s_mov_b32 s19, exec_lo
	s_waitcnt vmcnt(0) lgkmcnt(0)
	v_cmpx_lt_i32_e64 s20, v107
	s_cbranch_execnz .LBB397_1
; %bb.3259:
	s_getpc_b64 s[26:27]
.Lpost_getpc6:
	s_add_u32 s26, s26, (.LBB397_3212-.Lpost_getpc6)&4294967295
	s_addc_u32 s27, s27, (.LBB397_3212-.Lpost_getpc6)>>32
	s_setpc_b64 s[26:27]
.LBB397_1:
	v_sub_nc_u32_e32 v0, 0, v12
	s_clause 0x1
	s_load_dword s4, s[8:9], 0x10
	s_load_dword s5, s[8:9], 0x0
	s_mov_b32 s16, s15
	v_max_i32_e32 v0, v12, v0
	v_cvt_f32_u32_e32 v1, v0
	v_sub_nc_u32_e32 v2, 0, v0
	v_rcp_iflag_f32_e32 v1, v1
	s_waitcnt lgkmcnt(0)
	s_lshr_b32 s4, s4, 16
	s_cmp_lg_u32 s4, 0
	s_cselect_b32 s4, -1, 0
	v_mul_f32_e32 v1, 0x4f7ffffe, v1
	s_cmp_lg_u32 s4, 0
	s_addc_u32 s15, s5, 0
	s_mov_b32 s5, exec_lo
	v_cvt_u32_f32_e32 v1, v1
	s_abs_i32 s4, s15
	v_mul_lo_u32 v2, v2, v1
	v_mul_hi_u32 v2, v1, v2
	v_add_nc_u32_e32 v1, v1, v2
	v_mul_hi_u32 v1, s4, v1
	v_mul_lo_u32 v2, v1, v0
	v_add_nc_u32_e32 v3, 1, v1
	v_sub_nc_u32_e32 v2, s4, v2
	s_abs_i32 s4, s12
	v_sub_nc_u32_e32 v4, v2, v0
	v_cmp_ge_u32_e32 vcc_lo, v2, v0
	v_cndmask_b32_e32 v1, v1, v3, vcc_lo
	v_cndmask_b32_e32 v2, v2, v4, vcc_lo
	v_xor_b32_e32 v3, s15, v12
	v_add_nc_u32_e32 v4, 1, v1
	v_cmp_ge_u32_e32 vcc_lo, v2, v0
	v_ashrrev_i32_e32 v3, 31, v3
	v_cndmask_b32_e32 v0, v1, v4, vcc_lo
	v_xor_b32_e32 v0, v0, v3
	v_sub_nc_u32_e32 v1, v0, v3
	v_sub_nc_u32_e32 v0, 0, v1
	v_max_i32_e32 v0, v1, v0
	v_cvt_f32_u32_e32 v2, v0
	v_sub_nc_u32_e32 v3, 0, v0
	v_rcp_iflag_f32_e32 v2, v2
	v_mul_f32_e32 v2, 0x4f7ffffe, v2
	v_cvt_u32_f32_e32 v2, v2
	v_mul_lo_u32 v3, v3, v2
	v_mul_hi_u32 v3, v2, v3
	v_add_nc_u32_e32 v2, v2, v3
	v_mad_u64_u32 v[16:17], null, s4, v2, 0
	v_mov_b32_e32 v2, 0
	buffer_store_dword v2, off, s[0:3], s32 offset:840 ; 4-byte Folded Spill
	v_cmpx_ne_u64_e32 0, v[19:20]
	s_cbranch_execz .LBB397_3
; %bb.2:
	s_ashr_i32 s13, s12, 31
	s_lshl_b64 s[6:7], s[12:13], 2
	v_add_co_u32 v2, vcc_lo, v19, s6
	v_add_co_ci_u32_e64 v3, null, s7, v20, vcc_lo
	flat_load_dword v2, v[2:3]
	s_waitcnt vmcnt(0) lgkmcnt(0)
	buffer_store_dword v2, off, s[0:3], s32 offset:840 ; 4-byte Folded Spill
.LBB397_3:
	s_or_b32 exec_lo, exec_lo, s5
	v_and_b32_e32 v12, 0x3ff, v31
	v_ashrrev_i32_e32 v1, 31, v1
	s_ashr_i32 s5, s12, 31
	s_mul_i32 s10, s12, 0xc0
	s_mov_b32 s6, exec_lo
	v_cmpx_gt_u32_e32 24, v12
	s_cbranch_execz .LBB397_5
; %bb.4:
	v_mul_lo_u32 v2, v21, s18
	s_ashr_i32 s11, s10, 31
	v_lshlrev_b32_e32 v10, 4, v12
	s_lshl_b64 s[22:23], s[10:11], 1
	v_ashrrev_i32_e32 v3, 31, v2
	v_lshlrev_b64 v[2:3], 1, v[2:3]
	v_add_co_u32 v2, vcc_lo, v6, v2
	v_add_co_ci_u32_e64 v3, null, v7, v3, vcc_lo
	v_add_co_u32 v2, vcc_lo, v2, s22
	v_add_co_ci_u32_e64 v3, null, s23, v3, vcc_lo
	;; [unrolled: 2-line block ×3, first 2 shown]
	flat_load_dwordx4 v[2:5], v[2:3]
	s_waitcnt vmcnt(0) lgkmcnt(0)
	ds_write_b128 v10, v[2:5]
.LBB397_5:
	s_or_b32 exec_lo, exec_lo, s6
	v_mul_lo_u32 v2, v17, v0
	v_add_nc_u32_e32 v3, 1, v17
	v_add_nc_u32_e32 v4, 31, v107
	v_xor_b32_e32 v1, s5, v1
	s_clause 0x1
	s_load_dword s13, s[8:9], 0x14
	s_load_dword s11, s[8:9], 0x8
	s_lshl_b32 s7, s14, 4
	v_ashrrev_i32_e32 v6, 31, v4
	v_sub_nc_u32_e32 v2, s4, v2
	s_add_i32 s4, s7, 16
	v_lshrrev_b32_e32 v6, 27, v6
	v_sub_nc_u32_e32 v5, v2, v0
	v_cmp_ge_u32_e32 vcc_lo, v2, v0
	v_cndmask_b32_e32 v3, v17, v3, vcc_lo
	v_cndmask_b32_e32 v2, v2, v5, vcc_lo
	v_add_nc_u32_e32 v5, 1, v3
	v_cmp_ge_u32_e32 vcc_lo, v2, v0
	v_mul_lo_u32 v0, v18, s18
	v_cndmask_b32_e32 v2, v3, v5, vcc_lo
	v_add_nc_u32_e32 v3, v4, v6
	v_lshrrev_b32_e32 v4, 5, v12
	v_mov_b32_e32 v5, 0xff7fffff
	v_xor_b32_e32 v2, v2, v1
	v_ashrrev_i32_e32 v16, 5, v3
	buffer_store_dword v4, off, s[0:3], s32 offset:1628 ; 4-byte Folded Spill
	v_add_nc_u32_e32 v3, s7, v4
	v_sub_nc_u32_e32 v2, v2, v1
	v_ashrrev_i32_e32 v1, 31, v0
	v_min_i32_e32 v4, s4, v16
	v_mul_lo_u32 v17, v2, v23
	v_and_b32_e32 v2, 31, v12
	v_lshlrev_b64 v[20:21], 2, v[0:1]
	v_cmp_ge_i32_e64 s4, v3, v4
	v_mov_b32_e32 v0, v3
	buffer_store_dword v0, off, s[0:3], s32 offset:192 ; 4-byte Folded Spill
	buffer_store_dword v1, off, s[0:3], s32 offset:196 ; 4-byte Folded Spill
	;; [unrolled: 1-line block ×3, first 2 shown]
	v_ashrrev_i32_e32 v18, 31, v17
	v_lshlrev_b32_e32 v29, 2, v2
	v_cmp_lt_i32_e32 vcc_lo, v3, v4
	buffer_store_dword v2, off, s[0:3], s32 offset:1624 ; 4-byte Folded Spill
	s_waitcnt lgkmcnt(0)
	s_waitcnt_vscnt null, 0x0
	s_barrier
	buffer_gl0_inv
	s_mov_b32 s21, exec_lo
	s_and_b32 s5, s21, vcc_lo
	buffer_store_dword v12, off, s[0:3], s32 offset:1620 ; 4-byte Folded Spill
	s_mov_b32 exec_lo, s5
	s_cbranch_execz .LBB397_1545
; %bb.6:
	buffer_store_dword v16, off, s[0:3], s32 offset:1680 ; 4-byte Folded Spill
	buffer_store_dword v28, off, s[0:3], s32 offset:1676 ; 4-byte Folded Spill
	;; [unrolled: 1-line block ×10, first 2 shown]
	v_add_co_u32 v0, vcc_lo, v8, v17
	buffer_load_dword v8, off, s[0:3], s32 offset:1624 ; 4-byte Folded Reload
	v_add_co_ci_u32_e64 v1, null, v9, v18, vcc_lo
	v_mov_b32_e32 v9, 0
	buffer_store_dword v18, off, s[0:3], s32 offset:1688 ; 4-byte Folded Spill
	s_ashr_i32 s17, s16, 31
	v_mov_b32_e32 v126, 0x80
	s_lshl_b64 s[8:9], s[16:17], 2
	s_getpc_b64 s[24:25]
	s_add_u32 s24, s24, llvm.amdgcn.dynlds.offset.table@rel32@lo+4
	s_addc_u32 s25, s25, llvm.amdgcn.dynlds.offset.table@rel32@hi+12
	s_add_u32 s8, s24, s8
	s_addc_u32 s9, s25, s9
	s_mov_b32 s22, 0
	s_waitcnt vmcnt(0)
	v_lshlrev_b32_e32 v2, 4, v8
	v_add_co_u32 v0, vcc_lo, v0, v2
	v_add_co_ci_u32_e64 v1, null, 0, v1, vcc_lo
	buffer_store_dword v0, off, s[0:3], s32 offset:844 ; 4-byte Folded Spill
	buffer_store_dword v1, off, s[0:3], s32 offset:848 ; 4-byte Folded Spill
	ds_read_b128 v[0:3], v9
	ds_read_b128 v[4:7], v9 offset:16
	ds_read_b128 v[10:13], v9 offset:32
	ds_read_b128 v[16:19], v9 offset:48
	s_load_dword s6, s[8:9], 0x0
	s_mov_b32 s8, -1
	s_mov_b32 s9, 0xffffff
	s_waitcnt lgkmcnt(0)
	v_lshlrev_b32_e32 v22, 16, v0
	v_and_b32_e32 v0, 0xffff0000, v0
	buffer_store_dword v22, off, s[0:3], s32 offset:852 ; 4-byte Folded Spill
	buffer_store_dword v0, off, s[0:3], s32 offset:856 ; 4-byte Folded Spill
	v_lshlrev_b32_e32 v0, 16, v1
	buffer_store_dword v0, off, s[0:3], s32 offset:860 ; 4-byte Folded Spill
	v_and_b32_e32 v0, 0xffff0000, v1
	buffer_store_dword v0, off, s[0:3], s32 offset:864 ; 4-byte Folded Spill
	v_lshlrev_b32_e32 v0, 16, v2
	buffer_store_dword v0, off, s[0:3], s32 offset:868 ; 4-byte Folded Spill
	v_and_b32_e32 v0, 0xffff0000, v2
	;; [unrolled: 4-line block ×5, first 2 shown]
	v_mov_b32_e32 v5, 0xff7fffff
	buffer_store_dword v0, off, s[0:3], s32 offset:896 ; 4-byte Folded Spill
	v_lshlrev_b32_e32 v0, 16, v6
	buffer_store_dword v0, off, s[0:3], s32 offset:900 ; 4-byte Folded Spill
	v_and_b32_e32 v0, 0xffff0000, v6
	buffer_store_dword v0, off, s[0:3], s32 offset:904 ; 4-byte Folded Spill
	v_lshlrev_b32_e32 v0, 16, v7
	buffer_store_dword v0, off, s[0:3], s32 offset:908 ; 4-byte Folded Spill
	v_and_b32_e32 v0, 0xffff0000, v7
	;; [unrolled: 4-line block ×10, first 2 shown]
	buffer_store_dword v0, off, s[0:3], s32 offset:976 ; 4-byte Folded Spill
	ds_read_b128 v[0:3], v9 offset:64
	s_waitcnt lgkmcnt(0)
	v_lshlrev_b32_e32 v4, 16, v0
	v_and_b32_e32 v0, 0xffff0000, v0
	buffer_store_dword v4, off, s[0:3], s32 offset:980 ; 4-byte Folded Spill
	buffer_store_dword v0, off, s[0:3], s32 offset:984 ; 4-byte Folded Spill
	v_lshlrev_b32_e32 v0, 16, v1
	buffer_store_dword v0, off, s[0:3], s32 offset:988 ; 4-byte Folded Spill
	v_and_b32_e32 v0, 0xffff0000, v1
	buffer_store_dword v0, off, s[0:3], s32 offset:992 ; 4-byte Folded Spill
	v_lshlrev_b32_e32 v0, 16, v2
	buffer_store_dword v0, off, s[0:3], s32 offset:996 ; 4-byte Folded Spill
	v_and_b32_e32 v0, 0xffff0000, v2
	buffer_store_dword v0, off, s[0:3], s32 offset:1000 ; 4-byte Folded Spill
	v_lshlrev_b32_e32 v0, 16, v3
	buffer_store_dword v0, off, s[0:3], s32 offset:1004 ; 4-byte Folded Spill
	v_and_b32_e32 v0, 0xffff0000, v3
	buffer_store_dword v0, off, s[0:3], s32 offset:1008 ; 4-byte Folded Spill
	ds_read_b128 v[0:3], v9 offset:80
	s_waitcnt lgkmcnt(0)
	v_lshlrev_b32_e32 v4, 16, v0
	v_and_b32_e32 v0, 0xffff0000, v0
	buffer_store_dword v4, off, s[0:3], s32 offset:1012 ; 4-byte Folded Spill
	buffer_store_dword v0, off, s[0:3], s32 offset:1016 ; 4-byte Folded Spill
	v_lshlrev_b32_e32 v0, 16, v1
	buffer_store_dword v0, off, s[0:3], s32 offset:1020 ; 4-byte Folded Spill
	v_and_b32_e32 v0, 0xffff0000, v1
	buffer_store_dword v0, off, s[0:3], s32 offset:1024 ; 4-byte Folded Spill
	v_lshlrev_b32_e32 v0, 16, v2
	buffer_store_dword v0, off, s[0:3], s32 offset:1028 ; 4-byte Folded Spill
	v_and_b32_e32 v0, 0xffff0000, v2
	buffer_store_dword v0, off, s[0:3], s32 offset:1032 ; 4-byte Folded Spill
	v_lshlrev_b32_e32 v0, 16, v3
	buffer_store_dword v0, off, s[0:3], s32 offset:1036 ; 4-byte Folded Spill
	v_and_b32_e32 v0, 0xffff0000, v3
	;; [unrolled: 18-line block ×8, first 2 shown]
	buffer_store_dword v0, off, s[0:3], s32 offset:1232 ; 4-byte Folded Spill
	ds_read_b128 v[0:3], v9 offset:192
	s_waitcnt lgkmcnt(0)
	v_lshlrev_b32_e32 v4, 16, v0
	v_and_b32_e32 v0, 0xffff0000, v0
	buffer_store_dword v4, off, s[0:3], s32 offset:1236 ; 4-byte Folded Spill
	buffer_store_dword v0, off, s[0:3], s32 offset:1240 ; 4-byte Folded Spill
	buffer_load_dword v0, off, s[0:3], s32 offset:840 ; 4-byte Folded Reload
	s_waitcnt vmcnt(0)
	v_cmp_neq_f32_e32 vcc_lo, 0, v0
	v_lshlrev_b32_e32 v0, 16, v1
	buffer_store_dword v0, off, s[0:3], s32 offset:1244 ; 4-byte Folded Spill
	v_and_b32_e32 v0, 0xffff0000, v1
	buffer_store_dword v0, off, s[0:3], s32 offset:1248 ; 4-byte Folded Spill
	v_lshlrev_b32_e32 v0, 16, v2
	buffer_store_dword v0, off, s[0:3], s32 offset:1252 ; 4-byte Folded Spill
	v_and_b32_e32 v0, 0xffff0000, v2
	buffer_store_dword v0, off, s[0:3], s32 offset:1256 ; 4-byte Folded Spill
	v_lshlrev_b32_e32 v0, 16, v3
	buffer_store_dword v0, off, s[0:3], s32 offset:1260 ; 4-byte Folded Spill
	v_and_b32_e32 v0, 0xffff0000, v3
	buffer_store_dword v0, off, s[0:3], s32 offset:1264 ; 4-byte Folded Spill
	ds_read_b128 v[0:3], v9 offset:208
	s_waitcnt lgkmcnt(0)
	v_lshlrev_b32_e32 v4, 16, v0
	v_and_b32_e32 v0, 0xffff0000, v0
	buffer_store_dword v4, off, s[0:3], s32 offset:1268 ; 4-byte Folded Spill
	buffer_store_dword v0, off, s[0:3], s32 offset:1272 ; 4-byte Folded Spill
	v_lshlrev_b32_e32 v0, 16, v1
	buffer_store_dword v0, off, s[0:3], s32 offset:1276 ; 4-byte Folded Spill
	v_and_b32_e32 v0, 0xffff0000, v1
	buffer_store_dword v0, off, s[0:3], s32 offset:1280 ; 4-byte Folded Spill
	v_lshlrev_b32_e32 v0, 16, v2
	buffer_store_dword v0, off, s[0:3], s32 offset:1284 ; 4-byte Folded Spill
	v_and_b32_e32 v0, 0xffff0000, v2
	buffer_store_dword v0, off, s[0:3], s32 offset:1288 ; 4-byte Folded Spill
	v_lshlrev_b32_e32 v0, 16, v3
	buffer_store_dword v0, off, s[0:3], s32 offset:1292 ; 4-byte Folded Spill
	v_and_b32_e32 v0, 0xffff0000, v3
	buffer_store_dword v0, off, s[0:3], s32 offset:1296 ; 4-byte Folded Spill
	ds_read_b128 v[0:3], v9 offset:224
	s_waitcnt lgkmcnt(0)
	v_lshlrev_b32_e32 v4, 16, v0
	v_and_b32_e32 v0, 0xffff0000, v0
	buffer_store_dword v4, off, s[0:3], s32 offset:1300 ; 4-byte Folded Spill
	buffer_store_dword v0, off, s[0:3], s32 offset:1304 ; 4-byte Folded Spill
	;; [unrolled: 18-line block ×11, first 2 shown]
	v_lshlrev_b32_e32 v0, 16, v1
	buffer_store_dword v0, off, s[0:3], s32 offset:1596 ; 4-byte Folded Spill
	v_and_b32_e32 v0, 0xffff0000, v1
	buffer_store_dword v0, off, s[0:3], s32 offset:1600 ; 4-byte Folded Spill
	v_lshlrev_b32_e32 v0, 16, v2
	buffer_store_dword v0, off, s[0:3], s32 offset:1604 ; 4-byte Folded Spill
	v_and_b32_e32 v0, 0xffff0000, v2
	buffer_store_dword v0, off, s[0:3], s32 offset:1608 ; 4-byte Folded Spill
	;; [unrolled: 4-line block ×3, first 2 shown]
	s_clause 0x1
	buffer_load_dword v0, off, s[0:3], s32 offset:192
	buffer_load_dword v1, off, s[0:3], s32 offset:196
	s_waitcnt vmcnt(1)
	v_mov_b32_e32 v2, v0
	v_ashrrev_i32_e32 v3, 31, v2
	v_mov_b32_e32 v30, v2
	s_waitcnt vmcnt(0)
	v_lshlrev_b64 v[0:1], 2, v[2:3]
	v_add_co_u32 v0, s5, v20, v0
	buffer_store_dword v20, off, s[0:3], s32 offset:1692 ; 4-byte Folded Spill
	buffer_store_dword v21, off, s[0:3], s32 offset:1696 ; 4-byte Folded Spill
	;; [unrolled: 1-line block ×5, first 2 shown]
	v_add_co_ci_u32_e64 v1, null, v21, v1, s5
	v_add_co_u32 v3, s5, v14, v0
	v_add_co_ci_u32_e64 v4, null, v15, v1, s5
	buffer_load_dword v1, off, s[0:3], s32 offset:1628 ; 4-byte Folded Reload
	s_waitcnt vmcnt(0)
	v_lshlrev_b32_e32 v0, 5, v1
	v_add3_u32 v33, s20, v0, v8
	v_lshl_or_b32 v0, v1, 7, v29
	v_add_nc_u32_e32 v31, s6, v0
	v_mov_b32_e32 v0, v2
	buffer_store_dword v0, off, s[0:3], s32 offset:192 ; 4-byte Folded Spill
	buffer_store_dword v1, off, s[0:3], s32 offset:196 ; 4-byte Folded Spill
	s_branch .LBB397_11
.LBB397_7:                              ;   in Loop: Header=BB397_11 Depth=1
	s_or_b32 exec_lo, exec_lo, s24
	v_mov_b32_e32 v8, 24
	v_lshl_add_u32 v28, v28, 23, 0x3c000000
	v_lshlrev_b32_sdwa v8, v8, v29 dst_sel:DWORD dst_unused:UNUSED_PAD src0_sel:DWORD src1_sel:BYTE_3
	v_lshlrev_b32_e32 v29, 20, v30
	v_and_b32_e32 v8, 0x80000000, v8
	v_or3_b32 v53, v29, v8, v28
.LBB397_8:                              ;   in Loop: Header=BB397_11 Depth=1
	s_or_b32 exec_lo, exec_lo, s23
.LBB397_9:                              ;   in Loop: Header=BB397_11 Depth=1
	s_or_b32 exec_lo, exec_lo, s17
	v_mov_b32_e32 v33, v108
	v_mov_b32_e32 v31, v110
	;; [unrolled: 1-line block ×3, first 2 shown]
.LBB397_10:                             ;   in Loop: Header=BB397_11 Depth=1
	s_or_b32 exec_lo, exec_lo, s6
	v_mul_f32_e32 v8, v10, v11
	v_mul_f32_e32 v4, v10, v4
	;; [unrolled: 1-line block ×4, first 2 shown]
	v_add_nc_u32_e32 v30, 4, v30
	v_bfe_u32 v11, v8, 16, 1
	v_or_b32_e32 v28, 0x400000, v8
	v_cmp_u_f32_e64 s5, v8, v8
	v_add3_u32 v11, v11, v8, 0x7fff
	v_cndmask_b32_e64 v8, v11, v28, s5
	buffer_store_dword v8, off, s[0:3], s32 offset:524 ; 4-byte Folded Spill
	v_mul_f32_e32 v8, v10, v90
	v_bfe_u32 v11, v8, 16, 1
	v_or_b32_e32 v28, 0x400000, v8
	v_cmp_u_f32_e64 s5, v8, v8
	v_add3_u32 v11, v11, v8, 0x7fff
	v_cndmask_b32_e64 v8, v11, v28, s5
	buffer_store_dword v8, off, s[0:3], s32 offset:528 ; 4-byte Folded Spill
	v_mul_f32_e32 v8, v10, v91
	;; [unrolled: 7-line block ×5, first 2 shown]
	v_bfe_u32 v11, v8, 16, 1
	v_or_b32_e32 v28, 0x400000, v8
	v_cmp_u_f32_e64 s5, v8, v8
	v_add3_u32 v11, v11, v8, 0x7fff
	v_cndmask_b32_e64 v8, v11, v28, s5
	v_or_b32_e32 v11, 0x400000, v4
	v_cmp_u_f32_e64 s5, v4, v4
	buffer_store_dword v8, off, s[0:3], s32 offset:552 ; 4-byte Folded Spill
	v_bfe_u32 v8, v4, 16, 1
	v_add3_u32 v8, v8, v4, 0x7fff
	v_cndmask_b32_e64 v4, v8, v11, s5
	buffer_store_dword v4, off, s[0:3], s32 offset:540 ; 4-byte Folded Spill
	v_mul_f32_e32 v4, v10, v32
	v_bfe_u32 v8, v4, 16, 1
	v_or_b32_e32 v11, 0x400000, v4
	v_cmp_u_f32_e64 s5, v4, v4
	v_add3_u32 v8, v8, v4, 0x7fff
	v_cndmask_b32_e64 v4, v8, v11, s5
	buffer_store_dword v4, off, s[0:3], s32 offset:548 ; 4-byte Folded Spill
	v_mul_f32_e32 v4, v10, v16
	v_bfe_u32 v8, v4, 16, 1
	v_or_b32_e32 v11, 0x400000, v4
	v_cmp_u_f32_e64 s5, v4, v4
	v_add3_u32 v8, v8, v4, 0x7fff
	v_cndmask_b32_e64 v4, v8, v11, s5
	buffer_store_dword v4, off, s[0:3], s32 offset:556 ; 4-byte Folded Spill
	v_mul_f32_e32 v4, v10, v48
	v_bfe_u32 v8, v4, 16, 1
	v_or_b32_e32 v11, 0x400000, v4
	v_cmp_u_f32_e64 s5, v4, v4
	v_add3_u32 v8, v8, v4, 0x7fff
	v_cndmask_b32_e64 v4, v8, v11, s5
	buffer_store_dword v4, off, s[0:3], s32 offset:560 ; 4-byte Folded Spill
	v_mul_f32_e32 v4, v10, v47
	v_bfe_u32 v8, v4, 16, 1
	v_or_b32_e32 v11, 0x400000, v4
	v_cmp_u_f32_e64 s5, v4, v4
	v_add3_u32 v8, v8, v4, 0x7fff
	v_cndmask_b32_e64 v4, v8, v11, s5
	buffer_store_dword v4, off, s[0:3], s32 offset:564 ; 4-byte Folded Spill
	v_mul_f32_e32 v4, v10, v39
	v_bfe_u32 v8, v4, 16, 1
	v_or_b32_e32 v11, 0x400000, v4
	v_cmp_u_f32_e64 s5, v4, v4
	v_add3_u32 v8, v8, v4, 0x7fff
	v_cndmask_b32_e64 v4, v8, v11, s5
	buffer_store_dword v4, off, s[0:3], s32 offset:568 ; 4-byte Folded Spill
	v_mul_f32_e32 v4, v10, v37
	v_bfe_u32 v8, v4, 16, 1
	v_or_b32_e32 v11, 0x400000, v4
	v_cmp_u_f32_e64 s5, v4, v4
	v_add3_u32 v8, v8, v4, 0x7fff
	v_cndmask_b32_e64 v4, v8, v11, s5
	buffer_store_dword v4, off, s[0:3], s32 offset:576 ; 4-byte Folded Spill
	v_mul_f32_e32 v4, v10, v49
	v_bfe_u32 v8, v4, 16, 1
	v_or_b32_e32 v11, 0x400000, v4
	v_cmp_u_f32_e64 s5, v4, v4
	v_add3_u32 v8, v8, v4, 0x7fff
	v_cndmask_b32_e64 v4, v8, v11, s5
	buffer_store_dword v4, off, s[0:3], s32 offset:584 ; 4-byte Folded Spill
	v_mul_f32_e32 v4, v10, v35
	buffer_load_dword v35, off, s[0:3], s32 offset:300 ; 4-byte Folded Reload
	v_bfe_u32 v8, v4, 16, 1
	v_or_b32_e32 v11, 0x400000, v4
	v_cmp_u_f32_e64 s5, v4, v4
	v_add3_u32 v8, v8, v4, 0x7fff
	v_cndmask_b32_e64 v4, v8, v11, s5
	buffer_store_dword v4, off, s[0:3], s32 offset:572 ; 4-byte Folded Spill
	v_mul_f32_e32 v4, v10, v75
	v_bfe_u32 v8, v4, 16, 1
	v_or_b32_e32 v11, 0x400000, v4
	v_cmp_u_f32_e64 s5, v4, v4
	v_add3_u32 v8, v8, v4, 0x7fff
	v_cndmask_b32_e64 v4, v8, v11, s5
	buffer_store_dword v4, off, s[0:3], s32 offset:580 ; 4-byte Folded Spill
	v_mul_f32_e32 v4, v10, v68
	;; [unrolled: 7-line block ×51, first 2 shown]
	v_bfe_u32 v8, v4, 16, 1
	v_or_b32_e32 v11, 0x400000, v4
	v_cmp_u_f32_e64 s5, v4, v4
	v_add3_u32 v8, v8, v4, 0x7fff
	v_cndmask_b32_e64 v4, v8, v11, s5
	v_or_b32_e32 v8, 0x400000, v0
	v_cmp_u_f32_e64 s5, v0, v0
	buffer_store_dword v4, off, s[0:3], s32 offset:796 ; 4-byte Folded Spill
	v_bfe_u32 v4, v0, 16, 1
	v_add3_u32 v4, v4, v0, 0x7fff
	v_cndmask_b32_e64 v0, v4, v8, s5
	buffer_store_dword v0, off, s[0:3], s32 offset:800 ; 4-byte Folded Spill
	v_mul_f32_e32 v0, v10, v1
	v_bfe_u32 v1, v0, 16, 1
	v_or_b32_e32 v4, 0x400000, v0
	v_cmp_u_f32_e64 s5, v0, v0
	v_add3_u32 v1, v1, v0, 0x7fff
	v_cndmask_b32_e64 v0, v1, v4, s5
	buffer_store_dword v0, off, s[0:3], s32 offset:804 ; 4-byte Folded Spill
	v_mul_f32_e32 v0, v10, v22
	v_bfe_u32 v1, v0, 16, 1
	v_or_b32_e32 v4, 0x400000, v0
	v_cmp_u_f32_e64 s5, v0, v0
	;; [unrolled: 7-line block ×7, first 2 shown]
	v_add3_u32 v1, v1, v0, 0x7fff
	v_mul_f32_e32 v0, v10, v124
	v_cndmask_b32_e64 v89, v1, v4, s5
	v_bfe_u32 v1, v0, 16, 1
	v_or_b32_e32 v4, 0x400000, v0
	v_cmp_u_f32_e64 s5, v0, v0
	v_add3_u32 v1, v1, v0, 0x7fff
	v_mul_f32_e32 v0, v10, v2
	v_cndmask_b32_e64 v75, v1, v4, s5
	v_bfe_u32 v1, v0, 16, 1
	v_or_b32_e32 v2, 0x400000, v0
	v_cmp_u_f32_e64 s5, v0, v0
	;; [unrolled: 6-line block ×26, first 2 shown]
	v_add3_u32 v4, v4, v0, 0x7fff
	buffer_load_dword v0, off, s[0:3], s32 offset:500 ; 4-byte Folded Reload
	v_cndmask_b32_e64 v90, v4, v11, s5
	s_waitcnt vmcnt(0)
	v_mul_f32_e32 v0, v10, v0
	v_bfe_u32 v4, v0, 16, 1
	v_or_b32_e32 v11, 0x400000, v0
	v_cmp_u_f32_e64 s5, v0, v0
	v_add3_u32 v4, v4, v0, 0x7fff
	buffer_load_dword v0, off, s[0:3], s32 offset:496 ; 4-byte Folded Reload
	v_cndmask_b32_e64 v92, v4, v11, s5
	s_waitcnt vmcnt(0)
	v_mul_f32_e32 v0, v10, v0
	v_bfe_u32 v4, v0, 16, 1
	v_or_b32_e32 v11, 0x400000, v0
	v_cmp_u_f32_e64 s5, v0, v0
	v_add3_u32 v4, v4, v0, 0x7fff
	v_mul_f32_e32 v0, v10, v95
	v_cndmask_b32_e64 v111, v4, v11, s5
	v_bfe_u32 v4, v0, 16, 1
	v_or_b32_e32 v11, 0x400000, v0
	v_cmp_u_f32_e64 s5, v0, v0
	v_add3_u32 v4, v4, v0, 0x7fff
	v_mul_f32_e32 v0, v10, v105
	v_cndmask_b32_e64 v91, v4, v11, s5
	v_bfe_u32 v4, v0, 16, 1
	v_or_b32_e32 v11, 0x400000, v0
	v_cmp_u_f32_e64 s5, v0, v0
	v_add3_u32 v4, v4, v0, 0x7fff
	buffer_load_dword v0, off, s[0:3], s32 offset:488 ; 4-byte Folded Reload
	v_cndmask_b32_e64 v95, v4, v11, s5
	s_waitcnt vmcnt(0)
	v_mul_f32_e32 v0, v10, v0
	v_bfe_u32 v4, v0, 16, 1
	v_or_b32_e32 v11, 0x400000, v0
	v_cmp_u_f32_e64 s5, v0, v0
	v_add3_u32 v4, v4, v0, 0x7fff
	buffer_load_dword v0, off, s[0:3], s32 offset:480 ; 4-byte Folded Reload
	v_cndmask_b32_e64 v105, v4, v11, s5
	s_waitcnt vmcnt(0)
	v_mul_f32_e32 v0, v10, v0
	;; [unrolled: 8-line block ×53, first 2 shown]
	v_bfe_u32 v22, v0, 16, 1
	v_or_b32_e32 v27, 0x400000, v0
	v_cmp_u_f32_e64 s5, v0, v0
	v_add3_u32 v22, v22, v0, 0x7fff
	v_cndmask_b32_e64 v0, v22, v27, s5
	buffer_load_dword v22, off, s[0:3], s32 offset:272 ; 4-byte Folded Reload
	v_and_b32_e32 v0, 0xffff0000, v0
	s_waitcnt vmcnt(0)
	v_mul_f32_e32 v22, v10, v22
	v_bfe_u32 v27, v22, 16, 1
	v_or_b32_e32 v36, 0x400000, v22
	v_cmp_u_f32_e64 s5, v22, v22
	v_add3_u32 v27, v27, v22, 0x7fff
	v_cndmask_b32_e64 v22, v27, v36, s5
	buffer_load_dword v27, off, s[0:3], s32 offset:292 ; 4-byte Folded Reload
	s_waitcnt vmcnt(0)
	v_mul_f32_e32 v27, v10, v27
	v_bfe_u32 v36, v27, 16, 1
	v_or_b32_e32 v37, 0x400000, v27
	v_cmp_u_f32_e64 s5, v27, v27
	v_add3_u32 v36, v36, v27, 0x7fff
	v_cndmask_b32_e64 v27, v36, v37, s5
	v_mul_f32_e32 v36, v10, v35
	buffer_load_dword v35, off, s[0:3], s32 offset:264 ; 4-byte Folded Reload
	v_bfe_u32 v37, v36, 16, 1
	v_or_b32_e32 v39, 0x400000, v36
	v_cmp_u_f32_e64 s5, v36, v36
	v_add3_u32 v37, v37, v36, 0x7fff
	v_cndmask_b32_e64 v39, v37, v39, s5
	s_waitcnt vmcnt(0)
	v_mul_f32_e32 v36, v10, v35
	buffer_load_dword v35, off, s[0:3], s32 offset:256 ; 4-byte Folded Reload
	v_bfe_u32 v37, v36, 16, 1
	v_or_b32_e32 v48, 0x400000, v36
	v_cmp_u_f32_e64 s5, v36, v36
	v_add3_u32 v37, v37, v36, 0x7fff
	v_cndmask_b32_e64 v37, v37, v48, s5
	s_waitcnt vmcnt(0)
	;; [unrolled: 8-line block ×4, first 2 shown]
	v_mul_f32_e32 v36, v10, v35
	buffer_load_dword v35, off, s[0:3], s32 offset:244 ; 4-byte Folded Reload
	v_bfe_u32 v48, v36, 16, 1
	v_or_b32_e32 v80, 0x400000, v36
	v_cmp_u_f32_e64 s5, v36, v36
	v_add3_u32 v48, v48, v36, 0x7fff
	v_cndmask_b32_e64 v36, v48, v80, s5
	v_mul_f32_e32 v48, v10, v59
	v_bfe_u32 v80, v48, 16, 1
	v_or_b32_e32 v81, 0x400000, v48
	v_cmp_u_f32_e64 s5, v48, v48
	v_add3_u32 v80, v80, v48, 0x7fff
	v_cndmask_b32_e64 v59, v80, v81, s5
	s_waitcnt vmcnt(0)
	v_mul_f32_e32 v48, v10, v35
	buffer_load_dword v35, off, s[0:3], s32 offset:260 ; 4-byte Folded Reload
	v_bfe_u32 v80, v48, 16, 1
	v_or_b32_e32 v81, 0x400000, v48
	v_cmp_u_f32_e64 s5, v48, v48
	v_add3_u32 v80, v80, v48, 0x7fff
	v_cndmask_b32_e64 v121, v80, v81, s5
	s_waitcnt vmcnt(0)
	v_mul_f32_e32 v48, v10, v35
	buffer_load_dword v35, off, s[0:3], s32 offset:268 ; 4-byte Folded Reload
	;; [unrolled: 8-line block ×8, first 2 shown]
	v_bfe_u32 v86, v85, 16, 1
	v_or_b32_e32 v97, 0x400000, v85
	v_cmp_u_f32_e64 s5, v85, v85
	v_add3_u32 v86, v86, v85, 0x7fff
	v_cndmask_b32_e64 v85, v86, v97, s5
	v_mul_f32_e32 v86, v10, v96
	v_bfe_u32 v97, v86, 16, 1
	v_or_b32_e32 v96, 0x400000, v86
	v_cmp_u_f32_e64 s5, v86, v86
	v_add3_u32 v97, v97, v86, 0x7fff
	v_cndmask_b32_e64 v86, v97, v96, s5
	s_waitcnt vmcnt(0)
	v_mul_f32_e32 v96, v10, v35
	v_bfe_u32 v97, v96, 16, 1
	v_or_b32_e32 v61, 0x400000, v96
	v_cmp_u_f32_e64 s5, v96, v96
	v_add3_u32 v97, v97, v96, 0x7fff
	buffer_load_dword v96, off, s[0:3], s32 offset:240 ; 4-byte Folded Reload
	v_cndmask_b32_e64 v35, v97, v61, s5
	s_waitcnt vmcnt(0)
	v_mul_f32_e32 v96, v10, v96
	v_bfe_u32 v97, v96, 16, 1
	v_or_b32_e32 v61, 0x400000, v96
	v_cmp_u_f32_e64 s5, v96, v96
	v_add3_u32 v97, v97, v96, 0x7fff
	buffer_load_dword v96, off, s[0:3], s32 offset:208 ; 4-byte Folded Reload
	;; [unrolled: 8-line block ×3, first 2 shown]
	v_cndmask_b32_e64 v110, v97, v61, s5
	s_waitcnt vmcnt(0)
	v_mul_f32_e32 v96, v10, v96
	v_bfe_u32 v97, v96, 16, 1
	v_or_b32_e32 v61, 0x400000, v96
	v_cmp_u_f32_e64 s5, v96, v96
	v_add3_u32 v97, v97, v96, 0x7fff
	v_mul_f32_e32 v96, v10, v78
	v_cndmask_b32_e64 v108, v97, v61, s5
	v_bfe_u32 v97, v96, 16, 1
	v_or_b32_e32 v61, 0x400000, v96
	v_cmp_u_f32_e64 s5, v96, v96
	v_add3_u32 v97, v97, v96, 0x7fff
	v_mul_f32_e32 v96, v10, v24
	buffer_load_dword v24, off, s[0:3], s32 offset:204 ; 4-byte Folded Reload
	v_cndmask_b32_e64 v73, v97, v61, s5
	v_bfe_u32 v97, v96, 16, 1
	v_or_b32_e32 v61, 0x400000, v96
	v_cmp_u_f32_e64 s5, v96, v96
	v_add3_u32 v97, v97, v96, 0x7fff
	v_mul_f32_e32 v96, v10, v26
	v_cndmask_b32_e64 v106, v97, v61, s5
	v_bfe_u32 v97, v96, 16, 1
	v_or_b32_e32 v61, 0x400000, v96
	v_cmp_u_f32_e64 s5, v96, v96
	v_add3_u32 v97, v97, v96, 0x7fff
	v_mul_f32_e32 v96, v10, v34
	v_cndmask_b32_e64 v88, v97, v61, s5
	v_bfe_u32 v97, v96, 16, 1
	v_or_b32_e32 v61, 0x400000, v96
	v_cmp_u_f32_e64 s5, v96, v96
	v_add3_u32 v97, v97, v96, 0x7fff
	v_cndmask_b32_e64 v78, v97, v61, s5
	s_waitcnt vmcnt(0)
	v_mul_f32_e32 v96, v10, v24
	buffer_load_dword v24, off, s[0:3], s32 offset:212 ; 4-byte Folded Reload
	v_bfe_u32 v97, v96, 16, 1
	v_or_b32_e32 v61, 0x400000, v96
	v_cmp_u_f32_e64 s5, v96, v96
	v_add3_u32 v97, v97, v96, 0x7fff
	v_cndmask_b32_e64 v26, v97, v61, s5
	s_waitcnt vmcnt(0)
	v_mul_f32_e32 v96, v10, v24
	buffer_load_dword v24, off, s[0:3], s32 offset:508 ; 4-byte Folded Reload
	v_bfe_u32 v97, v96, 16, 1
	v_or_b32_e32 v61, 0x400000, v96
	v_cmp_u_f32_e64 s5, v96, v96
	v_add3_u32 v97, v97, v96, 0x7fff
	v_mul_f32_e32 v96, v10, v79
	v_cndmask_b32_e64 v34, v97, v61, s5
	v_bfe_u32 v97, v96, 16, 1
	v_or_b32_e32 v61, 0x400000, v96
	v_cmp_u_f32_e64 s5, v96, v96
	v_add3_u32 v97, v97, v96, 0x7fff
	v_mul_f32_e32 v96, v10, v76
	v_cndmask_b32_e64 v79, v97, v61, s5
	;; [unrolled: 6-line block ×4, first 2 shown]
	v_bfe_u32 v97, v96, 16, 1
	v_or_b32_e32 v61, 0x400000, v96
	v_cmp_u_f32_e64 s5, v96, v96
	v_add3_u32 v97, v97, v96, 0x7fff
	v_cndmask_b32_e64 v63, v97, v61, s5
	s_waitcnt vmcnt(0)
	v_mul_f32_e32 v96, v10, v24
	buffer_load_dword v24, off, s[0:3], s32 offset:504 ; 4-byte Folded Reload
	v_bfe_u32 v97, v96, 16, 1
	v_or_b32_e32 v61, 0x400000, v96
	v_cmp_u_f32_e64 s5, v96, v96
	v_add3_u32 v97, v97, v96, 0x7fff
	v_cndmask_b32_e64 v61, v97, v61, s5
	s_waitcnt vmcnt(0)
	v_mul_f32_e32 v96, v10, v24
	v_bfe_u32 v97, v96, 16, 1
	v_or_b32_e32 v24, 0x400000, v96
	v_cmp_u_f32_e64 s5, v96, v96
	v_add3_u32 v97, v97, v96, 0x7fff
	v_cndmask_b32_e64 v97, v97, v24, s5
	v_mul_f32_e32 v24, v10, v53
	v_bfe_u32 v10, v15, 16, 1
	v_or_b32_e32 v53, 0x400000, v15
	v_cmp_u_f32_e64 s5, v15, v15
	v_add3_u32 v10, v10, v15, 0x7fff
	v_bfe_u32 v15, v24, 16, 1
	v_cndmask_b32_e64 v10, v10, v53, s5
	v_add3_u32 v15, v15, v24, 0x7fff
	v_or_b32_e32 v53, 0x400000, v24
	v_cmp_u_f32_e64 s5, v24, v24
	v_and_b32_e32 v24, 0xffff0000, v78
	v_cndmask_b32_e64 v96, v15, v53, s5
	buffer_load_dword v53, off, s[0:3], s32 offset:884 ; 4-byte Folded Reload
	v_and_b32_e32 v15, 0xffff0000, v86
	v_cmp_lt_i32_e64 s5, v33, v107
	s_waitcnt vmcnt(0)
	v_mul_f32_e32 v78, v53, v15
	s_clause 0x1
	buffer_load_dword v15, off, s[0:3], s32 offset:852
	buffer_load_dword v53, off, s[0:3], s32 offset:888
	s_waitcnt vmcnt(1)
	v_fmac_f32_e32 v78, v15, v24
	v_and_b32_e32 v15, 0xffff0000, v85
	v_and_b32_e32 v24, 0xffff0000, v88
	s_waitcnt vmcnt(0)
	v_mul_f32_e32 v88, v53, v15
	s_clause 0x1
	buffer_load_dword v15, off, s[0:3], s32 offset:856
	buffer_load_dword v53, off, s[0:3], s32 offset:892
	s_waitcnt vmcnt(1)
	v_fmac_f32_e32 v88, v15, v24
	v_and_b32_e32 v15, 0xffff0000, v84
	v_and_b32_e32 v24, 0xffff0000, v106
	;; [unrolled: 9-line block ×5, first 2 shown]
	s_waitcnt vmcnt(0)
	v_mul_f32_e32 v80, v53, v15
	buffer_load_dword v15, off, s[0:3], s32 offset:872 ; 4-byte Folded Reload
	s_waitcnt vmcnt(0)
	v_fmac_f32_e32 v80, v15, v24
	v_and_b32_e32 v24, 0xffff0000, v26
	buffer_load_dword v26, off, s[0:3], s32 offset:908 ; 4-byte Folded Reload
	v_and_b32_e32 v15, 0xffff0000, v35
	s_waitcnt vmcnt(0)
	v_mul_f32_e32 v81, v26, v15
	s_clause 0x1
	buffer_load_dword v15, off, s[0:3], s32 offset:876
	buffer_load_dword v26, off, s[0:3], s32 offset:912
	s_waitcnt vmcnt(1)
	v_fmac_f32_e32 v81, v15, v24
	v_and_b32_e32 v15, 0xffff0000, v120
	v_and_b32_e32 v24, 0xffff0000, v34
	s_waitcnt vmcnt(0)
	v_mul_f32_e32 v85, v26, v15
	buffer_load_dword v15, off, s[0:3], s32 offset:880 ; 4-byte Folded Reload
	s_waitcnt vmcnt(0)
	v_fmac_f32_e32 v85, v15, v24
	buffer_load_dword v24, off, s[0:3], s32 offset:916 ; 4-byte Folded Reload
	v_and_b32_e32 v15, 0xffff0000, v121
	s_waitcnt vmcnt(0)
	v_fmac_f32_e32 v78, v24, v15
	buffer_load_dword v24, off, s[0:3], s32 offset:920 ; 4-byte Folded Reload
	v_and_b32_e32 v15, 0xffff0000, v59
	s_waitcnt vmcnt(0)
	v_fmac_f32_e32 v88, v24, v15
	buffer_load_dword v24, off, s[0:3], s32 offset:924 ; 4-byte Folded Reload
	v_and_b32_e32 v15, 0xffff0000, v36
	s_waitcnt vmcnt(0)
	v_fmac_f32_e32 v86, v24, v15
	buffer_load_dword v24, off, s[0:3], s32 offset:928 ; 4-byte Folded Reload
	v_and_b32_e32 v15, 0xffff0000, v62
	s_waitcnt vmcnt(0)
	v_fmac_f32_e32 v83, v24, v15
	buffer_load_dword v24, off, s[0:3], s32 offset:932 ; 4-byte Folded Reload
	v_and_b32_e32 v15, 0xffff0000, v72
	s_waitcnt vmcnt(0)
	v_fmac_f32_e32 v84, v24, v15
	buffer_load_dword v24, off, s[0:3], s32 offset:936 ; 4-byte Folded Reload
	v_and_b32_e32 v15, 0xffff0000, v37
	s_waitcnt vmcnt(0)
	v_fmac_f32_e32 v80, v24, v15
	buffer_load_dword v24, off, s[0:3], s32 offset:940 ; 4-byte Folded Reload
	v_and_b32_e32 v15, 0xffff0000, v48
	s_waitcnt vmcnt(0)
	v_fmac_f32_e32 v81, v24, v15
	buffer_load_dword v24, off, s[0:3], s32 offset:944 ; 4-byte Folded Reload
	v_and_b32_e32 v15, 0xffff0000, v60
	s_waitcnt vmcnt(0)
	v_fmac_f32_e32 v85, v24, v15
	v_and_b32_e32 v15, 0xffff0000, v22
	buffer_load_dword v22, off, s[0:3], s32 offset:948 ; 4-byte Folded Reload
	s_waitcnt vmcnt(0)
	v_fmac_f32_e32 v78, v22, v15
	buffer_load_dword v15, off, s[0:3], s32 offset:952 ; 4-byte Folded Reload
	s_waitcnt vmcnt(0)
	v_fmac_f32_e32 v88, v15, v0
	buffer_load_dword v15, off, s[0:3], s32 offset:956 ; 4-byte Folded Reload
	v_and_b32_e32 v0, 0xffff0000, v38
	s_waitcnt vmcnt(0)
	v_fmac_f32_e32 v86, v15, v0
	buffer_load_dword v15, off, s[0:3], s32 offset:960 ; 4-byte Folded Reload
	v_and_b32_e32 v0, 0xffff0000, v57
	s_waitcnt vmcnt(0)
	v_fmac_f32_e32 v83, v15, v0
	buffer_load_dword v15, off, s[0:3], s32 offset:964 ; 4-byte Folded Reload
	v_and_b32_e32 v0, 0xffff0000, v49
	s_waitcnt vmcnt(0)
	v_fmac_f32_e32 v84, v15, v0
	buffer_load_dword v15, off, s[0:3], s32 offset:968 ; 4-byte Folded Reload
	v_and_b32_e32 v0, 0xffff0000, v71
	s_waitcnt vmcnt(0)
	v_fmac_f32_e32 v80, v15, v0
	buffer_load_dword v15, off, s[0:3], s32 offset:972 ; 4-byte Folded Reload
	v_and_b32_e32 v0, 0xffff0000, v27
	s_waitcnt vmcnt(0)
	v_fmac_f32_e32 v81, v15, v0
	buffer_load_dword v15, off, s[0:3], s32 offset:976 ; 4-byte Folded Reload
	v_and_b32_e32 v0, 0xffff0000, v39
	s_waitcnt vmcnt(0)
	v_fmac_f32_e32 v85, v15, v0
	buffer_load_dword v15, off, s[0:3], s32 offset:980 ; 4-byte Folded Reload
	v_and_b32_e32 v0, 0xffff0000, v50
	s_waitcnt vmcnt(0)
	v_fmac_f32_e32 v78, v15, v0
	buffer_load_dword v15, off, s[0:3], s32 offset:984 ; 4-byte Folded Reload
	v_and_b32_e32 v0, 0xffff0000, v51
	s_waitcnt vmcnt(0)
	v_fmac_f32_e32 v88, v15, v0
	buffer_load_dword v15, off, s[0:3], s32 offset:988 ; 4-byte Folded Reload
	v_and_b32_e32 v0, 0xffff0000, v54
	s_waitcnt vmcnt(0)
	v_fmac_f32_e32 v86, v15, v0
	buffer_load_dword v15, off, s[0:3], s32 offset:992 ; 4-byte Folded Reload
	v_and_b32_e32 v0, 0xffff0000, v87
	s_waitcnt vmcnt(0)
	v_fmac_f32_e32 v83, v15, v0
	buffer_load_dword v15, off, s[0:3], s32 offset:996 ; 4-byte Folded Reload
	v_and_b32_e32 v0, 0xffff0000, v69
	s_waitcnt vmcnt(0)
	v_fmac_f32_e32 v84, v15, v0
	buffer_load_dword v15, off, s[0:3], s32 offset:1000 ; 4-byte Folded Reload
	v_and_b32_e32 v0, 0xffff0000, v65
	s_waitcnt vmcnt(0)
	v_fmac_f32_e32 v80, v15, v0
	buffer_load_dword v15, off, s[0:3], s32 offset:1004 ; 4-byte Folded Reload
	v_and_b32_e32 v0, 0xffff0000, v56
	s_waitcnt vmcnt(0)
	v_fmac_f32_e32 v81, v15, v0
	buffer_load_dword v15, off, s[0:3], s32 offset:1008 ; 4-byte Folded Reload
	v_and_b32_e32 v0, 0xffff0000, v52
	s_waitcnt vmcnt(0)
	v_fmac_f32_e32 v85, v15, v0
	buffer_load_dword v15, off, s[0:3], s32 offset:1012 ; 4-byte Folded Reload
	v_and_b32_e32 v0, 0xffff0000, v64
	s_waitcnt vmcnt(0)
	v_fmac_f32_e32 v78, v15, v0
	buffer_load_dword v15, off, s[0:3], s32 offset:1016 ; 4-byte Folded Reload
	v_and_b32_e32 v0, 0xffff0000, v46
	s_waitcnt vmcnt(0)
	v_fmac_f32_e32 v88, v15, v0
	buffer_load_dword v15, off, s[0:3], s32 offset:1020 ; 4-byte Folded Reload
	v_and_b32_e32 v0, 0xffff0000, v67
	s_waitcnt vmcnt(0)
	v_fmac_f32_e32 v86, v15, v0
	buffer_load_dword v15, off, s[0:3], s32 offset:1024 ; 4-byte Folded Reload
	v_and_b32_e32 v0, 0xffff0000, v70
	s_waitcnt vmcnt(0)
	v_fmac_f32_e32 v83, v15, v0
	buffer_load_dword v15, off, s[0:3], s32 offset:1028 ; 4-byte Folded Reload
	v_and_b32_e32 v0, 0xffff0000, v45
	s_waitcnt vmcnt(0)
	v_fmac_f32_e32 v84, v15, v0
	buffer_load_dword v15, off, s[0:3], s32 offset:1032 ; 4-byte Folded Reload
	v_and_b32_e32 v0, 0xffff0000, v103
	s_waitcnt vmcnt(0)
	v_fmac_f32_e32 v80, v15, v0
	buffer_load_dword v15, off, s[0:3], s32 offset:1036 ; 4-byte Folded Reload
	v_and_b32_e32 v0, 0xffff0000, v68
	s_waitcnt vmcnt(0)
	v_fmac_f32_e32 v81, v15, v0
	buffer_load_dword v15, off, s[0:3], s32 offset:1040 ; 4-byte Folded Reload
	v_and_b32_e32 v0, 0xffff0000, v66
	s_waitcnt vmcnt(0)
	v_fmac_f32_e32 v85, v15, v0
	buffer_load_dword v15, off, s[0:3], s32 offset:1044 ; 4-byte Folded Reload
	v_and_b32_e32 v0, 0xffff0000, v82
	s_waitcnt vmcnt(0)
	v_fmac_f32_e32 v78, v15, v0
	buffer_load_dword v15, off, s[0:3], s32 offset:1048 ; 4-byte Folded Reload
	v_and_b32_e32 v0, 0xffff0000, v43
	s_waitcnt vmcnt(0)
	v_fmac_f32_e32 v88, v15, v0
	buffer_load_dword v15, off, s[0:3], s32 offset:1052 ; 4-byte Folded Reload
	v_and_b32_e32 v0, 0xffff0000, v101
	s_waitcnt vmcnt(0)
	v_fmac_f32_e32 v86, v15, v0
	buffer_load_dword v15, off, s[0:3], s32 offset:1056 ; 4-byte Folded Reload
	v_and_b32_e32 v0, 0xffff0000, v23
	s_waitcnt vmcnt(0)
	v_fmac_f32_e32 v83, v15, v0
	buffer_load_dword v15, off, s[0:3], s32 offset:1060 ; 4-byte Folded Reload
	v_and_b32_e32 v0, 0xffff0000, v98
	s_waitcnt vmcnt(0)
	v_fmac_f32_e32 v84, v15, v0
	buffer_load_dword v15, off, s[0:3], s32 offset:1064 ; 4-byte Folded Reload
	v_and_b32_e32 v0, 0xffff0000, v100
	s_waitcnt vmcnt(0)
	v_fmac_f32_e32 v80, v15, v0
	buffer_load_dword v15, off, s[0:3], s32 offset:1068 ; 4-byte Folded Reload
	v_and_b32_e32 v0, 0xffff0000, v119
	s_waitcnt vmcnt(0)
	v_fmac_f32_e32 v81, v15, v0
	buffer_load_dword v15, off, s[0:3], s32 offset:1072 ; 4-byte Folded Reload
	v_and_b32_e32 v0, 0xffff0000, v44
	s_waitcnt vmcnt(0)
	v_fmac_f32_e32 v85, v15, v0
	buffer_load_dword v15, off, s[0:3], s32 offset:1076 ; 4-byte Folded Reload
	v_and_b32_e32 v0, 0xffff0000, v99
	s_waitcnt vmcnt(0)
	v_fmac_f32_e32 v78, v15, v0
	buffer_load_dword v15, off, s[0:3], s32 offset:1080 ; 4-byte Folded Reload
	v_and_b32_e32 v0, 0xffff0000, v42
	s_waitcnt vmcnt(0)
	v_fmac_f32_e32 v88, v15, v0
	buffer_load_dword v15, off, s[0:3], s32 offset:1084 ; 4-byte Folded Reload
	v_and_b32_e32 v0, 0xffff0000, v117
	s_waitcnt vmcnt(0)
	v_fmac_f32_e32 v86, v15, v0
	buffer_load_dword v15, off, s[0:3], s32 offset:1088 ; 4-byte Folded Reload
	v_and_b32_e32 v0, 0xffff0000, v113
	s_waitcnt vmcnt(0)
	v_fmac_f32_e32 v83, v15, v0
	buffer_load_dword v15, off, s[0:3], s32 offset:1092 ; 4-byte Folded Reload
	v_and_b32_e32 v0, 0xffff0000, v112
	s_waitcnt vmcnt(0)
	v_fmac_f32_e32 v84, v15, v0
	buffer_load_dword v15, off, s[0:3], s32 offset:1096 ; 4-byte Folded Reload
	v_and_b32_e32 v0, 0xffff0000, v114
	s_waitcnt vmcnt(0)
	v_fmac_f32_e32 v80, v15, v0
	buffer_load_dword v15, off, s[0:3], s32 offset:1100 ; 4-byte Folded Reload
	v_and_b32_e32 v0, 0xffff0000, v41
	s_waitcnt vmcnt(0)
	v_fmac_f32_e32 v81, v15, v0
	buffer_load_dword v15, off, s[0:3], s32 offset:1104 ; 4-byte Folded Reload
	v_and_b32_e32 v0, 0xffff0000, v102
	s_waitcnt vmcnt(0)
	v_fmac_f32_e32 v85, v15, v0
	buffer_load_dword v15, off, s[0:3], s32 offset:1108 ; 4-byte Folded Reload
	v_and_b32_e32 v0, 0xffff0000, v116
	s_waitcnt vmcnt(0)
	v_fmac_f32_e32 v78, v15, v0
	buffer_load_dword v15, off, s[0:3], s32 offset:1112 ; 4-byte Folded Reload
	v_and_b32_e32 v0, 0xffff0000, v118
	s_waitcnt vmcnt(0)
	v_fmac_f32_e32 v88, v15, v0
	buffer_load_dword v15, off, s[0:3], s32 offset:1116 ; 4-byte Folded Reload
	v_and_b32_e32 v0, 0xffff0000, v47
	s_waitcnt vmcnt(0)
	v_fmac_f32_e32 v86, v15, v0
	buffer_load_dword v15, off, s[0:3], s32 offset:1120 ; 4-byte Folded Reload
	v_and_b32_e32 v0, 0xffff0000, v21
	s_waitcnt vmcnt(0)
	v_fmac_f32_e32 v83, v15, v0
	buffer_load_dword v15, off, s[0:3], s32 offset:1124 ; 4-byte Folded Reload
	v_and_b32_e32 v0, 0xffff0000, v20
	s_waitcnt vmcnt(0)
	v_fmac_f32_e32 v84, v15, v0
	buffer_load_dword v15, off, s[0:3], s32 offset:1128 ; 4-byte Folded Reload
	v_and_b32_e32 v0, 0xffff0000, v124
	s_waitcnt vmcnt(0)
	v_fmac_f32_e32 v80, v15, v0
	buffer_load_dword v15, off, s[0:3], s32 offset:1132 ; 4-byte Folded Reload
	v_and_b32_e32 v0, 0xffff0000, v40
	s_waitcnt vmcnt(0)
	v_fmac_f32_e32 v81, v15, v0
	buffer_load_dword v15, off, s[0:3], s32 offset:1136 ; 4-byte Folded Reload
	v_and_b32_e32 v0, 0xffff0000, v115
	s_waitcnt vmcnt(0)
	v_fmac_f32_e32 v85, v15, v0
	buffer_load_dword v15, off, s[0:3], s32 offset:1140 ; 4-byte Folded Reload
	v_and_b32_e32 v0, 0xffff0000, v17
	s_waitcnt vmcnt(0)
	v_fmac_f32_e32 v78, v15, v0
	buffer_load_dword v15, off, s[0:3], s32 offset:1144 ; 4-byte Folded Reload
	v_and_b32_e32 v0, 0xffff0000, v125
	s_waitcnt vmcnt(0)
	v_fmac_f32_e32 v88, v15, v0
	v_and_b32_e32 v0, 0xffff0000, v12
	buffer_load_dword v12, off, s[0:3], s32 offset:1148 ; 4-byte Folded Reload
	s_waitcnt vmcnt(0)
	v_fmac_f32_e32 v86, v12, v0
	buffer_load_dword v12, off, s[0:3], s32 offset:1152 ; 4-byte Folded Reload
	v_and_b32_e32 v0, 0xffff0000, v127
	s_waitcnt vmcnt(0)
	v_fmac_f32_e32 v83, v12, v0
	buffer_load_dword v12, off, s[0:3], s32 offset:1156 ; 4-byte Folded Reload
	v_and_b32_e32 v0, 0xffff0000, v123
	;; [unrolled: 4-line block ×3, first 2 shown]
	s_waitcnt vmcnt(0)
	v_fmac_f32_e32 v80, v12, v0
	v_and_b32_e32 v0, 0xffff0000, v4
	buffer_load_dword v4, off, s[0:3], s32 offset:1164 ; 4-byte Folded Reload
	s_waitcnt vmcnt(0)
	v_fmac_f32_e32 v81, v4, v0
	buffer_load_dword v4, off, s[0:3], s32 offset:1168 ; 4-byte Folded Reload
	v_and_b32_e32 v0, 0xffff0000, v11
	s_waitcnt vmcnt(0)
	v_fmac_f32_e32 v85, v4, v0
	buffer_load_dword v4, off, s[0:3], s32 offset:1172 ; 4-byte Folded Reload
	v_and_b32_e32 v0, 0xffff0000, v111
	;; [unrolled: 4-line block ×10, first 2 shown]
	s_waitcnt vmcnt(0)
	v_fmac_f32_e32 v78, v4, v0
	v_and_b32_e32 v0, 0xffff0000, v1
	buffer_load_dword v1, off, s[0:3], s32 offset:1208 ; 4-byte Folded Reload
	s_waitcnt vmcnt(0)
	v_fmac_f32_e32 v88, v1, v0
	buffer_load_dword v1, off, s[0:3], s32 offset:1212 ; 4-byte Folded Reload
	v_and_b32_e32 v0, 0xffff0000, v18
	s_waitcnt vmcnt(0)
	v_fmac_f32_e32 v86, v1, v0
	buffer_load_dword v1, off, s[0:3], s32 offset:1216 ; 4-byte Folded Reload
	v_and_b32_e32 v0, 0xffff0000, v19
	;; [unrolled: 4-line block ×5, first 2 shown]
	buffer_load_dword v2, off, s[0:3], s32 offset:1600 ; 4-byte Folded Reload
	s_waitcnt vmcnt(1)
	v_fmac_f32_e32 v81, v1, v0
	buffer_load_dword v1, off, s[0:3], s32 offset:1232 ; 4-byte Folded Reload
	v_and_b32_e32 v0, 0xffff0000, v109
	s_waitcnt vmcnt(0)
	v_fmac_f32_e32 v85, v1, v0
	buffer_load_dword v1, off, s[0:3], s32 offset:1236 ; 4-byte Folded Reload
	v_and_b32_e32 v0, 0xffff0000, v6
	;; [unrolled: 4-line block ×14, first 2 shown]
	s_waitcnt vmcnt(0)
	v_fmac_f32_e32 v84, v1, v0
	s_clause 0x1
	buffer_load_dword v0, off, s[0:3], s32 offset:824
	buffer_load_dword v1, off, s[0:3], s32 offset:1288
	s_waitcnt vmcnt(1)
	v_and_b32_e32 v0, 0xffff0000, v0
	s_waitcnt vmcnt(0)
	v_fmac_f32_e32 v80, v1, v0
	buffer_load_dword v1, off, s[0:3], s32 offset:1292 ; 4-byte Folded Reload
	v_and_b32_e32 v0, 0xffff0000, v58
	s_waitcnt vmcnt(0)
	v_fmac_f32_e32 v81, v1, v0
	buffer_load_dword v1, off, s[0:3], s32 offset:1296 ; 4-byte Folded Reload
	v_and_b32_e32 v0, 0xffff0000, v29
	s_waitcnt vmcnt(0)
	v_fmac_f32_e32 v85, v1, v0
	s_clause 0x1
	buffer_load_dword v0, off, s[0:3], s32 offset:820
	buffer_load_dword v1, off, s[0:3], s32 offset:1300
	s_waitcnt vmcnt(1)
	v_and_b32_e32 v0, 0xffff0000, v0
	s_waitcnt vmcnt(0)
	v_fmac_f32_e32 v78, v1, v0
	s_clause 0x1
	buffer_load_dword v0, off, s[0:3], s32 offset:812
	buffer_load_dword v1, off, s[0:3], s32 offset:1304
	s_waitcnt vmcnt(1)
	;; [unrolled: 7-line block ×69, first 2 shown]
	v_and_b32_e32 v0, 0xffff0000, v0
	s_waitcnt vmcnt(0)
	v_fmac_f32_e32 v84, v1, v0
	s_clause 0x2
	buffer_load_dword v0, off, s[0:3], s32 offset:524
	buffer_load_dword v1, off, s[0:3], s32 offset:1576
	;; [unrolled: 1-line block ×3, first 2 shown]
	s_waitcnt vmcnt(2)
	v_and_b32_e32 v0, 0xffff0000, v0
	s_waitcnt vmcnt(1)
	v_fmac_f32_e32 v80, v1, v0
	s_clause 0x1
	buffer_load_dword v0, off, s[0:3], s32 offset:540
	buffer_load_dword v1, off, s[0:3], s32 offset:1580
	s_waitcnt vmcnt(1)
	v_and_b32_e32 v0, 0xffff0000, v0
	s_waitcnt vmcnt(0)
	v_fmac_f32_e32 v81, v1, v0
	s_clause 0x1
	buffer_load_dword v0, off, s[0:3], s32 offset:548
	buffer_load_dword v1, off, s[0:3], s32 offset:1584
	s_waitcnt vmcnt(1)
	v_and_b32_e32 v0, 0xffff0000, v0
	s_waitcnt vmcnt(0)
	v_fmac_f32_e32 v85, v1, v0
	buffer_load_dword v1, off, s[0:3], s32 offset:1588 ; 4-byte Folded Reload
	v_and_b32_e32 v0, 0xffff0000, v97
	s_waitcnt vmcnt(0)
	v_fmac_f32_e32 v78, v1, v0
	buffer_load_dword v1, off, s[0:3], s32 offset:1592 ; 4-byte Folded Reload
	;; [unrolled: 4-line block ×3, first 2 shown]
	v_and_b32_e32 v0, 0xffff0000, v63
	s_waitcnt vmcnt(0)
	v_fmac_f32_e32 v86, v1, v0
	v_and_b32_e32 v1, 0xffff0000, v77
	v_add_f32_e32 v0, v78, v88
	v_fmac_f32_e32 v83, v2, v1
	buffer_load_dword v2, off, s[0:3], s32 offset:1604 ; 4-byte Folded Reload
	v_and_b32_e32 v1, 0xffff0000, v76
	v_add_f32_e32 v0, v0, v86
	v_add_f32_e32 v0, v83, v0
	s_waitcnt vmcnt(0)
	v_fmac_f32_e32 v84, v2, v1
	buffer_load_dword v2, off, s[0:3], s32 offset:1608 ; 4-byte Folded Reload
	v_and_b32_e32 v1, 0xffff0000, v79
	v_add_f32_e32 v0, v84, v0
	s_waitcnt vmcnt(0)
	v_fmac_f32_e32 v80, v2, v1
	buffer_load_dword v2, off, s[0:3], s32 offset:1612 ; 4-byte Folded Reload
	v_and_b32_e32 v1, 0xffff0000, v10
	;; [unrolled: 5-line block ×3, first 2 shown]
	v_add_f32_e32 v0, v81, v0
	s_waitcnt vmcnt(0)
	v_fmac_f32_e32 v85, v2, v1
	buffer_load_dword v2, off, s[0:3], s32 offset:840 ; 4-byte Folded Reload
	v_sub_nc_u32_e32 v1, 1, v107
	v_add_f32_e32 v0, v85, v0
	v_add_nc_u32_e32 v1, v1, v33
	v_add_nc_u32_e32 v33, 0x80, v33
	v_cvt_f32_i32_e32 v1, v1
	s_waitcnt vmcnt(0)
	v_mul_f32_e32 v1, v2, v1
	buffer_load_dword v2, off, s[0:3], s32 offset:836 ; 4-byte Folded Reload
	v_cndmask_b32_e32 v1, 0, v1, vcc_lo
	s_waitcnt vmcnt(0)
	v_fmac_f32_e32 v1, v2, v0
	v_max_f32_e32 v0, v5, v5
	v_max_f32_e32 v0, v0, v1
	v_cndmask_b32_e64 v1, 0, v1, s5
	v_cndmask_b32_e64 v5, v5, v0, s5
	ds_write_b32 v31, v1
	s_clause 0x2
	buffer_load_dword v0, off, s[0:3], s32 offset:592
	buffer_load_dword v3, off, s[0:3], s32 offset:512
	;; [unrolled: 1-line block ×3, first 2 shown]
	v_add_nc_u32_e32 v31, 0x200, v31
	s_waitcnt vmcnt(2)
	v_cmp_ge_i32_e64 s5, v30, v0
	s_waitcnt vmcnt(1)
	v_add_co_u32 v3, s6, v3, 16
	s_waitcnt vmcnt(0)
	v_add_co_ci_u32_e64 v4, null, 0, v4, s6
	s_or_b32 s22, s5, s22
	s_andn2_b32 exec_lo, exec_lo, s22
	s_cbranch_execz .LBB397_1544
.LBB397_11:                             ; =>This Inner Loop Header: Depth=1
	buffer_store_dword v5, off, s[0:3], s32 offset:520 ; 4-byte Folded Spill
	buffer_store_dword v3, off, s[0:3], s32 offset:512 ; 4-byte Folded Spill
	;; [unrolled: 1-line block ×3, first 2 shown]
	v_mov_b32_e32 v120, v30
	v_mov_b32_e32 v110, v31
	;; [unrolled: 1-line block ×4, first 2 shown]
	flat_load_dword v0, v[3:4]
	s_clause 0x2
	buffer_load_dword v1, off, s[0:3], s32 offset:588
	buffer_load_dword v2, off, s[0:3], s32 offset:844
	;; [unrolled: 1-line block ×3, first 2 shown]
	s_waitcnt vmcnt(0) lgkmcnt(0)
	v_mad_i64_i32 v[28:29], null, v0, v1, v[2:3]
	flat_load_dwordx2 v[30:31], v[28:29]
	s_clause 0x1
	buffer_load_dword v0, off, s[0:3], s32 offset:828
	buffer_load_dword v1, off, s[0:3], s32 offset:832
	s_waitcnt vmcnt(2) lgkmcnt(0)
	v_cmp_ne_u16_sdwa s5, v30, v9 src0_sel:BYTE_0 src1_sel:DWORD
	s_waitcnt vmcnt(0)
	flat_load_dword v10, v[0:1]
	s_and_saveexec_b32 s6, s5
	s_cbranch_execz .LBB397_19
; %bb.12:                               ;   in Loop: Header=BB397_11 Depth=1
	v_cmp_ne_u16_sdwa s5, v30, v126 src0_sel:BYTE_0 src1_sel:DWORD
	v_bfrev_b32_e32 v53, 1
	s_and_saveexec_b32 s17, s5
	s_cbranch_execz .LBB397_18
; %bb.13:                               ;   in Loop: Header=BB397_11 Depth=1
	v_and_b32_e32 v1, 0x7f, v30
	v_mov_b32_e32 v53, 0x7f800001
	s_mov_b32 s23, exec_lo
	v_cmpx_ne_u32_e32 0x7f, v1
	s_cbranch_execz .LBB397_17
; %bb.14:                               ;   in Loop: Header=BB397_11 Depth=1
	v_mov_b32_e32 v33, v31
	v_lshrrev_b32_e32 v0, 3, v1
	v_mov_b32_e32 v32, v30
	s_mov_b32 s24, exec_lo
	v_cmpx_gt_u32_e32 8, v1
; %bb.15:                               ;   in Loop: Header=BB397_11 Depth=1
	v_and_b32_e32 v0, 7, v30
	v_ffbh_u32_e32 v0, v0
	v_min_u32_e32 v0, 32, v0
	v_subrev_nc_u32_e32 v1, 28, v0
	v_sub_nc_u32_e32 v0, 29, v0
	v_lshlrev_b64 v[32:33], v1, v[30:31]
; %bb.16:                               ;   in Loop: Header=BB397_11 Depth=1
	s_or_b32 exec_lo, exec_lo, s24
	v_lshlrev_b32_e32 v1, 20, v32
	v_lshlrev_b32_e32 v2, 24, v30
	v_lshl_add_u32 v0, v0, 23, 0x3c000000
	v_and_b32_e32 v1, 0x700000, v1
	v_and_b32_e32 v2, 0x80000000, v2
	v_or3_b32 v53, v1, v2, v0
.LBB397_17:                             ;   in Loop: Header=BB397_11 Depth=1
	s_or_b32 exec_lo, exec_lo, s23
.LBB397_18:                             ;   in Loop: Header=BB397_11 Depth=1
	s_or_b32 exec_lo, exec_lo, s17
.LBB397_19:                             ;   in Loop: Header=BB397_11 Depth=1
	s_or_b32 exec_lo, exec_lo, s6
	v_cmp_ne_u16_sdwa s5, v30, v9 src0_sel:BYTE_1 src1_sel:DWORD
	v_mov_b32_e32 v24, 0
	v_mov_b32_e32 v121, 0
	s_and_saveexec_b32 s6, s5
	s_cbranch_execz .LBB397_27
; %bb.20:                               ;   in Loop: Header=BB397_11 Depth=1
	v_cmp_ne_u16_sdwa s5, v30, v126 src0_sel:BYTE_1 src1_sel:DWORD
	v_bfrev_b32_e32 v121, 1
	s_and_saveexec_b32 s17, s5
	s_cbranch_execz .LBB397_26
; %bb.21:                               ;   in Loop: Header=BB397_11 Depth=1
	v_mov_b32_e32 v0, 0xffff
	v_mov_b32_e32 v121, 0x7f800001
	s_mov_b32 s23, exec_lo
	v_and_b32_sdwa v0, v0, v30 dst_sel:DWORD dst_unused:UNUSED_PAD src0_sel:DWORD src1_sel:BYTE_1
	v_and_b32_e32 v1, 0x7f, v0
	v_cmpx_ne_u32_e32 0x7f, v1
	s_cbranch_execz .LBB397_25
; %bb.22:                               ;   in Loop: Header=BB397_11 Depth=1
	v_and_b32_e32 v8, 7, v0
	v_mov_b32_e32 v33, v9
	v_lshrrev_b32_e32 v0, 3, v1
	s_mov_b32 s24, exec_lo
	v_mov_b32_e32 v32, v8
	v_cmpx_gt_u32_e32 8, v1
; %bb.23:                               ;   in Loop: Header=BB397_11 Depth=1
	v_ffbh_u32_e32 v0, v8
	v_min_u32_e32 v0, 32, v0
	v_subrev_nc_u32_e32 v1, 28, v0
	v_sub_nc_u32_e32 v0, 29, v0
	v_lshlrev_b64 v[1:2], v1, v[8:9]
	v_and_b32_e32 v32, 7, v1
; %bb.24:                               ;   in Loop: Header=BB397_11 Depth=1
	s_or_b32 exec_lo, exec_lo, s24
	v_lshlrev_b32_e32 v1, 16, v30
	v_lshlrev_b32_e32 v2, 20, v32
	v_lshl_add_u32 v0, v0, 23, 0x3c000000
	v_and_b32_e32 v1, 0x80000000, v1
	v_or3_b32 v121, v2, v1, v0
.LBB397_25:                             ;   in Loop: Header=BB397_11 Depth=1
	s_or_b32 exec_lo, exec_lo, s23
.LBB397_26:                             ;   in Loop: Header=BB397_11 Depth=1
	s_or_b32 exec_lo, exec_lo, s17
.LBB397_27:                             ;   in Loop: Header=BB397_11 Depth=1
	s_or_b32 exec_lo, exec_lo, s6
	v_mov_b32_e32 v0, 0xff
	s_mov_b32 s6, exec_lo
	v_and_b32_sdwa v0, v30, v0 dst_sel:DWORD dst_unused:UNUSED_PAD src0_sel:WORD_1 src1_sel:DWORD
	v_cmpx_ne_u16_e32 0, v0
	s_cbranch_execz .LBB397_35
; %bb.28:                               ;   in Loop: Header=BB397_11 Depth=1
	v_bfrev_b32_e32 v24, 1
	s_mov_b32 s17, exec_lo
	v_cmpx_ne_u16_e32 0x80, v0
	s_cbranch_execz .LBB397_34
; %bb.29:                               ;   in Loop: Header=BB397_11 Depth=1
	v_bfe_u32 v1, v30, 16, 7
	v_mov_b32_e32 v24, 0x7f800001
	s_mov_b32 s23, exec_lo
	v_cmpx_ne_u32_e32 0x7f, v1
	s_cbranch_execz .LBB397_33
; %bb.30:                               ;   in Loop: Header=BB397_11 Depth=1
	v_mov_b32_e32 v0, 7
	s_mov_b32 s24, exec_lo
	v_and_b32_sdwa v8, v30, v0 dst_sel:DWORD dst_unused:UNUSED_PAD src0_sel:WORD_1 src1_sel:DWORD
	v_mov_b32_e32 v33, v9
	v_lshrrev_b32_e32 v0, 3, v1
	v_mov_b32_e32 v32, v8
	v_cmpx_gt_u32_e32 8, v1
; %bb.31:                               ;   in Loop: Header=BB397_11 Depth=1
	v_ffbh_u32_e32 v0, v8
	v_min_u32_e32 v0, 32, v0
	v_subrev_nc_u32_e32 v1, 28, v0
	v_sub_nc_u32_e32 v0, 29, v0
	v_lshlrev_b64 v[1:2], v1, v[8:9]
	v_and_b32_e32 v32, 7, v1
; %bb.32:                               ;   in Loop: Header=BB397_11 Depth=1
	s_or_b32 exec_lo, exec_lo, s24
	v_mov_b32_e32 v1, 24
	v_lshlrev_b32_e32 v2, 20, v32
	v_lshl_add_u32 v0, v0, 23, 0x3c000000
	v_lshlrev_b32_sdwa v1, v1, v30 dst_sel:DWORD dst_unused:UNUSED_PAD src0_sel:DWORD src1_sel:WORD_1
	v_and_b32_e32 v1, 0x80000000, v1
	v_or3_b32 v24, v2, v1, v0
.LBB397_33:                             ;   in Loop: Header=BB397_11 Depth=1
	s_or_b32 exec_lo, exec_lo, s23
.LBB397_34:                             ;   in Loop: Header=BB397_11 Depth=1
	s_or_b32 exec_lo, exec_lo, s17
.LBB397_35:                             ;   in Loop: Header=BB397_11 Depth=1
	s_or_b32 exec_lo, exec_lo, s6
	v_mov_b32_e32 v0, 0
	v_mov_b32_e32 v78, 0
	s_mov_b32 s6, exec_lo
	buffer_store_dword v0, off, s[0:3], s32 offset:200 ; 4-byte Folded Spill
	v_cmpx_lt_u32_e32 0xffffff, v30
	s_cbranch_execz .LBB397_43
; %bb.36:                               ;   in Loop: Header=BB397_11 Depth=1
	v_cmp_ne_u32_sdwa s5, v30, v126 src0_sel:BYTE_3 src1_sel:DWORD
	v_bfrev_b32_e32 v78, 1
	s_and_saveexec_b32 s17, s5
	s_cbranch_execz .LBB397_42
; %bb.37:                               ;   in Loop: Header=BB397_11 Depth=1
	v_bfe_u32 v1, v30, 24, 7
	v_mov_b32_e32 v78, 0x7f800001
	s_mov_b32 s23, exec_lo
	v_cmpx_ne_u32_e32 0x7f, v1
	s_cbranch_execz .LBB397_41
; %bb.38:                               ;   in Loop: Header=BB397_11 Depth=1
	v_mov_b32_e32 v0, 7
	s_mov_b32 s24, exec_lo
	v_and_b32_sdwa v8, v30, v0 dst_sel:DWORD dst_unused:UNUSED_PAD src0_sel:BYTE_3 src1_sel:DWORD
	v_mov_b32_e32 v33, v9
	v_lshrrev_b32_e32 v0, 3, v1
	v_mov_b32_e32 v32, v8
	v_cmpx_gt_u32_e32 8, v1
; %bb.39:                               ;   in Loop: Header=BB397_11 Depth=1
	v_ffbh_u32_e32 v0, v8
	v_min_u32_e32 v0, 32, v0
	v_subrev_nc_u32_e32 v1, 28, v0
	v_sub_nc_u32_e32 v0, 29, v0
	v_lshlrev_b64 v[1:2], v1, v[8:9]
	v_and_b32_e32 v32, 7, v1
; %bb.40:                               ;   in Loop: Header=BB397_11 Depth=1
	s_or_b32 exec_lo, exec_lo, s24
	v_mov_b32_e32 v1, 24
	v_lshlrev_b32_e32 v2, 20, v32
	v_lshl_add_u32 v0, v0, 23, 0x3c000000
	v_lshlrev_b32_sdwa v1, v1, v30 dst_sel:DWORD dst_unused:UNUSED_PAD src0_sel:DWORD src1_sel:BYTE_3
	v_and_b32_e32 v1, 0x80000000, v1
	v_or3_b32 v78, v2, v1, v0
.LBB397_41:                             ;   in Loop: Header=BB397_11 Depth=1
	s_or_b32 exec_lo, exec_lo, s23
.LBB397_42:                             ;   in Loop: Header=BB397_11 Depth=1
	s_or_b32 exec_lo, exec_lo, s17
.LBB397_43:                             ;   in Loop: Header=BB397_11 Depth=1
	s_or_b32 exec_lo, exec_lo, s6
	v_mov_b32_e32 v8, v31
	v_cmp_ne_u16_sdwa s5, v31, v9 src0_sel:BYTE_0 src1_sel:DWORD
	s_and_saveexec_b32 s6, s5
	s_cbranch_execz .LBB397_51
; %bb.44:                               ;   in Loop: Header=BB397_11 Depth=1
	v_cmp_ne_u16_sdwa s5, v31, v126 src0_sel:BYTE_0 src1_sel:DWORD
	v_bfrev_b32_e32 v0, 1
	buffer_store_dword v0, off, s[0:3], s32 offset:200 ; 4-byte Folded Spill
	s_and_saveexec_b32 s17, s5
	s_cbranch_execz .LBB397_50
; %bb.45:                               ;   in Loop: Header=BB397_11 Depth=1
	v_and_b32_e32 v1, 0x7f, v31
	v_mov_b32_e32 v0, 0x7f800001
	s_mov_b32 s23, exec_lo
	buffer_store_dword v0, off, s[0:3], s32 offset:200 ; 4-byte Folded Spill
	v_cmpx_ne_u32_e32 0x7f, v1
	s_cbranch_execz .LBB397_49
; %bb.46:                               ;   in Loop: Header=BB397_11 Depth=1
	v_mov_b32_e32 v33, v9
	v_lshrrev_b32_e32 v0, 3, v1
	v_mov_b32_e32 v32, v8
	s_mov_b32 s24, exec_lo
	v_cmpx_gt_u32_e32 8, v1
; %bb.47:                               ;   in Loop: Header=BB397_11 Depth=1
	v_and_b32_e32 v0, 7, v31
	v_ffbh_u32_e32 v0, v0
	v_min_u32_e32 v0, 32, v0
	v_subrev_nc_u32_e32 v1, 28, v0
	v_sub_nc_u32_e32 v0, 29, v0
	v_lshlrev_b64 v[32:33], v1, v[8:9]
; %bb.48:                               ;   in Loop: Header=BB397_11 Depth=1
	s_or_b32 exec_lo, exec_lo, s24
	v_lshlrev_b32_e32 v1, 20, v32
	v_lshlrev_b32_e32 v2, 24, v8
	v_lshl_add_u32 v0, v0, 23, 0x3c000000
	v_and_b32_e32 v1, 0x700000, v1
	v_and_b32_e32 v2, 0x80000000, v2
	v_or3_b32 v0, v1, v2, v0
	buffer_store_dword v0, off, s[0:3], s32 offset:200 ; 4-byte Folded Spill
.LBB397_49:                             ;   in Loop: Header=BB397_11 Depth=1
	s_or_b32 exec_lo, exec_lo, s23
.LBB397_50:                             ;   in Loop: Header=BB397_11 Depth=1
	s_or_b32 exec_lo, exec_lo, s17
.LBB397_51:                             ;   in Loop: Header=BB397_11 Depth=1
	s_or_b32 exec_lo, exec_lo, s6
	v_mov_b32_e32 v0, 0
	v_cmp_ne_u16_sdwa s5, v8, v9 src0_sel:BYTE_1 src1_sel:DWORD
	buffer_store_dword v0, off, s[0:3], s32 offset:204 ; 4-byte Folded Spill
	v_mov_b32_e32 v0, 0
	buffer_store_dword v0, off, s[0:3], s32 offset:208 ; 4-byte Folded Spill
	s_and_saveexec_b32 s6, s5
	s_cbranch_execz .LBB397_59
; %bb.52:                               ;   in Loop: Header=BB397_11 Depth=1
	v_cmp_ne_u16_sdwa s5, v8, v126 src0_sel:BYTE_1 src1_sel:DWORD
	v_bfrev_b32_e32 v0, 1
	buffer_store_dword v0, off, s[0:3], s32 offset:208 ; 4-byte Folded Spill
	s_and_saveexec_b32 s17, s5
	s_cbranch_execz .LBB397_58
; %bb.53:                               ;   in Loop: Header=BB397_11 Depth=1
	v_mov_b32_e32 v0, 0xffff
	v_mov_b32_e32 v2, 0x7f800001
	s_mov_b32 s23, exec_lo
	v_and_b32_sdwa v0, v0, v8 dst_sel:DWORD dst_unused:UNUSED_PAD src0_sel:DWORD src1_sel:BYTE_1
	buffer_store_dword v2, off, s[0:3], s32 offset:208 ; 4-byte Folded Spill
	v_and_b32_e32 v1, 0x7f, v0
	v_cmpx_ne_u32_e32 0x7f, v1
	s_cbranch_execz .LBB397_57
; %bb.54:                               ;   in Loop: Header=BB397_11 Depth=1
	v_and_b32_e32 v32, 7, v0
	v_mov_b32_e32 v33, v9
	v_lshrrev_b32_e32 v0, 3, v1
	s_mov_b32 s24, exec_lo
	v_cmpx_gt_u32_e32 8, v1
; %bb.55:                               ;   in Loop: Header=BB397_11 Depth=1
	v_ffbh_u32_e32 v0, v32
	v_min_u32_e32 v0, 32, v0
	v_subrev_nc_u32_e32 v1, 28, v0
	v_sub_nc_u32_e32 v0, 29, v0
	v_lshlrev_b64 v[1:2], v1, v[32:33]
	v_and_b32_e32 v32, 7, v1
; %bb.56:                               ;   in Loop: Header=BB397_11 Depth=1
	s_or_b32 exec_lo, exec_lo, s24
	v_lshlrev_b32_e32 v1, 16, v8
	v_lshlrev_b32_e32 v2, 20, v32
	v_lshl_add_u32 v0, v0, 23, 0x3c000000
	v_and_b32_e32 v1, 0x80000000, v1
	v_or3_b32 v0, v2, v1, v0
	buffer_store_dword v0, off, s[0:3], s32 offset:208 ; 4-byte Folded Spill
.LBB397_57:                             ;   in Loop: Header=BB397_11 Depth=1
	s_or_b32 exec_lo, exec_lo, s23
.LBB397_58:                             ;   in Loop: Header=BB397_11 Depth=1
	s_or_b32 exec_lo, exec_lo, s17
.LBB397_59:                             ;   in Loop: Header=BB397_11 Depth=1
	s_or_b32 exec_lo, exec_lo, s6
	v_mov_b32_e32 v0, 0xff
	s_mov_b32 s6, exec_lo
	v_and_b32_sdwa v0, v31, v0 dst_sel:DWORD dst_unused:UNUSED_PAD src0_sel:WORD_1 src1_sel:DWORD
	v_cmpx_ne_u16_e32 0, v0
	s_cbranch_execz .LBB397_67
; %bb.60:                               ;   in Loop: Header=BB397_11 Depth=1
	v_cmp_ne_u16_e64 s5, 0x80, v0
	v_bfrev_b32_e32 v0, 1
	buffer_store_dword v0, off, s[0:3], s32 offset:204 ; 4-byte Folded Spill
	s_and_saveexec_b32 s17, s5
	s_cbranch_execz .LBB397_66
; %bb.61:                               ;   in Loop: Header=BB397_11 Depth=1
	v_bfe_u32 v1, v31, 16, 7
	v_mov_b32_e32 v0, 0x7f800001
	s_mov_b32 s23, exec_lo
	buffer_store_dword v0, off, s[0:3], s32 offset:204 ; 4-byte Folded Spill
	v_cmpx_ne_u32_e32 0x7f, v1
	s_cbranch_execz .LBB397_65
; %bb.62:                               ;   in Loop: Header=BB397_11 Depth=1
	v_mov_b32_e32 v0, 7
	s_mov_b32 s24, exec_lo
	v_and_b32_sdwa v8, v31, v0 dst_sel:DWORD dst_unused:UNUSED_PAD src0_sel:WORD_1 src1_sel:DWORD
	v_mov_b32_e32 v33, v9
	v_lshrrev_b32_e32 v0, 3, v1
	v_mov_b32_e32 v32, v8
	v_cmpx_gt_u32_e32 8, v1
; %bb.63:                               ;   in Loop: Header=BB397_11 Depth=1
	v_ffbh_u32_e32 v0, v8
	v_min_u32_e32 v0, 32, v0
	v_subrev_nc_u32_e32 v1, 28, v0
	v_sub_nc_u32_e32 v0, 29, v0
	v_lshlrev_b64 v[1:2], v1, v[8:9]
	v_and_b32_e32 v32, 7, v1
; %bb.64:                               ;   in Loop: Header=BB397_11 Depth=1
	s_or_b32 exec_lo, exec_lo, s24
	v_mov_b32_e32 v1, 24
	v_lshlrev_b32_e32 v2, 20, v32
	v_lshl_add_u32 v0, v0, 23, 0x3c000000
	v_lshlrev_b32_sdwa v1, v1, v31 dst_sel:DWORD dst_unused:UNUSED_PAD src0_sel:DWORD src1_sel:WORD_1
	v_and_b32_e32 v1, 0x80000000, v1
	v_or3_b32 v0, v2, v1, v0
	buffer_store_dword v0, off, s[0:3], s32 offset:204 ; 4-byte Folded Spill
.LBB397_65:                             ;   in Loop: Header=BB397_11 Depth=1
	s_or_b32 exec_lo, exec_lo, s23
.LBB397_66:                             ;   in Loop: Header=BB397_11 Depth=1
	s_or_b32 exec_lo, exec_lo, s17
.LBB397_67:                             ;   in Loop: Header=BB397_11 Depth=1
	s_or_b32 exec_lo, exec_lo, s6
	v_mov_b32_e32 v96, 0
	v_mov_b32_e32 v0, 0
	s_mov_b32 s6, exec_lo
	buffer_store_dword v0, off, s[0:3], s32 offset:212 ; 4-byte Folded Spill
	v_cmpx_lt_u64_e64 s[8:9], v[30:31]
	s_cbranch_execz .LBB397_75
; %bb.68:                               ;   in Loop: Header=BB397_11 Depth=1
	v_cmp_ne_u32_sdwa s5, v31, v126 src0_sel:BYTE_3 src1_sel:DWORD
	v_bfrev_b32_e32 v0, 1
	buffer_store_dword v0, off, s[0:3], s32 offset:212 ; 4-byte Folded Spill
	s_and_saveexec_b32 s17, s5
	s_cbranch_execz .LBB397_74
; %bb.69:                               ;   in Loop: Header=BB397_11 Depth=1
	v_bfe_u32 v1, v31, 24, 7
	v_mov_b32_e32 v0, 0x7f800001
	s_mov_b32 s23, exec_lo
	buffer_store_dword v0, off, s[0:3], s32 offset:212 ; 4-byte Folded Spill
	v_cmpx_ne_u32_e32 0x7f, v1
	s_cbranch_execz .LBB397_73
; %bb.70:                               ;   in Loop: Header=BB397_11 Depth=1
	v_mov_b32_e32 v0, 7
	s_mov_b32 s24, exec_lo
	v_and_b32_sdwa v8, v31, v0 dst_sel:DWORD dst_unused:UNUSED_PAD src0_sel:BYTE_3 src1_sel:DWORD
	v_mov_b32_e32 v33, v9
	v_lshrrev_b32_e32 v0, 3, v1
	v_mov_b32_e32 v32, v8
	v_cmpx_gt_u32_e32 8, v1
; %bb.71:                               ;   in Loop: Header=BB397_11 Depth=1
	v_ffbh_u32_e32 v0, v8
	v_min_u32_e32 v0, 32, v0
	v_subrev_nc_u32_e32 v1, 28, v0
	v_sub_nc_u32_e32 v0, 29, v0
	v_lshlrev_b64 v[1:2], v1, v[8:9]
	v_and_b32_e32 v32, 7, v1
; %bb.72:                               ;   in Loop: Header=BB397_11 Depth=1
	s_or_b32 exec_lo, exec_lo, s24
	v_mov_b32_e32 v1, 24
	v_lshlrev_b32_e32 v2, 20, v32
	v_lshl_add_u32 v0, v0, 23, 0x3c000000
	v_lshlrev_b32_sdwa v1, v1, v31 dst_sel:DWORD dst_unused:UNUSED_PAD src0_sel:DWORD src1_sel:BYTE_3
	v_and_b32_e32 v1, 0x80000000, v1
	v_or3_b32 v0, v2, v1, v0
	buffer_store_dword v0, off, s[0:3], s32 offset:212 ; 4-byte Folded Spill
.LBB397_73:                             ;   in Loop: Header=BB397_11 Depth=1
	s_or_b32 exec_lo, exec_lo, s23
.LBB397_74:                             ;   in Loop: Header=BB397_11 Depth=1
	s_or_b32 exec_lo, exec_lo, s17
.LBB397_75:                             ;   in Loop: Header=BB397_11 Depth=1
	s_or_b32 exec_lo, exec_lo, s6
	flat_load_dwordx2 v[30:31], v[28:29] offset:8
	s_waitcnt vmcnt(0) lgkmcnt(0)
	v_cmp_ne_u16_sdwa s5, v30, v9 src0_sel:BYTE_0 src1_sel:DWORD
	s_and_saveexec_b32 s6, s5
	s_cbranch_execz .LBB397_83
; %bb.76:                               ;   in Loop: Header=BB397_11 Depth=1
	v_cmp_ne_u16_sdwa s5, v30, v126 src0_sel:BYTE_0 src1_sel:DWORD
	v_bfrev_b32_e32 v96, 1
	s_and_saveexec_b32 s17, s5
	s_cbranch_execz .LBB397_82
; %bb.77:                               ;   in Loop: Header=BB397_11 Depth=1
	v_and_b32_e32 v1, 0x7f, v30
	v_mov_b32_e32 v96, 0x7f800001
	s_mov_b32 s23, exec_lo
	v_cmpx_ne_u32_e32 0x7f, v1
	s_cbranch_execz .LBB397_81
; %bb.78:                               ;   in Loop: Header=BB397_11 Depth=1
	v_mov_b32_e32 v33, v31
	v_lshrrev_b32_e32 v0, 3, v1
	v_mov_b32_e32 v32, v30
	s_mov_b32 s24, exec_lo
	v_cmpx_gt_u32_e32 8, v1
; %bb.79:                               ;   in Loop: Header=BB397_11 Depth=1
	v_and_b32_e32 v0, 7, v30
	v_ffbh_u32_e32 v0, v0
	v_min_u32_e32 v0, 32, v0
	v_subrev_nc_u32_e32 v1, 28, v0
	v_sub_nc_u32_e32 v0, 29, v0
	v_lshlrev_b64 v[32:33], v1, v[30:31]
; %bb.80:                               ;   in Loop: Header=BB397_11 Depth=1
	s_or_b32 exec_lo, exec_lo, s24
	v_lshlrev_b32_e32 v1, 20, v32
	v_lshlrev_b32_e32 v2, 24, v30
	v_lshl_add_u32 v0, v0, 23, 0x3c000000
	v_and_b32_e32 v1, 0x700000, v1
	v_and_b32_e32 v2, 0x80000000, v2
	v_or3_b32 v96, v1, v2, v0
.LBB397_81:                             ;   in Loop: Header=BB397_11 Depth=1
	s_or_b32 exec_lo, exec_lo, s23
.LBB397_82:                             ;   in Loop: Header=BB397_11 Depth=1
	s_or_b32 exec_lo, exec_lo, s17
.LBB397_83:                             ;   in Loop: Header=BB397_11 Depth=1
	s_or_b32 exec_lo, exec_lo, s6
	v_mov_b32_e32 v0, 0
	v_cmp_ne_u16_sdwa s5, v30, v9 src0_sel:BYTE_1 src1_sel:DWORD
	buffer_store_dword v0, off, s[0:3], s32 offset:220 ; 4-byte Folded Spill
	v_mov_b32_e32 v0, 0
	buffer_store_dword v0, off, s[0:3], s32 offset:216 ; 4-byte Folded Spill
	s_and_saveexec_b32 s6, s5
	s_cbranch_execz .LBB397_91
; %bb.84:                               ;   in Loop: Header=BB397_11 Depth=1
	v_cmp_ne_u16_sdwa s5, v30, v126 src0_sel:BYTE_1 src1_sel:DWORD
	v_bfrev_b32_e32 v0, 1
	buffer_store_dword v0, off, s[0:3], s32 offset:216 ; 4-byte Folded Spill
	s_and_saveexec_b32 s17, s5
	s_cbranch_execz .LBB397_90
; %bb.85:                               ;   in Loop: Header=BB397_11 Depth=1
	v_mov_b32_e32 v0, 0xffff
	v_mov_b32_e32 v2, 0x7f800001
	s_mov_b32 s23, exec_lo
	v_and_b32_sdwa v0, v0, v30 dst_sel:DWORD dst_unused:UNUSED_PAD src0_sel:DWORD src1_sel:BYTE_1
	buffer_store_dword v2, off, s[0:3], s32 offset:216 ; 4-byte Folded Spill
	v_and_b32_e32 v1, 0x7f, v0
	v_cmpx_ne_u32_e32 0x7f, v1
	s_cbranch_execz .LBB397_89
; %bb.86:                               ;   in Loop: Header=BB397_11 Depth=1
	v_and_b32_e32 v8, 7, v0
	v_mov_b32_e32 v33, v9
	v_lshrrev_b32_e32 v0, 3, v1
	s_mov_b32 s24, exec_lo
	v_mov_b32_e32 v32, v8
	v_cmpx_gt_u32_e32 8, v1
; %bb.87:                               ;   in Loop: Header=BB397_11 Depth=1
	v_ffbh_u32_e32 v0, v8
	v_min_u32_e32 v0, 32, v0
	v_subrev_nc_u32_e32 v1, 28, v0
	v_sub_nc_u32_e32 v0, 29, v0
	v_lshlrev_b64 v[1:2], v1, v[8:9]
	v_and_b32_e32 v32, 7, v1
; %bb.88:                               ;   in Loop: Header=BB397_11 Depth=1
	s_or_b32 exec_lo, exec_lo, s24
	v_lshlrev_b32_e32 v1, 16, v30
	v_lshlrev_b32_e32 v2, 20, v32
	v_lshl_add_u32 v0, v0, 23, 0x3c000000
	v_and_b32_e32 v1, 0x80000000, v1
	v_or3_b32 v0, v2, v1, v0
	buffer_store_dword v0, off, s[0:3], s32 offset:216 ; 4-byte Folded Spill
.LBB397_89:                             ;   in Loop: Header=BB397_11 Depth=1
	s_or_b32 exec_lo, exec_lo, s23
.LBB397_90:                             ;   in Loop: Header=BB397_11 Depth=1
	s_or_b32 exec_lo, exec_lo, s17
.LBB397_91:                             ;   in Loop: Header=BB397_11 Depth=1
	s_or_b32 exec_lo, exec_lo, s6
	v_mov_b32_e32 v0, 0xff
	s_mov_b32 s6, exec_lo
	v_and_b32_sdwa v0, v30, v0 dst_sel:DWORD dst_unused:UNUSED_PAD src0_sel:WORD_1 src1_sel:DWORD
	v_cmpx_ne_u16_e32 0, v0
	s_cbranch_execz .LBB397_99
; %bb.92:                               ;   in Loop: Header=BB397_11 Depth=1
	v_cmp_ne_u16_e64 s5, 0x80, v0
	v_bfrev_b32_e32 v0, 1
	buffer_store_dword v0, off, s[0:3], s32 offset:220 ; 4-byte Folded Spill
	s_and_saveexec_b32 s17, s5
	s_cbranch_execz .LBB397_98
; %bb.93:                               ;   in Loop: Header=BB397_11 Depth=1
	v_bfe_u32 v1, v30, 16, 7
	v_mov_b32_e32 v0, 0x7f800001
	s_mov_b32 s23, exec_lo
	buffer_store_dword v0, off, s[0:3], s32 offset:220 ; 4-byte Folded Spill
	v_cmpx_ne_u32_e32 0x7f, v1
	s_cbranch_execz .LBB397_97
; %bb.94:                               ;   in Loop: Header=BB397_11 Depth=1
	v_mov_b32_e32 v0, 7
	s_mov_b32 s24, exec_lo
	v_and_b32_sdwa v8, v30, v0 dst_sel:DWORD dst_unused:UNUSED_PAD src0_sel:WORD_1 src1_sel:DWORD
	v_mov_b32_e32 v33, v9
	v_lshrrev_b32_e32 v0, 3, v1
	v_mov_b32_e32 v32, v8
	v_cmpx_gt_u32_e32 8, v1
; %bb.95:                               ;   in Loop: Header=BB397_11 Depth=1
	v_ffbh_u32_e32 v0, v8
	v_min_u32_e32 v0, 32, v0
	v_subrev_nc_u32_e32 v1, 28, v0
	v_sub_nc_u32_e32 v0, 29, v0
	v_lshlrev_b64 v[1:2], v1, v[8:9]
	v_and_b32_e32 v32, 7, v1
; %bb.96:                               ;   in Loop: Header=BB397_11 Depth=1
	s_or_b32 exec_lo, exec_lo, s24
	v_mov_b32_e32 v1, 24
	v_lshlrev_b32_e32 v2, 20, v32
	v_lshl_add_u32 v0, v0, 23, 0x3c000000
	v_lshlrev_b32_sdwa v1, v1, v30 dst_sel:DWORD dst_unused:UNUSED_PAD src0_sel:DWORD src1_sel:WORD_1
	v_and_b32_e32 v1, 0x80000000, v1
	v_or3_b32 v0, v2, v1, v0
	buffer_store_dword v0, off, s[0:3], s32 offset:220 ; 4-byte Folded Spill
.LBB397_97:                             ;   in Loop: Header=BB397_11 Depth=1
	s_or_b32 exec_lo, exec_lo, s23
.LBB397_98:                             ;   in Loop: Header=BB397_11 Depth=1
	s_or_b32 exec_lo, exec_lo, s17
.LBB397_99:                             ;   in Loop: Header=BB397_11 Depth=1
	s_or_b32 exec_lo, exec_lo, s6
	v_mov_b32_e32 v0, 0
	s_mov_b32 s6, exec_lo
	buffer_store_dword v0, off, s[0:3], s32 offset:228 ; 4-byte Folded Spill
	v_mov_b32_e32 v0, 0
	buffer_store_dword v0, off, s[0:3], s32 offset:224 ; 4-byte Folded Spill
	v_cmpx_lt_u32_e32 0xffffff, v30
	s_cbranch_execz .LBB397_107
; %bb.100:                              ;   in Loop: Header=BB397_11 Depth=1
	v_cmp_ne_u32_sdwa s5, v30, v126 src0_sel:BYTE_3 src1_sel:DWORD
	v_bfrev_b32_e32 v0, 1
	buffer_store_dword v0, off, s[0:3], s32 offset:224 ; 4-byte Folded Spill
	s_and_saveexec_b32 s17, s5
	s_cbranch_execz .LBB397_106
; %bb.101:                              ;   in Loop: Header=BB397_11 Depth=1
	v_bfe_u32 v1, v30, 24, 7
	v_mov_b32_e32 v0, 0x7f800001
	s_mov_b32 s23, exec_lo
	buffer_store_dword v0, off, s[0:3], s32 offset:224 ; 4-byte Folded Spill
	v_cmpx_ne_u32_e32 0x7f, v1
	s_cbranch_execz .LBB397_105
; %bb.102:                              ;   in Loop: Header=BB397_11 Depth=1
	v_mov_b32_e32 v0, 7
	s_mov_b32 s24, exec_lo
	v_and_b32_sdwa v8, v30, v0 dst_sel:DWORD dst_unused:UNUSED_PAD src0_sel:BYTE_3 src1_sel:DWORD
	v_mov_b32_e32 v33, v9
	v_lshrrev_b32_e32 v0, 3, v1
	v_mov_b32_e32 v32, v8
	v_cmpx_gt_u32_e32 8, v1
; %bb.103:                              ;   in Loop: Header=BB397_11 Depth=1
	v_ffbh_u32_e32 v0, v8
	v_min_u32_e32 v0, 32, v0
	v_subrev_nc_u32_e32 v1, 28, v0
	v_sub_nc_u32_e32 v0, 29, v0
	v_lshlrev_b64 v[1:2], v1, v[8:9]
	v_and_b32_e32 v32, 7, v1
; %bb.104:                              ;   in Loop: Header=BB397_11 Depth=1
	s_or_b32 exec_lo, exec_lo, s24
	v_mov_b32_e32 v1, 24
	v_lshlrev_b32_e32 v2, 20, v32
	v_lshl_add_u32 v0, v0, 23, 0x3c000000
	v_lshlrev_b32_sdwa v1, v1, v30 dst_sel:DWORD dst_unused:UNUSED_PAD src0_sel:DWORD src1_sel:BYTE_3
	v_and_b32_e32 v1, 0x80000000, v1
	v_or3_b32 v0, v2, v1, v0
	buffer_store_dword v0, off, s[0:3], s32 offset:224 ; 4-byte Folded Spill
.LBB397_105:                            ;   in Loop: Header=BB397_11 Depth=1
	s_or_b32 exec_lo, exec_lo, s23
.LBB397_106:                            ;   in Loop: Header=BB397_11 Depth=1
	s_or_b32 exec_lo, exec_lo, s17
.LBB397_107:                            ;   in Loop: Header=BB397_11 Depth=1
	s_or_b32 exec_lo, exec_lo, s6
	v_mov_b32_e32 v8, v31
	v_cmp_ne_u16_sdwa s5, v31, v9 src0_sel:BYTE_0 src1_sel:DWORD
	s_and_saveexec_b32 s6, s5
	s_cbranch_execz .LBB397_115
; %bb.108:                              ;   in Loop: Header=BB397_11 Depth=1
	v_cmp_ne_u16_sdwa s5, v31, v126 src0_sel:BYTE_0 src1_sel:DWORD
	v_bfrev_b32_e32 v0, 1
	buffer_store_dword v0, off, s[0:3], s32 offset:228 ; 4-byte Folded Spill
	s_and_saveexec_b32 s17, s5
	s_cbranch_execz .LBB397_114
; %bb.109:                              ;   in Loop: Header=BB397_11 Depth=1
	v_and_b32_e32 v1, 0x7f, v31
	v_mov_b32_e32 v0, 0x7f800001
	s_mov_b32 s23, exec_lo
	buffer_store_dword v0, off, s[0:3], s32 offset:228 ; 4-byte Folded Spill
	v_cmpx_ne_u32_e32 0x7f, v1
	s_cbranch_execz .LBB397_113
; %bb.110:                              ;   in Loop: Header=BB397_11 Depth=1
	v_mov_b32_e32 v33, v9
	v_lshrrev_b32_e32 v0, 3, v1
	v_mov_b32_e32 v32, v8
	s_mov_b32 s24, exec_lo
	v_cmpx_gt_u32_e32 8, v1
; %bb.111:                              ;   in Loop: Header=BB397_11 Depth=1
	v_and_b32_e32 v0, 7, v31
	v_ffbh_u32_e32 v0, v0
	v_min_u32_e32 v0, 32, v0
	v_subrev_nc_u32_e32 v1, 28, v0
	v_sub_nc_u32_e32 v0, 29, v0
	v_lshlrev_b64 v[32:33], v1, v[8:9]
; %bb.112:                              ;   in Loop: Header=BB397_11 Depth=1
	s_or_b32 exec_lo, exec_lo, s24
	v_lshlrev_b32_e32 v1, 20, v32
	v_lshlrev_b32_e32 v2, 24, v8
	v_lshl_add_u32 v0, v0, 23, 0x3c000000
	v_and_b32_e32 v1, 0x700000, v1
	v_and_b32_e32 v2, 0x80000000, v2
	v_or3_b32 v0, v1, v2, v0
	buffer_store_dword v0, off, s[0:3], s32 offset:228 ; 4-byte Folded Spill
.LBB397_113:                            ;   in Loop: Header=BB397_11 Depth=1
	s_or_b32 exec_lo, exec_lo, s23
.LBB397_114:                            ;   in Loop: Header=BB397_11 Depth=1
	s_or_b32 exec_lo, exec_lo, s17
.LBB397_115:                            ;   in Loop: Header=BB397_11 Depth=1
	s_or_b32 exec_lo, exec_lo, s6
	v_mov_b32_e32 v0, 0
	v_cmp_ne_u16_sdwa s5, v8, v9 src0_sel:BYTE_1 src1_sel:DWORD
	buffer_store_dword v0, off, s[0:3], s32 offset:232 ; 4-byte Folded Spill
	v_mov_b32_e32 v0, 0
	buffer_store_dword v0, off, s[0:3], s32 offset:236 ; 4-byte Folded Spill
	s_and_saveexec_b32 s6, s5
	s_cbranch_execz .LBB397_123
; %bb.116:                              ;   in Loop: Header=BB397_11 Depth=1
	v_cmp_ne_u16_sdwa s5, v8, v126 src0_sel:BYTE_1 src1_sel:DWORD
	v_bfrev_b32_e32 v0, 1
	buffer_store_dword v0, off, s[0:3], s32 offset:236 ; 4-byte Folded Spill
	s_and_saveexec_b32 s17, s5
	s_cbranch_execz .LBB397_122
; %bb.117:                              ;   in Loop: Header=BB397_11 Depth=1
	v_mov_b32_e32 v0, 0xffff
	v_mov_b32_e32 v2, 0x7f800001
	s_mov_b32 s23, exec_lo
	v_and_b32_sdwa v0, v0, v8 dst_sel:DWORD dst_unused:UNUSED_PAD src0_sel:DWORD src1_sel:BYTE_1
	buffer_store_dword v2, off, s[0:3], s32 offset:236 ; 4-byte Folded Spill
	v_and_b32_e32 v1, 0x7f, v0
	v_cmpx_ne_u32_e32 0x7f, v1
	s_cbranch_execz .LBB397_121
; %bb.118:                              ;   in Loop: Header=BB397_11 Depth=1
	v_and_b32_e32 v32, 7, v0
	v_mov_b32_e32 v33, v9
	v_lshrrev_b32_e32 v0, 3, v1
	s_mov_b32 s24, exec_lo
	v_cmpx_gt_u32_e32 8, v1
; %bb.119:                              ;   in Loop: Header=BB397_11 Depth=1
	v_ffbh_u32_e32 v0, v32
	v_min_u32_e32 v0, 32, v0
	v_subrev_nc_u32_e32 v1, 28, v0
	v_sub_nc_u32_e32 v0, 29, v0
	v_lshlrev_b64 v[1:2], v1, v[32:33]
	v_and_b32_e32 v32, 7, v1
; %bb.120:                              ;   in Loop: Header=BB397_11 Depth=1
	s_or_b32 exec_lo, exec_lo, s24
	v_lshlrev_b32_e32 v1, 16, v8
	v_lshlrev_b32_e32 v2, 20, v32
	v_lshl_add_u32 v0, v0, 23, 0x3c000000
	v_and_b32_e32 v1, 0x80000000, v1
	v_or3_b32 v0, v2, v1, v0
	buffer_store_dword v0, off, s[0:3], s32 offset:236 ; 4-byte Folded Spill
.LBB397_121:                            ;   in Loop: Header=BB397_11 Depth=1
	s_or_b32 exec_lo, exec_lo, s23
.LBB397_122:                            ;   in Loop: Header=BB397_11 Depth=1
	s_or_b32 exec_lo, exec_lo, s17
.LBB397_123:                            ;   in Loop: Header=BB397_11 Depth=1
	s_or_b32 exec_lo, exec_lo, s6
	v_mov_b32_e32 v0, 0xff
	s_mov_b32 s6, exec_lo
	v_and_b32_sdwa v0, v31, v0 dst_sel:DWORD dst_unused:UNUSED_PAD src0_sel:WORD_1 src1_sel:DWORD
	v_cmpx_ne_u16_e32 0, v0
	s_cbranch_execz .LBB397_131
; %bb.124:                              ;   in Loop: Header=BB397_11 Depth=1
	v_cmp_ne_u16_e64 s5, 0x80, v0
	v_bfrev_b32_e32 v0, 1
	buffer_store_dword v0, off, s[0:3], s32 offset:232 ; 4-byte Folded Spill
	s_and_saveexec_b32 s17, s5
	s_cbranch_execz .LBB397_130
; %bb.125:                              ;   in Loop: Header=BB397_11 Depth=1
	v_bfe_u32 v1, v31, 16, 7
	v_mov_b32_e32 v0, 0x7f800001
	s_mov_b32 s23, exec_lo
	buffer_store_dword v0, off, s[0:3], s32 offset:232 ; 4-byte Folded Spill
	v_cmpx_ne_u32_e32 0x7f, v1
	s_cbranch_execz .LBB397_129
; %bb.126:                              ;   in Loop: Header=BB397_11 Depth=1
	v_mov_b32_e32 v0, 7
	s_mov_b32 s24, exec_lo
	v_and_b32_sdwa v8, v31, v0 dst_sel:DWORD dst_unused:UNUSED_PAD src0_sel:WORD_1 src1_sel:DWORD
	v_mov_b32_e32 v33, v9
	v_lshrrev_b32_e32 v0, 3, v1
	v_mov_b32_e32 v32, v8
	v_cmpx_gt_u32_e32 8, v1
; %bb.127:                              ;   in Loop: Header=BB397_11 Depth=1
	v_ffbh_u32_e32 v0, v8
	v_min_u32_e32 v0, 32, v0
	v_subrev_nc_u32_e32 v1, 28, v0
	v_sub_nc_u32_e32 v0, 29, v0
	v_lshlrev_b64 v[1:2], v1, v[8:9]
	v_and_b32_e32 v32, 7, v1
; %bb.128:                              ;   in Loop: Header=BB397_11 Depth=1
	s_or_b32 exec_lo, exec_lo, s24
	v_mov_b32_e32 v1, 24
	v_lshlrev_b32_e32 v2, 20, v32
	v_lshl_add_u32 v0, v0, 23, 0x3c000000
	v_lshlrev_b32_sdwa v1, v1, v31 dst_sel:DWORD dst_unused:UNUSED_PAD src0_sel:DWORD src1_sel:WORD_1
	v_and_b32_e32 v1, 0x80000000, v1
	v_or3_b32 v0, v2, v1, v0
	buffer_store_dword v0, off, s[0:3], s32 offset:232 ; 4-byte Folded Spill
.LBB397_129:                            ;   in Loop: Header=BB397_11 Depth=1
	s_or_b32 exec_lo, exec_lo, s23
.LBB397_130:                            ;   in Loop: Header=BB397_11 Depth=1
	s_or_b32 exec_lo, exec_lo, s17
.LBB397_131:                            ;   in Loop: Header=BB397_11 Depth=1
	s_or_b32 exec_lo, exec_lo, s6
	v_mov_b32_e32 v0, 0
	s_mov_b32 s6, exec_lo
	buffer_store_dword v0, off, s[0:3], s32 offset:244 ; 4-byte Folded Spill
	v_mov_b32_e32 v0, 0
	buffer_store_dword v0, off, s[0:3], s32 offset:240 ; 4-byte Folded Spill
	v_cmpx_lt_u64_e64 s[8:9], v[30:31]
	s_cbranch_execz .LBB397_139
; %bb.132:                              ;   in Loop: Header=BB397_11 Depth=1
	v_cmp_ne_u32_sdwa s5, v31, v126 src0_sel:BYTE_3 src1_sel:DWORD
	v_bfrev_b32_e32 v0, 1
	buffer_store_dword v0, off, s[0:3], s32 offset:240 ; 4-byte Folded Spill
	s_and_saveexec_b32 s17, s5
	s_cbranch_execz .LBB397_138
; %bb.133:                              ;   in Loop: Header=BB397_11 Depth=1
	v_bfe_u32 v1, v31, 24, 7
	v_mov_b32_e32 v0, 0x7f800001
	s_mov_b32 s23, exec_lo
	buffer_store_dword v0, off, s[0:3], s32 offset:240 ; 4-byte Folded Spill
	v_cmpx_ne_u32_e32 0x7f, v1
	s_cbranch_execz .LBB397_137
; %bb.134:                              ;   in Loop: Header=BB397_11 Depth=1
	v_mov_b32_e32 v0, 7
	s_mov_b32 s24, exec_lo
	v_and_b32_sdwa v8, v31, v0 dst_sel:DWORD dst_unused:UNUSED_PAD src0_sel:BYTE_3 src1_sel:DWORD
	v_mov_b32_e32 v33, v9
	v_lshrrev_b32_e32 v0, 3, v1
	v_mov_b32_e32 v32, v8
	v_cmpx_gt_u32_e32 8, v1
; %bb.135:                              ;   in Loop: Header=BB397_11 Depth=1
	v_ffbh_u32_e32 v0, v8
	v_min_u32_e32 v0, 32, v0
	v_subrev_nc_u32_e32 v1, 28, v0
	v_sub_nc_u32_e32 v0, 29, v0
	v_lshlrev_b64 v[1:2], v1, v[8:9]
	v_and_b32_e32 v32, 7, v1
; %bb.136:                              ;   in Loop: Header=BB397_11 Depth=1
	s_or_b32 exec_lo, exec_lo, s24
	v_mov_b32_e32 v1, 24
	v_lshlrev_b32_e32 v2, 20, v32
	v_lshl_add_u32 v0, v0, 23, 0x3c000000
	v_lshlrev_b32_sdwa v1, v1, v31 dst_sel:DWORD dst_unused:UNUSED_PAD src0_sel:DWORD src1_sel:BYTE_3
	v_and_b32_e32 v1, 0x80000000, v1
	v_or3_b32 v0, v2, v1, v0
	buffer_store_dword v0, off, s[0:3], s32 offset:240 ; 4-byte Folded Spill
.LBB397_137:                            ;   in Loop: Header=BB397_11 Depth=1
	s_or_b32 exec_lo, exec_lo, s23
.LBB397_138:                            ;   in Loop: Header=BB397_11 Depth=1
	s_or_b32 exec_lo, exec_lo, s17
.LBB397_139:                            ;   in Loop: Header=BB397_11 Depth=1
	s_or_b32 exec_lo, exec_lo, s6
	flat_load_dwordx2 v[30:31], v[28:29] offset:512
	s_waitcnt vmcnt(0) lgkmcnt(0)
	v_cmp_ne_u16_sdwa s5, v30, v9 src0_sel:BYTE_0 src1_sel:DWORD
	s_and_saveexec_b32 s6, s5
	s_cbranch_execz .LBB397_147
; %bb.140:                              ;   in Loop: Header=BB397_11 Depth=1
	v_cmp_ne_u16_sdwa s5, v30, v126 src0_sel:BYTE_0 src1_sel:DWORD
	v_bfrev_b32_e32 v0, 1
	buffer_store_dword v0, off, s[0:3], s32 offset:244 ; 4-byte Folded Spill
	s_and_saveexec_b32 s17, s5
	s_cbranch_execz .LBB397_146
; %bb.141:                              ;   in Loop: Header=BB397_11 Depth=1
	v_and_b32_e32 v1, 0x7f, v30
	v_mov_b32_e32 v0, 0x7f800001
	s_mov_b32 s23, exec_lo
	buffer_store_dword v0, off, s[0:3], s32 offset:244 ; 4-byte Folded Spill
	v_cmpx_ne_u32_e32 0x7f, v1
	s_cbranch_execz .LBB397_145
; %bb.142:                              ;   in Loop: Header=BB397_11 Depth=1
	v_mov_b32_e32 v33, v31
	v_lshrrev_b32_e32 v0, 3, v1
	v_mov_b32_e32 v32, v30
	s_mov_b32 s24, exec_lo
	v_cmpx_gt_u32_e32 8, v1
; %bb.143:                              ;   in Loop: Header=BB397_11 Depth=1
	v_and_b32_e32 v0, 7, v30
	v_ffbh_u32_e32 v0, v0
	v_min_u32_e32 v0, 32, v0
	v_subrev_nc_u32_e32 v1, 28, v0
	v_sub_nc_u32_e32 v0, 29, v0
	v_lshlrev_b64 v[32:33], v1, v[30:31]
; %bb.144:                              ;   in Loop: Header=BB397_11 Depth=1
	s_or_b32 exec_lo, exec_lo, s24
	v_lshlrev_b32_e32 v1, 20, v32
	v_lshlrev_b32_e32 v2, 24, v30
	v_lshl_add_u32 v0, v0, 23, 0x3c000000
	v_and_b32_e32 v1, 0x700000, v1
	v_and_b32_e32 v2, 0x80000000, v2
	v_or3_b32 v0, v1, v2, v0
	buffer_store_dword v0, off, s[0:3], s32 offset:244 ; 4-byte Folded Spill
.LBB397_145:                            ;   in Loop: Header=BB397_11 Depth=1
	s_or_b32 exec_lo, exec_lo, s23
.LBB397_146:                            ;   in Loop: Header=BB397_11 Depth=1
	s_or_b32 exec_lo, exec_lo, s17
.LBB397_147:                            ;   in Loop: Header=BB397_11 Depth=1
	s_or_b32 exec_lo, exec_lo, s6
	v_cmp_ne_u16_sdwa s5, v30, v9 src0_sel:BYTE_1 src1_sel:DWORD
	v_mov_b32_e32 v0, 0
	v_mov_b32_e32 v59, 0
	buffer_store_dword v0, off, s[0:3], s32 offset:248 ; 4-byte Folded Spill
	s_and_saveexec_b32 s6, s5
	s_cbranch_execz .LBB397_155
; %bb.148:                              ;   in Loop: Header=BB397_11 Depth=1
	v_cmp_ne_u16_sdwa s5, v30, v126 src0_sel:BYTE_1 src1_sel:DWORD
	v_bfrev_b32_e32 v59, 1
	s_and_saveexec_b32 s17, s5
	s_cbranch_execz .LBB397_154
; %bb.149:                              ;   in Loop: Header=BB397_11 Depth=1
	v_mov_b32_e32 v0, 0xffff
	v_mov_b32_e32 v59, 0x7f800001
	s_mov_b32 s23, exec_lo
	v_and_b32_sdwa v0, v0, v30 dst_sel:DWORD dst_unused:UNUSED_PAD src0_sel:DWORD src1_sel:BYTE_1
	v_and_b32_e32 v1, 0x7f, v0
	v_cmpx_ne_u32_e32 0x7f, v1
	s_cbranch_execz .LBB397_153
; %bb.150:                              ;   in Loop: Header=BB397_11 Depth=1
	v_and_b32_e32 v8, 7, v0
	v_mov_b32_e32 v33, v9
	v_lshrrev_b32_e32 v0, 3, v1
	s_mov_b32 s24, exec_lo
	v_mov_b32_e32 v32, v8
	v_cmpx_gt_u32_e32 8, v1
; %bb.151:                              ;   in Loop: Header=BB397_11 Depth=1
	v_ffbh_u32_e32 v0, v8
	v_min_u32_e32 v0, 32, v0
	v_subrev_nc_u32_e32 v1, 28, v0
	v_sub_nc_u32_e32 v0, 29, v0
	v_lshlrev_b64 v[1:2], v1, v[8:9]
	v_and_b32_e32 v32, 7, v1
; %bb.152:                              ;   in Loop: Header=BB397_11 Depth=1
	s_or_b32 exec_lo, exec_lo, s24
	v_lshlrev_b32_e32 v1, 16, v30
	v_lshlrev_b32_e32 v2, 20, v32
	v_lshl_add_u32 v0, v0, 23, 0x3c000000
	v_and_b32_e32 v1, 0x80000000, v1
	v_or3_b32 v59, v2, v1, v0
.LBB397_153:                            ;   in Loop: Header=BB397_11 Depth=1
	s_or_b32 exec_lo, exec_lo, s23
.LBB397_154:                            ;   in Loop: Header=BB397_11 Depth=1
	s_or_b32 exec_lo, exec_lo, s17
.LBB397_155:                            ;   in Loop: Header=BB397_11 Depth=1
	s_or_b32 exec_lo, exec_lo, s6
	v_mov_b32_e32 v0, 0xff
	s_mov_b32 s6, exec_lo
	v_and_b32_sdwa v0, v30, v0 dst_sel:DWORD dst_unused:UNUSED_PAD src0_sel:WORD_1 src1_sel:DWORD
	v_cmpx_ne_u16_e32 0, v0
	s_cbranch_execz .LBB397_163
; %bb.156:                              ;   in Loop: Header=BB397_11 Depth=1
	v_cmp_ne_u16_e64 s5, 0x80, v0
	v_bfrev_b32_e32 v0, 1
	buffer_store_dword v0, off, s[0:3], s32 offset:248 ; 4-byte Folded Spill
	s_and_saveexec_b32 s17, s5
	s_cbranch_execz .LBB397_162
; %bb.157:                              ;   in Loop: Header=BB397_11 Depth=1
	v_bfe_u32 v1, v30, 16, 7
	v_mov_b32_e32 v0, 0x7f800001
	s_mov_b32 s23, exec_lo
	buffer_store_dword v0, off, s[0:3], s32 offset:248 ; 4-byte Folded Spill
	v_cmpx_ne_u32_e32 0x7f, v1
	s_cbranch_execz .LBB397_161
; %bb.158:                              ;   in Loop: Header=BB397_11 Depth=1
	v_mov_b32_e32 v0, 7
	s_mov_b32 s24, exec_lo
	v_and_b32_sdwa v8, v30, v0 dst_sel:DWORD dst_unused:UNUSED_PAD src0_sel:WORD_1 src1_sel:DWORD
	v_mov_b32_e32 v33, v9
	v_lshrrev_b32_e32 v0, 3, v1
	v_mov_b32_e32 v32, v8
	v_cmpx_gt_u32_e32 8, v1
; %bb.159:                              ;   in Loop: Header=BB397_11 Depth=1
	v_ffbh_u32_e32 v0, v8
	v_min_u32_e32 v0, 32, v0
	v_subrev_nc_u32_e32 v1, 28, v0
	v_sub_nc_u32_e32 v0, 29, v0
	v_lshlrev_b64 v[1:2], v1, v[8:9]
	v_and_b32_e32 v32, 7, v1
; %bb.160:                              ;   in Loop: Header=BB397_11 Depth=1
	s_or_b32 exec_lo, exec_lo, s24
	v_mov_b32_e32 v1, 24
	v_lshlrev_b32_e32 v2, 20, v32
	v_lshl_add_u32 v0, v0, 23, 0x3c000000
	v_lshlrev_b32_sdwa v1, v1, v30 dst_sel:DWORD dst_unused:UNUSED_PAD src0_sel:DWORD src1_sel:WORD_1
	v_and_b32_e32 v1, 0x80000000, v1
	v_or3_b32 v0, v2, v1, v0
	buffer_store_dword v0, off, s[0:3], s32 offset:248 ; 4-byte Folded Spill
.LBB397_161:                            ;   in Loop: Header=BB397_11 Depth=1
	s_or_b32 exec_lo, exec_lo, s23
.LBB397_162:                            ;   in Loop: Header=BB397_11 Depth=1
	s_or_b32 exec_lo, exec_lo, s17
.LBB397_163:                            ;   in Loop: Header=BB397_11 Depth=1
	s_or_b32 exec_lo, exec_lo, s6
	v_mov_b32_e32 v0, 0
	s_mov_b32 s6, exec_lo
	buffer_store_dword v0, off, s[0:3], s32 offset:256 ; 4-byte Folded Spill
	v_mov_b32_e32 v0, 0
	buffer_store_dword v0, off, s[0:3], s32 offset:252 ; 4-byte Folded Spill
	v_cmpx_lt_u32_e32 0xffffff, v30
	s_cbranch_execz .LBB397_171
; %bb.164:                              ;   in Loop: Header=BB397_11 Depth=1
	v_cmp_ne_u32_sdwa s5, v30, v126 src0_sel:BYTE_3 src1_sel:DWORD
	v_bfrev_b32_e32 v0, 1
	buffer_store_dword v0, off, s[0:3], s32 offset:252 ; 4-byte Folded Spill
	s_and_saveexec_b32 s17, s5
	s_cbranch_execz .LBB397_170
; %bb.165:                              ;   in Loop: Header=BB397_11 Depth=1
	v_bfe_u32 v1, v30, 24, 7
	v_mov_b32_e32 v0, 0x7f800001
	s_mov_b32 s23, exec_lo
	buffer_store_dword v0, off, s[0:3], s32 offset:252 ; 4-byte Folded Spill
	v_cmpx_ne_u32_e32 0x7f, v1
	s_cbranch_execz .LBB397_169
; %bb.166:                              ;   in Loop: Header=BB397_11 Depth=1
	v_mov_b32_e32 v0, 7
	s_mov_b32 s24, exec_lo
	v_and_b32_sdwa v8, v30, v0 dst_sel:DWORD dst_unused:UNUSED_PAD src0_sel:BYTE_3 src1_sel:DWORD
	v_mov_b32_e32 v33, v9
	v_lshrrev_b32_e32 v0, 3, v1
	v_mov_b32_e32 v32, v8
	v_cmpx_gt_u32_e32 8, v1
; %bb.167:                              ;   in Loop: Header=BB397_11 Depth=1
	v_ffbh_u32_e32 v0, v8
	v_min_u32_e32 v0, 32, v0
	v_subrev_nc_u32_e32 v1, 28, v0
	v_sub_nc_u32_e32 v0, 29, v0
	v_lshlrev_b64 v[1:2], v1, v[8:9]
	v_and_b32_e32 v32, 7, v1
; %bb.168:                              ;   in Loop: Header=BB397_11 Depth=1
	s_or_b32 exec_lo, exec_lo, s24
	v_mov_b32_e32 v1, 24
	v_lshlrev_b32_e32 v2, 20, v32
	v_lshl_add_u32 v0, v0, 23, 0x3c000000
	v_lshlrev_b32_sdwa v1, v1, v30 dst_sel:DWORD dst_unused:UNUSED_PAD src0_sel:DWORD src1_sel:BYTE_3
	v_and_b32_e32 v1, 0x80000000, v1
	v_or3_b32 v0, v2, v1, v0
	buffer_store_dword v0, off, s[0:3], s32 offset:252 ; 4-byte Folded Spill
.LBB397_169:                            ;   in Loop: Header=BB397_11 Depth=1
	s_or_b32 exec_lo, exec_lo, s23
.LBB397_170:                            ;   in Loop: Header=BB397_11 Depth=1
	s_or_b32 exec_lo, exec_lo, s17
.LBB397_171:                            ;   in Loop: Header=BB397_11 Depth=1
	s_or_b32 exec_lo, exec_lo, s6
	v_mov_b32_e32 v8, v31
	v_cmp_ne_u16_sdwa s5, v31, v9 src0_sel:BYTE_0 src1_sel:DWORD
	s_and_saveexec_b32 s6, s5
	s_cbranch_execz .LBB397_179
; %bb.172:                              ;   in Loop: Header=BB397_11 Depth=1
	v_cmp_ne_u16_sdwa s5, v31, v126 src0_sel:BYTE_0 src1_sel:DWORD
	v_bfrev_b32_e32 v0, 1
	buffer_store_dword v0, off, s[0:3], s32 offset:256 ; 4-byte Folded Spill
	s_and_saveexec_b32 s17, s5
	s_cbranch_execz .LBB397_178
; %bb.173:                              ;   in Loop: Header=BB397_11 Depth=1
	v_and_b32_e32 v1, 0x7f, v31
	v_mov_b32_e32 v0, 0x7f800001
	s_mov_b32 s23, exec_lo
	buffer_store_dword v0, off, s[0:3], s32 offset:256 ; 4-byte Folded Spill
	v_cmpx_ne_u32_e32 0x7f, v1
	s_cbranch_execz .LBB397_177
; %bb.174:                              ;   in Loop: Header=BB397_11 Depth=1
	v_mov_b32_e32 v33, v9
	v_lshrrev_b32_e32 v0, 3, v1
	v_mov_b32_e32 v32, v8
	s_mov_b32 s24, exec_lo
	v_cmpx_gt_u32_e32 8, v1
; %bb.175:                              ;   in Loop: Header=BB397_11 Depth=1
	v_and_b32_e32 v0, 7, v31
	v_ffbh_u32_e32 v0, v0
	v_min_u32_e32 v0, 32, v0
	v_subrev_nc_u32_e32 v1, 28, v0
	v_sub_nc_u32_e32 v0, 29, v0
	v_lshlrev_b64 v[32:33], v1, v[8:9]
; %bb.176:                              ;   in Loop: Header=BB397_11 Depth=1
	s_or_b32 exec_lo, exec_lo, s24
	v_lshlrev_b32_e32 v1, 20, v32
	v_lshlrev_b32_e32 v2, 24, v8
	v_lshl_add_u32 v0, v0, 23, 0x3c000000
	v_and_b32_e32 v1, 0x700000, v1
	v_and_b32_e32 v2, 0x80000000, v2
	v_or3_b32 v0, v1, v2, v0
	buffer_store_dword v0, off, s[0:3], s32 offset:256 ; 4-byte Folded Spill
.LBB397_177:                            ;   in Loop: Header=BB397_11 Depth=1
	s_or_b32 exec_lo, exec_lo, s23
.LBB397_178:                            ;   in Loop: Header=BB397_11 Depth=1
	s_or_b32 exec_lo, exec_lo, s17
.LBB397_179:                            ;   in Loop: Header=BB397_11 Depth=1
	s_or_b32 exec_lo, exec_lo, s6
	v_mov_b32_e32 v0, 0
	v_cmp_ne_u16_sdwa s5, v8, v9 src0_sel:BYTE_1 src1_sel:DWORD
	buffer_store_dword v0, off, s[0:3], s32 offset:260 ; 4-byte Folded Spill
	v_mov_b32_e32 v0, 0
	buffer_store_dword v0, off, s[0:3], s32 offset:264 ; 4-byte Folded Spill
	s_and_saveexec_b32 s6, s5
	s_cbranch_execz .LBB397_187
; %bb.180:                              ;   in Loop: Header=BB397_11 Depth=1
	v_cmp_ne_u16_sdwa s5, v8, v126 src0_sel:BYTE_1 src1_sel:DWORD
	v_bfrev_b32_e32 v0, 1
	buffer_store_dword v0, off, s[0:3], s32 offset:264 ; 4-byte Folded Spill
	s_and_saveexec_b32 s17, s5
	s_cbranch_execz .LBB397_186
; %bb.181:                              ;   in Loop: Header=BB397_11 Depth=1
	v_mov_b32_e32 v0, 0xffff
	v_mov_b32_e32 v2, 0x7f800001
	s_mov_b32 s23, exec_lo
	v_and_b32_sdwa v0, v0, v8 dst_sel:DWORD dst_unused:UNUSED_PAD src0_sel:DWORD src1_sel:BYTE_1
	buffer_store_dword v2, off, s[0:3], s32 offset:264 ; 4-byte Folded Spill
	v_and_b32_e32 v1, 0x7f, v0
	v_cmpx_ne_u32_e32 0x7f, v1
	s_cbranch_execz .LBB397_185
; %bb.182:                              ;   in Loop: Header=BB397_11 Depth=1
	v_and_b32_e32 v32, 7, v0
	v_mov_b32_e32 v33, v9
	v_lshrrev_b32_e32 v0, 3, v1
	s_mov_b32 s24, exec_lo
	v_cmpx_gt_u32_e32 8, v1
; %bb.183:                              ;   in Loop: Header=BB397_11 Depth=1
	v_ffbh_u32_e32 v0, v32
	v_min_u32_e32 v0, 32, v0
	v_subrev_nc_u32_e32 v1, 28, v0
	v_sub_nc_u32_e32 v0, 29, v0
	v_lshlrev_b64 v[1:2], v1, v[32:33]
	v_and_b32_e32 v32, 7, v1
; %bb.184:                              ;   in Loop: Header=BB397_11 Depth=1
	s_or_b32 exec_lo, exec_lo, s24
	v_lshlrev_b32_e32 v1, 16, v8
	v_lshlrev_b32_e32 v2, 20, v32
	v_lshl_add_u32 v0, v0, 23, 0x3c000000
	v_and_b32_e32 v1, 0x80000000, v1
	v_or3_b32 v0, v2, v1, v0
	buffer_store_dword v0, off, s[0:3], s32 offset:264 ; 4-byte Folded Spill
.LBB397_185:                            ;   in Loop: Header=BB397_11 Depth=1
	s_or_b32 exec_lo, exec_lo, s23
.LBB397_186:                            ;   in Loop: Header=BB397_11 Depth=1
	s_or_b32 exec_lo, exec_lo, s17
.LBB397_187:                            ;   in Loop: Header=BB397_11 Depth=1
	s_or_b32 exec_lo, exec_lo, s6
	v_mov_b32_e32 v0, 0xff
	s_mov_b32 s6, exec_lo
	v_and_b32_sdwa v0, v31, v0 dst_sel:DWORD dst_unused:UNUSED_PAD src0_sel:WORD_1 src1_sel:DWORD
	v_cmpx_ne_u16_e32 0, v0
	s_cbranch_execz .LBB397_195
; %bb.188:                              ;   in Loop: Header=BB397_11 Depth=1
	v_cmp_ne_u16_e64 s5, 0x80, v0
	v_bfrev_b32_e32 v0, 1
	buffer_store_dword v0, off, s[0:3], s32 offset:260 ; 4-byte Folded Spill
	s_and_saveexec_b32 s17, s5
	s_cbranch_execz .LBB397_194
; %bb.189:                              ;   in Loop: Header=BB397_11 Depth=1
	v_bfe_u32 v1, v31, 16, 7
	v_mov_b32_e32 v0, 0x7f800001
	s_mov_b32 s23, exec_lo
	buffer_store_dword v0, off, s[0:3], s32 offset:260 ; 4-byte Folded Spill
	v_cmpx_ne_u32_e32 0x7f, v1
	s_cbranch_execz .LBB397_193
; %bb.190:                              ;   in Loop: Header=BB397_11 Depth=1
	v_mov_b32_e32 v0, 7
	s_mov_b32 s24, exec_lo
	v_and_b32_sdwa v8, v31, v0 dst_sel:DWORD dst_unused:UNUSED_PAD src0_sel:WORD_1 src1_sel:DWORD
	v_mov_b32_e32 v33, v9
	v_lshrrev_b32_e32 v0, 3, v1
	v_mov_b32_e32 v32, v8
	v_cmpx_gt_u32_e32 8, v1
; %bb.191:                              ;   in Loop: Header=BB397_11 Depth=1
	v_ffbh_u32_e32 v0, v8
	v_min_u32_e32 v0, 32, v0
	v_subrev_nc_u32_e32 v1, 28, v0
	v_sub_nc_u32_e32 v0, 29, v0
	v_lshlrev_b64 v[1:2], v1, v[8:9]
	v_and_b32_e32 v32, 7, v1
; %bb.192:                              ;   in Loop: Header=BB397_11 Depth=1
	s_or_b32 exec_lo, exec_lo, s24
	v_mov_b32_e32 v1, 24
	v_lshlrev_b32_e32 v2, 20, v32
	v_lshl_add_u32 v0, v0, 23, 0x3c000000
	v_lshlrev_b32_sdwa v1, v1, v31 dst_sel:DWORD dst_unused:UNUSED_PAD src0_sel:DWORD src1_sel:WORD_1
	v_and_b32_e32 v1, 0x80000000, v1
	v_or3_b32 v0, v2, v1, v0
	buffer_store_dword v0, off, s[0:3], s32 offset:260 ; 4-byte Folded Spill
.LBB397_193:                            ;   in Loop: Header=BB397_11 Depth=1
	s_or_b32 exec_lo, exec_lo, s23
.LBB397_194:                            ;   in Loop: Header=BB397_11 Depth=1
	s_or_b32 exec_lo, exec_lo, s17
.LBB397_195:                            ;   in Loop: Header=BB397_11 Depth=1
	s_or_b32 exec_lo, exec_lo, s6
	v_mov_b32_e32 v0, 0
	s_mov_b32 s6, exec_lo
	buffer_store_dword v0, off, s[0:3], s32 offset:272 ; 4-byte Folded Spill
	v_mov_b32_e32 v0, 0
	buffer_store_dword v0, off, s[0:3], s32 offset:268 ; 4-byte Folded Spill
	v_cmpx_lt_u64_e64 s[8:9], v[30:31]
	s_cbranch_execz .LBB397_203
; %bb.196:                              ;   in Loop: Header=BB397_11 Depth=1
	v_cmp_ne_u32_sdwa s5, v31, v126 src0_sel:BYTE_3 src1_sel:DWORD
	v_bfrev_b32_e32 v0, 1
	buffer_store_dword v0, off, s[0:3], s32 offset:268 ; 4-byte Folded Spill
	s_and_saveexec_b32 s17, s5
	s_cbranch_execz .LBB397_202
; %bb.197:                              ;   in Loop: Header=BB397_11 Depth=1
	v_bfe_u32 v1, v31, 24, 7
	v_mov_b32_e32 v0, 0x7f800001
	s_mov_b32 s23, exec_lo
	buffer_store_dword v0, off, s[0:3], s32 offset:268 ; 4-byte Folded Spill
	v_cmpx_ne_u32_e32 0x7f, v1
	s_cbranch_execz .LBB397_201
; %bb.198:                              ;   in Loop: Header=BB397_11 Depth=1
	v_mov_b32_e32 v0, 7
	s_mov_b32 s24, exec_lo
	v_and_b32_sdwa v8, v31, v0 dst_sel:DWORD dst_unused:UNUSED_PAD src0_sel:BYTE_3 src1_sel:DWORD
	v_mov_b32_e32 v33, v9
	v_lshrrev_b32_e32 v0, 3, v1
	v_mov_b32_e32 v32, v8
	v_cmpx_gt_u32_e32 8, v1
; %bb.199:                              ;   in Loop: Header=BB397_11 Depth=1
	v_ffbh_u32_e32 v0, v8
	v_min_u32_e32 v0, 32, v0
	v_subrev_nc_u32_e32 v1, 28, v0
	v_sub_nc_u32_e32 v0, 29, v0
	v_lshlrev_b64 v[1:2], v1, v[8:9]
	v_and_b32_e32 v32, 7, v1
; %bb.200:                              ;   in Loop: Header=BB397_11 Depth=1
	s_or_b32 exec_lo, exec_lo, s24
	v_mov_b32_e32 v1, 24
	v_lshlrev_b32_e32 v2, 20, v32
	v_lshl_add_u32 v0, v0, 23, 0x3c000000
	v_lshlrev_b32_sdwa v1, v1, v31 dst_sel:DWORD dst_unused:UNUSED_PAD src0_sel:DWORD src1_sel:BYTE_3
	v_and_b32_e32 v1, 0x80000000, v1
	v_or3_b32 v0, v2, v1, v0
	buffer_store_dword v0, off, s[0:3], s32 offset:268 ; 4-byte Folded Spill
.LBB397_201:                            ;   in Loop: Header=BB397_11 Depth=1
	s_or_b32 exec_lo, exec_lo, s23
.LBB397_202:                            ;   in Loop: Header=BB397_11 Depth=1
	s_or_b32 exec_lo, exec_lo, s17
.LBB397_203:                            ;   in Loop: Header=BB397_11 Depth=1
	s_or_b32 exec_lo, exec_lo, s6
	flat_load_dwordx2 v[30:31], v[28:29] offset:520
	s_waitcnt vmcnt(0) lgkmcnt(0)
	v_cmp_ne_u16_sdwa s5, v30, v9 src0_sel:BYTE_0 src1_sel:DWORD
	s_and_saveexec_b32 s6, s5
	s_cbranch_execz .LBB397_211
; %bb.204:                              ;   in Loop: Header=BB397_11 Depth=1
	v_cmp_ne_u16_sdwa s5, v30, v126 src0_sel:BYTE_0 src1_sel:DWORD
	v_bfrev_b32_e32 v0, 1
	buffer_store_dword v0, off, s[0:3], s32 offset:272 ; 4-byte Folded Spill
	s_and_saveexec_b32 s17, s5
	s_cbranch_execz .LBB397_210
; %bb.205:                              ;   in Loop: Header=BB397_11 Depth=1
	v_and_b32_e32 v1, 0x7f, v30
	v_mov_b32_e32 v0, 0x7f800001
	s_mov_b32 s23, exec_lo
	buffer_store_dword v0, off, s[0:3], s32 offset:272 ; 4-byte Folded Spill
	v_cmpx_ne_u32_e32 0x7f, v1
	s_cbranch_execz .LBB397_209
; %bb.206:                              ;   in Loop: Header=BB397_11 Depth=1
	v_mov_b32_e32 v33, v31
	v_lshrrev_b32_e32 v0, 3, v1
	v_mov_b32_e32 v32, v30
	s_mov_b32 s24, exec_lo
	v_cmpx_gt_u32_e32 8, v1
; %bb.207:                              ;   in Loop: Header=BB397_11 Depth=1
	v_and_b32_e32 v0, 7, v30
	v_ffbh_u32_e32 v0, v0
	v_min_u32_e32 v0, 32, v0
	v_subrev_nc_u32_e32 v1, 28, v0
	v_sub_nc_u32_e32 v0, 29, v0
	v_lshlrev_b64 v[32:33], v1, v[30:31]
; %bb.208:                              ;   in Loop: Header=BB397_11 Depth=1
	s_or_b32 exec_lo, exec_lo, s24
	v_lshlrev_b32_e32 v1, 20, v32
	v_lshlrev_b32_e32 v2, 24, v30
	v_lshl_add_u32 v0, v0, 23, 0x3c000000
	v_and_b32_e32 v1, 0x700000, v1
	v_and_b32_e32 v2, 0x80000000, v2
	v_or3_b32 v0, v1, v2, v0
	buffer_store_dword v0, off, s[0:3], s32 offset:272 ; 4-byte Folded Spill
.LBB397_209:                            ;   in Loop: Header=BB397_11 Depth=1
	s_or_b32 exec_lo, exec_lo, s23
.LBB397_210:                            ;   in Loop: Header=BB397_11 Depth=1
	s_or_b32 exec_lo, exec_lo, s17
.LBB397_211:                            ;   in Loop: Header=BB397_11 Depth=1
	s_or_b32 exec_lo, exec_lo, s6
	v_mov_b32_e32 v0, 0
	v_cmp_ne_u16_sdwa s5, v30, v9 src0_sel:BYTE_1 src1_sel:DWORD
	buffer_store_dword v0, off, s[0:3], s32 offset:280 ; 4-byte Folded Spill
	v_mov_b32_e32 v0, 0
	buffer_store_dword v0, off, s[0:3], s32 offset:276 ; 4-byte Folded Spill
	s_and_saveexec_b32 s6, s5
	s_cbranch_execz .LBB397_219
; %bb.212:                              ;   in Loop: Header=BB397_11 Depth=1
	v_cmp_ne_u16_sdwa s5, v30, v126 src0_sel:BYTE_1 src1_sel:DWORD
	v_bfrev_b32_e32 v0, 1
	buffer_store_dword v0, off, s[0:3], s32 offset:276 ; 4-byte Folded Spill
	s_and_saveexec_b32 s17, s5
	s_cbranch_execz .LBB397_218
; %bb.213:                              ;   in Loop: Header=BB397_11 Depth=1
	v_mov_b32_e32 v0, 0xffff
	v_mov_b32_e32 v2, 0x7f800001
	s_mov_b32 s23, exec_lo
	v_and_b32_sdwa v0, v0, v30 dst_sel:DWORD dst_unused:UNUSED_PAD src0_sel:DWORD src1_sel:BYTE_1
	buffer_store_dword v2, off, s[0:3], s32 offset:276 ; 4-byte Folded Spill
	v_and_b32_e32 v1, 0x7f, v0
	v_cmpx_ne_u32_e32 0x7f, v1
	s_cbranch_execz .LBB397_217
; %bb.214:                              ;   in Loop: Header=BB397_11 Depth=1
	v_and_b32_e32 v8, 7, v0
	v_mov_b32_e32 v33, v9
	v_lshrrev_b32_e32 v0, 3, v1
	s_mov_b32 s24, exec_lo
	v_mov_b32_e32 v32, v8
	v_cmpx_gt_u32_e32 8, v1
; %bb.215:                              ;   in Loop: Header=BB397_11 Depth=1
	v_ffbh_u32_e32 v0, v8
	v_min_u32_e32 v0, 32, v0
	v_subrev_nc_u32_e32 v1, 28, v0
	v_sub_nc_u32_e32 v0, 29, v0
	v_lshlrev_b64 v[1:2], v1, v[8:9]
	v_and_b32_e32 v32, 7, v1
; %bb.216:                              ;   in Loop: Header=BB397_11 Depth=1
	s_or_b32 exec_lo, exec_lo, s24
	v_lshlrev_b32_e32 v1, 16, v30
	v_lshlrev_b32_e32 v2, 20, v32
	v_lshl_add_u32 v0, v0, 23, 0x3c000000
	v_and_b32_e32 v1, 0x80000000, v1
	v_or3_b32 v0, v2, v1, v0
	buffer_store_dword v0, off, s[0:3], s32 offset:276 ; 4-byte Folded Spill
.LBB397_217:                            ;   in Loop: Header=BB397_11 Depth=1
	s_or_b32 exec_lo, exec_lo, s23
.LBB397_218:                            ;   in Loop: Header=BB397_11 Depth=1
	s_or_b32 exec_lo, exec_lo, s17
.LBB397_219:                            ;   in Loop: Header=BB397_11 Depth=1
	s_or_b32 exec_lo, exec_lo, s6
	v_mov_b32_e32 v0, 0xff
	s_mov_b32 s6, exec_lo
	v_and_b32_sdwa v0, v30, v0 dst_sel:DWORD dst_unused:UNUSED_PAD src0_sel:WORD_1 src1_sel:DWORD
	v_cmpx_ne_u16_e32 0, v0
	s_cbranch_execz .LBB397_227
; %bb.220:                              ;   in Loop: Header=BB397_11 Depth=1
	v_cmp_ne_u16_e64 s5, 0x80, v0
	v_bfrev_b32_e32 v0, 1
	buffer_store_dword v0, off, s[0:3], s32 offset:280 ; 4-byte Folded Spill
	s_and_saveexec_b32 s17, s5
	s_cbranch_execz .LBB397_226
; %bb.221:                              ;   in Loop: Header=BB397_11 Depth=1
	v_bfe_u32 v1, v30, 16, 7
	v_mov_b32_e32 v0, 0x7f800001
	s_mov_b32 s23, exec_lo
	buffer_store_dword v0, off, s[0:3], s32 offset:280 ; 4-byte Folded Spill
	v_cmpx_ne_u32_e32 0x7f, v1
	s_cbranch_execz .LBB397_225
; %bb.222:                              ;   in Loop: Header=BB397_11 Depth=1
	v_mov_b32_e32 v0, 7
	s_mov_b32 s24, exec_lo
	v_and_b32_sdwa v8, v30, v0 dst_sel:DWORD dst_unused:UNUSED_PAD src0_sel:WORD_1 src1_sel:DWORD
	v_mov_b32_e32 v33, v9
	v_lshrrev_b32_e32 v0, 3, v1
	v_mov_b32_e32 v32, v8
	v_cmpx_gt_u32_e32 8, v1
; %bb.223:                              ;   in Loop: Header=BB397_11 Depth=1
	v_ffbh_u32_e32 v0, v8
	v_min_u32_e32 v0, 32, v0
	v_subrev_nc_u32_e32 v1, 28, v0
	v_sub_nc_u32_e32 v0, 29, v0
	v_lshlrev_b64 v[1:2], v1, v[8:9]
	v_and_b32_e32 v32, 7, v1
; %bb.224:                              ;   in Loop: Header=BB397_11 Depth=1
	s_or_b32 exec_lo, exec_lo, s24
	v_mov_b32_e32 v1, 24
	v_lshlrev_b32_e32 v2, 20, v32
	v_lshl_add_u32 v0, v0, 23, 0x3c000000
	v_lshlrev_b32_sdwa v1, v1, v30 dst_sel:DWORD dst_unused:UNUSED_PAD src0_sel:DWORD src1_sel:WORD_1
	v_and_b32_e32 v1, 0x80000000, v1
	v_or3_b32 v0, v2, v1, v0
	buffer_store_dword v0, off, s[0:3], s32 offset:280 ; 4-byte Folded Spill
.LBB397_225:                            ;   in Loop: Header=BB397_11 Depth=1
	s_or_b32 exec_lo, exec_lo, s23
.LBB397_226:                            ;   in Loop: Header=BB397_11 Depth=1
	s_or_b32 exec_lo, exec_lo, s17
.LBB397_227:                            ;   in Loop: Header=BB397_11 Depth=1
	s_or_b32 exec_lo, exec_lo, s6
	v_mov_b32_e32 v0, 0
	s_mov_b32 s6, exec_lo
	buffer_store_dword v0, off, s[0:3], s32 offset:288 ; 4-byte Folded Spill
	v_mov_b32_e32 v0, 0
	buffer_store_dword v0, off, s[0:3], s32 offset:284 ; 4-byte Folded Spill
	v_cmpx_lt_u32_e32 0xffffff, v30
	s_cbranch_execz .LBB397_235
; %bb.228:                              ;   in Loop: Header=BB397_11 Depth=1
	v_cmp_ne_u32_sdwa s5, v30, v126 src0_sel:BYTE_3 src1_sel:DWORD
	v_bfrev_b32_e32 v0, 1
	buffer_store_dword v0, off, s[0:3], s32 offset:284 ; 4-byte Folded Spill
	s_and_saveexec_b32 s17, s5
	s_cbranch_execz .LBB397_234
; %bb.229:                              ;   in Loop: Header=BB397_11 Depth=1
	v_bfe_u32 v1, v30, 24, 7
	v_mov_b32_e32 v0, 0x7f800001
	s_mov_b32 s23, exec_lo
	buffer_store_dword v0, off, s[0:3], s32 offset:284 ; 4-byte Folded Spill
	v_cmpx_ne_u32_e32 0x7f, v1
	s_cbranch_execz .LBB397_233
; %bb.230:                              ;   in Loop: Header=BB397_11 Depth=1
	v_mov_b32_e32 v0, 7
	s_mov_b32 s24, exec_lo
	v_and_b32_sdwa v8, v30, v0 dst_sel:DWORD dst_unused:UNUSED_PAD src0_sel:BYTE_3 src1_sel:DWORD
	v_mov_b32_e32 v33, v9
	v_lshrrev_b32_e32 v0, 3, v1
	v_mov_b32_e32 v32, v8
	v_cmpx_gt_u32_e32 8, v1
; %bb.231:                              ;   in Loop: Header=BB397_11 Depth=1
	v_ffbh_u32_e32 v0, v8
	v_min_u32_e32 v0, 32, v0
	v_subrev_nc_u32_e32 v1, 28, v0
	v_sub_nc_u32_e32 v0, 29, v0
	v_lshlrev_b64 v[1:2], v1, v[8:9]
	v_and_b32_e32 v32, 7, v1
; %bb.232:                              ;   in Loop: Header=BB397_11 Depth=1
	s_or_b32 exec_lo, exec_lo, s24
	v_mov_b32_e32 v1, 24
	v_lshlrev_b32_e32 v2, 20, v32
	v_lshl_add_u32 v0, v0, 23, 0x3c000000
	v_lshlrev_b32_sdwa v1, v1, v30 dst_sel:DWORD dst_unused:UNUSED_PAD src0_sel:DWORD src1_sel:BYTE_3
	v_and_b32_e32 v1, 0x80000000, v1
	v_or3_b32 v0, v2, v1, v0
	buffer_store_dword v0, off, s[0:3], s32 offset:284 ; 4-byte Folded Spill
.LBB397_233:                            ;   in Loop: Header=BB397_11 Depth=1
	s_or_b32 exec_lo, exec_lo, s23
.LBB397_234:                            ;   in Loop: Header=BB397_11 Depth=1
	s_or_b32 exec_lo, exec_lo, s17
.LBB397_235:                            ;   in Loop: Header=BB397_11 Depth=1
	s_or_b32 exec_lo, exec_lo, s6
	v_mov_b32_e32 v8, v31
	v_cmp_ne_u16_sdwa s5, v31, v9 src0_sel:BYTE_0 src1_sel:DWORD
	s_and_saveexec_b32 s6, s5
	s_cbranch_execz .LBB397_243
; %bb.236:                              ;   in Loop: Header=BB397_11 Depth=1
	v_cmp_ne_u16_sdwa s5, v31, v126 src0_sel:BYTE_0 src1_sel:DWORD
	v_bfrev_b32_e32 v0, 1
	buffer_store_dword v0, off, s[0:3], s32 offset:288 ; 4-byte Folded Spill
	s_and_saveexec_b32 s17, s5
	s_cbranch_execz .LBB397_242
; %bb.237:                              ;   in Loop: Header=BB397_11 Depth=1
	v_and_b32_e32 v1, 0x7f, v31
	v_mov_b32_e32 v0, 0x7f800001
	s_mov_b32 s23, exec_lo
	buffer_store_dword v0, off, s[0:3], s32 offset:288 ; 4-byte Folded Spill
	v_cmpx_ne_u32_e32 0x7f, v1
	s_cbranch_execz .LBB397_241
; %bb.238:                              ;   in Loop: Header=BB397_11 Depth=1
	v_mov_b32_e32 v33, v9
	v_lshrrev_b32_e32 v0, 3, v1
	v_mov_b32_e32 v32, v8
	s_mov_b32 s24, exec_lo
	v_cmpx_gt_u32_e32 8, v1
; %bb.239:                              ;   in Loop: Header=BB397_11 Depth=1
	v_and_b32_e32 v0, 7, v31
	v_ffbh_u32_e32 v0, v0
	v_min_u32_e32 v0, 32, v0
	v_subrev_nc_u32_e32 v1, 28, v0
	v_sub_nc_u32_e32 v0, 29, v0
	v_lshlrev_b64 v[32:33], v1, v[8:9]
; %bb.240:                              ;   in Loop: Header=BB397_11 Depth=1
	s_or_b32 exec_lo, exec_lo, s24
	v_lshlrev_b32_e32 v1, 20, v32
	v_lshlrev_b32_e32 v2, 24, v8
	v_lshl_add_u32 v0, v0, 23, 0x3c000000
	v_and_b32_e32 v1, 0x700000, v1
	v_and_b32_e32 v2, 0x80000000, v2
	v_or3_b32 v0, v1, v2, v0
	buffer_store_dword v0, off, s[0:3], s32 offset:288 ; 4-byte Folded Spill
.LBB397_241:                            ;   in Loop: Header=BB397_11 Depth=1
	s_or_b32 exec_lo, exec_lo, s23
.LBB397_242:                            ;   in Loop: Header=BB397_11 Depth=1
	s_or_b32 exec_lo, exec_lo, s17
.LBB397_243:                            ;   in Loop: Header=BB397_11 Depth=1
	s_or_b32 exec_lo, exec_lo, s6
	v_mov_b32_e32 v0, 0
	v_cmp_ne_u16_sdwa s5, v8, v9 src0_sel:BYTE_1 src1_sel:DWORD
	buffer_store_dword v0, off, s[0:3], s32 offset:292 ; 4-byte Folded Spill
	v_mov_b32_e32 v0, 0
	buffer_store_dword v0, off, s[0:3], s32 offset:296 ; 4-byte Folded Spill
	s_and_saveexec_b32 s6, s5
	s_cbranch_execz .LBB397_251
; %bb.244:                              ;   in Loop: Header=BB397_11 Depth=1
	v_cmp_ne_u16_sdwa s5, v8, v126 src0_sel:BYTE_1 src1_sel:DWORD
	v_bfrev_b32_e32 v0, 1
	buffer_store_dword v0, off, s[0:3], s32 offset:296 ; 4-byte Folded Spill
	s_and_saveexec_b32 s17, s5
	s_cbranch_execz .LBB397_250
; %bb.245:                              ;   in Loop: Header=BB397_11 Depth=1
	v_mov_b32_e32 v0, 0xffff
	v_mov_b32_e32 v2, 0x7f800001
	s_mov_b32 s23, exec_lo
	v_and_b32_sdwa v0, v0, v8 dst_sel:DWORD dst_unused:UNUSED_PAD src0_sel:DWORD src1_sel:BYTE_1
	buffer_store_dword v2, off, s[0:3], s32 offset:296 ; 4-byte Folded Spill
	v_and_b32_e32 v1, 0x7f, v0
	v_cmpx_ne_u32_e32 0x7f, v1
	s_cbranch_execz .LBB397_249
; %bb.246:                              ;   in Loop: Header=BB397_11 Depth=1
	v_and_b32_e32 v32, 7, v0
	v_mov_b32_e32 v33, v9
	v_lshrrev_b32_e32 v0, 3, v1
	s_mov_b32 s24, exec_lo
	v_cmpx_gt_u32_e32 8, v1
; %bb.247:                              ;   in Loop: Header=BB397_11 Depth=1
	v_ffbh_u32_e32 v0, v32
	v_min_u32_e32 v0, 32, v0
	v_subrev_nc_u32_e32 v1, 28, v0
	v_sub_nc_u32_e32 v0, 29, v0
	v_lshlrev_b64 v[1:2], v1, v[32:33]
	v_and_b32_e32 v32, 7, v1
; %bb.248:                              ;   in Loop: Header=BB397_11 Depth=1
	s_or_b32 exec_lo, exec_lo, s24
	v_lshlrev_b32_e32 v1, 16, v8
	v_lshlrev_b32_e32 v2, 20, v32
	v_lshl_add_u32 v0, v0, 23, 0x3c000000
	v_and_b32_e32 v1, 0x80000000, v1
	v_or3_b32 v0, v2, v1, v0
	buffer_store_dword v0, off, s[0:3], s32 offset:296 ; 4-byte Folded Spill
.LBB397_249:                            ;   in Loop: Header=BB397_11 Depth=1
	s_or_b32 exec_lo, exec_lo, s23
.LBB397_250:                            ;   in Loop: Header=BB397_11 Depth=1
	s_or_b32 exec_lo, exec_lo, s17
.LBB397_251:                            ;   in Loop: Header=BB397_11 Depth=1
	s_or_b32 exec_lo, exec_lo, s6
	v_mov_b32_e32 v0, 0xff
	s_mov_b32 s6, exec_lo
	v_and_b32_sdwa v0, v31, v0 dst_sel:DWORD dst_unused:UNUSED_PAD src0_sel:WORD_1 src1_sel:DWORD
	v_cmpx_ne_u16_e32 0, v0
	s_cbranch_execz .LBB397_259
; %bb.252:                              ;   in Loop: Header=BB397_11 Depth=1
	v_cmp_ne_u16_e64 s5, 0x80, v0
	v_bfrev_b32_e32 v0, 1
	buffer_store_dword v0, off, s[0:3], s32 offset:292 ; 4-byte Folded Spill
	s_and_saveexec_b32 s17, s5
	s_cbranch_execz .LBB397_258
; %bb.253:                              ;   in Loop: Header=BB397_11 Depth=1
	v_bfe_u32 v1, v31, 16, 7
	v_mov_b32_e32 v0, 0x7f800001
	s_mov_b32 s23, exec_lo
	buffer_store_dword v0, off, s[0:3], s32 offset:292 ; 4-byte Folded Spill
	v_cmpx_ne_u32_e32 0x7f, v1
	s_cbranch_execz .LBB397_257
; %bb.254:                              ;   in Loop: Header=BB397_11 Depth=1
	v_mov_b32_e32 v0, 7
	s_mov_b32 s24, exec_lo
	v_and_b32_sdwa v8, v31, v0 dst_sel:DWORD dst_unused:UNUSED_PAD src0_sel:WORD_1 src1_sel:DWORD
	v_mov_b32_e32 v33, v9
	v_lshrrev_b32_e32 v0, 3, v1
	v_mov_b32_e32 v32, v8
	v_cmpx_gt_u32_e32 8, v1
; %bb.255:                              ;   in Loop: Header=BB397_11 Depth=1
	v_ffbh_u32_e32 v0, v8
	v_min_u32_e32 v0, 32, v0
	v_subrev_nc_u32_e32 v1, 28, v0
	v_sub_nc_u32_e32 v0, 29, v0
	v_lshlrev_b64 v[1:2], v1, v[8:9]
	v_and_b32_e32 v32, 7, v1
; %bb.256:                              ;   in Loop: Header=BB397_11 Depth=1
	s_or_b32 exec_lo, exec_lo, s24
	v_mov_b32_e32 v1, 24
	v_lshlrev_b32_e32 v2, 20, v32
	v_lshl_add_u32 v0, v0, 23, 0x3c000000
	v_lshlrev_b32_sdwa v1, v1, v31 dst_sel:DWORD dst_unused:UNUSED_PAD src0_sel:DWORD src1_sel:WORD_1
	v_and_b32_e32 v1, 0x80000000, v1
	v_or3_b32 v0, v2, v1, v0
	buffer_store_dword v0, off, s[0:3], s32 offset:292 ; 4-byte Folded Spill
.LBB397_257:                            ;   in Loop: Header=BB397_11 Depth=1
	s_or_b32 exec_lo, exec_lo, s23
.LBB397_258:                            ;   in Loop: Header=BB397_11 Depth=1
	s_or_b32 exec_lo, exec_lo, s17
.LBB397_259:                            ;   in Loop: Header=BB397_11 Depth=1
	s_or_b32 exec_lo, exec_lo, s6
	v_mov_b32_e32 v0, 0
	s_mov_b32 s6, exec_lo
	buffer_store_dword v0, off, s[0:3], s32 offset:304 ; 4-byte Folded Spill
	v_mov_b32_e32 v0, 0
	buffer_store_dword v0, off, s[0:3], s32 offset:300 ; 4-byte Folded Spill
	v_cmpx_lt_u64_e64 s[8:9], v[30:31]
	s_cbranch_execz .LBB397_267
; %bb.260:                              ;   in Loop: Header=BB397_11 Depth=1
	v_cmp_ne_u32_sdwa s5, v31, v126 src0_sel:BYTE_3 src1_sel:DWORD
	v_bfrev_b32_e32 v0, 1
	buffer_store_dword v0, off, s[0:3], s32 offset:300 ; 4-byte Folded Spill
	s_and_saveexec_b32 s17, s5
	s_cbranch_execz .LBB397_266
; %bb.261:                              ;   in Loop: Header=BB397_11 Depth=1
	v_bfe_u32 v1, v31, 24, 7
	v_mov_b32_e32 v0, 0x7f800001
	s_mov_b32 s23, exec_lo
	buffer_store_dword v0, off, s[0:3], s32 offset:300 ; 4-byte Folded Spill
	v_cmpx_ne_u32_e32 0x7f, v1
	s_cbranch_execz .LBB397_265
; %bb.262:                              ;   in Loop: Header=BB397_11 Depth=1
	v_mov_b32_e32 v0, 7
	s_mov_b32 s24, exec_lo
	v_and_b32_sdwa v8, v31, v0 dst_sel:DWORD dst_unused:UNUSED_PAD src0_sel:BYTE_3 src1_sel:DWORD
	v_mov_b32_e32 v33, v9
	v_lshrrev_b32_e32 v0, 3, v1
	v_mov_b32_e32 v32, v8
	v_cmpx_gt_u32_e32 8, v1
; %bb.263:                              ;   in Loop: Header=BB397_11 Depth=1
	v_ffbh_u32_e32 v0, v8
	v_min_u32_e32 v0, 32, v0
	v_subrev_nc_u32_e32 v1, 28, v0
	v_sub_nc_u32_e32 v0, 29, v0
	v_lshlrev_b64 v[1:2], v1, v[8:9]
	v_and_b32_e32 v32, 7, v1
; %bb.264:                              ;   in Loop: Header=BB397_11 Depth=1
	s_or_b32 exec_lo, exec_lo, s24
	v_mov_b32_e32 v1, 24
	v_lshlrev_b32_e32 v2, 20, v32
	v_lshl_add_u32 v0, v0, 23, 0x3c000000
	v_lshlrev_b32_sdwa v1, v1, v31 dst_sel:DWORD dst_unused:UNUSED_PAD src0_sel:DWORD src1_sel:BYTE_3
	v_and_b32_e32 v1, 0x80000000, v1
	v_or3_b32 v0, v2, v1, v0
	buffer_store_dword v0, off, s[0:3], s32 offset:300 ; 4-byte Folded Spill
.LBB397_265:                            ;   in Loop: Header=BB397_11 Depth=1
	s_or_b32 exec_lo, exec_lo, s23
.LBB397_266:                            ;   in Loop: Header=BB397_11 Depth=1
	s_or_b32 exec_lo, exec_lo, s17
.LBB397_267:                            ;   in Loop: Header=BB397_11 Depth=1
	s_or_b32 exec_lo, exec_lo, s6
	flat_load_dwordx2 v[30:31], v[28:29] offset:1024
	s_waitcnt vmcnt(0) lgkmcnt(0)
	v_cmp_ne_u16_sdwa s5, v30, v9 src0_sel:BYTE_0 src1_sel:DWORD
	s_and_saveexec_b32 s6, s5
	s_cbranch_execz .LBB397_275
; %bb.268:                              ;   in Loop: Header=BB397_11 Depth=1
	v_cmp_ne_u16_sdwa s5, v30, v126 src0_sel:BYTE_0 src1_sel:DWORD
	v_bfrev_b32_e32 v0, 1
	buffer_store_dword v0, off, s[0:3], s32 offset:304 ; 4-byte Folded Spill
	s_and_saveexec_b32 s17, s5
	s_cbranch_execz .LBB397_274
; %bb.269:                              ;   in Loop: Header=BB397_11 Depth=1
	v_and_b32_e32 v1, 0x7f, v30
	v_mov_b32_e32 v0, 0x7f800001
	s_mov_b32 s23, exec_lo
	buffer_store_dword v0, off, s[0:3], s32 offset:304 ; 4-byte Folded Spill
	v_cmpx_ne_u32_e32 0x7f, v1
	s_cbranch_execz .LBB397_273
; %bb.270:                              ;   in Loop: Header=BB397_11 Depth=1
	v_mov_b32_e32 v33, v31
	v_lshrrev_b32_e32 v0, 3, v1
	v_mov_b32_e32 v32, v30
	s_mov_b32 s24, exec_lo
	v_cmpx_gt_u32_e32 8, v1
; %bb.271:                              ;   in Loop: Header=BB397_11 Depth=1
	v_and_b32_e32 v0, 7, v30
	v_ffbh_u32_e32 v0, v0
	v_min_u32_e32 v0, 32, v0
	v_subrev_nc_u32_e32 v1, 28, v0
	v_sub_nc_u32_e32 v0, 29, v0
	v_lshlrev_b64 v[32:33], v1, v[30:31]
; %bb.272:                              ;   in Loop: Header=BB397_11 Depth=1
	s_or_b32 exec_lo, exec_lo, s24
	v_lshlrev_b32_e32 v1, 20, v32
	v_lshlrev_b32_e32 v2, 24, v30
	v_lshl_add_u32 v0, v0, 23, 0x3c000000
	v_and_b32_e32 v1, 0x700000, v1
	v_and_b32_e32 v2, 0x80000000, v2
	v_or3_b32 v0, v1, v2, v0
	buffer_store_dword v0, off, s[0:3], s32 offset:304 ; 4-byte Folded Spill
.LBB397_273:                            ;   in Loop: Header=BB397_11 Depth=1
	s_or_b32 exec_lo, exec_lo, s23
.LBB397_274:                            ;   in Loop: Header=BB397_11 Depth=1
	s_or_b32 exec_lo, exec_lo, s17
.LBB397_275:                            ;   in Loop: Header=BB397_11 Depth=1
	s_or_b32 exec_lo, exec_lo, s6
	v_mov_b32_e32 v0, 0
	v_cmp_ne_u16_sdwa s5, v30, v9 src0_sel:BYTE_1 src1_sel:DWORD
	buffer_store_dword v0, off, s[0:3], s32 offset:312 ; 4-byte Folded Spill
	v_mov_b32_e32 v0, 0
	buffer_store_dword v0, off, s[0:3], s32 offset:308 ; 4-byte Folded Spill
	s_and_saveexec_b32 s6, s5
	s_cbranch_execz .LBB397_283
; %bb.276:                              ;   in Loop: Header=BB397_11 Depth=1
	v_cmp_ne_u16_sdwa s5, v30, v126 src0_sel:BYTE_1 src1_sel:DWORD
	v_bfrev_b32_e32 v0, 1
	buffer_store_dword v0, off, s[0:3], s32 offset:308 ; 4-byte Folded Spill
	s_and_saveexec_b32 s17, s5
	s_cbranch_execz .LBB397_282
; %bb.277:                              ;   in Loop: Header=BB397_11 Depth=1
	v_mov_b32_e32 v0, 0xffff
	v_mov_b32_e32 v2, 0x7f800001
	s_mov_b32 s23, exec_lo
	v_and_b32_sdwa v0, v0, v30 dst_sel:DWORD dst_unused:UNUSED_PAD src0_sel:DWORD src1_sel:BYTE_1
	buffer_store_dword v2, off, s[0:3], s32 offset:308 ; 4-byte Folded Spill
	v_and_b32_e32 v1, 0x7f, v0
	v_cmpx_ne_u32_e32 0x7f, v1
	s_cbranch_execz .LBB397_281
; %bb.278:                              ;   in Loop: Header=BB397_11 Depth=1
	v_and_b32_e32 v8, 7, v0
	v_mov_b32_e32 v33, v9
	v_lshrrev_b32_e32 v0, 3, v1
	s_mov_b32 s24, exec_lo
	v_mov_b32_e32 v32, v8
	v_cmpx_gt_u32_e32 8, v1
; %bb.279:                              ;   in Loop: Header=BB397_11 Depth=1
	v_ffbh_u32_e32 v0, v8
	v_min_u32_e32 v0, 32, v0
	v_subrev_nc_u32_e32 v1, 28, v0
	v_sub_nc_u32_e32 v0, 29, v0
	v_lshlrev_b64 v[1:2], v1, v[8:9]
	v_and_b32_e32 v32, 7, v1
; %bb.280:                              ;   in Loop: Header=BB397_11 Depth=1
	s_or_b32 exec_lo, exec_lo, s24
	v_lshlrev_b32_e32 v1, 16, v30
	v_lshlrev_b32_e32 v2, 20, v32
	v_lshl_add_u32 v0, v0, 23, 0x3c000000
	v_and_b32_e32 v1, 0x80000000, v1
	v_or3_b32 v0, v2, v1, v0
	buffer_store_dword v0, off, s[0:3], s32 offset:308 ; 4-byte Folded Spill
.LBB397_281:                            ;   in Loop: Header=BB397_11 Depth=1
	s_or_b32 exec_lo, exec_lo, s23
.LBB397_282:                            ;   in Loop: Header=BB397_11 Depth=1
	s_or_b32 exec_lo, exec_lo, s17
.LBB397_283:                            ;   in Loop: Header=BB397_11 Depth=1
	s_or_b32 exec_lo, exec_lo, s6
	v_mov_b32_e32 v0, 0xff
	s_mov_b32 s6, exec_lo
	v_and_b32_sdwa v0, v30, v0 dst_sel:DWORD dst_unused:UNUSED_PAD src0_sel:WORD_1 src1_sel:DWORD
	v_cmpx_ne_u16_e32 0, v0
	s_cbranch_execz .LBB397_291
; %bb.284:                              ;   in Loop: Header=BB397_11 Depth=1
	v_cmp_ne_u16_e64 s5, 0x80, v0
	v_bfrev_b32_e32 v0, 1
	buffer_store_dword v0, off, s[0:3], s32 offset:312 ; 4-byte Folded Spill
	s_and_saveexec_b32 s17, s5
	s_cbranch_execz .LBB397_290
; %bb.285:                              ;   in Loop: Header=BB397_11 Depth=1
	v_bfe_u32 v1, v30, 16, 7
	v_mov_b32_e32 v0, 0x7f800001
	s_mov_b32 s23, exec_lo
	buffer_store_dword v0, off, s[0:3], s32 offset:312 ; 4-byte Folded Spill
	v_cmpx_ne_u32_e32 0x7f, v1
	s_cbranch_execz .LBB397_289
; %bb.286:                              ;   in Loop: Header=BB397_11 Depth=1
	v_mov_b32_e32 v0, 7
	s_mov_b32 s24, exec_lo
	v_and_b32_sdwa v8, v30, v0 dst_sel:DWORD dst_unused:UNUSED_PAD src0_sel:WORD_1 src1_sel:DWORD
	v_mov_b32_e32 v33, v9
	v_lshrrev_b32_e32 v0, 3, v1
	v_mov_b32_e32 v32, v8
	v_cmpx_gt_u32_e32 8, v1
; %bb.287:                              ;   in Loop: Header=BB397_11 Depth=1
	v_ffbh_u32_e32 v0, v8
	v_min_u32_e32 v0, 32, v0
	v_subrev_nc_u32_e32 v1, 28, v0
	v_sub_nc_u32_e32 v0, 29, v0
	v_lshlrev_b64 v[1:2], v1, v[8:9]
	v_and_b32_e32 v32, 7, v1
; %bb.288:                              ;   in Loop: Header=BB397_11 Depth=1
	s_or_b32 exec_lo, exec_lo, s24
	v_mov_b32_e32 v1, 24
	v_lshlrev_b32_e32 v2, 20, v32
	v_lshl_add_u32 v0, v0, 23, 0x3c000000
	v_lshlrev_b32_sdwa v1, v1, v30 dst_sel:DWORD dst_unused:UNUSED_PAD src0_sel:DWORD src1_sel:WORD_1
	v_and_b32_e32 v1, 0x80000000, v1
	v_or3_b32 v0, v2, v1, v0
	buffer_store_dword v0, off, s[0:3], s32 offset:312 ; 4-byte Folded Spill
.LBB397_289:                            ;   in Loop: Header=BB397_11 Depth=1
	s_or_b32 exec_lo, exec_lo, s23
.LBB397_290:                            ;   in Loop: Header=BB397_11 Depth=1
	s_or_b32 exec_lo, exec_lo, s17
.LBB397_291:                            ;   in Loop: Header=BB397_11 Depth=1
	s_or_b32 exec_lo, exec_lo, s6
	v_mov_b32_e32 v0, 0
	s_mov_b32 s6, exec_lo
	buffer_store_dword v0, off, s[0:3], s32 offset:320 ; 4-byte Folded Spill
	v_mov_b32_e32 v0, 0
	buffer_store_dword v0, off, s[0:3], s32 offset:316 ; 4-byte Folded Spill
	v_cmpx_lt_u32_e32 0xffffff, v30
	s_cbranch_execz .LBB397_299
; %bb.292:                              ;   in Loop: Header=BB397_11 Depth=1
	v_cmp_ne_u32_sdwa s5, v30, v126 src0_sel:BYTE_3 src1_sel:DWORD
	v_bfrev_b32_e32 v0, 1
	buffer_store_dword v0, off, s[0:3], s32 offset:316 ; 4-byte Folded Spill
	s_and_saveexec_b32 s17, s5
	s_cbranch_execz .LBB397_298
; %bb.293:                              ;   in Loop: Header=BB397_11 Depth=1
	v_bfe_u32 v1, v30, 24, 7
	v_mov_b32_e32 v0, 0x7f800001
	s_mov_b32 s23, exec_lo
	buffer_store_dword v0, off, s[0:3], s32 offset:316 ; 4-byte Folded Spill
	v_cmpx_ne_u32_e32 0x7f, v1
	s_cbranch_execz .LBB397_297
; %bb.294:                              ;   in Loop: Header=BB397_11 Depth=1
	v_mov_b32_e32 v0, 7
	s_mov_b32 s24, exec_lo
	v_and_b32_sdwa v8, v30, v0 dst_sel:DWORD dst_unused:UNUSED_PAD src0_sel:BYTE_3 src1_sel:DWORD
	v_mov_b32_e32 v33, v9
	v_lshrrev_b32_e32 v0, 3, v1
	v_mov_b32_e32 v32, v8
	v_cmpx_gt_u32_e32 8, v1
; %bb.295:                              ;   in Loop: Header=BB397_11 Depth=1
	v_ffbh_u32_e32 v0, v8
	v_min_u32_e32 v0, 32, v0
	v_subrev_nc_u32_e32 v1, 28, v0
	v_sub_nc_u32_e32 v0, 29, v0
	v_lshlrev_b64 v[1:2], v1, v[8:9]
	v_and_b32_e32 v32, 7, v1
; %bb.296:                              ;   in Loop: Header=BB397_11 Depth=1
	s_or_b32 exec_lo, exec_lo, s24
	v_mov_b32_e32 v1, 24
	v_lshlrev_b32_e32 v2, 20, v32
	v_lshl_add_u32 v0, v0, 23, 0x3c000000
	v_lshlrev_b32_sdwa v1, v1, v30 dst_sel:DWORD dst_unused:UNUSED_PAD src0_sel:DWORD src1_sel:BYTE_3
	v_and_b32_e32 v1, 0x80000000, v1
	v_or3_b32 v0, v2, v1, v0
	buffer_store_dword v0, off, s[0:3], s32 offset:316 ; 4-byte Folded Spill
.LBB397_297:                            ;   in Loop: Header=BB397_11 Depth=1
	s_or_b32 exec_lo, exec_lo, s23
.LBB397_298:                            ;   in Loop: Header=BB397_11 Depth=1
	s_or_b32 exec_lo, exec_lo, s17
.LBB397_299:                            ;   in Loop: Header=BB397_11 Depth=1
	s_or_b32 exec_lo, exec_lo, s6
	v_mov_b32_e32 v8, v31
	v_cmp_ne_u16_sdwa s5, v31, v9 src0_sel:BYTE_0 src1_sel:DWORD
	s_and_saveexec_b32 s6, s5
	s_cbranch_execz .LBB397_307
; %bb.300:                              ;   in Loop: Header=BB397_11 Depth=1
	v_cmp_ne_u16_sdwa s5, v31, v126 src0_sel:BYTE_0 src1_sel:DWORD
	v_bfrev_b32_e32 v0, 1
	buffer_store_dword v0, off, s[0:3], s32 offset:320 ; 4-byte Folded Spill
	s_and_saveexec_b32 s17, s5
	s_cbranch_execz .LBB397_306
; %bb.301:                              ;   in Loop: Header=BB397_11 Depth=1
	v_and_b32_e32 v1, 0x7f, v31
	v_mov_b32_e32 v0, 0x7f800001
	s_mov_b32 s23, exec_lo
	buffer_store_dword v0, off, s[0:3], s32 offset:320 ; 4-byte Folded Spill
	v_cmpx_ne_u32_e32 0x7f, v1
	s_cbranch_execz .LBB397_305
; %bb.302:                              ;   in Loop: Header=BB397_11 Depth=1
	v_mov_b32_e32 v33, v9
	v_lshrrev_b32_e32 v0, 3, v1
	v_mov_b32_e32 v32, v8
	s_mov_b32 s24, exec_lo
	v_cmpx_gt_u32_e32 8, v1
; %bb.303:                              ;   in Loop: Header=BB397_11 Depth=1
	v_and_b32_e32 v0, 7, v31
	v_ffbh_u32_e32 v0, v0
	v_min_u32_e32 v0, 32, v0
	v_subrev_nc_u32_e32 v1, 28, v0
	v_sub_nc_u32_e32 v0, 29, v0
	v_lshlrev_b64 v[32:33], v1, v[8:9]
; %bb.304:                              ;   in Loop: Header=BB397_11 Depth=1
	s_or_b32 exec_lo, exec_lo, s24
	v_lshlrev_b32_e32 v1, 20, v32
	v_lshlrev_b32_e32 v2, 24, v8
	v_lshl_add_u32 v0, v0, 23, 0x3c000000
	v_and_b32_e32 v1, 0x700000, v1
	v_and_b32_e32 v2, 0x80000000, v2
	v_or3_b32 v0, v1, v2, v0
	buffer_store_dword v0, off, s[0:3], s32 offset:320 ; 4-byte Folded Spill
.LBB397_305:                            ;   in Loop: Header=BB397_11 Depth=1
	s_or_b32 exec_lo, exec_lo, s23
.LBB397_306:                            ;   in Loop: Header=BB397_11 Depth=1
	s_or_b32 exec_lo, exec_lo, s17
.LBB397_307:                            ;   in Loop: Header=BB397_11 Depth=1
	s_or_b32 exec_lo, exec_lo, s6
	v_mov_b32_e32 v0, 0
	v_cmp_ne_u16_sdwa s5, v8, v9 src0_sel:BYTE_1 src1_sel:DWORD
	buffer_store_dword v0, off, s[0:3], s32 offset:324 ; 4-byte Folded Spill
	v_mov_b32_e32 v0, 0
	buffer_store_dword v0, off, s[0:3], s32 offset:328 ; 4-byte Folded Spill
	s_and_saveexec_b32 s6, s5
	s_cbranch_execz .LBB397_315
; %bb.308:                              ;   in Loop: Header=BB397_11 Depth=1
	v_cmp_ne_u16_sdwa s5, v8, v126 src0_sel:BYTE_1 src1_sel:DWORD
	v_bfrev_b32_e32 v0, 1
	buffer_store_dword v0, off, s[0:3], s32 offset:328 ; 4-byte Folded Spill
	s_and_saveexec_b32 s17, s5
	s_cbranch_execz .LBB397_314
; %bb.309:                              ;   in Loop: Header=BB397_11 Depth=1
	v_mov_b32_e32 v0, 0xffff
	v_mov_b32_e32 v2, 0x7f800001
	s_mov_b32 s23, exec_lo
	v_and_b32_sdwa v0, v0, v8 dst_sel:DWORD dst_unused:UNUSED_PAD src0_sel:DWORD src1_sel:BYTE_1
	buffer_store_dword v2, off, s[0:3], s32 offset:328 ; 4-byte Folded Spill
	v_and_b32_e32 v1, 0x7f, v0
	v_cmpx_ne_u32_e32 0x7f, v1
	s_cbranch_execz .LBB397_313
; %bb.310:                              ;   in Loop: Header=BB397_11 Depth=1
	v_and_b32_e32 v32, 7, v0
	v_mov_b32_e32 v33, v9
	v_lshrrev_b32_e32 v0, 3, v1
	s_mov_b32 s24, exec_lo
	v_cmpx_gt_u32_e32 8, v1
; %bb.311:                              ;   in Loop: Header=BB397_11 Depth=1
	v_ffbh_u32_e32 v0, v32
	v_min_u32_e32 v0, 32, v0
	v_subrev_nc_u32_e32 v1, 28, v0
	v_sub_nc_u32_e32 v0, 29, v0
	v_lshlrev_b64 v[1:2], v1, v[32:33]
	v_and_b32_e32 v32, 7, v1
; %bb.312:                              ;   in Loop: Header=BB397_11 Depth=1
	s_or_b32 exec_lo, exec_lo, s24
	v_lshlrev_b32_e32 v1, 16, v8
	v_lshlrev_b32_e32 v2, 20, v32
	v_lshl_add_u32 v0, v0, 23, 0x3c000000
	v_and_b32_e32 v1, 0x80000000, v1
	v_or3_b32 v0, v2, v1, v0
	buffer_store_dword v0, off, s[0:3], s32 offset:328 ; 4-byte Folded Spill
.LBB397_313:                            ;   in Loop: Header=BB397_11 Depth=1
	s_or_b32 exec_lo, exec_lo, s23
.LBB397_314:                            ;   in Loop: Header=BB397_11 Depth=1
	s_or_b32 exec_lo, exec_lo, s17
.LBB397_315:                            ;   in Loop: Header=BB397_11 Depth=1
	s_or_b32 exec_lo, exec_lo, s6
	v_mov_b32_e32 v0, 0xff
	s_mov_b32 s6, exec_lo
	v_and_b32_sdwa v0, v31, v0 dst_sel:DWORD dst_unused:UNUSED_PAD src0_sel:WORD_1 src1_sel:DWORD
	v_cmpx_ne_u16_e32 0, v0
	s_cbranch_execz .LBB397_323
; %bb.316:                              ;   in Loop: Header=BB397_11 Depth=1
	v_cmp_ne_u16_e64 s5, 0x80, v0
	v_bfrev_b32_e32 v0, 1
	buffer_store_dword v0, off, s[0:3], s32 offset:324 ; 4-byte Folded Spill
	s_and_saveexec_b32 s17, s5
	s_cbranch_execz .LBB397_322
; %bb.317:                              ;   in Loop: Header=BB397_11 Depth=1
	v_bfe_u32 v1, v31, 16, 7
	v_mov_b32_e32 v0, 0x7f800001
	s_mov_b32 s23, exec_lo
	buffer_store_dword v0, off, s[0:3], s32 offset:324 ; 4-byte Folded Spill
	v_cmpx_ne_u32_e32 0x7f, v1
	s_cbranch_execz .LBB397_321
; %bb.318:                              ;   in Loop: Header=BB397_11 Depth=1
	v_mov_b32_e32 v0, 7
	s_mov_b32 s24, exec_lo
	v_and_b32_sdwa v8, v31, v0 dst_sel:DWORD dst_unused:UNUSED_PAD src0_sel:WORD_1 src1_sel:DWORD
	v_mov_b32_e32 v33, v9
	v_lshrrev_b32_e32 v0, 3, v1
	v_mov_b32_e32 v32, v8
	v_cmpx_gt_u32_e32 8, v1
; %bb.319:                              ;   in Loop: Header=BB397_11 Depth=1
	v_ffbh_u32_e32 v0, v8
	v_min_u32_e32 v0, 32, v0
	v_subrev_nc_u32_e32 v1, 28, v0
	v_sub_nc_u32_e32 v0, 29, v0
	v_lshlrev_b64 v[1:2], v1, v[8:9]
	v_and_b32_e32 v32, 7, v1
; %bb.320:                              ;   in Loop: Header=BB397_11 Depth=1
	s_or_b32 exec_lo, exec_lo, s24
	v_mov_b32_e32 v1, 24
	v_lshlrev_b32_e32 v2, 20, v32
	v_lshl_add_u32 v0, v0, 23, 0x3c000000
	v_lshlrev_b32_sdwa v1, v1, v31 dst_sel:DWORD dst_unused:UNUSED_PAD src0_sel:DWORD src1_sel:WORD_1
	v_and_b32_e32 v1, 0x80000000, v1
	v_or3_b32 v0, v2, v1, v0
	buffer_store_dword v0, off, s[0:3], s32 offset:324 ; 4-byte Folded Spill
.LBB397_321:                            ;   in Loop: Header=BB397_11 Depth=1
	s_or_b32 exec_lo, exec_lo, s23
.LBB397_322:                            ;   in Loop: Header=BB397_11 Depth=1
	s_or_b32 exec_lo, exec_lo, s17
.LBB397_323:                            ;   in Loop: Header=BB397_11 Depth=1
	s_or_b32 exec_lo, exec_lo, s6
	v_mov_b32_e32 v0, 0
	s_mov_b32 s6, exec_lo
	buffer_store_dword v0, off, s[0:3], s32 offset:336 ; 4-byte Folded Spill
	v_mov_b32_e32 v0, 0
	buffer_store_dword v0, off, s[0:3], s32 offset:332 ; 4-byte Folded Spill
	v_cmpx_lt_u64_e64 s[8:9], v[30:31]
	s_cbranch_execz .LBB397_331
; %bb.324:                              ;   in Loop: Header=BB397_11 Depth=1
	v_cmp_ne_u32_sdwa s5, v31, v126 src0_sel:BYTE_3 src1_sel:DWORD
	v_bfrev_b32_e32 v0, 1
	buffer_store_dword v0, off, s[0:3], s32 offset:332 ; 4-byte Folded Spill
	s_and_saveexec_b32 s17, s5
	s_cbranch_execz .LBB397_330
; %bb.325:                              ;   in Loop: Header=BB397_11 Depth=1
	v_bfe_u32 v1, v31, 24, 7
	v_mov_b32_e32 v0, 0x7f800001
	s_mov_b32 s23, exec_lo
	buffer_store_dword v0, off, s[0:3], s32 offset:332 ; 4-byte Folded Spill
	v_cmpx_ne_u32_e32 0x7f, v1
	s_cbranch_execz .LBB397_329
; %bb.326:                              ;   in Loop: Header=BB397_11 Depth=1
	v_mov_b32_e32 v0, 7
	s_mov_b32 s24, exec_lo
	v_and_b32_sdwa v8, v31, v0 dst_sel:DWORD dst_unused:UNUSED_PAD src0_sel:BYTE_3 src1_sel:DWORD
	v_mov_b32_e32 v33, v9
	v_lshrrev_b32_e32 v0, 3, v1
	v_mov_b32_e32 v32, v8
	v_cmpx_gt_u32_e32 8, v1
; %bb.327:                              ;   in Loop: Header=BB397_11 Depth=1
	v_ffbh_u32_e32 v0, v8
	v_min_u32_e32 v0, 32, v0
	v_subrev_nc_u32_e32 v1, 28, v0
	v_sub_nc_u32_e32 v0, 29, v0
	v_lshlrev_b64 v[1:2], v1, v[8:9]
	v_and_b32_e32 v32, 7, v1
; %bb.328:                              ;   in Loop: Header=BB397_11 Depth=1
	s_or_b32 exec_lo, exec_lo, s24
	v_mov_b32_e32 v1, 24
	v_lshlrev_b32_e32 v2, 20, v32
	v_lshl_add_u32 v0, v0, 23, 0x3c000000
	v_lshlrev_b32_sdwa v1, v1, v31 dst_sel:DWORD dst_unused:UNUSED_PAD src0_sel:DWORD src1_sel:BYTE_3
	v_and_b32_e32 v1, 0x80000000, v1
	v_or3_b32 v0, v2, v1, v0
	buffer_store_dword v0, off, s[0:3], s32 offset:332 ; 4-byte Folded Spill
.LBB397_329:                            ;   in Loop: Header=BB397_11 Depth=1
	s_or_b32 exec_lo, exec_lo, s23
.LBB397_330:                            ;   in Loop: Header=BB397_11 Depth=1
	s_or_b32 exec_lo, exec_lo, s17
.LBB397_331:                            ;   in Loop: Header=BB397_11 Depth=1
	s_or_b32 exec_lo, exec_lo, s6
	flat_load_dwordx2 v[30:31], v[28:29] offset:1032
	s_waitcnt vmcnt(0) lgkmcnt(0)
	v_cmp_ne_u16_sdwa s5, v30, v9 src0_sel:BYTE_0 src1_sel:DWORD
	s_and_saveexec_b32 s6, s5
	s_cbranch_execz .LBB397_339
; %bb.332:                              ;   in Loop: Header=BB397_11 Depth=1
	v_cmp_ne_u16_sdwa s5, v30, v126 src0_sel:BYTE_0 src1_sel:DWORD
	v_bfrev_b32_e32 v0, 1
	buffer_store_dword v0, off, s[0:3], s32 offset:336 ; 4-byte Folded Spill
	s_and_saveexec_b32 s17, s5
	s_cbranch_execz .LBB397_338
; %bb.333:                              ;   in Loop: Header=BB397_11 Depth=1
	v_and_b32_e32 v1, 0x7f, v30
	v_mov_b32_e32 v0, 0x7f800001
	s_mov_b32 s23, exec_lo
	buffer_store_dword v0, off, s[0:3], s32 offset:336 ; 4-byte Folded Spill
	v_cmpx_ne_u32_e32 0x7f, v1
	s_cbranch_execz .LBB397_337
; %bb.334:                              ;   in Loop: Header=BB397_11 Depth=1
	v_mov_b32_e32 v33, v31
	v_lshrrev_b32_e32 v0, 3, v1
	v_mov_b32_e32 v32, v30
	s_mov_b32 s24, exec_lo
	v_cmpx_gt_u32_e32 8, v1
; %bb.335:                              ;   in Loop: Header=BB397_11 Depth=1
	v_and_b32_e32 v0, 7, v30
	v_ffbh_u32_e32 v0, v0
	v_min_u32_e32 v0, 32, v0
	v_subrev_nc_u32_e32 v1, 28, v0
	v_sub_nc_u32_e32 v0, 29, v0
	v_lshlrev_b64 v[32:33], v1, v[30:31]
; %bb.336:                              ;   in Loop: Header=BB397_11 Depth=1
	s_or_b32 exec_lo, exec_lo, s24
	v_lshlrev_b32_e32 v1, 20, v32
	v_lshlrev_b32_e32 v2, 24, v30
	v_lshl_add_u32 v0, v0, 23, 0x3c000000
	v_and_b32_e32 v1, 0x700000, v1
	v_and_b32_e32 v2, 0x80000000, v2
	v_or3_b32 v0, v1, v2, v0
	buffer_store_dword v0, off, s[0:3], s32 offset:336 ; 4-byte Folded Spill
.LBB397_337:                            ;   in Loop: Header=BB397_11 Depth=1
	s_or_b32 exec_lo, exec_lo, s23
.LBB397_338:                            ;   in Loop: Header=BB397_11 Depth=1
	s_or_b32 exec_lo, exec_lo, s17
.LBB397_339:                            ;   in Loop: Header=BB397_11 Depth=1
	s_or_b32 exec_lo, exec_lo, s6
	v_mov_b32_e32 v0, 0
	v_cmp_ne_u16_sdwa s5, v30, v9 src0_sel:BYTE_1 src1_sel:DWORD
	buffer_store_dword v0, off, s[0:3], s32 offset:344 ; 4-byte Folded Spill
	v_mov_b32_e32 v0, 0
	buffer_store_dword v0, off, s[0:3], s32 offset:340 ; 4-byte Folded Spill
	s_and_saveexec_b32 s6, s5
	s_cbranch_execz .LBB397_347
; %bb.340:                              ;   in Loop: Header=BB397_11 Depth=1
	v_cmp_ne_u16_sdwa s5, v30, v126 src0_sel:BYTE_1 src1_sel:DWORD
	v_bfrev_b32_e32 v0, 1
	buffer_store_dword v0, off, s[0:3], s32 offset:340 ; 4-byte Folded Spill
	s_and_saveexec_b32 s17, s5
	s_cbranch_execz .LBB397_346
; %bb.341:                              ;   in Loop: Header=BB397_11 Depth=1
	v_mov_b32_e32 v0, 0xffff
	v_mov_b32_e32 v2, 0x7f800001
	s_mov_b32 s23, exec_lo
	v_and_b32_sdwa v0, v0, v30 dst_sel:DWORD dst_unused:UNUSED_PAD src0_sel:DWORD src1_sel:BYTE_1
	buffer_store_dword v2, off, s[0:3], s32 offset:340 ; 4-byte Folded Spill
	v_and_b32_e32 v1, 0x7f, v0
	v_cmpx_ne_u32_e32 0x7f, v1
	s_cbranch_execz .LBB397_345
; %bb.342:                              ;   in Loop: Header=BB397_11 Depth=1
	v_and_b32_e32 v8, 7, v0
	v_mov_b32_e32 v33, v9
	v_lshrrev_b32_e32 v0, 3, v1
	s_mov_b32 s24, exec_lo
	v_mov_b32_e32 v32, v8
	v_cmpx_gt_u32_e32 8, v1
; %bb.343:                              ;   in Loop: Header=BB397_11 Depth=1
	v_ffbh_u32_e32 v0, v8
	v_min_u32_e32 v0, 32, v0
	v_subrev_nc_u32_e32 v1, 28, v0
	v_sub_nc_u32_e32 v0, 29, v0
	v_lshlrev_b64 v[1:2], v1, v[8:9]
	v_and_b32_e32 v32, 7, v1
; %bb.344:                              ;   in Loop: Header=BB397_11 Depth=1
	s_or_b32 exec_lo, exec_lo, s24
	v_lshlrev_b32_e32 v1, 16, v30
	v_lshlrev_b32_e32 v2, 20, v32
	v_lshl_add_u32 v0, v0, 23, 0x3c000000
	v_and_b32_e32 v1, 0x80000000, v1
	v_or3_b32 v0, v2, v1, v0
	buffer_store_dword v0, off, s[0:3], s32 offset:340 ; 4-byte Folded Spill
.LBB397_345:                            ;   in Loop: Header=BB397_11 Depth=1
	s_or_b32 exec_lo, exec_lo, s23
.LBB397_346:                            ;   in Loop: Header=BB397_11 Depth=1
	s_or_b32 exec_lo, exec_lo, s17
.LBB397_347:                            ;   in Loop: Header=BB397_11 Depth=1
	s_or_b32 exec_lo, exec_lo, s6
	v_mov_b32_e32 v0, 0xff
	s_mov_b32 s6, exec_lo
	v_and_b32_sdwa v0, v30, v0 dst_sel:DWORD dst_unused:UNUSED_PAD src0_sel:WORD_1 src1_sel:DWORD
	v_cmpx_ne_u16_e32 0, v0
	s_cbranch_execz .LBB397_355
; %bb.348:                              ;   in Loop: Header=BB397_11 Depth=1
	v_cmp_ne_u16_e64 s5, 0x80, v0
	v_bfrev_b32_e32 v0, 1
	buffer_store_dword v0, off, s[0:3], s32 offset:344 ; 4-byte Folded Spill
	s_and_saveexec_b32 s17, s5
	s_cbranch_execz .LBB397_354
; %bb.349:                              ;   in Loop: Header=BB397_11 Depth=1
	v_bfe_u32 v1, v30, 16, 7
	v_mov_b32_e32 v0, 0x7f800001
	s_mov_b32 s23, exec_lo
	buffer_store_dword v0, off, s[0:3], s32 offset:344 ; 4-byte Folded Spill
	v_cmpx_ne_u32_e32 0x7f, v1
	s_cbranch_execz .LBB397_353
; %bb.350:                              ;   in Loop: Header=BB397_11 Depth=1
	v_mov_b32_e32 v0, 7
	s_mov_b32 s24, exec_lo
	v_and_b32_sdwa v8, v30, v0 dst_sel:DWORD dst_unused:UNUSED_PAD src0_sel:WORD_1 src1_sel:DWORD
	v_mov_b32_e32 v33, v9
	v_lshrrev_b32_e32 v0, 3, v1
	v_mov_b32_e32 v32, v8
	v_cmpx_gt_u32_e32 8, v1
; %bb.351:                              ;   in Loop: Header=BB397_11 Depth=1
	v_ffbh_u32_e32 v0, v8
	v_min_u32_e32 v0, 32, v0
	v_subrev_nc_u32_e32 v1, 28, v0
	v_sub_nc_u32_e32 v0, 29, v0
	v_lshlrev_b64 v[1:2], v1, v[8:9]
	v_and_b32_e32 v32, 7, v1
; %bb.352:                              ;   in Loop: Header=BB397_11 Depth=1
	s_or_b32 exec_lo, exec_lo, s24
	v_mov_b32_e32 v1, 24
	v_lshlrev_b32_e32 v2, 20, v32
	v_lshl_add_u32 v0, v0, 23, 0x3c000000
	v_lshlrev_b32_sdwa v1, v1, v30 dst_sel:DWORD dst_unused:UNUSED_PAD src0_sel:DWORD src1_sel:WORD_1
	v_and_b32_e32 v1, 0x80000000, v1
	v_or3_b32 v0, v2, v1, v0
	buffer_store_dword v0, off, s[0:3], s32 offset:344 ; 4-byte Folded Spill
.LBB397_353:                            ;   in Loop: Header=BB397_11 Depth=1
	s_or_b32 exec_lo, exec_lo, s23
.LBB397_354:                            ;   in Loop: Header=BB397_11 Depth=1
	s_or_b32 exec_lo, exec_lo, s17
.LBB397_355:                            ;   in Loop: Header=BB397_11 Depth=1
	s_or_b32 exec_lo, exec_lo, s6
	v_mov_b32_e32 v0, 0
	s_mov_b32 s6, exec_lo
	buffer_store_dword v0, off, s[0:3], s32 offset:352 ; 4-byte Folded Spill
	v_mov_b32_e32 v0, 0
	buffer_store_dword v0, off, s[0:3], s32 offset:348 ; 4-byte Folded Spill
	v_cmpx_lt_u32_e32 0xffffff, v30
	s_cbranch_execz .LBB397_363
; %bb.356:                              ;   in Loop: Header=BB397_11 Depth=1
	v_cmp_ne_u32_sdwa s5, v30, v126 src0_sel:BYTE_3 src1_sel:DWORD
	v_bfrev_b32_e32 v0, 1
	buffer_store_dword v0, off, s[0:3], s32 offset:348 ; 4-byte Folded Spill
	s_and_saveexec_b32 s17, s5
	s_cbranch_execz .LBB397_362
; %bb.357:                              ;   in Loop: Header=BB397_11 Depth=1
	v_bfe_u32 v1, v30, 24, 7
	v_mov_b32_e32 v0, 0x7f800001
	s_mov_b32 s23, exec_lo
	buffer_store_dword v0, off, s[0:3], s32 offset:348 ; 4-byte Folded Spill
	v_cmpx_ne_u32_e32 0x7f, v1
	s_cbranch_execz .LBB397_361
; %bb.358:                              ;   in Loop: Header=BB397_11 Depth=1
	v_mov_b32_e32 v0, 7
	s_mov_b32 s24, exec_lo
	v_and_b32_sdwa v8, v30, v0 dst_sel:DWORD dst_unused:UNUSED_PAD src0_sel:BYTE_3 src1_sel:DWORD
	v_mov_b32_e32 v33, v9
	v_lshrrev_b32_e32 v0, 3, v1
	v_mov_b32_e32 v32, v8
	v_cmpx_gt_u32_e32 8, v1
; %bb.359:                              ;   in Loop: Header=BB397_11 Depth=1
	v_ffbh_u32_e32 v0, v8
	v_min_u32_e32 v0, 32, v0
	v_subrev_nc_u32_e32 v1, 28, v0
	v_sub_nc_u32_e32 v0, 29, v0
	v_lshlrev_b64 v[1:2], v1, v[8:9]
	v_and_b32_e32 v32, 7, v1
; %bb.360:                              ;   in Loop: Header=BB397_11 Depth=1
	s_or_b32 exec_lo, exec_lo, s24
	v_mov_b32_e32 v1, 24
	v_lshlrev_b32_e32 v2, 20, v32
	v_lshl_add_u32 v0, v0, 23, 0x3c000000
	v_lshlrev_b32_sdwa v1, v1, v30 dst_sel:DWORD dst_unused:UNUSED_PAD src0_sel:DWORD src1_sel:BYTE_3
	v_and_b32_e32 v1, 0x80000000, v1
	v_or3_b32 v0, v2, v1, v0
	buffer_store_dword v0, off, s[0:3], s32 offset:348 ; 4-byte Folded Spill
.LBB397_361:                            ;   in Loop: Header=BB397_11 Depth=1
	s_or_b32 exec_lo, exec_lo, s23
.LBB397_362:                            ;   in Loop: Header=BB397_11 Depth=1
	s_or_b32 exec_lo, exec_lo, s17
.LBB397_363:                            ;   in Loop: Header=BB397_11 Depth=1
	s_or_b32 exec_lo, exec_lo, s6
	v_mov_b32_e32 v8, v31
	v_cmp_ne_u16_sdwa s5, v31, v9 src0_sel:BYTE_0 src1_sel:DWORD
	s_and_saveexec_b32 s6, s5
	s_cbranch_execz .LBB397_371
; %bb.364:                              ;   in Loop: Header=BB397_11 Depth=1
	v_cmp_ne_u16_sdwa s5, v31, v126 src0_sel:BYTE_0 src1_sel:DWORD
	v_bfrev_b32_e32 v0, 1
	buffer_store_dword v0, off, s[0:3], s32 offset:352 ; 4-byte Folded Spill
	s_and_saveexec_b32 s17, s5
	s_cbranch_execz .LBB397_370
; %bb.365:                              ;   in Loop: Header=BB397_11 Depth=1
	v_and_b32_e32 v1, 0x7f, v31
	v_mov_b32_e32 v0, 0x7f800001
	s_mov_b32 s23, exec_lo
	buffer_store_dword v0, off, s[0:3], s32 offset:352 ; 4-byte Folded Spill
	v_cmpx_ne_u32_e32 0x7f, v1
	s_cbranch_execz .LBB397_369
; %bb.366:                              ;   in Loop: Header=BB397_11 Depth=1
	v_mov_b32_e32 v33, v9
	v_lshrrev_b32_e32 v0, 3, v1
	v_mov_b32_e32 v32, v8
	s_mov_b32 s24, exec_lo
	v_cmpx_gt_u32_e32 8, v1
; %bb.367:                              ;   in Loop: Header=BB397_11 Depth=1
	v_and_b32_e32 v0, 7, v31
	v_ffbh_u32_e32 v0, v0
	v_min_u32_e32 v0, 32, v0
	v_subrev_nc_u32_e32 v1, 28, v0
	v_sub_nc_u32_e32 v0, 29, v0
	v_lshlrev_b64 v[32:33], v1, v[8:9]
; %bb.368:                              ;   in Loop: Header=BB397_11 Depth=1
	s_or_b32 exec_lo, exec_lo, s24
	v_lshlrev_b32_e32 v1, 20, v32
	v_lshlrev_b32_e32 v2, 24, v8
	v_lshl_add_u32 v0, v0, 23, 0x3c000000
	v_and_b32_e32 v1, 0x700000, v1
	v_and_b32_e32 v2, 0x80000000, v2
	v_or3_b32 v0, v1, v2, v0
	buffer_store_dword v0, off, s[0:3], s32 offset:352 ; 4-byte Folded Spill
.LBB397_369:                            ;   in Loop: Header=BB397_11 Depth=1
	s_or_b32 exec_lo, exec_lo, s23
.LBB397_370:                            ;   in Loop: Header=BB397_11 Depth=1
	s_or_b32 exec_lo, exec_lo, s17
.LBB397_371:                            ;   in Loop: Header=BB397_11 Depth=1
	s_or_b32 exec_lo, exec_lo, s6
	v_mov_b32_e32 v0, 0
	v_cmp_ne_u16_sdwa s5, v8, v9 src0_sel:BYTE_1 src1_sel:DWORD
	buffer_store_dword v0, off, s[0:3], s32 offset:356 ; 4-byte Folded Spill
	v_mov_b32_e32 v0, 0
	buffer_store_dword v0, off, s[0:3], s32 offset:360 ; 4-byte Folded Spill
	s_and_saveexec_b32 s6, s5
	s_cbranch_execz .LBB397_379
; %bb.372:                              ;   in Loop: Header=BB397_11 Depth=1
	v_cmp_ne_u16_sdwa s5, v8, v126 src0_sel:BYTE_1 src1_sel:DWORD
	v_bfrev_b32_e32 v0, 1
	buffer_store_dword v0, off, s[0:3], s32 offset:360 ; 4-byte Folded Spill
	s_and_saveexec_b32 s17, s5
	s_cbranch_execz .LBB397_378
; %bb.373:                              ;   in Loop: Header=BB397_11 Depth=1
	v_mov_b32_e32 v0, 0xffff
	v_mov_b32_e32 v2, 0x7f800001
	s_mov_b32 s23, exec_lo
	v_and_b32_sdwa v0, v0, v8 dst_sel:DWORD dst_unused:UNUSED_PAD src0_sel:DWORD src1_sel:BYTE_1
	buffer_store_dword v2, off, s[0:3], s32 offset:360 ; 4-byte Folded Spill
	v_and_b32_e32 v1, 0x7f, v0
	v_cmpx_ne_u32_e32 0x7f, v1
	s_cbranch_execz .LBB397_377
; %bb.374:                              ;   in Loop: Header=BB397_11 Depth=1
	v_and_b32_e32 v32, 7, v0
	v_mov_b32_e32 v33, v9
	v_lshrrev_b32_e32 v0, 3, v1
	s_mov_b32 s24, exec_lo
	v_cmpx_gt_u32_e32 8, v1
; %bb.375:                              ;   in Loop: Header=BB397_11 Depth=1
	v_ffbh_u32_e32 v0, v32
	v_min_u32_e32 v0, 32, v0
	v_subrev_nc_u32_e32 v1, 28, v0
	v_sub_nc_u32_e32 v0, 29, v0
	v_lshlrev_b64 v[1:2], v1, v[32:33]
	v_and_b32_e32 v32, 7, v1
; %bb.376:                              ;   in Loop: Header=BB397_11 Depth=1
	s_or_b32 exec_lo, exec_lo, s24
	v_lshlrev_b32_e32 v1, 16, v8
	v_lshlrev_b32_e32 v2, 20, v32
	v_lshl_add_u32 v0, v0, 23, 0x3c000000
	v_and_b32_e32 v1, 0x80000000, v1
	v_or3_b32 v0, v2, v1, v0
	buffer_store_dword v0, off, s[0:3], s32 offset:360 ; 4-byte Folded Spill
.LBB397_377:                            ;   in Loop: Header=BB397_11 Depth=1
	s_or_b32 exec_lo, exec_lo, s23
.LBB397_378:                            ;   in Loop: Header=BB397_11 Depth=1
	s_or_b32 exec_lo, exec_lo, s17
.LBB397_379:                            ;   in Loop: Header=BB397_11 Depth=1
	s_or_b32 exec_lo, exec_lo, s6
	v_mov_b32_e32 v0, 0xff
	s_mov_b32 s6, exec_lo
	v_and_b32_sdwa v0, v31, v0 dst_sel:DWORD dst_unused:UNUSED_PAD src0_sel:WORD_1 src1_sel:DWORD
	v_cmpx_ne_u16_e32 0, v0
	s_cbranch_execz .LBB397_387
; %bb.380:                              ;   in Loop: Header=BB397_11 Depth=1
	v_cmp_ne_u16_e64 s5, 0x80, v0
	v_bfrev_b32_e32 v0, 1
	buffer_store_dword v0, off, s[0:3], s32 offset:356 ; 4-byte Folded Spill
	s_and_saveexec_b32 s17, s5
	s_cbranch_execz .LBB397_386
; %bb.381:                              ;   in Loop: Header=BB397_11 Depth=1
	v_bfe_u32 v1, v31, 16, 7
	v_mov_b32_e32 v0, 0x7f800001
	s_mov_b32 s23, exec_lo
	buffer_store_dword v0, off, s[0:3], s32 offset:356 ; 4-byte Folded Spill
	v_cmpx_ne_u32_e32 0x7f, v1
	s_cbranch_execz .LBB397_385
; %bb.382:                              ;   in Loop: Header=BB397_11 Depth=1
	v_mov_b32_e32 v0, 7
	s_mov_b32 s24, exec_lo
	v_and_b32_sdwa v8, v31, v0 dst_sel:DWORD dst_unused:UNUSED_PAD src0_sel:WORD_1 src1_sel:DWORD
	v_mov_b32_e32 v33, v9
	v_lshrrev_b32_e32 v0, 3, v1
	v_mov_b32_e32 v32, v8
	v_cmpx_gt_u32_e32 8, v1
; %bb.383:                              ;   in Loop: Header=BB397_11 Depth=1
	v_ffbh_u32_e32 v0, v8
	v_min_u32_e32 v0, 32, v0
	v_subrev_nc_u32_e32 v1, 28, v0
	v_sub_nc_u32_e32 v0, 29, v0
	v_lshlrev_b64 v[1:2], v1, v[8:9]
	v_and_b32_e32 v32, 7, v1
; %bb.384:                              ;   in Loop: Header=BB397_11 Depth=1
	s_or_b32 exec_lo, exec_lo, s24
	v_mov_b32_e32 v1, 24
	v_lshlrev_b32_e32 v2, 20, v32
	v_lshl_add_u32 v0, v0, 23, 0x3c000000
	v_lshlrev_b32_sdwa v1, v1, v31 dst_sel:DWORD dst_unused:UNUSED_PAD src0_sel:DWORD src1_sel:WORD_1
	v_and_b32_e32 v1, 0x80000000, v1
	v_or3_b32 v0, v2, v1, v0
	buffer_store_dword v0, off, s[0:3], s32 offset:356 ; 4-byte Folded Spill
.LBB397_385:                            ;   in Loop: Header=BB397_11 Depth=1
	s_or_b32 exec_lo, exec_lo, s23
.LBB397_386:                            ;   in Loop: Header=BB397_11 Depth=1
	s_or_b32 exec_lo, exec_lo, s17
.LBB397_387:                            ;   in Loop: Header=BB397_11 Depth=1
	s_or_b32 exec_lo, exec_lo, s6
	v_mov_b32_e32 v0, 0
	s_mov_b32 s6, exec_lo
	buffer_store_dword v0, off, s[0:3], s32 offset:368 ; 4-byte Folded Spill
	v_mov_b32_e32 v0, 0
	buffer_store_dword v0, off, s[0:3], s32 offset:364 ; 4-byte Folded Spill
	v_cmpx_lt_u64_e64 s[8:9], v[30:31]
	s_cbranch_execz .LBB397_395
; %bb.388:                              ;   in Loop: Header=BB397_11 Depth=1
	v_cmp_ne_u32_sdwa s5, v31, v126 src0_sel:BYTE_3 src1_sel:DWORD
	v_bfrev_b32_e32 v0, 1
	buffer_store_dword v0, off, s[0:3], s32 offset:364 ; 4-byte Folded Spill
	s_and_saveexec_b32 s17, s5
	s_cbranch_execz .LBB397_394
; %bb.389:                              ;   in Loop: Header=BB397_11 Depth=1
	v_bfe_u32 v1, v31, 24, 7
	v_mov_b32_e32 v0, 0x7f800001
	s_mov_b32 s23, exec_lo
	buffer_store_dword v0, off, s[0:3], s32 offset:364 ; 4-byte Folded Spill
	v_cmpx_ne_u32_e32 0x7f, v1
	s_cbranch_execz .LBB397_393
; %bb.390:                              ;   in Loop: Header=BB397_11 Depth=1
	v_mov_b32_e32 v0, 7
	s_mov_b32 s24, exec_lo
	v_and_b32_sdwa v8, v31, v0 dst_sel:DWORD dst_unused:UNUSED_PAD src0_sel:BYTE_3 src1_sel:DWORD
	v_mov_b32_e32 v33, v9
	v_lshrrev_b32_e32 v0, 3, v1
	v_mov_b32_e32 v32, v8
	v_cmpx_gt_u32_e32 8, v1
; %bb.391:                              ;   in Loop: Header=BB397_11 Depth=1
	v_ffbh_u32_e32 v0, v8
	v_min_u32_e32 v0, 32, v0
	v_subrev_nc_u32_e32 v1, 28, v0
	v_sub_nc_u32_e32 v0, 29, v0
	v_lshlrev_b64 v[1:2], v1, v[8:9]
	v_and_b32_e32 v32, 7, v1
; %bb.392:                              ;   in Loop: Header=BB397_11 Depth=1
	s_or_b32 exec_lo, exec_lo, s24
	v_mov_b32_e32 v1, 24
	v_lshlrev_b32_e32 v2, 20, v32
	v_lshl_add_u32 v0, v0, 23, 0x3c000000
	v_lshlrev_b32_sdwa v1, v1, v31 dst_sel:DWORD dst_unused:UNUSED_PAD src0_sel:DWORD src1_sel:BYTE_3
	v_and_b32_e32 v1, 0x80000000, v1
	v_or3_b32 v0, v2, v1, v0
	buffer_store_dword v0, off, s[0:3], s32 offset:364 ; 4-byte Folded Spill
.LBB397_393:                            ;   in Loop: Header=BB397_11 Depth=1
	s_or_b32 exec_lo, exec_lo, s23
.LBB397_394:                            ;   in Loop: Header=BB397_11 Depth=1
	s_or_b32 exec_lo, exec_lo, s17
.LBB397_395:                            ;   in Loop: Header=BB397_11 Depth=1
	s_or_b32 exec_lo, exec_lo, s6
	flat_load_dwordx2 v[30:31], v[28:29] offset:1536
	s_waitcnt vmcnt(0) lgkmcnt(0)
	v_cmp_ne_u16_sdwa s5, v30, v9 src0_sel:BYTE_0 src1_sel:DWORD
	s_and_saveexec_b32 s6, s5
	s_cbranch_execz .LBB397_403
; %bb.396:                              ;   in Loop: Header=BB397_11 Depth=1
	v_cmp_ne_u16_sdwa s5, v30, v126 src0_sel:BYTE_0 src1_sel:DWORD
	v_bfrev_b32_e32 v0, 1
	buffer_store_dword v0, off, s[0:3], s32 offset:368 ; 4-byte Folded Spill
	s_and_saveexec_b32 s17, s5
	s_cbranch_execz .LBB397_402
; %bb.397:                              ;   in Loop: Header=BB397_11 Depth=1
	v_and_b32_e32 v1, 0x7f, v30
	v_mov_b32_e32 v0, 0x7f800001
	s_mov_b32 s23, exec_lo
	buffer_store_dword v0, off, s[0:3], s32 offset:368 ; 4-byte Folded Spill
	v_cmpx_ne_u32_e32 0x7f, v1
	s_cbranch_execz .LBB397_401
; %bb.398:                              ;   in Loop: Header=BB397_11 Depth=1
	v_mov_b32_e32 v33, v31
	v_lshrrev_b32_e32 v0, 3, v1
	v_mov_b32_e32 v32, v30
	s_mov_b32 s24, exec_lo
	v_cmpx_gt_u32_e32 8, v1
; %bb.399:                              ;   in Loop: Header=BB397_11 Depth=1
	v_and_b32_e32 v0, 7, v30
	v_ffbh_u32_e32 v0, v0
	v_min_u32_e32 v0, 32, v0
	v_subrev_nc_u32_e32 v1, 28, v0
	v_sub_nc_u32_e32 v0, 29, v0
	v_lshlrev_b64 v[32:33], v1, v[30:31]
; %bb.400:                              ;   in Loop: Header=BB397_11 Depth=1
	s_or_b32 exec_lo, exec_lo, s24
	v_lshlrev_b32_e32 v1, 20, v32
	v_lshlrev_b32_e32 v2, 24, v30
	v_lshl_add_u32 v0, v0, 23, 0x3c000000
	v_and_b32_e32 v1, 0x700000, v1
	v_and_b32_e32 v2, 0x80000000, v2
	v_or3_b32 v0, v1, v2, v0
	buffer_store_dword v0, off, s[0:3], s32 offset:368 ; 4-byte Folded Spill
.LBB397_401:                            ;   in Loop: Header=BB397_11 Depth=1
	s_or_b32 exec_lo, exec_lo, s23
.LBB397_402:                            ;   in Loop: Header=BB397_11 Depth=1
	s_or_b32 exec_lo, exec_lo, s17
.LBB397_403:                            ;   in Loop: Header=BB397_11 Depth=1
	s_or_b32 exec_lo, exec_lo, s6
	v_mov_b32_e32 v0, 0
	v_cmp_ne_u16_sdwa s5, v30, v9 src0_sel:BYTE_1 src1_sel:DWORD
	buffer_store_dword v0, off, s[0:3], s32 offset:376 ; 4-byte Folded Spill
	v_mov_b32_e32 v0, 0
	buffer_store_dword v0, off, s[0:3], s32 offset:372 ; 4-byte Folded Spill
	s_and_saveexec_b32 s6, s5
	s_cbranch_execz .LBB397_411
; %bb.404:                              ;   in Loop: Header=BB397_11 Depth=1
	v_cmp_ne_u16_sdwa s5, v30, v126 src0_sel:BYTE_1 src1_sel:DWORD
	v_bfrev_b32_e32 v0, 1
	buffer_store_dword v0, off, s[0:3], s32 offset:372 ; 4-byte Folded Spill
	s_and_saveexec_b32 s17, s5
	s_cbranch_execz .LBB397_410
; %bb.405:                              ;   in Loop: Header=BB397_11 Depth=1
	v_mov_b32_e32 v0, 0xffff
	v_mov_b32_e32 v2, 0x7f800001
	s_mov_b32 s23, exec_lo
	v_and_b32_sdwa v0, v0, v30 dst_sel:DWORD dst_unused:UNUSED_PAD src0_sel:DWORD src1_sel:BYTE_1
	buffer_store_dword v2, off, s[0:3], s32 offset:372 ; 4-byte Folded Spill
	v_and_b32_e32 v1, 0x7f, v0
	v_cmpx_ne_u32_e32 0x7f, v1
	s_cbranch_execz .LBB397_409
; %bb.406:                              ;   in Loop: Header=BB397_11 Depth=1
	v_and_b32_e32 v8, 7, v0
	v_mov_b32_e32 v33, v9
	v_lshrrev_b32_e32 v0, 3, v1
	s_mov_b32 s24, exec_lo
	v_mov_b32_e32 v32, v8
	v_cmpx_gt_u32_e32 8, v1
; %bb.407:                              ;   in Loop: Header=BB397_11 Depth=1
	v_ffbh_u32_e32 v0, v8
	v_min_u32_e32 v0, 32, v0
	v_subrev_nc_u32_e32 v1, 28, v0
	v_sub_nc_u32_e32 v0, 29, v0
	v_lshlrev_b64 v[1:2], v1, v[8:9]
	v_and_b32_e32 v32, 7, v1
; %bb.408:                              ;   in Loop: Header=BB397_11 Depth=1
	s_or_b32 exec_lo, exec_lo, s24
	v_lshlrev_b32_e32 v1, 16, v30
	v_lshlrev_b32_e32 v2, 20, v32
	v_lshl_add_u32 v0, v0, 23, 0x3c000000
	v_and_b32_e32 v1, 0x80000000, v1
	v_or3_b32 v0, v2, v1, v0
	buffer_store_dword v0, off, s[0:3], s32 offset:372 ; 4-byte Folded Spill
.LBB397_409:                            ;   in Loop: Header=BB397_11 Depth=1
	s_or_b32 exec_lo, exec_lo, s23
.LBB397_410:                            ;   in Loop: Header=BB397_11 Depth=1
	s_or_b32 exec_lo, exec_lo, s17
.LBB397_411:                            ;   in Loop: Header=BB397_11 Depth=1
	s_or_b32 exec_lo, exec_lo, s6
	v_mov_b32_e32 v0, 0xff
	s_mov_b32 s6, exec_lo
	v_and_b32_sdwa v0, v30, v0 dst_sel:DWORD dst_unused:UNUSED_PAD src0_sel:WORD_1 src1_sel:DWORD
	v_cmpx_ne_u16_e32 0, v0
	s_cbranch_execz .LBB397_419
; %bb.412:                              ;   in Loop: Header=BB397_11 Depth=1
	v_cmp_ne_u16_e64 s5, 0x80, v0
	v_bfrev_b32_e32 v0, 1
	buffer_store_dword v0, off, s[0:3], s32 offset:376 ; 4-byte Folded Spill
	s_and_saveexec_b32 s17, s5
	s_cbranch_execz .LBB397_418
; %bb.413:                              ;   in Loop: Header=BB397_11 Depth=1
	v_bfe_u32 v1, v30, 16, 7
	v_mov_b32_e32 v0, 0x7f800001
	s_mov_b32 s23, exec_lo
	buffer_store_dword v0, off, s[0:3], s32 offset:376 ; 4-byte Folded Spill
	v_cmpx_ne_u32_e32 0x7f, v1
	s_cbranch_execz .LBB397_417
; %bb.414:                              ;   in Loop: Header=BB397_11 Depth=1
	v_mov_b32_e32 v0, 7
	s_mov_b32 s24, exec_lo
	v_and_b32_sdwa v8, v30, v0 dst_sel:DWORD dst_unused:UNUSED_PAD src0_sel:WORD_1 src1_sel:DWORD
	v_mov_b32_e32 v33, v9
	v_lshrrev_b32_e32 v0, 3, v1
	v_mov_b32_e32 v32, v8
	v_cmpx_gt_u32_e32 8, v1
; %bb.415:                              ;   in Loop: Header=BB397_11 Depth=1
	v_ffbh_u32_e32 v0, v8
	v_min_u32_e32 v0, 32, v0
	v_subrev_nc_u32_e32 v1, 28, v0
	v_sub_nc_u32_e32 v0, 29, v0
	v_lshlrev_b64 v[1:2], v1, v[8:9]
	v_and_b32_e32 v32, 7, v1
; %bb.416:                              ;   in Loop: Header=BB397_11 Depth=1
	s_or_b32 exec_lo, exec_lo, s24
	v_mov_b32_e32 v1, 24
	v_lshlrev_b32_e32 v2, 20, v32
	v_lshl_add_u32 v0, v0, 23, 0x3c000000
	v_lshlrev_b32_sdwa v1, v1, v30 dst_sel:DWORD dst_unused:UNUSED_PAD src0_sel:DWORD src1_sel:WORD_1
	v_and_b32_e32 v1, 0x80000000, v1
	v_or3_b32 v0, v2, v1, v0
	buffer_store_dword v0, off, s[0:3], s32 offset:376 ; 4-byte Folded Spill
.LBB397_417:                            ;   in Loop: Header=BB397_11 Depth=1
	s_or_b32 exec_lo, exec_lo, s23
.LBB397_418:                            ;   in Loop: Header=BB397_11 Depth=1
	s_or_b32 exec_lo, exec_lo, s17
.LBB397_419:                            ;   in Loop: Header=BB397_11 Depth=1
	s_or_b32 exec_lo, exec_lo, s6
	v_mov_b32_e32 v0, 0
	s_mov_b32 s6, exec_lo
	buffer_store_dword v0, off, s[0:3], s32 offset:384 ; 4-byte Folded Spill
	v_mov_b32_e32 v0, 0
	buffer_store_dword v0, off, s[0:3], s32 offset:380 ; 4-byte Folded Spill
	v_cmpx_lt_u32_e32 0xffffff, v30
	s_cbranch_execz .LBB397_427
; %bb.420:                              ;   in Loop: Header=BB397_11 Depth=1
	v_cmp_ne_u32_sdwa s5, v30, v126 src0_sel:BYTE_3 src1_sel:DWORD
	v_bfrev_b32_e32 v0, 1
	buffer_store_dword v0, off, s[0:3], s32 offset:380 ; 4-byte Folded Spill
	s_and_saveexec_b32 s17, s5
	s_cbranch_execz .LBB397_426
; %bb.421:                              ;   in Loop: Header=BB397_11 Depth=1
	v_bfe_u32 v1, v30, 24, 7
	v_mov_b32_e32 v0, 0x7f800001
	s_mov_b32 s23, exec_lo
	buffer_store_dword v0, off, s[0:3], s32 offset:380 ; 4-byte Folded Spill
	v_cmpx_ne_u32_e32 0x7f, v1
	s_cbranch_execz .LBB397_425
; %bb.422:                              ;   in Loop: Header=BB397_11 Depth=1
	v_mov_b32_e32 v0, 7
	s_mov_b32 s24, exec_lo
	v_and_b32_sdwa v8, v30, v0 dst_sel:DWORD dst_unused:UNUSED_PAD src0_sel:BYTE_3 src1_sel:DWORD
	v_mov_b32_e32 v33, v9
	v_lshrrev_b32_e32 v0, 3, v1
	v_mov_b32_e32 v32, v8
	v_cmpx_gt_u32_e32 8, v1
; %bb.423:                              ;   in Loop: Header=BB397_11 Depth=1
	v_ffbh_u32_e32 v0, v8
	v_min_u32_e32 v0, 32, v0
	v_subrev_nc_u32_e32 v1, 28, v0
	v_sub_nc_u32_e32 v0, 29, v0
	v_lshlrev_b64 v[1:2], v1, v[8:9]
	v_and_b32_e32 v32, 7, v1
; %bb.424:                              ;   in Loop: Header=BB397_11 Depth=1
	s_or_b32 exec_lo, exec_lo, s24
	v_mov_b32_e32 v1, 24
	v_lshlrev_b32_e32 v2, 20, v32
	v_lshl_add_u32 v0, v0, 23, 0x3c000000
	v_lshlrev_b32_sdwa v1, v1, v30 dst_sel:DWORD dst_unused:UNUSED_PAD src0_sel:DWORD src1_sel:BYTE_3
	v_and_b32_e32 v1, 0x80000000, v1
	v_or3_b32 v0, v2, v1, v0
	buffer_store_dword v0, off, s[0:3], s32 offset:380 ; 4-byte Folded Spill
.LBB397_425:                            ;   in Loop: Header=BB397_11 Depth=1
	s_or_b32 exec_lo, exec_lo, s23
.LBB397_426:                            ;   in Loop: Header=BB397_11 Depth=1
	s_or_b32 exec_lo, exec_lo, s17
.LBB397_427:                            ;   in Loop: Header=BB397_11 Depth=1
	s_or_b32 exec_lo, exec_lo, s6
	v_mov_b32_e32 v8, v31
	v_cmp_ne_u16_sdwa s5, v31, v9 src0_sel:BYTE_0 src1_sel:DWORD
	s_and_saveexec_b32 s6, s5
	s_cbranch_execz .LBB397_435
; %bb.428:                              ;   in Loop: Header=BB397_11 Depth=1
	v_cmp_ne_u16_sdwa s5, v31, v126 src0_sel:BYTE_0 src1_sel:DWORD
	v_bfrev_b32_e32 v0, 1
	buffer_store_dword v0, off, s[0:3], s32 offset:384 ; 4-byte Folded Spill
	s_and_saveexec_b32 s17, s5
	s_cbranch_execz .LBB397_434
; %bb.429:                              ;   in Loop: Header=BB397_11 Depth=1
	v_and_b32_e32 v1, 0x7f, v31
	v_mov_b32_e32 v0, 0x7f800001
	s_mov_b32 s23, exec_lo
	buffer_store_dword v0, off, s[0:3], s32 offset:384 ; 4-byte Folded Spill
	v_cmpx_ne_u32_e32 0x7f, v1
	s_cbranch_execz .LBB397_433
; %bb.430:                              ;   in Loop: Header=BB397_11 Depth=1
	v_mov_b32_e32 v33, v9
	v_lshrrev_b32_e32 v0, 3, v1
	v_mov_b32_e32 v32, v8
	s_mov_b32 s24, exec_lo
	v_cmpx_gt_u32_e32 8, v1
; %bb.431:                              ;   in Loop: Header=BB397_11 Depth=1
	v_and_b32_e32 v0, 7, v31
	v_ffbh_u32_e32 v0, v0
	v_min_u32_e32 v0, 32, v0
	v_subrev_nc_u32_e32 v1, 28, v0
	v_sub_nc_u32_e32 v0, 29, v0
	v_lshlrev_b64 v[32:33], v1, v[8:9]
; %bb.432:                              ;   in Loop: Header=BB397_11 Depth=1
	s_or_b32 exec_lo, exec_lo, s24
	v_lshlrev_b32_e32 v1, 20, v32
	v_lshlrev_b32_e32 v2, 24, v8
	v_lshl_add_u32 v0, v0, 23, 0x3c000000
	v_and_b32_e32 v1, 0x700000, v1
	v_and_b32_e32 v2, 0x80000000, v2
	v_or3_b32 v0, v1, v2, v0
	buffer_store_dword v0, off, s[0:3], s32 offset:384 ; 4-byte Folded Spill
.LBB397_433:                            ;   in Loop: Header=BB397_11 Depth=1
	s_or_b32 exec_lo, exec_lo, s23
.LBB397_434:                            ;   in Loop: Header=BB397_11 Depth=1
	s_or_b32 exec_lo, exec_lo, s17
.LBB397_435:                            ;   in Loop: Header=BB397_11 Depth=1
	s_or_b32 exec_lo, exec_lo, s6
	v_mov_b32_e32 v0, 0
	v_cmp_ne_u16_sdwa s5, v8, v9 src0_sel:BYTE_1 src1_sel:DWORD
	buffer_store_dword v0, off, s[0:3], s32 offset:388 ; 4-byte Folded Spill
	v_mov_b32_e32 v0, 0
	buffer_store_dword v0, off, s[0:3], s32 offset:392 ; 4-byte Folded Spill
	s_and_saveexec_b32 s6, s5
	s_cbranch_execz .LBB397_443
; %bb.436:                              ;   in Loop: Header=BB397_11 Depth=1
	v_cmp_ne_u16_sdwa s5, v8, v126 src0_sel:BYTE_1 src1_sel:DWORD
	v_bfrev_b32_e32 v0, 1
	buffer_store_dword v0, off, s[0:3], s32 offset:392 ; 4-byte Folded Spill
	s_and_saveexec_b32 s17, s5
	s_cbranch_execz .LBB397_442
; %bb.437:                              ;   in Loop: Header=BB397_11 Depth=1
	v_mov_b32_e32 v0, 0xffff
	v_mov_b32_e32 v2, 0x7f800001
	s_mov_b32 s23, exec_lo
	v_and_b32_sdwa v0, v0, v8 dst_sel:DWORD dst_unused:UNUSED_PAD src0_sel:DWORD src1_sel:BYTE_1
	buffer_store_dword v2, off, s[0:3], s32 offset:392 ; 4-byte Folded Spill
	v_and_b32_e32 v1, 0x7f, v0
	v_cmpx_ne_u32_e32 0x7f, v1
	s_cbranch_execz .LBB397_441
; %bb.438:                              ;   in Loop: Header=BB397_11 Depth=1
	v_and_b32_e32 v32, 7, v0
	v_mov_b32_e32 v33, v9
	v_lshrrev_b32_e32 v0, 3, v1
	s_mov_b32 s24, exec_lo
	v_cmpx_gt_u32_e32 8, v1
; %bb.439:                              ;   in Loop: Header=BB397_11 Depth=1
	v_ffbh_u32_e32 v0, v32
	v_min_u32_e32 v0, 32, v0
	v_subrev_nc_u32_e32 v1, 28, v0
	v_sub_nc_u32_e32 v0, 29, v0
	v_lshlrev_b64 v[1:2], v1, v[32:33]
	v_and_b32_e32 v32, 7, v1
; %bb.440:                              ;   in Loop: Header=BB397_11 Depth=1
	s_or_b32 exec_lo, exec_lo, s24
	v_lshlrev_b32_e32 v1, 16, v8
	v_lshlrev_b32_e32 v2, 20, v32
	v_lshl_add_u32 v0, v0, 23, 0x3c000000
	v_and_b32_e32 v1, 0x80000000, v1
	v_or3_b32 v0, v2, v1, v0
	buffer_store_dword v0, off, s[0:3], s32 offset:392 ; 4-byte Folded Spill
.LBB397_441:                            ;   in Loop: Header=BB397_11 Depth=1
	s_or_b32 exec_lo, exec_lo, s23
.LBB397_442:                            ;   in Loop: Header=BB397_11 Depth=1
	s_or_b32 exec_lo, exec_lo, s17
.LBB397_443:                            ;   in Loop: Header=BB397_11 Depth=1
	s_or_b32 exec_lo, exec_lo, s6
	v_mov_b32_e32 v0, 0xff
	s_mov_b32 s6, exec_lo
	v_and_b32_sdwa v0, v31, v0 dst_sel:DWORD dst_unused:UNUSED_PAD src0_sel:WORD_1 src1_sel:DWORD
	v_cmpx_ne_u16_e32 0, v0
	s_cbranch_execz .LBB397_451
; %bb.444:                              ;   in Loop: Header=BB397_11 Depth=1
	v_cmp_ne_u16_e64 s5, 0x80, v0
	v_bfrev_b32_e32 v0, 1
	buffer_store_dword v0, off, s[0:3], s32 offset:388 ; 4-byte Folded Spill
	s_and_saveexec_b32 s17, s5
	s_cbranch_execz .LBB397_450
; %bb.445:                              ;   in Loop: Header=BB397_11 Depth=1
	v_bfe_u32 v1, v31, 16, 7
	v_mov_b32_e32 v0, 0x7f800001
	s_mov_b32 s23, exec_lo
	buffer_store_dword v0, off, s[0:3], s32 offset:388 ; 4-byte Folded Spill
	v_cmpx_ne_u32_e32 0x7f, v1
	s_cbranch_execz .LBB397_449
; %bb.446:                              ;   in Loop: Header=BB397_11 Depth=1
	v_mov_b32_e32 v0, 7
	s_mov_b32 s24, exec_lo
	v_and_b32_sdwa v8, v31, v0 dst_sel:DWORD dst_unused:UNUSED_PAD src0_sel:WORD_1 src1_sel:DWORD
	v_mov_b32_e32 v33, v9
	v_lshrrev_b32_e32 v0, 3, v1
	v_mov_b32_e32 v32, v8
	v_cmpx_gt_u32_e32 8, v1
; %bb.447:                              ;   in Loop: Header=BB397_11 Depth=1
	v_ffbh_u32_e32 v0, v8
	v_min_u32_e32 v0, 32, v0
	v_subrev_nc_u32_e32 v1, 28, v0
	v_sub_nc_u32_e32 v0, 29, v0
	v_lshlrev_b64 v[1:2], v1, v[8:9]
	v_and_b32_e32 v32, 7, v1
; %bb.448:                              ;   in Loop: Header=BB397_11 Depth=1
	s_or_b32 exec_lo, exec_lo, s24
	v_mov_b32_e32 v1, 24
	v_lshlrev_b32_e32 v2, 20, v32
	v_lshl_add_u32 v0, v0, 23, 0x3c000000
	v_lshlrev_b32_sdwa v1, v1, v31 dst_sel:DWORD dst_unused:UNUSED_PAD src0_sel:DWORD src1_sel:WORD_1
	v_and_b32_e32 v1, 0x80000000, v1
	v_or3_b32 v0, v2, v1, v0
	buffer_store_dword v0, off, s[0:3], s32 offset:388 ; 4-byte Folded Spill
.LBB397_449:                            ;   in Loop: Header=BB397_11 Depth=1
	s_or_b32 exec_lo, exec_lo, s23
.LBB397_450:                            ;   in Loop: Header=BB397_11 Depth=1
	s_or_b32 exec_lo, exec_lo, s17
.LBB397_451:                            ;   in Loop: Header=BB397_11 Depth=1
	s_or_b32 exec_lo, exec_lo, s6
	v_mov_b32_e32 v0, 0
	s_mov_b32 s6, exec_lo
	buffer_store_dword v0, off, s[0:3], s32 offset:400 ; 4-byte Folded Spill
	v_mov_b32_e32 v0, 0
	buffer_store_dword v0, off, s[0:3], s32 offset:396 ; 4-byte Folded Spill
	v_cmpx_lt_u64_e64 s[8:9], v[30:31]
	s_cbranch_execz .LBB397_459
; %bb.452:                              ;   in Loop: Header=BB397_11 Depth=1
	v_cmp_ne_u32_sdwa s5, v31, v126 src0_sel:BYTE_3 src1_sel:DWORD
	v_bfrev_b32_e32 v0, 1
	buffer_store_dword v0, off, s[0:3], s32 offset:396 ; 4-byte Folded Spill
	s_and_saveexec_b32 s17, s5
	s_cbranch_execz .LBB397_458
; %bb.453:                              ;   in Loop: Header=BB397_11 Depth=1
	v_bfe_u32 v1, v31, 24, 7
	v_mov_b32_e32 v0, 0x7f800001
	s_mov_b32 s23, exec_lo
	buffer_store_dword v0, off, s[0:3], s32 offset:396 ; 4-byte Folded Spill
	v_cmpx_ne_u32_e32 0x7f, v1
	s_cbranch_execz .LBB397_457
; %bb.454:                              ;   in Loop: Header=BB397_11 Depth=1
	v_mov_b32_e32 v0, 7
	s_mov_b32 s24, exec_lo
	v_and_b32_sdwa v8, v31, v0 dst_sel:DWORD dst_unused:UNUSED_PAD src0_sel:BYTE_3 src1_sel:DWORD
	v_mov_b32_e32 v33, v9
	v_lshrrev_b32_e32 v0, 3, v1
	v_mov_b32_e32 v32, v8
	v_cmpx_gt_u32_e32 8, v1
; %bb.455:                              ;   in Loop: Header=BB397_11 Depth=1
	v_ffbh_u32_e32 v0, v8
	v_min_u32_e32 v0, 32, v0
	v_subrev_nc_u32_e32 v1, 28, v0
	v_sub_nc_u32_e32 v0, 29, v0
	v_lshlrev_b64 v[1:2], v1, v[8:9]
	v_and_b32_e32 v32, 7, v1
; %bb.456:                              ;   in Loop: Header=BB397_11 Depth=1
	s_or_b32 exec_lo, exec_lo, s24
	v_mov_b32_e32 v1, 24
	v_lshlrev_b32_e32 v2, 20, v32
	v_lshl_add_u32 v0, v0, 23, 0x3c000000
	v_lshlrev_b32_sdwa v1, v1, v31 dst_sel:DWORD dst_unused:UNUSED_PAD src0_sel:DWORD src1_sel:BYTE_3
	v_and_b32_e32 v1, 0x80000000, v1
	v_or3_b32 v0, v2, v1, v0
	buffer_store_dword v0, off, s[0:3], s32 offset:396 ; 4-byte Folded Spill
.LBB397_457:                            ;   in Loop: Header=BB397_11 Depth=1
	s_or_b32 exec_lo, exec_lo, s23
.LBB397_458:                            ;   in Loop: Header=BB397_11 Depth=1
	s_or_b32 exec_lo, exec_lo, s17
.LBB397_459:                            ;   in Loop: Header=BB397_11 Depth=1
	s_or_b32 exec_lo, exec_lo, s6
	flat_load_dwordx2 v[30:31], v[28:29] offset:1544
	s_waitcnt vmcnt(0) lgkmcnt(0)
	v_cmp_ne_u16_sdwa s5, v30, v9 src0_sel:BYTE_0 src1_sel:DWORD
	s_and_saveexec_b32 s6, s5
	s_cbranch_execz .LBB397_467
; %bb.460:                              ;   in Loop: Header=BB397_11 Depth=1
	v_cmp_ne_u16_sdwa s5, v30, v126 src0_sel:BYTE_0 src1_sel:DWORD
	v_bfrev_b32_e32 v0, 1
	buffer_store_dword v0, off, s[0:3], s32 offset:400 ; 4-byte Folded Spill
	s_and_saveexec_b32 s17, s5
	s_cbranch_execz .LBB397_466
; %bb.461:                              ;   in Loop: Header=BB397_11 Depth=1
	v_and_b32_e32 v1, 0x7f, v30
	v_mov_b32_e32 v0, 0x7f800001
	s_mov_b32 s23, exec_lo
	buffer_store_dword v0, off, s[0:3], s32 offset:400 ; 4-byte Folded Spill
	v_cmpx_ne_u32_e32 0x7f, v1
	s_cbranch_execz .LBB397_465
; %bb.462:                              ;   in Loop: Header=BB397_11 Depth=1
	v_mov_b32_e32 v33, v31
	v_lshrrev_b32_e32 v0, 3, v1
	v_mov_b32_e32 v32, v30
	s_mov_b32 s24, exec_lo
	v_cmpx_gt_u32_e32 8, v1
; %bb.463:                              ;   in Loop: Header=BB397_11 Depth=1
	v_and_b32_e32 v0, 7, v30
	v_ffbh_u32_e32 v0, v0
	v_min_u32_e32 v0, 32, v0
	v_subrev_nc_u32_e32 v1, 28, v0
	v_sub_nc_u32_e32 v0, 29, v0
	v_lshlrev_b64 v[32:33], v1, v[30:31]
; %bb.464:                              ;   in Loop: Header=BB397_11 Depth=1
	s_or_b32 exec_lo, exec_lo, s24
	v_lshlrev_b32_e32 v1, 20, v32
	v_lshlrev_b32_e32 v2, 24, v30
	v_lshl_add_u32 v0, v0, 23, 0x3c000000
	v_and_b32_e32 v1, 0x700000, v1
	v_and_b32_e32 v2, 0x80000000, v2
	v_or3_b32 v0, v1, v2, v0
	buffer_store_dword v0, off, s[0:3], s32 offset:400 ; 4-byte Folded Spill
.LBB397_465:                            ;   in Loop: Header=BB397_11 Depth=1
	s_or_b32 exec_lo, exec_lo, s23
.LBB397_466:                            ;   in Loop: Header=BB397_11 Depth=1
	s_or_b32 exec_lo, exec_lo, s17
.LBB397_467:                            ;   in Loop: Header=BB397_11 Depth=1
	s_or_b32 exec_lo, exec_lo, s6
	v_mov_b32_e32 v0, 0
	v_cmp_ne_u16_sdwa s5, v30, v9 src0_sel:BYTE_1 src1_sel:DWORD
	buffer_store_dword v0, off, s[0:3], s32 offset:408 ; 4-byte Folded Spill
	v_mov_b32_e32 v0, 0
	buffer_store_dword v0, off, s[0:3], s32 offset:404 ; 4-byte Folded Spill
	s_and_saveexec_b32 s6, s5
	s_cbranch_execz .LBB397_475
; %bb.468:                              ;   in Loop: Header=BB397_11 Depth=1
	v_cmp_ne_u16_sdwa s5, v30, v126 src0_sel:BYTE_1 src1_sel:DWORD
	v_bfrev_b32_e32 v0, 1
	buffer_store_dword v0, off, s[0:3], s32 offset:404 ; 4-byte Folded Spill
	s_and_saveexec_b32 s17, s5
	s_cbranch_execz .LBB397_474
; %bb.469:                              ;   in Loop: Header=BB397_11 Depth=1
	v_mov_b32_e32 v0, 0xffff
	v_mov_b32_e32 v2, 0x7f800001
	s_mov_b32 s23, exec_lo
	v_and_b32_sdwa v0, v0, v30 dst_sel:DWORD dst_unused:UNUSED_PAD src0_sel:DWORD src1_sel:BYTE_1
	buffer_store_dword v2, off, s[0:3], s32 offset:404 ; 4-byte Folded Spill
	v_and_b32_e32 v1, 0x7f, v0
	v_cmpx_ne_u32_e32 0x7f, v1
	s_cbranch_execz .LBB397_473
; %bb.470:                              ;   in Loop: Header=BB397_11 Depth=1
	v_and_b32_e32 v8, 7, v0
	v_mov_b32_e32 v33, v9
	v_lshrrev_b32_e32 v0, 3, v1
	s_mov_b32 s24, exec_lo
	v_mov_b32_e32 v32, v8
	v_cmpx_gt_u32_e32 8, v1
; %bb.471:                              ;   in Loop: Header=BB397_11 Depth=1
	v_ffbh_u32_e32 v0, v8
	v_min_u32_e32 v0, 32, v0
	v_subrev_nc_u32_e32 v1, 28, v0
	v_sub_nc_u32_e32 v0, 29, v0
	v_lshlrev_b64 v[1:2], v1, v[8:9]
	v_and_b32_e32 v32, 7, v1
; %bb.472:                              ;   in Loop: Header=BB397_11 Depth=1
	s_or_b32 exec_lo, exec_lo, s24
	v_lshlrev_b32_e32 v1, 16, v30
	v_lshlrev_b32_e32 v2, 20, v32
	v_lshl_add_u32 v0, v0, 23, 0x3c000000
	v_and_b32_e32 v1, 0x80000000, v1
	v_or3_b32 v0, v2, v1, v0
	buffer_store_dword v0, off, s[0:3], s32 offset:404 ; 4-byte Folded Spill
.LBB397_473:                            ;   in Loop: Header=BB397_11 Depth=1
	s_or_b32 exec_lo, exec_lo, s23
.LBB397_474:                            ;   in Loop: Header=BB397_11 Depth=1
	s_or_b32 exec_lo, exec_lo, s17
.LBB397_475:                            ;   in Loop: Header=BB397_11 Depth=1
	s_or_b32 exec_lo, exec_lo, s6
	v_mov_b32_e32 v0, 0xff
	s_mov_b32 s6, exec_lo
	v_and_b32_sdwa v0, v30, v0 dst_sel:DWORD dst_unused:UNUSED_PAD src0_sel:WORD_1 src1_sel:DWORD
	v_cmpx_ne_u16_e32 0, v0
	s_cbranch_execz .LBB397_483
; %bb.476:                              ;   in Loop: Header=BB397_11 Depth=1
	v_cmp_ne_u16_e64 s5, 0x80, v0
	v_bfrev_b32_e32 v0, 1
	buffer_store_dword v0, off, s[0:3], s32 offset:408 ; 4-byte Folded Spill
	s_and_saveexec_b32 s17, s5
	s_cbranch_execz .LBB397_482
; %bb.477:                              ;   in Loop: Header=BB397_11 Depth=1
	v_bfe_u32 v1, v30, 16, 7
	v_mov_b32_e32 v0, 0x7f800001
	s_mov_b32 s23, exec_lo
	buffer_store_dword v0, off, s[0:3], s32 offset:408 ; 4-byte Folded Spill
	v_cmpx_ne_u32_e32 0x7f, v1
	s_cbranch_execz .LBB397_481
; %bb.478:                              ;   in Loop: Header=BB397_11 Depth=1
	v_mov_b32_e32 v0, 7
	s_mov_b32 s24, exec_lo
	v_and_b32_sdwa v8, v30, v0 dst_sel:DWORD dst_unused:UNUSED_PAD src0_sel:WORD_1 src1_sel:DWORD
	v_mov_b32_e32 v33, v9
	v_lshrrev_b32_e32 v0, 3, v1
	v_mov_b32_e32 v32, v8
	v_cmpx_gt_u32_e32 8, v1
; %bb.479:                              ;   in Loop: Header=BB397_11 Depth=1
	v_ffbh_u32_e32 v0, v8
	v_min_u32_e32 v0, 32, v0
	v_subrev_nc_u32_e32 v1, 28, v0
	v_sub_nc_u32_e32 v0, 29, v0
	v_lshlrev_b64 v[1:2], v1, v[8:9]
	v_and_b32_e32 v32, 7, v1
; %bb.480:                              ;   in Loop: Header=BB397_11 Depth=1
	s_or_b32 exec_lo, exec_lo, s24
	v_mov_b32_e32 v1, 24
	v_lshlrev_b32_e32 v2, 20, v32
	v_lshl_add_u32 v0, v0, 23, 0x3c000000
	v_lshlrev_b32_sdwa v1, v1, v30 dst_sel:DWORD dst_unused:UNUSED_PAD src0_sel:DWORD src1_sel:WORD_1
	v_and_b32_e32 v1, 0x80000000, v1
	v_or3_b32 v0, v2, v1, v0
	buffer_store_dword v0, off, s[0:3], s32 offset:408 ; 4-byte Folded Spill
.LBB397_481:                            ;   in Loop: Header=BB397_11 Depth=1
	s_or_b32 exec_lo, exec_lo, s23
.LBB397_482:                            ;   in Loop: Header=BB397_11 Depth=1
	s_or_b32 exec_lo, exec_lo, s17
.LBB397_483:                            ;   in Loop: Header=BB397_11 Depth=1
	s_or_b32 exec_lo, exec_lo, s6
	v_mov_b32_e32 v0, 0
	s_mov_b32 s6, exec_lo
	buffer_store_dword v0, off, s[0:3], s32 offset:416 ; 4-byte Folded Spill
	v_mov_b32_e32 v0, 0
	buffer_store_dword v0, off, s[0:3], s32 offset:412 ; 4-byte Folded Spill
	v_cmpx_lt_u32_e32 0xffffff, v30
	s_cbranch_execz .LBB397_491
; %bb.484:                              ;   in Loop: Header=BB397_11 Depth=1
	v_cmp_ne_u32_sdwa s5, v30, v126 src0_sel:BYTE_3 src1_sel:DWORD
	v_bfrev_b32_e32 v0, 1
	buffer_store_dword v0, off, s[0:3], s32 offset:412 ; 4-byte Folded Spill
	s_and_saveexec_b32 s17, s5
	s_cbranch_execz .LBB397_490
; %bb.485:                              ;   in Loop: Header=BB397_11 Depth=1
	v_bfe_u32 v1, v30, 24, 7
	v_mov_b32_e32 v0, 0x7f800001
	s_mov_b32 s23, exec_lo
	buffer_store_dword v0, off, s[0:3], s32 offset:412 ; 4-byte Folded Spill
	v_cmpx_ne_u32_e32 0x7f, v1
	s_cbranch_execz .LBB397_489
; %bb.486:                              ;   in Loop: Header=BB397_11 Depth=1
	v_mov_b32_e32 v0, 7
	s_mov_b32 s24, exec_lo
	v_and_b32_sdwa v8, v30, v0 dst_sel:DWORD dst_unused:UNUSED_PAD src0_sel:BYTE_3 src1_sel:DWORD
	v_mov_b32_e32 v33, v9
	v_lshrrev_b32_e32 v0, 3, v1
	v_mov_b32_e32 v32, v8
	v_cmpx_gt_u32_e32 8, v1
; %bb.487:                              ;   in Loop: Header=BB397_11 Depth=1
	v_ffbh_u32_e32 v0, v8
	v_min_u32_e32 v0, 32, v0
	v_subrev_nc_u32_e32 v1, 28, v0
	v_sub_nc_u32_e32 v0, 29, v0
	v_lshlrev_b64 v[1:2], v1, v[8:9]
	v_and_b32_e32 v32, 7, v1
; %bb.488:                              ;   in Loop: Header=BB397_11 Depth=1
	s_or_b32 exec_lo, exec_lo, s24
	v_mov_b32_e32 v1, 24
	v_lshlrev_b32_e32 v2, 20, v32
	v_lshl_add_u32 v0, v0, 23, 0x3c000000
	v_lshlrev_b32_sdwa v1, v1, v30 dst_sel:DWORD dst_unused:UNUSED_PAD src0_sel:DWORD src1_sel:BYTE_3
	v_and_b32_e32 v1, 0x80000000, v1
	v_or3_b32 v0, v2, v1, v0
	buffer_store_dword v0, off, s[0:3], s32 offset:412 ; 4-byte Folded Spill
.LBB397_489:                            ;   in Loop: Header=BB397_11 Depth=1
	s_or_b32 exec_lo, exec_lo, s23
.LBB397_490:                            ;   in Loop: Header=BB397_11 Depth=1
	s_or_b32 exec_lo, exec_lo, s17
.LBB397_491:                            ;   in Loop: Header=BB397_11 Depth=1
	s_or_b32 exec_lo, exec_lo, s6
	v_mov_b32_e32 v8, v31
	v_cmp_ne_u16_sdwa s5, v31, v9 src0_sel:BYTE_0 src1_sel:DWORD
	s_and_saveexec_b32 s6, s5
	s_cbranch_execz .LBB397_499
; %bb.492:                              ;   in Loop: Header=BB397_11 Depth=1
	v_cmp_ne_u16_sdwa s5, v31, v126 src0_sel:BYTE_0 src1_sel:DWORD
	v_bfrev_b32_e32 v0, 1
	buffer_store_dword v0, off, s[0:3], s32 offset:416 ; 4-byte Folded Spill
	s_and_saveexec_b32 s17, s5
	s_cbranch_execz .LBB397_498
; %bb.493:                              ;   in Loop: Header=BB397_11 Depth=1
	v_and_b32_e32 v1, 0x7f, v31
	v_mov_b32_e32 v0, 0x7f800001
	s_mov_b32 s23, exec_lo
	buffer_store_dword v0, off, s[0:3], s32 offset:416 ; 4-byte Folded Spill
	v_cmpx_ne_u32_e32 0x7f, v1
	s_cbranch_execz .LBB397_497
; %bb.494:                              ;   in Loop: Header=BB397_11 Depth=1
	v_mov_b32_e32 v33, v9
	v_lshrrev_b32_e32 v0, 3, v1
	v_mov_b32_e32 v32, v8
	s_mov_b32 s24, exec_lo
	v_cmpx_gt_u32_e32 8, v1
; %bb.495:                              ;   in Loop: Header=BB397_11 Depth=1
	v_and_b32_e32 v0, 7, v31
	v_ffbh_u32_e32 v0, v0
	v_min_u32_e32 v0, 32, v0
	v_subrev_nc_u32_e32 v1, 28, v0
	v_sub_nc_u32_e32 v0, 29, v0
	v_lshlrev_b64 v[32:33], v1, v[8:9]
; %bb.496:                              ;   in Loop: Header=BB397_11 Depth=1
	s_or_b32 exec_lo, exec_lo, s24
	v_lshlrev_b32_e32 v1, 20, v32
	v_lshlrev_b32_e32 v2, 24, v8
	v_lshl_add_u32 v0, v0, 23, 0x3c000000
	v_and_b32_e32 v1, 0x700000, v1
	v_and_b32_e32 v2, 0x80000000, v2
	v_or3_b32 v0, v1, v2, v0
	buffer_store_dword v0, off, s[0:3], s32 offset:416 ; 4-byte Folded Spill
.LBB397_497:                            ;   in Loop: Header=BB397_11 Depth=1
	s_or_b32 exec_lo, exec_lo, s23
.LBB397_498:                            ;   in Loop: Header=BB397_11 Depth=1
	s_or_b32 exec_lo, exec_lo, s17
.LBB397_499:                            ;   in Loop: Header=BB397_11 Depth=1
	s_or_b32 exec_lo, exec_lo, s6
	v_mov_b32_e32 v0, 0
	v_cmp_ne_u16_sdwa s5, v8, v9 src0_sel:BYTE_1 src1_sel:DWORD
	buffer_store_dword v0, off, s[0:3], s32 offset:420 ; 4-byte Folded Spill
	v_mov_b32_e32 v0, 0
	buffer_store_dword v0, off, s[0:3], s32 offset:424 ; 4-byte Folded Spill
	s_and_saveexec_b32 s6, s5
	s_cbranch_execz .LBB397_507
; %bb.500:                              ;   in Loop: Header=BB397_11 Depth=1
	v_cmp_ne_u16_sdwa s5, v8, v126 src0_sel:BYTE_1 src1_sel:DWORD
	v_bfrev_b32_e32 v0, 1
	buffer_store_dword v0, off, s[0:3], s32 offset:424 ; 4-byte Folded Spill
	s_and_saveexec_b32 s17, s5
	s_cbranch_execz .LBB397_506
; %bb.501:                              ;   in Loop: Header=BB397_11 Depth=1
	v_mov_b32_e32 v0, 0xffff
	v_mov_b32_e32 v2, 0x7f800001
	s_mov_b32 s23, exec_lo
	v_and_b32_sdwa v0, v0, v8 dst_sel:DWORD dst_unused:UNUSED_PAD src0_sel:DWORD src1_sel:BYTE_1
	buffer_store_dword v2, off, s[0:3], s32 offset:424 ; 4-byte Folded Spill
	v_and_b32_e32 v1, 0x7f, v0
	v_cmpx_ne_u32_e32 0x7f, v1
	s_cbranch_execz .LBB397_505
; %bb.502:                              ;   in Loop: Header=BB397_11 Depth=1
	v_and_b32_e32 v32, 7, v0
	v_mov_b32_e32 v33, v9
	v_lshrrev_b32_e32 v0, 3, v1
	s_mov_b32 s24, exec_lo
	v_cmpx_gt_u32_e32 8, v1
; %bb.503:                              ;   in Loop: Header=BB397_11 Depth=1
	v_ffbh_u32_e32 v0, v32
	v_min_u32_e32 v0, 32, v0
	v_subrev_nc_u32_e32 v1, 28, v0
	v_sub_nc_u32_e32 v0, 29, v0
	v_lshlrev_b64 v[1:2], v1, v[32:33]
	v_and_b32_e32 v32, 7, v1
; %bb.504:                              ;   in Loop: Header=BB397_11 Depth=1
	s_or_b32 exec_lo, exec_lo, s24
	v_lshlrev_b32_e32 v1, 16, v8
	v_lshlrev_b32_e32 v2, 20, v32
	v_lshl_add_u32 v0, v0, 23, 0x3c000000
	v_and_b32_e32 v1, 0x80000000, v1
	v_or3_b32 v0, v2, v1, v0
	buffer_store_dword v0, off, s[0:3], s32 offset:424 ; 4-byte Folded Spill
.LBB397_505:                            ;   in Loop: Header=BB397_11 Depth=1
	s_or_b32 exec_lo, exec_lo, s23
.LBB397_506:                            ;   in Loop: Header=BB397_11 Depth=1
	s_or_b32 exec_lo, exec_lo, s17
.LBB397_507:                            ;   in Loop: Header=BB397_11 Depth=1
	s_or_b32 exec_lo, exec_lo, s6
	v_mov_b32_e32 v0, 0xff
	s_mov_b32 s6, exec_lo
	v_and_b32_sdwa v0, v31, v0 dst_sel:DWORD dst_unused:UNUSED_PAD src0_sel:WORD_1 src1_sel:DWORD
	v_cmpx_ne_u16_e32 0, v0
	s_cbranch_execz .LBB397_515
; %bb.508:                              ;   in Loop: Header=BB397_11 Depth=1
	v_cmp_ne_u16_e64 s5, 0x80, v0
	v_bfrev_b32_e32 v0, 1
	buffer_store_dword v0, off, s[0:3], s32 offset:420 ; 4-byte Folded Spill
	s_and_saveexec_b32 s17, s5
	s_cbranch_execz .LBB397_514
; %bb.509:                              ;   in Loop: Header=BB397_11 Depth=1
	v_bfe_u32 v1, v31, 16, 7
	v_mov_b32_e32 v0, 0x7f800001
	s_mov_b32 s23, exec_lo
	buffer_store_dword v0, off, s[0:3], s32 offset:420 ; 4-byte Folded Spill
	v_cmpx_ne_u32_e32 0x7f, v1
	s_cbranch_execz .LBB397_513
; %bb.510:                              ;   in Loop: Header=BB397_11 Depth=1
	v_mov_b32_e32 v0, 7
	s_mov_b32 s24, exec_lo
	v_and_b32_sdwa v8, v31, v0 dst_sel:DWORD dst_unused:UNUSED_PAD src0_sel:WORD_1 src1_sel:DWORD
	v_mov_b32_e32 v33, v9
	v_lshrrev_b32_e32 v0, 3, v1
	v_mov_b32_e32 v32, v8
	v_cmpx_gt_u32_e32 8, v1
; %bb.511:                              ;   in Loop: Header=BB397_11 Depth=1
	v_ffbh_u32_e32 v0, v8
	v_min_u32_e32 v0, 32, v0
	v_subrev_nc_u32_e32 v1, 28, v0
	v_sub_nc_u32_e32 v0, 29, v0
	v_lshlrev_b64 v[1:2], v1, v[8:9]
	v_and_b32_e32 v32, 7, v1
; %bb.512:                              ;   in Loop: Header=BB397_11 Depth=1
	s_or_b32 exec_lo, exec_lo, s24
	v_mov_b32_e32 v1, 24
	v_lshlrev_b32_e32 v2, 20, v32
	v_lshl_add_u32 v0, v0, 23, 0x3c000000
	v_lshlrev_b32_sdwa v1, v1, v31 dst_sel:DWORD dst_unused:UNUSED_PAD src0_sel:DWORD src1_sel:WORD_1
	v_and_b32_e32 v1, 0x80000000, v1
	v_or3_b32 v0, v2, v1, v0
	buffer_store_dword v0, off, s[0:3], s32 offset:420 ; 4-byte Folded Spill
.LBB397_513:                            ;   in Loop: Header=BB397_11 Depth=1
	s_or_b32 exec_lo, exec_lo, s23
.LBB397_514:                            ;   in Loop: Header=BB397_11 Depth=1
	s_or_b32 exec_lo, exec_lo, s17
.LBB397_515:                            ;   in Loop: Header=BB397_11 Depth=1
	s_or_b32 exec_lo, exec_lo, s6
	v_mov_b32_e32 v0, 0
	s_mov_b32 s6, exec_lo
	buffer_store_dword v0, off, s[0:3], s32 offset:432 ; 4-byte Folded Spill
	v_mov_b32_e32 v0, 0
	buffer_store_dword v0, off, s[0:3], s32 offset:428 ; 4-byte Folded Spill
	v_cmpx_lt_u64_e64 s[8:9], v[30:31]
	s_cbranch_execz .LBB397_523
; %bb.516:                              ;   in Loop: Header=BB397_11 Depth=1
	v_cmp_ne_u32_sdwa s5, v31, v126 src0_sel:BYTE_3 src1_sel:DWORD
	v_bfrev_b32_e32 v0, 1
	buffer_store_dword v0, off, s[0:3], s32 offset:428 ; 4-byte Folded Spill
	s_and_saveexec_b32 s17, s5
	s_cbranch_execz .LBB397_522
; %bb.517:                              ;   in Loop: Header=BB397_11 Depth=1
	v_bfe_u32 v1, v31, 24, 7
	v_mov_b32_e32 v0, 0x7f800001
	s_mov_b32 s23, exec_lo
	buffer_store_dword v0, off, s[0:3], s32 offset:428 ; 4-byte Folded Spill
	v_cmpx_ne_u32_e32 0x7f, v1
	s_cbranch_execz .LBB397_521
; %bb.518:                              ;   in Loop: Header=BB397_11 Depth=1
	v_mov_b32_e32 v0, 7
	s_mov_b32 s24, exec_lo
	v_and_b32_sdwa v8, v31, v0 dst_sel:DWORD dst_unused:UNUSED_PAD src0_sel:BYTE_3 src1_sel:DWORD
	v_mov_b32_e32 v33, v9
	v_lshrrev_b32_e32 v0, 3, v1
	v_mov_b32_e32 v32, v8
	v_cmpx_gt_u32_e32 8, v1
; %bb.519:                              ;   in Loop: Header=BB397_11 Depth=1
	v_ffbh_u32_e32 v0, v8
	v_min_u32_e32 v0, 32, v0
	v_subrev_nc_u32_e32 v1, 28, v0
	v_sub_nc_u32_e32 v0, 29, v0
	v_lshlrev_b64 v[1:2], v1, v[8:9]
	v_and_b32_e32 v32, 7, v1
; %bb.520:                              ;   in Loop: Header=BB397_11 Depth=1
	s_or_b32 exec_lo, exec_lo, s24
	v_mov_b32_e32 v1, 24
	v_lshlrev_b32_e32 v2, 20, v32
	v_lshl_add_u32 v0, v0, 23, 0x3c000000
	v_lshlrev_b32_sdwa v1, v1, v31 dst_sel:DWORD dst_unused:UNUSED_PAD src0_sel:DWORD src1_sel:BYTE_3
	v_and_b32_e32 v1, 0x80000000, v1
	v_or3_b32 v0, v2, v1, v0
	buffer_store_dword v0, off, s[0:3], s32 offset:428 ; 4-byte Folded Spill
.LBB397_521:                            ;   in Loop: Header=BB397_11 Depth=1
	s_or_b32 exec_lo, exec_lo, s23
.LBB397_522:                            ;   in Loop: Header=BB397_11 Depth=1
	s_or_b32 exec_lo, exec_lo, s17
.LBB397_523:                            ;   in Loop: Header=BB397_11 Depth=1
	s_or_b32 exec_lo, exec_lo, s6
	v_add_co_u32 v30, s5, 0x800, v28
	v_add_co_ci_u32_e64 v31, null, 0, v29, s5
	flat_load_dwordx2 v[32:33], v[30:31]
	s_waitcnt vmcnt(0) lgkmcnt(0)
	v_cmp_ne_u16_sdwa s5, v32, v9 src0_sel:BYTE_0 src1_sel:DWORD
	s_and_saveexec_b32 s6, s5
	s_cbranch_execz .LBB397_531
; %bb.524:                              ;   in Loop: Header=BB397_11 Depth=1
	v_cmp_ne_u16_sdwa s5, v32, v126 src0_sel:BYTE_0 src1_sel:DWORD
	v_bfrev_b32_e32 v0, 1
	buffer_store_dword v0, off, s[0:3], s32 offset:432 ; 4-byte Folded Spill
	s_and_saveexec_b32 s17, s5
	s_cbranch_execz .LBB397_530
; %bb.525:                              ;   in Loop: Header=BB397_11 Depth=1
	v_and_b32_e32 v1, 0x7f, v32
	v_mov_b32_e32 v0, 0x7f800001
	s_mov_b32 s23, exec_lo
	buffer_store_dword v0, off, s[0:3], s32 offset:432 ; 4-byte Folded Spill
	v_cmpx_ne_u32_e32 0x7f, v1
	s_cbranch_execz .LBB397_529
; %bb.526:                              ;   in Loop: Header=BB397_11 Depth=1
	v_mov_b32_e32 v35, v33
	v_lshrrev_b32_e32 v0, 3, v1
	v_mov_b32_e32 v34, v32
	s_mov_b32 s24, exec_lo
	v_cmpx_gt_u32_e32 8, v1
; %bb.527:                              ;   in Loop: Header=BB397_11 Depth=1
	v_and_b32_e32 v0, 7, v32
	v_ffbh_u32_e32 v0, v0
	v_min_u32_e32 v0, 32, v0
	v_subrev_nc_u32_e32 v1, 28, v0
	v_sub_nc_u32_e32 v0, 29, v0
	v_lshlrev_b64 v[34:35], v1, v[32:33]
; %bb.528:                              ;   in Loop: Header=BB397_11 Depth=1
	s_or_b32 exec_lo, exec_lo, s24
	v_lshlrev_b32_e32 v1, 20, v34
	v_lshlrev_b32_e32 v2, 24, v32
	v_lshl_add_u32 v0, v0, 23, 0x3c000000
	v_and_b32_e32 v1, 0x700000, v1
	v_and_b32_e32 v2, 0x80000000, v2
	v_or3_b32 v0, v1, v2, v0
	buffer_store_dword v0, off, s[0:3], s32 offset:432 ; 4-byte Folded Spill
.LBB397_529:                            ;   in Loop: Header=BB397_11 Depth=1
	s_or_b32 exec_lo, exec_lo, s23
.LBB397_530:                            ;   in Loop: Header=BB397_11 Depth=1
	s_or_b32 exec_lo, exec_lo, s17
.LBB397_531:                            ;   in Loop: Header=BB397_11 Depth=1
	s_or_b32 exec_lo, exec_lo, s6
	v_mov_b32_e32 v0, 0
	v_cmp_ne_u16_sdwa s5, v32, v9 src0_sel:BYTE_1 src1_sel:DWORD
	buffer_store_dword v0, off, s[0:3], s32 offset:440 ; 4-byte Folded Spill
	v_mov_b32_e32 v0, 0
	buffer_store_dword v0, off, s[0:3], s32 offset:436 ; 4-byte Folded Spill
	s_and_saveexec_b32 s6, s5
	s_cbranch_execz .LBB397_539
; %bb.532:                              ;   in Loop: Header=BB397_11 Depth=1
	v_cmp_ne_u16_sdwa s5, v32, v126 src0_sel:BYTE_1 src1_sel:DWORD
	v_bfrev_b32_e32 v0, 1
	buffer_store_dword v0, off, s[0:3], s32 offset:436 ; 4-byte Folded Spill
	s_and_saveexec_b32 s17, s5
	s_cbranch_execz .LBB397_538
; %bb.533:                              ;   in Loop: Header=BB397_11 Depth=1
	v_mov_b32_e32 v0, 0xffff
	v_mov_b32_e32 v2, 0x7f800001
	s_mov_b32 s23, exec_lo
	v_and_b32_sdwa v0, v0, v32 dst_sel:DWORD dst_unused:UNUSED_PAD src0_sel:DWORD src1_sel:BYTE_1
	buffer_store_dword v2, off, s[0:3], s32 offset:436 ; 4-byte Folded Spill
	v_and_b32_e32 v1, 0x7f, v0
	v_cmpx_ne_u32_e32 0x7f, v1
	s_cbranch_execz .LBB397_537
; %bb.534:                              ;   in Loop: Header=BB397_11 Depth=1
	v_and_b32_e32 v8, 7, v0
	v_mov_b32_e32 v35, v9
	v_lshrrev_b32_e32 v0, 3, v1
	s_mov_b32 s24, exec_lo
	v_mov_b32_e32 v34, v8
	v_cmpx_gt_u32_e32 8, v1
; %bb.535:                              ;   in Loop: Header=BB397_11 Depth=1
	v_ffbh_u32_e32 v0, v8
	v_min_u32_e32 v0, 32, v0
	v_subrev_nc_u32_e32 v1, 28, v0
	v_sub_nc_u32_e32 v0, 29, v0
	v_lshlrev_b64 v[1:2], v1, v[8:9]
	v_and_b32_e32 v34, 7, v1
; %bb.536:                              ;   in Loop: Header=BB397_11 Depth=1
	s_or_b32 exec_lo, exec_lo, s24
	v_lshlrev_b32_e32 v1, 16, v32
	v_lshlrev_b32_e32 v2, 20, v34
	v_lshl_add_u32 v0, v0, 23, 0x3c000000
	v_and_b32_e32 v1, 0x80000000, v1
	v_or3_b32 v0, v2, v1, v0
	buffer_store_dword v0, off, s[0:3], s32 offset:436 ; 4-byte Folded Spill
.LBB397_537:                            ;   in Loop: Header=BB397_11 Depth=1
	s_or_b32 exec_lo, exec_lo, s23
.LBB397_538:                            ;   in Loop: Header=BB397_11 Depth=1
	s_or_b32 exec_lo, exec_lo, s17
.LBB397_539:                            ;   in Loop: Header=BB397_11 Depth=1
	s_or_b32 exec_lo, exec_lo, s6
	v_mov_b32_e32 v0, 0xff
	s_mov_b32 s6, exec_lo
	v_and_b32_sdwa v0, v32, v0 dst_sel:DWORD dst_unused:UNUSED_PAD src0_sel:WORD_1 src1_sel:DWORD
	v_cmpx_ne_u16_e32 0, v0
	s_cbranch_execz .LBB397_547
; %bb.540:                              ;   in Loop: Header=BB397_11 Depth=1
	v_cmp_ne_u16_e64 s5, 0x80, v0
	v_bfrev_b32_e32 v0, 1
	buffer_store_dword v0, off, s[0:3], s32 offset:440 ; 4-byte Folded Spill
	s_and_saveexec_b32 s17, s5
	s_cbranch_execz .LBB397_546
; %bb.541:                              ;   in Loop: Header=BB397_11 Depth=1
	v_bfe_u32 v1, v32, 16, 7
	v_mov_b32_e32 v0, 0x7f800001
	s_mov_b32 s23, exec_lo
	buffer_store_dword v0, off, s[0:3], s32 offset:440 ; 4-byte Folded Spill
	v_cmpx_ne_u32_e32 0x7f, v1
	s_cbranch_execz .LBB397_545
; %bb.542:                              ;   in Loop: Header=BB397_11 Depth=1
	v_mov_b32_e32 v0, 7
	s_mov_b32 s24, exec_lo
	v_and_b32_sdwa v8, v32, v0 dst_sel:DWORD dst_unused:UNUSED_PAD src0_sel:WORD_1 src1_sel:DWORD
	v_mov_b32_e32 v35, v9
	v_lshrrev_b32_e32 v0, 3, v1
	v_mov_b32_e32 v34, v8
	v_cmpx_gt_u32_e32 8, v1
; %bb.543:                              ;   in Loop: Header=BB397_11 Depth=1
	v_ffbh_u32_e32 v0, v8
	v_min_u32_e32 v0, 32, v0
	v_subrev_nc_u32_e32 v1, 28, v0
	v_sub_nc_u32_e32 v0, 29, v0
	v_lshlrev_b64 v[1:2], v1, v[8:9]
	v_and_b32_e32 v34, 7, v1
; %bb.544:                              ;   in Loop: Header=BB397_11 Depth=1
	s_or_b32 exec_lo, exec_lo, s24
	v_mov_b32_e32 v1, 24
	v_lshlrev_b32_e32 v2, 20, v34
	v_lshl_add_u32 v0, v0, 23, 0x3c000000
	v_lshlrev_b32_sdwa v1, v1, v32 dst_sel:DWORD dst_unused:UNUSED_PAD src0_sel:DWORD src1_sel:WORD_1
	v_and_b32_e32 v1, 0x80000000, v1
	v_or3_b32 v0, v2, v1, v0
	buffer_store_dword v0, off, s[0:3], s32 offset:440 ; 4-byte Folded Spill
.LBB397_545:                            ;   in Loop: Header=BB397_11 Depth=1
	s_or_b32 exec_lo, exec_lo, s23
.LBB397_546:                            ;   in Loop: Header=BB397_11 Depth=1
	s_or_b32 exec_lo, exec_lo, s17
.LBB397_547:                            ;   in Loop: Header=BB397_11 Depth=1
	s_or_b32 exec_lo, exec_lo, s6
	v_mov_b32_e32 v0, 0
	s_mov_b32 s6, exec_lo
	buffer_store_dword v0, off, s[0:3], s32 offset:448 ; 4-byte Folded Spill
	v_mov_b32_e32 v0, 0
	buffer_store_dword v0, off, s[0:3], s32 offset:444 ; 4-byte Folded Spill
	v_cmpx_lt_u32_e32 0xffffff, v32
	s_cbranch_execz .LBB397_555
; %bb.548:                              ;   in Loop: Header=BB397_11 Depth=1
	v_cmp_ne_u32_sdwa s5, v32, v126 src0_sel:BYTE_3 src1_sel:DWORD
	v_bfrev_b32_e32 v0, 1
	buffer_store_dword v0, off, s[0:3], s32 offset:444 ; 4-byte Folded Spill
	s_and_saveexec_b32 s17, s5
	s_cbranch_execz .LBB397_554
; %bb.549:                              ;   in Loop: Header=BB397_11 Depth=1
	v_bfe_u32 v1, v32, 24, 7
	v_mov_b32_e32 v0, 0x7f800001
	s_mov_b32 s23, exec_lo
	buffer_store_dword v0, off, s[0:3], s32 offset:444 ; 4-byte Folded Spill
	v_cmpx_ne_u32_e32 0x7f, v1
	s_cbranch_execz .LBB397_553
; %bb.550:                              ;   in Loop: Header=BB397_11 Depth=1
	v_mov_b32_e32 v0, 7
	s_mov_b32 s24, exec_lo
	v_and_b32_sdwa v8, v32, v0 dst_sel:DWORD dst_unused:UNUSED_PAD src0_sel:BYTE_3 src1_sel:DWORD
	v_mov_b32_e32 v35, v9
	v_lshrrev_b32_e32 v0, 3, v1
	v_mov_b32_e32 v34, v8
	v_cmpx_gt_u32_e32 8, v1
; %bb.551:                              ;   in Loop: Header=BB397_11 Depth=1
	v_ffbh_u32_e32 v0, v8
	v_min_u32_e32 v0, 32, v0
	v_subrev_nc_u32_e32 v1, 28, v0
	v_sub_nc_u32_e32 v0, 29, v0
	v_lshlrev_b64 v[1:2], v1, v[8:9]
	v_and_b32_e32 v34, 7, v1
; %bb.552:                              ;   in Loop: Header=BB397_11 Depth=1
	s_or_b32 exec_lo, exec_lo, s24
	v_mov_b32_e32 v1, 24
	v_lshlrev_b32_e32 v2, 20, v34
	v_lshl_add_u32 v0, v0, 23, 0x3c000000
	v_lshlrev_b32_sdwa v1, v1, v32 dst_sel:DWORD dst_unused:UNUSED_PAD src0_sel:DWORD src1_sel:BYTE_3
	v_and_b32_e32 v1, 0x80000000, v1
	v_or3_b32 v0, v2, v1, v0
	buffer_store_dword v0, off, s[0:3], s32 offset:444 ; 4-byte Folded Spill
.LBB397_553:                            ;   in Loop: Header=BB397_11 Depth=1
	s_or_b32 exec_lo, exec_lo, s23
.LBB397_554:                            ;   in Loop: Header=BB397_11 Depth=1
	s_or_b32 exec_lo, exec_lo, s17
.LBB397_555:                            ;   in Loop: Header=BB397_11 Depth=1
	s_or_b32 exec_lo, exec_lo, s6
	v_mov_b32_e32 v8, v33
	v_cmp_ne_u16_sdwa s5, v33, v9 src0_sel:BYTE_0 src1_sel:DWORD
	s_and_saveexec_b32 s6, s5
	s_cbranch_execz .LBB397_563
; %bb.556:                              ;   in Loop: Header=BB397_11 Depth=1
	v_cmp_ne_u16_sdwa s5, v33, v126 src0_sel:BYTE_0 src1_sel:DWORD
	v_bfrev_b32_e32 v0, 1
	buffer_store_dword v0, off, s[0:3], s32 offset:448 ; 4-byte Folded Spill
	s_and_saveexec_b32 s17, s5
	s_cbranch_execz .LBB397_562
; %bb.557:                              ;   in Loop: Header=BB397_11 Depth=1
	v_and_b32_e32 v1, 0x7f, v33
	v_mov_b32_e32 v0, 0x7f800001
	s_mov_b32 s23, exec_lo
	buffer_store_dword v0, off, s[0:3], s32 offset:448 ; 4-byte Folded Spill
	v_cmpx_ne_u32_e32 0x7f, v1
	s_cbranch_execz .LBB397_561
; %bb.558:                              ;   in Loop: Header=BB397_11 Depth=1
	v_mov_b32_e32 v35, v9
	v_lshrrev_b32_e32 v0, 3, v1
	v_mov_b32_e32 v34, v8
	s_mov_b32 s24, exec_lo
	v_cmpx_gt_u32_e32 8, v1
; %bb.559:                              ;   in Loop: Header=BB397_11 Depth=1
	v_and_b32_e32 v0, 7, v33
	v_ffbh_u32_e32 v0, v0
	v_min_u32_e32 v0, 32, v0
	v_subrev_nc_u32_e32 v1, 28, v0
	v_sub_nc_u32_e32 v0, 29, v0
	v_lshlrev_b64 v[34:35], v1, v[8:9]
; %bb.560:                              ;   in Loop: Header=BB397_11 Depth=1
	s_or_b32 exec_lo, exec_lo, s24
	v_lshlrev_b32_e32 v1, 20, v34
	v_lshlrev_b32_e32 v2, 24, v8
	v_lshl_add_u32 v0, v0, 23, 0x3c000000
	v_and_b32_e32 v1, 0x700000, v1
	v_and_b32_e32 v2, 0x80000000, v2
	v_or3_b32 v0, v1, v2, v0
	buffer_store_dword v0, off, s[0:3], s32 offset:448 ; 4-byte Folded Spill
.LBB397_561:                            ;   in Loop: Header=BB397_11 Depth=1
	s_or_b32 exec_lo, exec_lo, s23
.LBB397_562:                            ;   in Loop: Header=BB397_11 Depth=1
	s_or_b32 exec_lo, exec_lo, s17
.LBB397_563:                            ;   in Loop: Header=BB397_11 Depth=1
	s_or_b32 exec_lo, exec_lo, s6
	v_mov_b32_e32 v0, 0
	v_cmp_ne_u16_sdwa s5, v8, v9 src0_sel:BYTE_1 src1_sel:DWORD
	buffer_store_dword v0, off, s[0:3], s32 offset:452 ; 4-byte Folded Spill
	v_mov_b32_e32 v0, 0
	buffer_store_dword v0, off, s[0:3], s32 offset:456 ; 4-byte Folded Spill
	s_and_saveexec_b32 s6, s5
	s_cbranch_execz .LBB397_571
; %bb.564:                              ;   in Loop: Header=BB397_11 Depth=1
	v_cmp_ne_u16_sdwa s5, v8, v126 src0_sel:BYTE_1 src1_sel:DWORD
	v_bfrev_b32_e32 v0, 1
	buffer_store_dword v0, off, s[0:3], s32 offset:456 ; 4-byte Folded Spill
	s_and_saveexec_b32 s17, s5
	s_cbranch_execz .LBB397_570
; %bb.565:                              ;   in Loop: Header=BB397_11 Depth=1
	v_mov_b32_e32 v0, 0xffff
	v_mov_b32_e32 v2, 0x7f800001
	s_mov_b32 s23, exec_lo
	v_and_b32_sdwa v0, v0, v8 dst_sel:DWORD dst_unused:UNUSED_PAD src0_sel:DWORD src1_sel:BYTE_1
	buffer_store_dword v2, off, s[0:3], s32 offset:456 ; 4-byte Folded Spill
	v_and_b32_e32 v1, 0x7f, v0
	v_cmpx_ne_u32_e32 0x7f, v1
	s_cbranch_execz .LBB397_569
; %bb.566:                              ;   in Loop: Header=BB397_11 Depth=1
	v_and_b32_e32 v34, 7, v0
	v_mov_b32_e32 v35, v9
	v_lshrrev_b32_e32 v0, 3, v1
	s_mov_b32 s24, exec_lo
	v_cmpx_gt_u32_e32 8, v1
; %bb.567:                              ;   in Loop: Header=BB397_11 Depth=1
	v_ffbh_u32_e32 v0, v34
	v_min_u32_e32 v0, 32, v0
	v_subrev_nc_u32_e32 v1, 28, v0
	v_sub_nc_u32_e32 v0, 29, v0
	v_lshlrev_b64 v[1:2], v1, v[34:35]
	v_and_b32_e32 v34, 7, v1
; %bb.568:                              ;   in Loop: Header=BB397_11 Depth=1
	s_or_b32 exec_lo, exec_lo, s24
	v_lshlrev_b32_e32 v1, 16, v8
	v_lshlrev_b32_e32 v2, 20, v34
	v_lshl_add_u32 v0, v0, 23, 0x3c000000
	v_and_b32_e32 v1, 0x80000000, v1
	v_or3_b32 v0, v2, v1, v0
	buffer_store_dword v0, off, s[0:3], s32 offset:456 ; 4-byte Folded Spill
.LBB397_569:                            ;   in Loop: Header=BB397_11 Depth=1
	s_or_b32 exec_lo, exec_lo, s23
.LBB397_570:                            ;   in Loop: Header=BB397_11 Depth=1
	s_or_b32 exec_lo, exec_lo, s17
.LBB397_571:                            ;   in Loop: Header=BB397_11 Depth=1
	s_or_b32 exec_lo, exec_lo, s6
	v_mov_b32_e32 v0, 0xff
	s_mov_b32 s6, exec_lo
	v_and_b32_sdwa v0, v33, v0 dst_sel:DWORD dst_unused:UNUSED_PAD src0_sel:WORD_1 src1_sel:DWORD
	v_cmpx_ne_u16_e32 0, v0
	s_cbranch_execz .LBB397_579
; %bb.572:                              ;   in Loop: Header=BB397_11 Depth=1
	v_cmp_ne_u16_e64 s5, 0x80, v0
	v_bfrev_b32_e32 v0, 1
	buffer_store_dword v0, off, s[0:3], s32 offset:452 ; 4-byte Folded Spill
	s_and_saveexec_b32 s17, s5
	s_cbranch_execz .LBB397_578
; %bb.573:                              ;   in Loop: Header=BB397_11 Depth=1
	v_bfe_u32 v1, v33, 16, 7
	v_mov_b32_e32 v0, 0x7f800001
	s_mov_b32 s23, exec_lo
	buffer_store_dword v0, off, s[0:3], s32 offset:452 ; 4-byte Folded Spill
	v_cmpx_ne_u32_e32 0x7f, v1
	s_cbranch_execz .LBB397_577
; %bb.574:                              ;   in Loop: Header=BB397_11 Depth=1
	v_mov_b32_e32 v0, 7
	s_mov_b32 s24, exec_lo
	v_and_b32_sdwa v8, v33, v0 dst_sel:DWORD dst_unused:UNUSED_PAD src0_sel:WORD_1 src1_sel:DWORD
	v_mov_b32_e32 v35, v9
	v_lshrrev_b32_e32 v0, 3, v1
	v_mov_b32_e32 v34, v8
	v_cmpx_gt_u32_e32 8, v1
; %bb.575:                              ;   in Loop: Header=BB397_11 Depth=1
	v_ffbh_u32_e32 v0, v8
	v_min_u32_e32 v0, 32, v0
	v_subrev_nc_u32_e32 v1, 28, v0
	v_sub_nc_u32_e32 v0, 29, v0
	v_lshlrev_b64 v[1:2], v1, v[8:9]
	v_and_b32_e32 v34, 7, v1
; %bb.576:                              ;   in Loop: Header=BB397_11 Depth=1
	s_or_b32 exec_lo, exec_lo, s24
	v_mov_b32_e32 v1, 24
	v_lshlrev_b32_e32 v2, 20, v34
	v_lshl_add_u32 v0, v0, 23, 0x3c000000
	v_lshlrev_b32_sdwa v1, v1, v33 dst_sel:DWORD dst_unused:UNUSED_PAD src0_sel:DWORD src1_sel:WORD_1
	v_and_b32_e32 v1, 0x80000000, v1
	v_or3_b32 v0, v2, v1, v0
	buffer_store_dword v0, off, s[0:3], s32 offset:452 ; 4-byte Folded Spill
.LBB397_577:                            ;   in Loop: Header=BB397_11 Depth=1
	s_or_b32 exec_lo, exec_lo, s23
.LBB397_578:                            ;   in Loop: Header=BB397_11 Depth=1
	s_or_b32 exec_lo, exec_lo, s17
.LBB397_579:                            ;   in Loop: Header=BB397_11 Depth=1
	s_or_b32 exec_lo, exec_lo, s6
	v_mov_b32_e32 v0, 0
	s_mov_b32 s6, exec_lo
	buffer_store_dword v0, off, s[0:3], s32 offset:464 ; 4-byte Folded Spill
	v_mov_b32_e32 v0, 0
	buffer_store_dword v0, off, s[0:3], s32 offset:460 ; 4-byte Folded Spill
	v_cmpx_lt_u64_e64 s[8:9], v[32:33]
	s_cbranch_execz .LBB397_587
; %bb.580:                              ;   in Loop: Header=BB397_11 Depth=1
	v_cmp_ne_u32_sdwa s5, v33, v126 src0_sel:BYTE_3 src1_sel:DWORD
	v_bfrev_b32_e32 v0, 1
	buffer_store_dword v0, off, s[0:3], s32 offset:460 ; 4-byte Folded Spill
	s_and_saveexec_b32 s17, s5
	s_cbranch_execz .LBB397_586
; %bb.581:                              ;   in Loop: Header=BB397_11 Depth=1
	v_bfe_u32 v1, v33, 24, 7
	v_mov_b32_e32 v0, 0x7f800001
	s_mov_b32 s23, exec_lo
	buffer_store_dword v0, off, s[0:3], s32 offset:460 ; 4-byte Folded Spill
	v_cmpx_ne_u32_e32 0x7f, v1
	s_cbranch_execz .LBB397_585
; %bb.582:                              ;   in Loop: Header=BB397_11 Depth=1
	v_mov_b32_e32 v0, 7
	s_mov_b32 s24, exec_lo
	v_and_b32_sdwa v8, v33, v0 dst_sel:DWORD dst_unused:UNUSED_PAD src0_sel:BYTE_3 src1_sel:DWORD
	v_mov_b32_e32 v35, v9
	v_lshrrev_b32_e32 v0, 3, v1
	v_mov_b32_e32 v34, v8
	v_cmpx_gt_u32_e32 8, v1
; %bb.583:                              ;   in Loop: Header=BB397_11 Depth=1
	v_ffbh_u32_e32 v0, v8
	v_min_u32_e32 v0, 32, v0
	v_subrev_nc_u32_e32 v1, 28, v0
	v_sub_nc_u32_e32 v0, 29, v0
	v_lshlrev_b64 v[1:2], v1, v[8:9]
	v_and_b32_e32 v34, 7, v1
; %bb.584:                              ;   in Loop: Header=BB397_11 Depth=1
	s_or_b32 exec_lo, exec_lo, s24
	v_mov_b32_e32 v1, 24
	v_lshlrev_b32_e32 v2, 20, v34
	v_lshl_add_u32 v0, v0, 23, 0x3c000000
	v_lshlrev_b32_sdwa v1, v1, v33 dst_sel:DWORD dst_unused:UNUSED_PAD src0_sel:DWORD src1_sel:BYTE_3
	v_and_b32_e32 v1, 0x80000000, v1
	v_or3_b32 v0, v2, v1, v0
	buffer_store_dword v0, off, s[0:3], s32 offset:460 ; 4-byte Folded Spill
.LBB397_585:                            ;   in Loop: Header=BB397_11 Depth=1
	s_or_b32 exec_lo, exec_lo, s23
.LBB397_586:                            ;   in Loop: Header=BB397_11 Depth=1
	s_or_b32 exec_lo, exec_lo, s17
.LBB397_587:                            ;   in Loop: Header=BB397_11 Depth=1
	s_or_b32 exec_lo, exec_lo, s6
	flat_load_dwordx2 v[32:33], v[30:31] offset:8
	s_waitcnt vmcnt(0) lgkmcnt(0)
	v_cmp_ne_u16_sdwa s5, v32, v9 src0_sel:BYTE_0 src1_sel:DWORD
	s_and_saveexec_b32 s6, s5
	s_cbranch_execz .LBB397_595
; %bb.588:                              ;   in Loop: Header=BB397_11 Depth=1
	v_cmp_ne_u16_sdwa s5, v32, v126 src0_sel:BYTE_0 src1_sel:DWORD
	v_bfrev_b32_e32 v0, 1
	buffer_store_dword v0, off, s[0:3], s32 offset:464 ; 4-byte Folded Spill
	s_and_saveexec_b32 s17, s5
	s_cbranch_execz .LBB397_594
; %bb.589:                              ;   in Loop: Header=BB397_11 Depth=1
	v_and_b32_e32 v1, 0x7f, v32
	v_mov_b32_e32 v0, 0x7f800001
	s_mov_b32 s23, exec_lo
	buffer_store_dword v0, off, s[0:3], s32 offset:464 ; 4-byte Folded Spill
	v_cmpx_ne_u32_e32 0x7f, v1
	s_cbranch_execz .LBB397_593
; %bb.590:                              ;   in Loop: Header=BB397_11 Depth=1
	v_mov_b32_e32 v35, v33
	v_lshrrev_b32_e32 v0, 3, v1
	v_mov_b32_e32 v34, v32
	s_mov_b32 s24, exec_lo
	v_cmpx_gt_u32_e32 8, v1
; %bb.591:                              ;   in Loop: Header=BB397_11 Depth=1
	v_and_b32_e32 v0, 7, v32
	v_ffbh_u32_e32 v0, v0
	v_min_u32_e32 v0, 32, v0
	v_subrev_nc_u32_e32 v1, 28, v0
	v_sub_nc_u32_e32 v0, 29, v0
	v_lshlrev_b64 v[34:35], v1, v[32:33]
; %bb.592:                              ;   in Loop: Header=BB397_11 Depth=1
	s_or_b32 exec_lo, exec_lo, s24
	v_lshlrev_b32_e32 v1, 20, v34
	v_lshlrev_b32_e32 v2, 24, v32
	v_lshl_add_u32 v0, v0, 23, 0x3c000000
	v_and_b32_e32 v1, 0x700000, v1
	v_and_b32_e32 v2, 0x80000000, v2
	v_or3_b32 v0, v1, v2, v0
	buffer_store_dword v0, off, s[0:3], s32 offset:464 ; 4-byte Folded Spill
.LBB397_593:                            ;   in Loop: Header=BB397_11 Depth=1
	s_or_b32 exec_lo, exec_lo, s23
.LBB397_594:                            ;   in Loop: Header=BB397_11 Depth=1
	s_or_b32 exec_lo, exec_lo, s17
.LBB397_595:                            ;   in Loop: Header=BB397_11 Depth=1
	s_or_b32 exec_lo, exec_lo, s6
	v_mov_b32_e32 v0, 0
	v_cmp_ne_u16_sdwa s5, v32, v9 src0_sel:BYTE_1 src1_sel:DWORD
	buffer_store_dword v0, off, s[0:3], s32 offset:472 ; 4-byte Folded Spill
	v_mov_b32_e32 v0, 0
	buffer_store_dword v0, off, s[0:3], s32 offset:468 ; 4-byte Folded Spill
	s_and_saveexec_b32 s6, s5
	s_cbranch_execz .LBB397_603
; %bb.596:                              ;   in Loop: Header=BB397_11 Depth=1
	v_cmp_ne_u16_sdwa s5, v32, v126 src0_sel:BYTE_1 src1_sel:DWORD
	v_bfrev_b32_e32 v0, 1
	buffer_store_dword v0, off, s[0:3], s32 offset:468 ; 4-byte Folded Spill
	s_and_saveexec_b32 s17, s5
	s_cbranch_execz .LBB397_602
; %bb.597:                              ;   in Loop: Header=BB397_11 Depth=1
	v_mov_b32_e32 v0, 0xffff
	v_mov_b32_e32 v2, 0x7f800001
	s_mov_b32 s23, exec_lo
	v_and_b32_sdwa v0, v0, v32 dst_sel:DWORD dst_unused:UNUSED_PAD src0_sel:DWORD src1_sel:BYTE_1
	buffer_store_dword v2, off, s[0:3], s32 offset:468 ; 4-byte Folded Spill
	v_and_b32_e32 v1, 0x7f, v0
	v_cmpx_ne_u32_e32 0x7f, v1
	s_cbranch_execz .LBB397_601
; %bb.598:                              ;   in Loop: Header=BB397_11 Depth=1
	v_and_b32_e32 v8, 7, v0
	v_mov_b32_e32 v35, v9
	v_lshrrev_b32_e32 v0, 3, v1
	s_mov_b32 s24, exec_lo
	v_mov_b32_e32 v34, v8
	v_cmpx_gt_u32_e32 8, v1
; %bb.599:                              ;   in Loop: Header=BB397_11 Depth=1
	v_ffbh_u32_e32 v0, v8
	v_min_u32_e32 v0, 32, v0
	v_subrev_nc_u32_e32 v1, 28, v0
	v_sub_nc_u32_e32 v0, 29, v0
	v_lshlrev_b64 v[1:2], v1, v[8:9]
	v_and_b32_e32 v34, 7, v1
; %bb.600:                              ;   in Loop: Header=BB397_11 Depth=1
	s_or_b32 exec_lo, exec_lo, s24
	v_lshlrev_b32_e32 v1, 16, v32
	v_lshlrev_b32_e32 v2, 20, v34
	v_lshl_add_u32 v0, v0, 23, 0x3c000000
	v_and_b32_e32 v1, 0x80000000, v1
	v_or3_b32 v0, v2, v1, v0
	buffer_store_dword v0, off, s[0:3], s32 offset:468 ; 4-byte Folded Spill
.LBB397_601:                            ;   in Loop: Header=BB397_11 Depth=1
	s_or_b32 exec_lo, exec_lo, s23
.LBB397_602:                            ;   in Loop: Header=BB397_11 Depth=1
	s_or_b32 exec_lo, exec_lo, s17
.LBB397_603:                            ;   in Loop: Header=BB397_11 Depth=1
	s_or_b32 exec_lo, exec_lo, s6
	v_mov_b32_e32 v0, 0xff
	s_mov_b32 s6, exec_lo
	v_and_b32_sdwa v0, v32, v0 dst_sel:DWORD dst_unused:UNUSED_PAD src0_sel:WORD_1 src1_sel:DWORD
	v_cmpx_ne_u16_e32 0, v0
	s_cbranch_execz .LBB397_611
; %bb.604:                              ;   in Loop: Header=BB397_11 Depth=1
	v_cmp_ne_u16_e64 s5, 0x80, v0
	v_bfrev_b32_e32 v0, 1
	buffer_store_dword v0, off, s[0:3], s32 offset:472 ; 4-byte Folded Spill
	s_and_saveexec_b32 s17, s5
	s_cbranch_execz .LBB397_610
; %bb.605:                              ;   in Loop: Header=BB397_11 Depth=1
	v_bfe_u32 v1, v32, 16, 7
	v_mov_b32_e32 v0, 0x7f800001
	s_mov_b32 s23, exec_lo
	buffer_store_dword v0, off, s[0:3], s32 offset:472 ; 4-byte Folded Spill
	v_cmpx_ne_u32_e32 0x7f, v1
	s_cbranch_execz .LBB397_609
; %bb.606:                              ;   in Loop: Header=BB397_11 Depth=1
	v_mov_b32_e32 v0, 7
	s_mov_b32 s24, exec_lo
	v_and_b32_sdwa v8, v32, v0 dst_sel:DWORD dst_unused:UNUSED_PAD src0_sel:WORD_1 src1_sel:DWORD
	v_mov_b32_e32 v35, v9
	v_lshrrev_b32_e32 v0, 3, v1
	v_mov_b32_e32 v34, v8
	v_cmpx_gt_u32_e32 8, v1
; %bb.607:                              ;   in Loop: Header=BB397_11 Depth=1
	v_ffbh_u32_e32 v0, v8
	v_min_u32_e32 v0, 32, v0
	v_subrev_nc_u32_e32 v1, 28, v0
	v_sub_nc_u32_e32 v0, 29, v0
	v_lshlrev_b64 v[1:2], v1, v[8:9]
	v_and_b32_e32 v34, 7, v1
; %bb.608:                              ;   in Loop: Header=BB397_11 Depth=1
	s_or_b32 exec_lo, exec_lo, s24
	v_mov_b32_e32 v1, 24
	v_lshlrev_b32_e32 v2, 20, v34
	v_lshl_add_u32 v0, v0, 23, 0x3c000000
	v_lshlrev_b32_sdwa v1, v1, v32 dst_sel:DWORD dst_unused:UNUSED_PAD src0_sel:DWORD src1_sel:WORD_1
	v_and_b32_e32 v1, 0x80000000, v1
	v_or3_b32 v0, v2, v1, v0
	buffer_store_dword v0, off, s[0:3], s32 offset:472 ; 4-byte Folded Spill
.LBB397_609:                            ;   in Loop: Header=BB397_11 Depth=1
	s_or_b32 exec_lo, exec_lo, s23
.LBB397_610:                            ;   in Loop: Header=BB397_11 Depth=1
	s_or_b32 exec_lo, exec_lo, s17
.LBB397_611:                            ;   in Loop: Header=BB397_11 Depth=1
	s_or_b32 exec_lo, exec_lo, s6
	v_mov_b32_e32 v0, 0
	s_mov_b32 s6, exec_lo
	buffer_store_dword v0, off, s[0:3], s32 offset:480 ; 4-byte Folded Spill
	v_mov_b32_e32 v0, 0
	buffer_store_dword v0, off, s[0:3], s32 offset:476 ; 4-byte Folded Spill
	v_cmpx_lt_u32_e32 0xffffff, v32
	s_cbranch_execz .LBB397_619
; %bb.612:                              ;   in Loop: Header=BB397_11 Depth=1
	v_cmp_ne_u32_sdwa s5, v32, v126 src0_sel:BYTE_3 src1_sel:DWORD
	v_bfrev_b32_e32 v0, 1
	buffer_store_dword v0, off, s[0:3], s32 offset:476 ; 4-byte Folded Spill
	s_and_saveexec_b32 s17, s5
	s_cbranch_execz .LBB397_618
; %bb.613:                              ;   in Loop: Header=BB397_11 Depth=1
	v_bfe_u32 v1, v32, 24, 7
	v_mov_b32_e32 v0, 0x7f800001
	s_mov_b32 s23, exec_lo
	buffer_store_dword v0, off, s[0:3], s32 offset:476 ; 4-byte Folded Spill
	v_cmpx_ne_u32_e32 0x7f, v1
	s_cbranch_execz .LBB397_617
; %bb.614:                              ;   in Loop: Header=BB397_11 Depth=1
	v_mov_b32_e32 v0, 7
	s_mov_b32 s24, exec_lo
	v_and_b32_sdwa v8, v32, v0 dst_sel:DWORD dst_unused:UNUSED_PAD src0_sel:BYTE_3 src1_sel:DWORD
	v_mov_b32_e32 v35, v9
	v_lshrrev_b32_e32 v0, 3, v1
	v_mov_b32_e32 v34, v8
	v_cmpx_gt_u32_e32 8, v1
; %bb.615:                              ;   in Loop: Header=BB397_11 Depth=1
	v_ffbh_u32_e32 v0, v8
	v_min_u32_e32 v0, 32, v0
	v_subrev_nc_u32_e32 v1, 28, v0
	v_sub_nc_u32_e32 v0, 29, v0
	v_lshlrev_b64 v[1:2], v1, v[8:9]
	v_and_b32_e32 v34, 7, v1
; %bb.616:                              ;   in Loop: Header=BB397_11 Depth=1
	s_or_b32 exec_lo, exec_lo, s24
	v_mov_b32_e32 v1, 24
	v_lshlrev_b32_e32 v2, 20, v34
	v_lshl_add_u32 v0, v0, 23, 0x3c000000
	v_lshlrev_b32_sdwa v1, v1, v32 dst_sel:DWORD dst_unused:UNUSED_PAD src0_sel:DWORD src1_sel:BYTE_3
	v_and_b32_e32 v1, 0x80000000, v1
	v_or3_b32 v0, v2, v1, v0
	buffer_store_dword v0, off, s[0:3], s32 offset:476 ; 4-byte Folded Spill
.LBB397_617:                            ;   in Loop: Header=BB397_11 Depth=1
	s_or_b32 exec_lo, exec_lo, s23
.LBB397_618:                            ;   in Loop: Header=BB397_11 Depth=1
	s_or_b32 exec_lo, exec_lo, s17
.LBB397_619:                            ;   in Loop: Header=BB397_11 Depth=1
	s_or_b32 exec_lo, exec_lo, s6
	v_mov_b32_e32 v8, v33
	v_cmp_ne_u16_sdwa s5, v33, v9 src0_sel:BYTE_0 src1_sel:DWORD
	s_and_saveexec_b32 s6, s5
	s_cbranch_execz .LBB397_627
; %bb.620:                              ;   in Loop: Header=BB397_11 Depth=1
	v_cmp_ne_u16_sdwa s5, v33, v126 src0_sel:BYTE_0 src1_sel:DWORD
	v_bfrev_b32_e32 v0, 1
	buffer_store_dword v0, off, s[0:3], s32 offset:480 ; 4-byte Folded Spill
	s_and_saveexec_b32 s17, s5
	s_cbranch_execz .LBB397_626
; %bb.621:                              ;   in Loop: Header=BB397_11 Depth=1
	v_and_b32_e32 v1, 0x7f, v33
	v_mov_b32_e32 v0, 0x7f800001
	s_mov_b32 s23, exec_lo
	buffer_store_dword v0, off, s[0:3], s32 offset:480 ; 4-byte Folded Spill
	v_cmpx_ne_u32_e32 0x7f, v1
	s_cbranch_execz .LBB397_625
; %bb.622:                              ;   in Loop: Header=BB397_11 Depth=1
	v_mov_b32_e32 v35, v9
	v_lshrrev_b32_e32 v0, 3, v1
	v_mov_b32_e32 v34, v8
	s_mov_b32 s24, exec_lo
	v_cmpx_gt_u32_e32 8, v1
; %bb.623:                              ;   in Loop: Header=BB397_11 Depth=1
	v_and_b32_e32 v0, 7, v33
	v_ffbh_u32_e32 v0, v0
	v_min_u32_e32 v0, 32, v0
	v_subrev_nc_u32_e32 v1, 28, v0
	v_sub_nc_u32_e32 v0, 29, v0
	v_lshlrev_b64 v[34:35], v1, v[8:9]
; %bb.624:                              ;   in Loop: Header=BB397_11 Depth=1
	s_or_b32 exec_lo, exec_lo, s24
	v_lshlrev_b32_e32 v1, 20, v34
	v_lshlrev_b32_e32 v2, 24, v8
	v_lshl_add_u32 v0, v0, 23, 0x3c000000
	v_and_b32_e32 v1, 0x700000, v1
	v_and_b32_e32 v2, 0x80000000, v2
	v_or3_b32 v0, v1, v2, v0
	buffer_store_dword v0, off, s[0:3], s32 offset:480 ; 4-byte Folded Spill
.LBB397_625:                            ;   in Loop: Header=BB397_11 Depth=1
	s_or_b32 exec_lo, exec_lo, s23
.LBB397_626:                            ;   in Loop: Header=BB397_11 Depth=1
	s_or_b32 exec_lo, exec_lo, s17
.LBB397_627:                            ;   in Loop: Header=BB397_11 Depth=1
	s_or_b32 exec_lo, exec_lo, s6
	v_mov_b32_e32 v0, 0
	v_cmp_ne_u16_sdwa s5, v8, v9 src0_sel:BYTE_1 src1_sel:DWORD
	buffer_store_dword v0, off, s[0:3], s32 offset:484 ; 4-byte Folded Spill
	v_mov_b32_e32 v0, 0
	buffer_store_dword v0, off, s[0:3], s32 offset:488 ; 4-byte Folded Spill
	s_and_saveexec_b32 s6, s5
	s_cbranch_execz .LBB397_635
; %bb.628:                              ;   in Loop: Header=BB397_11 Depth=1
	v_cmp_ne_u16_sdwa s5, v8, v126 src0_sel:BYTE_1 src1_sel:DWORD
	v_bfrev_b32_e32 v0, 1
	buffer_store_dword v0, off, s[0:3], s32 offset:488 ; 4-byte Folded Spill
	s_and_saveexec_b32 s17, s5
	s_cbranch_execz .LBB397_634
; %bb.629:                              ;   in Loop: Header=BB397_11 Depth=1
	v_mov_b32_e32 v0, 0xffff
	v_mov_b32_e32 v2, 0x7f800001
	s_mov_b32 s23, exec_lo
	v_and_b32_sdwa v0, v0, v8 dst_sel:DWORD dst_unused:UNUSED_PAD src0_sel:DWORD src1_sel:BYTE_1
	buffer_store_dword v2, off, s[0:3], s32 offset:488 ; 4-byte Folded Spill
	v_and_b32_e32 v1, 0x7f, v0
	v_cmpx_ne_u32_e32 0x7f, v1
	s_cbranch_execz .LBB397_633
; %bb.630:                              ;   in Loop: Header=BB397_11 Depth=1
	v_and_b32_e32 v34, 7, v0
	v_mov_b32_e32 v35, v9
	v_lshrrev_b32_e32 v0, 3, v1
	s_mov_b32 s24, exec_lo
	v_cmpx_gt_u32_e32 8, v1
; %bb.631:                              ;   in Loop: Header=BB397_11 Depth=1
	v_ffbh_u32_e32 v0, v34
	v_min_u32_e32 v0, 32, v0
	v_subrev_nc_u32_e32 v1, 28, v0
	v_sub_nc_u32_e32 v0, 29, v0
	v_lshlrev_b64 v[1:2], v1, v[34:35]
	v_and_b32_e32 v34, 7, v1
; %bb.632:                              ;   in Loop: Header=BB397_11 Depth=1
	s_or_b32 exec_lo, exec_lo, s24
	v_lshlrev_b32_e32 v1, 16, v8
	v_lshlrev_b32_e32 v2, 20, v34
	v_lshl_add_u32 v0, v0, 23, 0x3c000000
	v_and_b32_e32 v1, 0x80000000, v1
	v_or3_b32 v0, v2, v1, v0
	buffer_store_dword v0, off, s[0:3], s32 offset:488 ; 4-byte Folded Spill
.LBB397_633:                            ;   in Loop: Header=BB397_11 Depth=1
	s_or_b32 exec_lo, exec_lo, s23
.LBB397_634:                            ;   in Loop: Header=BB397_11 Depth=1
	s_or_b32 exec_lo, exec_lo, s17
.LBB397_635:                            ;   in Loop: Header=BB397_11 Depth=1
	s_or_b32 exec_lo, exec_lo, s6
	v_mov_b32_e32 v0, 0xff
	s_mov_b32 s6, exec_lo
	v_and_b32_sdwa v0, v33, v0 dst_sel:DWORD dst_unused:UNUSED_PAD src0_sel:WORD_1 src1_sel:DWORD
	v_cmpx_ne_u16_e32 0, v0
	s_cbranch_execz .LBB397_643
; %bb.636:                              ;   in Loop: Header=BB397_11 Depth=1
	v_cmp_ne_u16_e64 s5, 0x80, v0
	v_bfrev_b32_e32 v0, 1
	buffer_store_dword v0, off, s[0:3], s32 offset:484 ; 4-byte Folded Spill
	s_and_saveexec_b32 s17, s5
	s_cbranch_execz .LBB397_642
; %bb.637:                              ;   in Loop: Header=BB397_11 Depth=1
	v_bfe_u32 v1, v33, 16, 7
	v_mov_b32_e32 v0, 0x7f800001
	s_mov_b32 s23, exec_lo
	buffer_store_dword v0, off, s[0:3], s32 offset:484 ; 4-byte Folded Spill
	v_cmpx_ne_u32_e32 0x7f, v1
	s_cbranch_execz .LBB397_641
; %bb.638:                              ;   in Loop: Header=BB397_11 Depth=1
	v_mov_b32_e32 v0, 7
	s_mov_b32 s24, exec_lo
	v_and_b32_sdwa v8, v33, v0 dst_sel:DWORD dst_unused:UNUSED_PAD src0_sel:WORD_1 src1_sel:DWORD
	v_mov_b32_e32 v35, v9
	v_lshrrev_b32_e32 v0, 3, v1
	v_mov_b32_e32 v34, v8
	v_cmpx_gt_u32_e32 8, v1
; %bb.639:                              ;   in Loop: Header=BB397_11 Depth=1
	v_ffbh_u32_e32 v0, v8
	v_min_u32_e32 v0, 32, v0
	v_subrev_nc_u32_e32 v1, 28, v0
	v_sub_nc_u32_e32 v0, 29, v0
	v_lshlrev_b64 v[1:2], v1, v[8:9]
	v_and_b32_e32 v34, 7, v1
; %bb.640:                              ;   in Loop: Header=BB397_11 Depth=1
	s_or_b32 exec_lo, exec_lo, s24
	v_mov_b32_e32 v1, 24
	v_lshlrev_b32_e32 v2, 20, v34
	v_lshl_add_u32 v0, v0, 23, 0x3c000000
	v_lshlrev_b32_sdwa v1, v1, v33 dst_sel:DWORD dst_unused:UNUSED_PAD src0_sel:DWORD src1_sel:WORD_1
	v_and_b32_e32 v1, 0x80000000, v1
	v_or3_b32 v0, v2, v1, v0
	buffer_store_dword v0, off, s[0:3], s32 offset:484 ; 4-byte Folded Spill
.LBB397_641:                            ;   in Loop: Header=BB397_11 Depth=1
	s_or_b32 exec_lo, exec_lo, s23
.LBB397_642:                            ;   in Loop: Header=BB397_11 Depth=1
	s_or_b32 exec_lo, exec_lo, s17
.LBB397_643:                            ;   in Loop: Header=BB397_11 Depth=1
	s_or_b32 exec_lo, exec_lo, s6
	v_mov_b32_e32 v0, 0
	s_mov_b32 s6, exec_lo
	buffer_store_dword v0, off, s[0:3], s32 offset:496 ; 4-byte Folded Spill
	v_mov_b32_e32 v0, 0
	buffer_store_dword v0, off, s[0:3], s32 offset:492 ; 4-byte Folded Spill
	v_cmpx_lt_u64_e64 s[8:9], v[32:33]
	s_cbranch_execz .LBB397_651
; %bb.644:                              ;   in Loop: Header=BB397_11 Depth=1
	v_cmp_ne_u32_sdwa s5, v33, v126 src0_sel:BYTE_3 src1_sel:DWORD
	v_bfrev_b32_e32 v0, 1
	buffer_store_dword v0, off, s[0:3], s32 offset:492 ; 4-byte Folded Spill
	s_and_saveexec_b32 s17, s5
	s_cbranch_execz .LBB397_650
; %bb.645:                              ;   in Loop: Header=BB397_11 Depth=1
	v_bfe_u32 v1, v33, 24, 7
	v_mov_b32_e32 v0, 0x7f800001
	s_mov_b32 s23, exec_lo
	buffer_store_dword v0, off, s[0:3], s32 offset:492 ; 4-byte Folded Spill
	v_cmpx_ne_u32_e32 0x7f, v1
	s_cbranch_execz .LBB397_649
; %bb.646:                              ;   in Loop: Header=BB397_11 Depth=1
	v_mov_b32_e32 v0, 7
	s_mov_b32 s24, exec_lo
	v_and_b32_sdwa v8, v33, v0 dst_sel:DWORD dst_unused:UNUSED_PAD src0_sel:BYTE_3 src1_sel:DWORD
	v_mov_b32_e32 v35, v9
	v_lshrrev_b32_e32 v0, 3, v1
	v_mov_b32_e32 v34, v8
	v_cmpx_gt_u32_e32 8, v1
; %bb.647:                              ;   in Loop: Header=BB397_11 Depth=1
	v_ffbh_u32_e32 v0, v8
	v_min_u32_e32 v0, 32, v0
	v_subrev_nc_u32_e32 v1, 28, v0
	v_sub_nc_u32_e32 v0, 29, v0
	v_lshlrev_b64 v[1:2], v1, v[8:9]
	v_and_b32_e32 v34, 7, v1
; %bb.648:                              ;   in Loop: Header=BB397_11 Depth=1
	s_or_b32 exec_lo, exec_lo, s24
	v_mov_b32_e32 v1, 24
	v_lshlrev_b32_e32 v2, 20, v34
	v_lshl_add_u32 v0, v0, 23, 0x3c000000
	v_lshlrev_b32_sdwa v1, v1, v33 dst_sel:DWORD dst_unused:UNUSED_PAD src0_sel:DWORD src1_sel:BYTE_3
	v_and_b32_e32 v1, 0x80000000, v1
	v_or3_b32 v0, v2, v1, v0
	buffer_store_dword v0, off, s[0:3], s32 offset:492 ; 4-byte Folded Spill
.LBB397_649:                            ;   in Loop: Header=BB397_11 Depth=1
	s_or_b32 exec_lo, exec_lo, s23
.LBB397_650:                            ;   in Loop: Header=BB397_11 Depth=1
	s_or_b32 exec_lo, exec_lo, s17
.LBB397_651:                            ;   in Loop: Header=BB397_11 Depth=1
	s_or_b32 exec_lo, exec_lo, s6
	flat_load_dwordx2 v[32:33], v[30:31] offset:512
	s_waitcnt vmcnt(0) lgkmcnt(0)
	v_cmp_ne_u16_sdwa s5, v32, v9 src0_sel:BYTE_0 src1_sel:DWORD
	s_and_saveexec_b32 s6, s5
	s_cbranch_execz .LBB397_659
; %bb.652:                              ;   in Loop: Header=BB397_11 Depth=1
	v_cmp_ne_u16_sdwa s5, v32, v126 src0_sel:BYTE_0 src1_sel:DWORD
	v_bfrev_b32_e32 v0, 1
	buffer_store_dword v0, off, s[0:3], s32 offset:496 ; 4-byte Folded Spill
	s_and_saveexec_b32 s17, s5
	s_cbranch_execz .LBB397_658
; %bb.653:                              ;   in Loop: Header=BB397_11 Depth=1
	v_and_b32_e32 v1, 0x7f, v32
	v_mov_b32_e32 v0, 0x7f800001
	s_mov_b32 s23, exec_lo
	buffer_store_dword v0, off, s[0:3], s32 offset:496 ; 4-byte Folded Spill
	v_cmpx_ne_u32_e32 0x7f, v1
	s_cbranch_execz .LBB397_657
; %bb.654:                              ;   in Loop: Header=BB397_11 Depth=1
	v_mov_b32_e32 v35, v33
	v_lshrrev_b32_e32 v0, 3, v1
	v_mov_b32_e32 v34, v32
	s_mov_b32 s24, exec_lo
	v_cmpx_gt_u32_e32 8, v1
; %bb.655:                              ;   in Loop: Header=BB397_11 Depth=1
	v_and_b32_e32 v0, 7, v32
	v_ffbh_u32_e32 v0, v0
	v_min_u32_e32 v0, 32, v0
	v_subrev_nc_u32_e32 v1, 28, v0
	v_sub_nc_u32_e32 v0, 29, v0
	v_lshlrev_b64 v[34:35], v1, v[32:33]
; %bb.656:                              ;   in Loop: Header=BB397_11 Depth=1
	s_or_b32 exec_lo, exec_lo, s24
	v_lshlrev_b32_e32 v1, 20, v34
	v_lshlrev_b32_e32 v2, 24, v32
	v_lshl_add_u32 v0, v0, 23, 0x3c000000
	v_and_b32_e32 v1, 0x700000, v1
	v_and_b32_e32 v2, 0x80000000, v2
	v_or3_b32 v0, v1, v2, v0
	buffer_store_dword v0, off, s[0:3], s32 offset:496 ; 4-byte Folded Spill
.LBB397_657:                            ;   in Loop: Header=BB397_11 Depth=1
	s_or_b32 exec_lo, exec_lo, s23
.LBB397_658:                            ;   in Loop: Header=BB397_11 Depth=1
	s_or_b32 exec_lo, exec_lo, s17
.LBB397_659:                            ;   in Loop: Header=BB397_11 Depth=1
	s_or_b32 exec_lo, exec_lo, s6
	v_cmp_ne_u16_sdwa s5, v32, v9 src0_sel:BYTE_1 src1_sel:DWORD
	v_mov_b32_e32 v92, 0
	v_mov_b32_e32 v0, 0
	buffer_store_dword v0, off, s[0:3], s32 offset:500 ; 4-byte Folded Spill
	s_and_saveexec_b32 s6, s5
	s_cbranch_execz .LBB397_667
; %bb.660:                              ;   in Loop: Header=BB397_11 Depth=1
	v_cmp_ne_u16_sdwa s5, v32, v126 src0_sel:BYTE_1 src1_sel:DWORD
	v_bfrev_b32_e32 v0, 1
	buffer_store_dword v0, off, s[0:3], s32 offset:500 ; 4-byte Folded Spill
	s_and_saveexec_b32 s17, s5
	s_cbranch_execz .LBB397_666
; %bb.661:                              ;   in Loop: Header=BB397_11 Depth=1
	v_mov_b32_e32 v0, 0xffff
	v_mov_b32_e32 v2, 0x7f800001
	s_mov_b32 s23, exec_lo
	v_and_b32_sdwa v0, v0, v32 dst_sel:DWORD dst_unused:UNUSED_PAD src0_sel:DWORD src1_sel:BYTE_1
	buffer_store_dword v2, off, s[0:3], s32 offset:500 ; 4-byte Folded Spill
	v_and_b32_e32 v1, 0x7f, v0
	v_cmpx_ne_u32_e32 0x7f, v1
	s_cbranch_execz .LBB397_665
; %bb.662:                              ;   in Loop: Header=BB397_11 Depth=1
	v_and_b32_e32 v8, 7, v0
	v_mov_b32_e32 v35, v9
	v_lshrrev_b32_e32 v0, 3, v1
	s_mov_b32 s24, exec_lo
	v_mov_b32_e32 v34, v8
	v_cmpx_gt_u32_e32 8, v1
; %bb.663:                              ;   in Loop: Header=BB397_11 Depth=1
	v_ffbh_u32_e32 v0, v8
	v_min_u32_e32 v0, 32, v0
	v_subrev_nc_u32_e32 v1, 28, v0
	v_sub_nc_u32_e32 v0, 29, v0
	v_lshlrev_b64 v[1:2], v1, v[8:9]
	v_and_b32_e32 v34, 7, v1
; %bb.664:                              ;   in Loop: Header=BB397_11 Depth=1
	s_or_b32 exec_lo, exec_lo, s24
	v_lshlrev_b32_e32 v1, 16, v32
	v_lshlrev_b32_e32 v2, 20, v34
	v_lshl_add_u32 v0, v0, 23, 0x3c000000
	v_and_b32_e32 v1, 0x80000000, v1
	v_or3_b32 v0, v2, v1, v0
	buffer_store_dword v0, off, s[0:3], s32 offset:500 ; 4-byte Folded Spill
.LBB397_665:                            ;   in Loop: Header=BB397_11 Depth=1
	s_or_b32 exec_lo, exec_lo, s23
.LBB397_666:                            ;   in Loop: Header=BB397_11 Depth=1
	s_or_b32 exec_lo, exec_lo, s17
.LBB397_667:                            ;   in Loop: Header=BB397_11 Depth=1
	s_or_b32 exec_lo, exec_lo, s6
	v_mov_b32_e32 v0, 0xff
	s_mov_b32 s6, exec_lo
	v_and_b32_sdwa v0, v32, v0 dst_sel:DWORD dst_unused:UNUSED_PAD src0_sel:WORD_1 src1_sel:DWORD
	v_cmpx_ne_u16_e32 0, v0
	s_cbranch_execz .LBB397_675
; %bb.668:                              ;   in Loop: Header=BB397_11 Depth=1
	v_bfrev_b32_e32 v92, 1
	s_mov_b32 s17, exec_lo
	v_cmpx_ne_u16_e32 0x80, v0
	s_cbranch_execz .LBB397_674
; %bb.669:                              ;   in Loop: Header=BB397_11 Depth=1
	v_bfe_u32 v1, v32, 16, 7
	v_mov_b32_e32 v92, 0x7f800001
	s_mov_b32 s23, exec_lo
	v_cmpx_ne_u32_e32 0x7f, v1
	s_cbranch_execz .LBB397_673
; %bb.670:                              ;   in Loop: Header=BB397_11 Depth=1
	v_mov_b32_e32 v0, 7
	s_mov_b32 s24, exec_lo
	v_and_b32_sdwa v8, v32, v0 dst_sel:DWORD dst_unused:UNUSED_PAD src0_sel:WORD_1 src1_sel:DWORD
	v_mov_b32_e32 v35, v9
	v_lshrrev_b32_e32 v0, 3, v1
	v_mov_b32_e32 v34, v8
	v_cmpx_gt_u32_e32 8, v1
; %bb.671:                              ;   in Loop: Header=BB397_11 Depth=1
	v_ffbh_u32_e32 v0, v8
	v_min_u32_e32 v0, 32, v0
	v_subrev_nc_u32_e32 v1, 28, v0
	v_sub_nc_u32_e32 v0, 29, v0
	v_lshlrev_b64 v[1:2], v1, v[8:9]
	v_and_b32_e32 v34, 7, v1
; %bb.672:                              ;   in Loop: Header=BB397_11 Depth=1
	s_or_b32 exec_lo, exec_lo, s24
	v_mov_b32_e32 v1, 24
	v_lshlrev_b32_e32 v2, 20, v34
	v_lshl_add_u32 v0, v0, 23, 0x3c000000
	v_lshlrev_b32_sdwa v1, v1, v32 dst_sel:DWORD dst_unused:UNUSED_PAD src0_sel:DWORD src1_sel:WORD_1
	v_and_b32_e32 v1, 0x80000000, v1
	v_or3_b32 v92, v2, v1, v0
.LBB397_673:                            ;   in Loop: Header=BB397_11 Depth=1
	s_or_b32 exec_lo, exec_lo, s23
.LBB397_674:                            ;   in Loop: Header=BB397_11 Depth=1
	s_or_b32 exec_lo, exec_lo, s17
.LBB397_675:                            ;   in Loop: Header=BB397_11 Depth=1
	s_or_b32 exec_lo, exec_lo, s6
	v_mov_b32_e32 v94, 0
	v_mov_b32_e32 v93, 0
	s_mov_b32 s6, exec_lo
	v_cmpx_lt_u32_e32 0xffffff, v32
	s_cbranch_execz .LBB397_683
; %bb.676:                              ;   in Loop: Header=BB397_11 Depth=1
	v_cmp_ne_u32_sdwa s5, v32, v126 src0_sel:BYTE_3 src1_sel:DWORD
	v_bfrev_b32_e32 v93, 1
	s_and_saveexec_b32 s17, s5
	s_cbranch_execz .LBB397_682
; %bb.677:                              ;   in Loop: Header=BB397_11 Depth=1
	v_bfe_u32 v1, v32, 24, 7
	v_mov_b32_e32 v93, 0x7f800001
	s_mov_b32 s23, exec_lo
	v_cmpx_ne_u32_e32 0x7f, v1
	s_cbranch_execz .LBB397_681
; %bb.678:                              ;   in Loop: Header=BB397_11 Depth=1
	v_mov_b32_e32 v0, 7
	s_mov_b32 s24, exec_lo
	v_and_b32_sdwa v8, v32, v0 dst_sel:DWORD dst_unused:UNUSED_PAD src0_sel:BYTE_3 src1_sel:DWORD
	v_mov_b32_e32 v35, v9
	v_lshrrev_b32_e32 v0, 3, v1
	v_mov_b32_e32 v34, v8
	v_cmpx_gt_u32_e32 8, v1
; %bb.679:                              ;   in Loop: Header=BB397_11 Depth=1
	v_ffbh_u32_e32 v0, v8
	v_min_u32_e32 v0, 32, v0
	v_subrev_nc_u32_e32 v1, 28, v0
	v_sub_nc_u32_e32 v0, 29, v0
	v_lshlrev_b64 v[1:2], v1, v[8:9]
	v_and_b32_e32 v34, 7, v1
; %bb.680:                              ;   in Loop: Header=BB397_11 Depth=1
	s_or_b32 exec_lo, exec_lo, s24
	v_mov_b32_e32 v1, 24
	v_lshlrev_b32_e32 v2, 20, v34
	v_lshl_add_u32 v0, v0, 23, 0x3c000000
	v_lshlrev_b32_sdwa v1, v1, v32 dst_sel:DWORD dst_unused:UNUSED_PAD src0_sel:DWORD src1_sel:BYTE_3
	v_and_b32_e32 v1, 0x80000000, v1
	v_or3_b32 v93, v2, v1, v0
.LBB397_681:                            ;   in Loop: Header=BB397_11 Depth=1
	s_or_b32 exec_lo, exec_lo, s23
.LBB397_682:                            ;   in Loop: Header=BB397_11 Depth=1
	s_or_b32 exec_lo, exec_lo, s17
.LBB397_683:                            ;   in Loop: Header=BB397_11 Depth=1
	s_or_b32 exec_lo, exec_lo, s6
	v_mov_b32_e32 v8, v33
	v_cmp_ne_u16_sdwa s5, v33, v9 src0_sel:BYTE_0 src1_sel:DWORD
	s_and_saveexec_b32 s6, s5
	s_cbranch_execz .LBB397_691
; %bb.684:                              ;   in Loop: Header=BB397_11 Depth=1
	v_cmp_ne_u16_sdwa s5, v33, v126 src0_sel:BYTE_0 src1_sel:DWORD
	v_bfrev_b32_e32 v94, 1
	s_and_saveexec_b32 s17, s5
	s_cbranch_execz .LBB397_690
; %bb.685:                              ;   in Loop: Header=BB397_11 Depth=1
	v_and_b32_e32 v1, 0x7f, v33
	v_mov_b32_e32 v94, 0x7f800001
	s_mov_b32 s23, exec_lo
	v_cmpx_ne_u32_e32 0x7f, v1
	s_cbranch_execz .LBB397_689
; %bb.686:                              ;   in Loop: Header=BB397_11 Depth=1
	v_mov_b32_e32 v35, v9
	v_lshrrev_b32_e32 v0, 3, v1
	v_mov_b32_e32 v34, v8
	s_mov_b32 s24, exec_lo
	v_cmpx_gt_u32_e32 8, v1
; %bb.687:                              ;   in Loop: Header=BB397_11 Depth=1
	v_and_b32_e32 v0, 7, v33
	v_ffbh_u32_e32 v0, v0
	v_min_u32_e32 v0, 32, v0
	v_subrev_nc_u32_e32 v1, 28, v0
	v_sub_nc_u32_e32 v0, 29, v0
	v_lshlrev_b64 v[34:35], v1, v[8:9]
; %bb.688:                              ;   in Loop: Header=BB397_11 Depth=1
	s_or_b32 exec_lo, exec_lo, s24
	v_lshlrev_b32_e32 v1, 20, v34
	v_lshlrev_b32_e32 v2, 24, v8
	v_lshl_add_u32 v0, v0, 23, 0x3c000000
	v_and_b32_e32 v1, 0x700000, v1
	v_and_b32_e32 v2, 0x80000000, v2
	v_or3_b32 v94, v1, v2, v0
.LBB397_689:                            ;   in Loop: Header=BB397_11 Depth=1
	s_or_b32 exec_lo, exec_lo, s23
.LBB397_690:                            ;   in Loop: Header=BB397_11 Depth=1
	s_or_b32 exec_lo, exec_lo, s17
.LBB397_691:                            ;   in Loop: Header=BB397_11 Depth=1
	s_or_b32 exec_lo, exec_lo, s6
	v_cmp_ne_u16_sdwa s5, v8, v9 src0_sel:BYTE_1 src1_sel:DWORD
	v_mov_b32_e32 v95, 0
	v_mov_b32_e32 v104, 0
	s_and_saveexec_b32 s6, s5
	s_cbranch_execz .LBB397_699
; %bb.692:                              ;   in Loop: Header=BB397_11 Depth=1
	v_cmp_ne_u16_sdwa s5, v8, v126 src0_sel:BYTE_1 src1_sel:DWORD
	v_bfrev_b32_e32 v104, 1
	s_and_saveexec_b32 s17, s5
	s_cbranch_execz .LBB397_698
; %bb.693:                              ;   in Loop: Header=BB397_11 Depth=1
	v_mov_b32_e32 v0, 0xffff
	v_mov_b32_e32 v104, 0x7f800001
	s_mov_b32 s23, exec_lo
	v_and_b32_sdwa v0, v0, v8 dst_sel:DWORD dst_unused:UNUSED_PAD src0_sel:DWORD src1_sel:BYTE_1
	v_and_b32_e32 v1, 0x7f, v0
	v_cmpx_ne_u32_e32 0x7f, v1
	s_cbranch_execz .LBB397_697
; %bb.694:                              ;   in Loop: Header=BB397_11 Depth=1
	v_and_b32_e32 v34, 7, v0
	v_mov_b32_e32 v35, v9
	v_lshrrev_b32_e32 v0, 3, v1
	s_mov_b32 s24, exec_lo
	v_cmpx_gt_u32_e32 8, v1
; %bb.695:                              ;   in Loop: Header=BB397_11 Depth=1
	v_ffbh_u32_e32 v0, v34
	v_min_u32_e32 v0, 32, v0
	v_subrev_nc_u32_e32 v1, 28, v0
	v_sub_nc_u32_e32 v0, 29, v0
	v_lshlrev_b64 v[1:2], v1, v[34:35]
	v_and_b32_e32 v34, 7, v1
; %bb.696:                              ;   in Loop: Header=BB397_11 Depth=1
	s_or_b32 exec_lo, exec_lo, s24
	v_lshlrev_b32_e32 v1, 16, v8
	v_lshlrev_b32_e32 v2, 20, v34
	v_lshl_add_u32 v0, v0, 23, 0x3c000000
	v_and_b32_e32 v1, 0x80000000, v1
	v_or3_b32 v104, v2, v1, v0
.LBB397_697:                            ;   in Loop: Header=BB397_11 Depth=1
	s_or_b32 exec_lo, exec_lo, s23
.LBB397_698:                            ;   in Loop: Header=BB397_11 Depth=1
	s_or_b32 exec_lo, exec_lo, s17
.LBB397_699:                            ;   in Loop: Header=BB397_11 Depth=1
	s_or_b32 exec_lo, exec_lo, s6
	v_mov_b32_e32 v0, 0xff
	s_mov_b32 s6, exec_lo
	v_and_b32_sdwa v0, v33, v0 dst_sel:DWORD dst_unused:UNUSED_PAD src0_sel:WORD_1 src1_sel:DWORD
	v_cmpx_ne_u16_e32 0, v0
	s_cbranch_execz .LBB397_707
; %bb.700:                              ;   in Loop: Header=BB397_11 Depth=1
	v_bfrev_b32_e32 v95, 1
	s_mov_b32 s17, exec_lo
	v_cmpx_ne_u16_e32 0x80, v0
	s_cbranch_execz .LBB397_706
; %bb.701:                              ;   in Loop: Header=BB397_11 Depth=1
	v_bfe_u32 v1, v33, 16, 7
	v_mov_b32_e32 v95, 0x7f800001
	s_mov_b32 s23, exec_lo
	v_cmpx_ne_u32_e32 0x7f, v1
	s_cbranch_execz .LBB397_705
; %bb.702:                              ;   in Loop: Header=BB397_11 Depth=1
	v_mov_b32_e32 v0, 7
	s_mov_b32 s24, exec_lo
	v_and_b32_sdwa v8, v33, v0 dst_sel:DWORD dst_unused:UNUSED_PAD src0_sel:WORD_1 src1_sel:DWORD
	v_mov_b32_e32 v35, v9
	v_lshrrev_b32_e32 v0, 3, v1
	v_mov_b32_e32 v34, v8
	v_cmpx_gt_u32_e32 8, v1
; %bb.703:                              ;   in Loop: Header=BB397_11 Depth=1
	v_ffbh_u32_e32 v0, v8
	v_min_u32_e32 v0, 32, v0
	v_subrev_nc_u32_e32 v1, 28, v0
	v_sub_nc_u32_e32 v0, 29, v0
	v_lshlrev_b64 v[1:2], v1, v[8:9]
	v_and_b32_e32 v34, 7, v1
; %bb.704:                              ;   in Loop: Header=BB397_11 Depth=1
	s_or_b32 exec_lo, exec_lo, s24
	v_mov_b32_e32 v1, 24
	v_lshlrev_b32_e32 v2, 20, v34
	v_lshl_add_u32 v0, v0, 23, 0x3c000000
	v_lshlrev_b32_sdwa v1, v1, v33 dst_sel:DWORD dst_unused:UNUSED_PAD src0_sel:DWORD src1_sel:WORD_1
	v_and_b32_e32 v1, 0x80000000, v1
	v_or3_b32 v95, v2, v1, v0
.LBB397_705:                            ;   in Loop: Header=BB397_11 Depth=1
	s_or_b32 exec_lo, exec_lo, s23
.LBB397_706:                            ;   in Loop: Header=BB397_11 Depth=1
	s_or_b32 exec_lo, exec_lo, s17
.LBB397_707:                            ;   in Loop: Header=BB397_11 Depth=1
	s_or_b32 exec_lo, exec_lo, s6
	v_mov_b32_e32 v72, 0
	v_mov_b32_e32 v105, 0
	s_mov_b32 s6, exec_lo
	v_cmpx_lt_u64_e64 s[8:9], v[32:33]
	s_cbranch_execz .LBB397_715
; %bb.708:                              ;   in Loop: Header=BB397_11 Depth=1
	v_cmp_ne_u32_sdwa s5, v33, v126 src0_sel:BYTE_3 src1_sel:DWORD
	v_bfrev_b32_e32 v105, 1
	s_and_saveexec_b32 s17, s5
	s_cbranch_execz .LBB397_714
; %bb.709:                              ;   in Loop: Header=BB397_11 Depth=1
	v_bfe_u32 v1, v33, 24, 7
	v_mov_b32_e32 v105, 0x7f800001
	s_mov_b32 s23, exec_lo
	v_cmpx_ne_u32_e32 0x7f, v1
	s_cbranch_execz .LBB397_713
; %bb.710:                              ;   in Loop: Header=BB397_11 Depth=1
	v_mov_b32_e32 v0, 7
	s_mov_b32 s24, exec_lo
	v_and_b32_sdwa v8, v33, v0 dst_sel:DWORD dst_unused:UNUSED_PAD src0_sel:BYTE_3 src1_sel:DWORD
	v_mov_b32_e32 v35, v9
	v_lshrrev_b32_e32 v0, 3, v1
	v_mov_b32_e32 v34, v8
	v_cmpx_gt_u32_e32 8, v1
; %bb.711:                              ;   in Loop: Header=BB397_11 Depth=1
	v_ffbh_u32_e32 v0, v8
	v_min_u32_e32 v0, 32, v0
	v_subrev_nc_u32_e32 v1, 28, v0
	v_sub_nc_u32_e32 v0, 29, v0
	v_lshlrev_b64 v[1:2], v1, v[8:9]
	v_and_b32_e32 v34, 7, v1
; %bb.712:                              ;   in Loop: Header=BB397_11 Depth=1
	s_or_b32 exec_lo, exec_lo, s24
	v_mov_b32_e32 v1, 24
	v_lshlrev_b32_e32 v2, 20, v34
	v_lshl_add_u32 v0, v0, 23, 0x3c000000
	v_lshlrev_b32_sdwa v1, v1, v33 dst_sel:DWORD dst_unused:UNUSED_PAD src0_sel:DWORD src1_sel:BYTE_3
	v_and_b32_e32 v1, 0x80000000, v1
	v_or3_b32 v105, v2, v1, v0
.LBB397_713:                            ;   in Loop: Header=BB397_11 Depth=1
	s_or_b32 exec_lo, exec_lo, s23
.LBB397_714:                            ;   in Loop: Header=BB397_11 Depth=1
	s_or_b32 exec_lo, exec_lo, s17
.LBB397_715:                            ;   in Loop: Header=BB397_11 Depth=1
	s_or_b32 exec_lo, exec_lo, s6
	flat_load_dwordx2 v[32:33], v[30:31] offset:520
	s_waitcnt vmcnt(0) lgkmcnt(0)
	v_cmp_ne_u16_sdwa s5, v32, v9 src0_sel:BYTE_0 src1_sel:DWORD
	s_and_saveexec_b32 s6, s5
	s_cbranch_execz .LBB397_723
; %bb.716:                              ;   in Loop: Header=BB397_11 Depth=1
	v_cmp_ne_u16_sdwa s5, v32, v126 src0_sel:BYTE_0 src1_sel:DWORD
	v_bfrev_b32_e32 v72, 1
	s_and_saveexec_b32 s17, s5
	s_cbranch_execz .LBB397_722
; %bb.717:                              ;   in Loop: Header=BB397_11 Depth=1
	v_and_b32_e32 v1, 0x7f, v32
	v_mov_b32_e32 v72, 0x7f800001
	s_mov_b32 s23, exec_lo
	v_cmpx_ne_u32_e32 0x7f, v1
	s_cbranch_execz .LBB397_721
; %bb.718:                              ;   in Loop: Header=BB397_11 Depth=1
	v_mov_b32_e32 v35, v33
	v_lshrrev_b32_e32 v0, 3, v1
	v_mov_b32_e32 v34, v32
	s_mov_b32 s24, exec_lo
	v_cmpx_gt_u32_e32 8, v1
; %bb.719:                              ;   in Loop: Header=BB397_11 Depth=1
	v_and_b32_e32 v0, 7, v32
	v_ffbh_u32_e32 v0, v0
	v_min_u32_e32 v0, 32, v0
	v_subrev_nc_u32_e32 v1, 28, v0
	v_sub_nc_u32_e32 v0, 29, v0
	v_lshlrev_b64 v[34:35], v1, v[32:33]
; %bb.720:                              ;   in Loop: Header=BB397_11 Depth=1
	s_or_b32 exec_lo, exec_lo, s24
	v_lshlrev_b32_e32 v1, 20, v34
	v_lshlrev_b32_e32 v2, 24, v32
	v_lshl_add_u32 v0, v0, 23, 0x3c000000
	v_and_b32_e32 v1, 0x700000, v1
	v_and_b32_e32 v2, 0x80000000, v2
	v_or3_b32 v72, v1, v2, v0
.LBB397_721:                            ;   in Loop: Header=BB397_11 Depth=1
	s_or_b32 exec_lo, exec_lo, s23
.LBB397_722:                            ;   in Loop: Header=BB397_11 Depth=1
	s_or_b32 exec_lo, exec_lo, s17
.LBB397_723:                            ;   in Loop: Header=BB397_11 Depth=1
	s_or_b32 exec_lo, exec_lo, s6
	v_cmp_ne_u16_sdwa s5, v32, v9 src0_sel:BYTE_1 src1_sel:DWORD
	v_mov_b32_e32 v18, 0
	v_mov_b32_e32 v73, 0
	s_and_saveexec_b32 s6, s5
	s_cbranch_execz .LBB397_731
; %bb.724:                              ;   in Loop: Header=BB397_11 Depth=1
	v_cmp_ne_u16_sdwa s5, v32, v126 src0_sel:BYTE_1 src1_sel:DWORD
	v_bfrev_b32_e32 v73, 1
	s_and_saveexec_b32 s17, s5
	s_cbranch_execz .LBB397_730
; %bb.725:                              ;   in Loop: Header=BB397_11 Depth=1
	v_mov_b32_e32 v0, 0xffff
	v_mov_b32_e32 v73, 0x7f800001
	s_mov_b32 s23, exec_lo
	v_and_b32_sdwa v0, v0, v32 dst_sel:DWORD dst_unused:UNUSED_PAD src0_sel:DWORD src1_sel:BYTE_1
	v_and_b32_e32 v1, 0x7f, v0
	v_cmpx_ne_u32_e32 0x7f, v1
	s_cbranch_execz .LBB397_729
; %bb.726:                              ;   in Loop: Header=BB397_11 Depth=1
	v_and_b32_e32 v8, 7, v0
	v_mov_b32_e32 v35, v9
	v_lshrrev_b32_e32 v0, 3, v1
	s_mov_b32 s24, exec_lo
	v_mov_b32_e32 v34, v8
	v_cmpx_gt_u32_e32 8, v1
; %bb.727:                              ;   in Loop: Header=BB397_11 Depth=1
	v_ffbh_u32_e32 v0, v8
	v_min_u32_e32 v0, 32, v0
	v_subrev_nc_u32_e32 v1, 28, v0
	v_sub_nc_u32_e32 v0, 29, v0
	v_lshlrev_b64 v[1:2], v1, v[8:9]
	v_and_b32_e32 v34, 7, v1
; %bb.728:                              ;   in Loop: Header=BB397_11 Depth=1
	s_or_b32 exec_lo, exec_lo, s24
	v_lshlrev_b32_e32 v1, 16, v32
	v_lshlrev_b32_e32 v2, 20, v34
	v_lshl_add_u32 v0, v0, 23, 0x3c000000
	v_and_b32_e32 v1, 0x80000000, v1
	v_or3_b32 v73, v2, v1, v0
.LBB397_729:                            ;   in Loop: Header=BB397_11 Depth=1
	s_or_b32 exec_lo, exec_lo, s23
.LBB397_730:                            ;   in Loop: Header=BB397_11 Depth=1
	s_or_b32 exec_lo, exec_lo, s17
.LBB397_731:                            ;   in Loop: Header=BB397_11 Depth=1
	s_or_b32 exec_lo, exec_lo, s6
	v_mov_b32_e32 v0, 0xff
	s_mov_b32 s6, exec_lo
	v_and_b32_sdwa v0, v32, v0 dst_sel:DWORD dst_unused:UNUSED_PAD src0_sel:WORD_1 src1_sel:DWORD
	v_cmpx_ne_u16_e32 0, v0
	s_cbranch_execz .LBB397_739
; %bb.732:                              ;   in Loop: Header=BB397_11 Depth=1
	v_bfrev_b32_e32 v18, 1
	s_mov_b32 s17, exec_lo
	v_cmpx_ne_u16_e32 0x80, v0
	s_cbranch_execz .LBB397_738
; %bb.733:                              ;   in Loop: Header=BB397_11 Depth=1
	v_bfe_u32 v1, v32, 16, 7
	v_mov_b32_e32 v18, 0x7f800001
	s_mov_b32 s23, exec_lo
	v_cmpx_ne_u32_e32 0x7f, v1
	s_cbranch_execz .LBB397_737
; %bb.734:                              ;   in Loop: Header=BB397_11 Depth=1
	v_mov_b32_e32 v0, 7
	s_mov_b32 s24, exec_lo
	v_and_b32_sdwa v8, v32, v0 dst_sel:DWORD dst_unused:UNUSED_PAD src0_sel:WORD_1 src1_sel:DWORD
	v_mov_b32_e32 v35, v9
	v_lshrrev_b32_e32 v0, 3, v1
	v_mov_b32_e32 v34, v8
	v_cmpx_gt_u32_e32 8, v1
; %bb.735:                              ;   in Loop: Header=BB397_11 Depth=1
	v_ffbh_u32_e32 v0, v8
	v_min_u32_e32 v0, 32, v0
	v_subrev_nc_u32_e32 v1, 28, v0
	v_sub_nc_u32_e32 v0, 29, v0
	v_lshlrev_b64 v[1:2], v1, v[8:9]
	v_and_b32_e32 v34, 7, v1
; %bb.736:                              ;   in Loop: Header=BB397_11 Depth=1
	s_or_b32 exec_lo, exec_lo, s24
	v_mov_b32_e32 v1, 24
	v_lshlrev_b32_e32 v2, 20, v34
	v_lshl_add_u32 v0, v0, 23, 0x3c000000
	v_lshlrev_b32_sdwa v1, v1, v32 dst_sel:DWORD dst_unused:UNUSED_PAD src0_sel:DWORD src1_sel:WORD_1
	v_and_b32_e32 v1, 0x80000000, v1
	v_or3_b32 v18, v2, v1, v0
.LBB397_737:                            ;   in Loop: Header=BB397_11 Depth=1
	s_or_b32 exec_lo, exec_lo, s23
.LBB397_738:                            ;   in Loop: Header=BB397_11 Depth=1
	s_or_b32 exec_lo, exec_lo, s17
.LBB397_739:                            ;   in Loop: Header=BB397_11 Depth=1
	s_or_b32 exec_lo, exec_lo, s6
	v_mov_b32_e32 v62, 0
	v_mov_b32_e32 v19, 0
	s_mov_b32 s6, exec_lo
	v_cmpx_lt_u32_e32 0xffffff, v32
	s_cbranch_execz .LBB397_747
; %bb.740:                              ;   in Loop: Header=BB397_11 Depth=1
	v_cmp_ne_u32_sdwa s5, v32, v126 src0_sel:BYTE_3 src1_sel:DWORD
	v_bfrev_b32_e32 v19, 1
	s_and_saveexec_b32 s17, s5
	s_cbranch_execz .LBB397_746
; %bb.741:                              ;   in Loop: Header=BB397_11 Depth=1
	v_bfe_u32 v1, v32, 24, 7
	v_mov_b32_e32 v19, 0x7f800001
	s_mov_b32 s23, exec_lo
	v_cmpx_ne_u32_e32 0x7f, v1
	s_cbranch_execz .LBB397_745
; %bb.742:                              ;   in Loop: Header=BB397_11 Depth=1
	v_mov_b32_e32 v0, 7
	s_mov_b32 s24, exec_lo
	v_and_b32_sdwa v8, v32, v0 dst_sel:DWORD dst_unused:UNUSED_PAD src0_sel:BYTE_3 src1_sel:DWORD
	v_mov_b32_e32 v35, v9
	v_lshrrev_b32_e32 v0, 3, v1
	v_mov_b32_e32 v34, v8
	v_cmpx_gt_u32_e32 8, v1
; %bb.743:                              ;   in Loop: Header=BB397_11 Depth=1
	v_ffbh_u32_e32 v0, v8
	v_min_u32_e32 v0, 32, v0
	v_subrev_nc_u32_e32 v1, 28, v0
	v_sub_nc_u32_e32 v0, 29, v0
	v_lshlrev_b64 v[1:2], v1, v[8:9]
	v_and_b32_e32 v34, 7, v1
; %bb.744:                              ;   in Loop: Header=BB397_11 Depth=1
	s_or_b32 exec_lo, exec_lo, s24
	v_mov_b32_e32 v1, 24
	v_lshlrev_b32_e32 v2, 20, v34
	v_lshl_add_u32 v0, v0, 23, 0x3c000000
	v_lshlrev_b32_sdwa v1, v1, v32 dst_sel:DWORD dst_unused:UNUSED_PAD src0_sel:DWORD src1_sel:BYTE_3
	v_and_b32_e32 v1, 0x80000000, v1
	v_or3_b32 v19, v2, v1, v0
.LBB397_745:                            ;   in Loop: Header=BB397_11 Depth=1
	s_or_b32 exec_lo, exec_lo, s23
.LBB397_746:                            ;   in Loop: Header=BB397_11 Depth=1
	s_or_b32 exec_lo, exec_lo, s17
.LBB397_747:                            ;   in Loop: Header=BB397_11 Depth=1
	s_or_b32 exec_lo, exec_lo, s6
	v_mov_b32_e32 v8, v33
	v_cmp_ne_u16_sdwa s5, v33, v9 src0_sel:BYTE_0 src1_sel:DWORD
	s_and_saveexec_b32 s6, s5
	s_cbranch_execz .LBB397_755
; %bb.748:                              ;   in Loop: Header=BB397_11 Depth=1
	v_cmp_ne_u16_sdwa s5, v33, v126 src0_sel:BYTE_0 src1_sel:DWORD
	v_bfrev_b32_e32 v62, 1
	s_and_saveexec_b32 s17, s5
	s_cbranch_execz .LBB397_754
; %bb.749:                              ;   in Loop: Header=BB397_11 Depth=1
	v_and_b32_e32 v1, 0x7f, v33
	v_mov_b32_e32 v62, 0x7f800001
	s_mov_b32 s23, exec_lo
	v_cmpx_ne_u32_e32 0x7f, v1
	s_cbranch_execz .LBB397_753
; %bb.750:                              ;   in Loop: Header=BB397_11 Depth=1
	v_mov_b32_e32 v35, v9
	v_lshrrev_b32_e32 v0, 3, v1
	v_mov_b32_e32 v34, v8
	s_mov_b32 s24, exec_lo
	v_cmpx_gt_u32_e32 8, v1
; %bb.751:                              ;   in Loop: Header=BB397_11 Depth=1
	v_and_b32_e32 v0, 7, v33
	v_ffbh_u32_e32 v0, v0
	v_min_u32_e32 v0, 32, v0
	v_subrev_nc_u32_e32 v1, 28, v0
	v_sub_nc_u32_e32 v0, 29, v0
	v_lshlrev_b64 v[34:35], v1, v[8:9]
; %bb.752:                              ;   in Loop: Header=BB397_11 Depth=1
	s_or_b32 exec_lo, exec_lo, s24
	v_lshlrev_b32_e32 v1, 20, v34
	v_lshlrev_b32_e32 v2, 24, v8
	v_lshl_add_u32 v0, v0, 23, 0x3c000000
	v_and_b32_e32 v1, 0x700000, v1
	v_and_b32_e32 v2, 0x80000000, v2
	v_or3_b32 v62, v1, v2, v0
.LBB397_753:                            ;   in Loop: Header=BB397_11 Depth=1
	s_or_b32 exec_lo, exec_lo, s23
.LBB397_754:                            ;   in Loop: Header=BB397_11 Depth=1
	s_or_b32 exec_lo, exec_lo, s17
.LBB397_755:                            ;   in Loop: Header=BB397_11 Depth=1
	s_or_b32 exec_lo, exec_lo, s6
	v_cmp_ne_u16_sdwa s5, v8, v9 src0_sel:BYTE_1 src1_sel:DWORD
	v_mov_b32_e32 v109, 0
	v_mov_b32_e32 v61, 0
	s_and_saveexec_b32 s6, s5
	s_cbranch_execz .LBB397_763
; %bb.756:                              ;   in Loop: Header=BB397_11 Depth=1
	v_cmp_ne_u16_sdwa s5, v8, v126 src0_sel:BYTE_1 src1_sel:DWORD
	v_bfrev_b32_e32 v61, 1
	s_and_saveexec_b32 s17, s5
	s_cbranch_execz .LBB397_762
; %bb.757:                              ;   in Loop: Header=BB397_11 Depth=1
	v_mov_b32_e32 v0, 0xffff
	v_mov_b32_e32 v61, 0x7f800001
	s_mov_b32 s23, exec_lo
	v_and_b32_sdwa v0, v0, v8 dst_sel:DWORD dst_unused:UNUSED_PAD src0_sel:DWORD src1_sel:BYTE_1
	v_and_b32_e32 v1, 0x7f, v0
	v_cmpx_ne_u32_e32 0x7f, v1
	s_cbranch_execz .LBB397_761
; %bb.758:                              ;   in Loop: Header=BB397_11 Depth=1
	v_and_b32_e32 v34, 7, v0
	v_mov_b32_e32 v35, v9
	v_lshrrev_b32_e32 v0, 3, v1
	s_mov_b32 s24, exec_lo
	v_cmpx_gt_u32_e32 8, v1
; %bb.759:                              ;   in Loop: Header=BB397_11 Depth=1
	v_ffbh_u32_e32 v0, v34
	v_min_u32_e32 v0, 32, v0
	v_subrev_nc_u32_e32 v1, 28, v0
	v_sub_nc_u32_e32 v0, 29, v0
	v_lshlrev_b64 v[1:2], v1, v[34:35]
	v_and_b32_e32 v34, 7, v1
; %bb.760:                              ;   in Loop: Header=BB397_11 Depth=1
	s_or_b32 exec_lo, exec_lo, s24
	v_lshlrev_b32_e32 v1, 16, v8
	v_lshlrev_b32_e32 v2, 20, v34
	v_lshl_add_u32 v0, v0, 23, 0x3c000000
	v_and_b32_e32 v1, 0x80000000, v1
	v_or3_b32 v61, v2, v1, v0
.LBB397_761:                            ;   in Loop: Header=BB397_11 Depth=1
	s_or_b32 exec_lo, exec_lo, s23
.LBB397_762:                            ;   in Loop: Header=BB397_11 Depth=1
	s_or_b32 exec_lo, exec_lo, s17
.LBB397_763:                            ;   in Loop: Header=BB397_11 Depth=1
	s_or_b32 exec_lo, exec_lo, s6
	v_mov_b32_e32 v0, 0xff
	s_mov_b32 s6, exec_lo
	v_and_b32_sdwa v0, v33, v0 dst_sel:DWORD dst_unused:UNUSED_PAD src0_sel:WORD_1 src1_sel:DWORD
	v_cmpx_ne_u16_e32 0, v0
	s_cbranch_execz .LBB397_771
; %bb.764:                              ;   in Loop: Header=BB397_11 Depth=1
	v_bfrev_b32_e32 v109, 1
	s_mov_b32 s17, exec_lo
	v_cmpx_ne_u16_e32 0x80, v0
	s_cbranch_execz .LBB397_770
; %bb.765:                              ;   in Loop: Header=BB397_11 Depth=1
	v_bfe_u32 v1, v33, 16, 7
	v_mov_b32_e32 v109, 0x7f800001
	s_mov_b32 s23, exec_lo
	v_cmpx_ne_u32_e32 0x7f, v1
	s_cbranch_execz .LBB397_769
; %bb.766:                              ;   in Loop: Header=BB397_11 Depth=1
	v_mov_b32_e32 v0, 7
	s_mov_b32 s24, exec_lo
	v_and_b32_sdwa v8, v33, v0 dst_sel:DWORD dst_unused:UNUSED_PAD src0_sel:WORD_1 src1_sel:DWORD
	v_mov_b32_e32 v35, v9
	v_lshrrev_b32_e32 v0, 3, v1
	v_mov_b32_e32 v34, v8
	v_cmpx_gt_u32_e32 8, v1
; %bb.767:                              ;   in Loop: Header=BB397_11 Depth=1
	v_ffbh_u32_e32 v0, v8
	v_min_u32_e32 v0, 32, v0
	v_subrev_nc_u32_e32 v1, 28, v0
	v_sub_nc_u32_e32 v0, 29, v0
	v_lshlrev_b64 v[1:2], v1, v[8:9]
	v_and_b32_e32 v34, 7, v1
; %bb.768:                              ;   in Loop: Header=BB397_11 Depth=1
	s_or_b32 exec_lo, exec_lo, s24
	v_mov_b32_e32 v1, 24
	v_lshlrev_b32_e32 v2, 20, v34
	v_lshl_add_u32 v0, v0, 23, 0x3c000000
	v_lshlrev_b32_sdwa v1, v1, v33 dst_sel:DWORD dst_unused:UNUSED_PAD src0_sel:DWORD src1_sel:WORD_1
	v_and_b32_e32 v1, 0x80000000, v1
	v_or3_b32 v109, v2, v1, v0
.LBB397_769:                            ;   in Loop: Header=BB397_11 Depth=1
	s_or_b32 exec_lo, exec_lo, s23
.LBB397_770:                            ;   in Loop: Header=BB397_11 Depth=1
	s_or_b32 exec_lo, exec_lo, s17
.LBB397_771:                            ;   in Loop: Header=BB397_11 Depth=1
	s_or_b32 exec_lo, exec_lo, s6
	v_mov_b32_e32 v57, 0
	v_mov_b32_e32 v111, 0
	s_mov_b32 s6, exec_lo
	v_cmpx_lt_u64_e64 s[8:9], v[32:33]
	s_cbranch_execz .LBB397_779
; %bb.772:                              ;   in Loop: Header=BB397_11 Depth=1
	v_cmp_ne_u32_sdwa s5, v33, v126 src0_sel:BYTE_3 src1_sel:DWORD
	v_bfrev_b32_e32 v111, 1
	s_and_saveexec_b32 s17, s5
	s_cbranch_execz .LBB397_778
; %bb.773:                              ;   in Loop: Header=BB397_11 Depth=1
	v_bfe_u32 v1, v33, 24, 7
	v_mov_b32_e32 v111, 0x7f800001
	s_mov_b32 s23, exec_lo
	v_cmpx_ne_u32_e32 0x7f, v1
	s_cbranch_execz .LBB397_777
; %bb.774:                              ;   in Loop: Header=BB397_11 Depth=1
	v_mov_b32_e32 v0, 7
	s_mov_b32 s24, exec_lo
	v_and_b32_sdwa v8, v33, v0 dst_sel:DWORD dst_unused:UNUSED_PAD src0_sel:BYTE_3 src1_sel:DWORD
	v_mov_b32_e32 v35, v9
	v_lshrrev_b32_e32 v0, 3, v1
	v_mov_b32_e32 v34, v8
	v_cmpx_gt_u32_e32 8, v1
; %bb.775:                              ;   in Loop: Header=BB397_11 Depth=1
	v_ffbh_u32_e32 v0, v8
	v_min_u32_e32 v0, 32, v0
	v_subrev_nc_u32_e32 v1, 28, v0
	v_sub_nc_u32_e32 v0, 29, v0
	v_lshlrev_b64 v[1:2], v1, v[8:9]
	v_and_b32_e32 v34, 7, v1
; %bb.776:                              ;   in Loop: Header=BB397_11 Depth=1
	s_or_b32 exec_lo, exec_lo, s24
	v_mov_b32_e32 v1, 24
	v_lshlrev_b32_e32 v2, 20, v34
	v_lshl_add_u32 v0, v0, 23, 0x3c000000
	v_lshlrev_b32_sdwa v1, v1, v33 dst_sel:DWORD dst_unused:UNUSED_PAD src0_sel:DWORD src1_sel:BYTE_3
	v_and_b32_e32 v1, 0x80000000, v1
	v_or3_b32 v111, v2, v1, v0
.LBB397_777:                            ;   in Loop: Header=BB397_11 Depth=1
	s_or_b32 exec_lo, exec_lo, s23
.LBB397_778:                            ;   in Loop: Header=BB397_11 Depth=1
	s_or_b32 exec_lo, exec_lo, s17
.LBB397_779:                            ;   in Loop: Header=BB397_11 Depth=1
	s_or_b32 exec_lo, exec_lo, s6
	flat_load_dwordx2 v[32:33], v[30:31] offset:1024
	s_waitcnt vmcnt(0) lgkmcnt(0)
	v_cmp_ne_u16_sdwa s5, v32, v9 src0_sel:BYTE_0 src1_sel:DWORD
	s_and_saveexec_b32 s6, s5
	s_cbranch_execz .LBB397_787
; %bb.780:                              ;   in Loop: Header=BB397_11 Depth=1
	v_cmp_ne_u16_sdwa s5, v32, v126 src0_sel:BYTE_0 src1_sel:DWORD
	v_bfrev_b32_e32 v57, 1
	s_and_saveexec_b32 s17, s5
	s_cbranch_execz .LBB397_786
; %bb.781:                              ;   in Loop: Header=BB397_11 Depth=1
	v_and_b32_e32 v1, 0x7f, v32
	v_mov_b32_e32 v57, 0x7f800001
	s_mov_b32 s23, exec_lo
	v_cmpx_ne_u32_e32 0x7f, v1
	s_cbranch_execz .LBB397_785
; %bb.782:                              ;   in Loop: Header=BB397_11 Depth=1
	v_mov_b32_e32 v35, v33
	v_lshrrev_b32_e32 v0, 3, v1
	v_mov_b32_e32 v34, v32
	s_mov_b32 s24, exec_lo
	v_cmpx_gt_u32_e32 8, v1
; %bb.783:                              ;   in Loop: Header=BB397_11 Depth=1
	v_and_b32_e32 v0, 7, v32
	v_ffbh_u32_e32 v0, v0
	v_min_u32_e32 v0, 32, v0
	v_subrev_nc_u32_e32 v1, 28, v0
	v_sub_nc_u32_e32 v0, 29, v0
	v_lshlrev_b64 v[34:35], v1, v[32:33]
; %bb.784:                              ;   in Loop: Header=BB397_11 Depth=1
	s_or_b32 exec_lo, exec_lo, s24
	v_lshlrev_b32_e32 v1, 20, v34
	v_lshlrev_b32_e32 v2, 24, v32
	v_lshl_add_u32 v0, v0, 23, 0x3c000000
	v_and_b32_e32 v1, 0x700000, v1
	v_and_b32_e32 v2, 0x80000000, v2
	v_or3_b32 v57, v1, v2, v0
.LBB397_785:                            ;   in Loop: Header=BB397_11 Depth=1
	s_or_b32 exec_lo, exec_lo, s23
.LBB397_786:                            ;   in Loop: Header=BB397_11 Depth=1
	s_or_b32 exec_lo, exec_lo, s17
.LBB397_787:                            ;   in Loop: Header=BB397_11 Depth=1
	s_or_b32 exec_lo, exec_lo, s6
	v_cmp_ne_u16_sdwa s5, v32, v9 src0_sel:BYTE_1 src1_sel:DWORD
	v_mov_b32_e32 v122, 0
	v_mov_b32_e32 v56, 0
	s_and_saveexec_b32 s6, s5
	s_cbranch_execz .LBB397_795
; %bb.788:                              ;   in Loop: Header=BB397_11 Depth=1
	v_cmp_ne_u16_sdwa s5, v32, v126 src0_sel:BYTE_1 src1_sel:DWORD
	v_bfrev_b32_e32 v56, 1
	s_and_saveexec_b32 s17, s5
	s_cbranch_execz .LBB397_794
; %bb.789:                              ;   in Loop: Header=BB397_11 Depth=1
	v_mov_b32_e32 v0, 0xffff
	v_mov_b32_e32 v56, 0x7f800001
	s_mov_b32 s23, exec_lo
	v_and_b32_sdwa v0, v0, v32 dst_sel:DWORD dst_unused:UNUSED_PAD src0_sel:DWORD src1_sel:BYTE_1
	v_and_b32_e32 v1, 0x7f, v0
	v_cmpx_ne_u32_e32 0x7f, v1
	s_cbranch_execz .LBB397_793
; %bb.790:                              ;   in Loop: Header=BB397_11 Depth=1
	v_and_b32_e32 v8, 7, v0
	v_mov_b32_e32 v35, v9
	v_lshrrev_b32_e32 v0, 3, v1
	s_mov_b32 s24, exec_lo
	v_mov_b32_e32 v34, v8
	v_cmpx_gt_u32_e32 8, v1
; %bb.791:                              ;   in Loop: Header=BB397_11 Depth=1
	v_ffbh_u32_e32 v0, v8
	v_min_u32_e32 v0, 32, v0
	v_subrev_nc_u32_e32 v1, 28, v0
	v_sub_nc_u32_e32 v0, 29, v0
	v_lshlrev_b64 v[1:2], v1, v[8:9]
	v_and_b32_e32 v34, 7, v1
; %bb.792:                              ;   in Loop: Header=BB397_11 Depth=1
	s_or_b32 exec_lo, exec_lo, s24
	v_lshlrev_b32_e32 v1, 16, v32
	v_lshlrev_b32_e32 v2, 20, v34
	v_lshl_add_u32 v0, v0, 23, 0x3c000000
	v_and_b32_e32 v1, 0x80000000, v1
	v_or3_b32 v56, v2, v1, v0
.LBB397_793:                            ;   in Loop: Header=BB397_11 Depth=1
	s_or_b32 exec_lo, exec_lo, s23
.LBB397_794:                            ;   in Loop: Header=BB397_11 Depth=1
	s_or_b32 exec_lo, exec_lo, s17
.LBB397_795:                            ;   in Loop: Header=BB397_11 Depth=1
	s_or_b32 exec_lo, exec_lo, s6
	v_mov_b32_e32 v0, 0xff
	s_mov_b32 s6, exec_lo
	v_and_b32_sdwa v0, v32, v0 dst_sel:DWORD dst_unused:UNUSED_PAD src0_sel:WORD_1 src1_sel:DWORD
	v_cmpx_ne_u16_e32 0, v0
	s_cbranch_execz .LBB397_803
; %bb.796:                              ;   in Loop: Header=BB397_11 Depth=1
	v_bfrev_b32_e32 v122, 1
	s_mov_b32 s17, exec_lo
	v_cmpx_ne_u16_e32 0x80, v0
	s_cbranch_execz .LBB397_802
; %bb.797:                              ;   in Loop: Header=BB397_11 Depth=1
	v_bfe_u32 v1, v32, 16, 7
	v_mov_b32_e32 v122, 0x7f800001
	s_mov_b32 s23, exec_lo
	v_cmpx_ne_u32_e32 0x7f, v1
	s_cbranch_execz .LBB397_801
; %bb.798:                              ;   in Loop: Header=BB397_11 Depth=1
	v_mov_b32_e32 v0, 7
	s_mov_b32 s24, exec_lo
	v_and_b32_sdwa v8, v32, v0 dst_sel:DWORD dst_unused:UNUSED_PAD src0_sel:WORD_1 src1_sel:DWORD
	v_mov_b32_e32 v35, v9
	v_lshrrev_b32_e32 v0, 3, v1
	v_mov_b32_e32 v34, v8
	v_cmpx_gt_u32_e32 8, v1
; %bb.799:                              ;   in Loop: Header=BB397_11 Depth=1
	v_ffbh_u32_e32 v0, v8
	v_min_u32_e32 v0, 32, v0
	v_subrev_nc_u32_e32 v1, 28, v0
	v_sub_nc_u32_e32 v0, 29, v0
	v_lshlrev_b64 v[1:2], v1, v[8:9]
	v_and_b32_e32 v34, 7, v1
; %bb.800:                              ;   in Loop: Header=BB397_11 Depth=1
	s_or_b32 exec_lo, exec_lo, s24
	v_mov_b32_e32 v1, 24
	v_lshlrev_b32_e32 v2, 20, v34
	v_lshl_add_u32 v0, v0, 23, 0x3c000000
	v_lshlrev_b32_sdwa v1, v1, v32 dst_sel:DWORD dst_unused:UNUSED_PAD src0_sel:DWORD src1_sel:WORD_1
	v_and_b32_e32 v1, 0x80000000, v1
	v_or3_b32 v122, v2, v1, v0
.LBB397_801:                            ;   in Loop: Header=BB397_11 Depth=1
	s_or_b32 exec_lo, exec_lo, s23
.LBB397_802:                            ;   in Loop: Header=BB397_11 Depth=1
	s_or_b32 exec_lo, exec_lo, s17
.LBB397_803:                            ;   in Loop: Header=BB397_11 Depth=1
	s_or_b32 exec_lo, exec_lo, s6
	v_mov_b32_e32 v46, 0
	v_mov_b32_e32 v123, 0
	s_mov_b32 s6, exec_lo
	v_cmpx_lt_u32_e32 0xffffff, v32
	s_cbranch_execz .LBB397_811
; %bb.804:                              ;   in Loop: Header=BB397_11 Depth=1
	v_cmp_ne_u32_sdwa s5, v32, v126 src0_sel:BYTE_3 src1_sel:DWORD
	v_bfrev_b32_e32 v123, 1
	s_and_saveexec_b32 s17, s5
	s_cbranch_execz .LBB397_810
; %bb.805:                              ;   in Loop: Header=BB397_11 Depth=1
	v_bfe_u32 v1, v32, 24, 7
	v_mov_b32_e32 v123, 0x7f800001
	s_mov_b32 s23, exec_lo
	v_cmpx_ne_u32_e32 0x7f, v1
	s_cbranch_execz .LBB397_809
; %bb.806:                              ;   in Loop: Header=BB397_11 Depth=1
	v_mov_b32_e32 v0, 7
	s_mov_b32 s24, exec_lo
	v_and_b32_sdwa v8, v32, v0 dst_sel:DWORD dst_unused:UNUSED_PAD src0_sel:BYTE_3 src1_sel:DWORD
	v_mov_b32_e32 v35, v9
	v_lshrrev_b32_e32 v0, 3, v1
	v_mov_b32_e32 v34, v8
	v_cmpx_gt_u32_e32 8, v1
; %bb.807:                              ;   in Loop: Header=BB397_11 Depth=1
	v_ffbh_u32_e32 v0, v8
	v_min_u32_e32 v0, 32, v0
	v_subrev_nc_u32_e32 v1, 28, v0
	v_sub_nc_u32_e32 v0, 29, v0
	v_lshlrev_b64 v[1:2], v1, v[8:9]
	v_and_b32_e32 v34, 7, v1
; %bb.808:                              ;   in Loop: Header=BB397_11 Depth=1
	s_or_b32 exec_lo, exec_lo, s24
	v_mov_b32_e32 v1, 24
	v_lshlrev_b32_e32 v2, 20, v34
	v_lshl_add_u32 v0, v0, 23, 0x3c000000
	v_lshlrev_b32_sdwa v1, v1, v32 dst_sel:DWORD dst_unused:UNUSED_PAD src0_sel:DWORD src1_sel:BYTE_3
	v_and_b32_e32 v1, 0x80000000, v1
	v_or3_b32 v123, v2, v1, v0
.LBB397_809:                            ;   in Loop: Header=BB397_11 Depth=1
	s_or_b32 exec_lo, exec_lo, s23
.LBB397_810:                            ;   in Loop: Header=BB397_11 Depth=1
	s_or_b32 exec_lo, exec_lo, s17
.LBB397_811:                            ;   in Loop: Header=BB397_11 Depth=1
	s_or_b32 exec_lo, exec_lo, s6
	v_mov_b32_e32 v8, v33
	v_cmp_ne_u16_sdwa s5, v33, v9 src0_sel:BYTE_0 src1_sel:DWORD
	s_and_saveexec_b32 s6, s5
	s_cbranch_execz .LBB397_819
; %bb.812:                              ;   in Loop: Header=BB397_11 Depth=1
	v_cmp_ne_u16_sdwa s5, v33, v126 src0_sel:BYTE_0 src1_sel:DWORD
	v_bfrev_b32_e32 v46, 1
	s_and_saveexec_b32 s17, s5
	s_cbranch_execz .LBB397_818
; %bb.813:                              ;   in Loop: Header=BB397_11 Depth=1
	v_and_b32_e32 v1, 0x7f, v33
	v_mov_b32_e32 v46, 0x7f800001
	s_mov_b32 s23, exec_lo
	v_cmpx_ne_u32_e32 0x7f, v1
	s_cbranch_execz .LBB397_817
; %bb.814:                              ;   in Loop: Header=BB397_11 Depth=1
	v_mov_b32_e32 v35, v9
	v_lshrrev_b32_e32 v0, 3, v1
	v_mov_b32_e32 v34, v8
	s_mov_b32 s24, exec_lo
	v_cmpx_gt_u32_e32 8, v1
; %bb.815:                              ;   in Loop: Header=BB397_11 Depth=1
	v_and_b32_e32 v0, 7, v33
	v_ffbh_u32_e32 v0, v0
	v_min_u32_e32 v0, 32, v0
	v_subrev_nc_u32_e32 v1, 28, v0
	v_sub_nc_u32_e32 v0, 29, v0
	v_lshlrev_b64 v[34:35], v1, v[8:9]
; %bb.816:                              ;   in Loop: Header=BB397_11 Depth=1
	s_or_b32 exec_lo, exec_lo, s24
	v_lshlrev_b32_e32 v1, 20, v34
	v_lshlrev_b32_e32 v2, 24, v8
	v_lshl_add_u32 v0, v0, 23, 0x3c000000
	v_and_b32_e32 v1, 0x700000, v1
	v_and_b32_e32 v2, 0x80000000, v2
	v_or3_b32 v46, v1, v2, v0
.LBB397_817:                            ;   in Loop: Header=BB397_11 Depth=1
	s_or_b32 exec_lo, exec_lo, s23
.LBB397_818:                            ;   in Loop: Header=BB397_11 Depth=1
	s_or_b32 exec_lo, exec_lo, s17
.LBB397_819:                            ;   in Loop: Header=BB397_11 Depth=1
	s_or_b32 exec_lo, exec_lo, s6
	v_cmp_ne_u16_sdwa s5, v8, v9 src0_sel:BYTE_1 src1_sel:DWORD
	v_mov_b32_e32 v5, 0
	v_mov_b32_e32 v13, 0
	s_and_saveexec_b32 s6, s5
	s_cbranch_execz .LBB397_827
; %bb.820:                              ;   in Loop: Header=BB397_11 Depth=1
	v_cmp_ne_u16_sdwa s5, v8, v126 src0_sel:BYTE_1 src1_sel:DWORD
	v_bfrev_b32_e32 v13, 1
	s_and_saveexec_b32 s17, s5
	s_cbranch_execz .LBB397_826
; %bb.821:                              ;   in Loop: Header=BB397_11 Depth=1
	v_mov_b32_e32 v0, 0xffff
	v_mov_b32_e32 v13, 0x7f800001
	s_mov_b32 s23, exec_lo
	v_and_b32_sdwa v0, v0, v8 dst_sel:DWORD dst_unused:UNUSED_PAD src0_sel:DWORD src1_sel:BYTE_1
	v_and_b32_e32 v1, 0x7f, v0
	v_cmpx_ne_u32_e32 0x7f, v1
	s_cbranch_execz .LBB397_825
; %bb.822:                              ;   in Loop: Header=BB397_11 Depth=1
	v_and_b32_e32 v34, 7, v0
	v_mov_b32_e32 v35, v9
	v_lshrrev_b32_e32 v0, 3, v1
	s_mov_b32 s24, exec_lo
	v_cmpx_gt_u32_e32 8, v1
; %bb.823:                              ;   in Loop: Header=BB397_11 Depth=1
	v_ffbh_u32_e32 v0, v34
	v_min_u32_e32 v0, 32, v0
	v_subrev_nc_u32_e32 v1, 28, v0
	v_sub_nc_u32_e32 v0, 29, v0
	v_lshlrev_b64 v[1:2], v1, v[34:35]
	v_and_b32_e32 v34, 7, v1
; %bb.824:                              ;   in Loop: Header=BB397_11 Depth=1
	s_or_b32 exec_lo, exec_lo, s24
	v_lshlrev_b32_e32 v1, 16, v8
	v_lshlrev_b32_e32 v2, 20, v34
	v_lshl_add_u32 v0, v0, 23, 0x3c000000
	v_and_b32_e32 v1, 0x80000000, v1
	v_or3_b32 v13, v2, v1, v0
.LBB397_825:                            ;   in Loop: Header=BB397_11 Depth=1
	s_or_b32 exec_lo, exec_lo, s23
.LBB397_826:                            ;   in Loop: Header=BB397_11 Depth=1
	s_or_b32 exec_lo, exec_lo, s17
.LBB397_827:                            ;   in Loop: Header=BB397_11 Depth=1
	s_or_b32 exec_lo, exec_lo, s6
	v_mov_b32_e32 v0, 0xff
	s_mov_b32 s6, exec_lo
	v_and_b32_sdwa v0, v33, v0 dst_sel:DWORD dst_unused:UNUSED_PAD src0_sel:WORD_1 src1_sel:DWORD
	v_cmpx_ne_u16_e32 0, v0
	s_cbranch_execz .LBB397_835
; %bb.828:                              ;   in Loop: Header=BB397_11 Depth=1
	v_bfrev_b32_e32 v5, 1
	s_mov_b32 s17, exec_lo
	v_cmpx_ne_u16_e32 0x80, v0
	s_cbranch_execz .LBB397_834
; %bb.829:                              ;   in Loop: Header=BB397_11 Depth=1
	v_bfe_u32 v1, v33, 16, 7
	v_mov_b32_e32 v5, 0x7f800001
	s_mov_b32 s23, exec_lo
	v_cmpx_ne_u32_e32 0x7f, v1
	s_cbranch_execz .LBB397_833
; %bb.830:                              ;   in Loop: Header=BB397_11 Depth=1
	v_mov_b32_e32 v0, 7
	s_mov_b32 s24, exec_lo
	v_and_b32_sdwa v8, v33, v0 dst_sel:DWORD dst_unused:UNUSED_PAD src0_sel:WORD_1 src1_sel:DWORD
	v_mov_b32_e32 v35, v9
	v_lshrrev_b32_e32 v0, 3, v1
	v_mov_b32_e32 v34, v8
	v_cmpx_gt_u32_e32 8, v1
; %bb.831:                              ;   in Loop: Header=BB397_11 Depth=1
	v_ffbh_u32_e32 v0, v8
	v_min_u32_e32 v0, 32, v0
	v_subrev_nc_u32_e32 v1, 28, v0
	v_sub_nc_u32_e32 v0, 29, v0
	v_lshlrev_b64 v[1:2], v1, v[8:9]
	v_and_b32_e32 v34, 7, v1
; %bb.832:                              ;   in Loop: Header=BB397_11 Depth=1
	s_or_b32 exec_lo, exec_lo, s24
	v_mov_b32_e32 v1, 24
	v_lshlrev_b32_e32 v2, 20, v34
	v_lshl_add_u32 v0, v0, 23, 0x3c000000
	v_lshlrev_b32_sdwa v1, v1, v33 dst_sel:DWORD dst_unused:UNUSED_PAD src0_sel:DWORD src1_sel:WORD_1
	v_and_b32_e32 v1, 0x80000000, v1
	v_or3_b32 v5, v2, v1, v0
.LBB397_833:                            ;   in Loop: Header=BB397_11 Depth=1
	s_or_b32 exec_lo, exec_lo, s23
.LBB397_834:                            ;   in Loop: Header=BB397_11 Depth=1
	s_or_b32 exec_lo, exec_lo, s17
.LBB397_835:                            ;   in Loop: Header=BB397_11 Depth=1
	s_or_b32 exec_lo, exec_lo, s6
	v_mov_b32_e32 v106, 0
	v_mov_b32_e32 v25, 0
	s_mov_b32 s6, exec_lo
	v_cmpx_lt_u64_e64 s[8:9], v[32:33]
	s_cbranch_execz .LBB397_843
; %bb.836:                              ;   in Loop: Header=BB397_11 Depth=1
	v_cmp_ne_u32_sdwa s5, v33, v126 src0_sel:BYTE_3 src1_sel:DWORD
	v_bfrev_b32_e32 v25, 1
	s_and_saveexec_b32 s17, s5
	s_cbranch_execz .LBB397_842
; %bb.837:                              ;   in Loop: Header=BB397_11 Depth=1
	v_bfe_u32 v1, v33, 24, 7
	v_mov_b32_e32 v25, 0x7f800001
	s_mov_b32 s23, exec_lo
	v_cmpx_ne_u32_e32 0x7f, v1
	s_cbranch_execz .LBB397_841
; %bb.838:                              ;   in Loop: Header=BB397_11 Depth=1
	v_mov_b32_e32 v0, 7
	s_mov_b32 s24, exec_lo
	v_and_b32_sdwa v8, v33, v0 dst_sel:DWORD dst_unused:UNUSED_PAD src0_sel:BYTE_3 src1_sel:DWORD
	v_mov_b32_e32 v35, v9
	v_lshrrev_b32_e32 v0, 3, v1
	v_mov_b32_e32 v34, v8
	v_cmpx_gt_u32_e32 8, v1
; %bb.839:                              ;   in Loop: Header=BB397_11 Depth=1
	v_ffbh_u32_e32 v0, v8
	v_min_u32_e32 v0, 32, v0
	v_subrev_nc_u32_e32 v1, 28, v0
	v_sub_nc_u32_e32 v0, 29, v0
	v_lshlrev_b64 v[1:2], v1, v[8:9]
	v_and_b32_e32 v34, 7, v1
; %bb.840:                              ;   in Loop: Header=BB397_11 Depth=1
	s_or_b32 exec_lo, exec_lo, s24
	v_mov_b32_e32 v1, 24
	v_lshlrev_b32_e32 v2, 20, v34
	v_lshl_add_u32 v0, v0, 23, 0x3c000000
	v_lshlrev_b32_sdwa v1, v1, v33 dst_sel:DWORD dst_unused:UNUSED_PAD src0_sel:DWORD src1_sel:BYTE_3
	v_and_b32_e32 v1, 0x80000000, v1
	v_or3_b32 v25, v2, v1, v0
.LBB397_841:                            ;   in Loop: Header=BB397_11 Depth=1
	s_or_b32 exec_lo, exec_lo, s23
.LBB397_842:                            ;   in Loop: Header=BB397_11 Depth=1
	s_or_b32 exec_lo, exec_lo, s17
.LBB397_843:                            ;   in Loop: Header=BB397_11 Depth=1
	s_or_b32 exec_lo, exec_lo, s6
	flat_load_dwordx2 v[32:33], v[30:31] offset:1032
	s_waitcnt vmcnt(0) lgkmcnt(0)
	v_cmp_ne_u16_sdwa s5, v32, v9 src0_sel:BYTE_0 src1_sel:DWORD
	s_and_saveexec_b32 s6, s5
	s_cbranch_execz .LBB397_851
; %bb.844:                              ;   in Loop: Header=BB397_11 Depth=1
	v_cmp_ne_u16_sdwa s5, v32, v126 src0_sel:BYTE_0 src1_sel:DWORD
	v_bfrev_b32_e32 v106, 1
	s_and_saveexec_b32 s17, s5
	s_cbranch_execz .LBB397_850
; %bb.845:                              ;   in Loop: Header=BB397_11 Depth=1
	v_and_b32_e32 v1, 0x7f, v32
	v_mov_b32_e32 v106, 0x7f800001
	s_mov_b32 s23, exec_lo
	v_cmpx_ne_u32_e32 0x7f, v1
	s_cbranch_execz .LBB397_849
; %bb.846:                              ;   in Loop: Header=BB397_11 Depth=1
	v_mov_b32_e32 v35, v33
	v_lshrrev_b32_e32 v0, 3, v1
	v_mov_b32_e32 v34, v32
	s_mov_b32 s24, exec_lo
	v_cmpx_gt_u32_e32 8, v1
; %bb.847:                              ;   in Loop: Header=BB397_11 Depth=1
	v_and_b32_e32 v0, 7, v32
	v_ffbh_u32_e32 v0, v0
	v_min_u32_e32 v0, 32, v0
	v_subrev_nc_u32_e32 v1, 28, v0
	v_sub_nc_u32_e32 v0, 29, v0
	v_lshlrev_b64 v[34:35], v1, v[32:33]
; %bb.848:                              ;   in Loop: Header=BB397_11 Depth=1
	s_or_b32 exec_lo, exec_lo, s24
	v_lshlrev_b32_e32 v1, 20, v34
	v_lshlrev_b32_e32 v2, 24, v32
	v_lshl_add_u32 v0, v0, 23, 0x3c000000
	v_and_b32_e32 v1, 0x700000, v1
	v_and_b32_e32 v2, 0x80000000, v2
	v_or3_b32 v106, v1, v2, v0
.LBB397_849:                            ;   in Loop: Header=BB397_11 Depth=1
	s_or_b32 exec_lo, exec_lo, s23
.LBB397_850:                            ;   in Loop: Header=BB397_11 Depth=1
	s_or_b32 exec_lo, exec_lo, s17
.LBB397_851:                            ;   in Loop: Header=BB397_11 Depth=1
	s_or_b32 exec_lo, exec_lo, s6
	v_cmp_ne_u16_sdwa s5, v32, v9 src0_sel:BYTE_1 src1_sel:DWORD
	v_mov_b32_e32 v2, 0
	v_mov_b32_e32 v3, 0
	s_and_saveexec_b32 s6, s5
	s_cbranch_execz .LBB397_859
; %bb.852:                              ;   in Loop: Header=BB397_11 Depth=1
	v_cmp_ne_u16_sdwa s5, v32, v126 src0_sel:BYTE_1 src1_sel:DWORD
	v_bfrev_b32_e32 v3, 1
	s_and_saveexec_b32 s17, s5
	s_cbranch_execz .LBB397_858
; %bb.853:                              ;   in Loop: Header=BB397_11 Depth=1
	v_mov_b32_e32 v0, 0xffff
	v_mov_b32_e32 v3, 0x7f800001
	s_mov_b32 s23, exec_lo
	v_and_b32_sdwa v0, v0, v32 dst_sel:DWORD dst_unused:UNUSED_PAD src0_sel:DWORD src1_sel:BYTE_1
	v_and_b32_e32 v1, 0x7f, v0
	v_cmpx_ne_u32_e32 0x7f, v1
	s_cbranch_execz .LBB397_857
; %bb.854:                              ;   in Loop: Header=BB397_11 Depth=1
	v_and_b32_e32 v8, 7, v0
	v_mov_b32_e32 v35, v9
	v_lshrrev_b32_e32 v0, 3, v1
	s_mov_b32 s24, exec_lo
	v_mov_b32_e32 v34, v8
	v_cmpx_gt_u32_e32 8, v1
; %bb.855:                              ;   in Loop: Header=BB397_11 Depth=1
	v_ffbh_u32_e32 v0, v8
	v_min_u32_e32 v0, 32, v0
	v_subrev_nc_u32_e32 v1, 28, v0
	v_sub_nc_u32_e32 v0, 29, v0
	v_lshlrev_b64 v[3:4], v1, v[8:9]
	v_and_b32_e32 v34, 7, v3
; %bb.856:                              ;   in Loop: Header=BB397_11 Depth=1
	s_or_b32 exec_lo, exec_lo, s24
	v_lshlrev_b32_e32 v1, 16, v32
	v_lshlrev_b32_e32 v3, 20, v34
	v_lshl_add_u32 v0, v0, 23, 0x3c000000
	v_and_b32_e32 v1, 0x80000000, v1
	v_or3_b32 v3, v3, v1, v0
.LBB397_857:                            ;   in Loop: Header=BB397_11 Depth=1
	s_or_b32 exec_lo, exec_lo, s23
.LBB397_858:                            ;   in Loop: Header=BB397_11 Depth=1
	s_or_b32 exec_lo, exec_lo, s17
.LBB397_859:                            ;   in Loop: Header=BB397_11 Depth=1
	s_or_b32 exec_lo, exec_lo, s6
	v_mov_b32_e32 v0, 0xff
	s_mov_b32 s6, exec_lo
	v_and_b32_sdwa v0, v32, v0 dst_sel:DWORD dst_unused:UNUSED_PAD src0_sel:WORD_1 src1_sel:DWORD
	v_cmpx_ne_u16_e32 0, v0
	s_cbranch_execz .LBB397_867
; %bb.860:                              ;   in Loop: Header=BB397_11 Depth=1
	v_bfrev_b32_e32 v2, 1
	s_mov_b32 s17, exec_lo
	v_cmpx_ne_u16_e32 0x80, v0
	s_cbranch_execz .LBB397_866
; %bb.861:                              ;   in Loop: Header=BB397_11 Depth=1
	v_bfe_u32 v1, v32, 16, 7
	v_mov_b32_e32 v2, 0x7f800001
	s_mov_b32 s23, exec_lo
	v_cmpx_ne_u32_e32 0x7f, v1
	s_cbranch_execz .LBB397_865
; %bb.862:                              ;   in Loop: Header=BB397_11 Depth=1
	v_mov_b32_e32 v0, 7
	s_mov_b32 s24, exec_lo
	v_and_b32_sdwa v8, v32, v0 dst_sel:DWORD dst_unused:UNUSED_PAD src0_sel:WORD_1 src1_sel:DWORD
	v_mov_b32_e32 v35, v9
	v_lshrrev_b32_e32 v0, 3, v1
	v_mov_b32_e32 v34, v8
	v_cmpx_gt_u32_e32 8, v1
; %bb.863:                              ;   in Loop: Header=BB397_11 Depth=1
	v_ffbh_u32_e32 v0, v8
	v_min_u32_e32 v0, 32, v0
	v_subrev_nc_u32_e32 v1, 28, v0
	v_sub_nc_u32_e32 v0, 29, v0
	v_lshlrev_b64 v[1:2], v1, v[8:9]
	v_and_b32_e32 v34, 7, v1
; %bb.864:                              ;   in Loop: Header=BB397_11 Depth=1
	s_or_b32 exec_lo, exec_lo, s24
	v_mov_b32_e32 v1, 24
	v_lshlrev_b32_e32 v2, 20, v34
	v_lshl_add_u32 v0, v0, 23, 0x3c000000
	v_lshlrev_b32_sdwa v1, v1, v32 dst_sel:DWORD dst_unused:UNUSED_PAD src0_sel:DWORD src1_sel:WORD_1
	v_and_b32_e32 v1, 0x80000000, v1
	v_or3_b32 v2, v2, v1, v0
.LBB397_865:                            ;   in Loop: Header=BB397_11 Depth=1
	s_or_b32 exec_lo, exec_lo, s23
.LBB397_866:                            ;   in Loop: Header=BB397_11 Depth=1
	s_or_b32 exec_lo, exec_lo, s17
.LBB397_867:                            ;   in Loop: Header=BB397_11 Depth=1
	s_or_b32 exec_lo, exec_lo, s6
	v_mov_b32_e32 v14, 0
	v_mov_b32_e32 v124, 0
	s_mov_b32 s6, exec_lo
	v_cmpx_lt_u32_e32 0xffffff, v32
	s_cbranch_execz .LBB397_875
; %bb.868:                              ;   in Loop: Header=BB397_11 Depth=1
	v_cmp_ne_u32_sdwa s5, v32, v126 src0_sel:BYTE_3 src1_sel:DWORD
	v_bfrev_b32_e32 v124, 1
	s_and_saveexec_b32 s17, s5
	s_cbranch_execz .LBB397_874
; %bb.869:                              ;   in Loop: Header=BB397_11 Depth=1
	v_bfe_u32 v1, v32, 24, 7
	v_mov_b32_e32 v124, 0x7f800001
	s_mov_b32 s23, exec_lo
	v_cmpx_ne_u32_e32 0x7f, v1
	s_cbranch_execz .LBB397_873
; %bb.870:                              ;   in Loop: Header=BB397_11 Depth=1
	v_mov_b32_e32 v0, 7
	s_mov_b32 s24, exec_lo
	v_and_b32_sdwa v8, v32, v0 dst_sel:DWORD dst_unused:UNUSED_PAD src0_sel:BYTE_3 src1_sel:DWORD
	v_mov_b32_e32 v35, v9
	v_lshrrev_b32_e32 v0, 3, v1
	v_mov_b32_e32 v34, v8
	v_cmpx_gt_u32_e32 8, v1
; %bb.871:                              ;   in Loop: Header=BB397_11 Depth=1
	v_ffbh_u32_e32 v0, v8
	v_min_u32_e32 v0, 32, v0
	v_subrev_nc_u32_e32 v1, 28, v0
	v_sub_nc_u32_e32 v0, 29, v0
	v_lshlrev_b64 v[6:7], v1, v[8:9]
	v_and_b32_e32 v34, 7, v6
; %bb.872:                              ;   in Loop: Header=BB397_11 Depth=1
	s_or_b32 exec_lo, exec_lo, s24
	v_mov_b32_e32 v1, 24
	v_lshlrev_b32_e32 v4, 20, v34
	v_lshl_add_u32 v0, v0, 23, 0x3c000000
	v_lshlrev_b32_sdwa v1, v1, v32 dst_sel:DWORD dst_unused:UNUSED_PAD src0_sel:DWORD src1_sel:BYTE_3
	v_and_b32_e32 v1, 0x80000000, v1
	v_or3_b32 v124, v4, v1, v0
.LBB397_873:                            ;   in Loop: Header=BB397_11 Depth=1
	s_or_b32 exec_lo, exec_lo, s23
.LBB397_874:                            ;   in Loop: Header=BB397_11 Depth=1
	s_or_b32 exec_lo, exec_lo, s17
.LBB397_875:                            ;   in Loop: Header=BB397_11 Depth=1
	s_or_b32 exec_lo, exec_lo, s6
	v_mov_b32_e32 v8, v33
	v_cmp_ne_u16_sdwa s5, v33, v9 src0_sel:BYTE_0 src1_sel:DWORD
	s_and_saveexec_b32 s6, s5
	s_cbranch_execz .LBB397_883
; %bb.876:                              ;   in Loop: Header=BB397_11 Depth=1
	v_cmp_ne_u16_sdwa s5, v33, v126 src0_sel:BYTE_0 src1_sel:DWORD
	v_bfrev_b32_e32 v14, 1
	s_and_saveexec_b32 s17, s5
	s_cbranch_execz .LBB397_882
; %bb.877:                              ;   in Loop: Header=BB397_11 Depth=1
	v_and_b32_e32 v1, 0x7f, v33
	v_mov_b32_e32 v14, 0x7f800001
	s_mov_b32 s23, exec_lo
	v_cmpx_ne_u32_e32 0x7f, v1
	s_cbranch_execz .LBB397_881
; %bb.878:                              ;   in Loop: Header=BB397_11 Depth=1
	v_mov_b32_e32 v35, v9
	v_lshrrev_b32_e32 v0, 3, v1
	v_mov_b32_e32 v34, v8
	s_mov_b32 s24, exec_lo
	v_cmpx_gt_u32_e32 8, v1
; %bb.879:                              ;   in Loop: Header=BB397_11 Depth=1
	v_and_b32_e32 v0, 7, v33
	v_ffbh_u32_e32 v0, v0
	v_min_u32_e32 v0, 32, v0
	v_subrev_nc_u32_e32 v1, 28, v0
	v_sub_nc_u32_e32 v0, 29, v0
	v_lshlrev_b64 v[34:35], v1, v[8:9]
; %bb.880:                              ;   in Loop: Header=BB397_11 Depth=1
	s_or_b32 exec_lo, exec_lo, s24
	v_lshlrev_b32_e32 v1, 20, v34
	v_lshlrev_b32_e32 v4, 24, v8
	v_lshl_add_u32 v0, v0, 23, 0x3c000000
	v_and_b32_e32 v1, 0x700000, v1
	v_and_b32_e32 v4, 0x80000000, v4
	v_or3_b32 v14, v1, v4, v0
.LBB397_881:                            ;   in Loop: Header=BB397_11 Depth=1
	s_or_b32 exec_lo, exec_lo, s23
.LBB397_882:                            ;   in Loop: Header=BB397_11 Depth=1
	s_or_b32 exec_lo, exec_lo, s17
.LBB397_883:                            ;   in Loop: Header=BB397_11 Depth=1
	s_or_b32 exec_lo, exec_lo, s6
	v_cmp_ne_u16_sdwa s5, v8, v9 src0_sel:BYTE_1 src1_sel:DWORD
	v_mov_b32_e32 v6, 0
	v_mov_b32_e32 v7, 0
	s_and_saveexec_b32 s6, s5
	s_cbranch_execz .LBB397_891
; %bb.884:                              ;   in Loop: Header=BB397_11 Depth=1
	v_cmp_ne_u16_sdwa s5, v8, v126 src0_sel:BYTE_1 src1_sel:DWORD
	v_bfrev_b32_e32 v7, 1
	s_and_saveexec_b32 s17, s5
	s_cbranch_execz .LBB397_890
; %bb.885:                              ;   in Loop: Header=BB397_11 Depth=1
	v_mov_b32_e32 v0, 0xffff
	v_mov_b32_e32 v7, 0x7f800001
	s_mov_b32 s23, exec_lo
	v_and_b32_sdwa v0, v0, v8 dst_sel:DWORD dst_unused:UNUSED_PAD src0_sel:DWORD src1_sel:BYTE_1
	v_and_b32_e32 v1, 0x7f, v0
	v_cmpx_ne_u32_e32 0x7f, v1
	s_cbranch_execz .LBB397_889
; %bb.886:                              ;   in Loop: Header=BB397_11 Depth=1
	v_and_b32_e32 v34, 7, v0
	v_mov_b32_e32 v35, v9
	v_lshrrev_b32_e32 v0, 3, v1
	s_mov_b32 s24, exec_lo
	v_cmpx_gt_u32_e32 8, v1
; %bb.887:                              ;   in Loop: Header=BB397_11 Depth=1
	v_ffbh_u32_e32 v0, v34
	v_min_u32_e32 v0, 32, v0
	v_subrev_nc_u32_e32 v1, 28, v0
	v_sub_nc_u32_e32 v0, 29, v0
	v_lshlrev_b64 v[11:12], v1, v[34:35]
	v_and_b32_e32 v34, 7, v11
; %bb.888:                              ;   in Loop: Header=BB397_11 Depth=1
	s_or_b32 exec_lo, exec_lo, s24
	v_lshlrev_b32_e32 v1, 16, v8
	v_lshlrev_b32_e32 v4, 20, v34
	v_lshl_add_u32 v0, v0, 23, 0x3c000000
	v_and_b32_e32 v1, 0x80000000, v1
	v_or3_b32 v7, v4, v1, v0
.LBB397_889:                            ;   in Loop: Header=BB397_11 Depth=1
	s_or_b32 exec_lo, exec_lo, s23
.LBB397_890:                            ;   in Loop: Header=BB397_11 Depth=1
	s_or_b32 exec_lo, exec_lo, s17
.LBB397_891:                            ;   in Loop: Header=BB397_11 Depth=1
	s_or_b32 exec_lo, exec_lo, s6
	v_mov_b32_e32 v0, 0xff
	s_mov_b32 s6, exec_lo
	v_and_b32_sdwa v0, v33, v0 dst_sel:DWORD dst_unused:UNUSED_PAD src0_sel:WORD_1 src1_sel:DWORD
	v_cmpx_ne_u16_e32 0, v0
	s_cbranch_execz .LBB397_899
; %bb.892:                              ;   in Loop: Header=BB397_11 Depth=1
	v_bfrev_b32_e32 v6, 1
	s_mov_b32 s17, exec_lo
	v_cmpx_ne_u16_e32 0x80, v0
	s_cbranch_execz .LBB397_898
; %bb.893:                              ;   in Loop: Header=BB397_11 Depth=1
	v_bfe_u32 v1, v33, 16, 7
	v_mov_b32_e32 v6, 0x7f800001
	s_mov_b32 s23, exec_lo
	v_cmpx_ne_u32_e32 0x7f, v1
	s_cbranch_execz .LBB397_897
; %bb.894:                              ;   in Loop: Header=BB397_11 Depth=1
	v_mov_b32_e32 v0, 7
	s_mov_b32 s24, exec_lo
	v_and_b32_sdwa v8, v33, v0 dst_sel:DWORD dst_unused:UNUSED_PAD src0_sel:WORD_1 src1_sel:DWORD
	v_mov_b32_e32 v35, v9
	v_lshrrev_b32_e32 v0, 3, v1
	v_mov_b32_e32 v34, v8
	v_cmpx_gt_u32_e32 8, v1
; %bb.895:                              ;   in Loop: Header=BB397_11 Depth=1
	v_ffbh_u32_e32 v0, v8
	v_min_u32_e32 v0, 32, v0
	v_subrev_nc_u32_e32 v1, 28, v0
	v_sub_nc_u32_e32 v0, 29, v0
	v_lshlrev_b64 v[11:12], v1, v[8:9]
	v_and_b32_e32 v34, 7, v11
; %bb.896:                              ;   in Loop: Header=BB397_11 Depth=1
	s_or_b32 exec_lo, exec_lo, s24
	v_mov_b32_e32 v1, 24
	v_lshlrev_b32_e32 v4, 20, v34
	v_lshl_add_u32 v0, v0, 23, 0x3c000000
	v_lshlrev_b32_sdwa v1, v1, v33 dst_sel:DWORD dst_unused:UNUSED_PAD src0_sel:DWORD src1_sel:WORD_1
	v_and_b32_e32 v1, 0x80000000, v1
	v_or3_b32 v6, v4, v1, v0
.LBB397_897:                            ;   in Loop: Header=BB397_11 Depth=1
	s_or_b32 exec_lo, exec_lo, s23
.LBB397_898:                            ;   in Loop: Header=BB397_11 Depth=1
	s_or_b32 exec_lo, exec_lo, s17
.LBB397_899:                            ;   in Loop: Header=BB397_11 Depth=1
	s_or_b32 exec_lo, exec_lo, s6
	v_mov_b32_e32 v27, 0
	v_mov_b32_e32 v36, 0
	s_mov_b32 s6, exec_lo
	v_cmpx_lt_u64_e64 s[8:9], v[32:33]
	s_cbranch_execz .LBB397_907
; %bb.900:                              ;   in Loop: Header=BB397_11 Depth=1
	v_cmp_ne_u32_sdwa s5, v33, v126 src0_sel:BYTE_3 src1_sel:DWORD
	v_bfrev_b32_e32 v36, 1
	s_and_saveexec_b32 s17, s5
	s_cbranch_execz .LBB397_906
; %bb.901:                              ;   in Loop: Header=BB397_11 Depth=1
	v_bfe_u32 v1, v33, 24, 7
	v_mov_b32_e32 v36, 0x7f800001
	s_mov_b32 s23, exec_lo
	v_cmpx_ne_u32_e32 0x7f, v1
	s_cbranch_execz .LBB397_905
; %bb.902:                              ;   in Loop: Header=BB397_11 Depth=1
	v_mov_b32_e32 v0, 7
	s_mov_b32 s24, exec_lo
	v_and_b32_sdwa v8, v33, v0 dst_sel:DWORD dst_unused:UNUSED_PAD src0_sel:BYTE_3 src1_sel:DWORD
	v_mov_b32_e32 v35, v9
	v_lshrrev_b32_e32 v0, 3, v1
	v_mov_b32_e32 v34, v8
	v_cmpx_gt_u32_e32 8, v1
; %bb.903:                              ;   in Loop: Header=BB397_11 Depth=1
	v_ffbh_u32_e32 v0, v8
	v_min_u32_e32 v0, 32, v0
	v_subrev_nc_u32_e32 v1, 28, v0
	v_sub_nc_u32_e32 v0, 29, v0
	v_lshlrev_b64 v[11:12], v1, v[8:9]
	v_and_b32_e32 v34, 7, v11
; %bb.904:                              ;   in Loop: Header=BB397_11 Depth=1
	s_or_b32 exec_lo, exec_lo, s24
	v_mov_b32_e32 v1, 24
	v_lshlrev_b32_e32 v4, 20, v34
	v_lshl_add_u32 v0, v0, 23, 0x3c000000
	v_lshlrev_b32_sdwa v1, v1, v33 dst_sel:DWORD dst_unused:UNUSED_PAD src0_sel:DWORD src1_sel:BYTE_3
	v_and_b32_e32 v1, 0x80000000, v1
	v_or3_b32 v36, v4, v1, v0
.LBB397_905:                            ;   in Loop: Header=BB397_11 Depth=1
	s_or_b32 exec_lo, exec_lo, s23
.LBB397_906:                            ;   in Loop: Header=BB397_11 Depth=1
	s_or_b32 exec_lo, exec_lo, s17
.LBB397_907:                            ;   in Loop: Header=BB397_11 Depth=1
	s_or_b32 exec_lo, exec_lo, s6
	flat_load_dwordx2 v[32:33], v[30:31] offset:1536
	s_waitcnt vmcnt(0) lgkmcnt(0)
	v_cmp_ne_u16_sdwa s5, v32, v9 src0_sel:BYTE_0 src1_sel:DWORD
	s_and_saveexec_b32 s6, s5
	s_cbranch_execz .LBB397_915
; %bb.908:                              ;   in Loop: Header=BB397_11 Depth=1
	v_cmp_ne_u16_sdwa s5, v32, v126 src0_sel:BYTE_0 src1_sel:DWORD
	v_bfrev_b32_e32 v27, 1
	s_and_saveexec_b32 s17, s5
	s_cbranch_execz .LBB397_914
; %bb.909:                              ;   in Loop: Header=BB397_11 Depth=1
	v_and_b32_e32 v1, 0x7f, v32
	v_mov_b32_e32 v27, 0x7f800001
	s_mov_b32 s23, exec_lo
	v_cmpx_ne_u32_e32 0x7f, v1
	s_cbranch_execz .LBB397_913
; %bb.910:                              ;   in Loop: Header=BB397_11 Depth=1
	v_mov_b32_e32 v35, v33
	v_lshrrev_b32_e32 v0, 3, v1
	v_mov_b32_e32 v34, v32
	s_mov_b32 s24, exec_lo
	v_cmpx_gt_u32_e32 8, v1
; %bb.911:                              ;   in Loop: Header=BB397_11 Depth=1
	v_and_b32_e32 v0, 7, v32
	v_ffbh_u32_e32 v0, v0
	v_min_u32_e32 v0, 32, v0
	v_subrev_nc_u32_e32 v1, 28, v0
	v_sub_nc_u32_e32 v0, 29, v0
	v_lshlrev_b64 v[34:35], v1, v[32:33]
; %bb.912:                              ;   in Loop: Header=BB397_11 Depth=1
	s_or_b32 exec_lo, exec_lo, s24
	v_lshlrev_b32_e32 v1, 20, v34
	v_lshlrev_b32_e32 v4, 24, v32
	v_lshl_add_u32 v0, v0, 23, 0x3c000000
	v_and_b32_e32 v1, 0x700000, v1
	v_and_b32_e32 v4, 0x80000000, v4
	v_or3_b32 v27, v1, v4, v0
.LBB397_913:                            ;   in Loop: Header=BB397_11 Depth=1
	s_or_b32 exec_lo, exec_lo, s23
.LBB397_914:                            ;   in Loop: Header=BB397_11 Depth=1
	s_or_b32 exec_lo, exec_lo, s17
.LBB397_915:                            ;   in Loop: Header=BB397_11 Depth=1
	s_or_b32 exec_lo, exec_lo, s6
	v_cmp_ne_u16_sdwa s5, v32, v9 src0_sel:BYTE_1 src1_sel:DWORD
	v_mov_b32_e32 v1, 0
	v_mov_b32_e32 v22, 0
	s_and_saveexec_b32 s6, s5
	s_cbranch_execz .LBB397_923
; %bb.916:                              ;   in Loop: Header=BB397_11 Depth=1
	v_cmp_ne_u16_sdwa s5, v32, v126 src0_sel:BYTE_1 src1_sel:DWORD
	v_bfrev_b32_e32 v22, 1
	s_and_saveexec_b32 s17, s5
	s_cbranch_execz .LBB397_922
; %bb.917:                              ;   in Loop: Header=BB397_11 Depth=1
	v_mov_b32_e32 v0, 0xffff
	v_mov_b32_e32 v22, 0x7f800001
	s_mov_b32 s23, exec_lo
	v_and_b32_sdwa v0, v0, v32 dst_sel:DWORD dst_unused:UNUSED_PAD src0_sel:DWORD src1_sel:BYTE_1
	v_and_b32_e32 v4, 0x7f, v0
	v_cmpx_ne_u32_e32 0x7f, v4
	s_cbranch_execz .LBB397_921
; %bb.918:                              ;   in Loop: Header=BB397_11 Depth=1
	v_and_b32_e32 v8, 7, v0
	v_mov_b32_e32 v35, v9
	v_lshrrev_b32_e32 v0, 3, v4
	s_mov_b32 s24, exec_lo
	v_mov_b32_e32 v34, v8
	v_cmpx_gt_u32_e32 8, v4
; %bb.919:                              ;   in Loop: Header=BB397_11 Depth=1
	v_ffbh_u32_e32 v0, v8
	v_min_u32_e32 v0, 32, v0
	v_subrev_nc_u32_e32 v4, 28, v0
	v_sub_nc_u32_e32 v0, 29, v0
	v_lshlrev_b64 v[11:12], v4, v[8:9]
	v_and_b32_e32 v34, 7, v11
; %bb.920:                              ;   in Loop: Header=BB397_11 Depth=1
	s_or_b32 exec_lo, exec_lo, s24
	v_lshlrev_b32_e32 v4, 16, v32
	v_lshlrev_b32_e32 v8, 20, v34
	v_lshl_add_u32 v0, v0, 23, 0x3c000000
	v_and_b32_e32 v4, 0x80000000, v4
	v_or3_b32 v22, v8, v4, v0
.LBB397_921:                            ;   in Loop: Header=BB397_11 Depth=1
	s_or_b32 exec_lo, exec_lo, s23
.LBB397_922:                            ;   in Loop: Header=BB397_11 Depth=1
	s_or_b32 exec_lo, exec_lo, s17
.LBB397_923:                            ;   in Loop: Header=BB397_11 Depth=1
	s_or_b32 exec_lo, exec_lo, s6
	v_mov_b32_e32 v0, 0xff
	s_mov_b32 s6, exec_lo
	v_and_b32_sdwa v0, v32, v0 dst_sel:DWORD dst_unused:UNUSED_PAD src0_sel:WORD_1 src1_sel:DWORD
	v_cmpx_ne_u16_e32 0, v0
	s_cbranch_execz .LBB397_931
; %bb.924:                              ;   in Loop: Header=BB397_11 Depth=1
	v_bfrev_b32_e32 v1, 1
	s_mov_b32 s17, exec_lo
	v_cmpx_ne_u16_e32 0x80, v0
	s_cbranch_execz .LBB397_930
; %bb.925:                              ;   in Loop: Header=BB397_11 Depth=1
	v_bfe_u32 v4, v32, 16, 7
	v_mov_b32_e32 v1, 0x7f800001
	s_mov_b32 s23, exec_lo
	v_cmpx_ne_u32_e32 0x7f, v4
	s_cbranch_execz .LBB397_929
; %bb.926:                              ;   in Loop: Header=BB397_11 Depth=1
	v_mov_b32_e32 v0, 7
	s_mov_b32 s24, exec_lo
	v_and_b32_sdwa v8, v32, v0 dst_sel:DWORD dst_unused:UNUSED_PAD src0_sel:WORD_1 src1_sel:DWORD
	v_mov_b32_e32 v35, v9
	v_lshrrev_b32_e32 v0, 3, v4
	v_mov_b32_e32 v34, v8
	v_cmpx_gt_u32_e32 8, v4
; %bb.927:                              ;   in Loop: Header=BB397_11 Depth=1
	v_ffbh_u32_e32 v0, v8
	v_min_u32_e32 v0, 32, v0
	v_subrev_nc_u32_e32 v1, 28, v0
	v_sub_nc_u32_e32 v0, 29, v0
	v_lshlrev_b64 v[11:12], v1, v[8:9]
	v_and_b32_e32 v34, 7, v11
; %bb.928:                              ;   in Loop: Header=BB397_11 Depth=1
	s_or_b32 exec_lo, exec_lo, s24
	v_mov_b32_e32 v1, 24
	v_lshlrev_b32_e32 v4, 20, v34
	v_lshl_add_u32 v0, v0, 23, 0x3c000000
	v_lshlrev_b32_sdwa v1, v1, v32 dst_sel:DWORD dst_unused:UNUSED_PAD src0_sel:DWORD src1_sel:WORD_1
	v_and_b32_e32 v1, 0x80000000, v1
	v_or3_b32 v1, v4, v1, v0
.LBB397_929:                            ;   in Loop: Header=BB397_11 Depth=1
	s_or_b32 exec_lo, exec_lo, s23
.LBB397_930:                            ;   in Loop: Header=BB397_11 Depth=1
	s_or_b32 exec_lo, exec_lo, s17
.LBB397_931:                            ;   in Loop: Header=BB397_11 Depth=1
	s_or_b32 exec_lo, exec_lo, s6
	v_mov_b32_e32 v38, 0
	v_mov_b32_e32 v0, 0
	s_mov_b32 s6, exec_lo
	v_cmpx_lt_u32_e32 0xffffff, v32
	s_cbranch_execz .LBB397_939
; %bb.932:                              ;   in Loop: Header=BB397_11 Depth=1
	v_cmp_ne_u32_sdwa s5, v32, v126 src0_sel:BYTE_3 src1_sel:DWORD
	v_bfrev_b32_e32 v0, 1
	s_and_saveexec_b32 s17, s5
	s_cbranch_execz .LBB397_938
; %bb.933:                              ;   in Loop: Header=BB397_11 Depth=1
	v_bfe_u32 v4, v32, 24, 7
	v_mov_b32_e32 v0, 0x7f800001
	s_mov_b32 s23, exec_lo
	v_cmpx_ne_u32_e32 0x7f, v4
	s_cbranch_execz .LBB397_937
; %bb.934:                              ;   in Loop: Header=BB397_11 Depth=1
	v_mov_b32_e32 v0, 7
	s_mov_b32 s24, exec_lo
	v_and_b32_sdwa v8, v32, v0 dst_sel:DWORD dst_unused:UNUSED_PAD src0_sel:BYTE_3 src1_sel:DWORD
	v_mov_b32_e32 v35, v9
	v_lshrrev_b32_e32 v0, 3, v4
	v_mov_b32_e32 v34, v8
	v_cmpx_gt_u32_e32 8, v4
; %bb.935:                              ;   in Loop: Header=BB397_11 Depth=1
	v_ffbh_u32_e32 v0, v8
	v_min_u32_e32 v0, 32, v0
	v_subrev_nc_u32_e32 v4, 28, v0
	v_sub_nc_u32_e32 v0, 29, v0
	v_lshlrev_b64 v[11:12], v4, v[8:9]
	v_and_b32_e32 v34, 7, v11
; %bb.936:                              ;   in Loop: Header=BB397_11 Depth=1
	s_or_b32 exec_lo, exec_lo, s24
	v_mov_b32_e32 v4, 24
	v_lshlrev_b32_e32 v8, 20, v34
	v_lshl_add_u32 v0, v0, 23, 0x3c000000
	v_lshlrev_b32_sdwa v4, v4, v32 dst_sel:DWORD dst_unused:UNUSED_PAD src0_sel:DWORD src1_sel:BYTE_3
	v_and_b32_e32 v4, 0x80000000, v4
	v_or3_b32 v0, v8, v4, v0
.LBB397_937:                            ;   in Loop: Header=BB397_11 Depth=1
	s_or_b32 exec_lo, exec_lo, s23
.LBB397_938:                            ;   in Loop: Header=BB397_11 Depth=1
	s_or_b32 exec_lo, exec_lo, s17
.LBB397_939:                            ;   in Loop: Header=BB397_11 Depth=1
	s_or_b32 exec_lo, exec_lo, s6
	v_mov_b32_e32 v8, v33
	v_cmp_ne_u16_sdwa s5, v33, v9 src0_sel:BYTE_0 src1_sel:DWORD
	s_and_saveexec_b32 s6, s5
	s_cbranch_execz .LBB397_947
; %bb.940:                              ;   in Loop: Header=BB397_11 Depth=1
	v_cmp_ne_u16_sdwa s5, v33, v126 src0_sel:BYTE_0 src1_sel:DWORD
	v_bfrev_b32_e32 v38, 1
	s_and_saveexec_b32 s17, s5
	s_cbranch_execz .LBB397_946
; %bb.941:                              ;   in Loop: Header=BB397_11 Depth=1
	v_and_b32_e32 v11, 0x7f, v33
	v_mov_b32_e32 v38, 0x7f800001
	s_mov_b32 s23, exec_lo
	v_cmpx_ne_u32_e32 0x7f, v11
	s_cbranch_execz .LBB397_945
; %bb.942:                              ;   in Loop: Header=BB397_11 Depth=1
	v_mov_b32_e32 v35, v9
	v_lshrrev_b32_e32 v4, 3, v11
	v_mov_b32_e32 v34, v8
	s_mov_b32 s24, exec_lo
	v_cmpx_gt_u32_e32 8, v11
; %bb.943:                              ;   in Loop: Header=BB397_11 Depth=1
	v_and_b32_e32 v4, 7, v33
	v_ffbh_u32_e32 v4, v4
	v_min_u32_e32 v4, 32, v4
	v_subrev_nc_u32_e32 v11, 28, v4
	v_sub_nc_u32_e32 v4, 29, v4
	v_lshlrev_b64 v[34:35], v11, v[8:9]
; %bb.944:                              ;   in Loop: Header=BB397_11 Depth=1
	s_or_b32 exec_lo, exec_lo, s24
	v_lshlrev_b32_e32 v11, 20, v34
	v_lshlrev_b32_e32 v12, 24, v8
	v_lshl_add_u32 v4, v4, 23, 0x3c000000
	v_and_b32_e32 v11, 0x700000, v11
	v_and_b32_e32 v12, 0x80000000, v12
	v_or3_b32 v38, v11, v12, v4
.LBB397_945:                            ;   in Loop: Header=BB397_11 Depth=1
	s_or_b32 exec_lo, exec_lo, s23
.LBB397_946:                            ;   in Loop: Header=BB397_11 Depth=1
	s_or_b32 exec_lo, exec_lo, s17
.LBB397_947:                            ;   in Loop: Header=BB397_11 Depth=1
	s_or_b32 exec_lo, exec_lo, s6
	v_cmp_ne_u16_sdwa s5, v8, v9 src0_sel:BYTE_1 src1_sel:DWORD
	v_mov_b32_e32 v125, 0
	v_mov_b32_e32 v45, 0
	s_and_saveexec_b32 s6, s5
	s_cbranch_execz .LBB397_955
; %bb.948:                              ;   in Loop: Header=BB397_11 Depth=1
	v_cmp_ne_u16_sdwa s5, v8, v126 src0_sel:BYTE_1 src1_sel:DWORD
	v_bfrev_b32_e32 v45, 1
	s_and_saveexec_b32 s17, s5
	s_cbranch_execz .LBB397_954
; %bb.949:                              ;   in Loop: Header=BB397_11 Depth=1
	v_mov_b32_e32 v4, 0xffff
	v_mov_b32_e32 v45, 0x7f800001
	s_mov_b32 s23, exec_lo
	v_and_b32_sdwa v4, v4, v8 dst_sel:DWORD dst_unused:UNUSED_PAD src0_sel:DWORD src1_sel:BYTE_1
	v_and_b32_e32 v11, 0x7f, v4
	v_cmpx_ne_u32_e32 0x7f, v11
	s_cbranch_execz .LBB397_953
; %bb.950:                              ;   in Loop: Header=BB397_11 Depth=1
	v_and_b32_e32 v34, 7, v4
	v_mov_b32_e32 v35, v9
	v_lshrrev_b32_e32 v4, 3, v11
	s_mov_b32 s24, exec_lo
	v_cmpx_gt_u32_e32 8, v11
; %bb.951:                              ;   in Loop: Header=BB397_11 Depth=1
	v_ffbh_u32_e32 v4, v34
	v_min_u32_e32 v4, 32, v4
	v_subrev_nc_u32_e32 v11, 28, v4
	v_sub_nc_u32_e32 v4, 29, v4
	v_lshlrev_b64 v[11:12], v11, v[34:35]
	v_and_b32_e32 v34, 7, v11
; %bb.952:                              ;   in Loop: Header=BB397_11 Depth=1
	s_or_b32 exec_lo, exec_lo, s24
	v_lshlrev_b32_e32 v8, 16, v8
	v_lshlrev_b32_e32 v11, 20, v34
	v_lshl_add_u32 v4, v4, 23, 0x3c000000
	v_and_b32_e32 v8, 0x80000000, v8
	v_or3_b32 v45, v11, v8, v4
.LBB397_953:                            ;   in Loop: Header=BB397_11 Depth=1
	s_or_b32 exec_lo, exec_lo, s23
.LBB397_954:                            ;   in Loop: Header=BB397_11 Depth=1
	s_or_b32 exec_lo, exec_lo, s17
.LBB397_955:                            ;   in Loop: Header=BB397_11 Depth=1
	s_or_b32 exec_lo, exec_lo, s6
	v_mov_b32_e32 v4, 0xff
	s_mov_b32 s6, exec_lo
	v_and_b32_sdwa v4, v33, v4 dst_sel:DWORD dst_unused:UNUSED_PAD src0_sel:WORD_1 src1_sel:DWORD
	v_cmpx_ne_u16_e32 0, v4
	s_cbranch_execz .LBB397_963
; %bb.956:                              ;   in Loop: Header=BB397_11 Depth=1
	v_bfrev_b32_e32 v125, 1
	s_mov_b32 s17, exec_lo
	v_cmpx_ne_u16_e32 0x80, v4
	s_cbranch_execz .LBB397_962
; %bb.957:                              ;   in Loop: Header=BB397_11 Depth=1
	v_bfe_u32 v11, v33, 16, 7
	v_mov_b32_e32 v125, 0x7f800001
	s_mov_b32 s23, exec_lo
	v_cmpx_ne_u32_e32 0x7f, v11
	s_cbranch_execz .LBB397_961
; %bb.958:                              ;   in Loop: Header=BB397_11 Depth=1
	v_mov_b32_e32 v4, 7
	s_mov_b32 s24, exec_lo
	v_and_b32_sdwa v8, v33, v4 dst_sel:DWORD dst_unused:UNUSED_PAD src0_sel:WORD_1 src1_sel:DWORD
	v_mov_b32_e32 v35, v9
	v_lshrrev_b32_e32 v4, 3, v11
	v_mov_b32_e32 v34, v8
	v_cmpx_gt_u32_e32 8, v11
; %bb.959:                              ;   in Loop: Header=BB397_11 Depth=1
	v_ffbh_u32_e32 v4, v8
	v_min_u32_e32 v4, 32, v4
	v_subrev_nc_u32_e32 v11, 28, v4
	v_sub_nc_u32_e32 v4, 29, v4
	v_lshlrev_b64 v[11:12], v11, v[8:9]
	v_and_b32_e32 v34, 7, v11
; %bb.960:                              ;   in Loop: Header=BB397_11 Depth=1
	s_or_b32 exec_lo, exec_lo, s24
	v_mov_b32_e32 v8, 24
	v_lshlrev_b32_e32 v11, 20, v34
	v_lshl_add_u32 v4, v4, 23, 0x3c000000
	v_lshlrev_b32_sdwa v8, v8, v33 dst_sel:DWORD dst_unused:UNUSED_PAD src0_sel:DWORD src1_sel:WORD_1
	v_and_b32_e32 v8, 0x80000000, v8
	v_or3_b32 v125, v11, v8, v4
.LBB397_961:                            ;   in Loop: Header=BB397_11 Depth=1
	s_or_b32 exec_lo, exec_lo, s23
.LBB397_962:                            ;   in Loop: Header=BB397_11 Depth=1
	s_or_b32 exec_lo, exec_lo, s17
.LBB397_963:                            ;   in Loop: Header=BB397_11 Depth=1
	s_or_b32 exec_lo, exec_lo, s6
	v_mov_b32_e32 v71, 0
	v_mov_b32_e32 v127, 0
	s_mov_b32 s6, exec_lo
	v_cmpx_lt_u64_e64 s[8:9], v[32:33]
	s_cbranch_execz .LBB397_971
; %bb.964:                              ;   in Loop: Header=BB397_11 Depth=1
	v_cmp_ne_u32_sdwa s5, v33, v126 src0_sel:BYTE_3 src1_sel:DWORD
	v_bfrev_b32_e32 v127, 1
	s_and_saveexec_b32 s17, s5
	s_cbranch_execz .LBB397_970
; %bb.965:                              ;   in Loop: Header=BB397_11 Depth=1
	v_bfe_u32 v11, v33, 24, 7
	v_mov_b32_e32 v127, 0x7f800001
	s_mov_b32 s23, exec_lo
	v_cmpx_ne_u32_e32 0x7f, v11
	s_cbranch_execz .LBB397_969
; %bb.966:                              ;   in Loop: Header=BB397_11 Depth=1
	v_mov_b32_e32 v4, 7
	s_mov_b32 s24, exec_lo
	v_and_b32_sdwa v8, v33, v4 dst_sel:DWORD dst_unused:UNUSED_PAD src0_sel:BYTE_3 src1_sel:DWORD
	v_mov_b32_e32 v35, v9
	v_lshrrev_b32_e32 v4, 3, v11
	v_mov_b32_e32 v34, v8
	v_cmpx_gt_u32_e32 8, v11
; %bb.967:                              ;   in Loop: Header=BB397_11 Depth=1
	v_ffbh_u32_e32 v4, v8
	v_min_u32_e32 v4, 32, v4
	v_subrev_nc_u32_e32 v11, 28, v4
	v_sub_nc_u32_e32 v4, 29, v4
	v_lshlrev_b64 v[11:12], v11, v[8:9]
	v_and_b32_e32 v34, 7, v11
; %bb.968:                              ;   in Loop: Header=BB397_11 Depth=1
	s_or_b32 exec_lo, exec_lo, s24
	v_mov_b32_e32 v8, 24
	v_lshlrev_b32_e32 v11, 20, v34
	v_lshl_add_u32 v4, v4, 23, 0x3c000000
	v_lshlrev_b32_sdwa v8, v8, v33 dst_sel:DWORD dst_unused:UNUSED_PAD src0_sel:DWORD src1_sel:BYTE_3
	v_and_b32_e32 v8, 0x80000000, v8
	v_or3_b32 v127, v11, v8, v4
.LBB397_969:                            ;   in Loop: Header=BB397_11 Depth=1
	s_or_b32 exec_lo, exec_lo, s23
.LBB397_970:                            ;   in Loop: Header=BB397_11 Depth=1
	s_or_b32 exec_lo, exec_lo, s17
.LBB397_971:                            ;   in Loop: Header=BB397_11 Depth=1
	s_or_b32 exec_lo, exec_lo, s6
	flat_load_dwordx2 v[30:31], v[30:31] offset:1544
	s_waitcnt vmcnt(0) lgkmcnt(0)
	v_cmp_ne_u16_sdwa s5, v30, v9 src0_sel:BYTE_0 src1_sel:DWORD
	s_and_saveexec_b32 s6, s5
	s_cbranch_execz .LBB397_979
; %bb.972:                              ;   in Loop: Header=BB397_11 Depth=1
	v_cmp_ne_u16_sdwa s5, v30, v126 src0_sel:BYTE_0 src1_sel:DWORD
	v_bfrev_b32_e32 v71, 1
	s_and_saveexec_b32 s17, s5
	s_cbranch_execz .LBB397_978
; %bb.973:                              ;   in Loop: Header=BB397_11 Depth=1
	v_and_b32_e32 v8, 0x7f, v30
	v_mov_b32_e32 v71, 0x7f800001
	s_mov_b32 s23, exec_lo
	v_cmpx_ne_u32_e32 0x7f, v8
	s_cbranch_execz .LBB397_977
; %bb.974:                              ;   in Loop: Header=BB397_11 Depth=1
	v_mov_b32_e32 v33, v31
	v_lshrrev_b32_e32 v4, 3, v8
	v_mov_b32_e32 v32, v30
	s_mov_b32 s24, exec_lo
	v_cmpx_gt_u32_e32 8, v8
; %bb.975:                              ;   in Loop: Header=BB397_11 Depth=1
	v_and_b32_e32 v4, 7, v30
	v_ffbh_u32_e32 v4, v4
	v_min_u32_e32 v4, 32, v4
	v_subrev_nc_u32_e32 v8, 28, v4
	v_sub_nc_u32_e32 v4, 29, v4
	v_lshlrev_b64 v[32:33], v8, v[30:31]
; %bb.976:                              ;   in Loop: Header=BB397_11 Depth=1
	s_or_b32 exec_lo, exec_lo, s24
	v_lshlrev_b32_e32 v8, 20, v32
	v_lshlrev_b32_e32 v11, 24, v30
	v_lshl_add_u32 v4, v4, 23, 0x3c000000
	v_and_b32_e32 v8, 0x700000, v8
	v_and_b32_e32 v11, 0x80000000, v11
	v_or3_b32 v71, v8, v11, v4
.LBB397_977:                            ;   in Loop: Header=BB397_11 Depth=1
	s_or_b32 exec_lo, exec_lo, s23
.LBB397_978:                            ;   in Loop: Header=BB397_11 Depth=1
	s_or_b32 exec_lo, exec_lo, s17
.LBB397_979:                            ;   in Loop: Header=BB397_11 Depth=1
	s_or_b32 exec_lo, exec_lo, s6
	v_cmp_ne_u16_sdwa s5, v30, v9 src0_sel:BYTE_1 src1_sel:DWORD
	v_mov_b32_e32 v52, 0
	v_mov_b32_e32 v60, 0
	s_and_saveexec_b32 s6, s5
	s_cbranch_execz .LBB397_987
; %bb.980:                              ;   in Loop: Header=BB397_11 Depth=1
	v_cmp_ne_u16_sdwa s5, v30, v126 src0_sel:BYTE_1 src1_sel:DWORD
	v_bfrev_b32_e32 v60, 1
	s_and_saveexec_b32 s17, s5
	s_cbranch_execz .LBB397_986
; %bb.981:                              ;   in Loop: Header=BB397_11 Depth=1
	v_mov_b32_e32 v4, 0xffff
	v_mov_b32_e32 v60, 0x7f800001
	s_mov_b32 s23, exec_lo
	v_and_b32_sdwa v4, v4, v30 dst_sel:DWORD dst_unused:UNUSED_PAD src0_sel:DWORD src1_sel:BYTE_1
	v_and_b32_e32 v11, 0x7f, v4
	v_cmpx_ne_u32_e32 0x7f, v11
	s_cbranch_execz .LBB397_985
; %bb.982:                              ;   in Loop: Header=BB397_11 Depth=1
	v_and_b32_e32 v8, 7, v4
	v_mov_b32_e32 v33, v9
	v_lshrrev_b32_e32 v4, 3, v11
	s_mov_b32 s24, exec_lo
	v_mov_b32_e32 v32, v8
	v_cmpx_gt_u32_e32 8, v11
; %bb.983:                              ;   in Loop: Header=BB397_11 Depth=1
	v_ffbh_u32_e32 v4, v8
	v_min_u32_e32 v4, 32, v4
	v_subrev_nc_u32_e32 v11, 28, v4
	v_sub_nc_u32_e32 v4, 29, v4
	v_lshlrev_b64 v[11:12], v11, v[8:9]
	v_and_b32_e32 v32, 7, v11
; %bb.984:                              ;   in Loop: Header=BB397_11 Depth=1
	s_or_b32 exec_lo, exec_lo, s24
	v_lshlrev_b32_e32 v8, 16, v30
	v_lshlrev_b32_e32 v11, 20, v32
	v_lshl_add_u32 v4, v4, 23, 0x3c000000
	v_and_b32_e32 v8, 0x80000000, v8
	v_or3_b32 v60, v11, v8, v4
.LBB397_985:                            ;   in Loop: Header=BB397_11 Depth=1
	s_or_b32 exec_lo, exec_lo, s23
.LBB397_986:                            ;   in Loop: Header=BB397_11 Depth=1
	s_or_b32 exec_lo, exec_lo, s17
.LBB397_987:                            ;   in Loop: Header=BB397_11 Depth=1
	s_or_b32 exec_lo, exec_lo, s6
	v_mov_b32_e32 v4, 0xff
	s_mov_b32 s6, exec_lo
	v_and_b32_sdwa v4, v30, v4 dst_sel:DWORD dst_unused:UNUSED_PAD src0_sel:WORD_1 src1_sel:DWORD
	v_cmpx_ne_u16_e32 0, v4
	s_cbranch_execz .LBB397_995
; %bb.988:                              ;   in Loop: Header=BB397_11 Depth=1
	v_bfrev_b32_e32 v52, 1
	s_mov_b32 s17, exec_lo
	v_cmpx_ne_u16_e32 0x80, v4
	s_cbranch_execz .LBB397_994
; %bb.989:                              ;   in Loop: Header=BB397_11 Depth=1
	v_bfe_u32 v11, v30, 16, 7
	v_mov_b32_e32 v52, 0x7f800001
	s_mov_b32 s23, exec_lo
	v_cmpx_ne_u32_e32 0x7f, v11
	s_cbranch_execz .LBB397_993
; %bb.990:                              ;   in Loop: Header=BB397_11 Depth=1
	v_mov_b32_e32 v4, 7
	s_mov_b32 s24, exec_lo
	v_and_b32_sdwa v8, v30, v4 dst_sel:DWORD dst_unused:UNUSED_PAD src0_sel:WORD_1 src1_sel:DWORD
	v_mov_b32_e32 v33, v9
	v_lshrrev_b32_e32 v4, 3, v11
	v_mov_b32_e32 v32, v8
	v_cmpx_gt_u32_e32 8, v11
; %bb.991:                              ;   in Loop: Header=BB397_11 Depth=1
	v_ffbh_u32_e32 v4, v8
	v_min_u32_e32 v4, 32, v4
	v_subrev_nc_u32_e32 v11, 28, v4
	v_sub_nc_u32_e32 v4, 29, v4
	v_lshlrev_b64 v[11:12], v11, v[8:9]
	v_and_b32_e32 v32, 7, v11
; %bb.992:                              ;   in Loop: Header=BB397_11 Depth=1
	s_or_b32 exec_lo, exec_lo, s24
	v_mov_b32_e32 v8, 24
	v_lshlrev_b32_e32 v11, 20, v32
	v_lshl_add_u32 v4, v4, 23, 0x3c000000
	v_lshlrev_b32_sdwa v8, v8, v30 dst_sel:DWORD dst_unused:UNUSED_PAD src0_sel:DWORD src1_sel:WORD_1
	v_and_b32_e32 v8, 0x80000000, v8
	v_or3_b32 v52, v11, v8, v4
.LBB397_993:                            ;   in Loop: Header=BB397_11 Depth=1
	s_or_b32 exec_lo, exec_lo, s23
.LBB397_994:                            ;   in Loop: Header=BB397_11 Depth=1
	s_or_b32 exec_lo, exec_lo, s17
.LBB397_995:                            ;   in Loop: Header=BB397_11 Depth=1
	s_or_b32 exec_lo, exec_lo, s6
	v_mov_b32_e32 v44, 0
	v_mov_b32_e32 v51, 0
	s_mov_b32 s6, exec_lo
	v_cmpx_lt_u32_e32 0xffffff, v30
	s_cbranch_execz .LBB397_1003
; %bb.996:                              ;   in Loop: Header=BB397_11 Depth=1
	v_cmp_ne_u32_sdwa s5, v30, v126 src0_sel:BYTE_3 src1_sel:DWORD
	v_bfrev_b32_e32 v51, 1
	s_and_saveexec_b32 s17, s5
	s_cbranch_execz .LBB397_1002
; %bb.997:                              ;   in Loop: Header=BB397_11 Depth=1
	v_bfe_u32 v11, v30, 24, 7
	v_mov_b32_e32 v51, 0x7f800001
	s_mov_b32 s23, exec_lo
	v_cmpx_ne_u32_e32 0x7f, v11
	s_cbranch_execz .LBB397_1001
; %bb.998:                              ;   in Loop: Header=BB397_11 Depth=1
	v_mov_b32_e32 v4, 7
	s_mov_b32 s24, exec_lo
	v_and_b32_sdwa v8, v30, v4 dst_sel:DWORD dst_unused:UNUSED_PAD src0_sel:BYTE_3 src1_sel:DWORD
	v_mov_b32_e32 v33, v9
	v_lshrrev_b32_e32 v4, 3, v11
	v_mov_b32_e32 v32, v8
	v_cmpx_gt_u32_e32 8, v11
; %bb.999:                              ;   in Loop: Header=BB397_11 Depth=1
	v_ffbh_u32_e32 v4, v8
	v_min_u32_e32 v4, 32, v4
	v_subrev_nc_u32_e32 v11, 28, v4
	v_sub_nc_u32_e32 v4, 29, v4
	v_lshlrev_b64 v[11:12], v11, v[8:9]
	v_and_b32_e32 v32, 7, v11
; %bb.1000:                             ;   in Loop: Header=BB397_11 Depth=1
	s_or_b32 exec_lo, exec_lo, s24
	v_mov_b32_e32 v8, 24
	v_lshlrev_b32_e32 v11, 20, v32
	v_lshl_add_u32 v4, v4, 23, 0x3c000000
	v_lshlrev_b32_sdwa v8, v8, v30 dst_sel:DWORD dst_unused:UNUSED_PAD src0_sel:DWORD src1_sel:BYTE_3
	v_and_b32_e32 v8, 0x80000000, v8
	v_or3_b32 v51, v11, v8, v4
.LBB397_1001:                           ;   in Loop: Header=BB397_11 Depth=1
	s_or_b32 exec_lo, exec_lo, s23
.LBB397_1002:                           ;   in Loop: Header=BB397_11 Depth=1
	s_or_b32 exec_lo, exec_lo, s17
.LBB397_1003:                           ;   in Loop: Header=BB397_11 Depth=1
	s_or_b32 exec_lo, exec_lo, s6
	v_mov_b32_e32 v8, v31
	v_cmp_ne_u16_sdwa s5, v31, v9 src0_sel:BYTE_0 src1_sel:DWORD
	s_and_saveexec_b32 s6, s5
	s_cbranch_execz .LBB397_1011
; %bb.1004:                             ;   in Loop: Header=BB397_11 Depth=1
	v_cmp_ne_u16_sdwa s5, v31, v126 src0_sel:BYTE_0 src1_sel:DWORD
	v_bfrev_b32_e32 v44, 1
	s_and_saveexec_b32 s17, s5
	s_cbranch_execz .LBB397_1010
; %bb.1005:                             ;   in Loop: Header=BB397_11 Depth=1
	v_and_b32_e32 v11, 0x7f, v31
	v_mov_b32_e32 v44, 0x7f800001
	s_mov_b32 s23, exec_lo
	v_cmpx_ne_u32_e32 0x7f, v11
	s_cbranch_execz .LBB397_1009
; %bb.1006:                             ;   in Loop: Header=BB397_11 Depth=1
	v_mov_b32_e32 v33, v9
	v_mov_b32_e32 v32, v8
	v_lshrrev_b32_e32 v4, 3, v11
	s_mov_b32 s24, exec_lo
	v_cmpx_gt_u32_e32 8, v11
; %bb.1007:                             ;   in Loop: Header=BB397_11 Depth=1
	v_and_b32_e32 v4, 7, v31
	v_ffbh_u32_e32 v4, v4
	v_min_u32_e32 v4, 32, v4
	v_subrev_nc_u32_e32 v11, 28, v4
	v_sub_nc_u32_e32 v4, 29, v4
	v_lshlrev_b64 v[32:33], v11, v[8:9]
; %bb.1008:                             ;   in Loop: Header=BB397_11 Depth=1
	s_or_b32 exec_lo, exec_lo, s24
	v_lshlrev_b32_e32 v11, 20, v32
	v_lshlrev_b32_e32 v12, 24, v8
	v_lshl_add_u32 v4, v4, 23, 0x3c000000
	v_and_b32_e32 v11, 0x700000, v11
	v_and_b32_e32 v12, 0x80000000, v12
	v_or3_b32 v44, v11, v12, v4
.LBB397_1009:                           ;   in Loop: Header=BB397_11 Depth=1
	s_or_b32 exec_lo, exec_lo, s23
.LBB397_1010:                           ;   in Loop: Header=BB397_11 Depth=1
	s_or_b32 exec_lo, exec_lo, s17
.LBB397_1011:                           ;   in Loop: Header=BB397_11 Depth=1
	s_or_b32 exec_lo, exec_lo, s6
	v_cmp_ne_u16_sdwa s5, v8, v9 src0_sel:BYTE_1 src1_sel:DWORD
	v_mov_b32_e32 v88, 0
	v_mov_b32_e32 v87, 0
	s_and_saveexec_b32 s6, s5
	s_cbranch_execz .LBB397_1019
; %bb.1012:                             ;   in Loop: Header=BB397_11 Depth=1
	v_cmp_ne_u16_sdwa s5, v8, v126 src0_sel:BYTE_1 src1_sel:DWORD
	v_bfrev_b32_e32 v87, 1
	s_and_saveexec_b32 s17, s5
	s_cbranch_execz .LBB397_1018
; %bb.1013:                             ;   in Loop: Header=BB397_11 Depth=1
	v_mov_b32_e32 v4, 0xffff
	v_mov_b32_e32 v87, 0x7f800001
	s_mov_b32 s23, exec_lo
	v_and_b32_sdwa v4, v4, v8 dst_sel:DWORD dst_unused:UNUSED_PAD src0_sel:DWORD src1_sel:BYTE_1
	v_and_b32_e32 v11, 0x7f, v4
	v_cmpx_ne_u32_e32 0x7f, v11
	s_cbranch_execz .LBB397_1017
; %bb.1014:                             ;   in Loop: Header=BB397_11 Depth=1
	v_and_b32_e32 v32, 7, v4
	v_mov_b32_e32 v33, v9
	v_lshrrev_b32_e32 v4, 3, v11
	s_mov_b32 s24, exec_lo
	v_cmpx_gt_u32_e32 8, v11
; %bb.1015:                             ;   in Loop: Header=BB397_11 Depth=1
	v_ffbh_u32_e32 v4, v32
	v_min_u32_e32 v4, 32, v4
	v_subrev_nc_u32_e32 v11, 28, v4
	v_sub_nc_u32_e32 v4, 29, v4
	v_lshlrev_b64 v[11:12], v11, v[32:33]
	v_and_b32_e32 v32, 7, v11
; %bb.1016:                             ;   in Loop: Header=BB397_11 Depth=1
	s_or_b32 exec_lo, exec_lo, s24
	v_lshlrev_b32_e32 v8, 16, v8
	v_lshlrev_b32_e32 v11, 20, v32
	v_lshl_add_u32 v4, v4, 23, 0x3c000000
	v_and_b32_e32 v8, 0x80000000, v8
	v_or3_b32 v87, v11, v8, v4
.LBB397_1017:                           ;   in Loop: Header=BB397_11 Depth=1
	s_or_b32 exec_lo, exec_lo, s23
.LBB397_1018:                           ;   in Loop: Header=BB397_11 Depth=1
	s_or_b32 exec_lo, exec_lo, s17
.LBB397_1019:                           ;   in Loop: Header=BB397_11 Depth=1
	s_or_b32 exec_lo, exec_lo, s6
	v_mov_b32_e32 v4, 0xff
	s_mov_b32 s6, exec_lo
	v_and_b32_sdwa v4, v31, v4 dst_sel:DWORD dst_unused:UNUSED_PAD src0_sel:WORD_1 src1_sel:DWORD
	v_cmpx_ne_u16_e32 0, v4
	s_cbranch_execz .LBB397_1027
; %bb.1020:                             ;   in Loop: Header=BB397_11 Depth=1
	v_bfrev_b32_e32 v88, 1
	s_mov_b32 s17, exec_lo
	v_cmpx_ne_u16_e32 0x80, v4
	s_cbranch_execz .LBB397_1026
; %bb.1021:                             ;   in Loop: Header=BB397_11 Depth=1
	v_bfe_u32 v11, v31, 16, 7
	v_mov_b32_e32 v88, 0x7f800001
	s_mov_b32 s23, exec_lo
	v_cmpx_ne_u32_e32 0x7f, v11
	s_cbranch_execz .LBB397_1025
; %bb.1022:                             ;   in Loop: Header=BB397_11 Depth=1
	v_mov_b32_e32 v4, 7
	s_mov_b32 s24, exec_lo
	v_and_b32_sdwa v8, v31, v4 dst_sel:DWORD dst_unused:UNUSED_PAD src0_sel:WORD_1 src1_sel:DWORD
	v_mov_b32_e32 v33, v9
	v_lshrrev_b32_e32 v4, 3, v11
	v_mov_b32_e32 v32, v8
	v_cmpx_gt_u32_e32 8, v11
; %bb.1023:                             ;   in Loop: Header=BB397_11 Depth=1
	v_ffbh_u32_e32 v4, v8
	v_min_u32_e32 v4, 32, v4
	v_subrev_nc_u32_e32 v11, 28, v4
	v_sub_nc_u32_e32 v4, 29, v4
	v_lshlrev_b64 v[11:12], v11, v[8:9]
	v_and_b32_e32 v32, 7, v11
; %bb.1024:                             ;   in Loop: Header=BB397_11 Depth=1
	s_or_b32 exec_lo, exec_lo, s24
	v_mov_b32_e32 v8, 24
	v_lshlrev_b32_e32 v11, 20, v32
	v_lshl_add_u32 v4, v4, 23, 0x3c000000
	v_lshlrev_b32_sdwa v8, v8, v31 dst_sel:DWORD dst_unused:UNUSED_PAD src0_sel:DWORD src1_sel:WORD_1
	v_and_b32_e32 v8, 0x80000000, v8
	v_or3_b32 v88, v11, v8, v4
.LBB397_1025:                           ;   in Loop: Header=BB397_11 Depth=1
	s_or_b32 exec_lo, exec_lo, s23
.LBB397_1026:                           ;   in Loop: Header=BB397_11 Depth=1
	s_or_b32 exec_lo, exec_lo, s17
.LBB397_1027:                           ;   in Loop: Header=BB397_11 Depth=1
	s_or_b32 exec_lo, exec_lo, s6
	v_mov_b32_e32 v66, 0
	v_mov_b32_e32 v55, 0
	s_mov_b32 s6, exec_lo
	v_cmpx_lt_u64_e64 s[8:9], v[30:31]
	s_cbranch_execz .LBB397_1035
; %bb.1028:                             ;   in Loop: Header=BB397_11 Depth=1
	v_cmp_ne_u32_sdwa s5, v31, v126 src0_sel:BYTE_3 src1_sel:DWORD
	v_bfrev_b32_e32 v55, 1
	s_and_saveexec_b32 s17, s5
	s_cbranch_execz .LBB397_1034
; %bb.1029:                             ;   in Loop: Header=BB397_11 Depth=1
	v_bfe_u32 v11, v31, 24, 7
	v_mov_b32_e32 v55, 0x7f800001
	s_mov_b32 s23, exec_lo
	v_cmpx_ne_u32_e32 0x7f, v11
	s_cbranch_execz .LBB397_1033
; %bb.1030:                             ;   in Loop: Header=BB397_11 Depth=1
	v_mov_b32_e32 v4, 7
	s_mov_b32 s24, exec_lo
	v_and_b32_sdwa v8, v31, v4 dst_sel:DWORD dst_unused:UNUSED_PAD src0_sel:BYTE_3 src1_sel:DWORD
	v_mov_b32_e32 v33, v9
	v_lshrrev_b32_e32 v4, 3, v11
	v_mov_b32_e32 v32, v8
	v_cmpx_gt_u32_e32 8, v11
; %bb.1031:                             ;   in Loop: Header=BB397_11 Depth=1
	v_ffbh_u32_e32 v4, v8
	v_min_u32_e32 v4, 32, v4
	v_subrev_nc_u32_e32 v11, 28, v4
	v_sub_nc_u32_e32 v4, 29, v4
	v_lshlrev_b64 v[11:12], v11, v[8:9]
	v_and_b32_e32 v32, 7, v11
; %bb.1032:                             ;   in Loop: Header=BB397_11 Depth=1
	s_or_b32 exec_lo, exec_lo, s24
	v_mov_b32_e32 v8, 24
	v_lshlrev_b32_e32 v11, 20, v32
	v_lshl_add_u32 v4, v4, 23, 0x3c000000
	v_lshlrev_b32_sdwa v8, v8, v31 dst_sel:DWORD dst_unused:UNUSED_PAD src0_sel:DWORD src1_sel:BYTE_3
	v_and_b32_e32 v8, 0x80000000, v8
	v_or3_b32 v55, v11, v8, v4
.LBB397_1033:                           ;   in Loop: Header=BB397_11 Depth=1
	s_or_b32 exec_lo, exec_lo, s23
.LBB397_1034:                           ;   in Loop: Header=BB397_11 Depth=1
	s_or_b32 exec_lo, exec_lo, s17
.LBB397_1035:                           ;   in Loop: Header=BB397_11 Depth=1
	s_or_b32 exec_lo, exec_lo, s6
	v_add_co_u32 v28, s5, 0x1000, v28
	v_add_co_ci_u32_e64 v29, null, 0, v29, s5
	flat_load_dwordx2 v[30:31], v[28:29]
	s_waitcnt vmcnt(0) lgkmcnt(0)
	v_cmp_ne_u16_sdwa s5, v30, v9 src0_sel:BYTE_0 src1_sel:DWORD
	s_and_saveexec_b32 s6, s5
	s_cbranch_execz .LBB397_1043
; %bb.1036:                             ;   in Loop: Header=BB397_11 Depth=1
	v_cmp_ne_u16_sdwa s5, v30, v126 src0_sel:BYTE_0 src1_sel:DWORD
	v_bfrev_b32_e32 v66, 1
	s_and_saveexec_b32 s17, s5
	s_cbranch_execz .LBB397_1042
; %bb.1037:                             ;   in Loop: Header=BB397_11 Depth=1
	v_and_b32_e32 v8, 0x7f, v30
	v_mov_b32_e32 v66, 0x7f800001
	s_mov_b32 s23, exec_lo
	v_cmpx_ne_u32_e32 0x7f, v8
	s_cbranch_execz .LBB397_1041
; %bb.1038:                             ;   in Loop: Header=BB397_11 Depth=1
	v_mov_b32_e32 v33, v31
	v_lshrrev_b32_e32 v4, 3, v8
	v_mov_b32_e32 v32, v30
	s_mov_b32 s24, exec_lo
	v_cmpx_gt_u32_e32 8, v8
; %bb.1039:                             ;   in Loop: Header=BB397_11 Depth=1
	v_and_b32_e32 v4, 7, v30
	v_ffbh_u32_e32 v4, v4
	v_min_u32_e32 v4, 32, v4
	v_subrev_nc_u32_e32 v8, 28, v4
	v_sub_nc_u32_e32 v4, 29, v4
	v_lshlrev_b64 v[32:33], v8, v[30:31]
; %bb.1040:                             ;   in Loop: Header=BB397_11 Depth=1
	s_or_b32 exec_lo, exec_lo, s24
	v_lshlrev_b32_e32 v8, 20, v32
	v_lshlrev_b32_e32 v11, 24, v30
	v_lshl_add_u32 v4, v4, 23, 0x3c000000
	v_and_b32_e32 v8, 0x700000, v8
	v_and_b32_e32 v11, 0x80000000, v11
	v_or3_b32 v66, v8, v11, v4
.LBB397_1041:                           ;   in Loop: Header=BB397_11 Depth=1
	s_or_b32 exec_lo, exec_lo, s23
.LBB397_1042:                           ;   in Loop: Header=BB397_11 Depth=1
	s_or_b32 exec_lo, exec_lo, s17
.LBB397_1043:                           ;   in Loop: Header=BB397_11 Depth=1
	s_or_b32 exec_lo, exec_lo, s6
	v_cmp_ne_u16_sdwa s5, v30, v9 src0_sel:BYTE_1 src1_sel:DWORD
	v_mov_b32_e32 v43, 0
	v_mov_b32_e32 v64, 0
	s_and_saveexec_b32 s6, s5
	s_cbranch_execz .LBB397_1051
; %bb.1044:                             ;   in Loop: Header=BB397_11 Depth=1
	v_cmp_ne_u16_sdwa s5, v30, v126 src0_sel:BYTE_1 src1_sel:DWORD
	v_bfrev_b32_e32 v64, 1
	s_and_saveexec_b32 s17, s5
	s_cbranch_execz .LBB397_1050
; %bb.1045:                             ;   in Loop: Header=BB397_11 Depth=1
	v_mov_b32_e32 v4, 0xffff
	v_mov_b32_e32 v64, 0x7f800001
	s_mov_b32 s23, exec_lo
	v_and_b32_sdwa v4, v4, v30 dst_sel:DWORD dst_unused:UNUSED_PAD src0_sel:DWORD src1_sel:BYTE_1
	v_and_b32_e32 v11, 0x7f, v4
	v_cmpx_ne_u32_e32 0x7f, v11
	s_cbranch_execz .LBB397_1049
; %bb.1046:                             ;   in Loop: Header=BB397_11 Depth=1
	v_and_b32_e32 v8, 7, v4
	v_mov_b32_e32 v33, v9
	v_lshrrev_b32_e32 v4, 3, v11
	s_mov_b32 s24, exec_lo
	v_mov_b32_e32 v32, v8
	v_cmpx_gt_u32_e32 8, v11
; %bb.1047:                             ;   in Loop: Header=BB397_11 Depth=1
	v_ffbh_u32_e32 v4, v8
	v_min_u32_e32 v4, 32, v4
	v_subrev_nc_u32_e32 v11, 28, v4
	v_sub_nc_u32_e32 v4, 29, v4
	v_lshlrev_b64 v[11:12], v11, v[8:9]
	v_and_b32_e32 v32, 7, v11
; %bb.1048:                             ;   in Loop: Header=BB397_11 Depth=1
	s_or_b32 exec_lo, exec_lo, s24
	v_lshlrev_b32_e32 v8, 16, v30
	v_lshlrev_b32_e32 v11, 20, v32
	v_lshl_add_u32 v4, v4, 23, 0x3c000000
	v_and_b32_e32 v8, 0x80000000, v8
	v_or3_b32 v64, v11, v8, v4
.LBB397_1049:                           ;   in Loop: Header=BB397_11 Depth=1
	s_or_b32 exec_lo, exec_lo, s23
.LBB397_1050:                           ;   in Loop: Header=BB397_11 Depth=1
	s_or_b32 exec_lo, exec_lo, s17
.LBB397_1051:                           ;   in Loop: Header=BB397_11 Depth=1
	s_or_b32 exec_lo, exec_lo, s6
	v_mov_b32_e32 v4, 0xff
	s_mov_b32 s6, exec_lo
	v_and_b32_sdwa v4, v30, v4 dst_sel:DWORD dst_unused:UNUSED_PAD src0_sel:WORD_1 src1_sel:DWORD
	v_cmpx_ne_u16_e32 0, v4
	s_cbranch_execz .LBB397_1059
; %bb.1052:                             ;   in Loop: Header=BB397_11 Depth=1
	v_bfrev_b32_e32 v43, 1
	s_mov_b32 s17, exec_lo
	v_cmpx_ne_u16_e32 0x80, v4
	s_cbranch_execz .LBB397_1058
; %bb.1053:                             ;   in Loop: Header=BB397_11 Depth=1
	v_bfe_u32 v11, v30, 16, 7
	v_mov_b32_e32 v43, 0x7f800001
	s_mov_b32 s23, exec_lo
	v_cmpx_ne_u32_e32 0x7f, v11
	s_cbranch_execz .LBB397_1057
; %bb.1054:                             ;   in Loop: Header=BB397_11 Depth=1
	v_mov_b32_e32 v4, 7
	s_mov_b32 s24, exec_lo
	v_and_b32_sdwa v8, v30, v4 dst_sel:DWORD dst_unused:UNUSED_PAD src0_sel:WORD_1 src1_sel:DWORD
	v_mov_b32_e32 v33, v9
	v_lshrrev_b32_e32 v4, 3, v11
	v_mov_b32_e32 v32, v8
	v_cmpx_gt_u32_e32 8, v11
; %bb.1055:                             ;   in Loop: Header=BB397_11 Depth=1
	v_ffbh_u32_e32 v4, v8
	v_min_u32_e32 v4, 32, v4
	v_subrev_nc_u32_e32 v11, 28, v4
	v_sub_nc_u32_e32 v4, 29, v4
	v_lshlrev_b64 v[11:12], v11, v[8:9]
	v_and_b32_e32 v32, 7, v11
; %bb.1056:                             ;   in Loop: Header=BB397_11 Depth=1
	s_or_b32 exec_lo, exec_lo, s24
	v_mov_b32_e32 v8, 24
	v_lshlrev_b32_e32 v11, 20, v32
	v_lshl_add_u32 v4, v4, 23, 0x3c000000
	v_lshlrev_b32_sdwa v8, v8, v30 dst_sel:DWORD dst_unused:UNUSED_PAD src0_sel:DWORD src1_sel:WORD_1
	v_and_b32_e32 v8, 0x80000000, v8
	v_or3_b32 v43, v11, v8, v4
.LBB397_1057:                           ;   in Loop: Header=BB397_11 Depth=1
	s_or_b32 exec_lo, exec_lo, s23
.LBB397_1058:                           ;   in Loop: Header=BB397_11 Depth=1
	s_or_b32 exec_lo, exec_lo, s17
.LBB397_1059:                           ;   in Loop: Header=BB397_11 Depth=1
	s_or_b32 exec_lo, exec_lo, s6
	v_mov_b32_e32 v70, 0
	v_mov_b32_e32 v67, 0
	s_mov_b32 s6, exec_lo
	v_cmpx_lt_u32_e32 0xffffff, v30
	s_cbranch_execz .LBB397_1067
; %bb.1060:                             ;   in Loop: Header=BB397_11 Depth=1
	v_cmp_ne_u32_sdwa s5, v30, v126 src0_sel:BYTE_3 src1_sel:DWORD
	v_bfrev_b32_e32 v67, 1
	s_and_saveexec_b32 s17, s5
	s_cbranch_execz .LBB397_1066
; %bb.1061:                             ;   in Loop: Header=BB397_11 Depth=1
	v_bfe_u32 v11, v30, 24, 7
	v_mov_b32_e32 v67, 0x7f800001
	s_mov_b32 s23, exec_lo
	v_cmpx_ne_u32_e32 0x7f, v11
	s_cbranch_execz .LBB397_1065
; %bb.1062:                             ;   in Loop: Header=BB397_11 Depth=1
	v_mov_b32_e32 v4, 7
	s_mov_b32 s24, exec_lo
	v_and_b32_sdwa v8, v30, v4 dst_sel:DWORD dst_unused:UNUSED_PAD src0_sel:BYTE_3 src1_sel:DWORD
	v_mov_b32_e32 v33, v9
	v_lshrrev_b32_e32 v4, 3, v11
	v_mov_b32_e32 v32, v8
	v_cmpx_gt_u32_e32 8, v11
; %bb.1063:                             ;   in Loop: Header=BB397_11 Depth=1
	v_ffbh_u32_e32 v4, v8
	v_min_u32_e32 v4, 32, v4
	v_subrev_nc_u32_e32 v11, 28, v4
	v_sub_nc_u32_e32 v4, 29, v4
	v_lshlrev_b64 v[11:12], v11, v[8:9]
	v_and_b32_e32 v32, 7, v11
; %bb.1064:                             ;   in Loop: Header=BB397_11 Depth=1
	s_or_b32 exec_lo, exec_lo, s24
	v_mov_b32_e32 v8, 24
	v_lshlrev_b32_e32 v11, 20, v32
	v_lshl_add_u32 v4, v4, 23, 0x3c000000
	v_lshlrev_b32_sdwa v8, v8, v30 dst_sel:DWORD dst_unused:UNUSED_PAD src0_sel:DWORD src1_sel:BYTE_3
	v_and_b32_e32 v8, 0x80000000, v8
	v_or3_b32 v67, v11, v8, v4
.LBB397_1065:                           ;   in Loop: Header=BB397_11 Depth=1
	s_or_b32 exec_lo, exec_lo, s23
.LBB397_1066:                           ;   in Loop: Header=BB397_11 Depth=1
	s_or_b32 exec_lo, exec_lo, s17
.LBB397_1067:                           ;   in Loop: Header=BB397_11 Depth=1
	s_or_b32 exec_lo, exec_lo, s6
	v_mov_b32_e32 v8, v31
	v_cmp_ne_u16_sdwa s5, v31, v9 src0_sel:BYTE_0 src1_sel:DWORD
	s_and_saveexec_b32 s6, s5
	s_cbranch_execz .LBB397_1075
; %bb.1068:                             ;   in Loop: Header=BB397_11 Depth=1
	v_cmp_ne_u16_sdwa s5, v31, v126 src0_sel:BYTE_0 src1_sel:DWORD
	v_bfrev_b32_e32 v70, 1
	s_and_saveexec_b32 s17, s5
	s_cbranch_execz .LBB397_1074
; %bb.1069:                             ;   in Loop: Header=BB397_11 Depth=1
	v_and_b32_e32 v11, 0x7f, v31
	v_mov_b32_e32 v70, 0x7f800001
	s_mov_b32 s23, exec_lo
	v_cmpx_ne_u32_e32 0x7f, v11
	s_cbranch_execz .LBB397_1073
; %bb.1070:                             ;   in Loop: Header=BB397_11 Depth=1
	v_mov_b32_e32 v33, v9
	v_mov_b32_e32 v32, v8
	v_lshrrev_b32_e32 v4, 3, v11
	s_mov_b32 s24, exec_lo
	v_cmpx_gt_u32_e32 8, v11
; %bb.1071:                             ;   in Loop: Header=BB397_11 Depth=1
	v_and_b32_e32 v4, 7, v31
	v_ffbh_u32_e32 v4, v4
	v_min_u32_e32 v4, 32, v4
	v_subrev_nc_u32_e32 v11, 28, v4
	v_sub_nc_u32_e32 v4, 29, v4
	v_lshlrev_b64 v[32:33], v11, v[8:9]
; %bb.1072:                             ;   in Loop: Header=BB397_11 Depth=1
	s_or_b32 exec_lo, exec_lo, s24
	v_lshlrev_b32_e32 v11, 20, v32
	v_lshlrev_b32_e32 v12, 24, v8
	v_lshl_add_u32 v4, v4, 23, 0x3c000000
	v_and_b32_e32 v11, 0x700000, v11
	v_and_b32_e32 v12, 0x80000000, v12
	v_or3_b32 v70, v11, v12, v4
.LBB397_1073:                           ;   in Loop: Header=BB397_11 Depth=1
	s_or_b32 exec_lo, exec_lo, s23
.LBB397_1074:                           ;   in Loop: Header=BB397_11 Depth=1
	s_or_b32 exec_lo, exec_lo, s17
.LBB397_1075:                           ;   in Loop: Header=BB397_11 Depth=1
	s_or_b32 exec_lo, exec_lo, s6
	v_cmp_ne_u16_sdwa s5, v8, v9 src0_sel:BYTE_1 src1_sel:DWORD
	v_mov_b32_e32 v65, 0
	v_mov_b32_e32 v42, 0
	s_and_saveexec_b32 s6, s5
	s_cbranch_execz .LBB397_1083
; %bb.1076:                             ;   in Loop: Header=BB397_11 Depth=1
	v_cmp_ne_u16_sdwa s5, v8, v126 src0_sel:BYTE_1 src1_sel:DWORD
	v_bfrev_b32_e32 v42, 1
	s_and_saveexec_b32 s17, s5
	s_cbranch_execz .LBB397_1082
; %bb.1077:                             ;   in Loop: Header=BB397_11 Depth=1
	v_mov_b32_e32 v4, 0xffff
	v_mov_b32_e32 v42, 0x7f800001
	s_mov_b32 s23, exec_lo
	v_and_b32_sdwa v4, v4, v8 dst_sel:DWORD dst_unused:UNUSED_PAD src0_sel:DWORD src1_sel:BYTE_1
	v_and_b32_e32 v11, 0x7f, v4
	v_cmpx_ne_u32_e32 0x7f, v11
	s_cbranch_execz .LBB397_1081
; %bb.1078:                             ;   in Loop: Header=BB397_11 Depth=1
	v_and_b32_e32 v32, 7, v4
	v_mov_b32_e32 v33, v9
	v_lshrrev_b32_e32 v4, 3, v11
	s_mov_b32 s24, exec_lo
	v_cmpx_gt_u32_e32 8, v11
; %bb.1079:                             ;   in Loop: Header=BB397_11 Depth=1
	v_ffbh_u32_e32 v4, v32
	v_min_u32_e32 v4, 32, v4
	v_subrev_nc_u32_e32 v11, 28, v4
	v_sub_nc_u32_e32 v4, 29, v4
	v_lshlrev_b64 v[11:12], v11, v[32:33]
	v_and_b32_e32 v32, 7, v11
; %bb.1080:                             ;   in Loop: Header=BB397_11 Depth=1
	s_or_b32 exec_lo, exec_lo, s24
	v_lshlrev_b32_e32 v8, 16, v8
	v_lshlrev_b32_e32 v11, 20, v32
	v_lshl_add_u32 v4, v4, 23, 0x3c000000
	v_and_b32_e32 v8, 0x80000000, v8
	v_or3_b32 v42, v11, v8, v4
.LBB397_1081:                           ;   in Loop: Header=BB397_11 Depth=1
	s_or_b32 exec_lo, exec_lo, s23
.LBB397_1082:                           ;   in Loop: Header=BB397_11 Depth=1
	s_or_b32 exec_lo, exec_lo, s17
.LBB397_1083:                           ;   in Loop: Header=BB397_11 Depth=1
	s_or_b32 exec_lo, exec_lo, s6
	v_mov_b32_e32 v4, 0xff
	s_mov_b32 s6, exec_lo
	v_and_b32_sdwa v4, v31, v4 dst_sel:DWORD dst_unused:UNUSED_PAD src0_sel:WORD_1 src1_sel:DWORD
	v_cmpx_ne_u16_e32 0, v4
	s_cbranch_execz .LBB397_1091
; %bb.1084:                             ;   in Loop: Header=BB397_11 Depth=1
	v_bfrev_b32_e32 v65, 1
	s_mov_b32 s17, exec_lo
	v_cmpx_ne_u16_e32 0x80, v4
	s_cbranch_execz .LBB397_1090
; %bb.1085:                             ;   in Loop: Header=BB397_11 Depth=1
	v_bfe_u32 v11, v31, 16, 7
	v_mov_b32_e32 v65, 0x7f800001
	s_mov_b32 s23, exec_lo
	v_cmpx_ne_u32_e32 0x7f, v11
	s_cbranch_execz .LBB397_1089
; %bb.1086:                             ;   in Loop: Header=BB397_11 Depth=1
	v_mov_b32_e32 v4, 7
	s_mov_b32 s24, exec_lo
	v_and_b32_sdwa v8, v31, v4 dst_sel:DWORD dst_unused:UNUSED_PAD src0_sel:WORD_1 src1_sel:DWORD
	v_mov_b32_e32 v33, v9
	v_lshrrev_b32_e32 v4, 3, v11
	v_mov_b32_e32 v32, v8
	v_cmpx_gt_u32_e32 8, v11
; %bb.1087:                             ;   in Loop: Header=BB397_11 Depth=1
	v_ffbh_u32_e32 v4, v8
	v_min_u32_e32 v4, 32, v4
	v_subrev_nc_u32_e32 v11, 28, v4
	v_sub_nc_u32_e32 v4, 29, v4
	v_lshlrev_b64 v[11:12], v11, v[8:9]
	v_and_b32_e32 v32, 7, v11
; %bb.1088:                             ;   in Loop: Header=BB397_11 Depth=1
	s_or_b32 exec_lo, exec_lo, s24
	v_mov_b32_e32 v8, 24
	v_lshlrev_b32_e32 v11, 20, v32
	v_lshl_add_u32 v4, v4, 23, 0x3c000000
	v_lshlrev_b32_sdwa v8, v8, v31 dst_sel:DWORD dst_unused:UNUSED_PAD src0_sel:DWORD src1_sel:WORD_1
	v_and_b32_e32 v8, 0x80000000, v8
	v_or3_b32 v65, v11, v8, v4
.LBB397_1089:                           ;   in Loop: Header=BB397_11 Depth=1
	s_or_b32 exec_lo, exec_lo, s23
.LBB397_1090:                           ;   in Loop: Header=BB397_11 Depth=1
	s_or_b32 exec_lo, exec_lo, s17
.LBB397_1091:                           ;   in Loop: Header=BB397_11 Depth=1
	s_or_b32 exec_lo, exec_lo, s6
	v_mov_b32_e32 v82, 0
	v_mov_b32_e32 v50, 0
	s_mov_b32 s6, exec_lo
	v_cmpx_lt_u64_e64 s[8:9], v[30:31]
	s_cbranch_execz .LBB397_1099
; %bb.1092:                             ;   in Loop: Header=BB397_11 Depth=1
	v_cmp_ne_u32_sdwa s5, v31, v126 src0_sel:BYTE_3 src1_sel:DWORD
	v_bfrev_b32_e32 v50, 1
	s_and_saveexec_b32 s17, s5
	s_cbranch_execz .LBB397_1098
; %bb.1093:                             ;   in Loop: Header=BB397_11 Depth=1
	v_bfe_u32 v11, v31, 24, 7
	v_mov_b32_e32 v50, 0x7f800001
	s_mov_b32 s23, exec_lo
	v_cmpx_ne_u32_e32 0x7f, v11
	s_cbranch_execz .LBB397_1097
; %bb.1094:                             ;   in Loop: Header=BB397_11 Depth=1
	v_mov_b32_e32 v4, 7
	s_mov_b32 s24, exec_lo
	v_and_b32_sdwa v8, v31, v4 dst_sel:DWORD dst_unused:UNUSED_PAD src0_sel:BYTE_3 src1_sel:DWORD
	v_mov_b32_e32 v33, v9
	v_lshrrev_b32_e32 v4, 3, v11
	v_mov_b32_e32 v32, v8
	v_cmpx_gt_u32_e32 8, v11
; %bb.1095:                             ;   in Loop: Header=BB397_11 Depth=1
	v_ffbh_u32_e32 v4, v8
	v_min_u32_e32 v4, 32, v4
	v_subrev_nc_u32_e32 v11, 28, v4
	v_sub_nc_u32_e32 v4, 29, v4
	v_lshlrev_b64 v[11:12], v11, v[8:9]
	v_and_b32_e32 v32, 7, v11
; %bb.1096:                             ;   in Loop: Header=BB397_11 Depth=1
	s_or_b32 exec_lo, exec_lo, s24
	v_mov_b32_e32 v8, 24
	v_lshlrev_b32_e32 v11, 20, v32
	v_lshl_add_u32 v4, v4, 23, 0x3c000000
	v_lshlrev_b32_sdwa v8, v8, v31 dst_sel:DWORD dst_unused:UNUSED_PAD src0_sel:DWORD src1_sel:BYTE_3
	v_and_b32_e32 v8, 0x80000000, v8
	v_or3_b32 v50, v11, v8, v4
.LBB397_1097:                           ;   in Loop: Header=BB397_11 Depth=1
	s_or_b32 exec_lo, exec_lo, s23
.LBB397_1098:                           ;   in Loop: Header=BB397_11 Depth=1
	s_or_b32 exec_lo, exec_lo, s17
.LBB397_1099:                           ;   in Loop: Header=BB397_11 Depth=1
	s_or_b32 exec_lo, exec_lo, s6
	flat_load_dwordx2 v[30:31], v[28:29] offset:8
	s_waitcnt vmcnt(0) lgkmcnt(0)
	v_cmp_ne_u16_sdwa s5, v30, v9 src0_sel:BYTE_0 src1_sel:DWORD
	s_and_saveexec_b32 s6, s5
	s_cbranch_execz .LBB397_1107
; %bb.1100:                             ;   in Loop: Header=BB397_11 Depth=1
	v_cmp_ne_u16_sdwa s5, v30, v126 src0_sel:BYTE_0 src1_sel:DWORD
	v_bfrev_b32_e32 v82, 1
	s_and_saveexec_b32 s17, s5
	s_cbranch_execz .LBB397_1106
; %bb.1101:                             ;   in Loop: Header=BB397_11 Depth=1
	v_and_b32_e32 v8, 0x7f, v30
	v_mov_b32_e32 v82, 0x7f800001
	s_mov_b32 s23, exec_lo
	v_cmpx_ne_u32_e32 0x7f, v8
	s_cbranch_execz .LBB397_1105
; %bb.1102:                             ;   in Loop: Header=BB397_11 Depth=1
	v_mov_b32_e32 v33, v31
	v_lshrrev_b32_e32 v4, 3, v8
	v_mov_b32_e32 v32, v30
	s_mov_b32 s24, exec_lo
	v_cmpx_gt_u32_e32 8, v8
; %bb.1103:                             ;   in Loop: Header=BB397_11 Depth=1
	v_and_b32_e32 v4, 7, v30
	v_ffbh_u32_e32 v4, v4
	v_min_u32_e32 v4, 32, v4
	v_subrev_nc_u32_e32 v8, 28, v4
	v_sub_nc_u32_e32 v4, 29, v4
	v_lshlrev_b64 v[32:33], v8, v[30:31]
; %bb.1104:                             ;   in Loop: Header=BB397_11 Depth=1
	s_or_b32 exec_lo, exec_lo, s24
	v_lshlrev_b32_e32 v8, 20, v32
	v_lshlrev_b32_e32 v11, 24, v30
	v_lshl_add_u32 v4, v4, 23, 0x3c000000
	v_and_b32_e32 v8, 0x700000, v8
	v_and_b32_e32 v11, 0x80000000, v11
	v_or3_b32 v82, v8, v11, v4
.LBB397_1105:                           ;   in Loop: Header=BB397_11 Depth=1
	s_or_b32 exec_lo, exec_lo, s23
.LBB397_1106:                           ;   in Loop: Header=BB397_11 Depth=1
	s_or_b32 exec_lo, exec_lo, s17
.LBB397_1107:                           ;   in Loop: Header=BB397_11 Depth=1
	s_or_b32 exec_lo, exec_lo, s6
	v_cmp_ne_u16_sdwa s5, v30, v9 src0_sel:BYTE_1 src1_sel:DWORD
	v_mov_b32_e32 v84, 0
	v_mov_b32_e32 v80, 0
	s_and_saveexec_b32 s6, s5
	s_cbranch_execz .LBB397_1115
; %bb.1108:                             ;   in Loop: Header=BB397_11 Depth=1
	v_cmp_ne_u16_sdwa s5, v30, v126 src0_sel:BYTE_1 src1_sel:DWORD
	v_bfrev_b32_e32 v80, 1
	s_and_saveexec_b32 s17, s5
	s_cbranch_execz .LBB397_1114
; %bb.1109:                             ;   in Loop: Header=BB397_11 Depth=1
	v_mov_b32_e32 v4, 0xffff
	v_mov_b32_e32 v80, 0x7f800001
	s_mov_b32 s23, exec_lo
	v_and_b32_sdwa v4, v4, v30 dst_sel:DWORD dst_unused:UNUSED_PAD src0_sel:DWORD src1_sel:BYTE_1
	v_and_b32_e32 v11, 0x7f, v4
	v_cmpx_ne_u32_e32 0x7f, v11
	s_cbranch_execz .LBB397_1113
; %bb.1110:                             ;   in Loop: Header=BB397_11 Depth=1
	v_and_b32_e32 v8, 7, v4
	v_mov_b32_e32 v33, v9
	v_lshrrev_b32_e32 v4, 3, v11
	s_mov_b32 s24, exec_lo
	v_mov_b32_e32 v32, v8
	v_cmpx_gt_u32_e32 8, v11
; %bb.1111:                             ;   in Loop: Header=BB397_11 Depth=1
	v_ffbh_u32_e32 v4, v8
	v_min_u32_e32 v4, 32, v4
	v_subrev_nc_u32_e32 v11, 28, v4
	v_sub_nc_u32_e32 v4, 29, v4
	v_lshlrev_b64 v[11:12], v11, v[8:9]
	v_and_b32_e32 v32, 7, v11
; %bb.1112:                             ;   in Loop: Header=BB397_11 Depth=1
	s_or_b32 exec_lo, exec_lo, s24
	v_lshlrev_b32_e32 v8, 16, v30
	v_lshlrev_b32_e32 v11, 20, v32
	v_lshl_add_u32 v4, v4, 23, 0x3c000000
	v_and_b32_e32 v8, 0x80000000, v8
	v_or3_b32 v80, v11, v8, v4
.LBB397_1113:                           ;   in Loop: Header=BB397_11 Depth=1
	s_or_b32 exec_lo, exec_lo, s23
.LBB397_1114:                           ;   in Loop: Header=BB397_11 Depth=1
	s_or_b32 exec_lo, exec_lo, s17
.LBB397_1115:                           ;   in Loop: Header=BB397_11 Depth=1
	s_or_b32 exec_lo, exec_lo, s6
	v_mov_b32_e32 v4, 0xff
	s_mov_b32 s6, exec_lo
	v_and_b32_sdwa v4, v30, v4 dst_sel:DWORD dst_unused:UNUSED_PAD src0_sel:WORD_1 src1_sel:DWORD
	v_cmpx_ne_u16_e32 0, v4
	s_cbranch_execz .LBB397_1123
; %bb.1116:                             ;   in Loop: Header=BB397_11 Depth=1
	v_bfrev_b32_e32 v84, 1
	s_mov_b32 s17, exec_lo
	v_cmpx_ne_u16_e32 0x80, v4
	s_cbranch_execz .LBB397_1122
; %bb.1117:                             ;   in Loop: Header=BB397_11 Depth=1
	v_bfe_u32 v11, v30, 16, 7
	v_mov_b32_e32 v84, 0x7f800001
	s_mov_b32 s23, exec_lo
	v_cmpx_ne_u32_e32 0x7f, v11
	s_cbranch_execz .LBB397_1121
; %bb.1118:                             ;   in Loop: Header=BB397_11 Depth=1
	v_mov_b32_e32 v4, 7
	s_mov_b32 s24, exec_lo
	v_and_b32_sdwa v8, v30, v4 dst_sel:DWORD dst_unused:UNUSED_PAD src0_sel:WORD_1 src1_sel:DWORD
	v_mov_b32_e32 v33, v9
	v_lshrrev_b32_e32 v4, 3, v11
	v_mov_b32_e32 v32, v8
	v_cmpx_gt_u32_e32 8, v11
; %bb.1119:                             ;   in Loop: Header=BB397_11 Depth=1
	v_ffbh_u32_e32 v4, v8
	v_min_u32_e32 v4, 32, v4
	v_subrev_nc_u32_e32 v11, 28, v4
	v_sub_nc_u32_e32 v4, 29, v4
	v_lshlrev_b64 v[11:12], v11, v[8:9]
	v_and_b32_e32 v32, 7, v11
; %bb.1120:                             ;   in Loop: Header=BB397_11 Depth=1
	s_or_b32 exec_lo, exec_lo, s24
	v_mov_b32_e32 v8, 24
	v_lshlrev_b32_e32 v11, 20, v32
	v_lshl_add_u32 v4, v4, 23, 0x3c000000
	v_lshlrev_b32_sdwa v8, v8, v30 dst_sel:DWORD dst_unused:UNUSED_PAD src0_sel:DWORD src1_sel:WORD_1
	v_and_b32_e32 v8, 0x80000000, v8
	v_or3_b32 v84, v11, v8, v4
.LBB397_1121:                           ;   in Loop: Header=BB397_11 Depth=1
	s_or_b32 exec_lo, exec_lo, s23
.LBB397_1122:                           ;   in Loop: Header=BB397_11 Depth=1
	s_or_b32 exec_lo, exec_lo, s17
.LBB397_1123:                           ;   in Loop: Header=BB397_11 Depth=1
	s_or_b32 exec_lo, exec_lo, s6
	v_mov_b32_e32 v86, 0
	v_mov_b32_e32 v83, 0
	s_mov_b32 s6, exec_lo
	v_cmpx_lt_u32_e32 0xffffff, v30
	s_cbranch_execz .LBB397_1131
; %bb.1124:                             ;   in Loop: Header=BB397_11 Depth=1
	v_cmp_ne_u32_sdwa s5, v30, v126 src0_sel:BYTE_3 src1_sel:DWORD
	v_bfrev_b32_e32 v83, 1
	s_and_saveexec_b32 s17, s5
	s_cbranch_execz .LBB397_1130
; %bb.1125:                             ;   in Loop: Header=BB397_11 Depth=1
	v_bfe_u32 v11, v30, 24, 7
	v_mov_b32_e32 v83, 0x7f800001
	s_mov_b32 s23, exec_lo
	v_cmpx_ne_u32_e32 0x7f, v11
	s_cbranch_execz .LBB397_1129
; %bb.1126:                             ;   in Loop: Header=BB397_11 Depth=1
	v_mov_b32_e32 v4, 7
	s_mov_b32 s24, exec_lo
	v_and_b32_sdwa v8, v30, v4 dst_sel:DWORD dst_unused:UNUSED_PAD src0_sel:BYTE_3 src1_sel:DWORD
	v_mov_b32_e32 v33, v9
	v_lshrrev_b32_e32 v4, 3, v11
	v_mov_b32_e32 v32, v8
	v_cmpx_gt_u32_e32 8, v11
; %bb.1127:                             ;   in Loop: Header=BB397_11 Depth=1
	v_ffbh_u32_e32 v4, v8
	v_min_u32_e32 v4, 32, v4
	v_subrev_nc_u32_e32 v11, 28, v4
	v_sub_nc_u32_e32 v4, 29, v4
	v_lshlrev_b64 v[11:12], v11, v[8:9]
	v_and_b32_e32 v32, 7, v11
; %bb.1128:                             ;   in Loop: Header=BB397_11 Depth=1
	s_or_b32 exec_lo, exec_lo, s24
	v_mov_b32_e32 v8, 24
	v_lshlrev_b32_e32 v11, 20, v32
	v_lshl_add_u32 v4, v4, 23, 0x3c000000
	v_lshlrev_b32_sdwa v8, v8, v30 dst_sel:DWORD dst_unused:UNUSED_PAD src0_sel:DWORD src1_sel:BYTE_3
	v_and_b32_e32 v8, 0x80000000, v8
	v_or3_b32 v83, v11, v8, v4
.LBB397_1129:                           ;   in Loop: Header=BB397_11 Depth=1
	s_or_b32 exec_lo, exec_lo, s23
.LBB397_1130:                           ;   in Loop: Header=BB397_11 Depth=1
	s_or_b32 exec_lo, exec_lo, s17
.LBB397_1131:                           ;   in Loop: Header=BB397_11 Depth=1
	s_or_b32 exec_lo, exec_lo, s6
	v_mov_b32_e32 v8, v31
	v_cmp_ne_u16_sdwa s5, v31, v9 src0_sel:BYTE_0 src1_sel:DWORD
	s_and_saveexec_b32 s6, s5
	s_cbranch_execz .LBB397_1139
; %bb.1132:                             ;   in Loop: Header=BB397_11 Depth=1
	v_cmp_ne_u16_sdwa s5, v31, v126 src0_sel:BYTE_0 src1_sel:DWORD
	v_bfrev_b32_e32 v86, 1
	s_and_saveexec_b32 s17, s5
	s_cbranch_execz .LBB397_1138
; %bb.1133:                             ;   in Loop: Header=BB397_11 Depth=1
	v_and_b32_e32 v11, 0x7f, v31
	v_mov_b32_e32 v86, 0x7f800001
	s_mov_b32 s23, exec_lo
	v_cmpx_ne_u32_e32 0x7f, v11
	s_cbranch_execz .LBB397_1137
; %bb.1134:                             ;   in Loop: Header=BB397_11 Depth=1
	v_mov_b32_e32 v33, v9
	v_mov_b32_e32 v32, v8
	v_lshrrev_b32_e32 v4, 3, v11
	s_mov_b32 s24, exec_lo
	v_cmpx_gt_u32_e32 8, v11
; %bb.1135:                             ;   in Loop: Header=BB397_11 Depth=1
	v_and_b32_e32 v4, 7, v31
	v_ffbh_u32_e32 v4, v4
	v_min_u32_e32 v4, 32, v4
	v_subrev_nc_u32_e32 v11, 28, v4
	v_sub_nc_u32_e32 v4, 29, v4
	v_lshlrev_b64 v[32:33], v11, v[8:9]
; %bb.1136:                             ;   in Loop: Header=BB397_11 Depth=1
	s_or_b32 exec_lo, exec_lo, s24
	v_lshlrev_b32_e32 v11, 20, v32
	v_lshlrev_b32_e32 v12, 24, v8
	v_lshl_add_u32 v4, v4, 23, 0x3c000000
	v_and_b32_e32 v11, 0x700000, v11
	v_and_b32_e32 v12, 0x80000000, v12
	v_or3_b32 v86, v11, v12, v4
.LBB397_1137:                           ;   in Loop: Header=BB397_11 Depth=1
	s_or_b32 exec_lo, exec_lo, s23
.LBB397_1138:                           ;   in Loop: Header=BB397_11 Depth=1
	s_or_b32 exec_lo, exec_lo, s17
.LBB397_1139:                           ;   in Loop: Header=BB397_11 Depth=1
	s_or_b32 exec_lo, exec_lo, s6
	v_cmp_ne_u16_sdwa s5, v8, v9 src0_sel:BYTE_1 src1_sel:DWORD
	v_mov_b32_e32 v81, 0
	v_mov_b32_e32 v41, 0
	s_and_saveexec_b32 s6, s5
	s_cbranch_execz .LBB397_1147
; %bb.1140:                             ;   in Loop: Header=BB397_11 Depth=1
	v_cmp_ne_u16_sdwa s5, v8, v126 src0_sel:BYTE_1 src1_sel:DWORD
	v_bfrev_b32_e32 v41, 1
	s_and_saveexec_b32 s17, s5
	s_cbranch_execz .LBB397_1146
; %bb.1141:                             ;   in Loop: Header=BB397_11 Depth=1
	v_mov_b32_e32 v4, 0xffff
	v_mov_b32_e32 v41, 0x7f800001
	s_mov_b32 s23, exec_lo
	v_and_b32_sdwa v4, v4, v8 dst_sel:DWORD dst_unused:UNUSED_PAD src0_sel:DWORD src1_sel:BYTE_1
	v_and_b32_e32 v11, 0x7f, v4
	v_cmpx_ne_u32_e32 0x7f, v11
	s_cbranch_execz .LBB397_1145
; %bb.1142:                             ;   in Loop: Header=BB397_11 Depth=1
	v_and_b32_e32 v32, 7, v4
	v_mov_b32_e32 v33, v9
	v_lshrrev_b32_e32 v4, 3, v11
	s_mov_b32 s24, exec_lo
	v_cmpx_gt_u32_e32 8, v11
; %bb.1143:                             ;   in Loop: Header=BB397_11 Depth=1
	v_ffbh_u32_e32 v4, v32
	v_min_u32_e32 v4, 32, v4
	v_subrev_nc_u32_e32 v11, 28, v4
	v_sub_nc_u32_e32 v4, 29, v4
	v_lshlrev_b64 v[11:12], v11, v[32:33]
	v_and_b32_e32 v32, 7, v11
; %bb.1144:                             ;   in Loop: Header=BB397_11 Depth=1
	s_or_b32 exec_lo, exec_lo, s24
	v_lshlrev_b32_e32 v8, 16, v8
	v_lshlrev_b32_e32 v11, 20, v32
	v_lshl_add_u32 v4, v4, 23, 0x3c000000
	v_and_b32_e32 v8, 0x80000000, v8
	v_or3_b32 v41, v11, v8, v4
.LBB397_1145:                           ;   in Loop: Header=BB397_11 Depth=1
	s_or_b32 exec_lo, exec_lo, s23
.LBB397_1146:                           ;   in Loop: Header=BB397_11 Depth=1
	s_or_b32 exec_lo, exec_lo, s17
.LBB397_1147:                           ;   in Loop: Header=BB397_11 Depth=1
	s_or_b32 exec_lo, exec_lo, s6
	v_mov_b32_e32 v4, 0xff
	s_mov_b32 s6, exec_lo
	v_and_b32_sdwa v4, v31, v4 dst_sel:DWORD dst_unused:UNUSED_PAD src0_sel:WORD_1 src1_sel:DWORD
	v_cmpx_ne_u16_e32 0, v4
	s_cbranch_execz .LBB397_1155
; %bb.1148:                             ;   in Loop: Header=BB397_11 Depth=1
	v_bfrev_b32_e32 v81, 1
	s_mov_b32 s17, exec_lo
	v_cmpx_ne_u16_e32 0x80, v4
	s_cbranch_execz .LBB397_1154
; %bb.1149:                             ;   in Loop: Header=BB397_11 Depth=1
	v_bfe_u32 v11, v31, 16, 7
	v_mov_b32_e32 v81, 0x7f800001
	s_mov_b32 s23, exec_lo
	v_cmpx_ne_u32_e32 0x7f, v11
	s_cbranch_execz .LBB397_1153
; %bb.1150:                             ;   in Loop: Header=BB397_11 Depth=1
	v_mov_b32_e32 v4, 7
	s_mov_b32 s24, exec_lo
	v_and_b32_sdwa v8, v31, v4 dst_sel:DWORD dst_unused:UNUSED_PAD src0_sel:WORD_1 src1_sel:DWORD
	v_mov_b32_e32 v33, v9
	v_lshrrev_b32_e32 v4, 3, v11
	v_mov_b32_e32 v32, v8
	v_cmpx_gt_u32_e32 8, v11
; %bb.1151:                             ;   in Loop: Header=BB397_11 Depth=1
	v_ffbh_u32_e32 v4, v8
	v_min_u32_e32 v4, 32, v4
	v_subrev_nc_u32_e32 v11, 28, v4
	v_sub_nc_u32_e32 v4, 29, v4
	v_lshlrev_b64 v[11:12], v11, v[8:9]
	v_and_b32_e32 v32, 7, v11
; %bb.1152:                             ;   in Loop: Header=BB397_11 Depth=1
	s_or_b32 exec_lo, exec_lo, s24
	v_mov_b32_e32 v8, 24
	v_lshlrev_b32_e32 v11, 20, v32
	v_lshl_add_u32 v4, v4, 23, 0x3c000000
	v_lshlrev_b32_sdwa v8, v8, v31 dst_sel:DWORD dst_unused:UNUSED_PAD src0_sel:DWORD src1_sel:WORD_1
	v_and_b32_e32 v8, 0x80000000, v8
	v_or3_b32 v81, v11, v8, v4
.LBB397_1153:                           ;   in Loop: Header=BB397_11 Depth=1
	s_or_b32 exec_lo, exec_lo, s23
.LBB397_1154:                           ;   in Loop: Header=BB397_11 Depth=1
	s_or_b32 exec_lo, exec_lo, s17
.LBB397_1155:                           ;   in Loop: Header=BB397_11 Depth=1
	s_or_b32 exec_lo, exec_lo, s6
	v_mov_b32_e32 v98, 0
	v_mov_b32_e32 v69, 0
	s_mov_b32 s6, exec_lo
	v_cmpx_lt_u64_e64 s[8:9], v[30:31]
	s_cbranch_execz .LBB397_1163
; %bb.1156:                             ;   in Loop: Header=BB397_11 Depth=1
	v_cmp_ne_u32_sdwa s5, v31, v126 src0_sel:BYTE_3 src1_sel:DWORD
	v_bfrev_b32_e32 v69, 1
	s_and_saveexec_b32 s17, s5
	s_cbranch_execz .LBB397_1162
; %bb.1157:                             ;   in Loop: Header=BB397_11 Depth=1
	v_bfe_u32 v11, v31, 24, 7
	v_mov_b32_e32 v69, 0x7f800001
	s_mov_b32 s23, exec_lo
	v_cmpx_ne_u32_e32 0x7f, v11
	s_cbranch_execz .LBB397_1161
; %bb.1158:                             ;   in Loop: Header=BB397_11 Depth=1
	v_mov_b32_e32 v4, 7
	s_mov_b32 s24, exec_lo
	v_and_b32_sdwa v8, v31, v4 dst_sel:DWORD dst_unused:UNUSED_PAD src0_sel:BYTE_3 src1_sel:DWORD
	v_mov_b32_e32 v33, v9
	v_lshrrev_b32_e32 v4, 3, v11
	v_mov_b32_e32 v32, v8
	v_cmpx_gt_u32_e32 8, v11
; %bb.1159:                             ;   in Loop: Header=BB397_11 Depth=1
	v_ffbh_u32_e32 v4, v8
	v_min_u32_e32 v4, 32, v4
	v_subrev_nc_u32_e32 v11, 28, v4
	v_sub_nc_u32_e32 v4, 29, v4
	v_lshlrev_b64 v[11:12], v11, v[8:9]
	v_and_b32_e32 v32, 7, v11
; %bb.1160:                             ;   in Loop: Header=BB397_11 Depth=1
	s_or_b32 exec_lo, exec_lo, s24
	v_mov_b32_e32 v8, 24
	v_lshlrev_b32_e32 v11, 20, v32
	v_lshl_add_u32 v4, v4, 23, 0x3c000000
	v_lshlrev_b32_sdwa v8, v8, v31 dst_sel:DWORD dst_unused:UNUSED_PAD src0_sel:DWORD src1_sel:BYTE_3
	v_and_b32_e32 v8, 0x80000000, v8
	v_or3_b32 v69, v11, v8, v4
.LBB397_1161:                           ;   in Loop: Header=BB397_11 Depth=1
	s_or_b32 exec_lo, exec_lo, s23
.LBB397_1162:                           ;   in Loop: Header=BB397_11 Depth=1
	s_or_b32 exec_lo, exec_lo, s17
.LBB397_1163:                           ;   in Loop: Header=BB397_11 Depth=1
	s_or_b32 exec_lo, exec_lo, s6
	flat_load_dwordx2 v[30:31], v[28:29] offset:512
	s_waitcnt vmcnt(0) lgkmcnt(0)
	v_cmp_ne_u16_sdwa s5, v30, v9 src0_sel:BYTE_0 src1_sel:DWORD
	s_and_saveexec_b32 s6, s5
	s_cbranch_execz .LBB397_1171
; %bb.1164:                             ;   in Loop: Header=BB397_11 Depth=1
	v_cmp_ne_u16_sdwa s5, v30, v126 src0_sel:BYTE_0 src1_sel:DWORD
	v_bfrev_b32_e32 v98, 1
	s_and_saveexec_b32 s17, s5
	s_cbranch_execz .LBB397_1170
; %bb.1165:                             ;   in Loop: Header=BB397_11 Depth=1
	v_and_b32_e32 v8, 0x7f, v30
	v_mov_b32_e32 v98, 0x7f800001
	s_mov_b32 s23, exec_lo
	v_cmpx_ne_u32_e32 0x7f, v8
	s_cbranch_execz .LBB397_1169
; %bb.1166:                             ;   in Loop: Header=BB397_11 Depth=1
	v_mov_b32_e32 v33, v31
	v_lshrrev_b32_e32 v4, 3, v8
	v_mov_b32_e32 v32, v30
	s_mov_b32 s24, exec_lo
	v_cmpx_gt_u32_e32 8, v8
; %bb.1167:                             ;   in Loop: Header=BB397_11 Depth=1
	v_and_b32_e32 v4, 7, v30
	v_ffbh_u32_e32 v4, v4
	v_min_u32_e32 v4, 32, v4
	v_subrev_nc_u32_e32 v8, 28, v4
	v_sub_nc_u32_e32 v4, 29, v4
	v_lshlrev_b64 v[32:33], v8, v[30:31]
; %bb.1168:                             ;   in Loop: Header=BB397_11 Depth=1
	s_or_b32 exec_lo, exec_lo, s24
	v_lshlrev_b32_e32 v8, 20, v32
	v_lshlrev_b32_e32 v11, 24, v30
	v_lshl_add_u32 v4, v4, 23, 0x3c000000
	v_and_b32_e32 v8, 0x700000, v8
	v_and_b32_e32 v11, 0x80000000, v11
	v_or3_b32 v98, v8, v11, v4
.LBB397_1169:                           ;   in Loop: Header=BB397_11 Depth=1
	s_or_b32 exec_lo, exec_lo, s23
.LBB397_1170:                           ;   in Loop: Header=BB397_11 Depth=1
	s_or_b32 exec_lo, exec_lo, s17
.LBB397_1171:                           ;   in Loop: Header=BB397_11 Depth=1
	s_or_b32 exec_lo, exec_lo, s6
	v_cmp_ne_u16_sdwa s5, v30, v9 src0_sel:BYTE_1 src1_sel:DWORD
	v_mov_b32_e32 v100, 0
	v_mov_b32_e32 v23, 0
	s_and_saveexec_b32 s6, s5
	s_cbranch_execz .LBB397_1179
; %bb.1172:                             ;   in Loop: Header=BB397_11 Depth=1
	v_cmp_ne_u16_sdwa s5, v30, v126 src0_sel:BYTE_1 src1_sel:DWORD
	v_bfrev_b32_e32 v23, 1
	s_and_saveexec_b32 s17, s5
	s_cbranch_execz .LBB397_1178
; %bb.1173:                             ;   in Loop: Header=BB397_11 Depth=1
	v_mov_b32_e32 v4, 0xffff
	v_mov_b32_e32 v23, 0x7f800001
	s_mov_b32 s23, exec_lo
	v_and_b32_sdwa v4, v4, v30 dst_sel:DWORD dst_unused:UNUSED_PAD src0_sel:DWORD src1_sel:BYTE_1
	v_and_b32_e32 v11, 0x7f, v4
	v_cmpx_ne_u32_e32 0x7f, v11
	s_cbranch_execz .LBB397_1177
; %bb.1174:                             ;   in Loop: Header=BB397_11 Depth=1
	v_and_b32_e32 v8, 7, v4
	v_mov_b32_e32 v33, v9
	v_lshrrev_b32_e32 v4, 3, v11
	s_mov_b32 s24, exec_lo
	v_mov_b32_e32 v32, v8
	v_cmpx_gt_u32_e32 8, v11
; %bb.1175:                             ;   in Loop: Header=BB397_11 Depth=1
	v_ffbh_u32_e32 v4, v8
	v_min_u32_e32 v4, 32, v4
	v_subrev_nc_u32_e32 v11, 28, v4
	v_sub_nc_u32_e32 v4, 29, v4
	v_lshlrev_b64 v[11:12], v11, v[8:9]
	v_and_b32_e32 v32, 7, v11
; %bb.1176:                             ;   in Loop: Header=BB397_11 Depth=1
	s_or_b32 exec_lo, exec_lo, s24
	v_lshlrev_b32_e32 v8, 16, v30
	v_lshlrev_b32_e32 v11, 20, v32
	v_lshl_add_u32 v4, v4, 23, 0x3c000000
	v_and_b32_e32 v8, 0x80000000, v8
	v_or3_b32 v23, v11, v8, v4
.LBB397_1177:                           ;   in Loop: Header=BB397_11 Depth=1
	s_or_b32 exec_lo, exec_lo, s23
.LBB397_1178:                           ;   in Loop: Header=BB397_11 Depth=1
	s_or_b32 exec_lo, exec_lo, s17
.LBB397_1179:                           ;   in Loop: Header=BB397_11 Depth=1
	s_or_b32 exec_lo, exec_lo, s6
	v_mov_b32_e32 v4, 0xff
	s_mov_b32 s6, exec_lo
	v_and_b32_sdwa v4, v30, v4 dst_sel:DWORD dst_unused:UNUSED_PAD src0_sel:WORD_1 src1_sel:DWORD
	v_cmpx_ne_u16_e32 0, v4
	s_cbranch_execz .LBB397_1187
; %bb.1180:                             ;   in Loop: Header=BB397_11 Depth=1
	v_bfrev_b32_e32 v100, 1
	s_mov_b32 s17, exec_lo
	v_cmpx_ne_u16_e32 0x80, v4
	s_cbranch_execz .LBB397_1186
; %bb.1181:                             ;   in Loop: Header=BB397_11 Depth=1
	v_bfe_u32 v11, v30, 16, 7
	v_mov_b32_e32 v100, 0x7f800001
	s_mov_b32 s23, exec_lo
	v_cmpx_ne_u32_e32 0x7f, v11
	s_cbranch_execz .LBB397_1185
; %bb.1182:                             ;   in Loop: Header=BB397_11 Depth=1
	v_mov_b32_e32 v4, 7
	s_mov_b32 s24, exec_lo
	v_and_b32_sdwa v8, v30, v4 dst_sel:DWORD dst_unused:UNUSED_PAD src0_sel:WORD_1 src1_sel:DWORD
	v_mov_b32_e32 v33, v9
	v_lshrrev_b32_e32 v4, 3, v11
	v_mov_b32_e32 v32, v8
	v_cmpx_gt_u32_e32 8, v11
; %bb.1183:                             ;   in Loop: Header=BB397_11 Depth=1
	v_ffbh_u32_e32 v4, v8
	v_min_u32_e32 v4, 32, v4
	v_subrev_nc_u32_e32 v11, 28, v4
	v_sub_nc_u32_e32 v4, 29, v4
	v_lshlrev_b64 v[11:12], v11, v[8:9]
	v_and_b32_e32 v32, 7, v11
; %bb.1184:                             ;   in Loop: Header=BB397_11 Depth=1
	s_or_b32 exec_lo, exec_lo, s24
	v_mov_b32_e32 v8, 24
	v_lshlrev_b32_e32 v11, 20, v32
	v_lshl_add_u32 v4, v4, 23, 0x3c000000
	v_lshlrev_b32_sdwa v8, v8, v30 dst_sel:DWORD dst_unused:UNUSED_PAD src0_sel:DWORD src1_sel:WORD_1
	v_and_b32_e32 v8, 0x80000000, v8
	v_or3_b32 v100, v11, v8, v4
.LBB397_1185:                           ;   in Loop: Header=BB397_11 Depth=1
	s_or_b32 exec_lo, exec_lo, s23
.LBB397_1186:                           ;   in Loop: Header=BB397_11 Depth=1
	s_or_b32 exec_lo, exec_lo, s17
.LBB397_1187:                           ;   in Loop: Header=BB397_11 Depth=1
	s_or_b32 exec_lo, exec_lo, s6
	v_mov_b32_e32 v102, 0
	v_mov_b32_e32 v99, 0
	s_mov_b32 s6, exec_lo
	v_cmpx_lt_u32_e32 0xffffff, v30
	s_cbranch_execz .LBB397_1195
; %bb.1188:                             ;   in Loop: Header=BB397_11 Depth=1
	v_cmp_ne_u32_sdwa s5, v30, v126 src0_sel:BYTE_3 src1_sel:DWORD
	v_bfrev_b32_e32 v99, 1
	s_and_saveexec_b32 s17, s5
	s_cbranch_execz .LBB397_1194
; %bb.1189:                             ;   in Loop: Header=BB397_11 Depth=1
	v_bfe_u32 v11, v30, 24, 7
	v_mov_b32_e32 v99, 0x7f800001
	s_mov_b32 s23, exec_lo
	v_cmpx_ne_u32_e32 0x7f, v11
	s_cbranch_execz .LBB397_1193
; %bb.1190:                             ;   in Loop: Header=BB397_11 Depth=1
	v_mov_b32_e32 v4, 7
	s_mov_b32 s24, exec_lo
	v_and_b32_sdwa v8, v30, v4 dst_sel:DWORD dst_unused:UNUSED_PAD src0_sel:BYTE_3 src1_sel:DWORD
	v_mov_b32_e32 v33, v9
	v_lshrrev_b32_e32 v4, 3, v11
	v_mov_b32_e32 v32, v8
	v_cmpx_gt_u32_e32 8, v11
; %bb.1191:                             ;   in Loop: Header=BB397_11 Depth=1
	v_ffbh_u32_e32 v4, v8
	v_min_u32_e32 v4, 32, v4
	v_subrev_nc_u32_e32 v11, 28, v4
	v_sub_nc_u32_e32 v4, 29, v4
	v_lshlrev_b64 v[11:12], v11, v[8:9]
	v_and_b32_e32 v32, 7, v11
; %bb.1192:                             ;   in Loop: Header=BB397_11 Depth=1
	s_or_b32 exec_lo, exec_lo, s24
	v_mov_b32_e32 v8, 24
	v_lshlrev_b32_e32 v11, 20, v32
	v_lshl_add_u32 v4, v4, 23, 0x3c000000
	v_lshlrev_b32_sdwa v8, v8, v30 dst_sel:DWORD dst_unused:UNUSED_PAD src0_sel:DWORD src1_sel:BYTE_3
	v_and_b32_e32 v8, 0x80000000, v8
	v_or3_b32 v99, v11, v8, v4
.LBB397_1193:                           ;   in Loop: Header=BB397_11 Depth=1
	s_or_b32 exec_lo, exec_lo, s23
.LBB397_1194:                           ;   in Loop: Header=BB397_11 Depth=1
	s_or_b32 exec_lo, exec_lo, s17
.LBB397_1195:                           ;   in Loop: Header=BB397_11 Depth=1
	s_or_b32 exec_lo, exec_lo, s6
	v_mov_b32_e32 v8, v31
	v_cmp_ne_u16_sdwa s5, v31, v9 src0_sel:BYTE_0 src1_sel:DWORD
	s_and_saveexec_b32 s6, s5
	s_cbranch_execz .LBB397_1203
; %bb.1196:                             ;   in Loop: Header=BB397_11 Depth=1
	v_cmp_ne_u16_sdwa s5, v31, v126 src0_sel:BYTE_0 src1_sel:DWORD
	v_bfrev_b32_e32 v102, 1
	s_and_saveexec_b32 s17, s5
	s_cbranch_execz .LBB397_1202
; %bb.1197:                             ;   in Loop: Header=BB397_11 Depth=1
	v_and_b32_e32 v11, 0x7f, v31
	v_mov_b32_e32 v102, 0x7f800001
	s_mov_b32 s23, exec_lo
	v_cmpx_ne_u32_e32 0x7f, v11
	s_cbranch_execz .LBB397_1201
; %bb.1198:                             ;   in Loop: Header=BB397_11 Depth=1
	v_mov_b32_e32 v33, v9
	v_mov_b32_e32 v32, v8
	v_lshrrev_b32_e32 v4, 3, v11
	s_mov_b32 s24, exec_lo
	v_cmpx_gt_u32_e32 8, v11
; %bb.1199:                             ;   in Loop: Header=BB397_11 Depth=1
	v_and_b32_e32 v4, 7, v31
	v_ffbh_u32_e32 v4, v4
	v_min_u32_e32 v4, 32, v4
	v_subrev_nc_u32_e32 v11, 28, v4
	v_sub_nc_u32_e32 v4, 29, v4
	v_lshlrev_b64 v[32:33], v11, v[8:9]
; %bb.1200:                             ;   in Loop: Header=BB397_11 Depth=1
	s_or_b32 exec_lo, exec_lo, s24
	v_lshlrev_b32_e32 v11, 20, v32
	v_lshlrev_b32_e32 v12, 24, v8
	v_lshl_add_u32 v4, v4, 23, 0x3c000000
	v_and_b32_e32 v11, 0x700000, v11
	v_and_b32_e32 v12, 0x80000000, v12
	v_or3_b32 v102, v11, v12, v4
.LBB397_1201:                           ;   in Loop: Header=BB397_11 Depth=1
	s_or_b32 exec_lo, exec_lo, s23
.LBB397_1202:                           ;   in Loop: Header=BB397_11 Depth=1
	s_or_b32 exec_lo, exec_lo, s17
.LBB397_1203:                           ;   in Loop: Header=BB397_11 Depth=1
	s_or_b32 exec_lo, exec_lo, s6
	v_cmp_ne_u16_sdwa s5, v8, v9 src0_sel:BYTE_1 src1_sel:DWORD
	v_mov_b32_e32 v97, 0
	v_mov_b32_e32 v118, 0
	s_and_saveexec_b32 s6, s5
	s_cbranch_execz .LBB397_1211
; %bb.1204:                             ;   in Loop: Header=BB397_11 Depth=1
	v_cmp_ne_u16_sdwa s5, v8, v126 src0_sel:BYTE_1 src1_sel:DWORD
	v_bfrev_b32_e32 v118, 1
	s_and_saveexec_b32 s17, s5
	s_cbranch_execz .LBB397_1210
; %bb.1205:                             ;   in Loop: Header=BB397_11 Depth=1
	v_mov_b32_e32 v4, 0xffff
	v_mov_b32_e32 v118, 0x7f800001
	s_mov_b32 s23, exec_lo
	v_and_b32_sdwa v4, v4, v8 dst_sel:DWORD dst_unused:UNUSED_PAD src0_sel:DWORD src1_sel:BYTE_1
	v_and_b32_e32 v11, 0x7f, v4
	v_cmpx_ne_u32_e32 0x7f, v11
	s_cbranch_execz .LBB397_1209
; %bb.1206:                             ;   in Loop: Header=BB397_11 Depth=1
	v_and_b32_e32 v32, 7, v4
	v_mov_b32_e32 v33, v9
	v_lshrrev_b32_e32 v4, 3, v11
	s_mov_b32 s24, exec_lo
	v_cmpx_gt_u32_e32 8, v11
; %bb.1207:                             ;   in Loop: Header=BB397_11 Depth=1
	v_ffbh_u32_e32 v4, v32
	v_min_u32_e32 v4, 32, v4
	v_subrev_nc_u32_e32 v11, 28, v4
	v_sub_nc_u32_e32 v4, 29, v4
	v_lshlrev_b64 v[11:12], v11, v[32:33]
	v_and_b32_e32 v32, 7, v11
; %bb.1208:                             ;   in Loop: Header=BB397_11 Depth=1
	s_or_b32 exec_lo, exec_lo, s24
	v_lshlrev_b32_e32 v8, 16, v8
	v_lshlrev_b32_e32 v11, 20, v32
	v_lshl_add_u32 v4, v4, 23, 0x3c000000
	v_and_b32_e32 v8, 0x80000000, v8
	v_or3_b32 v118, v11, v8, v4
.LBB397_1209:                           ;   in Loop: Header=BB397_11 Depth=1
	s_or_b32 exec_lo, exec_lo, s23
.LBB397_1210:                           ;   in Loop: Header=BB397_11 Depth=1
	s_or_b32 exec_lo, exec_lo, s17
.LBB397_1211:                           ;   in Loop: Header=BB397_11 Depth=1
	s_or_b32 exec_lo, exec_lo, s6
	v_mov_b32_e32 v4, 0xff
	s_mov_b32 s6, exec_lo
	v_and_b32_sdwa v4, v31, v4 dst_sel:DWORD dst_unused:UNUSED_PAD src0_sel:WORD_1 src1_sel:DWORD
	v_cmpx_ne_u16_e32 0, v4
	s_cbranch_execz .LBB397_1219
; %bb.1212:                             ;   in Loop: Header=BB397_11 Depth=1
	v_bfrev_b32_e32 v97, 1
	s_mov_b32 s17, exec_lo
	v_cmpx_ne_u16_e32 0x80, v4
	s_cbranch_execz .LBB397_1218
; %bb.1213:                             ;   in Loop: Header=BB397_11 Depth=1
	v_bfe_u32 v11, v31, 16, 7
	v_mov_b32_e32 v97, 0x7f800001
	s_mov_b32 s23, exec_lo
	v_cmpx_ne_u32_e32 0x7f, v11
	s_cbranch_execz .LBB397_1217
; %bb.1214:                             ;   in Loop: Header=BB397_11 Depth=1
	v_mov_b32_e32 v4, 7
	s_mov_b32 s24, exec_lo
	v_and_b32_sdwa v8, v31, v4 dst_sel:DWORD dst_unused:UNUSED_PAD src0_sel:WORD_1 src1_sel:DWORD
	v_mov_b32_e32 v33, v9
	v_lshrrev_b32_e32 v4, 3, v11
	v_mov_b32_e32 v32, v8
	v_cmpx_gt_u32_e32 8, v11
; %bb.1215:                             ;   in Loop: Header=BB397_11 Depth=1
	v_ffbh_u32_e32 v4, v8
	v_min_u32_e32 v4, 32, v4
	v_subrev_nc_u32_e32 v11, 28, v4
	v_sub_nc_u32_e32 v4, 29, v4
	v_lshlrev_b64 v[11:12], v11, v[8:9]
	v_and_b32_e32 v32, 7, v11
; %bb.1216:                             ;   in Loop: Header=BB397_11 Depth=1
	s_or_b32 exec_lo, exec_lo, s24
	v_mov_b32_e32 v8, 24
	v_lshlrev_b32_e32 v11, 20, v32
	v_lshl_add_u32 v4, v4, 23, 0x3c000000
	v_lshlrev_b32_sdwa v8, v8, v31 dst_sel:DWORD dst_unused:UNUSED_PAD src0_sel:DWORD src1_sel:WORD_1
	v_and_b32_e32 v8, 0x80000000, v8
	v_or3_b32 v97, v11, v8, v4
.LBB397_1217:                           ;   in Loop: Header=BB397_11 Depth=1
	s_or_b32 exec_lo, exec_lo, s23
.LBB397_1218:                           ;   in Loop: Header=BB397_11 Depth=1
	s_or_b32 exec_lo, exec_lo, s17
.LBB397_1219:                           ;   in Loop: Header=BB397_11 Depth=1
	s_or_b32 exec_lo, exec_lo, s6
	v_mov_b32_e32 v114, 0
	v_mov_b32_e32 v85, 0
	s_mov_b32 s6, exec_lo
	v_cmpx_lt_u64_e64 s[8:9], v[30:31]
	s_cbranch_execz .LBB397_1227
; %bb.1220:                             ;   in Loop: Header=BB397_11 Depth=1
	v_cmp_ne_u32_sdwa s5, v31, v126 src0_sel:BYTE_3 src1_sel:DWORD
	v_bfrev_b32_e32 v85, 1
	s_and_saveexec_b32 s17, s5
	s_cbranch_execz .LBB397_1226
; %bb.1221:                             ;   in Loop: Header=BB397_11 Depth=1
	v_bfe_u32 v11, v31, 24, 7
	v_mov_b32_e32 v85, 0x7f800001
	s_mov_b32 s23, exec_lo
	v_cmpx_ne_u32_e32 0x7f, v11
	s_cbranch_execz .LBB397_1225
; %bb.1222:                             ;   in Loop: Header=BB397_11 Depth=1
	v_mov_b32_e32 v4, 7
	s_mov_b32 s24, exec_lo
	v_and_b32_sdwa v8, v31, v4 dst_sel:DWORD dst_unused:UNUSED_PAD src0_sel:BYTE_3 src1_sel:DWORD
	v_mov_b32_e32 v33, v9
	v_lshrrev_b32_e32 v4, 3, v11
	v_mov_b32_e32 v32, v8
	v_cmpx_gt_u32_e32 8, v11
; %bb.1223:                             ;   in Loop: Header=BB397_11 Depth=1
	v_ffbh_u32_e32 v4, v8
	v_min_u32_e32 v4, 32, v4
	v_subrev_nc_u32_e32 v11, 28, v4
	v_sub_nc_u32_e32 v4, 29, v4
	v_lshlrev_b64 v[11:12], v11, v[8:9]
	v_and_b32_e32 v32, 7, v11
; %bb.1224:                             ;   in Loop: Header=BB397_11 Depth=1
	s_or_b32 exec_lo, exec_lo, s24
	v_mov_b32_e32 v8, 24
	v_lshlrev_b32_e32 v11, 20, v32
	v_lshl_add_u32 v4, v4, 23, 0x3c000000
	v_lshlrev_b32_sdwa v8, v8, v31 dst_sel:DWORD dst_unused:UNUSED_PAD src0_sel:DWORD src1_sel:BYTE_3
	v_and_b32_e32 v8, 0x80000000, v8
	v_or3_b32 v85, v11, v8, v4
.LBB397_1225:                           ;   in Loop: Header=BB397_11 Depth=1
	s_or_b32 exec_lo, exec_lo, s23
.LBB397_1226:                           ;   in Loop: Header=BB397_11 Depth=1
	s_or_b32 exec_lo, exec_lo, s17
.LBB397_1227:                           ;   in Loop: Header=BB397_11 Depth=1
	s_or_b32 exec_lo, exec_lo, s6
	flat_load_dwordx2 v[30:31], v[28:29] offset:520
	s_waitcnt vmcnt(0) lgkmcnt(0)
	v_cmp_ne_u16_sdwa s5, v30, v9 src0_sel:BYTE_0 src1_sel:DWORD
	s_and_saveexec_b32 s6, s5
	s_cbranch_execz .LBB397_1235
; %bb.1228:                             ;   in Loop: Header=BB397_11 Depth=1
	v_cmp_ne_u16_sdwa s5, v30, v126 src0_sel:BYTE_0 src1_sel:DWORD
	v_bfrev_b32_e32 v114, 1
	s_and_saveexec_b32 s17, s5
	s_cbranch_execz .LBB397_1234
; %bb.1229:                             ;   in Loop: Header=BB397_11 Depth=1
	v_and_b32_e32 v8, 0x7f, v30
	v_mov_b32_e32 v114, 0x7f800001
	s_mov_b32 s23, exec_lo
	v_cmpx_ne_u32_e32 0x7f, v8
	s_cbranch_execz .LBB397_1233
; %bb.1230:                             ;   in Loop: Header=BB397_11 Depth=1
	v_mov_b32_e32 v33, v31
	v_lshrrev_b32_e32 v4, 3, v8
	v_mov_b32_e32 v32, v30
	s_mov_b32 s24, exec_lo
	v_cmpx_gt_u32_e32 8, v8
; %bb.1231:                             ;   in Loop: Header=BB397_11 Depth=1
	v_and_b32_e32 v4, 7, v30
	v_ffbh_u32_e32 v4, v4
	v_min_u32_e32 v4, 32, v4
	v_subrev_nc_u32_e32 v8, 28, v4
	v_sub_nc_u32_e32 v4, 29, v4
	v_lshlrev_b64 v[32:33], v8, v[30:31]
; %bb.1232:                             ;   in Loop: Header=BB397_11 Depth=1
	s_or_b32 exec_lo, exec_lo, s24
	v_lshlrev_b32_e32 v8, 20, v32
	v_lshlrev_b32_e32 v11, 24, v30
	v_lshl_add_u32 v4, v4, 23, 0x3c000000
	v_and_b32_e32 v8, 0x700000, v8
	v_and_b32_e32 v11, 0x80000000, v11
	v_or3_b32 v114, v8, v11, v4
.LBB397_1233:                           ;   in Loop: Header=BB397_11 Depth=1
	s_or_b32 exec_lo, exec_lo, s23
.LBB397_1234:                           ;   in Loop: Header=BB397_11 Depth=1
	s_or_b32 exec_lo, exec_lo, s17
.LBB397_1235:                           ;   in Loop: Header=BB397_11 Depth=1
	s_or_b32 exec_lo, exec_lo, s6
	v_cmp_ne_u16_sdwa s5, v30, v9 src0_sel:BYTE_1 src1_sel:DWORD
	v_mov_b32_e32 v115, 0
	v_mov_b32_e32 v112, 0
	s_and_saveexec_b32 s6, s5
	s_cbranch_execz .LBB397_1243
; %bb.1236:                             ;   in Loop: Header=BB397_11 Depth=1
	v_cmp_ne_u16_sdwa s5, v30, v126 src0_sel:BYTE_1 src1_sel:DWORD
	v_bfrev_b32_e32 v112, 1
	s_and_saveexec_b32 s17, s5
	s_cbranch_execz .LBB397_1242
; %bb.1237:                             ;   in Loop: Header=BB397_11 Depth=1
	v_mov_b32_e32 v4, 0xffff
	v_mov_b32_e32 v112, 0x7f800001
	s_mov_b32 s23, exec_lo
	v_and_b32_sdwa v4, v4, v30 dst_sel:DWORD dst_unused:UNUSED_PAD src0_sel:DWORD src1_sel:BYTE_1
	v_and_b32_e32 v11, 0x7f, v4
	v_cmpx_ne_u32_e32 0x7f, v11
	s_cbranch_execz .LBB397_1241
; %bb.1238:                             ;   in Loop: Header=BB397_11 Depth=1
	v_and_b32_e32 v8, 7, v4
	v_mov_b32_e32 v33, v9
	v_lshrrev_b32_e32 v4, 3, v11
	s_mov_b32 s24, exec_lo
	v_mov_b32_e32 v32, v8
	v_cmpx_gt_u32_e32 8, v11
; %bb.1239:                             ;   in Loop: Header=BB397_11 Depth=1
	v_ffbh_u32_e32 v4, v8
	v_min_u32_e32 v4, 32, v4
	v_subrev_nc_u32_e32 v11, 28, v4
	v_sub_nc_u32_e32 v4, 29, v4
	v_lshlrev_b64 v[11:12], v11, v[8:9]
	v_and_b32_e32 v32, 7, v11
; %bb.1240:                             ;   in Loop: Header=BB397_11 Depth=1
	s_or_b32 exec_lo, exec_lo, s24
	v_lshlrev_b32_e32 v8, 16, v30
	v_lshlrev_b32_e32 v11, 20, v32
	v_lshl_add_u32 v4, v4, 23, 0x3c000000
	v_and_b32_e32 v8, 0x80000000, v8
	v_or3_b32 v112, v11, v8, v4
.LBB397_1241:                           ;   in Loop: Header=BB397_11 Depth=1
	s_or_b32 exec_lo, exec_lo, s23
.LBB397_1242:                           ;   in Loop: Header=BB397_11 Depth=1
	s_or_b32 exec_lo, exec_lo, s17
.LBB397_1243:                           ;   in Loop: Header=BB397_11 Depth=1
	s_or_b32 exec_lo, exec_lo, s6
	v_mov_b32_e32 v4, 0xff
	s_mov_b32 s6, exec_lo
	v_and_b32_sdwa v4, v30, v4 dst_sel:DWORD dst_unused:UNUSED_PAD src0_sel:WORD_1 src1_sel:DWORD
	v_cmpx_ne_u16_e32 0, v4
	s_cbranch_execz .LBB397_1251
; %bb.1244:                             ;   in Loop: Header=BB397_11 Depth=1
	v_bfrev_b32_e32 v115, 1
	s_mov_b32 s17, exec_lo
	v_cmpx_ne_u16_e32 0x80, v4
	s_cbranch_execz .LBB397_1250
; %bb.1245:                             ;   in Loop: Header=BB397_11 Depth=1
	v_bfe_u32 v11, v30, 16, 7
	v_mov_b32_e32 v115, 0x7f800001
	s_mov_b32 s23, exec_lo
	v_cmpx_ne_u32_e32 0x7f, v11
	s_cbranch_execz .LBB397_1249
; %bb.1246:                             ;   in Loop: Header=BB397_11 Depth=1
	v_mov_b32_e32 v4, 7
	s_mov_b32 s24, exec_lo
	v_and_b32_sdwa v8, v30, v4 dst_sel:DWORD dst_unused:UNUSED_PAD src0_sel:WORD_1 src1_sel:DWORD
	v_mov_b32_e32 v33, v9
	v_lshrrev_b32_e32 v4, 3, v11
	v_mov_b32_e32 v32, v8
	v_cmpx_gt_u32_e32 8, v11
; %bb.1247:                             ;   in Loop: Header=BB397_11 Depth=1
	v_ffbh_u32_e32 v4, v8
	v_min_u32_e32 v4, 32, v4
	v_subrev_nc_u32_e32 v11, 28, v4
	v_sub_nc_u32_e32 v4, 29, v4
	v_lshlrev_b64 v[11:12], v11, v[8:9]
	v_and_b32_e32 v32, 7, v11
; %bb.1248:                             ;   in Loop: Header=BB397_11 Depth=1
	s_or_b32 exec_lo, exec_lo, s24
	v_mov_b32_e32 v8, 24
	v_lshlrev_b32_e32 v11, 20, v32
	v_lshl_add_u32 v4, v4, 23, 0x3c000000
	v_lshlrev_b32_sdwa v8, v8, v30 dst_sel:DWORD dst_unused:UNUSED_PAD src0_sel:DWORD src1_sel:WORD_1
	v_and_b32_e32 v8, 0x80000000, v8
	v_or3_b32 v115, v11, v8, v4
.LBB397_1249:                           ;   in Loop: Header=BB397_11 Depth=1
	s_or_b32 exec_lo, exec_lo, s23
.LBB397_1250:                           ;   in Loop: Header=BB397_11 Depth=1
	s_or_b32 exec_lo, exec_lo, s17
.LBB397_1251:                           ;   in Loop: Header=BB397_11 Depth=1
	s_or_b32 exec_lo, exec_lo, s6
	v_mov_b32_e32 v20, 0
	v_mov_b32_e32 v21, 0
	s_mov_b32 s6, exec_lo
	v_cmpx_lt_u32_e32 0xffffff, v30
	s_cbranch_execz .LBB397_1259
; %bb.1252:                             ;   in Loop: Header=BB397_11 Depth=1
	v_cmp_ne_u32_sdwa s5, v30, v126 src0_sel:BYTE_3 src1_sel:DWORD
	v_bfrev_b32_e32 v21, 1
	s_and_saveexec_b32 s17, s5
	s_cbranch_execz .LBB397_1258
; %bb.1253:                             ;   in Loop: Header=BB397_11 Depth=1
	v_bfe_u32 v11, v30, 24, 7
	v_mov_b32_e32 v21, 0x7f800001
	s_mov_b32 s23, exec_lo
	v_cmpx_ne_u32_e32 0x7f, v11
	s_cbranch_execz .LBB397_1257
; %bb.1254:                             ;   in Loop: Header=BB397_11 Depth=1
	v_mov_b32_e32 v4, 7
	s_mov_b32 s24, exec_lo
	v_and_b32_sdwa v8, v30, v4 dst_sel:DWORD dst_unused:UNUSED_PAD src0_sel:BYTE_3 src1_sel:DWORD
	v_mov_b32_e32 v33, v9
	v_lshrrev_b32_e32 v4, 3, v11
	v_mov_b32_e32 v32, v8
	v_cmpx_gt_u32_e32 8, v11
; %bb.1255:                             ;   in Loop: Header=BB397_11 Depth=1
	v_ffbh_u32_e32 v4, v8
	v_min_u32_e32 v4, 32, v4
	v_subrev_nc_u32_e32 v11, 28, v4
	v_sub_nc_u32_e32 v4, 29, v4
	v_lshlrev_b64 v[11:12], v11, v[8:9]
	v_and_b32_e32 v32, 7, v11
; %bb.1256:                             ;   in Loop: Header=BB397_11 Depth=1
	s_or_b32 exec_lo, exec_lo, s24
	v_mov_b32_e32 v8, 24
	v_lshlrev_b32_e32 v11, 20, v32
	v_lshl_add_u32 v4, v4, 23, 0x3c000000
	v_lshlrev_b32_sdwa v8, v8, v30 dst_sel:DWORD dst_unused:UNUSED_PAD src0_sel:DWORD src1_sel:BYTE_3
	v_and_b32_e32 v8, 0x80000000, v8
	v_or3_b32 v21, v11, v8, v4
.LBB397_1257:                           ;   in Loop: Header=BB397_11 Depth=1
	s_or_b32 exec_lo, exec_lo, s23
.LBB397_1258:                           ;   in Loop: Header=BB397_11 Depth=1
	s_or_b32 exec_lo, exec_lo, s17
.LBB397_1259:                           ;   in Loop: Header=BB397_11 Depth=1
	s_or_b32 exec_lo, exec_lo, s6
	v_mov_b32_e32 v8, v31
	v_cmp_ne_u16_sdwa s5, v31, v9 src0_sel:BYTE_0 src1_sel:DWORD
	s_and_saveexec_b32 s6, s5
	s_cbranch_execz .LBB397_1267
; %bb.1260:                             ;   in Loop: Header=BB397_11 Depth=1
	v_cmp_ne_u16_sdwa s5, v31, v126 src0_sel:BYTE_0 src1_sel:DWORD
	v_bfrev_b32_e32 v20, 1
	s_and_saveexec_b32 s17, s5
	s_cbranch_execz .LBB397_1266
; %bb.1261:                             ;   in Loop: Header=BB397_11 Depth=1
	v_and_b32_e32 v11, 0x7f, v31
	v_mov_b32_e32 v20, 0x7f800001
	s_mov_b32 s23, exec_lo
	v_cmpx_ne_u32_e32 0x7f, v11
	s_cbranch_execz .LBB397_1265
; %bb.1262:                             ;   in Loop: Header=BB397_11 Depth=1
	v_mov_b32_e32 v33, v9
	v_mov_b32_e32 v32, v8
	v_lshrrev_b32_e32 v4, 3, v11
	s_mov_b32 s24, exec_lo
	v_cmpx_gt_u32_e32 8, v11
; %bb.1263:                             ;   in Loop: Header=BB397_11 Depth=1
	v_and_b32_e32 v4, 7, v31
	v_ffbh_u32_e32 v4, v4
	v_min_u32_e32 v4, 32, v4
	v_subrev_nc_u32_e32 v11, 28, v4
	v_sub_nc_u32_e32 v4, 29, v4
	v_lshlrev_b64 v[32:33], v11, v[8:9]
; %bb.1264:                             ;   in Loop: Header=BB397_11 Depth=1
	s_or_b32 exec_lo, exec_lo, s24
	v_lshlrev_b32_e32 v11, 20, v32
	v_lshlrev_b32_e32 v12, 24, v8
	v_lshl_add_u32 v4, v4, 23, 0x3c000000
	v_and_b32_e32 v11, 0x700000, v11
	v_and_b32_e32 v12, 0x80000000, v12
	v_or3_b32 v20, v11, v12, v4
.LBB397_1265:                           ;   in Loop: Header=BB397_11 Depth=1
	s_or_b32 exec_lo, exec_lo, s23
.LBB397_1266:                           ;   in Loop: Header=BB397_11 Depth=1
	s_or_b32 exec_lo, exec_lo, s17
.LBB397_1267:                           ;   in Loop: Header=BB397_11 Depth=1
	s_or_b32 exec_lo, exec_lo, s6
	v_cmp_ne_u16_sdwa s5, v8, v9 src0_sel:BYTE_1 src1_sel:DWORD
	v_mov_b32_e32 v113, 0
	v_mov_b32_e32 v17, 0
	s_and_saveexec_b32 s6, s5
	s_cbranch_execz .LBB397_1275
; %bb.1268:                             ;   in Loop: Header=BB397_11 Depth=1
	v_cmp_ne_u16_sdwa s5, v8, v126 src0_sel:BYTE_1 src1_sel:DWORD
	v_bfrev_b32_e32 v17, 1
	s_and_saveexec_b32 s17, s5
	s_cbranch_execz .LBB397_1274
; %bb.1269:                             ;   in Loop: Header=BB397_11 Depth=1
	v_mov_b32_e32 v4, 0xffff
	v_mov_b32_e32 v17, 0x7f800001
	s_mov_b32 s23, exec_lo
	v_and_b32_sdwa v4, v4, v8 dst_sel:DWORD dst_unused:UNUSED_PAD src0_sel:DWORD src1_sel:BYTE_1
	v_and_b32_e32 v11, 0x7f, v4
	v_cmpx_ne_u32_e32 0x7f, v11
	s_cbranch_execz .LBB397_1273
; %bb.1270:                             ;   in Loop: Header=BB397_11 Depth=1
	v_and_b32_e32 v32, 7, v4
	v_mov_b32_e32 v33, v9
	v_lshrrev_b32_e32 v4, 3, v11
	s_mov_b32 s24, exec_lo
	v_cmpx_gt_u32_e32 8, v11
; %bb.1271:                             ;   in Loop: Header=BB397_11 Depth=1
	v_ffbh_u32_e32 v4, v32
	v_min_u32_e32 v4, 32, v4
	v_subrev_nc_u32_e32 v11, 28, v4
	v_sub_nc_u32_e32 v4, 29, v4
	v_lshlrev_b64 v[11:12], v11, v[32:33]
	v_and_b32_e32 v32, 7, v11
; %bb.1272:                             ;   in Loop: Header=BB397_11 Depth=1
	s_or_b32 exec_lo, exec_lo, s24
	v_lshlrev_b32_e32 v8, 16, v8
	v_lshlrev_b32_e32 v11, 20, v32
	v_lshl_add_u32 v4, v4, 23, 0x3c000000
	v_and_b32_e32 v8, 0x80000000, v8
	v_or3_b32 v17, v11, v8, v4
.LBB397_1273:                           ;   in Loop: Header=BB397_11 Depth=1
	s_or_b32 exec_lo, exec_lo, s23
.LBB397_1274:                           ;   in Loop: Header=BB397_11 Depth=1
	s_or_b32 exec_lo, exec_lo, s17
.LBB397_1275:                           ;   in Loop: Header=BB397_11 Depth=1
	s_or_b32 exec_lo, exec_lo, s6
	v_mov_b32_e32 v4, 0xff
	s_mov_b32 s6, exec_lo
	v_and_b32_sdwa v4, v31, v4 dst_sel:DWORD dst_unused:UNUSED_PAD src0_sel:WORD_1 src1_sel:DWORD
	v_cmpx_ne_u16_e32 0, v4
	s_cbranch_execz .LBB397_1283
; %bb.1276:                             ;   in Loop: Header=BB397_11 Depth=1
	v_bfrev_b32_e32 v113, 1
	s_mov_b32 s17, exec_lo
	v_cmpx_ne_u16_e32 0x80, v4
	s_cbranch_execz .LBB397_1282
; %bb.1277:                             ;   in Loop: Header=BB397_11 Depth=1
	v_bfe_u32 v11, v31, 16, 7
	v_mov_b32_e32 v113, 0x7f800001
	s_mov_b32 s23, exec_lo
	v_cmpx_ne_u32_e32 0x7f, v11
	s_cbranch_execz .LBB397_1281
; %bb.1278:                             ;   in Loop: Header=BB397_11 Depth=1
	v_mov_b32_e32 v4, 7
	s_mov_b32 s24, exec_lo
	v_and_b32_sdwa v8, v31, v4 dst_sel:DWORD dst_unused:UNUSED_PAD src0_sel:WORD_1 src1_sel:DWORD
	v_mov_b32_e32 v33, v9
	v_lshrrev_b32_e32 v4, 3, v11
	v_mov_b32_e32 v32, v8
	v_cmpx_gt_u32_e32 8, v11
; %bb.1279:                             ;   in Loop: Header=BB397_11 Depth=1
	v_ffbh_u32_e32 v4, v8
	v_min_u32_e32 v4, 32, v4
	v_subrev_nc_u32_e32 v11, 28, v4
	v_sub_nc_u32_e32 v4, 29, v4
	v_lshlrev_b64 v[11:12], v11, v[8:9]
	v_and_b32_e32 v32, 7, v11
; %bb.1280:                             ;   in Loop: Header=BB397_11 Depth=1
	s_or_b32 exec_lo, exec_lo, s24
	v_mov_b32_e32 v8, 24
	v_lshlrev_b32_e32 v11, 20, v32
	v_lshl_add_u32 v4, v4, 23, 0x3c000000
	v_lshlrev_b32_sdwa v8, v8, v31 dst_sel:DWORD dst_unused:UNUSED_PAD src0_sel:DWORD src1_sel:WORD_1
	v_and_b32_e32 v8, 0x80000000, v8
	v_or3_b32 v113, v11, v8, v4
.LBB397_1281:                           ;   in Loop: Header=BB397_11 Depth=1
	s_or_b32 exec_lo, exec_lo, s23
.LBB397_1282:                           ;   in Loop: Header=BB397_11 Depth=1
	s_or_b32 exec_lo, exec_lo, s17
.LBB397_1283:                           ;   in Loop: Header=BB397_11 Depth=1
	s_or_b32 exec_lo, exec_lo, s6
	v_mov_b32_e32 v12, 0
	v_mov_b32_e32 v101, 0
	s_mov_b32 s6, exec_lo
	v_cmpx_lt_u64_e64 s[8:9], v[30:31]
	s_cbranch_execz .LBB397_1291
; %bb.1284:                             ;   in Loop: Header=BB397_11 Depth=1
	v_cmp_ne_u32_sdwa s5, v31, v126 src0_sel:BYTE_3 src1_sel:DWORD
	v_bfrev_b32_e32 v101, 1
	s_and_saveexec_b32 s17, s5
	s_cbranch_execz .LBB397_1290
; %bb.1285:                             ;   in Loop: Header=BB397_11 Depth=1
	v_bfe_u32 v11, v31, 24, 7
	v_mov_b32_e32 v101, 0x7f800001
	s_mov_b32 s23, exec_lo
	v_cmpx_ne_u32_e32 0x7f, v11
	s_cbranch_execz .LBB397_1289
; %bb.1286:                             ;   in Loop: Header=BB397_11 Depth=1
	v_mov_b32_e32 v4, 7
	s_mov_b32 s24, exec_lo
	v_and_b32_sdwa v8, v31, v4 dst_sel:DWORD dst_unused:UNUSED_PAD src0_sel:BYTE_3 src1_sel:DWORD
	v_mov_b32_e32 v33, v9
	v_lshrrev_b32_e32 v4, 3, v11
	v_mov_b32_e32 v32, v8
	v_cmpx_gt_u32_e32 8, v11
; %bb.1287:                             ;   in Loop: Header=BB397_11 Depth=1
	v_ffbh_u32_e32 v4, v8
	v_min_u32_e32 v4, 32, v4
	v_subrev_nc_u32_e32 v11, 28, v4
	v_sub_nc_u32_e32 v4, 29, v4
	v_lshlrev_b64 v[32:33], v11, v[8:9]
	v_and_b32_e32 v32, 7, v32
; %bb.1288:                             ;   in Loop: Header=BB397_11 Depth=1
	s_or_b32 exec_lo, exec_lo, s24
	v_mov_b32_e32 v8, 24
	v_lshlrev_b32_e32 v11, 20, v32
	v_lshl_add_u32 v4, v4, 23, 0x3c000000
	v_lshlrev_b32_sdwa v8, v8, v31 dst_sel:DWORD dst_unused:UNUSED_PAD src0_sel:DWORD src1_sel:BYTE_3
	v_and_b32_e32 v8, 0x80000000, v8
	v_or3_b32 v101, v11, v8, v4
.LBB397_1289:                           ;   in Loop: Header=BB397_11 Depth=1
	s_or_b32 exec_lo, exec_lo, s23
.LBB397_1290:                           ;   in Loop: Header=BB397_11 Depth=1
	s_or_b32 exec_lo, exec_lo, s17
.LBB397_1291:                           ;   in Loop: Header=BB397_11 Depth=1
	s_or_b32 exec_lo, exec_lo, s6
	flat_load_dwordx2 v[30:31], v[28:29] offset:1024
	s_waitcnt vmcnt(0) lgkmcnt(0)
	v_cmp_ne_u16_sdwa s5, v30, v9 src0_sel:BYTE_0 src1_sel:DWORD
	s_and_saveexec_b32 s6, s5
	s_cbranch_execz .LBB397_1299
; %bb.1292:                             ;   in Loop: Header=BB397_11 Depth=1
	v_cmp_ne_u16_sdwa s5, v30, v126 src0_sel:BYTE_0 src1_sel:DWORD
	v_bfrev_b32_e32 v12, 1
	s_and_saveexec_b32 s17, s5
	s_cbranch_execz .LBB397_1298
; %bb.1293:                             ;   in Loop: Header=BB397_11 Depth=1
	v_and_b32_e32 v8, 0x7f, v30
	v_mov_b32_e32 v12, 0x7f800001
	s_mov_b32 s23, exec_lo
	v_cmpx_ne_u32_e32 0x7f, v8
	s_cbranch_execz .LBB397_1297
; %bb.1294:                             ;   in Loop: Header=BB397_11 Depth=1
	v_mov_b32_e32 v33, v31
	v_lshrrev_b32_e32 v4, 3, v8
	v_mov_b32_e32 v32, v30
	s_mov_b32 s24, exec_lo
	v_cmpx_gt_u32_e32 8, v8
; %bb.1295:                             ;   in Loop: Header=BB397_11 Depth=1
	v_and_b32_e32 v4, 7, v30
	v_ffbh_u32_e32 v4, v4
	v_min_u32_e32 v4, 32, v4
	v_subrev_nc_u32_e32 v8, 28, v4
	v_sub_nc_u32_e32 v4, 29, v4
	v_lshlrev_b64 v[32:33], v8, v[30:31]
; %bb.1296:                             ;   in Loop: Header=BB397_11 Depth=1
	s_or_b32 exec_lo, exec_lo, s24
	v_lshlrev_b32_e32 v8, 20, v32
	v_lshlrev_b32_e32 v11, 24, v30
	v_lshl_add_u32 v4, v4, 23, 0x3c000000
	v_and_b32_e32 v8, 0x700000, v8
	v_and_b32_e32 v11, 0x80000000, v11
	v_or3_b32 v12, v8, v11, v4
.LBB397_1297:                           ;   in Loop: Header=BB397_11 Depth=1
	s_or_b32 exec_lo, exec_lo, s23
.LBB397_1298:                           ;   in Loop: Header=BB397_11 Depth=1
	s_or_b32 exec_lo, exec_lo, s17
.LBB397_1299:                           ;   in Loop: Header=BB397_11 Depth=1
	s_or_b32 exec_lo, exec_lo, s6
	v_cmp_ne_u16_sdwa s5, v30, v9 src0_sel:BYTE_1 src1_sel:DWORD
	v_mov_b32_e32 v117, 0
	v_mov_b32_e32 v116, 0
	s_and_saveexec_b32 s6, s5
	s_cbranch_execz .LBB397_1307
; %bb.1300:                             ;   in Loop: Header=BB397_11 Depth=1
	v_cmp_ne_u16_sdwa s5, v30, v126 src0_sel:BYTE_1 src1_sel:DWORD
	v_bfrev_b32_e32 v116, 1
	s_and_saveexec_b32 s17, s5
	s_cbranch_execz .LBB397_1306
; %bb.1301:                             ;   in Loop: Header=BB397_11 Depth=1
	v_mov_b32_e32 v4, 0xffff
	v_mov_b32_e32 v116, 0x7f800001
	s_mov_b32 s23, exec_lo
	v_and_b32_sdwa v4, v4, v30 dst_sel:DWORD dst_unused:UNUSED_PAD src0_sel:DWORD src1_sel:BYTE_1
	v_and_b32_e32 v11, 0x7f, v4
	v_cmpx_ne_u32_e32 0x7f, v11
	s_cbranch_execz .LBB397_1305
; %bb.1302:                             ;   in Loop: Header=BB397_11 Depth=1
	v_and_b32_e32 v8, 7, v4
	v_mov_b32_e32 v33, v9
	v_lshrrev_b32_e32 v4, 3, v11
	s_mov_b32 s24, exec_lo
	v_mov_b32_e32 v32, v8
	v_cmpx_gt_u32_e32 8, v11
; %bb.1303:                             ;   in Loop: Header=BB397_11 Depth=1
	v_ffbh_u32_e32 v4, v8
	v_min_u32_e32 v4, 32, v4
	v_subrev_nc_u32_e32 v11, 28, v4
	v_sub_nc_u32_e32 v4, 29, v4
	v_lshlrev_b64 v[32:33], v11, v[8:9]
	v_and_b32_e32 v32, 7, v32
; %bb.1304:                             ;   in Loop: Header=BB397_11 Depth=1
	s_or_b32 exec_lo, exec_lo, s24
	v_lshlrev_b32_e32 v8, 16, v30
	v_lshlrev_b32_e32 v11, 20, v32
	v_lshl_add_u32 v4, v4, 23, 0x3c000000
	v_and_b32_e32 v8, 0x80000000, v8
	v_or3_b32 v116, v11, v8, v4
.LBB397_1305:                           ;   in Loop: Header=BB397_11 Depth=1
	s_or_b32 exec_lo, exec_lo, s23
.LBB397_1306:                           ;   in Loop: Header=BB397_11 Depth=1
	s_or_b32 exec_lo, exec_lo, s17
.LBB397_1307:                           ;   in Loop: Header=BB397_11 Depth=1
	s_or_b32 exec_lo, exec_lo, s6
	v_mov_b32_e32 v4, 0xff
	s_mov_b32 s6, exec_lo
	v_and_b32_sdwa v4, v30, v4 dst_sel:DWORD dst_unused:UNUSED_PAD src0_sel:WORD_1 src1_sel:DWORD
	v_cmpx_ne_u16_e32 0, v4
	s_cbranch_execz .LBB397_1315
; %bb.1308:                             ;   in Loop: Header=BB397_11 Depth=1
	v_bfrev_b32_e32 v117, 1
	s_mov_b32 s17, exec_lo
	v_cmpx_ne_u16_e32 0x80, v4
	s_cbranch_execz .LBB397_1314
; %bb.1309:                             ;   in Loop: Header=BB397_11 Depth=1
	v_bfe_u32 v11, v30, 16, 7
	v_mov_b32_e32 v117, 0x7f800001
	s_mov_b32 s23, exec_lo
	v_cmpx_ne_u32_e32 0x7f, v11
	s_cbranch_execz .LBB397_1313
; %bb.1310:                             ;   in Loop: Header=BB397_11 Depth=1
	v_mov_b32_e32 v4, 7
	s_mov_b32 s24, exec_lo
	v_and_b32_sdwa v8, v30, v4 dst_sel:DWORD dst_unused:UNUSED_PAD src0_sel:WORD_1 src1_sel:DWORD
	v_mov_b32_e32 v33, v9
	v_lshrrev_b32_e32 v4, 3, v11
	v_mov_b32_e32 v32, v8
	v_cmpx_gt_u32_e32 8, v11
; %bb.1311:                             ;   in Loop: Header=BB397_11 Depth=1
	v_ffbh_u32_e32 v4, v8
	v_min_u32_e32 v4, 32, v4
	v_subrev_nc_u32_e32 v11, 28, v4
	v_sub_nc_u32_e32 v4, 29, v4
	v_lshlrev_b64 v[32:33], v11, v[8:9]
	v_and_b32_e32 v32, 7, v32
; %bb.1312:                             ;   in Loop: Header=BB397_11 Depth=1
	s_or_b32 exec_lo, exec_lo, s24
	v_mov_b32_e32 v8, 24
	v_lshlrev_b32_e32 v11, 20, v32
	v_lshl_add_u32 v4, v4, 23, 0x3c000000
	v_lshlrev_b32_sdwa v8, v8, v30 dst_sel:DWORD dst_unused:UNUSED_PAD src0_sel:DWORD src1_sel:WORD_1
	v_and_b32_e32 v8, 0x80000000, v8
	v_or3_b32 v117, v11, v8, v4
.LBB397_1313:                           ;   in Loop: Header=BB397_11 Depth=1
	s_or_b32 exec_lo, exec_lo, s23
.LBB397_1314:                           ;   in Loop: Header=BB397_11 Depth=1
	s_or_b32 exec_lo, exec_lo, s17
.LBB397_1315:                           ;   in Loop: Header=BB397_11 Depth=1
	s_or_b32 exec_lo, exec_lo, s6
	v_mov_b32_e32 v119, 0
	v_mov_b32_e32 v40, 0
	s_mov_b32 s6, exec_lo
	v_cmpx_lt_u32_e32 0xffffff, v30
	s_cbranch_execz .LBB397_1323
; %bb.1316:                             ;   in Loop: Header=BB397_11 Depth=1
	v_cmp_ne_u32_sdwa s5, v30, v126 src0_sel:BYTE_3 src1_sel:DWORD
	v_bfrev_b32_e32 v40, 1
	s_and_saveexec_b32 s17, s5
	s_cbranch_execz .LBB397_1322
; %bb.1317:                             ;   in Loop: Header=BB397_11 Depth=1
	v_bfe_u32 v11, v30, 24, 7
	v_mov_b32_e32 v40, 0x7f800001
	s_mov_b32 s23, exec_lo
	v_cmpx_ne_u32_e32 0x7f, v11
	s_cbranch_execz .LBB397_1321
; %bb.1318:                             ;   in Loop: Header=BB397_11 Depth=1
	v_mov_b32_e32 v4, 7
	s_mov_b32 s24, exec_lo
	v_and_b32_sdwa v8, v30, v4 dst_sel:DWORD dst_unused:UNUSED_PAD src0_sel:BYTE_3 src1_sel:DWORD
	v_mov_b32_e32 v33, v9
	v_lshrrev_b32_e32 v4, 3, v11
	v_mov_b32_e32 v32, v8
	v_cmpx_gt_u32_e32 8, v11
; %bb.1319:                             ;   in Loop: Header=BB397_11 Depth=1
	v_ffbh_u32_e32 v4, v8
	v_min_u32_e32 v4, 32, v4
	v_subrev_nc_u32_e32 v11, 28, v4
	v_sub_nc_u32_e32 v4, 29, v4
	v_lshlrev_b64 v[32:33], v11, v[8:9]
	v_and_b32_e32 v32, 7, v32
; %bb.1320:                             ;   in Loop: Header=BB397_11 Depth=1
	s_or_b32 exec_lo, exec_lo, s24
	v_mov_b32_e32 v8, 24
	v_lshlrev_b32_e32 v11, 20, v32
	v_lshl_add_u32 v4, v4, 23, 0x3c000000
	v_lshlrev_b32_sdwa v8, v8, v30 dst_sel:DWORD dst_unused:UNUSED_PAD src0_sel:DWORD src1_sel:BYTE_3
	v_and_b32_e32 v8, 0x80000000, v8
	v_or3_b32 v40, v11, v8, v4
.LBB397_1321:                           ;   in Loop: Header=BB397_11 Depth=1
	s_or_b32 exec_lo, exec_lo, s23
.LBB397_1322:                           ;   in Loop: Header=BB397_11 Depth=1
	s_or_b32 exec_lo, exec_lo, s17
.LBB397_1323:                           ;   in Loop: Header=BB397_11 Depth=1
	s_or_b32 exec_lo, exec_lo, s6
	v_mov_b32_e32 v8, v31
	v_cmp_ne_u16_sdwa s5, v31, v9 src0_sel:BYTE_0 src1_sel:DWORD
	s_and_saveexec_b32 s6, s5
	s_cbranch_execz .LBB397_1331
; %bb.1324:                             ;   in Loop: Header=BB397_11 Depth=1
	v_cmp_ne_u16_sdwa s5, v31, v126 src0_sel:BYTE_0 src1_sel:DWORD
	v_bfrev_b32_e32 v119, 1
	s_and_saveexec_b32 s17, s5
	s_cbranch_execz .LBB397_1330
; %bb.1325:                             ;   in Loop: Header=BB397_11 Depth=1
	v_and_b32_e32 v11, 0x7f, v31
	v_mov_b32_e32 v119, 0x7f800001
	s_mov_b32 s23, exec_lo
	v_cmpx_ne_u32_e32 0x7f, v11
	s_cbranch_execz .LBB397_1329
; %bb.1326:                             ;   in Loop: Header=BB397_11 Depth=1
	v_mov_b32_e32 v33, v9
	v_mov_b32_e32 v32, v8
	v_lshrrev_b32_e32 v4, 3, v11
	s_mov_b32 s24, exec_lo
	v_cmpx_gt_u32_e32 8, v11
; %bb.1327:                             ;   in Loop: Header=BB397_11 Depth=1
	v_and_b32_e32 v4, 7, v31
	v_ffbh_u32_e32 v4, v4
	v_min_u32_e32 v4, 32, v4
	v_subrev_nc_u32_e32 v11, 28, v4
	v_sub_nc_u32_e32 v4, 29, v4
	v_lshlrev_b64 v[32:33], v11, v[8:9]
; %bb.1328:                             ;   in Loop: Header=BB397_11 Depth=1
	s_or_b32 exec_lo, exec_lo, s24
	v_lshlrev_b32_e32 v11, 20, v32
	v_lshlrev_b32_e32 v16, 24, v8
	v_lshl_add_u32 v4, v4, 23, 0x3c000000
	v_and_b32_e32 v11, 0x700000, v11
	v_and_b32_e32 v16, 0x80000000, v16
	v_or3_b32 v119, v11, v16, v4
.LBB397_1329:                           ;   in Loop: Header=BB397_11 Depth=1
	s_or_b32 exec_lo, exec_lo, s23
.LBB397_1330:                           ;   in Loop: Header=BB397_11 Depth=1
	s_or_b32 exec_lo, exec_lo, s17
.LBB397_1331:                           ;   in Loop: Header=BB397_11 Depth=1
	s_or_b32 exec_lo, exec_lo, s6
	v_cmp_ne_u16_sdwa s5, v8, v9 src0_sel:BYTE_1 src1_sel:DWORD
	v_mov_b32_e32 v103, 0
	v_mov_b32_e32 v68, 0
	s_and_saveexec_b32 s6, s5
	s_cbranch_execz .LBB397_1339
; %bb.1332:                             ;   in Loop: Header=BB397_11 Depth=1
	v_cmp_ne_u16_sdwa s5, v8, v126 src0_sel:BYTE_1 src1_sel:DWORD
	v_bfrev_b32_e32 v68, 1
	s_and_saveexec_b32 s17, s5
	s_cbranch_execz .LBB397_1338
; %bb.1333:                             ;   in Loop: Header=BB397_11 Depth=1
	v_mov_b32_e32 v4, 0xffff
	v_mov_b32_e32 v68, 0x7f800001
	s_mov_b32 s23, exec_lo
	v_and_b32_sdwa v4, v4, v8 dst_sel:DWORD dst_unused:UNUSED_PAD src0_sel:DWORD src1_sel:BYTE_1
	v_and_b32_e32 v11, 0x7f, v4
	v_cmpx_ne_u32_e32 0x7f, v11
	s_cbranch_execz .LBB397_1337
; %bb.1334:                             ;   in Loop: Header=BB397_11 Depth=1
	v_and_b32_e32 v32, 7, v4
	v_mov_b32_e32 v33, v9
	v_lshrrev_b32_e32 v4, 3, v11
	s_mov_b32 s24, exec_lo
	v_cmpx_gt_u32_e32 8, v11
; %bb.1335:                             ;   in Loop: Header=BB397_11 Depth=1
	v_ffbh_u32_e32 v4, v32
	v_min_u32_e32 v4, 32, v4
	v_subrev_nc_u32_e32 v11, 28, v4
	v_sub_nc_u32_e32 v4, 29, v4
	v_lshlrev_b64 v[32:33], v11, v[32:33]
	v_and_b32_e32 v32, 7, v32
; %bb.1336:                             ;   in Loop: Header=BB397_11 Depth=1
	s_or_b32 exec_lo, exec_lo, s24
	v_lshlrev_b32_e32 v8, 16, v8
	v_lshlrev_b32_e32 v11, 20, v32
	v_lshl_add_u32 v4, v4, 23, 0x3c000000
	v_and_b32_e32 v8, 0x80000000, v8
	v_or3_b32 v68, v11, v8, v4
.LBB397_1337:                           ;   in Loop: Header=BB397_11 Depth=1
	s_or_b32 exec_lo, exec_lo, s23
.LBB397_1338:                           ;   in Loop: Header=BB397_11 Depth=1
	s_or_b32 exec_lo, exec_lo, s17
.LBB397_1339:                           ;   in Loop: Header=BB397_11 Depth=1
	s_or_b32 exec_lo, exec_lo, s6
	v_mov_b32_e32 v4, 0xff
	s_mov_b32 s6, exec_lo
	v_and_b32_sdwa v4, v31, v4 dst_sel:DWORD dst_unused:UNUSED_PAD src0_sel:WORD_1 src1_sel:DWORD
	v_cmpx_ne_u16_e32 0, v4
	s_cbranch_execz .LBB397_1347
; %bb.1340:                             ;   in Loop: Header=BB397_11 Depth=1
	v_bfrev_b32_e32 v103, 1
	s_mov_b32 s17, exec_lo
	v_cmpx_ne_u16_e32 0x80, v4
	s_cbranch_execz .LBB397_1346
; %bb.1341:                             ;   in Loop: Header=BB397_11 Depth=1
	v_bfe_u32 v11, v31, 16, 7
	v_mov_b32_e32 v103, 0x7f800001
	s_mov_b32 s23, exec_lo
	v_cmpx_ne_u32_e32 0x7f, v11
	s_cbranch_execz .LBB397_1345
; %bb.1342:                             ;   in Loop: Header=BB397_11 Depth=1
	v_mov_b32_e32 v4, 7
	s_mov_b32 s24, exec_lo
	v_and_b32_sdwa v8, v31, v4 dst_sel:DWORD dst_unused:UNUSED_PAD src0_sel:WORD_1 src1_sel:DWORD
	v_mov_b32_e32 v33, v9
	v_lshrrev_b32_e32 v4, 3, v11
	v_mov_b32_e32 v32, v8
	v_cmpx_gt_u32_e32 8, v11
; %bb.1343:                             ;   in Loop: Header=BB397_11 Depth=1
	v_ffbh_u32_e32 v4, v8
	v_min_u32_e32 v4, 32, v4
	v_subrev_nc_u32_e32 v11, 28, v4
	v_sub_nc_u32_e32 v4, 29, v4
	v_lshlrev_b64 v[32:33], v11, v[8:9]
	v_and_b32_e32 v32, 7, v32
; %bb.1344:                             ;   in Loop: Header=BB397_11 Depth=1
	s_or_b32 exec_lo, exec_lo, s24
	v_mov_b32_e32 v8, 24
	v_lshlrev_b32_e32 v11, 20, v32
	v_lshl_add_u32 v4, v4, 23, 0x3c000000
	v_lshlrev_b32_sdwa v8, v8, v31 dst_sel:DWORD dst_unused:UNUSED_PAD src0_sel:DWORD src1_sel:WORD_1
	v_and_b32_e32 v8, 0x80000000, v8
	v_or3_b32 v103, v11, v8, v4
.LBB397_1345:                           ;   in Loop: Header=BB397_11 Depth=1
	s_or_b32 exec_lo, exec_lo, s23
.LBB397_1346:                           ;   in Loop: Header=BB397_11 Depth=1
	s_or_b32 exec_lo, exec_lo, s17
.LBB397_1347:                           ;   in Loop: Header=BB397_11 Depth=1
	s_or_b32 exec_lo, exec_lo, s6
	v_mov_b32_e32 v49, 0
	v_mov_b32_e32 v54, 0
	s_mov_b32 s6, exec_lo
	v_cmpx_lt_u64_e64 s[8:9], v[30:31]
	s_cbranch_execz .LBB397_1355
; %bb.1348:                             ;   in Loop: Header=BB397_11 Depth=1
	v_cmp_ne_u32_sdwa s5, v31, v126 src0_sel:BYTE_3 src1_sel:DWORD
	v_bfrev_b32_e32 v54, 1
	s_and_saveexec_b32 s17, s5
	s_cbranch_execz .LBB397_1354
; %bb.1349:                             ;   in Loop: Header=BB397_11 Depth=1
	v_bfe_u32 v11, v31, 24, 7
	v_mov_b32_e32 v54, 0x7f800001
	s_mov_b32 s23, exec_lo
	v_cmpx_ne_u32_e32 0x7f, v11
	s_cbranch_execz .LBB397_1353
; %bb.1350:                             ;   in Loop: Header=BB397_11 Depth=1
	v_mov_b32_e32 v4, 7
	s_mov_b32 s24, exec_lo
	v_and_b32_sdwa v8, v31, v4 dst_sel:DWORD dst_unused:UNUSED_PAD src0_sel:BYTE_3 src1_sel:DWORD
	v_mov_b32_e32 v33, v9
	v_lshrrev_b32_e32 v4, 3, v11
	v_mov_b32_e32 v32, v8
	v_cmpx_gt_u32_e32 8, v11
; %bb.1351:                             ;   in Loop: Header=BB397_11 Depth=1
	v_ffbh_u32_e32 v4, v8
	v_min_u32_e32 v4, 32, v4
	v_subrev_nc_u32_e32 v11, 28, v4
	v_sub_nc_u32_e32 v4, 29, v4
	v_lshlrev_b64 v[32:33], v11, v[8:9]
	v_and_b32_e32 v32, 7, v32
; %bb.1352:                             ;   in Loop: Header=BB397_11 Depth=1
	s_or_b32 exec_lo, exec_lo, s24
	v_mov_b32_e32 v8, 24
	v_lshlrev_b32_e32 v11, 20, v32
	v_lshl_add_u32 v4, v4, 23, 0x3c000000
	v_lshlrev_b32_sdwa v8, v8, v31 dst_sel:DWORD dst_unused:UNUSED_PAD src0_sel:DWORD src1_sel:BYTE_3
	v_and_b32_e32 v8, 0x80000000, v8
	v_or3_b32 v54, v11, v8, v4
.LBB397_1353:                           ;   in Loop: Header=BB397_11 Depth=1
	s_or_b32 exec_lo, exec_lo, s23
.LBB397_1354:                           ;   in Loop: Header=BB397_11 Depth=1
	s_or_b32 exec_lo, exec_lo, s17
.LBB397_1355:                           ;   in Loop: Header=BB397_11 Depth=1
	s_or_b32 exec_lo, exec_lo, s6
	flat_load_dwordx2 v[30:31], v[28:29] offset:1032
	s_waitcnt vmcnt(0) lgkmcnt(0)
	v_cmp_ne_u16_sdwa s5, v30, v9 src0_sel:BYTE_0 src1_sel:DWORD
	s_and_saveexec_b32 s6, s5
	s_cbranch_execz .LBB397_1363
; %bb.1356:                             ;   in Loop: Header=BB397_11 Depth=1
	v_cmp_ne_u16_sdwa s5, v30, v126 src0_sel:BYTE_0 src1_sel:DWORD
	v_bfrev_b32_e32 v49, 1
	s_and_saveexec_b32 s17, s5
	s_cbranch_execz .LBB397_1362
; %bb.1357:                             ;   in Loop: Header=BB397_11 Depth=1
	v_and_b32_e32 v8, 0x7f, v30
	v_mov_b32_e32 v49, 0x7f800001
	s_mov_b32 s23, exec_lo
	v_cmpx_ne_u32_e32 0x7f, v8
	s_cbranch_execz .LBB397_1361
; %bb.1358:                             ;   in Loop: Header=BB397_11 Depth=1
	v_mov_b32_e32 v33, v31
	v_lshrrev_b32_e32 v4, 3, v8
	v_mov_b32_e32 v32, v30
	s_mov_b32 s24, exec_lo
	v_cmpx_gt_u32_e32 8, v8
; %bb.1359:                             ;   in Loop: Header=BB397_11 Depth=1
	v_and_b32_e32 v4, 7, v30
	v_ffbh_u32_e32 v4, v4
	v_min_u32_e32 v4, 32, v4
	v_subrev_nc_u32_e32 v8, 28, v4
	v_sub_nc_u32_e32 v4, 29, v4
	v_lshlrev_b64 v[32:33], v8, v[30:31]
; %bb.1360:                             ;   in Loop: Header=BB397_11 Depth=1
	s_or_b32 exec_lo, exec_lo, s24
	v_lshlrev_b32_e32 v8, 20, v32
	v_lshlrev_b32_e32 v11, 24, v30
	v_lshl_add_u32 v4, v4, 23, 0x3c000000
	v_and_b32_e32 v8, 0x700000, v8
	v_and_b32_e32 v11, 0x80000000, v11
	v_or3_b32 v49, v8, v11, v4
.LBB397_1361:                           ;   in Loop: Header=BB397_11 Depth=1
	s_or_b32 exec_lo, exec_lo, s23
.LBB397_1362:                           ;   in Loop: Header=BB397_11 Depth=1
	s_or_b32 exec_lo, exec_lo, s17
.LBB397_1363:                           ;   in Loop: Header=BB397_11 Depth=1
	s_or_b32 exec_lo, exec_lo, s6
	v_cmp_ne_u16_sdwa s5, v30, v9 src0_sel:BYTE_1 src1_sel:DWORD
	v_mov_b32_e32 v39, 0
	v_mov_b32_e32 v37, 0
	s_and_saveexec_b32 s6, s5
	s_cbranch_execz .LBB397_1371
; %bb.1364:                             ;   in Loop: Header=BB397_11 Depth=1
	v_cmp_ne_u16_sdwa s5, v30, v126 src0_sel:BYTE_1 src1_sel:DWORD
	v_bfrev_b32_e32 v37, 1
	s_and_saveexec_b32 s17, s5
	s_cbranch_execz .LBB397_1370
; %bb.1365:                             ;   in Loop: Header=BB397_11 Depth=1
	v_mov_b32_e32 v4, 0xffff
	v_mov_b32_e32 v37, 0x7f800001
	s_mov_b32 s23, exec_lo
	v_and_b32_sdwa v4, v4, v30 dst_sel:DWORD dst_unused:UNUSED_PAD src0_sel:DWORD src1_sel:BYTE_1
	v_and_b32_e32 v11, 0x7f, v4
	v_cmpx_ne_u32_e32 0x7f, v11
	s_cbranch_execz .LBB397_1369
; %bb.1366:                             ;   in Loop: Header=BB397_11 Depth=1
	v_and_b32_e32 v8, 7, v4
	v_mov_b32_e32 v33, v9
	v_lshrrev_b32_e32 v4, 3, v11
	s_mov_b32 s24, exec_lo
	v_mov_b32_e32 v32, v8
	v_cmpx_gt_u32_e32 8, v11
; %bb.1367:                             ;   in Loop: Header=BB397_11 Depth=1
	v_ffbh_u32_e32 v4, v8
	v_min_u32_e32 v4, 32, v4
	v_subrev_nc_u32_e32 v11, 28, v4
	v_sub_nc_u32_e32 v4, 29, v4
	v_lshlrev_b64 v[32:33], v11, v[8:9]
	v_and_b32_e32 v32, 7, v32
; %bb.1368:                             ;   in Loop: Header=BB397_11 Depth=1
	s_or_b32 exec_lo, exec_lo, s24
	v_lshlrev_b32_e32 v8, 16, v30
	v_lshlrev_b32_e32 v11, 20, v32
	v_lshl_add_u32 v4, v4, 23, 0x3c000000
	v_and_b32_e32 v8, 0x80000000, v8
	v_or3_b32 v37, v11, v8, v4
.LBB397_1369:                           ;   in Loop: Header=BB397_11 Depth=1
	s_or_b32 exec_lo, exec_lo, s23
.LBB397_1370:                           ;   in Loop: Header=BB397_11 Depth=1
	s_or_b32 exec_lo, exec_lo, s17
.LBB397_1371:                           ;   in Loop: Header=BB397_11 Depth=1
	s_or_b32 exec_lo, exec_lo, s6
	v_mov_b32_e32 v4, 0xff
	s_mov_b32 s6, exec_lo
	v_and_b32_sdwa v4, v30, v4 dst_sel:DWORD dst_unused:UNUSED_PAD src0_sel:WORD_1 src1_sel:DWORD
	v_cmpx_ne_u16_e32 0, v4
	s_cbranch_execz .LBB397_1379
; %bb.1372:                             ;   in Loop: Header=BB397_11 Depth=1
	v_bfrev_b32_e32 v39, 1
	s_mov_b32 s17, exec_lo
	v_cmpx_ne_u16_e32 0x80, v4
	s_cbranch_execz .LBB397_1378
; %bb.1373:                             ;   in Loop: Header=BB397_11 Depth=1
	v_bfe_u32 v11, v30, 16, 7
	v_mov_b32_e32 v39, 0x7f800001
	s_mov_b32 s23, exec_lo
	v_cmpx_ne_u32_e32 0x7f, v11
	s_cbranch_execz .LBB397_1377
; %bb.1374:                             ;   in Loop: Header=BB397_11 Depth=1
	v_mov_b32_e32 v4, 7
	s_mov_b32 s24, exec_lo
	v_and_b32_sdwa v8, v30, v4 dst_sel:DWORD dst_unused:UNUSED_PAD src0_sel:WORD_1 src1_sel:DWORD
	v_mov_b32_e32 v33, v9
	v_lshrrev_b32_e32 v4, 3, v11
	v_mov_b32_e32 v32, v8
	v_cmpx_gt_u32_e32 8, v11
; %bb.1375:                             ;   in Loop: Header=BB397_11 Depth=1
	v_ffbh_u32_e32 v4, v8
	v_min_u32_e32 v4, 32, v4
	v_subrev_nc_u32_e32 v11, 28, v4
	v_sub_nc_u32_e32 v4, 29, v4
	v_lshlrev_b64 v[32:33], v11, v[8:9]
	v_and_b32_e32 v32, 7, v32
; %bb.1376:                             ;   in Loop: Header=BB397_11 Depth=1
	s_or_b32 exec_lo, exec_lo, s24
	v_mov_b32_e32 v8, 24
	v_lshlrev_b32_e32 v11, 20, v32
	v_lshl_add_u32 v4, v4, 23, 0x3c000000
	v_lshlrev_b32_sdwa v8, v8, v30 dst_sel:DWORD dst_unused:UNUSED_PAD src0_sel:DWORD src1_sel:WORD_1
	v_and_b32_e32 v8, 0x80000000, v8
	v_or3_b32 v39, v11, v8, v4
.LBB397_1377:                           ;   in Loop: Header=BB397_11 Depth=1
	s_or_b32 exec_lo, exec_lo, s23
.LBB397_1378:                           ;   in Loop: Header=BB397_11 Depth=1
	s_or_b32 exec_lo, exec_lo, s17
.LBB397_1379:                           ;   in Loop: Header=BB397_11 Depth=1
	s_or_b32 exec_lo, exec_lo, s6
	v_mov_b32_e32 v48, 0
	v_mov_b32_e32 v47, 0
	s_mov_b32 s6, exec_lo
	v_cmpx_lt_u32_e32 0xffffff, v30
	s_cbranch_execz .LBB397_1387
; %bb.1380:                             ;   in Loop: Header=BB397_11 Depth=1
	v_cmp_ne_u32_sdwa s5, v30, v126 src0_sel:BYTE_3 src1_sel:DWORD
	v_bfrev_b32_e32 v47, 1
	s_and_saveexec_b32 s17, s5
	s_cbranch_execz .LBB397_1386
; %bb.1381:                             ;   in Loop: Header=BB397_11 Depth=1
	v_bfe_u32 v11, v30, 24, 7
	v_mov_b32_e32 v47, 0x7f800001
	s_mov_b32 s23, exec_lo
	v_cmpx_ne_u32_e32 0x7f, v11
	s_cbranch_execz .LBB397_1385
; %bb.1382:                             ;   in Loop: Header=BB397_11 Depth=1
	v_mov_b32_e32 v4, 7
	s_mov_b32 s24, exec_lo
	v_and_b32_sdwa v8, v30, v4 dst_sel:DWORD dst_unused:UNUSED_PAD src0_sel:BYTE_3 src1_sel:DWORD
	v_mov_b32_e32 v33, v9
	v_lshrrev_b32_e32 v4, 3, v11
	v_mov_b32_e32 v32, v8
	v_cmpx_gt_u32_e32 8, v11
; %bb.1383:                             ;   in Loop: Header=BB397_11 Depth=1
	v_ffbh_u32_e32 v4, v8
	v_min_u32_e32 v4, 32, v4
	v_subrev_nc_u32_e32 v11, 28, v4
	v_sub_nc_u32_e32 v4, 29, v4
	v_lshlrev_b64 v[32:33], v11, v[8:9]
	v_and_b32_e32 v32, 7, v32
; %bb.1384:                             ;   in Loop: Header=BB397_11 Depth=1
	s_or_b32 exec_lo, exec_lo, s24
	v_mov_b32_e32 v8, 24
	v_lshlrev_b32_e32 v11, 20, v32
	v_lshl_add_u32 v4, v4, 23, 0x3c000000
	v_lshlrev_b32_sdwa v8, v8, v30 dst_sel:DWORD dst_unused:UNUSED_PAD src0_sel:DWORD src1_sel:BYTE_3
	v_and_b32_e32 v8, 0x80000000, v8
	v_or3_b32 v47, v11, v8, v4
.LBB397_1385:                           ;   in Loop: Header=BB397_11 Depth=1
	s_or_b32 exec_lo, exec_lo, s23
.LBB397_1386:                           ;   in Loop: Header=BB397_11 Depth=1
	s_or_b32 exec_lo, exec_lo, s17
.LBB397_1387:                           ;   in Loop: Header=BB397_11 Depth=1
	s_or_b32 exec_lo, exec_lo, s6
	v_mov_b32_e32 v8, v31
	v_cmp_ne_u16_sdwa s5, v31, v9 src0_sel:BYTE_0 src1_sel:DWORD
	s_and_saveexec_b32 s6, s5
	s_cbranch_execz .LBB397_1395
; %bb.1388:                             ;   in Loop: Header=BB397_11 Depth=1
	v_cmp_ne_u16_sdwa s5, v31, v126 src0_sel:BYTE_0 src1_sel:DWORD
	v_bfrev_b32_e32 v48, 1
	s_and_saveexec_b32 s17, s5
	s_cbranch_execz .LBB397_1394
; %bb.1389:                             ;   in Loop: Header=BB397_11 Depth=1
	v_and_b32_e32 v11, 0x7f, v31
	v_mov_b32_e32 v48, 0x7f800001
	s_mov_b32 s23, exec_lo
	v_cmpx_ne_u32_e32 0x7f, v11
	s_cbranch_execz .LBB397_1393
; %bb.1390:                             ;   in Loop: Header=BB397_11 Depth=1
	v_mov_b32_e32 v33, v9
	v_mov_b32_e32 v32, v8
	v_lshrrev_b32_e32 v4, 3, v11
	s_mov_b32 s24, exec_lo
	v_cmpx_gt_u32_e32 8, v11
; %bb.1391:                             ;   in Loop: Header=BB397_11 Depth=1
	v_and_b32_e32 v4, 7, v31
	v_ffbh_u32_e32 v4, v4
	v_min_u32_e32 v4, 32, v4
	v_subrev_nc_u32_e32 v11, 28, v4
	v_sub_nc_u32_e32 v4, 29, v4
	v_lshlrev_b64 v[32:33], v11, v[8:9]
; %bb.1392:                             ;   in Loop: Header=BB397_11 Depth=1
	s_or_b32 exec_lo, exec_lo, s24
	v_lshlrev_b32_e32 v11, 20, v32
	v_lshlrev_b32_e32 v16, 24, v8
	v_lshl_add_u32 v4, v4, 23, 0x3c000000
	v_and_b32_e32 v11, 0x700000, v11
	v_and_b32_e32 v16, 0x80000000, v16
	v_or3_b32 v48, v11, v16, v4
.LBB397_1393:                           ;   in Loop: Header=BB397_11 Depth=1
	s_or_b32 exec_lo, exec_lo, s23
.LBB397_1394:                           ;   in Loop: Header=BB397_11 Depth=1
	s_or_b32 exec_lo, exec_lo, s17
.LBB397_1395:                           ;   in Loop: Header=BB397_11 Depth=1
	s_or_b32 exec_lo, exec_lo, s6
	v_cmp_ne_u16_sdwa s5, v8, v9 src0_sel:BYTE_1 src1_sel:DWORD
	v_mov_b32_e32 v35, 0
	v_mov_b32_e32 v16, 0
	s_and_saveexec_b32 s6, s5
	s_cbranch_execz .LBB397_1403
; %bb.1396:                             ;   in Loop: Header=BB397_11 Depth=1
	v_cmp_ne_u16_sdwa s5, v8, v126 src0_sel:BYTE_1 src1_sel:DWORD
	v_bfrev_b32_e32 v16, 1
	s_and_saveexec_b32 s17, s5
	s_cbranch_execz .LBB397_1402
; %bb.1397:                             ;   in Loop: Header=BB397_11 Depth=1
	v_mov_b32_e32 v4, 0xffff
	v_mov_b32_e32 v16, 0x7f800001
	s_mov_b32 s23, exec_lo
	v_and_b32_sdwa v4, v4, v8 dst_sel:DWORD dst_unused:UNUSED_PAD src0_sel:DWORD src1_sel:BYTE_1
	v_and_b32_e32 v11, 0x7f, v4
	v_cmpx_ne_u32_e32 0x7f, v11
	s_cbranch_execz .LBB397_1401
; %bb.1398:                             ;   in Loop: Header=BB397_11 Depth=1
	v_and_b32_e32 v32, 7, v4
	v_mov_b32_e32 v33, v9
	v_lshrrev_b32_e32 v4, 3, v11
	s_mov_b32 s24, exec_lo
	v_cmpx_gt_u32_e32 8, v11
; %bb.1399:                             ;   in Loop: Header=BB397_11 Depth=1
	v_ffbh_u32_e32 v4, v32
	v_min_u32_e32 v4, 32, v4
	v_subrev_nc_u32_e32 v11, 28, v4
	v_sub_nc_u32_e32 v4, 29, v4
	v_lshlrev_b64 v[32:33], v11, v[32:33]
	v_and_b32_e32 v32, 7, v32
; %bb.1400:                             ;   in Loop: Header=BB397_11 Depth=1
	s_or_b32 exec_lo, exec_lo, s24
	v_lshlrev_b32_e32 v8, 16, v8
	v_lshlrev_b32_e32 v11, 20, v32
	v_lshl_add_u32 v4, v4, 23, 0x3c000000
	v_and_b32_e32 v8, 0x80000000, v8
	v_or3_b32 v16, v11, v8, v4
.LBB397_1401:                           ;   in Loop: Header=BB397_11 Depth=1
	s_or_b32 exec_lo, exec_lo, s23
.LBB397_1402:                           ;   in Loop: Header=BB397_11 Depth=1
	s_or_b32 exec_lo, exec_lo, s17
.LBB397_1403:                           ;   in Loop: Header=BB397_11 Depth=1
	s_or_b32 exec_lo, exec_lo, s6
	v_mov_b32_e32 v4, 0xff
	s_mov_b32 s6, exec_lo
	v_and_b32_sdwa v4, v31, v4 dst_sel:DWORD dst_unused:UNUSED_PAD src0_sel:WORD_1 src1_sel:DWORD
	v_cmpx_ne_u16_e32 0, v4
	s_cbranch_execz .LBB397_1411
; %bb.1404:                             ;   in Loop: Header=BB397_11 Depth=1
	v_bfrev_b32_e32 v35, 1
	s_mov_b32 s17, exec_lo
	v_cmpx_ne_u16_e32 0x80, v4
	s_cbranch_execz .LBB397_1410
; %bb.1405:                             ;   in Loop: Header=BB397_11 Depth=1
	v_bfe_u32 v11, v31, 16, 7
	v_mov_b32_e32 v35, 0x7f800001
	s_mov_b32 s23, exec_lo
	v_cmpx_ne_u32_e32 0x7f, v11
	s_cbranch_execz .LBB397_1409
; %bb.1406:                             ;   in Loop: Header=BB397_11 Depth=1
	v_mov_b32_e32 v4, 7
	s_mov_b32 s24, exec_lo
	v_and_b32_sdwa v8, v31, v4 dst_sel:DWORD dst_unused:UNUSED_PAD src0_sel:WORD_1 src1_sel:DWORD
	v_mov_b32_e32 v33, v9
	v_lshrrev_b32_e32 v4, 3, v11
	v_mov_b32_e32 v32, v8
	v_cmpx_gt_u32_e32 8, v11
; %bb.1407:                             ;   in Loop: Header=BB397_11 Depth=1
	v_ffbh_u32_e32 v4, v8
	v_min_u32_e32 v4, 32, v4
	v_subrev_nc_u32_e32 v11, 28, v4
	v_sub_nc_u32_e32 v4, 29, v4
	v_lshlrev_b64 v[32:33], v11, v[8:9]
	v_and_b32_e32 v32, 7, v32
; %bb.1408:                             ;   in Loop: Header=BB397_11 Depth=1
	s_or_b32 exec_lo, exec_lo, s24
	v_mov_b32_e32 v8, 24
	v_lshlrev_b32_e32 v11, 20, v32
	v_lshl_add_u32 v4, v4, 23, 0x3c000000
	v_lshlrev_b32_sdwa v8, v8, v31 dst_sel:DWORD dst_unused:UNUSED_PAD src0_sel:DWORD src1_sel:WORD_1
	v_and_b32_e32 v8, 0x80000000, v8
	v_or3_b32 v35, v11, v8, v4
.LBB397_1409:                           ;   in Loop: Header=BB397_11 Depth=1
	s_or_b32 exec_lo, exec_lo, s23
.LBB397_1410:                           ;   in Loop: Header=BB397_11 Depth=1
	s_or_b32 exec_lo, exec_lo, s17
.LBB397_1411:                           ;   in Loop: Header=BB397_11 Depth=1
	s_or_b32 exec_lo, exec_lo, s6
	v_mov_b32_e32 v58, 0
	v_mov_b32_e32 v75, 0
	s_mov_b32 s6, exec_lo
	v_cmpx_lt_u64_e64 s[8:9], v[30:31]
	s_cbranch_execz .LBB397_1419
; %bb.1412:                             ;   in Loop: Header=BB397_11 Depth=1
	v_cmp_ne_u32_sdwa s5, v31, v126 src0_sel:BYTE_3 src1_sel:DWORD
	v_bfrev_b32_e32 v75, 1
	s_and_saveexec_b32 s17, s5
	s_cbranch_execz .LBB397_1418
; %bb.1413:                             ;   in Loop: Header=BB397_11 Depth=1
	v_bfe_u32 v11, v31, 24, 7
	v_mov_b32_e32 v75, 0x7f800001
	s_mov_b32 s23, exec_lo
	v_cmpx_ne_u32_e32 0x7f, v11
	s_cbranch_execz .LBB397_1417
; %bb.1414:                             ;   in Loop: Header=BB397_11 Depth=1
	v_mov_b32_e32 v4, 7
	s_mov_b32 s24, exec_lo
	v_and_b32_sdwa v8, v31, v4 dst_sel:DWORD dst_unused:UNUSED_PAD src0_sel:BYTE_3 src1_sel:DWORD
	v_mov_b32_e32 v33, v9
	v_lshrrev_b32_e32 v4, 3, v11
	v_mov_b32_e32 v32, v8
	v_cmpx_gt_u32_e32 8, v11
; %bb.1415:                             ;   in Loop: Header=BB397_11 Depth=1
	v_ffbh_u32_e32 v4, v8
	v_min_u32_e32 v4, 32, v4
	v_subrev_nc_u32_e32 v11, 28, v4
	v_sub_nc_u32_e32 v4, 29, v4
	v_lshlrev_b64 v[32:33], v11, v[8:9]
	v_and_b32_e32 v32, 7, v32
; %bb.1416:                             ;   in Loop: Header=BB397_11 Depth=1
	s_or_b32 exec_lo, exec_lo, s24
	v_mov_b32_e32 v8, 24
	v_lshlrev_b32_e32 v11, 20, v32
	v_lshl_add_u32 v4, v4, 23, 0x3c000000
	v_lshlrev_b32_sdwa v8, v8, v31 dst_sel:DWORD dst_unused:UNUSED_PAD src0_sel:DWORD src1_sel:BYTE_3
	v_and_b32_e32 v8, 0x80000000, v8
	v_or3_b32 v75, v11, v8, v4
.LBB397_1417:                           ;   in Loop: Header=BB397_11 Depth=1
	s_or_b32 exec_lo, exec_lo, s23
.LBB397_1418:                           ;   in Loop: Header=BB397_11 Depth=1
	s_or_b32 exec_lo, exec_lo, s17
.LBB397_1419:                           ;   in Loop: Header=BB397_11 Depth=1
	s_or_b32 exec_lo, exec_lo, s6
	flat_load_dwordx2 v[30:31], v[28:29] offset:1536
	s_waitcnt vmcnt(0) lgkmcnt(0)
	v_cmp_ne_u16_sdwa s5, v30, v9 src0_sel:BYTE_0 src1_sel:DWORD
	s_and_saveexec_b32 s6, s5
	s_cbranch_execz .LBB397_1427
; %bb.1420:                             ;   in Loop: Header=BB397_11 Depth=1
	v_cmp_ne_u16_sdwa s5, v30, v126 src0_sel:BYTE_0 src1_sel:DWORD
	v_bfrev_b32_e32 v58, 1
	s_and_saveexec_b32 s17, s5
	s_cbranch_execz .LBB397_1426
; %bb.1421:                             ;   in Loop: Header=BB397_11 Depth=1
	v_and_b32_e32 v8, 0x7f, v30
	v_mov_b32_e32 v58, 0x7f800001
	s_mov_b32 s23, exec_lo
	v_cmpx_ne_u32_e32 0x7f, v8
	s_cbranch_execz .LBB397_1425
; %bb.1422:                             ;   in Loop: Header=BB397_11 Depth=1
	v_mov_b32_e32 v33, v31
	v_lshrrev_b32_e32 v4, 3, v8
	v_mov_b32_e32 v32, v30
	s_mov_b32 s24, exec_lo
	v_cmpx_gt_u32_e32 8, v8
; %bb.1423:                             ;   in Loop: Header=BB397_11 Depth=1
	v_and_b32_e32 v4, 7, v30
	v_ffbh_u32_e32 v4, v4
	v_min_u32_e32 v4, 32, v4
	v_subrev_nc_u32_e32 v8, 28, v4
	v_sub_nc_u32_e32 v4, 29, v4
	v_lshlrev_b64 v[32:33], v8, v[30:31]
; %bb.1424:                             ;   in Loop: Header=BB397_11 Depth=1
	s_or_b32 exec_lo, exec_lo, s24
	v_lshlrev_b32_e32 v8, 20, v32
	v_lshlrev_b32_e32 v11, 24, v30
	v_lshl_add_u32 v4, v4, 23, 0x3c000000
	v_and_b32_e32 v8, 0x700000, v8
	v_and_b32_e32 v11, 0x80000000, v11
	v_or3_b32 v58, v8, v11, v4
.LBB397_1425:                           ;   in Loop: Header=BB397_11 Depth=1
	s_or_b32 exec_lo, exec_lo, s23
.LBB397_1426:                           ;   in Loop: Header=BB397_11 Depth=1
	s_or_b32 exec_lo, exec_lo, s17
.LBB397_1427:                           ;   in Loop: Header=BB397_11 Depth=1
	s_or_b32 exec_lo, exec_lo, s6
	v_cmp_ne_u16_sdwa s5, v30, v9 src0_sel:BYTE_1 src1_sel:DWORD
	v_mov_b32_e32 v89, 0
	v_mov_b32_e32 v74, 0
	s_and_saveexec_b32 s6, s5
	s_cbranch_execz .LBB397_1435
; %bb.1428:                             ;   in Loop: Header=BB397_11 Depth=1
	v_cmp_ne_u16_sdwa s5, v30, v126 src0_sel:BYTE_1 src1_sel:DWORD
	v_bfrev_b32_e32 v74, 1
	s_and_saveexec_b32 s17, s5
	s_cbranch_execz .LBB397_1434
; %bb.1429:                             ;   in Loop: Header=BB397_11 Depth=1
	v_mov_b32_e32 v4, 0xffff
	v_mov_b32_e32 v74, 0x7f800001
	s_mov_b32 s23, exec_lo
	v_and_b32_sdwa v4, v4, v30 dst_sel:DWORD dst_unused:UNUSED_PAD src0_sel:DWORD src1_sel:BYTE_1
	v_and_b32_e32 v11, 0x7f, v4
	v_cmpx_ne_u32_e32 0x7f, v11
	s_cbranch_execz .LBB397_1433
; %bb.1430:                             ;   in Loop: Header=BB397_11 Depth=1
	v_and_b32_e32 v8, 7, v4
	v_mov_b32_e32 v33, v9
	v_lshrrev_b32_e32 v4, 3, v11
	s_mov_b32 s24, exec_lo
	v_mov_b32_e32 v32, v8
	v_cmpx_gt_u32_e32 8, v11
; %bb.1431:                             ;   in Loop: Header=BB397_11 Depth=1
	v_ffbh_u32_e32 v4, v8
	v_min_u32_e32 v4, 32, v4
	v_subrev_nc_u32_e32 v11, 28, v4
	v_sub_nc_u32_e32 v4, 29, v4
	v_lshlrev_b64 v[32:33], v11, v[8:9]
	v_and_b32_e32 v32, 7, v32
; %bb.1432:                             ;   in Loop: Header=BB397_11 Depth=1
	s_or_b32 exec_lo, exec_lo, s24
	v_lshlrev_b32_e32 v8, 16, v30
	v_lshlrev_b32_e32 v11, 20, v32
	v_lshl_add_u32 v4, v4, 23, 0x3c000000
	v_and_b32_e32 v8, 0x80000000, v8
	v_or3_b32 v74, v11, v8, v4
.LBB397_1433:                           ;   in Loop: Header=BB397_11 Depth=1
	s_or_b32 exec_lo, exec_lo, s23
.LBB397_1434:                           ;   in Loop: Header=BB397_11 Depth=1
	s_or_b32 exec_lo, exec_lo, s17
.LBB397_1435:                           ;   in Loop: Header=BB397_11 Depth=1
	s_or_b32 exec_lo, exec_lo, s6
	v_mov_b32_e32 v4, 0xff
	s_mov_b32 s6, exec_lo
	v_and_b32_sdwa v4, v30, v4 dst_sel:DWORD dst_unused:UNUSED_PAD src0_sel:WORD_1 src1_sel:DWORD
	v_cmpx_ne_u16_e32 0, v4
	s_cbranch_execz .LBB397_1443
; %bb.1436:                             ;   in Loop: Header=BB397_11 Depth=1
	v_bfrev_b32_e32 v89, 1
	s_mov_b32 s17, exec_lo
	v_cmpx_ne_u16_e32 0x80, v4
	s_cbranch_execz .LBB397_1442
; %bb.1437:                             ;   in Loop: Header=BB397_11 Depth=1
	v_bfe_u32 v11, v30, 16, 7
	v_mov_b32_e32 v89, 0x7f800001
	s_mov_b32 s23, exec_lo
	v_cmpx_ne_u32_e32 0x7f, v11
	s_cbranch_execz .LBB397_1441
; %bb.1438:                             ;   in Loop: Header=BB397_11 Depth=1
	v_mov_b32_e32 v4, 7
	s_mov_b32 s24, exec_lo
	v_and_b32_sdwa v8, v30, v4 dst_sel:DWORD dst_unused:UNUSED_PAD src0_sel:WORD_1 src1_sel:DWORD
	v_mov_b32_e32 v33, v9
	v_lshrrev_b32_e32 v4, 3, v11
	v_mov_b32_e32 v32, v8
	v_cmpx_gt_u32_e32 8, v11
; %bb.1439:                             ;   in Loop: Header=BB397_11 Depth=1
	v_ffbh_u32_e32 v4, v8
	v_min_u32_e32 v4, 32, v4
	v_subrev_nc_u32_e32 v11, 28, v4
	v_sub_nc_u32_e32 v4, 29, v4
	v_lshlrev_b64 v[32:33], v11, v[8:9]
	v_and_b32_e32 v32, 7, v32
; %bb.1440:                             ;   in Loop: Header=BB397_11 Depth=1
	s_or_b32 exec_lo, exec_lo, s24
	v_mov_b32_e32 v8, 24
	v_lshlrev_b32_e32 v11, 20, v32
	v_lshl_add_u32 v4, v4, 23, 0x3c000000
	v_lshlrev_b32_sdwa v8, v8, v30 dst_sel:DWORD dst_unused:UNUSED_PAD src0_sel:DWORD src1_sel:WORD_1
	v_and_b32_e32 v8, 0x80000000, v8
	v_or3_b32 v89, v11, v8, v4
.LBB397_1441:                           ;   in Loop: Header=BB397_11 Depth=1
	s_or_b32 exec_lo, exec_lo, s23
.LBB397_1442:                           ;   in Loop: Header=BB397_11 Depth=1
	s_or_b32 exec_lo, exec_lo, s17
.LBB397_1443:                           ;   in Loop: Header=BB397_11 Depth=1
	s_or_b32 exec_lo, exec_lo, s6
	v_mov_b32_e32 v90, 0
	v_mov_b32_e32 v91, 0
	s_mov_b32 s6, exec_lo
	v_cmpx_lt_u32_e32 0xffffff, v30
	s_cbranch_execz .LBB397_1451
; %bb.1444:                             ;   in Loop: Header=BB397_11 Depth=1
	v_cmp_ne_u32_sdwa s5, v30, v126 src0_sel:BYTE_3 src1_sel:DWORD
	v_bfrev_b32_e32 v91, 1
	s_and_saveexec_b32 s17, s5
	s_cbranch_execz .LBB397_1450
; %bb.1445:                             ;   in Loop: Header=BB397_11 Depth=1
	v_bfe_u32 v11, v30, 24, 7
	v_mov_b32_e32 v91, 0x7f800001
	s_mov_b32 s23, exec_lo
	v_cmpx_ne_u32_e32 0x7f, v11
	s_cbranch_execz .LBB397_1449
; %bb.1446:                             ;   in Loop: Header=BB397_11 Depth=1
	v_mov_b32_e32 v4, 7
	s_mov_b32 s24, exec_lo
	v_and_b32_sdwa v8, v30, v4 dst_sel:DWORD dst_unused:UNUSED_PAD src0_sel:BYTE_3 src1_sel:DWORD
	v_mov_b32_e32 v33, v9
	v_lshrrev_b32_e32 v4, 3, v11
	v_mov_b32_e32 v32, v8
	v_cmpx_gt_u32_e32 8, v11
; %bb.1447:                             ;   in Loop: Header=BB397_11 Depth=1
	v_ffbh_u32_e32 v4, v8
	v_min_u32_e32 v4, 32, v4
	v_subrev_nc_u32_e32 v11, 28, v4
	v_sub_nc_u32_e32 v4, 29, v4
	v_lshlrev_b64 v[32:33], v11, v[8:9]
	v_and_b32_e32 v32, 7, v32
; %bb.1448:                             ;   in Loop: Header=BB397_11 Depth=1
	s_or_b32 exec_lo, exec_lo, s24
	v_mov_b32_e32 v8, 24
	v_lshlrev_b32_e32 v11, 20, v32
	v_lshl_add_u32 v4, v4, 23, 0x3c000000
	v_lshlrev_b32_sdwa v8, v8, v30 dst_sel:DWORD dst_unused:UNUSED_PAD src0_sel:DWORD src1_sel:BYTE_3
	v_and_b32_e32 v8, 0x80000000, v8
	v_or3_b32 v91, v11, v8, v4
.LBB397_1449:                           ;   in Loop: Header=BB397_11 Depth=1
	s_or_b32 exec_lo, exec_lo, s23
.LBB397_1450:                           ;   in Loop: Header=BB397_11 Depth=1
	s_or_b32 exec_lo, exec_lo, s17
.LBB397_1451:                           ;   in Loop: Header=BB397_11 Depth=1
	s_or_b32 exec_lo, exec_lo, s6
	v_mov_b32_e32 v8, v31
	v_cmp_ne_u16_sdwa s5, v31, v9 src0_sel:BYTE_0 src1_sel:DWORD
	s_and_saveexec_b32 s6, s5
	s_cbranch_execz .LBB397_1459
; %bb.1452:                             ;   in Loop: Header=BB397_11 Depth=1
	v_cmp_ne_u16_sdwa s5, v31, v126 src0_sel:BYTE_0 src1_sel:DWORD
	v_bfrev_b32_e32 v90, 1
	s_and_saveexec_b32 s17, s5
	s_cbranch_execz .LBB397_1458
; %bb.1453:                             ;   in Loop: Header=BB397_11 Depth=1
	v_and_b32_e32 v11, 0x7f, v31
	v_mov_b32_e32 v90, 0x7f800001
	s_mov_b32 s23, exec_lo
	v_cmpx_ne_u32_e32 0x7f, v11
	s_cbranch_execz .LBB397_1457
; %bb.1454:                             ;   in Loop: Header=BB397_11 Depth=1
	v_mov_b32_e32 v33, v9
	v_mov_b32_e32 v32, v8
	v_lshrrev_b32_e32 v4, 3, v11
	s_mov_b32 s24, exec_lo
	v_cmpx_gt_u32_e32 8, v11
; %bb.1455:                             ;   in Loop: Header=BB397_11 Depth=1
	v_and_b32_e32 v4, 7, v31
	v_ffbh_u32_e32 v4, v4
	v_min_u32_e32 v4, 32, v4
	v_subrev_nc_u32_e32 v11, 28, v4
	v_sub_nc_u32_e32 v4, 29, v4
	v_lshlrev_b64 v[32:33], v11, v[8:9]
; %bb.1456:                             ;   in Loop: Header=BB397_11 Depth=1
	s_or_b32 exec_lo, exec_lo, s24
	v_lshlrev_b32_e32 v11, 20, v32
	v_lshlrev_b32_e32 v32, 24, v8
	v_lshl_add_u32 v4, v4, 23, 0x3c000000
	v_and_b32_e32 v11, 0x700000, v11
	v_and_b32_e32 v32, 0x80000000, v32
	v_or3_b32 v90, v11, v32, v4
.LBB397_1457:                           ;   in Loop: Header=BB397_11 Depth=1
	s_or_b32 exec_lo, exec_lo, s23
.LBB397_1458:                           ;   in Loop: Header=BB397_11 Depth=1
	s_or_b32 exec_lo, exec_lo, s17
.LBB397_1459:                           ;   in Loop: Header=BB397_11 Depth=1
	s_or_b32 exec_lo, exec_lo, s6
	v_cmp_ne_u16_sdwa s5, v8, v9 src0_sel:BYTE_1 src1_sel:DWORD
	v_mov_b32_e32 v4, 0
	v_mov_b32_e32 v11, 0
	s_and_saveexec_b32 s6, s5
	s_cbranch_execz .LBB397_1467
; %bb.1460:                             ;   in Loop: Header=BB397_11 Depth=1
	v_cmp_ne_u16_sdwa s5, v8, v126 src0_sel:BYTE_1 src1_sel:DWORD
	v_bfrev_b32_e32 v11, 1
	s_and_saveexec_b32 s17, s5
	s_cbranch_execz .LBB397_1466
; %bb.1461:                             ;   in Loop: Header=BB397_11 Depth=1
	v_mov_b32_e32 v11, 0xffff
	v_mov_b32_e32 v15, v96
	s_mov_b32 s23, exec_lo
	v_and_b32_sdwa v32, v11, v8 dst_sel:DWORD dst_unused:UNUSED_PAD src0_sel:DWORD src1_sel:BYTE_1
	v_mov_b32_e32 v11, 0x7f800001
	v_and_b32_e32 v96, 0x7f, v32
	v_cmpx_ne_u32_e32 0x7f, v96
	s_cbranch_execz .LBB397_1465
; %bb.1462:                             ;   in Loop: Header=BB397_11 Depth=1
	v_and_b32_e32 v32, 7, v32
	v_mov_b32_e32 v33, v9
	v_lshrrev_b32_e32 v11, 3, v96
	s_mov_b32 s24, exec_lo
	v_cmpx_gt_u32_e32 8, v96
; %bb.1463:                             ;   in Loop: Header=BB397_11 Depth=1
	v_ffbh_u32_e32 v11, v32
	v_min_u32_e32 v11, 32, v11
	v_subrev_nc_u32_e32 v96, 28, v11
	v_sub_nc_u32_e32 v11, 29, v11
	v_lshlrev_b64 v[32:33], v96, v[32:33]
	v_and_b32_e32 v32, 7, v32
; %bb.1464:                             ;   in Loop: Header=BB397_11 Depth=1
	s_or_b32 exec_lo, exec_lo, s24
	v_lshlrev_b32_e32 v8, 16, v8
	v_lshlrev_b32_e32 v32, 20, v32
	v_lshl_add_u32 v11, v11, 23, 0x3c000000
	v_and_b32_e32 v8, 0x80000000, v8
	v_or3_b32 v11, v32, v8, v11
.LBB397_1465:                           ;   in Loop: Header=BB397_11 Depth=1
	s_or_b32 exec_lo, exec_lo, s23
	v_mov_b32_e32 v96, v15
.LBB397_1466:                           ;   in Loop: Header=BB397_11 Depth=1
	s_or_b32 exec_lo, exec_lo, s17
.LBB397_1467:                           ;   in Loop: Header=BB397_11 Depth=1
	s_or_b32 exec_lo, exec_lo, s6
	v_mov_b32_e32 v8, 0xff
	s_mov_b32 s6, exec_lo
	v_and_b32_sdwa v8, v31, v8 dst_sel:DWORD dst_unused:UNUSED_PAD src0_sel:WORD_1 src1_sel:DWORD
	v_cmpx_ne_u16_e32 0, v8
	s_cbranch_execz .LBB397_1475
; %bb.1468:                             ;   in Loop: Header=BB397_11 Depth=1
	v_bfrev_b32_e32 v4, 1
	s_mov_b32 s17, exec_lo
	v_cmpx_ne_u16_e32 0x80, v8
	s_cbranch_execz .LBB397_1474
; %bb.1469:                             ;   in Loop: Header=BB397_11 Depth=1
	v_mov_b32_e32 v15, v96
	v_bfe_u32 v96, v31, 16, 7
	v_mov_b32_e32 v4, 0x7f800001
	s_mov_b32 s23, exec_lo
	v_cmpx_ne_u32_e32 0x7f, v96
	s_cbranch_execz .LBB397_1473
; %bb.1470:                             ;   in Loop: Header=BB397_11 Depth=1
	v_mov_b32_e32 v4, 7
	s_mov_b32 s24, exec_lo
	v_and_b32_sdwa v8, v31, v4 dst_sel:DWORD dst_unused:UNUSED_PAD src0_sel:WORD_1 src1_sel:DWORD
	v_mov_b32_e32 v33, v9
	v_lshrrev_b32_e32 v4, 3, v96
	v_mov_b32_e32 v32, v8
	v_cmpx_gt_u32_e32 8, v96
; %bb.1471:                             ;   in Loop: Header=BB397_11 Depth=1
	v_ffbh_u32_e32 v4, v8
	v_min_u32_e32 v4, 32, v4
	v_subrev_nc_u32_e32 v32, 28, v4
	v_sub_nc_u32_e32 v4, 29, v4
	v_lshlrev_b64 v[32:33], v32, v[8:9]
	v_and_b32_e32 v32, 7, v32
; %bb.1472:                             ;   in Loop: Header=BB397_11 Depth=1
	s_or_b32 exec_lo, exec_lo, s24
	v_mov_b32_e32 v8, 24
	v_lshlrev_b32_e32 v32, 20, v32
	v_lshl_add_u32 v4, v4, 23, 0x3c000000
	v_lshlrev_b32_sdwa v8, v8, v31 dst_sel:DWORD dst_unused:UNUSED_PAD src0_sel:DWORD src1_sel:WORD_1
	v_and_b32_e32 v8, 0x80000000, v8
	v_or3_b32 v4, v32, v8, v4
.LBB397_1473:                           ;   in Loop: Header=BB397_11 Depth=1
	s_or_b32 exec_lo, exec_lo, s23
	v_mov_b32_e32 v96, v15
.LBB397_1474:                           ;   in Loop: Header=BB397_11 Depth=1
	s_or_b32 exec_lo, exec_lo, s17
.LBB397_1475:                           ;   in Loop: Header=BB397_11 Depth=1
	s_or_b32 exec_lo, exec_lo, s6
	v_mov_b32_e32 v8, 0
	v_mov_b32_e32 v32, 0
	s_mov_b32 s6, exec_lo
	buffer_store_dword v8, off, s[0:3], s32 offset:504 ; 4-byte Folded Spill
	v_cmpx_lt_u64_e64 s[8:9], v[30:31]
	s_cbranch_execz .LBB397_1483
; %bb.1476:                             ;   in Loop: Header=BB397_11 Depth=1
	v_cmp_ne_u32_sdwa s5, v31, v126 src0_sel:BYTE_3 src1_sel:DWORD
	v_bfrev_b32_e32 v32, 1
	s_and_saveexec_b32 s17, s5
	s_cbranch_execz .LBB397_1482
; %bb.1477:                             ;   in Loop: Header=BB397_11 Depth=1
	v_mov_b32_e32 v15, v59
	v_bfe_u32 v59, v31, 24, 7
	v_mov_b32_e32 v32, 0x7f800001
	s_mov_b32 s23, exec_lo
	v_cmpx_ne_u32_e32 0x7f, v59
	s_cbranch_execz .LBB397_1481
; %bb.1478:                             ;   in Loop: Header=BB397_11 Depth=1
	v_mov_b32_e32 v8, 7
	v_lshrrev_b32_e32 v30, 3, v59
	s_mov_b32 s24, exec_lo
	v_and_b32_sdwa v8, v31, v8 dst_sel:DWORD dst_unused:UNUSED_PAD src0_sel:BYTE_3 src1_sel:DWORD
	v_mov_b32_e32 v33, v9
	v_mov_b32_e32 v32, v8
	v_cmpx_gt_u32_e32 8, v59
; %bb.1479:                             ;   in Loop: Header=BB397_11 Depth=1
	v_ffbh_u32_e32 v30, v8
	v_min_u32_e32 v30, 32, v30
	v_subrev_nc_u32_e32 v32, 28, v30
	v_sub_nc_u32_e32 v30, 29, v30
	v_lshlrev_b64 v[32:33], v32, v[8:9]
	v_and_b32_e32 v32, 7, v32
; %bb.1480:                             ;   in Loop: Header=BB397_11 Depth=1
	s_or_b32 exec_lo, exec_lo, s24
	v_mov_b32_e32 v8, 24
	v_lshl_add_u32 v30, v30, 23, 0x3c000000
	v_lshlrev_b32_sdwa v8, v8, v31 dst_sel:DWORD dst_unused:UNUSED_PAD src0_sel:DWORD src1_sel:BYTE_3
	v_lshlrev_b32_e32 v31, 20, v32
	v_and_b32_e32 v8, 0x80000000, v8
	v_or3_b32 v32, v31, v8, v30
.LBB397_1481:                           ;   in Loop: Header=BB397_11 Depth=1
	s_or_b32 exec_lo, exec_lo, s23
	v_mov_b32_e32 v59, v15
.LBB397_1482:                           ;   in Loop: Header=BB397_11 Depth=1
	s_or_b32 exec_lo, exec_lo, s17
.LBB397_1483:                           ;   in Loop: Header=BB397_11 Depth=1
	s_or_b32 exec_lo, exec_lo, s6
	flat_load_dwordx2 v[28:29], v[28:29] offset:1544
	s_waitcnt vmcnt(0) lgkmcnt(0)
	v_cmp_ne_u16_sdwa s5, v28, v9 src0_sel:BYTE_0 src1_sel:DWORD
	s_and_saveexec_b32 s6, s5
	s_cbranch_execz .LBB397_1491
; %bb.1484:                             ;   in Loop: Header=BB397_11 Depth=1
	v_cmp_ne_u16_sdwa s5, v28, v126 src0_sel:BYTE_0 src1_sel:DWORD
	v_bfrev_b32_e32 v8, 1
	buffer_store_dword v8, off, s[0:3], s32 offset:504 ; 4-byte Folded Spill
	s_and_saveexec_b32 s17, s5
	s_cbranch_execz .LBB397_1490
; %bb.1485:                             ;   in Loop: Header=BB397_11 Depth=1
	v_and_b32_e32 v30, 0x7f, v28
	v_mov_b32_e32 v8, 0x7f800001
	s_mov_b32 s23, exec_lo
	buffer_store_dword v8, off, s[0:3], s32 offset:504 ; 4-byte Folded Spill
	v_cmpx_ne_u32_e32 0x7f, v30
	s_cbranch_execz .LBB397_1489
; %bb.1486:                             ;   in Loop: Header=BB397_11 Depth=1
	v_lshrrev_b32_e32 v8, 3, v30
	v_cmp_gt_u32_e64 s5, 8, v30
	v_mov_b32_e32 v31, v29
	v_mov_b32_e32 v30, v28
	s_and_saveexec_b32 s24, s5
; %bb.1487:                             ;   in Loop: Header=BB397_11 Depth=1
	v_and_b32_e32 v8, 7, v28
	v_ffbh_u32_e32 v8, v8
	v_min_u32_e32 v8, 32, v8
	v_subrev_nc_u32_e32 v30, 28, v8
	v_sub_nc_u32_e32 v8, 29, v8
	v_lshlrev_b64 v[30:31], v30, v[28:29]
; %bb.1488:                             ;   in Loop: Header=BB397_11 Depth=1
	s_or_b32 exec_lo, exec_lo, s24
	v_lshlrev_b32_e32 v30, 20, v30
	v_lshlrev_b32_e32 v31, 24, v28
	v_lshl_add_u32 v8, v8, 23, 0x3c000000
	v_and_b32_e32 v30, 0x700000, v30
	v_and_b32_e32 v31, 0x80000000, v31
	v_or3_b32 v8, v30, v31, v8
	buffer_store_dword v8, off, s[0:3], s32 offset:504 ; 4-byte Folded Spill
.LBB397_1489:                           ;   in Loop: Header=BB397_11 Depth=1
	s_or_b32 exec_lo, exec_lo, s23
.LBB397_1490:                           ;   in Loop: Header=BB397_11 Depth=1
	s_or_b32 exec_lo, exec_lo, s17
.LBB397_1491:                           ;   in Loop: Header=BB397_11 Depth=1
	s_or_b32 exec_lo, exec_lo, s6
	v_cmp_ne_u16_sdwa s5, v28, v9 src0_sel:BYTE_1 src1_sel:DWORD
	v_mov_b32_e32 v63, 0
	v_mov_b32_e32 v8, 0
	buffer_store_dword v8, off, s[0:3], s32 offset:508 ; 4-byte Folded Spill
	s_and_saveexec_b32 s6, s5
	s_cbranch_execz .LBB397_1499
; %bb.1492:                             ;   in Loop: Header=BB397_11 Depth=1
	v_cmp_ne_u16_sdwa s5, v28, v126 src0_sel:BYTE_1 src1_sel:DWORD
	v_bfrev_b32_e32 v8, 1
	buffer_store_dword v8, off, s[0:3], s32 offset:508 ; 4-byte Folded Spill
	s_and_saveexec_b32 s17, s5
	s_cbranch_execz .LBB397_1498
; %bb.1493:                             ;   in Loop: Header=BB397_11 Depth=1
	v_mov_b32_e32 v8, 0xffff
	v_mov_b32_e32 v15, 0x7f800001
	s_mov_b32 s23, exec_lo
	v_and_b32_sdwa v8, v8, v28 dst_sel:DWORD dst_unused:UNUSED_PAD src0_sel:DWORD src1_sel:BYTE_1
	buffer_store_dword v15, off, s[0:3], s32 offset:508 ; 4-byte Folded Spill
	v_and_b32_e32 v33, 0x7f, v8
	v_cmpx_ne_u32_e32 0x7f, v33
	s_cbranch_execz .LBB397_1497
; %bb.1494:                             ;   in Loop: Header=BB397_11 Depth=1
	v_and_b32_e32 v8, 7, v8
	v_mov_b32_e32 v31, v9
	v_lshrrev_b32_e32 v31, 3, v33
	s_mov_b32 s24, exec_lo
	v_mov_b32_e32 v30, v8
	v_cmpx_gt_u32_e32 8, v33
; %bb.1495:                             ;   in Loop: Header=BB397_11 Depth=1
	v_ffbh_u32_e32 v30, v8
	v_min_u32_e32 v33, 32, v30
	v_subrev_nc_u32_e32 v30, 28, v33
	v_lshlrev_b64 v[30:31], v30, v[8:9]
	v_sub_nc_u32_e32 v31, 29, v33
	v_and_b32_e32 v30, 7, v30
; %bb.1496:                             ;   in Loop: Header=BB397_11 Depth=1
	s_or_b32 exec_lo, exec_lo, s24
	v_lshlrev_b32_e32 v8, 16, v28
	v_lshlrev_b32_e32 v30, 20, v30
	v_lshl_add_u32 v31, v31, 23, 0x3c000000
	v_and_b32_e32 v8, 0x80000000, v8
	v_or3_b32 v8, v30, v8, v31
	buffer_store_dword v8, off, s[0:3], s32 offset:508 ; 4-byte Folded Spill
.LBB397_1497:                           ;   in Loop: Header=BB397_11 Depth=1
	s_or_b32 exec_lo, exec_lo, s23
.LBB397_1498:                           ;   in Loop: Header=BB397_11 Depth=1
	s_or_b32 exec_lo, exec_lo, s17
.LBB397_1499:                           ;   in Loop: Header=BB397_11 Depth=1
	s_or_b32 exec_lo, exec_lo, s6
	v_mov_b32_e32 v8, 0xff
	s_mov_b32 s6, exec_lo
	v_and_b32_sdwa v8, v28, v8 dst_sel:DWORD dst_unused:UNUSED_PAD src0_sel:WORD_1 src1_sel:DWORD
	v_cmpx_ne_u16_e32 0, v8
	s_cbranch_execz .LBB397_1507
; %bb.1500:                             ;   in Loop: Header=BB397_11 Depth=1
	v_bfrev_b32_e32 v63, 1
	s_mov_b32 s17, exec_lo
	v_cmpx_ne_u16_e32 0x80, v8
	s_cbranch_execz .LBB397_1506
; %bb.1501:                             ;   in Loop: Header=BB397_11 Depth=1
	v_bfe_u32 v33, v28, 16, 7
	v_mov_b32_e32 v63, 0x7f800001
	s_mov_b32 s23, exec_lo
	v_cmpx_ne_u32_e32 0x7f, v33
	s_cbranch_execz .LBB397_1505
; %bb.1502:                             ;   in Loop: Header=BB397_11 Depth=1
	v_mov_b32_e32 v8, 7
	s_mov_b32 s24, exec_lo
	v_and_b32_sdwa v8, v28, v8 dst_sel:DWORD dst_unused:UNUSED_PAD src0_sel:WORD_1 src1_sel:DWORD
	v_mov_b32_e32 v31, v9
	v_lshrrev_b32_e32 v31, 3, v33
	v_mov_b32_e32 v30, v8
	v_cmpx_gt_u32_e32 8, v33
; %bb.1503:                             ;   in Loop: Header=BB397_11 Depth=1
	v_ffbh_u32_e32 v30, v8
	v_min_u32_e32 v33, 32, v30
	v_subrev_nc_u32_e32 v30, 28, v33
	v_lshlrev_b64 v[30:31], v30, v[8:9]
	v_sub_nc_u32_e32 v31, 29, v33
	v_and_b32_e32 v30, 7, v30
; %bb.1504:                             ;   in Loop: Header=BB397_11 Depth=1
	s_or_b32 exec_lo, exec_lo, s24
	v_mov_b32_e32 v8, 24
	v_lshlrev_b32_e32 v30, 20, v30
	v_lshl_add_u32 v31, v31, 23, 0x3c000000
	v_lshlrev_b32_sdwa v8, v8, v28 dst_sel:DWORD dst_unused:UNUSED_PAD src0_sel:DWORD src1_sel:WORD_1
	v_and_b32_e32 v8, 0x80000000, v8
	v_or3_b32 v63, v30, v8, v31
.LBB397_1505:                           ;   in Loop: Header=BB397_11 Depth=1
	s_or_b32 exec_lo, exec_lo, s23
.LBB397_1506:                           ;   in Loop: Header=BB397_11 Depth=1
	s_or_b32 exec_lo, exec_lo, s17
.LBB397_1507:                           ;   in Loop: Header=BB397_11 Depth=1
	s_or_b32 exec_lo, exec_lo, s6
	v_mov_b32_e32 v76, 0
	v_mov_b32_e32 v77, 0
	s_mov_b32 s6, exec_lo
	v_cmpx_lt_u32_e32 0xffffff, v28
	s_cbranch_execz .LBB397_1515
; %bb.1508:                             ;   in Loop: Header=BB397_11 Depth=1
	v_cmp_ne_u32_sdwa s5, v28, v126 src0_sel:BYTE_3 src1_sel:DWORD
	v_bfrev_b32_e32 v77, 1
	s_and_saveexec_b32 s17, s5
	s_cbranch_execz .LBB397_1514
; %bb.1509:                             ;   in Loop: Header=BB397_11 Depth=1
	v_bfe_u32 v33, v28, 24, 7
	v_mov_b32_e32 v77, 0x7f800001
	s_mov_b32 s23, exec_lo
	v_cmpx_ne_u32_e32 0x7f, v33
	s_cbranch_execz .LBB397_1513
; %bb.1510:                             ;   in Loop: Header=BB397_11 Depth=1
	v_mov_b32_e32 v8, 7
	s_mov_b32 s24, exec_lo
	v_and_b32_sdwa v8, v28, v8 dst_sel:DWORD dst_unused:UNUSED_PAD src0_sel:BYTE_3 src1_sel:DWORD
	v_mov_b32_e32 v31, v9
	v_lshrrev_b32_e32 v31, 3, v33
	v_mov_b32_e32 v30, v8
	v_cmpx_gt_u32_e32 8, v33
; %bb.1511:                             ;   in Loop: Header=BB397_11 Depth=1
	v_ffbh_u32_e32 v30, v8
	v_min_u32_e32 v33, 32, v30
	v_subrev_nc_u32_e32 v30, 28, v33
	v_lshlrev_b64 v[30:31], v30, v[8:9]
	v_sub_nc_u32_e32 v31, 29, v33
	v_and_b32_e32 v30, 7, v30
; %bb.1512:                             ;   in Loop: Header=BB397_11 Depth=1
	s_or_b32 exec_lo, exec_lo, s24
	v_mov_b32_e32 v8, 24
	v_lshlrev_b32_e32 v30, 20, v30
	v_lshl_add_u32 v31, v31, 23, 0x3c000000
	v_lshlrev_b32_sdwa v8, v8, v28 dst_sel:DWORD dst_unused:UNUSED_PAD src0_sel:DWORD src1_sel:BYTE_3
	v_and_b32_e32 v8, 0x80000000, v8
	v_or3_b32 v77, v30, v8, v31
.LBB397_1513:                           ;   in Loop: Header=BB397_11 Depth=1
	s_or_b32 exec_lo, exec_lo, s23
.LBB397_1514:                           ;   in Loop: Header=BB397_11 Depth=1
	s_or_b32 exec_lo, exec_lo, s17
.LBB397_1515:                           ;   in Loop: Header=BB397_11 Depth=1
	s_or_b32 exec_lo, exec_lo, s6
	v_mov_b32_e32 v8, v29
	v_cmp_ne_u16_sdwa s5, v29, v9 src0_sel:BYTE_0 src1_sel:DWORD
	s_and_saveexec_b32 s6, s5
	s_cbranch_execz .LBB397_1523
; %bb.1516:                             ;   in Loop: Header=BB397_11 Depth=1
	v_cmp_ne_u16_sdwa s5, v29, v126 src0_sel:BYTE_0 src1_sel:DWORD
	v_bfrev_b32_e32 v76, 1
	s_and_saveexec_b32 s17, s5
	s_cbranch_execz .LBB397_1522
; %bb.1517:                             ;   in Loop: Header=BB397_11 Depth=1
	v_and_b32_e32 v33, 0x7f, v29
	v_mov_b32_e32 v76, 0x7f800001
	s_mov_b32 s23, exec_lo
	v_cmpx_ne_u32_e32 0x7f, v33
	s_cbranch_execz .LBB397_1521
; %bb.1518:                             ;   in Loop: Header=BB397_11 Depth=1
	v_mov_b32_e32 v31, v9
	v_mov_b32_e32 v30, v8
	v_lshrrev_b32_e32 v31, 3, v33
	s_mov_b32 s24, exec_lo
	v_cmpx_gt_u32_e32 8, v33
; %bb.1519:                             ;   in Loop: Header=BB397_11 Depth=1
	v_and_b32_e32 v30, 7, v29
	v_ffbh_u32_e32 v30, v30
	v_min_u32_e32 v33, 32, v30
	v_subrev_nc_u32_e32 v30, 28, v33
	v_lshlrev_b64 v[30:31], v30, v[8:9]
	v_sub_nc_u32_e32 v31, 29, v33
; %bb.1520:                             ;   in Loop: Header=BB397_11 Depth=1
	s_or_b32 exec_lo, exec_lo, s24
	v_lshlrev_b32_e32 v30, 20, v30
	v_lshlrev_b32_e32 v33, 24, v8
	v_lshl_add_u32 v31, v31, 23, 0x3c000000
	v_and_b32_e32 v30, 0x700000, v30
	v_and_b32_e32 v33, 0x80000000, v33
	v_or3_b32 v76, v30, v33, v31
.LBB397_1521:                           ;   in Loop: Header=BB397_11 Depth=1
	s_or_b32 exec_lo, exec_lo, s23
.LBB397_1522:                           ;   in Loop: Header=BB397_11 Depth=1
	s_or_b32 exec_lo, exec_lo, s17
.LBB397_1523:                           ;   in Loop: Header=BB397_11 Depth=1
	s_or_b32 exec_lo, exec_lo, s6
	v_cmp_ne_u16_sdwa s5, v8, v9 src0_sel:BYTE_1 src1_sel:DWORD
	v_mov_b32_e32 v15, 0
	v_mov_b32_e32 v79, 0
	s_and_saveexec_b32 s6, s5
	s_cbranch_execz .LBB397_1531
; %bb.1524:                             ;   in Loop: Header=BB397_11 Depth=1
	v_cmp_ne_u16_sdwa s5, v8, v126 src0_sel:BYTE_1 src1_sel:DWORD
	v_bfrev_b32_e32 v79, 1
	s_and_saveexec_b32 s17, s5
	s_cbranch_execz .LBB397_1530
; %bb.1525:                             ;   in Loop: Header=BB397_11 Depth=1
	v_mov_b32_e32 v30, 0xffff
	v_mov_b32_e32 v26, v59
	;; [unrolled: 1-line block ×3, first 2 shown]
	s_mov_b32 s23, exec_lo
	v_and_b32_sdwa v30, v30, v8 dst_sel:DWORD dst_unused:UNUSED_PAD src0_sel:DWORD src1_sel:BYTE_1
	v_and_b32_e32 v59, 0x7f, v30
	v_cmpx_ne_u32_e32 0x7f, v59
	s_cbranch_execz .LBB397_1529
; %bb.1526:                             ;   in Loop: Header=BB397_11 Depth=1
	v_and_b32_e32 v30, 7, v30
	v_mov_b32_e32 v31, v9
	v_lshrrev_b32_e32 v33, 3, v59
	s_mov_b32 s24, exec_lo
	v_cmpx_gt_u32_e32 8, v59
; %bb.1527:                             ;   in Loop: Header=BB397_11 Depth=1
	v_ffbh_u32_e32 v33, v30
	v_min_u32_e32 v33, 32, v33
	v_subrev_nc_u32_e32 v59, 28, v33
	v_sub_nc_u32_e32 v33, 29, v33
	v_lshlrev_b64 v[30:31], v59, v[30:31]
	v_and_b32_e32 v30, 7, v30
; %bb.1528:                             ;   in Loop: Header=BB397_11 Depth=1
	s_or_b32 exec_lo, exec_lo, s24
	v_lshlrev_b32_e32 v8, 16, v8
	v_lshlrev_b32_e32 v30, 20, v30
	v_lshl_add_u32 v31, v33, 23, 0x3c000000
	v_and_b32_e32 v8, 0x80000000, v8
	v_or3_b32 v79, v30, v8, v31
.LBB397_1529:                           ;   in Loop: Header=BB397_11 Depth=1
	s_or_b32 exec_lo, exec_lo, s23
	v_mov_b32_e32 v59, v26
.LBB397_1530:                           ;   in Loop: Header=BB397_11 Depth=1
	s_or_b32 exec_lo, exec_lo, s17
.LBB397_1531:                           ;   in Loop: Header=BB397_11 Depth=1
	s_or_b32 exec_lo, exec_lo, s6
	v_mov_b32_e32 v8, 0xff
	s_mov_b32 s6, exec_lo
	v_and_b32_sdwa v8, v29, v8 dst_sel:DWORD dst_unused:UNUSED_PAD src0_sel:WORD_1 src1_sel:DWORD
	v_cmpx_ne_u16_e32 0, v8
	s_cbranch_execz .LBB397_1539
; %bb.1532:                             ;   in Loop: Header=BB397_11 Depth=1
	v_bfrev_b32_e32 v15, 1
	s_mov_b32 s17, exec_lo
	v_cmpx_ne_u16_e32 0x80, v8
	s_cbranch_execz .LBB397_1538
; %bb.1533:                             ;   in Loop: Header=BB397_11 Depth=1
	v_bfe_u32 v33, v29, 16, 7
	v_mov_b32_e32 v15, 0x7f800001
	s_mov_b32 s23, exec_lo
	v_cmpx_ne_u32_e32 0x7f, v33
	s_cbranch_execz .LBB397_1537
; %bb.1534:                             ;   in Loop: Header=BB397_11 Depth=1
	v_mov_b32_e32 v8, 7
	s_mov_b32 s24, exec_lo
	v_and_b32_sdwa v8, v29, v8 dst_sel:DWORD dst_unused:UNUSED_PAD src0_sel:WORD_1 src1_sel:DWORD
	v_mov_b32_e32 v31, v9
	v_lshrrev_b32_e32 v31, 3, v33
	v_mov_b32_e32 v30, v8
	v_cmpx_gt_u32_e32 8, v33
; %bb.1535:                             ;   in Loop: Header=BB397_11 Depth=1
	v_ffbh_u32_e32 v30, v8
	v_min_u32_e32 v33, 32, v30
	v_subrev_nc_u32_e32 v30, 28, v33
	v_lshlrev_b64 v[30:31], v30, v[8:9]
	v_sub_nc_u32_e32 v31, 29, v33
	v_and_b32_e32 v30, 7, v30
; %bb.1536:                             ;   in Loop: Header=BB397_11 Depth=1
	s_or_b32 exec_lo, exec_lo, s24
	v_mov_b32_e32 v8, 24
	v_lshlrev_b32_e32 v30, 20, v30
	v_lshl_add_u32 v31, v31, 23, 0x3c000000
	v_lshlrev_b32_sdwa v8, v8, v29 dst_sel:DWORD dst_unused:UNUSED_PAD src0_sel:DWORD src1_sel:WORD_1
	v_and_b32_e32 v8, 0x80000000, v8
	v_or3_b32 v15, v30, v8, v31
.LBB397_1537:                           ;   in Loop: Header=BB397_11 Depth=1
	s_or_b32 exec_lo, exec_lo, s23
.LBB397_1538:                           ;   in Loop: Header=BB397_11 Depth=1
	s_or_b32 exec_lo, exec_lo, s17
.LBB397_1539:                           ;   in Loop: Header=BB397_11 Depth=1
	s_or_b32 exec_lo, exec_lo, s6
	v_mov_b32_e32 v26, v121
	v_mov_b32_e32 v34, v53
	v_mov_b32_e32 v53, 0
	v_cmp_lt_u64_e64 s5, s[8:9], v[28:29]
	s_mov_b32 s6, exec_lo
	v_mov_b32_e32 v33, v108
	v_mov_b32_e32 v31, v110
	;; [unrolled: 1-line block ×3, first 2 shown]
	s_and_b32 s5, s6, s5
	s_mov_b32 exec_lo, s5
	s_cbranch_execz .LBB397_10
; %bb.1540:                             ;   in Loop: Header=BB397_11 Depth=1
	v_cmp_ne_u32_sdwa s5, v29, v126 src0_sel:BYTE_3 src1_sel:DWORD
	v_bfrev_b32_e32 v53, 1
	s_and_saveexec_b32 s17, s5
	s_cbranch_execz .LBB397_9
; %bb.1541:                             ;   in Loop: Header=BB397_11 Depth=1
	v_bfe_u32 v33, v29, 24, 7
	v_mov_b32_e32 v53, 0x7f800001
	s_mov_b32 s23, exec_lo
	v_cmpx_ne_u32_e32 0x7f, v33
	s_cbranch_execz .LBB397_8
; %bb.1542:                             ;   in Loop: Header=BB397_11 Depth=1
	v_mov_b32_e32 v8, 7
	v_lshrrev_b32_e32 v28, 3, v33
	s_mov_b32 s24, exec_lo
	v_and_b32_sdwa v8, v29, v8 dst_sel:DWORD dst_unused:UNUSED_PAD src0_sel:BYTE_3 src1_sel:DWORD
	v_mov_b32_e32 v31, v9
	v_mov_b32_e32 v30, v8
	v_cmpx_gt_u32_e32 8, v33
	s_cbranch_execz .LBB397_7
; %bb.1543:                             ;   in Loop: Header=BB397_11 Depth=1
	v_ffbh_u32_e32 v28, v8
	v_min_u32_e32 v28, 32, v28
	v_subrev_nc_u32_e32 v30, 28, v28
	v_sub_nc_u32_e32 v28, 29, v28
	v_lshlrev_b64 v[30:31], v30, v[8:9]
	v_and_b32_e32 v30, 7, v30
	s_branch .LBB397_7
.LBB397_1544:
	s_or_b32 exec_lo, exec_lo, s22
	s_clause 0x10
	buffer_load_dword v12, off, s[0:3], s32 offset:1620
	buffer_load_dword v11, off, s[0:3], s32 offset:1640
	;; [unrolled: 1-line block ×17, first 2 shown]
.LBB397_1545:
	s_or_b32 exec_lo, exec_lo, s21
	v_mbcnt_lo_u32_b32 v0, -1, 0
	v_max_f32_e32 v4, v5, v5
	s_lshr_b32 s8, s13, 16
	v_xor_b32_e32 v1, 16, v0
	v_xor_b32_e32 v3, 8, v0
	v_cmp_gt_i32_e32 vcc_lo, 32, v1
	v_cndmask_b32_e32 v1, v0, v1, vcc_lo
	v_cmp_gt_i32_e32 vcc_lo, 32, v3
	v_lshlrev_b32_e32 v2, 2, v1
	v_cndmask_b32_e32 v3, v0, v3, vcc_lo
	ds_bpermute_b32 v1, v2, v5
	v_lshlrev_b32_e32 v3, 2, v3
	v_xor_b32_e32 v5, 4, v0
	v_cmp_gt_i32_e32 vcc_lo, 32, v5
	v_cndmask_b32_e32 v5, v0, v5, vcc_lo
	s_waitcnt lgkmcnt(0)
	v_max_f32_e32 v1, v1, v1
	v_max_f32_e32 v1, v4, v1
	ds_bpermute_b32 v4, v3, v1
	s_waitcnt lgkmcnt(0)
	v_max_f32_e32 v6, v4, v4
	v_lshlrev_b32_e32 v4, 2, v5
	v_max_f32_e32 v1, v1, v6
	v_xor_b32_e32 v6, 2, v0
	ds_bpermute_b32 v5, v4, v1
	v_cmp_gt_i32_e32 vcc_lo, 32, v6
	v_cndmask_b32_e32 v6, v0, v6, vcc_lo
	v_lshlrev_b32_e32 v23, 2, v6
	v_xor_b32_e32 v6, 1, v0
	v_cmp_gt_i32_e32 vcc_lo, 32, v6
	s_waitcnt lgkmcnt(0)
	v_max_f32_e32 v5, v5, v5
	v_cndmask_b32_e32 v6, v0, v6, vcc_lo
	v_max_f32_e32 v1, v1, v5
	v_lshlrev_b32_e32 v82, 2, v6
	ds_bpermute_b32 v5, v23, v1
	s_waitcnt lgkmcnt(0)
	v_max_f32_e32 v5, v5, v5
	v_max_f32_e32 v0, v1, v5
	buffer_load_dword v5, off, s[0:3], s32 offset:1624 ; 4-byte Folded Reload
	ds_bpermute_b32 v1, v82, v0
	s_waitcnt vmcnt(0)
	v_cmp_eq_u32_e32 vcc_lo, 0, v5
	buffer_load_dword v5, off, s[0:3], s32 offset:1628 ; 4-byte Folded Reload
	s_waitcnt vmcnt(0)
	v_lshlrev_b32_e32 v5, 2, v5
	s_mov_b32 s5, exec_lo
	s_clause 0x1
	buffer_load_dword v9, off, s[0:3], s32 offset:192
	buffer_load_dword v10, off, s[0:3], s32 offset:196
	s_and_b32 s6, s5, vcc_lo
	s_mov_b32 exec_lo, s6
	s_cbranch_execz .LBB397_1547
; %bb.1546:
	s_waitcnt lgkmcnt(0)
	v_max_f32_e32 v1, v1, v1
	v_max_f32_e32 v0, v0, v0
	v_max_f32_e32 v0, v0, v1
	ds_write_b32 v5, v0 offset:384
.LBB397_1547:
	s_or_b32 exec_lo, exec_lo, s5
	buffer_load_dword v0, off, s[0:3], s32 offset:1624 ; 4-byte Folded Reload
	s_waitcnt vmcnt(0) lgkmcnt(0)
	s_waitcnt_vscnt null, 0x0
	s_barrier
	buffer_gl0_inv
	v_cmp_gt_u32_e64 s5, 4, v0
	v_mov_b32_e32 v0, 0xff7fffff
	s_and_saveexec_b32 s6, s5
; %bb.1548:
	ds_read_b32 v0, v29 offset:384
; %bb.1549:
	s_or_b32 exec_lo, exec_lo, s6
	buffer_load_dword v6, off, s[0:3], s32 offset:592 ; 4-byte Folded Reload
	s_waitcnt lgkmcnt(0)
	ds_bpermute_b32 v1, v23, v0
	v_max_f32_e32 v0, v0, v0
	s_waitcnt lgkmcnt(0)
	v_max_f32_e32 v1, v1, v1
	v_max_f32_e32 v0, v0, v1
	ds_bpermute_b32 v1, v82, v0
	s_waitcnt lgkmcnt(0)
	v_max_f32_e32 v1, v1, v1
	v_max_f32_e32 v0, v0, v1
	s_waitcnt vmcnt(0)
	v_subrev_nc_u32_e32 v7, s7, v6
	v_mov_b32_e32 v6, 0
	v_lshl_add_u32 v1, v7, 5, s20
	ds_bpermute_b32 v0, v6, v0
	v_min_i32_e32 v1, v1, v107
	v_subrev_nc_u32_e32 v1, s20, v1
	v_cmp_lt_i32_e64 s6, v12, v1
	s_and_saveexec_b32 s9, s6
	s_cbranch_execz .LBB397_1553
; %bb.1550:
	s_getpc_b64 s[22:23]
	s_add_u32 s22, s22, llvm.amdgcn.dynlds.offset.table@rel32@lo+4
	s_addc_u32 s23, s23, llvm.amdgcn.dynlds.offset.table@rel32@hi+12
	s_ashr_i32 s17, s16, 31
	v_mov_b32_e32 v6, 0
	s_lshl_b64 s[24:25], s[16:17], 2
	v_mov_b32_e32 v8, v12
	s_add_u32 s22, s22, s24
	s_addc_u32 s23, s23, s25
	s_mov_b32 s13, 0
	s_load_dword s7, s[22:23], 0x0
	s_waitcnt lgkmcnt(0)
	v_lshl_add_u32 v7, v12, 2, s7
	.p2align	6
.LBB397_1551:                           ; =>This Inner Loop Header: Depth=1
	ds_read_b32 v9, v7
	v_add_nc_u32_e32 v8, 0x80, v8
	v_cmp_ge_i32_e64 s7, v8, v1
	s_or_b32 s13, s7, s13
	s_waitcnt lgkmcnt(0)
	v_sub_f32_e32 v9, v9, v0
	v_mul_f32_e32 v9, 0x3fb8aa3b, v9
	v_exp_f32_e32 v9, v9
	ds_write_b32 v7, v9
	v_add_f32_e32 v6, v6, v9
	v_add_nc_u32_e32 v7, 0x200, v7
	s_andn2_b32 exec_lo, exec_lo, s13
	s_cbranch_execnz .LBB397_1551
; %bb.1552:
	s_or_b32 exec_lo, exec_lo, s13
	s_clause 0x1
	buffer_load_dword v9, off, s[0:3], s32 offset:192
	buffer_load_dword v10, off, s[0:3], s32 offset:196
.LBB397_1553:
	s_or_b32 exec_lo, exec_lo, s9
	ds_bpermute_b32 v2, v2, v6
	s_waitcnt lgkmcnt(0)
	v_add_f32_e32 v2, v6, v2
	ds_bpermute_b32 v3, v3, v2
	s_waitcnt lgkmcnt(0)
	v_add_f32_e32 v2, v2, v3
	;; [unrolled: 3-line block ×5, first 2 shown]
	s_and_saveexec_b32 s7, vcc_lo
; %bb.1554:
	ds_write_b32 v5, v2 offset:400
; %bb.1555:
	s_or_b32 exec_lo, exec_lo, s7
	s_waitcnt vmcnt(0) lgkmcnt(0)
	s_barrier
	buffer_gl0_inv
	s_and_saveexec_b32 s7, s5
; %bb.1556:
	ds_read_b32 v2, v29 offset:400
; %bb.1557:
	s_or_b32 exec_lo, exec_lo, s7
	s_waitcnt lgkmcnt(0)
	ds_bpermute_b32 v3, v23, v2
	s_waitcnt lgkmcnt(0)
	v_add_f32_e32 v2, v2, v3
	ds_bpermute_b32 v3, v82, v2
	s_waitcnt lgkmcnt(0)
	v_add_f32_e32 v2, v2, v3
	v_mov_b32_e32 v3, 0
	ds_bpermute_b32 v2, v3, v2
	s_and_saveexec_b32 s5, s6
	s_cbranch_execz .LBB397_1560
; %bb.1558:
	s_waitcnt lgkmcnt(0)
	v_add_f32_e32 v4, 0x358637bd, v2
	s_getpc_b64 s[6:7]
	s_add_u32 s6, s6, llvm.amdgcn.dynlds.offset.table@rel32@lo+4
	s_addc_u32 s7, s7, llvm.amdgcn.dynlds.offset.table@rel32@hi+12
	s_ashr_i32 s17, s16, 31
	s_lshl_b64 s[22:23], s[16:17], 2
	v_div_scale_f32 v3, null, v4, v4, 1.0
	v_div_scale_f32 v7, vcc_lo, 1.0, v4, 1.0
	s_add_u32 s6, s6, s22
	v_rcp_f32_e32 v5, v3
	s_addc_u32 s7, s7, s23
	s_load_dword s6, s[6:7], 0x0
	v_fma_f32 v6, -v3, v5, 1.0
	v_fmac_f32_e32 v5, v6, v5
	v_mul_f32_e32 v6, v7, v5
	v_fma_f32 v8, -v3, v6, v7
	v_fmac_f32_e32 v6, v8, v5
	v_fma_f32 v3, -v3, v6, v7
	v_div_fmas_f32 v5, v3, v5, v6
	s_waitcnt lgkmcnt(0)
	v_lshl_add_u32 v3, v12, 2, s6
	s_mov_b32 s6, 0
	v_div_fixup_f32 v4, v5, v4, 1.0
	v_mov_b32_e32 v5, v12
.LBB397_1559:                           ; =>This Inner Loop Header: Depth=1
	ds_read_b32 v6, v3
	v_add_nc_u32_e32 v5, 0x80, v5
	v_cmp_ge_i32_e32 vcc_lo, v5, v1
	s_or_b32 s6, vcc_lo, s6
	s_waitcnt lgkmcnt(0)
	v_mul_f32_e32 v6, v4, v6
	ds_write_b32 v3, v6
	v_add_nc_u32_e32 v3, 0x200, v3
	s_andn2_b32 exec_lo, exec_lo, s6
	s_cbranch_execnz .LBB397_1559
.LBB397_1560:
	s_or_b32 exec_lo, exec_lo, s5
	s_and_b32 s5, 0xffff, s8
	s_mov_b32 s8, exec_lo
	s_cmp_lg_u32 s5, 0
	s_waitcnt lgkmcnt(0)
	s_cselect_b32 s5, -1, 0
	s_barrier
	s_cmp_lg_u32 s5, 0
	buffer_gl0_inv
	s_addc_u32 s5, s11, 0
	s_mul_i32 s6, s5, s18
	s_mul_i32 s6, s6, s15
	v_cmpx_eq_u32_e32 0, v12
	s_cbranch_execz .LBB397_1562
; %bb.1561:
	s_ashr_i32 s7, s6, 31
	s_mul_i32 s12, s5, s12
	s_lshl_b64 s[22:23], s[6:7], 2
	s_ashr_i32 s13, s12, 31
	v_add_co_u32 v1, vcc_lo, v28, s22
	v_add_co_ci_u32_e64 v3, null, s23, v25, vcc_lo
	s_lshl_b64 s[12:13], s[12:13], 2
	s_ashr_i32 s15, s14, 31
	v_add_co_u32 v1, vcc_lo, v1, s12
	v_add_co_ci_u32_e64 v4, null, s13, v3, vcc_lo
	v_add_co_u32 v3, vcc_lo, v24, s22
	v_add_co_ci_u32_e64 v5, null, s23, v22, vcc_lo
	s_lshl_b64 s[22:23], s[14:15], 2
	v_add_co_u32 v6, vcc_lo, v3, s12
	v_add_co_ci_u32_e64 v7, null, s13, v5, vcc_lo
	v_add_co_u32 v3, vcc_lo, v1, s22
	v_add_co_ci_u32_e64 v4, null, s23, v4, vcc_lo
	;; [unrolled: 2-line block ×3, first 2 shown]
	flat_store_dword v[3:4], v0
	flat_store_dword v[5:6], v2
.LBB397_1562:
	s_or_b32 exec_lo, exec_lo, s8
	s_and_saveexec_b32 s7, s4
	s_xor_b32 s4, exec_lo, s7
; %bb.1563:
	s_ashr_i32 s17, s16, 31
                                        ; implicit-def: $vgpr0
                                        ; implicit-def: $vgpr107
                                        ; implicit-def: $vgpr16
                                        ; kill: killed $vgpr0
                                        ; implicit-def: $vgpr9
                                        ; implicit-def: $vgpr13
                                        ; implicit-def: $vgpr11
                                        ; implicit-def: $vgpr14
                                        ; implicit-def: $vgpr15
                                        ; implicit-def: $vgpr0
                                        ; kill: killed $vgpr0
                                        ; implicit-def: $vgpr26_vgpr27
                                        ; implicit-def: $vgpr17
                                        ; implicit-def: $vgpr18
                                        ; implicit-def: $vgpr20_vgpr21
; %bb.1564:
	s_or_saveexec_b32 s7, s4
	v_mov_b32_e32 v0, s16
	v_mov_b32_e32 v70, 0
	;; [unrolled: 1-line block ×26, first 2 shown]
	s_xor_b32 exec_lo, exec_lo, s7
	s_cbranch_execz .LBB397_3152
; %bb.1565:
	buffer_store_dword v23, off, s[0:3], s32 offset:700 ; 4-byte Folded Spill
	buffer_store_dword v82, off, s[0:3], s32 offset:696 ; 4-byte Folded Spill
	flat_load_dword v26, v[26:27]
	v_add_co_u32 v1, vcc_lo, v14, v20
	v_lshlrev_b32_e32 v0, 3, v12
	s_getpc_b64 s[8:9]
	s_add_u32 s8, s8, llvm.amdgcn.dynlds.offset.table@rel32@lo+4
	s_addc_u32 s9, s9, llvm.amdgcn.dynlds.offset.table@rel32@hi+12
	s_ashr_i32 s17, s16, 31
	buffer_store_dword v1, off, s[0:3], s32 offset:672 ; 4-byte Folded Spill
	v_add_co_ci_u32_e64 v1, null, v15, v21, vcc_lo
	s_lshl_b64 s[12:13], s[16:17], 2
	v_add_nc_u32_e32 v3, -1, v16
	s_add_u32 s8, s8, s12
	buffer_store_dword v1, off, s[0:3], s32 offset:676 ; 4-byte Folded Spill
	v_and_b32_e32 v1, 24, v0
	v_and_b32_e32 v0, 0xf8, v0
	s_addc_u32 s9, s9, s13
	buffer_store_dword v3, off, s[0:3], s32 offset:684 ; 4-byte Folded Spill
	s_load_dword s4, s[8:9], 0x0
	buffer_store_dword v1, off, s[0:3], s32 offset:680 ; 4-byte Folded Spill
	v_add_co_u32 v1, vcc_lo, v13, v17
	v_add_co_ci_u32_e64 v2, null, v11, v18, vcc_lo
	s_lshl_b32 s8, s20, 2
	v_add_co_u32 v0, vcc_lo, v1, v0
	v_add_co_ci_u32_e64 v1, null, 0, v2, vcc_lo
	buffer_store_dword v0, off, s[0:3], s32 offset:688 ; 4-byte Folded Spill
	buffer_store_dword v1, off, s[0:3], s32 offset:692 ; 4-byte Folded Spill
	v_mov_b32_e32 v0, 0
	v_mov_b32_e32 v11, 0
	;; [unrolled: 1-line block ×5, first 2 shown]
	buffer_store_dword v0, off, s[0:3], s32 offset:596 ; 4-byte Folded Spill
	v_mov_b32_e32 v0, 0
	v_mov_b32_e32 v69, 0
	;; [unrolled: 1-line block ×5, first 2 shown]
	buffer_store_dword v0, off, s[0:3], s32 offset:600 ; 4-byte Folded Spill
	v_mov_b32_e32 v0, 0
	s_waitcnt lgkmcnt(0)
	s_sub_i32 s11, s4, s8
	s_mov_b32 s8, -1
	s_mov_b32 s9, 0xffffff
	s_mov_b32 s12, 0
	buffer_store_dword v0, off, s[0:3], s32 offset:604 ; 4-byte Folded Spill
	v_mov_b32_e32 v0, 0
	buffer_store_dword v0, off, s[0:3], s32 offset:608 ; 4-byte Folded Spill
	v_mov_b32_e32 v0, 0
	;; [unrolled: 2-line block ×16, first 2 shown]
	buffer_store_dword v0, off, s[0:3], s32 offset:668 ; 4-byte Folded Spill
	s_branch .LBB397_1567
.LBB397_1566:                           ;   in Loop: Header=BB397_1567 Depth=1
	s_or_b32 exec_lo, exec_lo, s4
	v_bfe_u32 v54, v6, 16, 1
	v_or_b32_e32 v55, 0x400000, v6
	v_cmp_u_f32_e32 vcc_lo, v6, v6
	v_lshlrev_b32_e32 v53, 16, v53
	v_lshlrev_b32_e32 v50, 16, v50
	v_add3_u32 v54, v54, v6, 0x7fff
	v_lshlrev_b32_e32 v28, 16, v28
	v_lshlrev_b32_e32 v29, 16, v29
	;; [unrolled: 1-line block ×4, first 2 shown]
	v_cndmask_b32_e32 v6, v54, v55, vcc_lo
	v_bfe_u32 v54, v7, 16, 1
	v_or_b32_e32 v55, 0x400000, v7
	v_cmp_u_f32_e32 vcc_lo, v7, v7
	v_lshlrev_b32_e32 v12, 16, v12
	v_lshlrev_b32_e32 v13, 16, v13
	v_add3_u32 v54, v54, v7, 0x7fff
	v_lshlrev_b32_e32 v21, 16, v21
	v_lshlrev_b32_e32 v5, 16, v5
	;; [unrolled: 1-line block ×4, first 2 shown]
	v_cndmask_b32_e32 v7, v54, v55, vcc_lo
	v_bfe_u32 v54, v8, 16, 1
	v_or_b32_e32 v55, 0x400000, v8
	v_cmp_u_f32_e32 vcc_lo, v8, v8
	v_add3_u32 v54, v54, v8, 0x7fff
	v_bfe_u32 v8, v9, 16, 1
	v_cndmask_b32_e32 v54, v54, v55, vcc_lo
	v_add3_u32 v8, v8, v9, 0x7fff
	v_or_b32_e32 v55, 0x400000, v9
	v_cmp_u_f32_e32 vcc_lo, v9, v9
	v_or_b32_e32 v9, 0x400000, v0
	v_cndmask_b32_e32 v55, v8, v55, vcc_lo
	v_bfe_u32 v8, v0, 16, 1
	v_cmp_u_f32_e32 vcc_lo, v0, v0
	v_add3_u32 v8, v8, v0, 0x7fff
	v_cndmask_b32_e32 v0, v8, v9, vcc_lo
	v_bfe_u32 v8, v1, 16, 1
	v_or_b32_e32 v9, 0x400000, v1
	v_cmp_u_f32_e32 vcc_lo, v1, v1
	v_add3_u32 v8, v8, v1, 0x7fff
	v_cndmask_b32_e32 v1, v8, v9, vcc_lo
	v_bfe_u32 v8, v2, 16, 1
	v_or_b32_e32 v9, 0x400000, v2
	v_cmp_u_f32_e32 vcc_lo, v2, v2
	v_and_b32_e32 v1, 0xffff0000, v1
	v_add3_u32 v8, v8, v2, 0x7fff
	v_mul_f32_e32 v5, v1, v5
	v_cndmask_b32_e32 v2, v8, v9, vcc_lo
	v_bfe_u32 v8, v3, 16, 1
	v_or_b32_e32 v9, 0x400000, v3
	v_cmp_u_f32_e32 vcc_lo, v3, v3
	v_and_b32_e32 v2, 0xffff0000, v2
	v_add3_u32 v8, v8, v3, 0x7fff
	v_lshlrev_b32_e32 v3, 16, v51
	v_mul_f32_e32 v50, v2, v50
	v_cndmask_b32_e32 v64, v8, v9, vcc_lo
	v_and_b32_e32 v8, 0xffff0000, v7
	v_mul_f32_e32 v30, v2, v30
	v_mul_f32_e32 v21, v2, v21
	;; [unrolled: 1-line block ×3, first 2 shown]
	v_bfe_u32 v7, v3, 16, 1
	v_or_b32_e32 v9, 0x400000, v3
	v_cmp_u_f32_e32 vcc_lo, v3, v3
	v_add3_u32 v7, v7, v3, 0x7fff
	v_lshlrev_b32_e32 v3, 16, v52
	v_cndmask_b32_e32 v51, v7, v9, vcc_lo
	v_and_b32_e32 v9, 0xffff0000, v6
	v_and_b32_e32 v51, 0xffff0000, v51
	v_mul_f32_e32 v3, v9, v3
	v_bfe_u32 v6, v3, 16, 1
	v_or_b32_e32 v7, 0x400000, v3
	v_cmp_u_f32_e32 vcc_lo, v3, v3
	v_add3_u32 v6, v6, v3, 0x7fff
	v_and_b32_e32 v3, 0xffff0000, v55
	v_cndmask_b32_e32 v52, v6, v7, vcc_lo
	v_lshlrev_b32_e32 v6, 16, v35
	v_mul_f32_e32 v28, v3, v28
	v_mul_f32_e32 v12, v3, v12
	v_and_b32_e32 v52, 0xffff0000, v52
	v_mul_f32_e32 v6, v3, v6
	v_add_f32_e32 v51, v52, v51
	v_bfe_u32 v7, v6, 16, 1
	v_or_b32_e32 v35, 0x400000, v6
	v_cmp_u_f32_e32 vcc_lo, v6, v6
	v_add3_u32 v7, v7, v6, 0x7fff
	v_lshlrev_b32_e32 v6, 16, v49
	v_cndmask_b32_e32 v35, v7, v35, vcc_lo
	v_and_b32_e32 v7, 0xffff0000, v54
	v_and_b32_e32 v35, 0xffff0000, v35
	v_mul_f32_e32 v6, v7, v6
	v_mul_f32_e32 v29, v7, v29
	;; [unrolled: 1-line block ×3, first 2 shown]
	v_bfe_u32 v49, v6, 16, 1
	v_or_b32_e32 v54, 0x400000, v6
	v_cmp_u_f32_e32 vcc_lo, v6, v6
	v_add3_u32 v49, v49, v6, 0x7fff
	v_lshlrev_b32_e32 v6, 16, v16
	v_cndmask_b32_e32 v49, v49, v54, vcc_lo
	v_mul_f32_e32 v6, v1, v6
	v_and_b32_e32 v49, 0xffff0000, v49
	v_bfe_u32 v16, v6, 16, 1
	v_or_b32_e32 v54, 0x400000, v6
	v_cmp_u_f32_e32 vcc_lo, v6, v6
	v_add_f32_e32 v35, v49, v35
	v_add3_u32 v16, v16, v6, 0x7fff
	v_and_b32_e32 v6, 0xffff0000, v0
	v_lshlrev_b32_e32 v0, 16, v34
	v_add_f32_e32 v35, v51, v35
	v_cndmask_b32_e32 v16, v16, v54, vcc_lo
	v_mul_f32_e32 v4, v6, v4
	v_mul_f32_e32 v0, v6, v0
	v_and_b32_e32 v16, 0xffff0000, v16
	v_bfe_u32 v34, v0, 16, 1
	v_or_b32_e32 v54, 0x400000, v0
	v_cmp_u_f32_e32 vcc_lo, v0, v0
	v_add3_u32 v34, v34, v0, 0x7fff
	v_and_b32_e32 v0, 0xffff0000, v64
	v_cndmask_b32_e32 v34, v34, v54, vcc_lo
	v_mul_f32_e32 v53, v0, v53
	v_mul_f32_e32 v33, v0, v33
	v_mul_f32_e32 v22, v0, v22
	v_and_b32_e32 v34, 0xffff0000, v34
	v_bfe_u32 v54, v53, 16, 1
	v_or_b32_e32 v55, 0x400000, v53
	v_cmp_u_f32_e32 vcc_lo, v53, v53
	v_add_f32_e32 v16, v34, v16
	v_add3_u32 v54, v54, v53, 0x7fff
	v_add_f32_e32 v16, v35, v16
	v_cndmask_b32_e32 v53, v54, v55, vcc_lo
	v_bfe_u32 v54, v50, 16, 1
	v_or_b32_e32 v55, 0x400000, v50
	v_cmp_u_f32_e32 vcc_lo, v50, v50
	v_and_b32_e32 v35, 0xffff0000, v53
	v_add3_u32 v54, v54, v50, 0x7fff
	v_cndmask_b32_e32 v50, v54, v55, vcc_lo
	v_and_b32_e32 v34, 0xffff0000, v50
	v_add_f32_e32 v34, v34, v35
	v_add_f32_e32 v16, v16, v34
	buffer_load_dword v34, off, s[0:3], s32 offset:596 ; 4-byte Folded Reload
	s_waitcnt vmcnt(0)
	v_add_f32_e32 v34, v34, v16
	v_lshlrev_b32_e32 v16, 16, v31
	buffer_store_dword v34, off, s[0:3], s32 offset:596 ; 4-byte Folded Spill
	v_mul_f32_e32 v16, v8, v16
	v_bfe_u32 v31, v16, 16, 1
	v_or_b32_e32 v34, 0x400000, v16
	v_cmp_u_f32_e32 vcc_lo, v16, v16
	v_add3_u32 v31, v31, v16, 0x7fff
	v_cndmask_b32_e32 v16, v31, v34, vcc_lo
	v_lshlrev_b32_e32 v31, 16, v32
	v_and_b32_e32 v16, 0xffff0000, v16
	v_mul_f32_e32 v31, v9, v31
	v_bfe_u32 v32, v31, 16, 1
	v_or_b32_e32 v34, 0x400000, v31
	v_cmp_u_f32_e32 vcc_lo, v31, v31
	v_add3_u32 v32, v32, v31, 0x7fff
	v_cndmask_b32_e32 v31, v32, v34, vcc_lo
	v_bfe_u32 v32, v28, 16, 1
	v_or_b32_e32 v34, 0x400000, v28
	v_cmp_u_f32_e32 vcc_lo, v28, v28
	v_and_b32_e32 v31, 0xffff0000, v31
	v_add3_u32 v32, v32, v28, 0x7fff
	v_add_f32_e32 v16, v31, v16
	v_cndmask_b32_e32 v28, v32, v34, vcc_lo
	v_bfe_u32 v32, v29, 16, 1
	v_or_b32_e32 v34, 0x400000, v29
	v_cmp_u_f32_e32 vcc_lo, v29, v29
	v_and_b32_e32 v28, 0xffff0000, v28
	v_add3_u32 v32, v32, v29, 0x7fff
	v_cndmask_b32_e32 v29, v32, v34, vcc_lo
	v_lshlrev_b32_e32 v32, 16, v57
	v_and_b32_e32 v29, 0xffff0000, v29
	v_mul_f32_e32 v32, v1, v32
	v_add_f32_e32 v28, v29, v28
	v_bfe_u32 v34, v32, 16, 1
	v_or_b32_e32 v35, 0x400000, v32
	v_cmp_u_f32_e32 vcc_lo, v32, v32
	v_add_f32_e32 v16, v16, v28
	v_add3_u32 v34, v34, v32, 0x7fff
	v_cndmask_b32_e32 v32, v34, v35, vcc_lo
	v_lshlrev_b32_e32 v34, 16, v58
	v_and_b32_e32 v29, 0xffff0000, v32
	v_mul_f32_e32 v34, v6, v34
	v_bfe_u32 v35, v34, 16, 1
	v_or_b32_e32 v49, 0x400000, v34
	v_cmp_u_f32_e32 vcc_lo, v34, v34
	v_add3_u32 v35, v35, v34, 0x7fff
	v_cndmask_b32_e32 v34, v35, v49, vcc_lo
	v_bfe_u32 v35, v33, 16, 1
	v_or_b32_e32 v49, 0x400000, v33
	v_cmp_u_f32_e32 vcc_lo, v33, v33
	v_and_b32_e32 v28, 0xffff0000, v34
	v_add3_u32 v35, v35, v33, 0x7fff
	v_add_f32_e32 v28, v28, v29
	v_cndmask_b32_e32 v33, v35, v49, vcc_lo
	v_bfe_u32 v35, v30, 16, 1
	v_or_b32_e32 v49, 0x400000, v30
	v_cmp_u_f32_e32 vcc_lo, v30, v30
	v_add_f32_e32 v16, v16, v28
	v_and_b32_e32 v29, 0xffff0000, v33
	v_add3_u32 v35, v35, v30, 0x7fff
	v_cndmask_b32_e32 v30, v35, v49, vcc_lo
	v_and_b32_e32 v28, 0xffff0000, v30
	v_add_f32_e32 v28, v28, v29
	v_add_f32_e32 v16, v16, v28
	buffer_load_dword v28, off, s[0:3], s32 offset:600 ; 4-byte Folded Reload
	s_waitcnt vmcnt(0)
	v_add_f32_e32 v28, v28, v16
	v_lshlrev_b32_e32 v16, 16, v96
	buffer_store_dword v28, off, s[0:3], s32 offset:600 ; 4-byte Folded Spill
	v_mul_f32_e32 v16, v8, v16
	v_bfe_u32 v28, v16, 16, 1
	v_or_b32_e32 v29, 0x400000, v16
	v_cmp_u_f32_e32 vcc_lo, v16, v16
	v_add3_u32 v28, v28, v16, 0x7fff
	v_cndmask_b32_e32 v16, v28, v29, vcc_lo
	v_lshlrev_b32_e32 v28, 16, v47
	v_and_b32_e32 v16, 0xffff0000, v16
	v_mul_f32_e32 v28, v9, v28
	v_bfe_u32 v29, v28, 16, 1
	v_or_b32_e32 v30, 0x400000, v28
	v_cmp_u_f32_e32 vcc_lo, v28, v28
	v_add3_u32 v29, v29, v28, 0x7fff
	v_cndmask_b32_e32 v28, v29, v30, vcc_lo
	v_lshlrev_b32_e32 v29, 16, v46
	v_and_b32_e32 v28, 0xffff0000, v28
	v_mul_f32_e32 v29, v3, v29
	v_add_f32_e32 v16, v28, v16
	v_bfe_u32 v30, v29, 16, 1
	v_or_b32_e32 v31, 0x400000, v29
	v_cmp_u_f32_e32 vcc_lo, v29, v29
	v_add3_u32 v30, v30, v29, 0x7fff
	v_cndmask_b32_e32 v29, v30, v31, vcc_lo
	v_lshlrev_b32_e32 v30, 16, v85
	v_and_b32_e32 v29, 0xffff0000, v29
	v_mul_f32_e32 v30, v7, v30
	v_bfe_u32 v31, v30, 16, 1
	v_or_b32_e32 v32, 0x400000, v30
	v_cmp_u_f32_e32 vcc_lo, v30, v30
	v_add3_u32 v31, v31, v30, 0x7fff
	v_cndmask_b32_e32 v30, v31, v32, vcc_lo
	v_lshlrev_b32_e32 v31, 16, v44
	v_and_b32_e32 v28, 0xffff0000, v30
	v_mul_f32_e32 v31, v1, v31
	v_add_f32_e32 v28, v28, v29
	v_bfe_u32 v32, v31, 16, 1
	v_or_b32_e32 v33, 0x400000, v31
	v_cmp_u_f32_e32 vcc_lo, v31, v31
	v_add_f32_e32 v16, v16, v28
	v_add3_u32 v32, v32, v31, 0x7fff
	v_cndmask_b32_e32 v31, v32, v33, vcc_lo
	v_lshlrev_b32_e32 v32, 16, v45
	v_and_b32_e32 v29, 0xffff0000, v31
	v_mul_f32_e32 v32, v6, v32
	v_bfe_u32 v33, v32, 16, 1
	v_or_b32_e32 v34, 0x400000, v32
	v_cmp_u_f32_e32 vcc_lo, v32, v32
	v_add3_u32 v33, v33, v32, 0x7fff
	v_cndmask_b32_e32 v32, v33, v34, vcc_lo
	v_lshlrev_b32_e32 v33, 16, v56
	v_and_b32_e32 v28, 0xffff0000, v32
	v_mul_f32_e32 v33, v0, v33
	v_add_f32_e32 v28, v28, v29
	v_bfe_u32 v34, v33, 16, 1
	v_or_b32_e32 v35, 0x400000, v33
	v_cmp_u_f32_e32 vcc_lo, v33, v33
	v_add_f32_e32 v16, v16, v28
	v_add3_u32 v34, v34, v33, 0x7fff
	v_cndmask_b32_e32 v33, v34, v35, vcc_lo
	v_lshlrev_b32_e32 v34, 16, v87
	v_and_b32_e32 v29, 0xffff0000, v33
	v_mul_f32_e32 v34, v2, v34
	v_bfe_u32 v35, v34, 16, 1
	v_or_b32_e32 v49, 0x400000, v34
	v_cmp_u_f32_e32 vcc_lo, v34, v34
	v_add3_u32 v35, v35, v34, 0x7fff
	v_cndmask_b32_e32 v34, v35, v49, vcc_lo
	v_and_b32_e32 v28, 0xffff0000, v34
	v_add_f32_e32 v28, v28, v29
	v_add_f32_e32 v16, v16, v28
	buffer_load_dword v28, off, s[0:3], s32 offset:604 ; 4-byte Folded Reload
	s_waitcnt vmcnt(0)
	v_add_f32_e32 v28, v28, v16
	v_lshlrev_b32_e32 v16, 16, v41
	buffer_store_dword v28, off, s[0:3], s32 offset:604 ; 4-byte Folded Spill
	v_mul_f32_e32 v16, v8, v16
	v_bfe_u32 v28, v16, 16, 1
	v_or_b32_e32 v29, 0x400000, v16
	v_cmp_u_f32_e32 vcc_lo, v16, v16
	v_add3_u32 v28, v28, v16, 0x7fff
	v_cndmask_b32_e32 v16, v28, v29, vcc_lo
	v_lshlrev_b32_e32 v28, 16, v42
	v_and_b32_e32 v16, 0xffff0000, v16
	v_mul_f32_e32 v28, v9, v28
	v_bfe_u32 v29, v28, 16, 1
	v_or_b32_e32 v30, 0x400000, v28
	v_cmp_u_f32_e32 vcc_lo, v28, v28
	v_add3_u32 v29, v29, v28, 0x7fff
	v_cndmask_b32_e32 v28, v29, v30, vcc_lo
	v_lshlrev_b32_e32 v29, 16, v118
	v_and_b32_e32 v28, 0xffff0000, v28
	v_mul_f32_e32 v29, v3, v29
	v_add_f32_e32 v16, v28, v16
	v_bfe_u32 v30, v29, 16, 1
	v_or_b32_e32 v31, 0x400000, v29
	v_cmp_u_f32_e32 vcc_lo, v29, v29
	v_add3_u32 v30, v30, v29, 0x7fff
	v_cndmask_b32_e32 v29, v30, v31, vcc_lo
	v_lshlrev_b32_e32 v30, 16, v119
	v_and_b32_e32 v29, 0xffff0000, v29
	v_mul_f32_e32 v30, v7, v30
	v_bfe_u32 v31, v30, 16, 1
	v_or_b32_e32 v32, 0x400000, v30
	v_cmp_u_f32_e32 vcc_lo, v30, v30
	v_add3_u32 v31, v31, v30, 0x7fff
	v_cndmask_b32_e32 v30, v31, v32, vcc_lo
	v_lshlrev_b32_e32 v31, 16, v116
	v_and_b32_e32 v28, 0xffff0000, v30
	v_mul_f32_e32 v31, v1, v31
	v_add_f32_e32 v28, v28, v29
	v_bfe_u32 v32, v31, 16, 1
	v_or_b32_e32 v33, 0x400000, v31
	v_cmp_u_f32_e32 vcc_lo, v31, v31
	v_add_f32_e32 v16, v16, v28
	v_add3_u32 v32, v32, v31, 0x7fff
	v_cndmask_b32_e32 v31, v32, v33, vcc_lo
	v_lshlrev_b32_e32 v32, 16, v117
	v_and_b32_e32 v29, 0xffff0000, v31
	v_mul_f32_e32 v32, v6, v32
	v_bfe_u32 v33, v32, 16, 1
	v_or_b32_e32 v34, 0x400000, v32
	v_cmp_u_f32_e32 vcc_lo, v32, v32
	v_add3_u32 v33, v33, v32, 0x7fff
	v_cndmask_b32_e32 v32, v33, v34, vcc_lo
	v_lshlrev_b32_e32 v33, 16, v43
	v_and_b32_e32 v28, 0xffff0000, v32
	v_mul_f32_e32 v33, v0, v33
	v_add_f32_e32 v28, v28, v29
	v_bfe_u32 v34, v33, 16, 1
	v_or_b32_e32 v35, 0x400000, v33
	v_cmp_u_f32_e32 vcc_lo, v33, v33
	v_add_f32_e32 v16, v16, v28
	v_add3_u32 v34, v34, v33, 0x7fff
	v_cndmask_b32_e32 v33, v34, v35, vcc_lo
	v_lshlrev_b32_e32 v34, 16, v40
	v_and_b32_e32 v29, 0xffff0000, v33
	v_mul_f32_e32 v34, v2, v34
	v_bfe_u32 v35, v34, 16, 1
	v_or_b32_e32 v49, 0x400000, v34
	v_cmp_u_f32_e32 vcc_lo, v34, v34
	v_add3_u32 v35, v35, v34, 0x7fff
	v_cndmask_b32_e32 v34, v35, v49, vcc_lo
	v_and_b32_e32 v28, 0xffff0000, v34
	v_add_f32_e32 v28, v28, v29
	v_add_f32_e32 v16, v16, v28
	buffer_load_dword v28, off, s[0:3], s32 offset:608 ; 4-byte Folded Reload
	s_waitcnt vmcnt(0)
	v_add_f32_e32 v28, v28, v16
	v_lshlrev_b32_e32 v16, 16, v112
	buffer_store_dword v28, off, s[0:3], s32 offset:608 ; 4-byte Folded Spill
	v_mul_f32_e32 v16, v8, v16
	v_bfe_u32 v28, v16, 16, 1
	v_or_b32_e32 v29, 0x400000, v16
	v_cmp_u_f32_e32 vcc_lo, v16, v16
	v_add3_u32 v28, v28, v16, 0x7fff
	v_cndmask_b32_e32 v16, v28, v29, vcc_lo
	v_lshlrev_b32_e32 v28, 16, v113
	v_and_b32_e32 v16, 0xffff0000, v16
	v_mul_f32_e32 v28, v9, v28
	v_bfe_u32 v29, v28, 16, 1
	v_or_b32_e32 v30, 0x400000, v28
	v_cmp_u_f32_e32 vcc_lo, v28, v28
	v_add3_u32 v29, v29, v28, 0x7fff
	v_cndmask_b32_e32 v28, v29, v30, vcc_lo
	v_lshlrev_b32_e32 v29, 16, v101
	v_and_b32_e32 v28, 0xffff0000, v28
	v_mul_f32_e32 v29, v3, v29
	v_add_f32_e32 v16, v28, v16
	v_bfe_u32 v30, v29, 16, 1
	v_or_b32_e32 v31, 0x400000, v29
	v_cmp_u_f32_e32 vcc_lo, v29, v29
	v_add3_u32 v30, v30, v29, 0x7fff
	v_cndmask_b32_e32 v29, v30, v31, vcc_lo
	v_lshlrev_b32_e32 v30, 16, v102
	v_and_b32_e32 v29, 0xffff0000, v29
	v_mul_f32_e32 v30, v7, v30
	v_bfe_u32 v31, v30, 16, 1
	v_or_b32_e32 v32, 0x400000, v30
	v_cmp_u_f32_e32 vcc_lo, v30, v30
	v_add3_u32 v31, v31, v30, 0x7fff
	v_cndmask_b32_e32 v30, v31, v32, vcc_lo
	v_lshlrev_b32_e32 v31, 16, v99
	v_and_b32_e32 v28, 0xffff0000, v30
	v_mul_f32_e32 v31, v1, v31
	v_add_f32_e32 v28, v28, v29
	v_bfe_u32 v32, v31, 16, 1
	v_or_b32_e32 v33, 0x400000, v31
	v_cmp_u_f32_e32 vcc_lo, v31, v31
	v_add_f32_e32 v16, v16, v28
	v_add3_u32 v32, v32, v31, 0x7fff
	v_cndmask_b32_e32 v31, v32, v33, vcc_lo
	v_lshlrev_b32_e32 v32, 16, v100
	v_and_b32_e32 v29, 0xffff0000, v31
	v_mul_f32_e32 v32, v6, v32
	v_bfe_u32 v33, v32, 16, 1
	v_or_b32_e32 v34, 0x400000, v32
	v_cmp_u_f32_e32 vcc_lo, v32, v32
	v_add3_u32 v33, v33, v32, 0x7fff
	v_cndmask_b32_e32 v32, v33, v34, vcc_lo
	v_lshlrev_b32_e32 v33, 16, v114
	v_and_b32_e32 v28, 0xffff0000, v32
	v_mul_f32_e32 v33, v0, v33
	v_add_f32_e32 v28, v28, v29
	v_bfe_u32 v34, v33, 16, 1
	v_or_b32_e32 v35, 0x400000, v33
	v_cmp_u_f32_e32 vcc_lo, v33, v33
	v_add_f32_e32 v16, v16, v28
	v_add3_u32 v34, v34, v33, 0x7fff
	v_cndmask_b32_e32 v33, v34, v35, vcc_lo
	v_lshlrev_b32_e32 v34, 16, v103
	v_and_b32_e32 v29, 0xffff0000, v33
	v_mul_f32_e32 v34, v2, v34
	v_bfe_u32 v35, v34, 16, 1
	v_or_b32_e32 v49, 0x400000, v34
	v_cmp_u_f32_e32 vcc_lo, v34, v34
	v_add3_u32 v35, v35, v34, 0x7fff
	v_cndmask_b32_e32 v34, v35, v49, vcc_lo
	v_and_b32_e32 v28, 0xffff0000, v34
	v_add_f32_e32 v28, v28, v29
	v_add_f32_e32 v16, v16, v28
	buffer_load_dword v28, off, s[0:3], s32 offset:612 ; 4-byte Folded Reload
	s_waitcnt vmcnt(0)
	v_add_f32_e32 v28, v28, v16
	v_lshlrev_b32_e32 v16, 16, v25
	buffer_store_dword v28, off, s[0:3], s32 offset:612 ; 4-byte Folded Spill
	v_mul_f32_e32 v16, v8, v16
	v_bfe_u32 v25, v16, 16, 1
	v_or_b32_e32 v28, 0x400000, v16
	v_cmp_u_f32_e32 vcc_lo, v16, v16
	v_add3_u32 v25, v25, v16, 0x7fff
	v_cndmask_b32_e32 v16, v25, v28, vcc_lo
	v_lshlrev_b32_e32 v25, 16, v97
	v_and_b32_e32 v16, 0xffff0000, v16
	v_mul_f32_e32 v25, v9, v25
	v_bfe_u32 v28, v25, 16, 1
	v_or_b32_e32 v29, 0x400000, v25
	v_cmp_u_f32_e32 vcc_lo, v25, v25
	v_add3_u32 v28, v28, v25, 0x7fff
	v_cndmask_b32_e32 v25, v28, v29, vcc_lo
	v_bfe_u32 v28, v12, 16, 1
	v_or_b32_e32 v29, 0x400000, v12
	v_cmp_u_f32_e32 vcc_lo, v12, v12
	v_and_b32_e32 v25, 0xffff0000, v25
	v_add3_u32 v28, v28, v12, 0x7fff
	v_add_f32_e32 v16, v25, v16
	v_cndmask_b32_e32 v12, v28, v29, vcc_lo
	v_bfe_u32 v28, v13, 16, 1
	v_or_b32_e32 v29, 0x400000, v13
	v_cmp_u_f32_e32 vcc_lo, v13, v13
	v_and_b32_e32 v12, 0xffff0000, v12
	v_add3_u32 v28, v28, v13, 0x7fff
	v_cndmask_b32_e32 v13, v28, v29, vcc_lo
	v_lshlrev_b32_e32 v28, 16, v39
	v_and_b32_e32 v13, 0xffff0000, v13
	v_mul_f32_e32 v28, v1, v28
	v_add_f32_e32 v12, v13, v12
	v_bfe_u32 v29, v28, 16, 1
	v_or_b32_e32 v30, 0x400000, v28
	v_cmp_u_f32_e32 vcc_lo, v28, v28
	v_add_f32_e32 v12, v16, v12
	v_add3_u32 v29, v29, v28, 0x7fff
	v_cndmask_b32_e32 v28, v29, v30, vcc_lo
	v_lshlrev_b32_e32 v29, 16, v36
	v_and_b32_e32 v16, 0xffff0000, v28
	v_mul_f32_e32 v29, v6, v29
	v_bfe_u32 v30, v29, 16, 1
	v_or_b32_e32 v31, 0x400000, v29
	v_cmp_u_f32_e32 vcc_lo, v29, v29
	v_add3_u32 v30, v30, v29, 0x7fff
	v_cndmask_b32_e32 v29, v30, v31, vcc_lo
	v_lshlrev_b32_e32 v30, 16, v98
	v_and_b32_e32 v13, 0xffff0000, v29
	v_mul_f32_e32 v30, v0, v30
	v_add_f32_e32 v13, v13, v16
	v_bfe_u32 v31, v30, 16, 1
	v_or_b32_e32 v32, 0x400000, v30
	v_cmp_u_f32_e32 vcc_lo, v30, v30
	v_add_f32_e32 v12, v12, v13
	v_add3_u32 v31, v31, v30, 0x7fff
	v_cndmask_b32_e32 v30, v31, v32, vcc_lo
	v_bfe_u32 v31, v21, 16, 1
	v_or_b32_e32 v32, 0x400000, v21
	v_cmp_u_f32_e32 vcc_lo, v21, v21
	v_and_b32_e32 v16, 0xffff0000, v30
	v_add3_u32 v31, v31, v21, 0x7fff
	v_cndmask_b32_e32 v21, v31, v32, vcc_lo
	v_and_b32_e32 v13, 0xffff0000, v21
	v_add_f32_e32 v13, v13, v16
	v_add_f32_e32 v12, v12, v13
	buffer_load_dword v13, off, s[0:3], s32 offset:616 ; 4-byte Folded Reload
	s_waitcnt vmcnt(0)
	v_add_f32_e32 v13, v13, v12
	v_lshlrev_b32_e32 v12, 16, v81
	buffer_store_dword v13, off, s[0:3], s32 offset:616 ; 4-byte Folded Spill
	v_mul_f32_e32 v12, v8, v12
	v_bfe_u32 v13, v12, 16, 1
	v_or_b32_e32 v16, 0x400000, v12
	v_cmp_u_f32_e32 vcc_lo, v12, v12
	v_add3_u32 v13, v13, v12, 0x7fff
	v_cndmask_b32_e32 v12, v13, v16, vcc_lo
	v_lshlrev_b32_e32 v13, 16, v82
	v_and_b32_e32 v12, 0xffff0000, v12
	v_mul_f32_e32 v13, v9, v13
	v_bfe_u32 v16, v13, 16, 1
	v_or_b32_e32 v21, 0x400000, v13
	v_cmp_u_f32_e32 vcc_lo, v13, v13
	v_add3_u32 v16, v16, v13, 0x7fff
	v_cndmask_b32_e32 v13, v16, v21, vcc_lo
	v_lshlrev_b32_e32 v16, 16, v38
	v_and_b32_e32 v13, 0xffff0000, v13
	v_mul_f32_e32 v16, v3, v16
	v_add_f32_e32 v12, v13, v12
	v_bfe_u32 v21, v16, 16, 1
	v_or_b32_e32 v25, 0x400000, v16
	v_cmp_u_f32_e32 vcc_lo, v16, v16
	v_add3_u32 v21, v21, v16, 0x7fff
	v_cndmask_b32_e32 v16, v21, v25, vcc_lo
	v_lshlrev_b32_e32 v21, 16, v27
	v_and_b32_e32 v16, 0xffff0000, v16
	v_mul_f32_e32 v21, v7, v21
	v_bfe_u32 v25, v21, 16, 1
	v_or_b32_e32 v27, 0x400000, v21
	v_cmp_u_f32_e32 vcc_lo, v21, v21
	v_add3_u32 v25, v25, v21, 0x7fff
	v_cndmask_b32_e32 v21, v25, v27, vcc_lo
	v_bfe_u32 v25, v5, 16, 1
	v_or_b32_e32 v27, 0x400000, v5
	v_cmp_u_f32_e32 vcc_lo, v5, v5
	v_and_b32_e32 v13, 0xffff0000, v21
	v_add3_u32 v25, v25, v5, 0x7fff
	v_add_f32_e32 v13, v13, v16
	v_cndmask_b32_e32 v5, v25, v27, vcc_lo
	v_bfe_u32 v25, v4, 16, 1
	v_or_b32_e32 v27, 0x400000, v4
	v_cmp_u_f32_e32 vcc_lo, v4, v4
	v_add_f32_e32 v12, v12, v13
	v_and_b32_e32 v5, 0xffff0000, v5
	v_add3_u32 v25, v25, v4, 0x7fff
	v_cndmask_b32_e32 v4, v25, v27, vcc_lo
	v_lshlrev_b32_e32 v25, 16, v83
	v_and_b32_e32 v4, 0xffff0000, v4
	v_mul_f32_e32 v25, v0, v25
	v_add_f32_e32 v4, v4, v5
	v_bfe_u32 v27, v25, 16, 1
	v_or_b32_e32 v28, 0x400000, v25
	v_cmp_u_f32_e32 vcc_lo, v25, v25
	v_add_f32_e32 v4, v12, v4
	v_add3_u32 v27, v27, v25, 0x7fff
	v_cndmask_b32_e32 v25, v27, v28, vcc_lo
	v_lshlrev_b32_e32 v27, 16, v62
	v_and_b32_e32 v12, 0xffff0000, v25
	v_mul_f32_e32 v27, v2, v27
	v_bfe_u32 v28, v27, 16, 1
	v_or_b32_e32 v29, 0x400000, v27
	v_cmp_u_f32_e32 vcc_lo, v27, v27
	v_add3_u32 v28, v28, v27, 0x7fff
	v_cndmask_b32_e32 v27, v28, v29, vcc_lo
	v_and_b32_e32 v5, 0xffff0000, v27
	v_add_f32_e32 v5, v5, v12
	v_add_f32_e32 v4, v4, v5
	buffer_load_dword v5, off, s[0:3], s32 offset:620 ; 4-byte Folded Reload
	s_waitcnt vmcnt(0)
	v_add_f32_e32 v5, v5, v4
	v_lshlrev_b32_e32 v4, 16, v126
	buffer_store_dword v5, off, s[0:3], s32 offset:620 ; 4-byte Folded Spill
	v_mul_f32_e32 v4, v8, v4
	v_bfe_u32 v5, v4, 16, 1
	v_or_b32_e32 v12, 0x400000, v4
	v_cmp_u_f32_e32 vcc_lo, v4, v4
	v_add3_u32 v5, v5, v4, 0x7fff
	v_cndmask_b32_e32 v4, v5, v12, vcc_lo
	v_lshlrev_b32_e32 v5, 16, v127
	v_and_b32_e32 v4, 0xffff0000, v4
	v_mul_f32_e32 v5, v9, v5
	v_bfe_u32 v12, v5, 16, 1
	v_or_b32_e32 v13, 0x400000, v5
	v_cmp_u_f32_e32 vcc_lo, v5, v5
	v_add3_u32 v12, v12, v5, 0x7fff
	v_cndmask_b32_e32 v5, v12, v13, vcc_lo
	v_lshlrev_b32_e32 v12, 16, v123
	v_and_b32_e32 v5, 0xffff0000, v5
	v_mul_f32_e32 v12, v3, v12
	v_add_f32_e32 v4, v5, v4
	v_bfe_u32 v13, v12, 16, 1
	v_or_b32_e32 v16, 0x400000, v12
	v_cmp_u_f32_e32 vcc_lo, v12, v12
	v_add3_u32 v13, v13, v12, 0x7fff
	v_cndmask_b32_e32 v12, v13, v16, vcc_lo
	v_lshlrev_b32_e32 v13, 16, v124
	v_and_b32_e32 v12, 0xffff0000, v12
	v_mul_f32_e32 v13, v7, v13
	v_bfe_u32 v16, v13, 16, 1
	v_or_b32_e32 v21, 0x400000, v13
	v_cmp_u_f32_e32 vcc_lo, v13, v13
	v_add3_u32 v16, v16, v13, 0x7fff
	v_cndmask_b32_e32 v13, v16, v21, vcc_lo
	v_lshlrev_b32_e32 v16, 16, v60
	v_and_b32_e32 v5, 0xffff0000, v13
	v_mul_f32_e32 v16, v1, v16
	v_add_f32_e32 v5, v5, v12
	v_bfe_u32 v21, v16, 16, 1
	v_or_b32_e32 v25, 0x400000, v16
	v_cmp_u_f32_e32 vcc_lo, v16, v16
	v_add_f32_e32 v4, v4, v5
	v_add3_u32 v21, v21, v16, 0x7fff
	v_cndmask_b32_e32 v16, v21, v25, vcc_lo
	v_lshlrev_b32_e32 v21, 16, v122
	v_and_b32_e32 v12, 0xffff0000, v16
	v_mul_f32_e32 v21, v6, v21
	v_bfe_u32 v25, v21, 16, 1
	v_or_b32_e32 v27, 0x400000, v21
	v_cmp_u_f32_e32 vcc_lo, v21, v21
	v_add3_u32 v25, v25, v21, 0x7fff
	v_cndmask_b32_e32 v21, v25, v27, vcc_lo
	v_bfe_u32 v25, v22, 16, 1
	v_or_b32_e32 v27, 0x400000, v22
	v_cmp_u_f32_e32 vcc_lo, v22, v22
	v_and_b32_e32 v5, 0xffff0000, v21
	v_add3_u32 v25, v25, v22, 0x7fff
	v_add_f32_e32 v5, v5, v12
	v_cndmask_b32_e32 v22, v25, v27, vcc_lo
	v_lshlrev_b32_e32 v25, 16, v125
	v_add_f32_e32 v4, v4, v5
	v_and_b32_e32 v12, 0xffff0000, v22
	v_mul_f32_e32 v25, v2, v25
	v_bfe_u32 v27, v25, 16, 1
	v_or_b32_e32 v28, 0x400000, v25
	v_cmp_u_f32_e32 vcc_lo, v25, v25
	v_add3_u32 v27, v27, v25, 0x7fff
	v_cndmask_b32_e32 v25, v27, v28, vcc_lo
	v_and_b32_e32 v5, 0xffff0000, v25
	v_add_f32_e32 v5, v5, v12
	v_add_f32_e32 v4, v4, v5
	buffer_load_dword v5, off, s[0:3], s32 offset:624 ; 4-byte Folded Reload
	s_waitcnt vmcnt(0)
	v_add_f32_e32 v5, v5, v4
	v_lshlrev_b32_e32 v4, 16, v120
	buffer_store_dword v5, off, s[0:3], s32 offset:624 ; 4-byte Folded Spill
	v_mul_f32_e32 v4, v8, v4
	v_bfe_u32 v5, v4, 16, 1
	v_or_b32_e32 v12, 0x400000, v4
	v_cmp_u_f32_e32 vcc_lo, v4, v4
	v_add3_u32 v5, v5, v4, 0x7fff
	v_cndmask_b32_e32 v4, v5, v12, vcc_lo
	v_lshlrev_b32_e32 v5, 16, v111
	v_and_b32_e32 v4, 0xffff0000, v4
	v_mul_f32_e32 v5, v9, v5
	v_bfe_u32 v12, v5, 16, 1
	v_or_b32_e32 v13, 0x400000, v5
	v_cmp_u_f32_e32 vcc_lo, v5, v5
	v_add3_u32 v12, v12, v5, 0x7fff
	v_cndmask_b32_e32 v5, v12, v13, vcc_lo
	v_lshlrev_b32_e32 v12, 16, v92
	v_and_b32_e32 v5, 0xffff0000, v5
	v_mul_f32_e32 v12, v3, v12
	v_add_f32_e32 v4, v5, v4
	v_bfe_u32 v13, v12, 16, 1
	v_or_b32_e32 v16, 0x400000, v12
	v_cmp_u_f32_e32 vcc_lo, v12, v12
	v_add3_u32 v13, v13, v12, 0x7fff
	v_cndmask_b32_e32 v12, v13, v16, vcc_lo
	v_lshlrev_b32_e32 v13, 16, v95
	v_and_b32_e32 v12, 0xffff0000, v12
	v_mul_f32_e32 v13, v7, v13
	v_bfe_u32 v16, v13, 16, 1
	v_or_b32_e32 v21, 0x400000, v13
	v_cmp_u_f32_e32 vcc_lo, v13, v13
	v_add3_u32 v16, v16, v13, 0x7fff
	v_cndmask_b32_e32 v13, v16, v21, vcc_lo
	v_lshlrev_b32_e32 v16, 16, v23
	v_and_b32_e32 v5, 0xffff0000, v13
	v_mul_f32_e32 v16, v1, v16
	v_add_f32_e32 v5, v5, v12
	v_bfe_u32 v21, v16, 16, 1
	v_or_b32_e32 v22, 0x400000, v16
	v_cmp_u_f32_e32 vcc_lo, v16, v16
	v_add_f32_e32 v4, v4, v5
	v_add3_u32 v21, v21, v16, 0x7fff
	v_cndmask_b32_e32 v16, v21, v22, vcc_lo
	v_lshlrev_b32_e32 v21, 16, v24
	v_and_b32_e32 v12, 0xffff0000, v16
	v_mul_f32_e32 v21, v6, v21
	v_bfe_u32 v22, v21, 16, 1
	v_or_b32_e32 v23, 0x400000, v21
	v_cmp_u_f32_e32 vcc_lo, v21, v21
	v_add3_u32 v22, v22, v21, 0x7fff
	v_cndmask_b32_e32 v21, v22, v23, vcc_lo
	v_lshlrev_b32_e32 v22, 16, v121
	v_and_b32_e32 v5, 0xffff0000, v21
	v_mul_f32_e32 v22, v0, v22
	v_add_f32_e32 v5, v5, v12
	v_bfe_u32 v23, v22, 16, 1
	v_or_b32_e32 v24, 0x400000, v22
	v_cmp_u_f32_e32 vcc_lo, v22, v22
	v_add_f32_e32 v4, v4, v5
	v_add3_u32 v23, v23, v22, 0x7fff
	v_cndmask_b32_e32 v22, v23, v24, vcc_lo
	v_lshlrev_b32_e32 v23, 16, v109
	v_and_b32_e32 v12, 0xffff0000, v22
	v_mul_f32_e32 v23, v2, v23
	v_bfe_u32 v24, v23, 16, 1
	v_or_b32_e32 v25, 0x400000, v23
	v_cmp_u_f32_e32 vcc_lo, v23, v23
	v_add3_u32 v24, v24, v23, 0x7fff
	v_cndmask_b32_e32 v23, v24, v25, vcc_lo
	v_and_b32_e32 v5, 0xffff0000, v23
	v_add_f32_e32 v5, v5, v12
	v_add_f32_e32 v4, v4, v5
	buffer_load_dword v5, off, s[0:3], s32 offset:628 ; 4-byte Folded Reload
	s_waitcnt vmcnt(0)
	v_add_f32_e32 v5, v5, v4
	v_lshlrev_b32_e32 v4, 16, v88
	buffer_store_dword v5, off, s[0:3], s32 offset:628 ; 4-byte Folded Spill
	v_mul_f32_e32 v4, v8, v4
	v_bfe_u32 v5, v4, 16, 1
	v_or_b32_e32 v12, 0x400000, v4
	v_cmp_u_f32_e32 vcc_lo, v4, v4
	v_add3_u32 v5, v5, v4, 0x7fff
	v_cndmask_b32_e32 v4, v5, v12, vcc_lo
	v_lshlrev_b32_e32 v5, 16, v90
	v_and_b32_e32 v4, 0xffff0000, v4
	v_mul_f32_e32 v5, v9, v5
	v_bfe_u32 v12, v5, 16, 1
	v_or_b32_e32 v13, 0x400000, v5
	v_cmp_u_f32_e32 vcc_lo, v5, v5
	v_add3_u32 v12, v12, v5, 0x7fff
	v_cndmask_b32_e32 v5, v12, v13, vcc_lo
	v_lshlrev_b32_e32 v12, 16, v77
	v_and_b32_e32 v5, 0xffff0000, v5
	v_mul_f32_e32 v12, v3, v12
	v_add_f32_e32 v4, v5, v4
	v_bfe_u32 v13, v12, 16, 1
	v_or_b32_e32 v16, 0x400000, v12
	v_cmp_u_f32_e32 vcc_lo, v12, v12
	v_add3_u32 v13, v13, v12, 0x7fff
	v_cndmask_b32_e32 v12, v13, v16, vcc_lo
	v_lshlrev_b32_e32 v13, 16, v78
	v_and_b32_e32 v12, 0xffff0000, v12
	v_mul_f32_e32 v13, v7, v13
	v_bfe_u32 v16, v13, 16, 1
	v_or_b32_e32 v21, 0x400000, v13
	v_cmp_u_f32_e32 vcc_lo, v13, v13
	v_add3_u32 v16, v16, v13, 0x7fff
	v_cndmask_b32_e32 v13, v16, v21, vcc_lo
	v_lshlrev_b32_e32 v16, 16, v75
	v_and_b32_e32 v5, 0xffff0000, v13
	v_mul_f32_e32 v16, v1, v16
	v_add_f32_e32 v5, v5, v12
	v_bfe_u32 v21, v16, 16, 1
	v_or_b32_e32 v22, 0x400000, v16
	v_cmp_u_f32_e32 vcc_lo, v16, v16
	v_add_f32_e32 v4, v4, v5
	v_add3_u32 v21, v21, v16, 0x7fff
	v_cndmask_b32_e32 v16, v21, v22, vcc_lo
	v_lshlrev_b32_e32 v21, 16, v76
	v_and_b32_e32 v12, 0xffff0000, v16
	v_mul_f32_e32 v21, v6, v21
	v_bfe_u32 v22, v21, 16, 1
	v_or_b32_e32 v23, 0x400000, v21
	v_cmp_u_f32_e32 vcc_lo, v21, v21
	v_add3_u32 v22, v22, v21, 0x7fff
	v_cndmask_b32_e32 v21, v22, v23, vcc_lo
	v_lshlrev_b32_e32 v22, 16, v91
	v_and_b32_e32 v5, 0xffff0000, v21
	v_mul_f32_e32 v22, v0, v22
	v_add_f32_e32 v5, v5, v12
	v_bfe_u32 v23, v22, 16, 1
	v_or_b32_e32 v24, 0x400000, v22
	v_cmp_u_f32_e32 vcc_lo, v22, v22
	v_add_f32_e32 v4, v4, v5
	v_add3_u32 v23, v23, v22, 0x7fff
	v_cndmask_b32_e32 v22, v23, v24, vcc_lo
	v_lshlrev_b32_e32 v23, 16, v79
	v_and_b32_e32 v12, 0xffff0000, v22
	v_mul_f32_e32 v23, v2, v23
	v_bfe_u32 v24, v23, 16, 1
	v_or_b32_e32 v25, 0x400000, v23
	v_cmp_u_f32_e32 vcc_lo, v23, v23
	v_add3_u32 v24, v24, v23, 0x7fff
	v_cndmask_b32_e32 v23, v24, v25, vcc_lo
	v_and_b32_e32 v5, 0xffff0000, v23
	v_add_f32_e32 v5, v5, v12
	v_add_f32_e32 v4, v4, v5
	buffer_load_dword v5, off, s[0:3], s32 offset:632 ; 4-byte Folded Reload
	s_waitcnt vmcnt(0)
	v_add_f32_e32 v5, v5, v4
	v_lshlrev_b32_e32 v4, 16, v37
	buffer_store_dword v5, off, s[0:3], s32 offset:632 ; 4-byte Folded Spill
	v_mul_f32_e32 v4, v8, v4
	v_bfe_u32 v5, v4, 16, 1
	v_or_b32_e32 v12, 0x400000, v4
	v_cmp_u_f32_e32 vcc_lo, v4, v4
	v_add3_u32 v5, v5, v4, 0x7fff
	v_cndmask_b32_e32 v4, v5, v12, vcc_lo
	v_lshlrev_b32_e32 v5, 16, v108
	v_and_b32_e32 v4, 0xffff0000, v4
	v_mul_f32_e32 v5, v9, v5
	v_bfe_u32 v12, v5, 16, 1
	v_or_b32_e32 v13, 0x400000, v5
	v_cmp_u_f32_e32 vcc_lo, v5, v5
	v_add3_u32 v12, v12, v5, 0x7fff
	v_cndmask_b32_e32 v5, v12, v13, vcc_lo
	v_lshlrev_b32_e32 v12, 16, v61
	v_and_b32_e32 v5, 0xffff0000, v5
	v_mul_f32_e32 v12, v3, v12
	v_add_f32_e32 v4, v5, v4
	v_bfe_u32 v13, v12, 16, 1
	v_or_b32_e32 v16, 0x400000, v12
	v_cmp_u_f32_e32 vcc_lo, v12, v12
	v_add3_u32 v13, v13, v12, 0x7fff
	v_cndmask_b32_e32 v12, v13, v16, vcc_lo
	v_lshlrev_b32_e32 v13, 16, v72
	v_and_b32_e32 v12, 0xffff0000, v12
	v_mul_f32_e32 v13, v7, v13
	v_bfe_u32 v16, v13, 16, 1
	v_or_b32_e32 v21, 0x400000, v13
	v_cmp_u_f32_e32 vcc_lo, v13, v13
	v_add3_u32 v16, v16, v13, 0x7fff
	v_cndmask_b32_e32 v13, v16, v21, vcc_lo
	v_lshlrev_b32_e32 v16, 16, v48
	v_and_b32_e32 v5, 0xffff0000, v13
	v_mul_f32_e32 v16, v1, v16
	v_add_f32_e32 v5, v5, v12
	v_bfe_u32 v21, v16, 16, 1
	v_or_b32_e32 v22, 0x400000, v16
	v_cmp_u_f32_e32 vcc_lo, v16, v16
	v_add_f32_e32 v4, v4, v5
	v_add3_u32 v21, v21, v16, 0x7fff
	v_cndmask_b32_e32 v16, v21, v22, vcc_lo
	v_lshlrev_b32_e32 v21, 16, v59
	v_and_b32_e32 v12, 0xffff0000, v16
	v_mul_f32_e32 v21, v6, v21
	v_bfe_u32 v22, v21, 16, 1
	v_or_b32_e32 v23, 0x400000, v21
	v_cmp_u_f32_e32 vcc_lo, v21, v21
	v_add3_u32 v22, v22, v21, 0x7fff
	v_cndmask_b32_e32 v21, v22, v23, vcc_lo
	v_lshlrev_b32_e32 v22, 16, v74
	v_and_b32_e32 v5, 0xffff0000, v21
	v_mul_f32_e32 v22, v0, v22
	v_add_f32_e32 v5, v5, v12
	v_bfe_u32 v23, v22, 16, 1
	v_or_b32_e32 v24, 0x400000, v22
	v_cmp_u_f32_e32 vcc_lo, v22, v22
	v_add_f32_e32 v4, v4, v5
	v_add3_u32 v23, v23, v22, 0x7fff
	v_cndmask_b32_e32 v22, v23, v24, vcc_lo
	v_lshlrev_b32_e32 v23, 16, v63
	v_and_b32_e32 v12, 0xffff0000, v22
	v_mul_f32_e32 v23, v2, v23
	v_bfe_u32 v24, v23, 16, 1
	v_or_b32_e32 v25, 0x400000, v23
	v_cmp_u_f32_e32 vcc_lo, v23, v23
	v_add3_u32 v24, v24, v23, 0x7fff
	v_cndmask_b32_e32 v23, v24, v25, vcc_lo
	v_and_b32_e32 v5, 0xffff0000, v23
	v_add_f32_e32 v5, v5, v12
	v_add_f32_e32 v4, v4, v5
	buffer_load_dword v5, off, s[0:3], s32 offset:636 ; 4-byte Folded Reload
	s_waitcnt vmcnt(0)
	v_add_f32_e32 v5, v5, v4
	buffer_load_dword v4, off, s[0:3], s32 offset:576 ; 4-byte Folded Reload
	buffer_store_dword v5, off, s[0:3], s32 offset:636 ; 4-byte Folded Spill
	s_waitcnt vmcnt(0)
	v_lshlrev_b32_e32 v4, 16, v4
	v_mul_f32_e32 v4, v8, v4
	v_bfe_u32 v5, v4, 16, 1
	v_or_b32_e32 v12, 0x400000, v4
	v_cmp_u_f32_e32 vcc_lo, v4, v4
	v_add3_u32 v5, v5, v4, 0x7fff
	v_cndmask_b32_e32 v4, v5, v12, vcc_lo
	buffer_load_dword v5, off, s[0:3], s32 offset:580 ; 4-byte Folded Reload
	v_and_b32_e32 v4, 0xffff0000, v4
	s_waitcnt vmcnt(0)
	v_lshlrev_b32_e32 v5, 16, v5
	v_mul_f32_e32 v5, v9, v5
	v_bfe_u32 v12, v5, 16, 1
	v_or_b32_e32 v13, 0x400000, v5
	v_cmp_u_f32_e32 vcc_lo, v5, v5
	v_add3_u32 v12, v12, v5, 0x7fff
	v_cndmask_b32_e32 v5, v12, v13, vcc_lo
	buffer_load_dword v12, off, s[0:3], s32 offset:564 ; 4-byte Folded Reload
	v_and_b32_e32 v5, 0xffff0000, v5
	v_add_f32_e32 v4, v5, v4
	s_waitcnt vmcnt(0)
	v_lshlrev_b32_e32 v12, 16, v12
	v_mul_f32_e32 v12, v3, v12
	v_bfe_u32 v13, v12, 16, 1
	v_or_b32_e32 v16, 0x400000, v12
	v_cmp_u_f32_e32 vcc_lo, v12, v12
	v_add3_u32 v13, v13, v12, 0x7fff
	v_cndmask_b32_e32 v12, v13, v16, vcc_lo
	buffer_load_dword v13, off, s[0:3], s32 offset:568 ; 4-byte Folded Reload
	v_and_b32_e32 v12, 0xffff0000, v12
	s_waitcnt vmcnt(0)
	v_lshlrev_b32_e32 v13, 16, v13
	v_mul_f32_e32 v13, v7, v13
	v_bfe_u32 v16, v13, 16, 1
	v_or_b32_e32 v21, 0x400000, v13
	v_cmp_u_f32_e32 vcc_lo, v13, v13
	v_add3_u32 v16, v16, v13, 0x7fff
	v_cndmask_b32_e32 v13, v16, v21, vcc_lo
	buffer_load_dword v16, off, s[0:3], s32 offset:556 ; 4-byte Folded Reload
	v_and_b32_e32 v5, 0xffff0000, v13
	v_add_f32_e32 v5, v5, v12
	v_add_f32_e32 v4, v4, v5
	s_waitcnt vmcnt(0)
	v_lshlrev_b32_e32 v16, 16, v16
	v_mul_f32_e32 v16, v1, v16
	v_bfe_u32 v21, v16, 16, 1
	v_or_b32_e32 v22, 0x400000, v16
	v_cmp_u_f32_e32 vcc_lo, v16, v16
	v_add3_u32 v21, v21, v16, 0x7fff
	v_cndmask_b32_e32 v16, v21, v22, vcc_lo
	buffer_load_dword v21, off, s[0:3], s32 offset:560 ; 4-byte Folded Reload
	v_and_b32_e32 v12, 0xffff0000, v16
	s_waitcnt vmcnt(0)
	v_lshlrev_b32_e32 v21, 16, v21
	v_mul_f32_e32 v21, v6, v21
	v_bfe_u32 v22, v21, 16, 1
	v_or_b32_e32 v23, 0x400000, v21
	v_cmp_u_f32_e32 vcc_lo, v21, v21
	v_add3_u32 v22, v22, v21, 0x7fff
	v_cndmask_b32_e32 v21, v22, v23, vcc_lo
	buffer_load_dword v22, off, s[0:3], s32 offset:584 ; 4-byte Folded Reload
	v_and_b32_e32 v5, 0xffff0000, v21
	v_add_f32_e32 v5, v5, v12
	v_add_f32_e32 v4, v4, v5
	s_waitcnt vmcnt(0)
	v_lshlrev_b32_e32 v22, 16, v22
	v_mul_f32_e32 v22, v0, v22
	v_bfe_u32 v23, v22, 16, 1
	v_or_b32_e32 v24, 0x400000, v22
	v_cmp_u_f32_e32 vcc_lo, v22, v22
	v_add3_u32 v23, v23, v22, 0x7fff
	v_cndmask_b32_e32 v22, v23, v24, vcc_lo
	buffer_load_dword v23, off, s[0:3], s32 offset:572 ; 4-byte Folded Reload
	v_and_b32_e32 v12, 0xffff0000, v22
	s_waitcnt vmcnt(0)
	v_lshlrev_b32_e32 v23, 16, v23
	v_mul_f32_e32 v23, v2, v23
	v_bfe_u32 v24, v23, 16, 1
	v_or_b32_e32 v25, 0x400000, v23
	v_cmp_u_f32_e32 vcc_lo, v23, v23
	v_add3_u32 v24, v24, v23, 0x7fff
	v_cndmask_b32_e32 v23, v24, v25, vcc_lo
	v_and_b32_e32 v5, 0xffff0000, v23
	v_add_f32_e32 v5, v5, v12
	v_add_f32_e32 v4, v4, v5
	buffer_load_dword v5, off, s[0:3], s32 offset:640 ; 4-byte Folded Reload
	s_waitcnt vmcnt(0)
	v_add_f32_e32 v5, v5, v4
	buffer_load_dword v4, off, s[0:3], s32 offset:544 ; 4-byte Folded Reload
	buffer_store_dword v5, off, s[0:3], s32 offset:640 ; 4-byte Folded Spill
	s_waitcnt vmcnt(0)
	v_lshlrev_b32_e32 v4, 16, v4
	v_mul_f32_e32 v4, v8, v4
	v_bfe_u32 v5, v4, 16, 1
	v_or_b32_e32 v12, 0x400000, v4
	v_cmp_u_f32_e32 vcc_lo, v4, v4
	v_add3_u32 v5, v5, v4, 0x7fff
	v_cndmask_b32_e32 v4, v5, v12, vcc_lo
	buffer_load_dword v5, off, s[0:3], s32 offset:548 ; 4-byte Folded Reload
	v_and_b32_e32 v4, 0xffff0000, v4
	s_waitcnt vmcnt(0)
	v_lshlrev_b32_e32 v5, 16, v5
	v_mul_f32_e32 v5, v9, v5
	v_bfe_u32 v12, v5, 16, 1
	v_or_b32_e32 v13, 0x400000, v5
	v_cmp_u_f32_e32 vcc_lo, v5, v5
	v_add3_u32 v12, v12, v5, 0x7fff
	v_cndmask_b32_e32 v5, v12, v13, vcc_lo
	buffer_load_dword v12, off, s[0:3], s32 offset:532 ; 4-byte Folded Reload
	v_and_b32_e32 v5, 0xffff0000, v5
	v_add_f32_e32 v4, v5, v4
	s_waitcnt vmcnt(0)
	v_lshlrev_b32_e32 v12, 16, v12
	v_mul_f32_e32 v12, v3, v12
	v_bfe_u32 v13, v12, 16, 1
	v_or_b32_e32 v16, 0x400000, v12
	v_cmp_u_f32_e32 vcc_lo, v12, v12
	v_add3_u32 v13, v13, v12, 0x7fff
	v_cndmask_b32_e32 v12, v13, v16, vcc_lo
	buffer_load_dword v13, off, s[0:3], s32 offset:536 ; 4-byte Folded Reload
	v_and_b32_e32 v12, 0xffff0000, v12
	s_waitcnt vmcnt(0)
	v_lshlrev_b32_e32 v13, 16, v13
	v_mul_f32_e32 v13, v7, v13
	v_bfe_u32 v16, v13, 16, 1
	v_or_b32_e32 v21, 0x400000, v13
	v_cmp_u_f32_e32 vcc_lo, v13, v13
	v_add3_u32 v16, v16, v13, 0x7fff
	v_cndmask_b32_e32 v13, v16, v21, vcc_lo
	buffer_load_dword v16, off, s[0:3], s32 offset:524 ; 4-byte Folded Reload
	v_and_b32_e32 v5, 0xffff0000, v13
	v_add_f32_e32 v5, v5, v12
	v_add_f32_e32 v4, v4, v5
	s_waitcnt vmcnt(0)
	v_lshlrev_b32_e32 v16, 16, v16
	v_mul_f32_e32 v16, v1, v16
	v_bfe_u32 v21, v16, 16, 1
	v_or_b32_e32 v22, 0x400000, v16
	v_cmp_u_f32_e32 vcc_lo, v16, v16
	v_add3_u32 v21, v21, v16, 0x7fff
	v_cndmask_b32_e32 v16, v21, v22, vcc_lo
	buffer_load_dword v21, off, s[0:3], s32 offset:528 ; 4-byte Folded Reload
	v_and_b32_e32 v12, 0xffff0000, v16
	s_waitcnt vmcnt(0)
	v_lshlrev_b32_e32 v21, 16, v21
	v_mul_f32_e32 v21, v6, v21
	v_bfe_u32 v22, v21, 16, 1
	v_or_b32_e32 v23, 0x400000, v21
	v_cmp_u_f32_e32 vcc_lo, v21, v21
	v_add3_u32 v22, v22, v21, 0x7fff
	v_cndmask_b32_e32 v21, v22, v23, vcc_lo
	buffer_load_dword v22, off, s[0:3], s32 offset:552 ; 4-byte Folded Reload
	v_and_b32_e32 v5, 0xffff0000, v21
	v_add_f32_e32 v5, v5, v12
	v_add_f32_e32 v4, v4, v5
	s_waitcnt vmcnt(0)
	v_lshlrev_b32_e32 v22, 16, v22
	v_mul_f32_e32 v22, v0, v22
	v_bfe_u32 v23, v22, 16, 1
	v_or_b32_e32 v24, 0x400000, v22
	v_cmp_u_f32_e32 vcc_lo, v22, v22
	v_add3_u32 v23, v23, v22, 0x7fff
	v_cndmask_b32_e32 v22, v23, v24, vcc_lo
	buffer_load_dword v23, off, s[0:3], s32 offset:540 ; 4-byte Folded Reload
	v_and_b32_e32 v12, 0xffff0000, v22
	s_waitcnt vmcnt(0)
	v_lshlrev_b32_e32 v23, 16, v23
	v_mul_f32_e32 v23, v2, v23
	v_bfe_u32 v24, v23, 16, 1
	v_or_b32_e32 v25, 0x400000, v23
	v_cmp_u_f32_e32 vcc_lo, v23, v23
	v_add3_u32 v24, v24, v23, 0x7fff
	v_cndmask_b32_e32 v23, v24, v25, vcc_lo
	v_and_b32_e32 v5, 0xffff0000, v23
	v_add_f32_e32 v5, v5, v12
	v_add_f32_e32 v4, v4, v5
	buffer_load_dword v5, off, s[0:3], s32 offset:644 ; 4-byte Folded Reload
	s_waitcnt vmcnt(0)
	v_add_f32_e32 v5, v5, v4
	buffer_load_dword v4, off, s[0:3], s32 offset:508 ; 4-byte Folded Reload
	buffer_store_dword v5, off, s[0:3], s32 offset:644 ; 4-byte Folded Spill
	s_waitcnt vmcnt(0)
	v_lshlrev_b32_e32 v4, 16, v4
	v_mul_f32_e32 v4, v8, v4
	v_bfe_u32 v5, v4, 16, 1
	v_or_b32_e32 v12, 0x400000, v4
	v_cmp_u_f32_e32 vcc_lo, v4, v4
	v_add3_u32 v5, v5, v4, 0x7fff
	v_cndmask_b32_e32 v4, v5, v12, vcc_lo
	buffer_load_dword v5, off, s[0:3], s32 offset:512 ; 4-byte Folded Reload
	v_and_b32_e32 v4, 0xffff0000, v4
	s_waitcnt vmcnt(0)
	v_lshlrev_b32_e32 v5, 16, v5
	v_mul_f32_e32 v5, v9, v5
	v_bfe_u32 v12, v5, 16, 1
	v_or_b32_e32 v13, 0x400000, v5
	v_cmp_u_f32_e32 vcc_lo, v5, v5
	v_add3_u32 v12, v12, v5, 0x7fff
	v_cndmask_b32_e32 v5, v12, v13, vcc_lo
	buffer_load_dword v12, off, s[0:3], s32 offset:496 ; 4-byte Folded Reload
	v_and_b32_e32 v5, 0xffff0000, v5
	v_add_f32_e32 v4, v5, v4
	s_waitcnt vmcnt(0)
	v_lshlrev_b32_e32 v12, 16, v12
	v_mul_f32_e32 v12, v3, v12
	v_bfe_u32 v13, v12, 16, 1
	v_or_b32_e32 v16, 0x400000, v12
	v_cmp_u_f32_e32 vcc_lo, v12, v12
	v_add3_u32 v13, v13, v12, 0x7fff
	v_cndmask_b32_e32 v12, v13, v16, vcc_lo
	buffer_load_dword v13, off, s[0:3], s32 offset:500 ; 4-byte Folded Reload
	v_and_b32_e32 v12, 0xffff0000, v12
	s_waitcnt vmcnt(0)
	v_lshlrev_b32_e32 v13, 16, v13
	v_mul_f32_e32 v13, v7, v13
	v_bfe_u32 v16, v13, 16, 1
	v_or_b32_e32 v21, 0x400000, v13
	v_cmp_u_f32_e32 vcc_lo, v13, v13
	v_add3_u32 v16, v16, v13, 0x7fff
	v_cndmask_b32_e32 v13, v16, v21, vcc_lo
	buffer_load_dword v16, off, s[0:3], s32 offset:488 ; 4-byte Folded Reload
	v_and_b32_e32 v5, 0xffff0000, v13
	v_add_f32_e32 v5, v5, v12
	v_add_f32_e32 v4, v4, v5
	s_waitcnt vmcnt(0)
	v_lshlrev_b32_e32 v16, 16, v16
	v_mul_f32_e32 v16, v1, v16
	v_bfe_u32 v21, v16, 16, 1
	v_or_b32_e32 v22, 0x400000, v16
	v_cmp_u_f32_e32 vcc_lo, v16, v16
	v_add3_u32 v21, v21, v16, 0x7fff
	v_cndmask_b32_e32 v16, v21, v22, vcc_lo
	buffer_load_dword v21, off, s[0:3], s32 offset:492 ; 4-byte Folded Reload
	v_and_b32_e32 v12, 0xffff0000, v16
	s_waitcnt vmcnt(0)
	v_lshlrev_b32_e32 v21, 16, v21
	v_mul_f32_e32 v21, v6, v21
	v_bfe_u32 v22, v21, 16, 1
	v_or_b32_e32 v23, 0x400000, v21
	v_cmp_u_f32_e32 vcc_lo, v21, v21
	v_add3_u32 v22, v22, v21, 0x7fff
	v_cndmask_b32_e32 v21, v22, v23, vcc_lo
	buffer_load_dword v22, off, s[0:3], s32 offset:520 ; 4-byte Folded Reload
	v_and_b32_e32 v5, 0xffff0000, v21
	v_add_f32_e32 v5, v5, v12
	v_add_f32_e32 v4, v4, v5
	s_waitcnt vmcnt(0)
	v_lshlrev_b32_e32 v22, 16, v22
	v_mul_f32_e32 v22, v0, v22
	v_bfe_u32 v23, v22, 16, 1
	v_or_b32_e32 v24, 0x400000, v22
	v_cmp_u_f32_e32 vcc_lo, v22, v22
	v_add3_u32 v23, v23, v22, 0x7fff
	v_cndmask_b32_e32 v22, v23, v24, vcc_lo
	buffer_load_dword v23, off, s[0:3], s32 offset:504 ; 4-byte Folded Reload
	v_and_b32_e32 v12, 0xffff0000, v22
	s_waitcnt vmcnt(0)
	v_lshlrev_b32_e32 v23, 16, v23
	v_mul_f32_e32 v23, v2, v23
	v_bfe_u32 v24, v23, 16, 1
	v_or_b32_e32 v25, 0x400000, v23
	v_cmp_u_f32_e32 vcc_lo, v23, v23
	v_add3_u32 v24, v24, v23, 0x7fff
	v_cndmask_b32_e32 v23, v24, v25, vcc_lo
	v_and_b32_e32 v5, 0xffff0000, v23
	v_add_f32_e32 v5, v5, v12
	v_add_f32_e32 v4, v4, v5
	buffer_load_dword v5, off, s[0:3], s32 offset:648 ; 4-byte Folded Reload
	s_waitcnt vmcnt(0)
	v_add_f32_e32 v5, v5, v4
	buffer_load_dword v4, off, s[0:3], s32 offset:480 ; 4-byte Folded Reload
	buffer_store_dword v5, off, s[0:3], s32 offset:648 ; 4-byte Folded Spill
	s_waitcnt vmcnt(0)
	v_lshlrev_b32_e32 v4, 16, v4
	v_mul_f32_e32 v4, v8, v4
	v_bfe_u32 v5, v4, 16, 1
	v_or_b32_e32 v12, 0x400000, v4
	v_cmp_u_f32_e32 vcc_lo, v4, v4
	v_add3_u32 v5, v5, v4, 0x7fff
	v_cndmask_b32_e32 v4, v5, v12, vcc_lo
	buffer_load_dword v5, off, s[0:3], s32 offset:484 ; 4-byte Folded Reload
	v_and_b32_e32 v4, 0xffff0000, v4
	s_waitcnt vmcnt(0)
	v_lshlrev_b32_e32 v5, 16, v5
	v_mul_f32_e32 v5, v9, v5
	v_bfe_u32 v12, v5, 16, 1
	v_or_b32_e32 v13, 0x400000, v5
	v_cmp_u_f32_e32 vcc_lo, v5, v5
	v_add3_u32 v12, v12, v5, 0x7fff
	v_cndmask_b32_e32 v5, v12, v13, vcc_lo
	buffer_load_dword v12, off, s[0:3], s32 offset:472 ; 4-byte Folded Reload
	v_and_b32_e32 v5, 0xffff0000, v5
	v_add_f32_e32 v4, v5, v4
	s_waitcnt vmcnt(0)
	v_lshlrev_b32_e32 v12, 16, v12
	v_mul_f32_e32 v12, v3, v12
	v_bfe_u32 v13, v12, 16, 1
	v_or_b32_e32 v16, 0x400000, v12
	v_cmp_u_f32_e32 vcc_lo, v12, v12
	v_add3_u32 v13, v13, v12, 0x7fff
	v_cndmask_b32_e32 v12, v13, v16, vcc_lo
	buffer_load_dword v13, off, s[0:3], s32 offset:468 ; 4-byte Folded Reload
	v_and_b32_e32 v12, 0xffff0000, v12
	s_waitcnt vmcnt(0)
	v_lshlrev_b32_e32 v13, 16, v13
	v_mul_f32_e32 v13, v7, v13
	v_bfe_u32 v16, v13, 16, 1
	v_or_b32_e32 v21, 0x400000, v13
	v_cmp_u_f32_e32 vcc_lo, v13, v13
	v_add3_u32 v16, v16, v13, 0x7fff
	v_cndmask_b32_e32 v13, v16, v21, vcc_lo
	buffer_load_dword v16, off, s[0:3], s32 offset:460 ; 4-byte Folded Reload
	v_and_b32_e32 v5, 0xffff0000, v13
	v_add_f32_e32 v5, v5, v12
	v_add_f32_e32 v4, v4, v5
	s_waitcnt vmcnt(0)
	v_lshlrev_b32_e32 v16, 16, v16
	v_mul_f32_e32 v16, v1, v16
	v_bfe_u32 v21, v16, 16, 1
	v_or_b32_e32 v22, 0x400000, v16
	v_cmp_u_f32_e32 vcc_lo, v16, v16
	v_add3_u32 v21, v21, v16, 0x7fff
	v_cndmask_b32_e32 v16, v21, v22, vcc_lo
	buffer_load_dword v21, off, s[0:3], s32 offset:456 ; 4-byte Folded Reload
	v_and_b32_e32 v12, 0xffff0000, v16
	s_waitcnt vmcnt(0)
	v_lshlrev_b32_e32 v21, 16, v21
	v_mul_f32_e32 v21, v6, v21
	v_bfe_u32 v22, v21, 16, 1
	v_or_b32_e32 v23, 0x400000, v21
	v_cmp_u_f32_e32 vcc_lo, v21, v21
	v_add3_u32 v22, v22, v21, 0x7fff
	v_cndmask_b32_e32 v21, v22, v23, vcc_lo
	buffer_load_dword v22, off, s[0:3], s32 offset:476 ; 4-byte Folded Reload
	v_and_b32_e32 v5, 0xffff0000, v21
	v_add_f32_e32 v5, v5, v12
	v_add_f32_e32 v4, v4, v5
	s_waitcnt vmcnt(0)
	v_lshlrev_b32_e32 v22, 16, v22
	v_mul_f32_e32 v22, v0, v22
	v_bfe_u32 v23, v22, 16, 1
	v_or_b32_e32 v24, 0x400000, v22
	v_cmp_u_f32_e32 vcc_lo, v22, v22
	v_add3_u32 v23, v23, v22, 0x7fff
	v_cndmask_b32_e32 v22, v23, v24, vcc_lo
	buffer_load_dword v23, off, s[0:3], s32 offset:464 ; 4-byte Folded Reload
	v_and_b32_e32 v12, 0xffff0000, v22
	s_waitcnt vmcnt(0)
	v_lshlrev_b32_e32 v23, 16, v23
	v_mul_f32_e32 v23, v2, v23
	v_bfe_u32 v24, v23, 16, 1
	v_or_b32_e32 v25, 0x400000, v23
	v_cmp_u_f32_e32 vcc_lo, v23, v23
	v_add3_u32 v24, v24, v23, 0x7fff
	v_cndmask_b32_e32 v23, v24, v25, vcc_lo
	v_and_b32_e32 v5, 0xffff0000, v23
	v_add_f32_e32 v5, v5, v12
	v_add_f32_e32 v4, v4, v5
	buffer_load_dword v5, off, s[0:3], s32 offset:652 ; 4-byte Folded Reload
	s_waitcnt vmcnt(0)
	v_add_f32_e32 v5, v5, v4
	buffer_load_dword v4, off, s[0:3], s32 offset:452 ; 4-byte Folded Reload
	buffer_store_dword v5, off, s[0:3], s32 offset:652 ; 4-byte Folded Spill
	s_waitcnt vmcnt(0)
	v_lshlrev_b32_e32 v4, 16, v4
	v_mul_f32_e32 v4, v8, v4
	v_bfe_u32 v5, v4, 16, 1
	v_or_b32_e32 v12, 0x400000, v4
	v_cmp_u_f32_e32 vcc_lo, v4, v4
	v_add3_u32 v5, v5, v4, 0x7fff
	v_cndmask_b32_e32 v4, v5, v12, vcc_lo
	buffer_load_dword v5, off, s[0:3], s32 offset:448 ; 4-byte Folded Reload
	v_and_b32_e32 v4, 0xffff0000, v4
	s_waitcnt vmcnt(0)
	v_lshlrev_b32_e32 v5, 16, v5
	v_mul_f32_e32 v5, v9, v5
	v_bfe_u32 v12, v5, 16, 1
	v_or_b32_e32 v13, 0x400000, v5
	v_cmp_u_f32_e32 vcc_lo, v5, v5
	v_add3_u32 v12, v12, v5, 0x7fff
	v_cndmask_b32_e32 v5, v12, v13, vcc_lo
	buffer_load_dword v12, off, s[0:3], s32 offset:436 ; 4-byte Folded Reload
	v_and_b32_e32 v5, 0xffff0000, v5
	v_add_f32_e32 v4, v5, v4
	s_waitcnt vmcnt(0)
	v_lshlrev_b32_e32 v12, 16, v12
	v_mul_f32_e32 v12, v3, v12
	v_bfe_u32 v13, v12, 16, 1
	v_or_b32_e32 v16, 0x400000, v12
	v_cmp_u_f32_e32 vcc_lo, v12, v12
	v_add3_u32 v13, v13, v12, 0x7fff
	v_cndmask_b32_e32 v12, v13, v16, vcc_lo
	buffer_load_dword v13, off, s[0:3], s32 offset:440 ; 4-byte Folded Reload
	v_and_b32_e32 v12, 0xffff0000, v12
	s_waitcnt vmcnt(0)
	v_lshlrev_b32_e32 v13, 16, v13
	v_mul_f32_e32 v13, v7, v13
	v_bfe_u32 v16, v13, 16, 1
	v_or_b32_e32 v21, 0x400000, v13
	v_cmp_u_f32_e32 vcc_lo, v13, v13
	v_add3_u32 v16, v16, v13, 0x7fff
	v_cndmask_b32_e32 v13, v16, v21, vcc_lo
	buffer_load_dword v16, off, s[0:3], s32 offset:428 ; 4-byte Folded Reload
	v_and_b32_e32 v5, 0xffff0000, v13
	v_add_f32_e32 v5, v5, v12
	v_add_f32_e32 v4, v4, v5
	s_waitcnt vmcnt(0)
	v_lshlrev_b32_e32 v16, 16, v16
	v_mul_f32_e32 v16, v1, v16
	v_bfe_u32 v21, v16, 16, 1
	v_or_b32_e32 v22, 0x400000, v16
	v_cmp_u_f32_e32 vcc_lo, v16, v16
	v_add3_u32 v21, v21, v16, 0x7fff
	v_cndmask_b32_e32 v16, v21, v22, vcc_lo
	buffer_load_dword v21, off, s[0:3], s32 offset:424 ; 4-byte Folded Reload
	v_and_b32_e32 v12, 0xffff0000, v16
	s_waitcnt vmcnt(0)
	v_lshlrev_b32_e32 v21, 16, v21
	v_mul_f32_e32 v21, v6, v21
	v_bfe_u32 v22, v21, 16, 1
	v_or_b32_e32 v23, 0x400000, v21
	v_cmp_u_f32_e32 vcc_lo, v21, v21
	v_add3_u32 v22, v22, v21, 0x7fff
	v_cndmask_b32_e32 v21, v22, v23, vcc_lo
	buffer_load_dword v22, off, s[0:3], s32 offset:444 ; 4-byte Folded Reload
	v_and_b32_e32 v5, 0xffff0000, v21
	v_add_f32_e32 v5, v5, v12
	v_add_f32_e32 v4, v4, v5
	s_waitcnt vmcnt(0)
	v_lshlrev_b32_e32 v22, 16, v22
	v_mul_f32_e32 v22, v0, v22
	v_bfe_u32 v23, v22, 16, 1
	v_or_b32_e32 v24, 0x400000, v22
	v_cmp_u_f32_e32 vcc_lo, v22, v22
	v_add3_u32 v23, v23, v22, 0x7fff
	v_cndmask_b32_e32 v22, v23, v24, vcc_lo
	buffer_load_dword v23, off, s[0:3], s32 offset:432 ; 4-byte Folded Reload
	v_and_b32_e32 v12, 0xffff0000, v22
	s_waitcnt vmcnt(0)
	v_lshlrev_b32_e32 v23, 16, v23
	v_mul_f32_e32 v23, v2, v23
	v_bfe_u32 v24, v23, 16, 1
	v_or_b32_e32 v25, 0x400000, v23
	v_cmp_u_f32_e32 vcc_lo, v23, v23
	v_add3_u32 v24, v24, v23, 0x7fff
	v_cndmask_b32_e32 v23, v24, v25, vcc_lo
	v_and_b32_e32 v5, 0xffff0000, v23
	v_add_f32_e32 v5, v5, v12
	v_add_f32_e32 v4, v4, v5
	buffer_load_dword v5, off, s[0:3], s32 offset:656 ; 4-byte Folded Reload
	s_waitcnt vmcnt(0)
	v_add_f32_e32 v5, v5, v4
	buffer_load_dword v4, off, s[0:3], s32 offset:420 ; 4-byte Folded Reload
	buffer_store_dword v5, off, s[0:3], s32 offset:656 ; 4-byte Folded Spill
	s_waitcnt vmcnt(0)
	v_lshlrev_b32_e32 v4, 16, v4
	v_mul_f32_e32 v4, v8, v4
	v_bfe_u32 v5, v4, 16, 1
	v_or_b32_e32 v12, 0x400000, v4
	v_cmp_u_f32_e32 vcc_lo, v4, v4
	v_add3_u32 v5, v5, v4, 0x7fff
	v_cndmask_b32_e32 v4, v5, v12, vcc_lo
	buffer_load_dword v5, off, s[0:3], s32 offset:416 ; 4-byte Folded Reload
	v_and_b32_e32 v4, 0xffff0000, v4
	s_waitcnt vmcnt(0)
	v_lshlrev_b32_e32 v5, 16, v5
	v_mul_f32_e32 v5, v9, v5
	v_bfe_u32 v12, v5, 16, 1
	v_or_b32_e32 v13, 0x400000, v5
	v_cmp_u_f32_e32 vcc_lo, v5, v5
	v_add3_u32 v12, v12, v5, 0x7fff
	v_cndmask_b32_e32 v5, v12, v13, vcc_lo
	buffer_load_dword v12, off, s[0:3], s32 offset:408 ; 4-byte Folded Reload
	v_and_b32_e32 v5, 0xffff0000, v5
	v_add_f32_e32 v4, v5, v4
	s_waitcnt vmcnt(0)
	v_lshlrev_b32_e32 v12, 16, v12
	v_mul_f32_e32 v12, v3, v12
	v_bfe_u32 v13, v12, 16, 1
	v_or_b32_e32 v16, 0x400000, v12
	v_cmp_u_f32_e32 vcc_lo, v12, v12
	v_add3_u32 v13, v13, v12, 0x7fff
	v_cndmask_b32_e32 v12, v13, v16, vcc_lo
	buffer_load_dword v13, off, s[0:3], s32 offset:404 ; 4-byte Folded Reload
	v_and_b32_e32 v12, 0xffff0000, v12
	s_waitcnt vmcnt(0)
	v_lshlrev_b32_e32 v13, 16, v13
	v_mul_f32_e32 v13, v7, v13
	v_bfe_u32 v16, v13, 16, 1
	v_or_b32_e32 v21, 0x400000, v13
	v_cmp_u_f32_e32 vcc_lo, v13, v13
	v_add3_u32 v16, v16, v13, 0x7fff
	v_cndmask_b32_e32 v13, v16, v21, vcc_lo
	buffer_load_dword v16, off, s[0:3], s32 offset:396 ; 4-byte Folded Reload
	v_and_b32_e32 v5, 0xffff0000, v13
	v_add_f32_e32 v5, v5, v12
	v_add_f32_e32 v4, v4, v5
	s_waitcnt vmcnt(0)
	v_lshlrev_b32_e32 v16, 16, v16
	v_mul_f32_e32 v16, v1, v16
	v_bfe_u32 v21, v16, 16, 1
	v_or_b32_e32 v22, 0x400000, v16
	v_cmp_u_f32_e32 vcc_lo, v16, v16
	v_add3_u32 v21, v21, v16, 0x7fff
	v_cndmask_b32_e32 v16, v21, v22, vcc_lo
	buffer_load_dword v21, off, s[0:3], s32 offset:392 ; 4-byte Folded Reload
	v_and_b32_e32 v12, 0xffff0000, v16
	s_waitcnt vmcnt(0)
	v_lshlrev_b32_e32 v21, 16, v21
	v_mul_f32_e32 v21, v6, v21
	v_bfe_u32 v22, v21, 16, 1
	v_or_b32_e32 v23, 0x400000, v21
	v_cmp_u_f32_e32 vcc_lo, v21, v21
	v_add3_u32 v22, v22, v21, 0x7fff
	v_cndmask_b32_e32 v21, v22, v23, vcc_lo
	buffer_load_dword v22, off, s[0:3], s32 offset:412 ; 4-byte Folded Reload
	v_and_b32_e32 v5, 0xffff0000, v21
	v_add_f32_e32 v5, v5, v12
	v_add_f32_e32 v4, v4, v5
	s_waitcnt vmcnt(0)
	v_lshlrev_b32_e32 v22, 16, v22
	v_mul_f32_e32 v22, v0, v22
	v_bfe_u32 v23, v22, 16, 1
	v_or_b32_e32 v24, 0x400000, v22
	v_cmp_u_f32_e32 vcc_lo, v22, v22
	v_add3_u32 v23, v23, v22, 0x7fff
	v_cndmask_b32_e32 v22, v23, v24, vcc_lo
	buffer_load_dword v23, off, s[0:3], s32 offset:400 ; 4-byte Folded Reload
	v_and_b32_e32 v12, 0xffff0000, v22
	s_waitcnt vmcnt(0)
	v_lshlrev_b32_e32 v23, 16, v23
	v_mul_f32_e32 v23, v2, v23
	v_bfe_u32 v24, v23, 16, 1
	v_or_b32_e32 v25, 0x400000, v23
	v_cmp_u_f32_e32 vcc_lo, v23, v23
	v_add3_u32 v24, v24, v23, 0x7fff
	v_cndmask_b32_e32 v23, v24, v25, vcc_lo
	v_and_b32_e32 v5, 0xffff0000, v23
	v_add_f32_e32 v5, v5, v12
	v_add_f32_e32 v4, v4, v5
	buffer_load_dword v5, off, s[0:3], s32 offset:660 ; 4-byte Folded Reload
	s_waitcnt vmcnt(0)
	v_add_f32_e32 v5, v5, v4
	buffer_load_dword v4, off, s[0:3], s32 offset:388 ; 4-byte Folded Reload
	buffer_store_dword v5, off, s[0:3], s32 offset:660 ; 4-byte Folded Spill
	s_waitcnt vmcnt(0)
	v_lshlrev_b32_e32 v4, 16, v4
	v_mul_f32_e32 v4, v8, v4
	v_bfe_u32 v5, v4, 16, 1
	v_or_b32_e32 v12, 0x400000, v4
	v_cmp_u_f32_e32 vcc_lo, v4, v4
	v_add3_u32 v5, v5, v4, 0x7fff
	v_cndmask_b32_e32 v4, v5, v12, vcc_lo
	buffer_load_dword v5, off, s[0:3], s32 offset:384 ; 4-byte Folded Reload
	v_and_b32_e32 v4, 0xffff0000, v4
	s_waitcnt vmcnt(0)
	v_lshlrev_b32_e32 v5, 16, v5
	v_mul_f32_e32 v5, v9, v5
	v_bfe_u32 v12, v5, 16, 1
	v_or_b32_e32 v13, 0x400000, v5
	v_cmp_u_f32_e32 vcc_lo, v5, v5
	v_add3_u32 v12, v12, v5, 0x7fff
	v_cndmask_b32_e32 v5, v12, v13, vcc_lo
	buffer_load_dword v12, off, s[0:3], s32 offset:376 ; 4-byte Folded Reload
	v_and_b32_e32 v5, 0xffff0000, v5
	v_add_f32_e32 v4, v5, v4
	s_waitcnt vmcnt(0)
	v_lshlrev_b32_e32 v12, 16, v12
	v_mul_f32_e32 v12, v3, v12
	v_bfe_u32 v13, v12, 16, 1
	v_or_b32_e32 v16, 0x400000, v12
	v_cmp_u_f32_e32 vcc_lo, v12, v12
	v_add3_u32 v13, v13, v12, 0x7fff
	v_cndmask_b32_e32 v12, v13, v16, vcc_lo
	buffer_load_dword v13, off, s[0:3], s32 offset:380 ; 4-byte Folded Reload
	v_and_b32_e32 v12, 0xffff0000, v12
	s_waitcnt vmcnt(0)
	v_lshlrev_b32_e32 v13, 16, v13
	v_mul_f32_e32 v13, v7, v13
	v_bfe_u32 v16, v13, 16, 1
	v_or_b32_e32 v21, 0x400000, v13
	v_cmp_u_f32_e32 vcc_lo, v13, v13
	v_add3_u32 v16, v16, v13, 0x7fff
	v_cndmask_b32_e32 v13, v16, v21, vcc_lo
	buffer_load_dword v16, off, s[0:3], s32 offset:372 ; 4-byte Folded Reload
	v_and_b32_e32 v5, 0xffff0000, v13
	v_add_f32_e32 v5, v5, v12
	v_add_f32_e32 v4, v4, v5
	s_waitcnt vmcnt(0)
	v_lshlrev_b32_e32 v16, 16, v16
	v_mul_f32_e32 v16, v1, v16
	v_bfe_u32 v21, v16, 16, 1
	v_or_b32_e32 v22, 0x400000, v16
	v_cmp_u_f32_e32 vcc_lo, v16, v16
	v_add3_u32 v21, v21, v16, 0x7fff
	v_cndmask_b32_e32 v16, v21, v22, vcc_lo
	buffer_load_dword v21, off, s[0:3], s32 offset:364 ; 4-byte Folded Reload
	v_and_b32_e32 v12, 0xffff0000, v16
	s_waitcnt vmcnt(0)
	v_lshlrev_b32_e32 v21, 16, v21
	v_mul_f32_e32 v21, v6, v21
	v_bfe_u32 v22, v21, 16, 1
	v_or_b32_e32 v23, 0x400000, v21
	v_cmp_u_f32_e32 vcc_lo, v21, v21
	v_add3_u32 v22, v22, v21, 0x7fff
	v_cndmask_b32_e32 v21, v22, v23, vcc_lo
	buffer_load_dword v22, off, s[0:3], s32 offset:368 ; 4-byte Folded Reload
	v_and_b32_e32 v5, 0xffff0000, v21
	v_add_f32_e32 v5, v5, v12
	v_add_f32_e32 v4, v4, v5
	s_waitcnt vmcnt(0)
	v_lshlrev_b32_e32 v22, 16, v22
	v_mul_f32_e32 v22, v0, v22
	v_bfe_u32 v23, v22, 16, 1
	v_or_b32_e32 v24, 0x400000, v22
	v_cmp_u_f32_e32 vcc_lo, v22, v22
	v_add3_u32 v23, v23, v22, 0x7fff
	v_cndmask_b32_e32 v22, v23, v24, vcc_lo
	buffer_load_dword v23, off, s[0:3], s32 offset:360 ; 4-byte Folded Reload
	v_and_b32_e32 v12, 0xffff0000, v22
	s_waitcnt vmcnt(0)
	v_lshlrev_b32_e32 v23, 16, v23
	v_mul_f32_e32 v23, v2, v23
	v_bfe_u32 v24, v23, 16, 1
	v_or_b32_e32 v25, 0x400000, v23
	v_cmp_u_f32_e32 vcc_lo, v23, v23
	v_add3_u32 v24, v24, v23, 0x7fff
	v_cndmask_b32_e32 v23, v24, v25, vcc_lo
	v_and_b32_e32 v5, 0xffff0000, v23
	v_add_f32_e32 v5, v5, v12
	v_add_f32_e32 v4, v4, v5
	buffer_load_dword v5, off, s[0:3], s32 offset:664 ; 4-byte Folded Reload
	s_waitcnt vmcnt(0)
	v_add_f32_e32 v5, v5, v4
	buffer_load_dword v4, off, s[0:3], s32 offset:356 ; 4-byte Folded Reload
	buffer_store_dword v5, off, s[0:3], s32 offset:664 ; 4-byte Folded Spill
	s_waitcnt vmcnt(0)
	v_lshlrev_b32_e32 v4, 16, v4
	v_mul_f32_e32 v4, v8, v4
	v_bfe_u32 v5, v4, 16, 1
	v_or_b32_e32 v12, 0x400000, v4
	v_cmp_u_f32_e32 vcc_lo, v4, v4
	v_add3_u32 v5, v5, v4, 0x7fff
	v_cndmask_b32_e32 v4, v5, v12, vcc_lo
	buffer_load_dword v5, off, s[0:3], s32 offset:352 ; 4-byte Folded Reload
	v_and_b32_e32 v4, 0xffff0000, v4
	s_waitcnt vmcnt(0)
	v_lshlrev_b32_e32 v5, 16, v5
	v_mul_f32_e32 v5, v9, v5
	v_bfe_u32 v12, v5, 16, 1
	v_or_b32_e32 v13, 0x400000, v5
	v_cmp_u_f32_e32 vcc_lo, v5, v5
	v_add3_u32 v12, v12, v5, 0x7fff
	v_cndmask_b32_e32 v5, v12, v13, vcc_lo
	buffer_load_dword v12, off, s[0:3], s32 offset:344 ; 4-byte Folded Reload
	v_and_b32_e32 v5, 0xffff0000, v5
	v_add_f32_e32 v4, v5, v4
	s_waitcnt vmcnt(0)
	v_lshlrev_b32_e32 v12, 16, v12
	v_mul_f32_e32 v12, v3, v12
	v_bfe_u32 v13, v12, 16, 1
	v_or_b32_e32 v16, 0x400000, v12
	v_cmp_u_f32_e32 vcc_lo, v12, v12
	v_add3_u32 v13, v13, v12, 0x7fff
	v_cndmask_b32_e32 v12, v13, v16, vcc_lo
	buffer_load_dword v13, off, s[0:3], s32 offset:348 ; 4-byte Folded Reload
	v_and_b32_e32 v12, 0xffff0000, v12
	s_waitcnt vmcnt(0)
	v_lshlrev_b32_e32 v13, 16, v13
	v_mul_f32_e32 v13, v7, v13
	v_bfe_u32 v16, v13, 16, 1
	v_or_b32_e32 v21, 0x400000, v13
	v_cmp_u_f32_e32 vcc_lo, v13, v13
	v_add3_u32 v16, v16, v13, 0x7fff
	v_cndmask_b32_e32 v13, v16, v21, vcc_lo
	buffer_load_dword v16, off, s[0:3], s32 offset:340 ; 4-byte Folded Reload
	v_and_b32_e32 v5, 0xffff0000, v13
	v_add_f32_e32 v5, v5, v12
	v_add_f32_e32 v4, v4, v5
	s_waitcnt vmcnt(0)
	v_lshlrev_b32_e32 v16, 16, v16
	v_mul_f32_e32 v16, v1, v16
	v_bfe_u32 v21, v16, 16, 1
	v_or_b32_e32 v22, 0x400000, v16
	v_cmp_u_f32_e32 vcc_lo, v16, v16
	v_add3_u32 v21, v21, v16, 0x7fff
	v_cndmask_b32_e32 v16, v21, v22, vcc_lo
	buffer_load_dword v21, off, s[0:3], s32 offset:332 ; 4-byte Folded Reload
	v_and_b32_e32 v12, 0xffff0000, v16
	s_waitcnt vmcnt(0)
	v_lshlrev_b32_e32 v21, 16, v21
	v_mul_f32_e32 v21, v6, v21
	v_bfe_u32 v22, v21, 16, 1
	v_or_b32_e32 v23, 0x400000, v21
	v_cmp_u_f32_e32 vcc_lo, v21, v21
	v_add3_u32 v22, v22, v21, 0x7fff
	v_cndmask_b32_e32 v21, v22, v23, vcc_lo
	buffer_load_dword v22, off, s[0:3], s32 offset:336 ; 4-byte Folded Reload
	v_and_b32_e32 v5, 0xffff0000, v21
	v_add_f32_e32 v5, v5, v12
	v_add_f32_e32 v4, v4, v5
	s_waitcnt vmcnt(0)
	v_lshlrev_b32_e32 v22, 16, v22
	v_mul_f32_e32 v22, v0, v22
	v_bfe_u32 v23, v22, 16, 1
	v_or_b32_e32 v24, 0x400000, v22
	v_cmp_u_f32_e32 vcc_lo, v22, v22
	v_add3_u32 v23, v23, v22, 0x7fff
	v_cndmask_b32_e32 v22, v23, v24, vcc_lo
	buffer_load_dword v23, off, s[0:3], s32 offset:328 ; 4-byte Folded Reload
	v_and_b32_e32 v12, 0xffff0000, v22
	s_waitcnt vmcnt(0)
	v_lshlrev_b32_e32 v23, 16, v23
	v_mul_f32_e32 v23, v2, v23
	v_bfe_u32 v24, v23, 16, 1
	v_or_b32_e32 v25, 0x400000, v23
	v_cmp_u_f32_e32 vcc_lo, v23, v23
	v_add3_u32 v24, v24, v23, 0x7fff
	v_cndmask_b32_e32 v23, v24, v25, vcc_lo
	v_and_b32_e32 v5, 0xffff0000, v23
	v_add_f32_e32 v5, v5, v12
	v_add_f32_e32 v4, v4, v5
	buffer_load_dword v5, off, s[0:3], s32 offset:668 ; 4-byte Folded Reload
	s_waitcnt vmcnt(0)
	v_add_f32_e32 v5, v5, v4
	buffer_load_dword v4, off, s[0:3], s32 offset:324 ; 4-byte Folded Reload
	buffer_store_dword v5, off, s[0:3], s32 offset:668 ; 4-byte Folded Spill
	s_waitcnt vmcnt(0)
	v_lshlrev_b32_e32 v4, 16, v4
	v_mul_f32_e32 v4, v8, v4
	v_bfe_u32 v5, v4, 16, 1
	v_or_b32_e32 v12, 0x400000, v4
	v_cmp_u_f32_e32 vcc_lo, v4, v4
	v_add3_u32 v5, v5, v4, 0x7fff
	v_cndmask_b32_e32 v4, v5, v12, vcc_lo
	buffer_load_dword v5, off, s[0:3], s32 offset:320 ; 4-byte Folded Reload
	v_and_b32_e32 v4, 0xffff0000, v4
	s_waitcnt vmcnt(0)
	v_lshlrev_b32_e32 v5, 16, v5
	v_mul_f32_e32 v5, v9, v5
	v_bfe_u32 v12, v5, 16, 1
	v_or_b32_e32 v13, 0x400000, v5
	v_cmp_u_f32_e32 vcc_lo, v5, v5
	v_add3_u32 v12, v12, v5, 0x7fff
	v_cndmask_b32_e32 v5, v12, v13, vcc_lo
	buffer_load_dword v12, off, s[0:3], s32 offset:312 ; 4-byte Folded Reload
	v_and_b32_e32 v5, 0xffff0000, v5
	v_add_f32_e32 v4, v5, v4
	s_waitcnt vmcnt(0)
	v_lshlrev_b32_e32 v12, 16, v12
	v_mul_f32_e32 v12, v3, v12
	v_bfe_u32 v13, v12, 16, 1
	v_or_b32_e32 v16, 0x400000, v12
	v_cmp_u_f32_e32 vcc_lo, v12, v12
	v_add3_u32 v13, v13, v12, 0x7fff
	v_cndmask_b32_e32 v12, v13, v16, vcc_lo
	buffer_load_dword v13, off, s[0:3], s32 offset:316 ; 4-byte Folded Reload
	v_and_b32_e32 v12, 0xffff0000, v12
	s_waitcnt vmcnt(0)
	v_lshlrev_b32_e32 v13, 16, v13
	v_mul_f32_e32 v13, v7, v13
	v_bfe_u32 v16, v13, 16, 1
	v_or_b32_e32 v21, 0x400000, v13
	v_cmp_u_f32_e32 vcc_lo, v13, v13
	v_add3_u32 v16, v16, v13, 0x7fff
	v_cndmask_b32_e32 v13, v16, v21, vcc_lo
	buffer_load_dword v16, off, s[0:3], s32 offset:308 ; 4-byte Folded Reload
	v_and_b32_e32 v5, 0xffff0000, v13
	v_add_f32_e32 v5, v5, v12
	v_add_f32_e32 v4, v4, v5
	s_waitcnt vmcnt(0)
	v_lshlrev_b32_e32 v16, 16, v16
	v_mul_f32_e32 v16, v1, v16
	v_bfe_u32 v21, v16, 16, 1
	v_or_b32_e32 v22, 0x400000, v16
	v_cmp_u_f32_e32 vcc_lo, v16, v16
	v_add3_u32 v21, v21, v16, 0x7fff
	v_cndmask_b32_e32 v16, v21, v22, vcc_lo
	buffer_load_dword v21, off, s[0:3], s32 offset:300 ; 4-byte Folded Reload
	v_and_b32_e32 v12, 0xffff0000, v16
	s_waitcnt vmcnt(0)
	v_lshlrev_b32_e32 v21, 16, v21
	v_mul_f32_e32 v21, v6, v21
	v_bfe_u32 v22, v21, 16, 1
	v_or_b32_e32 v23, 0x400000, v21
	v_cmp_u_f32_e32 vcc_lo, v21, v21
	v_add3_u32 v22, v22, v21, 0x7fff
	v_cndmask_b32_e32 v21, v22, v23, vcc_lo
	buffer_load_dword v22, off, s[0:3], s32 offset:304 ; 4-byte Folded Reload
	v_and_b32_e32 v5, 0xffff0000, v21
	v_add_f32_e32 v5, v5, v12
	v_add_f32_e32 v4, v4, v5
	s_waitcnt vmcnt(0)
	v_lshlrev_b32_e32 v22, 16, v22
	v_mul_f32_e32 v22, v0, v22
	v_bfe_u32 v23, v22, 16, 1
	v_or_b32_e32 v24, 0x400000, v22
	v_cmp_u_f32_e32 vcc_lo, v22, v22
	v_add3_u32 v23, v23, v22, 0x7fff
	v_cndmask_b32_e32 v22, v23, v24, vcc_lo
	buffer_load_dword v23, off, s[0:3], s32 offset:296 ; 4-byte Folded Reload
	v_and_b32_e32 v12, 0xffff0000, v22
	s_waitcnt vmcnt(0)
	v_lshlrev_b32_e32 v23, 16, v23
	v_mul_f32_e32 v23, v2, v23
	v_bfe_u32 v24, v23, 16, 1
	v_or_b32_e32 v25, 0x400000, v23
	v_cmp_u_f32_e32 vcc_lo, v23, v23
	v_add3_u32 v24, v24, v23, 0x7fff
	v_cndmask_b32_e32 v23, v24, v25, vcc_lo
	v_and_b32_e32 v5, 0xffff0000, v23
	v_add_f32_e32 v5, v5, v12
	v_add_f32_e32 v4, v4, v5
	;; [unrolled: 1-line block ×3, first 2 shown]
	buffer_load_dword v4, off, s[0:3], s32 offset:292 ; 4-byte Folded Reload
	s_waitcnt vmcnt(0)
	v_lshlrev_b32_e32 v4, 16, v4
	v_mul_f32_e32 v4, v8, v4
	v_bfe_u32 v5, v4, 16, 1
	v_or_b32_e32 v12, 0x400000, v4
	v_cmp_u_f32_e32 vcc_lo, v4, v4
	v_add3_u32 v5, v5, v4, 0x7fff
	v_cndmask_b32_e32 v4, v5, v12, vcc_lo
	buffer_load_dword v5, off, s[0:3], s32 offset:288 ; 4-byte Folded Reload
	v_and_b32_e32 v4, 0xffff0000, v4
	s_waitcnt vmcnt(0)
	v_lshlrev_b32_e32 v5, 16, v5
	v_mul_f32_e32 v5, v9, v5
	v_bfe_u32 v12, v5, 16, 1
	v_or_b32_e32 v13, 0x400000, v5
	v_cmp_u_f32_e32 vcc_lo, v5, v5
	v_add3_u32 v12, v12, v5, 0x7fff
	v_cndmask_b32_e32 v5, v12, v13, vcc_lo
	buffer_load_dword v12, off, s[0:3], s32 offset:280 ; 4-byte Folded Reload
	v_and_b32_e32 v5, 0xffff0000, v5
	v_add_f32_e32 v4, v5, v4
	s_waitcnt vmcnt(0)
	v_lshlrev_b32_e32 v12, 16, v12
	v_mul_f32_e32 v12, v3, v12
	v_bfe_u32 v13, v12, 16, 1
	v_or_b32_e32 v16, 0x400000, v12
	v_cmp_u_f32_e32 vcc_lo, v12, v12
	v_add3_u32 v13, v13, v12, 0x7fff
	v_cndmask_b32_e32 v12, v13, v16, vcc_lo
	buffer_load_dword v13, off, s[0:3], s32 offset:284 ; 4-byte Folded Reload
	v_and_b32_e32 v12, 0xffff0000, v12
	s_waitcnt vmcnt(0)
	v_lshlrev_b32_e32 v13, 16, v13
	v_mul_f32_e32 v13, v7, v13
	v_bfe_u32 v16, v13, 16, 1
	v_or_b32_e32 v21, 0x400000, v13
	v_cmp_u_f32_e32 vcc_lo, v13, v13
	v_add3_u32 v16, v16, v13, 0x7fff
	v_cndmask_b32_e32 v13, v16, v21, vcc_lo
	buffer_load_dword v16, off, s[0:3], s32 offset:276 ; 4-byte Folded Reload
	v_and_b32_e32 v5, 0xffff0000, v13
	v_add_f32_e32 v5, v5, v12
	v_add_f32_e32 v4, v4, v5
	s_waitcnt vmcnt(0)
	v_lshlrev_b32_e32 v16, 16, v16
	v_mul_f32_e32 v16, v1, v16
	v_bfe_u32 v21, v16, 16, 1
	v_or_b32_e32 v22, 0x400000, v16
	v_cmp_u_f32_e32 vcc_lo, v16, v16
	v_add3_u32 v21, v21, v16, 0x7fff
	v_cndmask_b32_e32 v16, v21, v22, vcc_lo
	buffer_load_dword v21, off, s[0:3], s32 offset:268 ; 4-byte Folded Reload
	v_and_b32_e32 v12, 0xffff0000, v16
	s_waitcnt vmcnt(0)
	v_lshlrev_b32_e32 v21, 16, v21
	v_mul_f32_e32 v21, v6, v21
	v_bfe_u32 v22, v21, 16, 1
	v_or_b32_e32 v23, 0x400000, v21
	v_cmp_u_f32_e32 vcc_lo, v21, v21
	v_add3_u32 v22, v22, v21, 0x7fff
	v_cndmask_b32_e32 v21, v22, v23, vcc_lo
	buffer_load_dword v22, off, s[0:3], s32 offset:272 ; 4-byte Folded Reload
	v_and_b32_e32 v5, 0xffff0000, v21
	v_add_f32_e32 v5, v5, v12
	v_add_f32_e32 v4, v4, v5
	s_waitcnt vmcnt(0)
	v_lshlrev_b32_e32 v22, 16, v22
	v_mul_f32_e32 v22, v0, v22
	v_bfe_u32 v23, v22, 16, 1
	v_or_b32_e32 v24, 0x400000, v22
	v_cmp_u_f32_e32 vcc_lo, v22, v22
	v_add3_u32 v23, v23, v22, 0x7fff
	v_cndmask_b32_e32 v22, v23, v24, vcc_lo
	buffer_load_dword v23, off, s[0:3], s32 offset:264 ; 4-byte Folded Reload
	v_and_b32_e32 v12, 0xffff0000, v22
	s_waitcnt vmcnt(0)
	v_lshlrev_b32_e32 v23, 16, v23
	v_mul_f32_e32 v23, v2, v23
	v_bfe_u32 v24, v23, 16, 1
	v_or_b32_e32 v25, 0x400000, v23
	v_cmp_u_f32_e32 vcc_lo, v23, v23
	v_add3_u32 v24, v24, v23, 0x7fff
	v_cndmask_b32_e32 v23, v24, v25, vcc_lo
	v_and_b32_e32 v5, 0xffff0000, v23
	v_add_f32_e32 v5, v5, v12
	v_add_f32_e32 v4, v4, v5
	;; [unrolled: 1-line block ×3, first 2 shown]
	buffer_load_dword v4, off, s[0:3], s32 offset:260 ; 4-byte Folded Reload
	s_waitcnt vmcnt(0)
	v_lshlrev_b32_e32 v4, 16, v4
	v_mul_f32_e32 v4, v8, v4
	v_bfe_u32 v5, v4, 16, 1
	v_or_b32_e32 v12, 0x400000, v4
	v_cmp_u_f32_e32 vcc_lo, v4, v4
	v_add3_u32 v5, v5, v4, 0x7fff
	v_cndmask_b32_e32 v4, v5, v12, vcc_lo
	buffer_load_dword v5, off, s[0:3], s32 offset:256 ; 4-byte Folded Reload
	v_and_b32_e32 v4, 0xffff0000, v4
	s_waitcnt vmcnt(0)
	v_lshlrev_b32_e32 v5, 16, v5
	v_mul_f32_e32 v5, v9, v5
	v_bfe_u32 v12, v5, 16, 1
	v_or_b32_e32 v13, 0x400000, v5
	v_cmp_u_f32_e32 vcc_lo, v5, v5
	v_add3_u32 v12, v12, v5, 0x7fff
	v_cndmask_b32_e32 v5, v12, v13, vcc_lo
	buffer_load_dword v12, off, s[0:3], s32 offset:248 ; 4-byte Folded Reload
	v_and_b32_e32 v5, 0xffff0000, v5
	v_add_f32_e32 v4, v5, v4
	s_waitcnt vmcnt(0)
	v_lshlrev_b32_e32 v12, 16, v12
	v_mul_f32_e32 v12, v3, v12
	v_bfe_u32 v13, v12, 16, 1
	v_or_b32_e32 v16, 0x400000, v12
	v_cmp_u_f32_e32 vcc_lo, v12, v12
	v_add3_u32 v13, v13, v12, 0x7fff
	v_cndmask_b32_e32 v12, v13, v16, vcc_lo
	buffer_load_dword v13, off, s[0:3], s32 offset:252 ; 4-byte Folded Reload
	v_and_b32_e32 v12, 0xffff0000, v12
	s_waitcnt vmcnt(0)
	v_lshlrev_b32_e32 v13, 16, v13
	v_mul_f32_e32 v13, v7, v13
	v_bfe_u32 v16, v13, 16, 1
	v_or_b32_e32 v21, 0x400000, v13
	v_cmp_u_f32_e32 vcc_lo, v13, v13
	v_add3_u32 v16, v16, v13, 0x7fff
	v_cndmask_b32_e32 v13, v16, v21, vcc_lo
	buffer_load_dword v16, off, s[0:3], s32 offset:244 ; 4-byte Folded Reload
	v_and_b32_e32 v5, 0xffff0000, v13
	v_add_f32_e32 v5, v5, v12
	v_add_f32_e32 v4, v4, v5
	s_waitcnt vmcnt(0)
	v_lshlrev_b32_e32 v16, 16, v16
	v_mul_f32_e32 v16, v1, v16
	v_bfe_u32 v21, v16, 16, 1
	v_or_b32_e32 v22, 0x400000, v16
	v_cmp_u_f32_e32 vcc_lo, v16, v16
	v_add3_u32 v21, v21, v16, 0x7fff
	v_cndmask_b32_e32 v16, v21, v22, vcc_lo
	buffer_load_dword v21, off, s[0:3], s32 offset:236 ; 4-byte Folded Reload
	v_and_b32_e32 v12, 0xffff0000, v16
	s_waitcnt vmcnt(0)
	v_lshlrev_b32_e32 v21, 16, v21
	v_mul_f32_e32 v21, v6, v21
	v_bfe_u32 v22, v21, 16, 1
	v_or_b32_e32 v23, 0x400000, v21
	v_cmp_u_f32_e32 vcc_lo, v21, v21
	v_add3_u32 v22, v22, v21, 0x7fff
	v_cndmask_b32_e32 v21, v22, v23, vcc_lo
	buffer_load_dword v22, off, s[0:3], s32 offset:240 ; 4-byte Folded Reload
	v_and_b32_e32 v5, 0xffff0000, v21
	v_add_f32_e32 v5, v5, v12
	v_add_f32_e32 v4, v4, v5
	s_waitcnt vmcnt(0)
	v_lshlrev_b32_e32 v22, 16, v22
	v_mul_f32_e32 v22, v0, v22
	v_bfe_u32 v23, v22, 16, 1
	v_or_b32_e32 v24, 0x400000, v22
	v_cmp_u_f32_e32 vcc_lo, v22, v22
	v_add3_u32 v23, v23, v22, 0x7fff
	v_cndmask_b32_e32 v22, v23, v24, vcc_lo
	buffer_load_dword v23, off, s[0:3], s32 offset:232 ; 4-byte Folded Reload
	v_and_b32_e32 v12, 0xffff0000, v22
	s_waitcnt vmcnt(0)
	v_lshlrev_b32_e32 v23, 16, v23
	v_mul_f32_e32 v23, v2, v23
	v_bfe_u32 v24, v23, 16, 1
	v_or_b32_e32 v25, 0x400000, v23
	v_cmp_u_f32_e32 vcc_lo, v23, v23
	v_add3_u32 v24, v24, v23, 0x7fff
	v_cndmask_b32_e32 v23, v24, v25, vcc_lo
	v_and_b32_e32 v5, 0xffff0000, v23
	v_add_f32_e32 v5, v5, v12
	v_add_f32_e32 v4, v4, v5
	;; [unrolled: 1-line block ×3, first 2 shown]
	buffer_load_dword v4, off, s[0:3], s32 offset:228 ; 4-byte Folded Reload
	s_waitcnt vmcnt(0)
	v_lshlrev_b32_e32 v4, 16, v4
	v_mul_f32_e32 v4, v8, v4
	v_bfe_u32 v5, v4, 16, 1
	v_or_b32_e32 v12, 0x400000, v4
	v_cmp_u_f32_e32 vcc_lo, v4, v4
	v_add3_u32 v5, v5, v4, 0x7fff
	v_cndmask_b32_e32 v4, v5, v12, vcc_lo
	buffer_load_dword v5, off, s[0:3], s32 offset:224 ; 4-byte Folded Reload
	v_and_b32_e32 v4, 0xffff0000, v4
	s_waitcnt vmcnt(0)
	v_lshlrev_b32_e32 v5, 16, v5
	v_mul_f32_e32 v5, v9, v5
	v_bfe_u32 v12, v5, 16, 1
	v_or_b32_e32 v13, 0x400000, v5
	v_cmp_u_f32_e32 vcc_lo, v5, v5
	v_add3_u32 v12, v12, v5, 0x7fff
	v_cndmask_b32_e32 v5, v12, v13, vcc_lo
	buffer_load_dword v12, off, s[0:3], s32 offset:216 ; 4-byte Folded Reload
	v_and_b32_e32 v5, 0xffff0000, v5
	v_add_f32_e32 v4, v5, v4
	s_waitcnt vmcnt(0)
	v_lshlrev_b32_e32 v12, 16, v12
	v_mul_f32_e32 v12, v3, v12
	v_bfe_u32 v13, v12, 16, 1
	v_or_b32_e32 v16, 0x400000, v12
	v_cmp_u_f32_e32 vcc_lo, v12, v12
	v_add3_u32 v13, v13, v12, 0x7fff
	v_cndmask_b32_e32 v12, v13, v16, vcc_lo
	buffer_load_dword v13, off, s[0:3], s32 offset:220 ; 4-byte Folded Reload
	v_and_b32_e32 v12, 0xffff0000, v12
	s_waitcnt vmcnt(0)
	v_lshlrev_b32_e32 v13, 16, v13
	v_mul_f32_e32 v13, v7, v13
	v_bfe_u32 v16, v13, 16, 1
	v_or_b32_e32 v21, 0x400000, v13
	v_cmp_u_f32_e32 vcc_lo, v13, v13
	v_add3_u32 v16, v16, v13, 0x7fff
	v_cndmask_b32_e32 v13, v16, v21, vcc_lo
	buffer_load_dword v16, off, s[0:3], s32 offset:212 ; 4-byte Folded Reload
	v_and_b32_e32 v5, 0xffff0000, v13
	v_add_f32_e32 v5, v5, v12
	v_add_f32_e32 v4, v4, v5
	s_waitcnt vmcnt(0)
	v_lshlrev_b32_e32 v16, 16, v16
	v_mul_f32_e32 v16, v1, v16
	v_bfe_u32 v21, v16, 16, 1
	v_or_b32_e32 v22, 0x400000, v16
	v_cmp_u_f32_e32 vcc_lo, v16, v16
	v_add3_u32 v21, v21, v16, 0x7fff
	v_cndmask_b32_e32 v16, v21, v22, vcc_lo
	buffer_load_dword v21, off, s[0:3], s32 offset:204 ; 4-byte Folded Reload
	v_and_b32_e32 v12, 0xffff0000, v16
	s_waitcnt vmcnt(0)
	v_lshlrev_b32_e32 v21, 16, v21
	v_mul_f32_e32 v21, v6, v21
	v_bfe_u32 v22, v21, 16, 1
	v_or_b32_e32 v23, 0x400000, v21
	v_cmp_u_f32_e32 vcc_lo, v21, v21
	v_add3_u32 v22, v22, v21, 0x7fff
	v_cndmask_b32_e32 v21, v22, v23, vcc_lo
	buffer_load_dword v22, off, s[0:3], s32 offset:208 ; 4-byte Folded Reload
	v_and_b32_e32 v5, 0xffff0000, v21
	v_add_f32_e32 v5, v5, v12
	v_add_f32_e32 v4, v4, v5
	s_waitcnt vmcnt(0)
	v_lshlrev_b32_e32 v22, 16, v22
	v_mul_f32_e32 v22, v0, v22
	v_bfe_u32 v23, v22, 16, 1
	v_or_b32_e32 v24, 0x400000, v22
	v_cmp_u_f32_e32 vcc_lo, v22, v22
	v_add3_u32 v23, v23, v22, 0x7fff
	v_cndmask_b32_e32 v22, v23, v24, vcc_lo
	buffer_load_dword v23, off, s[0:3], s32 offset:200 ; 4-byte Folded Reload
	v_and_b32_e32 v12, 0xffff0000, v22
	s_waitcnt vmcnt(0)
	v_lshlrev_b32_e32 v23, 16, v23
	v_mul_f32_e32 v23, v2, v23
	v_bfe_u32 v24, v23, 16, 1
	v_or_b32_e32 v25, 0x400000, v23
	v_cmp_u_f32_e32 vcc_lo, v23, v23
	v_add3_u32 v24, v24, v23, 0x7fff
	v_cndmask_b32_e32 v23, v24, v25, vcc_lo
	v_and_b32_e32 v5, 0xffff0000, v23
	v_add_f32_e32 v5, v5, v12
	v_add_f32_e32 v4, v4, v5
	;; [unrolled: 1-line block ×3, first 2 shown]
	v_lshlrev_b32_e32 v4, 16, v115
	v_mul_f32_e32 v4, v9, v4
	v_bfe_u32 v5, v4, 16, 1
	v_or_b32_e32 v9, 0x400000, v4
	v_cmp_u_f32_e32 vcc_lo, v4, v4
	v_add3_u32 v5, v5, v4, 0x7fff
	v_cndmask_b32_e32 v4, v5, v9, vcc_lo
	v_lshlrev_b32_e32 v5, 16, v20
	v_and_b32_e32 v4, 0xffff0000, v4
	v_mul_f32_e32 v5, v8, v5
	v_bfe_u32 v8, v5, 16, 1
	v_or_b32_e32 v9, 0x400000, v5
	v_cmp_u_f32_e32 vcc_lo, v5, v5
	v_add3_u32 v8, v8, v5, 0x7fff
	v_cndmask_b32_e32 v5, v8, v9, vcc_lo
	v_lshlrev_b32_e32 v8, 16, v18
	v_and_b32_e32 v5, 0xffff0000, v5
	v_mul_f32_e32 v7, v7, v8
	v_add_f32_e32 v4, v4, v5
	v_bfe_u32 v8, v7, 16, 1
	v_or_b32_e32 v9, 0x400000, v7
	v_cmp_u_f32_e32 vcc_lo, v7, v7
	v_add3_u32 v8, v8, v7, 0x7fff
	v_cndmask_b32_e32 v7, v8, v9, vcc_lo
	v_lshlrev_b32_e32 v8, 16, v15
	v_and_b32_e32 v5, 0xffff0000, v7
	v_mul_f32_e32 v3, v3, v8
	v_bfe_u32 v8, v3, 16, 1
	v_or_b32_e32 v9, 0x400000, v3
	v_cmp_u_f32_e32 vcc_lo, v3, v3
	v_add3_u32 v8, v8, v3, 0x7fff
	v_cndmask_b32_e32 v3, v8, v9, vcc_lo
	v_lshlrev_b32_e32 v8, 16, v14
	v_and_b32_e32 v3, 0xffff0000, v3
	v_mul_f32_e32 v6, v6, v8
	v_add_f32_e32 v3, v5, v3
	v_bfe_u32 v8, v6, 16, 1
	v_or_b32_e32 v9, 0x400000, v6
	v_cmp_u_f32_e32 vcc_lo, v6, v6
	v_add_f32_e32 v3, v4, v3
	v_add3_u32 v8, v8, v6, 0x7fff
	v_cndmask_b32_e32 v6, v8, v9, vcc_lo
	v_lshlrev_b32_e32 v8, 16, v10
	v_and_b32_e32 v4, 0xffff0000, v6
	v_mul_f32_e32 v1, v1, v8
	v_bfe_u32 v8, v1, 16, 1
	v_or_b32_e32 v9, 0x400000, v1
	v_cmp_u_f32_e32 vcc_lo, v1, v1
	v_add3_u32 v8, v8, v1, 0x7fff
	v_cndmask_b32_e32 v1, v8, v9, vcc_lo
	v_lshlrev_b32_e32 v8, 16, v17
	v_and_b32_e32 v1, 0xffff0000, v1
	v_mul_f32_e32 v2, v2, v8
	v_add_f32_e32 v1, v4, v1
	v_bfe_u32 v8, v2, 16, 1
	v_or_b32_e32 v9, 0x400000, v2
	v_cmp_u_f32_e32 vcc_lo, v2, v2
	v_add_f32_e32 v1, v3, v1
	v_add3_u32 v8, v8, v2, 0x7fff
	v_cndmask_b32_e32 v2, v8, v9, vcc_lo
	v_lshlrev_b32_e32 v8, 16, v19
	v_and_b32_e32 v2, 0xffff0000, v2
	v_mul_f32_e32 v0, v0, v8
	v_bfe_u32 v8, v0, 16, 1
	v_or_b32_e32 v9, 0x400000, v0
	v_cmp_u_f32_e32 vcc_lo, v0, v0
	v_add3_u32 v8, v8, v0, 0x7fff
	v_cndmask_b32_e32 v0, v8, v9, vcc_lo
	s_clause 0x1
	buffer_load_dword v9, off, s[0:3], s32 offset:192
	buffer_load_dword v10, off, s[0:3], s32 offset:196
	v_and_b32_e32 v0, 0xffff0000, v0
	v_add_f32_e32 v0, v2, v0
	v_add_f32_e32 v0, v1, v0
	;; [unrolled: 1-line block ×3, first 2 shown]
	buffer_load_dword v0, off, s[0:3], s32 offset:592 ; 4-byte Folded Reload
	s_waitcnt vmcnt(2)
	v_add_nc_u32_e32 v9, 4, v9
	s_waitcnt vmcnt(0)
	v_cmp_ge_i32_e32 vcc_lo, v9, v0
	s_or_b32 s12, vcc_lo, s12
	s_andn2_b32 exec_lo, exec_lo, s12
	s_cbranch_execz .LBB397_3151
.LBB397_1567:                           ; =>This Inner Loop Header: Depth=1
	buffer_load_dword v2, off, s[0:3], s32 offset:672 ; 4-byte Folded Reload
	v_ashrrev_i32_e32 v10, 31, v9
	v_mov_b32_e32 v4, 0
	v_lshlrev_b64 v[0:1], 2, v[9:10]
	s_waitcnt vmcnt(0)
	v_add_co_u32 v0, vcc_lo, v2, v0
	buffer_load_dword v2, off, s[0:3], s32 offset:676 ; 4-byte Folded Reload
	s_waitcnt vmcnt(0)
	v_add_co_ci_u32_e64 v1, null, v2, v1, vcc_lo
	flat_load_dword v0, v[0:1]
	s_clause 0x2
	buffer_load_dword v1, off, s[0:3], s32 offset:588
	buffer_load_dword v2, off, s[0:3], s32 offset:688
	;; [unrolled: 1-line block ×3, first 2 shown]
	s_waitcnt vmcnt(0) lgkmcnt(0)
	v_mad_i64_i32 v[14:15], null, v0, v1, v[2:3]
	v_mov_b32_e32 v0, v9
	flat_load_dwordx2 v[17:18], v[14:15]
	buffer_store_dword v0, off, s[0:3], s32 offset:192 ; 4-byte Folded Spill
	buffer_store_dword v1, off, s[0:3], s32 offset:196 ; 4-byte Folded Spill
	buffer_load_dword v0, off, s[0:3], s32 offset:680 ; 4-byte Folded Reload
	s_waitcnt vmcnt(1) lgkmcnt(0)
	v_cmp_ne_u16_sdwa s13, v17, v11 src0_sel:BYTE_0 src1_sel:DWORD
	s_waitcnt vmcnt(0)
	v_lshl_or_b32 v89, v9, 5, v0
	v_lshl_add_u32 v0, v89, 2, s11
	ds_read2_b64 v[6:9], v0 offset1:1
	ds_read2_b64 v[0:3], v0 offset0:2 offset1:3
	s_and_saveexec_b32 s4, s13
	s_cbranch_execz .LBB397_1575
; %bb.1568:                             ;   in Loop: Header=BB397_1567 Depth=1
	v_cmp_ne_u16_sdwa s15, v17, v84 src0_sel:BYTE_0 src1_sel:DWORD
	v_bfrev_b32_e32 v4, 1
	s_and_saveexec_b32 s13, s15
	s_cbranch_execz .LBB397_1574
; %bb.1569:                             ;   in Loop: Header=BB397_1567 Depth=1
	v_and_b32_e32 v5, 0x7f, v17
	v_mov_b32_e32 v4, 0x7f800001
	s_mov_b32 s15, exec_lo
	v_cmpx_ne_u32_e32 0x7f, v5
	s_cbranch_execz .LBB397_1573
; %bb.1570:                             ;   in Loop: Header=BB397_1567 Depth=1
	v_mov_b32_e32 v20, v18
	v_lshrrev_b32_e32 v4, 3, v5
	v_mov_b32_e32 v19, v17
	s_mov_b32 s18, exec_lo
	v_cmpx_gt_u32_e32 8, v5
; %bb.1571:                             ;   in Loop: Header=BB397_1567 Depth=1
	v_and_b32_e32 v4, 7, v17
	v_ffbh_u32_e32 v4, v4
	v_min_u32_e32 v4, 32, v4
	v_subrev_nc_u32_e32 v5, 28, v4
	v_sub_nc_u32_e32 v4, 29, v4
	v_lshlrev_b64 v[19:20], v5, v[17:18]
; %bb.1572:                             ;   in Loop: Header=BB397_1567 Depth=1
	s_or_b32 exec_lo, exec_lo, s18
	v_lshlrev_b32_e32 v5, 20, v19
	v_lshlrev_b32_e32 v10, 24, v17
	v_lshl_add_u32 v4, v4, 23, 0x3c000000
	v_and_b32_e32 v5, 0x700000, v5
	v_and_b32_e32 v10, 0x80000000, v10
	v_or3_b32 v4, v5, v10, v4
.LBB397_1573:                           ;   in Loop: Header=BB397_1567 Depth=1
	s_or_b32 exec_lo, exec_lo, s15
.LBB397_1574:                           ;   in Loop: Header=BB397_1567 Depth=1
	s_or_b32 exec_lo, exec_lo, s13
.LBB397_1575:                           ;   in Loop: Header=BB397_1567 Depth=1
	s_or_b32 exec_lo, exec_lo, s4
	v_cmp_ne_u16_sdwa s13, v17, v11 src0_sel:BYTE_1 src1_sel:DWORD
	v_mov_b32_e32 v12, 0
	v_mov_b32_e32 v5, 0
	s_and_saveexec_b32 s4, s13
	s_cbranch_execz .LBB397_1583
; %bb.1576:                             ;   in Loop: Header=BB397_1567 Depth=1
	v_cmp_ne_u16_sdwa s15, v17, v84 src0_sel:BYTE_1 src1_sel:DWORD
	v_bfrev_b32_e32 v5, 1
	s_and_saveexec_b32 s13, s15
	s_cbranch_execz .LBB397_1582
; %bb.1577:                             ;   in Loop: Header=BB397_1567 Depth=1
	v_mov_b32_e32 v5, 0xffff
	s_mov_b32 s15, exec_lo
	v_and_b32_sdwa v10, v5, v17 dst_sel:DWORD dst_unused:UNUSED_PAD src0_sel:DWORD src1_sel:BYTE_1
	v_mov_b32_e32 v5, 0x7f800001
	v_and_b32_e32 v13, 0x7f, v10
	v_cmpx_ne_u32_e32 0x7f, v13
	s_cbranch_execz .LBB397_1581
; %bb.1578:                             ;   in Loop: Header=BB397_1567 Depth=1
	v_and_b32_e32 v10, 7, v10
	v_mov_b32_e32 v20, v11
	v_lshrrev_b32_e32 v5, 3, v13
	s_mov_b32 s18, exec_lo
	v_mov_b32_e32 v19, v10
	v_cmpx_gt_u32_e32 8, v13
; %bb.1579:                             ;   in Loop: Header=BB397_1567 Depth=1
	v_ffbh_u32_e32 v5, v10
	v_min_u32_e32 v5, 32, v5
	v_subrev_nc_u32_e32 v13, 28, v5
	v_sub_nc_u32_e32 v5, 29, v5
	v_lshlrev_b64 v[19:20], v13, v[10:11]
	v_and_b32_e32 v19, 7, v19
; %bb.1580:                             ;   in Loop: Header=BB397_1567 Depth=1
	s_or_b32 exec_lo, exec_lo, s18
	v_lshlrev_b32_e32 v10, 16, v17
	v_lshlrev_b32_e32 v13, 20, v19
	v_lshl_add_u32 v5, v5, 23, 0x3c000000
	v_and_b32_e32 v10, 0x80000000, v10
	v_or3_b32 v5, v13, v10, v5
.LBB397_1581:                           ;   in Loop: Header=BB397_1567 Depth=1
	s_or_b32 exec_lo, exec_lo, s15
.LBB397_1582:                           ;   in Loop: Header=BB397_1567 Depth=1
	s_or_b32 exec_lo, exec_lo, s13
.LBB397_1583:                           ;   in Loop: Header=BB397_1567 Depth=1
	s_or_b32 exec_lo, exec_lo, s4
	v_and_b32_sdwa v10, v17, v86 dst_sel:DWORD dst_unused:UNUSED_PAD src0_sel:WORD_1 src1_sel:DWORD
	s_mov_b32 s4, exec_lo
	v_cmpx_ne_u16_e32 0, v10
	s_cbranch_execz .LBB397_1591
; %bb.1584:                             ;   in Loop: Header=BB397_1567 Depth=1
	v_bfrev_b32_e32 v12, 1
	s_mov_b32 s13, exec_lo
	v_cmpx_ne_u16_e32 0x80, v10
	s_cbranch_execz .LBB397_1590
; %bb.1585:                             ;   in Loop: Header=BB397_1567 Depth=1
	v_bfe_u32 v13, v17, 16, 7
	v_mov_b32_e32 v12, 0x7f800001
	s_mov_b32 s15, exec_lo
	v_cmpx_ne_u32_e32 0x7f, v13
	s_cbranch_execz .LBB397_1589
; %bb.1586:                             ;   in Loop: Header=BB397_1567 Depth=1
	v_mov_b32_e32 v10, 7
	v_lshrrev_b32_e32 v12, 3, v13
	s_mov_b32 s18, exec_lo
	v_and_b32_sdwa v10, v17, v10 dst_sel:DWORD dst_unused:UNUSED_PAD src0_sel:WORD_1 src1_sel:DWORD
	v_mov_b32_e32 v20, v11
	v_mov_b32_e32 v19, v10
	v_cmpx_gt_u32_e32 8, v13
; %bb.1587:                             ;   in Loop: Header=BB397_1567 Depth=1
	v_ffbh_u32_e32 v12, v10
	v_min_u32_e32 v12, 32, v12
	v_subrev_nc_u32_e32 v13, 28, v12
	v_sub_nc_u32_e32 v12, 29, v12
	v_lshlrev_b64 v[19:20], v13, v[10:11]
	v_and_b32_e32 v19, 7, v19
; %bb.1588:                             ;   in Loop: Header=BB397_1567 Depth=1
	s_or_b32 exec_lo, exec_lo, s18
	v_mov_b32_e32 v10, 24
	v_lshlrev_b32_e32 v13, 20, v19
	v_lshl_add_u32 v12, v12, 23, 0x3c000000
	v_lshlrev_b32_sdwa v10, v10, v17 dst_sel:DWORD dst_unused:UNUSED_PAD src0_sel:DWORD src1_sel:WORD_1
	v_and_b32_e32 v10, 0x80000000, v10
	v_or3_b32 v12, v13, v10, v12
.LBB397_1589:                           ;   in Loop: Header=BB397_1567 Depth=1
	s_or_b32 exec_lo, exec_lo, s15
.LBB397_1590:                           ;   in Loop: Header=BB397_1567 Depth=1
	s_or_b32 exec_lo, exec_lo, s13
.LBB397_1591:                           ;   in Loop: Header=BB397_1567 Depth=1
	s_or_b32 exec_lo, exec_lo, s4
	v_mov_b32_e32 v16, 0
	v_mov_b32_e32 v13, 0
	s_mov_b32 s4, exec_lo
	v_cmpx_lt_u32_e32 0xffffff, v17
	s_cbranch_execz .LBB397_1599
; %bb.1592:                             ;   in Loop: Header=BB397_1567 Depth=1
	v_cmp_ne_u32_sdwa s15, v17, v84 src0_sel:BYTE_3 src1_sel:DWORD
	v_bfrev_b32_e32 v13, 1
	s_and_saveexec_b32 s13, s15
	s_cbranch_execz .LBB397_1598
; %bb.1593:                             ;   in Loop: Header=BB397_1567 Depth=1
	v_bfe_u32 v19, v17, 24, 7
	v_mov_b32_e32 v13, 0x7f800001
	s_mov_b32 s15, exec_lo
	v_cmpx_ne_u32_e32 0x7f, v19
	s_cbranch_execz .LBB397_1597
; %bb.1594:                             ;   in Loop: Header=BB397_1567 Depth=1
	v_mov_b32_e32 v10, 7
	v_lshrrev_b32_e32 v13, 3, v19
	v_cmp_gt_u32_e32 vcc_lo, 8, v19
	v_and_b32_sdwa v10, v17, v10 dst_sel:DWORD dst_unused:UNUSED_PAD src0_sel:BYTE_3 src1_sel:DWORD
	v_mov_b32_e32 v20, v11
	v_mov_b32_e32 v19, v10
	s_and_saveexec_b32 s18, vcc_lo
; %bb.1595:                             ;   in Loop: Header=BB397_1567 Depth=1
	v_ffbh_u32_e32 v13, v10
	v_min_u32_e32 v13, 32, v13
	v_subrev_nc_u32_e32 v19, 28, v13
	v_sub_nc_u32_e32 v13, 29, v13
	v_lshlrev_b64 v[19:20], v19, v[10:11]
	v_and_b32_e32 v19, 7, v19
; %bb.1596:                             ;   in Loop: Header=BB397_1567 Depth=1
	s_or_b32 exec_lo, exec_lo, s18
	v_mov_b32_e32 v10, 24
	v_lshlrev_b32_e32 v19, 20, v19
	v_lshl_add_u32 v13, v13, 23, 0x3c000000
	v_lshlrev_b32_sdwa v10, v10, v17 dst_sel:DWORD dst_unused:UNUSED_PAD src0_sel:DWORD src1_sel:BYTE_3
	v_and_b32_e32 v10, 0x80000000, v10
	v_or3_b32 v13, v19, v10, v13
.LBB397_1597:                           ;   in Loop: Header=BB397_1567 Depth=1
	s_or_b32 exec_lo, exec_lo, s15
.LBB397_1598:                           ;   in Loop: Header=BB397_1567 Depth=1
	s_or_b32 exec_lo, exec_lo, s13
.LBB397_1599:                           ;   in Loop: Header=BB397_1567 Depth=1
	s_or_b32 exec_lo, exec_lo, s4
	v_mov_b32_e32 v10, v18
	v_cmp_ne_u16_sdwa s13, v18, v11 src0_sel:BYTE_0 src1_sel:DWORD
	s_and_saveexec_b32 s4, s13
	s_cbranch_execz .LBB397_1607
; %bb.1600:                             ;   in Loop: Header=BB397_1567 Depth=1
	v_cmp_ne_u16_sdwa s15, v18, v84 src0_sel:BYTE_0 src1_sel:DWORD
	v_bfrev_b32_e32 v16, 1
	s_and_saveexec_b32 s13, s15
	s_cbranch_execz .LBB397_1606
; %bb.1601:                             ;   in Loop: Header=BB397_1567 Depth=1
	v_and_b32_e32 v19, 0x7f, v18
	v_mov_b32_e32 v16, 0x7f800001
	s_mov_b32 s15, exec_lo
	v_cmpx_ne_u32_e32 0x7f, v19
	s_cbranch_execz .LBB397_1605
; %bb.1602:                             ;   in Loop: Header=BB397_1567 Depth=1
	v_lshrrev_b32_e32 v16, 3, v19
	v_cmp_gt_u32_e32 vcc_lo, 8, v19
	v_mov_b32_e32 v20, v11
	v_mov_b32_e32 v19, v10
	s_and_saveexec_b32 s18, vcc_lo
; %bb.1603:                             ;   in Loop: Header=BB397_1567 Depth=1
	v_and_b32_e32 v16, 7, v18
	v_ffbh_u32_e32 v16, v16
	v_min_u32_e32 v16, 32, v16
	v_subrev_nc_u32_e32 v19, 28, v16
	v_sub_nc_u32_e32 v16, 29, v16
	v_lshlrev_b64 v[19:20], v19, v[10:11]
; %bb.1604:                             ;   in Loop: Header=BB397_1567 Depth=1
	s_or_b32 exec_lo, exec_lo, s18
	v_lshlrev_b32_e32 v19, 20, v19
	v_lshlrev_b32_e32 v20, 24, v10
	v_lshl_add_u32 v16, v16, 23, 0x3c000000
	v_and_b32_e32 v19, 0x700000, v19
	v_and_b32_e32 v20, 0x80000000, v20
	v_or3_b32 v16, v19, v20, v16
.LBB397_1605:                           ;   in Loop: Header=BB397_1567 Depth=1
	s_or_b32 exec_lo, exec_lo, s15
.LBB397_1606:                           ;   in Loop: Header=BB397_1567 Depth=1
	s_or_b32 exec_lo, exec_lo, s13
.LBB397_1607:                           ;   in Loop: Header=BB397_1567 Depth=1
	s_or_b32 exec_lo, exec_lo, s4
	v_cmp_ne_u16_sdwa s13, v10, v11 src0_sel:BYTE_1 src1_sel:DWORD
	v_mov_b32_e32 v21, 0
	v_mov_b32_e32 v22, 0
	s_and_saveexec_b32 s4, s13
	s_cbranch_execz .LBB397_1615
; %bb.1608:                             ;   in Loop: Header=BB397_1567 Depth=1
	v_cmp_ne_u16_sdwa s15, v10, v84 src0_sel:BYTE_1 src1_sel:DWORD
	v_bfrev_b32_e32 v22, 1
	s_and_saveexec_b32 s13, s15
	s_cbranch_execz .LBB397_1614
; %bb.1609:                             ;   in Loop: Header=BB397_1567 Depth=1
	v_mov_b32_e32 v19, 0xffff
	v_mov_b32_e32 v22, 0x7f800001
	s_mov_b32 s15, exec_lo
	v_and_b32_sdwa v19, v19, v10 dst_sel:DWORD dst_unused:UNUSED_PAD src0_sel:DWORD src1_sel:BYTE_1
	v_and_b32_e32 v23, 0x7f, v19
	v_cmpx_ne_u32_e32 0x7f, v23
	s_cbranch_execz .LBB397_1613
; %bb.1610:                             ;   in Loop: Header=BB397_1567 Depth=1
	v_and_b32_e32 v19, 7, v19
	v_mov_b32_e32 v20, v11
	v_lshrrev_b32_e32 v22, 3, v23
	s_mov_b32 s18, exec_lo
	v_cmpx_gt_u32_e32 8, v23
; %bb.1611:                             ;   in Loop: Header=BB397_1567 Depth=1
	v_ffbh_u32_e32 v22, v19
	v_min_u32_e32 v22, 32, v22
	v_subrev_nc_u32_e32 v23, 28, v22
	v_sub_nc_u32_e32 v22, 29, v22
	v_lshlrev_b64 v[19:20], v23, v[19:20]
	v_and_b32_e32 v19, 7, v19
; %bb.1612:                             ;   in Loop: Header=BB397_1567 Depth=1
	s_or_b32 exec_lo, exec_lo, s18
	v_lshlrev_b32_e32 v10, 16, v10
	v_lshlrev_b32_e32 v19, 20, v19
	v_lshl_add_u32 v20, v22, 23, 0x3c000000
	v_and_b32_e32 v10, 0x80000000, v10
	v_or3_b32 v22, v19, v10, v20
.LBB397_1613:                           ;   in Loop: Header=BB397_1567 Depth=1
	s_or_b32 exec_lo, exec_lo, s15
.LBB397_1614:                           ;   in Loop: Header=BB397_1567 Depth=1
	s_or_b32 exec_lo, exec_lo, s13
.LBB397_1615:                           ;   in Loop: Header=BB397_1567 Depth=1
	s_or_b32 exec_lo, exec_lo, s4
	v_and_b32_sdwa v10, v18, v86 dst_sel:DWORD dst_unused:UNUSED_PAD src0_sel:WORD_1 src1_sel:DWORD
	s_mov_b32 s4, exec_lo
	v_cmpx_ne_u16_e32 0, v10
	s_cbranch_execz .LBB397_1623
; %bb.1616:                             ;   in Loop: Header=BB397_1567 Depth=1
	v_bfrev_b32_e32 v21, 1
	s_mov_b32 s13, exec_lo
	v_cmpx_ne_u16_e32 0x80, v10
	s_cbranch_execz .LBB397_1622
; %bb.1617:                             ;   in Loop: Header=BB397_1567 Depth=1
	v_bfe_u32 v19, v18, 16, 7
	v_mov_b32_e32 v21, 0x7f800001
	s_mov_b32 s15, exec_lo
	v_cmpx_ne_u32_e32 0x7f, v19
	s_cbranch_execz .LBB397_1621
; %bb.1618:                             ;   in Loop: Header=BB397_1567 Depth=1
	v_mov_b32_e32 v10, 7
	v_lshrrev_b32_e32 v21, 3, v19
	v_cmp_gt_u32_e32 vcc_lo, 8, v19
	v_and_b32_sdwa v10, v18, v10 dst_sel:DWORD dst_unused:UNUSED_PAD src0_sel:WORD_1 src1_sel:DWORD
	v_mov_b32_e32 v20, v11
	v_mov_b32_e32 v19, v10
	s_and_saveexec_b32 s18, vcc_lo
; %bb.1619:                             ;   in Loop: Header=BB397_1567 Depth=1
	v_ffbh_u32_e32 v19, v10
	v_min_u32_e32 v21, 32, v19
	v_subrev_nc_u32_e32 v19, 28, v21
	v_sub_nc_u32_e32 v21, 29, v21
	v_lshlrev_b64 v[19:20], v19, v[10:11]
	v_and_b32_e32 v19, 7, v19
; %bb.1620:                             ;   in Loop: Header=BB397_1567 Depth=1
	s_or_b32 exec_lo, exec_lo, s18
	v_mov_b32_e32 v10, 24
	v_lshlrev_b32_e32 v19, 20, v19
	v_lshl_add_u32 v20, v21, 23, 0x3c000000
	v_lshlrev_b32_sdwa v10, v10, v18 dst_sel:DWORD dst_unused:UNUSED_PAD src0_sel:DWORD src1_sel:WORD_1
	v_and_b32_e32 v10, 0x80000000, v10
	v_or3_b32 v21, v19, v10, v20
.LBB397_1621:                           ;   in Loop: Header=BB397_1567 Depth=1
	s_or_b32 exec_lo, exec_lo, s15
.LBB397_1622:                           ;   in Loop: Header=BB397_1567 Depth=1
	s_or_b32 exec_lo, exec_lo, s13
.LBB397_1623:                           ;   in Loop: Header=BB397_1567 Depth=1
	s_or_b32 exec_lo, exec_lo, s4
	v_mov_b32_e32 v10, 0
	s_mov_b32 s4, exec_lo
	v_cmpx_lt_u64_e64 s[8:9], v[17:18]
	s_cbranch_execz .LBB397_1631
; %bb.1624:                             ;   in Loop: Header=BB397_1567 Depth=1
	v_cmp_ne_u32_sdwa s15, v18, v84 src0_sel:BYTE_3 src1_sel:DWORD
	v_bfrev_b32_e32 v10, 1
	s_and_saveexec_b32 s13, s15
	s_cbranch_execz .LBB397_1630
; %bb.1625:                             ;   in Loop: Header=BB397_1567 Depth=1
	v_bfe_u32 v19, v18, 24, 7
	v_mov_b32_e32 v10, 0x7f800001
	s_mov_b32 s15, exec_lo
	v_cmpx_ne_u32_e32 0x7f, v19
	s_cbranch_execz .LBB397_1629
; %bb.1626:                             ;   in Loop: Header=BB397_1567 Depth=1
	v_mov_b32_e32 v10, 7
	v_lshrrev_b32_e32 v17, 3, v19
	v_cmp_gt_u32_e32 vcc_lo, 8, v19
	v_and_b32_sdwa v10, v18, v10 dst_sel:DWORD dst_unused:UNUSED_PAD src0_sel:BYTE_3 src1_sel:DWORD
	v_mov_b32_e32 v20, v11
	v_mov_b32_e32 v19, v10
	s_and_saveexec_b32 s18, vcc_lo
; %bb.1627:                             ;   in Loop: Header=BB397_1567 Depth=1
	v_ffbh_u32_e32 v17, v10
	v_min_u32_e32 v17, 32, v17
	v_subrev_nc_u32_e32 v19, 28, v17
	v_sub_nc_u32_e32 v17, 29, v17
	v_lshlrev_b64 v[19:20], v19, v[10:11]
	v_and_b32_e32 v19, 7, v19
; %bb.1628:                             ;   in Loop: Header=BB397_1567 Depth=1
	s_or_b32 exec_lo, exec_lo, s18
	v_mov_b32_e32 v10, 24
	v_lshl_add_u32 v17, v17, 23, 0x3c000000
	v_lshlrev_b32_sdwa v10, v10, v18 dst_sel:DWORD dst_unused:UNUSED_PAD src0_sel:DWORD src1_sel:BYTE_3
	v_lshlrev_b32_e32 v18, 20, v19
	v_and_b32_e32 v10, 0x80000000, v10
	v_or3_b32 v10, v18, v10, v17
.LBB397_1629:                           ;   in Loop: Header=BB397_1567 Depth=1
	s_or_b32 exec_lo, exec_lo, s15
.LBB397_1630:                           ;   in Loop: Header=BB397_1567 Depth=1
	s_or_b32 exec_lo, exec_lo, s13
.LBB397_1631:                           ;   in Loop: Header=BB397_1567 Depth=1
	s_or_b32 exec_lo, exec_lo, s4
	s_clause 0x2
	buffer_load_dword v18, off, s[0:3], s32 offset:192
	buffer_load_dword v19, off, s[0:3], s32 offset:196
	;; [unrolled: 1-line block ×3, first 2 shown]
	v_mul_f32_e32 v17, v26, v22
	v_mul_f32_e32 v16, v26, v16
	;; [unrolled: 1-line block ×5, first 2 shown]
	v_cmp_u_f32_e64 s4, v17, v17
	v_bfe_u32 v20, v16, 16, 1
	v_or_b32_e32 v22, 0x400000, v16
	v_bfe_u32 v23, v13, 16, 1
	v_or_b32_e32 v24, 0x400000, v13
	v_mul_f32_e32 v4, v26, v4
	v_add3_u32 v20, v20, v16, 0x7fff
	v_mul_f32_e32 v10, v26, v10
	v_or_b32_e32 v110, 1, v89
	v_or_b32_e32 v106, 2, v89
	;; [unrolled: 1-line block ×7, first 2 shown]
	s_waitcnt vmcnt(0)
	v_cmp_eq_u32_e32 vcc_lo, v18, v19
	v_bfe_u32 v18, v17, 16, 1
	v_or_b32_e32 v19, 0x400000, v17
	v_add3_u32 v18, v18, v17, 0x7fff
	v_cndmask_b32_e64 v17, v18, v19, s4
	v_cmp_u_f32_e64 s4, v16, v16
	v_add3_u32 v19, v23, v13, 0x7fff
	v_bfe_u32 v18, v12, 16, 1
	v_lshrrev_b32_e32 v17, 16, v17
	v_cndmask_b32_e64 v16, v20, v22, s4
	v_cmp_u_f32_e64 s4, v13, v13
	buffer_store_dword v17, off, s[0:3], s32 offset:212 ; 4-byte Folded Spill
	v_add3_u32 v17, v18, v12, 0x7fff
	v_cndmask_b32_e64 v13, v19, v24, s4
	v_or_b32_e32 v18, 0x400000, v12
	v_lshrrev_b32_e32 v16, 16, v16
	v_cmp_u_f32_e64 s4, v12, v12
	v_lshrrev_b32_e32 v13, 16, v13
	buffer_store_dword v16, off, s[0:3], s32 offset:204 ; 4-byte Folded Spill
	v_cndmask_b32_e64 v12, v17, v18, s4
	v_mul_f32_e32 v16, v26, v21
	buffer_store_dword v13, off, s[0:3], s32 offset:216 ; 4-byte Folded Spill
	v_bfe_u32 v13, v5, 16, 1
	v_or_b32_e32 v17, 0x400000, v5
	v_bfe_u32 v18, v4, 16, 1
	v_cmp_u_f32_e64 s4, v5, v5
	v_bfe_u32 v19, v16, 16, 1
	v_add3_u32 v13, v13, v5, 0x7fff
	v_or_b32_e32 v20, 0x400000, v16
	v_or_b32_e32 v21, 0x400000, v10
	v_lshrrev_b32_e32 v12, 16, v12
	v_add3_u32 v19, v19, v16, 0x7fff
	v_cndmask_b32_e64 v5, v13, v17, s4
	v_add3_u32 v17, v18, v4, 0x7fff
	v_or_b32_e32 v18, 0x400000, v4
	v_cmp_u_f32_e64 s4, v4, v4
	v_bfe_u32 v13, v10, 16, 1
	v_lshrrev_b32_e32 v5, 16, v5
	buffer_store_dword v12, off, s[0:3], s32 offset:220 ; 4-byte Folded Spill
	v_cndmask_b32_e64 v4, v17, v18, s4
	v_cmp_u_f32_e64 s4, v16, v16
	v_add3_u32 v13, v13, v10, 0x7fff
	buffer_store_dword v5, off, s[0:3], s32 offset:228 ; 4-byte Folded Spill
	v_lshrrev_b32_e32 v4, 16, v4
	v_cndmask_b32_e64 v16, v19, v20, s4
	v_cmp_u_f32_e64 s4, v10, v10
	buffer_store_dword v4, off, s[0:3], s32 offset:224 ; 4-byte Folded Spill
	v_lshrrev_b32_e32 v4, 16, v16
	v_cndmask_b32_e64 v10, v13, v21, s4
	buffer_store_dword v4, off, s[0:3], s32 offset:200 ; 4-byte Folded Spill
	v_lshrrev_b32_e32 v4, 16, v10
	buffer_store_dword v4, off, s[0:3], s32 offset:208 ; 4-byte Folded Spill
	s_and_saveexec_b32 s13, vcc_lo
	s_cbranch_execz .LBB397_1633
; %bb.1632:                             ;   in Loop: Header=BB397_1567 Depth=1
	buffer_load_dword v4, off, s[0:3], s32 offset:224 ; 4-byte Folded Reload
	v_cmp_lt_i32_e64 s4, v89, v107
	s_waitcnt vmcnt(0)
	v_cndmask_b32_e64 v4, 0, v4, s4
	v_cmp_lt_i32_e64 s4, v110, v107
	buffer_store_dword v4, off, s[0:3], s32 offset:224 ; 4-byte Folded Spill
	buffer_load_dword v4, off, s[0:3], s32 offset:228 ; 4-byte Folded Reload
	s_waitcnt vmcnt(0)
	v_cndmask_b32_e64 v4, 0, v4, s4
	v_cmp_lt_i32_e64 s4, v106, v107
	buffer_store_dword v4, off, s[0:3], s32 offset:228 ; 4-byte Folded Spill
	buffer_load_dword v4, off, s[0:3], s32 offset:220 ; 4-byte Folded Reload
	;; [unrolled: 5-line block ×7, first 2 shown]
	s_waitcnt vmcnt(0)
	v_cndmask_b32_e64 v4, 0, v4, s4
	buffer_store_dword v4, off, s[0:3], s32 offset:208 ; 4-byte Folded Spill
.LBB397_1633:                           ;   in Loop: Header=BB397_1567 Depth=1
	s_or_b32 exec_lo, exec_lo, s13
	flat_load_dwordx2 v[17:18], v[14:15] offset:256
	v_mov_b32_e32 v5, 0
	v_mov_b32_e32 v4, 0
	s_waitcnt vmcnt(0) lgkmcnt(0)
	v_cmp_ne_u16_sdwa s4, v17, v11 src0_sel:BYTE_0 src1_sel:DWORD
	s_and_saveexec_b32 s13, s4
	s_cbranch_execz .LBB397_1641
; %bb.1634:                             ;   in Loop: Header=BB397_1567 Depth=1
	v_cmp_ne_u16_sdwa s4, v17, v84 src0_sel:BYTE_0 src1_sel:DWORD
	v_bfrev_b32_e32 v4, 1
	s_and_saveexec_b32 s15, s4
	s_cbranch_execz .LBB397_1640
; %bb.1635:                             ;   in Loop: Header=BB397_1567 Depth=1
	v_and_b32_e32 v10, 0x7f, v17
	v_mov_b32_e32 v4, 0x7f800001
	s_mov_b32 s18, exec_lo
	v_cmpx_ne_u32_e32 0x7f, v10
	s_cbranch_execz .LBB397_1639
; %bb.1636:                             ;   in Loop: Header=BB397_1567 Depth=1
	v_mov_b32_e32 v20, v18
	v_lshrrev_b32_e32 v4, 3, v10
	v_mov_b32_e32 v19, v17
	s_mov_b32 s20, exec_lo
	v_cmpx_gt_u32_e32 8, v10
; %bb.1637:                             ;   in Loop: Header=BB397_1567 Depth=1
	v_and_b32_e32 v4, 7, v17
	v_ffbh_u32_e32 v4, v4
	v_min_u32_e32 v4, 32, v4
	v_subrev_nc_u32_e32 v10, 28, v4
	v_sub_nc_u32_e32 v4, 29, v4
	v_lshlrev_b64 v[19:20], v10, v[17:18]
; %bb.1638:                             ;   in Loop: Header=BB397_1567 Depth=1
	s_or_b32 exec_lo, exec_lo, s20
	v_lshlrev_b32_e32 v10, 20, v19
	v_lshlrev_b32_e32 v12, 24, v17
	v_lshl_add_u32 v4, v4, 23, 0x3c000000
	v_and_b32_e32 v10, 0x700000, v10
	v_and_b32_e32 v12, 0x80000000, v12
	v_or3_b32 v4, v10, v12, v4
.LBB397_1639:                           ;   in Loop: Header=BB397_1567 Depth=1
	s_or_b32 exec_lo, exec_lo, s18
.LBB397_1640:                           ;   in Loop: Header=BB397_1567 Depth=1
	s_or_b32 exec_lo, exec_lo, s15
.LBB397_1641:                           ;   in Loop: Header=BB397_1567 Depth=1
	s_or_b32 exec_lo, exec_lo, s13
	v_cmp_ne_u16_sdwa s4, v17, v11 src0_sel:BYTE_1 src1_sel:DWORD
	s_and_saveexec_b32 s13, s4
	s_cbranch_execz .LBB397_1649
; %bb.1642:                             ;   in Loop: Header=BB397_1567 Depth=1
	v_cmp_ne_u16_sdwa s4, v17, v84 src0_sel:BYTE_1 src1_sel:DWORD
	v_bfrev_b32_e32 v5, 1
	s_and_saveexec_b32 s15, s4
	s_cbranch_execz .LBB397_1648
; %bb.1643:                             ;   in Loop: Header=BB397_1567 Depth=1
	v_mov_b32_e32 v5, 0xffff
	s_mov_b32 s18, exec_lo
	v_and_b32_sdwa v10, v5, v17 dst_sel:DWORD dst_unused:UNUSED_PAD src0_sel:DWORD src1_sel:BYTE_1
	v_mov_b32_e32 v5, 0x7f800001
	v_and_b32_e32 v12, 0x7f, v10
	v_cmpx_ne_u32_e32 0x7f, v12
	s_cbranch_execz .LBB397_1647
; %bb.1644:                             ;   in Loop: Header=BB397_1567 Depth=1
	v_and_b32_e32 v10, 7, v10
	v_mov_b32_e32 v20, v11
	v_lshrrev_b32_e32 v5, 3, v12
	s_mov_b32 s20, exec_lo
	v_mov_b32_e32 v19, v10
	v_cmpx_gt_u32_e32 8, v12
; %bb.1645:                             ;   in Loop: Header=BB397_1567 Depth=1
	v_ffbh_u32_e32 v5, v10
	v_min_u32_e32 v5, 32, v5
	v_subrev_nc_u32_e32 v12, 28, v5
	v_sub_nc_u32_e32 v5, 29, v5
	v_lshlrev_b64 v[12:13], v12, v[10:11]
	v_and_b32_e32 v19, 7, v12
; %bb.1646:                             ;   in Loop: Header=BB397_1567 Depth=1
	s_or_b32 exec_lo, exec_lo, s20
	v_lshlrev_b32_e32 v10, 16, v17
	v_lshlrev_b32_e32 v12, 20, v19
	v_lshl_add_u32 v5, v5, 23, 0x3c000000
	v_and_b32_e32 v10, 0x80000000, v10
	v_or3_b32 v5, v12, v10, v5
.LBB397_1647:                           ;   in Loop: Header=BB397_1567 Depth=1
	s_or_b32 exec_lo, exec_lo, s18
.LBB397_1648:                           ;   in Loop: Header=BB397_1567 Depth=1
	s_or_b32 exec_lo, exec_lo, s15
.LBB397_1649:                           ;   in Loop: Header=BB397_1567 Depth=1
	s_or_b32 exec_lo, exec_lo, s13
	v_and_b32_sdwa v10, v17, v86 dst_sel:DWORD dst_unused:UNUSED_PAD src0_sel:WORD_1 src1_sel:DWORD
	v_mov_b32_e32 v13, 0
	v_mov_b32_e32 v12, 0
	s_mov_b32 s13, exec_lo
	v_cmpx_ne_u16_e32 0, v10
	s_cbranch_execz .LBB397_1657
; %bb.1650:                             ;   in Loop: Header=BB397_1567 Depth=1
	v_bfrev_b32_e32 v12, 1
	s_mov_b32 s15, exec_lo
	v_cmpx_ne_u16_e32 0x80, v10
	s_cbranch_execz .LBB397_1656
; %bb.1651:                             ;   in Loop: Header=BB397_1567 Depth=1
	v_bfe_u32 v16, v17, 16, 7
	v_mov_b32_e32 v12, 0x7f800001
	s_mov_b32 s18, exec_lo
	v_cmpx_ne_u32_e32 0x7f, v16
	s_cbranch_execz .LBB397_1655
; %bb.1652:                             ;   in Loop: Header=BB397_1567 Depth=1
	v_mov_b32_e32 v10, 7
	v_lshrrev_b32_e32 v12, 3, v16
	s_mov_b32 s20, exec_lo
	v_and_b32_sdwa v10, v17, v10 dst_sel:DWORD dst_unused:UNUSED_PAD src0_sel:WORD_1 src1_sel:DWORD
	v_mov_b32_e32 v20, v11
	v_mov_b32_e32 v19, v10
	v_cmpx_gt_u32_e32 8, v16
; %bb.1653:                             ;   in Loop: Header=BB397_1567 Depth=1
	v_ffbh_u32_e32 v12, v10
	v_min_u32_e32 v12, 32, v12
	v_subrev_nc_u32_e32 v16, 28, v12
	v_sub_nc_u32_e32 v12, 29, v12
	v_lshlrev_b64 v[19:20], v16, v[10:11]
	v_and_b32_e32 v19, 7, v19
; %bb.1654:                             ;   in Loop: Header=BB397_1567 Depth=1
	s_or_b32 exec_lo, exec_lo, s20
	v_mov_b32_e32 v10, 24
	v_lshlrev_b32_e32 v16, 20, v19
	v_lshl_add_u32 v12, v12, 23, 0x3c000000
	v_lshlrev_b32_sdwa v10, v10, v17 dst_sel:DWORD dst_unused:UNUSED_PAD src0_sel:DWORD src1_sel:WORD_1
	v_and_b32_e32 v10, 0x80000000, v10
	v_or3_b32 v12, v16, v10, v12
.LBB397_1655:                           ;   in Loop: Header=BB397_1567 Depth=1
	s_or_b32 exec_lo, exec_lo, s18
.LBB397_1656:                           ;   in Loop: Header=BB397_1567 Depth=1
	s_or_b32 exec_lo, exec_lo, s15
.LBB397_1657:                           ;   in Loop: Header=BB397_1567 Depth=1
	s_or_b32 exec_lo, exec_lo, s13
	s_mov_b32 s13, exec_lo
	v_cmpx_lt_u32_e32 0xffffff, v17
	s_cbranch_execz .LBB397_1665
; %bb.1658:                             ;   in Loop: Header=BB397_1567 Depth=1
	v_cmp_ne_u32_sdwa s4, v17, v84 src0_sel:BYTE_3 src1_sel:DWORD
	v_bfrev_b32_e32 v13, 1
	s_and_saveexec_b32 s15, s4
	s_cbranch_execz .LBB397_1664
; %bb.1659:                             ;   in Loop: Header=BB397_1567 Depth=1
	v_bfe_u32 v16, v17, 24, 7
	v_mov_b32_e32 v13, 0x7f800001
	s_mov_b32 s18, exec_lo
	v_cmpx_ne_u32_e32 0x7f, v16
	s_cbranch_execz .LBB397_1663
; %bb.1660:                             ;   in Loop: Header=BB397_1567 Depth=1
	v_mov_b32_e32 v10, 7
	v_lshrrev_b32_e32 v13, 3, v16
	s_mov_b32 s20, exec_lo
	v_and_b32_sdwa v10, v17, v10 dst_sel:DWORD dst_unused:UNUSED_PAD src0_sel:BYTE_3 src1_sel:DWORD
	v_mov_b32_e32 v20, v11
	v_mov_b32_e32 v19, v10
	v_cmpx_gt_u32_e32 8, v16
; %bb.1661:                             ;   in Loop: Header=BB397_1567 Depth=1
	v_ffbh_u32_e32 v13, v10
	v_min_u32_e32 v13, 32, v13
	v_subrev_nc_u32_e32 v16, 28, v13
	v_sub_nc_u32_e32 v13, 29, v13
	v_lshlrev_b64 v[19:20], v16, v[10:11]
	v_and_b32_e32 v19, 7, v19
; %bb.1662:                             ;   in Loop: Header=BB397_1567 Depth=1
	s_or_b32 exec_lo, exec_lo, s20
	v_mov_b32_e32 v10, 24
	v_lshlrev_b32_e32 v16, 20, v19
	v_lshl_add_u32 v13, v13, 23, 0x3c000000
	v_lshlrev_b32_sdwa v10, v10, v17 dst_sel:DWORD dst_unused:UNUSED_PAD src0_sel:DWORD src1_sel:BYTE_3
	v_and_b32_e32 v10, 0x80000000, v10
	v_or3_b32 v13, v16, v10, v13
.LBB397_1663:                           ;   in Loop: Header=BB397_1567 Depth=1
	s_or_b32 exec_lo, exec_lo, s18
.LBB397_1664:                           ;   in Loop: Header=BB397_1567 Depth=1
	s_or_b32 exec_lo, exec_lo, s15
.LBB397_1665:                           ;   in Loop: Header=BB397_1567 Depth=1
	s_or_b32 exec_lo, exec_lo, s13
	v_mov_b32_e32 v10, v18
	v_cmp_ne_u16_sdwa s4, v18, v11 src0_sel:BYTE_0 src1_sel:DWORD
	v_mov_b32_e32 v21, 0
	v_mov_b32_e32 v16, 0
	s_and_saveexec_b32 s13, s4
	s_cbranch_execz .LBB397_1673
; %bb.1666:                             ;   in Loop: Header=BB397_1567 Depth=1
	v_cmp_ne_u16_sdwa s4, v18, v84 src0_sel:BYTE_0 src1_sel:DWORD
	v_bfrev_b32_e32 v16, 1
	s_and_saveexec_b32 s15, s4
	s_cbranch_execz .LBB397_1672
; %bb.1667:                             ;   in Loop: Header=BB397_1567 Depth=1
	v_and_b32_e32 v19, 0x7f, v18
	v_mov_b32_e32 v16, 0x7f800001
	s_mov_b32 s18, exec_lo
	v_cmpx_ne_u32_e32 0x7f, v19
	s_cbranch_execz .LBB397_1671
; %bb.1668:                             ;   in Loop: Header=BB397_1567 Depth=1
	v_lshrrev_b32_e32 v16, 3, v19
	v_cmp_gt_u32_e64 s4, 8, v19
	v_mov_b32_e32 v20, v11
	v_mov_b32_e32 v19, v10
	s_and_saveexec_b32 s20, s4
; %bb.1669:                             ;   in Loop: Header=BB397_1567 Depth=1
	v_and_b32_e32 v16, 7, v18
	v_ffbh_u32_e32 v16, v16
	v_min_u32_e32 v16, 32, v16
	v_subrev_nc_u32_e32 v19, 28, v16
	v_sub_nc_u32_e32 v16, 29, v16
	v_lshlrev_b64 v[19:20], v19, v[10:11]
; %bb.1670:                             ;   in Loop: Header=BB397_1567 Depth=1
	s_or_b32 exec_lo, exec_lo, s20
	v_lshlrev_b32_e32 v19, 20, v19
	v_lshlrev_b32_e32 v20, 24, v10
	v_lshl_add_u32 v16, v16, 23, 0x3c000000
	v_and_b32_e32 v19, 0x700000, v19
	v_and_b32_e32 v20, 0x80000000, v20
	v_or3_b32 v16, v19, v20, v16
.LBB397_1671:                           ;   in Loop: Header=BB397_1567 Depth=1
	s_or_b32 exec_lo, exec_lo, s18
.LBB397_1672:                           ;   in Loop: Header=BB397_1567 Depth=1
	s_or_b32 exec_lo, exec_lo, s15
.LBB397_1673:                           ;   in Loop: Header=BB397_1567 Depth=1
	s_or_b32 exec_lo, exec_lo, s13
	v_cmp_ne_u16_sdwa s4, v10, v11 src0_sel:BYTE_1 src1_sel:DWORD
	s_and_saveexec_b32 s13, s4
	s_cbranch_execz .LBB397_1681
; %bb.1674:                             ;   in Loop: Header=BB397_1567 Depth=1
	v_cmp_ne_u16_sdwa s4, v10, v84 src0_sel:BYTE_1 src1_sel:DWORD
	v_bfrev_b32_e32 v21, 1
	s_and_saveexec_b32 s15, s4
	s_cbranch_execz .LBB397_1680
; %bb.1675:                             ;   in Loop: Header=BB397_1567 Depth=1
	v_mov_b32_e32 v19, 0xffff
	v_mov_b32_e32 v21, 0x7f800001
	s_mov_b32 s18, exec_lo
	v_and_b32_sdwa v19, v19, v10 dst_sel:DWORD dst_unused:UNUSED_PAD src0_sel:DWORD src1_sel:BYTE_1
	v_and_b32_e32 v22, 0x7f, v19
	v_cmpx_ne_u32_e32 0x7f, v22
	s_cbranch_execz .LBB397_1679
; %bb.1676:                             ;   in Loop: Header=BB397_1567 Depth=1
	v_and_b32_e32 v19, 7, v19
	v_mov_b32_e32 v20, v11
	v_lshrrev_b32_e32 v21, 3, v22
	s_mov_b32 s20, exec_lo
	v_cmpx_gt_u32_e32 8, v22
; %bb.1677:                             ;   in Loop: Header=BB397_1567 Depth=1
	v_ffbh_u32_e32 v21, v19
	v_min_u32_e32 v21, 32, v21
	v_subrev_nc_u32_e32 v22, 28, v21
	v_sub_nc_u32_e32 v21, 29, v21
	v_lshlrev_b64 v[19:20], v22, v[19:20]
	v_and_b32_e32 v19, 7, v19
; %bb.1678:                             ;   in Loop: Header=BB397_1567 Depth=1
	s_or_b32 exec_lo, exec_lo, s20
	v_lshlrev_b32_e32 v10, 16, v10
	v_lshlrev_b32_e32 v19, 20, v19
	v_lshl_add_u32 v20, v21, 23, 0x3c000000
	v_and_b32_e32 v10, 0x80000000, v10
	v_or3_b32 v21, v19, v10, v20
.LBB397_1679:                           ;   in Loop: Header=BB397_1567 Depth=1
	s_or_b32 exec_lo, exec_lo, s18
.LBB397_1680:                           ;   in Loop: Header=BB397_1567 Depth=1
	s_or_b32 exec_lo, exec_lo, s15
.LBB397_1681:                           ;   in Loop: Header=BB397_1567 Depth=1
	s_or_b32 exec_lo, exec_lo, s13
	v_and_b32_sdwa v10, v18, v86 dst_sel:DWORD dst_unused:UNUSED_PAD src0_sel:WORD_1 src1_sel:DWORD
	v_mov_b32_e32 v22, 0
	v_mov_b32_e32 v23, 0
	s_mov_b32 s13, exec_lo
	v_cmpx_ne_u16_e32 0, v10
	s_cbranch_execz .LBB397_1689
; %bb.1682:                             ;   in Loop: Header=BB397_1567 Depth=1
	v_bfrev_b32_e32 v23, 1
	s_mov_b32 s15, exec_lo
	v_cmpx_ne_u16_e32 0x80, v10
	s_cbranch_execz .LBB397_1688
; %bb.1683:                             ;   in Loop: Header=BB397_1567 Depth=1
	v_bfe_u32 v19, v18, 16, 7
	v_mov_b32_e32 v23, 0x7f800001
	s_mov_b32 s18, exec_lo
	v_cmpx_ne_u32_e32 0x7f, v19
	s_cbranch_execz .LBB397_1687
; %bb.1684:                             ;   in Loop: Header=BB397_1567 Depth=1
	v_mov_b32_e32 v10, 7
	v_lshrrev_b32_e32 v23, 3, v19
	v_cmp_gt_u32_e64 s4, 8, v19
	v_and_b32_sdwa v10, v18, v10 dst_sel:DWORD dst_unused:UNUSED_PAD src0_sel:WORD_1 src1_sel:DWORD
	v_mov_b32_e32 v20, v11
	v_mov_b32_e32 v19, v10
	s_and_saveexec_b32 s20, s4
; %bb.1685:                             ;   in Loop: Header=BB397_1567 Depth=1
	v_ffbh_u32_e32 v19, v10
	v_min_u32_e32 v23, 32, v19
	v_subrev_nc_u32_e32 v19, 28, v23
	v_sub_nc_u32_e32 v23, 29, v23
	v_lshlrev_b64 v[19:20], v19, v[10:11]
	v_and_b32_e32 v19, 7, v19
; %bb.1686:                             ;   in Loop: Header=BB397_1567 Depth=1
	s_or_b32 exec_lo, exec_lo, s20
	v_mov_b32_e32 v10, 24
	v_lshlrev_b32_e32 v19, 20, v19
	v_lshl_add_u32 v20, v23, 23, 0x3c000000
	v_lshlrev_b32_sdwa v10, v10, v18 dst_sel:DWORD dst_unused:UNUSED_PAD src0_sel:DWORD src1_sel:WORD_1
	v_and_b32_e32 v10, 0x80000000, v10
	v_or3_b32 v23, v19, v10, v20
.LBB397_1687:                           ;   in Loop: Header=BB397_1567 Depth=1
	s_or_b32 exec_lo, exec_lo, s18
.LBB397_1688:                           ;   in Loop: Header=BB397_1567 Depth=1
	s_or_b32 exec_lo, exec_lo, s15
.LBB397_1689:                           ;   in Loop: Header=BB397_1567 Depth=1
	s_or_b32 exec_lo, exec_lo, s13
	s_mov_b32 s13, exec_lo
	v_cmpx_lt_u64_e64 s[8:9], v[17:18]
	s_cbranch_execz .LBB397_1697
; %bb.1690:                             ;   in Loop: Header=BB397_1567 Depth=1
	v_cmp_ne_u32_sdwa s4, v18, v84 src0_sel:BYTE_3 src1_sel:DWORD
	v_bfrev_b32_e32 v22, 1
	s_and_saveexec_b32 s15, s4
	s_cbranch_execz .LBB397_1696
; %bb.1691:                             ;   in Loop: Header=BB397_1567 Depth=1
	v_bfe_u32 v19, v18, 24, 7
	v_mov_b32_e32 v22, 0x7f800001
	s_mov_b32 s18, exec_lo
	v_cmpx_ne_u32_e32 0x7f, v19
	s_cbranch_execz .LBB397_1695
; %bb.1692:                             ;   in Loop: Header=BB397_1567 Depth=1
	v_mov_b32_e32 v10, 7
	v_lshrrev_b32_e32 v17, 3, v19
	v_cmp_gt_u32_e64 s4, 8, v19
	v_and_b32_sdwa v10, v18, v10 dst_sel:DWORD dst_unused:UNUSED_PAD src0_sel:BYTE_3 src1_sel:DWORD
	v_mov_b32_e32 v20, v11
	v_mov_b32_e32 v19, v10
	s_and_saveexec_b32 s20, s4
; %bb.1693:                             ;   in Loop: Header=BB397_1567 Depth=1
	v_ffbh_u32_e32 v17, v10
	v_min_u32_e32 v17, 32, v17
	v_subrev_nc_u32_e32 v19, 28, v17
	v_sub_nc_u32_e32 v17, 29, v17
	v_lshlrev_b64 v[19:20], v19, v[10:11]
	v_and_b32_e32 v19, 7, v19
; %bb.1694:                             ;   in Loop: Header=BB397_1567 Depth=1
	s_or_b32 exec_lo, exec_lo, s20
	v_mov_b32_e32 v10, 24
	v_lshl_add_u32 v17, v17, 23, 0x3c000000
	v_lshlrev_b32_sdwa v10, v10, v18 dst_sel:DWORD dst_unused:UNUSED_PAD src0_sel:DWORD src1_sel:BYTE_3
	v_lshlrev_b32_e32 v18, 20, v19
	v_and_b32_e32 v10, 0x80000000, v10
	v_or3_b32 v22, v18, v10, v17
.LBB397_1695:                           ;   in Loop: Header=BB397_1567 Depth=1
	s_or_b32 exec_lo, exec_lo, s18
.LBB397_1696:                           ;   in Loop: Header=BB397_1567 Depth=1
	s_or_b32 exec_lo, exec_lo, s15
.LBB397_1697:                           ;   in Loop: Header=BB397_1567 Depth=1
	s_or_b32 exec_lo, exec_lo, s13
	v_mul_f32_e32 v10, v26, v21
	v_mul_f32_e32 v16, v26, v16
	;; [unrolled: 1-line block ×5, first 2 shown]
	v_bfe_u32 v17, v10, 16, 1
	v_or_b32_e32 v18, 0x400000, v10
	v_bfe_u32 v19, v16, 16, 1
	v_cmp_u_f32_e64 s4, v10, v10
	v_or_b32_e32 v20, 0x400000, v16
	v_add3_u32 v17, v17, v10, 0x7fff
	v_bfe_u32 v21, v13, 16, 1
	v_add3_u32 v19, v19, v16, 0x7fff
	v_or_b32_e32 v24, 0x400000, v13
	v_bfe_u32 v25, v12, 16, 1
	v_cndmask_b32_e64 v10, v17, v18, s4
	v_cmp_u_f32_e64 s4, v16, v16
	v_add3_u32 v21, v21, v13, 0x7fff
	v_or_b32_e32 v17, 0x400000, v12
	v_mul_f32_e32 v4, v26, v4
	v_lshrrev_b32_e32 v10, 16, v10
	v_cndmask_b32_e64 v16, v19, v20, s4
	v_cmp_u_f32_e64 s4, v13, v13
	v_bfe_u32 v18, v4, 16, 1
	buffer_store_dword v10, off, s[0:3], s32 offset:244 ; 4-byte Folded Spill
	v_add3_u32 v10, v25, v12, 0x7fff
	v_cndmask_b32_e64 v13, v21, v24, s4
	v_lshrrev_b32_e32 v16, 16, v16
	v_cmp_u_f32_e64 s4, v12, v12
	v_mul_f32_e32 v12, v26, v23
	v_lshrrev_b32_e32 v13, 16, v13
	buffer_store_dword v16, off, s[0:3], s32 offset:236 ; 4-byte Folded Spill
	v_cndmask_b32_e64 v10, v10, v17, s4
	v_or_b32_e32 v16, 0x400000, v5
	v_cmp_u_f32_e64 s4, v5, v5
	buffer_store_dword v13, off, s[0:3], s32 offset:248 ; 4-byte Folded Spill
	v_bfe_u32 v13, v5, 16, 1
	v_mul_f32_e32 v17, v26, v22
	v_bfe_u32 v19, v12, 16, 1
	v_or_b32_e32 v20, 0x400000, v12
	v_lshrrev_b32_e32 v10, 16, v10
	v_add3_u32 v13, v13, v5, 0x7fff
	v_or_b32_e32 v21, 0x400000, v17
	v_add3_u32 v19, v19, v12, 0x7fff
	buffer_store_dword v10, off, s[0:3], s32 offset:252 ; 4-byte Folded Spill
	v_cndmask_b32_e64 v5, v13, v16, s4
	v_add3_u32 v16, v18, v4, 0x7fff
	v_or_b32_e32 v18, 0x400000, v4
	v_cmp_u_f32_e64 s4, v4, v4
	v_bfe_u32 v13, v17, 16, 1
	v_lshrrev_b32_e32 v5, 16, v5
	v_cndmask_b32_e64 v4, v16, v18, s4
	v_cmp_u_f32_e64 s4, v12, v12
	v_add3_u32 v13, v13, v17, 0x7fff
	buffer_store_dword v5, off, s[0:3], s32 offset:260 ; 4-byte Folded Spill
	v_lshrrev_b32_e32 v4, 16, v4
	v_cndmask_b32_e64 v12, v19, v20, s4
	v_cmp_u_f32_e64 s4, v17, v17
	buffer_store_dword v4, off, s[0:3], s32 offset:256 ; 4-byte Folded Spill
	v_lshrrev_b32_e32 v4, 16, v12
	v_cndmask_b32_e64 v13, v13, v21, s4
	buffer_store_dword v4, off, s[0:3], s32 offset:232 ; 4-byte Folded Spill
	v_lshrrev_b32_e32 v4, 16, v13
	buffer_store_dword v4, off, s[0:3], s32 offset:240 ; 4-byte Folded Spill
	s_and_saveexec_b32 s13, vcc_lo
	s_cbranch_execz .LBB397_1699
; %bb.1698:                             ;   in Loop: Header=BB397_1567 Depth=1
	buffer_load_dword v4, off, s[0:3], s32 offset:256 ; 4-byte Folded Reload
	v_cmp_lt_i32_e64 s4, v89, v107
	s_waitcnt vmcnt(0)
	v_cndmask_b32_e64 v4, 0, v4, s4
	v_cmp_lt_i32_e64 s4, v110, v107
	buffer_store_dword v4, off, s[0:3], s32 offset:256 ; 4-byte Folded Spill
	buffer_load_dword v4, off, s[0:3], s32 offset:260 ; 4-byte Folded Reload
	s_waitcnt vmcnt(0)
	v_cndmask_b32_e64 v4, 0, v4, s4
	v_cmp_lt_i32_e64 s4, v106, v107
	buffer_store_dword v4, off, s[0:3], s32 offset:260 ; 4-byte Folded Spill
	buffer_load_dword v4, off, s[0:3], s32 offset:252 ; 4-byte Folded Reload
	;; [unrolled: 5-line block ×7, first 2 shown]
	s_waitcnt vmcnt(0)
	v_cndmask_b32_e64 v4, 0, v4, s4
	buffer_store_dword v4, off, s[0:3], s32 offset:240 ; 4-byte Folded Spill
.LBB397_1699:                           ;   in Loop: Header=BB397_1567 Depth=1
	s_or_b32 exec_lo, exec_lo, s13
	flat_load_dwordx2 v[17:18], v[14:15] offset:512
	v_mov_b32_e32 v5, 0
	v_mov_b32_e32 v4, 0
	s_waitcnt vmcnt(0) lgkmcnt(0)
	v_cmp_ne_u16_sdwa s4, v17, v11 src0_sel:BYTE_0 src1_sel:DWORD
	s_and_saveexec_b32 s13, s4
	s_cbranch_execz .LBB397_1707
; %bb.1700:                             ;   in Loop: Header=BB397_1567 Depth=1
	v_cmp_ne_u16_sdwa s4, v17, v84 src0_sel:BYTE_0 src1_sel:DWORD
	v_bfrev_b32_e32 v4, 1
	s_and_saveexec_b32 s15, s4
	s_cbranch_execz .LBB397_1706
; %bb.1701:                             ;   in Loop: Header=BB397_1567 Depth=1
	v_and_b32_e32 v10, 0x7f, v17
	v_mov_b32_e32 v4, 0x7f800001
	s_mov_b32 s18, exec_lo
	v_cmpx_ne_u32_e32 0x7f, v10
	s_cbranch_execz .LBB397_1705
; %bb.1702:                             ;   in Loop: Header=BB397_1567 Depth=1
	v_mov_b32_e32 v20, v18
	v_lshrrev_b32_e32 v4, 3, v10
	v_mov_b32_e32 v19, v17
	s_mov_b32 s20, exec_lo
	v_cmpx_gt_u32_e32 8, v10
; %bb.1703:                             ;   in Loop: Header=BB397_1567 Depth=1
	v_and_b32_e32 v4, 7, v17
	v_ffbh_u32_e32 v4, v4
	v_min_u32_e32 v4, 32, v4
	v_subrev_nc_u32_e32 v10, 28, v4
	v_sub_nc_u32_e32 v4, 29, v4
	v_lshlrev_b64 v[19:20], v10, v[17:18]
; %bb.1704:                             ;   in Loop: Header=BB397_1567 Depth=1
	s_or_b32 exec_lo, exec_lo, s20
	v_lshlrev_b32_e32 v10, 20, v19
	v_lshlrev_b32_e32 v12, 24, v17
	v_lshl_add_u32 v4, v4, 23, 0x3c000000
	v_and_b32_e32 v10, 0x700000, v10
	v_and_b32_e32 v12, 0x80000000, v12
	v_or3_b32 v4, v10, v12, v4
.LBB397_1705:                           ;   in Loop: Header=BB397_1567 Depth=1
	s_or_b32 exec_lo, exec_lo, s18
.LBB397_1706:                           ;   in Loop: Header=BB397_1567 Depth=1
	s_or_b32 exec_lo, exec_lo, s15
.LBB397_1707:                           ;   in Loop: Header=BB397_1567 Depth=1
	s_or_b32 exec_lo, exec_lo, s13
	v_cmp_ne_u16_sdwa s4, v17, v11 src0_sel:BYTE_1 src1_sel:DWORD
	s_and_saveexec_b32 s13, s4
	s_cbranch_execz .LBB397_1715
; %bb.1708:                             ;   in Loop: Header=BB397_1567 Depth=1
	v_cmp_ne_u16_sdwa s4, v17, v84 src0_sel:BYTE_1 src1_sel:DWORD
	v_bfrev_b32_e32 v5, 1
	s_and_saveexec_b32 s15, s4
	s_cbranch_execz .LBB397_1714
; %bb.1709:                             ;   in Loop: Header=BB397_1567 Depth=1
	v_mov_b32_e32 v5, 0xffff
	s_mov_b32 s18, exec_lo
	v_and_b32_sdwa v10, v5, v17 dst_sel:DWORD dst_unused:UNUSED_PAD src0_sel:DWORD src1_sel:BYTE_1
	v_mov_b32_e32 v5, 0x7f800001
	v_and_b32_e32 v12, 0x7f, v10
	v_cmpx_ne_u32_e32 0x7f, v12
	s_cbranch_execz .LBB397_1713
; %bb.1710:                             ;   in Loop: Header=BB397_1567 Depth=1
	v_and_b32_e32 v10, 7, v10
	v_mov_b32_e32 v20, v11
	v_lshrrev_b32_e32 v5, 3, v12
	s_mov_b32 s20, exec_lo
	v_mov_b32_e32 v19, v10
	v_cmpx_gt_u32_e32 8, v12
; %bb.1711:                             ;   in Loop: Header=BB397_1567 Depth=1
	v_ffbh_u32_e32 v5, v10
	v_min_u32_e32 v5, 32, v5
	v_subrev_nc_u32_e32 v12, 28, v5
	v_sub_nc_u32_e32 v5, 29, v5
	v_lshlrev_b64 v[12:13], v12, v[10:11]
	v_and_b32_e32 v19, 7, v12
; %bb.1712:                             ;   in Loop: Header=BB397_1567 Depth=1
	s_or_b32 exec_lo, exec_lo, s20
	v_lshlrev_b32_e32 v10, 16, v17
	v_lshlrev_b32_e32 v12, 20, v19
	v_lshl_add_u32 v5, v5, 23, 0x3c000000
	v_and_b32_e32 v10, 0x80000000, v10
	v_or3_b32 v5, v12, v10, v5
.LBB397_1713:                           ;   in Loop: Header=BB397_1567 Depth=1
	s_or_b32 exec_lo, exec_lo, s18
.LBB397_1714:                           ;   in Loop: Header=BB397_1567 Depth=1
	s_or_b32 exec_lo, exec_lo, s15
.LBB397_1715:                           ;   in Loop: Header=BB397_1567 Depth=1
	s_or_b32 exec_lo, exec_lo, s13
	v_and_b32_sdwa v10, v17, v86 dst_sel:DWORD dst_unused:UNUSED_PAD src0_sel:WORD_1 src1_sel:DWORD
	v_mov_b32_e32 v13, 0
	v_mov_b32_e32 v12, 0
	s_mov_b32 s13, exec_lo
	v_cmpx_ne_u16_e32 0, v10
	s_cbranch_execz .LBB397_1723
; %bb.1716:                             ;   in Loop: Header=BB397_1567 Depth=1
	v_bfrev_b32_e32 v12, 1
	s_mov_b32 s15, exec_lo
	v_cmpx_ne_u16_e32 0x80, v10
	s_cbranch_execz .LBB397_1722
; %bb.1717:                             ;   in Loop: Header=BB397_1567 Depth=1
	v_bfe_u32 v16, v17, 16, 7
	v_mov_b32_e32 v12, 0x7f800001
	s_mov_b32 s18, exec_lo
	v_cmpx_ne_u32_e32 0x7f, v16
	s_cbranch_execz .LBB397_1721
; %bb.1718:                             ;   in Loop: Header=BB397_1567 Depth=1
	v_mov_b32_e32 v10, 7
	v_lshrrev_b32_e32 v12, 3, v16
	s_mov_b32 s20, exec_lo
	v_and_b32_sdwa v10, v17, v10 dst_sel:DWORD dst_unused:UNUSED_PAD src0_sel:WORD_1 src1_sel:DWORD
	v_mov_b32_e32 v20, v11
	v_mov_b32_e32 v19, v10
	v_cmpx_gt_u32_e32 8, v16
; %bb.1719:                             ;   in Loop: Header=BB397_1567 Depth=1
	v_ffbh_u32_e32 v12, v10
	v_min_u32_e32 v12, 32, v12
	v_subrev_nc_u32_e32 v16, 28, v12
	v_sub_nc_u32_e32 v12, 29, v12
	v_lshlrev_b64 v[19:20], v16, v[10:11]
	v_and_b32_e32 v19, 7, v19
; %bb.1720:                             ;   in Loop: Header=BB397_1567 Depth=1
	s_or_b32 exec_lo, exec_lo, s20
	v_mov_b32_e32 v10, 24
	v_lshlrev_b32_e32 v16, 20, v19
	v_lshl_add_u32 v12, v12, 23, 0x3c000000
	v_lshlrev_b32_sdwa v10, v10, v17 dst_sel:DWORD dst_unused:UNUSED_PAD src0_sel:DWORD src1_sel:WORD_1
	v_and_b32_e32 v10, 0x80000000, v10
	v_or3_b32 v12, v16, v10, v12
.LBB397_1721:                           ;   in Loop: Header=BB397_1567 Depth=1
	s_or_b32 exec_lo, exec_lo, s18
.LBB397_1722:                           ;   in Loop: Header=BB397_1567 Depth=1
	s_or_b32 exec_lo, exec_lo, s15
.LBB397_1723:                           ;   in Loop: Header=BB397_1567 Depth=1
	s_or_b32 exec_lo, exec_lo, s13
	s_mov_b32 s13, exec_lo
	v_cmpx_lt_u32_e32 0xffffff, v17
	s_cbranch_execz .LBB397_1731
; %bb.1724:                             ;   in Loop: Header=BB397_1567 Depth=1
	v_cmp_ne_u32_sdwa s4, v17, v84 src0_sel:BYTE_3 src1_sel:DWORD
	v_bfrev_b32_e32 v13, 1
	s_and_saveexec_b32 s15, s4
	s_cbranch_execz .LBB397_1730
; %bb.1725:                             ;   in Loop: Header=BB397_1567 Depth=1
	v_bfe_u32 v16, v17, 24, 7
	v_mov_b32_e32 v13, 0x7f800001
	s_mov_b32 s18, exec_lo
	v_cmpx_ne_u32_e32 0x7f, v16
	s_cbranch_execz .LBB397_1729
; %bb.1726:                             ;   in Loop: Header=BB397_1567 Depth=1
	v_mov_b32_e32 v10, 7
	v_lshrrev_b32_e32 v13, 3, v16
	s_mov_b32 s20, exec_lo
	v_and_b32_sdwa v10, v17, v10 dst_sel:DWORD dst_unused:UNUSED_PAD src0_sel:BYTE_3 src1_sel:DWORD
	v_mov_b32_e32 v20, v11
	v_mov_b32_e32 v19, v10
	v_cmpx_gt_u32_e32 8, v16
; %bb.1727:                             ;   in Loop: Header=BB397_1567 Depth=1
	v_ffbh_u32_e32 v13, v10
	v_min_u32_e32 v13, 32, v13
	v_subrev_nc_u32_e32 v16, 28, v13
	v_sub_nc_u32_e32 v13, 29, v13
	v_lshlrev_b64 v[19:20], v16, v[10:11]
	v_and_b32_e32 v19, 7, v19
; %bb.1728:                             ;   in Loop: Header=BB397_1567 Depth=1
	s_or_b32 exec_lo, exec_lo, s20
	v_mov_b32_e32 v10, 24
	v_lshlrev_b32_e32 v16, 20, v19
	v_lshl_add_u32 v13, v13, 23, 0x3c000000
	v_lshlrev_b32_sdwa v10, v10, v17 dst_sel:DWORD dst_unused:UNUSED_PAD src0_sel:DWORD src1_sel:BYTE_3
	v_and_b32_e32 v10, 0x80000000, v10
	v_or3_b32 v13, v16, v10, v13
.LBB397_1729:                           ;   in Loop: Header=BB397_1567 Depth=1
	s_or_b32 exec_lo, exec_lo, s18
.LBB397_1730:                           ;   in Loop: Header=BB397_1567 Depth=1
	s_or_b32 exec_lo, exec_lo, s15
.LBB397_1731:                           ;   in Loop: Header=BB397_1567 Depth=1
	s_or_b32 exec_lo, exec_lo, s13
	v_mov_b32_e32 v10, v18
	v_cmp_ne_u16_sdwa s4, v18, v11 src0_sel:BYTE_0 src1_sel:DWORD
	v_mov_b32_e32 v21, 0
	v_mov_b32_e32 v16, 0
	s_and_saveexec_b32 s13, s4
	s_cbranch_execz .LBB397_1739
; %bb.1732:                             ;   in Loop: Header=BB397_1567 Depth=1
	v_cmp_ne_u16_sdwa s4, v18, v84 src0_sel:BYTE_0 src1_sel:DWORD
	v_bfrev_b32_e32 v16, 1
	s_and_saveexec_b32 s15, s4
	s_cbranch_execz .LBB397_1738
; %bb.1733:                             ;   in Loop: Header=BB397_1567 Depth=1
	v_and_b32_e32 v19, 0x7f, v18
	v_mov_b32_e32 v16, 0x7f800001
	s_mov_b32 s18, exec_lo
	v_cmpx_ne_u32_e32 0x7f, v19
	s_cbranch_execz .LBB397_1737
; %bb.1734:                             ;   in Loop: Header=BB397_1567 Depth=1
	v_lshrrev_b32_e32 v16, 3, v19
	v_cmp_gt_u32_e64 s4, 8, v19
	v_mov_b32_e32 v20, v11
	v_mov_b32_e32 v19, v10
	s_and_saveexec_b32 s20, s4
; %bb.1735:                             ;   in Loop: Header=BB397_1567 Depth=1
	v_and_b32_e32 v16, 7, v18
	v_ffbh_u32_e32 v16, v16
	v_min_u32_e32 v16, 32, v16
	v_subrev_nc_u32_e32 v19, 28, v16
	v_sub_nc_u32_e32 v16, 29, v16
	v_lshlrev_b64 v[19:20], v19, v[10:11]
; %bb.1736:                             ;   in Loop: Header=BB397_1567 Depth=1
	s_or_b32 exec_lo, exec_lo, s20
	v_lshlrev_b32_e32 v19, 20, v19
	v_lshlrev_b32_e32 v20, 24, v10
	v_lshl_add_u32 v16, v16, 23, 0x3c000000
	v_and_b32_e32 v19, 0x700000, v19
	v_and_b32_e32 v20, 0x80000000, v20
	v_or3_b32 v16, v19, v20, v16
.LBB397_1737:                           ;   in Loop: Header=BB397_1567 Depth=1
	s_or_b32 exec_lo, exec_lo, s18
.LBB397_1738:                           ;   in Loop: Header=BB397_1567 Depth=1
	s_or_b32 exec_lo, exec_lo, s15
.LBB397_1739:                           ;   in Loop: Header=BB397_1567 Depth=1
	s_or_b32 exec_lo, exec_lo, s13
	v_cmp_ne_u16_sdwa s4, v10, v11 src0_sel:BYTE_1 src1_sel:DWORD
	s_and_saveexec_b32 s13, s4
	s_cbranch_execz .LBB397_1747
; %bb.1740:                             ;   in Loop: Header=BB397_1567 Depth=1
	v_cmp_ne_u16_sdwa s4, v10, v84 src0_sel:BYTE_1 src1_sel:DWORD
	v_bfrev_b32_e32 v21, 1
	s_and_saveexec_b32 s15, s4
	s_cbranch_execz .LBB397_1746
; %bb.1741:                             ;   in Loop: Header=BB397_1567 Depth=1
	v_mov_b32_e32 v19, 0xffff
	v_mov_b32_e32 v21, 0x7f800001
	s_mov_b32 s18, exec_lo
	v_and_b32_sdwa v19, v19, v10 dst_sel:DWORD dst_unused:UNUSED_PAD src0_sel:DWORD src1_sel:BYTE_1
	v_and_b32_e32 v22, 0x7f, v19
	v_cmpx_ne_u32_e32 0x7f, v22
	s_cbranch_execz .LBB397_1745
; %bb.1742:                             ;   in Loop: Header=BB397_1567 Depth=1
	v_and_b32_e32 v19, 7, v19
	v_mov_b32_e32 v20, v11
	v_lshrrev_b32_e32 v21, 3, v22
	s_mov_b32 s20, exec_lo
	v_cmpx_gt_u32_e32 8, v22
; %bb.1743:                             ;   in Loop: Header=BB397_1567 Depth=1
	v_ffbh_u32_e32 v21, v19
	v_min_u32_e32 v21, 32, v21
	v_subrev_nc_u32_e32 v22, 28, v21
	v_sub_nc_u32_e32 v21, 29, v21
	v_lshlrev_b64 v[19:20], v22, v[19:20]
	v_and_b32_e32 v19, 7, v19
; %bb.1744:                             ;   in Loop: Header=BB397_1567 Depth=1
	s_or_b32 exec_lo, exec_lo, s20
	v_lshlrev_b32_e32 v10, 16, v10
	v_lshlrev_b32_e32 v19, 20, v19
	v_lshl_add_u32 v20, v21, 23, 0x3c000000
	v_and_b32_e32 v10, 0x80000000, v10
	v_or3_b32 v21, v19, v10, v20
.LBB397_1745:                           ;   in Loop: Header=BB397_1567 Depth=1
	s_or_b32 exec_lo, exec_lo, s18
.LBB397_1746:                           ;   in Loop: Header=BB397_1567 Depth=1
	s_or_b32 exec_lo, exec_lo, s15
.LBB397_1747:                           ;   in Loop: Header=BB397_1567 Depth=1
	s_or_b32 exec_lo, exec_lo, s13
	v_and_b32_sdwa v10, v18, v86 dst_sel:DWORD dst_unused:UNUSED_PAD src0_sel:WORD_1 src1_sel:DWORD
	v_mov_b32_e32 v22, 0
	v_mov_b32_e32 v23, 0
	s_mov_b32 s13, exec_lo
	v_cmpx_ne_u16_e32 0, v10
	s_cbranch_execz .LBB397_1755
; %bb.1748:                             ;   in Loop: Header=BB397_1567 Depth=1
	v_bfrev_b32_e32 v23, 1
	s_mov_b32 s15, exec_lo
	v_cmpx_ne_u16_e32 0x80, v10
	s_cbranch_execz .LBB397_1754
; %bb.1749:                             ;   in Loop: Header=BB397_1567 Depth=1
	v_bfe_u32 v19, v18, 16, 7
	v_mov_b32_e32 v23, 0x7f800001
	s_mov_b32 s18, exec_lo
	v_cmpx_ne_u32_e32 0x7f, v19
	s_cbranch_execz .LBB397_1753
; %bb.1750:                             ;   in Loop: Header=BB397_1567 Depth=1
	v_mov_b32_e32 v10, 7
	v_lshrrev_b32_e32 v23, 3, v19
	v_cmp_gt_u32_e64 s4, 8, v19
	v_and_b32_sdwa v10, v18, v10 dst_sel:DWORD dst_unused:UNUSED_PAD src0_sel:WORD_1 src1_sel:DWORD
	v_mov_b32_e32 v20, v11
	v_mov_b32_e32 v19, v10
	s_and_saveexec_b32 s20, s4
; %bb.1751:                             ;   in Loop: Header=BB397_1567 Depth=1
	v_ffbh_u32_e32 v19, v10
	v_min_u32_e32 v23, 32, v19
	v_subrev_nc_u32_e32 v19, 28, v23
	v_sub_nc_u32_e32 v23, 29, v23
	v_lshlrev_b64 v[19:20], v19, v[10:11]
	v_and_b32_e32 v19, 7, v19
; %bb.1752:                             ;   in Loop: Header=BB397_1567 Depth=1
	s_or_b32 exec_lo, exec_lo, s20
	v_mov_b32_e32 v10, 24
	v_lshlrev_b32_e32 v19, 20, v19
	v_lshl_add_u32 v20, v23, 23, 0x3c000000
	v_lshlrev_b32_sdwa v10, v10, v18 dst_sel:DWORD dst_unused:UNUSED_PAD src0_sel:DWORD src1_sel:WORD_1
	v_and_b32_e32 v10, 0x80000000, v10
	v_or3_b32 v23, v19, v10, v20
.LBB397_1753:                           ;   in Loop: Header=BB397_1567 Depth=1
	s_or_b32 exec_lo, exec_lo, s18
.LBB397_1754:                           ;   in Loop: Header=BB397_1567 Depth=1
	s_or_b32 exec_lo, exec_lo, s15
.LBB397_1755:                           ;   in Loop: Header=BB397_1567 Depth=1
	s_or_b32 exec_lo, exec_lo, s13
	s_mov_b32 s13, exec_lo
	v_cmpx_lt_u64_e64 s[8:9], v[17:18]
	s_cbranch_execz .LBB397_1763
; %bb.1756:                             ;   in Loop: Header=BB397_1567 Depth=1
	v_cmp_ne_u32_sdwa s4, v18, v84 src0_sel:BYTE_3 src1_sel:DWORD
	v_bfrev_b32_e32 v22, 1
	s_and_saveexec_b32 s15, s4
	s_cbranch_execz .LBB397_1762
; %bb.1757:                             ;   in Loop: Header=BB397_1567 Depth=1
	v_bfe_u32 v19, v18, 24, 7
	v_mov_b32_e32 v22, 0x7f800001
	s_mov_b32 s18, exec_lo
	v_cmpx_ne_u32_e32 0x7f, v19
	s_cbranch_execz .LBB397_1761
; %bb.1758:                             ;   in Loop: Header=BB397_1567 Depth=1
	v_mov_b32_e32 v10, 7
	v_lshrrev_b32_e32 v17, 3, v19
	v_cmp_gt_u32_e64 s4, 8, v19
	v_and_b32_sdwa v10, v18, v10 dst_sel:DWORD dst_unused:UNUSED_PAD src0_sel:BYTE_3 src1_sel:DWORD
	v_mov_b32_e32 v20, v11
	v_mov_b32_e32 v19, v10
	s_and_saveexec_b32 s20, s4
; %bb.1759:                             ;   in Loop: Header=BB397_1567 Depth=1
	v_ffbh_u32_e32 v17, v10
	v_min_u32_e32 v17, 32, v17
	v_subrev_nc_u32_e32 v19, 28, v17
	v_sub_nc_u32_e32 v17, 29, v17
	v_lshlrev_b64 v[19:20], v19, v[10:11]
	v_and_b32_e32 v19, 7, v19
; %bb.1760:                             ;   in Loop: Header=BB397_1567 Depth=1
	s_or_b32 exec_lo, exec_lo, s20
	v_mov_b32_e32 v10, 24
	v_lshl_add_u32 v17, v17, 23, 0x3c000000
	v_lshlrev_b32_sdwa v10, v10, v18 dst_sel:DWORD dst_unused:UNUSED_PAD src0_sel:DWORD src1_sel:BYTE_3
	v_lshlrev_b32_e32 v18, 20, v19
	v_and_b32_e32 v10, 0x80000000, v10
	v_or3_b32 v22, v18, v10, v17
.LBB397_1761:                           ;   in Loop: Header=BB397_1567 Depth=1
	s_or_b32 exec_lo, exec_lo, s18
.LBB397_1762:                           ;   in Loop: Header=BB397_1567 Depth=1
	s_or_b32 exec_lo, exec_lo, s15
.LBB397_1763:                           ;   in Loop: Header=BB397_1567 Depth=1
	s_or_b32 exec_lo, exec_lo, s13
	v_mul_f32_e32 v10, v26, v21
	v_mul_f32_e32 v16, v26, v16
	;; [unrolled: 1-line block ×5, first 2 shown]
	v_bfe_u32 v17, v10, 16, 1
	v_or_b32_e32 v18, 0x400000, v10
	v_bfe_u32 v19, v16, 16, 1
	v_cmp_u_f32_e64 s4, v10, v10
	v_or_b32_e32 v20, 0x400000, v16
	v_add3_u32 v17, v17, v10, 0x7fff
	v_bfe_u32 v21, v13, 16, 1
	v_add3_u32 v19, v19, v16, 0x7fff
	v_or_b32_e32 v24, 0x400000, v13
	v_bfe_u32 v25, v12, 16, 1
	v_cndmask_b32_e64 v10, v17, v18, s4
	v_cmp_u_f32_e64 s4, v16, v16
	v_add3_u32 v21, v21, v13, 0x7fff
	v_or_b32_e32 v17, 0x400000, v12
	v_mul_f32_e32 v4, v26, v4
	v_lshrrev_b32_e32 v10, 16, v10
	v_cndmask_b32_e64 v16, v19, v20, s4
	v_cmp_u_f32_e64 s4, v13, v13
	v_bfe_u32 v18, v4, 16, 1
	buffer_store_dword v10, off, s[0:3], s32 offset:276 ; 4-byte Folded Spill
	v_add3_u32 v10, v25, v12, 0x7fff
	v_cndmask_b32_e64 v13, v21, v24, s4
	v_lshrrev_b32_e32 v16, 16, v16
	v_cmp_u_f32_e64 s4, v12, v12
	v_mul_f32_e32 v12, v26, v23
	v_lshrrev_b32_e32 v13, 16, v13
	buffer_store_dword v16, off, s[0:3], s32 offset:268 ; 4-byte Folded Spill
	v_cndmask_b32_e64 v10, v10, v17, s4
	v_or_b32_e32 v16, 0x400000, v5
	v_cmp_u_f32_e64 s4, v5, v5
	buffer_store_dword v13, off, s[0:3], s32 offset:280 ; 4-byte Folded Spill
	v_bfe_u32 v13, v5, 16, 1
	v_mul_f32_e32 v17, v26, v22
	v_bfe_u32 v19, v12, 16, 1
	v_or_b32_e32 v20, 0x400000, v12
	v_lshrrev_b32_e32 v10, 16, v10
	v_add3_u32 v13, v13, v5, 0x7fff
	v_or_b32_e32 v21, 0x400000, v17
	v_add3_u32 v19, v19, v12, 0x7fff
	buffer_store_dword v10, off, s[0:3], s32 offset:284 ; 4-byte Folded Spill
	v_cndmask_b32_e64 v5, v13, v16, s4
	v_add3_u32 v16, v18, v4, 0x7fff
	v_or_b32_e32 v18, 0x400000, v4
	v_cmp_u_f32_e64 s4, v4, v4
	v_bfe_u32 v13, v17, 16, 1
	v_lshrrev_b32_e32 v5, 16, v5
	v_cndmask_b32_e64 v4, v16, v18, s4
	v_cmp_u_f32_e64 s4, v12, v12
	v_add3_u32 v13, v13, v17, 0x7fff
	buffer_store_dword v5, off, s[0:3], s32 offset:292 ; 4-byte Folded Spill
	v_lshrrev_b32_e32 v4, 16, v4
	v_cndmask_b32_e64 v12, v19, v20, s4
	v_cmp_u_f32_e64 s4, v17, v17
	buffer_store_dword v4, off, s[0:3], s32 offset:288 ; 4-byte Folded Spill
	v_lshrrev_b32_e32 v4, 16, v12
	v_cndmask_b32_e64 v13, v13, v21, s4
	buffer_store_dword v4, off, s[0:3], s32 offset:264 ; 4-byte Folded Spill
	v_lshrrev_b32_e32 v4, 16, v13
	buffer_store_dword v4, off, s[0:3], s32 offset:272 ; 4-byte Folded Spill
	s_and_saveexec_b32 s13, vcc_lo
	s_cbranch_execz .LBB397_1765
; %bb.1764:                             ;   in Loop: Header=BB397_1567 Depth=1
	buffer_load_dword v4, off, s[0:3], s32 offset:288 ; 4-byte Folded Reload
	v_cmp_lt_i32_e64 s4, v89, v107
	s_waitcnt vmcnt(0)
	v_cndmask_b32_e64 v4, 0, v4, s4
	v_cmp_lt_i32_e64 s4, v110, v107
	buffer_store_dword v4, off, s[0:3], s32 offset:288 ; 4-byte Folded Spill
	buffer_load_dword v4, off, s[0:3], s32 offset:292 ; 4-byte Folded Reload
	s_waitcnt vmcnt(0)
	v_cndmask_b32_e64 v4, 0, v4, s4
	v_cmp_lt_i32_e64 s4, v106, v107
	buffer_store_dword v4, off, s[0:3], s32 offset:292 ; 4-byte Folded Spill
	buffer_load_dword v4, off, s[0:3], s32 offset:284 ; 4-byte Folded Reload
	;; [unrolled: 5-line block ×7, first 2 shown]
	s_waitcnt vmcnt(0)
	v_cndmask_b32_e64 v4, 0, v4, s4
	buffer_store_dword v4, off, s[0:3], s32 offset:272 ; 4-byte Folded Spill
.LBB397_1765:                           ;   in Loop: Header=BB397_1567 Depth=1
	s_or_b32 exec_lo, exec_lo, s13
	flat_load_dwordx2 v[17:18], v[14:15] offset:768
	v_mov_b32_e32 v5, 0
	v_mov_b32_e32 v4, 0
	s_waitcnt vmcnt(0) lgkmcnt(0)
	v_cmp_ne_u16_sdwa s4, v17, v11 src0_sel:BYTE_0 src1_sel:DWORD
	s_and_saveexec_b32 s13, s4
	s_cbranch_execz .LBB397_1773
; %bb.1766:                             ;   in Loop: Header=BB397_1567 Depth=1
	v_cmp_ne_u16_sdwa s4, v17, v84 src0_sel:BYTE_0 src1_sel:DWORD
	v_bfrev_b32_e32 v4, 1
	s_and_saveexec_b32 s15, s4
	s_cbranch_execz .LBB397_1772
; %bb.1767:                             ;   in Loop: Header=BB397_1567 Depth=1
	v_and_b32_e32 v10, 0x7f, v17
	v_mov_b32_e32 v4, 0x7f800001
	s_mov_b32 s18, exec_lo
	v_cmpx_ne_u32_e32 0x7f, v10
	s_cbranch_execz .LBB397_1771
; %bb.1768:                             ;   in Loop: Header=BB397_1567 Depth=1
	v_mov_b32_e32 v20, v18
	v_lshrrev_b32_e32 v4, 3, v10
	v_mov_b32_e32 v19, v17
	s_mov_b32 s20, exec_lo
	v_cmpx_gt_u32_e32 8, v10
; %bb.1769:                             ;   in Loop: Header=BB397_1567 Depth=1
	v_and_b32_e32 v4, 7, v17
	v_ffbh_u32_e32 v4, v4
	v_min_u32_e32 v4, 32, v4
	v_subrev_nc_u32_e32 v10, 28, v4
	v_sub_nc_u32_e32 v4, 29, v4
	v_lshlrev_b64 v[19:20], v10, v[17:18]
; %bb.1770:                             ;   in Loop: Header=BB397_1567 Depth=1
	s_or_b32 exec_lo, exec_lo, s20
	v_lshlrev_b32_e32 v10, 20, v19
	v_lshlrev_b32_e32 v12, 24, v17
	v_lshl_add_u32 v4, v4, 23, 0x3c000000
	v_and_b32_e32 v10, 0x700000, v10
	v_and_b32_e32 v12, 0x80000000, v12
	v_or3_b32 v4, v10, v12, v4
.LBB397_1771:                           ;   in Loop: Header=BB397_1567 Depth=1
	s_or_b32 exec_lo, exec_lo, s18
.LBB397_1772:                           ;   in Loop: Header=BB397_1567 Depth=1
	s_or_b32 exec_lo, exec_lo, s15
.LBB397_1773:                           ;   in Loop: Header=BB397_1567 Depth=1
	s_or_b32 exec_lo, exec_lo, s13
	v_cmp_ne_u16_sdwa s4, v17, v11 src0_sel:BYTE_1 src1_sel:DWORD
	s_and_saveexec_b32 s13, s4
	s_cbranch_execz .LBB397_1781
; %bb.1774:                             ;   in Loop: Header=BB397_1567 Depth=1
	v_cmp_ne_u16_sdwa s4, v17, v84 src0_sel:BYTE_1 src1_sel:DWORD
	v_bfrev_b32_e32 v5, 1
	s_and_saveexec_b32 s15, s4
	s_cbranch_execz .LBB397_1780
; %bb.1775:                             ;   in Loop: Header=BB397_1567 Depth=1
	v_mov_b32_e32 v5, 0xffff
	s_mov_b32 s18, exec_lo
	v_and_b32_sdwa v10, v5, v17 dst_sel:DWORD dst_unused:UNUSED_PAD src0_sel:DWORD src1_sel:BYTE_1
	v_mov_b32_e32 v5, 0x7f800001
	v_and_b32_e32 v12, 0x7f, v10
	v_cmpx_ne_u32_e32 0x7f, v12
	s_cbranch_execz .LBB397_1779
; %bb.1776:                             ;   in Loop: Header=BB397_1567 Depth=1
	v_and_b32_e32 v10, 7, v10
	v_mov_b32_e32 v20, v11
	v_lshrrev_b32_e32 v5, 3, v12
	s_mov_b32 s20, exec_lo
	v_mov_b32_e32 v19, v10
	v_cmpx_gt_u32_e32 8, v12
; %bb.1777:                             ;   in Loop: Header=BB397_1567 Depth=1
	v_ffbh_u32_e32 v5, v10
	v_min_u32_e32 v5, 32, v5
	v_subrev_nc_u32_e32 v12, 28, v5
	v_sub_nc_u32_e32 v5, 29, v5
	v_lshlrev_b64 v[12:13], v12, v[10:11]
	v_and_b32_e32 v19, 7, v12
; %bb.1778:                             ;   in Loop: Header=BB397_1567 Depth=1
	s_or_b32 exec_lo, exec_lo, s20
	v_lshlrev_b32_e32 v10, 16, v17
	v_lshlrev_b32_e32 v12, 20, v19
	v_lshl_add_u32 v5, v5, 23, 0x3c000000
	v_and_b32_e32 v10, 0x80000000, v10
	v_or3_b32 v5, v12, v10, v5
.LBB397_1779:                           ;   in Loop: Header=BB397_1567 Depth=1
	s_or_b32 exec_lo, exec_lo, s18
.LBB397_1780:                           ;   in Loop: Header=BB397_1567 Depth=1
	s_or_b32 exec_lo, exec_lo, s15
.LBB397_1781:                           ;   in Loop: Header=BB397_1567 Depth=1
	s_or_b32 exec_lo, exec_lo, s13
	v_and_b32_sdwa v10, v17, v86 dst_sel:DWORD dst_unused:UNUSED_PAD src0_sel:WORD_1 src1_sel:DWORD
	v_mov_b32_e32 v13, 0
	v_mov_b32_e32 v12, 0
	s_mov_b32 s13, exec_lo
	v_cmpx_ne_u16_e32 0, v10
	s_cbranch_execz .LBB397_1789
; %bb.1782:                             ;   in Loop: Header=BB397_1567 Depth=1
	v_bfrev_b32_e32 v12, 1
	s_mov_b32 s15, exec_lo
	v_cmpx_ne_u16_e32 0x80, v10
	s_cbranch_execz .LBB397_1788
; %bb.1783:                             ;   in Loop: Header=BB397_1567 Depth=1
	v_bfe_u32 v16, v17, 16, 7
	v_mov_b32_e32 v12, 0x7f800001
	s_mov_b32 s18, exec_lo
	v_cmpx_ne_u32_e32 0x7f, v16
	s_cbranch_execz .LBB397_1787
; %bb.1784:                             ;   in Loop: Header=BB397_1567 Depth=1
	v_mov_b32_e32 v10, 7
	v_lshrrev_b32_e32 v12, 3, v16
	s_mov_b32 s20, exec_lo
	v_and_b32_sdwa v10, v17, v10 dst_sel:DWORD dst_unused:UNUSED_PAD src0_sel:WORD_1 src1_sel:DWORD
	v_mov_b32_e32 v20, v11
	v_mov_b32_e32 v19, v10
	v_cmpx_gt_u32_e32 8, v16
; %bb.1785:                             ;   in Loop: Header=BB397_1567 Depth=1
	v_ffbh_u32_e32 v12, v10
	v_min_u32_e32 v12, 32, v12
	v_subrev_nc_u32_e32 v16, 28, v12
	v_sub_nc_u32_e32 v12, 29, v12
	v_lshlrev_b64 v[19:20], v16, v[10:11]
	v_and_b32_e32 v19, 7, v19
; %bb.1786:                             ;   in Loop: Header=BB397_1567 Depth=1
	s_or_b32 exec_lo, exec_lo, s20
	v_mov_b32_e32 v10, 24
	v_lshlrev_b32_e32 v16, 20, v19
	v_lshl_add_u32 v12, v12, 23, 0x3c000000
	v_lshlrev_b32_sdwa v10, v10, v17 dst_sel:DWORD dst_unused:UNUSED_PAD src0_sel:DWORD src1_sel:WORD_1
	v_and_b32_e32 v10, 0x80000000, v10
	v_or3_b32 v12, v16, v10, v12
.LBB397_1787:                           ;   in Loop: Header=BB397_1567 Depth=1
	s_or_b32 exec_lo, exec_lo, s18
.LBB397_1788:                           ;   in Loop: Header=BB397_1567 Depth=1
	s_or_b32 exec_lo, exec_lo, s15
.LBB397_1789:                           ;   in Loop: Header=BB397_1567 Depth=1
	s_or_b32 exec_lo, exec_lo, s13
	s_mov_b32 s13, exec_lo
	v_cmpx_lt_u32_e32 0xffffff, v17
	s_cbranch_execz .LBB397_1797
; %bb.1790:                             ;   in Loop: Header=BB397_1567 Depth=1
	v_cmp_ne_u32_sdwa s4, v17, v84 src0_sel:BYTE_3 src1_sel:DWORD
	v_bfrev_b32_e32 v13, 1
	s_and_saveexec_b32 s15, s4
	s_cbranch_execz .LBB397_1796
; %bb.1791:                             ;   in Loop: Header=BB397_1567 Depth=1
	v_bfe_u32 v16, v17, 24, 7
	v_mov_b32_e32 v13, 0x7f800001
	s_mov_b32 s18, exec_lo
	v_cmpx_ne_u32_e32 0x7f, v16
	s_cbranch_execz .LBB397_1795
; %bb.1792:                             ;   in Loop: Header=BB397_1567 Depth=1
	v_mov_b32_e32 v10, 7
	v_lshrrev_b32_e32 v13, 3, v16
	s_mov_b32 s20, exec_lo
	v_and_b32_sdwa v10, v17, v10 dst_sel:DWORD dst_unused:UNUSED_PAD src0_sel:BYTE_3 src1_sel:DWORD
	v_mov_b32_e32 v20, v11
	v_mov_b32_e32 v19, v10
	v_cmpx_gt_u32_e32 8, v16
; %bb.1793:                             ;   in Loop: Header=BB397_1567 Depth=1
	v_ffbh_u32_e32 v13, v10
	v_min_u32_e32 v13, 32, v13
	v_subrev_nc_u32_e32 v16, 28, v13
	v_sub_nc_u32_e32 v13, 29, v13
	v_lshlrev_b64 v[19:20], v16, v[10:11]
	v_and_b32_e32 v19, 7, v19
; %bb.1794:                             ;   in Loop: Header=BB397_1567 Depth=1
	s_or_b32 exec_lo, exec_lo, s20
	v_mov_b32_e32 v10, 24
	v_lshlrev_b32_e32 v16, 20, v19
	v_lshl_add_u32 v13, v13, 23, 0x3c000000
	v_lshlrev_b32_sdwa v10, v10, v17 dst_sel:DWORD dst_unused:UNUSED_PAD src0_sel:DWORD src1_sel:BYTE_3
	v_and_b32_e32 v10, 0x80000000, v10
	v_or3_b32 v13, v16, v10, v13
.LBB397_1795:                           ;   in Loop: Header=BB397_1567 Depth=1
	s_or_b32 exec_lo, exec_lo, s18
.LBB397_1796:                           ;   in Loop: Header=BB397_1567 Depth=1
	s_or_b32 exec_lo, exec_lo, s15
.LBB397_1797:                           ;   in Loop: Header=BB397_1567 Depth=1
	s_or_b32 exec_lo, exec_lo, s13
	v_mov_b32_e32 v10, v18
	v_cmp_ne_u16_sdwa s4, v18, v11 src0_sel:BYTE_0 src1_sel:DWORD
	v_mov_b32_e32 v21, 0
	v_mov_b32_e32 v16, 0
	s_and_saveexec_b32 s13, s4
	s_cbranch_execz .LBB397_1805
; %bb.1798:                             ;   in Loop: Header=BB397_1567 Depth=1
	v_cmp_ne_u16_sdwa s4, v18, v84 src0_sel:BYTE_0 src1_sel:DWORD
	v_bfrev_b32_e32 v16, 1
	s_and_saveexec_b32 s15, s4
	s_cbranch_execz .LBB397_1804
; %bb.1799:                             ;   in Loop: Header=BB397_1567 Depth=1
	v_and_b32_e32 v19, 0x7f, v18
	v_mov_b32_e32 v16, 0x7f800001
	s_mov_b32 s18, exec_lo
	v_cmpx_ne_u32_e32 0x7f, v19
	s_cbranch_execz .LBB397_1803
; %bb.1800:                             ;   in Loop: Header=BB397_1567 Depth=1
	v_lshrrev_b32_e32 v16, 3, v19
	v_cmp_gt_u32_e64 s4, 8, v19
	v_mov_b32_e32 v20, v11
	v_mov_b32_e32 v19, v10
	s_and_saveexec_b32 s20, s4
; %bb.1801:                             ;   in Loop: Header=BB397_1567 Depth=1
	v_and_b32_e32 v16, 7, v18
	v_ffbh_u32_e32 v16, v16
	v_min_u32_e32 v16, 32, v16
	v_subrev_nc_u32_e32 v19, 28, v16
	v_sub_nc_u32_e32 v16, 29, v16
	v_lshlrev_b64 v[19:20], v19, v[10:11]
; %bb.1802:                             ;   in Loop: Header=BB397_1567 Depth=1
	s_or_b32 exec_lo, exec_lo, s20
	v_lshlrev_b32_e32 v19, 20, v19
	v_lshlrev_b32_e32 v20, 24, v10
	v_lshl_add_u32 v16, v16, 23, 0x3c000000
	v_and_b32_e32 v19, 0x700000, v19
	v_and_b32_e32 v20, 0x80000000, v20
	v_or3_b32 v16, v19, v20, v16
.LBB397_1803:                           ;   in Loop: Header=BB397_1567 Depth=1
	s_or_b32 exec_lo, exec_lo, s18
.LBB397_1804:                           ;   in Loop: Header=BB397_1567 Depth=1
	s_or_b32 exec_lo, exec_lo, s15
.LBB397_1805:                           ;   in Loop: Header=BB397_1567 Depth=1
	s_or_b32 exec_lo, exec_lo, s13
	v_cmp_ne_u16_sdwa s4, v10, v11 src0_sel:BYTE_1 src1_sel:DWORD
	s_and_saveexec_b32 s13, s4
	s_cbranch_execz .LBB397_1813
; %bb.1806:                             ;   in Loop: Header=BB397_1567 Depth=1
	v_cmp_ne_u16_sdwa s4, v10, v84 src0_sel:BYTE_1 src1_sel:DWORD
	v_bfrev_b32_e32 v21, 1
	s_and_saveexec_b32 s15, s4
	s_cbranch_execz .LBB397_1812
; %bb.1807:                             ;   in Loop: Header=BB397_1567 Depth=1
	v_mov_b32_e32 v19, 0xffff
	v_mov_b32_e32 v21, 0x7f800001
	s_mov_b32 s18, exec_lo
	v_and_b32_sdwa v19, v19, v10 dst_sel:DWORD dst_unused:UNUSED_PAD src0_sel:DWORD src1_sel:BYTE_1
	v_and_b32_e32 v22, 0x7f, v19
	v_cmpx_ne_u32_e32 0x7f, v22
	s_cbranch_execz .LBB397_1811
; %bb.1808:                             ;   in Loop: Header=BB397_1567 Depth=1
	v_and_b32_e32 v19, 7, v19
	v_mov_b32_e32 v20, v11
	v_lshrrev_b32_e32 v21, 3, v22
	s_mov_b32 s20, exec_lo
	v_cmpx_gt_u32_e32 8, v22
; %bb.1809:                             ;   in Loop: Header=BB397_1567 Depth=1
	v_ffbh_u32_e32 v21, v19
	v_min_u32_e32 v21, 32, v21
	v_subrev_nc_u32_e32 v22, 28, v21
	v_sub_nc_u32_e32 v21, 29, v21
	v_lshlrev_b64 v[19:20], v22, v[19:20]
	v_and_b32_e32 v19, 7, v19
; %bb.1810:                             ;   in Loop: Header=BB397_1567 Depth=1
	s_or_b32 exec_lo, exec_lo, s20
	v_lshlrev_b32_e32 v10, 16, v10
	v_lshlrev_b32_e32 v19, 20, v19
	v_lshl_add_u32 v20, v21, 23, 0x3c000000
	v_and_b32_e32 v10, 0x80000000, v10
	v_or3_b32 v21, v19, v10, v20
.LBB397_1811:                           ;   in Loop: Header=BB397_1567 Depth=1
	s_or_b32 exec_lo, exec_lo, s18
.LBB397_1812:                           ;   in Loop: Header=BB397_1567 Depth=1
	s_or_b32 exec_lo, exec_lo, s15
.LBB397_1813:                           ;   in Loop: Header=BB397_1567 Depth=1
	s_or_b32 exec_lo, exec_lo, s13
	v_and_b32_sdwa v10, v18, v86 dst_sel:DWORD dst_unused:UNUSED_PAD src0_sel:WORD_1 src1_sel:DWORD
	v_mov_b32_e32 v22, 0
	v_mov_b32_e32 v23, 0
	s_mov_b32 s13, exec_lo
	v_cmpx_ne_u16_e32 0, v10
	s_cbranch_execz .LBB397_1821
; %bb.1814:                             ;   in Loop: Header=BB397_1567 Depth=1
	v_bfrev_b32_e32 v23, 1
	s_mov_b32 s15, exec_lo
	v_cmpx_ne_u16_e32 0x80, v10
	s_cbranch_execz .LBB397_1820
; %bb.1815:                             ;   in Loop: Header=BB397_1567 Depth=1
	v_bfe_u32 v19, v18, 16, 7
	v_mov_b32_e32 v23, 0x7f800001
	s_mov_b32 s18, exec_lo
	v_cmpx_ne_u32_e32 0x7f, v19
	s_cbranch_execz .LBB397_1819
; %bb.1816:                             ;   in Loop: Header=BB397_1567 Depth=1
	v_mov_b32_e32 v10, 7
	v_lshrrev_b32_e32 v23, 3, v19
	v_cmp_gt_u32_e64 s4, 8, v19
	v_and_b32_sdwa v10, v18, v10 dst_sel:DWORD dst_unused:UNUSED_PAD src0_sel:WORD_1 src1_sel:DWORD
	v_mov_b32_e32 v20, v11
	v_mov_b32_e32 v19, v10
	s_and_saveexec_b32 s20, s4
; %bb.1817:                             ;   in Loop: Header=BB397_1567 Depth=1
	v_ffbh_u32_e32 v19, v10
	v_min_u32_e32 v23, 32, v19
	v_subrev_nc_u32_e32 v19, 28, v23
	v_sub_nc_u32_e32 v23, 29, v23
	v_lshlrev_b64 v[19:20], v19, v[10:11]
	v_and_b32_e32 v19, 7, v19
; %bb.1818:                             ;   in Loop: Header=BB397_1567 Depth=1
	s_or_b32 exec_lo, exec_lo, s20
	v_mov_b32_e32 v10, 24
	v_lshlrev_b32_e32 v19, 20, v19
	v_lshl_add_u32 v20, v23, 23, 0x3c000000
	v_lshlrev_b32_sdwa v10, v10, v18 dst_sel:DWORD dst_unused:UNUSED_PAD src0_sel:DWORD src1_sel:WORD_1
	v_and_b32_e32 v10, 0x80000000, v10
	v_or3_b32 v23, v19, v10, v20
.LBB397_1819:                           ;   in Loop: Header=BB397_1567 Depth=1
	s_or_b32 exec_lo, exec_lo, s18
.LBB397_1820:                           ;   in Loop: Header=BB397_1567 Depth=1
	s_or_b32 exec_lo, exec_lo, s15
.LBB397_1821:                           ;   in Loop: Header=BB397_1567 Depth=1
	s_or_b32 exec_lo, exec_lo, s13
	s_mov_b32 s13, exec_lo
	v_cmpx_lt_u64_e64 s[8:9], v[17:18]
	s_cbranch_execz .LBB397_1829
; %bb.1822:                             ;   in Loop: Header=BB397_1567 Depth=1
	v_cmp_ne_u32_sdwa s4, v18, v84 src0_sel:BYTE_3 src1_sel:DWORD
	v_bfrev_b32_e32 v22, 1
	s_and_saveexec_b32 s15, s4
	s_cbranch_execz .LBB397_1828
; %bb.1823:                             ;   in Loop: Header=BB397_1567 Depth=1
	v_bfe_u32 v19, v18, 24, 7
	v_mov_b32_e32 v22, 0x7f800001
	s_mov_b32 s18, exec_lo
	v_cmpx_ne_u32_e32 0x7f, v19
	s_cbranch_execz .LBB397_1827
; %bb.1824:                             ;   in Loop: Header=BB397_1567 Depth=1
	v_mov_b32_e32 v10, 7
	v_lshrrev_b32_e32 v17, 3, v19
	v_cmp_gt_u32_e64 s4, 8, v19
	v_and_b32_sdwa v10, v18, v10 dst_sel:DWORD dst_unused:UNUSED_PAD src0_sel:BYTE_3 src1_sel:DWORD
	v_mov_b32_e32 v20, v11
	v_mov_b32_e32 v19, v10
	s_and_saveexec_b32 s20, s4
; %bb.1825:                             ;   in Loop: Header=BB397_1567 Depth=1
	v_ffbh_u32_e32 v17, v10
	v_min_u32_e32 v17, 32, v17
	v_subrev_nc_u32_e32 v19, 28, v17
	v_sub_nc_u32_e32 v17, 29, v17
	v_lshlrev_b64 v[19:20], v19, v[10:11]
	v_and_b32_e32 v19, 7, v19
; %bb.1826:                             ;   in Loop: Header=BB397_1567 Depth=1
	s_or_b32 exec_lo, exec_lo, s20
	v_mov_b32_e32 v10, 24
	v_lshl_add_u32 v17, v17, 23, 0x3c000000
	v_lshlrev_b32_sdwa v10, v10, v18 dst_sel:DWORD dst_unused:UNUSED_PAD src0_sel:DWORD src1_sel:BYTE_3
	v_lshlrev_b32_e32 v18, 20, v19
	v_and_b32_e32 v10, 0x80000000, v10
	v_or3_b32 v22, v18, v10, v17
.LBB397_1827:                           ;   in Loop: Header=BB397_1567 Depth=1
	s_or_b32 exec_lo, exec_lo, s18
.LBB397_1828:                           ;   in Loop: Header=BB397_1567 Depth=1
	s_or_b32 exec_lo, exec_lo, s15
.LBB397_1829:                           ;   in Loop: Header=BB397_1567 Depth=1
	s_or_b32 exec_lo, exec_lo, s13
	v_mul_f32_e32 v10, v26, v21
	v_mul_f32_e32 v16, v26, v16
	;; [unrolled: 1-line block ×5, first 2 shown]
	v_bfe_u32 v17, v10, 16, 1
	v_or_b32_e32 v18, 0x400000, v10
	v_bfe_u32 v19, v16, 16, 1
	v_cmp_u_f32_e64 s4, v10, v10
	v_or_b32_e32 v20, 0x400000, v16
	v_add3_u32 v17, v17, v10, 0x7fff
	v_bfe_u32 v21, v13, 16, 1
	v_add3_u32 v19, v19, v16, 0x7fff
	v_or_b32_e32 v24, 0x400000, v13
	v_bfe_u32 v25, v12, 16, 1
	v_cndmask_b32_e64 v10, v17, v18, s4
	v_cmp_u_f32_e64 s4, v16, v16
	v_add3_u32 v21, v21, v13, 0x7fff
	v_or_b32_e32 v17, 0x400000, v12
	v_mul_f32_e32 v4, v26, v4
	v_lshrrev_b32_e32 v10, 16, v10
	v_cndmask_b32_e64 v16, v19, v20, s4
	v_cmp_u_f32_e64 s4, v13, v13
	v_bfe_u32 v18, v4, 16, 1
	buffer_store_dword v10, off, s[0:3], s32 offset:308 ; 4-byte Folded Spill
	v_add3_u32 v10, v25, v12, 0x7fff
	v_cndmask_b32_e64 v13, v21, v24, s4
	v_lshrrev_b32_e32 v16, 16, v16
	v_cmp_u_f32_e64 s4, v12, v12
	v_mul_f32_e32 v12, v26, v23
	v_lshrrev_b32_e32 v13, 16, v13
	buffer_store_dword v16, off, s[0:3], s32 offset:300 ; 4-byte Folded Spill
	v_cndmask_b32_e64 v10, v10, v17, s4
	v_or_b32_e32 v16, 0x400000, v5
	v_cmp_u_f32_e64 s4, v5, v5
	buffer_store_dword v13, off, s[0:3], s32 offset:312 ; 4-byte Folded Spill
	v_bfe_u32 v13, v5, 16, 1
	v_mul_f32_e32 v17, v26, v22
	v_bfe_u32 v19, v12, 16, 1
	v_or_b32_e32 v20, 0x400000, v12
	v_lshrrev_b32_e32 v10, 16, v10
	v_add3_u32 v13, v13, v5, 0x7fff
	v_or_b32_e32 v21, 0x400000, v17
	v_add3_u32 v19, v19, v12, 0x7fff
	buffer_store_dword v10, off, s[0:3], s32 offset:316 ; 4-byte Folded Spill
	v_cndmask_b32_e64 v5, v13, v16, s4
	v_add3_u32 v16, v18, v4, 0x7fff
	v_or_b32_e32 v18, 0x400000, v4
	v_cmp_u_f32_e64 s4, v4, v4
	v_bfe_u32 v13, v17, 16, 1
	v_lshrrev_b32_e32 v5, 16, v5
	v_cndmask_b32_e64 v4, v16, v18, s4
	v_cmp_u_f32_e64 s4, v12, v12
	v_add3_u32 v13, v13, v17, 0x7fff
	buffer_store_dword v5, off, s[0:3], s32 offset:324 ; 4-byte Folded Spill
	v_lshrrev_b32_e32 v4, 16, v4
	v_cndmask_b32_e64 v12, v19, v20, s4
	v_cmp_u_f32_e64 s4, v17, v17
	buffer_store_dword v4, off, s[0:3], s32 offset:320 ; 4-byte Folded Spill
	v_lshrrev_b32_e32 v4, 16, v12
	v_cndmask_b32_e64 v13, v13, v21, s4
	buffer_store_dword v4, off, s[0:3], s32 offset:296 ; 4-byte Folded Spill
	v_lshrrev_b32_e32 v4, 16, v13
	buffer_store_dword v4, off, s[0:3], s32 offset:304 ; 4-byte Folded Spill
	s_and_saveexec_b32 s13, vcc_lo
	s_cbranch_execz .LBB397_1831
; %bb.1830:                             ;   in Loop: Header=BB397_1567 Depth=1
	buffer_load_dword v4, off, s[0:3], s32 offset:320 ; 4-byte Folded Reload
	v_cmp_lt_i32_e64 s4, v89, v107
	s_waitcnt vmcnt(0)
	v_cndmask_b32_e64 v4, 0, v4, s4
	v_cmp_lt_i32_e64 s4, v110, v107
	buffer_store_dword v4, off, s[0:3], s32 offset:320 ; 4-byte Folded Spill
	buffer_load_dword v4, off, s[0:3], s32 offset:324 ; 4-byte Folded Reload
	s_waitcnt vmcnt(0)
	v_cndmask_b32_e64 v4, 0, v4, s4
	v_cmp_lt_i32_e64 s4, v106, v107
	buffer_store_dword v4, off, s[0:3], s32 offset:324 ; 4-byte Folded Spill
	buffer_load_dword v4, off, s[0:3], s32 offset:316 ; 4-byte Folded Reload
	;; [unrolled: 5-line block ×7, first 2 shown]
	s_waitcnt vmcnt(0)
	v_cndmask_b32_e64 v4, 0, v4, s4
	buffer_store_dword v4, off, s[0:3], s32 offset:304 ; 4-byte Folded Spill
.LBB397_1831:                           ;   in Loop: Header=BB397_1567 Depth=1
	s_or_b32 exec_lo, exec_lo, s13
	flat_load_dwordx2 v[17:18], v[14:15] offset:1024
	v_mov_b32_e32 v5, 0
	v_mov_b32_e32 v4, 0
	s_waitcnt vmcnt(0) lgkmcnt(0)
	v_cmp_ne_u16_sdwa s4, v17, v11 src0_sel:BYTE_0 src1_sel:DWORD
	s_and_saveexec_b32 s13, s4
	s_cbranch_execz .LBB397_1839
; %bb.1832:                             ;   in Loop: Header=BB397_1567 Depth=1
	v_cmp_ne_u16_sdwa s4, v17, v84 src0_sel:BYTE_0 src1_sel:DWORD
	v_bfrev_b32_e32 v4, 1
	s_and_saveexec_b32 s15, s4
	s_cbranch_execz .LBB397_1838
; %bb.1833:                             ;   in Loop: Header=BB397_1567 Depth=1
	v_and_b32_e32 v10, 0x7f, v17
	v_mov_b32_e32 v4, 0x7f800001
	s_mov_b32 s18, exec_lo
	v_cmpx_ne_u32_e32 0x7f, v10
	s_cbranch_execz .LBB397_1837
; %bb.1834:                             ;   in Loop: Header=BB397_1567 Depth=1
	v_mov_b32_e32 v20, v18
	v_lshrrev_b32_e32 v4, 3, v10
	v_mov_b32_e32 v19, v17
	s_mov_b32 s20, exec_lo
	v_cmpx_gt_u32_e32 8, v10
; %bb.1835:                             ;   in Loop: Header=BB397_1567 Depth=1
	v_and_b32_e32 v4, 7, v17
	v_ffbh_u32_e32 v4, v4
	v_min_u32_e32 v4, 32, v4
	v_subrev_nc_u32_e32 v10, 28, v4
	v_sub_nc_u32_e32 v4, 29, v4
	v_lshlrev_b64 v[19:20], v10, v[17:18]
; %bb.1836:                             ;   in Loop: Header=BB397_1567 Depth=1
	s_or_b32 exec_lo, exec_lo, s20
	v_lshlrev_b32_e32 v10, 20, v19
	v_lshlrev_b32_e32 v12, 24, v17
	v_lshl_add_u32 v4, v4, 23, 0x3c000000
	v_and_b32_e32 v10, 0x700000, v10
	v_and_b32_e32 v12, 0x80000000, v12
	v_or3_b32 v4, v10, v12, v4
.LBB397_1837:                           ;   in Loop: Header=BB397_1567 Depth=1
	s_or_b32 exec_lo, exec_lo, s18
.LBB397_1838:                           ;   in Loop: Header=BB397_1567 Depth=1
	s_or_b32 exec_lo, exec_lo, s15
.LBB397_1839:                           ;   in Loop: Header=BB397_1567 Depth=1
	s_or_b32 exec_lo, exec_lo, s13
	v_cmp_ne_u16_sdwa s4, v17, v11 src0_sel:BYTE_1 src1_sel:DWORD
	s_and_saveexec_b32 s13, s4
	s_cbranch_execz .LBB397_1847
; %bb.1840:                             ;   in Loop: Header=BB397_1567 Depth=1
	v_cmp_ne_u16_sdwa s4, v17, v84 src0_sel:BYTE_1 src1_sel:DWORD
	v_bfrev_b32_e32 v5, 1
	s_and_saveexec_b32 s15, s4
	s_cbranch_execz .LBB397_1846
; %bb.1841:                             ;   in Loop: Header=BB397_1567 Depth=1
	v_mov_b32_e32 v5, 0xffff
	s_mov_b32 s18, exec_lo
	v_and_b32_sdwa v10, v5, v17 dst_sel:DWORD dst_unused:UNUSED_PAD src0_sel:DWORD src1_sel:BYTE_1
	v_mov_b32_e32 v5, 0x7f800001
	v_and_b32_e32 v12, 0x7f, v10
	v_cmpx_ne_u32_e32 0x7f, v12
	s_cbranch_execz .LBB397_1845
; %bb.1842:                             ;   in Loop: Header=BB397_1567 Depth=1
	v_and_b32_e32 v10, 7, v10
	v_mov_b32_e32 v20, v11
	v_lshrrev_b32_e32 v5, 3, v12
	s_mov_b32 s20, exec_lo
	v_mov_b32_e32 v19, v10
	v_cmpx_gt_u32_e32 8, v12
; %bb.1843:                             ;   in Loop: Header=BB397_1567 Depth=1
	v_ffbh_u32_e32 v5, v10
	v_min_u32_e32 v5, 32, v5
	v_subrev_nc_u32_e32 v12, 28, v5
	v_sub_nc_u32_e32 v5, 29, v5
	v_lshlrev_b64 v[12:13], v12, v[10:11]
	v_and_b32_e32 v19, 7, v12
; %bb.1844:                             ;   in Loop: Header=BB397_1567 Depth=1
	s_or_b32 exec_lo, exec_lo, s20
	v_lshlrev_b32_e32 v10, 16, v17
	v_lshlrev_b32_e32 v12, 20, v19
	v_lshl_add_u32 v5, v5, 23, 0x3c000000
	v_and_b32_e32 v10, 0x80000000, v10
	v_or3_b32 v5, v12, v10, v5
.LBB397_1845:                           ;   in Loop: Header=BB397_1567 Depth=1
	s_or_b32 exec_lo, exec_lo, s18
.LBB397_1846:                           ;   in Loop: Header=BB397_1567 Depth=1
	s_or_b32 exec_lo, exec_lo, s15
.LBB397_1847:                           ;   in Loop: Header=BB397_1567 Depth=1
	s_or_b32 exec_lo, exec_lo, s13
	v_and_b32_sdwa v10, v17, v86 dst_sel:DWORD dst_unused:UNUSED_PAD src0_sel:WORD_1 src1_sel:DWORD
	v_mov_b32_e32 v13, 0
	v_mov_b32_e32 v12, 0
	s_mov_b32 s13, exec_lo
	v_cmpx_ne_u16_e32 0, v10
	s_cbranch_execz .LBB397_1855
; %bb.1848:                             ;   in Loop: Header=BB397_1567 Depth=1
	v_bfrev_b32_e32 v12, 1
	s_mov_b32 s15, exec_lo
	v_cmpx_ne_u16_e32 0x80, v10
	s_cbranch_execz .LBB397_1854
; %bb.1849:                             ;   in Loop: Header=BB397_1567 Depth=1
	v_bfe_u32 v16, v17, 16, 7
	v_mov_b32_e32 v12, 0x7f800001
	s_mov_b32 s18, exec_lo
	v_cmpx_ne_u32_e32 0x7f, v16
	s_cbranch_execz .LBB397_1853
; %bb.1850:                             ;   in Loop: Header=BB397_1567 Depth=1
	v_mov_b32_e32 v10, 7
	v_lshrrev_b32_e32 v12, 3, v16
	s_mov_b32 s20, exec_lo
	v_and_b32_sdwa v10, v17, v10 dst_sel:DWORD dst_unused:UNUSED_PAD src0_sel:WORD_1 src1_sel:DWORD
	v_mov_b32_e32 v20, v11
	v_mov_b32_e32 v19, v10
	v_cmpx_gt_u32_e32 8, v16
; %bb.1851:                             ;   in Loop: Header=BB397_1567 Depth=1
	v_ffbh_u32_e32 v12, v10
	v_min_u32_e32 v12, 32, v12
	v_subrev_nc_u32_e32 v16, 28, v12
	v_sub_nc_u32_e32 v12, 29, v12
	v_lshlrev_b64 v[19:20], v16, v[10:11]
	v_and_b32_e32 v19, 7, v19
; %bb.1852:                             ;   in Loop: Header=BB397_1567 Depth=1
	s_or_b32 exec_lo, exec_lo, s20
	v_mov_b32_e32 v10, 24
	v_lshlrev_b32_e32 v16, 20, v19
	v_lshl_add_u32 v12, v12, 23, 0x3c000000
	v_lshlrev_b32_sdwa v10, v10, v17 dst_sel:DWORD dst_unused:UNUSED_PAD src0_sel:DWORD src1_sel:WORD_1
	v_and_b32_e32 v10, 0x80000000, v10
	v_or3_b32 v12, v16, v10, v12
.LBB397_1853:                           ;   in Loop: Header=BB397_1567 Depth=1
	s_or_b32 exec_lo, exec_lo, s18
.LBB397_1854:                           ;   in Loop: Header=BB397_1567 Depth=1
	s_or_b32 exec_lo, exec_lo, s15
.LBB397_1855:                           ;   in Loop: Header=BB397_1567 Depth=1
	s_or_b32 exec_lo, exec_lo, s13
	s_mov_b32 s13, exec_lo
	v_cmpx_lt_u32_e32 0xffffff, v17
	s_cbranch_execz .LBB397_1863
; %bb.1856:                             ;   in Loop: Header=BB397_1567 Depth=1
	v_cmp_ne_u32_sdwa s4, v17, v84 src0_sel:BYTE_3 src1_sel:DWORD
	v_bfrev_b32_e32 v13, 1
	s_and_saveexec_b32 s15, s4
	s_cbranch_execz .LBB397_1862
; %bb.1857:                             ;   in Loop: Header=BB397_1567 Depth=1
	v_bfe_u32 v16, v17, 24, 7
	v_mov_b32_e32 v13, 0x7f800001
	s_mov_b32 s18, exec_lo
	v_cmpx_ne_u32_e32 0x7f, v16
	s_cbranch_execz .LBB397_1861
; %bb.1858:                             ;   in Loop: Header=BB397_1567 Depth=1
	v_mov_b32_e32 v10, 7
	v_lshrrev_b32_e32 v13, 3, v16
	s_mov_b32 s20, exec_lo
	v_and_b32_sdwa v10, v17, v10 dst_sel:DWORD dst_unused:UNUSED_PAD src0_sel:BYTE_3 src1_sel:DWORD
	v_mov_b32_e32 v20, v11
	v_mov_b32_e32 v19, v10
	v_cmpx_gt_u32_e32 8, v16
; %bb.1859:                             ;   in Loop: Header=BB397_1567 Depth=1
	v_ffbh_u32_e32 v13, v10
	v_min_u32_e32 v13, 32, v13
	v_subrev_nc_u32_e32 v16, 28, v13
	v_sub_nc_u32_e32 v13, 29, v13
	v_lshlrev_b64 v[19:20], v16, v[10:11]
	v_and_b32_e32 v19, 7, v19
; %bb.1860:                             ;   in Loop: Header=BB397_1567 Depth=1
	s_or_b32 exec_lo, exec_lo, s20
	v_mov_b32_e32 v10, 24
	v_lshlrev_b32_e32 v16, 20, v19
	v_lshl_add_u32 v13, v13, 23, 0x3c000000
	v_lshlrev_b32_sdwa v10, v10, v17 dst_sel:DWORD dst_unused:UNUSED_PAD src0_sel:DWORD src1_sel:BYTE_3
	v_and_b32_e32 v10, 0x80000000, v10
	v_or3_b32 v13, v16, v10, v13
.LBB397_1861:                           ;   in Loop: Header=BB397_1567 Depth=1
	s_or_b32 exec_lo, exec_lo, s18
.LBB397_1862:                           ;   in Loop: Header=BB397_1567 Depth=1
	s_or_b32 exec_lo, exec_lo, s15
.LBB397_1863:                           ;   in Loop: Header=BB397_1567 Depth=1
	s_or_b32 exec_lo, exec_lo, s13
	v_mov_b32_e32 v10, v18
	v_cmp_ne_u16_sdwa s4, v18, v11 src0_sel:BYTE_0 src1_sel:DWORD
	v_mov_b32_e32 v21, 0
	v_mov_b32_e32 v16, 0
	s_and_saveexec_b32 s13, s4
	s_cbranch_execz .LBB397_1871
; %bb.1864:                             ;   in Loop: Header=BB397_1567 Depth=1
	v_cmp_ne_u16_sdwa s4, v18, v84 src0_sel:BYTE_0 src1_sel:DWORD
	v_bfrev_b32_e32 v16, 1
	s_and_saveexec_b32 s15, s4
	s_cbranch_execz .LBB397_1870
; %bb.1865:                             ;   in Loop: Header=BB397_1567 Depth=1
	v_and_b32_e32 v19, 0x7f, v18
	v_mov_b32_e32 v16, 0x7f800001
	s_mov_b32 s18, exec_lo
	v_cmpx_ne_u32_e32 0x7f, v19
	s_cbranch_execz .LBB397_1869
; %bb.1866:                             ;   in Loop: Header=BB397_1567 Depth=1
	v_lshrrev_b32_e32 v16, 3, v19
	v_cmp_gt_u32_e64 s4, 8, v19
	v_mov_b32_e32 v20, v11
	v_mov_b32_e32 v19, v10
	s_and_saveexec_b32 s20, s4
; %bb.1867:                             ;   in Loop: Header=BB397_1567 Depth=1
	v_and_b32_e32 v16, 7, v18
	v_ffbh_u32_e32 v16, v16
	v_min_u32_e32 v16, 32, v16
	v_subrev_nc_u32_e32 v19, 28, v16
	v_sub_nc_u32_e32 v16, 29, v16
	v_lshlrev_b64 v[19:20], v19, v[10:11]
; %bb.1868:                             ;   in Loop: Header=BB397_1567 Depth=1
	s_or_b32 exec_lo, exec_lo, s20
	v_lshlrev_b32_e32 v19, 20, v19
	v_lshlrev_b32_e32 v20, 24, v10
	v_lshl_add_u32 v16, v16, 23, 0x3c000000
	v_and_b32_e32 v19, 0x700000, v19
	v_and_b32_e32 v20, 0x80000000, v20
	v_or3_b32 v16, v19, v20, v16
.LBB397_1869:                           ;   in Loop: Header=BB397_1567 Depth=1
	s_or_b32 exec_lo, exec_lo, s18
.LBB397_1870:                           ;   in Loop: Header=BB397_1567 Depth=1
	s_or_b32 exec_lo, exec_lo, s15
.LBB397_1871:                           ;   in Loop: Header=BB397_1567 Depth=1
	s_or_b32 exec_lo, exec_lo, s13
	v_cmp_ne_u16_sdwa s4, v10, v11 src0_sel:BYTE_1 src1_sel:DWORD
	s_and_saveexec_b32 s13, s4
	s_cbranch_execz .LBB397_1879
; %bb.1872:                             ;   in Loop: Header=BB397_1567 Depth=1
	v_cmp_ne_u16_sdwa s4, v10, v84 src0_sel:BYTE_1 src1_sel:DWORD
	v_bfrev_b32_e32 v21, 1
	s_and_saveexec_b32 s15, s4
	s_cbranch_execz .LBB397_1878
; %bb.1873:                             ;   in Loop: Header=BB397_1567 Depth=1
	v_mov_b32_e32 v19, 0xffff
	v_mov_b32_e32 v21, 0x7f800001
	s_mov_b32 s18, exec_lo
	v_and_b32_sdwa v19, v19, v10 dst_sel:DWORD dst_unused:UNUSED_PAD src0_sel:DWORD src1_sel:BYTE_1
	v_and_b32_e32 v22, 0x7f, v19
	v_cmpx_ne_u32_e32 0x7f, v22
	s_cbranch_execz .LBB397_1877
; %bb.1874:                             ;   in Loop: Header=BB397_1567 Depth=1
	v_and_b32_e32 v19, 7, v19
	v_mov_b32_e32 v20, v11
	v_lshrrev_b32_e32 v21, 3, v22
	s_mov_b32 s20, exec_lo
	v_cmpx_gt_u32_e32 8, v22
; %bb.1875:                             ;   in Loop: Header=BB397_1567 Depth=1
	v_ffbh_u32_e32 v21, v19
	v_min_u32_e32 v21, 32, v21
	v_subrev_nc_u32_e32 v22, 28, v21
	v_sub_nc_u32_e32 v21, 29, v21
	v_lshlrev_b64 v[19:20], v22, v[19:20]
	v_and_b32_e32 v19, 7, v19
; %bb.1876:                             ;   in Loop: Header=BB397_1567 Depth=1
	s_or_b32 exec_lo, exec_lo, s20
	v_lshlrev_b32_e32 v10, 16, v10
	v_lshlrev_b32_e32 v19, 20, v19
	v_lshl_add_u32 v20, v21, 23, 0x3c000000
	v_and_b32_e32 v10, 0x80000000, v10
	v_or3_b32 v21, v19, v10, v20
.LBB397_1877:                           ;   in Loop: Header=BB397_1567 Depth=1
	s_or_b32 exec_lo, exec_lo, s18
.LBB397_1878:                           ;   in Loop: Header=BB397_1567 Depth=1
	s_or_b32 exec_lo, exec_lo, s15
.LBB397_1879:                           ;   in Loop: Header=BB397_1567 Depth=1
	s_or_b32 exec_lo, exec_lo, s13
	v_and_b32_sdwa v10, v18, v86 dst_sel:DWORD dst_unused:UNUSED_PAD src0_sel:WORD_1 src1_sel:DWORD
	v_mov_b32_e32 v22, 0
	v_mov_b32_e32 v23, 0
	s_mov_b32 s13, exec_lo
	v_cmpx_ne_u16_e32 0, v10
	s_cbranch_execz .LBB397_1887
; %bb.1880:                             ;   in Loop: Header=BB397_1567 Depth=1
	v_bfrev_b32_e32 v23, 1
	s_mov_b32 s15, exec_lo
	v_cmpx_ne_u16_e32 0x80, v10
	s_cbranch_execz .LBB397_1886
; %bb.1881:                             ;   in Loop: Header=BB397_1567 Depth=1
	v_bfe_u32 v19, v18, 16, 7
	v_mov_b32_e32 v23, 0x7f800001
	s_mov_b32 s18, exec_lo
	v_cmpx_ne_u32_e32 0x7f, v19
	s_cbranch_execz .LBB397_1885
; %bb.1882:                             ;   in Loop: Header=BB397_1567 Depth=1
	v_mov_b32_e32 v10, 7
	v_lshrrev_b32_e32 v23, 3, v19
	v_cmp_gt_u32_e64 s4, 8, v19
	v_and_b32_sdwa v10, v18, v10 dst_sel:DWORD dst_unused:UNUSED_PAD src0_sel:WORD_1 src1_sel:DWORD
	v_mov_b32_e32 v20, v11
	v_mov_b32_e32 v19, v10
	s_and_saveexec_b32 s20, s4
; %bb.1883:                             ;   in Loop: Header=BB397_1567 Depth=1
	v_ffbh_u32_e32 v19, v10
	v_min_u32_e32 v23, 32, v19
	v_subrev_nc_u32_e32 v19, 28, v23
	v_sub_nc_u32_e32 v23, 29, v23
	v_lshlrev_b64 v[19:20], v19, v[10:11]
	v_and_b32_e32 v19, 7, v19
; %bb.1884:                             ;   in Loop: Header=BB397_1567 Depth=1
	s_or_b32 exec_lo, exec_lo, s20
	v_mov_b32_e32 v10, 24
	v_lshlrev_b32_e32 v19, 20, v19
	v_lshl_add_u32 v20, v23, 23, 0x3c000000
	v_lshlrev_b32_sdwa v10, v10, v18 dst_sel:DWORD dst_unused:UNUSED_PAD src0_sel:DWORD src1_sel:WORD_1
	v_and_b32_e32 v10, 0x80000000, v10
	v_or3_b32 v23, v19, v10, v20
.LBB397_1885:                           ;   in Loop: Header=BB397_1567 Depth=1
	s_or_b32 exec_lo, exec_lo, s18
.LBB397_1886:                           ;   in Loop: Header=BB397_1567 Depth=1
	s_or_b32 exec_lo, exec_lo, s15
.LBB397_1887:                           ;   in Loop: Header=BB397_1567 Depth=1
	s_or_b32 exec_lo, exec_lo, s13
	s_mov_b32 s13, exec_lo
	v_cmpx_lt_u64_e64 s[8:9], v[17:18]
	s_cbranch_execz .LBB397_1895
; %bb.1888:                             ;   in Loop: Header=BB397_1567 Depth=1
	v_cmp_ne_u32_sdwa s4, v18, v84 src0_sel:BYTE_3 src1_sel:DWORD
	v_bfrev_b32_e32 v22, 1
	s_and_saveexec_b32 s15, s4
	s_cbranch_execz .LBB397_1894
; %bb.1889:                             ;   in Loop: Header=BB397_1567 Depth=1
	v_bfe_u32 v19, v18, 24, 7
	v_mov_b32_e32 v22, 0x7f800001
	s_mov_b32 s18, exec_lo
	v_cmpx_ne_u32_e32 0x7f, v19
	s_cbranch_execz .LBB397_1893
; %bb.1890:                             ;   in Loop: Header=BB397_1567 Depth=1
	v_mov_b32_e32 v10, 7
	v_lshrrev_b32_e32 v17, 3, v19
	v_cmp_gt_u32_e64 s4, 8, v19
	v_and_b32_sdwa v10, v18, v10 dst_sel:DWORD dst_unused:UNUSED_PAD src0_sel:BYTE_3 src1_sel:DWORD
	v_mov_b32_e32 v20, v11
	v_mov_b32_e32 v19, v10
	s_and_saveexec_b32 s20, s4
; %bb.1891:                             ;   in Loop: Header=BB397_1567 Depth=1
	v_ffbh_u32_e32 v17, v10
	v_min_u32_e32 v17, 32, v17
	v_subrev_nc_u32_e32 v19, 28, v17
	v_sub_nc_u32_e32 v17, 29, v17
	v_lshlrev_b64 v[19:20], v19, v[10:11]
	v_and_b32_e32 v19, 7, v19
; %bb.1892:                             ;   in Loop: Header=BB397_1567 Depth=1
	s_or_b32 exec_lo, exec_lo, s20
	v_mov_b32_e32 v10, 24
	v_lshl_add_u32 v17, v17, 23, 0x3c000000
	v_lshlrev_b32_sdwa v10, v10, v18 dst_sel:DWORD dst_unused:UNUSED_PAD src0_sel:DWORD src1_sel:BYTE_3
	v_lshlrev_b32_e32 v18, 20, v19
	v_and_b32_e32 v10, 0x80000000, v10
	v_or3_b32 v22, v18, v10, v17
.LBB397_1893:                           ;   in Loop: Header=BB397_1567 Depth=1
	s_or_b32 exec_lo, exec_lo, s18
.LBB397_1894:                           ;   in Loop: Header=BB397_1567 Depth=1
	s_or_b32 exec_lo, exec_lo, s15
.LBB397_1895:                           ;   in Loop: Header=BB397_1567 Depth=1
	s_or_b32 exec_lo, exec_lo, s13
	v_mul_f32_e32 v10, v26, v21
	v_mul_f32_e32 v16, v26, v16
	;; [unrolled: 1-line block ×5, first 2 shown]
	v_bfe_u32 v17, v10, 16, 1
	v_or_b32_e32 v18, 0x400000, v10
	v_bfe_u32 v19, v16, 16, 1
	v_cmp_u_f32_e64 s4, v10, v10
	v_or_b32_e32 v20, 0x400000, v16
	v_add3_u32 v17, v17, v10, 0x7fff
	v_bfe_u32 v21, v13, 16, 1
	v_add3_u32 v19, v19, v16, 0x7fff
	v_or_b32_e32 v24, 0x400000, v13
	v_bfe_u32 v25, v12, 16, 1
	v_cndmask_b32_e64 v10, v17, v18, s4
	v_cmp_u_f32_e64 s4, v16, v16
	v_add3_u32 v21, v21, v13, 0x7fff
	v_or_b32_e32 v17, 0x400000, v12
	v_mul_f32_e32 v4, v26, v4
	v_lshrrev_b32_e32 v10, 16, v10
	v_cndmask_b32_e64 v16, v19, v20, s4
	v_cmp_u_f32_e64 s4, v13, v13
	v_bfe_u32 v18, v4, 16, 1
	buffer_store_dword v10, off, s[0:3], s32 offset:340 ; 4-byte Folded Spill
	v_add3_u32 v10, v25, v12, 0x7fff
	v_cndmask_b32_e64 v13, v21, v24, s4
	v_lshrrev_b32_e32 v16, 16, v16
	v_cmp_u_f32_e64 s4, v12, v12
	v_mul_f32_e32 v12, v26, v23
	v_lshrrev_b32_e32 v13, 16, v13
	buffer_store_dword v16, off, s[0:3], s32 offset:332 ; 4-byte Folded Spill
	v_cndmask_b32_e64 v10, v10, v17, s4
	v_or_b32_e32 v16, 0x400000, v5
	v_cmp_u_f32_e64 s4, v5, v5
	buffer_store_dword v13, off, s[0:3], s32 offset:344 ; 4-byte Folded Spill
	v_bfe_u32 v13, v5, 16, 1
	v_mul_f32_e32 v17, v26, v22
	v_bfe_u32 v19, v12, 16, 1
	v_or_b32_e32 v20, 0x400000, v12
	v_lshrrev_b32_e32 v10, 16, v10
	v_add3_u32 v13, v13, v5, 0x7fff
	v_or_b32_e32 v21, 0x400000, v17
	v_add3_u32 v19, v19, v12, 0x7fff
	buffer_store_dword v10, off, s[0:3], s32 offset:348 ; 4-byte Folded Spill
	v_cndmask_b32_e64 v5, v13, v16, s4
	v_add3_u32 v16, v18, v4, 0x7fff
	v_or_b32_e32 v18, 0x400000, v4
	v_cmp_u_f32_e64 s4, v4, v4
	v_bfe_u32 v13, v17, 16, 1
	v_lshrrev_b32_e32 v5, 16, v5
	v_cndmask_b32_e64 v4, v16, v18, s4
	v_cmp_u_f32_e64 s4, v12, v12
	v_add3_u32 v13, v13, v17, 0x7fff
	buffer_store_dword v5, off, s[0:3], s32 offset:356 ; 4-byte Folded Spill
	v_lshrrev_b32_e32 v4, 16, v4
	v_cndmask_b32_e64 v12, v19, v20, s4
	v_cmp_u_f32_e64 s4, v17, v17
	buffer_store_dword v4, off, s[0:3], s32 offset:352 ; 4-byte Folded Spill
	v_lshrrev_b32_e32 v4, 16, v12
	v_cndmask_b32_e64 v13, v13, v21, s4
	buffer_store_dword v4, off, s[0:3], s32 offset:328 ; 4-byte Folded Spill
	v_lshrrev_b32_e32 v4, 16, v13
	buffer_store_dword v4, off, s[0:3], s32 offset:336 ; 4-byte Folded Spill
	s_and_saveexec_b32 s13, vcc_lo
	s_cbranch_execz .LBB397_1897
; %bb.1896:                             ;   in Loop: Header=BB397_1567 Depth=1
	buffer_load_dword v4, off, s[0:3], s32 offset:352 ; 4-byte Folded Reload
	v_cmp_lt_i32_e64 s4, v89, v107
	s_waitcnt vmcnt(0)
	v_cndmask_b32_e64 v4, 0, v4, s4
	v_cmp_lt_i32_e64 s4, v110, v107
	buffer_store_dword v4, off, s[0:3], s32 offset:352 ; 4-byte Folded Spill
	buffer_load_dword v4, off, s[0:3], s32 offset:356 ; 4-byte Folded Reload
	s_waitcnt vmcnt(0)
	v_cndmask_b32_e64 v4, 0, v4, s4
	v_cmp_lt_i32_e64 s4, v106, v107
	buffer_store_dword v4, off, s[0:3], s32 offset:356 ; 4-byte Folded Spill
	buffer_load_dword v4, off, s[0:3], s32 offset:348 ; 4-byte Folded Reload
	;; [unrolled: 5-line block ×7, first 2 shown]
	s_waitcnt vmcnt(0)
	v_cndmask_b32_e64 v4, 0, v4, s4
	buffer_store_dword v4, off, s[0:3], s32 offset:336 ; 4-byte Folded Spill
.LBB397_1897:                           ;   in Loop: Header=BB397_1567 Depth=1
	s_or_b32 exec_lo, exec_lo, s13
	flat_load_dwordx2 v[17:18], v[14:15] offset:1280
	v_mov_b32_e32 v5, 0
	v_mov_b32_e32 v4, 0
	s_waitcnt vmcnt(0) lgkmcnt(0)
	v_cmp_ne_u16_sdwa s4, v17, v11 src0_sel:BYTE_0 src1_sel:DWORD
	s_and_saveexec_b32 s13, s4
	s_cbranch_execz .LBB397_1905
; %bb.1898:                             ;   in Loop: Header=BB397_1567 Depth=1
	v_cmp_ne_u16_sdwa s4, v17, v84 src0_sel:BYTE_0 src1_sel:DWORD
	v_bfrev_b32_e32 v4, 1
	s_and_saveexec_b32 s15, s4
	s_cbranch_execz .LBB397_1904
; %bb.1899:                             ;   in Loop: Header=BB397_1567 Depth=1
	v_and_b32_e32 v10, 0x7f, v17
	v_mov_b32_e32 v4, 0x7f800001
	s_mov_b32 s18, exec_lo
	v_cmpx_ne_u32_e32 0x7f, v10
	s_cbranch_execz .LBB397_1903
; %bb.1900:                             ;   in Loop: Header=BB397_1567 Depth=1
	v_mov_b32_e32 v20, v18
	v_lshrrev_b32_e32 v4, 3, v10
	v_mov_b32_e32 v19, v17
	s_mov_b32 s20, exec_lo
	v_cmpx_gt_u32_e32 8, v10
; %bb.1901:                             ;   in Loop: Header=BB397_1567 Depth=1
	v_and_b32_e32 v4, 7, v17
	v_ffbh_u32_e32 v4, v4
	v_min_u32_e32 v4, 32, v4
	v_subrev_nc_u32_e32 v10, 28, v4
	v_sub_nc_u32_e32 v4, 29, v4
	v_lshlrev_b64 v[19:20], v10, v[17:18]
; %bb.1902:                             ;   in Loop: Header=BB397_1567 Depth=1
	s_or_b32 exec_lo, exec_lo, s20
	v_lshlrev_b32_e32 v10, 20, v19
	v_lshlrev_b32_e32 v12, 24, v17
	v_lshl_add_u32 v4, v4, 23, 0x3c000000
	v_and_b32_e32 v10, 0x700000, v10
	v_and_b32_e32 v12, 0x80000000, v12
	v_or3_b32 v4, v10, v12, v4
.LBB397_1903:                           ;   in Loop: Header=BB397_1567 Depth=1
	s_or_b32 exec_lo, exec_lo, s18
.LBB397_1904:                           ;   in Loop: Header=BB397_1567 Depth=1
	s_or_b32 exec_lo, exec_lo, s15
.LBB397_1905:                           ;   in Loop: Header=BB397_1567 Depth=1
	s_or_b32 exec_lo, exec_lo, s13
	v_cmp_ne_u16_sdwa s4, v17, v11 src0_sel:BYTE_1 src1_sel:DWORD
	s_and_saveexec_b32 s13, s4
	s_cbranch_execz .LBB397_1913
; %bb.1906:                             ;   in Loop: Header=BB397_1567 Depth=1
	v_cmp_ne_u16_sdwa s4, v17, v84 src0_sel:BYTE_1 src1_sel:DWORD
	v_bfrev_b32_e32 v5, 1
	s_and_saveexec_b32 s15, s4
	s_cbranch_execz .LBB397_1912
; %bb.1907:                             ;   in Loop: Header=BB397_1567 Depth=1
	v_mov_b32_e32 v5, 0xffff
	s_mov_b32 s18, exec_lo
	v_and_b32_sdwa v10, v5, v17 dst_sel:DWORD dst_unused:UNUSED_PAD src0_sel:DWORD src1_sel:BYTE_1
	v_mov_b32_e32 v5, 0x7f800001
	v_and_b32_e32 v12, 0x7f, v10
	v_cmpx_ne_u32_e32 0x7f, v12
	s_cbranch_execz .LBB397_1911
; %bb.1908:                             ;   in Loop: Header=BB397_1567 Depth=1
	v_and_b32_e32 v10, 7, v10
	v_mov_b32_e32 v20, v11
	v_lshrrev_b32_e32 v5, 3, v12
	s_mov_b32 s20, exec_lo
	v_mov_b32_e32 v19, v10
	v_cmpx_gt_u32_e32 8, v12
; %bb.1909:                             ;   in Loop: Header=BB397_1567 Depth=1
	v_ffbh_u32_e32 v5, v10
	v_min_u32_e32 v5, 32, v5
	v_subrev_nc_u32_e32 v12, 28, v5
	v_sub_nc_u32_e32 v5, 29, v5
	v_lshlrev_b64 v[12:13], v12, v[10:11]
	v_and_b32_e32 v19, 7, v12
; %bb.1910:                             ;   in Loop: Header=BB397_1567 Depth=1
	s_or_b32 exec_lo, exec_lo, s20
	v_lshlrev_b32_e32 v10, 16, v17
	v_lshlrev_b32_e32 v12, 20, v19
	v_lshl_add_u32 v5, v5, 23, 0x3c000000
	v_and_b32_e32 v10, 0x80000000, v10
	v_or3_b32 v5, v12, v10, v5
.LBB397_1911:                           ;   in Loop: Header=BB397_1567 Depth=1
	s_or_b32 exec_lo, exec_lo, s18
.LBB397_1912:                           ;   in Loop: Header=BB397_1567 Depth=1
	s_or_b32 exec_lo, exec_lo, s15
.LBB397_1913:                           ;   in Loop: Header=BB397_1567 Depth=1
	s_or_b32 exec_lo, exec_lo, s13
	v_and_b32_sdwa v10, v17, v86 dst_sel:DWORD dst_unused:UNUSED_PAD src0_sel:WORD_1 src1_sel:DWORD
	v_mov_b32_e32 v13, 0
	v_mov_b32_e32 v12, 0
	s_mov_b32 s13, exec_lo
	v_cmpx_ne_u16_e32 0, v10
	s_cbranch_execz .LBB397_1921
; %bb.1914:                             ;   in Loop: Header=BB397_1567 Depth=1
	v_bfrev_b32_e32 v12, 1
	s_mov_b32 s15, exec_lo
	v_cmpx_ne_u16_e32 0x80, v10
	s_cbranch_execz .LBB397_1920
; %bb.1915:                             ;   in Loop: Header=BB397_1567 Depth=1
	v_bfe_u32 v16, v17, 16, 7
	v_mov_b32_e32 v12, 0x7f800001
	s_mov_b32 s18, exec_lo
	v_cmpx_ne_u32_e32 0x7f, v16
	s_cbranch_execz .LBB397_1919
; %bb.1916:                             ;   in Loop: Header=BB397_1567 Depth=1
	v_mov_b32_e32 v10, 7
	v_lshrrev_b32_e32 v12, 3, v16
	s_mov_b32 s20, exec_lo
	v_and_b32_sdwa v10, v17, v10 dst_sel:DWORD dst_unused:UNUSED_PAD src0_sel:WORD_1 src1_sel:DWORD
	v_mov_b32_e32 v20, v11
	v_mov_b32_e32 v19, v10
	v_cmpx_gt_u32_e32 8, v16
; %bb.1917:                             ;   in Loop: Header=BB397_1567 Depth=1
	v_ffbh_u32_e32 v12, v10
	v_min_u32_e32 v12, 32, v12
	v_subrev_nc_u32_e32 v16, 28, v12
	v_sub_nc_u32_e32 v12, 29, v12
	v_lshlrev_b64 v[19:20], v16, v[10:11]
	v_and_b32_e32 v19, 7, v19
; %bb.1918:                             ;   in Loop: Header=BB397_1567 Depth=1
	s_or_b32 exec_lo, exec_lo, s20
	v_mov_b32_e32 v10, 24
	v_lshlrev_b32_e32 v16, 20, v19
	v_lshl_add_u32 v12, v12, 23, 0x3c000000
	v_lshlrev_b32_sdwa v10, v10, v17 dst_sel:DWORD dst_unused:UNUSED_PAD src0_sel:DWORD src1_sel:WORD_1
	v_and_b32_e32 v10, 0x80000000, v10
	v_or3_b32 v12, v16, v10, v12
.LBB397_1919:                           ;   in Loop: Header=BB397_1567 Depth=1
	s_or_b32 exec_lo, exec_lo, s18
.LBB397_1920:                           ;   in Loop: Header=BB397_1567 Depth=1
	s_or_b32 exec_lo, exec_lo, s15
.LBB397_1921:                           ;   in Loop: Header=BB397_1567 Depth=1
	s_or_b32 exec_lo, exec_lo, s13
	s_mov_b32 s13, exec_lo
	v_cmpx_lt_u32_e32 0xffffff, v17
	s_cbranch_execz .LBB397_1929
; %bb.1922:                             ;   in Loop: Header=BB397_1567 Depth=1
	v_cmp_ne_u32_sdwa s4, v17, v84 src0_sel:BYTE_3 src1_sel:DWORD
	v_bfrev_b32_e32 v13, 1
	s_and_saveexec_b32 s15, s4
	s_cbranch_execz .LBB397_1928
; %bb.1923:                             ;   in Loop: Header=BB397_1567 Depth=1
	v_bfe_u32 v16, v17, 24, 7
	v_mov_b32_e32 v13, 0x7f800001
	s_mov_b32 s18, exec_lo
	v_cmpx_ne_u32_e32 0x7f, v16
	s_cbranch_execz .LBB397_1927
; %bb.1924:                             ;   in Loop: Header=BB397_1567 Depth=1
	v_mov_b32_e32 v10, 7
	v_lshrrev_b32_e32 v13, 3, v16
	s_mov_b32 s20, exec_lo
	v_and_b32_sdwa v10, v17, v10 dst_sel:DWORD dst_unused:UNUSED_PAD src0_sel:BYTE_3 src1_sel:DWORD
	v_mov_b32_e32 v20, v11
	v_mov_b32_e32 v19, v10
	v_cmpx_gt_u32_e32 8, v16
; %bb.1925:                             ;   in Loop: Header=BB397_1567 Depth=1
	v_ffbh_u32_e32 v13, v10
	v_min_u32_e32 v13, 32, v13
	v_subrev_nc_u32_e32 v16, 28, v13
	v_sub_nc_u32_e32 v13, 29, v13
	v_lshlrev_b64 v[19:20], v16, v[10:11]
	v_and_b32_e32 v19, 7, v19
; %bb.1926:                             ;   in Loop: Header=BB397_1567 Depth=1
	s_or_b32 exec_lo, exec_lo, s20
	v_mov_b32_e32 v10, 24
	v_lshlrev_b32_e32 v16, 20, v19
	v_lshl_add_u32 v13, v13, 23, 0x3c000000
	v_lshlrev_b32_sdwa v10, v10, v17 dst_sel:DWORD dst_unused:UNUSED_PAD src0_sel:DWORD src1_sel:BYTE_3
	v_and_b32_e32 v10, 0x80000000, v10
	v_or3_b32 v13, v16, v10, v13
.LBB397_1927:                           ;   in Loop: Header=BB397_1567 Depth=1
	s_or_b32 exec_lo, exec_lo, s18
.LBB397_1928:                           ;   in Loop: Header=BB397_1567 Depth=1
	s_or_b32 exec_lo, exec_lo, s15
.LBB397_1929:                           ;   in Loop: Header=BB397_1567 Depth=1
	s_or_b32 exec_lo, exec_lo, s13
	v_mov_b32_e32 v10, v18
	v_cmp_ne_u16_sdwa s4, v18, v11 src0_sel:BYTE_0 src1_sel:DWORD
	v_mov_b32_e32 v21, 0
	v_mov_b32_e32 v16, 0
	s_and_saveexec_b32 s13, s4
	s_cbranch_execz .LBB397_1937
; %bb.1930:                             ;   in Loop: Header=BB397_1567 Depth=1
	v_cmp_ne_u16_sdwa s4, v18, v84 src0_sel:BYTE_0 src1_sel:DWORD
	v_bfrev_b32_e32 v16, 1
	s_and_saveexec_b32 s15, s4
	s_cbranch_execz .LBB397_1936
; %bb.1931:                             ;   in Loop: Header=BB397_1567 Depth=1
	v_and_b32_e32 v19, 0x7f, v18
	v_mov_b32_e32 v16, 0x7f800001
	s_mov_b32 s18, exec_lo
	v_cmpx_ne_u32_e32 0x7f, v19
	s_cbranch_execz .LBB397_1935
; %bb.1932:                             ;   in Loop: Header=BB397_1567 Depth=1
	v_lshrrev_b32_e32 v16, 3, v19
	v_cmp_gt_u32_e64 s4, 8, v19
	v_mov_b32_e32 v20, v11
	v_mov_b32_e32 v19, v10
	s_and_saveexec_b32 s20, s4
; %bb.1933:                             ;   in Loop: Header=BB397_1567 Depth=1
	v_and_b32_e32 v16, 7, v18
	v_ffbh_u32_e32 v16, v16
	v_min_u32_e32 v16, 32, v16
	v_subrev_nc_u32_e32 v19, 28, v16
	v_sub_nc_u32_e32 v16, 29, v16
	v_lshlrev_b64 v[19:20], v19, v[10:11]
; %bb.1934:                             ;   in Loop: Header=BB397_1567 Depth=1
	s_or_b32 exec_lo, exec_lo, s20
	v_lshlrev_b32_e32 v19, 20, v19
	v_lshlrev_b32_e32 v20, 24, v10
	v_lshl_add_u32 v16, v16, 23, 0x3c000000
	v_and_b32_e32 v19, 0x700000, v19
	v_and_b32_e32 v20, 0x80000000, v20
	v_or3_b32 v16, v19, v20, v16
.LBB397_1935:                           ;   in Loop: Header=BB397_1567 Depth=1
	s_or_b32 exec_lo, exec_lo, s18
.LBB397_1936:                           ;   in Loop: Header=BB397_1567 Depth=1
	s_or_b32 exec_lo, exec_lo, s15
.LBB397_1937:                           ;   in Loop: Header=BB397_1567 Depth=1
	s_or_b32 exec_lo, exec_lo, s13
	v_cmp_ne_u16_sdwa s4, v10, v11 src0_sel:BYTE_1 src1_sel:DWORD
	s_and_saveexec_b32 s13, s4
	s_cbranch_execz .LBB397_1945
; %bb.1938:                             ;   in Loop: Header=BB397_1567 Depth=1
	v_cmp_ne_u16_sdwa s4, v10, v84 src0_sel:BYTE_1 src1_sel:DWORD
	v_bfrev_b32_e32 v21, 1
	s_and_saveexec_b32 s15, s4
	s_cbranch_execz .LBB397_1944
; %bb.1939:                             ;   in Loop: Header=BB397_1567 Depth=1
	v_mov_b32_e32 v19, 0xffff
	v_mov_b32_e32 v21, 0x7f800001
	s_mov_b32 s18, exec_lo
	v_and_b32_sdwa v19, v19, v10 dst_sel:DWORD dst_unused:UNUSED_PAD src0_sel:DWORD src1_sel:BYTE_1
	v_and_b32_e32 v22, 0x7f, v19
	v_cmpx_ne_u32_e32 0x7f, v22
	s_cbranch_execz .LBB397_1943
; %bb.1940:                             ;   in Loop: Header=BB397_1567 Depth=1
	v_and_b32_e32 v19, 7, v19
	v_mov_b32_e32 v20, v11
	v_lshrrev_b32_e32 v21, 3, v22
	s_mov_b32 s20, exec_lo
	v_cmpx_gt_u32_e32 8, v22
; %bb.1941:                             ;   in Loop: Header=BB397_1567 Depth=1
	v_ffbh_u32_e32 v21, v19
	v_min_u32_e32 v21, 32, v21
	v_subrev_nc_u32_e32 v22, 28, v21
	v_sub_nc_u32_e32 v21, 29, v21
	v_lshlrev_b64 v[19:20], v22, v[19:20]
	v_and_b32_e32 v19, 7, v19
; %bb.1942:                             ;   in Loop: Header=BB397_1567 Depth=1
	s_or_b32 exec_lo, exec_lo, s20
	v_lshlrev_b32_e32 v10, 16, v10
	v_lshlrev_b32_e32 v19, 20, v19
	v_lshl_add_u32 v20, v21, 23, 0x3c000000
	v_and_b32_e32 v10, 0x80000000, v10
	v_or3_b32 v21, v19, v10, v20
.LBB397_1943:                           ;   in Loop: Header=BB397_1567 Depth=1
	s_or_b32 exec_lo, exec_lo, s18
.LBB397_1944:                           ;   in Loop: Header=BB397_1567 Depth=1
	s_or_b32 exec_lo, exec_lo, s15
.LBB397_1945:                           ;   in Loop: Header=BB397_1567 Depth=1
	s_or_b32 exec_lo, exec_lo, s13
	v_and_b32_sdwa v10, v18, v86 dst_sel:DWORD dst_unused:UNUSED_PAD src0_sel:WORD_1 src1_sel:DWORD
	v_mov_b32_e32 v22, 0
	v_mov_b32_e32 v23, 0
	s_mov_b32 s13, exec_lo
	v_cmpx_ne_u16_e32 0, v10
	s_cbranch_execz .LBB397_1953
; %bb.1946:                             ;   in Loop: Header=BB397_1567 Depth=1
	v_bfrev_b32_e32 v23, 1
	s_mov_b32 s15, exec_lo
	v_cmpx_ne_u16_e32 0x80, v10
	s_cbranch_execz .LBB397_1952
; %bb.1947:                             ;   in Loop: Header=BB397_1567 Depth=1
	v_bfe_u32 v19, v18, 16, 7
	v_mov_b32_e32 v23, 0x7f800001
	s_mov_b32 s18, exec_lo
	v_cmpx_ne_u32_e32 0x7f, v19
	s_cbranch_execz .LBB397_1951
; %bb.1948:                             ;   in Loop: Header=BB397_1567 Depth=1
	v_mov_b32_e32 v10, 7
	v_lshrrev_b32_e32 v23, 3, v19
	v_cmp_gt_u32_e64 s4, 8, v19
	v_and_b32_sdwa v10, v18, v10 dst_sel:DWORD dst_unused:UNUSED_PAD src0_sel:WORD_1 src1_sel:DWORD
	v_mov_b32_e32 v20, v11
	v_mov_b32_e32 v19, v10
	s_and_saveexec_b32 s20, s4
; %bb.1949:                             ;   in Loop: Header=BB397_1567 Depth=1
	v_ffbh_u32_e32 v19, v10
	v_min_u32_e32 v23, 32, v19
	v_subrev_nc_u32_e32 v19, 28, v23
	v_sub_nc_u32_e32 v23, 29, v23
	v_lshlrev_b64 v[19:20], v19, v[10:11]
	v_and_b32_e32 v19, 7, v19
; %bb.1950:                             ;   in Loop: Header=BB397_1567 Depth=1
	s_or_b32 exec_lo, exec_lo, s20
	v_mov_b32_e32 v10, 24
	v_lshlrev_b32_e32 v19, 20, v19
	v_lshl_add_u32 v20, v23, 23, 0x3c000000
	v_lshlrev_b32_sdwa v10, v10, v18 dst_sel:DWORD dst_unused:UNUSED_PAD src0_sel:DWORD src1_sel:WORD_1
	v_and_b32_e32 v10, 0x80000000, v10
	v_or3_b32 v23, v19, v10, v20
.LBB397_1951:                           ;   in Loop: Header=BB397_1567 Depth=1
	s_or_b32 exec_lo, exec_lo, s18
.LBB397_1952:                           ;   in Loop: Header=BB397_1567 Depth=1
	s_or_b32 exec_lo, exec_lo, s15
.LBB397_1953:                           ;   in Loop: Header=BB397_1567 Depth=1
	s_or_b32 exec_lo, exec_lo, s13
	s_mov_b32 s13, exec_lo
	v_cmpx_lt_u64_e64 s[8:9], v[17:18]
	s_cbranch_execz .LBB397_1961
; %bb.1954:                             ;   in Loop: Header=BB397_1567 Depth=1
	v_cmp_ne_u32_sdwa s4, v18, v84 src0_sel:BYTE_3 src1_sel:DWORD
	v_bfrev_b32_e32 v22, 1
	s_and_saveexec_b32 s15, s4
	s_cbranch_execz .LBB397_1960
; %bb.1955:                             ;   in Loop: Header=BB397_1567 Depth=1
	v_bfe_u32 v19, v18, 24, 7
	v_mov_b32_e32 v22, 0x7f800001
	s_mov_b32 s18, exec_lo
	v_cmpx_ne_u32_e32 0x7f, v19
	s_cbranch_execz .LBB397_1959
; %bb.1956:                             ;   in Loop: Header=BB397_1567 Depth=1
	v_mov_b32_e32 v10, 7
	v_lshrrev_b32_e32 v17, 3, v19
	v_cmp_gt_u32_e64 s4, 8, v19
	v_and_b32_sdwa v10, v18, v10 dst_sel:DWORD dst_unused:UNUSED_PAD src0_sel:BYTE_3 src1_sel:DWORD
	v_mov_b32_e32 v20, v11
	v_mov_b32_e32 v19, v10
	s_and_saveexec_b32 s20, s4
; %bb.1957:                             ;   in Loop: Header=BB397_1567 Depth=1
	v_ffbh_u32_e32 v17, v10
	v_min_u32_e32 v17, 32, v17
	v_subrev_nc_u32_e32 v19, 28, v17
	v_sub_nc_u32_e32 v17, 29, v17
	v_lshlrev_b64 v[19:20], v19, v[10:11]
	v_and_b32_e32 v19, 7, v19
; %bb.1958:                             ;   in Loop: Header=BB397_1567 Depth=1
	s_or_b32 exec_lo, exec_lo, s20
	v_mov_b32_e32 v10, 24
	v_lshl_add_u32 v17, v17, 23, 0x3c000000
	v_lshlrev_b32_sdwa v10, v10, v18 dst_sel:DWORD dst_unused:UNUSED_PAD src0_sel:DWORD src1_sel:BYTE_3
	v_lshlrev_b32_e32 v18, 20, v19
	v_and_b32_e32 v10, 0x80000000, v10
	v_or3_b32 v22, v18, v10, v17
.LBB397_1959:                           ;   in Loop: Header=BB397_1567 Depth=1
	s_or_b32 exec_lo, exec_lo, s18
.LBB397_1960:                           ;   in Loop: Header=BB397_1567 Depth=1
	s_or_b32 exec_lo, exec_lo, s15
.LBB397_1961:                           ;   in Loop: Header=BB397_1567 Depth=1
	s_or_b32 exec_lo, exec_lo, s13
	v_mul_f32_e32 v10, v26, v21
	v_mul_f32_e32 v16, v26, v16
	;; [unrolled: 1-line block ×5, first 2 shown]
	v_bfe_u32 v17, v10, 16, 1
	v_or_b32_e32 v18, 0x400000, v10
	v_bfe_u32 v19, v16, 16, 1
	v_cmp_u_f32_e64 s4, v10, v10
	v_or_b32_e32 v20, 0x400000, v16
	v_add3_u32 v17, v17, v10, 0x7fff
	v_bfe_u32 v21, v13, 16, 1
	v_add3_u32 v19, v19, v16, 0x7fff
	v_or_b32_e32 v24, 0x400000, v13
	v_bfe_u32 v25, v12, 16, 1
	v_cndmask_b32_e64 v10, v17, v18, s4
	v_cmp_u_f32_e64 s4, v16, v16
	v_add3_u32 v21, v21, v13, 0x7fff
	v_or_b32_e32 v17, 0x400000, v12
	v_mul_f32_e32 v4, v26, v4
	v_lshrrev_b32_e32 v10, 16, v10
	v_cndmask_b32_e64 v16, v19, v20, s4
	v_cmp_u_f32_e64 s4, v13, v13
	v_bfe_u32 v18, v4, 16, 1
	buffer_store_dword v10, off, s[0:3], s32 offset:372 ; 4-byte Folded Spill
	v_add3_u32 v10, v25, v12, 0x7fff
	v_cndmask_b32_e64 v13, v21, v24, s4
	v_lshrrev_b32_e32 v16, 16, v16
	v_cmp_u_f32_e64 s4, v12, v12
	v_mul_f32_e32 v12, v26, v23
	v_lshrrev_b32_e32 v13, 16, v13
	buffer_store_dword v16, off, s[0:3], s32 offset:364 ; 4-byte Folded Spill
	v_cndmask_b32_e64 v10, v10, v17, s4
	v_or_b32_e32 v16, 0x400000, v5
	v_cmp_u_f32_e64 s4, v5, v5
	buffer_store_dword v13, off, s[0:3], s32 offset:376 ; 4-byte Folded Spill
	v_bfe_u32 v13, v5, 16, 1
	v_mul_f32_e32 v17, v26, v22
	v_bfe_u32 v19, v12, 16, 1
	v_or_b32_e32 v20, 0x400000, v12
	v_lshrrev_b32_e32 v10, 16, v10
	v_add3_u32 v13, v13, v5, 0x7fff
	v_or_b32_e32 v21, 0x400000, v17
	v_add3_u32 v19, v19, v12, 0x7fff
	buffer_store_dword v10, off, s[0:3], s32 offset:380 ; 4-byte Folded Spill
	v_cndmask_b32_e64 v5, v13, v16, s4
	v_add3_u32 v16, v18, v4, 0x7fff
	v_or_b32_e32 v18, 0x400000, v4
	v_cmp_u_f32_e64 s4, v4, v4
	v_bfe_u32 v13, v17, 16, 1
	v_lshrrev_b32_e32 v5, 16, v5
	v_cndmask_b32_e64 v4, v16, v18, s4
	v_cmp_u_f32_e64 s4, v12, v12
	v_add3_u32 v13, v13, v17, 0x7fff
	buffer_store_dword v5, off, s[0:3], s32 offset:388 ; 4-byte Folded Spill
	v_lshrrev_b32_e32 v4, 16, v4
	v_cndmask_b32_e64 v12, v19, v20, s4
	v_cmp_u_f32_e64 s4, v17, v17
	buffer_store_dword v4, off, s[0:3], s32 offset:384 ; 4-byte Folded Spill
	v_lshrrev_b32_e32 v4, 16, v12
	v_cndmask_b32_e64 v13, v13, v21, s4
	buffer_store_dword v4, off, s[0:3], s32 offset:360 ; 4-byte Folded Spill
	v_lshrrev_b32_e32 v4, 16, v13
	buffer_store_dword v4, off, s[0:3], s32 offset:368 ; 4-byte Folded Spill
	s_and_saveexec_b32 s13, vcc_lo
	s_cbranch_execz .LBB397_1963
; %bb.1962:                             ;   in Loop: Header=BB397_1567 Depth=1
	buffer_load_dword v4, off, s[0:3], s32 offset:384 ; 4-byte Folded Reload
	v_cmp_lt_i32_e64 s4, v89, v107
	s_waitcnt vmcnt(0)
	v_cndmask_b32_e64 v4, 0, v4, s4
	v_cmp_lt_i32_e64 s4, v110, v107
	buffer_store_dword v4, off, s[0:3], s32 offset:384 ; 4-byte Folded Spill
	buffer_load_dword v4, off, s[0:3], s32 offset:388 ; 4-byte Folded Reload
	s_waitcnt vmcnt(0)
	v_cndmask_b32_e64 v4, 0, v4, s4
	v_cmp_lt_i32_e64 s4, v106, v107
	buffer_store_dword v4, off, s[0:3], s32 offset:388 ; 4-byte Folded Spill
	buffer_load_dword v4, off, s[0:3], s32 offset:380 ; 4-byte Folded Reload
	;; [unrolled: 5-line block ×7, first 2 shown]
	s_waitcnt vmcnt(0)
	v_cndmask_b32_e64 v4, 0, v4, s4
	buffer_store_dword v4, off, s[0:3], s32 offset:368 ; 4-byte Folded Spill
.LBB397_1963:                           ;   in Loop: Header=BB397_1567 Depth=1
	s_or_b32 exec_lo, exec_lo, s13
	flat_load_dwordx2 v[17:18], v[14:15] offset:1536
	v_mov_b32_e32 v5, 0
	v_mov_b32_e32 v4, 0
	s_waitcnt vmcnt(0) lgkmcnt(0)
	v_cmp_ne_u16_sdwa s4, v17, v11 src0_sel:BYTE_0 src1_sel:DWORD
	s_and_saveexec_b32 s13, s4
	s_cbranch_execz .LBB397_1971
; %bb.1964:                             ;   in Loop: Header=BB397_1567 Depth=1
	v_cmp_ne_u16_sdwa s4, v17, v84 src0_sel:BYTE_0 src1_sel:DWORD
	v_bfrev_b32_e32 v4, 1
	s_and_saveexec_b32 s15, s4
	s_cbranch_execz .LBB397_1970
; %bb.1965:                             ;   in Loop: Header=BB397_1567 Depth=1
	v_and_b32_e32 v10, 0x7f, v17
	v_mov_b32_e32 v4, 0x7f800001
	s_mov_b32 s18, exec_lo
	v_cmpx_ne_u32_e32 0x7f, v10
	s_cbranch_execz .LBB397_1969
; %bb.1966:                             ;   in Loop: Header=BB397_1567 Depth=1
	v_mov_b32_e32 v20, v18
	v_lshrrev_b32_e32 v4, 3, v10
	v_mov_b32_e32 v19, v17
	s_mov_b32 s20, exec_lo
	v_cmpx_gt_u32_e32 8, v10
; %bb.1967:                             ;   in Loop: Header=BB397_1567 Depth=1
	v_and_b32_e32 v4, 7, v17
	v_ffbh_u32_e32 v4, v4
	v_min_u32_e32 v4, 32, v4
	v_subrev_nc_u32_e32 v10, 28, v4
	v_sub_nc_u32_e32 v4, 29, v4
	v_lshlrev_b64 v[19:20], v10, v[17:18]
; %bb.1968:                             ;   in Loop: Header=BB397_1567 Depth=1
	s_or_b32 exec_lo, exec_lo, s20
	v_lshlrev_b32_e32 v10, 20, v19
	v_lshlrev_b32_e32 v12, 24, v17
	v_lshl_add_u32 v4, v4, 23, 0x3c000000
	v_and_b32_e32 v10, 0x700000, v10
	v_and_b32_e32 v12, 0x80000000, v12
	v_or3_b32 v4, v10, v12, v4
.LBB397_1969:                           ;   in Loop: Header=BB397_1567 Depth=1
	s_or_b32 exec_lo, exec_lo, s18
.LBB397_1970:                           ;   in Loop: Header=BB397_1567 Depth=1
	s_or_b32 exec_lo, exec_lo, s15
.LBB397_1971:                           ;   in Loop: Header=BB397_1567 Depth=1
	s_or_b32 exec_lo, exec_lo, s13
	v_cmp_ne_u16_sdwa s4, v17, v11 src0_sel:BYTE_1 src1_sel:DWORD
	s_and_saveexec_b32 s13, s4
	s_cbranch_execz .LBB397_1979
; %bb.1972:                             ;   in Loop: Header=BB397_1567 Depth=1
	v_cmp_ne_u16_sdwa s4, v17, v84 src0_sel:BYTE_1 src1_sel:DWORD
	v_bfrev_b32_e32 v5, 1
	s_and_saveexec_b32 s15, s4
	s_cbranch_execz .LBB397_1978
; %bb.1973:                             ;   in Loop: Header=BB397_1567 Depth=1
	v_mov_b32_e32 v5, 0xffff
	s_mov_b32 s18, exec_lo
	v_and_b32_sdwa v10, v5, v17 dst_sel:DWORD dst_unused:UNUSED_PAD src0_sel:DWORD src1_sel:BYTE_1
	v_mov_b32_e32 v5, 0x7f800001
	v_and_b32_e32 v12, 0x7f, v10
	v_cmpx_ne_u32_e32 0x7f, v12
	s_cbranch_execz .LBB397_1977
; %bb.1974:                             ;   in Loop: Header=BB397_1567 Depth=1
	v_and_b32_e32 v10, 7, v10
	v_mov_b32_e32 v20, v11
	v_lshrrev_b32_e32 v5, 3, v12
	s_mov_b32 s20, exec_lo
	v_mov_b32_e32 v19, v10
	v_cmpx_gt_u32_e32 8, v12
; %bb.1975:                             ;   in Loop: Header=BB397_1567 Depth=1
	v_ffbh_u32_e32 v5, v10
	v_min_u32_e32 v5, 32, v5
	v_subrev_nc_u32_e32 v12, 28, v5
	v_sub_nc_u32_e32 v5, 29, v5
	v_lshlrev_b64 v[12:13], v12, v[10:11]
	v_and_b32_e32 v19, 7, v12
; %bb.1976:                             ;   in Loop: Header=BB397_1567 Depth=1
	s_or_b32 exec_lo, exec_lo, s20
	v_lshlrev_b32_e32 v10, 16, v17
	v_lshlrev_b32_e32 v12, 20, v19
	v_lshl_add_u32 v5, v5, 23, 0x3c000000
	v_and_b32_e32 v10, 0x80000000, v10
	v_or3_b32 v5, v12, v10, v5
.LBB397_1977:                           ;   in Loop: Header=BB397_1567 Depth=1
	s_or_b32 exec_lo, exec_lo, s18
.LBB397_1978:                           ;   in Loop: Header=BB397_1567 Depth=1
	s_or_b32 exec_lo, exec_lo, s15
.LBB397_1979:                           ;   in Loop: Header=BB397_1567 Depth=1
	s_or_b32 exec_lo, exec_lo, s13
	v_and_b32_sdwa v10, v17, v86 dst_sel:DWORD dst_unused:UNUSED_PAD src0_sel:WORD_1 src1_sel:DWORD
	v_mov_b32_e32 v13, 0
	v_mov_b32_e32 v12, 0
	s_mov_b32 s13, exec_lo
	v_cmpx_ne_u16_e32 0, v10
	s_cbranch_execz .LBB397_1987
; %bb.1980:                             ;   in Loop: Header=BB397_1567 Depth=1
	v_bfrev_b32_e32 v12, 1
	s_mov_b32 s15, exec_lo
	v_cmpx_ne_u16_e32 0x80, v10
	s_cbranch_execz .LBB397_1986
; %bb.1981:                             ;   in Loop: Header=BB397_1567 Depth=1
	v_bfe_u32 v16, v17, 16, 7
	v_mov_b32_e32 v12, 0x7f800001
	s_mov_b32 s18, exec_lo
	v_cmpx_ne_u32_e32 0x7f, v16
	s_cbranch_execz .LBB397_1985
; %bb.1982:                             ;   in Loop: Header=BB397_1567 Depth=1
	v_mov_b32_e32 v10, 7
	v_lshrrev_b32_e32 v12, 3, v16
	s_mov_b32 s20, exec_lo
	v_and_b32_sdwa v10, v17, v10 dst_sel:DWORD dst_unused:UNUSED_PAD src0_sel:WORD_1 src1_sel:DWORD
	v_mov_b32_e32 v20, v11
	v_mov_b32_e32 v19, v10
	v_cmpx_gt_u32_e32 8, v16
; %bb.1983:                             ;   in Loop: Header=BB397_1567 Depth=1
	v_ffbh_u32_e32 v12, v10
	v_min_u32_e32 v12, 32, v12
	v_subrev_nc_u32_e32 v16, 28, v12
	v_sub_nc_u32_e32 v12, 29, v12
	v_lshlrev_b64 v[19:20], v16, v[10:11]
	v_and_b32_e32 v19, 7, v19
; %bb.1984:                             ;   in Loop: Header=BB397_1567 Depth=1
	s_or_b32 exec_lo, exec_lo, s20
	v_mov_b32_e32 v10, 24
	v_lshlrev_b32_e32 v16, 20, v19
	v_lshl_add_u32 v12, v12, 23, 0x3c000000
	v_lshlrev_b32_sdwa v10, v10, v17 dst_sel:DWORD dst_unused:UNUSED_PAD src0_sel:DWORD src1_sel:WORD_1
	v_and_b32_e32 v10, 0x80000000, v10
	v_or3_b32 v12, v16, v10, v12
.LBB397_1985:                           ;   in Loop: Header=BB397_1567 Depth=1
	s_or_b32 exec_lo, exec_lo, s18
.LBB397_1986:                           ;   in Loop: Header=BB397_1567 Depth=1
	s_or_b32 exec_lo, exec_lo, s15
.LBB397_1987:                           ;   in Loop: Header=BB397_1567 Depth=1
	s_or_b32 exec_lo, exec_lo, s13
	s_mov_b32 s13, exec_lo
	v_cmpx_lt_u32_e32 0xffffff, v17
	s_cbranch_execz .LBB397_1995
; %bb.1988:                             ;   in Loop: Header=BB397_1567 Depth=1
	v_cmp_ne_u32_sdwa s4, v17, v84 src0_sel:BYTE_3 src1_sel:DWORD
	v_bfrev_b32_e32 v13, 1
	s_and_saveexec_b32 s15, s4
	s_cbranch_execz .LBB397_1994
; %bb.1989:                             ;   in Loop: Header=BB397_1567 Depth=1
	v_bfe_u32 v16, v17, 24, 7
	v_mov_b32_e32 v13, 0x7f800001
	s_mov_b32 s18, exec_lo
	v_cmpx_ne_u32_e32 0x7f, v16
	s_cbranch_execz .LBB397_1993
; %bb.1990:                             ;   in Loop: Header=BB397_1567 Depth=1
	v_mov_b32_e32 v10, 7
	v_lshrrev_b32_e32 v13, 3, v16
	s_mov_b32 s20, exec_lo
	v_and_b32_sdwa v10, v17, v10 dst_sel:DWORD dst_unused:UNUSED_PAD src0_sel:BYTE_3 src1_sel:DWORD
	v_mov_b32_e32 v20, v11
	v_mov_b32_e32 v19, v10
	v_cmpx_gt_u32_e32 8, v16
; %bb.1991:                             ;   in Loop: Header=BB397_1567 Depth=1
	v_ffbh_u32_e32 v13, v10
	v_min_u32_e32 v13, 32, v13
	v_subrev_nc_u32_e32 v16, 28, v13
	v_sub_nc_u32_e32 v13, 29, v13
	v_lshlrev_b64 v[19:20], v16, v[10:11]
	v_and_b32_e32 v19, 7, v19
; %bb.1992:                             ;   in Loop: Header=BB397_1567 Depth=1
	s_or_b32 exec_lo, exec_lo, s20
	v_mov_b32_e32 v10, 24
	v_lshlrev_b32_e32 v16, 20, v19
	v_lshl_add_u32 v13, v13, 23, 0x3c000000
	v_lshlrev_b32_sdwa v10, v10, v17 dst_sel:DWORD dst_unused:UNUSED_PAD src0_sel:DWORD src1_sel:BYTE_3
	v_and_b32_e32 v10, 0x80000000, v10
	v_or3_b32 v13, v16, v10, v13
.LBB397_1993:                           ;   in Loop: Header=BB397_1567 Depth=1
	s_or_b32 exec_lo, exec_lo, s18
.LBB397_1994:                           ;   in Loop: Header=BB397_1567 Depth=1
	s_or_b32 exec_lo, exec_lo, s15
.LBB397_1995:                           ;   in Loop: Header=BB397_1567 Depth=1
	s_or_b32 exec_lo, exec_lo, s13
	v_mov_b32_e32 v10, v18
	v_cmp_ne_u16_sdwa s4, v18, v11 src0_sel:BYTE_0 src1_sel:DWORD
	v_mov_b32_e32 v23, 0
	v_mov_b32_e32 v22, 0
	s_and_saveexec_b32 s13, s4
	s_cbranch_execz .LBB397_2003
; %bb.1996:                             ;   in Loop: Header=BB397_1567 Depth=1
	v_cmp_ne_u16_sdwa s4, v18, v84 src0_sel:BYTE_0 src1_sel:DWORD
	v_bfrev_b32_e32 v22, 1
	s_and_saveexec_b32 s15, s4
	s_cbranch_execz .LBB397_2002
; %bb.1997:                             ;   in Loop: Header=BB397_1567 Depth=1
	v_and_b32_e32 v19, 0x7f, v18
	v_mov_b32_e32 v22, 0x7f800001
	s_mov_b32 s18, exec_lo
	v_cmpx_ne_u32_e32 0x7f, v19
	s_cbranch_execz .LBB397_2001
; %bb.1998:                             ;   in Loop: Header=BB397_1567 Depth=1
	v_lshrrev_b32_e32 v16, 3, v19
	v_cmp_gt_u32_e64 s4, 8, v19
	v_mov_b32_e32 v20, v11
	v_mov_b32_e32 v19, v10
	s_and_saveexec_b32 s20, s4
; %bb.1999:                             ;   in Loop: Header=BB397_1567 Depth=1
	v_and_b32_e32 v16, 7, v18
	v_ffbh_u32_e32 v16, v16
	v_min_u32_e32 v16, 32, v16
	v_subrev_nc_u32_e32 v19, 28, v16
	v_sub_nc_u32_e32 v16, 29, v16
	v_lshlrev_b64 v[19:20], v19, v[10:11]
; %bb.2000:                             ;   in Loop: Header=BB397_1567 Depth=1
	s_or_b32 exec_lo, exec_lo, s20
	v_lshlrev_b32_e32 v19, 20, v19
	v_lshlrev_b32_e32 v20, 24, v10
	v_lshl_add_u32 v16, v16, 23, 0x3c000000
	v_and_b32_e32 v19, 0x700000, v19
	v_and_b32_e32 v20, 0x80000000, v20
	v_or3_b32 v22, v19, v20, v16
.LBB397_2001:                           ;   in Loop: Header=BB397_1567 Depth=1
	s_or_b32 exec_lo, exec_lo, s18
.LBB397_2002:                           ;   in Loop: Header=BB397_1567 Depth=1
	s_or_b32 exec_lo, exec_lo, s15
.LBB397_2003:                           ;   in Loop: Header=BB397_1567 Depth=1
	s_or_b32 exec_lo, exec_lo, s13
	v_cmp_ne_u16_sdwa s4, v10, v11 src0_sel:BYTE_1 src1_sel:DWORD
	s_and_saveexec_b32 s13, s4
	s_cbranch_execz .LBB397_2011
; %bb.2004:                             ;   in Loop: Header=BB397_1567 Depth=1
	v_cmp_ne_u16_sdwa s4, v10, v84 src0_sel:BYTE_1 src1_sel:DWORD
	v_bfrev_b32_e32 v23, 1
	s_and_saveexec_b32 s15, s4
	s_cbranch_execz .LBB397_2010
; %bb.2005:                             ;   in Loop: Header=BB397_1567 Depth=1
	v_mov_b32_e32 v16, 0xffff
	v_mov_b32_e32 v23, 0x7f800001
	s_mov_b32 s18, exec_lo
	v_and_b32_sdwa v16, v16, v10 dst_sel:DWORD dst_unused:UNUSED_PAD src0_sel:DWORD src1_sel:BYTE_1
	v_and_b32_e32 v21, 0x7f, v16
	v_cmpx_ne_u32_e32 0x7f, v21
	s_cbranch_execz .LBB397_2009
; %bb.2006:                             ;   in Loop: Header=BB397_1567 Depth=1
	v_and_b32_e32 v19, 7, v16
	v_mov_b32_e32 v20, v11
	v_lshrrev_b32_e32 v16, 3, v21
	s_mov_b32 s20, exec_lo
	v_cmpx_gt_u32_e32 8, v21
; %bb.2007:                             ;   in Loop: Header=BB397_1567 Depth=1
	v_ffbh_u32_e32 v16, v19
	v_min_u32_e32 v16, 32, v16
	v_subrev_nc_u32_e32 v21, 28, v16
	v_sub_nc_u32_e32 v16, 29, v16
	v_lshlrev_b64 v[19:20], v21, v[19:20]
	v_and_b32_e32 v19, 7, v19
; %bb.2008:                             ;   in Loop: Header=BB397_1567 Depth=1
	s_or_b32 exec_lo, exec_lo, s20
	v_lshlrev_b32_e32 v10, 16, v10
	v_lshlrev_b32_e32 v19, 20, v19
	v_lshl_add_u32 v16, v16, 23, 0x3c000000
	v_and_b32_e32 v10, 0x80000000, v10
	v_or3_b32 v23, v19, v10, v16
.LBB397_2009:                           ;   in Loop: Header=BB397_1567 Depth=1
	s_or_b32 exec_lo, exec_lo, s18
.LBB397_2010:                           ;   in Loop: Header=BB397_1567 Depth=1
	s_or_b32 exec_lo, exec_lo, s15
.LBB397_2011:                           ;   in Loop: Header=BB397_1567 Depth=1
	s_or_b32 exec_lo, exec_lo, s13
	v_and_b32_sdwa v10, v18, v86 dst_sel:DWORD dst_unused:UNUSED_PAD src0_sel:WORD_1 src1_sel:DWORD
	v_mov_b32_e32 v16, 0
	v_mov_b32_e32 v21, 0
	s_mov_b32 s13, exec_lo
	v_cmpx_ne_u16_e32 0, v10
	s_cbranch_execz .LBB397_2019
; %bb.2012:                             ;   in Loop: Header=BB397_1567 Depth=1
	v_bfrev_b32_e32 v21, 1
	s_mov_b32 s15, exec_lo
	v_cmpx_ne_u16_e32 0x80, v10
	s_cbranch_execz .LBB397_2018
; %bb.2013:                             ;   in Loop: Header=BB397_1567 Depth=1
	v_bfe_u32 v19, v18, 16, 7
	v_mov_b32_e32 v21, 0x7f800001
	s_mov_b32 s18, exec_lo
	v_cmpx_ne_u32_e32 0x7f, v19
	s_cbranch_execz .LBB397_2017
; %bb.2014:                             ;   in Loop: Header=BB397_1567 Depth=1
	v_mov_b32_e32 v10, 7
	v_lshrrev_b32_e32 v21, 3, v19
	v_cmp_gt_u32_e64 s4, 8, v19
	v_and_b32_sdwa v10, v18, v10 dst_sel:DWORD dst_unused:UNUSED_PAD src0_sel:WORD_1 src1_sel:DWORD
	v_mov_b32_e32 v20, v11
	v_mov_b32_e32 v19, v10
	s_and_saveexec_b32 s20, s4
; %bb.2015:                             ;   in Loop: Header=BB397_1567 Depth=1
	v_ffbh_u32_e32 v19, v10
	v_min_u32_e32 v21, 32, v19
	v_subrev_nc_u32_e32 v19, 28, v21
	v_sub_nc_u32_e32 v21, 29, v21
	v_lshlrev_b64 v[19:20], v19, v[10:11]
	v_and_b32_e32 v19, 7, v19
; %bb.2016:                             ;   in Loop: Header=BB397_1567 Depth=1
	s_or_b32 exec_lo, exec_lo, s20
	v_mov_b32_e32 v10, 24
	v_lshlrev_b32_e32 v19, 20, v19
	v_lshl_add_u32 v20, v21, 23, 0x3c000000
	v_lshlrev_b32_sdwa v10, v10, v18 dst_sel:DWORD dst_unused:UNUSED_PAD src0_sel:DWORD src1_sel:WORD_1
	v_and_b32_e32 v10, 0x80000000, v10
	v_or3_b32 v21, v19, v10, v20
.LBB397_2017:                           ;   in Loop: Header=BB397_1567 Depth=1
	s_or_b32 exec_lo, exec_lo, s18
.LBB397_2018:                           ;   in Loop: Header=BB397_1567 Depth=1
	s_or_b32 exec_lo, exec_lo, s15
.LBB397_2019:                           ;   in Loop: Header=BB397_1567 Depth=1
	s_or_b32 exec_lo, exec_lo, s13
	s_mov_b32 s13, exec_lo
	v_cmpx_lt_u64_e64 s[8:9], v[17:18]
	s_cbranch_execz .LBB397_2027
; %bb.2020:                             ;   in Loop: Header=BB397_1567 Depth=1
	v_cmp_ne_u32_sdwa s4, v18, v84 src0_sel:BYTE_3 src1_sel:DWORD
	v_bfrev_b32_e32 v16, 1
	s_and_saveexec_b32 s15, s4
	s_cbranch_execz .LBB397_2026
; %bb.2021:                             ;   in Loop: Header=BB397_1567 Depth=1
	v_bfe_u32 v17, v18, 24, 7
	v_mov_b32_e32 v16, 0x7f800001
	s_mov_b32 s18, exec_lo
	v_cmpx_ne_u32_e32 0x7f, v17
	s_cbranch_execz .LBB397_2025
; %bb.2022:                             ;   in Loop: Header=BB397_1567 Depth=1
	v_mov_b32_e32 v10, 7
	v_lshrrev_b32_e32 v16, 3, v17
	s_mov_b32 s20, exec_lo
	v_and_b32_sdwa v10, v18, v10 dst_sel:DWORD dst_unused:UNUSED_PAD src0_sel:BYTE_3 src1_sel:DWORD
	v_mov_b32_e32 v20, v11
	v_mov_b32_e32 v19, v10
	v_cmpx_gt_u32_e32 8, v17
; %bb.2023:                             ;   in Loop: Header=BB397_1567 Depth=1
	v_ffbh_u32_e32 v16, v10
	v_min_u32_e32 v16, 32, v16
	v_subrev_nc_u32_e32 v17, 28, v16
	v_sub_nc_u32_e32 v16, 29, v16
	v_lshlrev_b64 v[19:20], v17, v[10:11]
	v_and_b32_e32 v19, 7, v19
; %bb.2024:                             ;   in Loop: Header=BB397_1567 Depth=1
	s_or_b32 exec_lo, exec_lo, s20
	v_mov_b32_e32 v10, 24
	v_lshlrev_b32_e32 v17, 20, v19
	v_lshl_add_u32 v16, v16, 23, 0x3c000000
	v_lshlrev_b32_sdwa v10, v10, v18 dst_sel:DWORD dst_unused:UNUSED_PAD src0_sel:DWORD src1_sel:BYTE_3
	v_and_b32_e32 v10, 0x80000000, v10
	v_or3_b32 v16, v17, v10, v16
.LBB397_2025:                           ;   in Loop: Header=BB397_1567 Depth=1
	s_or_b32 exec_lo, exec_lo, s18
.LBB397_2026:                           ;   in Loop: Header=BB397_1567 Depth=1
	s_or_b32 exec_lo, exec_lo, s15
.LBB397_2027:                           ;   in Loop: Header=BB397_1567 Depth=1
	s_or_b32 exec_lo, exec_lo, s13
	v_mul_f32_e32 v10, v26, v23
	v_mul_f32_e32 v5, v26, v5
	v_mul_f32_e32 v4, v26, v4
	v_bfe_u32 v17, v10, 16, 1
	v_or_b32_e32 v18, 0x400000, v10
	v_cmp_u_f32_e64 s4, v10, v10
	v_add3_u32 v17, v17, v10, 0x7fff
	v_cndmask_b32_e64 v10, v17, v18, s4
	v_lshrrev_b32_e32 v10, 16, v10
	buffer_store_dword v10, off, s[0:3], s32 offset:396 ; 4-byte Folded Spill
	v_mul_f32_e32 v10, v26, v22
	v_bfe_u32 v17, v10, 16, 1
	v_or_b32_e32 v18, 0x400000, v10
	v_cmp_u_f32_e64 s4, v10, v10
	v_add3_u32 v17, v17, v10, 0x7fff
	v_cndmask_b32_e64 v10, v17, v18, s4
	v_lshrrev_b32_e32 v10, 16, v10
	buffer_store_dword v10, off, s[0:3], s32 offset:392 ; 4-byte Folded Spill
	v_mul_f32_e32 v10, v26, v13
	;; [unrolled: 8-line block ×3, first 2 shown]
	v_bfe_u32 v12, v10, 16, 1
	v_or_b32_e32 v13, 0x400000, v10
	v_cmp_u_f32_e64 s4, v10, v10
	v_add3_u32 v12, v12, v10, 0x7fff
	v_cndmask_b32_e64 v10, v12, v13, s4
	v_or_b32_e32 v12, 0x400000, v5
	v_cmp_u_f32_e64 s4, v5, v5
	v_lshrrev_b32_e32 v10, 16, v10
	buffer_store_dword v10, off, s[0:3], s32 offset:404 ; 4-byte Folded Spill
	v_bfe_u32 v10, v5, 16, 1
	v_add3_u32 v10, v10, v5, 0x7fff
	v_cndmask_b32_e64 v5, v10, v12, s4
	v_or_b32_e32 v10, 0x400000, v4
	v_cmp_u_f32_e64 s4, v4, v4
	v_lshrrev_b32_e32 v5, 16, v5
	buffer_store_dword v5, off, s[0:3], s32 offset:420 ; 4-byte Folded Spill
	v_bfe_u32 v5, v4, 16, 1
	v_add3_u32 v5, v5, v4, 0x7fff
	v_cndmask_b32_e64 v4, v5, v10, s4
	v_lshrrev_b32_e32 v4, 16, v4
	buffer_store_dword v4, off, s[0:3], s32 offset:416 ; 4-byte Folded Spill
	v_mul_f32_e32 v4, v26, v21
	v_bfe_u32 v5, v4, 16, 1
	v_or_b32_e32 v10, 0x400000, v4
	v_cmp_u_f32_e64 s4, v4, v4
	v_add3_u32 v5, v5, v4, 0x7fff
	v_cndmask_b32_e64 v4, v5, v10, s4
	v_lshrrev_b32_e32 v4, 16, v4
	buffer_store_dword v4, off, s[0:3], s32 offset:400 ; 4-byte Folded Spill
	v_mul_f32_e32 v4, v26, v16
	v_bfe_u32 v5, v4, 16, 1
	v_or_b32_e32 v10, 0x400000, v4
	v_cmp_u_f32_e64 s4, v4, v4
	v_add3_u32 v5, v5, v4, 0x7fff
	v_cndmask_b32_e64 v4, v5, v10, s4
	v_lshrrev_b32_e32 v4, 16, v4
	buffer_store_dword v4, off, s[0:3], s32 offset:412 ; 4-byte Folded Spill
	s_and_saveexec_b32 s13, vcc_lo
	s_cbranch_execz .LBB397_2029
; %bb.2028:                             ;   in Loop: Header=BB397_1567 Depth=1
	buffer_load_dword v4, off, s[0:3], s32 offset:416 ; 4-byte Folded Reload
	v_cmp_lt_i32_e64 s4, v89, v107
	s_waitcnt vmcnt(0)
	v_cndmask_b32_e64 v4, 0, v4, s4
	v_cmp_lt_i32_e64 s4, v110, v107
	buffer_store_dword v4, off, s[0:3], s32 offset:416 ; 4-byte Folded Spill
	buffer_load_dword v4, off, s[0:3], s32 offset:420 ; 4-byte Folded Reload
	s_waitcnt vmcnt(0)
	v_cndmask_b32_e64 v4, 0, v4, s4
	v_cmp_lt_i32_e64 s4, v106, v107
	buffer_store_dword v4, off, s[0:3], s32 offset:420 ; 4-byte Folded Spill
	buffer_load_dword v4, off, s[0:3], s32 offset:404 ; 4-byte Folded Reload
	;; [unrolled: 5-line block ×7, first 2 shown]
	s_waitcnt vmcnt(0)
	v_cndmask_b32_e64 v4, 0, v4, s4
	buffer_store_dword v4, off, s[0:3], s32 offset:412 ; 4-byte Folded Spill
.LBB397_2029:                           ;   in Loop: Header=BB397_1567 Depth=1
	s_or_b32 exec_lo, exec_lo, s13
	flat_load_dwordx2 v[17:18], v[14:15] offset:1792
	v_mov_b32_e32 v5, 0
	v_mov_b32_e32 v4, 0
	s_waitcnt vmcnt(0) lgkmcnt(0)
	v_cmp_ne_u16_sdwa s4, v17, v11 src0_sel:BYTE_0 src1_sel:DWORD
	s_and_saveexec_b32 s13, s4
	s_cbranch_execz .LBB397_2037
; %bb.2030:                             ;   in Loop: Header=BB397_1567 Depth=1
	v_cmp_ne_u16_sdwa s4, v17, v84 src0_sel:BYTE_0 src1_sel:DWORD
	v_bfrev_b32_e32 v4, 1
	s_and_saveexec_b32 s15, s4
	s_cbranch_execz .LBB397_2036
; %bb.2031:                             ;   in Loop: Header=BB397_1567 Depth=1
	v_and_b32_e32 v10, 0x7f, v17
	v_mov_b32_e32 v4, 0x7f800001
	s_mov_b32 s18, exec_lo
	v_cmpx_ne_u32_e32 0x7f, v10
	s_cbranch_execz .LBB397_2035
; %bb.2032:                             ;   in Loop: Header=BB397_1567 Depth=1
	v_mov_b32_e32 v20, v18
	v_lshrrev_b32_e32 v4, 3, v10
	v_mov_b32_e32 v19, v17
	s_mov_b32 s20, exec_lo
	v_cmpx_gt_u32_e32 8, v10
; %bb.2033:                             ;   in Loop: Header=BB397_1567 Depth=1
	v_and_b32_e32 v4, 7, v17
	v_ffbh_u32_e32 v4, v4
	v_min_u32_e32 v4, 32, v4
	v_subrev_nc_u32_e32 v10, 28, v4
	v_sub_nc_u32_e32 v4, 29, v4
	v_lshlrev_b64 v[19:20], v10, v[17:18]
; %bb.2034:                             ;   in Loop: Header=BB397_1567 Depth=1
	s_or_b32 exec_lo, exec_lo, s20
	v_lshlrev_b32_e32 v10, 20, v19
	v_lshlrev_b32_e32 v12, 24, v17
	v_lshl_add_u32 v4, v4, 23, 0x3c000000
	v_and_b32_e32 v10, 0x700000, v10
	v_and_b32_e32 v12, 0x80000000, v12
	v_or3_b32 v4, v10, v12, v4
.LBB397_2035:                           ;   in Loop: Header=BB397_1567 Depth=1
	s_or_b32 exec_lo, exec_lo, s18
.LBB397_2036:                           ;   in Loop: Header=BB397_1567 Depth=1
	s_or_b32 exec_lo, exec_lo, s15
.LBB397_2037:                           ;   in Loop: Header=BB397_1567 Depth=1
	s_or_b32 exec_lo, exec_lo, s13
	v_cmp_ne_u16_sdwa s4, v17, v11 src0_sel:BYTE_1 src1_sel:DWORD
	s_and_saveexec_b32 s13, s4
	s_cbranch_execz .LBB397_2045
; %bb.2038:                             ;   in Loop: Header=BB397_1567 Depth=1
	v_cmp_ne_u16_sdwa s4, v17, v84 src0_sel:BYTE_1 src1_sel:DWORD
	v_bfrev_b32_e32 v5, 1
	s_and_saveexec_b32 s15, s4
	s_cbranch_execz .LBB397_2044
; %bb.2039:                             ;   in Loop: Header=BB397_1567 Depth=1
	v_mov_b32_e32 v5, 0xffff
	s_mov_b32 s18, exec_lo
	v_and_b32_sdwa v10, v5, v17 dst_sel:DWORD dst_unused:UNUSED_PAD src0_sel:DWORD src1_sel:BYTE_1
	v_mov_b32_e32 v5, 0x7f800001
	v_and_b32_e32 v12, 0x7f, v10
	v_cmpx_ne_u32_e32 0x7f, v12
	s_cbranch_execz .LBB397_2043
; %bb.2040:                             ;   in Loop: Header=BB397_1567 Depth=1
	v_and_b32_e32 v10, 7, v10
	v_mov_b32_e32 v20, v11
	v_lshrrev_b32_e32 v5, 3, v12
	s_mov_b32 s20, exec_lo
	v_mov_b32_e32 v19, v10
	v_cmpx_gt_u32_e32 8, v12
; %bb.2041:                             ;   in Loop: Header=BB397_1567 Depth=1
	v_ffbh_u32_e32 v5, v10
	v_min_u32_e32 v5, 32, v5
	v_subrev_nc_u32_e32 v12, 28, v5
	v_sub_nc_u32_e32 v5, 29, v5
	v_lshlrev_b64 v[12:13], v12, v[10:11]
	v_and_b32_e32 v19, 7, v12
; %bb.2042:                             ;   in Loop: Header=BB397_1567 Depth=1
	s_or_b32 exec_lo, exec_lo, s20
	v_lshlrev_b32_e32 v10, 16, v17
	v_lshlrev_b32_e32 v12, 20, v19
	v_lshl_add_u32 v5, v5, 23, 0x3c000000
	v_and_b32_e32 v10, 0x80000000, v10
	v_or3_b32 v5, v12, v10, v5
.LBB397_2043:                           ;   in Loop: Header=BB397_1567 Depth=1
	s_or_b32 exec_lo, exec_lo, s18
.LBB397_2044:                           ;   in Loop: Header=BB397_1567 Depth=1
	s_or_b32 exec_lo, exec_lo, s15
.LBB397_2045:                           ;   in Loop: Header=BB397_1567 Depth=1
	s_or_b32 exec_lo, exec_lo, s13
	v_and_b32_sdwa v10, v17, v86 dst_sel:DWORD dst_unused:UNUSED_PAD src0_sel:WORD_1 src1_sel:DWORD
	v_mov_b32_e32 v13, 0
	v_mov_b32_e32 v12, 0
	s_mov_b32 s13, exec_lo
	v_cmpx_ne_u16_e32 0, v10
	s_cbranch_execz .LBB397_2053
; %bb.2046:                             ;   in Loop: Header=BB397_1567 Depth=1
	v_bfrev_b32_e32 v12, 1
	s_mov_b32 s15, exec_lo
	v_cmpx_ne_u16_e32 0x80, v10
	s_cbranch_execz .LBB397_2052
; %bb.2047:                             ;   in Loop: Header=BB397_1567 Depth=1
	v_bfe_u32 v16, v17, 16, 7
	v_mov_b32_e32 v12, 0x7f800001
	s_mov_b32 s18, exec_lo
	v_cmpx_ne_u32_e32 0x7f, v16
	s_cbranch_execz .LBB397_2051
; %bb.2048:                             ;   in Loop: Header=BB397_1567 Depth=1
	v_mov_b32_e32 v10, 7
	v_lshrrev_b32_e32 v12, 3, v16
	s_mov_b32 s20, exec_lo
	v_and_b32_sdwa v10, v17, v10 dst_sel:DWORD dst_unused:UNUSED_PAD src0_sel:WORD_1 src1_sel:DWORD
	v_mov_b32_e32 v20, v11
	v_mov_b32_e32 v19, v10
	v_cmpx_gt_u32_e32 8, v16
; %bb.2049:                             ;   in Loop: Header=BB397_1567 Depth=1
	v_ffbh_u32_e32 v12, v10
	v_min_u32_e32 v12, 32, v12
	v_subrev_nc_u32_e32 v16, 28, v12
	v_sub_nc_u32_e32 v12, 29, v12
	v_lshlrev_b64 v[19:20], v16, v[10:11]
	v_and_b32_e32 v19, 7, v19
; %bb.2050:                             ;   in Loop: Header=BB397_1567 Depth=1
	s_or_b32 exec_lo, exec_lo, s20
	v_mov_b32_e32 v10, 24
	v_lshlrev_b32_e32 v16, 20, v19
	v_lshl_add_u32 v12, v12, 23, 0x3c000000
	v_lshlrev_b32_sdwa v10, v10, v17 dst_sel:DWORD dst_unused:UNUSED_PAD src0_sel:DWORD src1_sel:WORD_1
	v_and_b32_e32 v10, 0x80000000, v10
	v_or3_b32 v12, v16, v10, v12
.LBB397_2051:                           ;   in Loop: Header=BB397_1567 Depth=1
	s_or_b32 exec_lo, exec_lo, s18
.LBB397_2052:                           ;   in Loop: Header=BB397_1567 Depth=1
	s_or_b32 exec_lo, exec_lo, s15
.LBB397_2053:                           ;   in Loop: Header=BB397_1567 Depth=1
	s_or_b32 exec_lo, exec_lo, s13
	s_mov_b32 s13, exec_lo
	v_cmpx_lt_u32_e32 0xffffff, v17
	s_cbranch_execz .LBB397_2061
; %bb.2054:                             ;   in Loop: Header=BB397_1567 Depth=1
	v_cmp_ne_u32_sdwa s4, v17, v84 src0_sel:BYTE_3 src1_sel:DWORD
	v_bfrev_b32_e32 v13, 1
	s_and_saveexec_b32 s15, s4
	s_cbranch_execz .LBB397_2060
; %bb.2055:                             ;   in Loop: Header=BB397_1567 Depth=1
	v_bfe_u32 v16, v17, 24, 7
	v_mov_b32_e32 v13, 0x7f800001
	s_mov_b32 s18, exec_lo
	v_cmpx_ne_u32_e32 0x7f, v16
	s_cbranch_execz .LBB397_2059
; %bb.2056:                             ;   in Loop: Header=BB397_1567 Depth=1
	v_mov_b32_e32 v10, 7
	v_lshrrev_b32_e32 v13, 3, v16
	s_mov_b32 s20, exec_lo
	v_and_b32_sdwa v10, v17, v10 dst_sel:DWORD dst_unused:UNUSED_PAD src0_sel:BYTE_3 src1_sel:DWORD
	v_mov_b32_e32 v20, v11
	v_mov_b32_e32 v19, v10
	v_cmpx_gt_u32_e32 8, v16
; %bb.2057:                             ;   in Loop: Header=BB397_1567 Depth=1
	v_ffbh_u32_e32 v13, v10
	v_min_u32_e32 v13, 32, v13
	v_subrev_nc_u32_e32 v16, 28, v13
	v_sub_nc_u32_e32 v13, 29, v13
	v_lshlrev_b64 v[19:20], v16, v[10:11]
	v_and_b32_e32 v19, 7, v19
; %bb.2058:                             ;   in Loop: Header=BB397_1567 Depth=1
	s_or_b32 exec_lo, exec_lo, s20
	v_mov_b32_e32 v10, 24
	v_lshlrev_b32_e32 v16, 20, v19
	v_lshl_add_u32 v13, v13, 23, 0x3c000000
	v_lshlrev_b32_sdwa v10, v10, v17 dst_sel:DWORD dst_unused:UNUSED_PAD src0_sel:DWORD src1_sel:BYTE_3
	v_and_b32_e32 v10, 0x80000000, v10
	v_or3_b32 v13, v16, v10, v13
.LBB397_2059:                           ;   in Loop: Header=BB397_1567 Depth=1
	s_or_b32 exec_lo, exec_lo, s18
.LBB397_2060:                           ;   in Loop: Header=BB397_1567 Depth=1
	s_or_b32 exec_lo, exec_lo, s15
.LBB397_2061:                           ;   in Loop: Header=BB397_1567 Depth=1
	s_or_b32 exec_lo, exec_lo, s13
	v_mov_b32_e32 v10, v18
	v_cmp_ne_u16_sdwa s4, v18, v11 src0_sel:BYTE_0 src1_sel:DWORD
	v_mov_b32_e32 v23, 0
	v_mov_b32_e32 v22, 0
	s_and_saveexec_b32 s13, s4
	s_cbranch_execz .LBB397_2069
; %bb.2062:                             ;   in Loop: Header=BB397_1567 Depth=1
	v_cmp_ne_u16_sdwa s4, v18, v84 src0_sel:BYTE_0 src1_sel:DWORD
	v_bfrev_b32_e32 v22, 1
	s_and_saveexec_b32 s15, s4
	s_cbranch_execz .LBB397_2068
; %bb.2063:                             ;   in Loop: Header=BB397_1567 Depth=1
	v_and_b32_e32 v19, 0x7f, v18
	v_mov_b32_e32 v22, 0x7f800001
	s_mov_b32 s18, exec_lo
	v_cmpx_ne_u32_e32 0x7f, v19
	s_cbranch_execz .LBB397_2067
; %bb.2064:                             ;   in Loop: Header=BB397_1567 Depth=1
	v_lshrrev_b32_e32 v16, 3, v19
	v_cmp_gt_u32_e64 s4, 8, v19
	v_mov_b32_e32 v20, v11
	v_mov_b32_e32 v19, v10
	s_and_saveexec_b32 s20, s4
; %bb.2065:                             ;   in Loop: Header=BB397_1567 Depth=1
	v_and_b32_e32 v16, 7, v18
	v_ffbh_u32_e32 v16, v16
	v_min_u32_e32 v16, 32, v16
	v_subrev_nc_u32_e32 v19, 28, v16
	v_sub_nc_u32_e32 v16, 29, v16
	v_lshlrev_b64 v[19:20], v19, v[10:11]
; %bb.2066:                             ;   in Loop: Header=BB397_1567 Depth=1
	s_or_b32 exec_lo, exec_lo, s20
	v_lshlrev_b32_e32 v19, 20, v19
	v_lshlrev_b32_e32 v20, 24, v10
	v_lshl_add_u32 v16, v16, 23, 0x3c000000
	v_and_b32_e32 v19, 0x700000, v19
	v_and_b32_e32 v20, 0x80000000, v20
	v_or3_b32 v22, v19, v20, v16
.LBB397_2067:                           ;   in Loop: Header=BB397_1567 Depth=1
	s_or_b32 exec_lo, exec_lo, s18
.LBB397_2068:                           ;   in Loop: Header=BB397_1567 Depth=1
	s_or_b32 exec_lo, exec_lo, s15
.LBB397_2069:                           ;   in Loop: Header=BB397_1567 Depth=1
	s_or_b32 exec_lo, exec_lo, s13
	v_cmp_ne_u16_sdwa s4, v10, v11 src0_sel:BYTE_1 src1_sel:DWORD
	s_and_saveexec_b32 s13, s4
	s_cbranch_execz .LBB397_2077
; %bb.2070:                             ;   in Loop: Header=BB397_1567 Depth=1
	v_cmp_ne_u16_sdwa s4, v10, v84 src0_sel:BYTE_1 src1_sel:DWORD
	v_bfrev_b32_e32 v23, 1
	s_and_saveexec_b32 s15, s4
	s_cbranch_execz .LBB397_2076
; %bb.2071:                             ;   in Loop: Header=BB397_1567 Depth=1
	v_mov_b32_e32 v16, 0xffff
	v_mov_b32_e32 v23, 0x7f800001
	s_mov_b32 s18, exec_lo
	v_and_b32_sdwa v16, v16, v10 dst_sel:DWORD dst_unused:UNUSED_PAD src0_sel:DWORD src1_sel:BYTE_1
	v_and_b32_e32 v21, 0x7f, v16
	v_cmpx_ne_u32_e32 0x7f, v21
	s_cbranch_execz .LBB397_2075
; %bb.2072:                             ;   in Loop: Header=BB397_1567 Depth=1
	v_and_b32_e32 v19, 7, v16
	v_mov_b32_e32 v20, v11
	v_lshrrev_b32_e32 v16, 3, v21
	s_mov_b32 s20, exec_lo
	v_cmpx_gt_u32_e32 8, v21
; %bb.2073:                             ;   in Loop: Header=BB397_1567 Depth=1
	v_ffbh_u32_e32 v16, v19
	v_min_u32_e32 v16, 32, v16
	v_subrev_nc_u32_e32 v21, 28, v16
	v_sub_nc_u32_e32 v16, 29, v16
	v_lshlrev_b64 v[19:20], v21, v[19:20]
	v_and_b32_e32 v19, 7, v19
; %bb.2074:                             ;   in Loop: Header=BB397_1567 Depth=1
	s_or_b32 exec_lo, exec_lo, s20
	v_lshlrev_b32_e32 v10, 16, v10
	v_lshlrev_b32_e32 v19, 20, v19
	v_lshl_add_u32 v16, v16, 23, 0x3c000000
	v_and_b32_e32 v10, 0x80000000, v10
	v_or3_b32 v23, v19, v10, v16
.LBB397_2075:                           ;   in Loop: Header=BB397_1567 Depth=1
	s_or_b32 exec_lo, exec_lo, s18
.LBB397_2076:                           ;   in Loop: Header=BB397_1567 Depth=1
	s_or_b32 exec_lo, exec_lo, s15
.LBB397_2077:                           ;   in Loop: Header=BB397_1567 Depth=1
	s_or_b32 exec_lo, exec_lo, s13
	v_and_b32_sdwa v10, v18, v86 dst_sel:DWORD dst_unused:UNUSED_PAD src0_sel:WORD_1 src1_sel:DWORD
	v_mov_b32_e32 v16, 0
	v_mov_b32_e32 v21, 0
	s_mov_b32 s13, exec_lo
	v_cmpx_ne_u16_e32 0, v10
	s_cbranch_execz .LBB397_2085
; %bb.2078:                             ;   in Loop: Header=BB397_1567 Depth=1
	v_bfrev_b32_e32 v21, 1
	s_mov_b32 s15, exec_lo
	v_cmpx_ne_u16_e32 0x80, v10
	s_cbranch_execz .LBB397_2084
; %bb.2079:                             ;   in Loop: Header=BB397_1567 Depth=1
	v_bfe_u32 v19, v18, 16, 7
	v_mov_b32_e32 v21, 0x7f800001
	s_mov_b32 s18, exec_lo
	v_cmpx_ne_u32_e32 0x7f, v19
	s_cbranch_execz .LBB397_2083
; %bb.2080:                             ;   in Loop: Header=BB397_1567 Depth=1
	v_mov_b32_e32 v10, 7
	v_lshrrev_b32_e32 v21, 3, v19
	v_cmp_gt_u32_e64 s4, 8, v19
	v_and_b32_sdwa v10, v18, v10 dst_sel:DWORD dst_unused:UNUSED_PAD src0_sel:WORD_1 src1_sel:DWORD
	v_mov_b32_e32 v20, v11
	v_mov_b32_e32 v19, v10
	s_and_saveexec_b32 s20, s4
; %bb.2081:                             ;   in Loop: Header=BB397_1567 Depth=1
	v_ffbh_u32_e32 v19, v10
	v_min_u32_e32 v21, 32, v19
	v_subrev_nc_u32_e32 v19, 28, v21
	v_sub_nc_u32_e32 v21, 29, v21
	v_lshlrev_b64 v[19:20], v19, v[10:11]
	v_and_b32_e32 v19, 7, v19
; %bb.2082:                             ;   in Loop: Header=BB397_1567 Depth=1
	s_or_b32 exec_lo, exec_lo, s20
	v_mov_b32_e32 v10, 24
	v_lshlrev_b32_e32 v19, 20, v19
	v_lshl_add_u32 v20, v21, 23, 0x3c000000
	v_lshlrev_b32_sdwa v10, v10, v18 dst_sel:DWORD dst_unused:UNUSED_PAD src0_sel:DWORD src1_sel:WORD_1
	v_and_b32_e32 v10, 0x80000000, v10
	v_or3_b32 v21, v19, v10, v20
.LBB397_2083:                           ;   in Loop: Header=BB397_1567 Depth=1
	s_or_b32 exec_lo, exec_lo, s18
.LBB397_2084:                           ;   in Loop: Header=BB397_1567 Depth=1
	s_or_b32 exec_lo, exec_lo, s15
.LBB397_2085:                           ;   in Loop: Header=BB397_1567 Depth=1
	s_or_b32 exec_lo, exec_lo, s13
	s_mov_b32 s13, exec_lo
	v_cmpx_lt_u64_e64 s[8:9], v[17:18]
	s_cbranch_execz .LBB397_2093
; %bb.2086:                             ;   in Loop: Header=BB397_1567 Depth=1
	v_cmp_ne_u32_sdwa s4, v18, v84 src0_sel:BYTE_3 src1_sel:DWORD
	v_bfrev_b32_e32 v16, 1
	s_and_saveexec_b32 s15, s4
	s_cbranch_execz .LBB397_2092
; %bb.2087:                             ;   in Loop: Header=BB397_1567 Depth=1
	v_bfe_u32 v17, v18, 24, 7
	v_mov_b32_e32 v16, 0x7f800001
	s_mov_b32 s18, exec_lo
	v_cmpx_ne_u32_e32 0x7f, v17
	s_cbranch_execz .LBB397_2091
; %bb.2088:                             ;   in Loop: Header=BB397_1567 Depth=1
	v_mov_b32_e32 v10, 7
	v_lshrrev_b32_e32 v16, 3, v17
	s_mov_b32 s20, exec_lo
	v_and_b32_sdwa v10, v18, v10 dst_sel:DWORD dst_unused:UNUSED_PAD src0_sel:BYTE_3 src1_sel:DWORD
	v_mov_b32_e32 v20, v11
	v_mov_b32_e32 v19, v10
	v_cmpx_gt_u32_e32 8, v17
; %bb.2089:                             ;   in Loop: Header=BB397_1567 Depth=1
	v_ffbh_u32_e32 v16, v10
	v_min_u32_e32 v16, 32, v16
	v_subrev_nc_u32_e32 v17, 28, v16
	v_sub_nc_u32_e32 v16, 29, v16
	v_lshlrev_b64 v[19:20], v17, v[10:11]
	v_and_b32_e32 v19, 7, v19
; %bb.2090:                             ;   in Loop: Header=BB397_1567 Depth=1
	s_or_b32 exec_lo, exec_lo, s20
	v_mov_b32_e32 v10, 24
	v_lshlrev_b32_e32 v17, 20, v19
	v_lshl_add_u32 v16, v16, 23, 0x3c000000
	v_lshlrev_b32_sdwa v10, v10, v18 dst_sel:DWORD dst_unused:UNUSED_PAD src0_sel:DWORD src1_sel:BYTE_3
	v_and_b32_e32 v10, 0x80000000, v10
	v_or3_b32 v16, v17, v10, v16
.LBB397_2091:                           ;   in Loop: Header=BB397_1567 Depth=1
	s_or_b32 exec_lo, exec_lo, s18
.LBB397_2092:                           ;   in Loop: Header=BB397_1567 Depth=1
	s_or_b32 exec_lo, exec_lo, s15
.LBB397_2093:                           ;   in Loop: Header=BB397_1567 Depth=1
	s_or_b32 exec_lo, exec_lo, s13
	v_mul_f32_e32 v10, v26, v23
	v_mul_f32_e32 v5, v26, v5
	;; [unrolled: 1-line block ×3, first 2 shown]
	v_bfe_u32 v17, v10, 16, 1
	v_or_b32_e32 v18, 0x400000, v10
	v_cmp_u_f32_e64 s4, v10, v10
	v_add3_u32 v17, v17, v10, 0x7fff
	v_cndmask_b32_e64 v10, v17, v18, s4
	v_lshrrev_b32_e32 v10, 16, v10
	buffer_store_dword v10, off, s[0:3], s32 offset:428 ; 4-byte Folded Spill
	v_mul_f32_e32 v10, v26, v22
	v_bfe_u32 v17, v10, 16, 1
	v_or_b32_e32 v18, 0x400000, v10
	v_cmp_u_f32_e64 s4, v10, v10
	v_add3_u32 v17, v17, v10, 0x7fff
	v_cndmask_b32_e64 v10, v17, v18, s4
	v_lshrrev_b32_e32 v10, 16, v10
	buffer_store_dword v10, off, s[0:3], s32 offset:424 ; 4-byte Folded Spill
	v_mul_f32_e32 v10, v26, v13
	;; [unrolled: 8-line block ×3, first 2 shown]
	v_bfe_u32 v12, v10, 16, 1
	v_or_b32_e32 v13, 0x400000, v10
	v_cmp_u_f32_e64 s4, v10, v10
	v_add3_u32 v12, v12, v10, 0x7fff
	v_cndmask_b32_e64 v10, v12, v13, s4
	v_or_b32_e32 v12, 0x400000, v5
	v_cmp_u_f32_e64 s4, v5, v5
	v_lshrrev_b32_e32 v10, 16, v10
	buffer_store_dword v10, off, s[0:3], s32 offset:440 ; 4-byte Folded Spill
	v_bfe_u32 v10, v5, 16, 1
	v_add3_u32 v10, v10, v5, 0x7fff
	v_cndmask_b32_e64 v5, v10, v12, s4
	v_or_b32_e32 v10, 0x400000, v4
	v_cmp_u_f32_e64 s4, v4, v4
	v_lshrrev_b32_e32 v5, 16, v5
	buffer_store_dword v5, off, s[0:3], s32 offset:452 ; 4-byte Folded Spill
	v_bfe_u32 v5, v4, 16, 1
	v_add3_u32 v5, v5, v4, 0x7fff
	v_cndmask_b32_e64 v4, v5, v10, s4
	v_lshrrev_b32_e32 v4, 16, v4
	buffer_store_dword v4, off, s[0:3], s32 offset:448 ; 4-byte Folded Spill
	v_mul_f32_e32 v4, v26, v21
	v_bfe_u32 v5, v4, 16, 1
	v_or_b32_e32 v10, 0x400000, v4
	v_cmp_u_f32_e64 s4, v4, v4
	v_add3_u32 v5, v5, v4, 0x7fff
	v_cndmask_b32_e64 v4, v5, v10, s4
	v_lshrrev_b32_e32 v4, 16, v4
	buffer_store_dword v4, off, s[0:3], s32 offset:432 ; 4-byte Folded Spill
	v_mul_f32_e32 v4, v26, v16
	v_bfe_u32 v5, v4, 16, 1
	v_or_b32_e32 v10, 0x400000, v4
	v_cmp_u_f32_e64 s4, v4, v4
	v_add3_u32 v5, v5, v4, 0x7fff
	v_cndmask_b32_e64 v4, v5, v10, s4
	v_lshrrev_b32_e32 v4, 16, v4
	buffer_store_dword v4, off, s[0:3], s32 offset:444 ; 4-byte Folded Spill
	s_and_saveexec_b32 s13, vcc_lo
	s_cbranch_execz .LBB397_2095
; %bb.2094:                             ;   in Loop: Header=BB397_1567 Depth=1
	buffer_load_dword v4, off, s[0:3], s32 offset:448 ; 4-byte Folded Reload
	v_cmp_lt_i32_e64 s4, v89, v107
	s_waitcnt vmcnt(0)
	v_cndmask_b32_e64 v4, 0, v4, s4
	v_cmp_lt_i32_e64 s4, v110, v107
	buffer_store_dword v4, off, s[0:3], s32 offset:448 ; 4-byte Folded Spill
	buffer_load_dword v4, off, s[0:3], s32 offset:452 ; 4-byte Folded Reload
	s_waitcnt vmcnt(0)
	v_cndmask_b32_e64 v4, 0, v4, s4
	v_cmp_lt_i32_e64 s4, v106, v107
	buffer_store_dword v4, off, s[0:3], s32 offset:452 ; 4-byte Folded Spill
	buffer_load_dword v4, off, s[0:3], s32 offset:440 ; 4-byte Folded Reload
	;; [unrolled: 5-line block ×7, first 2 shown]
	s_waitcnt vmcnt(0)
	v_cndmask_b32_e64 v4, 0, v4, s4
	buffer_store_dword v4, off, s[0:3], s32 offset:444 ; 4-byte Folded Spill
.LBB397_2095:                           ;   in Loop: Header=BB397_1567 Depth=1
	s_or_b32 exec_lo, exec_lo, s13
	v_add_co_u32 v17, s4, 0x800, v14
	v_add_co_ci_u32_e64 v18, null, 0, v15, s4
	v_mov_b32_e32 v5, 0
	v_mov_b32_e32 v4, 0
	flat_load_dwordx2 v[19:20], v[17:18]
	s_waitcnt vmcnt(0) lgkmcnt(0)
	v_cmp_ne_u16_sdwa s4, v19, v11 src0_sel:BYTE_0 src1_sel:DWORD
	s_and_saveexec_b32 s13, s4
	s_cbranch_execz .LBB397_2103
; %bb.2096:                             ;   in Loop: Header=BB397_1567 Depth=1
	v_cmp_ne_u16_sdwa s4, v19, v84 src0_sel:BYTE_0 src1_sel:DWORD
	v_bfrev_b32_e32 v4, 1
	s_and_saveexec_b32 s15, s4
	s_cbranch_execz .LBB397_2102
; %bb.2097:                             ;   in Loop: Header=BB397_1567 Depth=1
	v_and_b32_e32 v10, 0x7f, v19
	v_mov_b32_e32 v4, 0x7f800001
	s_mov_b32 s18, exec_lo
	v_cmpx_ne_u32_e32 0x7f, v10
	s_cbranch_execz .LBB397_2101
; %bb.2098:                             ;   in Loop: Header=BB397_1567 Depth=1
	v_mov_b32_e32 v24, v20
	v_lshrrev_b32_e32 v4, 3, v10
	v_mov_b32_e32 v23, v19
	s_mov_b32 s20, exec_lo
	v_cmpx_gt_u32_e32 8, v10
; %bb.2099:                             ;   in Loop: Header=BB397_1567 Depth=1
	v_and_b32_e32 v4, 7, v19
	v_ffbh_u32_e32 v4, v4
	v_min_u32_e32 v4, 32, v4
	v_subrev_nc_u32_e32 v10, 28, v4
	v_sub_nc_u32_e32 v4, 29, v4
	v_lshlrev_b64 v[23:24], v10, v[19:20]
; %bb.2100:                             ;   in Loop: Header=BB397_1567 Depth=1
	s_or_b32 exec_lo, exec_lo, s20
	v_lshlrev_b32_e32 v10, 20, v23
	v_lshlrev_b32_e32 v12, 24, v19
	v_lshl_add_u32 v4, v4, 23, 0x3c000000
	v_and_b32_e32 v10, 0x700000, v10
	v_and_b32_e32 v12, 0x80000000, v12
	v_or3_b32 v4, v10, v12, v4
.LBB397_2101:                           ;   in Loop: Header=BB397_1567 Depth=1
	s_or_b32 exec_lo, exec_lo, s18
.LBB397_2102:                           ;   in Loop: Header=BB397_1567 Depth=1
	s_or_b32 exec_lo, exec_lo, s15
.LBB397_2103:                           ;   in Loop: Header=BB397_1567 Depth=1
	s_or_b32 exec_lo, exec_lo, s13
	v_cmp_ne_u16_sdwa s4, v19, v11 src0_sel:BYTE_1 src1_sel:DWORD
	s_and_saveexec_b32 s13, s4
	s_cbranch_execz .LBB397_2111
; %bb.2104:                             ;   in Loop: Header=BB397_1567 Depth=1
	v_cmp_ne_u16_sdwa s4, v19, v84 src0_sel:BYTE_1 src1_sel:DWORD
	v_bfrev_b32_e32 v5, 1
	s_and_saveexec_b32 s15, s4
	s_cbranch_execz .LBB397_2110
; %bb.2105:                             ;   in Loop: Header=BB397_1567 Depth=1
	v_mov_b32_e32 v5, 0xffff
	s_mov_b32 s18, exec_lo
	v_and_b32_sdwa v10, v5, v19 dst_sel:DWORD dst_unused:UNUSED_PAD src0_sel:DWORD src1_sel:BYTE_1
	v_mov_b32_e32 v5, 0x7f800001
	v_and_b32_e32 v12, 0x7f, v10
	v_cmpx_ne_u32_e32 0x7f, v12
	s_cbranch_execz .LBB397_2109
; %bb.2106:                             ;   in Loop: Header=BB397_1567 Depth=1
	v_and_b32_e32 v10, 7, v10
	v_mov_b32_e32 v24, v11
	v_lshrrev_b32_e32 v5, 3, v12
	s_mov_b32 s20, exec_lo
	v_mov_b32_e32 v23, v10
	v_cmpx_gt_u32_e32 8, v12
; %bb.2107:                             ;   in Loop: Header=BB397_1567 Depth=1
	v_ffbh_u32_e32 v5, v10
	v_min_u32_e32 v5, 32, v5
	v_subrev_nc_u32_e32 v12, 28, v5
	v_sub_nc_u32_e32 v5, 29, v5
	v_lshlrev_b64 v[12:13], v12, v[10:11]
	v_and_b32_e32 v23, 7, v12
; %bb.2108:                             ;   in Loop: Header=BB397_1567 Depth=1
	s_or_b32 exec_lo, exec_lo, s20
	v_lshlrev_b32_e32 v10, 16, v19
	v_lshlrev_b32_e32 v12, 20, v23
	v_lshl_add_u32 v5, v5, 23, 0x3c000000
	v_and_b32_e32 v10, 0x80000000, v10
	v_or3_b32 v5, v12, v10, v5
.LBB397_2109:                           ;   in Loop: Header=BB397_1567 Depth=1
	s_or_b32 exec_lo, exec_lo, s18
.LBB397_2110:                           ;   in Loop: Header=BB397_1567 Depth=1
	s_or_b32 exec_lo, exec_lo, s15
.LBB397_2111:                           ;   in Loop: Header=BB397_1567 Depth=1
	s_or_b32 exec_lo, exec_lo, s13
	v_and_b32_sdwa v10, v19, v86 dst_sel:DWORD dst_unused:UNUSED_PAD src0_sel:WORD_1 src1_sel:DWORD
	v_mov_b32_e32 v13, 0
	v_mov_b32_e32 v12, 0
	s_mov_b32 s13, exec_lo
	v_cmpx_ne_u16_e32 0, v10
	s_cbranch_execz .LBB397_2119
; %bb.2112:                             ;   in Loop: Header=BB397_1567 Depth=1
	v_bfrev_b32_e32 v12, 1
	s_mov_b32 s15, exec_lo
	v_cmpx_ne_u16_e32 0x80, v10
	s_cbranch_execz .LBB397_2118
; %bb.2113:                             ;   in Loop: Header=BB397_1567 Depth=1
	v_bfe_u32 v16, v19, 16, 7
	v_mov_b32_e32 v12, 0x7f800001
	s_mov_b32 s18, exec_lo
	v_cmpx_ne_u32_e32 0x7f, v16
	s_cbranch_execz .LBB397_2117
; %bb.2114:                             ;   in Loop: Header=BB397_1567 Depth=1
	v_mov_b32_e32 v10, 7
	v_lshrrev_b32_e32 v12, 3, v16
	s_mov_b32 s20, exec_lo
	v_and_b32_sdwa v10, v19, v10 dst_sel:DWORD dst_unused:UNUSED_PAD src0_sel:WORD_1 src1_sel:DWORD
	v_mov_b32_e32 v24, v11
	v_mov_b32_e32 v23, v10
	v_cmpx_gt_u32_e32 8, v16
; %bb.2115:                             ;   in Loop: Header=BB397_1567 Depth=1
	v_ffbh_u32_e32 v12, v10
	v_min_u32_e32 v12, 32, v12
	v_subrev_nc_u32_e32 v16, 28, v12
	v_sub_nc_u32_e32 v12, 29, v12
	v_lshlrev_b64 v[21:22], v16, v[10:11]
	v_and_b32_e32 v23, 7, v21
; %bb.2116:                             ;   in Loop: Header=BB397_1567 Depth=1
	s_or_b32 exec_lo, exec_lo, s20
	v_mov_b32_e32 v10, 24
	v_lshlrev_b32_e32 v16, 20, v23
	v_lshl_add_u32 v12, v12, 23, 0x3c000000
	v_lshlrev_b32_sdwa v10, v10, v19 dst_sel:DWORD dst_unused:UNUSED_PAD src0_sel:DWORD src1_sel:WORD_1
	v_and_b32_e32 v10, 0x80000000, v10
	v_or3_b32 v12, v16, v10, v12
.LBB397_2117:                           ;   in Loop: Header=BB397_1567 Depth=1
	s_or_b32 exec_lo, exec_lo, s18
.LBB397_2118:                           ;   in Loop: Header=BB397_1567 Depth=1
	s_or_b32 exec_lo, exec_lo, s15
.LBB397_2119:                           ;   in Loop: Header=BB397_1567 Depth=1
	s_or_b32 exec_lo, exec_lo, s13
	s_mov_b32 s13, exec_lo
	v_cmpx_lt_u32_e32 0xffffff, v19
	s_cbranch_execz .LBB397_2127
; %bb.2120:                             ;   in Loop: Header=BB397_1567 Depth=1
	v_cmp_ne_u32_sdwa s4, v19, v84 src0_sel:BYTE_3 src1_sel:DWORD
	v_bfrev_b32_e32 v13, 1
	s_and_saveexec_b32 s15, s4
	s_cbranch_execz .LBB397_2126
; %bb.2121:                             ;   in Loop: Header=BB397_1567 Depth=1
	v_bfe_u32 v16, v19, 24, 7
	v_mov_b32_e32 v13, 0x7f800001
	s_mov_b32 s18, exec_lo
	v_cmpx_ne_u32_e32 0x7f, v16
	s_cbranch_execz .LBB397_2125
; %bb.2122:                             ;   in Loop: Header=BB397_1567 Depth=1
	v_mov_b32_e32 v10, 7
	v_lshrrev_b32_e32 v13, 3, v16
	s_mov_b32 s20, exec_lo
	v_and_b32_sdwa v10, v19, v10 dst_sel:DWORD dst_unused:UNUSED_PAD src0_sel:BYTE_3 src1_sel:DWORD
	v_mov_b32_e32 v24, v11
	v_mov_b32_e32 v23, v10
	v_cmpx_gt_u32_e32 8, v16
; %bb.2123:                             ;   in Loop: Header=BB397_1567 Depth=1
	v_ffbh_u32_e32 v13, v10
	v_min_u32_e32 v13, 32, v13
	v_subrev_nc_u32_e32 v16, 28, v13
	v_sub_nc_u32_e32 v13, 29, v13
	v_lshlrev_b64 v[21:22], v16, v[10:11]
	v_and_b32_e32 v23, 7, v21
; %bb.2124:                             ;   in Loop: Header=BB397_1567 Depth=1
	s_or_b32 exec_lo, exec_lo, s20
	v_mov_b32_e32 v10, 24
	v_lshlrev_b32_e32 v16, 20, v23
	v_lshl_add_u32 v13, v13, 23, 0x3c000000
	v_lshlrev_b32_sdwa v10, v10, v19 dst_sel:DWORD dst_unused:UNUSED_PAD src0_sel:DWORD src1_sel:BYTE_3
	v_and_b32_e32 v10, 0x80000000, v10
	v_or3_b32 v13, v16, v10, v13
.LBB397_2125:                           ;   in Loop: Header=BB397_1567 Depth=1
	s_or_b32 exec_lo, exec_lo, s18
.LBB397_2126:                           ;   in Loop: Header=BB397_1567 Depth=1
	s_or_b32 exec_lo, exec_lo, s15
.LBB397_2127:                           ;   in Loop: Header=BB397_1567 Depth=1
	s_or_b32 exec_lo, exec_lo, s13
	v_mov_b32_e32 v10, v20
	v_cmp_ne_u16_sdwa s4, v20, v11 src0_sel:BYTE_0 src1_sel:DWORD
	v_mov_b32_e32 v25, 0
	v_mov_b32_e32 v22, 0
	s_and_saveexec_b32 s13, s4
	s_cbranch_execz .LBB397_2135
; %bb.2128:                             ;   in Loop: Header=BB397_1567 Depth=1
	v_cmp_ne_u16_sdwa s4, v20, v84 src0_sel:BYTE_0 src1_sel:DWORD
	v_bfrev_b32_e32 v22, 1
	s_and_saveexec_b32 s15, s4
	s_cbranch_execz .LBB397_2134
; %bb.2129:                             ;   in Loop: Header=BB397_1567 Depth=1
	v_and_b32_e32 v21, 0x7f, v20
	v_mov_b32_e32 v22, 0x7f800001
	s_mov_b32 s18, exec_lo
	v_cmpx_ne_u32_e32 0x7f, v21
	s_cbranch_execz .LBB397_2133
; %bb.2130:                             ;   in Loop: Header=BB397_1567 Depth=1
	v_mov_b32_e32 v24, v11
	v_lshrrev_b32_e32 v16, 3, v21
	v_mov_b32_e32 v23, v10
	s_mov_b32 s20, exec_lo
	v_cmpx_gt_u32_e32 8, v21
; %bb.2131:                             ;   in Loop: Header=BB397_1567 Depth=1
	v_and_b32_e32 v16, 7, v20
	v_ffbh_u32_e32 v16, v16
	v_min_u32_e32 v16, 32, v16
	v_subrev_nc_u32_e32 v21, 28, v16
	v_sub_nc_u32_e32 v16, 29, v16
	v_lshlrev_b64 v[23:24], v21, v[10:11]
; %bb.2132:                             ;   in Loop: Header=BB397_1567 Depth=1
	s_or_b32 exec_lo, exec_lo, s20
	v_lshlrev_b32_e32 v21, 20, v23
	v_lshlrev_b32_e32 v22, 24, v10
	v_lshl_add_u32 v16, v16, 23, 0x3c000000
	v_and_b32_e32 v21, 0x700000, v21
	v_and_b32_e32 v22, 0x80000000, v22
	v_or3_b32 v22, v21, v22, v16
.LBB397_2133:                           ;   in Loop: Header=BB397_1567 Depth=1
	s_or_b32 exec_lo, exec_lo, s18
.LBB397_2134:                           ;   in Loop: Header=BB397_1567 Depth=1
	s_or_b32 exec_lo, exec_lo, s15
.LBB397_2135:                           ;   in Loop: Header=BB397_1567 Depth=1
	s_or_b32 exec_lo, exec_lo, s13
	v_cmp_ne_u16_sdwa s4, v10, v11 src0_sel:BYTE_1 src1_sel:DWORD
	s_and_saveexec_b32 s13, s4
	s_cbranch_execz .LBB397_2143
; %bb.2136:                             ;   in Loop: Header=BB397_1567 Depth=1
	v_cmp_ne_u16_sdwa s4, v10, v84 src0_sel:BYTE_1 src1_sel:DWORD
	v_bfrev_b32_e32 v25, 1
	s_and_saveexec_b32 s15, s4
	s_cbranch_execz .LBB397_2142
; %bb.2137:                             ;   in Loop: Header=BB397_1567 Depth=1
	v_mov_b32_e32 v16, 0xffff
	v_mov_b32_e32 v25, 0x7f800001
	s_mov_b32 s18, exec_lo
	v_and_b32_sdwa v16, v16, v10 dst_sel:DWORD dst_unused:UNUSED_PAD src0_sel:DWORD src1_sel:BYTE_1
	v_and_b32_e32 v21, 0x7f, v16
	v_cmpx_ne_u32_e32 0x7f, v21
	s_cbranch_execz .LBB397_2141
; %bb.2138:                             ;   in Loop: Header=BB397_1567 Depth=1
	v_and_b32_e32 v23, 7, v16
	v_mov_b32_e32 v24, v11
	v_lshrrev_b32_e32 v16, 3, v21
	s_mov_b32 s20, exec_lo
	v_cmpx_gt_u32_e32 8, v21
; %bb.2139:                             ;   in Loop: Header=BB397_1567 Depth=1
	v_ffbh_u32_e32 v16, v23
	v_min_u32_e32 v16, 32, v16
	v_subrev_nc_u32_e32 v21, 28, v16
	v_sub_nc_u32_e32 v16, 29, v16
	v_lshlrev_b64 v[23:24], v21, v[23:24]
	v_and_b32_e32 v23, 7, v23
; %bb.2140:                             ;   in Loop: Header=BB397_1567 Depth=1
	s_or_b32 exec_lo, exec_lo, s20
	v_lshlrev_b32_e32 v10, 16, v10
	v_lshlrev_b32_e32 v21, 20, v23
	v_lshl_add_u32 v16, v16, 23, 0x3c000000
	v_and_b32_e32 v10, 0x80000000, v10
	v_or3_b32 v25, v21, v10, v16
.LBB397_2141:                           ;   in Loop: Header=BB397_1567 Depth=1
	s_or_b32 exec_lo, exec_lo, s18
.LBB397_2142:                           ;   in Loop: Header=BB397_1567 Depth=1
	s_or_b32 exec_lo, exec_lo, s15
.LBB397_2143:                           ;   in Loop: Header=BB397_1567 Depth=1
	s_or_b32 exec_lo, exec_lo, s13
	v_and_b32_sdwa v10, v20, v86 dst_sel:DWORD dst_unused:UNUSED_PAD src0_sel:WORD_1 src1_sel:DWORD
	v_mov_b32_e32 v16, 0
	v_mov_b32_e32 v21, 0
	s_mov_b32 s13, exec_lo
	v_cmpx_ne_u16_e32 0, v10
	s_cbranch_execz .LBB397_2151
; %bb.2144:                             ;   in Loop: Header=BB397_1567 Depth=1
	v_bfrev_b32_e32 v21, 1
	s_mov_b32 s15, exec_lo
	v_cmpx_ne_u16_e32 0x80, v10
	s_cbranch_execz .LBB397_2150
; %bb.2145:                             ;   in Loop: Header=BB397_1567 Depth=1
	v_bfe_u32 v23, v20, 16, 7
	v_mov_b32_e32 v21, 0x7f800001
	s_mov_b32 s18, exec_lo
	v_cmpx_ne_u32_e32 0x7f, v23
	s_cbranch_execz .LBB397_2149
; %bb.2146:                             ;   in Loop: Header=BB397_1567 Depth=1
	v_mov_b32_e32 v10, 7
	v_lshrrev_b32_e32 v21, 3, v23
	v_cmp_gt_u32_e64 s4, 8, v23
	v_and_b32_sdwa v10, v20, v10 dst_sel:DWORD dst_unused:UNUSED_PAD src0_sel:WORD_1 src1_sel:DWORD
	v_mov_b32_e32 v24, v11
	v_mov_b32_e32 v23, v10
	s_and_saveexec_b32 s20, s4
; %bb.2147:                             ;   in Loop: Header=BB397_1567 Depth=1
	v_ffbh_u32_e32 v21, v10
	v_min_u32_e32 v21, 32, v21
	v_subrev_nc_u32_e32 v23, 28, v21
	v_sub_nc_u32_e32 v21, 29, v21
	v_lshlrev_b64 v[23:24], v23, v[10:11]
	v_and_b32_e32 v23, 7, v23
; %bb.2148:                             ;   in Loop: Header=BB397_1567 Depth=1
	s_or_b32 exec_lo, exec_lo, s20
	v_mov_b32_e32 v10, 24
	v_lshlrev_b32_e32 v23, 20, v23
	v_lshl_add_u32 v21, v21, 23, 0x3c000000
	v_lshlrev_b32_sdwa v10, v10, v20 dst_sel:DWORD dst_unused:UNUSED_PAD src0_sel:DWORD src1_sel:WORD_1
	v_and_b32_e32 v10, 0x80000000, v10
	v_or3_b32 v21, v23, v10, v21
.LBB397_2149:                           ;   in Loop: Header=BB397_1567 Depth=1
	s_or_b32 exec_lo, exec_lo, s18
.LBB397_2150:                           ;   in Loop: Header=BB397_1567 Depth=1
	s_or_b32 exec_lo, exec_lo, s15
.LBB397_2151:                           ;   in Loop: Header=BB397_1567 Depth=1
	s_or_b32 exec_lo, exec_lo, s13
	s_mov_b32 s13, exec_lo
	v_cmpx_lt_u64_e64 s[8:9], v[19:20]
	s_cbranch_execz .LBB397_2159
; %bb.2152:                             ;   in Loop: Header=BB397_1567 Depth=1
	v_cmp_ne_u32_sdwa s4, v20, v84 src0_sel:BYTE_3 src1_sel:DWORD
	v_bfrev_b32_e32 v16, 1
	s_and_saveexec_b32 s15, s4
	s_cbranch_execz .LBB397_2158
; %bb.2153:                             ;   in Loop: Header=BB397_1567 Depth=1
	v_bfe_u32 v19, v20, 24, 7
	v_mov_b32_e32 v16, 0x7f800001
	s_mov_b32 s18, exec_lo
	v_cmpx_ne_u32_e32 0x7f, v19
	s_cbranch_execz .LBB397_2157
; %bb.2154:                             ;   in Loop: Header=BB397_1567 Depth=1
	v_mov_b32_e32 v10, 7
	v_lshrrev_b32_e32 v16, 3, v19
	s_mov_b32 s20, exec_lo
	v_and_b32_sdwa v10, v20, v10 dst_sel:DWORD dst_unused:UNUSED_PAD src0_sel:BYTE_3 src1_sel:DWORD
	v_mov_b32_e32 v24, v11
	v_mov_b32_e32 v23, v10
	v_cmpx_gt_u32_e32 8, v19
; %bb.2155:                             ;   in Loop: Header=BB397_1567 Depth=1
	v_ffbh_u32_e32 v16, v10
	v_min_u32_e32 v16, 32, v16
	v_subrev_nc_u32_e32 v19, 28, v16
	v_sub_nc_u32_e32 v16, 29, v16
	v_lshlrev_b64 v[23:24], v19, v[10:11]
	v_and_b32_e32 v23, 7, v23
; %bb.2156:                             ;   in Loop: Header=BB397_1567 Depth=1
	s_or_b32 exec_lo, exec_lo, s20
	v_mov_b32_e32 v10, 24
	v_lshlrev_b32_e32 v19, 20, v23
	v_lshl_add_u32 v16, v16, 23, 0x3c000000
	v_lshlrev_b32_sdwa v10, v10, v20 dst_sel:DWORD dst_unused:UNUSED_PAD src0_sel:DWORD src1_sel:BYTE_3
	v_and_b32_e32 v10, 0x80000000, v10
	v_or3_b32 v16, v19, v10, v16
.LBB397_2157:                           ;   in Loop: Header=BB397_1567 Depth=1
	s_or_b32 exec_lo, exec_lo, s18
.LBB397_2158:                           ;   in Loop: Header=BB397_1567 Depth=1
	s_or_b32 exec_lo, exec_lo, s15
.LBB397_2159:                           ;   in Loop: Header=BB397_1567 Depth=1
	s_or_b32 exec_lo, exec_lo, s13
	v_mul_f32_e32 v10, v26, v25
	v_mul_f32_e32 v5, v26, v5
	;; [unrolled: 1-line block ×3, first 2 shown]
	v_bfe_u32 v19, v10, 16, 1
	v_or_b32_e32 v20, 0x400000, v10
	v_cmp_u_f32_e64 s4, v10, v10
	v_add3_u32 v19, v19, v10, 0x7fff
	v_cndmask_b32_e64 v10, v19, v20, s4
	v_lshrrev_b32_e32 v10, 16, v10
	buffer_store_dword v10, off, s[0:3], s32 offset:460 ; 4-byte Folded Spill
	v_mul_f32_e32 v10, v26, v22
	v_bfe_u32 v19, v10, 16, 1
	v_or_b32_e32 v20, 0x400000, v10
	v_cmp_u_f32_e64 s4, v10, v10
	v_add3_u32 v19, v19, v10, 0x7fff
	v_cndmask_b32_e64 v10, v19, v20, s4
	v_lshrrev_b32_e32 v10, 16, v10
	buffer_store_dword v10, off, s[0:3], s32 offset:456 ; 4-byte Folded Spill
	v_mul_f32_e32 v10, v26, v13
	;; [unrolled: 8-line block ×3, first 2 shown]
	v_bfe_u32 v12, v10, 16, 1
	v_or_b32_e32 v13, 0x400000, v10
	v_cmp_u_f32_e64 s4, v10, v10
	v_add3_u32 v12, v12, v10, 0x7fff
	v_cndmask_b32_e64 v10, v12, v13, s4
	v_or_b32_e32 v12, 0x400000, v5
	v_cmp_u_f32_e64 s4, v5, v5
	v_lshrrev_b32_e32 v10, 16, v10
	buffer_store_dword v10, off, s[0:3], s32 offset:468 ; 4-byte Folded Spill
	v_bfe_u32 v10, v5, 16, 1
	v_add3_u32 v10, v10, v5, 0x7fff
	v_cndmask_b32_e64 v5, v10, v12, s4
	v_or_b32_e32 v10, 0x400000, v4
	v_cmp_u_f32_e64 s4, v4, v4
	v_lshrrev_b32_e32 v5, 16, v5
	buffer_store_dword v5, off, s[0:3], s32 offset:480 ; 4-byte Folded Spill
	v_bfe_u32 v5, v4, 16, 1
	v_add3_u32 v5, v5, v4, 0x7fff
	v_cndmask_b32_e64 v4, v5, v10, s4
	v_lshrrev_b32_e32 v4, 16, v4
	buffer_store_dword v4, off, s[0:3], s32 offset:484 ; 4-byte Folded Spill
	v_mul_f32_e32 v4, v26, v21
	v_bfe_u32 v5, v4, 16, 1
	v_or_b32_e32 v10, 0x400000, v4
	v_cmp_u_f32_e64 s4, v4, v4
	v_add3_u32 v5, v5, v4, 0x7fff
	v_cndmask_b32_e64 v4, v5, v10, s4
	v_lshrrev_b32_e32 v4, 16, v4
	buffer_store_dword v4, off, s[0:3], s32 offset:464 ; 4-byte Folded Spill
	v_mul_f32_e32 v4, v26, v16
	v_bfe_u32 v5, v4, 16, 1
	v_or_b32_e32 v10, 0x400000, v4
	v_cmp_u_f32_e64 s4, v4, v4
	v_add3_u32 v5, v5, v4, 0x7fff
	v_cndmask_b32_e64 v4, v5, v10, s4
	v_lshrrev_b32_e32 v4, 16, v4
	buffer_store_dword v4, off, s[0:3], s32 offset:476 ; 4-byte Folded Spill
	s_and_saveexec_b32 s13, vcc_lo
	s_cbranch_execz .LBB397_2161
; %bb.2160:                             ;   in Loop: Header=BB397_1567 Depth=1
	buffer_load_dword v4, off, s[0:3], s32 offset:484 ; 4-byte Folded Reload
	v_cmp_lt_i32_e64 s4, v89, v107
	s_waitcnt vmcnt(0)
	v_cndmask_b32_e64 v4, 0, v4, s4
	v_cmp_lt_i32_e64 s4, v110, v107
	buffer_store_dword v4, off, s[0:3], s32 offset:484 ; 4-byte Folded Spill
	buffer_load_dword v4, off, s[0:3], s32 offset:480 ; 4-byte Folded Reload
	s_waitcnt vmcnt(0)
	v_cndmask_b32_e64 v4, 0, v4, s4
	v_cmp_lt_i32_e64 s4, v106, v107
	buffer_store_dword v4, off, s[0:3], s32 offset:480 ; 4-byte Folded Spill
	buffer_load_dword v4, off, s[0:3], s32 offset:468 ; 4-byte Folded Reload
	;; [unrolled: 5-line block ×7, first 2 shown]
	s_waitcnt vmcnt(0)
	v_cndmask_b32_e64 v4, 0, v4, s4
	buffer_store_dword v4, off, s[0:3], s32 offset:476 ; 4-byte Folded Spill
.LBB397_2161:                           ;   in Loop: Header=BB397_1567 Depth=1
	s_or_b32 exec_lo, exec_lo, s13
	flat_load_dwordx2 v[19:20], v[17:18] offset:256
	v_mov_b32_e32 v5, 0
	v_mov_b32_e32 v4, 0
	s_waitcnt vmcnt(0) lgkmcnt(0)
	v_cmp_ne_u16_sdwa s4, v19, v11 src0_sel:BYTE_0 src1_sel:DWORD
	s_and_saveexec_b32 s13, s4
	s_cbranch_execz .LBB397_2169
; %bb.2162:                             ;   in Loop: Header=BB397_1567 Depth=1
	v_cmp_ne_u16_sdwa s4, v19, v84 src0_sel:BYTE_0 src1_sel:DWORD
	v_bfrev_b32_e32 v4, 1
	s_and_saveexec_b32 s15, s4
	s_cbranch_execz .LBB397_2168
; %bb.2163:                             ;   in Loop: Header=BB397_1567 Depth=1
	v_and_b32_e32 v10, 0x7f, v19
	v_mov_b32_e32 v4, 0x7f800001
	s_mov_b32 s18, exec_lo
	v_cmpx_ne_u32_e32 0x7f, v10
	s_cbranch_execz .LBB397_2167
; %bb.2164:                             ;   in Loop: Header=BB397_1567 Depth=1
	v_mov_b32_e32 v24, v20
	v_lshrrev_b32_e32 v4, 3, v10
	v_mov_b32_e32 v23, v19
	s_mov_b32 s20, exec_lo
	v_cmpx_gt_u32_e32 8, v10
; %bb.2165:                             ;   in Loop: Header=BB397_1567 Depth=1
	v_and_b32_e32 v4, 7, v19
	v_ffbh_u32_e32 v4, v4
	v_min_u32_e32 v4, 32, v4
	v_subrev_nc_u32_e32 v10, 28, v4
	v_sub_nc_u32_e32 v4, 29, v4
	v_lshlrev_b64 v[23:24], v10, v[19:20]
; %bb.2166:                             ;   in Loop: Header=BB397_1567 Depth=1
	s_or_b32 exec_lo, exec_lo, s20
	v_lshlrev_b32_e32 v10, 20, v23
	v_lshlrev_b32_e32 v12, 24, v19
	v_lshl_add_u32 v4, v4, 23, 0x3c000000
	v_and_b32_e32 v10, 0x700000, v10
	v_and_b32_e32 v12, 0x80000000, v12
	v_or3_b32 v4, v10, v12, v4
.LBB397_2167:                           ;   in Loop: Header=BB397_1567 Depth=1
	s_or_b32 exec_lo, exec_lo, s18
.LBB397_2168:                           ;   in Loop: Header=BB397_1567 Depth=1
	s_or_b32 exec_lo, exec_lo, s15
.LBB397_2169:                           ;   in Loop: Header=BB397_1567 Depth=1
	s_or_b32 exec_lo, exec_lo, s13
	v_cmp_ne_u16_sdwa s4, v19, v11 src0_sel:BYTE_1 src1_sel:DWORD
	s_and_saveexec_b32 s13, s4
	s_cbranch_execz .LBB397_2177
; %bb.2170:                             ;   in Loop: Header=BB397_1567 Depth=1
	v_cmp_ne_u16_sdwa s4, v19, v84 src0_sel:BYTE_1 src1_sel:DWORD
	v_bfrev_b32_e32 v5, 1
	s_and_saveexec_b32 s15, s4
	s_cbranch_execz .LBB397_2176
; %bb.2171:                             ;   in Loop: Header=BB397_1567 Depth=1
	v_mov_b32_e32 v5, 0xffff
	s_mov_b32 s18, exec_lo
	v_and_b32_sdwa v10, v5, v19 dst_sel:DWORD dst_unused:UNUSED_PAD src0_sel:DWORD src1_sel:BYTE_1
	v_mov_b32_e32 v5, 0x7f800001
	v_and_b32_e32 v12, 0x7f, v10
	v_cmpx_ne_u32_e32 0x7f, v12
	s_cbranch_execz .LBB397_2175
; %bb.2172:                             ;   in Loop: Header=BB397_1567 Depth=1
	v_and_b32_e32 v10, 7, v10
	v_mov_b32_e32 v24, v11
	v_lshrrev_b32_e32 v5, 3, v12
	s_mov_b32 s20, exec_lo
	v_mov_b32_e32 v23, v10
	v_cmpx_gt_u32_e32 8, v12
; %bb.2173:                             ;   in Loop: Header=BB397_1567 Depth=1
	v_ffbh_u32_e32 v5, v10
	v_min_u32_e32 v5, 32, v5
	v_subrev_nc_u32_e32 v12, 28, v5
	v_sub_nc_u32_e32 v5, 29, v5
	v_lshlrev_b64 v[12:13], v12, v[10:11]
	v_and_b32_e32 v23, 7, v12
; %bb.2174:                             ;   in Loop: Header=BB397_1567 Depth=1
	s_or_b32 exec_lo, exec_lo, s20
	v_lshlrev_b32_e32 v10, 16, v19
	v_lshlrev_b32_e32 v12, 20, v23
	v_lshl_add_u32 v5, v5, 23, 0x3c000000
	v_and_b32_e32 v10, 0x80000000, v10
	v_or3_b32 v5, v12, v10, v5
.LBB397_2175:                           ;   in Loop: Header=BB397_1567 Depth=1
	s_or_b32 exec_lo, exec_lo, s18
.LBB397_2176:                           ;   in Loop: Header=BB397_1567 Depth=1
	s_or_b32 exec_lo, exec_lo, s15
.LBB397_2177:                           ;   in Loop: Header=BB397_1567 Depth=1
	s_or_b32 exec_lo, exec_lo, s13
	v_and_b32_sdwa v10, v19, v86 dst_sel:DWORD dst_unused:UNUSED_PAD src0_sel:WORD_1 src1_sel:DWORD
	v_mov_b32_e32 v13, 0
	v_mov_b32_e32 v12, 0
	s_mov_b32 s13, exec_lo
	v_cmpx_ne_u16_e32 0, v10
	s_cbranch_execz .LBB397_2185
; %bb.2178:                             ;   in Loop: Header=BB397_1567 Depth=1
	v_bfrev_b32_e32 v12, 1
	s_mov_b32 s15, exec_lo
	v_cmpx_ne_u16_e32 0x80, v10
	s_cbranch_execz .LBB397_2184
; %bb.2179:                             ;   in Loop: Header=BB397_1567 Depth=1
	v_bfe_u32 v16, v19, 16, 7
	v_mov_b32_e32 v12, 0x7f800001
	s_mov_b32 s18, exec_lo
	v_cmpx_ne_u32_e32 0x7f, v16
	s_cbranch_execz .LBB397_2183
; %bb.2180:                             ;   in Loop: Header=BB397_1567 Depth=1
	v_mov_b32_e32 v10, 7
	v_lshrrev_b32_e32 v12, 3, v16
	s_mov_b32 s20, exec_lo
	v_and_b32_sdwa v10, v19, v10 dst_sel:DWORD dst_unused:UNUSED_PAD src0_sel:WORD_1 src1_sel:DWORD
	v_mov_b32_e32 v24, v11
	v_mov_b32_e32 v23, v10
	v_cmpx_gt_u32_e32 8, v16
; %bb.2181:                             ;   in Loop: Header=BB397_1567 Depth=1
	v_ffbh_u32_e32 v12, v10
	v_min_u32_e32 v12, 32, v12
	v_subrev_nc_u32_e32 v16, 28, v12
	v_sub_nc_u32_e32 v12, 29, v12
	v_lshlrev_b64 v[21:22], v16, v[10:11]
	v_and_b32_e32 v23, 7, v21
; %bb.2182:                             ;   in Loop: Header=BB397_1567 Depth=1
	s_or_b32 exec_lo, exec_lo, s20
	v_mov_b32_e32 v10, 24
	v_lshlrev_b32_e32 v16, 20, v23
	v_lshl_add_u32 v12, v12, 23, 0x3c000000
	v_lshlrev_b32_sdwa v10, v10, v19 dst_sel:DWORD dst_unused:UNUSED_PAD src0_sel:DWORD src1_sel:WORD_1
	v_and_b32_e32 v10, 0x80000000, v10
	v_or3_b32 v12, v16, v10, v12
.LBB397_2183:                           ;   in Loop: Header=BB397_1567 Depth=1
	s_or_b32 exec_lo, exec_lo, s18
.LBB397_2184:                           ;   in Loop: Header=BB397_1567 Depth=1
	s_or_b32 exec_lo, exec_lo, s15
.LBB397_2185:                           ;   in Loop: Header=BB397_1567 Depth=1
	s_or_b32 exec_lo, exec_lo, s13
	s_mov_b32 s13, exec_lo
	v_cmpx_lt_u32_e32 0xffffff, v19
	s_cbranch_execz .LBB397_2193
; %bb.2186:                             ;   in Loop: Header=BB397_1567 Depth=1
	v_cmp_ne_u32_sdwa s4, v19, v84 src0_sel:BYTE_3 src1_sel:DWORD
	v_bfrev_b32_e32 v13, 1
	s_and_saveexec_b32 s15, s4
	s_cbranch_execz .LBB397_2192
; %bb.2187:                             ;   in Loop: Header=BB397_1567 Depth=1
	v_bfe_u32 v16, v19, 24, 7
	v_mov_b32_e32 v13, 0x7f800001
	s_mov_b32 s18, exec_lo
	v_cmpx_ne_u32_e32 0x7f, v16
	s_cbranch_execz .LBB397_2191
; %bb.2188:                             ;   in Loop: Header=BB397_1567 Depth=1
	v_mov_b32_e32 v10, 7
	v_lshrrev_b32_e32 v13, 3, v16
	s_mov_b32 s20, exec_lo
	v_and_b32_sdwa v10, v19, v10 dst_sel:DWORD dst_unused:UNUSED_PAD src0_sel:BYTE_3 src1_sel:DWORD
	v_mov_b32_e32 v24, v11
	v_mov_b32_e32 v23, v10
	v_cmpx_gt_u32_e32 8, v16
; %bb.2189:                             ;   in Loop: Header=BB397_1567 Depth=1
	v_ffbh_u32_e32 v13, v10
	v_min_u32_e32 v13, 32, v13
	v_subrev_nc_u32_e32 v16, 28, v13
	v_sub_nc_u32_e32 v13, 29, v13
	v_lshlrev_b64 v[21:22], v16, v[10:11]
	v_and_b32_e32 v23, 7, v21
; %bb.2190:                             ;   in Loop: Header=BB397_1567 Depth=1
	s_or_b32 exec_lo, exec_lo, s20
	v_mov_b32_e32 v10, 24
	v_lshlrev_b32_e32 v16, 20, v23
	v_lshl_add_u32 v13, v13, 23, 0x3c000000
	v_lshlrev_b32_sdwa v10, v10, v19 dst_sel:DWORD dst_unused:UNUSED_PAD src0_sel:DWORD src1_sel:BYTE_3
	v_and_b32_e32 v10, 0x80000000, v10
	v_or3_b32 v13, v16, v10, v13
.LBB397_2191:                           ;   in Loop: Header=BB397_1567 Depth=1
	s_or_b32 exec_lo, exec_lo, s18
.LBB397_2192:                           ;   in Loop: Header=BB397_1567 Depth=1
	s_or_b32 exec_lo, exec_lo, s15
.LBB397_2193:                           ;   in Loop: Header=BB397_1567 Depth=1
	s_or_b32 exec_lo, exec_lo, s13
	v_mov_b32_e32 v10, v20
	v_cmp_ne_u16_sdwa s4, v20, v11 src0_sel:BYTE_0 src1_sel:DWORD
	v_mov_b32_e32 v25, 0
	v_mov_b32_e32 v22, 0
	s_and_saveexec_b32 s13, s4
	s_cbranch_execz .LBB397_2201
; %bb.2194:                             ;   in Loop: Header=BB397_1567 Depth=1
	v_cmp_ne_u16_sdwa s4, v20, v84 src0_sel:BYTE_0 src1_sel:DWORD
	v_bfrev_b32_e32 v22, 1
	s_and_saveexec_b32 s15, s4
	s_cbranch_execz .LBB397_2200
; %bb.2195:                             ;   in Loop: Header=BB397_1567 Depth=1
	v_and_b32_e32 v21, 0x7f, v20
	v_mov_b32_e32 v22, 0x7f800001
	s_mov_b32 s18, exec_lo
	v_cmpx_ne_u32_e32 0x7f, v21
	s_cbranch_execz .LBB397_2199
; %bb.2196:                             ;   in Loop: Header=BB397_1567 Depth=1
	v_mov_b32_e32 v24, v11
	v_lshrrev_b32_e32 v16, 3, v21
	v_mov_b32_e32 v23, v10
	s_mov_b32 s20, exec_lo
	v_cmpx_gt_u32_e32 8, v21
; %bb.2197:                             ;   in Loop: Header=BB397_1567 Depth=1
	v_and_b32_e32 v16, 7, v20
	v_ffbh_u32_e32 v16, v16
	v_min_u32_e32 v16, 32, v16
	v_subrev_nc_u32_e32 v21, 28, v16
	v_sub_nc_u32_e32 v16, 29, v16
	v_lshlrev_b64 v[23:24], v21, v[10:11]
; %bb.2198:                             ;   in Loop: Header=BB397_1567 Depth=1
	s_or_b32 exec_lo, exec_lo, s20
	v_lshlrev_b32_e32 v21, 20, v23
	v_lshlrev_b32_e32 v22, 24, v10
	v_lshl_add_u32 v16, v16, 23, 0x3c000000
	v_and_b32_e32 v21, 0x700000, v21
	v_and_b32_e32 v22, 0x80000000, v22
	v_or3_b32 v22, v21, v22, v16
.LBB397_2199:                           ;   in Loop: Header=BB397_1567 Depth=1
	s_or_b32 exec_lo, exec_lo, s18
.LBB397_2200:                           ;   in Loop: Header=BB397_1567 Depth=1
	s_or_b32 exec_lo, exec_lo, s15
.LBB397_2201:                           ;   in Loop: Header=BB397_1567 Depth=1
	s_or_b32 exec_lo, exec_lo, s13
	v_cmp_ne_u16_sdwa s4, v10, v11 src0_sel:BYTE_1 src1_sel:DWORD
	s_and_saveexec_b32 s13, s4
	s_cbranch_execz .LBB397_2209
; %bb.2202:                             ;   in Loop: Header=BB397_1567 Depth=1
	v_cmp_ne_u16_sdwa s4, v10, v84 src0_sel:BYTE_1 src1_sel:DWORD
	v_bfrev_b32_e32 v25, 1
	s_and_saveexec_b32 s15, s4
	s_cbranch_execz .LBB397_2208
; %bb.2203:                             ;   in Loop: Header=BB397_1567 Depth=1
	v_mov_b32_e32 v16, 0xffff
	v_mov_b32_e32 v25, 0x7f800001
	s_mov_b32 s18, exec_lo
	v_and_b32_sdwa v16, v16, v10 dst_sel:DWORD dst_unused:UNUSED_PAD src0_sel:DWORD src1_sel:BYTE_1
	v_and_b32_e32 v21, 0x7f, v16
	v_cmpx_ne_u32_e32 0x7f, v21
	s_cbranch_execz .LBB397_2207
; %bb.2204:                             ;   in Loop: Header=BB397_1567 Depth=1
	v_and_b32_e32 v23, 7, v16
	v_mov_b32_e32 v24, v11
	v_lshrrev_b32_e32 v16, 3, v21
	s_mov_b32 s20, exec_lo
	v_cmpx_gt_u32_e32 8, v21
; %bb.2205:                             ;   in Loop: Header=BB397_1567 Depth=1
	v_ffbh_u32_e32 v16, v23
	v_min_u32_e32 v16, 32, v16
	v_subrev_nc_u32_e32 v21, 28, v16
	v_sub_nc_u32_e32 v16, 29, v16
	v_lshlrev_b64 v[23:24], v21, v[23:24]
	v_and_b32_e32 v23, 7, v23
; %bb.2206:                             ;   in Loop: Header=BB397_1567 Depth=1
	s_or_b32 exec_lo, exec_lo, s20
	v_lshlrev_b32_e32 v10, 16, v10
	v_lshlrev_b32_e32 v21, 20, v23
	v_lshl_add_u32 v16, v16, 23, 0x3c000000
	v_and_b32_e32 v10, 0x80000000, v10
	v_or3_b32 v25, v21, v10, v16
.LBB397_2207:                           ;   in Loop: Header=BB397_1567 Depth=1
	s_or_b32 exec_lo, exec_lo, s18
.LBB397_2208:                           ;   in Loop: Header=BB397_1567 Depth=1
	s_or_b32 exec_lo, exec_lo, s15
.LBB397_2209:                           ;   in Loop: Header=BB397_1567 Depth=1
	s_or_b32 exec_lo, exec_lo, s13
	v_and_b32_sdwa v10, v20, v86 dst_sel:DWORD dst_unused:UNUSED_PAD src0_sel:WORD_1 src1_sel:DWORD
	v_mov_b32_e32 v16, 0
	v_mov_b32_e32 v21, 0
	s_mov_b32 s13, exec_lo
	v_cmpx_ne_u16_e32 0, v10
	s_cbranch_execz .LBB397_2217
; %bb.2210:                             ;   in Loop: Header=BB397_1567 Depth=1
	v_bfrev_b32_e32 v21, 1
	s_mov_b32 s15, exec_lo
	v_cmpx_ne_u16_e32 0x80, v10
	s_cbranch_execz .LBB397_2216
; %bb.2211:                             ;   in Loop: Header=BB397_1567 Depth=1
	v_bfe_u32 v23, v20, 16, 7
	v_mov_b32_e32 v21, 0x7f800001
	s_mov_b32 s18, exec_lo
	v_cmpx_ne_u32_e32 0x7f, v23
	s_cbranch_execz .LBB397_2215
; %bb.2212:                             ;   in Loop: Header=BB397_1567 Depth=1
	v_mov_b32_e32 v10, 7
	v_lshrrev_b32_e32 v21, 3, v23
	v_cmp_gt_u32_e64 s4, 8, v23
	v_and_b32_sdwa v10, v20, v10 dst_sel:DWORD dst_unused:UNUSED_PAD src0_sel:WORD_1 src1_sel:DWORD
	v_mov_b32_e32 v24, v11
	v_mov_b32_e32 v23, v10
	s_and_saveexec_b32 s20, s4
; %bb.2213:                             ;   in Loop: Header=BB397_1567 Depth=1
	v_ffbh_u32_e32 v21, v10
	v_min_u32_e32 v21, 32, v21
	v_subrev_nc_u32_e32 v23, 28, v21
	v_sub_nc_u32_e32 v21, 29, v21
	v_lshlrev_b64 v[23:24], v23, v[10:11]
	v_and_b32_e32 v23, 7, v23
; %bb.2214:                             ;   in Loop: Header=BB397_1567 Depth=1
	s_or_b32 exec_lo, exec_lo, s20
	v_mov_b32_e32 v10, 24
	v_lshlrev_b32_e32 v23, 20, v23
	v_lshl_add_u32 v21, v21, 23, 0x3c000000
	v_lshlrev_b32_sdwa v10, v10, v20 dst_sel:DWORD dst_unused:UNUSED_PAD src0_sel:DWORD src1_sel:WORD_1
	v_and_b32_e32 v10, 0x80000000, v10
	v_or3_b32 v21, v23, v10, v21
.LBB397_2215:                           ;   in Loop: Header=BB397_1567 Depth=1
	s_or_b32 exec_lo, exec_lo, s18
.LBB397_2216:                           ;   in Loop: Header=BB397_1567 Depth=1
	s_or_b32 exec_lo, exec_lo, s15
.LBB397_2217:                           ;   in Loop: Header=BB397_1567 Depth=1
	s_or_b32 exec_lo, exec_lo, s13
	s_mov_b32 s13, exec_lo
	v_cmpx_lt_u64_e64 s[8:9], v[19:20]
	s_cbranch_execz .LBB397_2225
; %bb.2218:                             ;   in Loop: Header=BB397_1567 Depth=1
	v_cmp_ne_u32_sdwa s4, v20, v84 src0_sel:BYTE_3 src1_sel:DWORD
	v_bfrev_b32_e32 v16, 1
	s_and_saveexec_b32 s15, s4
	s_cbranch_execz .LBB397_2224
; %bb.2219:                             ;   in Loop: Header=BB397_1567 Depth=1
	v_bfe_u32 v19, v20, 24, 7
	v_mov_b32_e32 v16, 0x7f800001
	s_mov_b32 s18, exec_lo
	v_cmpx_ne_u32_e32 0x7f, v19
	s_cbranch_execz .LBB397_2223
; %bb.2220:                             ;   in Loop: Header=BB397_1567 Depth=1
	v_mov_b32_e32 v10, 7
	v_lshrrev_b32_e32 v16, 3, v19
	s_mov_b32 s20, exec_lo
	v_and_b32_sdwa v10, v20, v10 dst_sel:DWORD dst_unused:UNUSED_PAD src0_sel:BYTE_3 src1_sel:DWORD
	v_mov_b32_e32 v24, v11
	v_mov_b32_e32 v23, v10
	v_cmpx_gt_u32_e32 8, v19
; %bb.2221:                             ;   in Loop: Header=BB397_1567 Depth=1
	v_ffbh_u32_e32 v16, v10
	v_min_u32_e32 v16, 32, v16
	v_subrev_nc_u32_e32 v19, 28, v16
	v_sub_nc_u32_e32 v16, 29, v16
	v_lshlrev_b64 v[23:24], v19, v[10:11]
	v_and_b32_e32 v23, 7, v23
; %bb.2222:                             ;   in Loop: Header=BB397_1567 Depth=1
	s_or_b32 exec_lo, exec_lo, s20
	v_mov_b32_e32 v10, 24
	v_lshlrev_b32_e32 v19, 20, v23
	v_lshl_add_u32 v16, v16, 23, 0x3c000000
	v_lshlrev_b32_sdwa v10, v10, v20 dst_sel:DWORD dst_unused:UNUSED_PAD src0_sel:DWORD src1_sel:BYTE_3
	v_and_b32_e32 v10, 0x80000000, v10
	v_or3_b32 v16, v19, v10, v16
.LBB397_2223:                           ;   in Loop: Header=BB397_1567 Depth=1
	s_or_b32 exec_lo, exec_lo, s18
.LBB397_2224:                           ;   in Loop: Header=BB397_1567 Depth=1
	s_or_b32 exec_lo, exec_lo, s15
.LBB397_2225:                           ;   in Loop: Header=BB397_1567 Depth=1
	s_or_b32 exec_lo, exec_lo, s13
	v_mul_f32_e32 v10, v26, v25
	v_mul_f32_e32 v5, v26, v5
	;; [unrolled: 1-line block ×3, first 2 shown]
	v_bfe_u32 v19, v10, 16, 1
	v_or_b32_e32 v20, 0x400000, v10
	v_cmp_u_f32_e64 s4, v10, v10
	v_add3_u32 v19, v19, v10, 0x7fff
	v_cndmask_b32_e64 v10, v19, v20, s4
	v_lshrrev_b32_e32 v10, 16, v10
	buffer_store_dword v10, off, s[0:3], s32 offset:488 ; 4-byte Folded Spill
	v_mul_f32_e32 v10, v26, v22
	v_bfe_u32 v19, v10, 16, 1
	v_or_b32_e32 v20, 0x400000, v10
	v_cmp_u_f32_e64 s4, v10, v10
	v_add3_u32 v19, v19, v10, 0x7fff
	v_cndmask_b32_e64 v10, v19, v20, s4
	v_lshrrev_b32_e32 v10, 16, v10
	buffer_store_dword v10, off, s[0:3], s32 offset:492 ; 4-byte Folded Spill
	v_mul_f32_e32 v10, v26, v13
	;; [unrolled: 8-line block ×3, first 2 shown]
	v_bfe_u32 v12, v10, 16, 1
	v_or_b32_e32 v13, 0x400000, v10
	v_cmp_u_f32_e64 s4, v10, v10
	v_add3_u32 v12, v12, v10, 0x7fff
	v_cndmask_b32_e64 v10, v12, v13, s4
	v_or_b32_e32 v12, 0x400000, v5
	v_cmp_u_f32_e64 s4, v5, v5
	v_lshrrev_b32_e32 v10, 16, v10
	buffer_store_dword v10, off, s[0:3], s32 offset:500 ; 4-byte Folded Spill
	v_bfe_u32 v10, v5, 16, 1
	v_add3_u32 v10, v10, v5, 0x7fff
	v_cndmask_b32_e64 v5, v10, v12, s4
	v_or_b32_e32 v10, 0x400000, v4
	v_cmp_u_f32_e64 s4, v4, v4
	v_lshrrev_b32_e32 v5, 16, v5
	buffer_store_dword v5, off, s[0:3], s32 offset:508 ; 4-byte Folded Spill
	v_bfe_u32 v5, v4, 16, 1
	v_add3_u32 v5, v5, v4, 0x7fff
	v_cndmask_b32_e64 v4, v5, v10, s4
	v_lshrrev_b32_e32 v4, 16, v4
	buffer_store_dword v4, off, s[0:3], s32 offset:512 ; 4-byte Folded Spill
	v_mul_f32_e32 v4, v26, v21
	v_bfe_u32 v5, v4, 16, 1
	v_or_b32_e32 v10, 0x400000, v4
	v_cmp_u_f32_e64 s4, v4, v4
	v_add3_u32 v5, v5, v4, 0x7fff
	v_cndmask_b32_e64 v4, v5, v10, s4
	v_lshrrev_b32_e32 v4, 16, v4
	buffer_store_dword v4, off, s[0:3], s32 offset:504 ; 4-byte Folded Spill
	v_mul_f32_e32 v4, v26, v16
	v_bfe_u32 v5, v4, 16, 1
	v_or_b32_e32 v10, 0x400000, v4
	v_cmp_u_f32_e64 s4, v4, v4
	v_add3_u32 v5, v5, v4, 0x7fff
	v_cndmask_b32_e64 v4, v5, v10, s4
	v_lshrrev_b32_e32 v4, 16, v4
	buffer_store_dword v4, off, s[0:3], s32 offset:520 ; 4-byte Folded Spill
	s_and_saveexec_b32 s13, vcc_lo
	s_cbranch_execz .LBB397_2227
; %bb.2226:                             ;   in Loop: Header=BB397_1567 Depth=1
	buffer_load_dword v4, off, s[0:3], s32 offset:512 ; 4-byte Folded Reload
	v_cmp_lt_i32_e64 s4, v89, v107
	s_waitcnt vmcnt(0)
	v_cndmask_b32_e64 v4, 0, v4, s4
	v_cmp_lt_i32_e64 s4, v110, v107
	buffer_store_dword v4, off, s[0:3], s32 offset:512 ; 4-byte Folded Spill
	buffer_load_dword v4, off, s[0:3], s32 offset:508 ; 4-byte Folded Reload
	s_waitcnt vmcnt(0)
	v_cndmask_b32_e64 v4, 0, v4, s4
	v_cmp_lt_i32_e64 s4, v106, v107
	buffer_store_dword v4, off, s[0:3], s32 offset:508 ; 4-byte Folded Spill
	buffer_load_dword v4, off, s[0:3], s32 offset:500 ; 4-byte Folded Reload
	;; [unrolled: 5-line block ×7, first 2 shown]
	s_waitcnt vmcnt(0)
	v_cndmask_b32_e64 v4, 0, v4, s4
	buffer_store_dword v4, off, s[0:3], s32 offset:520 ; 4-byte Folded Spill
.LBB397_2227:                           ;   in Loop: Header=BB397_1567 Depth=1
	s_or_b32 exec_lo, exec_lo, s13
	flat_load_dwordx2 v[19:20], v[17:18] offset:512
	v_mov_b32_e32 v5, 0
	v_mov_b32_e32 v4, 0
	s_waitcnt vmcnt(0) lgkmcnt(0)
	v_cmp_ne_u16_sdwa s4, v19, v11 src0_sel:BYTE_0 src1_sel:DWORD
	s_and_saveexec_b32 s13, s4
	s_cbranch_execz .LBB397_2235
; %bb.2228:                             ;   in Loop: Header=BB397_1567 Depth=1
	v_cmp_ne_u16_sdwa s4, v19, v84 src0_sel:BYTE_0 src1_sel:DWORD
	v_bfrev_b32_e32 v4, 1
	s_and_saveexec_b32 s15, s4
	s_cbranch_execz .LBB397_2234
; %bb.2229:                             ;   in Loop: Header=BB397_1567 Depth=1
	v_and_b32_e32 v10, 0x7f, v19
	v_mov_b32_e32 v4, 0x7f800001
	s_mov_b32 s18, exec_lo
	v_cmpx_ne_u32_e32 0x7f, v10
	s_cbranch_execz .LBB397_2233
; %bb.2230:                             ;   in Loop: Header=BB397_1567 Depth=1
	v_mov_b32_e32 v24, v20
	v_lshrrev_b32_e32 v4, 3, v10
	v_mov_b32_e32 v23, v19
	s_mov_b32 s20, exec_lo
	v_cmpx_gt_u32_e32 8, v10
; %bb.2231:                             ;   in Loop: Header=BB397_1567 Depth=1
	v_and_b32_e32 v4, 7, v19
	v_ffbh_u32_e32 v4, v4
	v_min_u32_e32 v4, 32, v4
	v_subrev_nc_u32_e32 v10, 28, v4
	v_sub_nc_u32_e32 v4, 29, v4
	v_lshlrev_b64 v[23:24], v10, v[19:20]
; %bb.2232:                             ;   in Loop: Header=BB397_1567 Depth=1
	s_or_b32 exec_lo, exec_lo, s20
	v_lshlrev_b32_e32 v10, 20, v23
	v_lshlrev_b32_e32 v12, 24, v19
	v_lshl_add_u32 v4, v4, 23, 0x3c000000
	v_and_b32_e32 v10, 0x700000, v10
	v_and_b32_e32 v12, 0x80000000, v12
	v_or3_b32 v4, v10, v12, v4
.LBB397_2233:                           ;   in Loop: Header=BB397_1567 Depth=1
	s_or_b32 exec_lo, exec_lo, s18
.LBB397_2234:                           ;   in Loop: Header=BB397_1567 Depth=1
	s_or_b32 exec_lo, exec_lo, s15
.LBB397_2235:                           ;   in Loop: Header=BB397_1567 Depth=1
	s_or_b32 exec_lo, exec_lo, s13
	v_cmp_ne_u16_sdwa s4, v19, v11 src0_sel:BYTE_1 src1_sel:DWORD
	s_and_saveexec_b32 s13, s4
	s_cbranch_execz .LBB397_2243
; %bb.2236:                             ;   in Loop: Header=BB397_1567 Depth=1
	v_cmp_ne_u16_sdwa s4, v19, v84 src0_sel:BYTE_1 src1_sel:DWORD
	v_bfrev_b32_e32 v5, 1
	s_and_saveexec_b32 s15, s4
	s_cbranch_execz .LBB397_2242
; %bb.2237:                             ;   in Loop: Header=BB397_1567 Depth=1
	v_mov_b32_e32 v5, 0xffff
	s_mov_b32 s18, exec_lo
	v_and_b32_sdwa v10, v5, v19 dst_sel:DWORD dst_unused:UNUSED_PAD src0_sel:DWORD src1_sel:BYTE_1
	v_mov_b32_e32 v5, 0x7f800001
	v_and_b32_e32 v12, 0x7f, v10
	v_cmpx_ne_u32_e32 0x7f, v12
	s_cbranch_execz .LBB397_2241
; %bb.2238:                             ;   in Loop: Header=BB397_1567 Depth=1
	v_and_b32_e32 v10, 7, v10
	v_mov_b32_e32 v24, v11
	v_lshrrev_b32_e32 v5, 3, v12
	s_mov_b32 s20, exec_lo
	v_mov_b32_e32 v23, v10
	v_cmpx_gt_u32_e32 8, v12
; %bb.2239:                             ;   in Loop: Header=BB397_1567 Depth=1
	v_ffbh_u32_e32 v5, v10
	v_min_u32_e32 v5, 32, v5
	v_subrev_nc_u32_e32 v12, 28, v5
	v_sub_nc_u32_e32 v5, 29, v5
	v_lshlrev_b64 v[12:13], v12, v[10:11]
	v_and_b32_e32 v23, 7, v12
; %bb.2240:                             ;   in Loop: Header=BB397_1567 Depth=1
	s_or_b32 exec_lo, exec_lo, s20
	v_lshlrev_b32_e32 v10, 16, v19
	v_lshlrev_b32_e32 v12, 20, v23
	v_lshl_add_u32 v5, v5, 23, 0x3c000000
	v_and_b32_e32 v10, 0x80000000, v10
	v_or3_b32 v5, v12, v10, v5
.LBB397_2241:                           ;   in Loop: Header=BB397_1567 Depth=1
	s_or_b32 exec_lo, exec_lo, s18
.LBB397_2242:                           ;   in Loop: Header=BB397_1567 Depth=1
	s_or_b32 exec_lo, exec_lo, s15
.LBB397_2243:                           ;   in Loop: Header=BB397_1567 Depth=1
	s_or_b32 exec_lo, exec_lo, s13
	v_and_b32_sdwa v10, v19, v86 dst_sel:DWORD dst_unused:UNUSED_PAD src0_sel:WORD_1 src1_sel:DWORD
	v_mov_b32_e32 v13, 0
	v_mov_b32_e32 v12, 0
	s_mov_b32 s13, exec_lo
	v_cmpx_ne_u16_e32 0, v10
	s_cbranch_execz .LBB397_2251
; %bb.2244:                             ;   in Loop: Header=BB397_1567 Depth=1
	v_bfrev_b32_e32 v12, 1
	s_mov_b32 s15, exec_lo
	v_cmpx_ne_u16_e32 0x80, v10
	s_cbranch_execz .LBB397_2250
; %bb.2245:                             ;   in Loop: Header=BB397_1567 Depth=1
	v_bfe_u32 v16, v19, 16, 7
	v_mov_b32_e32 v12, 0x7f800001
	s_mov_b32 s18, exec_lo
	v_cmpx_ne_u32_e32 0x7f, v16
	s_cbranch_execz .LBB397_2249
; %bb.2246:                             ;   in Loop: Header=BB397_1567 Depth=1
	v_mov_b32_e32 v10, 7
	v_lshrrev_b32_e32 v12, 3, v16
	s_mov_b32 s20, exec_lo
	v_and_b32_sdwa v10, v19, v10 dst_sel:DWORD dst_unused:UNUSED_PAD src0_sel:WORD_1 src1_sel:DWORD
	v_mov_b32_e32 v24, v11
	v_mov_b32_e32 v23, v10
	v_cmpx_gt_u32_e32 8, v16
; %bb.2247:                             ;   in Loop: Header=BB397_1567 Depth=1
	v_ffbh_u32_e32 v12, v10
	v_min_u32_e32 v12, 32, v12
	v_subrev_nc_u32_e32 v16, 28, v12
	v_sub_nc_u32_e32 v12, 29, v12
	v_lshlrev_b64 v[21:22], v16, v[10:11]
	v_and_b32_e32 v23, 7, v21
; %bb.2248:                             ;   in Loop: Header=BB397_1567 Depth=1
	s_or_b32 exec_lo, exec_lo, s20
	v_mov_b32_e32 v10, 24
	v_lshlrev_b32_e32 v16, 20, v23
	v_lshl_add_u32 v12, v12, 23, 0x3c000000
	v_lshlrev_b32_sdwa v10, v10, v19 dst_sel:DWORD dst_unused:UNUSED_PAD src0_sel:DWORD src1_sel:WORD_1
	v_and_b32_e32 v10, 0x80000000, v10
	v_or3_b32 v12, v16, v10, v12
.LBB397_2249:                           ;   in Loop: Header=BB397_1567 Depth=1
	s_or_b32 exec_lo, exec_lo, s18
.LBB397_2250:                           ;   in Loop: Header=BB397_1567 Depth=1
	s_or_b32 exec_lo, exec_lo, s15
.LBB397_2251:                           ;   in Loop: Header=BB397_1567 Depth=1
	s_or_b32 exec_lo, exec_lo, s13
	s_mov_b32 s13, exec_lo
	v_cmpx_lt_u32_e32 0xffffff, v19
	s_cbranch_execz .LBB397_2259
; %bb.2252:                             ;   in Loop: Header=BB397_1567 Depth=1
	v_cmp_ne_u32_sdwa s4, v19, v84 src0_sel:BYTE_3 src1_sel:DWORD
	v_bfrev_b32_e32 v13, 1
	s_and_saveexec_b32 s15, s4
	s_cbranch_execz .LBB397_2258
; %bb.2253:                             ;   in Loop: Header=BB397_1567 Depth=1
	v_bfe_u32 v16, v19, 24, 7
	v_mov_b32_e32 v13, 0x7f800001
	s_mov_b32 s18, exec_lo
	v_cmpx_ne_u32_e32 0x7f, v16
	s_cbranch_execz .LBB397_2257
; %bb.2254:                             ;   in Loop: Header=BB397_1567 Depth=1
	v_mov_b32_e32 v10, 7
	v_lshrrev_b32_e32 v13, 3, v16
	s_mov_b32 s20, exec_lo
	v_and_b32_sdwa v10, v19, v10 dst_sel:DWORD dst_unused:UNUSED_PAD src0_sel:BYTE_3 src1_sel:DWORD
	v_mov_b32_e32 v24, v11
	v_mov_b32_e32 v23, v10
	v_cmpx_gt_u32_e32 8, v16
; %bb.2255:                             ;   in Loop: Header=BB397_1567 Depth=1
	v_ffbh_u32_e32 v13, v10
	v_min_u32_e32 v13, 32, v13
	v_subrev_nc_u32_e32 v16, 28, v13
	v_sub_nc_u32_e32 v13, 29, v13
	v_lshlrev_b64 v[21:22], v16, v[10:11]
	v_and_b32_e32 v23, 7, v21
; %bb.2256:                             ;   in Loop: Header=BB397_1567 Depth=1
	s_or_b32 exec_lo, exec_lo, s20
	v_mov_b32_e32 v10, 24
	v_lshlrev_b32_e32 v16, 20, v23
	v_lshl_add_u32 v13, v13, 23, 0x3c000000
	v_lshlrev_b32_sdwa v10, v10, v19 dst_sel:DWORD dst_unused:UNUSED_PAD src0_sel:DWORD src1_sel:BYTE_3
	v_and_b32_e32 v10, 0x80000000, v10
	v_or3_b32 v13, v16, v10, v13
.LBB397_2257:                           ;   in Loop: Header=BB397_1567 Depth=1
	s_or_b32 exec_lo, exec_lo, s18
.LBB397_2258:                           ;   in Loop: Header=BB397_1567 Depth=1
	s_or_b32 exec_lo, exec_lo, s15
.LBB397_2259:                           ;   in Loop: Header=BB397_1567 Depth=1
	s_or_b32 exec_lo, exec_lo, s13
	v_mov_b32_e32 v10, v20
	v_cmp_ne_u16_sdwa s4, v20, v11 src0_sel:BYTE_0 src1_sel:DWORD
	v_mov_b32_e32 v25, 0
	v_mov_b32_e32 v22, 0
	s_and_saveexec_b32 s13, s4
	s_cbranch_execz .LBB397_2267
; %bb.2260:                             ;   in Loop: Header=BB397_1567 Depth=1
	v_cmp_ne_u16_sdwa s4, v20, v84 src0_sel:BYTE_0 src1_sel:DWORD
	v_bfrev_b32_e32 v22, 1
	s_and_saveexec_b32 s15, s4
	s_cbranch_execz .LBB397_2266
; %bb.2261:                             ;   in Loop: Header=BB397_1567 Depth=1
	v_and_b32_e32 v21, 0x7f, v20
	v_mov_b32_e32 v22, 0x7f800001
	s_mov_b32 s18, exec_lo
	v_cmpx_ne_u32_e32 0x7f, v21
	s_cbranch_execz .LBB397_2265
; %bb.2262:                             ;   in Loop: Header=BB397_1567 Depth=1
	v_mov_b32_e32 v24, v11
	v_lshrrev_b32_e32 v16, 3, v21
	v_mov_b32_e32 v23, v10
	s_mov_b32 s20, exec_lo
	v_cmpx_gt_u32_e32 8, v21
; %bb.2263:                             ;   in Loop: Header=BB397_1567 Depth=1
	v_and_b32_e32 v16, 7, v20
	v_ffbh_u32_e32 v16, v16
	v_min_u32_e32 v16, 32, v16
	v_subrev_nc_u32_e32 v21, 28, v16
	v_sub_nc_u32_e32 v16, 29, v16
	v_lshlrev_b64 v[23:24], v21, v[10:11]
; %bb.2264:                             ;   in Loop: Header=BB397_1567 Depth=1
	s_or_b32 exec_lo, exec_lo, s20
	v_lshlrev_b32_e32 v21, 20, v23
	v_lshlrev_b32_e32 v22, 24, v10
	v_lshl_add_u32 v16, v16, 23, 0x3c000000
	v_and_b32_e32 v21, 0x700000, v21
	v_and_b32_e32 v22, 0x80000000, v22
	v_or3_b32 v22, v21, v22, v16
.LBB397_2265:                           ;   in Loop: Header=BB397_1567 Depth=1
	s_or_b32 exec_lo, exec_lo, s18
.LBB397_2266:                           ;   in Loop: Header=BB397_1567 Depth=1
	s_or_b32 exec_lo, exec_lo, s15
.LBB397_2267:                           ;   in Loop: Header=BB397_1567 Depth=1
	s_or_b32 exec_lo, exec_lo, s13
	v_cmp_ne_u16_sdwa s4, v10, v11 src0_sel:BYTE_1 src1_sel:DWORD
	s_and_saveexec_b32 s13, s4
	s_cbranch_execz .LBB397_2275
; %bb.2268:                             ;   in Loop: Header=BB397_1567 Depth=1
	v_cmp_ne_u16_sdwa s4, v10, v84 src0_sel:BYTE_1 src1_sel:DWORD
	v_bfrev_b32_e32 v25, 1
	s_and_saveexec_b32 s15, s4
	s_cbranch_execz .LBB397_2274
; %bb.2269:                             ;   in Loop: Header=BB397_1567 Depth=1
	v_mov_b32_e32 v16, 0xffff
	v_mov_b32_e32 v25, 0x7f800001
	s_mov_b32 s18, exec_lo
	v_and_b32_sdwa v16, v16, v10 dst_sel:DWORD dst_unused:UNUSED_PAD src0_sel:DWORD src1_sel:BYTE_1
	v_and_b32_e32 v21, 0x7f, v16
	v_cmpx_ne_u32_e32 0x7f, v21
	s_cbranch_execz .LBB397_2273
; %bb.2270:                             ;   in Loop: Header=BB397_1567 Depth=1
	v_and_b32_e32 v23, 7, v16
	v_mov_b32_e32 v24, v11
	v_lshrrev_b32_e32 v16, 3, v21
	s_mov_b32 s20, exec_lo
	v_cmpx_gt_u32_e32 8, v21
; %bb.2271:                             ;   in Loop: Header=BB397_1567 Depth=1
	v_ffbh_u32_e32 v16, v23
	v_min_u32_e32 v16, 32, v16
	v_subrev_nc_u32_e32 v21, 28, v16
	v_sub_nc_u32_e32 v16, 29, v16
	v_lshlrev_b64 v[23:24], v21, v[23:24]
	v_and_b32_e32 v23, 7, v23
; %bb.2272:                             ;   in Loop: Header=BB397_1567 Depth=1
	s_or_b32 exec_lo, exec_lo, s20
	v_lshlrev_b32_e32 v10, 16, v10
	v_lshlrev_b32_e32 v21, 20, v23
	v_lshl_add_u32 v16, v16, 23, 0x3c000000
	v_and_b32_e32 v10, 0x80000000, v10
	v_or3_b32 v25, v21, v10, v16
.LBB397_2273:                           ;   in Loop: Header=BB397_1567 Depth=1
	s_or_b32 exec_lo, exec_lo, s18
.LBB397_2274:                           ;   in Loop: Header=BB397_1567 Depth=1
	s_or_b32 exec_lo, exec_lo, s15
.LBB397_2275:                           ;   in Loop: Header=BB397_1567 Depth=1
	s_or_b32 exec_lo, exec_lo, s13
	v_and_b32_sdwa v10, v20, v86 dst_sel:DWORD dst_unused:UNUSED_PAD src0_sel:WORD_1 src1_sel:DWORD
	v_mov_b32_e32 v16, 0
	v_mov_b32_e32 v21, 0
	s_mov_b32 s13, exec_lo
	v_cmpx_ne_u16_e32 0, v10
	s_cbranch_execz .LBB397_2283
; %bb.2276:                             ;   in Loop: Header=BB397_1567 Depth=1
	v_bfrev_b32_e32 v21, 1
	s_mov_b32 s15, exec_lo
	v_cmpx_ne_u16_e32 0x80, v10
	s_cbranch_execz .LBB397_2282
; %bb.2277:                             ;   in Loop: Header=BB397_1567 Depth=1
	v_bfe_u32 v23, v20, 16, 7
	v_mov_b32_e32 v21, 0x7f800001
	s_mov_b32 s18, exec_lo
	v_cmpx_ne_u32_e32 0x7f, v23
	s_cbranch_execz .LBB397_2281
; %bb.2278:                             ;   in Loop: Header=BB397_1567 Depth=1
	v_mov_b32_e32 v10, 7
	v_lshrrev_b32_e32 v21, 3, v23
	v_cmp_gt_u32_e64 s4, 8, v23
	v_and_b32_sdwa v10, v20, v10 dst_sel:DWORD dst_unused:UNUSED_PAD src0_sel:WORD_1 src1_sel:DWORD
	v_mov_b32_e32 v24, v11
	v_mov_b32_e32 v23, v10
	s_and_saveexec_b32 s20, s4
; %bb.2279:                             ;   in Loop: Header=BB397_1567 Depth=1
	v_ffbh_u32_e32 v21, v10
	v_min_u32_e32 v21, 32, v21
	v_subrev_nc_u32_e32 v23, 28, v21
	v_sub_nc_u32_e32 v21, 29, v21
	v_lshlrev_b64 v[23:24], v23, v[10:11]
	v_and_b32_e32 v23, 7, v23
; %bb.2280:                             ;   in Loop: Header=BB397_1567 Depth=1
	s_or_b32 exec_lo, exec_lo, s20
	v_mov_b32_e32 v10, 24
	v_lshlrev_b32_e32 v23, 20, v23
	v_lshl_add_u32 v21, v21, 23, 0x3c000000
	v_lshlrev_b32_sdwa v10, v10, v20 dst_sel:DWORD dst_unused:UNUSED_PAD src0_sel:DWORD src1_sel:WORD_1
	v_and_b32_e32 v10, 0x80000000, v10
	v_or3_b32 v21, v23, v10, v21
.LBB397_2281:                           ;   in Loop: Header=BB397_1567 Depth=1
	s_or_b32 exec_lo, exec_lo, s18
.LBB397_2282:                           ;   in Loop: Header=BB397_1567 Depth=1
	s_or_b32 exec_lo, exec_lo, s15
.LBB397_2283:                           ;   in Loop: Header=BB397_1567 Depth=1
	s_or_b32 exec_lo, exec_lo, s13
	s_mov_b32 s13, exec_lo
	v_cmpx_lt_u64_e64 s[8:9], v[19:20]
	s_cbranch_execz .LBB397_2291
; %bb.2284:                             ;   in Loop: Header=BB397_1567 Depth=1
	v_cmp_ne_u32_sdwa s4, v20, v84 src0_sel:BYTE_3 src1_sel:DWORD
	v_bfrev_b32_e32 v16, 1
	s_and_saveexec_b32 s15, s4
	s_cbranch_execz .LBB397_2290
; %bb.2285:                             ;   in Loop: Header=BB397_1567 Depth=1
	v_bfe_u32 v19, v20, 24, 7
	v_mov_b32_e32 v16, 0x7f800001
	s_mov_b32 s18, exec_lo
	v_cmpx_ne_u32_e32 0x7f, v19
	s_cbranch_execz .LBB397_2289
; %bb.2286:                             ;   in Loop: Header=BB397_1567 Depth=1
	v_mov_b32_e32 v10, 7
	v_lshrrev_b32_e32 v16, 3, v19
	s_mov_b32 s20, exec_lo
	v_and_b32_sdwa v10, v20, v10 dst_sel:DWORD dst_unused:UNUSED_PAD src0_sel:BYTE_3 src1_sel:DWORD
	v_mov_b32_e32 v24, v11
	v_mov_b32_e32 v23, v10
	v_cmpx_gt_u32_e32 8, v19
; %bb.2287:                             ;   in Loop: Header=BB397_1567 Depth=1
	v_ffbh_u32_e32 v16, v10
	v_min_u32_e32 v16, 32, v16
	v_subrev_nc_u32_e32 v19, 28, v16
	v_sub_nc_u32_e32 v16, 29, v16
	v_lshlrev_b64 v[23:24], v19, v[10:11]
	v_and_b32_e32 v23, 7, v23
; %bb.2288:                             ;   in Loop: Header=BB397_1567 Depth=1
	s_or_b32 exec_lo, exec_lo, s20
	v_mov_b32_e32 v10, 24
	v_lshlrev_b32_e32 v19, 20, v23
	v_lshl_add_u32 v16, v16, 23, 0x3c000000
	v_lshlrev_b32_sdwa v10, v10, v20 dst_sel:DWORD dst_unused:UNUSED_PAD src0_sel:DWORD src1_sel:BYTE_3
	v_and_b32_e32 v10, 0x80000000, v10
	v_or3_b32 v16, v19, v10, v16
.LBB397_2289:                           ;   in Loop: Header=BB397_1567 Depth=1
	s_or_b32 exec_lo, exec_lo, s18
.LBB397_2290:                           ;   in Loop: Header=BB397_1567 Depth=1
	s_or_b32 exec_lo, exec_lo, s15
.LBB397_2291:                           ;   in Loop: Header=BB397_1567 Depth=1
	s_or_b32 exec_lo, exec_lo, s13
	v_mul_f32_e32 v10, v26, v25
	v_mul_f32_e32 v5, v26, v5
	;; [unrolled: 1-line block ×3, first 2 shown]
	v_bfe_u32 v19, v10, 16, 1
	v_or_b32_e32 v20, 0x400000, v10
	v_cmp_u_f32_e64 s4, v10, v10
	v_add3_u32 v19, v19, v10, 0x7fff
	v_cndmask_b32_e64 v10, v19, v20, s4
	v_lshrrev_b32_e32 v10, 16, v10
	buffer_store_dword v10, off, s[0:3], s32 offset:524 ; 4-byte Folded Spill
	v_mul_f32_e32 v10, v26, v22
	v_bfe_u32 v19, v10, 16, 1
	v_or_b32_e32 v20, 0x400000, v10
	v_cmp_u_f32_e64 s4, v10, v10
	v_add3_u32 v19, v19, v10, 0x7fff
	v_cndmask_b32_e64 v10, v19, v20, s4
	v_lshrrev_b32_e32 v10, 16, v10
	buffer_store_dword v10, off, s[0:3], s32 offset:528 ; 4-byte Folded Spill
	v_mul_f32_e32 v10, v26, v13
	;; [unrolled: 8-line block ×3, first 2 shown]
	v_bfe_u32 v12, v10, 16, 1
	v_or_b32_e32 v13, 0x400000, v10
	v_cmp_u_f32_e64 s4, v10, v10
	v_add3_u32 v12, v12, v10, 0x7fff
	v_cndmask_b32_e64 v10, v12, v13, s4
	v_or_b32_e32 v12, 0x400000, v5
	v_cmp_u_f32_e64 s4, v5, v5
	v_lshrrev_b32_e32 v10, 16, v10
	buffer_store_dword v10, off, s[0:3], s32 offset:536 ; 4-byte Folded Spill
	v_bfe_u32 v10, v5, 16, 1
	v_add3_u32 v10, v10, v5, 0x7fff
	v_cndmask_b32_e64 v5, v10, v12, s4
	v_or_b32_e32 v10, 0x400000, v4
	v_cmp_u_f32_e64 s4, v4, v4
	v_lshrrev_b32_e32 v5, 16, v5
	buffer_store_dword v5, off, s[0:3], s32 offset:544 ; 4-byte Folded Spill
	v_bfe_u32 v5, v4, 16, 1
	v_add3_u32 v5, v5, v4, 0x7fff
	v_cndmask_b32_e64 v4, v5, v10, s4
	v_lshrrev_b32_e32 v4, 16, v4
	buffer_store_dword v4, off, s[0:3], s32 offset:548 ; 4-byte Folded Spill
	v_mul_f32_e32 v4, v26, v21
	v_bfe_u32 v5, v4, 16, 1
	v_or_b32_e32 v10, 0x400000, v4
	v_cmp_u_f32_e64 s4, v4, v4
	v_add3_u32 v5, v5, v4, 0x7fff
	v_cndmask_b32_e64 v4, v5, v10, s4
	v_lshrrev_b32_e32 v4, 16, v4
	buffer_store_dword v4, off, s[0:3], s32 offset:540 ; 4-byte Folded Spill
	v_mul_f32_e32 v4, v26, v16
	v_bfe_u32 v5, v4, 16, 1
	v_or_b32_e32 v10, 0x400000, v4
	v_cmp_u_f32_e64 s4, v4, v4
	v_add3_u32 v5, v5, v4, 0x7fff
	v_cndmask_b32_e64 v4, v5, v10, s4
	v_lshrrev_b32_e32 v4, 16, v4
	buffer_store_dword v4, off, s[0:3], s32 offset:552 ; 4-byte Folded Spill
	s_and_saveexec_b32 s13, vcc_lo
	s_cbranch_execz .LBB397_2293
; %bb.2292:                             ;   in Loop: Header=BB397_1567 Depth=1
	buffer_load_dword v4, off, s[0:3], s32 offset:548 ; 4-byte Folded Reload
	v_cmp_lt_i32_e64 s4, v89, v107
	s_waitcnt vmcnt(0)
	v_cndmask_b32_e64 v4, 0, v4, s4
	v_cmp_lt_i32_e64 s4, v110, v107
	buffer_store_dword v4, off, s[0:3], s32 offset:548 ; 4-byte Folded Spill
	buffer_load_dword v4, off, s[0:3], s32 offset:544 ; 4-byte Folded Reload
	s_waitcnt vmcnt(0)
	v_cndmask_b32_e64 v4, 0, v4, s4
	v_cmp_lt_i32_e64 s4, v106, v107
	buffer_store_dword v4, off, s[0:3], s32 offset:544 ; 4-byte Folded Spill
	buffer_load_dword v4, off, s[0:3], s32 offset:536 ; 4-byte Folded Reload
	;; [unrolled: 5-line block ×7, first 2 shown]
	s_waitcnt vmcnt(0)
	v_cndmask_b32_e64 v4, 0, v4, s4
	buffer_store_dword v4, off, s[0:3], s32 offset:552 ; 4-byte Folded Spill
.LBB397_2293:                           ;   in Loop: Header=BB397_1567 Depth=1
	s_or_b32 exec_lo, exec_lo, s13
	flat_load_dwordx2 v[19:20], v[17:18] offset:768
	v_mov_b32_e32 v5, 0
	v_mov_b32_e32 v4, 0
	s_waitcnt vmcnt(0) lgkmcnt(0)
	v_cmp_ne_u16_sdwa s4, v19, v11 src0_sel:BYTE_0 src1_sel:DWORD
	s_and_saveexec_b32 s13, s4
	s_cbranch_execz .LBB397_2301
; %bb.2294:                             ;   in Loop: Header=BB397_1567 Depth=1
	v_cmp_ne_u16_sdwa s4, v19, v84 src0_sel:BYTE_0 src1_sel:DWORD
	v_bfrev_b32_e32 v4, 1
	s_and_saveexec_b32 s15, s4
	s_cbranch_execz .LBB397_2300
; %bb.2295:                             ;   in Loop: Header=BB397_1567 Depth=1
	v_and_b32_e32 v10, 0x7f, v19
	v_mov_b32_e32 v4, 0x7f800001
	s_mov_b32 s18, exec_lo
	v_cmpx_ne_u32_e32 0x7f, v10
	s_cbranch_execz .LBB397_2299
; %bb.2296:                             ;   in Loop: Header=BB397_1567 Depth=1
	v_mov_b32_e32 v24, v20
	v_lshrrev_b32_e32 v4, 3, v10
	v_mov_b32_e32 v23, v19
	s_mov_b32 s20, exec_lo
	v_cmpx_gt_u32_e32 8, v10
; %bb.2297:                             ;   in Loop: Header=BB397_1567 Depth=1
	v_and_b32_e32 v4, 7, v19
	v_ffbh_u32_e32 v4, v4
	v_min_u32_e32 v4, 32, v4
	v_subrev_nc_u32_e32 v10, 28, v4
	v_sub_nc_u32_e32 v4, 29, v4
	v_lshlrev_b64 v[23:24], v10, v[19:20]
; %bb.2298:                             ;   in Loop: Header=BB397_1567 Depth=1
	s_or_b32 exec_lo, exec_lo, s20
	v_lshlrev_b32_e32 v10, 20, v23
	v_lshlrev_b32_e32 v12, 24, v19
	v_lshl_add_u32 v4, v4, 23, 0x3c000000
	v_and_b32_e32 v10, 0x700000, v10
	v_and_b32_e32 v12, 0x80000000, v12
	v_or3_b32 v4, v10, v12, v4
.LBB397_2299:                           ;   in Loop: Header=BB397_1567 Depth=1
	s_or_b32 exec_lo, exec_lo, s18
.LBB397_2300:                           ;   in Loop: Header=BB397_1567 Depth=1
	s_or_b32 exec_lo, exec_lo, s15
.LBB397_2301:                           ;   in Loop: Header=BB397_1567 Depth=1
	s_or_b32 exec_lo, exec_lo, s13
	v_cmp_ne_u16_sdwa s4, v19, v11 src0_sel:BYTE_1 src1_sel:DWORD
	s_and_saveexec_b32 s13, s4
	s_cbranch_execz .LBB397_2309
; %bb.2302:                             ;   in Loop: Header=BB397_1567 Depth=1
	v_cmp_ne_u16_sdwa s4, v19, v84 src0_sel:BYTE_1 src1_sel:DWORD
	v_bfrev_b32_e32 v5, 1
	s_and_saveexec_b32 s15, s4
	s_cbranch_execz .LBB397_2308
; %bb.2303:                             ;   in Loop: Header=BB397_1567 Depth=1
	v_mov_b32_e32 v5, 0xffff
	s_mov_b32 s18, exec_lo
	v_and_b32_sdwa v10, v5, v19 dst_sel:DWORD dst_unused:UNUSED_PAD src0_sel:DWORD src1_sel:BYTE_1
	v_mov_b32_e32 v5, 0x7f800001
	v_and_b32_e32 v12, 0x7f, v10
	v_cmpx_ne_u32_e32 0x7f, v12
	s_cbranch_execz .LBB397_2307
; %bb.2304:                             ;   in Loop: Header=BB397_1567 Depth=1
	v_and_b32_e32 v10, 7, v10
	v_mov_b32_e32 v24, v11
	v_lshrrev_b32_e32 v5, 3, v12
	s_mov_b32 s20, exec_lo
	v_mov_b32_e32 v23, v10
	v_cmpx_gt_u32_e32 8, v12
; %bb.2305:                             ;   in Loop: Header=BB397_1567 Depth=1
	v_ffbh_u32_e32 v5, v10
	v_min_u32_e32 v5, 32, v5
	v_subrev_nc_u32_e32 v12, 28, v5
	v_sub_nc_u32_e32 v5, 29, v5
	v_lshlrev_b64 v[12:13], v12, v[10:11]
	v_and_b32_e32 v23, 7, v12
; %bb.2306:                             ;   in Loop: Header=BB397_1567 Depth=1
	s_or_b32 exec_lo, exec_lo, s20
	v_lshlrev_b32_e32 v10, 16, v19
	v_lshlrev_b32_e32 v12, 20, v23
	v_lshl_add_u32 v5, v5, 23, 0x3c000000
	v_and_b32_e32 v10, 0x80000000, v10
	v_or3_b32 v5, v12, v10, v5
.LBB397_2307:                           ;   in Loop: Header=BB397_1567 Depth=1
	s_or_b32 exec_lo, exec_lo, s18
.LBB397_2308:                           ;   in Loop: Header=BB397_1567 Depth=1
	s_or_b32 exec_lo, exec_lo, s15
.LBB397_2309:                           ;   in Loop: Header=BB397_1567 Depth=1
	s_or_b32 exec_lo, exec_lo, s13
	v_and_b32_sdwa v10, v19, v86 dst_sel:DWORD dst_unused:UNUSED_PAD src0_sel:WORD_1 src1_sel:DWORD
	v_mov_b32_e32 v13, 0
	v_mov_b32_e32 v12, 0
	s_mov_b32 s13, exec_lo
	v_cmpx_ne_u16_e32 0, v10
	s_cbranch_execz .LBB397_2317
; %bb.2310:                             ;   in Loop: Header=BB397_1567 Depth=1
	v_bfrev_b32_e32 v12, 1
	s_mov_b32 s15, exec_lo
	v_cmpx_ne_u16_e32 0x80, v10
	s_cbranch_execz .LBB397_2316
; %bb.2311:                             ;   in Loop: Header=BB397_1567 Depth=1
	v_bfe_u32 v16, v19, 16, 7
	v_mov_b32_e32 v12, 0x7f800001
	s_mov_b32 s18, exec_lo
	v_cmpx_ne_u32_e32 0x7f, v16
	s_cbranch_execz .LBB397_2315
; %bb.2312:                             ;   in Loop: Header=BB397_1567 Depth=1
	v_mov_b32_e32 v10, 7
	v_lshrrev_b32_e32 v12, 3, v16
	s_mov_b32 s20, exec_lo
	v_and_b32_sdwa v10, v19, v10 dst_sel:DWORD dst_unused:UNUSED_PAD src0_sel:WORD_1 src1_sel:DWORD
	v_mov_b32_e32 v24, v11
	v_mov_b32_e32 v23, v10
	v_cmpx_gt_u32_e32 8, v16
; %bb.2313:                             ;   in Loop: Header=BB397_1567 Depth=1
	v_ffbh_u32_e32 v12, v10
	v_min_u32_e32 v12, 32, v12
	v_subrev_nc_u32_e32 v16, 28, v12
	v_sub_nc_u32_e32 v12, 29, v12
	v_lshlrev_b64 v[21:22], v16, v[10:11]
	v_and_b32_e32 v23, 7, v21
; %bb.2314:                             ;   in Loop: Header=BB397_1567 Depth=1
	s_or_b32 exec_lo, exec_lo, s20
	v_mov_b32_e32 v10, 24
	v_lshlrev_b32_e32 v16, 20, v23
	v_lshl_add_u32 v12, v12, 23, 0x3c000000
	v_lshlrev_b32_sdwa v10, v10, v19 dst_sel:DWORD dst_unused:UNUSED_PAD src0_sel:DWORD src1_sel:WORD_1
	v_and_b32_e32 v10, 0x80000000, v10
	v_or3_b32 v12, v16, v10, v12
.LBB397_2315:                           ;   in Loop: Header=BB397_1567 Depth=1
	s_or_b32 exec_lo, exec_lo, s18
.LBB397_2316:                           ;   in Loop: Header=BB397_1567 Depth=1
	s_or_b32 exec_lo, exec_lo, s15
.LBB397_2317:                           ;   in Loop: Header=BB397_1567 Depth=1
	s_or_b32 exec_lo, exec_lo, s13
	s_mov_b32 s13, exec_lo
	v_cmpx_lt_u32_e32 0xffffff, v19
	s_cbranch_execz .LBB397_2325
; %bb.2318:                             ;   in Loop: Header=BB397_1567 Depth=1
	v_cmp_ne_u32_sdwa s4, v19, v84 src0_sel:BYTE_3 src1_sel:DWORD
	v_bfrev_b32_e32 v13, 1
	s_and_saveexec_b32 s15, s4
	s_cbranch_execz .LBB397_2324
; %bb.2319:                             ;   in Loop: Header=BB397_1567 Depth=1
	v_bfe_u32 v16, v19, 24, 7
	v_mov_b32_e32 v13, 0x7f800001
	s_mov_b32 s18, exec_lo
	v_cmpx_ne_u32_e32 0x7f, v16
	s_cbranch_execz .LBB397_2323
; %bb.2320:                             ;   in Loop: Header=BB397_1567 Depth=1
	v_mov_b32_e32 v10, 7
	v_lshrrev_b32_e32 v13, 3, v16
	s_mov_b32 s20, exec_lo
	v_and_b32_sdwa v10, v19, v10 dst_sel:DWORD dst_unused:UNUSED_PAD src0_sel:BYTE_3 src1_sel:DWORD
	v_mov_b32_e32 v24, v11
	v_mov_b32_e32 v23, v10
	v_cmpx_gt_u32_e32 8, v16
; %bb.2321:                             ;   in Loop: Header=BB397_1567 Depth=1
	v_ffbh_u32_e32 v13, v10
	v_min_u32_e32 v13, 32, v13
	v_subrev_nc_u32_e32 v16, 28, v13
	v_sub_nc_u32_e32 v13, 29, v13
	v_lshlrev_b64 v[21:22], v16, v[10:11]
	v_and_b32_e32 v23, 7, v21
; %bb.2322:                             ;   in Loop: Header=BB397_1567 Depth=1
	s_or_b32 exec_lo, exec_lo, s20
	v_mov_b32_e32 v10, 24
	v_lshlrev_b32_e32 v16, 20, v23
	v_lshl_add_u32 v13, v13, 23, 0x3c000000
	v_lshlrev_b32_sdwa v10, v10, v19 dst_sel:DWORD dst_unused:UNUSED_PAD src0_sel:DWORD src1_sel:BYTE_3
	v_and_b32_e32 v10, 0x80000000, v10
	v_or3_b32 v13, v16, v10, v13
.LBB397_2323:                           ;   in Loop: Header=BB397_1567 Depth=1
	s_or_b32 exec_lo, exec_lo, s18
.LBB397_2324:                           ;   in Loop: Header=BB397_1567 Depth=1
	s_or_b32 exec_lo, exec_lo, s15
.LBB397_2325:                           ;   in Loop: Header=BB397_1567 Depth=1
	s_or_b32 exec_lo, exec_lo, s13
	v_mov_b32_e32 v10, v20
	v_cmp_ne_u16_sdwa s4, v20, v11 src0_sel:BYTE_0 src1_sel:DWORD
	v_mov_b32_e32 v25, 0
	v_mov_b32_e32 v22, 0
	s_and_saveexec_b32 s13, s4
	s_cbranch_execz .LBB397_2333
; %bb.2326:                             ;   in Loop: Header=BB397_1567 Depth=1
	v_cmp_ne_u16_sdwa s4, v20, v84 src0_sel:BYTE_0 src1_sel:DWORD
	v_bfrev_b32_e32 v22, 1
	s_and_saveexec_b32 s15, s4
	s_cbranch_execz .LBB397_2332
; %bb.2327:                             ;   in Loop: Header=BB397_1567 Depth=1
	v_and_b32_e32 v21, 0x7f, v20
	v_mov_b32_e32 v22, 0x7f800001
	s_mov_b32 s18, exec_lo
	v_cmpx_ne_u32_e32 0x7f, v21
	s_cbranch_execz .LBB397_2331
; %bb.2328:                             ;   in Loop: Header=BB397_1567 Depth=1
	v_mov_b32_e32 v24, v11
	v_lshrrev_b32_e32 v16, 3, v21
	v_mov_b32_e32 v23, v10
	s_mov_b32 s20, exec_lo
	v_cmpx_gt_u32_e32 8, v21
; %bb.2329:                             ;   in Loop: Header=BB397_1567 Depth=1
	v_and_b32_e32 v16, 7, v20
	v_ffbh_u32_e32 v16, v16
	v_min_u32_e32 v16, 32, v16
	v_subrev_nc_u32_e32 v21, 28, v16
	v_sub_nc_u32_e32 v16, 29, v16
	v_lshlrev_b64 v[23:24], v21, v[10:11]
; %bb.2330:                             ;   in Loop: Header=BB397_1567 Depth=1
	s_or_b32 exec_lo, exec_lo, s20
	v_lshlrev_b32_e32 v21, 20, v23
	v_lshlrev_b32_e32 v22, 24, v10
	v_lshl_add_u32 v16, v16, 23, 0x3c000000
	v_and_b32_e32 v21, 0x700000, v21
	v_and_b32_e32 v22, 0x80000000, v22
	v_or3_b32 v22, v21, v22, v16
.LBB397_2331:                           ;   in Loop: Header=BB397_1567 Depth=1
	s_or_b32 exec_lo, exec_lo, s18
.LBB397_2332:                           ;   in Loop: Header=BB397_1567 Depth=1
	s_or_b32 exec_lo, exec_lo, s15
.LBB397_2333:                           ;   in Loop: Header=BB397_1567 Depth=1
	s_or_b32 exec_lo, exec_lo, s13
	v_cmp_ne_u16_sdwa s4, v10, v11 src0_sel:BYTE_1 src1_sel:DWORD
	s_and_saveexec_b32 s13, s4
	s_cbranch_execz .LBB397_2341
; %bb.2334:                             ;   in Loop: Header=BB397_1567 Depth=1
	v_cmp_ne_u16_sdwa s4, v10, v84 src0_sel:BYTE_1 src1_sel:DWORD
	v_bfrev_b32_e32 v25, 1
	s_and_saveexec_b32 s15, s4
	s_cbranch_execz .LBB397_2340
; %bb.2335:                             ;   in Loop: Header=BB397_1567 Depth=1
	v_mov_b32_e32 v16, 0xffff
	v_mov_b32_e32 v25, 0x7f800001
	s_mov_b32 s18, exec_lo
	v_and_b32_sdwa v16, v16, v10 dst_sel:DWORD dst_unused:UNUSED_PAD src0_sel:DWORD src1_sel:BYTE_1
	v_and_b32_e32 v21, 0x7f, v16
	v_cmpx_ne_u32_e32 0x7f, v21
	s_cbranch_execz .LBB397_2339
; %bb.2336:                             ;   in Loop: Header=BB397_1567 Depth=1
	v_and_b32_e32 v23, 7, v16
	v_mov_b32_e32 v24, v11
	v_lshrrev_b32_e32 v16, 3, v21
	s_mov_b32 s20, exec_lo
	v_cmpx_gt_u32_e32 8, v21
; %bb.2337:                             ;   in Loop: Header=BB397_1567 Depth=1
	v_ffbh_u32_e32 v16, v23
	v_min_u32_e32 v16, 32, v16
	v_subrev_nc_u32_e32 v21, 28, v16
	v_sub_nc_u32_e32 v16, 29, v16
	v_lshlrev_b64 v[23:24], v21, v[23:24]
	v_and_b32_e32 v23, 7, v23
; %bb.2338:                             ;   in Loop: Header=BB397_1567 Depth=1
	s_or_b32 exec_lo, exec_lo, s20
	v_lshlrev_b32_e32 v10, 16, v10
	v_lshlrev_b32_e32 v21, 20, v23
	v_lshl_add_u32 v16, v16, 23, 0x3c000000
	v_and_b32_e32 v10, 0x80000000, v10
	v_or3_b32 v25, v21, v10, v16
.LBB397_2339:                           ;   in Loop: Header=BB397_1567 Depth=1
	s_or_b32 exec_lo, exec_lo, s18
.LBB397_2340:                           ;   in Loop: Header=BB397_1567 Depth=1
	s_or_b32 exec_lo, exec_lo, s15
.LBB397_2341:                           ;   in Loop: Header=BB397_1567 Depth=1
	s_or_b32 exec_lo, exec_lo, s13
	v_and_b32_sdwa v10, v20, v86 dst_sel:DWORD dst_unused:UNUSED_PAD src0_sel:WORD_1 src1_sel:DWORD
	v_mov_b32_e32 v16, 0
	v_mov_b32_e32 v21, 0
	s_mov_b32 s13, exec_lo
	v_cmpx_ne_u16_e32 0, v10
	s_cbranch_execz .LBB397_2349
; %bb.2342:                             ;   in Loop: Header=BB397_1567 Depth=1
	v_bfrev_b32_e32 v21, 1
	s_mov_b32 s15, exec_lo
	v_cmpx_ne_u16_e32 0x80, v10
	s_cbranch_execz .LBB397_2348
; %bb.2343:                             ;   in Loop: Header=BB397_1567 Depth=1
	v_bfe_u32 v23, v20, 16, 7
	v_mov_b32_e32 v21, 0x7f800001
	s_mov_b32 s18, exec_lo
	v_cmpx_ne_u32_e32 0x7f, v23
	s_cbranch_execz .LBB397_2347
; %bb.2344:                             ;   in Loop: Header=BB397_1567 Depth=1
	v_mov_b32_e32 v10, 7
	v_lshrrev_b32_e32 v21, 3, v23
	v_cmp_gt_u32_e64 s4, 8, v23
	v_and_b32_sdwa v10, v20, v10 dst_sel:DWORD dst_unused:UNUSED_PAD src0_sel:WORD_1 src1_sel:DWORD
	v_mov_b32_e32 v24, v11
	v_mov_b32_e32 v23, v10
	s_and_saveexec_b32 s20, s4
; %bb.2345:                             ;   in Loop: Header=BB397_1567 Depth=1
	v_ffbh_u32_e32 v21, v10
	v_min_u32_e32 v21, 32, v21
	v_subrev_nc_u32_e32 v23, 28, v21
	v_sub_nc_u32_e32 v21, 29, v21
	v_lshlrev_b64 v[23:24], v23, v[10:11]
	v_and_b32_e32 v23, 7, v23
; %bb.2346:                             ;   in Loop: Header=BB397_1567 Depth=1
	s_or_b32 exec_lo, exec_lo, s20
	v_mov_b32_e32 v10, 24
	v_lshlrev_b32_e32 v23, 20, v23
	v_lshl_add_u32 v21, v21, 23, 0x3c000000
	v_lshlrev_b32_sdwa v10, v10, v20 dst_sel:DWORD dst_unused:UNUSED_PAD src0_sel:DWORD src1_sel:WORD_1
	v_and_b32_e32 v10, 0x80000000, v10
	v_or3_b32 v21, v23, v10, v21
.LBB397_2347:                           ;   in Loop: Header=BB397_1567 Depth=1
	s_or_b32 exec_lo, exec_lo, s18
.LBB397_2348:                           ;   in Loop: Header=BB397_1567 Depth=1
	s_or_b32 exec_lo, exec_lo, s15
.LBB397_2349:                           ;   in Loop: Header=BB397_1567 Depth=1
	s_or_b32 exec_lo, exec_lo, s13
	s_mov_b32 s13, exec_lo
	v_cmpx_lt_u64_e64 s[8:9], v[19:20]
	s_cbranch_execz .LBB397_2357
; %bb.2350:                             ;   in Loop: Header=BB397_1567 Depth=1
	v_cmp_ne_u32_sdwa s4, v20, v84 src0_sel:BYTE_3 src1_sel:DWORD
	v_bfrev_b32_e32 v16, 1
	s_and_saveexec_b32 s15, s4
	s_cbranch_execz .LBB397_2356
; %bb.2351:                             ;   in Loop: Header=BB397_1567 Depth=1
	v_bfe_u32 v19, v20, 24, 7
	v_mov_b32_e32 v16, 0x7f800001
	s_mov_b32 s18, exec_lo
	v_cmpx_ne_u32_e32 0x7f, v19
	s_cbranch_execz .LBB397_2355
; %bb.2352:                             ;   in Loop: Header=BB397_1567 Depth=1
	v_mov_b32_e32 v10, 7
	v_lshrrev_b32_e32 v16, 3, v19
	s_mov_b32 s20, exec_lo
	v_and_b32_sdwa v10, v20, v10 dst_sel:DWORD dst_unused:UNUSED_PAD src0_sel:BYTE_3 src1_sel:DWORD
	v_mov_b32_e32 v24, v11
	v_mov_b32_e32 v23, v10
	v_cmpx_gt_u32_e32 8, v19
; %bb.2353:                             ;   in Loop: Header=BB397_1567 Depth=1
	v_ffbh_u32_e32 v16, v10
	v_min_u32_e32 v16, 32, v16
	v_subrev_nc_u32_e32 v19, 28, v16
	v_sub_nc_u32_e32 v16, 29, v16
	v_lshlrev_b64 v[23:24], v19, v[10:11]
	v_and_b32_e32 v23, 7, v23
; %bb.2354:                             ;   in Loop: Header=BB397_1567 Depth=1
	s_or_b32 exec_lo, exec_lo, s20
	v_mov_b32_e32 v10, 24
	v_lshlrev_b32_e32 v19, 20, v23
	v_lshl_add_u32 v16, v16, 23, 0x3c000000
	v_lshlrev_b32_sdwa v10, v10, v20 dst_sel:DWORD dst_unused:UNUSED_PAD src0_sel:DWORD src1_sel:BYTE_3
	v_and_b32_e32 v10, 0x80000000, v10
	v_or3_b32 v16, v19, v10, v16
.LBB397_2355:                           ;   in Loop: Header=BB397_1567 Depth=1
	s_or_b32 exec_lo, exec_lo, s18
.LBB397_2356:                           ;   in Loop: Header=BB397_1567 Depth=1
	s_or_b32 exec_lo, exec_lo, s15
.LBB397_2357:                           ;   in Loop: Header=BB397_1567 Depth=1
	s_or_b32 exec_lo, exec_lo, s13
	v_mul_f32_e32 v10, v26, v25
	v_mul_f32_e32 v5, v26, v5
	;; [unrolled: 1-line block ×3, first 2 shown]
	v_bfe_u32 v19, v10, 16, 1
	v_or_b32_e32 v20, 0x400000, v10
	v_cmp_u_f32_e64 s4, v10, v10
	v_add3_u32 v19, v19, v10, 0x7fff
	v_cndmask_b32_e64 v10, v19, v20, s4
	v_lshrrev_b32_e32 v10, 16, v10
	buffer_store_dword v10, off, s[0:3], s32 offset:556 ; 4-byte Folded Spill
	v_mul_f32_e32 v10, v26, v22
	v_bfe_u32 v19, v10, 16, 1
	v_or_b32_e32 v20, 0x400000, v10
	v_cmp_u_f32_e64 s4, v10, v10
	v_add3_u32 v19, v19, v10, 0x7fff
	v_cndmask_b32_e64 v10, v19, v20, s4
	v_lshrrev_b32_e32 v10, 16, v10
	buffer_store_dword v10, off, s[0:3], s32 offset:560 ; 4-byte Folded Spill
	v_mul_f32_e32 v10, v26, v13
	;; [unrolled: 8-line block ×3, first 2 shown]
	v_bfe_u32 v12, v10, 16, 1
	v_or_b32_e32 v13, 0x400000, v10
	v_cmp_u_f32_e64 s4, v10, v10
	v_add3_u32 v12, v12, v10, 0x7fff
	v_cndmask_b32_e64 v10, v12, v13, s4
	v_or_b32_e32 v12, 0x400000, v5
	v_cmp_u_f32_e64 s4, v5, v5
	v_lshrrev_b32_e32 v10, 16, v10
	buffer_store_dword v10, off, s[0:3], s32 offset:568 ; 4-byte Folded Spill
	v_bfe_u32 v10, v5, 16, 1
	v_add3_u32 v10, v10, v5, 0x7fff
	v_cndmask_b32_e64 v5, v10, v12, s4
	v_or_b32_e32 v10, 0x400000, v4
	v_cmp_u_f32_e64 s4, v4, v4
	v_lshrrev_b32_e32 v5, 16, v5
	buffer_store_dword v5, off, s[0:3], s32 offset:576 ; 4-byte Folded Spill
	v_bfe_u32 v5, v4, 16, 1
	v_add3_u32 v5, v5, v4, 0x7fff
	v_cndmask_b32_e64 v4, v5, v10, s4
	v_lshrrev_b32_e32 v4, 16, v4
	buffer_store_dword v4, off, s[0:3], s32 offset:580 ; 4-byte Folded Spill
	v_mul_f32_e32 v4, v26, v21
	v_bfe_u32 v5, v4, 16, 1
	v_or_b32_e32 v10, 0x400000, v4
	v_cmp_u_f32_e64 s4, v4, v4
	v_add3_u32 v5, v5, v4, 0x7fff
	v_cndmask_b32_e64 v4, v5, v10, s4
	v_lshrrev_b32_e32 v4, 16, v4
	buffer_store_dword v4, off, s[0:3], s32 offset:572 ; 4-byte Folded Spill
	v_mul_f32_e32 v4, v26, v16
	v_bfe_u32 v5, v4, 16, 1
	v_or_b32_e32 v10, 0x400000, v4
	v_cmp_u_f32_e64 s4, v4, v4
	v_add3_u32 v5, v5, v4, 0x7fff
	v_cndmask_b32_e64 v4, v5, v10, s4
	v_lshrrev_b32_e32 v4, 16, v4
	buffer_store_dword v4, off, s[0:3], s32 offset:584 ; 4-byte Folded Spill
	s_and_saveexec_b32 s13, vcc_lo
	s_cbranch_execz .LBB397_2359
; %bb.2358:                             ;   in Loop: Header=BB397_1567 Depth=1
	buffer_load_dword v4, off, s[0:3], s32 offset:580 ; 4-byte Folded Reload
	v_cmp_lt_i32_e64 s4, v89, v107
	s_waitcnt vmcnt(0)
	v_cndmask_b32_e64 v4, 0, v4, s4
	v_cmp_lt_i32_e64 s4, v110, v107
	buffer_store_dword v4, off, s[0:3], s32 offset:580 ; 4-byte Folded Spill
	buffer_load_dword v4, off, s[0:3], s32 offset:576 ; 4-byte Folded Reload
	s_waitcnt vmcnt(0)
	v_cndmask_b32_e64 v4, 0, v4, s4
	v_cmp_lt_i32_e64 s4, v106, v107
	buffer_store_dword v4, off, s[0:3], s32 offset:576 ; 4-byte Folded Spill
	buffer_load_dword v4, off, s[0:3], s32 offset:568 ; 4-byte Folded Reload
	;; [unrolled: 5-line block ×7, first 2 shown]
	s_waitcnt vmcnt(0)
	v_cndmask_b32_e64 v4, 0, v4, s4
	buffer_store_dword v4, off, s[0:3], s32 offset:584 ; 4-byte Folded Spill
.LBB397_2359:                           ;   in Loop: Header=BB397_1567 Depth=1
	s_or_b32 exec_lo, exec_lo, s13
	flat_load_dwordx2 v[19:20], v[17:18] offset:1024
	v_mov_b32_e32 v5, 0
	v_mov_b32_e32 v4, 0
	s_waitcnt vmcnt(0) lgkmcnt(0)
	v_cmp_ne_u16_sdwa s4, v19, v11 src0_sel:BYTE_0 src1_sel:DWORD
	s_and_saveexec_b32 s13, s4
	s_cbranch_execz .LBB397_2367
; %bb.2360:                             ;   in Loop: Header=BB397_1567 Depth=1
	v_cmp_ne_u16_sdwa s4, v19, v84 src0_sel:BYTE_0 src1_sel:DWORD
	v_bfrev_b32_e32 v4, 1
	s_and_saveexec_b32 s15, s4
	s_cbranch_execz .LBB397_2366
; %bb.2361:                             ;   in Loop: Header=BB397_1567 Depth=1
	v_and_b32_e32 v10, 0x7f, v19
	v_mov_b32_e32 v4, 0x7f800001
	s_mov_b32 s18, exec_lo
	v_cmpx_ne_u32_e32 0x7f, v10
	s_cbranch_execz .LBB397_2365
; %bb.2362:                             ;   in Loop: Header=BB397_1567 Depth=1
	v_mov_b32_e32 v24, v20
	v_lshrrev_b32_e32 v4, 3, v10
	v_mov_b32_e32 v23, v19
	s_mov_b32 s20, exec_lo
	v_cmpx_gt_u32_e32 8, v10
; %bb.2363:                             ;   in Loop: Header=BB397_1567 Depth=1
	v_and_b32_e32 v4, 7, v19
	v_ffbh_u32_e32 v4, v4
	v_min_u32_e32 v4, 32, v4
	v_subrev_nc_u32_e32 v10, 28, v4
	v_sub_nc_u32_e32 v4, 29, v4
	v_lshlrev_b64 v[23:24], v10, v[19:20]
; %bb.2364:                             ;   in Loop: Header=BB397_1567 Depth=1
	s_or_b32 exec_lo, exec_lo, s20
	v_lshlrev_b32_e32 v10, 20, v23
	v_lshlrev_b32_e32 v12, 24, v19
	v_lshl_add_u32 v4, v4, 23, 0x3c000000
	v_and_b32_e32 v10, 0x700000, v10
	v_and_b32_e32 v12, 0x80000000, v12
	v_or3_b32 v4, v10, v12, v4
.LBB397_2365:                           ;   in Loop: Header=BB397_1567 Depth=1
	s_or_b32 exec_lo, exec_lo, s18
.LBB397_2366:                           ;   in Loop: Header=BB397_1567 Depth=1
	s_or_b32 exec_lo, exec_lo, s15
.LBB397_2367:                           ;   in Loop: Header=BB397_1567 Depth=1
	s_or_b32 exec_lo, exec_lo, s13
	v_cmp_ne_u16_sdwa s4, v19, v11 src0_sel:BYTE_1 src1_sel:DWORD
	s_and_saveexec_b32 s13, s4
	s_cbranch_execz .LBB397_2375
; %bb.2368:                             ;   in Loop: Header=BB397_1567 Depth=1
	v_cmp_ne_u16_sdwa s4, v19, v84 src0_sel:BYTE_1 src1_sel:DWORD
	v_bfrev_b32_e32 v5, 1
	s_and_saveexec_b32 s15, s4
	s_cbranch_execz .LBB397_2374
; %bb.2369:                             ;   in Loop: Header=BB397_1567 Depth=1
	v_mov_b32_e32 v5, 0xffff
	s_mov_b32 s18, exec_lo
	v_and_b32_sdwa v10, v5, v19 dst_sel:DWORD dst_unused:UNUSED_PAD src0_sel:DWORD src1_sel:BYTE_1
	v_mov_b32_e32 v5, 0x7f800001
	v_and_b32_e32 v12, 0x7f, v10
	v_cmpx_ne_u32_e32 0x7f, v12
	s_cbranch_execz .LBB397_2373
; %bb.2370:                             ;   in Loop: Header=BB397_1567 Depth=1
	v_and_b32_e32 v10, 7, v10
	v_mov_b32_e32 v24, v11
	v_lshrrev_b32_e32 v5, 3, v12
	s_mov_b32 s20, exec_lo
	v_mov_b32_e32 v23, v10
	v_cmpx_gt_u32_e32 8, v12
; %bb.2371:                             ;   in Loop: Header=BB397_1567 Depth=1
	v_ffbh_u32_e32 v5, v10
	v_min_u32_e32 v5, 32, v5
	v_subrev_nc_u32_e32 v12, 28, v5
	v_sub_nc_u32_e32 v5, 29, v5
	v_lshlrev_b64 v[12:13], v12, v[10:11]
	v_and_b32_e32 v23, 7, v12
; %bb.2372:                             ;   in Loop: Header=BB397_1567 Depth=1
	s_or_b32 exec_lo, exec_lo, s20
	v_lshlrev_b32_e32 v10, 16, v19
	v_lshlrev_b32_e32 v12, 20, v23
	v_lshl_add_u32 v5, v5, 23, 0x3c000000
	v_and_b32_e32 v10, 0x80000000, v10
	v_or3_b32 v5, v12, v10, v5
.LBB397_2373:                           ;   in Loop: Header=BB397_1567 Depth=1
	s_or_b32 exec_lo, exec_lo, s18
.LBB397_2374:                           ;   in Loop: Header=BB397_1567 Depth=1
	s_or_b32 exec_lo, exec_lo, s15
.LBB397_2375:                           ;   in Loop: Header=BB397_1567 Depth=1
	s_or_b32 exec_lo, exec_lo, s13
	v_and_b32_sdwa v10, v19, v86 dst_sel:DWORD dst_unused:UNUSED_PAD src0_sel:WORD_1 src1_sel:DWORD
	v_mov_b32_e32 v13, 0
	v_mov_b32_e32 v12, 0
	s_mov_b32 s13, exec_lo
	v_cmpx_ne_u16_e32 0, v10
	s_cbranch_execz .LBB397_2383
; %bb.2376:                             ;   in Loop: Header=BB397_1567 Depth=1
	v_bfrev_b32_e32 v12, 1
	s_mov_b32 s15, exec_lo
	v_cmpx_ne_u16_e32 0x80, v10
	s_cbranch_execz .LBB397_2382
; %bb.2377:                             ;   in Loop: Header=BB397_1567 Depth=1
	v_bfe_u32 v16, v19, 16, 7
	v_mov_b32_e32 v12, 0x7f800001
	s_mov_b32 s18, exec_lo
	v_cmpx_ne_u32_e32 0x7f, v16
	s_cbranch_execz .LBB397_2381
; %bb.2378:                             ;   in Loop: Header=BB397_1567 Depth=1
	v_mov_b32_e32 v10, 7
	v_lshrrev_b32_e32 v12, 3, v16
	s_mov_b32 s20, exec_lo
	v_and_b32_sdwa v10, v19, v10 dst_sel:DWORD dst_unused:UNUSED_PAD src0_sel:WORD_1 src1_sel:DWORD
	v_mov_b32_e32 v24, v11
	v_mov_b32_e32 v23, v10
	v_cmpx_gt_u32_e32 8, v16
; %bb.2379:                             ;   in Loop: Header=BB397_1567 Depth=1
	v_ffbh_u32_e32 v12, v10
	v_min_u32_e32 v12, 32, v12
	v_subrev_nc_u32_e32 v16, 28, v12
	v_sub_nc_u32_e32 v12, 29, v12
	v_lshlrev_b64 v[21:22], v16, v[10:11]
	v_and_b32_e32 v23, 7, v21
; %bb.2380:                             ;   in Loop: Header=BB397_1567 Depth=1
	s_or_b32 exec_lo, exec_lo, s20
	v_mov_b32_e32 v10, 24
	v_lshlrev_b32_e32 v16, 20, v23
	v_lshl_add_u32 v12, v12, 23, 0x3c000000
	v_lshlrev_b32_sdwa v10, v10, v19 dst_sel:DWORD dst_unused:UNUSED_PAD src0_sel:DWORD src1_sel:WORD_1
	v_and_b32_e32 v10, 0x80000000, v10
	v_or3_b32 v12, v16, v10, v12
.LBB397_2381:                           ;   in Loop: Header=BB397_1567 Depth=1
	s_or_b32 exec_lo, exec_lo, s18
.LBB397_2382:                           ;   in Loop: Header=BB397_1567 Depth=1
	s_or_b32 exec_lo, exec_lo, s15
.LBB397_2383:                           ;   in Loop: Header=BB397_1567 Depth=1
	s_or_b32 exec_lo, exec_lo, s13
	s_mov_b32 s13, exec_lo
	v_cmpx_lt_u32_e32 0xffffff, v19
	s_cbranch_execz .LBB397_2391
; %bb.2384:                             ;   in Loop: Header=BB397_1567 Depth=1
	v_cmp_ne_u32_sdwa s4, v19, v84 src0_sel:BYTE_3 src1_sel:DWORD
	v_bfrev_b32_e32 v13, 1
	s_and_saveexec_b32 s15, s4
	s_cbranch_execz .LBB397_2390
; %bb.2385:                             ;   in Loop: Header=BB397_1567 Depth=1
	v_bfe_u32 v16, v19, 24, 7
	v_mov_b32_e32 v13, 0x7f800001
	s_mov_b32 s18, exec_lo
	v_cmpx_ne_u32_e32 0x7f, v16
	s_cbranch_execz .LBB397_2389
; %bb.2386:                             ;   in Loop: Header=BB397_1567 Depth=1
	v_mov_b32_e32 v10, 7
	v_lshrrev_b32_e32 v13, 3, v16
	s_mov_b32 s20, exec_lo
	v_and_b32_sdwa v10, v19, v10 dst_sel:DWORD dst_unused:UNUSED_PAD src0_sel:BYTE_3 src1_sel:DWORD
	v_mov_b32_e32 v24, v11
	v_mov_b32_e32 v23, v10
	v_cmpx_gt_u32_e32 8, v16
; %bb.2387:                             ;   in Loop: Header=BB397_1567 Depth=1
	v_ffbh_u32_e32 v13, v10
	v_min_u32_e32 v13, 32, v13
	v_subrev_nc_u32_e32 v16, 28, v13
	v_sub_nc_u32_e32 v13, 29, v13
	v_lshlrev_b64 v[21:22], v16, v[10:11]
	v_and_b32_e32 v23, 7, v21
; %bb.2388:                             ;   in Loop: Header=BB397_1567 Depth=1
	s_or_b32 exec_lo, exec_lo, s20
	v_mov_b32_e32 v10, 24
	v_lshlrev_b32_e32 v16, 20, v23
	v_lshl_add_u32 v13, v13, 23, 0x3c000000
	v_lshlrev_b32_sdwa v10, v10, v19 dst_sel:DWORD dst_unused:UNUSED_PAD src0_sel:DWORD src1_sel:BYTE_3
	v_and_b32_e32 v10, 0x80000000, v10
	v_or3_b32 v13, v16, v10, v13
.LBB397_2389:                           ;   in Loop: Header=BB397_1567 Depth=1
	s_or_b32 exec_lo, exec_lo, s18
.LBB397_2390:                           ;   in Loop: Header=BB397_1567 Depth=1
	s_or_b32 exec_lo, exec_lo, s15
.LBB397_2391:                           ;   in Loop: Header=BB397_1567 Depth=1
	s_or_b32 exec_lo, exec_lo, s13
	v_mov_b32_e32 v10, v20
	v_cmp_ne_u16_sdwa s4, v20, v11 src0_sel:BYTE_0 src1_sel:DWORD
	v_mov_b32_e32 v25, 0
	v_mov_b32_e32 v22, 0
	s_and_saveexec_b32 s13, s4
	s_cbranch_execz .LBB397_2399
; %bb.2392:                             ;   in Loop: Header=BB397_1567 Depth=1
	v_cmp_ne_u16_sdwa s4, v20, v84 src0_sel:BYTE_0 src1_sel:DWORD
	v_bfrev_b32_e32 v22, 1
	s_and_saveexec_b32 s15, s4
	s_cbranch_execz .LBB397_2398
; %bb.2393:                             ;   in Loop: Header=BB397_1567 Depth=1
	v_and_b32_e32 v21, 0x7f, v20
	v_mov_b32_e32 v22, 0x7f800001
	s_mov_b32 s18, exec_lo
	v_cmpx_ne_u32_e32 0x7f, v21
	s_cbranch_execz .LBB397_2397
; %bb.2394:                             ;   in Loop: Header=BB397_1567 Depth=1
	v_mov_b32_e32 v24, v11
	v_lshrrev_b32_e32 v16, 3, v21
	v_mov_b32_e32 v23, v10
	s_mov_b32 s20, exec_lo
	v_cmpx_gt_u32_e32 8, v21
; %bb.2395:                             ;   in Loop: Header=BB397_1567 Depth=1
	v_and_b32_e32 v16, 7, v20
	v_ffbh_u32_e32 v16, v16
	v_min_u32_e32 v16, 32, v16
	v_subrev_nc_u32_e32 v21, 28, v16
	v_sub_nc_u32_e32 v16, 29, v16
	v_lshlrev_b64 v[23:24], v21, v[10:11]
; %bb.2396:                             ;   in Loop: Header=BB397_1567 Depth=1
	s_or_b32 exec_lo, exec_lo, s20
	v_lshlrev_b32_e32 v21, 20, v23
	v_lshlrev_b32_e32 v22, 24, v10
	v_lshl_add_u32 v16, v16, 23, 0x3c000000
	v_and_b32_e32 v21, 0x700000, v21
	v_and_b32_e32 v22, 0x80000000, v22
	v_or3_b32 v22, v21, v22, v16
.LBB397_2397:                           ;   in Loop: Header=BB397_1567 Depth=1
	s_or_b32 exec_lo, exec_lo, s18
.LBB397_2398:                           ;   in Loop: Header=BB397_1567 Depth=1
	s_or_b32 exec_lo, exec_lo, s15
.LBB397_2399:                           ;   in Loop: Header=BB397_1567 Depth=1
	s_or_b32 exec_lo, exec_lo, s13
	v_cmp_ne_u16_sdwa s4, v10, v11 src0_sel:BYTE_1 src1_sel:DWORD
	s_and_saveexec_b32 s13, s4
	s_cbranch_execz .LBB397_2407
; %bb.2400:                             ;   in Loop: Header=BB397_1567 Depth=1
	v_cmp_ne_u16_sdwa s4, v10, v84 src0_sel:BYTE_1 src1_sel:DWORD
	v_bfrev_b32_e32 v25, 1
	s_and_saveexec_b32 s15, s4
	s_cbranch_execz .LBB397_2406
; %bb.2401:                             ;   in Loop: Header=BB397_1567 Depth=1
	v_mov_b32_e32 v16, 0xffff
	v_mov_b32_e32 v25, 0x7f800001
	s_mov_b32 s18, exec_lo
	v_and_b32_sdwa v16, v16, v10 dst_sel:DWORD dst_unused:UNUSED_PAD src0_sel:DWORD src1_sel:BYTE_1
	v_and_b32_e32 v21, 0x7f, v16
	v_cmpx_ne_u32_e32 0x7f, v21
	s_cbranch_execz .LBB397_2405
; %bb.2402:                             ;   in Loop: Header=BB397_1567 Depth=1
	v_and_b32_e32 v23, 7, v16
	v_mov_b32_e32 v24, v11
	v_lshrrev_b32_e32 v16, 3, v21
	s_mov_b32 s20, exec_lo
	v_cmpx_gt_u32_e32 8, v21
; %bb.2403:                             ;   in Loop: Header=BB397_1567 Depth=1
	v_ffbh_u32_e32 v16, v23
	v_min_u32_e32 v16, 32, v16
	v_subrev_nc_u32_e32 v21, 28, v16
	v_sub_nc_u32_e32 v16, 29, v16
	v_lshlrev_b64 v[23:24], v21, v[23:24]
	v_and_b32_e32 v23, 7, v23
; %bb.2404:                             ;   in Loop: Header=BB397_1567 Depth=1
	s_or_b32 exec_lo, exec_lo, s20
	v_lshlrev_b32_e32 v10, 16, v10
	v_lshlrev_b32_e32 v21, 20, v23
	v_lshl_add_u32 v16, v16, 23, 0x3c000000
	v_and_b32_e32 v10, 0x80000000, v10
	v_or3_b32 v25, v21, v10, v16
.LBB397_2405:                           ;   in Loop: Header=BB397_1567 Depth=1
	s_or_b32 exec_lo, exec_lo, s18
.LBB397_2406:                           ;   in Loop: Header=BB397_1567 Depth=1
	s_or_b32 exec_lo, exec_lo, s15
.LBB397_2407:                           ;   in Loop: Header=BB397_1567 Depth=1
	s_or_b32 exec_lo, exec_lo, s13
	v_and_b32_sdwa v10, v20, v86 dst_sel:DWORD dst_unused:UNUSED_PAD src0_sel:WORD_1 src1_sel:DWORD
	v_mov_b32_e32 v16, 0
	v_mov_b32_e32 v21, 0
	s_mov_b32 s13, exec_lo
	v_cmpx_ne_u16_e32 0, v10
	s_cbranch_execz .LBB397_2415
; %bb.2408:                             ;   in Loop: Header=BB397_1567 Depth=1
	v_bfrev_b32_e32 v21, 1
	s_mov_b32 s15, exec_lo
	v_cmpx_ne_u16_e32 0x80, v10
	s_cbranch_execz .LBB397_2414
; %bb.2409:                             ;   in Loop: Header=BB397_1567 Depth=1
	v_bfe_u32 v23, v20, 16, 7
	v_mov_b32_e32 v21, 0x7f800001
	s_mov_b32 s18, exec_lo
	v_cmpx_ne_u32_e32 0x7f, v23
	s_cbranch_execz .LBB397_2413
; %bb.2410:                             ;   in Loop: Header=BB397_1567 Depth=1
	v_mov_b32_e32 v10, 7
	v_lshrrev_b32_e32 v21, 3, v23
	v_cmp_gt_u32_e64 s4, 8, v23
	v_and_b32_sdwa v10, v20, v10 dst_sel:DWORD dst_unused:UNUSED_PAD src0_sel:WORD_1 src1_sel:DWORD
	v_mov_b32_e32 v24, v11
	v_mov_b32_e32 v23, v10
	s_and_saveexec_b32 s20, s4
; %bb.2411:                             ;   in Loop: Header=BB397_1567 Depth=1
	v_ffbh_u32_e32 v21, v10
	v_min_u32_e32 v21, 32, v21
	v_subrev_nc_u32_e32 v23, 28, v21
	v_sub_nc_u32_e32 v21, 29, v21
	v_lshlrev_b64 v[23:24], v23, v[10:11]
	v_and_b32_e32 v23, 7, v23
; %bb.2412:                             ;   in Loop: Header=BB397_1567 Depth=1
	s_or_b32 exec_lo, exec_lo, s20
	v_mov_b32_e32 v10, 24
	v_lshlrev_b32_e32 v23, 20, v23
	v_lshl_add_u32 v21, v21, 23, 0x3c000000
	v_lshlrev_b32_sdwa v10, v10, v20 dst_sel:DWORD dst_unused:UNUSED_PAD src0_sel:DWORD src1_sel:WORD_1
	v_and_b32_e32 v10, 0x80000000, v10
	v_or3_b32 v21, v23, v10, v21
.LBB397_2413:                           ;   in Loop: Header=BB397_1567 Depth=1
	s_or_b32 exec_lo, exec_lo, s18
.LBB397_2414:                           ;   in Loop: Header=BB397_1567 Depth=1
	s_or_b32 exec_lo, exec_lo, s15
.LBB397_2415:                           ;   in Loop: Header=BB397_1567 Depth=1
	s_or_b32 exec_lo, exec_lo, s13
	s_mov_b32 s13, exec_lo
	v_cmpx_lt_u64_e64 s[8:9], v[19:20]
	s_cbranch_execz .LBB397_2423
; %bb.2416:                             ;   in Loop: Header=BB397_1567 Depth=1
	v_cmp_ne_u32_sdwa s4, v20, v84 src0_sel:BYTE_3 src1_sel:DWORD
	v_bfrev_b32_e32 v16, 1
	s_and_saveexec_b32 s15, s4
	s_cbranch_execz .LBB397_2422
; %bb.2417:                             ;   in Loop: Header=BB397_1567 Depth=1
	v_bfe_u32 v19, v20, 24, 7
	v_mov_b32_e32 v16, 0x7f800001
	s_mov_b32 s18, exec_lo
	v_cmpx_ne_u32_e32 0x7f, v19
	s_cbranch_execz .LBB397_2421
; %bb.2418:                             ;   in Loop: Header=BB397_1567 Depth=1
	v_mov_b32_e32 v10, 7
	v_lshrrev_b32_e32 v16, 3, v19
	s_mov_b32 s20, exec_lo
	v_and_b32_sdwa v10, v20, v10 dst_sel:DWORD dst_unused:UNUSED_PAD src0_sel:BYTE_3 src1_sel:DWORD
	v_mov_b32_e32 v24, v11
	v_mov_b32_e32 v23, v10
	v_cmpx_gt_u32_e32 8, v19
; %bb.2419:                             ;   in Loop: Header=BB397_1567 Depth=1
	v_ffbh_u32_e32 v16, v10
	v_min_u32_e32 v16, 32, v16
	v_subrev_nc_u32_e32 v19, 28, v16
	v_sub_nc_u32_e32 v16, 29, v16
	v_lshlrev_b64 v[23:24], v19, v[10:11]
	v_and_b32_e32 v23, 7, v23
; %bb.2420:                             ;   in Loop: Header=BB397_1567 Depth=1
	s_or_b32 exec_lo, exec_lo, s20
	v_mov_b32_e32 v10, 24
	v_lshlrev_b32_e32 v19, 20, v23
	v_lshl_add_u32 v16, v16, 23, 0x3c000000
	v_lshlrev_b32_sdwa v10, v10, v20 dst_sel:DWORD dst_unused:UNUSED_PAD src0_sel:DWORD src1_sel:BYTE_3
	v_and_b32_e32 v10, 0x80000000, v10
	v_or3_b32 v16, v19, v10, v16
.LBB397_2421:                           ;   in Loop: Header=BB397_1567 Depth=1
	s_or_b32 exec_lo, exec_lo, s18
.LBB397_2422:                           ;   in Loop: Header=BB397_1567 Depth=1
	s_or_b32 exec_lo, exec_lo, s15
.LBB397_2423:                           ;   in Loop: Header=BB397_1567 Depth=1
	s_or_b32 exec_lo, exec_lo, s13
	v_mul_f32_e32 v10, v26, v25
	v_mul_f32_e32 v5, v26, v5
	;; [unrolled: 1-line block ×3, first 2 shown]
	v_bfe_u32 v19, v10, 16, 1
	v_or_b32_e32 v20, 0x400000, v10
	v_cmp_u_f32_e64 s4, v10, v10
	v_add3_u32 v19, v19, v10, 0x7fff
	v_cndmask_b32_e64 v10, v19, v20, s4
	v_lshrrev_b32_e32 v48, 16, v10
	v_mul_f32_e32 v10, v26, v22
	v_bfe_u32 v19, v10, 16, 1
	v_or_b32_e32 v20, 0x400000, v10
	v_cmp_u_f32_e64 s4, v10, v10
	v_add3_u32 v19, v19, v10, 0x7fff
	v_cndmask_b32_e64 v10, v19, v20, s4
	v_lshrrev_b32_e32 v59, 16, v10
	v_mul_f32_e32 v10, v26, v13
	;; [unrolled: 7-line block ×3, first 2 shown]
	v_bfe_u32 v12, v10, 16, 1
	v_or_b32_e32 v13, 0x400000, v10
	v_cmp_u_f32_e64 s4, v10, v10
	v_add3_u32 v12, v12, v10, 0x7fff
	v_cndmask_b32_e64 v10, v12, v13, s4
	v_or_b32_e32 v12, 0x400000, v5
	v_cmp_u_f32_e64 s4, v5, v5
	v_lshrrev_b32_e32 v72, 16, v10
	v_bfe_u32 v10, v5, 16, 1
	v_add3_u32 v10, v10, v5, 0x7fff
	v_cndmask_b32_e64 v5, v10, v12, s4
	v_or_b32_e32 v10, 0x400000, v4
	v_cmp_u_f32_e64 s4, v4, v4
	v_lshrrev_b32_e32 v37, 16, v5
	v_bfe_u32 v5, v4, 16, 1
	v_add3_u32 v5, v5, v4, 0x7fff
	v_cndmask_b32_e64 v4, v5, v10, s4
	v_lshrrev_b32_e32 v108, 16, v4
	v_mul_f32_e32 v4, v26, v21
	v_bfe_u32 v5, v4, 16, 1
	v_or_b32_e32 v10, 0x400000, v4
	v_cmp_u_f32_e64 s4, v4, v4
	v_add3_u32 v5, v5, v4, 0x7fff
	v_cndmask_b32_e64 v4, v5, v10, s4
	v_lshrrev_b32_e32 v63, 16, v4
	v_mul_f32_e32 v4, v26, v16
	v_bfe_u32 v5, v4, 16, 1
	v_or_b32_e32 v10, 0x400000, v4
	v_cmp_u_f32_e64 s4, v4, v4
	v_add3_u32 v5, v5, v4, 0x7fff
	v_cndmask_b32_e64 v4, v5, v10, s4
	v_lshrrev_b32_e32 v74, 16, v4
	s_and_saveexec_b32 s13, vcc_lo
	s_cbranch_execz .LBB397_2425
; %bb.2424:                             ;   in Loop: Header=BB397_1567 Depth=1
	v_cmp_lt_i32_e64 s4, v89, v107
	v_cndmask_b32_e64 v108, 0, v108, s4
	v_cmp_lt_i32_e64 s4, v110, v107
	v_cndmask_b32_e64 v37, 0, v37, s4
	;; [unrolled: 2-line block ×8, first 2 shown]
.LBB397_2425:                           ;   in Loop: Header=BB397_1567 Depth=1
	s_or_b32 exec_lo, exec_lo, s13
	flat_load_dwordx2 v[19:20], v[17:18] offset:1280
	v_mov_b32_e32 v5, 0
	v_mov_b32_e32 v4, 0
	s_waitcnt vmcnt(0) lgkmcnt(0)
	v_cmp_ne_u16_sdwa s4, v19, v11 src0_sel:BYTE_0 src1_sel:DWORD
	s_and_saveexec_b32 s13, s4
	s_cbranch_execz .LBB397_2433
; %bb.2426:                             ;   in Loop: Header=BB397_1567 Depth=1
	v_cmp_ne_u16_sdwa s4, v19, v84 src0_sel:BYTE_0 src1_sel:DWORD
	v_bfrev_b32_e32 v4, 1
	s_and_saveexec_b32 s15, s4
	s_cbranch_execz .LBB397_2432
; %bb.2427:                             ;   in Loop: Header=BB397_1567 Depth=1
	v_and_b32_e32 v10, 0x7f, v19
	v_mov_b32_e32 v4, 0x7f800001
	s_mov_b32 s18, exec_lo
	v_cmpx_ne_u32_e32 0x7f, v10
	s_cbranch_execz .LBB397_2431
; %bb.2428:                             ;   in Loop: Header=BB397_1567 Depth=1
	v_mov_b32_e32 v24, v20
	v_lshrrev_b32_e32 v4, 3, v10
	v_mov_b32_e32 v23, v19
	s_mov_b32 s20, exec_lo
	v_cmpx_gt_u32_e32 8, v10
; %bb.2429:                             ;   in Loop: Header=BB397_1567 Depth=1
	v_and_b32_e32 v4, 7, v19
	v_ffbh_u32_e32 v4, v4
	v_min_u32_e32 v4, 32, v4
	v_subrev_nc_u32_e32 v10, 28, v4
	v_sub_nc_u32_e32 v4, 29, v4
	v_lshlrev_b64 v[23:24], v10, v[19:20]
; %bb.2430:                             ;   in Loop: Header=BB397_1567 Depth=1
	s_or_b32 exec_lo, exec_lo, s20
	v_lshlrev_b32_e32 v10, 20, v23
	v_lshlrev_b32_e32 v12, 24, v19
	v_lshl_add_u32 v4, v4, 23, 0x3c000000
	v_and_b32_e32 v10, 0x700000, v10
	v_and_b32_e32 v12, 0x80000000, v12
	v_or3_b32 v4, v10, v12, v4
.LBB397_2431:                           ;   in Loop: Header=BB397_1567 Depth=1
	s_or_b32 exec_lo, exec_lo, s18
.LBB397_2432:                           ;   in Loop: Header=BB397_1567 Depth=1
	s_or_b32 exec_lo, exec_lo, s15
.LBB397_2433:                           ;   in Loop: Header=BB397_1567 Depth=1
	s_or_b32 exec_lo, exec_lo, s13
	v_cmp_ne_u16_sdwa s4, v19, v11 src0_sel:BYTE_1 src1_sel:DWORD
	s_and_saveexec_b32 s13, s4
	s_cbranch_execz .LBB397_2441
; %bb.2434:                             ;   in Loop: Header=BB397_1567 Depth=1
	v_cmp_ne_u16_sdwa s4, v19, v84 src0_sel:BYTE_1 src1_sel:DWORD
	v_bfrev_b32_e32 v5, 1
	s_and_saveexec_b32 s15, s4
	s_cbranch_execz .LBB397_2440
; %bb.2435:                             ;   in Loop: Header=BB397_1567 Depth=1
	v_mov_b32_e32 v5, 0xffff
	s_mov_b32 s18, exec_lo
	v_and_b32_sdwa v10, v5, v19 dst_sel:DWORD dst_unused:UNUSED_PAD src0_sel:DWORD src1_sel:BYTE_1
	v_mov_b32_e32 v5, 0x7f800001
	v_and_b32_e32 v12, 0x7f, v10
	v_cmpx_ne_u32_e32 0x7f, v12
	s_cbranch_execz .LBB397_2439
; %bb.2436:                             ;   in Loop: Header=BB397_1567 Depth=1
	v_and_b32_e32 v10, 7, v10
	v_mov_b32_e32 v24, v11
	v_lshrrev_b32_e32 v5, 3, v12
	s_mov_b32 s20, exec_lo
	v_mov_b32_e32 v23, v10
	v_cmpx_gt_u32_e32 8, v12
; %bb.2437:                             ;   in Loop: Header=BB397_1567 Depth=1
	v_ffbh_u32_e32 v5, v10
	v_min_u32_e32 v5, 32, v5
	v_subrev_nc_u32_e32 v12, 28, v5
	v_sub_nc_u32_e32 v5, 29, v5
	v_lshlrev_b64 v[12:13], v12, v[10:11]
	v_and_b32_e32 v23, 7, v12
; %bb.2438:                             ;   in Loop: Header=BB397_1567 Depth=1
	s_or_b32 exec_lo, exec_lo, s20
	v_lshlrev_b32_e32 v10, 16, v19
	v_lshlrev_b32_e32 v12, 20, v23
	v_lshl_add_u32 v5, v5, 23, 0x3c000000
	v_and_b32_e32 v10, 0x80000000, v10
	v_or3_b32 v5, v12, v10, v5
.LBB397_2439:                           ;   in Loop: Header=BB397_1567 Depth=1
	s_or_b32 exec_lo, exec_lo, s18
.LBB397_2440:                           ;   in Loop: Header=BB397_1567 Depth=1
	s_or_b32 exec_lo, exec_lo, s15
.LBB397_2441:                           ;   in Loop: Header=BB397_1567 Depth=1
	s_or_b32 exec_lo, exec_lo, s13
	v_and_b32_sdwa v10, v19, v86 dst_sel:DWORD dst_unused:UNUSED_PAD src0_sel:WORD_1 src1_sel:DWORD
	v_mov_b32_e32 v13, 0
	v_mov_b32_e32 v12, 0
	s_mov_b32 s13, exec_lo
	v_cmpx_ne_u16_e32 0, v10
	s_cbranch_execz .LBB397_2449
; %bb.2442:                             ;   in Loop: Header=BB397_1567 Depth=1
	v_bfrev_b32_e32 v12, 1
	s_mov_b32 s15, exec_lo
	v_cmpx_ne_u16_e32 0x80, v10
	s_cbranch_execz .LBB397_2448
; %bb.2443:                             ;   in Loop: Header=BB397_1567 Depth=1
	v_bfe_u32 v16, v19, 16, 7
	v_mov_b32_e32 v12, 0x7f800001
	s_mov_b32 s18, exec_lo
	v_cmpx_ne_u32_e32 0x7f, v16
	s_cbranch_execz .LBB397_2447
; %bb.2444:                             ;   in Loop: Header=BB397_1567 Depth=1
	v_mov_b32_e32 v10, 7
	v_lshrrev_b32_e32 v12, 3, v16
	s_mov_b32 s20, exec_lo
	v_and_b32_sdwa v10, v19, v10 dst_sel:DWORD dst_unused:UNUSED_PAD src0_sel:WORD_1 src1_sel:DWORD
	v_mov_b32_e32 v24, v11
	v_mov_b32_e32 v23, v10
	v_cmpx_gt_u32_e32 8, v16
; %bb.2445:                             ;   in Loop: Header=BB397_1567 Depth=1
	v_ffbh_u32_e32 v12, v10
	v_min_u32_e32 v12, 32, v12
	v_subrev_nc_u32_e32 v16, 28, v12
	v_sub_nc_u32_e32 v12, 29, v12
	v_lshlrev_b64 v[21:22], v16, v[10:11]
	v_and_b32_e32 v23, 7, v21
; %bb.2446:                             ;   in Loop: Header=BB397_1567 Depth=1
	s_or_b32 exec_lo, exec_lo, s20
	v_mov_b32_e32 v10, 24
	v_lshlrev_b32_e32 v16, 20, v23
	v_lshl_add_u32 v12, v12, 23, 0x3c000000
	v_lshlrev_b32_sdwa v10, v10, v19 dst_sel:DWORD dst_unused:UNUSED_PAD src0_sel:DWORD src1_sel:WORD_1
	v_and_b32_e32 v10, 0x80000000, v10
	v_or3_b32 v12, v16, v10, v12
.LBB397_2447:                           ;   in Loop: Header=BB397_1567 Depth=1
	s_or_b32 exec_lo, exec_lo, s18
.LBB397_2448:                           ;   in Loop: Header=BB397_1567 Depth=1
	s_or_b32 exec_lo, exec_lo, s15
.LBB397_2449:                           ;   in Loop: Header=BB397_1567 Depth=1
	s_or_b32 exec_lo, exec_lo, s13
	s_mov_b32 s13, exec_lo
	v_cmpx_lt_u32_e32 0xffffff, v19
	s_cbranch_execz .LBB397_2457
; %bb.2450:                             ;   in Loop: Header=BB397_1567 Depth=1
	v_cmp_ne_u32_sdwa s4, v19, v84 src0_sel:BYTE_3 src1_sel:DWORD
	v_bfrev_b32_e32 v13, 1
	s_and_saveexec_b32 s15, s4
	s_cbranch_execz .LBB397_2456
; %bb.2451:                             ;   in Loop: Header=BB397_1567 Depth=1
	v_bfe_u32 v16, v19, 24, 7
	v_mov_b32_e32 v13, 0x7f800001
	s_mov_b32 s18, exec_lo
	v_cmpx_ne_u32_e32 0x7f, v16
	s_cbranch_execz .LBB397_2455
; %bb.2452:                             ;   in Loop: Header=BB397_1567 Depth=1
	v_mov_b32_e32 v10, 7
	v_lshrrev_b32_e32 v13, 3, v16
	s_mov_b32 s20, exec_lo
	v_and_b32_sdwa v10, v19, v10 dst_sel:DWORD dst_unused:UNUSED_PAD src0_sel:BYTE_3 src1_sel:DWORD
	v_mov_b32_e32 v24, v11
	v_mov_b32_e32 v23, v10
	v_cmpx_gt_u32_e32 8, v16
; %bb.2453:                             ;   in Loop: Header=BB397_1567 Depth=1
	v_ffbh_u32_e32 v13, v10
	v_min_u32_e32 v13, 32, v13
	v_subrev_nc_u32_e32 v16, 28, v13
	v_sub_nc_u32_e32 v13, 29, v13
	v_lshlrev_b64 v[21:22], v16, v[10:11]
	v_and_b32_e32 v23, 7, v21
; %bb.2454:                             ;   in Loop: Header=BB397_1567 Depth=1
	s_or_b32 exec_lo, exec_lo, s20
	v_mov_b32_e32 v10, 24
	v_lshlrev_b32_e32 v16, 20, v23
	v_lshl_add_u32 v13, v13, 23, 0x3c000000
	v_lshlrev_b32_sdwa v10, v10, v19 dst_sel:DWORD dst_unused:UNUSED_PAD src0_sel:DWORD src1_sel:BYTE_3
	v_and_b32_e32 v10, 0x80000000, v10
	v_or3_b32 v13, v16, v10, v13
.LBB397_2455:                           ;   in Loop: Header=BB397_1567 Depth=1
	s_or_b32 exec_lo, exec_lo, s18
.LBB397_2456:                           ;   in Loop: Header=BB397_1567 Depth=1
	s_or_b32 exec_lo, exec_lo, s15
.LBB397_2457:                           ;   in Loop: Header=BB397_1567 Depth=1
	s_or_b32 exec_lo, exec_lo, s13
	v_mov_b32_e32 v10, v20
	v_cmp_ne_u16_sdwa s4, v20, v11 src0_sel:BYTE_0 src1_sel:DWORD
	v_mov_b32_e32 v25, 0
	v_mov_b32_e32 v22, 0
	s_and_saveexec_b32 s13, s4
	s_cbranch_execz .LBB397_2465
; %bb.2458:                             ;   in Loop: Header=BB397_1567 Depth=1
	v_cmp_ne_u16_sdwa s4, v20, v84 src0_sel:BYTE_0 src1_sel:DWORD
	v_bfrev_b32_e32 v22, 1
	s_and_saveexec_b32 s15, s4
	s_cbranch_execz .LBB397_2464
; %bb.2459:                             ;   in Loop: Header=BB397_1567 Depth=1
	v_and_b32_e32 v21, 0x7f, v20
	v_mov_b32_e32 v22, 0x7f800001
	s_mov_b32 s18, exec_lo
	v_cmpx_ne_u32_e32 0x7f, v21
	s_cbranch_execz .LBB397_2463
; %bb.2460:                             ;   in Loop: Header=BB397_1567 Depth=1
	v_mov_b32_e32 v24, v11
	v_lshrrev_b32_e32 v16, 3, v21
	v_mov_b32_e32 v23, v10
	s_mov_b32 s20, exec_lo
	v_cmpx_gt_u32_e32 8, v21
; %bb.2461:                             ;   in Loop: Header=BB397_1567 Depth=1
	v_and_b32_e32 v16, 7, v20
	v_ffbh_u32_e32 v16, v16
	v_min_u32_e32 v16, 32, v16
	v_subrev_nc_u32_e32 v21, 28, v16
	v_sub_nc_u32_e32 v16, 29, v16
	v_lshlrev_b64 v[23:24], v21, v[10:11]
; %bb.2462:                             ;   in Loop: Header=BB397_1567 Depth=1
	s_or_b32 exec_lo, exec_lo, s20
	v_lshlrev_b32_e32 v21, 20, v23
	v_lshlrev_b32_e32 v22, 24, v10
	v_lshl_add_u32 v16, v16, 23, 0x3c000000
	v_and_b32_e32 v21, 0x700000, v21
	v_and_b32_e32 v22, 0x80000000, v22
	v_or3_b32 v22, v21, v22, v16
.LBB397_2463:                           ;   in Loop: Header=BB397_1567 Depth=1
	s_or_b32 exec_lo, exec_lo, s18
.LBB397_2464:                           ;   in Loop: Header=BB397_1567 Depth=1
	s_or_b32 exec_lo, exec_lo, s15
.LBB397_2465:                           ;   in Loop: Header=BB397_1567 Depth=1
	s_or_b32 exec_lo, exec_lo, s13
	v_cmp_ne_u16_sdwa s4, v10, v11 src0_sel:BYTE_1 src1_sel:DWORD
	s_and_saveexec_b32 s13, s4
	s_cbranch_execz .LBB397_2473
; %bb.2466:                             ;   in Loop: Header=BB397_1567 Depth=1
	v_cmp_ne_u16_sdwa s4, v10, v84 src0_sel:BYTE_1 src1_sel:DWORD
	v_bfrev_b32_e32 v25, 1
	s_and_saveexec_b32 s15, s4
	s_cbranch_execz .LBB397_2472
; %bb.2467:                             ;   in Loop: Header=BB397_1567 Depth=1
	v_mov_b32_e32 v16, 0xffff
	v_mov_b32_e32 v25, 0x7f800001
	s_mov_b32 s18, exec_lo
	v_and_b32_sdwa v16, v16, v10 dst_sel:DWORD dst_unused:UNUSED_PAD src0_sel:DWORD src1_sel:BYTE_1
	v_and_b32_e32 v21, 0x7f, v16
	v_cmpx_ne_u32_e32 0x7f, v21
	s_cbranch_execz .LBB397_2471
; %bb.2468:                             ;   in Loop: Header=BB397_1567 Depth=1
	v_and_b32_e32 v23, 7, v16
	v_mov_b32_e32 v24, v11
	v_lshrrev_b32_e32 v16, 3, v21
	s_mov_b32 s20, exec_lo
	v_cmpx_gt_u32_e32 8, v21
; %bb.2469:                             ;   in Loop: Header=BB397_1567 Depth=1
	v_ffbh_u32_e32 v16, v23
	v_min_u32_e32 v16, 32, v16
	v_subrev_nc_u32_e32 v21, 28, v16
	v_sub_nc_u32_e32 v16, 29, v16
	v_lshlrev_b64 v[23:24], v21, v[23:24]
	v_and_b32_e32 v23, 7, v23
; %bb.2470:                             ;   in Loop: Header=BB397_1567 Depth=1
	s_or_b32 exec_lo, exec_lo, s20
	v_lshlrev_b32_e32 v10, 16, v10
	v_lshlrev_b32_e32 v21, 20, v23
	v_lshl_add_u32 v16, v16, 23, 0x3c000000
	v_and_b32_e32 v10, 0x80000000, v10
	v_or3_b32 v25, v21, v10, v16
.LBB397_2471:                           ;   in Loop: Header=BB397_1567 Depth=1
	s_or_b32 exec_lo, exec_lo, s18
.LBB397_2472:                           ;   in Loop: Header=BB397_1567 Depth=1
	s_or_b32 exec_lo, exec_lo, s15
.LBB397_2473:                           ;   in Loop: Header=BB397_1567 Depth=1
	s_or_b32 exec_lo, exec_lo, s13
	v_and_b32_sdwa v10, v20, v86 dst_sel:DWORD dst_unused:UNUSED_PAD src0_sel:WORD_1 src1_sel:DWORD
	v_mov_b32_e32 v16, 0
	v_mov_b32_e32 v21, 0
	s_mov_b32 s13, exec_lo
	v_cmpx_ne_u16_e32 0, v10
	s_cbranch_execz .LBB397_2481
; %bb.2474:                             ;   in Loop: Header=BB397_1567 Depth=1
	v_bfrev_b32_e32 v21, 1
	s_mov_b32 s15, exec_lo
	v_cmpx_ne_u16_e32 0x80, v10
	s_cbranch_execz .LBB397_2480
; %bb.2475:                             ;   in Loop: Header=BB397_1567 Depth=1
	v_bfe_u32 v23, v20, 16, 7
	v_mov_b32_e32 v21, 0x7f800001
	s_mov_b32 s18, exec_lo
	v_cmpx_ne_u32_e32 0x7f, v23
	s_cbranch_execz .LBB397_2479
; %bb.2476:                             ;   in Loop: Header=BB397_1567 Depth=1
	v_mov_b32_e32 v10, 7
	v_lshrrev_b32_e32 v21, 3, v23
	v_cmp_gt_u32_e64 s4, 8, v23
	v_and_b32_sdwa v10, v20, v10 dst_sel:DWORD dst_unused:UNUSED_PAD src0_sel:WORD_1 src1_sel:DWORD
	v_mov_b32_e32 v24, v11
	v_mov_b32_e32 v23, v10
	s_and_saveexec_b32 s20, s4
; %bb.2477:                             ;   in Loop: Header=BB397_1567 Depth=1
	v_ffbh_u32_e32 v21, v10
	v_min_u32_e32 v21, 32, v21
	v_subrev_nc_u32_e32 v23, 28, v21
	v_sub_nc_u32_e32 v21, 29, v21
	v_lshlrev_b64 v[23:24], v23, v[10:11]
	v_and_b32_e32 v23, 7, v23
; %bb.2478:                             ;   in Loop: Header=BB397_1567 Depth=1
	s_or_b32 exec_lo, exec_lo, s20
	v_mov_b32_e32 v10, 24
	v_lshlrev_b32_e32 v23, 20, v23
	v_lshl_add_u32 v21, v21, 23, 0x3c000000
	v_lshlrev_b32_sdwa v10, v10, v20 dst_sel:DWORD dst_unused:UNUSED_PAD src0_sel:DWORD src1_sel:WORD_1
	v_and_b32_e32 v10, 0x80000000, v10
	v_or3_b32 v21, v23, v10, v21
.LBB397_2479:                           ;   in Loop: Header=BB397_1567 Depth=1
	s_or_b32 exec_lo, exec_lo, s18
.LBB397_2480:                           ;   in Loop: Header=BB397_1567 Depth=1
	s_or_b32 exec_lo, exec_lo, s15
.LBB397_2481:                           ;   in Loop: Header=BB397_1567 Depth=1
	s_or_b32 exec_lo, exec_lo, s13
	s_mov_b32 s13, exec_lo
	v_cmpx_lt_u64_e64 s[8:9], v[19:20]
	s_cbranch_execz .LBB397_2489
; %bb.2482:                             ;   in Loop: Header=BB397_1567 Depth=1
	v_cmp_ne_u32_sdwa s4, v20, v84 src0_sel:BYTE_3 src1_sel:DWORD
	v_bfrev_b32_e32 v16, 1
	s_and_saveexec_b32 s15, s4
	s_cbranch_execz .LBB397_2488
; %bb.2483:                             ;   in Loop: Header=BB397_1567 Depth=1
	v_bfe_u32 v19, v20, 24, 7
	v_mov_b32_e32 v16, 0x7f800001
	s_mov_b32 s18, exec_lo
	v_cmpx_ne_u32_e32 0x7f, v19
	s_cbranch_execz .LBB397_2487
; %bb.2484:                             ;   in Loop: Header=BB397_1567 Depth=1
	v_mov_b32_e32 v10, 7
	v_lshrrev_b32_e32 v16, 3, v19
	s_mov_b32 s20, exec_lo
	v_and_b32_sdwa v10, v20, v10 dst_sel:DWORD dst_unused:UNUSED_PAD src0_sel:BYTE_3 src1_sel:DWORD
	v_mov_b32_e32 v24, v11
	v_mov_b32_e32 v23, v10
	v_cmpx_gt_u32_e32 8, v19
; %bb.2485:                             ;   in Loop: Header=BB397_1567 Depth=1
	v_ffbh_u32_e32 v16, v10
	v_min_u32_e32 v16, 32, v16
	v_subrev_nc_u32_e32 v19, 28, v16
	v_sub_nc_u32_e32 v16, 29, v16
	v_lshlrev_b64 v[23:24], v19, v[10:11]
	v_and_b32_e32 v23, 7, v23
; %bb.2486:                             ;   in Loop: Header=BB397_1567 Depth=1
	s_or_b32 exec_lo, exec_lo, s20
	v_mov_b32_e32 v10, 24
	v_lshlrev_b32_e32 v19, 20, v23
	v_lshl_add_u32 v16, v16, 23, 0x3c000000
	v_lshlrev_b32_sdwa v10, v10, v20 dst_sel:DWORD dst_unused:UNUSED_PAD src0_sel:DWORD src1_sel:BYTE_3
	v_and_b32_e32 v10, 0x80000000, v10
	v_or3_b32 v16, v19, v10, v16
.LBB397_2487:                           ;   in Loop: Header=BB397_1567 Depth=1
	s_or_b32 exec_lo, exec_lo, s18
.LBB397_2488:                           ;   in Loop: Header=BB397_1567 Depth=1
	s_or_b32 exec_lo, exec_lo, s15
.LBB397_2489:                           ;   in Loop: Header=BB397_1567 Depth=1
	s_or_b32 exec_lo, exec_lo, s13
	v_mul_f32_e32 v10, v26, v25
	v_mul_f32_e32 v5, v26, v5
	;; [unrolled: 1-line block ×3, first 2 shown]
	v_bfe_u32 v19, v10, 16, 1
	v_or_b32_e32 v20, 0x400000, v10
	v_cmp_u_f32_e64 s4, v10, v10
	v_add3_u32 v19, v19, v10, 0x7fff
	v_cndmask_b32_e64 v10, v19, v20, s4
	v_lshrrev_b32_e32 v75, 16, v10
	v_mul_f32_e32 v10, v26, v22
	v_bfe_u32 v19, v10, 16, 1
	v_or_b32_e32 v20, 0x400000, v10
	v_cmp_u_f32_e64 s4, v10, v10
	v_add3_u32 v19, v19, v10, 0x7fff
	v_cndmask_b32_e64 v10, v19, v20, s4
	v_lshrrev_b32_e32 v76, 16, v10
	v_mul_f32_e32 v10, v26, v13
	;; [unrolled: 7-line block ×3, first 2 shown]
	v_bfe_u32 v12, v10, 16, 1
	v_or_b32_e32 v13, 0x400000, v10
	v_cmp_u_f32_e64 s4, v10, v10
	v_add3_u32 v12, v12, v10, 0x7fff
	v_cndmask_b32_e64 v10, v12, v13, s4
	v_or_b32_e32 v12, 0x400000, v5
	v_cmp_u_f32_e64 s4, v5, v5
	v_lshrrev_b32_e32 v78, 16, v10
	v_bfe_u32 v10, v5, 16, 1
	v_add3_u32 v10, v10, v5, 0x7fff
	v_cndmask_b32_e64 v5, v10, v12, s4
	v_or_b32_e32 v10, 0x400000, v4
	v_cmp_u_f32_e64 s4, v4, v4
	v_lshrrev_b32_e32 v88, 16, v5
	v_bfe_u32 v5, v4, 16, 1
	v_add3_u32 v5, v5, v4, 0x7fff
	v_cndmask_b32_e64 v4, v5, v10, s4
	v_lshrrev_b32_e32 v90, 16, v4
	v_mul_f32_e32 v4, v26, v21
	v_bfe_u32 v5, v4, 16, 1
	v_or_b32_e32 v10, 0x400000, v4
	v_cmp_u_f32_e64 s4, v4, v4
	v_add3_u32 v5, v5, v4, 0x7fff
	v_cndmask_b32_e64 v4, v5, v10, s4
	v_lshrrev_b32_e32 v79, 16, v4
	v_mul_f32_e32 v4, v26, v16
	v_bfe_u32 v5, v4, 16, 1
	v_or_b32_e32 v10, 0x400000, v4
	v_cmp_u_f32_e64 s4, v4, v4
	v_add3_u32 v5, v5, v4, 0x7fff
	v_cndmask_b32_e64 v4, v5, v10, s4
	v_lshrrev_b32_e32 v91, 16, v4
	s_and_saveexec_b32 s13, vcc_lo
	s_cbranch_execz .LBB397_2491
; %bb.2490:                             ;   in Loop: Header=BB397_1567 Depth=1
	v_cmp_lt_i32_e64 s4, v89, v107
	v_cndmask_b32_e64 v90, 0, v90, s4
	v_cmp_lt_i32_e64 s4, v110, v107
	v_cndmask_b32_e64 v88, 0, v88, s4
	;; [unrolled: 2-line block ×8, first 2 shown]
.LBB397_2491:                           ;   in Loop: Header=BB397_1567 Depth=1
	s_or_b32 exec_lo, exec_lo, s13
	flat_load_dwordx2 v[19:20], v[17:18] offset:1536
	v_mov_b32_e32 v5, 0
	v_mov_b32_e32 v4, 0
	s_waitcnt vmcnt(0) lgkmcnt(0)
	v_cmp_ne_u16_sdwa s4, v19, v11 src0_sel:BYTE_0 src1_sel:DWORD
	s_and_saveexec_b32 s13, s4
	s_cbranch_execz .LBB397_2499
; %bb.2492:                             ;   in Loop: Header=BB397_1567 Depth=1
	v_cmp_ne_u16_sdwa s4, v19, v84 src0_sel:BYTE_0 src1_sel:DWORD
	v_bfrev_b32_e32 v4, 1
	s_and_saveexec_b32 s15, s4
	s_cbranch_execz .LBB397_2498
; %bb.2493:                             ;   in Loop: Header=BB397_1567 Depth=1
	v_and_b32_e32 v10, 0x7f, v19
	v_mov_b32_e32 v4, 0x7f800001
	s_mov_b32 s18, exec_lo
	v_cmpx_ne_u32_e32 0x7f, v10
	s_cbranch_execz .LBB397_2497
; %bb.2494:                             ;   in Loop: Header=BB397_1567 Depth=1
	v_mov_b32_e32 v24, v20
	v_lshrrev_b32_e32 v4, 3, v10
	v_mov_b32_e32 v23, v19
	s_mov_b32 s20, exec_lo
	v_cmpx_gt_u32_e32 8, v10
; %bb.2495:                             ;   in Loop: Header=BB397_1567 Depth=1
	v_and_b32_e32 v4, 7, v19
	v_ffbh_u32_e32 v4, v4
	v_min_u32_e32 v4, 32, v4
	v_subrev_nc_u32_e32 v10, 28, v4
	v_sub_nc_u32_e32 v4, 29, v4
	v_lshlrev_b64 v[23:24], v10, v[19:20]
; %bb.2496:                             ;   in Loop: Header=BB397_1567 Depth=1
	s_or_b32 exec_lo, exec_lo, s20
	v_lshlrev_b32_e32 v10, 20, v23
	v_lshlrev_b32_e32 v12, 24, v19
	v_lshl_add_u32 v4, v4, 23, 0x3c000000
	v_and_b32_e32 v10, 0x700000, v10
	v_and_b32_e32 v12, 0x80000000, v12
	v_or3_b32 v4, v10, v12, v4
.LBB397_2497:                           ;   in Loop: Header=BB397_1567 Depth=1
	s_or_b32 exec_lo, exec_lo, s18
.LBB397_2498:                           ;   in Loop: Header=BB397_1567 Depth=1
	s_or_b32 exec_lo, exec_lo, s15
.LBB397_2499:                           ;   in Loop: Header=BB397_1567 Depth=1
	s_or_b32 exec_lo, exec_lo, s13
	v_cmp_ne_u16_sdwa s4, v19, v11 src0_sel:BYTE_1 src1_sel:DWORD
	s_and_saveexec_b32 s13, s4
	s_cbranch_execz .LBB397_2507
; %bb.2500:                             ;   in Loop: Header=BB397_1567 Depth=1
	v_cmp_ne_u16_sdwa s4, v19, v84 src0_sel:BYTE_1 src1_sel:DWORD
	v_bfrev_b32_e32 v5, 1
	s_and_saveexec_b32 s15, s4
	s_cbranch_execz .LBB397_2506
; %bb.2501:                             ;   in Loop: Header=BB397_1567 Depth=1
	v_mov_b32_e32 v5, 0xffff
	s_mov_b32 s18, exec_lo
	v_and_b32_sdwa v10, v5, v19 dst_sel:DWORD dst_unused:UNUSED_PAD src0_sel:DWORD src1_sel:BYTE_1
	v_mov_b32_e32 v5, 0x7f800001
	v_and_b32_e32 v12, 0x7f, v10
	v_cmpx_ne_u32_e32 0x7f, v12
	s_cbranch_execz .LBB397_2505
; %bb.2502:                             ;   in Loop: Header=BB397_1567 Depth=1
	v_and_b32_e32 v10, 7, v10
	v_mov_b32_e32 v24, v11
	v_lshrrev_b32_e32 v5, 3, v12
	s_mov_b32 s20, exec_lo
	v_mov_b32_e32 v23, v10
	v_cmpx_gt_u32_e32 8, v12
; %bb.2503:                             ;   in Loop: Header=BB397_1567 Depth=1
	v_ffbh_u32_e32 v5, v10
	v_min_u32_e32 v5, 32, v5
	v_subrev_nc_u32_e32 v12, 28, v5
	v_sub_nc_u32_e32 v5, 29, v5
	v_lshlrev_b64 v[12:13], v12, v[10:11]
	v_and_b32_e32 v23, 7, v12
; %bb.2504:                             ;   in Loop: Header=BB397_1567 Depth=1
	s_or_b32 exec_lo, exec_lo, s20
	v_lshlrev_b32_e32 v10, 16, v19
	v_lshlrev_b32_e32 v12, 20, v23
	v_lshl_add_u32 v5, v5, 23, 0x3c000000
	v_and_b32_e32 v10, 0x80000000, v10
	v_or3_b32 v5, v12, v10, v5
.LBB397_2505:                           ;   in Loop: Header=BB397_1567 Depth=1
	s_or_b32 exec_lo, exec_lo, s18
.LBB397_2506:                           ;   in Loop: Header=BB397_1567 Depth=1
	s_or_b32 exec_lo, exec_lo, s15
.LBB397_2507:                           ;   in Loop: Header=BB397_1567 Depth=1
	s_or_b32 exec_lo, exec_lo, s13
	v_and_b32_sdwa v10, v19, v86 dst_sel:DWORD dst_unused:UNUSED_PAD src0_sel:WORD_1 src1_sel:DWORD
	v_mov_b32_e32 v13, 0
	v_mov_b32_e32 v12, 0
	s_mov_b32 s13, exec_lo
	v_cmpx_ne_u16_e32 0, v10
	s_cbranch_execz .LBB397_2515
; %bb.2508:                             ;   in Loop: Header=BB397_1567 Depth=1
	v_bfrev_b32_e32 v12, 1
	s_mov_b32 s15, exec_lo
	v_cmpx_ne_u16_e32 0x80, v10
	s_cbranch_execz .LBB397_2514
; %bb.2509:                             ;   in Loop: Header=BB397_1567 Depth=1
	v_bfe_u32 v16, v19, 16, 7
	v_mov_b32_e32 v12, 0x7f800001
	s_mov_b32 s18, exec_lo
	v_cmpx_ne_u32_e32 0x7f, v16
	s_cbranch_execz .LBB397_2513
; %bb.2510:                             ;   in Loop: Header=BB397_1567 Depth=1
	v_mov_b32_e32 v10, 7
	v_lshrrev_b32_e32 v12, 3, v16
	s_mov_b32 s20, exec_lo
	v_and_b32_sdwa v10, v19, v10 dst_sel:DWORD dst_unused:UNUSED_PAD src0_sel:WORD_1 src1_sel:DWORD
	v_mov_b32_e32 v24, v11
	v_mov_b32_e32 v23, v10
	v_cmpx_gt_u32_e32 8, v16
; %bb.2511:                             ;   in Loop: Header=BB397_1567 Depth=1
	v_ffbh_u32_e32 v12, v10
	v_min_u32_e32 v12, 32, v12
	v_subrev_nc_u32_e32 v16, 28, v12
	v_sub_nc_u32_e32 v12, 29, v12
	v_lshlrev_b64 v[21:22], v16, v[10:11]
	v_and_b32_e32 v23, 7, v21
; %bb.2512:                             ;   in Loop: Header=BB397_1567 Depth=1
	s_or_b32 exec_lo, exec_lo, s20
	v_mov_b32_e32 v10, 24
	v_lshlrev_b32_e32 v16, 20, v23
	v_lshl_add_u32 v12, v12, 23, 0x3c000000
	v_lshlrev_b32_sdwa v10, v10, v19 dst_sel:DWORD dst_unused:UNUSED_PAD src0_sel:DWORD src1_sel:WORD_1
	v_and_b32_e32 v10, 0x80000000, v10
	v_or3_b32 v12, v16, v10, v12
.LBB397_2513:                           ;   in Loop: Header=BB397_1567 Depth=1
	s_or_b32 exec_lo, exec_lo, s18
.LBB397_2514:                           ;   in Loop: Header=BB397_1567 Depth=1
	s_or_b32 exec_lo, exec_lo, s15
.LBB397_2515:                           ;   in Loop: Header=BB397_1567 Depth=1
	s_or_b32 exec_lo, exec_lo, s13
	s_mov_b32 s13, exec_lo
	v_cmpx_lt_u32_e32 0xffffff, v19
	s_cbranch_execz .LBB397_2523
; %bb.2516:                             ;   in Loop: Header=BB397_1567 Depth=1
	v_cmp_ne_u32_sdwa s4, v19, v84 src0_sel:BYTE_3 src1_sel:DWORD
	v_bfrev_b32_e32 v13, 1
	s_and_saveexec_b32 s15, s4
	s_cbranch_execz .LBB397_2522
; %bb.2517:                             ;   in Loop: Header=BB397_1567 Depth=1
	v_bfe_u32 v16, v19, 24, 7
	v_mov_b32_e32 v13, 0x7f800001
	s_mov_b32 s18, exec_lo
	v_cmpx_ne_u32_e32 0x7f, v16
	s_cbranch_execz .LBB397_2521
; %bb.2518:                             ;   in Loop: Header=BB397_1567 Depth=1
	v_mov_b32_e32 v10, 7
	v_lshrrev_b32_e32 v13, 3, v16
	s_mov_b32 s20, exec_lo
	v_and_b32_sdwa v10, v19, v10 dst_sel:DWORD dst_unused:UNUSED_PAD src0_sel:BYTE_3 src1_sel:DWORD
	v_mov_b32_e32 v24, v11
	v_mov_b32_e32 v23, v10
	v_cmpx_gt_u32_e32 8, v16
; %bb.2519:                             ;   in Loop: Header=BB397_1567 Depth=1
	v_ffbh_u32_e32 v13, v10
	v_min_u32_e32 v13, 32, v13
	v_subrev_nc_u32_e32 v16, 28, v13
	v_sub_nc_u32_e32 v13, 29, v13
	v_lshlrev_b64 v[21:22], v16, v[10:11]
	v_and_b32_e32 v23, 7, v21
; %bb.2520:                             ;   in Loop: Header=BB397_1567 Depth=1
	s_or_b32 exec_lo, exec_lo, s20
	v_mov_b32_e32 v10, 24
	v_lshlrev_b32_e32 v16, 20, v23
	v_lshl_add_u32 v13, v13, 23, 0x3c000000
	v_lshlrev_b32_sdwa v10, v10, v19 dst_sel:DWORD dst_unused:UNUSED_PAD src0_sel:DWORD src1_sel:BYTE_3
	v_and_b32_e32 v10, 0x80000000, v10
	v_or3_b32 v13, v16, v10, v13
.LBB397_2521:                           ;   in Loop: Header=BB397_1567 Depth=1
	s_or_b32 exec_lo, exec_lo, s18
.LBB397_2522:                           ;   in Loop: Header=BB397_1567 Depth=1
	s_or_b32 exec_lo, exec_lo, s15
.LBB397_2523:                           ;   in Loop: Header=BB397_1567 Depth=1
	s_or_b32 exec_lo, exec_lo, s13
	v_mov_b32_e32 v10, v20
	v_cmp_ne_u16_sdwa s4, v20, v11 src0_sel:BYTE_0 src1_sel:DWORD
	v_mov_b32_e32 v25, 0
	v_mov_b32_e32 v22, 0
	s_and_saveexec_b32 s13, s4
	s_cbranch_execz .LBB397_2531
; %bb.2524:                             ;   in Loop: Header=BB397_1567 Depth=1
	v_cmp_ne_u16_sdwa s4, v20, v84 src0_sel:BYTE_0 src1_sel:DWORD
	v_bfrev_b32_e32 v22, 1
	s_and_saveexec_b32 s15, s4
	s_cbranch_execz .LBB397_2530
; %bb.2525:                             ;   in Loop: Header=BB397_1567 Depth=1
	v_and_b32_e32 v21, 0x7f, v20
	v_mov_b32_e32 v22, 0x7f800001
	s_mov_b32 s18, exec_lo
	v_cmpx_ne_u32_e32 0x7f, v21
	s_cbranch_execz .LBB397_2529
; %bb.2526:                             ;   in Loop: Header=BB397_1567 Depth=1
	v_mov_b32_e32 v24, v11
	v_lshrrev_b32_e32 v16, 3, v21
	v_mov_b32_e32 v23, v10
	s_mov_b32 s20, exec_lo
	v_cmpx_gt_u32_e32 8, v21
; %bb.2527:                             ;   in Loop: Header=BB397_1567 Depth=1
	v_and_b32_e32 v16, 7, v20
	v_ffbh_u32_e32 v16, v16
	v_min_u32_e32 v16, 32, v16
	v_subrev_nc_u32_e32 v21, 28, v16
	v_sub_nc_u32_e32 v16, 29, v16
	v_lshlrev_b64 v[23:24], v21, v[10:11]
; %bb.2528:                             ;   in Loop: Header=BB397_1567 Depth=1
	s_or_b32 exec_lo, exec_lo, s20
	v_lshlrev_b32_e32 v21, 20, v23
	v_lshlrev_b32_e32 v22, 24, v10
	v_lshl_add_u32 v16, v16, 23, 0x3c000000
	v_and_b32_e32 v21, 0x700000, v21
	v_and_b32_e32 v22, 0x80000000, v22
	v_or3_b32 v22, v21, v22, v16
.LBB397_2529:                           ;   in Loop: Header=BB397_1567 Depth=1
	s_or_b32 exec_lo, exec_lo, s18
.LBB397_2530:                           ;   in Loop: Header=BB397_1567 Depth=1
	s_or_b32 exec_lo, exec_lo, s15
.LBB397_2531:                           ;   in Loop: Header=BB397_1567 Depth=1
	s_or_b32 exec_lo, exec_lo, s13
	v_cmp_ne_u16_sdwa s4, v10, v11 src0_sel:BYTE_1 src1_sel:DWORD
	s_and_saveexec_b32 s13, s4
	s_cbranch_execz .LBB397_2539
; %bb.2532:                             ;   in Loop: Header=BB397_1567 Depth=1
	v_cmp_ne_u16_sdwa s4, v10, v84 src0_sel:BYTE_1 src1_sel:DWORD
	v_bfrev_b32_e32 v25, 1
	s_and_saveexec_b32 s15, s4
	s_cbranch_execz .LBB397_2538
; %bb.2533:                             ;   in Loop: Header=BB397_1567 Depth=1
	v_mov_b32_e32 v16, 0xffff
	v_mov_b32_e32 v25, 0x7f800001
	s_mov_b32 s18, exec_lo
	v_and_b32_sdwa v16, v16, v10 dst_sel:DWORD dst_unused:UNUSED_PAD src0_sel:DWORD src1_sel:BYTE_1
	v_and_b32_e32 v21, 0x7f, v16
	v_cmpx_ne_u32_e32 0x7f, v21
	s_cbranch_execz .LBB397_2537
; %bb.2534:                             ;   in Loop: Header=BB397_1567 Depth=1
	v_and_b32_e32 v23, 7, v16
	v_mov_b32_e32 v24, v11
	v_lshrrev_b32_e32 v16, 3, v21
	s_mov_b32 s20, exec_lo
	v_cmpx_gt_u32_e32 8, v21
; %bb.2535:                             ;   in Loop: Header=BB397_1567 Depth=1
	v_ffbh_u32_e32 v16, v23
	v_min_u32_e32 v16, 32, v16
	v_subrev_nc_u32_e32 v21, 28, v16
	v_sub_nc_u32_e32 v16, 29, v16
	v_lshlrev_b64 v[23:24], v21, v[23:24]
	v_and_b32_e32 v23, 7, v23
; %bb.2536:                             ;   in Loop: Header=BB397_1567 Depth=1
	s_or_b32 exec_lo, exec_lo, s20
	v_lshlrev_b32_e32 v10, 16, v10
	v_lshlrev_b32_e32 v21, 20, v23
	v_lshl_add_u32 v16, v16, 23, 0x3c000000
	v_and_b32_e32 v10, 0x80000000, v10
	v_or3_b32 v25, v21, v10, v16
.LBB397_2537:                           ;   in Loop: Header=BB397_1567 Depth=1
	s_or_b32 exec_lo, exec_lo, s18
.LBB397_2538:                           ;   in Loop: Header=BB397_1567 Depth=1
	s_or_b32 exec_lo, exec_lo, s15
.LBB397_2539:                           ;   in Loop: Header=BB397_1567 Depth=1
	s_or_b32 exec_lo, exec_lo, s13
	v_and_b32_sdwa v10, v20, v86 dst_sel:DWORD dst_unused:UNUSED_PAD src0_sel:WORD_1 src1_sel:DWORD
	v_mov_b32_e32 v16, 0
	v_mov_b32_e32 v21, 0
	s_mov_b32 s13, exec_lo
	v_cmpx_ne_u16_e32 0, v10
	s_cbranch_execz .LBB397_2547
; %bb.2540:                             ;   in Loop: Header=BB397_1567 Depth=1
	v_bfrev_b32_e32 v21, 1
	s_mov_b32 s15, exec_lo
	v_cmpx_ne_u16_e32 0x80, v10
	s_cbranch_execz .LBB397_2546
; %bb.2541:                             ;   in Loop: Header=BB397_1567 Depth=1
	v_bfe_u32 v23, v20, 16, 7
	v_mov_b32_e32 v21, 0x7f800001
	s_mov_b32 s18, exec_lo
	v_cmpx_ne_u32_e32 0x7f, v23
	s_cbranch_execz .LBB397_2545
; %bb.2542:                             ;   in Loop: Header=BB397_1567 Depth=1
	v_mov_b32_e32 v10, 7
	v_lshrrev_b32_e32 v21, 3, v23
	v_cmp_gt_u32_e64 s4, 8, v23
	v_and_b32_sdwa v10, v20, v10 dst_sel:DWORD dst_unused:UNUSED_PAD src0_sel:WORD_1 src1_sel:DWORD
	v_mov_b32_e32 v24, v11
	v_mov_b32_e32 v23, v10
	s_and_saveexec_b32 s20, s4
; %bb.2543:                             ;   in Loop: Header=BB397_1567 Depth=1
	v_ffbh_u32_e32 v21, v10
	v_min_u32_e32 v21, 32, v21
	v_subrev_nc_u32_e32 v23, 28, v21
	v_sub_nc_u32_e32 v21, 29, v21
	v_lshlrev_b64 v[23:24], v23, v[10:11]
	v_and_b32_e32 v23, 7, v23
; %bb.2544:                             ;   in Loop: Header=BB397_1567 Depth=1
	s_or_b32 exec_lo, exec_lo, s20
	v_mov_b32_e32 v10, 24
	v_lshlrev_b32_e32 v23, 20, v23
	v_lshl_add_u32 v21, v21, 23, 0x3c000000
	v_lshlrev_b32_sdwa v10, v10, v20 dst_sel:DWORD dst_unused:UNUSED_PAD src0_sel:DWORD src1_sel:WORD_1
	v_and_b32_e32 v10, 0x80000000, v10
	v_or3_b32 v21, v23, v10, v21
.LBB397_2545:                           ;   in Loop: Header=BB397_1567 Depth=1
	s_or_b32 exec_lo, exec_lo, s18
.LBB397_2546:                           ;   in Loop: Header=BB397_1567 Depth=1
	s_or_b32 exec_lo, exec_lo, s15
.LBB397_2547:                           ;   in Loop: Header=BB397_1567 Depth=1
	s_or_b32 exec_lo, exec_lo, s13
	s_mov_b32 s13, exec_lo
	v_cmpx_lt_u64_e64 s[8:9], v[19:20]
	s_cbranch_execz .LBB397_2555
; %bb.2548:                             ;   in Loop: Header=BB397_1567 Depth=1
	v_cmp_ne_u32_sdwa s4, v20, v84 src0_sel:BYTE_3 src1_sel:DWORD
	v_bfrev_b32_e32 v16, 1
	s_and_saveexec_b32 s15, s4
	s_cbranch_execz .LBB397_2554
; %bb.2549:                             ;   in Loop: Header=BB397_1567 Depth=1
	v_bfe_u32 v19, v20, 24, 7
	v_mov_b32_e32 v16, 0x7f800001
	s_mov_b32 s18, exec_lo
	v_cmpx_ne_u32_e32 0x7f, v19
	s_cbranch_execz .LBB397_2553
; %bb.2550:                             ;   in Loop: Header=BB397_1567 Depth=1
	v_mov_b32_e32 v10, 7
	v_lshrrev_b32_e32 v16, 3, v19
	s_mov_b32 s20, exec_lo
	v_and_b32_sdwa v10, v20, v10 dst_sel:DWORD dst_unused:UNUSED_PAD src0_sel:BYTE_3 src1_sel:DWORD
	v_mov_b32_e32 v24, v11
	v_mov_b32_e32 v23, v10
	v_cmpx_gt_u32_e32 8, v19
; %bb.2551:                             ;   in Loop: Header=BB397_1567 Depth=1
	v_ffbh_u32_e32 v16, v10
	v_min_u32_e32 v16, 32, v16
	v_subrev_nc_u32_e32 v19, 28, v16
	v_sub_nc_u32_e32 v16, 29, v16
	v_lshlrev_b64 v[23:24], v19, v[10:11]
	v_and_b32_e32 v23, 7, v23
; %bb.2552:                             ;   in Loop: Header=BB397_1567 Depth=1
	s_or_b32 exec_lo, exec_lo, s20
	v_mov_b32_e32 v10, 24
	v_lshlrev_b32_e32 v19, 20, v23
	v_lshl_add_u32 v16, v16, 23, 0x3c000000
	v_lshlrev_b32_sdwa v10, v10, v20 dst_sel:DWORD dst_unused:UNUSED_PAD src0_sel:DWORD src1_sel:BYTE_3
	v_and_b32_e32 v10, 0x80000000, v10
	v_or3_b32 v16, v19, v10, v16
.LBB397_2553:                           ;   in Loop: Header=BB397_1567 Depth=1
	s_or_b32 exec_lo, exec_lo, s18
.LBB397_2554:                           ;   in Loop: Header=BB397_1567 Depth=1
	s_or_b32 exec_lo, exec_lo, s15
.LBB397_2555:                           ;   in Loop: Header=BB397_1567 Depth=1
	s_or_b32 exec_lo, exec_lo, s13
	v_mul_f32_e32 v10, v26, v25
	v_mul_f32_e32 v5, v26, v5
	v_mul_f32_e32 v4, v26, v4
	v_bfe_u32 v19, v10, 16, 1
	v_or_b32_e32 v20, 0x400000, v10
	v_cmp_u_f32_e64 s4, v10, v10
	v_add3_u32 v19, v19, v10, 0x7fff
	v_cndmask_b32_e64 v10, v19, v20, s4
	v_lshrrev_b32_e32 v23, 16, v10
	v_mul_f32_e32 v10, v26, v22
	v_bfe_u32 v19, v10, 16, 1
	v_or_b32_e32 v20, 0x400000, v10
	v_cmp_u_f32_e64 s4, v10, v10
	v_add3_u32 v19, v19, v10, 0x7fff
	v_cndmask_b32_e64 v10, v19, v20, s4
	v_lshrrev_b32_e32 v24, 16, v10
	v_mul_f32_e32 v10, v26, v13
	;; [unrolled: 7-line block ×3, first 2 shown]
	v_bfe_u32 v12, v10, 16, 1
	v_or_b32_e32 v13, 0x400000, v10
	v_cmp_u_f32_e64 s4, v10, v10
	v_add3_u32 v12, v12, v10, 0x7fff
	v_cndmask_b32_e64 v10, v12, v13, s4
	v_or_b32_e32 v12, 0x400000, v5
	v_cmp_u_f32_e64 s4, v5, v5
	v_lshrrev_b32_e32 v95, 16, v10
	v_bfe_u32 v10, v5, 16, 1
	v_add3_u32 v10, v10, v5, 0x7fff
	v_cndmask_b32_e64 v5, v10, v12, s4
	v_or_b32_e32 v10, 0x400000, v4
	v_cmp_u_f32_e64 s4, v4, v4
	v_lshrrev_b32_e32 v120, 16, v5
	v_bfe_u32 v5, v4, 16, 1
	v_add3_u32 v5, v5, v4, 0x7fff
	v_cndmask_b32_e64 v4, v5, v10, s4
	v_lshrrev_b32_e32 v111, 16, v4
	v_mul_f32_e32 v4, v26, v21
	v_bfe_u32 v5, v4, 16, 1
	v_or_b32_e32 v10, 0x400000, v4
	v_cmp_u_f32_e64 s4, v4, v4
	v_add3_u32 v5, v5, v4, 0x7fff
	v_cndmask_b32_e64 v4, v5, v10, s4
	v_lshrrev_b32_e32 v109, 16, v4
	v_mul_f32_e32 v4, v26, v16
	v_bfe_u32 v5, v4, 16, 1
	v_or_b32_e32 v10, 0x400000, v4
	v_cmp_u_f32_e64 s4, v4, v4
	v_add3_u32 v5, v5, v4, 0x7fff
	v_cndmask_b32_e64 v4, v5, v10, s4
	v_lshrrev_b32_e32 v121, 16, v4
	s_and_saveexec_b32 s13, vcc_lo
	s_cbranch_execz .LBB397_2557
; %bb.2556:                             ;   in Loop: Header=BB397_1567 Depth=1
	v_cmp_lt_i32_e64 s4, v89, v107
	v_cndmask_b32_e64 v111, 0, v111, s4
	v_cmp_lt_i32_e64 s4, v110, v107
	v_cndmask_b32_e64 v120, 0, v120, s4
	;; [unrolled: 2-line block ×8, first 2 shown]
.LBB397_2557:                           ;   in Loop: Header=BB397_1567 Depth=1
	s_or_b32 exec_lo, exec_lo, s13
	flat_load_dwordx2 v[17:18], v[17:18] offset:1792
	v_mov_b32_e32 v5, 0
	v_mov_b32_e32 v4, 0
	s_waitcnt vmcnt(0) lgkmcnt(0)
	v_cmp_ne_u16_sdwa s4, v17, v11 src0_sel:BYTE_0 src1_sel:DWORD
	s_and_saveexec_b32 s13, s4
	s_cbranch_execz .LBB397_2565
; %bb.2558:                             ;   in Loop: Header=BB397_1567 Depth=1
	v_cmp_ne_u16_sdwa s4, v17, v84 src0_sel:BYTE_0 src1_sel:DWORD
	v_bfrev_b32_e32 v4, 1
	s_and_saveexec_b32 s15, s4
	s_cbranch_execz .LBB397_2564
; %bb.2559:                             ;   in Loop: Header=BB397_1567 Depth=1
	v_and_b32_e32 v10, 0x7f, v17
	v_mov_b32_e32 v4, 0x7f800001
	s_mov_b32 s18, exec_lo
	v_cmpx_ne_u32_e32 0x7f, v10
	s_cbranch_execz .LBB397_2563
; %bb.2560:                             ;   in Loop: Header=BB397_1567 Depth=1
	v_mov_b32_e32 v20, v18
	v_lshrrev_b32_e32 v4, 3, v10
	v_mov_b32_e32 v19, v17
	s_mov_b32 s20, exec_lo
	v_cmpx_gt_u32_e32 8, v10
; %bb.2561:                             ;   in Loop: Header=BB397_1567 Depth=1
	v_and_b32_e32 v4, 7, v17
	v_ffbh_u32_e32 v4, v4
	v_min_u32_e32 v4, 32, v4
	v_subrev_nc_u32_e32 v10, 28, v4
	v_sub_nc_u32_e32 v4, 29, v4
	v_lshlrev_b64 v[19:20], v10, v[17:18]
; %bb.2562:                             ;   in Loop: Header=BB397_1567 Depth=1
	s_or_b32 exec_lo, exec_lo, s20
	v_lshlrev_b32_e32 v10, 20, v19
	v_lshlrev_b32_e32 v12, 24, v17
	v_lshl_add_u32 v4, v4, 23, 0x3c000000
	v_and_b32_e32 v10, 0x700000, v10
	v_and_b32_e32 v12, 0x80000000, v12
	v_or3_b32 v4, v10, v12, v4
.LBB397_2563:                           ;   in Loop: Header=BB397_1567 Depth=1
	s_or_b32 exec_lo, exec_lo, s18
.LBB397_2564:                           ;   in Loop: Header=BB397_1567 Depth=1
	s_or_b32 exec_lo, exec_lo, s15
.LBB397_2565:                           ;   in Loop: Header=BB397_1567 Depth=1
	s_or_b32 exec_lo, exec_lo, s13
	v_cmp_ne_u16_sdwa s4, v17, v11 src0_sel:BYTE_1 src1_sel:DWORD
	s_and_saveexec_b32 s13, s4
	s_cbranch_execz .LBB397_2573
; %bb.2566:                             ;   in Loop: Header=BB397_1567 Depth=1
	v_cmp_ne_u16_sdwa s4, v17, v84 src0_sel:BYTE_1 src1_sel:DWORD
	v_bfrev_b32_e32 v5, 1
	s_and_saveexec_b32 s15, s4
	s_cbranch_execz .LBB397_2572
; %bb.2567:                             ;   in Loop: Header=BB397_1567 Depth=1
	v_mov_b32_e32 v5, 0xffff
	s_mov_b32 s18, exec_lo
	v_and_b32_sdwa v10, v5, v17 dst_sel:DWORD dst_unused:UNUSED_PAD src0_sel:DWORD src1_sel:BYTE_1
	v_mov_b32_e32 v5, 0x7f800001
	v_and_b32_e32 v12, 0x7f, v10
	v_cmpx_ne_u32_e32 0x7f, v12
	s_cbranch_execz .LBB397_2571
; %bb.2568:                             ;   in Loop: Header=BB397_1567 Depth=1
	v_and_b32_e32 v10, 7, v10
	v_mov_b32_e32 v20, v11
	v_lshrrev_b32_e32 v5, 3, v12
	s_mov_b32 s20, exec_lo
	v_mov_b32_e32 v19, v10
	v_cmpx_gt_u32_e32 8, v12
; %bb.2569:                             ;   in Loop: Header=BB397_1567 Depth=1
	v_ffbh_u32_e32 v5, v10
	v_min_u32_e32 v5, 32, v5
	v_subrev_nc_u32_e32 v12, 28, v5
	v_sub_nc_u32_e32 v5, 29, v5
	v_lshlrev_b64 v[12:13], v12, v[10:11]
	v_and_b32_e32 v19, 7, v12
; %bb.2570:                             ;   in Loop: Header=BB397_1567 Depth=1
	s_or_b32 exec_lo, exec_lo, s20
	v_lshlrev_b32_e32 v10, 16, v17
	v_lshlrev_b32_e32 v12, 20, v19
	v_lshl_add_u32 v5, v5, 23, 0x3c000000
	v_and_b32_e32 v10, 0x80000000, v10
	v_or3_b32 v5, v12, v10, v5
.LBB397_2571:                           ;   in Loop: Header=BB397_1567 Depth=1
	s_or_b32 exec_lo, exec_lo, s18
.LBB397_2572:                           ;   in Loop: Header=BB397_1567 Depth=1
	s_or_b32 exec_lo, exec_lo, s15
.LBB397_2573:                           ;   in Loop: Header=BB397_1567 Depth=1
	s_or_b32 exec_lo, exec_lo, s13
	v_and_b32_sdwa v10, v17, v86 dst_sel:DWORD dst_unused:UNUSED_PAD src0_sel:WORD_1 src1_sel:DWORD
	v_mov_b32_e32 v13, 0
	v_mov_b32_e32 v12, 0
	s_mov_b32 s13, exec_lo
	v_cmpx_ne_u16_e32 0, v10
	s_cbranch_execz .LBB397_2581
; %bb.2574:                             ;   in Loop: Header=BB397_1567 Depth=1
	v_bfrev_b32_e32 v12, 1
	s_mov_b32 s15, exec_lo
	v_cmpx_ne_u16_e32 0x80, v10
	s_cbranch_execz .LBB397_2580
; %bb.2575:                             ;   in Loop: Header=BB397_1567 Depth=1
	v_bfe_u32 v16, v17, 16, 7
	v_mov_b32_e32 v12, 0x7f800001
	s_mov_b32 s18, exec_lo
	v_cmpx_ne_u32_e32 0x7f, v16
	s_cbranch_execz .LBB397_2579
; %bb.2576:                             ;   in Loop: Header=BB397_1567 Depth=1
	v_mov_b32_e32 v10, 7
	v_lshrrev_b32_e32 v12, 3, v16
	s_mov_b32 s20, exec_lo
	v_and_b32_sdwa v10, v17, v10 dst_sel:DWORD dst_unused:UNUSED_PAD src0_sel:WORD_1 src1_sel:DWORD
	v_mov_b32_e32 v20, v11
	v_mov_b32_e32 v19, v10
	v_cmpx_gt_u32_e32 8, v16
; %bb.2577:                             ;   in Loop: Header=BB397_1567 Depth=1
	v_ffbh_u32_e32 v12, v10
	v_min_u32_e32 v12, 32, v12
	v_subrev_nc_u32_e32 v16, 28, v12
	v_sub_nc_u32_e32 v12, 29, v12
	v_lshlrev_b64 v[19:20], v16, v[10:11]
	v_and_b32_e32 v19, 7, v19
; %bb.2578:                             ;   in Loop: Header=BB397_1567 Depth=1
	s_or_b32 exec_lo, exec_lo, s20
	v_mov_b32_e32 v10, 24
	v_lshlrev_b32_e32 v16, 20, v19
	v_lshl_add_u32 v12, v12, 23, 0x3c000000
	v_lshlrev_b32_sdwa v10, v10, v17 dst_sel:DWORD dst_unused:UNUSED_PAD src0_sel:DWORD src1_sel:WORD_1
	v_and_b32_e32 v10, 0x80000000, v10
	v_or3_b32 v12, v16, v10, v12
.LBB397_2579:                           ;   in Loop: Header=BB397_1567 Depth=1
	s_or_b32 exec_lo, exec_lo, s18
.LBB397_2580:                           ;   in Loop: Header=BB397_1567 Depth=1
	s_or_b32 exec_lo, exec_lo, s15
.LBB397_2581:                           ;   in Loop: Header=BB397_1567 Depth=1
	s_or_b32 exec_lo, exec_lo, s13
	s_mov_b32 s13, exec_lo
	v_cmpx_lt_u32_e32 0xffffff, v17
	s_cbranch_execz .LBB397_2589
; %bb.2582:                             ;   in Loop: Header=BB397_1567 Depth=1
	v_cmp_ne_u32_sdwa s4, v17, v84 src0_sel:BYTE_3 src1_sel:DWORD
	v_bfrev_b32_e32 v13, 1
	s_and_saveexec_b32 s15, s4
	s_cbranch_execz .LBB397_2588
; %bb.2583:                             ;   in Loop: Header=BB397_1567 Depth=1
	v_bfe_u32 v16, v17, 24, 7
	v_mov_b32_e32 v13, 0x7f800001
	s_mov_b32 s18, exec_lo
	v_cmpx_ne_u32_e32 0x7f, v16
	s_cbranch_execz .LBB397_2587
; %bb.2584:                             ;   in Loop: Header=BB397_1567 Depth=1
	v_mov_b32_e32 v10, 7
	v_lshrrev_b32_e32 v13, 3, v16
	s_mov_b32 s20, exec_lo
	v_and_b32_sdwa v10, v17, v10 dst_sel:DWORD dst_unused:UNUSED_PAD src0_sel:BYTE_3 src1_sel:DWORD
	v_mov_b32_e32 v20, v11
	v_mov_b32_e32 v19, v10
	v_cmpx_gt_u32_e32 8, v16
; %bb.2585:                             ;   in Loop: Header=BB397_1567 Depth=1
	v_ffbh_u32_e32 v13, v10
	v_min_u32_e32 v13, 32, v13
	v_subrev_nc_u32_e32 v16, 28, v13
	v_sub_nc_u32_e32 v13, 29, v13
	v_lshlrev_b64 v[19:20], v16, v[10:11]
	v_and_b32_e32 v19, 7, v19
; %bb.2586:                             ;   in Loop: Header=BB397_1567 Depth=1
	s_or_b32 exec_lo, exec_lo, s20
	v_mov_b32_e32 v10, 24
	v_lshlrev_b32_e32 v16, 20, v19
	v_lshl_add_u32 v13, v13, 23, 0x3c000000
	v_lshlrev_b32_sdwa v10, v10, v17 dst_sel:DWORD dst_unused:UNUSED_PAD src0_sel:DWORD src1_sel:BYTE_3
	v_and_b32_e32 v10, 0x80000000, v10
	v_or3_b32 v13, v16, v10, v13
.LBB397_2587:                           ;   in Loop: Header=BB397_1567 Depth=1
	s_or_b32 exec_lo, exec_lo, s18
.LBB397_2588:                           ;   in Loop: Header=BB397_1567 Depth=1
	s_or_b32 exec_lo, exec_lo, s15
.LBB397_2589:                           ;   in Loop: Header=BB397_1567 Depth=1
	s_or_b32 exec_lo, exec_lo, s13
	v_mov_b32_e32 v10, v18
	v_cmp_ne_u16_sdwa s4, v18, v11 src0_sel:BYTE_0 src1_sel:DWORD
	v_mov_b32_e32 v25, 0
	v_mov_b32_e32 v22, 0
	s_and_saveexec_b32 s13, s4
	s_cbranch_execz .LBB397_2597
; %bb.2590:                             ;   in Loop: Header=BB397_1567 Depth=1
	v_cmp_ne_u16_sdwa s4, v18, v84 src0_sel:BYTE_0 src1_sel:DWORD
	v_bfrev_b32_e32 v22, 1
	s_and_saveexec_b32 s15, s4
	s_cbranch_execz .LBB397_2596
; %bb.2591:                             ;   in Loop: Header=BB397_1567 Depth=1
	v_and_b32_e32 v21, 0x7f, v18
	v_mov_b32_e32 v22, 0x7f800001
	s_mov_b32 s18, exec_lo
	v_cmpx_ne_u32_e32 0x7f, v21
	s_cbranch_execz .LBB397_2595
; %bb.2592:                             ;   in Loop: Header=BB397_1567 Depth=1
	v_mov_b32_e32 v20, v11
	v_mov_b32_e32 v19, v10
	v_lshrrev_b32_e32 v16, 3, v21
	s_mov_b32 s20, exec_lo
	v_cmpx_gt_u32_e32 8, v21
; %bb.2593:                             ;   in Loop: Header=BB397_1567 Depth=1
	v_and_b32_e32 v16, 7, v18
	v_ffbh_u32_e32 v16, v16
	v_min_u32_e32 v16, 32, v16
	v_subrev_nc_u32_e32 v19, 28, v16
	v_sub_nc_u32_e32 v16, 29, v16
	v_lshlrev_b64 v[19:20], v19, v[10:11]
; %bb.2594:                             ;   in Loop: Header=BB397_1567 Depth=1
	s_or_b32 exec_lo, exec_lo, s20
	v_lshlrev_b32_e32 v19, 20, v19
	v_lshlrev_b32_e32 v20, 24, v10
	v_lshl_add_u32 v16, v16, 23, 0x3c000000
	v_and_b32_e32 v19, 0x700000, v19
	v_and_b32_e32 v20, 0x80000000, v20
	v_or3_b32 v22, v19, v20, v16
.LBB397_2595:                           ;   in Loop: Header=BB397_1567 Depth=1
	s_or_b32 exec_lo, exec_lo, s18
.LBB397_2596:                           ;   in Loop: Header=BB397_1567 Depth=1
	s_or_b32 exec_lo, exec_lo, s15
.LBB397_2597:                           ;   in Loop: Header=BB397_1567 Depth=1
	s_or_b32 exec_lo, exec_lo, s13
	v_cmp_ne_u16_sdwa s4, v10, v11 src0_sel:BYTE_1 src1_sel:DWORD
	s_and_saveexec_b32 s13, s4
	s_cbranch_execz .LBB397_2605
; %bb.2598:                             ;   in Loop: Header=BB397_1567 Depth=1
	v_cmp_ne_u16_sdwa s4, v10, v84 src0_sel:BYTE_1 src1_sel:DWORD
	v_bfrev_b32_e32 v25, 1
	s_and_saveexec_b32 s15, s4
	s_cbranch_execz .LBB397_2604
; %bb.2599:                             ;   in Loop: Header=BB397_1567 Depth=1
	v_mov_b32_e32 v16, 0xffff
	v_mov_b32_e32 v25, 0x7f800001
	s_mov_b32 s18, exec_lo
	v_and_b32_sdwa v16, v16, v10 dst_sel:DWORD dst_unused:UNUSED_PAD src0_sel:DWORD src1_sel:BYTE_1
	v_and_b32_e32 v21, 0x7f, v16
	v_cmpx_ne_u32_e32 0x7f, v21
	s_cbranch_execz .LBB397_2603
; %bb.2600:                             ;   in Loop: Header=BB397_1567 Depth=1
	v_and_b32_e32 v19, 7, v16
	v_mov_b32_e32 v20, v11
	v_lshrrev_b32_e32 v16, 3, v21
	s_mov_b32 s20, exec_lo
	v_cmpx_gt_u32_e32 8, v21
; %bb.2601:                             ;   in Loop: Header=BB397_1567 Depth=1
	v_ffbh_u32_e32 v16, v19
	v_min_u32_e32 v16, 32, v16
	v_subrev_nc_u32_e32 v21, 28, v16
	v_sub_nc_u32_e32 v16, 29, v16
	v_lshlrev_b64 v[19:20], v21, v[19:20]
	v_and_b32_e32 v19, 7, v19
; %bb.2602:                             ;   in Loop: Header=BB397_1567 Depth=1
	s_or_b32 exec_lo, exec_lo, s20
	v_lshlrev_b32_e32 v10, 16, v10
	v_lshlrev_b32_e32 v19, 20, v19
	v_lshl_add_u32 v16, v16, 23, 0x3c000000
	v_and_b32_e32 v10, 0x80000000, v10
	v_or3_b32 v25, v19, v10, v16
.LBB397_2603:                           ;   in Loop: Header=BB397_1567 Depth=1
	s_or_b32 exec_lo, exec_lo, s18
.LBB397_2604:                           ;   in Loop: Header=BB397_1567 Depth=1
	s_or_b32 exec_lo, exec_lo, s15
.LBB397_2605:                           ;   in Loop: Header=BB397_1567 Depth=1
	s_or_b32 exec_lo, exec_lo, s13
	v_and_b32_sdwa v10, v18, v86 dst_sel:DWORD dst_unused:UNUSED_PAD src0_sel:WORD_1 src1_sel:DWORD
	v_mov_b32_e32 v16, 0
	v_mov_b32_e32 v21, 0
	s_mov_b32 s13, exec_lo
	v_cmpx_ne_u16_e32 0, v10
	s_cbranch_execz .LBB397_2613
; %bb.2606:                             ;   in Loop: Header=BB397_1567 Depth=1
	v_bfrev_b32_e32 v21, 1
	s_mov_b32 s15, exec_lo
	v_cmpx_ne_u16_e32 0x80, v10
	s_cbranch_execz .LBB397_2612
; %bb.2607:                             ;   in Loop: Header=BB397_1567 Depth=1
	v_bfe_u32 v27, v18, 16, 7
	v_mov_b32_e32 v21, 0x7f800001
	s_mov_b32 s18, exec_lo
	v_cmpx_ne_u32_e32 0x7f, v27
	s_cbranch_execz .LBB397_2611
; %bb.2608:                             ;   in Loop: Header=BB397_1567 Depth=1
	v_mov_b32_e32 v10, 7
	s_mov_b32 s20, exec_lo
	v_and_b32_sdwa v10, v18, v10 dst_sel:DWORD dst_unused:UNUSED_PAD src0_sel:WORD_1 src1_sel:DWORD
	v_mov_b32_e32 v20, v11
	v_lshrrev_b32_e32 v20, 3, v27
	v_mov_b32_e32 v19, v10
	v_cmpx_gt_u32_e32 8, v27
; %bb.2609:                             ;   in Loop: Header=BB397_1567 Depth=1
	v_ffbh_u32_e32 v19, v10
	v_min_u32_e32 v21, 32, v19
	v_subrev_nc_u32_e32 v19, 28, v21
	v_lshlrev_b64 v[19:20], v19, v[10:11]
	v_sub_nc_u32_e32 v20, 29, v21
	v_and_b32_e32 v19, 7, v19
; %bb.2610:                             ;   in Loop: Header=BB397_1567 Depth=1
	s_or_b32 exec_lo, exec_lo, s20
	v_mov_b32_e32 v10, 24
	v_lshlrev_b32_e32 v19, 20, v19
	v_lshl_add_u32 v20, v20, 23, 0x3c000000
	v_lshlrev_b32_sdwa v10, v10, v18 dst_sel:DWORD dst_unused:UNUSED_PAD src0_sel:DWORD src1_sel:WORD_1
	v_and_b32_e32 v10, 0x80000000, v10
	v_or3_b32 v21, v19, v10, v20
.LBB397_2611:                           ;   in Loop: Header=BB397_1567 Depth=1
	s_or_b32 exec_lo, exec_lo, s18
.LBB397_2612:                           ;   in Loop: Header=BB397_1567 Depth=1
	s_or_b32 exec_lo, exec_lo, s15
.LBB397_2613:                           ;   in Loop: Header=BB397_1567 Depth=1
	s_or_b32 exec_lo, exec_lo, s13
	s_mov_b32 s13, exec_lo
	v_cmpx_lt_u64_e64 s[8:9], v[17:18]
	s_cbranch_execz .LBB397_2621
; %bb.2614:                             ;   in Loop: Header=BB397_1567 Depth=1
	v_cmp_ne_u32_sdwa s4, v18, v84 src0_sel:BYTE_3 src1_sel:DWORD
	v_bfrev_b32_e32 v16, 1
	s_and_saveexec_b32 s15, s4
	s_cbranch_execz .LBB397_2620
; %bb.2615:                             ;   in Loop: Header=BB397_1567 Depth=1
	v_bfe_u32 v17, v18, 24, 7
	v_mov_b32_e32 v16, 0x7f800001
	s_mov_b32 s18, exec_lo
	v_cmpx_ne_u32_e32 0x7f, v17
	s_cbranch_execz .LBB397_2619
; %bb.2616:                             ;   in Loop: Header=BB397_1567 Depth=1
	v_mov_b32_e32 v10, 7
	v_lshrrev_b32_e32 v16, 3, v17
	s_mov_b32 s20, exec_lo
	v_and_b32_sdwa v10, v18, v10 dst_sel:DWORD dst_unused:UNUSED_PAD src0_sel:BYTE_3 src1_sel:DWORD
	v_mov_b32_e32 v20, v11
	v_mov_b32_e32 v19, v10
	v_cmpx_gt_u32_e32 8, v17
; %bb.2617:                             ;   in Loop: Header=BB397_1567 Depth=1
	v_ffbh_u32_e32 v16, v10
	v_min_u32_e32 v16, 32, v16
	v_subrev_nc_u32_e32 v17, 28, v16
	v_sub_nc_u32_e32 v16, 29, v16
	v_lshlrev_b64 v[19:20], v17, v[10:11]
	v_and_b32_e32 v19, 7, v19
; %bb.2618:                             ;   in Loop: Header=BB397_1567 Depth=1
	s_or_b32 exec_lo, exec_lo, s20
	v_mov_b32_e32 v10, 24
	v_lshlrev_b32_e32 v17, 20, v19
	v_lshl_add_u32 v16, v16, 23, 0x3c000000
	v_lshlrev_b32_sdwa v10, v10, v18 dst_sel:DWORD dst_unused:UNUSED_PAD src0_sel:DWORD src1_sel:BYTE_3
	v_and_b32_e32 v10, 0x80000000, v10
	v_or3_b32 v16, v17, v10, v16
.LBB397_2619:                           ;   in Loop: Header=BB397_1567 Depth=1
	s_or_b32 exec_lo, exec_lo, s18
.LBB397_2620:                           ;   in Loop: Header=BB397_1567 Depth=1
	s_or_b32 exec_lo, exec_lo, s15
.LBB397_2621:                           ;   in Loop: Header=BB397_1567 Depth=1
	s_or_b32 exec_lo, exec_lo, s13
	v_mul_f32_e32 v10, v26, v25
	v_mul_f32_e32 v5, v26, v5
	;; [unrolled: 1-line block ×3, first 2 shown]
	v_bfe_u32 v17, v10, 16, 1
	v_or_b32_e32 v18, 0x400000, v10
	v_cmp_u_f32_e64 s4, v10, v10
	v_add3_u32 v17, v17, v10, 0x7fff
	v_cndmask_b32_e64 v10, v17, v18, s4
	v_lshrrev_b32_e32 v60, 16, v10
	v_mul_f32_e32 v10, v26, v22
	v_bfe_u32 v17, v10, 16, 1
	v_or_b32_e32 v18, 0x400000, v10
	v_cmp_u_f32_e64 s4, v10, v10
	v_add3_u32 v17, v17, v10, 0x7fff
	v_cndmask_b32_e64 v10, v17, v18, s4
	v_lshrrev_b32_e32 v122, 16, v10
	v_mul_f32_e32 v10, v26, v13
	v_bfe_u32 v13, v10, 16, 1
	v_or_b32_e32 v17, 0x400000, v10
	v_cmp_u_f32_e64 s4, v10, v10
	v_add3_u32 v13, v13, v10, 0x7fff
	v_cndmask_b32_e64 v10, v13, v17, s4
	v_lshrrev_b32_e32 v123, 16, v10
	v_mul_f32_e32 v10, v26, v12
	v_bfe_u32 v12, v10, 16, 1
	v_or_b32_e32 v13, 0x400000, v10
	v_cmp_u_f32_e64 s4, v10, v10
	v_add3_u32 v12, v12, v10, 0x7fff
	v_cndmask_b32_e64 v10, v12, v13, s4
	v_or_b32_e32 v12, 0x400000, v5
	v_cmp_u_f32_e64 s4, v5, v5
	v_lshrrev_b32_e32 v124, 16, v10
	v_bfe_u32 v10, v5, 16, 1
	v_add3_u32 v10, v10, v5, 0x7fff
	v_cndmask_b32_e64 v5, v10, v12, s4
	v_or_b32_e32 v10, 0x400000, v4
	v_cmp_u_f32_e64 s4, v4, v4
	v_lshrrev_b32_e32 v126, 16, v5
	v_bfe_u32 v5, v4, 16, 1
	v_add3_u32 v5, v5, v4, 0x7fff
	v_cndmask_b32_e64 v4, v5, v10, s4
	v_lshrrev_b32_e32 v127, 16, v4
	v_mul_f32_e32 v4, v26, v21
	v_bfe_u32 v5, v4, 16, 1
	v_or_b32_e32 v10, 0x400000, v4
	v_cmp_u_f32_e64 s4, v4, v4
	v_add3_u32 v5, v5, v4, 0x7fff
	v_cndmask_b32_e64 v4, v5, v10, s4
	v_lshrrev_b32_e32 v125, 16, v4
	v_mul_f32_e32 v4, v26, v16
	v_bfe_u32 v5, v4, 16, 1
	v_or_b32_e32 v10, 0x400000, v4
	v_cmp_u_f32_e64 s4, v4, v4
	v_add3_u32 v5, v5, v4, 0x7fff
	v_cndmask_b32_e64 v4, v5, v10, s4
	v_lshrrev_b32_e32 v22, 16, v4
	s_and_saveexec_b32 s13, vcc_lo
	s_cbranch_execz .LBB397_2623
; %bb.2622:                             ;   in Loop: Header=BB397_1567 Depth=1
	v_cmp_lt_i32_e64 s4, v89, v107
	v_cndmask_b32_e64 v127, 0, v127, s4
	v_cmp_lt_i32_e64 s4, v110, v107
	v_cndmask_b32_e64 v126, 0, v126, s4
	;; [unrolled: 2-line block ×8, first 2 shown]
.LBB397_2623:                           ;   in Loop: Header=BB397_1567 Depth=1
	s_or_b32 exec_lo, exec_lo, s13
	v_add_co_u32 v14, s4, 0x1000, v14
	v_add_co_ci_u32_e64 v15, null, 0, v15, s4
	v_mov_b32_e32 v13, 0
	v_mov_b32_e32 v12, 0
	flat_load_dwordx2 v[17:18], v[14:15]
	s_waitcnt vmcnt(0) lgkmcnt(0)
	v_cmp_ne_u16_sdwa s4, v17, v11 src0_sel:BYTE_0 src1_sel:DWORD
	s_and_saveexec_b32 s13, s4
	s_cbranch_execz .LBB397_2631
; %bb.2624:                             ;   in Loop: Header=BB397_1567 Depth=1
	v_cmp_ne_u16_sdwa s4, v17, v84 src0_sel:BYTE_0 src1_sel:DWORD
	v_bfrev_b32_e32 v12, 1
	s_and_saveexec_b32 s15, s4
	s_cbranch_execz .LBB397_2630
; %bb.2625:                             ;   in Loop: Header=BB397_1567 Depth=1
	v_and_b32_e32 v5, 0x7f, v17
	v_mov_b32_e32 v12, 0x7f800001
	s_mov_b32 s18, exec_lo
	v_cmpx_ne_u32_e32 0x7f, v5
	s_cbranch_execz .LBB397_2629
; %bb.2626:                             ;   in Loop: Header=BB397_1567 Depth=1
	v_mov_b32_e32 v20, v18
	v_lshrrev_b32_e32 v4, 3, v5
	v_mov_b32_e32 v19, v17
	s_mov_b32 s20, exec_lo
	v_cmpx_gt_u32_e32 8, v5
; %bb.2627:                             ;   in Loop: Header=BB397_1567 Depth=1
	v_and_b32_e32 v4, 7, v17
	v_ffbh_u32_e32 v4, v4
	v_min_u32_e32 v4, 32, v4
	v_subrev_nc_u32_e32 v5, 28, v4
	v_sub_nc_u32_e32 v4, 29, v4
	v_lshlrev_b64 v[19:20], v5, v[17:18]
; %bb.2628:                             ;   in Loop: Header=BB397_1567 Depth=1
	s_or_b32 exec_lo, exec_lo, s20
	v_lshlrev_b32_e32 v5, 20, v19
	v_lshlrev_b32_e32 v10, 24, v17
	v_lshl_add_u32 v4, v4, 23, 0x3c000000
	v_and_b32_e32 v5, 0x700000, v5
	v_and_b32_e32 v10, 0x80000000, v10
	v_or3_b32 v12, v5, v10, v4
.LBB397_2629:                           ;   in Loop: Header=BB397_1567 Depth=1
	s_or_b32 exec_lo, exec_lo, s18
.LBB397_2630:                           ;   in Loop: Header=BB397_1567 Depth=1
	s_or_b32 exec_lo, exec_lo, s15
.LBB397_2631:                           ;   in Loop: Header=BB397_1567 Depth=1
	s_or_b32 exec_lo, exec_lo, s13
	v_cmp_ne_u16_sdwa s4, v17, v11 src0_sel:BYTE_1 src1_sel:DWORD
	s_and_saveexec_b32 s13, s4
	s_cbranch_execz .LBB397_2639
; %bb.2632:                             ;   in Loop: Header=BB397_1567 Depth=1
	v_cmp_ne_u16_sdwa s4, v17, v84 src0_sel:BYTE_1 src1_sel:DWORD
	v_bfrev_b32_e32 v13, 1
	s_and_saveexec_b32 s15, s4
	s_cbranch_execz .LBB397_2638
; %bb.2633:                             ;   in Loop: Header=BB397_1567 Depth=1
	v_mov_b32_e32 v4, 0xffff
	v_mov_b32_e32 v13, 0x7f800001
	s_mov_b32 s18, exec_lo
	v_and_b32_sdwa v4, v4, v17 dst_sel:DWORD dst_unused:UNUSED_PAD src0_sel:DWORD src1_sel:BYTE_1
	v_and_b32_e32 v5, 0x7f, v4
	v_cmpx_ne_u32_e32 0x7f, v5
	s_cbranch_execz .LBB397_2637
; %bb.2634:                             ;   in Loop: Header=BB397_1567 Depth=1
	v_and_b32_e32 v10, 7, v4
	v_mov_b32_e32 v20, v11
	v_lshrrev_b32_e32 v4, 3, v5
	s_mov_b32 s20, exec_lo
	v_mov_b32_e32 v19, v10
	v_cmpx_gt_u32_e32 8, v5
; %bb.2635:                             ;   in Loop: Header=BB397_1567 Depth=1
	v_ffbh_u32_e32 v4, v10
	v_min_u32_e32 v4, 32, v4
	v_subrev_nc_u32_e32 v5, 28, v4
	v_sub_nc_u32_e32 v4, 29, v4
	v_lshlrev_b64 v[19:20], v5, v[10:11]
	v_and_b32_e32 v19, 7, v19
; %bb.2636:                             ;   in Loop: Header=BB397_1567 Depth=1
	s_or_b32 exec_lo, exec_lo, s20
	v_lshlrev_b32_e32 v5, 16, v17
	v_lshlrev_b32_e32 v10, 20, v19
	v_lshl_add_u32 v4, v4, 23, 0x3c000000
	v_and_b32_e32 v5, 0x80000000, v5
	v_or3_b32 v13, v10, v5, v4
.LBB397_2637:                           ;   in Loop: Header=BB397_1567 Depth=1
	s_or_b32 exec_lo, exec_lo, s18
.LBB397_2638:                           ;   in Loop: Header=BB397_1567 Depth=1
	s_or_b32 exec_lo, exec_lo, s15
.LBB397_2639:                           ;   in Loop: Header=BB397_1567 Depth=1
	s_or_b32 exec_lo, exec_lo, s13
	v_and_b32_sdwa v4, v17, v86 dst_sel:DWORD dst_unused:UNUSED_PAD src0_sel:WORD_1 src1_sel:DWORD
	v_mov_b32_e32 v21, 0
	v_mov_b32_e32 v16, 0
	s_mov_b32 s13, exec_lo
	v_cmpx_ne_u16_e32 0, v4
	s_cbranch_execz .LBB397_2647
; %bb.2640:                             ;   in Loop: Header=BB397_1567 Depth=1
	v_bfrev_b32_e32 v16, 1
	s_mov_b32 s15, exec_lo
	v_cmpx_ne_u16_e32 0x80, v4
	s_cbranch_execz .LBB397_2646
; %bb.2641:                             ;   in Loop: Header=BB397_1567 Depth=1
	v_bfe_u32 v5, v17, 16, 7
	v_mov_b32_e32 v16, 0x7f800001
	s_mov_b32 s18, exec_lo
	v_cmpx_ne_u32_e32 0x7f, v5
	s_cbranch_execz .LBB397_2645
; %bb.2642:                             ;   in Loop: Header=BB397_1567 Depth=1
	v_mov_b32_e32 v4, 7
	s_mov_b32 s20, exec_lo
	v_and_b32_sdwa v10, v17, v4 dst_sel:DWORD dst_unused:UNUSED_PAD src0_sel:WORD_1 src1_sel:DWORD
	v_mov_b32_e32 v20, v11
	v_lshrrev_b32_e32 v4, 3, v5
	v_mov_b32_e32 v19, v10
	v_cmpx_gt_u32_e32 8, v5
; %bb.2643:                             ;   in Loop: Header=BB397_1567 Depth=1
	v_ffbh_u32_e32 v4, v10
	v_min_u32_e32 v4, 32, v4
	v_subrev_nc_u32_e32 v5, 28, v4
	v_sub_nc_u32_e32 v4, 29, v4
	v_lshlrev_b64 v[19:20], v5, v[10:11]
	v_and_b32_e32 v19, 7, v19
; %bb.2644:                             ;   in Loop: Header=BB397_1567 Depth=1
	s_or_b32 exec_lo, exec_lo, s20
	v_mov_b32_e32 v5, 24
	v_lshlrev_b32_e32 v10, 20, v19
	v_lshl_add_u32 v4, v4, 23, 0x3c000000
	v_lshlrev_b32_sdwa v5, v5, v17 dst_sel:DWORD dst_unused:UNUSED_PAD src0_sel:DWORD src1_sel:WORD_1
	v_and_b32_e32 v5, 0x80000000, v5
	v_or3_b32 v16, v10, v5, v4
.LBB397_2645:                           ;   in Loop: Header=BB397_1567 Depth=1
	s_or_b32 exec_lo, exec_lo, s18
.LBB397_2646:                           ;   in Loop: Header=BB397_1567 Depth=1
	s_or_b32 exec_lo, exec_lo, s15
.LBB397_2647:                           ;   in Loop: Header=BB397_1567 Depth=1
	s_or_b32 exec_lo, exec_lo, s13
	s_mov_b32 s13, exec_lo
	v_cmpx_lt_u32_e32 0xffffff, v17
	s_cbranch_execz .LBB397_2655
; %bb.2648:                             ;   in Loop: Header=BB397_1567 Depth=1
	v_cmp_ne_u32_sdwa s4, v17, v84 src0_sel:BYTE_3 src1_sel:DWORD
	v_bfrev_b32_e32 v21, 1
	s_and_saveexec_b32 s15, s4
	s_cbranch_execz .LBB397_2654
; %bb.2649:                             ;   in Loop: Header=BB397_1567 Depth=1
	v_bfe_u32 v5, v17, 24, 7
	v_mov_b32_e32 v21, 0x7f800001
	s_mov_b32 s18, exec_lo
	v_cmpx_ne_u32_e32 0x7f, v5
	s_cbranch_execz .LBB397_2653
; %bb.2650:                             ;   in Loop: Header=BB397_1567 Depth=1
	v_mov_b32_e32 v4, 7
	s_mov_b32 s20, exec_lo
	v_and_b32_sdwa v10, v17, v4 dst_sel:DWORD dst_unused:UNUSED_PAD src0_sel:BYTE_3 src1_sel:DWORD
	v_mov_b32_e32 v20, v11
	v_lshrrev_b32_e32 v4, 3, v5
	v_mov_b32_e32 v19, v10
	v_cmpx_gt_u32_e32 8, v5
; %bb.2651:                             ;   in Loop: Header=BB397_1567 Depth=1
	v_ffbh_u32_e32 v4, v10
	v_min_u32_e32 v4, 32, v4
	v_subrev_nc_u32_e32 v5, 28, v4
	v_sub_nc_u32_e32 v4, 29, v4
	v_lshlrev_b64 v[19:20], v5, v[10:11]
	v_and_b32_e32 v19, 7, v19
; %bb.2652:                             ;   in Loop: Header=BB397_1567 Depth=1
	s_or_b32 exec_lo, exec_lo, s20
	v_mov_b32_e32 v5, 24
	v_lshlrev_b32_e32 v10, 20, v19
	v_lshl_add_u32 v4, v4, 23, 0x3c000000
	v_lshlrev_b32_sdwa v5, v5, v17 dst_sel:DWORD dst_unused:UNUSED_PAD src0_sel:DWORD src1_sel:BYTE_3
	v_and_b32_e32 v5, 0x80000000, v5
	v_or3_b32 v21, v10, v5, v4
.LBB397_2653:                           ;   in Loop: Header=BB397_1567 Depth=1
	s_or_b32 exec_lo, exec_lo, s18
.LBB397_2654:                           ;   in Loop: Header=BB397_1567 Depth=1
	s_or_b32 exec_lo, exec_lo, s15
.LBB397_2655:                           ;   in Loop: Header=BB397_1567 Depth=1
	s_or_b32 exec_lo, exec_lo, s13
	v_mov_b32_e32 v10, v18
	v_cmp_ne_u16_sdwa s4, v18, v11 src0_sel:BYTE_0 src1_sel:DWORD
	v_mov_b32_e32 v5, 0
	v_mov_b32_e32 v4, 0
	s_and_saveexec_b32 s13, s4
	s_cbranch_execz .LBB397_2663
; %bb.2656:                             ;   in Loop: Header=BB397_1567 Depth=1
	v_cmp_ne_u16_sdwa s4, v18, v84 src0_sel:BYTE_0 src1_sel:DWORD
	v_bfrev_b32_e32 v4, 1
	s_and_saveexec_b32 s15, s4
	s_cbranch_execz .LBB397_2662
; %bb.2657:                             ;   in Loop: Header=BB397_1567 Depth=1
	v_and_b32_e32 v25, 0x7f, v18
	v_mov_b32_e32 v4, 0x7f800001
	s_mov_b32 s18, exec_lo
	v_cmpx_ne_u32_e32 0x7f, v25
	s_cbranch_execz .LBB397_2661
; %bb.2658:                             ;   in Loop: Header=BB397_1567 Depth=1
	v_mov_b32_e32 v20, v11
	v_mov_b32_e32 v19, v10
	v_lshrrev_b32_e32 v4, 3, v25
	s_mov_b32 s20, exec_lo
	v_cmpx_gt_u32_e32 8, v25
; %bb.2659:                             ;   in Loop: Header=BB397_1567 Depth=1
	v_and_b32_e32 v4, 7, v18
	v_ffbh_u32_e32 v4, v4
	v_min_u32_e32 v4, 32, v4
	v_subrev_nc_u32_e32 v19, 28, v4
	v_sub_nc_u32_e32 v4, 29, v4
	v_lshlrev_b64 v[19:20], v19, v[10:11]
; %bb.2660:                             ;   in Loop: Header=BB397_1567 Depth=1
	s_or_b32 exec_lo, exec_lo, s20
	v_lshlrev_b32_e32 v19, 20, v19
	v_lshlrev_b32_e32 v20, 24, v10
	v_lshl_add_u32 v4, v4, 23, 0x3c000000
	v_and_b32_e32 v19, 0x700000, v19
	v_and_b32_e32 v20, 0x80000000, v20
	v_or3_b32 v4, v19, v20, v4
.LBB397_2661:                           ;   in Loop: Header=BB397_1567 Depth=1
	s_or_b32 exec_lo, exec_lo, s18
.LBB397_2662:                           ;   in Loop: Header=BB397_1567 Depth=1
	s_or_b32 exec_lo, exec_lo, s15
.LBB397_2663:                           ;   in Loop: Header=BB397_1567 Depth=1
	s_or_b32 exec_lo, exec_lo, s13
	v_cmp_ne_u16_sdwa s4, v10, v11 src0_sel:BYTE_1 src1_sel:DWORD
	s_and_saveexec_b32 s13, s4
	s_cbranch_execz .LBB397_2671
; %bb.2664:                             ;   in Loop: Header=BB397_1567 Depth=1
	v_cmp_ne_u16_sdwa s4, v10, v84 src0_sel:BYTE_1 src1_sel:DWORD
	v_bfrev_b32_e32 v5, 1
	s_and_saveexec_b32 s15, s4
	s_cbranch_execz .LBB397_2670
; %bb.2665:                             ;   in Loop: Header=BB397_1567 Depth=1
	v_mov_b32_e32 v5, 0xffff
	s_mov_b32 s18, exec_lo
	v_and_b32_sdwa v19, v5, v10 dst_sel:DWORD dst_unused:UNUSED_PAD src0_sel:DWORD src1_sel:BYTE_1
	v_mov_b32_e32 v5, 0x7f800001
	v_and_b32_e32 v25, 0x7f, v19
	v_cmpx_ne_u32_e32 0x7f, v25
	s_cbranch_execz .LBB397_2669
; %bb.2666:                             ;   in Loop: Header=BB397_1567 Depth=1
	v_and_b32_e32 v19, 7, v19
	v_mov_b32_e32 v20, v11
	v_lshrrev_b32_e32 v5, 3, v25
	s_mov_b32 s20, exec_lo
	v_cmpx_gt_u32_e32 8, v25
; %bb.2667:                             ;   in Loop: Header=BB397_1567 Depth=1
	v_ffbh_u32_e32 v5, v19
	v_min_u32_e32 v5, 32, v5
	v_subrev_nc_u32_e32 v25, 28, v5
	v_sub_nc_u32_e32 v5, 29, v5
	v_lshlrev_b64 v[19:20], v25, v[19:20]
	v_and_b32_e32 v19, 7, v19
; %bb.2668:                             ;   in Loop: Header=BB397_1567 Depth=1
	s_or_b32 exec_lo, exec_lo, s20
	v_lshlrev_b32_e32 v10, 16, v10
	v_lshlrev_b32_e32 v19, 20, v19
	v_lshl_add_u32 v5, v5, 23, 0x3c000000
	v_and_b32_e32 v10, 0x80000000, v10
	v_or3_b32 v5, v19, v10, v5
.LBB397_2669:                           ;   in Loop: Header=BB397_1567 Depth=1
	s_or_b32 exec_lo, exec_lo, s18
.LBB397_2670:                           ;   in Loop: Header=BB397_1567 Depth=1
	s_or_b32 exec_lo, exec_lo, s15
.LBB397_2671:                           ;   in Loop: Header=BB397_1567 Depth=1
	s_or_b32 exec_lo, exec_lo, s13
	v_and_b32_sdwa v10, v18, v86 dst_sel:DWORD dst_unused:UNUSED_PAD src0_sel:WORD_1 src1_sel:DWORD
	v_mov_b32_e32 v25, 0
	v_mov_b32_e32 v28, 0
	s_mov_b32 s13, exec_lo
	v_cmpx_ne_u16_e32 0, v10
	s_cbranch_execz .LBB397_2679
; %bb.2672:                             ;   in Loop: Header=BB397_1567 Depth=1
	v_bfrev_b32_e32 v28, 1
	s_mov_b32 s15, exec_lo
	v_cmpx_ne_u16_e32 0x80, v10
	s_cbranch_execz .LBB397_2678
; %bb.2673:                             ;   in Loop: Header=BB397_1567 Depth=1
	v_bfe_u32 v27, v18, 16, 7
	v_mov_b32_e32 v28, 0x7f800001
	s_mov_b32 s18, exec_lo
	v_cmpx_ne_u32_e32 0x7f, v27
	s_cbranch_execz .LBB397_2677
; %bb.2674:                             ;   in Loop: Header=BB397_1567 Depth=1
	v_mov_b32_e32 v10, 7
	s_mov_b32 s20, exec_lo
	v_and_b32_sdwa v10, v18, v10 dst_sel:DWORD dst_unused:UNUSED_PAD src0_sel:WORD_1 src1_sel:DWORD
	v_mov_b32_e32 v20, v11
	v_lshrrev_b32_e32 v20, 3, v27
	v_mov_b32_e32 v19, v10
	v_cmpx_gt_u32_e32 8, v27
; %bb.2675:                             ;   in Loop: Header=BB397_1567 Depth=1
	v_ffbh_u32_e32 v19, v10
	v_min_u32_e32 v27, 32, v19
	v_subrev_nc_u32_e32 v19, 28, v27
	v_lshlrev_b64 v[19:20], v19, v[10:11]
	v_sub_nc_u32_e32 v20, 29, v27
	v_and_b32_e32 v19, 7, v19
; %bb.2676:                             ;   in Loop: Header=BB397_1567 Depth=1
	s_or_b32 exec_lo, exec_lo, s20
	v_mov_b32_e32 v10, 24
	v_lshlrev_b32_e32 v19, 20, v19
	v_lshl_add_u32 v20, v20, 23, 0x3c000000
	v_lshlrev_b32_sdwa v10, v10, v18 dst_sel:DWORD dst_unused:UNUSED_PAD src0_sel:DWORD src1_sel:WORD_1
	v_and_b32_e32 v10, 0x80000000, v10
	v_or3_b32 v28, v19, v10, v20
.LBB397_2677:                           ;   in Loop: Header=BB397_1567 Depth=1
	s_or_b32 exec_lo, exec_lo, s18
.LBB397_2678:                           ;   in Loop: Header=BB397_1567 Depth=1
	s_or_b32 exec_lo, exec_lo, s15
.LBB397_2679:                           ;   in Loop: Header=BB397_1567 Depth=1
	s_or_b32 exec_lo, exec_lo, s13
	s_mov_b32 s13, exec_lo
	v_cmpx_lt_u64_e64 s[8:9], v[17:18]
	s_cbranch_execz .LBB397_2687
; %bb.2680:                             ;   in Loop: Header=BB397_1567 Depth=1
	v_cmp_ne_u32_sdwa s4, v18, v84 src0_sel:BYTE_3 src1_sel:DWORD
	v_bfrev_b32_e32 v25, 1
	s_and_saveexec_b32 s15, s4
	s_cbranch_execz .LBB397_2686
; %bb.2681:                             ;   in Loop: Header=BB397_1567 Depth=1
	v_bfe_u32 v27, v18, 24, 7
	v_mov_b32_e32 v25, 0x7f800001
	s_mov_b32 s18, exec_lo
	v_cmpx_ne_u32_e32 0x7f, v27
	s_cbranch_execz .LBB397_2685
; %bb.2682:                             ;   in Loop: Header=BB397_1567 Depth=1
	v_mov_b32_e32 v10, 7
	v_lshrrev_b32_e32 v17, 3, v27
	s_mov_b32 s20, exec_lo
	v_and_b32_sdwa v10, v18, v10 dst_sel:DWORD dst_unused:UNUSED_PAD src0_sel:BYTE_3 src1_sel:DWORD
	v_mov_b32_e32 v20, v11
	v_mov_b32_e32 v19, v10
	v_cmpx_gt_u32_e32 8, v27
; %bb.2683:                             ;   in Loop: Header=BB397_1567 Depth=1
	v_ffbh_u32_e32 v17, v10
	v_min_u32_e32 v17, 32, v17
	v_subrev_nc_u32_e32 v19, 28, v17
	v_sub_nc_u32_e32 v17, 29, v17
	v_lshlrev_b64 v[19:20], v19, v[10:11]
	v_and_b32_e32 v19, 7, v19
; %bb.2684:                             ;   in Loop: Header=BB397_1567 Depth=1
	s_or_b32 exec_lo, exec_lo, s20
	v_mov_b32_e32 v10, 24
	v_lshl_add_u32 v17, v17, 23, 0x3c000000
	v_lshlrev_b32_sdwa v10, v10, v18 dst_sel:DWORD dst_unused:UNUSED_PAD src0_sel:DWORD src1_sel:BYTE_3
	v_lshlrev_b32_e32 v18, 20, v19
	v_and_b32_e32 v10, 0x80000000, v10
	v_or3_b32 v25, v18, v10, v17
.LBB397_2685:                           ;   in Loop: Header=BB397_1567 Depth=1
	s_or_b32 exec_lo, exec_lo, s18
.LBB397_2686:                           ;   in Loop: Header=BB397_1567 Depth=1
	s_or_b32 exec_lo, exec_lo, s15
.LBB397_2687:                           ;   in Loop: Header=BB397_1567 Depth=1
	s_or_b32 exec_lo, exec_lo, s13
	v_mul_f32_e32 v5, v26, v5
	v_mul_f32_e32 v4, v26, v4
	v_bfe_u32 v10, v5, 16, 1
	v_or_b32_e32 v17, 0x400000, v5
	v_cmp_u_f32_e64 s4, v5, v5
	v_add3_u32 v10, v10, v5, 0x7fff
	v_cndmask_b32_e64 v5, v10, v17, s4
	v_bfe_u32 v10, v4, 16, 1
	v_or_b32_e32 v17, 0x400000, v4
	v_cmp_u_f32_e64 s4, v4, v4
	v_lshrrev_b32_e32 v5, 16, v5
	v_add3_u32 v10, v10, v4, 0x7fff
	v_cndmask_b32_e64 v4, v10, v17, s4
	v_mul_f32_e32 v10, v26, v21
	v_lshrrev_b32_e32 v4, 16, v4
	v_bfe_u32 v17, v10, 16, 1
	v_or_b32_e32 v18, 0x400000, v10
	v_cmp_u_f32_e64 s4, v10, v10
	v_add3_u32 v17, v17, v10, 0x7fff
	v_cndmask_b32_e64 v10, v17, v18, s4
	v_lshrrev_b32_e32 v38, 16, v10
	v_mul_f32_e32 v10, v26, v16
	v_bfe_u32 v16, v10, 16, 1
	v_or_b32_e32 v17, 0x400000, v10
	v_cmp_u_f32_e64 s4, v10, v10
	v_add3_u32 v16, v16, v10, 0x7fff
	v_cndmask_b32_e64 v10, v16, v17, s4
	v_lshrrev_b32_e32 v27, 16, v10
	v_mul_f32_e32 v10, v26, v13
	;; [unrolled: 7-line block ×5, first 2 shown]
	v_bfe_u32 v12, v10, 16, 1
	v_or_b32_e32 v13, 0x400000, v10
	v_cmp_u_f32_e64 s4, v10, v10
	v_add3_u32 v12, v12, v10, 0x7fff
	v_cndmask_b32_e64 v10, v12, v13, s4
	v_lshrrev_b32_e32 v83, 16, v10
	s_and_saveexec_b32 s13, vcc_lo
	s_cbranch_execz .LBB397_2689
; %bb.2688:                             ;   in Loop: Header=BB397_1567 Depth=1
	v_cmp_lt_i32_e64 s4, v89, v107
	v_cndmask_b32_e64 v82, 0, v82, s4
	v_cmp_lt_i32_e64 s4, v110, v107
	v_cndmask_b32_e64 v81, 0, v81, s4
	;; [unrolled: 2-line block ×8, first 2 shown]
.LBB397_2689:                           ;   in Loop: Header=BB397_1567 Depth=1
	s_or_b32 exec_lo, exec_lo, s13
	flat_load_dwordx2 v[17:18], v[14:15] offset:256
	v_mov_b32_e32 v21, 0
	v_mov_b32_e32 v16, 0
	s_waitcnt vmcnt(0) lgkmcnt(0)
	v_cmp_ne_u16_sdwa s4, v17, v11 src0_sel:BYTE_0 src1_sel:DWORD
	s_and_saveexec_b32 s13, s4
	s_cbranch_execz .LBB397_2697
; %bb.2690:                             ;   in Loop: Header=BB397_1567 Depth=1
	v_cmp_ne_u16_sdwa s4, v17, v84 src0_sel:BYTE_0 src1_sel:DWORD
	v_bfrev_b32_e32 v16, 1
	s_and_saveexec_b32 s15, s4
	s_cbranch_execz .LBB397_2696
; %bb.2691:                             ;   in Loop: Header=BB397_1567 Depth=1
	v_and_b32_e32 v12, 0x7f, v17
	v_mov_b32_e32 v16, 0x7f800001
	s_mov_b32 s18, exec_lo
	v_cmpx_ne_u32_e32 0x7f, v12
	s_cbranch_execz .LBB397_2695
; %bb.2692:                             ;   in Loop: Header=BB397_1567 Depth=1
	v_mov_b32_e32 v20, v18
	v_lshrrev_b32_e32 v10, 3, v12
	v_mov_b32_e32 v19, v17
	s_mov_b32 s20, exec_lo
	v_cmpx_gt_u32_e32 8, v12
; %bb.2693:                             ;   in Loop: Header=BB397_1567 Depth=1
	v_and_b32_e32 v10, 7, v17
	v_ffbh_u32_e32 v10, v10
	v_min_u32_e32 v10, 32, v10
	v_subrev_nc_u32_e32 v12, 28, v10
	v_sub_nc_u32_e32 v10, 29, v10
	v_lshlrev_b64 v[19:20], v12, v[17:18]
; %bb.2694:                             ;   in Loop: Header=BB397_1567 Depth=1
	s_or_b32 exec_lo, exec_lo, s20
	v_lshlrev_b32_e32 v12, 20, v19
	v_lshlrev_b32_e32 v13, 24, v17
	v_lshl_add_u32 v10, v10, 23, 0x3c000000
	v_and_b32_e32 v12, 0x700000, v12
	v_and_b32_e32 v13, 0x80000000, v13
	v_or3_b32 v16, v12, v13, v10
.LBB397_2695:                           ;   in Loop: Header=BB397_1567 Depth=1
	s_or_b32 exec_lo, exec_lo, s18
.LBB397_2696:                           ;   in Loop: Header=BB397_1567 Depth=1
	s_or_b32 exec_lo, exec_lo, s15
.LBB397_2697:                           ;   in Loop: Header=BB397_1567 Depth=1
	s_or_b32 exec_lo, exec_lo, s13
	v_cmp_ne_u16_sdwa s4, v17, v11 src0_sel:BYTE_1 src1_sel:DWORD
	s_and_saveexec_b32 s13, s4
	s_cbranch_execz .LBB397_2705
; %bb.2698:                             ;   in Loop: Header=BB397_1567 Depth=1
	v_cmp_ne_u16_sdwa s4, v17, v84 src0_sel:BYTE_1 src1_sel:DWORD
	v_bfrev_b32_e32 v21, 1
	s_and_saveexec_b32 s15, s4
	s_cbranch_execz .LBB397_2704
; %bb.2699:                             ;   in Loop: Header=BB397_1567 Depth=1
	v_mov_b32_e32 v10, 0xffff
	v_mov_b32_e32 v21, 0x7f800001
	s_mov_b32 s18, exec_lo
	v_and_b32_sdwa v10, v10, v17 dst_sel:DWORD dst_unused:UNUSED_PAD src0_sel:DWORD src1_sel:BYTE_1
	v_and_b32_e32 v13, 0x7f, v10
	v_cmpx_ne_u32_e32 0x7f, v13
	s_cbranch_execz .LBB397_2703
; %bb.2700:                             ;   in Loop: Header=BB397_1567 Depth=1
	v_and_b32_e32 v10, 7, v10
	v_mov_b32_e32 v20, v11
	v_lshrrev_b32_e32 v12, 3, v13
	s_mov_b32 s20, exec_lo
	v_mov_b32_e32 v19, v10
	v_cmpx_gt_u32_e32 8, v13
; %bb.2701:                             ;   in Loop: Header=BB397_1567 Depth=1
	v_ffbh_u32_e32 v12, v10
	v_min_u32_e32 v12, 32, v12
	v_subrev_nc_u32_e32 v13, 28, v12
	v_sub_nc_u32_e32 v12, 29, v12
	v_lshlrev_b64 v[19:20], v13, v[10:11]
	v_and_b32_e32 v19, 7, v19
; %bb.2702:                             ;   in Loop: Header=BB397_1567 Depth=1
	s_or_b32 exec_lo, exec_lo, s20
	v_lshlrev_b32_e32 v10, 16, v17
	v_lshlrev_b32_e32 v13, 20, v19
	v_lshl_add_u32 v12, v12, 23, 0x3c000000
	v_and_b32_e32 v10, 0x80000000, v10
	v_or3_b32 v21, v13, v10, v12
.LBB397_2703:                           ;   in Loop: Header=BB397_1567 Depth=1
	s_or_b32 exec_lo, exec_lo, s18
.LBB397_2704:                           ;   in Loop: Header=BB397_1567 Depth=1
	s_or_b32 exec_lo, exec_lo, s15
.LBB397_2705:                           ;   in Loop: Header=BB397_1567 Depth=1
	s_or_b32 exec_lo, exec_lo, s13
	v_and_b32_sdwa v10, v17, v86 dst_sel:DWORD dst_unused:UNUSED_PAD src0_sel:WORD_1 src1_sel:DWORD
	v_mov_b32_e32 v12, 0
	v_mov_b32_e32 v13, 0
	s_mov_b32 s13, exec_lo
	v_cmpx_ne_u16_e32 0, v10
	s_cbranch_execz .LBB397_2713
; %bb.2706:                             ;   in Loop: Header=BB397_1567 Depth=1
	v_bfrev_b32_e32 v13, 1
	s_mov_b32 s15, exec_lo
	v_cmpx_ne_u16_e32 0x80, v10
	s_cbranch_execz .LBB397_2712
; %bb.2707:                             ;   in Loop: Header=BB397_1567 Depth=1
	v_bfe_u32 v25, v17, 16, 7
	v_mov_b32_e32 v13, 0x7f800001
	s_mov_b32 s18, exec_lo
	v_cmpx_ne_u32_e32 0x7f, v25
	s_cbranch_execz .LBB397_2711
; %bb.2708:                             ;   in Loop: Header=BB397_1567 Depth=1
	v_mov_b32_e32 v10, 7
	v_lshrrev_b32_e32 v13, 3, v25
	s_mov_b32 s20, exec_lo
	v_and_b32_sdwa v10, v17, v10 dst_sel:DWORD dst_unused:UNUSED_PAD src0_sel:WORD_1 src1_sel:DWORD
	v_mov_b32_e32 v20, v11
	v_mov_b32_e32 v19, v10
	v_cmpx_gt_u32_e32 8, v25
; %bb.2709:                             ;   in Loop: Header=BB397_1567 Depth=1
	v_ffbh_u32_e32 v13, v10
	v_min_u32_e32 v13, 32, v13
	v_subrev_nc_u32_e32 v19, 28, v13
	v_sub_nc_u32_e32 v13, 29, v13
	v_lshlrev_b64 v[19:20], v19, v[10:11]
	v_and_b32_e32 v19, 7, v19
; %bb.2710:                             ;   in Loop: Header=BB397_1567 Depth=1
	s_or_b32 exec_lo, exec_lo, s20
	v_mov_b32_e32 v10, 24
	v_lshlrev_b32_e32 v19, 20, v19
	v_lshl_add_u32 v13, v13, 23, 0x3c000000
	v_lshlrev_b32_sdwa v10, v10, v17 dst_sel:DWORD dst_unused:UNUSED_PAD src0_sel:DWORD src1_sel:WORD_1
	v_and_b32_e32 v10, 0x80000000, v10
	v_or3_b32 v13, v19, v10, v13
.LBB397_2711:                           ;   in Loop: Header=BB397_1567 Depth=1
	s_or_b32 exec_lo, exec_lo, s18
.LBB397_2712:                           ;   in Loop: Header=BB397_1567 Depth=1
	s_or_b32 exec_lo, exec_lo, s15
.LBB397_2713:                           ;   in Loop: Header=BB397_1567 Depth=1
	s_or_b32 exec_lo, exec_lo, s13
	s_mov_b32 s13, exec_lo
	v_cmpx_lt_u32_e32 0xffffff, v17
	s_cbranch_execz .LBB397_2721
; %bb.2714:                             ;   in Loop: Header=BB397_1567 Depth=1
	v_cmp_ne_u32_sdwa s4, v17, v84 src0_sel:BYTE_3 src1_sel:DWORD
	v_bfrev_b32_e32 v12, 1
	s_and_saveexec_b32 s15, s4
	s_cbranch_execz .LBB397_2720
; %bb.2715:                             ;   in Loop: Header=BB397_1567 Depth=1
	v_bfe_u32 v25, v17, 24, 7
	v_mov_b32_e32 v12, 0x7f800001
	s_mov_b32 s18, exec_lo
	v_cmpx_ne_u32_e32 0x7f, v25
	s_cbranch_execz .LBB397_2719
; %bb.2716:                             ;   in Loop: Header=BB397_1567 Depth=1
	v_mov_b32_e32 v10, 7
	v_lshrrev_b32_e32 v12, 3, v25
	s_mov_b32 s20, exec_lo
	v_and_b32_sdwa v10, v17, v10 dst_sel:DWORD dst_unused:UNUSED_PAD src0_sel:BYTE_3 src1_sel:DWORD
	v_mov_b32_e32 v20, v11
	v_mov_b32_e32 v19, v10
	v_cmpx_gt_u32_e32 8, v25
; %bb.2717:                             ;   in Loop: Header=BB397_1567 Depth=1
	v_ffbh_u32_e32 v12, v10
	v_min_u32_e32 v12, 32, v12
	v_subrev_nc_u32_e32 v19, 28, v12
	v_sub_nc_u32_e32 v12, 29, v12
	v_lshlrev_b64 v[19:20], v19, v[10:11]
	v_and_b32_e32 v19, 7, v19
; %bb.2718:                             ;   in Loop: Header=BB397_1567 Depth=1
	s_or_b32 exec_lo, exec_lo, s20
	v_mov_b32_e32 v10, 24
	v_lshlrev_b32_e32 v19, 20, v19
	v_lshl_add_u32 v12, v12, 23, 0x3c000000
	v_lshlrev_b32_sdwa v10, v10, v17 dst_sel:DWORD dst_unused:UNUSED_PAD src0_sel:DWORD src1_sel:BYTE_3
	v_and_b32_e32 v10, 0x80000000, v10
	v_or3_b32 v12, v19, v10, v12
.LBB397_2719:                           ;   in Loop: Header=BB397_1567 Depth=1
	s_or_b32 exec_lo, exec_lo, s18
.LBB397_2720:                           ;   in Loop: Header=BB397_1567 Depth=1
	s_or_b32 exec_lo, exec_lo, s15
.LBB397_2721:                           ;   in Loop: Header=BB397_1567 Depth=1
	s_or_b32 exec_lo, exec_lo, s13
	v_mov_b32_e32 v10, v18
	v_cmp_ne_u16_sdwa s4, v18, v11 src0_sel:BYTE_0 src1_sel:DWORD
	v_mov_b32_e32 v30, 0
	v_mov_b32_e32 v25, 0
	s_and_saveexec_b32 s13, s4
	s_cbranch_execz .LBB397_2729
; %bb.2722:                             ;   in Loop: Header=BB397_1567 Depth=1
	v_cmp_ne_u16_sdwa s4, v18, v84 src0_sel:BYTE_0 src1_sel:DWORD
	v_bfrev_b32_e32 v25, 1
	s_and_saveexec_b32 s15, s4
	s_cbranch_execz .LBB397_2728
; %bb.2723:                             ;   in Loop: Header=BB397_1567 Depth=1
	v_and_b32_e32 v28, 0x7f, v18
	v_mov_b32_e32 v25, 0x7f800001
	s_mov_b32 s18, exec_lo
	v_cmpx_ne_u32_e32 0x7f, v28
	s_cbranch_execz .LBB397_2727
; %bb.2724:                             ;   in Loop: Header=BB397_1567 Depth=1
	v_mov_b32_e32 v20, v11
	v_mov_b32_e32 v19, v10
	v_lshrrev_b32_e32 v20, 3, v28
	s_mov_b32 s20, exec_lo
	v_cmpx_gt_u32_e32 8, v28
; %bb.2725:                             ;   in Loop: Header=BB397_1567 Depth=1
	v_and_b32_e32 v19, 7, v18
	v_ffbh_u32_e32 v19, v19
	v_min_u32_e32 v25, 32, v19
	v_subrev_nc_u32_e32 v19, 28, v25
	v_lshlrev_b64 v[19:20], v19, v[10:11]
	v_sub_nc_u32_e32 v20, 29, v25
; %bb.2726:                             ;   in Loop: Header=BB397_1567 Depth=1
	s_or_b32 exec_lo, exec_lo, s20
	v_lshlrev_b32_e32 v19, 20, v19
	v_lshlrev_b32_e32 v25, 24, v10
	v_lshl_add_u32 v20, v20, 23, 0x3c000000
	v_and_b32_e32 v19, 0x700000, v19
	v_and_b32_e32 v25, 0x80000000, v25
	v_or3_b32 v25, v19, v25, v20
.LBB397_2727:                           ;   in Loop: Header=BB397_1567 Depth=1
	s_or_b32 exec_lo, exec_lo, s18
.LBB397_2728:                           ;   in Loop: Header=BB397_1567 Depth=1
	s_or_b32 exec_lo, exec_lo, s15
.LBB397_2729:                           ;   in Loop: Header=BB397_1567 Depth=1
	s_or_b32 exec_lo, exec_lo, s13
	v_cmp_ne_u16_sdwa s4, v10, v11 src0_sel:BYTE_1 src1_sel:DWORD
	s_and_saveexec_b32 s13, s4
	s_cbranch_execz .LBB397_2737
; %bb.2730:                             ;   in Loop: Header=BB397_1567 Depth=1
	v_cmp_ne_u16_sdwa s4, v10, v84 src0_sel:BYTE_1 src1_sel:DWORD
	v_bfrev_b32_e32 v30, 1
	s_and_saveexec_b32 s15, s4
	s_cbranch_execz .LBB397_2736
; %bb.2731:                             ;   in Loop: Header=BB397_1567 Depth=1
	v_mov_b32_e32 v19, 0xffff
	v_mov_b32_e32 v30, 0x7f800001
	s_mov_b32 s18, exec_lo
	v_and_b32_sdwa v19, v19, v10 dst_sel:DWORD dst_unused:UNUSED_PAD src0_sel:DWORD src1_sel:BYTE_1
	v_and_b32_e32 v29, 0x7f, v19
	v_cmpx_ne_u32_e32 0x7f, v29
	s_cbranch_execz .LBB397_2735
; %bb.2732:                             ;   in Loop: Header=BB397_1567 Depth=1
	v_and_b32_e32 v19, 7, v19
	v_mov_b32_e32 v20, v11
	v_lshrrev_b32_e32 v28, 3, v29
	s_mov_b32 s20, exec_lo
	v_cmpx_gt_u32_e32 8, v29
; %bb.2733:                             ;   in Loop: Header=BB397_1567 Depth=1
	v_ffbh_u32_e32 v28, v19
	v_min_u32_e32 v28, 32, v28
	v_subrev_nc_u32_e32 v29, 28, v28
	v_sub_nc_u32_e32 v28, 29, v28
	v_lshlrev_b64 v[19:20], v29, v[19:20]
	v_and_b32_e32 v19, 7, v19
; %bb.2734:                             ;   in Loop: Header=BB397_1567 Depth=1
	s_or_b32 exec_lo, exec_lo, s20
	v_lshlrev_b32_e32 v10, 16, v10
	v_lshlrev_b32_e32 v19, 20, v19
	v_lshl_add_u32 v20, v28, 23, 0x3c000000
	v_and_b32_e32 v10, 0x80000000, v10
	v_or3_b32 v30, v19, v10, v20
.LBB397_2735:                           ;   in Loop: Header=BB397_1567 Depth=1
	s_or_b32 exec_lo, exec_lo, s18
.LBB397_2736:                           ;   in Loop: Header=BB397_1567 Depth=1
	s_or_b32 exec_lo, exec_lo, s15
.LBB397_2737:                           ;   in Loop: Header=BB397_1567 Depth=1
	s_or_b32 exec_lo, exec_lo, s13
	v_and_b32_sdwa v10, v18, v86 dst_sel:DWORD dst_unused:UNUSED_PAD src0_sel:WORD_1 src1_sel:DWORD
	v_mov_b32_e32 v28, 0
	v_mov_b32_e32 v29, 0
	s_mov_b32 s13, exec_lo
	v_cmpx_ne_u16_e32 0, v10
	s_cbranch_execz .LBB397_2745
; %bb.2738:                             ;   in Loop: Header=BB397_1567 Depth=1
	v_bfrev_b32_e32 v29, 1
	s_mov_b32 s15, exec_lo
	v_cmpx_ne_u16_e32 0x80, v10
	s_cbranch_execz .LBB397_2744
; %bb.2739:                             ;   in Loop: Header=BB397_1567 Depth=1
	v_bfe_u32 v31, v18, 16, 7
	v_mov_b32_e32 v29, 0x7f800001
	s_mov_b32 s18, exec_lo
	v_cmpx_ne_u32_e32 0x7f, v31
	s_cbranch_execz .LBB397_2743
; %bb.2740:                             ;   in Loop: Header=BB397_1567 Depth=1
	v_mov_b32_e32 v10, 7
	s_mov_b32 s20, exec_lo
	v_and_b32_sdwa v10, v18, v10 dst_sel:DWORD dst_unused:UNUSED_PAD src0_sel:WORD_1 src1_sel:DWORD
	v_mov_b32_e32 v20, v11
	v_lshrrev_b32_e32 v20, 3, v31
	v_mov_b32_e32 v19, v10
	v_cmpx_gt_u32_e32 8, v31
; %bb.2741:                             ;   in Loop: Header=BB397_1567 Depth=1
	v_ffbh_u32_e32 v19, v10
	v_min_u32_e32 v29, 32, v19
	v_subrev_nc_u32_e32 v19, 28, v29
	v_lshlrev_b64 v[19:20], v19, v[10:11]
	v_sub_nc_u32_e32 v20, 29, v29
	v_and_b32_e32 v19, 7, v19
; %bb.2742:                             ;   in Loop: Header=BB397_1567 Depth=1
	s_or_b32 exec_lo, exec_lo, s20
	v_mov_b32_e32 v10, 24
	v_lshlrev_b32_e32 v19, 20, v19
	v_lshl_add_u32 v20, v20, 23, 0x3c000000
	v_lshlrev_b32_sdwa v10, v10, v18 dst_sel:DWORD dst_unused:UNUSED_PAD src0_sel:DWORD src1_sel:WORD_1
	v_and_b32_e32 v10, 0x80000000, v10
	v_or3_b32 v29, v19, v10, v20
.LBB397_2743:                           ;   in Loop: Header=BB397_1567 Depth=1
	s_or_b32 exec_lo, exec_lo, s18
.LBB397_2744:                           ;   in Loop: Header=BB397_1567 Depth=1
	s_or_b32 exec_lo, exec_lo, s15
.LBB397_2745:                           ;   in Loop: Header=BB397_1567 Depth=1
	s_or_b32 exec_lo, exec_lo, s13
	s_mov_b32 s13, exec_lo
	v_cmpx_lt_u64_e64 s[8:9], v[17:18]
	s_cbranch_execz .LBB397_2753
; %bb.2746:                             ;   in Loop: Header=BB397_1567 Depth=1
	v_cmp_ne_u32_sdwa s4, v18, v84 src0_sel:BYTE_3 src1_sel:DWORD
	v_bfrev_b32_e32 v28, 1
	s_and_saveexec_b32 s15, s4
	s_cbranch_execz .LBB397_2752
; %bb.2747:                             ;   in Loop: Header=BB397_1567 Depth=1
	v_bfe_u32 v31, v18, 24, 7
	v_mov_b32_e32 v28, 0x7f800001
	s_mov_b32 s18, exec_lo
	v_cmpx_ne_u32_e32 0x7f, v31
	s_cbranch_execz .LBB397_2751
; %bb.2748:                             ;   in Loop: Header=BB397_1567 Depth=1
	v_mov_b32_e32 v10, 7
	v_lshrrev_b32_e32 v17, 3, v31
	s_mov_b32 s20, exec_lo
	v_and_b32_sdwa v10, v18, v10 dst_sel:DWORD dst_unused:UNUSED_PAD src0_sel:BYTE_3 src1_sel:DWORD
	v_mov_b32_e32 v20, v11
	v_mov_b32_e32 v19, v10
	v_cmpx_gt_u32_e32 8, v31
; %bb.2749:                             ;   in Loop: Header=BB397_1567 Depth=1
	v_ffbh_u32_e32 v17, v10
	v_min_u32_e32 v17, 32, v17
	v_subrev_nc_u32_e32 v19, 28, v17
	v_sub_nc_u32_e32 v17, 29, v17
	v_lshlrev_b64 v[19:20], v19, v[10:11]
	v_and_b32_e32 v19, 7, v19
; %bb.2750:                             ;   in Loop: Header=BB397_1567 Depth=1
	s_or_b32 exec_lo, exec_lo, s20
	v_mov_b32_e32 v10, 24
	v_lshl_add_u32 v17, v17, 23, 0x3c000000
	v_lshlrev_b32_sdwa v10, v10, v18 dst_sel:DWORD dst_unused:UNUSED_PAD src0_sel:DWORD src1_sel:BYTE_3
	v_lshlrev_b32_e32 v18, 20, v19
	v_and_b32_e32 v10, 0x80000000, v10
	v_or3_b32 v28, v18, v10, v17
.LBB397_2751:                           ;   in Loop: Header=BB397_1567 Depth=1
	s_or_b32 exec_lo, exec_lo, s18
.LBB397_2752:                           ;   in Loop: Header=BB397_1567 Depth=1
	s_or_b32 exec_lo, exec_lo, s15
.LBB397_2753:                           ;   in Loop: Header=BB397_1567 Depth=1
	s_or_b32 exec_lo, exec_lo, s13
	v_mul_f32_e32 v10, v26, v30
	v_bfe_u32 v17, v10, 16, 1
	v_or_b32_e32 v18, 0x400000, v10
	v_cmp_u_f32_e64 s4, v10, v10
	v_add3_u32 v17, v17, v10, 0x7fff
	v_cndmask_b32_e64 v10, v17, v18, s4
	v_lshrrev_b32_e32 v39, 16, v10
	v_mul_f32_e32 v10, v26, v25
	v_bfe_u32 v17, v10, 16, 1
	v_or_b32_e32 v18, 0x400000, v10
	v_cmp_u_f32_e64 s4, v10, v10
	v_add3_u32 v17, v17, v10, 0x7fff
	v_cndmask_b32_e64 v10, v17, v18, s4
	v_lshrrev_b32_e32 v36, 16, v10
	;; [unrolled: 7-line block ×8, first 2 shown]
	s_and_saveexec_b32 s13, vcc_lo
	s_cbranch_execz .LBB397_2755
; %bb.2754:                             ;   in Loop: Header=BB397_1567 Depth=1
	v_cmp_lt_i32_e64 s4, v89, v107
	v_cndmask_b32_e64 v97, 0, v97, s4
	v_cmp_lt_i32_e64 s4, v110, v107
	v_cndmask_b32_e64 v25, 0, v25, s4
	;; [unrolled: 2-line block ×8, first 2 shown]
.LBB397_2755:                           ;   in Loop: Header=BB397_1567 Depth=1
	s_or_b32 exec_lo, exec_lo, s13
	flat_load_dwordx2 v[17:18], v[14:15] offset:512
	v_mov_b32_e32 v28, 0
	v_mov_b32_e32 v16, 0
	s_waitcnt vmcnt(0) lgkmcnt(0)
	v_cmp_ne_u16_sdwa s4, v17, v11 src0_sel:BYTE_0 src1_sel:DWORD
	s_and_saveexec_b32 s13, s4
	s_cbranch_execz .LBB397_2763
; %bb.2756:                             ;   in Loop: Header=BB397_1567 Depth=1
	v_cmp_ne_u16_sdwa s4, v17, v84 src0_sel:BYTE_0 src1_sel:DWORD
	v_bfrev_b32_e32 v16, 1
	s_and_saveexec_b32 s15, s4
	s_cbranch_execz .LBB397_2762
; %bb.2757:                             ;   in Loop: Header=BB397_1567 Depth=1
	v_and_b32_e32 v19, 0x7f, v17
	v_mov_b32_e32 v16, 0x7f800001
	s_mov_b32 s18, exec_lo
	v_cmpx_ne_u32_e32 0x7f, v19
	s_cbranch_execz .LBB397_2761
; %bb.2758:                             ;   in Loop: Header=BB397_1567 Depth=1
	v_lshrrev_b32_e32 v10, 3, v19
	v_cmp_gt_u32_e64 s4, 8, v19
	v_mov_b32_e32 v20, v18
	v_mov_b32_e32 v19, v17
	s_and_saveexec_b32 s20, s4
; %bb.2759:                             ;   in Loop: Header=BB397_1567 Depth=1
	v_and_b32_e32 v10, 7, v17
	v_ffbh_u32_e32 v10, v10
	v_min_u32_e32 v10, 32, v10
	v_subrev_nc_u32_e32 v16, 28, v10
	v_sub_nc_u32_e32 v10, 29, v10
	v_lshlrev_b64 v[19:20], v16, v[17:18]
; %bb.2760:                             ;   in Loop: Header=BB397_1567 Depth=1
	s_or_b32 exec_lo, exec_lo, s20
	v_lshlrev_b32_e32 v16, 20, v19
	v_lshlrev_b32_e32 v19, 24, v17
	v_lshl_add_u32 v10, v10, 23, 0x3c000000
	v_and_b32_e32 v16, 0x700000, v16
	v_and_b32_e32 v19, 0x80000000, v19
	v_or3_b32 v16, v16, v19, v10
.LBB397_2761:                           ;   in Loop: Header=BB397_1567 Depth=1
	s_or_b32 exec_lo, exec_lo, s18
.LBB397_2762:                           ;   in Loop: Header=BB397_1567 Depth=1
	s_or_b32 exec_lo, exec_lo, s15
.LBB397_2763:                           ;   in Loop: Header=BB397_1567 Depth=1
	s_or_b32 exec_lo, exec_lo, s13
	v_cmp_ne_u16_sdwa s4, v17, v11 src0_sel:BYTE_1 src1_sel:DWORD
	s_and_saveexec_b32 s13, s4
	s_cbranch_execz .LBB397_2771
; %bb.2764:                             ;   in Loop: Header=BB397_1567 Depth=1
	v_cmp_ne_u16_sdwa s4, v17, v84 src0_sel:BYTE_1 src1_sel:DWORD
	v_bfrev_b32_e32 v28, 1
	s_and_saveexec_b32 s15, s4
	s_cbranch_execz .LBB397_2770
; %bb.2765:                             ;   in Loop: Header=BB397_1567 Depth=1
	v_mov_b32_e32 v10, 0xffff
	v_mov_b32_e32 v28, 0x7f800001
	s_mov_b32 s18, exec_lo
	v_and_b32_sdwa v10, v10, v17 dst_sel:DWORD dst_unused:UNUSED_PAD src0_sel:DWORD src1_sel:BYTE_1
	v_and_b32_e32 v29, 0x7f, v10
	v_cmpx_ne_u32_e32 0x7f, v29
	s_cbranch_execz .LBB397_2769
; %bb.2766:                             ;   in Loop: Header=BB397_1567 Depth=1
	v_and_b32_e32 v10, 7, v10
	v_mov_b32_e32 v20, v11
	v_lshrrev_b32_e32 v20, 3, v29
	s_mov_b32 s20, exec_lo
	v_mov_b32_e32 v19, v10
	v_cmpx_gt_u32_e32 8, v29
; %bb.2767:                             ;   in Loop: Header=BB397_1567 Depth=1
	v_ffbh_u32_e32 v19, v10
	v_min_u32_e32 v28, 32, v19
	v_subrev_nc_u32_e32 v19, 28, v28
	v_lshlrev_b64 v[19:20], v19, v[10:11]
	v_sub_nc_u32_e32 v20, 29, v28
	v_and_b32_e32 v19, 7, v19
; %bb.2768:                             ;   in Loop: Header=BB397_1567 Depth=1
	s_or_b32 exec_lo, exec_lo, s20
	v_lshlrev_b32_e32 v10, 16, v17
	v_lshlrev_b32_e32 v19, 20, v19
	v_lshl_add_u32 v20, v20, 23, 0x3c000000
	v_and_b32_e32 v10, 0x80000000, v10
	v_or3_b32 v28, v19, v10, v20
.LBB397_2769:                           ;   in Loop: Header=BB397_1567 Depth=1
	s_or_b32 exec_lo, exec_lo, s18
.LBB397_2770:                           ;   in Loop: Header=BB397_1567 Depth=1
	s_or_b32 exec_lo, exec_lo, s15
.LBB397_2771:                           ;   in Loop: Header=BB397_1567 Depth=1
	s_or_b32 exec_lo, exec_lo, s13
	v_and_b32_sdwa v10, v17, v86 dst_sel:DWORD dst_unused:UNUSED_PAD src0_sel:WORD_1 src1_sel:DWORD
	v_mov_b32_e32 v30, 0
	v_mov_b32_e32 v29, 0
	s_mov_b32 s13, exec_lo
	v_cmpx_ne_u16_e32 0, v10
	s_cbranch_execz .LBB397_2779
; %bb.2772:                             ;   in Loop: Header=BB397_1567 Depth=1
	v_bfrev_b32_e32 v29, 1
	s_mov_b32 s15, exec_lo
	v_cmpx_ne_u16_e32 0x80, v10
	s_cbranch_execz .LBB397_2778
; %bb.2773:                             ;   in Loop: Header=BB397_1567 Depth=1
	v_bfe_u32 v31, v17, 16, 7
	v_mov_b32_e32 v29, 0x7f800001
	s_mov_b32 s18, exec_lo
	v_cmpx_ne_u32_e32 0x7f, v31
	s_cbranch_execz .LBB397_2777
; %bb.2774:                             ;   in Loop: Header=BB397_1567 Depth=1
	v_mov_b32_e32 v10, 7
	s_mov_b32 s20, exec_lo
	v_and_b32_sdwa v10, v17, v10 dst_sel:DWORD dst_unused:UNUSED_PAD src0_sel:WORD_1 src1_sel:DWORD
	v_mov_b32_e32 v20, v11
	v_lshrrev_b32_e32 v20, 3, v31
	v_mov_b32_e32 v19, v10
	v_cmpx_gt_u32_e32 8, v31
; %bb.2775:                             ;   in Loop: Header=BB397_1567 Depth=1
	v_ffbh_u32_e32 v19, v10
	v_min_u32_e32 v29, 32, v19
	v_subrev_nc_u32_e32 v19, 28, v29
	v_lshlrev_b64 v[19:20], v19, v[10:11]
	v_sub_nc_u32_e32 v20, 29, v29
	v_and_b32_e32 v19, 7, v19
; %bb.2776:                             ;   in Loop: Header=BB397_1567 Depth=1
	s_or_b32 exec_lo, exec_lo, s20
	v_mov_b32_e32 v10, 24
	v_lshlrev_b32_e32 v19, 20, v19
	v_lshl_add_u32 v20, v20, 23, 0x3c000000
	v_lshlrev_b32_sdwa v10, v10, v17 dst_sel:DWORD dst_unused:UNUSED_PAD src0_sel:DWORD src1_sel:WORD_1
	v_and_b32_e32 v10, 0x80000000, v10
	v_or3_b32 v29, v19, v10, v20
.LBB397_2777:                           ;   in Loop: Header=BB397_1567 Depth=1
	s_or_b32 exec_lo, exec_lo, s18
.LBB397_2778:                           ;   in Loop: Header=BB397_1567 Depth=1
	s_or_b32 exec_lo, exec_lo, s15
.LBB397_2779:                           ;   in Loop: Header=BB397_1567 Depth=1
	s_or_b32 exec_lo, exec_lo, s13
	s_mov_b32 s13, exec_lo
	v_cmpx_lt_u32_e32 0xffffff, v17
	s_cbranch_execz .LBB397_2787
; %bb.2780:                             ;   in Loop: Header=BB397_1567 Depth=1
	v_cmp_ne_u32_sdwa s4, v17, v84 src0_sel:BYTE_3 src1_sel:DWORD
	v_bfrev_b32_e32 v30, 1
	s_and_saveexec_b32 s15, s4
	s_cbranch_execz .LBB397_2786
; %bb.2781:                             ;   in Loop: Header=BB397_1567 Depth=1
	v_bfe_u32 v31, v17, 24, 7
	v_mov_b32_e32 v30, 0x7f800001
	s_mov_b32 s18, exec_lo
	v_cmpx_ne_u32_e32 0x7f, v31
	s_cbranch_execz .LBB397_2785
; %bb.2782:                             ;   in Loop: Header=BB397_1567 Depth=1
	v_mov_b32_e32 v10, 7
	s_mov_b32 s20, exec_lo
	v_and_b32_sdwa v10, v17, v10 dst_sel:DWORD dst_unused:UNUSED_PAD src0_sel:BYTE_3 src1_sel:DWORD
	v_mov_b32_e32 v20, v11
	v_lshrrev_b32_e32 v20, 3, v31
	v_mov_b32_e32 v19, v10
	v_cmpx_gt_u32_e32 8, v31
; %bb.2783:                             ;   in Loop: Header=BB397_1567 Depth=1
	v_ffbh_u32_e32 v19, v10
	v_min_u32_e32 v30, 32, v19
	v_subrev_nc_u32_e32 v19, 28, v30
	v_lshlrev_b64 v[19:20], v19, v[10:11]
	v_sub_nc_u32_e32 v20, 29, v30
	v_and_b32_e32 v19, 7, v19
; %bb.2784:                             ;   in Loop: Header=BB397_1567 Depth=1
	s_or_b32 exec_lo, exec_lo, s20
	v_mov_b32_e32 v10, 24
	v_lshlrev_b32_e32 v19, 20, v19
	v_lshl_add_u32 v20, v20, 23, 0x3c000000
	v_lshlrev_b32_sdwa v10, v10, v17 dst_sel:DWORD dst_unused:UNUSED_PAD src0_sel:DWORD src1_sel:BYTE_3
	v_and_b32_e32 v10, 0x80000000, v10
	v_or3_b32 v30, v19, v10, v20
.LBB397_2785:                           ;   in Loop: Header=BB397_1567 Depth=1
	s_or_b32 exec_lo, exec_lo, s18
.LBB397_2786:                           ;   in Loop: Header=BB397_1567 Depth=1
	s_or_b32 exec_lo, exec_lo, s15
.LBB397_2787:                           ;   in Loop: Header=BB397_1567 Depth=1
	s_or_b32 exec_lo, exec_lo, s13
	v_mov_b32_e32 v10, v18
	v_cmp_ne_u16_sdwa s4, v18, v11 src0_sel:BYTE_0 src1_sel:DWORD
	v_mov_b32_e32 v34, 0
	v_mov_b32_e32 v33, 0
	s_and_saveexec_b32 s13, s4
	s_cbranch_execz .LBB397_2795
; %bb.2788:                             ;   in Loop: Header=BB397_1567 Depth=1
	v_cmp_ne_u16_sdwa s4, v18, v84 src0_sel:BYTE_0 src1_sel:DWORD
	v_bfrev_b32_e32 v33, 1
	s_and_saveexec_b32 s15, s4
	s_cbranch_execz .LBB397_2794
; %bb.2789:                             ;   in Loop: Header=BB397_1567 Depth=1
	v_and_b32_e32 v31, 0x7f, v18
	v_mov_b32_e32 v33, 0x7f800001
	s_mov_b32 s18, exec_lo
	v_cmpx_ne_u32_e32 0x7f, v31
	s_cbranch_execz .LBB397_2793
; %bb.2790:                             ;   in Loop: Header=BB397_1567 Depth=1
	v_mov_b32_e32 v20, v11
	v_mov_b32_e32 v19, v10
	v_lshrrev_b32_e32 v20, 3, v31
	s_mov_b32 s20, exec_lo
	v_cmpx_gt_u32_e32 8, v31
; %bb.2791:                             ;   in Loop: Header=BB397_1567 Depth=1
	v_and_b32_e32 v19, 7, v18
	v_ffbh_u32_e32 v19, v19
	v_min_u32_e32 v31, 32, v19
	v_subrev_nc_u32_e32 v19, 28, v31
	v_lshlrev_b64 v[19:20], v19, v[10:11]
	v_sub_nc_u32_e32 v20, 29, v31
; %bb.2792:                             ;   in Loop: Header=BB397_1567 Depth=1
	s_or_b32 exec_lo, exec_lo, s20
	v_lshlrev_b32_e32 v19, 20, v19
	v_lshlrev_b32_e32 v31, 24, v10
	v_lshl_add_u32 v20, v20, 23, 0x3c000000
	v_and_b32_e32 v19, 0x700000, v19
	v_and_b32_e32 v31, 0x80000000, v31
	v_or3_b32 v33, v19, v31, v20
.LBB397_2793:                           ;   in Loop: Header=BB397_1567 Depth=1
	s_or_b32 exec_lo, exec_lo, s18
.LBB397_2794:                           ;   in Loop: Header=BB397_1567 Depth=1
	s_or_b32 exec_lo, exec_lo, s15
.LBB397_2795:                           ;   in Loop: Header=BB397_1567 Depth=1
	s_or_b32 exec_lo, exec_lo, s13
	v_cmp_ne_u16_sdwa s4, v10, v11 src0_sel:BYTE_1 src1_sel:DWORD
	s_and_saveexec_b32 s13, s4
	s_cbranch_execz .LBB397_2803
; %bb.2796:                             ;   in Loop: Header=BB397_1567 Depth=1
	v_cmp_ne_u16_sdwa s4, v10, v84 src0_sel:BYTE_1 src1_sel:DWORD
	v_bfrev_b32_e32 v34, 1
	s_and_saveexec_b32 s15, s4
	s_cbranch_execz .LBB397_2802
; %bb.2797:                             ;   in Loop: Header=BB397_1567 Depth=1
	v_mov_b32_e32 v19, 0xffff
	v_mov_b32_e32 v34, 0x7f800001
	s_mov_b32 s18, exec_lo
	v_and_b32_sdwa v19, v19, v10 dst_sel:DWORD dst_unused:UNUSED_PAD src0_sel:DWORD src1_sel:BYTE_1
	v_and_b32_e32 v32, 0x7f, v19
	v_cmpx_ne_u32_e32 0x7f, v32
	s_cbranch_execz .LBB397_2801
; %bb.2798:                             ;   in Loop: Header=BB397_1567 Depth=1
	v_and_b32_e32 v19, 7, v19
	v_mov_b32_e32 v20, v11
	v_lshrrev_b32_e32 v31, 3, v32
	s_mov_b32 s20, exec_lo
	v_cmpx_gt_u32_e32 8, v32
; %bb.2799:                             ;   in Loop: Header=BB397_1567 Depth=1
	v_ffbh_u32_e32 v31, v19
	v_min_u32_e32 v31, 32, v31
	v_subrev_nc_u32_e32 v32, 28, v31
	v_sub_nc_u32_e32 v31, 29, v31
	v_lshlrev_b64 v[19:20], v32, v[19:20]
	v_and_b32_e32 v19, 7, v19
; %bb.2800:                             ;   in Loop: Header=BB397_1567 Depth=1
	s_or_b32 exec_lo, exec_lo, s20
	v_lshlrev_b32_e32 v10, 16, v10
	v_lshlrev_b32_e32 v19, 20, v19
	v_lshl_add_u32 v20, v31, 23, 0x3c000000
	v_and_b32_e32 v10, 0x80000000, v10
	v_or3_b32 v34, v19, v10, v20
.LBB397_2801:                           ;   in Loop: Header=BB397_1567 Depth=1
	s_or_b32 exec_lo, exec_lo, s18
.LBB397_2802:                           ;   in Loop: Header=BB397_1567 Depth=1
	s_or_b32 exec_lo, exec_lo, s15
.LBB397_2803:                           ;   in Loop: Header=BB397_1567 Depth=1
	s_or_b32 exec_lo, exec_lo, s13
	v_and_b32_sdwa v10, v18, v86 dst_sel:DWORD dst_unused:UNUSED_PAD src0_sel:WORD_1 src1_sel:DWORD
	v_mov_b32_e32 v31, 0
	v_mov_b32_e32 v32, 0
	s_mov_b32 s13, exec_lo
	v_cmpx_ne_u16_e32 0, v10
	s_cbranch_execz .LBB397_2811
; %bb.2804:                             ;   in Loop: Header=BB397_1567 Depth=1
	v_bfrev_b32_e32 v32, 1
	s_mov_b32 s15, exec_lo
	v_cmpx_ne_u16_e32 0x80, v10
	s_cbranch_execz .LBB397_2810
; %bb.2805:                             ;   in Loop: Header=BB397_1567 Depth=1
	v_bfe_u32 v35, v18, 16, 7
	v_mov_b32_e32 v32, 0x7f800001
	s_mov_b32 s18, exec_lo
	v_cmpx_ne_u32_e32 0x7f, v35
	s_cbranch_execz .LBB397_2809
; %bb.2806:                             ;   in Loop: Header=BB397_1567 Depth=1
	v_mov_b32_e32 v10, 7
	s_mov_b32 s20, exec_lo
	v_and_b32_sdwa v10, v18, v10 dst_sel:DWORD dst_unused:UNUSED_PAD src0_sel:WORD_1 src1_sel:DWORD
	v_mov_b32_e32 v20, v11
	v_lshrrev_b32_e32 v20, 3, v35
	v_mov_b32_e32 v19, v10
	v_cmpx_gt_u32_e32 8, v35
; %bb.2807:                             ;   in Loop: Header=BB397_1567 Depth=1
	v_ffbh_u32_e32 v19, v10
	v_min_u32_e32 v32, 32, v19
	v_subrev_nc_u32_e32 v19, 28, v32
	v_lshlrev_b64 v[19:20], v19, v[10:11]
	v_sub_nc_u32_e32 v20, 29, v32
	v_and_b32_e32 v19, 7, v19
; %bb.2808:                             ;   in Loop: Header=BB397_1567 Depth=1
	s_or_b32 exec_lo, exec_lo, s20
	v_mov_b32_e32 v10, 24
	v_lshlrev_b32_e32 v19, 20, v19
	v_lshl_add_u32 v20, v20, 23, 0x3c000000
	v_lshlrev_b32_sdwa v10, v10, v18 dst_sel:DWORD dst_unused:UNUSED_PAD src0_sel:DWORD src1_sel:WORD_1
	v_and_b32_e32 v10, 0x80000000, v10
	v_or3_b32 v32, v19, v10, v20
.LBB397_2809:                           ;   in Loop: Header=BB397_1567 Depth=1
	s_or_b32 exec_lo, exec_lo, s18
.LBB397_2810:                           ;   in Loop: Header=BB397_1567 Depth=1
	s_or_b32 exec_lo, exec_lo, s15
.LBB397_2811:                           ;   in Loop: Header=BB397_1567 Depth=1
	s_or_b32 exec_lo, exec_lo, s13
	s_mov_b32 s13, exec_lo
	v_cmpx_lt_u64_e64 s[8:9], v[17:18]
	s_cbranch_execz .LBB397_2819
; %bb.2812:                             ;   in Loop: Header=BB397_1567 Depth=1
	v_cmp_ne_u32_sdwa s4, v18, v84 src0_sel:BYTE_3 src1_sel:DWORD
	v_bfrev_b32_e32 v31, 1
	s_and_saveexec_b32 s15, s4
	s_cbranch_execz .LBB397_2818
; %bb.2813:                             ;   in Loop: Header=BB397_1567 Depth=1
	v_bfe_u32 v35, v18, 24, 7
	v_mov_b32_e32 v31, 0x7f800001
	s_mov_b32 s18, exec_lo
	v_cmpx_ne_u32_e32 0x7f, v35
	s_cbranch_execz .LBB397_2817
; %bb.2814:                             ;   in Loop: Header=BB397_1567 Depth=1
	v_mov_b32_e32 v10, 7
	v_lshrrev_b32_e32 v17, 3, v35
	s_mov_b32 s20, exec_lo
	v_and_b32_sdwa v10, v18, v10 dst_sel:DWORD dst_unused:UNUSED_PAD src0_sel:BYTE_3 src1_sel:DWORD
	v_mov_b32_e32 v20, v11
	v_mov_b32_e32 v19, v10
	v_cmpx_gt_u32_e32 8, v35
; %bb.2815:                             ;   in Loop: Header=BB397_1567 Depth=1
	v_ffbh_u32_e32 v17, v10
	v_min_u32_e32 v17, 32, v17
	v_subrev_nc_u32_e32 v19, 28, v17
	v_sub_nc_u32_e32 v17, 29, v17
	v_lshlrev_b64 v[19:20], v19, v[10:11]
	v_and_b32_e32 v19, 7, v19
; %bb.2816:                             ;   in Loop: Header=BB397_1567 Depth=1
	s_or_b32 exec_lo, exec_lo, s20
	v_mov_b32_e32 v10, 24
	v_lshl_add_u32 v17, v17, 23, 0x3c000000
	v_lshlrev_b32_sdwa v10, v10, v18 dst_sel:DWORD dst_unused:UNUSED_PAD src0_sel:DWORD src1_sel:BYTE_3
	v_lshlrev_b32_e32 v18, 20, v19
	v_and_b32_e32 v10, 0x80000000, v10
	v_or3_b32 v31, v18, v10, v17
.LBB397_2817:                           ;   in Loop: Header=BB397_1567 Depth=1
	s_or_b32 exec_lo, exec_lo, s18
.LBB397_2818:                           ;   in Loop: Header=BB397_1567 Depth=1
	s_or_b32 exec_lo, exec_lo, s15
.LBB397_2819:                           ;   in Loop: Header=BB397_1567 Depth=1
	s_or_b32 exec_lo, exec_lo, s13
	v_mul_f32_e32 v10, v26, v34
	v_bfe_u32 v17, v10, 16, 1
	v_or_b32_e32 v18, 0x400000, v10
	v_cmp_u_f32_e64 s4, v10, v10
	v_add3_u32 v17, v17, v10, 0x7fff
	v_cndmask_b32_e64 v10, v17, v18, s4
	v_lshrrev_b32_e32 v99, 16, v10
	v_mul_f32_e32 v10, v26, v33
	v_bfe_u32 v17, v10, 16, 1
	v_or_b32_e32 v18, 0x400000, v10
	v_cmp_u_f32_e64 s4, v10, v10
	v_add3_u32 v17, v17, v10, 0x7fff
	v_cndmask_b32_e64 v10, v17, v18, s4
	v_lshrrev_b32_e32 v100, 16, v10
	;; [unrolled: 7-line block ×8, first 2 shown]
	s_and_saveexec_b32 s13, vcc_lo
	s_cbranch_execz .LBB397_2821
; %bb.2820:                             ;   in Loop: Header=BB397_1567 Depth=1
	v_cmp_lt_i32_e64 s4, v89, v107
	v_cndmask_b32_e64 v113, 0, v113, s4
	v_cmp_lt_i32_e64 s4, v110, v107
	v_cndmask_b32_e64 v112, 0, v112, s4
	;; [unrolled: 2-line block ×8, first 2 shown]
.LBB397_2821:                           ;   in Loop: Header=BB397_1567 Depth=1
	s_or_b32 exec_lo, exec_lo, s13
	flat_load_dwordx2 v[17:18], v[14:15] offset:768
	v_mov_b32_e32 v28, 0
	v_mov_b32_e32 v16, 0
	s_waitcnt vmcnt(0) lgkmcnt(0)
	v_cmp_ne_u16_sdwa s4, v17, v11 src0_sel:BYTE_0 src1_sel:DWORD
	s_and_saveexec_b32 s13, s4
	s_cbranch_execz .LBB397_2829
; %bb.2822:                             ;   in Loop: Header=BB397_1567 Depth=1
	v_cmp_ne_u16_sdwa s4, v17, v84 src0_sel:BYTE_0 src1_sel:DWORD
	v_bfrev_b32_e32 v16, 1
	s_and_saveexec_b32 s15, s4
	s_cbranch_execz .LBB397_2828
; %bb.2823:                             ;   in Loop: Header=BB397_1567 Depth=1
	v_and_b32_e32 v19, 0x7f, v17
	v_mov_b32_e32 v16, 0x7f800001
	s_mov_b32 s18, exec_lo
	v_cmpx_ne_u32_e32 0x7f, v19
	s_cbranch_execz .LBB397_2827
; %bb.2824:                             ;   in Loop: Header=BB397_1567 Depth=1
	v_lshrrev_b32_e32 v10, 3, v19
	v_cmp_gt_u32_e64 s4, 8, v19
	v_mov_b32_e32 v20, v18
	v_mov_b32_e32 v19, v17
	s_and_saveexec_b32 s20, s4
; %bb.2825:                             ;   in Loop: Header=BB397_1567 Depth=1
	v_and_b32_e32 v10, 7, v17
	v_ffbh_u32_e32 v10, v10
	v_min_u32_e32 v10, 32, v10
	v_subrev_nc_u32_e32 v16, 28, v10
	v_sub_nc_u32_e32 v10, 29, v10
	v_lshlrev_b64 v[19:20], v16, v[17:18]
; %bb.2826:                             ;   in Loop: Header=BB397_1567 Depth=1
	s_or_b32 exec_lo, exec_lo, s20
	v_lshlrev_b32_e32 v16, 20, v19
	v_lshlrev_b32_e32 v19, 24, v17
	v_lshl_add_u32 v10, v10, 23, 0x3c000000
	v_and_b32_e32 v16, 0x700000, v16
	v_and_b32_e32 v19, 0x80000000, v19
	v_or3_b32 v16, v16, v19, v10
.LBB397_2827:                           ;   in Loop: Header=BB397_1567 Depth=1
	s_or_b32 exec_lo, exec_lo, s18
.LBB397_2828:                           ;   in Loop: Header=BB397_1567 Depth=1
	s_or_b32 exec_lo, exec_lo, s15
.LBB397_2829:                           ;   in Loop: Header=BB397_1567 Depth=1
	s_or_b32 exec_lo, exec_lo, s13
	v_cmp_ne_u16_sdwa s4, v17, v11 src0_sel:BYTE_1 src1_sel:DWORD
	s_and_saveexec_b32 s13, s4
	s_cbranch_execz .LBB397_2837
; %bb.2830:                             ;   in Loop: Header=BB397_1567 Depth=1
	v_cmp_ne_u16_sdwa s4, v17, v84 src0_sel:BYTE_1 src1_sel:DWORD
	v_bfrev_b32_e32 v28, 1
	s_and_saveexec_b32 s15, s4
	s_cbranch_execz .LBB397_2836
; %bb.2831:                             ;   in Loop: Header=BB397_1567 Depth=1
	v_mov_b32_e32 v10, 0xffff
	v_mov_b32_e32 v28, 0x7f800001
	s_mov_b32 s18, exec_lo
	v_and_b32_sdwa v10, v10, v17 dst_sel:DWORD dst_unused:UNUSED_PAD src0_sel:DWORD src1_sel:BYTE_1
	v_and_b32_e32 v29, 0x7f, v10
	v_cmpx_ne_u32_e32 0x7f, v29
	s_cbranch_execz .LBB397_2835
; %bb.2832:                             ;   in Loop: Header=BB397_1567 Depth=1
	v_and_b32_e32 v10, 7, v10
	v_mov_b32_e32 v20, v11
	v_lshrrev_b32_e32 v20, 3, v29
	s_mov_b32 s20, exec_lo
	v_mov_b32_e32 v19, v10
	v_cmpx_gt_u32_e32 8, v29
; %bb.2833:                             ;   in Loop: Header=BB397_1567 Depth=1
	v_ffbh_u32_e32 v19, v10
	v_min_u32_e32 v28, 32, v19
	v_subrev_nc_u32_e32 v19, 28, v28
	v_lshlrev_b64 v[19:20], v19, v[10:11]
	v_sub_nc_u32_e32 v20, 29, v28
	v_and_b32_e32 v19, 7, v19
; %bb.2834:                             ;   in Loop: Header=BB397_1567 Depth=1
	s_or_b32 exec_lo, exec_lo, s20
	v_lshlrev_b32_e32 v10, 16, v17
	v_lshlrev_b32_e32 v19, 20, v19
	v_lshl_add_u32 v20, v20, 23, 0x3c000000
	v_and_b32_e32 v10, 0x80000000, v10
	v_or3_b32 v28, v19, v10, v20
.LBB397_2835:                           ;   in Loop: Header=BB397_1567 Depth=1
	s_or_b32 exec_lo, exec_lo, s18
.LBB397_2836:                           ;   in Loop: Header=BB397_1567 Depth=1
	s_or_b32 exec_lo, exec_lo, s15
.LBB397_2837:                           ;   in Loop: Header=BB397_1567 Depth=1
	s_or_b32 exec_lo, exec_lo, s13
	v_and_b32_sdwa v10, v17, v86 dst_sel:DWORD dst_unused:UNUSED_PAD src0_sel:WORD_1 src1_sel:DWORD
	v_mov_b32_e32 v30, 0
	v_mov_b32_e32 v29, 0
	s_mov_b32 s13, exec_lo
	v_cmpx_ne_u16_e32 0, v10
	s_cbranch_execz .LBB397_2845
; %bb.2838:                             ;   in Loop: Header=BB397_1567 Depth=1
	v_bfrev_b32_e32 v29, 1
	s_mov_b32 s15, exec_lo
	v_cmpx_ne_u16_e32 0x80, v10
	s_cbranch_execz .LBB397_2844
; %bb.2839:                             ;   in Loop: Header=BB397_1567 Depth=1
	v_bfe_u32 v31, v17, 16, 7
	v_mov_b32_e32 v29, 0x7f800001
	s_mov_b32 s18, exec_lo
	v_cmpx_ne_u32_e32 0x7f, v31
	s_cbranch_execz .LBB397_2843
; %bb.2840:                             ;   in Loop: Header=BB397_1567 Depth=1
	v_mov_b32_e32 v10, 7
	s_mov_b32 s20, exec_lo
	v_and_b32_sdwa v10, v17, v10 dst_sel:DWORD dst_unused:UNUSED_PAD src0_sel:WORD_1 src1_sel:DWORD
	v_mov_b32_e32 v20, v11
	v_lshrrev_b32_e32 v20, 3, v31
	v_mov_b32_e32 v19, v10
	v_cmpx_gt_u32_e32 8, v31
; %bb.2841:                             ;   in Loop: Header=BB397_1567 Depth=1
	v_ffbh_u32_e32 v19, v10
	v_min_u32_e32 v29, 32, v19
	v_subrev_nc_u32_e32 v19, 28, v29
	v_lshlrev_b64 v[19:20], v19, v[10:11]
	v_sub_nc_u32_e32 v20, 29, v29
	v_and_b32_e32 v19, 7, v19
; %bb.2842:                             ;   in Loop: Header=BB397_1567 Depth=1
	s_or_b32 exec_lo, exec_lo, s20
	v_mov_b32_e32 v10, 24
	v_lshlrev_b32_e32 v19, 20, v19
	v_lshl_add_u32 v20, v20, 23, 0x3c000000
	v_lshlrev_b32_sdwa v10, v10, v17 dst_sel:DWORD dst_unused:UNUSED_PAD src0_sel:DWORD src1_sel:WORD_1
	v_and_b32_e32 v10, 0x80000000, v10
	v_or3_b32 v29, v19, v10, v20
.LBB397_2843:                           ;   in Loop: Header=BB397_1567 Depth=1
	s_or_b32 exec_lo, exec_lo, s18
.LBB397_2844:                           ;   in Loop: Header=BB397_1567 Depth=1
	s_or_b32 exec_lo, exec_lo, s15
.LBB397_2845:                           ;   in Loop: Header=BB397_1567 Depth=1
	s_or_b32 exec_lo, exec_lo, s13
	s_mov_b32 s13, exec_lo
	v_cmpx_lt_u32_e32 0xffffff, v17
	s_cbranch_execz .LBB397_2853
; %bb.2846:                             ;   in Loop: Header=BB397_1567 Depth=1
	v_cmp_ne_u32_sdwa s4, v17, v84 src0_sel:BYTE_3 src1_sel:DWORD
	v_bfrev_b32_e32 v30, 1
	s_and_saveexec_b32 s15, s4
	s_cbranch_execz .LBB397_2852
; %bb.2847:                             ;   in Loop: Header=BB397_1567 Depth=1
	v_bfe_u32 v31, v17, 24, 7
	v_mov_b32_e32 v30, 0x7f800001
	s_mov_b32 s18, exec_lo
	v_cmpx_ne_u32_e32 0x7f, v31
	s_cbranch_execz .LBB397_2851
; %bb.2848:                             ;   in Loop: Header=BB397_1567 Depth=1
	v_mov_b32_e32 v10, 7
	s_mov_b32 s20, exec_lo
	v_and_b32_sdwa v10, v17, v10 dst_sel:DWORD dst_unused:UNUSED_PAD src0_sel:BYTE_3 src1_sel:DWORD
	v_mov_b32_e32 v20, v11
	v_lshrrev_b32_e32 v20, 3, v31
	v_mov_b32_e32 v19, v10
	v_cmpx_gt_u32_e32 8, v31
; %bb.2849:                             ;   in Loop: Header=BB397_1567 Depth=1
	v_ffbh_u32_e32 v19, v10
	v_min_u32_e32 v30, 32, v19
	v_subrev_nc_u32_e32 v19, 28, v30
	v_lshlrev_b64 v[19:20], v19, v[10:11]
	v_sub_nc_u32_e32 v20, 29, v30
	v_and_b32_e32 v19, 7, v19
; %bb.2850:                             ;   in Loop: Header=BB397_1567 Depth=1
	s_or_b32 exec_lo, exec_lo, s20
	v_mov_b32_e32 v10, 24
	v_lshlrev_b32_e32 v19, 20, v19
	v_lshl_add_u32 v20, v20, 23, 0x3c000000
	v_lshlrev_b32_sdwa v10, v10, v17 dst_sel:DWORD dst_unused:UNUSED_PAD src0_sel:DWORD src1_sel:BYTE_3
	v_and_b32_e32 v10, 0x80000000, v10
	v_or3_b32 v30, v19, v10, v20
.LBB397_2851:                           ;   in Loop: Header=BB397_1567 Depth=1
	s_or_b32 exec_lo, exec_lo, s18
.LBB397_2852:                           ;   in Loop: Header=BB397_1567 Depth=1
	s_or_b32 exec_lo, exec_lo, s15
.LBB397_2853:                           ;   in Loop: Header=BB397_1567 Depth=1
	s_or_b32 exec_lo, exec_lo, s13
	v_mov_b32_e32 v10, v18
	v_cmp_ne_u16_sdwa s4, v18, v11 src0_sel:BYTE_0 src1_sel:DWORD
	v_mov_b32_e32 v34, 0
	v_mov_b32_e32 v33, 0
	s_and_saveexec_b32 s13, s4
	s_cbranch_execz .LBB397_2861
; %bb.2854:                             ;   in Loop: Header=BB397_1567 Depth=1
	v_cmp_ne_u16_sdwa s4, v18, v84 src0_sel:BYTE_0 src1_sel:DWORD
	v_bfrev_b32_e32 v33, 1
	s_and_saveexec_b32 s15, s4
	s_cbranch_execz .LBB397_2860
; %bb.2855:                             ;   in Loop: Header=BB397_1567 Depth=1
	v_and_b32_e32 v31, 0x7f, v18
	v_mov_b32_e32 v33, 0x7f800001
	s_mov_b32 s18, exec_lo
	v_cmpx_ne_u32_e32 0x7f, v31
	s_cbranch_execz .LBB397_2859
; %bb.2856:                             ;   in Loop: Header=BB397_1567 Depth=1
	v_mov_b32_e32 v20, v11
	v_mov_b32_e32 v19, v10
	v_lshrrev_b32_e32 v20, 3, v31
	s_mov_b32 s20, exec_lo
	v_cmpx_gt_u32_e32 8, v31
; %bb.2857:                             ;   in Loop: Header=BB397_1567 Depth=1
	v_and_b32_e32 v19, 7, v18
	v_ffbh_u32_e32 v19, v19
	v_min_u32_e32 v31, 32, v19
	v_subrev_nc_u32_e32 v19, 28, v31
	v_lshlrev_b64 v[19:20], v19, v[10:11]
	v_sub_nc_u32_e32 v20, 29, v31
; %bb.2858:                             ;   in Loop: Header=BB397_1567 Depth=1
	s_or_b32 exec_lo, exec_lo, s20
	v_lshlrev_b32_e32 v19, 20, v19
	v_lshlrev_b32_e32 v31, 24, v10
	v_lshl_add_u32 v20, v20, 23, 0x3c000000
	v_and_b32_e32 v19, 0x700000, v19
	v_and_b32_e32 v31, 0x80000000, v31
	v_or3_b32 v33, v19, v31, v20
.LBB397_2859:                           ;   in Loop: Header=BB397_1567 Depth=1
	s_or_b32 exec_lo, exec_lo, s18
.LBB397_2860:                           ;   in Loop: Header=BB397_1567 Depth=1
	s_or_b32 exec_lo, exec_lo, s15
.LBB397_2861:                           ;   in Loop: Header=BB397_1567 Depth=1
	s_or_b32 exec_lo, exec_lo, s13
	v_cmp_ne_u16_sdwa s4, v10, v11 src0_sel:BYTE_1 src1_sel:DWORD
	s_and_saveexec_b32 s13, s4
	s_cbranch_execz .LBB397_2869
; %bb.2862:                             ;   in Loop: Header=BB397_1567 Depth=1
	v_cmp_ne_u16_sdwa s4, v10, v84 src0_sel:BYTE_1 src1_sel:DWORD
	v_bfrev_b32_e32 v34, 1
	s_and_saveexec_b32 s15, s4
	s_cbranch_execz .LBB397_2868
; %bb.2863:                             ;   in Loop: Header=BB397_1567 Depth=1
	v_mov_b32_e32 v19, 0xffff
	v_mov_b32_e32 v34, 0x7f800001
	s_mov_b32 s18, exec_lo
	v_and_b32_sdwa v19, v19, v10 dst_sel:DWORD dst_unused:UNUSED_PAD src0_sel:DWORD src1_sel:BYTE_1
	v_and_b32_e32 v32, 0x7f, v19
	v_cmpx_ne_u32_e32 0x7f, v32
	s_cbranch_execz .LBB397_2867
; %bb.2864:                             ;   in Loop: Header=BB397_1567 Depth=1
	v_and_b32_e32 v19, 7, v19
	v_mov_b32_e32 v20, v11
	v_lshrrev_b32_e32 v31, 3, v32
	s_mov_b32 s20, exec_lo
	v_cmpx_gt_u32_e32 8, v32
; %bb.2865:                             ;   in Loop: Header=BB397_1567 Depth=1
	v_ffbh_u32_e32 v31, v19
	v_min_u32_e32 v31, 32, v31
	v_subrev_nc_u32_e32 v32, 28, v31
	v_sub_nc_u32_e32 v31, 29, v31
	v_lshlrev_b64 v[19:20], v32, v[19:20]
	v_and_b32_e32 v19, 7, v19
; %bb.2866:                             ;   in Loop: Header=BB397_1567 Depth=1
	s_or_b32 exec_lo, exec_lo, s20
	v_lshlrev_b32_e32 v10, 16, v10
	v_lshlrev_b32_e32 v19, 20, v19
	v_lshl_add_u32 v20, v31, 23, 0x3c000000
	v_and_b32_e32 v10, 0x80000000, v10
	v_or3_b32 v34, v19, v10, v20
.LBB397_2867:                           ;   in Loop: Header=BB397_1567 Depth=1
	s_or_b32 exec_lo, exec_lo, s18
.LBB397_2868:                           ;   in Loop: Header=BB397_1567 Depth=1
	s_or_b32 exec_lo, exec_lo, s15
.LBB397_2869:                           ;   in Loop: Header=BB397_1567 Depth=1
	s_or_b32 exec_lo, exec_lo, s13
	v_and_b32_sdwa v10, v18, v86 dst_sel:DWORD dst_unused:UNUSED_PAD src0_sel:WORD_1 src1_sel:DWORD
	v_mov_b32_e32 v31, 0
	v_mov_b32_e32 v32, 0
	s_mov_b32 s13, exec_lo
	v_cmpx_ne_u16_e32 0, v10
	s_cbranch_execz .LBB397_2877
; %bb.2870:                             ;   in Loop: Header=BB397_1567 Depth=1
	v_bfrev_b32_e32 v32, 1
	s_mov_b32 s15, exec_lo
	v_cmpx_ne_u16_e32 0x80, v10
	s_cbranch_execz .LBB397_2876
; %bb.2871:                             ;   in Loop: Header=BB397_1567 Depth=1
	v_bfe_u32 v35, v18, 16, 7
	v_mov_b32_e32 v32, 0x7f800001
	s_mov_b32 s18, exec_lo
	v_cmpx_ne_u32_e32 0x7f, v35
	s_cbranch_execz .LBB397_2875
; %bb.2872:                             ;   in Loop: Header=BB397_1567 Depth=1
	v_mov_b32_e32 v10, 7
	s_mov_b32 s20, exec_lo
	v_and_b32_sdwa v10, v18, v10 dst_sel:DWORD dst_unused:UNUSED_PAD src0_sel:WORD_1 src1_sel:DWORD
	v_mov_b32_e32 v20, v11
	v_lshrrev_b32_e32 v20, 3, v35
	v_mov_b32_e32 v19, v10
	v_cmpx_gt_u32_e32 8, v35
; %bb.2873:                             ;   in Loop: Header=BB397_1567 Depth=1
	v_ffbh_u32_e32 v19, v10
	v_min_u32_e32 v32, 32, v19
	v_subrev_nc_u32_e32 v19, 28, v32
	v_lshlrev_b64 v[19:20], v19, v[10:11]
	v_sub_nc_u32_e32 v20, 29, v32
	v_and_b32_e32 v19, 7, v19
; %bb.2874:                             ;   in Loop: Header=BB397_1567 Depth=1
	s_or_b32 exec_lo, exec_lo, s20
	v_mov_b32_e32 v10, 24
	v_lshlrev_b32_e32 v19, 20, v19
	v_lshl_add_u32 v20, v20, 23, 0x3c000000
	v_lshlrev_b32_sdwa v10, v10, v18 dst_sel:DWORD dst_unused:UNUSED_PAD src0_sel:DWORD src1_sel:WORD_1
	v_and_b32_e32 v10, 0x80000000, v10
	v_or3_b32 v32, v19, v10, v20
.LBB397_2875:                           ;   in Loop: Header=BB397_1567 Depth=1
	s_or_b32 exec_lo, exec_lo, s18
.LBB397_2876:                           ;   in Loop: Header=BB397_1567 Depth=1
	s_or_b32 exec_lo, exec_lo, s15
.LBB397_2877:                           ;   in Loop: Header=BB397_1567 Depth=1
	s_or_b32 exec_lo, exec_lo, s13
	s_mov_b32 s13, exec_lo
	v_cmpx_lt_u64_e64 s[8:9], v[17:18]
	s_cbranch_execz .LBB397_2885
; %bb.2878:                             ;   in Loop: Header=BB397_1567 Depth=1
	v_cmp_ne_u32_sdwa s4, v18, v84 src0_sel:BYTE_3 src1_sel:DWORD
	v_bfrev_b32_e32 v31, 1
	s_and_saveexec_b32 s15, s4
	s_cbranch_execz .LBB397_2884
; %bb.2879:                             ;   in Loop: Header=BB397_1567 Depth=1
	v_bfe_u32 v35, v18, 24, 7
	v_mov_b32_e32 v31, 0x7f800001
	s_mov_b32 s18, exec_lo
	v_cmpx_ne_u32_e32 0x7f, v35
	s_cbranch_execz .LBB397_2883
; %bb.2880:                             ;   in Loop: Header=BB397_1567 Depth=1
	v_mov_b32_e32 v10, 7
	v_lshrrev_b32_e32 v17, 3, v35
	s_mov_b32 s20, exec_lo
	v_and_b32_sdwa v10, v18, v10 dst_sel:DWORD dst_unused:UNUSED_PAD src0_sel:BYTE_3 src1_sel:DWORD
	v_mov_b32_e32 v20, v11
	v_mov_b32_e32 v19, v10
	v_cmpx_gt_u32_e32 8, v35
; %bb.2881:                             ;   in Loop: Header=BB397_1567 Depth=1
	v_ffbh_u32_e32 v17, v10
	v_min_u32_e32 v17, 32, v17
	v_subrev_nc_u32_e32 v19, 28, v17
	v_sub_nc_u32_e32 v17, 29, v17
	v_lshlrev_b64 v[19:20], v19, v[10:11]
	v_and_b32_e32 v19, 7, v19
; %bb.2882:                             ;   in Loop: Header=BB397_1567 Depth=1
	s_or_b32 exec_lo, exec_lo, s20
	v_mov_b32_e32 v10, 24
	v_lshl_add_u32 v17, v17, 23, 0x3c000000
	v_lshlrev_b32_sdwa v10, v10, v18 dst_sel:DWORD dst_unused:UNUSED_PAD src0_sel:DWORD src1_sel:BYTE_3
	v_lshlrev_b32_e32 v18, 20, v19
	v_and_b32_e32 v10, 0x80000000, v10
	v_or3_b32 v31, v18, v10, v17
.LBB397_2883:                           ;   in Loop: Header=BB397_1567 Depth=1
	s_or_b32 exec_lo, exec_lo, s18
.LBB397_2884:                           ;   in Loop: Header=BB397_1567 Depth=1
	s_or_b32 exec_lo, exec_lo, s15
.LBB397_2885:                           ;   in Loop: Header=BB397_1567 Depth=1
	s_or_b32 exec_lo, exec_lo, s13
	v_mul_f32_e32 v10, v26, v34
	v_bfe_u32 v17, v10, 16, 1
	v_or_b32_e32 v18, 0x400000, v10
	v_cmp_u_f32_e64 s4, v10, v10
	v_add3_u32 v17, v17, v10, 0x7fff
	v_cndmask_b32_e64 v10, v17, v18, s4
	v_lshrrev_b32_e32 v116, 16, v10
	v_mul_f32_e32 v10, v26, v33
	v_bfe_u32 v17, v10, 16, 1
	v_or_b32_e32 v18, 0x400000, v10
	v_cmp_u_f32_e64 s4, v10, v10
	v_add3_u32 v17, v17, v10, 0x7fff
	v_cndmask_b32_e64 v10, v17, v18, s4
	v_lshrrev_b32_e32 v117, 16, v10
	;; [unrolled: 7-line block ×8, first 2 shown]
	s_and_saveexec_b32 s13, vcc_lo
	s_cbranch_execz .LBB397_2887
; %bb.2886:                             ;   in Loop: Header=BB397_1567 Depth=1
	v_cmp_lt_i32_e64 s4, v89, v107
	v_cndmask_b32_e64 v42, 0, v42, s4
	v_cmp_lt_i32_e64 s4, v110, v107
	v_cndmask_b32_e64 v41, 0, v41, s4
	;; [unrolled: 2-line block ×8, first 2 shown]
.LBB397_2887:                           ;   in Loop: Header=BB397_1567 Depth=1
	s_or_b32 exec_lo, exec_lo, s13
	flat_load_dwordx2 v[17:18], v[14:15] offset:1024
	v_mov_b32_e32 v28, 0
	v_mov_b32_e32 v16, 0
	s_waitcnt vmcnt(0) lgkmcnt(0)
	v_cmp_ne_u16_sdwa s4, v17, v11 src0_sel:BYTE_0 src1_sel:DWORD
	s_and_saveexec_b32 s13, s4
	s_cbranch_execz .LBB397_2895
; %bb.2888:                             ;   in Loop: Header=BB397_1567 Depth=1
	v_cmp_ne_u16_sdwa s4, v17, v84 src0_sel:BYTE_0 src1_sel:DWORD
	v_bfrev_b32_e32 v16, 1
	s_and_saveexec_b32 s15, s4
	s_cbranch_execz .LBB397_2894
; %bb.2889:                             ;   in Loop: Header=BB397_1567 Depth=1
	v_and_b32_e32 v19, 0x7f, v17
	v_mov_b32_e32 v16, 0x7f800001
	s_mov_b32 s18, exec_lo
	v_cmpx_ne_u32_e32 0x7f, v19
	s_cbranch_execz .LBB397_2893
; %bb.2890:                             ;   in Loop: Header=BB397_1567 Depth=1
	v_lshrrev_b32_e32 v10, 3, v19
	v_cmp_gt_u32_e64 s4, 8, v19
	v_mov_b32_e32 v20, v18
	v_mov_b32_e32 v19, v17
	s_and_saveexec_b32 s20, s4
; %bb.2891:                             ;   in Loop: Header=BB397_1567 Depth=1
	v_and_b32_e32 v10, 7, v17
	v_ffbh_u32_e32 v10, v10
	v_min_u32_e32 v10, 32, v10
	v_subrev_nc_u32_e32 v16, 28, v10
	v_sub_nc_u32_e32 v10, 29, v10
	v_lshlrev_b64 v[19:20], v16, v[17:18]
; %bb.2892:                             ;   in Loop: Header=BB397_1567 Depth=1
	s_or_b32 exec_lo, exec_lo, s20
	v_lshlrev_b32_e32 v16, 20, v19
	v_lshlrev_b32_e32 v19, 24, v17
	v_lshl_add_u32 v10, v10, 23, 0x3c000000
	v_and_b32_e32 v16, 0x700000, v16
	v_and_b32_e32 v19, 0x80000000, v19
	v_or3_b32 v16, v16, v19, v10
.LBB397_2893:                           ;   in Loop: Header=BB397_1567 Depth=1
	s_or_b32 exec_lo, exec_lo, s18
.LBB397_2894:                           ;   in Loop: Header=BB397_1567 Depth=1
	s_or_b32 exec_lo, exec_lo, s15
.LBB397_2895:                           ;   in Loop: Header=BB397_1567 Depth=1
	s_or_b32 exec_lo, exec_lo, s13
	v_cmp_ne_u16_sdwa s4, v17, v11 src0_sel:BYTE_1 src1_sel:DWORD
	s_and_saveexec_b32 s13, s4
	s_cbranch_execz .LBB397_2903
; %bb.2896:                             ;   in Loop: Header=BB397_1567 Depth=1
	v_cmp_ne_u16_sdwa s4, v17, v84 src0_sel:BYTE_1 src1_sel:DWORD
	v_bfrev_b32_e32 v28, 1
	s_and_saveexec_b32 s15, s4
	s_cbranch_execz .LBB397_2902
; %bb.2897:                             ;   in Loop: Header=BB397_1567 Depth=1
	v_mov_b32_e32 v10, 0xffff
	v_mov_b32_e32 v28, 0x7f800001
	s_mov_b32 s18, exec_lo
	v_and_b32_sdwa v10, v10, v17 dst_sel:DWORD dst_unused:UNUSED_PAD src0_sel:DWORD src1_sel:BYTE_1
	v_and_b32_e32 v29, 0x7f, v10
	v_cmpx_ne_u32_e32 0x7f, v29
	s_cbranch_execz .LBB397_2901
; %bb.2898:                             ;   in Loop: Header=BB397_1567 Depth=1
	v_and_b32_e32 v10, 7, v10
	v_mov_b32_e32 v20, v11
	v_lshrrev_b32_e32 v20, 3, v29
	s_mov_b32 s20, exec_lo
	v_mov_b32_e32 v19, v10
	v_cmpx_gt_u32_e32 8, v29
; %bb.2899:                             ;   in Loop: Header=BB397_1567 Depth=1
	v_ffbh_u32_e32 v19, v10
	v_min_u32_e32 v28, 32, v19
	v_subrev_nc_u32_e32 v19, 28, v28
	v_lshlrev_b64 v[19:20], v19, v[10:11]
	v_sub_nc_u32_e32 v20, 29, v28
	v_and_b32_e32 v19, 7, v19
; %bb.2900:                             ;   in Loop: Header=BB397_1567 Depth=1
	s_or_b32 exec_lo, exec_lo, s20
	v_lshlrev_b32_e32 v10, 16, v17
	v_lshlrev_b32_e32 v19, 20, v19
	v_lshl_add_u32 v20, v20, 23, 0x3c000000
	v_and_b32_e32 v10, 0x80000000, v10
	v_or3_b32 v28, v19, v10, v20
.LBB397_2901:                           ;   in Loop: Header=BB397_1567 Depth=1
	s_or_b32 exec_lo, exec_lo, s18
.LBB397_2902:                           ;   in Loop: Header=BB397_1567 Depth=1
	s_or_b32 exec_lo, exec_lo, s15
.LBB397_2903:                           ;   in Loop: Header=BB397_1567 Depth=1
	s_or_b32 exec_lo, exec_lo, s13
	v_and_b32_sdwa v10, v17, v86 dst_sel:DWORD dst_unused:UNUSED_PAD src0_sel:WORD_1 src1_sel:DWORD
	v_mov_b32_e32 v30, 0
	v_mov_b32_e32 v29, 0
	s_mov_b32 s13, exec_lo
	v_cmpx_ne_u16_e32 0, v10
	s_cbranch_execz .LBB397_2911
; %bb.2904:                             ;   in Loop: Header=BB397_1567 Depth=1
	v_bfrev_b32_e32 v29, 1
	s_mov_b32 s15, exec_lo
	v_cmpx_ne_u16_e32 0x80, v10
	s_cbranch_execz .LBB397_2910
; %bb.2905:                             ;   in Loop: Header=BB397_1567 Depth=1
	v_bfe_u32 v31, v17, 16, 7
	v_mov_b32_e32 v29, 0x7f800001
	s_mov_b32 s18, exec_lo
	v_cmpx_ne_u32_e32 0x7f, v31
	s_cbranch_execz .LBB397_2909
; %bb.2906:                             ;   in Loop: Header=BB397_1567 Depth=1
	v_mov_b32_e32 v10, 7
	s_mov_b32 s20, exec_lo
	v_and_b32_sdwa v10, v17, v10 dst_sel:DWORD dst_unused:UNUSED_PAD src0_sel:WORD_1 src1_sel:DWORD
	v_mov_b32_e32 v20, v11
	v_lshrrev_b32_e32 v20, 3, v31
	v_mov_b32_e32 v19, v10
	v_cmpx_gt_u32_e32 8, v31
; %bb.2907:                             ;   in Loop: Header=BB397_1567 Depth=1
	v_ffbh_u32_e32 v19, v10
	v_min_u32_e32 v29, 32, v19
	v_subrev_nc_u32_e32 v19, 28, v29
	v_lshlrev_b64 v[19:20], v19, v[10:11]
	v_sub_nc_u32_e32 v20, 29, v29
	v_and_b32_e32 v19, 7, v19
; %bb.2908:                             ;   in Loop: Header=BB397_1567 Depth=1
	s_or_b32 exec_lo, exec_lo, s20
	v_mov_b32_e32 v10, 24
	v_lshlrev_b32_e32 v19, 20, v19
	v_lshl_add_u32 v20, v20, 23, 0x3c000000
	v_lshlrev_b32_sdwa v10, v10, v17 dst_sel:DWORD dst_unused:UNUSED_PAD src0_sel:DWORD src1_sel:WORD_1
	v_and_b32_e32 v10, 0x80000000, v10
	v_or3_b32 v29, v19, v10, v20
.LBB397_2909:                           ;   in Loop: Header=BB397_1567 Depth=1
	s_or_b32 exec_lo, exec_lo, s18
.LBB397_2910:                           ;   in Loop: Header=BB397_1567 Depth=1
	s_or_b32 exec_lo, exec_lo, s15
.LBB397_2911:                           ;   in Loop: Header=BB397_1567 Depth=1
	s_or_b32 exec_lo, exec_lo, s13
	s_mov_b32 s13, exec_lo
	v_cmpx_lt_u32_e32 0xffffff, v17
	s_cbranch_execz .LBB397_2919
; %bb.2912:                             ;   in Loop: Header=BB397_1567 Depth=1
	v_cmp_ne_u32_sdwa s4, v17, v84 src0_sel:BYTE_3 src1_sel:DWORD
	v_bfrev_b32_e32 v30, 1
	s_and_saveexec_b32 s15, s4
	s_cbranch_execz .LBB397_2918
; %bb.2913:                             ;   in Loop: Header=BB397_1567 Depth=1
	v_bfe_u32 v31, v17, 24, 7
	v_mov_b32_e32 v30, 0x7f800001
	s_mov_b32 s18, exec_lo
	v_cmpx_ne_u32_e32 0x7f, v31
	s_cbranch_execz .LBB397_2917
; %bb.2914:                             ;   in Loop: Header=BB397_1567 Depth=1
	v_mov_b32_e32 v10, 7
	s_mov_b32 s20, exec_lo
	v_and_b32_sdwa v10, v17, v10 dst_sel:DWORD dst_unused:UNUSED_PAD src0_sel:BYTE_3 src1_sel:DWORD
	v_mov_b32_e32 v20, v11
	v_lshrrev_b32_e32 v20, 3, v31
	v_mov_b32_e32 v19, v10
	v_cmpx_gt_u32_e32 8, v31
; %bb.2915:                             ;   in Loop: Header=BB397_1567 Depth=1
	v_ffbh_u32_e32 v19, v10
	v_min_u32_e32 v30, 32, v19
	v_subrev_nc_u32_e32 v19, 28, v30
	v_lshlrev_b64 v[19:20], v19, v[10:11]
	v_sub_nc_u32_e32 v20, 29, v30
	v_and_b32_e32 v19, 7, v19
; %bb.2916:                             ;   in Loop: Header=BB397_1567 Depth=1
	s_or_b32 exec_lo, exec_lo, s20
	v_mov_b32_e32 v10, 24
	v_lshlrev_b32_e32 v19, 20, v19
	v_lshl_add_u32 v20, v20, 23, 0x3c000000
	v_lshlrev_b32_sdwa v10, v10, v17 dst_sel:DWORD dst_unused:UNUSED_PAD src0_sel:DWORD src1_sel:BYTE_3
	v_and_b32_e32 v10, 0x80000000, v10
	v_or3_b32 v30, v19, v10, v20
.LBB397_2917:                           ;   in Loop: Header=BB397_1567 Depth=1
	s_or_b32 exec_lo, exec_lo, s18
.LBB397_2918:                           ;   in Loop: Header=BB397_1567 Depth=1
	s_or_b32 exec_lo, exec_lo, s15
.LBB397_2919:                           ;   in Loop: Header=BB397_1567 Depth=1
	s_or_b32 exec_lo, exec_lo, s13
	v_mov_b32_e32 v10, v18
	v_cmp_ne_u16_sdwa s4, v18, v11 src0_sel:BYTE_0 src1_sel:DWORD
	v_mov_b32_e32 v34, 0
	v_mov_b32_e32 v33, 0
	s_and_saveexec_b32 s13, s4
	s_cbranch_execz .LBB397_2927
; %bb.2920:                             ;   in Loop: Header=BB397_1567 Depth=1
	v_cmp_ne_u16_sdwa s4, v18, v84 src0_sel:BYTE_0 src1_sel:DWORD
	v_bfrev_b32_e32 v33, 1
	s_and_saveexec_b32 s15, s4
	s_cbranch_execz .LBB397_2926
; %bb.2921:                             ;   in Loop: Header=BB397_1567 Depth=1
	v_and_b32_e32 v31, 0x7f, v18
	v_mov_b32_e32 v33, 0x7f800001
	s_mov_b32 s18, exec_lo
	v_cmpx_ne_u32_e32 0x7f, v31
	s_cbranch_execz .LBB397_2925
; %bb.2922:                             ;   in Loop: Header=BB397_1567 Depth=1
	v_mov_b32_e32 v20, v11
	v_mov_b32_e32 v19, v10
	v_lshrrev_b32_e32 v20, 3, v31
	s_mov_b32 s20, exec_lo
	v_cmpx_gt_u32_e32 8, v31
; %bb.2923:                             ;   in Loop: Header=BB397_1567 Depth=1
	v_and_b32_e32 v19, 7, v18
	v_ffbh_u32_e32 v19, v19
	v_min_u32_e32 v31, 32, v19
	v_subrev_nc_u32_e32 v19, 28, v31
	v_lshlrev_b64 v[19:20], v19, v[10:11]
	v_sub_nc_u32_e32 v20, 29, v31
; %bb.2924:                             ;   in Loop: Header=BB397_1567 Depth=1
	s_or_b32 exec_lo, exec_lo, s20
	v_lshlrev_b32_e32 v19, 20, v19
	v_lshlrev_b32_e32 v31, 24, v10
	v_lshl_add_u32 v20, v20, 23, 0x3c000000
	v_and_b32_e32 v19, 0x700000, v19
	v_and_b32_e32 v31, 0x80000000, v31
	v_or3_b32 v33, v19, v31, v20
.LBB397_2925:                           ;   in Loop: Header=BB397_1567 Depth=1
	s_or_b32 exec_lo, exec_lo, s18
.LBB397_2926:                           ;   in Loop: Header=BB397_1567 Depth=1
	s_or_b32 exec_lo, exec_lo, s15
.LBB397_2927:                           ;   in Loop: Header=BB397_1567 Depth=1
	s_or_b32 exec_lo, exec_lo, s13
	v_cmp_ne_u16_sdwa s4, v10, v11 src0_sel:BYTE_1 src1_sel:DWORD
	s_and_saveexec_b32 s13, s4
	s_cbranch_execz .LBB397_2935
; %bb.2928:                             ;   in Loop: Header=BB397_1567 Depth=1
	v_cmp_ne_u16_sdwa s4, v10, v84 src0_sel:BYTE_1 src1_sel:DWORD
	v_bfrev_b32_e32 v34, 1
	s_and_saveexec_b32 s15, s4
	s_cbranch_execz .LBB397_2934
; %bb.2929:                             ;   in Loop: Header=BB397_1567 Depth=1
	v_mov_b32_e32 v19, 0xffff
	v_mov_b32_e32 v34, 0x7f800001
	s_mov_b32 s18, exec_lo
	v_and_b32_sdwa v19, v19, v10 dst_sel:DWORD dst_unused:UNUSED_PAD src0_sel:DWORD src1_sel:BYTE_1
	v_and_b32_e32 v32, 0x7f, v19
	v_cmpx_ne_u32_e32 0x7f, v32
	s_cbranch_execz .LBB397_2933
; %bb.2930:                             ;   in Loop: Header=BB397_1567 Depth=1
	v_and_b32_e32 v19, 7, v19
	v_mov_b32_e32 v20, v11
	v_lshrrev_b32_e32 v31, 3, v32
	s_mov_b32 s20, exec_lo
	v_cmpx_gt_u32_e32 8, v32
; %bb.2931:                             ;   in Loop: Header=BB397_1567 Depth=1
	v_ffbh_u32_e32 v31, v19
	v_min_u32_e32 v31, 32, v31
	v_subrev_nc_u32_e32 v32, 28, v31
	v_sub_nc_u32_e32 v31, 29, v31
	v_lshlrev_b64 v[19:20], v32, v[19:20]
	v_and_b32_e32 v19, 7, v19
; %bb.2932:                             ;   in Loop: Header=BB397_1567 Depth=1
	s_or_b32 exec_lo, exec_lo, s20
	v_lshlrev_b32_e32 v10, 16, v10
	v_lshlrev_b32_e32 v19, 20, v19
	v_lshl_add_u32 v20, v31, 23, 0x3c000000
	v_and_b32_e32 v10, 0x80000000, v10
	v_or3_b32 v34, v19, v10, v20
.LBB397_2933:                           ;   in Loop: Header=BB397_1567 Depth=1
	s_or_b32 exec_lo, exec_lo, s18
.LBB397_2934:                           ;   in Loop: Header=BB397_1567 Depth=1
	s_or_b32 exec_lo, exec_lo, s15
.LBB397_2935:                           ;   in Loop: Header=BB397_1567 Depth=1
	s_or_b32 exec_lo, exec_lo, s13
	v_and_b32_sdwa v10, v18, v86 dst_sel:DWORD dst_unused:UNUSED_PAD src0_sel:WORD_1 src1_sel:DWORD
	v_mov_b32_e32 v31, 0
	v_mov_b32_e32 v32, 0
	s_mov_b32 s13, exec_lo
	v_cmpx_ne_u16_e32 0, v10
	s_cbranch_execz .LBB397_2943
; %bb.2936:                             ;   in Loop: Header=BB397_1567 Depth=1
	v_bfrev_b32_e32 v32, 1
	s_mov_b32 s15, exec_lo
	v_cmpx_ne_u16_e32 0x80, v10
	s_cbranch_execz .LBB397_2942
; %bb.2937:                             ;   in Loop: Header=BB397_1567 Depth=1
	v_bfe_u32 v35, v18, 16, 7
	v_mov_b32_e32 v32, 0x7f800001
	s_mov_b32 s18, exec_lo
	v_cmpx_ne_u32_e32 0x7f, v35
	s_cbranch_execz .LBB397_2941
; %bb.2938:                             ;   in Loop: Header=BB397_1567 Depth=1
	v_mov_b32_e32 v10, 7
	s_mov_b32 s20, exec_lo
	v_and_b32_sdwa v10, v18, v10 dst_sel:DWORD dst_unused:UNUSED_PAD src0_sel:WORD_1 src1_sel:DWORD
	v_mov_b32_e32 v20, v11
	v_lshrrev_b32_e32 v20, 3, v35
	v_mov_b32_e32 v19, v10
	v_cmpx_gt_u32_e32 8, v35
; %bb.2939:                             ;   in Loop: Header=BB397_1567 Depth=1
	v_ffbh_u32_e32 v19, v10
	v_min_u32_e32 v32, 32, v19
	v_subrev_nc_u32_e32 v19, 28, v32
	v_lshlrev_b64 v[19:20], v19, v[10:11]
	v_sub_nc_u32_e32 v20, 29, v32
	v_and_b32_e32 v19, 7, v19
; %bb.2940:                             ;   in Loop: Header=BB397_1567 Depth=1
	s_or_b32 exec_lo, exec_lo, s20
	v_mov_b32_e32 v10, 24
	v_lshlrev_b32_e32 v19, 20, v19
	v_lshl_add_u32 v20, v20, 23, 0x3c000000
	v_lshlrev_b32_sdwa v10, v10, v18 dst_sel:DWORD dst_unused:UNUSED_PAD src0_sel:DWORD src1_sel:WORD_1
	v_and_b32_e32 v10, 0x80000000, v10
	v_or3_b32 v32, v19, v10, v20
.LBB397_2941:                           ;   in Loop: Header=BB397_1567 Depth=1
	s_or_b32 exec_lo, exec_lo, s18
.LBB397_2942:                           ;   in Loop: Header=BB397_1567 Depth=1
	s_or_b32 exec_lo, exec_lo, s15
.LBB397_2943:                           ;   in Loop: Header=BB397_1567 Depth=1
	s_or_b32 exec_lo, exec_lo, s13
	s_mov_b32 s13, exec_lo
	v_cmpx_lt_u64_e64 s[8:9], v[17:18]
	s_cbranch_execz .LBB397_2951
; %bb.2944:                             ;   in Loop: Header=BB397_1567 Depth=1
	v_cmp_ne_u32_sdwa s4, v18, v84 src0_sel:BYTE_3 src1_sel:DWORD
	v_bfrev_b32_e32 v31, 1
	s_and_saveexec_b32 s15, s4
	s_cbranch_execz .LBB397_2950
; %bb.2945:                             ;   in Loop: Header=BB397_1567 Depth=1
	v_bfe_u32 v35, v18, 24, 7
	v_mov_b32_e32 v31, 0x7f800001
	s_mov_b32 s18, exec_lo
	v_cmpx_ne_u32_e32 0x7f, v35
	s_cbranch_execz .LBB397_2949
; %bb.2946:                             ;   in Loop: Header=BB397_1567 Depth=1
	v_mov_b32_e32 v10, 7
	v_lshrrev_b32_e32 v17, 3, v35
	s_mov_b32 s20, exec_lo
	v_and_b32_sdwa v10, v18, v10 dst_sel:DWORD dst_unused:UNUSED_PAD src0_sel:BYTE_3 src1_sel:DWORD
	v_mov_b32_e32 v20, v11
	v_mov_b32_e32 v19, v10
	v_cmpx_gt_u32_e32 8, v35
; %bb.2947:                             ;   in Loop: Header=BB397_1567 Depth=1
	v_ffbh_u32_e32 v17, v10
	v_min_u32_e32 v17, 32, v17
	v_subrev_nc_u32_e32 v19, 28, v17
	v_sub_nc_u32_e32 v17, 29, v17
	v_lshlrev_b64 v[19:20], v19, v[10:11]
	v_and_b32_e32 v19, 7, v19
; %bb.2948:                             ;   in Loop: Header=BB397_1567 Depth=1
	s_or_b32 exec_lo, exec_lo, s20
	v_mov_b32_e32 v10, 24
	v_lshl_add_u32 v17, v17, 23, 0x3c000000
	v_lshlrev_b32_sdwa v10, v10, v18 dst_sel:DWORD dst_unused:UNUSED_PAD src0_sel:DWORD src1_sel:BYTE_3
	v_lshlrev_b32_e32 v18, 20, v19
	v_and_b32_e32 v10, 0x80000000, v10
	v_or3_b32 v31, v18, v10, v17
.LBB397_2949:                           ;   in Loop: Header=BB397_1567 Depth=1
	s_or_b32 exec_lo, exec_lo, s18
.LBB397_2950:                           ;   in Loop: Header=BB397_1567 Depth=1
	s_or_b32 exec_lo, exec_lo, s15
.LBB397_2951:                           ;   in Loop: Header=BB397_1567 Depth=1
	s_or_b32 exec_lo, exec_lo, s13
	v_mul_f32_e32 v10, v26, v34
	v_bfe_u32 v17, v10, 16, 1
	v_or_b32_e32 v18, 0x400000, v10
	v_cmp_u_f32_e64 s4, v10, v10
	v_add3_u32 v17, v17, v10, 0x7fff
	v_cndmask_b32_e64 v10, v17, v18, s4
	v_lshrrev_b32_e32 v44, 16, v10
	v_mul_f32_e32 v10, v26, v33
	v_bfe_u32 v17, v10, 16, 1
	v_or_b32_e32 v18, 0x400000, v10
	v_cmp_u_f32_e64 s4, v10, v10
	v_add3_u32 v17, v17, v10, 0x7fff
	v_cndmask_b32_e64 v10, v17, v18, s4
	v_lshrrev_b32_e32 v45, 16, v10
	;; [unrolled: 7-line block ×8, first 2 shown]
	s_and_saveexec_b32 s13, vcc_lo
	s_cbranch_execz .LBB397_2953
; %bb.2952:                             ;   in Loop: Header=BB397_1567 Depth=1
	v_cmp_lt_i32_e64 s4, v89, v107
	v_cndmask_b32_e64 v47, 0, v47, s4
	v_cmp_lt_i32_e64 s4, v110, v107
	v_cndmask_b32_e64 v96, 0, v96, s4
	v_cmp_lt_i32_e64 s4, v106, v107
	v_cndmask_b32_e64 v85, 0, v85, s4
	v_cmp_lt_i32_e64 s4, v73, v107
	v_cndmask_b32_e64 v46, 0, v46, s4
	v_cmp_lt_i32_e64 s4, v105, v107
	v_cndmask_b32_e64 v45, 0, v45, s4
	v_cmp_lt_i32_e64 s4, v104, v107
	v_cndmask_b32_e64 v44, 0, v44, s4
	v_cmp_lt_i32_e64 s4, v94, v107
	v_cndmask_b32_e64 v87, 0, v87, s4
	v_cmp_lt_i32_e64 s4, v93, v107
	v_cndmask_b32_e64 v56, 0, v56, s4
.LBB397_2953:                           ;   in Loop: Header=BB397_1567 Depth=1
	s_or_b32 exec_lo, exec_lo, s13
	flat_load_dwordx2 v[17:18], v[14:15] offset:1280
	v_mov_b32_e32 v30, 0
	v_mov_b32_e32 v16, 0
	s_waitcnt vmcnt(0) lgkmcnt(0)
	v_cmp_ne_u16_sdwa s4, v17, v11 src0_sel:BYTE_0 src1_sel:DWORD
	s_and_saveexec_b32 s13, s4
	s_cbranch_execz .LBB397_2961
; %bb.2954:                             ;   in Loop: Header=BB397_1567 Depth=1
	v_cmp_ne_u16_sdwa s4, v17, v84 src0_sel:BYTE_0 src1_sel:DWORD
	v_bfrev_b32_e32 v16, 1
	s_and_saveexec_b32 s15, s4
	s_cbranch_execz .LBB397_2960
; %bb.2955:                             ;   in Loop: Header=BB397_1567 Depth=1
	v_and_b32_e32 v19, 0x7f, v17
	v_mov_b32_e32 v16, 0x7f800001
	s_mov_b32 s18, exec_lo
	v_cmpx_ne_u32_e32 0x7f, v19
	s_cbranch_execz .LBB397_2959
; %bb.2956:                             ;   in Loop: Header=BB397_1567 Depth=1
	v_lshrrev_b32_e32 v10, 3, v19
	v_cmp_gt_u32_e64 s4, 8, v19
	v_mov_b32_e32 v20, v18
	v_mov_b32_e32 v19, v17
	s_and_saveexec_b32 s20, s4
; %bb.2957:                             ;   in Loop: Header=BB397_1567 Depth=1
	v_and_b32_e32 v10, 7, v17
	v_ffbh_u32_e32 v10, v10
	v_min_u32_e32 v10, 32, v10
	v_subrev_nc_u32_e32 v16, 28, v10
	v_sub_nc_u32_e32 v10, 29, v10
	v_lshlrev_b64 v[19:20], v16, v[17:18]
; %bb.2958:                             ;   in Loop: Header=BB397_1567 Depth=1
	s_or_b32 exec_lo, exec_lo, s20
	v_lshlrev_b32_e32 v16, 20, v19
	v_lshlrev_b32_e32 v19, 24, v17
	v_lshl_add_u32 v10, v10, 23, 0x3c000000
	v_and_b32_e32 v16, 0x700000, v16
	v_and_b32_e32 v19, 0x80000000, v19
	v_or3_b32 v16, v16, v19, v10
.LBB397_2959:                           ;   in Loop: Header=BB397_1567 Depth=1
	s_or_b32 exec_lo, exec_lo, s18
.LBB397_2960:                           ;   in Loop: Header=BB397_1567 Depth=1
	s_or_b32 exec_lo, exec_lo, s15
.LBB397_2961:                           ;   in Loop: Header=BB397_1567 Depth=1
	s_or_b32 exec_lo, exec_lo, s13
	v_cmp_ne_u16_sdwa s4, v17, v11 src0_sel:BYTE_1 src1_sel:DWORD
	s_and_saveexec_b32 s13, s4
	s_cbranch_execz .LBB397_2969
; %bb.2962:                             ;   in Loop: Header=BB397_1567 Depth=1
	v_cmp_ne_u16_sdwa s4, v17, v84 src0_sel:BYTE_1 src1_sel:DWORD
	v_bfrev_b32_e32 v30, 1
	s_and_saveexec_b32 s15, s4
	s_cbranch_execz .LBB397_2968
; %bb.2963:                             ;   in Loop: Header=BB397_1567 Depth=1
	v_mov_b32_e32 v10, 0xffff
	v_mov_b32_e32 v30, 0x7f800001
	s_mov_b32 s18, exec_lo
	v_and_b32_sdwa v10, v10, v17 dst_sel:DWORD dst_unused:UNUSED_PAD src0_sel:DWORD src1_sel:BYTE_1
	v_and_b32_e32 v28, 0x7f, v10
	v_cmpx_ne_u32_e32 0x7f, v28
	s_cbranch_execz .LBB397_2967
; %bb.2964:                             ;   in Loop: Header=BB397_1567 Depth=1
	v_and_b32_e32 v10, 7, v10
	v_mov_b32_e32 v20, v11
	v_lshrrev_b32_e32 v20, 3, v28
	s_mov_b32 s20, exec_lo
	v_mov_b32_e32 v19, v10
	v_cmpx_gt_u32_e32 8, v28
; %bb.2965:                             ;   in Loop: Header=BB397_1567 Depth=1
	v_ffbh_u32_e32 v19, v10
	v_min_u32_e32 v28, 32, v19
	v_subrev_nc_u32_e32 v19, 28, v28
	v_lshlrev_b64 v[19:20], v19, v[10:11]
	v_sub_nc_u32_e32 v20, 29, v28
	v_and_b32_e32 v19, 7, v19
; %bb.2966:                             ;   in Loop: Header=BB397_1567 Depth=1
	s_or_b32 exec_lo, exec_lo, s20
	v_lshlrev_b32_e32 v10, 16, v17
	v_lshlrev_b32_e32 v19, 20, v19
	v_lshl_add_u32 v20, v20, 23, 0x3c000000
	v_and_b32_e32 v10, 0x80000000, v10
	v_or3_b32 v30, v19, v10, v20
.LBB397_2967:                           ;   in Loop: Header=BB397_1567 Depth=1
	s_or_b32 exec_lo, exec_lo, s18
.LBB397_2968:                           ;   in Loop: Header=BB397_1567 Depth=1
	s_or_b32 exec_lo, exec_lo, s15
.LBB397_2969:                           ;   in Loop: Header=BB397_1567 Depth=1
	s_or_b32 exec_lo, exec_lo, s13
	v_and_b32_sdwa v10, v17, v86 dst_sel:DWORD dst_unused:UNUSED_PAD src0_sel:WORD_1 src1_sel:DWORD
	v_mov_b32_e32 v28, 0
	v_mov_b32_e32 v29, 0
	s_mov_b32 s13, exec_lo
	v_cmpx_ne_u16_e32 0, v10
	s_cbranch_execz .LBB397_2977
; %bb.2970:                             ;   in Loop: Header=BB397_1567 Depth=1
	v_bfrev_b32_e32 v29, 1
	s_mov_b32 s15, exec_lo
	v_cmpx_ne_u16_e32 0x80, v10
	s_cbranch_execz .LBB397_2976
; %bb.2971:                             ;   in Loop: Header=BB397_1567 Depth=1
	v_bfe_u32 v31, v17, 16, 7
	v_mov_b32_e32 v29, 0x7f800001
	s_mov_b32 s18, exec_lo
	v_cmpx_ne_u32_e32 0x7f, v31
	s_cbranch_execz .LBB397_2975
; %bb.2972:                             ;   in Loop: Header=BB397_1567 Depth=1
	v_mov_b32_e32 v10, 7
	s_mov_b32 s20, exec_lo
	v_and_b32_sdwa v10, v17, v10 dst_sel:DWORD dst_unused:UNUSED_PAD src0_sel:WORD_1 src1_sel:DWORD
	v_mov_b32_e32 v20, v11
	v_lshrrev_b32_e32 v20, 3, v31
	v_mov_b32_e32 v19, v10
	v_cmpx_gt_u32_e32 8, v31
; %bb.2973:                             ;   in Loop: Header=BB397_1567 Depth=1
	v_ffbh_u32_e32 v19, v10
	v_min_u32_e32 v29, 32, v19
	v_subrev_nc_u32_e32 v19, 28, v29
	v_lshlrev_b64 v[19:20], v19, v[10:11]
	v_sub_nc_u32_e32 v20, 29, v29
	v_and_b32_e32 v19, 7, v19
; %bb.2974:                             ;   in Loop: Header=BB397_1567 Depth=1
	s_or_b32 exec_lo, exec_lo, s20
	v_mov_b32_e32 v10, 24
	v_lshlrev_b32_e32 v19, 20, v19
	v_lshl_add_u32 v20, v20, 23, 0x3c000000
	v_lshlrev_b32_sdwa v10, v10, v17 dst_sel:DWORD dst_unused:UNUSED_PAD src0_sel:DWORD src1_sel:WORD_1
	v_and_b32_e32 v10, 0x80000000, v10
	v_or3_b32 v29, v19, v10, v20
.LBB397_2975:                           ;   in Loop: Header=BB397_1567 Depth=1
	s_or_b32 exec_lo, exec_lo, s18
.LBB397_2976:                           ;   in Loop: Header=BB397_1567 Depth=1
	s_or_b32 exec_lo, exec_lo, s15
.LBB397_2977:                           ;   in Loop: Header=BB397_1567 Depth=1
	s_or_b32 exec_lo, exec_lo, s13
	s_mov_b32 s13, exec_lo
	v_cmpx_lt_u32_e32 0xffffff, v17
	s_cbranch_execz .LBB397_2985
; %bb.2978:                             ;   in Loop: Header=BB397_1567 Depth=1
	v_cmp_ne_u32_sdwa s4, v17, v84 src0_sel:BYTE_3 src1_sel:DWORD
	v_bfrev_b32_e32 v28, 1
	s_and_saveexec_b32 s15, s4
	s_cbranch_execz .LBB397_2984
; %bb.2979:                             ;   in Loop: Header=BB397_1567 Depth=1
	v_bfe_u32 v31, v17, 24, 7
	v_mov_b32_e32 v28, 0x7f800001
	s_mov_b32 s18, exec_lo
	v_cmpx_ne_u32_e32 0x7f, v31
	s_cbranch_execz .LBB397_2983
; %bb.2980:                             ;   in Loop: Header=BB397_1567 Depth=1
	v_mov_b32_e32 v10, 7
	s_mov_b32 s20, exec_lo
	v_and_b32_sdwa v10, v17, v10 dst_sel:DWORD dst_unused:UNUSED_PAD src0_sel:BYTE_3 src1_sel:DWORD
	v_mov_b32_e32 v20, v11
	v_lshrrev_b32_e32 v20, 3, v31
	v_mov_b32_e32 v19, v10
	v_cmpx_gt_u32_e32 8, v31
; %bb.2981:                             ;   in Loop: Header=BB397_1567 Depth=1
	v_ffbh_u32_e32 v19, v10
	v_min_u32_e32 v28, 32, v19
	v_subrev_nc_u32_e32 v19, 28, v28
	v_lshlrev_b64 v[19:20], v19, v[10:11]
	v_sub_nc_u32_e32 v20, 29, v28
	v_and_b32_e32 v19, 7, v19
; %bb.2982:                             ;   in Loop: Header=BB397_1567 Depth=1
	s_or_b32 exec_lo, exec_lo, s20
	v_mov_b32_e32 v10, 24
	v_lshlrev_b32_e32 v19, 20, v19
	v_lshl_add_u32 v20, v20, 23, 0x3c000000
	v_lshlrev_b32_sdwa v10, v10, v17 dst_sel:DWORD dst_unused:UNUSED_PAD src0_sel:DWORD src1_sel:BYTE_3
	v_and_b32_e32 v10, 0x80000000, v10
	v_or3_b32 v28, v19, v10, v20
.LBB397_2983:                           ;   in Loop: Header=BB397_1567 Depth=1
	s_or_b32 exec_lo, exec_lo, s18
.LBB397_2984:                           ;   in Loop: Header=BB397_1567 Depth=1
	s_or_b32 exec_lo, exec_lo, s15
.LBB397_2985:                           ;   in Loop: Header=BB397_1567 Depth=1
	s_or_b32 exec_lo, exec_lo, s13
	v_mov_b32_e32 v10, v18
	v_cmp_ne_u16_sdwa s4, v18, v11 src0_sel:BYTE_0 src1_sel:DWORD
	v_mov_b32_e32 v32, 0
	v_mov_b32_e32 v31, 0
	s_and_saveexec_b32 s13, s4
	s_cbranch_execz .LBB397_2993
; %bb.2986:                             ;   in Loop: Header=BB397_1567 Depth=1
	v_cmp_ne_u16_sdwa s4, v18, v84 src0_sel:BYTE_0 src1_sel:DWORD
	v_bfrev_b32_e32 v31, 1
	s_and_saveexec_b32 s15, s4
	s_cbranch_execz .LBB397_2992
; %bb.2987:                             ;   in Loop: Header=BB397_1567 Depth=1
	v_and_b32_e32 v33, 0x7f, v18
	v_mov_b32_e32 v31, 0x7f800001
	s_mov_b32 s18, exec_lo
	v_cmpx_ne_u32_e32 0x7f, v33
	s_cbranch_execz .LBB397_2991
; %bb.2988:                             ;   in Loop: Header=BB397_1567 Depth=1
	v_mov_b32_e32 v20, v11
	v_mov_b32_e32 v19, v10
	v_lshrrev_b32_e32 v20, 3, v33
	s_mov_b32 s20, exec_lo
	v_cmpx_gt_u32_e32 8, v33
; %bb.2989:                             ;   in Loop: Header=BB397_1567 Depth=1
	v_and_b32_e32 v19, 7, v18
	v_ffbh_u32_e32 v19, v19
	v_min_u32_e32 v31, 32, v19
	v_subrev_nc_u32_e32 v19, 28, v31
	v_lshlrev_b64 v[19:20], v19, v[10:11]
	v_sub_nc_u32_e32 v20, 29, v31
; %bb.2990:                             ;   in Loop: Header=BB397_1567 Depth=1
	s_or_b32 exec_lo, exec_lo, s20
	v_lshlrev_b32_e32 v19, 20, v19
	v_lshlrev_b32_e32 v31, 24, v10
	v_lshl_add_u32 v20, v20, 23, 0x3c000000
	v_and_b32_e32 v19, 0x700000, v19
	v_and_b32_e32 v31, 0x80000000, v31
	v_or3_b32 v31, v19, v31, v20
.LBB397_2991:                           ;   in Loop: Header=BB397_1567 Depth=1
	s_or_b32 exec_lo, exec_lo, s18
.LBB397_2992:                           ;   in Loop: Header=BB397_1567 Depth=1
	s_or_b32 exec_lo, exec_lo, s15
.LBB397_2993:                           ;   in Loop: Header=BB397_1567 Depth=1
	s_or_b32 exec_lo, exec_lo, s13
	v_cmp_ne_u16_sdwa s4, v10, v11 src0_sel:BYTE_1 src1_sel:DWORD
	s_and_saveexec_b32 s13, s4
	s_cbranch_execz .LBB397_3001
; %bb.2994:                             ;   in Loop: Header=BB397_1567 Depth=1
	v_cmp_ne_u16_sdwa s4, v10, v84 src0_sel:BYTE_1 src1_sel:DWORD
	v_bfrev_b32_e32 v32, 1
	s_and_saveexec_b32 s15, s4
	s_cbranch_execz .LBB397_3000
; %bb.2995:                             ;   in Loop: Header=BB397_1567 Depth=1
	v_mov_b32_e32 v19, 0xffff
	v_mov_b32_e32 v32, 0x7f800001
	s_mov_b32 s18, exec_lo
	v_and_b32_sdwa v19, v19, v10 dst_sel:DWORD dst_unused:UNUSED_PAD src0_sel:DWORD src1_sel:BYTE_1
	v_and_b32_e32 v33, 0x7f, v19
	v_cmpx_ne_u32_e32 0x7f, v33
	s_cbranch_execz .LBB397_2999
; %bb.2996:                             ;   in Loop: Header=BB397_1567 Depth=1
	v_and_b32_e32 v19, 7, v19
	v_mov_b32_e32 v20, v11
	v_lshrrev_b32_e32 v32, 3, v33
	s_mov_b32 s20, exec_lo
	v_cmpx_gt_u32_e32 8, v33
; %bb.2997:                             ;   in Loop: Header=BB397_1567 Depth=1
	v_ffbh_u32_e32 v32, v19
	v_min_u32_e32 v32, 32, v32
	v_subrev_nc_u32_e32 v33, 28, v32
	v_sub_nc_u32_e32 v32, 29, v32
	v_lshlrev_b64 v[19:20], v33, v[19:20]
	v_and_b32_e32 v19, 7, v19
; %bb.2998:                             ;   in Loop: Header=BB397_1567 Depth=1
	s_or_b32 exec_lo, exec_lo, s20
	v_lshlrev_b32_e32 v10, 16, v10
	v_lshlrev_b32_e32 v19, 20, v19
	v_lshl_add_u32 v20, v32, 23, 0x3c000000
	v_and_b32_e32 v10, 0x80000000, v10
	v_or3_b32 v32, v19, v10, v20
.LBB397_2999:                           ;   in Loop: Header=BB397_1567 Depth=1
	s_or_b32 exec_lo, exec_lo, s18
.LBB397_3000:                           ;   in Loop: Header=BB397_1567 Depth=1
	s_or_b32 exec_lo, exec_lo, s15
.LBB397_3001:                           ;   in Loop: Header=BB397_1567 Depth=1
	s_or_b32 exec_lo, exec_lo, s13
	v_and_b32_sdwa v10, v18, v86 dst_sel:DWORD dst_unused:UNUSED_PAD src0_sel:WORD_1 src1_sel:DWORD
	v_mov_b32_e32 v33, 0
	v_mov_b32_e32 v34, 0
	s_mov_b32 s13, exec_lo
	v_cmpx_ne_u16_e32 0, v10
	s_cbranch_execz .LBB397_3009
; %bb.3002:                             ;   in Loop: Header=BB397_1567 Depth=1
	v_bfrev_b32_e32 v34, 1
	s_mov_b32 s15, exec_lo
	v_cmpx_ne_u16_e32 0x80, v10
	s_cbranch_execz .LBB397_3008
; %bb.3003:                             ;   in Loop: Header=BB397_1567 Depth=1
	v_bfe_u32 v35, v18, 16, 7
	v_mov_b32_e32 v34, 0x7f800001
	s_mov_b32 s18, exec_lo
	v_cmpx_ne_u32_e32 0x7f, v35
	s_cbranch_execz .LBB397_3007
; %bb.3004:                             ;   in Loop: Header=BB397_1567 Depth=1
	v_mov_b32_e32 v10, 7
	s_mov_b32 s20, exec_lo
	v_and_b32_sdwa v10, v18, v10 dst_sel:DWORD dst_unused:UNUSED_PAD src0_sel:WORD_1 src1_sel:DWORD
	v_mov_b32_e32 v20, v11
	v_lshrrev_b32_e32 v20, 3, v35
	v_mov_b32_e32 v19, v10
	v_cmpx_gt_u32_e32 8, v35
; %bb.3005:                             ;   in Loop: Header=BB397_1567 Depth=1
	v_ffbh_u32_e32 v19, v10
	v_min_u32_e32 v34, 32, v19
	v_subrev_nc_u32_e32 v19, 28, v34
	v_lshlrev_b64 v[19:20], v19, v[10:11]
	v_sub_nc_u32_e32 v20, 29, v34
	v_and_b32_e32 v19, 7, v19
; %bb.3006:                             ;   in Loop: Header=BB397_1567 Depth=1
	s_or_b32 exec_lo, exec_lo, s20
	v_mov_b32_e32 v10, 24
	v_lshlrev_b32_e32 v19, 20, v19
	v_lshl_add_u32 v20, v20, 23, 0x3c000000
	v_lshlrev_b32_sdwa v10, v10, v18 dst_sel:DWORD dst_unused:UNUSED_PAD src0_sel:DWORD src1_sel:WORD_1
	v_and_b32_e32 v10, 0x80000000, v10
	v_or3_b32 v34, v19, v10, v20
.LBB397_3007:                           ;   in Loop: Header=BB397_1567 Depth=1
	s_or_b32 exec_lo, exec_lo, s18
.LBB397_3008:                           ;   in Loop: Header=BB397_1567 Depth=1
	s_or_b32 exec_lo, exec_lo, s15
.LBB397_3009:                           ;   in Loop: Header=BB397_1567 Depth=1
	s_or_b32 exec_lo, exec_lo, s13
	s_mov_b32 s13, exec_lo
	v_cmpx_lt_u64_e64 s[8:9], v[17:18]
	s_cbranch_execz .LBB397_3017
; %bb.3010:                             ;   in Loop: Header=BB397_1567 Depth=1
	v_cmp_ne_u32_sdwa s4, v18, v84 src0_sel:BYTE_3 src1_sel:DWORD
	v_bfrev_b32_e32 v33, 1
	s_and_saveexec_b32 s15, s4
	s_cbranch_execz .LBB397_3016
; %bb.3011:                             ;   in Loop: Header=BB397_1567 Depth=1
	v_bfe_u32 v35, v18, 24, 7
	v_mov_b32_e32 v33, 0x7f800001
	s_mov_b32 s18, exec_lo
	v_cmpx_ne_u32_e32 0x7f, v35
	s_cbranch_execz .LBB397_3015
; %bb.3012:                             ;   in Loop: Header=BB397_1567 Depth=1
	v_mov_b32_e32 v10, 7
	v_lshrrev_b32_e32 v17, 3, v35
	s_mov_b32 s20, exec_lo
	v_and_b32_sdwa v10, v18, v10 dst_sel:DWORD dst_unused:UNUSED_PAD src0_sel:BYTE_3 src1_sel:DWORD
	v_mov_b32_e32 v20, v11
	v_mov_b32_e32 v19, v10
	v_cmpx_gt_u32_e32 8, v35
; %bb.3013:                             ;   in Loop: Header=BB397_1567 Depth=1
	v_ffbh_u32_e32 v17, v10
	v_min_u32_e32 v17, 32, v17
	v_subrev_nc_u32_e32 v19, 28, v17
	v_sub_nc_u32_e32 v17, 29, v17
	v_lshlrev_b64 v[19:20], v19, v[10:11]
	v_and_b32_e32 v19, 7, v19
; %bb.3014:                             ;   in Loop: Header=BB397_1567 Depth=1
	s_or_b32 exec_lo, exec_lo, s20
	v_mov_b32_e32 v10, 24
	v_lshl_add_u32 v17, v17, 23, 0x3c000000
	v_lshlrev_b32_sdwa v10, v10, v18 dst_sel:DWORD dst_unused:UNUSED_PAD src0_sel:DWORD src1_sel:BYTE_3
	v_lshlrev_b32_e32 v18, 20, v19
	v_and_b32_e32 v10, 0x80000000, v10
	v_or3_b32 v33, v18, v10, v17
.LBB397_3015:                           ;   in Loop: Header=BB397_1567 Depth=1
	s_or_b32 exec_lo, exec_lo, s18
.LBB397_3016:                           ;   in Loop: Header=BB397_1567 Depth=1
	s_or_b32 exec_lo, exec_lo, s15
.LBB397_3017:                           ;   in Loop: Header=BB397_1567 Depth=1
	s_or_b32 exec_lo, exec_lo, s13
	v_mul_f32_e32 v10, v26, v32
	v_bfe_u32 v17, v10, 16, 1
	v_or_b32_e32 v18, 0x400000, v10
	v_cmp_u_f32_e64 s4, v10, v10
	v_add3_u32 v17, v17, v10, 0x7fff
	v_cndmask_b32_e64 v10, v17, v18, s4
	v_lshrrev_b32_e32 v57, 16, v10
	v_mul_f32_e32 v10, v26, v31
	v_bfe_u32 v17, v10, 16, 1
	v_or_b32_e32 v18, 0x400000, v10
	v_cmp_u_f32_e64 s4, v10, v10
	v_add3_u32 v17, v17, v10, 0x7fff
	v_cndmask_b32_e64 v10, v17, v18, s4
	v_lshrrev_b32_e32 v58, 16, v10
	v_mul_f32_e32 v10, v26, v28
	v_bfe_u32 v17, v10, 16, 1
	v_or_b32_e32 v18, 0x400000, v10
	v_cmp_u_f32_e64 s4, v10, v10
	v_add3_u32 v17, v17, v10, 0x7fff
	v_cndmask_b32_e64 v10, v17, v18, s4
	v_lshrrev_b32_e32 v28, 16, v10
	v_mul_f32_e32 v10, v26, v29
	v_bfe_u32 v17, v10, 16, 1
	v_or_b32_e32 v18, 0x400000, v10
	v_cmp_u_f32_e64 s4, v10, v10
	v_add3_u32 v17, v17, v10, 0x7fff
	v_cndmask_b32_e64 v10, v17, v18, s4
	v_lshrrev_b32_e32 v29, 16, v10
	v_mul_f32_e32 v10, v26, v30
	v_bfe_u32 v17, v10, 16, 1
	v_or_b32_e32 v18, 0x400000, v10
	v_cmp_u_f32_e64 s4, v10, v10
	v_add3_u32 v17, v17, v10, 0x7fff
	v_cndmask_b32_e64 v10, v17, v18, s4
	v_lshrrev_b32_e32 v31, 16, v10
	v_mul_f32_e32 v10, v26, v16
	v_bfe_u32 v16, v10, 16, 1
	v_or_b32_e32 v17, 0x400000, v10
	v_cmp_u_f32_e64 s4, v10, v10
	v_add3_u32 v16, v16, v10, 0x7fff
	v_cndmask_b32_e64 v10, v16, v17, s4
	v_lshrrev_b32_e32 v32, 16, v10
	v_mul_f32_e32 v10, v26, v34
	v_bfe_u32 v16, v10, 16, 1
	v_or_b32_e32 v17, 0x400000, v10
	v_cmp_u_f32_e64 s4, v10, v10
	v_add3_u32 v16, v16, v10, 0x7fff
	v_cndmask_b32_e64 v10, v16, v17, s4
	v_lshrrev_b32_e32 v30, 16, v10
	v_mul_f32_e32 v10, v26, v33
	v_bfe_u32 v16, v10, 16, 1
	v_or_b32_e32 v17, 0x400000, v10
	v_cmp_u_f32_e64 s4, v10, v10
	v_add3_u32 v16, v16, v10, 0x7fff
	v_cndmask_b32_e64 v10, v16, v17, s4
	v_lshrrev_b32_e32 v33, 16, v10
	s_and_saveexec_b32 s13, vcc_lo
	s_cbranch_execz .LBB397_3019
; %bb.3018:                             ;   in Loop: Header=BB397_1567 Depth=1
	v_cmp_lt_i32_e64 s4, v89, v107
	v_cndmask_b32_e64 v32, 0, v32, s4
	v_cmp_lt_i32_e64 s4, v110, v107
	v_cndmask_b32_e64 v31, 0, v31, s4
	;; [unrolled: 2-line block ×8, first 2 shown]
.LBB397_3019:                           ;   in Loop: Header=BB397_1567 Depth=1
	s_or_b32 exec_lo, exec_lo, s13
	flat_load_dwordx2 v[17:18], v[14:15] offset:1536
	v_mov_b32_e32 v51, 0
	v_mov_b32_e32 v50, 0
	s_waitcnt vmcnt(0) lgkmcnt(0)
	v_cmp_ne_u16_sdwa s4, v17, v11 src0_sel:BYTE_0 src1_sel:DWORD
	s_and_saveexec_b32 s13, s4
	s_cbranch_execz .LBB397_3027
; %bb.3020:                             ;   in Loop: Header=BB397_1567 Depth=1
	v_cmp_ne_u16_sdwa s4, v17, v84 src0_sel:BYTE_0 src1_sel:DWORD
	v_bfrev_b32_e32 v50, 1
	s_and_saveexec_b32 s15, s4
	s_cbranch_execz .LBB397_3026
; %bb.3021:                             ;   in Loop: Header=BB397_1567 Depth=1
	v_and_b32_e32 v16, 0x7f, v17
	v_mov_b32_e32 v50, 0x7f800001
	s_mov_b32 s18, exec_lo
	v_cmpx_ne_u32_e32 0x7f, v16
	s_cbranch_execz .LBB397_3025
; %bb.3022:                             ;   in Loop: Header=BB397_1567 Depth=1
	v_mov_b32_e32 v20, v18
	v_lshrrev_b32_e32 v10, 3, v16
	v_mov_b32_e32 v19, v17
	s_mov_b32 s20, exec_lo
	v_cmpx_gt_u32_e32 8, v16
; %bb.3023:                             ;   in Loop: Header=BB397_1567 Depth=1
	v_and_b32_e32 v10, 7, v17
	v_ffbh_u32_e32 v10, v10
	v_min_u32_e32 v10, 32, v10
	v_subrev_nc_u32_e32 v16, 28, v10
	v_sub_nc_u32_e32 v10, 29, v10
	v_lshlrev_b64 v[19:20], v16, v[17:18]
; %bb.3024:                             ;   in Loop: Header=BB397_1567 Depth=1
	s_or_b32 exec_lo, exec_lo, s20
	v_lshlrev_b32_e32 v16, 20, v19
	v_lshlrev_b32_e32 v19, 24, v17
	v_lshl_add_u32 v10, v10, 23, 0x3c000000
	v_and_b32_e32 v16, 0x700000, v16
	v_and_b32_e32 v19, 0x80000000, v19
	v_or3_b32 v50, v16, v19, v10
.LBB397_3025:                           ;   in Loop: Header=BB397_1567 Depth=1
	s_or_b32 exec_lo, exec_lo, s18
.LBB397_3026:                           ;   in Loop: Header=BB397_1567 Depth=1
	s_or_b32 exec_lo, exec_lo, s15
.LBB397_3027:                           ;   in Loop: Header=BB397_1567 Depth=1
	s_or_b32 exec_lo, exec_lo, s13
	v_cmp_ne_u16_sdwa s4, v17, v11 src0_sel:BYTE_1 src1_sel:DWORD
	s_and_saveexec_b32 s13, s4
	s_cbranch_execz .LBB397_3035
; %bb.3028:                             ;   in Loop: Header=BB397_1567 Depth=1
	v_cmp_ne_u16_sdwa s4, v17, v84 src0_sel:BYTE_1 src1_sel:DWORD
	v_bfrev_b32_e32 v51, 1
	s_and_saveexec_b32 s15, s4
	s_cbranch_execz .LBB397_3034
; %bb.3029:                             ;   in Loop: Header=BB397_1567 Depth=1
	v_mov_b32_e32 v10, 0xffff
	v_mov_b32_e32 v51, 0x7f800001
	s_mov_b32 s18, exec_lo
	v_and_b32_sdwa v10, v10, v17 dst_sel:DWORD dst_unused:UNUSED_PAD src0_sel:DWORD src1_sel:BYTE_1
	v_and_b32_e32 v34, 0x7f, v10
	v_cmpx_ne_u32_e32 0x7f, v34
	s_cbranch_execz .LBB397_3033
; %bb.3030:                             ;   in Loop: Header=BB397_1567 Depth=1
	v_and_b32_e32 v10, 7, v10
	v_mov_b32_e32 v20, v11
	v_lshrrev_b32_e32 v16, 3, v34
	s_mov_b32 s20, exec_lo
	v_mov_b32_e32 v19, v10
	v_cmpx_gt_u32_e32 8, v34
; %bb.3031:                             ;   in Loop: Header=BB397_1567 Depth=1
	v_ffbh_u32_e32 v16, v10
	v_min_u32_e32 v16, 32, v16
	v_subrev_nc_u32_e32 v19, 28, v16
	v_sub_nc_u32_e32 v16, 29, v16
	v_lshlrev_b64 v[19:20], v19, v[10:11]
	v_and_b32_e32 v19, 7, v19
; %bb.3032:                             ;   in Loop: Header=BB397_1567 Depth=1
	s_or_b32 exec_lo, exec_lo, s20
	v_lshlrev_b32_e32 v10, 16, v17
	v_lshlrev_b32_e32 v19, 20, v19
	v_lshl_add_u32 v16, v16, 23, 0x3c000000
	v_and_b32_e32 v10, 0x80000000, v10
	v_or3_b32 v51, v19, v10, v16
.LBB397_3033:                           ;   in Loop: Header=BB397_1567 Depth=1
	s_or_b32 exec_lo, exec_lo, s18
.LBB397_3034:                           ;   in Loop: Header=BB397_1567 Depth=1
	s_or_b32 exec_lo, exec_lo, s15
.LBB397_3035:                           ;   in Loop: Header=BB397_1567 Depth=1
	s_or_b32 exec_lo, exec_lo, s13
	v_and_b32_sdwa v10, v17, v86 dst_sel:DWORD dst_unused:UNUSED_PAD src0_sel:WORD_1 src1_sel:DWORD
	v_mov_b32_e32 v35, 0
	v_mov_b32_e32 v49, 0
	s_mov_b32 s13, exec_lo
	v_cmpx_ne_u16_e32 0, v10
	s_cbranch_execz .LBB397_3043
; %bb.3036:                             ;   in Loop: Header=BB397_1567 Depth=1
	v_bfrev_b32_e32 v49, 1
	s_mov_b32 s15, exec_lo
	v_cmpx_ne_u16_e32 0x80, v10
	s_cbranch_execz .LBB397_3042
; %bb.3037:                             ;   in Loop: Header=BB397_1567 Depth=1
	v_bfe_u32 v34, v17, 16, 7
	v_mov_b32_e32 v49, 0x7f800001
	s_mov_b32 s18, exec_lo
	v_cmpx_ne_u32_e32 0x7f, v34
	s_cbranch_execz .LBB397_3041
; %bb.3038:                             ;   in Loop: Header=BB397_1567 Depth=1
	v_mov_b32_e32 v10, 7
	v_lshrrev_b32_e32 v16, 3, v34
	s_mov_b32 s20, exec_lo
	v_and_b32_sdwa v10, v17, v10 dst_sel:DWORD dst_unused:UNUSED_PAD src0_sel:WORD_1 src1_sel:DWORD
	v_mov_b32_e32 v20, v11
	v_mov_b32_e32 v19, v10
	v_cmpx_gt_u32_e32 8, v34
; %bb.3039:                             ;   in Loop: Header=BB397_1567 Depth=1
	v_ffbh_u32_e32 v16, v10
	v_min_u32_e32 v16, 32, v16
	v_subrev_nc_u32_e32 v19, 28, v16
	v_sub_nc_u32_e32 v16, 29, v16
	v_lshlrev_b64 v[19:20], v19, v[10:11]
	v_and_b32_e32 v19, 7, v19
; %bb.3040:                             ;   in Loop: Header=BB397_1567 Depth=1
	s_or_b32 exec_lo, exec_lo, s20
	v_mov_b32_e32 v10, 24
	v_lshlrev_b32_e32 v19, 20, v19
	v_lshl_add_u32 v16, v16, 23, 0x3c000000
	v_lshlrev_b32_sdwa v10, v10, v17 dst_sel:DWORD dst_unused:UNUSED_PAD src0_sel:DWORD src1_sel:WORD_1
	v_and_b32_e32 v10, 0x80000000, v10
	v_or3_b32 v49, v19, v10, v16
.LBB397_3041:                           ;   in Loop: Header=BB397_1567 Depth=1
	s_or_b32 exec_lo, exec_lo, s18
.LBB397_3042:                           ;   in Loop: Header=BB397_1567 Depth=1
	s_or_b32 exec_lo, exec_lo, s15
.LBB397_3043:                           ;   in Loop: Header=BB397_1567 Depth=1
	s_or_b32 exec_lo, exec_lo, s13
	s_mov_b32 s13, exec_lo
	v_cmpx_lt_u32_e32 0xffffff, v17
	s_cbranch_execz .LBB397_3051
; %bb.3044:                             ;   in Loop: Header=BB397_1567 Depth=1
	v_cmp_ne_u32_sdwa s4, v17, v84 src0_sel:BYTE_3 src1_sel:DWORD
	v_bfrev_b32_e32 v35, 1
	s_and_saveexec_b32 s15, s4
	s_cbranch_execz .LBB397_3050
; %bb.3045:                             ;   in Loop: Header=BB397_1567 Depth=1
	v_bfe_u32 v34, v17, 24, 7
	v_mov_b32_e32 v35, 0x7f800001
	s_mov_b32 s18, exec_lo
	v_cmpx_ne_u32_e32 0x7f, v34
	s_cbranch_execz .LBB397_3049
; %bb.3046:                             ;   in Loop: Header=BB397_1567 Depth=1
	v_mov_b32_e32 v10, 7
	v_lshrrev_b32_e32 v16, 3, v34
	s_mov_b32 s20, exec_lo
	v_and_b32_sdwa v10, v17, v10 dst_sel:DWORD dst_unused:UNUSED_PAD src0_sel:BYTE_3 src1_sel:DWORD
	v_mov_b32_e32 v20, v11
	v_mov_b32_e32 v19, v10
	v_cmpx_gt_u32_e32 8, v34
; %bb.3047:                             ;   in Loop: Header=BB397_1567 Depth=1
	v_ffbh_u32_e32 v16, v10
	v_min_u32_e32 v16, 32, v16
	v_subrev_nc_u32_e32 v19, 28, v16
	v_sub_nc_u32_e32 v16, 29, v16
	v_lshlrev_b64 v[19:20], v19, v[10:11]
	v_and_b32_e32 v19, 7, v19
; %bb.3048:                             ;   in Loop: Header=BB397_1567 Depth=1
	s_or_b32 exec_lo, exec_lo, s20
	v_mov_b32_e32 v10, 24
	v_lshlrev_b32_e32 v19, 20, v19
	v_lshl_add_u32 v16, v16, 23, 0x3c000000
	v_lshlrev_b32_sdwa v10, v10, v17 dst_sel:DWORD dst_unused:UNUSED_PAD src0_sel:DWORD src1_sel:BYTE_3
	v_and_b32_e32 v10, 0x80000000, v10
	v_or3_b32 v35, v19, v10, v16
.LBB397_3049:                           ;   in Loop: Header=BB397_1567 Depth=1
	s_or_b32 exec_lo, exec_lo, s18
.LBB397_3050:                           ;   in Loop: Header=BB397_1567 Depth=1
	s_or_b32 exec_lo, exec_lo, s15
.LBB397_3051:                           ;   in Loop: Header=BB397_1567 Depth=1
	s_or_b32 exec_lo, exec_lo, s13
	v_mov_b32_e32 v10, v18
	v_cmp_ne_u16_sdwa s4, v18, v11 src0_sel:BYTE_0 src1_sel:DWORD
	v_mov_b32_e32 v16, 0
	v_mov_b32_e32 v34, 0
	s_and_saveexec_b32 s13, s4
	s_cbranch_execz .LBB397_3059
; %bb.3052:                             ;   in Loop: Header=BB397_1567 Depth=1
	v_cmp_ne_u16_sdwa s4, v18, v84 src0_sel:BYTE_0 src1_sel:DWORD
	v_bfrev_b32_e32 v34, 1
	s_and_saveexec_b32 s15, s4
	s_cbranch_execz .LBB397_3058
; %bb.3053:                             ;   in Loop: Header=BB397_1567 Depth=1
	v_and_b32_e32 v52, 0x7f, v18
	v_mov_b32_e32 v34, 0x7f800001
	s_mov_b32 s18, exec_lo
	v_cmpx_ne_u32_e32 0x7f, v52
	s_cbranch_execz .LBB397_3057
; %bb.3054:                             ;   in Loop: Header=BB397_1567 Depth=1
	v_mov_b32_e32 v20, v11
	v_mov_b32_e32 v19, v10
	v_lshrrev_b32_e32 v20, 3, v52
	s_mov_b32 s20, exec_lo
	v_cmpx_gt_u32_e32 8, v52
; %bb.3055:                             ;   in Loop: Header=BB397_1567 Depth=1
	v_and_b32_e32 v19, 7, v18
	v_ffbh_u32_e32 v19, v19
	v_min_u32_e32 v34, 32, v19
	v_subrev_nc_u32_e32 v19, 28, v34
	v_lshlrev_b64 v[19:20], v19, v[10:11]
	v_sub_nc_u32_e32 v20, 29, v34
; %bb.3056:                             ;   in Loop: Header=BB397_1567 Depth=1
	s_or_b32 exec_lo, exec_lo, s20
	v_lshlrev_b32_e32 v19, 20, v19
	v_lshlrev_b32_e32 v34, 24, v10
	v_lshl_add_u32 v20, v20, 23, 0x3c000000
	v_and_b32_e32 v19, 0x700000, v19
	v_and_b32_e32 v34, 0x80000000, v34
	v_or3_b32 v34, v19, v34, v20
.LBB397_3057:                           ;   in Loop: Header=BB397_1567 Depth=1
	s_or_b32 exec_lo, exec_lo, s18
.LBB397_3058:                           ;   in Loop: Header=BB397_1567 Depth=1
	s_or_b32 exec_lo, exec_lo, s15
.LBB397_3059:                           ;   in Loop: Header=BB397_1567 Depth=1
	s_or_b32 exec_lo, exec_lo, s13
	v_cmp_ne_u16_sdwa s4, v10, v11 src0_sel:BYTE_1 src1_sel:DWORD
	s_and_saveexec_b32 s13, s4
	s_cbranch_execz .LBB397_3067
; %bb.3060:                             ;   in Loop: Header=BB397_1567 Depth=1
	v_cmp_ne_u16_sdwa s4, v10, v84 src0_sel:BYTE_1 src1_sel:DWORD
	v_bfrev_b32_e32 v16, 1
	s_and_saveexec_b32 s15, s4
	s_cbranch_execz .LBB397_3066
; %bb.3061:                             ;   in Loop: Header=BB397_1567 Depth=1
	v_mov_b32_e32 v16, 0xffff
	s_mov_b32 s18, exec_lo
	v_and_b32_sdwa v19, v16, v10 dst_sel:DWORD dst_unused:UNUSED_PAD src0_sel:DWORD src1_sel:BYTE_1
	v_mov_b32_e32 v16, 0x7f800001
	v_and_b32_e32 v52, 0x7f, v19
	v_cmpx_ne_u32_e32 0x7f, v52
	s_cbranch_execz .LBB397_3065
; %bb.3062:                             ;   in Loop: Header=BB397_1567 Depth=1
	v_and_b32_e32 v19, 7, v19
	v_mov_b32_e32 v20, v11
	v_lshrrev_b32_e32 v16, 3, v52
	s_mov_b32 s20, exec_lo
	v_cmpx_gt_u32_e32 8, v52
; %bb.3063:                             ;   in Loop: Header=BB397_1567 Depth=1
	v_ffbh_u32_e32 v16, v19
	v_min_u32_e32 v16, 32, v16
	v_subrev_nc_u32_e32 v52, 28, v16
	v_sub_nc_u32_e32 v16, 29, v16
	v_lshlrev_b64 v[19:20], v52, v[19:20]
	v_and_b32_e32 v19, 7, v19
; %bb.3064:                             ;   in Loop: Header=BB397_1567 Depth=1
	s_or_b32 exec_lo, exec_lo, s20
	v_lshlrev_b32_e32 v10, 16, v10
	v_lshlrev_b32_e32 v19, 20, v19
	v_lshl_add_u32 v16, v16, 23, 0x3c000000
	v_and_b32_e32 v10, 0x80000000, v10
	v_or3_b32 v16, v19, v10, v16
.LBB397_3065:                           ;   in Loop: Header=BB397_1567 Depth=1
	s_or_b32 exec_lo, exec_lo, s18
.LBB397_3066:                           ;   in Loop: Header=BB397_1567 Depth=1
	s_or_b32 exec_lo, exec_lo, s15
.LBB397_3067:                           ;   in Loop: Header=BB397_1567 Depth=1
	s_or_b32 exec_lo, exec_lo, s13
	v_and_b32_sdwa v10, v18, v86 dst_sel:DWORD dst_unused:UNUSED_PAD src0_sel:WORD_1 src1_sel:DWORD
	v_mov_b32_e32 v53, 0
	v_mov_b32_e32 v54, 0
	s_mov_b32 s13, exec_lo
	v_cmpx_ne_u16_e32 0, v10
	s_cbranch_execz .LBB397_3075
; %bb.3068:                             ;   in Loop: Header=BB397_1567 Depth=1
	v_bfrev_b32_e32 v54, 1
	s_mov_b32 s15, exec_lo
	v_cmpx_ne_u16_e32 0x80, v10
	s_cbranch_execz .LBB397_3074
; %bb.3069:                             ;   in Loop: Header=BB397_1567 Depth=1
	v_bfe_u32 v52, v18, 16, 7
	v_mov_b32_e32 v54, 0x7f800001
	s_mov_b32 s18, exec_lo
	v_cmpx_ne_u32_e32 0x7f, v52
	s_cbranch_execz .LBB397_3073
; %bb.3070:                             ;   in Loop: Header=BB397_1567 Depth=1
	v_mov_b32_e32 v10, 7
	s_mov_b32 s20, exec_lo
	v_and_b32_sdwa v10, v18, v10 dst_sel:DWORD dst_unused:UNUSED_PAD src0_sel:WORD_1 src1_sel:DWORD
	v_mov_b32_e32 v20, v11
	v_lshrrev_b32_e32 v20, 3, v52
	v_mov_b32_e32 v19, v10
	v_cmpx_gt_u32_e32 8, v52
; %bb.3071:                             ;   in Loop: Header=BB397_1567 Depth=1
	v_ffbh_u32_e32 v19, v10
	v_min_u32_e32 v52, 32, v19
	v_subrev_nc_u32_e32 v19, 28, v52
	v_lshlrev_b64 v[19:20], v19, v[10:11]
	v_sub_nc_u32_e32 v20, 29, v52
	v_and_b32_e32 v19, 7, v19
; %bb.3072:                             ;   in Loop: Header=BB397_1567 Depth=1
	s_or_b32 exec_lo, exec_lo, s20
	v_mov_b32_e32 v10, 24
	v_lshlrev_b32_e32 v19, 20, v19
	v_lshl_add_u32 v20, v20, 23, 0x3c000000
	v_lshlrev_b32_sdwa v10, v10, v18 dst_sel:DWORD dst_unused:UNUSED_PAD src0_sel:DWORD src1_sel:WORD_1
	v_and_b32_e32 v10, 0x80000000, v10
	v_or3_b32 v54, v19, v10, v20
.LBB397_3073:                           ;   in Loop: Header=BB397_1567 Depth=1
	s_or_b32 exec_lo, exec_lo, s18
.LBB397_3074:                           ;   in Loop: Header=BB397_1567 Depth=1
	s_or_b32 exec_lo, exec_lo, s15
.LBB397_3075:                           ;   in Loop: Header=BB397_1567 Depth=1
	s_or_b32 exec_lo, exec_lo, s13
	s_mov_b32 s13, exec_lo
	v_cmpx_lt_u64_e64 s[8:9], v[17:18]
	s_cbranch_execz .LBB397_3083
; %bb.3076:                             ;   in Loop: Header=BB397_1567 Depth=1
	v_cmp_ne_u32_sdwa s4, v18, v84 src0_sel:BYTE_3 src1_sel:DWORD
	v_bfrev_b32_e32 v53, 1
	s_and_saveexec_b32 s15, s4
	s_cbranch_execz .LBB397_3082
; %bb.3077:                             ;   in Loop: Header=BB397_1567 Depth=1
	v_bfe_u32 v52, v18, 24, 7
	v_mov_b32_e32 v53, 0x7f800001
	s_mov_b32 s18, exec_lo
	v_cmpx_ne_u32_e32 0x7f, v52
	s_cbranch_execz .LBB397_3081
; %bb.3078:                             ;   in Loop: Header=BB397_1567 Depth=1
	v_mov_b32_e32 v10, 7
	v_lshrrev_b32_e32 v17, 3, v52
	s_mov_b32 s20, exec_lo
	v_and_b32_sdwa v10, v18, v10 dst_sel:DWORD dst_unused:UNUSED_PAD src0_sel:BYTE_3 src1_sel:DWORD
	v_mov_b32_e32 v20, v11
	v_mov_b32_e32 v19, v10
	v_cmpx_gt_u32_e32 8, v52
; %bb.3079:                             ;   in Loop: Header=BB397_1567 Depth=1
	v_ffbh_u32_e32 v17, v10
	v_min_u32_e32 v17, 32, v17
	v_subrev_nc_u32_e32 v19, 28, v17
	v_sub_nc_u32_e32 v17, 29, v17
	v_lshlrev_b64 v[19:20], v19, v[10:11]
	v_and_b32_e32 v19, 7, v19
; %bb.3080:                             ;   in Loop: Header=BB397_1567 Depth=1
	s_or_b32 exec_lo, exec_lo, s20
	v_mov_b32_e32 v10, 24
	v_lshl_add_u32 v17, v17, 23, 0x3c000000
	v_lshlrev_b32_sdwa v10, v10, v18 dst_sel:DWORD dst_unused:UNUSED_PAD src0_sel:DWORD src1_sel:BYTE_3
	v_lshlrev_b32_e32 v18, 20, v19
	v_and_b32_e32 v10, 0x80000000, v10
	v_or3_b32 v53, v18, v10, v17
.LBB397_3081:                           ;   in Loop: Header=BB397_1567 Depth=1
	s_or_b32 exec_lo, exec_lo, s18
.LBB397_3082:                           ;   in Loop: Header=BB397_1567 Depth=1
	s_or_b32 exec_lo, exec_lo, s15
.LBB397_3083:                           ;   in Loop: Header=BB397_1567 Depth=1
	s_or_b32 exec_lo, exec_lo, s13
	v_mul_f32_e32 v10, v26, v16
	v_bfe_u32 v16, v10, 16, 1
	v_or_b32_e32 v17, 0x400000, v10
	v_cmp_u_f32_e64 s4, v10, v10
	v_add3_u32 v16, v16, v10, 0x7fff
	v_cndmask_b32_e64 v10, v16, v17, s4
	v_lshrrev_b32_e32 v16, 16, v10
	v_mul_f32_e32 v10, v26, v34
	v_bfe_u32 v17, v10, 16, 1
	v_or_b32_e32 v18, 0x400000, v10
	v_cmp_u_f32_e64 s4, v10, v10
	v_add3_u32 v17, v17, v10, 0x7fff
	v_cndmask_b32_e64 v10, v17, v18, s4
	v_lshrrev_b32_e32 v34, 16, v10
	;; [unrolled: 7-line block ×8, first 2 shown]
	s_and_saveexec_b32 s13, vcc_lo
	s_cbranch_execz .LBB397_3085
; %bb.3084:                             ;   in Loop: Header=BB397_1567 Depth=1
	v_cmp_lt_i32_e64 s4, v89, v107
	v_cndmask_b32_e64 v52, 0, v52, s4
	v_cmp_lt_i32_e64 s4, v110, v107
	v_cndmask_b32_e64 v51, 0, v51, s4
	;; [unrolled: 2-line block ×8, first 2 shown]
.LBB397_3085:                           ;   in Loop: Header=BB397_1567 Depth=1
	s_or_b32 exec_lo, exec_lo, s13
	flat_load_dwordx2 v[14:15], v[14:15] offset:1792
	v_mov_b32_e32 v20, 0
	v_mov_b32_e32 v19, 0
	s_waitcnt vmcnt(0) lgkmcnt(0)
	v_cmp_ne_u16_sdwa s4, v14, v11 src0_sel:BYTE_0 src1_sel:DWORD
	s_and_saveexec_b32 s13, s4
	s_cbranch_execz .LBB397_3093
; %bb.3086:                             ;   in Loop: Header=BB397_1567 Depth=1
	v_cmp_ne_u16_sdwa s4, v14, v84 src0_sel:BYTE_0 src1_sel:DWORD
	v_bfrev_b32_e32 v19, 1
	s_and_saveexec_b32 s15, s4
	s_cbranch_execz .LBB397_3092
; %bb.3087:                             ;   in Loop: Header=BB397_1567 Depth=1
	v_and_b32_e32 v17, 0x7f, v14
	v_mov_b32_e32 v19, 0x7f800001
	s_mov_b32 s18, exec_lo
	v_cmpx_ne_u32_e32 0x7f, v17
	s_cbranch_execz .LBB397_3091
; %bb.3088:                             ;   in Loop: Header=BB397_1567 Depth=1
	v_lshrrev_b32_e32 v10, 3, v17
	v_cmp_gt_u32_e64 s4, 8, v17
	v_mov_b32_e32 v18, v15
	v_mov_b32_e32 v17, v14
	s_and_saveexec_b32 s20, s4
; %bb.3089:                             ;   in Loop: Header=BB397_1567 Depth=1
	v_and_b32_e32 v10, 7, v14
	v_ffbh_u32_e32 v10, v10
	v_min_u32_e32 v10, 32, v10
	v_subrev_nc_u32_e32 v17, 28, v10
	v_sub_nc_u32_e32 v10, 29, v10
	v_lshlrev_b64 v[17:18], v17, v[14:15]
; %bb.3090:                             ;   in Loop: Header=BB397_1567 Depth=1
	s_or_b32 exec_lo, exec_lo, s20
	v_lshlrev_b32_e32 v17, 20, v17
	v_lshlrev_b32_e32 v18, 24, v14
	v_lshl_add_u32 v10, v10, 23, 0x3c000000
	v_and_b32_e32 v17, 0x700000, v17
	v_and_b32_e32 v18, 0x80000000, v18
	v_or3_b32 v19, v17, v18, v10
.LBB397_3091:                           ;   in Loop: Header=BB397_1567 Depth=1
	s_or_b32 exec_lo, exec_lo, s18
.LBB397_3092:                           ;   in Loop: Header=BB397_1567 Depth=1
	s_or_b32 exec_lo, exec_lo, s15
.LBB397_3093:                           ;   in Loop: Header=BB397_1567 Depth=1
	s_or_b32 exec_lo, exec_lo, s13
	v_cmp_ne_u16_sdwa s4, v14, v11 src0_sel:BYTE_1 src1_sel:DWORD
	s_and_saveexec_b32 s13, s4
	s_cbranch_execz .LBB397_3101
; %bb.3094:                             ;   in Loop: Header=BB397_1567 Depth=1
	v_cmp_ne_u16_sdwa s4, v14, v84 src0_sel:BYTE_1 src1_sel:DWORD
	v_bfrev_b32_e32 v20, 1
	s_and_saveexec_b32 s15, s4
	s_cbranch_execz .LBB397_3100
; %bb.3095:                             ;   in Loop: Header=BB397_1567 Depth=1
	v_mov_b32_e32 v10, 0xffff
	v_mov_b32_e32 v20, 0x7f800001
	s_mov_b32 s18, exec_lo
	v_and_b32_sdwa v10, v10, v14 dst_sel:DWORD dst_unused:UNUSED_PAD src0_sel:DWORD src1_sel:BYTE_1
	v_and_b32_e32 v54, 0x7f, v10
	v_cmpx_ne_u32_e32 0x7f, v54
	s_cbranch_execz .LBB397_3099
; %bb.3096:                             ;   in Loop: Header=BB397_1567 Depth=1
	v_and_b32_e32 v10, 7, v10
	v_mov_b32_e32 v18, v11
	v_lshrrev_b32_e32 v18, 3, v54
	s_mov_b32 s20, exec_lo
	v_mov_b32_e32 v17, v10
	v_cmpx_gt_u32_e32 8, v54
; %bb.3097:                             ;   in Loop: Header=BB397_1567 Depth=1
	v_ffbh_u32_e32 v17, v10
	v_min_u32_e32 v20, 32, v17
	v_subrev_nc_u32_e32 v17, 28, v20
	v_lshlrev_b64 v[17:18], v17, v[10:11]
	v_sub_nc_u32_e32 v18, 29, v20
	v_and_b32_e32 v17, 7, v17
; %bb.3098:                             ;   in Loop: Header=BB397_1567 Depth=1
	s_or_b32 exec_lo, exec_lo, s20
	v_lshlrev_b32_e32 v10, 16, v14
	v_lshlrev_b32_e32 v17, 20, v17
	v_lshl_add_u32 v18, v18, 23, 0x3c000000
	v_and_b32_e32 v10, 0x80000000, v10
	v_or3_b32 v20, v17, v10, v18
.LBB397_3099:                           ;   in Loop: Header=BB397_1567 Depth=1
	s_or_b32 exec_lo, exec_lo, s18
.LBB397_3100:                           ;   in Loop: Header=BB397_1567 Depth=1
	s_or_b32 exec_lo, exec_lo, s15
.LBB397_3101:                           ;   in Loop: Header=BB397_1567 Depth=1
	s_or_b32 exec_lo, exec_lo, s13
	v_and_b32_sdwa v10, v14, v86 dst_sel:DWORD dst_unused:UNUSED_PAD src0_sel:WORD_1 src1_sel:DWORD
	v_mov_b32_e32 v54, 0
	v_mov_b32_e32 v115, 0
	s_mov_b32 s13, exec_lo
	v_cmpx_ne_u16_e32 0, v10
	s_cbranch_execz .LBB397_3109
; %bb.3102:                             ;   in Loop: Header=BB397_1567 Depth=1
	v_bfrev_b32_e32 v115, 1
	s_mov_b32 s15, exec_lo
	v_cmpx_ne_u16_e32 0x80, v10
	s_cbranch_execz .LBB397_3108
; %bb.3103:                             ;   in Loop: Header=BB397_1567 Depth=1
	v_bfe_u32 v55, v14, 16, 7
	v_mov_b32_e32 v115, 0x7f800001
	s_mov_b32 s18, exec_lo
	v_cmpx_ne_u32_e32 0x7f, v55
	s_cbranch_execz .LBB397_3107
; %bb.3104:                             ;   in Loop: Header=BB397_1567 Depth=1
	v_mov_b32_e32 v10, 7
	s_mov_b32 s20, exec_lo
	v_and_b32_sdwa v10, v14, v10 dst_sel:DWORD dst_unused:UNUSED_PAD src0_sel:WORD_1 src1_sel:DWORD
	v_mov_b32_e32 v18, v11
	v_lshrrev_b32_e32 v18, 3, v55
	v_mov_b32_e32 v17, v10
	v_cmpx_gt_u32_e32 8, v55
; %bb.3105:                             ;   in Loop: Header=BB397_1567 Depth=1
	v_ffbh_u32_e32 v17, v10
	v_min_u32_e32 v55, 32, v17
	v_subrev_nc_u32_e32 v17, 28, v55
	v_lshlrev_b64 v[17:18], v17, v[10:11]
	v_sub_nc_u32_e32 v18, 29, v55
	v_and_b32_e32 v17, 7, v17
; %bb.3106:                             ;   in Loop: Header=BB397_1567 Depth=1
	s_or_b32 exec_lo, exec_lo, s20
	v_mov_b32_e32 v10, 24
	v_lshlrev_b32_e32 v17, 20, v17
	v_lshl_add_u32 v18, v18, 23, 0x3c000000
	v_lshlrev_b32_sdwa v10, v10, v14 dst_sel:DWORD dst_unused:UNUSED_PAD src0_sel:DWORD src1_sel:WORD_1
	v_and_b32_e32 v10, 0x80000000, v10
	v_or3_b32 v115, v17, v10, v18
.LBB397_3107:                           ;   in Loop: Header=BB397_1567 Depth=1
	s_or_b32 exec_lo, exec_lo, s18
.LBB397_3108:                           ;   in Loop: Header=BB397_1567 Depth=1
	s_or_b32 exec_lo, exec_lo, s15
.LBB397_3109:                           ;   in Loop: Header=BB397_1567 Depth=1
	s_or_b32 exec_lo, exec_lo, s13
	s_mov_b32 s13, exec_lo
	v_cmpx_lt_u32_e32 0xffffff, v14
	s_cbranch_execz .LBB397_3117
; %bb.3110:                             ;   in Loop: Header=BB397_1567 Depth=1
	v_cmp_ne_u32_sdwa s4, v14, v84 src0_sel:BYTE_3 src1_sel:DWORD
	v_bfrev_b32_e32 v54, 1
	s_and_saveexec_b32 s15, s4
	s_cbranch_execz .LBB397_3116
; %bb.3111:                             ;   in Loop: Header=BB397_1567 Depth=1
	v_bfe_u32 v55, v14, 24, 7
	v_mov_b32_e32 v54, 0x7f800001
	s_mov_b32 s18, exec_lo
	v_cmpx_ne_u32_e32 0x7f, v55
	s_cbranch_execz .LBB397_3115
; %bb.3112:                             ;   in Loop: Header=BB397_1567 Depth=1
	v_mov_b32_e32 v10, 7
	s_mov_b32 s20, exec_lo
	v_and_b32_sdwa v10, v14, v10 dst_sel:DWORD dst_unused:UNUSED_PAD src0_sel:BYTE_3 src1_sel:DWORD
	v_mov_b32_e32 v18, v11
	v_lshrrev_b32_e32 v18, 3, v55
	v_mov_b32_e32 v17, v10
	v_cmpx_gt_u32_e32 8, v55
; %bb.3113:                             ;   in Loop: Header=BB397_1567 Depth=1
	v_ffbh_u32_e32 v17, v10
	v_min_u32_e32 v54, 32, v17
	v_subrev_nc_u32_e32 v17, 28, v54
	v_lshlrev_b64 v[17:18], v17, v[10:11]
	v_sub_nc_u32_e32 v18, 29, v54
	v_and_b32_e32 v17, 7, v17
; %bb.3114:                             ;   in Loop: Header=BB397_1567 Depth=1
	s_or_b32 exec_lo, exec_lo, s20
	v_mov_b32_e32 v10, 24
	v_lshlrev_b32_e32 v17, 20, v17
	v_lshl_add_u32 v18, v18, 23, 0x3c000000
	v_lshlrev_b32_sdwa v10, v10, v14 dst_sel:DWORD dst_unused:UNUSED_PAD src0_sel:DWORD src1_sel:BYTE_3
	v_and_b32_e32 v10, 0x80000000, v10
	v_or3_b32 v54, v17, v10, v18
.LBB397_3115:                           ;   in Loop: Header=BB397_1567 Depth=1
	s_or_b32 exec_lo, exec_lo, s18
.LBB397_3116:                           ;   in Loop: Header=BB397_1567 Depth=1
	s_or_b32 exec_lo, exec_lo, s15
.LBB397_3117:                           ;   in Loop: Header=BB397_1567 Depth=1
	s_or_b32 exec_lo, exec_lo, s13
	v_mov_b32_e32 v10, v15
	v_cmp_ne_u16_sdwa s4, v15, v11 src0_sel:BYTE_0 src1_sel:DWORD
	v_mov_b32_e32 v66, 0
	v_mov_b32_e32 v65, 0
	s_and_saveexec_b32 s13, s4
	s_cbranch_execz .LBB397_3125
; %bb.3118:                             ;   in Loop: Header=BB397_1567 Depth=1
	v_cmp_ne_u16_sdwa s4, v15, v84 src0_sel:BYTE_0 src1_sel:DWORD
	v_bfrev_b32_e32 v65, 1
	s_and_saveexec_b32 s15, s4
	s_cbranch_execz .LBB397_3124
; %bb.3119:                             ;   in Loop: Header=BB397_1567 Depth=1
	v_and_b32_e32 v55, 0x7f, v15
	v_mov_b32_e32 v65, 0x7f800001
	s_mov_b32 s18, exec_lo
	v_cmpx_ne_u32_e32 0x7f, v55
	s_cbranch_execz .LBB397_3123
; %bb.3120:                             ;   in Loop: Header=BB397_1567 Depth=1
	v_mov_b32_e32 v18, v11
	v_mov_b32_e32 v17, v10
	v_lshrrev_b32_e32 v18, 3, v55
	s_mov_b32 s20, exec_lo
	v_cmpx_gt_u32_e32 8, v55
; %bb.3121:                             ;   in Loop: Header=BB397_1567 Depth=1
	v_and_b32_e32 v17, 7, v15
	v_ffbh_u32_e32 v17, v17
	v_min_u32_e32 v55, 32, v17
	v_subrev_nc_u32_e32 v17, 28, v55
	v_lshlrev_b64 v[17:18], v17, v[10:11]
	v_sub_nc_u32_e32 v18, 29, v55
; %bb.3122:                             ;   in Loop: Header=BB397_1567 Depth=1
	s_or_b32 exec_lo, exec_lo, s20
	v_lshlrev_b32_e32 v17, 20, v17
	v_lshlrev_b32_e32 v55, 24, v10
	v_lshl_add_u32 v18, v18, 23, 0x3c000000
	v_and_b32_e32 v17, 0x700000, v17
	v_and_b32_e32 v55, 0x80000000, v55
	v_or3_b32 v65, v17, v55, v18
.LBB397_3123:                           ;   in Loop: Header=BB397_1567 Depth=1
	s_or_b32 exec_lo, exec_lo, s18
.LBB397_3124:                           ;   in Loop: Header=BB397_1567 Depth=1
	s_or_b32 exec_lo, exec_lo, s15
.LBB397_3125:                           ;   in Loop: Header=BB397_1567 Depth=1
	s_or_b32 exec_lo, exec_lo, s13
	v_cmp_ne_u16_sdwa s4, v10, v11 src0_sel:BYTE_1 src1_sel:DWORD
	s_and_saveexec_b32 s13, s4
	s_cbranch_execz .LBB397_3133
; %bb.3126:                             ;   in Loop: Header=BB397_1567 Depth=1
	v_cmp_ne_u16_sdwa s4, v10, v84 src0_sel:BYTE_1 src1_sel:DWORD
	v_bfrev_b32_e32 v66, 1
	s_and_saveexec_b32 s15, s4
	s_cbranch_execz .LBB397_3132
; %bb.3127:                             ;   in Loop: Header=BB397_1567 Depth=1
	v_mov_b32_e32 v17, 0xffff
	v_mov_b32_e32 v66, 0x7f800001
	s_mov_b32 s18, exec_lo
	v_and_b32_sdwa v17, v17, v10 dst_sel:DWORD dst_unused:UNUSED_PAD src0_sel:DWORD src1_sel:BYTE_1
	v_and_b32_e32 v64, 0x7f, v17
	v_cmpx_ne_u32_e32 0x7f, v64
	s_cbranch_execz .LBB397_3131
; %bb.3128:                             ;   in Loop: Header=BB397_1567 Depth=1
	v_and_b32_e32 v17, 7, v17
	v_mov_b32_e32 v18, v11
	v_lshrrev_b32_e32 v55, 3, v64
	s_mov_b32 s20, exec_lo
	v_cmpx_gt_u32_e32 8, v64
; %bb.3129:                             ;   in Loop: Header=BB397_1567 Depth=1
	v_ffbh_u32_e32 v55, v17
	v_min_u32_e32 v55, 32, v55
	v_subrev_nc_u32_e32 v64, 28, v55
	v_sub_nc_u32_e32 v55, 29, v55
	v_lshlrev_b64 v[17:18], v64, v[17:18]
	v_and_b32_e32 v17, 7, v17
; %bb.3130:                             ;   in Loop: Header=BB397_1567 Depth=1
	s_or_b32 exec_lo, exec_lo, s20
	v_lshlrev_b32_e32 v10, 16, v10
	v_lshlrev_b32_e32 v17, 20, v17
	v_lshl_add_u32 v18, v55, 23, 0x3c000000
	v_and_b32_e32 v10, 0x80000000, v10
	v_or3_b32 v66, v17, v10, v18
.LBB397_3131:                           ;   in Loop: Header=BB397_1567 Depth=1
	s_or_b32 exec_lo, exec_lo, s18
.LBB397_3132:                           ;   in Loop: Header=BB397_1567 Depth=1
	s_or_b32 exec_lo, exec_lo, s15
.LBB397_3133:                           ;   in Loop: Header=BB397_1567 Depth=1
	s_or_b32 exec_lo, exec_lo, s13
	v_and_b32_sdwa v10, v15, v86 dst_sel:DWORD dst_unused:UNUSED_PAD src0_sel:WORD_1 src1_sel:DWORD
	v_mov_b32_e32 v55, 0
	v_mov_b32_e32 v64, 0
	s_mov_b32 s13, exec_lo
	v_cmpx_ne_u16_e32 0, v10
	s_cbranch_execz .LBB397_3141
; %bb.3134:                             ;   in Loop: Header=BB397_1567 Depth=1
	v_bfrev_b32_e32 v64, 1
	s_mov_b32 s15, exec_lo
	v_cmpx_ne_u16_e32 0x80, v10
	s_cbranch_execz .LBB397_3140
; %bb.3135:                             ;   in Loop: Header=BB397_1567 Depth=1
	v_bfe_u32 v67, v15, 16, 7
	v_mov_b32_e32 v64, 0x7f800001
	s_mov_b32 s18, exec_lo
	v_cmpx_ne_u32_e32 0x7f, v67
	s_cbranch_execz .LBB397_3139
; %bb.3136:                             ;   in Loop: Header=BB397_1567 Depth=1
	v_mov_b32_e32 v10, 7
	s_mov_b32 s20, exec_lo
	v_and_b32_sdwa v10, v15, v10 dst_sel:DWORD dst_unused:UNUSED_PAD src0_sel:WORD_1 src1_sel:DWORD
	v_mov_b32_e32 v18, v11
	v_lshrrev_b32_e32 v18, 3, v67
	v_mov_b32_e32 v17, v10
	v_cmpx_gt_u32_e32 8, v67
; %bb.3137:                             ;   in Loop: Header=BB397_1567 Depth=1
	v_ffbh_u32_e32 v17, v10
	v_min_u32_e32 v64, 32, v17
	v_subrev_nc_u32_e32 v17, 28, v64
	v_lshlrev_b64 v[17:18], v17, v[10:11]
	v_sub_nc_u32_e32 v18, 29, v64
	v_and_b32_e32 v17, 7, v17
; %bb.3138:                             ;   in Loop: Header=BB397_1567 Depth=1
	s_or_b32 exec_lo, exec_lo, s20
	v_mov_b32_e32 v10, 24
	v_lshlrev_b32_e32 v17, 20, v17
	v_lshl_add_u32 v18, v18, 23, 0x3c000000
	v_lshlrev_b32_sdwa v10, v10, v15 dst_sel:DWORD dst_unused:UNUSED_PAD src0_sel:DWORD src1_sel:WORD_1
	v_and_b32_e32 v10, 0x80000000, v10
	v_or3_b32 v64, v17, v10, v18
.LBB397_3139:                           ;   in Loop: Header=BB397_1567 Depth=1
	s_or_b32 exec_lo, exec_lo, s18
.LBB397_3140:                           ;   in Loop: Header=BB397_1567 Depth=1
	s_or_b32 exec_lo, exec_lo, s15
.LBB397_3141:                           ;   in Loop: Header=BB397_1567 Depth=1
	s_or_b32 exec_lo, exec_lo, s13
	s_mov_b32 s13, exec_lo
	v_cmpx_lt_u64_e64 s[8:9], v[14:15]
	s_cbranch_execz .LBB397_3149
; %bb.3142:                             ;   in Loop: Header=BB397_1567 Depth=1
	v_cmp_ne_u32_sdwa s4, v15, v84 src0_sel:BYTE_3 src1_sel:DWORD
	v_bfrev_b32_e32 v55, 1
	s_and_saveexec_b32 s15, s4
	s_cbranch_execz .LBB397_3148
; %bb.3143:                             ;   in Loop: Header=BB397_1567 Depth=1
	v_bfe_u32 v67, v15, 24, 7
	v_mov_b32_e32 v55, 0x7f800001
	s_mov_b32 s18, exec_lo
	v_cmpx_ne_u32_e32 0x7f, v67
	s_cbranch_execz .LBB397_3147
; %bb.3144:                             ;   in Loop: Header=BB397_1567 Depth=1
	v_mov_b32_e32 v10, 7
	v_lshrrev_b32_e32 v14, 3, v67
	s_mov_b32 s20, exec_lo
	v_and_b32_sdwa v10, v15, v10 dst_sel:DWORD dst_unused:UNUSED_PAD src0_sel:BYTE_3 src1_sel:DWORD
	v_mov_b32_e32 v18, v11
	v_mov_b32_e32 v17, v10
	v_cmpx_gt_u32_e32 8, v67
; %bb.3145:                             ;   in Loop: Header=BB397_1567 Depth=1
	v_ffbh_u32_e32 v14, v10
	v_min_u32_e32 v14, 32, v14
	v_subrev_nc_u32_e32 v17, 28, v14
	v_sub_nc_u32_e32 v14, 29, v14
	v_lshlrev_b64 v[17:18], v17, v[10:11]
	v_and_b32_e32 v17, 7, v17
; %bb.3146:                             ;   in Loop: Header=BB397_1567 Depth=1
	s_or_b32 exec_lo, exec_lo, s20
	v_mov_b32_e32 v10, 24
	v_lshl_add_u32 v14, v14, 23, 0x3c000000
	v_lshlrev_b32_sdwa v10, v10, v15 dst_sel:DWORD dst_unused:UNUSED_PAD src0_sel:DWORD src1_sel:BYTE_3
	v_lshlrev_b32_e32 v15, 20, v17
	v_and_b32_e32 v10, 0x80000000, v10
	v_or3_b32 v55, v15, v10, v14
.LBB397_3147:                           ;   in Loop: Header=BB397_1567 Depth=1
	s_or_b32 exec_lo, exec_lo, s18
.LBB397_3148:                           ;   in Loop: Header=BB397_1567 Depth=1
	s_or_b32 exec_lo, exec_lo, s15
.LBB397_3149:                           ;   in Loop: Header=BB397_1567 Depth=1
	s_or_b32 exec_lo, exec_lo, s13
	v_mul_f32_e32 v10, v26, v66
	v_bfe_u32 v14, v10, 16, 1
	v_or_b32_e32 v15, 0x400000, v10
	v_cmp_u_f32_e64 s4, v10, v10
	v_add3_u32 v14, v14, v10, 0x7fff
	v_cndmask_b32_e64 v10, v14, v15, s4
	v_mul_f32_e32 v14, v26, v65
	v_lshrrev_b32_e32 v10, 16, v10
	v_bfe_u32 v15, v14, 16, 1
	v_or_b32_e32 v17, 0x400000, v14
	v_cmp_u_f32_e64 s4, v14, v14
	v_add3_u32 v15, v15, v14, 0x7fff
	v_cndmask_b32_e64 v14, v15, v17, s4
	v_mul_f32_e32 v15, v26, v54
	v_lshrrev_b32_e32 v14, 16, v14
	;; [unrolled: 7-line block ×3, first 2 shown]
	v_bfe_u32 v18, v17, 16, 1
	v_or_b32_e32 v54, 0x400000, v17
	v_cmp_u_f32_e64 s4, v17, v17
	v_add3_u32 v18, v18, v17, 0x7fff
	v_cndmask_b32_e64 v17, v18, v54, s4
	v_lshrrev_b32_e32 v18, 16, v17
	v_mul_f32_e32 v17, v26, v20
	v_bfe_u32 v20, v17, 16, 1
	v_or_b32_e32 v54, 0x400000, v17
	v_cmp_u_f32_e64 s4, v17, v17
	v_add3_u32 v20, v20, v17, 0x7fff
	v_cndmask_b32_e64 v17, v20, v54, s4
	v_lshrrev_b32_e32 v20, 16, v17
	v_mul_f32_e32 v17, v26, v19
	;; [unrolled: 7-line block ×3, first 2 shown]
	v_bfe_u32 v19, v17, 16, 1
	v_or_b32_e32 v54, 0x400000, v17
	v_cmp_u_f32_e64 s4, v17, v17
	v_add3_u32 v19, v19, v17, 0x7fff
	v_cndmask_b32_e64 v17, v19, v54, s4
	v_mul_f32_e32 v19, v26, v55
	v_lshrrev_b32_e32 v17, 16, v17
	v_bfe_u32 v54, v19, 16, 1
	v_or_b32_e32 v55, 0x400000, v19
	v_cmp_u_f32_e64 s4, v19, v19
	v_add3_u32 v54, v54, v19, 0x7fff
	v_cndmask_b32_e64 v19, v54, v55, s4
	v_lshrrev_b32_e32 v19, 16, v19
	s_and_saveexec_b32 s4, vcc_lo
	s_cbranch_execz .LBB397_1566
; %bb.3150:                             ;   in Loop: Header=BB397_1567 Depth=1
	v_cmp_lt_i32_e32 vcc_lo, v89, v107
	v_cndmask_b32_e32 v115, 0, v115, vcc_lo
	v_cmp_lt_i32_e32 vcc_lo, v110, v107
	v_cndmask_b32_e32 v20, 0, v20, vcc_lo
	v_cmp_lt_i32_e32 vcc_lo, v106, v107
	v_cndmask_b32_e32 v18, 0, v18, vcc_lo
	v_cmp_lt_i32_e32 vcc_lo, v73, v107
	v_cndmask_b32_e32 v15, 0, v15, vcc_lo
	v_cmp_lt_i32_e32 vcc_lo, v105, v107
	v_cndmask_b32_e32 v14, 0, v14, vcc_lo
	v_cmp_lt_i32_e32 vcc_lo, v104, v107
	v_cndmask_b32_e32 v10, 0, v10, vcc_lo
	v_cmp_lt_i32_e32 vcc_lo, v94, v107
	v_cndmask_b32_e32 v17, 0, v17, vcc_lo
	v_cmp_lt_i32_e32 vcc_lo, v93, v107
	v_cndmask_b32_e32 v19, 0, v19, vcc_lo
	s_branch .LBB397_1566
.LBB397_3151:
	s_or_b32 exec_lo, exec_lo, s12
	s_clause 0x14
	buffer_load_dword v82, off, s[0:3], s32 offset:696
	buffer_load_dword v23, off, s[0:3], s32 offset:700
	buffer_load_dword v39, off, s[0:3], s32 offset:596
	buffer_load_dword v38, off, s[0:3], s32 offset:600
	buffer_load_dword v37, off, s[0:3], s32 offset:604
	buffer_load_dword v36, off, s[0:3], s32 offset:608
	buffer_load_dword v35, off, s[0:3], s32 offset:612
	buffer_load_dword v34, off, s[0:3], s32 offset:616
	buffer_load_dword v33, off, s[0:3], s32 offset:620
	buffer_load_dword v32, off, s[0:3], s32 offset:624
	buffer_load_dword v31, off, s[0:3], s32 offset:628
	buffer_load_dword v30, off, s[0:3], s32 offset:632
	buffer_load_dword v29, off, s[0:3], s32 offset:636
	buffer_load_dword v48, off, s[0:3], s32 offset:640
	buffer_load_dword v49, off, s[0:3], s32 offset:644
	buffer_load_dword v50, off, s[0:3], s32 offset:648
	buffer_load_dword v51, off, s[0:3], s32 offset:652
	buffer_load_dword v52, off, s[0:3], s32 offset:656
	buffer_load_dword v53, off, s[0:3], s32 offset:660
	buffer_load_dword v54, off, s[0:3], s32 offset:664
	buffer_load_dword v55, off, s[0:3], s32 offset:668
	v_mov_b32_e32 v0, s16
	v_mov_b32_e32 v1, s17
.LBB397_3152:
	s_or_b32 exec_lo, exec_lo, s7
	v_lshlrev_b64 v[0:1], 2, v[0:1]
	s_getpc_b64 s[8:9]
	s_add_u32 s8, s8, llvm.amdgcn.dynlds.offset.table@rel32@lo+4
	s_addc_u32 s9, s9, llvm.amdgcn.dynlds.offset.table@rel32@hi+12
	s_waitcnt vmcnt(0) lgkmcnt(0)
	s_waitcnt_vscnt null, 0x0
	s_barrier
	buffer_gl0_inv
	s_clause 0x2
	buffer_load_dword v25, off, s[0:3], s32 offset:1624
	buffer_load_dword v27, off, s[0:3], s32 offset:1628
	;; [unrolled: 1-line block ×3, first 2 shown]
	v_add_co_u32 v0, vcc_lo, s8, v0
	v_add_co_ci_u32_e64 v1, null, s9, v1, vcc_lo
	ds_bpermute_b32 v2, v23, v71
	ds_bpermute_b32 v3, v23, v69
	;; [unrolled: 1-line block ×3, first 2 shown]
	global_load_dword v24, v[0:1], off
	ds_bpermute_b32 v0, v23, v70
	ds_bpermute_b32 v1, v23, v80
	;; [unrolled: 1-line block ×21, first 2 shown]
	s_waitcnt lgkmcnt(20)
	v_add_f32_e32 v0, v70, v0
	s_waitcnt lgkmcnt(19)
	v_add_f32_e32 v1, v80, v1
	v_add_f32_e32 v2, v71, v2
	;; [unrolled: 1-line block ×4, first 2 shown]
	s_waitcnt lgkmcnt(18)
	v_add_f32_e32 v5, v54, v5
	s_waitcnt lgkmcnt(17)
	v_add_f32_e32 v6, v53, v6
	s_waitcnt lgkmcnt(16)
	v_add_f32_e32 v7, v52, v7
	s_waitcnt lgkmcnt(15)
	v_add_f32_e32 v8, v51, v8
	s_waitcnt lgkmcnt(14)
	v_add_f32_e32 v9, v50, v9
	s_waitcnt lgkmcnt(13)
	v_add_f32_e32 v10, v49, v10
	s_waitcnt lgkmcnt(12)
	v_add_f32_e32 v11, v48, v11
	s_waitcnt lgkmcnt(11)
	v_add_f32_e32 v29, v29, v12
	s_waitcnt lgkmcnt(10)
	v_add_f32_e32 v30, v30, v13
	s_waitcnt lgkmcnt(9)
	v_add_f32_e32 v31, v31, v14
	s_waitcnt lgkmcnt(8)
	v_add_f32_e32 v32, v32, v15
	s_waitcnt lgkmcnt(7)
	v_add_f32_e32 v33, v33, v16
	s_waitcnt lgkmcnt(6)
	v_add_f32_e32 v34, v34, v17
	s_waitcnt lgkmcnt(5)
	v_add_f32_e32 v35, v35, v18
	s_waitcnt lgkmcnt(4)
	v_add_f32_e32 v36, v36, v19
	s_waitcnt lgkmcnt(3)
	v_add_f32_e32 v37, v37, v20
	s_waitcnt lgkmcnt(2)
	v_add_f32_e32 v38, v38, v21
	s_waitcnt lgkmcnt(1)
	v_add_f32_e32 v39, v39, v22
	s_waitcnt lgkmcnt(0)
	v_add_f32_e32 v48, v68, v23
	ds_bpermute_b32 v12, v82, v0
	ds_bpermute_b32 v13, v82, v1
	;; [unrolled: 1-line block ×24, first 2 shown]
	s_waitcnt lgkmcnt(23)
	v_add_f32_e32 v23, v0, v12
	s_waitcnt lgkmcnt(22)
	v_add_f32_e32 v22, v1, v13
	;; [unrolled: 2-line block ×24, first 2 shown]
	s_mov_b32 s4, exec_lo
	s_waitcnt vmcnt(3)
	v_lshrrev_b32_e32 v26, 2, v25
	v_and_b32_e32 v25, 28, v25
	s_waitcnt vmcnt(2)
	v_mul_u32_u24_e32 v27, 0x300, v27
	s_waitcnt vmcnt(1)
	v_and_b32_e32 v28, 0x3c3, v28
	s_waitcnt vmcnt(0)
	v_add_nc_u32_e32 v25, v24, v25
	v_cmpx_eq_u32_e32 64, v28
	s_cbranch_execz .LBB397_3154
; %bb.3153:
	v_add_nc_u32_e32 v28, v25, v27
	v_add_nc_u32_e32 v29, 0xfffffa00, v28
	;; [unrolled: 1-line block ×7, first 2 shown]
	ds_write_b32 v29, v23
	ds_write_b32 v30, v22
	;; [unrolled: 1-line block ×4, first 2 shown]
	v_add_nc_u32_e32 v29, 0xfffffac0, v28
	v_add_nc_u32_e32 v30, 0xfffffae0, v28
	v_add_nc_u32_e32 v31, 0xfffffb00, v28
	ds_write_b32 v33, v19
	ds_write_b32 v34, v18
	ds_write_b32 v29, v17
	ds_write_b32 v30, v16
	ds_write_b32 v31, v15
	v_add_nc_u32_e32 v29, 0xfffffb20, v28
	v_add_nc_u32_e32 v30, 0xfffffb40, v28
	v_add_nc_u32_e32 v31, 0xfffffb60, v28
	v_add_nc_u32_e32 v32, 0xfffffb80, v28
	v_add_nc_u32_e32 v33, 0xfffffba0, v28
	ds_write_b32 v29, v14
	ds_write_b32 v30, v13
	ds_write_b32 v31, v12
	ds_write_b32 v32, v11
	ds_write_b32 v33, v10
	v_add_nc_u32_e32 v29, 0xfffffbc0, v28
	v_add_nc_u32_e32 v30, 0xfffffbe0, v28
	;; [unrolled: 10-line block ×3, first 2 shown]
	v_add_nc_u32_e32 v31, 0xfffffca0, v28
	v_add_nc_u32_e32 v32, 0xfffffcc0, v28
	;; [unrolled: 1-line block ×3, first 2 shown]
	ds_write_b32 v29, v4
	ds_write_b32 v30, v3
	;; [unrolled: 1-line block ×5, first 2 shown]
.LBB397_3154:
	s_or_b32 exec_lo, exec_lo, s4
	buffer_load_dword v29, off, s[0:3], s32 offset:1620 ; 4-byte Folded Reload
	v_lshlrev_b32_e32 v26, 2, v26
	s_mov_b32 s7, exec_lo
	s_waitcnt vmcnt(0) lgkmcnt(0)
	s_barrier
	buffer_gl0_inv
	v_add3_u32 v24, v24, v27, v26
	v_and_b32_e32 v28, 3, v29
	v_cmp_eq_u32_e32 vcc_lo, 0, v28
	v_cmpx_gt_u32_e32 64, v29
	s_cbranch_execz .LBB397_3181
; %bb.3155:
	s_and_saveexec_b32 s4, vcc_lo
	s_cbranch_execnz .LBB397_3213
; %bb.3156:
	s_or_b32 exec_lo, exec_lo, s4
	s_and_saveexec_b32 s4, vcc_lo
	s_cbranch_execnz .LBB397_3214
.LBB397_3157:
	s_or_b32 exec_lo, exec_lo, s4
	s_and_saveexec_b32 s4, vcc_lo
	s_cbranch_execnz .LBB397_3215
.LBB397_3158:
	s_or_b32 exec_lo, exec_lo, s4
	s_and_saveexec_b32 s4, vcc_lo
	s_cbranch_execnz .LBB397_3216
.LBB397_3159:
	s_or_b32 exec_lo, exec_lo, s4
	s_and_saveexec_b32 s4, vcc_lo
	s_cbranch_execnz .LBB397_3217
.LBB397_3160:
	s_or_b32 exec_lo, exec_lo, s4
	s_and_saveexec_b32 s4, vcc_lo
	s_cbranch_execnz .LBB397_3218
.LBB397_3161:
	s_or_b32 exec_lo, exec_lo, s4
	s_and_saveexec_b32 s4, vcc_lo
	s_cbranch_execnz .LBB397_3219
.LBB397_3162:
	s_or_b32 exec_lo, exec_lo, s4
	s_and_saveexec_b32 s4, vcc_lo
	s_cbranch_execnz .LBB397_3220
.LBB397_3163:
	s_or_b32 exec_lo, exec_lo, s4
	s_and_saveexec_b32 s4, vcc_lo
	s_cbranch_execnz .LBB397_3221
.LBB397_3164:
	s_or_b32 exec_lo, exec_lo, s4
	s_and_saveexec_b32 s4, vcc_lo
	s_cbranch_execnz .LBB397_3222
.LBB397_3165:
	s_or_b32 exec_lo, exec_lo, s4
	s_and_saveexec_b32 s4, vcc_lo
	s_cbranch_execnz .LBB397_3223
.LBB397_3166:
	s_or_b32 exec_lo, exec_lo, s4
	s_and_saveexec_b32 s4, vcc_lo
	s_cbranch_execnz .LBB397_3224
.LBB397_3167:
	s_or_b32 exec_lo, exec_lo, s4
	s_and_saveexec_b32 s4, vcc_lo
	s_cbranch_execnz .LBB397_3225
.LBB397_3168:
	s_or_b32 exec_lo, exec_lo, s4
	s_and_saveexec_b32 s4, vcc_lo
	s_cbranch_execnz .LBB397_3226
.LBB397_3169:
	s_or_b32 exec_lo, exec_lo, s4
	s_and_saveexec_b32 s4, vcc_lo
	s_cbranch_execnz .LBB397_3227
.LBB397_3170:
	s_or_b32 exec_lo, exec_lo, s4
	s_and_saveexec_b32 s4, vcc_lo
	s_cbranch_execnz .LBB397_3228
.LBB397_3171:
	s_or_b32 exec_lo, exec_lo, s4
	s_and_saveexec_b32 s4, vcc_lo
	s_cbranch_execnz .LBB397_3229
.LBB397_3172:
	s_or_b32 exec_lo, exec_lo, s4
	s_and_saveexec_b32 s4, vcc_lo
	s_cbranch_execnz .LBB397_3230
.LBB397_3173:
	s_or_b32 exec_lo, exec_lo, s4
	s_and_saveexec_b32 s4, vcc_lo
	s_cbranch_execnz .LBB397_3231
.LBB397_3174:
	s_or_b32 exec_lo, exec_lo, s4
	s_and_saveexec_b32 s4, vcc_lo
	s_cbranch_execnz .LBB397_3232
.LBB397_3175:
	s_or_b32 exec_lo, exec_lo, s4
	s_and_saveexec_b32 s4, vcc_lo
	s_cbranch_execnz .LBB397_3233
.LBB397_3176:
	s_or_b32 exec_lo, exec_lo, s4
	s_and_saveexec_b32 s4, vcc_lo
	s_cbranch_execnz .LBB397_3234
.LBB397_3177:
	s_or_b32 exec_lo, exec_lo, s4
	s_and_saveexec_b32 s4, vcc_lo
	s_cbranch_execnz .LBB397_3235
.LBB397_3178:
	s_or_b32 exec_lo, exec_lo, s4
	s_and_saveexec_b32 s4, vcc_lo
	s_cbranch_execz .LBB397_3180
.LBB397_3179:
	ds_read_b32 v26, v24 offset:736
	s_waitcnt lgkmcnt(0)
	v_add_f32_e32 v0, v26, v0
.LBB397_3180:
	s_or_b32 exec_lo, exec_lo, s4
.LBB397_3181:
	s_or_b32 exec_lo, exec_lo, s7
	buffer_load_dword v26, off, s[0:3], s32 offset:1620 ; 4-byte Folded Reload
	s_mov_b32 s7, exec_lo
	s_waitcnt vmcnt(0)
	s_barrier
	buffer_gl0_inv
	v_and_b32_e32 v26, 0x3e3, v26
	v_cmpx_eq_u32_e32 32, v26
	s_cbranch_execz .LBB397_3183
; %bb.3182:
	ds_write2_b32 v25, v23, v22 offset1:8
	ds_write2_b32 v25, v21, v20 offset0:16 offset1:24
	ds_write2_b32 v25, v19, v18 offset0:32 offset1:40
	;; [unrolled: 1-line block ×11, first 2 shown]
.LBB397_3183:
	s_or_b32 exec_lo, exec_lo, s7
	buffer_load_dword v25, off, s[0:3], s32 offset:1620 ; 4-byte Folded Reload
	s_mov_b32 s7, exec_lo
	s_waitcnt vmcnt(0) lgkmcnt(0)
	s_barrier
	buffer_gl0_inv
	v_cmpx_gt_u32_e32 32, v25
	s_cbranch_execz .LBB397_3210
; %bb.3184:
	s_and_saveexec_b32 s4, vcc_lo
	s_cbranch_execnz .LBB397_3236
; %bb.3185:
	s_or_b32 exec_lo, exec_lo, s4
	s_and_saveexec_b32 s4, vcc_lo
	s_cbranch_execnz .LBB397_3237
.LBB397_3186:
	s_or_b32 exec_lo, exec_lo, s4
	s_and_saveexec_b32 s4, vcc_lo
	s_cbranch_execnz .LBB397_3238
.LBB397_3187:
	s_or_b32 exec_lo, exec_lo, s4
	s_and_saveexec_b32 s4, vcc_lo
	s_cbranch_execnz .LBB397_3239
.LBB397_3188:
	s_or_b32 exec_lo, exec_lo, s4
	s_and_saveexec_b32 s4, vcc_lo
	s_cbranch_execnz .LBB397_3240
.LBB397_3189:
	s_or_b32 exec_lo, exec_lo, s4
	s_and_saveexec_b32 s4, vcc_lo
	s_cbranch_execnz .LBB397_3241
.LBB397_3190:
	s_or_b32 exec_lo, exec_lo, s4
	s_and_saveexec_b32 s4, vcc_lo
	s_cbranch_execnz .LBB397_3242
.LBB397_3191:
	s_or_b32 exec_lo, exec_lo, s4
	s_and_saveexec_b32 s4, vcc_lo
	s_cbranch_execnz .LBB397_3243
.LBB397_3192:
	s_or_b32 exec_lo, exec_lo, s4
	s_and_saveexec_b32 s4, vcc_lo
	s_cbranch_execnz .LBB397_3244
.LBB397_3193:
	s_or_b32 exec_lo, exec_lo, s4
	s_and_saveexec_b32 s4, vcc_lo
	s_cbranch_execnz .LBB397_3245
.LBB397_3194:
	s_or_b32 exec_lo, exec_lo, s4
	s_and_saveexec_b32 s4, vcc_lo
	s_cbranch_execnz .LBB397_3246
.LBB397_3195:
	s_or_b32 exec_lo, exec_lo, s4
	s_and_saveexec_b32 s4, vcc_lo
	s_cbranch_execnz .LBB397_3247
.LBB397_3196:
	s_or_b32 exec_lo, exec_lo, s4
	s_and_saveexec_b32 s4, vcc_lo
	s_cbranch_execnz .LBB397_3248
.LBB397_3197:
	s_or_b32 exec_lo, exec_lo, s4
	s_and_saveexec_b32 s4, vcc_lo
	s_cbranch_execnz .LBB397_3249
.LBB397_3198:
	s_or_b32 exec_lo, exec_lo, s4
	s_and_saveexec_b32 s4, vcc_lo
	s_cbranch_execnz .LBB397_3250
.LBB397_3199:
	s_or_b32 exec_lo, exec_lo, s4
	s_and_saveexec_b32 s4, vcc_lo
	s_cbranch_execnz .LBB397_3251
.LBB397_3200:
	s_or_b32 exec_lo, exec_lo, s4
	s_and_saveexec_b32 s4, vcc_lo
	s_cbranch_execnz .LBB397_3252
.LBB397_3201:
	s_or_b32 exec_lo, exec_lo, s4
	s_and_saveexec_b32 s4, vcc_lo
	s_cbranch_execnz .LBB397_3253
.LBB397_3202:
	s_or_b32 exec_lo, exec_lo, s4
	s_and_saveexec_b32 s4, vcc_lo
	s_cbranch_execnz .LBB397_3254
.LBB397_3203:
	s_or_b32 exec_lo, exec_lo, s4
	s_and_saveexec_b32 s4, vcc_lo
	s_cbranch_execnz .LBB397_3255
.LBB397_3204:
	s_or_b32 exec_lo, exec_lo, s4
	s_and_saveexec_b32 s4, vcc_lo
	s_cbranch_execnz .LBB397_3256
.LBB397_3205:
	s_or_b32 exec_lo, exec_lo, s4
	s_and_saveexec_b32 s4, vcc_lo
	s_cbranch_execnz .LBB397_3257
.LBB397_3206:
	s_or_b32 exec_lo, exec_lo, s4
	s_and_saveexec_b32 s4, vcc_lo
	s_cbranch_execnz .LBB397_3258
.LBB397_3207:
	s_or_b32 exec_lo, exec_lo, s4
	s_and_saveexec_b32 s4, vcc_lo
	s_cbranch_execz .LBB397_3209
.LBB397_3208:
	ds_read_b32 v24, v24 offset:736
	s_waitcnt lgkmcnt(0)
	v_add_f32_e32 v0, v24, v0
.LBB397_3209:
	s_or_b32 exec_lo, exec_lo, s4
.LBB397_3210:
	s_or_b32 exec_lo, exec_lo, s7
	v_cmp_eq_u32_e32 vcc_lo, 0, v26
	s_barrier
	buffer_gl0_inv
	s_and_b32 exec_lo, exec_lo, vcc_lo
	s_cbranch_execz .LBB397_3212
; %bb.3211:
	s_clause 0x2
	buffer_load_dword v24, off, s[0:3], s32 offset:1636
	buffer_load_dword v25, off, s[0:3], s32 offset:1632
	;; [unrolled: 1-line block ×3, first 2 shown]
	s_mulk_i32 s6, 0xc0
	s_mul_i32 s4, s10, s5
	s_ashr_i32 s7, s6, 31
	s_ashr_i32 s5, s4, 31
	s_lshl_b64 s[6:7], s[6:7], 1
	s_lshl_b64 s[4:5], s[4:5], 1
	v_bfe_u32 v27, v23, 16, 1
	v_or_b32_e32 v28, 0x400000, v23
	v_add3_u32 v27, v27, v23, 0x7fff
	s_waitcnt vmcnt(2)
	v_add_co_u32 v24, vcc_lo, v24, s6
	s_waitcnt vmcnt(1)
	v_add_co_ci_u32_e64 v25, null, s7, v25, vcc_lo
	s_mul_i32 s6, s14, 0xc0
	v_add_co_u32 v24, vcc_lo, v24, s4
	s_ashr_i32 s7, s6, 31
	v_add_co_ci_u32_e64 v25, null, s5, v25, vcc_lo
	s_lshl_b64 s[4:5], s[6:7], 1
	s_waitcnt vmcnt(0)
	v_lshrrev_b32_e32 v26, 1, v26
	v_add_co_u32 v24, vcc_lo, v24, s4
	v_add_co_ci_u32_e64 v25, null, s5, v25, vcc_lo
	v_add_co_u32 v24, vcc_lo, v24, v26
	v_add_co_ci_u32_e64 v25, null, 0, v25, vcc_lo
	v_bfe_u32 v26, v22, 16, 1
	v_cmp_u_f32_e32 vcc_lo, v23, v23
	v_add3_u32 v26, v26, v22, 0x7fff
	v_cndmask_b32_e32 v23, v27, v28, vcc_lo
	v_bfe_u32 v27, v21, 16, 1
	v_or_b32_e32 v28, 0x400000, v22
	v_cmp_u_f32_e32 vcc_lo, v22, v22
	flat_store_short_d16_hi v[24:25], v23
	v_add3_u32 v23, v27, v21, 0x7fff
	v_or_b32_e32 v27, 0x400000, v21
	v_cndmask_b32_e32 v22, v26, v28, vcc_lo
	v_bfe_u32 v26, v20, 16, 1
	v_cmp_u_f32_e32 vcc_lo, v21, v21
	flat_store_short_d16_hi v[24:25], v22 offset:16
	v_add3_u32 v22, v26, v20, 0x7fff
	v_cndmask_b32_e32 v21, v23, v27, vcc_lo
	v_bfe_u32 v23, v19, 16, 1
	v_or_b32_e32 v26, 0x400000, v20
	v_cmp_u_f32_e32 vcc_lo, v20, v20
	flat_store_short_d16_hi v[24:25], v21 offset:32
	v_add3_u32 v21, v23, v19, 0x7fff
	v_or_b32_e32 v23, 0x400000, v19
	v_cndmask_b32_e32 v20, v22, v26, vcc_lo
	v_bfe_u32 v22, v18, 16, 1
	v_cmp_u_f32_e32 vcc_lo, v19, v19
	flat_store_short_d16_hi v[24:25], v20 offset:48
	v_add3_u32 v20, v22, v18, 0x7fff
	v_cndmask_b32_e32 v19, v21, v23, vcc_lo
	v_bfe_u32 v21, v17, 16, 1
	v_or_b32_e32 v22, 0x400000, v18
	v_cmp_u_f32_e32 vcc_lo, v18, v18
	flat_store_short_d16_hi v[24:25], v19 offset:64
	;; [unrolled: 12-line block ×8, first 2 shown]
	v_add3_u32 v7, v9, v5, 0x7fff
	v_or_b32_e32 v9, 0x400000, v5
	v_cndmask_b32_e32 v6, v8, v10, vcc_lo
	v_bfe_u32 v8, v4, 16, 1
	v_cmp_u_f32_e32 vcc_lo, v5, v5
	v_or_b32_e32 v10, 0x400000, v0
	flat_store_short_d16_hi v[24:25], v6 offset:272
	v_add3_u32 v6, v8, v4, 0x7fff
	v_cndmask_b32_e32 v5, v7, v9, vcc_lo
	v_bfe_u32 v7, v3, 16, 1
	v_or_b32_e32 v8, 0x400000, v4
	v_cmp_u_f32_e32 vcc_lo, v4, v4
	v_or_b32_e32 v9, 0x400000, v1
	flat_store_short_d16_hi v[24:25], v5 offset:288
	v_add3_u32 v5, v7, v3, 0x7fff
	v_or_b32_e32 v7, 0x400000, v3
	v_cndmask_b32_e32 v4, v6, v8, vcc_lo
	v_bfe_u32 v6, v2, 16, 1
	v_cmp_u_f32_e32 vcc_lo, v3, v3
	v_bfe_u32 v8, v1, 16, 1
	v_add3_u32 v6, v6, v2, 0x7fff
	v_cndmask_b32_e32 v3, v5, v7, vcc_lo
	v_or_b32_e32 v7, 0x400000, v2
	v_cmp_u_f32_e32 vcc_lo, v2, v2
	v_bfe_u32 v5, v0, 16, 1
	v_add3_u32 v8, v8, v1, 0x7fff
	v_cndmask_b32_e32 v2, v6, v7, vcc_lo
	v_cmp_u_f32_e32 vcc_lo, v1, v1
	v_add3_u32 v5, v5, v0, 0x7fff
	v_cndmask_b32_e32 v1, v8, v9, vcc_lo
	v_cmp_u_f32_e32 vcc_lo, v0, v0
	v_cndmask_b32_e32 v0, v5, v10, vcc_lo
	flat_store_short_d16_hi v[24:25], v4 offset:304
	flat_store_short_d16_hi v[24:25], v3 offset:320
	flat_store_short_d16_hi v[24:25], v2 offset:336
	flat_store_short_d16_hi v[24:25], v1 offset:352
	flat_store_short_d16_hi v[24:25], v0 offset:368
.LBB397_3212:
	s_or_b32 exec_lo, exec_lo, s19
	s_clause 0x2f
	buffer_load_dword v127, off, s[0:3], s32
	buffer_load_dword v126, off, s[0:3], s32 offset:4
	buffer_load_dword v125, off, s[0:3], s32 offset:8
	;; [unrolled: 1-line block ×47, first 2 shown]
	s_waitcnt vmcnt(0) lgkmcnt(0)
	s_setpc_b64 s[30:31]
.LBB397_3213:
	ds_read_b32 v26, v24
	s_waitcnt lgkmcnt(0)
	v_add_f32_e32 v23, v26, v23
	s_or_b32 exec_lo, exec_lo, s4
	s_and_saveexec_b32 s4, vcc_lo
	s_cbranch_execz .LBB397_3157
.LBB397_3214:
	ds_read_b32 v26, v24 offset:32
	s_waitcnt lgkmcnt(0)
	v_add_f32_e32 v22, v26, v22
	s_or_b32 exec_lo, exec_lo, s4
	s_and_saveexec_b32 s4, vcc_lo
	s_cbranch_execz .LBB397_3158
.LBB397_3215:
	ds_read_b32 v26, v24 offset:64
	s_waitcnt lgkmcnt(0)
	v_add_f32_e32 v21, v26, v21
	s_or_b32 exec_lo, exec_lo, s4
	s_and_saveexec_b32 s4, vcc_lo
	s_cbranch_execz .LBB397_3159
.LBB397_3216:
	ds_read_b32 v26, v24 offset:96
	s_waitcnt lgkmcnt(0)
	v_add_f32_e32 v20, v26, v20
	s_or_b32 exec_lo, exec_lo, s4
	s_and_saveexec_b32 s4, vcc_lo
	s_cbranch_execz .LBB397_3160
.LBB397_3217:
	ds_read_b32 v26, v24 offset:128
	s_waitcnt lgkmcnt(0)
	v_add_f32_e32 v19, v26, v19
	s_or_b32 exec_lo, exec_lo, s4
	s_and_saveexec_b32 s4, vcc_lo
	s_cbranch_execz .LBB397_3161
.LBB397_3218:
	ds_read_b32 v26, v24 offset:160
	s_waitcnt lgkmcnt(0)
	v_add_f32_e32 v18, v26, v18
	s_or_b32 exec_lo, exec_lo, s4
	s_and_saveexec_b32 s4, vcc_lo
	s_cbranch_execz .LBB397_3162
.LBB397_3219:
	ds_read_b32 v26, v24 offset:192
	s_waitcnt lgkmcnt(0)
	v_add_f32_e32 v17, v26, v17
	s_or_b32 exec_lo, exec_lo, s4
	s_and_saveexec_b32 s4, vcc_lo
	s_cbranch_execz .LBB397_3163
.LBB397_3220:
	ds_read_b32 v26, v24 offset:224
	s_waitcnt lgkmcnt(0)
	v_add_f32_e32 v16, v26, v16
	s_or_b32 exec_lo, exec_lo, s4
	s_and_saveexec_b32 s4, vcc_lo
	s_cbranch_execz .LBB397_3164
.LBB397_3221:
	ds_read_b32 v26, v24 offset:256
	s_waitcnt lgkmcnt(0)
	v_add_f32_e32 v15, v26, v15
	s_or_b32 exec_lo, exec_lo, s4
	s_and_saveexec_b32 s4, vcc_lo
	s_cbranch_execz .LBB397_3165
.LBB397_3222:
	ds_read_b32 v26, v24 offset:288
	s_waitcnt lgkmcnt(0)
	v_add_f32_e32 v14, v26, v14
	s_or_b32 exec_lo, exec_lo, s4
	s_and_saveexec_b32 s4, vcc_lo
	s_cbranch_execz .LBB397_3166
.LBB397_3223:
	ds_read_b32 v26, v24 offset:320
	s_waitcnt lgkmcnt(0)
	v_add_f32_e32 v13, v26, v13
	s_or_b32 exec_lo, exec_lo, s4
	s_and_saveexec_b32 s4, vcc_lo
	s_cbranch_execz .LBB397_3167
.LBB397_3224:
	ds_read_b32 v26, v24 offset:352
	s_waitcnt lgkmcnt(0)
	v_add_f32_e32 v12, v26, v12
	s_or_b32 exec_lo, exec_lo, s4
	s_and_saveexec_b32 s4, vcc_lo
	s_cbranch_execz .LBB397_3168
.LBB397_3225:
	ds_read_b32 v26, v24 offset:384
	s_waitcnt lgkmcnt(0)
	v_add_f32_e32 v11, v26, v11
	s_or_b32 exec_lo, exec_lo, s4
	s_and_saveexec_b32 s4, vcc_lo
	s_cbranch_execz .LBB397_3169
.LBB397_3226:
	ds_read_b32 v26, v24 offset:416
	s_waitcnt lgkmcnt(0)
	v_add_f32_e32 v10, v26, v10
	s_or_b32 exec_lo, exec_lo, s4
	s_and_saveexec_b32 s4, vcc_lo
	s_cbranch_execz .LBB397_3170
.LBB397_3227:
	ds_read_b32 v26, v24 offset:448
	s_waitcnt lgkmcnt(0)
	v_add_f32_e32 v9, v26, v9
	s_or_b32 exec_lo, exec_lo, s4
	s_and_saveexec_b32 s4, vcc_lo
	s_cbranch_execz .LBB397_3171
.LBB397_3228:
	ds_read_b32 v26, v24 offset:480
	s_waitcnt lgkmcnt(0)
	v_add_f32_e32 v8, v26, v8
	s_or_b32 exec_lo, exec_lo, s4
	s_and_saveexec_b32 s4, vcc_lo
	s_cbranch_execz .LBB397_3172
.LBB397_3229:
	ds_read_b32 v26, v24 offset:512
	s_waitcnt lgkmcnt(0)
	v_add_f32_e32 v7, v26, v7
	s_or_b32 exec_lo, exec_lo, s4
	s_and_saveexec_b32 s4, vcc_lo
	s_cbranch_execz .LBB397_3173
.LBB397_3230:
	ds_read_b32 v26, v24 offset:544
	s_waitcnt lgkmcnt(0)
	v_add_f32_e32 v6, v26, v6
	s_or_b32 exec_lo, exec_lo, s4
	s_and_saveexec_b32 s4, vcc_lo
	s_cbranch_execz .LBB397_3174
.LBB397_3231:
	ds_read_b32 v26, v24 offset:576
	s_waitcnt lgkmcnt(0)
	v_add_f32_e32 v5, v26, v5
	s_or_b32 exec_lo, exec_lo, s4
	s_and_saveexec_b32 s4, vcc_lo
	s_cbranch_execz .LBB397_3175
.LBB397_3232:
	ds_read_b32 v26, v24 offset:608
	s_waitcnt lgkmcnt(0)
	v_add_f32_e32 v4, v26, v4
	s_or_b32 exec_lo, exec_lo, s4
	s_and_saveexec_b32 s4, vcc_lo
	s_cbranch_execz .LBB397_3176
.LBB397_3233:
	ds_read_b32 v26, v24 offset:640
	s_waitcnt lgkmcnt(0)
	v_add_f32_e32 v3, v26, v3
	s_or_b32 exec_lo, exec_lo, s4
	s_and_saveexec_b32 s4, vcc_lo
	s_cbranch_execz .LBB397_3177
.LBB397_3234:
	ds_read_b32 v26, v24 offset:672
	s_waitcnt lgkmcnt(0)
	v_add_f32_e32 v2, v26, v2
	s_or_b32 exec_lo, exec_lo, s4
	s_and_saveexec_b32 s4, vcc_lo
	s_cbranch_execz .LBB397_3178
.LBB397_3235:
	ds_read_b32 v26, v24 offset:704
	s_waitcnt lgkmcnt(0)
	v_add_f32_e32 v1, v26, v1
	s_or_b32 exec_lo, exec_lo, s4
	s_and_saveexec_b32 s4, vcc_lo
	s_cbranch_execnz .LBB397_3179
	s_branch .LBB397_3180
.LBB397_3236:
	ds_read_b32 v25, v24
	s_waitcnt lgkmcnt(0)
	v_add_f32_e32 v23, v25, v23
	s_or_b32 exec_lo, exec_lo, s4
	s_and_saveexec_b32 s4, vcc_lo
	s_cbranch_execz .LBB397_3186
.LBB397_3237:
	ds_read_b32 v25, v24 offset:32
	s_waitcnt lgkmcnt(0)
	v_add_f32_e32 v22, v25, v22
	s_or_b32 exec_lo, exec_lo, s4
	s_and_saveexec_b32 s4, vcc_lo
	s_cbranch_execz .LBB397_3187
.LBB397_3238:
	ds_read_b32 v25, v24 offset:64
	s_waitcnt lgkmcnt(0)
	v_add_f32_e32 v21, v25, v21
	s_or_b32 exec_lo, exec_lo, s4
	s_and_saveexec_b32 s4, vcc_lo
	s_cbranch_execz .LBB397_3188
.LBB397_3239:
	ds_read_b32 v25, v24 offset:96
	s_waitcnt lgkmcnt(0)
	v_add_f32_e32 v20, v25, v20
	s_or_b32 exec_lo, exec_lo, s4
	s_and_saveexec_b32 s4, vcc_lo
	s_cbranch_execz .LBB397_3189
.LBB397_3240:
	ds_read_b32 v25, v24 offset:128
	s_waitcnt lgkmcnt(0)
	v_add_f32_e32 v19, v25, v19
	s_or_b32 exec_lo, exec_lo, s4
	s_and_saveexec_b32 s4, vcc_lo
	s_cbranch_execz .LBB397_3190
.LBB397_3241:
	ds_read_b32 v25, v24 offset:160
	s_waitcnt lgkmcnt(0)
	v_add_f32_e32 v18, v25, v18
	s_or_b32 exec_lo, exec_lo, s4
	s_and_saveexec_b32 s4, vcc_lo
	s_cbranch_execz .LBB397_3191
.LBB397_3242:
	ds_read_b32 v25, v24 offset:192
	s_waitcnt lgkmcnt(0)
	v_add_f32_e32 v17, v25, v17
	s_or_b32 exec_lo, exec_lo, s4
	s_and_saveexec_b32 s4, vcc_lo
	s_cbranch_execz .LBB397_3192
.LBB397_3243:
	ds_read_b32 v25, v24 offset:224
	s_waitcnt lgkmcnt(0)
	v_add_f32_e32 v16, v25, v16
	s_or_b32 exec_lo, exec_lo, s4
	s_and_saveexec_b32 s4, vcc_lo
	s_cbranch_execz .LBB397_3193
.LBB397_3244:
	ds_read_b32 v25, v24 offset:256
	s_waitcnt lgkmcnt(0)
	v_add_f32_e32 v15, v25, v15
	s_or_b32 exec_lo, exec_lo, s4
	s_and_saveexec_b32 s4, vcc_lo
	s_cbranch_execz .LBB397_3194
.LBB397_3245:
	ds_read_b32 v25, v24 offset:288
	s_waitcnt lgkmcnt(0)
	v_add_f32_e32 v14, v25, v14
	s_or_b32 exec_lo, exec_lo, s4
	s_and_saveexec_b32 s4, vcc_lo
	s_cbranch_execz .LBB397_3195
.LBB397_3246:
	ds_read_b32 v25, v24 offset:320
	s_waitcnt lgkmcnt(0)
	v_add_f32_e32 v13, v25, v13
	s_or_b32 exec_lo, exec_lo, s4
	s_and_saveexec_b32 s4, vcc_lo
	s_cbranch_execz .LBB397_3196
.LBB397_3247:
	ds_read_b32 v25, v24 offset:352
	s_waitcnt lgkmcnt(0)
	v_add_f32_e32 v12, v25, v12
	s_or_b32 exec_lo, exec_lo, s4
	s_and_saveexec_b32 s4, vcc_lo
	s_cbranch_execz .LBB397_3197
.LBB397_3248:
	ds_read_b32 v25, v24 offset:384
	s_waitcnt lgkmcnt(0)
	v_add_f32_e32 v11, v25, v11
	s_or_b32 exec_lo, exec_lo, s4
	s_and_saveexec_b32 s4, vcc_lo
	s_cbranch_execz .LBB397_3198
.LBB397_3249:
	ds_read_b32 v25, v24 offset:416
	s_waitcnt lgkmcnt(0)
	v_add_f32_e32 v10, v25, v10
	s_or_b32 exec_lo, exec_lo, s4
	s_and_saveexec_b32 s4, vcc_lo
	s_cbranch_execz .LBB397_3199
.LBB397_3250:
	ds_read_b32 v25, v24 offset:448
	s_waitcnt lgkmcnt(0)
	v_add_f32_e32 v9, v25, v9
	s_or_b32 exec_lo, exec_lo, s4
	s_and_saveexec_b32 s4, vcc_lo
	s_cbranch_execz .LBB397_3200
.LBB397_3251:
	ds_read_b32 v25, v24 offset:480
	s_waitcnt lgkmcnt(0)
	v_add_f32_e32 v8, v25, v8
	s_or_b32 exec_lo, exec_lo, s4
	s_and_saveexec_b32 s4, vcc_lo
	s_cbranch_execz .LBB397_3201
.LBB397_3252:
	ds_read_b32 v25, v24 offset:512
	s_waitcnt lgkmcnt(0)
	v_add_f32_e32 v7, v25, v7
	s_or_b32 exec_lo, exec_lo, s4
	s_and_saveexec_b32 s4, vcc_lo
	s_cbranch_execz .LBB397_3202
.LBB397_3253:
	ds_read_b32 v25, v24 offset:544
	s_waitcnt lgkmcnt(0)
	v_add_f32_e32 v6, v25, v6
	s_or_b32 exec_lo, exec_lo, s4
	s_and_saveexec_b32 s4, vcc_lo
	s_cbranch_execz .LBB397_3203
.LBB397_3254:
	ds_read_b32 v25, v24 offset:576
	s_waitcnt lgkmcnt(0)
	v_add_f32_e32 v5, v25, v5
	s_or_b32 exec_lo, exec_lo, s4
	s_and_saveexec_b32 s4, vcc_lo
	s_cbranch_execz .LBB397_3204
.LBB397_3255:
	ds_read_b32 v25, v24 offset:608
	s_waitcnt lgkmcnt(0)
	v_add_f32_e32 v4, v25, v4
	s_or_b32 exec_lo, exec_lo, s4
	s_and_saveexec_b32 s4, vcc_lo
	s_cbranch_execz .LBB397_3205
.LBB397_3256:
	ds_read_b32 v25, v24 offset:640
	s_waitcnt lgkmcnt(0)
	v_add_f32_e32 v3, v25, v3
	s_or_b32 exec_lo, exec_lo, s4
	s_and_saveexec_b32 s4, vcc_lo
	s_cbranch_execz .LBB397_3206
.LBB397_3257:
	ds_read_b32 v25, v24 offset:672
	s_waitcnt lgkmcnt(0)
	v_add_f32_e32 v2, v25, v2
	s_or_b32 exec_lo, exec_lo, s4
	s_and_saveexec_b32 s4, vcc_lo
	s_cbranch_execz .LBB397_3207
.LBB397_3258:
	ds_read_b32 v25, v24 offset:704
	s_waitcnt lgkmcnt(0)
	v_add_f32_e32 v1, v25, v1
	s_or_b32 exec_lo, exec_lo, s4
	s_and_saveexec_b32 s4, vcc_lo
	s_cbranch_execnz .LBB397_3208
	s_branch .LBB397_3209
.Lfunc_end397:
	.size	_ZN4vllm22paged_attention_kernelI14__hip_bfloat16hLi192ELi32ELi128ELNS_18Fp8KVCacheDataTypeE1ELb0ELi512EEEvPfS3_PT_PKS4_PKT0_SA_ifPKiSC_iPKfiiiSE_SE_iiiii, .Lfunc_end397-_ZN4vllm22paged_attention_kernelI14__hip_bfloat16hLi192ELi32ELi128ELNS_18Fp8KVCacheDataTypeE1ELb0ELi512EEEvPfS3_PT_PKS4_PKT0_SA_ifPKiSC_iPKfiiiSE_SE_iiiii
                                        ; -- End function
	.set .L_ZN4vllm22paged_attention_kernelI14__hip_bfloat16hLi192ELi32ELi128ELNS_18Fp8KVCacheDataTypeE1ELb0ELi512EEEvPfS3_PT_PKS4_PKT0_SA_ifPKiSC_iPKfiiiSE_SE_iiiii.num_vgpr, 128
	.set .L_ZN4vllm22paged_attention_kernelI14__hip_bfloat16hLi192ELi32ELi128ELNS_18Fp8KVCacheDataTypeE1ELb0ELi512EEEvPfS3_PT_PKS4_PKT0_SA_ifPKiSC_iPKfiiiSE_SE_iiiii.num_agpr, 0
	.set .L_ZN4vllm22paged_attention_kernelI14__hip_bfloat16hLi192ELi32ELi128ELNS_18Fp8KVCacheDataTypeE1ELb0ELi512EEEvPfS3_PT_PKS4_PKT0_SA_ifPKiSC_iPKfiiiSE_SE_iiiii.numbered_sgpr, 33
	.set .L_ZN4vllm22paged_attention_kernelI14__hip_bfloat16hLi192ELi32ELi128ELNS_18Fp8KVCacheDataTypeE1ELb0ELi512EEEvPfS3_PT_PKS4_PKT0_SA_ifPKiSC_iPKfiiiSE_SE_iiiii.num_named_barrier, 0
	.set .L_ZN4vllm22paged_attention_kernelI14__hip_bfloat16hLi192ELi32ELi128ELNS_18Fp8KVCacheDataTypeE1ELb0ELi512EEEvPfS3_PT_PKS4_PKT0_SA_ifPKiSC_iPKfiiiSE_SE_iiiii.private_seg_size, 1708
	.set .L_ZN4vllm22paged_attention_kernelI14__hip_bfloat16hLi192ELi32ELi128ELNS_18Fp8KVCacheDataTypeE1ELb0ELi512EEEvPfS3_PT_PKS4_PKT0_SA_ifPKiSC_iPKfiiiSE_SE_iiiii.uses_vcc, 1
	.set .L_ZN4vllm22paged_attention_kernelI14__hip_bfloat16hLi192ELi32ELi128ELNS_18Fp8KVCacheDataTypeE1ELb0ELi512EEEvPfS3_PT_PKS4_PKT0_SA_ifPKiSC_iPKfiiiSE_SE_iiiii.uses_flat_scratch, 0
	.set .L_ZN4vllm22paged_attention_kernelI14__hip_bfloat16hLi192ELi32ELi128ELNS_18Fp8KVCacheDataTypeE1ELb0ELi512EEEvPfS3_PT_PKS4_PKT0_SA_ifPKiSC_iPKfiiiSE_SE_iiiii.has_dyn_sized_stack, 0
	.set .L_ZN4vllm22paged_attention_kernelI14__hip_bfloat16hLi192ELi32ELi128ELNS_18Fp8KVCacheDataTypeE1ELb0ELi512EEEvPfS3_PT_PKS4_PKT0_SA_ifPKiSC_iPKfiiiSE_SE_iiiii.has_recursion, 0
	.set .L_ZN4vllm22paged_attention_kernelI14__hip_bfloat16hLi192ELi32ELi128ELNS_18Fp8KVCacheDataTypeE1ELb0ELi512EEEvPfS3_PT_PKS4_PKT0_SA_ifPKiSC_iPKfiiiSE_SE_iiiii.has_indirect_call, 0
	.section	.AMDGPU.csdata,"",@progbits
; Function info:
; codeLenInByte = 134484
; TotalNumSgprs: 35
; NumVgprs: 128
; ScratchSize: 1708
; MemoryBound: 0
	.section	.text._ZN4vllm25paged_attention_v2_kernelI14__hip_bfloat16hLi192ELi32ELi128ELNS_18Fp8KVCacheDataTypeE1ELb0ELi512EEEvPfS3_PT_PKS4_PKT0_SA_ifPKiSC_iPKfiiiSE_SE_iiiii,"axG",@progbits,_ZN4vllm25paged_attention_v2_kernelI14__hip_bfloat16hLi192ELi32ELi128ELNS_18Fp8KVCacheDataTypeE1ELb0ELi512EEEvPfS3_PT_PKS4_PKT0_SA_ifPKiSC_iPKfiiiSE_SE_iiiii,comdat
	.protected	_ZN4vllm25paged_attention_v2_kernelI14__hip_bfloat16hLi192ELi32ELi128ELNS_18Fp8KVCacheDataTypeE1ELb0ELi512EEEvPfS3_PT_PKS4_PKT0_SA_ifPKiSC_iPKfiiiSE_SE_iiiii ; -- Begin function _ZN4vllm25paged_attention_v2_kernelI14__hip_bfloat16hLi192ELi32ELi128ELNS_18Fp8KVCacheDataTypeE1ELb0ELi512EEEvPfS3_PT_PKS4_PKT0_SA_ifPKiSC_iPKfiiiSE_SE_iiiii
	.globl	_ZN4vllm25paged_attention_v2_kernelI14__hip_bfloat16hLi192ELi32ELi128ELNS_18Fp8KVCacheDataTypeE1ELb0ELi512EEEvPfS3_PT_PKS4_PKT0_SA_ifPKiSC_iPKfiiiSE_SE_iiiii
	.p2align	8
	.type	_ZN4vllm25paged_attention_v2_kernelI14__hip_bfloat16hLi192ELi32ELi128ELNS_18Fp8KVCacheDataTypeE1ELb0ELi512EEEvPfS3_PT_PKS4_PKT0_SA_ifPKiSC_iPKfiiiSE_SE_iiiii,@function
_ZN4vllm25paged_attention_v2_kernelI14__hip_bfloat16hLi192ELi32ELi128ELNS_18Fp8KVCacheDataTypeE1ELb0ELi512EEEvPfS3_PT_PKS4_PKT0_SA_ifPKiSC_iPKfiiiSE_SE_iiiii: ; @_ZN4vllm25paged_attention_v2_kernelI14__hip_bfloat16hLi192ELi32ELi128ELNS_18Fp8KVCacheDataTypeE1ELb0ELi512EEEvPfS3_PT_PKS4_PKT0_SA_ifPKiSC_iPKfiiiSE_SE_iiiii
; %bb.0:
	s_clause 0x5
	s_load_dwordx8 s[24:31], s[4:5], 0x0
	s_load_dwordx8 s[16:23], s[4:5], 0x20
	s_load_dwordx2 s[10:11], s[4:5], 0x40
	s_load_dwordx2 s[34:35], s[4:5], 0x50
	s_load_dword s13, s[4:5], 0x48
	s_load_dwordx8 s[36:43], s[4:5], 0x58
	s_add_u32 s0, s0, s9
	s_addc_u32 s1, s1, 0
	v_mov_b32_e32 v31, v0
	s_mov_b32 s14, s8
	s_add_u32 s8, s4, 0x90
	s_addc_u32 s9, s5, 0
	s_getpc_b64 s[4:5]
	s_add_u32 s4, s4, _ZN4vllm22paged_attention_kernelI14__hip_bfloat16hLi192ELi32ELi128ELNS_18Fp8KVCacheDataTypeE1ELb0ELi512EEEvPfS3_PT_PKS4_PKT0_SA_ifPKiSC_iPKfiiiSE_SE_iiiii@rel32@lo+4
	s_addc_u32 s5, s5, _ZN4vllm22paged_attention_kernelI14__hip_bfloat16hLi192ELi32ELi128ELNS_18Fp8KVCacheDataTypeE1ELb0ELi512EEEvPfS3_PT_PKS4_PKT0_SA_ifPKiSC_iPKfiiiSE_SE_iiiii@rel32@hi+12
	s_mov_b32 s12, s6
	s_mov_b32 s15, 8
	;; [unrolled: 1-line block ×3, first 2 shown]
	s_waitcnt lgkmcnt(0)
	v_mov_b32_e32 v0, s24
	v_mov_b32_e32 v1, s25
	;; [unrolled: 1-line block ×28, first 2 shown]
	s_mov_b32 s13, s7
	s_swappc_b64 s[30:31], s[4:5]
	s_endpgm
	.section	.rodata,"a",@progbits
	.p2align	6, 0x0
	.amdhsa_kernel _ZN4vllm25paged_attention_v2_kernelI14__hip_bfloat16hLi192ELi32ELi128ELNS_18Fp8KVCacheDataTypeE1ELb0ELi512EEEvPfS3_PT_PKS4_PKT0_SA_ifPKiSC_iPKfiiiSE_SE_iiiii
		.amdhsa_group_segment_fixed_size 416
		.amdhsa_private_segment_fixed_size 1708
		.amdhsa_kernarg_size 400
		.amdhsa_user_sgpr_count 6
		.amdhsa_user_sgpr_private_segment_buffer 1
		.amdhsa_user_sgpr_dispatch_ptr 0
		.amdhsa_user_sgpr_queue_ptr 0
		.amdhsa_user_sgpr_kernarg_segment_ptr 1
		.amdhsa_user_sgpr_dispatch_id 0
		.amdhsa_user_sgpr_flat_scratch_init 0
		.amdhsa_user_sgpr_private_segment_size 0
		.amdhsa_wavefront_size32 1
		.amdhsa_uses_dynamic_stack 0
		.amdhsa_system_sgpr_private_segment_wavefront_offset 1
		.amdhsa_system_sgpr_workgroup_id_x 1
		.amdhsa_system_sgpr_workgroup_id_y 1
		.amdhsa_system_sgpr_workgroup_id_z 1
		.amdhsa_system_sgpr_workgroup_info 0
		.amdhsa_system_vgpr_workitem_id 0
		.amdhsa_next_free_vgpr 128
		.amdhsa_next_free_sgpr 44
		.amdhsa_reserve_vcc 1
		.amdhsa_reserve_flat_scratch 0
		.amdhsa_float_round_mode_32 0
		.amdhsa_float_round_mode_16_64 0
		.amdhsa_float_denorm_mode_32 3
		.amdhsa_float_denorm_mode_16_64 3
		.amdhsa_dx10_clamp 1
		.amdhsa_ieee_mode 1
		.amdhsa_fp16_overflow 0
		.amdhsa_workgroup_processor_mode 1
		.amdhsa_memory_ordered 1
		.amdhsa_forward_progress 1
		.amdhsa_shared_vgpr_count 0
		.amdhsa_exception_fp_ieee_invalid_op 0
		.amdhsa_exception_fp_denorm_src 0
		.amdhsa_exception_fp_ieee_div_zero 0
		.amdhsa_exception_fp_ieee_overflow 0
		.amdhsa_exception_fp_ieee_underflow 0
		.amdhsa_exception_fp_ieee_inexact 0
		.amdhsa_exception_int_div_zero 0
	.end_amdhsa_kernel
	.section	.text._ZN4vllm25paged_attention_v2_kernelI14__hip_bfloat16hLi192ELi32ELi128ELNS_18Fp8KVCacheDataTypeE1ELb0ELi512EEEvPfS3_PT_PKS4_PKT0_SA_ifPKiSC_iPKfiiiSE_SE_iiiii,"axG",@progbits,_ZN4vllm25paged_attention_v2_kernelI14__hip_bfloat16hLi192ELi32ELi128ELNS_18Fp8KVCacheDataTypeE1ELb0ELi512EEEvPfS3_PT_PKS4_PKT0_SA_ifPKiSC_iPKfiiiSE_SE_iiiii,comdat
.Lfunc_end398:
	.size	_ZN4vllm25paged_attention_v2_kernelI14__hip_bfloat16hLi192ELi32ELi128ELNS_18Fp8KVCacheDataTypeE1ELb0ELi512EEEvPfS3_PT_PKS4_PKT0_SA_ifPKiSC_iPKfiiiSE_SE_iiiii, .Lfunc_end398-_ZN4vllm25paged_attention_v2_kernelI14__hip_bfloat16hLi192ELi32ELi128ELNS_18Fp8KVCacheDataTypeE1ELb0ELi512EEEvPfS3_PT_PKS4_PKT0_SA_ifPKiSC_iPKfiiiSE_SE_iiiii
                                        ; -- End function
	.set _ZN4vllm25paged_attention_v2_kernelI14__hip_bfloat16hLi192ELi32ELi128ELNS_18Fp8KVCacheDataTypeE1ELb0ELi512EEEvPfS3_PT_PKS4_PKT0_SA_ifPKiSC_iPKfiiiSE_SE_iiiii.num_vgpr, max(32, .L_ZN4vllm22paged_attention_kernelI14__hip_bfloat16hLi192ELi32ELi128ELNS_18Fp8KVCacheDataTypeE1ELb0ELi512EEEvPfS3_PT_PKS4_PKT0_SA_ifPKiSC_iPKfiiiSE_SE_iiiii.num_vgpr)
	.set _ZN4vllm25paged_attention_v2_kernelI14__hip_bfloat16hLi192ELi32ELi128ELNS_18Fp8KVCacheDataTypeE1ELb0ELi512EEEvPfS3_PT_PKS4_PKT0_SA_ifPKiSC_iPKfiiiSE_SE_iiiii.num_agpr, max(0, .L_ZN4vllm22paged_attention_kernelI14__hip_bfloat16hLi192ELi32ELi128ELNS_18Fp8KVCacheDataTypeE1ELb0ELi512EEEvPfS3_PT_PKS4_PKT0_SA_ifPKiSC_iPKfiiiSE_SE_iiiii.num_agpr)
	.set _ZN4vllm25paged_attention_v2_kernelI14__hip_bfloat16hLi192ELi32ELi128ELNS_18Fp8KVCacheDataTypeE1ELb0ELi512EEEvPfS3_PT_PKS4_PKT0_SA_ifPKiSC_iPKfiiiSE_SE_iiiii.numbered_sgpr, max(44, .L_ZN4vllm22paged_attention_kernelI14__hip_bfloat16hLi192ELi32ELi128ELNS_18Fp8KVCacheDataTypeE1ELb0ELi512EEEvPfS3_PT_PKS4_PKT0_SA_ifPKiSC_iPKfiiiSE_SE_iiiii.numbered_sgpr)
	.set _ZN4vllm25paged_attention_v2_kernelI14__hip_bfloat16hLi192ELi32ELi128ELNS_18Fp8KVCacheDataTypeE1ELb0ELi512EEEvPfS3_PT_PKS4_PKT0_SA_ifPKiSC_iPKfiiiSE_SE_iiiii.num_named_barrier, max(0, .L_ZN4vllm22paged_attention_kernelI14__hip_bfloat16hLi192ELi32ELi128ELNS_18Fp8KVCacheDataTypeE1ELb0ELi512EEEvPfS3_PT_PKS4_PKT0_SA_ifPKiSC_iPKfiiiSE_SE_iiiii.num_named_barrier)
	.set _ZN4vllm25paged_attention_v2_kernelI14__hip_bfloat16hLi192ELi32ELi128ELNS_18Fp8KVCacheDataTypeE1ELb0ELi512EEEvPfS3_PT_PKS4_PKT0_SA_ifPKiSC_iPKfiiiSE_SE_iiiii.private_seg_size, 0+max(.L_ZN4vllm22paged_attention_kernelI14__hip_bfloat16hLi192ELi32ELi128ELNS_18Fp8KVCacheDataTypeE1ELb0ELi512EEEvPfS3_PT_PKS4_PKT0_SA_ifPKiSC_iPKfiiiSE_SE_iiiii.private_seg_size)
	.set _ZN4vllm25paged_attention_v2_kernelI14__hip_bfloat16hLi192ELi32ELi128ELNS_18Fp8KVCacheDataTypeE1ELb0ELi512EEEvPfS3_PT_PKS4_PKT0_SA_ifPKiSC_iPKfiiiSE_SE_iiiii.uses_vcc, or(1, .L_ZN4vllm22paged_attention_kernelI14__hip_bfloat16hLi192ELi32ELi128ELNS_18Fp8KVCacheDataTypeE1ELb0ELi512EEEvPfS3_PT_PKS4_PKT0_SA_ifPKiSC_iPKfiiiSE_SE_iiiii.uses_vcc)
	.set _ZN4vllm25paged_attention_v2_kernelI14__hip_bfloat16hLi192ELi32ELi128ELNS_18Fp8KVCacheDataTypeE1ELb0ELi512EEEvPfS3_PT_PKS4_PKT0_SA_ifPKiSC_iPKfiiiSE_SE_iiiii.uses_flat_scratch, or(0, .L_ZN4vllm22paged_attention_kernelI14__hip_bfloat16hLi192ELi32ELi128ELNS_18Fp8KVCacheDataTypeE1ELb0ELi512EEEvPfS3_PT_PKS4_PKT0_SA_ifPKiSC_iPKfiiiSE_SE_iiiii.uses_flat_scratch)
	.set _ZN4vllm25paged_attention_v2_kernelI14__hip_bfloat16hLi192ELi32ELi128ELNS_18Fp8KVCacheDataTypeE1ELb0ELi512EEEvPfS3_PT_PKS4_PKT0_SA_ifPKiSC_iPKfiiiSE_SE_iiiii.has_dyn_sized_stack, or(0, .L_ZN4vllm22paged_attention_kernelI14__hip_bfloat16hLi192ELi32ELi128ELNS_18Fp8KVCacheDataTypeE1ELb0ELi512EEEvPfS3_PT_PKS4_PKT0_SA_ifPKiSC_iPKfiiiSE_SE_iiiii.has_dyn_sized_stack)
	.set _ZN4vllm25paged_attention_v2_kernelI14__hip_bfloat16hLi192ELi32ELi128ELNS_18Fp8KVCacheDataTypeE1ELb0ELi512EEEvPfS3_PT_PKS4_PKT0_SA_ifPKiSC_iPKfiiiSE_SE_iiiii.has_recursion, or(0, .L_ZN4vllm22paged_attention_kernelI14__hip_bfloat16hLi192ELi32ELi128ELNS_18Fp8KVCacheDataTypeE1ELb0ELi512EEEvPfS3_PT_PKS4_PKT0_SA_ifPKiSC_iPKfiiiSE_SE_iiiii.has_recursion)
	.set _ZN4vllm25paged_attention_v2_kernelI14__hip_bfloat16hLi192ELi32ELi128ELNS_18Fp8KVCacheDataTypeE1ELb0ELi512EEEvPfS3_PT_PKS4_PKT0_SA_ifPKiSC_iPKfiiiSE_SE_iiiii.has_indirect_call, or(0, .L_ZN4vllm22paged_attention_kernelI14__hip_bfloat16hLi192ELi32ELi128ELNS_18Fp8KVCacheDataTypeE1ELb0ELi512EEEvPfS3_PT_PKS4_PKT0_SA_ifPKiSC_iPKfiiiSE_SE_iiiii.has_indirect_call)
	.section	.AMDGPU.csdata,"",@progbits
; Kernel info:
; codeLenInByte = 240
; TotalNumSgprs: 46
; NumVgprs: 128
; ScratchSize: 1708
; MemoryBound: 0
; FloatMode: 240
; IeeeMode: 1
; LDSByteSize: 416 bytes/workgroup (compile time only)
; SGPRBlocks: 0
; VGPRBlocks: 15
; NumSGPRsForWavesPerEU: 46
; NumVGPRsForWavesPerEU: 128
; Occupancy: 8
; WaveLimiterHint : 1
; COMPUTE_PGM_RSRC2:SCRATCH_EN: 1
; COMPUTE_PGM_RSRC2:USER_SGPR: 6
; COMPUTE_PGM_RSRC2:TRAP_HANDLER: 0
; COMPUTE_PGM_RSRC2:TGID_X_EN: 1
; COMPUTE_PGM_RSRC2:TGID_Y_EN: 1
; COMPUTE_PGM_RSRC2:TGID_Z_EN: 1
; COMPUTE_PGM_RSRC2:TIDIG_COMP_CNT: 0
	.text
	.p2align	2                               ; -- Begin function _ZN4vllm22paged_attention_kernelI14__hip_bfloat16hLi256ELi32ELi128ELNS_18Fp8KVCacheDataTypeE1ELb0ELi512EEEvPfS3_PT_PKS4_PKT0_SA_ifPKiSC_iPKfiiiSE_SE_iiiii
	.type	_ZN4vllm22paged_attention_kernelI14__hip_bfloat16hLi256ELi32ELi128ELNS_18Fp8KVCacheDataTypeE1ELb0ELi512EEEvPfS3_PT_PKS4_PKT0_SA_ifPKiSC_iPKfiiiSE_SE_iiiii,@function
_ZN4vllm22paged_attention_kernelI14__hip_bfloat16hLi256ELi32ELi128ELNS_18Fp8KVCacheDataTypeE1ELb0ELi512EEEvPfS3_PT_PKS4_PKT0_SA_ifPKiSC_iPKfiiiSE_SE_iiiii: ; @_ZN4vllm22paged_attention_kernelI14__hip_bfloat16hLi256ELi32ELi128ELNS_18Fp8KVCacheDataTypeE1ELb0ELi512EEEvPfS3_PT_PKS4_PKT0_SA_ifPKiSC_iPKfiiiSE_SE_iiiii
; %bb.0:
	s_waitcnt vmcnt(0) expcnt(0) lgkmcnt(0)
	buffer_store_dword v40, off, s[0:3], s32 offset:188 ; 4-byte Folded Spill
	buffer_store_dword v41, off, s[0:3], s32 offset:184 ; 4-byte Folded Spill
	;; [unrolled: 1-line block ×47, first 2 shown]
	buffer_store_dword v127, off, s[0:3], s32 ; 4-byte Folded Spill
	s_mov_b32 s18, s13
	s_ashr_i32 s19, s13, 31
	buffer_store_dword v24, off, s[0:3], s32 offset:1228 ; 4-byte Folded Spill
	buffer_store_dword v25, off, s[0:3], s32 offset:1232 ; 4-byte Folded Spill
	;; [unrolled: 1-line block ×6, first 2 shown]
	s_lshl_b64 s[4:5], s[18:19], 2
	v_mov_b32_e32 v24, v0
	v_add_co_u32 v0, vcc_lo, v16, s4
	v_mov_b32_e32 v22, v1
	v_add_co_ci_u32_e64 v1, null, s5, v17, vcc_lo
	v_mov_b32_e32 v25, v3
	v_mov_b32_e32 v29, v2
	s_lshl_b32 s20, s14, 9
	flat_load_dword v124, v[0:1]
	s_mov_b32 s19, exec_lo
	s_waitcnt vmcnt(0) lgkmcnt(0)
	v_cmpx_lt_i32_e64 s20, v124
	s_cbranch_execnz .LBB399_1
; %bb.4331:
	s_getpc_b64 s[26:27]
.Lpost_getpc7:
	s_add_u32 s26, s26, (.LBB399_4268-.Lpost_getpc7)&4294967295
	s_addc_u32 s27, s27, (.LBB399_4268-.Lpost_getpc7)>>32
	s_setpc_b64 s[26:27]
.LBB399_1:
	v_sub_nc_u32_e32 v0, 0, v12
	s_clause 0x1
	s_load_dword s4, s[8:9], 0x10
	s_load_dword s5, s[8:9], 0x0
	s_mov_b32 s16, s15
	v_max_i32_e32 v0, v12, v0
	v_cvt_f32_u32_e32 v1, v0
	v_sub_nc_u32_e32 v2, 0, v0
	v_rcp_iflag_f32_e32 v1, v1
	s_waitcnt lgkmcnt(0)
	s_lshr_b32 s4, s4, 16
	s_cmp_lg_u32 s4, 0
	s_cselect_b32 s4, -1, 0
	v_mul_f32_e32 v1, 0x4f7ffffe, v1
	s_cmp_lg_u32 s4, 0
	s_addc_u32 s15, s5, 0
	s_mov_b32 s5, exec_lo
	v_cvt_u32_f32_e32 v1, v1
	s_abs_i32 s4, s15
	v_mul_lo_u32 v2, v2, v1
	v_mul_hi_u32 v2, v1, v2
	v_add_nc_u32_e32 v1, v1, v2
	v_mul_hi_u32 v1, s4, v1
	v_mul_lo_u32 v2, v1, v0
	v_add_nc_u32_e32 v3, 1, v1
	v_sub_nc_u32_e32 v2, s4, v2
	s_abs_i32 s4, s12
	v_sub_nc_u32_e32 v4, v2, v0
	v_cmp_ge_u32_e32 vcc_lo, v2, v0
	v_cndmask_b32_e32 v1, v1, v3, vcc_lo
	v_cndmask_b32_e32 v2, v2, v4, vcc_lo
	v_xor_b32_e32 v3, s15, v12
	v_add_nc_u32_e32 v4, 1, v1
	v_cmp_ge_u32_e32 vcc_lo, v2, v0
	v_ashrrev_i32_e32 v3, 31, v3
	v_cndmask_b32_e32 v0, v1, v4, vcc_lo
	v_xor_b32_e32 v0, v0, v3
	v_sub_nc_u32_e32 v1, v0, v3
	v_sub_nc_u32_e32 v0, 0, v1
	v_max_i32_e32 v0, v1, v0
	v_cvt_f32_u32_e32 v2, v0
	v_sub_nc_u32_e32 v3, 0, v0
	v_rcp_iflag_f32_e32 v2, v2
	v_mul_f32_e32 v2, 0x4f7ffffe, v2
	v_cvt_u32_f32_e32 v2, v2
	v_mul_lo_u32 v3, v3, v2
	v_mul_hi_u32 v3, v2, v3
	v_add_nc_u32_e32 v2, v2, v3
	v_mad_u64_u32 v[16:17], null, s4, v2, 0
	v_mov_b32_e32 v2, 0
	buffer_store_dword v2, off, s[0:3], s32 offset:1240 ; 4-byte Folded Spill
	v_cmpx_ne_u64_e32 0, v[19:20]
	s_cbranch_execz .LBB399_3
; %bb.2:
	s_ashr_i32 s13, s12, 31
	s_lshl_b64 s[6:7], s[12:13], 2
	v_add_co_u32 v2, vcc_lo, v19, s6
	v_add_co_ci_u32_e64 v3, null, s7, v20, vcc_lo
	flat_load_dword v2, v[2:3]
	s_waitcnt vmcnt(0) lgkmcnt(0)
	buffer_store_dword v2, off, s[0:3], s32 offset:1240 ; 4-byte Folded Spill
.LBB399_3:
	s_or_b32 exec_lo, exec_lo, s5
	v_and_b32_e32 v12, 0x3ff, v31
	v_ashrrev_i32_e32 v1, 31, v1
	s_ashr_i32 s5, s12, 31
	s_lshl_b32 s10, s12, 8
	s_mov_b32 s6, exec_lo
	v_cmpx_gt_u32_e32 32, v12
	s_cbranch_execz .LBB399_5
; %bb.4:
	v_mul_lo_u32 v2, v21, s18
	s_ashr_i32 s11, s10, 31
	v_lshlrev_b32_e32 v13, 4, v12
	s_lshl_b64 s[22:23], s[10:11], 1
	v_ashrrev_i32_e32 v3, 31, v2
	v_lshlrev_b64 v[2:3], 1, v[2:3]
	v_add_co_u32 v2, vcc_lo, v6, v2
	v_add_co_ci_u32_e64 v3, null, v7, v3, vcc_lo
	v_add_co_u32 v2, vcc_lo, v2, s22
	v_add_co_ci_u32_e64 v3, null, s23, v3, vcc_lo
	;; [unrolled: 2-line block ×3, first 2 shown]
	flat_load_dwordx4 v[2:5], v[2:3]
	s_waitcnt vmcnt(0) lgkmcnt(0)
	ds_write_b128 v13, v[2:5]
.LBB399_5:
	s_or_b32 exec_lo, exec_lo, s6
	v_mul_lo_u32 v2, v17, v0
	v_add_nc_u32_e32 v3, 1, v17
	v_add_nc_u32_e32 v4, 31, v124
	v_xor_b32_e32 v1, s5, v1
	s_clause 0x1
	s_load_dword s13, s[8:9], 0x14
	s_load_dword s11, s[8:9], 0x8
	s_lshl_b32 s7, s14, 4
	v_ashrrev_i32_e32 v6, 31, v4
	v_sub_nc_u32_e32 v2, s4, v2
	s_add_i32 s4, s7, 16
	v_lshrrev_b32_e32 v6, 27, v6
	v_sub_nc_u32_e32 v5, v2, v0
	v_cmp_ge_u32_e32 vcc_lo, v2, v0
	v_cndmask_b32_e32 v3, v17, v3, vcc_lo
	v_cndmask_b32_e32 v2, v2, v5, vcc_lo
	v_add_nc_u32_e32 v5, 1, v3
	v_cmp_ge_u32_e32 vcc_lo, v2, v0
	v_mul_lo_u32 v0, v18, s18
	v_cndmask_b32_e32 v2, v3, v5, vcc_lo
	v_add_nc_u32_e32 v3, v4, v6
	v_lshrrev_b32_e32 v4, 5, v12
	v_xor_b32_e32 v2, v2, v1
	v_ashrrev_i32_e32 v13, 5, v3
	v_add_nc_u32_e32 v28, s7, v4
	buffer_store_dword v4, off, s[0:3], s32 offset:2284 ; 4-byte Folded Spill
	v_mov_b32_e32 v4, 0xff7fffff
	v_sub_nc_u32_e32 v2, v2, v1
	v_ashrrev_i32_e32 v1, 31, v0
	v_min_i32_e32 v3, s4, v13
	v_mul_lo_u32 v16, v2, v23
	v_and_b32_e32 v2, 31, v12
	v_lshlrev_b64 v[20:21], 2, v[0:1]
	v_cmp_ge_i32_e64 s4, v28, v3
	buffer_store_dword v3, off, s[0:3], s32 offset:836 ; 4-byte Folded Spill
	v_cmp_lt_i32_e32 vcc_lo, v28, v3
	v_lshlrev_b32_e32 v23, 2, v2
	buffer_store_dword v2, off, s[0:3], s32 offset:2280 ; 4-byte Folded Spill
	v_ashrrev_i32_e32 v17, 31, v16
	s_waitcnt lgkmcnt(0)
	s_waitcnt_vscnt null, 0x0
	s_barrier
	buffer_gl0_inv
	s_mov_b32 s21, exec_lo
	s_and_b32 s5, s21, vcc_lo
	buffer_store_dword v12, off, s[0:3], s32 offset:2276 ; 4-byte Folded Spill
	s_mov_b32 exec_lo, s5
	s_cbranch_execz .LBB399_2057
; %bb.6:
	buffer_store_dword v13, off, s[0:3], s32 offset:2336 ; 4-byte Folded Spill
	buffer_store_dword v29, off, s[0:3], s32 offset:2332 ; 4-byte Folded Spill
	;; [unrolled: 1-line block ×10, first 2 shown]
	v_add_co_u32 v0, vcc_lo, v8, v16
	buffer_load_dword v8, off, s[0:3], s32 offset:2280 ; 4-byte Folded Reload
	v_add_co_ci_u32_e64 v1, null, v9, v17, vcc_lo
	v_mov_b32_e32 v9, 0
	buffer_store_dword v17, off, s[0:3], s32 offset:2344 ; 4-byte Folded Spill
	v_ashrrev_i32_e32 v29, 31, v28
	s_ashr_i32 s17, s16, 31
	v_mov_b32_e32 v41, 0x80
	s_lshl_b64 s[8:9], s[16:17], 2
	s_getpc_b64 s[24:25]
	s_add_u32 s24, s24, llvm.amdgcn.dynlds.offset.table@rel32@lo+4
	s_addc_u32 s25, s25, llvm.amdgcn.dynlds.offset.table@rel32@hi+12
	s_add_u32 s8, s24, s8
	s_addc_u32 s9, s25, s9
	v_mov_b32_e32 v58, v28
	s_mov_b32 s22, 0
	s_waitcnt vmcnt(0)
	v_lshlrev_b32_e32 v2, 4, v8
	v_add_co_u32 v0, vcc_lo, v0, v2
	v_add_co_ci_u32_e64 v1, null, 0, v1, vcc_lo
	buffer_store_dword v0, off, s[0:3], s32 offset:1244 ; 4-byte Folded Spill
	buffer_store_dword v1, off, s[0:3], s32 offset:1248 ; 4-byte Folded Spill
	ds_read_b128 v[0:3], v9
	ds_read_b128 v[4:7], v9 offset:16
	ds_read_b128 v[10:13], v9 offset:32
	;; [unrolled: 1-line block ×3, first 2 shown]
	s_load_dword s6, s[8:9], 0x0
	s_mov_b32 s8, -1
	s_mov_b32 s9, 0xffffff
	s_waitcnt lgkmcnt(0)
	v_lshlrev_b32_e32 v22, 16, v0
	v_and_b32_e32 v0, 0xffff0000, v0
	buffer_store_dword v22, off, s[0:3], s32 offset:1252 ; 4-byte Folded Spill
	buffer_store_dword v0, off, s[0:3], s32 offset:1256 ; 4-byte Folded Spill
	v_lshlrev_b32_e32 v0, 16, v1
	buffer_store_dword v0, off, s[0:3], s32 offset:1260 ; 4-byte Folded Spill
	v_and_b32_e32 v0, 0xffff0000, v1
	buffer_store_dword v0, off, s[0:3], s32 offset:1264 ; 4-byte Folded Spill
	v_lshlrev_b32_e32 v0, 16, v2
	buffer_store_dword v0, off, s[0:3], s32 offset:1268 ; 4-byte Folded Spill
	v_and_b32_e32 v0, 0xffff0000, v2
	buffer_store_dword v0, off, s[0:3], s32 offset:1272 ; 4-byte Folded Spill
	v_lshlrev_b32_e32 v0, 16, v3
	buffer_store_dword v0, off, s[0:3], s32 offset:1276 ; 4-byte Folded Spill
	v_and_b32_e32 v0, 0xffff0000, v3
	buffer_store_dword v0, off, s[0:3], s32 offset:1280 ; 4-byte Folded Spill
	v_lshlrev_b32_e32 v0, 16, v4
	buffer_store_dword v0, off, s[0:3], s32 offset:1284 ; 4-byte Folded Spill
	v_and_b32_e32 v0, 0xffff0000, v4
	buffer_store_dword v0, off, s[0:3], s32 offset:1288 ; 4-byte Folded Spill
	v_lshlrev_b32_e32 v0, 16, v5
	buffer_store_dword v0, off, s[0:3], s32 offset:1292 ; 4-byte Folded Spill
	v_and_b32_e32 v0, 0xffff0000, v5
	buffer_store_dword v0, off, s[0:3], s32 offset:1296 ; 4-byte Folded Spill
	v_lshlrev_b32_e32 v0, 16, v6
	buffer_store_dword v0, off, s[0:3], s32 offset:1300 ; 4-byte Folded Spill
	v_and_b32_e32 v0, 0xffff0000, v6
	buffer_store_dword v0, off, s[0:3], s32 offset:1304 ; 4-byte Folded Spill
	v_lshlrev_b32_e32 v0, 16, v7
	buffer_store_dword v0, off, s[0:3], s32 offset:1308 ; 4-byte Folded Spill
	v_and_b32_e32 v0, 0xffff0000, v7
	buffer_store_dword v0, off, s[0:3], s32 offset:1312 ; 4-byte Folded Spill
	v_lshlrev_b32_e32 v0, 16, v10
	buffer_store_dword v0, off, s[0:3], s32 offset:1316 ; 4-byte Folded Spill
	v_and_b32_e32 v0, 0xffff0000, v10
	buffer_store_dword v0, off, s[0:3], s32 offset:1320 ; 4-byte Folded Spill
	v_lshlrev_b32_e32 v0, 16, v11
	buffer_store_dword v0, off, s[0:3], s32 offset:1324 ; 4-byte Folded Spill
	v_and_b32_e32 v0, 0xffff0000, v11
	buffer_store_dword v0, off, s[0:3], s32 offset:1328 ; 4-byte Folded Spill
	v_lshlrev_b32_e32 v0, 16, v12
	buffer_store_dword v0, off, s[0:3], s32 offset:1332 ; 4-byte Folded Spill
	v_and_b32_e32 v0, 0xffff0000, v12
	buffer_store_dword v0, off, s[0:3], s32 offset:1336 ; 4-byte Folded Spill
	v_lshlrev_b32_e32 v0, 16, v13
	buffer_store_dword v0, off, s[0:3], s32 offset:1340 ; 4-byte Folded Spill
	v_and_b32_e32 v0, 0xffff0000, v13
	buffer_store_dword v0, off, s[0:3], s32 offset:1344 ; 4-byte Folded Spill
	v_lshlrev_b32_e32 v0, 16, v16
	buffer_store_dword v0, off, s[0:3], s32 offset:1348 ; 4-byte Folded Spill
	v_and_b32_e32 v0, 0xffff0000, v16
	buffer_store_dword v0, off, s[0:3], s32 offset:1352 ; 4-byte Folded Spill
	v_lshlrev_b32_e32 v0, 16, v17
	buffer_store_dword v0, off, s[0:3], s32 offset:1356 ; 4-byte Folded Spill
	v_and_b32_e32 v0, 0xffff0000, v17
	buffer_store_dword v0, off, s[0:3], s32 offset:1360 ; 4-byte Folded Spill
	v_lshlrev_b32_e32 v0, 16, v18
	buffer_store_dword v0, off, s[0:3], s32 offset:1364 ; 4-byte Folded Spill
	v_and_b32_e32 v0, 0xffff0000, v18
	buffer_store_dword v0, off, s[0:3], s32 offset:1368 ; 4-byte Folded Spill
	v_lshlrev_b32_e32 v0, 16, v19
	buffer_store_dword v0, off, s[0:3], s32 offset:1372 ; 4-byte Folded Spill
	v_and_b32_e32 v0, 0xffff0000, v19
	buffer_store_dword v0, off, s[0:3], s32 offset:1376 ; 4-byte Folded Spill
	ds_read_b128 v[0:3], v9 offset:64
	s_waitcnt lgkmcnt(0)
	v_lshlrev_b32_e32 v4, 16, v0
	v_and_b32_e32 v0, 0xffff0000, v0
	buffer_store_dword v4, off, s[0:3], s32 offset:1380 ; 4-byte Folded Spill
	buffer_store_dword v0, off, s[0:3], s32 offset:1384 ; 4-byte Folded Spill
	v_lshlrev_b32_e32 v0, 16, v1
	buffer_store_dword v0, off, s[0:3], s32 offset:1388 ; 4-byte Folded Spill
	v_and_b32_e32 v0, 0xffff0000, v1
	buffer_store_dword v0, off, s[0:3], s32 offset:1392 ; 4-byte Folded Spill
	v_lshlrev_b32_e32 v0, 16, v2
	buffer_store_dword v0, off, s[0:3], s32 offset:1396 ; 4-byte Folded Spill
	v_and_b32_e32 v0, 0xffff0000, v2
	buffer_store_dword v0, off, s[0:3], s32 offset:1400 ; 4-byte Folded Spill
	v_lshlrev_b32_e32 v0, 16, v3
	buffer_store_dword v0, off, s[0:3], s32 offset:1404 ; 4-byte Folded Spill
	v_and_b32_e32 v0, 0xffff0000, v3
	buffer_store_dword v0, off, s[0:3], s32 offset:1408 ; 4-byte Folded Spill
	ds_read_b128 v[0:3], v9 offset:80
	s_waitcnt lgkmcnt(0)
	v_lshlrev_b32_e32 v4, 16, v0
	v_and_b32_e32 v0, 0xffff0000, v0
	buffer_store_dword v4, off, s[0:3], s32 offset:1412 ; 4-byte Folded Spill
	buffer_store_dword v0, off, s[0:3], s32 offset:1416 ; 4-byte Folded Spill
	v_lshlrev_b32_e32 v0, 16, v1
	buffer_store_dword v0, off, s[0:3], s32 offset:1420 ; 4-byte Folded Spill
	v_and_b32_e32 v0, 0xffff0000, v1
	buffer_store_dword v0, off, s[0:3], s32 offset:1424 ; 4-byte Folded Spill
	v_lshlrev_b32_e32 v0, 16, v2
	buffer_store_dword v0, off, s[0:3], s32 offset:1428 ; 4-byte Folded Spill
	v_and_b32_e32 v0, 0xffff0000, v2
	buffer_store_dword v0, off, s[0:3], s32 offset:1432 ; 4-byte Folded Spill
	v_lshlrev_b32_e32 v0, 16, v3
	buffer_store_dword v0, off, s[0:3], s32 offset:1436 ; 4-byte Folded Spill
	v_and_b32_e32 v0, 0xffff0000, v3
	;; [unrolled: 18-line block ×8, first 2 shown]
	buffer_store_dword v0, off, s[0:3], s32 offset:1632 ; 4-byte Folded Spill
	ds_read_b128 v[0:3], v9 offset:192
	s_waitcnt lgkmcnt(0)
	v_lshlrev_b32_e32 v4, 16, v0
	v_and_b32_e32 v0, 0xffff0000, v0
	buffer_store_dword v4, off, s[0:3], s32 offset:1636 ; 4-byte Folded Spill
	buffer_store_dword v0, off, s[0:3], s32 offset:1640 ; 4-byte Folded Spill
	buffer_load_dword v0, off, s[0:3], s32 offset:1240 ; 4-byte Folded Reload
	s_waitcnt vmcnt(0)
	v_cmp_neq_f32_e32 vcc_lo, 0, v0
	v_lshlrev_b32_e32 v0, 16, v1
	buffer_store_dword v0, off, s[0:3], s32 offset:1644 ; 4-byte Folded Spill
	v_and_b32_e32 v0, 0xffff0000, v1
	buffer_store_dword v0, off, s[0:3], s32 offset:1648 ; 4-byte Folded Spill
	v_lshlrev_b32_e32 v0, 16, v2
	buffer_store_dword v0, off, s[0:3], s32 offset:1652 ; 4-byte Folded Spill
	v_and_b32_e32 v0, 0xffff0000, v2
	buffer_store_dword v0, off, s[0:3], s32 offset:1656 ; 4-byte Folded Spill
	v_lshlrev_b32_e32 v0, 16, v3
	buffer_store_dword v0, off, s[0:3], s32 offset:1660 ; 4-byte Folded Spill
	v_and_b32_e32 v0, 0xffff0000, v3
	buffer_store_dword v0, off, s[0:3], s32 offset:1664 ; 4-byte Folded Spill
	ds_read_b128 v[0:3], v9 offset:208
	s_waitcnt lgkmcnt(0)
	v_lshlrev_b32_e32 v4, 16, v0
	v_and_b32_e32 v0, 0xffff0000, v0
	buffer_store_dword v4, off, s[0:3], s32 offset:1668 ; 4-byte Folded Spill
	buffer_store_dword v0, off, s[0:3], s32 offset:1672 ; 4-byte Folded Spill
	v_lshlrev_b32_e32 v0, 16, v1
	buffer_store_dword v0, off, s[0:3], s32 offset:1676 ; 4-byte Folded Spill
	v_and_b32_e32 v0, 0xffff0000, v1
	buffer_store_dword v0, off, s[0:3], s32 offset:1680 ; 4-byte Folded Spill
	v_lshlrev_b32_e32 v0, 16, v2
	buffer_store_dword v0, off, s[0:3], s32 offset:1684 ; 4-byte Folded Spill
	v_and_b32_e32 v0, 0xffff0000, v2
	buffer_store_dword v0, off, s[0:3], s32 offset:1688 ; 4-byte Folded Spill
	v_lshlrev_b32_e32 v0, 16, v3
	buffer_store_dword v0, off, s[0:3], s32 offset:1692 ; 4-byte Folded Spill
	v_and_b32_e32 v0, 0xffff0000, v3
	buffer_store_dword v0, off, s[0:3], s32 offset:1696 ; 4-byte Folded Spill
	ds_read_b128 v[0:3], v9 offset:224
	s_waitcnt lgkmcnt(0)
	v_lshlrev_b32_e32 v4, 16, v0
	v_and_b32_e32 v0, 0xffff0000, v0
	buffer_store_dword v4, off, s[0:3], s32 offset:1700 ; 4-byte Folded Spill
	buffer_store_dword v0, off, s[0:3], s32 offset:1704 ; 4-byte Folded Spill
	v_lshlrev_b32_e32 v0, 16, v1
	buffer_store_dword v0, off, s[0:3], s32 offset:1708 ; 4-byte Folded Spill
	v_and_b32_e32 v0, 0xffff0000, v1
	buffer_store_dword v0, off, s[0:3], s32 offset:1712 ; 4-byte Folded Spill
	v_lshlrev_b32_e32 v0, 16, v2
	buffer_store_dword v0, off, s[0:3], s32 offset:1716 ; 4-byte Folded Spill
	v_and_b32_e32 v0, 0xffff0000, v2
	buffer_store_dword v0, off, s[0:3], s32 offset:1720 ; 4-byte Folded Spill
	v_lshlrev_b32_e32 v0, 16, v3
	buffer_store_dword v0, off, s[0:3], s32 offset:1724 ; 4-byte Folded Spill
	v_and_b32_e32 v0, 0xffff0000, v3
	buffer_store_dword v0, off, s[0:3], s32 offset:1728 ; 4-byte Folded Spill
	ds_read_b128 v[0:3], v9 offset:240
	s_waitcnt lgkmcnt(0)
	v_lshlrev_b32_e32 v4, 16, v0
	v_and_b32_e32 v0, 0xffff0000, v0
	buffer_store_dword v4, off, s[0:3], s32 offset:1732 ; 4-byte Folded Spill
	buffer_store_dword v0, off, s[0:3], s32 offset:1736 ; 4-byte Folded Spill
	v_lshlrev_b32_e32 v0, 16, v1
	buffer_store_dword v0, off, s[0:3], s32 offset:1740 ; 4-byte Folded Spill
	v_and_b32_e32 v0, 0xffff0000, v1
	buffer_store_dword v0, off, s[0:3], s32 offset:1744 ; 4-byte Folded Spill
	v_lshlrev_b32_e32 v0, 16, v2
	buffer_store_dword v0, off, s[0:3], s32 offset:1748 ; 4-byte Folded Spill
	v_and_b32_e32 v0, 0xffff0000, v2
	buffer_store_dword v0, off, s[0:3], s32 offset:1752 ; 4-byte Folded Spill
	v_lshlrev_b32_e32 v0, 16, v3
	buffer_store_dword v0, off, s[0:3], s32 offset:1756 ; 4-byte Folded Spill
	v_and_b32_e32 v0, 0xffff0000, v3
	buffer_store_dword v0, off, s[0:3], s32 offset:1760 ; 4-byte Folded Spill
	ds_read_b128 v[0:3], v9 offset:256
	s_waitcnt lgkmcnt(0)
	v_lshlrev_b32_e32 v4, 16, v0
	v_and_b32_e32 v0, 0xffff0000, v0
	buffer_store_dword v4, off, s[0:3], s32 offset:1764 ; 4-byte Folded Spill
	buffer_store_dword v0, off, s[0:3], s32 offset:1768 ; 4-byte Folded Spill
	v_lshlrev_b32_e32 v0, 16, v1
	buffer_store_dword v0, off, s[0:3], s32 offset:1772 ; 4-byte Folded Spill
	v_and_b32_e32 v0, 0xffff0000, v1
	buffer_store_dword v0, off, s[0:3], s32 offset:1776 ; 4-byte Folded Spill
	v_lshlrev_b32_e32 v0, 16, v2
	buffer_store_dword v0, off, s[0:3], s32 offset:1780 ; 4-byte Folded Spill
	v_and_b32_e32 v0, 0xffff0000, v2
	buffer_store_dword v0, off, s[0:3], s32 offset:1784 ; 4-byte Folded Spill
	v_lshlrev_b32_e32 v0, 16, v3
	buffer_store_dword v0, off, s[0:3], s32 offset:1788 ; 4-byte Folded Spill
	v_and_b32_e32 v0, 0xffff0000, v3
	buffer_store_dword v0, off, s[0:3], s32 offset:1792 ; 4-byte Folded Spill
	ds_read_b128 v[0:3], v9 offset:272
	s_waitcnt lgkmcnt(0)
	v_lshlrev_b32_e32 v4, 16, v0
	v_and_b32_e32 v0, 0xffff0000, v0
	buffer_store_dword v4, off, s[0:3], s32 offset:1796 ; 4-byte Folded Spill
	buffer_store_dword v0, off, s[0:3], s32 offset:1800 ; 4-byte Folded Spill
	v_lshlrev_b32_e32 v0, 16, v1
	buffer_store_dword v0, off, s[0:3], s32 offset:1804 ; 4-byte Folded Spill
	v_and_b32_e32 v0, 0xffff0000, v1
	buffer_store_dword v0, off, s[0:3], s32 offset:1808 ; 4-byte Folded Spill
	v_lshlrev_b32_e32 v0, 16, v2
	buffer_store_dword v0, off, s[0:3], s32 offset:1812 ; 4-byte Folded Spill
	v_and_b32_e32 v0, 0xffff0000, v2
	buffer_store_dword v0, off, s[0:3], s32 offset:1816 ; 4-byte Folded Spill
	v_lshlrev_b32_e32 v0, 16, v3
	buffer_store_dword v0, off, s[0:3], s32 offset:1820 ; 4-byte Folded Spill
	v_and_b32_e32 v0, 0xffff0000, v3
	buffer_store_dword v0, off, s[0:3], s32 offset:1824 ; 4-byte Folded Spill
	ds_read_b128 v[0:3], v9 offset:288
	s_waitcnt lgkmcnt(0)
	v_lshlrev_b32_e32 v4, 16, v0
	v_and_b32_e32 v0, 0xffff0000, v0
	buffer_store_dword v4, off, s[0:3], s32 offset:1828 ; 4-byte Folded Spill
	buffer_store_dword v0, off, s[0:3], s32 offset:1832 ; 4-byte Folded Spill
	v_lshlrev_b32_e32 v0, 16, v1
	buffer_store_dword v0, off, s[0:3], s32 offset:1836 ; 4-byte Folded Spill
	v_and_b32_e32 v0, 0xffff0000, v1
	buffer_store_dword v0, off, s[0:3], s32 offset:1840 ; 4-byte Folded Spill
	v_lshlrev_b32_e32 v0, 16, v2
	buffer_store_dword v0, off, s[0:3], s32 offset:1844 ; 4-byte Folded Spill
	v_and_b32_e32 v0, 0xffff0000, v2
	buffer_store_dword v0, off, s[0:3], s32 offset:1848 ; 4-byte Folded Spill
	v_lshlrev_b32_e32 v0, 16, v3
	buffer_store_dword v0, off, s[0:3], s32 offset:1852 ; 4-byte Folded Spill
	v_and_b32_e32 v0, 0xffff0000, v3
	buffer_store_dword v0, off, s[0:3], s32 offset:1856 ; 4-byte Folded Spill
	ds_read_b128 v[0:3], v9 offset:304
	s_waitcnt lgkmcnt(0)
	v_lshlrev_b32_e32 v4, 16, v0
	v_and_b32_e32 v0, 0xffff0000, v0
	buffer_store_dword v4, off, s[0:3], s32 offset:1860 ; 4-byte Folded Spill
	buffer_store_dword v0, off, s[0:3], s32 offset:1864 ; 4-byte Folded Spill
	v_lshlrev_b32_e32 v0, 16, v1
	buffer_store_dword v0, off, s[0:3], s32 offset:1868 ; 4-byte Folded Spill
	v_and_b32_e32 v0, 0xffff0000, v1
	buffer_store_dword v0, off, s[0:3], s32 offset:1872 ; 4-byte Folded Spill
	v_lshlrev_b32_e32 v0, 16, v2
	buffer_store_dword v0, off, s[0:3], s32 offset:1876 ; 4-byte Folded Spill
	v_and_b32_e32 v0, 0xffff0000, v2
	buffer_store_dword v0, off, s[0:3], s32 offset:1880 ; 4-byte Folded Spill
	v_lshlrev_b32_e32 v0, 16, v3
	buffer_store_dword v0, off, s[0:3], s32 offset:1884 ; 4-byte Folded Spill
	v_and_b32_e32 v0, 0xffff0000, v3
	buffer_store_dword v0, off, s[0:3], s32 offset:1888 ; 4-byte Folded Spill
	ds_read_b128 v[0:3], v9 offset:320
	s_waitcnt lgkmcnt(0)
	v_lshlrev_b32_e32 v4, 16, v0
	v_and_b32_e32 v0, 0xffff0000, v0
	buffer_store_dword v4, off, s[0:3], s32 offset:1892 ; 4-byte Folded Spill
	buffer_store_dword v0, off, s[0:3], s32 offset:1896 ; 4-byte Folded Spill
	v_lshlrev_b32_e32 v0, 16, v1
	buffer_store_dword v0, off, s[0:3], s32 offset:1900 ; 4-byte Folded Spill
	v_and_b32_e32 v0, 0xffff0000, v1
	buffer_store_dword v0, off, s[0:3], s32 offset:1904 ; 4-byte Folded Spill
	v_lshlrev_b32_e32 v0, 16, v2
	buffer_store_dword v0, off, s[0:3], s32 offset:1908 ; 4-byte Folded Spill
	v_and_b32_e32 v0, 0xffff0000, v2
	buffer_store_dword v0, off, s[0:3], s32 offset:1912 ; 4-byte Folded Spill
	v_lshlrev_b32_e32 v0, 16, v3
	buffer_store_dword v0, off, s[0:3], s32 offset:1916 ; 4-byte Folded Spill
	v_and_b32_e32 v0, 0xffff0000, v3
	buffer_store_dword v0, off, s[0:3], s32 offset:1920 ; 4-byte Folded Spill
	ds_read_b128 v[0:3], v9 offset:336
	s_waitcnt lgkmcnt(0)
	v_lshlrev_b32_e32 v4, 16, v0
	v_and_b32_e32 v0, 0xffff0000, v0
	buffer_store_dword v4, off, s[0:3], s32 offset:1924 ; 4-byte Folded Spill
	buffer_store_dword v0, off, s[0:3], s32 offset:1928 ; 4-byte Folded Spill
	v_lshlrev_b32_e32 v0, 16, v1
	buffer_store_dword v0, off, s[0:3], s32 offset:1932 ; 4-byte Folded Spill
	v_and_b32_e32 v0, 0xffff0000, v1
	buffer_store_dword v0, off, s[0:3], s32 offset:1936 ; 4-byte Folded Spill
	v_lshlrev_b32_e32 v0, 16, v2
	buffer_store_dword v0, off, s[0:3], s32 offset:1940 ; 4-byte Folded Spill
	v_and_b32_e32 v0, 0xffff0000, v2
	buffer_store_dword v0, off, s[0:3], s32 offset:1944 ; 4-byte Folded Spill
	v_lshlrev_b32_e32 v0, 16, v3
	buffer_store_dword v0, off, s[0:3], s32 offset:1948 ; 4-byte Folded Spill
	v_and_b32_e32 v0, 0xffff0000, v3
	buffer_store_dword v0, off, s[0:3], s32 offset:1952 ; 4-byte Folded Spill
	ds_read_b128 v[0:3], v9 offset:352
	s_waitcnt lgkmcnt(0)
	v_lshlrev_b32_e32 v4, 16, v0
	v_and_b32_e32 v0, 0xffff0000, v0
	buffer_store_dword v4, off, s[0:3], s32 offset:1956 ; 4-byte Folded Spill
	buffer_store_dword v0, off, s[0:3], s32 offset:1960 ; 4-byte Folded Spill
	v_lshlrev_b32_e32 v0, 16, v1
	buffer_store_dword v0, off, s[0:3], s32 offset:1964 ; 4-byte Folded Spill
	v_and_b32_e32 v0, 0xffff0000, v1
	buffer_store_dword v0, off, s[0:3], s32 offset:1968 ; 4-byte Folded Spill
	v_lshlrev_b32_e32 v0, 16, v2
	buffer_store_dword v0, off, s[0:3], s32 offset:1972 ; 4-byte Folded Spill
	v_and_b32_e32 v0, 0xffff0000, v2
	buffer_store_dword v0, off, s[0:3], s32 offset:1976 ; 4-byte Folded Spill
	v_lshlrev_b32_e32 v0, 16, v3
	buffer_store_dword v0, off, s[0:3], s32 offset:1980 ; 4-byte Folded Spill
	v_and_b32_e32 v0, 0xffff0000, v3
	buffer_store_dword v0, off, s[0:3], s32 offset:1984 ; 4-byte Folded Spill
	ds_read_b128 v[0:3], v9 offset:368
	s_waitcnt lgkmcnt(0)
	v_lshlrev_b32_e32 v4, 16, v0
	v_and_b32_e32 v0, 0xffff0000, v0
	buffer_store_dword v4, off, s[0:3], s32 offset:1988 ; 4-byte Folded Spill
	buffer_store_dword v0, off, s[0:3], s32 offset:1992 ; 4-byte Folded Spill
	v_lshlrev_b32_e32 v0, 16, v1
	buffer_store_dword v0, off, s[0:3], s32 offset:1996 ; 4-byte Folded Spill
	v_and_b32_e32 v0, 0xffff0000, v1
	buffer_store_dword v0, off, s[0:3], s32 offset:2000 ; 4-byte Folded Spill
	v_lshlrev_b32_e32 v0, 16, v2
	buffer_store_dword v0, off, s[0:3], s32 offset:2004 ; 4-byte Folded Spill
	v_and_b32_e32 v0, 0xffff0000, v2
	buffer_store_dword v0, off, s[0:3], s32 offset:2008 ; 4-byte Folded Spill
	v_lshlrev_b32_e32 v0, 16, v3
	buffer_store_dword v0, off, s[0:3], s32 offset:2012 ; 4-byte Folded Spill
	v_and_b32_e32 v0, 0xffff0000, v3
	buffer_store_dword v0, off, s[0:3], s32 offset:2016 ; 4-byte Folded Spill
	ds_read_b128 v[0:3], v9 offset:384
	s_waitcnt lgkmcnt(0)
	v_lshlrev_b32_e32 v4, 16, v0
	v_and_b32_e32 v0, 0xffff0000, v0
	buffer_store_dword v4, off, s[0:3], s32 offset:2020 ; 4-byte Folded Spill
	buffer_store_dword v0, off, s[0:3], s32 offset:2024 ; 4-byte Folded Spill
	v_lshlrev_b32_e32 v0, 16, v1
	buffer_store_dword v0, off, s[0:3], s32 offset:2028 ; 4-byte Folded Spill
	v_and_b32_e32 v0, 0xffff0000, v1
	buffer_store_dword v0, off, s[0:3], s32 offset:2032 ; 4-byte Folded Spill
	v_lshlrev_b32_e32 v0, 16, v2
	buffer_store_dword v0, off, s[0:3], s32 offset:2036 ; 4-byte Folded Spill
	v_and_b32_e32 v0, 0xffff0000, v2
	buffer_store_dword v0, off, s[0:3], s32 offset:2040 ; 4-byte Folded Spill
	v_lshlrev_b32_e32 v0, 16, v3
	buffer_store_dword v0, off, s[0:3], s32 offset:2044 ; 4-byte Folded Spill
	v_and_b32_e32 v0, 0xffff0000, v3
	buffer_store_dword v0, off, s[0:3], s32 offset:2048 ; 4-byte Folded Spill
	ds_read_b128 v[0:3], v9 offset:400
	s_waitcnt lgkmcnt(0)
	v_lshlrev_b32_e32 v4, 16, v0
	v_and_b32_e32 v0, 0xffff0000, v0
	buffer_store_dword v4, off, s[0:3], s32 offset:2052 ; 4-byte Folded Spill
	buffer_store_dword v0, off, s[0:3], s32 offset:2056 ; 4-byte Folded Spill
	v_lshlrev_b32_e32 v0, 16, v1
	buffer_store_dword v0, off, s[0:3], s32 offset:2060 ; 4-byte Folded Spill
	v_and_b32_e32 v0, 0xffff0000, v1
	buffer_store_dword v0, off, s[0:3], s32 offset:2064 ; 4-byte Folded Spill
	v_lshlrev_b32_e32 v0, 16, v2
	buffer_store_dword v0, off, s[0:3], s32 offset:2068 ; 4-byte Folded Spill
	v_and_b32_e32 v0, 0xffff0000, v2
	buffer_store_dword v0, off, s[0:3], s32 offset:2072 ; 4-byte Folded Spill
	v_lshlrev_b32_e32 v0, 16, v3
	buffer_store_dword v0, off, s[0:3], s32 offset:2076 ; 4-byte Folded Spill
	v_and_b32_e32 v0, 0xffff0000, v3
	buffer_store_dword v0, off, s[0:3], s32 offset:2080 ; 4-byte Folded Spill
	ds_read_b128 v[0:3], v9 offset:416
	s_waitcnt lgkmcnt(0)
	v_lshlrev_b32_e32 v4, 16, v0
	v_and_b32_e32 v0, 0xffff0000, v0
	buffer_store_dword v4, off, s[0:3], s32 offset:2084 ; 4-byte Folded Spill
	buffer_store_dword v0, off, s[0:3], s32 offset:2088 ; 4-byte Folded Spill
	v_lshlrev_b32_e32 v0, 16, v1
	buffer_store_dword v0, off, s[0:3], s32 offset:2092 ; 4-byte Folded Spill
	v_and_b32_e32 v0, 0xffff0000, v1
	buffer_store_dword v0, off, s[0:3], s32 offset:2096 ; 4-byte Folded Spill
	v_lshlrev_b32_e32 v0, 16, v2
	buffer_store_dword v0, off, s[0:3], s32 offset:2100 ; 4-byte Folded Spill
	v_and_b32_e32 v0, 0xffff0000, v2
	buffer_store_dword v0, off, s[0:3], s32 offset:2104 ; 4-byte Folded Spill
	v_lshlrev_b32_e32 v0, 16, v3
	buffer_store_dword v0, off, s[0:3], s32 offset:2108 ; 4-byte Folded Spill
	v_and_b32_e32 v0, 0xffff0000, v3
	buffer_store_dword v0, off, s[0:3], s32 offset:2112 ; 4-byte Folded Spill
	ds_read_b128 v[0:3], v9 offset:432
	s_waitcnt lgkmcnt(0)
	v_lshlrev_b32_e32 v4, 16, v0
	v_and_b32_e32 v0, 0xffff0000, v0
	buffer_store_dword v4, off, s[0:3], s32 offset:2116 ; 4-byte Folded Spill
	buffer_store_dword v0, off, s[0:3], s32 offset:2120 ; 4-byte Folded Spill
	v_lshlrev_b32_e32 v0, 16, v1
	buffer_store_dword v0, off, s[0:3], s32 offset:2124 ; 4-byte Folded Spill
	v_and_b32_e32 v0, 0xffff0000, v1
	buffer_store_dword v0, off, s[0:3], s32 offset:2128 ; 4-byte Folded Spill
	v_lshlrev_b32_e32 v0, 16, v2
	buffer_store_dword v0, off, s[0:3], s32 offset:2132 ; 4-byte Folded Spill
	v_and_b32_e32 v0, 0xffff0000, v2
	buffer_store_dword v0, off, s[0:3], s32 offset:2136 ; 4-byte Folded Spill
	v_lshlrev_b32_e32 v0, 16, v3
	buffer_store_dword v0, off, s[0:3], s32 offset:2140 ; 4-byte Folded Spill
	v_and_b32_e32 v0, 0xffff0000, v3
	buffer_store_dword v0, off, s[0:3], s32 offset:2144 ; 4-byte Folded Spill
	ds_read_b128 v[0:3], v9 offset:448
	s_waitcnt lgkmcnt(0)
	v_lshlrev_b32_e32 v4, 16, v0
	v_and_b32_e32 v0, 0xffff0000, v0
	buffer_store_dword v4, off, s[0:3], s32 offset:2148 ; 4-byte Folded Spill
	buffer_store_dword v0, off, s[0:3], s32 offset:2152 ; 4-byte Folded Spill
	v_lshlrev_b32_e32 v0, 16, v1
	buffer_store_dword v0, off, s[0:3], s32 offset:2156 ; 4-byte Folded Spill
	v_and_b32_e32 v0, 0xffff0000, v1
	buffer_store_dword v0, off, s[0:3], s32 offset:2160 ; 4-byte Folded Spill
	v_lshlrev_b32_e32 v0, 16, v2
	buffer_store_dword v0, off, s[0:3], s32 offset:2164 ; 4-byte Folded Spill
	v_and_b32_e32 v0, 0xffff0000, v2
	buffer_store_dword v0, off, s[0:3], s32 offset:2168 ; 4-byte Folded Spill
	v_lshlrev_b32_e32 v0, 16, v3
	buffer_store_dword v0, off, s[0:3], s32 offset:2172 ; 4-byte Folded Spill
	v_and_b32_e32 v0, 0xffff0000, v3
	buffer_store_dword v0, off, s[0:3], s32 offset:2176 ; 4-byte Folded Spill
	ds_read_b128 v[0:3], v9 offset:464
	s_waitcnt lgkmcnt(0)
	v_lshlrev_b32_e32 v4, 16, v0
	v_and_b32_e32 v0, 0xffff0000, v0
	buffer_store_dword v4, off, s[0:3], s32 offset:2180 ; 4-byte Folded Spill
	buffer_store_dword v0, off, s[0:3], s32 offset:2184 ; 4-byte Folded Spill
	v_lshlrev_b32_e32 v0, 16, v1
	buffer_store_dword v0, off, s[0:3], s32 offset:2188 ; 4-byte Folded Spill
	v_and_b32_e32 v0, 0xffff0000, v1
	buffer_store_dword v0, off, s[0:3], s32 offset:2192 ; 4-byte Folded Spill
	v_lshlrev_b32_e32 v0, 16, v2
	buffer_store_dword v0, off, s[0:3], s32 offset:2196 ; 4-byte Folded Spill
	v_and_b32_e32 v0, 0xffff0000, v2
	buffer_store_dword v0, off, s[0:3], s32 offset:2200 ; 4-byte Folded Spill
	v_lshlrev_b32_e32 v0, 16, v3
	buffer_store_dword v0, off, s[0:3], s32 offset:2204 ; 4-byte Folded Spill
	v_and_b32_e32 v0, 0xffff0000, v3
	buffer_store_dword v0, off, s[0:3], s32 offset:2208 ; 4-byte Folded Spill
	ds_read_b128 v[0:3], v9 offset:480
	s_waitcnt lgkmcnt(0)
	v_lshlrev_b32_e32 v4, 16, v0
	v_and_b32_e32 v0, 0xffff0000, v0
	buffer_store_dword v4, off, s[0:3], s32 offset:2212 ; 4-byte Folded Spill
	buffer_store_dword v0, off, s[0:3], s32 offset:2216 ; 4-byte Folded Spill
	v_lshlrev_b32_e32 v0, 16, v1
	buffer_store_dword v0, off, s[0:3], s32 offset:2220 ; 4-byte Folded Spill
	v_and_b32_e32 v0, 0xffff0000, v1
	buffer_store_dword v0, off, s[0:3], s32 offset:2224 ; 4-byte Folded Spill
	v_lshlrev_b32_e32 v0, 16, v2
	buffer_store_dword v0, off, s[0:3], s32 offset:2228 ; 4-byte Folded Spill
	v_and_b32_e32 v0, 0xffff0000, v2
	buffer_store_dword v0, off, s[0:3], s32 offset:2232 ; 4-byte Folded Spill
	v_lshlrev_b32_e32 v0, 16, v3
	buffer_store_dword v0, off, s[0:3], s32 offset:2236 ; 4-byte Folded Spill
	v_and_b32_e32 v0, 0xffff0000, v3
	buffer_store_dword v0, off, s[0:3], s32 offset:2240 ; 4-byte Folded Spill
	ds_read_b128 v[0:3], v9 offset:496
	s_waitcnt lgkmcnt(0)
	v_lshlrev_b32_e32 v4, 16, v0
	v_and_b32_e32 v0, 0xffff0000, v0
	buffer_store_dword v4, off, s[0:3], s32 offset:2244 ; 4-byte Folded Spill
	buffer_store_dword v0, off, s[0:3], s32 offset:2248 ; 4-byte Folded Spill
	v_lshlrev_b32_e32 v0, 16, v1
	v_mov_b32_e32 v4, 0xff7fffff
	buffer_store_dword v0, off, s[0:3], s32 offset:2252 ; 4-byte Folded Spill
	v_and_b32_e32 v0, 0xffff0000, v1
	buffer_store_dword v0, off, s[0:3], s32 offset:2256 ; 4-byte Folded Spill
	v_lshlrev_b32_e32 v0, 16, v2
	buffer_store_dword v0, off, s[0:3], s32 offset:2260 ; 4-byte Folded Spill
	v_and_b32_e32 v0, 0xffff0000, v2
	buffer_store_dword v0, off, s[0:3], s32 offset:2264 ; 4-byte Folded Spill
	v_lshlrev_b32_e32 v0, 16, v3
	buffer_store_dword v0, off, s[0:3], s32 offset:2268 ; 4-byte Folded Spill
	v_and_b32_e32 v0, 0xffff0000, v3
	buffer_store_dword v0, off, s[0:3], s32 offset:2272 ; 4-byte Folded Spill
	v_lshlrev_b64 v[0:1], 2, v[28:29]
	v_add_co_u32 v0, s5, v20, v0
	buffer_store_dword v20, off, s[0:3], s32 offset:2348 ; 4-byte Folded Spill
	buffer_store_dword v21, off, s[0:3], s32 offset:2352 ; 4-byte Folded Spill
	;; [unrolled: 1-line block ×5, first 2 shown]
	v_add_co_ci_u32_e64 v1, null, v21, v1, s5
	v_add_co_u32 v2, s5, v14, v0
	v_add_co_ci_u32_e64 v3, null, v15, v1, s5
	buffer_load_dword v1, off, s[0:3], s32 offset:2284 ; 4-byte Folded Reload
	s_waitcnt vmcnt(0)
	v_lshlrev_b32_e32 v0, 5, v1
	v_add3_u32 v92, s20, v0, v8
	v_lshl_or_b32 v0, v1, 7, v23
	v_add_nc_u32_e32 v90, s6, v0
	v_mov_b32_e32 v0, v28
	buffer_store_dword v0, off, s[0:3], s32 offset:840 ; 4-byte Folded Spill
	buffer_store_dword v1, off, s[0:3], s32 offset:844 ; 4-byte Folded Spill
	s_branch .LBB399_11
.LBB399_7:                              ;   in Loop: Header=BB399_11 Depth=1
	s_or_b32 exec_lo, exec_lo, s24
	v_mov_b32_e32 v8, 24
	v_lshl_add_u32 v28, v28, 23, 0x3c000000
	v_lshlrev_b32_sdwa v8, v8, v29 dst_sel:DWORD dst_unused:UNUSED_PAD src0_sel:DWORD src1_sel:BYTE_3
	v_lshlrev_b32_e32 v29, 20, v30
	v_and_b32_e32 v8, 0x80000000, v8
	v_or3_b32 v8, v29, v8, v28
.LBB399_8:                              ;   in Loop: Header=BB399_11 Depth=1
	s_or_b32 exec_lo, exec_lo, s23
.LBB399_9:                              ;   in Loop: Header=BB399_11 Depth=1
	s_or_b32 exec_lo, exec_lo, s17
	buffer_load_dword v58, off, s[0:3], s32 offset:760 ; 4-byte Folded Reload
	v_mov_b32_e32 v92, v125
	v_mov_b32_e32 v90, v110
.LBB399_10:                             ;   in Loop: Header=BB399_11 Depth=1
	s_or_b32 exec_lo, exec_lo, s6
	buffer_store_dword v8, off, s[0:3], s32 offset:1120 ; 4-byte Folded Spill
	v_mul_f32_e32 v8, v47, v88
	v_mul_f32_e32 v1, v47, v1
	;; [unrolled: 1-line block ×3, first 2 shown]
	s_waitcnt vmcnt(0)
	v_add_nc_u32_e32 v58, 4, v58
	v_bfe_u32 v28, v8, 16, 1
	v_or_b32_e32 v29, 0x400000, v8
	v_cmp_u_f32_e64 s5, v8, v8
	v_add3_u32 v28, v28, v8, 0x7fff
	v_cndmask_b32_e64 v8, v28, v29, s5
	buffer_store_dword v8, off, s[0:3], s32 offset:776 ; 4-byte Folded Spill
	v_mul_f32_e32 v8, v47, v73
	v_bfe_u32 v28, v8, 16, 1
	v_or_b32_e32 v29, 0x400000, v8
	v_cmp_u_f32_e64 s5, v8, v8
	v_add3_u32 v28, v28, v8, 0x7fff
	v_cndmask_b32_e64 v8, v28, v29, s5
	buffer_store_dword v8, off, s[0:3], s32 offset:780 ; 4-byte Folded Spill
	v_mul_f32_e32 v8, v47, v74
	;; [unrolled: 7-line block ×17, first 2 shown]
	v_bfe_u32 v17, v8, 16, 1
	v_or_b32_e32 v20, 0x400000, v8
	v_cmp_u_f32_e64 s5, v8, v8
	v_add3_u32 v17, v17, v8, 0x7fff
	v_cndmask_b32_e64 v8, v17, v20, s5
	v_or_b32_e32 v17, 0x400000, v1
	v_cmp_u_f32_e64 s5, v1, v1
	buffer_store_dword v8, off, s[0:3], s32 offset:864 ; 4-byte Folded Spill
	v_bfe_u32 v8, v1, 16, 1
	v_add3_u32 v8, v8, v1, 0x7fff
	v_cndmask_b32_e64 v1, v8, v17, s5
	buffer_store_dword v1, off, s[0:3], s32 offset:868 ; 4-byte Folded Spill
	v_mul_f32_e32 v1, v47, v3
	v_bfe_u32 v3, v1, 16, 1
	v_or_b32_e32 v8, 0x400000, v1
	v_cmp_u_f32_e64 s5, v1, v1
	v_add3_u32 v3, v3, v1, 0x7fff
	v_cndmask_b32_e64 v1, v3, v8, s5
	buffer_store_dword v1, off, s[0:3], s32 offset:872 ; 4-byte Folded Spill
	v_mul_f32_e32 v1, v47, v52
	v_bfe_u32 v3, v1, 16, 1
	v_or_b32_e32 v8, 0x400000, v1
	v_cmp_u_f32_e64 s5, v1, v1
	;; [unrolled: 7-line block ×71, first 2 shown]
	v_add3_u32 v3, v3, v1, 0x7fff
	v_cndmask_b32_e64 v1, v3, v8, s5
	v_or_b32_e32 v3, 0x400000, v0
	v_cmp_u_f32_e64 s5, v0, v0
	buffer_store_dword v1, off, s[0:3], s32 offset:1164 ; 4-byte Folded Spill
	v_bfe_u32 v1, v0, 16, 1
	v_add3_u32 v1, v1, v0, 0x7fff
	v_cndmask_b32_e64 v0, v1, v3, s5
	buffer_store_dword v0, off, s[0:3], s32 offset:1168 ; 4-byte Folded Spill
	v_mul_f32_e32 v0, v47, v14
	v_bfe_u32 v1, v0, 16, 1
	v_or_b32_e32 v3, 0x400000, v0
	v_cmp_u_f32_e64 s5, v0, v0
	v_add3_u32 v1, v1, v0, 0x7fff
	v_cndmask_b32_e64 v0, v1, v3, s5
	buffer_store_dword v0, off, s[0:3], s32 offset:1172 ; 4-byte Folded Spill
	v_mul_f32_e32 v0, v47, v6
	v_bfe_u32 v1, v0, 16, 1
	v_or_b32_e32 v3, 0x400000, v0
	v_cmp_u_f32_e64 s5, v0, v0
	;; [unrolled: 7-line block ×13, first 2 shown]
	v_add3_u32 v1, v1, v0, 0x7fff
	v_cndmask_b32_e64 v0, v1, v2, s5
	buffer_store_dword v0, off, s[0:3], s32 offset:1216 ; 4-byte Folded Spill
	buffer_load_dword v0, off, s[0:3], s32 offset:740 ; 4-byte Folded Reload
	s_waitcnt vmcnt(0)
	v_mul_f32_e32 v0, v47, v0
	v_bfe_u32 v1, v0, 16, 1
	v_or_b32_e32 v2, 0x400000, v0
	v_cmp_u_f32_e64 s5, v0, v0
	v_add3_u32 v1, v1, v0, 0x7fff
	v_cndmask_b32_e64 v0, v1, v2, s5
	buffer_store_dword v0, off, s[0:3], s32 offset:740 ; 4-byte Folded Spill
	buffer_load_dword v0, off, s[0:3], s32 offset:728 ; 4-byte Folded Reload
	s_waitcnt vmcnt(0)
	v_mul_f32_e32 v0, v47, v0
	v_bfe_u32 v1, v0, 16, 1
	v_or_b32_e32 v2, 0x400000, v0
	v_cmp_u_f32_e64 s5, v0, v0
	;; [unrolled: 9-line block ×33, first 2 shown]
	v_add3_u32 v1, v1, v0, 0x7fff
	buffer_load_dword v0, off, s[0:3], s32 offset:604 ; 4-byte Folded Reload
	v_cndmask_b32_e64 v89, v1, v2, s5
	s_waitcnt vmcnt(0)
	v_mul_f32_e32 v0, v47, v0
	v_bfe_u32 v1, v0, 16, 1
	v_or_b32_e32 v2, 0x400000, v0
	v_cmp_u_f32_e64 s5, v0, v0
	v_add3_u32 v1, v1, v0, 0x7fff
	buffer_load_dword v0, off, s[0:3], s32 offset:600 ; 4-byte Folded Reload
	v_cndmask_b32_e64 v79, v1, v2, s5
	s_waitcnt vmcnt(0)
	v_mul_f32_e32 v0, v47, v0
	v_bfe_u32 v1, v0, 16, 1
	v_or_b32_e32 v2, 0x400000, v0
	v_cmp_u_f32_e64 s5, v0, v0
	;; [unrolled: 8-line block ×74, first 2 shown]
	v_add3_u32 v1, v1, v0, 0x7fff
	buffer_load_dword v0, off, s[0:3], s32 offset:308 ; 4-byte Folded Reload
	v_cndmask_b32_e64 v1, v1, v13, s5
	v_and_b32_e32 v1, 0xffff0000, v1
	s_waitcnt vmcnt(0)
	v_mul_f32_e32 v0, v47, v0
	v_bfe_u32 v13, v0, 16, 1
	v_or_b32_e32 v24, 0x400000, v0
	v_cmp_u_f32_e64 s5, v0, v0
	v_add3_u32 v13, v13, v0, 0x7fff
	buffer_load_dword v0, off, s[0:3], s32 offset:304 ; 4-byte Folded Reload
	v_cndmask_b32_e64 v104, v13, v24, s5
	s_waitcnt vmcnt(0)
	v_mul_f32_e32 v0, v47, v0
	v_bfe_u32 v13, v0, 16, 1
	v_or_b32_e32 v24, 0x400000, v0
	v_cmp_u_f32_e64 s5, v0, v0
	v_add3_u32 v13, v13, v0, 0x7fff
	buffer_load_dword v0, off, s[0:3], s32 offset:300 ; 4-byte Folded Reload
	v_cndmask_b32_e64 v93, v13, v24, s5
	;; [unrolled: 8-line block ×10, first 2 shown]
	v_and_b32_e32 v13, 0xffff0000, v13
	s_waitcnt vmcnt(0)
	v_mul_f32_e32 v0, v47, v0
	v_bfe_u32 v26, v0, 16, 1
	v_or_b32_e32 v37, 0x400000, v0
	v_cmp_u_f32_e64 s5, v0, v0
	v_add3_u32 v26, v26, v0, 0x7fff
	buffer_load_dword v0, off, s[0:3], s32 offset:288 ; 4-byte Folded Reload
	v_cndmask_b32_e64 v122, v26, v37, s5
	s_waitcnt vmcnt(0)
	v_mul_f32_e32 v0, v47, v0
	v_bfe_u32 v26, v0, 16, 1
	v_or_b32_e32 v37, 0x400000, v0
	v_cmp_u_f32_e64 s5, v0, v0
	v_add3_u32 v26, v26, v0, 0x7fff
	buffer_load_dword v0, off, s[0:3], s32 offset:296 ; 4-byte Folded Reload
	v_cndmask_b32_e64 v111, v26, v37, s5
	;; [unrolled: 8-line block ×12, first 2 shown]
	v_and_b32_e32 v26, 0xffff0000, v26
	s_waitcnt vmcnt(0)
	v_mul_f32_e32 v0, v47, v0
	v_bfe_u32 v37, v0, 16, 1
	v_or_b32_e32 v38, 0x400000, v0
	v_cmp_u_f32_e64 s5, v0, v0
	v_add3_u32 v37, v37, v0, 0x7fff
	buffer_load_dword v0, off, s[0:3], s32 offset:216 ; 4-byte Folded Reload
	v_cndmask_b32_e64 v37, v37, v38, s5
	v_and_b32_e32 v37, 0xffff0000, v37
	s_waitcnt vmcnt(0)
	v_mul_f32_e32 v0, v47, v0
	v_bfe_u32 v38, v0, 16, 1
	v_or_b32_e32 v48, 0x400000, v0
	v_cmp_u_f32_e64 s5, v0, v0
	v_add3_u32 v38, v38, v0, 0x7fff
	buffer_load_dword v0, off, s[0:3], s32 offset:212 ; 4-byte Folded Reload
	v_cndmask_b32_e64 v38, v38, v48, s5
	;; [unrolled: 9-line block ×5, first 2 shown]
	s_waitcnt vmcnt(0)
	v_mul_f32_e32 v0, v47, v0
	v_bfe_u32 v51, v0, 16, 1
	v_or_b32_e32 v120, 0x400000, v0
	v_cmp_u_f32_e64 s5, v0, v0
	v_add3_u32 v51, v51, v0, 0x7fff
	buffer_load_dword v0, off, s[0:3], s32 offset:232 ; 4-byte Folded Reload
	v_cndmask_b32_e64 v36, v51, v120, s5
	s_waitcnt vmcnt(0)
	v_mul_f32_e32 v0, v47, v0
	v_bfe_u32 v51, v0, 16, 1
	v_or_b32_e32 v120, 0x400000, v0
	v_cmp_u_f32_e64 s5, v0, v0
	v_add3_u32 v51, v51, v0, 0x7fff
	buffer_load_dword v0, off, s[0:3], s32 offset:196 ; 4-byte Folded Reload
	v_cndmask_b32_e64 v102, v51, v120, s5
	s_waitcnt vmcnt(0)
	v_mul_f32_e32 v0, v47, v0
	v_bfe_u32 v51, v0, 16, 1
	v_or_b32_e32 v120, 0x400000, v0
	v_cmp_u_f32_e64 s5, v0, v0
	v_add3_u32 v51, v51, v0, 0x7fff
	v_mul_f32_e32 v0, v47, v117
	v_cndmask_b32_e64 v101, v51, v120, s5
	v_bfe_u32 v51, v0, 16, 1
	v_or_b32_e32 v120, 0x400000, v0
	v_cmp_u_f32_e64 s5, v0, v0
	v_add3_u32 v51, v51, v0, 0x7fff
	v_mul_f32_e32 v0, v47, v42
	v_cndmask_b32_e64 v100, v51, v120, s5
	;; [unrolled: 6-line block ×5, first 2 shown]
	v_bfe_u32 v51, v0, 16, 1
	v_or_b32_e32 v120, 0x400000, v0
	v_cmp_u_f32_e64 s5, v0, v0
	v_and_b32_e32 v103, 0xffff0000, v103
	v_add3_u32 v51, v51, v0, 0x7fff
	buffer_load_dword v0, off, s[0:3], s32 offset:192 ; 4-byte Folded Reload
	v_cndmask_b32_e64 v30, v51, v120, s5
	s_waitcnt vmcnt(0)
	v_mul_f32_e32 v0, v47, v0
	v_bfe_u32 v51, v0, 16, 1
	v_or_b32_e32 v120, 0x400000, v0
	v_cmp_u_f32_e64 s5, v0, v0
	v_add3_u32 v51, v51, v0, 0x7fff
	buffer_load_dword v0, off, s[0:3], s32 offset:200 ; 4-byte Folded Reload
	v_cndmask_b32_e64 v42, v51, v120, s5
	s_waitcnt vmcnt(0)
	v_mul_f32_e32 v0, v47, v0
	v_bfe_u32 v8, v0, 16, 1
	v_or_b32_e32 v51, 0x400000, v0
	v_cmp_u_f32_e64 s5, v0, v0
	v_add3_u32 v8, v8, v0, 0x7fff
	v_mul_f32_e32 v0, v47, v121
	v_cndmask_b32_e64 v126, v8, v51, s5
	v_bfe_u32 v8, v0, 16, 1
	v_or_b32_e32 v16, 0x400000, v0
	v_cmp_u_f32_e64 s5, v0, v0
	v_add3_u32 v8, v8, v0, 0x7fff
	buffer_load_dword v0, off, s[0:3], s32 offset:756 ; 4-byte Folded Reload
	v_cndmask_b32_e64 v17, v8, v16, s5
	s_waitcnt vmcnt(0)
	v_mul_f32_e32 v0, v47, v0
	v_bfe_u32 v8, v0, 16, 1
	v_or_b32_e32 v51, 0x400000, v0
	v_cmp_u_f32_e64 s5, v0, v0
	v_add3_u32 v8, v8, v0, 0x7fff
	v_mul_f32_e32 v0, v47, v123
	v_cndmask_b32_e64 v16, v8, v51, s5
	v_bfe_u32 v51, v0, 16, 1
	v_or_b32_e32 v120, 0x400000, v0
	v_cmp_u_f32_e64 s5, v0, v0
	v_add3_u32 v51, v51, v0, 0x7fff
	buffer_load_dword v0, off, s[0:3], s32 offset:752 ; 4-byte Folded Reload
	v_cndmask_b32_e64 v8, v51, v120, s5
	s_waitcnt vmcnt(0)
	v_mul_f32_e32 v0, v47, v0
	v_bfe_u32 v51, v0, 16, 1
	v_or_b32_e32 v120, 0x400000, v0
	v_cmp_u_f32_e64 s5, v0, v0
	v_add3_u32 v51, v51, v0, 0x7fff
	buffer_load_dword v0, off, s[0:3], s32 offset:748 ; 4-byte Folded Reload
	v_cndmask_b32_e64 v121, v51, v120, s5
	s_waitcnt vmcnt(0)
	v_mul_f32_e32 v0, v47, v0
	;; [unrolled: 8-line block ×3, first 2 shown]
	v_bfe_u32 v51, v0, 16, 1
	v_or_b32_e32 v32, 0x400000, v0
	v_cmp_u_f32_e64 s5, v0, v0
	v_add3_u32 v51, v51, v0, 0x7fff
	v_cndmask_b32_e64 v0, v51, v32, s5
	s_clause 0x1
	buffer_load_dword v32, off, s[0:3], s32 offset:1040
	buffer_load_dword v51, off, s[0:3], s32 offset:1120
	v_and_b32_e32 v0, 0xffff0000, v0
	s_waitcnt vmcnt(1)
	v_mul_f32_e32 v32, v47, v32
	s_waitcnt vmcnt(0)
	v_mul_f32_e32 v47, v47, v51
	v_bfe_u32 v51, v32, 16, 1
	v_or_b32_e32 v123, 0x400000, v32
	v_cmp_u_f32_e64 s5, v32, v32
	v_add3_u32 v51, v51, v32, 0x7fff
	v_bfe_u32 v32, v47, 16, 1
	v_cndmask_b32_e64 v51, v51, v123, s5
	v_add3_u32 v32, v32, v47, 0x7fff
	v_or_b32_e32 v123, 0x400000, v47
	v_cmp_u_f32_e64 s5, v47, v47
	v_and_b32_e32 v47, 0xffff0000, v88
	v_and_b32_e32 v88, 0xffff0000, v30
	buffer_load_dword v30, off, s[0:3], s32 offset:1284 ; 4-byte Folded Reload
	v_cndmask_b32_e64 v32, v32, v123, s5
	v_cmp_lt_i32_e64 s5, v92, v124
	s_waitcnt vmcnt(0)
	v_mul_f32_e32 v30, v30, v47
	buffer_load_dword v47, off, s[0:3], s32 offset:1252 ; 4-byte Folded Reload
	s_waitcnt vmcnt(0)
	v_fmac_f32_e32 v30, v47, v88
	buffer_load_dword v47, off, s[0:3], s32 offset:1288 ; 4-byte Folded Reload
	s_waitcnt vmcnt(0)
	v_mul_f32_e32 v47, v47, v50
	buffer_load_dword v50, off, s[0:3], s32 offset:1256 ; 4-byte Folded Reload
	s_waitcnt vmcnt(0)
	v_fmac_f32_e32 v47, v50, v103
	buffer_load_dword v103, off, s[0:3], s32 offset:1292 ; 4-byte Folded Reload
	v_and_b32_e32 v50, 0xffff0000, v117
	s_waitcnt vmcnt(0)
	v_mul_f32_e32 v48, v103, v48
	buffer_load_dword v103, off, s[0:3], s32 offset:1260 ; 4-byte Folded Reload
	s_waitcnt vmcnt(0)
	v_fmac_f32_e32 v48, v103, v50
	v_and_b32_e32 v50, 0xffff0000, v99
	buffer_load_dword v99, off, s[0:3], s32 offset:1296 ; 4-byte Folded Reload
	s_waitcnt vmcnt(0)
	v_mul_f32_e32 v38, v99, v38
	buffer_load_dword v99, off, s[0:3], s32 offset:1264 ; 4-byte Folded Reload
	s_waitcnt vmcnt(0)
	v_fmac_f32_e32 v38, v99, v50
	buffer_load_dword v99, off, s[0:3], s32 offset:1300 ; 4-byte Folded Reload
	v_and_b32_e32 v50, 0xffff0000, v100
	s_waitcnt vmcnt(0)
	v_mul_f32_e32 v37, v99, v37
	buffer_load_dword v99, off, s[0:3], s32 offset:1268 ; 4-byte Folded Reload
	s_waitcnt vmcnt(0)
	v_fmac_f32_e32 v37, v99, v50
	buffer_load_dword v50, off, s[0:3], s32 offset:1304 ; 4-byte Folded Reload
	v_and_b32_e32 v99, 0xffff0000, v101
	s_waitcnt vmcnt(0)
	v_mul_f32_e32 v50, v50, v26
	buffer_load_dword v26, off, s[0:3], s32 offset:1272 ; 4-byte Folded Reload
	s_waitcnt vmcnt(0)
	v_fmac_f32_e32 v50, v26, v99
	buffer_load_dword v99, off, s[0:3], s32 offset:1308 ; 4-byte Folded Reload
	v_and_b32_e32 v26, 0xffff0000, v36
	v_and_b32_e32 v36, 0xffff0000, v42
	s_waitcnt vmcnt(0)
	v_mul_f32_e32 v88, v99, v26
	s_clause 0x1
	buffer_load_dword v26, off, s[0:3], s32 offset:1276
	buffer_load_dword v99, off, s[0:3], s32 offset:1312
	s_waitcnt vmcnt(1)
	v_fmac_f32_e32 v88, v26, v36
	v_and_b32_e32 v26, 0xffff0000, v102
	v_and_b32_e32 v36, 0xffff0000, v126
	s_waitcnt vmcnt(0)
	v_mul_f32_e32 v26, v99, v26
	buffer_load_dword v99, off, s[0:3], s32 offset:1280 ; 4-byte Folded Reload
	s_waitcnt vmcnt(0)
	v_fmac_f32_e32 v26, v99, v36
	buffer_load_dword v99, off, s[0:3], s32 offset:1316 ; 4-byte Folded Reload
	v_and_b32_e32 v36, 0xffff0000, v113
	s_waitcnt vmcnt(0)
	v_fmac_f32_e32 v30, v99, v36
	buffer_load_dword v99, off, s[0:3], s32 offset:1320 ; 4-byte Folded Reload
	v_and_b32_e32 v36, 0xffff0000, v114
	s_waitcnt vmcnt(0)
	v_fmac_f32_e32 v47, v99, v36
	v_and_b32_e32 v36, 0xffff0000, v39
	buffer_load_dword v39, off, s[0:3], s32 offset:1324 ; 4-byte Folded Reload
	s_waitcnt vmcnt(0)
	v_fmac_f32_e32 v48, v39, v36
	buffer_load_dword v39, off, s[0:3], s32 offset:1328 ; 4-byte Folded Reload
	v_and_b32_e32 v36, 0xffff0000, v115
	s_waitcnt vmcnt(0)
	v_fmac_f32_e32 v38, v39, v36
	buffer_load_dword v39, off, s[0:3], s32 offset:1332 ; 4-byte Folded Reload
	v_and_b32_e32 v36, 0xffff0000, v118
	;; [unrolled: 4-line block ×6, first 2 shown]
	s_waitcnt vmcnt(0)
	v_fmac_f32_e32 v30, v39, v36
	buffer_load_dword v36, off, s[0:3], s32 offset:1352 ; 4-byte Folded Reload
	s_waitcnt vmcnt(0)
	v_fmac_f32_e32 v47, v36, v13
	v_and_b32_e32 v13, 0xffff0000, v25
	buffer_load_dword v25, off, s[0:3], s32 offset:1356 ; 4-byte Folded Reload
	s_waitcnt vmcnt(0)
	v_fmac_f32_e32 v48, v25, v13
	buffer_load_dword v25, off, s[0:3], s32 offset:1360 ; 4-byte Folded Reload
	v_and_b32_e32 v13, 0xffff0000, v57
	s_waitcnt vmcnt(0)
	v_fmac_f32_e32 v38, v25, v13
	v_and_b32_e32 v13, 0xffff0000, v24
	buffer_load_dword v24, off, s[0:3], s32 offset:1364 ; 4-byte Folded Reload
	s_waitcnt vmcnt(0)
	v_fmac_f32_e32 v37, v24, v13
	buffer_load_dword v24, off, s[0:3], s32 offset:1368 ; 4-byte Folded Reload
	v_and_b32_e32 v13, 0xffff0000, v110
	s_waitcnt vmcnt(0)
	v_fmac_f32_e32 v50, v24, v13
	buffer_load_dword v24, off, s[0:3], s32 offset:1372 ; 4-byte Folded Reload
	v_and_b32_e32 v13, 0xffff0000, v111
	;; [unrolled: 4-line block ×6, first 2 shown]
	s_waitcnt vmcnt(0)
	v_fmac_f32_e32 v48, v24, v13
	buffer_load_dword v13, off, s[0:3], s32 offset:1392 ; 4-byte Folded Reload
	s_waitcnt vmcnt(0)
	v_fmac_f32_e32 v38, v13, v1
	buffer_load_dword v13, off, s[0:3], s32 offset:1396 ; 4-byte Folded Reload
	v_and_b32_e32 v1, 0xffff0000, v109
	s_waitcnt vmcnt(0)
	v_fmac_f32_e32 v37, v13, v1
	buffer_load_dword v13, off, s[0:3], s32 offset:1400 ; 4-byte Folded Reload
	v_and_b32_e32 v1, 0xffff0000, v21
	;; [unrolled: 4-line block ×13, first 2 shown]
	s_waitcnt vmcnt(0)
	v_fmac_f32_e32 v30, v13, v1
	v_and_b32_e32 v1, 0xffff0000, v12
	buffer_load_dword v12, off, s[0:3], s32 offset:1448 ; 4-byte Folded Reload
	s_waitcnt vmcnt(0)
	v_fmac_f32_e32 v47, v12, v1
	v_and_b32_e32 v1, 0xffff0000, v4
	buffer_load_dword v4, off, s[0:3], s32 offset:1452 ; 4-byte Folded Reload
	s_waitcnt vmcnt(0)
	v_fmac_f32_e32 v48, v4, v1
	buffer_load_dword v4, off, s[0:3], s32 offset:1456 ; 4-byte Folded Reload
	v_and_b32_e32 v1, 0xffff0000, v11
	s_waitcnt vmcnt(0)
	v_fmac_f32_e32 v38, v4, v1
	buffer_load_dword v4, off, s[0:3], s32 offset:1460 ; 4-byte Folded Reload
	v_and_b32_e32 v1, 0xffff0000, v5
	;; [unrolled: 4-line block ×4, first 2 shown]
	s_waitcnt vmcnt(0)
	v_fmac_f32_e32 v88, v4, v1
	v_and_b32_e32 v1, 0xffff0000, v2
	s_clause 0x1
	buffer_load_dword v2, off, s[0:3], s32 offset:1472
	buffer_load_dword v4, off, s[0:3], s32 offset:772
	s_waitcnt vmcnt(1)
	v_fmac_f32_e32 v26, v2, v1
	buffer_load_dword v2, off, s[0:3], s32 offset:1476 ; 4-byte Folded Reload
	v_and_b32_e32 v1, 0xffff0000, v3
	s_waitcnt vmcnt(0)
	v_fmac_f32_e32 v30, v2, v1
	buffer_load_dword v2, off, s[0:3], s32 offset:1480 ; 4-byte Folded Reload
	v_and_b32_e32 v1, 0xffff0000, v52
	;; [unrolled: 4-line block ×56, first 2 shown]
	s_waitcnt vmcnt(0)
	v_fmac_f32_e32 v26, v2, v1
	s_clause 0x1
	buffer_load_dword v1, off, s[0:3], s32 offset:680
	buffer_load_dword v2, off, s[0:3], s32 offset:1700
	s_waitcnt vmcnt(1)
	v_and_b32_e32 v1, 0xffff0000, v1
	s_waitcnt vmcnt(0)
	v_fmac_f32_e32 v30, v2, v1
	s_clause 0x1
	buffer_load_dword v1, off, s[0:3], s32 offset:624
	buffer_load_dword v2, off, s[0:3], s32 offset:1704
	s_waitcnt vmcnt(1)
	v_and_b32_e32 v1, 0xffff0000, v1
	s_waitcnt vmcnt(0)
	v_fmac_f32_e32 v47, v2, v1
	s_clause 0x1
	buffer_load_dword v1, off, s[0:3], s32 offset:628
	buffer_load_dword v2, off, s[0:3], s32 offset:1708
	s_waitcnt vmcnt(1)
	v_and_b32_e32 v1, 0xffff0000, v1
	s_waitcnt vmcnt(0)
	v_fmac_f32_e32 v48, v2, v1
	s_clause 0x1
	buffer_load_dword v1, off, s[0:3], s32 offset:632
	buffer_load_dword v2, off, s[0:3], s32 offset:1712
	s_waitcnt vmcnt(1)
	v_and_b32_e32 v1, 0xffff0000, v1
	s_waitcnt vmcnt(0)
	v_fmac_f32_e32 v38, v2, v1
	s_clause 0x1
	buffer_load_dword v1, off, s[0:3], s32 offset:636
	buffer_load_dword v2, off, s[0:3], s32 offset:1716
	s_waitcnt vmcnt(1)
	v_and_b32_e32 v1, 0xffff0000, v1
	s_waitcnt vmcnt(0)
	v_fmac_f32_e32 v37, v2, v1
	s_clause 0x1
	buffer_load_dword v1, off, s[0:3], s32 offset:644
	buffer_load_dword v2, off, s[0:3], s32 offset:1720
	s_waitcnt vmcnt(1)
	v_and_b32_e32 v1, 0xffff0000, v1
	s_waitcnt vmcnt(0)
	v_fmac_f32_e32 v50, v2, v1
	s_clause 0x1
	buffer_load_dword v1, off, s[0:3], s32 offset:620
	buffer_load_dword v2, off, s[0:3], s32 offset:1724
	s_waitcnt vmcnt(1)
	v_and_b32_e32 v1, 0xffff0000, v1
	s_waitcnt vmcnt(0)
	v_fmac_f32_e32 v88, v2, v1
	s_clause 0x1
	buffer_load_dword v1, off, s[0:3], s32 offset:640
	buffer_load_dword v2, off, s[0:3], s32 offset:1728
	s_waitcnt vmcnt(1)
	v_and_b32_e32 v1, 0xffff0000, v1
	s_waitcnt vmcnt(0)
	v_fmac_f32_e32 v26, v2, v1
	s_clause 0x1
	buffer_load_dword v1, off, s[0:3], s32 offset:712
	buffer_load_dword v2, off, s[0:3], s32 offset:1732
	s_waitcnt vmcnt(1)
	v_and_b32_e32 v1, 0xffff0000, v1
	s_waitcnt vmcnt(0)
	v_fmac_f32_e32 v30, v2, v1
	s_clause 0x1
	buffer_load_dword v1, off, s[0:3], s32 offset:656
	buffer_load_dword v2, off, s[0:3], s32 offset:1736
	s_waitcnt vmcnt(1)
	v_and_b32_e32 v1, 0xffff0000, v1
	s_waitcnt vmcnt(0)
	v_fmac_f32_e32 v47, v2, v1
	s_clause 0x1
	buffer_load_dword v1, off, s[0:3], s32 offset:660
	buffer_load_dword v2, off, s[0:3], s32 offset:1740
	s_waitcnt vmcnt(1)
	v_and_b32_e32 v1, 0xffff0000, v1
	s_waitcnt vmcnt(0)
	v_fmac_f32_e32 v48, v2, v1
	s_clause 0x1
	buffer_load_dword v1, off, s[0:3], s32 offset:668
	buffer_load_dword v2, off, s[0:3], s32 offset:1744
	s_waitcnt vmcnt(1)
	v_and_b32_e32 v1, 0xffff0000, v1
	s_waitcnt vmcnt(0)
	v_fmac_f32_e32 v38, v2, v1
	s_clause 0x1
	buffer_load_dword v1, off, s[0:3], s32 offset:664
	buffer_load_dword v2, off, s[0:3], s32 offset:1748
	s_waitcnt vmcnt(1)
	v_and_b32_e32 v1, 0xffff0000, v1
	s_waitcnt vmcnt(0)
	v_fmac_f32_e32 v37, v2, v1
	s_clause 0x1
	buffer_load_dword v1, off, s[0:3], s32 offset:676
	buffer_load_dword v2, off, s[0:3], s32 offset:1752
	s_waitcnt vmcnt(1)
	v_and_b32_e32 v1, 0xffff0000, v1
	s_waitcnt vmcnt(0)
	v_fmac_f32_e32 v50, v2, v1
	s_clause 0x1
	buffer_load_dword v1, off, s[0:3], s32 offset:652
	buffer_load_dword v2, off, s[0:3], s32 offset:1756
	s_waitcnt vmcnt(1)
	v_and_b32_e32 v1, 0xffff0000, v1
	s_waitcnt vmcnt(0)
	v_fmac_f32_e32 v88, v2, v1
	s_clause 0x1
	buffer_load_dword v1, off, s[0:3], s32 offset:672
	buffer_load_dword v2, off, s[0:3], s32 offset:1760
	s_waitcnt vmcnt(1)
	v_and_b32_e32 v1, 0xffff0000, v1
	s_waitcnt vmcnt(0)
	v_fmac_f32_e32 v26, v2, v1
	s_clause 0x1
	buffer_load_dword v1, off, s[0:3], s32 offset:744
	buffer_load_dword v2, off, s[0:3], s32 offset:1764
	s_waitcnt vmcnt(1)
	v_and_b32_e32 v1, 0xffff0000, v1
	s_waitcnt vmcnt(0)
	v_fmac_f32_e32 v30, v2, v1
	s_clause 0x1
	buffer_load_dword v1, off, s[0:3], s32 offset:688
	buffer_load_dword v2, off, s[0:3], s32 offset:1768
	s_waitcnt vmcnt(1)
	v_and_b32_e32 v1, 0xffff0000, v1
	s_waitcnt vmcnt(0)
	v_fmac_f32_e32 v47, v2, v1
	s_clause 0x1
	buffer_load_dword v1, off, s[0:3], s32 offset:692
	buffer_load_dword v2, off, s[0:3], s32 offset:1772
	s_waitcnt vmcnt(1)
	v_and_b32_e32 v1, 0xffff0000, v1
	s_waitcnt vmcnt(0)
	v_fmac_f32_e32 v48, v2, v1
	s_clause 0x1
	buffer_load_dword v1, off, s[0:3], s32 offset:700
	buffer_load_dword v2, off, s[0:3], s32 offset:1776
	s_waitcnt vmcnt(1)
	v_and_b32_e32 v1, 0xffff0000, v1
	s_waitcnt vmcnt(0)
	v_fmac_f32_e32 v38, v2, v1
	s_clause 0x1
	buffer_load_dword v1, off, s[0:3], s32 offset:696
	buffer_load_dword v2, off, s[0:3], s32 offset:1780
	s_waitcnt vmcnt(1)
	v_and_b32_e32 v1, 0xffff0000, v1
	s_waitcnt vmcnt(0)
	v_fmac_f32_e32 v37, v2, v1
	s_clause 0x1
	buffer_load_dword v1, off, s[0:3], s32 offset:708
	buffer_load_dword v2, off, s[0:3], s32 offset:1784
	s_waitcnt vmcnt(1)
	v_and_b32_e32 v1, 0xffff0000, v1
	s_waitcnt vmcnt(0)
	v_fmac_f32_e32 v50, v2, v1
	s_clause 0x1
	buffer_load_dword v1, off, s[0:3], s32 offset:684
	buffer_load_dword v2, off, s[0:3], s32 offset:1788
	s_waitcnt vmcnt(1)
	v_and_b32_e32 v1, 0xffff0000, v1
	s_waitcnt vmcnt(0)
	v_fmac_f32_e32 v88, v2, v1
	s_clause 0x1
	buffer_load_dword v1, off, s[0:3], s32 offset:704
	buffer_load_dword v2, off, s[0:3], s32 offset:1792
	s_waitcnt vmcnt(1)
	v_and_b32_e32 v1, 0xffff0000, v1
	s_waitcnt vmcnt(0)
	v_fmac_f32_e32 v26, v2, v1
	s_clause 0x1
	buffer_load_dword v1, off, s[0:3], s32 offset:1224
	buffer_load_dword v2, off, s[0:3], s32 offset:1796
	s_waitcnt vmcnt(1)
	v_and_b32_e32 v1, 0xffff0000, v1
	s_waitcnt vmcnt(0)
	v_fmac_f32_e32 v30, v2, v1
	s_clause 0x1
	buffer_load_dword v1, off, s[0:3], s32 offset:720
	buffer_load_dword v2, off, s[0:3], s32 offset:1800
	s_waitcnt vmcnt(1)
	v_and_b32_e32 v1, 0xffff0000, v1
	s_waitcnt vmcnt(0)
	v_fmac_f32_e32 v47, v2, v1
	s_clause 0x1
	buffer_load_dword v1, off, s[0:3], s32 offset:724
	buffer_load_dword v2, off, s[0:3], s32 offset:1804
	s_waitcnt vmcnt(1)
	v_and_b32_e32 v1, 0xffff0000, v1
	s_waitcnt vmcnt(0)
	v_fmac_f32_e32 v48, v2, v1
	s_clause 0x1
	buffer_load_dword v1, off, s[0:3], s32 offset:732
	buffer_load_dword v2, off, s[0:3], s32 offset:1808
	s_waitcnt vmcnt(1)
	v_and_b32_e32 v1, 0xffff0000, v1
	s_waitcnt vmcnt(0)
	v_fmac_f32_e32 v38, v2, v1
	s_clause 0x1
	buffer_load_dword v1, off, s[0:3], s32 offset:728
	buffer_load_dword v2, off, s[0:3], s32 offset:1812
	s_waitcnt vmcnt(1)
	v_and_b32_e32 v1, 0xffff0000, v1
	s_waitcnt vmcnt(0)
	v_fmac_f32_e32 v37, v2, v1
	s_clause 0x1
	buffer_load_dword v1, off, s[0:3], s32 offset:740
	buffer_load_dword v2, off, s[0:3], s32 offset:1816
	s_waitcnt vmcnt(1)
	v_and_b32_e32 v1, 0xffff0000, v1
	s_waitcnt vmcnt(0)
	v_fmac_f32_e32 v50, v2, v1
	s_clause 0x1
	buffer_load_dword v1, off, s[0:3], s32 offset:716
	buffer_load_dword v2, off, s[0:3], s32 offset:1820
	s_waitcnt vmcnt(1)
	v_and_b32_e32 v1, 0xffff0000, v1
	s_waitcnt vmcnt(0)
	v_fmac_f32_e32 v88, v2, v1
	s_clause 0x1
	buffer_load_dword v1, off, s[0:3], s32 offset:736
	buffer_load_dword v2, off, s[0:3], s32 offset:1824
	s_waitcnt vmcnt(1)
	v_and_b32_e32 v1, 0xffff0000, v1
	s_waitcnt vmcnt(0)
	v_fmac_f32_e32 v26, v2, v1
	s_clause 0x1
	buffer_load_dword v1, off, s[0:3], s32 offset:1220
	buffer_load_dword v2, off, s[0:3], s32 offset:1828
	s_waitcnt vmcnt(1)
	v_and_b32_e32 v1, 0xffff0000, v1
	s_waitcnt vmcnt(0)
	v_fmac_f32_e32 v30, v2, v1
	s_clause 0x1
	buffer_load_dword v1, off, s[0:3], s32 offset:1212
	buffer_load_dword v2, off, s[0:3], s32 offset:1832
	s_waitcnt vmcnt(1)
	v_and_b32_e32 v1, 0xffff0000, v1
	s_waitcnt vmcnt(0)
	v_fmac_f32_e32 v47, v2, v1
	s_clause 0x1
	buffer_load_dword v1, off, s[0:3], s32 offset:1204
	buffer_load_dword v2, off, s[0:3], s32 offset:1836
	s_waitcnt vmcnt(1)
	v_and_b32_e32 v1, 0xffff0000, v1
	s_waitcnt vmcnt(0)
	v_fmac_f32_e32 v48, v2, v1
	s_clause 0x1
	buffer_load_dword v1, off, s[0:3], s32 offset:1200
	buffer_load_dword v2, off, s[0:3], s32 offset:1840
	s_waitcnt vmcnt(1)
	v_and_b32_e32 v1, 0xffff0000, v1
	s_waitcnt vmcnt(0)
	v_fmac_f32_e32 v38, v2, v1
	s_clause 0x1
	buffer_load_dword v1, off, s[0:3], s32 offset:1196
	buffer_load_dword v2, off, s[0:3], s32 offset:1844
	s_waitcnt vmcnt(1)
	v_and_b32_e32 v1, 0xffff0000, v1
	s_waitcnt vmcnt(0)
	v_fmac_f32_e32 v37, v2, v1
	s_clause 0x1
	buffer_load_dword v1, off, s[0:3], s32 offset:1192
	buffer_load_dword v2, off, s[0:3], s32 offset:1848
	s_waitcnt vmcnt(1)
	v_and_b32_e32 v1, 0xffff0000, v1
	s_waitcnt vmcnt(0)
	v_fmac_f32_e32 v50, v2, v1
	s_clause 0x1
	buffer_load_dword v1, off, s[0:3], s32 offset:1208
	buffer_load_dword v2, off, s[0:3], s32 offset:1852
	s_waitcnt vmcnt(1)
	v_and_b32_e32 v1, 0xffff0000, v1
	s_waitcnt vmcnt(0)
	v_fmac_f32_e32 v88, v2, v1
	s_clause 0x1
	buffer_load_dword v1, off, s[0:3], s32 offset:1216
	buffer_load_dword v2, off, s[0:3], s32 offset:1856
	s_waitcnt vmcnt(1)
	v_and_b32_e32 v1, 0xffff0000, v1
	s_waitcnt vmcnt(0)
	v_fmac_f32_e32 v26, v2, v1
	s_clause 0x1
	buffer_load_dword v1, off, s[0:3], s32 offset:1188
	buffer_load_dword v2, off, s[0:3], s32 offset:1860
	s_waitcnt vmcnt(1)
	v_and_b32_e32 v1, 0xffff0000, v1
	s_waitcnt vmcnt(0)
	v_fmac_f32_e32 v30, v2, v1
	s_clause 0x1
	buffer_load_dword v1, off, s[0:3], s32 offset:1180
	buffer_load_dword v2, off, s[0:3], s32 offset:1864
	s_waitcnt vmcnt(1)
	v_and_b32_e32 v1, 0xffff0000, v1
	s_waitcnt vmcnt(0)
	v_fmac_f32_e32 v47, v2, v1
	s_clause 0x1
	buffer_load_dword v1, off, s[0:3], s32 offset:1172
	buffer_load_dword v2, off, s[0:3], s32 offset:1868
	s_waitcnt vmcnt(1)
	v_and_b32_e32 v1, 0xffff0000, v1
	s_waitcnt vmcnt(0)
	v_fmac_f32_e32 v48, v2, v1
	s_clause 0x1
	buffer_load_dword v1, off, s[0:3], s32 offset:1168
	buffer_load_dword v2, off, s[0:3], s32 offset:1872
	s_waitcnt vmcnt(1)
	v_and_b32_e32 v1, 0xffff0000, v1
	s_waitcnt vmcnt(0)
	v_fmac_f32_e32 v38, v2, v1
	s_clause 0x1
	buffer_load_dword v1, off, s[0:3], s32 offset:1164
	buffer_load_dword v2, off, s[0:3], s32 offset:1876
	s_waitcnt vmcnt(1)
	v_and_b32_e32 v1, 0xffff0000, v1
	s_waitcnt vmcnt(0)
	v_fmac_f32_e32 v37, v2, v1
	s_clause 0x1
	buffer_load_dword v1, off, s[0:3], s32 offset:1160
	buffer_load_dword v2, off, s[0:3], s32 offset:1880
	s_waitcnt vmcnt(1)
	v_and_b32_e32 v1, 0xffff0000, v1
	s_waitcnt vmcnt(0)
	v_fmac_f32_e32 v50, v2, v1
	s_clause 0x1
	buffer_load_dword v1, off, s[0:3], s32 offset:1176
	buffer_load_dword v2, off, s[0:3], s32 offset:1884
	s_waitcnt vmcnt(1)
	v_and_b32_e32 v1, 0xffff0000, v1
	s_waitcnt vmcnt(0)
	v_fmac_f32_e32 v88, v2, v1
	s_clause 0x1
	buffer_load_dword v1, off, s[0:3], s32 offset:1184
	buffer_load_dword v2, off, s[0:3], s32 offset:1888
	s_waitcnt vmcnt(1)
	v_and_b32_e32 v1, 0xffff0000, v1
	s_waitcnt vmcnt(0)
	v_fmac_f32_e32 v26, v2, v1
	s_clause 0x1
	buffer_load_dword v1, off, s[0:3], s32 offset:1156
	buffer_load_dword v2, off, s[0:3], s32 offset:1892
	s_waitcnt vmcnt(1)
	v_and_b32_e32 v1, 0xffff0000, v1
	s_waitcnt vmcnt(0)
	v_fmac_f32_e32 v30, v2, v1
	s_clause 0x1
	buffer_load_dword v1, off, s[0:3], s32 offset:1148
	buffer_load_dword v2, off, s[0:3], s32 offset:1896
	s_waitcnt vmcnt(1)
	v_and_b32_e32 v1, 0xffff0000, v1
	s_waitcnt vmcnt(0)
	v_fmac_f32_e32 v47, v2, v1
	s_clause 0x1
	buffer_load_dword v1, off, s[0:3], s32 offset:1140
	buffer_load_dword v2, off, s[0:3], s32 offset:1900
	s_waitcnt vmcnt(1)
	v_and_b32_e32 v1, 0xffff0000, v1
	s_waitcnt vmcnt(0)
	v_fmac_f32_e32 v48, v2, v1
	s_clause 0x1
	buffer_load_dword v1, off, s[0:3], s32 offset:1136
	buffer_load_dword v2, off, s[0:3], s32 offset:1904
	s_waitcnt vmcnt(1)
	v_and_b32_e32 v1, 0xffff0000, v1
	s_waitcnt vmcnt(0)
	v_fmac_f32_e32 v38, v2, v1
	s_clause 0x1
	buffer_load_dword v1, off, s[0:3], s32 offset:1132
	buffer_load_dword v2, off, s[0:3], s32 offset:1908
	s_waitcnt vmcnt(1)
	v_and_b32_e32 v1, 0xffff0000, v1
	s_waitcnt vmcnt(0)
	v_fmac_f32_e32 v37, v2, v1
	s_clause 0x1
	buffer_load_dword v1, off, s[0:3], s32 offset:1128
	buffer_load_dword v2, off, s[0:3], s32 offset:1912
	s_waitcnt vmcnt(1)
	v_and_b32_e32 v1, 0xffff0000, v1
	s_waitcnt vmcnt(0)
	v_fmac_f32_e32 v50, v2, v1
	s_clause 0x1
	buffer_load_dword v1, off, s[0:3], s32 offset:1144
	buffer_load_dword v2, off, s[0:3], s32 offset:1916
	s_waitcnt vmcnt(1)
	v_and_b32_e32 v1, 0xffff0000, v1
	s_waitcnt vmcnt(0)
	v_fmac_f32_e32 v88, v2, v1
	s_clause 0x1
	buffer_load_dword v1, off, s[0:3], s32 offset:1152
	buffer_load_dword v2, off, s[0:3], s32 offset:1920
	s_waitcnt vmcnt(1)
	v_and_b32_e32 v1, 0xffff0000, v1
	s_waitcnt vmcnt(0)
	v_fmac_f32_e32 v26, v2, v1
	s_clause 0x1
	buffer_load_dword v1, off, s[0:3], s32 offset:1124
	buffer_load_dword v2, off, s[0:3], s32 offset:1924
	s_waitcnt vmcnt(1)
	v_and_b32_e32 v1, 0xffff0000, v1
	s_waitcnt vmcnt(0)
	v_fmac_f32_e32 v30, v2, v1
	s_clause 0x1
	buffer_load_dword v1, off, s[0:3], s32 offset:1112
	buffer_load_dword v2, off, s[0:3], s32 offset:1928
	s_waitcnt vmcnt(1)
	v_and_b32_e32 v1, 0xffff0000, v1
	s_waitcnt vmcnt(0)
	v_fmac_f32_e32 v47, v2, v1
	s_clause 0x1
	buffer_load_dword v1, off, s[0:3], s32 offset:1104
	buffer_load_dword v2, off, s[0:3], s32 offset:1932
	s_waitcnt vmcnt(1)
	v_and_b32_e32 v1, 0xffff0000, v1
	s_waitcnt vmcnt(0)
	v_fmac_f32_e32 v48, v2, v1
	s_clause 0x1
	buffer_load_dword v1, off, s[0:3], s32 offset:1100
	buffer_load_dword v2, off, s[0:3], s32 offset:1936
	s_waitcnt vmcnt(1)
	v_and_b32_e32 v1, 0xffff0000, v1
	s_waitcnt vmcnt(0)
	v_fmac_f32_e32 v38, v2, v1
	s_clause 0x1
	buffer_load_dword v1, off, s[0:3], s32 offset:1096
	buffer_load_dword v2, off, s[0:3], s32 offset:1940
	s_waitcnt vmcnt(1)
	v_and_b32_e32 v1, 0xffff0000, v1
	s_waitcnt vmcnt(0)
	v_fmac_f32_e32 v37, v2, v1
	s_clause 0x1
	buffer_load_dword v1, off, s[0:3], s32 offset:1092
	buffer_load_dword v2, off, s[0:3], s32 offset:1944
	s_waitcnt vmcnt(1)
	v_and_b32_e32 v1, 0xffff0000, v1
	s_waitcnt vmcnt(0)
	v_fmac_f32_e32 v50, v2, v1
	s_clause 0x1
	buffer_load_dword v1, off, s[0:3], s32 offset:1108
	buffer_load_dword v2, off, s[0:3], s32 offset:1948
	s_waitcnt vmcnt(1)
	v_and_b32_e32 v1, 0xffff0000, v1
	s_waitcnt vmcnt(0)
	v_fmac_f32_e32 v88, v2, v1
	s_clause 0x1
	buffer_load_dword v1, off, s[0:3], s32 offset:1116
	buffer_load_dword v2, off, s[0:3], s32 offset:1952
	s_waitcnt vmcnt(1)
	v_and_b32_e32 v1, 0xffff0000, v1
	s_waitcnt vmcnt(0)
	v_fmac_f32_e32 v26, v2, v1
	s_clause 0x1
	buffer_load_dword v1, off, s[0:3], s32 offset:1088
	buffer_load_dword v2, off, s[0:3], s32 offset:1956
	s_waitcnt vmcnt(1)
	v_and_b32_e32 v1, 0xffff0000, v1
	s_waitcnt vmcnt(0)
	v_fmac_f32_e32 v30, v2, v1
	s_clause 0x1
	buffer_load_dword v1, off, s[0:3], s32 offset:1080
	buffer_load_dword v2, off, s[0:3], s32 offset:1960
	s_waitcnt vmcnt(1)
	v_and_b32_e32 v1, 0xffff0000, v1
	s_waitcnt vmcnt(0)
	v_fmac_f32_e32 v47, v2, v1
	s_clause 0x1
	buffer_load_dword v1, off, s[0:3], s32 offset:1072
	buffer_load_dword v2, off, s[0:3], s32 offset:1964
	s_waitcnt vmcnt(1)
	v_and_b32_e32 v1, 0xffff0000, v1
	s_waitcnt vmcnt(0)
	v_fmac_f32_e32 v48, v2, v1
	s_clause 0x1
	buffer_load_dword v1, off, s[0:3], s32 offset:1068
	buffer_load_dword v2, off, s[0:3], s32 offset:1968
	s_waitcnt vmcnt(1)
	v_and_b32_e32 v1, 0xffff0000, v1
	s_waitcnt vmcnt(0)
	v_fmac_f32_e32 v38, v2, v1
	s_clause 0x1
	buffer_load_dword v1, off, s[0:3], s32 offset:1064
	buffer_load_dword v2, off, s[0:3], s32 offset:1972
	s_waitcnt vmcnt(1)
	v_and_b32_e32 v1, 0xffff0000, v1
	s_waitcnt vmcnt(0)
	v_fmac_f32_e32 v37, v2, v1
	s_clause 0x1
	buffer_load_dword v1, off, s[0:3], s32 offset:1060
	buffer_load_dword v2, off, s[0:3], s32 offset:1976
	s_waitcnt vmcnt(1)
	v_and_b32_e32 v1, 0xffff0000, v1
	s_waitcnt vmcnt(0)
	v_fmac_f32_e32 v50, v2, v1
	s_clause 0x1
	buffer_load_dword v1, off, s[0:3], s32 offset:1076
	buffer_load_dword v2, off, s[0:3], s32 offset:1980
	s_waitcnt vmcnt(1)
	v_and_b32_e32 v1, 0xffff0000, v1
	s_waitcnt vmcnt(0)
	v_fmac_f32_e32 v88, v2, v1
	s_clause 0x1
	buffer_load_dword v1, off, s[0:3], s32 offset:1084
	buffer_load_dword v2, off, s[0:3], s32 offset:1984
	s_waitcnt vmcnt(1)
	v_and_b32_e32 v1, 0xffff0000, v1
	s_waitcnt vmcnt(0)
	v_fmac_f32_e32 v26, v2, v1
	s_clause 0x1
	buffer_load_dword v1, off, s[0:3], s32 offset:1056
	buffer_load_dword v2, off, s[0:3], s32 offset:1988
	s_waitcnt vmcnt(1)
	v_and_b32_e32 v1, 0xffff0000, v1
	s_waitcnt vmcnt(0)
	v_fmac_f32_e32 v30, v2, v1
	s_clause 0x1
	buffer_load_dword v1, off, s[0:3], s32 offset:1048
	buffer_load_dword v2, off, s[0:3], s32 offset:1992
	s_waitcnt vmcnt(1)
	v_and_b32_e32 v1, 0xffff0000, v1
	s_waitcnt vmcnt(0)
	v_fmac_f32_e32 v47, v2, v1
	s_clause 0x1
	buffer_load_dword v1, off, s[0:3], s32 offset:1036
	buffer_load_dword v2, off, s[0:3], s32 offset:1996
	s_waitcnt vmcnt(1)
	v_and_b32_e32 v1, 0xffff0000, v1
	s_waitcnt vmcnt(0)
	v_fmac_f32_e32 v48, v2, v1
	s_clause 0x1
	buffer_load_dword v1, off, s[0:3], s32 offset:1032
	buffer_load_dword v2, off, s[0:3], s32 offset:2000
	s_waitcnt vmcnt(1)
	v_and_b32_e32 v1, 0xffff0000, v1
	s_waitcnt vmcnt(0)
	v_fmac_f32_e32 v38, v2, v1
	s_clause 0x1
	buffer_load_dword v1, off, s[0:3], s32 offset:1028
	buffer_load_dword v2, off, s[0:3], s32 offset:2004
	s_waitcnt vmcnt(1)
	v_and_b32_e32 v1, 0xffff0000, v1
	s_waitcnt vmcnt(0)
	v_fmac_f32_e32 v37, v2, v1
	s_clause 0x1
	buffer_load_dword v1, off, s[0:3], s32 offset:1024
	buffer_load_dword v2, off, s[0:3], s32 offset:2008
	s_waitcnt vmcnt(1)
	v_and_b32_e32 v1, 0xffff0000, v1
	s_waitcnt vmcnt(0)
	v_fmac_f32_e32 v50, v2, v1
	s_clause 0x1
	buffer_load_dword v1, off, s[0:3], s32 offset:1044
	buffer_load_dword v2, off, s[0:3], s32 offset:2012
	s_waitcnt vmcnt(1)
	v_and_b32_e32 v1, 0xffff0000, v1
	s_waitcnt vmcnt(0)
	v_fmac_f32_e32 v88, v2, v1
	s_clause 0x1
	buffer_load_dword v1, off, s[0:3], s32 offset:1052
	buffer_load_dword v2, off, s[0:3], s32 offset:2016
	s_waitcnt vmcnt(1)
	v_and_b32_e32 v1, 0xffff0000, v1
	s_waitcnt vmcnt(0)
	v_fmac_f32_e32 v26, v2, v1
	s_clause 0x1
	buffer_load_dword v1, off, s[0:3], s32 offset:1020
	buffer_load_dword v2, off, s[0:3], s32 offset:2020
	s_waitcnt vmcnt(1)
	v_and_b32_e32 v1, 0xffff0000, v1
	s_waitcnt vmcnt(0)
	v_fmac_f32_e32 v30, v2, v1
	s_clause 0x1
	buffer_load_dword v1, off, s[0:3], s32 offset:1012
	buffer_load_dword v2, off, s[0:3], s32 offset:2024
	s_waitcnt vmcnt(1)
	v_and_b32_e32 v1, 0xffff0000, v1
	s_waitcnt vmcnt(0)
	v_fmac_f32_e32 v47, v2, v1
	s_clause 0x1
	buffer_load_dword v1, off, s[0:3], s32 offset:1004
	buffer_load_dword v2, off, s[0:3], s32 offset:2028
	s_waitcnt vmcnt(1)
	v_and_b32_e32 v1, 0xffff0000, v1
	s_waitcnt vmcnt(0)
	v_fmac_f32_e32 v48, v2, v1
	s_clause 0x1
	buffer_load_dword v1, off, s[0:3], s32 offset:1000
	buffer_load_dword v2, off, s[0:3], s32 offset:2032
	s_waitcnt vmcnt(1)
	v_and_b32_e32 v1, 0xffff0000, v1
	s_waitcnt vmcnt(0)
	v_fmac_f32_e32 v38, v2, v1
	s_clause 0x1
	buffer_load_dword v1, off, s[0:3], s32 offset:996
	buffer_load_dword v2, off, s[0:3], s32 offset:2036
	s_waitcnt vmcnt(1)
	v_and_b32_e32 v1, 0xffff0000, v1
	s_waitcnt vmcnt(0)
	v_fmac_f32_e32 v37, v2, v1
	s_clause 0x1
	buffer_load_dword v1, off, s[0:3], s32 offset:992
	buffer_load_dword v2, off, s[0:3], s32 offset:2040
	s_waitcnt vmcnt(1)
	v_and_b32_e32 v1, 0xffff0000, v1
	s_waitcnt vmcnt(0)
	v_fmac_f32_e32 v50, v2, v1
	s_clause 0x1
	buffer_load_dword v1, off, s[0:3], s32 offset:1008
	buffer_load_dword v2, off, s[0:3], s32 offset:2044
	s_waitcnt vmcnt(1)
	v_and_b32_e32 v1, 0xffff0000, v1
	s_waitcnt vmcnt(0)
	v_fmac_f32_e32 v88, v2, v1
	s_clause 0x1
	buffer_load_dword v1, off, s[0:3], s32 offset:1016
	buffer_load_dword v2, off, s[0:3], s32 offset:2048
	s_waitcnt vmcnt(1)
	v_and_b32_e32 v1, 0xffff0000, v1
	s_waitcnt vmcnt(0)
	v_fmac_f32_e32 v26, v2, v1
	s_clause 0x1
	buffer_load_dword v1, off, s[0:3], s32 offset:984
	buffer_load_dword v2, off, s[0:3], s32 offset:2052
	s_waitcnt vmcnt(1)
	v_and_b32_e32 v1, 0xffff0000, v1
	s_waitcnt vmcnt(0)
	v_fmac_f32_e32 v30, v2, v1
	s_clause 0x1
	buffer_load_dword v1, off, s[0:3], s32 offset:976
	buffer_load_dword v2, off, s[0:3], s32 offset:2056
	s_waitcnt vmcnt(1)
	v_and_b32_e32 v1, 0xffff0000, v1
	s_waitcnt vmcnt(0)
	v_fmac_f32_e32 v47, v2, v1
	s_clause 0x1
	buffer_load_dword v1, off, s[0:3], s32 offset:968
	buffer_load_dword v2, off, s[0:3], s32 offset:2060
	s_waitcnt vmcnt(1)
	v_and_b32_e32 v1, 0xffff0000, v1
	s_waitcnt vmcnt(0)
	v_fmac_f32_e32 v48, v2, v1
	s_clause 0x1
	buffer_load_dword v1, off, s[0:3], s32 offset:964
	buffer_load_dword v2, off, s[0:3], s32 offset:2064
	s_waitcnt vmcnt(1)
	v_and_b32_e32 v1, 0xffff0000, v1
	s_waitcnt vmcnt(0)
	v_fmac_f32_e32 v38, v2, v1
	s_clause 0x1
	buffer_load_dword v1, off, s[0:3], s32 offset:960
	buffer_load_dword v2, off, s[0:3], s32 offset:2068
	s_waitcnt vmcnt(1)
	v_and_b32_e32 v1, 0xffff0000, v1
	s_waitcnt vmcnt(0)
	v_fmac_f32_e32 v37, v2, v1
	s_clause 0x1
	buffer_load_dword v1, off, s[0:3], s32 offset:956
	buffer_load_dword v2, off, s[0:3], s32 offset:2072
	s_waitcnt vmcnt(1)
	v_and_b32_e32 v1, 0xffff0000, v1
	s_waitcnt vmcnt(0)
	v_fmac_f32_e32 v50, v2, v1
	s_clause 0x1
	buffer_load_dword v1, off, s[0:3], s32 offset:972
	buffer_load_dword v2, off, s[0:3], s32 offset:2076
	s_waitcnt vmcnt(1)
	v_and_b32_e32 v1, 0xffff0000, v1
	s_waitcnt vmcnt(0)
	v_fmac_f32_e32 v88, v2, v1
	s_clause 0x1
	buffer_load_dword v1, off, s[0:3], s32 offset:980
	buffer_load_dword v2, off, s[0:3], s32 offset:2080
	s_waitcnt vmcnt(1)
	v_and_b32_e32 v1, 0xffff0000, v1
	s_waitcnt vmcnt(0)
	v_fmac_f32_e32 v26, v2, v1
	s_clause 0x1
	buffer_load_dword v1, off, s[0:3], s32 offset:952
	buffer_load_dword v2, off, s[0:3], s32 offset:2084
	s_waitcnt vmcnt(1)
	v_and_b32_e32 v1, 0xffff0000, v1
	s_waitcnt vmcnt(0)
	v_fmac_f32_e32 v30, v2, v1
	s_clause 0x1
	buffer_load_dword v1, off, s[0:3], s32 offset:944
	buffer_load_dword v2, off, s[0:3], s32 offset:2088
	s_waitcnt vmcnt(1)
	v_and_b32_e32 v1, 0xffff0000, v1
	s_waitcnt vmcnt(0)
	v_fmac_f32_e32 v47, v2, v1
	s_clause 0x1
	buffer_load_dword v1, off, s[0:3], s32 offset:936
	buffer_load_dword v2, off, s[0:3], s32 offset:2092
	s_waitcnt vmcnt(1)
	v_and_b32_e32 v1, 0xffff0000, v1
	s_waitcnt vmcnt(0)
	v_fmac_f32_e32 v48, v2, v1
	s_clause 0x1
	buffer_load_dword v1, off, s[0:3], s32 offset:932
	buffer_load_dword v2, off, s[0:3], s32 offset:2096
	s_waitcnt vmcnt(1)
	v_and_b32_e32 v1, 0xffff0000, v1
	s_waitcnt vmcnt(0)
	v_fmac_f32_e32 v38, v2, v1
	s_clause 0x1
	buffer_load_dword v1, off, s[0:3], s32 offset:928
	buffer_load_dword v2, off, s[0:3], s32 offset:2100
	s_waitcnt vmcnt(1)
	v_and_b32_e32 v1, 0xffff0000, v1
	s_waitcnt vmcnt(0)
	v_fmac_f32_e32 v37, v2, v1
	s_clause 0x1
	buffer_load_dword v1, off, s[0:3], s32 offset:924
	buffer_load_dword v2, off, s[0:3], s32 offset:2104
	s_waitcnt vmcnt(1)
	v_and_b32_e32 v1, 0xffff0000, v1
	s_waitcnt vmcnt(0)
	v_fmac_f32_e32 v50, v2, v1
	s_clause 0x1
	buffer_load_dword v1, off, s[0:3], s32 offset:940
	buffer_load_dword v2, off, s[0:3], s32 offset:2108
	s_waitcnt vmcnt(1)
	v_and_b32_e32 v1, 0xffff0000, v1
	s_waitcnt vmcnt(0)
	v_fmac_f32_e32 v88, v2, v1
	s_clause 0x1
	buffer_load_dword v1, off, s[0:3], s32 offset:948
	buffer_load_dword v2, off, s[0:3], s32 offset:2112
	s_waitcnt vmcnt(1)
	v_and_b32_e32 v1, 0xffff0000, v1
	s_waitcnt vmcnt(0)
	v_fmac_f32_e32 v26, v2, v1
	s_clause 0x1
	buffer_load_dword v1, off, s[0:3], s32 offset:920
	buffer_load_dword v2, off, s[0:3], s32 offset:2116
	s_waitcnt vmcnt(1)
	v_and_b32_e32 v1, 0xffff0000, v1
	s_waitcnt vmcnt(0)
	v_fmac_f32_e32 v30, v2, v1
	s_clause 0x1
	buffer_load_dword v1, off, s[0:3], s32 offset:912
	buffer_load_dword v2, off, s[0:3], s32 offset:2120
	s_waitcnt vmcnt(1)
	v_and_b32_e32 v1, 0xffff0000, v1
	s_waitcnt vmcnt(0)
	v_fmac_f32_e32 v47, v2, v1
	s_clause 0x1
	buffer_load_dword v1, off, s[0:3], s32 offset:904
	buffer_load_dword v2, off, s[0:3], s32 offset:2124
	s_waitcnt vmcnt(1)
	v_and_b32_e32 v1, 0xffff0000, v1
	s_waitcnt vmcnt(0)
	v_fmac_f32_e32 v48, v2, v1
	s_clause 0x1
	buffer_load_dword v1, off, s[0:3], s32 offset:900
	buffer_load_dword v2, off, s[0:3], s32 offset:2128
	s_waitcnt vmcnt(1)
	v_and_b32_e32 v1, 0xffff0000, v1
	s_waitcnt vmcnt(0)
	v_fmac_f32_e32 v38, v2, v1
	s_clause 0x1
	buffer_load_dword v1, off, s[0:3], s32 offset:896
	buffer_load_dword v2, off, s[0:3], s32 offset:2132
	s_waitcnt vmcnt(1)
	v_and_b32_e32 v1, 0xffff0000, v1
	s_waitcnt vmcnt(0)
	v_fmac_f32_e32 v37, v2, v1
	s_clause 0x1
	buffer_load_dword v1, off, s[0:3], s32 offset:892
	buffer_load_dword v2, off, s[0:3], s32 offset:2136
	s_waitcnt vmcnt(1)
	v_and_b32_e32 v1, 0xffff0000, v1
	s_waitcnt vmcnt(0)
	v_fmac_f32_e32 v50, v2, v1
	s_clause 0x1
	buffer_load_dword v1, off, s[0:3], s32 offset:908
	buffer_load_dword v2, off, s[0:3], s32 offset:2140
	s_waitcnt vmcnt(1)
	v_and_b32_e32 v1, 0xffff0000, v1
	s_waitcnt vmcnt(0)
	v_fmac_f32_e32 v88, v2, v1
	s_clause 0x1
	buffer_load_dword v1, off, s[0:3], s32 offset:916
	buffer_load_dword v2, off, s[0:3], s32 offset:2144
	s_waitcnt vmcnt(1)
	v_and_b32_e32 v1, 0xffff0000, v1
	s_waitcnt vmcnt(0)
	v_fmac_f32_e32 v26, v2, v1
	s_clause 0x1
	buffer_load_dword v1, off, s[0:3], s32 offset:888
	buffer_load_dword v2, off, s[0:3], s32 offset:2148
	s_waitcnt vmcnt(1)
	v_and_b32_e32 v1, 0xffff0000, v1
	s_waitcnt vmcnt(0)
	v_fmac_f32_e32 v30, v2, v1
	s_clause 0x1
	buffer_load_dword v1, off, s[0:3], s32 offset:880
	buffer_load_dword v2, off, s[0:3], s32 offset:2152
	s_waitcnt vmcnt(1)
	v_and_b32_e32 v1, 0xffff0000, v1
	s_waitcnt vmcnt(0)
	v_fmac_f32_e32 v47, v2, v1
	s_clause 0x1
	buffer_load_dword v1, off, s[0:3], s32 offset:872
	buffer_load_dword v2, off, s[0:3], s32 offset:2156
	s_waitcnt vmcnt(1)
	v_and_b32_e32 v1, 0xffff0000, v1
	s_waitcnt vmcnt(0)
	v_fmac_f32_e32 v48, v2, v1
	s_clause 0x1
	buffer_load_dword v1, off, s[0:3], s32 offset:868
	buffer_load_dword v2, off, s[0:3], s32 offset:2160
	s_waitcnt vmcnt(1)
	v_and_b32_e32 v1, 0xffff0000, v1
	s_waitcnt vmcnt(0)
	v_fmac_f32_e32 v38, v2, v1
	s_clause 0x1
	buffer_load_dword v1, off, s[0:3], s32 offset:864
	buffer_load_dword v2, off, s[0:3], s32 offset:2164
	s_waitcnt vmcnt(1)
	v_and_b32_e32 v1, 0xffff0000, v1
	s_waitcnt vmcnt(0)
	v_fmac_f32_e32 v37, v2, v1
	s_clause 0x1
	buffer_load_dword v1, off, s[0:3], s32 offset:856
	buffer_load_dword v2, off, s[0:3], s32 offset:2168
	s_waitcnt vmcnt(1)
	v_and_b32_e32 v1, 0xffff0000, v1
	s_waitcnt vmcnt(0)
	v_fmac_f32_e32 v50, v2, v1
	s_clause 0x1
	buffer_load_dword v1, off, s[0:3], s32 offset:876
	buffer_load_dword v2, off, s[0:3], s32 offset:2172
	s_waitcnt vmcnt(1)
	v_and_b32_e32 v1, 0xffff0000, v1
	s_waitcnt vmcnt(0)
	v_fmac_f32_e32 v88, v2, v1
	s_clause 0x1
	buffer_load_dword v1, off, s[0:3], s32 offset:884
	buffer_load_dword v2, off, s[0:3], s32 offset:2176
	s_waitcnt vmcnt(1)
	v_and_b32_e32 v1, 0xffff0000, v1
	s_waitcnt vmcnt(0)
	v_fmac_f32_e32 v26, v2, v1
	s_clause 0x1
	buffer_load_dword v1, off, s[0:3], s32 offset:852
	buffer_load_dword v2, off, s[0:3], s32 offset:2180
	s_waitcnt vmcnt(1)
	v_and_b32_e32 v1, 0xffff0000, v1
	s_waitcnt vmcnt(0)
	v_fmac_f32_e32 v30, v2, v1
	s_clause 0x1
	buffer_load_dword v1, off, s[0:3], s32 offset:828
	buffer_load_dword v2, off, s[0:3], s32 offset:2184
	s_waitcnt vmcnt(1)
	v_and_b32_e32 v1, 0xffff0000, v1
	s_waitcnt vmcnt(0)
	v_fmac_f32_e32 v47, v2, v1
	s_clause 0x1
	buffer_load_dword v1, off, s[0:3], s32 offset:820
	buffer_load_dword v2, off, s[0:3], s32 offset:2188
	s_waitcnt vmcnt(1)
	v_and_b32_e32 v1, 0xffff0000, v1
	s_waitcnt vmcnt(0)
	v_fmac_f32_e32 v48, v2, v1
	s_clause 0x1
	buffer_load_dword v1, off, s[0:3], s32 offset:816
	buffer_load_dword v2, off, s[0:3], s32 offset:2192
	s_waitcnt vmcnt(1)
	v_and_b32_e32 v1, 0xffff0000, v1
	s_waitcnt vmcnt(0)
	v_fmac_f32_e32 v38, v2, v1
	s_clause 0x1
	buffer_load_dword v1, off, s[0:3], s32 offset:812
	buffer_load_dword v2, off, s[0:3], s32 offset:2196
	s_waitcnt vmcnt(1)
	v_and_b32_e32 v1, 0xffff0000, v1
	s_waitcnt vmcnt(0)
	v_fmac_f32_e32 v37, v2, v1
	s_clause 0x1
	buffer_load_dword v1, off, s[0:3], s32 offset:808
	buffer_load_dword v2, off, s[0:3], s32 offset:2200
	s_waitcnt vmcnt(1)
	v_and_b32_e32 v1, 0xffff0000, v1
	s_waitcnt vmcnt(0)
	v_fmac_f32_e32 v50, v2, v1
	s_clause 0x1
	buffer_load_dword v1, off, s[0:3], s32 offset:824
	buffer_load_dword v2, off, s[0:3], s32 offset:2204
	s_waitcnt vmcnt(1)
	v_and_b32_e32 v1, 0xffff0000, v1
	s_waitcnt vmcnt(0)
	v_fmac_f32_e32 v88, v2, v1
	s_clause 0x1
	buffer_load_dword v1, off, s[0:3], s32 offset:848
	buffer_load_dword v2, off, s[0:3], s32 offset:2208
	s_waitcnt vmcnt(1)
	v_and_b32_e32 v1, 0xffff0000, v1
	s_waitcnt vmcnt(0)
	v_fmac_f32_e32 v26, v2, v1
	s_clause 0x1
	buffer_load_dword v1, off, s[0:3], s32 offset:804
	buffer_load_dword v2, off, s[0:3], s32 offset:2212
	s_waitcnt vmcnt(1)
	v_and_b32_e32 v1, 0xffff0000, v1
	s_waitcnt vmcnt(0)
	v_fmac_f32_e32 v30, v2, v1
	s_clause 0x1
	buffer_load_dword v1, off, s[0:3], s32 offset:796
	buffer_load_dword v2, off, s[0:3], s32 offset:2216
	s_waitcnt vmcnt(1)
	v_and_b32_e32 v1, 0xffff0000, v1
	s_waitcnt vmcnt(0)
	v_fmac_f32_e32 v47, v2, v1
	s_clause 0x1
	buffer_load_dword v1, off, s[0:3], s32 offset:788
	buffer_load_dword v2, off, s[0:3], s32 offset:2220
	s_waitcnt vmcnt(1)
	v_and_b32_e32 v1, 0xffff0000, v1
	s_waitcnt vmcnt(0)
	v_fmac_f32_e32 v48, v2, v1
	s_clause 0x1
	buffer_load_dword v1, off, s[0:3], s32 offset:784
	buffer_load_dword v2, off, s[0:3], s32 offset:2224
	s_waitcnt vmcnt(1)
	v_and_b32_e32 v1, 0xffff0000, v1
	s_waitcnt vmcnt(0)
	v_fmac_f32_e32 v38, v2, v1
	s_clause 0x1
	buffer_load_dword v1, off, s[0:3], s32 offset:780
	buffer_load_dword v2, off, s[0:3], s32 offset:2228
	s_waitcnt vmcnt(1)
	v_and_b32_e32 v1, 0xffff0000, v1
	s_waitcnt vmcnt(0)
	v_fmac_f32_e32 v37, v2, v1
	s_clause 0x1
	buffer_load_dword v1, off, s[0:3], s32 offset:776
	buffer_load_dword v2, off, s[0:3], s32 offset:2232
	s_waitcnt vmcnt(1)
	v_and_b32_e32 v1, 0xffff0000, v1
	s_waitcnt vmcnt(0)
	v_fmac_f32_e32 v50, v2, v1
	s_clause 0x1
	buffer_load_dword v1, off, s[0:3], s32 offset:792
	buffer_load_dword v2, off, s[0:3], s32 offset:2236
	s_waitcnt vmcnt(1)
	v_and_b32_e32 v1, 0xffff0000, v1
	s_waitcnt vmcnt(0)
	v_fmac_f32_e32 v88, v2, v1
	s_clause 0x1
	buffer_load_dword v1, off, s[0:3], s32 offset:800
	buffer_load_dword v2, off, s[0:3], s32 offset:2240
	s_waitcnt vmcnt(1)
	v_and_b32_e32 v1, 0xffff0000, v1
	s_waitcnt vmcnt(0)
	v_fmac_f32_e32 v26, v2, v1
	s_clause 0x1
	buffer_load_dword v1, off, s[0:3], s32 offset:2244
	buffer_load_dword v2, off, s[0:3], s32 offset:2256
	s_waitcnt vmcnt(1)
	v_fmac_f32_e32 v30, v1, v0
	buffer_load_dword v1, off, s[0:3], s32 offset:2248 ; 4-byte Folded Reload
	v_and_b32_e32 v0, 0xffff0000, v120
	s_waitcnt vmcnt(0)
	v_fmac_f32_e32 v47, v1, v0
	buffer_load_dword v1, off, s[0:3], s32 offset:2252 ; 4-byte Folded Reload
	v_and_b32_e32 v0, 0xffff0000, v121
	s_waitcnt vmcnt(0)
	v_fmac_f32_e32 v48, v1, v0
	v_and_b32_e32 v1, 0xffff0000, v8
	v_add_f32_e32 v0, v30, v47
	v_fmac_f32_e32 v38, v2, v1
	buffer_load_dword v2, off, s[0:3], s32 offset:2260 ; 4-byte Folded Reload
	v_and_b32_e32 v1, 0xffff0000, v16
	v_add_f32_e32 v0, v0, v48
	v_add_f32_e32 v0, v38, v0
	s_waitcnt vmcnt(0)
	v_fmac_f32_e32 v37, v2, v1
	buffer_load_dword v2, off, s[0:3], s32 offset:2264 ; 4-byte Folded Reload
	v_and_b32_e32 v1, 0xffff0000, v17
	v_add_f32_e32 v0, v37, v0
	s_waitcnt vmcnt(0)
	v_fmac_f32_e32 v50, v2, v1
	buffer_load_dword v2, off, s[0:3], s32 offset:2268 ; 4-byte Folded Reload
	v_and_b32_e32 v1, 0xffff0000, v51
	;; [unrolled: 5-line block ×3, first 2 shown]
	v_add_f32_e32 v0, v88, v0
	s_waitcnt vmcnt(0)
	v_fmac_f32_e32 v26, v2, v1
	buffer_load_dword v2, off, s[0:3], s32 offset:1240 ; 4-byte Folded Reload
	v_sub_nc_u32_e32 v1, 1, v124
	v_add_f32_e32 v0, v26, v0
	v_add_nc_u32_e32 v1, v1, v92
	v_add_nc_u32_e32 v92, 0x80, v92
	v_cvt_f32_i32_e32 v1, v1
	s_waitcnt vmcnt(0)
	v_mul_f32_e32 v1, v2, v1
	buffer_load_dword v2, off, s[0:3], s32 offset:1236 ; 4-byte Folded Reload
	v_cndmask_b32_e32 v1, 0, v1, vcc_lo
	s_waitcnt vmcnt(0)
	v_fmac_f32_e32 v1, v2, v0
	v_max_f32_e32 v0, v4, v4
	v_max_f32_e32 v0, v0, v1
	v_cndmask_b32_e64 v1, 0, v1, s5
	v_cndmask_b32_e64 v4, v4, v0, s5
	ds_write_b32 v90, v1
	s_clause 0x2
	buffer_load_dword v0, off, s[0:3], s32 offset:836
	buffer_load_dword v2, off, s[0:3], s32 offset:764
	buffer_load_dword v3, off, s[0:3], s32 offset:768
	v_add_nc_u32_e32 v90, 0x200, v90
	s_waitcnt vmcnt(2)
	v_cmp_ge_i32_e64 s5, v58, v0
	s_waitcnt vmcnt(1)
	v_add_co_u32 v2, s6, v2, 16
	s_waitcnt vmcnt(0)
	v_add_co_ci_u32_e64 v3, null, 0, v3, s6
	s_or_b32 s22, s5, s22
	s_andn2_b32 exec_lo, exec_lo, s22
	s_cbranch_execz .LBB399_2056
.LBB399_11:                             ; =>This Inner Loop Header: Depth=1
	buffer_store_dword v58, off, s[0:3], s32 offset:760 ; 4-byte Folded Spill
	buffer_store_dword v4, off, s[0:3], s32 offset:772 ; 4-byte Folded Spill
	;; [unrolled: 1-line block ×4, first 2 shown]
	v_mov_b32_e32 v110, v90
	v_mov_b32_e32 v125, v92
	v_mov_b32_e32 v92, 0
	flat_load_dword v0, v[2:3]
	s_clause 0x2
	buffer_load_dword v1, off, s[0:3], s32 offset:832
	buffer_load_dword v2, off, s[0:3], s32 offset:1244
	;; [unrolled: 1-line block ×3, first 2 shown]
	s_waitcnt vmcnt(0) lgkmcnt(0)
	v_mad_i64_i32 v[28:29], null, v0, v1, v[2:3]
	flat_load_dwordx2 v[30:31], v[28:29]
	s_clause 0x1
	buffer_load_dword v0, off, s[0:3], s32 offset:1228
	buffer_load_dword v1, off, s[0:3], s32 offset:1232
	s_waitcnt vmcnt(2) lgkmcnt(0)
	v_cmp_ne_u16_sdwa s5, v30, v9 src0_sel:BYTE_0 src1_sel:DWORD
	s_waitcnt vmcnt(0)
	flat_load_dword v47, v[0:1]
	s_and_saveexec_b32 s6, s5
	s_cbranch_execz .LBB399_19
; %bb.12:                               ;   in Loop: Header=BB399_11 Depth=1
	v_cmp_ne_u16_sdwa s5, v30, v41 src0_sel:BYTE_0 src1_sel:DWORD
	v_bfrev_b32_e32 v92, 1
	s_and_saveexec_b32 s17, s5
	s_cbranch_execz .LBB399_18
; %bb.13:                               ;   in Loop: Header=BB399_11 Depth=1
	v_and_b32_e32 v1, 0x7f, v30
	v_mov_b32_e32 v92, 0x7f800001
	s_mov_b32 s23, exec_lo
	v_cmpx_ne_u32_e32 0x7f, v1
	s_cbranch_execz .LBB399_17
; %bb.14:                               ;   in Loop: Header=BB399_11 Depth=1
	v_mov_b32_e32 v33, v31
	v_lshrrev_b32_e32 v0, 3, v1
	v_mov_b32_e32 v32, v30
	s_mov_b32 s24, exec_lo
	v_cmpx_gt_u32_e32 8, v1
; %bb.15:                               ;   in Loop: Header=BB399_11 Depth=1
	v_and_b32_e32 v0, 7, v30
	v_ffbh_u32_e32 v0, v0
	v_min_u32_e32 v0, 32, v0
	v_subrev_nc_u32_e32 v1, 28, v0
	v_sub_nc_u32_e32 v0, 29, v0
	v_lshlrev_b64 v[32:33], v1, v[30:31]
; %bb.16:                               ;   in Loop: Header=BB399_11 Depth=1
	s_or_b32 exec_lo, exec_lo, s24
	v_lshlrev_b32_e32 v1, 20, v32
	v_lshlrev_b32_e32 v2, 24, v30
	v_lshl_add_u32 v0, v0, 23, 0x3c000000
	v_and_b32_e32 v1, 0x700000, v1
	v_and_b32_e32 v2, 0x80000000, v2
	v_or3_b32 v92, v1, v2, v0
.LBB399_17:                             ;   in Loop: Header=BB399_11 Depth=1
	s_or_b32 exec_lo, exec_lo, s23
.LBB399_18:                             ;   in Loop: Header=BB399_11 Depth=1
	s_or_b32 exec_lo, exec_lo, s17
.LBB399_19:                             ;   in Loop: Header=BB399_11 Depth=1
	s_or_b32 exec_lo, exec_lo, s6
	v_cmp_ne_u16_sdwa s5, v30, v9 src0_sel:BYTE_1 src1_sel:DWORD
	v_mov_b32_e32 v126, 0
	v_mov_b32_e32 v58, 0
	s_and_saveexec_b32 s6, s5
	s_cbranch_execz .LBB399_27
; %bb.20:                               ;   in Loop: Header=BB399_11 Depth=1
	v_cmp_ne_u16_sdwa s5, v30, v41 src0_sel:BYTE_1 src1_sel:DWORD
	v_bfrev_b32_e32 v58, 1
	s_and_saveexec_b32 s17, s5
	s_cbranch_execz .LBB399_26
; %bb.21:                               ;   in Loop: Header=BB399_11 Depth=1
	v_mov_b32_e32 v0, 0xffff
	v_mov_b32_e32 v58, 0x7f800001
	s_mov_b32 s23, exec_lo
	v_and_b32_sdwa v0, v0, v30 dst_sel:DWORD dst_unused:UNUSED_PAD src0_sel:DWORD src1_sel:BYTE_1
	v_and_b32_e32 v1, 0x7f, v0
	v_cmpx_ne_u32_e32 0x7f, v1
	s_cbranch_execz .LBB399_25
; %bb.22:                               ;   in Loop: Header=BB399_11 Depth=1
	v_and_b32_e32 v8, 7, v0
	v_mov_b32_e32 v33, v9
	v_lshrrev_b32_e32 v0, 3, v1
	s_mov_b32 s24, exec_lo
	v_mov_b32_e32 v32, v8
	v_cmpx_gt_u32_e32 8, v1
; %bb.23:                               ;   in Loop: Header=BB399_11 Depth=1
	v_ffbh_u32_e32 v0, v8
	v_min_u32_e32 v0, 32, v0
	v_subrev_nc_u32_e32 v1, 28, v0
	v_sub_nc_u32_e32 v0, 29, v0
	v_lshlrev_b64 v[1:2], v1, v[8:9]
	v_and_b32_e32 v32, 7, v1
; %bb.24:                               ;   in Loop: Header=BB399_11 Depth=1
	s_or_b32 exec_lo, exec_lo, s24
	v_lshlrev_b32_e32 v1, 16, v30
	v_lshlrev_b32_e32 v2, 20, v32
	v_lshl_add_u32 v0, v0, 23, 0x3c000000
	v_and_b32_e32 v1, 0x80000000, v1
	v_or3_b32 v58, v2, v1, v0
.LBB399_25:                             ;   in Loop: Header=BB399_11 Depth=1
	s_or_b32 exec_lo, exec_lo, s23
.LBB399_26:                             ;   in Loop: Header=BB399_11 Depth=1
	s_or_b32 exec_lo, exec_lo, s17
.LBB399_27:                             ;   in Loop: Header=BB399_11 Depth=1
	s_or_b32 exec_lo, exec_lo, s6
	v_mov_b32_e32 v0, 0xff
	s_mov_b32 s6, exec_lo
	v_and_b32_sdwa v0, v30, v0 dst_sel:DWORD dst_unused:UNUSED_PAD src0_sel:WORD_1 src1_sel:DWORD
	v_cmpx_ne_u16_e32 0, v0
	s_cbranch_execz .LBB399_35
; %bb.28:                               ;   in Loop: Header=BB399_11 Depth=1
	v_bfrev_b32_e32 v126, 1
	s_mov_b32 s17, exec_lo
	v_cmpx_ne_u16_e32 0x80, v0
	s_cbranch_execz .LBB399_34
; %bb.29:                               ;   in Loop: Header=BB399_11 Depth=1
	v_bfe_u32 v1, v30, 16, 7
	v_mov_b32_e32 v126, 0x7f800001
	s_mov_b32 s23, exec_lo
	v_cmpx_ne_u32_e32 0x7f, v1
	s_cbranch_execz .LBB399_33
; %bb.30:                               ;   in Loop: Header=BB399_11 Depth=1
	v_mov_b32_e32 v0, 7
	s_mov_b32 s24, exec_lo
	v_and_b32_sdwa v8, v30, v0 dst_sel:DWORD dst_unused:UNUSED_PAD src0_sel:WORD_1 src1_sel:DWORD
	v_mov_b32_e32 v33, v9
	v_lshrrev_b32_e32 v0, 3, v1
	v_mov_b32_e32 v32, v8
	v_cmpx_gt_u32_e32 8, v1
; %bb.31:                               ;   in Loop: Header=BB399_11 Depth=1
	v_ffbh_u32_e32 v0, v8
	v_min_u32_e32 v0, 32, v0
	v_subrev_nc_u32_e32 v1, 28, v0
	v_sub_nc_u32_e32 v0, 29, v0
	v_lshlrev_b64 v[1:2], v1, v[8:9]
	v_and_b32_e32 v32, 7, v1
; %bb.32:                               ;   in Loop: Header=BB399_11 Depth=1
	s_or_b32 exec_lo, exec_lo, s24
	v_mov_b32_e32 v1, 24
	v_lshlrev_b32_e32 v2, 20, v32
	v_lshl_add_u32 v0, v0, 23, 0x3c000000
	v_lshlrev_b32_sdwa v1, v1, v30 dst_sel:DWORD dst_unused:UNUSED_PAD src0_sel:DWORD src1_sel:WORD_1
	v_and_b32_e32 v1, 0x80000000, v1
	v_or3_b32 v126, v2, v1, v0
.LBB399_33:                             ;   in Loop: Header=BB399_11 Depth=1
	s_or_b32 exec_lo, exec_lo, s23
.LBB399_34:                             ;   in Loop: Header=BB399_11 Depth=1
	s_or_b32 exec_lo, exec_lo, s17
.LBB399_35:                             ;   in Loop: Header=BB399_11 Depth=1
	s_or_b32 exec_lo, exec_lo, s6
	v_mov_b32_e32 v117, 0
	v_mov_b32_e32 v42, 0
	s_mov_b32 s6, exec_lo
	v_cmpx_lt_u32_e32 0xffffff, v30
	s_cbranch_execz .LBB399_43
; %bb.36:                               ;   in Loop: Header=BB399_11 Depth=1
	v_cmp_ne_u32_sdwa s5, v30, v41 src0_sel:BYTE_3 src1_sel:DWORD
	v_bfrev_b32_e32 v42, 1
	s_and_saveexec_b32 s17, s5
	s_cbranch_execz .LBB399_42
; %bb.37:                               ;   in Loop: Header=BB399_11 Depth=1
	v_bfe_u32 v1, v30, 24, 7
	v_mov_b32_e32 v42, 0x7f800001
	s_mov_b32 s23, exec_lo
	v_cmpx_ne_u32_e32 0x7f, v1
	s_cbranch_execz .LBB399_41
; %bb.38:                               ;   in Loop: Header=BB399_11 Depth=1
	v_mov_b32_e32 v0, 7
	s_mov_b32 s24, exec_lo
	v_and_b32_sdwa v8, v30, v0 dst_sel:DWORD dst_unused:UNUSED_PAD src0_sel:BYTE_3 src1_sel:DWORD
	v_mov_b32_e32 v33, v9
	v_lshrrev_b32_e32 v0, 3, v1
	v_mov_b32_e32 v32, v8
	v_cmpx_gt_u32_e32 8, v1
; %bb.39:                               ;   in Loop: Header=BB399_11 Depth=1
	v_ffbh_u32_e32 v0, v8
	v_min_u32_e32 v0, 32, v0
	v_subrev_nc_u32_e32 v1, 28, v0
	v_sub_nc_u32_e32 v0, 29, v0
	v_lshlrev_b64 v[1:2], v1, v[8:9]
	v_and_b32_e32 v32, 7, v1
; %bb.40:                               ;   in Loop: Header=BB399_11 Depth=1
	s_or_b32 exec_lo, exec_lo, s24
	v_mov_b32_e32 v1, 24
	v_lshlrev_b32_e32 v2, 20, v32
	v_lshl_add_u32 v0, v0, 23, 0x3c000000
	v_lshlrev_b32_sdwa v1, v1, v30 dst_sel:DWORD dst_unused:UNUSED_PAD src0_sel:DWORD src1_sel:BYTE_3
	v_and_b32_e32 v1, 0x80000000, v1
	v_or3_b32 v42, v2, v1, v0
.LBB399_41:                             ;   in Loop: Header=BB399_11 Depth=1
	s_or_b32 exec_lo, exec_lo, s23
.LBB399_42:                             ;   in Loop: Header=BB399_11 Depth=1
	s_or_b32 exec_lo, exec_lo, s17
.LBB399_43:                             ;   in Loop: Header=BB399_11 Depth=1
	s_or_b32 exec_lo, exec_lo, s6
	v_mov_b32_e32 v8, v31
	v_cmp_ne_u16_sdwa s5, v31, v9 src0_sel:BYTE_0 src1_sel:DWORD
	s_and_saveexec_b32 s6, s5
	s_cbranch_execz .LBB399_51
; %bb.44:                               ;   in Loop: Header=BB399_11 Depth=1
	v_cmp_ne_u16_sdwa s5, v31, v41 src0_sel:BYTE_0 src1_sel:DWORD
	v_bfrev_b32_e32 v117, 1
	s_and_saveexec_b32 s17, s5
	s_cbranch_execz .LBB399_50
; %bb.45:                               ;   in Loop: Header=BB399_11 Depth=1
	v_and_b32_e32 v1, 0x7f, v31
	v_mov_b32_e32 v117, 0x7f800001
	s_mov_b32 s23, exec_lo
	v_cmpx_ne_u32_e32 0x7f, v1
	s_cbranch_execz .LBB399_49
; %bb.46:                               ;   in Loop: Header=BB399_11 Depth=1
	v_mov_b32_e32 v33, v9
	v_lshrrev_b32_e32 v0, 3, v1
	v_mov_b32_e32 v32, v8
	s_mov_b32 s24, exec_lo
	v_cmpx_gt_u32_e32 8, v1
; %bb.47:                               ;   in Loop: Header=BB399_11 Depth=1
	v_and_b32_e32 v0, 7, v31
	v_ffbh_u32_e32 v0, v0
	v_min_u32_e32 v0, 32, v0
	v_subrev_nc_u32_e32 v1, 28, v0
	v_sub_nc_u32_e32 v0, 29, v0
	v_lshlrev_b64 v[32:33], v1, v[8:9]
; %bb.48:                               ;   in Loop: Header=BB399_11 Depth=1
	s_or_b32 exec_lo, exec_lo, s24
	v_lshlrev_b32_e32 v1, 20, v32
	v_lshlrev_b32_e32 v2, 24, v8
	v_lshl_add_u32 v0, v0, 23, 0x3c000000
	v_and_b32_e32 v1, 0x700000, v1
	v_and_b32_e32 v2, 0x80000000, v2
	v_or3_b32 v117, v1, v2, v0
.LBB399_49:                             ;   in Loop: Header=BB399_11 Depth=1
	s_or_b32 exec_lo, exec_lo, s23
.LBB399_50:                             ;   in Loop: Header=BB399_11 Depth=1
	s_or_b32 exec_lo, exec_lo, s17
.LBB399_51:                             ;   in Loop: Header=BB399_11 Depth=1
	s_or_b32 exec_lo, exec_lo, s6
	v_mov_b32_e32 v0, 0
	v_cmp_ne_u16_sdwa s5, v8, v9 src0_sel:BYTE_1 src1_sel:DWORD
	buffer_store_dword v0, off, s[0:3], s32 offset:192 ; 4-byte Folded Spill
	v_mov_b32_e32 v0, 0
	buffer_store_dword v0, off, s[0:3], s32 offset:196 ; 4-byte Folded Spill
	s_and_saveexec_b32 s6, s5
	s_cbranch_execz .LBB399_59
; %bb.52:                               ;   in Loop: Header=BB399_11 Depth=1
	v_cmp_ne_u16_sdwa s5, v8, v41 src0_sel:BYTE_1 src1_sel:DWORD
	v_bfrev_b32_e32 v0, 1
	buffer_store_dword v0, off, s[0:3], s32 offset:196 ; 4-byte Folded Spill
	s_and_saveexec_b32 s17, s5
	s_cbranch_execz .LBB399_58
; %bb.53:                               ;   in Loop: Header=BB399_11 Depth=1
	v_mov_b32_e32 v0, 0xffff
	v_mov_b32_e32 v2, 0x7f800001
	s_mov_b32 s23, exec_lo
	v_and_b32_sdwa v0, v0, v8 dst_sel:DWORD dst_unused:UNUSED_PAD src0_sel:DWORD src1_sel:BYTE_1
	buffer_store_dword v2, off, s[0:3], s32 offset:196 ; 4-byte Folded Spill
	v_and_b32_e32 v1, 0x7f, v0
	v_cmpx_ne_u32_e32 0x7f, v1
	s_cbranch_execz .LBB399_57
; %bb.54:                               ;   in Loop: Header=BB399_11 Depth=1
	v_and_b32_e32 v32, 7, v0
	v_mov_b32_e32 v33, v9
	v_lshrrev_b32_e32 v0, 3, v1
	s_mov_b32 s24, exec_lo
	v_cmpx_gt_u32_e32 8, v1
; %bb.55:                               ;   in Loop: Header=BB399_11 Depth=1
	v_ffbh_u32_e32 v0, v32
	v_min_u32_e32 v0, 32, v0
	v_subrev_nc_u32_e32 v1, 28, v0
	v_sub_nc_u32_e32 v0, 29, v0
	v_lshlrev_b64 v[1:2], v1, v[32:33]
	v_and_b32_e32 v32, 7, v1
; %bb.56:                               ;   in Loop: Header=BB399_11 Depth=1
	s_or_b32 exec_lo, exec_lo, s24
	v_lshlrev_b32_e32 v1, 16, v8
	v_lshlrev_b32_e32 v2, 20, v32
	v_lshl_add_u32 v0, v0, 23, 0x3c000000
	v_and_b32_e32 v1, 0x80000000, v1
	v_or3_b32 v0, v2, v1, v0
	buffer_store_dword v0, off, s[0:3], s32 offset:196 ; 4-byte Folded Spill
.LBB399_57:                             ;   in Loop: Header=BB399_11 Depth=1
	s_or_b32 exec_lo, exec_lo, s23
.LBB399_58:                             ;   in Loop: Header=BB399_11 Depth=1
	s_or_b32 exec_lo, exec_lo, s17
.LBB399_59:                             ;   in Loop: Header=BB399_11 Depth=1
	s_or_b32 exec_lo, exec_lo, s6
	v_mov_b32_e32 v0, 0xff
	s_mov_b32 s6, exec_lo
	v_and_b32_sdwa v0, v31, v0 dst_sel:DWORD dst_unused:UNUSED_PAD src0_sel:WORD_1 src1_sel:DWORD
	v_cmpx_ne_u16_e32 0, v0
	s_cbranch_execz .LBB399_67
; %bb.60:                               ;   in Loop: Header=BB399_11 Depth=1
	v_cmp_ne_u16_e64 s5, 0x80, v0
	v_bfrev_b32_e32 v0, 1
	buffer_store_dword v0, off, s[0:3], s32 offset:192 ; 4-byte Folded Spill
	s_and_saveexec_b32 s17, s5
	s_cbranch_execz .LBB399_66
; %bb.61:                               ;   in Loop: Header=BB399_11 Depth=1
	v_bfe_u32 v1, v31, 16, 7
	v_mov_b32_e32 v0, 0x7f800001
	s_mov_b32 s23, exec_lo
	buffer_store_dword v0, off, s[0:3], s32 offset:192 ; 4-byte Folded Spill
	v_cmpx_ne_u32_e32 0x7f, v1
	s_cbranch_execz .LBB399_65
; %bb.62:                               ;   in Loop: Header=BB399_11 Depth=1
	v_mov_b32_e32 v0, 7
	s_mov_b32 s24, exec_lo
	v_and_b32_sdwa v8, v31, v0 dst_sel:DWORD dst_unused:UNUSED_PAD src0_sel:WORD_1 src1_sel:DWORD
	v_mov_b32_e32 v33, v9
	v_lshrrev_b32_e32 v0, 3, v1
	v_mov_b32_e32 v32, v8
	v_cmpx_gt_u32_e32 8, v1
; %bb.63:                               ;   in Loop: Header=BB399_11 Depth=1
	v_ffbh_u32_e32 v0, v8
	v_min_u32_e32 v0, 32, v0
	v_subrev_nc_u32_e32 v1, 28, v0
	v_sub_nc_u32_e32 v0, 29, v0
	v_lshlrev_b64 v[1:2], v1, v[8:9]
	v_and_b32_e32 v32, 7, v1
; %bb.64:                               ;   in Loop: Header=BB399_11 Depth=1
	s_or_b32 exec_lo, exec_lo, s24
	v_mov_b32_e32 v1, 24
	v_lshlrev_b32_e32 v2, 20, v32
	v_lshl_add_u32 v0, v0, 23, 0x3c000000
	v_lshlrev_b32_sdwa v1, v1, v31 dst_sel:DWORD dst_unused:UNUSED_PAD src0_sel:DWORD src1_sel:WORD_1
	v_and_b32_e32 v1, 0x80000000, v1
	v_or3_b32 v0, v2, v1, v0
	buffer_store_dword v0, off, s[0:3], s32 offset:192 ; 4-byte Folded Spill
.LBB399_65:                             ;   in Loop: Header=BB399_11 Depth=1
	s_or_b32 exec_lo, exec_lo, s23
.LBB399_66:                             ;   in Loop: Header=BB399_11 Depth=1
	s_or_b32 exec_lo, exec_lo, s17
.LBB399_67:                             ;   in Loop: Header=BB399_11 Depth=1
	s_or_b32 exec_lo, exec_lo, s6
	v_mov_b32_e32 v0, 0
	s_mov_b32 s6, exec_lo
	buffer_store_dword v0, off, s[0:3], s32 offset:204 ; 4-byte Folded Spill
	v_mov_b32_e32 v0, 0
	buffer_store_dword v0, off, s[0:3], s32 offset:200 ; 4-byte Folded Spill
	v_cmpx_lt_u64_e64 s[8:9], v[30:31]
	s_cbranch_execz .LBB399_75
; %bb.68:                               ;   in Loop: Header=BB399_11 Depth=1
	v_cmp_ne_u32_sdwa s5, v31, v41 src0_sel:BYTE_3 src1_sel:DWORD
	v_bfrev_b32_e32 v0, 1
	buffer_store_dword v0, off, s[0:3], s32 offset:200 ; 4-byte Folded Spill
	s_and_saveexec_b32 s17, s5
	s_cbranch_execz .LBB399_74
; %bb.69:                               ;   in Loop: Header=BB399_11 Depth=1
	v_bfe_u32 v1, v31, 24, 7
	v_mov_b32_e32 v0, 0x7f800001
	s_mov_b32 s23, exec_lo
	buffer_store_dword v0, off, s[0:3], s32 offset:200 ; 4-byte Folded Spill
	v_cmpx_ne_u32_e32 0x7f, v1
	s_cbranch_execz .LBB399_73
; %bb.70:                               ;   in Loop: Header=BB399_11 Depth=1
	v_mov_b32_e32 v0, 7
	s_mov_b32 s24, exec_lo
	v_and_b32_sdwa v8, v31, v0 dst_sel:DWORD dst_unused:UNUSED_PAD src0_sel:BYTE_3 src1_sel:DWORD
	v_mov_b32_e32 v33, v9
	v_lshrrev_b32_e32 v0, 3, v1
	v_mov_b32_e32 v32, v8
	v_cmpx_gt_u32_e32 8, v1
; %bb.71:                               ;   in Loop: Header=BB399_11 Depth=1
	v_ffbh_u32_e32 v0, v8
	v_min_u32_e32 v0, 32, v0
	v_subrev_nc_u32_e32 v1, 28, v0
	v_sub_nc_u32_e32 v0, 29, v0
	v_lshlrev_b64 v[1:2], v1, v[8:9]
	v_and_b32_e32 v32, 7, v1
; %bb.72:                               ;   in Loop: Header=BB399_11 Depth=1
	s_or_b32 exec_lo, exec_lo, s24
	v_mov_b32_e32 v1, 24
	v_lshlrev_b32_e32 v2, 20, v32
	v_lshl_add_u32 v0, v0, 23, 0x3c000000
	v_lshlrev_b32_sdwa v1, v1, v31 dst_sel:DWORD dst_unused:UNUSED_PAD src0_sel:DWORD src1_sel:BYTE_3
	v_and_b32_e32 v1, 0x80000000, v1
	v_or3_b32 v0, v2, v1, v0
	buffer_store_dword v0, off, s[0:3], s32 offset:200 ; 4-byte Folded Spill
.LBB399_73:                             ;   in Loop: Header=BB399_11 Depth=1
	s_or_b32 exec_lo, exec_lo, s23
.LBB399_74:                             ;   in Loop: Header=BB399_11 Depth=1
	s_or_b32 exec_lo, exec_lo, s17
.LBB399_75:                             ;   in Loop: Header=BB399_11 Depth=1
	s_or_b32 exec_lo, exec_lo, s6
	flat_load_dwordx2 v[30:31], v[28:29] offset:8
	s_waitcnt vmcnt(0) lgkmcnt(0)
	v_cmp_ne_u16_sdwa s5, v30, v9 src0_sel:BYTE_0 src1_sel:DWORD
	s_and_saveexec_b32 s6, s5
	s_cbranch_execz .LBB399_83
; %bb.76:                               ;   in Loop: Header=BB399_11 Depth=1
	v_cmp_ne_u16_sdwa s5, v30, v41 src0_sel:BYTE_0 src1_sel:DWORD
	v_bfrev_b32_e32 v0, 1
	buffer_store_dword v0, off, s[0:3], s32 offset:204 ; 4-byte Folded Spill
	s_and_saveexec_b32 s17, s5
	s_cbranch_execz .LBB399_82
; %bb.77:                               ;   in Loop: Header=BB399_11 Depth=1
	v_and_b32_e32 v1, 0x7f, v30
	v_mov_b32_e32 v0, 0x7f800001
	s_mov_b32 s23, exec_lo
	buffer_store_dword v0, off, s[0:3], s32 offset:204 ; 4-byte Folded Spill
	v_cmpx_ne_u32_e32 0x7f, v1
	s_cbranch_execz .LBB399_81
; %bb.78:                               ;   in Loop: Header=BB399_11 Depth=1
	v_mov_b32_e32 v33, v31
	v_lshrrev_b32_e32 v0, 3, v1
	v_mov_b32_e32 v32, v30
	s_mov_b32 s24, exec_lo
	v_cmpx_gt_u32_e32 8, v1
; %bb.79:                               ;   in Loop: Header=BB399_11 Depth=1
	v_and_b32_e32 v0, 7, v30
	v_ffbh_u32_e32 v0, v0
	v_min_u32_e32 v0, 32, v0
	v_subrev_nc_u32_e32 v1, 28, v0
	v_sub_nc_u32_e32 v0, 29, v0
	v_lshlrev_b64 v[32:33], v1, v[30:31]
; %bb.80:                               ;   in Loop: Header=BB399_11 Depth=1
	s_or_b32 exec_lo, exec_lo, s24
	v_lshlrev_b32_e32 v1, 20, v32
	v_lshlrev_b32_e32 v2, 24, v30
	v_lshl_add_u32 v0, v0, 23, 0x3c000000
	v_and_b32_e32 v1, 0x700000, v1
	v_and_b32_e32 v2, 0x80000000, v2
	v_or3_b32 v0, v1, v2, v0
	buffer_store_dword v0, off, s[0:3], s32 offset:204 ; 4-byte Folded Spill
.LBB399_81:                             ;   in Loop: Header=BB399_11 Depth=1
	s_or_b32 exec_lo, exec_lo, s23
.LBB399_82:                             ;   in Loop: Header=BB399_11 Depth=1
	s_or_b32 exec_lo, exec_lo, s17
.LBB399_83:                             ;   in Loop: Header=BB399_11 Depth=1
	s_or_b32 exec_lo, exec_lo, s6
	v_mov_b32_e32 v0, 0
	v_cmp_ne_u16_sdwa s5, v30, v9 src0_sel:BYTE_1 src1_sel:DWORD
	buffer_store_dword v0, off, s[0:3], s32 offset:212 ; 4-byte Folded Spill
	v_mov_b32_e32 v0, 0
	buffer_store_dword v0, off, s[0:3], s32 offset:208 ; 4-byte Folded Spill
	s_and_saveexec_b32 s6, s5
	s_cbranch_execz .LBB399_91
; %bb.84:                               ;   in Loop: Header=BB399_11 Depth=1
	v_cmp_ne_u16_sdwa s5, v30, v41 src0_sel:BYTE_1 src1_sel:DWORD
	v_bfrev_b32_e32 v0, 1
	buffer_store_dword v0, off, s[0:3], s32 offset:208 ; 4-byte Folded Spill
	s_and_saveexec_b32 s17, s5
	s_cbranch_execz .LBB399_90
; %bb.85:                               ;   in Loop: Header=BB399_11 Depth=1
	v_mov_b32_e32 v0, 0xffff
	v_mov_b32_e32 v2, 0x7f800001
	s_mov_b32 s23, exec_lo
	v_and_b32_sdwa v0, v0, v30 dst_sel:DWORD dst_unused:UNUSED_PAD src0_sel:DWORD src1_sel:BYTE_1
	buffer_store_dword v2, off, s[0:3], s32 offset:208 ; 4-byte Folded Spill
	v_and_b32_e32 v1, 0x7f, v0
	v_cmpx_ne_u32_e32 0x7f, v1
	s_cbranch_execz .LBB399_89
; %bb.86:                               ;   in Loop: Header=BB399_11 Depth=1
	v_and_b32_e32 v8, 7, v0
	v_mov_b32_e32 v33, v9
	v_lshrrev_b32_e32 v0, 3, v1
	s_mov_b32 s24, exec_lo
	v_mov_b32_e32 v32, v8
	v_cmpx_gt_u32_e32 8, v1
; %bb.87:                               ;   in Loop: Header=BB399_11 Depth=1
	v_ffbh_u32_e32 v0, v8
	v_min_u32_e32 v0, 32, v0
	v_subrev_nc_u32_e32 v1, 28, v0
	v_sub_nc_u32_e32 v0, 29, v0
	v_lshlrev_b64 v[1:2], v1, v[8:9]
	v_and_b32_e32 v32, 7, v1
; %bb.88:                               ;   in Loop: Header=BB399_11 Depth=1
	s_or_b32 exec_lo, exec_lo, s24
	v_lshlrev_b32_e32 v1, 16, v30
	v_lshlrev_b32_e32 v2, 20, v32
	v_lshl_add_u32 v0, v0, 23, 0x3c000000
	v_and_b32_e32 v1, 0x80000000, v1
	v_or3_b32 v0, v2, v1, v0
	buffer_store_dword v0, off, s[0:3], s32 offset:208 ; 4-byte Folded Spill
.LBB399_89:                             ;   in Loop: Header=BB399_11 Depth=1
	s_or_b32 exec_lo, exec_lo, s23
.LBB399_90:                             ;   in Loop: Header=BB399_11 Depth=1
	s_or_b32 exec_lo, exec_lo, s17
.LBB399_91:                             ;   in Loop: Header=BB399_11 Depth=1
	s_or_b32 exec_lo, exec_lo, s6
	v_mov_b32_e32 v0, 0xff
	s_mov_b32 s6, exec_lo
	v_and_b32_sdwa v0, v30, v0 dst_sel:DWORD dst_unused:UNUSED_PAD src0_sel:WORD_1 src1_sel:DWORD
	v_cmpx_ne_u16_e32 0, v0
	s_cbranch_execz .LBB399_99
; %bb.92:                               ;   in Loop: Header=BB399_11 Depth=1
	v_cmp_ne_u16_e64 s5, 0x80, v0
	v_bfrev_b32_e32 v0, 1
	buffer_store_dword v0, off, s[0:3], s32 offset:212 ; 4-byte Folded Spill
	s_and_saveexec_b32 s17, s5
	s_cbranch_execz .LBB399_98
; %bb.93:                               ;   in Loop: Header=BB399_11 Depth=1
	v_bfe_u32 v1, v30, 16, 7
	v_mov_b32_e32 v0, 0x7f800001
	s_mov_b32 s23, exec_lo
	buffer_store_dword v0, off, s[0:3], s32 offset:212 ; 4-byte Folded Spill
	v_cmpx_ne_u32_e32 0x7f, v1
	s_cbranch_execz .LBB399_97
; %bb.94:                               ;   in Loop: Header=BB399_11 Depth=1
	v_mov_b32_e32 v0, 7
	s_mov_b32 s24, exec_lo
	v_and_b32_sdwa v8, v30, v0 dst_sel:DWORD dst_unused:UNUSED_PAD src0_sel:WORD_1 src1_sel:DWORD
	v_mov_b32_e32 v33, v9
	v_lshrrev_b32_e32 v0, 3, v1
	v_mov_b32_e32 v32, v8
	v_cmpx_gt_u32_e32 8, v1
; %bb.95:                               ;   in Loop: Header=BB399_11 Depth=1
	v_ffbh_u32_e32 v0, v8
	v_min_u32_e32 v0, 32, v0
	v_subrev_nc_u32_e32 v1, 28, v0
	v_sub_nc_u32_e32 v0, 29, v0
	v_lshlrev_b64 v[1:2], v1, v[8:9]
	v_and_b32_e32 v32, 7, v1
; %bb.96:                               ;   in Loop: Header=BB399_11 Depth=1
	s_or_b32 exec_lo, exec_lo, s24
	v_mov_b32_e32 v1, 24
	v_lshlrev_b32_e32 v2, 20, v32
	v_lshl_add_u32 v0, v0, 23, 0x3c000000
	v_lshlrev_b32_sdwa v1, v1, v30 dst_sel:DWORD dst_unused:UNUSED_PAD src0_sel:DWORD src1_sel:WORD_1
	v_and_b32_e32 v1, 0x80000000, v1
	v_or3_b32 v0, v2, v1, v0
	buffer_store_dword v0, off, s[0:3], s32 offset:212 ; 4-byte Folded Spill
.LBB399_97:                             ;   in Loop: Header=BB399_11 Depth=1
	s_or_b32 exec_lo, exec_lo, s23
.LBB399_98:                             ;   in Loop: Header=BB399_11 Depth=1
	s_or_b32 exec_lo, exec_lo, s17
.LBB399_99:                             ;   in Loop: Header=BB399_11 Depth=1
	s_or_b32 exec_lo, exec_lo, s6
	v_mov_b32_e32 v0, 0
	s_mov_b32 s6, exec_lo
	buffer_store_dword v0, off, s[0:3], s32 offset:220 ; 4-byte Folded Spill
	v_mov_b32_e32 v0, 0
	buffer_store_dword v0, off, s[0:3], s32 offset:216 ; 4-byte Folded Spill
	v_cmpx_lt_u32_e32 0xffffff, v30
	s_cbranch_execz .LBB399_107
; %bb.100:                              ;   in Loop: Header=BB399_11 Depth=1
	v_cmp_ne_u32_sdwa s5, v30, v41 src0_sel:BYTE_3 src1_sel:DWORD
	v_bfrev_b32_e32 v0, 1
	buffer_store_dword v0, off, s[0:3], s32 offset:216 ; 4-byte Folded Spill
	s_and_saveexec_b32 s17, s5
	s_cbranch_execz .LBB399_106
; %bb.101:                              ;   in Loop: Header=BB399_11 Depth=1
	v_bfe_u32 v1, v30, 24, 7
	v_mov_b32_e32 v0, 0x7f800001
	s_mov_b32 s23, exec_lo
	buffer_store_dword v0, off, s[0:3], s32 offset:216 ; 4-byte Folded Spill
	v_cmpx_ne_u32_e32 0x7f, v1
	s_cbranch_execz .LBB399_105
; %bb.102:                              ;   in Loop: Header=BB399_11 Depth=1
	v_mov_b32_e32 v0, 7
	s_mov_b32 s24, exec_lo
	v_and_b32_sdwa v8, v30, v0 dst_sel:DWORD dst_unused:UNUSED_PAD src0_sel:BYTE_3 src1_sel:DWORD
	v_mov_b32_e32 v33, v9
	v_lshrrev_b32_e32 v0, 3, v1
	v_mov_b32_e32 v32, v8
	v_cmpx_gt_u32_e32 8, v1
; %bb.103:                              ;   in Loop: Header=BB399_11 Depth=1
	v_ffbh_u32_e32 v0, v8
	v_min_u32_e32 v0, 32, v0
	v_subrev_nc_u32_e32 v1, 28, v0
	v_sub_nc_u32_e32 v0, 29, v0
	v_lshlrev_b64 v[1:2], v1, v[8:9]
	v_and_b32_e32 v32, 7, v1
; %bb.104:                              ;   in Loop: Header=BB399_11 Depth=1
	s_or_b32 exec_lo, exec_lo, s24
	v_mov_b32_e32 v1, 24
	v_lshlrev_b32_e32 v2, 20, v32
	v_lshl_add_u32 v0, v0, 23, 0x3c000000
	v_lshlrev_b32_sdwa v1, v1, v30 dst_sel:DWORD dst_unused:UNUSED_PAD src0_sel:DWORD src1_sel:BYTE_3
	v_and_b32_e32 v1, 0x80000000, v1
	v_or3_b32 v0, v2, v1, v0
	buffer_store_dword v0, off, s[0:3], s32 offset:216 ; 4-byte Folded Spill
.LBB399_105:                            ;   in Loop: Header=BB399_11 Depth=1
	s_or_b32 exec_lo, exec_lo, s23
.LBB399_106:                            ;   in Loop: Header=BB399_11 Depth=1
	s_or_b32 exec_lo, exec_lo, s17
.LBB399_107:                            ;   in Loop: Header=BB399_11 Depth=1
	s_or_b32 exec_lo, exec_lo, s6
	v_mov_b32_e32 v8, v31
	v_cmp_ne_u16_sdwa s5, v31, v9 src0_sel:BYTE_0 src1_sel:DWORD
	s_and_saveexec_b32 s6, s5
	s_cbranch_execz .LBB399_115
; %bb.108:                              ;   in Loop: Header=BB399_11 Depth=1
	v_cmp_ne_u16_sdwa s5, v31, v41 src0_sel:BYTE_0 src1_sel:DWORD
	v_bfrev_b32_e32 v0, 1
	buffer_store_dword v0, off, s[0:3], s32 offset:220 ; 4-byte Folded Spill
	s_and_saveexec_b32 s17, s5
	s_cbranch_execz .LBB399_114
; %bb.109:                              ;   in Loop: Header=BB399_11 Depth=1
	v_and_b32_e32 v1, 0x7f, v31
	v_mov_b32_e32 v0, 0x7f800001
	s_mov_b32 s23, exec_lo
	buffer_store_dword v0, off, s[0:3], s32 offset:220 ; 4-byte Folded Spill
	v_cmpx_ne_u32_e32 0x7f, v1
	s_cbranch_execz .LBB399_113
; %bb.110:                              ;   in Loop: Header=BB399_11 Depth=1
	v_mov_b32_e32 v33, v9
	v_lshrrev_b32_e32 v0, 3, v1
	v_mov_b32_e32 v32, v8
	s_mov_b32 s24, exec_lo
	v_cmpx_gt_u32_e32 8, v1
; %bb.111:                              ;   in Loop: Header=BB399_11 Depth=1
	v_and_b32_e32 v0, 7, v31
	v_ffbh_u32_e32 v0, v0
	v_min_u32_e32 v0, 32, v0
	v_subrev_nc_u32_e32 v1, 28, v0
	v_sub_nc_u32_e32 v0, 29, v0
	v_lshlrev_b64 v[32:33], v1, v[8:9]
; %bb.112:                              ;   in Loop: Header=BB399_11 Depth=1
	s_or_b32 exec_lo, exec_lo, s24
	v_lshlrev_b32_e32 v1, 20, v32
	v_lshlrev_b32_e32 v2, 24, v8
	v_lshl_add_u32 v0, v0, 23, 0x3c000000
	v_and_b32_e32 v1, 0x700000, v1
	v_and_b32_e32 v2, 0x80000000, v2
	v_or3_b32 v0, v1, v2, v0
	buffer_store_dword v0, off, s[0:3], s32 offset:220 ; 4-byte Folded Spill
.LBB399_113:                            ;   in Loop: Header=BB399_11 Depth=1
	s_or_b32 exec_lo, exec_lo, s23
.LBB399_114:                            ;   in Loop: Header=BB399_11 Depth=1
	s_or_b32 exec_lo, exec_lo, s17
.LBB399_115:                            ;   in Loop: Header=BB399_11 Depth=1
	s_or_b32 exec_lo, exec_lo, s6
	v_mov_b32_e32 v0, 0
	v_cmp_ne_u16_sdwa s5, v8, v9 src0_sel:BYTE_1 src1_sel:DWORD
	buffer_store_dword v0, off, s[0:3], s32 offset:224 ; 4-byte Folded Spill
	v_mov_b32_e32 v0, 0
	buffer_store_dword v0, off, s[0:3], s32 offset:228 ; 4-byte Folded Spill
	s_and_saveexec_b32 s6, s5
	s_cbranch_execz .LBB399_123
; %bb.116:                              ;   in Loop: Header=BB399_11 Depth=1
	v_cmp_ne_u16_sdwa s5, v8, v41 src0_sel:BYTE_1 src1_sel:DWORD
	v_bfrev_b32_e32 v0, 1
	buffer_store_dword v0, off, s[0:3], s32 offset:228 ; 4-byte Folded Spill
	s_and_saveexec_b32 s17, s5
	s_cbranch_execz .LBB399_122
; %bb.117:                              ;   in Loop: Header=BB399_11 Depth=1
	v_mov_b32_e32 v0, 0xffff
	v_mov_b32_e32 v2, 0x7f800001
	s_mov_b32 s23, exec_lo
	v_and_b32_sdwa v0, v0, v8 dst_sel:DWORD dst_unused:UNUSED_PAD src0_sel:DWORD src1_sel:BYTE_1
	buffer_store_dword v2, off, s[0:3], s32 offset:228 ; 4-byte Folded Spill
	v_and_b32_e32 v1, 0x7f, v0
	v_cmpx_ne_u32_e32 0x7f, v1
	s_cbranch_execz .LBB399_121
; %bb.118:                              ;   in Loop: Header=BB399_11 Depth=1
	v_and_b32_e32 v32, 7, v0
	v_mov_b32_e32 v33, v9
	v_lshrrev_b32_e32 v0, 3, v1
	s_mov_b32 s24, exec_lo
	v_cmpx_gt_u32_e32 8, v1
; %bb.119:                              ;   in Loop: Header=BB399_11 Depth=1
	v_ffbh_u32_e32 v0, v32
	v_min_u32_e32 v0, 32, v0
	v_subrev_nc_u32_e32 v1, 28, v0
	v_sub_nc_u32_e32 v0, 29, v0
	v_lshlrev_b64 v[1:2], v1, v[32:33]
	v_and_b32_e32 v32, 7, v1
; %bb.120:                              ;   in Loop: Header=BB399_11 Depth=1
	s_or_b32 exec_lo, exec_lo, s24
	v_lshlrev_b32_e32 v1, 16, v8
	v_lshlrev_b32_e32 v2, 20, v32
	v_lshl_add_u32 v0, v0, 23, 0x3c000000
	v_and_b32_e32 v1, 0x80000000, v1
	v_or3_b32 v0, v2, v1, v0
	buffer_store_dword v0, off, s[0:3], s32 offset:228 ; 4-byte Folded Spill
.LBB399_121:                            ;   in Loop: Header=BB399_11 Depth=1
	s_or_b32 exec_lo, exec_lo, s23
.LBB399_122:                            ;   in Loop: Header=BB399_11 Depth=1
	s_or_b32 exec_lo, exec_lo, s17
.LBB399_123:                            ;   in Loop: Header=BB399_11 Depth=1
	s_or_b32 exec_lo, exec_lo, s6
	v_mov_b32_e32 v0, 0xff
	s_mov_b32 s6, exec_lo
	v_and_b32_sdwa v0, v31, v0 dst_sel:DWORD dst_unused:UNUSED_PAD src0_sel:WORD_1 src1_sel:DWORD
	v_cmpx_ne_u16_e32 0, v0
	s_cbranch_execz .LBB399_131
; %bb.124:                              ;   in Loop: Header=BB399_11 Depth=1
	v_cmp_ne_u16_e64 s5, 0x80, v0
	v_bfrev_b32_e32 v0, 1
	buffer_store_dword v0, off, s[0:3], s32 offset:224 ; 4-byte Folded Spill
	s_and_saveexec_b32 s17, s5
	s_cbranch_execz .LBB399_130
; %bb.125:                              ;   in Loop: Header=BB399_11 Depth=1
	v_bfe_u32 v1, v31, 16, 7
	v_mov_b32_e32 v0, 0x7f800001
	s_mov_b32 s23, exec_lo
	buffer_store_dword v0, off, s[0:3], s32 offset:224 ; 4-byte Folded Spill
	v_cmpx_ne_u32_e32 0x7f, v1
	s_cbranch_execz .LBB399_129
; %bb.126:                              ;   in Loop: Header=BB399_11 Depth=1
	v_mov_b32_e32 v0, 7
	s_mov_b32 s24, exec_lo
	v_and_b32_sdwa v8, v31, v0 dst_sel:DWORD dst_unused:UNUSED_PAD src0_sel:WORD_1 src1_sel:DWORD
	v_mov_b32_e32 v33, v9
	v_lshrrev_b32_e32 v0, 3, v1
	v_mov_b32_e32 v32, v8
	v_cmpx_gt_u32_e32 8, v1
; %bb.127:                              ;   in Loop: Header=BB399_11 Depth=1
	v_ffbh_u32_e32 v0, v8
	v_min_u32_e32 v0, 32, v0
	v_subrev_nc_u32_e32 v1, 28, v0
	v_sub_nc_u32_e32 v0, 29, v0
	v_lshlrev_b64 v[1:2], v1, v[8:9]
	v_and_b32_e32 v32, 7, v1
; %bb.128:                              ;   in Loop: Header=BB399_11 Depth=1
	s_or_b32 exec_lo, exec_lo, s24
	v_mov_b32_e32 v1, 24
	v_lshlrev_b32_e32 v2, 20, v32
	v_lshl_add_u32 v0, v0, 23, 0x3c000000
	v_lshlrev_b32_sdwa v1, v1, v31 dst_sel:DWORD dst_unused:UNUSED_PAD src0_sel:DWORD src1_sel:WORD_1
	v_and_b32_e32 v1, 0x80000000, v1
	v_or3_b32 v0, v2, v1, v0
	buffer_store_dword v0, off, s[0:3], s32 offset:224 ; 4-byte Folded Spill
.LBB399_129:                            ;   in Loop: Header=BB399_11 Depth=1
	s_or_b32 exec_lo, exec_lo, s23
.LBB399_130:                            ;   in Loop: Header=BB399_11 Depth=1
	s_or_b32 exec_lo, exec_lo, s17
.LBB399_131:                            ;   in Loop: Header=BB399_11 Depth=1
	s_or_b32 exec_lo, exec_lo, s6
	v_mov_b32_e32 v0, 0
	s_mov_b32 s6, exec_lo
	buffer_store_dword v0, off, s[0:3], s32 offset:236 ; 4-byte Folded Spill
	v_mov_b32_e32 v0, 0
	buffer_store_dword v0, off, s[0:3], s32 offset:232 ; 4-byte Folded Spill
	v_cmpx_lt_u64_e64 s[8:9], v[30:31]
	s_cbranch_execz .LBB399_139
; %bb.132:                              ;   in Loop: Header=BB399_11 Depth=1
	v_cmp_ne_u32_sdwa s5, v31, v41 src0_sel:BYTE_3 src1_sel:DWORD
	v_bfrev_b32_e32 v0, 1
	buffer_store_dword v0, off, s[0:3], s32 offset:232 ; 4-byte Folded Spill
	s_and_saveexec_b32 s17, s5
	s_cbranch_execz .LBB399_138
; %bb.133:                              ;   in Loop: Header=BB399_11 Depth=1
	v_bfe_u32 v1, v31, 24, 7
	v_mov_b32_e32 v0, 0x7f800001
	s_mov_b32 s23, exec_lo
	buffer_store_dword v0, off, s[0:3], s32 offset:232 ; 4-byte Folded Spill
	v_cmpx_ne_u32_e32 0x7f, v1
	s_cbranch_execz .LBB399_137
; %bb.134:                              ;   in Loop: Header=BB399_11 Depth=1
	v_mov_b32_e32 v0, 7
	s_mov_b32 s24, exec_lo
	v_and_b32_sdwa v8, v31, v0 dst_sel:DWORD dst_unused:UNUSED_PAD src0_sel:BYTE_3 src1_sel:DWORD
	v_mov_b32_e32 v33, v9
	v_lshrrev_b32_e32 v0, 3, v1
	v_mov_b32_e32 v32, v8
	v_cmpx_gt_u32_e32 8, v1
; %bb.135:                              ;   in Loop: Header=BB399_11 Depth=1
	v_ffbh_u32_e32 v0, v8
	v_min_u32_e32 v0, 32, v0
	v_subrev_nc_u32_e32 v1, 28, v0
	v_sub_nc_u32_e32 v0, 29, v0
	v_lshlrev_b64 v[1:2], v1, v[8:9]
	v_and_b32_e32 v32, 7, v1
; %bb.136:                              ;   in Loop: Header=BB399_11 Depth=1
	s_or_b32 exec_lo, exec_lo, s24
	v_mov_b32_e32 v1, 24
	v_lshlrev_b32_e32 v2, 20, v32
	v_lshl_add_u32 v0, v0, 23, 0x3c000000
	v_lshlrev_b32_sdwa v1, v1, v31 dst_sel:DWORD dst_unused:UNUSED_PAD src0_sel:DWORD src1_sel:BYTE_3
	v_and_b32_e32 v1, 0x80000000, v1
	v_or3_b32 v0, v2, v1, v0
	buffer_store_dword v0, off, s[0:3], s32 offset:232 ; 4-byte Folded Spill
.LBB399_137:                            ;   in Loop: Header=BB399_11 Depth=1
	s_or_b32 exec_lo, exec_lo, s23
.LBB399_138:                            ;   in Loop: Header=BB399_11 Depth=1
	s_or_b32 exec_lo, exec_lo, s17
.LBB399_139:                            ;   in Loop: Header=BB399_11 Depth=1
	s_or_b32 exec_lo, exec_lo, s6
	flat_load_dwordx2 v[30:31], v[28:29] offset:512
	s_waitcnt vmcnt(0) lgkmcnt(0)
	v_cmp_ne_u16_sdwa s5, v30, v9 src0_sel:BYTE_0 src1_sel:DWORD
	s_and_saveexec_b32 s6, s5
	s_cbranch_execz .LBB399_147
; %bb.140:                              ;   in Loop: Header=BB399_11 Depth=1
	v_cmp_ne_u16_sdwa s5, v30, v41 src0_sel:BYTE_0 src1_sel:DWORD
	v_bfrev_b32_e32 v0, 1
	buffer_store_dword v0, off, s[0:3], s32 offset:236 ; 4-byte Folded Spill
	s_and_saveexec_b32 s17, s5
	s_cbranch_execz .LBB399_146
; %bb.141:                              ;   in Loop: Header=BB399_11 Depth=1
	v_and_b32_e32 v1, 0x7f, v30
	v_mov_b32_e32 v0, 0x7f800001
	s_mov_b32 s23, exec_lo
	buffer_store_dword v0, off, s[0:3], s32 offset:236 ; 4-byte Folded Spill
	v_cmpx_ne_u32_e32 0x7f, v1
	s_cbranch_execz .LBB399_145
; %bb.142:                              ;   in Loop: Header=BB399_11 Depth=1
	v_mov_b32_e32 v33, v31
	v_lshrrev_b32_e32 v0, 3, v1
	v_mov_b32_e32 v32, v30
	s_mov_b32 s24, exec_lo
	v_cmpx_gt_u32_e32 8, v1
; %bb.143:                              ;   in Loop: Header=BB399_11 Depth=1
	v_and_b32_e32 v0, 7, v30
	v_ffbh_u32_e32 v0, v0
	v_min_u32_e32 v0, 32, v0
	v_subrev_nc_u32_e32 v1, 28, v0
	v_sub_nc_u32_e32 v0, 29, v0
	v_lshlrev_b64 v[32:33], v1, v[30:31]
; %bb.144:                              ;   in Loop: Header=BB399_11 Depth=1
	s_or_b32 exec_lo, exec_lo, s24
	v_lshlrev_b32_e32 v1, 20, v32
	v_lshlrev_b32_e32 v2, 24, v30
	v_lshl_add_u32 v0, v0, 23, 0x3c000000
	v_and_b32_e32 v1, 0x700000, v1
	v_and_b32_e32 v2, 0x80000000, v2
	v_or3_b32 v0, v1, v2, v0
	buffer_store_dword v0, off, s[0:3], s32 offset:236 ; 4-byte Folded Spill
.LBB399_145:                            ;   in Loop: Header=BB399_11 Depth=1
	s_or_b32 exec_lo, exec_lo, s23
.LBB399_146:                            ;   in Loop: Header=BB399_11 Depth=1
	s_or_b32 exec_lo, exec_lo, s17
.LBB399_147:                            ;   in Loop: Header=BB399_11 Depth=1
	s_or_b32 exec_lo, exec_lo, s6
	v_mov_b32_e32 v0, 0
	v_cmp_ne_u16_sdwa s5, v30, v9 src0_sel:BYTE_1 src1_sel:DWORD
	buffer_store_dword v0, off, s[0:3], s32 offset:244 ; 4-byte Folded Spill
	v_mov_b32_e32 v0, 0
	buffer_store_dword v0, off, s[0:3], s32 offset:240 ; 4-byte Folded Spill
	s_and_saveexec_b32 s6, s5
	s_cbranch_execz .LBB399_155
; %bb.148:                              ;   in Loop: Header=BB399_11 Depth=1
	v_cmp_ne_u16_sdwa s5, v30, v41 src0_sel:BYTE_1 src1_sel:DWORD
	v_bfrev_b32_e32 v0, 1
	buffer_store_dword v0, off, s[0:3], s32 offset:240 ; 4-byte Folded Spill
	s_and_saveexec_b32 s17, s5
	s_cbranch_execz .LBB399_154
; %bb.149:                              ;   in Loop: Header=BB399_11 Depth=1
	v_mov_b32_e32 v0, 0xffff
	v_mov_b32_e32 v2, 0x7f800001
	s_mov_b32 s23, exec_lo
	v_and_b32_sdwa v0, v0, v30 dst_sel:DWORD dst_unused:UNUSED_PAD src0_sel:DWORD src1_sel:BYTE_1
	buffer_store_dword v2, off, s[0:3], s32 offset:240 ; 4-byte Folded Spill
	v_and_b32_e32 v1, 0x7f, v0
	v_cmpx_ne_u32_e32 0x7f, v1
	s_cbranch_execz .LBB399_153
; %bb.150:                              ;   in Loop: Header=BB399_11 Depth=1
	v_and_b32_e32 v8, 7, v0
	v_mov_b32_e32 v33, v9
	v_lshrrev_b32_e32 v0, 3, v1
	s_mov_b32 s24, exec_lo
	v_mov_b32_e32 v32, v8
	v_cmpx_gt_u32_e32 8, v1
; %bb.151:                              ;   in Loop: Header=BB399_11 Depth=1
	v_ffbh_u32_e32 v0, v8
	v_min_u32_e32 v0, 32, v0
	v_subrev_nc_u32_e32 v1, 28, v0
	v_sub_nc_u32_e32 v0, 29, v0
	v_lshlrev_b64 v[1:2], v1, v[8:9]
	v_and_b32_e32 v32, 7, v1
; %bb.152:                              ;   in Loop: Header=BB399_11 Depth=1
	s_or_b32 exec_lo, exec_lo, s24
	v_lshlrev_b32_e32 v1, 16, v30
	v_lshlrev_b32_e32 v2, 20, v32
	v_lshl_add_u32 v0, v0, 23, 0x3c000000
	v_and_b32_e32 v1, 0x80000000, v1
	v_or3_b32 v0, v2, v1, v0
	buffer_store_dword v0, off, s[0:3], s32 offset:240 ; 4-byte Folded Spill
.LBB399_153:                            ;   in Loop: Header=BB399_11 Depth=1
	s_or_b32 exec_lo, exec_lo, s23
.LBB399_154:                            ;   in Loop: Header=BB399_11 Depth=1
	s_or_b32 exec_lo, exec_lo, s17
.LBB399_155:                            ;   in Loop: Header=BB399_11 Depth=1
	s_or_b32 exec_lo, exec_lo, s6
	v_mov_b32_e32 v0, 0xff
	s_mov_b32 s6, exec_lo
	v_and_b32_sdwa v0, v30, v0 dst_sel:DWORD dst_unused:UNUSED_PAD src0_sel:WORD_1 src1_sel:DWORD
	v_cmpx_ne_u16_e32 0, v0
	s_cbranch_execz .LBB399_163
; %bb.156:                              ;   in Loop: Header=BB399_11 Depth=1
	v_cmp_ne_u16_e64 s5, 0x80, v0
	v_bfrev_b32_e32 v0, 1
	buffer_store_dword v0, off, s[0:3], s32 offset:244 ; 4-byte Folded Spill
	s_and_saveexec_b32 s17, s5
	s_cbranch_execz .LBB399_162
; %bb.157:                              ;   in Loop: Header=BB399_11 Depth=1
	v_bfe_u32 v1, v30, 16, 7
	v_mov_b32_e32 v0, 0x7f800001
	s_mov_b32 s23, exec_lo
	buffer_store_dword v0, off, s[0:3], s32 offset:244 ; 4-byte Folded Spill
	v_cmpx_ne_u32_e32 0x7f, v1
	s_cbranch_execz .LBB399_161
; %bb.158:                              ;   in Loop: Header=BB399_11 Depth=1
	v_mov_b32_e32 v0, 7
	s_mov_b32 s24, exec_lo
	v_and_b32_sdwa v8, v30, v0 dst_sel:DWORD dst_unused:UNUSED_PAD src0_sel:WORD_1 src1_sel:DWORD
	v_mov_b32_e32 v33, v9
	v_lshrrev_b32_e32 v0, 3, v1
	v_mov_b32_e32 v32, v8
	v_cmpx_gt_u32_e32 8, v1
; %bb.159:                              ;   in Loop: Header=BB399_11 Depth=1
	v_ffbh_u32_e32 v0, v8
	v_min_u32_e32 v0, 32, v0
	v_subrev_nc_u32_e32 v1, 28, v0
	v_sub_nc_u32_e32 v0, 29, v0
	v_lshlrev_b64 v[1:2], v1, v[8:9]
	v_and_b32_e32 v32, 7, v1
; %bb.160:                              ;   in Loop: Header=BB399_11 Depth=1
	s_or_b32 exec_lo, exec_lo, s24
	v_mov_b32_e32 v1, 24
	v_lshlrev_b32_e32 v2, 20, v32
	v_lshl_add_u32 v0, v0, 23, 0x3c000000
	v_lshlrev_b32_sdwa v1, v1, v30 dst_sel:DWORD dst_unused:UNUSED_PAD src0_sel:DWORD src1_sel:WORD_1
	v_and_b32_e32 v1, 0x80000000, v1
	v_or3_b32 v0, v2, v1, v0
	buffer_store_dword v0, off, s[0:3], s32 offset:244 ; 4-byte Folded Spill
.LBB399_161:                            ;   in Loop: Header=BB399_11 Depth=1
	s_or_b32 exec_lo, exec_lo, s23
.LBB399_162:                            ;   in Loop: Header=BB399_11 Depth=1
	s_or_b32 exec_lo, exec_lo, s17
.LBB399_163:                            ;   in Loop: Header=BB399_11 Depth=1
	s_or_b32 exec_lo, exec_lo, s6
	v_mov_b32_e32 v0, 0
	s_mov_b32 s6, exec_lo
	buffer_store_dword v0, off, s[0:3], s32 offset:252 ; 4-byte Folded Spill
	v_mov_b32_e32 v0, 0
	buffer_store_dword v0, off, s[0:3], s32 offset:248 ; 4-byte Folded Spill
	v_cmpx_lt_u32_e32 0xffffff, v30
	s_cbranch_execz .LBB399_171
; %bb.164:                              ;   in Loop: Header=BB399_11 Depth=1
	v_cmp_ne_u32_sdwa s5, v30, v41 src0_sel:BYTE_3 src1_sel:DWORD
	v_bfrev_b32_e32 v0, 1
	buffer_store_dword v0, off, s[0:3], s32 offset:248 ; 4-byte Folded Spill
	s_and_saveexec_b32 s17, s5
	s_cbranch_execz .LBB399_170
; %bb.165:                              ;   in Loop: Header=BB399_11 Depth=1
	v_bfe_u32 v1, v30, 24, 7
	v_mov_b32_e32 v0, 0x7f800001
	s_mov_b32 s23, exec_lo
	buffer_store_dword v0, off, s[0:3], s32 offset:248 ; 4-byte Folded Spill
	v_cmpx_ne_u32_e32 0x7f, v1
	s_cbranch_execz .LBB399_169
; %bb.166:                              ;   in Loop: Header=BB399_11 Depth=1
	v_mov_b32_e32 v0, 7
	s_mov_b32 s24, exec_lo
	v_and_b32_sdwa v8, v30, v0 dst_sel:DWORD dst_unused:UNUSED_PAD src0_sel:BYTE_3 src1_sel:DWORD
	v_mov_b32_e32 v33, v9
	v_lshrrev_b32_e32 v0, 3, v1
	v_mov_b32_e32 v32, v8
	v_cmpx_gt_u32_e32 8, v1
; %bb.167:                              ;   in Loop: Header=BB399_11 Depth=1
	v_ffbh_u32_e32 v0, v8
	v_min_u32_e32 v0, 32, v0
	v_subrev_nc_u32_e32 v1, 28, v0
	v_sub_nc_u32_e32 v0, 29, v0
	v_lshlrev_b64 v[1:2], v1, v[8:9]
	v_and_b32_e32 v32, 7, v1
; %bb.168:                              ;   in Loop: Header=BB399_11 Depth=1
	s_or_b32 exec_lo, exec_lo, s24
	v_mov_b32_e32 v1, 24
	v_lshlrev_b32_e32 v2, 20, v32
	v_lshl_add_u32 v0, v0, 23, 0x3c000000
	v_lshlrev_b32_sdwa v1, v1, v30 dst_sel:DWORD dst_unused:UNUSED_PAD src0_sel:DWORD src1_sel:BYTE_3
	v_and_b32_e32 v1, 0x80000000, v1
	v_or3_b32 v0, v2, v1, v0
	buffer_store_dword v0, off, s[0:3], s32 offset:248 ; 4-byte Folded Spill
.LBB399_169:                            ;   in Loop: Header=BB399_11 Depth=1
	s_or_b32 exec_lo, exec_lo, s23
.LBB399_170:                            ;   in Loop: Header=BB399_11 Depth=1
	s_or_b32 exec_lo, exec_lo, s17
.LBB399_171:                            ;   in Loop: Header=BB399_11 Depth=1
	s_or_b32 exec_lo, exec_lo, s6
	v_mov_b32_e32 v8, v31
	v_cmp_ne_u16_sdwa s5, v31, v9 src0_sel:BYTE_0 src1_sel:DWORD
	s_and_saveexec_b32 s6, s5
	s_cbranch_execz .LBB399_179
; %bb.172:                              ;   in Loop: Header=BB399_11 Depth=1
	v_cmp_ne_u16_sdwa s5, v31, v41 src0_sel:BYTE_0 src1_sel:DWORD
	v_bfrev_b32_e32 v0, 1
	buffer_store_dword v0, off, s[0:3], s32 offset:252 ; 4-byte Folded Spill
	s_and_saveexec_b32 s17, s5
	s_cbranch_execz .LBB399_178
; %bb.173:                              ;   in Loop: Header=BB399_11 Depth=1
	v_and_b32_e32 v1, 0x7f, v31
	v_mov_b32_e32 v0, 0x7f800001
	s_mov_b32 s23, exec_lo
	buffer_store_dword v0, off, s[0:3], s32 offset:252 ; 4-byte Folded Spill
	v_cmpx_ne_u32_e32 0x7f, v1
	s_cbranch_execz .LBB399_177
; %bb.174:                              ;   in Loop: Header=BB399_11 Depth=1
	v_mov_b32_e32 v33, v9
	v_lshrrev_b32_e32 v0, 3, v1
	v_mov_b32_e32 v32, v8
	s_mov_b32 s24, exec_lo
	v_cmpx_gt_u32_e32 8, v1
; %bb.175:                              ;   in Loop: Header=BB399_11 Depth=1
	v_and_b32_e32 v0, 7, v31
	v_ffbh_u32_e32 v0, v0
	v_min_u32_e32 v0, 32, v0
	v_subrev_nc_u32_e32 v1, 28, v0
	v_sub_nc_u32_e32 v0, 29, v0
	v_lshlrev_b64 v[32:33], v1, v[8:9]
; %bb.176:                              ;   in Loop: Header=BB399_11 Depth=1
	s_or_b32 exec_lo, exec_lo, s24
	v_lshlrev_b32_e32 v1, 20, v32
	v_lshlrev_b32_e32 v2, 24, v8
	v_lshl_add_u32 v0, v0, 23, 0x3c000000
	v_and_b32_e32 v1, 0x700000, v1
	v_and_b32_e32 v2, 0x80000000, v2
	v_or3_b32 v0, v1, v2, v0
	buffer_store_dword v0, off, s[0:3], s32 offset:252 ; 4-byte Folded Spill
.LBB399_177:                            ;   in Loop: Header=BB399_11 Depth=1
	s_or_b32 exec_lo, exec_lo, s23
.LBB399_178:                            ;   in Loop: Header=BB399_11 Depth=1
	s_or_b32 exec_lo, exec_lo, s17
.LBB399_179:                            ;   in Loop: Header=BB399_11 Depth=1
	s_or_b32 exec_lo, exec_lo, s6
	v_mov_b32_e32 v0, 0
	v_cmp_ne_u16_sdwa s5, v8, v9 src0_sel:BYTE_1 src1_sel:DWORD
	buffer_store_dword v0, off, s[0:3], s32 offset:256 ; 4-byte Folded Spill
	v_mov_b32_e32 v0, 0
	buffer_store_dword v0, off, s[0:3], s32 offset:260 ; 4-byte Folded Spill
	s_and_saveexec_b32 s6, s5
	s_cbranch_execz .LBB399_187
; %bb.180:                              ;   in Loop: Header=BB399_11 Depth=1
	v_cmp_ne_u16_sdwa s5, v8, v41 src0_sel:BYTE_1 src1_sel:DWORD
	v_bfrev_b32_e32 v0, 1
	buffer_store_dword v0, off, s[0:3], s32 offset:260 ; 4-byte Folded Spill
	s_and_saveexec_b32 s17, s5
	s_cbranch_execz .LBB399_186
; %bb.181:                              ;   in Loop: Header=BB399_11 Depth=1
	v_mov_b32_e32 v0, 0xffff
	v_mov_b32_e32 v2, 0x7f800001
	s_mov_b32 s23, exec_lo
	v_and_b32_sdwa v0, v0, v8 dst_sel:DWORD dst_unused:UNUSED_PAD src0_sel:DWORD src1_sel:BYTE_1
	buffer_store_dword v2, off, s[0:3], s32 offset:260 ; 4-byte Folded Spill
	v_and_b32_e32 v1, 0x7f, v0
	v_cmpx_ne_u32_e32 0x7f, v1
	s_cbranch_execz .LBB399_185
; %bb.182:                              ;   in Loop: Header=BB399_11 Depth=1
	v_and_b32_e32 v32, 7, v0
	v_mov_b32_e32 v33, v9
	v_lshrrev_b32_e32 v0, 3, v1
	s_mov_b32 s24, exec_lo
	v_cmpx_gt_u32_e32 8, v1
; %bb.183:                              ;   in Loop: Header=BB399_11 Depth=1
	v_ffbh_u32_e32 v0, v32
	v_min_u32_e32 v0, 32, v0
	v_subrev_nc_u32_e32 v1, 28, v0
	v_sub_nc_u32_e32 v0, 29, v0
	v_lshlrev_b64 v[1:2], v1, v[32:33]
	v_and_b32_e32 v32, 7, v1
; %bb.184:                              ;   in Loop: Header=BB399_11 Depth=1
	s_or_b32 exec_lo, exec_lo, s24
	v_lshlrev_b32_e32 v1, 16, v8
	v_lshlrev_b32_e32 v2, 20, v32
	v_lshl_add_u32 v0, v0, 23, 0x3c000000
	v_and_b32_e32 v1, 0x80000000, v1
	v_or3_b32 v0, v2, v1, v0
	buffer_store_dword v0, off, s[0:3], s32 offset:260 ; 4-byte Folded Spill
.LBB399_185:                            ;   in Loop: Header=BB399_11 Depth=1
	s_or_b32 exec_lo, exec_lo, s23
.LBB399_186:                            ;   in Loop: Header=BB399_11 Depth=1
	s_or_b32 exec_lo, exec_lo, s17
.LBB399_187:                            ;   in Loop: Header=BB399_11 Depth=1
	s_or_b32 exec_lo, exec_lo, s6
	v_mov_b32_e32 v0, 0xff
	s_mov_b32 s6, exec_lo
	v_and_b32_sdwa v0, v31, v0 dst_sel:DWORD dst_unused:UNUSED_PAD src0_sel:WORD_1 src1_sel:DWORD
	v_cmpx_ne_u16_e32 0, v0
	s_cbranch_execz .LBB399_195
; %bb.188:                              ;   in Loop: Header=BB399_11 Depth=1
	v_cmp_ne_u16_e64 s5, 0x80, v0
	v_bfrev_b32_e32 v0, 1
	buffer_store_dword v0, off, s[0:3], s32 offset:256 ; 4-byte Folded Spill
	s_and_saveexec_b32 s17, s5
	s_cbranch_execz .LBB399_194
; %bb.189:                              ;   in Loop: Header=BB399_11 Depth=1
	v_bfe_u32 v1, v31, 16, 7
	v_mov_b32_e32 v0, 0x7f800001
	s_mov_b32 s23, exec_lo
	buffer_store_dword v0, off, s[0:3], s32 offset:256 ; 4-byte Folded Spill
	v_cmpx_ne_u32_e32 0x7f, v1
	s_cbranch_execz .LBB399_193
; %bb.190:                              ;   in Loop: Header=BB399_11 Depth=1
	v_mov_b32_e32 v0, 7
	s_mov_b32 s24, exec_lo
	v_and_b32_sdwa v8, v31, v0 dst_sel:DWORD dst_unused:UNUSED_PAD src0_sel:WORD_1 src1_sel:DWORD
	v_mov_b32_e32 v33, v9
	v_lshrrev_b32_e32 v0, 3, v1
	v_mov_b32_e32 v32, v8
	v_cmpx_gt_u32_e32 8, v1
; %bb.191:                              ;   in Loop: Header=BB399_11 Depth=1
	v_ffbh_u32_e32 v0, v8
	v_min_u32_e32 v0, 32, v0
	v_subrev_nc_u32_e32 v1, 28, v0
	v_sub_nc_u32_e32 v0, 29, v0
	v_lshlrev_b64 v[1:2], v1, v[8:9]
	v_and_b32_e32 v32, 7, v1
; %bb.192:                              ;   in Loop: Header=BB399_11 Depth=1
	s_or_b32 exec_lo, exec_lo, s24
	v_mov_b32_e32 v1, 24
	v_lshlrev_b32_e32 v2, 20, v32
	v_lshl_add_u32 v0, v0, 23, 0x3c000000
	v_lshlrev_b32_sdwa v1, v1, v31 dst_sel:DWORD dst_unused:UNUSED_PAD src0_sel:DWORD src1_sel:WORD_1
	v_and_b32_e32 v1, 0x80000000, v1
	v_or3_b32 v0, v2, v1, v0
	buffer_store_dword v0, off, s[0:3], s32 offset:256 ; 4-byte Folded Spill
.LBB399_193:                            ;   in Loop: Header=BB399_11 Depth=1
	s_or_b32 exec_lo, exec_lo, s23
.LBB399_194:                            ;   in Loop: Header=BB399_11 Depth=1
	s_or_b32 exec_lo, exec_lo, s17
.LBB399_195:                            ;   in Loop: Header=BB399_11 Depth=1
	s_or_b32 exec_lo, exec_lo, s6
	v_mov_b32_e32 v0, 0
	s_mov_b32 s6, exec_lo
	buffer_store_dword v0, off, s[0:3], s32 offset:268 ; 4-byte Folded Spill
	v_mov_b32_e32 v0, 0
	buffer_store_dword v0, off, s[0:3], s32 offset:264 ; 4-byte Folded Spill
	v_cmpx_lt_u64_e64 s[8:9], v[30:31]
	s_cbranch_execz .LBB399_203
; %bb.196:                              ;   in Loop: Header=BB399_11 Depth=1
	v_cmp_ne_u32_sdwa s5, v31, v41 src0_sel:BYTE_3 src1_sel:DWORD
	v_bfrev_b32_e32 v0, 1
	buffer_store_dword v0, off, s[0:3], s32 offset:264 ; 4-byte Folded Spill
	s_and_saveexec_b32 s17, s5
	s_cbranch_execz .LBB399_202
; %bb.197:                              ;   in Loop: Header=BB399_11 Depth=1
	v_bfe_u32 v1, v31, 24, 7
	v_mov_b32_e32 v0, 0x7f800001
	s_mov_b32 s23, exec_lo
	buffer_store_dword v0, off, s[0:3], s32 offset:264 ; 4-byte Folded Spill
	v_cmpx_ne_u32_e32 0x7f, v1
	s_cbranch_execz .LBB399_201
; %bb.198:                              ;   in Loop: Header=BB399_11 Depth=1
	v_mov_b32_e32 v0, 7
	s_mov_b32 s24, exec_lo
	v_and_b32_sdwa v8, v31, v0 dst_sel:DWORD dst_unused:UNUSED_PAD src0_sel:BYTE_3 src1_sel:DWORD
	v_mov_b32_e32 v33, v9
	v_lshrrev_b32_e32 v0, 3, v1
	v_mov_b32_e32 v32, v8
	v_cmpx_gt_u32_e32 8, v1
; %bb.199:                              ;   in Loop: Header=BB399_11 Depth=1
	v_ffbh_u32_e32 v0, v8
	v_min_u32_e32 v0, 32, v0
	v_subrev_nc_u32_e32 v1, 28, v0
	v_sub_nc_u32_e32 v0, 29, v0
	v_lshlrev_b64 v[1:2], v1, v[8:9]
	v_and_b32_e32 v32, 7, v1
; %bb.200:                              ;   in Loop: Header=BB399_11 Depth=1
	s_or_b32 exec_lo, exec_lo, s24
	v_mov_b32_e32 v1, 24
	v_lshlrev_b32_e32 v2, 20, v32
	v_lshl_add_u32 v0, v0, 23, 0x3c000000
	v_lshlrev_b32_sdwa v1, v1, v31 dst_sel:DWORD dst_unused:UNUSED_PAD src0_sel:DWORD src1_sel:BYTE_3
	v_and_b32_e32 v1, 0x80000000, v1
	v_or3_b32 v0, v2, v1, v0
	buffer_store_dword v0, off, s[0:3], s32 offset:264 ; 4-byte Folded Spill
.LBB399_201:                            ;   in Loop: Header=BB399_11 Depth=1
	s_or_b32 exec_lo, exec_lo, s23
.LBB399_202:                            ;   in Loop: Header=BB399_11 Depth=1
	s_or_b32 exec_lo, exec_lo, s17
.LBB399_203:                            ;   in Loop: Header=BB399_11 Depth=1
	s_or_b32 exec_lo, exec_lo, s6
	flat_load_dwordx2 v[30:31], v[28:29] offset:520
	s_waitcnt vmcnt(0) lgkmcnt(0)
	v_cmp_ne_u16_sdwa s5, v30, v9 src0_sel:BYTE_0 src1_sel:DWORD
	s_and_saveexec_b32 s6, s5
	s_cbranch_execz .LBB399_211
; %bb.204:                              ;   in Loop: Header=BB399_11 Depth=1
	v_cmp_ne_u16_sdwa s5, v30, v41 src0_sel:BYTE_0 src1_sel:DWORD
	v_bfrev_b32_e32 v0, 1
	buffer_store_dword v0, off, s[0:3], s32 offset:268 ; 4-byte Folded Spill
	s_and_saveexec_b32 s17, s5
	s_cbranch_execz .LBB399_210
; %bb.205:                              ;   in Loop: Header=BB399_11 Depth=1
	v_and_b32_e32 v1, 0x7f, v30
	v_mov_b32_e32 v0, 0x7f800001
	s_mov_b32 s23, exec_lo
	buffer_store_dword v0, off, s[0:3], s32 offset:268 ; 4-byte Folded Spill
	v_cmpx_ne_u32_e32 0x7f, v1
	s_cbranch_execz .LBB399_209
; %bb.206:                              ;   in Loop: Header=BB399_11 Depth=1
	v_mov_b32_e32 v33, v31
	v_lshrrev_b32_e32 v0, 3, v1
	v_mov_b32_e32 v32, v30
	s_mov_b32 s24, exec_lo
	v_cmpx_gt_u32_e32 8, v1
; %bb.207:                              ;   in Loop: Header=BB399_11 Depth=1
	v_and_b32_e32 v0, 7, v30
	v_ffbh_u32_e32 v0, v0
	v_min_u32_e32 v0, 32, v0
	v_subrev_nc_u32_e32 v1, 28, v0
	v_sub_nc_u32_e32 v0, 29, v0
	v_lshlrev_b64 v[32:33], v1, v[30:31]
; %bb.208:                              ;   in Loop: Header=BB399_11 Depth=1
	s_or_b32 exec_lo, exec_lo, s24
	v_lshlrev_b32_e32 v1, 20, v32
	v_lshlrev_b32_e32 v2, 24, v30
	v_lshl_add_u32 v0, v0, 23, 0x3c000000
	v_and_b32_e32 v1, 0x700000, v1
	v_and_b32_e32 v2, 0x80000000, v2
	v_or3_b32 v0, v1, v2, v0
	buffer_store_dword v0, off, s[0:3], s32 offset:268 ; 4-byte Folded Spill
.LBB399_209:                            ;   in Loop: Header=BB399_11 Depth=1
	s_or_b32 exec_lo, exec_lo, s23
.LBB399_210:                            ;   in Loop: Header=BB399_11 Depth=1
	s_or_b32 exec_lo, exec_lo, s17
.LBB399_211:                            ;   in Loop: Header=BB399_11 Depth=1
	s_or_b32 exec_lo, exec_lo, s6
	v_mov_b32_e32 v0, 0
	v_cmp_ne_u16_sdwa s5, v30, v9 src0_sel:BYTE_1 src1_sel:DWORD
	buffer_store_dword v0, off, s[0:3], s32 offset:276 ; 4-byte Folded Spill
	v_mov_b32_e32 v0, 0
	buffer_store_dword v0, off, s[0:3], s32 offset:272 ; 4-byte Folded Spill
	s_and_saveexec_b32 s6, s5
	s_cbranch_execz .LBB399_219
; %bb.212:                              ;   in Loop: Header=BB399_11 Depth=1
	v_cmp_ne_u16_sdwa s5, v30, v41 src0_sel:BYTE_1 src1_sel:DWORD
	v_bfrev_b32_e32 v0, 1
	buffer_store_dword v0, off, s[0:3], s32 offset:272 ; 4-byte Folded Spill
	s_and_saveexec_b32 s17, s5
	s_cbranch_execz .LBB399_218
; %bb.213:                              ;   in Loop: Header=BB399_11 Depth=1
	v_mov_b32_e32 v0, 0xffff
	v_mov_b32_e32 v2, 0x7f800001
	s_mov_b32 s23, exec_lo
	v_and_b32_sdwa v0, v0, v30 dst_sel:DWORD dst_unused:UNUSED_PAD src0_sel:DWORD src1_sel:BYTE_1
	buffer_store_dword v2, off, s[0:3], s32 offset:272 ; 4-byte Folded Spill
	v_and_b32_e32 v1, 0x7f, v0
	v_cmpx_ne_u32_e32 0x7f, v1
	s_cbranch_execz .LBB399_217
; %bb.214:                              ;   in Loop: Header=BB399_11 Depth=1
	v_and_b32_e32 v8, 7, v0
	v_mov_b32_e32 v33, v9
	v_lshrrev_b32_e32 v0, 3, v1
	s_mov_b32 s24, exec_lo
	v_mov_b32_e32 v32, v8
	v_cmpx_gt_u32_e32 8, v1
; %bb.215:                              ;   in Loop: Header=BB399_11 Depth=1
	v_ffbh_u32_e32 v0, v8
	v_min_u32_e32 v0, 32, v0
	v_subrev_nc_u32_e32 v1, 28, v0
	v_sub_nc_u32_e32 v0, 29, v0
	v_lshlrev_b64 v[1:2], v1, v[8:9]
	v_and_b32_e32 v32, 7, v1
; %bb.216:                              ;   in Loop: Header=BB399_11 Depth=1
	s_or_b32 exec_lo, exec_lo, s24
	v_lshlrev_b32_e32 v1, 16, v30
	v_lshlrev_b32_e32 v2, 20, v32
	v_lshl_add_u32 v0, v0, 23, 0x3c000000
	v_and_b32_e32 v1, 0x80000000, v1
	v_or3_b32 v0, v2, v1, v0
	buffer_store_dword v0, off, s[0:3], s32 offset:272 ; 4-byte Folded Spill
.LBB399_217:                            ;   in Loop: Header=BB399_11 Depth=1
	s_or_b32 exec_lo, exec_lo, s23
.LBB399_218:                            ;   in Loop: Header=BB399_11 Depth=1
	s_or_b32 exec_lo, exec_lo, s17
.LBB399_219:                            ;   in Loop: Header=BB399_11 Depth=1
	s_or_b32 exec_lo, exec_lo, s6
	v_mov_b32_e32 v0, 0xff
	s_mov_b32 s6, exec_lo
	v_and_b32_sdwa v0, v30, v0 dst_sel:DWORD dst_unused:UNUSED_PAD src0_sel:WORD_1 src1_sel:DWORD
	v_cmpx_ne_u16_e32 0, v0
	s_cbranch_execz .LBB399_227
; %bb.220:                              ;   in Loop: Header=BB399_11 Depth=1
	v_cmp_ne_u16_e64 s5, 0x80, v0
	v_bfrev_b32_e32 v0, 1
	buffer_store_dword v0, off, s[0:3], s32 offset:276 ; 4-byte Folded Spill
	s_and_saveexec_b32 s17, s5
	s_cbranch_execz .LBB399_226
; %bb.221:                              ;   in Loop: Header=BB399_11 Depth=1
	v_bfe_u32 v1, v30, 16, 7
	v_mov_b32_e32 v0, 0x7f800001
	s_mov_b32 s23, exec_lo
	buffer_store_dword v0, off, s[0:3], s32 offset:276 ; 4-byte Folded Spill
	v_cmpx_ne_u32_e32 0x7f, v1
	s_cbranch_execz .LBB399_225
; %bb.222:                              ;   in Loop: Header=BB399_11 Depth=1
	v_mov_b32_e32 v0, 7
	s_mov_b32 s24, exec_lo
	v_and_b32_sdwa v8, v30, v0 dst_sel:DWORD dst_unused:UNUSED_PAD src0_sel:WORD_1 src1_sel:DWORD
	v_mov_b32_e32 v33, v9
	v_lshrrev_b32_e32 v0, 3, v1
	v_mov_b32_e32 v32, v8
	v_cmpx_gt_u32_e32 8, v1
; %bb.223:                              ;   in Loop: Header=BB399_11 Depth=1
	v_ffbh_u32_e32 v0, v8
	v_min_u32_e32 v0, 32, v0
	v_subrev_nc_u32_e32 v1, 28, v0
	v_sub_nc_u32_e32 v0, 29, v0
	v_lshlrev_b64 v[1:2], v1, v[8:9]
	v_and_b32_e32 v32, 7, v1
; %bb.224:                              ;   in Loop: Header=BB399_11 Depth=1
	s_or_b32 exec_lo, exec_lo, s24
	v_mov_b32_e32 v1, 24
	v_lshlrev_b32_e32 v2, 20, v32
	v_lshl_add_u32 v0, v0, 23, 0x3c000000
	v_lshlrev_b32_sdwa v1, v1, v30 dst_sel:DWORD dst_unused:UNUSED_PAD src0_sel:DWORD src1_sel:WORD_1
	v_and_b32_e32 v1, 0x80000000, v1
	v_or3_b32 v0, v2, v1, v0
	buffer_store_dword v0, off, s[0:3], s32 offset:276 ; 4-byte Folded Spill
.LBB399_225:                            ;   in Loop: Header=BB399_11 Depth=1
	s_or_b32 exec_lo, exec_lo, s23
.LBB399_226:                            ;   in Loop: Header=BB399_11 Depth=1
	s_or_b32 exec_lo, exec_lo, s17
.LBB399_227:                            ;   in Loop: Header=BB399_11 Depth=1
	s_or_b32 exec_lo, exec_lo, s6
	v_mov_b32_e32 v0, 0
	s_mov_b32 s6, exec_lo
	buffer_store_dword v0, off, s[0:3], s32 offset:284 ; 4-byte Folded Spill
	v_mov_b32_e32 v0, 0
	buffer_store_dword v0, off, s[0:3], s32 offset:280 ; 4-byte Folded Spill
	v_cmpx_lt_u32_e32 0xffffff, v30
	s_cbranch_execz .LBB399_235
; %bb.228:                              ;   in Loop: Header=BB399_11 Depth=1
	v_cmp_ne_u32_sdwa s5, v30, v41 src0_sel:BYTE_3 src1_sel:DWORD
	v_bfrev_b32_e32 v0, 1
	buffer_store_dword v0, off, s[0:3], s32 offset:280 ; 4-byte Folded Spill
	s_and_saveexec_b32 s17, s5
	s_cbranch_execz .LBB399_234
; %bb.229:                              ;   in Loop: Header=BB399_11 Depth=1
	v_bfe_u32 v1, v30, 24, 7
	v_mov_b32_e32 v0, 0x7f800001
	s_mov_b32 s23, exec_lo
	buffer_store_dword v0, off, s[0:3], s32 offset:280 ; 4-byte Folded Spill
	v_cmpx_ne_u32_e32 0x7f, v1
	s_cbranch_execz .LBB399_233
; %bb.230:                              ;   in Loop: Header=BB399_11 Depth=1
	v_mov_b32_e32 v0, 7
	s_mov_b32 s24, exec_lo
	v_and_b32_sdwa v8, v30, v0 dst_sel:DWORD dst_unused:UNUSED_PAD src0_sel:BYTE_3 src1_sel:DWORD
	v_mov_b32_e32 v33, v9
	v_lshrrev_b32_e32 v0, 3, v1
	v_mov_b32_e32 v32, v8
	v_cmpx_gt_u32_e32 8, v1
; %bb.231:                              ;   in Loop: Header=BB399_11 Depth=1
	v_ffbh_u32_e32 v0, v8
	v_min_u32_e32 v0, 32, v0
	v_subrev_nc_u32_e32 v1, 28, v0
	v_sub_nc_u32_e32 v0, 29, v0
	v_lshlrev_b64 v[1:2], v1, v[8:9]
	v_and_b32_e32 v32, 7, v1
; %bb.232:                              ;   in Loop: Header=BB399_11 Depth=1
	s_or_b32 exec_lo, exec_lo, s24
	v_mov_b32_e32 v1, 24
	v_lshlrev_b32_e32 v2, 20, v32
	v_lshl_add_u32 v0, v0, 23, 0x3c000000
	v_lshlrev_b32_sdwa v1, v1, v30 dst_sel:DWORD dst_unused:UNUSED_PAD src0_sel:DWORD src1_sel:BYTE_3
	v_and_b32_e32 v1, 0x80000000, v1
	v_or3_b32 v0, v2, v1, v0
	buffer_store_dword v0, off, s[0:3], s32 offset:280 ; 4-byte Folded Spill
.LBB399_233:                            ;   in Loop: Header=BB399_11 Depth=1
	s_or_b32 exec_lo, exec_lo, s23
.LBB399_234:                            ;   in Loop: Header=BB399_11 Depth=1
	s_or_b32 exec_lo, exec_lo, s17
.LBB399_235:                            ;   in Loop: Header=BB399_11 Depth=1
	s_or_b32 exec_lo, exec_lo, s6
	v_mov_b32_e32 v8, v31
	v_cmp_ne_u16_sdwa s5, v31, v9 src0_sel:BYTE_0 src1_sel:DWORD
	s_and_saveexec_b32 s6, s5
	s_cbranch_execz .LBB399_243
; %bb.236:                              ;   in Loop: Header=BB399_11 Depth=1
	v_cmp_ne_u16_sdwa s5, v31, v41 src0_sel:BYTE_0 src1_sel:DWORD
	v_bfrev_b32_e32 v0, 1
	buffer_store_dword v0, off, s[0:3], s32 offset:284 ; 4-byte Folded Spill
	s_and_saveexec_b32 s17, s5
	s_cbranch_execz .LBB399_242
; %bb.237:                              ;   in Loop: Header=BB399_11 Depth=1
	v_and_b32_e32 v1, 0x7f, v31
	v_mov_b32_e32 v0, 0x7f800001
	s_mov_b32 s23, exec_lo
	buffer_store_dword v0, off, s[0:3], s32 offset:284 ; 4-byte Folded Spill
	v_cmpx_ne_u32_e32 0x7f, v1
	s_cbranch_execz .LBB399_241
; %bb.238:                              ;   in Loop: Header=BB399_11 Depth=1
	v_mov_b32_e32 v33, v9
	v_lshrrev_b32_e32 v0, 3, v1
	v_mov_b32_e32 v32, v8
	s_mov_b32 s24, exec_lo
	v_cmpx_gt_u32_e32 8, v1
; %bb.239:                              ;   in Loop: Header=BB399_11 Depth=1
	v_and_b32_e32 v0, 7, v31
	v_ffbh_u32_e32 v0, v0
	v_min_u32_e32 v0, 32, v0
	v_subrev_nc_u32_e32 v1, 28, v0
	v_sub_nc_u32_e32 v0, 29, v0
	v_lshlrev_b64 v[32:33], v1, v[8:9]
; %bb.240:                              ;   in Loop: Header=BB399_11 Depth=1
	s_or_b32 exec_lo, exec_lo, s24
	v_lshlrev_b32_e32 v1, 20, v32
	v_lshlrev_b32_e32 v2, 24, v8
	v_lshl_add_u32 v0, v0, 23, 0x3c000000
	v_and_b32_e32 v1, 0x700000, v1
	v_and_b32_e32 v2, 0x80000000, v2
	v_or3_b32 v0, v1, v2, v0
	buffer_store_dword v0, off, s[0:3], s32 offset:284 ; 4-byte Folded Spill
.LBB399_241:                            ;   in Loop: Header=BB399_11 Depth=1
	s_or_b32 exec_lo, exec_lo, s23
.LBB399_242:                            ;   in Loop: Header=BB399_11 Depth=1
	s_or_b32 exec_lo, exec_lo, s17
.LBB399_243:                            ;   in Loop: Header=BB399_11 Depth=1
	s_or_b32 exec_lo, exec_lo, s6
	v_mov_b32_e32 v0, 0
	v_cmp_ne_u16_sdwa s5, v8, v9 src0_sel:BYTE_1 src1_sel:DWORD
	buffer_store_dword v0, off, s[0:3], s32 offset:288 ; 4-byte Folded Spill
	v_mov_b32_e32 v0, 0
	buffer_store_dword v0, off, s[0:3], s32 offset:292 ; 4-byte Folded Spill
	s_and_saveexec_b32 s6, s5
	s_cbranch_execz .LBB399_251
; %bb.244:                              ;   in Loop: Header=BB399_11 Depth=1
	v_cmp_ne_u16_sdwa s5, v8, v41 src0_sel:BYTE_1 src1_sel:DWORD
	v_bfrev_b32_e32 v0, 1
	buffer_store_dword v0, off, s[0:3], s32 offset:292 ; 4-byte Folded Spill
	s_and_saveexec_b32 s17, s5
	s_cbranch_execz .LBB399_250
; %bb.245:                              ;   in Loop: Header=BB399_11 Depth=1
	v_mov_b32_e32 v0, 0xffff
	v_mov_b32_e32 v2, 0x7f800001
	s_mov_b32 s23, exec_lo
	v_and_b32_sdwa v0, v0, v8 dst_sel:DWORD dst_unused:UNUSED_PAD src0_sel:DWORD src1_sel:BYTE_1
	buffer_store_dword v2, off, s[0:3], s32 offset:292 ; 4-byte Folded Spill
	v_and_b32_e32 v1, 0x7f, v0
	v_cmpx_ne_u32_e32 0x7f, v1
	s_cbranch_execz .LBB399_249
; %bb.246:                              ;   in Loop: Header=BB399_11 Depth=1
	v_and_b32_e32 v32, 7, v0
	v_mov_b32_e32 v33, v9
	v_lshrrev_b32_e32 v0, 3, v1
	s_mov_b32 s24, exec_lo
	v_cmpx_gt_u32_e32 8, v1
; %bb.247:                              ;   in Loop: Header=BB399_11 Depth=1
	v_ffbh_u32_e32 v0, v32
	v_min_u32_e32 v0, 32, v0
	v_subrev_nc_u32_e32 v1, 28, v0
	v_sub_nc_u32_e32 v0, 29, v0
	v_lshlrev_b64 v[1:2], v1, v[32:33]
	v_and_b32_e32 v32, 7, v1
; %bb.248:                              ;   in Loop: Header=BB399_11 Depth=1
	s_or_b32 exec_lo, exec_lo, s24
	v_lshlrev_b32_e32 v1, 16, v8
	v_lshlrev_b32_e32 v2, 20, v32
	v_lshl_add_u32 v0, v0, 23, 0x3c000000
	v_and_b32_e32 v1, 0x80000000, v1
	v_or3_b32 v0, v2, v1, v0
	buffer_store_dword v0, off, s[0:3], s32 offset:292 ; 4-byte Folded Spill
.LBB399_249:                            ;   in Loop: Header=BB399_11 Depth=1
	s_or_b32 exec_lo, exec_lo, s23
.LBB399_250:                            ;   in Loop: Header=BB399_11 Depth=1
	s_or_b32 exec_lo, exec_lo, s17
.LBB399_251:                            ;   in Loop: Header=BB399_11 Depth=1
	s_or_b32 exec_lo, exec_lo, s6
	v_mov_b32_e32 v0, 0xff
	s_mov_b32 s6, exec_lo
	v_and_b32_sdwa v0, v31, v0 dst_sel:DWORD dst_unused:UNUSED_PAD src0_sel:WORD_1 src1_sel:DWORD
	v_cmpx_ne_u16_e32 0, v0
	s_cbranch_execz .LBB399_259
; %bb.252:                              ;   in Loop: Header=BB399_11 Depth=1
	v_cmp_ne_u16_e64 s5, 0x80, v0
	v_bfrev_b32_e32 v0, 1
	buffer_store_dword v0, off, s[0:3], s32 offset:288 ; 4-byte Folded Spill
	s_and_saveexec_b32 s17, s5
	s_cbranch_execz .LBB399_258
; %bb.253:                              ;   in Loop: Header=BB399_11 Depth=1
	v_bfe_u32 v1, v31, 16, 7
	v_mov_b32_e32 v0, 0x7f800001
	s_mov_b32 s23, exec_lo
	buffer_store_dword v0, off, s[0:3], s32 offset:288 ; 4-byte Folded Spill
	v_cmpx_ne_u32_e32 0x7f, v1
	s_cbranch_execz .LBB399_257
; %bb.254:                              ;   in Loop: Header=BB399_11 Depth=1
	v_mov_b32_e32 v0, 7
	s_mov_b32 s24, exec_lo
	v_and_b32_sdwa v8, v31, v0 dst_sel:DWORD dst_unused:UNUSED_PAD src0_sel:WORD_1 src1_sel:DWORD
	v_mov_b32_e32 v33, v9
	v_lshrrev_b32_e32 v0, 3, v1
	v_mov_b32_e32 v32, v8
	v_cmpx_gt_u32_e32 8, v1
; %bb.255:                              ;   in Loop: Header=BB399_11 Depth=1
	v_ffbh_u32_e32 v0, v8
	v_min_u32_e32 v0, 32, v0
	v_subrev_nc_u32_e32 v1, 28, v0
	v_sub_nc_u32_e32 v0, 29, v0
	v_lshlrev_b64 v[1:2], v1, v[8:9]
	v_and_b32_e32 v32, 7, v1
; %bb.256:                              ;   in Loop: Header=BB399_11 Depth=1
	s_or_b32 exec_lo, exec_lo, s24
	v_mov_b32_e32 v1, 24
	v_lshlrev_b32_e32 v2, 20, v32
	v_lshl_add_u32 v0, v0, 23, 0x3c000000
	v_lshlrev_b32_sdwa v1, v1, v31 dst_sel:DWORD dst_unused:UNUSED_PAD src0_sel:DWORD src1_sel:WORD_1
	v_and_b32_e32 v1, 0x80000000, v1
	v_or3_b32 v0, v2, v1, v0
	buffer_store_dword v0, off, s[0:3], s32 offset:288 ; 4-byte Folded Spill
.LBB399_257:                            ;   in Loop: Header=BB399_11 Depth=1
	s_or_b32 exec_lo, exec_lo, s23
.LBB399_258:                            ;   in Loop: Header=BB399_11 Depth=1
	s_or_b32 exec_lo, exec_lo, s17
.LBB399_259:                            ;   in Loop: Header=BB399_11 Depth=1
	s_or_b32 exec_lo, exec_lo, s6
	v_mov_b32_e32 v0, 0
	s_mov_b32 s6, exec_lo
	buffer_store_dword v0, off, s[0:3], s32 offset:300 ; 4-byte Folded Spill
	v_mov_b32_e32 v0, 0
	buffer_store_dword v0, off, s[0:3], s32 offset:296 ; 4-byte Folded Spill
	v_cmpx_lt_u64_e64 s[8:9], v[30:31]
	s_cbranch_execz .LBB399_267
; %bb.260:                              ;   in Loop: Header=BB399_11 Depth=1
	v_cmp_ne_u32_sdwa s5, v31, v41 src0_sel:BYTE_3 src1_sel:DWORD
	v_bfrev_b32_e32 v0, 1
	buffer_store_dword v0, off, s[0:3], s32 offset:296 ; 4-byte Folded Spill
	s_and_saveexec_b32 s17, s5
	s_cbranch_execz .LBB399_266
; %bb.261:                              ;   in Loop: Header=BB399_11 Depth=1
	v_bfe_u32 v1, v31, 24, 7
	v_mov_b32_e32 v0, 0x7f800001
	s_mov_b32 s23, exec_lo
	buffer_store_dword v0, off, s[0:3], s32 offset:296 ; 4-byte Folded Spill
	v_cmpx_ne_u32_e32 0x7f, v1
	s_cbranch_execz .LBB399_265
; %bb.262:                              ;   in Loop: Header=BB399_11 Depth=1
	v_mov_b32_e32 v0, 7
	s_mov_b32 s24, exec_lo
	v_and_b32_sdwa v8, v31, v0 dst_sel:DWORD dst_unused:UNUSED_PAD src0_sel:BYTE_3 src1_sel:DWORD
	v_mov_b32_e32 v33, v9
	v_lshrrev_b32_e32 v0, 3, v1
	v_mov_b32_e32 v32, v8
	v_cmpx_gt_u32_e32 8, v1
; %bb.263:                              ;   in Loop: Header=BB399_11 Depth=1
	v_ffbh_u32_e32 v0, v8
	v_min_u32_e32 v0, 32, v0
	v_subrev_nc_u32_e32 v1, 28, v0
	v_sub_nc_u32_e32 v0, 29, v0
	v_lshlrev_b64 v[1:2], v1, v[8:9]
	v_and_b32_e32 v32, 7, v1
; %bb.264:                              ;   in Loop: Header=BB399_11 Depth=1
	s_or_b32 exec_lo, exec_lo, s24
	v_mov_b32_e32 v1, 24
	v_lshlrev_b32_e32 v2, 20, v32
	v_lshl_add_u32 v0, v0, 23, 0x3c000000
	v_lshlrev_b32_sdwa v1, v1, v31 dst_sel:DWORD dst_unused:UNUSED_PAD src0_sel:DWORD src1_sel:BYTE_3
	v_and_b32_e32 v1, 0x80000000, v1
	v_or3_b32 v0, v2, v1, v0
	buffer_store_dword v0, off, s[0:3], s32 offset:296 ; 4-byte Folded Spill
.LBB399_265:                            ;   in Loop: Header=BB399_11 Depth=1
	s_or_b32 exec_lo, exec_lo, s23
.LBB399_266:                            ;   in Loop: Header=BB399_11 Depth=1
	s_or_b32 exec_lo, exec_lo, s17
.LBB399_267:                            ;   in Loop: Header=BB399_11 Depth=1
	s_or_b32 exec_lo, exec_lo, s6
	flat_load_dwordx2 v[30:31], v[28:29] offset:1024
	s_waitcnt vmcnt(0) lgkmcnt(0)
	v_cmp_ne_u16_sdwa s5, v30, v9 src0_sel:BYTE_0 src1_sel:DWORD
	s_and_saveexec_b32 s6, s5
	s_cbranch_execz .LBB399_275
; %bb.268:                              ;   in Loop: Header=BB399_11 Depth=1
	v_cmp_ne_u16_sdwa s5, v30, v41 src0_sel:BYTE_0 src1_sel:DWORD
	v_bfrev_b32_e32 v0, 1
	buffer_store_dword v0, off, s[0:3], s32 offset:300 ; 4-byte Folded Spill
	s_and_saveexec_b32 s17, s5
	s_cbranch_execz .LBB399_274
; %bb.269:                              ;   in Loop: Header=BB399_11 Depth=1
	v_and_b32_e32 v1, 0x7f, v30
	v_mov_b32_e32 v0, 0x7f800001
	s_mov_b32 s23, exec_lo
	buffer_store_dword v0, off, s[0:3], s32 offset:300 ; 4-byte Folded Spill
	v_cmpx_ne_u32_e32 0x7f, v1
	s_cbranch_execz .LBB399_273
; %bb.270:                              ;   in Loop: Header=BB399_11 Depth=1
	v_mov_b32_e32 v33, v31
	v_lshrrev_b32_e32 v0, 3, v1
	v_mov_b32_e32 v32, v30
	s_mov_b32 s24, exec_lo
	v_cmpx_gt_u32_e32 8, v1
; %bb.271:                              ;   in Loop: Header=BB399_11 Depth=1
	v_and_b32_e32 v0, 7, v30
	v_ffbh_u32_e32 v0, v0
	v_min_u32_e32 v0, 32, v0
	v_subrev_nc_u32_e32 v1, 28, v0
	v_sub_nc_u32_e32 v0, 29, v0
	v_lshlrev_b64 v[32:33], v1, v[30:31]
; %bb.272:                              ;   in Loop: Header=BB399_11 Depth=1
	s_or_b32 exec_lo, exec_lo, s24
	v_lshlrev_b32_e32 v1, 20, v32
	v_lshlrev_b32_e32 v2, 24, v30
	v_lshl_add_u32 v0, v0, 23, 0x3c000000
	v_and_b32_e32 v1, 0x700000, v1
	v_and_b32_e32 v2, 0x80000000, v2
	v_or3_b32 v0, v1, v2, v0
	buffer_store_dword v0, off, s[0:3], s32 offset:300 ; 4-byte Folded Spill
.LBB399_273:                            ;   in Loop: Header=BB399_11 Depth=1
	s_or_b32 exec_lo, exec_lo, s23
.LBB399_274:                            ;   in Loop: Header=BB399_11 Depth=1
	s_or_b32 exec_lo, exec_lo, s17
.LBB399_275:                            ;   in Loop: Header=BB399_11 Depth=1
	s_or_b32 exec_lo, exec_lo, s6
	v_mov_b32_e32 v0, 0
	v_cmp_ne_u16_sdwa s5, v30, v9 src0_sel:BYTE_1 src1_sel:DWORD
	buffer_store_dword v0, off, s[0:3], s32 offset:308 ; 4-byte Folded Spill
	v_mov_b32_e32 v0, 0
	buffer_store_dword v0, off, s[0:3], s32 offset:304 ; 4-byte Folded Spill
	s_and_saveexec_b32 s6, s5
	s_cbranch_execz .LBB399_283
; %bb.276:                              ;   in Loop: Header=BB399_11 Depth=1
	v_cmp_ne_u16_sdwa s5, v30, v41 src0_sel:BYTE_1 src1_sel:DWORD
	v_bfrev_b32_e32 v0, 1
	buffer_store_dword v0, off, s[0:3], s32 offset:304 ; 4-byte Folded Spill
	s_and_saveexec_b32 s17, s5
	s_cbranch_execz .LBB399_282
; %bb.277:                              ;   in Loop: Header=BB399_11 Depth=1
	v_mov_b32_e32 v0, 0xffff
	v_mov_b32_e32 v2, 0x7f800001
	s_mov_b32 s23, exec_lo
	v_and_b32_sdwa v0, v0, v30 dst_sel:DWORD dst_unused:UNUSED_PAD src0_sel:DWORD src1_sel:BYTE_1
	buffer_store_dword v2, off, s[0:3], s32 offset:304 ; 4-byte Folded Spill
	v_and_b32_e32 v1, 0x7f, v0
	v_cmpx_ne_u32_e32 0x7f, v1
	s_cbranch_execz .LBB399_281
; %bb.278:                              ;   in Loop: Header=BB399_11 Depth=1
	v_and_b32_e32 v8, 7, v0
	v_mov_b32_e32 v33, v9
	v_lshrrev_b32_e32 v0, 3, v1
	s_mov_b32 s24, exec_lo
	v_mov_b32_e32 v32, v8
	v_cmpx_gt_u32_e32 8, v1
; %bb.279:                              ;   in Loop: Header=BB399_11 Depth=1
	v_ffbh_u32_e32 v0, v8
	v_min_u32_e32 v0, 32, v0
	v_subrev_nc_u32_e32 v1, 28, v0
	v_sub_nc_u32_e32 v0, 29, v0
	v_lshlrev_b64 v[1:2], v1, v[8:9]
	v_and_b32_e32 v32, 7, v1
; %bb.280:                              ;   in Loop: Header=BB399_11 Depth=1
	s_or_b32 exec_lo, exec_lo, s24
	v_lshlrev_b32_e32 v1, 16, v30
	v_lshlrev_b32_e32 v2, 20, v32
	v_lshl_add_u32 v0, v0, 23, 0x3c000000
	v_and_b32_e32 v1, 0x80000000, v1
	v_or3_b32 v0, v2, v1, v0
	buffer_store_dword v0, off, s[0:3], s32 offset:304 ; 4-byte Folded Spill
.LBB399_281:                            ;   in Loop: Header=BB399_11 Depth=1
	s_or_b32 exec_lo, exec_lo, s23
.LBB399_282:                            ;   in Loop: Header=BB399_11 Depth=1
	s_or_b32 exec_lo, exec_lo, s17
.LBB399_283:                            ;   in Loop: Header=BB399_11 Depth=1
	s_or_b32 exec_lo, exec_lo, s6
	v_mov_b32_e32 v0, 0xff
	s_mov_b32 s6, exec_lo
	v_and_b32_sdwa v0, v30, v0 dst_sel:DWORD dst_unused:UNUSED_PAD src0_sel:WORD_1 src1_sel:DWORD
	v_cmpx_ne_u16_e32 0, v0
	s_cbranch_execz .LBB399_291
; %bb.284:                              ;   in Loop: Header=BB399_11 Depth=1
	v_cmp_ne_u16_e64 s5, 0x80, v0
	v_bfrev_b32_e32 v0, 1
	buffer_store_dword v0, off, s[0:3], s32 offset:308 ; 4-byte Folded Spill
	s_and_saveexec_b32 s17, s5
	s_cbranch_execz .LBB399_290
; %bb.285:                              ;   in Loop: Header=BB399_11 Depth=1
	v_bfe_u32 v1, v30, 16, 7
	v_mov_b32_e32 v0, 0x7f800001
	s_mov_b32 s23, exec_lo
	buffer_store_dword v0, off, s[0:3], s32 offset:308 ; 4-byte Folded Spill
	v_cmpx_ne_u32_e32 0x7f, v1
	s_cbranch_execz .LBB399_289
; %bb.286:                              ;   in Loop: Header=BB399_11 Depth=1
	v_mov_b32_e32 v0, 7
	s_mov_b32 s24, exec_lo
	v_and_b32_sdwa v8, v30, v0 dst_sel:DWORD dst_unused:UNUSED_PAD src0_sel:WORD_1 src1_sel:DWORD
	v_mov_b32_e32 v33, v9
	v_lshrrev_b32_e32 v0, 3, v1
	v_mov_b32_e32 v32, v8
	v_cmpx_gt_u32_e32 8, v1
; %bb.287:                              ;   in Loop: Header=BB399_11 Depth=1
	v_ffbh_u32_e32 v0, v8
	v_min_u32_e32 v0, 32, v0
	v_subrev_nc_u32_e32 v1, 28, v0
	v_sub_nc_u32_e32 v0, 29, v0
	v_lshlrev_b64 v[1:2], v1, v[8:9]
	v_and_b32_e32 v32, 7, v1
; %bb.288:                              ;   in Loop: Header=BB399_11 Depth=1
	s_or_b32 exec_lo, exec_lo, s24
	v_mov_b32_e32 v1, 24
	v_lshlrev_b32_e32 v2, 20, v32
	v_lshl_add_u32 v0, v0, 23, 0x3c000000
	v_lshlrev_b32_sdwa v1, v1, v30 dst_sel:DWORD dst_unused:UNUSED_PAD src0_sel:DWORD src1_sel:WORD_1
	v_and_b32_e32 v1, 0x80000000, v1
	v_or3_b32 v0, v2, v1, v0
	buffer_store_dword v0, off, s[0:3], s32 offset:308 ; 4-byte Folded Spill
.LBB399_289:                            ;   in Loop: Header=BB399_11 Depth=1
	s_or_b32 exec_lo, exec_lo, s23
.LBB399_290:                            ;   in Loop: Header=BB399_11 Depth=1
	s_or_b32 exec_lo, exec_lo, s17
.LBB399_291:                            ;   in Loop: Header=BB399_11 Depth=1
	s_or_b32 exec_lo, exec_lo, s6
	v_mov_b32_e32 v0, 0
	s_mov_b32 s6, exec_lo
	buffer_store_dword v0, off, s[0:3], s32 offset:316 ; 4-byte Folded Spill
	v_mov_b32_e32 v0, 0
	buffer_store_dword v0, off, s[0:3], s32 offset:312 ; 4-byte Folded Spill
	v_cmpx_lt_u32_e32 0xffffff, v30
	s_cbranch_execz .LBB399_299
; %bb.292:                              ;   in Loop: Header=BB399_11 Depth=1
	v_cmp_ne_u32_sdwa s5, v30, v41 src0_sel:BYTE_3 src1_sel:DWORD
	v_bfrev_b32_e32 v0, 1
	buffer_store_dword v0, off, s[0:3], s32 offset:312 ; 4-byte Folded Spill
	s_and_saveexec_b32 s17, s5
	s_cbranch_execz .LBB399_298
; %bb.293:                              ;   in Loop: Header=BB399_11 Depth=1
	v_bfe_u32 v1, v30, 24, 7
	v_mov_b32_e32 v0, 0x7f800001
	s_mov_b32 s23, exec_lo
	buffer_store_dword v0, off, s[0:3], s32 offset:312 ; 4-byte Folded Spill
	v_cmpx_ne_u32_e32 0x7f, v1
	s_cbranch_execz .LBB399_297
; %bb.294:                              ;   in Loop: Header=BB399_11 Depth=1
	v_mov_b32_e32 v0, 7
	s_mov_b32 s24, exec_lo
	v_and_b32_sdwa v8, v30, v0 dst_sel:DWORD dst_unused:UNUSED_PAD src0_sel:BYTE_3 src1_sel:DWORD
	v_mov_b32_e32 v33, v9
	v_lshrrev_b32_e32 v0, 3, v1
	v_mov_b32_e32 v32, v8
	v_cmpx_gt_u32_e32 8, v1
; %bb.295:                              ;   in Loop: Header=BB399_11 Depth=1
	v_ffbh_u32_e32 v0, v8
	v_min_u32_e32 v0, 32, v0
	v_subrev_nc_u32_e32 v1, 28, v0
	v_sub_nc_u32_e32 v0, 29, v0
	v_lshlrev_b64 v[1:2], v1, v[8:9]
	v_and_b32_e32 v32, 7, v1
; %bb.296:                              ;   in Loop: Header=BB399_11 Depth=1
	s_or_b32 exec_lo, exec_lo, s24
	v_mov_b32_e32 v1, 24
	v_lshlrev_b32_e32 v2, 20, v32
	v_lshl_add_u32 v0, v0, 23, 0x3c000000
	v_lshlrev_b32_sdwa v1, v1, v30 dst_sel:DWORD dst_unused:UNUSED_PAD src0_sel:DWORD src1_sel:BYTE_3
	v_and_b32_e32 v1, 0x80000000, v1
	v_or3_b32 v0, v2, v1, v0
	buffer_store_dword v0, off, s[0:3], s32 offset:312 ; 4-byte Folded Spill
.LBB399_297:                            ;   in Loop: Header=BB399_11 Depth=1
	s_or_b32 exec_lo, exec_lo, s23
.LBB399_298:                            ;   in Loop: Header=BB399_11 Depth=1
	s_or_b32 exec_lo, exec_lo, s17
.LBB399_299:                            ;   in Loop: Header=BB399_11 Depth=1
	s_or_b32 exec_lo, exec_lo, s6
	v_mov_b32_e32 v8, v31
	v_cmp_ne_u16_sdwa s5, v31, v9 src0_sel:BYTE_0 src1_sel:DWORD
	s_and_saveexec_b32 s6, s5
	s_cbranch_execz .LBB399_307
; %bb.300:                              ;   in Loop: Header=BB399_11 Depth=1
	v_cmp_ne_u16_sdwa s5, v31, v41 src0_sel:BYTE_0 src1_sel:DWORD
	v_bfrev_b32_e32 v0, 1
	buffer_store_dword v0, off, s[0:3], s32 offset:316 ; 4-byte Folded Spill
	s_and_saveexec_b32 s17, s5
	s_cbranch_execz .LBB399_306
; %bb.301:                              ;   in Loop: Header=BB399_11 Depth=1
	v_and_b32_e32 v1, 0x7f, v31
	v_mov_b32_e32 v0, 0x7f800001
	s_mov_b32 s23, exec_lo
	buffer_store_dword v0, off, s[0:3], s32 offset:316 ; 4-byte Folded Spill
	v_cmpx_ne_u32_e32 0x7f, v1
	s_cbranch_execz .LBB399_305
; %bb.302:                              ;   in Loop: Header=BB399_11 Depth=1
	v_mov_b32_e32 v33, v9
	v_lshrrev_b32_e32 v0, 3, v1
	v_mov_b32_e32 v32, v8
	s_mov_b32 s24, exec_lo
	v_cmpx_gt_u32_e32 8, v1
; %bb.303:                              ;   in Loop: Header=BB399_11 Depth=1
	v_and_b32_e32 v0, 7, v31
	v_ffbh_u32_e32 v0, v0
	v_min_u32_e32 v0, 32, v0
	v_subrev_nc_u32_e32 v1, 28, v0
	v_sub_nc_u32_e32 v0, 29, v0
	v_lshlrev_b64 v[32:33], v1, v[8:9]
; %bb.304:                              ;   in Loop: Header=BB399_11 Depth=1
	s_or_b32 exec_lo, exec_lo, s24
	v_lshlrev_b32_e32 v1, 20, v32
	v_lshlrev_b32_e32 v2, 24, v8
	v_lshl_add_u32 v0, v0, 23, 0x3c000000
	v_and_b32_e32 v1, 0x700000, v1
	v_and_b32_e32 v2, 0x80000000, v2
	v_or3_b32 v0, v1, v2, v0
	buffer_store_dword v0, off, s[0:3], s32 offset:316 ; 4-byte Folded Spill
.LBB399_305:                            ;   in Loop: Header=BB399_11 Depth=1
	s_or_b32 exec_lo, exec_lo, s23
.LBB399_306:                            ;   in Loop: Header=BB399_11 Depth=1
	s_or_b32 exec_lo, exec_lo, s17
.LBB399_307:                            ;   in Loop: Header=BB399_11 Depth=1
	s_or_b32 exec_lo, exec_lo, s6
	v_mov_b32_e32 v0, 0
	v_cmp_ne_u16_sdwa s5, v8, v9 src0_sel:BYTE_1 src1_sel:DWORD
	buffer_store_dword v0, off, s[0:3], s32 offset:320 ; 4-byte Folded Spill
	v_mov_b32_e32 v0, 0
	buffer_store_dword v0, off, s[0:3], s32 offset:324 ; 4-byte Folded Spill
	s_and_saveexec_b32 s6, s5
	s_cbranch_execz .LBB399_315
; %bb.308:                              ;   in Loop: Header=BB399_11 Depth=1
	v_cmp_ne_u16_sdwa s5, v8, v41 src0_sel:BYTE_1 src1_sel:DWORD
	v_bfrev_b32_e32 v0, 1
	buffer_store_dword v0, off, s[0:3], s32 offset:324 ; 4-byte Folded Spill
	s_and_saveexec_b32 s17, s5
	s_cbranch_execz .LBB399_314
; %bb.309:                              ;   in Loop: Header=BB399_11 Depth=1
	v_mov_b32_e32 v0, 0xffff
	v_mov_b32_e32 v2, 0x7f800001
	s_mov_b32 s23, exec_lo
	v_and_b32_sdwa v0, v0, v8 dst_sel:DWORD dst_unused:UNUSED_PAD src0_sel:DWORD src1_sel:BYTE_1
	buffer_store_dword v2, off, s[0:3], s32 offset:324 ; 4-byte Folded Spill
	v_and_b32_e32 v1, 0x7f, v0
	v_cmpx_ne_u32_e32 0x7f, v1
	s_cbranch_execz .LBB399_313
; %bb.310:                              ;   in Loop: Header=BB399_11 Depth=1
	v_and_b32_e32 v32, 7, v0
	v_mov_b32_e32 v33, v9
	v_lshrrev_b32_e32 v0, 3, v1
	s_mov_b32 s24, exec_lo
	v_cmpx_gt_u32_e32 8, v1
; %bb.311:                              ;   in Loop: Header=BB399_11 Depth=1
	v_ffbh_u32_e32 v0, v32
	v_min_u32_e32 v0, 32, v0
	v_subrev_nc_u32_e32 v1, 28, v0
	v_sub_nc_u32_e32 v0, 29, v0
	v_lshlrev_b64 v[1:2], v1, v[32:33]
	v_and_b32_e32 v32, 7, v1
; %bb.312:                              ;   in Loop: Header=BB399_11 Depth=1
	s_or_b32 exec_lo, exec_lo, s24
	v_lshlrev_b32_e32 v1, 16, v8
	v_lshlrev_b32_e32 v2, 20, v32
	v_lshl_add_u32 v0, v0, 23, 0x3c000000
	v_and_b32_e32 v1, 0x80000000, v1
	v_or3_b32 v0, v2, v1, v0
	buffer_store_dword v0, off, s[0:3], s32 offset:324 ; 4-byte Folded Spill
.LBB399_313:                            ;   in Loop: Header=BB399_11 Depth=1
	s_or_b32 exec_lo, exec_lo, s23
.LBB399_314:                            ;   in Loop: Header=BB399_11 Depth=1
	s_or_b32 exec_lo, exec_lo, s17
.LBB399_315:                            ;   in Loop: Header=BB399_11 Depth=1
	s_or_b32 exec_lo, exec_lo, s6
	v_mov_b32_e32 v0, 0xff
	s_mov_b32 s6, exec_lo
	v_and_b32_sdwa v0, v31, v0 dst_sel:DWORD dst_unused:UNUSED_PAD src0_sel:WORD_1 src1_sel:DWORD
	v_cmpx_ne_u16_e32 0, v0
	s_cbranch_execz .LBB399_323
; %bb.316:                              ;   in Loop: Header=BB399_11 Depth=1
	v_cmp_ne_u16_e64 s5, 0x80, v0
	v_bfrev_b32_e32 v0, 1
	buffer_store_dword v0, off, s[0:3], s32 offset:320 ; 4-byte Folded Spill
	s_and_saveexec_b32 s17, s5
	s_cbranch_execz .LBB399_322
; %bb.317:                              ;   in Loop: Header=BB399_11 Depth=1
	v_bfe_u32 v1, v31, 16, 7
	v_mov_b32_e32 v0, 0x7f800001
	s_mov_b32 s23, exec_lo
	buffer_store_dword v0, off, s[0:3], s32 offset:320 ; 4-byte Folded Spill
	v_cmpx_ne_u32_e32 0x7f, v1
	s_cbranch_execz .LBB399_321
; %bb.318:                              ;   in Loop: Header=BB399_11 Depth=1
	v_mov_b32_e32 v0, 7
	s_mov_b32 s24, exec_lo
	v_and_b32_sdwa v8, v31, v0 dst_sel:DWORD dst_unused:UNUSED_PAD src0_sel:WORD_1 src1_sel:DWORD
	v_mov_b32_e32 v33, v9
	v_lshrrev_b32_e32 v0, 3, v1
	v_mov_b32_e32 v32, v8
	v_cmpx_gt_u32_e32 8, v1
; %bb.319:                              ;   in Loop: Header=BB399_11 Depth=1
	v_ffbh_u32_e32 v0, v8
	v_min_u32_e32 v0, 32, v0
	v_subrev_nc_u32_e32 v1, 28, v0
	v_sub_nc_u32_e32 v0, 29, v0
	v_lshlrev_b64 v[1:2], v1, v[8:9]
	v_and_b32_e32 v32, 7, v1
; %bb.320:                              ;   in Loop: Header=BB399_11 Depth=1
	s_or_b32 exec_lo, exec_lo, s24
	v_mov_b32_e32 v1, 24
	v_lshlrev_b32_e32 v2, 20, v32
	v_lshl_add_u32 v0, v0, 23, 0x3c000000
	v_lshlrev_b32_sdwa v1, v1, v31 dst_sel:DWORD dst_unused:UNUSED_PAD src0_sel:DWORD src1_sel:WORD_1
	v_and_b32_e32 v1, 0x80000000, v1
	v_or3_b32 v0, v2, v1, v0
	buffer_store_dword v0, off, s[0:3], s32 offset:320 ; 4-byte Folded Spill
.LBB399_321:                            ;   in Loop: Header=BB399_11 Depth=1
	s_or_b32 exec_lo, exec_lo, s23
.LBB399_322:                            ;   in Loop: Header=BB399_11 Depth=1
	s_or_b32 exec_lo, exec_lo, s17
.LBB399_323:                            ;   in Loop: Header=BB399_11 Depth=1
	s_or_b32 exec_lo, exec_lo, s6
	v_mov_b32_e32 v0, 0
	s_mov_b32 s6, exec_lo
	buffer_store_dword v0, off, s[0:3], s32 offset:332 ; 4-byte Folded Spill
	v_mov_b32_e32 v0, 0
	buffer_store_dword v0, off, s[0:3], s32 offset:328 ; 4-byte Folded Spill
	v_cmpx_lt_u64_e64 s[8:9], v[30:31]
	s_cbranch_execz .LBB399_331
; %bb.324:                              ;   in Loop: Header=BB399_11 Depth=1
	v_cmp_ne_u32_sdwa s5, v31, v41 src0_sel:BYTE_3 src1_sel:DWORD
	v_bfrev_b32_e32 v0, 1
	buffer_store_dword v0, off, s[0:3], s32 offset:328 ; 4-byte Folded Spill
	s_and_saveexec_b32 s17, s5
	s_cbranch_execz .LBB399_330
; %bb.325:                              ;   in Loop: Header=BB399_11 Depth=1
	v_bfe_u32 v1, v31, 24, 7
	v_mov_b32_e32 v0, 0x7f800001
	s_mov_b32 s23, exec_lo
	buffer_store_dword v0, off, s[0:3], s32 offset:328 ; 4-byte Folded Spill
	v_cmpx_ne_u32_e32 0x7f, v1
	s_cbranch_execz .LBB399_329
; %bb.326:                              ;   in Loop: Header=BB399_11 Depth=1
	v_mov_b32_e32 v0, 7
	s_mov_b32 s24, exec_lo
	v_and_b32_sdwa v8, v31, v0 dst_sel:DWORD dst_unused:UNUSED_PAD src0_sel:BYTE_3 src1_sel:DWORD
	v_mov_b32_e32 v33, v9
	v_lshrrev_b32_e32 v0, 3, v1
	v_mov_b32_e32 v32, v8
	v_cmpx_gt_u32_e32 8, v1
; %bb.327:                              ;   in Loop: Header=BB399_11 Depth=1
	v_ffbh_u32_e32 v0, v8
	v_min_u32_e32 v0, 32, v0
	v_subrev_nc_u32_e32 v1, 28, v0
	v_sub_nc_u32_e32 v0, 29, v0
	v_lshlrev_b64 v[1:2], v1, v[8:9]
	v_and_b32_e32 v32, 7, v1
; %bb.328:                              ;   in Loop: Header=BB399_11 Depth=1
	s_or_b32 exec_lo, exec_lo, s24
	v_mov_b32_e32 v1, 24
	v_lshlrev_b32_e32 v2, 20, v32
	v_lshl_add_u32 v0, v0, 23, 0x3c000000
	v_lshlrev_b32_sdwa v1, v1, v31 dst_sel:DWORD dst_unused:UNUSED_PAD src0_sel:DWORD src1_sel:BYTE_3
	v_and_b32_e32 v1, 0x80000000, v1
	v_or3_b32 v0, v2, v1, v0
	buffer_store_dword v0, off, s[0:3], s32 offset:328 ; 4-byte Folded Spill
.LBB399_329:                            ;   in Loop: Header=BB399_11 Depth=1
	s_or_b32 exec_lo, exec_lo, s23
.LBB399_330:                            ;   in Loop: Header=BB399_11 Depth=1
	s_or_b32 exec_lo, exec_lo, s17
.LBB399_331:                            ;   in Loop: Header=BB399_11 Depth=1
	s_or_b32 exec_lo, exec_lo, s6
	flat_load_dwordx2 v[30:31], v[28:29] offset:1032
	s_waitcnt vmcnt(0) lgkmcnt(0)
	v_cmp_ne_u16_sdwa s5, v30, v9 src0_sel:BYTE_0 src1_sel:DWORD
	s_and_saveexec_b32 s6, s5
	s_cbranch_execz .LBB399_339
; %bb.332:                              ;   in Loop: Header=BB399_11 Depth=1
	v_cmp_ne_u16_sdwa s5, v30, v41 src0_sel:BYTE_0 src1_sel:DWORD
	v_bfrev_b32_e32 v0, 1
	buffer_store_dword v0, off, s[0:3], s32 offset:332 ; 4-byte Folded Spill
	s_and_saveexec_b32 s17, s5
	s_cbranch_execz .LBB399_338
; %bb.333:                              ;   in Loop: Header=BB399_11 Depth=1
	v_and_b32_e32 v1, 0x7f, v30
	v_mov_b32_e32 v0, 0x7f800001
	s_mov_b32 s23, exec_lo
	buffer_store_dword v0, off, s[0:3], s32 offset:332 ; 4-byte Folded Spill
	v_cmpx_ne_u32_e32 0x7f, v1
	s_cbranch_execz .LBB399_337
; %bb.334:                              ;   in Loop: Header=BB399_11 Depth=1
	v_mov_b32_e32 v33, v31
	v_lshrrev_b32_e32 v0, 3, v1
	v_mov_b32_e32 v32, v30
	s_mov_b32 s24, exec_lo
	v_cmpx_gt_u32_e32 8, v1
; %bb.335:                              ;   in Loop: Header=BB399_11 Depth=1
	v_and_b32_e32 v0, 7, v30
	v_ffbh_u32_e32 v0, v0
	v_min_u32_e32 v0, 32, v0
	v_subrev_nc_u32_e32 v1, 28, v0
	v_sub_nc_u32_e32 v0, 29, v0
	v_lshlrev_b64 v[32:33], v1, v[30:31]
; %bb.336:                              ;   in Loop: Header=BB399_11 Depth=1
	s_or_b32 exec_lo, exec_lo, s24
	v_lshlrev_b32_e32 v1, 20, v32
	v_lshlrev_b32_e32 v2, 24, v30
	v_lshl_add_u32 v0, v0, 23, 0x3c000000
	v_and_b32_e32 v1, 0x700000, v1
	v_and_b32_e32 v2, 0x80000000, v2
	v_or3_b32 v0, v1, v2, v0
	buffer_store_dword v0, off, s[0:3], s32 offset:332 ; 4-byte Folded Spill
.LBB399_337:                            ;   in Loop: Header=BB399_11 Depth=1
	s_or_b32 exec_lo, exec_lo, s23
.LBB399_338:                            ;   in Loop: Header=BB399_11 Depth=1
	s_or_b32 exec_lo, exec_lo, s17
.LBB399_339:                            ;   in Loop: Header=BB399_11 Depth=1
	s_or_b32 exec_lo, exec_lo, s6
	v_mov_b32_e32 v0, 0
	v_cmp_ne_u16_sdwa s5, v30, v9 src0_sel:BYTE_1 src1_sel:DWORD
	buffer_store_dword v0, off, s[0:3], s32 offset:340 ; 4-byte Folded Spill
	v_mov_b32_e32 v0, 0
	buffer_store_dword v0, off, s[0:3], s32 offset:336 ; 4-byte Folded Spill
	s_and_saveexec_b32 s6, s5
	s_cbranch_execz .LBB399_347
; %bb.340:                              ;   in Loop: Header=BB399_11 Depth=1
	v_cmp_ne_u16_sdwa s5, v30, v41 src0_sel:BYTE_1 src1_sel:DWORD
	v_bfrev_b32_e32 v0, 1
	buffer_store_dword v0, off, s[0:3], s32 offset:336 ; 4-byte Folded Spill
	s_and_saveexec_b32 s17, s5
	s_cbranch_execz .LBB399_346
; %bb.341:                              ;   in Loop: Header=BB399_11 Depth=1
	v_mov_b32_e32 v0, 0xffff
	v_mov_b32_e32 v2, 0x7f800001
	s_mov_b32 s23, exec_lo
	v_and_b32_sdwa v0, v0, v30 dst_sel:DWORD dst_unused:UNUSED_PAD src0_sel:DWORD src1_sel:BYTE_1
	buffer_store_dword v2, off, s[0:3], s32 offset:336 ; 4-byte Folded Spill
	v_and_b32_e32 v1, 0x7f, v0
	v_cmpx_ne_u32_e32 0x7f, v1
	s_cbranch_execz .LBB399_345
; %bb.342:                              ;   in Loop: Header=BB399_11 Depth=1
	v_and_b32_e32 v8, 7, v0
	v_mov_b32_e32 v33, v9
	v_lshrrev_b32_e32 v0, 3, v1
	s_mov_b32 s24, exec_lo
	v_mov_b32_e32 v32, v8
	v_cmpx_gt_u32_e32 8, v1
; %bb.343:                              ;   in Loop: Header=BB399_11 Depth=1
	v_ffbh_u32_e32 v0, v8
	v_min_u32_e32 v0, 32, v0
	v_subrev_nc_u32_e32 v1, 28, v0
	v_sub_nc_u32_e32 v0, 29, v0
	v_lshlrev_b64 v[1:2], v1, v[8:9]
	v_and_b32_e32 v32, 7, v1
; %bb.344:                              ;   in Loop: Header=BB399_11 Depth=1
	s_or_b32 exec_lo, exec_lo, s24
	v_lshlrev_b32_e32 v1, 16, v30
	v_lshlrev_b32_e32 v2, 20, v32
	v_lshl_add_u32 v0, v0, 23, 0x3c000000
	v_and_b32_e32 v1, 0x80000000, v1
	v_or3_b32 v0, v2, v1, v0
	buffer_store_dword v0, off, s[0:3], s32 offset:336 ; 4-byte Folded Spill
.LBB399_345:                            ;   in Loop: Header=BB399_11 Depth=1
	s_or_b32 exec_lo, exec_lo, s23
.LBB399_346:                            ;   in Loop: Header=BB399_11 Depth=1
	s_or_b32 exec_lo, exec_lo, s17
.LBB399_347:                            ;   in Loop: Header=BB399_11 Depth=1
	s_or_b32 exec_lo, exec_lo, s6
	v_mov_b32_e32 v0, 0xff
	s_mov_b32 s6, exec_lo
	v_and_b32_sdwa v0, v30, v0 dst_sel:DWORD dst_unused:UNUSED_PAD src0_sel:WORD_1 src1_sel:DWORD
	v_cmpx_ne_u16_e32 0, v0
	s_cbranch_execz .LBB399_355
; %bb.348:                              ;   in Loop: Header=BB399_11 Depth=1
	v_cmp_ne_u16_e64 s5, 0x80, v0
	v_bfrev_b32_e32 v0, 1
	buffer_store_dword v0, off, s[0:3], s32 offset:340 ; 4-byte Folded Spill
	s_and_saveexec_b32 s17, s5
	s_cbranch_execz .LBB399_354
; %bb.349:                              ;   in Loop: Header=BB399_11 Depth=1
	v_bfe_u32 v1, v30, 16, 7
	v_mov_b32_e32 v0, 0x7f800001
	s_mov_b32 s23, exec_lo
	buffer_store_dword v0, off, s[0:3], s32 offset:340 ; 4-byte Folded Spill
	v_cmpx_ne_u32_e32 0x7f, v1
	s_cbranch_execz .LBB399_353
; %bb.350:                              ;   in Loop: Header=BB399_11 Depth=1
	v_mov_b32_e32 v0, 7
	s_mov_b32 s24, exec_lo
	v_and_b32_sdwa v8, v30, v0 dst_sel:DWORD dst_unused:UNUSED_PAD src0_sel:WORD_1 src1_sel:DWORD
	v_mov_b32_e32 v33, v9
	v_lshrrev_b32_e32 v0, 3, v1
	v_mov_b32_e32 v32, v8
	v_cmpx_gt_u32_e32 8, v1
; %bb.351:                              ;   in Loop: Header=BB399_11 Depth=1
	v_ffbh_u32_e32 v0, v8
	v_min_u32_e32 v0, 32, v0
	v_subrev_nc_u32_e32 v1, 28, v0
	v_sub_nc_u32_e32 v0, 29, v0
	v_lshlrev_b64 v[1:2], v1, v[8:9]
	v_and_b32_e32 v32, 7, v1
; %bb.352:                              ;   in Loop: Header=BB399_11 Depth=1
	s_or_b32 exec_lo, exec_lo, s24
	v_mov_b32_e32 v1, 24
	v_lshlrev_b32_e32 v2, 20, v32
	v_lshl_add_u32 v0, v0, 23, 0x3c000000
	v_lshlrev_b32_sdwa v1, v1, v30 dst_sel:DWORD dst_unused:UNUSED_PAD src0_sel:DWORD src1_sel:WORD_1
	v_and_b32_e32 v1, 0x80000000, v1
	v_or3_b32 v0, v2, v1, v0
	buffer_store_dword v0, off, s[0:3], s32 offset:340 ; 4-byte Folded Spill
.LBB399_353:                            ;   in Loop: Header=BB399_11 Depth=1
	s_or_b32 exec_lo, exec_lo, s23
.LBB399_354:                            ;   in Loop: Header=BB399_11 Depth=1
	s_or_b32 exec_lo, exec_lo, s17
.LBB399_355:                            ;   in Loop: Header=BB399_11 Depth=1
	s_or_b32 exec_lo, exec_lo, s6
	v_mov_b32_e32 v0, 0
	s_mov_b32 s6, exec_lo
	buffer_store_dword v0, off, s[0:3], s32 offset:348 ; 4-byte Folded Spill
	v_mov_b32_e32 v0, 0
	buffer_store_dword v0, off, s[0:3], s32 offset:344 ; 4-byte Folded Spill
	v_cmpx_lt_u32_e32 0xffffff, v30
	s_cbranch_execz .LBB399_363
; %bb.356:                              ;   in Loop: Header=BB399_11 Depth=1
	v_cmp_ne_u32_sdwa s5, v30, v41 src0_sel:BYTE_3 src1_sel:DWORD
	v_bfrev_b32_e32 v0, 1
	buffer_store_dword v0, off, s[0:3], s32 offset:344 ; 4-byte Folded Spill
	s_and_saveexec_b32 s17, s5
	s_cbranch_execz .LBB399_362
; %bb.357:                              ;   in Loop: Header=BB399_11 Depth=1
	v_bfe_u32 v1, v30, 24, 7
	v_mov_b32_e32 v0, 0x7f800001
	s_mov_b32 s23, exec_lo
	buffer_store_dword v0, off, s[0:3], s32 offset:344 ; 4-byte Folded Spill
	v_cmpx_ne_u32_e32 0x7f, v1
	s_cbranch_execz .LBB399_361
; %bb.358:                              ;   in Loop: Header=BB399_11 Depth=1
	v_mov_b32_e32 v0, 7
	s_mov_b32 s24, exec_lo
	v_and_b32_sdwa v8, v30, v0 dst_sel:DWORD dst_unused:UNUSED_PAD src0_sel:BYTE_3 src1_sel:DWORD
	v_mov_b32_e32 v33, v9
	v_lshrrev_b32_e32 v0, 3, v1
	v_mov_b32_e32 v32, v8
	v_cmpx_gt_u32_e32 8, v1
; %bb.359:                              ;   in Loop: Header=BB399_11 Depth=1
	v_ffbh_u32_e32 v0, v8
	v_min_u32_e32 v0, 32, v0
	v_subrev_nc_u32_e32 v1, 28, v0
	v_sub_nc_u32_e32 v0, 29, v0
	v_lshlrev_b64 v[1:2], v1, v[8:9]
	v_and_b32_e32 v32, 7, v1
; %bb.360:                              ;   in Loop: Header=BB399_11 Depth=1
	s_or_b32 exec_lo, exec_lo, s24
	v_mov_b32_e32 v1, 24
	v_lshlrev_b32_e32 v2, 20, v32
	v_lshl_add_u32 v0, v0, 23, 0x3c000000
	v_lshlrev_b32_sdwa v1, v1, v30 dst_sel:DWORD dst_unused:UNUSED_PAD src0_sel:DWORD src1_sel:BYTE_3
	v_and_b32_e32 v1, 0x80000000, v1
	v_or3_b32 v0, v2, v1, v0
	buffer_store_dword v0, off, s[0:3], s32 offset:344 ; 4-byte Folded Spill
.LBB399_361:                            ;   in Loop: Header=BB399_11 Depth=1
	s_or_b32 exec_lo, exec_lo, s23
.LBB399_362:                            ;   in Loop: Header=BB399_11 Depth=1
	s_or_b32 exec_lo, exec_lo, s17
.LBB399_363:                            ;   in Loop: Header=BB399_11 Depth=1
	s_or_b32 exec_lo, exec_lo, s6
	v_mov_b32_e32 v8, v31
	v_cmp_ne_u16_sdwa s5, v31, v9 src0_sel:BYTE_0 src1_sel:DWORD
	s_and_saveexec_b32 s6, s5
	s_cbranch_execz .LBB399_371
; %bb.364:                              ;   in Loop: Header=BB399_11 Depth=1
	v_cmp_ne_u16_sdwa s5, v31, v41 src0_sel:BYTE_0 src1_sel:DWORD
	v_bfrev_b32_e32 v0, 1
	buffer_store_dword v0, off, s[0:3], s32 offset:348 ; 4-byte Folded Spill
	s_and_saveexec_b32 s17, s5
	s_cbranch_execz .LBB399_370
; %bb.365:                              ;   in Loop: Header=BB399_11 Depth=1
	v_and_b32_e32 v1, 0x7f, v31
	v_mov_b32_e32 v0, 0x7f800001
	s_mov_b32 s23, exec_lo
	buffer_store_dword v0, off, s[0:3], s32 offset:348 ; 4-byte Folded Spill
	v_cmpx_ne_u32_e32 0x7f, v1
	s_cbranch_execz .LBB399_369
; %bb.366:                              ;   in Loop: Header=BB399_11 Depth=1
	v_mov_b32_e32 v33, v9
	v_lshrrev_b32_e32 v0, 3, v1
	v_mov_b32_e32 v32, v8
	s_mov_b32 s24, exec_lo
	v_cmpx_gt_u32_e32 8, v1
; %bb.367:                              ;   in Loop: Header=BB399_11 Depth=1
	v_and_b32_e32 v0, 7, v31
	v_ffbh_u32_e32 v0, v0
	v_min_u32_e32 v0, 32, v0
	v_subrev_nc_u32_e32 v1, 28, v0
	v_sub_nc_u32_e32 v0, 29, v0
	v_lshlrev_b64 v[32:33], v1, v[8:9]
; %bb.368:                              ;   in Loop: Header=BB399_11 Depth=1
	s_or_b32 exec_lo, exec_lo, s24
	v_lshlrev_b32_e32 v1, 20, v32
	v_lshlrev_b32_e32 v2, 24, v8
	v_lshl_add_u32 v0, v0, 23, 0x3c000000
	v_and_b32_e32 v1, 0x700000, v1
	v_and_b32_e32 v2, 0x80000000, v2
	v_or3_b32 v0, v1, v2, v0
	buffer_store_dword v0, off, s[0:3], s32 offset:348 ; 4-byte Folded Spill
.LBB399_369:                            ;   in Loop: Header=BB399_11 Depth=1
	s_or_b32 exec_lo, exec_lo, s23
.LBB399_370:                            ;   in Loop: Header=BB399_11 Depth=1
	s_or_b32 exec_lo, exec_lo, s17
.LBB399_371:                            ;   in Loop: Header=BB399_11 Depth=1
	s_or_b32 exec_lo, exec_lo, s6
	v_mov_b32_e32 v0, 0
	v_cmp_ne_u16_sdwa s5, v8, v9 src0_sel:BYTE_1 src1_sel:DWORD
	buffer_store_dword v0, off, s[0:3], s32 offset:352 ; 4-byte Folded Spill
	v_mov_b32_e32 v0, 0
	buffer_store_dword v0, off, s[0:3], s32 offset:356 ; 4-byte Folded Spill
	s_and_saveexec_b32 s6, s5
	s_cbranch_execz .LBB399_379
; %bb.372:                              ;   in Loop: Header=BB399_11 Depth=1
	v_cmp_ne_u16_sdwa s5, v8, v41 src0_sel:BYTE_1 src1_sel:DWORD
	v_bfrev_b32_e32 v0, 1
	buffer_store_dword v0, off, s[0:3], s32 offset:356 ; 4-byte Folded Spill
	s_and_saveexec_b32 s17, s5
	s_cbranch_execz .LBB399_378
; %bb.373:                              ;   in Loop: Header=BB399_11 Depth=1
	v_mov_b32_e32 v0, 0xffff
	v_mov_b32_e32 v2, 0x7f800001
	s_mov_b32 s23, exec_lo
	v_and_b32_sdwa v0, v0, v8 dst_sel:DWORD dst_unused:UNUSED_PAD src0_sel:DWORD src1_sel:BYTE_1
	buffer_store_dword v2, off, s[0:3], s32 offset:356 ; 4-byte Folded Spill
	v_and_b32_e32 v1, 0x7f, v0
	v_cmpx_ne_u32_e32 0x7f, v1
	s_cbranch_execz .LBB399_377
; %bb.374:                              ;   in Loop: Header=BB399_11 Depth=1
	v_and_b32_e32 v32, 7, v0
	v_mov_b32_e32 v33, v9
	v_lshrrev_b32_e32 v0, 3, v1
	s_mov_b32 s24, exec_lo
	v_cmpx_gt_u32_e32 8, v1
; %bb.375:                              ;   in Loop: Header=BB399_11 Depth=1
	v_ffbh_u32_e32 v0, v32
	v_min_u32_e32 v0, 32, v0
	v_subrev_nc_u32_e32 v1, 28, v0
	v_sub_nc_u32_e32 v0, 29, v0
	v_lshlrev_b64 v[1:2], v1, v[32:33]
	v_and_b32_e32 v32, 7, v1
; %bb.376:                              ;   in Loop: Header=BB399_11 Depth=1
	s_or_b32 exec_lo, exec_lo, s24
	v_lshlrev_b32_e32 v1, 16, v8
	v_lshlrev_b32_e32 v2, 20, v32
	v_lshl_add_u32 v0, v0, 23, 0x3c000000
	v_and_b32_e32 v1, 0x80000000, v1
	v_or3_b32 v0, v2, v1, v0
	buffer_store_dword v0, off, s[0:3], s32 offset:356 ; 4-byte Folded Spill
.LBB399_377:                            ;   in Loop: Header=BB399_11 Depth=1
	s_or_b32 exec_lo, exec_lo, s23
.LBB399_378:                            ;   in Loop: Header=BB399_11 Depth=1
	s_or_b32 exec_lo, exec_lo, s17
.LBB399_379:                            ;   in Loop: Header=BB399_11 Depth=1
	s_or_b32 exec_lo, exec_lo, s6
	v_mov_b32_e32 v0, 0xff
	s_mov_b32 s6, exec_lo
	v_and_b32_sdwa v0, v31, v0 dst_sel:DWORD dst_unused:UNUSED_PAD src0_sel:WORD_1 src1_sel:DWORD
	v_cmpx_ne_u16_e32 0, v0
	s_cbranch_execz .LBB399_387
; %bb.380:                              ;   in Loop: Header=BB399_11 Depth=1
	v_cmp_ne_u16_e64 s5, 0x80, v0
	v_bfrev_b32_e32 v0, 1
	buffer_store_dword v0, off, s[0:3], s32 offset:352 ; 4-byte Folded Spill
	s_and_saveexec_b32 s17, s5
	s_cbranch_execz .LBB399_386
; %bb.381:                              ;   in Loop: Header=BB399_11 Depth=1
	v_bfe_u32 v1, v31, 16, 7
	v_mov_b32_e32 v0, 0x7f800001
	s_mov_b32 s23, exec_lo
	buffer_store_dword v0, off, s[0:3], s32 offset:352 ; 4-byte Folded Spill
	v_cmpx_ne_u32_e32 0x7f, v1
	s_cbranch_execz .LBB399_385
; %bb.382:                              ;   in Loop: Header=BB399_11 Depth=1
	v_mov_b32_e32 v0, 7
	s_mov_b32 s24, exec_lo
	v_and_b32_sdwa v8, v31, v0 dst_sel:DWORD dst_unused:UNUSED_PAD src0_sel:WORD_1 src1_sel:DWORD
	v_mov_b32_e32 v33, v9
	v_lshrrev_b32_e32 v0, 3, v1
	v_mov_b32_e32 v32, v8
	v_cmpx_gt_u32_e32 8, v1
; %bb.383:                              ;   in Loop: Header=BB399_11 Depth=1
	v_ffbh_u32_e32 v0, v8
	v_min_u32_e32 v0, 32, v0
	v_subrev_nc_u32_e32 v1, 28, v0
	v_sub_nc_u32_e32 v0, 29, v0
	v_lshlrev_b64 v[1:2], v1, v[8:9]
	v_and_b32_e32 v32, 7, v1
; %bb.384:                              ;   in Loop: Header=BB399_11 Depth=1
	s_or_b32 exec_lo, exec_lo, s24
	v_mov_b32_e32 v1, 24
	v_lshlrev_b32_e32 v2, 20, v32
	v_lshl_add_u32 v0, v0, 23, 0x3c000000
	v_lshlrev_b32_sdwa v1, v1, v31 dst_sel:DWORD dst_unused:UNUSED_PAD src0_sel:DWORD src1_sel:WORD_1
	v_and_b32_e32 v1, 0x80000000, v1
	v_or3_b32 v0, v2, v1, v0
	buffer_store_dword v0, off, s[0:3], s32 offset:352 ; 4-byte Folded Spill
.LBB399_385:                            ;   in Loop: Header=BB399_11 Depth=1
	s_or_b32 exec_lo, exec_lo, s23
.LBB399_386:                            ;   in Loop: Header=BB399_11 Depth=1
	s_or_b32 exec_lo, exec_lo, s17
.LBB399_387:                            ;   in Loop: Header=BB399_11 Depth=1
	s_or_b32 exec_lo, exec_lo, s6
	v_mov_b32_e32 v0, 0
	s_mov_b32 s6, exec_lo
	buffer_store_dword v0, off, s[0:3], s32 offset:364 ; 4-byte Folded Spill
	v_mov_b32_e32 v0, 0
	buffer_store_dword v0, off, s[0:3], s32 offset:360 ; 4-byte Folded Spill
	v_cmpx_lt_u64_e64 s[8:9], v[30:31]
	s_cbranch_execz .LBB399_395
; %bb.388:                              ;   in Loop: Header=BB399_11 Depth=1
	v_cmp_ne_u32_sdwa s5, v31, v41 src0_sel:BYTE_3 src1_sel:DWORD
	v_bfrev_b32_e32 v0, 1
	buffer_store_dword v0, off, s[0:3], s32 offset:360 ; 4-byte Folded Spill
	s_and_saveexec_b32 s17, s5
	s_cbranch_execz .LBB399_394
; %bb.389:                              ;   in Loop: Header=BB399_11 Depth=1
	v_bfe_u32 v1, v31, 24, 7
	v_mov_b32_e32 v0, 0x7f800001
	s_mov_b32 s23, exec_lo
	buffer_store_dword v0, off, s[0:3], s32 offset:360 ; 4-byte Folded Spill
	v_cmpx_ne_u32_e32 0x7f, v1
	s_cbranch_execz .LBB399_393
; %bb.390:                              ;   in Loop: Header=BB399_11 Depth=1
	v_mov_b32_e32 v0, 7
	s_mov_b32 s24, exec_lo
	v_and_b32_sdwa v8, v31, v0 dst_sel:DWORD dst_unused:UNUSED_PAD src0_sel:BYTE_3 src1_sel:DWORD
	v_mov_b32_e32 v33, v9
	v_lshrrev_b32_e32 v0, 3, v1
	v_mov_b32_e32 v32, v8
	v_cmpx_gt_u32_e32 8, v1
; %bb.391:                              ;   in Loop: Header=BB399_11 Depth=1
	v_ffbh_u32_e32 v0, v8
	v_min_u32_e32 v0, 32, v0
	v_subrev_nc_u32_e32 v1, 28, v0
	v_sub_nc_u32_e32 v0, 29, v0
	v_lshlrev_b64 v[1:2], v1, v[8:9]
	v_and_b32_e32 v32, 7, v1
; %bb.392:                              ;   in Loop: Header=BB399_11 Depth=1
	s_or_b32 exec_lo, exec_lo, s24
	v_mov_b32_e32 v1, 24
	v_lshlrev_b32_e32 v2, 20, v32
	v_lshl_add_u32 v0, v0, 23, 0x3c000000
	v_lshlrev_b32_sdwa v1, v1, v31 dst_sel:DWORD dst_unused:UNUSED_PAD src0_sel:DWORD src1_sel:BYTE_3
	v_and_b32_e32 v1, 0x80000000, v1
	v_or3_b32 v0, v2, v1, v0
	buffer_store_dword v0, off, s[0:3], s32 offset:360 ; 4-byte Folded Spill
.LBB399_393:                            ;   in Loop: Header=BB399_11 Depth=1
	s_or_b32 exec_lo, exec_lo, s23
.LBB399_394:                            ;   in Loop: Header=BB399_11 Depth=1
	s_or_b32 exec_lo, exec_lo, s17
.LBB399_395:                            ;   in Loop: Header=BB399_11 Depth=1
	s_or_b32 exec_lo, exec_lo, s6
	flat_load_dwordx2 v[30:31], v[28:29] offset:1536
	s_waitcnt vmcnt(0) lgkmcnt(0)
	v_cmp_ne_u16_sdwa s5, v30, v9 src0_sel:BYTE_0 src1_sel:DWORD
	s_and_saveexec_b32 s6, s5
	s_cbranch_execz .LBB399_403
; %bb.396:                              ;   in Loop: Header=BB399_11 Depth=1
	v_cmp_ne_u16_sdwa s5, v30, v41 src0_sel:BYTE_0 src1_sel:DWORD
	v_bfrev_b32_e32 v0, 1
	buffer_store_dword v0, off, s[0:3], s32 offset:364 ; 4-byte Folded Spill
	s_and_saveexec_b32 s17, s5
	s_cbranch_execz .LBB399_402
; %bb.397:                              ;   in Loop: Header=BB399_11 Depth=1
	v_and_b32_e32 v1, 0x7f, v30
	v_mov_b32_e32 v0, 0x7f800001
	s_mov_b32 s23, exec_lo
	buffer_store_dword v0, off, s[0:3], s32 offset:364 ; 4-byte Folded Spill
	v_cmpx_ne_u32_e32 0x7f, v1
	s_cbranch_execz .LBB399_401
; %bb.398:                              ;   in Loop: Header=BB399_11 Depth=1
	v_mov_b32_e32 v33, v31
	v_lshrrev_b32_e32 v0, 3, v1
	v_mov_b32_e32 v32, v30
	s_mov_b32 s24, exec_lo
	v_cmpx_gt_u32_e32 8, v1
; %bb.399:                              ;   in Loop: Header=BB399_11 Depth=1
	v_and_b32_e32 v0, 7, v30
	v_ffbh_u32_e32 v0, v0
	v_min_u32_e32 v0, 32, v0
	v_subrev_nc_u32_e32 v1, 28, v0
	v_sub_nc_u32_e32 v0, 29, v0
	v_lshlrev_b64 v[32:33], v1, v[30:31]
; %bb.400:                              ;   in Loop: Header=BB399_11 Depth=1
	s_or_b32 exec_lo, exec_lo, s24
	v_lshlrev_b32_e32 v1, 20, v32
	v_lshlrev_b32_e32 v2, 24, v30
	v_lshl_add_u32 v0, v0, 23, 0x3c000000
	v_and_b32_e32 v1, 0x700000, v1
	v_and_b32_e32 v2, 0x80000000, v2
	v_or3_b32 v0, v1, v2, v0
	buffer_store_dword v0, off, s[0:3], s32 offset:364 ; 4-byte Folded Spill
.LBB399_401:                            ;   in Loop: Header=BB399_11 Depth=1
	s_or_b32 exec_lo, exec_lo, s23
.LBB399_402:                            ;   in Loop: Header=BB399_11 Depth=1
	s_or_b32 exec_lo, exec_lo, s17
.LBB399_403:                            ;   in Loop: Header=BB399_11 Depth=1
	s_or_b32 exec_lo, exec_lo, s6
	v_mov_b32_e32 v0, 0
	v_cmp_ne_u16_sdwa s5, v30, v9 src0_sel:BYTE_1 src1_sel:DWORD
	buffer_store_dword v0, off, s[0:3], s32 offset:372 ; 4-byte Folded Spill
	v_mov_b32_e32 v0, 0
	buffer_store_dword v0, off, s[0:3], s32 offset:368 ; 4-byte Folded Spill
	s_and_saveexec_b32 s6, s5
	s_cbranch_execz .LBB399_411
; %bb.404:                              ;   in Loop: Header=BB399_11 Depth=1
	v_cmp_ne_u16_sdwa s5, v30, v41 src0_sel:BYTE_1 src1_sel:DWORD
	v_bfrev_b32_e32 v0, 1
	buffer_store_dword v0, off, s[0:3], s32 offset:368 ; 4-byte Folded Spill
	s_and_saveexec_b32 s17, s5
	s_cbranch_execz .LBB399_410
; %bb.405:                              ;   in Loop: Header=BB399_11 Depth=1
	v_mov_b32_e32 v0, 0xffff
	v_mov_b32_e32 v2, 0x7f800001
	s_mov_b32 s23, exec_lo
	v_and_b32_sdwa v0, v0, v30 dst_sel:DWORD dst_unused:UNUSED_PAD src0_sel:DWORD src1_sel:BYTE_1
	buffer_store_dword v2, off, s[0:3], s32 offset:368 ; 4-byte Folded Spill
	v_and_b32_e32 v1, 0x7f, v0
	v_cmpx_ne_u32_e32 0x7f, v1
	s_cbranch_execz .LBB399_409
; %bb.406:                              ;   in Loop: Header=BB399_11 Depth=1
	v_and_b32_e32 v8, 7, v0
	v_mov_b32_e32 v33, v9
	v_lshrrev_b32_e32 v0, 3, v1
	s_mov_b32 s24, exec_lo
	v_mov_b32_e32 v32, v8
	v_cmpx_gt_u32_e32 8, v1
; %bb.407:                              ;   in Loop: Header=BB399_11 Depth=1
	v_ffbh_u32_e32 v0, v8
	v_min_u32_e32 v0, 32, v0
	v_subrev_nc_u32_e32 v1, 28, v0
	v_sub_nc_u32_e32 v0, 29, v0
	v_lshlrev_b64 v[1:2], v1, v[8:9]
	v_and_b32_e32 v32, 7, v1
; %bb.408:                              ;   in Loop: Header=BB399_11 Depth=1
	s_or_b32 exec_lo, exec_lo, s24
	v_lshlrev_b32_e32 v1, 16, v30
	v_lshlrev_b32_e32 v2, 20, v32
	v_lshl_add_u32 v0, v0, 23, 0x3c000000
	v_and_b32_e32 v1, 0x80000000, v1
	v_or3_b32 v0, v2, v1, v0
	buffer_store_dword v0, off, s[0:3], s32 offset:368 ; 4-byte Folded Spill
.LBB399_409:                            ;   in Loop: Header=BB399_11 Depth=1
	s_or_b32 exec_lo, exec_lo, s23
.LBB399_410:                            ;   in Loop: Header=BB399_11 Depth=1
	s_or_b32 exec_lo, exec_lo, s17
.LBB399_411:                            ;   in Loop: Header=BB399_11 Depth=1
	s_or_b32 exec_lo, exec_lo, s6
	v_mov_b32_e32 v0, 0xff
	s_mov_b32 s6, exec_lo
	v_and_b32_sdwa v0, v30, v0 dst_sel:DWORD dst_unused:UNUSED_PAD src0_sel:WORD_1 src1_sel:DWORD
	v_cmpx_ne_u16_e32 0, v0
	s_cbranch_execz .LBB399_419
; %bb.412:                              ;   in Loop: Header=BB399_11 Depth=1
	v_cmp_ne_u16_e64 s5, 0x80, v0
	v_bfrev_b32_e32 v0, 1
	buffer_store_dword v0, off, s[0:3], s32 offset:372 ; 4-byte Folded Spill
	s_and_saveexec_b32 s17, s5
	s_cbranch_execz .LBB399_418
; %bb.413:                              ;   in Loop: Header=BB399_11 Depth=1
	v_bfe_u32 v1, v30, 16, 7
	v_mov_b32_e32 v0, 0x7f800001
	s_mov_b32 s23, exec_lo
	buffer_store_dword v0, off, s[0:3], s32 offset:372 ; 4-byte Folded Spill
	v_cmpx_ne_u32_e32 0x7f, v1
	s_cbranch_execz .LBB399_417
; %bb.414:                              ;   in Loop: Header=BB399_11 Depth=1
	v_mov_b32_e32 v0, 7
	s_mov_b32 s24, exec_lo
	v_and_b32_sdwa v8, v30, v0 dst_sel:DWORD dst_unused:UNUSED_PAD src0_sel:WORD_1 src1_sel:DWORD
	v_mov_b32_e32 v33, v9
	v_lshrrev_b32_e32 v0, 3, v1
	v_mov_b32_e32 v32, v8
	v_cmpx_gt_u32_e32 8, v1
; %bb.415:                              ;   in Loop: Header=BB399_11 Depth=1
	v_ffbh_u32_e32 v0, v8
	v_min_u32_e32 v0, 32, v0
	v_subrev_nc_u32_e32 v1, 28, v0
	v_sub_nc_u32_e32 v0, 29, v0
	v_lshlrev_b64 v[1:2], v1, v[8:9]
	v_and_b32_e32 v32, 7, v1
; %bb.416:                              ;   in Loop: Header=BB399_11 Depth=1
	s_or_b32 exec_lo, exec_lo, s24
	v_mov_b32_e32 v1, 24
	v_lshlrev_b32_e32 v2, 20, v32
	v_lshl_add_u32 v0, v0, 23, 0x3c000000
	v_lshlrev_b32_sdwa v1, v1, v30 dst_sel:DWORD dst_unused:UNUSED_PAD src0_sel:DWORD src1_sel:WORD_1
	v_and_b32_e32 v1, 0x80000000, v1
	v_or3_b32 v0, v2, v1, v0
	buffer_store_dword v0, off, s[0:3], s32 offset:372 ; 4-byte Folded Spill
.LBB399_417:                            ;   in Loop: Header=BB399_11 Depth=1
	s_or_b32 exec_lo, exec_lo, s23
.LBB399_418:                            ;   in Loop: Header=BB399_11 Depth=1
	s_or_b32 exec_lo, exec_lo, s17
.LBB399_419:                            ;   in Loop: Header=BB399_11 Depth=1
	s_or_b32 exec_lo, exec_lo, s6
	v_mov_b32_e32 v0, 0
	s_mov_b32 s6, exec_lo
	buffer_store_dword v0, off, s[0:3], s32 offset:380 ; 4-byte Folded Spill
	v_mov_b32_e32 v0, 0
	buffer_store_dword v0, off, s[0:3], s32 offset:376 ; 4-byte Folded Spill
	v_cmpx_lt_u32_e32 0xffffff, v30
	s_cbranch_execz .LBB399_427
; %bb.420:                              ;   in Loop: Header=BB399_11 Depth=1
	v_cmp_ne_u32_sdwa s5, v30, v41 src0_sel:BYTE_3 src1_sel:DWORD
	v_bfrev_b32_e32 v0, 1
	buffer_store_dword v0, off, s[0:3], s32 offset:376 ; 4-byte Folded Spill
	s_and_saveexec_b32 s17, s5
	s_cbranch_execz .LBB399_426
; %bb.421:                              ;   in Loop: Header=BB399_11 Depth=1
	v_bfe_u32 v1, v30, 24, 7
	v_mov_b32_e32 v0, 0x7f800001
	s_mov_b32 s23, exec_lo
	buffer_store_dword v0, off, s[0:3], s32 offset:376 ; 4-byte Folded Spill
	v_cmpx_ne_u32_e32 0x7f, v1
	s_cbranch_execz .LBB399_425
; %bb.422:                              ;   in Loop: Header=BB399_11 Depth=1
	v_mov_b32_e32 v0, 7
	s_mov_b32 s24, exec_lo
	v_and_b32_sdwa v8, v30, v0 dst_sel:DWORD dst_unused:UNUSED_PAD src0_sel:BYTE_3 src1_sel:DWORD
	v_mov_b32_e32 v33, v9
	v_lshrrev_b32_e32 v0, 3, v1
	v_mov_b32_e32 v32, v8
	v_cmpx_gt_u32_e32 8, v1
; %bb.423:                              ;   in Loop: Header=BB399_11 Depth=1
	v_ffbh_u32_e32 v0, v8
	v_min_u32_e32 v0, 32, v0
	v_subrev_nc_u32_e32 v1, 28, v0
	v_sub_nc_u32_e32 v0, 29, v0
	v_lshlrev_b64 v[1:2], v1, v[8:9]
	v_and_b32_e32 v32, 7, v1
; %bb.424:                              ;   in Loop: Header=BB399_11 Depth=1
	s_or_b32 exec_lo, exec_lo, s24
	v_mov_b32_e32 v1, 24
	v_lshlrev_b32_e32 v2, 20, v32
	v_lshl_add_u32 v0, v0, 23, 0x3c000000
	v_lshlrev_b32_sdwa v1, v1, v30 dst_sel:DWORD dst_unused:UNUSED_PAD src0_sel:DWORD src1_sel:BYTE_3
	v_and_b32_e32 v1, 0x80000000, v1
	v_or3_b32 v0, v2, v1, v0
	buffer_store_dword v0, off, s[0:3], s32 offset:376 ; 4-byte Folded Spill
.LBB399_425:                            ;   in Loop: Header=BB399_11 Depth=1
	s_or_b32 exec_lo, exec_lo, s23
.LBB399_426:                            ;   in Loop: Header=BB399_11 Depth=1
	s_or_b32 exec_lo, exec_lo, s17
.LBB399_427:                            ;   in Loop: Header=BB399_11 Depth=1
	s_or_b32 exec_lo, exec_lo, s6
	v_mov_b32_e32 v8, v31
	v_cmp_ne_u16_sdwa s5, v31, v9 src0_sel:BYTE_0 src1_sel:DWORD
	s_and_saveexec_b32 s6, s5
	s_cbranch_execz .LBB399_435
; %bb.428:                              ;   in Loop: Header=BB399_11 Depth=1
	v_cmp_ne_u16_sdwa s5, v31, v41 src0_sel:BYTE_0 src1_sel:DWORD
	v_bfrev_b32_e32 v0, 1
	buffer_store_dword v0, off, s[0:3], s32 offset:380 ; 4-byte Folded Spill
	s_and_saveexec_b32 s17, s5
	s_cbranch_execz .LBB399_434
; %bb.429:                              ;   in Loop: Header=BB399_11 Depth=1
	v_and_b32_e32 v1, 0x7f, v31
	v_mov_b32_e32 v0, 0x7f800001
	s_mov_b32 s23, exec_lo
	buffer_store_dword v0, off, s[0:3], s32 offset:380 ; 4-byte Folded Spill
	v_cmpx_ne_u32_e32 0x7f, v1
	s_cbranch_execz .LBB399_433
; %bb.430:                              ;   in Loop: Header=BB399_11 Depth=1
	v_mov_b32_e32 v33, v9
	v_lshrrev_b32_e32 v0, 3, v1
	v_mov_b32_e32 v32, v8
	s_mov_b32 s24, exec_lo
	v_cmpx_gt_u32_e32 8, v1
; %bb.431:                              ;   in Loop: Header=BB399_11 Depth=1
	v_and_b32_e32 v0, 7, v31
	v_ffbh_u32_e32 v0, v0
	v_min_u32_e32 v0, 32, v0
	v_subrev_nc_u32_e32 v1, 28, v0
	v_sub_nc_u32_e32 v0, 29, v0
	v_lshlrev_b64 v[32:33], v1, v[8:9]
; %bb.432:                              ;   in Loop: Header=BB399_11 Depth=1
	s_or_b32 exec_lo, exec_lo, s24
	v_lshlrev_b32_e32 v1, 20, v32
	v_lshlrev_b32_e32 v2, 24, v8
	v_lshl_add_u32 v0, v0, 23, 0x3c000000
	v_and_b32_e32 v1, 0x700000, v1
	v_and_b32_e32 v2, 0x80000000, v2
	v_or3_b32 v0, v1, v2, v0
	buffer_store_dword v0, off, s[0:3], s32 offset:380 ; 4-byte Folded Spill
.LBB399_433:                            ;   in Loop: Header=BB399_11 Depth=1
	s_or_b32 exec_lo, exec_lo, s23
.LBB399_434:                            ;   in Loop: Header=BB399_11 Depth=1
	s_or_b32 exec_lo, exec_lo, s17
.LBB399_435:                            ;   in Loop: Header=BB399_11 Depth=1
	s_or_b32 exec_lo, exec_lo, s6
	v_mov_b32_e32 v0, 0
	v_cmp_ne_u16_sdwa s5, v8, v9 src0_sel:BYTE_1 src1_sel:DWORD
	buffer_store_dword v0, off, s[0:3], s32 offset:384 ; 4-byte Folded Spill
	v_mov_b32_e32 v0, 0
	buffer_store_dword v0, off, s[0:3], s32 offset:388 ; 4-byte Folded Spill
	s_and_saveexec_b32 s6, s5
	s_cbranch_execz .LBB399_443
; %bb.436:                              ;   in Loop: Header=BB399_11 Depth=1
	v_cmp_ne_u16_sdwa s5, v8, v41 src0_sel:BYTE_1 src1_sel:DWORD
	v_bfrev_b32_e32 v0, 1
	buffer_store_dword v0, off, s[0:3], s32 offset:388 ; 4-byte Folded Spill
	s_and_saveexec_b32 s17, s5
	s_cbranch_execz .LBB399_442
; %bb.437:                              ;   in Loop: Header=BB399_11 Depth=1
	v_mov_b32_e32 v0, 0xffff
	v_mov_b32_e32 v2, 0x7f800001
	s_mov_b32 s23, exec_lo
	v_and_b32_sdwa v0, v0, v8 dst_sel:DWORD dst_unused:UNUSED_PAD src0_sel:DWORD src1_sel:BYTE_1
	buffer_store_dword v2, off, s[0:3], s32 offset:388 ; 4-byte Folded Spill
	v_and_b32_e32 v1, 0x7f, v0
	v_cmpx_ne_u32_e32 0x7f, v1
	s_cbranch_execz .LBB399_441
; %bb.438:                              ;   in Loop: Header=BB399_11 Depth=1
	v_and_b32_e32 v32, 7, v0
	v_mov_b32_e32 v33, v9
	v_lshrrev_b32_e32 v0, 3, v1
	s_mov_b32 s24, exec_lo
	v_cmpx_gt_u32_e32 8, v1
; %bb.439:                              ;   in Loop: Header=BB399_11 Depth=1
	v_ffbh_u32_e32 v0, v32
	v_min_u32_e32 v0, 32, v0
	v_subrev_nc_u32_e32 v1, 28, v0
	v_sub_nc_u32_e32 v0, 29, v0
	v_lshlrev_b64 v[1:2], v1, v[32:33]
	v_and_b32_e32 v32, 7, v1
; %bb.440:                              ;   in Loop: Header=BB399_11 Depth=1
	s_or_b32 exec_lo, exec_lo, s24
	v_lshlrev_b32_e32 v1, 16, v8
	v_lshlrev_b32_e32 v2, 20, v32
	v_lshl_add_u32 v0, v0, 23, 0x3c000000
	v_and_b32_e32 v1, 0x80000000, v1
	v_or3_b32 v0, v2, v1, v0
	buffer_store_dword v0, off, s[0:3], s32 offset:388 ; 4-byte Folded Spill
.LBB399_441:                            ;   in Loop: Header=BB399_11 Depth=1
	s_or_b32 exec_lo, exec_lo, s23
.LBB399_442:                            ;   in Loop: Header=BB399_11 Depth=1
	s_or_b32 exec_lo, exec_lo, s17
.LBB399_443:                            ;   in Loop: Header=BB399_11 Depth=1
	s_or_b32 exec_lo, exec_lo, s6
	v_mov_b32_e32 v0, 0xff
	s_mov_b32 s6, exec_lo
	v_and_b32_sdwa v0, v31, v0 dst_sel:DWORD dst_unused:UNUSED_PAD src0_sel:WORD_1 src1_sel:DWORD
	v_cmpx_ne_u16_e32 0, v0
	s_cbranch_execz .LBB399_451
; %bb.444:                              ;   in Loop: Header=BB399_11 Depth=1
	v_cmp_ne_u16_e64 s5, 0x80, v0
	v_bfrev_b32_e32 v0, 1
	buffer_store_dword v0, off, s[0:3], s32 offset:384 ; 4-byte Folded Spill
	s_and_saveexec_b32 s17, s5
	s_cbranch_execz .LBB399_450
; %bb.445:                              ;   in Loop: Header=BB399_11 Depth=1
	v_bfe_u32 v1, v31, 16, 7
	v_mov_b32_e32 v0, 0x7f800001
	s_mov_b32 s23, exec_lo
	buffer_store_dword v0, off, s[0:3], s32 offset:384 ; 4-byte Folded Spill
	v_cmpx_ne_u32_e32 0x7f, v1
	s_cbranch_execz .LBB399_449
; %bb.446:                              ;   in Loop: Header=BB399_11 Depth=1
	v_mov_b32_e32 v0, 7
	s_mov_b32 s24, exec_lo
	v_and_b32_sdwa v8, v31, v0 dst_sel:DWORD dst_unused:UNUSED_PAD src0_sel:WORD_1 src1_sel:DWORD
	v_mov_b32_e32 v33, v9
	v_lshrrev_b32_e32 v0, 3, v1
	v_mov_b32_e32 v32, v8
	v_cmpx_gt_u32_e32 8, v1
; %bb.447:                              ;   in Loop: Header=BB399_11 Depth=1
	v_ffbh_u32_e32 v0, v8
	v_min_u32_e32 v0, 32, v0
	v_subrev_nc_u32_e32 v1, 28, v0
	v_sub_nc_u32_e32 v0, 29, v0
	v_lshlrev_b64 v[1:2], v1, v[8:9]
	v_and_b32_e32 v32, 7, v1
; %bb.448:                              ;   in Loop: Header=BB399_11 Depth=1
	s_or_b32 exec_lo, exec_lo, s24
	v_mov_b32_e32 v1, 24
	v_lshlrev_b32_e32 v2, 20, v32
	v_lshl_add_u32 v0, v0, 23, 0x3c000000
	v_lshlrev_b32_sdwa v1, v1, v31 dst_sel:DWORD dst_unused:UNUSED_PAD src0_sel:DWORD src1_sel:WORD_1
	v_and_b32_e32 v1, 0x80000000, v1
	v_or3_b32 v0, v2, v1, v0
	buffer_store_dword v0, off, s[0:3], s32 offset:384 ; 4-byte Folded Spill
.LBB399_449:                            ;   in Loop: Header=BB399_11 Depth=1
	s_or_b32 exec_lo, exec_lo, s23
.LBB399_450:                            ;   in Loop: Header=BB399_11 Depth=1
	s_or_b32 exec_lo, exec_lo, s17
.LBB399_451:                            ;   in Loop: Header=BB399_11 Depth=1
	s_or_b32 exec_lo, exec_lo, s6
	v_mov_b32_e32 v0, 0
	s_mov_b32 s6, exec_lo
	buffer_store_dword v0, off, s[0:3], s32 offset:396 ; 4-byte Folded Spill
	v_mov_b32_e32 v0, 0
	buffer_store_dword v0, off, s[0:3], s32 offset:392 ; 4-byte Folded Spill
	v_cmpx_lt_u64_e64 s[8:9], v[30:31]
	s_cbranch_execz .LBB399_459
; %bb.452:                              ;   in Loop: Header=BB399_11 Depth=1
	v_cmp_ne_u32_sdwa s5, v31, v41 src0_sel:BYTE_3 src1_sel:DWORD
	v_bfrev_b32_e32 v0, 1
	buffer_store_dword v0, off, s[0:3], s32 offset:392 ; 4-byte Folded Spill
	s_and_saveexec_b32 s17, s5
	s_cbranch_execz .LBB399_458
; %bb.453:                              ;   in Loop: Header=BB399_11 Depth=1
	v_bfe_u32 v1, v31, 24, 7
	v_mov_b32_e32 v0, 0x7f800001
	s_mov_b32 s23, exec_lo
	buffer_store_dword v0, off, s[0:3], s32 offset:392 ; 4-byte Folded Spill
	v_cmpx_ne_u32_e32 0x7f, v1
	s_cbranch_execz .LBB399_457
; %bb.454:                              ;   in Loop: Header=BB399_11 Depth=1
	v_mov_b32_e32 v0, 7
	s_mov_b32 s24, exec_lo
	v_and_b32_sdwa v8, v31, v0 dst_sel:DWORD dst_unused:UNUSED_PAD src0_sel:BYTE_3 src1_sel:DWORD
	v_mov_b32_e32 v33, v9
	v_lshrrev_b32_e32 v0, 3, v1
	v_mov_b32_e32 v32, v8
	v_cmpx_gt_u32_e32 8, v1
; %bb.455:                              ;   in Loop: Header=BB399_11 Depth=1
	v_ffbh_u32_e32 v0, v8
	v_min_u32_e32 v0, 32, v0
	v_subrev_nc_u32_e32 v1, 28, v0
	v_sub_nc_u32_e32 v0, 29, v0
	v_lshlrev_b64 v[1:2], v1, v[8:9]
	v_and_b32_e32 v32, 7, v1
; %bb.456:                              ;   in Loop: Header=BB399_11 Depth=1
	s_or_b32 exec_lo, exec_lo, s24
	v_mov_b32_e32 v1, 24
	v_lshlrev_b32_e32 v2, 20, v32
	v_lshl_add_u32 v0, v0, 23, 0x3c000000
	v_lshlrev_b32_sdwa v1, v1, v31 dst_sel:DWORD dst_unused:UNUSED_PAD src0_sel:DWORD src1_sel:BYTE_3
	v_and_b32_e32 v1, 0x80000000, v1
	v_or3_b32 v0, v2, v1, v0
	buffer_store_dword v0, off, s[0:3], s32 offset:392 ; 4-byte Folded Spill
.LBB399_457:                            ;   in Loop: Header=BB399_11 Depth=1
	s_or_b32 exec_lo, exec_lo, s23
.LBB399_458:                            ;   in Loop: Header=BB399_11 Depth=1
	s_or_b32 exec_lo, exec_lo, s17
.LBB399_459:                            ;   in Loop: Header=BB399_11 Depth=1
	s_or_b32 exec_lo, exec_lo, s6
	flat_load_dwordx2 v[30:31], v[28:29] offset:1544
	s_waitcnt vmcnt(0) lgkmcnt(0)
	v_cmp_ne_u16_sdwa s5, v30, v9 src0_sel:BYTE_0 src1_sel:DWORD
	s_and_saveexec_b32 s6, s5
	s_cbranch_execz .LBB399_467
; %bb.460:                              ;   in Loop: Header=BB399_11 Depth=1
	v_cmp_ne_u16_sdwa s5, v30, v41 src0_sel:BYTE_0 src1_sel:DWORD
	v_bfrev_b32_e32 v0, 1
	buffer_store_dword v0, off, s[0:3], s32 offset:396 ; 4-byte Folded Spill
	s_and_saveexec_b32 s17, s5
	s_cbranch_execz .LBB399_466
; %bb.461:                              ;   in Loop: Header=BB399_11 Depth=1
	v_and_b32_e32 v1, 0x7f, v30
	v_mov_b32_e32 v0, 0x7f800001
	s_mov_b32 s23, exec_lo
	buffer_store_dword v0, off, s[0:3], s32 offset:396 ; 4-byte Folded Spill
	v_cmpx_ne_u32_e32 0x7f, v1
	s_cbranch_execz .LBB399_465
; %bb.462:                              ;   in Loop: Header=BB399_11 Depth=1
	v_mov_b32_e32 v33, v31
	v_lshrrev_b32_e32 v0, 3, v1
	v_mov_b32_e32 v32, v30
	s_mov_b32 s24, exec_lo
	v_cmpx_gt_u32_e32 8, v1
; %bb.463:                              ;   in Loop: Header=BB399_11 Depth=1
	v_and_b32_e32 v0, 7, v30
	v_ffbh_u32_e32 v0, v0
	v_min_u32_e32 v0, 32, v0
	v_subrev_nc_u32_e32 v1, 28, v0
	v_sub_nc_u32_e32 v0, 29, v0
	v_lshlrev_b64 v[32:33], v1, v[30:31]
; %bb.464:                              ;   in Loop: Header=BB399_11 Depth=1
	s_or_b32 exec_lo, exec_lo, s24
	v_lshlrev_b32_e32 v1, 20, v32
	v_lshlrev_b32_e32 v2, 24, v30
	v_lshl_add_u32 v0, v0, 23, 0x3c000000
	v_and_b32_e32 v1, 0x700000, v1
	v_and_b32_e32 v2, 0x80000000, v2
	v_or3_b32 v0, v1, v2, v0
	buffer_store_dword v0, off, s[0:3], s32 offset:396 ; 4-byte Folded Spill
.LBB399_465:                            ;   in Loop: Header=BB399_11 Depth=1
	s_or_b32 exec_lo, exec_lo, s23
.LBB399_466:                            ;   in Loop: Header=BB399_11 Depth=1
	s_or_b32 exec_lo, exec_lo, s17
.LBB399_467:                            ;   in Loop: Header=BB399_11 Depth=1
	s_or_b32 exec_lo, exec_lo, s6
	v_mov_b32_e32 v0, 0
	v_cmp_ne_u16_sdwa s5, v30, v9 src0_sel:BYTE_1 src1_sel:DWORD
	buffer_store_dword v0, off, s[0:3], s32 offset:404 ; 4-byte Folded Spill
	v_mov_b32_e32 v0, 0
	buffer_store_dword v0, off, s[0:3], s32 offset:400 ; 4-byte Folded Spill
	s_and_saveexec_b32 s6, s5
	s_cbranch_execz .LBB399_475
; %bb.468:                              ;   in Loop: Header=BB399_11 Depth=1
	v_cmp_ne_u16_sdwa s5, v30, v41 src0_sel:BYTE_1 src1_sel:DWORD
	v_bfrev_b32_e32 v0, 1
	buffer_store_dword v0, off, s[0:3], s32 offset:400 ; 4-byte Folded Spill
	s_and_saveexec_b32 s17, s5
	s_cbranch_execz .LBB399_474
; %bb.469:                              ;   in Loop: Header=BB399_11 Depth=1
	v_mov_b32_e32 v0, 0xffff
	v_mov_b32_e32 v2, 0x7f800001
	s_mov_b32 s23, exec_lo
	v_and_b32_sdwa v0, v0, v30 dst_sel:DWORD dst_unused:UNUSED_PAD src0_sel:DWORD src1_sel:BYTE_1
	buffer_store_dword v2, off, s[0:3], s32 offset:400 ; 4-byte Folded Spill
	v_and_b32_e32 v1, 0x7f, v0
	v_cmpx_ne_u32_e32 0x7f, v1
	s_cbranch_execz .LBB399_473
; %bb.470:                              ;   in Loop: Header=BB399_11 Depth=1
	v_and_b32_e32 v8, 7, v0
	v_mov_b32_e32 v33, v9
	v_lshrrev_b32_e32 v0, 3, v1
	s_mov_b32 s24, exec_lo
	v_mov_b32_e32 v32, v8
	v_cmpx_gt_u32_e32 8, v1
; %bb.471:                              ;   in Loop: Header=BB399_11 Depth=1
	v_ffbh_u32_e32 v0, v8
	v_min_u32_e32 v0, 32, v0
	v_subrev_nc_u32_e32 v1, 28, v0
	v_sub_nc_u32_e32 v0, 29, v0
	v_lshlrev_b64 v[1:2], v1, v[8:9]
	v_and_b32_e32 v32, 7, v1
; %bb.472:                              ;   in Loop: Header=BB399_11 Depth=1
	s_or_b32 exec_lo, exec_lo, s24
	v_lshlrev_b32_e32 v1, 16, v30
	v_lshlrev_b32_e32 v2, 20, v32
	v_lshl_add_u32 v0, v0, 23, 0x3c000000
	v_and_b32_e32 v1, 0x80000000, v1
	v_or3_b32 v0, v2, v1, v0
	buffer_store_dword v0, off, s[0:3], s32 offset:400 ; 4-byte Folded Spill
.LBB399_473:                            ;   in Loop: Header=BB399_11 Depth=1
	s_or_b32 exec_lo, exec_lo, s23
.LBB399_474:                            ;   in Loop: Header=BB399_11 Depth=1
	s_or_b32 exec_lo, exec_lo, s17
.LBB399_475:                            ;   in Loop: Header=BB399_11 Depth=1
	s_or_b32 exec_lo, exec_lo, s6
	v_mov_b32_e32 v0, 0xff
	s_mov_b32 s6, exec_lo
	v_and_b32_sdwa v0, v30, v0 dst_sel:DWORD dst_unused:UNUSED_PAD src0_sel:WORD_1 src1_sel:DWORD
	v_cmpx_ne_u16_e32 0, v0
	s_cbranch_execz .LBB399_483
; %bb.476:                              ;   in Loop: Header=BB399_11 Depth=1
	v_cmp_ne_u16_e64 s5, 0x80, v0
	v_bfrev_b32_e32 v0, 1
	buffer_store_dword v0, off, s[0:3], s32 offset:404 ; 4-byte Folded Spill
	s_and_saveexec_b32 s17, s5
	s_cbranch_execz .LBB399_482
; %bb.477:                              ;   in Loop: Header=BB399_11 Depth=1
	v_bfe_u32 v1, v30, 16, 7
	v_mov_b32_e32 v0, 0x7f800001
	s_mov_b32 s23, exec_lo
	buffer_store_dword v0, off, s[0:3], s32 offset:404 ; 4-byte Folded Spill
	v_cmpx_ne_u32_e32 0x7f, v1
	s_cbranch_execz .LBB399_481
; %bb.478:                              ;   in Loop: Header=BB399_11 Depth=1
	v_mov_b32_e32 v0, 7
	s_mov_b32 s24, exec_lo
	v_and_b32_sdwa v8, v30, v0 dst_sel:DWORD dst_unused:UNUSED_PAD src0_sel:WORD_1 src1_sel:DWORD
	v_mov_b32_e32 v33, v9
	v_lshrrev_b32_e32 v0, 3, v1
	v_mov_b32_e32 v32, v8
	v_cmpx_gt_u32_e32 8, v1
; %bb.479:                              ;   in Loop: Header=BB399_11 Depth=1
	v_ffbh_u32_e32 v0, v8
	v_min_u32_e32 v0, 32, v0
	v_subrev_nc_u32_e32 v1, 28, v0
	v_sub_nc_u32_e32 v0, 29, v0
	v_lshlrev_b64 v[1:2], v1, v[8:9]
	v_and_b32_e32 v32, 7, v1
; %bb.480:                              ;   in Loop: Header=BB399_11 Depth=1
	s_or_b32 exec_lo, exec_lo, s24
	v_mov_b32_e32 v1, 24
	v_lshlrev_b32_e32 v2, 20, v32
	v_lshl_add_u32 v0, v0, 23, 0x3c000000
	v_lshlrev_b32_sdwa v1, v1, v30 dst_sel:DWORD dst_unused:UNUSED_PAD src0_sel:DWORD src1_sel:WORD_1
	v_and_b32_e32 v1, 0x80000000, v1
	v_or3_b32 v0, v2, v1, v0
	buffer_store_dword v0, off, s[0:3], s32 offset:404 ; 4-byte Folded Spill
.LBB399_481:                            ;   in Loop: Header=BB399_11 Depth=1
	s_or_b32 exec_lo, exec_lo, s23
.LBB399_482:                            ;   in Loop: Header=BB399_11 Depth=1
	s_or_b32 exec_lo, exec_lo, s17
.LBB399_483:                            ;   in Loop: Header=BB399_11 Depth=1
	s_or_b32 exec_lo, exec_lo, s6
	v_mov_b32_e32 v0, 0
	s_mov_b32 s6, exec_lo
	buffer_store_dword v0, off, s[0:3], s32 offset:412 ; 4-byte Folded Spill
	v_mov_b32_e32 v0, 0
	buffer_store_dword v0, off, s[0:3], s32 offset:408 ; 4-byte Folded Spill
	v_cmpx_lt_u32_e32 0xffffff, v30
	s_cbranch_execz .LBB399_491
; %bb.484:                              ;   in Loop: Header=BB399_11 Depth=1
	v_cmp_ne_u32_sdwa s5, v30, v41 src0_sel:BYTE_3 src1_sel:DWORD
	v_bfrev_b32_e32 v0, 1
	buffer_store_dword v0, off, s[0:3], s32 offset:408 ; 4-byte Folded Spill
	s_and_saveexec_b32 s17, s5
	s_cbranch_execz .LBB399_490
; %bb.485:                              ;   in Loop: Header=BB399_11 Depth=1
	v_bfe_u32 v1, v30, 24, 7
	v_mov_b32_e32 v0, 0x7f800001
	s_mov_b32 s23, exec_lo
	buffer_store_dword v0, off, s[0:3], s32 offset:408 ; 4-byte Folded Spill
	v_cmpx_ne_u32_e32 0x7f, v1
	s_cbranch_execz .LBB399_489
; %bb.486:                              ;   in Loop: Header=BB399_11 Depth=1
	v_mov_b32_e32 v0, 7
	s_mov_b32 s24, exec_lo
	v_and_b32_sdwa v8, v30, v0 dst_sel:DWORD dst_unused:UNUSED_PAD src0_sel:BYTE_3 src1_sel:DWORD
	v_mov_b32_e32 v33, v9
	v_lshrrev_b32_e32 v0, 3, v1
	v_mov_b32_e32 v32, v8
	v_cmpx_gt_u32_e32 8, v1
; %bb.487:                              ;   in Loop: Header=BB399_11 Depth=1
	v_ffbh_u32_e32 v0, v8
	v_min_u32_e32 v0, 32, v0
	v_subrev_nc_u32_e32 v1, 28, v0
	v_sub_nc_u32_e32 v0, 29, v0
	v_lshlrev_b64 v[1:2], v1, v[8:9]
	v_and_b32_e32 v32, 7, v1
; %bb.488:                              ;   in Loop: Header=BB399_11 Depth=1
	s_or_b32 exec_lo, exec_lo, s24
	v_mov_b32_e32 v1, 24
	v_lshlrev_b32_e32 v2, 20, v32
	v_lshl_add_u32 v0, v0, 23, 0x3c000000
	v_lshlrev_b32_sdwa v1, v1, v30 dst_sel:DWORD dst_unused:UNUSED_PAD src0_sel:DWORD src1_sel:BYTE_3
	v_and_b32_e32 v1, 0x80000000, v1
	v_or3_b32 v0, v2, v1, v0
	buffer_store_dword v0, off, s[0:3], s32 offset:408 ; 4-byte Folded Spill
.LBB399_489:                            ;   in Loop: Header=BB399_11 Depth=1
	s_or_b32 exec_lo, exec_lo, s23
.LBB399_490:                            ;   in Loop: Header=BB399_11 Depth=1
	s_or_b32 exec_lo, exec_lo, s17
.LBB399_491:                            ;   in Loop: Header=BB399_11 Depth=1
	s_or_b32 exec_lo, exec_lo, s6
	v_mov_b32_e32 v8, v31
	v_cmp_ne_u16_sdwa s5, v31, v9 src0_sel:BYTE_0 src1_sel:DWORD
	s_and_saveexec_b32 s6, s5
	s_cbranch_execz .LBB399_499
; %bb.492:                              ;   in Loop: Header=BB399_11 Depth=1
	v_cmp_ne_u16_sdwa s5, v31, v41 src0_sel:BYTE_0 src1_sel:DWORD
	v_bfrev_b32_e32 v0, 1
	buffer_store_dword v0, off, s[0:3], s32 offset:412 ; 4-byte Folded Spill
	s_and_saveexec_b32 s17, s5
	s_cbranch_execz .LBB399_498
; %bb.493:                              ;   in Loop: Header=BB399_11 Depth=1
	v_and_b32_e32 v1, 0x7f, v31
	v_mov_b32_e32 v0, 0x7f800001
	s_mov_b32 s23, exec_lo
	buffer_store_dword v0, off, s[0:3], s32 offset:412 ; 4-byte Folded Spill
	v_cmpx_ne_u32_e32 0x7f, v1
	s_cbranch_execz .LBB399_497
; %bb.494:                              ;   in Loop: Header=BB399_11 Depth=1
	v_mov_b32_e32 v33, v9
	v_lshrrev_b32_e32 v0, 3, v1
	v_mov_b32_e32 v32, v8
	s_mov_b32 s24, exec_lo
	v_cmpx_gt_u32_e32 8, v1
; %bb.495:                              ;   in Loop: Header=BB399_11 Depth=1
	v_and_b32_e32 v0, 7, v31
	v_ffbh_u32_e32 v0, v0
	v_min_u32_e32 v0, 32, v0
	v_subrev_nc_u32_e32 v1, 28, v0
	v_sub_nc_u32_e32 v0, 29, v0
	v_lshlrev_b64 v[32:33], v1, v[8:9]
; %bb.496:                              ;   in Loop: Header=BB399_11 Depth=1
	s_or_b32 exec_lo, exec_lo, s24
	v_lshlrev_b32_e32 v1, 20, v32
	v_lshlrev_b32_e32 v2, 24, v8
	v_lshl_add_u32 v0, v0, 23, 0x3c000000
	v_and_b32_e32 v1, 0x700000, v1
	v_and_b32_e32 v2, 0x80000000, v2
	v_or3_b32 v0, v1, v2, v0
	buffer_store_dword v0, off, s[0:3], s32 offset:412 ; 4-byte Folded Spill
.LBB399_497:                            ;   in Loop: Header=BB399_11 Depth=1
	s_or_b32 exec_lo, exec_lo, s23
.LBB399_498:                            ;   in Loop: Header=BB399_11 Depth=1
	s_or_b32 exec_lo, exec_lo, s17
.LBB399_499:                            ;   in Loop: Header=BB399_11 Depth=1
	s_or_b32 exec_lo, exec_lo, s6
	v_mov_b32_e32 v0, 0
	v_cmp_ne_u16_sdwa s5, v8, v9 src0_sel:BYTE_1 src1_sel:DWORD
	buffer_store_dword v0, off, s[0:3], s32 offset:416 ; 4-byte Folded Spill
	v_mov_b32_e32 v0, 0
	buffer_store_dword v0, off, s[0:3], s32 offset:420 ; 4-byte Folded Spill
	s_and_saveexec_b32 s6, s5
	s_cbranch_execz .LBB399_507
; %bb.500:                              ;   in Loop: Header=BB399_11 Depth=1
	v_cmp_ne_u16_sdwa s5, v8, v41 src0_sel:BYTE_1 src1_sel:DWORD
	v_bfrev_b32_e32 v0, 1
	buffer_store_dword v0, off, s[0:3], s32 offset:420 ; 4-byte Folded Spill
	s_and_saveexec_b32 s17, s5
	s_cbranch_execz .LBB399_506
; %bb.501:                              ;   in Loop: Header=BB399_11 Depth=1
	v_mov_b32_e32 v0, 0xffff
	v_mov_b32_e32 v2, 0x7f800001
	s_mov_b32 s23, exec_lo
	v_and_b32_sdwa v0, v0, v8 dst_sel:DWORD dst_unused:UNUSED_PAD src0_sel:DWORD src1_sel:BYTE_1
	buffer_store_dword v2, off, s[0:3], s32 offset:420 ; 4-byte Folded Spill
	v_and_b32_e32 v1, 0x7f, v0
	v_cmpx_ne_u32_e32 0x7f, v1
	s_cbranch_execz .LBB399_505
; %bb.502:                              ;   in Loop: Header=BB399_11 Depth=1
	v_and_b32_e32 v32, 7, v0
	v_mov_b32_e32 v33, v9
	v_lshrrev_b32_e32 v0, 3, v1
	s_mov_b32 s24, exec_lo
	v_cmpx_gt_u32_e32 8, v1
; %bb.503:                              ;   in Loop: Header=BB399_11 Depth=1
	v_ffbh_u32_e32 v0, v32
	v_min_u32_e32 v0, 32, v0
	v_subrev_nc_u32_e32 v1, 28, v0
	v_sub_nc_u32_e32 v0, 29, v0
	v_lshlrev_b64 v[1:2], v1, v[32:33]
	v_and_b32_e32 v32, 7, v1
; %bb.504:                              ;   in Loop: Header=BB399_11 Depth=1
	s_or_b32 exec_lo, exec_lo, s24
	v_lshlrev_b32_e32 v1, 16, v8
	v_lshlrev_b32_e32 v2, 20, v32
	v_lshl_add_u32 v0, v0, 23, 0x3c000000
	v_and_b32_e32 v1, 0x80000000, v1
	v_or3_b32 v0, v2, v1, v0
	buffer_store_dword v0, off, s[0:3], s32 offset:420 ; 4-byte Folded Spill
.LBB399_505:                            ;   in Loop: Header=BB399_11 Depth=1
	s_or_b32 exec_lo, exec_lo, s23
.LBB399_506:                            ;   in Loop: Header=BB399_11 Depth=1
	s_or_b32 exec_lo, exec_lo, s17
.LBB399_507:                            ;   in Loop: Header=BB399_11 Depth=1
	s_or_b32 exec_lo, exec_lo, s6
	v_mov_b32_e32 v0, 0xff
	s_mov_b32 s6, exec_lo
	v_and_b32_sdwa v0, v31, v0 dst_sel:DWORD dst_unused:UNUSED_PAD src0_sel:WORD_1 src1_sel:DWORD
	v_cmpx_ne_u16_e32 0, v0
	s_cbranch_execz .LBB399_515
; %bb.508:                              ;   in Loop: Header=BB399_11 Depth=1
	v_cmp_ne_u16_e64 s5, 0x80, v0
	v_bfrev_b32_e32 v0, 1
	buffer_store_dword v0, off, s[0:3], s32 offset:416 ; 4-byte Folded Spill
	s_and_saveexec_b32 s17, s5
	s_cbranch_execz .LBB399_514
; %bb.509:                              ;   in Loop: Header=BB399_11 Depth=1
	v_bfe_u32 v1, v31, 16, 7
	v_mov_b32_e32 v0, 0x7f800001
	s_mov_b32 s23, exec_lo
	buffer_store_dword v0, off, s[0:3], s32 offset:416 ; 4-byte Folded Spill
	v_cmpx_ne_u32_e32 0x7f, v1
	s_cbranch_execz .LBB399_513
; %bb.510:                              ;   in Loop: Header=BB399_11 Depth=1
	v_mov_b32_e32 v0, 7
	s_mov_b32 s24, exec_lo
	v_and_b32_sdwa v8, v31, v0 dst_sel:DWORD dst_unused:UNUSED_PAD src0_sel:WORD_1 src1_sel:DWORD
	v_mov_b32_e32 v33, v9
	v_lshrrev_b32_e32 v0, 3, v1
	v_mov_b32_e32 v32, v8
	v_cmpx_gt_u32_e32 8, v1
; %bb.511:                              ;   in Loop: Header=BB399_11 Depth=1
	v_ffbh_u32_e32 v0, v8
	v_min_u32_e32 v0, 32, v0
	v_subrev_nc_u32_e32 v1, 28, v0
	v_sub_nc_u32_e32 v0, 29, v0
	v_lshlrev_b64 v[1:2], v1, v[8:9]
	v_and_b32_e32 v32, 7, v1
; %bb.512:                              ;   in Loop: Header=BB399_11 Depth=1
	s_or_b32 exec_lo, exec_lo, s24
	v_mov_b32_e32 v1, 24
	v_lshlrev_b32_e32 v2, 20, v32
	v_lshl_add_u32 v0, v0, 23, 0x3c000000
	v_lshlrev_b32_sdwa v1, v1, v31 dst_sel:DWORD dst_unused:UNUSED_PAD src0_sel:DWORD src1_sel:WORD_1
	v_and_b32_e32 v1, 0x80000000, v1
	v_or3_b32 v0, v2, v1, v0
	buffer_store_dword v0, off, s[0:3], s32 offset:416 ; 4-byte Folded Spill
.LBB399_513:                            ;   in Loop: Header=BB399_11 Depth=1
	s_or_b32 exec_lo, exec_lo, s23
.LBB399_514:                            ;   in Loop: Header=BB399_11 Depth=1
	s_or_b32 exec_lo, exec_lo, s17
.LBB399_515:                            ;   in Loop: Header=BB399_11 Depth=1
	s_or_b32 exec_lo, exec_lo, s6
	v_mov_b32_e32 v0, 0
	s_mov_b32 s6, exec_lo
	buffer_store_dword v0, off, s[0:3], s32 offset:428 ; 4-byte Folded Spill
	v_mov_b32_e32 v0, 0
	buffer_store_dword v0, off, s[0:3], s32 offset:424 ; 4-byte Folded Spill
	v_cmpx_lt_u64_e64 s[8:9], v[30:31]
	s_cbranch_execz .LBB399_523
; %bb.516:                              ;   in Loop: Header=BB399_11 Depth=1
	v_cmp_ne_u32_sdwa s5, v31, v41 src0_sel:BYTE_3 src1_sel:DWORD
	v_bfrev_b32_e32 v0, 1
	buffer_store_dword v0, off, s[0:3], s32 offset:424 ; 4-byte Folded Spill
	s_and_saveexec_b32 s17, s5
	s_cbranch_execz .LBB399_522
; %bb.517:                              ;   in Loop: Header=BB399_11 Depth=1
	v_bfe_u32 v1, v31, 24, 7
	v_mov_b32_e32 v0, 0x7f800001
	s_mov_b32 s23, exec_lo
	buffer_store_dword v0, off, s[0:3], s32 offset:424 ; 4-byte Folded Spill
	v_cmpx_ne_u32_e32 0x7f, v1
	s_cbranch_execz .LBB399_521
; %bb.518:                              ;   in Loop: Header=BB399_11 Depth=1
	v_mov_b32_e32 v0, 7
	s_mov_b32 s24, exec_lo
	v_and_b32_sdwa v8, v31, v0 dst_sel:DWORD dst_unused:UNUSED_PAD src0_sel:BYTE_3 src1_sel:DWORD
	v_mov_b32_e32 v33, v9
	v_lshrrev_b32_e32 v0, 3, v1
	v_mov_b32_e32 v32, v8
	v_cmpx_gt_u32_e32 8, v1
; %bb.519:                              ;   in Loop: Header=BB399_11 Depth=1
	v_ffbh_u32_e32 v0, v8
	v_min_u32_e32 v0, 32, v0
	v_subrev_nc_u32_e32 v1, 28, v0
	v_sub_nc_u32_e32 v0, 29, v0
	v_lshlrev_b64 v[1:2], v1, v[8:9]
	v_and_b32_e32 v32, 7, v1
; %bb.520:                              ;   in Loop: Header=BB399_11 Depth=1
	s_or_b32 exec_lo, exec_lo, s24
	v_mov_b32_e32 v1, 24
	v_lshlrev_b32_e32 v2, 20, v32
	v_lshl_add_u32 v0, v0, 23, 0x3c000000
	v_lshlrev_b32_sdwa v1, v1, v31 dst_sel:DWORD dst_unused:UNUSED_PAD src0_sel:DWORD src1_sel:BYTE_3
	v_and_b32_e32 v1, 0x80000000, v1
	v_or3_b32 v0, v2, v1, v0
	buffer_store_dword v0, off, s[0:3], s32 offset:424 ; 4-byte Folded Spill
.LBB399_521:                            ;   in Loop: Header=BB399_11 Depth=1
	s_or_b32 exec_lo, exec_lo, s23
.LBB399_522:                            ;   in Loop: Header=BB399_11 Depth=1
	s_or_b32 exec_lo, exec_lo, s17
.LBB399_523:                            ;   in Loop: Header=BB399_11 Depth=1
	s_or_b32 exec_lo, exec_lo, s6
	v_add_co_u32 v30, s5, 0x800, v28
	v_add_co_ci_u32_e64 v31, null, 0, v29, s5
	flat_load_dwordx2 v[32:33], v[30:31]
	s_waitcnt vmcnt(0) lgkmcnt(0)
	v_cmp_ne_u16_sdwa s5, v32, v9 src0_sel:BYTE_0 src1_sel:DWORD
	s_and_saveexec_b32 s6, s5
	s_cbranch_execz .LBB399_531
; %bb.524:                              ;   in Loop: Header=BB399_11 Depth=1
	v_cmp_ne_u16_sdwa s5, v32, v41 src0_sel:BYTE_0 src1_sel:DWORD
	v_bfrev_b32_e32 v0, 1
	buffer_store_dword v0, off, s[0:3], s32 offset:428 ; 4-byte Folded Spill
	s_and_saveexec_b32 s17, s5
	s_cbranch_execz .LBB399_530
; %bb.525:                              ;   in Loop: Header=BB399_11 Depth=1
	v_and_b32_e32 v1, 0x7f, v32
	v_mov_b32_e32 v0, 0x7f800001
	s_mov_b32 s23, exec_lo
	buffer_store_dword v0, off, s[0:3], s32 offset:428 ; 4-byte Folded Spill
	v_cmpx_ne_u32_e32 0x7f, v1
	s_cbranch_execz .LBB399_529
; %bb.526:                              ;   in Loop: Header=BB399_11 Depth=1
	v_mov_b32_e32 v35, v33
	v_lshrrev_b32_e32 v0, 3, v1
	v_mov_b32_e32 v34, v32
	s_mov_b32 s24, exec_lo
	v_cmpx_gt_u32_e32 8, v1
; %bb.527:                              ;   in Loop: Header=BB399_11 Depth=1
	v_and_b32_e32 v0, 7, v32
	v_ffbh_u32_e32 v0, v0
	v_min_u32_e32 v0, 32, v0
	v_subrev_nc_u32_e32 v1, 28, v0
	v_sub_nc_u32_e32 v0, 29, v0
	v_lshlrev_b64 v[34:35], v1, v[32:33]
; %bb.528:                              ;   in Loop: Header=BB399_11 Depth=1
	s_or_b32 exec_lo, exec_lo, s24
	v_lshlrev_b32_e32 v1, 20, v34
	v_lshlrev_b32_e32 v2, 24, v32
	v_lshl_add_u32 v0, v0, 23, 0x3c000000
	v_and_b32_e32 v1, 0x700000, v1
	v_and_b32_e32 v2, 0x80000000, v2
	v_or3_b32 v0, v1, v2, v0
	buffer_store_dword v0, off, s[0:3], s32 offset:428 ; 4-byte Folded Spill
.LBB399_529:                            ;   in Loop: Header=BB399_11 Depth=1
	s_or_b32 exec_lo, exec_lo, s23
.LBB399_530:                            ;   in Loop: Header=BB399_11 Depth=1
	s_or_b32 exec_lo, exec_lo, s17
.LBB399_531:                            ;   in Loop: Header=BB399_11 Depth=1
	s_or_b32 exec_lo, exec_lo, s6
	v_mov_b32_e32 v0, 0
	v_cmp_ne_u16_sdwa s5, v32, v9 src0_sel:BYTE_1 src1_sel:DWORD
	buffer_store_dword v0, off, s[0:3], s32 offset:436 ; 4-byte Folded Spill
	v_mov_b32_e32 v0, 0
	buffer_store_dword v0, off, s[0:3], s32 offset:432 ; 4-byte Folded Spill
	s_and_saveexec_b32 s6, s5
	s_cbranch_execz .LBB399_539
; %bb.532:                              ;   in Loop: Header=BB399_11 Depth=1
	v_cmp_ne_u16_sdwa s5, v32, v41 src0_sel:BYTE_1 src1_sel:DWORD
	v_bfrev_b32_e32 v0, 1
	buffer_store_dword v0, off, s[0:3], s32 offset:432 ; 4-byte Folded Spill
	s_and_saveexec_b32 s17, s5
	s_cbranch_execz .LBB399_538
; %bb.533:                              ;   in Loop: Header=BB399_11 Depth=1
	v_mov_b32_e32 v0, 0xffff
	v_mov_b32_e32 v2, 0x7f800001
	s_mov_b32 s23, exec_lo
	v_and_b32_sdwa v0, v0, v32 dst_sel:DWORD dst_unused:UNUSED_PAD src0_sel:DWORD src1_sel:BYTE_1
	buffer_store_dword v2, off, s[0:3], s32 offset:432 ; 4-byte Folded Spill
	v_and_b32_e32 v1, 0x7f, v0
	v_cmpx_ne_u32_e32 0x7f, v1
	s_cbranch_execz .LBB399_537
; %bb.534:                              ;   in Loop: Header=BB399_11 Depth=1
	v_and_b32_e32 v8, 7, v0
	v_mov_b32_e32 v35, v9
	v_lshrrev_b32_e32 v0, 3, v1
	s_mov_b32 s24, exec_lo
	v_mov_b32_e32 v34, v8
	v_cmpx_gt_u32_e32 8, v1
; %bb.535:                              ;   in Loop: Header=BB399_11 Depth=1
	v_ffbh_u32_e32 v0, v8
	v_min_u32_e32 v0, 32, v0
	v_subrev_nc_u32_e32 v1, 28, v0
	v_sub_nc_u32_e32 v0, 29, v0
	v_lshlrev_b64 v[1:2], v1, v[8:9]
	v_and_b32_e32 v34, 7, v1
; %bb.536:                              ;   in Loop: Header=BB399_11 Depth=1
	s_or_b32 exec_lo, exec_lo, s24
	v_lshlrev_b32_e32 v1, 16, v32
	v_lshlrev_b32_e32 v2, 20, v34
	v_lshl_add_u32 v0, v0, 23, 0x3c000000
	v_and_b32_e32 v1, 0x80000000, v1
	v_or3_b32 v0, v2, v1, v0
	buffer_store_dword v0, off, s[0:3], s32 offset:432 ; 4-byte Folded Spill
.LBB399_537:                            ;   in Loop: Header=BB399_11 Depth=1
	s_or_b32 exec_lo, exec_lo, s23
.LBB399_538:                            ;   in Loop: Header=BB399_11 Depth=1
	s_or_b32 exec_lo, exec_lo, s17
.LBB399_539:                            ;   in Loop: Header=BB399_11 Depth=1
	s_or_b32 exec_lo, exec_lo, s6
	v_mov_b32_e32 v0, 0xff
	s_mov_b32 s6, exec_lo
	v_and_b32_sdwa v0, v32, v0 dst_sel:DWORD dst_unused:UNUSED_PAD src0_sel:WORD_1 src1_sel:DWORD
	v_cmpx_ne_u16_e32 0, v0
	s_cbranch_execz .LBB399_547
; %bb.540:                              ;   in Loop: Header=BB399_11 Depth=1
	v_cmp_ne_u16_e64 s5, 0x80, v0
	v_bfrev_b32_e32 v0, 1
	buffer_store_dword v0, off, s[0:3], s32 offset:436 ; 4-byte Folded Spill
	s_and_saveexec_b32 s17, s5
	s_cbranch_execz .LBB399_546
; %bb.541:                              ;   in Loop: Header=BB399_11 Depth=1
	v_bfe_u32 v1, v32, 16, 7
	v_mov_b32_e32 v0, 0x7f800001
	s_mov_b32 s23, exec_lo
	buffer_store_dword v0, off, s[0:3], s32 offset:436 ; 4-byte Folded Spill
	v_cmpx_ne_u32_e32 0x7f, v1
	s_cbranch_execz .LBB399_545
; %bb.542:                              ;   in Loop: Header=BB399_11 Depth=1
	v_mov_b32_e32 v0, 7
	s_mov_b32 s24, exec_lo
	v_and_b32_sdwa v8, v32, v0 dst_sel:DWORD dst_unused:UNUSED_PAD src0_sel:WORD_1 src1_sel:DWORD
	v_mov_b32_e32 v35, v9
	v_lshrrev_b32_e32 v0, 3, v1
	v_mov_b32_e32 v34, v8
	v_cmpx_gt_u32_e32 8, v1
; %bb.543:                              ;   in Loop: Header=BB399_11 Depth=1
	v_ffbh_u32_e32 v0, v8
	v_min_u32_e32 v0, 32, v0
	v_subrev_nc_u32_e32 v1, 28, v0
	v_sub_nc_u32_e32 v0, 29, v0
	v_lshlrev_b64 v[1:2], v1, v[8:9]
	v_and_b32_e32 v34, 7, v1
; %bb.544:                              ;   in Loop: Header=BB399_11 Depth=1
	s_or_b32 exec_lo, exec_lo, s24
	v_mov_b32_e32 v1, 24
	v_lshlrev_b32_e32 v2, 20, v34
	v_lshl_add_u32 v0, v0, 23, 0x3c000000
	v_lshlrev_b32_sdwa v1, v1, v32 dst_sel:DWORD dst_unused:UNUSED_PAD src0_sel:DWORD src1_sel:WORD_1
	v_and_b32_e32 v1, 0x80000000, v1
	v_or3_b32 v0, v2, v1, v0
	buffer_store_dword v0, off, s[0:3], s32 offset:436 ; 4-byte Folded Spill
.LBB399_545:                            ;   in Loop: Header=BB399_11 Depth=1
	s_or_b32 exec_lo, exec_lo, s23
.LBB399_546:                            ;   in Loop: Header=BB399_11 Depth=1
	s_or_b32 exec_lo, exec_lo, s17
.LBB399_547:                            ;   in Loop: Header=BB399_11 Depth=1
	s_or_b32 exec_lo, exec_lo, s6
	v_mov_b32_e32 v0, 0
	s_mov_b32 s6, exec_lo
	buffer_store_dword v0, off, s[0:3], s32 offset:444 ; 4-byte Folded Spill
	v_mov_b32_e32 v0, 0
	buffer_store_dword v0, off, s[0:3], s32 offset:440 ; 4-byte Folded Spill
	v_cmpx_lt_u32_e32 0xffffff, v32
	s_cbranch_execz .LBB399_555
; %bb.548:                              ;   in Loop: Header=BB399_11 Depth=1
	v_cmp_ne_u32_sdwa s5, v32, v41 src0_sel:BYTE_3 src1_sel:DWORD
	v_bfrev_b32_e32 v0, 1
	buffer_store_dword v0, off, s[0:3], s32 offset:440 ; 4-byte Folded Spill
	s_and_saveexec_b32 s17, s5
	s_cbranch_execz .LBB399_554
; %bb.549:                              ;   in Loop: Header=BB399_11 Depth=1
	v_bfe_u32 v1, v32, 24, 7
	v_mov_b32_e32 v0, 0x7f800001
	s_mov_b32 s23, exec_lo
	buffer_store_dword v0, off, s[0:3], s32 offset:440 ; 4-byte Folded Spill
	v_cmpx_ne_u32_e32 0x7f, v1
	s_cbranch_execz .LBB399_553
; %bb.550:                              ;   in Loop: Header=BB399_11 Depth=1
	v_mov_b32_e32 v0, 7
	s_mov_b32 s24, exec_lo
	v_and_b32_sdwa v8, v32, v0 dst_sel:DWORD dst_unused:UNUSED_PAD src0_sel:BYTE_3 src1_sel:DWORD
	v_mov_b32_e32 v35, v9
	v_lshrrev_b32_e32 v0, 3, v1
	v_mov_b32_e32 v34, v8
	v_cmpx_gt_u32_e32 8, v1
; %bb.551:                              ;   in Loop: Header=BB399_11 Depth=1
	v_ffbh_u32_e32 v0, v8
	v_min_u32_e32 v0, 32, v0
	v_subrev_nc_u32_e32 v1, 28, v0
	v_sub_nc_u32_e32 v0, 29, v0
	v_lshlrev_b64 v[1:2], v1, v[8:9]
	v_and_b32_e32 v34, 7, v1
; %bb.552:                              ;   in Loop: Header=BB399_11 Depth=1
	s_or_b32 exec_lo, exec_lo, s24
	v_mov_b32_e32 v1, 24
	v_lshlrev_b32_e32 v2, 20, v34
	v_lshl_add_u32 v0, v0, 23, 0x3c000000
	v_lshlrev_b32_sdwa v1, v1, v32 dst_sel:DWORD dst_unused:UNUSED_PAD src0_sel:DWORD src1_sel:BYTE_3
	v_and_b32_e32 v1, 0x80000000, v1
	v_or3_b32 v0, v2, v1, v0
	buffer_store_dword v0, off, s[0:3], s32 offset:440 ; 4-byte Folded Spill
.LBB399_553:                            ;   in Loop: Header=BB399_11 Depth=1
	s_or_b32 exec_lo, exec_lo, s23
.LBB399_554:                            ;   in Loop: Header=BB399_11 Depth=1
	s_or_b32 exec_lo, exec_lo, s17
.LBB399_555:                            ;   in Loop: Header=BB399_11 Depth=1
	s_or_b32 exec_lo, exec_lo, s6
	v_mov_b32_e32 v8, v33
	v_cmp_ne_u16_sdwa s5, v33, v9 src0_sel:BYTE_0 src1_sel:DWORD
	s_and_saveexec_b32 s6, s5
	s_cbranch_execz .LBB399_563
; %bb.556:                              ;   in Loop: Header=BB399_11 Depth=1
	v_cmp_ne_u16_sdwa s5, v33, v41 src0_sel:BYTE_0 src1_sel:DWORD
	v_bfrev_b32_e32 v0, 1
	buffer_store_dword v0, off, s[0:3], s32 offset:444 ; 4-byte Folded Spill
	s_and_saveexec_b32 s17, s5
	s_cbranch_execz .LBB399_562
; %bb.557:                              ;   in Loop: Header=BB399_11 Depth=1
	v_and_b32_e32 v1, 0x7f, v33
	v_mov_b32_e32 v0, 0x7f800001
	s_mov_b32 s23, exec_lo
	buffer_store_dword v0, off, s[0:3], s32 offset:444 ; 4-byte Folded Spill
	v_cmpx_ne_u32_e32 0x7f, v1
	s_cbranch_execz .LBB399_561
; %bb.558:                              ;   in Loop: Header=BB399_11 Depth=1
	v_mov_b32_e32 v35, v9
	v_lshrrev_b32_e32 v0, 3, v1
	v_mov_b32_e32 v34, v8
	s_mov_b32 s24, exec_lo
	v_cmpx_gt_u32_e32 8, v1
; %bb.559:                              ;   in Loop: Header=BB399_11 Depth=1
	v_and_b32_e32 v0, 7, v33
	v_ffbh_u32_e32 v0, v0
	v_min_u32_e32 v0, 32, v0
	v_subrev_nc_u32_e32 v1, 28, v0
	v_sub_nc_u32_e32 v0, 29, v0
	v_lshlrev_b64 v[34:35], v1, v[8:9]
; %bb.560:                              ;   in Loop: Header=BB399_11 Depth=1
	s_or_b32 exec_lo, exec_lo, s24
	v_lshlrev_b32_e32 v1, 20, v34
	v_lshlrev_b32_e32 v2, 24, v8
	v_lshl_add_u32 v0, v0, 23, 0x3c000000
	v_and_b32_e32 v1, 0x700000, v1
	v_and_b32_e32 v2, 0x80000000, v2
	v_or3_b32 v0, v1, v2, v0
	buffer_store_dword v0, off, s[0:3], s32 offset:444 ; 4-byte Folded Spill
.LBB399_561:                            ;   in Loop: Header=BB399_11 Depth=1
	s_or_b32 exec_lo, exec_lo, s23
.LBB399_562:                            ;   in Loop: Header=BB399_11 Depth=1
	s_or_b32 exec_lo, exec_lo, s17
.LBB399_563:                            ;   in Loop: Header=BB399_11 Depth=1
	s_or_b32 exec_lo, exec_lo, s6
	v_mov_b32_e32 v0, 0
	v_cmp_ne_u16_sdwa s5, v8, v9 src0_sel:BYTE_1 src1_sel:DWORD
	buffer_store_dword v0, off, s[0:3], s32 offset:448 ; 4-byte Folded Spill
	v_mov_b32_e32 v0, 0
	buffer_store_dword v0, off, s[0:3], s32 offset:452 ; 4-byte Folded Spill
	s_and_saveexec_b32 s6, s5
	s_cbranch_execz .LBB399_571
; %bb.564:                              ;   in Loop: Header=BB399_11 Depth=1
	v_cmp_ne_u16_sdwa s5, v8, v41 src0_sel:BYTE_1 src1_sel:DWORD
	v_bfrev_b32_e32 v0, 1
	buffer_store_dword v0, off, s[0:3], s32 offset:452 ; 4-byte Folded Spill
	s_and_saveexec_b32 s17, s5
	s_cbranch_execz .LBB399_570
; %bb.565:                              ;   in Loop: Header=BB399_11 Depth=1
	v_mov_b32_e32 v0, 0xffff
	v_mov_b32_e32 v2, 0x7f800001
	s_mov_b32 s23, exec_lo
	v_and_b32_sdwa v0, v0, v8 dst_sel:DWORD dst_unused:UNUSED_PAD src0_sel:DWORD src1_sel:BYTE_1
	buffer_store_dword v2, off, s[0:3], s32 offset:452 ; 4-byte Folded Spill
	v_and_b32_e32 v1, 0x7f, v0
	v_cmpx_ne_u32_e32 0x7f, v1
	s_cbranch_execz .LBB399_569
; %bb.566:                              ;   in Loop: Header=BB399_11 Depth=1
	v_and_b32_e32 v34, 7, v0
	v_mov_b32_e32 v35, v9
	v_lshrrev_b32_e32 v0, 3, v1
	s_mov_b32 s24, exec_lo
	v_cmpx_gt_u32_e32 8, v1
; %bb.567:                              ;   in Loop: Header=BB399_11 Depth=1
	v_ffbh_u32_e32 v0, v34
	v_min_u32_e32 v0, 32, v0
	v_subrev_nc_u32_e32 v1, 28, v0
	v_sub_nc_u32_e32 v0, 29, v0
	v_lshlrev_b64 v[1:2], v1, v[34:35]
	v_and_b32_e32 v34, 7, v1
; %bb.568:                              ;   in Loop: Header=BB399_11 Depth=1
	s_or_b32 exec_lo, exec_lo, s24
	v_lshlrev_b32_e32 v1, 16, v8
	v_lshlrev_b32_e32 v2, 20, v34
	v_lshl_add_u32 v0, v0, 23, 0x3c000000
	v_and_b32_e32 v1, 0x80000000, v1
	v_or3_b32 v0, v2, v1, v0
	buffer_store_dword v0, off, s[0:3], s32 offset:452 ; 4-byte Folded Spill
.LBB399_569:                            ;   in Loop: Header=BB399_11 Depth=1
	s_or_b32 exec_lo, exec_lo, s23
.LBB399_570:                            ;   in Loop: Header=BB399_11 Depth=1
	s_or_b32 exec_lo, exec_lo, s17
.LBB399_571:                            ;   in Loop: Header=BB399_11 Depth=1
	s_or_b32 exec_lo, exec_lo, s6
	v_mov_b32_e32 v0, 0xff
	s_mov_b32 s6, exec_lo
	v_and_b32_sdwa v0, v33, v0 dst_sel:DWORD dst_unused:UNUSED_PAD src0_sel:WORD_1 src1_sel:DWORD
	v_cmpx_ne_u16_e32 0, v0
	s_cbranch_execz .LBB399_579
; %bb.572:                              ;   in Loop: Header=BB399_11 Depth=1
	v_cmp_ne_u16_e64 s5, 0x80, v0
	v_bfrev_b32_e32 v0, 1
	buffer_store_dword v0, off, s[0:3], s32 offset:448 ; 4-byte Folded Spill
	s_and_saveexec_b32 s17, s5
	s_cbranch_execz .LBB399_578
; %bb.573:                              ;   in Loop: Header=BB399_11 Depth=1
	v_bfe_u32 v1, v33, 16, 7
	v_mov_b32_e32 v0, 0x7f800001
	s_mov_b32 s23, exec_lo
	buffer_store_dword v0, off, s[0:3], s32 offset:448 ; 4-byte Folded Spill
	v_cmpx_ne_u32_e32 0x7f, v1
	s_cbranch_execz .LBB399_577
; %bb.574:                              ;   in Loop: Header=BB399_11 Depth=1
	v_mov_b32_e32 v0, 7
	s_mov_b32 s24, exec_lo
	v_and_b32_sdwa v8, v33, v0 dst_sel:DWORD dst_unused:UNUSED_PAD src0_sel:WORD_1 src1_sel:DWORD
	v_mov_b32_e32 v35, v9
	v_lshrrev_b32_e32 v0, 3, v1
	v_mov_b32_e32 v34, v8
	v_cmpx_gt_u32_e32 8, v1
; %bb.575:                              ;   in Loop: Header=BB399_11 Depth=1
	v_ffbh_u32_e32 v0, v8
	v_min_u32_e32 v0, 32, v0
	v_subrev_nc_u32_e32 v1, 28, v0
	v_sub_nc_u32_e32 v0, 29, v0
	v_lshlrev_b64 v[1:2], v1, v[8:9]
	v_and_b32_e32 v34, 7, v1
; %bb.576:                              ;   in Loop: Header=BB399_11 Depth=1
	s_or_b32 exec_lo, exec_lo, s24
	v_mov_b32_e32 v1, 24
	v_lshlrev_b32_e32 v2, 20, v34
	v_lshl_add_u32 v0, v0, 23, 0x3c000000
	v_lshlrev_b32_sdwa v1, v1, v33 dst_sel:DWORD dst_unused:UNUSED_PAD src0_sel:DWORD src1_sel:WORD_1
	v_and_b32_e32 v1, 0x80000000, v1
	v_or3_b32 v0, v2, v1, v0
	buffer_store_dword v0, off, s[0:3], s32 offset:448 ; 4-byte Folded Spill
.LBB399_577:                            ;   in Loop: Header=BB399_11 Depth=1
	s_or_b32 exec_lo, exec_lo, s23
.LBB399_578:                            ;   in Loop: Header=BB399_11 Depth=1
	s_or_b32 exec_lo, exec_lo, s17
.LBB399_579:                            ;   in Loop: Header=BB399_11 Depth=1
	s_or_b32 exec_lo, exec_lo, s6
	v_mov_b32_e32 v0, 0
	s_mov_b32 s6, exec_lo
	buffer_store_dword v0, off, s[0:3], s32 offset:460 ; 4-byte Folded Spill
	v_mov_b32_e32 v0, 0
	buffer_store_dword v0, off, s[0:3], s32 offset:456 ; 4-byte Folded Spill
	v_cmpx_lt_u64_e64 s[8:9], v[32:33]
	s_cbranch_execz .LBB399_587
; %bb.580:                              ;   in Loop: Header=BB399_11 Depth=1
	v_cmp_ne_u32_sdwa s5, v33, v41 src0_sel:BYTE_3 src1_sel:DWORD
	v_bfrev_b32_e32 v0, 1
	buffer_store_dword v0, off, s[0:3], s32 offset:456 ; 4-byte Folded Spill
	s_and_saveexec_b32 s17, s5
	s_cbranch_execz .LBB399_586
; %bb.581:                              ;   in Loop: Header=BB399_11 Depth=1
	v_bfe_u32 v1, v33, 24, 7
	v_mov_b32_e32 v0, 0x7f800001
	s_mov_b32 s23, exec_lo
	buffer_store_dword v0, off, s[0:3], s32 offset:456 ; 4-byte Folded Spill
	v_cmpx_ne_u32_e32 0x7f, v1
	s_cbranch_execz .LBB399_585
; %bb.582:                              ;   in Loop: Header=BB399_11 Depth=1
	v_mov_b32_e32 v0, 7
	s_mov_b32 s24, exec_lo
	v_and_b32_sdwa v8, v33, v0 dst_sel:DWORD dst_unused:UNUSED_PAD src0_sel:BYTE_3 src1_sel:DWORD
	v_mov_b32_e32 v35, v9
	v_lshrrev_b32_e32 v0, 3, v1
	v_mov_b32_e32 v34, v8
	v_cmpx_gt_u32_e32 8, v1
; %bb.583:                              ;   in Loop: Header=BB399_11 Depth=1
	v_ffbh_u32_e32 v0, v8
	v_min_u32_e32 v0, 32, v0
	v_subrev_nc_u32_e32 v1, 28, v0
	v_sub_nc_u32_e32 v0, 29, v0
	v_lshlrev_b64 v[1:2], v1, v[8:9]
	v_and_b32_e32 v34, 7, v1
; %bb.584:                              ;   in Loop: Header=BB399_11 Depth=1
	s_or_b32 exec_lo, exec_lo, s24
	v_mov_b32_e32 v1, 24
	v_lshlrev_b32_e32 v2, 20, v34
	v_lshl_add_u32 v0, v0, 23, 0x3c000000
	v_lshlrev_b32_sdwa v1, v1, v33 dst_sel:DWORD dst_unused:UNUSED_PAD src0_sel:DWORD src1_sel:BYTE_3
	v_and_b32_e32 v1, 0x80000000, v1
	v_or3_b32 v0, v2, v1, v0
	buffer_store_dword v0, off, s[0:3], s32 offset:456 ; 4-byte Folded Spill
.LBB399_585:                            ;   in Loop: Header=BB399_11 Depth=1
	s_or_b32 exec_lo, exec_lo, s23
.LBB399_586:                            ;   in Loop: Header=BB399_11 Depth=1
	s_or_b32 exec_lo, exec_lo, s17
.LBB399_587:                            ;   in Loop: Header=BB399_11 Depth=1
	s_or_b32 exec_lo, exec_lo, s6
	flat_load_dwordx2 v[32:33], v[30:31] offset:8
	s_waitcnt vmcnt(0) lgkmcnt(0)
	v_cmp_ne_u16_sdwa s5, v32, v9 src0_sel:BYTE_0 src1_sel:DWORD
	s_and_saveexec_b32 s6, s5
	s_cbranch_execz .LBB399_595
; %bb.588:                              ;   in Loop: Header=BB399_11 Depth=1
	v_cmp_ne_u16_sdwa s5, v32, v41 src0_sel:BYTE_0 src1_sel:DWORD
	v_bfrev_b32_e32 v0, 1
	buffer_store_dword v0, off, s[0:3], s32 offset:460 ; 4-byte Folded Spill
	s_and_saveexec_b32 s17, s5
	s_cbranch_execz .LBB399_594
; %bb.589:                              ;   in Loop: Header=BB399_11 Depth=1
	v_and_b32_e32 v1, 0x7f, v32
	v_mov_b32_e32 v0, 0x7f800001
	s_mov_b32 s23, exec_lo
	buffer_store_dword v0, off, s[0:3], s32 offset:460 ; 4-byte Folded Spill
	v_cmpx_ne_u32_e32 0x7f, v1
	s_cbranch_execz .LBB399_593
; %bb.590:                              ;   in Loop: Header=BB399_11 Depth=1
	v_mov_b32_e32 v35, v33
	v_lshrrev_b32_e32 v0, 3, v1
	v_mov_b32_e32 v34, v32
	s_mov_b32 s24, exec_lo
	v_cmpx_gt_u32_e32 8, v1
; %bb.591:                              ;   in Loop: Header=BB399_11 Depth=1
	v_and_b32_e32 v0, 7, v32
	v_ffbh_u32_e32 v0, v0
	v_min_u32_e32 v0, 32, v0
	v_subrev_nc_u32_e32 v1, 28, v0
	v_sub_nc_u32_e32 v0, 29, v0
	v_lshlrev_b64 v[34:35], v1, v[32:33]
; %bb.592:                              ;   in Loop: Header=BB399_11 Depth=1
	s_or_b32 exec_lo, exec_lo, s24
	v_lshlrev_b32_e32 v1, 20, v34
	v_lshlrev_b32_e32 v2, 24, v32
	v_lshl_add_u32 v0, v0, 23, 0x3c000000
	v_and_b32_e32 v1, 0x700000, v1
	v_and_b32_e32 v2, 0x80000000, v2
	v_or3_b32 v0, v1, v2, v0
	buffer_store_dword v0, off, s[0:3], s32 offset:460 ; 4-byte Folded Spill
.LBB399_593:                            ;   in Loop: Header=BB399_11 Depth=1
	s_or_b32 exec_lo, exec_lo, s23
.LBB399_594:                            ;   in Loop: Header=BB399_11 Depth=1
	s_or_b32 exec_lo, exec_lo, s17
.LBB399_595:                            ;   in Loop: Header=BB399_11 Depth=1
	s_or_b32 exec_lo, exec_lo, s6
	v_mov_b32_e32 v0, 0
	v_cmp_ne_u16_sdwa s5, v32, v9 src0_sel:BYTE_1 src1_sel:DWORD
	buffer_store_dword v0, off, s[0:3], s32 offset:468 ; 4-byte Folded Spill
	v_mov_b32_e32 v0, 0
	buffer_store_dword v0, off, s[0:3], s32 offset:464 ; 4-byte Folded Spill
	s_and_saveexec_b32 s6, s5
	s_cbranch_execz .LBB399_603
; %bb.596:                              ;   in Loop: Header=BB399_11 Depth=1
	v_cmp_ne_u16_sdwa s5, v32, v41 src0_sel:BYTE_1 src1_sel:DWORD
	v_bfrev_b32_e32 v0, 1
	buffer_store_dword v0, off, s[0:3], s32 offset:464 ; 4-byte Folded Spill
	s_and_saveexec_b32 s17, s5
	s_cbranch_execz .LBB399_602
; %bb.597:                              ;   in Loop: Header=BB399_11 Depth=1
	v_mov_b32_e32 v0, 0xffff
	v_mov_b32_e32 v2, 0x7f800001
	s_mov_b32 s23, exec_lo
	v_and_b32_sdwa v0, v0, v32 dst_sel:DWORD dst_unused:UNUSED_PAD src0_sel:DWORD src1_sel:BYTE_1
	buffer_store_dword v2, off, s[0:3], s32 offset:464 ; 4-byte Folded Spill
	v_and_b32_e32 v1, 0x7f, v0
	v_cmpx_ne_u32_e32 0x7f, v1
	s_cbranch_execz .LBB399_601
; %bb.598:                              ;   in Loop: Header=BB399_11 Depth=1
	v_and_b32_e32 v8, 7, v0
	v_mov_b32_e32 v35, v9
	v_lshrrev_b32_e32 v0, 3, v1
	s_mov_b32 s24, exec_lo
	v_mov_b32_e32 v34, v8
	v_cmpx_gt_u32_e32 8, v1
; %bb.599:                              ;   in Loop: Header=BB399_11 Depth=1
	v_ffbh_u32_e32 v0, v8
	v_min_u32_e32 v0, 32, v0
	v_subrev_nc_u32_e32 v1, 28, v0
	v_sub_nc_u32_e32 v0, 29, v0
	v_lshlrev_b64 v[1:2], v1, v[8:9]
	v_and_b32_e32 v34, 7, v1
; %bb.600:                              ;   in Loop: Header=BB399_11 Depth=1
	s_or_b32 exec_lo, exec_lo, s24
	v_lshlrev_b32_e32 v1, 16, v32
	v_lshlrev_b32_e32 v2, 20, v34
	v_lshl_add_u32 v0, v0, 23, 0x3c000000
	v_and_b32_e32 v1, 0x80000000, v1
	v_or3_b32 v0, v2, v1, v0
	buffer_store_dword v0, off, s[0:3], s32 offset:464 ; 4-byte Folded Spill
.LBB399_601:                            ;   in Loop: Header=BB399_11 Depth=1
	s_or_b32 exec_lo, exec_lo, s23
.LBB399_602:                            ;   in Loop: Header=BB399_11 Depth=1
	s_or_b32 exec_lo, exec_lo, s17
.LBB399_603:                            ;   in Loop: Header=BB399_11 Depth=1
	s_or_b32 exec_lo, exec_lo, s6
	v_mov_b32_e32 v0, 0xff
	s_mov_b32 s6, exec_lo
	v_and_b32_sdwa v0, v32, v0 dst_sel:DWORD dst_unused:UNUSED_PAD src0_sel:WORD_1 src1_sel:DWORD
	v_cmpx_ne_u16_e32 0, v0
	s_cbranch_execz .LBB399_611
; %bb.604:                              ;   in Loop: Header=BB399_11 Depth=1
	v_cmp_ne_u16_e64 s5, 0x80, v0
	v_bfrev_b32_e32 v0, 1
	buffer_store_dword v0, off, s[0:3], s32 offset:468 ; 4-byte Folded Spill
	s_and_saveexec_b32 s17, s5
	s_cbranch_execz .LBB399_610
; %bb.605:                              ;   in Loop: Header=BB399_11 Depth=1
	v_bfe_u32 v1, v32, 16, 7
	v_mov_b32_e32 v0, 0x7f800001
	s_mov_b32 s23, exec_lo
	buffer_store_dword v0, off, s[0:3], s32 offset:468 ; 4-byte Folded Spill
	v_cmpx_ne_u32_e32 0x7f, v1
	s_cbranch_execz .LBB399_609
; %bb.606:                              ;   in Loop: Header=BB399_11 Depth=1
	v_mov_b32_e32 v0, 7
	s_mov_b32 s24, exec_lo
	v_and_b32_sdwa v8, v32, v0 dst_sel:DWORD dst_unused:UNUSED_PAD src0_sel:WORD_1 src1_sel:DWORD
	v_mov_b32_e32 v35, v9
	v_lshrrev_b32_e32 v0, 3, v1
	v_mov_b32_e32 v34, v8
	v_cmpx_gt_u32_e32 8, v1
; %bb.607:                              ;   in Loop: Header=BB399_11 Depth=1
	v_ffbh_u32_e32 v0, v8
	v_min_u32_e32 v0, 32, v0
	v_subrev_nc_u32_e32 v1, 28, v0
	v_sub_nc_u32_e32 v0, 29, v0
	v_lshlrev_b64 v[1:2], v1, v[8:9]
	v_and_b32_e32 v34, 7, v1
; %bb.608:                              ;   in Loop: Header=BB399_11 Depth=1
	s_or_b32 exec_lo, exec_lo, s24
	v_mov_b32_e32 v1, 24
	v_lshlrev_b32_e32 v2, 20, v34
	v_lshl_add_u32 v0, v0, 23, 0x3c000000
	v_lshlrev_b32_sdwa v1, v1, v32 dst_sel:DWORD dst_unused:UNUSED_PAD src0_sel:DWORD src1_sel:WORD_1
	v_and_b32_e32 v1, 0x80000000, v1
	v_or3_b32 v0, v2, v1, v0
	buffer_store_dword v0, off, s[0:3], s32 offset:468 ; 4-byte Folded Spill
.LBB399_609:                            ;   in Loop: Header=BB399_11 Depth=1
	s_or_b32 exec_lo, exec_lo, s23
.LBB399_610:                            ;   in Loop: Header=BB399_11 Depth=1
	s_or_b32 exec_lo, exec_lo, s17
.LBB399_611:                            ;   in Loop: Header=BB399_11 Depth=1
	s_or_b32 exec_lo, exec_lo, s6
	v_mov_b32_e32 v0, 0
	s_mov_b32 s6, exec_lo
	buffer_store_dword v0, off, s[0:3], s32 offset:476 ; 4-byte Folded Spill
	v_mov_b32_e32 v0, 0
	buffer_store_dword v0, off, s[0:3], s32 offset:472 ; 4-byte Folded Spill
	v_cmpx_lt_u32_e32 0xffffff, v32
	s_cbranch_execz .LBB399_619
; %bb.612:                              ;   in Loop: Header=BB399_11 Depth=1
	v_cmp_ne_u32_sdwa s5, v32, v41 src0_sel:BYTE_3 src1_sel:DWORD
	v_bfrev_b32_e32 v0, 1
	buffer_store_dword v0, off, s[0:3], s32 offset:472 ; 4-byte Folded Spill
	s_and_saveexec_b32 s17, s5
	s_cbranch_execz .LBB399_618
; %bb.613:                              ;   in Loop: Header=BB399_11 Depth=1
	v_bfe_u32 v1, v32, 24, 7
	v_mov_b32_e32 v0, 0x7f800001
	s_mov_b32 s23, exec_lo
	buffer_store_dword v0, off, s[0:3], s32 offset:472 ; 4-byte Folded Spill
	v_cmpx_ne_u32_e32 0x7f, v1
	s_cbranch_execz .LBB399_617
; %bb.614:                              ;   in Loop: Header=BB399_11 Depth=1
	v_mov_b32_e32 v0, 7
	s_mov_b32 s24, exec_lo
	v_and_b32_sdwa v8, v32, v0 dst_sel:DWORD dst_unused:UNUSED_PAD src0_sel:BYTE_3 src1_sel:DWORD
	v_mov_b32_e32 v35, v9
	v_lshrrev_b32_e32 v0, 3, v1
	v_mov_b32_e32 v34, v8
	v_cmpx_gt_u32_e32 8, v1
; %bb.615:                              ;   in Loop: Header=BB399_11 Depth=1
	v_ffbh_u32_e32 v0, v8
	v_min_u32_e32 v0, 32, v0
	v_subrev_nc_u32_e32 v1, 28, v0
	v_sub_nc_u32_e32 v0, 29, v0
	v_lshlrev_b64 v[1:2], v1, v[8:9]
	v_and_b32_e32 v34, 7, v1
; %bb.616:                              ;   in Loop: Header=BB399_11 Depth=1
	s_or_b32 exec_lo, exec_lo, s24
	v_mov_b32_e32 v1, 24
	v_lshlrev_b32_e32 v2, 20, v34
	v_lshl_add_u32 v0, v0, 23, 0x3c000000
	v_lshlrev_b32_sdwa v1, v1, v32 dst_sel:DWORD dst_unused:UNUSED_PAD src0_sel:DWORD src1_sel:BYTE_3
	v_and_b32_e32 v1, 0x80000000, v1
	v_or3_b32 v0, v2, v1, v0
	buffer_store_dword v0, off, s[0:3], s32 offset:472 ; 4-byte Folded Spill
.LBB399_617:                            ;   in Loop: Header=BB399_11 Depth=1
	s_or_b32 exec_lo, exec_lo, s23
.LBB399_618:                            ;   in Loop: Header=BB399_11 Depth=1
	s_or_b32 exec_lo, exec_lo, s17
.LBB399_619:                            ;   in Loop: Header=BB399_11 Depth=1
	s_or_b32 exec_lo, exec_lo, s6
	v_mov_b32_e32 v8, v33
	v_cmp_ne_u16_sdwa s5, v33, v9 src0_sel:BYTE_0 src1_sel:DWORD
	s_and_saveexec_b32 s6, s5
	s_cbranch_execz .LBB399_627
; %bb.620:                              ;   in Loop: Header=BB399_11 Depth=1
	v_cmp_ne_u16_sdwa s5, v33, v41 src0_sel:BYTE_0 src1_sel:DWORD
	v_bfrev_b32_e32 v0, 1
	buffer_store_dword v0, off, s[0:3], s32 offset:476 ; 4-byte Folded Spill
	s_and_saveexec_b32 s17, s5
	s_cbranch_execz .LBB399_626
; %bb.621:                              ;   in Loop: Header=BB399_11 Depth=1
	v_and_b32_e32 v1, 0x7f, v33
	v_mov_b32_e32 v0, 0x7f800001
	s_mov_b32 s23, exec_lo
	buffer_store_dword v0, off, s[0:3], s32 offset:476 ; 4-byte Folded Spill
	v_cmpx_ne_u32_e32 0x7f, v1
	s_cbranch_execz .LBB399_625
; %bb.622:                              ;   in Loop: Header=BB399_11 Depth=1
	v_mov_b32_e32 v35, v9
	v_lshrrev_b32_e32 v0, 3, v1
	v_mov_b32_e32 v34, v8
	s_mov_b32 s24, exec_lo
	v_cmpx_gt_u32_e32 8, v1
; %bb.623:                              ;   in Loop: Header=BB399_11 Depth=1
	v_and_b32_e32 v0, 7, v33
	v_ffbh_u32_e32 v0, v0
	v_min_u32_e32 v0, 32, v0
	v_subrev_nc_u32_e32 v1, 28, v0
	v_sub_nc_u32_e32 v0, 29, v0
	v_lshlrev_b64 v[34:35], v1, v[8:9]
; %bb.624:                              ;   in Loop: Header=BB399_11 Depth=1
	s_or_b32 exec_lo, exec_lo, s24
	v_lshlrev_b32_e32 v1, 20, v34
	v_lshlrev_b32_e32 v2, 24, v8
	v_lshl_add_u32 v0, v0, 23, 0x3c000000
	v_and_b32_e32 v1, 0x700000, v1
	v_and_b32_e32 v2, 0x80000000, v2
	v_or3_b32 v0, v1, v2, v0
	buffer_store_dword v0, off, s[0:3], s32 offset:476 ; 4-byte Folded Spill
.LBB399_625:                            ;   in Loop: Header=BB399_11 Depth=1
	s_or_b32 exec_lo, exec_lo, s23
.LBB399_626:                            ;   in Loop: Header=BB399_11 Depth=1
	s_or_b32 exec_lo, exec_lo, s17
.LBB399_627:                            ;   in Loop: Header=BB399_11 Depth=1
	s_or_b32 exec_lo, exec_lo, s6
	v_mov_b32_e32 v0, 0
	v_cmp_ne_u16_sdwa s5, v8, v9 src0_sel:BYTE_1 src1_sel:DWORD
	buffer_store_dword v0, off, s[0:3], s32 offset:480 ; 4-byte Folded Spill
	v_mov_b32_e32 v0, 0
	buffer_store_dword v0, off, s[0:3], s32 offset:484 ; 4-byte Folded Spill
	s_and_saveexec_b32 s6, s5
	s_cbranch_execz .LBB399_635
; %bb.628:                              ;   in Loop: Header=BB399_11 Depth=1
	v_cmp_ne_u16_sdwa s5, v8, v41 src0_sel:BYTE_1 src1_sel:DWORD
	v_bfrev_b32_e32 v0, 1
	buffer_store_dword v0, off, s[0:3], s32 offset:484 ; 4-byte Folded Spill
	s_and_saveexec_b32 s17, s5
	s_cbranch_execz .LBB399_634
; %bb.629:                              ;   in Loop: Header=BB399_11 Depth=1
	v_mov_b32_e32 v0, 0xffff
	v_mov_b32_e32 v2, 0x7f800001
	s_mov_b32 s23, exec_lo
	v_and_b32_sdwa v0, v0, v8 dst_sel:DWORD dst_unused:UNUSED_PAD src0_sel:DWORD src1_sel:BYTE_1
	buffer_store_dword v2, off, s[0:3], s32 offset:484 ; 4-byte Folded Spill
	v_and_b32_e32 v1, 0x7f, v0
	v_cmpx_ne_u32_e32 0x7f, v1
	s_cbranch_execz .LBB399_633
; %bb.630:                              ;   in Loop: Header=BB399_11 Depth=1
	v_and_b32_e32 v34, 7, v0
	v_mov_b32_e32 v35, v9
	v_lshrrev_b32_e32 v0, 3, v1
	s_mov_b32 s24, exec_lo
	v_cmpx_gt_u32_e32 8, v1
; %bb.631:                              ;   in Loop: Header=BB399_11 Depth=1
	v_ffbh_u32_e32 v0, v34
	v_min_u32_e32 v0, 32, v0
	v_subrev_nc_u32_e32 v1, 28, v0
	v_sub_nc_u32_e32 v0, 29, v0
	v_lshlrev_b64 v[1:2], v1, v[34:35]
	v_and_b32_e32 v34, 7, v1
; %bb.632:                              ;   in Loop: Header=BB399_11 Depth=1
	s_or_b32 exec_lo, exec_lo, s24
	v_lshlrev_b32_e32 v1, 16, v8
	v_lshlrev_b32_e32 v2, 20, v34
	v_lshl_add_u32 v0, v0, 23, 0x3c000000
	v_and_b32_e32 v1, 0x80000000, v1
	v_or3_b32 v0, v2, v1, v0
	buffer_store_dword v0, off, s[0:3], s32 offset:484 ; 4-byte Folded Spill
.LBB399_633:                            ;   in Loop: Header=BB399_11 Depth=1
	s_or_b32 exec_lo, exec_lo, s23
.LBB399_634:                            ;   in Loop: Header=BB399_11 Depth=1
	s_or_b32 exec_lo, exec_lo, s17
.LBB399_635:                            ;   in Loop: Header=BB399_11 Depth=1
	s_or_b32 exec_lo, exec_lo, s6
	v_mov_b32_e32 v0, 0xff
	s_mov_b32 s6, exec_lo
	v_and_b32_sdwa v0, v33, v0 dst_sel:DWORD dst_unused:UNUSED_PAD src0_sel:WORD_1 src1_sel:DWORD
	v_cmpx_ne_u16_e32 0, v0
	s_cbranch_execz .LBB399_643
; %bb.636:                              ;   in Loop: Header=BB399_11 Depth=1
	v_cmp_ne_u16_e64 s5, 0x80, v0
	v_bfrev_b32_e32 v0, 1
	buffer_store_dword v0, off, s[0:3], s32 offset:480 ; 4-byte Folded Spill
	s_and_saveexec_b32 s17, s5
	s_cbranch_execz .LBB399_642
; %bb.637:                              ;   in Loop: Header=BB399_11 Depth=1
	v_bfe_u32 v1, v33, 16, 7
	v_mov_b32_e32 v0, 0x7f800001
	s_mov_b32 s23, exec_lo
	buffer_store_dword v0, off, s[0:3], s32 offset:480 ; 4-byte Folded Spill
	v_cmpx_ne_u32_e32 0x7f, v1
	s_cbranch_execz .LBB399_641
; %bb.638:                              ;   in Loop: Header=BB399_11 Depth=1
	v_mov_b32_e32 v0, 7
	s_mov_b32 s24, exec_lo
	v_and_b32_sdwa v8, v33, v0 dst_sel:DWORD dst_unused:UNUSED_PAD src0_sel:WORD_1 src1_sel:DWORD
	v_mov_b32_e32 v35, v9
	v_lshrrev_b32_e32 v0, 3, v1
	v_mov_b32_e32 v34, v8
	v_cmpx_gt_u32_e32 8, v1
; %bb.639:                              ;   in Loop: Header=BB399_11 Depth=1
	v_ffbh_u32_e32 v0, v8
	v_min_u32_e32 v0, 32, v0
	v_subrev_nc_u32_e32 v1, 28, v0
	v_sub_nc_u32_e32 v0, 29, v0
	v_lshlrev_b64 v[1:2], v1, v[8:9]
	v_and_b32_e32 v34, 7, v1
; %bb.640:                              ;   in Loop: Header=BB399_11 Depth=1
	s_or_b32 exec_lo, exec_lo, s24
	v_mov_b32_e32 v1, 24
	v_lshlrev_b32_e32 v2, 20, v34
	v_lshl_add_u32 v0, v0, 23, 0x3c000000
	v_lshlrev_b32_sdwa v1, v1, v33 dst_sel:DWORD dst_unused:UNUSED_PAD src0_sel:DWORD src1_sel:WORD_1
	v_and_b32_e32 v1, 0x80000000, v1
	v_or3_b32 v0, v2, v1, v0
	buffer_store_dword v0, off, s[0:3], s32 offset:480 ; 4-byte Folded Spill
.LBB399_641:                            ;   in Loop: Header=BB399_11 Depth=1
	s_or_b32 exec_lo, exec_lo, s23
.LBB399_642:                            ;   in Loop: Header=BB399_11 Depth=1
	s_or_b32 exec_lo, exec_lo, s17
.LBB399_643:                            ;   in Loop: Header=BB399_11 Depth=1
	s_or_b32 exec_lo, exec_lo, s6
	v_mov_b32_e32 v0, 0
	s_mov_b32 s6, exec_lo
	buffer_store_dword v0, off, s[0:3], s32 offset:492 ; 4-byte Folded Spill
	v_mov_b32_e32 v0, 0
	buffer_store_dword v0, off, s[0:3], s32 offset:488 ; 4-byte Folded Spill
	v_cmpx_lt_u64_e64 s[8:9], v[32:33]
	s_cbranch_execz .LBB399_651
; %bb.644:                              ;   in Loop: Header=BB399_11 Depth=1
	v_cmp_ne_u32_sdwa s5, v33, v41 src0_sel:BYTE_3 src1_sel:DWORD
	v_bfrev_b32_e32 v0, 1
	buffer_store_dword v0, off, s[0:3], s32 offset:488 ; 4-byte Folded Spill
	s_and_saveexec_b32 s17, s5
	s_cbranch_execz .LBB399_650
; %bb.645:                              ;   in Loop: Header=BB399_11 Depth=1
	v_bfe_u32 v1, v33, 24, 7
	v_mov_b32_e32 v0, 0x7f800001
	s_mov_b32 s23, exec_lo
	buffer_store_dword v0, off, s[0:3], s32 offset:488 ; 4-byte Folded Spill
	v_cmpx_ne_u32_e32 0x7f, v1
	s_cbranch_execz .LBB399_649
; %bb.646:                              ;   in Loop: Header=BB399_11 Depth=1
	v_mov_b32_e32 v0, 7
	s_mov_b32 s24, exec_lo
	v_and_b32_sdwa v8, v33, v0 dst_sel:DWORD dst_unused:UNUSED_PAD src0_sel:BYTE_3 src1_sel:DWORD
	v_mov_b32_e32 v35, v9
	v_lshrrev_b32_e32 v0, 3, v1
	v_mov_b32_e32 v34, v8
	v_cmpx_gt_u32_e32 8, v1
; %bb.647:                              ;   in Loop: Header=BB399_11 Depth=1
	v_ffbh_u32_e32 v0, v8
	v_min_u32_e32 v0, 32, v0
	v_subrev_nc_u32_e32 v1, 28, v0
	v_sub_nc_u32_e32 v0, 29, v0
	v_lshlrev_b64 v[1:2], v1, v[8:9]
	v_and_b32_e32 v34, 7, v1
; %bb.648:                              ;   in Loop: Header=BB399_11 Depth=1
	s_or_b32 exec_lo, exec_lo, s24
	v_mov_b32_e32 v1, 24
	v_lshlrev_b32_e32 v2, 20, v34
	v_lshl_add_u32 v0, v0, 23, 0x3c000000
	v_lshlrev_b32_sdwa v1, v1, v33 dst_sel:DWORD dst_unused:UNUSED_PAD src0_sel:DWORD src1_sel:BYTE_3
	v_and_b32_e32 v1, 0x80000000, v1
	v_or3_b32 v0, v2, v1, v0
	buffer_store_dword v0, off, s[0:3], s32 offset:488 ; 4-byte Folded Spill
.LBB399_649:                            ;   in Loop: Header=BB399_11 Depth=1
	s_or_b32 exec_lo, exec_lo, s23
.LBB399_650:                            ;   in Loop: Header=BB399_11 Depth=1
	s_or_b32 exec_lo, exec_lo, s17
.LBB399_651:                            ;   in Loop: Header=BB399_11 Depth=1
	s_or_b32 exec_lo, exec_lo, s6
	flat_load_dwordx2 v[32:33], v[30:31] offset:512
	s_waitcnt vmcnt(0) lgkmcnt(0)
	v_cmp_ne_u16_sdwa s5, v32, v9 src0_sel:BYTE_0 src1_sel:DWORD
	s_and_saveexec_b32 s6, s5
	s_cbranch_execz .LBB399_659
; %bb.652:                              ;   in Loop: Header=BB399_11 Depth=1
	v_cmp_ne_u16_sdwa s5, v32, v41 src0_sel:BYTE_0 src1_sel:DWORD
	v_bfrev_b32_e32 v0, 1
	buffer_store_dword v0, off, s[0:3], s32 offset:492 ; 4-byte Folded Spill
	s_and_saveexec_b32 s17, s5
	s_cbranch_execz .LBB399_658
; %bb.653:                              ;   in Loop: Header=BB399_11 Depth=1
	v_and_b32_e32 v1, 0x7f, v32
	v_mov_b32_e32 v0, 0x7f800001
	s_mov_b32 s23, exec_lo
	buffer_store_dword v0, off, s[0:3], s32 offset:492 ; 4-byte Folded Spill
	v_cmpx_ne_u32_e32 0x7f, v1
	s_cbranch_execz .LBB399_657
; %bb.654:                              ;   in Loop: Header=BB399_11 Depth=1
	v_mov_b32_e32 v35, v33
	v_lshrrev_b32_e32 v0, 3, v1
	v_mov_b32_e32 v34, v32
	s_mov_b32 s24, exec_lo
	v_cmpx_gt_u32_e32 8, v1
; %bb.655:                              ;   in Loop: Header=BB399_11 Depth=1
	v_and_b32_e32 v0, 7, v32
	v_ffbh_u32_e32 v0, v0
	v_min_u32_e32 v0, 32, v0
	v_subrev_nc_u32_e32 v1, 28, v0
	v_sub_nc_u32_e32 v0, 29, v0
	v_lshlrev_b64 v[34:35], v1, v[32:33]
; %bb.656:                              ;   in Loop: Header=BB399_11 Depth=1
	s_or_b32 exec_lo, exec_lo, s24
	v_lshlrev_b32_e32 v1, 20, v34
	v_lshlrev_b32_e32 v2, 24, v32
	v_lshl_add_u32 v0, v0, 23, 0x3c000000
	v_and_b32_e32 v1, 0x700000, v1
	v_and_b32_e32 v2, 0x80000000, v2
	v_or3_b32 v0, v1, v2, v0
	buffer_store_dword v0, off, s[0:3], s32 offset:492 ; 4-byte Folded Spill
.LBB399_657:                            ;   in Loop: Header=BB399_11 Depth=1
	s_or_b32 exec_lo, exec_lo, s23
.LBB399_658:                            ;   in Loop: Header=BB399_11 Depth=1
	s_or_b32 exec_lo, exec_lo, s17
.LBB399_659:                            ;   in Loop: Header=BB399_11 Depth=1
	s_or_b32 exec_lo, exec_lo, s6
	v_mov_b32_e32 v0, 0
	v_cmp_ne_u16_sdwa s5, v32, v9 src0_sel:BYTE_1 src1_sel:DWORD
	buffer_store_dword v0, off, s[0:3], s32 offset:500 ; 4-byte Folded Spill
	v_mov_b32_e32 v0, 0
	buffer_store_dword v0, off, s[0:3], s32 offset:496 ; 4-byte Folded Spill
	s_and_saveexec_b32 s6, s5
	s_cbranch_execz .LBB399_667
; %bb.660:                              ;   in Loop: Header=BB399_11 Depth=1
	v_cmp_ne_u16_sdwa s5, v32, v41 src0_sel:BYTE_1 src1_sel:DWORD
	v_bfrev_b32_e32 v0, 1
	buffer_store_dword v0, off, s[0:3], s32 offset:496 ; 4-byte Folded Spill
	s_and_saveexec_b32 s17, s5
	s_cbranch_execz .LBB399_666
; %bb.661:                              ;   in Loop: Header=BB399_11 Depth=1
	v_mov_b32_e32 v0, 0xffff
	v_mov_b32_e32 v2, 0x7f800001
	s_mov_b32 s23, exec_lo
	v_and_b32_sdwa v0, v0, v32 dst_sel:DWORD dst_unused:UNUSED_PAD src0_sel:DWORD src1_sel:BYTE_1
	buffer_store_dword v2, off, s[0:3], s32 offset:496 ; 4-byte Folded Spill
	v_and_b32_e32 v1, 0x7f, v0
	v_cmpx_ne_u32_e32 0x7f, v1
	s_cbranch_execz .LBB399_665
; %bb.662:                              ;   in Loop: Header=BB399_11 Depth=1
	v_and_b32_e32 v8, 7, v0
	v_mov_b32_e32 v35, v9
	v_lshrrev_b32_e32 v0, 3, v1
	s_mov_b32 s24, exec_lo
	v_mov_b32_e32 v34, v8
	v_cmpx_gt_u32_e32 8, v1
; %bb.663:                              ;   in Loop: Header=BB399_11 Depth=1
	v_ffbh_u32_e32 v0, v8
	v_min_u32_e32 v0, 32, v0
	v_subrev_nc_u32_e32 v1, 28, v0
	v_sub_nc_u32_e32 v0, 29, v0
	v_lshlrev_b64 v[1:2], v1, v[8:9]
	v_and_b32_e32 v34, 7, v1
; %bb.664:                              ;   in Loop: Header=BB399_11 Depth=1
	s_or_b32 exec_lo, exec_lo, s24
	v_lshlrev_b32_e32 v1, 16, v32
	v_lshlrev_b32_e32 v2, 20, v34
	v_lshl_add_u32 v0, v0, 23, 0x3c000000
	v_and_b32_e32 v1, 0x80000000, v1
	v_or3_b32 v0, v2, v1, v0
	buffer_store_dword v0, off, s[0:3], s32 offset:496 ; 4-byte Folded Spill
.LBB399_665:                            ;   in Loop: Header=BB399_11 Depth=1
	s_or_b32 exec_lo, exec_lo, s23
.LBB399_666:                            ;   in Loop: Header=BB399_11 Depth=1
	s_or_b32 exec_lo, exec_lo, s17
.LBB399_667:                            ;   in Loop: Header=BB399_11 Depth=1
	s_or_b32 exec_lo, exec_lo, s6
	v_mov_b32_e32 v0, 0xff
	s_mov_b32 s6, exec_lo
	v_and_b32_sdwa v0, v32, v0 dst_sel:DWORD dst_unused:UNUSED_PAD src0_sel:WORD_1 src1_sel:DWORD
	v_cmpx_ne_u16_e32 0, v0
	s_cbranch_execz .LBB399_675
; %bb.668:                              ;   in Loop: Header=BB399_11 Depth=1
	v_cmp_ne_u16_e64 s5, 0x80, v0
	v_bfrev_b32_e32 v0, 1
	buffer_store_dword v0, off, s[0:3], s32 offset:500 ; 4-byte Folded Spill
	s_and_saveexec_b32 s17, s5
	s_cbranch_execz .LBB399_674
; %bb.669:                              ;   in Loop: Header=BB399_11 Depth=1
	v_bfe_u32 v1, v32, 16, 7
	v_mov_b32_e32 v0, 0x7f800001
	s_mov_b32 s23, exec_lo
	buffer_store_dword v0, off, s[0:3], s32 offset:500 ; 4-byte Folded Spill
	v_cmpx_ne_u32_e32 0x7f, v1
	s_cbranch_execz .LBB399_673
; %bb.670:                              ;   in Loop: Header=BB399_11 Depth=1
	v_mov_b32_e32 v0, 7
	s_mov_b32 s24, exec_lo
	v_and_b32_sdwa v8, v32, v0 dst_sel:DWORD dst_unused:UNUSED_PAD src0_sel:WORD_1 src1_sel:DWORD
	v_mov_b32_e32 v35, v9
	v_lshrrev_b32_e32 v0, 3, v1
	v_mov_b32_e32 v34, v8
	v_cmpx_gt_u32_e32 8, v1
; %bb.671:                              ;   in Loop: Header=BB399_11 Depth=1
	v_ffbh_u32_e32 v0, v8
	v_min_u32_e32 v0, 32, v0
	v_subrev_nc_u32_e32 v1, 28, v0
	v_sub_nc_u32_e32 v0, 29, v0
	v_lshlrev_b64 v[1:2], v1, v[8:9]
	v_and_b32_e32 v34, 7, v1
; %bb.672:                              ;   in Loop: Header=BB399_11 Depth=1
	s_or_b32 exec_lo, exec_lo, s24
	v_mov_b32_e32 v1, 24
	v_lshlrev_b32_e32 v2, 20, v34
	v_lshl_add_u32 v0, v0, 23, 0x3c000000
	v_lshlrev_b32_sdwa v1, v1, v32 dst_sel:DWORD dst_unused:UNUSED_PAD src0_sel:DWORD src1_sel:WORD_1
	v_and_b32_e32 v1, 0x80000000, v1
	v_or3_b32 v0, v2, v1, v0
	buffer_store_dword v0, off, s[0:3], s32 offset:500 ; 4-byte Folded Spill
.LBB399_673:                            ;   in Loop: Header=BB399_11 Depth=1
	s_or_b32 exec_lo, exec_lo, s23
.LBB399_674:                            ;   in Loop: Header=BB399_11 Depth=1
	s_or_b32 exec_lo, exec_lo, s17
.LBB399_675:                            ;   in Loop: Header=BB399_11 Depth=1
	s_or_b32 exec_lo, exec_lo, s6
	v_mov_b32_e32 v0, 0
	s_mov_b32 s6, exec_lo
	buffer_store_dword v0, off, s[0:3], s32 offset:508 ; 4-byte Folded Spill
	v_mov_b32_e32 v0, 0
	buffer_store_dword v0, off, s[0:3], s32 offset:504 ; 4-byte Folded Spill
	v_cmpx_lt_u32_e32 0xffffff, v32
	s_cbranch_execz .LBB399_683
; %bb.676:                              ;   in Loop: Header=BB399_11 Depth=1
	v_cmp_ne_u32_sdwa s5, v32, v41 src0_sel:BYTE_3 src1_sel:DWORD
	v_bfrev_b32_e32 v0, 1
	buffer_store_dword v0, off, s[0:3], s32 offset:504 ; 4-byte Folded Spill
	s_and_saveexec_b32 s17, s5
	s_cbranch_execz .LBB399_682
; %bb.677:                              ;   in Loop: Header=BB399_11 Depth=1
	v_bfe_u32 v1, v32, 24, 7
	v_mov_b32_e32 v0, 0x7f800001
	s_mov_b32 s23, exec_lo
	buffer_store_dword v0, off, s[0:3], s32 offset:504 ; 4-byte Folded Spill
	v_cmpx_ne_u32_e32 0x7f, v1
	s_cbranch_execz .LBB399_681
; %bb.678:                              ;   in Loop: Header=BB399_11 Depth=1
	v_mov_b32_e32 v0, 7
	s_mov_b32 s24, exec_lo
	v_and_b32_sdwa v8, v32, v0 dst_sel:DWORD dst_unused:UNUSED_PAD src0_sel:BYTE_3 src1_sel:DWORD
	v_mov_b32_e32 v35, v9
	v_lshrrev_b32_e32 v0, 3, v1
	v_mov_b32_e32 v34, v8
	v_cmpx_gt_u32_e32 8, v1
; %bb.679:                              ;   in Loop: Header=BB399_11 Depth=1
	v_ffbh_u32_e32 v0, v8
	v_min_u32_e32 v0, 32, v0
	v_subrev_nc_u32_e32 v1, 28, v0
	v_sub_nc_u32_e32 v0, 29, v0
	v_lshlrev_b64 v[1:2], v1, v[8:9]
	v_and_b32_e32 v34, 7, v1
; %bb.680:                              ;   in Loop: Header=BB399_11 Depth=1
	s_or_b32 exec_lo, exec_lo, s24
	v_mov_b32_e32 v1, 24
	v_lshlrev_b32_e32 v2, 20, v34
	v_lshl_add_u32 v0, v0, 23, 0x3c000000
	v_lshlrev_b32_sdwa v1, v1, v32 dst_sel:DWORD dst_unused:UNUSED_PAD src0_sel:DWORD src1_sel:BYTE_3
	v_and_b32_e32 v1, 0x80000000, v1
	v_or3_b32 v0, v2, v1, v0
	buffer_store_dword v0, off, s[0:3], s32 offset:504 ; 4-byte Folded Spill
.LBB399_681:                            ;   in Loop: Header=BB399_11 Depth=1
	s_or_b32 exec_lo, exec_lo, s23
.LBB399_682:                            ;   in Loop: Header=BB399_11 Depth=1
	s_or_b32 exec_lo, exec_lo, s17
.LBB399_683:                            ;   in Loop: Header=BB399_11 Depth=1
	s_or_b32 exec_lo, exec_lo, s6
	v_mov_b32_e32 v8, v33
	v_cmp_ne_u16_sdwa s5, v33, v9 src0_sel:BYTE_0 src1_sel:DWORD
	s_and_saveexec_b32 s6, s5
	s_cbranch_execz .LBB399_691
; %bb.684:                              ;   in Loop: Header=BB399_11 Depth=1
	v_cmp_ne_u16_sdwa s5, v33, v41 src0_sel:BYTE_0 src1_sel:DWORD
	v_bfrev_b32_e32 v0, 1
	buffer_store_dword v0, off, s[0:3], s32 offset:508 ; 4-byte Folded Spill
	s_and_saveexec_b32 s17, s5
	s_cbranch_execz .LBB399_690
; %bb.685:                              ;   in Loop: Header=BB399_11 Depth=1
	v_and_b32_e32 v1, 0x7f, v33
	v_mov_b32_e32 v0, 0x7f800001
	s_mov_b32 s23, exec_lo
	buffer_store_dword v0, off, s[0:3], s32 offset:508 ; 4-byte Folded Spill
	v_cmpx_ne_u32_e32 0x7f, v1
	s_cbranch_execz .LBB399_689
; %bb.686:                              ;   in Loop: Header=BB399_11 Depth=1
	v_mov_b32_e32 v35, v9
	v_lshrrev_b32_e32 v0, 3, v1
	v_mov_b32_e32 v34, v8
	s_mov_b32 s24, exec_lo
	v_cmpx_gt_u32_e32 8, v1
; %bb.687:                              ;   in Loop: Header=BB399_11 Depth=1
	v_and_b32_e32 v0, 7, v33
	v_ffbh_u32_e32 v0, v0
	v_min_u32_e32 v0, 32, v0
	v_subrev_nc_u32_e32 v1, 28, v0
	v_sub_nc_u32_e32 v0, 29, v0
	v_lshlrev_b64 v[34:35], v1, v[8:9]
; %bb.688:                              ;   in Loop: Header=BB399_11 Depth=1
	s_or_b32 exec_lo, exec_lo, s24
	v_lshlrev_b32_e32 v1, 20, v34
	v_lshlrev_b32_e32 v2, 24, v8
	v_lshl_add_u32 v0, v0, 23, 0x3c000000
	v_and_b32_e32 v1, 0x700000, v1
	v_and_b32_e32 v2, 0x80000000, v2
	v_or3_b32 v0, v1, v2, v0
	buffer_store_dword v0, off, s[0:3], s32 offset:508 ; 4-byte Folded Spill
.LBB399_689:                            ;   in Loop: Header=BB399_11 Depth=1
	s_or_b32 exec_lo, exec_lo, s23
.LBB399_690:                            ;   in Loop: Header=BB399_11 Depth=1
	s_or_b32 exec_lo, exec_lo, s17
.LBB399_691:                            ;   in Loop: Header=BB399_11 Depth=1
	s_or_b32 exec_lo, exec_lo, s6
	v_mov_b32_e32 v0, 0
	v_cmp_ne_u16_sdwa s5, v8, v9 src0_sel:BYTE_1 src1_sel:DWORD
	buffer_store_dword v0, off, s[0:3], s32 offset:512 ; 4-byte Folded Spill
	v_mov_b32_e32 v0, 0
	buffer_store_dword v0, off, s[0:3], s32 offset:516 ; 4-byte Folded Spill
	s_and_saveexec_b32 s6, s5
	s_cbranch_execz .LBB399_699
; %bb.692:                              ;   in Loop: Header=BB399_11 Depth=1
	v_cmp_ne_u16_sdwa s5, v8, v41 src0_sel:BYTE_1 src1_sel:DWORD
	v_bfrev_b32_e32 v0, 1
	buffer_store_dword v0, off, s[0:3], s32 offset:516 ; 4-byte Folded Spill
	s_and_saveexec_b32 s17, s5
	s_cbranch_execz .LBB399_698
; %bb.693:                              ;   in Loop: Header=BB399_11 Depth=1
	v_mov_b32_e32 v0, 0xffff
	v_mov_b32_e32 v2, 0x7f800001
	s_mov_b32 s23, exec_lo
	v_and_b32_sdwa v0, v0, v8 dst_sel:DWORD dst_unused:UNUSED_PAD src0_sel:DWORD src1_sel:BYTE_1
	buffer_store_dword v2, off, s[0:3], s32 offset:516 ; 4-byte Folded Spill
	v_and_b32_e32 v1, 0x7f, v0
	v_cmpx_ne_u32_e32 0x7f, v1
	s_cbranch_execz .LBB399_697
; %bb.694:                              ;   in Loop: Header=BB399_11 Depth=1
	v_and_b32_e32 v34, 7, v0
	v_mov_b32_e32 v35, v9
	v_lshrrev_b32_e32 v0, 3, v1
	s_mov_b32 s24, exec_lo
	v_cmpx_gt_u32_e32 8, v1
; %bb.695:                              ;   in Loop: Header=BB399_11 Depth=1
	v_ffbh_u32_e32 v0, v34
	v_min_u32_e32 v0, 32, v0
	v_subrev_nc_u32_e32 v1, 28, v0
	v_sub_nc_u32_e32 v0, 29, v0
	v_lshlrev_b64 v[1:2], v1, v[34:35]
	v_and_b32_e32 v34, 7, v1
; %bb.696:                              ;   in Loop: Header=BB399_11 Depth=1
	s_or_b32 exec_lo, exec_lo, s24
	v_lshlrev_b32_e32 v1, 16, v8
	v_lshlrev_b32_e32 v2, 20, v34
	v_lshl_add_u32 v0, v0, 23, 0x3c000000
	v_and_b32_e32 v1, 0x80000000, v1
	v_or3_b32 v0, v2, v1, v0
	buffer_store_dword v0, off, s[0:3], s32 offset:516 ; 4-byte Folded Spill
.LBB399_697:                            ;   in Loop: Header=BB399_11 Depth=1
	s_or_b32 exec_lo, exec_lo, s23
.LBB399_698:                            ;   in Loop: Header=BB399_11 Depth=1
	s_or_b32 exec_lo, exec_lo, s17
.LBB399_699:                            ;   in Loop: Header=BB399_11 Depth=1
	s_or_b32 exec_lo, exec_lo, s6
	v_mov_b32_e32 v0, 0xff
	s_mov_b32 s6, exec_lo
	v_and_b32_sdwa v0, v33, v0 dst_sel:DWORD dst_unused:UNUSED_PAD src0_sel:WORD_1 src1_sel:DWORD
	v_cmpx_ne_u16_e32 0, v0
	s_cbranch_execz .LBB399_707
; %bb.700:                              ;   in Loop: Header=BB399_11 Depth=1
	v_cmp_ne_u16_e64 s5, 0x80, v0
	v_bfrev_b32_e32 v0, 1
	buffer_store_dword v0, off, s[0:3], s32 offset:512 ; 4-byte Folded Spill
	s_and_saveexec_b32 s17, s5
	s_cbranch_execz .LBB399_706
; %bb.701:                              ;   in Loop: Header=BB399_11 Depth=1
	v_bfe_u32 v1, v33, 16, 7
	v_mov_b32_e32 v0, 0x7f800001
	s_mov_b32 s23, exec_lo
	buffer_store_dword v0, off, s[0:3], s32 offset:512 ; 4-byte Folded Spill
	v_cmpx_ne_u32_e32 0x7f, v1
	s_cbranch_execz .LBB399_705
; %bb.702:                              ;   in Loop: Header=BB399_11 Depth=1
	v_mov_b32_e32 v0, 7
	s_mov_b32 s24, exec_lo
	v_and_b32_sdwa v8, v33, v0 dst_sel:DWORD dst_unused:UNUSED_PAD src0_sel:WORD_1 src1_sel:DWORD
	v_mov_b32_e32 v35, v9
	v_lshrrev_b32_e32 v0, 3, v1
	v_mov_b32_e32 v34, v8
	v_cmpx_gt_u32_e32 8, v1
; %bb.703:                              ;   in Loop: Header=BB399_11 Depth=1
	v_ffbh_u32_e32 v0, v8
	v_min_u32_e32 v0, 32, v0
	v_subrev_nc_u32_e32 v1, 28, v0
	v_sub_nc_u32_e32 v0, 29, v0
	v_lshlrev_b64 v[1:2], v1, v[8:9]
	v_and_b32_e32 v34, 7, v1
; %bb.704:                              ;   in Loop: Header=BB399_11 Depth=1
	s_or_b32 exec_lo, exec_lo, s24
	v_mov_b32_e32 v1, 24
	v_lshlrev_b32_e32 v2, 20, v34
	v_lshl_add_u32 v0, v0, 23, 0x3c000000
	v_lshlrev_b32_sdwa v1, v1, v33 dst_sel:DWORD dst_unused:UNUSED_PAD src0_sel:DWORD src1_sel:WORD_1
	v_and_b32_e32 v1, 0x80000000, v1
	v_or3_b32 v0, v2, v1, v0
	buffer_store_dword v0, off, s[0:3], s32 offset:512 ; 4-byte Folded Spill
.LBB399_705:                            ;   in Loop: Header=BB399_11 Depth=1
	s_or_b32 exec_lo, exec_lo, s23
.LBB399_706:                            ;   in Loop: Header=BB399_11 Depth=1
	s_or_b32 exec_lo, exec_lo, s17
.LBB399_707:                            ;   in Loop: Header=BB399_11 Depth=1
	s_or_b32 exec_lo, exec_lo, s6
	v_mov_b32_e32 v0, 0
	s_mov_b32 s6, exec_lo
	buffer_store_dword v0, off, s[0:3], s32 offset:524 ; 4-byte Folded Spill
	v_mov_b32_e32 v0, 0
	buffer_store_dword v0, off, s[0:3], s32 offset:520 ; 4-byte Folded Spill
	v_cmpx_lt_u64_e64 s[8:9], v[32:33]
	s_cbranch_execz .LBB399_715
; %bb.708:                              ;   in Loop: Header=BB399_11 Depth=1
	v_cmp_ne_u32_sdwa s5, v33, v41 src0_sel:BYTE_3 src1_sel:DWORD
	v_bfrev_b32_e32 v0, 1
	buffer_store_dword v0, off, s[0:3], s32 offset:520 ; 4-byte Folded Spill
	s_and_saveexec_b32 s17, s5
	s_cbranch_execz .LBB399_714
; %bb.709:                              ;   in Loop: Header=BB399_11 Depth=1
	v_bfe_u32 v1, v33, 24, 7
	v_mov_b32_e32 v0, 0x7f800001
	s_mov_b32 s23, exec_lo
	buffer_store_dword v0, off, s[0:3], s32 offset:520 ; 4-byte Folded Spill
	v_cmpx_ne_u32_e32 0x7f, v1
	s_cbranch_execz .LBB399_713
; %bb.710:                              ;   in Loop: Header=BB399_11 Depth=1
	v_mov_b32_e32 v0, 7
	s_mov_b32 s24, exec_lo
	v_and_b32_sdwa v8, v33, v0 dst_sel:DWORD dst_unused:UNUSED_PAD src0_sel:BYTE_3 src1_sel:DWORD
	v_mov_b32_e32 v35, v9
	v_lshrrev_b32_e32 v0, 3, v1
	v_mov_b32_e32 v34, v8
	v_cmpx_gt_u32_e32 8, v1
; %bb.711:                              ;   in Loop: Header=BB399_11 Depth=1
	v_ffbh_u32_e32 v0, v8
	v_min_u32_e32 v0, 32, v0
	v_subrev_nc_u32_e32 v1, 28, v0
	v_sub_nc_u32_e32 v0, 29, v0
	v_lshlrev_b64 v[1:2], v1, v[8:9]
	v_and_b32_e32 v34, 7, v1
; %bb.712:                              ;   in Loop: Header=BB399_11 Depth=1
	s_or_b32 exec_lo, exec_lo, s24
	v_mov_b32_e32 v1, 24
	v_lshlrev_b32_e32 v2, 20, v34
	v_lshl_add_u32 v0, v0, 23, 0x3c000000
	v_lshlrev_b32_sdwa v1, v1, v33 dst_sel:DWORD dst_unused:UNUSED_PAD src0_sel:DWORD src1_sel:BYTE_3
	v_and_b32_e32 v1, 0x80000000, v1
	v_or3_b32 v0, v2, v1, v0
	buffer_store_dword v0, off, s[0:3], s32 offset:520 ; 4-byte Folded Spill
.LBB399_713:                            ;   in Loop: Header=BB399_11 Depth=1
	s_or_b32 exec_lo, exec_lo, s23
.LBB399_714:                            ;   in Loop: Header=BB399_11 Depth=1
	s_or_b32 exec_lo, exec_lo, s17
.LBB399_715:                            ;   in Loop: Header=BB399_11 Depth=1
	s_or_b32 exec_lo, exec_lo, s6
	flat_load_dwordx2 v[32:33], v[30:31] offset:520
	s_waitcnt vmcnt(0) lgkmcnt(0)
	v_cmp_ne_u16_sdwa s5, v32, v9 src0_sel:BYTE_0 src1_sel:DWORD
	s_and_saveexec_b32 s6, s5
	s_cbranch_execz .LBB399_723
; %bb.716:                              ;   in Loop: Header=BB399_11 Depth=1
	v_cmp_ne_u16_sdwa s5, v32, v41 src0_sel:BYTE_0 src1_sel:DWORD
	v_bfrev_b32_e32 v0, 1
	buffer_store_dword v0, off, s[0:3], s32 offset:524 ; 4-byte Folded Spill
	s_and_saveexec_b32 s17, s5
	s_cbranch_execz .LBB399_722
; %bb.717:                              ;   in Loop: Header=BB399_11 Depth=1
	v_and_b32_e32 v1, 0x7f, v32
	v_mov_b32_e32 v0, 0x7f800001
	s_mov_b32 s23, exec_lo
	buffer_store_dword v0, off, s[0:3], s32 offset:524 ; 4-byte Folded Spill
	v_cmpx_ne_u32_e32 0x7f, v1
	s_cbranch_execz .LBB399_721
; %bb.718:                              ;   in Loop: Header=BB399_11 Depth=1
	v_mov_b32_e32 v35, v33
	v_lshrrev_b32_e32 v0, 3, v1
	v_mov_b32_e32 v34, v32
	s_mov_b32 s24, exec_lo
	v_cmpx_gt_u32_e32 8, v1
; %bb.719:                              ;   in Loop: Header=BB399_11 Depth=1
	v_and_b32_e32 v0, 7, v32
	v_ffbh_u32_e32 v0, v0
	v_min_u32_e32 v0, 32, v0
	v_subrev_nc_u32_e32 v1, 28, v0
	v_sub_nc_u32_e32 v0, 29, v0
	v_lshlrev_b64 v[34:35], v1, v[32:33]
; %bb.720:                              ;   in Loop: Header=BB399_11 Depth=1
	s_or_b32 exec_lo, exec_lo, s24
	v_lshlrev_b32_e32 v1, 20, v34
	v_lshlrev_b32_e32 v2, 24, v32
	v_lshl_add_u32 v0, v0, 23, 0x3c000000
	v_and_b32_e32 v1, 0x700000, v1
	v_and_b32_e32 v2, 0x80000000, v2
	v_or3_b32 v0, v1, v2, v0
	buffer_store_dword v0, off, s[0:3], s32 offset:524 ; 4-byte Folded Spill
.LBB399_721:                            ;   in Loop: Header=BB399_11 Depth=1
	s_or_b32 exec_lo, exec_lo, s23
.LBB399_722:                            ;   in Loop: Header=BB399_11 Depth=1
	s_or_b32 exec_lo, exec_lo, s17
.LBB399_723:                            ;   in Loop: Header=BB399_11 Depth=1
	s_or_b32 exec_lo, exec_lo, s6
	v_mov_b32_e32 v0, 0
	v_cmp_ne_u16_sdwa s5, v32, v9 src0_sel:BYTE_1 src1_sel:DWORD
	buffer_store_dword v0, off, s[0:3], s32 offset:532 ; 4-byte Folded Spill
	v_mov_b32_e32 v0, 0
	buffer_store_dword v0, off, s[0:3], s32 offset:528 ; 4-byte Folded Spill
	s_and_saveexec_b32 s6, s5
	s_cbranch_execz .LBB399_731
; %bb.724:                              ;   in Loop: Header=BB399_11 Depth=1
	v_cmp_ne_u16_sdwa s5, v32, v41 src0_sel:BYTE_1 src1_sel:DWORD
	v_bfrev_b32_e32 v0, 1
	buffer_store_dword v0, off, s[0:3], s32 offset:528 ; 4-byte Folded Spill
	s_and_saveexec_b32 s17, s5
	s_cbranch_execz .LBB399_730
; %bb.725:                              ;   in Loop: Header=BB399_11 Depth=1
	v_mov_b32_e32 v0, 0xffff
	v_mov_b32_e32 v2, 0x7f800001
	s_mov_b32 s23, exec_lo
	v_and_b32_sdwa v0, v0, v32 dst_sel:DWORD dst_unused:UNUSED_PAD src0_sel:DWORD src1_sel:BYTE_1
	buffer_store_dword v2, off, s[0:3], s32 offset:528 ; 4-byte Folded Spill
	v_and_b32_e32 v1, 0x7f, v0
	v_cmpx_ne_u32_e32 0x7f, v1
	s_cbranch_execz .LBB399_729
; %bb.726:                              ;   in Loop: Header=BB399_11 Depth=1
	v_and_b32_e32 v8, 7, v0
	v_mov_b32_e32 v35, v9
	v_lshrrev_b32_e32 v0, 3, v1
	s_mov_b32 s24, exec_lo
	v_mov_b32_e32 v34, v8
	v_cmpx_gt_u32_e32 8, v1
; %bb.727:                              ;   in Loop: Header=BB399_11 Depth=1
	v_ffbh_u32_e32 v0, v8
	v_min_u32_e32 v0, 32, v0
	v_subrev_nc_u32_e32 v1, 28, v0
	v_sub_nc_u32_e32 v0, 29, v0
	v_lshlrev_b64 v[1:2], v1, v[8:9]
	v_and_b32_e32 v34, 7, v1
; %bb.728:                              ;   in Loop: Header=BB399_11 Depth=1
	s_or_b32 exec_lo, exec_lo, s24
	v_lshlrev_b32_e32 v1, 16, v32
	v_lshlrev_b32_e32 v2, 20, v34
	v_lshl_add_u32 v0, v0, 23, 0x3c000000
	v_and_b32_e32 v1, 0x80000000, v1
	v_or3_b32 v0, v2, v1, v0
	buffer_store_dword v0, off, s[0:3], s32 offset:528 ; 4-byte Folded Spill
.LBB399_729:                            ;   in Loop: Header=BB399_11 Depth=1
	s_or_b32 exec_lo, exec_lo, s23
.LBB399_730:                            ;   in Loop: Header=BB399_11 Depth=1
	s_or_b32 exec_lo, exec_lo, s17
.LBB399_731:                            ;   in Loop: Header=BB399_11 Depth=1
	s_or_b32 exec_lo, exec_lo, s6
	v_mov_b32_e32 v0, 0xff
	s_mov_b32 s6, exec_lo
	v_and_b32_sdwa v0, v32, v0 dst_sel:DWORD dst_unused:UNUSED_PAD src0_sel:WORD_1 src1_sel:DWORD
	v_cmpx_ne_u16_e32 0, v0
	s_cbranch_execz .LBB399_739
; %bb.732:                              ;   in Loop: Header=BB399_11 Depth=1
	v_cmp_ne_u16_e64 s5, 0x80, v0
	v_bfrev_b32_e32 v0, 1
	buffer_store_dword v0, off, s[0:3], s32 offset:532 ; 4-byte Folded Spill
	s_and_saveexec_b32 s17, s5
	s_cbranch_execz .LBB399_738
; %bb.733:                              ;   in Loop: Header=BB399_11 Depth=1
	v_bfe_u32 v1, v32, 16, 7
	v_mov_b32_e32 v0, 0x7f800001
	s_mov_b32 s23, exec_lo
	buffer_store_dword v0, off, s[0:3], s32 offset:532 ; 4-byte Folded Spill
	v_cmpx_ne_u32_e32 0x7f, v1
	s_cbranch_execz .LBB399_737
; %bb.734:                              ;   in Loop: Header=BB399_11 Depth=1
	v_mov_b32_e32 v0, 7
	s_mov_b32 s24, exec_lo
	v_and_b32_sdwa v8, v32, v0 dst_sel:DWORD dst_unused:UNUSED_PAD src0_sel:WORD_1 src1_sel:DWORD
	v_mov_b32_e32 v35, v9
	v_lshrrev_b32_e32 v0, 3, v1
	v_mov_b32_e32 v34, v8
	v_cmpx_gt_u32_e32 8, v1
; %bb.735:                              ;   in Loop: Header=BB399_11 Depth=1
	v_ffbh_u32_e32 v0, v8
	v_min_u32_e32 v0, 32, v0
	v_subrev_nc_u32_e32 v1, 28, v0
	v_sub_nc_u32_e32 v0, 29, v0
	v_lshlrev_b64 v[1:2], v1, v[8:9]
	v_and_b32_e32 v34, 7, v1
; %bb.736:                              ;   in Loop: Header=BB399_11 Depth=1
	s_or_b32 exec_lo, exec_lo, s24
	v_mov_b32_e32 v1, 24
	v_lshlrev_b32_e32 v2, 20, v34
	v_lshl_add_u32 v0, v0, 23, 0x3c000000
	v_lshlrev_b32_sdwa v1, v1, v32 dst_sel:DWORD dst_unused:UNUSED_PAD src0_sel:DWORD src1_sel:WORD_1
	v_and_b32_e32 v1, 0x80000000, v1
	v_or3_b32 v0, v2, v1, v0
	buffer_store_dword v0, off, s[0:3], s32 offset:532 ; 4-byte Folded Spill
.LBB399_737:                            ;   in Loop: Header=BB399_11 Depth=1
	s_or_b32 exec_lo, exec_lo, s23
.LBB399_738:                            ;   in Loop: Header=BB399_11 Depth=1
	s_or_b32 exec_lo, exec_lo, s17
.LBB399_739:                            ;   in Loop: Header=BB399_11 Depth=1
	s_or_b32 exec_lo, exec_lo, s6
	v_mov_b32_e32 v0, 0
	s_mov_b32 s6, exec_lo
	buffer_store_dword v0, off, s[0:3], s32 offset:540 ; 4-byte Folded Spill
	v_mov_b32_e32 v0, 0
	buffer_store_dword v0, off, s[0:3], s32 offset:536 ; 4-byte Folded Spill
	v_cmpx_lt_u32_e32 0xffffff, v32
	s_cbranch_execz .LBB399_747
; %bb.740:                              ;   in Loop: Header=BB399_11 Depth=1
	v_cmp_ne_u32_sdwa s5, v32, v41 src0_sel:BYTE_3 src1_sel:DWORD
	v_bfrev_b32_e32 v0, 1
	buffer_store_dword v0, off, s[0:3], s32 offset:536 ; 4-byte Folded Spill
	s_and_saveexec_b32 s17, s5
	s_cbranch_execz .LBB399_746
; %bb.741:                              ;   in Loop: Header=BB399_11 Depth=1
	v_bfe_u32 v1, v32, 24, 7
	v_mov_b32_e32 v0, 0x7f800001
	s_mov_b32 s23, exec_lo
	buffer_store_dword v0, off, s[0:3], s32 offset:536 ; 4-byte Folded Spill
	v_cmpx_ne_u32_e32 0x7f, v1
	s_cbranch_execz .LBB399_745
; %bb.742:                              ;   in Loop: Header=BB399_11 Depth=1
	v_mov_b32_e32 v0, 7
	s_mov_b32 s24, exec_lo
	v_and_b32_sdwa v8, v32, v0 dst_sel:DWORD dst_unused:UNUSED_PAD src0_sel:BYTE_3 src1_sel:DWORD
	v_mov_b32_e32 v35, v9
	v_lshrrev_b32_e32 v0, 3, v1
	v_mov_b32_e32 v34, v8
	v_cmpx_gt_u32_e32 8, v1
; %bb.743:                              ;   in Loop: Header=BB399_11 Depth=1
	v_ffbh_u32_e32 v0, v8
	v_min_u32_e32 v0, 32, v0
	v_subrev_nc_u32_e32 v1, 28, v0
	v_sub_nc_u32_e32 v0, 29, v0
	v_lshlrev_b64 v[1:2], v1, v[8:9]
	v_and_b32_e32 v34, 7, v1
; %bb.744:                              ;   in Loop: Header=BB399_11 Depth=1
	s_or_b32 exec_lo, exec_lo, s24
	v_mov_b32_e32 v1, 24
	v_lshlrev_b32_e32 v2, 20, v34
	v_lshl_add_u32 v0, v0, 23, 0x3c000000
	v_lshlrev_b32_sdwa v1, v1, v32 dst_sel:DWORD dst_unused:UNUSED_PAD src0_sel:DWORD src1_sel:BYTE_3
	v_and_b32_e32 v1, 0x80000000, v1
	v_or3_b32 v0, v2, v1, v0
	buffer_store_dword v0, off, s[0:3], s32 offset:536 ; 4-byte Folded Spill
.LBB399_745:                            ;   in Loop: Header=BB399_11 Depth=1
	s_or_b32 exec_lo, exec_lo, s23
.LBB399_746:                            ;   in Loop: Header=BB399_11 Depth=1
	s_or_b32 exec_lo, exec_lo, s17
.LBB399_747:                            ;   in Loop: Header=BB399_11 Depth=1
	s_or_b32 exec_lo, exec_lo, s6
	v_mov_b32_e32 v8, v33
	v_cmp_ne_u16_sdwa s5, v33, v9 src0_sel:BYTE_0 src1_sel:DWORD
	s_and_saveexec_b32 s6, s5
	s_cbranch_execz .LBB399_755
; %bb.748:                              ;   in Loop: Header=BB399_11 Depth=1
	v_cmp_ne_u16_sdwa s5, v33, v41 src0_sel:BYTE_0 src1_sel:DWORD
	v_bfrev_b32_e32 v0, 1
	buffer_store_dword v0, off, s[0:3], s32 offset:540 ; 4-byte Folded Spill
	s_and_saveexec_b32 s17, s5
	s_cbranch_execz .LBB399_754
; %bb.749:                              ;   in Loop: Header=BB399_11 Depth=1
	v_and_b32_e32 v1, 0x7f, v33
	v_mov_b32_e32 v0, 0x7f800001
	s_mov_b32 s23, exec_lo
	buffer_store_dword v0, off, s[0:3], s32 offset:540 ; 4-byte Folded Spill
	v_cmpx_ne_u32_e32 0x7f, v1
	s_cbranch_execz .LBB399_753
; %bb.750:                              ;   in Loop: Header=BB399_11 Depth=1
	v_mov_b32_e32 v35, v9
	v_lshrrev_b32_e32 v0, 3, v1
	v_mov_b32_e32 v34, v8
	s_mov_b32 s24, exec_lo
	v_cmpx_gt_u32_e32 8, v1
; %bb.751:                              ;   in Loop: Header=BB399_11 Depth=1
	v_and_b32_e32 v0, 7, v33
	v_ffbh_u32_e32 v0, v0
	v_min_u32_e32 v0, 32, v0
	v_subrev_nc_u32_e32 v1, 28, v0
	v_sub_nc_u32_e32 v0, 29, v0
	v_lshlrev_b64 v[34:35], v1, v[8:9]
; %bb.752:                              ;   in Loop: Header=BB399_11 Depth=1
	s_or_b32 exec_lo, exec_lo, s24
	v_lshlrev_b32_e32 v1, 20, v34
	v_lshlrev_b32_e32 v2, 24, v8
	v_lshl_add_u32 v0, v0, 23, 0x3c000000
	v_and_b32_e32 v1, 0x700000, v1
	v_and_b32_e32 v2, 0x80000000, v2
	v_or3_b32 v0, v1, v2, v0
	buffer_store_dword v0, off, s[0:3], s32 offset:540 ; 4-byte Folded Spill
.LBB399_753:                            ;   in Loop: Header=BB399_11 Depth=1
	s_or_b32 exec_lo, exec_lo, s23
.LBB399_754:                            ;   in Loop: Header=BB399_11 Depth=1
	s_or_b32 exec_lo, exec_lo, s17
.LBB399_755:                            ;   in Loop: Header=BB399_11 Depth=1
	s_or_b32 exec_lo, exec_lo, s6
	v_mov_b32_e32 v0, 0
	v_cmp_ne_u16_sdwa s5, v8, v9 src0_sel:BYTE_1 src1_sel:DWORD
	buffer_store_dword v0, off, s[0:3], s32 offset:544 ; 4-byte Folded Spill
	v_mov_b32_e32 v0, 0
	buffer_store_dword v0, off, s[0:3], s32 offset:548 ; 4-byte Folded Spill
	s_and_saveexec_b32 s6, s5
	s_cbranch_execz .LBB399_763
; %bb.756:                              ;   in Loop: Header=BB399_11 Depth=1
	v_cmp_ne_u16_sdwa s5, v8, v41 src0_sel:BYTE_1 src1_sel:DWORD
	v_bfrev_b32_e32 v0, 1
	buffer_store_dword v0, off, s[0:3], s32 offset:548 ; 4-byte Folded Spill
	s_and_saveexec_b32 s17, s5
	s_cbranch_execz .LBB399_762
; %bb.757:                              ;   in Loop: Header=BB399_11 Depth=1
	v_mov_b32_e32 v0, 0xffff
	v_mov_b32_e32 v2, 0x7f800001
	s_mov_b32 s23, exec_lo
	v_and_b32_sdwa v0, v0, v8 dst_sel:DWORD dst_unused:UNUSED_PAD src0_sel:DWORD src1_sel:BYTE_1
	buffer_store_dword v2, off, s[0:3], s32 offset:548 ; 4-byte Folded Spill
	v_and_b32_e32 v1, 0x7f, v0
	v_cmpx_ne_u32_e32 0x7f, v1
	s_cbranch_execz .LBB399_761
; %bb.758:                              ;   in Loop: Header=BB399_11 Depth=1
	v_and_b32_e32 v34, 7, v0
	v_mov_b32_e32 v35, v9
	v_lshrrev_b32_e32 v0, 3, v1
	s_mov_b32 s24, exec_lo
	v_cmpx_gt_u32_e32 8, v1
; %bb.759:                              ;   in Loop: Header=BB399_11 Depth=1
	v_ffbh_u32_e32 v0, v34
	v_min_u32_e32 v0, 32, v0
	v_subrev_nc_u32_e32 v1, 28, v0
	v_sub_nc_u32_e32 v0, 29, v0
	v_lshlrev_b64 v[1:2], v1, v[34:35]
	v_and_b32_e32 v34, 7, v1
; %bb.760:                              ;   in Loop: Header=BB399_11 Depth=1
	s_or_b32 exec_lo, exec_lo, s24
	v_lshlrev_b32_e32 v1, 16, v8
	v_lshlrev_b32_e32 v2, 20, v34
	v_lshl_add_u32 v0, v0, 23, 0x3c000000
	v_and_b32_e32 v1, 0x80000000, v1
	v_or3_b32 v0, v2, v1, v0
	buffer_store_dword v0, off, s[0:3], s32 offset:548 ; 4-byte Folded Spill
.LBB399_761:                            ;   in Loop: Header=BB399_11 Depth=1
	s_or_b32 exec_lo, exec_lo, s23
.LBB399_762:                            ;   in Loop: Header=BB399_11 Depth=1
	s_or_b32 exec_lo, exec_lo, s17
.LBB399_763:                            ;   in Loop: Header=BB399_11 Depth=1
	s_or_b32 exec_lo, exec_lo, s6
	v_mov_b32_e32 v0, 0xff
	s_mov_b32 s6, exec_lo
	v_and_b32_sdwa v0, v33, v0 dst_sel:DWORD dst_unused:UNUSED_PAD src0_sel:WORD_1 src1_sel:DWORD
	v_cmpx_ne_u16_e32 0, v0
	s_cbranch_execz .LBB399_771
; %bb.764:                              ;   in Loop: Header=BB399_11 Depth=1
	v_cmp_ne_u16_e64 s5, 0x80, v0
	v_bfrev_b32_e32 v0, 1
	buffer_store_dword v0, off, s[0:3], s32 offset:544 ; 4-byte Folded Spill
	s_and_saveexec_b32 s17, s5
	s_cbranch_execz .LBB399_770
; %bb.765:                              ;   in Loop: Header=BB399_11 Depth=1
	v_bfe_u32 v1, v33, 16, 7
	v_mov_b32_e32 v0, 0x7f800001
	s_mov_b32 s23, exec_lo
	buffer_store_dword v0, off, s[0:3], s32 offset:544 ; 4-byte Folded Spill
	v_cmpx_ne_u32_e32 0x7f, v1
	s_cbranch_execz .LBB399_769
; %bb.766:                              ;   in Loop: Header=BB399_11 Depth=1
	v_mov_b32_e32 v0, 7
	s_mov_b32 s24, exec_lo
	v_and_b32_sdwa v8, v33, v0 dst_sel:DWORD dst_unused:UNUSED_PAD src0_sel:WORD_1 src1_sel:DWORD
	v_mov_b32_e32 v35, v9
	v_lshrrev_b32_e32 v0, 3, v1
	v_mov_b32_e32 v34, v8
	v_cmpx_gt_u32_e32 8, v1
; %bb.767:                              ;   in Loop: Header=BB399_11 Depth=1
	v_ffbh_u32_e32 v0, v8
	v_min_u32_e32 v0, 32, v0
	v_subrev_nc_u32_e32 v1, 28, v0
	v_sub_nc_u32_e32 v0, 29, v0
	v_lshlrev_b64 v[1:2], v1, v[8:9]
	v_and_b32_e32 v34, 7, v1
; %bb.768:                              ;   in Loop: Header=BB399_11 Depth=1
	s_or_b32 exec_lo, exec_lo, s24
	v_mov_b32_e32 v1, 24
	v_lshlrev_b32_e32 v2, 20, v34
	v_lshl_add_u32 v0, v0, 23, 0x3c000000
	v_lshlrev_b32_sdwa v1, v1, v33 dst_sel:DWORD dst_unused:UNUSED_PAD src0_sel:DWORD src1_sel:WORD_1
	v_and_b32_e32 v1, 0x80000000, v1
	v_or3_b32 v0, v2, v1, v0
	buffer_store_dword v0, off, s[0:3], s32 offset:544 ; 4-byte Folded Spill
.LBB399_769:                            ;   in Loop: Header=BB399_11 Depth=1
	s_or_b32 exec_lo, exec_lo, s23
.LBB399_770:                            ;   in Loop: Header=BB399_11 Depth=1
	s_or_b32 exec_lo, exec_lo, s17
.LBB399_771:                            ;   in Loop: Header=BB399_11 Depth=1
	s_or_b32 exec_lo, exec_lo, s6
	v_mov_b32_e32 v0, 0
	s_mov_b32 s6, exec_lo
	buffer_store_dword v0, off, s[0:3], s32 offset:556 ; 4-byte Folded Spill
	v_mov_b32_e32 v0, 0
	buffer_store_dword v0, off, s[0:3], s32 offset:552 ; 4-byte Folded Spill
	v_cmpx_lt_u64_e64 s[8:9], v[32:33]
	s_cbranch_execz .LBB399_779
; %bb.772:                              ;   in Loop: Header=BB399_11 Depth=1
	v_cmp_ne_u32_sdwa s5, v33, v41 src0_sel:BYTE_3 src1_sel:DWORD
	v_bfrev_b32_e32 v0, 1
	buffer_store_dword v0, off, s[0:3], s32 offset:552 ; 4-byte Folded Spill
	s_and_saveexec_b32 s17, s5
	s_cbranch_execz .LBB399_778
; %bb.773:                              ;   in Loop: Header=BB399_11 Depth=1
	v_bfe_u32 v1, v33, 24, 7
	v_mov_b32_e32 v0, 0x7f800001
	s_mov_b32 s23, exec_lo
	buffer_store_dword v0, off, s[0:3], s32 offset:552 ; 4-byte Folded Spill
	v_cmpx_ne_u32_e32 0x7f, v1
	s_cbranch_execz .LBB399_777
; %bb.774:                              ;   in Loop: Header=BB399_11 Depth=1
	v_mov_b32_e32 v0, 7
	s_mov_b32 s24, exec_lo
	v_and_b32_sdwa v8, v33, v0 dst_sel:DWORD dst_unused:UNUSED_PAD src0_sel:BYTE_3 src1_sel:DWORD
	v_mov_b32_e32 v35, v9
	v_lshrrev_b32_e32 v0, 3, v1
	v_mov_b32_e32 v34, v8
	v_cmpx_gt_u32_e32 8, v1
; %bb.775:                              ;   in Loop: Header=BB399_11 Depth=1
	v_ffbh_u32_e32 v0, v8
	v_min_u32_e32 v0, 32, v0
	v_subrev_nc_u32_e32 v1, 28, v0
	v_sub_nc_u32_e32 v0, 29, v0
	v_lshlrev_b64 v[1:2], v1, v[8:9]
	v_and_b32_e32 v34, 7, v1
; %bb.776:                              ;   in Loop: Header=BB399_11 Depth=1
	s_or_b32 exec_lo, exec_lo, s24
	v_mov_b32_e32 v1, 24
	v_lshlrev_b32_e32 v2, 20, v34
	v_lshl_add_u32 v0, v0, 23, 0x3c000000
	v_lshlrev_b32_sdwa v1, v1, v33 dst_sel:DWORD dst_unused:UNUSED_PAD src0_sel:DWORD src1_sel:BYTE_3
	v_and_b32_e32 v1, 0x80000000, v1
	v_or3_b32 v0, v2, v1, v0
	buffer_store_dword v0, off, s[0:3], s32 offset:552 ; 4-byte Folded Spill
.LBB399_777:                            ;   in Loop: Header=BB399_11 Depth=1
	s_or_b32 exec_lo, exec_lo, s23
.LBB399_778:                            ;   in Loop: Header=BB399_11 Depth=1
	s_or_b32 exec_lo, exec_lo, s17
.LBB399_779:                            ;   in Loop: Header=BB399_11 Depth=1
	s_or_b32 exec_lo, exec_lo, s6
	flat_load_dwordx2 v[32:33], v[30:31] offset:1024
	s_waitcnt vmcnt(0) lgkmcnt(0)
	v_cmp_ne_u16_sdwa s5, v32, v9 src0_sel:BYTE_0 src1_sel:DWORD
	s_and_saveexec_b32 s6, s5
	s_cbranch_execz .LBB399_787
; %bb.780:                              ;   in Loop: Header=BB399_11 Depth=1
	v_cmp_ne_u16_sdwa s5, v32, v41 src0_sel:BYTE_0 src1_sel:DWORD
	v_bfrev_b32_e32 v0, 1
	buffer_store_dword v0, off, s[0:3], s32 offset:556 ; 4-byte Folded Spill
	s_and_saveexec_b32 s17, s5
	s_cbranch_execz .LBB399_786
; %bb.781:                              ;   in Loop: Header=BB399_11 Depth=1
	v_and_b32_e32 v1, 0x7f, v32
	v_mov_b32_e32 v0, 0x7f800001
	s_mov_b32 s23, exec_lo
	buffer_store_dword v0, off, s[0:3], s32 offset:556 ; 4-byte Folded Spill
	v_cmpx_ne_u32_e32 0x7f, v1
	s_cbranch_execz .LBB399_785
; %bb.782:                              ;   in Loop: Header=BB399_11 Depth=1
	v_mov_b32_e32 v35, v33
	v_lshrrev_b32_e32 v0, 3, v1
	v_mov_b32_e32 v34, v32
	s_mov_b32 s24, exec_lo
	v_cmpx_gt_u32_e32 8, v1
; %bb.783:                              ;   in Loop: Header=BB399_11 Depth=1
	v_and_b32_e32 v0, 7, v32
	v_ffbh_u32_e32 v0, v0
	v_min_u32_e32 v0, 32, v0
	v_subrev_nc_u32_e32 v1, 28, v0
	v_sub_nc_u32_e32 v0, 29, v0
	v_lshlrev_b64 v[34:35], v1, v[32:33]
; %bb.784:                              ;   in Loop: Header=BB399_11 Depth=1
	s_or_b32 exec_lo, exec_lo, s24
	v_lshlrev_b32_e32 v1, 20, v34
	v_lshlrev_b32_e32 v2, 24, v32
	v_lshl_add_u32 v0, v0, 23, 0x3c000000
	v_and_b32_e32 v1, 0x700000, v1
	v_and_b32_e32 v2, 0x80000000, v2
	v_or3_b32 v0, v1, v2, v0
	buffer_store_dword v0, off, s[0:3], s32 offset:556 ; 4-byte Folded Spill
.LBB399_785:                            ;   in Loop: Header=BB399_11 Depth=1
	s_or_b32 exec_lo, exec_lo, s23
.LBB399_786:                            ;   in Loop: Header=BB399_11 Depth=1
	s_or_b32 exec_lo, exec_lo, s17
.LBB399_787:                            ;   in Loop: Header=BB399_11 Depth=1
	s_or_b32 exec_lo, exec_lo, s6
	v_mov_b32_e32 v0, 0
	v_cmp_ne_u16_sdwa s5, v32, v9 src0_sel:BYTE_1 src1_sel:DWORD
	buffer_store_dword v0, off, s[0:3], s32 offset:564 ; 4-byte Folded Spill
	v_mov_b32_e32 v0, 0
	buffer_store_dword v0, off, s[0:3], s32 offset:560 ; 4-byte Folded Spill
	s_and_saveexec_b32 s6, s5
	s_cbranch_execz .LBB399_795
; %bb.788:                              ;   in Loop: Header=BB399_11 Depth=1
	v_cmp_ne_u16_sdwa s5, v32, v41 src0_sel:BYTE_1 src1_sel:DWORD
	v_bfrev_b32_e32 v0, 1
	buffer_store_dword v0, off, s[0:3], s32 offset:560 ; 4-byte Folded Spill
	s_and_saveexec_b32 s17, s5
	s_cbranch_execz .LBB399_794
; %bb.789:                              ;   in Loop: Header=BB399_11 Depth=1
	v_mov_b32_e32 v0, 0xffff
	v_mov_b32_e32 v2, 0x7f800001
	s_mov_b32 s23, exec_lo
	v_and_b32_sdwa v0, v0, v32 dst_sel:DWORD dst_unused:UNUSED_PAD src0_sel:DWORD src1_sel:BYTE_1
	buffer_store_dword v2, off, s[0:3], s32 offset:560 ; 4-byte Folded Spill
	v_and_b32_e32 v1, 0x7f, v0
	v_cmpx_ne_u32_e32 0x7f, v1
	s_cbranch_execz .LBB399_793
; %bb.790:                              ;   in Loop: Header=BB399_11 Depth=1
	v_and_b32_e32 v8, 7, v0
	v_mov_b32_e32 v35, v9
	v_lshrrev_b32_e32 v0, 3, v1
	s_mov_b32 s24, exec_lo
	v_mov_b32_e32 v34, v8
	v_cmpx_gt_u32_e32 8, v1
; %bb.791:                              ;   in Loop: Header=BB399_11 Depth=1
	v_ffbh_u32_e32 v0, v8
	v_min_u32_e32 v0, 32, v0
	v_subrev_nc_u32_e32 v1, 28, v0
	v_sub_nc_u32_e32 v0, 29, v0
	v_lshlrev_b64 v[1:2], v1, v[8:9]
	v_and_b32_e32 v34, 7, v1
; %bb.792:                              ;   in Loop: Header=BB399_11 Depth=1
	s_or_b32 exec_lo, exec_lo, s24
	v_lshlrev_b32_e32 v1, 16, v32
	v_lshlrev_b32_e32 v2, 20, v34
	v_lshl_add_u32 v0, v0, 23, 0x3c000000
	v_and_b32_e32 v1, 0x80000000, v1
	v_or3_b32 v0, v2, v1, v0
	buffer_store_dword v0, off, s[0:3], s32 offset:560 ; 4-byte Folded Spill
.LBB399_793:                            ;   in Loop: Header=BB399_11 Depth=1
	s_or_b32 exec_lo, exec_lo, s23
.LBB399_794:                            ;   in Loop: Header=BB399_11 Depth=1
	s_or_b32 exec_lo, exec_lo, s17
.LBB399_795:                            ;   in Loop: Header=BB399_11 Depth=1
	s_or_b32 exec_lo, exec_lo, s6
	v_mov_b32_e32 v0, 0xff
	s_mov_b32 s6, exec_lo
	v_and_b32_sdwa v0, v32, v0 dst_sel:DWORD dst_unused:UNUSED_PAD src0_sel:WORD_1 src1_sel:DWORD
	v_cmpx_ne_u16_e32 0, v0
	s_cbranch_execz .LBB399_803
; %bb.796:                              ;   in Loop: Header=BB399_11 Depth=1
	v_cmp_ne_u16_e64 s5, 0x80, v0
	v_bfrev_b32_e32 v0, 1
	buffer_store_dword v0, off, s[0:3], s32 offset:564 ; 4-byte Folded Spill
	s_and_saveexec_b32 s17, s5
	s_cbranch_execz .LBB399_802
; %bb.797:                              ;   in Loop: Header=BB399_11 Depth=1
	v_bfe_u32 v1, v32, 16, 7
	v_mov_b32_e32 v0, 0x7f800001
	s_mov_b32 s23, exec_lo
	buffer_store_dword v0, off, s[0:3], s32 offset:564 ; 4-byte Folded Spill
	v_cmpx_ne_u32_e32 0x7f, v1
	s_cbranch_execz .LBB399_801
; %bb.798:                              ;   in Loop: Header=BB399_11 Depth=1
	v_mov_b32_e32 v0, 7
	s_mov_b32 s24, exec_lo
	v_and_b32_sdwa v8, v32, v0 dst_sel:DWORD dst_unused:UNUSED_PAD src0_sel:WORD_1 src1_sel:DWORD
	v_mov_b32_e32 v35, v9
	v_lshrrev_b32_e32 v0, 3, v1
	v_mov_b32_e32 v34, v8
	v_cmpx_gt_u32_e32 8, v1
; %bb.799:                              ;   in Loop: Header=BB399_11 Depth=1
	v_ffbh_u32_e32 v0, v8
	v_min_u32_e32 v0, 32, v0
	v_subrev_nc_u32_e32 v1, 28, v0
	v_sub_nc_u32_e32 v0, 29, v0
	v_lshlrev_b64 v[1:2], v1, v[8:9]
	v_and_b32_e32 v34, 7, v1
; %bb.800:                              ;   in Loop: Header=BB399_11 Depth=1
	s_or_b32 exec_lo, exec_lo, s24
	v_mov_b32_e32 v1, 24
	v_lshlrev_b32_e32 v2, 20, v34
	v_lshl_add_u32 v0, v0, 23, 0x3c000000
	v_lshlrev_b32_sdwa v1, v1, v32 dst_sel:DWORD dst_unused:UNUSED_PAD src0_sel:DWORD src1_sel:WORD_1
	v_and_b32_e32 v1, 0x80000000, v1
	v_or3_b32 v0, v2, v1, v0
	buffer_store_dword v0, off, s[0:3], s32 offset:564 ; 4-byte Folded Spill
.LBB399_801:                            ;   in Loop: Header=BB399_11 Depth=1
	s_or_b32 exec_lo, exec_lo, s23
.LBB399_802:                            ;   in Loop: Header=BB399_11 Depth=1
	s_or_b32 exec_lo, exec_lo, s17
.LBB399_803:                            ;   in Loop: Header=BB399_11 Depth=1
	s_or_b32 exec_lo, exec_lo, s6
	v_mov_b32_e32 v0, 0
	s_mov_b32 s6, exec_lo
	buffer_store_dword v0, off, s[0:3], s32 offset:572 ; 4-byte Folded Spill
	v_mov_b32_e32 v0, 0
	buffer_store_dword v0, off, s[0:3], s32 offset:568 ; 4-byte Folded Spill
	v_cmpx_lt_u32_e32 0xffffff, v32
	s_cbranch_execz .LBB399_811
; %bb.804:                              ;   in Loop: Header=BB399_11 Depth=1
	v_cmp_ne_u32_sdwa s5, v32, v41 src0_sel:BYTE_3 src1_sel:DWORD
	v_bfrev_b32_e32 v0, 1
	buffer_store_dword v0, off, s[0:3], s32 offset:568 ; 4-byte Folded Spill
	s_and_saveexec_b32 s17, s5
	s_cbranch_execz .LBB399_810
; %bb.805:                              ;   in Loop: Header=BB399_11 Depth=1
	v_bfe_u32 v1, v32, 24, 7
	v_mov_b32_e32 v0, 0x7f800001
	s_mov_b32 s23, exec_lo
	buffer_store_dword v0, off, s[0:3], s32 offset:568 ; 4-byte Folded Spill
	v_cmpx_ne_u32_e32 0x7f, v1
	s_cbranch_execz .LBB399_809
; %bb.806:                              ;   in Loop: Header=BB399_11 Depth=1
	v_mov_b32_e32 v0, 7
	s_mov_b32 s24, exec_lo
	v_and_b32_sdwa v8, v32, v0 dst_sel:DWORD dst_unused:UNUSED_PAD src0_sel:BYTE_3 src1_sel:DWORD
	v_mov_b32_e32 v35, v9
	v_lshrrev_b32_e32 v0, 3, v1
	v_mov_b32_e32 v34, v8
	v_cmpx_gt_u32_e32 8, v1
; %bb.807:                              ;   in Loop: Header=BB399_11 Depth=1
	v_ffbh_u32_e32 v0, v8
	v_min_u32_e32 v0, 32, v0
	v_subrev_nc_u32_e32 v1, 28, v0
	v_sub_nc_u32_e32 v0, 29, v0
	v_lshlrev_b64 v[1:2], v1, v[8:9]
	v_and_b32_e32 v34, 7, v1
; %bb.808:                              ;   in Loop: Header=BB399_11 Depth=1
	s_or_b32 exec_lo, exec_lo, s24
	v_mov_b32_e32 v1, 24
	v_lshlrev_b32_e32 v2, 20, v34
	v_lshl_add_u32 v0, v0, 23, 0x3c000000
	v_lshlrev_b32_sdwa v1, v1, v32 dst_sel:DWORD dst_unused:UNUSED_PAD src0_sel:DWORD src1_sel:BYTE_3
	v_and_b32_e32 v1, 0x80000000, v1
	v_or3_b32 v0, v2, v1, v0
	buffer_store_dword v0, off, s[0:3], s32 offset:568 ; 4-byte Folded Spill
.LBB399_809:                            ;   in Loop: Header=BB399_11 Depth=1
	s_or_b32 exec_lo, exec_lo, s23
.LBB399_810:                            ;   in Loop: Header=BB399_11 Depth=1
	s_or_b32 exec_lo, exec_lo, s17
.LBB399_811:                            ;   in Loop: Header=BB399_11 Depth=1
	s_or_b32 exec_lo, exec_lo, s6
	v_mov_b32_e32 v8, v33
	v_cmp_ne_u16_sdwa s5, v33, v9 src0_sel:BYTE_0 src1_sel:DWORD
	s_and_saveexec_b32 s6, s5
	s_cbranch_execz .LBB399_819
; %bb.812:                              ;   in Loop: Header=BB399_11 Depth=1
	v_cmp_ne_u16_sdwa s5, v33, v41 src0_sel:BYTE_0 src1_sel:DWORD
	v_bfrev_b32_e32 v0, 1
	buffer_store_dword v0, off, s[0:3], s32 offset:572 ; 4-byte Folded Spill
	s_and_saveexec_b32 s17, s5
	s_cbranch_execz .LBB399_818
; %bb.813:                              ;   in Loop: Header=BB399_11 Depth=1
	v_and_b32_e32 v1, 0x7f, v33
	v_mov_b32_e32 v0, 0x7f800001
	s_mov_b32 s23, exec_lo
	buffer_store_dword v0, off, s[0:3], s32 offset:572 ; 4-byte Folded Spill
	v_cmpx_ne_u32_e32 0x7f, v1
	s_cbranch_execz .LBB399_817
; %bb.814:                              ;   in Loop: Header=BB399_11 Depth=1
	v_mov_b32_e32 v35, v9
	v_lshrrev_b32_e32 v0, 3, v1
	v_mov_b32_e32 v34, v8
	s_mov_b32 s24, exec_lo
	v_cmpx_gt_u32_e32 8, v1
; %bb.815:                              ;   in Loop: Header=BB399_11 Depth=1
	v_and_b32_e32 v0, 7, v33
	v_ffbh_u32_e32 v0, v0
	v_min_u32_e32 v0, 32, v0
	v_subrev_nc_u32_e32 v1, 28, v0
	v_sub_nc_u32_e32 v0, 29, v0
	v_lshlrev_b64 v[34:35], v1, v[8:9]
; %bb.816:                              ;   in Loop: Header=BB399_11 Depth=1
	s_or_b32 exec_lo, exec_lo, s24
	v_lshlrev_b32_e32 v1, 20, v34
	v_lshlrev_b32_e32 v2, 24, v8
	v_lshl_add_u32 v0, v0, 23, 0x3c000000
	v_and_b32_e32 v1, 0x700000, v1
	v_and_b32_e32 v2, 0x80000000, v2
	v_or3_b32 v0, v1, v2, v0
	buffer_store_dword v0, off, s[0:3], s32 offset:572 ; 4-byte Folded Spill
.LBB399_817:                            ;   in Loop: Header=BB399_11 Depth=1
	s_or_b32 exec_lo, exec_lo, s23
.LBB399_818:                            ;   in Loop: Header=BB399_11 Depth=1
	s_or_b32 exec_lo, exec_lo, s17
.LBB399_819:                            ;   in Loop: Header=BB399_11 Depth=1
	s_or_b32 exec_lo, exec_lo, s6
	v_mov_b32_e32 v0, 0
	v_cmp_ne_u16_sdwa s5, v8, v9 src0_sel:BYTE_1 src1_sel:DWORD
	buffer_store_dword v0, off, s[0:3], s32 offset:576 ; 4-byte Folded Spill
	v_mov_b32_e32 v0, 0
	buffer_store_dword v0, off, s[0:3], s32 offset:580 ; 4-byte Folded Spill
	s_and_saveexec_b32 s6, s5
	s_cbranch_execz .LBB399_827
; %bb.820:                              ;   in Loop: Header=BB399_11 Depth=1
	v_cmp_ne_u16_sdwa s5, v8, v41 src0_sel:BYTE_1 src1_sel:DWORD
	v_bfrev_b32_e32 v0, 1
	buffer_store_dword v0, off, s[0:3], s32 offset:580 ; 4-byte Folded Spill
	s_and_saveexec_b32 s17, s5
	s_cbranch_execz .LBB399_826
; %bb.821:                              ;   in Loop: Header=BB399_11 Depth=1
	v_mov_b32_e32 v0, 0xffff
	v_mov_b32_e32 v2, 0x7f800001
	s_mov_b32 s23, exec_lo
	v_and_b32_sdwa v0, v0, v8 dst_sel:DWORD dst_unused:UNUSED_PAD src0_sel:DWORD src1_sel:BYTE_1
	buffer_store_dword v2, off, s[0:3], s32 offset:580 ; 4-byte Folded Spill
	v_and_b32_e32 v1, 0x7f, v0
	v_cmpx_ne_u32_e32 0x7f, v1
	s_cbranch_execz .LBB399_825
; %bb.822:                              ;   in Loop: Header=BB399_11 Depth=1
	v_and_b32_e32 v34, 7, v0
	v_mov_b32_e32 v35, v9
	v_lshrrev_b32_e32 v0, 3, v1
	s_mov_b32 s24, exec_lo
	v_cmpx_gt_u32_e32 8, v1
; %bb.823:                              ;   in Loop: Header=BB399_11 Depth=1
	v_ffbh_u32_e32 v0, v34
	v_min_u32_e32 v0, 32, v0
	v_subrev_nc_u32_e32 v1, 28, v0
	v_sub_nc_u32_e32 v0, 29, v0
	v_lshlrev_b64 v[1:2], v1, v[34:35]
	v_and_b32_e32 v34, 7, v1
; %bb.824:                              ;   in Loop: Header=BB399_11 Depth=1
	s_or_b32 exec_lo, exec_lo, s24
	v_lshlrev_b32_e32 v1, 16, v8
	v_lshlrev_b32_e32 v2, 20, v34
	v_lshl_add_u32 v0, v0, 23, 0x3c000000
	v_and_b32_e32 v1, 0x80000000, v1
	v_or3_b32 v0, v2, v1, v0
	buffer_store_dword v0, off, s[0:3], s32 offset:580 ; 4-byte Folded Spill
.LBB399_825:                            ;   in Loop: Header=BB399_11 Depth=1
	s_or_b32 exec_lo, exec_lo, s23
.LBB399_826:                            ;   in Loop: Header=BB399_11 Depth=1
	s_or_b32 exec_lo, exec_lo, s17
.LBB399_827:                            ;   in Loop: Header=BB399_11 Depth=1
	s_or_b32 exec_lo, exec_lo, s6
	v_mov_b32_e32 v0, 0xff
	s_mov_b32 s6, exec_lo
	v_and_b32_sdwa v0, v33, v0 dst_sel:DWORD dst_unused:UNUSED_PAD src0_sel:WORD_1 src1_sel:DWORD
	v_cmpx_ne_u16_e32 0, v0
	s_cbranch_execz .LBB399_835
; %bb.828:                              ;   in Loop: Header=BB399_11 Depth=1
	v_cmp_ne_u16_e64 s5, 0x80, v0
	v_bfrev_b32_e32 v0, 1
	buffer_store_dword v0, off, s[0:3], s32 offset:576 ; 4-byte Folded Spill
	s_and_saveexec_b32 s17, s5
	s_cbranch_execz .LBB399_834
; %bb.829:                              ;   in Loop: Header=BB399_11 Depth=1
	v_bfe_u32 v1, v33, 16, 7
	v_mov_b32_e32 v0, 0x7f800001
	s_mov_b32 s23, exec_lo
	buffer_store_dword v0, off, s[0:3], s32 offset:576 ; 4-byte Folded Spill
	v_cmpx_ne_u32_e32 0x7f, v1
	s_cbranch_execz .LBB399_833
; %bb.830:                              ;   in Loop: Header=BB399_11 Depth=1
	v_mov_b32_e32 v0, 7
	s_mov_b32 s24, exec_lo
	v_and_b32_sdwa v8, v33, v0 dst_sel:DWORD dst_unused:UNUSED_PAD src0_sel:WORD_1 src1_sel:DWORD
	v_mov_b32_e32 v35, v9
	v_lshrrev_b32_e32 v0, 3, v1
	v_mov_b32_e32 v34, v8
	v_cmpx_gt_u32_e32 8, v1
; %bb.831:                              ;   in Loop: Header=BB399_11 Depth=1
	v_ffbh_u32_e32 v0, v8
	v_min_u32_e32 v0, 32, v0
	v_subrev_nc_u32_e32 v1, 28, v0
	v_sub_nc_u32_e32 v0, 29, v0
	v_lshlrev_b64 v[1:2], v1, v[8:9]
	v_and_b32_e32 v34, 7, v1
; %bb.832:                              ;   in Loop: Header=BB399_11 Depth=1
	s_or_b32 exec_lo, exec_lo, s24
	v_mov_b32_e32 v1, 24
	v_lshlrev_b32_e32 v2, 20, v34
	v_lshl_add_u32 v0, v0, 23, 0x3c000000
	v_lshlrev_b32_sdwa v1, v1, v33 dst_sel:DWORD dst_unused:UNUSED_PAD src0_sel:DWORD src1_sel:WORD_1
	v_and_b32_e32 v1, 0x80000000, v1
	v_or3_b32 v0, v2, v1, v0
	buffer_store_dword v0, off, s[0:3], s32 offset:576 ; 4-byte Folded Spill
.LBB399_833:                            ;   in Loop: Header=BB399_11 Depth=1
	s_or_b32 exec_lo, exec_lo, s23
.LBB399_834:                            ;   in Loop: Header=BB399_11 Depth=1
	s_or_b32 exec_lo, exec_lo, s17
.LBB399_835:                            ;   in Loop: Header=BB399_11 Depth=1
	s_or_b32 exec_lo, exec_lo, s6
	v_mov_b32_e32 v0, 0
	s_mov_b32 s6, exec_lo
	buffer_store_dword v0, off, s[0:3], s32 offset:588 ; 4-byte Folded Spill
	v_mov_b32_e32 v0, 0
	buffer_store_dword v0, off, s[0:3], s32 offset:584 ; 4-byte Folded Spill
	v_cmpx_lt_u64_e64 s[8:9], v[32:33]
	s_cbranch_execz .LBB399_843
; %bb.836:                              ;   in Loop: Header=BB399_11 Depth=1
	v_cmp_ne_u32_sdwa s5, v33, v41 src0_sel:BYTE_3 src1_sel:DWORD
	v_bfrev_b32_e32 v0, 1
	buffer_store_dword v0, off, s[0:3], s32 offset:584 ; 4-byte Folded Spill
	s_and_saveexec_b32 s17, s5
	s_cbranch_execz .LBB399_842
; %bb.837:                              ;   in Loop: Header=BB399_11 Depth=1
	v_bfe_u32 v1, v33, 24, 7
	v_mov_b32_e32 v0, 0x7f800001
	s_mov_b32 s23, exec_lo
	buffer_store_dword v0, off, s[0:3], s32 offset:584 ; 4-byte Folded Spill
	v_cmpx_ne_u32_e32 0x7f, v1
	s_cbranch_execz .LBB399_841
; %bb.838:                              ;   in Loop: Header=BB399_11 Depth=1
	v_mov_b32_e32 v0, 7
	s_mov_b32 s24, exec_lo
	v_and_b32_sdwa v8, v33, v0 dst_sel:DWORD dst_unused:UNUSED_PAD src0_sel:BYTE_3 src1_sel:DWORD
	v_mov_b32_e32 v35, v9
	v_lshrrev_b32_e32 v0, 3, v1
	v_mov_b32_e32 v34, v8
	v_cmpx_gt_u32_e32 8, v1
; %bb.839:                              ;   in Loop: Header=BB399_11 Depth=1
	v_ffbh_u32_e32 v0, v8
	v_min_u32_e32 v0, 32, v0
	v_subrev_nc_u32_e32 v1, 28, v0
	v_sub_nc_u32_e32 v0, 29, v0
	v_lshlrev_b64 v[1:2], v1, v[8:9]
	v_and_b32_e32 v34, 7, v1
; %bb.840:                              ;   in Loop: Header=BB399_11 Depth=1
	s_or_b32 exec_lo, exec_lo, s24
	v_mov_b32_e32 v1, 24
	v_lshlrev_b32_e32 v2, 20, v34
	v_lshl_add_u32 v0, v0, 23, 0x3c000000
	v_lshlrev_b32_sdwa v1, v1, v33 dst_sel:DWORD dst_unused:UNUSED_PAD src0_sel:DWORD src1_sel:BYTE_3
	v_and_b32_e32 v1, 0x80000000, v1
	v_or3_b32 v0, v2, v1, v0
	buffer_store_dword v0, off, s[0:3], s32 offset:584 ; 4-byte Folded Spill
.LBB399_841:                            ;   in Loop: Header=BB399_11 Depth=1
	s_or_b32 exec_lo, exec_lo, s23
.LBB399_842:                            ;   in Loop: Header=BB399_11 Depth=1
	s_or_b32 exec_lo, exec_lo, s17
.LBB399_843:                            ;   in Loop: Header=BB399_11 Depth=1
	s_or_b32 exec_lo, exec_lo, s6
	flat_load_dwordx2 v[32:33], v[30:31] offset:1032
	s_waitcnt vmcnt(0) lgkmcnt(0)
	v_cmp_ne_u16_sdwa s5, v32, v9 src0_sel:BYTE_0 src1_sel:DWORD
	s_and_saveexec_b32 s6, s5
	s_cbranch_execz .LBB399_851
; %bb.844:                              ;   in Loop: Header=BB399_11 Depth=1
	v_cmp_ne_u16_sdwa s5, v32, v41 src0_sel:BYTE_0 src1_sel:DWORD
	v_bfrev_b32_e32 v0, 1
	buffer_store_dword v0, off, s[0:3], s32 offset:588 ; 4-byte Folded Spill
	s_and_saveexec_b32 s17, s5
	s_cbranch_execz .LBB399_850
; %bb.845:                              ;   in Loop: Header=BB399_11 Depth=1
	v_and_b32_e32 v1, 0x7f, v32
	v_mov_b32_e32 v0, 0x7f800001
	s_mov_b32 s23, exec_lo
	buffer_store_dword v0, off, s[0:3], s32 offset:588 ; 4-byte Folded Spill
	v_cmpx_ne_u32_e32 0x7f, v1
	s_cbranch_execz .LBB399_849
; %bb.846:                              ;   in Loop: Header=BB399_11 Depth=1
	v_mov_b32_e32 v35, v33
	v_lshrrev_b32_e32 v0, 3, v1
	v_mov_b32_e32 v34, v32
	s_mov_b32 s24, exec_lo
	v_cmpx_gt_u32_e32 8, v1
; %bb.847:                              ;   in Loop: Header=BB399_11 Depth=1
	v_and_b32_e32 v0, 7, v32
	v_ffbh_u32_e32 v0, v0
	v_min_u32_e32 v0, 32, v0
	v_subrev_nc_u32_e32 v1, 28, v0
	v_sub_nc_u32_e32 v0, 29, v0
	v_lshlrev_b64 v[34:35], v1, v[32:33]
; %bb.848:                              ;   in Loop: Header=BB399_11 Depth=1
	s_or_b32 exec_lo, exec_lo, s24
	v_lshlrev_b32_e32 v1, 20, v34
	v_lshlrev_b32_e32 v2, 24, v32
	v_lshl_add_u32 v0, v0, 23, 0x3c000000
	v_and_b32_e32 v1, 0x700000, v1
	v_and_b32_e32 v2, 0x80000000, v2
	v_or3_b32 v0, v1, v2, v0
	buffer_store_dword v0, off, s[0:3], s32 offset:588 ; 4-byte Folded Spill
.LBB399_849:                            ;   in Loop: Header=BB399_11 Depth=1
	s_or_b32 exec_lo, exec_lo, s23
.LBB399_850:                            ;   in Loop: Header=BB399_11 Depth=1
	s_or_b32 exec_lo, exec_lo, s17
.LBB399_851:                            ;   in Loop: Header=BB399_11 Depth=1
	s_or_b32 exec_lo, exec_lo, s6
	v_mov_b32_e32 v0, 0
	v_cmp_ne_u16_sdwa s5, v32, v9 src0_sel:BYTE_1 src1_sel:DWORD
	buffer_store_dword v0, off, s[0:3], s32 offset:596 ; 4-byte Folded Spill
	v_mov_b32_e32 v0, 0
	buffer_store_dword v0, off, s[0:3], s32 offset:592 ; 4-byte Folded Spill
	s_and_saveexec_b32 s6, s5
	s_cbranch_execz .LBB399_859
; %bb.852:                              ;   in Loop: Header=BB399_11 Depth=1
	v_cmp_ne_u16_sdwa s5, v32, v41 src0_sel:BYTE_1 src1_sel:DWORD
	v_bfrev_b32_e32 v0, 1
	buffer_store_dword v0, off, s[0:3], s32 offset:592 ; 4-byte Folded Spill
	s_and_saveexec_b32 s17, s5
	s_cbranch_execz .LBB399_858
; %bb.853:                              ;   in Loop: Header=BB399_11 Depth=1
	v_mov_b32_e32 v0, 0xffff
	v_mov_b32_e32 v2, 0x7f800001
	s_mov_b32 s23, exec_lo
	v_and_b32_sdwa v0, v0, v32 dst_sel:DWORD dst_unused:UNUSED_PAD src0_sel:DWORD src1_sel:BYTE_1
	buffer_store_dword v2, off, s[0:3], s32 offset:592 ; 4-byte Folded Spill
	v_and_b32_e32 v1, 0x7f, v0
	v_cmpx_ne_u32_e32 0x7f, v1
	s_cbranch_execz .LBB399_857
; %bb.854:                              ;   in Loop: Header=BB399_11 Depth=1
	v_and_b32_e32 v8, 7, v0
	v_mov_b32_e32 v35, v9
	v_lshrrev_b32_e32 v0, 3, v1
	s_mov_b32 s24, exec_lo
	v_mov_b32_e32 v34, v8
	v_cmpx_gt_u32_e32 8, v1
; %bb.855:                              ;   in Loop: Header=BB399_11 Depth=1
	v_ffbh_u32_e32 v0, v8
	v_min_u32_e32 v0, 32, v0
	v_subrev_nc_u32_e32 v1, 28, v0
	v_sub_nc_u32_e32 v0, 29, v0
	v_lshlrev_b64 v[1:2], v1, v[8:9]
	v_and_b32_e32 v34, 7, v1
; %bb.856:                              ;   in Loop: Header=BB399_11 Depth=1
	s_or_b32 exec_lo, exec_lo, s24
	v_lshlrev_b32_e32 v1, 16, v32
	v_lshlrev_b32_e32 v2, 20, v34
	v_lshl_add_u32 v0, v0, 23, 0x3c000000
	v_and_b32_e32 v1, 0x80000000, v1
	v_or3_b32 v0, v2, v1, v0
	buffer_store_dword v0, off, s[0:3], s32 offset:592 ; 4-byte Folded Spill
.LBB399_857:                            ;   in Loop: Header=BB399_11 Depth=1
	s_or_b32 exec_lo, exec_lo, s23
.LBB399_858:                            ;   in Loop: Header=BB399_11 Depth=1
	s_or_b32 exec_lo, exec_lo, s17
.LBB399_859:                            ;   in Loop: Header=BB399_11 Depth=1
	s_or_b32 exec_lo, exec_lo, s6
	v_mov_b32_e32 v0, 0xff
	s_mov_b32 s6, exec_lo
	v_and_b32_sdwa v0, v32, v0 dst_sel:DWORD dst_unused:UNUSED_PAD src0_sel:WORD_1 src1_sel:DWORD
	v_cmpx_ne_u16_e32 0, v0
	s_cbranch_execz .LBB399_867
; %bb.860:                              ;   in Loop: Header=BB399_11 Depth=1
	v_cmp_ne_u16_e64 s5, 0x80, v0
	v_bfrev_b32_e32 v0, 1
	buffer_store_dword v0, off, s[0:3], s32 offset:596 ; 4-byte Folded Spill
	s_and_saveexec_b32 s17, s5
	s_cbranch_execz .LBB399_866
; %bb.861:                              ;   in Loop: Header=BB399_11 Depth=1
	v_bfe_u32 v1, v32, 16, 7
	v_mov_b32_e32 v0, 0x7f800001
	s_mov_b32 s23, exec_lo
	buffer_store_dword v0, off, s[0:3], s32 offset:596 ; 4-byte Folded Spill
	v_cmpx_ne_u32_e32 0x7f, v1
	s_cbranch_execz .LBB399_865
; %bb.862:                              ;   in Loop: Header=BB399_11 Depth=1
	v_mov_b32_e32 v0, 7
	s_mov_b32 s24, exec_lo
	v_and_b32_sdwa v8, v32, v0 dst_sel:DWORD dst_unused:UNUSED_PAD src0_sel:WORD_1 src1_sel:DWORD
	v_mov_b32_e32 v35, v9
	v_lshrrev_b32_e32 v0, 3, v1
	v_mov_b32_e32 v34, v8
	v_cmpx_gt_u32_e32 8, v1
; %bb.863:                              ;   in Loop: Header=BB399_11 Depth=1
	v_ffbh_u32_e32 v0, v8
	v_min_u32_e32 v0, 32, v0
	v_subrev_nc_u32_e32 v1, 28, v0
	v_sub_nc_u32_e32 v0, 29, v0
	v_lshlrev_b64 v[1:2], v1, v[8:9]
	v_and_b32_e32 v34, 7, v1
; %bb.864:                              ;   in Loop: Header=BB399_11 Depth=1
	s_or_b32 exec_lo, exec_lo, s24
	v_mov_b32_e32 v1, 24
	v_lshlrev_b32_e32 v2, 20, v34
	v_lshl_add_u32 v0, v0, 23, 0x3c000000
	v_lshlrev_b32_sdwa v1, v1, v32 dst_sel:DWORD dst_unused:UNUSED_PAD src0_sel:DWORD src1_sel:WORD_1
	v_and_b32_e32 v1, 0x80000000, v1
	v_or3_b32 v0, v2, v1, v0
	buffer_store_dword v0, off, s[0:3], s32 offset:596 ; 4-byte Folded Spill
.LBB399_865:                            ;   in Loop: Header=BB399_11 Depth=1
	s_or_b32 exec_lo, exec_lo, s23
.LBB399_866:                            ;   in Loop: Header=BB399_11 Depth=1
	s_or_b32 exec_lo, exec_lo, s17
.LBB399_867:                            ;   in Loop: Header=BB399_11 Depth=1
	s_or_b32 exec_lo, exec_lo, s6
	v_mov_b32_e32 v0, 0
	s_mov_b32 s6, exec_lo
	buffer_store_dword v0, off, s[0:3], s32 offset:604 ; 4-byte Folded Spill
	v_mov_b32_e32 v0, 0
	buffer_store_dword v0, off, s[0:3], s32 offset:600 ; 4-byte Folded Spill
	v_cmpx_lt_u32_e32 0xffffff, v32
	s_cbranch_execz .LBB399_875
; %bb.868:                              ;   in Loop: Header=BB399_11 Depth=1
	v_cmp_ne_u32_sdwa s5, v32, v41 src0_sel:BYTE_3 src1_sel:DWORD
	v_bfrev_b32_e32 v0, 1
	buffer_store_dword v0, off, s[0:3], s32 offset:600 ; 4-byte Folded Spill
	s_and_saveexec_b32 s17, s5
	s_cbranch_execz .LBB399_874
; %bb.869:                              ;   in Loop: Header=BB399_11 Depth=1
	v_bfe_u32 v1, v32, 24, 7
	v_mov_b32_e32 v0, 0x7f800001
	s_mov_b32 s23, exec_lo
	buffer_store_dword v0, off, s[0:3], s32 offset:600 ; 4-byte Folded Spill
	v_cmpx_ne_u32_e32 0x7f, v1
	s_cbranch_execz .LBB399_873
; %bb.870:                              ;   in Loop: Header=BB399_11 Depth=1
	v_mov_b32_e32 v0, 7
	s_mov_b32 s24, exec_lo
	v_and_b32_sdwa v8, v32, v0 dst_sel:DWORD dst_unused:UNUSED_PAD src0_sel:BYTE_3 src1_sel:DWORD
	v_mov_b32_e32 v35, v9
	v_lshrrev_b32_e32 v0, 3, v1
	v_mov_b32_e32 v34, v8
	v_cmpx_gt_u32_e32 8, v1
; %bb.871:                              ;   in Loop: Header=BB399_11 Depth=1
	v_ffbh_u32_e32 v0, v8
	v_min_u32_e32 v0, 32, v0
	v_subrev_nc_u32_e32 v1, 28, v0
	v_sub_nc_u32_e32 v0, 29, v0
	v_lshlrev_b64 v[1:2], v1, v[8:9]
	v_and_b32_e32 v34, 7, v1
; %bb.872:                              ;   in Loop: Header=BB399_11 Depth=1
	s_or_b32 exec_lo, exec_lo, s24
	v_mov_b32_e32 v1, 24
	v_lshlrev_b32_e32 v2, 20, v34
	v_lshl_add_u32 v0, v0, 23, 0x3c000000
	v_lshlrev_b32_sdwa v1, v1, v32 dst_sel:DWORD dst_unused:UNUSED_PAD src0_sel:DWORD src1_sel:BYTE_3
	v_and_b32_e32 v1, 0x80000000, v1
	v_or3_b32 v0, v2, v1, v0
	buffer_store_dword v0, off, s[0:3], s32 offset:600 ; 4-byte Folded Spill
.LBB399_873:                            ;   in Loop: Header=BB399_11 Depth=1
	s_or_b32 exec_lo, exec_lo, s23
.LBB399_874:                            ;   in Loop: Header=BB399_11 Depth=1
	s_or_b32 exec_lo, exec_lo, s17
.LBB399_875:                            ;   in Loop: Header=BB399_11 Depth=1
	s_or_b32 exec_lo, exec_lo, s6
	v_mov_b32_e32 v8, v33
	v_cmp_ne_u16_sdwa s5, v33, v9 src0_sel:BYTE_0 src1_sel:DWORD
	s_and_saveexec_b32 s6, s5
	s_cbranch_execz .LBB399_883
; %bb.876:                              ;   in Loop: Header=BB399_11 Depth=1
	v_cmp_ne_u16_sdwa s5, v33, v41 src0_sel:BYTE_0 src1_sel:DWORD
	v_bfrev_b32_e32 v0, 1
	buffer_store_dword v0, off, s[0:3], s32 offset:604 ; 4-byte Folded Spill
	s_and_saveexec_b32 s17, s5
	s_cbranch_execz .LBB399_882
; %bb.877:                              ;   in Loop: Header=BB399_11 Depth=1
	v_and_b32_e32 v1, 0x7f, v33
	v_mov_b32_e32 v0, 0x7f800001
	s_mov_b32 s23, exec_lo
	buffer_store_dword v0, off, s[0:3], s32 offset:604 ; 4-byte Folded Spill
	v_cmpx_ne_u32_e32 0x7f, v1
	s_cbranch_execz .LBB399_881
; %bb.878:                              ;   in Loop: Header=BB399_11 Depth=1
	v_mov_b32_e32 v35, v9
	v_lshrrev_b32_e32 v0, 3, v1
	v_mov_b32_e32 v34, v8
	s_mov_b32 s24, exec_lo
	v_cmpx_gt_u32_e32 8, v1
; %bb.879:                              ;   in Loop: Header=BB399_11 Depth=1
	v_and_b32_e32 v0, 7, v33
	v_ffbh_u32_e32 v0, v0
	v_min_u32_e32 v0, 32, v0
	v_subrev_nc_u32_e32 v1, 28, v0
	v_sub_nc_u32_e32 v0, 29, v0
	v_lshlrev_b64 v[34:35], v1, v[8:9]
; %bb.880:                              ;   in Loop: Header=BB399_11 Depth=1
	s_or_b32 exec_lo, exec_lo, s24
	v_lshlrev_b32_e32 v1, 20, v34
	v_lshlrev_b32_e32 v2, 24, v8
	v_lshl_add_u32 v0, v0, 23, 0x3c000000
	v_and_b32_e32 v1, 0x700000, v1
	v_and_b32_e32 v2, 0x80000000, v2
	v_or3_b32 v0, v1, v2, v0
	buffer_store_dword v0, off, s[0:3], s32 offset:604 ; 4-byte Folded Spill
.LBB399_881:                            ;   in Loop: Header=BB399_11 Depth=1
	s_or_b32 exec_lo, exec_lo, s23
.LBB399_882:                            ;   in Loop: Header=BB399_11 Depth=1
	s_or_b32 exec_lo, exec_lo, s17
.LBB399_883:                            ;   in Loop: Header=BB399_11 Depth=1
	s_or_b32 exec_lo, exec_lo, s6
	v_mov_b32_e32 v0, 0
	v_cmp_ne_u16_sdwa s5, v8, v9 src0_sel:BYTE_1 src1_sel:DWORD
	buffer_store_dword v0, off, s[0:3], s32 offset:608 ; 4-byte Folded Spill
	v_mov_b32_e32 v0, 0
	buffer_store_dword v0, off, s[0:3], s32 offset:612 ; 4-byte Folded Spill
	s_and_saveexec_b32 s6, s5
	s_cbranch_execz .LBB399_891
; %bb.884:                              ;   in Loop: Header=BB399_11 Depth=1
	v_cmp_ne_u16_sdwa s5, v8, v41 src0_sel:BYTE_1 src1_sel:DWORD
	v_bfrev_b32_e32 v0, 1
	buffer_store_dword v0, off, s[0:3], s32 offset:612 ; 4-byte Folded Spill
	s_and_saveexec_b32 s17, s5
	s_cbranch_execz .LBB399_890
; %bb.885:                              ;   in Loop: Header=BB399_11 Depth=1
	v_mov_b32_e32 v0, 0xffff
	v_mov_b32_e32 v2, 0x7f800001
	s_mov_b32 s23, exec_lo
	v_and_b32_sdwa v0, v0, v8 dst_sel:DWORD dst_unused:UNUSED_PAD src0_sel:DWORD src1_sel:BYTE_1
	buffer_store_dword v2, off, s[0:3], s32 offset:612 ; 4-byte Folded Spill
	v_and_b32_e32 v1, 0x7f, v0
	v_cmpx_ne_u32_e32 0x7f, v1
	s_cbranch_execz .LBB399_889
; %bb.886:                              ;   in Loop: Header=BB399_11 Depth=1
	v_and_b32_e32 v34, 7, v0
	v_mov_b32_e32 v35, v9
	v_lshrrev_b32_e32 v0, 3, v1
	s_mov_b32 s24, exec_lo
	v_cmpx_gt_u32_e32 8, v1
; %bb.887:                              ;   in Loop: Header=BB399_11 Depth=1
	v_ffbh_u32_e32 v0, v34
	v_min_u32_e32 v0, 32, v0
	v_subrev_nc_u32_e32 v1, 28, v0
	v_sub_nc_u32_e32 v0, 29, v0
	v_lshlrev_b64 v[1:2], v1, v[34:35]
	v_and_b32_e32 v34, 7, v1
; %bb.888:                              ;   in Loop: Header=BB399_11 Depth=1
	s_or_b32 exec_lo, exec_lo, s24
	v_lshlrev_b32_e32 v1, 16, v8
	v_lshlrev_b32_e32 v2, 20, v34
	v_lshl_add_u32 v0, v0, 23, 0x3c000000
	v_and_b32_e32 v1, 0x80000000, v1
	v_or3_b32 v0, v2, v1, v0
	buffer_store_dword v0, off, s[0:3], s32 offset:612 ; 4-byte Folded Spill
.LBB399_889:                            ;   in Loop: Header=BB399_11 Depth=1
	s_or_b32 exec_lo, exec_lo, s23
.LBB399_890:                            ;   in Loop: Header=BB399_11 Depth=1
	s_or_b32 exec_lo, exec_lo, s17
.LBB399_891:                            ;   in Loop: Header=BB399_11 Depth=1
	s_or_b32 exec_lo, exec_lo, s6
	v_mov_b32_e32 v0, 0xff
	s_mov_b32 s6, exec_lo
	v_and_b32_sdwa v0, v33, v0 dst_sel:DWORD dst_unused:UNUSED_PAD src0_sel:WORD_1 src1_sel:DWORD
	v_cmpx_ne_u16_e32 0, v0
	s_cbranch_execz .LBB399_899
; %bb.892:                              ;   in Loop: Header=BB399_11 Depth=1
	v_cmp_ne_u16_e64 s5, 0x80, v0
	v_bfrev_b32_e32 v0, 1
	buffer_store_dword v0, off, s[0:3], s32 offset:608 ; 4-byte Folded Spill
	s_and_saveexec_b32 s17, s5
	s_cbranch_execz .LBB399_898
; %bb.893:                              ;   in Loop: Header=BB399_11 Depth=1
	v_bfe_u32 v1, v33, 16, 7
	v_mov_b32_e32 v0, 0x7f800001
	s_mov_b32 s23, exec_lo
	buffer_store_dword v0, off, s[0:3], s32 offset:608 ; 4-byte Folded Spill
	v_cmpx_ne_u32_e32 0x7f, v1
	s_cbranch_execz .LBB399_897
; %bb.894:                              ;   in Loop: Header=BB399_11 Depth=1
	v_mov_b32_e32 v0, 7
	s_mov_b32 s24, exec_lo
	v_and_b32_sdwa v8, v33, v0 dst_sel:DWORD dst_unused:UNUSED_PAD src0_sel:WORD_1 src1_sel:DWORD
	v_mov_b32_e32 v35, v9
	v_lshrrev_b32_e32 v0, 3, v1
	v_mov_b32_e32 v34, v8
	v_cmpx_gt_u32_e32 8, v1
; %bb.895:                              ;   in Loop: Header=BB399_11 Depth=1
	v_ffbh_u32_e32 v0, v8
	v_min_u32_e32 v0, 32, v0
	v_subrev_nc_u32_e32 v1, 28, v0
	v_sub_nc_u32_e32 v0, 29, v0
	v_lshlrev_b64 v[1:2], v1, v[8:9]
	v_and_b32_e32 v34, 7, v1
; %bb.896:                              ;   in Loop: Header=BB399_11 Depth=1
	s_or_b32 exec_lo, exec_lo, s24
	v_mov_b32_e32 v1, 24
	v_lshlrev_b32_e32 v2, 20, v34
	v_lshl_add_u32 v0, v0, 23, 0x3c000000
	v_lshlrev_b32_sdwa v1, v1, v33 dst_sel:DWORD dst_unused:UNUSED_PAD src0_sel:DWORD src1_sel:WORD_1
	v_and_b32_e32 v1, 0x80000000, v1
	v_or3_b32 v0, v2, v1, v0
	buffer_store_dword v0, off, s[0:3], s32 offset:608 ; 4-byte Folded Spill
.LBB399_897:                            ;   in Loop: Header=BB399_11 Depth=1
	s_or_b32 exec_lo, exec_lo, s23
.LBB399_898:                            ;   in Loop: Header=BB399_11 Depth=1
	s_or_b32 exec_lo, exec_lo, s17
.LBB399_899:                            ;   in Loop: Header=BB399_11 Depth=1
	s_or_b32 exec_lo, exec_lo, s6
	v_mov_b32_e32 v0, 0
	s_mov_b32 s6, exec_lo
	buffer_store_dword v0, off, s[0:3], s32 offset:620 ; 4-byte Folded Spill
	v_mov_b32_e32 v0, 0
	buffer_store_dword v0, off, s[0:3], s32 offset:616 ; 4-byte Folded Spill
	v_cmpx_lt_u64_e64 s[8:9], v[32:33]
	s_cbranch_execz .LBB399_907
; %bb.900:                              ;   in Loop: Header=BB399_11 Depth=1
	v_cmp_ne_u32_sdwa s5, v33, v41 src0_sel:BYTE_3 src1_sel:DWORD
	v_bfrev_b32_e32 v0, 1
	buffer_store_dword v0, off, s[0:3], s32 offset:616 ; 4-byte Folded Spill
	s_and_saveexec_b32 s17, s5
	s_cbranch_execz .LBB399_906
; %bb.901:                              ;   in Loop: Header=BB399_11 Depth=1
	v_bfe_u32 v1, v33, 24, 7
	v_mov_b32_e32 v0, 0x7f800001
	s_mov_b32 s23, exec_lo
	buffer_store_dword v0, off, s[0:3], s32 offset:616 ; 4-byte Folded Spill
	v_cmpx_ne_u32_e32 0x7f, v1
	s_cbranch_execz .LBB399_905
; %bb.902:                              ;   in Loop: Header=BB399_11 Depth=1
	v_mov_b32_e32 v0, 7
	s_mov_b32 s24, exec_lo
	v_and_b32_sdwa v8, v33, v0 dst_sel:DWORD dst_unused:UNUSED_PAD src0_sel:BYTE_3 src1_sel:DWORD
	v_mov_b32_e32 v35, v9
	v_lshrrev_b32_e32 v0, 3, v1
	v_mov_b32_e32 v34, v8
	v_cmpx_gt_u32_e32 8, v1
; %bb.903:                              ;   in Loop: Header=BB399_11 Depth=1
	v_ffbh_u32_e32 v0, v8
	v_min_u32_e32 v0, 32, v0
	v_subrev_nc_u32_e32 v1, 28, v0
	v_sub_nc_u32_e32 v0, 29, v0
	v_lshlrev_b64 v[1:2], v1, v[8:9]
	v_and_b32_e32 v34, 7, v1
; %bb.904:                              ;   in Loop: Header=BB399_11 Depth=1
	s_or_b32 exec_lo, exec_lo, s24
	v_mov_b32_e32 v1, 24
	v_lshlrev_b32_e32 v2, 20, v34
	v_lshl_add_u32 v0, v0, 23, 0x3c000000
	v_lshlrev_b32_sdwa v1, v1, v33 dst_sel:DWORD dst_unused:UNUSED_PAD src0_sel:DWORD src1_sel:BYTE_3
	v_and_b32_e32 v1, 0x80000000, v1
	v_or3_b32 v0, v2, v1, v0
	buffer_store_dword v0, off, s[0:3], s32 offset:616 ; 4-byte Folded Spill
.LBB399_905:                            ;   in Loop: Header=BB399_11 Depth=1
	s_or_b32 exec_lo, exec_lo, s23
.LBB399_906:                            ;   in Loop: Header=BB399_11 Depth=1
	s_or_b32 exec_lo, exec_lo, s17
.LBB399_907:                            ;   in Loop: Header=BB399_11 Depth=1
	s_or_b32 exec_lo, exec_lo, s6
	flat_load_dwordx2 v[32:33], v[30:31] offset:1536
	s_waitcnt vmcnt(0) lgkmcnt(0)
	v_cmp_ne_u16_sdwa s5, v32, v9 src0_sel:BYTE_0 src1_sel:DWORD
	s_and_saveexec_b32 s6, s5
	s_cbranch_execz .LBB399_915
; %bb.908:                              ;   in Loop: Header=BB399_11 Depth=1
	v_cmp_ne_u16_sdwa s5, v32, v41 src0_sel:BYTE_0 src1_sel:DWORD
	v_bfrev_b32_e32 v0, 1
	buffer_store_dword v0, off, s[0:3], s32 offset:620 ; 4-byte Folded Spill
	s_and_saveexec_b32 s17, s5
	s_cbranch_execz .LBB399_914
; %bb.909:                              ;   in Loop: Header=BB399_11 Depth=1
	v_and_b32_e32 v1, 0x7f, v32
	v_mov_b32_e32 v0, 0x7f800001
	s_mov_b32 s23, exec_lo
	buffer_store_dword v0, off, s[0:3], s32 offset:620 ; 4-byte Folded Spill
	v_cmpx_ne_u32_e32 0x7f, v1
	s_cbranch_execz .LBB399_913
; %bb.910:                              ;   in Loop: Header=BB399_11 Depth=1
	v_mov_b32_e32 v35, v33
	v_lshrrev_b32_e32 v0, 3, v1
	v_mov_b32_e32 v34, v32
	s_mov_b32 s24, exec_lo
	v_cmpx_gt_u32_e32 8, v1
; %bb.911:                              ;   in Loop: Header=BB399_11 Depth=1
	v_and_b32_e32 v0, 7, v32
	v_ffbh_u32_e32 v0, v0
	v_min_u32_e32 v0, 32, v0
	v_subrev_nc_u32_e32 v1, 28, v0
	v_sub_nc_u32_e32 v0, 29, v0
	v_lshlrev_b64 v[34:35], v1, v[32:33]
; %bb.912:                              ;   in Loop: Header=BB399_11 Depth=1
	s_or_b32 exec_lo, exec_lo, s24
	v_lshlrev_b32_e32 v1, 20, v34
	v_lshlrev_b32_e32 v2, 24, v32
	v_lshl_add_u32 v0, v0, 23, 0x3c000000
	v_and_b32_e32 v1, 0x700000, v1
	v_and_b32_e32 v2, 0x80000000, v2
	v_or3_b32 v0, v1, v2, v0
	buffer_store_dword v0, off, s[0:3], s32 offset:620 ; 4-byte Folded Spill
.LBB399_913:                            ;   in Loop: Header=BB399_11 Depth=1
	s_or_b32 exec_lo, exec_lo, s23
.LBB399_914:                            ;   in Loop: Header=BB399_11 Depth=1
	s_or_b32 exec_lo, exec_lo, s17
.LBB399_915:                            ;   in Loop: Header=BB399_11 Depth=1
	s_or_b32 exec_lo, exec_lo, s6
	v_mov_b32_e32 v0, 0
	v_cmp_ne_u16_sdwa s5, v32, v9 src0_sel:BYTE_1 src1_sel:DWORD
	buffer_store_dword v0, off, s[0:3], s32 offset:628 ; 4-byte Folded Spill
	v_mov_b32_e32 v0, 0
	buffer_store_dword v0, off, s[0:3], s32 offset:624 ; 4-byte Folded Spill
	s_and_saveexec_b32 s6, s5
	s_cbranch_execz .LBB399_923
; %bb.916:                              ;   in Loop: Header=BB399_11 Depth=1
	v_cmp_ne_u16_sdwa s5, v32, v41 src0_sel:BYTE_1 src1_sel:DWORD
	v_bfrev_b32_e32 v0, 1
	buffer_store_dword v0, off, s[0:3], s32 offset:624 ; 4-byte Folded Spill
	s_and_saveexec_b32 s17, s5
	s_cbranch_execz .LBB399_922
; %bb.917:                              ;   in Loop: Header=BB399_11 Depth=1
	v_mov_b32_e32 v0, 0xffff
	v_mov_b32_e32 v2, 0x7f800001
	s_mov_b32 s23, exec_lo
	v_and_b32_sdwa v0, v0, v32 dst_sel:DWORD dst_unused:UNUSED_PAD src0_sel:DWORD src1_sel:BYTE_1
	buffer_store_dword v2, off, s[0:3], s32 offset:624 ; 4-byte Folded Spill
	v_and_b32_e32 v1, 0x7f, v0
	v_cmpx_ne_u32_e32 0x7f, v1
	s_cbranch_execz .LBB399_921
; %bb.918:                              ;   in Loop: Header=BB399_11 Depth=1
	v_and_b32_e32 v8, 7, v0
	v_mov_b32_e32 v35, v9
	v_lshrrev_b32_e32 v0, 3, v1
	s_mov_b32 s24, exec_lo
	v_mov_b32_e32 v34, v8
	v_cmpx_gt_u32_e32 8, v1
; %bb.919:                              ;   in Loop: Header=BB399_11 Depth=1
	v_ffbh_u32_e32 v0, v8
	v_min_u32_e32 v0, 32, v0
	v_subrev_nc_u32_e32 v1, 28, v0
	v_sub_nc_u32_e32 v0, 29, v0
	v_lshlrev_b64 v[1:2], v1, v[8:9]
	v_and_b32_e32 v34, 7, v1
; %bb.920:                              ;   in Loop: Header=BB399_11 Depth=1
	s_or_b32 exec_lo, exec_lo, s24
	v_lshlrev_b32_e32 v1, 16, v32
	v_lshlrev_b32_e32 v2, 20, v34
	v_lshl_add_u32 v0, v0, 23, 0x3c000000
	v_and_b32_e32 v1, 0x80000000, v1
	v_or3_b32 v0, v2, v1, v0
	buffer_store_dword v0, off, s[0:3], s32 offset:624 ; 4-byte Folded Spill
.LBB399_921:                            ;   in Loop: Header=BB399_11 Depth=1
	s_or_b32 exec_lo, exec_lo, s23
.LBB399_922:                            ;   in Loop: Header=BB399_11 Depth=1
	s_or_b32 exec_lo, exec_lo, s17
.LBB399_923:                            ;   in Loop: Header=BB399_11 Depth=1
	s_or_b32 exec_lo, exec_lo, s6
	v_mov_b32_e32 v0, 0xff
	s_mov_b32 s6, exec_lo
	v_and_b32_sdwa v0, v32, v0 dst_sel:DWORD dst_unused:UNUSED_PAD src0_sel:WORD_1 src1_sel:DWORD
	v_cmpx_ne_u16_e32 0, v0
	s_cbranch_execz .LBB399_931
; %bb.924:                              ;   in Loop: Header=BB399_11 Depth=1
	v_cmp_ne_u16_e64 s5, 0x80, v0
	v_bfrev_b32_e32 v0, 1
	buffer_store_dword v0, off, s[0:3], s32 offset:628 ; 4-byte Folded Spill
	s_and_saveexec_b32 s17, s5
	s_cbranch_execz .LBB399_930
; %bb.925:                              ;   in Loop: Header=BB399_11 Depth=1
	v_bfe_u32 v1, v32, 16, 7
	v_mov_b32_e32 v0, 0x7f800001
	s_mov_b32 s23, exec_lo
	buffer_store_dword v0, off, s[0:3], s32 offset:628 ; 4-byte Folded Spill
	v_cmpx_ne_u32_e32 0x7f, v1
	s_cbranch_execz .LBB399_929
; %bb.926:                              ;   in Loop: Header=BB399_11 Depth=1
	v_mov_b32_e32 v0, 7
	s_mov_b32 s24, exec_lo
	v_and_b32_sdwa v8, v32, v0 dst_sel:DWORD dst_unused:UNUSED_PAD src0_sel:WORD_1 src1_sel:DWORD
	v_mov_b32_e32 v35, v9
	v_lshrrev_b32_e32 v0, 3, v1
	v_mov_b32_e32 v34, v8
	v_cmpx_gt_u32_e32 8, v1
; %bb.927:                              ;   in Loop: Header=BB399_11 Depth=1
	v_ffbh_u32_e32 v0, v8
	v_min_u32_e32 v0, 32, v0
	v_subrev_nc_u32_e32 v1, 28, v0
	v_sub_nc_u32_e32 v0, 29, v0
	v_lshlrev_b64 v[1:2], v1, v[8:9]
	v_and_b32_e32 v34, 7, v1
; %bb.928:                              ;   in Loop: Header=BB399_11 Depth=1
	s_or_b32 exec_lo, exec_lo, s24
	v_mov_b32_e32 v1, 24
	v_lshlrev_b32_e32 v2, 20, v34
	v_lshl_add_u32 v0, v0, 23, 0x3c000000
	v_lshlrev_b32_sdwa v1, v1, v32 dst_sel:DWORD dst_unused:UNUSED_PAD src0_sel:DWORD src1_sel:WORD_1
	v_and_b32_e32 v1, 0x80000000, v1
	v_or3_b32 v0, v2, v1, v0
	buffer_store_dword v0, off, s[0:3], s32 offset:628 ; 4-byte Folded Spill
.LBB399_929:                            ;   in Loop: Header=BB399_11 Depth=1
	s_or_b32 exec_lo, exec_lo, s23
.LBB399_930:                            ;   in Loop: Header=BB399_11 Depth=1
	s_or_b32 exec_lo, exec_lo, s17
.LBB399_931:                            ;   in Loop: Header=BB399_11 Depth=1
	s_or_b32 exec_lo, exec_lo, s6
	v_mov_b32_e32 v0, 0
	s_mov_b32 s6, exec_lo
	buffer_store_dword v0, off, s[0:3], s32 offset:636 ; 4-byte Folded Spill
	v_mov_b32_e32 v0, 0
	buffer_store_dword v0, off, s[0:3], s32 offset:632 ; 4-byte Folded Spill
	v_cmpx_lt_u32_e32 0xffffff, v32
	s_cbranch_execz .LBB399_939
; %bb.932:                              ;   in Loop: Header=BB399_11 Depth=1
	v_cmp_ne_u32_sdwa s5, v32, v41 src0_sel:BYTE_3 src1_sel:DWORD
	v_bfrev_b32_e32 v0, 1
	buffer_store_dword v0, off, s[0:3], s32 offset:632 ; 4-byte Folded Spill
	s_and_saveexec_b32 s17, s5
	s_cbranch_execz .LBB399_938
; %bb.933:                              ;   in Loop: Header=BB399_11 Depth=1
	v_bfe_u32 v1, v32, 24, 7
	v_mov_b32_e32 v0, 0x7f800001
	s_mov_b32 s23, exec_lo
	buffer_store_dword v0, off, s[0:3], s32 offset:632 ; 4-byte Folded Spill
	v_cmpx_ne_u32_e32 0x7f, v1
	s_cbranch_execz .LBB399_937
; %bb.934:                              ;   in Loop: Header=BB399_11 Depth=1
	v_mov_b32_e32 v0, 7
	s_mov_b32 s24, exec_lo
	v_and_b32_sdwa v8, v32, v0 dst_sel:DWORD dst_unused:UNUSED_PAD src0_sel:BYTE_3 src1_sel:DWORD
	v_mov_b32_e32 v35, v9
	v_lshrrev_b32_e32 v0, 3, v1
	v_mov_b32_e32 v34, v8
	v_cmpx_gt_u32_e32 8, v1
; %bb.935:                              ;   in Loop: Header=BB399_11 Depth=1
	v_ffbh_u32_e32 v0, v8
	v_min_u32_e32 v0, 32, v0
	v_subrev_nc_u32_e32 v1, 28, v0
	v_sub_nc_u32_e32 v0, 29, v0
	v_lshlrev_b64 v[1:2], v1, v[8:9]
	v_and_b32_e32 v34, 7, v1
; %bb.936:                              ;   in Loop: Header=BB399_11 Depth=1
	s_or_b32 exec_lo, exec_lo, s24
	v_mov_b32_e32 v1, 24
	v_lshlrev_b32_e32 v2, 20, v34
	v_lshl_add_u32 v0, v0, 23, 0x3c000000
	v_lshlrev_b32_sdwa v1, v1, v32 dst_sel:DWORD dst_unused:UNUSED_PAD src0_sel:DWORD src1_sel:BYTE_3
	v_and_b32_e32 v1, 0x80000000, v1
	v_or3_b32 v0, v2, v1, v0
	buffer_store_dword v0, off, s[0:3], s32 offset:632 ; 4-byte Folded Spill
.LBB399_937:                            ;   in Loop: Header=BB399_11 Depth=1
	s_or_b32 exec_lo, exec_lo, s23
.LBB399_938:                            ;   in Loop: Header=BB399_11 Depth=1
	s_or_b32 exec_lo, exec_lo, s17
.LBB399_939:                            ;   in Loop: Header=BB399_11 Depth=1
	s_or_b32 exec_lo, exec_lo, s6
	v_mov_b32_e32 v8, v33
	v_cmp_ne_u16_sdwa s5, v33, v9 src0_sel:BYTE_0 src1_sel:DWORD
	s_and_saveexec_b32 s6, s5
	s_cbranch_execz .LBB399_947
; %bb.940:                              ;   in Loop: Header=BB399_11 Depth=1
	v_cmp_ne_u16_sdwa s5, v33, v41 src0_sel:BYTE_0 src1_sel:DWORD
	v_bfrev_b32_e32 v0, 1
	buffer_store_dword v0, off, s[0:3], s32 offset:636 ; 4-byte Folded Spill
	s_and_saveexec_b32 s17, s5
	s_cbranch_execz .LBB399_946
; %bb.941:                              ;   in Loop: Header=BB399_11 Depth=1
	v_and_b32_e32 v1, 0x7f, v33
	v_mov_b32_e32 v0, 0x7f800001
	s_mov_b32 s23, exec_lo
	buffer_store_dword v0, off, s[0:3], s32 offset:636 ; 4-byte Folded Spill
	v_cmpx_ne_u32_e32 0x7f, v1
	s_cbranch_execz .LBB399_945
; %bb.942:                              ;   in Loop: Header=BB399_11 Depth=1
	v_mov_b32_e32 v35, v9
	v_lshrrev_b32_e32 v0, 3, v1
	v_mov_b32_e32 v34, v8
	s_mov_b32 s24, exec_lo
	v_cmpx_gt_u32_e32 8, v1
; %bb.943:                              ;   in Loop: Header=BB399_11 Depth=1
	v_and_b32_e32 v0, 7, v33
	v_ffbh_u32_e32 v0, v0
	v_min_u32_e32 v0, 32, v0
	v_subrev_nc_u32_e32 v1, 28, v0
	v_sub_nc_u32_e32 v0, 29, v0
	v_lshlrev_b64 v[34:35], v1, v[8:9]
; %bb.944:                              ;   in Loop: Header=BB399_11 Depth=1
	s_or_b32 exec_lo, exec_lo, s24
	v_lshlrev_b32_e32 v1, 20, v34
	v_lshlrev_b32_e32 v2, 24, v8
	v_lshl_add_u32 v0, v0, 23, 0x3c000000
	v_and_b32_e32 v1, 0x700000, v1
	v_and_b32_e32 v2, 0x80000000, v2
	v_or3_b32 v0, v1, v2, v0
	buffer_store_dword v0, off, s[0:3], s32 offset:636 ; 4-byte Folded Spill
.LBB399_945:                            ;   in Loop: Header=BB399_11 Depth=1
	s_or_b32 exec_lo, exec_lo, s23
.LBB399_946:                            ;   in Loop: Header=BB399_11 Depth=1
	s_or_b32 exec_lo, exec_lo, s17
.LBB399_947:                            ;   in Loop: Header=BB399_11 Depth=1
	s_or_b32 exec_lo, exec_lo, s6
	v_mov_b32_e32 v0, 0
	v_cmp_ne_u16_sdwa s5, v8, v9 src0_sel:BYTE_1 src1_sel:DWORD
	buffer_store_dword v0, off, s[0:3], s32 offset:640 ; 4-byte Folded Spill
	v_mov_b32_e32 v0, 0
	buffer_store_dword v0, off, s[0:3], s32 offset:644 ; 4-byte Folded Spill
	s_and_saveexec_b32 s6, s5
	s_cbranch_execz .LBB399_955
; %bb.948:                              ;   in Loop: Header=BB399_11 Depth=1
	v_cmp_ne_u16_sdwa s5, v8, v41 src0_sel:BYTE_1 src1_sel:DWORD
	v_bfrev_b32_e32 v0, 1
	buffer_store_dword v0, off, s[0:3], s32 offset:644 ; 4-byte Folded Spill
	s_and_saveexec_b32 s17, s5
	s_cbranch_execz .LBB399_954
; %bb.949:                              ;   in Loop: Header=BB399_11 Depth=1
	v_mov_b32_e32 v0, 0xffff
	v_mov_b32_e32 v2, 0x7f800001
	s_mov_b32 s23, exec_lo
	v_and_b32_sdwa v0, v0, v8 dst_sel:DWORD dst_unused:UNUSED_PAD src0_sel:DWORD src1_sel:BYTE_1
	buffer_store_dword v2, off, s[0:3], s32 offset:644 ; 4-byte Folded Spill
	v_and_b32_e32 v1, 0x7f, v0
	v_cmpx_ne_u32_e32 0x7f, v1
	s_cbranch_execz .LBB399_953
; %bb.950:                              ;   in Loop: Header=BB399_11 Depth=1
	v_and_b32_e32 v34, 7, v0
	v_mov_b32_e32 v35, v9
	v_lshrrev_b32_e32 v0, 3, v1
	s_mov_b32 s24, exec_lo
	v_cmpx_gt_u32_e32 8, v1
; %bb.951:                              ;   in Loop: Header=BB399_11 Depth=1
	v_ffbh_u32_e32 v0, v34
	v_min_u32_e32 v0, 32, v0
	v_subrev_nc_u32_e32 v1, 28, v0
	v_sub_nc_u32_e32 v0, 29, v0
	v_lshlrev_b64 v[1:2], v1, v[34:35]
	v_and_b32_e32 v34, 7, v1
; %bb.952:                              ;   in Loop: Header=BB399_11 Depth=1
	s_or_b32 exec_lo, exec_lo, s24
	v_lshlrev_b32_e32 v1, 16, v8
	v_lshlrev_b32_e32 v2, 20, v34
	v_lshl_add_u32 v0, v0, 23, 0x3c000000
	v_and_b32_e32 v1, 0x80000000, v1
	v_or3_b32 v0, v2, v1, v0
	buffer_store_dword v0, off, s[0:3], s32 offset:644 ; 4-byte Folded Spill
.LBB399_953:                            ;   in Loop: Header=BB399_11 Depth=1
	s_or_b32 exec_lo, exec_lo, s23
.LBB399_954:                            ;   in Loop: Header=BB399_11 Depth=1
	s_or_b32 exec_lo, exec_lo, s17
.LBB399_955:                            ;   in Loop: Header=BB399_11 Depth=1
	s_or_b32 exec_lo, exec_lo, s6
	v_mov_b32_e32 v0, 0xff
	s_mov_b32 s6, exec_lo
	v_and_b32_sdwa v0, v33, v0 dst_sel:DWORD dst_unused:UNUSED_PAD src0_sel:WORD_1 src1_sel:DWORD
	v_cmpx_ne_u16_e32 0, v0
	s_cbranch_execz .LBB399_963
; %bb.956:                              ;   in Loop: Header=BB399_11 Depth=1
	v_cmp_ne_u16_e64 s5, 0x80, v0
	v_bfrev_b32_e32 v0, 1
	buffer_store_dword v0, off, s[0:3], s32 offset:640 ; 4-byte Folded Spill
	s_and_saveexec_b32 s17, s5
	s_cbranch_execz .LBB399_962
; %bb.957:                              ;   in Loop: Header=BB399_11 Depth=1
	v_bfe_u32 v1, v33, 16, 7
	v_mov_b32_e32 v0, 0x7f800001
	s_mov_b32 s23, exec_lo
	buffer_store_dword v0, off, s[0:3], s32 offset:640 ; 4-byte Folded Spill
	v_cmpx_ne_u32_e32 0x7f, v1
	s_cbranch_execz .LBB399_961
; %bb.958:                              ;   in Loop: Header=BB399_11 Depth=1
	v_mov_b32_e32 v0, 7
	s_mov_b32 s24, exec_lo
	v_and_b32_sdwa v8, v33, v0 dst_sel:DWORD dst_unused:UNUSED_PAD src0_sel:WORD_1 src1_sel:DWORD
	v_mov_b32_e32 v35, v9
	v_lshrrev_b32_e32 v0, 3, v1
	v_mov_b32_e32 v34, v8
	v_cmpx_gt_u32_e32 8, v1
; %bb.959:                              ;   in Loop: Header=BB399_11 Depth=1
	v_ffbh_u32_e32 v0, v8
	v_min_u32_e32 v0, 32, v0
	v_subrev_nc_u32_e32 v1, 28, v0
	v_sub_nc_u32_e32 v0, 29, v0
	v_lshlrev_b64 v[1:2], v1, v[8:9]
	v_and_b32_e32 v34, 7, v1
; %bb.960:                              ;   in Loop: Header=BB399_11 Depth=1
	s_or_b32 exec_lo, exec_lo, s24
	v_mov_b32_e32 v1, 24
	v_lshlrev_b32_e32 v2, 20, v34
	v_lshl_add_u32 v0, v0, 23, 0x3c000000
	v_lshlrev_b32_sdwa v1, v1, v33 dst_sel:DWORD dst_unused:UNUSED_PAD src0_sel:DWORD src1_sel:WORD_1
	v_and_b32_e32 v1, 0x80000000, v1
	v_or3_b32 v0, v2, v1, v0
	buffer_store_dword v0, off, s[0:3], s32 offset:640 ; 4-byte Folded Spill
.LBB399_961:                            ;   in Loop: Header=BB399_11 Depth=1
	s_or_b32 exec_lo, exec_lo, s23
.LBB399_962:                            ;   in Loop: Header=BB399_11 Depth=1
	s_or_b32 exec_lo, exec_lo, s17
.LBB399_963:                            ;   in Loop: Header=BB399_11 Depth=1
	s_or_b32 exec_lo, exec_lo, s6
	v_mov_b32_e32 v0, 0
	s_mov_b32 s6, exec_lo
	buffer_store_dword v0, off, s[0:3], s32 offset:652 ; 4-byte Folded Spill
	v_mov_b32_e32 v0, 0
	buffer_store_dword v0, off, s[0:3], s32 offset:648 ; 4-byte Folded Spill
	v_cmpx_lt_u64_e64 s[8:9], v[32:33]
	s_cbranch_execz .LBB399_971
; %bb.964:                              ;   in Loop: Header=BB399_11 Depth=1
	v_cmp_ne_u32_sdwa s5, v33, v41 src0_sel:BYTE_3 src1_sel:DWORD
	v_bfrev_b32_e32 v0, 1
	buffer_store_dword v0, off, s[0:3], s32 offset:648 ; 4-byte Folded Spill
	s_and_saveexec_b32 s17, s5
	s_cbranch_execz .LBB399_970
; %bb.965:                              ;   in Loop: Header=BB399_11 Depth=1
	v_bfe_u32 v1, v33, 24, 7
	v_mov_b32_e32 v0, 0x7f800001
	s_mov_b32 s23, exec_lo
	buffer_store_dword v0, off, s[0:3], s32 offset:648 ; 4-byte Folded Spill
	v_cmpx_ne_u32_e32 0x7f, v1
	s_cbranch_execz .LBB399_969
; %bb.966:                              ;   in Loop: Header=BB399_11 Depth=1
	v_mov_b32_e32 v0, 7
	s_mov_b32 s24, exec_lo
	v_and_b32_sdwa v8, v33, v0 dst_sel:DWORD dst_unused:UNUSED_PAD src0_sel:BYTE_3 src1_sel:DWORD
	v_mov_b32_e32 v35, v9
	v_lshrrev_b32_e32 v0, 3, v1
	v_mov_b32_e32 v34, v8
	v_cmpx_gt_u32_e32 8, v1
; %bb.967:                              ;   in Loop: Header=BB399_11 Depth=1
	v_ffbh_u32_e32 v0, v8
	v_min_u32_e32 v0, 32, v0
	v_subrev_nc_u32_e32 v1, 28, v0
	v_sub_nc_u32_e32 v0, 29, v0
	v_lshlrev_b64 v[1:2], v1, v[8:9]
	v_and_b32_e32 v34, 7, v1
; %bb.968:                              ;   in Loop: Header=BB399_11 Depth=1
	s_or_b32 exec_lo, exec_lo, s24
	v_mov_b32_e32 v1, 24
	v_lshlrev_b32_e32 v2, 20, v34
	v_lshl_add_u32 v0, v0, 23, 0x3c000000
	v_lshlrev_b32_sdwa v1, v1, v33 dst_sel:DWORD dst_unused:UNUSED_PAD src0_sel:DWORD src1_sel:BYTE_3
	v_and_b32_e32 v1, 0x80000000, v1
	v_or3_b32 v0, v2, v1, v0
	buffer_store_dword v0, off, s[0:3], s32 offset:648 ; 4-byte Folded Spill
.LBB399_969:                            ;   in Loop: Header=BB399_11 Depth=1
	s_or_b32 exec_lo, exec_lo, s23
.LBB399_970:                            ;   in Loop: Header=BB399_11 Depth=1
	s_or_b32 exec_lo, exec_lo, s17
.LBB399_971:                            ;   in Loop: Header=BB399_11 Depth=1
	s_or_b32 exec_lo, exec_lo, s6
	flat_load_dwordx2 v[30:31], v[30:31] offset:1544
	s_waitcnt vmcnt(0) lgkmcnt(0)
	v_cmp_ne_u16_sdwa s5, v30, v9 src0_sel:BYTE_0 src1_sel:DWORD
	s_and_saveexec_b32 s6, s5
	s_cbranch_execz .LBB399_979
; %bb.972:                              ;   in Loop: Header=BB399_11 Depth=1
	v_cmp_ne_u16_sdwa s5, v30, v41 src0_sel:BYTE_0 src1_sel:DWORD
	v_bfrev_b32_e32 v0, 1
	buffer_store_dword v0, off, s[0:3], s32 offset:652 ; 4-byte Folded Spill
	s_and_saveexec_b32 s17, s5
	s_cbranch_execz .LBB399_978
; %bb.973:                              ;   in Loop: Header=BB399_11 Depth=1
	v_and_b32_e32 v1, 0x7f, v30
	v_mov_b32_e32 v0, 0x7f800001
	s_mov_b32 s23, exec_lo
	buffer_store_dword v0, off, s[0:3], s32 offset:652 ; 4-byte Folded Spill
	v_cmpx_ne_u32_e32 0x7f, v1
	s_cbranch_execz .LBB399_977
; %bb.974:                              ;   in Loop: Header=BB399_11 Depth=1
	v_mov_b32_e32 v33, v31
	v_lshrrev_b32_e32 v0, 3, v1
	v_mov_b32_e32 v32, v30
	s_mov_b32 s24, exec_lo
	v_cmpx_gt_u32_e32 8, v1
; %bb.975:                              ;   in Loop: Header=BB399_11 Depth=1
	v_and_b32_e32 v0, 7, v30
	v_ffbh_u32_e32 v0, v0
	v_min_u32_e32 v0, 32, v0
	v_subrev_nc_u32_e32 v1, 28, v0
	v_sub_nc_u32_e32 v0, 29, v0
	v_lshlrev_b64 v[32:33], v1, v[30:31]
; %bb.976:                              ;   in Loop: Header=BB399_11 Depth=1
	s_or_b32 exec_lo, exec_lo, s24
	v_lshlrev_b32_e32 v1, 20, v32
	v_lshlrev_b32_e32 v2, 24, v30
	v_lshl_add_u32 v0, v0, 23, 0x3c000000
	v_and_b32_e32 v1, 0x700000, v1
	v_and_b32_e32 v2, 0x80000000, v2
	v_or3_b32 v0, v1, v2, v0
	buffer_store_dword v0, off, s[0:3], s32 offset:652 ; 4-byte Folded Spill
.LBB399_977:                            ;   in Loop: Header=BB399_11 Depth=1
	s_or_b32 exec_lo, exec_lo, s23
.LBB399_978:                            ;   in Loop: Header=BB399_11 Depth=1
	s_or_b32 exec_lo, exec_lo, s17
.LBB399_979:                            ;   in Loop: Header=BB399_11 Depth=1
	s_or_b32 exec_lo, exec_lo, s6
	v_mov_b32_e32 v0, 0
	v_cmp_ne_u16_sdwa s5, v30, v9 src0_sel:BYTE_1 src1_sel:DWORD
	buffer_store_dword v0, off, s[0:3], s32 offset:660 ; 4-byte Folded Spill
	v_mov_b32_e32 v0, 0
	buffer_store_dword v0, off, s[0:3], s32 offset:656 ; 4-byte Folded Spill
	s_and_saveexec_b32 s6, s5
	s_cbranch_execz .LBB399_987
; %bb.980:                              ;   in Loop: Header=BB399_11 Depth=1
	v_cmp_ne_u16_sdwa s5, v30, v41 src0_sel:BYTE_1 src1_sel:DWORD
	v_bfrev_b32_e32 v0, 1
	buffer_store_dword v0, off, s[0:3], s32 offset:656 ; 4-byte Folded Spill
	s_and_saveexec_b32 s17, s5
	s_cbranch_execz .LBB399_986
; %bb.981:                              ;   in Loop: Header=BB399_11 Depth=1
	v_mov_b32_e32 v0, 0xffff
	v_mov_b32_e32 v2, 0x7f800001
	s_mov_b32 s23, exec_lo
	v_and_b32_sdwa v0, v0, v30 dst_sel:DWORD dst_unused:UNUSED_PAD src0_sel:DWORD src1_sel:BYTE_1
	buffer_store_dword v2, off, s[0:3], s32 offset:656 ; 4-byte Folded Spill
	v_and_b32_e32 v1, 0x7f, v0
	v_cmpx_ne_u32_e32 0x7f, v1
	s_cbranch_execz .LBB399_985
; %bb.982:                              ;   in Loop: Header=BB399_11 Depth=1
	v_and_b32_e32 v8, 7, v0
	v_mov_b32_e32 v33, v9
	v_lshrrev_b32_e32 v0, 3, v1
	s_mov_b32 s24, exec_lo
	v_mov_b32_e32 v32, v8
	v_cmpx_gt_u32_e32 8, v1
; %bb.983:                              ;   in Loop: Header=BB399_11 Depth=1
	v_ffbh_u32_e32 v0, v8
	v_min_u32_e32 v0, 32, v0
	v_subrev_nc_u32_e32 v1, 28, v0
	v_sub_nc_u32_e32 v0, 29, v0
	v_lshlrev_b64 v[1:2], v1, v[8:9]
	v_and_b32_e32 v32, 7, v1
; %bb.984:                              ;   in Loop: Header=BB399_11 Depth=1
	s_or_b32 exec_lo, exec_lo, s24
	v_lshlrev_b32_e32 v1, 16, v30
	v_lshlrev_b32_e32 v2, 20, v32
	v_lshl_add_u32 v0, v0, 23, 0x3c000000
	v_and_b32_e32 v1, 0x80000000, v1
	v_or3_b32 v0, v2, v1, v0
	buffer_store_dword v0, off, s[0:3], s32 offset:656 ; 4-byte Folded Spill
.LBB399_985:                            ;   in Loop: Header=BB399_11 Depth=1
	s_or_b32 exec_lo, exec_lo, s23
.LBB399_986:                            ;   in Loop: Header=BB399_11 Depth=1
	s_or_b32 exec_lo, exec_lo, s17
.LBB399_987:                            ;   in Loop: Header=BB399_11 Depth=1
	s_or_b32 exec_lo, exec_lo, s6
	v_mov_b32_e32 v0, 0xff
	s_mov_b32 s6, exec_lo
	v_and_b32_sdwa v0, v30, v0 dst_sel:DWORD dst_unused:UNUSED_PAD src0_sel:WORD_1 src1_sel:DWORD
	v_cmpx_ne_u16_e32 0, v0
	s_cbranch_execz .LBB399_995
; %bb.988:                              ;   in Loop: Header=BB399_11 Depth=1
	v_cmp_ne_u16_e64 s5, 0x80, v0
	v_bfrev_b32_e32 v0, 1
	buffer_store_dword v0, off, s[0:3], s32 offset:660 ; 4-byte Folded Spill
	s_and_saveexec_b32 s17, s5
	s_cbranch_execz .LBB399_994
; %bb.989:                              ;   in Loop: Header=BB399_11 Depth=1
	v_bfe_u32 v1, v30, 16, 7
	v_mov_b32_e32 v0, 0x7f800001
	s_mov_b32 s23, exec_lo
	buffer_store_dword v0, off, s[0:3], s32 offset:660 ; 4-byte Folded Spill
	v_cmpx_ne_u32_e32 0x7f, v1
	s_cbranch_execz .LBB399_993
; %bb.990:                              ;   in Loop: Header=BB399_11 Depth=1
	v_mov_b32_e32 v0, 7
	s_mov_b32 s24, exec_lo
	v_and_b32_sdwa v8, v30, v0 dst_sel:DWORD dst_unused:UNUSED_PAD src0_sel:WORD_1 src1_sel:DWORD
	v_mov_b32_e32 v33, v9
	v_lshrrev_b32_e32 v0, 3, v1
	v_mov_b32_e32 v32, v8
	v_cmpx_gt_u32_e32 8, v1
; %bb.991:                              ;   in Loop: Header=BB399_11 Depth=1
	v_ffbh_u32_e32 v0, v8
	v_min_u32_e32 v0, 32, v0
	v_subrev_nc_u32_e32 v1, 28, v0
	v_sub_nc_u32_e32 v0, 29, v0
	v_lshlrev_b64 v[1:2], v1, v[8:9]
	v_and_b32_e32 v32, 7, v1
; %bb.992:                              ;   in Loop: Header=BB399_11 Depth=1
	s_or_b32 exec_lo, exec_lo, s24
	v_mov_b32_e32 v1, 24
	v_lshlrev_b32_e32 v2, 20, v32
	v_lshl_add_u32 v0, v0, 23, 0x3c000000
	v_lshlrev_b32_sdwa v1, v1, v30 dst_sel:DWORD dst_unused:UNUSED_PAD src0_sel:DWORD src1_sel:WORD_1
	v_and_b32_e32 v1, 0x80000000, v1
	v_or3_b32 v0, v2, v1, v0
	buffer_store_dword v0, off, s[0:3], s32 offset:660 ; 4-byte Folded Spill
.LBB399_993:                            ;   in Loop: Header=BB399_11 Depth=1
	s_or_b32 exec_lo, exec_lo, s23
.LBB399_994:                            ;   in Loop: Header=BB399_11 Depth=1
	s_or_b32 exec_lo, exec_lo, s17
.LBB399_995:                            ;   in Loop: Header=BB399_11 Depth=1
	s_or_b32 exec_lo, exec_lo, s6
	v_mov_b32_e32 v0, 0
	s_mov_b32 s6, exec_lo
	buffer_store_dword v0, off, s[0:3], s32 offset:664 ; 4-byte Folded Spill
	v_mov_b32_e32 v0, 0
	buffer_store_dword v0, off, s[0:3], s32 offset:668 ; 4-byte Folded Spill
	v_cmpx_lt_u32_e32 0xffffff, v30
	s_cbranch_execz .LBB399_1003
; %bb.996:                              ;   in Loop: Header=BB399_11 Depth=1
	v_cmp_ne_u32_sdwa s5, v30, v41 src0_sel:BYTE_3 src1_sel:DWORD
	v_bfrev_b32_e32 v0, 1
	buffer_store_dword v0, off, s[0:3], s32 offset:668 ; 4-byte Folded Spill
	s_and_saveexec_b32 s17, s5
	s_cbranch_execz .LBB399_1002
; %bb.997:                              ;   in Loop: Header=BB399_11 Depth=1
	v_bfe_u32 v1, v30, 24, 7
	v_mov_b32_e32 v0, 0x7f800001
	s_mov_b32 s23, exec_lo
	buffer_store_dword v0, off, s[0:3], s32 offset:668 ; 4-byte Folded Spill
	v_cmpx_ne_u32_e32 0x7f, v1
	s_cbranch_execz .LBB399_1001
; %bb.998:                              ;   in Loop: Header=BB399_11 Depth=1
	v_mov_b32_e32 v0, 7
	s_mov_b32 s24, exec_lo
	v_and_b32_sdwa v8, v30, v0 dst_sel:DWORD dst_unused:UNUSED_PAD src0_sel:BYTE_3 src1_sel:DWORD
	v_mov_b32_e32 v33, v9
	v_lshrrev_b32_e32 v0, 3, v1
	v_mov_b32_e32 v32, v8
	v_cmpx_gt_u32_e32 8, v1
; %bb.999:                              ;   in Loop: Header=BB399_11 Depth=1
	v_ffbh_u32_e32 v0, v8
	v_min_u32_e32 v0, 32, v0
	v_subrev_nc_u32_e32 v1, 28, v0
	v_sub_nc_u32_e32 v0, 29, v0
	v_lshlrev_b64 v[1:2], v1, v[8:9]
	v_and_b32_e32 v32, 7, v1
; %bb.1000:                             ;   in Loop: Header=BB399_11 Depth=1
	s_or_b32 exec_lo, exec_lo, s24
	v_mov_b32_e32 v1, 24
	v_lshlrev_b32_e32 v2, 20, v32
	v_lshl_add_u32 v0, v0, 23, 0x3c000000
	v_lshlrev_b32_sdwa v1, v1, v30 dst_sel:DWORD dst_unused:UNUSED_PAD src0_sel:DWORD src1_sel:BYTE_3
	v_and_b32_e32 v1, 0x80000000, v1
	v_or3_b32 v0, v2, v1, v0
	buffer_store_dword v0, off, s[0:3], s32 offset:668 ; 4-byte Folded Spill
.LBB399_1001:                           ;   in Loop: Header=BB399_11 Depth=1
	s_or_b32 exec_lo, exec_lo, s23
.LBB399_1002:                           ;   in Loop: Header=BB399_11 Depth=1
	s_or_b32 exec_lo, exec_lo, s17
.LBB399_1003:                           ;   in Loop: Header=BB399_11 Depth=1
	s_or_b32 exec_lo, exec_lo, s6
	v_mov_b32_e32 v8, v31
	v_cmp_ne_u16_sdwa s5, v31, v9 src0_sel:BYTE_0 src1_sel:DWORD
	s_and_saveexec_b32 s6, s5
	s_cbranch_execz .LBB399_1011
; %bb.1004:                             ;   in Loop: Header=BB399_11 Depth=1
	v_cmp_ne_u16_sdwa s5, v31, v41 src0_sel:BYTE_0 src1_sel:DWORD
	v_bfrev_b32_e32 v0, 1
	buffer_store_dword v0, off, s[0:3], s32 offset:664 ; 4-byte Folded Spill
	s_and_saveexec_b32 s17, s5
	s_cbranch_execz .LBB399_1010
; %bb.1005:                             ;   in Loop: Header=BB399_11 Depth=1
	v_and_b32_e32 v1, 0x7f, v31
	v_mov_b32_e32 v0, 0x7f800001
	s_mov_b32 s23, exec_lo
	buffer_store_dword v0, off, s[0:3], s32 offset:664 ; 4-byte Folded Spill
	v_cmpx_ne_u32_e32 0x7f, v1
	s_cbranch_execz .LBB399_1009
; %bb.1006:                             ;   in Loop: Header=BB399_11 Depth=1
	v_mov_b32_e32 v33, v9
	v_mov_b32_e32 v32, v8
	v_lshrrev_b32_e32 v0, 3, v1
	s_mov_b32 s24, exec_lo
	v_cmpx_gt_u32_e32 8, v1
; %bb.1007:                             ;   in Loop: Header=BB399_11 Depth=1
	v_and_b32_e32 v0, 7, v31
	v_ffbh_u32_e32 v0, v0
	v_min_u32_e32 v0, 32, v0
	v_subrev_nc_u32_e32 v1, 28, v0
	v_sub_nc_u32_e32 v0, 29, v0
	v_lshlrev_b64 v[32:33], v1, v[8:9]
; %bb.1008:                             ;   in Loop: Header=BB399_11 Depth=1
	s_or_b32 exec_lo, exec_lo, s24
	v_lshlrev_b32_e32 v1, 20, v32
	v_lshlrev_b32_e32 v2, 24, v8
	v_lshl_add_u32 v0, v0, 23, 0x3c000000
	v_and_b32_e32 v1, 0x700000, v1
	v_and_b32_e32 v2, 0x80000000, v2
	v_or3_b32 v0, v1, v2, v0
	buffer_store_dword v0, off, s[0:3], s32 offset:664 ; 4-byte Folded Spill
.LBB399_1009:                           ;   in Loop: Header=BB399_11 Depth=1
	s_or_b32 exec_lo, exec_lo, s23
.LBB399_1010:                           ;   in Loop: Header=BB399_11 Depth=1
	s_or_b32 exec_lo, exec_lo, s17
.LBB399_1011:                           ;   in Loop: Header=BB399_11 Depth=1
	s_or_b32 exec_lo, exec_lo, s6
	v_mov_b32_e32 v0, 0
	v_cmp_ne_u16_sdwa s5, v8, v9 src0_sel:BYTE_1 src1_sel:DWORD
	buffer_store_dword v0, off, s[0:3], s32 offset:672 ; 4-byte Folded Spill
	v_mov_b32_e32 v0, 0
	buffer_store_dword v0, off, s[0:3], s32 offset:676 ; 4-byte Folded Spill
	s_and_saveexec_b32 s6, s5
	s_cbranch_execz .LBB399_1019
; %bb.1012:                             ;   in Loop: Header=BB399_11 Depth=1
	v_cmp_ne_u16_sdwa s5, v8, v41 src0_sel:BYTE_1 src1_sel:DWORD
	v_bfrev_b32_e32 v0, 1
	buffer_store_dword v0, off, s[0:3], s32 offset:676 ; 4-byte Folded Spill
	s_and_saveexec_b32 s17, s5
	s_cbranch_execz .LBB399_1018
; %bb.1013:                             ;   in Loop: Header=BB399_11 Depth=1
	v_mov_b32_e32 v0, 0xffff
	v_mov_b32_e32 v2, 0x7f800001
	s_mov_b32 s23, exec_lo
	v_and_b32_sdwa v0, v0, v8 dst_sel:DWORD dst_unused:UNUSED_PAD src0_sel:DWORD src1_sel:BYTE_1
	buffer_store_dword v2, off, s[0:3], s32 offset:676 ; 4-byte Folded Spill
	v_and_b32_e32 v1, 0x7f, v0
	v_cmpx_ne_u32_e32 0x7f, v1
	s_cbranch_execz .LBB399_1017
; %bb.1014:                             ;   in Loop: Header=BB399_11 Depth=1
	v_and_b32_e32 v32, 7, v0
	v_mov_b32_e32 v33, v9
	v_lshrrev_b32_e32 v0, 3, v1
	s_mov_b32 s24, exec_lo
	v_cmpx_gt_u32_e32 8, v1
; %bb.1015:                             ;   in Loop: Header=BB399_11 Depth=1
	v_ffbh_u32_e32 v0, v32
	v_min_u32_e32 v0, 32, v0
	v_subrev_nc_u32_e32 v1, 28, v0
	v_sub_nc_u32_e32 v0, 29, v0
	v_lshlrev_b64 v[1:2], v1, v[32:33]
	v_and_b32_e32 v32, 7, v1
; %bb.1016:                             ;   in Loop: Header=BB399_11 Depth=1
	s_or_b32 exec_lo, exec_lo, s24
	v_lshlrev_b32_e32 v1, 16, v8
	v_lshlrev_b32_e32 v2, 20, v32
	v_lshl_add_u32 v0, v0, 23, 0x3c000000
	v_and_b32_e32 v1, 0x80000000, v1
	v_or3_b32 v0, v2, v1, v0
	buffer_store_dword v0, off, s[0:3], s32 offset:676 ; 4-byte Folded Spill
.LBB399_1017:                           ;   in Loop: Header=BB399_11 Depth=1
	s_or_b32 exec_lo, exec_lo, s23
.LBB399_1018:                           ;   in Loop: Header=BB399_11 Depth=1
	s_or_b32 exec_lo, exec_lo, s17
.LBB399_1019:                           ;   in Loop: Header=BB399_11 Depth=1
	s_or_b32 exec_lo, exec_lo, s6
	v_mov_b32_e32 v0, 0xff
	s_mov_b32 s6, exec_lo
	v_and_b32_sdwa v0, v31, v0 dst_sel:DWORD dst_unused:UNUSED_PAD src0_sel:WORD_1 src1_sel:DWORD
	v_cmpx_ne_u16_e32 0, v0
	s_cbranch_execz .LBB399_1027
; %bb.1020:                             ;   in Loop: Header=BB399_11 Depth=1
	v_cmp_ne_u16_e64 s5, 0x80, v0
	v_bfrev_b32_e32 v0, 1
	buffer_store_dword v0, off, s[0:3], s32 offset:672 ; 4-byte Folded Spill
	s_and_saveexec_b32 s17, s5
	s_cbranch_execz .LBB399_1026
; %bb.1021:                             ;   in Loop: Header=BB399_11 Depth=1
	v_bfe_u32 v1, v31, 16, 7
	v_mov_b32_e32 v0, 0x7f800001
	s_mov_b32 s23, exec_lo
	buffer_store_dword v0, off, s[0:3], s32 offset:672 ; 4-byte Folded Spill
	v_cmpx_ne_u32_e32 0x7f, v1
	s_cbranch_execz .LBB399_1025
; %bb.1022:                             ;   in Loop: Header=BB399_11 Depth=1
	v_mov_b32_e32 v0, 7
	s_mov_b32 s24, exec_lo
	v_and_b32_sdwa v8, v31, v0 dst_sel:DWORD dst_unused:UNUSED_PAD src0_sel:WORD_1 src1_sel:DWORD
	v_mov_b32_e32 v33, v9
	v_lshrrev_b32_e32 v0, 3, v1
	v_mov_b32_e32 v32, v8
	v_cmpx_gt_u32_e32 8, v1
; %bb.1023:                             ;   in Loop: Header=BB399_11 Depth=1
	v_ffbh_u32_e32 v0, v8
	v_min_u32_e32 v0, 32, v0
	v_subrev_nc_u32_e32 v1, 28, v0
	v_sub_nc_u32_e32 v0, 29, v0
	v_lshlrev_b64 v[1:2], v1, v[8:9]
	v_and_b32_e32 v32, 7, v1
; %bb.1024:                             ;   in Loop: Header=BB399_11 Depth=1
	s_or_b32 exec_lo, exec_lo, s24
	v_mov_b32_e32 v1, 24
	v_lshlrev_b32_e32 v2, 20, v32
	v_lshl_add_u32 v0, v0, 23, 0x3c000000
	v_lshlrev_b32_sdwa v1, v1, v31 dst_sel:DWORD dst_unused:UNUSED_PAD src0_sel:DWORD src1_sel:WORD_1
	v_and_b32_e32 v1, 0x80000000, v1
	v_or3_b32 v0, v2, v1, v0
	buffer_store_dword v0, off, s[0:3], s32 offset:672 ; 4-byte Folded Spill
.LBB399_1025:                           ;   in Loop: Header=BB399_11 Depth=1
	s_or_b32 exec_lo, exec_lo, s23
.LBB399_1026:                           ;   in Loop: Header=BB399_11 Depth=1
	s_or_b32 exec_lo, exec_lo, s17
.LBB399_1027:                           ;   in Loop: Header=BB399_11 Depth=1
	s_or_b32 exec_lo, exec_lo, s6
	v_mov_b32_e32 v0, 0
	s_mov_b32 s6, exec_lo
	buffer_store_dword v0, off, s[0:3], s32 offset:684 ; 4-byte Folded Spill
	v_mov_b32_e32 v0, 0
	buffer_store_dword v0, off, s[0:3], s32 offset:680 ; 4-byte Folded Spill
	v_cmpx_lt_u64_e64 s[8:9], v[30:31]
	s_cbranch_execz .LBB399_1035
; %bb.1028:                             ;   in Loop: Header=BB399_11 Depth=1
	v_cmp_ne_u32_sdwa s5, v31, v41 src0_sel:BYTE_3 src1_sel:DWORD
	v_bfrev_b32_e32 v0, 1
	buffer_store_dword v0, off, s[0:3], s32 offset:680 ; 4-byte Folded Spill
	s_and_saveexec_b32 s17, s5
	s_cbranch_execz .LBB399_1034
; %bb.1029:                             ;   in Loop: Header=BB399_11 Depth=1
	v_bfe_u32 v1, v31, 24, 7
	v_mov_b32_e32 v0, 0x7f800001
	s_mov_b32 s23, exec_lo
	buffer_store_dword v0, off, s[0:3], s32 offset:680 ; 4-byte Folded Spill
	v_cmpx_ne_u32_e32 0x7f, v1
	s_cbranch_execz .LBB399_1033
; %bb.1030:                             ;   in Loop: Header=BB399_11 Depth=1
	v_mov_b32_e32 v0, 7
	s_mov_b32 s24, exec_lo
	v_and_b32_sdwa v8, v31, v0 dst_sel:DWORD dst_unused:UNUSED_PAD src0_sel:BYTE_3 src1_sel:DWORD
	v_mov_b32_e32 v33, v9
	v_lshrrev_b32_e32 v0, 3, v1
	v_mov_b32_e32 v32, v8
	v_cmpx_gt_u32_e32 8, v1
; %bb.1031:                             ;   in Loop: Header=BB399_11 Depth=1
	v_ffbh_u32_e32 v0, v8
	v_min_u32_e32 v0, 32, v0
	v_subrev_nc_u32_e32 v1, 28, v0
	v_sub_nc_u32_e32 v0, 29, v0
	v_lshlrev_b64 v[1:2], v1, v[8:9]
	v_and_b32_e32 v32, 7, v1
; %bb.1032:                             ;   in Loop: Header=BB399_11 Depth=1
	s_or_b32 exec_lo, exec_lo, s24
	v_mov_b32_e32 v1, 24
	v_lshlrev_b32_e32 v2, 20, v32
	v_lshl_add_u32 v0, v0, 23, 0x3c000000
	v_lshlrev_b32_sdwa v1, v1, v31 dst_sel:DWORD dst_unused:UNUSED_PAD src0_sel:DWORD src1_sel:BYTE_3
	v_and_b32_e32 v1, 0x80000000, v1
	v_or3_b32 v0, v2, v1, v0
	buffer_store_dword v0, off, s[0:3], s32 offset:680 ; 4-byte Folded Spill
.LBB399_1033:                           ;   in Loop: Header=BB399_11 Depth=1
	s_or_b32 exec_lo, exec_lo, s23
.LBB399_1034:                           ;   in Loop: Header=BB399_11 Depth=1
	s_or_b32 exec_lo, exec_lo, s17
.LBB399_1035:                           ;   in Loop: Header=BB399_11 Depth=1
	s_or_b32 exec_lo, exec_lo, s6
	v_add_co_u32 v30, s5, 0x1000, v28
	v_add_co_ci_u32_e64 v31, null, 0, v29, s5
	flat_load_dwordx2 v[32:33], v[30:31]
	s_waitcnt vmcnt(0) lgkmcnt(0)
	v_cmp_ne_u16_sdwa s5, v32, v9 src0_sel:BYTE_0 src1_sel:DWORD
	s_and_saveexec_b32 s6, s5
	s_cbranch_execz .LBB399_1043
; %bb.1036:                             ;   in Loop: Header=BB399_11 Depth=1
	v_cmp_ne_u16_sdwa s5, v32, v41 src0_sel:BYTE_0 src1_sel:DWORD
	v_bfrev_b32_e32 v0, 1
	buffer_store_dword v0, off, s[0:3], s32 offset:684 ; 4-byte Folded Spill
	s_and_saveexec_b32 s17, s5
	s_cbranch_execz .LBB399_1042
; %bb.1037:                             ;   in Loop: Header=BB399_11 Depth=1
	v_and_b32_e32 v1, 0x7f, v32
	v_mov_b32_e32 v0, 0x7f800001
	s_mov_b32 s23, exec_lo
	buffer_store_dword v0, off, s[0:3], s32 offset:684 ; 4-byte Folded Spill
	v_cmpx_ne_u32_e32 0x7f, v1
	s_cbranch_execz .LBB399_1041
; %bb.1038:                             ;   in Loop: Header=BB399_11 Depth=1
	v_mov_b32_e32 v35, v33
	v_lshrrev_b32_e32 v0, 3, v1
	v_mov_b32_e32 v34, v32
	s_mov_b32 s24, exec_lo
	v_cmpx_gt_u32_e32 8, v1
; %bb.1039:                             ;   in Loop: Header=BB399_11 Depth=1
	v_and_b32_e32 v0, 7, v32
	v_ffbh_u32_e32 v0, v0
	v_min_u32_e32 v0, 32, v0
	v_subrev_nc_u32_e32 v1, 28, v0
	v_sub_nc_u32_e32 v0, 29, v0
	v_lshlrev_b64 v[34:35], v1, v[32:33]
; %bb.1040:                             ;   in Loop: Header=BB399_11 Depth=1
	s_or_b32 exec_lo, exec_lo, s24
	v_lshlrev_b32_e32 v1, 20, v34
	v_lshlrev_b32_e32 v2, 24, v32
	v_lshl_add_u32 v0, v0, 23, 0x3c000000
	v_and_b32_e32 v1, 0x700000, v1
	v_and_b32_e32 v2, 0x80000000, v2
	v_or3_b32 v0, v1, v2, v0
	buffer_store_dword v0, off, s[0:3], s32 offset:684 ; 4-byte Folded Spill
.LBB399_1041:                           ;   in Loop: Header=BB399_11 Depth=1
	s_or_b32 exec_lo, exec_lo, s23
.LBB399_1042:                           ;   in Loop: Header=BB399_11 Depth=1
	s_or_b32 exec_lo, exec_lo, s17
.LBB399_1043:                           ;   in Loop: Header=BB399_11 Depth=1
	s_or_b32 exec_lo, exec_lo, s6
	v_mov_b32_e32 v0, 0
	v_cmp_ne_u16_sdwa s5, v32, v9 src0_sel:BYTE_1 src1_sel:DWORD
	buffer_store_dword v0, off, s[0:3], s32 offset:692 ; 4-byte Folded Spill
	v_mov_b32_e32 v0, 0
	buffer_store_dword v0, off, s[0:3], s32 offset:688 ; 4-byte Folded Spill
	s_and_saveexec_b32 s6, s5
	s_cbranch_execz .LBB399_1051
; %bb.1044:                             ;   in Loop: Header=BB399_11 Depth=1
	v_cmp_ne_u16_sdwa s5, v32, v41 src0_sel:BYTE_1 src1_sel:DWORD
	v_bfrev_b32_e32 v0, 1
	buffer_store_dword v0, off, s[0:3], s32 offset:688 ; 4-byte Folded Spill
	s_and_saveexec_b32 s17, s5
	s_cbranch_execz .LBB399_1050
; %bb.1045:                             ;   in Loop: Header=BB399_11 Depth=1
	v_mov_b32_e32 v0, 0xffff
	v_mov_b32_e32 v2, 0x7f800001
	s_mov_b32 s23, exec_lo
	v_and_b32_sdwa v0, v0, v32 dst_sel:DWORD dst_unused:UNUSED_PAD src0_sel:DWORD src1_sel:BYTE_1
	buffer_store_dword v2, off, s[0:3], s32 offset:688 ; 4-byte Folded Spill
	v_and_b32_e32 v1, 0x7f, v0
	v_cmpx_ne_u32_e32 0x7f, v1
	s_cbranch_execz .LBB399_1049
; %bb.1046:                             ;   in Loop: Header=BB399_11 Depth=1
	v_and_b32_e32 v8, 7, v0
	v_mov_b32_e32 v35, v9
	v_lshrrev_b32_e32 v0, 3, v1
	s_mov_b32 s24, exec_lo
	v_mov_b32_e32 v34, v8
	v_cmpx_gt_u32_e32 8, v1
; %bb.1047:                             ;   in Loop: Header=BB399_11 Depth=1
	v_ffbh_u32_e32 v0, v8
	v_min_u32_e32 v0, 32, v0
	v_subrev_nc_u32_e32 v1, 28, v0
	v_sub_nc_u32_e32 v0, 29, v0
	v_lshlrev_b64 v[1:2], v1, v[8:9]
	v_and_b32_e32 v34, 7, v1
; %bb.1048:                             ;   in Loop: Header=BB399_11 Depth=1
	s_or_b32 exec_lo, exec_lo, s24
	v_lshlrev_b32_e32 v1, 16, v32
	v_lshlrev_b32_e32 v2, 20, v34
	v_lshl_add_u32 v0, v0, 23, 0x3c000000
	v_and_b32_e32 v1, 0x80000000, v1
	v_or3_b32 v0, v2, v1, v0
	buffer_store_dword v0, off, s[0:3], s32 offset:688 ; 4-byte Folded Spill
.LBB399_1049:                           ;   in Loop: Header=BB399_11 Depth=1
	s_or_b32 exec_lo, exec_lo, s23
.LBB399_1050:                           ;   in Loop: Header=BB399_11 Depth=1
	s_or_b32 exec_lo, exec_lo, s17
.LBB399_1051:                           ;   in Loop: Header=BB399_11 Depth=1
	s_or_b32 exec_lo, exec_lo, s6
	v_mov_b32_e32 v0, 0xff
	s_mov_b32 s6, exec_lo
	v_and_b32_sdwa v0, v32, v0 dst_sel:DWORD dst_unused:UNUSED_PAD src0_sel:WORD_1 src1_sel:DWORD
	v_cmpx_ne_u16_e32 0, v0
	s_cbranch_execz .LBB399_1059
; %bb.1052:                             ;   in Loop: Header=BB399_11 Depth=1
	v_cmp_ne_u16_e64 s5, 0x80, v0
	v_bfrev_b32_e32 v0, 1
	buffer_store_dword v0, off, s[0:3], s32 offset:692 ; 4-byte Folded Spill
	s_and_saveexec_b32 s17, s5
	s_cbranch_execz .LBB399_1058
; %bb.1053:                             ;   in Loop: Header=BB399_11 Depth=1
	v_bfe_u32 v1, v32, 16, 7
	v_mov_b32_e32 v0, 0x7f800001
	s_mov_b32 s23, exec_lo
	buffer_store_dword v0, off, s[0:3], s32 offset:692 ; 4-byte Folded Spill
	v_cmpx_ne_u32_e32 0x7f, v1
	s_cbranch_execz .LBB399_1057
; %bb.1054:                             ;   in Loop: Header=BB399_11 Depth=1
	v_mov_b32_e32 v0, 7
	s_mov_b32 s24, exec_lo
	v_and_b32_sdwa v8, v32, v0 dst_sel:DWORD dst_unused:UNUSED_PAD src0_sel:WORD_1 src1_sel:DWORD
	v_mov_b32_e32 v35, v9
	v_lshrrev_b32_e32 v0, 3, v1
	v_mov_b32_e32 v34, v8
	v_cmpx_gt_u32_e32 8, v1
; %bb.1055:                             ;   in Loop: Header=BB399_11 Depth=1
	v_ffbh_u32_e32 v0, v8
	v_min_u32_e32 v0, 32, v0
	v_subrev_nc_u32_e32 v1, 28, v0
	v_sub_nc_u32_e32 v0, 29, v0
	v_lshlrev_b64 v[1:2], v1, v[8:9]
	v_and_b32_e32 v34, 7, v1
; %bb.1056:                             ;   in Loop: Header=BB399_11 Depth=1
	s_or_b32 exec_lo, exec_lo, s24
	v_mov_b32_e32 v1, 24
	v_lshlrev_b32_e32 v2, 20, v34
	v_lshl_add_u32 v0, v0, 23, 0x3c000000
	v_lshlrev_b32_sdwa v1, v1, v32 dst_sel:DWORD dst_unused:UNUSED_PAD src0_sel:DWORD src1_sel:WORD_1
	v_and_b32_e32 v1, 0x80000000, v1
	v_or3_b32 v0, v2, v1, v0
	buffer_store_dword v0, off, s[0:3], s32 offset:692 ; 4-byte Folded Spill
.LBB399_1057:                           ;   in Loop: Header=BB399_11 Depth=1
	s_or_b32 exec_lo, exec_lo, s23
.LBB399_1058:                           ;   in Loop: Header=BB399_11 Depth=1
	s_or_b32 exec_lo, exec_lo, s17
.LBB399_1059:                           ;   in Loop: Header=BB399_11 Depth=1
	s_or_b32 exec_lo, exec_lo, s6
	v_mov_b32_e32 v0, 0
	s_mov_b32 s6, exec_lo
	buffer_store_dword v0, off, s[0:3], s32 offset:696 ; 4-byte Folded Spill
	v_mov_b32_e32 v0, 0
	buffer_store_dword v0, off, s[0:3], s32 offset:700 ; 4-byte Folded Spill
	v_cmpx_lt_u32_e32 0xffffff, v32
	s_cbranch_execz .LBB399_1067
; %bb.1060:                             ;   in Loop: Header=BB399_11 Depth=1
	v_cmp_ne_u32_sdwa s5, v32, v41 src0_sel:BYTE_3 src1_sel:DWORD
	v_bfrev_b32_e32 v0, 1
	buffer_store_dword v0, off, s[0:3], s32 offset:700 ; 4-byte Folded Spill
	s_and_saveexec_b32 s17, s5
	s_cbranch_execz .LBB399_1066
; %bb.1061:                             ;   in Loop: Header=BB399_11 Depth=1
	v_bfe_u32 v1, v32, 24, 7
	v_mov_b32_e32 v0, 0x7f800001
	s_mov_b32 s23, exec_lo
	buffer_store_dword v0, off, s[0:3], s32 offset:700 ; 4-byte Folded Spill
	v_cmpx_ne_u32_e32 0x7f, v1
	s_cbranch_execz .LBB399_1065
; %bb.1062:                             ;   in Loop: Header=BB399_11 Depth=1
	v_mov_b32_e32 v0, 7
	s_mov_b32 s24, exec_lo
	v_and_b32_sdwa v8, v32, v0 dst_sel:DWORD dst_unused:UNUSED_PAD src0_sel:BYTE_3 src1_sel:DWORD
	v_mov_b32_e32 v35, v9
	v_lshrrev_b32_e32 v0, 3, v1
	v_mov_b32_e32 v34, v8
	v_cmpx_gt_u32_e32 8, v1
; %bb.1063:                             ;   in Loop: Header=BB399_11 Depth=1
	v_ffbh_u32_e32 v0, v8
	v_min_u32_e32 v0, 32, v0
	v_subrev_nc_u32_e32 v1, 28, v0
	v_sub_nc_u32_e32 v0, 29, v0
	v_lshlrev_b64 v[1:2], v1, v[8:9]
	v_and_b32_e32 v34, 7, v1
; %bb.1064:                             ;   in Loop: Header=BB399_11 Depth=1
	s_or_b32 exec_lo, exec_lo, s24
	v_mov_b32_e32 v1, 24
	v_lshlrev_b32_e32 v2, 20, v34
	v_lshl_add_u32 v0, v0, 23, 0x3c000000
	v_lshlrev_b32_sdwa v1, v1, v32 dst_sel:DWORD dst_unused:UNUSED_PAD src0_sel:DWORD src1_sel:BYTE_3
	v_and_b32_e32 v1, 0x80000000, v1
	v_or3_b32 v0, v2, v1, v0
	buffer_store_dword v0, off, s[0:3], s32 offset:700 ; 4-byte Folded Spill
.LBB399_1065:                           ;   in Loop: Header=BB399_11 Depth=1
	s_or_b32 exec_lo, exec_lo, s23
.LBB399_1066:                           ;   in Loop: Header=BB399_11 Depth=1
	s_or_b32 exec_lo, exec_lo, s17
.LBB399_1067:                           ;   in Loop: Header=BB399_11 Depth=1
	s_or_b32 exec_lo, exec_lo, s6
	v_mov_b32_e32 v8, v33
	v_cmp_ne_u16_sdwa s5, v33, v9 src0_sel:BYTE_0 src1_sel:DWORD
	s_and_saveexec_b32 s6, s5
	s_cbranch_execz .LBB399_1075
; %bb.1068:                             ;   in Loop: Header=BB399_11 Depth=1
	v_cmp_ne_u16_sdwa s5, v33, v41 src0_sel:BYTE_0 src1_sel:DWORD
	v_bfrev_b32_e32 v0, 1
	buffer_store_dword v0, off, s[0:3], s32 offset:696 ; 4-byte Folded Spill
	s_and_saveexec_b32 s17, s5
	s_cbranch_execz .LBB399_1074
; %bb.1069:                             ;   in Loop: Header=BB399_11 Depth=1
	v_and_b32_e32 v1, 0x7f, v33
	v_mov_b32_e32 v0, 0x7f800001
	s_mov_b32 s23, exec_lo
	buffer_store_dword v0, off, s[0:3], s32 offset:696 ; 4-byte Folded Spill
	v_cmpx_ne_u32_e32 0x7f, v1
	s_cbranch_execz .LBB399_1073
; %bb.1070:                             ;   in Loop: Header=BB399_11 Depth=1
	v_mov_b32_e32 v35, v9
	v_mov_b32_e32 v34, v8
	v_lshrrev_b32_e32 v0, 3, v1
	s_mov_b32 s24, exec_lo
	v_cmpx_gt_u32_e32 8, v1
; %bb.1071:                             ;   in Loop: Header=BB399_11 Depth=1
	v_and_b32_e32 v0, 7, v33
	v_ffbh_u32_e32 v0, v0
	v_min_u32_e32 v0, 32, v0
	v_subrev_nc_u32_e32 v1, 28, v0
	v_sub_nc_u32_e32 v0, 29, v0
	v_lshlrev_b64 v[34:35], v1, v[8:9]
; %bb.1072:                             ;   in Loop: Header=BB399_11 Depth=1
	s_or_b32 exec_lo, exec_lo, s24
	v_lshlrev_b32_e32 v1, 20, v34
	v_lshlrev_b32_e32 v2, 24, v8
	v_lshl_add_u32 v0, v0, 23, 0x3c000000
	v_and_b32_e32 v1, 0x700000, v1
	v_and_b32_e32 v2, 0x80000000, v2
	v_or3_b32 v0, v1, v2, v0
	buffer_store_dword v0, off, s[0:3], s32 offset:696 ; 4-byte Folded Spill
.LBB399_1073:                           ;   in Loop: Header=BB399_11 Depth=1
	s_or_b32 exec_lo, exec_lo, s23
.LBB399_1074:                           ;   in Loop: Header=BB399_11 Depth=1
	s_or_b32 exec_lo, exec_lo, s17
.LBB399_1075:                           ;   in Loop: Header=BB399_11 Depth=1
	s_or_b32 exec_lo, exec_lo, s6
	v_mov_b32_e32 v0, 0
	v_cmp_ne_u16_sdwa s5, v8, v9 src0_sel:BYTE_1 src1_sel:DWORD
	buffer_store_dword v0, off, s[0:3], s32 offset:704 ; 4-byte Folded Spill
	v_mov_b32_e32 v0, 0
	buffer_store_dword v0, off, s[0:3], s32 offset:708 ; 4-byte Folded Spill
	s_and_saveexec_b32 s6, s5
	s_cbranch_execz .LBB399_1083
; %bb.1076:                             ;   in Loop: Header=BB399_11 Depth=1
	v_cmp_ne_u16_sdwa s5, v8, v41 src0_sel:BYTE_1 src1_sel:DWORD
	v_bfrev_b32_e32 v0, 1
	buffer_store_dword v0, off, s[0:3], s32 offset:708 ; 4-byte Folded Spill
	s_and_saveexec_b32 s17, s5
	s_cbranch_execz .LBB399_1082
; %bb.1077:                             ;   in Loop: Header=BB399_11 Depth=1
	v_mov_b32_e32 v0, 0xffff
	v_mov_b32_e32 v2, 0x7f800001
	s_mov_b32 s23, exec_lo
	v_and_b32_sdwa v0, v0, v8 dst_sel:DWORD dst_unused:UNUSED_PAD src0_sel:DWORD src1_sel:BYTE_1
	buffer_store_dword v2, off, s[0:3], s32 offset:708 ; 4-byte Folded Spill
	v_and_b32_e32 v1, 0x7f, v0
	v_cmpx_ne_u32_e32 0x7f, v1
	s_cbranch_execz .LBB399_1081
; %bb.1078:                             ;   in Loop: Header=BB399_11 Depth=1
	v_and_b32_e32 v34, 7, v0
	v_mov_b32_e32 v35, v9
	v_lshrrev_b32_e32 v0, 3, v1
	s_mov_b32 s24, exec_lo
	v_cmpx_gt_u32_e32 8, v1
; %bb.1079:                             ;   in Loop: Header=BB399_11 Depth=1
	v_ffbh_u32_e32 v0, v34
	v_min_u32_e32 v0, 32, v0
	v_subrev_nc_u32_e32 v1, 28, v0
	v_sub_nc_u32_e32 v0, 29, v0
	v_lshlrev_b64 v[1:2], v1, v[34:35]
	v_and_b32_e32 v34, 7, v1
; %bb.1080:                             ;   in Loop: Header=BB399_11 Depth=1
	s_or_b32 exec_lo, exec_lo, s24
	v_lshlrev_b32_e32 v1, 16, v8
	v_lshlrev_b32_e32 v2, 20, v34
	v_lshl_add_u32 v0, v0, 23, 0x3c000000
	v_and_b32_e32 v1, 0x80000000, v1
	v_or3_b32 v0, v2, v1, v0
	buffer_store_dword v0, off, s[0:3], s32 offset:708 ; 4-byte Folded Spill
.LBB399_1081:                           ;   in Loop: Header=BB399_11 Depth=1
	s_or_b32 exec_lo, exec_lo, s23
.LBB399_1082:                           ;   in Loop: Header=BB399_11 Depth=1
	s_or_b32 exec_lo, exec_lo, s17
.LBB399_1083:                           ;   in Loop: Header=BB399_11 Depth=1
	s_or_b32 exec_lo, exec_lo, s6
	v_mov_b32_e32 v0, 0xff
	s_mov_b32 s6, exec_lo
	v_and_b32_sdwa v0, v33, v0 dst_sel:DWORD dst_unused:UNUSED_PAD src0_sel:WORD_1 src1_sel:DWORD
	v_cmpx_ne_u16_e32 0, v0
	s_cbranch_execz .LBB399_1091
; %bb.1084:                             ;   in Loop: Header=BB399_11 Depth=1
	v_cmp_ne_u16_e64 s5, 0x80, v0
	v_bfrev_b32_e32 v0, 1
	buffer_store_dword v0, off, s[0:3], s32 offset:704 ; 4-byte Folded Spill
	s_and_saveexec_b32 s17, s5
	s_cbranch_execz .LBB399_1090
; %bb.1085:                             ;   in Loop: Header=BB399_11 Depth=1
	v_bfe_u32 v1, v33, 16, 7
	v_mov_b32_e32 v0, 0x7f800001
	s_mov_b32 s23, exec_lo
	buffer_store_dword v0, off, s[0:3], s32 offset:704 ; 4-byte Folded Spill
	v_cmpx_ne_u32_e32 0x7f, v1
	s_cbranch_execz .LBB399_1089
; %bb.1086:                             ;   in Loop: Header=BB399_11 Depth=1
	v_mov_b32_e32 v0, 7
	s_mov_b32 s24, exec_lo
	v_and_b32_sdwa v8, v33, v0 dst_sel:DWORD dst_unused:UNUSED_PAD src0_sel:WORD_1 src1_sel:DWORD
	v_mov_b32_e32 v35, v9
	v_lshrrev_b32_e32 v0, 3, v1
	v_mov_b32_e32 v34, v8
	v_cmpx_gt_u32_e32 8, v1
; %bb.1087:                             ;   in Loop: Header=BB399_11 Depth=1
	v_ffbh_u32_e32 v0, v8
	v_min_u32_e32 v0, 32, v0
	v_subrev_nc_u32_e32 v1, 28, v0
	v_sub_nc_u32_e32 v0, 29, v0
	v_lshlrev_b64 v[1:2], v1, v[8:9]
	v_and_b32_e32 v34, 7, v1
; %bb.1088:                             ;   in Loop: Header=BB399_11 Depth=1
	s_or_b32 exec_lo, exec_lo, s24
	v_mov_b32_e32 v1, 24
	v_lshlrev_b32_e32 v2, 20, v34
	v_lshl_add_u32 v0, v0, 23, 0x3c000000
	v_lshlrev_b32_sdwa v1, v1, v33 dst_sel:DWORD dst_unused:UNUSED_PAD src0_sel:DWORD src1_sel:WORD_1
	v_and_b32_e32 v1, 0x80000000, v1
	v_or3_b32 v0, v2, v1, v0
	buffer_store_dword v0, off, s[0:3], s32 offset:704 ; 4-byte Folded Spill
.LBB399_1089:                           ;   in Loop: Header=BB399_11 Depth=1
	s_or_b32 exec_lo, exec_lo, s23
.LBB399_1090:                           ;   in Loop: Header=BB399_11 Depth=1
	s_or_b32 exec_lo, exec_lo, s17
.LBB399_1091:                           ;   in Loop: Header=BB399_11 Depth=1
	s_or_b32 exec_lo, exec_lo, s6
	v_mov_b32_e32 v0, 0
	s_mov_b32 s6, exec_lo
	buffer_store_dword v0, off, s[0:3], s32 offset:716 ; 4-byte Folded Spill
	v_mov_b32_e32 v0, 0
	buffer_store_dword v0, off, s[0:3], s32 offset:712 ; 4-byte Folded Spill
	v_cmpx_lt_u64_e64 s[8:9], v[32:33]
	s_cbranch_execz .LBB399_1099
; %bb.1092:                             ;   in Loop: Header=BB399_11 Depth=1
	v_cmp_ne_u32_sdwa s5, v33, v41 src0_sel:BYTE_3 src1_sel:DWORD
	v_bfrev_b32_e32 v0, 1
	buffer_store_dword v0, off, s[0:3], s32 offset:712 ; 4-byte Folded Spill
	s_and_saveexec_b32 s17, s5
	s_cbranch_execz .LBB399_1098
; %bb.1093:                             ;   in Loop: Header=BB399_11 Depth=1
	v_bfe_u32 v1, v33, 24, 7
	v_mov_b32_e32 v0, 0x7f800001
	s_mov_b32 s23, exec_lo
	buffer_store_dword v0, off, s[0:3], s32 offset:712 ; 4-byte Folded Spill
	v_cmpx_ne_u32_e32 0x7f, v1
	s_cbranch_execz .LBB399_1097
; %bb.1094:                             ;   in Loop: Header=BB399_11 Depth=1
	v_mov_b32_e32 v0, 7
	s_mov_b32 s24, exec_lo
	v_and_b32_sdwa v8, v33, v0 dst_sel:DWORD dst_unused:UNUSED_PAD src0_sel:BYTE_3 src1_sel:DWORD
	v_mov_b32_e32 v35, v9
	v_lshrrev_b32_e32 v0, 3, v1
	v_mov_b32_e32 v34, v8
	v_cmpx_gt_u32_e32 8, v1
; %bb.1095:                             ;   in Loop: Header=BB399_11 Depth=1
	v_ffbh_u32_e32 v0, v8
	v_min_u32_e32 v0, 32, v0
	v_subrev_nc_u32_e32 v1, 28, v0
	v_sub_nc_u32_e32 v0, 29, v0
	v_lshlrev_b64 v[1:2], v1, v[8:9]
	v_and_b32_e32 v34, 7, v1
; %bb.1096:                             ;   in Loop: Header=BB399_11 Depth=1
	s_or_b32 exec_lo, exec_lo, s24
	v_mov_b32_e32 v1, 24
	v_lshlrev_b32_e32 v2, 20, v34
	v_lshl_add_u32 v0, v0, 23, 0x3c000000
	v_lshlrev_b32_sdwa v1, v1, v33 dst_sel:DWORD dst_unused:UNUSED_PAD src0_sel:DWORD src1_sel:BYTE_3
	v_and_b32_e32 v1, 0x80000000, v1
	v_or3_b32 v0, v2, v1, v0
	buffer_store_dword v0, off, s[0:3], s32 offset:712 ; 4-byte Folded Spill
.LBB399_1097:                           ;   in Loop: Header=BB399_11 Depth=1
	s_or_b32 exec_lo, exec_lo, s23
.LBB399_1098:                           ;   in Loop: Header=BB399_11 Depth=1
	s_or_b32 exec_lo, exec_lo, s17
.LBB399_1099:                           ;   in Loop: Header=BB399_11 Depth=1
	s_or_b32 exec_lo, exec_lo, s6
	flat_load_dwordx2 v[32:33], v[30:31] offset:8
	s_waitcnt vmcnt(0) lgkmcnt(0)
	v_cmp_ne_u16_sdwa s5, v32, v9 src0_sel:BYTE_0 src1_sel:DWORD
	s_and_saveexec_b32 s6, s5
	s_cbranch_execz .LBB399_1107
; %bb.1100:                             ;   in Loop: Header=BB399_11 Depth=1
	v_cmp_ne_u16_sdwa s5, v32, v41 src0_sel:BYTE_0 src1_sel:DWORD
	v_bfrev_b32_e32 v0, 1
	buffer_store_dword v0, off, s[0:3], s32 offset:716 ; 4-byte Folded Spill
	s_and_saveexec_b32 s17, s5
	s_cbranch_execz .LBB399_1106
; %bb.1101:                             ;   in Loop: Header=BB399_11 Depth=1
	v_and_b32_e32 v1, 0x7f, v32
	v_mov_b32_e32 v0, 0x7f800001
	s_mov_b32 s23, exec_lo
	buffer_store_dword v0, off, s[0:3], s32 offset:716 ; 4-byte Folded Spill
	v_cmpx_ne_u32_e32 0x7f, v1
	s_cbranch_execz .LBB399_1105
; %bb.1102:                             ;   in Loop: Header=BB399_11 Depth=1
	v_mov_b32_e32 v35, v33
	v_lshrrev_b32_e32 v0, 3, v1
	v_mov_b32_e32 v34, v32
	s_mov_b32 s24, exec_lo
	v_cmpx_gt_u32_e32 8, v1
; %bb.1103:                             ;   in Loop: Header=BB399_11 Depth=1
	v_and_b32_e32 v0, 7, v32
	v_ffbh_u32_e32 v0, v0
	v_min_u32_e32 v0, 32, v0
	v_subrev_nc_u32_e32 v1, 28, v0
	v_sub_nc_u32_e32 v0, 29, v0
	v_lshlrev_b64 v[34:35], v1, v[32:33]
; %bb.1104:                             ;   in Loop: Header=BB399_11 Depth=1
	s_or_b32 exec_lo, exec_lo, s24
	v_lshlrev_b32_e32 v1, 20, v34
	v_lshlrev_b32_e32 v2, 24, v32
	v_lshl_add_u32 v0, v0, 23, 0x3c000000
	v_and_b32_e32 v1, 0x700000, v1
	v_and_b32_e32 v2, 0x80000000, v2
	v_or3_b32 v0, v1, v2, v0
	buffer_store_dword v0, off, s[0:3], s32 offset:716 ; 4-byte Folded Spill
.LBB399_1105:                           ;   in Loop: Header=BB399_11 Depth=1
	s_or_b32 exec_lo, exec_lo, s23
.LBB399_1106:                           ;   in Loop: Header=BB399_11 Depth=1
	s_or_b32 exec_lo, exec_lo, s17
.LBB399_1107:                           ;   in Loop: Header=BB399_11 Depth=1
	s_or_b32 exec_lo, exec_lo, s6
	v_mov_b32_e32 v0, 0
	v_cmp_ne_u16_sdwa s5, v32, v9 src0_sel:BYTE_1 src1_sel:DWORD
	buffer_store_dword v0, off, s[0:3], s32 offset:724 ; 4-byte Folded Spill
	v_mov_b32_e32 v0, 0
	buffer_store_dword v0, off, s[0:3], s32 offset:720 ; 4-byte Folded Spill
	s_and_saveexec_b32 s6, s5
	s_cbranch_execz .LBB399_1115
; %bb.1108:                             ;   in Loop: Header=BB399_11 Depth=1
	v_cmp_ne_u16_sdwa s5, v32, v41 src0_sel:BYTE_1 src1_sel:DWORD
	v_bfrev_b32_e32 v0, 1
	buffer_store_dword v0, off, s[0:3], s32 offset:720 ; 4-byte Folded Spill
	s_and_saveexec_b32 s17, s5
	s_cbranch_execz .LBB399_1114
; %bb.1109:                             ;   in Loop: Header=BB399_11 Depth=1
	v_mov_b32_e32 v0, 0xffff
	v_mov_b32_e32 v2, 0x7f800001
	s_mov_b32 s23, exec_lo
	v_and_b32_sdwa v0, v0, v32 dst_sel:DWORD dst_unused:UNUSED_PAD src0_sel:DWORD src1_sel:BYTE_1
	buffer_store_dword v2, off, s[0:3], s32 offset:720 ; 4-byte Folded Spill
	v_and_b32_e32 v1, 0x7f, v0
	v_cmpx_ne_u32_e32 0x7f, v1
	s_cbranch_execz .LBB399_1113
; %bb.1110:                             ;   in Loop: Header=BB399_11 Depth=1
	v_and_b32_e32 v8, 7, v0
	v_mov_b32_e32 v35, v9
	v_lshrrev_b32_e32 v0, 3, v1
	s_mov_b32 s24, exec_lo
	v_mov_b32_e32 v34, v8
	v_cmpx_gt_u32_e32 8, v1
; %bb.1111:                             ;   in Loop: Header=BB399_11 Depth=1
	v_ffbh_u32_e32 v0, v8
	v_min_u32_e32 v0, 32, v0
	v_subrev_nc_u32_e32 v1, 28, v0
	v_sub_nc_u32_e32 v0, 29, v0
	v_lshlrev_b64 v[1:2], v1, v[8:9]
	v_and_b32_e32 v34, 7, v1
; %bb.1112:                             ;   in Loop: Header=BB399_11 Depth=1
	s_or_b32 exec_lo, exec_lo, s24
	v_lshlrev_b32_e32 v1, 16, v32
	v_lshlrev_b32_e32 v2, 20, v34
	v_lshl_add_u32 v0, v0, 23, 0x3c000000
	v_and_b32_e32 v1, 0x80000000, v1
	v_or3_b32 v0, v2, v1, v0
	buffer_store_dword v0, off, s[0:3], s32 offset:720 ; 4-byte Folded Spill
.LBB399_1113:                           ;   in Loop: Header=BB399_11 Depth=1
	s_or_b32 exec_lo, exec_lo, s23
.LBB399_1114:                           ;   in Loop: Header=BB399_11 Depth=1
	s_or_b32 exec_lo, exec_lo, s17
.LBB399_1115:                           ;   in Loop: Header=BB399_11 Depth=1
	s_or_b32 exec_lo, exec_lo, s6
	v_mov_b32_e32 v0, 0xff
	s_mov_b32 s6, exec_lo
	v_and_b32_sdwa v0, v32, v0 dst_sel:DWORD dst_unused:UNUSED_PAD src0_sel:WORD_1 src1_sel:DWORD
	v_cmpx_ne_u16_e32 0, v0
	s_cbranch_execz .LBB399_1123
; %bb.1116:                             ;   in Loop: Header=BB399_11 Depth=1
	v_cmp_ne_u16_e64 s5, 0x80, v0
	v_bfrev_b32_e32 v0, 1
	buffer_store_dword v0, off, s[0:3], s32 offset:724 ; 4-byte Folded Spill
	s_and_saveexec_b32 s17, s5
	s_cbranch_execz .LBB399_1122
; %bb.1117:                             ;   in Loop: Header=BB399_11 Depth=1
	v_bfe_u32 v1, v32, 16, 7
	v_mov_b32_e32 v0, 0x7f800001
	s_mov_b32 s23, exec_lo
	buffer_store_dword v0, off, s[0:3], s32 offset:724 ; 4-byte Folded Spill
	v_cmpx_ne_u32_e32 0x7f, v1
	s_cbranch_execz .LBB399_1121
; %bb.1118:                             ;   in Loop: Header=BB399_11 Depth=1
	v_mov_b32_e32 v0, 7
	s_mov_b32 s24, exec_lo
	v_and_b32_sdwa v8, v32, v0 dst_sel:DWORD dst_unused:UNUSED_PAD src0_sel:WORD_1 src1_sel:DWORD
	v_mov_b32_e32 v35, v9
	v_lshrrev_b32_e32 v0, 3, v1
	v_mov_b32_e32 v34, v8
	v_cmpx_gt_u32_e32 8, v1
; %bb.1119:                             ;   in Loop: Header=BB399_11 Depth=1
	v_ffbh_u32_e32 v0, v8
	v_min_u32_e32 v0, 32, v0
	v_subrev_nc_u32_e32 v1, 28, v0
	v_sub_nc_u32_e32 v0, 29, v0
	v_lshlrev_b64 v[1:2], v1, v[8:9]
	v_and_b32_e32 v34, 7, v1
; %bb.1120:                             ;   in Loop: Header=BB399_11 Depth=1
	s_or_b32 exec_lo, exec_lo, s24
	v_mov_b32_e32 v1, 24
	v_lshlrev_b32_e32 v2, 20, v34
	v_lshl_add_u32 v0, v0, 23, 0x3c000000
	v_lshlrev_b32_sdwa v1, v1, v32 dst_sel:DWORD dst_unused:UNUSED_PAD src0_sel:DWORD src1_sel:WORD_1
	v_and_b32_e32 v1, 0x80000000, v1
	v_or3_b32 v0, v2, v1, v0
	buffer_store_dword v0, off, s[0:3], s32 offset:724 ; 4-byte Folded Spill
.LBB399_1121:                           ;   in Loop: Header=BB399_11 Depth=1
	s_or_b32 exec_lo, exec_lo, s23
.LBB399_1122:                           ;   in Loop: Header=BB399_11 Depth=1
	s_or_b32 exec_lo, exec_lo, s17
.LBB399_1123:                           ;   in Loop: Header=BB399_11 Depth=1
	s_or_b32 exec_lo, exec_lo, s6
	v_mov_b32_e32 v0, 0
	s_mov_b32 s6, exec_lo
	buffer_store_dword v0, off, s[0:3], s32 offset:728 ; 4-byte Folded Spill
	v_mov_b32_e32 v0, 0
	buffer_store_dword v0, off, s[0:3], s32 offset:732 ; 4-byte Folded Spill
	v_cmpx_lt_u32_e32 0xffffff, v32
	s_cbranch_execz .LBB399_1131
; %bb.1124:                             ;   in Loop: Header=BB399_11 Depth=1
	v_cmp_ne_u32_sdwa s5, v32, v41 src0_sel:BYTE_3 src1_sel:DWORD
	v_bfrev_b32_e32 v0, 1
	buffer_store_dword v0, off, s[0:3], s32 offset:732 ; 4-byte Folded Spill
	s_and_saveexec_b32 s17, s5
	s_cbranch_execz .LBB399_1130
; %bb.1125:                             ;   in Loop: Header=BB399_11 Depth=1
	v_bfe_u32 v1, v32, 24, 7
	v_mov_b32_e32 v0, 0x7f800001
	s_mov_b32 s23, exec_lo
	buffer_store_dword v0, off, s[0:3], s32 offset:732 ; 4-byte Folded Spill
	v_cmpx_ne_u32_e32 0x7f, v1
	s_cbranch_execz .LBB399_1129
; %bb.1126:                             ;   in Loop: Header=BB399_11 Depth=1
	v_mov_b32_e32 v0, 7
	s_mov_b32 s24, exec_lo
	v_and_b32_sdwa v8, v32, v0 dst_sel:DWORD dst_unused:UNUSED_PAD src0_sel:BYTE_3 src1_sel:DWORD
	v_mov_b32_e32 v35, v9
	v_lshrrev_b32_e32 v0, 3, v1
	v_mov_b32_e32 v34, v8
	v_cmpx_gt_u32_e32 8, v1
; %bb.1127:                             ;   in Loop: Header=BB399_11 Depth=1
	v_ffbh_u32_e32 v0, v8
	v_min_u32_e32 v0, 32, v0
	v_subrev_nc_u32_e32 v1, 28, v0
	v_sub_nc_u32_e32 v0, 29, v0
	v_lshlrev_b64 v[1:2], v1, v[8:9]
	v_and_b32_e32 v34, 7, v1
; %bb.1128:                             ;   in Loop: Header=BB399_11 Depth=1
	s_or_b32 exec_lo, exec_lo, s24
	v_mov_b32_e32 v1, 24
	v_lshlrev_b32_e32 v2, 20, v34
	v_lshl_add_u32 v0, v0, 23, 0x3c000000
	v_lshlrev_b32_sdwa v1, v1, v32 dst_sel:DWORD dst_unused:UNUSED_PAD src0_sel:DWORD src1_sel:BYTE_3
	v_and_b32_e32 v1, 0x80000000, v1
	v_or3_b32 v0, v2, v1, v0
	buffer_store_dword v0, off, s[0:3], s32 offset:732 ; 4-byte Folded Spill
.LBB399_1129:                           ;   in Loop: Header=BB399_11 Depth=1
	s_or_b32 exec_lo, exec_lo, s23
.LBB399_1130:                           ;   in Loop: Header=BB399_11 Depth=1
	s_or_b32 exec_lo, exec_lo, s17
.LBB399_1131:                           ;   in Loop: Header=BB399_11 Depth=1
	s_or_b32 exec_lo, exec_lo, s6
	v_mov_b32_e32 v8, v33
	v_cmp_ne_u16_sdwa s5, v33, v9 src0_sel:BYTE_0 src1_sel:DWORD
	s_and_saveexec_b32 s6, s5
	s_cbranch_execz .LBB399_1139
; %bb.1132:                             ;   in Loop: Header=BB399_11 Depth=1
	v_cmp_ne_u16_sdwa s5, v33, v41 src0_sel:BYTE_0 src1_sel:DWORD
	v_bfrev_b32_e32 v0, 1
	buffer_store_dword v0, off, s[0:3], s32 offset:728 ; 4-byte Folded Spill
	s_and_saveexec_b32 s17, s5
	s_cbranch_execz .LBB399_1138
; %bb.1133:                             ;   in Loop: Header=BB399_11 Depth=1
	v_and_b32_e32 v1, 0x7f, v33
	v_mov_b32_e32 v0, 0x7f800001
	s_mov_b32 s23, exec_lo
	buffer_store_dword v0, off, s[0:3], s32 offset:728 ; 4-byte Folded Spill
	v_cmpx_ne_u32_e32 0x7f, v1
	s_cbranch_execz .LBB399_1137
; %bb.1134:                             ;   in Loop: Header=BB399_11 Depth=1
	v_mov_b32_e32 v35, v9
	v_mov_b32_e32 v34, v8
	v_lshrrev_b32_e32 v0, 3, v1
	s_mov_b32 s24, exec_lo
	v_cmpx_gt_u32_e32 8, v1
; %bb.1135:                             ;   in Loop: Header=BB399_11 Depth=1
	v_and_b32_e32 v0, 7, v33
	v_ffbh_u32_e32 v0, v0
	v_min_u32_e32 v0, 32, v0
	v_subrev_nc_u32_e32 v1, 28, v0
	v_sub_nc_u32_e32 v0, 29, v0
	v_lshlrev_b64 v[34:35], v1, v[8:9]
; %bb.1136:                             ;   in Loop: Header=BB399_11 Depth=1
	s_or_b32 exec_lo, exec_lo, s24
	v_lshlrev_b32_e32 v1, 20, v34
	v_lshlrev_b32_e32 v2, 24, v8
	v_lshl_add_u32 v0, v0, 23, 0x3c000000
	v_and_b32_e32 v1, 0x700000, v1
	v_and_b32_e32 v2, 0x80000000, v2
	v_or3_b32 v0, v1, v2, v0
	buffer_store_dword v0, off, s[0:3], s32 offset:728 ; 4-byte Folded Spill
.LBB399_1137:                           ;   in Loop: Header=BB399_11 Depth=1
	s_or_b32 exec_lo, exec_lo, s23
.LBB399_1138:                           ;   in Loop: Header=BB399_11 Depth=1
	s_or_b32 exec_lo, exec_lo, s17
.LBB399_1139:                           ;   in Loop: Header=BB399_11 Depth=1
	s_or_b32 exec_lo, exec_lo, s6
	v_mov_b32_e32 v0, 0
	v_cmp_ne_u16_sdwa s5, v8, v9 src0_sel:BYTE_1 src1_sel:DWORD
	buffer_store_dword v0, off, s[0:3], s32 offset:736 ; 4-byte Folded Spill
	v_mov_b32_e32 v0, 0
	buffer_store_dword v0, off, s[0:3], s32 offset:740 ; 4-byte Folded Spill
	s_and_saveexec_b32 s6, s5
	s_cbranch_execz .LBB399_1147
; %bb.1140:                             ;   in Loop: Header=BB399_11 Depth=1
	v_cmp_ne_u16_sdwa s5, v8, v41 src0_sel:BYTE_1 src1_sel:DWORD
	v_bfrev_b32_e32 v0, 1
	buffer_store_dword v0, off, s[0:3], s32 offset:740 ; 4-byte Folded Spill
	s_and_saveexec_b32 s17, s5
	s_cbranch_execz .LBB399_1146
; %bb.1141:                             ;   in Loop: Header=BB399_11 Depth=1
	v_mov_b32_e32 v0, 0xffff
	v_mov_b32_e32 v2, 0x7f800001
	s_mov_b32 s23, exec_lo
	v_and_b32_sdwa v0, v0, v8 dst_sel:DWORD dst_unused:UNUSED_PAD src0_sel:DWORD src1_sel:BYTE_1
	buffer_store_dword v2, off, s[0:3], s32 offset:740 ; 4-byte Folded Spill
	v_and_b32_e32 v1, 0x7f, v0
	v_cmpx_ne_u32_e32 0x7f, v1
	s_cbranch_execz .LBB399_1145
; %bb.1142:                             ;   in Loop: Header=BB399_11 Depth=1
	v_and_b32_e32 v34, 7, v0
	v_mov_b32_e32 v35, v9
	v_lshrrev_b32_e32 v0, 3, v1
	s_mov_b32 s24, exec_lo
	v_cmpx_gt_u32_e32 8, v1
; %bb.1143:                             ;   in Loop: Header=BB399_11 Depth=1
	v_ffbh_u32_e32 v0, v34
	v_min_u32_e32 v0, 32, v0
	v_subrev_nc_u32_e32 v1, 28, v0
	v_sub_nc_u32_e32 v0, 29, v0
	v_lshlrev_b64 v[1:2], v1, v[34:35]
	v_and_b32_e32 v34, 7, v1
; %bb.1144:                             ;   in Loop: Header=BB399_11 Depth=1
	s_or_b32 exec_lo, exec_lo, s24
	v_lshlrev_b32_e32 v1, 16, v8
	v_lshlrev_b32_e32 v2, 20, v34
	v_lshl_add_u32 v0, v0, 23, 0x3c000000
	v_and_b32_e32 v1, 0x80000000, v1
	v_or3_b32 v0, v2, v1, v0
	buffer_store_dword v0, off, s[0:3], s32 offset:740 ; 4-byte Folded Spill
.LBB399_1145:                           ;   in Loop: Header=BB399_11 Depth=1
	s_or_b32 exec_lo, exec_lo, s23
.LBB399_1146:                           ;   in Loop: Header=BB399_11 Depth=1
	s_or_b32 exec_lo, exec_lo, s17
.LBB399_1147:                           ;   in Loop: Header=BB399_11 Depth=1
	s_or_b32 exec_lo, exec_lo, s6
	v_mov_b32_e32 v0, 0xff
	s_mov_b32 s6, exec_lo
	v_and_b32_sdwa v0, v33, v0 dst_sel:DWORD dst_unused:UNUSED_PAD src0_sel:WORD_1 src1_sel:DWORD
	v_cmpx_ne_u16_e32 0, v0
	s_cbranch_execz .LBB399_1155
; %bb.1148:                             ;   in Loop: Header=BB399_11 Depth=1
	v_cmp_ne_u16_e64 s5, 0x80, v0
	v_bfrev_b32_e32 v0, 1
	buffer_store_dword v0, off, s[0:3], s32 offset:736 ; 4-byte Folded Spill
	s_and_saveexec_b32 s17, s5
	s_cbranch_execz .LBB399_1154
; %bb.1149:                             ;   in Loop: Header=BB399_11 Depth=1
	v_bfe_u32 v1, v33, 16, 7
	v_mov_b32_e32 v0, 0x7f800001
	s_mov_b32 s23, exec_lo
	buffer_store_dword v0, off, s[0:3], s32 offset:736 ; 4-byte Folded Spill
	v_cmpx_ne_u32_e32 0x7f, v1
	s_cbranch_execz .LBB399_1153
; %bb.1150:                             ;   in Loop: Header=BB399_11 Depth=1
	v_mov_b32_e32 v0, 7
	s_mov_b32 s24, exec_lo
	v_and_b32_sdwa v8, v33, v0 dst_sel:DWORD dst_unused:UNUSED_PAD src0_sel:WORD_1 src1_sel:DWORD
	v_mov_b32_e32 v35, v9
	v_lshrrev_b32_e32 v0, 3, v1
	v_mov_b32_e32 v34, v8
	v_cmpx_gt_u32_e32 8, v1
; %bb.1151:                             ;   in Loop: Header=BB399_11 Depth=1
	v_ffbh_u32_e32 v0, v8
	v_min_u32_e32 v0, 32, v0
	v_subrev_nc_u32_e32 v1, 28, v0
	v_sub_nc_u32_e32 v0, 29, v0
	v_lshlrev_b64 v[1:2], v1, v[8:9]
	v_and_b32_e32 v34, 7, v1
; %bb.1152:                             ;   in Loop: Header=BB399_11 Depth=1
	s_or_b32 exec_lo, exec_lo, s24
	v_mov_b32_e32 v1, 24
	v_lshlrev_b32_e32 v2, 20, v34
	v_lshl_add_u32 v0, v0, 23, 0x3c000000
	v_lshlrev_b32_sdwa v1, v1, v33 dst_sel:DWORD dst_unused:UNUSED_PAD src0_sel:DWORD src1_sel:WORD_1
	v_and_b32_e32 v1, 0x80000000, v1
	v_or3_b32 v0, v2, v1, v0
	buffer_store_dword v0, off, s[0:3], s32 offset:736 ; 4-byte Folded Spill
.LBB399_1153:                           ;   in Loop: Header=BB399_11 Depth=1
	s_or_b32 exec_lo, exec_lo, s23
.LBB399_1154:                           ;   in Loop: Header=BB399_11 Depth=1
	s_or_b32 exec_lo, exec_lo, s17
.LBB399_1155:                           ;   in Loop: Header=BB399_11 Depth=1
	s_or_b32 exec_lo, exec_lo, s6
	v_mov_b32_e32 v2, 0
	v_mov_b32_e32 v0, 0
	s_mov_b32 s6, exec_lo
	buffer_store_dword v0, off, s[0:3], s32 offset:744 ; 4-byte Folded Spill
	v_cmpx_lt_u64_e64 s[8:9], v[32:33]
	s_cbranch_execz .LBB399_1163
; %bb.1156:                             ;   in Loop: Header=BB399_11 Depth=1
	v_cmp_ne_u32_sdwa s5, v33, v41 src0_sel:BYTE_3 src1_sel:DWORD
	v_bfrev_b32_e32 v0, 1
	buffer_store_dword v0, off, s[0:3], s32 offset:744 ; 4-byte Folded Spill
	s_and_saveexec_b32 s17, s5
	s_cbranch_execz .LBB399_1162
; %bb.1157:                             ;   in Loop: Header=BB399_11 Depth=1
	v_bfe_u32 v1, v33, 24, 7
	v_mov_b32_e32 v0, 0x7f800001
	s_mov_b32 s23, exec_lo
	buffer_store_dword v0, off, s[0:3], s32 offset:744 ; 4-byte Folded Spill
	v_cmpx_ne_u32_e32 0x7f, v1
	s_cbranch_execz .LBB399_1161
; %bb.1158:                             ;   in Loop: Header=BB399_11 Depth=1
	v_mov_b32_e32 v0, 7
	s_mov_b32 s24, exec_lo
	v_and_b32_sdwa v8, v33, v0 dst_sel:DWORD dst_unused:UNUSED_PAD src0_sel:BYTE_3 src1_sel:DWORD
	v_mov_b32_e32 v35, v9
	v_lshrrev_b32_e32 v0, 3, v1
	v_mov_b32_e32 v34, v8
	v_cmpx_gt_u32_e32 8, v1
; %bb.1159:                             ;   in Loop: Header=BB399_11 Depth=1
	v_ffbh_u32_e32 v0, v8
	v_min_u32_e32 v0, 32, v0
	v_subrev_nc_u32_e32 v1, 28, v0
	v_sub_nc_u32_e32 v0, 29, v0
	v_lshlrev_b64 v[3:4], v1, v[8:9]
	v_and_b32_e32 v34, 7, v3
; %bb.1160:                             ;   in Loop: Header=BB399_11 Depth=1
	s_or_b32 exec_lo, exec_lo, s24
	v_mov_b32_e32 v1, 24
	v_lshlrev_b32_e32 v3, 20, v34
	v_lshl_add_u32 v0, v0, 23, 0x3c000000
	v_lshlrev_b32_sdwa v1, v1, v33 dst_sel:DWORD dst_unused:UNUSED_PAD src0_sel:DWORD src1_sel:BYTE_3
	v_and_b32_e32 v1, 0x80000000, v1
	v_or3_b32 v0, v3, v1, v0
	buffer_store_dword v0, off, s[0:3], s32 offset:744 ; 4-byte Folded Spill
.LBB399_1161:                           ;   in Loop: Header=BB399_11 Depth=1
	s_or_b32 exec_lo, exec_lo, s23
.LBB399_1162:                           ;   in Loop: Header=BB399_11 Depth=1
	s_or_b32 exec_lo, exec_lo, s17
.LBB399_1163:                           ;   in Loop: Header=BB399_11 Depth=1
	s_or_b32 exec_lo, exec_lo, s6
	flat_load_dwordx2 v[32:33], v[30:31] offset:512
	s_waitcnt vmcnt(0) lgkmcnt(0)
	v_cmp_ne_u16_sdwa s5, v32, v9 src0_sel:BYTE_0 src1_sel:DWORD
	s_and_saveexec_b32 s6, s5
	s_cbranch_execz .LBB399_1171
; %bb.1164:                             ;   in Loop: Header=BB399_11 Depth=1
	v_cmp_ne_u16_sdwa s5, v32, v41 src0_sel:BYTE_0 src1_sel:DWORD
	v_bfrev_b32_e32 v2, 1
	s_and_saveexec_b32 s17, s5
	s_cbranch_execz .LBB399_1170
; %bb.1165:                             ;   in Loop: Header=BB399_11 Depth=1
	v_and_b32_e32 v1, 0x7f, v32
	v_mov_b32_e32 v2, 0x7f800001
	s_mov_b32 s23, exec_lo
	v_cmpx_ne_u32_e32 0x7f, v1
	s_cbranch_execz .LBB399_1169
; %bb.1166:                             ;   in Loop: Header=BB399_11 Depth=1
	v_mov_b32_e32 v35, v33
	v_lshrrev_b32_e32 v0, 3, v1
	v_mov_b32_e32 v34, v32
	s_mov_b32 s24, exec_lo
	v_cmpx_gt_u32_e32 8, v1
; %bb.1167:                             ;   in Loop: Header=BB399_11 Depth=1
	v_and_b32_e32 v0, 7, v32
	v_ffbh_u32_e32 v0, v0
	v_min_u32_e32 v0, 32, v0
	v_subrev_nc_u32_e32 v1, 28, v0
	v_sub_nc_u32_e32 v0, 29, v0
	v_lshlrev_b64 v[34:35], v1, v[32:33]
; %bb.1168:                             ;   in Loop: Header=BB399_11 Depth=1
	s_or_b32 exec_lo, exec_lo, s24
	v_lshlrev_b32_e32 v1, 20, v34
	v_lshlrev_b32_e32 v2, 24, v32
	v_lshl_add_u32 v0, v0, 23, 0x3c000000
	v_and_b32_e32 v1, 0x700000, v1
	v_and_b32_e32 v2, 0x80000000, v2
	v_or3_b32 v2, v1, v2, v0
.LBB399_1169:                           ;   in Loop: Header=BB399_11 Depth=1
	s_or_b32 exec_lo, exec_lo, s23
.LBB399_1170:                           ;   in Loop: Header=BB399_11 Depth=1
	s_or_b32 exec_lo, exec_lo, s17
.LBB399_1171:                           ;   in Loop: Header=BB399_11 Depth=1
	s_or_b32 exec_lo, exec_lo, s6
	v_cmp_ne_u16_sdwa s5, v32, v9 src0_sel:BYTE_1 src1_sel:DWORD
	v_mov_b32_e32 v11, 0
	v_mov_b32_e32 v10, 0
	s_and_saveexec_b32 s6, s5
	s_cbranch_execz .LBB399_1179
; %bb.1172:                             ;   in Loop: Header=BB399_11 Depth=1
	v_cmp_ne_u16_sdwa s5, v32, v41 src0_sel:BYTE_1 src1_sel:DWORD
	v_bfrev_b32_e32 v10, 1
	s_and_saveexec_b32 s17, s5
	s_cbranch_execz .LBB399_1178
; %bb.1173:                             ;   in Loop: Header=BB399_11 Depth=1
	v_mov_b32_e32 v0, 0xffff
	v_mov_b32_e32 v10, 0x7f800001
	s_mov_b32 s23, exec_lo
	v_and_b32_sdwa v0, v0, v32 dst_sel:DWORD dst_unused:UNUSED_PAD src0_sel:DWORD src1_sel:BYTE_1
	v_and_b32_e32 v1, 0x7f, v0
	v_cmpx_ne_u32_e32 0x7f, v1
	s_cbranch_execz .LBB399_1177
; %bb.1174:                             ;   in Loop: Header=BB399_11 Depth=1
	v_and_b32_e32 v8, 7, v0
	v_mov_b32_e32 v35, v9
	v_lshrrev_b32_e32 v0, 3, v1
	s_mov_b32 s24, exec_lo
	v_mov_b32_e32 v34, v8
	v_cmpx_gt_u32_e32 8, v1
; %bb.1175:                             ;   in Loop: Header=BB399_11 Depth=1
	v_ffbh_u32_e32 v0, v8
	v_min_u32_e32 v0, 32, v0
	v_subrev_nc_u32_e32 v1, 28, v0
	v_sub_nc_u32_e32 v0, 29, v0
	v_lshlrev_b64 v[3:4], v1, v[8:9]
	v_and_b32_e32 v34, 7, v3
; %bb.1176:                             ;   in Loop: Header=BB399_11 Depth=1
	s_or_b32 exec_lo, exec_lo, s24
	v_lshlrev_b32_e32 v1, 16, v32
	v_lshlrev_b32_e32 v3, 20, v34
	v_lshl_add_u32 v0, v0, 23, 0x3c000000
	v_and_b32_e32 v1, 0x80000000, v1
	v_or3_b32 v10, v3, v1, v0
.LBB399_1177:                           ;   in Loop: Header=BB399_11 Depth=1
	s_or_b32 exec_lo, exec_lo, s23
.LBB399_1178:                           ;   in Loop: Header=BB399_11 Depth=1
	s_or_b32 exec_lo, exec_lo, s17
.LBB399_1179:                           ;   in Loop: Header=BB399_11 Depth=1
	s_or_b32 exec_lo, exec_lo, s6
	v_mov_b32_e32 v0, 0xff
	s_mov_b32 s6, exec_lo
	v_and_b32_sdwa v0, v32, v0 dst_sel:DWORD dst_unused:UNUSED_PAD src0_sel:WORD_1 src1_sel:DWORD
	v_cmpx_ne_u16_e32 0, v0
	s_cbranch_execz .LBB399_1187
; %bb.1180:                             ;   in Loop: Header=BB399_11 Depth=1
	v_bfrev_b32_e32 v11, 1
	s_mov_b32 s17, exec_lo
	v_cmpx_ne_u16_e32 0x80, v0
	s_cbranch_execz .LBB399_1186
; %bb.1181:                             ;   in Loop: Header=BB399_11 Depth=1
	v_bfe_u32 v1, v32, 16, 7
	v_mov_b32_e32 v11, 0x7f800001
	s_mov_b32 s23, exec_lo
	v_cmpx_ne_u32_e32 0x7f, v1
	s_cbranch_execz .LBB399_1185
; %bb.1182:                             ;   in Loop: Header=BB399_11 Depth=1
	v_mov_b32_e32 v0, 7
	s_mov_b32 s24, exec_lo
	v_and_b32_sdwa v8, v32, v0 dst_sel:DWORD dst_unused:UNUSED_PAD src0_sel:WORD_1 src1_sel:DWORD
	v_mov_b32_e32 v35, v9
	v_lshrrev_b32_e32 v0, 3, v1
	v_mov_b32_e32 v34, v8
	v_cmpx_gt_u32_e32 8, v1
; %bb.1183:                             ;   in Loop: Header=BB399_11 Depth=1
	v_ffbh_u32_e32 v0, v8
	v_min_u32_e32 v0, 32, v0
	v_subrev_nc_u32_e32 v1, 28, v0
	v_sub_nc_u32_e32 v0, 29, v0
	v_lshlrev_b64 v[3:4], v1, v[8:9]
	v_and_b32_e32 v34, 7, v3
; %bb.1184:                             ;   in Loop: Header=BB399_11 Depth=1
	s_or_b32 exec_lo, exec_lo, s24
	v_mov_b32_e32 v1, 24
	v_lshlrev_b32_e32 v3, 20, v34
	v_lshl_add_u32 v0, v0, 23, 0x3c000000
	v_lshlrev_b32_sdwa v1, v1, v32 dst_sel:DWORD dst_unused:UNUSED_PAD src0_sel:DWORD src1_sel:WORD_1
	v_and_b32_e32 v1, 0x80000000, v1
	v_or3_b32 v11, v3, v1, v0
.LBB399_1185:                           ;   in Loop: Header=BB399_11 Depth=1
	s_or_b32 exec_lo, exec_lo, s23
.LBB399_1186:                           ;   in Loop: Header=BB399_11 Depth=1
	s_or_b32 exec_lo, exec_lo, s17
.LBB399_1187:                           ;   in Loop: Header=BB399_11 Depth=1
	s_or_b32 exec_lo, exec_lo, s6
	v_mov_b32_e32 v95, 0
	v_mov_b32_e32 v5, 0
	s_mov_b32 s6, exec_lo
	v_cmpx_lt_u32_e32 0xffffff, v32
	s_cbranch_execz .LBB399_1195
; %bb.1188:                             ;   in Loop: Header=BB399_11 Depth=1
	v_cmp_ne_u32_sdwa s5, v32, v41 src0_sel:BYTE_3 src1_sel:DWORD
	v_bfrev_b32_e32 v5, 1
	s_and_saveexec_b32 s17, s5
	s_cbranch_execz .LBB399_1194
; %bb.1189:                             ;   in Loop: Header=BB399_11 Depth=1
	v_bfe_u32 v1, v32, 24, 7
	v_mov_b32_e32 v5, 0x7f800001
	s_mov_b32 s23, exec_lo
	v_cmpx_ne_u32_e32 0x7f, v1
	s_cbranch_execz .LBB399_1193
; %bb.1190:                             ;   in Loop: Header=BB399_11 Depth=1
	v_mov_b32_e32 v0, 7
	s_mov_b32 s24, exec_lo
	v_and_b32_sdwa v8, v32, v0 dst_sel:DWORD dst_unused:UNUSED_PAD src0_sel:BYTE_3 src1_sel:DWORD
	v_mov_b32_e32 v35, v9
	v_lshrrev_b32_e32 v0, 3, v1
	v_mov_b32_e32 v34, v8
	v_cmpx_gt_u32_e32 8, v1
; %bb.1191:                             ;   in Loop: Header=BB399_11 Depth=1
	v_ffbh_u32_e32 v0, v8
	v_min_u32_e32 v0, 32, v0
	v_subrev_nc_u32_e32 v1, 28, v0
	v_sub_nc_u32_e32 v0, 29, v0
	v_lshlrev_b64 v[3:4], v1, v[8:9]
	v_and_b32_e32 v34, 7, v3
; %bb.1192:                             ;   in Loop: Header=BB399_11 Depth=1
	s_or_b32 exec_lo, exec_lo, s24
	v_mov_b32_e32 v1, 24
	v_lshlrev_b32_e32 v3, 20, v34
	v_lshl_add_u32 v0, v0, 23, 0x3c000000
	v_lshlrev_b32_sdwa v1, v1, v32 dst_sel:DWORD dst_unused:UNUSED_PAD src0_sel:DWORD src1_sel:BYTE_3
	v_and_b32_e32 v1, 0x80000000, v1
	v_or3_b32 v5, v3, v1, v0
.LBB399_1193:                           ;   in Loop: Header=BB399_11 Depth=1
	s_or_b32 exec_lo, exec_lo, s23
.LBB399_1194:                           ;   in Loop: Header=BB399_11 Depth=1
	s_or_b32 exec_lo, exec_lo, s17
.LBB399_1195:                           ;   in Loop: Header=BB399_11 Depth=1
	s_or_b32 exec_lo, exec_lo, s6
	v_mov_b32_e32 v8, v33
	v_cmp_ne_u16_sdwa s5, v33, v9 src0_sel:BYTE_0 src1_sel:DWORD
	s_and_saveexec_b32 s6, s5
	s_cbranch_execz .LBB399_1203
; %bb.1196:                             ;   in Loop: Header=BB399_11 Depth=1
	v_cmp_ne_u16_sdwa s5, v33, v41 src0_sel:BYTE_0 src1_sel:DWORD
	v_bfrev_b32_e32 v95, 1
	s_and_saveexec_b32 s17, s5
	s_cbranch_execz .LBB399_1202
; %bb.1197:                             ;   in Loop: Header=BB399_11 Depth=1
	v_and_b32_e32 v1, 0x7f, v33
	v_mov_b32_e32 v95, 0x7f800001
	s_mov_b32 s23, exec_lo
	v_cmpx_ne_u32_e32 0x7f, v1
	s_cbranch_execz .LBB399_1201
; %bb.1198:                             ;   in Loop: Header=BB399_11 Depth=1
	v_mov_b32_e32 v35, v9
	v_mov_b32_e32 v34, v8
	v_lshrrev_b32_e32 v0, 3, v1
	s_mov_b32 s24, exec_lo
	v_cmpx_gt_u32_e32 8, v1
; %bb.1199:                             ;   in Loop: Header=BB399_11 Depth=1
	v_and_b32_e32 v0, 7, v33
	v_ffbh_u32_e32 v0, v0
	v_min_u32_e32 v0, 32, v0
	v_subrev_nc_u32_e32 v1, 28, v0
	v_sub_nc_u32_e32 v0, 29, v0
	v_lshlrev_b64 v[34:35], v1, v[8:9]
; %bb.1200:                             ;   in Loop: Header=BB399_11 Depth=1
	s_or_b32 exec_lo, exec_lo, s24
	v_lshlrev_b32_e32 v1, 20, v34
	v_lshlrev_b32_e32 v3, 24, v8
	v_lshl_add_u32 v0, v0, 23, 0x3c000000
	v_and_b32_e32 v1, 0x700000, v1
	v_and_b32_e32 v3, 0x80000000, v3
	v_or3_b32 v95, v1, v3, v0
.LBB399_1201:                           ;   in Loop: Header=BB399_11 Depth=1
	s_or_b32 exec_lo, exec_lo, s23
.LBB399_1202:                           ;   in Loop: Header=BB399_11 Depth=1
	s_or_b32 exec_lo, exec_lo, s17
.LBB399_1203:                           ;   in Loop: Header=BB399_11 Depth=1
	s_or_b32 exec_lo, exec_lo, s6
	v_cmp_ne_u16_sdwa s5, v8, v9 src0_sel:BYTE_1 src1_sel:DWORD
	v_mov_b32_e32 v4, 0
	v_mov_b32_e32 v78, 0
	s_and_saveexec_b32 s6, s5
	s_cbranch_execz .LBB399_1211
; %bb.1204:                             ;   in Loop: Header=BB399_11 Depth=1
	v_cmp_ne_u16_sdwa s5, v8, v41 src0_sel:BYTE_1 src1_sel:DWORD
	v_bfrev_b32_e32 v78, 1
	s_and_saveexec_b32 s17, s5
	s_cbranch_execz .LBB399_1210
; %bb.1205:                             ;   in Loop: Header=BB399_11 Depth=1
	v_mov_b32_e32 v0, 0xffff
	v_mov_b32_e32 v78, 0x7f800001
	s_mov_b32 s23, exec_lo
	v_and_b32_sdwa v0, v0, v8 dst_sel:DWORD dst_unused:UNUSED_PAD src0_sel:DWORD src1_sel:BYTE_1
	v_and_b32_e32 v1, 0x7f, v0
	v_cmpx_ne_u32_e32 0x7f, v1
	s_cbranch_execz .LBB399_1209
; %bb.1206:                             ;   in Loop: Header=BB399_11 Depth=1
	v_and_b32_e32 v34, 7, v0
	v_mov_b32_e32 v35, v9
	v_lshrrev_b32_e32 v0, 3, v1
	s_mov_b32 s24, exec_lo
	v_cmpx_gt_u32_e32 8, v1
; %bb.1207:                             ;   in Loop: Header=BB399_11 Depth=1
	v_ffbh_u32_e32 v0, v34
	v_min_u32_e32 v0, 32, v0
	v_subrev_nc_u32_e32 v1, 28, v0
	v_sub_nc_u32_e32 v0, 29, v0
	v_lshlrev_b64 v[6:7], v1, v[34:35]
	v_and_b32_e32 v34, 7, v6
; %bb.1208:                             ;   in Loop: Header=BB399_11 Depth=1
	s_or_b32 exec_lo, exec_lo, s24
	v_lshlrev_b32_e32 v1, 16, v8
	v_lshlrev_b32_e32 v3, 20, v34
	v_lshl_add_u32 v0, v0, 23, 0x3c000000
	v_and_b32_e32 v1, 0x80000000, v1
	v_or3_b32 v78, v3, v1, v0
.LBB399_1209:                           ;   in Loop: Header=BB399_11 Depth=1
	s_or_b32 exec_lo, exec_lo, s23
.LBB399_1210:                           ;   in Loop: Header=BB399_11 Depth=1
	s_or_b32 exec_lo, exec_lo, s17
.LBB399_1211:                           ;   in Loop: Header=BB399_11 Depth=1
	s_or_b32 exec_lo, exec_lo, s6
	v_mov_b32_e32 v0, 0xff
	s_mov_b32 s6, exec_lo
	v_and_b32_sdwa v0, v33, v0 dst_sel:DWORD dst_unused:UNUSED_PAD src0_sel:WORD_1 src1_sel:DWORD
	v_cmpx_ne_u16_e32 0, v0
	s_cbranch_execz .LBB399_1219
; %bb.1212:                             ;   in Loop: Header=BB399_11 Depth=1
	v_bfrev_b32_e32 v4, 1
	s_mov_b32 s17, exec_lo
	v_cmpx_ne_u16_e32 0x80, v0
	s_cbranch_execz .LBB399_1218
; %bb.1213:                             ;   in Loop: Header=BB399_11 Depth=1
	v_bfe_u32 v1, v33, 16, 7
	v_mov_b32_e32 v4, 0x7f800001
	s_mov_b32 s23, exec_lo
	v_cmpx_ne_u32_e32 0x7f, v1
	s_cbranch_execz .LBB399_1217
; %bb.1214:                             ;   in Loop: Header=BB399_11 Depth=1
	v_mov_b32_e32 v0, 7
	s_mov_b32 s24, exec_lo
	v_and_b32_sdwa v8, v33, v0 dst_sel:DWORD dst_unused:UNUSED_PAD src0_sel:WORD_1 src1_sel:DWORD
	v_mov_b32_e32 v35, v9
	v_lshrrev_b32_e32 v0, 3, v1
	v_mov_b32_e32 v34, v8
	v_cmpx_gt_u32_e32 8, v1
; %bb.1215:                             ;   in Loop: Header=BB399_11 Depth=1
	v_ffbh_u32_e32 v0, v8
	v_min_u32_e32 v0, 32, v0
	v_subrev_nc_u32_e32 v1, 28, v0
	v_sub_nc_u32_e32 v0, 29, v0
	v_lshlrev_b64 v[3:4], v1, v[8:9]
	v_and_b32_e32 v34, 7, v3
; %bb.1216:                             ;   in Loop: Header=BB399_11 Depth=1
	s_or_b32 exec_lo, exec_lo, s24
	v_mov_b32_e32 v1, 24
	v_lshlrev_b32_e32 v3, 20, v34
	v_lshl_add_u32 v0, v0, 23, 0x3c000000
	v_lshlrev_b32_sdwa v1, v1, v33 dst_sel:DWORD dst_unused:UNUSED_PAD src0_sel:DWORD src1_sel:WORD_1
	v_and_b32_e32 v1, 0x80000000, v1
	v_or3_b32 v4, v3, v1, v0
.LBB399_1217:                           ;   in Loop: Header=BB399_11 Depth=1
	s_or_b32 exec_lo, exec_lo, s23
.LBB399_1218:                           ;   in Loop: Header=BB399_11 Depth=1
	s_or_b32 exec_lo, exec_lo, s17
.LBB399_1219:                           ;   in Loop: Header=BB399_11 Depth=1
	s_or_b32 exec_lo, exec_lo, s6
	v_mov_b32_e32 v23, 0
	v_mov_b32_e32 v12, 0
	s_mov_b32 s6, exec_lo
	v_cmpx_lt_u64_e64 s[8:9], v[32:33]
	s_cbranch_execz .LBB399_1227
; %bb.1220:                             ;   in Loop: Header=BB399_11 Depth=1
	v_cmp_ne_u32_sdwa s5, v33, v41 src0_sel:BYTE_3 src1_sel:DWORD
	v_bfrev_b32_e32 v12, 1
	s_and_saveexec_b32 s17, s5
	s_cbranch_execz .LBB399_1226
; %bb.1221:                             ;   in Loop: Header=BB399_11 Depth=1
	v_bfe_u32 v1, v33, 24, 7
	v_mov_b32_e32 v12, 0x7f800001
	s_mov_b32 s23, exec_lo
	v_cmpx_ne_u32_e32 0x7f, v1
	s_cbranch_execz .LBB399_1225
; %bb.1222:                             ;   in Loop: Header=BB399_11 Depth=1
	v_mov_b32_e32 v0, 7
	s_mov_b32 s24, exec_lo
	v_and_b32_sdwa v8, v33, v0 dst_sel:DWORD dst_unused:UNUSED_PAD src0_sel:BYTE_3 src1_sel:DWORD
	v_mov_b32_e32 v35, v9
	v_lshrrev_b32_e32 v0, 3, v1
	v_mov_b32_e32 v34, v8
	v_cmpx_gt_u32_e32 8, v1
; %bb.1223:                             ;   in Loop: Header=BB399_11 Depth=1
	v_ffbh_u32_e32 v0, v8
	v_min_u32_e32 v0, 32, v0
	v_subrev_nc_u32_e32 v1, 28, v0
	v_sub_nc_u32_e32 v0, 29, v0
	v_lshlrev_b64 v[6:7], v1, v[8:9]
	v_and_b32_e32 v34, 7, v6
; %bb.1224:                             ;   in Loop: Header=BB399_11 Depth=1
	s_or_b32 exec_lo, exec_lo, s24
	v_mov_b32_e32 v1, 24
	v_lshlrev_b32_e32 v3, 20, v34
	v_lshl_add_u32 v0, v0, 23, 0x3c000000
	v_lshlrev_b32_sdwa v1, v1, v33 dst_sel:DWORD dst_unused:UNUSED_PAD src0_sel:DWORD src1_sel:BYTE_3
	v_and_b32_e32 v1, 0x80000000, v1
	v_or3_b32 v12, v3, v1, v0
.LBB399_1225:                           ;   in Loop: Header=BB399_11 Depth=1
	s_or_b32 exec_lo, exec_lo, s23
.LBB399_1226:                           ;   in Loop: Header=BB399_11 Depth=1
	s_or_b32 exec_lo, exec_lo, s17
.LBB399_1227:                           ;   in Loop: Header=BB399_11 Depth=1
	s_or_b32 exec_lo, exec_lo, s6
	flat_load_dwordx2 v[32:33], v[30:31] offset:520
	s_waitcnt vmcnt(0) lgkmcnt(0)
	v_cmp_ne_u16_sdwa s5, v32, v9 src0_sel:BYTE_0 src1_sel:DWORD
	s_and_saveexec_b32 s6, s5
	s_cbranch_execz .LBB399_1235
; %bb.1228:                             ;   in Loop: Header=BB399_11 Depth=1
	v_cmp_ne_u16_sdwa s5, v32, v41 src0_sel:BYTE_0 src1_sel:DWORD
	v_bfrev_b32_e32 v23, 1
	s_and_saveexec_b32 s17, s5
	s_cbranch_execz .LBB399_1234
; %bb.1229:                             ;   in Loop: Header=BB399_11 Depth=1
	v_and_b32_e32 v1, 0x7f, v32
	v_mov_b32_e32 v23, 0x7f800001
	s_mov_b32 s23, exec_lo
	v_cmpx_ne_u32_e32 0x7f, v1
	s_cbranch_execz .LBB399_1233
; %bb.1230:                             ;   in Loop: Header=BB399_11 Depth=1
	v_mov_b32_e32 v35, v33
	v_lshrrev_b32_e32 v0, 3, v1
	v_mov_b32_e32 v34, v32
	s_mov_b32 s24, exec_lo
	v_cmpx_gt_u32_e32 8, v1
; %bb.1231:                             ;   in Loop: Header=BB399_11 Depth=1
	v_and_b32_e32 v0, 7, v32
	v_ffbh_u32_e32 v0, v0
	v_min_u32_e32 v0, 32, v0
	v_subrev_nc_u32_e32 v1, 28, v0
	v_sub_nc_u32_e32 v0, 29, v0
	v_lshlrev_b64 v[34:35], v1, v[32:33]
; %bb.1232:                             ;   in Loop: Header=BB399_11 Depth=1
	s_or_b32 exec_lo, exec_lo, s24
	v_lshlrev_b32_e32 v1, 20, v34
	v_lshlrev_b32_e32 v3, 24, v32
	v_lshl_add_u32 v0, v0, 23, 0x3c000000
	v_and_b32_e32 v1, 0x700000, v1
	v_and_b32_e32 v3, 0x80000000, v3
	v_or3_b32 v23, v1, v3, v0
.LBB399_1233:                           ;   in Loop: Header=BB399_11 Depth=1
	s_or_b32 exec_lo, exec_lo, s23
.LBB399_1234:                           ;   in Loop: Header=BB399_11 Depth=1
	s_or_b32 exec_lo, exec_lo, s17
.LBB399_1235:                           ;   in Loop: Header=BB399_11 Depth=1
	s_or_b32 exec_lo, exec_lo, s6
	v_cmp_ne_u16_sdwa s5, v32, v9 src0_sel:BYTE_1 src1_sel:DWORD
	v_mov_b32_e32 v14, 0
	v_mov_b32_e32 v6, 0
	s_and_saveexec_b32 s6, s5
	s_cbranch_execz .LBB399_1243
; %bb.1236:                             ;   in Loop: Header=BB399_11 Depth=1
	v_cmp_ne_u16_sdwa s5, v32, v41 src0_sel:BYTE_1 src1_sel:DWORD
	v_bfrev_b32_e32 v6, 1
	s_and_saveexec_b32 s17, s5
	s_cbranch_execz .LBB399_1242
; %bb.1237:                             ;   in Loop: Header=BB399_11 Depth=1
	v_mov_b32_e32 v0, 0xffff
	v_mov_b32_e32 v6, 0x7f800001
	s_mov_b32 s23, exec_lo
	v_and_b32_sdwa v0, v0, v32 dst_sel:DWORD dst_unused:UNUSED_PAD src0_sel:DWORD src1_sel:BYTE_1
	v_and_b32_e32 v1, 0x7f, v0
	v_cmpx_ne_u32_e32 0x7f, v1
	s_cbranch_execz .LBB399_1241
; %bb.1238:                             ;   in Loop: Header=BB399_11 Depth=1
	v_and_b32_e32 v8, 7, v0
	v_mov_b32_e32 v35, v9
	v_lshrrev_b32_e32 v0, 3, v1
	s_mov_b32 s24, exec_lo
	v_mov_b32_e32 v34, v8
	v_cmpx_gt_u32_e32 8, v1
; %bb.1239:                             ;   in Loop: Header=BB399_11 Depth=1
	v_ffbh_u32_e32 v0, v8
	v_min_u32_e32 v0, 32, v0
	v_subrev_nc_u32_e32 v1, 28, v0
	v_sub_nc_u32_e32 v0, 29, v0
	v_lshlrev_b64 v[6:7], v1, v[8:9]
	v_and_b32_e32 v34, 7, v6
; %bb.1240:                             ;   in Loop: Header=BB399_11 Depth=1
	s_or_b32 exec_lo, exec_lo, s24
	v_lshlrev_b32_e32 v1, 16, v32
	v_lshlrev_b32_e32 v3, 20, v34
	v_lshl_add_u32 v0, v0, 23, 0x3c000000
	v_and_b32_e32 v1, 0x80000000, v1
	v_or3_b32 v6, v3, v1, v0
.LBB399_1241:                           ;   in Loop: Header=BB399_11 Depth=1
	s_or_b32 exec_lo, exec_lo, s23
.LBB399_1242:                           ;   in Loop: Header=BB399_11 Depth=1
	s_or_b32 exec_lo, exec_lo, s17
.LBB399_1243:                           ;   in Loop: Header=BB399_11 Depth=1
	s_or_b32 exec_lo, exec_lo, s6
	v_mov_b32_e32 v0, 0xff
	s_mov_b32 s6, exec_lo
	v_and_b32_sdwa v0, v32, v0 dst_sel:DWORD dst_unused:UNUSED_PAD src0_sel:WORD_1 src1_sel:DWORD
	v_cmpx_ne_u16_e32 0, v0
	s_cbranch_execz .LBB399_1251
; %bb.1244:                             ;   in Loop: Header=BB399_11 Depth=1
	v_bfrev_b32_e32 v14, 1
	s_mov_b32 s17, exec_lo
	v_cmpx_ne_u16_e32 0x80, v0
	s_cbranch_execz .LBB399_1250
; %bb.1245:                             ;   in Loop: Header=BB399_11 Depth=1
	v_bfe_u32 v1, v32, 16, 7
	v_mov_b32_e32 v14, 0x7f800001
	s_mov_b32 s23, exec_lo
	v_cmpx_ne_u32_e32 0x7f, v1
	s_cbranch_execz .LBB399_1249
; %bb.1246:                             ;   in Loop: Header=BB399_11 Depth=1
	v_mov_b32_e32 v0, 7
	s_mov_b32 s24, exec_lo
	v_and_b32_sdwa v8, v32, v0 dst_sel:DWORD dst_unused:UNUSED_PAD src0_sel:WORD_1 src1_sel:DWORD
	v_mov_b32_e32 v35, v9
	v_lshrrev_b32_e32 v0, 3, v1
	v_mov_b32_e32 v34, v8
	v_cmpx_gt_u32_e32 8, v1
; %bb.1247:                             ;   in Loop: Header=BB399_11 Depth=1
	v_ffbh_u32_e32 v0, v8
	v_min_u32_e32 v0, 32, v0
	v_subrev_nc_u32_e32 v1, 28, v0
	v_sub_nc_u32_e32 v0, 29, v0
	v_lshlrev_b64 v[7:8], v1, v[8:9]
	v_and_b32_e32 v34, 7, v7
; %bb.1248:                             ;   in Loop: Header=BB399_11 Depth=1
	s_or_b32 exec_lo, exec_lo, s24
	v_mov_b32_e32 v1, 24
	v_lshlrev_b32_e32 v3, 20, v34
	v_lshl_add_u32 v0, v0, 23, 0x3c000000
	v_lshlrev_b32_sdwa v1, v1, v32 dst_sel:DWORD dst_unused:UNUSED_PAD src0_sel:DWORD src1_sel:WORD_1
	v_and_b32_e32 v1, 0x80000000, v1
	v_or3_b32 v14, v3, v1, v0
.LBB399_1249:                           ;   in Loop: Header=BB399_11 Depth=1
	s_or_b32 exec_lo, exec_lo, s23
.LBB399_1250:                           ;   in Loop: Header=BB399_11 Depth=1
	s_or_b32 exec_lo, exec_lo, s17
.LBB399_1251:                           ;   in Loop: Header=BB399_11 Depth=1
	s_or_b32 exec_lo, exec_lo, s6
	v_mov_b32_e32 v106, 0
	v_mov_b32_e32 v0, 0
	s_mov_b32 s6, exec_lo
	v_cmpx_lt_u32_e32 0xffffff, v32
	s_cbranch_execz .LBB399_1259
; %bb.1252:                             ;   in Loop: Header=BB399_11 Depth=1
	v_cmp_ne_u32_sdwa s5, v32, v41 src0_sel:BYTE_3 src1_sel:DWORD
	v_bfrev_b32_e32 v0, 1
	s_and_saveexec_b32 s17, s5
	s_cbranch_execz .LBB399_1258
; %bb.1253:                             ;   in Loop: Header=BB399_11 Depth=1
	v_bfe_u32 v1, v32, 24, 7
	v_mov_b32_e32 v0, 0x7f800001
	s_mov_b32 s23, exec_lo
	v_cmpx_ne_u32_e32 0x7f, v1
	s_cbranch_execz .LBB399_1257
; %bb.1254:                             ;   in Loop: Header=BB399_11 Depth=1
	v_mov_b32_e32 v0, 7
	s_mov_b32 s24, exec_lo
	v_and_b32_sdwa v8, v32, v0 dst_sel:DWORD dst_unused:UNUSED_PAD src0_sel:BYTE_3 src1_sel:DWORD
	v_mov_b32_e32 v35, v9
	v_lshrrev_b32_e32 v0, 3, v1
	v_mov_b32_e32 v34, v8
	v_cmpx_gt_u32_e32 8, v1
; %bb.1255:                             ;   in Loop: Header=BB399_11 Depth=1
	v_ffbh_u32_e32 v0, v8
	v_min_u32_e32 v0, 32, v0
	v_subrev_nc_u32_e32 v1, 28, v0
	v_sub_nc_u32_e32 v0, 29, v0
	v_lshlrev_b64 v[7:8], v1, v[8:9]
	v_and_b32_e32 v34, 7, v7
; %bb.1256:                             ;   in Loop: Header=BB399_11 Depth=1
	s_or_b32 exec_lo, exec_lo, s24
	v_mov_b32_e32 v1, 24
	v_lshlrev_b32_e32 v3, 20, v34
	v_lshl_add_u32 v0, v0, 23, 0x3c000000
	v_lshlrev_b32_sdwa v1, v1, v32 dst_sel:DWORD dst_unused:UNUSED_PAD src0_sel:DWORD src1_sel:BYTE_3
	v_and_b32_e32 v1, 0x80000000, v1
	v_or3_b32 v0, v3, v1, v0
.LBB399_1257:                           ;   in Loop: Header=BB399_11 Depth=1
	s_or_b32 exec_lo, exec_lo, s23
.LBB399_1258:                           ;   in Loop: Header=BB399_11 Depth=1
	s_or_b32 exec_lo, exec_lo, s17
.LBB399_1259:                           ;   in Loop: Header=BB399_11 Depth=1
	s_or_b32 exec_lo, exec_lo, s6
	v_mov_b32_e32 v8, v33
	v_cmp_ne_u16_sdwa s5, v33, v9 src0_sel:BYTE_0 src1_sel:DWORD
	s_and_saveexec_b32 s6, s5
	s_cbranch_execz .LBB399_1267
; %bb.1260:                             ;   in Loop: Header=BB399_11 Depth=1
	v_cmp_ne_u16_sdwa s5, v33, v41 src0_sel:BYTE_0 src1_sel:DWORD
	v_bfrev_b32_e32 v106, 1
	s_and_saveexec_b32 s17, s5
	s_cbranch_execz .LBB399_1266
; %bb.1261:                             ;   in Loop: Header=BB399_11 Depth=1
	v_and_b32_e32 v3, 0x7f, v33
	v_mov_b32_e32 v106, 0x7f800001
	s_mov_b32 s23, exec_lo
	v_cmpx_ne_u32_e32 0x7f, v3
	s_cbranch_execz .LBB399_1265
; %bb.1262:                             ;   in Loop: Header=BB399_11 Depth=1
	v_mov_b32_e32 v35, v9
	v_mov_b32_e32 v34, v8
	v_lshrrev_b32_e32 v1, 3, v3
	s_mov_b32 s24, exec_lo
	v_cmpx_gt_u32_e32 8, v3
; %bb.1263:                             ;   in Loop: Header=BB399_11 Depth=1
	v_and_b32_e32 v1, 7, v33
	v_ffbh_u32_e32 v1, v1
	v_min_u32_e32 v1, 32, v1
	v_subrev_nc_u32_e32 v3, 28, v1
	v_sub_nc_u32_e32 v1, 29, v1
	v_lshlrev_b64 v[34:35], v3, v[8:9]
; %bb.1264:                             ;   in Loop: Header=BB399_11 Depth=1
	s_or_b32 exec_lo, exec_lo, s24
	v_lshlrev_b32_e32 v3, 20, v34
	v_lshlrev_b32_e32 v7, 24, v8
	v_lshl_add_u32 v1, v1, 23, 0x3c000000
	v_and_b32_e32 v3, 0x700000, v3
	v_and_b32_e32 v7, 0x80000000, v7
	v_or3_b32 v106, v3, v7, v1
.LBB399_1265:                           ;   in Loop: Header=BB399_11 Depth=1
	s_or_b32 exec_lo, exec_lo, s23
.LBB399_1266:                           ;   in Loop: Header=BB399_11 Depth=1
	s_or_b32 exec_lo, exec_lo, s17
.LBB399_1267:                           ;   in Loop: Header=BB399_11 Depth=1
	s_or_b32 exec_lo, exec_lo, s6
	v_cmp_ne_u16_sdwa s5, v8, v9 src0_sel:BYTE_1 src1_sel:DWORD
	v_mov_b32_e32 v7, 0
	v_mov_b32_e32 v26, 0
	s_and_saveexec_b32 s6, s5
	s_cbranch_execz .LBB399_1275
; %bb.1268:                             ;   in Loop: Header=BB399_11 Depth=1
	v_cmp_ne_u16_sdwa s5, v8, v41 src0_sel:BYTE_1 src1_sel:DWORD
	v_bfrev_b32_e32 v26, 1
	s_and_saveexec_b32 s17, s5
	s_cbranch_execz .LBB399_1274
; %bb.1269:                             ;   in Loop: Header=BB399_11 Depth=1
	v_mov_b32_e32 v1, 0xffff
	v_mov_b32_e32 v26, 0x7f800001
	s_mov_b32 s23, exec_lo
	v_and_b32_sdwa v1, v1, v8 dst_sel:DWORD dst_unused:UNUSED_PAD src0_sel:DWORD src1_sel:BYTE_1
	v_and_b32_e32 v3, 0x7f, v1
	v_cmpx_ne_u32_e32 0x7f, v3
	s_cbranch_execz .LBB399_1273
; %bb.1270:                             ;   in Loop: Header=BB399_11 Depth=1
	v_and_b32_e32 v34, 7, v1
	v_mov_b32_e32 v35, v9
	v_lshrrev_b32_e32 v1, 3, v3
	s_mov_b32 s24, exec_lo
	v_cmpx_gt_u32_e32 8, v3
; %bb.1271:                             ;   in Loop: Header=BB399_11 Depth=1
	v_ffbh_u32_e32 v1, v34
	v_min_u32_e32 v1, 32, v1
	v_subrev_nc_u32_e32 v3, 28, v1
	v_sub_nc_u32_e32 v1, 29, v1
	v_lshlrev_b64 v[15:16], v3, v[34:35]
	v_and_b32_e32 v34, 7, v15
; %bb.1272:                             ;   in Loop: Header=BB399_11 Depth=1
	s_or_b32 exec_lo, exec_lo, s24
	v_lshlrev_b32_e32 v3, 16, v8
	v_lshlrev_b32_e32 v8, 20, v34
	v_lshl_add_u32 v1, v1, 23, 0x3c000000
	v_and_b32_e32 v3, 0x80000000, v3
	v_or3_b32 v26, v8, v3, v1
.LBB399_1273:                           ;   in Loop: Header=BB399_11 Depth=1
	s_or_b32 exec_lo, exec_lo, s23
.LBB399_1274:                           ;   in Loop: Header=BB399_11 Depth=1
	s_or_b32 exec_lo, exec_lo, s17
.LBB399_1275:                           ;   in Loop: Header=BB399_11 Depth=1
	s_or_b32 exec_lo, exec_lo, s6
	v_mov_b32_e32 v1, 0xff
	s_mov_b32 s6, exec_lo
	v_and_b32_sdwa v1, v33, v1 dst_sel:DWORD dst_unused:UNUSED_PAD src0_sel:WORD_1 src1_sel:DWORD
	v_cmpx_ne_u16_e32 0, v1
	s_cbranch_execz .LBB399_1283
; %bb.1276:                             ;   in Loop: Header=BB399_11 Depth=1
	v_bfrev_b32_e32 v7, 1
	s_mov_b32 s17, exec_lo
	v_cmpx_ne_u16_e32 0x80, v1
	s_cbranch_execz .LBB399_1282
; %bb.1277:                             ;   in Loop: Header=BB399_11 Depth=1
	v_bfe_u32 v3, v33, 16, 7
	v_mov_b32_e32 v7, 0x7f800001
	s_mov_b32 s23, exec_lo
	v_cmpx_ne_u32_e32 0x7f, v3
	s_cbranch_execz .LBB399_1281
; %bb.1278:                             ;   in Loop: Header=BB399_11 Depth=1
	v_mov_b32_e32 v1, 7
	s_mov_b32 s24, exec_lo
	v_and_b32_sdwa v8, v33, v1 dst_sel:DWORD dst_unused:UNUSED_PAD src0_sel:WORD_1 src1_sel:DWORD
	v_mov_b32_e32 v35, v9
	v_lshrrev_b32_e32 v1, 3, v3
	v_mov_b32_e32 v34, v8
	v_cmpx_gt_u32_e32 8, v3
; %bb.1279:                             ;   in Loop: Header=BB399_11 Depth=1
	v_ffbh_u32_e32 v1, v8
	v_min_u32_e32 v1, 32, v1
	v_subrev_nc_u32_e32 v3, 28, v1
	v_sub_nc_u32_e32 v1, 29, v1
	v_lshlrev_b64 v[7:8], v3, v[8:9]
	v_and_b32_e32 v34, 7, v7
; %bb.1280:                             ;   in Loop: Header=BB399_11 Depth=1
	s_or_b32 exec_lo, exec_lo, s24
	v_mov_b32_e32 v3, 24
	v_lshlrev_b32_e32 v7, 20, v34
	v_lshl_add_u32 v1, v1, 23, 0x3c000000
	v_lshlrev_b32_sdwa v3, v3, v33 dst_sel:DWORD dst_unused:UNUSED_PAD src0_sel:DWORD src1_sel:WORD_1
	v_and_b32_e32 v3, 0x80000000, v3
	v_or3_b32 v7, v7, v3, v1
.LBB399_1281:                           ;   in Loop: Header=BB399_11 Depth=1
	s_or_b32 exec_lo, exec_lo, s23
.LBB399_1282:                           ;   in Loop: Header=BB399_11 Depth=1
	s_or_b32 exec_lo, exec_lo, s17
.LBB399_1283:                           ;   in Loop: Header=BB399_11 Depth=1
	s_or_b32 exec_lo, exec_lo, s6
	v_mov_b32_e32 v68, 0
	v_mov_b32_e32 v22, 0
	s_mov_b32 s6, exec_lo
	v_cmpx_lt_u64_e64 s[8:9], v[32:33]
	s_cbranch_execz .LBB399_1291
; %bb.1284:                             ;   in Loop: Header=BB399_11 Depth=1
	v_cmp_ne_u32_sdwa s5, v33, v41 src0_sel:BYTE_3 src1_sel:DWORD
	v_bfrev_b32_e32 v22, 1
	s_and_saveexec_b32 s17, s5
	s_cbranch_execz .LBB399_1290
; %bb.1285:                             ;   in Loop: Header=BB399_11 Depth=1
	v_bfe_u32 v3, v33, 24, 7
	v_mov_b32_e32 v22, 0x7f800001
	s_mov_b32 s23, exec_lo
	v_cmpx_ne_u32_e32 0x7f, v3
	s_cbranch_execz .LBB399_1289
; %bb.1286:                             ;   in Loop: Header=BB399_11 Depth=1
	v_mov_b32_e32 v1, 7
	s_mov_b32 s24, exec_lo
	v_and_b32_sdwa v8, v33, v1 dst_sel:DWORD dst_unused:UNUSED_PAD src0_sel:BYTE_3 src1_sel:DWORD
	v_mov_b32_e32 v35, v9
	v_lshrrev_b32_e32 v1, 3, v3
	v_mov_b32_e32 v34, v8
	v_cmpx_gt_u32_e32 8, v3
; %bb.1287:                             ;   in Loop: Header=BB399_11 Depth=1
	v_ffbh_u32_e32 v1, v8
	v_min_u32_e32 v1, 32, v1
	v_subrev_nc_u32_e32 v3, 28, v1
	v_sub_nc_u32_e32 v1, 29, v1
	v_lshlrev_b64 v[15:16], v3, v[8:9]
	v_and_b32_e32 v34, 7, v15
; %bb.1288:                             ;   in Loop: Header=BB399_11 Depth=1
	s_or_b32 exec_lo, exec_lo, s24
	v_mov_b32_e32 v3, 24
	v_lshlrev_b32_e32 v8, 20, v34
	v_lshl_add_u32 v1, v1, 23, 0x3c000000
	v_lshlrev_b32_sdwa v3, v3, v33 dst_sel:DWORD dst_unused:UNUSED_PAD src0_sel:DWORD src1_sel:BYTE_3
	v_and_b32_e32 v3, 0x80000000, v3
	v_or3_b32 v22, v8, v3, v1
.LBB399_1289:                           ;   in Loop: Header=BB399_11 Depth=1
	s_or_b32 exec_lo, exec_lo, s23
.LBB399_1290:                           ;   in Loop: Header=BB399_11 Depth=1
	s_or_b32 exec_lo, exec_lo, s17
.LBB399_1291:                           ;   in Loop: Header=BB399_11 Depth=1
	s_or_b32 exec_lo, exec_lo, s6
	flat_load_dwordx2 v[32:33], v[30:31] offset:1024
	s_waitcnt vmcnt(0) lgkmcnt(0)
	v_cmp_ne_u16_sdwa s5, v32, v9 src0_sel:BYTE_0 src1_sel:DWORD
	s_and_saveexec_b32 s6, s5
	s_cbranch_execz .LBB399_1299
; %bb.1292:                             ;   in Loop: Header=BB399_11 Depth=1
	v_cmp_ne_u16_sdwa s5, v32, v41 src0_sel:BYTE_0 src1_sel:DWORD
	v_bfrev_b32_e32 v68, 1
	s_and_saveexec_b32 s17, s5
	s_cbranch_execz .LBB399_1298
; %bb.1293:                             ;   in Loop: Header=BB399_11 Depth=1
	v_and_b32_e32 v3, 0x7f, v32
	v_mov_b32_e32 v68, 0x7f800001
	s_mov_b32 s23, exec_lo
	v_cmpx_ne_u32_e32 0x7f, v3
	s_cbranch_execz .LBB399_1297
; %bb.1294:                             ;   in Loop: Header=BB399_11 Depth=1
	v_mov_b32_e32 v35, v33
	v_lshrrev_b32_e32 v1, 3, v3
	v_mov_b32_e32 v34, v32
	s_mov_b32 s24, exec_lo
	v_cmpx_gt_u32_e32 8, v3
; %bb.1295:                             ;   in Loop: Header=BB399_11 Depth=1
	v_and_b32_e32 v1, 7, v32
	v_ffbh_u32_e32 v1, v1
	v_min_u32_e32 v1, 32, v1
	v_subrev_nc_u32_e32 v3, 28, v1
	v_sub_nc_u32_e32 v1, 29, v1
	v_lshlrev_b64 v[34:35], v3, v[32:33]
; %bb.1296:                             ;   in Loop: Header=BB399_11 Depth=1
	s_or_b32 exec_lo, exec_lo, s24
	v_lshlrev_b32_e32 v3, 20, v34
	v_lshlrev_b32_e32 v8, 24, v32
	v_lshl_add_u32 v1, v1, 23, 0x3c000000
	v_and_b32_e32 v3, 0x700000, v3
	v_and_b32_e32 v8, 0x80000000, v8
	v_or3_b32 v68, v3, v8, v1
.LBB399_1297:                           ;   in Loop: Header=BB399_11 Depth=1
	s_or_b32 exec_lo, exec_lo, s23
.LBB399_1298:                           ;   in Loop: Header=BB399_11 Depth=1
	s_or_b32 exec_lo, exec_lo, s17
.LBB399_1299:                           ;   in Loop: Header=BB399_11 Depth=1
	s_or_b32 exec_lo, exec_lo, s6
	v_cmp_ne_u16_sdwa s5, v32, v9 src0_sel:BYTE_1 src1_sel:DWORD
	v_mov_b32_e32 v49, 0
	v_mov_b32_e32 v38, 0
	s_and_saveexec_b32 s6, s5
	s_cbranch_execz .LBB399_1307
; %bb.1300:                             ;   in Loop: Header=BB399_11 Depth=1
	v_cmp_ne_u16_sdwa s5, v32, v41 src0_sel:BYTE_1 src1_sel:DWORD
	v_bfrev_b32_e32 v38, 1
	s_and_saveexec_b32 s17, s5
	s_cbranch_execz .LBB399_1306
; %bb.1301:                             ;   in Loop: Header=BB399_11 Depth=1
	v_mov_b32_e32 v1, 0xffff
	v_mov_b32_e32 v38, 0x7f800001
	s_mov_b32 s23, exec_lo
	v_and_b32_sdwa v1, v1, v32 dst_sel:DWORD dst_unused:UNUSED_PAD src0_sel:DWORD src1_sel:BYTE_1
	v_and_b32_e32 v3, 0x7f, v1
	v_cmpx_ne_u32_e32 0x7f, v3
	s_cbranch_execz .LBB399_1305
; %bb.1302:                             ;   in Loop: Header=BB399_11 Depth=1
	v_and_b32_e32 v8, 7, v1
	v_mov_b32_e32 v35, v9
	v_lshrrev_b32_e32 v1, 3, v3
	s_mov_b32 s24, exec_lo
	v_mov_b32_e32 v34, v8
	v_cmpx_gt_u32_e32 8, v3
; %bb.1303:                             ;   in Loop: Header=BB399_11 Depth=1
	v_ffbh_u32_e32 v1, v8
	v_min_u32_e32 v1, 32, v1
	v_subrev_nc_u32_e32 v3, 28, v1
	v_sub_nc_u32_e32 v1, 29, v1
	v_lshlrev_b64 v[15:16], v3, v[8:9]
	v_and_b32_e32 v34, 7, v15
; %bb.1304:                             ;   in Loop: Header=BB399_11 Depth=1
	s_or_b32 exec_lo, exec_lo, s24
	v_lshlrev_b32_e32 v3, 16, v32
	v_lshlrev_b32_e32 v8, 20, v34
	v_lshl_add_u32 v1, v1, 23, 0x3c000000
	v_and_b32_e32 v3, 0x80000000, v3
	v_or3_b32 v38, v8, v3, v1
.LBB399_1305:                           ;   in Loop: Header=BB399_11 Depth=1
	s_or_b32 exec_lo, exec_lo, s23
.LBB399_1306:                           ;   in Loop: Header=BB399_11 Depth=1
	s_or_b32 exec_lo, exec_lo, s17
.LBB399_1307:                           ;   in Loop: Header=BB399_11 Depth=1
	s_or_b32 exec_lo, exec_lo, s6
	v_mov_b32_e32 v1, 0xff
	s_mov_b32 s6, exec_lo
	v_and_b32_sdwa v1, v32, v1 dst_sel:DWORD dst_unused:UNUSED_PAD src0_sel:WORD_1 src1_sel:DWORD
	v_cmpx_ne_u16_e32 0, v1
	s_cbranch_execz .LBB399_1315
; %bb.1308:                             ;   in Loop: Header=BB399_11 Depth=1
	v_bfrev_b32_e32 v49, 1
	s_mov_b32 s17, exec_lo
	v_cmpx_ne_u16_e32 0x80, v1
	s_cbranch_execz .LBB399_1314
; %bb.1309:                             ;   in Loop: Header=BB399_11 Depth=1
	v_bfe_u32 v3, v32, 16, 7
	v_mov_b32_e32 v49, 0x7f800001
	s_mov_b32 s23, exec_lo
	v_cmpx_ne_u32_e32 0x7f, v3
	s_cbranch_execz .LBB399_1313
; %bb.1310:                             ;   in Loop: Header=BB399_11 Depth=1
	v_mov_b32_e32 v1, 7
	s_mov_b32 s24, exec_lo
	v_and_b32_sdwa v8, v32, v1 dst_sel:DWORD dst_unused:UNUSED_PAD src0_sel:WORD_1 src1_sel:DWORD
	v_mov_b32_e32 v35, v9
	v_lshrrev_b32_e32 v1, 3, v3
	v_mov_b32_e32 v34, v8
	v_cmpx_gt_u32_e32 8, v3
; %bb.1311:                             ;   in Loop: Header=BB399_11 Depth=1
	v_ffbh_u32_e32 v1, v8
	v_min_u32_e32 v1, 32, v1
	v_subrev_nc_u32_e32 v3, 28, v1
	v_sub_nc_u32_e32 v1, 29, v1
	v_lshlrev_b64 v[15:16], v3, v[8:9]
	v_and_b32_e32 v34, 7, v15
; %bb.1312:                             ;   in Loop: Header=BB399_11 Depth=1
	s_or_b32 exec_lo, exec_lo, s24
	v_mov_b32_e32 v3, 24
	v_lshlrev_b32_e32 v8, 20, v34
	v_lshl_add_u32 v1, v1, 23, 0x3c000000
	v_lshlrev_b32_sdwa v3, v3, v32 dst_sel:DWORD dst_unused:UNUSED_PAD src0_sel:DWORD src1_sel:WORD_1
	v_and_b32_e32 v3, 0x80000000, v3
	v_or3_b32 v49, v8, v3, v1
.LBB399_1313:                           ;   in Loop: Header=BB399_11 Depth=1
	s_or_b32 exec_lo, exec_lo, s23
.LBB399_1314:                           ;   in Loop: Header=BB399_11 Depth=1
	s_or_b32 exec_lo, exec_lo, s17
.LBB399_1315:                           ;   in Loop: Header=BB399_11 Depth=1
	s_or_b32 exec_lo, exec_lo, s6
	v_mov_b32_e32 v76, 0
	v_mov_b32_e32 v48, 0
	s_mov_b32 s6, exec_lo
	v_cmpx_lt_u32_e32 0xffffff, v32
	s_cbranch_execz .LBB399_1323
; %bb.1316:                             ;   in Loop: Header=BB399_11 Depth=1
	v_cmp_ne_u32_sdwa s5, v32, v41 src0_sel:BYTE_3 src1_sel:DWORD
	v_bfrev_b32_e32 v48, 1
	s_and_saveexec_b32 s17, s5
	s_cbranch_execz .LBB399_1322
; %bb.1317:                             ;   in Loop: Header=BB399_11 Depth=1
	v_bfe_u32 v3, v32, 24, 7
	v_mov_b32_e32 v48, 0x7f800001
	s_mov_b32 s23, exec_lo
	v_cmpx_ne_u32_e32 0x7f, v3
	s_cbranch_execz .LBB399_1321
; %bb.1318:                             ;   in Loop: Header=BB399_11 Depth=1
	v_mov_b32_e32 v1, 7
	s_mov_b32 s24, exec_lo
	v_and_b32_sdwa v8, v32, v1 dst_sel:DWORD dst_unused:UNUSED_PAD src0_sel:BYTE_3 src1_sel:DWORD
	v_mov_b32_e32 v35, v9
	v_lshrrev_b32_e32 v1, 3, v3
	v_mov_b32_e32 v34, v8
	v_cmpx_gt_u32_e32 8, v3
; %bb.1319:                             ;   in Loop: Header=BB399_11 Depth=1
	v_ffbh_u32_e32 v1, v8
	v_min_u32_e32 v1, 32, v1
	v_subrev_nc_u32_e32 v3, 28, v1
	v_sub_nc_u32_e32 v1, 29, v1
	v_lshlrev_b64 v[15:16], v3, v[8:9]
	v_and_b32_e32 v34, 7, v15
; %bb.1320:                             ;   in Loop: Header=BB399_11 Depth=1
	s_or_b32 exec_lo, exec_lo, s24
	v_mov_b32_e32 v3, 24
	v_lshlrev_b32_e32 v8, 20, v34
	v_lshl_add_u32 v1, v1, 23, 0x3c000000
	v_lshlrev_b32_sdwa v3, v3, v32 dst_sel:DWORD dst_unused:UNUSED_PAD src0_sel:DWORD src1_sel:BYTE_3
	v_and_b32_e32 v3, 0x80000000, v3
	v_or3_b32 v48, v8, v3, v1
.LBB399_1321:                           ;   in Loop: Header=BB399_11 Depth=1
	s_or_b32 exec_lo, exec_lo, s23
.LBB399_1322:                           ;   in Loop: Header=BB399_11 Depth=1
	s_or_b32 exec_lo, exec_lo, s17
.LBB399_1323:                           ;   in Loop: Header=BB399_11 Depth=1
	s_or_b32 exec_lo, exec_lo, s6
	v_mov_b32_e32 v8, v33
	v_cmp_ne_u16_sdwa s5, v33, v9 src0_sel:BYTE_0 src1_sel:DWORD
	s_and_saveexec_b32 s6, s5
	s_cbranch_execz .LBB399_1331
; %bb.1324:                             ;   in Loop: Header=BB399_11 Depth=1
	v_cmp_ne_u16_sdwa s5, v33, v41 src0_sel:BYTE_0 src1_sel:DWORD
	v_bfrev_b32_e32 v76, 1
	s_and_saveexec_b32 s17, s5
	s_cbranch_execz .LBB399_1330
; %bb.1325:                             ;   in Loop: Header=BB399_11 Depth=1
	v_and_b32_e32 v3, 0x7f, v33
	v_mov_b32_e32 v76, 0x7f800001
	s_mov_b32 s23, exec_lo
	v_cmpx_ne_u32_e32 0x7f, v3
	s_cbranch_execz .LBB399_1329
; %bb.1326:                             ;   in Loop: Header=BB399_11 Depth=1
	v_mov_b32_e32 v35, v9
	v_mov_b32_e32 v34, v8
	v_lshrrev_b32_e32 v1, 3, v3
	s_mov_b32 s24, exec_lo
	v_cmpx_gt_u32_e32 8, v3
; %bb.1327:                             ;   in Loop: Header=BB399_11 Depth=1
	v_and_b32_e32 v1, 7, v33
	v_ffbh_u32_e32 v1, v1
	v_min_u32_e32 v1, 32, v1
	v_subrev_nc_u32_e32 v3, 28, v1
	v_sub_nc_u32_e32 v1, 29, v1
	v_lshlrev_b64 v[34:35], v3, v[8:9]
; %bb.1328:                             ;   in Loop: Header=BB399_11 Depth=1
	s_or_b32 exec_lo, exec_lo, s24
	v_lshlrev_b32_e32 v3, 20, v34
	v_lshlrev_b32_e32 v13, 24, v8
	v_lshl_add_u32 v1, v1, 23, 0x3c000000
	v_and_b32_e32 v3, 0x700000, v3
	v_and_b32_e32 v13, 0x80000000, v13
	v_or3_b32 v76, v3, v13, v1
.LBB399_1329:                           ;   in Loop: Header=BB399_11 Depth=1
	s_or_b32 exec_lo, exec_lo, s23
.LBB399_1330:                           ;   in Loop: Header=BB399_11 Depth=1
	s_or_b32 exec_lo, exec_lo, s17
.LBB399_1331:                           ;   in Loop: Header=BB399_11 Depth=1
	s_or_b32 exec_lo, exec_lo, s6
	v_cmp_ne_u16_sdwa s5, v8, v9 src0_sel:BYTE_1 src1_sel:DWORD
	v_mov_b32_e32 v37, 0
	v_mov_b32_e32 v82, 0
	s_and_saveexec_b32 s6, s5
	s_cbranch_execz .LBB399_1339
; %bb.1332:                             ;   in Loop: Header=BB399_11 Depth=1
	v_cmp_ne_u16_sdwa s5, v8, v41 src0_sel:BYTE_1 src1_sel:DWORD
	v_bfrev_b32_e32 v82, 1
	s_and_saveexec_b32 s17, s5
	s_cbranch_execz .LBB399_1338
; %bb.1333:                             ;   in Loop: Header=BB399_11 Depth=1
	v_mov_b32_e32 v1, 0xffff
	v_mov_b32_e32 v82, 0x7f800001
	s_mov_b32 s23, exec_lo
	v_and_b32_sdwa v1, v1, v8 dst_sel:DWORD dst_unused:UNUSED_PAD src0_sel:DWORD src1_sel:BYTE_1
	v_and_b32_e32 v3, 0x7f, v1
	v_cmpx_ne_u32_e32 0x7f, v3
	s_cbranch_execz .LBB399_1337
; %bb.1334:                             ;   in Loop: Header=BB399_11 Depth=1
	v_and_b32_e32 v34, 7, v1
	v_mov_b32_e32 v35, v9
	v_lshrrev_b32_e32 v1, 3, v3
	s_mov_b32 s24, exec_lo
	v_cmpx_gt_u32_e32 8, v3
; %bb.1335:                             ;   in Loop: Header=BB399_11 Depth=1
	v_ffbh_u32_e32 v1, v34
	v_min_u32_e32 v1, 32, v1
	v_subrev_nc_u32_e32 v3, 28, v1
	v_sub_nc_u32_e32 v1, 29, v1
	v_lshlrev_b64 v[15:16], v3, v[34:35]
	v_and_b32_e32 v34, 7, v15
; %bb.1336:                             ;   in Loop: Header=BB399_11 Depth=1
	s_or_b32 exec_lo, exec_lo, s24
	v_lshlrev_b32_e32 v3, 16, v8
	v_lshlrev_b32_e32 v8, 20, v34
	v_lshl_add_u32 v1, v1, 23, 0x3c000000
	v_and_b32_e32 v3, 0x80000000, v3
	v_or3_b32 v82, v8, v3, v1
.LBB399_1337:                           ;   in Loop: Header=BB399_11 Depth=1
	s_or_b32 exec_lo, exec_lo, s23
.LBB399_1338:                           ;   in Loop: Header=BB399_11 Depth=1
	s_or_b32 exec_lo, exec_lo, s17
.LBB399_1339:                           ;   in Loop: Header=BB399_11 Depth=1
	s_or_b32 exec_lo, exec_lo, s6
	v_mov_b32_e32 v1, 0xff
	s_mov_b32 s6, exec_lo
	v_and_b32_sdwa v1, v33, v1 dst_sel:DWORD dst_unused:UNUSED_PAD src0_sel:WORD_1 src1_sel:DWORD
	v_cmpx_ne_u16_e32 0, v1
	s_cbranch_execz .LBB399_1347
; %bb.1340:                             ;   in Loop: Header=BB399_11 Depth=1
	v_bfrev_b32_e32 v37, 1
	s_mov_b32 s17, exec_lo
	v_cmpx_ne_u16_e32 0x80, v1
	s_cbranch_execz .LBB399_1346
; %bb.1341:                             ;   in Loop: Header=BB399_11 Depth=1
	v_bfe_u32 v3, v33, 16, 7
	v_mov_b32_e32 v37, 0x7f800001
	s_mov_b32 s23, exec_lo
	v_cmpx_ne_u32_e32 0x7f, v3
	s_cbranch_execz .LBB399_1345
; %bb.1342:                             ;   in Loop: Header=BB399_11 Depth=1
	v_mov_b32_e32 v1, 7
	s_mov_b32 s24, exec_lo
	v_and_b32_sdwa v8, v33, v1 dst_sel:DWORD dst_unused:UNUSED_PAD src0_sel:WORD_1 src1_sel:DWORD
	v_mov_b32_e32 v35, v9
	v_lshrrev_b32_e32 v1, 3, v3
	v_mov_b32_e32 v34, v8
	v_cmpx_gt_u32_e32 8, v3
; %bb.1343:                             ;   in Loop: Header=BB399_11 Depth=1
	v_ffbh_u32_e32 v1, v8
	v_min_u32_e32 v1, 32, v1
	v_subrev_nc_u32_e32 v3, 28, v1
	v_sub_nc_u32_e32 v1, 29, v1
	v_lshlrev_b64 v[15:16], v3, v[8:9]
	v_and_b32_e32 v34, 7, v15
; %bb.1344:                             ;   in Loop: Header=BB399_11 Depth=1
	s_or_b32 exec_lo, exec_lo, s24
	v_mov_b32_e32 v3, 24
	v_lshlrev_b32_e32 v8, 20, v34
	v_lshl_add_u32 v1, v1, 23, 0x3c000000
	v_lshlrev_b32_sdwa v3, v3, v33 dst_sel:DWORD dst_unused:UNUSED_PAD src0_sel:DWORD src1_sel:WORD_1
	v_and_b32_e32 v3, 0x80000000, v3
	v_or3_b32 v37, v8, v3, v1
.LBB399_1345:                           ;   in Loop: Header=BB399_11 Depth=1
	s_or_b32 exec_lo, exec_lo, s23
.LBB399_1346:                           ;   in Loop: Header=BB399_11 Depth=1
	s_or_b32 exec_lo, exec_lo, s17
.LBB399_1347:                           ;   in Loop: Header=BB399_11 Depth=1
	s_or_b32 exec_lo, exec_lo, s6
	v_mov_b32_e32 v55, 0
	v_mov_b32_e32 v15, 0
	s_mov_b32 s6, exec_lo
	v_cmpx_lt_u64_e64 s[8:9], v[32:33]
	s_cbranch_execz .LBB399_1355
; %bb.1348:                             ;   in Loop: Header=BB399_11 Depth=1
	v_cmp_ne_u32_sdwa s5, v33, v41 src0_sel:BYTE_3 src1_sel:DWORD
	v_bfrev_b32_e32 v15, 1
	s_and_saveexec_b32 s17, s5
	s_cbranch_execz .LBB399_1354
; %bb.1349:                             ;   in Loop: Header=BB399_11 Depth=1
	v_bfe_u32 v3, v33, 24, 7
	v_mov_b32_e32 v15, 0x7f800001
	s_mov_b32 s23, exec_lo
	v_cmpx_ne_u32_e32 0x7f, v3
	s_cbranch_execz .LBB399_1353
; %bb.1350:                             ;   in Loop: Header=BB399_11 Depth=1
	v_mov_b32_e32 v1, 7
	s_mov_b32 s24, exec_lo
	v_and_b32_sdwa v8, v33, v1 dst_sel:DWORD dst_unused:UNUSED_PAD src0_sel:BYTE_3 src1_sel:DWORD
	v_mov_b32_e32 v35, v9
	v_lshrrev_b32_e32 v1, 3, v3
	v_mov_b32_e32 v34, v8
	v_cmpx_gt_u32_e32 8, v3
; %bb.1351:                             ;   in Loop: Header=BB399_11 Depth=1
	v_ffbh_u32_e32 v1, v8
	v_min_u32_e32 v1, 32, v1
	v_subrev_nc_u32_e32 v3, 28, v1
	v_sub_nc_u32_e32 v1, 29, v1
	v_lshlrev_b64 v[15:16], v3, v[8:9]
	v_and_b32_e32 v34, 7, v15
; %bb.1352:                             ;   in Loop: Header=BB399_11 Depth=1
	s_or_b32 exec_lo, exec_lo, s24
	v_mov_b32_e32 v3, 24
	v_lshlrev_b32_e32 v8, 20, v34
	v_lshl_add_u32 v1, v1, 23, 0x3c000000
	v_lshlrev_b32_sdwa v3, v3, v33 dst_sel:DWORD dst_unused:UNUSED_PAD src0_sel:DWORD src1_sel:BYTE_3
	v_and_b32_e32 v3, 0x80000000, v3
	v_or3_b32 v15, v8, v3, v1
.LBB399_1353:                           ;   in Loop: Header=BB399_11 Depth=1
	s_or_b32 exec_lo, exec_lo, s23
.LBB399_1354:                           ;   in Loop: Header=BB399_11 Depth=1
	s_or_b32 exec_lo, exec_lo, s17
.LBB399_1355:                           ;   in Loop: Header=BB399_11 Depth=1
	s_or_b32 exec_lo, exec_lo, s6
	flat_load_dwordx2 v[32:33], v[30:31] offset:1032
	s_waitcnt vmcnt(0) lgkmcnt(0)
	v_cmp_ne_u16_sdwa s5, v32, v9 src0_sel:BYTE_0 src1_sel:DWORD
	s_and_saveexec_b32 s6, s5
	s_cbranch_execz .LBB399_1363
; %bb.1356:                             ;   in Loop: Header=BB399_11 Depth=1
	v_cmp_ne_u16_sdwa s5, v32, v41 src0_sel:BYTE_0 src1_sel:DWORD
	v_bfrev_b32_e32 v55, 1
	s_and_saveexec_b32 s17, s5
	s_cbranch_execz .LBB399_1362
; %bb.1357:                             ;   in Loop: Header=BB399_11 Depth=1
	v_and_b32_e32 v3, 0x7f, v32
	v_mov_b32_e32 v55, 0x7f800001
	s_mov_b32 s23, exec_lo
	v_cmpx_ne_u32_e32 0x7f, v3
	s_cbranch_execz .LBB399_1361
; %bb.1358:                             ;   in Loop: Header=BB399_11 Depth=1
	v_mov_b32_e32 v35, v33
	v_lshrrev_b32_e32 v1, 3, v3
	v_mov_b32_e32 v34, v32
	s_mov_b32 s24, exec_lo
	v_cmpx_gt_u32_e32 8, v3
; %bb.1359:                             ;   in Loop: Header=BB399_11 Depth=1
	v_and_b32_e32 v1, 7, v32
	v_ffbh_u32_e32 v1, v1
	v_min_u32_e32 v1, 32, v1
	v_subrev_nc_u32_e32 v3, 28, v1
	v_sub_nc_u32_e32 v1, 29, v1
	v_lshlrev_b64 v[34:35], v3, v[32:33]
; %bb.1360:                             ;   in Loop: Header=BB399_11 Depth=1
	s_or_b32 exec_lo, exec_lo, s24
	v_lshlrev_b32_e32 v3, 20, v34
	v_lshlrev_b32_e32 v8, 24, v32
	v_lshl_add_u32 v1, v1, 23, 0x3c000000
	v_and_b32_e32 v3, 0x700000, v3
	v_and_b32_e32 v8, 0x80000000, v8
	v_or3_b32 v55, v3, v8, v1
.LBB399_1361:                           ;   in Loop: Header=BB399_11 Depth=1
	s_or_b32 exec_lo, exec_lo, s23
.LBB399_1362:                           ;   in Loop: Header=BB399_11 Depth=1
	s_or_b32 exec_lo, exec_lo, s17
.LBB399_1363:                           ;   in Loop: Header=BB399_11 Depth=1
	s_or_b32 exec_lo, exec_lo, s6
	v_cmp_ne_u16_sdwa s5, v32, v9 src0_sel:BYTE_1 src1_sel:DWORD
	v_mov_b32_e32 v65, 0
	v_mov_b32_e32 v53, 0
	s_and_saveexec_b32 s6, s5
	s_cbranch_execz .LBB399_1371
; %bb.1364:                             ;   in Loop: Header=BB399_11 Depth=1
	v_cmp_ne_u16_sdwa s5, v32, v41 src0_sel:BYTE_1 src1_sel:DWORD
	v_bfrev_b32_e32 v53, 1
	s_and_saveexec_b32 s17, s5
	s_cbranch_execz .LBB399_1370
; %bb.1365:                             ;   in Loop: Header=BB399_11 Depth=1
	v_mov_b32_e32 v1, 0xffff
	v_mov_b32_e32 v53, 0x7f800001
	s_mov_b32 s23, exec_lo
	v_and_b32_sdwa v1, v1, v32 dst_sel:DWORD dst_unused:UNUSED_PAD src0_sel:DWORD src1_sel:BYTE_1
	v_and_b32_e32 v3, 0x7f, v1
	v_cmpx_ne_u32_e32 0x7f, v3
	s_cbranch_execz .LBB399_1369
; %bb.1366:                             ;   in Loop: Header=BB399_11 Depth=1
	v_and_b32_e32 v8, 7, v1
	v_mov_b32_e32 v35, v9
	v_lshrrev_b32_e32 v1, 3, v3
	s_mov_b32 s24, exec_lo
	v_mov_b32_e32 v34, v8
	v_cmpx_gt_u32_e32 8, v3
; %bb.1367:                             ;   in Loop: Header=BB399_11 Depth=1
	v_ffbh_u32_e32 v1, v8
	v_min_u32_e32 v1, 32, v1
	v_subrev_nc_u32_e32 v3, 28, v1
	v_sub_nc_u32_e32 v1, 29, v1
	v_lshlrev_b64 v[16:17], v3, v[8:9]
	v_and_b32_e32 v34, 7, v16
; %bb.1368:                             ;   in Loop: Header=BB399_11 Depth=1
	s_or_b32 exec_lo, exec_lo, s24
	v_lshlrev_b32_e32 v3, 16, v32
	v_lshlrev_b32_e32 v8, 20, v34
	v_lshl_add_u32 v1, v1, 23, 0x3c000000
	v_and_b32_e32 v3, 0x80000000, v3
	v_or3_b32 v53, v8, v3, v1
.LBB399_1369:                           ;   in Loop: Header=BB399_11 Depth=1
	s_or_b32 exec_lo, exec_lo, s23
.LBB399_1370:                           ;   in Loop: Header=BB399_11 Depth=1
	s_or_b32 exec_lo, exec_lo, s17
.LBB399_1371:                           ;   in Loop: Header=BB399_11 Depth=1
	s_or_b32 exec_lo, exec_lo, s6
	v_mov_b32_e32 v1, 0xff
	s_mov_b32 s6, exec_lo
	v_and_b32_sdwa v1, v32, v1 dst_sel:DWORD dst_unused:UNUSED_PAD src0_sel:WORD_1 src1_sel:DWORD
	v_cmpx_ne_u16_e32 0, v1
	s_cbranch_execz .LBB399_1379
; %bb.1372:                             ;   in Loop: Header=BB399_11 Depth=1
	v_bfrev_b32_e32 v65, 1
	s_mov_b32 s17, exec_lo
	v_cmpx_ne_u16_e32 0x80, v1
	s_cbranch_execz .LBB399_1378
; %bb.1373:                             ;   in Loop: Header=BB399_11 Depth=1
	v_bfe_u32 v3, v32, 16, 7
	v_mov_b32_e32 v65, 0x7f800001
	s_mov_b32 s23, exec_lo
	v_cmpx_ne_u32_e32 0x7f, v3
	s_cbranch_execz .LBB399_1377
; %bb.1374:                             ;   in Loop: Header=BB399_11 Depth=1
	v_mov_b32_e32 v1, 7
	s_mov_b32 s24, exec_lo
	v_and_b32_sdwa v8, v32, v1 dst_sel:DWORD dst_unused:UNUSED_PAD src0_sel:WORD_1 src1_sel:DWORD
	v_mov_b32_e32 v35, v9
	v_lshrrev_b32_e32 v1, 3, v3
	v_mov_b32_e32 v34, v8
	v_cmpx_gt_u32_e32 8, v3
; %bb.1375:                             ;   in Loop: Header=BB399_11 Depth=1
	v_ffbh_u32_e32 v1, v8
	v_min_u32_e32 v1, 32, v1
	v_subrev_nc_u32_e32 v3, 28, v1
	v_sub_nc_u32_e32 v1, 29, v1
	v_lshlrev_b64 v[16:17], v3, v[8:9]
	v_and_b32_e32 v34, 7, v16
; %bb.1376:                             ;   in Loop: Header=BB399_11 Depth=1
	s_or_b32 exec_lo, exec_lo, s24
	v_mov_b32_e32 v3, 24
	v_lshlrev_b32_e32 v8, 20, v34
	v_lshl_add_u32 v1, v1, 23, 0x3c000000
	v_lshlrev_b32_sdwa v3, v3, v32 dst_sel:DWORD dst_unused:UNUSED_PAD src0_sel:DWORD src1_sel:WORD_1
	v_and_b32_e32 v3, 0x80000000, v3
	v_or3_b32 v65, v8, v3, v1
.LBB399_1377:                           ;   in Loop: Header=BB399_11 Depth=1
	s_or_b32 exec_lo, exec_lo, s23
.LBB399_1378:                           ;   in Loop: Header=BB399_11 Depth=1
	s_or_b32 exec_lo, exec_lo, s17
.LBB399_1379:                           ;   in Loop: Header=BB399_11 Depth=1
	s_or_b32 exec_lo, exec_lo, s6
	v_mov_b32_e32 v67, 0
	v_mov_b32_e32 v75, 0
	s_mov_b32 s6, exec_lo
	v_cmpx_lt_u32_e32 0xffffff, v32
	s_cbranch_execz .LBB399_1387
; %bb.1380:                             ;   in Loop: Header=BB399_11 Depth=1
	v_cmp_ne_u32_sdwa s5, v32, v41 src0_sel:BYTE_3 src1_sel:DWORD
	v_bfrev_b32_e32 v75, 1
	s_and_saveexec_b32 s17, s5
	s_cbranch_execz .LBB399_1386
; %bb.1381:                             ;   in Loop: Header=BB399_11 Depth=1
	v_bfe_u32 v3, v32, 24, 7
	v_mov_b32_e32 v75, 0x7f800001
	s_mov_b32 s23, exec_lo
	v_cmpx_ne_u32_e32 0x7f, v3
	s_cbranch_execz .LBB399_1385
; %bb.1382:                             ;   in Loop: Header=BB399_11 Depth=1
	v_mov_b32_e32 v1, 7
	s_mov_b32 s24, exec_lo
	v_and_b32_sdwa v8, v32, v1 dst_sel:DWORD dst_unused:UNUSED_PAD src0_sel:BYTE_3 src1_sel:DWORD
	v_mov_b32_e32 v35, v9
	v_lshrrev_b32_e32 v1, 3, v3
	v_mov_b32_e32 v34, v8
	v_cmpx_gt_u32_e32 8, v3
; %bb.1383:                             ;   in Loop: Header=BB399_11 Depth=1
	v_ffbh_u32_e32 v1, v8
	v_min_u32_e32 v1, 32, v1
	v_subrev_nc_u32_e32 v3, 28, v1
	v_sub_nc_u32_e32 v1, 29, v1
	v_lshlrev_b64 v[16:17], v3, v[8:9]
	v_and_b32_e32 v34, 7, v16
; %bb.1384:                             ;   in Loop: Header=BB399_11 Depth=1
	s_or_b32 exec_lo, exec_lo, s24
	v_mov_b32_e32 v3, 24
	v_lshlrev_b32_e32 v8, 20, v34
	v_lshl_add_u32 v1, v1, 23, 0x3c000000
	v_lshlrev_b32_sdwa v3, v3, v32 dst_sel:DWORD dst_unused:UNUSED_PAD src0_sel:DWORD src1_sel:BYTE_3
	v_and_b32_e32 v3, 0x80000000, v3
	v_or3_b32 v75, v8, v3, v1
.LBB399_1385:                           ;   in Loop: Header=BB399_11 Depth=1
	s_or_b32 exec_lo, exec_lo, s23
.LBB399_1386:                           ;   in Loop: Header=BB399_11 Depth=1
	s_or_b32 exec_lo, exec_lo, s17
.LBB399_1387:                           ;   in Loop: Header=BB399_11 Depth=1
	s_or_b32 exec_lo, exec_lo, s6
	v_mov_b32_e32 v8, v33
	v_cmp_ne_u16_sdwa s5, v33, v9 src0_sel:BYTE_0 src1_sel:DWORD
	s_and_saveexec_b32 s6, s5
	s_cbranch_execz .LBB399_1395
; %bb.1388:                             ;   in Loop: Header=BB399_11 Depth=1
	v_cmp_ne_u16_sdwa s5, v33, v41 src0_sel:BYTE_0 src1_sel:DWORD
	v_bfrev_b32_e32 v67, 1
	s_and_saveexec_b32 s17, s5
	s_cbranch_execz .LBB399_1394
; %bb.1389:                             ;   in Loop: Header=BB399_11 Depth=1
	v_and_b32_e32 v3, 0x7f, v33
	v_mov_b32_e32 v67, 0x7f800001
	s_mov_b32 s23, exec_lo
	v_cmpx_ne_u32_e32 0x7f, v3
	s_cbranch_execz .LBB399_1393
; %bb.1390:                             ;   in Loop: Header=BB399_11 Depth=1
	v_mov_b32_e32 v35, v9
	v_mov_b32_e32 v34, v8
	v_lshrrev_b32_e32 v1, 3, v3
	s_mov_b32 s24, exec_lo
	v_cmpx_gt_u32_e32 8, v3
; %bb.1391:                             ;   in Loop: Header=BB399_11 Depth=1
	v_and_b32_e32 v1, 7, v33
	v_ffbh_u32_e32 v1, v1
	v_min_u32_e32 v1, 32, v1
	v_subrev_nc_u32_e32 v3, 28, v1
	v_sub_nc_u32_e32 v1, 29, v1
	v_lshlrev_b64 v[34:35], v3, v[8:9]
; %bb.1392:                             ;   in Loop: Header=BB399_11 Depth=1
	s_or_b32 exec_lo, exec_lo, s24
	v_lshlrev_b32_e32 v3, 20, v34
	v_lshlrev_b32_e32 v13, 24, v8
	v_lshl_add_u32 v1, v1, 23, 0x3c000000
	v_and_b32_e32 v3, 0x700000, v3
	v_and_b32_e32 v13, 0x80000000, v13
	v_or3_b32 v67, v3, v13, v1
.LBB399_1393:                           ;   in Loop: Header=BB399_11 Depth=1
	s_or_b32 exec_lo, exec_lo, s23
.LBB399_1394:                           ;   in Loop: Header=BB399_11 Depth=1
	s_or_b32 exec_lo, exec_lo, s17
.LBB399_1395:                           ;   in Loop: Header=BB399_11 Depth=1
	s_or_b32 exec_lo, exec_lo, s6
	v_cmp_ne_u16_sdwa s5, v8, v9 src0_sel:BYTE_1 src1_sel:DWORD
	v_mov_b32_e32 v54, 0
	v_mov_b32_e32 v72, 0
	s_and_saveexec_b32 s6, s5
	s_cbranch_execz .LBB399_1403
; %bb.1396:                             ;   in Loop: Header=BB399_11 Depth=1
	v_cmp_ne_u16_sdwa s5, v8, v41 src0_sel:BYTE_1 src1_sel:DWORD
	v_bfrev_b32_e32 v72, 1
	s_and_saveexec_b32 s17, s5
	s_cbranch_execz .LBB399_1402
; %bb.1397:                             ;   in Loop: Header=BB399_11 Depth=1
	v_mov_b32_e32 v1, 0xffff
	v_mov_b32_e32 v72, 0x7f800001
	s_mov_b32 s23, exec_lo
	v_and_b32_sdwa v1, v1, v8 dst_sel:DWORD dst_unused:UNUSED_PAD src0_sel:DWORD src1_sel:BYTE_1
	v_and_b32_e32 v3, 0x7f, v1
	v_cmpx_ne_u32_e32 0x7f, v3
	s_cbranch_execz .LBB399_1401
; %bb.1398:                             ;   in Loop: Header=BB399_11 Depth=1
	v_and_b32_e32 v34, 7, v1
	v_mov_b32_e32 v35, v9
	v_lshrrev_b32_e32 v1, 3, v3
	s_mov_b32 s24, exec_lo
	v_cmpx_gt_u32_e32 8, v3
; %bb.1399:                             ;   in Loop: Header=BB399_11 Depth=1
	v_ffbh_u32_e32 v1, v34
	v_min_u32_e32 v1, 32, v1
	v_subrev_nc_u32_e32 v3, 28, v1
	v_sub_nc_u32_e32 v1, 29, v1
	v_lshlrev_b64 v[16:17], v3, v[34:35]
	v_and_b32_e32 v34, 7, v16
; %bb.1400:                             ;   in Loop: Header=BB399_11 Depth=1
	s_or_b32 exec_lo, exec_lo, s24
	v_lshlrev_b32_e32 v3, 16, v8
	v_lshlrev_b32_e32 v8, 20, v34
	v_lshl_add_u32 v1, v1, 23, 0x3c000000
	v_and_b32_e32 v3, 0x80000000, v3
	v_or3_b32 v72, v8, v3, v1
.LBB399_1401:                           ;   in Loop: Header=BB399_11 Depth=1
	s_or_b32 exec_lo, exec_lo, s23
.LBB399_1402:                           ;   in Loop: Header=BB399_11 Depth=1
	s_or_b32 exec_lo, exec_lo, s17
.LBB399_1403:                           ;   in Loop: Header=BB399_11 Depth=1
	s_or_b32 exec_lo, exec_lo, s6
	v_mov_b32_e32 v1, 0xff
	s_mov_b32 s6, exec_lo
	v_and_b32_sdwa v1, v33, v1 dst_sel:DWORD dst_unused:UNUSED_PAD src0_sel:WORD_1 src1_sel:DWORD
	v_cmpx_ne_u16_e32 0, v1
	s_cbranch_execz .LBB399_1411
; %bb.1404:                             ;   in Loop: Header=BB399_11 Depth=1
	v_bfrev_b32_e32 v54, 1
	s_mov_b32 s17, exec_lo
	v_cmpx_ne_u16_e32 0x80, v1
	s_cbranch_execz .LBB399_1410
; %bb.1405:                             ;   in Loop: Header=BB399_11 Depth=1
	v_bfe_u32 v3, v33, 16, 7
	v_mov_b32_e32 v54, 0x7f800001
	s_mov_b32 s23, exec_lo
	v_cmpx_ne_u32_e32 0x7f, v3
	s_cbranch_execz .LBB399_1409
; %bb.1406:                             ;   in Loop: Header=BB399_11 Depth=1
	v_mov_b32_e32 v1, 7
	s_mov_b32 s24, exec_lo
	v_and_b32_sdwa v8, v33, v1 dst_sel:DWORD dst_unused:UNUSED_PAD src0_sel:WORD_1 src1_sel:DWORD
	v_mov_b32_e32 v35, v9
	v_lshrrev_b32_e32 v1, 3, v3
	v_mov_b32_e32 v34, v8
	v_cmpx_gt_u32_e32 8, v3
; %bb.1407:                             ;   in Loop: Header=BB399_11 Depth=1
	v_ffbh_u32_e32 v1, v8
	v_min_u32_e32 v1, 32, v1
	v_subrev_nc_u32_e32 v3, 28, v1
	v_sub_nc_u32_e32 v1, 29, v1
	v_lshlrev_b64 v[16:17], v3, v[8:9]
	v_and_b32_e32 v34, 7, v16
; %bb.1408:                             ;   in Loop: Header=BB399_11 Depth=1
	s_or_b32 exec_lo, exec_lo, s24
	v_mov_b32_e32 v3, 24
	v_lshlrev_b32_e32 v8, 20, v34
	v_lshl_add_u32 v1, v1, 23, 0x3c000000
	v_lshlrev_b32_sdwa v3, v3, v33 dst_sel:DWORD dst_unused:UNUSED_PAD src0_sel:DWORD src1_sel:WORD_1
	v_and_b32_e32 v3, 0x80000000, v3
	v_or3_b32 v54, v8, v3, v1
.LBB399_1409:                           ;   in Loop: Header=BB399_11 Depth=1
	s_or_b32 exec_lo, exec_lo, s23
.LBB399_1410:                           ;   in Loop: Header=BB399_11 Depth=1
	s_or_b32 exec_lo, exec_lo, s17
.LBB399_1411:                           ;   in Loop: Header=BB399_11 Depth=1
	s_or_b32 exec_lo, exec_lo, s6
	v_mov_b32_e32 v71, 0
	v_mov_b32_e32 v104, 0
	s_mov_b32 s6, exec_lo
	v_cmpx_lt_u64_e64 s[8:9], v[32:33]
	s_cbranch_execz .LBB399_1419
; %bb.1412:                             ;   in Loop: Header=BB399_11 Depth=1
	v_cmp_ne_u32_sdwa s5, v33, v41 src0_sel:BYTE_3 src1_sel:DWORD
	v_bfrev_b32_e32 v104, 1
	s_and_saveexec_b32 s17, s5
	s_cbranch_execz .LBB399_1418
; %bb.1413:                             ;   in Loop: Header=BB399_11 Depth=1
	v_bfe_u32 v3, v33, 24, 7
	v_mov_b32_e32 v104, 0x7f800001
	s_mov_b32 s23, exec_lo
	v_cmpx_ne_u32_e32 0x7f, v3
	s_cbranch_execz .LBB399_1417
; %bb.1414:                             ;   in Loop: Header=BB399_11 Depth=1
	v_mov_b32_e32 v1, 7
	s_mov_b32 s24, exec_lo
	v_and_b32_sdwa v8, v33, v1 dst_sel:DWORD dst_unused:UNUSED_PAD src0_sel:BYTE_3 src1_sel:DWORD
	v_mov_b32_e32 v35, v9
	v_lshrrev_b32_e32 v1, 3, v3
	v_mov_b32_e32 v34, v8
	v_cmpx_gt_u32_e32 8, v3
; %bb.1415:                             ;   in Loop: Header=BB399_11 Depth=1
	v_ffbh_u32_e32 v1, v8
	v_min_u32_e32 v1, 32, v1
	v_subrev_nc_u32_e32 v3, 28, v1
	v_sub_nc_u32_e32 v1, 29, v1
	v_lshlrev_b64 v[16:17], v3, v[8:9]
	v_and_b32_e32 v34, 7, v16
; %bb.1416:                             ;   in Loop: Header=BB399_11 Depth=1
	s_or_b32 exec_lo, exec_lo, s24
	v_mov_b32_e32 v3, 24
	v_lshlrev_b32_e32 v8, 20, v34
	v_lshl_add_u32 v1, v1, 23, 0x3c000000
	v_lshlrev_b32_sdwa v3, v3, v33 dst_sel:DWORD dst_unused:UNUSED_PAD src0_sel:DWORD src1_sel:BYTE_3
	v_and_b32_e32 v3, 0x80000000, v3
	v_or3_b32 v104, v8, v3, v1
.LBB399_1417:                           ;   in Loop: Header=BB399_11 Depth=1
	s_or_b32 exec_lo, exec_lo, s23
.LBB399_1418:                           ;   in Loop: Header=BB399_11 Depth=1
	s_or_b32 exec_lo, exec_lo, s17
.LBB399_1419:                           ;   in Loop: Header=BB399_11 Depth=1
	s_or_b32 exec_lo, exec_lo, s6
	flat_load_dwordx2 v[32:33], v[30:31] offset:1536
	s_waitcnt vmcnt(0) lgkmcnt(0)
	v_cmp_ne_u16_sdwa s5, v32, v9 src0_sel:BYTE_0 src1_sel:DWORD
	s_and_saveexec_b32 s6, s5
	s_cbranch_execz .LBB399_1427
; %bb.1420:                             ;   in Loop: Header=BB399_11 Depth=1
	v_cmp_ne_u16_sdwa s5, v32, v41 src0_sel:BYTE_0 src1_sel:DWORD
	v_bfrev_b32_e32 v71, 1
	s_and_saveexec_b32 s17, s5
	s_cbranch_execz .LBB399_1426
; %bb.1421:                             ;   in Loop: Header=BB399_11 Depth=1
	v_and_b32_e32 v3, 0x7f, v32
	v_mov_b32_e32 v71, 0x7f800001
	s_mov_b32 s23, exec_lo
	v_cmpx_ne_u32_e32 0x7f, v3
	s_cbranch_execz .LBB399_1425
; %bb.1422:                             ;   in Loop: Header=BB399_11 Depth=1
	v_mov_b32_e32 v35, v33
	v_lshrrev_b32_e32 v1, 3, v3
	v_mov_b32_e32 v34, v32
	s_mov_b32 s24, exec_lo
	v_cmpx_gt_u32_e32 8, v3
; %bb.1423:                             ;   in Loop: Header=BB399_11 Depth=1
	v_and_b32_e32 v1, 7, v32
	v_ffbh_u32_e32 v1, v1
	v_min_u32_e32 v1, 32, v1
	v_subrev_nc_u32_e32 v3, 28, v1
	v_sub_nc_u32_e32 v1, 29, v1
	v_lshlrev_b64 v[34:35], v3, v[32:33]
; %bb.1424:                             ;   in Loop: Header=BB399_11 Depth=1
	s_or_b32 exec_lo, exec_lo, s24
	v_lshlrev_b32_e32 v3, 20, v34
	v_lshlrev_b32_e32 v8, 24, v32
	v_lshl_add_u32 v1, v1, 23, 0x3c000000
	v_and_b32_e32 v3, 0x700000, v3
	v_and_b32_e32 v8, 0x80000000, v8
	v_or3_b32 v71, v3, v8, v1
.LBB399_1425:                           ;   in Loop: Header=BB399_11 Depth=1
	s_or_b32 exec_lo, exec_lo, s23
.LBB399_1426:                           ;   in Loop: Header=BB399_11 Depth=1
	s_or_b32 exec_lo, exec_lo, s17
.LBB399_1427:                           ;   in Loop: Header=BB399_11 Depth=1
	s_or_b32 exec_lo, exec_lo, s6
	v_cmp_ne_u16_sdwa s5, v32, v9 src0_sel:BYTE_1 src1_sel:DWORD
	v_mov_b32_e32 v81, 0
	v_mov_b32_e32 v69, 0
	s_and_saveexec_b32 s6, s5
	s_cbranch_execz .LBB399_1435
; %bb.1428:                             ;   in Loop: Header=BB399_11 Depth=1
	v_cmp_ne_u16_sdwa s5, v32, v41 src0_sel:BYTE_1 src1_sel:DWORD
	v_bfrev_b32_e32 v69, 1
	s_and_saveexec_b32 s17, s5
	s_cbranch_execz .LBB399_1434
; %bb.1429:                             ;   in Loop: Header=BB399_11 Depth=1
	v_mov_b32_e32 v1, 0xffff
	v_mov_b32_e32 v69, 0x7f800001
	s_mov_b32 s23, exec_lo
	v_and_b32_sdwa v1, v1, v32 dst_sel:DWORD dst_unused:UNUSED_PAD src0_sel:DWORD src1_sel:BYTE_1
	v_and_b32_e32 v3, 0x7f, v1
	v_cmpx_ne_u32_e32 0x7f, v3
	s_cbranch_execz .LBB399_1433
; %bb.1430:                             ;   in Loop: Header=BB399_11 Depth=1
	v_and_b32_e32 v8, 7, v1
	v_mov_b32_e32 v35, v9
	v_lshrrev_b32_e32 v1, 3, v3
	s_mov_b32 s24, exec_lo
	v_mov_b32_e32 v34, v8
	v_cmpx_gt_u32_e32 8, v3
; %bb.1431:                             ;   in Loop: Header=BB399_11 Depth=1
	v_ffbh_u32_e32 v1, v8
	v_min_u32_e32 v1, 32, v1
	v_subrev_nc_u32_e32 v3, 28, v1
	v_sub_nc_u32_e32 v1, 29, v1
	v_lshlrev_b64 v[16:17], v3, v[8:9]
	v_and_b32_e32 v34, 7, v16
; %bb.1432:                             ;   in Loop: Header=BB399_11 Depth=1
	s_or_b32 exec_lo, exec_lo, s24
	v_lshlrev_b32_e32 v3, 16, v32
	v_lshlrev_b32_e32 v8, 20, v34
	v_lshl_add_u32 v1, v1, 23, 0x3c000000
	v_and_b32_e32 v3, 0x80000000, v3
	v_or3_b32 v69, v8, v3, v1
.LBB399_1433:                           ;   in Loop: Header=BB399_11 Depth=1
	s_or_b32 exec_lo, exec_lo, s23
.LBB399_1434:                           ;   in Loop: Header=BB399_11 Depth=1
	s_or_b32 exec_lo, exec_lo, s17
.LBB399_1435:                           ;   in Loop: Header=BB399_11 Depth=1
	s_or_b32 exec_lo, exec_lo, s6
	v_mov_b32_e32 v1, 0xff
	s_mov_b32 s6, exec_lo
	v_and_b32_sdwa v1, v32, v1 dst_sel:DWORD dst_unused:UNUSED_PAD src0_sel:WORD_1 src1_sel:DWORD
	v_cmpx_ne_u16_e32 0, v1
	s_cbranch_execz .LBB399_1443
; %bb.1436:                             ;   in Loop: Header=BB399_11 Depth=1
	v_bfrev_b32_e32 v81, 1
	s_mov_b32 s17, exec_lo
	v_cmpx_ne_u16_e32 0x80, v1
	s_cbranch_execz .LBB399_1442
; %bb.1437:                             ;   in Loop: Header=BB399_11 Depth=1
	v_bfe_u32 v3, v32, 16, 7
	v_mov_b32_e32 v81, 0x7f800001
	s_mov_b32 s23, exec_lo
	v_cmpx_ne_u32_e32 0x7f, v3
	s_cbranch_execz .LBB399_1441
; %bb.1438:                             ;   in Loop: Header=BB399_11 Depth=1
	v_mov_b32_e32 v1, 7
	s_mov_b32 s24, exec_lo
	v_and_b32_sdwa v8, v32, v1 dst_sel:DWORD dst_unused:UNUSED_PAD src0_sel:WORD_1 src1_sel:DWORD
	v_mov_b32_e32 v35, v9
	v_lshrrev_b32_e32 v1, 3, v3
	v_mov_b32_e32 v34, v8
	v_cmpx_gt_u32_e32 8, v3
; %bb.1439:                             ;   in Loop: Header=BB399_11 Depth=1
	v_ffbh_u32_e32 v1, v8
	v_min_u32_e32 v1, 32, v1
	v_subrev_nc_u32_e32 v3, 28, v1
	v_sub_nc_u32_e32 v1, 29, v1
	v_lshlrev_b64 v[16:17], v3, v[8:9]
	v_and_b32_e32 v34, 7, v16
; %bb.1440:                             ;   in Loop: Header=BB399_11 Depth=1
	s_or_b32 exec_lo, exec_lo, s24
	v_mov_b32_e32 v3, 24
	v_lshlrev_b32_e32 v8, 20, v34
	v_lshl_add_u32 v1, v1, 23, 0x3c000000
	v_lshlrev_b32_sdwa v3, v3, v32 dst_sel:DWORD dst_unused:UNUSED_PAD src0_sel:DWORD src1_sel:WORD_1
	v_and_b32_e32 v3, 0x80000000, v3
	v_or3_b32 v81, v8, v3, v1
.LBB399_1441:                           ;   in Loop: Header=BB399_11 Depth=1
	s_or_b32 exec_lo, exec_lo, s23
.LBB399_1442:                           ;   in Loop: Header=BB399_11 Depth=1
	s_or_b32 exec_lo, exec_lo, s17
.LBB399_1443:                           ;   in Loop: Header=BB399_11 Depth=1
	s_or_b32 exec_lo, exec_lo, s6
	v_mov_b32_e32 v83, 0
	v_mov_b32_e32 v80, 0
	s_mov_b32 s6, exec_lo
	v_cmpx_lt_u32_e32 0xffffff, v32
	s_cbranch_execz .LBB399_1451
; %bb.1444:                             ;   in Loop: Header=BB399_11 Depth=1
	v_cmp_ne_u32_sdwa s5, v32, v41 src0_sel:BYTE_3 src1_sel:DWORD
	v_bfrev_b32_e32 v80, 1
	s_and_saveexec_b32 s17, s5
	s_cbranch_execz .LBB399_1450
; %bb.1445:                             ;   in Loop: Header=BB399_11 Depth=1
	v_bfe_u32 v3, v32, 24, 7
	v_mov_b32_e32 v80, 0x7f800001
	s_mov_b32 s23, exec_lo
	v_cmpx_ne_u32_e32 0x7f, v3
	s_cbranch_execz .LBB399_1449
; %bb.1446:                             ;   in Loop: Header=BB399_11 Depth=1
	v_mov_b32_e32 v1, 7
	s_mov_b32 s24, exec_lo
	v_and_b32_sdwa v8, v32, v1 dst_sel:DWORD dst_unused:UNUSED_PAD src0_sel:BYTE_3 src1_sel:DWORD
	v_mov_b32_e32 v35, v9
	v_lshrrev_b32_e32 v1, 3, v3
	v_mov_b32_e32 v34, v8
	v_cmpx_gt_u32_e32 8, v3
; %bb.1447:                             ;   in Loop: Header=BB399_11 Depth=1
	v_ffbh_u32_e32 v1, v8
	v_min_u32_e32 v1, 32, v1
	v_subrev_nc_u32_e32 v3, 28, v1
	v_sub_nc_u32_e32 v1, 29, v1
	v_lshlrev_b64 v[16:17], v3, v[8:9]
	v_and_b32_e32 v34, 7, v16
; %bb.1448:                             ;   in Loop: Header=BB399_11 Depth=1
	s_or_b32 exec_lo, exec_lo, s24
	v_mov_b32_e32 v3, 24
	v_lshlrev_b32_e32 v8, 20, v34
	v_lshl_add_u32 v1, v1, 23, 0x3c000000
	v_lshlrev_b32_sdwa v3, v3, v32 dst_sel:DWORD dst_unused:UNUSED_PAD src0_sel:DWORD src1_sel:BYTE_3
	v_and_b32_e32 v3, 0x80000000, v3
	v_or3_b32 v80, v8, v3, v1
.LBB399_1449:                           ;   in Loop: Header=BB399_11 Depth=1
	s_or_b32 exec_lo, exec_lo, s23
.LBB399_1450:                           ;   in Loop: Header=BB399_11 Depth=1
	s_or_b32 exec_lo, exec_lo, s17
.LBB399_1451:                           ;   in Loop: Header=BB399_11 Depth=1
	s_or_b32 exec_lo, exec_lo, s6
	v_mov_b32_e32 v8, v33
	v_cmp_ne_u16_sdwa s5, v33, v9 src0_sel:BYTE_0 src1_sel:DWORD
	s_and_saveexec_b32 s6, s5
	s_cbranch_execz .LBB399_1459
; %bb.1452:                             ;   in Loop: Header=BB399_11 Depth=1
	v_cmp_ne_u16_sdwa s5, v33, v41 src0_sel:BYTE_0 src1_sel:DWORD
	v_bfrev_b32_e32 v83, 1
	s_and_saveexec_b32 s17, s5
	s_cbranch_execz .LBB399_1458
; %bb.1453:                             ;   in Loop: Header=BB399_11 Depth=1
	v_and_b32_e32 v3, 0x7f, v33
	v_mov_b32_e32 v83, 0x7f800001
	s_mov_b32 s23, exec_lo
	v_cmpx_ne_u32_e32 0x7f, v3
	s_cbranch_execz .LBB399_1457
; %bb.1454:                             ;   in Loop: Header=BB399_11 Depth=1
	v_mov_b32_e32 v35, v9
	v_mov_b32_e32 v34, v8
	v_lshrrev_b32_e32 v1, 3, v3
	s_mov_b32 s24, exec_lo
	v_cmpx_gt_u32_e32 8, v3
; %bb.1455:                             ;   in Loop: Header=BB399_11 Depth=1
	v_and_b32_e32 v1, 7, v33
	v_ffbh_u32_e32 v1, v1
	v_min_u32_e32 v1, 32, v1
	v_subrev_nc_u32_e32 v3, 28, v1
	v_sub_nc_u32_e32 v1, 29, v1
	v_lshlrev_b64 v[34:35], v3, v[8:9]
; %bb.1456:                             ;   in Loop: Header=BB399_11 Depth=1
	s_or_b32 exec_lo, exec_lo, s24
	v_lshlrev_b32_e32 v3, 20, v34
	v_lshlrev_b32_e32 v13, 24, v8
	v_lshl_add_u32 v1, v1, 23, 0x3c000000
	v_and_b32_e32 v3, 0x700000, v3
	v_and_b32_e32 v13, 0x80000000, v13
	v_or3_b32 v83, v3, v13, v1
.LBB399_1457:                           ;   in Loop: Header=BB399_11 Depth=1
	s_or_b32 exec_lo, exec_lo, s23
.LBB399_1458:                           ;   in Loop: Header=BB399_11 Depth=1
	s_or_b32 exec_lo, exec_lo, s17
.LBB399_1459:                           ;   in Loop: Header=BB399_11 Depth=1
	s_or_b32 exec_lo, exec_lo, s6
	v_cmp_ne_u16_sdwa s5, v8, v9 src0_sel:BYTE_1 src1_sel:DWORD
	v_mov_b32_e32 v66, 0
	v_mov_b32_e32 v63, 0
	s_and_saveexec_b32 s6, s5
	s_cbranch_execz .LBB399_1467
; %bb.1460:                             ;   in Loop: Header=BB399_11 Depth=1
	v_cmp_ne_u16_sdwa s5, v8, v41 src0_sel:BYTE_1 src1_sel:DWORD
	v_bfrev_b32_e32 v63, 1
	s_and_saveexec_b32 s17, s5
	s_cbranch_execz .LBB399_1466
; %bb.1461:                             ;   in Loop: Header=BB399_11 Depth=1
	v_mov_b32_e32 v1, 0xffff
	v_mov_b32_e32 v63, 0x7f800001
	s_mov_b32 s23, exec_lo
	v_and_b32_sdwa v1, v1, v8 dst_sel:DWORD dst_unused:UNUSED_PAD src0_sel:DWORD src1_sel:BYTE_1
	v_and_b32_e32 v3, 0x7f, v1
	v_cmpx_ne_u32_e32 0x7f, v3
	s_cbranch_execz .LBB399_1465
; %bb.1462:                             ;   in Loop: Header=BB399_11 Depth=1
	v_and_b32_e32 v34, 7, v1
	v_mov_b32_e32 v35, v9
	v_lshrrev_b32_e32 v1, 3, v3
	s_mov_b32 s24, exec_lo
	v_cmpx_gt_u32_e32 8, v3
; %bb.1463:                             ;   in Loop: Header=BB399_11 Depth=1
	v_ffbh_u32_e32 v1, v34
	v_min_u32_e32 v1, 32, v1
	v_subrev_nc_u32_e32 v3, 28, v1
	v_sub_nc_u32_e32 v1, 29, v1
	v_lshlrev_b64 v[16:17], v3, v[34:35]
	v_and_b32_e32 v34, 7, v16
; %bb.1464:                             ;   in Loop: Header=BB399_11 Depth=1
	s_or_b32 exec_lo, exec_lo, s24
	v_lshlrev_b32_e32 v3, 16, v8
	v_lshlrev_b32_e32 v8, 20, v34
	v_lshl_add_u32 v1, v1, 23, 0x3c000000
	v_and_b32_e32 v3, 0x80000000, v3
	v_or3_b32 v63, v8, v3, v1
.LBB399_1465:                           ;   in Loop: Header=BB399_11 Depth=1
	s_or_b32 exec_lo, exec_lo, s23
.LBB399_1466:                           ;   in Loop: Header=BB399_11 Depth=1
	s_or_b32 exec_lo, exec_lo, s17
.LBB399_1467:                           ;   in Loop: Header=BB399_11 Depth=1
	s_or_b32 exec_lo, exec_lo, s6
	v_mov_b32_e32 v1, 0xff
	s_mov_b32 s6, exec_lo
	v_and_b32_sdwa v1, v33, v1 dst_sel:DWORD dst_unused:UNUSED_PAD src0_sel:WORD_1 src1_sel:DWORD
	v_cmpx_ne_u16_e32 0, v1
	s_cbranch_execz .LBB399_1475
; %bb.1468:                             ;   in Loop: Header=BB399_11 Depth=1
	v_bfrev_b32_e32 v66, 1
	s_mov_b32 s17, exec_lo
	v_cmpx_ne_u16_e32 0x80, v1
	s_cbranch_execz .LBB399_1474
; %bb.1469:                             ;   in Loop: Header=BB399_11 Depth=1
	v_bfe_u32 v3, v33, 16, 7
	v_mov_b32_e32 v66, 0x7f800001
	s_mov_b32 s23, exec_lo
	v_cmpx_ne_u32_e32 0x7f, v3
	s_cbranch_execz .LBB399_1473
; %bb.1470:                             ;   in Loop: Header=BB399_11 Depth=1
	v_mov_b32_e32 v1, 7
	s_mov_b32 s24, exec_lo
	v_and_b32_sdwa v8, v33, v1 dst_sel:DWORD dst_unused:UNUSED_PAD src0_sel:WORD_1 src1_sel:DWORD
	v_mov_b32_e32 v35, v9
	v_lshrrev_b32_e32 v1, 3, v3
	v_mov_b32_e32 v34, v8
	v_cmpx_gt_u32_e32 8, v3
; %bb.1471:                             ;   in Loop: Header=BB399_11 Depth=1
	v_ffbh_u32_e32 v1, v8
	v_min_u32_e32 v1, 32, v1
	v_subrev_nc_u32_e32 v3, 28, v1
	v_sub_nc_u32_e32 v1, 29, v1
	v_lshlrev_b64 v[16:17], v3, v[8:9]
	v_and_b32_e32 v34, 7, v16
; %bb.1472:                             ;   in Loop: Header=BB399_11 Depth=1
	s_or_b32 exec_lo, exec_lo, s24
	v_mov_b32_e32 v3, 24
	v_lshlrev_b32_e32 v8, 20, v34
	v_lshl_add_u32 v1, v1, 23, 0x3c000000
	v_lshlrev_b32_sdwa v3, v3, v33 dst_sel:DWORD dst_unused:UNUSED_PAD src0_sel:DWORD src1_sel:WORD_1
	v_and_b32_e32 v3, 0x80000000, v3
	v_or3_b32 v66, v8, v3, v1
.LBB399_1473:                           ;   in Loop: Header=BB399_11 Depth=1
	s_or_b32 exec_lo, exec_lo, s23
.LBB399_1474:                           ;   in Loop: Header=BB399_11 Depth=1
	s_or_b32 exec_lo, exec_lo, s17
.LBB399_1475:                           ;   in Loop: Header=BB399_11 Depth=1
	s_or_b32 exec_lo, exec_lo, s6
	v_mov_b32_e32 v120, 0
	v_mov_b32_e32 v70, 0
	s_mov_b32 s6, exec_lo
	v_cmpx_lt_u64_e64 s[8:9], v[32:33]
	s_cbranch_execz .LBB399_1483
; %bb.1476:                             ;   in Loop: Header=BB399_11 Depth=1
	v_cmp_ne_u32_sdwa s5, v33, v41 src0_sel:BYTE_3 src1_sel:DWORD
	v_bfrev_b32_e32 v70, 1
	s_and_saveexec_b32 s17, s5
	s_cbranch_execz .LBB399_1482
; %bb.1477:                             ;   in Loop: Header=BB399_11 Depth=1
	v_bfe_u32 v3, v33, 24, 7
	v_mov_b32_e32 v70, 0x7f800001
	s_mov_b32 s23, exec_lo
	v_cmpx_ne_u32_e32 0x7f, v3
	s_cbranch_execz .LBB399_1481
; %bb.1478:                             ;   in Loop: Header=BB399_11 Depth=1
	v_mov_b32_e32 v1, 7
	s_mov_b32 s24, exec_lo
	v_and_b32_sdwa v8, v33, v1 dst_sel:DWORD dst_unused:UNUSED_PAD src0_sel:BYTE_3 src1_sel:DWORD
	v_mov_b32_e32 v35, v9
	v_lshrrev_b32_e32 v1, 3, v3
	v_mov_b32_e32 v34, v8
	v_cmpx_gt_u32_e32 8, v3
; %bb.1479:                             ;   in Loop: Header=BB399_11 Depth=1
	v_ffbh_u32_e32 v1, v8
	v_min_u32_e32 v1, 32, v1
	v_subrev_nc_u32_e32 v3, 28, v1
	v_sub_nc_u32_e32 v1, 29, v1
	v_lshlrev_b64 v[16:17], v3, v[8:9]
	v_and_b32_e32 v34, 7, v16
; %bb.1480:                             ;   in Loop: Header=BB399_11 Depth=1
	s_or_b32 exec_lo, exec_lo, s24
	v_mov_b32_e32 v3, 24
	v_lshlrev_b32_e32 v8, 20, v34
	v_lshl_add_u32 v1, v1, 23, 0x3c000000
	v_lshlrev_b32_sdwa v3, v3, v33 dst_sel:DWORD dst_unused:UNUSED_PAD src0_sel:DWORD src1_sel:BYTE_3
	v_and_b32_e32 v3, 0x80000000, v3
	v_or3_b32 v70, v8, v3, v1
.LBB399_1481:                           ;   in Loop: Header=BB399_11 Depth=1
	s_or_b32 exec_lo, exec_lo, s23
.LBB399_1482:                           ;   in Loop: Header=BB399_11 Depth=1
	s_or_b32 exec_lo, exec_lo, s17
.LBB399_1483:                           ;   in Loop: Header=BB399_11 Depth=1
	s_or_b32 exec_lo, exec_lo, s6
	flat_load_dwordx2 v[30:31], v[30:31] offset:1544
	s_waitcnt vmcnt(0) lgkmcnt(0)
	v_cmp_ne_u16_sdwa s5, v30, v9 src0_sel:BYTE_0 src1_sel:DWORD
	s_and_saveexec_b32 s6, s5
	s_cbranch_execz .LBB399_1491
; %bb.1484:                             ;   in Loop: Header=BB399_11 Depth=1
	v_cmp_ne_u16_sdwa s5, v30, v41 src0_sel:BYTE_0 src1_sel:DWORD
	v_bfrev_b32_e32 v120, 1
	s_and_saveexec_b32 s17, s5
	s_cbranch_execz .LBB399_1490
; %bb.1485:                             ;   in Loop: Header=BB399_11 Depth=1
	v_and_b32_e32 v3, 0x7f, v30
	v_mov_b32_e32 v120, 0x7f800001
	s_mov_b32 s23, exec_lo
	v_cmpx_ne_u32_e32 0x7f, v3
	s_cbranch_execz .LBB399_1489
; %bb.1486:                             ;   in Loop: Header=BB399_11 Depth=1
	v_mov_b32_e32 v33, v31
	v_lshrrev_b32_e32 v1, 3, v3
	v_mov_b32_e32 v32, v30
	s_mov_b32 s24, exec_lo
	v_cmpx_gt_u32_e32 8, v3
; %bb.1487:                             ;   in Loop: Header=BB399_11 Depth=1
	v_and_b32_e32 v1, 7, v30
	v_ffbh_u32_e32 v1, v1
	v_min_u32_e32 v1, 32, v1
	v_subrev_nc_u32_e32 v3, 28, v1
	v_sub_nc_u32_e32 v1, 29, v1
	v_lshlrev_b64 v[32:33], v3, v[30:31]
; %bb.1488:                             ;   in Loop: Header=BB399_11 Depth=1
	s_or_b32 exec_lo, exec_lo, s24
	v_lshlrev_b32_e32 v3, 20, v32
	v_lshlrev_b32_e32 v8, 24, v30
	v_lshl_add_u32 v1, v1, 23, 0x3c000000
	v_and_b32_e32 v3, 0x700000, v3
	v_and_b32_e32 v8, 0x80000000, v8
	v_or3_b32 v120, v3, v8, v1
.LBB399_1489:                           ;   in Loop: Header=BB399_11 Depth=1
	s_or_b32 exec_lo, exec_lo, s23
.LBB399_1490:                           ;   in Loop: Header=BB399_11 Depth=1
	s_or_b32 exec_lo, exec_lo, s17
.LBB399_1491:                           ;   in Loop: Header=BB399_11 Depth=1
	s_or_b32 exec_lo, exec_lo, s6
	v_cmp_ne_u16_sdwa s5, v30, v9 src0_sel:BYTE_1 src1_sel:DWORD
	v_mov_b32_e32 v87, 0
	v_mov_b32_e32 v85, 0
	s_and_saveexec_b32 s6, s5
	s_cbranch_execz .LBB399_1499
; %bb.1492:                             ;   in Loop: Header=BB399_11 Depth=1
	v_cmp_ne_u16_sdwa s5, v30, v41 src0_sel:BYTE_1 src1_sel:DWORD
	v_bfrev_b32_e32 v85, 1
	s_and_saveexec_b32 s17, s5
	s_cbranch_execz .LBB399_1498
; %bb.1493:                             ;   in Loop: Header=BB399_11 Depth=1
	v_mov_b32_e32 v1, 0xffff
	v_mov_b32_e32 v85, 0x7f800001
	s_mov_b32 s23, exec_lo
	v_and_b32_sdwa v1, v1, v30 dst_sel:DWORD dst_unused:UNUSED_PAD src0_sel:DWORD src1_sel:BYTE_1
	v_and_b32_e32 v3, 0x7f, v1
	v_cmpx_ne_u32_e32 0x7f, v3
	s_cbranch_execz .LBB399_1497
; %bb.1494:                             ;   in Loop: Header=BB399_11 Depth=1
	v_and_b32_e32 v8, 7, v1
	v_mov_b32_e32 v33, v9
	v_lshrrev_b32_e32 v1, 3, v3
	s_mov_b32 s24, exec_lo
	v_mov_b32_e32 v32, v8
	v_cmpx_gt_u32_e32 8, v3
; %bb.1495:                             ;   in Loop: Header=BB399_11 Depth=1
	v_ffbh_u32_e32 v1, v8
	v_min_u32_e32 v1, 32, v1
	v_subrev_nc_u32_e32 v3, 28, v1
	v_sub_nc_u32_e32 v1, 29, v1
	v_lshlrev_b64 v[16:17], v3, v[8:9]
	v_and_b32_e32 v32, 7, v16
; %bb.1496:                             ;   in Loop: Header=BB399_11 Depth=1
	s_or_b32 exec_lo, exec_lo, s24
	v_lshlrev_b32_e32 v3, 16, v30
	v_lshlrev_b32_e32 v8, 20, v32
	v_lshl_add_u32 v1, v1, 23, 0x3c000000
	v_and_b32_e32 v3, 0x80000000, v3
	v_or3_b32 v85, v8, v3, v1
.LBB399_1497:                           ;   in Loop: Header=BB399_11 Depth=1
	s_or_b32 exec_lo, exec_lo, s23
.LBB399_1498:                           ;   in Loop: Header=BB399_11 Depth=1
	s_or_b32 exec_lo, exec_lo, s17
.LBB399_1499:                           ;   in Loop: Header=BB399_11 Depth=1
	s_or_b32 exec_lo, exec_lo, s6
	v_mov_b32_e32 v1, 0xff
	s_mov_b32 s6, exec_lo
	v_and_b32_sdwa v1, v30, v1 dst_sel:DWORD dst_unused:UNUSED_PAD src0_sel:WORD_1 src1_sel:DWORD
	v_cmpx_ne_u16_e32 0, v1
	s_cbranch_execz .LBB399_1507
; %bb.1500:                             ;   in Loop: Header=BB399_11 Depth=1
	v_bfrev_b32_e32 v87, 1
	s_mov_b32 s17, exec_lo
	v_cmpx_ne_u16_e32 0x80, v1
	s_cbranch_execz .LBB399_1506
; %bb.1501:                             ;   in Loop: Header=BB399_11 Depth=1
	v_bfe_u32 v3, v30, 16, 7
	v_mov_b32_e32 v87, 0x7f800001
	s_mov_b32 s23, exec_lo
	v_cmpx_ne_u32_e32 0x7f, v3
	s_cbranch_execz .LBB399_1505
; %bb.1502:                             ;   in Loop: Header=BB399_11 Depth=1
	v_mov_b32_e32 v1, 7
	s_mov_b32 s24, exec_lo
	v_and_b32_sdwa v8, v30, v1 dst_sel:DWORD dst_unused:UNUSED_PAD src0_sel:WORD_1 src1_sel:DWORD
	v_mov_b32_e32 v33, v9
	v_lshrrev_b32_e32 v1, 3, v3
	v_mov_b32_e32 v32, v8
	v_cmpx_gt_u32_e32 8, v3
; %bb.1503:                             ;   in Loop: Header=BB399_11 Depth=1
	v_ffbh_u32_e32 v1, v8
	v_min_u32_e32 v1, 32, v1
	v_subrev_nc_u32_e32 v3, 28, v1
	v_sub_nc_u32_e32 v1, 29, v1
	v_lshlrev_b64 v[16:17], v3, v[8:9]
	v_and_b32_e32 v32, 7, v16
; %bb.1504:                             ;   in Loop: Header=BB399_11 Depth=1
	s_or_b32 exec_lo, exec_lo, s24
	v_mov_b32_e32 v3, 24
	v_lshlrev_b32_e32 v8, 20, v32
	v_lshl_add_u32 v1, v1, 23, 0x3c000000
	v_lshlrev_b32_sdwa v3, v3, v30 dst_sel:DWORD dst_unused:UNUSED_PAD src0_sel:DWORD src1_sel:WORD_1
	v_and_b32_e32 v3, 0x80000000, v3
	v_or3_b32 v87, v8, v3, v1
.LBB399_1505:                           ;   in Loop: Header=BB399_11 Depth=1
	s_or_b32 exec_lo, exec_lo, s23
.LBB399_1506:                           ;   in Loop: Header=BB399_11 Depth=1
	s_or_b32 exec_lo, exec_lo, s17
.LBB399_1507:                           ;   in Loop: Header=BB399_11 Depth=1
	s_or_b32 exec_lo, exec_lo, s6
	v_mov_b32_e32 v97, 0
	v_mov_b32_e32 v86, 0
	s_mov_b32 s6, exec_lo
	v_cmpx_lt_u32_e32 0xffffff, v30
	s_cbranch_execz .LBB399_1515
; %bb.1508:                             ;   in Loop: Header=BB399_11 Depth=1
	v_cmp_ne_u32_sdwa s5, v30, v41 src0_sel:BYTE_3 src1_sel:DWORD
	v_bfrev_b32_e32 v86, 1
	s_and_saveexec_b32 s17, s5
	s_cbranch_execz .LBB399_1514
; %bb.1509:                             ;   in Loop: Header=BB399_11 Depth=1
	v_bfe_u32 v3, v30, 24, 7
	v_mov_b32_e32 v86, 0x7f800001
	s_mov_b32 s23, exec_lo
	v_cmpx_ne_u32_e32 0x7f, v3
	s_cbranch_execz .LBB399_1513
; %bb.1510:                             ;   in Loop: Header=BB399_11 Depth=1
	v_mov_b32_e32 v1, 7
	s_mov_b32 s24, exec_lo
	v_and_b32_sdwa v8, v30, v1 dst_sel:DWORD dst_unused:UNUSED_PAD src0_sel:BYTE_3 src1_sel:DWORD
	v_mov_b32_e32 v33, v9
	v_lshrrev_b32_e32 v1, 3, v3
	v_mov_b32_e32 v32, v8
	v_cmpx_gt_u32_e32 8, v3
; %bb.1511:                             ;   in Loop: Header=BB399_11 Depth=1
	v_ffbh_u32_e32 v1, v8
	v_min_u32_e32 v1, 32, v1
	v_subrev_nc_u32_e32 v3, 28, v1
	v_sub_nc_u32_e32 v1, 29, v1
	v_lshlrev_b64 v[16:17], v3, v[8:9]
	v_and_b32_e32 v32, 7, v16
; %bb.1512:                             ;   in Loop: Header=BB399_11 Depth=1
	s_or_b32 exec_lo, exec_lo, s24
	v_mov_b32_e32 v3, 24
	v_lshlrev_b32_e32 v8, 20, v32
	v_lshl_add_u32 v1, v1, 23, 0x3c000000
	v_lshlrev_b32_sdwa v3, v3, v30 dst_sel:DWORD dst_unused:UNUSED_PAD src0_sel:DWORD src1_sel:BYTE_3
	v_and_b32_e32 v3, 0x80000000, v3
	v_or3_b32 v86, v8, v3, v1
.LBB399_1513:                           ;   in Loop: Header=BB399_11 Depth=1
	s_or_b32 exec_lo, exec_lo, s23
.LBB399_1514:                           ;   in Loop: Header=BB399_11 Depth=1
	s_or_b32 exec_lo, exec_lo, s17
.LBB399_1515:                           ;   in Loop: Header=BB399_11 Depth=1
	s_or_b32 exec_lo, exec_lo, s6
	v_mov_b32_e32 v8, v31
	v_cmp_ne_u16_sdwa s5, v31, v9 src0_sel:BYTE_0 src1_sel:DWORD
	s_and_saveexec_b32 s6, s5
	s_cbranch_execz .LBB399_1523
; %bb.1516:                             ;   in Loop: Header=BB399_11 Depth=1
	v_cmp_ne_u16_sdwa s5, v31, v41 src0_sel:BYTE_0 src1_sel:DWORD
	v_bfrev_b32_e32 v97, 1
	s_and_saveexec_b32 s17, s5
	s_cbranch_execz .LBB399_1522
; %bb.1517:                             ;   in Loop: Header=BB399_11 Depth=1
	v_and_b32_e32 v3, 0x7f, v31
	v_mov_b32_e32 v97, 0x7f800001
	s_mov_b32 s23, exec_lo
	v_cmpx_ne_u32_e32 0x7f, v3
	s_cbranch_execz .LBB399_1521
; %bb.1518:                             ;   in Loop: Header=BB399_11 Depth=1
	v_mov_b32_e32 v33, v9
	v_mov_b32_e32 v32, v8
	v_lshrrev_b32_e32 v1, 3, v3
	s_mov_b32 s24, exec_lo
	v_cmpx_gt_u32_e32 8, v3
; %bb.1519:                             ;   in Loop: Header=BB399_11 Depth=1
	v_and_b32_e32 v1, 7, v31
	v_ffbh_u32_e32 v1, v1
	v_min_u32_e32 v1, 32, v1
	v_subrev_nc_u32_e32 v3, 28, v1
	v_sub_nc_u32_e32 v1, 29, v1
	v_lshlrev_b64 v[32:33], v3, v[8:9]
; %bb.1520:                             ;   in Loop: Header=BB399_11 Depth=1
	s_or_b32 exec_lo, exec_lo, s24
	v_lshlrev_b32_e32 v3, 20, v32
	v_lshlrev_b32_e32 v13, 24, v8
	v_lshl_add_u32 v1, v1, 23, 0x3c000000
	v_and_b32_e32 v3, 0x700000, v3
	v_and_b32_e32 v13, 0x80000000, v13
	v_or3_b32 v97, v3, v13, v1
.LBB399_1521:                           ;   in Loop: Header=BB399_11 Depth=1
	s_or_b32 exec_lo, exec_lo, s23
.LBB399_1522:                           ;   in Loop: Header=BB399_11 Depth=1
	s_or_b32 exec_lo, exec_lo, s17
.LBB399_1523:                           ;   in Loop: Header=BB399_11 Depth=1
	s_or_b32 exec_lo, exec_lo, s6
	v_cmp_ne_u16_sdwa s5, v8, v9 src0_sel:BYTE_1 src1_sel:DWORD
	v_mov_b32_e32 v34, 0
	v_mov_b32_e32 v99, 0
	s_and_saveexec_b32 s6, s5
	s_cbranch_execz .LBB399_1531
; %bb.1524:                             ;   in Loop: Header=BB399_11 Depth=1
	v_cmp_ne_u16_sdwa s5, v8, v41 src0_sel:BYTE_1 src1_sel:DWORD
	v_bfrev_b32_e32 v99, 1
	s_and_saveexec_b32 s17, s5
	s_cbranch_execz .LBB399_1530
; %bb.1525:                             ;   in Loop: Header=BB399_11 Depth=1
	v_mov_b32_e32 v1, 0xffff
	v_mov_b32_e32 v99, 0x7f800001
	s_mov_b32 s23, exec_lo
	v_and_b32_sdwa v1, v1, v8 dst_sel:DWORD dst_unused:UNUSED_PAD src0_sel:DWORD src1_sel:BYTE_1
	v_and_b32_e32 v3, 0x7f, v1
	v_cmpx_ne_u32_e32 0x7f, v3
	s_cbranch_execz .LBB399_1529
; %bb.1526:                             ;   in Loop: Header=BB399_11 Depth=1
	v_and_b32_e32 v32, 7, v1
	v_mov_b32_e32 v33, v9
	v_lshrrev_b32_e32 v1, 3, v3
	s_mov_b32 s24, exec_lo
	v_cmpx_gt_u32_e32 8, v3
; %bb.1527:                             ;   in Loop: Header=BB399_11 Depth=1
	v_ffbh_u32_e32 v1, v32
	v_min_u32_e32 v1, 32, v1
	v_subrev_nc_u32_e32 v3, 28, v1
	v_sub_nc_u32_e32 v1, 29, v1
	v_lshlrev_b64 v[16:17], v3, v[32:33]
	v_and_b32_e32 v32, 7, v16
; %bb.1528:                             ;   in Loop: Header=BB399_11 Depth=1
	s_or_b32 exec_lo, exec_lo, s24
	v_lshlrev_b32_e32 v3, 16, v8
	v_lshlrev_b32_e32 v8, 20, v32
	v_lshl_add_u32 v1, v1, 23, 0x3c000000
	v_and_b32_e32 v3, 0x80000000, v3
	v_or3_b32 v99, v8, v3, v1
.LBB399_1529:                           ;   in Loop: Header=BB399_11 Depth=1
	s_or_b32 exec_lo, exec_lo, s23
.LBB399_1530:                           ;   in Loop: Header=BB399_11 Depth=1
	s_or_b32 exec_lo, exec_lo, s17
.LBB399_1531:                           ;   in Loop: Header=BB399_11 Depth=1
	s_or_b32 exec_lo, exec_lo, s6
	v_mov_b32_e32 v1, 0xff
	s_mov_b32 s6, exec_lo
	v_and_b32_sdwa v1, v31, v1 dst_sel:DWORD dst_unused:UNUSED_PAD src0_sel:WORD_1 src1_sel:DWORD
	v_cmpx_ne_u16_e32 0, v1
	s_cbranch_execz .LBB399_1539
; %bb.1532:                             ;   in Loop: Header=BB399_11 Depth=1
	v_bfrev_b32_e32 v34, 1
	s_mov_b32 s17, exec_lo
	v_cmpx_ne_u16_e32 0x80, v1
	s_cbranch_execz .LBB399_1538
; %bb.1533:                             ;   in Loop: Header=BB399_11 Depth=1
	v_bfe_u32 v3, v31, 16, 7
	v_mov_b32_e32 v34, 0x7f800001
	s_mov_b32 s23, exec_lo
	v_cmpx_ne_u32_e32 0x7f, v3
	s_cbranch_execz .LBB399_1537
; %bb.1534:                             ;   in Loop: Header=BB399_11 Depth=1
	v_mov_b32_e32 v1, 7
	s_mov_b32 s24, exec_lo
	v_and_b32_sdwa v8, v31, v1 dst_sel:DWORD dst_unused:UNUSED_PAD src0_sel:WORD_1 src1_sel:DWORD
	v_mov_b32_e32 v33, v9
	v_lshrrev_b32_e32 v1, 3, v3
	v_mov_b32_e32 v32, v8
	v_cmpx_gt_u32_e32 8, v3
; %bb.1535:                             ;   in Loop: Header=BB399_11 Depth=1
	v_ffbh_u32_e32 v1, v8
	v_min_u32_e32 v1, 32, v1
	v_subrev_nc_u32_e32 v3, 28, v1
	v_sub_nc_u32_e32 v1, 29, v1
	v_lshlrev_b64 v[16:17], v3, v[8:9]
	v_and_b32_e32 v32, 7, v16
; %bb.1536:                             ;   in Loop: Header=BB399_11 Depth=1
	s_or_b32 exec_lo, exec_lo, s24
	v_mov_b32_e32 v3, 24
	v_lshlrev_b32_e32 v8, 20, v32
	v_lshl_add_u32 v1, v1, 23, 0x3c000000
	v_lshlrev_b32_sdwa v3, v3, v31 dst_sel:DWORD dst_unused:UNUSED_PAD src0_sel:DWORD src1_sel:WORD_1
	v_and_b32_e32 v3, 0x80000000, v3
	v_or3_b32 v34, v8, v3, v1
.LBB399_1537:                           ;   in Loop: Header=BB399_11 Depth=1
	s_or_b32 exec_lo, exec_lo, s23
.LBB399_1538:                           ;   in Loop: Header=BB399_11 Depth=1
	s_or_b32 exec_lo, exec_lo, s17
.LBB399_1539:                           ;   in Loop: Header=BB399_11 Depth=1
	s_or_b32 exec_lo, exec_lo, s6
	v_mov_b32_e32 v101, 0
	v_mov_b32_e32 v27, 0
	s_mov_b32 s6, exec_lo
	v_cmpx_lt_u64_e64 s[8:9], v[30:31]
	s_cbranch_execz .LBB399_1547
; %bb.1540:                             ;   in Loop: Header=BB399_11 Depth=1
	v_cmp_ne_u32_sdwa s5, v31, v41 src0_sel:BYTE_3 src1_sel:DWORD
	v_bfrev_b32_e32 v27, 1
	s_and_saveexec_b32 s17, s5
	s_cbranch_execz .LBB399_1546
; %bb.1541:                             ;   in Loop: Header=BB399_11 Depth=1
	v_bfe_u32 v3, v31, 24, 7
	v_mov_b32_e32 v27, 0x7f800001
	s_mov_b32 s23, exec_lo
	v_cmpx_ne_u32_e32 0x7f, v3
	s_cbranch_execz .LBB399_1545
; %bb.1542:                             ;   in Loop: Header=BB399_11 Depth=1
	v_mov_b32_e32 v1, 7
	s_mov_b32 s24, exec_lo
	v_and_b32_sdwa v8, v31, v1 dst_sel:DWORD dst_unused:UNUSED_PAD src0_sel:BYTE_3 src1_sel:DWORD
	v_mov_b32_e32 v33, v9
	v_lshrrev_b32_e32 v1, 3, v3
	v_mov_b32_e32 v32, v8
	v_cmpx_gt_u32_e32 8, v3
; %bb.1543:                             ;   in Loop: Header=BB399_11 Depth=1
	v_ffbh_u32_e32 v1, v8
	v_min_u32_e32 v1, 32, v1
	v_subrev_nc_u32_e32 v3, 28, v1
	v_sub_nc_u32_e32 v1, 29, v1
	v_lshlrev_b64 v[16:17], v3, v[8:9]
	v_and_b32_e32 v32, 7, v16
; %bb.1544:                             ;   in Loop: Header=BB399_11 Depth=1
	s_or_b32 exec_lo, exec_lo, s24
	v_mov_b32_e32 v3, 24
	v_lshlrev_b32_e32 v8, 20, v32
	v_lshl_add_u32 v1, v1, 23, 0x3c000000
	v_lshlrev_b32_sdwa v3, v3, v31 dst_sel:DWORD dst_unused:UNUSED_PAD src0_sel:DWORD src1_sel:BYTE_3
	v_and_b32_e32 v3, 0x80000000, v3
	v_or3_b32 v27, v8, v3, v1
.LBB399_1545:                           ;   in Loop: Header=BB399_11 Depth=1
	s_or_b32 exec_lo, exec_lo, s23
.LBB399_1546:                           ;   in Loop: Header=BB399_11 Depth=1
	s_or_b32 exec_lo, exec_lo, s17
.LBB399_1547:                           ;   in Loop: Header=BB399_11 Depth=1
	s_or_b32 exec_lo, exec_lo, s6
	v_add_co_u32 v28, s5, 0x1800, v28
	v_add_co_ci_u32_e64 v29, null, 0, v29, s5
	flat_load_dwordx2 v[30:31], v[28:29]
	s_waitcnt vmcnt(0) lgkmcnt(0)
	v_cmp_ne_u16_sdwa s5, v30, v9 src0_sel:BYTE_0 src1_sel:DWORD
	s_and_saveexec_b32 s6, s5
	s_cbranch_execz .LBB399_1555
; %bb.1548:                             ;   in Loop: Header=BB399_11 Depth=1
	v_cmp_ne_u16_sdwa s5, v30, v41 src0_sel:BYTE_0 src1_sel:DWORD
	v_bfrev_b32_e32 v101, 1
	s_and_saveexec_b32 s17, s5
	s_cbranch_execz .LBB399_1554
; %bb.1549:                             ;   in Loop: Header=BB399_11 Depth=1
	v_and_b32_e32 v3, 0x7f, v30
	v_mov_b32_e32 v101, 0x7f800001
	s_mov_b32 s23, exec_lo
	v_cmpx_ne_u32_e32 0x7f, v3
	s_cbranch_execz .LBB399_1553
; %bb.1550:                             ;   in Loop: Header=BB399_11 Depth=1
	v_mov_b32_e32 v33, v31
	v_lshrrev_b32_e32 v1, 3, v3
	v_mov_b32_e32 v32, v30
	s_mov_b32 s24, exec_lo
	v_cmpx_gt_u32_e32 8, v3
; %bb.1551:                             ;   in Loop: Header=BB399_11 Depth=1
	v_and_b32_e32 v1, 7, v30
	v_ffbh_u32_e32 v1, v1
	v_min_u32_e32 v1, 32, v1
	v_subrev_nc_u32_e32 v3, 28, v1
	v_sub_nc_u32_e32 v1, 29, v1
	v_lshlrev_b64 v[32:33], v3, v[30:31]
; %bb.1552:                             ;   in Loop: Header=BB399_11 Depth=1
	s_or_b32 exec_lo, exec_lo, s24
	v_lshlrev_b32_e32 v3, 20, v32
	v_lshlrev_b32_e32 v8, 24, v30
	v_lshl_add_u32 v1, v1, 23, 0x3c000000
	v_and_b32_e32 v3, 0x700000, v3
	v_and_b32_e32 v8, 0x80000000, v8
	v_or3_b32 v101, v3, v8, v1
.LBB399_1553:                           ;   in Loop: Header=BB399_11 Depth=1
	s_or_b32 exec_lo, exec_lo, s23
.LBB399_1554:                           ;   in Loop: Header=BB399_11 Depth=1
	s_or_b32 exec_lo, exec_lo, s17
.LBB399_1555:                           ;   in Loop: Header=BB399_11 Depth=1
	s_or_b32 exec_lo, exec_lo, s6
	v_cmp_ne_u16_sdwa s5, v30, v9 src0_sel:BYTE_1 src1_sel:DWORD
	v_mov_b32_e32 v36, 0
	v_mov_b32_e32 v18, 0
	s_and_saveexec_b32 s6, s5
	s_cbranch_execz .LBB399_1563
; %bb.1556:                             ;   in Loop: Header=BB399_11 Depth=1
	v_cmp_ne_u16_sdwa s5, v30, v41 src0_sel:BYTE_1 src1_sel:DWORD
	v_bfrev_b32_e32 v18, 1
	s_and_saveexec_b32 s17, s5
	s_cbranch_execz .LBB399_1562
; %bb.1557:                             ;   in Loop: Header=BB399_11 Depth=1
	v_mov_b32_e32 v1, 0xffff
	v_mov_b32_e32 v18, 0x7f800001
	s_mov_b32 s23, exec_lo
	v_and_b32_sdwa v1, v1, v30 dst_sel:DWORD dst_unused:UNUSED_PAD src0_sel:DWORD src1_sel:BYTE_1
	v_and_b32_e32 v3, 0x7f, v1
	v_cmpx_ne_u32_e32 0x7f, v3
	s_cbranch_execz .LBB399_1561
; %bb.1558:                             ;   in Loop: Header=BB399_11 Depth=1
	v_and_b32_e32 v8, 7, v1
	v_mov_b32_e32 v33, v9
	v_lshrrev_b32_e32 v1, 3, v3
	s_mov_b32 s24, exec_lo
	v_mov_b32_e32 v32, v8
	v_cmpx_gt_u32_e32 8, v3
; %bb.1559:                             ;   in Loop: Header=BB399_11 Depth=1
	v_ffbh_u32_e32 v1, v8
	v_min_u32_e32 v1, 32, v1
	v_subrev_nc_u32_e32 v3, 28, v1
	v_sub_nc_u32_e32 v1, 29, v1
	v_lshlrev_b64 v[16:17], v3, v[8:9]
	v_and_b32_e32 v32, 7, v16
; %bb.1560:                             ;   in Loop: Header=BB399_11 Depth=1
	s_or_b32 exec_lo, exec_lo, s24
	v_lshlrev_b32_e32 v3, 16, v30
	v_lshlrev_b32_e32 v8, 20, v32
	v_lshl_add_u32 v1, v1, 23, 0x3c000000
	v_and_b32_e32 v3, 0x80000000, v3
	v_or3_b32 v18, v8, v3, v1
.LBB399_1561:                           ;   in Loop: Header=BB399_11 Depth=1
	s_or_b32 exec_lo, exec_lo, s23
.LBB399_1562:                           ;   in Loop: Header=BB399_11 Depth=1
	s_or_b32 exec_lo, exec_lo, s17
.LBB399_1563:                           ;   in Loop: Header=BB399_11 Depth=1
	s_or_b32 exec_lo, exec_lo, s6
	v_mov_b32_e32 v1, 0xff
	s_mov_b32 s6, exec_lo
	v_and_b32_sdwa v1, v30, v1 dst_sel:DWORD dst_unused:UNUSED_PAD src0_sel:WORD_1 src1_sel:DWORD
	v_cmpx_ne_u16_e32 0, v1
	s_cbranch_execz .LBB399_1571
; %bb.1564:                             ;   in Loop: Header=BB399_11 Depth=1
	v_bfrev_b32_e32 v36, 1
	s_mov_b32 s17, exec_lo
	v_cmpx_ne_u16_e32 0x80, v1
	s_cbranch_execz .LBB399_1570
; %bb.1565:                             ;   in Loop: Header=BB399_11 Depth=1
	v_bfe_u32 v3, v30, 16, 7
	v_mov_b32_e32 v36, 0x7f800001
	s_mov_b32 s23, exec_lo
	v_cmpx_ne_u32_e32 0x7f, v3
	s_cbranch_execz .LBB399_1569
; %bb.1566:                             ;   in Loop: Header=BB399_11 Depth=1
	v_mov_b32_e32 v1, 7
	s_mov_b32 s24, exec_lo
	v_and_b32_sdwa v8, v30, v1 dst_sel:DWORD dst_unused:UNUSED_PAD src0_sel:WORD_1 src1_sel:DWORD
	v_mov_b32_e32 v33, v9
	v_lshrrev_b32_e32 v1, 3, v3
	v_mov_b32_e32 v32, v8
	v_cmpx_gt_u32_e32 8, v3
; %bb.1567:                             ;   in Loop: Header=BB399_11 Depth=1
	v_ffbh_u32_e32 v1, v8
	v_min_u32_e32 v1, 32, v1
	v_subrev_nc_u32_e32 v3, 28, v1
	v_sub_nc_u32_e32 v1, 29, v1
	v_lshlrev_b64 v[16:17], v3, v[8:9]
	v_and_b32_e32 v32, 7, v16
; %bb.1568:                             ;   in Loop: Header=BB399_11 Depth=1
	s_or_b32 exec_lo, exec_lo, s24
	v_mov_b32_e32 v3, 24
	v_lshlrev_b32_e32 v8, 20, v32
	v_lshl_add_u32 v1, v1, 23, 0x3c000000
	v_lshlrev_b32_sdwa v3, v3, v30 dst_sel:DWORD dst_unused:UNUSED_PAD src0_sel:DWORD src1_sel:WORD_1
	v_and_b32_e32 v3, 0x80000000, v3
	v_or3_b32 v36, v8, v3, v1
.LBB399_1569:                           ;   in Loop: Header=BB399_11 Depth=1
	s_or_b32 exec_lo, exec_lo, s23
.LBB399_1570:                           ;   in Loop: Header=BB399_11 Depth=1
	s_or_b32 exec_lo, exec_lo, s17
.LBB399_1571:                           ;   in Loop: Header=BB399_11 Depth=1
	s_or_b32 exec_lo, exec_lo, s6
	v_mov_b32_e32 v19, 0
	v_mov_b32_e32 v127, 0
	s_mov_b32 s6, exec_lo
	v_cmpx_lt_u32_e32 0xffffff, v30
	s_cbranch_execz .LBB399_1579
; %bb.1572:                             ;   in Loop: Header=BB399_11 Depth=1
	v_cmp_ne_u32_sdwa s5, v30, v41 src0_sel:BYTE_3 src1_sel:DWORD
	v_bfrev_b32_e32 v127, 1
	s_and_saveexec_b32 s17, s5
	s_cbranch_execz .LBB399_1578
; %bb.1573:                             ;   in Loop: Header=BB399_11 Depth=1
	v_bfe_u32 v3, v30, 24, 7
	v_mov_b32_e32 v127, 0x7f800001
	s_mov_b32 s23, exec_lo
	v_cmpx_ne_u32_e32 0x7f, v3
	s_cbranch_execz .LBB399_1577
; %bb.1574:                             ;   in Loop: Header=BB399_11 Depth=1
	v_mov_b32_e32 v1, 7
	s_mov_b32 s24, exec_lo
	v_and_b32_sdwa v8, v30, v1 dst_sel:DWORD dst_unused:UNUSED_PAD src0_sel:BYTE_3 src1_sel:DWORD
	v_mov_b32_e32 v33, v9
	v_lshrrev_b32_e32 v1, 3, v3
	v_mov_b32_e32 v32, v8
	v_cmpx_gt_u32_e32 8, v3
; %bb.1575:                             ;   in Loop: Header=BB399_11 Depth=1
	v_ffbh_u32_e32 v1, v8
	v_min_u32_e32 v1, 32, v1
	v_subrev_nc_u32_e32 v3, 28, v1
	v_sub_nc_u32_e32 v1, 29, v1
	v_lshlrev_b64 v[16:17], v3, v[8:9]
	v_and_b32_e32 v32, 7, v16
; %bb.1576:                             ;   in Loop: Header=BB399_11 Depth=1
	s_or_b32 exec_lo, exec_lo, s24
	v_mov_b32_e32 v3, 24
	v_lshlrev_b32_e32 v8, 20, v32
	v_lshl_add_u32 v1, v1, 23, 0x3c000000
	v_lshlrev_b32_sdwa v3, v3, v30 dst_sel:DWORD dst_unused:UNUSED_PAD src0_sel:DWORD src1_sel:BYTE_3
	v_and_b32_e32 v3, 0x80000000, v3
	v_or3_b32 v127, v8, v3, v1
.LBB399_1577:                           ;   in Loop: Header=BB399_11 Depth=1
	s_or_b32 exec_lo, exec_lo, s23
.LBB399_1578:                           ;   in Loop: Header=BB399_11 Depth=1
	s_or_b32 exec_lo, exec_lo, s17
.LBB399_1579:                           ;   in Loop: Header=BB399_11 Depth=1
	s_or_b32 exec_lo, exec_lo, s6
	v_mov_b32_e32 v8, v31
	v_cmp_ne_u16_sdwa s5, v31, v9 src0_sel:BYTE_0 src1_sel:DWORD
	s_and_saveexec_b32 s6, s5
	s_cbranch_execz .LBB399_1587
; %bb.1580:                             ;   in Loop: Header=BB399_11 Depth=1
	v_cmp_ne_u16_sdwa s5, v31, v41 src0_sel:BYTE_0 src1_sel:DWORD
	v_bfrev_b32_e32 v19, 1
	s_and_saveexec_b32 s17, s5
	s_cbranch_execz .LBB399_1586
; %bb.1581:                             ;   in Loop: Header=BB399_11 Depth=1
	v_and_b32_e32 v3, 0x7f, v31
	v_mov_b32_e32 v19, 0x7f800001
	s_mov_b32 s23, exec_lo
	v_cmpx_ne_u32_e32 0x7f, v3
	s_cbranch_execz .LBB399_1585
; %bb.1582:                             ;   in Loop: Header=BB399_11 Depth=1
	v_mov_b32_e32 v33, v9
	v_mov_b32_e32 v32, v8
	v_lshrrev_b32_e32 v1, 3, v3
	s_mov_b32 s24, exec_lo
	v_cmpx_gt_u32_e32 8, v3
; %bb.1583:                             ;   in Loop: Header=BB399_11 Depth=1
	v_and_b32_e32 v1, 7, v31
	v_ffbh_u32_e32 v1, v1
	v_min_u32_e32 v1, 32, v1
	v_subrev_nc_u32_e32 v3, 28, v1
	v_sub_nc_u32_e32 v1, 29, v1
	v_lshlrev_b64 v[32:33], v3, v[8:9]
; %bb.1584:                             ;   in Loop: Header=BB399_11 Depth=1
	s_or_b32 exec_lo, exec_lo, s24
	v_lshlrev_b32_e32 v3, 20, v32
	v_lshlrev_b32_e32 v13, 24, v8
	v_lshl_add_u32 v1, v1, 23, 0x3c000000
	v_and_b32_e32 v3, 0x700000, v3
	v_and_b32_e32 v13, 0x80000000, v13
	v_or3_b32 v19, v3, v13, v1
.LBB399_1585:                           ;   in Loop: Header=BB399_11 Depth=1
	s_or_b32 exec_lo, exec_lo, s23
.LBB399_1586:                           ;   in Loop: Header=BB399_11 Depth=1
	s_or_b32 exec_lo, exec_lo, s17
.LBB399_1587:                           ;   in Loop: Header=BB399_11 Depth=1
	s_or_b32 exec_lo, exec_lo, s6
	v_cmp_ne_u16_sdwa s5, v8, v9 src0_sel:BYTE_1 src1_sel:DWORD
	v_mov_b32_e32 v102, 0
	v_mov_b32_e32 v13, 0
	s_and_saveexec_b32 s6, s5
	s_cbranch_execz .LBB399_1595
; %bb.1588:                             ;   in Loop: Header=BB399_11 Depth=1
	v_cmp_ne_u16_sdwa s5, v8, v41 src0_sel:BYTE_1 src1_sel:DWORD
	v_bfrev_b32_e32 v13, 1
	s_and_saveexec_b32 s17, s5
	s_cbranch_execz .LBB399_1594
; %bb.1589:                             ;   in Loop: Header=BB399_11 Depth=1
	v_mov_b32_e32 v1, 0xffff
	v_mov_b32_e32 v13, 0x7f800001
	s_mov_b32 s23, exec_lo
	v_and_b32_sdwa v1, v1, v8 dst_sel:DWORD dst_unused:UNUSED_PAD src0_sel:DWORD src1_sel:BYTE_1
	v_and_b32_e32 v3, 0x7f, v1
	v_cmpx_ne_u32_e32 0x7f, v3
	s_cbranch_execz .LBB399_1593
; %bb.1590:                             ;   in Loop: Header=BB399_11 Depth=1
	v_and_b32_e32 v32, 7, v1
	v_mov_b32_e32 v33, v9
	v_lshrrev_b32_e32 v1, 3, v3
	s_mov_b32 s24, exec_lo
	v_cmpx_gt_u32_e32 8, v3
; %bb.1591:                             ;   in Loop: Header=BB399_11 Depth=1
	v_ffbh_u32_e32 v1, v32
	v_min_u32_e32 v1, 32, v1
	v_subrev_nc_u32_e32 v3, 28, v1
	v_sub_nc_u32_e32 v1, 29, v1
	v_lshlrev_b64 v[20:21], v3, v[32:33]
	v_and_b32_e32 v32, 7, v20
; %bb.1592:                             ;   in Loop: Header=BB399_11 Depth=1
	s_or_b32 exec_lo, exec_lo, s24
	v_lshlrev_b32_e32 v3, 16, v8
	v_lshlrev_b32_e32 v8, 20, v32
	v_lshl_add_u32 v1, v1, 23, 0x3c000000
	v_and_b32_e32 v3, 0x80000000, v3
	v_or3_b32 v13, v8, v3, v1
.LBB399_1593:                           ;   in Loop: Header=BB399_11 Depth=1
	s_or_b32 exec_lo, exec_lo, s23
.LBB399_1594:                           ;   in Loop: Header=BB399_11 Depth=1
	s_or_b32 exec_lo, exec_lo, s17
.LBB399_1595:                           ;   in Loop: Header=BB399_11 Depth=1
	s_or_b32 exec_lo, exec_lo, s6
	v_mov_b32_e32 v1, 0xff
	s_mov_b32 s6, exec_lo
	v_and_b32_sdwa v1, v31, v1 dst_sel:DWORD dst_unused:UNUSED_PAD src0_sel:WORD_1 src1_sel:DWORD
	v_cmpx_ne_u16_e32 0, v1
	s_cbranch_execz .LBB399_1603
; %bb.1596:                             ;   in Loop: Header=BB399_11 Depth=1
	v_bfrev_b32_e32 v102, 1
	s_mov_b32 s17, exec_lo
	v_cmpx_ne_u16_e32 0x80, v1
	s_cbranch_execz .LBB399_1602
; %bb.1597:                             ;   in Loop: Header=BB399_11 Depth=1
	v_bfe_u32 v3, v31, 16, 7
	v_mov_b32_e32 v102, 0x7f800001
	s_mov_b32 s23, exec_lo
	v_cmpx_ne_u32_e32 0x7f, v3
	s_cbranch_execz .LBB399_1601
; %bb.1598:                             ;   in Loop: Header=BB399_11 Depth=1
	v_mov_b32_e32 v1, 7
	s_mov_b32 s24, exec_lo
	v_and_b32_sdwa v8, v31, v1 dst_sel:DWORD dst_unused:UNUSED_PAD src0_sel:WORD_1 src1_sel:DWORD
	v_mov_b32_e32 v33, v9
	v_lshrrev_b32_e32 v1, 3, v3
	v_mov_b32_e32 v32, v8
	v_cmpx_gt_u32_e32 8, v3
; %bb.1599:                             ;   in Loop: Header=BB399_11 Depth=1
	v_ffbh_u32_e32 v1, v8
	v_min_u32_e32 v1, 32, v1
	v_subrev_nc_u32_e32 v3, 28, v1
	v_sub_nc_u32_e32 v1, 29, v1
	v_lshlrev_b64 v[20:21], v3, v[8:9]
	v_and_b32_e32 v32, 7, v20
; %bb.1600:                             ;   in Loop: Header=BB399_11 Depth=1
	s_or_b32 exec_lo, exec_lo, s24
	v_mov_b32_e32 v3, 24
	v_lshlrev_b32_e32 v8, 20, v32
	v_lshl_add_u32 v1, v1, 23, 0x3c000000
	v_lshlrev_b32_sdwa v3, v3, v31 dst_sel:DWORD dst_unused:UNUSED_PAD src0_sel:DWORD src1_sel:WORD_1
	v_and_b32_e32 v3, 0x80000000, v3
	v_or3_b32 v102, v8, v3, v1
.LBB399_1601:                           ;   in Loop: Header=BB399_11 Depth=1
	s_or_b32 exec_lo, exec_lo, s23
.LBB399_1602:                           ;   in Loop: Header=BB399_11 Depth=1
	s_or_b32 exec_lo, exec_lo, s17
.LBB399_1603:                           ;   in Loop: Header=BB399_11 Depth=1
	s_or_b32 exec_lo, exec_lo, s6
	v_mov_b32_e32 v115, 0
	v_mov_b32_e32 v35, 0
	s_mov_b32 s6, exec_lo
	v_cmpx_lt_u64_e64 s[8:9], v[30:31]
	s_cbranch_execz .LBB399_1611
; %bb.1604:                             ;   in Loop: Header=BB399_11 Depth=1
	v_cmp_ne_u32_sdwa s5, v31, v41 src0_sel:BYTE_3 src1_sel:DWORD
	v_bfrev_b32_e32 v35, 1
	s_and_saveexec_b32 s17, s5
	s_cbranch_execz .LBB399_1610
; %bb.1605:                             ;   in Loop: Header=BB399_11 Depth=1
	v_bfe_u32 v3, v31, 24, 7
	v_mov_b32_e32 v35, 0x7f800001
	s_mov_b32 s23, exec_lo
	v_cmpx_ne_u32_e32 0x7f, v3
	s_cbranch_execz .LBB399_1609
; %bb.1606:                             ;   in Loop: Header=BB399_11 Depth=1
	v_mov_b32_e32 v1, 7
	s_mov_b32 s24, exec_lo
	v_and_b32_sdwa v8, v31, v1 dst_sel:DWORD dst_unused:UNUSED_PAD src0_sel:BYTE_3 src1_sel:DWORD
	v_mov_b32_e32 v33, v9
	v_lshrrev_b32_e32 v1, 3, v3
	v_mov_b32_e32 v32, v8
	v_cmpx_gt_u32_e32 8, v3
; %bb.1607:                             ;   in Loop: Header=BB399_11 Depth=1
	v_ffbh_u32_e32 v1, v8
	v_min_u32_e32 v1, 32, v1
	v_subrev_nc_u32_e32 v3, 28, v1
	v_sub_nc_u32_e32 v1, 29, v1
	v_lshlrev_b64 v[20:21], v3, v[8:9]
	v_and_b32_e32 v32, 7, v20
; %bb.1608:                             ;   in Loop: Header=BB399_11 Depth=1
	s_or_b32 exec_lo, exec_lo, s24
	v_mov_b32_e32 v3, 24
	v_lshlrev_b32_e32 v8, 20, v32
	v_lshl_add_u32 v1, v1, 23, 0x3c000000
	v_lshlrev_b32_sdwa v3, v3, v31 dst_sel:DWORD dst_unused:UNUSED_PAD src0_sel:DWORD src1_sel:BYTE_3
	v_and_b32_e32 v3, 0x80000000, v3
	v_or3_b32 v35, v8, v3, v1
.LBB399_1609:                           ;   in Loop: Header=BB399_11 Depth=1
	s_or_b32 exec_lo, exec_lo, s23
.LBB399_1610:                           ;   in Loop: Header=BB399_11 Depth=1
	s_or_b32 exec_lo, exec_lo, s17
.LBB399_1611:                           ;   in Loop: Header=BB399_11 Depth=1
	s_or_b32 exec_lo, exec_lo, s6
	flat_load_dwordx2 v[30:31], v[28:29] offset:8
	s_waitcnt vmcnt(0) lgkmcnt(0)
	v_cmp_ne_u16_sdwa s5, v30, v9 src0_sel:BYTE_0 src1_sel:DWORD
	s_and_saveexec_b32 s6, s5
	s_cbranch_execz .LBB399_1619
; %bb.1612:                             ;   in Loop: Header=BB399_11 Depth=1
	v_cmp_ne_u16_sdwa s5, v30, v41 src0_sel:BYTE_0 src1_sel:DWORD
	v_bfrev_b32_e32 v115, 1
	s_and_saveexec_b32 s17, s5
	s_cbranch_execz .LBB399_1618
; %bb.1613:                             ;   in Loop: Header=BB399_11 Depth=1
	v_and_b32_e32 v3, 0x7f, v30
	v_mov_b32_e32 v115, 0x7f800001
	s_mov_b32 s23, exec_lo
	v_cmpx_ne_u32_e32 0x7f, v3
	s_cbranch_execz .LBB399_1617
; %bb.1614:                             ;   in Loop: Header=BB399_11 Depth=1
	v_mov_b32_e32 v33, v31
	v_lshrrev_b32_e32 v1, 3, v3
	v_mov_b32_e32 v32, v30
	s_mov_b32 s24, exec_lo
	v_cmpx_gt_u32_e32 8, v3
; %bb.1615:                             ;   in Loop: Header=BB399_11 Depth=1
	v_and_b32_e32 v1, 7, v30
	v_ffbh_u32_e32 v1, v1
	v_min_u32_e32 v1, 32, v1
	v_subrev_nc_u32_e32 v3, 28, v1
	v_sub_nc_u32_e32 v1, 29, v1
	v_lshlrev_b64 v[32:33], v3, v[30:31]
; %bb.1616:                             ;   in Loop: Header=BB399_11 Depth=1
	s_or_b32 exec_lo, exec_lo, s24
	v_lshlrev_b32_e32 v3, 20, v32
	v_lshlrev_b32_e32 v8, 24, v30
	v_lshl_add_u32 v1, v1, 23, 0x3c000000
	v_and_b32_e32 v3, 0x700000, v3
	v_and_b32_e32 v8, 0x80000000, v8
	v_or3_b32 v115, v3, v8, v1
.LBB399_1617:                           ;   in Loop: Header=BB399_11 Depth=1
	s_or_b32 exec_lo, exec_lo, s23
.LBB399_1618:                           ;   in Loop: Header=BB399_11 Depth=1
	s_or_b32 exec_lo, exec_lo, s17
.LBB399_1619:                           ;   in Loop: Header=BB399_11 Depth=1
	s_or_b32 exec_lo, exec_lo, s6
	v_cmp_ne_u16_sdwa s5, v30, v9 src0_sel:BYTE_1 src1_sel:DWORD
	v_mov_b32_e32 v39, 0
	v_mov_b32_e32 v114, 0
	s_and_saveexec_b32 s6, s5
	s_cbranch_execz .LBB399_1627
; %bb.1620:                             ;   in Loop: Header=BB399_11 Depth=1
	v_cmp_ne_u16_sdwa s5, v30, v41 src0_sel:BYTE_1 src1_sel:DWORD
	v_bfrev_b32_e32 v114, 1
	s_and_saveexec_b32 s17, s5
	s_cbranch_execz .LBB399_1626
; %bb.1621:                             ;   in Loop: Header=BB399_11 Depth=1
	v_mov_b32_e32 v1, 0xffff
	v_mov_b32_e32 v114, 0x7f800001
	s_mov_b32 s23, exec_lo
	v_and_b32_sdwa v1, v1, v30 dst_sel:DWORD dst_unused:UNUSED_PAD src0_sel:DWORD src1_sel:BYTE_1
	v_and_b32_e32 v3, 0x7f, v1
	v_cmpx_ne_u32_e32 0x7f, v3
	s_cbranch_execz .LBB399_1625
; %bb.1622:                             ;   in Loop: Header=BB399_11 Depth=1
	v_and_b32_e32 v8, 7, v1
	v_mov_b32_e32 v33, v9
	v_lshrrev_b32_e32 v1, 3, v3
	s_mov_b32 s24, exec_lo
	v_mov_b32_e32 v32, v8
	v_cmpx_gt_u32_e32 8, v3
; %bb.1623:                             ;   in Loop: Header=BB399_11 Depth=1
	v_ffbh_u32_e32 v1, v8
	v_min_u32_e32 v1, 32, v1
	v_subrev_nc_u32_e32 v3, 28, v1
	v_sub_nc_u32_e32 v1, 29, v1
	v_lshlrev_b64 v[20:21], v3, v[8:9]
	v_and_b32_e32 v32, 7, v20
; %bb.1624:                             ;   in Loop: Header=BB399_11 Depth=1
	s_or_b32 exec_lo, exec_lo, s24
	v_lshlrev_b32_e32 v3, 16, v30
	v_lshlrev_b32_e32 v8, 20, v32
	v_lshl_add_u32 v1, v1, 23, 0x3c000000
	v_and_b32_e32 v3, 0x80000000, v3
	v_or3_b32 v114, v8, v3, v1
.LBB399_1625:                           ;   in Loop: Header=BB399_11 Depth=1
	s_or_b32 exec_lo, exec_lo, s23
.LBB399_1626:                           ;   in Loop: Header=BB399_11 Depth=1
	s_or_b32 exec_lo, exec_lo, s17
.LBB399_1627:                           ;   in Loop: Header=BB399_11 Depth=1
	s_or_b32 exec_lo, exec_lo, s6
	v_mov_b32_e32 v1, 0xff
	s_mov_b32 s6, exec_lo
	v_and_b32_sdwa v1, v30, v1 dst_sel:DWORD dst_unused:UNUSED_PAD src0_sel:WORD_1 src1_sel:DWORD
	v_cmpx_ne_u16_e32 0, v1
	s_cbranch_execz .LBB399_1635
; %bb.1628:                             ;   in Loop: Header=BB399_11 Depth=1
	v_bfrev_b32_e32 v39, 1
	s_mov_b32 s17, exec_lo
	v_cmpx_ne_u16_e32 0x80, v1
	s_cbranch_execz .LBB399_1634
; %bb.1629:                             ;   in Loop: Header=BB399_11 Depth=1
	v_bfe_u32 v3, v30, 16, 7
	v_mov_b32_e32 v39, 0x7f800001
	s_mov_b32 s23, exec_lo
	v_cmpx_ne_u32_e32 0x7f, v3
	s_cbranch_execz .LBB399_1633
; %bb.1630:                             ;   in Loop: Header=BB399_11 Depth=1
	v_mov_b32_e32 v1, 7
	s_mov_b32 s24, exec_lo
	v_and_b32_sdwa v8, v30, v1 dst_sel:DWORD dst_unused:UNUSED_PAD src0_sel:WORD_1 src1_sel:DWORD
	v_mov_b32_e32 v33, v9
	v_lshrrev_b32_e32 v1, 3, v3
	v_mov_b32_e32 v32, v8
	v_cmpx_gt_u32_e32 8, v3
; %bb.1631:                             ;   in Loop: Header=BB399_11 Depth=1
	v_ffbh_u32_e32 v1, v8
	v_min_u32_e32 v1, 32, v1
	v_subrev_nc_u32_e32 v3, 28, v1
	v_sub_nc_u32_e32 v1, 29, v1
	v_lshlrev_b64 v[20:21], v3, v[8:9]
	v_and_b32_e32 v32, 7, v20
; %bb.1632:                             ;   in Loop: Header=BB399_11 Depth=1
	s_or_b32 exec_lo, exec_lo, s24
	v_mov_b32_e32 v3, 24
	v_lshlrev_b32_e32 v8, 20, v32
	v_lshl_add_u32 v1, v1, 23, 0x3c000000
	v_lshlrev_b32_sdwa v3, v3, v30 dst_sel:DWORD dst_unused:UNUSED_PAD src0_sel:DWORD src1_sel:WORD_1
	v_and_b32_e32 v3, 0x80000000, v3
	v_or3_b32 v39, v8, v3, v1
.LBB399_1633:                           ;   in Loop: Header=BB399_11 Depth=1
	s_or_b32 exec_lo, exec_lo, s23
.LBB399_1634:                           ;   in Loop: Header=BB399_11 Depth=1
	s_or_b32 exec_lo, exec_lo, s17
.LBB399_1635:                           ;   in Loop: Header=BB399_11 Depth=1
	s_or_b32 exec_lo, exec_lo, s6
	v_mov_b32_e32 v91, 0
	v_mov_b32_e32 v44, 0
	s_mov_b32 s6, exec_lo
	v_cmpx_lt_u32_e32 0xffffff, v30
	s_cbranch_execz .LBB399_1643
; %bb.1636:                             ;   in Loop: Header=BB399_11 Depth=1
	v_cmp_ne_u32_sdwa s5, v30, v41 src0_sel:BYTE_3 src1_sel:DWORD
	v_bfrev_b32_e32 v44, 1
	s_and_saveexec_b32 s17, s5
	s_cbranch_execz .LBB399_1642
; %bb.1637:                             ;   in Loop: Header=BB399_11 Depth=1
	v_bfe_u32 v3, v30, 24, 7
	v_mov_b32_e32 v44, 0x7f800001
	s_mov_b32 s23, exec_lo
	v_cmpx_ne_u32_e32 0x7f, v3
	s_cbranch_execz .LBB399_1641
; %bb.1638:                             ;   in Loop: Header=BB399_11 Depth=1
	v_mov_b32_e32 v1, 7
	s_mov_b32 s24, exec_lo
	v_and_b32_sdwa v8, v30, v1 dst_sel:DWORD dst_unused:UNUSED_PAD src0_sel:BYTE_3 src1_sel:DWORD
	v_mov_b32_e32 v33, v9
	v_lshrrev_b32_e32 v1, 3, v3
	v_mov_b32_e32 v32, v8
	v_cmpx_gt_u32_e32 8, v3
; %bb.1639:                             ;   in Loop: Header=BB399_11 Depth=1
	v_ffbh_u32_e32 v1, v8
	v_min_u32_e32 v1, 32, v1
	v_subrev_nc_u32_e32 v3, 28, v1
	v_sub_nc_u32_e32 v1, 29, v1
	v_lshlrev_b64 v[20:21], v3, v[8:9]
	v_and_b32_e32 v32, 7, v20
; %bb.1640:                             ;   in Loop: Header=BB399_11 Depth=1
	s_or_b32 exec_lo, exec_lo, s24
	v_mov_b32_e32 v3, 24
	v_lshlrev_b32_e32 v8, 20, v32
	v_lshl_add_u32 v1, v1, 23, 0x3c000000
	v_lshlrev_b32_sdwa v3, v3, v30 dst_sel:DWORD dst_unused:UNUSED_PAD src0_sel:DWORD src1_sel:BYTE_3
	v_and_b32_e32 v3, 0x80000000, v3
	v_or3_b32 v44, v8, v3, v1
.LBB399_1641:                           ;   in Loop: Header=BB399_11 Depth=1
	s_or_b32 exec_lo, exec_lo, s23
.LBB399_1642:                           ;   in Loop: Header=BB399_11 Depth=1
	s_or_b32 exec_lo, exec_lo, s17
.LBB399_1643:                           ;   in Loop: Header=BB399_11 Depth=1
	s_or_b32 exec_lo, exec_lo, s6
	v_mov_b32_e32 v8, v31
	v_cmp_ne_u16_sdwa s5, v31, v9 src0_sel:BYTE_0 src1_sel:DWORD
	s_and_saveexec_b32 s6, s5
	s_cbranch_execz .LBB399_1651
; %bb.1644:                             ;   in Loop: Header=BB399_11 Depth=1
	v_cmp_ne_u16_sdwa s5, v31, v41 src0_sel:BYTE_0 src1_sel:DWORD
	v_bfrev_b32_e32 v91, 1
	s_and_saveexec_b32 s17, s5
	s_cbranch_execz .LBB399_1650
; %bb.1645:                             ;   in Loop: Header=BB399_11 Depth=1
	v_and_b32_e32 v3, 0x7f, v31
	v_mov_b32_e32 v91, 0x7f800001
	s_mov_b32 s23, exec_lo
	v_cmpx_ne_u32_e32 0x7f, v3
	s_cbranch_execz .LBB399_1649
; %bb.1646:                             ;   in Loop: Header=BB399_11 Depth=1
	v_mov_b32_e32 v33, v9
	v_mov_b32_e32 v32, v8
	v_lshrrev_b32_e32 v1, 3, v3
	s_mov_b32 s24, exec_lo
	v_cmpx_gt_u32_e32 8, v3
; %bb.1647:                             ;   in Loop: Header=BB399_11 Depth=1
	v_and_b32_e32 v1, 7, v31
	v_ffbh_u32_e32 v1, v1
	v_min_u32_e32 v1, 32, v1
	v_subrev_nc_u32_e32 v3, 28, v1
	v_sub_nc_u32_e32 v1, 29, v1
	v_lshlrev_b64 v[32:33], v3, v[8:9]
; %bb.1648:                             ;   in Loop: Header=BB399_11 Depth=1
	s_or_b32 exec_lo, exec_lo, s24
	v_lshlrev_b32_e32 v3, 20, v32
	v_lshlrev_b32_e32 v17, 24, v8
	v_lshl_add_u32 v1, v1, 23, 0x3c000000
	v_and_b32_e32 v3, 0x700000, v3
	v_and_b32_e32 v17, 0x80000000, v17
	v_or3_b32 v91, v3, v17, v1
.LBB399_1649:                           ;   in Loop: Header=BB399_11 Depth=1
	s_or_b32 exec_lo, exec_lo, s23
.LBB399_1650:                           ;   in Loop: Header=BB399_11 Depth=1
	s_or_b32 exec_lo, exec_lo, s17
.LBB399_1651:                           ;   in Loop: Header=BB399_11 Depth=1
	s_or_b32 exec_lo, exec_lo, s6
	v_cmp_ne_u16_sdwa s5, v8, v9 src0_sel:BYTE_1 src1_sel:DWORD
	v_mov_b32_e32 v122, 0
	v_mov_b32_e32 v119, 0
	s_and_saveexec_b32 s6, s5
	s_cbranch_execz .LBB399_1659
; %bb.1652:                             ;   in Loop: Header=BB399_11 Depth=1
	v_cmp_ne_u16_sdwa s5, v8, v41 src0_sel:BYTE_1 src1_sel:DWORD
	v_bfrev_b32_e32 v119, 1
	s_and_saveexec_b32 s17, s5
	s_cbranch_execz .LBB399_1658
; %bb.1653:                             ;   in Loop: Header=BB399_11 Depth=1
	v_mov_b32_e32 v1, 0xffff
	v_mov_b32_e32 v119, 0x7f800001
	s_mov_b32 s23, exec_lo
	v_and_b32_sdwa v1, v1, v8 dst_sel:DWORD dst_unused:UNUSED_PAD src0_sel:DWORD src1_sel:BYTE_1
	v_and_b32_e32 v3, 0x7f, v1
	v_cmpx_ne_u32_e32 0x7f, v3
	s_cbranch_execz .LBB399_1657
; %bb.1654:                             ;   in Loop: Header=BB399_11 Depth=1
	v_and_b32_e32 v32, 7, v1
	v_mov_b32_e32 v33, v9
	v_lshrrev_b32_e32 v1, 3, v3
	s_mov_b32 s24, exec_lo
	v_cmpx_gt_u32_e32 8, v3
; %bb.1655:                             ;   in Loop: Header=BB399_11 Depth=1
	v_ffbh_u32_e32 v1, v32
	v_min_u32_e32 v1, 32, v1
	v_subrev_nc_u32_e32 v3, 28, v1
	v_sub_nc_u32_e32 v1, 29, v1
	v_lshlrev_b64 v[20:21], v3, v[32:33]
	v_and_b32_e32 v32, 7, v20
; %bb.1656:                             ;   in Loop: Header=BB399_11 Depth=1
	s_or_b32 exec_lo, exec_lo, s24
	v_lshlrev_b32_e32 v3, 16, v8
	v_lshlrev_b32_e32 v8, 20, v32
	v_lshl_add_u32 v1, v1, 23, 0x3c000000
	v_and_b32_e32 v3, 0x80000000, v3
	v_or3_b32 v119, v8, v3, v1
.LBB399_1657:                           ;   in Loop: Header=BB399_11 Depth=1
	s_or_b32 exec_lo, exec_lo, s23
.LBB399_1658:                           ;   in Loop: Header=BB399_11 Depth=1
	s_or_b32 exec_lo, exec_lo, s17
.LBB399_1659:                           ;   in Loop: Header=BB399_11 Depth=1
	s_or_b32 exec_lo, exec_lo, s6
	v_mov_b32_e32 v1, 0xff
	s_mov_b32 s6, exec_lo
	v_and_b32_sdwa v1, v31, v1 dst_sel:DWORD dst_unused:UNUSED_PAD src0_sel:WORD_1 src1_sel:DWORD
	v_cmpx_ne_u16_e32 0, v1
	s_cbranch_execz .LBB399_1667
; %bb.1660:                             ;   in Loop: Header=BB399_11 Depth=1
	v_bfrev_b32_e32 v122, 1
	s_mov_b32 s17, exec_lo
	v_cmpx_ne_u16_e32 0x80, v1
	s_cbranch_execz .LBB399_1666
; %bb.1661:                             ;   in Loop: Header=BB399_11 Depth=1
	v_bfe_u32 v3, v31, 16, 7
	v_mov_b32_e32 v122, 0x7f800001
	s_mov_b32 s23, exec_lo
	v_cmpx_ne_u32_e32 0x7f, v3
	s_cbranch_execz .LBB399_1665
; %bb.1662:                             ;   in Loop: Header=BB399_11 Depth=1
	v_mov_b32_e32 v1, 7
	s_mov_b32 s24, exec_lo
	v_and_b32_sdwa v8, v31, v1 dst_sel:DWORD dst_unused:UNUSED_PAD src0_sel:WORD_1 src1_sel:DWORD
	v_mov_b32_e32 v33, v9
	v_lshrrev_b32_e32 v1, 3, v3
	v_mov_b32_e32 v32, v8
	v_cmpx_gt_u32_e32 8, v3
; %bb.1663:                             ;   in Loop: Header=BB399_11 Depth=1
	v_ffbh_u32_e32 v1, v8
	v_min_u32_e32 v1, 32, v1
	v_subrev_nc_u32_e32 v3, 28, v1
	v_sub_nc_u32_e32 v1, 29, v1
	v_lshlrev_b64 v[20:21], v3, v[8:9]
	v_and_b32_e32 v32, 7, v20
; %bb.1664:                             ;   in Loop: Header=BB399_11 Depth=1
	s_or_b32 exec_lo, exec_lo, s24
	v_mov_b32_e32 v3, 24
	v_lshlrev_b32_e32 v8, 20, v32
	v_lshl_add_u32 v1, v1, 23, 0x3c000000
	v_lshlrev_b32_sdwa v3, v3, v31 dst_sel:DWORD dst_unused:UNUSED_PAD src0_sel:DWORD src1_sel:WORD_1
	v_and_b32_e32 v3, 0x80000000, v3
	v_or3_b32 v122, v8, v3, v1
.LBB399_1665:                           ;   in Loop: Header=BB399_11 Depth=1
	s_or_b32 exec_lo, exec_lo, s23
.LBB399_1666:                           ;   in Loop: Header=BB399_11 Depth=1
	s_or_b32 exec_lo, exec_lo, s17
.LBB399_1667:                           ;   in Loop: Header=BB399_11 Depth=1
	s_or_b32 exec_lo, exec_lo, s6
	v_mov_b32_e32 v107, 0
	v_mov_b32_e32 v112, 0
	s_mov_b32 s6, exec_lo
	v_cmpx_lt_u64_e64 s[8:9], v[30:31]
	s_cbranch_execz .LBB399_1675
; %bb.1668:                             ;   in Loop: Header=BB399_11 Depth=1
	v_cmp_ne_u32_sdwa s5, v31, v41 src0_sel:BYTE_3 src1_sel:DWORD
	v_bfrev_b32_e32 v112, 1
	s_and_saveexec_b32 s17, s5
	s_cbranch_execz .LBB399_1674
; %bb.1669:                             ;   in Loop: Header=BB399_11 Depth=1
	v_bfe_u32 v3, v31, 24, 7
	v_mov_b32_e32 v112, 0x7f800001
	s_mov_b32 s23, exec_lo
	v_cmpx_ne_u32_e32 0x7f, v3
	s_cbranch_execz .LBB399_1673
; %bb.1670:                             ;   in Loop: Header=BB399_11 Depth=1
	v_mov_b32_e32 v1, 7
	s_mov_b32 s24, exec_lo
	v_and_b32_sdwa v8, v31, v1 dst_sel:DWORD dst_unused:UNUSED_PAD src0_sel:BYTE_3 src1_sel:DWORD
	v_mov_b32_e32 v33, v9
	v_lshrrev_b32_e32 v1, 3, v3
	v_mov_b32_e32 v32, v8
	v_cmpx_gt_u32_e32 8, v3
; %bb.1671:                             ;   in Loop: Header=BB399_11 Depth=1
	v_ffbh_u32_e32 v1, v8
	v_min_u32_e32 v1, 32, v1
	v_subrev_nc_u32_e32 v3, 28, v1
	v_sub_nc_u32_e32 v1, 29, v1
	v_lshlrev_b64 v[20:21], v3, v[8:9]
	v_and_b32_e32 v32, 7, v20
; %bb.1672:                             ;   in Loop: Header=BB399_11 Depth=1
	s_or_b32 exec_lo, exec_lo, s24
	v_mov_b32_e32 v3, 24
	v_lshlrev_b32_e32 v8, 20, v32
	v_lshl_add_u32 v1, v1, 23, 0x3c000000
	v_lshlrev_b32_sdwa v3, v3, v31 dst_sel:DWORD dst_unused:UNUSED_PAD src0_sel:DWORD src1_sel:BYTE_3
	v_and_b32_e32 v3, 0x80000000, v3
	v_or3_b32 v112, v8, v3, v1
.LBB399_1673:                           ;   in Loop: Header=BB399_11 Depth=1
	s_or_b32 exec_lo, exec_lo, s23
.LBB399_1674:                           ;   in Loop: Header=BB399_11 Depth=1
	s_or_b32 exec_lo, exec_lo, s17
.LBB399_1675:                           ;   in Loop: Header=BB399_11 Depth=1
	s_or_b32 exec_lo, exec_lo, s6
	flat_load_dwordx2 v[30:31], v[28:29] offset:512
	s_waitcnt vmcnt(0) lgkmcnt(0)
	v_cmp_ne_u16_sdwa s5, v30, v9 src0_sel:BYTE_0 src1_sel:DWORD
	s_and_saveexec_b32 s6, s5
	s_cbranch_execz .LBB399_1683
; %bb.1676:                             ;   in Loop: Header=BB399_11 Depth=1
	v_cmp_ne_u16_sdwa s5, v30, v41 src0_sel:BYTE_0 src1_sel:DWORD
	v_bfrev_b32_e32 v107, 1
	s_and_saveexec_b32 s17, s5
	s_cbranch_execz .LBB399_1682
; %bb.1677:                             ;   in Loop: Header=BB399_11 Depth=1
	v_and_b32_e32 v3, 0x7f, v30
	v_mov_b32_e32 v107, 0x7f800001
	s_mov_b32 s23, exec_lo
	v_cmpx_ne_u32_e32 0x7f, v3
	s_cbranch_execz .LBB399_1681
; %bb.1678:                             ;   in Loop: Header=BB399_11 Depth=1
	v_mov_b32_e32 v33, v31
	v_lshrrev_b32_e32 v1, 3, v3
	v_mov_b32_e32 v32, v30
	s_mov_b32 s24, exec_lo
	v_cmpx_gt_u32_e32 8, v3
; %bb.1679:                             ;   in Loop: Header=BB399_11 Depth=1
	v_and_b32_e32 v1, 7, v30
	v_ffbh_u32_e32 v1, v1
	v_min_u32_e32 v1, 32, v1
	v_subrev_nc_u32_e32 v3, 28, v1
	v_sub_nc_u32_e32 v1, 29, v1
	v_lshlrev_b64 v[32:33], v3, v[30:31]
; %bb.1680:                             ;   in Loop: Header=BB399_11 Depth=1
	s_or_b32 exec_lo, exec_lo, s24
	v_lshlrev_b32_e32 v3, 20, v32
	v_lshlrev_b32_e32 v8, 24, v30
	v_lshl_add_u32 v1, v1, 23, 0x3c000000
	v_and_b32_e32 v3, 0x700000, v3
	v_and_b32_e32 v8, 0x80000000, v8
	v_or3_b32 v107, v3, v8, v1
.LBB399_1681:                           ;   in Loop: Header=BB399_11 Depth=1
	s_or_b32 exec_lo, exec_lo, s23
.LBB399_1682:                           ;   in Loop: Header=BB399_11 Depth=1
	s_or_b32 exec_lo, exec_lo, s17
.LBB399_1683:                           ;   in Loop: Header=BB399_11 Depth=1
	s_or_b32 exec_lo, exec_lo, s6
	v_cmp_ne_u16_sdwa s5, v30, v9 src0_sel:BYTE_1 src1_sel:DWORD
	v_mov_b32_e32 v98, 0
	v_mov_b32_e32 v57, 0
	s_and_saveexec_b32 s6, s5
	s_cbranch_execz .LBB399_1691
; %bb.1684:                             ;   in Loop: Header=BB399_11 Depth=1
	v_cmp_ne_u16_sdwa s5, v30, v41 src0_sel:BYTE_1 src1_sel:DWORD
	v_bfrev_b32_e32 v57, 1
	s_and_saveexec_b32 s17, s5
	s_cbranch_execz .LBB399_1690
; %bb.1685:                             ;   in Loop: Header=BB399_11 Depth=1
	v_mov_b32_e32 v1, 0xffff
	v_mov_b32_e32 v57, 0x7f800001
	s_mov_b32 s23, exec_lo
	v_and_b32_sdwa v1, v1, v30 dst_sel:DWORD dst_unused:UNUSED_PAD src0_sel:DWORD src1_sel:BYTE_1
	v_and_b32_e32 v3, 0x7f, v1
	v_cmpx_ne_u32_e32 0x7f, v3
	s_cbranch_execz .LBB399_1689
; %bb.1686:                             ;   in Loop: Header=BB399_11 Depth=1
	v_and_b32_e32 v8, 7, v1
	v_mov_b32_e32 v33, v9
	v_lshrrev_b32_e32 v1, 3, v3
	s_mov_b32 s24, exec_lo
	v_mov_b32_e32 v32, v8
	v_cmpx_gt_u32_e32 8, v3
; %bb.1687:                             ;   in Loop: Header=BB399_11 Depth=1
	v_ffbh_u32_e32 v1, v8
	v_min_u32_e32 v1, 32, v1
	v_subrev_nc_u32_e32 v3, 28, v1
	v_sub_nc_u32_e32 v1, 29, v1
	v_lshlrev_b64 v[20:21], v3, v[8:9]
	v_and_b32_e32 v32, 7, v20
; %bb.1688:                             ;   in Loop: Header=BB399_11 Depth=1
	s_or_b32 exec_lo, exec_lo, s24
	v_lshlrev_b32_e32 v3, 16, v30
	v_lshlrev_b32_e32 v8, 20, v32
	v_lshl_add_u32 v1, v1, 23, 0x3c000000
	v_and_b32_e32 v3, 0x80000000, v3
	v_or3_b32 v57, v8, v3, v1
.LBB399_1689:                           ;   in Loop: Header=BB399_11 Depth=1
	s_or_b32 exec_lo, exec_lo, s23
.LBB399_1690:                           ;   in Loop: Header=BB399_11 Depth=1
	s_or_b32 exec_lo, exec_lo, s17
.LBB399_1691:                           ;   in Loop: Header=BB399_11 Depth=1
	s_or_b32 exec_lo, exec_lo, s6
	v_mov_b32_e32 v1, 0xff
	s_mov_b32 s6, exec_lo
	v_and_b32_sdwa v1, v30, v1 dst_sel:DWORD dst_unused:UNUSED_PAD src0_sel:WORD_1 src1_sel:DWORD
	v_cmpx_ne_u16_e32 0, v1
	s_cbranch_execz .LBB399_1699
; %bb.1692:                             ;   in Loop: Header=BB399_11 Depth=1
	v_bfrev_b32_e32 v98, 1
	s_mov_b32 s17, exec_lo
	v_cmpx_ne_u16_e32 0x80, v1
	s_cbranch_execz .LBB399_1698
; %bb.1693:                             ;   in Loop: Header=BB399_11 Depth=1
	v_bfe_u32 v3, v30, 16, 7
	v_mov_b32_e32 v98, 0x7f800001
	s_mov_b32 s23, exec_lo
	v_cmpx_ne_u32_e32 0x7f, v3
	s_cbranch_execz .LBB399_1697
; %bb.1694:                             ;   in Loop: Header=BB399_11 Depth=1
	v_mov_b32_e32 v1, 7
	s_mov_b32 s24, exec_lo
	v_and_b32_sdwa v8, v30, v1 dst_sel:DWORD dst_unused:UNUSED_PAD src0_sel:WORD_1 src1_sel:DWORD
	v_mov_b32_e32 v33, v9
	v_lshrrev_b32_e32 v1, 3, v3
	v_mov_b32_e32 v32, v8
	v_cmpx_gt_u32_e32 8, v3
; %bb.1695:                             ;   in Loop: Header=BB399_11 Depth=1
	v_ffbh_u32_e32 v1, v8
	v_min_u32_e32 v1, 32, v1
	v_subrev_nc_u32_e32 v3, 28, v1
	v_sub_nc_u32_e32 v1, 29, v1
	v_lshlrev_b64 v[20:21], v3, v[8:9]
	v_and_b32_e32 v32, 7, v20
; %bb.1696:                             ;   in Loop: Header=BB399_11 Depth=1
	s_or_b32 exec_lo, exec_lo, s24
	v_mov_b32_e32 v3, 24
	v_lshlrev_b32_e32 v8, 20, v32
	v_lshl_add_u32 v1, v1, 23, 0x3c000000
	v_lshlrev_b32_sdwa v3, v3, v30 dst_sel:DWORD dst_unused:UNUSED_PAD src0_sel:DWORD src1_sel:WORD_1
	v_and_b32_e32 v3, 0x80000000, v3
	v_or3_b32 v98, v8, v3, v1
.LBB399_1697:                           ;   in Loop: Header=BB399_11 Depth=1
	s_or_b32 exec_lo, exec_lo, s23
.LBB399_1698:                           ;   in Loop: Header=BB399_11 Depth=1
	s_or_b32 exec_lo, exec_lo, s17
.LBB399_1699:                           ;   in Loop: Header=BB399_11 Depth=1
	s_or_b32 exec_lo, exec_lo, s6
	v_mov_b32_e32 v105, 0
	v_mov_b32_e32 v94, 0
	s_mov_b32 s6, exec_lo
	v_cmpx_lt_u32_e32 0xffffff, v30
	s_cbranch_execz .LBB399_1707
; %bb.1700:                             ;   in Loop: Header=BB399_11 Depth=1
	v_cmp_ne_u32_sdwa s5, v30, v41 src0_sel:BYTE_3 src1_sel:DWORD
	v_bfrev_b32_e32 v94, 1
	s_and_saveexec_b32 s17, s5
	s_cbranch_execz .LBB399_1706
; %bb.1701:                             ;   in Loop: Header=BB399_11 Depth=1
	v_bfe_u32 v3, v30, 24, 7
	v_mov_b32_e32 v94, 0x7f800001
	s_mov_b32 s23, exec_lo
	v_cmpx_ne_u32_e32 0x7f, v3
	s_cbranch_execz .LBB399_1705
; %bb.1702:                             ;   in Loop: Header=BB399_11 Depth=1
	v_mov_b32_e32 v1, 7
	s_mov_b32 s24, exec_lo
	v_and_b32_sdwa v8, v30, v1 dst_sel:DWORD dst_unused:UNUSED_PAD src0_sel:BYTE_3 src1_sel:DWORD
	v_mov_b32_e32 v33, v9
	v_lshrrev_b32_e32 v1, 3, v3
	v_mov_b32_e32 v32, v8
	v_cmpx_gt_u32_e32 8, v3
; %bb.1703:                             ;   in Loop: Header=BB399_11 Depth=1
	v_ffbh_u32_e32 v1, v8
	v_min_u32_e32 v1, 32, v1
	v_subrev_nc_u32_e32 v3, 28, v1
	v_sub_nc_u32_e32 v1, 29, v1
	v_lshlrev_b64 v[20:21], v3, v[8:9]
	v_and_b32_e32 v32, 7, v20
; %bb.1704:                             ;   in Loop: Header=BB399_11 Depth=1
	s_or_b32 exec_lo, exec_lo, s24
	v_mov_b32_e32 v3, 24
	v_lshlrev_b32_e32 v8, 20, v32
	v_lshl_add_u32 v1, v1, 23, 0x3c000000
	v_lshlrev_b32_sdwa v3, v3, v30 dst_sel:DWORD dst_unused:UNUSED_PAD src0_sel:DWORD src1_sel:BYTE_3
	v_and_b32_e32 v3, 0x80000000, v3
	v_or3_b32 v94, v8, v3, v1
.LBB399_1705:                           ;   in Loop: Header=BB399_11 Depth=1
	s_or_b32 exec_lo, exec_lo, s23
.LBB399_1706:                           ;   in Loop: Header=BB399_11 Depth=1
	s_or_b32 exec_lo, exec_lo, s17
.LBB399_1707:                           ;   in Loop: Header=BB399_11 Depth=1
	s_or_b32 exec_lo, exec_lo, s6
	v_mov_b32_e32 v8, v31
	v_cmp_ne_u16_sdwa s5, v31, v9 src0_sel:BYTE_0 src1_sel:DWORD
	s_and_saveexec_b32 s6, s5
	s_cbranch_execz .LBB399_1715
; %bb.1708:                             ;   in Loop: Header=BB399_11 Depth=1
	v_cmp_ne_u16_sdwa s5, v31, v41 src0_sel:BYTE_0 src1_sel:DWORD
	v_bfrev_b32_e32 v105, 1
	s_and_saveexec_b32 s17, s5
	s_cbranch_execz .LBB399_1714
; %bb.1709:                             ;   in Loop: Header=BB399_11 Depth=1
	v_and_b32_e32 v3, 0x7f, v31
	v_mov_b32_e32 v105, 0x7f800001
	s_mov_b32 s23, exec_lo
	v_cmpx_ne_u32_e32 0x7f, v3
	s_cbranch_execz .LBB399_1713
; %bb.1710:                             ;   in Loop: Header=BB399_11 Depth=1
	v_mov_b32_e32 v33, v9
	v_mov_b32_e32 v32, v8
	v_lshrrev_b32_e32 v1, 3, v3
	s_mov_b32 s24, exec_lo
	v_cmpx_gt_u32_e32 8, v3
; %bb.1711:                             ;   in Loop: Header=BB399_11 Depth=1
	v_and_b32_e32 v1, 7, v31
	v_ffbh_u32_e32 v1, v1
	v_min_u32_e32 v1, 32, v1
	v_subrev_nc_u32_e32 v3, 28, v1
	v_sub_nc_u32_e32 v1, 29, v1
	v_lshlrev_b64 v[32:33], v3, v[8:9]
; %bb.1712:                             ;   in Loop: Header=BB399_11 Depth=1
	s_or_b32 exec_lo, exec_lo, s24
	v_lshlrev_b32_e32 v3, 20, v32
	v_lshlrev_b32_e32 v17, 24, v8
	v_lshl_add_u32 v1, v1, 23, 0x3c000000
	v_and_b32_e32 v3, 0x700000, v3
	v_and_b32_e32 v17, 0x80000000, v17
	v_or3_b32 v105, v3, v17, v1
.LBB399_1713:                           ;   in Loop: Header=BB399_11 Depth=1
	s_or_b32 exec_lo, exec_lo, s23
.LBB399_1714:                           ;   in Loop: Header=BB399_11 Depth=1
	s_or_b32 exec_lo, exec_lo, s17
.LBB399_1715:                           ;   in Loop: Header=BB399_11 Depth=1
	s_or_b32 exec_lo, exec_lo, s6
	v_cmp_ne_u16_sdwa s5, v8, v9 src0_sel:BYTE_1 src1_sel:DWORD
	v_mov_b32_e32 v113, 0
	v_mov_b32_e32 v45, 0
	s_and_saveexec_b32 s6, s5
	s_cbranch_execz .LBB399_1723
; %bb.1716:                             ;   in Loop: Header=BB399_11 Depth=1
	v_cmp_ne_u16_sdwa s5, v8, v41 src0_sel:BYTE_1 src1_sel:DWORD
	v_bfrev_b32_e32 v45, 1
	s_and_saveexec_b32 s17, s5
	s_cbranch_execz .LBB399_1722
; %bb.1717:                             ;   in Loop: Header=BB399_11 Depth=1
	v_mov_b32_e32 v1, 0xffff
	v_mov_b32_e32 v45, 0x7f800001
	s_mov_b32 s23, exec_lo
	v_and_b32_sdwa v1, v1, v8 dst_sel:DWORD dst_unused:UNUSED_PAD src0_sel:DWORD src1_sel:BYTE_1
	v_and_b32_e32 v3, 0x7f, v1
	v_cmpx_ne_u32_e32 0x7f, v3
	s_cbranch_execz .LBB399_1721
; %bb.1718:                             ;   in Loop: Header=BB399_11 Depth=1
	v_and_b32_e32 v32, 7, v1
	v_mov_b32_e32 v33, v9
	v_lshrrev_b32_e32 v1, 3, v3
	s_mov_b32 s24, exec_lo
	v_cmpx_gt_u32_e32 8, v3
; %bb.1719:                             ;   in Loop: Header=BB399_11 Depth=1
	v_ffbh_u32_e32 v1, v32
	v_min_u32_e32 v1, 32, v1
	v_subrev_nc_u32_e32 v3, 28, v1
	v_sub_nc_u32_e32 v1, 29, v1
	v_lshlrev_b64 v[20:21], v3, v[32:33]
	v_and_b32_e32 v32, 7, v20
; %bb.1720:                             ;   in Loop: Header=BB399_11 Depth=1
	s_or_b32 exec_lo, exec_lo, s24
	v_lshlrev_b32_e32 v3, 16, v8
	v_lshlrev_b32_e32 v8, 20, v32
	v_lshl_add_u32 v1, v1, 23, 0x3c000000
	v_and_b32_e32 v3, 0x80000000, v3
	v_or3_b32 v45, v8, v3, v1
.LBB399_1721:                           ;   in Loop: Header=BB399_11 Depth=1
	s_or_b32 exec_lo, exec_lo, s23
.LBB399_1722:                           ;   in Loop: Header=BB399_11 Depth=1
	s_or_b32 exec_lo, exec_lo, s17
.LBB399_1723:                           ;   in Loop: Header=BB399_11 Depth=1
	s_or_b32 exec_lo, exec_lo, s6
	v_mov_b32_e32 v1, 0xff
	s_mov_b32 s6, exec_lo
	v_and_b32_sdwa v1, v31, v1 dst_sel:DWORD dst_unused:UNUSED_PAD src0_sel:WORD_1 src1_sel:DWORD
	v_cmpx_ne_u16_e32 0, v1
	s_cbranch_execz .LBB399_1731
; %bb.1724:                             ;   in Loop: Header=BB399_11 Depth=1
	v_bfrev_b32_e32 v113, 1
	s_mov_b32 s17, exec_lo
	v_cmpx_ne_u16_e32 0x80, v1
	s_cbranch_execz .LBB399_1730
; %bb.1725:                             ;   in Loop: Header=BB399_11 Depth=1
	v_bfe_u32 v3, v31, 16, 7
	v_mov_b32_e32 v113, 0x7f800001
	s_mov_b32 s23, exec_lo
	v_cmpx_ne_u32_e32 0x7f, v3
	s_cbranch_execz .LBB399_1729
; %bb.1726:                             ;   in Loop: Header=BB399_11 Depth=1
	v_mov_b32_e32 v1, 7
	s_mov_b32 s24, exec_lo
	v_and_b32_sdwa v8, v31, v1 dst_sel:DWORD dst_unused:UNUSED_PAD src0_sel:WORD_1 src1_sel:DWORD
	v_mov_b32_e32 v33, v9
	v_lshrrev_b32_e32 v1, 3, v3
	v_mov_b32_e32 v32, v8
	v_cmpx_gt_u32_e32 8, v3
; %bb.1727:                             ;   in Loop: Header=BB399_11 Depth=1
	v_ffbh_u32_e32 v1, v8
	v_min_u32_e32 v1, 32, v1
	v_subrev_nc_u32_e32 v3, 28, v1
	v_sub_nc_u32_e32 v1, 29, v1
	v_lshlrev_b64 v[20:21], v3, v[8:9]
	v_and_b32_e32 v32, 7, v20
; %bb.1728:                             ;   in Loop: Header=BB399_11 Depth=1
	s_or_b32 exec_lo, exec_lo, s24
	v_mov_b32_e32 v3, 24
	v_lshlrev_b32_e32 v8, 20, v32
	v_lshl_add_u32 v1, v1, 23, 0x3c000000
	v_lshlrev_b32_sdwa v3, v3, v31 dst_sel:DWORD dst_unused:UNUSED_PAD src0_sel:DWORD src1_sel:WORD_1
	v_and_b32_e32 v3, 0x80000000, v3
	v_or3_b32 v113, v8, v3, v1
.LBB399_1729:                           ;   in Loop: Header=BB399_11 Depth=1
	s_or_b32 exec_lo, exec_lo, s23
.LBB399_1730:                           ;   in Loop: Header=BB399_11 Depth=1
	s_or_b32 exec_lo, exec_lo, s17
.LBB399_1731:                           ;   in Loop: Header=BB399_11 Depth=1
	s_or_b32 exec_lo, exec_lo, s6
	v_mov_b32_e32 v118, 0
	v_mov_b32_e32 v84, 0
	s_mov_b32 s6, exec_lo
	v_cmpx_lt_u64_e64 s[8:9], v[30:31]
	s_cbranch_execz .LBB399_1739
; %bb.1732:                             ;   in Loop: Header=BB399_11 Depth=1
	v_cmp_ne_u32_sdwa s5, v31, v41 src0_sel:BYTE_3 src1_sel:DWORD
	v_bfrev_b32_e32 v84, 1
	s_and_saveexec_b32 s17, s5
	s_cbranch_execz .LBB399_1738
; %bb.1733:                             ;   in Loop: Header=BB399_11 Depth=1
	v_bfe_u32 v3, v31, 24, 7
	v_mov_b32_e32 v84, 0x7f800001
	s_mov_b32 s23, exec_lo
	v_cmpx_ne_u32_e32 0x7f, v3
	s_cbranch_execz .LBB399_1737
; %bb.1734:                             ;   in Loop: Header=BB399_11 Depth=1
	v_mov_b32_e32 v1, 7
	s_mov_b32 s24, exec_lo
	v_and_b32_sdwa v8, v31, v1 dst_sel:DWORD dst_unused:UNUSED_PAD src0_sel:BYTE_3 src1_sel:DWORD
	v_mov_b32_e32 v33, v9
	v_lshrrev_b32_e32 v1, 3, v3
	v_mov_b32_e32 v32, v8
	v_cmpx_gt_u32_e32 8, v3
; %bb.1735:                             ;   in Loop: Header=BB399_11 Depth=1
	v_ffbh_u32_e32 v1, v8
	v_min_u32_e32 v1, 32, v1
	v_subrev_nc_u32_e32 v3, 28, v1
	v_sub_nc_u32_e32 v1, 29, v1
	v_lshlrev_b64 v[20:21], v3, v[8:9]
	v_and_b32_e32 v32, 7, v20
; %bb.1736:                             ;   in Loop: Header=BB399_11 Depth=1
	s_or_b32 exec_lo, exec_lo, s24
	v_mov_b32_e32 v3, 24
	v_lshlrev_b32_e32 v8, 20, v32
	v_lshl_add_u32 v1, v1, 23, 0x3c000000
	v_lshlrev_b32_sdwa v3, v3, v31 dst_sel:DWORD dst_unused:UNUSED_PAD src0_sel:DWORD src1_sel:BYTE_3
	v_and_b32_e32 v3, 0x80000000, v3
	v_or3_b32 v84, v8, v3, v1
.LBB399_1737:                           ;   in Loop: Header=BB399_11 Depth=1
	s_or_b32 exec_lo, exec_lo, s23
.LBB399_1738:                           ;   in Loop: Header=BB399_11 Depth=1
	s_or_b32 exec_lo, exec_lo, s17
.LBB399_1739:                           ;   in Loop: Header=BB399_11 Depth=1
	s_or_b32 exec_lo, exec_lo, s6
	flat_load_dwordx2 v[30:31], v[28:29] offset:520
	s_waitcnt vmcnt(0) lgkmcnt(0)
	v_cmp_ne_u16_sdwa s5, v30, v9 src0_sel:BYTE_0 src1_sel:DWORD
	s_and_saveexec_b32 s6, s5
	s_cbranch_execz .LBB399_1747
; %bb.1740:                             ;   in Loop: Header=BB399_11 Depth=1
	v_cmp_ne_u16_sdwa s5, v30, v41 src0_sel:BYTE_0 src1_sel:DWORD
	v_bfrev_b32_e32 v118, 1
	s_and_saveexec_b32 s17, s5
	s_cbranch_execz .LBB399_1746
; %bb.1741:                             ;   in Loop: Header=BB399_11 Depth=1
	v_and_b32_e32 v3, 0x7f, v30
	v_mov_b32_e32 v118, 0x7f800001
	s_mov_b32 s23, exec_lo
	v_cmpx_ne_u32_e32 0x7f, v3
	s_cbranch_execz .LBB399_1745
; %bb.1742:                             ;   in Loop: Header=BB399_11 Depth=1
	v_mov_b32_e32 v33, v31
	v_lshrrev_b32_e32 v1, 3, v3
	v_mov_b32_e32 v32, v30
	s_mov_b32 s24, exec_lo
	v_cmpx_gt_u32_e32 8, v3
; %bb.1743:                             ;   in Loop: Header=BB399_11 Depth=1
	v_and_b32_e32 v1, 7, v30
	v_ffbh_u32_e32 v1, v1
	v_min_u32_e32 v1, 32, v1
	v_subrev_nc_u32_e32 v3, 28, v1
	v_sub_nc_u32_e32 v1, 29, v1
	v_lshlrev_b64 v[32:33], v3, v[30:31]
; %bb.1744:                             ;   in Loop: Header=BB399_11 Depth=1
	s_or_b32 exec_lo, exec_lo, s24
	v_lshlrev_b32_e32 v3, 20, v32
	v_lshlrev_b32_e32 v8, 24, v30
	v_lshl_add_u32 v1, v1, 23, 0x3c000000
	v_and_b32_e32 v3, 0x700000, v3
	v_and_b32_e32 v8, 0x80000000, v8
	v_or3_b32 v118, v3, v8, v1
.LBB399_1745:                           ;   in Loop: Header=BB399_11 Depth=1
	s_or_b32 exec_lo, exec_lo, s23
.LBB399_1746:                           ;   in Loop: Header=BB399_11 Depth=1
	s_or_b32 exec_lo, exec_lo, s17
.LBB399_1747:                           ;   in Loop: Header=BB399_11 Depth=1
	s_or_b32 exec_lo, exec_lo, s6
	v_cmp_ne_u16_sdwa s5, v30, v9 src0_sel:BYTE_1 src1_sel:DWORD
	v_mov_b32_e32 v24, 0
	v_mov_b32_e32 v100, 0
	s_and_saveexec_b32 s6, s5
	s_cbranch_execz .LBB399_1755
; %bb.1748:                             ;   in Loop: Header=BB399_11 Depth=1
	v_cmp_ne_u16_sdwa s5, v30, v41 src0_sel:BYTE_1 src1_sel:DWORD
	v_bfrev_b32_e32 v100, 1
	s_and_saveexec_b32 s17, s5
	s_cbranch_execz .LBB399_1754
; %bb.1749:                             ;   in Loop: Header=BB399_11 Depth=1
	v_mov_b32_e32 v1, 0xffff
	v_mov_b32_e32 v100, 0x7f800001
	s_mov_b32 s23, exec_lo
	v_and_b32_sdwa v1, v1, v30 dst_sel:DWORD dst_unused:UNUSED_PAD src0_sel:DWORD src1_sel:BYTE_1
	v_and_b32_e32 v3, 0x7f, v1
	v_cmpx_ne_u32_e32 0x7f, v3
	s_cbranch_execz .LBB399_1753
; %bb.1750:                             ;   in Loop: Header=BB399_11 Depth=1
	v_and_b32_e32 v8, 7, v1
	v_mov_b32_e32 v33, v9
	v_lshrrev_b32_e32 v1, 3, v3
	s_mov_b32 s24, exec_lo
	v_mov_b32_e32 v32, v8
	v_cmpx_gt_u32_e32 8, v3
; %bb.1751:                             ;   in Loop: Header=BB399_11 Depth=1
	v_ffbh_u32_e32 v1, v8
	v_min_u32_e32 v1, 32, v1
	v_subrev_nc_u32_e32 v3, 28, v1
	v_sub_nc_u32_e32 v1, 29, v1
	v_lshlrev_b64 v[20:21], v3, v[8:9]
	v_and_b32_e32 v32, 7, v20
; %bb.1752:                             ;   in Loop: Header=BB399_11 Depth=1
	s_or_b32 exec_lo, exec_lo, s24
	v_lshlrev_b32_e32 v3, 16, v30
	v_lshlrev_b32_e32 v8, 20, v32
	v_lshl_add_u32 v1, v1, 23, 0x3c000000
	v_and_b32_e32 v3, 0x80000000, v3
	v_or3_b32 v100, v8, v3, v1
.LBB399_1753:                           ;   in Loop: Header=BB399_11 Depth=1
	s_or_b32 exec_lo, exec_lo, s23
.LBB399_1754:                           ;   in Loop: Header=BB399_11 Depth=1
	s_or_b32 exec_lo, exec_lo, s17
.LBB399_1755:                           ;   in Loop: Header=BB399_11 Depth=1
	s_or_b32 exec_lo, exec_lo, s6
	v_mov_b32_e32 v1, 0xff
	s_mov_b32 s6, exec_lo
	v_and_b32_sdwa v1, v30, v1 dst_sel:DWORD dst_unused:UNUSED_PAD src0_sel:WORD_1 src1_sel:DWORD
	v_cmpx_ne_u16_e32 0, v1
	s_cbranch_execz .LBB399_1763
; %bb.1756:                             ;   in Loop: Header=BB399_11 Depth=1
	v_bfrev_b32_e32 v24, 1
	s_mov_b32 s17, exec_lo
	v_cmpx_ne_u16_e32 0x80, v1
	s_cbranch_execz .LBB399_1762
; %bb.1757:                             ;   in Loop: Header=BB399_11 Depth=1
	v_bfe_u32 v3, v30, 16, 7
	v_mov_b32_e32 v24, 0x7f800001
	s_mov_b32 s23, exec_lo
	v_cmpx_ne_u32_e32 0x7f, v3
	s_cbranch_execz .LBB399_1761
; %bb.1758:                             ;   in Loop: Header=BB399_11 Depth=1
	v_mov_b32_e32 v1, 7
	s_mov_b32 s24, exec_lo
	v_and_b32_sdwa v8, v30, v1 dst_sel:DWORD dst_unused:UNUSED_PAD src0_sel:WORD_1 src1_sel:DWORD
	v_mov_b32_e32 v33, v9
	v_lshrrev_b32_e32 v1, 3, v3
	v_mov_b32_e32 v32, v8
	v_cmpx_gt_u32_e32 8, v3
; %bb.1759:                             ;   in Loop: Header=BB399_11 Depth=1
	v_ffbh_u32_e32 v1, v8
	v_min_u32_e32 v1, 32, v1
	v_subrev_nc_u32_e32 v3, 28, v1
	v_sub_nc_u32_e32 v1, 29, v1
	v_lshlrev_b64 v[20:21], v3, v[8:9]
	v_and_b32_e32 v32, 7, v20
; %bb.1760:                             ;   in Loop: Header=BB399_11 Depth=1
	s_or_b32 exec_lo, exec_lo, s24
	v_mov_b32_e32 v3, 24
	v_lshlrev_b32_e32 v8, 20, v32
	v_lshl_add_u32 v1, v1, 23, 0x3c000000
	v_lshlrev_b32_sdwa v3, v3, v30 dst_sel:DWORD dst_unused:UNUSED_PAD src0_sel:DWORD src1_sel:WORD_1
	v_and_b32_e32 v3, 0x80000000, v3
	v_or3_b32 v24, v8, v3, v1
.LBB399_1761:                           ;   in Loop: Header=BB399_11 Depth=1
	s_or_b32 exec_lo, exec_lo, s23
.LBB399_1762:                           ;   in Loop: Header=BB399_11 Depth=1
	s_or_b32 exec_lo, exec_lo, s17
.LBB399_1763:                           ;   in Loop: Header=BB399_11 Depth=1
	s_or_b32 exec_lo, exec_lo, s6
	v_mov_b32_e32 v60, 0
	v_mov_b32_e32 v62, 0
	s_mov_b32 s6, exec_lo
	v_cmpx_lt_u32_e32 0xffffff, v30
	s_cbranch_execz .LBB399_1771
; %bb.1764:                             ;   in Loop: Header=BB399_11 Depth=1
	v_cmp_ne_u32_sdwa s5, v30, v41 src0_sel:BYTE_3 src1_sel:DWORD
	v_bfrev_b32_e32 v62, 1
	s_and_saveexec_b32 s17, s5
	s_cbranch_execz .LBB399_1770
; %bb.1765:                             ;   in Loop: Header=BB399_11 Depth=1
	v_bfe_u32 v3, v30, 24, 7
	v_mov_b32_e32 v62, 0x7f800001
	s_mov_b32 s23, exec_lo
	v_cmpx_ne_u32_e32 0x7f, v3
	s_cbranch_execz .LBB399_1769
; %bb.1766:                             ;   in Loop: Header=BB399_11 Depth=1
	v_mov_b32_e32 v1, 7
	s_mov_b32 s24, exec_lo
	v_and_b32_sdwa v8, v30, v1 dst_sel:DWORD dst_unused:UNUSED_PAD src0_sel:BYTE_3 src1_sel:DWORD
	v_mov_b32_e32 v33, v9
	v_lshrrev_b32_e32 v1, 3, v3
	v_mov_b32_e32 v32, v8
	v_cmpx_gt_u32_e32 8, v3
; %bb.1767:                             ;   in Loop: Header=BB399_11 Depth=1
	v_ffbh_u32_e32 v1, v8
	v_min_u32_e32 v1, 32, v1
	v_subrev_nc_u32_e32 v3, 28, v1
	v_sub_nc_u32_e32 v1, 29, v1
	v_lshlrev_b64 v[20:21], v3, v[8:9]
	v_and_b32_e32 v32, 7, v20
; %bb.1768:                             ;   in Loop: Header=BB399_11 Depth=1
	s_or_b32 exec_lo, exec_lo, s24
	v_mov_b32_e32 v3, 24
	v_lshlrev_b32_e32 v8, 20, v32
	v_lshl_add_u32 v1, v1, 23, 0x3c000000
	v_lshlrev_b32_sdwa v3, v3, v30 dst_sel:DWORD dst_unused:UNUSED_PAD src0_sel:DWORD src1_sel:BYTE_3
	v_and_b32_e32 v3, 0x80000000, v3
	v_or3_b32 v62, v8, v3, v1
.LBB399_1769:                           ;   in Loop: Header=BB399_11 Depth=1
	s_or_b32 exec_lo, exec_lo, s23
.LBB399_1770:                           ;   in Loop: Header=BB399_11 Depth=1
	s_or_b32 exec_lo, exec_lo, s17
.LBB399_1771:                           ;   in Loop: Header=BB399_11 Depth=1
	s_or_b32 exec_lo, exec_lo, s6
	v_mov_b32_e32 v8, v31
	v_cmp_ne_u16_sdwa s5, v31, v9 src0_sel:BYTE_0 src1_sel:DWORD
	s_and_saveexec_b32 s6, s5
	s_cbranch_execz .LBB399_1779
; %bb.1772:                             ;   in Loop: Header=BB399_11 Depth=1
	v_cmp_ne_u16_sdwa s5, v31, v41 src0_sel:BYTE_0 src1_sel:DWORD
	v_bfrev_b32_e32 v60, 1
	s_and_saveexec_b32 s17, s5
	s_cbranch_execz .LBB399_1778
; %bb.1773:                             ;   in Loop: Header=BB399_11 Depth=1
	v_and_b32_e32 v3, 0x7f, v31
	v_mov_b32_e32 v60, 0x7f800001
	s_mov_b32 s23, exec_lo
	v_cmpx_ne_u32_e32 0x7f, v3
	s_cbranch_execz .LBB399_1777
; %bb.1774:                             ;   in Loop: Header=BB399_11 Depth=1
	v_mov_b32_e32 v33, v9
	v_mov_b32_e32 v32, v8
	v_lshrrev_b32_e32 v1, 3, v3
	s_mov_b32 s24, exec_lo
	v_cmpx_gt_u32_e32 8, v3
; %bb.1775:                             ;   in Loop: Header=BB399_11 Depth=1
	v_and_b32_e32 v1, 7, v31
	v_ffbh_u32_e32 v1, v1
	v_min_u32_e32 v1, 32, v1
	v_subrev_nc_u32_e32 v3, 28, v1
	v_sub_nc_u32_e32 v1, 29, v1
	v_lshlrev_b64 v[32:33], v3, v[8:9]
; %bb.1776:                             ;   in Loop: Header=BB399_11 Depth=1
	s_or_b32 exec_lo, exec_lo, s24
	v_lshlrev_b32_e32 v3, 20, v32
	v_lshlrev_b32_e32 v17, 24, v8
	v_lshl_add_u32 v1, v1, 23, 0x3c000000
	v_and_b32_e32 v3, 0x700000, v3
	v_and_b32_e32 v17, 0x80000000, v17
	v_or3_b32 v60, v3, v17, v1
.LBB399_1777:                           ;   in Loop: Header=BB399_11 Depth=1
	s_or_b32 exec_lo, exec_lo, s23
.LBB399_1778:                           ;   in Loop: Header=BB399_11 Depth=1
	s_or_b32 exec_lo, exec_lo, s17
.LBB399_1779:                           ;   in Loop: Header=BB399_11 Depth=1
	s_or_b32 exec_lo, exec_lo, s6
	v_cmp_ne_u16_sdwa s5, v8, v9 src0_sel:BYTE_1 src1_sel:DWORD
	v_mov_b32_e32 v96, 0
	v_mov_b32_e32 v64, 0
	s_and_saveexec_b32 s6, s5
	s_cbranch_execz .LBB399_1787
; %bb.1780:                             ;   in Loop: Header=BB399_11 Depth=1
	v_cmp_ne_u16_sdwa s5, v8, v41 src0_sel:BYTE_1 src1_sel:DWORD
	v_bfrev_b32_e32 v64, 1
	s_and_saveexec_b32 s17, s5
	s_cbranch_execz .LBB399_1786
; %bb.1781:                             ;   in Loop: Header=BB399_11 Depth=1
	v_mov_b32_e32 v1, 0xffff
	v_mov_b32_e32 v64, 0x7f800001
	s_mov_b32 s23, exec_lo
	v_and_b32_sdwa v1, v1, v8 dst_sel:DWORD dst_unused:UNUSED_PAD src0_sel:DWORD src1_sel:BYTE_1
	v_and_b32_e32 v3, 0x7f, v1
	v_cmpx_ne_u32_e32 0x7f, v3
	s_cbranch_execz .LBB399_1785
; %bb.1782:                             ;   in Loop: Header=BB399_11 Depth=1
	v_and_b32_e32 v32, 7, v1
	v_mov_b32_e32 v33, v9
	v_lshrrev_b32_e32 v1, 3, v3
	s_mov_b32 s24, exec_lo
	v_cmpx_gt_u32_e32 8, v3
; %bb.1783:                             ;   in Loop: Header=BB399_11 Depth=1
	v_ffbh_u32_e32 v1, v32
	v_min_u32_e32 v1, 32, v1
	v_subrev_nc_u32_e32 v3, 28, v1
	v_sub_nc_u32_e32 v1, 29, v1
	v_lshlrev_b64 v[20:21], v3, v[32:33]
	v_and_b32_e32 v32, 7, v20
; %bb.1784:                             ;   in Loop: Header=BB399_11 Depth=1
	s_or_b32 exec_lo, exec_lo, s24
	v_lshlrev_b32_e32 v3, 16, v8
	v_lshlrev_b32_e32 v8, 20, v32
	v_lshl_add_u32 v1, v1, 23, 0x3c000000
	v_and_b32_e32 v3, 0x80000000, v3
	v_or3_b32 v64, v8, v3, v1
.LBB399_1785:                           ;   in Loop: Header=BB399_11 Depth=1
	s_or_b32 exec_lo, exec_lo, s23
.LBB399_1786:                           ;   in Loop: Header=BB399_11 Depth=1
	s_or_b32 exec_lo, exec_lo, s17
.LBB399_1787:                           ;   in Loop: Header=BB399_11 Depth=1
	s_or_b32 exec_lo, exec_lo, s6
	v_mov_b32_e32 v1, 0xff
	s_mov_b32 s6, exec_lo
	v_and_b32_sdwa v1, v31, v1 dst_sel:DWORD dst_unused:UNUSED_PAD src0_sel:WORD_1 src1_sel:DWORD
	v_cmpx_ne_u16_e32 0, v1
	s_cbranch_execz .LBB399_1795
; %bb.1788:                             ;   in Loop: Header=BB399_11 Depth=1
	v_bfrev_b32_e32 v96, 1
	s_mov_b32 s17, exec_lo
	v_cmpx_ne_u16_e32 0x80, v1
	s_cbranch_execz .LBB399_1794
; %bb.1789:                             ;   in Loop: Header=BB399_11 Depth=1
	v_bfe_u32 v3, v31, 16, 7
	v_mov_b32_e32 v96, 0x7f800001
	s_mov_b32 s23, exec_lo
	v_cmpx_ne_u32_e32 0x7f, v3
	s_cbranch_execz .LBB399_1793
; %bb.1790:                             ;   in Loop: Header=BB399_11 Depth=1
	v_mov_b32_e32 v1, 7
	s_mov_b32 s24, exec_lo
	v_and_b32_sdwa v8, v31, v1 dst_sel:DWORD dst_unused:UNUSED_PAD src0_sel:WORD_1 src1_sel:DWORD
	v_mov_b32_e32 v33, v9
	v_lshrrev_b32_e32 v1, 3, v3
	v_mov_b32_e32 v32, v8
	v_cmpx_gt_u32_e32 8, v3
; %bb.1791:                             ;   in Loop: Header=BB399_11 Depth=1
	v_ffbh_u32_e32 v1, v8
	v_min_u32_e32 v1, 32, v1
	v_subrev_nc_u32_e32 v3, 28, v1
	v_sub_nc_u32_e32 v1, 29, v1
	v_lshlrev_b64 v[20:21], v3, v[8:9]
	v_and_b32_e32 v32, 7, v20
; %bb.1792:                             ;   in Loop: Header=BB399_11 Depth=1
	s_or_b32 exec_lo, exec_lo, s24
	v_mov_b32_e32 v3, 24
	v_lshlrev_b32_e32 v8, 20, v32
	v_lshl_add_u32 v1, v1, 23, 0x3c000000
	v_lshlrev_b32_sdwa v3, v3, v31 dst_sel:DWORD dst_unused:UNUSED_PAD src0_sel:DWORD src1_sel:WORD_1
	v_and_b32_e32 v3, 0x80000000, v3
	v_or3_b32 v96, v8, v3, v1
.LBB399_1793:                           ;   in Loop: Header=BB399_11 Depth=1
	s_or_b32 exec_lo, exec_lo, s23
.LBB399_1794:                           ;   in Loop: Header=BB399_11 Depth=1
	s_or_b32 exec_lo, exec_lo, s17
.LBB399_1795:                           ;   in Loop: Header=BB399_11 Depth=1
	s_or_b32 exec_lo, exec_lo, s6
	v_mov_b32_e32 v50, 0
	v_mov_b32_e32 v43, 0
	s_mov_b32 s6, exec_lo
	v_cmpx_lt_u64_e64 s[8:9], v[30:31]
	s_cbranch_execz .LBB399_1803
; %bb.1796:                             ;   in Loop: Header=BB399_11 Depth=1
	v_cmp_ne_u32_sdwa s5, v31, v41 src0_sel:BYTE_3 src1_sel:DWORD
	v_bfrev_b32_e32 v43, 1
	s_and_saveexec_b32 s17, s5
	s_cbranch_execz .LBB399_1802
; %bb.1797:                             ;   in Loop: Header=BB399_11 Depth=1
	v_bfe_u32 v3, v31, 24, 7
	v_mov_b32_e32 v43, 0x7f800001
	s_mov_b32 s23, exec_lo
	v_cmpx_ne_u32_e32 0x7f, v3
	s_cbranch_execz .LBB399_1801
; %bb.1798:                             ;   in Loop: Header=BB399_11 Depth=1
	v_mov_b32_e32 v1, 7
	s_mov_b32 s24, exec_lo
	v_and_b32_sdwa v8, v31, v1 dst_sel:DWORD dst_unused:UNUSED_PAD src0_sel:BYTE_3 src1_sel:DWORD
	v_mov_b32_e32 v33, v9
	v_lshrrev_b32_e32 v1, 3, v3
	v_mov_b32_e32 v32, v8
	v_cmpx_gt_u32_e32 8, v3
; %bb.1799:                             ;   in Loop: Header=BB399_11 Depth=1
	v_ffbh_u32_e32 v1, v8
	v_min_u32_e32 v1, 32, v1
	v_subrev_nc_u32_e32 v3, 28, v1
	v_sub_nc_u32_e32 v1, 29, v1
	v_lshlrev_b64 v[20:21], v3, v[8:9]
	v_and_b32_e32 v32, 7, v20
; %bb.1800:                             ;   in Loop: Header=BB399_11 Depth=1
	s_or_b32 exec_lo, exec_lo, s24
	v_mov_b32_e32 v3, 24
	v_lshlrev_b32_e32 v8, 20, v32
	v_lshl_add_u32 v1, v1, 23, 0x3c000000
	v_lshlrev_b32_sdwa v3, v3, v31 dst_sel:DWORD dst_unused:UNUSED_PAD src0_sel:DWORD src1_sel:BYTE_3
	v_and_b32_e32 v3, 0x80000000, v3
	v_or3_b32 v43, v8, v3, v1
.LBB399_1801:                           ;   in Loop: Header=BB399_11 Depth=1
	s_or_b32 exec_lo, exec_lo, s23
.LBB399_1802:                           ;   in Loop: Header=BB399_11 Depth=1
	s_or_b32 exec_lo, exec_lo, s17
.LBB399_1803:                           ;   in Loop: Header=BB399_11 Depth=1
	s_or_b32 exec_lo, exec_lo, s6
	flat_load_dwordx2 v[30:31], v[28:29] offset:1024
	s_waitcnt vmcnt(0) lgkmcnt(0)
	v_cmp_ne_u16_sdwa s5, v30, v9 src0_sel:BYTE_0 src1_sel:DWORD
	s_and_saveexec_b32 s6, s5
	s_cbranch_execz .LBB399_1811
; %bb.1804:                             ;   in Loop: Header=BB399_11 Depth=1
	v_cmp_ne_u16_sdwa s5, v30, v41 src0_sel:BYTE_0 src1_sel:DWORD
	v_bfrev_b32_e32 v50, 1
	s_and_saveexec_b32 s17, s5
	s_cbranch_execz .LBB399_1810
; %bb.1805:                             ;   in Loop: Header=BB399_11 Depth=1
	v_and_b32_e32 v3, 0x7f, v30
	v_mov_b32_e32 v50, 0x7f800001
	s_mov_b32 s23, exec_lo
	v_cmpx_ne_u32_e32 0x7f, v3
	s_cbranch_execz .LBB399_1809
; %bb.1806:                             ;   in Loop: Header=BB399_11 Depth=1
	v_mov_b32_e32 v33, v31
	v_lshrrev_b32_e32 v1, 3, v3
	v_mov_b32_e32 v32, v30
	s_mov_b32 s24, exec_lo
	v_cmpx_gt_u32_e32 8, v3
; %bb.1807:                             ;   in Loop: Header=BB399_11 Depth=1
	v_and_b32_e32 v1, 7, v30
	v_ffbh_u32_e32 v1, v1
	v_min_u32_e32 v1, 32, v1
	v_subrev_nc_u32_e32 v3, 28, v1
	v_sub_nc_u32_e32 v1, 29, v1
	v_lshlrev_b64 v[32:33], v3, v[30:31]
; %bb.1808:                             ;   in Loop: Header=BB399_11 Depth=1
	s_or_b32 exec_lo, exec_lo, s24
	v_lshlrev_b32_e32 v3, 20, v32
	v_lshlrev_b32_e32 v8, 24, v30
	v_lshl_add_u32 v1, v1, 23, 0x3c000000
	v_and_b32_e32 v3, 0x700000, v3
	v_and_b32_e32 v8, 0x80000000, v8
	v_or3_b32 v50, v3, v8, v1
.LBB399_1809:                           ;   in Loop: Header=BB399_11 Depth=1
	s_or_b32 exec_lo, exec_lo, s23
.LBB399_1810:                           ;   in Loop: Header=BB399_11 Depth=1
	s_or_b32 exec_lo, exec_lo, s17
.LBB399_1811:                           ;   in Loop: Header=BB399_11 Depth=1
	s_or_b32 exec_lo, exec_lo, s6
	v_cmp_ne_u16_sdwa s5, v30, v9 src0_sel:BYTE_1 src1_sel:DWORD
	v_mov_b32_e32 v3, 0
	v_mov_b32_e32 v52, 0
	s_and_saveexec_b32 s6, s5
	s_cbranch_execz .LBB399_1819
; %bb.1812:                             ;   in Loop: Header=BB399_11 Depth=1
	v_cmp_ne_u16_sdwa s5, v30, v41 src0_sel:BYTE_1 src1_sel:DWORD
	v_bfrev_b32_e32 v52, 1
	s_and_saveexec_b32 s17, s5
	s_cbranch_execz .LBB399_1818
; %bb.1813:                             ;   in Loop: Header=BB399_11 Depth=1
	v_mov_b32_e32 v1, 0xffff
	v_mov_b32_e32 v52, 0x7f800001
	s_mov_b32 s23, exec_lo
	v_and_b32_sdwa v1, v1, v30 dst_sel:DWORD dst_unused:UNUSED_PAD src0_sel:DWORD src1_sel:BYTE_1
	v_and_b32_e32 v17, 0x7f, v1
	v_cmpx_ne_u32_e32 0x7f, v17
	s_cbranch_execz .LBB399_1817
; %bb.1814:                             ;   in Loop: Header=BB399_11 Depth=1
	v_and_b32_e32 v8, 7, v1
	v_mov_b32_e32 v33, v9
	v_lshrrev_b32_e32 v1, 3, v17
	s_mov_b32 s24, exec_lo
	v_mov_b32_e32 v32, v8
	v_cmpx_gt_u32_e32 8, v17
; %bb.1815:                             ;   in Loop: Header=BB399_11 Depth=1
	v_ffbh_u32_e32 v1, v8
	v_min_u32_e32 v1, 32, v1
	v_subrev_nc_u32_e32 v17, 28, v1
	v_sub_nc_u32_e32 v1, 29, v1
	v_lshlrev_b64 v[20:21], v17, v[8:9]
	v_and_b32_e32 v32, 7, v20
; %bb.1816:                             ;   in Loop: Header=BB399_11 Depth=1
	s_or_b32 exec_lo, exec_lo, s24
	v_lshlrev_b32_e32 v8, 16, v30
	v_lshlrev_b32_e32 v17, 20, v32
	v_lshl_add_u32 v1, v1, 23, 0x3c000000
	v_and_b32_e32 v8, 0x80000000, v8
	v_or3_b32 v52, v17, v8, v1
.LBB399_1817:                           ;   in Loop: Header=BB399_11 Depth=1
	s_or_b32 exec_lo, exec_lo, s23
.LBB399_1818:                           ;   in Loop: Header=BB399_11 Depth=1
	s_or_b32 exec_lo, exec_lo, s17
.LBB399_1819:                           ;   in Loop: Header=BB399_11 Depth=1
	s_or_b32 exec_lo, exec_lo, s6
	v_mov_b32_e32 v1, 0xff
	s_mov_b32 s6, exec_lo
	v_and_b32_sdwa v1, v30, v1 dst_sel:DWORD dst_unused:UNUSED_PAD src0_sel:WORD_1 src1_sel:DWORD
	v_cmpx_ne_u16_e32 0, v1
	s_cbranch_execz .LBB399_1827
; %bb.1820:                             ;   in Loop: Header=BB399_11 Depth=1
	v_bfrev_b32_e32 v3, 1
	s_mov_b32 s17, exec_lo
	v_cmpx_ne_u16_e32 0x80, v1
	s_cbranch_execz .LBB399_1826
; %bb.1821:                             ;   in Loop: Header=BB399_11 Depth=1
	v_bfe_u32 v17, v30, 16, 7
	v_mov_b32_e32 v3, 0x7f800001
	s_mov_b32 s23, exec_lo
	v_cmpx_ne_u32_e32 0x7f, v17
	s_cbranch_execz .LBB399_1825
; %bb.1822:                             ;   in Loop: Header=BB399_11 Depth=1
	v_mov_b32_e32 v1, 7
	s_mov_b32 s24, exec_lo
	v_and_b32_sdwa v8, v30, v1 dst_sel:DWORD dst_unused:UNUSED_PAD src0_sel:WORD_1 src1_sel:DWORD
	v_mov_b32_e32 v33, v9
	v_lshrrev_b32_e32 v1, 3, v17
	v_mov_b32_e32 v32, v8
	v_cmpx_gt_u32_e32 8, v17
; %bb.1823:                             ;   in Loop: Header=BB399_11 Depth=1
	v_ffbh_u32_e32 v1, v8
	v_min_u32_e32 v1, 32, v1
	v_subrev_nc_u32_e32 v3, 28, v1
	v_sub_nc_u32_e32 v1, 29, v1
	v_lshlrev_b64 v[20:21], v3, v[8:9]
	v_and_b32_e32 v32, 7, v20
; %bb.1824:                             ;   in Loop: Header=BB399_11 Depth=1
	s_or_b32 exec_lo, exec_lo, s24
	v_mov_b32_e32 v3, 24
	v_lshlrev_b32_e32 v8, 20, v32
	v_lshl_add_u32 v1, v1, 23, 0x3c000000
	v_lshlrev_b32_sdwa v3, v3, v30 dst_sel:DWORD dst_unused:UNUSED_PAD src0_sel:DWORD src1_sel:WORD_1
	v_and_b32_e32 v3, 0x80000000, v3
	v_or3_b32 v3, v8, v3, v1
.LBB399_1825:                           ;   in Loop: Header=BB399_11 Depth=1
	s_or_b32 exec_lo, exec_lo, s23
.LBB399_1826:                           ;   in Loop: Header=BB399_11 Depth=1
	s_or_b32 exec_lo, exec_lo, s17
.LBB399_1827:                           ;   in Loop: Header=BB399_11 Depth=1
	s_or_b32 exec_lo, exec_lo, s6
	v_mov_b32_e32 v40, 0
	v_mov_b32_e32 v1, 0
	s_mov_b32 s6, exec_lo
	v_cmpx_lt_u32_e32 0xffffff, v30
	s_cbranch_execz .LBB399_1835
; %bb.1828:                             ;   in Loop: Header=BB399_11 Depth=1
	v_cmp_ne_u32_sdwa s5, v30, v41 src0_sel:BYTE_3 src1_sel:DWORD
	v_bfrev_b32_e32 v1, 1
	s_and_saveexec_b32 s17, s5
	s_cbranch_execz .LBB399_1834
; %bb.1829:                             ;   in Loop: Header=BB399_11 Depth=1
	v_bfe_u32 v17, v30, 24, 7
	v_mov_b32_e32 v1, 0x7f800001
	s_mov_b32 s23, exec_lo
	v_cmpx_ne_u32_e32 0x7f, v17
	s_cbranch_execz .LBB399_1833
; %bb.1830:                             ;   in Loop: Header=BB399_11 Depth=1
	v_mov_b32_e32 v1, 7
	s_mov_b32 s24, exec_lo
	v_and_b32_sdwa v8, v30, v1 dst_sel:DWORD dst_unused:UNUSED_PAD src0_sel:BYTE_3 src1_sel:DWORD
	v_mov_b32_e32 v33, v9
	v_lshrrev_b32_e32 v1, 3, v17
	v_mov_b32_e32 v32, v8
	v_cmpx_gt_u32_e32 8, v17
; %bb.1831:                             ;   in Loop: Header=BB399_11 Depth=1
	v_ffbh_u32_e32 v1, v8
	v_min_u32_e32 v1, 32, v1
	v_subrev_nc_u32_e32 v17, 28, v1
	v_sub_nc_u32_e32 v1, 29, v1
	v_lshlrev_b64 v[20:21], v17, v[8:9]
	v_and_b32_e32 v32, 7, v20
; %bb.1832:                             ;   in Loop: Header=BB399_11 Depth=1
	s_or_b32 exec_lo, exec_lo, s24
	v_mov_b32_e32 v8, 24
	v_lshlrev_b32_e32 v17, 20, v32
	v_lshl_add_u32 v1, v1, 23, 0x3c000000
	v_lshlrev_b32_sdwa v8, v8, v30 dst_sel:DWORD dst_unused:UNUSED_PAD src0_sel:DWORD src1_sel:BYTE_3
	v_and_b32_e32 v8, 0x80000000, v8
	v_or3_b32 v1, v17, v8, v1
.LBB399_1833:                           ;   in Loop: Header=BB399_11 Depth=1
	s_or_b32 exec_lo, exec_lo, s23
.LBB399_1834:                           ;   in Loop: Header=BB399_11 Depth=1
	s_or_b32 exec_lo, exec_lo, s17
.LBB399_1835:                           ;   in Loop: Header=BB399_11 Depth=1
	s_or_b32 exec_lo, exec_lo, s6
	v_mov_b32_e32 v8, v31
	v_cmp_ne_u16_sdwa s5, v31, v9 src0_sel:BYTE_0 src1_sel:DWORD
	s_and_saveexec_b32 s6, s5
	s_cbranch_execz .LBB399_1843
; %bb.1836:                             ;   in Loop: Header=BB399_11 Depth=1
	v_cmp_ne_u16_sdwa s5, v31, v41 src0_sel:BYTE_0 src1_sel:DWORD
	v_bfrev_b32_e32 v40, 1
	s_and_saveexec_b32 s17, s5
	s_cbranch_execz .LBB399_1842
; %bb.1837:                             ;   in Loop: Header=BB399_11 Depth=1
	v_and_b32_e32 v20, 0x7f, v31
	v_mov_b32_e32 v40, 0x7f800001
	s_mov_b32 s23, exec_lo
	v_cmpx_ne_u32_e32 0x7f, v20
	s_cbranch_execz .LBB399_1841
; %bb.1838:                             ;   in Loop: Header=BB399_11 Depth=1
	v_mov_b32_e32 v33, v9
	v_mov_b32_e32 v32, v8
	v_lshrrev_b32_e32 v17, 3, v20
	s_mov_b32 s24, exec_lo
	v_cmpx_gt_u32_e32 8, v20
; %bb.1839:                             ;   in Loop: Header=BB399_11 Depth=1
	v_and_b32_e32 v17, 7, v31
	v_ffbh_u32_e32 v17, v17
	v_min_u32_e32 v17, 32, v17
	v_subrev_nc_u32_e32 v20, 28, v17
	v_sub_nc_u32_e32 v17, 29, v17
	v_lshlrev_b64 v[32:33], v20, v[8:9]
; %bb.1840:                             ;   in Loop: Header=BB399_11 Depth=1
	s_or_b32 exec_lo, exec_lo, s24
	v_lshlrev_b32_e32 v20, 20, v32
	v_lshlrev_b32_e32 v21, 24, v8
	v_lshl_add_u32 v17, v17, 23, 0x3c000000
	v_and_b32_e32 v20, 0x700000, v20
	v_and_b32_e32 v21, 0x80000000, v21
	v_or3_b32 v40, v20, v21, v17
.LBB399_1841:                           ;   in Loop: Header=BB399_11 Depth=1
	s_or_b32 exec_lo, exec_lo, s23
.LBB399_1842:                           ;   in Loop: Header=BB399_11 Depth=1
	s_or_b32 exec_lo, exec_lo, s17
.LBB399_1843:                           ;   in Loop: Header=BB399_11 Depth=1
	s_or_b32 exec_lo, exec_lo, s6
	v_cmp_ne_u16_sdwa s5, v8, v9 src0_sel:BYTE_1 src1_sel:DWORD
	v_mov_b32_e32 v21, 0
	v_mov_b32_e32 v93, 0
	s_and_saveexec_b32 s6, s5
	s_cbranch_execz .LBB399_1851
; %bb.1844:                             ;   in Loop: Header=BB399_11 Depth=1
	v_cmp_ne_u16_sdwa s5, v8, v41 src0_sel:BYTE_1 src1_sel:DWORD
	v_bfrev_b32_e32 v93, 1
	s_and_saveexec_b32 s17, s5
	s_cbranch_execz .LBB399_1850
; %bb.1845:                             ;   in Loop: Header=BB399_11 Depth=1
	v_mov_b32_e32 v17, 0xffff
	v_mov_b32_e32 v93, 0x7f800001
	s_mov_b32 s23, exec_lo
	v_and_b32_sdwa v17, v17, v8 dst_sel:DWORD dst_unused:UNUSED_PAD src0_sel:DWORD src1_sel:BYTE_1
	v_and_b32_e32 v20, 0x7f, v17
	v_cmpx_ne_u32_e32 0x7f, v20
	s_cbranch_execz .LBB399_1849
; %bb.1846:                             ;   in Loop: Header=BB399_11 Depth=1
	v_and_b32_e32 v32, 7, v17
	v_mov_b32_e32 v33, v9
	v_lshrrev_b32_e32 v17, 3, v20
	s_mov_b32 s24, exec_lo
	v_cmpx_gt_u32_e32 8, v20
; %bb.1847:                             ;   in Loop: Header=BB399_11 Depth=1
	v_ffbh_u32_e32 v17, v32
	v_min_u32_e32 v17, 32, v17
	v_subrev_nc_u32_e32 v20, 28, v17
	v_sub_nc_u32_e32 v17, 29, v17
	v_lshlrev_b64 v[32:33], v20, v[32:33]
	v_and_b32_e32 v32, 7, v32
; %bb.1848:                             ;   in Loop: Header=BB399_11 Depth=1
	s_or_b32 exec_lo, exec_lo, s24
	v_lshlrev_b32_e32 v8, 16, v8
	v_lshlrev_b32_e32 v20, 20, v32
	v_lshl_add_u32 v17, v17, 23, 0x3c000000
	v_and_b32_e32 v8, 0x80000000, v8
	v_or3_b32 v93, v20, v8, v17
.LBB399_1849:                           ;   in Loop: Header=BB399_11 Depth=1
	s_or_b32 exec_lo, exec_lo, s23
.LBB399_1850:                           ;   in Loop: Header=BB399_11 Depth=1
	s_or_b32 exec_lo, exec_lo, s17
.LBB399_1851:                           ;   in Loop: Header=BB399_11 Depth=1
	s_or_b32 exec_lo, exec_lo, s6
	v_mov_b32_e32 v8, 0xff
	s_mov_b32 s6, exec_lo
	v_and_b32_sdwa v8, v31, v8 dst_sel:DWORD dst_unused:UNUSED_PAD src0_sel:WORD_1 src1_sel:DWORD
	v_cmpx_ne_u16_e32 0, v8
	s_cbranch_execz .LBB399_1859
; %bb.1852:                             ;   in Loop: Header=BB399_11 Depth=1
	v_bfrev_b32_e32 v21, 1
	s_mov_b32 s17, exec_lo
	v_cmpx_ne_u16_e32 0x80, v8
	s_cbranch_execz .LBB399_1858
; %bb.1853:                             ;   in Loop: Header=BB399_11 Depth=1
	v_bfe_u32 v20, v31, 16, 7
	v_mov_b32_e32 v21, 0x7f800001
	s_mov_b32 s23, exec_lo
	v_cmpx_ne_u32_e32 0x7f, v20
	s_cbranch_execz .LBB399_1857
; %bb.1854:                             ;   in Loop: Header=BB399_11 Depth=1
	v_mov_b32_e32 v8, 7
	v_lshrrev_b32_e32 v17, 3, v20
	s_mov_b32 s24, exec_lo
	v_and_b32_sdwa v8, v31, v8 dst_sel:DWORD dst_unused:UNUSED_PAD src0_sel:WORD_1 src1_sel:DWORD
	v_mov_b32_e32 v33, v9
	v_mov_b32_e32 v32, v8
	v_cmpx_gt_u32_e32 8, v20
; %bb.1855:                             ;   in Loop: Header=BB399_11 Depth=1
	v_ffbh_u32_e32 v17, v8
	v_min_u32_e32 v17, 32, v17
	v_subrev_nc_u32_e32 v20, 28, v17
	v_sub_nc_u32_e32 v17, 29, v17
	v_lshlrev_b64 v[20:21], v20, v[8:9]
	v_and_b32_e32 v32, 7, v20
; %bb.1856:                             ;   in Loop: Header=BB399_11 Depth=1
	s_or_b32 exec_lo, exec_lo, s24
	v_mov_b32_e32 v8, 24
	v_lshlrev_b32_e32 v20, 20, v32
	v_lshl_add_u32 v17, v17, 23, 0x3c000000
	v_lshlrev_b32_sdwa v8, v8, v31 dst_sel:DWORD dst_unused:UNUSED_PAD src0_sel:DWORD src1_sel:WORD_1
	v_and_b32_e32 v8, 0x80000000, v8
	v_or3_b32 v21, v20, v8, v17
.LBB399_1857:                           ;   in Loop: Header=BB399_11 Depth=1
	s_or_b32 exec_lo, exec_lo, s23
.LBB399_1858:                           ;   in Loop: Header=BB399_11 Depth=1
	s_or_b32 exec_lo, exec_lo, s17
.LBB399_1859:                           ;   in Loop: Header=BB399_11 Depth=1
	s_or_b32 exec_lo, exec_lo, s6
	v_mov_b32_e32 v56, 0
	v_mov_b32_e32 v25, 0
	s_mov_b32 s6, exec_lo
	v_cmpx_lt_u64_e64 s[8:9], v[30:31]
	s_cbranch_execz .LBB399_1867
; %bb.1860:                             ;   in Loop: Header=BB399_11 Depth=1
	v_cmp_ne_u32_sdwa s5, v31, v41 src0_sel:BYTE_3 src1_sel:DWORD
	v_bfrev_b32_e32 v25, 1
	s_and_saveexec_b32 s17, s5
	s_cbranch_execz .LBB399_1866
; %bb.1861:                             ;   in Loop: Header=BB399_11 Depth=1
	v_bfe_u32 v20, v31, 24, 7
	v_mov_b32_e32 v25, 0x7f800001
	s_mov_b32 s23, exec_lo
	v_cmpx_ne_u32_e32 0x7f, v20
	s_cbranch_execz .LBB399_1865
; %bb.1862:                             ;   in Loop: Header=BB399_11 Depth=1
	v_mov_b32_e32 v8, 7
	v_lshrrev_b32_e32 v17, 3, v20
	s_mov_b32 s24, exec_lo
	v_and_b32_sdwa v8, v31, v8 dst_sel:DWORD dst_unused:UNUSED_PAD src0_sel:BYTE_3 src1_sel:DWORD
	v_mov_b32_e32 v33, v9
	v_mov_b32_e32 v32, v8
	v_cmpx_gt_u32_e32 8, v20
; %bb.1863:                             ;   in Loop: Header=BB399_11 Depth=1
	v_ffbh_u32_e32 v17, v8
	v_min_u32_e32 v17, 32, v17
	v_subrev_nc_u32_e32 v20, 28, v17
	v_sub_nc_u32_e32 v17, 29, v17
	v_lshlrev_b64 v[32:33], v20, v[8:9]
	v_and_b32_e32 v32, 7, v32
; %bb.1864:                             ;   in Loop: Header=BB399_11 Depth=1
	s_or_b32 exec_lo, exec_lo, s24
	v_mov_b32_e32 v8, 24
	v_lshlrev_b32_e32 v20, 20, v32
	v_lshl_add_u32 v17, v17, 23, 0x3c000000
	v_lshlrev_b32_sdwa v8, v8, v31 dst_sel:DWORD dst_unused:UNUSED_PAD src0_sel:DWORD src1_sel:BYTE_3
	v_and_b32_e32 v8, 0x80000000, v8
	v_or3_b32 v25, v20, v8, v17
.LBB399_1865:                           ;   in Loop: Header=BB399_11 Depth=1
	s_or_b32 exec_lo, exec_lo, s23
.LBB399_1866:                           ;   in Loop: Header=BB399_11 Depth=1
	s_or_b32 exec_lo, exec_lo, s17
.LBB399_1867:                           ;   in Loop: Header=BB399_11 Depth=1
	s_or_b32 exec_lo, exec_lo, s6
	flat_load_dwordx2 v[30:31], v[28:29] offset:1032
	s_waitcnt vmcnt(0) lgkmcnt(0)
	v_cmp_ne_u16_sdwa s5, v30, v9 src0_sel:BYTE_0 src1_sel:DWORD
	s_and_saveexec_b32 s6, s5
	s_cbranch_execz .LBB399_1875
; %bb.1868:                             ;   in Loop: Header=BB399_11 Depth=1
	v_cmp_ne_u16_sdwa s5, v30, v41 src0_sel:BYTE_0 src1_sel:DWORD
	v_bfrev_b32_e32 v56, 1
	s_and_saveexec_b32 s17, s5
	s_cbranch_execz .LBB399_1874
; %bb.1869:                             ;   in Loop: Header=BB399_11 Depth=1
	v_and_b32_e32 v17, 0x7f, v30
	v_mov_b32_e32 v56, 0x7f800001
	s_mov_b32 s23, exec_lo
	v_cmpx_ne_u32_e32 0x7f, v17
	s_cbranch_execz .LBB399_1873
; %bb.1870:                             ;   in Loop: Header=BB399_11 Depth=1
	v_mov_b32_e32 v33, v31
	v_lshrrev_b32_e32 v8, 3, v17
	v_mov_b32_e32 v32, v30
	s_mov_b32 s24, exec_lo
	v_cmpx_gt_u32_e32 8, v17
; %bb.1871:                             ;   in Loop: Header=BB399_11 Depth=1
	v_and_b32_e32 v8, 7, v30
	v_ffbh_u32_e32 v8, v8
	v_min_u32_e32 v8, 32, v8
	v_subrev_nc_u32_e32 v17, 28, v8
	v_sub_nc_u32_e32 v8, 29, v8
	v_lshlrev_b64 v[32:33], v17, v[30:31]
; %bb.1872:                             ;   in Loop: Header=BB399_11 Depth=1
	s_or_b32 exec_lo, exec_lo, s24
	v_lshlrev_b32_e32 v17, 20, v32
	v_lshlrev_b32_e32 v20, 24, v30
	v_lshl_add_u32 v8, v8, 23, 0x3c000000
	v_and_b32_e32 v17, 0x700000, v17
	v_and_b32_e32 v20, 0x80000000, v20
	v_or3_b32 v56, v17, v20, v8
.LBB399_1873:                           ;   in Loop: Header=BB399_11 Depth=1
	s_or_b32 exec_lo, exec_lo, s23
.LBB399_1874:                           ;   in Loop: Header=BB399_11 Depth=1
	s_or_b32 exec_lo, exec_lo, s17
.LBB399_1875:                           ;   in Loop: Header=BB399_11 Depth=1
	s_or_b32 exec_lo, exec_lo, s6
	v_cmp_ne_u16_sdwa s5, v30, v9 src0_sel:BYTE_1 src1_sel:DWORD
	v_mov_b32_e32 v111, 0
	v_mov_b32_e32 v109, 0
	s_and_saveexec_b32 s6, s5
	s_cbranch_execz .LBB399_1883
; %bb.1876:                             ;   in Loop: Header=BB399_11 Depth=1
	v_cmp_ne_u16_sdwa s5, v30, v41 src0_sel:BYTE_1 src1_sel:DWORD
	v_bfrev_b32_e32 v109, 1
	s_and_saveexec_b32 s17, s5
	s_cbranch_execz .LBB399_1882
; %bb.1877:                             ;   in Loop: Header=BB399_11 Depth=1
	v_mov_b32_e32 v8, 0xffff
	v_mov_b32_e32 v109, 0x7f800001
	s_mov_b32 s23, exec_lo
	v_and_b32_sdwa v8, v8, v30 dst_sel:DWORD dst_unused:UNUSED_PAD src0_sel:DWORD src1_sel:BYTE_1
	v_and_b32_e32 v20, 0x7f, v8
	v_cmpx_ne_u32_e32 0x7f, v20
	s_cbranch_execz .LBB399_1881
; %bb.1878:                             ;   in Loop: Header=BB399_11 Depth=1
	v_and_b32_e32 v8, 7, v8
	v_mov_b32_e32 v33, v9
	v_lshrrev_b32_e32 v17, 3, v20
	s_mov_b32 s24, exec_lo
	v_mov_b32_e32 v32, v8
	v_cmpx_gt_u32_e32 8, v20
; %bb.1879:                             ;   in Loop: Header=BB399_11 Depth=1
	v_ffbh_u32_e32 v17, v8
	v_min_u32_e32 v17, 32, v17
	v_subrev_nc_u32_e32 v20, 28, v17
	v_sub_nc_u32_e32 v17, 29, v17
	v_lshlrev_b64 v[32:33], v20, v[8:9]
	v_and_b32_e32 v32, 7, v32
; %bb.1880:                             ;   in Loop: Header=BB399_11 Depth=1
	s_or_b32 exec_lo, exec_lo, s24
	v_lshlrev_b32_e32 v8, 16, v30
	v_lshlrev_b32_e32 v20, 20, v32
	v_lshl_add_u32 v17, v17, 23, 0x3c000000
	v_and_b32_e32 v8, 0x80000000, v8
	v_or3_b32 v109, v20, v8, v17
.LBB399_1881:                           ;   in Loop: Header=BB399_11 Depth=1
	s_or_b32 exec_lo, exec_lo, s23
.LBB399_1882:                           ;   in Loop: Header=BB399_11 Depth=1
	s_or_b32 exec_lo, exec_lo, s17
.LBB399_1883:                           ;   in Loop: Header=BB399_11 Depth=1
	s_or_b32 exec_lo, exec_lo, s6
	v_mov_b32_e32 v8, 0xff
	s_mov_b32 s6, exec_lo
	v_and_b32_sdwa v8, v30, v8 dst_sel:DWORD dst_unused:UNUSED_PAD src0_sel:WORD_1 src1_sel:DWORD
	v_cmpx_ne_u16_e32 0, v8
	s_cbranch_execz .LBB399_1891
; %bb.1884:                             ;   in Loop: Header=BB399_11 Depth=1
	v_bfrev_b32_e32 v111, 1
	s_mov_b32 s17, exec_lo
	v_cmpx_ne_u16_e32 0x80, v8
	s_cbranch_execz .LBB399_1890
; %bb.1885:                             ;   in Loop: Header=BB399_11 Depth=1
	v_bfe_u32 v20, v30, 16, 7
	v_mov_b32_e32 v111, 0x7f800001
	s_mov_b32 s23, exec_lo
	v_cmpx_ne_u32_e32 0x7f, v20
	s_cbranch_execz .LBB399_1889
; %bb.1886:                             ;   in Loop: Header=BB399_11 Depth=1
	v_mov_b32_e32 v8, 7
	v_lshrrev_b32_e32 v17, 3, v20
	s_mov_b32 s24, exec_lo
	v_and_b32_sdwa v8, v30, v8 dst_sel:DWORD dst_unused:UNUSED_PAD src0_sel:WORD_1 src1_sel:DWORD
	v_mov_b32_e32 v33, v9
	v_mov_b32_e32 v32, v8
	v_cmpx_gt_u32_e32 8, v20
; %bb.1887:                             ;   in Loop: Header=BB399_11 Depth=1
	v_ffbh_u32_e32 v17, v8
	v_min_u32_e32 v17, 32, v17
	v_subrev_nc_u32_e32 v20, 28, v17
	v_sub_nc_u32_e32 v17, 29, v17
	v_lshlrev_b64 v[32:33], v20, v[8:9]
	v_and_b32_e32 v32, 7, v32
; %bb.1888:                             ;   in Loop: Header=BB399_11 Depth=1
	s_or_b32 exec_lo, exec_lo, s24
	v_mov_b32_e32 v8, 24
	v_lshlrev_b32_e32 v20, 20, v32
	v_lshl_add_u32 v17, v17, 23, 0x3c000000
	v_lshlrev_b32_sdwa v8, v8, v30 dst_sel:DWORD dst_unused:UNUSED_PAD src0_sel:DWORD src1_sel:WORD_1
	v_and_b32_e32 v8, 0x80000000, v8
	v_or3_b32 v111, v20, v8, v17
.LBB399_1889:                           ;   in Loop: Header=BB399_11 Depth=1
	s_or_b32 exec_lo, exec_lo, s23
.LBB399_1890:                           ;   in Loop: Header=BB399_11 Depth=1
	s_or_b32 exec_lo, exec_lo, s17
.LBB399_1891:                           ;   in Loop: Header=BB399_11 Depth=1
	s_or_b32 exec_lo, exec_lo, s6
	v_mov_b32_e32 v79, 0
	v_mov_b32_e32 v89, 0
	s_mov_b32 s6, exec_lo
	v_cmpx_lt_u32_e32 0xffffff, v30
	s_cbranch_execz .LBB399_1899
; %bb.1892:                             ;   in Loop: Header=BB399_11 Depth=1
	v_cmp_ne_u32_sdwa s5, v30, v41 src0_sel:BYTE_3 src1_sel:DWORD
	v_bfrev_b32_e32 v89, 1
	s_and_saveexec_b32 s17, s5
	s_cbranch_execz .LBB399_1898
; %bb.1893:                             ;   in Loop: Header=BB399_11 Depth=1
	v_bfe_u32 v20, v30, 24, 7
	v_mov_b32_e32 v89, 0x7f800001
	s_mov_b32 s23, exec_lo
	v_cmpx_ne_u32_e32 0x7f, v20
	s_cbranch_execz .LBB399_1897
; %bb.1894:                             ;   in Loop: Header=BB399_11 Depth=1
	v_mov_b32_e32 v8, 7
	v_lshrrev_b32_e32 v17, 3, v20
	s_mov_b32 s24, exec_lo
	v_and_b32_sdwa v8, v30, v8 dst_sel:DWORD dst_unused:UNUSED_PAD src0_sel:BYTE_3 src1_sel:DWORD
	v_mov_b32_e32 v33, v9
	v_mov_b32_e32 v32, v8
	v_cmpx_gt_u32_e32 8, v20
; %bb.1895:                             ;   in Loop: Header=BB399_11 Depth=1
	v_ffbh_u32_e32 v17, v8
	v_min_u32_e32 v17, 32, v17
	v_subrev_nc_u32_e32 v20, 28, v17
	v_sub_nc_u32_e32 v17, 29, v17
	v_lshlrev_b64 v[32:33], v20, v[8:9]
	v_and_b32_e32 v32, 7, v32
; %bb.1896:                             ;   in Loop: Header=BB399_11 Depth=1
	s_or_b32 exec_lo, exec_lo, s24
	v_mov_b32_e32 v8, 24
	v_lshlrev_b32_e32 v20, 20, v32
	v_lshl_add_u32 v17, v17, 23, 0x3c000000
	v_lshlrev_b32_sdwa v8, v8, v30 dst_sel:DWORD dst_unused:UNUSED_PAD src0_sel:DWORD src1_sel:BYTE_3
	v_and_b32_e32 v8, 0x80000000, v8
	v_or3_b32 v89, v20, v8, v17
.LBB399_1897:                           ;   in Loop: Header=BB399_11 Depth=1
	s_or_b32 exec_lo, exec_lo, s23
.LBB399_1898:                           ;   in Loop: Header=BB399_11 Depth=1
	s_or_b32 exec_lo, exec_lo, s17
.LBB399_1899:                           ;   in Loop: Header=BB399_11 Depth=1
	s_or_b32 exec_lo, exec_lo, s6
	v_mov_b32_e32 v8, v31
	v_cmp_ne_u16_sdwa s5, v31, v9 src0_sel:BYTE_0 src1_sel:DWORD
	s_and_saveexec_b32 s6, s5
	s_cbranch_execz .LBB399_1907
; %bb.1900:                             ;   in Loop: Header=BB399_11 Depth=1
	v_cmp_ne_u16_sdwa s5, v31, v41 src0_sel:BYTE_0 src1_sel:DWORD
	v_bfrev_b32_e32 v79, 1
	s_and_saveexec_b32 s17, s5
	s_cbranch_execz .LBB399_1906
; %bb.1901:                             ;   in Loop: Header=BB399_11 Depth=1
	v_and_b32_e32 v20, 0x7f, v31
	v_mov_b32_e32 v79, 0x7f800001
	s_mov_b32 s23, exec_lo
	v_cmpx_ne_u32_e32 0x7f, v20
	s_cbranch_execz .LBB399_1905
; %bb.1902:                             ;   in Loop: Header=BB399_11 Depth=1
	v_mov_b32_e32 v33, v9
	v_mov_b32_e32 v32, v8
	v_lshrrev_b32_e32 v17, 3, v20
	s_mov_b32 s24, exec_lo
	v_cmpx_gt_u32_e32 8, v20
; %bb.1903:                             ;   in Loop: Header=BB399_11 Depth=1
	v_and_b32_e32 v17, 7, v31
	v_ffbh_u32_e32 v17, v17
	v_min_u32_e32 v17, 32, v17
	v_subrev_nc_u32_e32 v20, 28, v17
	v_sub_nc_u32_e32 v17, 29, v17
	v_lshlrev_b64 v[32:33], v20, v[8:9]
; %bb.1904:                             ;   in Loop: Header=BB399_11 Depth=1
	s_or_b32 exec_lo, exec_lo, s24
	v_lshlrev_b32_e32 v20, 20, v32
	v_lshlrev_b32_e32 v32, 24, v8
	v_lshl_add_u32 v17, v17, 23, 0x3c000000
	v_and_b32_e32 v20, 0x700000, v20
	v_and_b32_e32 v32, 0x80000000, v32
	v_or3_b32 v79, v20, v32, v17
.LBB399_1905:                           ;   in Loop: Header=BB399_11 Depth=1
	s_or_b32 exec_lo, exec_lo, s23
.LBB399_1906:                           ;   in Loop: Header=BB399_11 Depth=1
	s_or_b32 exec_lo, exec_lo, s17
.LBB399_1907:                           ;   in Loop: Header=BB399_11 Depth=1
	s_or_b32 exec_lo, exec_lo, s6
	v_cmp_ne_u16_sdwa s5, v8, v9 src0_sel:BYTE_1 src1_sel:DWORD
	v_mov_b32_e32 v17, 0
	v_mov_b32_e32 v20, 0
	s_and_saveexec_b32 s6, s5
	s_cbranch_execz .LBB399_1915
; %bb.1908:                             ;   in Loop: Header=BB399_11 Depth=1
	v_cmp_ne_u16_sdwa s5, v8, v41 src0_sel:BYTE_1 src1_sel:DWORD
	v_bfrev_b32_e32 v20, 1
	s_and_saveexec_b32 s17, s5
	s_cbranch_execz .LBB399_1914
; %bb.1909:                             ;   in Loop: Header=BB399_11 Depth=1
	v_mov_b32_e32 v20, 0xffff
	s_mov_b32 s23, exec_lo
	v_and_b32_sdwa v32, v20, v8 dst_sel:DWORD dst_unused:UNUSED_PAD src0_sel:DWORD src1_sel:BYTE_1
	v_mov_b32_e32 v20, 0x7f800001
	v_and_b32_e32 v51, 0x7f, v32
	v_cmpx_ne_u32_e32 0x7f, v51
	s_cbranch_execz .LBB399_1913
; %bb.1910:                             ;   in Loop: Header=BB399_11 Depth=1
	v_and_b32_e32 v32, 7, v32
	v_mov_b32_e32 v33, v9
	v_lshrrev_b32_e32 v20, 3, v51
	s_mov_b32 s24, exec_lo
	v_cmpx_gt_u32_e32 8, v51
; %bb.1911:                             ;   in Loop: Header=BB399_11 Depth=1
	v_ffbh_u32_e32 v20, v32
	v_min_u32_e32 v20, 32, v20
	v_subrev_nc_u32_e32 v51, 28, v20
	v_sub_nc_u32_e32 v20, 29, v20
	v_lshlrev_b64 v[32:33], v51, v[32:33]
	v_and_b32_e32 v32, 7, v32
; %bb.1912:                             ;   in Loop: Header=BB399_11 Depth=1
	s_or_b32 exec_lo, exec_lo, s24
	v_lshlrev_b32_e32 v8, 16, v8
	v_lshlrev_b32_e32 v32, 20, v32
	v_lshl_add_u32 v20, v20, 23, 0x3c000000
	v_and_b32_e32 v8, 0x80000000, v8
	v_or3_b32 v20, v32, v8, v20
.LBB399_1913:                           ;   in Loop: Header=BB399_11 Depth=1
	s_or_b32 exec_lo, exec_lo, s23
.LBB399_1914:                           ;   in Loop: Header=BB399_11 Depth=1
	s_or_b32 exec_lo, exec_lo, s17
.LBB399_1915:                           ;   in Loop: Header=BB399_11 Depth=1
	s_or_b32 exec_lo, exec_lo, s6
	v_mov_b32_e32 v8, 0xff
	s_mov_b32 s6, exec_lo
	v_and_b32_sdwa v8, v31, v8 dst_sel:DWORD dst_unused:UNUSED_PAD src0_sel:WORD_1 src1_sel:DWORD
	v_cmpx_ne_u16_e32 0, v8
	s_cbranch_execz .LBB399_1923
; %bb.1916:                             ;   in Loop: Header=BB399_11 Depth=1
	v_bfrev_b32_e32 v17, 1
	s_mov_b32 s17, exec_lo
	v_cmpx_ne_u16_e32 0x80, v8
	s_cbranch_execz .LBB399_1922
; %bb.1917:                             ;   in Loop: Header=BB399_11 Depth=1
	v_bfe_u32 v51, v31, 16, 7
	v_mov_b32_e32 v17, 0x7f800001
	s_mov_b32 s23, exec_lo
	v_cmpx_ne_u32_e32 0x7f, v51
	s_cbranch_execz .LBB399_1921
; %bb.1918:                             ;   in Loop: Header=BB399_11 Depth=1
	v_mov_b32_e32 v8, 7
	v_lshrrev_b32_e32 v17, 3, v51
	s_mov_b32 s24, exec_lo
	v_and_b32_sdwa v8, v31, v8 dst_sel:DWORD dst_unused:UNUSED_PAD src0_sel:WORD_1 src1_sel:DWORD
	v_mov_b32_e32 v33, v9
	v_mov_b32_e32 v32, v8
	v_cmpx_gt_u32_e32 8, v51
; %bb.1919:                             ;   in Loop: Header=BB399_11 Depth=1
	v_ffbh_u32_e32 v17, v8
	v_min_u32_e32 v17, 32, v17
	v_subrev_nc_u32_e32 v32, 28, v17
	v_sub_nc_u32_e32 v17, 29, v17
	v_lshlrev_b64 v[32:33], v32, v[8:9]
	v_and_b32_e32 v32, 7, v32
; %bb.1920:                             ;   in Loop: Header=BB399_11 Depth=1
	s_or_b32 exec_lo, exec_lo, s24
	v_mov_b32_e32 v8, 24
	v_lshlrev_b32_e32 v32, 20, v32
	v_lshl_add_u32 v17, v17, 23, 0x3c000000
	v_lshlrev_b32_sdwa v8, v8, v31 dst_sel:DWORD dst_unused:UNUSED_PAD src0_sel:DWORD src1_sel:WORD_1
	v_and_b32_e32 v8, 0x80000000, v8
	v_or3_b32 v17, v32, v8, v17
.LBB399_1921:                           ;   in Loop: Header=BB399_11 Depth=1
	s_or_b32 exec_lo, exec_lo, s23
.LBB399_1922:                           ;   in Loop: Header=BB399_11 Depth=1
	s_or_b32 exec_lo, exec_lo, s17
.LBB399_1923:                           ;   in Loop: Header=BB399_11 Depth=1
	s_or_b32 exec_lo, exec_lo, s6
	v_mov_b32_e32 v46, 0
	v_mov_b32_e32 v103, 0
	s_mov_b32 s6, exec_lo
	v_cmpx_lt_u64_e64 s[8:9], v[30:31]
	s_cbranch_execz .LBB399_1931
; %bb.1924:                             ;   in Loop: Header=BB399_11 Depth=1
	v_cmp_ne_u32_sdwa s5, v31, v41 src0_sel:BYTE_3 src1_sel:DWORD
	v_bfrev_b32_e32 v103, 1
	s_and_saveexec_b32 s17, s5
	s_cbranch_execz .LBB399_1930
; %bb.1925:                             ;   in Loop: Header=BB399_11 Depth=1
	v_bfe_u32 v51, v31, 24, 7
	v_mov_b32_e32 v103, 0x7f800001
	s_mov_b32 s23, exec_lo
	v_cmpx_ne_u32_e32 0x7f, v51
	s_cbranch_execz .LBB399_1929
; %bb.1926:                             ;   in Loop: Header=BB399_11 Depth=1
	v_mov_b32_e32 v8, 7
	v_lshrrev_b32_e32 v30, 3, v51
	s_mov_b32 s24, exec_lo
	v_and_b32_sdwa v8, v31, v8 dst_sel:DWORD dst_unused:UNUSED_PAD src0_sel:BYTE_3 src1_sel:DWORD
	v_mov_b32_e32 v33, v9
	v_mov_b32_e32 v32, v8
	v_cmpx_gt_u32_e32 8, v51
; %bb.1927:                             ;   in Loop: Header=BB399_11 Depth=1
	v_ffbh_u32_e32 v30, v8
	v_min_u32_e32 v30, 32, v30
	v_subrev_nc_u32_e32 v32, 28, v30
	v_sub_nc_u32_e32 v30, 29, v30
	v_lshlrev_b64 v[32:33], v32, v[8:9]
	v_and_b32_e32 v32, 7, v32
; %bb.1928:                             ;   in Loop: Header=BB399_11 Depth=1
	s_or_b32 exec_lo, exec_lo, s24
	v_mov_b32_e32 v8, 24
	v_lshl_add_u32 v30, v30, 23, 0x3c000000
	v_lshlrev_b32_sdwa v8, v8, v31 dst_sel:DWORD dst_unused:UNUSED_PAD src0_sel:DWORD src1_sel:BYTE_3
	v_lshlrev_b32_e32 v31, 20, v32
	v_and_b32_e32 v8, 0x80000000, v8
	v_or3_b32 v103, v31, v8, v30
.LBB399_1929:                           ;   in Loop: Header=BB399_11 Depth=1
	s_or_b32 exec_lo, exec_lo, s23
.LBB399_1930:                           ;   in Loop: Header=BB399_11 Depth=1
	s_or_b32 exec_lo, exec_lo, s17
.LBB399_1931:                           ;   in Loop: Header=BB399_11 Depth=1
	s_or_b32 exec_lo, exec_lo, s6
	flat_load_dwordx2 v[30:31], v[28:29] offset:1536
	s_waitcnt vmcnt(0) lgkmcnt(0)
	v_cmp_ne_u16_sdwa s5, v30, v9 src0_sel:BYTE_0 src1_sel:DWORD
	s_and_saveexec_b32 s6, s5
	s_cbranch_execz .LBB399_1939
; %bb.1932:                             ;   in Loop: Header=BB399_11 Depth=1
	v_cmp_ne_u16_sdwa s5, v30, v41 src0_sel:BYTE_0 src1_sel:DWORD
	v_bfrev_b32_e32 v46, 1
	s_and_saveexec_b32 s17, s5
	s_cbranch_execz .LBB399_1938
; %bb.1933:                             ;   in Loop: Header=BB399_11 Depth=1
	v_and_b32_e32 v32, 0x7f, v30
	v_mov_b32_e32 v46, 0x7f800001
	s_mov_b32 s23, exec_lo
	v_cmpx_ne_u32_e32 0x7f, v32
	s_cbranch_execz .LBB399_1937
; %bb.1934:                             ;   in Loop: Header=BB399_11 Depth=1
	v_lshrrev_b32_e32 v8, 3, v32
	v_cmp_gt_u32_e64 s5, 8, v32
	v_mov_b32_e32 v33, v31
	v_mov_b32_e32 v32, v30
	s_and_saveexec_b32 s24, s5
; %bb.1935:                             ;   in Loop: Header=BB399_11 Depth=1
	v_and_b32_e32 v8, 7, v30
	v_ffbh_u32_e32 v8, v8
	v_min_u32_e32 v8, 32, v8
	v_subrev_nc_u32_e32 v32, 28, v8
	v_sub_nc_u32_e32 v8, 29, v8
	v_lshlrev_b64 v[32:33], v32, v[30:31]
; %bb.1936:                             ;   in Loop: Header=BB399_11 Depth=1
	s_or_b32 exec_lo, exec_lo, s24
	v_lshlrev_b32_e32 v32, 20, v32
	v_lshlrev_b32_e32 v33, 24, v30
	v_lshl_add_u32 v8, v8, 23, 0x3c000000
	v_and_b32_e32 v32, 0x700000, v32
	v_and_b32_e32 v33, 0x80000000, v33
	v_or3_b32 v46, v32, v33, v8
.LBB399_1937:                           ;   in Loop: Header=BB399_11 Depth=1
	s_or_b32 exec_lo, exec_lo, s23
.LBB399_1938:                           ;   in Loop: Header=BB399_11 Depth=1
	s_or_b32 exec_lo, exec_lo, s17
.LBB399_1939:                           ;   in Loop: Header=BB399_11 Depth=1
	s_or_b32 exec_lo, exec_lo, s6
	v_cmp_ne_u16_sdwa s5, v30, v9 src0_sel:BYTE_1 src1_sel:DWORD
	v_mov_b32_e32 v61, 0
	v_mov_b32_e32 v59, 0
	s_and_saveexec_b32 s6, s5
	s_cbranch_execz .LBB399_1947
; %bb.1940:                             ;   in Loop: Header=BB399_11 Depth=1
	v_cmp_ne_u16_sdwa s5, v30, v41 src0_sel:BYTE_1 src1_sel:DWORD
	v_bfrev_b32_e32 v59, 1
	s_and_saveexec_b32 s17, s5
	s_cbranch_execz .LBB399_1946
; %bb.1941:                             ;   in Loop: Header=BB399_11 Depth=1
	v_mov_b32_e32 v8, 0xffff
	v_mov_b32_e32 v59, 0x7f800001
	s_mov_b32 s23, exec_lo
	v_and_b32_sdwa v8, v8, v30 dst_sel:DWORD dst_unused:UNUSED_PAD src0_sel:DWORD src1_sel:BYTE_1
	v_and_b32_e32 v51, 0x7f, v8
	v_cmpx_ne_u32_e32 0x7f, v51
	s_cbranch_execz .LBB399_1945
; %bb.1942:                             ;   in Loop: Header=BB399_11 Depth=1
	v_and_b32_e32 v8, 7, v8
	v_mov_b32_e32 v33, v9
	v_lshrrev_b32_e32 v33, 3, v51
	s_mov_b32 s24, exec_lo
	v_mov_b32_e32 v32, v8
	v_cmpx_gt_u32_e32 8, v51
; %bb.1943:                             ;   in Loop: Header=BB399_11 Depth=1
	v_ffbh_u32_e32 v32, v8
	v_min_u32_e32 v51, 32, v32
	v_subrev_nc_u32_e32 v32, 28, v51
	v_lshlrev_b64 v[32:33], v32, v[8:9]
	v_sub_nc_u32_e32 v33, 29, v51
	v_and_b32_e32 v32, 7, v32
; %bb.1944:                             ;   in Loop: Header=BB399_11 Depth=1
	s_or_b32 exec_lo, exec_lo, s24
	v_lshlrev_b32_e32 v8, 16, v30
	v_lshlrev_b32_e32 v32, 20, v32
	v_lshl_add_u32 v33, v33, 23, 0x3c000000
	v_and_b32_e32 v8, 0x80000000, v8
	v_or3_b32 v59, v32, v8, v33
.LBB399_1945:                           ;   in Loop: Header=BB399_11 Depth=1
	s_or_b32 exec_lo, exec_lo, s23
.LBB399_1946:                           ;   in Loop: Header=BB399_11 Depth=1
	s_or_b32 exec_lo, exec_lo, s17
.LBB399_1947:                           ;   in Loop: Header=BB399_11 Depth=1
	s_or_b32 exec_lo, exec_lo, s6
	v_mov_b32_e32 v8, 0xff
	s_mov_b32 s6, exec_lo
	v_and_b32_sdwa v8, v30, v8 dst_sel:DWORD dst_unused:UNUSED_PAD src0_sel:WORD_1 src1_sel:DWORD
	v_cmpx_ne_u16_e32 0, v8
	s_cbranch_execz .LBB399_1955
; %bb.1948:                             ;   in Loop: Header=BB399_11 Depth=1
	v_bfrev_b32_e32 v61, 1
	s_mov_b32 s17, exec_lo
	v_cmpx_ne_u16_e32 0x80, v8
	s_cbranch_execz .LBB399_1954
; %bb.1949:                             ;   in Loop: Header=BB399_11 Depth=1
	v_bfe_u32 v51, v30, 16, 7
	v_mov_b32_e32 v61, 0x7f800001
	s_mov_b32 s23, exec_lo
	v_cmpx_ne_u32_e32 0x7f, v51
	s_cbranch_execz .LBB399_1953
; %bb.1950:                             ;   in Loop: Header=BB399_11 Depth=1
	v_mov_b32_e32 v8, 7
	s_mov_b32 s24, exec_lo
	v_and_b32_sdwa v8, v30, v8 dst_sel:DWORD dst_unused:UNUSED_PAD src0_sel:WORD_1 src1_sel:DWORD
	v_mov_b32_e32 v33, v9
	v_lshrrev_b32_e32 v33, 3, v51
	v_mov_b32_e32 v32, v8
	v_cmpx_gt_u32_e32 8, v51
; %bb.1951:                             ;   in Loop: Header=BB399_11 Depth=1
	v_ffbh_u32_e32 v32, v8
	v_min_u32_e32 v51, 32, v32
	v_subrev_nc_u32_e32 v32, 28, v51
	v_lshlrev_b64 v[32:33], v32, v[8:9]
	v_sub_nc_u32_e32 v33, 29, v51
	v_and_b32_e32 v32, 7, v32
; %bb.1952:                             ;   in Loop: Header=BB399_11 Depth=1
	s_or_b32 exec_lo, exec_lo, s24
	v_mov_b32_e32 v8, 24
	v_lshlrev_b32_e32 v32, 20, v32
	v_lshl_add_u32 v33, v33, 23, 0x3c000000
	v_lshlrev_b32_sdwa v8, v8, v30 dst_sel:DWORD dst_unused:UNUSED_PAD src0_sel:DWORD src1_sel:WORD_1
	v_and_b32_e32 v8, 0x80000000, v8
	v_or3_b32 v61, v32, v8, v33
.LBB399_1953:                           ;   in Loop: Header=BB399_11 Depth=1
	s_or_b32 exec_lo, exec_lo, s23
.LBB399_1954:                           ;   in Loop: Header=BB399_11 Depth=1
	s_or_b32 exec_lo, exec_lo, s17
.LBB399_1955:                           ;   in Loop: Header=BB399_11 Depth=1
	s_or_b32 exec_lo, exec_lo, s6
	v_mov_b32_e32 v73, 0
	v_mov_b32_e32 v74, 0
	s_mov_b32 s6, exec_lo
	v_cmpx_lt_u32_e32 0xffffff, v30
	s_cbranch_execz .LBB399_1963
; %bb.1956:                             ;   in Loop: Header=BB399_11 Depth=1
	v_cmp_ne_u32_sdwa s5, v30, v41 src0_sel:BYTE_3 src1_sel:DWORD
	v_bfrev_b32_e32 v74, 1
	s_and_saveexec_b32 s17, s5
	s_cbranch_execz .LBB399_1962
; %bb.1957:                             ;   in Loop: Header=BB399_11 Depth=1
	v_bfe_u32 v51, v30, 24, 7
	v_mov_b32_e32 v74, 0x7f800001
	s_mov_b32 s23, exec_lo
	v_cmpx_ne_u32_e32 0x7f, v51
	s_cbranch_execz .LBB399_1961
; %bb.1958:                             ;   in Loop: Header=BB399_11 Depth=1
	v_mov_b32_e32 v8, 7
	s_mov_b32 s24, exec_lo
	v_and_b32_sdwa v8, v30, v8 dst_sel:DWORD dst_unused:UNUSED_PAD src0_sel:BYTE_3 src1_sel:DWORD
	v_mov_b32_e32 v33, v9
	v_lshrrev_b32_e32 v33, 3, v51
	v_mov_b32_e32 v32, v8
	v_cmpx_gt_u32_e32 8, v51
; %bb.1959:                             ;   in Loop: Header=BB399_11 Depth=1
	v_ffbh_u32_e32 v32, v8
	v_min_u32_e32 v51, 32, v32
	v_subrev_nc_u32_e32 v32, 28, v51
	v_lshlrev_b64 v[32:33], v32, v[8:9]
	v_sub_nc_u32_e32 v33, 29, v51
	v_and_b32_e32 v32, 7, v32
; %bb.1960:                             ;   in Loop: Header=BB399_11 Depth=1
	s_or_b32 exec_lo, exec_lo, s24
	v_mov_b32_e32 v8, 24
	v_lshlrev_b32_e32 v32, 20, v32
	v_lshl_add_u32 v33, v33, 23, 0x3c000000
	v_lshlrev_b32_sdwa v8, v8, v30 dst_sel:DWORD dst_unused:UNUSED_PAD src0_sel:DWORD src1_sel:BYTE_3
	v_and_b32_e32 v8, 0x80000000, v8
	v_or3_b32 v74, v32, v8, v33
.LBB399_1961:                           ;   in Loop: Header=BB399_11 Depth=1
	s_or_b32 exec_lo, exec_lo, s23
.LBB399_1962:                           ;   in Loop: Header=BB399_11 Depth=1
	s_or_b32 exec_lo, exec_lo, s17
.LBB399_1963:                           ;   in Loop: Header=BB399_11 Depth=1
	s_or_b32 exec_lo, exec_lo, s6
	v_mov_b32_e32 v8, v31
	v_cmp_ne_u16_sdwa s5, v31, v9 src0_sel:BYTE_0 src1_sel:DWORD
	s_and_saveexec_b32 s6, s5
	s_cbranch_execz .LBB399_1971
; %bb.1964:                             ;   in Loop: Header=BB399_11 Depth=1
	v_cmp_ne_u16_sdwa s5, v31, v41 src0_sel:BYTE_0 src1_sel:DWORD
	v_bfrev_b32_e32 v73, 1
	s_and_saveexec_b32 s17, s5
	s_cbranch_execz .LBB399_1970
; %bb.1965:                             ;   in Loop: Header=BB399_11 Depth=1
	v_and_b32_e32 v51, 0x7f, v31
	v_mov_b32_e32 v73, 0x7f800001
	s_mov_b32 s23, exec_lo
	v_cmpx_ne_u32_e32 0x7f, v51
	s_cbranch_execz .LBB399_1969
; %bb.1966:                             ;   in Loop: Header=BB399_11 Depth=1
	v_mov_b32_e32 v33, v9
	v_mov_b32_e32 v32, v8
	v_lshrrev_b32_e32 v33, 3, v51
	s_mov_b32 s24, exec_lo
	v_cmpx_gt_u32_e32 8, v51
; %bb.1967:                             ;   in Loop: Header=BB399_11 Depth=1
	v_and_b32_e32 v32, 7, v31
	v_ffbh_u32_e32 v32, v32
	v_min_u32_e32 v51, 32, v32
	v_subrev_nc_u32_e32 v32, 28, v51
	v_lshlrev_b64 v[32:33], v32, v[8:9]
	v_sub_nc_u32_e32 v33, 29, v51
; %bb.1968:                             ;   in Loop: Header=BB399_11 Depth=1
	s_or_b32 exec_lo, exec_lo, s24
	v_lshlrev_b32_e32 v32, 20, v32
	v_lshlrev_b32_e32 v51, 24, v8
	v_lshl_add_u32 v33, v33, 23, 0x3c000000
	v_and_b32_e32 v32, 0x700000, v32
	v_and_b32_e32 v51, 0x80000000, v51
	v_or3_b32 v73, v32, v51, v33
.LBB399_1969:                           ;   in Loop: Header=BB399_11 Depth=1
	s_or_b32 exec_lo, exec_lo, s23
.LBB399_1970:                           ;   in Loop: Header=BB399_11 Depth=1
	s_or_b32 exec_lo, exec_lo, s17
.LBB399_1971:                           ;   in Loop: Header=BB399_11 Depth=1
	s_or_b32 exec_lo, exec_lo, s6
	v_cmp_ne_u16_sdwa s5, v8, v9 src0_sel:BYTE_1 src1_sel:DWORD
	v_mov_b32_e32 v77, 0
	v_mov_b32_e32 v88, 0
	s_and_saveexec_b32 s6, s5
	s_cbranch_execz .LBB399_1979
; %bb.1972:                             ;   in Loop: Header=BB399_11 Depth=1
	v_cmp_ne_u16_sdwa s5, v8, v41 src0_sel:BYTE_1 src1_sel:DWORD
	v_bfrev_b32_e32 v88, 1
	s_and_saveexec_b32 s17, s5
	s_cbranch_execz .LBB399_1978
; %bb.1973:                             ;   in Loop: Header=BB399_11 Depth=1
	v_mov_b32_e32 v32, 0xffff
	v_mov_b32_e32 v88, 0x7f800001
	s_mov_b32 s23, exec_lo
	v_and_b32_sdwa v32, v32, v8 dst_sel:DWORD dst_unused:UNUSED_PAD src0_sel:DWORD src1_sel:BYTE_1
	v_and_b32_e32 v116, 0x7f, v32
	v_cmpx_ne_u32_e32 0x7f, v116
	s_cbranch_execz .LBB399_1977
; %bb.1974:                             ;   in Loop: Header=BB399_11 Depth=1
	v_and_b32_e32 v32, 7, v32
	v_mov_b32_e32 v33, v9
	v_lshrrev_b32_e32 v51, 3, v116
	s_mov_b32 s24, exec_lo
	v_cmpx_gt_u32_e32 8, v116
; %bb.1975:                             ;   in Loop: Header=BB399_11 Depth=1
	v_ffbh_u32_e32 v51, v32
	v_min_u32_e32 v51, 32, v51
	v_subrev_nc_u32_e32 v116, 28, v51
	v_sub_nc_u32_e32 v51, 29, v51
	v_lshlrev_b64 v[32:33], v116, v[32:33]
	v_and_b32_e32 v32, 7, v32
; %bb.1976:                             ;   in Loop: Header=BB399_11 Depth=1
	s_or_b32 exec_lo, exec_lo, s24
	v_lshlrev_b32_e32 v8, 16, v8
	v_lshlrev_b32_e32 v32, 20, v32
	v_lshl_add_u32 v33, v51, 23, 0x3c000000
	v_and_b32_e32 v8, 0x80000000, v8
	v_or3_b32 v88, v32, v8, v33
.LBB399_1977:                           ;   in Loop: Header=BB399_11 Depth=1
	s_or_b32 exec_lo, exec_lo, s23
.LBB399_1978:                           ;   in Loop: Header=BB399_11 Depth=1
	s_or_b32 exec_lo, exec_lo, s17
.LBB399_1979:                           ;   in Loop: Header=BB399_11 Depth=1
	s_or_b32 exec_lo, exec_lo, s6
	v_mov_b32_e32 v8, 0xff
	s_mov_b32 s6, exec_lo
	v_and_b32_sdwa v8, v31, v8 dst_sel:DWORD dst_unused:UNUSED_PAD src0_sel:WORD_1 src1_sel:DWORD
	v_cmpx_ne_u16_e32 0, v8
	s_cbranch_execz .LBB399_1987
; %bb.1980:                             ;   in Loop: Header=BB399_11 Depth=1
	v_bfrev_b32_e32 v77, 1
	s_mov_b32 s17, exec_lo
	v_cmpx_ne_u16_e32 0x80, v8
	s_cbranch_execz .LBB399_1986
; %bb.1981:                             ;   in Loop: Header=BB399_11 Depth=1
	v_bfe_u32 v51, v31, 16, 7
	v_mov_b32_e32 v77, 0x7f800001
	s_mov_b32 s23, exec_lo
	v_cmpx_ne_u32_e32 0x7f, v51
	s_cbranch_execz .LBB399_1985
; %bb.1982:                             ;   in Loop: Header=BB399_11 Depth=1
	v_mov_b32_e32 v8, 7
	s_mov_b32 s24, exec_lo
	v_and_b32_sdwa v8, v31, v8 dst_sel:DWORD dst_unused:UNUSED_PAD src0_sel:WORD_1 src1_sel:DWORD
	v_mov_b32_e32 v33, v9
	v_lshrrev_b32_e32 v33, 3, v51
	v_mov_b32_e32 v32, v8
	v_cmpx_gt_u32_e32 8, v51
; %bb.1983:                             ;   in Loop: Header=BB399_11 Depth=1
	v_ffbh_u32_e32 v32, v8
	v_min_u32_e32 v51, 32, v32
	v_subrev_nc_u32_e32 v32, 28, v51
	v_lshlrev_b64 v[32:33], v32, v[8:9]
	v_sub_nc_u32_e32 v33, 29, v51
	v_and_b32_e32 v32, 7, v32
; %bb.1984:                             ;   in Loop: Header=BB399_11 Depth=1
	s_or_b32 exec_lo, exec_lo, s24
	v_mov_b32_e32 v8, 24
	v_lshlrev_b32_e32 v32, 20, v32
	v_lshl_add_u32 v33, v33, 23, 0x3c000000
	v_lshlrev_b32_sdwa v8, v8, v31 dst_sel:DWORD dst_unused:UNUSED_PAD src0_sel:DWORD src1_sel:WORD_1
	v_and_b32_e32 v8, 0x80000000, v8
	v_or3_b32 v77, v32, v8, v33
.LBB399_1985:                           ;   in Loop: Header=BB399_11 Depth=1
	s_or_b32 exec_lo, exec_lo, s23
.LBB399_1986:                           ;   in Loop: Header=BB399_11 Depth=1
	s_or_b32 exec_lo, exec_lo, s17
.LBB399_1987:                           ;   in Loop: Header=BB399_11 Depth=1
	s_or_b32 exec_lo, exec_lo, s6
	v_mov_b32_e32 v51, 0
	v_mov_b32_e32 v33, 0
	s_mov_b32 s6, exec_lo
	v_cmpx_lt_u64_e64 s[8:9], v[30:31]
	s_cbranch_execz .LBB399_1995
; %bb.1988:                             ;   in Loop: Header=BB399_11 Depth=1
	v_cmp_ne_u32_sdwa s5, v31, v41 src0_sel:BYTE_3 src1_sel:DWORD
	v_bfrev_b32_e32 v33, 1
	s_and_saveexec_b32 s17, s5
	s_cbranch_execz .LBB399_1994
; %bb.1989:                             ;   in Loop: Header=BB399_11 Depth=1
	v_bfe_u32 v116, v31, 24, 7
	v_mov_b32_e32 v33, 0x7f800001
	s_mov_b32 s23, exec_lo
	v_cmpx_ne_u32_e32 0x7f, v116
	s_cbranch_execz .LBB399_1993
; %bb.1990:                             ;   in Loop: Header=BB399_11 Depth=1
	v_mov_b32_e32 v8, 7
	v_lshrrev_b32_e32 v30, 3, v116
	s_mov_b32 s24, exec_lo
	v_and_b32_sdwa v8, v31, v8 dst_sel:DWORD dst_unused:UNUSED_PAD src0_sel:BYTE_3 src1_sel:DWORD
	v_mov_b32_e32 v33, v9
	v_mov_b32_e32 v32, v8
	v_cmpx_gt_u32_e32 8, v116
; %bb.1991:                             ;   in Loop: Header=BB399_11 Depth=1
	v_ffbh_u32_e32 v30, v8
	v_min_u32_e32 v30, 32, v30
	v_subrev_nc_u32_e32 v32, 28, v30
	v_sub_nc_u32_e32 v30, 29, v30
	v_lshlrev_b64 v[32:33], v32, v[8:9]
	v_and_b32_e32 v32, 7, v32
; %bb.1992:                             ;   in Loop: Header=BB399_11 Depth=1
	s_or_b32 exec_lo, exec_lo, s24
	v_mov_b32_e32 v8, 24
	v_lshl_add_u32 v30, v30, 23, 0x3c000000
	v_lshlrev_b32_sdwa v8, v8, v31 dst_sel:DWORD dst_unused:UNUSED_PAD src0_sel:DWORD src1_sel:BYTE_3
	v_lshlrev_b32_e32 v31, 20, v32
	v_and_b32_e32 v8, 0x80000000, v8
	v_or3_b32 v33, v31, v8, v30
.LBB399_1993:                           ;   in Loop: Header=BB399_11 Depth=1
	s_or_b32 exec_lo, exec_lo, s23
.LBB399_1994:                           ;   in Loop: Header=BB399_11 Depth=1
	s_or_b32 exec_lo, exec_lo, s17
.LBB399_1995:                           ;   in Loop: Header=BB399_11 Depth=1
	s_or_b32 exec_lo, exec_lo, s6
	flat_load_dwordx2 v[28:29], v[28:29] offset:1544
	s_waitcnt vmcnt(0) lgkmcnt(0)
	v_cmp_ne_u16_sdwa s5, v28, v9 src0_sel:BYTE_0 src1_sel:DWORD
	s_and_saveexec_b32 s6, s5
	s_cbranch_execz .LBB399_2003
; %bb.1996:                             ;   in Loop: Header=BB399_11 Depth=1
	v_cmp_ne_u16_sdwa s5, v28, v41 src0_sel:BYTE_0 src1_sel:DWORD
	v_bfrev_b32_e32 v51, 1
	s_and_saveexec_b32 s17, s5
	s_cbranch_execz .LBB399_2002
; %bb.1997:                             ;   in Loop: Header=BB399_11 Depth=1
	v_and_b32_e32 v30, 0x7f, v28
	v_mov_b32_e32 v51, 0x7f800001
	s_mov_b32 s23, exec_lo
	v_cmpx_ne_u32_e32 0x7f, v30
	s_cbranch_execz .LBB399_2001
; %bb.1998:                             ;   in Loop: Header=BB399_11 Depth=1
	v_lshrrev_b32_e32 v8, 3, v30
	v_cmp_gt_u32_e64 s5, 8, v30
	v_mov_b32_e32 v31, v29
	v_mov_b32_e32 v30, v28
	s_and_saveexec_b32 s24, s5
; %bb.1999:                             ;   in Loop: Header=BB399_11 Depth=1
	v_and_b32_e32 v8, 7, v28
	v_ffbh_u32_e32 v8, v8
	v_min_u32_e32 v8, 32, v8
	v_subrev_nc_u32_e32 v30, 28, v8
	v_sub_nc_u32_e32 v8, 29, v8
	v_lshlrev_b64 v[30:31], v30, v[28:29]
; %bb.2000:                             ;   in Loop: Header=BB399_11 Depth=1
	s_or_b32 exec_lo, exec_lo, s24
	v_lshlrev_b32_e32 v30, 20, v30
	v_lshlrev_b32_e32 v31, 24, v28
	v_lshl_add_u32 v8, v8, 23, 0x3c000000
	v_and_b32_e32 v30, 0x700000, v30
	v_and_b32_e32 v31, 0x80000000, v31
	v_or3_b32 v51, v30, v31, v8
.LBB399_2001:                           ;   in Loop: Header=BB399_11 Depth=1
	s_or_b32 exec_lo, exec_lo, s23
.LBB399_2002:                           ;   in Loop: Header=BB399_11 Depth=1
	s_or_b32 exec_lo, exec_lo, s17
.LBB399_2003:                           ;   in Loop: Header=BB399_11 Depth=1
	s_or_b32 exec_lo, exec_lo, s6
	v_mov_b32_e32 v8, 0
	v_cmp_ne_u16_sdwa s5, v28, v9 src0_sel:BYTE_1 src1_sel:DWORD
	buffer_store_dword v8, off, s[0:3], s32 offset:752 ; 4-byte Folded Spill
	v_mov_b32_e32 v8, 0
	buffer_store_dword v8, off, s[0:3], s32 offset:748 ; 4-byte Folded Spill
	s_and_saveexec_b32 s6, s5
	s_cbranch_execz .LBB399_2011
; %bb.2004:                             ;   in Loop: Header=BB399_11 Depth=1
	v_cmp_ne_u16_sdwa s5, v28, v41 src0_sel:BYTE_1 src1_sel:DWORD
	v_bfrev_b32_e32 v8, 1
	buffer_store_dword v8, off, s[0:3], s32 offset:748 ; 4-byte Folded Spill
	s_and_saveexec_b32 s17, s5
	s_cbranch_execz .LBB399_2010
; %bb.2005:                             ;   in Loop: Header=BB399_11 Depth=1
	v_mov_b32_e32 v8, 0xffff
	v_mov_b32_e32 v16, 0x7f800001
	s_mov_b32 s23, exec_lo
	v_and_b32_sdwa v8, v8, v28 dst_sel:DWORD dst_unused:UNUSED_PAD src0_sel:DWORD src1_sel:BYTE_1
	buffer_store_dword v16, off, s[0:3], s32 offset:748 ; 4-byte Folded Spill
	v_and_b32_e32 v32, 0x7f, v8
	v_cmpx_ne_u32_e32 0x7f, v32
	s_cbranch_execz .LBB399_2009
; %bb.2006:                             ;   in Loop: Header=BB399_11 Depth=1
	v_and_b32_e32 v8, 7, v8
	v_mov_b32_e32 v31, v9
	v_lshrrev_b32_e32 v31, 3, v32
	s_mov_b32 s24, exec_lo
	v_mov_b32_e32 v30, v8
	v_cmpx_gt_u32_e32 8, v32
; %bb.2007:                             ;   in Loop: Header=BB399_11 Depth=1
	v_ffbh_u32_e32 v30, v8
	v_min_u32_e32 v32, 32, v30
	v_subrev_nc_u32_e32 v30, 28, v32
	v_lshlrev_b64 v[30:31], v30, v[8:9]
	v_sub_nc_u32_e32 v31, 29, v32
	v_and_b32_e32 v30, 7, v30
; %bb.2008:                             ;   in Loop: Header=BB399_11 Depth=1
	s_or_b32 exec_lo, exec_lo, s24
	v_lshlrev_b32_e32 v8, 16, v28
	v_lshlrev_b32_e32 v30, 20, v30
	v_lshl_add_u32 v31, v31, 23, 0x3c000000
	v_and_b32_e32 v8, 0x80000000, v8
	v_or3_b32 v8, v30, v8, v31
	buffer_store_dword v8, off, s[0:3], s32 offset:748 ; 4-byte Folded Spill
.LBB399_2009:                           ;   in Loop: Header=BB399_11 Depth=1
	s_or_b32 exec_lo, exec_lo, s23
.LBB399_2010:                           ;   in Loop: Header=BB399_11 Depth=1
	s_or_b32 exec_lo, exec_lo, s17
.LBB399_2011:                           ;   in Loop: Header=BB399_11 Depth=1
	s_or_b32 exec_lo, exec_lo, s6
	v_mov_b32_e32 v8, 0xff
	s_mov_b32 s6, exec_lo
	v_and_b32_sdwa v8, v28, v8 dst_sel:DWORD dst_unused:UNUSED_PAD src0_sel:WORD_1 src1_sel:DWORD
	v_cmpx_ne_u16_e32 0, v8
	s_cbranch_execz .LBB399_2019
; %bb.2012:                             ;   in Loop: Header=BB399_11 Depth=1
	v_cmp_ne_u16_e64 s5, 0x80, v8
	v_bfrev_b32_e32 v8, 1
	buffer_store_dword v8, off, s[0:3], s32 offset:752 ; 4-byte Folded Spill
	s_and_saveexec_b32 s17, s5
	s_cbranch_execz .LBB399_2018
; %bb.2013:                             ;   in Loop: Header=BB399_11 Depth=1
	v_bfe_u32 v32, v28, 16, 7
	v_mov_b32_e32 v8, 0x7f800001
	s_mov_b32 s23, exec_lo
	buffer_store_dword v8, off, s[0:3], s32 offset:752 ; 4-byte Folded Spill
	v_cmpx_ne_u32_e32 0x7f, v32
	s_cbranch_execz .LBB399_2017
; %bb.2014:                             ;   in Loop: Header=BB399_11 Depth=1
	v_mov_b32_e32 v8, 7
	s_mov_b32 s24, exec_lo
	v_and_b32_sdwa v8, v28, v8 dst_sel:DWORD dst_unused:UNUSED_PAD src0_sel:WORD_1 src1_sel:DWORD
	v_mov_b32_e32 v31, v9
	v_lshrrev_b32_e32 v31, 3, v32
	v_mov_b32_e32 v30, v8
	v_cmpx_gt_u32_e32 8, v32
; %bb.2015:                             ;   in Loop: Header=BB399_11 Depth=1
	v_ffbh_u32_e32 v30, v8
	v_min_u32_e32 v32, 32, v30
	v_subrev_nc_u32_e32 v30, 28, v32
	v_lshlrev_b64 v[30:31], v30, v[8:9]
	v_sub_nc_u32_e32 v31, 29, v32
	v_and_b32_e32 v30, 7, v30
; %bb.2016:                             ;   in Loop: Header=BB399_11 Depth=1
	s_or_b32 exec_lo, exec_lo, s24
	v_mov_b32_e32 v8, 24
	v_lshlrev_b32_e32 v30, 20, v30
	v_lshl_add_u32 v31, v31, 23, 0x3c000000
	v_lshlrev_b32_sdwa v8, v8, v28 dst_sel:DWORD dst_unused:UNUSED_PAD src0_sel:DWORD src1_sel:WORD_1
	v_and_b32_e32 v8, 0x80000000, v8
	v_or3_b32 v8, v30, v8, v31
	buffer_store_dword v8, off, s[0:3], s32 offset:752 ; 4-byte Folded Spill
.LBB399_2017:                           ;   in Loop: Header=BB399_11 Depth=1
	s_or_b32 exec_lo, exec_lo, s23
.LBB399_2018:                           ;   in Loop: Header=BB399_11 Depth=1
	s_or_b32 exec_lo, exec_lo, s17
.LBB399_2019:                           ;   in Loop: Header=BB399_11 Depth=1
	s_or_b32 exec_lo, exec_lo, s6
	v_mov_b32_e32 v8, 0
	v_mov_b32_e32 v123, 0
	s_mov_b32 s6, exec_lo
	buffer_store_dword v8, off, s[0:3], s32 offset:756 ; 4-byte Folded Spill
	v_cmpx_lt_u32_e32 0xffffff, v28
	s_cbranch_execz .LBB399_2027
; %bb.2020:                             ;   in Loop: Header=BB399_11 Depth=1
	v_cmp_ne_u32_sdwa s5, v28, v41 src0_sel:BYTE_3 src1_sel:DWORD
	v_bfrev_b32_e32 v123, 1
	s_and_saveexec_b32 s17, s5
	s_cbranch_execz .LBB399_2026
; %bb.2021:                             ;   in Loop: Header=BB399_11 Depth=1
	v_bfe_u32 v32, v28, 24, 7
	v_mov_b32_e32 v123, 0x7f800001
	s_mov_b32 s23, exec_lo
	v_cmpx_ne_u32_e32 0x7f, v32
	s_cbranch_execz .LBB399_2025
; %bb.2022:                             ;   in Loop: Header=BB399_11 Depth=1
	v_mov_b32_e32 v8, 7
	s_mov_b32 s24, exec_lo
	v_and_b32_sdwa v8, v28, v8 dst_sel:DWORD dst_unused:UNUSED_PAD src0_sel:BYTE_3 src1_sel:DWORD
	v_mov_b32_e32 v31, v9
	v_lshrrev_b32_e32 v31, 3, v32
	v_mov_b32_e32 v30, v8
	v_cmpx_gt_u32_e32 8, v32
; %bb.2023:                             ;   in Loop: Header=BB399_11 Depth=1
	v_ffbh_u32_e32 v30, v8
	v_min_u32_e32 v32, 32, v30
	v_subrev_nc_u32_e32 v30, 28, v32
	v_lshlrev_b64 v[30:31], v30, v[8:9]
	v_sub_nc_u32_e32 v31, 29, v32
	v_and_b32_e32 v30, 7, v30
; %bb.2024:                             ;   in Loop: Header=BB399_11 Depth=1
	s_or_b32 exec_lo, exec_lo, s24
	v_mov_b32_e32 v8, 24
	v_lshlrev_b32_e32 v30, 20, v30
	v_lshl_add_u32 v31, v31, 23, 0x3c000000
	v_lshlrev_b32_sdwa v8, v8, v28 dst_sel:DWORD dst_unused:UNUSED_PAD src0_sel:DWORD src1_sel:BYTE_3
	v_and_b32_e32 v8, 0x80000000, v8
	v_or3_b32 v123, v30, v8, v31
.LBB399_2025:                           ;   in Loop: Header=BB399_11 Depth=1
	s_or_b32 exec_lo, exec_lo, s23
.LBB399_2026:                           ;   in Loop: Header=BB399_11 Depth=1
	s_or_b32 exec_lo, exec_lo, s17
.LBB399_2027:                           ;   in Loop: Header=BB399_11 Depth=1
	s_or_b32 exec_lo, exec_lo, s6
	v_mov_b32_e32 v8, v29
	v_cmp_ne_u16_sdwa s5, v29, v9 src0_sel:BYTE_0 src1_sel:DWORD
	s_and_saveexec_b32 s6, s5
	s_cbranch_execz .LBB399_2035
; %bb.2028:                             ;   in Loop: Header=BB399_11 Depth=1
	v_cmp_ne_u16_sdwa s5, v29, v41 src0_sel:BYTE_0 src1_sel:DWORD
	v_bfrev_b32_e32 v16, 1
	buffer_store_dword v16, off, s[0:3], s32 offset:756 ; 4-byte Folded Spill
	s_and_saveexec_b32 s17, s5
	s_cbranch_execz .LBB399_2034
; %bb.2029:                             ;   in Loop: Header=BB399_11 Depth=1
	v_and_b32_e32 v32, 0x7f, v29
	v_mov_b32_e32 v16, 0x7f800001
	s_mov_b32 s23, exec_lo
	buffer_store_dword v16, off, s[0:3], s32 offset:756 ; 4-byte Folded Spill
	v_cmpx_ne_u32_e32 0x7f, v32
	s_cbranch_execz .LBB399_2033
; %bb.2030:                             ;   in Loop: Header=BB399_11 Depth=1
	v_mov_b32_e32 v31, v9
	v_mov_b32_e32 v30, v8
	v_lshrrev_b32_e32 v31, 3, v32
	s_mov_b32 s24, exec_lo
	v_cmpx_gt_u32_e32 8, v32
; %bb.2031:                             ;   in Loop: Header=BB399_11 Depth=1
	v_and_b32_e32 v30, 7, v29
	v_ffbh_u32_e32 v30, v30
	v_min_u32_e32 v32, 32, v30
	v_subrev_nc_u32_e32 v30, 28, v32
	v_lshlrev_b64 v[30:31], v30, v[8:9]
	v_sub_nc_u32_e32 v31, 29, v32
; %bb.2032:                             ;   in Loop: Header=BB399_11 Depth=1
	s_or_b32 exec_lo, exec_lo, s24
	v_lshlrev_b32_e32 v30, 20, v30
	v_lshlrev_b32_e32 v32, 24, v8
	v_lshl_add_u32 v31, v31, 23, 0x3c000000
	v_and_b32_e32 v30, 0x700000, v30
	v_and_b32_e32 v32, 0x80000000, v32
	v_or3_b32 v16, v30, v32, v31
	buffer_store_dword v16, off, s[0:3], s32 offset:756 ; 4-byte Folded Spill
.LBB399_2033:                           ;   in Loop: Header=BB399_11 Depth=1
	s_or_b32 exec_lo, exec_lo, s23
.LBB399_2034:                           ;   in Loop: Header=BB399_11 Depth=1
	s_or_b32 exec_lo, exec_lo, s17
.LBB399_2035:                           ;   in Loop: Header=BB399_11 Depth=1
	s_or_b32 exec_lo, exec_lo, s6
	v_cmp_ne_u16_sdwa s5, v8, v9 src0_sel:BYTE_1 src1_sel:DWORD
	v_mov_b32_e32 v16, 0
	v_mov_b32_e32 v121, 0
	s_and_saveexec_b32 s6, s5
	s_cbranch_execz .LBB399_2043
; %bb.2036:                             ;   in Loop: Header=BB399_11 Depth=1
	v_cmp_ne_u16_sdwa s5, v8, v41 src0_sel:BYTE_1 src1_sel:DWORD
	v_bfrev_b32_e32 v121, 1
	s_and_saveexec_b32 s17, s5
	s_cbranch_execz .LBB399_2042
; %bb.2037:                             ;   in Loop: Header=BB399_11 Depth=1
	v_mov_b32_e32 v30, 0xffff
	v_mov_b32_e32 v121, 0x7f800001
	s_mov_b32 s23, exec_lo
	v_and_b32_sdwa v30, v30, v8 dst_sel:DWORD dst_unused:UNUSED_PAD src0_sel:DWORD src1_sel:BYTE_1
	v_and_b32_e32 v108, 0x7f, v30
	v_cmpx_ne_u32_e32 0x7f, v108
	s_cbranch_execz .LBB399_2041
; %bb.2038:                             ;   in Loop: Header=BB399_11 Depth=1
	v_and_b32_e32 v30, 7, v30
	v_mov_b32_e32 v31, v9
	v_lshrrev_b32_e32 v116, 3, v108
	s_mov_b32 s24, exec_lo
	v_cmpx_gt_u32_e32 8, v108
; %bb.2039:                             ;   in Loop: Header=BB399_11 Depth=1
	v_ffbh_u32_e32 v116, v30
	v_min_u32_e32 v116, 32, v116
	v_subrev_nc_u32_e32 v108, 28, v116
	v_sub_nc_u32_e32 v116, 29, v116
	v_lshlrev_b64 v[30:31], v108, v[30:31]
	v_and_b32_e32 v30, 7, v30
; %bb.2040:                             ;   in Loop: Header=BB399_11 Depth=1
	s_or_b32 exec_lo, exec_lo, s24
	v_lshlrev_b32_e32 v8, 16, v8
	v_lshlrev_b32_e32 v30, 20, v30
	v_lshl_add_u32 v31, v116, 23, 0x3c000000
	v_and_b32_e32 v8, 0x80000000, v8
	v_or3_b32 v121, v30, v8, v31
.LBB399_2041:                           ;   in Loop: Header=BB399_11 Depth=1
	s_or_b32 exec_lo, exec_lo, s23
	v_mov_b32_e32 v16, 0
.LBB399_2042:                           ;   in Loop: Header=BB399_11 Depth=1
	s_or_b32 exec_lo, exec_lo, s17
.LBB399_2043:                           ;   in Loop: Header=BB399_11 Depth=1
	s_or_b32 exec_lo, exec_lo, s6
	v_mov_b32_e32 v8, 0xff
	s_mov_b32 s6, exec_lo
	v_and_b32_sdwa v8, v29, v8 dst_sel:DWORD dst_unused:UNUSED_PAD src0_sel:WORD_1 src1_sel:DWORD
	v_cmpx_ne_u16_e32 0, v8
	s_cbranch_execz .LBB399_2051
; %bb.2044:                             ;   in Loop: Header=BB399_11 Depth=1
	v_bfrev_b32_e32 v16, 1
	s_mov_b32 s17, exec_lo
	v_cmpx_ne_u16_e32 0x80, v8
	s_cbranch_execz .LBB399_2050
; %bb.2045:                             ;   in Loop: Header=BB399_11 Depth=1
	v_bfe_u32 v116, v29, 16, 7
	v_mov_b32_e32 v16, 0x7f800001
	s_mov_b32 s23, exec_lo
	v_cmpx_ne_u32_e32 0x7f, v116
	s_cbranch_execz .LBB399_2049
; %bb.2046:                             ;   in Loop: Header=BB399_11 Depth=1
	v_mov_b32_e32 v8, 7
	s_mov_b32 s24, exec_lo
	v_and_b32_sdwa v8, v29, v8 dst_sel:DWORD dst_unused:UNUSED_PAD src0_sel:WORD_1 src1_sel:DWORD
	v_mov_b32_e32 v31, v9
	v_lshrrev_b32_e32 v31, 3, v116
	v_mov_b32_e32 v30, v8
	v_cmpx_gt_u32_e32 8, v116
; %bb.2047:                             ;   in Loop: Header=BB399_11 Depth=1
	v_ffbh_u32_e32 v30, v8
	v_min_u32_e32 v32, 32, v30
	v_subrev_nc_u32_e32 v30, 28, v32
	v_lshlrev_b64 v[30:31], v30, v[8:9]
	v_sub_nc_u32_e32 v31, 29, v32
	v_and_b32_e32 v30, 7, v30
; %bb.2048:                             ;   in Loop: Header=BB399_11 Depth=1
	s_or_b32 exec_lo, exec_lo, s24
	v_mov_b32_e32 v8, 24
	v_lshlrev_b32_e32 v30, 20, v30
	v_lshl_add_u32 v31, v31, 23, 0x3c000000
	v_lshlrev_b32_sdwa v8, v8, v29 dst_sel:DWORD dst_unused:UNUSED_PAD src0_sel:DWORD src1_sel:WORD_1
	v_and_b32_e32 v8, 0x80000000, v8
	v_or3_b32 v16, v30, v8, v31
.LBB399_2049:                           ;   in Loop: Header=BB399_11 Depth=1
	s_or_b32 exec_lo, exec_lo, s23
.LBB399_2050:                           ;   in Loop: Header=BB399_11 Depth=1
	s_or_b32 exec_lo, exec_lo, s17
.LBB399_2051:                           ;   in Loop: Header=BB399_11 Depth=1
	s_or_b32 exec_lo, exec_lo, s6
	buffer_store_dword v16, off, s[0:3], s32 offset:1040 ; 4-byte Folded Spill
	buffer_store_dword v51, off, s[0:3], s32 offset:860 ; 4-byte Folded Spill
	v_mov_b32_e32 v16, v92
	v_mov_b32_e32 v32, v58
	v_mov_b32_e32 v8, 0
	v_cmp_lt_u64_e64 s5, s[8:9], v[28:29]
	s_mov_b32 s6, exec_lo
	buffer_load_dword v58, off, s[0:3], s32 offset:760 ; 4-byte Folded Reload
	v_mov_b32_e32 v92, v125
	v_mov_b32_e32 v90, v110
	s_and_b32 s5, s6, s5
	s_mov_b32 exec_lo, s5
	s_cbranch_execz .LBB399_10
; %bb.2052:                             ;   in Loop: Header=BB399_11 Depth=1
	v_cmp_ne_u32_sdwa s5, v29, v41 src0_sel:BYTE_3 src1_sel:DWORD
	v_bfrev_b32_e32 v8, 1
	s_and_saveexec_b32 s17, s5
	s_cbranch_execz .LBB399_9
; %bb.2053:                             ;   in Loop: Header=BB399_11 Depth=1
	v_bfe_u32 v116, v29, 24, 7
	v_mov_b32_e32 v8, 0x7f800001
	s_mov_b32 s23, exec_lo
	v_cmpx_ne_u32_e32 0x7f, v116
	s_cbranch_execz .LBB399_8
; %bb.2054:                             ;   in Loop: Header=BB399_11 Depth=1
	v_mov_b32_e32 v8, 7
	v_lshrrev_b32_e32 v28, 3, v116
	s_mov_b32 s24, exec_lo
	v_and_b32_sdwa v8, v29, v8 dst_sel:DWORD dst_unused:UNUSED_PAD src0_sel:BYTE_3 src1_sel:DWORD
	v_mov_b32_e32 v31, v9
	v_mov_b32_e32 v30, v8
	v_cmpx_gt_u32_e32 8, v116
	s_cbranch_execz .LBB399_7
; %bb.2055:                             ;   in Loop: Header=BB399_11 Depth=1
	v_ffbh_u32_e32 v28, v8
	v_min_u32_e32 v28, 32, v28
	v_subrev_nc_u32_e32 v30, 28, v28
	v_sub_nc_u32_e32 v28, 29, v28
	v_lshlrev_b64 v[30:31], v30, v[8:9]
	v_and_b32_e32 v30, 7, v30
	s_branch .LBB399_7
.LBB399_2056:
	s_or_b32 exec_lo, exec_lo, s22
	s_clause 0x12
	buffer_load_dword v12, off, s[0:3], s32 offset:2276
	buffer_load_dword v28, off, s[0:3], s32 offset:840
	;; [unrolled: 1-line block ×19, first 2 shown]
.LBB399_2057:
	s_or_b32 exec_lo, exec_lo, s21
	v_mbcnt_lo_u32_b32 v0, -1, 0
	s_lshr_b32 s8, s13, 16
	v_xor_b32_e32 v1, 16, v0
	v_xor_b32_e32 v3, 8, v0
	;; [unrolled: 1-line block ×3, first 2 shown]
	v_cmp_gt_i32_e32 vcc_lo, 32, v1
	v_cndmask_b32_e32 v1, v0, v1, vcc_lo
	v_cmp_gt_i32_e32 vcc_lo, 32, v3
	v_lshlrev_b32_e32 v2, 2, v1
	v_cndmask_b32_e32 v3, v0, v3, vcc_lo
	v_cmp_gt_i32_e32 vcc_lo, 32, v5
	ds_bpermute_b32 v1, v2, v4
	v_max_f32_e32 v4, v4, v4
	v_lshlrev_b32_e32 v3, 2, v3
	v_cndmask_b32_e32 v5, v0, v5, vcc_lo
	s_waitcnt lgkmcnt(0)
	v_max_f32_e32 v1, v1, v1
	v_max_f32_e32 v1, v4, v1
	ds_bpermute_b32 v4, v3, v1
	s_waitcnt lgkmcnt(0)
	v_max_f32_e32 v6, v4, v4
	v_lshlrev_b32_e32 v4, 2, v5
	v_max_f32_e32 v1, v1, v6
	v_xor_b32_e32 v6, 2, v0
	ds_bpermute_b32 v5, v4, v1
	v_cmp_gt_i32_e32 vcc_lo, 32, v6
	v_cndmask_b32_e32 v6, v0, v6, vcc_lo
	v_lshlrev_b32_e32 v32, 2, v6
	v_xor_b32_e32 v6, 1, v0
	v_cmp_gt_i32_e32 vcc_lo, 32, v6
	s_waitcnt lgkmcnt(0)
	v_max_f32_e32 v5, v5, v5
	v_cndmask_b32_e32 v6, v0, v6, vcc_lo
	v_max_f32_e32 v1, v1, v5
	v_lshlrev_b32_e32 v116, 2, v6
	ds_bpermute_b32 v5, v32, v1
	s_waitcnt lgkmcnt(0)
	v_max_f32_e32 v5, v5, v5
	v_max_f32_e32 v0, v1, v5
	buffer_load_dword v5, off, s[0:3], s32 offset:2280 ; 4-byte Folded Reload
	ds_bpermute_b32 v1, v116, v0
	s_waitcnt vmcnt(0)
	v_cmp_eq_u32_e32 vcc_lo, 0, v5
	buffer_load_dword v5, off, s[0:3], s32 offset:2284 ; 4-byte Folded Reload
	s_waitcnt vmcnt(0)
	v_lshlrev_b32_e32 v5, 2, v5
	s_and_saveexec_b32 s5, vcc_lo
	s_cbranch_execz .LBB399_2059
; %bb.2058:
	s_waitcnt lgkmcnt(0)
	v_max_f32_e32 v1, v1, v1
	v_max_f32_e32 v0, v0, v0
	v_max_f32_e32 v0, v0, v1
	ds_write_b32 v5, v0 offset:512
.LBB399_2059:
	s_or_b32 exec_lo, exec_lo, s5
	buffer_load_dword v0, off, s[0:3], s32 offset:2280 ; 4-byte Folded Reload
	s_waitcnt vmcnt(0) lgkmcnt(0)
	s_waitcnt_vscnt null, 0x0
	s_barrier
	buffer_gl0_inv
	v_cmp_gt_u32_e64 s5, 4, v0
	v_mov_b32_e32 v0, 0xff7fffff
	s_and_saveexec_b32 s6, s5
; %bb.2060:
	ds_read_b32 v0, v23 offset:512
; %bb.2061:
	s_or_b32 exec_lo, exec_lo, s6
	buffer_load_dword v6, off, s[0:3], s32 offset:836 ; 4-byte Folded Reload
	s_waitcnt lgkmcnt(0)
	ds_bpermute_b32 v1, v32, v0
	v_max_f32_e32 v0, v0, v0
	s_waitcnt lgkmcnt(0)
	v_max_f32_e32 v1, v1, v1
	v_max_f32_e32 v0, v0, v1
	ds_bpermute_b32 v1, v116, v0
	s_waitcnt lgkmcnt(0)
	v_max_f32_e32 v1, v1, v1
	v_max_f32_e32 v0, v0, v1
	s_waitcnt vmcnt(0)
	v_subrev_nc_u32_e32 v7, s7, v6
	v_mov_b32_e32 v6, 0
	v_lshl_add_u32 v1, v7, 5, s20
	ds_bpermute_b32 v0, v6, v0
	v_min_i32_e32 v1, v1, v124
	v_subrev_nc_u32_e32 v1, s20, v1
	v_cmp_lt_i32_e64 s6, v12, v1
	s_and_saveexec_b32 s9, s6
	s_cbranch_execz .LBB399_2065
; %bb.2062:
	s_getpc_b64 s[22:23]
	s_add_u32 s22, s22, llvm.amdgcn.dynlds.offset.table@rel32@lo+4
	s_addc_u32 s23, s23, llvm.amdgcn.dynlds.offset.table@rel32@hi+12
	s_ashr_i32 s17, s16, 31
	v_mov_b32_e32 v6, 0
	s_lshl_b64 s[24:25], s[16:17], 2
	v_mov_b32_e32 v8, v12
	s_add_u32 s22, s22, s24
	s_addc_u32 s23, s23, s25
	s_mov_b32 s13, 0
	s_load_dword s7, s[22:23], 0x0
	s_waitcnt lgkmcnt(0)
	v_lshl_add_u32 v7, v12, 2, s7
	.p2align	6
.LBB399_2063:                           ; =>This Inner Loop Header: Depth=1
	ds_read_b32 v9, v7
	v_add_nc_u32_e32 v8, 0x80, v8
	v_cmp_ge_i32_e64 s7, v8, v1
	s_or_b32 s13, s7, s13
	s_waitcnt lgkmcnt(0)
	v_sub_f32_e32 v9, v9, v0
	v_mul_f32_e32 v9, 0x3fb8aa3b, v9
	v_exp_f32_e32 v9, v9
	ds_write_b32 v7, v9
	v_add_f32_e32 v6, v6, v9
	v_add_nc_u32_e32 v7, 0x200, v7
	s_andn2_b32 exec_lo, exec_lo, s13
	s_cbranch_execnz .LBB399_2063
; %bb.2064:
	s_or_b32 exec_lo, exec_lo, s13
.LBB399_2065:
	s_or_b32 exec_lo, exec_lo, s9
	ds_bpermute_b32 v2, v2, v6
	s_waitcnt lgkmcnt(0)
	v_add_f32_e32 v2, v6, v2
	ds_bpermute_b32 v3, v3, v2
	s_waitcnt lgkmcnt(0)
	v_add_f32_e32 v2, v2, v3
	;; [unrolled: 3-line block ×5, first 2 shown]
	s_and_saveexec_b32 s7, vcc_lo
; %bb.2066:
	ds_write_b32 v5, v2 offset:528
; %bb.2067:
	s_or_b32 exec_lo, exec_lo, s7
	s_waitcnt lgkmcnt(0)
	s_barrier
	buffer_gl0_inv
	s_and_saveexec_b32 s7, s5
; %bb.2068:
	ds_read_b32 v2, v23 offset:528
; %bb.2069:
	s_or_b32 exec_lo, exec_lo, s7
	s_waitcnt lgkmcnt(0)
	ds_bpermute_b32 v3, v32, v2
	s_waitcnt lgkmcnt(0)
	v_add_f32_e32 v2, v2, v3
	ds_bpermute_b32 v3, v116, v2
	s_waitcnt lgkmcnt(0)
	v_add_f32_e32 v2, v2, v3
	v_mov_b32_e32 v3, 0
	ds_bpermute_b32 v2, v3, v2
	s_and_saveexec_b32 s5, s6
	s_cbranch_execz .LBB399_2072
; %bb.2070:
	s_waitcnt lgkmcnt(0)
	v_add_f32_e32 v4, 0x358637bd, v2
	s_getpc_b64 s[6:7]
	s_add_u32 s6, s6, llvm.amdgcn.dynlds.offset.table@rel32@lo+4
	s_addc_u32 s7, s7, llvm.amdgcn.dynlds.offset.table@rel32@hi+12
	s_ashr_i32 s17, s16, 31
	s_lshl_b64 s[22:23], s[16:17], 2
	v_div_scale_f32 v3, null, v4, v4, 1.0
	v_div_scale_f32 v7, vcc_lo, 1.0, v4, 1.0
	s_add_u32 s6, s6, s22
	v_rcp_f32_e32 v5, v3
	s_addc_u32 s7, s7, s23
	s_load_dword s6, s[6:7], 0x0
	v_fma_f32 v6, -v3, v5, 1.0
	v_fmac_f32_e32 v5, v6, v5
	v_mul_f32_e32 v6, v7, v5
	v_fma_f32 v8, -v3, v6, v7
	v_fmac_f32_e32 v6, v8, v5
	v_fma_f32 v3, -v3, v6, v7
	v_div_fmas_f32 v5, v3, v5, v6
	s_waitcnt lgkmcnt(0)
	v_lshl_add_u32 v3, v12, 2, s6
	s_mov_b32 s6, 0
	v_div_fixup_f32 v4, v5, v4, 1.0
	v_mov_b32_e32 v5, v12
.LBB399_2071:                           ; =>This Inner Loop Header: Depth=1
	ds_read_b32 v6, v3
	v_add_nc_u32_e32 v5, 0x80, v5
	v_cmp_ge_i32_e32 vcc_lo, v5, v1
	s_or_b32 s6, vcc_lo, s6
	s_waitcnt lgkmcnt(0)
	v_mul_f32_e32 v6, v4, v6
	ds_write_b32 v3, v6
	v_add_nc_u32_e32 v3, 0x200, v3
	s_andn2_b32 exec_lo, exec_lo, s6
	s_cbranch_execnz .LBB399_2071
.LBB399_2072:
	s_or_b32 exec_lo, exec_lo, s5
	s_and_b32 s5, 0xffff, s8
	s_mov_b32 s8, exec_lo
	s_cmp_lg_u32 s5, 0
	s_waitcnt lgkmcnt(0)
	s_cselect_b32 s5, -1, 0
	s_barrier
	s_cmp_lg_u32 s5, 0
	buffer_gl0_inv
	s_addc_u32 s5, s11, 0
	s_mul_i32 s6, s5, s18
	s_mul_i32 s6, s6, s15
	v_cmpx_eq_u32_e32 0, v12
	s_cbranch_execz .LBB399_2074
; %bb.2073:
	s_ashr_i32 s7, s6, 31
	s_mul_i32 s12, s5, s12
	s_lshl_b64 s[22:23], s[6:7], 2
	s_ashr_i32 s13, s12, 31
	v_add_co_u32 v1, vcc_lo, v29, s22
	v_add_co_ci_u32_e64 v3, null, s23, v25, vcc_lo
	s_lshl_b64 s[12:13], s[12:13], 2
	s_ashr_i32 s15, s14, 31
	v_add_co_u32 v1, vcc_lo, v1, s12
	v_add_co_ci_u32_e64 v4, null, s13, v3, vcc_lo
	v_add_co_u32 v3, vcc_lo, v24, s22
	v_add_co_ci_u32_e64 v5, null, s23, v22, vcc_lo
	s_lshl_b64 s[22:23], s[14:15], 2
	v_add_co_u32 v6, vcc_lo, v3, s12
	v_add_co_ci_u32_e64 v7, null, s13, v5, vcc_lo
	v_add_co_u32 v3, vcc_lo, v1, s22
	v_add_co_ci_u32_e64 v4, null, s23, v4, vcc_lo
	;; [unrolled: 2-line block ×3, first 2 shown]
	flat_store_dword v[3:4], v0
	flat_store_dword v[5:6], v2
.LBB399_2074:
	s_or_b32 exec_lo, exec_lo, s8
	s_and_saveexec_b32 s7, s4
	s_xor_b32 s4, exec_lo, s7
; %bb.2075:
	s_ashr_i32 s17, s16, 31
                                        ; implicit-def: $vgpr0
                                        ; implicit-def: $vgpr124
                                        ; implicit-def: $vgpr13
                                        ; kill: killed $vgpr0
                                        ; implicit-def: $vgpr28
                                        ; implicit-def: $vgpr10
                                        ; implicit-def: $vgpr11
                                        ; implicit-def: $vgpr14
                                        ; implicit-def: $vgpr15
                                        ; implicit-def: $vgpr0
                                        ; kill: killed $vgpr0
                                        ; implicit-def: $vgpr26_vgpr27
                                        ; implicit-def: $vgpr16
                                        ; implicit-def: $vgpr17
                                        ; implicit-def: $vgpr20_vgpr21
; %bb.2076:
	s_or_saveexec_b32 s7, s4
	v_mov_b32_e32 v0, s16
	v_mov_b32_e32 v98, 0
	;; [unrolled: 1-line block ×34, first 2 shown]
	s_xor_b32 exec_lo, exec_lo, s7
	s_cbranch_execz .LBB399_4192
; %bb.2077:
	buffer_store_dword v32, off, s[0:3], s32 offset:1008 ; 4-byte Folded Spill
	buffer_store_dword v116, off, s[0:3], s32 offset:1004 ; 4-byte Folded Spill
	flat_load_dword v27, v[26:27]
	v_add_co_u32 v1, vcc_lo, v14, v20
	v_lshlrev_b32_e32 v0, 3, v12
	s_getpc_b64 s[8:9]
	s_add_u32 s8, s8, llvm.amdgcn.dynlds.offset.table@rel32@lo+4
	s_addc_u32 s9, s9, llvm.amdgcn.dynlds.offset.table@rel32@hi+12
	s_ashr_i32 s17, s16, 31
	buffer_store_dword v1, off, s[0:3], s32 offset:972 ; 4-byte Folded Spill
	v_add_co_ci_u32_e64 v1, null, v15, v21, vcc_lo
	s_lshl_b64 s[12:13], s[16:17], 2
	v_mov_b32_e32 v114, 0x80
	s_add_u32 s8, s8, s12
	buffer_store_dword v1, off, s[0:3], s32 offset:976 ; 4-byte Folded Spill
	v_and_b32_e32 v1, 24, v0
	s_addc_u32 s9, s9, s13
	v_mov_b32_e32 v112, 0xffff
	s_load_dword s4, s[8:9], 0x0
	s_lshl_b32 s8, s20, 2
	buffer_store_dword v1, off, s[0:3], s32 offset:980 ; 4-byte Folded Spill
	v_add_co_u32 v1, vcc_lo, v10, v16
	v_add_co_ci_u32_e64 v2, null, v11, v17, vcc_lo
	buffer_store_dword v1, off, s[0:3], s32 offset:984 ; 4-byte Folded Spill
	buffer_store_dword v2, off, s[0:3], s32 offset:988 ; 4-byte Folded Spill
	v_and_b32_e32 v1, 0xf8, v0
	v_or_b32_e32 v0, 0x1f00, v0
	v_mov_b32_e32 v116, 0xff
	v_mov_b32_e32 v115, 7
	;; [unrolled: 1-line block ×3, first 2 shown]
	buffer_store_dword v1, off, s[0:3], s32 offset:992 ; 4-byte Folded Spill
	buffer_store_dword v0, off, s[0:3], s32 offset:1000 ; 4-byte Folded Spill
	v_mov_b32_e32 v0, 0
	v_add_nc_u32_e32 v1, -1, v13
	v_mov_b32_e32 v13, 0
	v_mov_b32_e32 v107, 0
	s_waitcnt lgkmcnt(0)
	s_sub_i32 s11, s4, s8
	buffer_store_dword v0, off, s[0:3], s32 offset:848 ; 4-byte Folded Spill
	v_mov_b32_e32 v0, 0
	s_mov_b32 s8, -1
	s_mov_b32 s9, 0xffffff
	s_mov_b32 s12, 0
	buffer_store_dword v1, off, s[0:3], s32 offset:996 ; 4-byte Folded Spill
	buffer_store_dword v0, off, s[0:3], s32 offset:852 ; 4-byte Folded Spill
	v_mov_b32_e32 v0, 0
	buffer_store_dword v0, off, s[0:3], s32 offset:856 ; 4-byte Folded Spill
	v_mov_b32_e32 v0, 0
	;; [unrolled: 2-line block ×29, first 2 shown]
	buffer_store_dword v0, off, s[0:3], s32 offset:960 ; 4-byte Folded Spill
	s_branch .LBB399_2079
.LBB399_2078:                           ;   in Loop: Header=BB399_2079 Depth=1
	s_or_b32 exec_lo, exec_lo, s4
	v_bfe_u32 v4, v6, 16, 1
	v_or_b32_e32 v5, 0x400000, v6
	v_cmp_u_f32_e32 vcc_lo, v6, v6
	v_lshlrev_b32_e32 v24, 16, v24
	v_lshlrev_b32_e32 v16, 16, v16
	v_add3_u32 v4, v4, v6, 0x7fff
	v_or_b32_e32 v6, 0x400000, v7
	v_lshlrev_b32_e32 v31, 16, v31
	v_lshlrev_b32_e32 v32, 16, v32
	;; [unrolled: 1-line block ×3, first 2 shown]
	v_cndmask_b32_e32 v4, v4, v5, vcc_lo
	v_bfe_u32 v5, v7, 16, 1
	v_cmp_u_f32_e32 vcc_lo, v7, v7
	v_lshlrev_b32_e32 v22, 16, v22
	v_lshlrev_b32_e32 v21, 16, v21
	;; [unrolled: 1-line block ×3, first 2 shown]
	v_add3_u32 v5, v5, v7, 0x7fff
	v_or_b32_e32 v7, 0x400000, v8
	v_cndmask_b32_e32 v5, v5, v6, vcc_lo
	v_bfe_u32 v6, v8, 16, 1
	v_cmp_u_f32_e32 vcc_lo, v8, v8
	v_add3_u32 v6, v6, v8, 0x7fff
	v_cndmask_b32_e32 v8, v6, v7, vcc_lo
	v_bfe_u32 v6, v9, 16, 1
	v_or_b32_e32 v7, 0x400000, v9
	v_cmp_u_f32_e32 vcc_lo, v9, v9
	v_add3_u32 v6, v6, v9, 0x7fff
	v_cndmask_b32_e32 v9, v6, v7, vcc_lo
	v_bfe_u32 v6, v0, 16, 1
	v_or_b32_e32 v7, 0x400000, v0
	;; [unrolled: 5-line block ×4, first 2 shown]
	v_cmp_u_f32_e32 vcc_lo, v2, v2
	v_and_b32_e32 v1, 0xffff0000, v1
	v_add3_u32 v6, v6, v2, 0x7fff
	v_mul_f32_e32 v24, v1, v24
	v_cndmask_b32_e32 v2, v6, v7, vcc_lo
	v_bfe_u32 v6, v3, 16, 1
	v_or_b32_e32 v7, 0x400000, v3
	v_cmp_u_f32_e32 vcc_lo, v3, v3
	v_mul_f32_e32 v16, v1, v16
	v_and_b32_e32 v2, 0xffff0000, v2
	v_add3_u32 v6, v6, v3, 0x7fff
	v_lshlrev_b32_e32 v3, 16, v90
	v_mul_f32_e32 v31, v1, v31
	v_mul_f32_e32 v21, v2, v21
	v_cndmask_b32_e32 v37, v6, v7, vcc_lo
	v_and_b32_e32 v6, 0xffff0000, v5
	v_mul_f32_e32 v3, v6, v3
	v_bfe_u32 v5, v3, 16, 1
	v_or_b32_e32 v7, 0x400000, v3
	v_cmp_u_f32_e32 vcc_lo, v3, v3
	v_add3_u32 v5, v5, v3, 0x7fff
	v_lshlrev_b32_e32 v3, 16, v91
	v_cndmask_b32_e32 v38, v5, v7, vcc_lo
	v_and_b32_e32 v7, 0xffff0000, v4
	v_and_b32_e32 v38, 0xffff0000, v38
	v_mul_f32_e32 v3, v7, v3
	v_bfe_u32 v4, v3, 16, 1
	v_or_b32_e32 v5, 0x400000, v3
	v_cmp_u_f32_e32 vcc_lo, v3, v3
	v_add3_u32 v4, v4, v3, 0x7fff
	v_and_b32_e32 v3, 0xffff0000, v9
	v_cndmask_b32_e32 v113, v4, v5, vcc_lo
	v_lshlrev_b32_e32 v4, 16, v79
	v_and_b32_e32 v113, 0xffff0000, v113
	v_mul_f32_e32 v4, v3, v4
	v_add_f32_e32 v38, v113, v38
	v_bfe_u32 v5, v4, 16, 1
	v_or_b32_e32 v9, 0x400000, v4
	v_cmp_u_f32_e32 vcc_lo, v4, v4
	v_add3_u32 v5, v5, v4, 0x7fff
	v_lshlrev_b32_e32 v4, 16, v88
	v_cndmask_b32_e32 v9, v5, v9, vcc_lo
	v_and_b32_e32 v5, 0xffff0000, v8
	v_and_b32_e32 v9, 0xffff0000, v9
	v_mul_f32_e32 v4, v5, v4
	v_mul_f32_e32 v22, v5, v22
	v_bfe_u32 v8, v4, 16, 1
	v_or_b32_e32 v42, 0x400000, v4
	v_cmp_u_f32_e32 vcc_lo, v4, v4
	v_add3_u32 v8, v8, v4, 0x7fff
	v_lshlrev_b32_e32 v4, 16, v77
	v_cndmask_b32_e32 v8, v8, v42, vcc_lo
	v_mul_f32_e32 v4, v1, v4
	v_and_b32_e32 v8, 0xffff0000, v8
	v_bfe_u32 v42, v4, 16, 1
	v_or_b32_e32 v77, 0x400000, v4
	v_cmp_u_f32_e32 vcc_lo, v4, v4
	v_add_f32_e32 v8, v8, v9
	v_add3_u32 v42, v42, v4, 0x7fff
	v_and_b32_e32 v4, 0xffff0000, v0
	v_lshlrev_b32_e32 v0, 16, v78
	v_add_f32_e32 v8, v38, v8
	v_cndmask_b32_e32 v42, v42, v77, vcc_lo
	v_mul_f32_e32 v32, v4, v32
	v_mul_f32_e32 v0, v4, v0
	v_and_b32_e32 v38, 0xffff0000, v42
	v_bfe_u32 v77, v0, 16, 1
	v_or_b32_e32 v78, 0x400000, v0
	v_cmp_u_f32_e32 vcc_lo, v0, v0
	v_add3_u32 v77, v77, v0, 0x7fff
	v_and_b32_e32 v0, 0xffff0000, v37
	v_lshlrev_b32_e32 v37, 16, v92
	v_cndmask_b32_e32 v77, v77, v78, vcc_lo
	v_mul_f32_e32 v30, v0, v30
	v_mul_f32_e32 v37, v0, v37
	;; [unrolled: 1-line block ×3, first 2 shown]
	v_and_b32_e32 v9, 0xffff0000, v77
	v_bfe_u32 v78, v37, 16, 1
	v_or_b32_e32 v79, 0x400000, v37
	v_cmp_u_f32_e32 vcc_lo, v37, v37
	v_add_f32_e32 v9, v9, v38
	v_add3_u32 v78, v78, v37, 0x7fff
	v_add_f32_e32 v8, v8, v9
	v_cndmask_b32_e32 v37, v78, v79, vcc_lo
	v_lshlrev_b32_e32 v78, 16, v89
	v_and_b32_e32 v37, 0xffff0000, v37
	v_mul_f32_e32 v78, v2, v78
	v_bfe_u32 v79, v78, 16, 1
	v_or_b32_e32 v88, 0x400000, v78
	v_cmp_u_f32_e32 vcc_lo, v78, v78
	v_add3_u32 v79, v79, v78, 0x7fff
	v_cndmask_b32_e32 v78, v79, v88, vcc_lo
	v_and_b32_e32 v9, 0xffff0000, v78
	v_add_f32_e32 v9, v9, v37
	v_add_f32_e32 v8, v8, v9
	buffer_load_dword v9, off, s[0:3], s32 offset:848 ; 4-byte Folded Reload
	s_waitcnt vmcnt(0)
	v_add_f32_e32 v9, v9, v8
	v_lshlrev_b32_e32 v8, 16, v74
	buffer_store_dword v9, off, s[0:3], s32 offset:848 ; 4-byte Folded Spill
	v_mul_f32_e32 v8, v6, v8
	v_bfe_u32 v9, v8, 16, 1
	v_or_b32_e32 v37, 0x400000, v8
	v_cmp_u_f32_e32 vcc_lo, v8, v8
	v_add3_u32 v9, v9, v8, 0x7fff
	v_cndmask_b32_e32 v8, v9, v37, vcc_lo
	v_lshlrev_b32_e32 v9, 16, v75
	v_and_b32_e32 v8, 0xffff0000, v8
	v_mul_f32_e32 v9, v7, v9
	v_bfe_u32 v37, v9, 16, 1
	v_or_b32_e32 v38, 0x400000, v9
	v_cmp_u_f32_e32 vcc_lo, v9, v9
	v_add3_u32 v37, v37, v9, 0x7fff
	v_cndmask_b32_e32 v9, v37, v38, vcc_lo
	v_lshlrev_b32_e32 v37, 16, v63
	v_and_b32_e32 v9, 0xffff0000, v9
	v_mul_f32_e32 v37, v3, v37
	v_add_f32_e32 v8, v9, v8
	v_bfe_u32 v38, v37, 16, 1
	v_or_b32_e32 v113, 0x400000, v37
	v_cmp_u_f32_e32 vcc_lo, v37, v37
	v_add3_u32 v38, v38, v37, 0x7fff
	v_cndmask_b32_e32 v37, v38, v113, vcc_lo
	v_lshlrev_b32_e32 v38, 16, v72
	v_and_b32_e32 v37, 0xffff0000, v37
	v_mul_f32_e32 v38, v5, v38
	v_bfe_u32 v113, v38, 16, 1
	v_or_b32_e32 v42, 0x400000, v38
	v_cmp_u_f32_e32 vcc_lo, v38, v38
	v_add3_u32 v113, v113, v38, 0x7fff
	v_cndmask_b32_e32 v38, v113, v42, vcc_lo
	v_bfe_u32 v113, v24, 16, 1
	v_or_b32_e32 v42, 0x400000, v24
	v_cmp_u_f32_e32 vcc_lo, v24, v24
	v_and_b32_e32 v9, 0xffff0000, v38
	v_add3_u32 v113, v113, v24, 0x7fff
	v_add_f32_e32 v9, v9, v37
	v_cndmask_b32_e32 v24, v113, v42, vcc_lo
	v_lshlrev_b32_e32 v113, 16, v62
	v_add_f32_e32 v8, v8, v9
	v_and_b32_e32 v24, 0xffff0000, v24
	v_mul_f32_e32 v113, v4, v113
	v_bfe_u32 v42, v113, 16, 1
	v_or_b32_e32 v62, 0x400000, v113
	v_cmp_u_f32_e32 vcc_lo, v113, v113
	v_add3_u32 v42, v42, v113, 0x7fff
	v_cndmask_b32_e32 v113, v42, v62, vcc_lo
	v_lshlrev_b32_e32 v42, 16, v76
	v_and_b32_e32 v9, 0xffff0000, v113
	v_mul_f32_e32 v42, v0, v42
	v_add_f32_e32 v9, v9, v24
	v_bfe_u32 v62, v42, 16, 1
	v_or_b32_e32 v63, 0x400000, v42
	v_cmp_u_f32_e32 vcc_lo, v42, v42
	v_add_f32_e32 v8, v8, v9
	v_add3_u32 v62, v62, v42, 0x7fff
	v_cndmask_b32_e32 v42, v62, v63, vcc_lo
	v_lshlrev_b32_e32 v62, 16, v73
	v_and_b32_e32 v24, 0xffff0000, v42
	v_mul_f32_e32 v62, v2, v62
	v_bfe_u32 v63, v62, 16, 1
	v_or_b32_e32 v72, 0x400000, v62
	v_cmp_u_f32_e32 vcc_lo, v62, v62
	v_add3_u32 v63, v63, v62, 0x7fff
	v_cndmask_b32_e32 v62, v63, v72, vcc_lo
	v_and_b32_e32 v9, 0xffff0000, v62
	v_add_f32_e32 v9, v9, v24
	v_add_f32_e32 v8, v8, v9
	buffer_load_dword v9, off, s[0:3], s32 offset:852 ; 4-byte Folded Reload
	s_waitcnt vmcnt(0)
	v_add_f32_e32 v9, v9, v8
	v_lshlrev_b32_e32 v8, 16, v59
	buffer_store_dword v9, off, s[0:3], s32 offset:852 ; 4-byte Folded Spill
	v_mul_f32_e32 v8, v6, v8
	v_bfe_u32 v9, v8, 16, 1
	v_or_b32_e32 v24, 0x400000, v8
	v_cmp_u_f32_e32 vcc_lo, v8, v8
	v_add3_u32 v9, v9, v8, 0x7fff
	v_cndmask_b32_e32 v8, v9, v24, vcc_lo
	v_lshlrev_b32_e32 v9, 16, v60
	v_and_b32_e32 v8, 0xffff0000, v8
	v_mul_f32_e32 v9, v7, v9
	v_bfe_u32 v24, v9, 16, 1
	v_or_b32_e32 v37, 0x400000, v9
	v_cmp_u_f32_e32 vcc_lo, v9, v9
	v_add3_u32 v24, v24, v9, 0x7fff
	v_cndmask_b32_e32 v9, v24, v37, vcc_lo
	v_lshlrev_b32_e32 v24, 16, v56
	v_and_b32_e32 v9, 0xffff0000, v9
	v_mul_f32_e32 v24, v3, v24
	v_add_f32_e32 v8, v9, v8
	v_bfe_u32 v37, v24, 16, 1
	v_or_b32_e32 v38, 0x400000, v24
	v_cmp_u_f32_e32 vcc_lo, v24, v24
	v_add3_u32 v37, v37, v24, 0x7fff
	v_cndmask_b32_e32 v24, v37, v38, vcc_lo
	v_lshlrev_b32_e32 v37, 16, v57
	v_and_b32_e32 v24, 0xffff0000, v24
	v_mul_f32_e32 v37, v5, v37
	v_bfe_u32 v38, v37, 16, 1
	v_or_b32_e32 v113, 0x400000, v37
	v_cmp_u_f32_e32 vcc_lo, v37, v37
	v_add3_u32 v38, v38, v37, 0x7fff
	v_cndmask_b32_e32 v37, v38, v113, vcc_lo
	v_lshlrev_b32_e32 v38, 16, v46
	v_and_b32_e32 v9, 0xffff0000, v37
	v_mul_f32_e32 v38, v1, v38
	v_add_f32_e32 v9, v9, v24
	v_bfe_u32 v113, v38, 16, 1
	v_or_b32_e32 v42, 0x400000, v38
	v_cmp_u_f32_e32 vcc_lo, v38, v38
	v_add_f32_e32 v8, v8, v9
	v_add3_u32 v113, v113, v38, 0x7fff
	v_cndmask_b32_e32 v38, v113, v42, vcc_lo
	v_lshlrev_b32_e32 v113, 16, v47
	v_and_b32_e32 v24, 0xffff0000, v38
	v_mul_f32_e32 v113, v4, v113
	v_bfe_u32 v42, v113, 16, 1
	v_or_b32_e32 v46, 0x400000, v113
	v_cmp_u_f32_e32 vcc_lo, v113, v113
	v_add3_u32 v42, v42, v113, 0x7fff
	v_cndmask_b32_e32 v113, v42, v46, vcc_lo
	v_lshlrev_b32_e32 v42, 16, v61
	v_and_b32_e32 v9, 0xffff0000, v113
	v_mul_f32_e32 v42, v0, v42
	v_add_f32_e32 v9, v9, v24
	v_bfe_u32 v46, v42, 16, 1
	v_or_b32_e32 v47, 0x400000, v42
	v_cmp_u_f32_e32 vcc_lo, v42, v42
	v_add_f32_e32 v8, v8, v9
	v_add3_u32 v46, v46, v42, 0x7fff
	v_cndmask_b32_e32 v42, v46, v47, vcc_lo
	v_lshlrev_b32_e32 v46, 16, v58
	v_and_b32_e32 v24, 0xffff0000, v42
	v_mul_f32_e32 v46, v2, v46
	v_bfe_u32 v47, v46, 16, 1
	v_or_b32_e32 v56, 0x400000, v46
	v_cmp_u_f32_e32 vcc_lo, v46, v46
	v_add3_u32 v47, v47, v46, 0x7fff
	v_cndmask_b32_e32 v46, v47, v56, vcc_lo
	v_and_b32_e32 v9, 0xffff0000, v46
	v_add_f32_e32 v9, v9, v24
	v_add_f32_e32 v8, v8, v9
	buffer_load_dword v9, off, s[0:3], s32 offset:856 ; 4-byte Folded Reload
	s_waitcnt vmcnt(0)
	v_add_f32_e32 v9, v9, v8
	v_lshlrev_b32_e32 v8, 16, v96
	buffer_store_dword v9, off, s[0:3], s32 offset:856 ; 4-byte Folded Spill
	v_mul_f32_e32 v8, v6, v8
	v_bfe_u32 v9, v8, 16, 1
	v_or_b32_e32 v24, 0x400000, v8
	v_cmp_u_f32_e32 vcc_lo, v8, v8
	v_add3_u32 v9, v9, v8, 0x7fff
	v_cndmask_b32_e32 v8, v9, v24, vcc_lo
	v_lshlrev_b32_e32 v9, 16, v97
	v_and_b32_e32 v8, 0xffff0000, v8
	v_mul_f32_e32 v9, v7, v9
	v_bfe_u32 v24, v9, 16, 1
	v_or_b32_e32 v37, 0x400000, v9
	v_cmp_u_f32_e32 vcc_lo, v9, v9
	v_add3_u32 v24, v24, v9, 0x7fff
	v_cndmask_b32_e32 v9, v24, v37, vcc_lo
	v_lshlrev_b32_e32 v24, 16, v85
	v_and_b32_e32 v9, 0xffff0000, v9
	v_mul_f32_e32 v24, v3, v24
	v_add_f32_e32 v8, v9, v8
	v_bfe_u32 v37, v24, 16, 1
	v_or_b32_e32 v38, 0x400000, v24
	v_cmp_u_f32_e32 vcc_lo, v24, v24
	v_add3_u32 v37, v37, v24, 0x7fff
	v_cndmask_b32_e32 v24, v37, v38, vcc_lo
	v_lshlrev_b32_e32 v37, 16, v86
	v_and_b32_e32 v24, 0xffff0000, v24
	v_mul_f32_e32 v37, v5, v37
	v_bfe_u32 v38, v37, 16, 1
	v_or_b32_e32 v85, 0x400000, v37
	v_cmp_u_f32_e32 vcc_lo, v37, v37
	v_add3_u32 v38, v38, v37, 0x7fff
	v_cndmask_b32_e32 v37, v38, v85, vcc_lo
	v_bfe_u32 v38, v16, 16, 1
	v_or_b32_e32 v85, 0x400000, v16
	v_cmp_u_f32_e32 vcc_lo, v16, v16
	v_and_b32_e32 v9, 0xffff0000, v37
	v_add3_u32 v38, v38, v16, 0x7fff
	v_add_f32_e32 v9, v9, v24
	v_cndmask_b32_e32 v16, v38, v85, vcc_lo
	v_lshlrev_b32_e32 v38, 16, v84
	v_add_f32_e32 v8, v8, v9
	v_and_b32_e32 v16, 0xffff0000, v16
	v_mul_f32_e32 v38, v4, v38
	v_bfe_u32 v84, v38, 16, 1
	v_or_b32_e32 v85, 0x400000, v38
	v_cmp_u_f32_e32 vcc_lo, v38, v38
	v_add3_u32 v84, v84, v38, 0x7fff
	v_cndmask_b32_e32 v38, v84, v85, vcc_lo
	v_lshlrev_b32_e32 v84, 16, v45
	v_and_b32_e32 v9, 0xffff0000, v38
	v_mul_f32_e32 v84, v0, v84
	v_add_f32_e32 v9, v9, v16
	v_bfe_u32 v85, v84, 16, 1
	v_or_b32_e32 v86, 0x400000, v84
	v_cmp_u_f32_e32 vcc_lo, v84, v84
	v_add_f32_e32 v8, v8, v9
	v_add3_u32 v85, v85, v84, 0x7fff
	v_cndmask_b32_e32 v84, v85, v86, vcc_lo
	v_lshlrev_b32_e32 v85, 16, v87
	v_and_b32_e32 v16, 0xffff0000, v84
	v_mul_f32_e32 v85, v2, v85
	v_bfe_u32 v86, v85, 16, 1
	v_or_b32_e32 v87, 0x400000, v85
	v_cmp_u_f32_e32 vcc_lo, v85, v85
	v_add3_u32 v86, v86, v85, 0x7fff
	v_cndmask_b32_e32 v85, v86, v87, vcc_lo
	v_and_b32_e32 v9, 0xffff0000, v85
	v_add_f32_e32 v9, v9, v16
	v_add_f32_e32 v8, v8, v9
	buffer_load_dword v9, off, s[0:3], s32 offset:860 ; 4-byte Folded Reload
	s_waitcnt vmcnt(0)
	v_add_f32_e32 v9, v9, v8
	v_lshlrev_b32_e32 v8, 16, v81
	buffer_store_dword v9, off, s[0:3], s32 offset:860 ; 4-byte Folded Spill
	v_mul_f32_e32 v8, v6, v8
	v_bfe_u32 v9, v8, 16, 1
	v_or_b32_e32 v16, 0x400000, v8
	v_cmp_u_f32_e32 vcc_lo, v8, v8
	v_add3_u32 v9, v9, v8, 0x7fff
	v_cndmask_b32_e32 v8, v9, v16, vcc_lo
	v_lshlrev_b32_e32 v9, 16, v82
	v_and_b32_e32 v8, 0xffff0000, v8
	v_mul_f32_e32 v9, v7, v9
	v_bfe_u32 v16, v9, 16, 1
	v_or_b32_e32 v24, 0x400000, v9
	v_cmp_u_f32_e32 vcc_lo, v9, v9
	v_add3_u32 v16, v16, v9, 0x7fff
	v_cndmask_b32_e32 v9, v16, v24, vcc_lo
	v_lshlrev_b32_e32 v16, 16, v70
	v_and_b32_e32 v9, 0xffff0000, v9
	v_mul_f32_e32 v16, v3, v16
	v_add_f32_e32 v8, v9, v8
	v_bfe_u32 v24, v16, 16, 1
	v_or_b32_e32 v37, 0x400000, v16
	v_cmp_u_f32_e32 vcc_lo, v16, v16
	v_add3_u32 v24, v24, v16, 0x7fff
	v_cndmask_b32_e32 v16, v24, v37, vcc_lo
	v_lshlrev_b32_e32 v24, 16, v71
	v_and_b32_e32 v16, 0xffff0000, v16
	v_mul_f32_e32 v24, v5, v24
	v_bfe_u32 v37, v24, 16, 1
	v_or_b32_e32 v38, 0x400000, v24
	v_cmp_u_f32_e32 vcc_lo, v24, v24
	v_add3_u32 v37, v37, v24, 0x7fff
	v_cndmask_b32_e32 v24, v37, v38, vcc_lo
	v_lshlrev_b32_e32 v37, 16, v68
	v_and_b32_e32 v9, 0xffff0000, v24
	v_mul_f32_e32 v37, v1, v37
	v_add_f32_e32 v9, v9, v16
	v_bfe_u32 v38, v37, 16, 1
	v_or_b32_e32 v68, 0x400000, v37
	v_cmp_u_f32_e32 vcc_lo, v37, v37
	v_add_f32_e32 v8, v8, v9
	v_add3_u32 v38, v38, v37, 0x7fff
	v_cndmask_b32_e32 v37, v38, v68, vcc_lo
	v_lshlrev_b32_e32 v38, 16, v69
	v_and_b32_e32 v16, 0xffff0000, v37
	v_mul_f32_e32 v38, v4, v38
	v_bfe_u32 v68, v38, 16, 1
	v_or_b32_e32 v69, 0x400000, v38
	v_cmp_u_f32_e32 vcc_lo, v38, v38
	v_add3_u32 v68, v68, v38, 0x7fff
	v_cndmask_b32_e32 v38, v68, v69, vcc_lo
	v_lshlrev_b32_e32 v68, 16, v83
	v_and_b32_e32 v9, 0xffff0000, v38
	v_mul_f32_e32 v68, v0, v68
	v_add_f32_e32 v9, v9, v16
	v_bfe_u32 v69, v68, 16, 1
	v_or_b32_e32 v70, 0x400000, v68
	v_cmp_u_f32_e32 vcc_lo, v68, v68
	v_add_f32_e32 v8, v8, v9
	v_add3_u32 v69, v69, v68, 0x7fff
	v_cndmask_b32_e32 v68, v69, v70, vcc_lo
	v_lshlrev_b32_e32 v69, 16, v80
	v_and_b32_e32 v16, 0xffff0000, v68
	v_mul_f32_e32 v69, v2, v69
	v_bfe_u32 v70, v69, 16, 1
	v_or_b32_e32 v71, 0x400000, v69
	v_cmp_u_f32_e32 vcc_lo, v69, v69
	v_add3_u32 v70, v70, v69, 0x7fff
	v_cndmask_b32_e32 v69, v70, v71, vcc_lo
	v_and_b32_e32 v9, 0xffff0000, v69
	v_add_f32_e32 v9, v9, v16
	v_add_f32_e32 v8, v8, v9
	buffer_load_dword v9, off, s[0:3], s32 offset:864 ; 4-byte Folded Reload
	s_waitcnt vmcnt(0)
	v_add_f32_e32 v9, v9, v8
	v_lshlrev_b32_e32 v8, 16, v65
	buffer_store_dword v9, off, s[0:3], s32 offset:864 ; 4-byte Folded Spill
	v_mul_f32_e32 v8, v6, v8
	v_bfe_u32 v9, v8, 16, 1
	v_or_b32_e32 v16, 0x400000, v8
	v_cmp_u_f32_e32 vcc_lo, v8, v8
	v_add3_u32 v9, v9, v8, 0x7fff
	v_cndmask_b32_e32 v8, v9, v16, vcc_lo
	v_lshlrev_b32_e32 v9, 16, v66
	v_and_b32_e32 v8, 0xffff0000, v8
	v_mul_f32_e32 v9, v7, v9
	v_bfe_u32 v16, v9, 16, 1
	v_or_b32_e32 v24, 0x400000, v9
	v_cmp_u_f32_e32 vcc_lo, v9, v9
	v_add3_u32 v16, v16, v9, 0x7fff
	v_cndmask_b32_e32 v9, v16, v24, vcc_lo
	v_lshlrev_b32_e32 v16, 16, v54
	v_and_b32_e32 v9, 0xffff0000, v9
	v_mul_f32_e32 v16, v3, v16
	v_add_f32_e32 v8, v9, v8
	v_bfe_u32 v24, v16, 16, 1
	v_or_b32_e32 v37, 0x400000, v16
	v_cmp_u_f32_e32 vcc_lo, v16, v16
	v_add3_u32 v24, v24, v16, 0x7fff
	v_cndmask_b32_e32 v16, v24, v37, vcc_lo
	v_lshlrev_b32_e32 v24, 16, v55
	v_and_b32_e32 v16, 0xffff0000, v16
	v_mul_f32_e32 v24, v5, v24
	v_bfe_u32 v37, v24, 16, 1
	v_or_b32_e32 v38, 0x400000, v24
	v_cmp_u_f32_e32 vcc_lo, v24, v24
	v_add3_u32 v37, v37, v24, 0x7fff
	v_cndmask_b32_e32 v24, v37, v38, vcc_lo
	v_lshlrev_b32_e32 v37, 16, v52
	v_and_b32_e32 v9, 0xffff0000, v24
	v_mul_f32_e32 v37, v1, v37
	v_add_f32_e32 v9, v9, v16
	v_bfe_u32 v38, v37, 16, 1
	v_or_b32_e32 v52, 0x400000, v37
	v_cmp_u_f32_e32 vcc_lo, v37, v37
	v_add_f32_e32 v8, v8, v9
	v_add3_u32 v38, v38, v37, 0x7fff
	v_cndmask_b32_e32 v37, v38, v52, vcc_lo
	v_lshlrev_b32_e32 v38, 16, v53
	v_and_b32_e32 v16, 0xffff0000, v37
	v_mul_f32_e32 v38, v4, v38
	v_bfe_u32 v52, v38, 16, 1
	v_or_b32_e32 v53, 0x400000, v38
	v_cmp_u_f32_e32 vcc_lo, v38, v38
	v_add3_u32 v52, v52, v38, 0x7fff
	v_cndmask_b32_e32 v38, v52, v53, vcc_lo
	v_lshlrev_b32_e32 v52, 16, v67
	v_and_b32_e32 v9, 0xffff0000, v38
	v_mul_f32_e32 v52, v0, v52
	v_add_f32_e32 v9, v9, v16
	v_bfe_u32 v53, v52, 16, 1
	v_or_b32_e32 v54, 0x400000, v52
	v_cmp_u_f32_e32 vcc_lo, v52, v52
	v_add_f32_e32 v8, v8, v9
	v_add3_u32 v53, v53, v52, 0x7fff
	v_cndmask_b32_e32 v52, v53, v54, vcc_lo
	v_lshlrev_b32_e32 v53, 16, v64
	v_and_b32_e32 v16, 0xffff0000, v52
	v_mul_f32_e32 v53, v2, v53
	v_bfe_u32 v54, v53, 16, 1
	v_or_b32_e32 v55, 0x400000, v53
	v_cmp_u_f32_e32 vcc_lo, v53, v53
	v_add3_u32 v54, v54, v53, 0x7fff
	v_cndmask_b32_e32 v53, v54, v55, vcc_lo
	v_and_b32_e32 v9, 0xffff0000, v53
	v_add_f32_e32 v9, v9, v16
	v_add_f32_e32 v8, v8, v9
	buffer_load_dword v9, off, s[0:3], s32 offset:868 ; 4-byte Folded Reload
	s_waitcnt vmcnt(0)
	v_add_f32_e32 v9, v9, v8
	v_lshlrev_b32_e32 v8, 16, v49
	buffer_store_dword v9, off, s[0:3], s32 offset:868 ; 4-byte Folded Spill
	v_mul_f32_e32 v8, v6, v8
	v_bfe_u32 v9, v8, 16, 1
	v_or_b32_e32 v16, 0x400000, v8
	v_cmp_u_f32_e32 vcc_lo, v8, v8
	v_add3_u32 v9, v9, v8, 0x7fff
	v_cndmask_b32_e32 v8, v9, v16, vcc_lo
	v_lshlrev_b32_e32 v9, 16, v50
	v_and_b32_e32 v8, 0xffff0000, v8
	v_mul_f32_e32 v9, v7, v9
	v_bfe_u32 v16, v9, 16, 1
	v_or_b32_e32 v24, 0x400000, v9
	v_cmp_u_f32_e32 vcc_lo, v9, v9
	v_add3_u32 v16, v16, v9, 0x7fff
	v_cndmask_b32_e32 v9, v16, v24, vcc_lo
	v_lshlrev_b32_e32 v16, 16, v33
	v_and_b32_e32 v9, 0xffff0000, v9
	v_mul_f32_e32 v16, v3, v16
	v_add_f32_e32 v8, v9, v8
	v_bfe_u32 v24, v16, 16, 1
	v_or_b32_e32 v33, 0x400000, v16
	v_cmp_u_f32_e32 vcc_lo, v16, v16
	v_add3_u32 v24, v24, v16, 0x7fff
	v_cndmask_b32_e32 v16, v24, v33, vcc_lo
	v_lshlrev_b32_e32 v24, 16, v34
	v_and_b32_e32 v16, 0xffff0000, v16
	v_mul_f32_e32 v24, v5, v24
	v_bfe_u32 v33, v24, 16, 1
	v_or_b32_e32 v34, 0x400000, v24
	v_cmp_u_f32_e32 vcc_lo, v24, v24
	v_add3_u32 v33, v33, v24, 0x7fff
	v_cndmask_b32_e32 v24, v33, v34, vcc_lo
	v_bfe_u32 v33, v31, 16, 1
	v_or_b32_e32 v34, 0x400000, v31
	v_cmp_u_f32_e32 vcc_lo, v31, v31
	v_and_b32_e32 v9, 0xffff0000, v24
	v_add3_u32 v33, v33, v31, 0x7fff
	v_add_f32_e32 v9, v9, v16
	v_cndmask_b32_e32 v31, v33, v34, vcc_lo
	v_bfe_u32 v33, v32, 16, 1
	v_or_b32_e32 v34, 0x400000, v32
	v_cmp_u_f32_e32 vcc_lo, v32, v32
	v_add_f32_e32 v8, v8, v9
	v_and_b32_e32 v16, 0xffff0000, v31
	v_add3_u32 v33, v33, v32, 0x7fff
	v_cndmask_b32_e32 v32, v33, v34, vcc_lo
	v_lshlrev_b32_e32 v33, 16, v51
	v_and_b32_e32 v9, 0xffff0000, v32
	v_mul_f32_e32 v33, v0, v33
	v_add_f32_e32 v9, v9, v16
	v_bfe_u32 v34, v33, 16, 1
	v_or_b32_e32 v37, 0x400000, v33
	v_cmp_u_f32_e32 vcc_lo, v33, v33
	v_add_f32_e32 v8, v8, v9
	v_add3_u32 v34, v34, v33, 0x7fff
	v_cndmask_b32_e32 v33, v34, v37, vcc_lo
	v_lshlrev_b32_e32 v34, 16, v35
	v_and_b32_e32 v16, 0xffff0000, v33
	v_mul_f32_e32 v34, v2, v34
	v_bfe_u32 v35, v34, 16, 1
	v_or_b32_e32 v37, 0x400000, v34
	v_cmp_u_f32_e32 vcc_lo, v34, v34
	v_add3_u32 v35, v35, v34, 0x7fff
	v_cndmask_b32_e32 v34, v35, v37, vcc_lo
	v_and_b32_e32 v9, 0xffff0000, v34
	v_add_f32_e32 v9, v9, v16
	v_add_f32_e32 v8, v8, v9
	buffer_load_dword v9, off, s[0:3], s32 offset:872 ; 4-byte Folded Reload
	s_waitcnt vmcnt(0)
	v_add_f32_e32 v9, v9, v8
	v_lshlrev_b32_e32 v8, 16, v44
	buffer_store_dword v9, off, s[0:3], s32 offset:872 ; 4-byte Folded Spill
	v_mul_f32_e32 v8, v6, v8
	v_bfe_u32 v9, v8, 16, 1
	v_or_b32_e32 v16, 0x400000, v8
	v_cmp_u_f32_e32 vcc_lo, v8, v8
	v_add3_u32 v9, v9, v8, 0x7fff
	v_cndmask_b32_e32 v8, v9, v16, vcc_lo
	v_lshlrev_b32_e32 v9, 16, v29
	v_and_b32_e32 v8, 0xffff0000, v8
	v_mul_f32_e32 v9, v7, v9
	v_bfe_u32 v16, v9, 16, 1
	v_or_b32_e32 v24, 0x400000, v9
	v_cmp_u_f32_e32 vcc_lo, v9, v9
	v_add3_u32 v16, v16, v9, 0x7fff
	v_cndmask_b32_e32 v9, v16, v24, vcc_lo
	v_lshlrev_b32_e32 v16, 16, v41
	v_and_b32_e32 v9, 0xffff0000, v9
	v_mul_f32_e32 v16, v3, v16
	v_add_f32_e32 v8, v9, v8
	v_bfe_u32 v24, v16, 16, 1
	v_or_b32_e32 v29, 0x400000, v16
	v_cmp_u_f32_e32 vcc_lo, v16, v16
	v_add3_u32 v24, v24, v16, 0x7fff
	v_cndmask_b32_e32 v16, v24, v29, vcc_lo
	v_lshlrev_b32_e32 v24, 16, v103
	v_and_b32_e32 v16, 0xffff0000, v16
	v_mul_f32_e32 v24, v5, v24
	v_bfe_u32 v29, v24, 16, 1
	v_or_b32_e32 v31, 0x400000, v24
	v_cmp_u_f32_e32 vcc_lo, v24, v24
	v_add3_u32 v29, v29, v24, 0x7fff
	v_cndmask_b32_e32 v24, v29, v31, vcc_lo
	v_lshlrev_b32_e32 v29, 16, v119
	v_and_b32_e32 v9, 0xffff0000, v24
	v_mul_f32_e32 v29, v1, v29
	v_add_f32_e32 v9, v9, v16
	v_bfe_u32 v31, v29, 16, 1
	v_or_b32_e32 v32, 0x400000, v29
	v_cmp_u_f32_e32 vcc_lo, v29, v29
	v_add_f32_e32 v8, v8, v9
	v_add3_u32 v31, v31, v29, 0x7fff
	v_cndmask_b32_e32 v29, v31, v32, vcc_lo
	v_lshlrev_b32_e32 v31, 16, v40
	v_and_b32_e32 v16, 0xffff0000, v29
	v_mul_f32_e32 v31, v4, v31
	v_bfe_u32 v32, v31, 16, 1
	v_or_b32_e32 v33, 0x400000, v31
	v_cmp_u_f32_e32 vcc_lo, v31, v31
	v_add3_u32 v32, v32, v31, 0x7fff
	v_cndmask_b32_e32 v31, v32, v33, vcc_lo
	v_bfe_u32 v32, v30, 16, 1
	v_or_b32_e32 v33, 0x400000, v30
	v_cmp_u_f32_e32 vcc_lo, v30, v30
	v_and_b32_e32 v9, 0xffff0000, v31
	v_add3_u32 v32, v32, v30, 0x7fff
	v_add_f32_e32 v9, v9, v16
	v_cndmask_b32_e32 v30, v32, v33, vcc_lo
	v_lshlrev_b32_e32 v32, 16, v43
	v_add_f32_e32 v8, v8, v9
	v_and_b32_e32 v16, 0xffff0000, v30
	v_mul_f32_e32 v32, v2, v32
	v_bfe_u32 v33, v32, 16, 1
	v_or_b32_e32 v34, 0x400000, v32
	v_cmp_u_f32_e32 vcc_lo, v32, v32
	v_add3_u32 v33, v33, v32, 0x7fff
	v_cndmask_b32_e32 v32, v33, v34, vcc_lo
	v_and_b32_e32 v9, 0xffff0000, v32
	v_add_f32_e32 v9, v9, v16
	v_add_f32_e32 v8, v8, v9
	buffer_load_dword v9, off, s[0:3], s32 offset:876 ; 4-byte Folded Reload
	s_waitcnt vmcnt(0)
	v_add_f32_e32 v9, v9, v8
	v_lshlrev_b32_e32 v8, 16, v28
	buffer_store_dword v9, off, s[0:3], s32 offset:876 ; 4-byte Folded Spill
	v_mul_f32_e32 v8, v6, v8
	v_bfe_u32 v9, v8, 16, 1
	v_or_b32_e32 v16, 0x400000, v8
	v_cmp_u_f32_e32 vcc_lo, v8, v8
	v_add3_u32 v9, v9, v8, 0x7fff
	v_cndmask_b32_e32 v8, v9, v16, vcc_lo
	v_lshlrev_b32_e32 v9, 16, v99
	v_and_b32_e32 v8, 0xffff0000, v8
	v_mul_f32_e32 v9, v7, v9
	v_bfe_u32 v16, v9, 16, 1
	v_or_b32_e32 v24, 0x400000, v9
	v_cmp_u_f32_e32 vcc_lo, v9, v9
	v_add3_u32 v16, v16, v9, 0x7fff
	v_cndmask_b32_e32 v9, v16, v24, vcc_lo
	v_lshlrev_b32_e32 v16, 16, v48
	v_and_b32_e32 v9, 0xffff0000, v9
	v_mul_f32_e32 v16, v3, v16
	v_add_f32_e32 v8, v9, v8
	v_bfe_u32 v24, v16, 16, 1
	v_or_b32_e32 v28, 0x400000, v16
	v_cmp_u_f32_e32 vcc_lo, v16, v16
	v_add3_u32 v24, v24, v16, 0x7fff
	v_cndmask_b32_e32 v16, v24, v28, vcc_lo
	v_bfe_u32 v24, v22, 16, 1
	v_or_b32_e32 v28, 0x400000, v22
	v_cmp_u_f32_e32 vcc_lo, v22, v22
	v_and_b32_e32 v16, 0xffff0000, v16
	v_add3_u32 v24, v24, v22, 0x7fff
	v_cndmask_b32_e32 v22, v24, v28, vcc_lo
	v_lshlrev_b32_e32 v24, 16, v25
	v_and_b32_e32 v9, 0xffff0000, v22
	v_mul_f32_e32 v24, v1, v24
	v_add_f32_e32 v9, v9, v16
	v_bfe_u32 v25, v24, 16, 1
	v_or_b32_e32 v28, 0x400000, v24
	v_cmp_u_f32_e32 vcc_lo, v24, v24
	v_add_f32_e32 v8, v8, v9
	v_add3_u32 v25, v25, v24, 0x7fff
	v_cndmask_b32_e32 v24, v25, v28, vcc_lo
	v_lshlrev_b32_e32 v25, 16, v26
	v_and_b32_e32 v16, 0xffff0000, v24
	v_mul_f32_e32 v25, v4, v25
	v_bfe_u32 v26, v25, 16, 1
	v_or_b32_e32 v28, 0x400000, v25
	v_cmp_u_f32_e32 vcc_lo, v25, v25
	v_add3_u32 v26, v26, v25, 0x7fff
	v_cndmask_b32_e32 v25, v26, v28, vcc_lo
	v_lshlrev_b32_e32 v26, 16, v118
	v_and_b32_e32 v9, 0xffff0000, v25
	v_mul_f32_e32 v26, v0, v26
	v_add_f32_e32 v9, v9, v16
	v_bfe_u32 v28, v26, 16, 1
	v_or_b32_e32 v29, 0x400000, v26
	v_cmp_u_f32_e32 vcc_lo, v26, v26
	v_add_f32_e32 v8, v8, v9
	v_add3_u32 v28, v28, v26, 0x7fff
	v_cndmask_b32_e32 v26, v28, v29, vcc_lo
	v_bfe_u32 v28, v21, 16, 1
	v_or_b32_e32 v29, 0x400000, v21
	v_cmp_u_f32_e32 vcc_lo, v21, v21
	v_and_b32_e32 v16, 0xffff0000, v26
	v_add3_u32 v28, v28, v21, 0x7fff
	v_cndmask_b32_e32 v21, v28, v29, vcc_lo
	v_and_b32_e32 v9, 0xffff0000, v21
	v_add_f32_e32 v9, v9, v16
	v_add_f32_e32 v8, v8, v9
	buffer_load_dword v9, off, s[0:3], s32 offset:880 ; 4-byte Folded Reload
	s_waitcnt vmcnt(0)
	v_add_f32_e32 v9, v9, v8
	v_lshlrev_b32_e32 v8, 16, v117
	buffer_store_dword v9, off, s[0:3], s32 offset:880 ; 4-byte Folded Spill
	v_mul_f32_e32 v8, v6, v8
	v_bfe_u32 v9, v8, 16, 1
	v_or_b32_e32 v16, 0x400000, v8
	v_cmp_u_f32_e32 vcc_lo, v8, v8
	v_add3_u32 v9, v9, v8, 0x7fff
	v_cndmask_b32_e32 v8, v9, v16, vcc_lo
	v_lshlrev_b32_e32 v9, 16, v10
	v_and_b32_e32 v8, 0xffff0000, v8
	v_mul_f32_e32 v9, v7, v9
	v_bfe_u32 v10, v9, 16, 1
	v_or_b32_e32 v16, 0x400000, v9
	v_cmp_u_f32_e32 vcc_lo, v9, v9
	v_add3_u32 v10, v10, v9, 0x7fff
	v_cndmask_b32_e32 v9, v10, v16, vcc_lo
	v_lshlrev_b32_e32 v10, 16, v101
	v_and_b32_e32 v9, 0xffff0000, v9
	v_mul_f32_e32 v10, v3, v10
	v_add_f32_e32 v8, v9, v8
	v_bfe_u32 v16, v10, 16, 1
	v_or_b32_e32 v21, 0x400000, v10
	v_cmp_u_f32_e32 vcc_lo, v10, v10
	v_add3_u32 v16, v16, v10, 0x7fff
	v_cndmask_b32_e32 v10, v16, v21, vcc_lo
	v_lshlrev_b32_e32 v16, 16, v102
	v_and_b32_e32 v10, 0xffff0000, v10
	v_mul_f32_e32 v16, v5, v16
	v_bfe_u32 v21, v16, 16, 1
	v_or_b32_e32 v22, 0x400000, v16
	v_cmp_u_f32_e32 vcc_lo, v16, v16
	v_add3_u32 v21, v21, v16, 0x7fff
	v_cndmask_b32_e32 v16, v21, v22, vcc_lo
	v_lshlrev_b32_e32 v21, 16, v98
	v_and_b32_e32 v9, 0xffff0000, v16
	v_mul_f32_e32 v21, v1, v21
	v_add_f32_e32 v9, v9, v10
	v_bfe_u32 v22, v21, 16, 1
	v_or_b32_e32 v24, 0x400000, v21
	v_cmp_u_f32_e32 vcc_lo, v21, v21
	v_add_f32_e32 v8, v8, v9
	v_add3_u32 v22, v22, v21, 0x7fff
	v_cndmask_b32_e32 v21, v22, v24, vcc_lo
	v_lshlrev_b32_e32 v22, 16, v100
	v_and_b32_e32 v10, 0xffff0000, v21
	v_mul_f32_e32 v22, v4, v22
	v_bfe_u32 v24, v22, 16, 1
	v_or_b32_e32 v25, 0x400000, v22
	v_cmp_u_f32_e32 vcc_lo, v22, v22
	v_add3_u32 v24, v24, v22, 0x7fff
	v_cndmask_b32_e32 v22, v24, v25, vcc_lo
	v_bfe_u32 v24, v11, 16, 1
	v_or_b32_e32 v25, 0x400000, v11
	v_cmp_u_f32_e32 vcc_lo, v11, v11
	v_and_b32_e32 v9, 0xffff0000, v22
	v_add3_u32 v24, v24, v11, 0x7fff
	v_add_f32_e32 v9, v9, v10
	v_cndmask_b32_e32 v11, v24, v25, vcc_lo
	v_lshlrev_b32_e32 v24, 16, v36
	v_add_f32_e32 v8, v8, v9
	v_and_b32_e32 v10, 0xffff0000, v11
	v_mul_f32_e32 v24, v2, v24
	v_bfe_u32 v25, v24, 16, 1
	v_or_b32_e32 v26, 0x400000, v24
	v_cmp_u_f32_e32 vcc_lo, v24, v24
	v_add3_u32 v25, v25, v24, 0x7fff
	v_cndmask_b32_e32 v24, v25, v26, vcc_lo
	v_and_b32_e32 v9, 0xffff0000, v24
	v_add_f32_e32 v9, v9, v10
	v_add_f32_e32 v8, v8, v9
	buffer_load_dword v9, off, s[0:3], s32 offset:884 ; 4-byte Folded Reload
	s_waitcnt vmcnt(0)
	v_add_f32_e32 v9, v9, v8
	v_lshlrev_b32_e32 v8, 16, v122
	buffer_store_dword v9, off, s[0:3], s32 offset:884 ; 4-byte Folded Spill
	v_mul_f32_e32 v8, v6, v8
	v_bfe_u32 v9, v8, 16, 1
	v_or_b32_e32 v10, 0x400000, v8
	v_cmp_u_f32_e32 vcc_lo, v8, v8
	v_add3_u32 v9, v9, v8, 0x7fff
	v_cndmask_b32_e32 v8, v9, v10, vcc_lo
	v_lshlrev_b32_e32 v9, 16, v126
	v_and_b32_e32 v8, 0xffff0000, v8
	v_mul_f32_e32 v9, v7, v9
	v_bfe_u32 v10, v9, 16, 1
	v_or_b32_e32 v11, 0x400000, v9
	v_cmp_u_f32_e32 vcc_lo, v9, v9
	v_add3_u32 v10, v10, v9, 0x7fff
	v_cndmask_b32_e32 v9, v10, v11, vcc_lo
	v_lshlrev_b32_e32 v10, 16, v111
	v_and_b32_e32 v9, 0xffff0000, v9
	v_mul_f32_e32 v10, v3, v10
	v_add_f32_e32 v8, v9, v8
	v_bfe_u32 v11, v10, 16, 1
	v_or_b32_e32 v16, 0x400000, v10
	v_cmp_u_f32_e32 vcc_lo, v10, v10
	v_add3_u32 v11, v11, v10, 0x7fff
	v_cndmask_b32_e32 v10, v11, v16, vcc_lo
	v_lshlrev_b32_e32 v11, 16, v120
	v_and_b32_e32 v10, 0xffff0000, v10
	v_mul_f32_e32 v11, v5, v11
	v_bfe_u32 v16, v11, 16, 1
	v_or_b32_e32 v21, 0x400000, v11
	v_cmp_u_f32_e32 vcc_lo, v11, v11
	v_add3_u32 v16, v16, v11, 0x7fff
	v_cndmask_b32_e32 v11, v16, v21, vcc_lo
	v_lshlrev_b32_e32 v16, 16, v109
	v_and_b32_e32 v9, 0xffff0000, v11
	v_mul_f32_e32 v16, v1, v16
	v_add_f32_e32 v9, v9, v10
	v_bfe_u32 v21, v16, 16, 1
	v_or_b32_e32 v22, 0x400000, v16
	v_cmp_u_f32_e32 vcc_lo, v16, v16
	v_add_f32_e32 v8, v8, v9
	v_add3_u32 v21, v21, v16, 0x7fff
	v_cndmask_b32_e32 v16, v21, v22, vcc_lo
	v_lshlrev_b32_e32 v21, 16, v110
	v_and_b32_e32 v10, 0xffff0000, v16
	v_mul_f32_e32 v21, v4, v21
	v_bfe_u32 v22, v21, 16, 1
	v_or_b32_e32 v24, 0x400000, v21
	v_cmp_u_f32_e32 vcc_lo, v21, v21
	v_add3_u32 v22, v22, v21, 0x7fff
	v_cndmask_b32_e32 v21, v22, v24, vcc_lo
	v_lshlrev_b32_e32 v22, 16, v123
	v_and_b32_e32 v9, 0xffff0000, v21
	v_mul_f32_e32 v22, v0, v22
	v_add_f32_e32 v9, v9, v10
	v_bfe_u32 v24, v22, 16, 1
	v_or_b32_e32 v25, 0x400000, v22
	v_cmp_u_f32_e32 vcc_lo, v22, v22
	v_add_f32_e32 v8, v8, v9
	v_add3_u32 v24, v24, v22, 0x7fff
	v_cndmask_b32_e32 v22, v24, v25, vcc_lo
	v_lshlrev_b32_e32 v24, 16, v121
	v_and_b32_e32 v10, 0xffff0000, v22
	v_mul_f32_e32 v24, v2, v24
	v_bfe_u32 v25, v24, 16, 1
	v_or_b32_e32 v26, 0x400000, v24
	v_cmp_u_f32_e32 vcc_lo, v24, v24
	v_add3_u32 v25, v25, v24, 0x7fff
	v_cndmask_b32_e32 v24, v25, v26, vcc_lo
	v_and_b32_e32 v9, 0xffff0000, v24
	v_add_f32_e32 v9, v9, v10
	v_add_f32_e32 v8, v8, v9
	buffer_load_dword v9, off, s[0:3], s32 offset:888 ; 4-byte Folded Reload
	s_waitcnt vmcnt(0)
	v_add_f32_e32 v9, v9, v8
	buffer_load_dword v8, off, s[0:3], s32 offset:824 ; 4-byte Folded Reload
	buffer_store_dword v9, off, s[0:3], s32 offset:888 ; 4-byte Folded Spill
	s_waitcnt vmcnt(0)
	v_lshlrev_b32_e32 v8, 16, v8
	v_mul_f32_e32 v8, v6, v8
	v_bfe_u32 v9, v8, 16, 1
	v_or_b32_e32 v10, 0x400000, v8
	v_cmp_u_f32_e32 vcc_lo, v8, v8
	v_add3_u32 v9, v9, v8, 0x7fff
	v_cndmask_b32_e32 v8, v9, v10, vcc_lo
	buffer_load_dword v9, off, s[0:3], s32 offset:828 ; 4-byte Folded Reload
	v_and_b32_e32 v8, 0xffff0000, v8
	s_waitcnt vmcnt(0)
	v_lshlrev_b32_e32 v9, 16, v9
	v_mul_f32_e32 v9, v7, v9
	v_bfe_u32 v10, v9, 16, 1
	v_or_b32_e32 v11, 0x400000, v9
	v_cmp_u_f32_e32 vcc_lo, v9, v9
	v_add3_u32 v10, v10, v9, 0x7fff
	v_cndmask_b32_e32 v9, v10, v11, vcc_lo
	buffer_load_dword v10, off, s[0:3], s32 offset:812 ; 4-byte Folded Reload
	v_and_b32_e32 v9, 0xffff0000, v9
	v_add_f32_e32 v8, v9, v8
	s_waitcnt vmcnt(0)
	v_lshlrev_b32_e32 v10, 16, v10
	v_mul_f32_e32 v10, v3, v10
	v_bfe_u32 v11, v10, 16, 1
	v_or_b32_e32 v16, 0x400000, v10
	v_cmp_u_f32_e32 vcc_lo, v10, v10
	v_add3_u32 v11, v11, v10, 0x7fff
	v_cndmask_b32_e32 v10, v11, v16, vcc_lo
	buffer_load_dword v11, off, s[0:3], s32 offset:816 ; 4-byte Folded Reload
	v_and_b32_e32 v10, 0xffff0000, v10
	s_waitcnt vmcnt(0)
	v_lshlrev_b32_e32 v11, 16, v11
	v_mul_f32_e32 v11, v5, v11
	v_bfe_u32 v16, v11, 16, 1
	v_or_b32_e32 v21, 0x400000, v11
	v_cmp_u_f32_e32 vcc_lo, v11, v11
	v_add3_u32 v16, v16, v11, 0x7fff
	v_cndmask_b32_e32 v11, v16, v21, vcc_lo
	buffer_load_dword v16, off, s[0:3], s32 offset:804 ; 4-byte Folded Reload
	v_and_b32_e32 v9, 0xffff0000, v11
	v_add_f32_e32 v9, v9, v10
	v_add_f32_e32 v8, v8, v9
	s_waitcnt vmcnt(0)
	v_lshlrev_b32_e32 v16, 16, v16
	v_mul_f32_e32 v16, v1, v16
	v_bfe_u32 v21, v16, 16, 1
	v_or_b32_e32 v22, 0x400000, v16
	v_cmp_u_f32_e32 vcc_lo, v16, v16
	v_add3_u32 v21, v21, v16, 0x7fff
	v_cndmask_b32_e32 v16, v21, v22, vcc_lo
	buffer_load_dword v21, off, s[0:3], s32 offset:808 ; 4-byte Folded Reload
	v_and_b32_e32 v10, 0xffff0000, v16
	s_waitcnt vmcnt(0)
	v_lshlrev_b32_e32 v21, 16, v21
	v_mul_f32_e32 v21, v4, v21
	v_bfe_u32 v22, v21, 16, 1
	v_or_b32_e32 v24, 0x400000, v21
	v_cmp_u_f32_e32 vcc_lo, v21, v21
	v_add3_u32 v22, v22, v21, 0x7fff
	v_cndmask_b32_e32 v21, v22, v24, vcc_lo
	v_lshlrev_b32_e32 v22, 16, v108
	v_and_b32_e32 v9, 0xffff0000, v21
	v_mul_f32_e32 v22, v0, v22
	v_add_f32_e32 v9, v9, v10
	v_bfe_u32 v24, v22, 16, 1
	v_or_b32_e32 v25, 0x400000, v22
	v_cmp_u_f32_e32 vcc_lo, v22, v22
	v_add_f32_e32 v8, v8, v9
	v_add3_u32 v24, v24, v22, 0x7fff
	v_cndmask_b32_e32 v22, v24, v25, vcc_lo
	buffer_load_dword v24, off, s[0:3], s32 offset:820 ; 4-byte Folded Reload
	v_and_b32_e32 v10, 0xffff0000, v22
	s_waitcnt vmcnt(0)
	v_lshlrev_b32_e32 v24, 16, v24
	v_mul_f32_e32 v24, v2, v24
	v_bfe_u32 v25, v24, 16, 1
	v_or_b32_e32 v26, 0x400000, v24
	v_cmp_u_f32_e32 vcc_lo, v24, v24
	v_add3_u32 v25, v25, v24, 0x7fff
	v_cndmask_b32_e32 v24, v25, v26, vcc_lo
	v_and_b32_e32 v9, 0xffff0000, v24
	v_add_f32_e32 v9, v9, v10
	v_add_f32_e32 v8, v8, v9
	buffer_load_dword v9, off, s[0:3], s32 offset:892 ; 4-byte Folded Reload
	s_waitcnt vmcnt(0)
	v_add_f32_e32 v9, v9, v8
	buffer_load_dword v8, off, s[0:3], s32 offset:792 ; 4-byte Folded Reload
	buffer_store_dword v9, off, s[0:3], s32 offset:892 ; 4-byte Folded Spill
	s_waitcnt vmcnt(0)
	v_lshlrev_b32_e32 v8, 16, v8
	v_mul_f32_e32 v8, v6, v8
	v_bfe_u32 v9, v8, 16, 1
	v_or_b32_e32 v10, 0x400000, v8
	v_cmp_u_f32_e32 vcc_lo, v8, v8
	v_add3_u32 v9, v9, v8, 0x7fff
	v_cndmask_b32_e32 v8, v9, v10, vcc_lo
	buffer_load_dword v9, off, s[0:3], s32 offset:796 ; 4-byte Folded Reload
	v_and_b32_e32 v8, 0xffff0000, v8
	s_waitcnt vmcnt(0)
	v_lshlrev_b32_e32 v9, 16, v9
	v_mul_f32_e32 v9, v7, v9
	v_bfe_u32 v10, v9, 16, 1
	v_or_b32_e32 v11, 0x400000, v9
	v_cmp_u_f32_e32 vcc_lo, v9, v9
	v_add3_u32 v10, v10, v9, 0x7fff
	v_cndmask_b32_e32 v9, v10, v11, vcc_lo
	buffer_load_dword v10, off, s[0:3], s32 offset:780 ; 4-byte Folded Reload
	v_and_b32_e32 v9, 0xffff0000, v9
	v_add_f32_e32 v8, v9, v8
	s_waitcnt vmcnt(0)
	v_lshlrev_b32_e32 v10, 16, v10
	v_mul_f32_e32 v10, v3, v10
	v_bfe_u32 v11, v10, 16, 1
	v_or_b32_e32 v16, 0x400000, v10
	v_cmp_u_f32_e32 vcc_lo, v10, v10
	v_add3_u32 v11, v11, v10, 0x7fff
	v_cndmask_b32_e32 v10, v11, v16, vcc_lo
	buffer_load_dword v11, off, s[0:3], s32 offset:784 ; 4-byte Folded Reload
	v_and_b32_e32 v10, 0xffff0000, v10
	s_waitcnt vmcnt(0)
	v_lshlrev_b32_e32 v11, 16, v11
	v_mul_f32_e32 v11, v5, v11
	v_bfe_u32 v16, v11, 16, 1
	v_or_b32_e32 v21, 0x400000, v11
	v_cmp_u_f32_e32 vcc_lo, v11, v11
	v_add3_u32 v16, v16, v11, 0x7fff
	v_cndmask_b32_e32 v11, v16, v21, vcc_lo
	buffer_load_dword v16, off, s[0:3], s32 offset:772 ; 4-byte Folded Reload
	v_and_b32_e32 v9, 0xffff0000, v11
	v_add_f32_e32 v9, v9, v10
	v_add_f32_e32 v8, v8, v9
	s_waitcnt vmcnt(0)
	v_lshlrev_b32_e32 v16, 16, v16
	v_mul_f32_e32 v16, v1, v16
	v_bfe_u32 v21, v16, 16, 1
	v_or_b32_e32 v22, 0x400000, v16
	v_cmp_u_f32_e32 vcc_lo, v16, v16
	v_add3_u32 v21, v21, v16, 0x7fff
	v_cndmask_b32_e32 v16, v21, v22, vcc_lo
	buffer_load_dword v21, off, s[0:3], s32 offset:776 ; 4-byte Folded Reload
	v_and_b32_e32 v10, 0xffff0000, v16
	s_waitcnt vmcnt(0)
	v_lshlrev_b32_e32 v21, 16, v21
	v_mul_f32_e32 v21, v4, v21
	v_bfe_u32 v22, v21, 16, 1
	v_or_b32_e32 v24, 0x400000, v21
	v_cmp_u_f32_e32 vcc_lo, v21, v21
	v_add3_u32 v22, v22, v21, 0x7fff
	v_cndmask_b32_e32 v21, v22, v24, vcc_lo
	buffer_load_dword v22, off, s[0:3], s32 offset:800 ; 4-byte Folded Reload
	v_and_b32_e32 v9, 0xffff0000, v21
	v_add_f32_e32 v9, v9, v10
	v_add_f32_e32 v8, v8, v9
	s_waitcnt vmcnt(0)
	v_lshlrev_b32_e32 v22, 16, v22
	v_mul_f32_e32 v22, v0, v22
	v_bfe_u32 v24, v22, 16, 1
	v_or_b32_e32 v25, 0x400000, v22
	v_cmp_u_f32_e32 vcc_lo, v22, v22
	v_add3_u32 v24, v24, v22, 0x7fff
	v_cndmask_b32_e32 v22, v24, v25, vcc_lo
	buffer_load_dword v24, off, s[0:3], s32 offset:788 ; 4-byte Folded Reload
	v_and_b32_e32 v10, 0xffff0000, v22
	s_waitcnt vmcnt(0)
	v_lshlrev_b32_e32 v24, 16, v24
	v_mul_f32_e32 v24, v2, v24
	v_bfe_u32 v25, v24, 16, 1
	v_or_b32_e32 v26, 0x400000, v24
	v_cmp_u_f32_e32 vcc_lo, v24, v24
	v_add3_u32 v25, v25, v24, 0x7fff
	v_cndmask_b32_e32 v24, v25, v26, vcc_lo
	v_and_b32_e32 v9, 0xffff0000, v24
	v_add_f32_e32 v9, v9, v10
	v_add_f32_e32 v8, v8, v9
	buffer_load_dword v9, off, s[0:3], s32 offset:896 ; 4-byte Folded Reload
	s_waitcnt vmcnt(0)
	v_add_f32_e32 v9, v9, v8
	buffer_load_dword v8, off, s[0:3], s32 offset:756 ; 4-byte Folded Reload
	buffer_store_dword v9, off, s[0:3], s32 offset:896 ; 4-byte Folded Spill
	s_waitcnt vmcnt(0)
	v_lshlrev_b32_e32 v8, 16, v8
	v_mul_f32_e32 v8, v6, v8
	v_bfe_u32 v9, v8, 16, 1
	v_or_b32_e32 v10, 0x400000, v8
	v_cmp_u_f32_e32 vcc_lo, v8, v8
	v_add3_u32 v9, v9, v8, 0x7fff
	v_cndmask_b32_e32 v8, v9, v10, vcc_lo
	buffer_load_dword v9, off, s[0:3], s32 offset:760 ; 4-byte Folded Reload
	v_and_b32_e32 v8, 0xffff0000, v8
	s_waitcnt vmcnt(0)
	v_lshlrev_b32_e32 v9, 16, v9
	v_mul_f32_e32 v9, v7, v9
	v_bfe_u32 v10, v9, 16, 1
	v_or_b32_e32 v11, 0x400000, v9
	v_cmp_u_f32_e32 vcc_lo, v9, v9
	v_add3_u32 v10, v10, v9, 0x7fff
	v_cndmask_b32_e32 v9, v10, v11, vcc_lo
	buffer_load_dword v10, off, s[0:3], s32 offset:744 ; 4-byte Folded Reload
	v_and_b32_e32 v9, 0xffff0000, v9
	v_add_f32_e32 v8, v9, v8
	s_waitcnt vmcnt(0)
	v_lshlrev_b32_e32 v10, 16, v10
	v_mul_f32_e32 v10, v3, v10
	v_bfe_u32 v11, v10, 16, 1
	v_or_b32_e32 v16, 0x400000, v10
	v_cmp_u_f32_e32 vcc_lo, v10, v10
	v_add3_u32 v11, v11, v10, 0x7fff
	v_cndmask_b32_e32 v10, v11, v16, vcc_lo
	buffer_load_dword v11, off, s[0:3], s32 offset:748 ; 4-byte Folded Reload
	v_and_b32_e32 v10, 0xffff0000, v10
	s_waitcnt vmcnt(0)
	v_lshlrev_b32_e32 v11, 16, v11
	v_mul_f32_e32 v11, v5, v11
	v_bfe_u32 v16, v11, 16, 1
	v_or_b32_e32 v21, 0x400000, v11
	v_cmp_u_f32_e32 vcc_lo, v11, v11
	v_add3_u32 v16, v16, v11, 0x7fff
	v_cndmask_b32_e32 v11, v16, v21, vcc_lo
	buffer_load_dword v16, off, s[0:3], s32 offset:736 ; 4-byte Folded Reload
	v_and_b32_e32 v9, 0xffff0000, v11
	v_add_f32_e32 v9, v9, v10
	v_add_f32_e32 v8, v8, v9
	s_waitcnt vmcnt(0)
	v_lshlrev_b32_e32 v16, 16, v16
	v_mul_f32_e32 v16, v1, v16
	v_bfe_u32 v21, v16, 16, 1
	v_or_b32_e32 v22, 0x400000, v16
	v_cmp_u_f32_e32 vcc_lo, v16, v16
	v_add3_u32 v21, v21, v16, 0x7fff
	v_cndmask_b32_e32 v16, v21, v22, vcc_lo
	buffer_load_dword v21, off, s[0:3], s32 offset:740 ; 4-byte Folded Reload
	v_and_b32_e32 v10, 0xffff0000, v16
	s_waitcnt vmcnt(0)
	v_lshlrev_b32_e32 v21, 16, v21
	v_mul_f32_e32 v21, v4, v21
	v_bfe_u32 v22, v21, 16, 1
	v_or_b32_e32 v24, 0x400000, v21
	v_cmp_u_f32_e32 vcc_lo, v21, v21
	v_add3_u32 v22, v22, v21, 0x7fff
	v_cndmask_b32_e32 v21, v22, v24, vcc_lo
	buffer_load_dword v22, off, s[0:3], s32 offset:764 ; 4-byte Folded Reload
	v_and_b32_e32 v9, 0xffff0000, v21
	v_add_f32_e32 v9, v9, v10
	v_add_f32_e32 v8, v8, v9
	s_waitcnt vmcnt(0)
	v_lshlrev_b32_e32 v22, 16, v22
	v_mul_f32_e32 v22, v0, v22
	v_bfe_u32 v24, v22, 16, 1
	v_or_b32_e32 v25, 0x400000, v22
	v_cmp_u_f32_e32 vcc_lo, v22, v22
	v_add3_u32 v24, v24, v22, 0x7fff
	v_cndmask_b32_e32 v22, v24, v25, vcc_lo
	buffer_load_dword v24, off, s[0:3], s32 offset:752 ; 4-byte Folded Reload
	v_and_b32_e32 v10, 0xffff0000, v22
	s_waitcnt vmcnt(0)
	v_lshlrev_b32_e32 v24, 16, v24
	v_mul_f32_e32 v24, v2, v24
	v_bfe_u32 v25, v24, 16, 1
	v_or_b32_e32 v26, 0x400000, v24
	v_cmp_u_f32_e32 vcc_lo, v24, v24
	v_add3_u32 v25, v25, v24, 0x7fff
	v_cndmask_b32_e32 v24, v25, v26, vcc_lo
	v_and_b32_e32 v9, 0xffff0000, v24
	v_add_f32_e32 v9, v9, v10
	v_add_f32_e32 v8, v8, v9
	buffer_load_dword v9, off, s[0:3], s32 offset:900 ; 4-byte Folded Reload
	s_waitcnt vmcnt(0)
	v_add_f32_e32 v9, v9, v8
	buffer_load_dword v8, off, s[0:3], s32 offset:724 ; 4-byte Folded Reload
	buffer_store_dword v9, off, s[0:3], s32 offset:900 ; 4-byte Folded Spill
	s_waitcnt vmcnt(0)
	v_lshlrev_b32_e32 v8, 16, v8
	v_mul_f32_e32 v8, v6, v8
	v_bfe_u32 v9, v8, 16, 1
	v_or_b32_e32 v10, 0x400000, v8
	v_cmp_u_f32_e32 vcc_lo, v8, v8
	v_add3_u32 v9, v9, v8, 0x7fff
	v_cndmask_b32_e32 v8, v9, v10, vcc_lo
	buffer_load_dword v9, off, s[0:3], s32 offset:728 ; 4-byte Folded Reload
	v_and_b32_e32 v8, 0xffff0000, v8
	s_waitcnt vmcnt(0)
	v_lshlrev_b32_e32 v9, 16, v9
	v_mul_f32_e32 v9, v7, v9
	v_bfe_u32 v10, v9, 16, 1
	v_or_b32_e32 v11, 0x400000, v9
	v_cmp_u_f32_e32 vcc_lo, v9, v9
	v_add3_u32 v10, v10, v9, 0x7fff
	v_cndmask_b32_e32 v9, v10, v11, vcc_lo
	buffer_load_dword v10, off, s[0:3], s32 offset:712 ; 4-byte Folded Reload
	v_and_b32_e32 v9, 0xffff0000, v9
	v_add_f32_e32 v8, v9, v8
	s_waitcnt vmcnt(0)
	v_lshlrev_b32_e32 v10, 16, v10
	v_mul_f32_e32 v10, v3, v10
	v_bfe_u32 v11, v10, 16, 1
	v_or_b32_e32 v16, 0x400000, v10
	v_cmp_u_f32_e32 vcc_lo, v10, v10
	v_add3_u32 v11, v11, v10, 0x7fff
	v_cndmask_b32_e32 v10, v11, v16, vcc_lo
	buffer_load_dword v11, off, s[0:3], s32 offset:716 ; 4-byte Folded Reload
	v_and_b32_e32 v10, 0xffff0000, v10
	s_waitcnt vmcnt(0)
	v_lshlrev_b32_e32 v11, 16, v11
	v_mul_f32_e32 v11, v5, v11
	v_bfe_u32 v16, v11, 16, 1
	v_or_b32_e32 v21, 0x400000, v11
	v_cmp_u_f32_e32 vcc_lo, v11, v11
	v_add3_u32 v16, v16, v11, 0x7fff
	v_cndmask_b32_e32 v11, v16, v21, vcc_lo
	buffer_load_dword v16, off, s[0:3], s32 offset:704 ; 4-byte Folded Reload
	v_and_b32_e32 v9, 0xffff0000, v11
	v_add_f32_e32 v9, v9, v10
	v_add_f32_e32 v8, v8, v9
	s_waitcnt vmcnt(0)
	v_lshlrev_b32_e32 v16, 16, v16
	v_mul_f32_e32 v16, v1, v16
	v_bfe_u32 v21, v16, 16, 1
	v_or_b32_e32 v22, 0x400000, v16
	v_cmp_u_f32_e32 vcc_lo, v16, v16
	v_add3_u32 v21, v21, v16, 0x7fff
	v_cndmask_b32_e32 v16, v21, v22, vcc_lo
	buffer_load_dword v21, off, s[0:3], s32 offset:708 ; 4-byte Folded Reload
	v_and_b32_e32 v10, 0xffff0000, v16
	s_waitcnt vmcnt(0)
	v_lshlrev_b32_e32 v21, 16, v21
	v_mul_f32_e32 v21, v4, v21
	v_bfe_u32 v22, v21, 16, 1
	v_or_b32_e32 v24, 0x400000, v21
	v_cmp_u_f32_e32 vcc_lo, v21, v21
	v_add3_u32 v22, v22, v21, 0x7fff
	v_cndmask_b32_e32 v21, v22, v24, vcc_lo
	buffer_load_dword v22, off, s[0:3], s32 offset:732 ; 4-byte Folded Reload
	v_and_b32_e32 v9, 0xffff0000, v21
	v_add_f32_e32 v9, v9, v10
	v_add_f32_e32 v8, v8, v9
	s_waitcnt vmcnt(0)
	v_lshlrev_b32_e32 v22, 16, v22
	v_mul_f32_e32 v22, v0, v22
	v_bfe_u32 v24, v22, 16, 1
	v_or_b32_e32 v25, 0x400000, v22
	v_cmp_u_f32_e32 vcc_lo, v22, v22
	v_add3_u32 v24, v24, v22, 0x7fff
	v_cndmask_b32_e32 v22, v24, v25, vcc_lo
	buffer_load_dword v24, off, s[0:3], s32 offset:720 ; 4-byte Folded Reload
	v_and_b32_e32 v10, 0xffff0000, v22
	s_waitcnt vmcnt(0)
	v_lshlrev_b32_e32 v24, 16, v24
	v_mul_f32_e32 v24, v2, v24
	v_bfe_u32 v25, v24, 16, 1
	v_or_b32_e32 v26, 0x400000, v24
	v_cmp_u_f32_e32 vcc_lo, v24, v24
	v_add3_u32 v25, v25, v24, 0x7fff
	v_cndmask_b32_e32 v24, v25, v26, vcc_lo
	v_and_b32_e32 v9, 0xffff0000, v24
	v_add_f32_e32 v9, v9, v10
	v_add_f32_e32 v8, v8, v9
	buffer_load_dword v9, off, s[0:3], s32 offset:904 ; 4-byte Folded Reload
	s_waitcnt vmcnt(0)
	v_add_f32_e32 v9, v9, v8
	buffer_load_dword v8, off, s[0:3], s32 offset:692 ; 4-byte Folded Reload
	buffer_store_dword v9, off, s[0:3], s32 offset:904 ; 4-byte Folded Spill
	s_waitcnt vmcnt(0)
	v_lshlrev_b32_e32 v8, 16, v8
	v_mul_f32_e32 v8, v6, v8
	v_bfe_u32 v9, v8, 16, 1
	v_or_b32_e32 v10, 0x400000, v8
	v_cmp_u_f32_e32 vcc_lo, v8, v8
	v_add3_u32 v9, v9, v8, 0x7fff
	v_cndmask_b32_e32 v8, v9, v10, vcc_lo
	buffer_load_dword v9, off, s[0:3], s32 offset:696 ; 4-byte Folded Reload
	v_and_b32_e32 v8, 0xffff0000, v8
	s_waitcnt vmcnt(0)
	v_lshlrev_b32_e32 v9, 16, v9
	v_mul_f32_e32 v9, v7, v9
	v_bfe_u32 v10, v9, 16, 1
	v_or_b32_e32 v11, 0x400000, v9
	v_cmp_u_f32_e32 vcc_lo, v9, v9
	v_add3_u32 v10, v10, v9, 0x7fff
	v_cndmask_b32_e32 v9, v10, v11, vcc_lo
	buffer_load_dword v10, off, s[0:3], s32 offset:680 ; 4-byte Folded Reload
	v_and_b32_e32 v9, 0xffff0000, v9
	v_add_f32_e32 v8, v9, v8
	s_waitcnt vmcnt(0)
	v_lshlrev_b32_e32 v10, 16, v10
	v_mul_f32_e32 v10, v3, v10
	v_bfe_u32 v11, v10, 16, 1
	v_or_b32_e32 v16, 0x400000, v10
	v_cmp_u_f32_e32 vcc_lo, v10, v10
	v_add3_u32 v11, v11, v10, 0x7fff
	v_cndmask_b32_e32 v10, v11, v16, vcc_lo
	buffer_load_dword v11, off, s[0:3], s32 offset:684 ; 4-byte Folded Reload
	v_and_b32_e32 v10, 0xffff0000, v10
	s_waitcnt vmcnt(0)
	v_lshlrev_b32_e32 v11, 16, v11
	v_mul_f32_e32 v11, v5, v11
	v_bfe_u32 v16, v11, 16, 1
	v_or_b32_e32 v21, 0x400000, v11
	v_cmp_u_f32_e32 vcc_lo, v11, v11
	v_add3_u32 v16, v16, v11, 0x7fff
	v_cndmask_b32_e32 v11, v16, v21, vcc_lo
	buffer_load_dword v16, off, s[0:3], s32 offset:672 ; 4-byte Folded Reload
	v_and_b32_e32 v9, 0xffff0000, v11
	v_add_f32_e32 v9, v9, v10
	v_add_f32_e32 v8, v8, v9
	s_waitcnt vmcnt(0)
	v_lshlrev_b32_e32 v16, 16, v16
	v_mul_f32_e32 v16, v1, v16
	v_bfe_u32 v21, v16, 16, 1
	v_or_b32_e32 v22, 0x400000, v16
	v_cmp_u_f32_e32 vcc_lo, v16, v16
	v_add3_u32 v21, v21, v16, 0x7fff
	v_cndmask_b32_e32 v16, v21, v22, vcc_lo
	buffer_load_dword v21, off, s[0:3], s32 offset:676 ; 4-byte Folded Reload
	v_and_b32_e32 v10, 0xffff0000, v16
	s_waitcnt vmcnt(0)
	v_lshlrev_b32_e32 v21, 16, v21
	v_mul_f32_e32 v21, v4, v21
	v_bfe_u32 v22, v21, 16, 1
	v_or_b32_e32 v24, 0x400000, v21
	v_cmp_u_f32_e32 vcc_lo, v21, v21
	v_add3_u32 v22, v22, v21, 0x7fff
	v_cndmask_b32_e32 v21, v22, v24, vcc_lo
	buffer_load_dword v22, off, s[0:3], s32 offset:700 ; 4-byte Folded Reload
	v_and_b32_e32 v9, 0xffff0000, v21
	v_add_f32_e32 v9, v9, v10
	v_add_f32_e32 v8, v8, v9
	s_waitcnt vmcnt(0)
	v_lshlrev_b32_e32 v22, 16, v22
	v_mul_f32_e32 v22, v0, v22
	v_bfe_u32 v24, v22, 16, 1
	v_or_b32_e32 v25, 0x400000, v22
	v_cmp_u_f32_e32 vcc_lo, v22, v22
	v_add3_u32 v24, v24, v22, 0x7fff
	v_cndmask_b32_e32 v22, v24, v25, vcc_lo
	buffer_load_dword v24, off, s[0:3], s32 offset:688 ; 4-byte Folded Reload
	v_and_b32_e32 v10, 0xffff0000, v22
	s_waitcnt vmcnt(0)
	v_lshlrev_b32_e32 v24, 16, v24
	v_mul_f32_e32 v24, v2, v24
	v_bfe_u32 v25, v24, 16, 1
	v_or_b32_e32 v26, 0x400000, v24
	v_cmp_u_f32_e32 vcc_lo, v24, v24
	v_add3_u32 v25, v25, v24, 0x7fff
	v_cndmask_b32_e32 v24, v25, v26, vcc_lo
	v_and_b32_e32 v9, 0xffff0000, v24
	v_add_f32_e32 v9, v9, v10
	v_add_f32_e32 v8, v8, v9
	buffer_load_dword v9, off, s[0:3], s32 offset:908 ; 4-byte Folded Reload
	s_waitcnt vmcnt(0)
	v_add_f32_e32 v9, v9, v8
	buffer_load_dword v8, off, s[0:3], s32 offset:660 ; 4-byte Folded Reload
	buffer_store_dword v9, off, s[0:3], s32 offset:908 ; 4-byte Folded Spill
	s_waitcnt vmcnt(0)
	v_lshlrev_b32_e32 v8, 16, v8
	v_mul_f32_e32 v8, v6, v8
	v_bfe_u32 v9, v8, 16, 1
	v_or_b32_e32 v10, 0x400000, v8
	v_cmp_u_f32_e32 vcc_lo, v8, v8
	v_add3_u32 v9, v9, v8, 0x7fff
	v_cndmask_b32_e32 v8, v9, v10, vcc_lo
	buffer_load_dword v9, off, s[0:3], s32 offset:664 ; 4-byte Folded Reload
	v_and_b32_e32 v8, 0xffff0000, v8
	s_waitcnt vmcnt(0)
	v_lshlrev_b32_e32 v9, 16, v9
	v_mul_f32_e32 v9, v7, v9
	v_bfe_u32 v10, v9, 16, 1
	v_or_b32_e32 v11, 0x400000, v9
	v_cmp_u_f32_e32 vcc_lo, v9, v9
	v_add3_u32 v10, v10, v9, 0x7fff
	v_cndmask_b32_e32 v9, v10, v11, vcc_lo
	buffer_load_dword v10, off, s[0:3], s32 offset:648 ; 4-byte Folded Reload
	v_and_b32_e32 v9, 0xffff0000, v9
	v_add_f32_e32 v8, v9, v8
	s_waitcnt vmcnt(0)
	v_lshlrev_b32_e32 v10, 16, v10
	v_mul_f32_e32 v10, v3, v10
	v_bfe_u32 v11, v10, 16, 1
	v_or_b32_e32 v16, 0x400000, v10
	v_cmp_u_f32_e32 vcc_lo, v10, v10
	v_add3_u32 v11, v11, v10, 0x7fff
	v_cndmask_b32_e32 v10, v11, v16, vcc_lo
	buffer_load_dword v11, off, s[0:3], s32 offset:652 ; 4-byte Folded Reload
	v_and_b32_e32 v10, 0xffff0000, v10
	s_waitcnt vmcnt(0)
	v_lshlrev_b32_e32 v11, 16, v11
	v_mul_f32_e32 v11, v5, v11
	v_bfe_u32 v16, v11, 16, 1
	v_or_b32_e32 v21, 0x400000, v11
	v_cmp_u_f32_e32 vcc_lo, v11, v11
	v_add3_u32 v16, v16, v11, 0x7fff
	v_cndmask_b32_e32 v11, v16, v21, vcc_lo
	buffer_load_dword v16, off, s[0:3], s32 offset:640 ; 4-byte Folded Reload
	v_and_b32_e32 v9, 0xffff0000, v11
	v_add_f32_e32 v9, v9, v10
	v_add_f32_e32 v8, v8, v9
	s_waitcnt vmcnt(0)
	v_lshlrev_b32_e32 v16, 16, v16
	v_mul_f32_e32 v16, v1, v16
	v_bfe_u32 v21, v16, 16, 1
	v_or_b32_e32 v22, 0x400000, v16
	v_cmp_u_f32_e32 vcc_lo, v16, v16
	v_add3_u32 v21, v21, v16, 0x7fff
	v_cndmask_b32_e32 v16, v21, v22, vcc_lo
	buffer_load_dword v21, off, s[0:3], s32 offset:644 ; 4-byte Folded Reload
	v_and_b32_e32 v10, 0xffff0000, v16
	s_waitcnt vmcnt(0)
	v_lshlrev_b32_e32 v21, 16, v21
	v_mul_f32_e32 v21, v4, v21
	v_bfe_u32 v22, v21, 16, 1
	v_or_b32_e32 v24, 0x400000, v21
	v_cmp_u_f32_e32 vcc_lo, v21, v21
	v_add3_u32 v22, v22, v21, 0x7fff
	v_cndmask_b32_e32 v21, v22, v24, vcc_lo
	buffer_load_dword v22, off, s[0:3], s32 offset:668 ; 4-byte Folded Reload
	v_and_b32_e32 v9, 0xffff0000, v21
	v_add_f32_e32 v9, v9, v10
	v_add_f32_e32 v8, v8, v9
	s_waitcnt vmcnt(0)
	v_lshlrev_b32_e32 v22, 16, v22
	v_mul_f32_e32 v22, v0, v22
	v_bfe_u32 v24, v22, 16, 1
	v_or_b32_e32 v25, 0x400000, v22
	v_cmp_u_f32_e32 vcc_lo, v22, v22
	v_add3_u32 v24, v24, v22, 0x7fff
	v_cndmask_b32_e32 v22, v24, v25, vcc_lo
	buffer_load_dword v24, off, s[0:3], s32 offset:656 ; 4-byte Folded Reload
	v_and_b32_e32 v10, 0xffff0000, v22
	s_waitcnt vmcnt(0)
	v_lshlrev_b32_e32 v24, 16, v24
	v_mul_f32_e32 v24, v2, v24
	v_bfe_u32 v25, v24, 16, 1
	v_or_b32_e32 v26, 0x400000, v24
	v_cmp_u_f32_e32 vcc_lo, v24, v24
	v_add3_u32 v25, v25, v24, 0x7fff
	v_cndmask_b32_e32 v24, v25, v26, vcc_lo
	v_and_b32_e32 v9, 0xffff0000, v24
	v_add_f32_e32 v9, v9, v10
	v_add_f32_e32 v8, v8, v9
	buffer_load_dword v9, off, s[0:3], s32 offset:912 ; 4-byte Folded Reload
	s_waitcnt vmcnt(0)
	v_add_f32_e32 v9, v9, v8
	buffer_load_dword v8, off, s[0:3], s32 offset:628 ; 4-byte Folded Reload
	buffer_store_dword v9, off, s[0:3], s32 offset:912 ; 4-byte Folded Spill
	s_waitcnt vmcnt(0)
	v_lshlrev_b32_e32 v8, 16, v8
	v_mul_f32_e32 v8, v6, v8
	v_bfe_u32 v9, v8, 16, 1
	v_or_b32_e32 v10, 0x400000, v8
	v_cmp_u_f32_e32 vcc_lo, v8, v8
	v_add3_u32 v9, v9, v8, 0x7fff
	v_cndmask_b32_e32 v8, v9, v10, vcc_lo
	buffer_load_dword v9, off, s[0:3], s32 offset:632 ; 4-byte Folded Reload
	v_and_b32_e32 v8, 0xffff0000, v8
	s_waitcnt vmcnt(0)
	v_lshlrev_b32_e32 v9, 16, v9
	v_mul_f32_e32 v9, v7, v9
	v_bfe_u32 v10, v9, 16, 1
	v_or_b32_e32 v11, 0x400000, v9
	v_cmp_u_f32_e32 vcc_lo, v9, v9
	v_add3_u32 v10, v10, v9, 0x7fff
	v_cndmask_b32_e32 v9, v10, v11, vcc_lo
	buffer_load_dword v10, off, s[0:3], s32 offset:616 ; 4-byte Folded Reload
	v_and_b32_e32 v9, 0xffff0000, v9
	v_add_f32_e32 v8, v9, v8
	s_waitcnt vmcnt(0)
	v_lshlrev_b32_e32 v10, 16, v10
	v_mul_f32_e32 v10, v3, v10
	v_bfe_u32 v11, v10, 16, 1
	v_or_b32_e32 v16, 0x400000, v10
	v_cmp_u_f32_e32 vcc_lo, v10, v10
	v_add3_u32 v11, v11, v10, 0x7fff
	v_cndmask_b32_e32 v10, v11, v16, vcc_lo
	buffer_load_dword v11, off, s[0:3], s32 offset:620 ; 4-byte Folded Reload
	v_and_b32_e32 v10, 0xffff0000, v10
	s_waitcnt vmcnt(0)
	v_lshlrev_b32_e32 v11, 16, v11
	v_mul_f32_e32 v11, v5, v11
	v_bfe_u32 v16, v11, 16, 1
	v_or_b32_e32 v21, 0x400000, v11
	v_cmp_u_f32_e32 vcc_lo, v11, v11
	v_add3_u32 v16, v16, v11, 0x7fff
	v_cndmask_b32_e32 v11, v16, v21, vcc_lo
	buffer_load_dword v16, off, s[0:3], s32 offset:608 ; 4-byte Folded Reload
	v_and_b32_e32 v9, 0xffff0000, v11
	v_add_f32_e32 v9, v9, v10
	v_add_f32_e32 v8, v8, v9
	s_waitcnt vmcnt(0)
	v_lshlrev_b32_e32 v16, 16, v16
	v_mul_f32_e32 v16, v1, v16
	v_bfe_u32 v21, v16, 16, 1
	v_or_b32_e32 v22, 0x400000, v16
	v_cmp_u_f32_e32 vcc_lo, v16, v16
	v_add3_u32 v21, v21, v16, 0x7fff
	v_cndmask_b32_e32 v16, v21, v22, vcc_lo
	buffer_load_dword v21, off, s[0:3], s32 offset:612 ; 4-byte Folded Reload
	v_and_b32_e32 v10, 0xffff0000, v16
	s_waitcnt vmcnt(0)
	v_lshlrev_b32_e32 v21, 16, v21
	v_mul_f32_e32 v21, v4, v21
	v_bfe_u32 v22, v21, 16, 1
	v_or_b32_e32 v24, 0x400000, v21
	v_cmp_u_f32_e32 vcc_lo, v21, v21
	v_add3_u32 v22, v22, v21, 0x7fff
	v_cndmask_b32_e32 v21, v22, v24, vcc_lo
	buffer_load_dword v22, off, s[0:3], s32 offset:636 ; 4-byte Folded Reload
	v_and_b32_e32 v9, 0xffff0000, v21
	v_add_f32_e32 v9, v9, v10
	v_add_f32_e32 v8, v8, v9
	s_waitcnt vmcnt(0)
	v_lshlrev_b32_e32 v22, 16, v22
	v_mul_f32_e32 v22, v0, v22
	v_bfe_u32 v24, v22, 16, 1
	v_or_b32_e32 v25, 0x400000, v22
	v_cmp_u_f32_e32 vcc_lo, v22, v22
	v_add3_u32 v24, v24, v22, 0x7fff
	v_cndmask_b32_e32 v22, v24, v25, vcc_lo
	buffer_load_dword v24, off, s[0:3], s32 offset:624 ; 4-byte Folded Reload
	v_and_b32_e32 v10, 0xffff0000, v22
	s_waitcnt vmcnt(0)
	v_lshlrev_b32_e32 v24, 16, v24
	v_mul_f32_e32 v24, v2, v24
	v_bfe_u32 v25, v24, 16, 1
	v_or_b32_e32 v26, 0x400000, v24
	v_cmp_u_f32_e32 vcc_lo, v24, v24
	v_add3_u32 v25, v25, v24, 0x7fff
	v_cndmask_b32_e32 v24, v25, v26, vcc_lo
	v_and_b32_e32 v9, 0xffff0000, v24
	v_add_f32_e32 v9, v9, v10
	v_add_f32_e32 v8, v8, v9
	buffer_load_dword v9, off, s[0:3], s32 offset:916 ; 4-byte Folded Reload
	s_waitcnt vmcnt(0)
	v_add_f32_e32 v9, v9, v8
	buffer_load_dword v8, off, s[0:3], s32 offset:596 ; 4-byte Folded Reload
	buffer_store_dword v9, off, s[0:3], s32 offset:916 ; 4-byte Folded Spill
	s_waitcnt vmcnt(0)
	v_lshlrev_b32_e32 v8, 16, v8
	v_mul_f32_e32 v8, v6, v8
	v_bfe_u32 v9, v8, 16, 1
	v_or_b32_e32 v10, 0x400000, v8
	v_cmp_u_f32_e32 vcc_lo, v8, v8
	v_add3_u32 v9, v9, v8, 0x7fff
	v_cndmask_b32_e32 v8, v9, v10, vcc_lo
	buffer_load_dword v9, off, s[0:3], s32 offset:600 ; 4-byte Folded Reload
	v_and_b32_e32 v8, 0xffff0000, v8
	s_waitcnt vmcnt(0)
	v_lshlrev_b32_e32 v9, 16, v9
	v_mul_f32_e32 v9, v7, v9
	v_bfe_u32 v10, v9, 16, 1
	v_or_b32_e32 v11, 0x400000, v9
	v_cmp_u_f32_e32 vcc_lo, v9, v9
	v_add3_u32 v10, v10, v9, 0x7fff
	v_cndmask_b32_e32 v9, v10, v11, vcc_lo
	buffer_load_dword v10, off, s[0:3], s32 offset:584 ; 4-byte Folded Reload
	v_and_b32_e32 v9, 0xffff0000, v9
	v_add_f32_e32 v8, v9, v8
	s_waitcnt vmcnt(0)
	v_lshlrev_b32_e32 v10, 16, v10
	v_mul_f32_e32 v10, v3, v10
	v_bfe_u32 v11, v10, 16, 1
	v_or_b32_e32 v16, 0x400000, v10
	v_cmp_u_f32_e32 vcc_lo, v10, v10
	v_add3_u32 v11, v11, v10, 0x7fff
	v_cndmask_b32_e32 v10, v11, v16, vcc_lo
	buffer_load_dword v11, off, s[0:3], s32 offset:588 ; 4-byte Folded Reload
	v_and_b32_e32 v10, 0xffff0000, v10
	s_waitcnt vmcnt(0)
	v_lshlrev_b32_e32 v11, 16, v11
	v_mul_f32_e32 v11, v5, v11
	v_bfe_u32 v16, v11, 16, 1
	v_or_b32_e32 v21, 0x400000, v11
	v_cmp_u_f32_e32 vcc_lo, v11, v11
	v_add3_u32 v16, v16, v11, 0x7fff
	v_cndmask_b32_e32 v11, v16, v21, vcc_lo
	buffer_load_dword v16, off, s[0:3], s32 offset:576 ; 4-byte Folded Reload
	v_and_b32_e32 v9, 0xffff0000, v11
	v_add_f32_e32 v9, v9, v10
	v_add_f32_e32 v8, v8, v9
	s_waitcnt vmcnt(0)
	v_lshlrev_b32_e32 v16, 16, v16
	v_mul_f32_e32 v16, v1, v16
	v_bfe_u32 v21, v16, 16, 1
	v_or_b32_e32 v22, 0x400000, v16
	v_cmp_u_f32_e32 vcc_lo, v16, v16
	v_add3_u32 v21, v21, v16, 0x7fff
	v_cndmask_b32_e32 v16, v21, v22, vcc_lo
	buffer_load_dword v21, off, s[0:3], s32 offset:580 ; 4-byte Folded Reload
	v_and_b32_e32 v10, 0xffff0000, v16
	s_waitcnt vmcnt(0)
	v_lshlrev_b32_e32 v21, 16, v21
	v_mul_f32_e32 v21, v4, v21
	v_bfe_u32 v22, v21, 16, 1
	v_or_b32_e32 v24, 0x400000, v21
	v_cmp_u_f32_e32 vcc_lo, v21, v21
	v_add3_u32 v22, v22, v21, 0x7fff
	v_cndmask_b32_e32 v21, v22, v24, vcc_lo
	buffer_load_dword v22, off, s[0:3], s32 offset:604 ; 4-byte Folded Reload
	v_and_b32_e32 v9, 0xffff0000, v21
	v_add_f32_e32 v9, v9, v10
	v_add_f32_e32 v8, v8, v9
	s_waitcnt vmcnt(0)
	v_lshlrev_b32_e32 v22, 16, v22
	v_mul_f32_e32 v22, v0, v22
	v_bfe_u32 v24, v22, 16, 1
	v_or_b32_e32 v25, 0x400000, v22
	v_cmp_u_f32_e32 vcc_lo, v22, v22
	v_add3_u32 v24, v24, v22, 0x7fff
	v_cndmask_b32_e32 v22, v24, v25, vcc_lo
	buffer_load_dword v24, off, s[0:3], s32 offset:592 ; 4-byte Folded Reload
	v_and_b32_e32 v10, 0xffff0000, v22
	s_waitcnt vmcnt(0)
	v_lshlrev_b32_e32 v24, 16, v24
	v_mul_f32_e32 v24, v2, v24
	v_bfe_u32 v25, v24, 16, 1
	v_or_b32_e32 v26, 0x400000, v24
	v_cmp_u_f32_e32 vcc_lo, v24, v24
	v_add3_u32 v25, v25, v24, 0x7fff
	v_cndmask_b32_e32 v24, v25, v26, vcc_lo
	v_and_b32_e32 v9, 0xffff0000, v24
	v_add_f32_e32 v9, v9, v10
	v_add_f32_e32 v8, v8, v9
	buffer_load_dword v9, off, s[0:3], s32 offset:920 ; 4-byte Folded Reload
	s_waitcnt vmcnt(0)
	v_add_f32_e32 v9, v9, v8
	buffer_load_dword v8, off, s[0:3], s32 offset:564 ; 4-byte Folded Reload
	buffer_store_dword v9, off, s[0:3], s32 offset:920 ; 4-byte Folded Spill
	s_waitcnt vmcnt(0)
	v_lshlrev_b32_e32 v8, 16, v8
	v_mul_f32_e32 v8, v6, v8
	v_bfe_u32 v9, v8, 16, 1
	v_or_b32_e32 v10, 0x400000, v8
	v_cmp_u_f32_e32 vcc_lo, v8, v8
	v_add3_u32 v9, v9, v8, 0x7fff
	v_cndmask_b32_e32 v8, v9, v10, vcc_lo
	buffer_load_dword v9, off, s[0:3], s32 offset:568 ; 4-byte Folded Reload
	v_and_b32_e32 v8, 0xffff0000, v8
	s_waitcnt vmcnt(0)
	v_lshlrev_b32_e32 v9, 16, v9
	v_mul_f32_e32 v9, v7, v9
	v_bfe_u32 v10, v9, 16, 1
	v_or_b32_e32 v11, 0x400000, v9
	v_cmp_u_f32_e32 vcc_lo, v9, v9
	v_add3_u32 v10, v10, v9, 0x7fff
	v_cndmask_b32_e32 v9, v10, v11, vcc_lo
	buffer_load_dword v10, off, s[0:3], s32 offset:552 ; 4-byte Folded Reload
	v_and_b32_e32 v9, 0xffff0000, v9
	v_add_f32_e32 v8, v9, v8
	s_waitcnt vmcnt(0)
	v_lshlrev_b32_e32 v10, 16, v10
	v_mul_f32_e32 v10, v3, v10
	v_bfe_u32 v11, v10, 16, 1
	v_or_b32_e32 v16, 0x400000, v10
	v_cmp_u_f32_e32 vcc_lo, v10, v10
	v_add3_u32 v11, v11, v10, 0x7fff
	v_cndmask_b32_e32 v10, v11, v16, vcc_lo
	buffer_load_dword v11, off, s[0:3], s32 offset:556 ; 4-byte Folded Reload
	v_and_b32_e32 v10, 0xffff0000, v10
	s_waitcnt vmcnt(0)
	v_lshlrev_b32_e32 v11, 16, v11
	v_mul_f32_e32 v11, v5, v11
	v_bfe_u32 v16, v11, 16, 1
	v_or_b32_e32 v21, 0x400000, v11
	v_cmp_u_f32_e32 vcc_lo, v11, v11
	v_add3_u32 v16, v16, v11, 0x7fff
	v_cndmask_b32_e32 v11, v16, v21, vcc_lo
	buffer_load_dword v16, off, s[0:3], s32 offset:544 ; 4-byte Folded Reload
	v_and_b32_e32 v9, 0xffff0000, v11
	v_add_f32_e32 v9, v9, v10
	v_add_f32_e32 v8, v8, v9
	s_waitcnt vmcnt(0)
	v_lshlrev_b32_e32 v16, 16, v16
	v_mul_f32_e32 v16, v1, v16
	v_bfe_u32 v21, v16, 16, 1
	v_or_b32_e32 v22, 0x400000, v16
	v_cmp_u_f32_e32 vcc_lo, v16, v16
	v_add3_u32 v21, v21, v16, 0x7fff
	v_cndmask_b32_e32 v16, v21, v22, vcc_lo
	buffer_load_dword v21, off, s[0:3], s32 offset:548 ; 4-byte Folded Reload
	v_and_b32_e32 v10, 0xffff0000, v16
	s_waitcnt vmcnt(0)
	v_lshlrev_b32_e32 v21, 16, v21
	v_mul_f32_e32 v21, v4, v21
	v_bfe_u32 v22, v21, 16, 1
	v_or_b32_e32 v24, 0x400000, v21
	v_cmp_u_f32_e32 vcc_lo, v21, v21
	v_add3_u32 v22, v22, v21, 0x7fff
	v_cndmask_b32_e32 v21, v22, v24, vcc_lo
	buffer_load_dword v22, off, s[0:3], s32 offset:572 ; 4-byte Folded Reload
	v_and_b32_e32 v9, 0xffff0000, v21
	v_add_f32_e32 v9, v9, v10
	v_add_f32_e32 v8, v8, v9
	s_waitcnt vmcnt(0)
	v_lshlrev_b32_e32 v22, 16, v22
	v_mul_f32_e32 v22, v0, v22
	v_bfe_u32 v24, v22, 16, 1
	v_or_b32_e32 v25, 0x400000, v22
	v_cmp_u_f32_e32 vcc_lo, v22, v22
	v_add3_u32 v24, v24, v22, 0x7fff
	v_cndmask_b32_e32 v22, v24, v25, vcc_lo
	buffer_load_dword v24, off, s[0:3], s32 offset:560 ; 4-byte Folded Reload
	v_and_b32_e32 v10, 0xffff0000, v22
	s_waitcnt vmcnt(0)
	v_lshlrev_b32_e32 v24, 16, v24
	v_mul_f32_e32 v24, v2, v24
	v_bfe_u32 v25, v24, 16, 1
	v_or_b32_e32 v26, 0x400000, v24
	v_cmp_u_f32_e32 vcc_lo, v24, v24
	v_add3_u32 v25, v25, v24, 0x7fff
	v_cndmask_b32_e32 v24, v25, v26, vcc_lo
	v_and_b32_e32 v9, 0xffff0000, v24
	v_add_f32_e32 v9, v9, v10
	v_add_f32_e32 v8, v8, v9
	buffer_load_dword v9, off, s[0:3], s32 offset:924 ; 4-byte Folded Reload
	s_waitcnt vmcnt(0)
	v_add_f32_e32 v9, v9, v8
	buffer_load_dword v8, off, s[0:3], s32 offset:532 ; 4-byte Folded Reload
	buffer_store_dword v9, off, s[0:3], s32 offset:924 ; 4-byte Folded Spill
	s_waitcnt vmcnt(0)
	v_lshlrev_b32_e32 v8, 16, v8
	v_mul_f32_e32 v8, v6, v8
	v_bfe_u32 v9, v8, 16, 1
	v_or_b32_e32 v10, 0x400000, v8
	v_cmp_u_f32_e32 vcc_lo, v8, v8
	v_add3_u32 v9, v9, v8, 0x7fff
	v_cndmask_b32_e32 v8, v9, v10, vcc_lo
	buffer_load_dword v9, off, s[0:3], s32 offset:536 ; 4-byte Folded Reload
	v_and_b32_e32 v8, 0xffff0000, v8
	s_waitcnt vmcnt(0)
	v_lshlrev_b32_e32 v9, 16, v9
	v_mul_f32_e32 v9, v7, v9
	v_bfe_u32 v10, v9, 16, 1
	v_or_b32_e32 v11, 0x400000, v9
	v_cmp_u_f32_e32 vcc_lo, v9, v9
	v_add3_u32 v10, v10, v9, 0x7fff
	v_cndmask_b32_e32 v9, v10, v11, vcc_lo
	buffer_load_dword v10, off, s[0:3], s32 offset:520 ; 4-byte Folded Reload
	v_and_b32_e32 v9, 0xffff0000, v9
	v_add_f32_e32 v8, v9, v8
	s_waitcnt vmcnt(0)
	v_lshlrev_b32_e32 v10, 16, v10
	v_mul_f32_e32 v10, v3, v10
	v_bfe_u32 v11, v10, 16, 1
	v_or_b32_e32 v16, 0x400000, v10
	v_cmp_u_f32_e32 vcc_lo, v10, v10
	v_add3_u32 v11, v11, v10, 0x7fff
	v_cndmask_b32_e32 v10, v11, v16, vcc_lo
	buffer_load_dword v11, off, s[0:3], s32 offset:524 ; 4-byte Folded Reload
	v_and_b32_e32 v10, 0xffff0000, v10
	s_waitcnt vmcnt(0)
	v_lshlrev_b32_e32 v11, 16, v11
	v_mul_f32_e32 v11, v5, v11
	v_bfe_u32 v16, v11, 16, 1
	v_or_b32_e32 v21, 0x400000, v11
	v_cmp_u_f32_e32 vcc_lo, v11, v11
	v_add3_u32 v16, v16, v11, 0x7fff
	v_cndmask_b32_e32 v11, v16, v21, vcc_lo
	buffer_load_dword v16, off, s[0:3], s32 offset:512 ; 4-byte Folded Reload
	v_and_b32_e32 v9, 0xffff0000, v11
	v_add_f32_e32 v9, v9, v10
	v_add_f32_e32 v8, v8, v9
	s_waitcnt vmcnt(0)
	v_lshlrev_b32_e32 v16, 16, v16
	v_mul_f32_e32 v16, v1, v16
	v_bfe_u32 v21, v16, 16, 1
	v_or_b32_e32 v22, 0x400000, v16
	v_cmp_u_f32_e32 vcc_lo, v16, v16
	v_add3_u32 v21, v21, v16, 0x7fff
	v_cndmask_b32_e32 v16, v21, v22, vcc_lo
	buffer_load_dword v21, off, s[0:3], s32 offset:516 ; 4-byte Folded Reload
	v_and_b32_e32 v10, 0xffff0000, v16
	s_waitcnt vmcnt(0)
	v_lshlrev_b32_e32 v21, 16, v21
	v_mul_f32_e32 v21, v4, v21
	v_bfe_u32 v22, v21, 16, 1
	v_or_b32_e32 v24, 0x400000, v21
	v_cmp_u_f32_e32 vcc_lo, v21, v21
	v_add3_u32 v22, v22, v21, 0x7fff
	v_cndmask_b32_e32 v21, v22, v24, vcc_lo
	buffer_load_dword v22, off, s[0:3], s32 offset:540 ; 4-byte Folded Reload
	v_and_b32_e32 v9, 0xffff0000, v21
	v_add_f32_e32 v9, v9, v10
	v_add_f32_e32 v8, v8, v9
	s_waitcnt vmcnt(0)
	v_lshlrev_b32_e32 v22, 16, v22
	v_mul_f32_e32 v22, v0, v22
	v_bfe_u32 v24, v22, 16, 1
	v_or_b32_e32 v25, 0x400000, v22
	v_cmp_u_f32_e32 vcc_lo, v22, v22
	v_add3_u32 v24, v24, v22, 0x7fff
	v_cndmask_b32_e32 v22, v24, v25, vcc_lo
	buffer_load_dword v24, off, s[0:3], s32 offset:528 ; 4-byte Folded Reload
	v_and_b32_e32 v10, 0xffff0000, v22
	s_waitcnt vmcnt(0)
	v_lshlrev_b32_e32 v24, 16, v24
	v_mul_f32_e32 v24, v2, v24
	v_bfe_u32 v25, v24, 16, 1
	v_or_b32_e32 v26, 0x400000, v24
	v_cmp_u_f32_e32 vcc_lo, v24, v24
	v_add3_u32 v25, v25, v24, 0x7fff
	v_cndmask_b32_e32 v24, v25, v26, vcc_lo
	v_and_b32_e32 v9, 0xffff0000, v24
	v_add_f32_e32 v9, v9, v10
	v_add_f32_e32 v8, v8, v9
	buffer_load_dword v9, off, s[0:3], s32 offset:928 ; 4-byte Folded Reload
	s_waitcnt vmcnt(0)
	v_add_f32_e32 v9, v9, v8
	buffer_load_dword v8, off, s[0:3], s32 offset:500 ; 4-byte Folded Reload
	buffer_store_dword v9, off, s[0:3], s32 offset:928 ; 4-byte Folded Spill
	s_waitcnt vmcnt(0)
	v_lshlrev_b32_e32 v8, 16, v8
	v_mul_f32_e32 v8, v6, v8
	v_bfe_u32 v9, v8, 16, 1
	v_or_b32_e32 v10, 0x400000, v8
	v_cmp_u_f32_e32 vcc_lo, v8, v8
	v_add3_u32 v9, v9, v8, 0x7fff
	v_cndmask_b32_e32 v8, v9, v10, vcc_lo
	buffer_load_dword v9, off, s[0:3], s32 offset:504 ; 4-byte Folded Reload
	v_and_b32_e32 v8, 0xffff0000, v8
	s_waitcnt vmcnt(0)
	v_lshlrev_b32_e32 v9, 16, v9
	v_mul_f32_e32 v9, v7, v9
	v_bfe_u32 v10, v9, 16, 1
	v_or_b32_e32 v11, 0x400000, v9
	v_cmp_u_f32_e32 vcc_lo, v9, v9
	v_add3_u32 v10, v10, v9, 0x7fff
	v_cndmask_b32_e32 v9, v10, v11, vcc_lo
	buffer_load_dword v10, off, s[0:3], s32 offset:488 ; 4-byte Folded Reload
	v_and_b32_e32 v9, 0xffff0000, v9
	v_add_f32_e32 v8, v9, v8
	s_waitcnt vmcnt(0)
	v_lshlrev_b32_e32 v10, 16, v10
	v_mul_f32_e32 v10, v3, v10
	v_bfe_u32 v11, v10, 16, 1
	v_or_b32_e32 v16, 0x400000, v10
	v_cmp_u_f32_e32 vcc_lo, v10, v10
	v_add3_u32 v11, v11, v10, 0x7fff
	v_cndmask_b32_e32 v10, v11, v16, vcc_lo
	buffer_load_dword v11, off, s[0:3], s32 offset:492 ; 4-byte Folded Reload
	v_and_b32_e32 v10, 0xffff0000, v10
	s_waitcnt vmcnt(0)
	v_lshlrev_b32_e32 v11, 16, v11
	v_mul_f32_e32 v11, v5, v11
	v_bfe_u32 v16, v11, 16, 1
	v_or_b32_e32 v21, 0x400000, v11
	v_cmp_u_f32_e32 vcc_lo, v11, v11
	v_add3_u32 v16, v16, v11, 0x7fff
	v_cndmask_b32_e32 v11, v16, v21, vcc_lo
	buffer_load_dword v16, off, s[0:3], s32 offset:480 ; 4-byte Folded Reload
	v_and_b32_e32 v9, 0xffff0000, v11
	v_add_f32_e32 v9, v9, v10
	v_add_f32_e32 v8, v8, v9
	s_waitcnt vmcnt(0)
	v_lshlrev_b32_e32 v16, 16, v16
	v_mul_f32_e32 v16, v1, v16
	v_bfe_u32 v21, v16, 16, 1
	v_or_b32_e32 v22, 0x400000, v16
	v_cmp_u_f32_e32 vcc_lo, v16, v16
	v_add3_u32 v21, v21, v16, 0x7fff
	v_cndmask_b32_e32 v16, v21, v22, vcc_lo
	buffer_load_dword v21, off, s[0:3], s32 offset:484 ; 4-byte Folded Reload
	v_and_b32_e32 v10, 0xffff0000, v16
	s_waitcnt vmcnt(0)
	v_lshlrev_b32_e32 v21, 16, v21
	v_mul_f32_e32 v21, v4, v21
	v_bfe_u32 v22, v21, 16, 1
	v_or_b32_e32 v24, 0x400000, v21
	v_cmp_u_f32_e32 vcc_lo, v21, v21
	v_add3_u32 v22, v22, v21, 0x7fff
	v_cndmask_b32_e32 v21, v22, v24, vcc_lo
	buffer_load_dword v22, off, s[0:3], s32 offset:508 ; 4-byte Folded Reload
	v_and_b32_e32 v9, 0xffff0000, v21
	v_add_f32_e32 v9, v9, v10
	v_add_f32_e32 v8, v8, v9
	s_waitcnt vmcnt(0)
	v_lshlrev_b32_e32 v22, 16, v22
	v_mul_f32_e32 v22, v0, v22
	v_bfe_u32 v24, v22, 16, 1
	v_or_b32_e32 v25, 0x400000, v22
	v_cmp_u_f32_e32 vcc_lo, v22, v22
	v_add3_u32 v24, v24, v22, 0x7fff
	v_cndmask_b32_e32 v22, v24, v25, vcc_lo
	buffer_load_dword v24, off, s[0:3], s32 offset:496 ; 4-byte Folded Reload
	v_and_b32_e32 v10, 0xffff0000, v22
	s_waitcnt vmcnt(0)
	v_lshlrev_b32_e32 v24, 16, v24
	v_mul_f32_e32 v24, v2, v24
	v_bfe_u32 v25, v24, 16, 1
	v_or_b32_e32 v26, 0x400000, v24
	v_cmp_u_f32_e32 vcc_lo, v24, v24
	v_add3_u32 v25, v25, v24, 0x7fff
	v_cndmask_b32_e32 v24, v25, v26, vcc_lo
	v_and_b32_e32 v9, 0xffff0000, v24
	v_add_f32_e32 v9, v9, v10
	v_add_f32_e32 v8, v8, v9
	buffer_load_dword v9, off, s[0:3], s32 offset:932 ; 4-byte Folded Reload
	s_waitcnt vmcnt(0)
	v_add_f32_e32 v9, v9, v8
	buffer_load_dword v8, off, s[0:3], s32 offset:468 ; 4-byte Folded Reload
	buffer_store_dword v9, off, s[0:3], s32 offset:932 ; 4-byte Folded Spill
	s_waitcnt vmcnt(0)
	v_lshlrev_b32_e32 v8, 16, v8
	v_mul_f32_e32 v8, v6, v8
	v_bfe_u32 v9, v8, 16, 1
	v_or_b32_e32 v10, 0x400000, v8
	v_cmp_u_f32_e32 vcc_lo, v8, v8
	v_add3_u32 v9, v9, v8, 0x7fff
	v_cndmask_b32_e32 v8, v9, v10, vcc_lo
	buffer_load_dword v9, off, s[0:3], s32 offset:472 ; 4-byte Folded Reload
	v_and_b32_e32 v8, 0xffff0000, v8
	s_waitcnt vmcnt(0)
	v_lshlrev_b32_e32 v9, 16, v9
	v_mul_f32_e32 v9, v7, v9
	v_bfe_u32 v10, v9, 16, 1
	v_or_b32_e32 v11, 0x400000, v9
	v_cmp_u_f32_e32 vcc_lo, v9, v9
	v_add3_u32 v10, v10, v9, 0x7fff
	v_cndmask_b32_e32 v9, v10, v11, vcc_lo
	buffer_load_dword v10, off, s[0:3], s32 offset:456 ; 4-byte Folded Reload
	v_and_b32_e32 v9, 0xffff0000, v9
	v_add_f32_e32 v8, v9, v8
	s_waitcnt vmcnt(0)
	v_lshlrev_b32_e32 v10, 16, v10
	v_mul_f32_e32 v10, v3, v10
	v_bfe_u32 v11, v10, 16, 1
	v_or_b32_e32 v16, 0x400000, v10
	v_cmp_u_f32_e32 vcc_lo, v10, v10
	v_add3_u32 v11, v11, v10, 0x7fff
	v_cndmask_b32_e32 v10, v11, v16, vcc_lo
	buffer_load_dword v11, off, s[0:3], s32 offset:460 ; 4-byte Folded Reload
	v_and_b32_e32 v10, 0xffff0000, v10
	s_waitcnt vmcnt(0)
	v_lshlrev_b32_e32 v11, 16, v11
	v_mul_f32_e32 v11, v5, v11
	v_bfe_u32 v16, v11, 16, 1
	v_or_b32_e32 v21, 0x400000, v11
	v_cmp_u_f32_e32 vcc_lo, v11, v11
	v_add3_u32 v16, v16, v11, 0x7fff
	v_cndmask_b32_e32 v11, v16, v21, vcc_lo
	buffer_load_dword v16, off, s[0:3], s32 offset:448 ; 4-byte Folded Reload
	v_and_b32_e32 v9, 0xffff0000, v11
	v_add_f32_e32 v9, v9, v10
	v_add_f32_e32 v8, v8, v9
	s_waitcnt vmcnt(0)
	v_lshlrev_b32_e32 v16, 16, v16
	v_mul_f32_e32 v16, v1, v16
	v_bfe_u32 v21, v16, 16, 1
	v_or_b32_e32 v22, 0x400000, v16
	v_cmp_u_f32_e32 vcc_lo, v16, v16
	v_add3_u32 v21, v21, v16, 0x7fff
	v_cndmask_b32_e32 v16, v21, v22, vcc_lo
	buffer_load_dword v21, off, s[0:3], s32 offset:452 ; 4-byte Folded Reload
	v_and_b32_e32 v10, 0xffff0000, v16
	s_waitcnt vmcnt(0)
	v_lshlrev_b32_e32 v21, 16, v21
	v_mul_f32_e32 v21, v4, v21
	v_bfe_u32 v22, v21, 16, 1
	v_or_b32_e32 v24, 0x400000, v21
	v_cmp_u_f32_e32 vcc_lo, v21, v21
	v_add3_u32 v22, v22, v21, 0x7fff
	v_cndmask_b32_e32 v21, v22, v24, vcc_lo
	buffer_load_dword v22, off, s[0:3], s32 offset:476 ; 4-byte Folded Reload
	v_and_b32_e32 v9, 0xffff0000, v21
	v_add_f32_e32 v9, v9, v10
	v_add_f32_e32 v8, v8, v9
	s_waitcnt vmcnt(0)
	v_lshlrev_b32_e32 v22, 16, v22
	v_mul_f32_e32 v22, v0, v22
	v_bfe_u32 v24, v22, 16, 1
	v_or_b32_e32 v25, 0x400000, v22
	v_cmp_u_f32_e32 vcc_lo, v22, v22
	v_add3_u32 v24, v24, v22, 0x7fff
	v_cndmask_b32_e32 v22, v24, v25, vcc_lo
	buffer_load_dword v24, off, s[0:3], s32 offset:464 ; 4-byte Folded Reload
	v_and_b32_e32 v10, 0xffff0000, v22
	s_waitcnt vmcnt(0)
	v_lshlrev_b32_e32 v24, 16, v24
	v_mul_f32_e32 v24, v2, v24
	v_bfe_u32 v25, v24, 16, 1
	v_or_b32_e32 v26, 0x400000, v24
	v_cmp_u_f32_e32 vcc_lo, v24, v24
	v_add3_u32 v25, v25, v24, 0x7fff
	v_cndmask_b32_e32 v24, v25, v26, vcc_lo
	v_and_b32_e32 v9, 0xffff0000, v24
	v_add_f32_e32 v9, v9, v10
	v_add_f32_e32 v8, v8, v9
	buffer_load_dword v9, off, s[0:3], s32 offset:936 ; 4-byte Folded Reload
	s_waitcnt vmcnt(0)
	v_add_f32_e32 v9, v9, v8
	buffer_load_dword v8, off, s[0:3], s32 offset:440 ; 4-byte Folded Reload
	buffer_store_dword v9, off, s[0:3], s32 offset:936 ; 4-byte Folded Spill
	s_waitcnt vmcnt(0)
	v_lshlrev_b32_e32 v8, 16, v8
	v_mul_f32_e32 v8, v6, v8
	v_bfe_u32 v9, v8, 16, 1
	v_or_b32_e32 v10, 0x400000, v8
	v_cmp_u_f32_e32 vcc_lo, v8, v8
	v_add3_u32 v9, v9, v8, 0x7fff
	v_cndmask_b32_e32 v8, v9, v10, vcc_lo
	buffer_load_dword v9, off, s[0:3], s32 offset:444 ; 4-byte Folded Reload
	v_and_b32_e32 v8, 0xffff0000, v8
	s_waitcnt vmcnt(0)
	v_lshlrev_b32_e32 v9, 16, v9
	v_mul_f32_e32 v9, v7, v9
	v_bfe_u32 v10, v9, 16, 1
	v_or_b32_e32 v11, 0x400000, v9
	v_cmp_u_f32_e32 vcc_lo, v9, v9
	v_add3_u32 v10, v10, v9, 0x7fff
	v_cndmask_b32_e32 v9, v10, v11, vcc_lo
	buffer_load_dword v10, off, s[0:3], s32 offset:424 ; 4-byte Folded Reload
	v_and_b32_e32 v9, 0xffff0000, v9
	v_add_f32_e32 v8, v9, v8
	s_waitcnt vmcnt(0)
	v_lshlrev_b32_e32 v10, 16, v10
	v_mul_f32_e32 v10, v3, v10
	v_bfe_u32 v11, v10, 16, 1
	v_or_b32_e32 v16, 0x400000, v10
	v_cmp_u_f32_e32 vcc_lo, v10, v10
	v_add3_u32 v11, v11, v10, 0x7fff
	v_cndmask_b32_e32 v10, v11, v16, vcc_lo
	buffer_load_dword v11, off, s[0:3], s32 offset:428 ; 4-byte Folded Reload
	v_and_b32_e32 v10, 0xffff0000, v10
	s_waitcnt vmcnt(0)
	v_lshlrev_b32_e32 v11, 16, v11
	v_mul_f32_e32 v11, v5, v11
	v_bfe_u32 v16, v11, 16, 1
	v_or_b32_e32 v21, 0x400000, v11
	v_cmp_u_f32_e32 vcc_lo, v11, v11
	v_add3_u32 v16, v16, v11, 0x7fff
	v_cndmask_b32_e32 v11, v16, v21, vcc_lo
	buffer_load_dword v16, off, s[0:3], s32 offset:420 ; 4-byte Folded Reload
	v_and_b32_e32 v9, 0xffff0000, v11
	v_add_f32_e32 v9, v9, v10
	v_add_f32_e32 v8, v8, v9
	s_waitcnt vmcnt(0)
	v_lshlrev_b32_e32 v16, 16, v16
	v_mul_f32_e32 v16, v1, v16
	v_bfe_u32 v21, v16, 16, 1
	v_or_b32_e32 v22, 0x400000, v16
	v_cmp_u_f32_e32 vcc_lo, v16, v16
	v_add3_u32 v21, v21, v16, 0x7fff
	v_cndmask_b32_e32 v16, v21, v22, vcc_lo
	buffer_load_dword v21, off, s[0:3], s32 offset:416 ; 4-byte Folded Reload
	v_and_b32_e32 v10, 0xffff0000, v16
	s_waitcnt vmcnt(0)
	v_lshlrev_b32_e32 v21, 16, v21
	v_mul_f32_e32 v21, v4, v21
	v_bfe_u32 v22, v21, 16, 1
	v_or_b32_e32 v24, 0x400000, v21
	v_cmp_u_f32_e32 vcc_lo, v21, v21
	v_add3_u32 v22, v22, v21, 0x7fff
	v_cndmask_b32_e32 v21, v22, v24, vcc_lo
	buffer_load_dword v22, off, s[0:3], s32 offset:436 ; 4-byte Folded Reload
	v_and_b32_e32 v9, 0xffff0000, v21
	v_add_f32_e32 v9, v9, v10
	v_add_f32_e32 v8, v8, v9
	s_waitcnt vmcnt(0)
	v_lshlrev_b32_e32 v22, 16, v22
	v_mul_f32_e32 v22, v0, v22
	v_bfe_u32 v24, v22, 16, 1
	v_or_b32_e32 v25, 0x400000, v22
	v_cmp_u_f32_e32 vcc_lo, v22, v22
	v_add3_u32 v24, v24, v22, 0x7fff
	v_cndmask_b32_e32 v22, v24, v25, vcc_lo
	buffer_load_dword v24, off, s[0:3], s32 offset:432 ; 4-byte Folded Reload
	v_and_b32_e32 v10, 0xffff0000, v22
	s_waitcnt vmcnt(0)
	v_lshlrev_b32_e32 v24, 16, v24
	v_mul_f32_e32 v24, v2, v24
	v_bfe_u32 v25, v24, 16, 1
	v_or_b32_e32 v26, 0x400000, v24
	v_cmp_u_f32_e32 vcc_lo, v24, v24
	v_add3_u32 v25, v25, v24, 0x7fff
	v_cndmask_b32_e32 v24, v25, v26, vcc_lo
	v_and_b32_e32 v9, 0xffff0000, v24
	v_add_f32_e32 v9, v9, v10
	v_add_f32_e32 v8, v8, v9
	buffer_load_dword v9, off, s[0:3], s32 offset:940 ; 4-byte Folded Reload
	s_waitcnt vmcnt(0)
	v_add_f32_e32 v9, v9, v8
	buffer_load_dword v8, off, s[0:3], s32 offset:412 ; 4-byte Folded Reload
	buffer_store_dword v9, off, s[0:3], s32 offset:940 ; 4-byte Folded Spill
	s_waitcnt vmcnt(0)
	v_lshlrev_b32_e32 v8, 16, v8
	v_mul_f32_e32 v8, v6, v8
	v_bfe_u32 v9, v8, 16, 1
	v_or_b32_e32 v10, 0x400000, v8
	v_cmp_u_f32_e32 vcc_lo, v8, v8
	v_add3_u32 v9, v9, v8, 0x7fff
	v_cndmask_b32_e32 v8, v9, v10, vcc_lo
	buffer_load_dword v9, off, s[0:3], s32 offset:408 ; 4-byte Folded Reload
	v_and_b32_e32 v8, 0xffff0000, v8
	s_waitcnt vmcnt(0)
	v_lshlrev_b32_e32 v9, 16, v9
	v_mul_f32_e32 v9, v7, v9
	v_bfe_u32 v10, v9, 16, 1
	v_or_b32_e32 v11, 0x400000, v9
	v_cmp_u_f32_e32 vcc_lo, v9, v9
	v_add3_u32 v10, v10, v9, 0x7fff
	v_cndmask_b32_e32 v9, v10, v11, vcc_lo
	buffer_load_dword v10, off, s[0:3], s32 offset:400 ; 4-byte Folded Reload
	v_and_b32_e32 v9, 0xffff0000, v9
	v_add_f32_e32 v8, v9, v8
	s_waitcnt vmcnt(0)
	v_lshlrev_b32_e32 v10, 16, v10
	v_mul_f32_e32 v10, v3, v10
	v_bfe_u32 v11, v10, 16, 1
	v_or_b32_e32 v16, 0x400000, v10
	v_cmp_u_f32_e32 vcc_lo, v10, v10
	v_add3_u32 v11, v11, v10, 0x7fff
	v_cndmask_b32_e32 v10, v11, v16, vcc_lo
	buffer_load_dword v11, off, s[0:3], s32 offset:396 ; 4-byte Folded Reload
	v_and_b32_e32 v10, 0xffff0000, v10
	s_waitcnt vmcnt(0)
	v_lshlrev_b32_e32 v11, 16, v11
	v_mul_f32_e32 v11, v5, v11
	v_bfe_u32 v16, v11, 16, 1
	v_or_b32_e32 v21, 0x400000, v11
	v_cmp_u_f32_e32 vcc_lo, v11, v11
	v_add3_u32 v16, v16, v11, 0x7fff
	v_cndmask_b32_e32 v11, v16, v21, vcc_lo
	buffer_load_dword v16, off, s[0:3], s32 offset:388 ; 4-byte Folded Reload
	v_and_b32_e32 v9, 0xffff0000, v11
	v_add_f32_e32 v9, v9, v10
	v_add_f32_e32 v8, v8, v9
	s_waitcnt vmcnt(0)
	v_lshlrev_b32_e32 v16, 16, v16
	v_mul_f32_e32 v16, v1, v16
	v_bfe_u32 v21, v16, 16, 1
	v_or_b32_e32 v22, 0x400000, v16
	v_cmp_u_f32_e32 vcc_lo, v16, v16
	v_add3_u32 v21, v21, v16, 0x7fff
	v_cndmask_b32_e32 v16, v21, v22, vcc_lo
	buffer_load_dword v21, off, s[0:3], s32 offset:384 ; 4-byte Folded Reload
	v_and_b32_e32 v10, 0xffff0000, v16
	s_waitcnt vmcnt(0)
	v_lshlrev_b32_e32 v21, 16, v21
	v_mul_f32_e32 v21, v4, v21
	v_bfe_u32 v22, v21, 16, 1
	v_or_b32_e32 v24, 0x400000, v21
	v_cmp_u_f32_e32 vcc_lo, v21, v21
	v_add3_u32 v22, v22, v21, 0x7fff
	v_cndmask_b32_e32 v21, v22, v24, vcc_lo
	buffer_load_dword v22, off, s[0:3], s32 offset:404 ; 4-byte Folded Reload
	v_and_b32_e32 v9, 0xffff0000, v21
	v_add_f32_e32 v9, v9, v10
	v_add_f32_e32 v8, v8, v9
	s_waitcnt vmcnt(0)
	v_lshlrev_b32_e32 v22, 16, v22
	v_mul_f32_e32 v22, v0, v22
	v_bfe_u32 v24, v22, 16, 1
	v_or_b32_e32 v25, 0x400000, v22
	v_cmp_u_f32_e32 vcc_lo, v22, v22
	v_add3_u32 v24, v24, v22, 0x7fff
	v_cndmask_b32_e32 v22, v24, v25, vcc_lo
	buffer_load_dword v24, off, s[0:3], s32 offset:392 ; 4-byte Folded Reload
	v_and_b32_e32 v10, 0xffff0000, v22
	s_waitcnt vmcnt(0)
	v_lshlrev_b32_e32 v24, 16, v24
	v_mul_f32_e32 v24, v2, v24
	v_bfe_u32 v25, v24, 16, 1
	v_or_b32_e32 v26, 0x400000, v24
	v_cmp_u_f32_e32 vcc_lo, v24, v24
	v_add3_u32 v25, v25, v24, 0x7fff
	v_cndmask_b32_e32 v24, v25, v26, vcc_lo
	v_and_b32_e32 v9, 0xffff0000, v24
	v_add_f32_e32 v9, v9, v10
	v_add_f32_e32 v8, v8, v9
	buffer_load_dword v9, off, s[0:3], s32 offset:944 ; 4-byte Folded Reload
	s_waitcnt vmcnt(0)
	v_add_f32_e32 v9, v9, v8
	buffer_load_dword v8, off, s[0:3], s32 offset:380 ; 4-byte Folded Reload
	buffer_store_dword v9, off, s[0:3], s32 offset:944 ; 4-byte Folded Spill
	s_waitcnt vmcnt(0)
	v_lshlrev_b32_e32 v8, 16, v8
	v_mul_f32_e32 v8, v6, v8
	v_bfe_u32 v9, v8, 16, 1
	v_or_b32_e32 v10, 0x400000, v8
	v_cmp_u_f32_e32 vcc_lo, v8, v8
	v_add3_u32 v9, v9, v8, 0x7fff
	v_cndmask_b32_e32 v8, v9, v10, vcc_lo
	buffer_load_dword v9, off, s[0:3], s32 offset:376 ; 4-byte Folded Reload
	v_and_b32_e32 v8, 0xffff0000, v8
	s_waitcnt vmcnt(0)
	v_lshlrev_b32_e32 v9, 16, v9
	v_mul_f32_e32 v9, v7, v9
	v_bfe_u32 v10, v9, 16, 1
	v_or_b32_e32 v11, 0x400000, v9
	v_cmp_u_f32_e32 vcc_lo, v9, v9
	v_add3_u32 v10, v10, v9, 0x7fff
	v_cndmask_b32_e32 v9, v10, v11, vcc_lo
	buffer_load_dword v10, off, s[0:3], s32 offset:364 ; 4-byte Folded Reload
	v_and_b32_e32 v9, 0xffff0000, v9
	v_add_f32_e32 v8, v9, v8
	s_waitcnt vmcnt(0)
	v_lshlrev_b32_e32 v10, 16, v10
	v_mul_f32_e32 v10, v3, v10
	v_bfe_u32 v11, v10, 16, 1
	v_or_b32_e32 v16, 0x400000, v10
	v_cmp_u_f32_e32 vcc_lo, v10, v10
	v_add3_u32 v11, v11, v10, 0x7fff
	v_cndmask_b32_e32 v10, v11, v16, vcc_lo
	buffer_load_dword v11, off, s[0:3], s32 offset:368 ; 4-byte Folded Reload
	v_and_b32_e32 v10, 0xffff0000, v10
	s_waitcnt vmcnt(0)
	v_lshlrev_b32_e32 v11, 16, v11
	v_mul_f32_e32 v11, v5, v11
	v_bfe_u32 v16, v11, 16, 1
	v_or_b32_e32 v21, 0x400000, v11
	v_cmp_u_f32_e32 vcc_lo, v11, v11
	v_add3_u32 v16, v16, v11, 0x7fff
	v_cndmask_b32_e32 v11, v16, v21, vcc_lo
	buffer_load_dword v16, off, s[0:3], s32 offset:356 ; 4-byte Folded Reload
	v_and_b32_e32 v9, 0xffff0000, v11
	v_add_f32_e32 v9, v9, v10
	v_add_f32_e32 v8, v8, v9
	s_waitcnt vmcnt(0)
	v_lshlrev_b32_e32 v16, 16, v16
	v_mul_f32_e32 v16, v1, v16
	v_bfe_u32 v21, v16, 16, 1
	v_or_b32_e32 v22, 0x400000, v16
	v_cmp_u_f32_e32 vcc_lo, v16, v16
	v_add3_u32 v21, v21, v16, 0x7fff
	v_cndmask_b32_e32 v16, v21, v22, vcc_lo
	buffer_load_dword v21, off, s[0:3], s32 offset:352 ; 4-byte Folded Reload
	v_and_b32_e32 v10, 0xffff0000, v16
	s_waitcnt vmcnt(0)
	v_lshlrev_b32_e32 v21, 16, v21
	v_mul_f32_e32 v21, v4, v21
	v_bfe_u32 v22, v21, 16, 1
	v_or_b32_e32 v24, 0x400000, v21
	v_cmp_u_f32_e32 vcc_lo, v21, v21
	v_add3_u32 v22, v22, v21, 0x7fff
	v_cndmask_b32_e32 v21, v22, v24, vcc_lo
	buffer_load_dword v22, off, s[0:3], s32 offset:372 ; 4-byte Folded Reload
	v_and_b32_e32 v9, 0xffff0000, v21
	v_add_f32_e32 v9, v9, v10
	v_add_f32_e32 v8, v8, v9
	s_waitcnt vmcnt(0)
	v_lshlrev_b32_e32 v22, 16, v22
	v_mul_f32_e32 v22, v0, v22
	v_bfe_u32 v24, v22, 16, 1
	v_or_b32_e32 v25, 0x400000, v22
	v_cmp_u_f32_e32 vcc_lo, v22, v22
	v_add3_u32 v24, v24, v22, 0x7fff
	v_cndmask_b32_e32 v22, v24, v25, vcc_lo
	buffer_load_dword v24, off, s[0:3], s32 offset:360 ; 4-byte Folded Reload
	v_and_b32_e32 v10, 0xffff0000, v22
	s_waitcnt vmcnt(0)
	v_lshlrev_b32_e32 v24, 16, v24
	v_mul_f32_e32 v24, v2, v24
	v_bfe_u32 v25, v24, 16, 1
	v_or_b32_e32 v26, 0x400000, v24
	v_cmp_u_f32_e32 vcc_lo, v24, v24
	v_add3_u32 v25, v25, v24, 0x7fff
	v_cndmask_b32_e32 v24, v25, v26, vcc_lo
	v_and_b32_e32 v9, 0xffff0000, v24
	v_add_f32_e32 v9, v9, v10
	v_add_f32_e32 v8, v8, v9
	buffer_load_dword v9, off, s[0:3], s32 offset:948 ; 4-byte Folded Reload
	s_waitcnt vmcnt(0)
	v_add_f32_e32 v9, v9, v8
	buffer_load_dword v8, off, s[0:3], s32 offset:348 ; 4-byte Folded Reload
	buffer_store_dword v9, off, s[0:3], s32 offset:948 ; 4-byte Folded Spill
	s_waitcnt vmcnt(0)
	v_lshlrev_b32_e32 v8, 16, v8
	v_mul_f32_e32 v8, v6, v8
	v_bfe_u32 v9, v8, 16, 1
	v_or_b32_e32 v10, 0x400000, v8
	v_cmp_u_f32_e32 vcc_lo, v8, v8
	v_add3_u32 v9, v9, v8, 0x7fff
	v_cndmask_b32_e32 v8, v9, v10, vcc_lo
	buffer_load_dword v9, off, s[0:3], s32 offset:344 ; 4-byte Folded Reload
	v_and_b32_e32 v8, 0xffff0000, v8
	s_waitcnt vmcnt(0)
	v_lshlrev_b32_e32 v9, 16, v9
	v_mul_f32_e32 v9, v7, v9
	v_bfe_u32 v10, v9, 16, 1
	v_or_b32_e32 v11, 0x400000, v9
	v_cmp_u_f32_e32 vcc_lo, v9, v9
	v_add3_u32 v10, v10, v9, 0x7fff
	v_cndmask_b32_e32 v9, v10, v11, vcc_lo
	buffer_load_dword v10, off, s[0:3], s32 offset:336 ; 4-byte Folded Reload
	v_and_b32_e32 v9, 0xffff0000, v9
	v_add_f32_e32 v8, v9, v8
	s_waitcnt vmcnt(0)
	v_lshlrev_b32_e32 v10, 16, v10
	v_mul_f32_e32 v10, v3, v10
	v_bfe_u32 v11, v10, 16, 1
	v_or_b32_e32 v16, 0x400000, v10
	v_cmp_u_f32_e32 vcc_lo, v10, v10
	v_add3_u32 v11, v11, v10, 0x7fff
	v_cndmask_b32_e32 v10, v11, v16, vcc_lo
	buffer_load_dword v11, off, s[0:3], s32 offset:340 ; 4-byte Folded Reload
	v_and_b32_e32 v10, 0xffff0000, v10
	s_waitcnt vmcnt(0)
	v_lshlrev_b32_e32 v11, 16, v11
	v_mul_f32_e32 v11, v5, v11
	v_bfe_u32 v16, v11, 16, 1
	v_or_b32_e32 v21, 0x400000, v11
	v_cmp_u_f32_e32 vcc_lo, v11, v11
	v_add3_u32 v16, v16, v11, 0x7fff
	v_cndmask_b32_e32 v11, v16, v21, vcc_lo
	buffer_load_dword v16, off, s[0:3], s32 offset:332 ; 4-byte Folded Reload
	v_and_b32_e32 v9, 0xffff0000, v11
	v_add_f32_e32 v9, v9, v10
	v_add_f32_e32 v8, v8, v9
	s_waitcnt vmcnt(0)
	v_lshlrev_b32_e32 v16, 16, v16
	v_mul_f32_e32 v16, v1, v16
	v_bfe_u32 v21, v16, 16, 1
	v_or_b32_e32 v22, 0x400000, v16
	v_cmp_u_f32_e32 vcc_lo, v16, v16
	v_add3_u32 v21, v21, v16, 0x7fff
	v_cndmask_b32_e32 v16, v21, v22, vcc_lo
	buffer_load_dword v21, off, s[0:3], s32 offset:324 ; 4-byte Folded Reload
	v_and_b32_e32 v10, 0xffff0000, v16
	s_waitcnt vmcnt(0)
	v_lshlrev_b32_e32 v21, 16, v21
	v_mul_f32_e32 v21, v4, v21
	v_bfe_u32 v22, v21, 16, 1
	v_or_b32_e32 v24, 0x400000, v21
	v_cmp_u_f32_e32 vcc_lo, v21, v21
	v_add3_u32 v22, v22, v21, 0x7fff
	v_cndmask_b32_e32 v21, v22, v24, vcc_lo
	buffer_load_dword v22, off, s[0:3], s32 offset:328 ; 4-byte Folded Reload
	v_and_b32_e32 v9, 0xffff0000, v21
	v_add_f32_e32 v9, v9, v10
	v_add_f32_e32 v8, v8, v9
	s_waitcnt vmcnt(0)
	v_lshlrev_b32_e32 v22, 16, v22
	v_mul_f32_e32 v22, v0, v22
	v_bfe_u32 v24, v22, 16, 1
	v_or_b32_e32 v25, 0x400000, v22
	v_cmp_u_f32_e32 vcc_lo, v22, v22
	v_add3_u32 v24, v24, v22, 0x7fff
	v_cndmask_b32_e32 v22, v24, v25, vcc_lo
	buffer_load_dword v24, off, s[0:3], s32 offset:320 ; 4-byte Folded Reload
	v_and_b32_e32 v10, 0xffff0000, v22
	s_waitcnt vmcnt(0)
	v_lshlrev_b32_e32 v24, 16, v24
	v_mul_f32_e32 v24, v2, v24
	v_bfe_u32 v25, v24, 16, 1
	v_or_b32_e32 v26, 0x400000, v24
	v_cmp_u_f32_e32 vcc_lo, v24, v24
	v_add3_u32 v25, v25, v24, 0x7fff
	v_cndmask_b32_e32 v24, v25, v26, vcc_lo
	v_and_b32_e32 v9, 0xffff0000, v24
	v_add_f32_e32 v9, v9, v10
	v_add_f32_e32 v8, v8, v9
	buffer_load_dword v9, off, s[0:3], s32 offset:952 ; 4-byte Folded Reload
	s_waitcnt vmcnt(0)
	v_add_f32_e32 v9, v9, v8
	buffer_load_dword v8, off, s[0:3], s32 offset:316 ; 4-byte Folded Reload
	buffer_store_dword v9, off, s[0:3], s32 offset:952 ; 4-byte Folded Spill
	s_waitcnt vmcnt(0)
	v_lshlrev_b32_e32 v8, 16, v8
	v_mul_f32_e32 v8, v6, v8
	v_bfe_u32 v9, v8, 16, 1
	v_or_b32_e32 v10, 0x400000, v8
	v_cmp_u_f32_e32 vcc_lo, v8, v8
	v_add3_u32 v9, v9, v8, 0x7fff
	v_cndmask_b32_e32 v8, v9, v10, vcc_lo
	buffer_load_dword v9, off, s[0:3], s32 offset:312 ; 4-byte Folded Reload
	v_and_b32_e32 v8, 0xffff0000, v8
	s_waitcnt vmcnt(0)
	v_lshlrev_b32_e32 v9, 16, v9
	v_mul_f32_e32 v9, v7, v9
	v_bfe_u32 v10, v9, 16, 1
	v_or_b32_e32 v11, 0x400000, v9
	v_cmp_u_f32_e32 vcc_lo, v9, v9
	v_add3_u32 v10, v10, v9, 0x7fff
	v_cndmask_b32_e32 v9, v10, v11, vcc_lo
	buffer_load_dword v10, off, s[0:3], s32 offset:304 ; 4-byte Folded Reload
	v_and_b32_e32 v9, 0xffff0000, v9
	v_add_f32_e32 v8, v9, v8
	s_waitcnt vmcnt(0)
	v_lshlrev_b32_e32 v10, 16, v10
	v_mul_f32_e32 v10, v3, v10
	v_bfe_u32 v11, v10, 16, 1
	v_or_b32_e32 v16, 0x400000, v10
	v_cmp_u_f32_e32 vcc_lo, v10, v10
	v_add3_u32 v11, v11, v10, 0x7fff
	v_cndmask_b32_e32 v10, v11, v16, vcc_lo
	buffer_load_dword v11, off, s[0:3], s32 offset:308 ; 4-byte Folded Reload
	v_and_b32_e32 v10, 0xffff0000, v10
	s_waitcnt vmcnt(0)
	v_lshlrev_b32_e32 v11, 16, v11
	v_mul_f32_e32 v11, v5, v11
	v_bfe_u32 v16, v11, 16, 1
	v_or_b32_e32 v21, 0x400000, v11
	v_cmp_u_f32_e32 vcc_lo, v11, v11
	v_add3_u32 v16, v16, v11, 0x7fff
	v_cndmask_b32_e32 v11, v16, v21, vcc_lo
	buffer_load_dword v16, off, s[0:3], s32 offset:300 ; 4-byte Folded Reload
	v_and_b32_e32 v9, 0xffff0000, v11
	v_add_f32_e32 v9, v9, v10
	v_add_f32_e32 v8, v8, v9
	s_waitcnt vmcnt(0)
	v_lshlrev_b32_e32 v16, 16, v16
	v_mul_f32_e32 v16, v1, v16
	v_bfe_u32 v21, v16, 16, 1
	v_or_b32_e32 v22, 0x400000, v16
	v_cmp_u_f32_e32 vcc_lo, v16, v16
	v_add3_u32 v21, v21, v16, 0x7fff
	v_cndmask_b32_e32 v16, v21, v22, vcc_lo
	buffer_load_dword v21, off, s[0:3], s32 offset:292 ; 4-byte Folded Reload
	v_and_b32_e32 v10, 0xffff0000, v16
	s_waitcnt vmcnt(0)
	v_lshlrev_b32_e32 v21, 16, v21
	v_mul_f32_e32 v21, v4, v21
	v_bfe_u32 v22, v21, 16, 1
	v_or_b32_e32 v24, 0x400000, v21
	v_cmp_u_f32_e32 vcc_lo, v21, v21
	v_add3_u32 v22, v22, v21, 0x7fff
	v_cndmask_b32_e32 v21, v22, v24, vcc_lo
	buffer_load_dword v22, off, s[0:3], s32 offset:296 ; 4-byte Folded Reload
	v_and_b32_e32 v9, 0xffff0000, v21
	v_add_f32_e32 v9, v9, v10
	v_add_f32_e32 v8, v8, v9
	s_waitcnt vmcnt(0)
	v_lshlrev_b32_e32 v22, 16, v22
	v_mul_f32_e32 v22, v0, v22
	v_bfe_u32 v24, v22, 16, 1
	v_or_b32_e32 v25, 0x400000, v22
	v_cmp_u_f32_e32 vcc_lo, v22, v22
	v_add3_u32 v24, v24, v22, 0x7fff
	v_cndmask_b32_e32 v22, v24, v25, vcc_lo
	buffer_load_dword v24, off, s[0:3], s32 offset:288 ; 4-byte Folded Reload
	v_and_b32_e32 v10, 0xffff0000, v22
	s_waitcnt vmcnt(0)
	v_lshlrev_b32_e32 v24, 16, v24
	v_mul_f32_e32 v24, v2, v24
	v_bfe_u32 v25, v24, 16, 1
	v_or_b32_e32 v26, 0x400000, v24
	v_cmp_u_f32_e32 vcc_lo, v24, v24
	v_add3_u32 v25, v25, v24, 0x7fff
	v_cndmask_b32_e32 v24, v25, v26, vcc_lo
	v_and_b32_e32 v9, 0xffff0000, v24
	v_add_f32_e32 v9, v9, v10
	v_add_f32_e32 v8, v8, v9
	buffer_load_dword v9, off, s[0:3], s32 offset:956 ; 4-byte Folded Reload
	s_waitcnt vmcnt(0)
	v_add_f32_e32 v9, v9, v8
	buffer_load_dword v8, off, s[0:3], s32 offset:284 ; 4-byte Folded Reload
	buffer_store_dword v9, off, s[0:3], s32 offset:956 ; 4-byte Folded Spill
	s_waitcnt vmcnt(0)
	v_lshlrev_b32_e32 v8, 16, v8
	v_mul_f32_e32 v8, v6, v8
	v_bfe_u32 v9, v8, 16, 1
	v_or_b32_e32 v10, 0x400000, v8
	v_cmp_u_f32_e32 vcc_lo, v8, v8
	v_add3_u32 v9, v9, v8, 0x7fff
	v_cndmask_b32_e32 v8, v9, v10, vcc_lo
	buffer_load_dword v9, off, s[0:3], s32 offset:280 ; 4-byte Folded Reload
	v_and_b32_e32 v8, 0xffff0000, v8
	s_waitcnt vmcnt(0)
	v_lshlrev_b32_e32 v9, 16, v9
	v_mul_f32_e32 v9, v7, v9
	v_bfe_u32 v10, v9, 16, 1
	v_or_b32_e32 v11, 0x400000, v9
	v_cmp_u_f32_e32 vcc_lo, v9, v9
	v_add3_u32 v10, v10, v9, 0x7fff
	v_cndmask_b32_e32 v9, v10, v11, vcc_lo
	buffer_load_dword v10, off, s[0:3], s32 offset:272 ; 4-byte Folded Reload
	v_and_b32_e32 v9, 0xffff0000, v9
	v_add_f32_e32 v8, v9, v8
	s_waitcnt vmcnt(0)
	v_lshlrev_b32_e32 v10, 16, v10
	v_mul_f32_e32 v10, v3, v10
	v_bfe_u32 v11, v10, 16, 1
	v_or_b32_e32 v16, 0x400000, v10
	v_cmp_u_f32_e32 vcc_lo, v10, v10
	v_add3_u32 v11, v11, v10, 0x7fff
	v_cndmask_b32_e32 v10, v11, v16, vcc_lo
	buffer_load_dword v11, off, s[0:3], s32 offset:276 ; 4-byte Folded Reload
	v_and_b32_e32 v10, 0xffff0000, v10
	s_waitcnt vmcnt(0)
	v_lshlrev_b32_e32 v11, 16, v11
	v_mul_f32_e32 v11, v5, v11
	v_bfe_u32 v16, v11, 16, 1
	v_or_b32_e32 v21, 0x400000, v11
	v_cmp_u_f32_e32 vcc_lo, v11, v11
	v_add3_u32 v16, v16, v11, 0x7fff
	v_cndmask_b32_e32 v11, v16, v21, vcc_lo
	buffer_load_dword v16, off, s[0:3], s32 offset:268 ; 4-byte Folded Reload
	v_and_b32_e32 v9, 0xffff0000, v11
	v_add_f32_e32 v9, v9, v10
	v_add_f32_e32 v8, v8, v9
	s_waitcnt vmcnt(0)
	v_lshlrev_b32_e32 v16, 16, v16
	v_mul_f32_e32 v16, v1, v16
	v_bfe_u32 v21, v16, 16, 1
	v_or_b32_e32 v22, 0x400000, v16
	v_cmp_u_f32_e32 vcc_lo, v16, v16
	v_add3_u32 v21, v21, v16, 0x7fff
	v_cndmask_b32_e32 v16, v21, v22, vcc_lo
	buffer_load_dword v21, off, s[0:3], s32 offset:260 ; 4-byte Folded Reload
	v_and_b32_e32 v10, 0xffff0000, v16
	s_waitcnt vmcnt(0)
	v_lshlrev_b32_e32 v21, 16, v21
	v_mul_f32_e32 v21, v4, v21
	v_bfe_u32 v22, v21, 16, 1
	v_or_b32_e32 v24, 0x400000, v21
	v_cmp_u_f32_e32 vcc_lo, v21, v21
	v_add3_u32 v22, v22, v21, 0x7fff
	v_cndmask_b32_e32 v21, v22, v24, vcc_lo
	buffer_load_dword v22, off, s[0:3], s32 offset:264 ; 4-byte Folded Reload
	v_and_b32_e32 v9, 0xffff0000, v21
	v_add_f32_e32 v9, v9, v10
	v_add_f32_e32 v8, v8, v9
	s_waitcnt vmcnt(0)
	v_lshlrev_b32_e32 v22, 16, v22
	v_mul_f32_e32 v22, v0, v22
	v_bfe_u32 v24, v22, 16, 1
	v_or_b32_e32 v25, 0x400000, v22
	v_cmp_u_f32_e32 vcc_lo, v22, v22
	v_add3_u32 v24, v24, v22, 0x7fff
	v_cndmask_b32_e32 v22, v24, v25, vcc_lo
	buffer_load_dword v24, off, s[0:3], s32 offset:256 ; 4-byte Folded Reload
	v_and_b32_e32 v10, 0xffff0000, v22
	s_waitcnt vmcnt(0)
	v_lshlrev_b32_e32 v24, 16, v24
	v_mul_f32_e32 v24, v2, v24
	v_bfe_u32 v25, v24, 16, 1
	v_or_b32_e32 v26, 0x400000, v24
	v_cmp_u_f32_e32 vcc_lo, v24, v24
	v_add3_u32 v25, v25, v24, 0x7fff
	v_cndmask_b32_e32 v24, v25, v26, vcc_lo
	v_and_b32_e32 v9, 0xffff0000, v24
	v_add_f32_e32 v9, v9, v10
	v_add_f32_e32 v8, v8, v9
	buffer_load_dword v9, off, s[0:3], s32 offset:964 ; 4-byte Folded Reload
	s_waitcnt vmcnt(0)
	v_add_f32_e32 v9, v9, v8
	buffer_load_dword v8, off, s[0:3], s32 offset:252 ; 4-byte Folded Reload
	buffer_store_dword v9, off, s[0:3], s32 offset:964 ; 4-byte Folded Spill
	s_waitcnt vmcnt(0)
	v_lshlrev_b32_e32 v8, 16, v8
	v_mul_f32_e32 v8, v6, v8
	v_bfe_u32 v9, v8, 16, 1
	v_or_b32_e32 v10, 0x400000, v8
	v_cmp_u_f32_e32 vcc_lo, v8, v8
	v_add3_u32 v9, v9, v8, 0x7fff
	v_cndmask_b32_e32 v8, v9, v10, vcc_lo
	buffer_load_dword v9, off, s[0:3], s32 offset:248 ; 4-byte Folded Reload
	v_and_b32_e32 v8, 0xffff0000, v8
	s_waitcnt vmcnt(0)
	v_lshlrev_b32_e32 v9, 16, v9
	v_mul_f32_e32 v9, v7, v9
	v_bfe_u32 v10, v9, 16, 1
	v_or_b32_e32 v11, 0x400000, v9
	v_cmp_u_f32_e32 vcc_lo, v9, v9
	v_add3_u32 v10, v10, v9, 0x7fff
	v_cndmask_b32_e32 v9, v10, v11, vcc_lo
	buffer_load_dword v10, off, s[0:3], s32 offset:240 ; 4-byte Folded Reload
	v_and_b32_e32 v9, 0xffff0000, v9
	v_add_f32_e32 v8, v9, v8
	s_waitcnt vmcnt(0)
	v_lshlrev_b32_e32 v10, 16, v10
	v_mul_f32_e32 v10, v3, v10
	v_bfe_u32 v11, v10, 16, 1
	v_or_b32_e32 v16, 0x400000, v10
	v_cmp_u_f32_e32 vcc_lo, v10, v10
	v_add3_u32 v11, v11, v10, 0x7fff
	v_cndmask_b32_e32 v10, v11, v16, vcc_lo
	buffer_load_dword v11, off, s[0:3], s32 offset:244 ; 4-byte Folded Reload
	v_and_b32_e32 v10, 0xffff0000, v10
	s_waitcnt vmcnt(0)
	v_lshlrev_b32_e32 v11, 16, v11
	v_mul_f32_e32 v11, v5, v11
	v_bfe_u32 v16, v11, 16, 1
	v_or_b32_e32 v21, 0x400000, v11
	v_cmp_u_f32_e32 vcc_lo, v11, v11
	v_add3_u32 v16, v16, v11, 0x7fff
	v_cndmask_b32_e32 v11, v16, v21, vcc_lo
	buffer_load_dword v16, off, s[0:3], s32 offset:236 ; 4-byte Folded Reload
	v_and_b32_e32 v9, 0xffff0000, v11
	v_add_f32_e32 v9, v9, v10
	v_add_f32_e32 v8, v8, v9
	s_waitcnt vmcnt(0)
	v_lshlrev_b32_e32 v16, 16, v16
	v_mul_f32_e32 v16, v1, v16
	v_bfe_u32 v21, v16, 16, 1
	v_or_b32_e32 v22, 0x400000, v16
	v_cmp_u_f32_e32 vcc_lo, v16, v16
	v_add3_u32 v21, v21, v16, 0x7fff
	v_cndmask_b32_e32 v16, v21, v22, vcc_lo
	buffer_load_dword v21, off, s[0:3], s32 offset:228 ; 4-byte Folded Reload
	v_and_b32_e32 v10, 0xffff0000, v16
	s_waitcnt vmcnt(0)
	v_lshlrev_b32_e32 v21, 16, v21
	v_mul_f32_e32 v21, v4, v21
	v_bfe_u32 v22, v21, 16, 1
	v_or_b32_e32 v24, 0x400000, v21
	v_cmp_u_f32_e32 vcc_lo, v21, v21
	v_add3_u32 v22, v22, v21, 0x7fff
	v_cndmask_b32_e32 v21, v22, v24, vcc_lo
	buffer_load_dword v22, off, s[0:3], s32 offset:232 ; 4-byte Folded Reload
	v_and_b32_e32 v9, 0xffff0000, v21
	v_add_f32_e32 v9, v9, v10
	v_add_f32_e32 v8, v8, v9
	s_waitcnt vmcnt(0)
	v_lshlrev_b32_e32 v22, 16, v22
	v_mul_f32_e32 v22, v0, v22
	v_bfe_u32 v24, v22, 16, 1
	v_or_b32_e32 v25, 0x400000, v22
	v_cmp_u_f32_e32 vcc_lo, v22, v22
	v_add3_u32 v24, v24, v22, 0x7fff
	v_cndmask_b32_e32 v22, v24, v25, vcc_lo
	buffer_load_dword v24, off, s[0:3], s32 offset:224 ; 4-byte Folded Reload
	v_and_b32_e32 v10, 0xffff0000, v22
	s_waitcnt vmcnt(0)
	v_lshlrev_b32_e32 v24, 16, v24
	v_mul_f32_e32 v24, v2, v24
	v_bfe_u32 v25, v24, 16, 1
	v_or_b32_e32 v26, 0x400000, v24
	v_cmp_u_f32_e32 vcc_lo, v24, v24
	v_add3_u32 v25, v25, v24, 0x7fff
	v_cndmask_b32_e32 v24, v25, v26, vcc_lo
	v_and_b32_e32 v9, 0xffff0000, v24
	v_add_f32_e32 v9, v9, v10
	v_add_f32_e32 v8, v8, v9
	buffer_load_dword v9, off, s[0:3], s32 offset:968 ; 4-byte Folded Reload
	s_waitcnt vmcnt(0)
	v_add_f32_e32 v9, v9, v8
	buffer_load_dword v8, off, s[0:3], s32 offset:220 ; 4-byte Folded Reload
	buffer_store_dword v9, off, s[0:3], s32 offset:968 ; 4-byte Folded Spill
	s_waitcnt vmcnt(0)
	v_lshlrev_b32_e32 v8, 16, v8
	v_mul_f32_e32 v8, v6, v8
	v_bfe_u32 v9, v8, 16, 1
	v_or_b32_e32 v10, 0x400000, v8
	v_cmp_u_f32_e32 vcc_lo, v8, v8
	v_add3_u32 v9, v9, v8, 0x7fff
	v_cndmask_b32_e32 v8, v9, v10, vcc_lo
	buffer_load_dword v9, off, s[0:3], s32 offset:216 ; 4-byte Folded Reload
	v_and_b32_e32 v8, 0xffff0000, v8
	s_waitcnt vmcnt(0)
	v_lshlrev_b32_e32 v9, 16, v9
	v_mul_f32_e32 v9, v7, v9
	v_bfe_u32 v10, v9, 16, 1
	v_or_b32_e32 v11, 0x400000, v9
	v_cmp_u_f32_e32 vcc_lo, v9, v9
	v_add3_u32 v10, v10, v9, 0x7fff
	v_cndmask_b32_e32 v9, v10, v11, vcc_lo
	buffer_load_dword v10, off, s[0:3], s32 offset:208 ; 4-byte Folded Reload
	v_and_b32_e32 v9, 0xffff0000, v9
	v_add_f32_e32 v8, v9, v8
	s_waitcnt vmcnt(0)
	v_lshlrev_b32_e32 v10, 16, v10
	v_mul_f32_e32 v10, v3, v10
	v_bfe_u32 v11, v10, 16, 1
	v_or_b32_e32 v16, 0x400000, v10
	v_cmp_u_f32_e32 vcc_lo, v10, v10
	v_add3_u32 v11, v11, v10, 0x7fff
	v_cndmask_b32_e32 v10, v11, v16, vcc_lo
	buffer_load_dword v11, off, s[0:3], s32 offset:212 ; 4-byte Folded Reload
	v_and_b32_e32 v10, 0xffff0000, v10
	s_waitcnt vmcnt(0)
	v_lshlrev_b32_e32 v11, 16, v11
	v_mul_f32_e32 v11, v5, v11
	v_bfe_u32 v16, v11, 16, 1
	v_or_b32_e32 v21, 0x400000, v11
	v_cmp_u_f32_e32 vcc_lo, v11, v11
	v_add3_u32 v16, v16, v11, 0x7fff
	v_cndmask_b32_e32 v11, v16, v21, vcc_lo
	buffer_load_dword v16, off, s[0:3], s32 offset:204 ; 4-byte Folded Reload
	v_and_b32_e32 v9, 0xffff0000, v11
	v_add_f32_e32 v9, v9, v10
	v_add_f32_e32 v8, v8, v9
	s_waitcnt vmcnt(0)
	v_lshlrev_b32_e32 v16, 16, v16
	v_mul_f32_e32 v16, v1, v16
	v_bfe_u32 v21, v16, 16, 1
	v_or_b32_e32 v22, 0x400000, v16
	v_cmp_u_f32_e32 vcc_lo, v16, v16
	v_add3_u32 v21, v21, v16, 0x7fff
	v_cndmask_b32_e32 v16, v21, v22, vcc_lo
	buffer_load_dword v21, off, s[0:3], s32 offset:196 ; 4-byte Folded Reload
	v_and_b32_e32 v10, 0xffff0000, v16
	s_waitcnt vmcnt(0)
	v_lshlrev_b32_e32 v21, 16, v21
	v_mul_f32_e32 v21, v4, v21
	v_bfe_u32 v22, v21, 16, 1
	v_or_b32_e32 v24, 0x400000, v21
	v_cmp_u_f32_e32 vcc_lo, v21, v21
	v_add3_u32 v22, v22, v21, 0x7fff
	v_cndmask_b32_e32 v21, v22, v24, vcc_lo
	buffer_load_dword v22, off, s[0:3], s32 offset:200 ; 4-byte Folded Reload
	v_and_b32_e32 v9, 0xffff0000, v21
	v_add_f32_e32 v9, v9, v10
	v_add_f32_e32 v8, v8, v9
	s_waitcnt vmcnt(0)
	v_lshlrev_b32_e32 v22, 16, v22
	v_mul_f32_e32 v22, v0, v22
	v_bfe_u32 v24, v22, 16, 1
	v_or_b32_e32 v25, 0x400000, v22
	v_cmp_u_f32_e32 vcc_lo, v22, v22
	v_add3_u32 v24, v24, v22, 0x7fff
	v_cndmask_b32_e32 v22, v24, v25, vcc_lo
	buffer_load_dword v24, off, s[0:3], s32 offset:192 ; 4-byte Folded Reload
	v_and_b32_e32 v10, 0xffff0000, v22
	s_waitcnt vmcnt(0)
	v_lshlrev_b32_e32 v24, 16, v24
	v_mul_f32_e32 v24, v2, v24
	v_bfe_u32 v25, v24, 16, 1
	v_or_b32_e32 v26, 0x400000, v24
	v_cmp_u_f32_e32 vcc_lo, v24, v24
	v_add3_u32 v25, v25, v24, 0x7fff
	v_cndmask_b32_e32 v24, v25, v26, vcc_lo
	v_and_b32_e32 v9, 0xffff0000, v24
	v_add_f32_e32 v9, v9, v10
	v_add_f32_e32 v8, v8, v9
	buffer_load_dword v9, off, s[0:3], s32 offset:960 ; 4-byte Folded Reload
	s_waitcnt vmcnt(0)
	v_add_f32_e32 v9, v9, v8
	v_lshlrev_b32_e32 v8, 16, v23
	buffer_store_dword v9, off, s[0:3], s32 offset:960 ; 4-byte Folded Spill
	v_mul_f32_e32 v7, v7, v8
	s_clause 0x1
	buffer_load_dword v28, off, s[0:3], s32 offset:840
	buffer_load_dword v29, off, s[0:3], s32 offset:844
	v_bfe_u32 v8, v7, 16, 1
	v_or_b32_e32 v9, 0x400000, v7
	v_cmp_u_f32_e32 vcc_lo, v7, v7
	v_add3_u32 v8, v8, v7, 0x7fff
	v_cndmask_b32_e32 v7, v8, v9, vcc_lo
	v_lshlrev_b32_e32 v8, 16, v20
	v_and_b32_e32 v7, 0xffff0000, v7
	v_mul_f32_e32 v6, v6, v8
	v_bfe_u32 v8, v6, 16, 1
	v_or_b32_e32 v9, 0x400000, v6
	v_cmp_u_f32_e32 vcc_lo, v6, v6
	v_add3_u32 v8, v8, v6, 0x7fff
	v_cndmask_b32_e32 v6, v8, v9, vcc_lo
	v_lshlrev_b32_e32 v8, 16, v18
	v_and_b32_e32 v6, 0xffff0000, v6
	v_mul_f32_e32 v5, v5, v8
	v_add_f32_e32 v6, v7, v6
	v_bfe_u32 v8, v5, 16, 1
	v_or_b32_e32 v9, 0x400000, v5
	v_cmp_u_f32_e32 vcc_lo, v5, v5
	v_add3_u32 v8, v8, v5, 0x7fff
	v_cndmask_b32_e32 v5, v8, v9, vcc_lo
	v_lshlrev_b32_e32 v8, 16, v15
	v_and_b32_e32 v5, 0xffff0000, v5
	v_mul_f32_e32 v3, v3, v8
	v_bfe_u32 v8, v3, 16, 1
	v_or_b32_e32 v9, 0x400000, v3
	v_cmp_u_f32_e32 vcc_lo, v3, v3
	v_add3_u32 v8, v8, v3, 0x7fff
	v_cndmask_b32_e32 v3, v8, v9, vcc_lo
	v_lshlrev_b32_e32 v8, 16, v14
	v_and_b32_e32 v3, 0xffff0000, v3
	v_mul_f32_e32 v4, v4, v8
	v_add_f32_e32 v3, v5, v3
	v_bfe_u32 v8, v4, 16, 1
	v_or_b32_e32 v9, 0x400000, v4
	v_cmp_u_f32_e32 vcc_lo, v4, v4
	v_add_f32_e32 v3, v6, v3
	v_add3_u32 v8, v8, v4, 0x7fff
	v_cndmask_b32_e32 v4, v8, v9, vcc_lo
	v_lshlrev_b32_e32 v8, 16, v12
	v_and_b32_e32 v4, 0xffff0000, v4
	v_mul_f32_e32 v1, v1, v8
	v_bfe_u32 v8, v1, 16, 1
	v_or_b32_e32 v9, 0x400000, v1
	v_cmp_u_f32_e32 vcc_lo, v1, v1
	v_add3_u32 v8, v8, v1, 0x7fff
	v_cndmask_b32_e32 v1, v8, v9, vcc_lo
	v_lshlrev_b32_e32 v8, 16, v17
	v_and_b32_e32 v1, 0xffff0000, v1
	v_mul_f32_e32 v2, v2, v8
	v_add_f32_e32 v1, v4, v1
	v_bfe_u32 v8, v2, 16, 1
	v_or_b32_e32 v9, 0x400000, v2
	v_cmp_u_f32_e32 vcc_lo, v2, v2
	v_add_f32_e32 v1, v3, v1
	v_add3_u32 v8, v8, v2, 0x7fff
	v_cndmask_b32_e32 v2, v8, v9, vcc_lo
	v_lshlrev_b32_e32 v8, 16, v19
	v_and_b32_e32 v2, 0xffff0000, v2
	v_mul_f32_e32 v0, v0, v8
	v_bfe_u32 v8, v0, 16, 1
	v_or_b32_e32 v9, 0x400000, v0
	v_cmp_u_f32_e32 vcc_lo, v0, v0
	v_add3_u32 v8, v8, v0, 0x7fff
	v_cndmask_b32_e32 v0, v8, v9, vcc_lo
	v_and_b32_e32 v0, 0xffff0000, v0
	v_add_f32_e32 v0, v2, v0
	v_add_f32_e32 v0, v1, v0
	;; [unrolled: 1-line block ×3, first 2 shown]
	buffer_load_dword v0, off, s[0:3], s32 offset:836 ; 4-byte Folded Reload
	s_waitcnt vmcnt(2)
	v_add_nc_u32_e32 v28, 4, v28
	s_waitcnt vmcnt(0)
	v_cmp_ge_i32_e32 vcc_lo, v28, v0
	s_or_b32 s12, vcc_lo, s12
	s_andn2_b32 exec_lo, exec_lo, s12
	s_cbranch_execz .LBB399_4191
.LBB399_2079:                           ; =>This Inner Loop Header: Depth=1
	buffer_load_dword v2, off, s[0:3], s32 offset:972 ; 4-byte Folded Reload
	v_ashrrev_i32_e32 v29, 31, v28
	v_mov_b32_e32 v4, 0
	v_lshlrev_b64 v[0:1], 2, v[28:29]
	s_waitcnt vmcnt(0)
	v_add_co_u32 v0, vcc_lo, v2, v0
	buffer_load_dword v2, off, s[0:3], s32 offset:976 ; 4-byte Folded Reload
	s_waitcnt vmcnt(0)
	v_add_co_ci_u32_e64 v1, null, v2, v1, vcc_lo
	flat_load_dword v0, v[0:1]
	s_clause 0x2
	buffer_load_dword v1, off, s[0:3], s32 offset:832
	buffer_load_dword v2, off, s[0:3], s32 offset:984
	buffer_load_dword v3, off, s[0:3], s32 offset:988
	s_waitcnt vmcnt(0) lgkmcnt(0)
	v_mad_i64_i32 v[14:15], null, v0, v1, v[2:3]
	buffer_load_dword v0, off, s[0:3], s32 offset:992 ; 4-byte Folded Reload
	s_waitcnt vmcnt(0)
	v_add_co_u32 v17, vcc_lo, v14, v0
	buffer_load_dword v0, off, s[0:3], s32 offset:980 ; 4-byte Folded Reload
	v_add_co_ci_u32_e64 v18, null, 0, v15, vcc_lo
	flat_load_dwordx2 v[19:20], v[17:18]
	s_waitcnt vmcnt(1)
	v_lshl_or_b32 v125, v28, 5, v0
	v_lshl_add_u32 v0, v125, 2, s11
	ds_read2_b64 v[6:9], v0 offset1:1
	ds_read2_b64 v[0:3], v0 offset0:2 offset1:3
	s_waitcnt vmcnt(0) lgkmcnt(2)
	v_cmp_ne_u16_sdwa s13, v19, v13 src0_sel:BYTE_0 src1_sel:DWORD
	s_and_saveexec_b32 s4, s13
	s_cbranch_execz .LBB399_2087
; %bb.2080:                             ;   in Loop: Header=BB399_2079 Depth=1
	v_cmp_ne_u16_sdwa s15, v19, v114 src0_sel:BYTE_0 src1_sel:DWORD
	v_bfrev_b32_e32 v4, 1
	s_and_saveexec_b32 s13, s15
	s_cbranch_execz .LBB399_2086
; %bb.2081:                             ;   in Loop: Header=BB399_2079 Depth=1
	v_and_b32_e32 v5, 0x7f, v19
	v_mov_b32_e32 v4, 0x7f800001
	s_mov_b32 s15, exec_lo
	v_cmpx_ne_u32_e32 0x7f, v5
	s_cbranch_execz .LBB399_2085
; %bb.2082:                             ;   in Loop: Header=BB399_2079 Depth=1
	v_mov_b32_e32 v24, v20
	v_lshrrev_b32_e32 v4, 3, v5
	v_mov_b32_e32 v23, v19
	s_mov_b32 s18, exec_lo
	v_cmpx_gt_u32_e32 8, v5
; %bb.2083:                             ;   in Loop: Header=BB399_2079 Depth=1
	v_and_b32_e32 v4, 7, v19
	v_ffbh_u32_e32 v4, v4
	v_min_u32_e32 v4, 32, v4
	v_subrev_nc_u32_e32 v5, 28, v4
	v_sub_nc_u32_e32 v4, 29, v4
	v_lshlrev_b64 v[23:24], v5, v[19:20]
; %bb.2084:                             ;   in Loop: Header=BB399_2079 Depth=1
	s_or_b32 exec_lo, exec_lo, s18
	v_lshlrev_b32_e32 v5, 20, v23
	v_lshlrev_b32_e32 v10, 24, v19
	v_lshl_add_u32 v4, v4, 23, 0x3c000000
	v_and_b32_e32 v5, 0x700000, v5
	v_and_b32_e32 v10, 0x80000000, v10
	v_or3_b32 v4, v5, v10, v4
.LBB399_2085:                           ;   in Loop: Header=BB399_2079 Depth=1
	s_or_b32 exec_lo, exec_lo, s15
.LBB399_2086:                           ;   in Loop: Header=BB399_2079 Depth=1
	s_or_b32 exec_lo, exec_lo, s13
.LBB399_2087:                           ;   in Loop: Header=BB399_2079 Depth=1
	s_or_b32 exec_lo, exec_lo, s4
	v_cmp_ne_u16_sdwa s13, v19, v13 src0_sel:BYTE_1 src1_sel:DWORD
	v_mov_b32_e32 v10, 0
	v_mov_b32_e32 v5, 0
	s_and_saveexec_b32 s4, s13
	s_cbranch_execz .LBB399_2095
; %bb.2088:                             ;   in Loop: Header=BB399_2079 Depth=1
	v_cmp_ne_u16_sdwa s15, v19, v114 src0_sel:BYTE_1 src1_sel:DWORD
	v_bfrev_b32_e32 v5, 1
	s_and_saveexec_b32 s13, s15
	s_cbranch_execz .LBB399_2094
; %bb.2089:                             ;   in Loop: Header=BB399_2079 Depth=1
	v_and_b32_sdwa v12, v112, v19 dst_sel:DWORD dst_unused:UNUSED_PAD src0_sel:DWORD src1_sel:BYTE_1
	v_mov_b32_e32 v5, 0x7f800001
	s_mov_b32 s15, exec_lo
	v_and_b32_e32 v11, 0x7f, v12
	v_cmpx_ne_u32_e32 0x7f, v11
	s_cbranch_execz .LBB399_2093
; %bb.2090:                             ;   in Loop: Header=BB399_2079 Depth=1
	v_and_b32_e32 v12, 7, v12
	v_mov_b32_e32 v24, v13
	v_lshrrev_b32_e32 v5, 3, v11
	s_mov_b32 s18, exec_lo
	v_mov_b32_e32 v23, v12
	v_cmpx_gt_u32_e32 8, v11
; %bb.2091:                             ;   in Loop: Header=BB399_2079 Depth=1
	v_ffbh_u32_e32 v5, v12
	v_min_u32_e32 v5, 32, v5
	v_subrev_nc_u32_e32 v11, 28, v5
	v_sub_nc_u32_e32 v5, 29, v5
	v_lshlrev_b64 v[11:12], v11, v[12:13]
	v_and_b32_e32 v23, 7, v11
; %bb.2092:                             ;   in Loop: Header=BB399_2079 Depth=1
	s_or_b32 exec_lo, exec_lo, s18
	v_lshlrev_b32_e32 v11, 16, v19
	v_lshlrev_b32_e32 v12, 20, v23
	v_lshl_add_u32 v5, v5, 23, 0x3c000000
	v_and_b32_e32 v11, 0x80000000, v11
	v_or3_b32 v5, v12, v11, v5
.LBB399_2093:                           ;   in Loop: Header=BB399_2079 Depth=1
	s_or_b32 exec_lo, exec_lo, s15
.LBB399_2094:                           ;   in Loop: Header=BB399_2079 Depth=1
	s_or_b32 exec_lo, exec_lo, s13
.LBB399_2095:                           ;   in Loop: Header=BB399_2079 Depth=1
	s_or_b32 exec_lo, exec_lo, s4
	v_and_b32_sdwa v11, v19, v116 dst_sel:DWORD dst_unused:UNUSED_PAD src0_sel:WORD_1 src1_sel:DWORD
	s_mov_b32 s4, exec_lo
	v_cmpx_ne_u16_e32 0, v11
	s_cbranch_execz .LBB399_2103
; %bb.2096:                             ;   in Loop: Header=BB399_2079 Depth=1
	v_bfrev_b32_e32 v10, 1
	s_mov_b32 s13, exec_lo
	v_cmpx_ne_u16_e32 0x80, v11
	s_cbranch_execz .LBB399_2102
; %bb.2097:                             ;   in Loop: Header=BB399_2079 Depth=1
	v_bfe_u32 v11, v19, 16, 7
	v_mov_b32_e32 v10, 0x7f800001
	s_mov_b32 s15, exec_lo
	v_cmpx_ne_u32_e32 0x7f, v11
	s_cbranch_execz .LBB399_2101
; %bb.2098:                             ;   in Loop: Header=BB399_2079 Depth=1
	v_and_b32_sdwa v12, v19, v115 dst_sel:DWORD dst_unused:UNUSED_PAD src0_sel:WORD_1 src1_sel:DWORD
	v_mov_b32_e32 v24, v13
	v_lshrrev_b32_e32 v10, 3, v11
	s_mov_b32 s18, exec_lo
	v_mov_b32_e32 v23, v12
	v_cmpx_gt_u32_e32 8, v11
; %bb.2099:                             ;   in Loop: Header=BB399_2079 Depth=1
	v_ffbh_u32_e32 v10, v12
	v_min_u32_e32 v10, 32, v10
	v_subrev_nc_u32_e32 v11, 28, v10
	v_sub_nc_u32_e32 v10, 29, v10
	v_lshlrev_b64 v[11:12], v11, v[12:13]
	v_and_b32_e32 v23, 7, v11
; %bb.2100:                             ;   in Loop: Header=BB399_2079 Depth=1
	s_or_b32 exec_lo, exec_lo, s18
	v_lshlrev_b32_sdwa v11, v39, v19 dst_sel:DWORD dst_unused:UNUSED_PAD src0_sel:DWORD src1_sel:WORD_1
	v_lshlrev_b32_e32 v12, 20, v23
	v_lshl_add_u32 v10, v10, 23, 0x3c000000
	v_and_b32_e32 v11, 0x80000000, v11
	v_or3_b32 v10, v12, v11, v10
.LBB399_2101:                           ;   in Loop: Header=BB399_2079 Depth=1
	s_or_b32 exec_lo, exec_lo, s15
.LBB399_2102:                           ;   in Loop: Header=BB399_2079 Depth=1
	s_or_b32 exec_lo, exec_lo, s13
.LBB399_2103:                           ;   in Loop: Header=BB399_2079 Depth=1
	s_or_b32 exec_lo, exec_lo, s4
	v_mov_b32_e32 v16, 0
	v_mov_b32_e32 v11, 0
	s_mov_b32 s4, exec_lo
	v_cmpx_lt_u32_e32 0xffffff, v19
	s_cbranch_execz .LBB399_2111
; %bb.2104:                             ;   in Loop: Header=BB399_2079 Depth=1
	v_cmp_ne_u32_sdwa s15, v19, v114 src0_sel:BYTE_3 src1_sel:DWORD
	v_bfrev_b32_e32 v11, 1
	s_and_saveexec_b32 s13, s15
	s_cbranch_execz .LBB399_2110
; %bb.2105:                             ;   in Loop: Header=BB399_2079 Depth=1
	v_bfe_u32 v21, v19, 24, 7
	v_mov_b32_e32 v11, 0x7f800001
	s_mov_b32 s15, exec_lo
	v_cmpx_ne_u32_e32 0x7f, v21
	s_cbranch_execz .LBB399_2109
; %bb.2106:                             ;   in Loop: Header=BB399_2079 Depth=1
	v_and_b32_sdwa v12, v19, v115 dst_sel:DWORD dst_unused:UNUSED_PAD src0_sel:BYTE_3 src1_sel:DWORD
	v_mov_b32_e32 v24, v13
	v_lshrrev_b32_e32 v11, 3, v21
	s_mov_b32 s18, exec_lo
	v_mov_b32_e32 v23, v12
	v_cmpx_gt_u32_e32 8, v21
; %bb.2107:                             ;   in Loop: Header=BB399_2079 Depth=1
	v_ffbh_u32_e32 v11, v12
	v_min_u32_e32 v11, 32, v11
	v_subrev_nc_u32_e32 v21, 28, v11
	v_sub_nc_u32_e32 v11, 29, v11
	v_lshlrev_b64 v[21:22], v21, v[12:13]
	v_and_b32_e32 v23, 7, v21
; %bb.2108:                             ;   in Loop: Header=BB399_2079 Depth=1
	s_or_b32 exec_lo, exec_lo, s18
	v_lshlrev_b32_sdwa v12, v39, v19 dst_sel:DWORD dst_unused:UNUSED_PAD src0_sel:DWORD src1_sel:BYTE_3
	v_lshlrev_b32_e32 v21, 20, v23
	v_lshl_add_u32 v11, v11, 23, 0x3c000000
	v_and_b32_e32 v12, 0x80000000, v12
	v_or3_b32 v11, v21, v12, v11
.LBB399_2109:                           ;   in Loop: Header=BB399_2079 Depth=1
	s_or_b32 exec_lo, exec_lo, s15
.LBB399_2110:                           ;   in Loop: Header=BB399_2079 Depth=1
	s_or_b32 exec_lo, exec_lo, s13
.LBB399_2111:                           ;   in Loop: Header=BB399_2079 Depth=1
	s_or_b32 exec_lo, exec_lo, s4
	v_mov_b32_e32 v12, v20
	v_cmp_ne_u16_sdwa s13, v20, v13 src0_sel:BYTE_0 src1_sel:DWORD
	s_and_saveexec_b32 s4, s13
	s_cbranch_execz .LBB399_2119
; %bb.2112:                             ;   in Loop: Header=BB399_2079 Depth=1
	v_cmp_ne_u16_sdwa s15, v20, v114 src0_sel:BYTE_0 src1_sel:DWORD
	v_bfrev_b32_e32 v16, 1
	s_and_saveexec_b32 s13, s15
	s_cbranch_execz .LBB399_2118
; %bb.2113:                             ;   in Loop: Header=BB399_2079 Depth=1
	v_and_b32_e32 v21, 0x7f, v20
	v_mov_b32_e32 v16, 0x7f800001
	s_mov_b32 s15, exec_lo
	v_cmpx_ne_u32_e32 0x7f, v21
	s_cbranch_execz .LBB399_2117
; %bb.2114:                             ;   in Loop: Header=BB399_2079 Depth=1
	v_mov_b32_e32 v24, v13
	v_lshrrev_b32_e32 v16, 3, v21
	v_mov_b32_e32 v23, v12
	s_mov_b32 s18, exec_lo
	v_cmpx_gt_u32_e32 8, v21
; %bb.2115:                             ;   in Loop: Header=BB399_2079 Depth=1
	v_and_b32_e32 v16, 7, v20
	v_ffbh_u32_e32 v16, v16
	v_min_u32_e32 v16, 32, v16
	v_subrev_nc_u32_e32 v21, 28, v16
	v_sub_nc_u32_e32 v16, 29, v16
	v_lshlrev_b64 v[23:24], v21, v[12:13]
; %bb.2116:                             ;   in Loop: Header=BB399_2079 Depth=1
	s_or_b32 exec_lo, exec_lo, s18
	v_lshlrev_b32_e32 v21, 20, v23
	v_lshlrev_b32_e32 v22, 24, v12
	v_lshl_add_u32 v16, v16, 23, 0x3c000000
	v_and_b32_e32 v21, 0x700000, v21
	v_and_b32_e32 v22, 0x80000000, v22
	v_or3_b32 v16, v21, v22, v16
.LBB399_2117:                           ;   in Loop: Header=BB399_2079 Depth=1
	s_or_b32 exec_lo, exec_lo, s15
.LBB399_2118:                           ;   in Loop: Header=BB399_2079 Depth=1
	s_or_b32 exec_lo, exec_lo, s13
.LBB399_2119:                           ;   in Loop: Header=BB399_2079 Depth=1
	s_or_b32 exec_lo, exec_lo, s4
	v_cmp_ne_u16_sdwa s13, v12, v13 src0_sel:BYTE_1 src1_sel:DWORD
	v_mov_b32_e32 v21, 0
	v_mov_b32_e32 v22, 0
	s_and_saveexec_b32 s4, s13
	s_cbranch_execz .LBB399_2127
; %bb.2120:                             ;   in Loop: Header=BB399_2079 Depth=1
	v_cmp_ne_u16_sdwa s15, v12, v114 src0_sel:BYTE_1 src1_sel:DWORD
	v_bfrev_b32_e32 v22, 1
	s_and_saveexec_b32 s13, s15
	s_cbranch_execz .LBB399_2126
; %bb.2121:                             ;   in Loop: Header=BB399_2079 Depth=1
	v_and_b32_sdwa v23, v112, v12 dst_sel:DWORD dst_unused:UNUSED_PAD src0_sel:DWORD src1_sel:BYTE_1
	v_mov_b32_e32 v22, 0x7f800001
	s_mov_b32 s15, exec_lo
	v_and_b32_e32 v25, 0x7f, v23
	v_cmpx_ne_u32_e32 0x7f, v25
	s_cbranch_execz .LBB399_2125
; %bb.2122:                             ;   in Loop: Header=BB399_2079 Depth=1
	v_and_b32_e32 v23, 7, v23
	v_mov_b32_e32 v24, v13
	v_lshrrev_b32_e32 v22, 3, v25
	s_mov_b32 s18, exec_lo
	v_cmpx_gt_u32_e32 8, v25
; %bb.2123:                             ;   in Loop: Header=BB399_2079 Depth=1
	v_ffbh_u32_e32 v22, v23
	v_min_u32_e32 v22, 32, v22
	v_subrev_nc_u32_e32 v25, 28, v22
	v_sub_nc_u32_e32 v22, 29, v22
	v_lshlrev_b64 v[23:24], v25, v[23:24]
	v_and_b32_e32 v23, 7, v23
; %bb.2124:                             ;   in Loop: Header=BB399_2079 Depth=1
	s_or_b32 exec_lo, exec_lo, s18
	v_lshlrev_b32_e32 v12, 16, v12
	v_lshlrev_b32_e32 v23, 20, v23
	v_lshl_add_u32 v22, v22, 23, 0x3c000000
	v_and_b32_e32 v12, 0x80000000, v12
	v_or3_b32 v22, v23, v12, v22
.LBB399_2125:                           ;   in Loop: Header=BB399_2079 Depth=1
	s_or_b32 exec_lo, exec_lo, s15
.LBB399_2126:                           ;   in Loop: Header=BB399_2079 Depth=1
	s_or_b32 exec_lo, exec_lo, s13
.LBB399_2127:                           ;   in Loop: Header=BB399_2079 Depth=1
	s_or_b32 exec_lo, exec_lo, s4
	v_and_b32_sdwa v12, v20, v116 dst_sel:DWORD dst_unused:UNUSED_PAD src0_sel:WORD_1 src1_sel:DWORD
	s_mov_b32 s4, exec_lo
	v_cmpx_ne_u16_e32 0, v12
	s_cbranch_execz .LBB399_2135
; %bb.2128:                             ;   in Loop: Header=BB399_2079 Depth=1
	v_bfrev_b32_e32 v21, 1
	s_mov_b32 s13, exec_lo
	v_cmpx_ne_u16_e32 0x80, v12
	s_cbranch_execz .LBB399_2134
; %bb.2129:                             ;   in Loop: Header=BB399_2079 Depth=1
	v_bfe_u32 v23, v20, 16, 7
	v_mov_b32_e32 v21, 0x7f800001
	s_mov_b32 s15, exec_lo
	v_cmpx_ne_u32_e32 0x7f, v23
	s_cbranch_execz .LBB399_2133
; %bb.2130:                             ;   in Loop: Header=BB399_2079 Depth=1
	v_and_b32_sdwa v12, v20, v115 dst_sel:DWORD dst_unused:UNUSED_PAD src0_sel:WORD_1 src1_sel:DWORD
	v_lshrrev_b32_e32 v21, 3, v23
	v_cmp_gt_u32_e32 vcc_lo, 8, v23
	v_mov_b32_e32 v24, v13
	v_mov_b32_e32 v23, v12
	s_and_saveexec_b32 s18, vcc_lo
; %bb.2131:                             ;   in Loop: Header=BB399_2079 Depth=1
	v_ffbh_u32_e32 v21, v12
	v_min_u32_e32 v21, 32, v21
	v_subrev_nc_u32_e32 v23, 28, v21
	v_sub_nc_u32_e32 v21, 29, v21
	v_lshlrev_b64 v[23:24], v23, v[12:13]
	v_and_b32_e32 v23, 7, v23
; %bb.2132:                             ;   in Loop: Header=BB399_2079 Depth=1
	s_or_b32 exec_lo, exec_lo, s18
	v_lshlrev_b32_sdwa v12, v39, v20 dst_sel:DWORD dst_unused:UNUSED_PAD src0_sel:DWORD src1_sel:WORD_1
	v_lshlrev_b32_e32 v23, 20, v23
	v_lshl_add_u32 v21, v21, 23, 0x3c000000
	v_and_b32_e32 v12, 0x80000000, v12
	v_or3_b32 v21, v23, v12, v21
.LBB399_2133:                           ;   in Loop: Header=BB399_2079 Depth=1
	s_or_b32 exec_lo, exec_lo, s15
.LBB399_2134:                           ;   in Loop: Header=BB399_2079 Depth=1
	s_or_b32 exec_lo, exec_lo, s13
.LBB399_2135:                           ;   in Loop: Header=BB399_2079 Depth=1
	s_or_b32 exec_lo, exec_lo, s4
	v_mov_b32_e32 v12, 0
	s_mov_b32 s4, exec_lo
	v_cmpx_lt_u64_e64 s[8:9], v[19:20]
	s_cbranch_execz .LBB399_2143
; %bb.2136:                             ;   in Loop: Header=BB399_2079 Depth=1
	v_cmp_ne_u32_sdwa s15, v20, v114 src0_sel:BYTE_3 src1_sel:DWORD
	v_bfrev_b32_e32 v12, 1
	s_and_saveexec_b32 s13, s15
	s_cbranch_execz .LBB399_2142
; %bb.2137:                             ;   in Loop: Header=BB399_2079 Depth=1
	v_bfe_u32 v23, v20, 24, 7
	v_mov_b32_e32 v12, 0x7f800001
	s_mov_b32 s15, exec_lo
	v_cmpx_ne_u32_e32 0x7f, v23
	s_cbranch_execz .LBB399_2141
; %bb.2138:                             ;   in Loop: Header=BB399_2079 Depth=1
	v_and_b32_sdwa v12, v20, v115 dst_sel:DWORD dst_unused:UNUSED_PAD src0_sel:BYTE_3 src1_sel:DWORD
	v_lshrrev_b32_e32 v19, 3, v23
	v_cmp_gt_u32_e32 vcc_lo, 8, v23
	v_mov_b32_e32 v24, v13
	v_mov_b32_e32 v23, v12
	s_and_saveexec_b32 s18, vcc_lo
; %bb.2139:                             ;   in Loop: Header=BB399_2079 Depth=1
	v_ffbh_u32_e32 v19, v12
	v_min_u32_e32 v19, 32, v19
	v_subrev_nc_u32_e32 v23, 28, v19
	v_sub_nc_u32_e32 v19, 29, v19
	v_lshlrev_b64 v[23:24], v23, v[12:13]
	v_and_b32_e32 v23, 7, v23
; %bb.2140:                             ;   in Loop: Header=BB399_2079 Depth=1
	s_or_b32 exec_lo, exec_lo, s18
	v_lshlrev_b32_sdwa v12, v39, v20 dst_sel:DWORD dst_unused:UNUSED_PAD src0_sel:DWORD src1_sel:BYTE_3
	v_lshlrev_b32_e32 v20, 20, v23
	v_lshl_add_u32 v19, v19, 23, 0x3c000000
	v_and_b32_e32 v12, 0x80000000, v12
	v_or3_b32 v12, v20, v12, v19
.LBB399_2141:                           ;   in Loop: Header=BB399_2079 Depth=1
	s_or_b32 exec_lo, exec_lo, s15
.LBB399_2142:                           ;   in Loop: Header=BB399_2079 Depth=1
	s_or_b32 exec_lo, exec_lo, s13
.LBB399_2143:                           ;   in Loop: Header=BB399_2079 Depth=1
	s_or_b32 exec_lo, exec_lo, s4
	v_mov_b32_e32 v20, v28
	v_mul_f32_e32 v19, v27, v22
	v_mul_f32_e32 v16, v27, v16
	;; [unrolled: 1-line block ×4, first 2 shown]
	buffer_store_dword v20, off, s[0:3], s32 offset:840 ; 4-byte Folded Spill
	buffer_store_dword v21, off, s[0:3], s32 offset:844 ; 4-byte Folded Spill
	buffer_load_dword v20, off, s[0:3], s32 offset:996 ; 4-byte Folded Reload
	v_or_b32_e32 v22, 0x400000, v19
	v_bfe_u32 v23, v16, 16, 1
	v_cmp_u_f32_e64 s4, v19, v19
	v_or_b32_e32 v24, 0x400000, v16
	v_bfe_u32 v25, v11, 16, 1
	v_or_b32_e32 v26, 0x400000, v11
	v_add3_u32 v23, v23, v16, 0x7fff
	v_mul_f32_e32 v5, v27, v5
	v_mul_f32_e32 v4, v27, v4
	;; [unrolled: 1-line block ×3, first 2 shown]
	v_or_b32_e32 v113, 1, v125
	v_or_b32_e32 v38, 2, v125
	;; [unrolled: 1-line block ×5, first 2 shown]
	s_waitcnt vmcnt(0)
	v_cmp_eq_u32_e32 vcc_lo, v28, v20
	v_bfe_u32 v20, v19, 16, 1
	v_add3_u32 v20, v20, v19, 0x7fff
	v_cndmask_b32_e64 v19, v20, v22, s4
	v_cmp_u_f32_e64 s4, v16, v16
	v_add3_u32 v22, v25, v11, 0x7fff
	v_bfe_u32 v20, v10, 16, 1
	v_lshrrev_b32_e32 v19, 16, v19
	v_cndmask_b32_e64 v16, v23, v24, s4
	v_cmp_u_f32_e64 s4, v11, v11
	v_or_b32_e32 v23, 0x400000, v12
	buffer_store_dword v19, off, s[0:3], s32 offset:204 ; 4-byte Folded Spill
	v_add3_u32 v19, v20, v10, 0x7fff
	v_cndmask_b32_e64 v11, v22, v26, s4
	v_or_b32_e32 v20, 0x400000, v10
	v_lshrrev_b32_e32 v16, 16, v16
	v_cmp_u_f32_e64 s4, v10, v10
	v_lshrrev_b32_e32 v11, 16, v11
	buffer_store_dword v16, off, s[0:3], s32 offset:196 ; 4-byte Folded Spill
	v_cndmask_b32_e64 v10, v19, v20, s4
	v_mul_f32_e32 v16, v27, v21
	buffer_store_dword v11, off, s[0:3], s32 offset:208 ; 4-byte Folded Spill
	v_bfe_u32 v11, v5, 16, 1
	v_or_b32_e32 v19, 0x400000, v5
	v_bfe_u32 v20, v4, 16, 1
	v_cmp_u_f32_e64 s4, v5, v5
	v_bfe_u32 v21, v16, 16, 1
	v_add3_u32 v11, v11, v5, 0x7fff
	v_or_b32_e32 v22, 0x400000, v16
	v_lshrrev_b32_e32 v10, 16, v10
	v_add3_u32 v21, v21, v16, 0x7fff
	v_cndmask_b32_e64 v5, v11, v19, s4
	v_add3_u32 v19, v20, v4, 0x7fff
	v_or_b32_e32 v20, 0x400000, v4
	v_cmp_u_f32_e64 s4, v4, v4
	v_bfe_u32 v11, v12, 16, 1
	v_lshrrev_b32_e32 v5, 16, v5
	buffer_store_dword v10, off, s[0:3], s32 offset:212 ; 4-byte Folded Spill
	v_cndmask_b32_e64 v4, v19, v20, s4
	v_cmp_u_f32_e64 s4, v16, v16
	v_add3_u32 v11, v11, v12, 0x7fff
	buffer_store_dword v5, off, s[0:3], s32 offset:220 ; 4-byte Folded Spill
	v_or_b32_e32 v5, 4, v125
	v_lshrrev_b32_e32 v4, 16, v4
	v_cndmask_b32_e64 v16, v21, v22, s4
	v_cmp_u_f32_e64 s4, v12, v12
	buffer_store_dword v4, off, s[0:3], s32 offset:216 ; 4-byte Folded Spill
	v_lshrrev_b32_e32 v4, 16, v16
	v_cndmask_b32_e64 v11, v11, v23, s4
	buffer_store_dword v4, off, s[0:3], s32 offset:192 ; 4-byte Folded Spill
	v_lshrrev_b32_e32 v4, 16, v11
	buffer_store_dword v4, off, s[0:3], s32 offset:200 ; 4-byte Folded Spill
	v_or_b32_e32 v4, 3, v125
	s_and_saveexec_b32 s13, vcc_lo
	s_cbranch_execz .LBB399_2145
; %bb.2144:                             ;   in Loop: Header=BB399_2079 Depth=1
	buffer_load_dword v10, off, s[0:3], s32 offset:216 ; 4-byte Folded Reload
	v_cmp_lt_i32_e64 s4, v125, v124
	s_waitcnt vmcnt(0)
	v_cndmask_b32_e64 v10, 0, v10, s4
	v_cmp_lt_i32_e64 s4, v113, v124
	buffer_store_dword v10, off, s[0:3], s32 offset:216 ; 4-byte Folded Spill
	buffer_load_dword v10, off, s[0:3], s32 offset:220 ; 4-byte Folded Reload
	s_waitcnt vmcnt(0)
	v_cndmask_b32_e64 v10, 0, v10, s4
	v_cmp_lt_i32_e64 s4, v38, v124
	buffer_store_dword v10, off, s[0:3], s32 offset:220 ; 4-byte Folded Spill
	buffer_load_dword v10, off, s[0:3], s32 offset:212 ; 4-byte Folded Reload
	s_waitcnt vmcnt(0)
	v_cndmask_b32_e64 v10, 0, v10, s4
	v_cmp_lt_i32_e64 s4, v4, v124
	buffer_store_dword v10, off, s[0:3], s32 offset:212 ; 4-byte Folded Spill
	buffer_load_dword v10, off, s[0:3], s32 offset:208 ; 4-byte Folded Reload
	s_waitcnt vmcnt(0)
	v_cndmask_b32_e64 v10, 0, v10, s4
	v_cmp_lt_i32_e64 s4, v5, v124
	buffer_store_dword v10, off, s[0:3], s32 offset:208 ; 4-byte Folded Spill
	buffer_load_dword v10, off, s[0:3], s32 offset:196 ; 4-byte Folded Reload
	s_waitcnt vmcnt(0)
	v_cndmask_b32_e64 v10, 0, v10, s4
	v_cmp_lt_i32_e64 s4, v37, v124
	buffer_store_dword v10, off, s[0:3], s32 offset:196 ; 4-byte Folded Spill
	buffer_load_dword v10, off, s[0:3], s32 offset:204 ; 4-byte Folded Reload
	s_waitcnt vmcnt(0)
	v_cndmask_b32_e64 v10, 0, v10, s4
	v_cmp_lt_i32_e64 s4, v127, v124
	buffer_store_dword v10, off, s[0:3], s32 offset:204 ; 4-byte Folded Spill
	buffer_load_dword v10, off, s[0:3], s32 offset:192 ; 4-byte Folded Reload
	s_waitcnt vmcnt(0)
	v_cndmask_b32_e64 v10, 0, v10, s4
	v_cmp_lt_i32_e64 s4, v42, v124
	buffer_store_dword v10, off, s[0:3], s32 offset:192 ; 4-byte Folded Spill
	buffer_load_dword v10, off, s[0:3], s32 offset:200 ; 4-byte Folded Reload
	s_waitcnt vmcnt(0)
	v_cndmask_b32_e64 v10, 0, v10, s4
	buffer_store_dword v10, off, s[0:3], s32 offset:200 ; 4-byte Folded Spill
.LBB399_2145:                           ;   in Loop: Header=BB399_2079 Depth=1
	s_or_b32 exec_lo, exec_lo, s13
	flat_load_dwordx2 v[19:20], v[17:18] offset:256
	v_mov_b32_e32 v11, 0
	v_mov_b32_e32 v10, 0
	s_waitcnt vmcnt(0) lgkmcnt(0)
	v_cmp_ne_u16_sdwa s4, v19, v13 src0_sel:BYTE_0 src1_sel:DWORD
	s_and_saveexec_b32 s13, s4
	s_cbranch_execz .LBB399_2153
; %bb.2146:                             ;   in Loop: Header=BB399_2079 Depth=1
	v_cmp_ne_u16_sdwa s4, v19, v114 src0_sel:BYTE_0 src1_sel:DWORD
	v_bfrev_b32_e32 v10, 1
	s_and_saveexec_b32 s15, s4
	s_cbranch_execz .LBB399_2152
; %bb.2147:                             ;   in Loop: Header=BB399_2079 Depth=1
	v_and_b32_e32 v12, 0x7f, v19
	v_mov_b32_e32 v10, 0x7f800001
	s_mov_b32 s18, exec_lo
	v_cmpx_ne_u32_e32 0x7f, v12
	s_cbranch_execz .LBB399_2151
; %bb.2148:                             ;   in Loop: Header=BB399_2079 Depth=1
	v_mov_b32_e32 v24, v20
	v_lshrrev_b32_e32 v10, 3, v12
	v_mov_b32_e32 v23, v19
	s_mov_b32 s20, exec_lo
	v_cmpx_gt_u32_e32 8, v12
; %bb.2149:                             ;   in Loop: Header=BB399_2079 Depth=1
	v_and_b32_e32 v10, 7, v19
	v_ffbh_u32_e32 v10, v10
	v_min_u32_e32 v10, 32, v10
	v_subrev_nc_u32_e32 v12, 28, v10
	v_sub_nc_u32_e32 v10, 29, v10
	v_lshlrev_b64 v[23:24], v12, v[19:20]
; %bb.2150:                             ;   in Loop: Header=BB399_2079 Depth=1
	s_or_b32 exec_lo, exec_lo, s20
	v_lshlrev_b32_e32 v12, 20, v23
	v_lshlrev_b32_e32 v16, 24, v19
	v_lshl_add_u32 v10, v10, 23, 0x3c000000
	v_and_b32_e32 v12, 0x700000, v12
	v_and_b32_e32 v16, 0x80000000, v16
	v_or3_b32 v10, v12, v16, v10
.LBB399_2151:                           ;   in Loop: Header=BB399_2079 Depth=1
	s_or_b32 exec_lo, exec_lo, s18
.LBB399_2152:                           ;   in Loop: Header=BB399_2079 Depth=1
	s_or_b32 exec_lo, exec_lo, s15
.LBB399_2153:                           ;   in Loop: Header=BB399_2079 Depth=1
	s_or_b32 exec_lo, exec_lo, s13
	v_cmp_ne_u16_sdwa s4, v19, v13 src0_sel:BYTE_1 src1_sel:DWORD
	s_and_saveexec_b32 s13, s4
	s_cbranch_execz .LBB399_2161
; %bb.2154:                             ;   in Loop: Header=BB399_2079 Depth=1
	v_cmp_ne_u16_sdwa s4, v19, v114 src0_sel:BYTE_1 src1_sel:DWORD
	v_bfrev_b32_e32 v11, 1
	s_and_saveexec_b32 s15, s4
	s_cbranch_execz .LBB399_2160
; %bb.2155:                             ;   in Loop: Header=BB399_2079 Depth=1
	v_and_b32_sdwa v12, v112, v19 dst_sel:DWORD dst_unused:UNUSED_PAD src0_sel:DWORD src1_sel:BYTE_1
	v_mov_b32_e32 v11, 0x7f800001
	s_mov_b32 s18, exec_lo
	v_and_b32_e32 v16, 0x7f, v12
	v_cmpx_ne_u32_e32 0x7f, v16
	s_cbranch_execz .LBB399_2159
; %bb.2156:                             ;   in Loop: Header=BB399_2079 Depth=1
	v_and_b32_e32 v12, 7, v12
	v_mov_b32_e32 v24, v13
	v_lshrrev_b32_e32 v11, 3, v16
	s_mov_b32 s20, exec_lo
	v_mov_b32_e32 v23, v12
	v_cmpx_gt_u32_e32 8, v16
; %bb.2157:                             ;   in Loop: Header=BB399_2079 Depth=1
	v_ffbh_u32_e32 v11, v12
	v_min_u32_e32 v11, 32, v11
	v_subrev_nc_u32_e32 v16, 28, v11
	v_sub_nc_u32_e32 v11, 29, v11
	v_lshlrev_b64 v[21:22], v16, v[12:13]
	v_and_b32_e32 v23, 7, v21
; %bb.2158:                             ;   in Loop: Header=BB399_2079 Depth=1
	s_or_b32 exec_lo, exec_lo, s20
	v_lshlrev_b32_e32 v12, 16, v19
	v_lshlrev_b32_e32 v16, 20, v23
	v_lshl_add_u32 v11, v11, 23, 0x3c000000
	v_and_b32_e32 v12, 0x80000000, v12
	v_or3_b32 v11, v16, v12, v11
.LBB399_2159:                           ;   in Loop: Header=BB399_2079 Depth=1
	s_or_b32 exec_lo, exec_lo, s18
.LBB399_2160:                           ;   in Loop: Header=BB399_2079 Depth=1
	s_or_b32 exec_lo, exec_lo, s15
.LBB399_2161:                           ;   in Loop: Header=BB399_2079 Depth=1
	s_or_b32 exec_lo, exec_lo, s13
	v_and_b32_sdwa v12, v19, v116 dst_sel:DWORD dst_unused:UNUSED_PAD src0_sel:WORD_1 src1_sel:DWORD
	v_mov_b32_e32 v21, 0
	v_mov_b32_e32 v16, 0
	s_mov_b32 s13, exec_lo
	v_cmpx_ne_u16_e32 0, v12
	s_cbranch_execz .LBB399_2169
; %bb.2162:                             ;   in Loop: Header=BB399_2079 Depth=1
	v_bfrev_b32_e32 v16, 1
	s_mov_b32 s15, exec_lo
	v_cmpx_ne_u16_e32 0x80, v12
	s_cbranch_execz .LBB399_2168
; %bb.2163:                             ;   in Loop: Header=BB399_2079 Depth=1
	v_bfe_u32 v22, v19, 16, 7
	v_mov_b32_e32 v16, 0x7f800001
	s_mov_b32 s18, exec_lo
	v_cmpx_ne_u32_e32 0x7f, v22
	s_cbranch_execz .LBB399_2167
; %bb.2164:                             ;   in Loop: Header=BB399_2079 Depth=1
	v_and_b32_sdwa v12, v19, v115 dst_sel:DWORD dst_unused:UNUSED_PAD src0_sel:WORD_1 src1_sel:DWORD
	v_mov_b32_e32 v24, v13
	v_lshrrev_b32_e32 v16, 3, v22
	s_mov_b32 s20, exec_lo
	v_mov_b32_e32 v23, v12
	v_cmpx_gt_u32_e32 8, v22
; %bb.2165:                             ;   in Loop: Header=BB399_2079 Depth=1
	v_ffbh_u32_e32 v16, v12
	v_min_u32_e32 v16, 32, v16
	v_subrev_nc_u32_e32 v22, 28, v16
	v_sub_nc_u32_e32 v16, 29, v16
	v_lshlrev_b64 v[22:23], v22, v[12:13]
	v_and_b32_e32 v23, 7, v22
; %bb.2166:                             ;   in Loop: Header=BB399_2079 Depth=1
	s_or_b32 exec_lo, exec_lo, s20
	v_lshlrev_b32_sdwa v12, v39, v19 dst_sel:DWORD dst_unused:UNUSED_PAD src0_sel:DWORD src1_sel:WORD_1
	v_lshlrev_b32_e32 v22, 20, v23
	v_lshl_add_u32 v16, v16, 23, 0x3c000000
	v_and_b32_e32 v12, 0x80000000, v12
	v_or3_b32 v16, v22, v12, v16
.LBB399_2167:                           ;   in Loop: Header=BB399_2079 Depth=1
	s_or_b32 exec_lo, exec_lo, s18
.LBB399_2168:                           ;   in Loop: Header=BB399_2079 Depth=1
	s_or_b32 exec_lo, exec_lo, s15
.LBB399_2169:                           ;   in Loop: Header=BB399_2079 Depth=1
	s_or_b32 exec_lo, exec_lo, s13
	s_mov_b32 s13, exec_lo
	v_cmpx_lt_u32_e32 0xffffff, v19
	s_cbranch_execz .LBB399_2177
; %bb.2170:                             ;   in Loop: Header=BB399_2079 Depth=1
	v_cmp_ne_u32_sdwa s4, v19, v114 src0_sel:BYTE_3 src1_sel:DWORD
	v_bfrev_b32_e32 v21, 1
	s_and_saveexec_b32 s15, s4
	s_cbranch_execz .LBB399_2176
; %bb.2171:                             ;   in Loop: Header=BB399_2079 Depth=1
	v_bfe_u32 v22, v19, 24, 7
	v_mov_b32_e32 v21, 0x7f800001
	s_mov_b32 s18, exec_lo
	v_cmpx_ne_u32_e32 0x7f, v22
	s_cbranch_execz .LBB399_2175
; %bb.2172:                             ;   in Loop: Header=BB399_2079 Depth=1
	v_and_b32_sdwa v12, v19, v115 dst_sel:DWORD dst_unused:UNUSED_PAD src0_sel:BYTE_3 src1_sel:DWORD
	v_mov_b32_e32 v24, v13
	v_lshrrev_b32_e32 v21, 3, v22
	s_mov_b32 s20, exec_lo
	v_mov_b32_e32 v23, v12
	v_cmpx_gt_u32_e32 8, v22
; %bb.2173:                             ;   in Loop: Header=BB399_2079 Depth=1
	v_ffbh_u32_e32 v21, v12
	v_min_u32_e32 v21, 32, v21
	v_subrev_nc_u32_e32 v22, 28, v21
	v_sub_nc_u32_e32 v21, 29, v21
	v_lshlrev_b64 v[22:23], v22, v[12:13]
	v_and_b32_e32 v23, 7, v22
; %bb.2174:                             ;   in Loop: Header=BB399_2079 Depth=1
	s_or_b32 exec_lo, exec_lo, s20
	v_lshlrev_b32_sdwa v12, v39, v19 dst_sel:DWORD dst_unused:UNUSED_PAD src0_sel:DWORD src1_sel:BYTE_3
	v_lshlrev_b32_e32 v22, 20, v23
	v_lshl_add_u32 v21, v21, 23, 0x3c000000
	v_and_b32_e32 v12, 0x80000000, v12
	v_or3_b32 v21, v22, v12, v21
.LBB399_2175:                           ;   in Loop: Header=BB399_2079 Depth=1
	s_or_b32 exec_lo, exec_lo, s18
.LBB399_2176:                           ;   in Loop: Header=BB399_2079 Depth=1
	s_or_b32 exec_lo, exec_lo, s15
.LBB399_2177:                           ;   in Loop: Header=BB399_2079 Depth=1
	s_or_b32 exec_lo, exec_lo, s13
	v_mov_b32_e32 v12, v20
	v_cmp_ne_u16_sdwa s4, v20, v13 src0_sel:BYTE_0 src1_sel:DWORD
	v_mov_b32_e32 v25, 0
	v_mov_b32_e32 v22, 0
	s_and_saveexec_b32 s13, s4
	s_cbranch_execz .LBB399_2185
; %bb.2178:                             ;   in Loop: Header=BB399_2079 Depth=1
	v_cmp_ne_u16_sdwa s4, v20, v114 src0_sel:BYTE_0 src1_sel:DWORD
	v_bfrev_b32_e32 v22, 1
	s_and_saveexec_b32 s15, s4
	s_cbranch_execz .LBB399_2184
; %bb.2179:                             ;   in Loop: Header=BB399_2079 Depth=1
	v_and_b32_e32 v23, 0x7f, v20
	v_mov_b32_e32 v22, 0x7f800001
	s_mov_b32 s18, exec_lo
	v_cmpx_ne_u32_e32 0x7f, v23
	s_cbranch_execz .LBB399_2183
; %bb.2180:                             ;   in Loop: Header=BB399_2079 Depth=1
	v_lshrrev_b32_e32 v22, 3, v23
	v_cmp_gt_u32_e64 s4, 8, v23
	v_mov_b32_e32 v24, v13
	v_mov_b32_e32 v23, v12
	s_and_saveexec_b32 s20, s4
; %bb.2181:                             ;   in Loop: Header=BB399_2079 Depth=1
	v_and_b32_e32 v22, 7, v20
	v_ffbh_u32_e32 v22, v22
	v_min_u32_e32 v22, 32, v22
	v_subrev_nc_u32_e32 v23, 28, v22
	v_sub_nc_u32_e32 v22, 29, v22
	v_lshlrev_b64 v[23:24], v23, v[12:13]
; %bb.2182:                             ;   in Loop: Header=BB399_2079 Depth=1
	s_or_b32 exec_lo, exec_lo, s20
	v_lshlrev_b32_e32 v23, 20, v23
	v_lshlrev_b32_e32 v24, 24, v12
	v_lshl_add_u32 v22, v22, 23, 0x3c000000
	v_and_b32_e32 v23, 0x700000, v23
	v_and_b32_e32 v24, 0x80000000, v24
	v_or3_b32 v22, v23, v24, v22
.LBB399_2183:                           ;   in Loop: Header=BB399_2079 Depth=1
	s_or_b32 exec_lo, exec_lo, s18
.LBB399_2184:                           ;   in Loop: Header=BB399_2079 Depth=1
	s_or_b32 exec_lo, exec_lo, s15
.LBB399_2185:                           ;   in Loop: Header=BB399_2079 Depth=1
	s_or_b32 exec_lo, exec_lo, s13
	v_cmp_ne_u16_sdwa s4, v12, v13 src0_sel:BYTE_1 src1_sel:DWORD
	s_and_saveexec_b32 s13, s4
	s_cbranch_execz .LBB399_2193
; %bb.2186:                             ;   in Loop: Header=BB399_2079 Depth=1
	v_cmp_ne_u16_sdwa s4, v12, v114 src0_sel:BYTE_1 src1_sel:DWORD
	v_bfrev_b32_e32 v25, 1
	s_and_saveexec_b32 s15, s4
	s_cbranch_execz .LBB399_2192
; %bb.2187:                             ;   in Loop: Header=BB399_2079 Depth=1
	v_and_b32_sdwa v23, v112, v12 dst_sel:DWORD dst_unused:UNUSED_PAD src0_sel:DWORD src1_sel:BYTE_1
	v_mov_b32_e32 v25, 0x7f800001
	s_mov_b32 s18, exec_lo
	v_and_b32_e32 v26, 0x7f, v23
	v_cmpx_ne_u32_e32 0x7f, v26
	s_cbranch_execz .LBB399_2191
; %bb.2188:                             ;   in Loop: Header=BB399_2079 Depth=1
	v_and_b32_e32 v23, 7, v23
	v_mov_b32_e32 v24, v13
	v_lshrrev_b32_e32 v25, 3, v26
	s_mov_b32 s20, exec_lo
	v_cmpx_gt_u32_e32 8, v26
; %bb.2189:                             ;   in Loop: Header=BB399_2079 Depth=1
	v_ffbh_u32_e32 v25, v23
	v_min_u32_e32 v25, 32, v25
	v_subrev_nc_u32_e32 v26, 28, v25
	v_sub_nc_u32_e32 v25, 29, v25
	v_lshlrev_b64 v[23:24], v26, v[23:24]
	v_and_b32_e32 v23, 7, v23
; %bb.2190:                             ;   in Loop: Header=BB399_2079 Depth=1
	s_or_b32 exec_lo, exec_lo, s20
	v_lshlrev_b32_e32 v12, 16, v12
	v_lshlrev_b32_e32 v23, 20, v23
	v_lshl_add_u32 v24, v25, 23, 0x3c000000
	v_and_b32_e32 v12, 0x80000000, v12
	v_or3_b32 v25, v23, v12, v24
.LBB399_2191:                           ;   in Loop: Header=BB399_2079 Depth=1
	s_or_b32 exec_lo, exec_lo, s18
.LBB399_2192:                           ;   in Loop: Header=BB399_2079 Depth=1
	s_or_b32 exec_lo, exec_lo, s15
.LBB399_2193:                           ;   in Loop: Header=BB399_2079 Depth=1
	s_or_b32 exec_lo, exec_lo, s13
	v_and_b32_sdwa v12, v20, v116 dst_sel:DWORD dst_unused:UNUSED_PAD src0_sel:WORD_1 src1_sel:DWORD
	v_mov_b32_e32 v26, 0
	v_mov_b32_e32 v28, 0
	s_mov_b32 s13, exec_lo
	v_cmpx_ne_u16_e32 0, v12
	s_cbranch_execz .LBB399_2201
; %bb.2194:                             ;   in Loop: Header=BB399_2079 Depth=1
	v_bfrev_b32_e32 v28, 1
	s_mov_b32 s15, exec_lo
	v_cmpx_ne_u16_e32 0x80, v12
	s_cbranch_execz .LBB399_2200
; %bb.2195:                             ;   in Loop: Header=BB399_2079 Depth=1
	v_bfe_u32 v23, v20, 16, 7
	v_mov_b32_e32 v28, 0x7f800001
	s_mov_b32 s18, exec_lo
	v_cmpx_ne_u32_e32 0x7f, v23
	s_cbranch_execz .LBB399_2199
; %bb.2196:                             ;   in Loop: Header=BB399_2079 Depth=1
	v_and_b32_sdwa v12, v20, v115 dst_sel:DWORD dst_unused:UNUSED_PAD src0_sel:WORD_1 src1_sel:DWORD
	v_lshrrev_b32_e32 v28, 3, v23
	v_cmp_gt_u32_e64 s4, 8, v23
	v_mov_b32_e32 v24, v13
	v_mov_b32_e32 v23, v12
	s_and_saveexec_b32 s20, s4
; %bb.2197:                             ;   in Loop: Header=BB399_2079 Depth=1
	v_ffbh_u32_e32 v23, v12
	v_min_u32_e32 v28, 32, v23
	v_subrev_nc_u32_e32 v23, 28, v28
	v_sub_nc_u32_e32 v28, 29, v28
	v_lshlrev_b64 v[23:24], v23, v[12:13]
	v_and_b32_e32 v23, 7, v23
; %bb.2198:                             ;   in Loop: Header=BB399_2079 Depth=1
	s_or_b32 exec_lo, exec_lo, s20
	v_lshlrev_b32_sdwa v12, v39, v20 dst_sel:DWORD dst_unused:UNUSED_PAD src0_sel:DWORD src1_sel:WORD_1
	v_lshlrev_b32_e32 v23, 20, v23
	v_lshl_add_u32 v24, v28, 23, 0x3c000000
	v_and_b32_e32 v12, 0x80000000, v12
	v_or3_b32 v28, v23, v12, v24
.LBB399_2199:                           ;   in Loop: Header=BB399_2079 Depth=1
	s_or_b32 exec_lo, exec_lo, s18
.LBB399_2200:                           ;   in Loop: Header=BB399_2079 Depth=1
	s_or_b32 exec_lo, exec_lo, s15
.LBB399_2201:                           ;   in Loop: Header=BB399_2079 Depth=1
	s_or_b32 exec_lo, exec_lo, s13
	s_mov_b32 s13, exec_lo
	v_cmpx_lt_u64_e64 s[8:9], v[19:20]
	s_cbranch_execz .LBB399_2209
; %bb.2202:                             ;   in Loop: Header=BB399_2079 Depth=1
	v_cmp_ne_u32_sdwa s4, v20, v114 src0_sel:BYTE_3 src1_sel:DWORD
	v_bfrev_b32_e32 v26, 1
	s_and_saveexec_b32 s15, s4
	s_cbranch_execz .LBB399_2208
; %bb.2203:                             ;   in Loop: Header=BB399_2079 Depth=1
	v_bfe_u32 v23, v20, 24, 7
	v_mov_b32_e32 v26, 0x7f800001
	s_mov_b32 s18, exec_lo
	v_cmpx_ne_u32_e32 0x7f, v23
	s_cbranch_execz .LBB399_2207
; %bb.2204:                             ;   in Loop: Header=BB399_2079 Depth=1
	v_and_b32_sdwa v12, v20, v115 dst_sel:DWORD dst_unused:UNUSED_PAD src0_sel:BYTE_3 src1_sel:DWORD
	v_lshrrev_b32_e32 v19, 3, v23
	v_cmp_gt_u32_e64 s4, 8, v23
	v_mov_b32_e32 v24, v13
	v_mov_b32_e32 v23, v12
	s_and_saveexec_b32 s20, s4
; %bb.2205:                             ;   in Loop: Header=BB399_2079 Depth=1
	v_ffbh_u32_e32 v19, v12
	v_min_u32_e32 v19, 32, v19
	v_subrev_nc_u32_e32 v23, 28, v19
	v_sub_nc_u32_e32 v19, 29, v19
	v_lshlrev_b64 v[23:24], v23, v[12:13]
	v_and_b32_e32 v23, 7, v23
; %bb.2206:                             ;   in Loop: Header=BB399_2079 Depth=1
	s_or_b32 exec_lo, exec_lo, s20
	v_lshlrev_b32_sdwa v12, v39, v20 dst_sel:DWORD dst_unused:UNUSED_PAD src0_sel:DWORD src1_sel:BYTE_3
	v_lshlrev_b32_e32 v20, 20, v23
	v_lshl_add_u32 v19, v19, 23, 0x3c000000
	v_and_b32_e32 v12, 0x80000000, v12
	v_or3_b32 v26, v20, v12, v19
.LBB399_2207:                           ;   in Loop: Header=BB399_2079 Depth=1
	s_or_b32 exec_lo, exec_lo, s18
.LBB399_2208:                           ;   in Loop: Header=BB399_2079 Depth=1
	s_or_b32 exec_lo, exec_lo, s15
.LBB399_2209:                           ;   in Loop: Header=BB399_2079 Depth=1
	s_or_b32 exec_lo, exec_lo, s13
	v_mul_f32_e32 v12, v27, v25
	v_mul_f32_e32 v19, v27, v22
	;; [unrolled: 1-line block ×5, first 2 shown]
	v_bfe_u32 v21, v12, 16, 1
	v_or_b32_e32 v22, 0x400000, v12
	v_bfe_u32 v23, v19, 16, 1
	v_cmp_u_f32_e64 s4, v12, v12
	v_or_b32_e32 v24, 0x400000, v19
	v_add3_u32 v21, v21, v12, 0x7fff
	v_bfe_u32 v25, v20, 16, 1
	v_add3_u32 v23, v23, v19, 0x7fff
	v_or_b32_e32 v29, 0x400000, v20
	v_bfe_u32 v30, v16, 16, 1
	v_cndmask_b32_e64 v12, v21, v22, s4
	v_cmp_u_f32_e64 s4, v19, v19
	v_add3_u32 v25, v25, v20, 0x7fff
	v_or_b32_e32 v21, 0x400000, v16
	v_mul_f32_e32 v10, v27, v10
	v_lshrrev_b32_e32 v12, 16, v12
	v_cndmask_b32_e64 v19, v23, v24, s4
	v_cmp_u_f32_e64 s4, v20, v20
	v_bfe_u32 v22, v10, 16, 1
	buffer_store_dword v12, off, s[0:3], s32 offset:236 ; 4-byte Folded Spill
	v_lshrrev_b32_e32 v19, 16, v19
	v_cndmask_b32_e64 v20, v25, v29, s4
	v_add3_u32 v12, v30, v16, 0x7fff
	v_cmp_u_f32_e64 s4, v16, v16
	v_mul_f32_e32 v16, v27, v28
	buffer_store_dword v19, off, s[0:3], s32 offset:228 ; 4-byte Folded Spill
	v_lshrrev_b32_e32 v19, 16, v20
	v_or_b32_e32 v20, 0x400000, v11
	v_cndmask_b32_e64 v12, v12, v21, s4
	v_cmp_u_f32_e64 s4, v11, v11
	v_mul_f32_e32 v21, v27, v26
	buffer_store_dword v19, off, s[0:3], s32 offset:240 ; 4-byte Folded Spill
	v_bfe_u32 v19, v11, 16, 1
	v_bfe_u32 v23, v16, 16, 1
	v_or_b32_e32 v24, 0x400000, v16
	v_or_b32_e32 v25, 0x400000, v21
	v_lshrrev_b32_e32 v12, 16, v12
	v_add3_u32 v19, v19, v11, 0x7fff
	v_add3_u32 v23, v23, v16, 0x7fff
	buffer_store_dword v12, off, s[0:3], s32 offset:244 ; 4-byte Folded Spill
	v_cndmask_b32_e64 v11, v19, v20, s4
	v_add3_u32 v20, v22, v10, 0x7fff
	v_or_b32_e32 v22, 0x400000, v10
	v_cmp_u_f32_e64 s4, v10, v10
	v_bfe_u32 v19, v21, 16, 1
	v_lshrrev_b32_e32 v11, 16, v11
	v_cndmask_b32_e64 v10, v20, v22, s4
	v_cmp_u_f32_e64 s4, v16, v16
	v_add3_u32 v19, v19, v21, 0x7fff
	buffer_store_dword v11, off, s[0:3], s32 offset:252 ; 4-byte Folded Spill
	v_lshrrev_b32_e32 v10, 16, v10
	v_cndmask_b32_e64 v16, v23, v24, s4
	v_cmp_u_f32_e64 s4, v21, v21
	buffer_store_dword v10, off, s[0:3], s32 offset:248 ; 4-byte Folded Spill
	v_lshrrev_b32_e32 v10, 16, v16
	v_cndmask_b32_e64 v19, v19, v25, s4
	buffer_store_dword v10, off, s[0:3], s32 offset:224 ; 4-byte Folded Spill
	v_lshrrev_b32_e32 v10, 16, v19
	buffer_store_dword v10, off, s[0:3], s32 offset:232 ; 4-byte Folded Spill
	s_and_saveexec_b32 s13, vcc_lo
	s_cbranch_execz .LBB399_2211
; %bb.2210:                             ;   in Loop: Header=BB399_2079 Depth=1
	buffer_load_dword v10, off, s[0:3], s32 offset:248 ; 4-byte Folded Reload
	v_cmp_lt_i32_e64 s4, v125, v124
	s_waitcnt vmcnt(0)
	v_cndmask_b32_e64 v10, 0, v10, s4
	v_cmp_lt_i32_e64 s4, v113, v124
	buffer_store_dword v10, off, s[0:3], s32 offset:248 ; 4-byte Folded Spill
	buffer_load_dword v10, off, s[0:3], s32 offset:252 ; 4-byte Folded Reload
	s_waitcnt vmcnt(0)
	v_cndmask_b32_e64 v10, 0, v10, s4
	v_cmp_lt_i32_e64 s4, v38, v124
	buffer_store_dword v10, off, s[0:3], s32 offset:252 ; 4-byte Folded Spill
	buffer_load_dword v10, off, s[0:3], s32 offset:244 ; 4-byte Folded Reload
	;; [unrolled: 5-line block ×7, first 2 shown]
	s_waitcnt vmcnt(0)
	v_cndmask_b32_e64 v10, 0, v10, s4
	buffer_store_dword v10, off, s[0:3], s32 offset:232 ; 4-byte Folded Spill
.LBB399_2211:                           ;   in Loop: Header=BB399_2079 Depth=1
	s_or_b32 exec_lo, exec_lo, s13
	flat_load_dwordx2 v[19:20], v[17:18] offset:512
	v_mov_b32_e32 v11, 0
	v_mov_b32_e32 v10, 0
	s_waitcnt vmcnt(0) lgkmcnt(0)
	v_cmp_ne_u16_sdwa s4, v19, v13 src0_sel:BYTE_0 src1_sel:DWORD
	s_and_saveexec_b32 s13, s4
	s_cbranch_execz .LBB399_2219
; %bb.2212:                             ;   in Loop: Header=BB399_2079 Depth=1
	v_cmp_ne_u16_sdwa s4, v19, v114 src0_sel:BYTE_0 src1_sel:DWORD
	v_bfrev_b32_e32 v10, 1
	s_and_saveexec_b32 s15, s4
	s_cbranch_execz .LBB399_2218
; %bb.2213:                             ;   in Loop: Header=BB399_2079 Depth=1
	v_and_b32_e32 v12, 0x7f, v19
	v_mov_b32_e32 v10, 0x7f800001
	s_mov_b32 s18, exec_lo
	v_cmpx_ne_u32_e32 0x7f, v12
	s_cbranch_execz .LBB399_2217
; %bb.2214:                             ;   in Loop: Header=BB399_2079 Depth=1
	v_mov_b32_e32 v24, v20
	v_lshrrev_b32_e32 v10, 3, v12
	v_mov_b32_e32 v23, v19
	s_mov_b32 s20, exec_lo
	v_cmpx_gt_u32_e32 8, v12
; %bb.2215:                             ;   in Loop: Header=BB399_2079 Depth=1
	v_and_b32_e32 v10, 7, v19
	v_ffbh_u32_e32 v10, v10
	v_min_u32_e32 v10, 32, v10
	v_subrev_nc_u32_e32 v12, 28, v10
	v_sub_nc_u32_e32 v10, 29, v10
	v_lshlrev_b64 v[23:24], v12, v[19:20]
; %bb.2216:                             ;   in Loop: Header=BB399_2079 Depth=1
	s_or_b32 exec_lo, exec_lo, s20
	v_lshlrev_b32_e32 v12, 20, v23
	v_lshlrev_b32_e32 v16, 24, v19
	v_lshl_add_u32 v10, v10, 23, 0x3c000000
	v_and_b32_e32 v12, 0x700000, v12
	v_and_b32_e32 v16, 0x80000000, v16
	v_or3_b32 v10, v12, v16, v10
.LBB399_2217:                           ;   in Loop: Header=BB399_2079 Depth=1
	s_or_b32 exec_lo, exec_lo, s18
.LBB399_2218:                           ;   in Loop: Header=BB399_2079 Depth=1
	s_or_b32 exec_lo, exec_lo, s15
.LBB399_2219:                           ;   in Loop: Header=BB399_2079 Depth=1
	s_or_b32 exec_lo, exec_lo, s13
	v_cmp_ne_u16_sdwa s4, v19, v13 src0_sel:BYTE_1 src1_sel:DWORD
	s_and_saveexec_b32 s13, s4
	s_cbranch_execz .LBB399_2227
; %bb.2220:                             ;   in Loop: Header=BB399_2079 Depth=1
	v_cmp_ne_u16_sdwa s4, v19, v114 src0_sel:BYTE_1 src1_sel:DWORD
	v_bfrev_b32_e32 v11, 1
	s_and_saveexec_b32 s15, s4
	s_cbranch_execz .LBB399_2226
; %bb.2221:                             ;   in Loop: Header=BB399_2079 Depth=1
	v_and_b32_sdwa v12, v112, v19 dst_sel:DWORD dst_unused:UNUSED_PAD src0_sel:DWORD src1_sel:BYTE_1
	v_mov_b32_e32 v11, 0x7f800001
	s_mov_b32 s18, exec_lo
	v_and_b32_e32 v16, 0x7f, v12
	v_cmpx_ne_u32_e32 0x7f, v16
	s_cbranch_execz .LBB399_2225
; %bb.2222:                             ;   in Loop: Header=BB399_2079 Depth=1
	v_and_b32_e32 v12, 7, v12
	v_mov_b32_e32 v24, v13
	v_lshrrev_b32_e32 v11, 3, v16
	s_mov_b32 s20, exec_lo
	v_mov_b32_e32 v23, v12
	v_cmpx_gt_u32_e32 8, v16
; %bb.2223:                             ;   in Loop: Header=BB399_2079 Depth=1
	v_ffbh_u32_e32 v11, v12
	v_min_u32_e32 v11, 32, v11
	v_subrev_nc_u32_e32 v16, 28, v11
	v_sub_nc_u32_e32 v11, 29, v11
	v_lshlrev_b64 v[21:22], v16, v[12:13]
	v_and_b32_e32 v23, 7, v21
; %bb.2224:                             ;   in Loop: Header=BB399_2079 Depth=1
	s_or_b32 exec_lo, exec_lo, s20
	v_lshlrev_b32_e32 v12, 16, v19
	v_lshlrev_b32_e32 v16, 20, v23
	v_lshl_add_u32 v11, v11, 23, 0x3c000000
	v_and_b32_e32 v12, 0x80000000, v12
	v_or3_b32 v11, v16, v12, v11
.LBB399_2225:                           ;   in Loop: Header=BB399_2079 Depth=1
	s_or_b32 exec_lo, exec_lo, s18
.LBB399_2226:                           ;   in Loop: Header=BB399_2079 Depth=1
	s_or_b32 exec_lo, exec_lo, s15
.LBB399_2227:                           ;   in Loop: Header=BB399_2079 Depth=1
	s_or_b32 exec_lo, exec_lo, s13
	v_and_b32_sdwa v12, v19, v116 dst_sel:DWORD dst_unused:UNUSED_PAD src0_sel:WORD_1 src1_sel:DWORD
	v_mov_b32_e32 v21, 0
	v_mov_b32_e32 v16, 0
	s_mov_b32 s13, exec_lo
	v_cmpx_ne_u16_e32 0, v12
	s_cbranch_execz .LBB399_2235
; %bb.2228:                             ;   in Loop: Header=BB399_2079 Depth=1
	v_bfrev_b32_e32 v16, 1
	s_mov_b32 s15, exec_lo
	v_cmpx_ne_u16_e32 0x80, v12
	s_cbranch_execz .LBB399_2234
; %bb.2229:                             ;   in Loop: Header=BB399_2079 Depth=1
	v_bfe_u32 v22, v19, 16, 7
	v_mov_b32_e32 v16, 0x7f800001
	s_mov_b32 s18, exec_lo
	v_cmpx_ne_u32_e32 0x7f, v22
	s_cbranch_execz .LBB399_2233
; %bb.2230:                             ;   in Loop: Header=BB399_2079 Depth=1
	v_and_b32_sdwa v12, v19, v115 dst_sel:DWORD dst_unused:UNUSED_PAD src0_sel:WORD_1 src1_sel:DWORD
	v_mov_b32_e32 v24, v13
	v_lshrrev_b32_e32 v16, 3, v22
	s_mov_b32 s20, exec_lo
	v_mov_b32_e32 v23, v12
	v_cmpx_gt_u32_e32 8, v22
; %bb.2231:                             ;   in Loop: Header=BB399_2079 Depth=1
	v_ffbh_u32_e32 v16, v12
	v_min_u32_e32 v16, 32, v16
	v_subrev_nc_u32_e32 v22, 28, v16
	v_sub_nc_u32_e32 v16, 29, v16
	v_lshlrev_b64 v[22:23], v22, v[12:13]
	v_and_b32_e32 v23, 7, v22
; %bb.2232:                             ;   in Loop: Header=BB399_2079 Depth=1
	s_or_b32 exec_lo, exec_lo, s20
	v_lshlrev_b32_sdwa v12, v39, v19 dst_sel:DWORD dst_unused:UNUSED_PAD src0_sel:DWORD src1_sel:WORD_1
	v_lshlrev_b32_e32 v22, 20, v23
	v_lshl_add_u32 v16, v16, 23, 0x3c000000
	v_and_b32_e32 v12, 0x80000000, v12
	v_or3_b32 v16, v22, v12, v16
.LBB399_2233:                           ;   in Loop: Header=BB399_2079 Depth=1
	s_or_b32 exec_lo, exec_lo, s18
.LBB399_2234:                           ;   in Loop: Header=BB399_2079 Depth=1
	s_or_b32 exec_lo, exec_lo, s15
.LBB399_2235:                           ;   in Loop: Header=BB399_2079 Depth=1
	s_or_b32 exec_lo, exec_lo, s13
	s_mov_b32 s13, exec_lo
	v_cmpx_lt_u32_e32 0xffffff, v19
	s_cbranch_execz .LBB399_2243
; %bb.2236:                             ;   in Loop: Header=BB399_2079 Depth=1
	v_cmp_ne_u32_sdwa s4, v19, v114 src0_sel:BYTE_3 src1_sel:DWORD
	v_bfrev_b32_e32 v21, 1
	s_and_saveexec_b32 s15, s4
	s_cbranch_execz .LBB399_2242
; %bb.2237:                             ;   in Loop: Header=BB399_2079 Depth=1
	v_bfe_u32 v22, v19, 24, 7
	v_mov_b32_e32 v21, 0x7f800001
	s_mov_b32 s18, exec_lo
	v_cmpx_ne_u32_e32 0x7f, v22
	s_cbranch_execz .LBB399_2241
; %bb.2238:                             ;   in Loop: Header=BB399_2079 Depth=1
	v_and_b32_sdwa v12, v19, v115 dst_sel:DWORD dst_unused:UNUSED_PAD src0_sel:BYTE_3 src1_sel:DWORD
	v_mov_b32_e32 v24, v13
	v_lshrrev_b32_e32 v21, 3, v22
	s_mov_b32 s20, exec_lo
	v_mov_b32_e32 v23, v12
	v_cmpx_gt_u32_e32 8, v22
; %bb.2239:                             ;   in Loop: Header=BB399_2079 Depth=1
	v_ffbh_u32_e32 v21, v12
	v_min_u32_e32 v21, 32, v21
	v_subrev_nc_u32_e32 v22, 28, v21
	v_sub_nc_u32_e32 v21, 29, v21
	v_lshlrev_b64 v[22:23], v22, v[12:13]
	v_and_b32_e32 v23, 7, v22
; %bb.2240:                             ;   in Loop: Header=BB399_2079 Depth=1
	s_or_b32 exec_lo, exec_lo, s20
	v_lshlrev_b32_sdwa v12, v39, v19 dst_sel:DWORD dst_unused:UNUSED_PAD src0_sel:DWORD src1_sel:BYTE_3
	v_lshlrev_b32_e32 v22, 20, v23
	v_lshl_add_u32 v21, v21, 23, 0x3c000000
	v_and_b32_e32 v12, 0x80000000, v12
	v_or3_b32 v21, v22, v12, v21
.LBB399_2241:                           ;   in Loop: Header=BB399_2079 Depth=1
	s_or_b32 exec_lo, exec_lo, s18
.LBB399_2242:                           ;   in Loop: Header=BB399_2079 Depth=1
	s_or_b32 exec_lo, exec_lo, s15
.LBB399_2243:                           ;   in Loop: Header=BB399_2079 Depth=1
	s_or_b32 exec_lo, exec_lo, s13
	v_mov_b32_e32 v12, v20
	v_cmp_ne_u16_sdwa s4, v20, v13 src0_sel:BYTE_0 src1_sel:DWORD
	v_mov_b32_e32 v25, 0
	v_mov_b32_e32 v22, 0
	s_and_saveexec_b32 s13, s4
	s_cbranch_execz .LBB399_2251
; %bb.2244:                             ;   in Loop: Header=BB399_2079 Depth=1
	v_cmp_ne_u16_sdwa s4, v20, v114 src0_sel:BYTE_0 src1_sel:DWORD
	v_bfrev_b32_e32 v22, 1
	s_and_saveexec_b32 s15, s4
	s_cbranch_execz .LBB399_2250
; %bb.2245:                             ;   in Loop: Header=BB399_2079 Depth=1
	v_and_b32_e32 v23, 0x7f, v20
	v_mov_b32_e32 v22, 0x7f800001
	s_mov_b32 s18, exec_lo
	v_cmpx_ne_u32_e32 0x7f, v23
	s_cbranch_execz .LBB399_2249
; %bb.2246:                             ;   in Loop: Header=BB399_2079 Depth=1
	v_lshrrev_b32_e32 v22, 3, v23
	v_cmp_gt_u32_e64 s4, 8, v23
	v_mov_b32_e32 v24, v13
	v_mov_b32_e32 v23, v12
	s_and_saveexec_b32 s20, s4
; %bb.2247:                             ;   in Loop: Header=BB399_2079 Depth=1
	v_and_b32_e32 v22, 7, v20
	v_ffbh_u32_e32 v22, v22
	v_min_u32_e32 v22, 32, v22
	v_subrev_nc_u32_e32 v23, 28, v22
	v_sub_nc_u32_e32 v22, 29, v22
	v_lshlrev_b64 v[23:24], v23, v[12:13]
; %bb.2248:                             ;   in Loop: Header=BB399_2079 Depth=1
	s_or_b32 exec_lo, exec_lo, s20
	v_lshlrev_b32_e32 v23, 20, v23
	v_lshlrev_b32_e32 v24, 24, v12
	v_lshl_add_u32 v22, v22, 23, 0x3c000000
	v_and_b32_e32 v23, 0x700000, v23
	v_and_b32_e32 v24, 0x80000000, v24
	v_or3_b32 v22, v23, v24, v22
.LBB399_2249:                           ;   in Loop: Header=BB399_2079 Depth=1
	s_or_b32 exec_lo, exec_lo, s18
.LBB399_2250:                           ;   in Loop: Header=BB399_2079 Depth=1
	s_or_b32 exec_lo, exec_lo, s15
.LBB399_2251:                           ;   in Loop: Header=BB399_2079 Depth=1
	s_or_b32 exec_lo, exec_lo, s13
	v_cmp_ne_u16_sdwa s4, v12, v13 src0_sel:BYTE_1 src1_sel:DWORD
	s_and_saveexec_b32 s13, s4
	s_cbranch_execz .LBB399_2259
; %bb.2252:                             ;   in Loop: Header=BB399_2079 Depth=1
	v_cmp_ne_u16_sdwa s4, v12, v114 src0_sel:BYTE_1 src1_sel:DWORD
	v_bfrev_b32_e32 v25, 1
	s_and_saveexec_b32 s15, s4
	s_cbranch_execz .LBB399_2258
; %bb.2253:                             ;   in Loop: Header=BB399_2079 Depth=1
	v_and_b32_sdwa v23, v112, v12 dst_sel:DWORD dst_unused:UNUSED_PAD src0_sel:DWORD src1_sel:BYTE_1
	v_mov_b32_e32 v25, 0x7f800001
	s_mov_b32 s18, exec_lo
	v_and_b32_e32 v26, 0x7f, v23
	v_cmpx_ne_u32_e32 0x7f, v26
	s_cbranch_execz .LBB399_2257
; %bb.2254:                             ;   in Loop: Header=BB399_2079 Depth=1
	v_and_b32_e32 v23, 7, v23
	v_mov_b32_e32 v24, v13
	v_lshrrev_b32_e32 v25, 3, v26
	s_mov_b32 s20, exec_lo
	v_cmpx_gt_u32_e32 8, v26
; %bb.2255:                             ;   in Loop: Header=BB399_2079 Depth=1
	v_ffbh_u32_e32 v25, v23
	v_min_u32_e32 v25, 32, v25
	v_subrev_nc_u32_e32 v26, 28, v25
	v_sub_nc_u32_e32 v25, 29, v25
	v_lshlrev_b64 v[23:24], v26, v[23:24]
	v_and_b32_e32 v23, 7, v23
; %bb.2256:                             ;   in Loop: Header=BB399_2079 Depth=1
	s_or_b32 exec_lo, exec_lo, s20
	v_lshlrev_b32_e32 v12, 16, v12
	v_lshlrev_b32_e32 v23, 20, v23
	v_lshl_add_u32 v24, v25, 23, 0x3c000000
	v_and_b32_e32 v12, 0x80000000, v12
	v_or3_b32 v25, v23, v12, v24
.LBB399_2257:                           ;   in Loop: Header=BB399_2079 Depth=1
	s_or_b32 exec_lo, exec_lo, s18
.LBB399_2258:                           ;   in Loop: Header=BB399_2079 Depth=1
	s_or_b32 exec_lo, exec_lo, s15
.LBB399_2259:                           ;   in Loop: Header=BB399_2079 Depth=1
	s_or_b32 exec_lo, exec_lo, s13
	v_and_b32_sdwa v12, v20, v116 dst_sel:DWORD dst_unused:UNUSED_PAD src0_sel:WORD_1 src1_sel:DWORD
	v_mov_b32_e32 v26, 0
	v_mov_b32_e32 v28, 0
	s_mov_b32 s13, exec_lo
	v_cmpx_ne_u16_e32 0, v12
	s_cbranch_execz .LBB399_2267
; %bb.2260:                             ;   in Loop: Header=BB399_2079 Depth=1
	v_bfrev_b32_e32 v28, 1
	s_mov_b32 s15, exec_lo
	v_cmpx_ne_u16_e32 0x80, v12
	s_cbranch_execz .LBB399_2266
; %bb.2261:                             ;   in Loop: Header=BB399_2079 Depth=1
	v_bfe_u32 v23, v20, 16, 7
	v_mov_b32_e32 v28, 0x7f800001
	s_mov_b32 s18, exec_lo
	v_cmpx_ne_u32_e32 0x7f, v23
	s_cbranch_execz .LBB399_2265
; %bb.2262:                             ;   in Loop: Header=BB399_2079 Depth=1
	v_and_b32_sdwa v12, v20, v115 dst_sel:DWORD dst_unused:UNUSED_PAD src0_sel:WORD_1 src1_sel:DWORD
	v_lshrrev_b32_e32 v28, 3, v23
	v_cmp_gt_u32_e64 s4, 8, v23
	v_mov_b32_e32 v24, v13
	v_mov_b32_e32 v23, v12
	s_and_saveexec_b32 s20, s4
; %bb.2263:                             ;   in Loop: Header=BB399_2079 Depth=1
	v_ffbh_u32_e32 v23, v12
	v_min_u32_e32 v28, 32, v23
	v_subrev_nc_u32_e32 v23, 28, v28
	v_sub_nc_u32_e32 v28, 29, v28
	v_lshlrev_b64 v[23:24], v23, v[12:13]
	v_and_b32_e32 v23, 7, v23
; %bb.2264:                             ;   in Loop: Header=BB399_2079 Depth=1
	s_or_b32 exec_lo, exec_lo, s20
	v_lshlrev_b32_sdwa v12, v39, v20 dst_sel:DWORD dst_unused:UNUSED_PAD src0_sel:DWORD src1_sel:WORD_1
	v_lshlrev_b32_e32 v23, 20, v23
	v_lshl_add_u32 v24, v28, 23, 0x3c000000
	v_and_b32_e32 v12, 0x80000000, v12
	v_or3_b32 v28, v23, v12, v24
.LBB399_2265:                           ;   in Loop: Header=BB399_2079 Depth=1
	s_or_b32 exec_lo, exec_lo, s18
.LBB399_2266:                           ;   in Loop: Header=BB399_2079 Depth=1
	s_or_b32 exec_lo, exec_lo, s15
.LBB399_2267:                           ;   in Loop: Header=BB399_2079 Depth=1
	s_or_b32 exec_lo, exec_lo, s13
	s_mov_b32 s13, exec_lo
	v_cmpx_lt_u64_e64 s[8:9], v[19:20]
	s_cbranch_execz .LBB399_2275
; %bb.2268:                             ;   in Loop: Header=BB399_2079 Depth=1
	v_cmp_ne_u32_sdwa s4, v20, v114 src0_sel:BYTE_3 src1_sel:DWORD
	v_bfrev_b32_e32 v26, 1
	s_and_saveexec_b32 s15, s4
	s_cbranch_execz .LBB399_2274
; %bb.2269:                             ;   in Loop: Header=BB399_2079 Depth=1
	v_bfe_u32 v23, v20, 24, 7
	v_mov_b32_e32 v26, 0x7f800001
	s_mov_b32 s18, exec_lo
	v_cmpx_ne_u32_e32 0x7f, v23
	s_cbranch_execz .LBB399_2273
; %bb.2270:                             ;   in Loop: Header=BB399_2079 Depth=1
	v_and_b32_sdwa v12, v20, v115 dst_sel:DWORD dst_unused:UNUSED_PAD src0_sel:BYTE_3 src1_sel:DWORD
	v_lshrrev_b32_e32 v19, 3, v23
	v_cmp_gt_u32_e64 s4, 8, v23
	v_mov_b32_e32 v24, v13
	v_mov_b32_e32 v23, v12
	s_and_saveexec_b32 s20, s4
; %bb.2271:                             ;   in Loop: Header=BB399_2079 Depth=1
	v_ffbh_u32_e32 v19, v12
	v_min_u32_e32 v19, 32, v19
	v_subrev_nc_u32_e32 v23, 28, v19
	v_sub_nc_u32_e32 v19, 29, v19
	v_lshlrev_b64 v[23:24], v23, v[12:13]
	v_and_b32_e32 v23, 7, v23
; %bb.2272:                             ;   in Loop: Header=BB399_2079 Depth=1
	s_or_b32 exec_lo, exec_lo, s20
	v_lshlrev_b32_sdwa v12, v39, v20 dst_sel:DWORD dst_unused:UNUSED_PAD src0_sel:DWORD src1_sel:BYTE_3
	v_lshlrev_b32_e32 v20, 20, v23
	v_lshl_add_u32 v19, v19, 23, 0x3c000000
	v_and_b32_e32 v12, 0x80000000, v12
	v_or3_b32 v26, v20, v12, v19
.LBB399_2273:                           ;   in Loop: Header=BB399_2079 Depth=1
	s_or_b32 exec_lo, exec_lo, s18
.LBB399_2274:                           ;   in Loop: Header=BB399_2079 Depth=1
	s_or_b32 exec_lo, exec_lo, s15
.LBB399_2275:                           ;   in Loop: Header=BB399_2079 Depth=1
	s_or_b32 exec_lo, exec_lo, s13
	v_mul_f32_e32 v12, v27, v25
	v_mul_f32_e32 v19, v27, v22
	;; [unrolled: 1-line block ×5, first 2 shown]
	v_bfe_u32 v21, v12, 16, 1
	v_or_b32_e32 v22, 0x400000, v12
	v_bfe_u32 v23, v19, 16, 1
	v_cmp_u_f32_e64 s4, v12, v12
	v_or_b32_e32 v24, 0x400000, v19
	v_add3_u32 v21, v21, v12, 0x7fff
	v_bfe_u32 v25, v20, 16, 1
	v_add3_u32 v23, v23, v19, 0x7fff
	v_or_b32_e32 v29, 0x400000, v20
	v_bfe_u32 v30, v16, 16, 1
	v_cndmask_b32_e64 v12, v21, v22, s4
	v_cmp_u_f32_e64 s4, v19, v19
	v_add3_u32 v25, v25, v20, 0x7fff
	v_or_b32_e32 v21, 0x400000, v16
	v_mul_f32_e32 v10, v27, v10
	v_lshrrev_b32_e32 v12, 16, v12
	v_cndmask_b32_e64 v19, v23, v24, s4
	v_cmp_u_f32_e64 s4, v20, v20
	v_bfe_u32 v22, v10, 16, 1
	buffer_store_dword v12, off, s[0:3], s32 offset:268 ; 4-byte Folded Spill
	v_lshrrev_b32_e32 v19, 16, v19
	v_cndmask_b32_e64 v20, v25, v29, s4
	v_add3_u32 v12, v30, v16, 0x7fff
	v_cmp_u_f32_e64 s4, v16, v16
	v_mul_f32_e32 v16, v27, v28
	buffer_store_dword v19, off, s[0:3], s32 offset:260 ; 4-byte Folded Spill
	v_lshrrev_b32_e32 v19, 16, v20
	v_or_b32_e32 v20, 0x400000, v11
	v_cndmask_b32_e64 v12, v12, v21, s4
	v_cmp_u_f32_e64 s4, v11, v11
	v_mul_f32_e32 v21, v27, v26
	buffer_store_dword v19, off, s[0:3], s32 offset:272 ; 4-byte Folded Spill
	v_bfe_u32 v19, v11, 16, 1
	v_bfe_u32 v23, v16, 16, 1
	v_or_b32_e32 v24, 0x400000, v16
	v_or_b32_e32 v25, 0x400000, v21
	v_lshrrev_b32_e32 v12, 16, v12
	v_add3_u32 v19, v19, v11, 0x7fff
	v_add3_u32 v23, v23, v16, 0x7fff
	buffer_store_dword v12, off, s[0:3], s32 offset:276 ; 4-byte Folded Spill
	v_cndmask_b32_e64 v11, v19, v20, s4
	v_add3_u32 v20, v22, v10, 0x7fff
	v_or_b32_e32 v22, 0x400000, v10
	v_cmp_u_f32_e64 s4, v10, v10
	v_bfe_u32 v19, v21, 16, 1
	v_lshrrev_b32_e32 v11, 16, v11
	v_cndmask_b32_e64 v10, v20, v22, s4
	v_cmp_u_f32_e64 s4, v16, v16
	v_add3_u32 v19, v19, v21, 0x7fff
	buffer_store_dword v11, off, s[0:3], s32 offset:284 ; 4-byte Folded Spill
	v_lshrrev_b32_e32 v10, 16, v10
	v_cndmask_b32_e64 v16, v23, v24, s4
	v_cmp_u_f32_e64 s4, v21, v21
	buffer_store_dword v10, off, s[0:3], s32 offset:280 ; 4-byte Folded Spill
	v_lshrrev_b32_e32 v10, 16, v16
	v_cndmask_b32_e64 v19, v19, v25, s4
	buffer_store_dword v10, off, s[0:3], s32 offset:256 ; 4-byte Folded Spill
	v_lshrrev_b32_e32 v10, 16, v19
	buffer_store_dword v10, off, s[0:3], s32 offset:264 ; 4-byte Folded Spill
	s_and_saveexec_b32 s13, vcc_lo
	s_cbranch_execz .LBB399_2277
; %bb.2276:                             ;   in Loop: Header=BB399_2079 Depth=1
	buffer_load_dword v10, off, s[0:3], s32 offset:280 ; 4-byte Folded Reload
	v_cmp_lt_i32_e64 s4, v125, v124
	s_waitcnt vmcnt(0)
	v_cndmask_b32_e64 v10, 0, v10, s4
	v_cmp_lt_i32_e64 s4, v113, v124
	buffer_store_dword v10, off, s[0:3], s32 offset:280 ; 4-byte Folded Spill
	buffer_load_dword v10, off, s[0:3], s32 offset:284 ; 4-byte Folded Reload
	s_waitcnt vmcnt(0)
	v_cndmask_b32_e64 v10, 0, v10, s4
	v_cmp_lt_i32_e64 s4, v38, v124
	buffer_store_dword v10, off, s[0:3], s32 offset:284 ; 4-byte Folded Spill
	buffer_load_dword v10, off, s[0:3], s32 offset:276 ; 4-byte Folded Reload
	;; [unrolled: 5-line block ×7, first 2 shown]
	s_waitcnt vmcnt(0)
	v_cndmask_b32_e64 v10, 0, v10, s4
	buffer_store_dword v10, off, s[0:3], s32 offset:264 ; 4-byte Folded Spill
.LBB399_2277:                           ;   in Loop: Header=BB399_2079 Depth=1
	s_or_b32 exec_lo, exec_lo, s13
	flat_load_dwordx2 v[19:20], v[17:18] offset:768
	v_mov_b32_e32 v11, 0
	v_mov_b32_e32 v10, 0
	s_waitcnt vmcnt(0) lgkmcnt(0)
	v_cmp_ne_u16_sdwa s4, v19, v13 src0_sel:BYTE_0 src1_sel:DWORD
	s_and_saveexec_b32 s13, s4
	s_cbranch_execz .LBB399_2285
; %bb.2278:                             ;   in Loop: Header=BB399_2079 Depth=1
	v_cmp_ne_u16_sdwa s4, v19, v114 src0_sel:BYTE_0 src1_sel:DWORD
	v_bfrev_b32_e32 v10, 1
	s_and_saveexec_b32 s15, s4
	s_cbranch_execz .LBB399_2284
; %bb.2279:                             ;   in Loop: Header=BB399_2079 Depth=1
	v_and_b32_e32 v12, 0x7f, v19
	v_mov_b32_e32 v10, 0x7f800001
	s_mov_b32 s18, exec_lo
	v_cmpx_ne_u32_e32 0x7f, v12
	s_cbranch_execz .LBB399_2283
; %bb.2280:                             ;   in Loop: Header=BB399_2079 Depth=1
	v_mov_b32_e32 v24, v20
	v_lshrrev_b32_e32 v10, 3, v12
	v_mov_b32_e32 v23, v19
	s_mov_b32 s20, exec_lo
	v_cmpx_gt_u32_e32 8, v12
; %bb.2281:                             ;   in Loop: Header=BB399_2079 Depth=1
	v_and_b32_e32 v10, 7, v19
	v_ffbh_u32_e32 v10, v10
	v_min_u32_e32 v10, 32, v10
	v_subrev_nc_u32_e32 v12, 28, v10
	v_sub_nc_u32_e32 v10, 29, v10
	v_lshlrev_b64 v[23:24], v12, v[19:20]
; %bb.2282:                             ;   in Loop: Header=BB399_2079 Depth=1
	s_or_b32 exec_lo, exec_lo, s20
	v_lshlrev_b32_e32 v12, 20, v23
	v_lshlrev_b32_e32 v16, 24, v19
	v_lshl_add_u32 v10, v10, 23, 0x3c000000
	v_and_b32_e32 v12, 0x700000, v12
	v_and_b32_e32 v16, 0x80000000, v16
	v_or3_b32 v10, v12, v16, v10
.LBB399_2283:                           ;   in Loop: Header=BB399_2079 Depth=1
	s_or_b32 exec_lo, exec_lo, s18
.LBB399_2284:                           ;   in Loop: Header=BB399_2079 Depth=1
	s_or_b32 exec_lo, exec_lo, s15
.LBB399_2285:                           ;   in Loop: Header=BB399_2079 Depth=1
	s_or_b32 exec_lo, exec_lo, s13
	v_cmp_ne_u16_sdwa s4, v19, v13 src0_sel:BYTE_1 src1_sel:DWORD
	s_and_saveexec_b32 s13, s4
	s_cbranch_execz .LBB399_2293
; %bb.2286:                             ;   in Loop: Header=BB399_2079 Depth=1
	v_cmp_ne_u16_sdwa s4, v19, v114 src0_sel:BYTE_1 src1_sel:DWORD
	v_bfrev_b32_e32 v11, 1
	s_and_saveexec_b32 s15, s4
	s_cbranch_execz .LBB399_2292
; %bb.2287:                             ;   in Loop: Header=BB399_2079 Depth=1
	v_and_b32_sdwa v12, v112, v19 dst_sel:DWORD dst_unused:UNUSED_PAD src0_sel:DWORD src1_sel:BYTE_1
	v_mov_b32_e32 v11, 0x7f800001
	s_mov_b32 s18, exec_lo
	v_and_b32_e32 v16, 0x7f, v12
	v_cmpx_ne_u32_e32 0x7f, v16
	s_cbranch_execz .LBB399_2291
; %bb.2288:                             ;   in Loop: Header=BB399_2079 Depth=1
	v_and_b32_e32 v12, 7, v12
	v_mov_b32_e32 v24, v13
	v_lshrrev_b32_e32 v11, 3, v16
	s_mov_b32 s20, exec_lo
	v_mov_b32_e32 v23, v12
	v_cmpx_gt_u32_e32 8, v16
; %bb.2289:                             ;   in Loop: Header=BB399_2079 Depth=1
	v_ffbh_u32_e32 v11, v12
	v_min_u32_e32 v11, 32, v11
	v_subrev_nc_u32_e32 v16, 28, v11
	v_sub_nc_u32_e32 v11, 29, v11
	v_lshlrev_b64 v[21:22], v16, v[12:13]
	v_and_b32_e32 v23, 7, v21
; %bb.2290:                             ;   in Loop: Header=BB399_2079 Depth=1
	s_or_b32 exec_lo, exec_lo, s20
	v_lshlrev_b32_e32 v12, 16, v19
	v_lshlrev_b32_e32 v16, 20, v23
	v_lshl_add_u32 v11, v11, 23, 0x3c000000
	v_and_b32_e32 v12, 0x80000000, v12
	v_or3_b32 v11, v16, v12, v11
.LBB399_2291:                           ;   in Loop: Header=BB399_2079 Depth=1
	s_or_b32 exec_lo, exec_lo, s18
.LBB399_2292:                           ;   in Loop: Header=BB399_2079 Depth=1
	s_or_b32 exec_lo, exec_lo, s15
.LBB399_2293:                           ;   in Loop: Header=BB399_2079 Depth=1
	s_or_b32 exec_lo, exec_lo, s13
	v_and_b32_sdwa v12, v19, v116 dst_sel:DWORD dst_unused:UNUSED_PAD src0_sel:WORD_1 src1_sel:DWORD
	v_mov_b32_e32 v21, 0
	v_mov_b32_e32 v16, 0
	s_mov_b32 s13, exec_lo
	v_cmpx_ne_u16_e32 0, v12
	s_cbranch_execz .LBB399_2301
; %bb.2294:                             ;   in Loop: Header=BB399_2079 Depth=1
	v_bfrev_b32_e32 v16, 1
	s_mov_b32 s15, exec_lo
	v_cmpx_ne_u16_e32 0x80, v12
	s_cbranch_execz .LBB399_2300
; %bb.2295:                             ;   in Loop: Header=BB399_2079 Depth=1
	v_bfe_u32 v22, v19, 16, 7
	v_mov_b32_e32 v16, 0x7f800001
	s_mov_b32 s18, exec_lo
	v_cmpx_ne_u32_e32 0x7f, v22
	s_cbranch_execz .LBB399_2299
; %bb.2296:                             ;   in Loop: Header=BB399_2079 Depth=1
	v_and_b32_sdwa v12, v19, v115 dst_sel:DWORD dst_unused:UNUSED_PAD src0_sel:WORD_1 src1_sel:DWORD
	v_mov_b32_e32 v24, v13
	v_lshrrev_b32_e32 v16, 3, v22
	s_mov_b32 s20, exec_lo
	v_mov_b32_e32 v23, v12
	v_cmpx_gt_u32_e32 8, v22
; %bb.2297:                             ;   in Loop: Header=BB399_2079 Depth=1
	v_ffbh_u32_e32 v16, v12
	v_min_u32_e32 v16, 32, v16
	v_subrev_nc_u32_e32 v22, 28, v16
	v_sub_nc_u32_e32 v16, 29, v16
	v_lshlrev_b64 v[22:23], v22, v[12:13]
	v_and_b32_e32 v23, 7, v22
; %bb.2298:                             ;   in Loop: Header=BB399_2079 Depth=1
	s_or_b32 exec_lo, exec_lo, s20
	v_lshlrev_b32_sdwa v12, v39, v19 dst_sel:DWORD dst_unused:UNUSED_PAD src0_sel:DWORD src1_sel:WORD_1
	v_lshlrev_b32_e32 v22, 20, v23
	v_lshl_add_u32 v16, v16, 23, 0x3c000000
	v_and_b32_e32 v12, 0x80000000, v12
	v_or3_b32 v16, v22, v12, v16
.LBB399_2299:                           ;   in Loop: Header=BB399_2079 Depth=1
	s_or_b32 exec_lo, exec_lo, s18
.LBB399_2300:                           ;   in Loop: Header=BB399_2079 Depth=1
	s_or_b32 exec_lo, exec_lo, s15
.LBB399_2301:                           ;   in Loop: Header=BB399_2079 Depth=1
	s_or_b32 exec_lo, exec_lo, s13
	s_mov_b32 s13, exec_lo
	v_cmpx_lt_u32_e32 0xffffff, v19
	s_cbranch_execz .LBB399_2309
; %bb.2302:                             ;   in Loop: Header=BB399_2079 Depth=1
	v_cmp_ne_u32_sdwa s4, v19, v114 src0_sel:BYTE_3 src1_sel:DWORD
	v_bfrev_b32_e32 v21, 1
	s_and_saveexec_b32 s15, s4
	s_cbranch_execz .LBB399_2308
; %bb.2303:                             ;   in Loop: Header=BB399_2079 Depth=1
	v_bfe_u32 v22, v19, 24, 7
	v_mov_b32_e32 v21, 0x7f800001
	s_mov_b32 s18, exec_lo
	v_cmpx_ne_u32_e32 0x7f, v22
	s_cbranch_execz .LBB399_2307
; %bb.2304:                             ;   in Loop: Header=BB399_2079 Depth=1
	v_and_b32_sdwa v12, v19, v115 dst_sel:DWORD dst_unused:UNUSED_PAD src0_sel:BYTE_3 src1_sel:DWORD
	v_mov_b32_e32 v24, v13
	v_lshrrev_b32_e32 v21, 3, v22
	s_mov_b32 s20, exec_lo
	v_mov_b32_e32 v23, v12
	v_cmpx_gt_u32_e32 8, v22
; %bb.2305:                             ;   in Loop: Header=BB399_2079 Depth=1
	v_ffbh_u32_e32 v21, v12
	v_min_u32_e32 v21, 32, v21
	v_subrev_nc_u32_e32 v22, 28, v21
	v_sub_nc_u32_e32 v21, 29, v21
	v_lshlrev_b64 v[22:23], v22, v[12:13]
	v_and_b32_e32 v23, 7, v22
; %bb.2306:                             ;   in Loop: Header=BB399_2079 Depth=1
	s_or_b32 exec_lo, exec_lo, s20
	v_lshlrev_b32_sdwa v12, v39, v19 dst_sel:DWORD dst_unused:UNUSED_PAD src0_sel:DWORD src1_sel:BYTE_3
	v_lshlrev_b32_e32 v22, 20, v23
	v_lshl_add_u32 v21, v21, 23, 0x3c000000
	v_and_b32_e32 v12, 0x80000000, v12
	v_or3_b32 v21, v22, v12, v21
.LBB399_2307:                           ;   in Loop: Header=BB399_2079 Depth=1
	s_or_b32 exec_lo, exec_lo, s18
.LBB399_2308:                           ;   in Loop: Header=BB399_2079 Depth=1
	s_or_b32 exec_lo, exec_lo, s15
.LBB399_2309:                           ;   in Loop: Header=BB399_2079 Depth=1
	s_or_b32 exec_lo, exec_lo, s13
	v_mov_b32_e32 v12, v20
	v_cmp_ne_u16_sdwa s4, v20, v13 src0_sel:BYTE_0 src1_sel:DWORD
	v_mov_b32_e32 v25, 0
	v_mov_b32_e32 v22, 0
	s_and_saveexec_b32 s13, s4
	s_cbranch_execz .LBB399_2317
; %bb.2310:                             ;   in Loop: Header=BB399_2079 Depth=1
	v_cmp_ne_u16_sdwa s4, v20, v114 src0_sel:BYTE_0 src1_sel:DWORD
	v_bfrev_b32_e32 v22, 1
	s_and_saveexec_b32 s15, s4
	s_cbranch_execz .LBB399_2316
; %bb.2311:                             ;   in Loop: Header=BB399_2079 Depth=1
	v_and_b32_e32 v23, 0x7f, v20
	v_mov_b32_e32 v22, 0x7f800001
	s_mov_b32 s18, exec_lo
	v_cmpx_ne_u32_e32 0x7f, v23
	s_cbranch_execz .LBB399_2315
; %bb.2312:                             ;   in Loop: Header=BB399_2079 Depth=1
	v_lshrrev_b32_e32 v22, 3, v23
	v_cmp_gt_u32_e64 s4, 8, v23
	v_mov_b32_e32 v24, v13
	v_mov_b32_e32 v23, v12
	s_and_saveexec_b32 s20, s4
; %bb.2313:                             ;   in Loop: Header=BB399_2079 Depth=1
	v_and_b32_e32 v22, 7, v20
	v_ffbh_u32_e32 v22, v22
	v_min_u32_e32 v22, 32, v22
	v_subrev_nc_u32_e32 v23, 28, v22
	v_sub_nc_u32_e32 v22, 29, v22
	v_lshlrev_b64 v[23:24], v23, v[12:13]
; %bb.2314:                             ;   in Loop: Header=BB399_2079 Depth=1
	s_or_b32 exec_lo, exec_lo, s20
	v_lshlrev_b32_e32 v23, 20, v23
	v_lshlrev_b32_e32 v24, 24, v12
	v_lshl_add_u32 v22, v22, 23, 0x3c000000
	v_and_b32_e32 v23, 0x700000, v23
	v_and_b32_e32 v24, 0x80000000, v24
	v_or3_b32 v22, v23, v24, v22
.LBB399_2315:                           ;   in Loop: Header=BB399_2079 Depth=1
	s_or_b32 exec_lo, exec_lo, s18
.LBB399_2316:                           ;   in Loop: Header=BB399_2079 Depth=1
	s_or_b32 exec_lo, exec_lo, s15
.LBB399_2317:                           ;   in Loop: Header=BB399_2079 Depth=1
	s_or_b32 exec_lo, exec_lo, s13
	v_cmp_ne_u16_sdwa s4, v12, v13 src0_sel:BYTE_1 src1_sel:DWORD
	s_and_saveexec_b32 s13, s4
	s_cbranch_execz .LBB399_2325
; %bb.2318:                             ;   in Loop: Header=BB399_2079 Depth=1
	v_cmp_ne_u16_sdwa s4, v12, v114 src0_sel:BYTE_1 src1_sel:DWORD
	v_bfrev_b32_e32 v25, 1
	s_and_saveexec_b32 s15, s4
	s_cbranch_execz .LBB399_2324
; %bb.2319:                             ;   in Loop: Header=BB399_2079 Depth=1
	v_and_b32_sdwa v23, v112, v12 dst_sel:DWORD dst_unused:UNUSED_PAD src0_sel:DWORD src1_sel:BYTE_1
	v_mov_b32_e32 v25, 0x7f800001
	s_mov_b32 s18, exec_lo
	v_and_b32_e32 v26, 0x7f, v23
	v_cmpx_ne_u32_e32 0x7f, v26
	s_cbranch_execz .LBB399_2323
; %bb.2320:                             ;   in Loop: Header=BB399_2079 Depth=1
	v_and_b32_e32 v23, 7, v23
	v_mov_b32_e32 v24, v13
	v_lshrrev_b32_e32 v25, 3, v26
	s_mov_b32 s20, exec_lo
	v_cmpx_gt_u32_e32 8, v26
; %bb.2321:                             ;   in Loop: Header=BB399_2079 Depth=1
	v_ffbh_u32_e32 v25, v23
	v_min_u32_e32 v25, 32, v25
	v_subrev_nc_u32_e32 v26, 28, v25
	v_sub_nc_u32_e32 v25, 29, v25
	v_lshlrev_b64 v[23:24], v26, v[23:24]
	v_and_b32_e32 v23, 7, v23
; %bb.2322:                             ;   in Loop: Header=BB399_2079 Depth=1
	s_or_b32 exec_lo, exec_lo, s20
	v_lshlrev_b32_e32 v12, 16, v12
	v_lshlrev_b32_e32 v23, 20, v23
	v_lshl_add_u32 v24, v25, 23, 0x3c000000
	v_and_b32_e32 v12, 0x80000000, v12
	v_or3_b32 v25, v23, v12, v24
.LBB399_2323:                           ;   in Loop: Header=BB399_2079 Depth=1
	s_or_b32 exec_lo, exec_lo, s18
.LBB399_2324:                           ;   in Loop: Header=BB399_2079 Depth=1
	s_or_b32 exec_lo, exec_lo, s15
.LBB399_2325:                           ;   in Loop: Header=BB399_2079 Depth=1
	s_or_b32 exec_lo, exec_lo, s13
	v_and_b32_sdwa v12, v20, v116 dst_sel:DWORD dst_unused:UNUSED_PAD src0_sel:WORD_1 src1_sel:DWORD
	v_mov_b32_e32 v26, 0
	v_mov_b32_e32 v28, 0
	s_mov_b32 s13, exec_lo
	v_cmpx_ne_u16_e32 0, v12
	s_cbranch_execz .LBB399_2333
; %bb.2326:                             ;   in Loop: Header=BB399_2079 Depth=1
	v_bfrev_b32_e32 v28, 1
	s_mov_b32 s15, exec_lo
	v_cmpx_ne_u16_e32 0x80, v12
	s_cbranch_execz .LBB399_2332
; %bb.2327:                             ;   in Loop: Header=BB399_2079 Depth=1
	v_bfe_u32 v23, v20, 16, 7
	v_mov_b32_e32 v28, 0x7f800001
	s_mov_b32 s18, exec_lo
	v_cmpx_ne_u32_e32 0x7f, v23
	s_cbranch_execz .LBB399_2331
; %bb.2328:                             ;   in Loop: Header=BB399_2079 Depth=1
	v_and_b32_sdwa v12, v20, v115 dst_sel:DWORD dst_unused:UNUSED_PAD src0_sel:WORD_1 src1_sel:DWORD
	v_lshrrev_b32_e32 v28, 3, v23
	v_cmp_gt_u32_e64 s4, 8, v23
	v_mov_b32_e32 v24, v13
	v_mov_b32_e32 v23, v12
	s_and_saveexec_b32 s20, s4
; %bb.2329:                             ;   in Loop: Header=BB399_2079 Depth=1
	v_ffbh_u32_e32 v23, v12
	v_min_u32_e32 v28, 32, v23
	v_subrev_nc_u32_e32 v23, 28, v28
	v_sub_nc_u32_e32 v28, 29, v28
	v_lshlrev_b64 v[23:24], v23, v[12:13]
	v_and_b32_e32 v23, 7, v23
; %bb.2330:                             ;   in Loop: Header=BB399_2079 Depth=1
	s_or_b32 exec_lo, exec_lo, s20
	v_lshlrev_b32_sdwa v12, v39, v20 dst_sel:DWORD dst_unused:UNUSED_PAD src0_sel:DWORD src1_sel:WORD_1
	v_lshlrev_b32_e32 v23, 20, v23
	v_lshl_add_u32 v24, v28, 23, 0x3c000000
	v_and_b32_e32 v12, 0x80000000, v12
	v_or3_b32 v28, v23, v12, v24
.LBB399_2331:                           ;   in Loop: Header=BB399_2079 Depth=1
	s_or_b32 exec_lo, exec_lo, s18
.LBB399_2332:                           ;   in Loop: Header=BB399_2079 Depth=1
	s_or_b32 exec_lo, exec_lo, s15
.LBB399_2333:                           ;   in Loop: Header=BB399_2079 Depth=1
	s_or_b32 exec_lo, exec_lo, s13
	s_mov_b32 s13, exec_lo
	v_cmpx_lt_u64_e64 s[8:9], v[19:20]
	s_cbranch_execz .LBB399_2341
; %bb.2334:                             ;   in Loop: Header=BB399_2079 Depth=1
	v_cmp_ne_u32_sdwa s4, v20, v114 src0_sel:BYTE_3 src1_sel:DWORD
	v_bfrev_b32_e32 v26, 1
	s_and_saveexec_b32 s15, s4
	s_cbranch_execz .LBB399_2340
; %bb.2335:                             ;   in Loop: Header=BB399_2079 Depth=1
	v_bfe_u32 v23, v20, 24, 7
	v_mov_b32_e32 v26, 0x7f800001
	s_mov_b32 s18, exec_lo
	v_cmpx_ne_u32_e32 0x7f, v23
	s_cbranch_execz .LBB399_2339
; %bb.2336:                             ;   in Loop: Header=BB399_2079 Depth=1
	v_and_b32_sdwa v12, v20, v115 dst_sel:DWORD dst_unused:UNUSED_PAD src0_sel:BYTE_3 src1_sel:DWORD
	v_lshrrev_b32_e32 v19, 3, v23
	v_cmp_gt_u32_e64 s4, 8, v23
	v_mov_b32_e32 v24, v13
	v_mov_b32_e32 v23, v12
	s_and_saveexec_b32 s20, s4
; %bb.2337:                             ;   in Loop: Header=BB399_2079 Depth=1
	v_ffbh_u32_e32 v19, v12
	v_min_u32_e32 v19, 32, v19
	v_subrev_nc_u32_e32 v23, 28, v19
	v_sub_nc_u32_e32 v19, 29, v19
	v_lshlrev_b64 v[23:24], v23, v[12:13]
	v_and_b32_e32 v23, 7, v23
; %bb.2338:                             ;   in Loop: Header=BB399_2079 Depth=1
	s_or_b32 exec_lo, exec_lo, s20
	v_lshlrev_b32_sdwa v12, v39, v20 dst_sel:DWORD dst_unused:UNUSED_PAD src0_sel:DWORD src1_sel:BYTE_3
	v_lshlrev_b32_e32 v20, 20, v23
	v_lshl_add_u32 v19, v19, 23, 0x3c000000
	v_and_b32_e32 v12, 0x80000000, v12
	v_or3_b32 v26, v20, v12, v19
.LBB399_2339:                           ;   in Loop: Header=BB399_2079 Depth=1
	s_or_b32 exec_lo, exec_lo, s18
.LBB399_2340:                           ;   in Loop: Header=BB399_2079 Depth=1
	s_or_b32 exec_lo, exec_lo, s15
.LBB399_2341:                           ;   in Loop: Header=BB399_2079 Depth=1
	s_or_b32 exec_lo, exec_lo, s13
	v_mul_f32_e32 v12, v27, v25
	v_mul_f32_e32 v19, v27, v22
	v_mul_f32_e32 v20, v27, v21
	v_mul_f32_e32 v16, v27, v16
	v_mul_f32_e32 v11, v27, v11
	v_bfe_u32 v21, v12, 16, 1
	v_or_b32_e32 v22, 0x400000, v12
	v_bfe_u32 v23, v19, 16, 1
	v_cmp_u_f32_e64 s4, v12, v12
	v_or_b32_e32 v24, 0x400000, v19
	v_add3_u32 v21, v21, v12, 0x7fff
	v_bfe_u32 v25, v20, 16, 1
	v_add3_u32 v23, v23, v19, 0x7fff
	v_or_b32_e32 v29, 0x400000, v20
	v_bfe_u32 v30, v16, 16, 1
	v_cndmask_b32_e64 v12, v21, v22, s4
	v_cmp_u_f32_e64 s4, v19, v19
	v_add3_u32 v25, v25, v20, 0x7fff
	v_or_b32_e32 v21, 0x400000, v16
	v_mul_f32_e32 v10, v27, v10
	v_lshrrev_b32_e32 v12, 16, v12
	v_cndmask_b32_e64 v19, v23, v24, s4
	v_cmp_u_f32_e64 s4, v20, v20
	v_bfe_u32 v22, v10, 16, 1
	buffer_store_dword v12, off, s[0:3], s32 offset:300 ; 4-byte Folded Spill
	v_lshrrev_b32_e32 v19, 16, v19
	v_cndmask_b32_e64 v20, v25, v29, s4
	v_add3_u32 v12, v30, v16, 0x7fff
	v_cmp_u_f32_e64 s4, v16, v16
	v_mul_f32_e32 v16, v27, v28
	buffer_store_dword v19, off, s[0:3], s32 offset:292 ; 4-byte Folded Spill
	v_lshrrev_b32_e32 v19, 16, v20
	v_or_b32_e32 v20, 0x400000, v11
	v_cndmask_b32_e64 v12, v12, v21, s4
	v_cmp_u_f32_e64 s4, v11, v11
	v_mul_f32_e32 v21, v27, v26
	buffer_store_dword v19, off, s[0:3], s32 offset:304 ; 4-byte Folded Spill
	v_bfe_u32 v19, v11, 16, 1
	v_bfe_u32 v23, v16, 16, 1
	v_or_b32_e32 v24, 0x400000, v16
	v_or_b32_e32 v25, 0x400000, v21
	v_lshrrev_b32_e32 v12, 16, v12
	v_add3_u32 v19, v19, v11, 0x7fff
	v_add3_u32 v23, v23, v16, 0x7fff
	buffer_store_dword v12, off, s[0:3], s32 offset:308 ; 4-byte Folded Spill
	v_cndmask_b32_e64 v11, v19, v20, s4
	v_add3_u32 v20, v22, v10, 0x7fff
	v_or_b32_e32 v22, 0x400000, v10
	v_cmp_u_f32_e64 s4, v10, v10
	v_bfe_u32 v19, v21, 16, 1
	v_lshrrev_b32_e32 v11, 16, v11
	v_cndmask_b32_e64 v10, v20, v22, s4
	v_cmp_u_f32_e64 s4, v16, v16
	v_add3_u32 v19, v19, v21, 0x7fff
	buffer_store_dword v11, off, s[0:3], s32 offset:316 ; 4-byte Folded Spill
	v_lshrrev_b32_e32 v10, 16, v10
	v_cndmask_b32_e64 v16, v23, v24, s4
	v_cmp_u_f32_e64 s4, v21, v21
	buffer_store_dword v10, off, s[0:3], s32 offset:312 ; 4-byte Folded Spill
	v_lshrrev_b32_e32 v10, 16, v16
	v_cndmask_b32_e64 v19, v19, v25, s4
	buffer_store_dword v10, off, s[0:3], s32 offset:288 ; 4-byte Folded Spill
	v_lshrrev_b32_e32 v10, 16, v19
	buffer_store_dword v10, off, s[0:3], s32 offset:296 ; 4-byte Folded Spill
	s_and_saveexec_b32 s13, vcc_lo
	s_cbranch_execz .LBB399_2343
; %bb.2342:                             ;   in Loop: Header=BB399_2079 Depth=1
	buffer_load_dword v10, off, s[0:3], s32 offset:312 ; 4-byte Folded Reload
	v_cmp_lt_i32_e64 s4, v125, v124
	s_waitcnt vmcnt(0)
	v_cndmask_b32_e64 v10, 0, v10, s4
	v_cmp_lt_i32_e64 s4, v113, v124
	buffer_store_dword v10, off, s[0:3], s32 offset:312 ; 4-byte Folded Spill
	buffer_load_dword v10, off, s[0:3], s32 offset:316 ; 4-byte Folded Reload
	s_waitcnt vmcnt(0)
	v_cndmask_b32_e64 v10, 0, v10, s4
	v_cmp_lt_i32_e64 s4, v38, v124
	buffer_store_dword v10, off, s[0:3], s32 offset:316 ; 4-byte Folded Spill
	buffer_load_dword v10, off, s[0:3], s32 offset:308 ; 4-byte Folded Reload
	s_waitcnt vmcnt(0)
	v_cndmask_b32_e64 v10, 0, v10, s4
	v_cmp_lt_i32_e64 s4, v4, v124
	buffer_store_dword v10, off, s[0:3], s32 offset:308 ; 4-byte Folded Spill
	buffer_load_dword v10, off, s[0:3], s32 offset:304 ; 4-byte Folded Reload
	s_waitcnt vmcnt(0)
	v_cndmask_b32_e64 v10, 0, v10, s4
	v_cmp_lt_i32_e64 s4, v5, v124
	buffer_store_dword v10, off, s[0:3], s32 offset:304 ; 4-byte Folded Spill
	buffer_load_dword v10, off, s[0:3], s32 offset:292 ; 4-byte Folded Reload
	s_waitcnt vmcnt(0)
	v_cndmask_b32_e64 v10, 0, v10, s4
	v_cmp_lt_i32_e64 s4, v37, v124
	buffer_store_dword v10, off, s[0:3], s32 offset:292 ; 4-byte Folded Spill
	buffer_load_dword v10, off, s[0:3], s32 offset:300 ; 4-byte Folded Reload
	s_waitcnt vmcnt(0)
	v_cndmask_b32_e64 v10, 0, v10, s4
	v_cmp_lt_i32_e64 s4, v127, v124
	buffer_store_dword v10, off, s[0:3], s32 offset:300 ; 4-byte Folded Spill
	buffer_load_dword v10, off, s[0:3], s32 offset:288 ; 4-byte Folded Reload
	s_waitcnt vmcnt(0)
	v_cndmask_b32_e64 v10, 0, v10, s4
	v_cmp_lt_i32_e64 s4, v42, v124
	buffer_store_dword v10, off, s[0:3], s32 offset:288 ; 4-byte Folded Spill
	buffer_load_dword v10, off, s[0:3], s32 offset:296 ; 4-byte Folded Reload
	s_waitcnt vmcnt(0)
	v_cndmask_b32_e64 v10, 0, v10, s4
	buffer_store_dword v10, off, s[0:3], s32 offset:296 ; 4-byte Folded Spill
.LBB399_2343:                           ;   in Loop: Header=BB399_2079 Depth=1
	s_or_b32 exec_lo, exec_lo, s13
	flat_load_dwordx2 v[19:20], v[17:18] offset:1024
	v_mov_b32_e32 v11, 0
	v_mov_b32_e32 v10, 0
	s_waitcnt vmcnt(0) lgkmcnt(0)
	v_cmp_ne_u16_sdwa s4, v19, v13 src0_sel:BYTE_0 src1_sel:DWORD
	s_and_saveexec_b32 s13, s4
	s_cbranch_execz .LBB399_2351
; %bb.2344:                             ;   in Loop: Header=BB399_2079 Depth=1
	v_cmp_ne_u16_sdwa s4, v19, v114 src0_sel:BYTE_0 src1_sel:DWORD
	v_bfrev_b32_e32 v10, 1
	s_and_saveexec_b32 s15, s4
	s_cbranch_execz .LBB399_2350
; %bb.2345:                             ;   in Loop: Header=BB399_2079 Depth=1
	v_and_b32_e32 v12, 0x7f, v19
	v_mov_b32_e32 v10, 0x7f800001
	s_mov_b32 s18, exec_lo
	v_cmpx_ne_u32_e32 0x7f, v12
	s_cbranch_execz .LBB399_2349
; %bb.2346:                             ;   in Loop: Header=BB399_2079 Depth=1
	v_mov_b32_e32 v24, v20
	v_lshrrev_b32_e32 v10, 3, v12
	v_mov_b32_e32 v23, v19
	s_mov_b32 s20, exec_lo
	v_cmpx_gt_u32_e32 8, v12
; %bb.2347:                             ;   in Loop: Header=BB399_2079 Depth=1
	v_and_b32_e32 v10, 7, v19
	v_ffbh_u32_e32 v10, v10
	v_min_u32_e32 v10, 32, v10
	v_subrev_nc_u32_e32 v12, 28, v10
	v_sub_nc_u32_e32 v10, 29, v10
	v_lshlrev_b64 v[23:24], v12, v[19:20]
; %bb.2348:                             ;   in Loop: Header=BB399_2079 Depth=1
	s_or_b32 exec_lo, exec_lo, s20
	v_lshlrev_b32_e32 v12, 20, v23
	v_lshlrev_b32_e32 v16, 24, v19
	v_lshl_add_u32 v10, v10, 23, 0x3c000000
	v_and_b32_e32 v12, 0x700000, v12
	v_and_b32_e32 v16, 0x80000000, v16
	v_or3_b32 v10, v12, v16, v10
.LBB399_2349:                           ;   in Loop: Header=BB399_2079 Depth=1
	s_or_b32 exec_lo, exec_lo, s18
.LBB399_2350:                           ;   in Loop: Header=BB399_2079 Depth=1
	s_or_b32 exec_lo, exec_lo, s15
.LBB399_2351:                           ;   in Loop: Header=BB399_2079 Depth=1
	s_or_b32 exec_lo, exec_lo, s13
	v_cmp_ne_u16_sdwa s4, v19, v13 src0_sel:BYTE_1 src1_sel:DWORD
	s_and_saveexec_b32 s13, s4
	s_cbranch_execz .LBB399_2359
; %bb.2352:                             ;   in Loop: Header=BB399_2079 Depth=1
	v_cmp_ne_u16_sdwa s4, v19, v114 src0_sel:BYTE_1 src1_sel:DWORD
	v_bfrev_b32_e32 v11, 1
	s_and_saveexec_b32 s15, s4
	s_cbranch_execz .LBB399_2358
; %bb.2353:                             ;   in Loop: Header=BB399_2079 Depth=1
	v_and_b32_sdwa v12, v112, v19 dst_sel:DWORD dst_unused:UNUSED_PAD src0_sel:DWORD src1_sel:BYTE_1
	v_mov_b32_e32 v11, 0x7f800001
	s_mov_b32 s18, exec_lo
	v_and_b32_e32 v16, 0x7f, v12
	v_cmpx_ne_u32_e32 0x7f, v16
	s_cbranch_execz .LBB399_2357
; %bb.2354:                             ;   in Loop: Header=BB399_2079 Depth=1
	v_and_b32_e32 v12, 7, v12
	v_mov_b32_e32 v24, v13
	v_lshrrev_b32_e32 v11, 3, v16
	s_mov_b32 s20, exec_lo
	v_mov_b32_e32 v23, v12
	v_cmpx_gt_u32_e32 8, v16
; %bb.2355:                             ;   in Loop: Header=BB399_2079 Depth=1
	v_ffbh_u32_e32 v11, v12
	v_min_u32_e32 v11, 32, v11
	v_subrev_nc_u32_e32 v16, 28, v11
	v_sub_nc_u32_e32 v11, 29, v11
	v_lshlrev_b64 v[21:22], v16, v[12:13]
	v_and_b32_e32 v23, 7, v21
; %bb.2356:                             ;   in Loop: Header=BB399_2079 Depth=1
	s_or_b32 exec_lo, exec_lo, s20
	v_lshlrev_b32_e32 v12, 16, v19
	v_lshlrev_b32_e32 v16, 20, v23
	v_lshl_add_u32 v11, v11, 23, 0x3c000000
	v_and_b32_e32 v12, 0x80000000, v12
	v_or3_b32 v11, v16, v12, v11
.LBB399_2357:                           ;   in Loop: Header=BB399_2079 Depth=1
	s_or_b32 exec_lo, exec_lo, s18
.LBB399_2358:                           ;   in Loop: Header=BB399_2079 Depth=1
	s_or_b32 exec_lo, exec_lo, s15
.LBB399_2359:                           ;   in Loop: Header=BB399_2079 Depth=1
	s_or_b32 exec_lo, exec_lo, s13
	v_and_b32_sdwa v12, v19, v116 dst_sel:DWORD dst_unused:UNUSED_PAD src0_sel:WORD_1 src1_sel:DWORD
	v_mov_b32_e32 v21, 0
	v_mov_b32_e32 v16, 0
	s_mov_b32 s13, exec_lo
	v_cmpx_ne_u16_e32 0, v12
	s_cbranch_execz .LBB399_2367
; %bb.2360:                             ;   in Loop: Header=BB399_2079 Depth=1
	v_bfrev_b32_e32 v16, 1
	s_mov_b32 s15, exec_lo
	v_cmpx_ne_u16_e32 0x80, v12
	s_cbranch_execz .LBB399_2366
; %bb.2361:                             ;   in Loop: Header=BB399_2079 Depth=1
	v_bfe_u32 v22, v19, 16, 7
	v_mov_b32_e32 v16, 0x7f800001
	s_mov_b32 s18, exec_lo
	v_cmpx_ne_u32_e32 0x7f, v22
	s_cbranch_execz .LBB399_2365
; %bb.2362:                             ;   in Loop: Header=BB399_2079 Depth=1
	v_and_b32_sdwa v12, v19, v115 dst_sel:DWORD dst_unused:UNUSED_PAD src0_sel:WORD_1 src1_sel:DWORD
	v_mov_b32_e32 v24, v13
	v_lshrrev_b32_e32 v16, 3, v22
	s_mov_b32 s20, exec_lo
	v_mov_b32_e32 v23, v12
	v_cmpx_gt_u32_e32 8, v22
; %bb.2363:                             ;   in Loop: Header=BB399_2079 Depth=1
	v_ffbh_u32_e32 v16, v12
	v_min_u32_e32 v16, 32, v16
	v_subrev_nc_u32_e32 v22, 28, v16
	v_sub_nc_u32_e32 v16, 29, v16
	v_lshlrev_b64 v[22:23], v22, v[12:13]
	v_and_b32_e32 v23, 7, v22
; %bb.2364:                             ;   in Loop: Header=BB399_2079 Depth=1
	s_or_b32 exec_lo, exec_lo, s20
	v_lshlrev_b32_sdwa v12, v39, v19 dst_sel:DWORD dst_unused:UNUSED_PAD src0_sel:DWORD src1_sel:WORD_1
	v_lshlrev_b32_e32 v22, 20, v23
	v_lshl_add_u32 v16, v16, 23, 0x3c000000
	v_and_b32_e32 v12, 0x80000000, v12
	v_or3_b32 v16, v22, v12, v16
.LBB399_2365:                           ;   in Loop: Header=BB399_2079 Depth=1
	s_or_b32 exec_lo, exec_lo, s18
.LBB399_2366:                           ;   in Loop: Header=BB399_2079 Depth=1
	s_or_b32 exec_lo, exec_lo, s15
.LBB399_2367:                           ;   in Loop: Header=BB399_2079 Depth=1
	s_or_b32 exec_lo, exec_lo, s13
	s_mov_b32 s13, exec_lo
	v_cmpx_lt_u32_e32 0xffffff, v19
	s_cbranch_execz .LBB399_2375
; %bb.2368:                             ;   in Loop: Header=BB399_2079 Depth=1
	v_cmp_ne_u32_sdwa s4, v19, v114 src0_sel:BYTE_3 src1_sel:DWORD
	v_bfrev_b32_e32 v21, 1
	s_and_saveexec_b32 s15, s4
	s_cbranch_execz .LBB399_2374
; %bb.2369:                             ;   in Loop: Header=BB399_2079 Depth=1
	v_bfe_u32 v22, v19, 24, 7
	v_mov_b32_e32 v21, 0x7f800001
	s_mov_b32 s18, exec_lo
	v_cmpx_ne_u32_e32 0x7f, v22
	s_cbranch_execz .LBB399_2373
; %bb.2370:                             ;   in Loop: Header=BB399_2079 Depth=1
	v_and_b32_sdwa v12, v19, v115 dst_sel:DWORD dst_unused:UNUSED_PAD src0_sel:BYTE_3 src1_sel:DWORD
	v_mov_b32_e32 v24, v13
	v_lshrrev_b32_e32 v21, 3, v22
	s_mov_b32 s20, exec_lo
	v_mov_b32_e32 v23, v12
	v_cmpx_gt_u32_e32 8, v22
; %bb.2371:                             ;   in Loop: Header=BB399_2079 Depth=1
	v_ffbh_u32_e32 v21, v12
	v_min_u32_e32 v21, 32, v21
	v_subrev_nc_u32_e32 v22, 28, v21
	v_sub_nc_u32_e32 v21, 29, v21
	v_lshlrev_b64 v[22:23], v22, v[12:13]
	v_and_b32_e32 v23, 7, v22
; %bb.2372:                             ;   in Loop: Header=BB399_2079 Depth=1
	s_or_b32 exec_lo, exec_lo, s20
	v_lshlrev_b32_sdwa v12, v39, v19 dst_sel:DWORD dst_unused:UNUSED_PAD src0_sel:DWORD src1_sel:BYTE_3
	v_lshlrev_b32_e32 v22, 20, v23
	v_lshl_add_u32 v21, v21, 23, 0x3c000000
	v_and_b32_e32 v12, 0x80000000, v12
	v_or3_b32 v21, v22, v12, v21
.LBB399_2373:                           ;   in Loop: Header=BB399_2079 Depth=1
	s_or_b32 exec_lo, exec_lo, s18
.LBB399_2374:                           ;   in Loop: Header=BB399_2079 Depth=1
	s_or_b32 exec_lo, exec_lo, s15
.LBB399_2375:                           ;   in Loop: Header=BB399_2079 Depth=1
	s_or_b32 exec_lo, exec_lo, s13
	v_mov_b32_e32 v12, v20
	v_cmp_ne_u16_sdwa s4, v20, v13 src0_sel:BYTE_0 src1_sel:DWORD
	v_mov_b32_e32 v25, 0
	v_mov_b32_e32 v22, 0
	s_and_saveexec_b32 s13, s4
	s_cbranch_execz .LBB399_2383
; %bb.2376:                             ;   in Loop: Header=BB399_2079 Depth=1
	v_cmp_ne_u16_sdwa s4, v20, v114 src0_sel:BYTE_0 src1_sel:DWORD
	v_bfrev_b32_e32 v22, 1
	s_and_saveexec_b32 s15, s4
	s_cbranch_execz .LBB399_2382
; %bb.2377:                             ;   in Loop: Header=BB399_2079 Depth=1
	v_and_b32_e32 v23, 0x7f, v20
	v_mov_b32_e32 v22, 0x7f800001
	s_mov_b32 s18, exec_lo
	v_cmpx_ne_u32_e32 0x7f, v23
	s_cbranch_execz .LBB399_2381
; %bb.2378:                             ;   in Loop: Header=BB399_2079 Depth=1
	v_lshrrev_b32_e32 v22, 3, v23
	v_cmp_gt_u32_e64 s4, 8, v23
	v_mov_b32_e32 v24, v13
	v_mov_b32_e32 v23, v12
	s_and_saveexec_b32 s20, s4
; %bb.2379:                             ;   in Loop: Header=BB399_2079 Depth=1
	v_and_b32_e32 v22, 7, v20
	v_ffbh_u32_e32 v22, v22
	v_min_u32_e32 v22, 32, v22
	v_subrev_nc_u32_e32 v23, 28, v22
	v_sub_nc_u32_e32 v22, 29, v22
	v_lshlrev_b64 v[23:24], v23, v[12:13]
; %bb.2380:                             ;   in Loop: Header=BB399_2079 Depth=1
	s_or_b32 exec_lo, exec_lo, s20
	v_lshlrev_b32_e32 v23, 20, v23
	v_lshlrev_b32_e32 v24, 24, v12
	v_lshl_add_u32 v22, v22, 23, 0x3c000000
	v_and_b32_e32 v23, 0x700000, v23
	v_and_b32_e32 v24, 0x80000000, v24
	v_or3_b32 v22, v23, v24, v22
.LBB399_2381:                           ;   in Loop: Header=BB399_2079 Depth=1
	s_or_b32 exec_lo, exec_lo, s18
.LBB399_2382:                           ;   in Loop: Header=BB399_2079 Depth=1
	s_or_b32 exec_lo, exec_lo, s15
.LBB399_2383:                           ;   in Loop: Header=BB399_2079 Depth=1
	s_or_b32 exec_lo, exec_lo, s13
	v_cmp_ne_u16_sdwa s4, v12, v13 src0_sel:BYTE_1 src1_sel:DWORD
	s_and_saveexec_b32 s13, s4
	s_cbranch_execz .LBB399_2391
; %bb.2384:                             ;   in Loop: Header=BB399_2079 Depth=1
	v_cmp_ne_u16_sdwa s4, v12, v114 src0_sel:BYTE_1 src1_sel:DWORD
	v_bfrev_b32_e32 v25, 1
	s_and_saveexec_b32 s15, s4
	s_cbranch_execz .LBB399_2390
; %bb.2385:                             ;   in Loop: Header=BB399_2079 Depth=1
	v_and_b32_sdwa v23, v112, v12 dst_sel:DWORD dst_unused:UNUSED_PAD src0_sel:DWORD src1_sel:BYTE_1
	v_mov_b32_e32 v25, 0x7f800001
	s_mov_b32 s18, exec_lo
	v_and_b32_e32 v26, 0x7f, v23
	v_cmpx_ne_u32_e32 0x7f, v26
	s_cbranch_execz .LBB399_2389
; %bb.2386:                             ;   in Loop: Header=BB399_2079 Depth=1
	v_and_b32_e32 v23, 7, v23
	v_mov_b32_e32 v24, v13
	v_lshrrev_b32_e32 v25, 3, v26
	s_mov_b32 s20, exec_lo
	v_cmpx_gt_u32_e32 8, v26
; %bb.2387:                             ;   in Loop: Header=BB399_2079 Depth=1
	v_ffbh_u32_e32 v25, v23
	v_min_u32_e32 v25, 32, v25
	v_subrev_nc_u32_e32 v26, 28, v25
	v_sub_nc_u32_e32 v25, 29, v25
	v_lshlrev_b64 v[23:24], v26, v[23:24]
	v_and_b32_e32 v23, 7, v23
; %bb.2388:                             ;   in Loop: Header=BB399_2079 Depth=1
	s_or_b32 exec_lo, exec_lo, s20
	v_lshlrev_b32_e32 v12, 16, v12
	v_lshlrev_b32_e32 v23, 20, v23
	v_lshl_add_u32 v24, v25, 23, 0x3c000000
	v_and_b32_e32 v12, 0x80000000, v12
	v_or3_b32 v25, v23, v12, v24
.LBB399_2389:                           ;   in Loop: Header=BB399_2079 Depth=1
	s_or_b32 exec_lo, exec_lo, s18
.LBB399_2390:                           ;   in Loop: Header=BB399_2079 Depth=1
	s_or_b32 exec_lo, exec_lo, s15
.LBB399_2391:                           ;   in Loop: Header=BB399_2079 Depth=1
	s_or_b32 exec_lo, exec_lo, s13
	v_and_b32_sdwa v12, v20, v116 dst_sel:DWORD dst_unused:UNUSED_PAD src0_sel:WORD_1 src1_sel:DWORD
	v_mov_b32_e32 v26, 0
	v_mov_b32_e32 v28, 0
	s_mov_b32 s13, exec_lo
	v_cmpx_ne_u16_e32 0, v12
	s_cbranch_execz .LBB399_2399
; %bb.2392:                             ;   in Loop: Header=BB399_2079 Depth=1
	v_bfrev_b32_e32 v28, 1
	s_mov_b32 s15, exec_lo
	v_cmpx_ne_u16_e32 0x80, v12
	s_cbranch_execz .LBB399_2398
; %bb.2393:                             ;   in Loop: Header=BB399_2079 Depth=1
	v_bfe_u32 v23, v20, 16, 7
	v_mov_b32_e32 v28, 0x7f800001
	s_mov_b32 s18, exec_lo
	v_cmpx_ne_u32_e32 0x7f, v23
	s_cbranch_execz .LBB399_2397
; %bb.2394:                             ;   in Loop: Header=BB399_2079 Depth=1
	v_and_b32_sdwa v12, v20, v115 dst_sel:DWORD dst_unused:UNUSED_PAD src0_sel:WORD_1 src1_sel:DWORD
	v_lshrrev_b32_e32 v28, 3, v23
	v_cmp_gt_u32_e64 s4, 8, v23
	v_mov_b32_e32 v24, v13
	v_mov_b32_e32 v23, v12
	s_and_saveexec_b32 s20, s4
; %bb.2395:                             ;   in Loop: Header=BB399_2079 Depth=1
	v_ffbh_u32_e32 v23, v12
	v_min_u32_e32 v28, 32, v23
	v_subrev_nc_u32_e32 v23, 28, v28
	v_sub_nc_u32_e32 v28, 29, v28
	v_lshlrev_b64 v[23:24], v23, v[12:13]
	v_and_b32_e32 v23, 7, v23
; %bb.2396:                             ;   in Loop: Header=BB399_2079 Depth=1
	s_or_b32 exec_lo, exec_lo, s20
	v_lshlrev_b32_sdwa v12, v39, v20 dst_sel:DWORD dst_unused:UNUSED_PAD src0_sel:DWORD src1_sel:WORD_1
	v_lshlrev_b32_e32 v23, 20, v23
	v_lshl_add_u32 v24, v28, 23, 0x3c000000
	v_and_b32_e32 v12, 0x80000000, v12
	v_or3_b32 v28, v23, v12, v24
.LBB399_2397:                           ;   in Loop: Header=BB399_2079 Depth=1
	s_or_b32 exec_lo, exec_lo, s18
.LBB399_2398:                           ;   in Loop: Header=BB399_2079 Depth=1
	s_or_b32 exec_lo, exec_lo, s15
.LBB399_2399:                           ;   in Loop: Header=BB399_2079 Depth=1
	s_or_b32 exec_lo, exec_lo, s13
	s_mov_b32 s13, exec_lo
	v_cmpx_lt_u64_e64 s[8:9], v[19:20]
	s_cbranch_execz .LBB399_2407
; %bb.2400:                             ;   in Loop: Header=BB399_2079 Depth=1
	v_cmp_ne_u32_sdwa s4, v20, v114 src0_sel:BYTE_3 src1_sel:DWORD
	v_bfrev_b32_e32 v26, 1
	s_and_saveexec_b32 s15, s4
	s_cbranch_execz .LBB399_2406
; %bb.2401:                             ;   in Loop: Header=BB399_2079 Depth=1
	v_bfe_u32 v23, v20, 24, 7
	v_mov_b32_e32 v26, 0x7f800001
	s_mov_b32 s18, exec_lo
	v_cmpx_ne_u32_e32 0x7f, v23
	s_cbranch_execz .LBB399_2405
; %bb.2402:                             ;   in Loop: Header=BB399_2079 Depth=1
	v_and_b32_sdwa v12, v20, v115 dst_sel:DWORD dst_unused:UNUSED_PAD src0_sel:BYTE_3 src1_sel:DWORD
	v_lshrrev_b32_e32 v19, 3, v23
	v_cmp_gt_u32_e64 s4, 8, v23
	v_mov_b32_e32 v24, v13
	v_mov_b32_e32 v23, v12
	s_and_saveexec_b32 s20, s4
; %bb.2403:                             ;   in Loop: Header=BB399_2079 Depth=1
	v_ffbh_u32_e32 v19, v12
	v_min_u32_e32 v19, 32, v19
	v_subrev_nc_u32_e32 v23, 28, v19
	v_sub_nc_u32_e32 v19, 29, v19
	v_lshlrev_b64 v[23:24], v23, v[12:13]
	v_and_b32_e32 v23, 7, v23
; %bb.2404:                             ;   in Loop: Header=BB399_2079 Depth=1
	s_or_b32 exec_lo, exec_lo, s20
	v_lshlrev_b32_sdwa v12, v39, v20 dst_sel:DWORD dst_unused:UNUSED_PAD src0_sel:DWORD src1_sel:BYTE_3
	v_lshlrev_b32_e32 v20, 20, v23
	v_lshl_add_u32 v19, v19, 23, 0x3c000000
	v_and_b32_e32 v12, 0x80000000, v12
	v_or3_b32 v26, v20, v12, v19
.LBB399_2405:                           ;   in Loop: Header=BB399_2079 Depth=1
	s_or_b32 exec_lo, exec_lo, s18
.LBB399_2406:                           ;   in Loop: Header=BB399_2079 Depth=1
	s_or_b32 exec_lo, exec_lo, s15
.LBB399_2407:                           ;   in Loop: Header=BB399_2079 Depth=1
	s_or_b32 exec_lo, exec_lo, s13
	v_mul_f32_e32 v12, v27, v25
	v_mul_f32_e32 v19, v27, v22
	;; [unrolled: 1-line block ×5, first 2 shown]
	v_bfe_u32 v21, v12, 16, 1
	v_or_b32_e32 v22, 0x400000, v12
	v_bfe_u32 v23, v19, 16, 1
	v_cmp_u_f32_e64 s4, v12, v12
	v_or_b32_e32 v24, 0x400000, v19
	v_add3_u32 v21, v21, v12, 0x7fff
	v_bfe_u32 v25, v20, 16, 1
	v_add3_u32 v23, v23, v19, 0x7fff
	v_or_b32_e32 v29, 0x400000, v20
	v_bfe_u32 v30, v16, 16, 1
	v_cndmask_b32_e64 v12, v21, v22, s4
	v_cmp_u_f32_e64 s4, v19, v19
	v_add3_u32 v25, v25, v20, 0x7fff
	v_or_b32_e32 v21, 0x400000, v16
	v_mul_f32_e32 v10, v27, v10
	v_lshrrev_b32_e32 v12, 16, v12
	v_cndmask_b32_e64 v19, v23, v24, s4
	v_cmp_u_f32_e64 s4, v20, v20
	v_bfe_u32 v22, v10, 16, 1
	buffer_store_dword v12, off, s[0:3], s32 offset:332 ; 4-byte Folded Spill
	v_lshrrev_b32_e32 v19, 16, v19
	v_cndmask_b32_e64 v20, v25, v29, s4
	v_add3_u32 v12, v30, v16, 0x7fff
	v_cmp_u_f32_e64 s4, v16, v16
	v_mul_f32_e32 v16, v27, v28
	buffer_store_dword v19, off, s[0:3], s32 offset:324 ; 4-byte Folded Spill
	v_lshrrev_b32_e32 v19, 16, v20
	v_or_b32_e32 v20, 0x400000, v11
	v_cndmask_b32_e64 v12, v12, v21, s4
	v_cmp_u_f32_e64 s4, v11, v11
	v_mul_f32_e32 v21, v27, v26
	buffer_store_dword v19, off, s[0:3], s32 offset:336 ; 4-byte Folded Spill
	v_bfe_u32 v19, v11, 16, 1
	v_bfe_u32 v23, v16, 16, 1
	v_or_b32_e32 v24, 0x400000, v16
	v_or_b32_e32 v25, 0x400000, v21
	v_lshrrev_b32_e32 v12, 16, v12
	v_add3_u32 v19, v19, v11, 0x7fff
	v_add3_u32 v23, v23, v16, 0x7fff
	buffer_store_dword v12, off, s[0:3], s32 offset:340 ; 4-byte Folded Spill
	v_cndmask_b32_e64 v11, v19, v20, s4
	v_add3_u32 v20, v22, v10, 0x7fff
	v_or_b32_e32 v22, 0x400000, v10
	v_cmp_u_f32_e64 s4, v10, v10
	v_bfe_u32 v19, v21, 16, 1
	v_lshrrev_b32_e32 v11, 16, v11
	v_cndmask_b32_e64 v10, v20, v22, s4
	v_cmp_u_f32_e64 s4, v16, v16
	v_add3_u32 v19, v19, v21, 0x7fff
	buffer_store_dword v11, off, s[0:3], s32 offset:348 ; 4-byte Folded Spill
	v_lshrrev_b32_e32 v10, 16, v10
	v_cndmask_b32_e64 v16, v23, v24, s4
	v_cmp_u_f32_e64 s4, v21, v21
	buffer_store_dword v10, off, s[0:3], s32 offset:344 ; 4-byte Folded Spill
	v_lshrrev_b32_e32 v10, 16, v16
	v_cndmask_b32_e64 v19, v19, v25, s4
	buffer_store_dword v10, off, s[0:3], s32 offset:320 ; 4-byte Folded Spill
	v_lshrrev_b32_e32 v10, 16, v19
	buffer_store_dword v10, off, s[0:3], s32 offset:328 ; 4-byte Folded Spill
	s_and_saveexec_b32 s13, vcc_lo
	s_cbranch_execz .LBB399_2409
; %bb.2408:                             ;   in Loop: Header=BB399_2079 Depth=1
	buffer_load_dword v10, off, s[0:3], s32 offset:344 ; 4-byte Folded Reload
	v_cmp_lt_i32_e64 s4, v125, v124
	s_waitcnt vmcnt(0)
	v_cndmask_b32_e64 v10, 0, v10, s4
	v_cmp_lt_i32_e64 s4, v113, v124
	buffer_store_dword v10, off, s[0:3], s32 offset:344 ; 4-byte Folded Spill
	buffer_load_dword v10, off, s[0:3], s32 offset:348 ; 4-byte Folded Reload
	s_waitcnt vmcnt(0)
	v_cndmask_b32_e64 v10, 0, v10, s4
	v_cmp_lt_i32_e64 s4, v38, v124
	buffer_store_dword v10, off, s[0:3], s32 offset:348 ; 4-byte Folded Spill
	buffer_load_dword v10, off, s[0:3], s32 offset:340 ; 4-byte Folded Reload
	;; [unrolled: 5-line block ×7, first 2 shown]
	s_waitcnt vmcnt(0)
	v_cndmask_b32_e64 v10, 0, v10, s4
	buffer_store_dword v10, off, s[0:3], s32 offset:328 ; 4-byte Folded Spill
.LBB399_2409:                           ;   in Loop: Header=BB399_2079 Depth=1
	s_or_b32 exec_lo, exec_lo, s13
	flat_load_dwordx2 v[19:20], v[17:18] offset:1280
	v_mov_b32_e32 v11, 0
	v_mov_b32_e32 v10, 0
	s_waitcnt vmcnt(0) lgkmcnt(0)
	v_cmp_ne_u16_sdwa s4, v19, v13 src0_sel:BYTE_0 src1_sel:DWORD
	s_and_saveexec_b32 s13, s4
	s_cbranch_execz .LBB399_2417
; %bb.2410:                             ;   in Loop: Header=BB399_2079 Depth=1
	v_cmp_ne_u16_sdwa s4, v19, v114 src0_sel:BYTE_0 src1_sel:DWORD
	v_bfrev_b32_e32 v10, 1
	s_and_saveexec_b32 s15, s4
	s_cbranch_execz .LBB399_2416
; %bb.2411:                             ;   in Loop: Header=BB399_2079 Depth=1
	v_and_b32_e32 v12, 0x7f, v19
	v_mov_b32_e32 v10, 0x7f800001
	s_mov_b32 s18, exec_lo
	v_cmpx_ne_u32_e32 0x7f, v12
	s_cbranch_execz .LBB399_2415
; %bb.2412:                             ;   in Loop: Header=BB399_2079 Depth=1
	v_mov_b32_e32 v24, v20
	v_lshrrev_b32_e32 v10, 3, v12
	v_mov_b32_e32 v23, v19
	s_mov_b32 s20, exec_lo
	v_cmpx_gt_u32_e32 8, v12
; %bb.2413:                             ;   in Loop: Header=BB399_2079 Depth=1
	v_and_b32_e32 v10, 7, v19
	v_ffbh_u32_e32 v10, v10
	v_min_u32_e32 v10, 32, v10
	v_subrev_nc_u32_e32 v12, 28, v10
	v_sub_nc_u32_e32 v10, 29, v10
	v_lshlrev_b64 v[23:24], v12, v[19:20]
; %bb.2414:                             ;   in Loop: Header=BB399_2079 Depth=1
	s_or_b32 exec_lo, exec_lo, s20
	v_lshlrev_b32_e32 v12, 20, v23
	v_lshlrev_b32_e32 v16, 24, v19
	v_lshl_add_u32 v10, v10, 23, 0x3c000000
	v_and_b32_e32 v12, 0x700000, v12
	v_and_b32_e32 v16, 0x80000000, v16
	v_or3_b32 v10, v12, v16, v10
.LBB399_2415:                           ;   in Loop: Header=BB399_2079 Depth=1
	s_or_b32 exec_lo, exec_lo, s18
.LBB399_2416:                           ;   in Loop: Header=BB399_2079 Depth=1
	s_or_b32 exec_lo, exec_lo, s15
.LBB399_2417:                           ;   in Loop: Header=BB399_2079 Depth=1
	s_or_b32 exec_lo, exec_lo, s13
	v_cmp_ne_u16_sdwa s4, v19, v13 src0_sel:BYTE_1 src1_sel:DWORD
	s_and_saveexec_b32 s13, s4
	s_cbranch_execz .LBB399_2425
; %bb.2418:                             ;   in Loop: Header=BB399_2079 Depth=1
	v_cmp_ne_u16_sdwa s4, v19, v114 src0_sel:BYTE_1 src1_sel:DWORD
	v_bfrev_b32_e32 v11, 1
	s_and_saveexec_b32 s15, s4
	s_cbranch_execz .LBB399_2424
; %bb.2419:                             ;   in Loop: Header=BB399_2079 Depth=1
	v_and_b32_sdwa v12, v112, v19 dst_sel:DWORD dst_unused:UNUSED_PAD src0_sel:DWORD src1_sel:BYTE_1
	v_mov_b32_e32 v11, 0x7f800001
	s_mov_b32 s18, exec_lo
	v_and_b32_e32 v16, 0x7f, v12
	v_cmpx_ne_u32_e32 0x7f, v16
	s_cbranch_execz .LBB399_2423
; %bb.2420:                             ;   in Loop: Header=BB399_2079 Depth=1
	v_and_b32_e32 v12, 7, v12
	v_mov_b32_e32 v24, v13
	v_lshrrev_b32_e32 v11, 3, v16
	s_mov_b32 s20, exec_lo
	v_mov_b32_e32 v23, v12
	v_cmpx_gt_u32_e32 8, v16
; %bb.2421:                             ;   in Loop: Header=BB399_2079 Depth=1
	v_ffbh_u32_e32 v11, v12
	v_min_u32_e32 v11, 32, v11
	v_subrev_nc_u32_e32 v16, 28, v11
	v_sub_nc_u32_e32 v11, 29, v11
	v_lshlrev_b64 v[21:22], v16, v[12:13]
	v_and_b32_e32 v23, 7, v21
; %bb.2422:                             ;   in Loop: Header=BB399_2079 Depth=1
	s_or_b32 exec_lo, exec_lo, s20
	v_lshlrev_b32_e32 v12, 16, v19
	v_lshlrev_b32_e32 v16, 20, v23
	v_lshl_add_u32 v11, v11, 23, 0x3c000000
	v_and_b32_e32 v12, 0x80000000, v12
	v_or3_b32 v11, v16, v12, v11
.LBB399_2423:                           ;   in Loop: Header=BB399_2079 Depth=1
	s_or_b32 exec_lo, exec_lo, s18
.LBB399_2424:                           ;   in Loop: Header=BB399_2079 Depth=1
	s_or_b32 exec_lo, exec_lo, s15
.LBB399_2425:                           ;   in Loop: Header=BB399_2079 Depth=1
	s_or_b32 exec_lo, exec_lo, s13
	v_and_b32_sdwa v12, v19, v116 dst_sel:DWORD dst_unused:UNUSED_PAD src0_sel:WORD_1 src1_sel:DWORD
	v_mov_b32_e32 v21, 0
	v_mov_b32_e32 v16, 0
	s_mov_b32 s13, exec_lo
	v_cmpx_ne_u16_e32 0, v12
	s_cbranch_execz .LBB399_2433
; %bb.2426:                             ;   in Loop: Header=BB399_2079 Depth=1
	v_bfrev_b32_e32 v16, 1
	s_mov_b32 s15, exec_lo
	v_cmpx_ne_u16_e32 0x80, v12
	s_cbranch_execz .LBB399_2432
; %bb.2427:                             ;   in Loop: Header=BB399_2079 Depth=1
	v_bfe_u32 v22, v19, 16, 7
	v_mov_b32_e32 v16, 0x7f800001
	s_mov_b32 s18, exec_lo
	v_cmpx_ne_u32_e32 0x7f, v22
	s_cbranch_execz .LBB399_2431
; %bb.2428:                             ;   in Loop: Header=BB399_2079 Depth=1
	v_and_b32_sdwa v12, v19, v115 dst_sel:DWORD dst_unused:UNUSED_PAD src0_sel:WORD_1 src1_sel:DWORD
	v_mov_b32_e32 v24, v13
	v_lshrrev_b32_e32 v16, 3, v22
	s_mov_b32 s20, exec_lo
	v_mov_b32_e32 v23, v12
	v_cmpx_gt_u32_e32 8, v22
; %bb.2429:                             ;   in Loop: Header=BB399_2079 Depth=1
	v_ffbh_u32_e32 v16, v12
	v_min_u32_e32 v16, 32, v16
	v_subrev_nc_u32_e32 v22, 28, v16
	v_sub_nc_u32_e32 v16, 29, v16
	v_lshlrev_b64 v[22:23], v22, v[12:13]
	v_and_b32_e32 v23, 7, v22
; %bb.2430:                             ;   in Loop: Header=BB399_2079 Depth=1
	s_or_b32 exec_lo, exec_lo, s20
	v_lshlrev_b32_sdwa v12, v39, v19 dst_sel:DWORD dst_unused:UNUSED_PAD src0_sel:DWORD src1_sel:WORD_1
	v_lshlrev_b32_e32 v22, 20, v23
	v_lshl_add_u32 v16, v16, 23, 0x3c000000
	v_and_b32_e32 v12, 0x80000000, v12
	v_or3_b32 v16, v22, v12, v16
.LBB399_2431:                           ;   in Loop: Header=BB399_2079 Depth=1
	s_or_b32 exec_lo, exec_lo, s18
.LBB399_2432:                           ;   in Loop: Header=BB399_2079 Depth=1
	s_or_b32 exec_lo, exec_lo, s15
.LBB399_2433:                           ;   in Loop: Header=BB399_2079 Depth=1
	s_or_b32 exec_lo, exec_lo, s13
	s_mov_b32 s13, exec_lo
	v_cmpx_lt_u32_e32 0xffffff, v19
	s_cbranch_execz .LBB399_2441
; %bb.2434:                             ;   in Loop: Header=BB399_2079 Depth=1
	v_cmp_ne_u32_sdwa s4, v19, v114 src0_sel:BYTE_3 src1_sel:DWORD
	v_bfrev_b32_e32 v21, 1
	s_and_saveexec_b32 s15, s4
	s_cbranch_execz .LBB399_2440
; %bb.2435:                             ;   in Loop: Header=BB399_2079 Depth=1
	v_bfe_u32 v22, v19, 24, 7
	v_mov_b32_e32 v21, 0x7f800001
	s_mov_b32 s18, exec_lo
	v_cmpx_ne_u32_e32 0x7f, v22
	s_cbranch_execz .LBB399_2439
; %bb.2436:                             ;   in Loop: Header=BB399_2079 Depth=1
	v_and_b32_sdwa v12, v19, v115 dst_sel:DWORD dst_unused:UNUSED_PAD src0_sel:BYTE_3 src1_sel:DWORD
	v_mov_b32_e32 v24, v13
	v_lshrrev_b32_e32 v21, 3, v22
	s_mov_b32 s20, exec_lo
	v_mov_b32_e32 v23, v12
	v_cmpx_gt_u32_e32 8, v22
; %bb.2437:                             ;   in Loop: Header=BB399_2079 Depth=1
	v_ffbh_u32_e32 v21, v12
	v_min_u32_e32 v21, 32, v21
	v_subrev_nc_u32_e32 v22, 28, v21
	v_sub_nc_u32_e32 v21, 29, v21
	v_lshlrev_b64 v[22:23], v22, v[12:13]
	v_and_b32_e32 v23, 7, v22
; %bb.2438:                             ;   in Loop: Header=BB399_2079 Depth=1
	s_or_b32 exec_lo, exec_lo, s20
	v_lshlrev_b32_sdwa v12, v39, v19 dst_sel:DWORD dst_unused:UNUSED_PAD src0_sel:DWORD src1_sel:BYTE_3
	v_lshlrev_b32_e32 v22, 20, v23
	v_lshl_add_u32 v21, v21, 23, 0x3c000000
	v_and_b32_e32 v12, 0x80000000, v12
	v_or3_b32 v21, v22, v12, v21
.LBB399_2439:                           ;   in Loop: Header=BB399_2079 Depth=1
	s_or_b32 exec_lo, exec_lo, s18
.LBB399_2440:                           ;   in Loop: Header=BB399_2079 Depth=1
	s_or_b32 exec_lo, exec_lo, s15
.LBB399_2441:                           ;   in Loop: Header=BB399_2079 Depth=1
	s_or_b32 exec_lo, exec_lo, s13
	v_mov_b32_e32 v12, v20
	v_cmp_ne_u16_sdwa s4, v20, v13 src0_sel:BYTE_0 src1_sel:DWORD
	v_mov_b32_e32 v28, 0
	v_mov_b32_e32 v26, 0
	s_and_saveexec_b32 s13, s4
	s_cbranch_execz .LBB399_2449
; %bb.2442:                             ;   in Loop: Header=BB399_2079 Depth=1
	v_cmp_ne_u16_sdwa s4, v20, v114 src0_sel:BYTE_0 src1_sel:DWORD
	v_bfrev_b32_e32 v26, 1
	s_and_saveexec_b32 s15, s4
	s_cbranch_execz .LBB399_2448
; %bb.2443:                             ;   in Loop: Header=BB399_2079 Depth=1
	v_and_b32_e32 v23, 0x7f, v20
	v_mov_b32_e32 v26, 0x7f800001
	s_mov_b32 s18, exec_lo
	v_cmpx_ne_u32_e32 0x7f, v23
	s_cbranch_execz .LBB399_2447
; %bb.2444:                             ;   in Loop: Header=BB399_2079 Depth=1
	v_lshrrev_b32_e32 v22, 3, v23
	v_cmp_gt_u32_e64 s4, 8, v23
	v_mov_b32_e32 v24, v13
	v_mov_b32_e32 v23, v12
	s_and_saveexec_b32 s20, s4
; %bb.2445:                             ;   in Loop: Header=BB399_2079 Depth=1
	v_and_b32_e32 v22, 7, v20
	v_ffbh_u32_e32 v22, v22
	v_min_u32_e32 v22, 32, v22
	v_subrev_nc_u32_e32 v23, 28, v22
	v_sub_nc_u32_e32 v22, 29, v22
	v_lshlrev_b64 v[23:24], v23, v[12:13]
; %bb.2446:                             ;   in Loop: Header=BB399_2079 Depth=1
	s_or_b32 exec_lo, exec_lo, s20
	v_lshlrev_b32_e32 v23, 20, v23
	v_lshlrev_b32_e32 v24, 24, v12
	v_lshl_add_u32 v22, v22, 23, 0x3c000000
	v_and_b32_e32 v23, 0x700000, v23
	v_and_b32_e32 v24, 0x80000000, v24
	v_or3_b32 v26, v23, v24, v22
.LBB399_2447:                           ;   in Loop: Header=BB399_2079 Depth=1
	s_or_b32 exec_lo, exec_lo, s18
.LBB399_2448:                           ;   in Loop: Header=BB399_2079 Depth=1
	s_or_b32 exec_lo, exec_lo, s15
.LBB399_2449:                           ;   in Loop: Header=BB399_2079 Depth=1
	s_or_b32 exec_lo, exec_lo, s13
	v_cmp_ne_u16_sdwa s4, v12, v13 src0_sel:BYTE_1 src1_sel:DWORD
	s_and_saveexec_b32 s13, s4
	s_cbranch_execz .LBB399_2457
; %bb.2450:                             ;   in Loop: Header=BB399_2079 Depth=1
	v_cmp_ne_u16_sdwa s4, v12, v114 src0_sel:BYTE_1 src1_sel:DWORD
	v_bfrev_b32_e32 v28, 1
	s_and_saveexec_b32 s15, s4
	s_cbranch_execz .LBB399_2456
; %bb.2451:                             ;   in Loop: Header=BB399_2079 Depth=1
	v_and_b32_sdwa v22, v112, v12 dst_sel:DWORD dst_unused:UNUSED_PAD src0_sel:DWORD src1_sel:BYTE_1
	v_mov_b32_e32 v28, 0x7f800001
	s_mov_b32 s18, exec_lo
	v_and_b32_e32 v25, 0x7f, v22
	v_cmpx_ne_u32_e32 0x7f, v25
	s_cbranch_execz .LBB399_2455
; %bb.2452:                             ;   in Loop: Header=BB399_2079 Depth=1
	v_and_b32_e32 v23, 7, v22
	v_mov_b32_e32 v24, v13
	v_lshrrev_b32_e32 v22, 3, v25
	s_mov_b32 s20, exec_lo
	v_cmpx_gt_u32_e32 8, v25
; %bb.2453:                             ;   in Loop: Header=BB399_2079 Depth=1
	v_ffbh_u32_e32 v22, v23
	v_min_u32_e32 v22, 32, v22
	v_subrev_nc_u32_e32 v25, 28, v22
	v_sub_nc_u32_e32 v22, 29, v22
	v_lshlrev_b64 v[23:24], v25, v[23:24]
	v_and_b32_e32 v23, 7, v23
; %bb.2454:                             ;   in Loop: Header=BB399_2079 Depth=1
	s_or_b32 exec_lo, exec_lo, s20
	v_lshlrev_b32_e32 v12, 16, v12
	v_lshlrev_b32_e32 v23, 20, v23
	v_lshl_add_u32 v22, v22, 23, 0x3c000000
	v_and_b32_e32 v12, 0x80000000, v12
	v_or3_b32 v28, v23, v12, v22
.LBB399_2455:                           ;   in Loop: Header=BB399_2079 Depth=1
	s_or_b32 exec_lo, exec_lo, s18
.LBB399_2456:                           ;   in Loop: Header=BB399_2079 Depth=1
	s_or_b32 exec_lo, exec_lo, s15
.LBB399_2457:                           ;   in Loop: Header=BB399_2079 Depth=1
	s_or_b32 exec_lo, exec_lo, s13
	v_and_b32_sdwa v12, v20, v116 dst_sel:DWORD dst_unused:UNUSED_PAD src0_sel:WORD_1 src1_sel:DWORD
	v_mov_b32_e32 v22, 0
	v_mov_b32_e32 v25, 0
	s_mov_b32 s13, exec_lo
	v_cmpx_ne_u16_e32 0, v12
	s_cbranch_execz .LBB399_2465
; %bb.2458:                             ;   in Loop: Header=BB399_2079 Depth=1
	v_bfrev_b32_e32 v25, 1
	s_mov_b32 s15, exec_lo
	v_cmpx_ne_u16_e32 0x80, v12
	s_cbranch_execz .LBB399_2464
; %bb.2459:                             ;   in Loop: Header=BB399_2079 Depth=1
	v_bfe_u32 v23, v20, 16, 7
	v_mov_b32_e32 v25, 0x7f800001
	s_mov_b32 s18, exec_lo
	v_cmpx_ne_u32_e32 0x7f, v23
	s_cbranch_execz .LBB399_2463
; %bb.2460:                             ;   in Loop: Header=BB399_2079 Depth=1
	v_and_b32_sdwa v12, v20, v115 dst_sel:DWORD dst_unused:UNUSED_PAD src0_sel:WORD_1 src1_sel:DWORD
	v_lshrrev_b32_e32 v25, 3, v23
	v_cmp_gt_u32_e64 s4, 8, v23
	v_mov_b32_e32 v24, v13
	v_mov_b32_e32 v23, v12
	s_and_saveexec_b32 s20, s4
; %bb.2461:                             ;   in Loop: Header=BB399_2079 Depth=1
	v_ffbh_u32_e32 v23, v12
	v_min_u32_e32 v25, 32, v23
	v_subrev_nc_u32_e32 v23, 28, v25
	v_sub_nc_u32_e32 v25, 29, v25
	v_lshlrev_b64 v[23:24], v23, v[12:13]
	v_and_b32_e32 v23, 7, v23
; %bb.2462:                             ;   in Loop: Header=BB399_2079 Depth=1
	s_or_b32 exec_lo, exec_lo, s20
	v_lshlrev_b32_sdwa v12, v39, v20 dst_sel:DWORD dst_unused:UNUSED_PAD src0_sel:DWORD src1_sel:WORD_1
	v_lshlrev_b32_e32 v23, 20, v23
	v_lshl_add_u32 v24, v25, 23, 0x3c000000
	v_and_b32_e32 v12, 0x80000000, v12
	v_or3_b32 v25, v23, v12, v24
.LBB399_2463:                           ;   in Loop: Header=BB399_2079 Depth=1
	s_or_b32 exec_lo, exec_lo, s18
.LBB399_2464:                           ;   in Loop: Header=BB399_2079 Depth=1
	s_or_b32 exec_lo, exec_lo, s15
.LBB399_2465:                           ;   in Loop: Header=BB399_2079 Depth=1
	s_or_b32 exec_lo, exec_lo, s13
	s_mov_b32 s13, exec_lo
	v_cmpx_lt_u64_e64 s[8:9], v[19:20]
	s_cbranch_execz .LBB399_2473
; %bb.2466:                             ;   in Loop: Header=BB399_2079 Depth=1
	v_cmp_ne_u32_sdwa s4, v20, v114 src0_sel:BYTE_3 src1_sel:DWORD
	v_bfrev_b32_e32 v22, 1
	s_and_saveexec_b32 s15, s4
	s_cbranch_execz .LBB399_2472
; %bb.2467:                             ;   in Loop: Header=BB399_2079 Depth=1
	v_bfe_u32 v23, v20, 24, 7
	v_mov_b32_e32 v22, 0x7f800001
	s_mov_b32 s18, exec_lo
	v_cmpx_ne_u32_e32 0x7f, v23
	s_cbranch_execz .LBB399_2471
; %bb.2468:                             ;   in Loop: Header=BB399_2079 Depth=1
	v_and_b32_sdwa v12, v20, v115 dst_sel:DWORD dst_unused:UNUSED_PAD src0_sel:BYTE_3 src1_sel:DWORD
	v_lshrrev_b32_e32 v19, 3, v23
	v_cmp_gt_u32_e64 s4, 8, v23
	v_mov_b32_e32 v24, v13
	v_mov_b32_e32 v23, v12
	s_and_saveexec_b32 s20, s4
; %bb.2469:                             ;   in Loop: Header=BB399_2079 Depth=1
	v_ffbh_u32_e32 v19, v12
	v_min_u32_e32 v19, 32, v19
	v_subrev_nc_u32_e32 v22, 28, v19
	v_sub_nc_u32_e32 v19, 29, v19
	v_lshlrev_b64 v[22:23], v22, v[12:13]
	v_and_b32_e32 v23, 7, v22
; %bb.2470:                             ;   in Loop: Header=BB399_2079 Depth=1
	s_or_b32 exec_lo, exec_lo, s20
	v_lshlrev_b32_sdwa v12, v39, v20 dst_sel:DWORD dst_unused:UNUSED_PAD src0_sel:DWORD src1_sel:BYTE_3
	v_lshlrev_b32_e32 v20, 20, v23
	v_lshl_add_u32 v19, v19, 23, 0x3c000000
	v_and_b32_e32 v12, 0x80000000, v12
	v_or3_b32 v22, v20, v12, v19
.LBB399_2471:                           ;   in Loop: Header=BB399_2079 Depth=1
	s_or_b32 exec_lo, exec_lo, s18
.LBB399_2472:                           ;   in Loop: Header=BB399_2079 Depth=1
	s_or_b32 exec_lo, exec_lo, s15
.LBB399_2473:                           ;   in Loop: Header=BB399_2079 Depth=1
	s_or_b32 exec_lo, exec_lo, s13
	v_mul_f32_e32 v12, v27, v28
	v_mul_f32_e32 v11, v27, v11
	;; [unrolled: 1-line block ×3, first 2 shown]
	v_bfe_u32 v19, v12, 16, 1
	v_or_b32_e32 v20, 0x400000, v12
	v_cmp_u_f32_e64 s4, v12, v12
	v_add3_u32 v19, v19, v12, 0x7fff
	v_cndmask_b32_e64 v12, v19, v20, s4
	v_lshrrev_b32_e32 v12, 16, v12
	buffer_store_dword v12, off, s[0:3], s32 offset:356 ; 4-byte Folded Spill
	v_mul_f32_e32 v12, v27, v26
	v_bfe_u32 v19, v12, 16, 1
	v_or_b32_e32 v20, 0x400000, v12
	v_cmp_u_f32_e64 s4, v12, v12
	v_add3_u32 v19, v19, v12, 0x7fff
	v_cndmask_b32_e64 v12, v19, v20, s4
	v_lshrrev_b32_e32 v12, 16, v12
	buffer_store_dword v12, off, s[0:3], s32 offset:352 ; 4-byte Folded Spill
	v_mul_f32_e32 v12, v27, v21
	;; [unrolled: 8-line block ×3, first 2 shown]
	v_bfe_u32 v16, v12, 16, 1
	v_or_b32_e32 v19, 0x400000, v12
	v_cmp_u_f32_e64 s4, v12, v12
	v_add3_u32 v16, v16, v12, 0x7fff
	v_cndmask_b32_e64 v12, v16, v19, s4
	v_or_b32_e32 v16, 0x400000, v11
	v_cmp_u_f32_e64 s4, v11, v11
	v_lshrrev_b32_e32 v12, 16, v12
	buffer_store_dword v12, off, s[0:3], s32 offset:368 ; 4-byte Folded Spill
	v_bfe_u32 v12, v11, 16, 1
	v_add3_u32 v12, v12, v11, 0x7fff
	v_cndmask_b32_e64 v11, v12, v16, s4
	v_or_b32_e32 v12, 0x400000, v10
	v_cmp_u_f32_e64 s4, v10, v10
	v_lshrrev_b32_e32 v11, 16, v11
	buffer_store_dword v11, off, s[0:3], s32 offset:380 ; 4-byte Folded Spill
	v_bfe_u32 v11, v10, 16, 1
	v_add3_u32 v11, v11, v10, 0x7fff
	v_cndmask_b32_e64 v10, v11, v12, s4
	v_lshrrev_b32_e32 v10, 16, v10
	buffer_store_dword v10, off, s[0:3], s32 offset:376 ; 4-byte Folded Spill
	v_mul_f32_e32 v10, v27, v25
	v_bfe_u32 v11, v10, 16, 1
	v_or_b32_e32 v12, 0x400000, v10
	v_cmp_u_f32_e64 s4, v10, v10
	v_add3_u32 v11, v11, v10, 0x7fff
	v_cndmask_b32_e64 v10, v11, v12, s4
	v_lshrrev_b32_e32 v10, 16, v10
	buffer_store_dword v10, off, s[0:3], s32 offset:360 ; 4-byte Folded Spill
	v_mul_f32_e32 v10, v27, v22
	v_bfe_u32 v11, v10, 16, 1
	v_or_b32_e32 v12, 0x400000, v10
	v_cmp_u_f32_e64 s4, v10, v10
	v_add3_u32 v11, v11, v10, 0x7fff
	v_cndmask_b32_e64 v10, v11, v12, s4
	v_lshrrev_b32_e32 v10, 16, v10
	buffer_store_dword v10, off, s[0:3], s32 offset:372 ; 4-byte Folded Spill
	s_and_saveexec_b32 s13, vcc_lo
	s_cbranch_execz .LBB399_2475
; %bb.2474:                             ;   in Loop: Header=BB399_2079 Depth=1
	buffer_load_dword v10, off, s[0:3], s32 offset:376 ; 4-byte Folded Reload
	v_cmp_lt_i32_e64 s4, v125, v124
	s_waitcnt vmcnt(0)
	v_cndmask_b32_e64 v10, 0, v10, s4
	v_cmp_lt_i32_e64 s4, v113, v124
	buffer_store_dword v10, off, s[0:3], s32 offset:376 ; 4-byte Folded Spill
	buffer_load_dword v10, off, s[0:3], s32 offset:380 ; 4-byte Folded Reload
	s_waitcnt vmcnt(0)
	v_cndmask_b32_e64 v10, 0, v10, s4
	v_cmp_lt_i32_e64 s4, v38, v124
	buffer_store_dword v10, off, s[0:3], s32 offset:380 ; 4-byte Folded Spill
	buffer_load_dword v10, off, s[0:3], s32 offset:368 ; 4-byte Folded Reload
	;; [unrolled: 5-line block ×7, first 2 shown]
	s_waitcnt vmcnt(0)
	v_cndmask_b32_e64 v10, 0, v10, s4
	buffer_store_dword v10, off, s[0:3], s32 offset:372 ; 4-byte Folded Spill
.LBB399_2475:                           ;   in Loop: Header=BB399_2079 Depth=1
	s_or_b32 exec_lo, exec_lo, s13
	flat_load_dwordx2 v[19:20], v[17:18] offset:1536
	v_mov_b32_e32 v11, 0
	v_mov_b32_e32 v10, 0
	s_waitcnt vmcnt(0) lgkmcnt(0)
	v_cmp_ne_u16_sdwa s4, v19, v13 src0_sel:BYTE_0 src1_sel:DWORD
	s_and_saveexec_b32 s13, s4
	s_cbranch_execz .LBB399_2483
; %bb.2476:                             ;   in Loop: Header=BB399_2079 Depth=1
	v_cmp_ne_u16_sdwa s4, v19, v114 src0_sel:BYTE_0 src1_sel:DWORD
	v_bfrev_b32_e32 v10, 1
	s_and_saveexec_b32 s15, s4
	s_cbranch_execz .LBB399_2482
; %bb.2477:                             ;   in Loop: Header=BB399_2079 Depth=1
	v_and_b32_e32 v12, 0x7f, v19
	v_mov_b32_e32 v10, 0x7f800001
	s_mov_b32 s18, exec_lo
	v_cmpx_ne_u32_e32 0x7f, v12
	s_cbranch_execz .LBB399_2481
; %bb.2478:                             ;   in Loop: Header=BB399_2079 Depth=1
	v_mov_b32_e32 v24, v20
	v_lshrrev_b32_e32 v10, 3, v12
	v_mov_b32_e32 v23, v19
	s_mov_b32 s20, exec_lo
	v_cmpx_gt_u32_e32 8, v12
; %bb.2479:                             ;   in Loop: Header=BB399_2079 Depth=1
	v_and_b32_e32 v10, 7, v19
	v_ffbh_u32_e32 v10, v10
	v_min_u32_e32 v10, 32, v10
	v_subrev_nc_u32_e32 v12, 28, v10
	v_sub_nc_u32_e32 v10, 29, v10
	v_lshlrev_b64 v[23:24], v12, v[19:20]
; %bb.2480:                             ;   in Loop: Header=BB399_2079 Depth=1
	s_or_b32 exec_lo, exec_lo, s20
	v_lshlrev_b32_e32 v12, 20, v23
	v_lshlrev_b32_e32 v16, 24, v19
	v_lshl_add_u32 v10, v10, 23, 0x3c000000
	v_and_b32_e32 v12, 0x700000, v12
	v_and_b32_e32 v16, 0x80000000, v16
	v_or3_b32 v10, v12, v16, v10
.LBB399_2481:                           ;   in Loop: Header=BB399_2079 Depth=1
	s_or_b32 exec_lo, exec_lo, s18
.LBB399_2482:                           ;   in Loop: Header=BB399_2079 Depth=1
	s_or_b32 exec_lo, exec_lo, s15
.LBB399_2483:                           ;   in Loop: Header=BB399_2079 Depth=1
	s_or_b32 exec_lo, exec_lo, s13
	v_cmp_ne_u16_sdwa s4, v19, v13 src0_sel:BYTE_1 src1_sel:DWORD
	s_and_saveexec_b32 s13, s4
	s_cbranch_execz .LBB399_2491
; %bb.2484:                             ;   in Loop: Header=BB399_2079 Depth=1
	v_cmp_ne_u16_sdwa s4, v19, v114 src0_sel:BYTE_1 src1_sel:DWORD
	v_bfrev_b32_e32 v11, 1
	s_and_saveexec_b32 s15, s4
	s_cbranch_execz .LBB399_2490
; %bb.2485:                             ;   in Loop: Header=BB399_2079 Depth=1
	v_and_b32_sdwa v12, v112, v19 dst_sel:DWORD dst_unused:UNUSED_PAD src0_sel:DWORD src1_sel:BYTE_1
	v_mov_b32_e32 v11, 0x7f800001
	s_mov_b32 s18, exec_lo
	v_and_b32_e32 v16, 0x7f, v12
	v_cmpx_ne_u32_e32 0x7f, v16
	s_cbranch_execz .LBB399_2489
; %bb.2486:                             ;   in Loop: Header=BB399_2079 Depth=1
	v_and_b32_e32 v12, 7, v12
	v_mov_b32_e32 v24, v13
	v_lshrrev_b32_e32 v11, 3, v16
	s_mov_b32 s20, exec_lo
	v_mov_b32_e32 v23, v12
	v_cmpx_gt_u32_e32 8, v16
; %bb.2487:                             ;   in Loop: Header=BB399_2079 Depth=1
	v_ffbh_u32_e32 v11, v12
	v_min_u32_e32 v11, 32, v11
	v_subrev_nc_u32_e32 v16, 28, v11
	v_sub_nc_u32_e32 v11, 29, v11
	v_lshlrev_b64 v[21:22], v16, v[12:13]
	v_and_b32_e32 v23, 7, v21
; %bb.2488:                             ;   in Loop: Header=BB399_2079 Depth=1
	s_or_b32 exec_lo, exec_lo, s20
	v_lshlrev_b32_e32 v12, 16, v19
	v_lshlrev_b32_e32 v16, 20, v23
	v_lshl_add_u32 v11, v11, 23, 0x3c000000
	v_and_b32_e32 v12, 0x80000000, v12
	v_or3_b32 v11, v16, v12, v11
.LBB399_2489:                           ;   in Loop: Header=BB399_2079 Depth=1
	s_or_b32 exec_lo, exec_lo, s18
.LBB399_2490:                           ;   in Loop: Header=BB399_2079 Depth=1
	s_or_b32 exec_lo, exec_lo, s15
.LBB399_2491:                           ;   in Loop: Header=BB399_2079 Depth=1
	s_or_b32 exec_lo, exec_lo, s13
	v_and_b32_sdwa v12, v19, v116 dst_sel:DWORD dst_unused:UNUSED_PAD src0_sel:WORD_1 src1_sel:DWORD
	v_mov_b32_e32 v21, 0
	v_mov_b32_e32 v16, 0
	s_mov_b32 s13, exec_lo
	v_cmpx_ne_u16_e32 0, v12
	s_cbranch_execz .LBB399_2499
; %bb.2492:                             ;   in Loop: Header=BB399_2079 Depth=1
	v_bfrev_b32_e32 v16, 1
	s_mov_b32 s15, exec_lo
	v_cmpx_ne_u16_e32 0x80, v12
	s_cbranch_execz .LBB399_2498
; %bb.2493:                             ;   in Loop: Header=BB399_2079 Depth=1
	v_bfe_u32 v22, v19, 16, 7
	v_mov_b32_e32 v16, 0x7f800001
	s_mov_b32 s18, exec_lo
	v_cmpx_ne_u32_e32 0x7f, v22
	s_cbranch_execz .LBB399_2497
; %bb.2494:                             ;   in Loop: Header=BB399_2079 Depth=1
	v_and_b32_sdwa v12, v19, v115 dst_sel:DWORD dst_unused:UNUSED_PAD src0_sel:WORD_1 src1_sel:DWORD
	v_mov_b32_e32 v24, v13
	v_lshrrev_b32_e32 v16, 3, v22
	s_mov_b32 s20, exec_lo
	v_mov_b32_e32 v23, v12
	v_cmpx_gt_u32_e32 8, v22
; %bb.2495:                             ;   in Loop: Header=BB399_2079 Depth=1
	v_ffbh_u32_e32 v16, v12
	v_min_u32_e32 v16, 32, v16
	v_subrev_nc_u32_e32 v22, 28, v16
	v_sub_nc_u32_e32 v16, 29, v16
	v_lshlrev_b64 v[22:23], v22, v[12:13]
	v_and_b32_e32 v23, 7, v22
; %bb.2496:                             ;   in Loop: Header=BB399_2079 Depth=1
	s_or_b32 exec_lo, exec_lo, s20
	v_lshlrev_b32_sdwa v12, v39, v19 dst_sel:DWORD dst_unused:UNUSED_PAD src0_sel:DWORD src1_sel:WORD_1
	v_lshlrev_b32_e32 v22, 20, v23
	v_lshl_add_u32 v16, v16, 23, 0x3c000000
	v_and_b32_e32 v12, 0x80000000, v12
	v_or3_b32 v16, v22, v12, v16
.LBB399_2497:                           ;   in Loop: Header=BB399_2079 Depth=1
	s_or_b32 exec_lo, exec_lo, s18
.LBB399_2498:                           ;   in Loop: Header=BB399_2079 Depth=1
	s_or_b32 exec_lo, exec_lo, s15
.LBB399_2499:                           ;   in Loop: Header=BB399_2079 Depth=1
	s_or_b32 exec_lo, exec_lo, s13
	s_mov_b32 s13, exec_lo
	v_cmpx_lt_u32_e32 0xffffff, v19
	s_cbranch_execz .LBB399_2507
; %bb.2500:                             ;   in Loop: Header=BB399_2079 Depth=1
	v_cmp_ne_u32_sdwa s4, v19, v114 src0_sel:BYTE_3 src1_sel:DWORD
	v_bfrev_b32_e32 v21, 1
	s_and_saveexec_b32 s15, s4
	s_cbranch_execz .LBB399_2506
; %bb.2501:                             ;   in Loop: Header=BB399_2079 Depth=1
	v_bfe_u32 v22, v19, 24, 7
	v_mov_b32_e32 v21, 0x7f800001
	s_mov_b32 s18, exec_lo
	v_cmpx_ne_u32_e32 0x7f, v22
	s_cbranch_execz .LBB399_2505
; %bb.2502:                             ;   in Loop: Header=BB399_2079 Depth=1
	v_and_b32_sdwa v12, v19, v115 dst_sel:DWORD dst_unused:UNUSED_PAD src0_sel:BYTE_3 src1_sel:DWORD
	v_mov_b32_e32 v24, v13
	v_lshrrev_b32_e32 v21, 3, v22
	s_mov_b32 s20, exec_lo
	v_mov_b32_e32 v23, v12
	v_cmpx_gt_u32_e32 8, v22
; %bb.2503:                             ;   in Loop: Header=BB399_2079 Depth=1
	v_ffbh_u32_e32 v21, v12
	v_min_u32_e32 v21, 32, v21
	v_subrev_nc_u32_e32 v22, 28, v21
	v_sub_nc_u32_e32 v21, 29, v21
	v_lshlrev_b64 v[22:23], v22, v[12:13]
	v_and_b32_e32 v23, 7, v22
; %bb.2504:                             ;   in Loop: Header=BB399_2079 Depth=1
	s_or_b32 exec_lo, exec_lo, s20
	v_lshlrev_b32_sdwa v12, v39, v19 dst_sel:DWORD dst_unused:UNUSED_PAD src0_sel:DWORD src1_sel:BYTE_3
	v_lshlrev_b32_e32 v22, 20, v23
	v_lshl_add_u32 v21, v21, 23, 0x3c000000
	v_and_b32_e32 v12, 0x80000000, v12
	v_or3_b32 v21, v22, v12, v21
.LBB399_2505:                           ;   in Loop: Header=BB399_2079 Depth=1
	s_or_b32 exec_lo, exec_lo, s18
.LBB399_2506:                           ;   in Loop: Header=BB399_2079 Depth=1
	s_or_b32 exec_lo, exec_lo, s15
.LBB399_2507:                           ;   in Loop: Header=BB399_2079 Depth=1
	s_or_b32 exec_lo, exec_lo, s13
	v_mov_b32_e32 v12, v20
	v_cmp_ne_u16_sdwa s4, v20, v13 src0_sel:BYTE_0 src1_sel:DWORD
	v_mov_b32_e32 v28, 0
	v_mov_b32_e32 v26, 0
	s_and_saveexec_b32 s13, s4
	s_cbranch_execz .LBB399_2515
; %bb.2508:                             ;   in Loop: Header=BB399_2079 Depth=1
	v_cmp_ne_u16_sdwa s4, v20, v114 src0_sel:BYTE_0 src1_sel:DWORD
	v_bfrev_b32_e32 v26, 1
	s_and_saveexec_b32 s15, s4
	s_cbranch_execz .LBB399_2514
; %bb.2509:                             ;   in Loop: Header=BB399_2079 Depth=1
	v_and_b32_e32 v23, 0x7f, v20
	v_mov_b32_e32 v26, 0x7f800001
	s_mov_b32 s18, exec_lo
	v_cmpx_ne_u32_e32 0x7f, v23
	s_cbranch_execz .LBB399_2513
; %bb.2510:                             ;   in Loop: Header=BB399_2079 Depth=1
	v_lshrrev_b32_e32 v22, 3, v23
	v_cmp_gt_u32_e64 s4, 8, v23
	v_mov_b32_e32 v24, v13
	v_mov_b32_e32 v23, v12
	s_and_saveexec_b32 s20, s4
; %bb.2511:                             ;   in Loop: Header=BB399_2079 Depth=1
	v_and_b32_e32 v22, 7, v20
	v_ffbh_u32_e32 v22, v22
	v_min_u32_e32 v22, 32, v22
	v_subrev_nc_u32_e32 v23, 28, v22
	v_sub_nc_u32_e32 v22, 29, v22
	v_lshlrev_b64 v[23:24], v23, v[12:13]
; %bb.2512:                             ;   in Loop: Header=BB399_2079 Depth=1
	s_or_b32 exec_lo, exec_lo, s20
	v_lshlrev_b32_e32 v23, 20, v23
	v_lshlrev_b32_e32 v24, 24, v12
	v_lshl_add_u32 v22, v22, 23, 0x3c000000
	v_and_b32_e32 v23, 0x700000, v23
	v_and_b32_e32 v24, 0x80000000, v24
	v_or3_b32 v26, v23, v24, v22
.LBB399_2513:                           ;   in Loop: Header=BB399_2079 Depth=1
	s_or_b32 exec_lo, exec_lo, s18
.LBB399_2514:                           ;   in Loop: Header=BB399_2079 Depth=1
	s_or_b32 exec_lo, exec_lo, s15
.LBB399_2515:                           ;   in Loop: Header=BB399_2079 Depth=1
	s_or_b32 exec_lo, exec_lo, s13
	v_cmp_ne_u16_sdwa s4, v12, v13 src0_sel:BYTE_1 src1_sel:DWORD
	s_and_saveexec_b32 s13, s4
	s_cbranch_execz .LBB399_2523
; %bb.2516:                             ;   in Loop: Header=BB399_2079 Depth=1
	v_cmp_ne_u16_sdwa s4, v12, v114 src0_sel:BYTE_1 src1_sel:DWORD
	v_bfrev_b32_e32 v28, 1
	s_and_saveexec_b32 s15, s4
	s_cbranch_execz .LBB399_2522
; %bb.2517:                             ;   in Loop: Header=BB399_2079 Depth=1
	v_and_b32_sdwa v22, v112, v12 dst_sel:DWORD dst_unused:UNUSED_PAD src0_sel:DWORD src1_sel:BYTE_1
	v_mov_b32_e32 v28, 0x7f800001
	s_mov_b32 s18, exec_lo
	v_and_b32_e32 v25, 0x7f, v22
	v_cmpx_ne_u32_e32 0x7f, v25
	s_cbranch_execz .LBB399_2521
; %bb.2518:                             ;   in Loop: Header=BB399_2079 Depth=1
	v_and_b32_e32 v23, 7, v22
	v_mov_b32_e32 v24, v13
	v_lshrrev_b32_e32 v22, 3, v25
	s_mov_b32 s20, exec_lo
	v_cmpx_gt_u32_e32 8, v25
; %bb.2519:                             ;   in Loop: Header=BB399_2079 Depth=1
	v_ffbh_u32_e32 v22, v23
	v_min_u32_e32 v22, 32, v22
	v_subrev_nc_u32_e32 v25, 28, v22
	v_sub_nc_u32_e32 v22, 29, v22
	v_lshlrev_b64 v[23:24], v25, v[23:24]
	v_and_b32_e32 v23, 7, v23
; %bb.2520:                             ;   in Loop: Header=BB399_2079 Depth=1
	s_or_b32 exec_lo, exec_lo, s20
	v_lshlrev_b32_e32 v12, 16, v12
	v_lshlrev_b32_e32 v23, 20, v23
	v_lshl_add_u32 v22, v22, 23, 0x3c000000
	v_and_b32_e32 v12, 0x80000000, v12
	v_or3_b32 v28, v23, v12, v22
.LBB399_2521:                           ;   in Loop: Header=BB399_2079 Depth=1
	s_or_b32 exec_lo, exec_lo, s18
.LBB399_2522:                           ;   in Loop: Header=BB399_2079 Depth=1
	s_or_b32 exec_lo, exec_lo, s15
.LBB399_2523:                           ;   in Loop: Header=BB399_2079 Depth=1
	s_or_b32 exec_lo, exec_lo, s13
	v_and_b32_sdwa v12, v20, v116 dst_sel:DWORD dst_unused:UNUSED_PAD src0_sel:WORD_1 src1_sel:DWORD
	v_mov_b32_e32 v22, 0
	v_mov_b32_e32 v25, 0
	s_mov_b32 s13, exec_lo
	v_cmpx_ne_u16_e32 0, v12
	s_cbranch_execz .LBB399_2531
; %bb.2524:                             ;   in Loop: Header=BB399_2079 Depth=1
	v_bfrev_b32_e32 v25, 1
	s_mov_b32 s15, exec_lo
	v_cmpx_ne_u16_e32 0x80, v12
	s_cbranch_execz .LBB399_2530
; %bb.2525:                             ;   in Loop: Header=BB399_2079 Depth=1
	v_bfe_u32 v23, v20, 16, 7
	v_mov_b32_e32 v25, 0x7f800001
	s_mov_b32 s18, exec_lo
	v_cmpx_ne_u32_e32 0x7f, v23
	s_cbranch_execz .LBB399_2529
; %bb.2526:                             ;   in Loop: Header=BB399_2079 Depth=1
	v_and_b32_sdwa v12, v20, v115 dst_sel:DWORD dst_unused:UNUSED_PAD src0_sel:WORD_1 src1_sel:DWORD
	v_lshrrev_b32_e32 v25, 3, v23
	v_cmp_gt_u32_e64 s4, 8, v23
	v_mov_b32_e32 v24, v13
	v_mov_b32_e32 v23, v12
	s_and_saveexec_b32 s20, s4
; %bb.2527:                             ;   in Loop: Header=BB399_2079 Depth=1
	v_ffbh_u32_e32 v23, v12
	v_min_u32_e32 v25, 32, v23
	v_subrev_nc_u32_e32 v23, 28, v25
	v_sub_nc_u32_e32 v25, 29, v25
	v_lshlrev_b64 v[23:24], v23, v[12:13]
	v_and_b32_e32 v23, 7, v23
; %bb.2528:                             ;   in Loop: Header=BB399_2079 Depth=1
	s_or_b32 exec_lo, exec_lo, s20
	v_lshlrev_b32_sdwa v12, v39, v20 dst_sel:DWORD dst_unused:UNUSED_PAD src0_sel:DWORD src1_sel:WORD_1
	v_lshlrev_b32_e32 v23, 20, v23
	v_lshl_add_u32 v24, v25, 23, 0x3c000000
	v_and_b32_e32 v12, 0x80000000, v12
	v_or3_b32 v25, v23, v12, v24
.LBB399_2529:                           ;   in Loop: Header=BB399_2079 Depth=1
	s_or_b32 exec_lo, exec_lo, s18
.LBB399_2530:                           ;   in Loop: Header=BB399_2079 Depth=1
	s_or_b32 exec_lo, exec_lo, s15
.LBB399_2531:                           ;   in Loop: Header=BB399_2079 Depth=1
	s_or_b32 exec_lo, exec_lo, s13
	s_mov_b32 s13, exec_lo
	v_cmpx_lt_u64_e64 s[8:9], v[19:20]
	s_cbranch_execz .LBB399_2539
; %bb.2532:                             ;   in Loop: Header=BB399_2079 Depth=1
	v_cmp_ne_u32_sdwa s4, v20, v114 src0_sel:BYTE_3 src1_sel:DWORD
	v_bfrev_b32_e32 v22, 1
	s_and_saveexec_b32 s15, s4
	s_cbranch_execz .LBB399_2538
; %bb.2533:                             ;   in Loop: Header=BB399_2079 Depth=1
	v_bfe_u32 v23, v20, 24, 7
	v_mov_b32_e32 v22, 0x7f800001
	s_mov_b32 s18, exec_lo
	v_cmpx_ne_u32_e32 0x7f, v23
	s_cbranch_execz .LBB399_2537
; %bb.2534:                             ;   in Loop: Header=BB399_2079 Depth=1
	v_and_b32_sdwa v12, v20, v115 dst_sel:DWORD dst_unused:UNUSED_PAD src0_sel:BYTE_3 src1_sel:DWORD
	v_lshrrev_b32_e32 v19, 3, v23
	v_cmp_gt_u32_e64 s4, 8, v23
	v_mov_b32_e32 v24, v13
	v_mov_b32_e32 v23, v12
	s_and_saveexec_b32 s20, s4
; %bb.2535:                             ;   in Loop: Header=BB399_2079 Depth=1
	v_ffbh_u32_e32 v19, v12
	v_min_u32_e32 v19, 32, v19
	v_subrev_nc_u32_e32 v22, 28, v19
	v_sub_nc_u32_e32 v19, 29, v19
	v_lshlrev_b64 v[22:23], v22, v[12:13]
	v_and_b32_e32 v23, 7, v22
; %bb.2536:                             ;   in Loop: Header=BB399_2079 Depth=1
	s_or_b32 exec_lo, exec_lo, s20
	v_lshlrev_b32_sdwa v12, v39, v20 dst_sel:DWORD dst_unused:UNUSED_PAD src0_sel:DWORD src1_sel:BYTE_3
	v_lshlrev_b32_e32 v20, 20, v23
	v_lshl_add_u32 v19, v19, 23, 0x3c000000
	v_and_b32_e32 v12, 0x80000000, v12
	v_or3_b32 v22, v20, v12, v19
.LBB399_2537:                           ;   in Loop: Header=BB399_2079 Depth=1
	s_or_b32 exec_lo, exec_lo, s18
.LBB399_2538:                           ;   in Loop: Header=BB399_2079 Depth=1
	s_or_b32 exec_lo, exec_lo, s15
.LBB399_2539:                           ;   in Loop: Header=BB399_2079 Depth=1
	s_or_b32 exec_lo, exec_lo, s13
	v_mul_f32_e32 v12, v27, v28
	v_mul_f32_e32 v11, v27, v11
	;; [unrolled: 1-line block ×3, first 2 shown]
	v_bfe_u32 v19, v12, 16, 1
	v_or_b32_e32 v20, 0x400000, v12
	v_cmp_u_f32_e64 s4, v12, v12
	v_add3_u32 v19, v19, v12, 0x7fff
	v_cndmask_b32_e64 v12, v19, v20, s4
	v_lshrrev_b32_e32 v12, 16, v12
	buffer_store_dword v12, off, s[0:3], s32 offset:388 ; 4-byte Folded Spill
	v_mul_f32_e32 v12, v27, v26
	v_bfe_u32 v19, v12, 16, 1
	v_or_b32_e32 v20, 0x400000, v12
	v_cmp_u_f32_e64 s4, v12, v12
	v_add3_u32 v19, v19, v12, 0x7fff
	v_cndmask_b32_e64 v12, v19, v20, s4
	v_lshrrev_b32_e32 v12, 16, v12
	buffer_store_dword v12, off, s[0:3], s32 offset:384 ; 4-byte Folded Spill
	v_mul_f32_e32 v12, v27, v21
	v_bfe_u32 v19, v12, 16, 1
	v_or_b32_e32 v20, 0x400000, v12
	v_cmp_u_f32_e64 s4, v12, v12
	v_add3_u32 v19, v19, v12, 0x7fff
	v_cndmask_b32_e64 v12, v19, v20, s4
	v_lshrrev_b32_e32 v12, 16, v12
	buffer_store_dword v12, off, s[0:3], s32 offset:400 ; 4-byte Folded Spill
	v_mul_f32_e32 v12, v27, v16
	v_bfe_u32 v16, v12, 16, 1
	v_or_b32_e32 v19, 0x400000, v12
	v_cmp_u_f32_e64 s4, v12, v12
	v_add3_u32 v16, v16, v12, 0x7fff
	v_cndmask_b32_e64 v12, v16, v19, s4
	v_or_b32_e32 v16, 0x400000, v11
	v_cmp_u_f32_e64 s4, v11, v11
	v_lshrrev_b32_e32 v12, 16, v12
	buffer_store_dword v12, off, s[0:3], s32 offset:396 ; 4-byte Folded Spill
	v_bfe_u32 v12, v11, 16, 1
	v_add3_u32 v12, v12, v11, 0x7fff
	v_cndmask_b32_e64 v11, v12, v16, s4
	v_or_b32_e32 v12, 0x400000, v10
	v_cmp_u_f32_e64 s4, v10, v10
	v_lshrrev_b32_e32 v11, 16, v11
	buffer_store_dword v11, off, s[0:3], s32 offset:412 ; 4-byte Folded Spill
	v_bfe_u32 v11, v10, 16, 1
	v_add3_u32 v11, v11, v10, 0x7fff
	v_cndmask_b32_e64 v10, v11, v12, s4
	v_lshrrev_b32_e32 v10, 16, v10
	buffer_store_dword v10, off, s[0:3], s32 offset:408 ; 4-byte Folded Spill
	v_mul_f32_e32 v10, v27, v25
	v_bfe_u32 v11, v10, 16, 1
	v_or_b32_e32 v12, 0x400000, v10
	v_cmp_u_f32_e64 s4, v10, v10
	v_add3_u32 v11, v11, v10, 0x7fff
	v_cndmask_b32_e64 v10, v11, v12, s4
	v_lshrrev_b32_e32 v10, 16, v10
	buffer_store_dword v10, off, s[0:3], s32 offset:392 ; 4-byte Folded Spill
	v_mul_f32_e32 v10, v27, v22
	v_bfe_u32 v11, v10, 16, 1
	v_or_b32_e32 v12, 0x400000, v10
	v_cmp_u_f32_e64 s4, v10, v10
	v_add3_u32 v11, v11, v10, 0x7fff
	v_cndmask_b32_e64 v10, v11, v12, s4
	v_lshrrev_b32_e32 v10, 16, v10
	buffer_store_dword v10, off, s[0:3], s32 offset:404 ; 4-byte Folded Spill
	s_and_saveexec_b32 s13, vcc_lo
	s_cbranch_execz .LBB399_2541
; %bb.2540:                             ;   in Loop: Header=BB399_2079 Depth=1
	buffer_load_dword v10, off, s[0:3], s32 offset:408 ; 4-byte Folded Reload
	v_cmp_lt_i32_e64 s4, v125, v124
	s_waitcnt vmcnt(0)
	v_cndmask_b32_e64 v10, 0, v10, s4
	v_cmp_lt_i32_e64 s4, v113, v124
	buffer_store_dword v10, off, s[0:3], s32 offset:408 ; 4-byte Folded Spill
	buffer_load_dword v10, off, s[0:3], s32 offset:412 ; 4-byte Folded Reload
	s_waitcnt vmcnt(0)
	v_cndmask_b32_e64 v10, 0, v10, s4
	v_cmp_lt_i32_e64 s4, v38, v124
	buffer_store_dword v10, off, s[0:3], s32 offset:412 ; 4-byte Folded Spill
	buffer_load_dword v10, off, s[0:3], s32 offset:396 ; 4-byte Folded Reload
	;; [unrolled: 5-line block ×7, first 2 shown]
	s_waitcnt vmcnt(0)
	v_cndmask_b32_e64 v10, 0, v10, s4
	buffer_store_dword v10, off, s[0:3], s32 offset:404 ; 4-byte Folded Spill
.LBB399_2541:                           ;   in Loop: Header=BB399_2079 Depth=1
	s_or_b32 exec_lo, exec_lo, s13
	flat_load_dwordx2 v[19:20], v[17:18] offset:1792
	v_mov_b32_e32 v11, 0
	v_mov_b32_e32 v10, 0
	s_waitcnt vmcnt(0) lgkmcnt(0)
	v_cmp_ne_u16_sdwa s4, v19, v13 src0_sel:BYTE_0 src1_sel:DWORD
	s_and_saveexec_b32 s13, s4
	s_cbranch_execz .LBB399_2549
; %bb.2542:                             ;   in Loop: Header=BB399_2079 Depth=1
	v_cmp_ne_u16_sdwa s4, v19, v114 src0_sel:BYTE_0 src1_sel:DWORD
	v_bfrev_b32_e32 v10, 1
	s_and_saveexec_b32 s15, s4
	s_cbranch_execz .LBB399_2548
; %bb.2543:                             ;   in Loop: Header=BB399_2079 Depth=1
	v_and_b32_e32 v12, 0x7f, v19
	v_mov_b32_e32 v10, 0x7f800001
	s_mov_b32 s18, exec_lo
	v_cmpx_ne_u32_e32 0x7f, v12
	s_cbranch_execz .LBB399_2547
; %bb.2544:                             ;   in Loop: Header=BB399_2079 Depth=1
	v_mov_b32_e32 v24, v20
	v_lshrrev_b32_e32 v10, 3, v12
	v_mov_b32_e32 v23, v19
	s_mov_b32 s20, exec_lo
	v_cmpx_gt_u32_e32 8, v12
; %bb.2545:                             ;   in Loop: Header=BB399_2079 Depth=1
	v_and_b32_e32 v10, 7, v19
	v_ffbh_u32_e32 v10, v10
	v_min_u32_e32 v10, 32, v10
	v_subrev_nc_u32_e32 v12, 28, v10
	v_sub_nc_u32_e32 v10, 29, v10
	v_lshlrev_b64 v[23:24], v12, v[19:20]
; %bb.2546:                             ;   in Loop: Header=BB399_2079 Depth=1
	s_or_b32 exec_lo, exec_lo, s20
	v_lshlrev_b32_e32 v12, 20, v23
	v_lshlrev_b32_e32 v16, 24, v19
	v_lshl_add_u32 v10, v10, 23, 0x3c000000
	v_and_b32_e32 v12, 0x700000, v12
	v_and_b32_e32 v16, 0x80000000, v16
	v_or3_b32 v10, v12, v16, v10
.LBB399_2547:                           ;   in Loop: Header=BB399_2079 Depth=1
	s_or_b32 exec_lo, exec_lo, s18
.LBB399_2548:                           ;   in Loop: Header=BB399_2079 Depth=1
	s_or_b32 exec_lo, exec_lo, s15
.LBB399_2549:                           ;   in Loop: Header=BB399_2079 Depth=1
	s_or_b32 exec_lo, exec_lo, s13
	v_cmp_ne_u16_sdwa s4, v19, v13 src0_sel:BYTE_1 src1_sel:DWORD
	s_and_saveexec_b32 s13, s4
	s_cbranch_execz .LBB399_2557
; %bb.2550:                             ;   in Loop: Header=BB399_2079 Depth=1
	v_cmp_ne_u16_sdwa s4, v19, v114 src0_sel:BYTE_1 src1_sel:DWORD
	v_bfrev_b32_e32 v11, 1
	s_and_saveexec_b32 s15, s4
	s_cbranch_execz .LBB399_2556
; %bb.2551:                             ;   in Loop: Header=BB399_2079 Depth=1
	v_and_b32_sdwa v12, v112, v19 dst_sel:DWORD dst_unused:UNUSED_PAD src0_sel:DWORD src1_sel:BYTE_1
	v_mov_b32_e32 v11, 0x7f800001
	s_mov_b32 s18, exec_lo
	v_and_b32_e32 v16, 0x7f, v12
	v_cmpx_ne_u32_e32 0x7f, v16
	s_cbranch_execz .LBB399_2555
; %bb.2552:                             ;   in Loop: Header=BB399_2079 Depth=1
	v_and_b32_e32 v12, 7, v12
	v_mov_b32_e32 v24, v13
	v_lshrrev_b32_e32 v11, 3, v16
	s_mov_b32 s20, exec_lo
	v_mov_b32_e32 v23, v12
	v_cmpx_gt_u32_e32 8, v16
; %bb.2553:                             ;   in Loop: Header=BB399_2079 Depth=1
	v_ffbh_u32_e32 v11, v12
	v_min_u32_e32 v11, 32, v11
	v_subrev_nc_u32_e32 v16, 28, v11
	v_sub_nc_u32_e32 v11, 29, v11
	v_lshlrev_b64 v[21:22], v16, v[12:13]
	v_and_b32_e32 v23, 7, v21
; %bb.2554:                             ;   in Loop: Header=BB399_2079 Depth=1
	s_or_b32 exec_lo, exec_lo, s20
	v_lshlrev_b32_e32 v12, 16, v19
	v_lshlrev_b32_e32 v16, 20, v23
	v_lshl_add_u32 v11, v11, 23, 0x3c000000
	v_and_b32_e32 v12, 0x80000000, v12
	v_or3_b32 v11, v16, v12, v11
.LBB399_2555:                           ;   in Loop: Header=BB399_2079 Depth=1
	s_or_b32 exec_lo, exec_lo, s18
.LBB399_2556:                           ;   in Loop: Header=BB399_2079 Depth=1
	s_or_b32 exec_lo, exec_lo, s15
.LBB399_2557:                           ;   in Loop: Header=BB399_2079 Depth=1
	s_or_b32 exec_lo, exec_lo, s13
	v_and_b32_sdwa v12, v19, v116 dst_sel:DWORD dst_unused:UNUSED_PAD src0_sel:WORD_1 src1_sel:DWORD
	v_mov_b32_e32 v21, 0
	v_mov_b32_e32 v16, 0
	s_mov_b32 s13, exec_lo
	v_cmpx_ne_u16_e32 0, v12
	s_cbranch_execz .LBB399_2565
; %bb.2558:                             ;   in Loop: Header=BB399_2079 Depth=1
	v_bfrev_b32_e32 v16, 1
	s_mov_b32 s15, exec_lo
	v_cmpx_ne_u16_e32 0x80, v12
	s_cbranch_execz .LBB399_2564
; %bb.2559:                             ;   in Loop: Header=BB399_2079 Depth=1
	v_bfe_u32 v22, v19, 16, 7
	v_mov_b32_e32 v16, 0x7f800001
	s_mov_b32 s18, exec_lo
	v_cmpx_ne_u32_e32 0x7f, v22
	s_cbranch_execz .LBB399_2563
; %bb.2560:                             ;   in Loop: Header=BB399_2079 Depth=1
	v_and_b32_sdwa v12, v19, v115 dst_sel:DWORD dst_unused:UNUSED_PAD src0_sel:WORD_1 src1_sel:DWORD
	v_mov_b32_e32 v24, v13
	v_lshrrev_b32_e32 v16, 3, v22
	s_mov_b32 s20, exec_lo
	v_mov_b32_e32 v23, v12
	v_cmpx_gt_u32_e32 8, v22
; %bb.2561:                             ;   in Loop: Header=BB399_2079 Depth=1
	v_ffbh_u32_e32 v16, v12
	v_min_u32_e32 v16, 32, v16
	v_subrev_nc_u32_e32 v22, 28, v16
	v_sub_nc_u32_e32 v16, 29, v16
	v_lshlrev_b64 v[22:23], v22, v[12:13]
	v_and_b32_e32 v23, 7, v22
; %bb.2562:                             ;   in Loop: Header=BB399_2079 Depth=1
	s_or_b32 exec_lo, exec_lo, s20
	v_lshlrev_b32_sdwa v12, v39, v19 dst_sel:DWORD dst_unused:UNUSED_PAD src0_sel:DWORD src1_sel:WORD_1
	v_lshlrev_b32_e32 v22, 20, v23
	v_lshl_add_u32 v16, v16, 23, 0x3c000000
	v_and_b32_e32 v12, 0x80000000, v12
	v_or3_b32 v16, v22, v12, v16
.LBB399_2563:                           ;   in Loop: Header=BB399_2079 Depth=1
	s_or_b32 exec_lo, exec_lo, s18
.LBB399_2564:                           ;   in Loop: Header=BB399_2079 Depth=1
	s_or_b32 exec_lo, exec_lo, s15
.LBB399_2565:                           ;   in Loop: Header=BB399_2079 Depth=1
	s_or_b32 exec_lo, exec_lo, s13
	s_mov_b32 s13, exec_lo
	v_cmpx_lt_u32_e32 0xffffff, v19
	s_cbranch_execz .LBB399_2573
; %bb.2566:                             ;   in Loop: Header=BB399_2079 Depth=1
	v_cmp_ne_u32_sdwa s4, v19, v114 src0_sel:BYTE_3 src1_sel:DWORD
	v_bfrev_b32_e32 v21, 1
	s_and_saveexec_b32 s15, s4
	s_cbranch_execz .LBB399_2572
; %bb.2567:                             ;   in Loop: Header=BB399_2079 Depth=1
	v_bfe_u32 v22, v19, 24, 7
	v_mov_b32_e32 v21, 0x7f800001
	s_mov_b32 s18, exec_lo
	v_cmpx_ne_u32_e32 0x7f, v22
	s_cbranch_execz .LBB399_2571
; %bb.2568:                             ;   in Loop: Header=BB399_2079 Depth=1
	v_and_b32_sdwa v12, v19, v115 dst_sel:DWORD dst_unused:UNUSED_PAD src0_sel:BYTE_3 src1_sel:DWORD
	v_mov_b32_e32 v24, v13
	v_lshrrev_b32_e32 v21, 3, v22
	s_mov_b32 s20, exec_lo
	v_mov_b32_e32 v23, v12
	v_cmpx_gt_u32_e32 8, v22
; %bb.2569:                             ;   in Loop: Header=BB399_2079 Depth=1
	v_ffbh_u32_e32 v21, v12
	v_min_u32_e32 v21, 32, v21
	v_subrev_nc_u32_e32 v22, 28, v21
	v_sub_nc_u32_e32 v21, 29, v21
	v_lshlrev_b64 v[22:23], v22, v[12:13]
	v_and_b32_e32 v23, 7, v22
; %bb.2570:                             ;   in Loop: Header=BB399_2079 Depth=1
	s_or_b32 exec_lo, exec_lo, s20
	v_lshlrev_b32_sdwa v12, v39, v19 dst_sel:DWORD dst_unused:UNUSED_PAD src0_sel:DWORD src1_sel:BYTE_3
	v_lshlrev_b32_e32 v22, 20, v23
	v_lshl_add_u32 v21, v21, 23, 0x3c000000
	v_and_b32_e32 v12, 0x80000000, v12
	v_or3_b32 v21, v22, v12, v21
.LBB399_2571:                           ;   in Loop: Header=BB399_2079 Depth=1
	s_or_b32 exec_lo, exec_lo, s18
.LBB399_2572:                           ;   in Loop: Header=BB399_2079 Depth=1
	s_or_b32 exec_lo, exec_lo, s15
.LBB399_2573:                           ;   in Loop: Header=BB399_2079 Depth=1
	s_or_b32 exec_lo, exec_lo, s13
	v_mov_b32_e32 v12, v20
	v_cmp_ne_u16_sdwa s4, v20, v13 src0_sel:BYTE_0 src1_sel:DWORD
	v_mov_b32_e32 v28, 0
	v_mov_b32_e32 v26, 0
	s_and_saveexec_b32 s13, s4
	s_cbranch_execz .LBB399_2581
; %bb.2574:                             ;   in Loop: Header=BB399_2079 Depth=1
	v_cmp_ne_u16_sdwa s4, v20, v114 src0_sel:BYTE_0 src1_sel:DWORD
	v_bfrev_b32_e32 v26, 1
	s_and_saveexec_b32 s15, s4
	s_cbranch_execz .LBB399_2580
; %bb.2575:                             ;   in Loop: Header=BB399_2079 Depth=1
	v_and_b32_e32 v23, 0x7f, v20
	v_mov_b32_e32 v26, 0x7f800001
	s_mov_b32 s18, exec_lo
	v_cmpx_ne_u32_e32 0x7f, v23
	s_cbranch_execz .LBB399_2579
; %bb.2576:                             ;   in Loop: Header=BB399_2079 Depth=1
	v_lshrrev_b32_e32 v22, 3, v23
	v_cmp_gt_u32_e64 s4, 8, v23
	v_mov_b32_e32 v24, v13
	v_mov_b32_e32 v23, v12
	s_and_saveexec_b32 s20, s4
; %bb.2577:                             ;   in Loop: Header=BB399_2079 Depth=1
	v_and_b32_e32 v22, 7, v20
	v_ffbh_u32_e32 v22, v22
	v_min_u32_e32 v22, 32, v22
	v_subrev_nc_u32_e32 v23, 28, v22
	v_sub_nc_u32_e32 v22, 29, v22
	v_lshlrev_b64 v[23:24], v23, v[12:13]
; %bb.2578:                             ;   in Loop: Header=BB399_2079 Depth=1
	s_or_b32 exec_lo, exec_lo, s20
	v_lshlrev_b32_e32 v23, 20, v23
	v_lshlrev_b32_e32 v24, 24, v12
	v_lshl_add_u32 v22, v22, 23, 0x3c000000
	v_and_b32_e32 v23, 0x700000, v23
	v_and_b32_e32 v24, 0x80000000, v24
	v_or3_b32 v26, v23, v24, v22
.LBB399_2579:                           ;   in Loop: Header=BB399_2079 Depth=1
	s_or_b32 exec_lo, exec_lo, s18
.LBB399_2580:                           ;   in Loop: Header=BB399_2079 Depth=1
	s_or_b32 exec_lo, exec_lo, s15
.LBB399_2581:                           ;   in Loop: Header=BB399_2079 Depth=1
	s_or_b32 exec_lo, exec_lo, s13
	v_cmp_ne_u16_sdwa s4, v12, v13 src0_sel:BYTE_1 src1_sel:DWORD
	s_and_saveexec_b32 s13, s4
	s_cbranch_execz .LBB399_2589
; %bb.2582:                             ;   in Loop: Header=BB399_2079 Depth=1
	v_cmp_ne_u16_sdwa s4, v12, v114 src0_sel:BYTE_1 src1_sel:DWORD
	v_bfrev_b32_e32 v28, 1
	s_and_saveexec_b32 s15, s4
	s_cbranch_execz .LBB399_2588
; %bb.2583:                             ;   in Loop: Header=BB399_2079 Depth=1
	v_and_b32_sdwa v22, v112, v12 dst_sel:DWORD dst_unused:UNUSED_PAD src0_sel:DWORD src1_sel:BYTE_1
	v_mov_b32_e32 v28, 0x7f800001
	s_mov_b32 s18, exec_lo
	v_and_b32_e32 v25, 0x7f, v22
	v_cmpx_ne_u32_e32 0x7f, v25
	s_cbranch_execz .LBB399_2587
; %bb.2584:                             ;   in Loop: Header=BB399_2079 Depth=1
	v_and_b32_e32 v23, 7, v22
	v_mov_b32_e32 v24, v13
	v_lshrrev_b32_e32 v22, 3, v25
	s_mov_b32 s20, exec_lo
	v_cmpx_gt_u32_e32 8, v25
; %bb.2585:                             ;   in Loop: Header=BB399_2079 Depth=1
	v_ffbh_u32_e32 v22, v23
	v_min_u32_e32 v22, 32, v22
	v_subrev_nc_u32_e32 v25, 28, v22
	v_sub_nc_u32_e32 v22, 29, v22
	v_lshlrev_b64 v[23:24], v25, v[23:24]
	v_and_b32_e32 v23, 7, v23
; %bb.2586:                             ;   in Loop: Header=BB399_2079 Depth=1
	s_or_b32 exec_lo, exec_lo, s20
	v_lshlrev_b32_e32 v12, 16, v12
	v_lshlrev_b32_e32 v23, 20, v23
	v_lshl_add_u32 v22, v22, 23, 0x3c000000
	v_and_b32_e32 v12, 0x80000000, v12
	v_or3_b32 v28, v23, v12, v22
.LBB399_2587:                           ;   in Loop: Header=BB399_2079 Depth=1
	s_or_b32 exec_lo, exec_lo, s18
.LBB399_2588:                           ;   in Loop: Header=BB399_2079 Depth=1
	s_or_b32 exec_lo, exec_lo, s15
.LBB399_2589:                           ;   in Loop: Header=BB399_2079 Depth=1
	s_or_b32 exec_lo, exec_lo, s13
	v_and_b32_sdwa v12, v20, v116 dst_sel:DWORD dst_unused:UNUSED_PAD src0_sel:WORD_1 src1_sel:DWORD
	v_mov_b32_e32 v22, 0
	v_mov_b32_e32 v25, 0
	s_mov_b32 s13, exec_lo
	v_cmpx_ne_u16_e32 0, v12
	s_cbranch_execz .LBB399_2597
; %bb.2590:                             ;   in Loop: Header=BB399_2079 Depth=1
	v_bfrev_b32_e32 v25, 1
	s_mov_b32 s15, exec_lo
	v_cmpx_ne_u16_e32 0x80, v12
	s_cbranch_execz .LBB399_2596
; %bb.2591:                             ;   in Loop: Header=BB399_2079 Depth=1
	v_bfe_u32 v23, v20, 16, 7
	v_mov_b32_e32 v25, 0x7f800001
	s_mov_b32 s18, exec_lo
	v_cmpx_ne_u32_e32 0x7f, v23
	s_cbranch_execz .LBB399_2595
; %bb.2592:                             ;   in Loop: Header=BB399_2079 Depth=1
	v_and_b32_sdwa v12, v20, v115 dst_sel:DWORD dst_unused:UNUSED_PAD src0_sel:WORD_1 src1_sel:DWORD
	v_lshrrev_b32_e32 v25, 3, v23
	v_cmp_gt_u32_e64 s4, 8, v23
	v_mov_b32_e32 v24, v13
	v_mov_b32_e32 v23, v12
	s_and_saveexec_b32 s20, s4
; %bb.2593:                             ;   in Loop: Header=BB399_2079 Depth=1
	v_ffbh_u32_e32 v23, v12
	v_min_u32_e32 v25, 32, v23
	v_subrev_nc_u32_e32 v23, 28, v25
	v_sub_nc_u32_e32 v25, 29, v25
	v_lshlrev_b64 v[23:24], v23, v[12:13]
	v_and_b32_e32 v23, 7, v23
; %bb.2594:                             ;   in Loop: Header=BB399_2079 Depth=1
	s_or_b32 exec_lo, exec_lo, s20
	v_lshlrev_b32_sdwa v12, v39, v20 dst_sel:DWORD dst_unused:UNUSED_PAD src0_sel:DWORD src1_sel:WORD_1
	v_lshlrev_b32_e32 v23, 20, v23
	v_lshl_add_u32 v24, v25, 23, 0x3c000000
	v_and_b32_e32 v12, 0x80000000, v12
	v_or3_b32 v25, v23, v12, v24
.LBB399_2595:                           ;   in Loop: Header=BB399_2079 Depth=1
	s_or_b32 exec_lo, exec_lo, s18
.LBB399_2596:                           ;   in Loop: Header=BB399_2079 Depth=1
	s_or_b32 exec_lo, exec_lo, s15
.LBB399_2597:                           ;   in Loop: Header=BB399_2079 Depth=1
	s_or_b32 exec_lo, exec_lo, s13
	s_mov_b32 s13, exec_lo
	v_cmpx_lt_u64_e64 s[8:9], v[19:20]
	s_cbranch_execz .LBB399_2605
; %bb.2598:                             ;   in Loop: Header=BB399_2079 Depth=1
	v_cmp_ne_u32_sdwa s4, v20, v114 src0_sel:BYTE_3 src1_sel:DWORD
	v_bfrev_b32_e32 v22, 1
	s_and_saveexec_b32 s15, s4
	s_cbranch_execz .LBB399_2604
; %bb.2599:                             ;   in Loop: Header=BB399_2079 Depth=1
	v_bfe_u32 v23, v20, 24, 7
	v_mov_b32_e32 v22, 0x7f800001
	s_mov_b32 s18, exec_lo
	v_cmpx_ne_u32_e32 0x7f, v23
	s_cbranch_execz .LBB399_2603
; %bb.2600:                             ;   in Loop: Header=BB399_2079 Depth=1
	v_and_b32_sdwa v12, v20, v115 dst_sel:DWORD dst_unused:UNUSED_PAD src0_sel:BYTE_3 src1_sel:DWORD
	v_lshrrev_b32_e32 v19, 3, v23
	v_cmp_gt_u32_e64 s4, 8, v23
	v_mov_b32_e32 v24, v13
	v_mov_b32_e32 v23, v12
	s_and_saveexec_b32 s20, s4
; %bb.2601:                             ;   in Loop: Header=BB399_2079 Depth=1
	v_ffbh_u32_e32 v19, v12
	v_min_u32_e32 v19, 32, v19
	v_subrev_nc_u32_e32 v22, 28, v19
	v_sub_nc_u32_e32 v19, 29, v19
	v_lshlrev_b64 v[22:23], v22, v[12:13]
	v_and_b32_e32 v23, 7, v22
; %bb.2602:                             ;   in Loop: Header=BB399_2079 Depth=1
	s_or_b32 exec_lo, exec_lo, s20
	v_lshlrev_b32_sdwa v12, v39, v20 dst_sel:DWORD dst_unused:UNUSED_PAD src0_sel:DWORD src1_sel:BYTE_3
	v_lshlrev_b32_e32 v20, 20, v23
	v_lshl_add_u32 v19, v19, 23, 0x3c000000
	v_and_b32_e32 v12, 0x80000000, v12
	v_or3_b32 v22, v20, v12, v19
.LBB399_2603:                           ;   in Loop: Header=BB399_2079 Depth=1
	s_or_b32 exec_lo, exec_lo, s18
.LBB399_2604:                           ;   in Loop: Header=BB399_2079 Depth=1
	s_or_b32 exec_lo, exec_lo, s15
.LBB399_2605:                           ;   in Loop: Header=BB399_2079 Depth=1
	s_or_b32 exec_lo, exec_lo, s13
	v_mul_f32_e32 v12, v27, v28
	v_mul_f32_e32 v11, v27, v11
	;; [unrolled: 1-line block ×3, first 2 shown]
	v_bfe_u32 v19, v12, 16, 1
	v_or_b32_e32 v20, 0x400000, v12
	v_cmp_u_f32_e64 s4, v12, v12
	v_add3_u32 v19, v19, v12, 0x7fff
	v_cndmask_b32_e64 v12, v19, v20, s4
	v_lshrrev_b32_e32 v12, 16, v12
	buffer_store_dword v12, off, s[0:3], s32 offset:420 ; 4-byte Folded Spill
	v_mul_f32_e32 v12, v27, v26
	v_bfe_u32 v19, v12, 16, 1
	v_or_b32_e32 v20, 0x400000, v12
	v_cmp_u_f32_e64 s4, v12, v12
	v_add3_u32 v19, v19, v12, 0x7fff
	v_cndmask_b32_e64 v12, v19, v20, s4
	v_lshrrev_b32_e32 v12, 16, v12
	buffer_store_dword v12, off, s[0:3], s32 offset:416 ; 4-byte Folded Spill
	v_mul_f32_e32 v12, v27, v21
	v_bfe_u32 v19, v12, 16, 1
	v_or_b32_e32 v20, 0x400000, v12
	v_cmp_u_f32_e64 s4, v12, v12
	v_add3_u32 v19, v19, v12, 0x7fff
	v_cndmask_b32_e64 v12, v19, v20, s4
	v_lshrrev_b32_e32 v12, 16, v12
	buffer_store_dword v12, off, s[0:3], s32 offset:424 ; 4-byte Folded Spill
	v_mul_f32_e32 v12, v27, v16
	v_bfe_u32 v16, v12, 16, 1
	v_or_b32_e32 v19, 0x400000, v12
	v_cmp_u_f32_e64 s4, v12, v12
	v_add3_u32 v16, v16, v12, 0x7fff
	v_cndmask_b32_e64 v12, v16, v19, s4
	v_or_b32_e32 v16, 0x400000, v11
	v_cmp_u_f32_e64 s4, v11, v11
	v_lshrrev_b32_e32 v12, 16, v12
	buffer_store_dword v12, off, s[0:3], s32 offset:428 ; 4-byte Folded Spill
	v_bfe_u32 v12, v11, 16, 1
	v_add3_u32 v12, v12, v11, 0x7fff
	v_cndmask_b32_e64 v11, v12, v16, s4
	v_or_b32_e32 v12, 0x400000, v10
	v_cmp_u_f32_e64 s4, v10, v10
	v_lshrrev_b32_e32 v11, 16, v11
	buffer_store_dword v11, off, s[0:3], s32 offset:440 ; 4-byte Folded Spill
	v_bfe_u32 v11, v10, 16, 1
	v_add3_u32 v11, v11, v10, 0x7fff
	v_cndmask_b32_e64 v10, v11, v12, s4
	v_lshrrev_b32_e32 v10, 16, v10
	buffer_store_dword v10, off, s[0:3], s32 offset:444 ; 4-byte Folded Spill
	v_mul_f32_e32 v10, v27, v25
	v_bfe_u32 v11, v10, 16, 1
	v_or_b32_e32 v12, 0x400000, v10
	v_cmp_u_f32_e64 s4, v10, v10
	v_add3_u32 v11, v11, v10, 0x7fff
	v_cndmask_b32_e64 v10, v11, v12, s4
	v_lshrrev_b32_e32 v10, 16, v10
	buffer_store_dword v10, off, s[0:3], s32 offset:432 ; 4-byte Folded Spill
	v_mul_f32_e32 v10, v27, v22
	v_bfe_u32 v11, v10, 16, 1
	v_or_b32_e32 v12, 0x400000, v10
	v_cmp_u_f32_e64 s4, v10, v10
	v_add3_u32 v11, v11, v10, 0x7fff
	v_cndmask_b32_e64 v10, v11, v12, s4
	v_lshrrev_b32_e32 v10, 16, v10
	buffer_store_dword v10, off, s[0:3], s32 offset:436 ; 4-byte Folded Spill
	s_and_saveexec_b32 s13, vcc_lo
	s_cbranch_execz .LBB399_2607
; %bb.2606:                             ;   in Loop: Header=BB399_2079 Depth=1
	buffer_load_dword v10, off, s[0:3], s32 offset:444 ; 4-byte Folded Reload
	v_cmp_lt_i32_e64 s4, v125, v124
	s_waitcnt vmcnt(0)
	v_cndmask_b32_e64 v10, 0, v10, s4
	v_cmp_lt_i32_e64 s4, v113, v124
	buffer_store_dword v10, off, s[0:3], s32 offset:444 ; 4-byte Folded Spill
	buffer_load_dword v10, off, s[0:3], s32 offset:440 ; 4-byte Folded Reload
	s_waitcnt vmcnt(0)
	v_cndmask_b32_e64 v10, 0, v10, s4
	v_cmp_lt_i32_e64 s4, v38, v124
	buffer_store_dword v10, off, s[0:3], s32 offset:440 ; 4-byte Folded Spill
	buffer_load_dword v10, off, s[0:3], s32 offset:428 ; 4-byte Folded Reload
	;; [unrolled: 5-line block ×7, first 2 shown]
	s_waitcnt vmcnt(0)
	v_cndmask_b32_e64 v10, 0, v10, s4
	buffer_store_dword v10, off, s[0:3], s32 offset:436 ; 4-byte Folded Spill
.LBB399_2607:                           ;   in Loop: Header=BB399_2079 Depth=1
	s_or_b32 exec_lo, exec_lo, s13
	v_add_co_u32 v19, s4, 0x800, v17
	v_add_co_ci_u32_e64 v20, null, 0, v18, s4
	v_mov_b32_e32 v11, 0
	v_mov_b32_e32 v10, 0
	flat_load_dwordx2 v[23:24], v[19:20]
	s_waitcnt vmcnt(0) lgkmcnt(0)
	v_cmp_ne_u16_sdwa s4, v23, v13 src0_sel:BYTE_0 src1_sel:DWORD
	s_and_saveexec_b32 s13, s4
	s_cbranch_execz .LBB399_2615
; %bb.2608:                             ;   in Loop: Header=BB399_2079 Depth=1
	v_cmp_ne_u16_sdwa s4, v23, v114 src0_sel:BYTE_0 src1_sel:DWORD
	v_bfrev_b32_e32 v10, 1
	s_and_saveexec_b32 s15, s4
	s_cbranch_execz .LBB399_2614
; %bb.2609:                             ;   in Loop: Header=BB399_2079 Depth=1
	v_and_b32_e32 v12, 0x7f, v23
	v_mov_b32_e32 v10, 0x7f800001
	s_mov_b32 s18, exec_lo
	v_cmpx_ne_u32_e32 0x7f, v12
	s_cbranch_execz .LBB399_2613
; %bb.2610:                             ;   in Loop: Header=BB399_2079 Depth=1
	v_mov_b32_e32 v26, v24
	v_lshrrev_b32_e32 v10, 3, v12
	v_mov_b32_e32 v25, v23
	s_mov_b32 s20, exec_lo
	v_cmpx_gt_u32_e32 8, v12
; %bb.2611:                             ;   in Loop: Header=BB399_2079 Depth=1
	v_and_b32_e32 v10, 7, v23
	v_ffbh_u32_e32 v10, v10
	v_min_u32_e32 v10, 32, v10
	v_subrev_nc_u32_e32 v12, 28, v10
	v_sub_nc_u32_e32 v10, 29, v10
	v_lshlrev_b64 v[25:26], v12, v[23:24]
; %bb.2612:                             ;   in Loop: Header=BB399_2079 Depth=1
	s_or_b32 exec_lo, exec_lo, s20
	v_lshlrev_b32_e32 v12, 20, v25
	v_lshlrev_b32_e32 v16, 24, v23
	v_lshl_add_u32 v10, v10, 23, 0x3c000000
	v_and_b32_e32 v12, 0x700000, v12
	v_and_b32_e32 v16, 0x80000000, v16
	v_or3_b32 v10, v12, v16, v10
.LBB399_2613:                           ;   in Loop: Header=BB399_2079 Depth=1
	s_or_b32 exec_lo, exec_lo, s18
.LBB399_2614:                           ;   in Loop: Header=BB399_2079 Depth=1
	s_or_b32 exec_lo, exec_lo, s15
.LBB399_2615:                           ;   in Loop: Header=BB399_2079 Depth=1
	s_or_b32 exec_lo, exec_lo, s13
	v_cmp_ne_u16_sdwa s4, v23, v13 src0_sel:BYTE_1 src1_sel:DWORD
	s_and_saveexec_b32 s13, s4
	s_cbranch_execz .LBB399_2623
; %bb.2616:                             ;   in Loop: Header=BB399_2079 Depth=1
	v_cmp_ne_u16_sdwa s4, v23, v114 src0_sel:BYTE_1 src1_sel:DWORD
	v_bfrev_b32_e32 v11, 1
	s_and_saveexec_b32 s15, s4
	s_cbranch_execz .LBB399_2622
; %bb.2617:                             ;   in Loop: Header=BB399_2079 Depth=1
	v_and_b32_sdwa v12, v112, v23 dst_sel:DWORD dst_unused:UNUSED_PAD src0_sel:DWORD src1_sel:BYTE_1
	v_mov_b32_e32 v11, 0x7f800001
	s_mov_b32 s18, exec_lo
	v_and_b32_e32 v16, 0x7f, v12
	v_cmpx_ne_u32_e32 0x7f, v16
	s_cbranch_execz .LBB399_2621
; %bb.2618:                             ;   in Loop: Header=BB399_2079 Depth=1
	v_and_b32_e32 v12, 7, v12
	v_mov_b32_e32 v26, v13
	v_lshrrev_b32_e32 v11, 3, v16
	s_mov_b32 s20, exec_lo
	v_mov_b32_e32 v25, v12
	v_cmpx_gt_u32_e32 8, v16
; %bb.2619:                             ;   in Loop: Header=BB399_2079 Depth=1
	v_ffbh_u32_e32 v11, v12
	v_min_u32_e32 v11, 32, v11
	v_subrev_nc_u32_e32 v16, 28, v11
	v_sub_nc_u32_e32 v11, 29, v11
	v_lshlrev_b64 v[21:22], v16, v[12:13]
	v_and_b32_e32 v25, 7, v21
; %bb.2620:                             ;   in Loop: Header=BB399_2079 Depth=1
	s_or_b32 exec_lo, exec_lo, s20
	v_lshlrev_b32_e32 v12, 16, v23
	v_lshlrev_b32_e32 v16, 20, v25
	v_lshl_add_u32 v11, v11, 23, 0x3c000000
	v_and_b32_e32 v12, 0x80000000, v12
	v_or3_b32 v11, v16, v12, v11
.LBB399_2621:                           ;   in Loop: Header=BB399_2079 Depth=1
	s_or_b32 exec_lo, exec_lo, s18
.LBB399_2622:                           ;   in Loop: Header=BB399_2079 Depth=1
	s_or_b32 exec_lo, exec_lo, s15
.LBB399_2623:                           ;   in Loop: Header=BB399_2079 Depth=1
	s_or_b32 exec_lo, exec_lo, s13
	v_and_b32_sdwa v12, v23, v116 dst_sel:DWORD dst_unused:UNUSED_PAD src0_sel:WORD_1 src1_sel:DWORD
	v_mov_b32_e32 v21, 0
	v_mov_b32_e32 v16, 0
	s_mov_b32 s13, exec_lo
	v_cmpx_ne_u16_e32 0, v12
	s_cbranch_execz .LBB399_2631
; %bb.2624:                             ;   in Loop: Header=BB399_2079 Depth=1
	v_bfrev_b32_e32 v16, 1
	s_mov_b32 s15, exec_lo
	v_cmpx_ne_u16_e32 0x80, v12
	s_cbranch_execz .LBB399_2630
; %bb.2625:                             ;   in Loop: Header=BB399_2079 Depth=1
	v_bfe_u32 v22, v23, 16, 7
	v_mov_b32_e32 v16, 0x7f800001
	s_mov_b32 s18, exec_lo
	v_cmpx_ne_u32_e32 0x7f, v22
	s_cbranch_execz .LBB399_2629
; %bb.2626:                             ;   in Loop: Header=BB399_2079 Depth=1
	v_and_b32_sdwa v12, v23, v115 dst_sel:DWORD dst_unused:UNUSED_PAD src0_sel:WORD_1 src1_sel:DWORD
	v_mov_b32_e32 v26, v13
	v_lshrrev_b32_e32 v16, 3, v22
	s_mov_b32 s20, exec_lo
	v_mov_b32_e32 v25, v12
	v_cmpx_gt_u32_e32 8, v22
; %bb.2627:                             ;   in Loop: Header=BB399_2079 Depth=1
	v_ffbh_u32_e32 v16, v12
	v_min_u32_e32 v16, 32, v16
	v_subrev_nc_u32_e32 v22, 28, v16
	v_sub_nc_u32_e32 v16, 29, v16
	v_lshlrev_b64 v[25:26], v22, v[12:13]
	v_and_b32_e32 v25, 7, v25
; %bb.2628:                             ;   in Loop: Header=BB399_2079 Depth=1
	s_or_b32 exec_lo, exec_lo, s20
	v_lshlrev_b32_sdwa v12, v39, v23 dst_sel:DWORD dst_unused:UNUSED_PAD src0_sel:DWORD src1_sel:WORD_1
	v_lshlrev_b32_e32 v22, 20, v25
	v_lshl_add_u32 v16, v16, 23, 0x3c000000
	v_and_b32_e32 v12, 0x80000000, v12
	v_or3_b32 v16, v22, v12, v16
.LBB399_2629:                           ;   in Loop: Header=BB399_2079 Depth=1
	s_or_b32 exec_lo, exec_lo, s18
.LBB399_2630:                           ;   in Loop: Header=BB399_2079 Depth=1
	s_or_b32 exec_lo, exec_lo, s15
.LBB399_2631:                           ;   in Loop: Header=BB399_2079 Depth=1
	s_or_b32 exec_lo, exec_lo, s13
	s_mov_b32 s13, exec_lo
	v_cmpx_lt_u32_e32 0xffffff, v23
	s_cbranch_execz .LBB399_2639
; %bb.2632:                             ;   in Loop: Header=BB399_2079 Depth=1
	v_cmp_ne_u32_sdwa s4, v23, v114 src0_sel:BYTE_3 src1_sel:DWORD
	v_bfrev_b32_e32 v21, 1
	s_and_saveexec_b32 s15, s4
	s_cbranch_execz .LBB399_2638
; %bb.2633:                             ;   in Loop: Header=BB399_2079 Depth=1
	v_bfe_u32 v22, v23, 24, 7
	v_mov_b32_e32 v21, 0x7f800001
	s_mov_b32 s18, exec_lo
	v_cmpx_ne_u32_e32 0x7f, v22
	s_cbranch_execz .LBB399_2637
; %bb.2634:                             ;   in Loop: Header=BB399_2079 Depth=1
	v_and_b32_sdwa v12, v23, v115 dst_sel:DWORD dst_unused:UNUSED_PAD src0_sel:BYTE_3 src1_sel:DWORD
	v_mov_b32_e32 v26, v13
	v_lshrrev_b32_e32 v21, 3, v22
	s_mov_b32 s20, exec_lo
	v_mov_b32_e32 v25, v12
	v_cmpx_gt_u32_e32 8, v22
; %bb.2635:                             ;   in Loop: Header=BB399_2079 Depth=1
	v_ffbh_u32_e32 v21, v12
	v_min_u32_e32 v21, 32, v21
	v_subrev_nc_u32_e32 v22, 28, v21
	v_sub_nc_u32_e32 v21, 29, v21
	v_lshlrev_b64 v[25:26], v22, v[12:13]
	v_and_b32_e32 v25, 7, v25
; %bb.2636:                             ;   in Loop: Header=BB399_2079 Depth=1
	s_or_b32 exec_lo, exec_lo, s20
	v_lshlrev_b32_sdwa v12, v39, v23 dst_sel:DWORD dst_unused:UNUSED_PAD src0_sel:DWORD src1_sel:BYTE_3
	v_lshlrev_b32_e32 v22, 20, v25
	v_lshl_add_u32 v21, v21, 23, 0x3c000000
	v_and_b32_e32 v12, 0x80000000, v12
	v_or3_b32 v21, v22, v12, v21
.LBB399_2637:                           ;   in Loop: Header=BB399_2079 Depth=1
	s_or_b32 exec_lo, exec_lo, s18
.LBB399_2638:                           ;   in Loop: Header=BB399_2079 Depth=1
	s_or_b32 exec_lo, exec_lo, s15
.LBB399_2639:                           ;   in Loop: Header=BB399_2079 Depth=1
	s_or_b32 exec_lo, exec_lo, s13
	v_mov_b32_e32 v12, v24
	v_cmp_ne_u16_sdwa s4, v24, v13 src0_sel:BYTE_0 src1_sel:DWORD
	v_mov_b32_e32 v30, 0
	v_mov_b32_e32 v29, 0
	s_and_saveexec_b32 s13, s4
	s_cbranch_execz .LBB399_2647
; %bb.2640:                             ;   in Loop: Header=BB399_2079 Depth=1
	v_cmp_ne_u16_sdwa s4, v24, v114 src0_sel:BYTE_0 src1_sel:DWORD
	v_bfrev_b32_e32 v29, 1
	s_and_saveexec_b32 s15, s4
	s_cbranch_execz .LBB399_2646
; %bb.2641:                             ;   in Loop: Header=BB399_2079 Depth=1
	v_and_b32_e32 v25, 0x7f, v24
	v_mov_b32_e32 v29, 0x7f800001
	s_mov_b32 s18, exec_lo
	v_cmpx_ne_u32_e32 0x7f, v25
	s_cbranch_execz .LBB399_2645
; %bb.2642:                             ;   in Loop: Header=BB399_2079 Depth=1
	v_lshrrev_b32_e32 v22, 3, v25
	v_cmp_gt_u32_e64 s4, 8, v25
	v_mov_b32_e32 v26, v13
	v_mov_b32_e32 v25, v12
	s_and_saveexec_b32 s20, s4
; %bb.2643:                             ;   in Loop: Header=BB399_2079 Depth=1
	v_and_b32_e32 v22, 7, v24
	v_ffbh_u32_e32 v22, v22
	v_min_u32_e32 v22, 32, v22
	v_subrev_nc_u32_e32 v25, 28, v22
	v_sub_nc_u32_e32 v22, 29, v22
	v_lshlrev_b64 v[25:26], v25, v[12:13]
; %bb.2644:                             ;   in Loop: Header=BB399_2079 Depth=1
	s_or_b32 exec_lo, exec_lo, s20
	v_lshlrev_b32_e32 v25, 20, v25
	v_lshlrev_b32_e32 v26, 24, v12
	v_lshl_add_u32 v22, v22, 23, 0x3c000000
	v_and_b32_e32 v25, 0x700000, v25
	v_and_b32_e32 v26, 0x80000000, v26
	v_or3_b32 v29, v25, v26, v22
.LBB399_2645:                           ;   in Loop: Header=BB399_2079 Depth=1
	s_or_b32 exec_lo, exec_lo, s18
.LBB399_2646:                           ;   in Loop: Header=BB399_2079 Depth=1
	s_or_b32 exec_lo, exec_lo, s15
.LBB399_2647:                           ;   in Loop: Header=BB399_2079 Depth=1
	s_or_b32 exec_lo, exec_lo, s13
	v_cmp_ne_u16_sdwa s4, v12, v13 src0_sel:BYTE_1 src1_sel:DWORD
	s_and_saveexec_b32 s13, s4
	s_cbranch_execz .LBB399_2655
; %bb.2648:                             ;   in Loop: Header=BB399_2079 Depth=1
	v_cmp_ne_u16_sdwa s4, v12, v114 src0_sel:BYTE_1 src1_sel:DWORD
	v_bfrev_b32_e32 v30, 1
	s_and_saveexec_b32 s15, s4
	s_cbranch_execz .LBB399_2654
; %bb.2649:                             ;   in Loop: Header=BB399_2079 Depth=1
	v_and_b32_sdwa v22, v112, v12 dst_sel:DWORD dst_unused:UNUSED_PAD src0_sel:DWORD src1_sel:BYTE_1
	v_mov_b32_e32 v30, 0x7f800001
	s_mov_b32 s18, exec_lo
	v_and_b32_e32 v28, 0x7f, v22
	v_cmpx_ne_u32_e32 0x7f, v28
	s_cbranch_execz .LBB399_2653
; %bb.2650:                             ;   in Loop: Header=BB399_2079 Depth=1
	v_and_b32_e32 v25, 7, v22
	v_mov_b32_e32 v26, v13
	v_lshrrev_b32_e32 v22, 3, v28
	s_mov_b32 s20, exec_lo
	v_cmpx_gt_u32_e32 8, v28
; %bb.2651:                             ;   in Loop: Header=BB399_2079 Depth=1
	v_ffbh_u32_e32 v22, v25
	v_min_u32_e32 v22, 32, v22
	v_subrev_nc_u32_e32 v28, 28, v22
	v_sub_nc_u32_e32 v22, 29, v22
	v_lshlrev_b64 v[25:26], v28, v[25:26]
	v_and_b32_e32 v25, 7, v25
; %bb.2652:                             ;   in Loop: Header=BB399_2079 Depth=1
	s_or_b32 exec_lo, exec_lo, s20
	v_lshlrev_b32_e32 v12, 16, v12
	v_lshlrev_b32_e32 v25, 20, v25
	v_lshl_add_u32 v22, v22, 23, 0x3c000000
	v_and_b32_e32 v12, 0x80000000, v12
	v_or3_b32 v30, v25, v12, v22
.LBB399_2653:                           ;   in Loop: Header=BB399_2079 Depth=1
	s_or_b32 exec_lo, exec_lo, s18
.LBB399_2654:                           ;   in Loop: Header=BB399_2079 Depth=1
	s_or_b32 exec_lo, exec_lo, s15
.LBB399_2655:                           ;   in Loop: Header=BB399_2079 Depth=1
	s_or_b32 exec_lo, exec_lo, s13
	v_and_b32_sdwa v12, v24, v116 dst_sel:DWORD dst_unused:UNUSED_PAD src0_sel:WORD_1 src1_sel:DWORD
	v_mov_b32_e32 v22, 0
	v_mov_b32_e32 v28, 0
	s_mov_b32 s13, exec_lo
	v_cmpx_ne_u16_e32 0, v12
	s_cbranch_execz .LBB399_2663
; %bb.2656:                             ;   in Loop: Header=BB399_2079 Depth=1
	v_bfrev_b32_e32 v28, 1
	s_mov_b32 s15, exec_lo
	v_cmpx_ne_u16_e32 0x80, v12
	s_cbranch_execz .LBB399_2662
; %bb.2657:                             ;   in Loop: Header=BB399_2079 Depth=1
	v_bfe_u32 v25, v24, 16, 7
	v_mov_b32_e32 v28, 0x7f800001
	s_mov_b32 s18, exec_lo
	v_cmpx_ne_u32_e32 0x7f, v25
	s_cbranch_execz .LBB399_2661
; %bb.2658:                             ;   in Loop: Header=BB399_2079 Depth=1
	v_and_b32_sdwa v12, v24, v115 dst_sel:DWORD dst_unused:UNUSED_PAD src0_sel:WORD_1 src1_sel:DWORD
	v_lshrrev_b32_e32 v28, 3, v25
	v_cmp_gt_u32_e64 s4, 8, v25
	v_mov_b32_e32 v26, v13
	v_mov_b32_e32 v25, v12
	s_and_saveexec_b32 s20, s4
; %bb.2659:                             ;   in Loop: Header=BB399_2079 Depth=1
	v_ffbh_u32_e32 v25, v12
	v_min_u32_e32 v28, 32, v25
	v_subrev_nc_u32_e32 v25, 28, v28
	v_sub_nc_u32_e32 v28, 29, v28
	v_lshlrev_b64 v[25:26], v25, v[12:13]
	v_and_b32_e32 v25, 7, v25
; %bb.2660:                             ;   in Loop: Header=BB399_2079 Depth=1
	s_or_b32 exec_lo, exec_lo, s20
	v_lshlrev_b32_sdwa v12, v39, v24 dst_sel:DWORD dst_unused:UNUSED_PAD src0_sel:DWORD src1_sel:WORD_1
	v_lshlrev_b32_e32 v25, 20, v25
	v_lshl_add_u32 v26, v28, 23, 0x3c000000
	v_and_b32_e32 v12, 0x80000000, v12
	v_or3_b32 v28, v25, v12, v26
.LBB399_2661:                           ;   in Loop: Header=BB399_2079 Depth=1
	s_or_b32 exec_lo, exec_lo, s18
.LBB399_2662:                           ;   in Loop: Header=BB399_2079 Depth=1
	s_or_b32 exec_lo, exec_lo, s15
.LBB399_2663:                           ;   in Loop: Header=BB399_2079 Depth=1
	s_or_b32 exec_lo, exec_lo, s13
	s_mov_b32 s13, exec_lo
	v_cmpx_lt_u64_e64 s[8:9], v[23:24]
	s_cbranch_execz .LBB399_2671
; %bb.2664:                             ;   in Loop: Header=BB399_2079 Depth=1
	v_cmp_ne_u32_sdwa s4, v24, v114 src0_sel:BYTE_3 src1_sel:DWORD
	v_bfrev_b32_e32 v22, 1
	s_and_saveexec_b32 s15, s4
	s_cbranch_execz .LBB399_2670
; %bb.2665:                             ;   in Loop: Header=BB399_2079 Depth=1
	v_bfe_u32 v23, v24, 24, 7
	v_mov_b32_e32 v22, 0x7f800001
	s_mov_b32 s18, exec_lo
	v_cmpx_ne_u32_e32 0x7f, v23
	s_cbranch_execz .LBB399_2669
; %bb.2666:                             ;   in Loop: Header=BB399_2079 Depth=1
	v_and_b32_sdwa v12, v24, v115 dst_sel:DWORD dst_unused:UNUSED_PAD src0_sel:BYTE_3 src1_sel:DWORD
	v_mov_b32_e32 v26, v13
	v_lshrrev_b32_e32 v22, 3, v23
	s_mov_b32 s20, exec_lo
	v_mov_b32_e32 v25, v12
	v_cmpx_gt_u32_e32 8, v23
; %bb.2667:                             ;   in Loop: Header=BB399_2079 Depth=1
	v_ffbh_u32_e32 v22, v12
	v_min_u32_e32 v22, 32, v22
	v_subrev_nc_u32_e32 v23, 28, v22
	v_sub_nc_u32_e32 v22, 29, v22
	v_lshlrev_b64 v[25:26], v23, v[12:13]
	v_and_b32_e32 v25, 7, v25
; %bb.2668:                             ;   in Loop: Header=BB399_2079 Depth=1
	s_or_b32 exec_lo, exec_lo, s20
	v_lshlrev_b32_sdwa v12, v39, v24 dst_sel:DWORD dst_unused:UNUSED_PAD src0_sel:DWORD src1_sel:BYTE_3
	v_lshlrev_b32_e32 v23, 20, v25
	v_lshl_add_u32 v22, v22, 23, 0x3c000000
	v_and_b32_e32 v12, 0x80000000, v12
	v_or3_b32 v22, v23, v12, v22
.LBB399_2669:                           ;   in Loop: Header=BB399_2079 Depth=1
	s_or_b32 exec_lo, exec_lo, s18
.LBB399_2670:                           ;   in Loop: Header=BB399_2079 Depth=1
	s_or_b32 exec_lo, exec_lo, s15
.LBB399_2671:                           ;   in Loop: Header=BB399_2079 Depth=1
	s_or_b32 exec_lo, exec_lo, s13
	v_mul_f32_e32 v12, v27, v30
	v_mul_f32_e32 v11, v27, v11
	;; [unrolled: 1-line block ×3, first 2 shown]
	v_bfe_u32 v23, v12, 16, 1
	v_or_b32_e32 v24, 0x400000, v12
	v_cmp_u_f32_e64 s4, v12, v12
	v_add3_u32 v23, v23, v12, 0x7fff
	v_cndmask_b32_e64 v12, v23, v24, s4
	v_lshrrev_b32_e32 v12, 16, v12
	buffer_store_dword v12, off, s[0:3], s32 offset:448 ; 4-byte Folded Spill
	v_mul_f32_e32 v12, v27, v29
	v_bfe_u32 v23, v12, 16, 1
	v_or_b32_e32 v24, 0x400000, v12
	v_cmp_u_f32_e64 s4, v12, v12
	v_add3_u32 v23, v23, v12, 0x7fff
	v_cndmask_b32_e64 v12, v23, v24, s4
	v_lshrrev_b32_e32 v12, 16, v12
	buffer_store_dword v12, off, s[0:3], s32 offset:452 ; 4-byte Folded Spill
	v_mul_f32_e32 v12, v27, v21
	;; [unrolled: 8-line block ×3, first 2 shown]
	v_bfe_u32 v16, v12, 16, 1
	v_or_b32_e32 v21, 0x400000, v12
	v_cmp_u_f32_e64 s4, v12, v12
	v_add3_u32 v16, v16, v12, 0x7fff
	v_cndmask_b32_e64 v12, v16, v21, s4
	v_or_b32_e32 v16, 0x400000, v11
	v_cmp_u_f32_e64 s4, v11, v11
	v_lshrrev_b32_e32 v12, 16, v12
	buffer_store_dword v12, off, s[0:3], s32 offset:460 ; 4-byte Folded Spill
	v_bfe_u32 v12, v11, 16, 1
	v_add3_u32 v12, v12, v11, 0x7fff
	v_cndmask_b32_e64 v11, v12, v16, s4
	v_or_b32_e32 v12, 0x400000, v10
	v_cmp_u_f32_e64 s4, v10, v10
	v_lshrrev_b32_e32 v11, 16, v11
	buffer_store_dword v11, off, s[0:3], s32 offset:468 ; 4-byte Folded Spill
	v_bfe_u32 v11, v10, 16, 1
	v_add3_u32 v11, v11, v10, 0x7fff
	v_cndmask_b32_e64 v10, v11, v12, s4
	v_lshrrev_b32_e32 v10, 16, v10
	buffer_store_dword v10, off, s[0:3], s32 offset:472 ; 4-byte Folded Spill
	v_mul_f32_e32 v10, v27, v28
	v_bfe_u32 v11, v10, 16, 1
	v_or_b32_e32 v12, 0x400000, v10
	v_cmp_u_f32_e64 s4, v10, v10
	v_add3_u32 v11, v11, v10, 0x7fff
	v_cndmask_b32_e64 v10, v11, v12, s4
	v_lshrrev_b32_e32 v10, 16, v10
	buffer_store_dword v10, off, s[0:3], s32 offset:464 ; 4-byte Folded Spill
	v_mul_f32_e32 v10, v27, v22
	v_bfe_u32 v11, v10, 16, 1
	v_or_b32_e32 v12, 0x400000, v10
	v_cmp_u_f32_e64 s4, v10, v10
	v_add3_u32 v11, v11, v10, 0x7fff
	v_cndmask_b32_e64 v10, v11, v12, s4
	v_lshrrev_b32_e32 v10, 16, v10
	buffer_store_dword v10, off, s[0:3], s32 offset:476 ; 4-byte Folded Spill
	s_and_saveexec_b32 s13, vcc_lo
	s_cbranch_execz .LBB399_2673
; %bb.2672:                             ;   in Loop: Header=BB399_2079 Depth=1
	buffer_load_dword v10, off, s[0:3], s32 offset:472 ; 4-byte Folded Reload
	v_cmp_lt_i32_e64 s4, v125, v124
	s_waitcnt vmcnt(0)
	v_cndmask_b32_e64 v10, 0, v10, s4
	v_cmp_lt_i32_e64 s4, v113, v124
	buffer_store_dword v10, off, s[0:3], s32 offset:472 ; 4-byte Folded Spill
	buffer_load_dword v10, off, s[0:3], s32 offset:468 ; 4-byte Folded Reload
	s_waitcnt vmcnt(0)
	v_cndmask_b32_e64 v10, 0, v10, s4
	v_cmp_lt_i32_e64 s4, v38, v124
	buffer_store_dword v10, off, s[0:3], s32 offset:468 ; 4-byte Folded Spill
	buffer_load_dword v10, off, s[0:3], s32 offset:460 ; 4-byte Folded Reload
	;; [unrolled: 5-line block ×7, first 2 shown]
	s_waitcnt vmcnt(0)
	v_cndmask_b32_e64 v10, 0, v10, s4
	buffer_store_dword v10, off, s[0:3], s32 offset:476 ; 4-byte Folded Spill
.LBB399_2673:                           ;   in Loop: Header=BB399_2079 Depth=1
	s_or_b32 exec_lo, exec_lo, s13
	flat_load_dwordx2 v[23:24], v[19:20] offset:256
	v_mov_b32_e32 v11, 0
	v_mov_b32_e32 v10, 0
	s_waitcnt vmcnt(0) lgkmcnt(0)
	v_cmp_ne_u16_sdwa s4, v23, v13 src0_sel:BYTE_0 src1_sel:DWORD
	s_and_saveexec_b32 s13, s4
	s_cbranch_execz .LBB399_2681
; %bb.2674:                             ;   in Loop: Header=BB399_2079 Depth=1
	v_cmp_ne_u16_sdwa s4, v23, v114 src0_sel:BYTE_0 src1_sel:DWORD
	v_bfrev_b32_e32 v10, 1
	s_and_saveexec_b32 s15, s4
	s_cbranch_execz .LBB399_2680
; %bb.2675:                             ;   in Loop: Header=BB399_2079 Depth=1
	v_and_b32_e32 v12, 0x7f, v23
	v_mov_b32_e32 v10, 0x7f800001
	s_mov_b32 s18, exec_lo
	v_cmpx_ne_u32_e32 0x7f, v12
	s_cbranch_execz .LBB399_2679
; %bb.2676:                             ;   in Loop: Header=BB399_2079 Depth=1
	v_mov_b32_e32 v26, v24
	v_lshrrev_b32_e32 v10, 3, v12
	v_mov_b32_e32 v25, v23
	s_mov_b32 s20, exec_lo
	v_cmpx_gt_u32_e32 8, v12
; %bb.2677:                             ;   in Loop: Header=BB399_2079 Depth=1
	v_and_b32_e32 v10, 7, v23
	v_ffbh_u32_e32 v10, v10
	v_min_u32_e32 v10, 32, v10
	v_subrev_nc_u32_e32 v12, 28, v10
	v_sub_nc_u32_e32 v10, 29, v10
	v_lshlrev_b64 v[25:26], v12, v[23:24]
; %bb.2678:                             ;   in Loop: Header=BB399_2079 Depth=1
	s_or_b32 exec_lo, exec_lo, s20
	v_lshlrev_b32_e32 v12, 20, v25
	v_lshlrev_b32_e32 v16, 24, v23
	v_lshl_add_u32 v10, v10, 23, 0x3c000000
	v_and_b32_e32 v12, 0x700000, v12
	v_and_b32_e32 v16, 0x80000000, v16
	v_or3_b32 v10, v12, v16, v10
.LBB399_2679:                           ;   in Loop: Header=BB399_2079 Depth=1
	s_or_b32 exec_lo, exec_lo, s18
.LBB399_2680:                           ;   in Loop: Header=BB399_2079 Depth=1
	s_or_b32 exec_lo, exec_lo, s15
.LBB399_2681:                           ;   in Loop: Header=BB399_2079 Depth=1
	s_or_b32 exec_lo, exec_lo, s13
	v_cmp_ne_u16_sdwa s4, v23, v13 src0_sel:BYTE_1 src1_sel:DWORD
	s_and_saveexec_b32 s13, s4
	s_cbranch_execz .LBB399_2689
; %bb.2682:                             ;   in Loop: Header=BB399_2079 Depth=1
	v_cmp_ne_u16_sdwa s4, v23, v114 src0_sel:BYTE_1 src1_sel:DWORD
	v_bfrev_b32_e32 v11, 1
	s_and_saveexec_b32 s15, s4
	s_cbranch_execz .LBB399_2688
; %bb.2683:                             ;   in Loop: Header=BB399_2079 Depth=1
	v_and_b32_sdwa v12, v112, v23 dst_sel:DWORD dst_unused:UNUSED_PAD src0_sel:DWORD src1_sel:BYTE_1
	v_mov_b32_e32 v11, 0x7f800001
	s_mov_b32 s18, exec_lo
	v_and_b32_e32 v16, 0x7f, v12
	v_cmpx_ne_u32_e32 0x7f, v16
	s_cbranch_execz .LBB399_2687
; %bb.2684:                             ;   in Loop: Header=BB399_2079 Depth=1
	v_and_b32_e32 v12, 7, v12
	v_mov_b32_e32 v26, v13
	v_lshrrev_b32_e32 v11, 3, v16
	s_mov_b32 s20, exec_lo
	v_mov_b32_e32 v25, v12
	v_cmpx_gt_u32_e32 8, v16
; %bb.2685:                             ;   in Loop: Header=BB399_2079 Depth=1
	v_ffbh_u32_e32 v11, v12
	v_min_u32_e32 v11, 32, v11
	v_subrev_nc_u32_e32 v16, 28, v11
	v_sub_nc_u32_e32 v11, 29, v11
	v_lshlrev_b64 v[21:22], v16, v[12:13]
	v_and_b32_e32 v25, 7, v21
; %bb.2686:                             ;   in Loop: Header=BB399_2079 Depth=1
	s_or_b32 exec_lo, exec_lo, s20
	v_lshlrev_b32_e32 v12, 16, v23
	v_lshlrev_b32_e32 v16, 20, v25
	v_lshl_add_u32 v11, v11, 23, 0x3c000000
	v_and_b32_e32 v12, 0x80000000, v12
	v_or3_b32 v11, v16, v12, v11
.LBB399_2687:                           ;   in Loop: Header=BB399_2079 Depth=1
	s_or_b32 exec_lo, exec_lo, s18
.LBB399_2688:                           ;   in Loop: Header=BB399_2079 Depth=1
	s_or_b32 exec_lo, exec_lo, s15
.LBB399_2689:                           ;   in Loop: Header=BB399_2079 Depth=1
	s_or_b32 exec_lo, exec_lo, s13
	v_and_b32_sdwa v12, v23, v116 dst_sel:DWORD dst_unused:UNUSED_PAD src0_sel:WORD_1 src1_sel:DWORD
	v_mov_b32_e32 v21, 0
	v_mov_b32_e32 v16, 0
	s_mov_b32 s13, exec_lo
	v_cmpx_ne_u16_e32 0, v12
	s_cbranch_execz .LBB399_2697
; %bb.2690:                             ;   in Loop: Header=BB399_2079 Depth=1
	v_bfrev_b32_e32 v16, 1
	s_mov_b32 s15, exec_lo
	v_cmpx_ne_u16_e32 0x80, v12
	s_cbranch_execz .LBB399_2696
; %bb.2691:                             ;   in Loop: Header=BB399_2079 Depth=1
	v_bfe_u32 v22, v23, 16, 7
	v_mov_b32_e32 v16, 0x7f800001
	s_mov_b32 s18, exec_lo
	v_cmpx_ne_u32_e32 0x7f, v22
	s_cbranch_execz .LBB399_2695
; %bb.2692:                             ;   in Loop: Header=BB399_2079 Depth=1
	v_and_b32_sdwa v12, v23, v115 dst_sel:DWORD dst_unused:UNUSED_PAD src0_sel:WORD_1 src1_sel:DWORD
	v_mov_b32_e32 v26, v13
	v_lshrrev_b32_e32 v16, 3, v22
	s_mov_b32 s20, exec_lo
	v_mov_b32_e32 v25, v12
	v_cmpx_gt_u32_e32 8, v22
; %bb.2693:                             ;   in Loop: Header=BB399_2079 Depth=1
	v_ffbh_u32_e32 v16, v12
	v_min_u32_e32 v16, 32, v16
	v_subrev_nc_u32_e32 v22, 28, v16
	v_sub_nc_u32_e32 v16, 29, v16
	v_lshlrev_b64 v[25:26], v22, v[12:13]
	v_and_b32_e32 v25, 7, v25
; %bb.2694:                             ;   in Loop: Header=BB399_2079 Depth=1
	s_or_b32 exec_lo, exec_lo, s20
	v_lshlrev_b32_sdwa v12, v39, v23 dst_sel:DWORD dst_unused:UNUSED_PAD src0_sel:DWORD src1_sel:WORD_1
	v_lshlrev_b32_e32 v22, 20, v25
	v_lshl_add_u32 v16, v16, 23, 0x3c000000
	v_and_b32_e32 v12, 0x80000000, v12
	v_or3_b32 v16, v22, v12, v16
.LBB399_2695:                           ;   in Loop: Header=BB399_2079 Depth=1
	s_or_b32 exec_lo, exec_lo, s18
.LBB399_2696:                           ;   in Loop: Header=BB399_2079 Depth=1
	s_or_b32 exec_lo, exec_lo, s15
.LBB399_2697:                           ;   in Loop: Header=BB399_2079 Depth=1
	s_or_b32 exec_lo, exec_lo, s13
	s_mov_b32 s13, exec_lo
	v_cmpx_lt_u32_e32 0xffffff, v23
	s_cbranch_execz .LBB399_2705
; %bb.2698:                             ;   in Loop: Header=BB399_2079 Depth=1
	v_cmp_ne_u32_sdwa s4, v23, v114 src0_sel:BYTE_3 src1_sel:DWORD
	v_bfrev_b32_e32 v21, 1
	s_and_saveexec_b32 s15, s4
	s_cbranch_execz .LBB399_2704
; %bb.2699:                             ;   in Loop: Header=BB399_2079 Depth=1
	v_bfe_u32 v22, v23, 24, 7
	v_mov_b32_e32 v21, 0x7f800001
	s_mov_b32 s18, exec_lo
	v_cmpx_ne_u32_e32 0x7f, v22
	s_cbranch_execz .LBB399_2703
; %bb.2700:                             ;   in Loop: Header=BB399_2079 Depth=1
	v_and_b32_sdwa v12, v23, v115 dst_sel:DWORD dst_unused:UNUSED_PAD src0_sel:BYTE_3 src1_sel:DWORD
	v_mov_b32_e32 v26, v13
	v_lshrrev_b32_e32 v21, 3, v22
	s_mov_b32 s20, exec_lo
	v_mov_b32_e32 v25, v12
	v_cmpx_gt_u32_e32 8, v22
; %bb.2701:                             ;   in Loop: Header=BB399_2079 Depth=1
	v_ffbh_u32_e32 v21, v12
	v_min_u32_e32 v21, 32, v21
	v_subrev_nc_u32_e32 v22, 28, v21
	v_sub_nc_u32_e32 v21, 29, v21
	v_lshlrev_b64 v[25:26], v22, v[12:13]
	v_and_b32_e32 v25, 7, v25
; %bb.2702:                             ;   in Loop: Header=BB399_2079 Depth=1
	s_or_b32 exec_lo, exec_lo, s20
	v_lshlrev_b32_sdwa v12, v39, v23 dst_sel:DWORD dst_unused:UNUSED_PAD src0_sel:DWORD src1_sel:BYTE_3
	v_lshlrev_b32_e32 v22, 20, v25
	v_lshl_add_u32 v21, v21, 23, 0x3c000000
	v_and_b32_e32 v12, 0x80000000, v12
	v_or3_b32 v21, v22, v12, v21
.LBB399_2703:                           ;   in Loop: Header=BB399_2079 Depth=1
	s_or_b32 exec_lo, exec_lo, s18
.LBB399_2704:                           ;   in Loop: Header=BB399_2079 Depth=1
	s_or_b32 exec_lo, exec_lo, s15
.LBB399_2705:                           ;   in Loop: Header=BB399_2079 Depth=1
	s_or_b32 exec_lo, exec_lo, s13
	v_mov_b32_e32 v12, v24
	v_cmp_ne_u16_sdwa s4, v24, v13 src0_sel:BYTE_0 src1_sel:DWORD
	v_mov_b32_e32 v30, 0
	v_mov_b32_e32 v29, 0
	s_and_saveexec_b32 s13, s4
	s_cbranch_execz .LBB399_2713
; %bb.2706:                             ;   in Loop: Header=BB399_2079 Depth=1
	v_cmp_ne_u16_sdwa s4, v24, v114 src0_sel:BYTE_0 src1_sel:DWORD
	v_bfrev_b32_e32 v29, 1
	s_and_saveexec_b32 s15, s4
	s_cbranch_execz .LBB399_2712
; %bb.2707:                             ;   in Loop: Header=BB399_2079 Depth=1
	v_and_b32_e32 v25, 0x7f, v24
	v_mov_b32_e32 v29, 0x7f800001
	s_mov_b32 s18, exec_lo
	v_cmpx_ne_u32_e32 0x7f, v25
	s_cbranch_execz .LBB399_2711
; %bb.2708:                             ;   in Loop: Header=BB399_2079 Depth=1
	v_lshrrev_b32_e32 v22, 3, v25
	v_cmp_gt_u32_e64 s4, 8, v25
	v_mov_b32_e32 v26, v13
	v_mov_b32_e32 v25, v12
	s_and_saveexec_b32 s20, s4
; %bb.2709:                             ;   in Loop: Header=BB399_2079 Depth=1
	v_and_b32_e32 v22, 7, v24
	v_ffbh_u32_e32 v22, v22
	v_min_u32_e32 v22, 32, v22
	v_subrev_nc_u32_e32 v25, 28, v22
	v_sub_nc_u32_e32 v22, 29, v22
	v_lshlrev_b64 v[25:26], v25, v[12:13]
; %bb.2710:                             ;   in Loop: Header=BB399_2079 Depth=1
	s_or_b32 exec_lo, exec_lo, s20
	v_lshlrev_b32_e32 v25, 20, v25
	v_lshlrev_b32_e32 v26, 24, v12
	v_lshl_add_u32 v22, v22, 23, 0x3c000000
	v_and_b32_e32 v25, 0x700000, v25
	v_and_b32_e32 v26, 0x80000000, v26
	v_or3_b32 v29, v25, v26, v22
.LBB399_2711:                           ;   in Loop: Header=BB399_2079 Depth=1
	s_or_b32 exec_lo, exec_lo, s18
.LBB399_2712:                           ;   in Loop: Header=BB399_2079 Depth=1
	s_or_b32 exec_lo, exec_lo, s15
.LBB399_2713:                           ;   in Loop: Header=BB399_2079 Depth=1
	s_or_b32 exec_lo, exec_lo, s13
	v_cmp_ne_u16_sdwa s4, v12, v13 src0_sel:BYTE_1 src1_sel:DWORD
	s_and_saveexec_b32 s13, s4
	s_cbranch_execz .LBB399_2721
; %bb.2714:                             ;   in Loop: Header=BB399_2079 Depth=1
	v_cmp_ne_u16_sdwa s4, v12, v114 src0_sel:BYTE_1 src1_sel:DWORD
	v_bfrev_b32_e32 v30, 1
	s_and_saveexec_b32 s15, s4
	s_cbranch_execz .LBB399_2720
; %bb.2715:                             ;   in Loop: Header=BB399_2079 Depth=1
	v_and_b32_sdwa v22, v112, v12 dst_sel:DWORD dst_unused:UNUSED_PAD src0_sel:DWORD src1_sel:BYTE_1
	v_mov_b32_e32 v30, 0x7f800001
	s_mov_b32 s18, exec_lo
	v_and_b32_e32 v28, 0x7f, v22
	v_cmpx_ne_u32_e32 0x7f, v28
	s_cbranch_execz .LBB399_2719
; %bb.2716:                             ;   in Loop: Header=BB399_2079 Depth=1
	v_and_b32_e32 v25, 7, v22
	v_mov_b32_e32 v26, v13
	v_lshrrev_b32_e32 v22, 3, v28
	s_mov_b32 s20, exec_lo
	v_cmpx_gt_u32_e32 8, v28
; %bb.2717:                             ;   in Loop: Header=BB399_2079 Depth=1
	v_ffbh_u32_e32 v22, v25
	v_min_u32_e32 v22, 32, v22
	v_subrev_nc_u32_e32 v28, 28, v22
	v_sub_nc_u32_e32 v22, 29, v22
	v_lshlrev_b64 v[25:26], v28, v[25:26]
	v_and_b32_e32 v25, 7, v25
; %bb.2718:                             ;   in Loop: Header=BB399_2079 Depth=1
	s_or_b32 exec_lo, exec_lo, s20
	v_lshlrev_b32_e32 v12, 16, v12
	v_lshlrev_b32_e32 v25, 20, v25
	v_lshl_add_u32 v22, v22, 23, 0x3c000000
	v_and_b32_e32 v12, 0x80000000, v12
	v_or3_b32 v30, v25, v12, v22
.LBB399_2719:                           ;   in Loop: Header=BB399_2079 Depth=1
	s_or_b32 exec_lo, exec_lo, s18
.LBB399_2720:                           ;   in Loop: Header=BB399_2079 Depth=1
	s_or_b32 exec_lo, exec_lo, s15
.LBB399_2721:                           ;   in Loop: Header=BB399_2079 Depth=1
	s_or_b32 exec_lo, exec_lo, s13
	v_and_b32_sdwa v12, v24, v116 dst_sel:DWORD dst_unused:UNUSED_PAD src0_sel:WORD_1 src1_sel:DWORD
	v_mov_b32_e32 v22, 0
	v_mov_b32_e32 v28, 0
	s_mov_b32 s13, exec_lo
	v_cmpx_ne_u16_e32 0, v12
	s_cbranch_execz .LBB399_2729
; %bb.2722:                             ;   in Loop: Header=BB399_2079 Depth=1
	v_bfrev_b32_e32 v28, 1
	s_mov_b32 s15, exec_lo
	v_cmpx_ne_u16_e32 0x80, v12
	s_cbranch_execz .LBB399_2728
; %bb.2723:                             ;   in Loop: Header=BB399_2079 Depth=1
	v_bfe_u32 v25, v24, 16, 7
	v_mov_b32_e32 v28, 0x7f800001
	s_mov_b32 s18, exec_lo
	v_cmpx_ne_u32_e32 0x7f, v25
	s_cbranch_execz .LBB399_2727
; %bb.2724:                             ;   in Loop: Header=BB399_2079 Depth=1
	v_and_b32_sdwa v12, v24, v115 dst_sel:DWORD dst_unused:UNUSED_PAD src0_sel:WORD_1 src1_sel:DWORD
	v_lshrrev_b32_e32 v28, 3, v25
	v_cmp_gt_u32_e64 s4, 8, v25
	v_mov_b32_e32 v26, v13
	v_mov_b32_e32 v25, v12
	s_and_saveexec_b32 s20, s4
; %bb.2725:                             ;   in Loop: Header=BB399_2079 Depth=1
	v_ffbh_u32_e32 v25, v12
	v_min_u32_e32 v28, 32, v25
	v_subrev_nc_u32_e32 v25, 28, v28
	v_sub_nc_u32_e32 v28, 29, v28
	v_lshlrev_b64 v[25:26], v25, v[12:13]
	v_and_b32_e32 v25, 7, v25
; %bb.2726:                             ;   in Loop: Header=BB399_2079 Depth=1
	s_or_b32 exec_lo, exec_lo, s20
	v_lshlrev_b32_sdwa v12, v39, v24 dst_sel:DWORD dst_unused:UNUSED_PAD src0_sel:DWORD src1_sel:WORD_1
	v_lshlrev_b32_e32 v25, 20, v25
	v_lshl_add_u32 v26, v28, 23, 0x3c000000
	v_and_b32_e32 v12, 0x80000000, v12
	v_or3_b32 v28, v25, v12, v26
.LBB399_2727:                           ;   in Loop: Header=BB399_2079 Depth=1
	s_or_b32 exec_lo, exec_lo, s18
.LBB399_2728:                           ;   in Loop: Header=BB399_2079 Depth=1
	s_or_b32 exec_lo, exec_lo, s15
.LBB399_2729:                           ;   in Loop: Header=BB399_2079 Depth=1
	s_or_b32 exec_lo, exec_lo, s13
	s_mov_b32 s13, exec_lo
	v_cmpx_lt_u64_e64 s[8:9], v[23:24]
	s_cbranch_execz .LBB399_2737
; %bb.2730:                             ;   in Loop: Header=BB399_2079 Depth=1
	v_cmp_ne_u32_sdwa s4, v24, v114 src0_sel:BYTE_3 src1_sel:DWORD
	v_bfrev_b32_e32 v22, 1
	s_and_saveexec_b32 s15, s4
	s_cbranch_execz .LBB399_2736
; %bb.2731:                             ;   in Loop: Header=BB399_2079 Depth=1
	v_bfe_u32 v23, v24, 24, 7
	v_mov_b32_e32 v22, 0x7f800001
	s_mov_b32 s18, exec_lo
	v_cmpx_ne_u32_e32 0x7f, v23
	s_cbranch_execz .LBB399_2735
; %bb.2732:                             ;   in Loop: Header=BB399_2079 Depth=1
	v_and_b32_sdwa v12, v24, v115 dst_sel:DWORD dst_unused:UNUSED_PAD src0_sel:BYTE_3 src1_sel:DWORD
	v_mov_b32_e32 v26, v13
	v_lshrrev_b32_e32 v22, 3, v23
	s_mov_b32 s20, exec_lo
	v_mov_b32_e32 v25, v12
	v_cmpx_gt_u32_e32 8, v23
; %bb.2733:                             ;   in Loop: Header=BB399_2079 Depth=1
	v_ffbh_u32_e32 v22, v12
	v_min_u32_e32 v22, 32, v22
	v_subrev_nc_u32_e32 v23, 28, v22
	v_sub_nc_u32_e32 v22, 29, v22
	v_lshlrev_b64 v[25:26], v23, v[12:13]
	v_and_b32_e32 v25, 7, v25
; %bb.2734:                             ;   in Loop: Header=BB399_2079 Depth=1
	s_or_b32 exec_lo, exec_lo, s20
	v_lshlrev_b32_sdwa v12, v39, v24 dst_sel:DWORD dst_unused:UNUSED_PAD src0_sel:DWORD src1_sel:BYTE_3
	v_lshlrev_b32_e32 v23, 20, v25
	v_lshl_add_u32 v22, v22, 23, 0x3c000000
	v_and_b32_e32 v12, 0x80000000, v12
	v_or3_b32 v22, v23, v12, v22
.LBB399_2735:                           ;   in Loop: Header=BB399_2079 Depth=1
	s_or_b32 exec_lo, exec_lo, s18
.LBB399_2736:                           ;   in Loop: Header=BB399_2079 Depth=1
	s_or_b32 exec_lo, exec_lo, s15
.LBB399_2737:                           ;   in Loop: Header=BB399_2079 Depth=1
	s_or_b32 exec_lo, exec_lo, s13
	v_mul_f32_e32 v12, v27, v30
	v_mul_f32_e32 v11, v27, v11
	;; [unrolled: 1-line block ×3, first 2 shown]
	v_bfe_u32 v23, v12, 16, 1
	v_or_b32_e32 v24, 0x400000, v12
	v_cmp_u_f32_e64 s4, v12, v12
	v_add3_u32 v23, v23, v12, 0x7fff
	v_cndmask_b32_e64 v12, v23, v24, s4
	v_lshrrev_b32_e32 v12, 16, v12
	buffer_store_dword v12, off, s[0:3], s32 offset:480 ; 4-byte Folded Spill
	v_mul_f32_e32 v12, v27, v29
	v_bfe_u32 v23, v12, 16, 1
	v_or_b32_e32 v24, 0x400000, v12
	v_cmp_u_f32_e64 s4, v12, v12
	v_add3_u32 v23, v23, v12, 0x7fff
	v_cndmask_b32_e64 v12, v23, v24, s4
	v_lshrrev_b32_e32 v12, 16, v12
	buffer_store_dword v12, off, s[0:3], s32 offset:484 ; 4-byte Folded Spill
	v_mul_f32_e32 v12, v27, v21
	;; [unrolled: 8-line block ×3, first 2 shown]
	v_bfe_u32 v16, v12, 16, 1
	v_or_b32_e32 v21, 0x400000, v12
	v_cmp_u_f32_e64 s4, v12, v12
	v_add3_u32 v16, v16, v12, 0x7fff
	v_cndmask_b32_e64 v12, v16, v21, s4
	v_or_b32_e32 v16, 0x400000, v11
	v_cmp_u_f32_e64 s4, v11, v11
	v_lshrrev_b32_e32 v12, 16, v12
	buffer_store_dword v12, off, s[0:3], s32 offset:492 ; 4-byte Folded Spill
	v_bfe_u32 v12, v11, 16, 1
	v_add3_u32 v12, v12, v11, 0x7fff
	v_cndmask_b32_e64 v11, v12, v16, s4
	v_or_b32_e32 v12, 0x400000, v10
	v_cmp_u_f32_e64 s4, v10, v10
	v_lshrrev_b32_e32 v11, 16, v11
	buffer_store_dword v11, off, s[0:3], s32 offset:500 ; 4-byte Folded Spill
	v_bfe_u32 v11, v10, 16, 1
	v_add3_u32 v11, v11, v10, 0x7fff
	v_cndmask_b32_e64 v10, v11, v12, s4
	v_lshrrev_b32_e32 v10, 16, v10
	buffer_store_dword v10, off, s[0:3], s32 offset:504 ; 4-byte Folded Spill
	v_mul_f32_e32 v10, v27, v28
	v_bfe_u32 v11, v10, 16, 1
	v_or_b32_e32 v12, 0x400000, v10
	v_cmp_u_f32_e64 s4, v10, v10
	v_add3_u32 v11, v11, v10, 0x7fff
	v_cndmask_b32_e64 v10, v11, v12, s4
	v_lshrrev_b32_e32 v10, 16, v10
	buffer_store_dword v10, off, s[0:3], s32 offset:496 ; 4-byte Folded Spill
	v_mul_f32_e32 v10, v27, v22
	v_bfe_u32 v11, v10, 16, 1
	v_or_b32_e32 v12, 0x400000, v10
	v_cmp_u_f32_e64 s4, v10, v10
	v_add3_u32 v11, v11, v10, 0x7fff
	v_cndmask_b32_e64 v10, v11, v12, s4
	v_lshrrev_b32_e32 v10, 16, v10
	buffer_store_dword v10, off, s[0:3], s32 offset:508 ; 4-byte Folded Spill
	s_and_saveexec_b32 s13, vcc_lo
	s_cbranch_execz .LBB399_2739
; %bb.2738:                             ;   in Loop: Header=BB399_2079 Depth=1
	buffer_load_dword v10, off, s[0:3], s32 offset:504 ; 4-byte Folded Reload
	v_cmp_lt_i32_e64 s4, v125, v124
	s_waitcnt vmcnt(0)
	v_cndmask_b32_e64 v10, 0, v10, s4
	v_cmp_lt_i32_e64 s4, v113, v124
	buffer_store_dword v10, off, s[0:3], s32 offset:504 ; 4-byte Folded Spill
	buffer_load_dword v10, off, s[0:3], s32 offset:500 ; 4-byte Folded Reload
	s_waitcnt vmcnt(0)
	v_cndmask_b32_e64 v10, 0, v10, s4
	v_cmp_lt_i32_e64 s4, v38, v124
	buffer_store_dword v10, off, s[0:3], s32 offset:500 ; 4-byte Folded Spill
	buffer_load_dword v10, off, s[0:3], s32 offset:492 ; 4-byte Folded Reload
	;; [unrolled: 5-line block ×7, first 2 shown]
	s_waitcnt vmcnt(0)
	v_cndmask_b32_e64 v10, 0, v10, s4
	buffer_store_dword v10, off, s[0:3], s32 offset:508 ; 4-byte Folded Spill
.LBB399_2739:                           ;   in Loop: Header=BB399_2079 Depth=1
	s_or_b32 exec_lo, exec_lo, s13
	flat_load_dwordx2 v[23:24], v[19:20] offset:512
	v_mov_b32_e32 v11, 0
	v_mov_b32_e32 v10, 0
	s_waitcnt vmcnt(0) lgkmcnt(0)
	v_cmp_ne_u16_sdwa s4, v23, v13 src0_sel:BYTE_0 src1_sel:DWORD
	s_and_saveexec_b32 s13, s4
	s_cbranch_execz .LBB399_2747
; %bb.2740:                             ;   in Loop: Header=BB399_2079 Depth=1
	v_cmp_ne_u16_sdwa s4, v23, v114 src0_sel:BYTE_0 src1_sel:DWORD
	v_bfrev_b32_e32 v10, 1
	s_and_saveexec_b32 s15, s4
	s_cbranch_execz .LBB399_2746
; %bb.2741:                             ;   in Loop: Header=BB399_2079 Depth=1
	v_and_b32_e32 v12, 0x7f, v23
	v_mov_b32_e32 v10, 0x7f800001
	s_mov_b32 s18, exec_lo
	v_cmpx_ne_u32_e32 0x7f, v12
	s_cbranch_execz .LBB399_2745
; %bb.2742:                             ;   in Loop: Header=BB399_2079 Depth=1
	v_mov_b32_e32 v26, v24
	v_lshrrev_b32_e32 v10, 3, v12
	v_mov_b32_e32 v25, v23
	s_mov_b32 s20, exec_lo
	v_cmpx_gt_u32_e32 8, v12
; %bb.2743:                             ;   in Loop: Header=BB399_2079 Depth=1
	v_and_b32_e32 v10, 7, v23
	v_ffbh_u32_e32 v10, v10
	v_min_u32_e32 v10, 32, v10
	v_subrev_nc_u32_e32 v12, 28, v10
	v_sub_nc_u32_e32 v10, 29, v10
	v_lshlrev_b64 v[25:26], v12, v[23:24]
; %bb.2744:                             ;   in Loop: Header=BB399_2079 Depth=1
	s_or_b32 exec_lo, exec_lo, s20
	v_lshlrev_b32_e32 v12, 20, v25
	v_lshlrev_b32_e32 v16, 24, v23
	v_lshl_add_u32 v10, v10, 23, 0x3c000000
	v_and_b32_e32 v12, 0x700000, v12
	v_and_b32_e32 v16, 0x80000000, v16
	v_or3_b32 v10, v12, v16, v10
.LBB399_2745:                           ;   in Loop: Header=BB399_2079 Depth=1
	s_or_b32 exec_lo, exec_lo, s18
.LBB399_2746:                           ;   in Loop: Header=BB399_2079 Depth=1
	s_or_b32 exec_lo, exec_lo, s15
.LBB399_2747:                           ;   in Loop: Header=BB399_2079 Depth=1
	s_or_b32 exec_lo, exec_lo, s13
	v_cmp_ne_u16_sdwa s4, v23, v13 src0_sel:BYTE_1 src1_sel:DWORD
	s_and_saveexec_b32 s13, s4
	s_cbranch_execz .LBB399_2755
; %bb.2748:                             ;   in Loop: Header=BB399_2079 Depth=1
	v_cmp_ne_u16_sdwa s4, v23, v114 src0_sel:BYTE_1 src1_sel:DWORD
	v_bfrev_b32_e32 v11, 1
	s_and_saveexec_b32 s15, s4
	s_cbranch_execz .LBB399_2754
; %bb.2749:                             ;   in Loop: Header=BB399_2079 Depth=1
	v_and_b32_sdwa v12, v112, v23 dst_sel:DWORD dst_unused:UNUSED_PAD src0_sel:DWORD src1_sel:BYTE_1
	v_mov_b32_e32 v11, 0x7f800001
	s_mov_b32 s18, exec_lo
	v_and_b32_e32 v16, 0x7f, v12
	v_cmpx_ne_u32_e32 0x7f, v16
	s_cbranch_execz .LBB399_2753
; %bb.2750:                             ;   in Loop: Header=BB399_2079 Depth=1
	v_and_b32_e32 v12, 7, v12
	v_mov_b32_e32 v26, v13
	v_lshrrev_b32_e32 v11, 3, v16
	s_mov_b32 s20, exec_lo
	v_mov_b32_e32 v25, v12
	v_cmpx_gt_u32_e32 8, v16
; %bb.2751:                             ;   in Loop: Header=BB399_2079 Depth=1
	v_ffbh_u32_e32 v11, v12
	v_min_u32_e32 v11, 32, v11
	v_subrev_nc_u32_e32 v16, 28, v11
	v_sub_nc_u32_e32 v11, 29, v11
	v_lshlrev_b64 v[21:22], v16, v[12:13]
	v_and_b32_e32 v25, 7, v21
; %bb.2752:                             ;   in Loop: Header=BB399_2079 Depth=1
	s_or_b32 exec_lo, exec_lo, s20
	v_lshlrev_b32_e32 v12, 16, v23
	v_lshlrev_b32_e32 v16, 20, v25
	v_lshl_add_u32 v11, v11, 23, 0x3c000000
	v_and_b32_e32 v12, 0x80000000, v12
	v_or3_b32 v11, v16, v12, v11
.LBB399_2753:                           ;   in Loop: Header=BB399_2079 Depth=1
	s_or_b32 exec_lo, exec_lo, s18
.LBB399_2754:                           ;   in Loop: Header=BB399_2079 Depth=1
	s_or_b32 exec_lo, exec_lo, s15
.LBB399_2755:                           ;   in Loop: Header=BB399_2079 Depth=1
	s_or_b32 exec_lo, exec_lo, s13
	v_and_b32_sdwa v12, v23, v116 dst_sel:DWORD dst_unused:UNUSED_PAD src0_sel:WORD_1 src1_sel:DWORD
	v_mov_b32_e32 v21, 0
	v_mov_b32_e32 v16, 0
	s_mov_b32 s13, exec_lo
	v_cmpx_ne_u16_e32 0, v12
	s_cbranch_execz .LBB399_2763
; %bb.2756:                             ;   in Loop: Header=BB399_2079 Depth=1
	v_bfrev_b32_e32 v16, 1
	s_mov_b32 s15, exec_lo
	v_cmpx_ne_u16_e32 0x80, v12
	s_cbranch_execz .LBB399_2762
; %bb.2757:                             ;   in Loop: Header=BB399_2079 Depth=1
	v_bfe_u32 v22, v23, 16, 7
	v_mov_b32_e32 v16, 0x7f800001
	s_mov_b32 s18, exec_lo
	v_cmpx_ne_u32_e32 0x7f, v22
	s_cbranch_execz .LBB399_2761
; %bb.2758:                             ;   in Loop: Header=BB399_2079 Depth=1
	v_and_b32_sdwa v12, v23, v115 dst_sel:DWORD dst_unused:UNUSED_PAD src0_sel:WORD_1 src1_sel:DWORD
	v_mov_b32_e32 v26, v13
	v_lshrrev_b32_e32 v16, 3, v22
	s_mov_b32 s20, exec_lo
	v_mov_b32_e32 v25, v12
	v_cmpx_gt_u32_e32 8, v22
; %bb.2759:                             ;   in Loop: Header=BB399_2079 Depth=1
	v_ffbh_u32_e32 v16, v12
	v_min_u32_e32 v16, 32, v16
	v_subrev_nc_u32_e32 v22, 28, v16
	v_sub_nc_u32_e32 v16, 29, v16
	v_lshlrev_b64 v[25:26], v22, v[12:13]
	v_and_b32_e32 v25, 7, v25
; %bb.2760:                             ;   in Loop: Header=BB399_2079 Depth=1
	s_or_b32 exec_lo, exec_lo, s20
	v_lshlrev_b32_sdwa v12, v39, v23 dst_sel:DWORD dst_unused:UNUSED_PAD src0_sel:DWORD src1_sel:WORD_1
	v_lshlrev_b32_e32 v22, 20, v25
	v_lshl_add_u32 v16, v16, 23, 0x3c000000
	v_and_b32_e32 v12, 0x80000000, v12
	v_or3_b32 v16, v22, v12, v16
.LBB399_2761:                           ;   in Loop: Header=BB399_2079 Depth=1
	s_or_b32 exec_lo, exec_lo, s18
.LBB399_2762:                           ;   in Loop: Header=BB399_2079 Depth=1
	s_or_b32 exec_lo, exec_lo, s15
.LBB399_2763:                           ;   in Loop: Header=BB399_2079 Depth=1
	s_or_b32 exec_lo, exec_lo, s13
	s_mov_b32 s13, exec_lo
	v_cmpx_lt_u32_e32 0xffffff, v23
	s_cbranch_execz .LBB399_2771
; %bb.2764:                             ;   in Loop: Header=BB399_2079 Depth=1
	v_cmp_ne_u32_sdwa s4, v23, v114 src0_sel:BYTE_3 src1_sel:DWORD
	v_bfrev_b32_e32 v21, 1
	s_and_saveexec_b32 s15, s4
	s_cbranch_execz .LBB399_2770
; %bb.2765:                             ;   in Loop: Header=BB399_2079 Depth=1
	v_bfe_u32 v22, v23, 24, 7
	v_mov_b32_e32 v21, 0x7f800001
	s_mov_b32 s18, exec_lo
	v_cmpx_ne_u32_e32 0x7f, v22
	s_cbranch_execz .LBB399_2769
; %bb.2766:                             ;   in Loop: Header=BB399_2079 Depth=1
	v_and_b32_sdwa v12, v23, v115 dst_sel:DWORD dst_unused:UNUSED_PAD src0_sel:BYTE_3 src1_sel:DWORD
	v_mov_b32_e32 v26, v13
	v_lshrrev_b32_e32 v21, 3, v22
	s_mov_b32 s20, exec_lo
	v_mov_b32_e32 v25, v12
	v_cmpx_gt_u32_e32 8, v22
; %bb.2767:                             ;   in Loop: Header=BB399_2079 Depth=1
	v_ffbh_u32_e32 v21, v12
	v_min_u32_e32 v21, 32, v21
	v_subrev_nc_u32_e32 v22, 28, v21
	v_sub_nc_u32_e32 v21, 29, v21
	v_lshlrev_b64 v[25:26], v22, v[12:13]
	v_and_b32_e32 v25, 7, v25
; %bb.2768:                             ;   in Loop: Header=BB399_2079 Depth=1
	s_or_b32 exec_lo, exec_lo, s20
	v_lshlrev_b32_sdwa v12, v39, v23 dst_sel:DWORD dst_unused:UNUSED_PAD src0_sel:DWORD src1_sel:BYTE_3
	v_lshlrev_b32_e32 v22, 20, v25
	v_lshl_add_u32 v21, v21, 23, 0x3c000000
	v_and_b32_e32 v12, 0x80000000, v12
	v_or3_b32 v21, v22, v12, v21
.LBB399_2769:                           ;   in Loop: Header=BB399_2079 Depth=1
	s_or_b32 exec_lo, exec_lo, s18
.LBB399_2770:                           ;   in Loop: Header=BB399_2079 Depth=1
	s_or_b32 exec_lo, exec_lo, s15
.LBB399_2771:                           ;   in Loop: Header=BB399_2079 Depth=1
	s_or_b32 exec_lo, exec_lo, s13
	v_mov_b32_e32 v12, v24
	v_cmp_ne_u16_sdwa s4, v24, v13 src0_sel:BYTE_0 src1_sel:DWORD
	v_mov_b32_e32 v30, 0
	v_mov_b32_e32 v29, 0
	s_and_saveexec_b32 s13, s4
	s_cbranch_execz .LBB399_2779
; %bb.2772:                             ;   in Loop: Header=BB399_2079 Depth=1
	v_cmp_ne_u16_sdwa s4, v24, v114 src0_sel:BYTE_0 src1_sel:DWORD
	v_bfrev_b32_e32 v29, 1
	s_and_saveexec_b32 s15, s4
	s_cbranch_execz .LBB399_2778
; %bb.2773:                             ;   in Loop: Header=BB399_2079 Depth=1
	v_and_b32_e32 v25, 0x7f, v24
	v_mov_b32_e32 v29, 0x7f800001
	s_mov_b32 s18, exec_lo
	v_cmpx_ne_u32_e32 0x7f, v25
	s_cbranch_execz .LBB399_2777
; %bb.2774:                             ;   in Loop: Header=BB399_2079 Depth=1
	v_lshrrev_b32_e32 v22, 3, v25
	v_cmp_gt_u32_e64 s4, 8, v25
	v_mov_b32_e32 v26, v13
	v_mov_b32_e32 v25, v12
	s_and_saveexec_b32 s20, s4
; %bb.2775:                             ;   in Loop: Header=BB399_2079 Depth=1
	v_and_b32_e32 v22, 7, v24
	v_ffbh_u32_e32 v22, v22
	v_min_u32_e32 v22, 32, v22
	v_subrev_nc_u32_e32 v25, 28, v22
	v_sub_nc_u32_e32 v22, 29, v22
	v_lshlrev_b64 v[25:26], v25, v[12:13]
; %bb.2776:                             ;   in Loop: Header=BB399_2079 Depth=1
	s_or_b32 exec_lo, exec_lo, s20
	v_lshlrev_b32_e32 v25, 20, v25
	v_lshlrev_b32_e32 v26, 24, v12
	v_lshl_add_u32 v22, v22, 23, 0x3c000000
	v_and_b32_e32 v25, 0x700000, v25
	v_and_b32_e32 v26, 0x80000000, v26
	v_or3_b32 v29, v25, v26, v22
.LBB399_2777:                           ;   in Loop: Header=BB399_2079 Depth=1
	s_or_b32 exec_lo, exec_lo, s18
.LBB399_2778:                           ;   in Loop: Header=BB399_2079 Depth=1
	s_or_b32 exec_lo, exec_lo, s15
.LBB399_2779:                           ;   in Loop: Header=BB399_2079 Depth=1
	s_or_b32 exec_lo, exec_lo, s13
	v_cmp_ne_u16_sdwa s4, v12, v13 src0_sel:BYTE_1 src1_sel:DWORD
	s_and_saveexec_b32 s13, s4
	s_cbranch_execz .LBB399_2787
; %bb.2780:                             ;   in Loop: Header=BB399_2079 Depth=1
	v_cmp_ne_u16_sdwa s4, v12, v114 src0_sel:BYTE_1 src1_sel:DWORD
	v_bfrev_b32_e32 v30, 1
	s_and_saveexec_b32 s15, s4
	s_cbranch_execz .LBB399_2786
; %bb.2781:                             ;   in Loop: Header=BB399_2079 Depth=1
	v_and_b32_sdwa v22, v112, v12 dst_sel:DWORD dst_unused:UNUSED_PAD src0_sel:DWORD src1_sel:BYTE_1
	v_mov_b32_e32 v30, 0x7f800001
	s_mov_b32 s18, exec_lo
	v_and_b32_e32 v28, 0x7f, v22
	v_cmpx_ne_u32_e32 0x7f, v28
	s_cbranch_execz .LBB399_2785
; %bb.2782:                             ;   in Loop: Header=BB399_2079 Depth=1
	v_and_b32_e32 v25, 7, v22
	v_mov_b32_e32 v26, v13
	v_lshrrev_b32_e32 v22, 3, v28
	s_mov_b32 s20, exec_lo
	v_cmpx_gt_u32_e32 8, v28
; %bb.2783:                             ;   in Loop: Header=BB399_2079 Depth=1
	v_ffbh_u32_e32 v22, v25
	v_min_u32_e32 v22, 32, v22
	v_subrev_nc_u32_e32 v28, 28, v22
	v_sub_nc_u32_e32 v22, 29, v22
	v_lshlrev_b64 v[25:26], v28, v[25:26]
	v_and_b32_e32 v25, 7, v25
; %bb.2784:                             ;   in Loop: Header=BB399_2079 Depth=1
	s_or_b32 exec_lo, exec_lo, s20
	v_lshlrev_b32_e32 v12, 16, v12
	v_lshlrev_b32_e32 v25, 20, v25
	v_lshl_add_u32 v22, v22, 23, 0x3c000000
	v_and_b32_e32 v12, 0x80000000, v12
	v_or3_b32 v30, v25, v12, v22
.LBB399_2785:                           ;   in Loop: Header=BB399_2079 Depth=1
	s_or_b32 exec_lo, exec_lo, s18
.LBB399_2786:                           ;   in Loop: Header=BB399_2079 Depth=1
	s_or_b32 exec_lo, exec_lo, s15
.LBB399_2787:                           ;   in Loop: Header=BB399_2079 Depth=1
	s_or_b32 exec_lo, exec_lo, s13
	v_and_b32_sdwa v12, v24, v116 dst_sel:DWORD dst_unused:UNUSED_PAD src0_sel:WORD_1 src1_sel:DWORD
	v_mov_b32_e32 v22, 0
	v_mov_b32_e32 v28, 0
	s_mov_b32 s13, exec_lo
	v_cmpx_ne_u16_e32 0, v12
	s_cbranch_execz .LBB399_2795
; %bb.2788:                             ;   in Loop: Header=BB399_2079 Depth=1
	v_bfrev_b32_e32 v28, 1
	s_mov_b32 s15, exec_lo
	v_cmpx_ne_u16_e32 0x80, v12
	s_cbranch_execz .LBB399_2794
; %bb.2789:                             ;   in Loop: Header=BB399_2079 Depth=1
	v_bfe_u32 v25, v24, 16, 7
	v_mov_b32_e32 v28, 0x7f800001
	s_mov_b32 s18, exec_lo
	v_cmpx_ne_u32_e32 0x7f, v25
	s_cbranch_execz .LBB399_2793
; %bb.2790:                             ;   in Loop: Header=BB399_2079 Depth=1
	v_and_b32_sdwa v12, v24, v115 dst_sel:DWORD dst_unused:UNUSED_PAD src0_sel:WORD_1 src1_sel:DWORD
	v_lshrrev_b32_e32 v28, 3, v25
	v_cmp_gt_u32_e64 s4, 8, v25
	v_mov_b32_e32 v26, v13
	v_mov_b32_e32 v25, v12
	s_and_saveexec_b32 s20, s4
; %bb.2791:                             ;   in Loop: Header=BB399_2079 Depth=1
	v_ffbh_u32_e32 v25, v12
	v_min_u32_e32 v28, 32, v25
	v_subrev_nc_u32_e32 v25, 28, v28
	v_sub_nc_u32_e32 v28, 29, v28
	v_lshlrev_b64 v[25:26], v25, v[12:13]
	v_and_b32_e32 v25, 7, v25
; %bb.2792:                             ;   in Loop: Header=BB399_2079 Depth=1
	s_or_b32 exec_lo, exec_lo, s20
	v_lshlrev_b32_sdwa v12, v39, v24 dst_sel:DWORD dst_unused:UNUSED_PAD src0_sel:DWORD src1_sel:WORD_1
	v_lshlrev_b32_e32 v25, 20, v25
	v_lshl_add_u32 v26, v28, 23, 0x3c000000
	v_and_b32_e32 v12, 0x80000000, v12
	v_or3_b32 v28, v25, v12, v26
.LBB399_2793:                           ;   in Loop: Header=BB399_2079 Depth=1
	s_or_b32 exec_lo, exec_lo, s18
.LBB399_2794:                           ;   in Loop: Header=BB399_2079 Depth=1
	s_or_b32 exec_lo, exec_lo, s15
.LBB399_2795:                           ;   in Loop: Header=BB399_2079 Depth=1
	s_or_b32 exec_lo, exec_lo, s13
	s_mov_b32 s13, exec_lo
	v_cmpx_lt_u64_e64 s[8:9], v[23:24]
	s_cbranch_execz .LBB399_2803
; %bb.2796:                             ;   in Loop: Header=BB399_2079 Depth=1
	v_cmp_ne_u32_sdwa s4, v24, v114 src0_sel:BYTE_3 src1_sel:DWORD
	v_bfrev_b32_e32 v22, 1
	s_and_saveexec_b32 s15, s4
	s_cbranch_execz .LBB399_2802
; %bb.2797:                             ;   in Loop: Header=BB399_2079 Depth=1
	v_bfe_u32 v23, v24, 24, 7
	v_mov_b32_e32 v22, 0x7f800001
	s_mov_b32 s18, exec_lo
	v_cmpx_ne_u32_e32 0x7f, v23
	s_cbranch_execz .LBB399_2801
; %bb.2798:                             ;   in Loop: Header=BB399_2079 Depth=1
	v_and_b32_sdwa v12, v24, v115 dst_sel:DWORD dst_unused:UNUSED_PAD src0_sel:BYTE_3 src1_sel:DWORD
	v_mov_b32_e32 v26, v13
	v_lshrrev_b32_e32 v22, 3, v23
	s_mov_b32 s20, exec_lo
	v_mov_b32_e32 v25, v12
	v_cmpx_gt_u32_e32 8, v23
; %bb.2799:                             ;   in Loop: Header=BB399_2079 Depth=1
	v_ffbh_u32_e32 v22, v12
	v_min_u32_e32 v22, 32, v22
	v_subrev_nc_u32_e32 v23, 28, v22
	v_sub_nc_u32_e32 v22, 29, v22
	v_lshlrev_b64 v[25:26], v23, v[12:13]
	v_and_b32_e32 v25, 7, v25
; %bb.2800:                             ;   in Loop: Header=BB399_2079 Depth=1
	s_or_b32 exec_lo, exec_lo, s20
	v_lshlrev_b32_sdwa v12, v39, v24 dst_sel:DWORD dst_unused:UNUSED_PAD src0_sel:DWORD src1_sel:BYTE_3
	v_lshlrev_b32_e32 v23, 20, v25
	v_lshl_add_u32 v22, v22, 23, 0x3c000000
	v_and_b32_e32 v12, 0x80000000, v12
	v_or3_b32 v22, v23, v12, v22
.LBB399_2801:                           ;   in Loop: Header=BB399_2079 Depth=1
	s_or_b32 exec_lo, exec_lo, s18
.LBB399_2802:                           ;   in Loop: Header=BB399_2079 Depth=1
	s_or_b32 exec_lo, exec_lo, s15
.LBB399_2803:                           ;   in Loop: Header=BB399_2079 Depth=1
	s_or_b32 exec_lo, exec_lo, s13
	v_mul_f32_e32 v12, v27, v30
	v_mul_f32_e32 v11, v27, v11
	;; [unrolled: 1-line block ×3, first 2 shown]
	v_bfe_u32 v23, v12, 16, 1
	v_or_b32_e32 v24, 0x400000, v12
	v_cmp_u_f32_e64 s4, v12, v12
	v_add3_u32 v23, v23, v12, 0x7fff
	v_cndmask_b32_e64 v12, v23, v24, s4
	v_lshrrev_b32_e32 v12, 16, v12
	buffer_store_dword v12, off, s[0:3], s32 offset:512 ; 4-byte Folded Spill
	v_mul_f32_e32 v12, v27, v29
	v_bfe_u32 v23, v12, 16, 1
	v_or_b32_e32 v24, 0x400000, v12
	v_cmp_u_f32_e64 s4, v12, v12
	v_add3_u32 v23, v23, v12, 0x7fff
	v_cndmask_b32_e64 v12, v23, v24, s4
	v_lshrrev_b32_e32 v12, 16, v12
	buffer_store_dword v12, off, s[0:3], s32 offset:516 ; 4-byte Folded Spill
	v_mul_f32_e32 v12, v27, v21
	;; [unrolled: 8-line block ×3, first 2 shown]
	v_bfe_u32 v16, v12, 16, 1
	v_or_b32_e32 v21, 0x400000, v12
	v_cmp_u_f32_e64 s4, v12, v12
	v_add3_u32 v16, v16, v12, 0x7fff
	v_cndmask_b32_e64 v12, v16, v21, s4
	v_or_b32_e32 v16, 0x400000, v11
	v_cmp_u_f32_e64 s4, v11, v11
	v_lshrrev_b32_e32 v12, 16, v12
	buffer_store_dword v12, off, s[0:3], s32 offset:524 ; 4-byte Folded Spill
	v_bfe_u32 v12, v11, 16, 1
	v_add3_u32 v12, v12, v11, 0x7fff
	v_cndmask_b32_e64 v11, v12, v16, s4
	v_or_b32_e32 v12, 0x400000, v10
	v_cmp_u_f32_e64 s4, v10, v10
	v_lshrrev_b32_e32 v11, 16, v11
	buffer_store_dword v11, off, s[0:3], s32 offset:532 ; 4-byte Folded Spill
	v_bfe_u32 v11, v10, 16, 1
	v_add3_u32 v11, v11, v10, 0x7fff
	v_cndmask_b32_e64 v10, v11, v12, s4
	v_lshrrev_b32_e32 v10, 16, v10
	buffer_store_dword v10, off, s[0:3], s32 offset:536 ; 4-byte Folded Spill
	v_mul_f32_e32 v10, v27, v28
	v_bfe_u32 v11, v10, 16, 1
	v_or_b32_e32 v12, 0x400000, v10
	v_cmp_u_f32_e64 s4, v10, v10
	v_add3_u32 v11, v11, v10, 0x7fff
	v_cndmask_b32_e64 v10, v11, v12, s4
	v_lshrrev_b32_e32 v10, 16, v10
	buffer_store_dword v10, off, s[0:3], s32 offset:528 ; 4-byte Folded Spill
	v_mul_f32_e32 v10, v27, v22
	v_bfe_u32 v11, v10, 16, 1
	v_or_b32_e32 v12, 0x400000, v10
	v_cmp_u_f32_e64 s4, v10, v10
	v_add3_u32 v11, v11, v10, 0x7fff
	v_cndmask_b32_e64 v10, v11, v12, s4
	v_lshrrev_b32_e32 v10, 16, v10
	buffer_store_dword v10, off, s[0:3], s32 offset:540 ; 4-byte Folded Spill
	s_and_saveexec_b32 s13, vcc_lo
	s_cbranch_execz .LBB399_2805
; %bb.2804:                             ;   in Loop: Header=BB399_2079 Depth=1
	buffer_load_dword v10, off, s[0:3], s32 offset:536 ; 4-byte Folded Reload
	v_cmp_lt_i32_e64 s4, v125, v124
	s_waitcnt vmcnt(0)
	v_cndmask_b32_e64 v10, 0, v10, s4
	v_cmp_lt_i32_e64 s4, v113, v124
	buffer_store_dword v10, off, s[0:3], s32 offset:536 ; 4-byte Folded Spill
	buffer_load_dword v10, off, s[0:3], s32 offset:532 ; 4-byte Folded Reload
	s_waitcnt vmcnt(0)
	v_cndmask_b32_e64 v10, 0, v10, s4
	v_cmp_lt_i32_e64 s4, v38, v124
	buffer_store_dword v10, off, s[0:3], s32 offset:532 ; 4-byte Folded Spill
	buffer_load_dword v10, off, s[0:3], s32 offset:524 ; 4-byte Folded Reload
	;; [unrolled: 5-line block ×7, first 2 shown]
	s_waitcnt vmcnt(0)
	v_cndmask_b32_e64 v10, 0, v10, s4
	buffer_store_dword v10, off, s[0:3], s32 offset:540 ; 4-byte Folded Spill
.LBB399_2805:                           ;   in Loop: Header=BB399_2079 Depth=1
	s_or_b32 exec_lo, exec_lo, s13
	flat_load_dwordx2 v[23:24], v[19:20] offset:768
	v_mov_b32_e32 v11, 0
	v_mov_b32_e32 v10, 0
	s_waitcnt vmcnt(0) lgkmcnt(0)
	v_cmp_ne_u16_sdwa s4, v23, v13 src0_sel:BYTE_0 src1_sel:DWORD
	s_and_saveexec_b32 s13, s4
	s_cbranch_execz .LBB399_2813
; %bb.2806:                             ;   in Loop: Header=BB399_2079 Depth=1
	v_cmp_ne_u16_sdwa s4, v23, v114 src0_sel:BYTE_0 src1_sel:DWORD
	v_bfrev_b32_e32 v10, 1
	s_and_saveexec_b32 s15, s4
	s_cbranch_execz .LBB399_2812
; %bb.2807:                             ;   in Loop: Header=BB399_2079 Depth=1
	v_and_b32_e32 v12, 0x7f, v23
	v_mov_b32_e32 v10, 0x7f800001
	s_mov_b32 s18, exec_lo
	v_cmpx_ne_u32_e32 0x7f, v12
	s_cbranch_execz .LBB399_2811
; %bb.2808:                             ;   in Loop: Header=BB399_2079 Depth=1
	v_mov_b32_e32 v26, v24
	v_lshrrev_b32_e32 v10, 3, v12
	v_mov_b32_e32 v25, v23
	s_mov_b32 s20, exec_lo
	v_cmpx_gt_u32_e32 8, v12
; %bb.2809:                             ;   in Loop: Header=BB399_2079 Depth=1
	v_and_b32_e32 v10, 7, v23
	v_ffbh_u32_e32 v10, v10
	v_min_u32_e32 v10, 32, v10
	v_subrev_nc_u32_e32 v12, 28, v10
	v_sub_nc_u32_e32 v10, 29, v10
	v_lshlrev_b64 v[25:26], v12, v[23:24]
; %bb.2810:                             ;   in Loop: Header=BB399_2079 Depth=1
	s_or_b32 exec_lo, exec_lo, s20
	v_lshlrev_b32_e32 v12, 20, v25
	v_lshlrev_b32_e32 v16, 24, v23
	v_lshl_add_u32 v10, v10, 23, 0x3c000000
	v_and_b32_e32 v12, 0x700000, v12
	v_and_b32_e32 v16, 0x80000000, v16
	v_or3_b32 v10, v12, v16, v10
.LBB399_2811:                           ;   in Loop: Header=BB399_2079 Depth=1
	s_or_b32 exec_lo, exec_lo, s18
.LBB399_2812:                           ;   in Loop: Header=BB399_2079 Depth=1
	s_or_b32 exec_lo, exec_lo, s15
.LBB399_2813:                           ;   in Loop: Header=BB399_2079 Depth=1
	s_or_b32 exec_lo, exec_lo, s13
	v_cmp_ne_u16_sdwa s4, v23, v13 src0_sel:BYTE_1 src1_sel:DWORD
	s_and_saveexec_b32 s13, s4
	s_cbranch_execz .LBB399_2821
; %bb.2814:                             ;   in Loop: Header=BB399_2079 Depth=1
	v_cmp_ne_u16_sdwa s4, v23, v114 src0_sel:BYTE_1 src1_sel:DWORD
	v_bfrev_b32_e32 v11, 1
	s_and_saveexec_b32 s15, s4
	s_cbranch_execz .LBB399_2820
; %bb.2815:                             ;   in Loop: Header=BB399_2079 Depth=1
	v_and_b32_sdwa v12, v112, v23 dst_sel:DWORD dst_unused:UNUSED_PAD src0_sel:DWORD src1_sel:BYTE_1
	v_mov_b32_e32 v11, 0x7f800001
	s_mov_b32 s18, exec_lo
	v_and_b32_e32 v16, 0x7f, v12
	v_cmpx_ne_u32_e32 0x7f, v16
	s_cbranch_execz .LBB399_2819
; %bb.2816:                             ;   in Loop: Header=BB399_2079 Depth=1
	v_and_b32_e32 v12, 7, v12
	v_mov_b32_e32 v26, v13
	v_lshrrev_b32_e32 v11, 3, v16
	s_mov_b32 s20, exec_lo
	v_mov_b32_e32 v25, v12
	v_cmpx_gt_u32_e32 8, v16
; %bb.2817:                             ;   in Loop: Header=BB399_2079 Depth=1
	v_ffbh_u32_e32 v11, v12
	v_min_u32_e32 v11, 32, v11
	v_subrev_nc_u32_e32 v16, 28, v11
	v_sub_nc_u32_e32 v11, 29, v11
	v_lshlrev_b64 v[21:22], v16, v[12:13]
	v_and_b32_e32 v25, 7, v21
; %bb.2818:                             ;   in Loop: Header=BB399_2079 Depth=1
	s_or_b32 exec_lo, exec_lo, s20
	v_lshlrev_b32_e32 v12, 16, v23
	v_lshlrev_b32_e32 v16, 20, v25
	v_lshl_add_u32 v11, v11, 23, 0x3c000000
	v_and_b32_e32 v12, 0x80000000, v12
	v_or3_b32 v11, v16, v12, v11
.LBB399_2819:                           ;   in Loop: Header=BB399_2079 Depth=1
	s_or_b32 exec_lo, exec_lo, s18
.LBB399_2820:                           ;   in Loop: Header=BB399_2079 Depth=1
	s_or_b32 exec_lo, exec_lo, s15
.LBB399_2821:                           ;   in Loop: Header=BB399_2079 Depth=1
	s_or_b32 exec_lo, exec_lo, s13
	v_and_b32_sdwa v12, v23, v116 dst_sel:DWORD dst_unused:UNUSED_PAD src0_sel:WORD_1 src1_sel:DWORD
	v_mov_b32_e32 v21, 0
	v_mov_b32_e32 v16, 0
	s_mov_b32 s13, exec_lo
	v_cmpx_ne_u16_e32 0, v12
	s_cbranch_execz .LBB399_2829
; %bb.2822:                             ;   in Loop: Header=BB399_2079 Depth=1
	v_bfrev_b32_e32 v16, 1
	s_mov_b32 s15, exec_lo
	v_cmpx_ne_u16_e32 0x80, v12
	s_cbranch_execz .LBB399_2828
; %bb.2823:                             ;   in Loop: Header=BB399_2079 Depth=1
	v_bfe_u32 v22, v23, 16, 7
	v_mov_b32_e32 v16, 0x7f800001
	s_mov_b32 s18, exec_lo
	v_cmpx_ne_u32_e32 0x7f, v22
	s_cbranch_execz .LBB399_2827
; %bb.2824:                             ;   in Loop: Header=BB399_2079 Depth=1
	v_and_b32_sdwa v12, v23, v115 dst_sel:DWORD dst_unused:UNUSED_PAD src0_sel:WORD_1 src1_sel:DWORD
	v_mov_b32_e32 v26, v13
	v_lshrrev_b32_e32 v16, 3, v22
	s_mov_b32 s20, exec_lo
	v_mov_b32_e32 v25, v12
	v_cmpx_gt_u32_e32 8, v22
; %bb.2825:                             ;   in Loop: Header=BB399_2079 Depth=1
	v_ffbh_u32_e32 v16, v12
	v_min_u32_e32 v16, 32, v16
	v_subrev_nc_u32_e32 v22, 28, v16
	v_sub_nc_u32_e32 v16, 29, v16
	v_lshlrev_b64 v[25:26], v22, v[12:13]
	v_and_b32_e32 v25, 7, v25
; %bb.2826:                             ;   in Loop: Header=BB399_2079 Depth=1
	s_or_b32 exec_lo, exec_lo, s20
	v_lshlrev_b32_sdwa v12, v39, v23 dst_sel:DWORD dst_unused:UNUSED_PAD src0_sel:DWORD src1_sel:WORD_1
	v_lshlrev_b32_e32 v22, 20, v25
	v_lshl_add_u32 v16, v16, 23, 0x3c000000
	v_and_b32_e32 v12, 0x80000000, v12
	v_or3_b32 v16, v22, v12, v16
.LBB399_2827:                           ;   in Loop: Header=BB399_2079 Depth=1
	s_or_b32 exec_lo, exec_lo, s18
.LBB399_2828:                           ;   in Loop: Header=BB399_2079 Depth=1
	s_or_b32 exec_lo, exec_lo, s15
.LBB399_2829:                           ;   in Loop: Header=BB399_2079 Depth=1
	s_or_b32 exec_lo, exec_lo, s13
	s_mov_b32 s13, exec_lo
	v_cmpx_lt_u32_e32 0xffffff, v23
	s_cbranch_execz .LBB399_2837
; %bb.2830:                             ;   in Loop: Header=BB399_2079 Depth=1
	v_cmp_ne_u32_sdwa s4, v23, v114 src0_sel:BYTE_3 src1_sel:DWORD
	v_bfrev_b32_e32 v21, 1
	s_and_saveexec_b32 s15, s4
	s_cbranch_execz .LBB399_2836
; %bb.2831:                             ;   in Loop: Header=BB399_2079 Depth=1
	v_bfe_u32 v22, v23, 24, 7
	v_mov_b32_e32 v21, 0x7f800001
	s_mov_b32 s18, exec_lo
	v_cmpx_ne_u32_e32 0x7f, v22
	s_cbranch_execz .LBB399_2835
; %bb.2832:                             ;   in Loop: Header=BB399_2079 Depth=1
	v_and_b32_sdwa v12, v23, v115 dst_sel:DWORD dst_unused:UNUSED_PAD src0_sel:BYTE_3 src1_sel:DWORD
	v_mov_b32_e32 v26, v13
	v_lshrrev_b32_e32 v21, 3, v22
	s_mov_b32 s20, exec_lo
	v_mov_b32_e32 v25, v12
	v_cmpx_gt_u32_e32 8, v22
; %bb.2833:                             ;   in Loop: Header=BB399_2079 Depth=1
	v_ffbh_u32_e32 v21, v12
	v_min_u32_e32 v21, 32, v21
	v_subrev_nc_u32_e32 v22, 28, v21
	v_sub_nc_u32_e32 v21, 29, v21
	v_lshlrev_b64 v[25:26], v22, v[12:13]
	v_and_b32_e32 v25, 7, v25
; %bb.2834:                             ;   in Loop: Header=BB399_2079 Depth=1
	s_or_b32 exec_lo, exec_lo, s20
	v_lshlrev_b32_sdwa v12, v39, v23 dst_sel:DWORD dst_unused:UNUSED_PAD src0_sel:DWORD src1_sel:BYTE_3
	v_lshlrev_b32_e32 v22, 20, v25
	v_lshl_add_u32 v21, v21, 23, 0x3c000000
	v_and_b32_e32 v12, 0x80000000, v12
	v_or3_b32 v21, v22, v12, v21
.LBB399_2835:                           ;   in Loop: Header=BB399_2079 Depth=1
	s_or_b32 exec_lo, exec_lo, s18
.LBB399_2836:                           ;   in Loop: Header=BB399_2079 Depth=1
	s_or_b32 exec_lo, exec_lo, s15
.LBB399_2837:                           ;   in Loop: Header=BB399_2079 Depth=1
	s_or_b32 exec_lo, exec_lo, s13
	v_mov_b32_e32 v12, v24
	v_cmp_ne_u16_sdwa s4, v24, v13 src0_sel:BYTE_0 src1_sel:DWORD
	v_mov_b32_e32 v30, 0
	v_mov_b32_e32 v29, 0
	s_and_saveexec_b32 s13, s4
	s_cbranch_execz .LBB399_2845
; %bb.2838:                             ;   in Loop: Header=BB399_2079 Depth=1
	v_cmp_ne_u16_sdwa s4, v24, v114 src0_sel:BYTE_0 src1_sel:DWORD
	v_bfrev_b32_e32 v29, 1
	s_and_saveexec_b32 s15, s4
	s_cbranch_execz .LBB399_2844
; %bb.2839:                             ;   in Loop: Header=BB399_2079 Depth=1
	v_and_b32_e32 v25, 0x7f, v24
	v_mov_b32_e32 v29, 0x7f800001
	s_mov_b32 s18, exec_lo
	v_cmpx_ne_u32_e32 0x7f, v25
	s_cbranch_execz .LBB399_2843
; %bb.2840:                             ;   in Loop: Header=BB399_2079 Depth=1
	v_lshrrev_b32_e32 v22, 3, v25
	v_cmp_gt_u32_e64 s4, 8, v25
	v_mov_b32_e32 v26, v13
	v_mov_b32_e32 v25, v12
	s_and_saveexec_b32 s20, s4
; %bb.2841:                             ;   in Loop: Header=BB399_2079 Depth=1
	v_and_b32_e32 v22, 7, v24
	v_ffbh_u32_e32 v22, v22
	v_min_u32_e32 v22, 32, v22
	v_subrev_nc_u32_e32 v25, 28, v22
	v_sub_nc_u32_e32 v22, 29, v22
	v_lshlrev_b64 v[25:26], v25, v[12:13]
; %bb.2842:                             ;   in Loop: Header=BB399_2079 Depth=1
	s_or_b32 exec_lo, exec_lo, s20
	v_lshlrev_b32_e32 v25, 20, v25
	v_lshlrev_b32_e32 v26, 24, v12
	v_lshl_add_u32 v22, v22, 23, 0x3c000000
	v_and_b32_e32 v25, 0x700000, v25
	v_and_b32_e32 v26, 0x80000000, v26
	v_or3_b32 v29, v25, v26, v22
.LBB399_2843:                           ;   in Loop: Header=BB399_2079 Depth=1
	s_or_b32 exec_lo, exec_lo, s18
.LBB399_2844:                           ;   in Loop: Header=BB399_2079 Depth=1
	s_or_b32 exec_lo, exec_lo, s15
.LBB399_2845:                           ;   in Loop: Header=BB399_2079 Depth=1
	s_or_b32 exec_lo, exec_lo, s13
	v_cmp_ne_u16_sdwa s4, v12, v13 src0_sel:BYTE_1 src1_sel:DWORD
	s_and_saveexec_b32 s13, s4
	s_cbranch_execz .LBB399_2853
; %bb.2846:                             ;   in Loop: Header=BB399_2079 Depth=1
	v_cmp_ne_u16_sdwa s4, v12, v114 src0_sel:BYTE_1 src1_sel:DWORD
	v_bfrev_b32_e32 v30, 1
	s_and_saveexec_b32 s15, s4
	s_cbranch_execz .LBB399_2852
; %bb.2847:                             ;   in Loop: Header=BB399_2079 Depth=1
	v_and_b32_sdwa v22, v112, v12 dst_sel:DWORD dst_unused:UNUSED_PAD src0_sel:DWORD src1_sel:BYTE_1
	v_mov_b32_e32 v30, 0x7f800001
	s_mov_b32 s18, exec_lo
	v_and_b32_e32 v28, 0x7f, v22
	v_cmpx_ne_u32_e32 0x7f, v28
	s_cbranch_execz .LBB399_2851
; %bb.2848:                             ;   in Loop: Header=BB399_2079 Depth=1
	v_and_b32_e32 v25, 7, v22
	v_mov_b32_e32 v26, v13
	v_lshrrev_b32_e32 v22, 3, v28
	s_mov_b32 s20, exec_lo
	v_cmpx_gt_u32_e32 8, v28
; %bb.2849:                             ;   in Loop: Header=BB399_2079 Depth=1
	v_ffbh_u32_e32 v22, v25
	v_min_u32_e32 v22, 32, v22
	v_subrev_nc_u32_e32 v28, 28, v22
	v_sub_nc_u32_e32 v22, 29, v22
	v_lshlrev_b64 v[25:26], v28, v[25:26]
	v_and_b32_e32 v25, 7, v25
; %bb.2850:                             ;   in Loop: Header=BB399_2079 Depth=1
	s_or_b32 exec_lo, exec_lo, s20
	v_lshlrev_b32_e32 v12, 16, v12
	v_lshlrev_b32_e32 v25, 20, v25
	v_lshl_add_u32 v22, v22, 23, 0x3c000000
	v_and_b32_e32 v12, 0x80000000, v12
	v_or3_b32 v30, v25, v12, v22
.LBB399_2851:                           ;   in Loop: Header=BB399_2079 Depth=1
	s_or_b32 exec_lo, exec_lo, s18
.LBB399_2852:                           ;   in Loop: Header=BB399_2079 Depth=1
	s_or_b32 exec_lo, exec_lo, s15
.LBB399_2853:                           ;   in Loop: Header=BB399_2079 Depth=1
	s_or_b32 exec_lo, exec_lo, s13
	v_and_b32_sdwa v12, v24, v116 dst_sel:DWORD dst_unused:UNUSED_PAD src0_sel:WORD_1 src1_sel:DWORD
	v_mov_b32_e32 v22, 0
	v_mov_b32_e32 v28, 0
	s_mov_b32 s13, exec_lo
	v_cmpx_ne_u16_e32 0, v12
	s_cbranch_execz .LBB399_2861
; %bb.2854:                             ;   in Loop: Header=BB399_2079 Depth=1
	v_bfrev_b32_e32 v28, 1
	s_mov_b32 s15, exec_lo
	v_cmpx_ne_u16_e32 0x80, v12
	s_cbranch_execz .LBB399_2860
; %bb.2855:                             ;   in Loop: Header=BB399_2079 Depth=1
	v_bfe_u32 v25, v24, 16, 7
	v_mov_b32_e32 v28, 0x7f800001
	s_mov_b32 s18, exec_lo
	v_cmpx_ne_u32_e32 0x7f, v25
	s_cbranch_execz .LBB399_2859
; %bb.2856:                             ;   in Loop: Header=BB399_2079 Depth=1
	v_and_b32_sdwa v12, v24, v115 dst_sel:DWORD dst_unused:UNUSED_PAD src0_sel:WORD_1 src1_sel:DWORD
	v_lshrrev_b32_e32 v28, 3, v25
	v_cmp_gt_u32_e64 s4, 8, v25
	v_mov_b32_e32 v26, v13
	v_mov_b32_e32 v25, v12
	s_and_saveexec_b32 s20, s4
; %bb.2857:                             ;   in Loop: Header=BB399_2079 Depth=1
	v_ffbh_u32_e32 v25, v12
	v_min_u32_e32 v28, 32, v25
	v_subrev_nc_u32_e32 v25, 28, v28
	v_sub_nc_u32_e32 v28, 29, v28
	v_lshlrev_b64 v[25:26], v25, v[12:13]
	v_and_b32_e32 v25, 7, v25
; %bb.2858:                             ;   in Loop: Header=BB399_2079 Depth=1
	s_or_b32 exec_lo, exec_lo, s20
	v_lshlrev_b32_sdwa v12, v39, v24 dst_sel:DWORD dst_unused:UNUSED_PAD src0_sel:DWORD src1_sel:WORD_1
	v_lshlrev_b32_e32 v25, 20, v25
	v_lshl_add_u32 v26, v28, 23, 0x3c000000
	v_and_b32_e32 v12, 0x80000000, v12
	v_or3_b32 v28, v25, v12, v26
.LBB399_2859:                           ;   in Loop: Header=BB399_2079 Depth=1
	s_or_b32 exec_lo, exec_lo, s18
.LBB399_2860:                           ;   in Loop: Header=BB399_2079 Depth=1
	s_or_b32 exec_lo, exec_lo, s15
.LBB399_2861:                           ;   in Loop: Header=BB399_2079 Depth=1
	s_or_b32 exec_lo, exec_lo, s13
	s_mov_b32 s13, exec_lo
	v_cmpx_lt_u64_e64 s[8:9], v[23:24]
	s_cbranch_execz .LBB399_2869
; %bb.2862:                             ;   in Loop: Header=BB399_2079 Depth=1
	v_cmp_ne_u32_sdwa s4, v24, v114 src0_sel:BYTE_3 src1_sel:DWORD
	v_bfrev_b32_e32 v22, 1
	s_and_saveexec_b32 s15, s4
	s_cbranch_execz .LBB399_2868
; %bb.2863:                             ;   in Loop: Header=BB399_2079 Depth=1
	v_bfe_u32 v23, v24, 24, 7
	v_mov_b32_e32 v22, 0x7f800001
	s_mov_b32 s18, exec_lo
	v_cmpx_ne_u32_e32 0x7f, v23
	s_cbranch_execz .LBB399_2867
; %bb.2864:                             ;   in Loop: Header=BB399_2079 Depth=1
	v_and_b32_sdwa v12, v24, v115 dst_sel:DWORD dst_unused:UNUSED_PAD src0_sel:BYTE_3 src1_sel:DWORD
	v_mov_b32_e32 v26, v13
	v_lshrrev_b32_e32 v22, 3, v23
	s_mov_b32 s20, exec_lo
	v_mov_b32_e32 v25, v12
	v_cmpx_gt_u32_e32 8, v23
; %bb.2865:                             ;   in Loop: Header=BB399_2079 Depth=1
	v_ffbh_u32_e32 v22, v12
	v_min_u32_e32 v22, 32, v22
	v_subrev_nc_u32_e32 v23, 28, v22
	v_sub_nc_u32_e32 v22, 29, v22
	v_lshlrev_b64 v[25:26], v23, v[12:13]
	v_and_b32_e32 v25, 7, v25
; %bb.2866:                             ;   in Loop: Header=BB399_2079 Depth=1
	s_or_b32 exec_lo, exec_lo, s20
	v_lshlrev_b32_sdwa v12, v39, v24 dst_sel:DWORD dst_unused:UNUSED_PAD src0_sel:DWORD src1_sel:BYTE_3
	v_lshlrev_b32_e32 v23, 20, v25
	v_lshl_add_u32 v22, v22, 23, 0x3c000000
	v_and_b32_e32 v12, 0x80000000, v12
	v_or3_b32 v22, v23, v12, v22
.LBB399_2867:                           ;   in Loop: Header=BB399_2079 Depth=1
	s_or_b32 exec_lo, exec_lo, s18
.LBB399_2868:                           ;   in Loop: Header=BB399_2079 Depth=1
	s_or_b32 exec_lo, exec_lo, s15
.LBB399_2869:                           ;   in Loop: Header=BB399_2079 Depth=1
	s_or_b32 exec_lo, exec_lo, s13
	v_mul_f32_e32 v12, v27, v30
	v_mul_f32_e32 v11, v27, v11
	;; [unrolled: 1-line block ×3, first 2 shown]
	v_bfe_u32 v23, v12, 16, 1
	v_or_b32_e32 v24, 0x400000, v12
	v_cmp_u_f32_e64 s4, v12, v12
	v_add3_u32 v23, v23, v12, 0x7fff
	v_cndmask_b32_e64 v12, v23, v24, s4
	v_lshrrev_b32_e32 v12, 16, v12
	buffer_store_dword v12, off, s[0:3], s32 offset:544 ; 4-byte Folded Spill
	v_mul_f32_e32 v12, v27, v29
	v_bfe_u32 v23, v12, 16, 1
	v_or_b32_e32 v24, 0x400000, v12
	v_cmp_u_f32_e64 s4, v12, v12
	v_add3_u32 v23, v23, v12, 0x7fff
	v_cndmask_b32_e64 v12, v23, v24, s4
	v_lshrrev_b32_e32 v12, 16, v12
	buffer_store_dword v12, off, s[0:3], s32 offset:548 ; 4-byte Folded Spill
	v_mul_f32_e32 v12, v27, v21
	;; [unrolled: 8-line block ×3, first 2 shown]
	v_bfe_u32 v16, v12, 16, 1
	v_or_b32_e32 v21, 0x400000, v12
	v_cmp_u_f32_e64 s4, v12, v12
	v_add3_u32 v16, v16, v12, 0x7fff
	v_cndmask_b32_e64 v12, v16, v21, s4
	v_or_b32_e32 v16, 0x400000, v11
	v_cmp_u_f32_e64 s4, v11, v11
	v_lshrrev_b32_e32 v12, 16, v12
	buffer_store_dword v12, off, s[0:3], s32 offset:556 ; 4-byte Folded Spill
	v_bfe_u32 v12, v11, 16, 1
	v_add3_u32 v12, v12, v11, 0x7fff
	v_cndmask_b32_e64 v11, v12, v16, s4
	v_or_b32_e32 v12, 0x400000, v10
	v_cmp_u_f32_e64 s4, v10, v10
	v_lshrrev_b32_e32 v11, 16, v11
	buffer_store_dword v11, off, s[0:3], s32 offset:564 ; 4-byte Folded Spill
	v_bfe_u32 v11, v10, 16, 1
	v_add3_u32 v11, v11, v10, 0x7fff
	v_cndmask_b32_e64 v10, v11, v12, s4
	v_lshrrev_b32_e32 v10, 16, v10
	buffer_store_dword v10, off, s[0:3], s32 offset:568 ; 4-byte Folded Spill
	v_mul_f32_e32 v10, v27, v28
	v_bfe_u32 v11, v10, 16, 1
	v_or_b32_e32 v12, 0x400000, v10
	v_cmp_u_f32_e64 s4, v10, v10
	v_add3_u32 v11, v11, v10, 0x7fff
	v_cndmask_b32_e64 v10, v11, v12, s4
	v_lshrrev_b32_e32 v10, 16, v10
	buffer_store_dword v10, off, s[0:3], s32 offset:560 ; 4-byte Folded Spill
	v_mul_f32_e32 v10, v27, v22
	v_bfe_u32 v11, v10, 16, 1
	v_or_b32_e32 v12, 0x400000, v10
	v_cmp_u_f32_e64 s4, v10, v10
	v_add3_u32 v11, v11, v10, 0x7fff
	v_cndmask_b32_e64 v10, v11, v12, s4
	v_lshrrev_b32_e32 v10, 16, v10
	buffer_store_dword v10, off, s[0:3], s32 offset:572 ; 4-byte Folded Spill
	s_and_saveexec_b32 s13, vcc_lo
	s_cbranch_execz .LBB399_2871
; %bb.2870:                             ;   in Loop: Header=BB399_2079 Depth=1
	buffer_load_dword v10, off, s[0:3], s32 offset:568 ; 4-byte Folded Reload
	v_cmp_lt_i32_e64 s4, v125, v124
	s_waitcnt vmcnt(0)
	v_cndmask_b32_e64 v10, 0, v10, s4
	v_cmp_lt_i32_e64 s4, v113, v124
	buffer_store_dword v10, off, s[0:3], s32 offset:568 ; 4-byte Folded Spill
	buffer_load_dword v10, off, s[0:3], s32 offset:564 ; 4-byte Folded Reload
	s_waitcnt vmcnt(0)
	v_cndmask_b32_e64 v10, 0, v10, s4
	v_cmp_lt_i32_e64 s4, v38, v124
	buffer_store_dword v10, off, s[0:3], s32 offset:564 ; 4-byte Folded Spill
	buffer_load_dword v10, off, s[0:3], s32 offset:556 ; 4-byte Folded Reload
	;; [unrolled: 5-line block ×7, first 2 shown]
	s_waitcnt vmcnt(0)
	v_cndmask_b32_e64 v10, 0, v10, s4
	buffer_store_dword v10, off, s[0:3], s32 offset:572 ; 4-byte Folded Spill
.LBB399_2871:                           ;   in Loop: Header=BB399_2079 Depth=1
	s_or_b32 exec_lo, exec_lo, s13
	flat_load_dwordx2 v[23:24], v[19:20] offset:1024
	v_mov_b32_e32 v11, 0
	v_mov_b32_e32 v10, 0
	s_waitcnt vmcnt(0) lgkmcnt(0)
	v_cmp_ne_u16_sdwa s4, v23, v13 src0_sel:BYTE_0 src1_sel:DWORD
	s_and_saveexec_b32 s13, s4
	s_cbranch_execz .LBB399_2879
; %bb.2872:                             ;   in Loop: Header=BB399_2079 Depth=1
	v_cmp_ne_u16_sdwa s4, v23, v114 src0_sel:BYTE_0 src1_sel:DWORD
	v_bfrev_b32_e32 v10, 1
	s_and_saveexec_b32 s15, s4
	s_cbranch_execz .LBB399_2878
; %bb.2873:                             ;   in Loop: Header=BB399_2079 Depth=1
	v_and_b32_e32 v12, 0x7f, v23
	v_mov_b32_e32 v10, 0x7f800001
	s_mov_b32 s18, exec_lo
	v_cmpx_ne_u32_e32 0x7f, v12
	s_cbranch_execz .LBB399_2877
; %bb.2874:                             ;   in Loop: Header=BB399_2079 Depth=1
	v_mov_b32_e32 v26, v24
	v_lshrrev_b32_e32 v10, 3, v12
	v_mov_b32_e32 v25, v23
	s_mov_b32 s20, exec_lo
	v_cmpx_gt_u32_e32 8, v12
; %bb.2875:                             ;   in Loop: Header=BB399_2079 Depth=1
	v_and_b32_e32 v10, 7, v23
	v_ffbh_u32_e32 v10, v10
	v_min_u32_e32 v10, 32, v10
	v_subrev_nc_u32_e32 v12, 28, v10
	v_sub_nc_u32_e32 v10, 29, v10
	v_lshlrev_b64 v[25:26], v12, v[23:24]
; %bb.2876:                             ;   in Loop: Header=BB399_2079 Depth=1
	s_or_b32 exec_lo, exec_lo, s20
	v_lshlrev_b32_e32 v12, 20, v25
	v_lshlrev_b32_e32 v16, 24, v23
	v_lshl_add_u32 v10, v10, 23, 0x3c000000
	v_and_b32_e32 v12, 0x700000, v12
	v_and_b32_e32 v16, 0x80000000, v16
	v_or3_b32 v10, v12, v16, v10
.LBB399_2877:                           ;   in Loop: Header=BB399_2079 Depth=1
	s_or_b32 exec_lo, exec_lo, s18
.LBB399_2878:                           ;   in Loop: Header=BB399_2079 Depth=1
	s_or_b32 exec_lo, exec_lo, s15
.LBB399_2879:                           ;   in Loop: Header=BB399_2079 Depth=1
	s_or_b32 exec_lo, exec_lo, s13
	v_cmp_ne_u16_sdwa s4, v23, v13 src0_sel:BYTE_1 src1_sel:DWORD
	s_and_saveexec_b32 s13, s4
	s_cbranch_execz .LBB399_2887
; %bb.2880:                             ;   in Loop: Header=BB399_2079 Depth=1
	v_cmp_ne_u16_sdwa s4, v23, v114 src0_sel:BYTE_1 src1_sel:DWORD
	v_bfrev_b32_e32 v11, 1
	s_and_saveexec_b32 s15, s4
	s_cbranch_execz .LBB399_2886
; %bb.2881:                             ;   in Loop: Header=BB399_2079 Depth=1
	v_and_b32_sdwa v12, v112, v23 dst_sel:DWORD dst_unused:UNUSED_PAD src0_sel:DWORD src1_sel:BYTE_1
	v_mov_b32_e32 v11, 0x7f800001
	s_mov_b32 s18, exec_lo
	v_and_b32_e32 v16, 0x7f, v12
	v_cmpx_ne_u32_e32 0x7f, v16
	s_cbranch_execz .LBB399_2885
; %bb.2882:                             ;   in Loop: Header=BB399_2079 Depth=1
	v_and_b32_e32 v12, 7, v12
	v_mov_b32_e32 v26, v13
	v_lshrrev_b32_e32 v11, 3, v16
	s_mov_b32 s20, exec_lo
	v_mov_b32_e32 v25, v12
	v_cmpx_gt_u32_e32 8, v16
; %bb.2883:                             ;   in Loop: Header=BB399_2079 Depth=1
	v_ffbh_u32_e32 v11, v12
	v_min_u32_e32 v11, 32, v11
	v_subrev_nc_u32_e32 v16, 28, v11
	v_sub_nc_u32_e32 v11, 29, v11
	v_lshlrev_b64 v[21:22], v16, v[12:13]
	v_and_b32_e32 v25, 7, v21
; %bb.2884:                             ;   in Loop: Header=BB399_2079 Depth=1
	s_or_b32 exec_lo, exec_lo, s20
	v_lshlrev_b32_e32 v12, 16, v23
	v_lshlrev_b32_e32 v16, 20, v25
	v_lshl_add_u32 v11, v11, 23, 0x3c000000
	v_and_b32_e32 v12, 0x80000000, v12
	v_or3_b32 v11, v16, v12, v11
.LBB399_2885:                           ;   in Loop: Header=BB399_2079 Depth=1
	s_or_b32 exec_lo, exec_lo, s18
.LBB399_2886:                           ;   in Loop: Header=BB399_2079 Depth=1
	s_or_b32 exec_lo, exec_lo, s15
.LBB399_2887:                           ;   in Loop: Header=BB399_2079 Depth=1
	s_or_b32 exec_lo, exec_lo, s13
	v_and_b32_sdwa v12, v23, v116 dst_sel:DWORD dst_unused:UNUSED_PAD src0_sel:WORD_1 src1_sel:DWORD
	v_mov_b32_e32 v21, 0
	v_mov_b32_e32 v16, 0
	s_mov_b32 s13, exec_lo
	v_cmpx_ne_u16_e32 0, v12
	s_cbranch_execz .LBB399_2895
; %bb.2888:                             ;   in Loop: Header=BB399_2079 Depth=1
	v_bfrev_b32_e32 v16, 1
	s_mov_b32 s15, exec_lo
	v_cmpx_ne_u16_e32 0x80, v12
	s_cbranch_execz .LBB399_2894
; %bb.2889:                             ;   in Loop: Header=BB399_2079 Depth=1
	v_bfe_u32 v22, v23, 16, 7
	v_mov_b32_e32 v16, 0x7f800001
	s_mov_b32 s18, exec_lo
	v_cmpx_ne_u32_e32 0x7f, v22
	s_cbranch_execz .LBB399_2893
; %bb.2890:                             ;   in Loop: Header=BB399_2079 Depth=1
	v_and_b32_sdwa v12, v23, v115 dst_sel:DWORD dst_unused:UNUSED_PAD src0_sel:WORD_1 src1_sel:DWORD
	v_mov_b32_e32 v26, v13
	v_lshrrev_b32_e32 v16, 3, v22
	s_mov_b32 s20, exec_lo
	v_mov_b32_e32 v25, v12
	v_cmpx_gt_u32_e32 8, v22
; %bb.2891:                             ;   in Loop: Header=BB399_2079 Depth=1
	v_ffbh_u32_e32 v16, v12
	v_min_u32_e32 v16, 32, v16
	v_subrev_nc_u32_e32 v22, 28, v16
	v_sub_nc_u32_e32 v16, 29, v16
	v_lshlrev_b64 v[25:26], v22, v[12:13]
	v_and_b32_e32 v25, 7, v25
; %bb.2892:                             ;   in Loop: Header=BB399_2079 Depth=1
	s_or_b32 exec_lo, exec_lo, s20
	v_lshlrev_b32_sdwa v12, v39, v23 dst_sel:DWORD dst_unused:UNUSED_PAD src0_sel:DWORD src1_sel:WORD_1
	v_lshlrev_b32_e32 v22, 20, v25
	v_lshl_add_u32 v16, v16, 23, 0x3c000000
	v_and_b32_e32 v12, 0x80000000, v12
	v_or3_b32 v16, v22, v12, v16
.LBB399_2893:                           ;   in Loop: Header=BB399_2079 Depth=1
	s_or_b32 exec_lo, exec_lo, s18
.LBB399_2894:                           ;   in Loop: Header=BB399_2079 Depth=1
	s_or_b32 exec_lo, exec_lo, s15
.LBB399_2895:                           ;   in Loop: Header=BB399_2079 Depth=1
	s_or_b32 exec_lo, exec_lo, s13
	s_mov_b32 s13, exec_lo
	v_cmpx_lt_u32_e32 0xffffff, v23
	s_cbranch_execz .LBB399_2903
; %bb.2896:                             ;   in Loop: Header=BB399_2079 Depth=1
	v_cmp_ne_u32_sdwa s4, v23, v114 src0_sel:BYTE_3 src1_sel:DWORD
	v_bfrev_b32_e32 v21, 1
	s_and_saveexec_b32 s15, s4
	s_cbranch_execz .LBB399_2902
; %bb.2897:                             ;   in Loop: Header=BB399_2079 Depth=1
	v_bfe_u32 v22, v23, 24, 7
	v_mov_b32_e32 v21, 0x7f800001
	s_mov_b32 s18, exec_lo
	v_cmpx_ne_u32_e32 0x7f, v22
	s_cbranch_execz .LBB399_2901
; %bb.2898:                             ;   in Loop: Header=BB399_2079 Depth=1
	v_and_b32_sdwa v12, v23, v115 dst_sel:DWORD dst_unused:UNUSED_PAD src0_sel:BYTE_3 src1_sel:DWORD
	v_mov_b32_e32 v26, v13
	v_lshrrev_b32_e32 v21, 3, v22
	s_mov_b32 s20, exec_lo
	v_mov_b32_e32 v25, v12
	v_cmpx_gt_u32_e32 8, v22
; %bb.2899:                             ;   in Loop: Header=BB399_2079 Depth=1
	v_ffbh_u32_e32 v21, v12
	v_min_u32_e32 v21, 32, v21
	v_subrev_nc_u32_e32 v22, 28, v21
	v_sub_nc_u32_e32 v21, 29, v21
	v_lshlrev_b64 v[25:26], v22, v[12:13]
	v_and_b32_e32 v25, 7, v25
; %bb.2900:                             ;   in Loop: Header=BB399_2079 Depth=1
	s_or_b32 exec_lo, exec_lo, s20
	v_lshlrev_b32_sdwa v12, v39, v23 dst_sel:DWORD dst_unused:UNUSED_PAD src0_sel:DWORD src1_sel:BYTE_3
	v_lshlrev_b32_e32 v22, 20, v25
	v_lshl_add_u32 v21, v21, 23, 0x3c000000
	v_and_b32_e32 v12, 0x80000000, v12
	v_or3_b32 v21, v22, v12, v21
.LBB399_2901:                           ;   in Loop: Header=BB399_2079 Depth=1
	s_or_b32 exec_lo, exec_lo, s18
.LBB399_2902:                           ;   in Loop: Header=BB399_2079 Depth=1
	s_or_b32 exec_lo, exec_lo, s15
.LBB399_2903:                           ;   in Loop: Header=BB399_2079 Depth=1
	s_or_b32 exec_lo, exec_lo, s13
	v_mov_b32_e32 v12, v24
	v_cmp_ne_u16_sdwa s4, v24, v13 src0_sel:BYTE_0 src1_sel:DWORD
	v_mov_b32_e32 v30, 0
	v_mov_b32_e32 v29, 0
	s_and_saveexec_b32 s13, s4
	s_cbranch_execz .LBB399_2911
; %bb.2904:                             ;   in Loop: Header=BB399_2079 Depth=1
	v_cmp_ne_u16_sdwa s4, v24, v114 src0_sel:BYTE_0 src1_sel:DWORD
	v_bfrev_b32_e32 v29, 1
	s_and_saveexec_b32 s15, s4
	s_cbranch_execz .LBB399_2910
; %bb.2905:                             ;   in Loop: Header=BB399_2079 Depth=1
	v_and_b32_e32 v25, 0x7f, v24
	v_mov_b32_e32 v29, 0x7f800001
	s_mov_b32 s18, exec_lo
	v_cmpx_ne_u32_e32 0x7f, v25
	s_cbranch_execz .LBB399_2909
; %bb.2906:                             ;   in Loop: Header=BB399_2079 Depth=1
	v_lshrrev_b32_e32 v22, 3, v25
	v_cmp_gt_u32_e64 s4, 8, v25
	v_mov_b32_e32 v26, v13
	v_mov_b32_e32 v25, v12
	s_and_saveexec_b32 s20, s4
; %bb.2907:                             ;   in Loop: Header=BB399_2079 Depth=1
	v_and_b32_e32 v22, 7, v24
	v_ffbh_u32_e32 v22, v22
	v_min_u32_e32 v22, 32, v22
	v_subrev_nc_u32_e32 v25, 28, v22
	v_sub_nc_u32_e32 v22, 29, v22
	v_lshlrev_b64 v[25:26], v25, v[12:13]
; %bb.2908:                             ;   in Loop: Header=BB399_2079 Depth=1
	s_or_b32 exec_lo, exec_lo, s20
	v_lshlrev_b32_e32 v25, 20, v25
	v_lshlrev_b32_e32 v26, 24, v12
	v_lshl_add_u32 v22, v22, 23, 0x3c000000
	v_and_b32_e32 v25, 0x700000, v25
	v_and_b32_e32 v26, 0x80000000, v26
	v_or3_b32 v29, v25, v26, v22
.LBB399_2909:                           ;   in Loop: Header=BB399_2079 Depth=1
	s_or_b32 exec_lo, exec_lo, s18
.LBB399_2910:                           ;   in Loop: Header=BB399_2079 Depth=1
	s_or_b32 exec_lo, exec_lo, s15
.LBB399_2911:                           ;   in Loop: Header=BB399_2079 Depth=1
	s_or_b32 exec_lo, exec_lo, s13
	v_cmp_ne_u16_sdwa s4, v12, v13 src0_sel:BYTE_1 src1_sel:DWORD
	s_and_saveexec_b32 s13, s4
	s_cbranch_execz .LBB399_2919
; %bb.2912:                             ;   in Loop: Header=BB399_2079 Depth=1
	v_cmp_ne_u16_sdwa s4, v12, v114 src0_sel:BYTE_1 src1_sel:DWORD
	v_bfrev_b32_e32 v30, 1
	s_and_saveexec_b32 s15, s4
	s_cbranch_execz .LBB399_2918
; %bb.2913:                             ;   in Loop: Header=BB399_2079 Depth=1
	v_and_b32_sdwa v22, v112, v12 dst_sel:DWORD dst_unused:UNUSED_PAD src0_sel:DWORD src1_sel:BYTE_1
	v_mov_b32_e32 v30, 0x7f800001
	s_mov_b32 s18, exec_lo
	v_and_b32_e32 v28, 0x7f, v22
	v_cmpx_ne_u32_e32 0x7f, v28
	s_cbranch_execz .LBB399_2917
; %bb.2914:                             ;   in Loop: Header=BB399_2079 Depth=1
	v_and_b32_e32 v25, 7, v22
	v_mov_b32_e32 v26, v13
	v_lshrrev_b32_e32 v22, 3, v28
	s_mov_b32 s20, exec_lo
	v_cmpx_gt_u32_e32 8, v28
; %bb.2915:                             ;   in Loop: Header=BB399_2079 Depth=1
	v_ffbh_u32_e32 v22, v25
	v_min_u32_e32 v22, 32, v22
	v_subrev_nc_u32_e32 v28, 28, v22
	v_sub_nc_u32_e32 v22, 29, v22
	v_lshlrev_b64 v[25:26], v28, v[25:26]
	v_and_b32_e32 v25, 7, v25
; %bb.2916:                             ;   in Loop: Header=BB399_2079 Depth=1
	s_or_b32 exec_lo, exec_lo, s20
	v_lshlrev_b32_e32 v12, 16, v12
	v_lshlrev_b32_e32 v25, 20, v25
	v_lshl_add_u32 v22, v22, 23, 0x3c000000
	v_and_b32_e32 v12, 0x80000000, v12
	v_or3_b32 v30, v25, v12, v22
.LBB399_2917:                           ;   in Loop: Header=BB399_2079 Depth=1
	s_or_b32 exec_lo, exec_lo, s18
.LBB399_2918:                           ;   in Loop: Header=BB399_2079 Depth=1
	s_or_b32 exec_lo, exec_lo, s15
.LBB399_2919:                           ;   in Loop: Header=BB399_2079 Depth=1
	s_or_b32 exec_lo, exec_lo, s13
	v_and_b32_sdwa v12, v24, v116 dst_sel:DWORD dst_unused:UNUSED_PAD src0_sel:WORD_1 src1_sel:DWORD
	v_mov_b32_e32 v22, 0
	v_mov_b32_e32 v28, 0
	s_mov_b32 s13, exec_lo
	v_cmpx_ne_u16_e32 0, v12
	s_cbranch_execz .LBB399_2927
; %bb.2920:                             ;   in Loop: Header=BB399_2079 Depth=1
	v_bfrev_b32_e32 v28, 1
	s_mov_b32 s15, exec_lo
	v_cmpx_ne_u16_e32 0x80, v12
	s_cbranch_execz .LBB399_2926
; %bb.2921:                             ;   in Loop: Header=BB399_2079 Depth=1
	v_bfe_u32 v25, v24, 16, 7
	v_mov_b32_e32 v28, 0x7f800001
	s_mov_b32 s18, exec_lo
	v_cmpx_ne_u32_e32 0x7f, v25
	s_cbranch_execz .LBB399_2925
; %bb.2922:                             ;   in Loop: Header=BB399_2079 Depth=1
	v_and_b32_sdwa v12, v24, v115 dst_sel:DWORD dst_unused:UNUSED_PAD src0_sel:WORD_1 src1_sel:DWORD
	v_lshrrev_b32_e32 v28, 3, v25
	v_cmp_gt_u32_e64 s4, 8, v25
	v_mov_b32_e32 v26, v13
	v_mov_b32_e32 v25, v12
	s_and_saveexec_b32 s20, s4
; %bb.2923:                             ;   in Loop: Header=BB399_2079 Depth=1
	v_ffbh_u32_e32 v25, v12
	v_min_u32_e32 v28, 32, v25
	v_subrev_nc_u32_e32 v25, 28, v28
	v_sub_nc_u32_e32 v28, 29, v28
	v_lshlrev_b64 v[25:26], v25, v[12:13]
	v_and_b32_e32 v25, 7, v25
; %bb.2924:                             ;   in Loop: Header=BB399_2079 Depth=1
	s_or_b32 exec_lo, exec_lo, s20
	v_lshlrev_b32_sdwa v12, v39, v24 dst_sel:DWORD dst_unused:UNUSED_PAD src0_sel:DWORD src1_sel:WORD_1
	v_lshlrev_b32_e32 v25, 20, v25
	v_lshl_add_u32 v26, v28, 23, 0x3c000000
	v_and_b32_e32 v12, 0x80000000, v12
	v_or3_b32 v28, v25, v12, v26
.LBB399_2925:                           ;   in Loop: Header=BB399_2079 Depth=1
	s_or_b32 exec_lo, exec_lo, s18
.LBB399_2926:                           ;   in Loop: Header=BB399_2079 Depth=1
	s_or_b32 exec_lo, exec_lo, s15
.LBB399_2927:                           ;   in Loop: Header=BB399_2079 Depth=1
	s_or_b32 exec_lo, exec_lo, s13
	s_mov_b32 s13, exec_lo
	v_cmpx_lt_u64_e64 s[8:9], v[23:24]
	s_cbranch_execz .LBB399_2935
; %bb.2928:                             ;   in Loop: Header=BB399_2079 Depth=1
	v_cmp_ne_u32_sdwa s4, v24, v114 src0_sel:BYTE_3 src1_sel:DWORD
	v_bfrev_b32_e32 v22, 1
	s_and_saveexec_b32 s15, s4
	s_cbranch_execz .LBB399_2934
; %bb.2929:                             ;   in Loop: Header=BB399_2079 Depth=1
	v_bfe_u32 v23, v24, 24, 7
	v_mov_b32_e32 v22, 0x7f800001
	s_mov_b32 s18, exec_lo
	v_cmpx_ne_u32_e32 0x7f, v23
	s_cbranch_execz .LBB399_2933
; %bb.2930:                             ;   in Loop: Header=BB399_2079 Depth=1
	v_and_b32_sdwa v12, v24, v115 dst_sel:DWORD dst_unused:UNUSED_PAD src0_sel:BYTE_3 src1_sel:DWORD
	v_mov_b32_e32 v26, v13
	v_lshrrev_b32_e32 v22, 3, v23
	s_mov_b32 s20, exec_lo
	v_mov_b32_e32 v25, v12
	v_cmpx_gt_u32_e32 8, v23
; %bb.2931:                             ;   in Loop: Header=BB399_2079 Depth=1
	v_ffbh_u32_e32 v22, v12
	v_min_u32_e32 v22, 32, v22
	v_subrev_nc_u32_e32 v23, 28, v22
	v_sub_nc_u32_e32 v22, 29, v22
	v_lshlrev_b64 v[25:26], v23, v[12:13]
	v_and_b32_e32 v25, 7, v25
; %bb.2932:                             ;   in Loop: Header=BB399_2079 Depth=1
	s_or_b32 exec_lo, exec_lo, s20
	v_lshlrev_b32_sdwa v12, v39, v24 dst_sel:DWORD dst_unused:UNUSED_PAD src0_sel:DWORD src1_sel:BYTE_3
	v_lshlrev_b32_e32 v23, 20, v25
	v_lshl_add_u32 v22, v22, 23, 0x3c000000
	v_and_b32_e32 v12, 0x80000000, v12
	v_or3_b32 v22, v23, v12, v22
.LBB399_2933:                           ;   in Loop: Header=BB399_2079 Depth=1
	s_or_b32 exec_lo, exec_lo, s18
.LBB399_2934:                           ;   in Loop: Header=BB399_2079 Depth=1
	s_or_b32 exec_lo, exec_lo, s15
.LBB399_2935:                           ;   in Loop: Header=BB399_2079 Depth=1
	s_or_b32 exec_lo, exec_lo, s13
	v_mul_f32_e32 v12, v27, v30
	v_mul_f32_e32 v11, v27, v11
	;; [unrolled: 1-line block ×3, first 2 shown]
	v_bfe_u32 v23, v12, 16, 1
	v_or_b32_e32 v24, 0x400000, v12
	v_cmp_u_f32_e64 s4, v12, v12
	v_add3_u32 v23, v23, v12, 0x7fff
	v_cndmask_b32_e64 v12, v23, v24, s4
	v_lshrrev_b32_e32 v12, 16, v12
	buffer_store_dword v12, off, s[0:3], s32 offset:576 ; 4-byte Folded Spill
	v_mul_f32_e32 v12, v27, v29
	v_bfe_u32 v23, v12, 16, 1
	v_or_b32_e32 v24, 0x400000, v12
	v_cmp_u_f32_e64 s4, v12, v12
	v_add3_u32 v23, v23, v12, 0x7fff
	v_cndmask_b32_e64 v12, v23, v24, s4
	v_lshrrev_b32_e32 v12, 16, v12
	buffer_store_dword v12, off, s[0:3], s32 offset:580 ; 4-byte Folded Spill
	v_mul_f32_e32 v12, v27, v21
	;; [unrolled: 8-line block ×3, first 2 shown]
	v_bfe_u32 v16, v12, 16, 1
	v_or_b32_e32 v21, 0x400000, v12
	v_cmp_u_f32_e64 s4, v12, v12
	v_add3_u32 v16, v16, v12, 0x7fff
	v_cndmask_b32_e64 v12, v16, v21, s4
	v_or_b32_e32 v16, 0x400000, v11
	v_cmp_u_f32_e64 s4, v11, v11
	v_lshrrev_b32_e32 v12, 16, v12
	buffer_store_dword v12, off, s[0:3], s32 offset:588 ; 4-byte Folded Spill
	v_bfe_u32 v12, v11, 16, 1
	v_add3_u32 v12, v12, v11, 0x7fff
	v_cndmask_b32_e64 v11, v12, v16, s4
	v_or_b32_e32 v12, 0x400000, v10
	v_cmp_u_f32_e64 s4, v10, v10
	v_lshrrev_b32_e32 v11, 16, v11
	buffer_store_dword v11, off, s[0:3], s32 offset:596 ; 4-byte Folded Spill
	v_bfe_u32 v11, v10, 16, 1
	v_add3_u32 v11, v11, v10, 0x7fff
	v_cndmask_b32_e64 v10, v11, v12, s4
	v_lshrrev_b32_e32 v10, 16, v10
	buffer_store_dword v10, off, s[0:3], s32 offset:600 ; 4-byte Folded Spill
	v_mul_f32_e32 v10, v27, v28
	v_bfe_u32 v11, v10, 16, 1
	v_or_b32_e32 v12, 0x400000, v10
	v_cmp_u_f32_e64 s4, v10, v10
	v_add3_u32 v11, v11, v10, 0x7fff
	v_cndmask_b32_e64 v10, v11, v12, s4
	v_lshrrev_b32_e32 v10, 16, v10
	buffer_store_dword v10, off, s[0:3], s32 offset:592 ; 4-byte Folded Spill
	v_mul_f32_e32 v10, v27, v22
	v_bfe_u32 v11, v10, 16, 1
	v_or_b32_e32 v12, 0x400000, v10
	v_cmp_u_f32_e64 s4, v10, v10
	v_add3_u32 v11, v11, v10, 0x7fff
	v_cndmask_b32_e64 v10, v11, v12, s4
	v_lshrrev_b32_e32 v10, 16, v10
	buffer_store_dword v10, off, s[0:3], s32 offset:604 ; 4-byte Folded Spill
	s_and_saveexec_b32 s13, vcc_lo
	s_cbranch_execz .LBB399_2937
; %bb.2936:                             ;   in Loop: Header=BB399_2079 Depth=1
	buffer_load_dword v10, off, s[0:3], s32 offset:600 ; 4-byte Folded Reload
	v_cmp_lt_i32_e64 s4, v125, v124
	s_waitcnt vmcnt(0)
	v_cndmask_b32_e64 v10, 0, v10, s4
	v_cmp_lt_i32_e64 s4, v113, v124
	buffer_store_dword v10, off, s[0:3], s32 offset:600 ; 4-byte Folded Spill
	buffer_load_dword v10, off, s[0:3], s32 offset:596 ; 4-byte Folded Reload
	s_waitcnt vmcnt(0)
	v_cndmask_b32_e64 v10, 0, v10, s4
	v_cmp_lt_i32_e64 s4, v38, v124
	buffer_store_dword v10, off, s[0:3], s32 offset:596 ; 4-byte Folded Spill
	buffer_load_dword v10, off, s[0:3], s32 offset:588 ; 4-byte Folded Reload
	;; [unrolled: 5-line block ×7, first 2 shown]
	s_waitcnt vmcnt(0)
	v_cndmask_b32_e64 v10, 0, v10, s4
	buffer_store_dword v10, off, s[0:3], s32 offset:604 ; 4-byte Folded Spill
.LBB399_2937:                           ;   in Loop: Header=BB399_2079 Depth=1
	s_or_b32 exec_lo, exec_lo, s13
	flat_load_dwordx2 v[23:24], v[19:20] offset:1280
	v_mov_b32_e32 v11, 0
	v_mov_b32_e32 v10, 0
	s_waitcnt vmcnt(0) lgkmcnt(0)
	v_cmp_ne_u16_sdwa s4, v23, v13 src0_sel:BYTE_0 src1_sel:DWORD
	s_and_saveexec_b32 s13, s4
	s_cbranch_execz .LBB399_2945
; %bb.2938:                             ;   in Loop: Header=BB399_2079 Depth=1
	v_cmp_ne_u16_sdwa s4, v23, v114 src0_sel:BYTE_0 src1_sel:DWORD
	v_bfrev_b32_e32 v10, 1
	s_and_saveexec_b32 s15, s4
	s_cbranch_execz .LBB399_2944
; %bb.2939:                             ;   in Loop: Header=BB399_2079 Depth=1
	v_and_b32_e32 v12, 0x7f, v23
	v_mov_b32_e32 v10, 0x7f800001
	s_mov_b32 s18, exec_lo
	v_cmpx_ne_u32_e32 0x7f, v12
	s_cbranch_execz .LBB399_2943
; %bb.2940:                             ;   in Loop: Header=BB399_2079 Depth=1
	v_mov_b32_e32 v26, v24
	v_lshrrev_b32_e32 v10, 3, v12
	v_mov_b32_e32 v25, v23
	s_mov_b32 s20, exec_lo
	v_cmpx_gt_u32_e32 8, v12
; %bb.2941:                             ;   in Loop: Header=BB399_2079 Depth=1
	v_and_b32_e32 v10, 7, v23
	v_ffbh_u32_e32 v10, v10
	v_min_u32_e32 v10, 32, v10
	v_subrev_nc_u32_e32 v12, 28, v10
	v_sub_nc_u32_e32 v10, 29, v10
	v_lshlrev_b64 v[25:26], v12, v[23:24]
; %bb.2942:                             ;   in Loop: Header=BB399_2079 Depth=1
	s_or_b32 exec_lo, exec_lo, s20
	v_lshlrev_b32_e32 v12, 20, v25
	v_lshlrev_b32_e32 v16, 24, v23
	v_lshl_add_u32 v10, v10, 23, 0x3c000000
	v_and_b32_e32 v12, 0x700000, v12
	v_and_b32_e32 v16, 0x80000000, v16
	v_or3_b32 v10, v12, v16, v10
.LBB399_2943:                           ;   in Loop: Header=BB399_2079 Depth=1
	s_or_b32 exec_lo, exec_lo, s18
.LBB399_2944:                           ;   in Loop: Header=BB399_2079 Depth=1
	s_or_b32 exec_lo, exec_lo, s15
.LBB399_2945:                           ;   in Loop: Header=BB399_2079 Depth=1
	s_or_b32 exec_lo, exec_lo, s13
	v_cmp_ne_u16_sdwa s4, v23, v13 src0_sel:BYTE_1 src1_sel:DWORD
	s_and_saveexec_b32 s13, s4
	s_cbranch_execz .LBB399_2953
; %bb.2946:                             ;   in Loop: Header=BB399_2079 Depth=1
	v_cmp_ne_u16_sdwa s4, v23, v114 src0_sel:BYTE_1 src1_sel:DWORD
	v_bfrev_b32_e32 v11, 1
	s_and_saveexec_b32 s15, s4
	s_cbranch_execz .LBB399_2952
; %bb.2947:                             ;   in Loop: Header=BB399_2079 Depth=1
	v_and_b32_sdwa v12, v112, v23 dst_sel:DWORD dst_unused:UNUSED_PAD src0_sel:DWORD src1_sel:BYTE_1
	v_mov_b32_e32 v11, 0x7f800001
	s_mov_b32 s18, exec_lo
	v_and_b32_e32 v16, 0x7f, v12
	v_cmpx_ne_u32_e32 0x7f, v16
	s_cbranch_execz .LBB399_2951
; %bb.2948:                             ;   in Loop: Header=BB399_2079 Depth=1
	v_and_b32_e32 v12, 7, v12
	v_mov_b32_e32 v26, v13
	v_lshrrev_b32_e32 v11, 3, v16
	s_mov_b32 s20, exec_lo
	v_mov_b32_e32 v25, v12
	v_cmpx_gt_u32_e32 8, v16
; %bb.2949:                             ;   in Loop: Header=BB399_2079 Depth=1
	v_ffbh_u32_e32 v11, v12
	v_min_u32_e32 v11, 32, v11
	v_subrev_nc_u32_e32 v16, 28, v11
	v_sub_nc_u32_e32 v11, 29, v11
	v_lshlrev_b64 v[21:22], v16, v[12:13]
	v_and_b32_e32 v25, 7, v21
; %bb.2950:                             ;   in Loop: Header=BB399_2079 Depth=1
	s_or_b32 exec_lo, exec_lo, s20
	v_lshlrev_b32_e32 v12, 16, v23
	v_lshlrev_b32_e32 v16, 20, v25
	v_lshl_add_u32 v11, v11, 23, 0x3c000000
	v_and_b32_e32 v12, 0x80000000, v12
	v_or3_b32 v11, v16, v12, v11
.LBB399_2951:                           ;   in Loop: Header=BB399_2079 Depth=1
	s_or_b32 exec_lo, exec_lo, s18
.LBB399_2952:                           ;   in Loop: Header=BB399_2079 Depth=1
	s_or_b32 exec_lo, exec_lo, s15
.LBB399_2953:                           ;   in Loop: Header=BB399_2079 Depth=1
	s_or_b32 exec_lo, exec_lo, s13
	v_and_b32_sdwa v12, v23, v116 dst_sel:DWORD dst_unused:UNUSED_PAD src0_sel:WORD_1 src1_sel:DWORD
	v_mov_b32_e32 v21, 0
	v_mov_b32_e32 v16, 0
	s_mov_b32 s13, exec_lo
	v_cmpx_ne_u16_e32 0, v12
	s_cbranch_execz .LBB399_2961
; %bb.2954:                             ;   in Loop: Header=BB399_2079 Depth=1
	v_bfrev_b32_e32 v16, 1
	s_mov_b32 s15, exec_lo
	v_cmpx_ne_u16_e32 0x80, v12
	s_cbranch_execz .LBB399_2960
; %bb.2955:                             ;   in Loop: Header=BB399_2079 Depth=1
	v_bfe_u32 v22, v23, 16, 7
	v_mov_b32_e32 v16, 0x7f800001
	s_mov_b32 s18, exec_lo
	v_cmpx_ne_u32_e32 0x7f, v22
	s_cbranch_execz .LBB399_2959
; %bb.2956:                             ;   in Loop: Header=BB399_2079 Depth=1
	v_and_b32_sdwa v12, v23, v115 dst_sel:DWORD dst_unused:UNUSED_PAD src0_sel:WORD_1 src1_sel:DWORD
	v_mov_b32_e32 v26, v13
	v_lshrrev_b32_e32 v16, 3, v22
	s_mov_b32 s20, exec_lo
	v_mov_b32_e32 v25, v12
	v_cmpx_gt_u32_e32 8, v22
; %bb.2957:                             ;   in Loop: Header=BB399_2079 Depth=1
	v_ffbh_u32_e32 v16, v12
	v_min_u32_e32 v16, 32, v16
	v_subrev_nc_u32_e32 v22, 28, v16
	v_sub_nc_u32_e32 v16, 29, v16
	v_lshlrev_b64 v[25:26], v22, v[12:13]
	v_and_b32_e32 v25, 7, v25
; %bb.2958:                             ;   in Loop: Header=BB399_2079 Depth=1
	s_or_b32 exec_lo, exec_lo, s20
	v_lshlrev_b32_sdwa v12, v39, v23 dst_sel:DWORD dst_unused:UNUSED_PAD src0_sel:DWORD src1_sel:WORD_1
	v_lshlrev_b32_e32 v22, 20, v25
	v_lshl_add_u32 v16, v16, 23, 0x3c000000
	v_and_b32_e32 v12, 0x80000000, v12
	v_or3_b32 v16, v22, v12, v16
.LBB399_2959:                           ;   in Loop: Header=BB399_2079 Depth=1
	s_or_b32 exec_lo, exec_lo, s18
.LBB399_2960:                           ;   in Loop: Header=BB399_2079 Depth=1
	s_or_b32 exec_lo, exec_lo, s15
.LBB399_2961:                           ;   in Loop: Header=BB399_2079 Depth=1
	s_or_b32 exec_lo, exec_lo, s13
	s_mov_b32 s13, exec_lo
	v_cmpx_lt_u32_e32 0xffffff, v23
	s_cbranch_execz .LBB399_2969
; %bb.2962:                             ;   in Loop: Header=BB399_2079 Depth=1
	v_cmp_ne_u32_sdwa s4, v23, v114 src0_sel:BYTE_3 src1_sel:DWORD
	v_bfrev_b32_e32 v21, 1
	s_and_saveexec_b32 s15, s4
	s_cbranch_execz .LBB399_2968
; %bb.2963:                             ;   in Loop: Header=BB399_2079 Depth=1
	v_bfe_u32 v22, v23, 24, 7
	v_mov_b32_e32 v21, 0x7f800001
	s_mov_b32 s18, exec_lo
	v_cmpx_ne_u32_e32 0x7f, v22
	s_cbranch_execz .LBB399_2967
; %bb.2964:                             ;   in Loop: Header=BB399_2079 Depth=1
	v_and_b32_sdwa v12, v23, v115 dst_sel:DWORD dst_unused:UNUSED_PAD src0_sel:BYTE_3 src1_sel:DWORD
	v_mov_b32_e32 v26, v13
	v_lshrrev_b32_e32 v21, 3, v22
	s_mov_b32 s20, exec_lo
	v_mov_b32_e32 v25, v12
	v_cmpx_gt_u32_e32 8, v22
; %bb.2965:                             ;   in Loop: Header=BB399_2079 Depth=1
	v_ffbh_u32_e32 v21, v12
	v_min_u32_e32 v21, 32, v21
	v_subrev_nc_u32_e32 v22, 28, v21
	v_sub_nc_u32_e32 v21, 29, v21
	v_lshlrev_b64 v[25:26], v22, v[12:13]
	v_and_b32_e32 v25, 7, v25
; %bb.2966:                             ;   in Loop: Header=BB399_2079 Depth=1
	s_or_b32 exec_lo, exec_lo, s20
	v_lshlrev_b32_sdwa v12, v39, v23 dst_sel:DWORD dst_unused:UNUSED_PAD src0_sel:DWORD src1_sel:BYTE_3
	v_lshlrev_b32_e32 v22, 20, v25
	v_lshl_add_u32 v21, v21, 23, 0x3c000000
	v_and_b32_e32 v12, 0x80000000, v12
	v_or3_b32 v21, v22, v12, v21
.LBB399_2967:                           ;   in Loop: Header=BB399_2079 Depth=1
	s_or_b32 exec_lo, exec_lo, s18
.LBB399_2968:                           ;   in Loop: Header=BB399_2079 Depth=1
	s_or_b32 exec_lo, exec_lo, s15
.LBB399_2969:                           ;   in Loop: Header=BB399_2079 Depth=1
	s_or_b32 exec_lo, exec_lo, s13
	v_mov_b32_e32 v12, v24
	v_cmp_ne_u16_sdwa s4, v24, v13 src0_sel:BYTE_0 src1_sel:DWORD
	v_mov_b32_e32 v30, 0
	v_mov_b32_e32 v29, 0
	s_and_saveexec_b32 s13, s4
	s_cbranch_execz .LBB399_2977
; %bb.2970:                             ;   in Loop: Header=BB399_2079 Depth=1
	v_cmp_ne_u16_sdwa s4, v24, v114 src0_sel:BYTE_0 src1_sel:DWORD
	v_bfrev_b32_e32 v29, 1
	s_and_saveexec_b32 s15, s4
	s_cbranch_execz .LBB399_2976
; %bb.2971:                             ;   in Loop: Header=BB399_2079 Depth=1
	v_and_b32_e32 v25, 0x7f, v24
	v_mov_b32_e32 v29, 0x7f800001
	s_mov_b32 s18, exec_lo
	v_cmpx_ne_u32_e32 0x7f, v25
	s_cbranch_execz .LBB399_2975
; %bb.2972:                             ;   in Loop: Header=BB399_2079 Depth=1
	v_lshrrev_b32_e32 v22, 3, v25
	v_cmp_gt_u32_e64 s4, 8, v25
	v_mov_b32_e32 v26, v13
	v_mov_b32_e32 v25, v12
	s_and_saveexec_b32 s20, s4
; %bb.2973:                             ;   in Loop: Header=BB399_2079 Depth=1
	v_and_b32_e32 v22, 7, v24
	v_ffbh_u32_e32 v22, v22
	v_min_u32_e32 v22, 32, v22
	v_subrev_nc_u32_e32 v25, 28, v22
	v_sub_nc_u32_e32 v22, 29, v22
	v_lshlrev_b64 v[25:26], v25, v[12:13]
; %bb.2974:                             ;   in Loop: Header=BB399_2079 Depth=1
	s_or_b32 exec_lo, exec_lo, s20
	v_lshlrev_b32_e32 v25, 20, v25
	v_lshlrev_b32_e32 v26, 24, v12
	v_lshl_add_u32 v22, v22, 23, 0x3c000000
	v_and_b32_e32 v25, 0x700000, v25
	v_and_b32_e32 v26, 0x80000000, v26
	v_or3_b32 v29, v25, v26, v22
.LBB399_2975:                           ;   in Loop: Header=BB399_2079 Depth=1
	s_or_b32 exec_lo, exec_lo, s18
.LBB399_2976:                           ;   in Loop: Header=BB399_2079 Depth=1
	s_or_b32 exec_lo, exec_lo, s15
.LBB399_2977:                           ;   in Loop: Header=BB399_2079 Depth=1
	s_or_b32 exec_lo, exec_lo, s13
	v_cmp_ne_u16_sdwa s4, v12, v13 src0_sel:BYTE_1 src1_sel:DWORD
	s_and_saveexec_b32 s13, s4
	s_cbranch_execz .LBB399_2985
; %bb.2978:                             ;   in Loop: Header=BB399_2079 Depth=1
	v_cmp_ne_u16_sdwa s4, v12, v114 src0_sel:BYTE_1 src1_sel:DWORD
	v_bfrev_b32_e32 v30, 1
	s_and_saveexec_b32 s15, s4
	s_cbranch_execz .LBB399_2984
; %bb.2979:                             ;   in Loop: Header=BB399_2079 Depth=1
	v_and_b32_sdwa v22, v112, v12 dst_sel:DWORD dst_unused:UNUSED_PAD src0_sel:DWORD src1_sel:BYTE_1
	v_mov_b32_e32 v30, 0x7f800001
	s_mov_b32 s18, exec_lo
	v_and_b32_e32 v28, 0x7f, v22
	v_cmpx_ne_u32_e32 0x7f, v28
	s_cbranch_execz .LBB399_2983
; %bb.2980:                             ;   in Loop: Header=BB399_2079 Depth=1
	v_and_b32_e32 v25, 7, v22
	v_mov_b32_e32 v26, v13
	v_lshrrev_b32_e32 v22, 3, v28
	s_mov_b32 s20, exec_lo
	v_cmpx_gt_u32_e32 8, v28
; %bb.2981:                             ;   in Loop: Header=BB399_2079 Depth=1
	v_ffbh_u32_e32 v22, v25
	v_min_u32_e32 v22, 32, v22
	v_subrev_nc_u32_e32 v28, 28, v22
	v_sub_nc_u32_e32 v22, 29, v22
	v_lshlrev_b64 v[25:26], v28, v[25:26]
	v_and_b32_e32 v25, 7, v25
; %bb.2982:                             ;   in Loop: Header=BB399_2079 Depth=1
	s_or_b32 exec_lo, exec_lo, s20
	v_lshlrev_b32_e32 v12, 16, v12
	v_lshlrev_b32_e32 v25, 20, v25
	v_lshl_add_u32 v22, v22, 23, 0x3c000000
	v_and_b32_e32 v12, 0x80000000, v12
	v_or3_b32 v30, v25, v12, v22
.LBB399_2983:                           ;   in Loop: Header=BB399_2079 Depth=1
	s_or_b32 exec_lo, exec_lo, s18
.LBB399_2984:                           ;   in Loop: Header=BB399_2079 Depth=1
	s_or_b32 exec_lo, exec_lo, s15
.LBB399_2985:                           ;   in Loop: Header=BB399_2079 Depth=1
	s_or_b32 exec_lo, exec_lo, s13
	v_and_b32_sdwa v12, v24, v116 dst_sel:DWORD dst_unused:UNUSED_PAD src0_sel:WORD_1 src1_sel:DWORD
	v_mov_b32_e32 v22, 0
	v_mov_b32_e32 v28, 0
	s_mov_b32 s13, exec_lo
	v_cmpx_ne_u16_e32 0, v12
	s_cbranch_execz .LBB399_2993
; %bb.2986:                             ;   in Loop: Header=BB399_2079 Depth=1
	v_bfrev_b32_e32 v28, 1
	s_mov_b32 s15, exec_lo
	v_cmpx_ne_u16_e32 0x80, v12
	s_cbranch_execz .LBB399_2992
; %bb.2987:                             ;   in Loop: Header=BB399_2079 Depth=1
	v_bfe_u32 v25, v24, 16, 7
	v_mov_b32_e32 v28, 0x7f800001
	s_mov_b32 s18, exec_lo
	v_cmpx_ne_u32_e32 0x7f, v25
	s_cbranch_execz .LBB399_2991
; %bb.2988:                             ;   in Loop: Header=BB399_2079 Depth=1
	v_and_b32_sdwa v12, v24, v115 dst_sel:DWORD dst_unused:UNUSED_PAD src0_sel:WORD_1 src1_sel:DWORD
	v_lshrrev_b32_e32 v28, 3, v25
	v_cmp_gt_u32_e64 s4, 8, v25
	v_mov_b32_e32 v26, v13
	v_mov_b32_e32 v25, v12
	s_and_saveexec_b32 s20, s4
; %bb.2989:                             ;   in Loop: Header=BB399_2079 Depth=1
	v_ffbh_u32_e32 v25, v12
	v_min_u32_e32 v28, 32, v25
	v_subrev_nc_u32_e32 v25, 28, v28
	v_sub_nc_u32_e32 v28, 29, v28
	v_lshlrev_b64 v[25:26], v25, v[12:13]
	v_and_b32_e32 v25, 7, v25
; %bb.2990:                             ;   in Loop: Header=BB399_2079 Depth=1
	s_or_b32 exec_lo, exec_lo, s20
	v_lshlrev_b32_sdwa v12, v39, v24 dst_sel:DWORD dst_unused:UNUSED_PAD src0_sel:DWORD src1_sel:WORD_1
	v_lshlrev_b32_e32 v25, 20, v25
	v_lshl_add_u32 v26, v28, 23, 0x3c000000
	v_and_b32_e32 v12, 0x80000000, v12
	v_or3_b32 v28, v25, v12, v26
.LBB399_2991:                           ;   in Loop: Header=BB399_2079 Depth=1
	s_or_b32 exec_lo, exec_lo, s18
.LBB399_2992:                           ;   in Loop: Header=BB399_2079 Depth=1
	s_or_b32 exec_lo, exec_lo, s15
.LBB399_2993:                           ;   in Loop: Header=BB399_2079 Depth=1
	s_or_b32 exec_lo, exec_lo, s13
	s_mov_b32 s13, exec_lo
	v_cmpx_lt_u64_e64 s[8:9], v[23:24]
	s_cbranch_execz .LBB399_3001
; %bb.2994:                             ;   in Loop: Header=BB399_2079 Depth=1
	v_cmp_ne_u32_sdwa s4, v24, v114 src0_sel:BYTE_3 src1_sel:DWORD
	v_bfrev_b32_e32 v22, 1
	s_and_saveexec_b32 s15, s4
	s_cbranch_execz .LBB399_3000
; %bb.2995:                             ;   in Loop: Header=BB399_2079 Depth=1
	v_bfe_u32 v23, v24, 24, 7
	v_mov_b32_e32 v22, 0x7f800001
	s_mov_b32 s18, exec_lo
	v_cmpx_ne_u32_e32 0x7f, v23
	s_cbranch_execz .LBB399_2999
; %bb.2996:                             ;   in Loop: Header=BB399_2079 Depth=1
	v_and_b32_sdwa v12, v24, v115 dst_sel:DWORD dst_unused:UNUSED_PAD src0_sel:BYTE_3 src1_sel:DWORD
	v_mov_b32_e32 v26, v13
	v_lshrrev_b32_e32 v22, 3, v23
	s_mov_b32 s20, exec_lo
	v_mov_b32_e32 v25, v12
	v_cmpx_gt_u32_e32 8, v23
; %bb.2997:                             ;   in Loop: Header=BB399_2079 Depth=1
	v_ffbh_u32_e32 v22, v12
	v_min_u32_e32 v22, 32, v22
	v_subrev_nc_u32_e32 v23, 28, v22
	v_sub_nc_u32_e32 v22, 29, v22
	v_lshlrev_b64 v[25:26], v23, v[12:13]
	v_and_b32_e32 v25, 7, v25
; %bb.2998:                             ;   in Loop: Header=BB399_2079 Depth=1
	s_or_b32 exec_lo, exec_lo, s20
	v_lshlrev_b32_sdwa v12, v39, v24 dst_sel:DWORD dst_unused:UNUSED_PAD src0_sel:DWORD src1_sel:BYTE_3
	v_lshlrev_b32_e32 v23, 20, v25
	v_lshl_add_u32 v22, v22, 23, 0x3c000000
	v_and_b32_e32 v12, 0x80000000, v12
	v_or3_b32 v22, v23, v12, v22
.LBB399_2999:                           ;   in Loop: Header=BB399_2079 Depth=1
	s_or_b32 exec_lo, exec_lo, s18
.LBB399_3000:                           ;   in Loop: Header=BB399_2079 Depth=1
	s_or_b32 exec_lo, exec_lo, s15
.LBB399_3001:                           ;   in Loop: Header=BB399_2079 Depth=1
	s_or_b32 exec_lo, exec_lo, s13
	v_mul_f32_e32 v12, v27, v30
	v_mul_f32_e32 v11, v27, v11
	;; [unrolled: 1-line block ×3, first 2 shown]
	v_bfe_u32 v23, v12, 16, 1
	v_or_b32_e32 v24, 0x400000, v12
	v_cmp_u_f32_e64 s4, v12, v12
	v_add3_u32 v23, v23, v12, 0x7fff
	v_cndmask_b32_e64 v12, v23, v24, s4
	v_lshrrev_b32_e32 v12, 16, v12
	buffer_store_dword v12, off, s[0:3], s32 offset:608 ; 4-byte Folded Spill
	v_mul_f32_e32 v12, v27, v29
	v_bfe_u32 v23, v12, 16, 1
	v_or_b32_e32 v24, 0x400000, v12
	v_cmp_u_f32_e64 s4, v12, v12
	v_add3_u32 v23, v23, v12, 0x7fff
	v_cndmask_b32_e64 v12, v23, v24, s4
	v_lshrrev_b32_e32 v12, 16, v12
	buffer_store_dword v12, off, s[0:3], s32 offset:612 ; 4-byte Folded Spill
	v_mul_f32_e32 v12, v27, v21
	;; [unrolled: 8-line block ×3, first 2 shown]
	v_bfe_u32 v16, v12, 16, 1
	v_or_b32_e32 v21, 0x400000, v12
	v_cmp_u_f32_e64 s4, v12, v12
	v_add3_u32 v16, v16, v12, 0x7fff
	v_cndmask_b32_e64 v12, v16, v21, s4
	v_or_b32_e32 v16, 0x400000, v11
	v_cmp_u_f32_e64 s4, v11, v11
	v_lshrrev_b32_e32 v12, 16, v12
	buffer_store_dword v12, off, s[0:3], s32 offset:620 ; 4-byte Folded Spill
	v_bfe_u32 v12, v11, 16, 1
	v_add3_u32 v12, v12, v11, 0x7fff
	v_cndmask_b32_e64 v11, v12, v16, s4
	v_or_b32_e32 v12, 0x400000, v10
	v_cmp_u_f32_e64 s4, v10, v10
	v_lshrrev_b32_e32 v11, 16, v11
	buffer_store_dword v11, off, s[0:3], s32 offset:628 ; 4-byte Folded Spill
	v_bfe_u32 v11, v10, 16, 1
	v_add3_u32 v11, v11, v10, 0x7fff
	v_cndmask_b32_e64 v10, v11, v12, s4
	v_lshrrev_b32_e32 v10, 16, v10
	buffer_store_dword v10, off, s[0:3], s32 offset:632 ; 4-byte Folded Spill
	v_mul_f32_e32 v10, v27, v28
	v_bfe_u32 v11, v10, 16, 1
	v_or_b32_e32 v12, 0x400000, v10
	v_cmp_u_f32_e64 s4, v10, v10
	v_add3_u32 v11, v11, v10, 0x7fff
	v_cndmask_b32_e64 v10, v11, v12, s4
	v_lshrrev_b32_e32 v10, 16, v10
	buffer_store_dword v10, off, s[0:3], s32 offset:624 ; 4-byte Folded Spill
	v_mul_f32_e32 v10, v27, v22
	v_bfe_u32 v11, v10, 16, 1
	v_or_b32_e32 v12, 0x400000, v10
	v_cmp_u_f32_e64 s4, v10, v10
	v_add3_u32 v11, v11, v10, 0x7fff
	v_cndmask_b32_e64 v10, v11, v12, s4
	v_lshrrev_b32_e32 v10, 16, v10
	buffer_store_dword v10, off, s[0:3], s32 offset:636 ; 4-byte Folded Spill
	s_and_saveexec_b32 s13, vcc_lo
	s_cbranch_execz .LBB399_3003
; %bb.3002:                             ;   in Loop: Header=BB399_2079 Depth=1
	buffer_load_dword v10, off, s[0:3], s32 offset:632 ; 4-byte Folded Reload
	v_cmp_lt_i32_e64 s4, v125, v124
	s_waitcnt vmcnt(0)
	v_cndmask_b32_e64 v10, 0, v10, s4
	v_cmp_lt_i32_e64 s4, v113, v124
	buffer_store_dword v10, off, s[0:3], s32 offset:632 ; 4-byte Folded Spill
	buffer_load_dword v10, off, s[0:3], s32 offset:628 ; 4-byte Folded Reload
	s_waitcnt vmcnt(0)
	v_cndmask_b32_e64 v10, 0, v10, s4
	v_cmp_lt_i32_e64 s4, v38, v124
	buffer_store_dword v10, off, s[0:3], s32 offset:628 ; 4-byte Folded Spill
	buffer_load_dword v10, off, s[0:3], s32 offset:620 ; 4-byte Folded Reload
	;; [unrolled: 5-line block ×7, first 2 shown]
	s_waitcnt vmcnt(0)
	v_cndmask_b32_e64 v10, 0, v10, s4
	buffer_store_dword v10, off, s[0:3], s32 offset:636 ; 4-byte Folded Spill
.LBB399_3003:                           ;   in Loop: Header=BB399_2079 Depth=1
	s_or_b32 exec_lo, exec_lo, s13
	flat_load_dwordx2 v[23:24], v[19:20] offset:1536
	v_mov_b32_e32 v11, 0
	v_mov_b32_e32 v10, 0
	s_waitcnt vmcnt(0) lgkmcnt(0)
	v_cmp_ne_u16_sdwa s4, v23, v13 src0_sel:BYTE_0 src1_sel:DWORD
	s_and_saveexec_b32 s13, s4
	s_cbranch_execz .LBB399_3011
; %bb.3004:                             ;   in Loop: Header=BB399_2079 Depth=1
	v_cmp_ne_u16_sdwa s4, v23, v114 src0_sel:BYTE_0 src1_sel:DWORD
	v_bfrev_b32_e32 v10, 1
	s_and_saveexec_b32 s15, s4
	s_cbranch_execz .LBB399_3010
; %bb.3005:                             ;   in Loop: Header=BB399_2079 Depth=1
	v_and_b32_e32 v12, 0x7f, v23
	v_mov_b32_e32 v10, 0x7f800001
	s_mov_b32 s18, exec_lo
	v_cmpx_ne_u32_e32 0x7f, v12
	s_cbranch_execz .LBB399_3009
; %bb.3006:                             ;   in Loop: Header=BB399_2079 Depth=1
	v_mov_b32_e32 v26, v24
	v_lshrrev_b32_e32 v10, 3, v12
	v_mov_b32_e32 v25, v23
	s_mov_b32 s20, exec_lo
	v_cmpx_gt_u32_e32 8, v12
; %bb.3007:                             ;   in Loop: Header=BB399_2079 Depth=1
	v_and_b32_e32 v10, 7, v23
	v_ffbh_u32_e32 v10, v10
	v_min_u32_e32 v10, 32, v10
	v_subrev_nc_u32_e32 v12, 28, v10
	v_sub_nc_u32_e32 v10, 29, v10
	v_lshlrev_b64 v[25:26], v12, v[23:24]
; %bb.3008:                             ;   in Loop: Header=BB399_2079 Depth=1
	s_or_b32 exec_lo, exec_lo, s20
	v_lshlrev_b32_e32 v12, 20, v25
	v_lshlrev_b32_e32 v16, 24, v23
	v_lshl_add_u32 v10, v10, 23, 0x3c000000
	v_and_b32_e32 v12, 0x700000, v12
	v_and_b32_e32 v16, 0x80000000, v16
	v_or3_b32 v10, v12, v16, v10
.LBB399_3009:                           ;   in Loop: Header=BB399_2079 Depth=1
	s_or_b32 exec_lo, exec_lo, s18
.LBB399_3010:                           ;   in Loop: Header=BB399_2079 Depth=1
	s_or_b32 exec_lo, exec_lo, s15
.LBB399_3011:                           ;   in Loop: Header=BB399_2079 Depth=1
	s_or_b32 exec_lo, exec_lo, s13
	v_cmp_ne_u16_sdwa s4, v23, v13 src0_sel:BYTE_1 src1_sel:DWORD
	s_and_saveexec_b32 s13, s4
	s_cbranch_execz .LBB399_3019
; %bb.3012:                             ;   in Loop: Header=BB399_2079 Depth=1
	v_cmp_ne_u16_sdwa s4, v23, v114 src0_sel:BYTE_1 src1_sel:DWORD
	v_bfrev_b32_e32 v11, 1
	s_and_saveexec_b32 s15, s4
	s_cbranch_execz .LBB399_3018
; %bb.3013:                             ;   in Loop: Header=BB399_2079 Depth=1
	v_and_b32_sdwa v12, v112, v23 dst_sel:DWORD dst_unused:UNUSED_PAD src0_sel:DWORD src1_sel:BYTE_1
	v_mov_b32_e32 v11, 0x7f800001
	s_mov_b32 s18, exec_lo
	v_and_b32_e32 v16, 0x7f, v12
	v_cmpx_ne_u32_e32 0x7f, v16
	s_cbranch_execz .LBB399_3017
; %bb.3014:                             ;   in Loop: Header=BB399_2079 Depth=1
	v_and_b32_e32 v12, 7, v12
	v_mov_b32_e32 v26, v13
	v_lshrrev_b32_e32 v11, 3, v16
	s_mov_b32 s20, exec_lo
	v_mov_b32_e32 v25, v12
	v_cmpx_gt_u32_e32 8, v16
; %bb.3015:                             ;   in Loop: Header=BB399_2079 Depth=1
	v_ffbh_u32_e32 v11, v12
	v_min_u32_e32 v11, 32, v11
	v_subrev_nc_u32_e32 v16, 28, v11
	v_sub_nc_u32_e32 v11, 29, v11
	v_lshlrev_b64 v[21:22], v16, v[12:13]
	v_and_b32_e32 v25, 7, v21
; %bb.3016:                             ;   in Loop: Header=BB399_2079 Depth=1
	s_or_b32 exec_lo, exec_lo, s20
	v_lshlrev_b32_e32 v12, 16, v23
	v_lshlrev_b32_e32 v16, 20, v25
	v_lshl_add_u32 v11, v11, 23, 0x3c000000
	v_and_b32_e32 v12, 0x80000000, v12
	v_or3_b32 v11, v16, v12, v11
.LBB399_3017:                           ;   in Loop: Header=BB399_2079 Depth=1
	s_or_b32 exec_lo, exec_lo, s18
.LBB399_3018:                           ;   in Loop: Header=BB399_2079 Depth=1
	s_or_b32 exec_lo, exec_lo, s15
.LBB399_3019:                           ;   in Loop: Header=BB399_2079 Depth=1
	s_or_b32 exec_lo, exec_lo, s13
	v_and_b32_sdwa v12, v23, v116 dst_sel:DWORD dst_unused:UNUSED_PAD src0_sel:WORD_1 src1_sel:DWORD
	v_mov_b32_e32 v21, 0
	v_mov_b32_e32 v16, 0
	s_mov_b32 s13, exec_lo
	v_cmpx_ne_u16_e32 0, v12
	s_cbranch_execz .LBB399_3027
; %bb.3020:                             ;   in Loop: Header=BB399_2079 Depth=1
	v_bfrev_b32_e32 v16, 1
	s_mov_b32 s15, exec_lo
	v_cmpx_ne_u16_e32 0x80, v12
	s_cbranch_execz .LBB399_3026
; %bb.3021:                             ;   in Loop: Header=BB399_2079 Depth=1
	v_bfe_u32 v22, v23, 16, 7
	v_mov_b32_e32 v16, 0x7f800001
	s_mov_b32 s18, exec_lo
	v_cmpx_ne_u32_e32 0x7f, v22
	s_cbranch_execz .LBB399_3025
; %bb.3022:                             ;   in Loop: Header=BB399_2079 Depth=1
	v_and_b32_sdwa v12, v23, v115 dst_sel:DWORD dst_unused:UNUSED_PAD src0_sel:WORD_1 src1_sel:DWORD
	v_mov_b32_e32 v26, v13
	v_lshrrev_b32_e32 v16, 3, v22
	s_mov_b32 s20, exec_lo
	v_mov_b32_e32 v25, v12
	v_cmpx_gt_u32_e32 8, v22
; %bb.3023:                             ;   in Loop: Header=BB399_2079 Depth=1
	v_ffbh_u32_e32 v16, v12
	v_min_u32_e32 v16, 32, v16
	v_subrev_nc_u32_e32 v22, 28, v16
	v_sub_nc_u32_e32 v16, 29, v16
	v_lshlrev_b64 v[25:26], v22, v[12:13]
	v_and_b32_e32 v25, 7, v25
; %bb.3024:                             ;   in Loop: Header=BB399_2079 Depth=1
	s_or_b32 exec_lo, exec_lo, s20
	v_lshlrev_b32_sdwa v12, v39, v23 dst_sel:DWORD dst_unused:UNUSED_PAD src0_sel:DWORD src1_sel:WORD_1
	v_lshlrev_b32_e32 v22, 20, v25
	v_lshl_add_u32 v16, v16, 23, 0x3c000000
	v_and_b32_e32 v12, 0x80000000, v12
	v_or3_b32 v16, v22, v12, v16
.LBB399_3025:                           ;   in Loop: Header=BB399_2079 Depth=1
	s_or_b32 exec_lo, exec_lo, s18
.LBB399_3026:                           ;   in Loop: Header=BB399_2079 Depth=1
	s_or_b32 exec_lo, exec_lo, s15
.LBB399_3027:                           ;   in Loop: Header=BB399_2079 Depth=1
	s_or_b32 exec_lo, exec_lo, s13
	s_mov_b32 s13, exec_lo
	v_cmpx_lt_u32_e32 0xffffff, v23
	s_cbranch_execz .LBB399_3035
; %bb.3028:                             ;   in Loop: Header=BB399_2079 Depth=1
	v_cmp_ne_u32_sdwa s4, v23, v114 src0_sel:BYTE_3 src1_sel:DWORD
	v_bfrev_b32_e32 v21, 1
	s_and_saveexec_b32 s15, s4
	s_cbranch_execz .LBB399_3034
; %bb.3029:                             ;   in Loop: Header=BB399_2079 Depth=1
	v_bfe_u32 v22, v23, 24, 7
	v_mov_b32_e32 v21, 0x7f800001
	s_mov_b32 s18, exec_lo
	v_cmpx_ne_u32_e32 0x7f, v22
	s_cbranch_execz .LBB399_3033
; %bb.3030:                             ;   in Loop: Header=BB399_2079 Depth=1
	v_and_b32_sdwa v12, v23, v115 dst_sel:DWORD dst_unused:UNUSED_PAD src0_sel:BYTE_3 src1_sel:DWORD
	v_mov_b32_e32 v26, v13
	v_lshrrev_b32_e32 v21, 3, v22
	s_mov_b32 s20, exec_lo
	v_mov_b32_e32 v25, v12
	v_cmpx_gt_u32_e32 8, v22
; %bb.3031:                             ;   in Loop: Header=BB399_2079 Depth=1
	v_ffbh_u32_e32 v21, v12
	v_min_u32_e32 v21, 32, v21
	v_subrev_nc_u32_e32 v22, 28, v21
	v_sub_nc_u32_e32 v21, 29, v21
	v_lshlrev_b64 v[25:26], v22, v[12:13]
	v_and_b32_e32 v25, 7, v25
; %bb.3032:                             ;   in Loop: Header=BB399_2079 Depth=1
	s_or_b32 exec_lo, exec_lo, s20
	v_lshlrev_b32_sdwa v12, v39, v23 dst_sel:DWORD dst_unused:UNUSED_PAD src0_sel:DWORD src1_sel:BYTE_3
	v_lshlrev_b32_e32 v22, 20, v25
	v_lshl_add_u32 v21, v21, 23, 0x3c000000
	v_and_b32_e32 v12, 0x80000000, v12
	v_or3_b32 v21, v22, v12, v21
.LBB399_3033:                           ;   in Loop: Header=BB399_2079 Depth=1
	s_or_b32 exec_lo, exec_lo, s18
.LBB399_3034:                           ;   in Loop: Header=BB399_2079 Depth=1
	s_or_b32 exec_lo, exec_lo, s15
.LBB399_3035:                           ;   in Loop: Header=BB399_2079 Depth=1
	s_or_b32 exec_lo, exec_lo, s13
	v_mov_b32_e32 v12, v24
	v_cmp_ne_u16_sdwa s4, v24, v13 src0_sel:BYTE_0 src1_sel:DWORD
	v_mov_b32_e32 v30, 0
	v_mov_b32_e32 v29, 0
	s_and_saveexec_b32 s13, s4
	s_cbranch_execz .LBB399_3043
; %bb.3036:                             ;   in Loop: Header=BB399_2079 Depth=1
	v_cmp_ne_u16_sdwa s4, v24, v114 src0_sel:BYTE_0 src1_sel:DWORD
	v_bfrev_b32_e32 v29, 1
	s_and_saveexec_b32 s15, s4
	s_cbranch_execz .LBB399_3042
; %bb.3037:                             ;   in Loop: Header=BB399_2079 Depth=1
	v_and_b32_e32 v25, 0x7f, v24
	v_mov_b32_e32 v29, 0x7f800001
	s_mov_b32 s18, exec_lo
	v_cmpx_ne_u32_e32 0x7f, v25
	s_cbranch_execz .LBB399_3041
; %bb.3038:                             ;   in Loop: Header=BB399_2079 Depth=1
	v_lshrrev_b32_e32 v22, 3, v25
	v_cmp_gt_u32_e64 s4, 8, v25
	v_mov_b32_e32 v26, v13
	v_mov_b32_e32 v25, v12
	s_and_saveexec_b32 s20, s4
; %bb.3039:                             ;   in Loop: Header=BB399_2079 Depth=1
	v_and_b32_e32 v22, 7, v24
	v_ffbh_u32_e32 v22, v22
	v_min_u32_e32 v22, 32, v22
	v_subrev_nc_u32_e32 v25, 28, v22
	v_sub_nc_u32_e32 v22, 29, v22
	v_lshlrev_b64 v[25:26], v25, v[12:13]
; %bb.3040:                             ;   in Loop: Header=BB399_2079 Depth=1
	s_or_b32 exec_lo, exec_lo, s20
	v_lshlrev_b32_e32 v25, 20, v25
	v_lshlrev_b32_e32 v26, 24, v12
	v_lshl_add_u32 v22, v22, 23, 0x3c000000
	v_and_b32_e32 v25, 0x700000, v25
	v_and_b32_e32 v26, 0x80000000, v26
	v_or3_b32 v29, v25, v26, v22
.LBB399_3041:                           ;   in Loop: Header=BB399_2079 Depth=1
	s_or_b32 exec_lo, exec_lo, s18
.LBB399_3042:                           ;   in Loop: Header=BB399_2079 Depth=1
	s_or_b32 exec_lo, exec_lo, s15
.LBB399_3043:                           ;   in Loop: Header=BB399_2079 Depth=1
	s_or_b32 exec_lo, exec_lo, s13
	v_cmp_ne_u16_sdwa s4, v12, v13 src0_sel:BYTE_1 src1_sel:DWORD
	s_and_saveexec_b32 s13, s4
	s_cbranch_execz .LBB399_3051
; %bb.3044:                             ;   in Loop: Header=BB399_2079 Depth=1
	v_cmp_ne_u16_sdwa s4, v12, v114 src0_sel:BYTE_1 src1_sel:DWORD
	v_bfrev_b32_e32 v30, 1
	s_and_saveexec_b32 s15, s4
	s_cbranch_execz .LBB399_3050
; %bb.3045:                             ;   in Loop: Header=BB399_2079 Depth=1
	v_and_b32_sdwa v22, v112, v12 dst_sel:DWORD dst_unused:UNUSED_PAD src0_sel:DWORD src1_sel:BYTE_1
	v_mov_b32_e32 v30, 0x7f800001
	s_mov_b32 s18, exec_lo
	v_and_b32_e32 v28, 0x7f, v22
	v_cmpx_ne_u32_e32 0x7f, v28
	s_cbranch_execz .LBB399_3049
; %bb.3046:                             ;   in Loop: Header=BB399_2079 Depth=1
	v_and_b32_e32 v25, 7, v22
	v_mov_b32_e32 v26, v13
	v_lshrrev_b32_e32 v22, 3, v28
	s_mov_b32 s20, exec_lo
	v_cmpx_gt_u32_e32 8, v28
; %bb.3047:                             ;   in Loop: Header=BB399_2079 Depth=1
	v_ffbh_u32_e32 v22, v25
	v_min_u32_e32 v22, 32, v22
	v_subrev_nc_u32_e32 v28, 28, v22
	v_sub_nc_u32_e32 v22, 29, v22
	v_lshlrev_b64 v[25:26], v28, v[25:26]
	v_and_b32_e32 v25, 7, v25
; %bb.3048:                             ;   in Loop: Header=BB399_2079 Depth=1
	s_or_b32 exec_lo, exec_lo, s20
	v_lshlrev_b32_e32 v12, 16, v12
	v_lshlrev_b32_e32 v25, 20, v25
	v_lshl_add_u32 v22, v22, 23, 0x3c000000
	v_and_b32_e32 v12, 0x80000000, v12
	v_or3_b32 v30, v25, v12, v22
.LBB399_3049:                           ;   in Loop: Header=BB399_2079 Depth=1
	s_or_b32 exec_lo, exec_lo, s18
.LBB399_3050:                           ;   in Loop: Header=BB399_2079 Depth=1
	s_or_b32 exec_lo, exec_lo, s15
.LBB399_3051:                           ;   in Loop: Header=BB399_2079 Depth=1
	s_or_b32 exec_lo, exec_lo, s13
	v_and_b32_sdwa v12, v24, v116 dst_sel:DWORD dst_unused:UNUSED_PAD src0_sel:WORD_1 src1_sel:DWORD
	v_mov_b32_e32 v22, 0
	v_mov_b32_e32 v28, 0
	s_mov_b32 s13, exec_lo
	v_cmpx_ne_u16_e32 0, v12
	s_cbranch_execz .LBB399_3059
; %bb.3052:                             ;   in Loop: Header=BB399_2079 Depth=1
	v_bfrev_b32_e32 v28, 1
	s_mov_b32 s15, exec_lo
	v_cmpx_ne_u16_e32 0x80, v12
	s_cbranch_execz .LBB399_3058
; %bb.3053:                             ;   in Loop: Header=BB399_2079 Depth=1
	v_bfe_u32 v25, v24, 16, 7
	v_mov_b32_e32 v28, 0x7f800001
	s_mov_b32 s18, exec_lo
	v_cmpx_ne_u32_e32 0x7f, v25
	s_cbranch_execz .LBB399_3057
; %bb.3054:                             ;   in Loop: Header=BB399_2079 Depth=1
	v_and_b32_sdwa v12, v24, v115 dst_sel:DWORD dst_unused:UNUSED_PAD src0_sel:WORD_1 src1_sel:DWORD
	v_lshrrev_b32_e32 v28, 3, v25
	v_cmp_gt_u32_e64 s4, 8, v25
	v_mov_b32_e32 v26, v13
	v_mov_b32_e32 v25, v12
	s_and_saveexec_b32 s20, s4
; %bb.3055:                             ;   in Loop: Header=BB399_2079 Depth=1
	v_ffbh_u32_e32 v25, v12
	v_min_u32_e32 v28, 32, v25
	v_subrev_nc_u32_e32 v25, 28, v28
	v_sub_nc_u32_e32 v28, 29, v28
	v_lshlrev_b64 v[25:26], v25, v[12:13]
	v_and_b32_e32 v25, 7, v25
; %bb.3056:                             ;   in Loop: Header=BB399_2079 Depth=1
	s_or_b32 exec_lo, exec_lo, s20
	v_lshlrev_b32_sdwa v12, v39, v24 dst_sel:DWORD dst_unused:UNUSED_PAD src0_sel:DWORD src1_sel:WORD_1
	v_lshlrev_b32_e32 v25, 20, v25
	v_lshl_add_u32 v26, v28, 23, 0x3c000000
	v_and_b32_e32 v12, 0x80000000, v12
	v_or3_b32 v28, v25, v12, v26
.LBB399_3057:                           ;   in Loop: Header=BB399_2079 Depth=1
	s_or_b32 exec_lo, exec_lo, s18
.LBB399_3058:                           ;   in Loop: Header=BB399_2079 Depth=1
	s_or_b32 exec_lo, exec_lo, s15
.LBB399_3059:                           ;   in Loop: Header=BB399_2079 Depth=1
	s_or_b32 exec_lo, exec_lo, s13
	s_mov_b32 s13, exec_lo
	v_cmpx_lt_u64_e64 s[8:9], v[23:24]
	s_cbranch_execz .LBB399_3067
; %bb.3060:                             ;   in Loop: Header=BB399_2079 Depth=1
	v_cmp_ne_u32_sdwa s4, v24, v114 src0_sel:BYTE_3 src1_sel:DWORD
	v_bfrev_b32_e32 v22, 1
	s_and_saveexec_b32 s15, s4
	s_cbranch_execz .LBB399_3066
; %bb.3061:                             ;   in Loop: Header=BB399_2079 Depth=1
	v_bfe_u32 v23, v24, 24, 7
	v_mov_b32_e32 v22, 0x7f800001
	s_mov_b32 s18, exec_lo
	v_cmpx_ne_u32_e32 0x7f, v23
	s_cbranch_execz .LBB399_3065
; %bb.3062:                             ;   in Loop: Header=BB399_2079 Depth=1
	v_and_b32_sdwa v12, v24, v115 dst_sel:DWORD dst_unused:UNUSED_PAD src0_sel:BYTE_3 src1_sel:DWORD
	v_mov_b32_e32 v26, v13
	v_lshrrev_b32_e32 v22, 3, v23
	s_mov_b32 s20, exec_lo
	v_mov_b32_e32 v25, v12
	v_cmpx_gt_u32_e32 8, v23
; %bb.3063:                             ;   in Loop: Header=BB399_2079 Depth=1
	v_ffbh_u32_e32 v22, v12
	v_min_u32_e32 v22, 32, v22
	v_subrev_nc_u32_e32 v23, 28, v22
	v_sub_nc_u32_e32 v22, 29, v22
	v_lshlrev_b64 v[25:26], v23, v[12:13]
	v_and_b32_e32 v25, 7, v25
; %bb.3064:                             ;   in Loop: Header=BB399_2079 Depth=1
	s_or_b32 exec_lo, exec_lo, s20
	v_lshlrev_b32_sdwa v12, v39, v24 dst_sel:DWORD dst_unused:UNUSED_PAD src0_sel:DWORD src1_sel:BYTE_3
	v_lshlrev_b32_e32 v23, 20, v25
	v_lshl_add_u32 v22, v22, 23, 0x3c000000
	v_and_b32_e32 v12, 0x80000000, v12
	v_or3_b32 v22, v23, v12, v22
.LBB399_3065:                           ;   in Loop: Header=BB399_2079 Depth=1
	s_or_b32 exec_lo, exec_lo, s18
.LBB399_3066:                           ;   in Loop: Header=BB399_2079 Depth=1
	s_or_b32 exec_lo, exec_lo, s15
.LBB399_3067:                           ;   in Loop: Header=BB399_2079 Depth=1
	s_or_b32 exec_lo, exec_lo, s13
	v_mul_f32_e32 v12, v27, v30
	v_mul_f32_e32 v11, v27, v11
	;; [unrolled: 1-line block ×3, first 2 shown]
	v_bfe_u32 v23, v12, 16, 1
	v_or_b32_e32 v24, 0x400000, v12
	v_cmp_u_f32_e64 s4, v12, v12
	v_add3_u32 v23, v23, v12, 0x7fff
	v_cndmask_b32_e64 v12, v23, v24, s4
	v_lshrrev_b32_e32 v12, 16, v12
	buffer_store_dword v12, off, s[0:3], s32 offset:640 ; 4-byte Folded Spill
	v_mul_f32_e32 v12, v27, v29
	v_bfe_u32 v23, v12, 16, 1
	v_or_b32_e32 v24, 0x400000, v12
	v_cmp_u_f32_e64 s4, v12, v12
	v_add3_u32 v23, v23, v12, 0x7fff
	v_cndmask_b32_e64 v12, v23, v24, s4
	v_lshrrev_b32_e32 v12, 16, v12
	buffer_store_dword v12, off, s[0:3], s32 offset:644 ; 4-byte Folded Spill
	v_mul_f32_e32 v12, v27, v21
	;; [unrolled: 8-line block ×3, first 2 shown]
	v_bfe_u32 v16, v12, 16, 1
	v_or_b32_e32 v21, 0x400000, v12
	v_cmp_u_f32_e64 s4, v12, v12
	v_add3_u32 v16, v16, v12, 0x7fff
	v_cndmask_b32_e64 v12, v16, v21, s4
	v_or_b32_e32 v16, 0x400000, v11
	v_cmp_u_f32_e64 s4, v11, v11
	v_lshrrev_b32_e32 v12, 16, v12
	buffer_store_dword v12, off, s[0:3], s32 offset:652 ; 4-byte Folded Spill
	v_bfe_u32 v12, v11, 16, 1
	v_add3_u32 v12, v12, v11, 0x7fff
	v_cndmask_b32_e64 v11, v12, v16, s4
	v_or_b32_e32 v12, 0x400000, v10
	v_cmp_u_f32_e64 s4, v10, v10
	v_lshrrev_b32_e32 v11, 16, v11
	buffer_store_dword v11, off, s[0:3], s32 offset:660 ; 4-byte Folded Spill
	v_bfe_u32 v11, v10, 16, 1
	v_add3_u32 v11, v11, v10, 0x7fff
	v_cndmask_b32_e64 v10, v11, v12, s4
	v_lshrrev_b32_e32 v10, 16, v10
	buffer_store_dword v10, off, s[0:3], s32 offset:664 ; 4-byte Folded Spill
	v_mul_f32_e32 v10, v27, v28
	v_bfe_u32 v11, v10, 16, 1
	v_or_b32_e32 v12, 0x400000, v10
	v_cmp_u_f32_e64 s4, v10, v10
	v_add3_u32 v11, v11, v10, 0x7fff
	v_cndmask_b32_e64 v10, v11, v12, s4
	v_lshrrev_b32_e32 v10, 16, v10
	buffer_store_dword v10, off, s[0:3], s32 offset:656 ; 4-byte Folded Spill
	v_mul_f32_e32 v10, v27, v22
	v_bfe_u32 v11, v10, 16, 1
	v_or_b32_e32 v12, 0x400000, v10
	v_cmp_u_f32_e64 s4, v10, v10
	v_add3_u32 v11, v11, v10, 0x7fff
	v_cndmask_b32_e64 v10, v11, v12, s4
	v_lshrrev_b32_e32 v10, 16, v10
	buffer_store_dword v10, off, s[0:3], s32 offset:668 ; 4-byte Folded Spill
	s_and_saveexec_b32 s13, vcc_lo
	s_cbranch_execz .LBB399_3069
; %bb.3068:                             ;   in Loop: Header=BB399_2079 Depth=1
	buffer_load_dword v10, off, s[0:3], s32 offset:664 ; 4-byte Folded Reload
	v_cmp_lt_i32_e64 s4, v125, v124
	s_waitcnt vmcnt(0)
	v_cndmask_b32_e64 v10, 0, v10, s4
	v_cmp_lt_i32_e64 s4, v113, v124
	buffer_store_dword v10, off, s[0:3], s32 offset:664 ; 4-byte Folded Spill
	buffer_load_dword v10, off, s[0:3], s32 offset:660 ; 4-byte Folded Reload
	s_waitcnt vmcnt(0)
	v_cndmask_b32_e64 v10, 0, v10, s4
	v_cmp_lt_i32_e64 s4, v38, v124
	buffer_store_dword v10, off, s[0:3], s32 offset:660 ; 4-byte Folded Spill
	buffer_load_dword v10, off, s[0:3], s32 offset:652 ; 4-byte Folded Reload
	;; [unrolled: 5-line block ×7, first 2 shown]
	s_waitcnt vmcnt(0)
	v_cndmask_b32_e64 v10, 0, v10, s4
	buffer_store_dword v10, off, s[0:3], s32 offset:668 ; 4-byte Folded Spill
.LBB399_3069:                           ;   in Loop: Header=BB399_2079 Depth=1
	s_or_b32 exec_lo, exec_lo, s13
	flat_load_dwordx2 v[19:20], v[19:20] offset:1792
	v_mov_b32_e32 v11, 0
	v_mov_b32_e32 v10, 0
	s_waitcnt vmcnt(0) lgkmcnt(0)
	v_cmp_ne_u16_sdwa s4, v19, v13 src0_sel:BYTE_0 src1_sel:DWORD
	s_and_saveexec_b32 s13, s4
	s_cbranch_execz .LBB399_3077
; %bb.3070:                             ;   in Loop: Header=BB399_2079 Depth=1
	v_cmp_ne_u16_sdwa s4, v19, v114 src0_sel:BYTE_0 src1_sel:DWORD
	v_bfrev_b32_e32 v10, 1
	s_and_saveexec_b32 s15, s4
	s_cbranch_execz .LBB399_3076
; %bb.3071:                             ;   in Loop: Header=BB399_2079 Depth=1
	v_and_b32_e32 v12, 0x7f, v19
	v_mov_b32_e32 v10, 0x7f800001
	s_mov_b32 s18, exec_lo
	v_cmpx_ne_u32_e32 0x7f, v12
	s_cbranch_execz .LBB399_3075
; %bb.3072:                             ;   in Loop: Header=BB399_2079 Depth=1
	v_mov_b32_e32 v24, v20
	v_lshrrev_b32_e32 v10, 3, v12
	v_mov_b32_e32 v23, v19
	s_mov_b32 s20, exec_lo
	v_cmpx_gt_u32_e32 8, v12
; %bb.3073:                             ;   in Loop: Header=BB399_2079 Depth=1
	v_and_b32_e32 v10, 7, v19
	v_ffbh_u32_e32 v10, v10
	v_min_u32_e32 v10, 32, v10
	v_subrev_nc_u32_e32 v12, 28, v10
	v_sub_nc_u32_e32 v10, 29, v10
	v_lshlrev_b64 v[23:24], v12, v[19:20]
; %bb.3074:                             ;   in Loop: Header=BB399_2079 Depth=1
	s_or_b32 exec_lo, exec_lo, s20
	v_lshlrev_b32_e32 v12, 20, v23
	v_lshlrev_b32_e32 v16, 24, v19
	v_lshl_add_u32 v10, v10, 23, 0x3c000000
	v_and_b32_e32 v12, 0x700000, v12
	v_and_b32_e32 v16, 0x80000000, v16
	v_or3_b32 v10, v12, v16, v10
.LBB399_3075:                           ;   in Loop: Header=BB399_2079 Depth=1
	s_or_b32 exec_lo, exec_lo, s18
.LBB399_3076:                           ;   in Loop: Header=BB399_2079 Depth=1
	s_or_b32 exec_lo, exec_lo, s15
.LBB399_3077:                           ;   in Loop: Header=BB399_2079 Depth=1
	s_or_b32 exec_lo, exec_lo, s13
	v_cmp_ne_u16_sdwa s4, v19, v13 src0_sel:BYTE_1 src1_sel:DWORD
	s_and_saveexec_b32 s13, s4
	s_cbranch_execz .LBB399_3085
; %bb.3078:                             ;   in Loop: Header=BB399_2079 Depth=1
	v_cmp_ne_u16_sdwa s4, v19, v114 src0_sel:BYTE_1 src1_sel:DWORD
	v_bfrev_b32_e32 v11, 1
	s_and_saveexec_b32 s15, s4
	s_cbranch_execz .LBB399_3084
; %bb.3079:                             ;   in Loop: Header=BB399_2079 Depth=1
	v_and_b32_sdwa v12, v112, v19 dst_sel:DWORD dst_unused:UNUSED_PAD src0_sel:DWORD src1_sel:BYTE_1
	v_mov_b32_e32 v11, 0x7f800001
	s_mov_b32 s18, exec_lo
	v_and_b32_e32 v16, 0x7f, v12
	v_cmpx_ne_u32_e32 0x7f, v16
	s_cbranch_execz .LBB399_3083
; %bb.3080:                             ;   in Loop: Header=BB399_2079 Depth=1
	v_and_b32_e32 v12, 7, v12
	v_mov_b32_e32 v24, v13
	v_lshrrev_b32_e32 v11, 3, v16
	s_mov_b32 s20, exec_lo
	v_mov_b32_e32 v23, v12
	v_cmpx_gt_u32_e32 8, v16
; %bb.3081:                             ;   in Loop: Header=BB399_2079 Depth=1
	v_ffbh_u32_e32 v11, v12
	v_min_u32_e32 v11, 32, v11
	v_subrev_nc_u32_e32 v16, 28, v11
	v_sub_nc_u32_e32 v11, 29, v11
	v_lshlrev_b64 v[21:22], v16, v[12:13]
	v_and_b32_e32 v23, 7, v21
; %bb.3082:                             ;   in Loop: Header=BB399_2079 Depth=1
	s_or_b32 exec_lo, exec_lo, s20
	v_lshlrev_b32_e32 v12, 16, v19
	v_lshlrev_b32_e32 v16, 20, v23
	v_lshl_add_u32 v11, v11, 23, 0x3c000000
	v_and_b32_e32 v12, 0x80000000, v12
	v_or3_b32 v11, v16, v12, v11
.LBB399_3083:                           ;   in Loop: Header=BB399_2079 Depth=1
	s_or_b32 exec_lo, exec_lo, s18
.LBB399_3084:                           ;   in Loop: Header=BB399_2079 Depth=1
	s_or_b32 exec_lo, exec_lo, s15
.LBB399_3085:                           ;   in Loop: Header=BB399_2079 Depth=1
	s_or_b32 exec_lo, exec_lo, s13
	v_and_b32_sdwa v12, v19, v116 dst_sel:DWORD dst_unused:UNUSED_PAD src0_sel:WORD_1 src1_sel:DWORD
	v_mov_b32_e32 v21, 0
	v_mov_b32_e32 v16, 0
	s_mov_b32 s13, exec_lo
	v_cmpx_ne_u16_e32 0, v12
	s_cbranch_execz .LBB399_3093
; %bb.3086:                             ;   in Loop: Header=BB399_2079 Depth=1
	v_bfrev_b32_e32 v16, 1
	s_mov_b32 s15, exec_lo
	v_cmpx_ne_u16_e32 0x80, v12
	s_cbranch_execz .LBB399_3092
; %bb.3087:                             ;   in Loop: Header=BB399_2079 Depth=1
	v_bfe_u32 v22, v19, 16, 7
	v_mov_b32_e32 v16, 0x7f800001
	s_mov_b32 s18, exec_lo
	v_cmpx_ne_u32_e32 0x7f, v22
	s_cbranch_execz .LBB399_3091
; %bb.3088:                             ;   in Loop: Header=BB399_2079 Depth=1
	v_and_b32_sdwa v12, v19, v115 dst_sel:DWORD dst_unused:UNUSED_PAD src0_sel:WORD_1 src1_sel:DWORD
	v_mov_b32_e32 v24, v13
	v_lshrrev_b32_e32 v16, 3, v22
	s_mov_b32 s20, exec_lo
	v_mov_b32_e32 v23, v12
	v_cmpx_gt_u32_e32 8, v22
; %bb.3089:                             ;   in Loop: Header=BB399_2079 Depth=1
	v_ffbh_u32_e32 v16, v12
	v_min_u32_e32 v16, 32, v16
	v_subrev_nc_u32_e32 v22, 28, v16
	v_sub_nc_u32_e32 v16, 29, v16
	v_lshlrev_b64 v[22:23], v22, v[12:13]
	v_and_b32_e32 v23, 7, v22
; %bb.3090:                             ;   in Loop: Header=BB399_2079 Depth=1
	s_or_b32 exec_lo, exec_lo, s20
	v_lshlrev_b32_sdwa v12, v39, v19 dst_sel:DWORD dst_unused:UNUSED_PAD src0_sel:DWORD src1_sel:WORD_1
	v_lshlrev_b32_e32 v22, 20, v23
	v_lshl_add_u32 v16, v16, 23, 0x3c000000
	v_and_b32_e32 v12, 0x80000000, v12
	v_or3_b32 v16, v22, v12, v16
.LBB399_3091:                           ;   in Loop: Header=BB399_2079 Depth=1
	s_or_b32 exec_lo, exec_lo, s18
.LBB399_3092:                           ;   in Loop: Header=BB399_2079 Depth=1
	s_or_b32 exec_lo, exec_lo, s15
.LBB399_3093:                           ;   in Loop: Header=BB399_2079 Depth=1
	s_or_b32 exec_lo, exec_lo, s13
	s_mov_b32 s13, exec_lo
	v_cmpx_lt_u32_e32 0xffffff, v19
	s_cbranch_execz .LBB399_3101
; %bb.3094:                             ;   in Loop: Header=BB399_2079 Depth=1
	v_cmp_ne_u32_sdwa s4, v19, v114 src0_sel:BYTE_3 src1_sel:DWORD
	v_bfrev_b32_e32 v21, 1
	s_and_saveexec_b32 s15, s4
	s_cbranch_execz .LBB399_3100
; %bb.3095:                             ;   in Loop: Header=BB399_2079 Depth=1
	v_bfe_u32 v22, v19, 24, 7
	v_mov_b32_e32 v21, 0x7f800001
	s_mov_b32 s18, exec_lo
	v_cmpx_ne_u32_e32 0x7f, v22
	s_cbranch_execz .LBB399_3099
; %bb.3096:                             ;   in Loop: Header=BB399_2079 Depth=1
	v_and_b32_sdwa v12, v19, v115 dst_sel:DWORD dst_unused:UNUSED_PAD src0_sel:BYTE_3 src1_sel:DWORD
	v_mov_b32_e32 v24, v13
	v_lshrrev_b32_e32 v21, 3, v22
	s_mov_b32 s20, exec_lo
	v_mov_b32_e32 v23, v12
	v_cmpx_gt_u32_e32 8, v22
; %bb.3097:                             ;   in Loop: Header=BB399_2079 Depth=1
	v_ffbh_u32_e32 v21, v12
	v_min_u32_e32 v21, 32, v21
	v_subrev_nc_u32_e32 v22, 28, v21
	v_sub_nc_u32_e32 v21, 29, v21
	v_lshlrev_b64 v[22:23], v22, v[12:13]
	v_and_b32_e32 v23, 7, v22
; %bb.3098:                             ;   in Loop: Header=BB399_2079 Depth=1
	s_or_b32 exec_lo, exec_lo, s20
	v_lshlrev_b32_sdwa v12, v39, v19 dst_sel:DWORD dst_unused:UNUSED_PAD src0_sel:DWORD src1_sel:BYTE_3
	v_lshlrev_b32_e32 v22, 20, v23
	v_lshl_add_u32 v21, v21, 23, 0x3c000000
	v_and_b32_e32 v12, 0x80000000, v12
	v_or3_b32 v21, v22, v12, v21
.LBB399_3099:                           ;   in Loop: Header=BB399_2079 Depth=1
	s_or_b32 exec_lo, exec_lo, s18
.LBB399_3100:                           ;   in Loop: Header=BB399_2079 Depth=1
	s_or_b32 exec_lo, exec_lo, s15
.LBB399_3101:                           ;   in Loop: Header=BB399_2079 Depth=1
	s_or_b32 exec_lo, exec_lo, s13
	v_mov_b32_e32 v12, v20
	v_cmp_ne_u16_sdwa s4, v20, v13 src0_sel:BYTE_0 src1_sel:DWORD
	v_mov_b32_e32 v28, 0
	v_mov_b32_e32 v26, 0
	s_and_saveexec_b32 s13, s4
	s_cbranch_execz .LBB399_3109
; %bb.3102:                             ;   in Loop: Header=BB399_2079 Depth=1
	v_cmp_ne_u16_sdwa s4, v20, v114 src0_sel:BYTE_0 src1_sel:DWORD
	v_bfrev_b32_e32 v26, 1
	s_and_saveexec_b32 s15, s4
	s_cbranch_execz .LBB399_3108
; %bb.3103:                             ;   in Loop: Header=BB399_2079 Depth=1
	v_and_b32_e32 v25, 0x7f, v20
	v_mov_b32_e32 v26, 0x7f800001
	s_mov_b32 s18, exec_lo
	v_cmpx_ne_u32_e32 0x7f, v25
	s_cbranch_execz .LBB399_3107
; %bb.3104:                             ;   in Loop: Header=BB399_2079 Depth=1
	v_mov_b32_e32 v24, v13
	v_mov_b32_e32 v23, v12
	v_lshrrev_b32_e32 v22, 3, v25
	s_mov_b32 s20, exec_lo
	v_cmpx_gt_u32_e32 8, v25
; %bb.3105:                             ;   in Loop: Header=BB399_2079 Depth=1
	v_and_b32_e32 v22, 7, v20
	v_ffbh_u32_e32 v22, v22
	v_min_u32_e32 v22, 32, v22
	v_subrev_nc_u32_e32 v23, 28, v22
	v_sub_nc_u32_e32 v22, 29, v22
	v_lshlrev_b64 v[23:24], v23, v[12:13]
; %bb.3106:                             ;   in Loop: Header=BB399_2079 Depth=1
	s_or_b32 exec_lo, exec_lo, s20
	v_lshlrev_b32_e32 v23, 20, v23
	v_lshlrev_b32_e32 v24, 24, v12
	v_lshl_add_u32 v22, v22, 23, 0x3c000000
	v_and_b32_e32 v23, 0x700000, v23
	v_and_b32_e32 v24, 0x80000000, v24
	v_or3_b32 v26, v23, v24, v22
.LBB399_3107:                           ;   in Loop: Header=BB399_2079 Depth=1
	s_or_b32 exec_lo, exec_lo, s18
.LBB399_3108:                           ;   in Loop: Header=BB399_2079 Depth=1
	s_or_b32 exec_lo, exec_lo, s15
.LBB399_3109:                           ;   in Loop: Header=BB399_2079 Depth=1
	s_or_b32 exec_lo, exec_lo, s13
	v_cmp_ne_u16_sdwa s4, v12, v13 src0_sel:BYTE_1 src1_sel:DWORD
	s_and_saveexec_b32 s13, s4
	s_cbranch_execz .LBB399_3117
; %bb.3110:                             ;   in Loop: Header=BB399_2079 Depth=1
	v_cmp_ne_u16_sdwa s4, v12, v114 src0_sel:BYTE_1 src1_sel:DWORD
	v_bfrev_b32_e32 v28, 1
	s_and_saveexec_b32 s15, s4
	s_cbranch_execz .LBB399_3116
; %bb.3111:                             ;   in Loop: Header=BB399_2079 Depth=1
	v_and_b32_sdwa v22, v112, v12 dst_sel:DWORD dst_unused:UNUSED_PAD src0_sel:DWORD src1_sel:BYTE_1
	v_mov_b32_e32 v28, 0x7f800001
	s_mov_b32 s18, exec_lo
	v_and_b32_e32 v25, 0x7f, v22
	v_cmpx_ne_u32_e32 0x7f, v25
	s_cbranch_execz .LBB399_3115
; %bb.3112:                             ;   in Loop: Header=BB399_2079 Depth=1
	v_and_b32_e32 v23, 7, v22
	v_mov_b32_e32 v24, v13
	v_lshrrev_b32_e32 v22, 3, v25
	s_mov_b32 s20, exec_lo
	v_cmpx_gt_u32_e32 8, v25
; %bb.3113:                             ;   in Loop: Header=BB399_2079 Depth=1
	v_ffbh_u32_e32 v22, v23
	v_min_u32_e32 v22, 32, v22
	v_subrev_nc_u32_e32 v25, 28, v22
	v_sub_nc_u32_e32 v22, 29, v22
	v_lshlrev_b64 v[23:24], v25, v[23:24]
	v_and_b32_e32 v23, 7, v23
; %bb.3114:                             ;   in Loop: Header=BB399_2079 Depth=1
	s_or_b32 exec_lo, exec_lo, s20
	v_lshlrev_b32_e32 v12, 16, v12
	v_lshlrev_b32_e32 v23, 20, v23
	v_lshl_add_u32 v22, v22, 23, 0x3c000000
	v_and_b32_e32 v12, 0x80000000, v12
	v_or3_b32 v28, v23, v12, v22
.LBB399_3115:                           ;   in Loop: Header=BB399_2079 Depth=1
	s_or_b32 exec_lo, exec_lo, s18
.LBB399_3116:                           ;   in Loop: Header=BB399_2079 Depth=1
	s_or_b32 exec_lo, exec_lo, s15
.LBB399_3117:                           ;   in Loop: Header=BB399_2079 Depth=1
	s_or_b32 exec_lo, exec_lo, s13
	v_and_b32_sdwa v12, v20, v116 dst_sel:DWORD dst_unused:UNUSED_PAD src0_sel:WORD_1 src1_sel:DWORD
	v_mov_b32_e32 v22, 0
	v_mov_b32_e32 v25, 0
	s_mov_b32 s13, exec_lo
	v_cmpx_ne_u16_e32 0, v12
	s_cbranch_execz .LBB399_3125
; %bb.3118:                             ;   in Loop: Header=BB399_2079 Depth=1
	v_bfrev_b32_e32 v25, 1
	s_mov_b32 s15, exec_lo
	v_cmpx_ne_u16_e32 0x80, v12
	s_cbranch_execz .LBB399_3124
; %bb.3119:                             ;   in Loop: Header=BB399_2079 Depth=1
	v_bfe_u32 v29, v20, 16, 7
	v_mov_b32_e32 v25, 0x7f800001
	s_mov_b32 s18, exec_lo
	v_cmpx_ne_u32_e32 0x7f, v29
	s_cbranch_execz .LBB399_3123
; %bb.3120:                             ;   in Loop: Header=BB399_2079 Depth=1
	v_and_b32_sdwa v12, v20, v115 dst_sel:DWORD dst_unused:UNUSED_PAD src0_sel:WORD_1 src1_sel:DWORD
	v_mov_b32_e32 v24, v13
	v_lshrrev_b32_e32 v24, 3, v29
	s_mov_b32 s20, exec_lo
	v_mov_b32_e32 v23, v12
	v_cmpx_gt_u32_e32 8, v29
; %bb.3121:                             ;   in Loop: Header=BB399_2079 Depth=1
	v_ffbh_u32_e32 v23, v12
	v_min_u32_e32 v25, 32, v23
	v_subrev_nc_u32_e32 v23, 28, v25
	v_lshlrev_b64 v[23:24], v23, v[12:13]
	v_sub_nc_u32_e32 v24, 29, v25
	v_and_b32_e32 v23, 7, v23
; %bb.3122:                             ;   in Loop: Header=BB399_2079 Depth=1
	s_or_b32 exec_lo, exec_lo, s20
	v_lshlrev_b32_sdwa v12, v39, v20 dst_sel:DWORD dst_unused:UNUSED_PAD src0_sel:DWORD src1_sel:WORD_1
	v_lshlrev_b32_e32 v23, 20, v23
	v_lshl_add_u32 v24, v24, 23, 0x3c000000
	v_and_b32_e32 v12, 0x80000000, v12
	v_or3_b32 v25, v23, v12, v24
.LBB399_3123:                           ;   in Loop: Header=BB399_2079 Depth=1
	s_or_b32 exec_lo, exec_lo, s18
.LBB399_3124:                           ;   in Loop: Header=BB399_2079 Depth=1
	s_or_b32 exec_lo, exec_lo, s15
.LBB399_3125:                           ;   in Loop: Header=BB399_2079 Depth=1
	s_or_b32 exec_lo, exec_lo, s13
	s_mov_b32 s13, exec_lo
	v_cmpx_lt_u64_e64 s[8:9], v[19:20]
	s_cbranch_execz .LBB399_3133
; %bb.3126:                             ;   in Loop: Header=BB399_2079 Depth=1
	v_cmp_ne_u32_sdwa s4, v20, v114 src0_sel:BYTE_3 src1_sel:DWORD
	v_bfrev_b32_e32 v22, 1
	s_and_saveexec_b32 s15, s4
	s_cbranch_execz .LBB399_3132
; %bb.3127:                             ;   in Loop: Header=BB399_2079 Depth=1
	v_bfe_u32 v29, v20, 24, 7
	v_mov_b32_e32 v22, 0x7f800001
	s_mov_b32 s18, exec_lo
	v_cmpx_ne_u32_e32 0x7f, v29
	s_cbranch_execz .LBB399_3131
; %bb.3128:                             ;   in Loop: Header=BB399_2079 Depth=1
	v_and_b32_sdwa v12, v20, v115 dst_sel:DWORD dst_unused:UNUSED_PAD src0_sel:BYTE_3 src1_sel:DWORD
	v_mov_b32_e32 v24, v13
	v_lshrrev_b32_e32 v19, 3, v29
	s_mov_b32 s20, exec_lo
	v_mov_b32_e32 v23, v12
	v_cmpx_gt_u32_e32 8, v29
; %bb.3129:                             ;   in Loop: Header=BB399_2079 Depth=1
	v_ffbh_u32_e32 v19, v12
	v_min_u32_e32 v19, 32, v19
	v_subrev_nc_u32_e32 v22, 28, v19
	v_sub_nc_u32_e32 v19, 29, v19
	v_lshlrev_b64 v[22:23], v22, v[12:13]
	v_and_b32_e32 v23, 7, v22
; %bb.3130:                             ;   in Loop: Header=BB399_2079 Depth=1
	s_or_b32 exec_lo, exec_lo, s20
	v_lshlrev_b32_sdwa v12, v39, v20 dst_sel:DWORD dst_unused:UNUSED_PAD src0_sel:DWORD src1_sel:BYTE_3
	v_lshlrev_b32_e32 v20, 20, v23
	v_lshl_add_u32 v19, v19, 23, 0x3c000000
	v_and_b32_e32 v12, 0x80000000, v12
	v_or3_b32 v22, v20, v12, v19
.LBB399_3131:                           ;   in Loop: Header=BB399_2079 Depth=1
	s_or_b32 exec_lo, exec_lo, s18
.LBB399_3132:                           ;   in Loop: Header=BB399_2079 Depth=1
	s_or_b32 exec_lo, exec_lo, s15
.LBB399_3133:                           ;   in Loop: Header=BB399_2079 Depth=1
	s_or_b32 exec_lo, exec_lo, s13
	v_mul_f32_e32 v12, v27, v28
	v_mul_f32_e32 v11, v27, v11
	;; [unrolled: 1-line block ×3, first 2 shown]
	v_bfe_u32 v19, v12, 16, 1
	v_or_b32_e32 v20, 0x400000, v12
	v_cmp_u_f32_e64 s4, v12, v12
	v_add3_u32 v19, v19, v12, 0x7fff
	v_cndmask_b32_e64 v12, v19, v20, s4
	v_lshrrev_b32_e32 v12, 16, v12
	buffer_store_dword v12, off, s[0:3], s32 offset:672 ; 4-byte Folded Spill
	v_mul_f32_e32 v12, v27, v26
	v_bfe_u32 v19, v12, 16, 1
	v_or_b32_e32 v20, 0x400000, v12
	v_cmp_u_f32_e64 s4, v12, v12
	v_add3_u32 v19, v19, v12, 0x7fff
	v_cndmask_b32_e64 v12, v19, v20, s4
	v_lshrrev_b32_e32 v12, 16, v12
	buffer_store_dword v12, off, s[0:3], s32 offset:676 ; 4-byte Folded Spill
	v_mul_f32_e32 v12, v27, v21
	;; [unrolled: 8-line block ×3, first 2 shown]
	v_bfe_u32 v16, v12, 16, 1
	v_or_b32_e32 v19, 0x400000, v12
	v_cmp_u_f32_e64 s4, v12, v12
	v_add3_u32 v16, v16, v12, 0x7fff
	v_cndmask_b32_e64 v12, v16, v19, s4
	v_or_b32_e32 v16, 0x400000, v11
	v_cmp_u_f32_e64 s4, v11, v11
	v_lshrrev_b32_e32 v12, 16, v12
	buffer_store_dword v12, off, s[0:3], s32 offset:684 ; 4-byte Folded Spill
	v_bfe_u32 v12, v11, 16, 1
	v_add3_u32 v12, v12, v11, 0x7fff
	v_cndmask_b32_e64 v11, v12, v16, s4
	v_or_b32_e32 v12, 0x400000, v10
	v_cmp_u_f32_e64 s4, v10, v10
	v_lshrrev_b32_e32 v11, 16, v11
	buffer_store_dword v11, off, s[0:3], s32 offset:692 ; 4-byte Folded Spill
	v_bfe_u32 v11, v10, 16, 1
	v_add3_u32 v11, v11, v10, 0x7fff
	v_cndmask_b32_e64 v10, v11, v12, s4
	v_lshrrev_b32_e32 v10, 16, v10
	buffer_store_dword v10, off, s[0:3], s32 offset:696 ; 4-byte Folded Spill
	v_mul_f32_e32 v10, v27, v25
	v_bfe_u32 v11, v10, 16, 1
	v_or_b32_e32 v12, 0x400000, v10
	v_cmp_u_f32_e64 s4, v10, v10
	v_add3_u32 v11, v11, v10, 0x7fff
	v_cndmask_b32_e64 v10, v11, v12, s4
	v_lshrrev_b32_e32 v10, 16, v10
	buffer_store_dword v10, off, s[0:3], s32 offset:688 ; 4-byte Folded Spill
	v_mul_f32_e32 v10, v27, v22
	v_bfe_u32 v11, v10, 16, 1
	v_or_b32_e32 v12, 0x400000, v10
	v_cmp_u_f32_e64 s4, v10, v10
	v_add3_u32 v11, v11, v10, 0x7fff
	v_cndmask_b32_e64 v10, v11, v12, s4
	v_lshrrev_b32_e32 v10, 16, v10
	buffer_store_dword v10, off, s[0:3], s32 offset:700 ; 4-byte Folded Spill
	s_and_saveexec_b32 s13, vcc_lo
	s_cbranch_execz .LBB399_3135
; %bb.3134:                             ;   in Loop: Header=BB399_2079 Depth=1
	buffer_load_dword v10, off, s[0:3], s32 offset:696 ; 4-byte Folded Reload
	v_cmp_lt_i32_e64 s4, v125, v124
	s_waitcnt vmcnt(0)
	v_cndmask_b32_e64 v10, 0, v10, s4
	v_cmp_lt_i32_e64 s4, v113, v124
	buffer_store_dword v10, off, s[0:3], s32 offset:696 ; 4-byte Folded Spill
	buffer_load_dword v10, off, s[0:3], s32 offset:692 ; 4-byte Folded Reload
	s_waitcnt vmcnt(0)
	v_cndmask_b32_e64 v10, 0, v10, s4
	v_cmp_lt_i32_e64 s4, v38, v124
	buffer_store_dword v10, off, s[0:3], s32 offset:692 ; 4-byte Folded Spill
	buffer_load_dword v10, off, s[0:3], s32 offset:684 ; 4-byte Folded Reload
	;; [unrolled: 5-line block ×7, first 2 shown]
	s_waitcnt vmcnt(0)
	v_cndmask_b32_e64 v10, 0, v10, s4
	buffer_store_dword v10, off, s[0:3], s32 offset:700 ; 4-byte Folded Spill
.LBB399_3135:                           ;   in Loop: Header=BB399_2079 Depth=1
	s_or_b32 exec_lo, exec_lo, s13
	v_add_co_u32 v19, s4, 0x1000, v17
	v_add_co_ci_u32_e64 v20, null, 0, v18, s4
	v_mov_b32_e32 v11, 0
	v_mov_b32_e32 v10, 0
	flat_load_dwordx2 v[23:24], v[19:20]
	s_waitcnt vmcnt(0) lgkmcnt(0)
	v_cmp_ne_u16_sdwa s4, v23, v13 src0_sel:BYTE_0 src1_sel:DWORD
	s_and_saveexec_b32 s13, s4
	s_cbranch_execz .LBB399_3143
; %bb.3136:                             ;   in Loop: Header=BB399_2079 Depth=1
	v_cmp_ne_u16_sdwa s4, v23, v114 src0_sel:BYTE_0 src1_sel:DWORD
	v_bfrev_b32_e32 v10, 1
	s_and_saveexec_b32 s15, s4
	s_cbranch_execz .LBB399_3142
; %bb.3137:                             ;   in Loop: Header=BB399_2079 Depth=1
	v_and_b32_e32 v12, 0x7f, v23
	v_mov_b32_e32 v10, 0x7f800001
	s_mov_b32 s18, exec_lo
	v_cmpx_ne_u32_e32 0x7f, v12
	s_cbranch_execz .LBB399_3141
; %bb.3138:                             ;   in Loop: Header=BB399_2079 Depth=1
	v_mov_b32_e32 v26, v24
	v_lshrrev_b32_e32 v10, 3, v12
	v_mov_b32_e32 v25, v23
	s_mov_b32 s20, exec_lo
	v_cmpx_gt_u32_e32 8, v12
; %bb.3139:                             ;   in Loop: Header=BB399_2079 Depth=1
	v_and_b32_e32 v10, 7, v23
	v_ffbh_u32_e32 v10, v10
	v_min_u32_e32 v10, 32, v10
	v_subrev_nc_u32_e32 v12, 28, v10
	v_sub_nc_u32_e32 v10, 29, v10
	v_lshlrev_b64 v[25:26], v12, v[23:24]
; %bb.3140:                             ;   in Loop: Header=BB399_2079 Depth=1
	s_or_b32 exec_lo, exec_lo, s20
	v_lshlrev_b32_e32 v12, 20, v25
	v_lshlrev_b32_e32 v16, 24, v23
	v_lshl_add_u32 v10, v10, 23, 0x3c000000
	v_and_b32_e32 v12, 0x700000, v12
	v_and_b32_e32 v16, 0x80000000, v16
	v_or3_b32 v10, v12, v16, v10
.LBB399_3141:                           ;   in Loop: Header=BB399_2079 Depth=1
	s_or_b32 exec_lo, exec_lo, s18
.LBB399_3142:                           ;   in Loop: Header=BB399_2079 Depth=1
	s_or_b32 exec_lo, exec_lo, s15
.LBB399_3143:                           ;   in Loop: Header=BB399_2079 Depth=1
	s_or_b32 exec_lo, exec_lo, s13
	v_cmp_ne_u16_sdwa s4, v23, v13 src0_sel:BYTE_1 src1_sel:DWORD
	s_and_saveexec_b32 s13, s4
	s_cbranch_execz .LBB399_3151
; %bb.3144:                             ;   in Loop: Header=BB399_2079 Depth=1
	v_cmp_ne_u16_sdwa s4, v23, v114 src0_sel:BYTE_1 src1_sel:DWORD
	v_bfrev_b32_e32 v11, 1
	s_and_saveexec_b32 s15, s4
	s_cbranch_execz .LBB399_3150
; %bb.3145:                             ;   in Loop: Header=BB399_2079 Depth=1
	v_and_b32_sdwa v12, v112, v23 dst_sel:DWORD dst_unused:UNUSED_PAD src0_sel:DWORD src1_sel:BYTE_1
	v_mov_b32_e32 v11, 0x7f800001
	s_mov_b32 s18, exec_lo
	v_and_b32_e32 v16, 0x7f, v12
	v_cmpx_ne_u32_e32 0x7f, v16
	s_cbranch_execz .LBB399_3149
; %bb.3146:                             ;   in Loop: Header=BB399_2079 Depth=1
	v_and_b32_e32 v12, 7, v12
	v_mov_b32_e32 v26, v13
	v_lshrrev_b32_e32 v11, 3, v16
	s_mov_b32 s20, exec_lo
	v_mov_b32_e32 v25, v12
	v_cmpx_gt_u32_e32 8, v16
; %bb.3147:                             ;   in Loop: Header=BB399_2079 Depth=1
	v_ffbh_u32_e32 v11, v12
	v_min_u32_e32 v11, 32, v11
	v_subrev_nc_u32_e32 v16, 28, v11
	v_sub_nc_u32_e32 v11, 29, v11
	v_lshlrev_b64 v[21:22], v16, v[12:13]
	v_and_b32_e32 v25, 7, v21
; %bb.3148:                             ;   in Loop: Header=BB399_2079 Depth=1
	s_or_b32 exec_lo, exec_lo, s20
	v_lshlrev_b32_e32 v12, 16, v23
	v_lshlrev_b32_e32 v16, 20, v25
	v_lshl_add_u32 v11, v11, 23, 0x3c000000
	v_and_b32_e32 v12, 0x80000000, v12
	v_or3_b32 v11, v16, v12, v11
.LBB399_3149:                           ;   in Loop: Header=BB399_2079 Depth=1
	s_or_b32 exec_lo, exec_lo, s18
.LBB399_3150:                           ;   in Loop: Header=BB399_2079 Depth=1
	s_or_b32 exec_lo, exec_lo, s15
.LBB399_3151:                           ;   in Loop: Header=BB399_2079 Depth=1
	s_or_b32 exec_lo, exec_lo, s13
	v_and_b32_sdwa v12, v23, v116 dst_sel:DWORD dst_unused:UNUSED_PAD src0_sel:WORD_1 src1_sel:DWORD
	v_mov_b32_e32 v21, 0
	v_mov_b32_e32 v16, 0
	s_mov_b32 s13, exec_lo
	v_cmpx_ne_u16_e32 0, v12
	s_cbranch_execz .LBB399_3159
; %bb.3152:                             ;   in Loop: Header=BB399_2079 Depth=1
	v_bfrev_b32_e32 v16, 1
	s_mov_b32 s15, exec_lo
	v_cmpx_ne_u16_e32 0x80, v12
	s_cbranch_execz .LBB399_3158
; %bb.3153:                             ;   in Loop: Header=BB399_2079 Depth=1
	v_bfe_u32 v22, v23, 16, 7
	v_mov_b32_e32 v16, 0x7f800001
	s_mov_b32 s18, exec_lo
	v_cmpx_ne_u32_e32 0x7f, v22
	s_cbranch_execz .LBB399_3157
; %bb.3154:                             ;   in Loop: Header=BB399_2079 Depth=1
	v_and_b32_sdwa v12, v23, v115 dst_sel:DWORD dst_unused:UNUSED_PAD src0_sel:WORD_1 src1_sel:DWORD
	v_mov_b32_e32 v26, v13
	v_lshrrev_b32_e32 v16, 3, v22
	s_mov_b32 s20, exec_lo
	v_mov_b32_e32 v25, v12
	v_cmpx_gt_u32_e32 8, v22
; %bb.3155:                             ;   in Loop: Header=BB399_2079 Depth=1
	v_ffbh_u32_e32 v16, v12
	v_min_u32_e32 v16, 32, v16
	v_subrev_nc_u32_e32 v22, 28, v16
	v_sub_nc_u32_e32 v16, 29, v16
	v_lshlrev_b64 v[25:26], v22, v[12:13]
	v_and_b32_e32 v25, 7, v25
; %bb.3156:                             ;   in Loop: Header=BB399_2079 Depth=1
	s_or_b32 exec_lo, exec_lo, s20
	v_lshlrev_b32_sdwa v12, v39, v23 dst_sel:DWORD dst_unused:UNUSED_PAD src0_sel:DWORD src1_sel:WORD_1
	v_lshlrev_b32_e32 v22, 20, v25
	v_lshl_add_u32 v16, v16, 23, 0x3c000000
	v_and_b32_e32 v12, 0x80000000, v12
	v_or3_b32 v16, v22, v12, v16
.LBB399_3157:                           ;   in Loop: Header=BB399_2079 Depth=1
	s_or_b32 exec_lo, exec_lo, s18
.LBB399_3158:                           ;   in Loop: Header=BB399_2079 Depth=1
	s_or_b32 exec_lo, exec_lo, s15
.LBB399_3159:                           ;   in Loop: Header=BB399_2079 Depth=1
	s_or_b32 exec_lo, exec_lo, s13
	s_mov_b32 s13, exec_lo
	v_cmpx_lt_u32_e32 0xffffff, v23
	s_cbranch_execz .LBB399_3167
; %bb.3160:                             ;   in Loop: Header=BB399_2079 Depth=1
	v_cmp_ne_u32_sdwa s4, v23, v114 src0_sel:BYTE_3 src1_sel:DWORD
	v_bfrev_b32_e32 v21, 1
	s_and_saveexec_b32 s15, s4
	s_cbranch_execz .LBB399_3166
; %bb.3161:                             ;   in Loop: Header=BB399_2079 Depth=1
	v_bfe_u32 v22, v23, 24, 7
	v_mov_b32_e32 v21, 0x7f800001
	s_mov_b32 s18, exec_lo
	v_cmpx_ne_u32_e32 0x7f, v22
	s_cbranch_execz .LBB399_3165
; %bb.3162:                             ;   in Loop: Header=BB399_2079 Depth=1
	v_and_b32_sdwa v12, v23, v115 dst_sel:DWORD dst_unused:UNUSED_PAD src0_sel:BYTE_3 src1_sel:DWORD
	v_mov_b32_e32 v26, v13
	v_lshrrev_b32_e32 v21, 3, v22
	s_mov_b32 s20, exec_lo
	v_mov_b32_e32 v25, v12
	v_cmpx_gt_u32_e32 8, v22
; %bb.3163:                             ;   in Loop: Header=BB399_2079 Depth=1
	v_ffbh_u32_e32 v21, v12
	v_min_u32_e32 v21, 32, v21
	v_subrev_nc_u32_e32 v22, 28, v21
	v_sub_nc_u32_e32 v21, 29, v21
	v_lshlrev_b64 v[25:26], v22, v[12:13]
	v_and_b32_e32 v25, 7, v25
; %bb.3164:                             ;   in Loop: Header=BB399_2079 Depth=1
	s_or_b32 exec_lo, exec_lo, s20
	v_lshlrev_b32_sdwa v12, v39, v23 dst_sel:DWORD dst_unused:UNUSED_PAD src0_sel:DWORD src1_sel:BYTE_3
	v_lshlrev_b32_e32 v22, 20, v25
	v_lshl_add_u32 v21, v21, 23, 0x3c000000
	v_and_b32_e32 v12, 0x80000000, v12
	v_or3_b32 v21, v22, v12, v21
.LBB399_3165:                           ;   in Loop: Header=BB399_2079 Depth=1
	s_or_b32 exec_lo, exec_lo, s18
.LBB399_3166:                           ;   in Loop: Header=BB399_2079 Depth=1
	s_or_b32 exec_lo, exec_lo, s15
.LBB399_3167:                           ;   in Loop: Header=BB399_2079 Depth=1
	s_or_b32 exec_lo, exec_lo, s13
	v_mov_b32_e32 v12, v24
	v_cmp_ne_u16_sdwa s4, v24, v13 src0_sel:BYTE_0 src1_sel:DWORD
	v_mov_b32_e32 v30, 0
	v_mov_b32_e32 v29, 0
	s_and_saveexec_b32 s13, s4
	s_cbranch_execz .LBB399_3175
; %bb.3168:                             ;   in Loop: Header=BB399_2079 Depth=1
	v_cmp_ne_u16_sdwa s4, v24, v114 src0_sel:BYTE_0 src1_sel:DWORD
	v_bfrev_b32_e32 v29, 1
	s_and_saveexec_b32 s15, s4
	s_cbranch_execz .LBB399_3174
; %bb.3169:                             ;   in Loop: Header=BB399_2079 Depth=1
	v_and_b32_e32 v28, 0x7f, v24
	v_mov_b32_e32 v29, 0x7f800001
	s_mov_b32 s18, exec_lo
	v_cmpx_ne_u32_e32 0x7f, v28
	s_cbranch_execz .LBB399_3173
; %bb.3170:                             ;   in Loop: Header=BB399_2079 Depth=1
	v_mov_b32_e32 v26, v13
	v_mov_b32_e32 v25, v12
	v_lshrrev_b32_e32 v22, 3, v28
	s_mov_b32 s20, exec_lo
	v_cmpx_gt_u32_e32 8, v28
; %bb.3171:                             ;   in Loop: Header=BB399_2079 Depth=1
	v_and_b32_e32 v22, 7, v24
	v_ffbh_u32_e32 v22, v22
	v_min_u32_e32 v22, 32, v22
	v_subrev_nc_u32_e32 v25, 28, v22
	v_sub_nc_u32_e32 v22, 29, v22
	v_lshlrev_b64 v[25:26], v25, v[12:13]
; %bb.3172:                             ;   in Loop: Header=BB399_2079 Depth=1
	s_or_b32 exec_lo, exec_lo, s20
	v_lshlrev_b32_e32 v25, 20, v25
	v_lshlrev_b32_e32 v26, 24, v12
	v_lshl_add_u32 v22, v22, 23, 0x3c000000
	v_and_b32_e32 v25, 0x700000, v25
	v_and_b32_e32 v26, 0x80000000, v26
	v_or3_b32 v29, v25, v26, v22
.LBB399_3173:                           ;   in Loop: Header=BB399_2079 Depth=1
	s_or_b32 exec_lo, exec_lo, s18
.LBB399_3174:                           ;   in Loop: Header=BB399_2079 Depth=1
	s_or_b32 exec_lo, exec_lo, s15
.LBB399_3175:                           ;   in Loop: Header=BB399_2079 Depth=1
	s_or_b32 exec_lo, exec_lo, s13
	v_cmp_ne_u16_sdwa s4, v12, v13 src0_sel:BYTE_1 src1_sel:DWORD
	s_and_saveexec_b32 s13, s4
	s_cbranch_execz .LBB399_3183
; %bb.3176:                             ;   in Loop: Header=BB399_2079 Depth=1
	v_cmp_ne_u16_sdwa s4, v12, v114 src0_sel:BYTE_1 src1_sel:DWORD
	v_bfrev_b32_e32 v30, 1
	s_and_saveexec_b32 s15, s4
	s_cbranch_execz .LBB399_3182
; %bb.3177:                             ;   in Loop: Header=BB399_2079 Depth=1
	v_and_b32_sdwa v22, v112, v12 dst_sel:DWORD dst_unused:UNUSED_PAD src0_sel:DWORD src1_sel:BYTE_1
	v_mov_b32_e32 v30, 0x7f800001
	s_mov_b32 s18, exec_lo
	v_and_b32_e32 v28, 0x7f, v22
	v_cmpx_ne_u32_e32 0x7f, v28
	s_cbranch_execz .LBB399_3181
; %bb.3178:                             ;   in Loop: Header=BB399_2079 Depth=1
	v_and_b32_e32 v25, 7, v22
	v_mov_b32_e32 v26, v13
	v_lshrrev_b32_e32 v22, 3, v28
	s_mov_b32 s20, exec_lo
	v_cmpx_gt_u32_e32 8, v28
; %bb.3179:                             ;   in Loop: Header=BB399_2079 Depth=1
	v_ffbh_u32_e32 v22, v25
	v_min_u32_e32 v22, 32, v22
	v_subrev_nc_u32_e32 v28, 28, v22
	v_sub_nc_u32_e32 v22, 29, v22
	v_lshlrev_b64 v[25:26], v28, v[25:26]
	v_and_b32_e32 v25, 7, v25
; %bb.3180:                             ;   in Loop: Header=BB399_2079 Depth=1
	s_or_b32 exec_lo, exec_lo, s20
	v_lshlrev_b32_e32 v12, 16, v12
	v_lshlrev_b32_e32 v25, 20, v25
	v_lshl_add_u32 v22, v22, 23, 0x3c000000
	v_and_b32_e32 v12, 0x80000000, v12
	v_or3_b32 v30, v25, v12, v22
.LBB399_3181:                           ;   in Loop: Header=BB399_2079 Depth=1
	s_or_b32 exec_lo, exec_lo, s18
.LBB399_3182:                           ;   in Loop: Header=BB399_2079 Depth=1
	s_or_b32 exec_lo, exec_lo, s15
.LBB399_3183:                           ;   in Loop: Header=BB399_2079 Depth=1
	s_or_b32 exec_lo, exec_lo, s13
	v_and_b32_sdwa v12, v24, v116 dst_sel:DWORD dst_unused:UNUSED_PAD src0_sel:WORD_1 src1_sel:DWORD
	v_mov_b32_e32 v22, 0
	v_mov_b32_e32 v28, 0
	s_mov_b32 s13, exec_lo
	v_cmpx_ne_u16_e32 0, v12
	s_cbranch_execz .LBB399_3191
; %bb.3184:                             ;   in Loop: Header=BB399_2079 Depth=1
	v_bfrev_b32_e32 v28, 1
	s_mov_b32 s15, exec_lo
	v_cmpx_ne_u16_e32 0x80, v12
	s_cbranch_execz .LBB399_3190
; %bb.3185:                             ;   in Loop: Header=BB399_2079 Depth=1
	v_bfe_u32 v31, v24, 16, 7
	v_mov_b32_e32 v28, 0x7f800001
	s_mov_b32 s18, exec_lo
	v_cmpx_ne_u32_e32 0x7f, v31
	s_cbranch_execz .LBB399_3189
; %bb.3186:                             ;   in Loop: Header=BB399_2079 Depth=1
	v_and_b32_sdwa v12, v24, v115 dst_sel:DWORD dst_unused:UNUSED_PAD src0_sel:WORD_1 src1_sel:DWORD
	v_mov_b32_e32 v26, v13
	v_lshrrev_b32_e32 v26, 3, v31
	s_mov_b32 s20, exec_lo
	v_mov_b32_e32 v25, v12
	v_cmpx_gt_u32_e32 8, v31
; %bb.3187:                             ;   in Loop: Header=BB399_2079 Depth=1
	v_ffbh_u32_e32 v25, v12
	v_min_u32_e32 v28, 32, v25
	v_subrev_nc_u32_e32 v25, 28, v28
	v_lshlrev_b64 v[25:26], v25, v[12:13]
	v_sub_nc_u32_e32 v26, 29, v28
	v_and_b32_e32 v25, 7, v25
; %bb.3188:                             ;   in Loop: Header=BB399_2079 Depth=1
	s_or_b32 exec_lo, exec_lo, s20
	v_lshlrev_b32_sdwa v12, v39, v24 dst_sel:DWORD dst_unused:UNUSED_PAD src0_sel:DWORD src1_sel:WORD_1
	v_lshlrev_b32_e32 v25, 20, v25
	v_lshl_add_u32 v26, v26, 23, 0x3c000000
	v_and_b32_e32 v12, 0x80000000, v12
	v_or3_b32 v28, v25, v12, v26
.LBB399_3189:                           ;   in Loop: Header=BB399_2079 Depth=1
	s_or_b32 exec_lo, exec_lo, s18
.LBB399_3190:                           ;   in Loop: Header=BB399_2079 Depth=1
	s_or_b32 exec_lo, exec_lo, s15
.LBB399_3191:                           ;   in Loop: Header=BB399_2079 Depth=1
	s_or_b32 exec_lo, exec_lo, s13
	s_mov_b32 s13, exec_lo
	v_cmpx_lt_u64_e64 s[8:9], v[23:24]
	s_cbranch_execz .LBB399_3199
; %bb.3192:                             ;   in Loop: Header=BB399_2079 Depth=1
	v_cmp_ne_u32_sdwa s4, v24, v114 src0_sel:BYTE_3 src1_sel:DWORD
	v_bfrev_b32_e32 v22, 1
	s_and_saveexec_b32 s15, s4
	s_cbranch_execz .LBB399_3198
; %bb.3193:                             ;   in Loop: Header=BB399_2079 Depth=1
	v_bfe_u32 v23, v24, 24, 7
	v_mov_b32_e32 v22, 0x7f800001
	s_mov_b32 s18, exec_lo
	v_cmpx_ne_u32_e32 0x7f, v23
	s_cbranch_execz .LBB399_3197
; %bb.3194:                             ;   in Loop: Header=BB399_2079 Depth=1
	v_and_b32_sdwa v12, v24, v115 dst_sel:DWORD dst_unused:UNUSED_PAD src0_sel:BYTE_3 src1_sel:DWORD
	v_mov_b32_e32 v26, v13
	v_lshrrev_b32_e32 v22, 3, v23
	s_mov_b32 s20, exec_lo
	v_mov_b32_e32 v25, v12
	v_cmpx_gt_u32_e32 8, v23
; %bb.3195:                             ;   in Loop: Header=BB399_2079 Depth=1
	v_ffbh_u32_e32 v22, v12
	v_min_u32_e32 v22, 32, v22
	v_subrev_nc_u32_e32 v23, 28, v22
	v_sub_nc_u32_e32 v22, 29, v22
	v_lshlrev_b64 v[25:26], v23, v[12:13]
	v_and_b32_e32 v25, 7, v25
; %bb.3196:                             ;   in Loop: Header=BB399_2079 Depth=1
	s_or_b32 exec_lo, exec_lo, s20
	v_lshlrev_b32_sdwa v12, v39, v24 dst_sel:DWORD dst_unused:UNUSED_PAD src0_sel:DWORD src1_sel:BYTE_3
	v_lshlrev_b32_e32 v23, 20, v25
	v_lshl_add_u32 v22, v22, 23, 0x3c000000
	v_and_b32_e32 v12, 0x80000000, v12
	v_or3_b32 v22, v23, v12, v22
.LBB399_3197:                           ;   in Loop: Header=BB399_2079 Depth=1
	s_or_b32 exec_lo, exec_lo, s18
.LBB399_3198:                           ;   in Loop: Header=BB399_2079 Depth=1
	s_or_b32 exec_lo, exec_lo, s15
.LBB399_3199:                           ;   in Loop: Header=BB399_2079 Depth=1
	s_or_b32 exec_lo, exec_lo, s13
	v_mul_f32_e32 v12, v27, v30
	v_mul_f32_e32 v11, v27, v11
	;; [unrolled: 1-line block ×3, first 2 shown]
	v_bfe_u32 v23, v12, 16, 1
	v_or_b32_e32 v24, 0x400000, v12
	v_cmp_u_f32_e64 s4, v12, v12
	v_add3_u32 v23, v23, v12, 0x7fff
	v_cndmask_b32_e64 v12, v23, v24, s4
	v_lshrrev_b32_e32 v12, 16, v12
	buffer_store_dword v12, off, s[0:3], s32 offset:704 ; 4-byte Folded Spill
	v_mul_f32_e32 v12, v27, v29
	v_bfe_u32 v23, v12, 16, 1
	v_or_b32_e32 v24, 0x400000, v12
	v_cmp_u_f32_e64 s4, v12, v12
	v_add3_u32 v23, v23, v12, 0x7fff
	v_cndmask_b32_e64 v12, v23, v24, s4
	v_lshrrev_b32_e32 v12, 16, v12
	buffer_store_dword v12, off, s[0:3], s32 offset:708 ; 4-byte Folded Spill
	v_mul_f32_e32 v12, v27, v21
	;; [unrolled: 8-line block ×3, first 2 shown]
	v_bfe_u32 v16, v12, 16, 1
	v_or_b32_e32 v21, 0x400000, v12
	v_cmp_u_f32_e64 s4, v12, v12
	v_add3_u32 v16, v16, v12, 0x7fff
	v_cndmask_b32_e64 v12, v16, v21, s4
	v_or_b32_e32 v16, 0x400000, v11
	v_cmp_u_f32_e64 s4, v11, v11
	v_lshrrev_b32_e32 v12, 16, v12
	buffer_store_dword v12, off, s[0:3], s32 offset:716 ; 4-byte Folded Spill
	v_bfe_u32 v12, v11, 16, 1
	v_add3_u32 v12, v12, v11, 0x7fff
	v_cndmask_b32_e64 v11, v12, v16, s4
	v_or_b32_e32 v12, 0x400000, v10
	v_cmp_u_f32_e64 s4, v10, v10
	v_lshrrev_b32_e32 v11, 16, v11
	buffer_store_dword v11, off, s[0:3], s32 offset:724 ; 4-byte Folded Spill
	v_bfe_u32 v11, v10, 16, 1
	v_add3_u32 v11, v11, v10, 0x7fff
	v_cndmask_b32_e64 v10, v11, v12, s4
	v_lshrrev_b32_e32 v10, 16, v10
	buffer_store_dword v10, off, s[0:3], s32 offset:728 ; 4-byte Folded Spill
	v_mul_f32_e32 v10, v27, v28
	v_bfe_u32 v11, v10, 16, 1
	v_or_b32_e32 v12, 0x400000, v10
	v_cmp_u_f32_e64 s4, v10, v10
	v_add3_u32 v11, v11, v10, 0x7fff
	v_cndmask_b32_e64 v10, v11, v12, s4
	v_lshrrev_b32_e32 v10, 16, v10
	buffer_store_dword v10, off, s[0:3], s32 offset:720 ; 4-byte Folded Spill
	v_mul_f32_e32 v10, v27, v22
	v_bfe_u32 v11, v10, 16, 1
	v_or_b32_e32 v12, 0x400000, v10
	v_cmp_u_f32_e64 s4, v10, v10
	v_add3_u32 v11, v11, v10, 0x7fff
	v_cndmask_b32_e64 v10, v11, v12, s4
	v_lshrrev_b32_e32 v10, 16, v10
	buffer_store_dword v10, off, s[0:3], s32 offset:732 ; 4-byte Folded Spill
	s_and_saveexec_b32 s13, vcc_lo
	s_cbranch_execz .LBB399_3201
; %bb.3200:                             ;   in Loop: Header=BB399_2079 Depth=1
	buffer_load_dword v10, off, s[0:3], s32 offset:728 ; 4-byte Folded Reload
	v_cmp_lt_i32_e64 s4, v125, v124
	s_waitcnt vmcnt(0)
	v_cndmask_b32_e64 v10, 0, v10, s4
	v_cmp_lt_i32_e64 s4, v113, v124
	buffer_store_dword v10, off, s[0:3], s32 offset:728 ; 4-byte Folded Spill
	buffer_load_dword v10, off, s[0:3], s32 offset:724 ; 4-byte Folded Reload
	s_waitcnt vmcnt(0)
	v_cndmask_b32_e64 v10, 0, v10, s4
	v_cmp_lt_i32_e64 s4, v38, v124
	buffer_store_dword v10, off, s[0:3], s32 offset:724 ; 4-byte Folded Spill
	buffer_load_dword v10, off, s[0:3], s32 offset:716 ; 4-byte Folded Reload
	;; [unrolled: 5-line block ×7, first 2 shown]
	s_waitcnt vmcnt(0)
	v_cndmask_b32_e64 v10, 0, v10, s4
	buffer_store_dword v10, off, s[0:3], s32 offset:732 ; 4-byte Folded Spill
.LBB399_3201:                           ;   in Loop: Header=BB399_2079 Depth=1
	s_or_b32 exec_lo, exec_lo, s13
	flat_load_dwordx2 v[23:24], v[19:20] offset:256
	v_mov_b32_e32 v11, 0
	v_mov_b32_e32 v10, 0
	s_waitcnt vmcnt(0) lgkmcnt(0)
	v_cmp_ne_u16_sdwa s4, v23, v13 src0_sel:BYTE_0 src1_sel:DWORD
	s_and_saveexec_b32 s13, s4
	s_cbranch_execz .LBB399_3209
; %bb.3202:                             ;   in Loop: Header=BB399_2079 Depth=1
	v_cmp_ne_u16_sdwa s4, v23, v114 src0_sel:BYTE_0 src1_sel:DWORD
	v_bfrev_b32_e32 v10, 1
	s_and_saveexec_b32 s15, s4
	s_cbranch_execz .LBB399_3208
; %bb.3203:                             ;   in Loop: Header=BB399_2079 Depth=1
	v_and_b32_e32 v12, 0x7f, v23
	v_mov_b32_e32 v10, 0x7f800001
	s_mov_b32 s18, exec_lo
	v_cmpx_ne_u32_e32 0x7f, v12
	s_cbranch_execz .LBB399_3207
; %bb.3204:                             ;   in Loop: Header=BB399_2079 Depth=1
	v_mov_b32_e32 v26, v24
	v_lshrrev_b32_e32 v10, 3, v12
	v_mov_b32_e32 v25, v23
	s_mov_b32 s20, exec_lo
	v_cmpx_gt_u32_e32 8, v12
; %bb.3205:                             ;   in Loop: Header=BB399_2079 Depth=1
	v_and_b32_e32 v10, 7, v23
	v_ffbh_u32_e32 v10, v10
	v_min_u32_e32 v10, 32, v10
	v_subrev_nc_u32_e32 v12, 28, v10
	v_sub_nc_u32_e32 v10, 29, v10
	v_lshlrev_b64 v[25:26], v12, v[23:24]
; %bb.3206:                             ;   in Loop: Header=BB399_2079 Depth=1
	s_or_b32 exec_lo, exec_lo, s20
	v_lshlrev_b32_e32 v12, 20, v25
	v_lshlrev_b32_e32 v16, 24, v23
	v_lshl_add_u32 v10, v10, 23, 0x3c000000
	v_and_b32_e32 v12, 0x700000, v12
	v_and_b32_e32 v16, 0x80000000, v16
	v_or3_b32 v10, v12, v16, v10
.LBB399_3207:                           ;   in Loop: Header=BB399_2079 Depth=1
	s_or_b32 exec_lo, exec_lo, s18
.LBB399_3208:                           ;   in Loop: Header=BB399_2079 Depth=1
	s_or_b32 exec_lo, exec_lo, s15
.LBB399_3209:                           ;   in Loop: Header=BB399_2079 Depth=1
	s_or_b32 exec_lo, exec_lo, s13
	v_cmp_ne_u16_sdwa s4, v23, v13 src0_sel:BYTE_1 src1_sel:DWORD
	s_and_saveexec_b32 s13, s4
	s_cbranch_execz .LBB399_3217
; %bb.3210:                             ;   in Loop: Header=BB399_2079 Depth=1
	v_cmp_ne_u16_sdwa s4, v23, v114 src0_sel:BYTE_1 src1_sel:DWORD
	v_bfrev_b32_e32 v11, 1
	s_and_saveexec_b32 s15, s4
	s_cbranch_execz .LBB399_3216
; %bb.3211:                             ;   in Loop: Header=BB399_2079 Depth=1
	v_and_b32_sdwa v12, v112, v23 dst_sel:DWORD dst_unused:UNUSED_PAD src0_sel:DWORD src1_sel:BYTE_1
	v_mov_b32_e32 v11, 0x7f800001
	s_mov_b32 s18, exec_lo
	v_and_b32_e32 v16, 0x7f, v12
	v_cmpx_ne_u32_e32 0x7f, v16
	s_cbranch_execz .LBB399_3215
; %bb.3212:                             ;   in Loop: Header=BB399_2079 Depth=1
	v_and_b32_e32 v12, 7, v12
	v_mov_b32_e32 v26, v13
	v_lshrrev_b32_e32 v11, 3, v16
	s_mov_b32 s20, exec_lo
	v_mov_b32_e32 v25, v12
	v_cmpx_gt_u32_e32 8, v16
; %bb.3213:                             ;   in Loop: Header=BB399_2079 Depth=1
	v_ffbh_u32_e32 v11, v12
	v_min_u32_e32 v11, 32, v11
	v_subrev_nc_u32_e32 v16, 28, v11
	v_sub_nc_u32_e32 v11, 29, v11
	v_lshlrev_b64 v[21:22], v16, v[12:13]
	v_and_b32_e32 v25, 7, v21
; %bb.3214:                             ;   in Loop: Header=BB399_2079 Depth=1
	s_or_b32 exec_lo, exec_lo, s20
	v_lshlrev_b32_e32 v12, 16, v23
	v_lshlrev_b32_e32 v16, 20, v25
	v_lshl_add_u32 v11, v11, 23, 0x3c000000
	v_and_b32_e32 v12, 0x80000000, v12
	v_or3_b32 v11, v16, v12, v11
.LBB399_3215:                           ;   in Loop: Header=BB399_2079 Depth=1
	s_or_b32 exec_lo, exec_lo, s18
.LBB399_3216:                           ;   in Loop: Header=BB399_2079 Depth=1
	s_or_b32 exec_lo, exec_lo, s15
.LBB399_3217:                           ;   in Loop: Header=BB399_2079 Depth=1
	s_or_b32 exec_lo, exec_lo, s13
	v_and_b32_sdwa v12, v23, v116 dst_sel:DWORD dst_unused:UNUSED_PAD src0_sel:WORD_1 src1_sel:DWORD
	v_mov_b32_e32 v21, 0
	v_mov_b32_e32 v16, 0
	s_mov_b32 s13, exec_lo
	v_cmpx_ne_u16_e32 0, v12
	s_cbranch_execz .LBB399_3225
; %bb.3218:                             ;   in Loop: Header=BB399_2079 Depth=1
	v_bfrev_b32_e32 v16, 1
	s_mov_b32 s15, exec_lo
	v_cmpx_ne_u16_e32 0x80, v12
	s_cbranch_execz .LBB399_3224
; %bb.3219:                             ;   in Loop: Header=BB399_2079 Depth=1
	v_bfe_u32 v22, v23, 16, 7
	v_mov_b32_e32 v16, 0x7f800001
	s_mov_b32 s18, exec_lo
	v_cmpx_ne_u32_e32 0x7f, v22
	s_cbranch_execz .LBB399_3223
; %bb.3220:                             ;   in Loop: Header=BB399_2079 Depth=1
	v_and_b32_sdwa v12, v23, v115 dst_sel:DWORD dst_unused:UNUSED_PAD src0_sel:WORD_1 src1_sel:DWORD
	v_mov_b32_e32 v26, v13
	v_lshrrev_b32_e32 v16, 3, v22
	s_mov_b32 s20, exec_lo
	v_mov_b32_e32 v25, v12
	v_cmpx_gt_u32_e32 8, v22
; %bb.3221:                             ;   in Loop: Header=BB399_2079 Depth=1
	v_ffbh_u32_e32 v16, v12
	v_min_u32_e32 v16, 32, v16
	v_subrev_nc_u32_e32 v22, 28, v16
	v_sub_nc_u32_e32 v16, 29, v16
	v_lshlrev_b64 v[25:26], v22, v[12:13]
	v_and_b32_e32 v25, 7, v25
; %bb.3222:                             ;   in Loop: Header=BB399_2079 Depth=1
	s_or_b32 exec_lo, exec_lo, s20
	v_lshlrev_b32_sdwa v12, v39, v23 dst_sel:DWORD dst_unused:UNUSED_PAD src0_sel:DWORD src1_sel:WORD_1
	v_lshlrev_b32_e32 v22, 20, v25
	v_lshl_add_u32 v16, v16, 23, 0x3c000000
	v_and_b32_e32 v12, 0x80000000, v12
	v_or3_b32 v16, v22, v12, v16
.LBB399_3223:                           ;   in Loop: Header=BB399_2079 Depth=1
	s_or_b32 exec_lo, exec_lo, s18
.LBB399_3224:                           ;   in Loop: Header=BB399_2079 Depth=1
	s_or_b32 exec_lo, exec_lo, s15
.LBB399_3225:                           ;   in Loop: Header=BB399_2079 Depth=1
	s_or_b32 exec_lo, exec_lo, s13
	s_mov_b32 s13, exec_lo
	v_cmpx_lt_u32_e32 0xffffff, v23
	s_cbranch_execz .LBB399_3233
; %bb.3226:                             ;   in Loop: Header=BB399_2079 Depth=1
	v_cmp_ne_u32_sdwa s4, v23, v114 src0_sel:BYTE_3 src1_sel:DWORD
	v_bfrev_b32_e32 v21, 1
	s_and_saveexec_b32 s15, s4
	s_cbranch_execz .LBB399_3232
; %bb.3227:                             ;   in Loop: Header=BB399_2079 Depth=1
	v_bfe_u32 v22, v23, 24, 7
	v_mov_b32_e32 v21, 0x7f800001
	s_mov_b32 s18, exec_lo
	v_cmpx_ne_u32_e32 0x7f, v22
	s_cbranch_execz .LBB399_3231
; %bb.3228:                             ;   in Loop: Header=BB399_2079 Depth=1
	v_and_b32_sdwa v12, v23, v115 dst_sel:DWORD dst_unused:UNUSED_PAD src0_sel:BYTE_3 src1_sel:DWORD
	v_mov_b32_e32 v26, v13
	v_lshrrev_b32_e32 v21, 3, v22
	s_mov_b32 s20, exec_lo
	v_mov_b32_e32 v25, v12
	v_cmpx_gt_u32_e32 8, v22
; %bb.3229:                             ;   in Loop: Header=BB399_2079 Depth=1
	v_ffbh_u32_e32 v21, v12
	v_min_u32_e32 v21, 32, v21
	v_subrev_nc_u32_e32 v22, 28, v21
	v_sub_nc_u32_e32 v21, 29, v21
	v_lshlrev_b64 v[25:26], v22, v[12:13]
	v_and_b32_e32 v25, 7, v25
; %bb.3230:                             ;   in Loop: Header=BB399_2079 Depth=1
	s_or_b32 exec_lo, exec_lo, s20
	v_lshlrev_b32_sdwa v12, v39, v23 dst_sel:DWORD dst_unused:UNUSED_PAD src0_sel:DWORD src1_sel:BYTE_3
	v_lshlrev_b32_e32 v22, 20, v25
	v_lshl_add_u32 v21, v21, 23, 0x3c000000
	v_and_b32_e32 v12, 0x80000000, v12
	v_or3_b32 v21, v22, v12, v21
.LBB399_3231:                           ;   in Loop: Header=BB399_2079 Depth=1
	s_or_b32 exec_lo, exec_lo, s18
.LBB399_3232:                           ;   in Loop: Header=BB399_2079 Depth=1
	s_or_b32 exec_lo, exec_lo, s15
.LBB399_3233:                           ;   in Loop: Header=BB399_2079 Depth=1
	s_or_b32 exec_lo, exec_lo, s13
	v_mov_b32_e32 v12, v24
	v_cmp_ne_u16_sdwa s4, v24, v13 src0_sel:BYTE_0 src1_sel:DWORD
	v_mov_b32_e32 v30, 0
	v_mov_b32_e32 v29, 0
	s_and_saveexec_b32 s13, s4
	s_cbranch_execz .LBB399_3241
; %bb.3234:                             ;   in Loop: Header=BB399_2079 Depth=1
	v_cmp_ne_u16_sdwa s4, v24, v114 src0_sel:BYTE_0 src1_sel:DWORD
	v_bfrev_b32_e32 v29, 1
	s_and_saveexec_b32 s15, s4
	s_cbranch_execz .LBB399_3240
; %bb.3235:                             ;   in Loop: Header=BB399_2079 Depth=1
	v_and_b32_e32 v28, 0x7f, v24
	v_mov_b32_e32 v29, 0x7f800001
	s_mov_b32 s18, exec_lo
	v_cmpx_ne_u32_e32 0x7f, v28
	s_cbranch_execz .LBB399_3239
; %bb.3236:                             ;   in Loop: Header=BB399_2079 Depth=1
	v_mov_b32_e32 v26, v13
	v_mov_b32_e32 v25, v12
	v_lshrrev_b32_e32 v22, 3, v28
	s_mov_b32 s20, exec_lo
	v_cmpx_gt_u32_e32 8, v28
; %bb.3237:                             ;   in Loop: Header=BB399_2079 Depth=1
	v_and_b32_e32 v22, 7, v24
	v_ffbh_u32_e32 v22, v22
	v_min_u32_e32 v22, 32, v22
	v_subrev_nc_u32_e32 v25, 28, v22
	v_sub_nc_u32_e32 v22, 29, v22
	v_lshlrev_b64 v[25:26], v25, v[12:13]
; %bb.3238:                             ;   in Loop: Header=BB399_2079 Depth=1
	s_or_b32 exec_lo, exec_lo, s20
	v_lshlrev_b32_e32 v25, 20, v25
	v_lshlrev_b32_e32 v26, 24, v12
	v_lshl_add_u32 v22, v22, 23, 0x3c000000
	v_and_b32_e32 v25, 0x700000, v25
	v_and_b32_e32 v26, 0x80000000, v26
	v_or3_b32 v29, v25, v26, v22
.LBB399_3239:                           ;   in Loop: Header=BB399_2079 Depth=1
	s_or_b32 exec_lo, exec_lo, s18
.LBB399_3240:                           ;   in Loop: Header=BB399_2079 Depth=1
	s_or_b32 exec_lo, exec_lo, s15
.LBB399_3241:                           ;   in Loop: Header=BB399_2079 Depth=1
	s_or_b32 exec_lo, exec_lo, s13
	v_cmp_ne_u16_sdwa s4, v12, v13 src0_sel:BYTE_1 src1_sel:DWORD
	s_and_saveexec_b32 s13, s4
	s_cbranch_execz .LBB399_3249
; %bb.3242:                             ;   in Loop: Header=BB399_2079 Depth=1
	v_cmp_ne_u16_sdwa s4, v12, v114 src0_sel:BYTE_1 src1_sel:DWORD
	v_bfrev_b32_e32 v30, 1
	s_and_saveexec_b32 s15, s4
	s_cbranch_execz .LBB399_3248
; %bb.3243:                             ;   in Loop: Header=BB399_2079 Depth=1
	v_and_b32_sdwa v22, v112, v12 dst_sel:DWORD dst_unused:UNUSED_PAD src0_sel:DWORD src1_sel:BYTE_1
	v_mov_b32_e32 v30, 0x7f800001
	s_mov_b32 s18, exec_lo
	v_and_b32_e32 v28, 0x7f, v22
	v_cmpx_ne_u32_e32 0x7f, v28
	s_cbranch_execz .LBB399_3247
; %bb.3244:                             ;   in Loop: Header=BB399_2079 Depth=1
	v_and_b32_e32 v25, 7, v22
	v_mov_b32_e32 v26, v13
	v_lshrrev_b32_e32 v22, 3, v28
	s_mov_b32 s20, exec_lo
	v_cmpx_gt_u32_e32 8, v28
; %bb.3245:                             ;   in Loop: Header=BB399_2079 Depth=1
	v_ffbh_u32_e32 v22, v25
	v_min_u32_e32 v22, 32, v22
	v_subrev_nc_u32_e32 v28, 28, v22
	v_sub_nc_u32_e32 v22, 29, v22
	v_lshlrev_b64 v[25:26], v28, v[25:26]
	v_and_b32_e32 v25, 7, v25
; %bb.3246:                             ;   in Loop: Header=BB399_2079 Depth=1
	s_or_b32 exec_lo, exec_lo, s20
	v_lshlrev_b32_e32 v12, 16, v12
	v_lshlrev_b32_e32 v25, 20, v25
	v_lshl_add_u32 v22, v22, 23, 0x3c000000
	v_and_b32_e32 v12, 0x80000000, v12
	v_or3_b32 v30, v25, v12, v22
.LBB399_3247:                           ;   in Loop: Header=BB399_2079 Depth=1
	s_or_b32 exec_lo, exec_lo, s18
.LBB399_3248:                           ;   in Loop: Header=BB399_2079 Depth=1
	s_or_b32 exec_lo, exec_lo, s15
.LBB399_3249:                           ;   in Loop: Header=BB399_2079 Depth=1
	s_or_b32 exec_lo, exec_lo, s13
	v_and_b32_sdwa v12, v24, v116 dst_sel:DWORD dst_unused:UNUSED_PAD src0_sel:WORD_1 src1_sel:DWORD
	v_mov_b32_e32 v22, 0
	v_mov_b32_e32 v28, 0
	s_mov_b32 s13, exec_lo
	v_cmpx_ne_u16_e32 0, v12
	s_cbranch_execz .LBB399_3257
; %bb.3250:                             ;   in Loop: Header=BB399_2079 Depth=1
	v_bfrev_b32_e32 v28, 1
	s_mov_b32 s15, exec_lo
	v_cmpx_ne_u16_e32 0x80, v12
	s_cbranch_execz .LBB399_3256
; %bb.3251:                             ;   in Loop: Header=BB399_2079 Depth=1
	v_bfe_u32 v31, v24, 16, 7
	v_mov_b32_e32 v28, 0x7f800001
	s_mov_b32 s18, exec_lo
	v_cmpx_ne_u32_e32 0x7f, v31
	s_cbranch_execz .LBB399_3255
; %bb.3252:                             ;   in Loop: Header=BB399_2079 Depth=1
	v_and_b32_sdwa v12, v24, v115 dst_sel:DWORD dst_unused:UNUSED_PAD src0_sel:WORD_1 src1_sel:DWORD
	v_mov_b32_e32 v26, v13
	v_lshrrev_b32_e32 v26, 3, v31
	s_mov_b32 s20, exec_lo
	v_mov_b32_e32 v25, v12
	v_cmpx_gt_u32_e32 8, v31
; %bb.3253:                             ;   in Loop: Header=BB399_2079 Depth=1
	v_ffbh_u32_e32 v25, v12
	v_min_u32_e32 v28, 32, v25
	v_subrev_nc_u32_e32 v25, 28, v28
	v_lshlrev_b64 v[25:26], v25, v[12:13]
	v_sub_nc_u32_e32 v26, 29, v28
	v_and_b32_e32 v25, 7, v25
; %bb.3254:                             ;   in Loop: Header=BB399_2079 Depth=1
	s_or_b32 exec_lo, exec_lo, s20
	v_lshlrev_b32_sdwa v12, v39, v24 dst_sel:DWORD dst_unused:UNUSED_PAD src0_sel:DWORD src1_sel:WORD_1
	v_lshlrev_b32_e32 v25, 20, v25
	v_lshl_add_u32 v26, v26, 23, 0x3c000000
	v_and_b32_e32 v12, 0x80000000, v12
	v_or3_b32 v28, v25, v12, v26
.LBB399_3255:                           ;   in Loop: Header=BB399_2079 Depth=1
	s_or_b32 exec_lo, exec_lo, s18
.LBB399_3256:                           ;   in Loop: Header=BB399_2079 Depth=1
	s_or_b32 exec_lo, exec_lo, s15
.LBB399_3257:                           ;   in Loop: Header=BB399_2079 Depth=1
	s_or_b32 exec_lo, exec_lo, s13
	s_mov_b32 s13, exec_lo
	v_cmpx_lt_u64_e64 s[8:9], v[23:24]
	s_cbranch_execz .LBB399_3265
; %bb.3258:                             ;   in Loop: Header=BB399_2079 Depth=1
	v_cmp_ne_u32_sdwa s4, v24, v114 src0_sel:BYTE_3 src1_sel:DWORD
	v_bfrev_b32_e32 v22, 1
	s_and_saveexec_b32 s15, s4
	s_cbranch_execz .LBB399_3264
; %bb.3259:                             ;   in Loop: Header=BB399_2079 Depth=1
	v_bfe_u32 v23, v24, 24, 7
	v_mov_b32_e32 v22, 0x7f800001
	s_mov_b32 s18, exec_lo
	v_cmpx_ne_u32_e32 0x7f, v23
	s_cbranch_execz .LBB399_3263
; %bb.3260:                             ;   in Loop: Header=BB399_2079 Depth=1
	v_and_b32_sdwa v12, v24, v115 dst_sel:DWORD dst_unused:UNUSED_PAD src0_sel:BYTE_3 src1_sel:DWORD
	v_mov_b32_e32 v26, v13
	v_lshrrev_b32_e32 v22, 3, v23
	s_mov_b32 s20, exec_lo
	v_mov_b32_e32 v25, v12
	v_cmpx_gt_u32_e32 8, v23
; %bb.3261:                             ;   in Loop: Header=BB399_2079 Depth=1
	v_ffbh_u32_e32 v22, v12
	v_min_u32_e32 v22, 32, v22
	v_subrev_nc_u32_e32 v23, 28, v22
	v_sub_nc_u32_e32 v22, 29, v22
	v_lshlrev_b64 v[25:26], v23, v[12:13]
	v_and_b32_e32 v25, 7, v25
; %bb.3262:                             ;   in Loop: Header=BB399_2079 Depth=1
	s_or_b32 exec_lo, exec_lo, s20
	v_lshlrev_b32_sdwa v12, v39, v24 dst_sel:DWORD dst_unused:UNUSED_PAD src0_sel:DWORD src1_sel:BYTE_3
	v_lshlrev_b32_e32 v23, 20, v25
	v_lshl_add_u32 v22, v22, 23, 0x3c000000
	v_and_b32_e32 v12, 0x80000000, v12
	v_or3_b32 v22, v23, v12, v22
.LBB399_3263:                           ;   in Loop: Header=BB399_2079 Depth=1
	s_or_b32 exec_lo, exec_lo, s18
.LBB399_3264:                           ;   in Loop: Header=BB399_2079 Depth=1
	s_or_b32 exec_lo, exec_lo, s15
.LBB399_3265:                           ;   in Loop: Header=BB399_2079 Depth=1
	s_or_b32 exec_lo, exec_lo, s13
	v_mul_f32_e32 v12, v27, v30
	v_mul_f32_e32 v11, v27, v11
	;; [unrolled: 1-line block ×3, first 2 shown]
	v_bfe_u32 v23, v12, 16, 1
	v_or_b32_e32 v24, 0x400000, v12
	v_cmp_u_f32_e64 s4, v12, v12
	v_add3_u32 v23, v23, v12, 0x7fff
	v_cndmask_b32_e64 v12, v23, v24, s4
	v_lshrrev_b32_e32 v12, 16, v12
	buffer_store_dword v12, off, s[0:3], s32 offset:736 ; 4-byte Folded Spill
	v_mul_f32_e32 v12, v27, v29
	v_bfe_u32 v23, v12, 16, 1
	v_or_b32_e32 v24, 0x400000, v12
	v_cmp_u_f32_e64 s4, v12, v12
	v_add3_u32 v23, v23, v12, 0x7fff
	v_cndmask_b32_e64 v12, v23, v24, s4
	v_lshrrev_b32_e32 v12, 16, v12
	buffer_store_dword v12, off, s[0:3], s32 offset:740 ; 4-byte Folded Spill
	v_mul_f32_e32 v12, v27, v21
	;; [unrolled: 8-line block ×3, first 2 shown]
	v_bfe_u32 v16, v12, 16, 1
	v_or_b32_e32 v21, 0x400000, v12
	v_cmp_u_f32_e64 s4, v12, v12
	v_add3_u32 v16, v16, v12, 0x7fff
	v_cndmask_b32_e64 v12, v16, v21, s4
	v_or_b32_e32 v16, 0x400000, v11
	v_cmp_u_f32_e64 s4, v11, v11
	v_lshrrev_b32_e32 v12, 16, v12
	buffer_store_dword v12, off, s[0:3], s32 offset:748 ; 4-byte Folded Spill
	v_bfe_u32 v12, v11, 16, 1
	v_add3_u32 v12, v12, v11, 0x7fff
	v_cndmask_b32_e64 v11, v12, v16, s4
	v_or_b32_e32 v12, 0x400000, v10
	v_cmp_u_f32_e64 s4, v10, v10
	v_lshrrev_b32_e32 v11, 16, v11
	buffer_store_dword v11, off, s[0:3], s32 offset:756 ; 4-byte Folded Spill
	v_bfe_u32 v11, v10, 16, 1
	v_add3_u32 v11, v11, v10, 0x7fff
	v_cndmask_b32_e64 v10, v11, v12, s4
	v_lshrrev_b32_e32 v10, 16, v10
	buffer_store_dword v10, off, s[0:3], s32 offset:760 ; 4-byte Folded Spill
	v_mul_f32_e32 v10, v27, v28
	v_bfe_u32 v11, v10, 16, 1
	v_or_b32_e32 v12, 0x400000, v10
	v_cmp_u_f32_e64 s4, v10, v10
	v_add3_u32 v11, v11, v10, 0x7fff
	v_cndmask_b32_e64 v10, v11, v12, s4
	v_lshrrev_b32_e32 v10, 16, v10
	buffer_store_dword v10, off, s[0:3], s32 offset:752 ; 4-byte Folded Spill
	v_mul_f32_e32 v10, v27, v22
	v_bfe_u32 v11, v10, 16, 1
	v_or_b32_e32 v12, 0x400000, v10
	v_cmp_u_f32_e64 s4, v10, v10
	v_add3_u32 v11, v11, v10, 0x7fff
	v_cndmask_b32_e64 v10, v11, v12, s4
	v_lshrrev_b32_e32 v10, 16, v10
	buffer_store_dword v10, off, s[0:3], s32 offset:764 ; 4-byte Folded Spill
	s_and_saveexec_b32 s13, vcc_lo
	s_cbranch_execz .LBB399_3267
; %bb.3266:                             ;   in Loop: Header=BB399_2079 Depth=1
	buffer_load_dword v10, off, s[0:3], s32 offset:760 ; 4-byte Folded Reload
	v_cmp_lt_i32_e64 s4, v125, v124
	s_waitcnt vmcnt(0)
	v_cndmask_b32_e64 v10, 0, v10, s4
	v_cmp_lt_i32_e64 s4, v113, v124
	buffer_store_dword v10, off, s[0:3], s32 offset:760 ; 4-byte Folded Spill
	buffer_load_dword v10, off, s[0:3], s32 offset:756 ; 4-byte Folded Reload
	s_waitcnt vmcnt(0)
	v_cndmask_b32_e64 v10, 0, v10, s4
	v_cmp_lt_i32_e64 s4, v38, v124
	buffer_store_dword v10, off, s[0:3], s32 offset:756 ; 4-byte Folded Spill
	buffer_load_dword v10, off, s[0:3], s32 offset:748 ; 4-byte Folded Reload
	;; [unrolled: 5-line block ×7, first 2 shown]
	s_waitcnt vmcnt(0)
	v_cndmask_b32_e64 v10, 0, v10, s4
	buffer_store_dword v10, off, s[0:3], s32 offset:764 ; 4-byte Folded Spill
.LBB399_3267:                           ;   in Loop: Header=BB399_2079 Depth=1
	s_or_b32 exec_lo, exec_lo, s13
	flat_load_dwordx2 v[23:24], v[19:20] offset:512
	v_mov_b32_e32 v11, 0
	v_mov_b32_e32 v10, 0
	s_waitcnt vmcnt(0) lgkmcnt(0)
	v_cmp_ne_u16_sdwa s4, v23, v13 src0_sel:BYTE_0 src1_sel:DWORD
	s_and_saveexec_b32 s13, s4
	s_cbranch_execz .LBB399_3275
; %bb.3268:                             ;   in Loop: Header=BB399_2079 Depth=1
	v_cmp_ne_u16_sdwa s4, v23, v114 src0_sel:BYTE_0 src1_sel:DWORD
	v_bfrev_b32_e32 v10, 1
	s_and_saveexec_b32 s15, s4
	s_cbranch_execz .LBB399_3274
; %bb.3269:                             ;   in Loop: Header=BB399_2079 Depth=1
	v_and_b32_e32 v12, 0x7f, v23
	v_mov_b32_e32 v10, 0x7f800001
	s_mov_b32 s18, exec_lo
	v_cmpx_ne_u32_e32 0x7f, v12
	s_cbranch_execz .LBB399_3273
; %bb.3270:                             ;   in Loop: Header=BB399_2079 Depth=1
	v_mov_b32_e32 v26, v24
	v_lshrrev_b32_e32 v10, 3, v12
	v_mov_b32_e32 v25, v23
	s_mov_b32 s20, exec_lo
	v_cmpx_gt_u32_e32 8, v12
; %bb.3271:                             ;   in Loop: Header=BB399_2079 Depth=1
	v_and_b32_e32 v10, 7, v23
	v_ffbh_u32_e32 v10, v10
	v_min_u32_e32 v10, 32, v10
	v_subrev_nc_u32_e32 v12, 28, v10
	v_sub_nc_u32_e32 v10, 29, v10
	v_lshlrev_b64 v[25:26], v12, v[23:24]
; %bb.3272:                             ;   in Loop: Header=BB399_2079 Depth=1
	s_or_b32 exec_lo, exec_lo, s20
	v_lshlrev_b32_e32 v12, 20, v25
	v_lshlrev_b32_e32 v16, 24, v23
	v_lshl_add_u32 v10, v10, 23, 0x3c000000
	v_and_b32_e32 v12, 0x700000, v12
	v_and_b32_e32 v16, 0x80000000, v16
	v_or3_b32 v10, v12, v16, v10
.LBB399_3273:                           ;   in Loop: Header=BB399_2079 Depth=1
	s_or_b32 exec_lo, exec_lo, s18
.LBB399_3274:                           ;   in Loop: Header=BB399_2079 Depth=1
	s_or_b32 exec_lo, exec_lo, s15
.LBB399_3275:                           ;   in Loop: Header=BB399_2079 Depth=1
	s_or_b32 exec_lo, exec_lo, s13
	v_cmp_ne_u16_sdwa s4, v23, v13 src0_sel:BYTE_1 src1_sel:DWORD
	s_and_saveexec_b32 s13, s4
	s_cbranch_execz .LBB399_3283
; %bb.3276:                             ;   in Loop: Header=BB399_2079 Depth=1
	v_cmp_ne_u16_sdwa s4, v23, v114 src0_sel:BYTE_1 src1_sel:DWORD
	v_bfrev_b32_e32 v11, 1
	s_and_saveexec_b32 s15, s4
	s_cbranch_execz .LBB399_3282
; %bb.3277:                             ;   in Loop: Header=BB399_2079 Depth=1
	v_and_b32_sdwa v12, v112, v23 dst_sel:DWORD dst_unused:UNUSED_PAD src0_sel:DWORD src1_sel:BYTE_1
	v_mov_b32_e32 v11, 0x7f800001
	s_mov_b32 s18, exec_lo
	v_and_b32_e32 v16, 0x7f, v12
	v_cmpx_ne_u32_e32 0x7f, v16
	s_cbranch_execz .LBB399_3281
; %bb.3278:                             ;   in Loop: Header=BB399_2079 Depth=1
	v_and_b32_e32 v12, 7, v12
	v_mov_b32_e32 v26, v13
	v_lshrrev_b32_e32 v11, 3, v16
	s_mov_b32 s20, exec_lo
	v_mov_b32_e32 v25, v12
	v_cmpx_gt_u32_e32 8, v16
; %bb.3279:                             ;   in Loop: Header=BB399_2079 Depth=1
	v_ffbh_u32_e32 v11, v12
	v_min_u32_e32 v11, 32, v11
	v_subrev_nc_u32_e32 v16, 28, v11
	v_sub_nc_u32_e32 v11, 29, v11
	v_lshlrev_b64 v[21:22], v16, v[12:13]
	v_and_b32_e32 v25, 7, v21
; %bb.3280:                             ;   in Loop: Header=BB399_2079 Depth=1
	s_or_b32 exec_lo, exec_lo, s20
	v_lshlrev_b32_e32 v12, 16, v23
	v_lshlrev_b32_e32 v16, 20, v25
	v_lshl_add_u32 v11, v11, 23, 0x3c000000
	v_and_b32_e32 v12, 0x80000000, v12
	v_or3_b32 v11, v16, v12, v11
.LBB399_3281:                           ;   in Loop: Header=BB399_2079 Depth=1
	s_or_b32 exec_lo, exec_lo, s18
.LBB399_3282:                           ;   in Loop: Header=BB399_2079 Depth=1
	s_or_b32 exec_lo, exec_lo, s15
.LBB399_3283:                           ;   in Loop: Header=BB399_2079 Depth=1
	s_or_b32 exec_lo, exec_lo, s13
	v_and_b32_sdwa v12, v23, v116 dst_sel:DWORD dst_unused:UNUSED_PAD src0_sel:WORD_1 src1_sel:DWORD
	v_mov_b32_e32 v21, 0
	v_mov_b32_e32 v16, 0
	s_mov_b32 s13, exec_lo
	v_cmpx_ne_u16_e32 0, v12
	s_cbranch_execz .LBB399_3291
; %bb.3284:                             ;   in Loop: Header=BB399_2079 Depth=1
	v_bfrev_b32_e32 v16, 1
	s_mov_b32 s15, exec_lo
	v_cmpx_ne_u16_e32 0x80, v12
	s_cbranch_execz .LBB399_3290
; %bb.3285:                             ;   in Loop: Header=BB399_2079 Depth=1
	v_bfe_u32 v22, v23, 16, 7
	v_mov_b32_e32 v16, 0x7f800001
	s_mov_b32 s18, exec_lo
	v_cmpx_ne_u32_e32 0x7f, v22
	s_cbranch_execz .LBB399_3289
; %bb.3286:                             ;   in Loop: Header=BB399_2079 Depth=1
	v_and_b32_sdwa v12, v23, v115 dst_sel:DWORD dst_unused:UNUSED_PAD src0_sel:WORD_1 src1_sel:DWORD
	v_mov_b32_e32 v26, v13
	v_lshrrev_b32_e32 v16, 3, v22
	s_mov_b32 s20, exec_lo
	v_mov_b32_e32 v25, v12
	v_cmpx_gt_u32_e32 8, v22
; %bb.3287:                             ;   in Loop: Header=BB399_2079 Depth=1
	v_ffbh_u32_e32 v16, v12
	v_min_u32_e32 v16, 32, v16
	v_subrev_nc_u32_e32 v22, 28, v16
	v_sub_nc_u32_e32 v16, 29, v16
	v_lshlrev_b64 v[25:26], v22, v[12:13]
	v_and_b32_e32 v25, 7, v25
; %bb.3288:                             ;   in Loop: Header=BB399_2079 Depth=1
	s_or_b32 exec_lo, exec_lo, s20
	v_lshlrev_b32_sdwa v12, v39, v23 dst_sel:DWORD dst_unused:UNUSED_PAD src0_sel:DWORD src1_sel:WORD_1
	v_lshlrev_b32_e32 v22, 20, v25
	v_lshl_add_u32 v16, v16, 23, 0x3c000000
	v_and_b32_e32 v12, 0x80000000, v12
	v_or3_b32 v16, v22, v12, v16
.LBB399_3289:                           ;   in Loop: Header=BB399_2079 Depth=1
	s_or_b32 exec_lo, exec_lo, s18
.LBB399_3290:                           ;   in Loop: Header=BB399_2079 Depth=1
	s_or_b32 exec_lo, exec_lo, s15
.LBB399_3291:                           ;   in Loop: Header=BB399_2079 Depth=1
	s_or_b32 exec_lo, exec_lo, s13
	s_mov_b32 s13, exec_lo
	v_cmpx_lt_u32_e32 0xffffff, v23
	s_cbranch_execz .LBB399_3299
; %bb.3292:                             ;   in Loop: Header=BB399_2079 Depth=1
	v_cmp_ne_u32_sdwa s4, v23, v114 src0_sel:BYTE_3 src1_sel:DWORD
	v_bfrev_b32_e32 v21, 1
	s_and_saveexec_b32 s15, s4
	s_cbranch_execz .LBB399_3298
; %bb.3293:                             ;   in Loop: Header=BB399_2079 Depth=1
	v_bfe_u32 v22, v23, 24, 7
	v_mov_b32_e32 v21, 0x7f800001
	s_mov_b32 s18, exec_lo
	v_cmpx_ne_u32_e32 0x7f, v22
	s_cbranch_execz .LBB399_3297
; %bb.3294:                             ;   in Loop: Header=BB399_2079 Depth=1
	v_and_b32_sdwa v12, v23, v115 dst_sel:DWORD dst_unused:UNUSED_PAD src0_sel:BYTE_3 src1_sel:DWORD
	v_mov_b32_e32 v26, v13
	v_lshrrev_b32_e32 v21, 3, v22
	s_mov_b32 s20, exec_lo
	v_mov_b32_e32 v25, v12
	v_cmpx_gt_u32_e32 8, v22
; %bb.3295:                             ;   in Loop: Header=BB399_2079 Depth=1
	v_ffbh_u32_e32 v21, v12
	v_min_u32_e32 v21, 32, v21
	v_subrev_nc_u32_e32 v22, 28, v21
	v_sub_nc_u32_e32 v21, 29, v21
	v_lshlrev_b64 v[25:26], v22, v[12:13]
	v_and_b32_e32 v25, 7, v25
; %bb.3296:                             ;   in Loop: Header=BB399_2079 Depth=1
	s_or_b32 exec_lo, exec_lo, s20
	v_lshlrev_b32_sdwa v12, v39, v23 dst_sel:DWORD dst_unused:UNUSED_PAD src0_sel:DWORD src1_sel:BYTE_3
	v_lshlrev_b32_e32 v22, 20, v25
	v_lshl_add_u32 v21, v21, 23, 0x3c000000
	v_and_b32_e32 v12, 0x80000000, v12
	v_or3_b32 v21, v22, v12, v21
.LBB399_3297:                           ;   in Loop: Header=BB399_2079 Depth=1
	s_or_b32 exec_lo, exec_lo, s18
.LBB399_3298:                           ;   in Loop: Header=BB399_2079 Depth=1
	s_or_b32 exec_lo, exec_lo, s15
.LBB399_3299:                           ;   in Loop: Header=BB399_2079 Depth=1
	s_or_b32 exec_lo, exec_lo, s13
	v_mov_b32_e32 v12, v24
	v_cmp_ne_u16_sdwa s4, v24, v13 src0_sel:BYTE_0 src1_sel:DWORD
	v_mov_b32_e32 v30, 0
	v_mov_b32_e32 v29, 0
	s_and_saveexec_b32 s13, s4
	s_cbranch_execz .LBB399_3307
; %bb.3300:                             ;   in Loop: Header=BB399_2079 Depth=1
	v_cmp_ne_u16_sdwa s4, v24, v114 src0_sel:BYTE_0 src1_sel:DWORD
	v_bfrev_b32_e32 v29, 1
	s_and_saveexec_b32 s15, s4
	s_cbranch_execz .LBB399_3306
; %bb.3301:                             ;   in Loop: Header=BB399_2079 Depth=1
	v_and_b32_e32 v28, 0x7f, v24
	v_mov_b32_e32 v29, 0x7f800001
	s_mov_b32 s18, exec_lo
	v_cmpx_ne_u32_e32 0x7f, v28
	s_cbranch_execz .LBB399_3305
; %bb.3302:                             ;   in Loop: Header=BB399_2079 Depth=1
	v_mov_b32_e32 v26, v13
	v_mov_b32_e32 v25, v12
	v_lshrrev_b32_e32 v22, 3, v28
	s_mov_b32 s20, exec_lo
	v_cmpx_gt_u32_e32 8, v28
; %bb.3303:                             ;   in Loop: Header=BB399_2079 Depth=1
	v_and_b32_e32 v22, 7, v24
	v_ffbh_u32_e32 v22, v22
	v_min_u32_e32 v22, 32, v22
	v_subrev_nc_u32_e32 v25, 28, v22
	v_sub_nc_u32_e32 v22, 29, v22
	v_lshlrev_b64 v[25:26], v25, v[12:13]
; %bb.3304:                             ;   in Loop: Header=BB399_2079 Depth=1
	s_or_b32 exec_lo, exec_lo, s20
	v_lshlrev_b32_e32 v25, 20, v25
	v_lshlrev_b32_e32 v26, 24, v12
	v_lshl_add_u32 v22, v22, 23, 0x3c000000
	v_and_b32_e32 v25, 0x700000, v25
	v_and_b32_e32 v26, 0x80000000, v26
	v_or3_b32 v29, v25, v26, v22
.LBB399_3305:                           ;   in Loop: Header=BB399_2079 Depth=1
	s_or_b32 exec_lo, exec_lo, s18
.LBB399_3306:                           ;   in Loop: Header=BB399_2079 Depth=1
	s_or_b32 exec_lo, exec_lo, s15
.LBB399_3307:                           ;   in Loop: Header=BB399_2079 Depth=1
	s_or_b32 exec_lo, exec_lo, s13
	v_cmp_ne_u16_sdwa s4, v12, v13 src0_sel:BYTE_1 src1_sel:DWORD
	s_and_saveexec_b32 s13, s4
	s_cbranch_execz .LBB399_3315
; %bb.3308:                             ;   in Loop: Header=BB399_2079 Depth=1
	v_cmp_ne_u16_sdwa s4, v12, v114 src0_sel:BYTE_1 src1_sel:DWORD
	v_bfrev_b32_e32 v30, 1
	s_and_saveexec_b32 s15, s4
	s_cbranch_execz .LBB399_3314
; %bb.3309:                             ;   in Loop: Header=BB399_2079 Depth=1
	v_and_b32_sdwa v22, v112, v12 dst_sel:DWORD dst_unused:UNUSED_PAD src0_sel:DWORD src1_sel:BYTE_1
	v_mov_b32_e32 v30, 0x7f800001
	s_mov_b32 s18, exec_lo
	v_and_b32_e32 v28, 0x7f, v22
	v_cmpx_ne_u32_e32 0x7f, v28
	s_cbranch_execz .LBB399_3313
; %bb.3310:                             ;   in Loop: Header=BB399_2079 Depth=1
	v_and_b32_e32 v25, 7, v22
	v_mov_b32_e32 v26, v13
	v_lshrrev_b32_e32 v22, 3, v28
	s_mov_b32 s20, exec_lo
	v_cmpx_gt_u32_e32 8, v28
; %bb.3311:                             ;   in Loop: Header=BB399_2079 Depth=1
	v_ffbh_u32_e32 v22, v25
	v_min_u32_e32 v22, 32, v22
	v_subrev_nc_u32_e32 v28, 28, v22
	v_sub_nc_u32_e32 v22, 29, v22
	v_lshlrev_b64 v[25:26], v28, v[25:26]
	v_and_b32_e32 v25, 7, v25
; %bb.3312:                             ;   in Loop: Header=BB399_2079 Depth=1
	s_or_b32 exec_lo, exec_lo, s20
	v_lshlrev_b32_e32 v12, 16, v12
	v_lshlrev_b32_e32 v25, 20, v25
	v_lshl_add_u32 v22, v22, 23, 0x3c000000
	v_and_b32_e32 v12, 0x80000000, v12
	v_or3_b32 v30, v25, v12, v22
.LBB399_3313:                           ;   in Loop: Header=BB399_2079 Depth=1
	s_or_b32 exec_lo, exec_lo, s18
.LBB399_3314:                           ;   in Loop: Header=BB399_2079 Depth=1
	s_or_b32 exec_lo, exec_lo, s15
.LBB399_3315:                           ;   in Loop: Header=BB399_2079 Depth=1
	s_or_b32 exec_lo, exec_lo, s13
	v_and_b32_sdwa v12, v24, v116 dst_sel:DWORD dst_unused:UNUSED_PAD src0_sel:WORD_1 src1_sel:DWORD
	v_mov_b32_e32 v22, 0
	v_mov_b32_e32 v28, 0
	s_mov_b32 s13, exec_lo
	v_cmpx_ne_u16_e32 0, v12
	s_cbranch_execz .LBB399_3323
; %bb.3316:                             ;   in Loop: Header=BB399_2079 Depth=1
	v_bfrev_b32_e32 v28, 1
	s_mov_b32 s15, exec_lo
	v_cmpx_ne_u16_e32 0x80, v12
	s_cbranch_execz .LBB399_3322
; %bb.3317:                             ;   in Loop: Header=BB399_2079 Depth=1
	v_bfe_u32 v31, v24, 16, 7
	v_mov_b32_e32 v28, 0x7f800001
	s_mov_b32 s18, exec_lo
	v_cmpx_ne_u32_e32 0x7f, v31
	s_cbranch_execz .LBB399_3321
; %bb.3318:                             ;   in Loop: Header=BB399_2079 Depth=1
	v_and_b32_sdwa v12, v24, v115 dst_sel:DWORD dst_unused:UNUSED_PAD src0_sel:WORD_1 src1_sel:DWORD
	v_mov_b32_e32 v26, v13
	v_lshrrev_b32_e32 v26, 3, v31
	s_mov_b32 s20, exec_lo
	v_mov_b32_e32 v25, v12
	v_cmpx_gt_u32_e32 8, v31
; %bb.3319:                             ;   in Loop: Header=BB399_2079 Depth=1
	v_ffbh_u32_e32 v25, v12
	v_min_u32_e32 v28, 32, v25
	v_subrev_nc_u32_e32 v25, 28, v28
	v_lshlrev_b64 v[25:26], v25, v[12:13]
	v_sub_nc_u32_e32 v26, 29, v28
	v_and_b32_e32 v25, 7, v25
; %bb.3320:                             ;   in Loop: Header=BB399_2079 Depth=1
	s_or_b32 exec_lo, exec_lo, s20
	v_lshlrev_b32_sdwa v12, v39, v24 dst_sel:DWORD dst_unused:UNUSED_PAD src0_sel:DWORD src1_sel:WORD_1
	v_lshlrev_b32_e32 v25, 20, v25
	v_lshl_add_u32 v26, v26, 23, 0x3c000000
	v_and_b32_e32 v12, 0x80000000, v12
	v_or3_b32 v28, v25, v12, v26
.LBB399_3321:                           ;   in Loop: Header=BB399_2079 Depth=1
	s_or_b32 exec_lo, exec_lo, s18
.LBB399_3322:                           ;   in Loop: Header=BB399_2079 Depth=1
	s_or_b32 exec_lo, exec_lo, s15
.LBB399_3323:                           ;   in Loop: Header=BB399_2079 Depth=1
	s_or_b32 exec_lo, exec_lo, s13
	s_mov_b32 s13, exec_lo
	v_cmpx_lt_u64_e64 s[8:9], v[23:24]
	s_cbranch_execz .LBB399_3331
; %bb.3324:                             ;   in Loop: Header=BB399_2079 Depth=1
	v_cmp_ne_u32_sdwa s4, v24, v114 src0_sel:BYTE_3 src1_sel:DWORD
	v_bfrev_b32_e32 v22, 1
	s_and_saveexec_b32 s15, s4
	s_cbranch_execz .LBB399_3330
; %bb.3325:                             ;   in Loop: Header=BB399_2079 Depth=1
	v_bfe_u32 v23, v24, 24, 7
	v_mov_b32_e32 v22, 0x7f800001
	s_mov_b32 s18, exec_lo
	v_cmpx_ne_u32_e32 0x7f, v23
	s_cbranch_execz .LBB399_3329
; %bb.3326:                             ;   in Loop: Header=BB399_2079 Depth=1
	v_and_b32_sdwa v12, v24, v115 dst_sel:DWORD dst_unused:UNUSED_PAD src0_sel:BYTE_3 src1_sel:DWORD
	v_mov_b32_e32 v26, v13
	v_lshrrev_b32_e32 v22, 3, v23
	s_mov_b32 s20, exec_lo
	v_mov_b32_e32 v25, v12
	v_cmpx_gt_u32_e32 8, v23
; %bb.3327:                             ;   in Loop: Header=BB399_2079 Depth=1
	v_ffbh_u32_e32 v22, v12
	v_min_u32_e32 v22, 32, v22
	v_subrev_nc_u32_e32 v23, 28, v22
	v_sub_nc_u32_e32 v22, 29, v22
	v_lshlrev_b64 v[25:26], v23, v[12:13]
	v_and_b32_e32 v25, 7, v25
; %bb.3328:                             ;   in Loop: Header=BB399_2079 Depth=1
	s_or_b32 exec_lo, exec_lo, s20
	v_lshlrev_b32_sdwa v12, v39, v24 dst_sel:DWORD dst_unused:UNUSED_PAD src0_sel:DWORD src1_sel:BYTE_3
	v_lshlrev_b32_e32 v23, 20, v25
	v_lshl_add_u32 v22, v22, 23, 0x3c000000
	v_and_b32_e32 v12, 0x80000000, v12
	v_or3_b32 v22, v23, v12, v22
.LBB399_3329:                           ;   in Loop: Header=BB399_2079 Depth=1
	s_or_b32 exec_lo, exec_lo, s18
.LBB399_3330:                           ;   in Loop: Header=BB399_2079 Depth=1
	s_or_b32 exec_lo, exec_lo, s15
.LBB399_3331:                           ;   in Loop: Header=BB399_2079 Depth=1
	s_or_b32 exec_lo, exec_lo, s13
	v_mul_f32_e32 v12, v27, v30
	v_mul_f32_e32 v11, v27, v11
	;; [unrolled: 1-line block ×3, first 2 shown]
	v_bfe_u32 v23, v12, 16, 1
	v_or_b32_e32 v24, 0x400000, v12
	v_cmp_u_f32_e64 s4, v12, v12
	v_add3_u32 v23, v23, v12, 0x7fff
	v_cndmask_b32_e64 v12, v23, v24, s4
	v_lshrrev_b32_e32 v12, 16, v12
	buffer_store_dword v12, off, s[0:3], s32 offset:772 ; 4-byte Folded Spill
	v_mul_f32_e32 v12, v27, v29
	v_bfe_u32 v23, v12, 16, 1
	v_or_b32_e32 v24, 0x400000, v12
	v_cmp_u_f32_e64 s4, v12, v12
	v_add3_u32 v23, v23, v12, 0x7fff
	v_cndmask_b32_e64 v12, v23, v24, s4
	v_lshrrev_b32_e32 v12, 16, v12
	buffer_store_dword v12, off, s[0:3], s32 offset:776 ; 4-byte Folded Spill
	v_mul_f32_e32 v12, v27, v21
	;; [unrolled: 8-line block ×3, first 2 shown]
	v_bfe_u32 v16, v12, 16, 1
	v_or_b32_e32 v21, 0x400000, v12
	v_cmp_u_f32_e64 s4, v12, v12
	v_add3_u32 v16, v16, v12, 0x7fff
	v_cndmask_b32_e64 v12, v16, v21, s4
	v_or_b32_e32 v16, 0x400000, v11
	v_cmp_u_f32_e64 s4, v11, v11
	v_lshrrev_b32_e32 v12, 16, v12
	buffer_store_dword v12, off, s[0:3], s32 offset:784 ; 4-byte Folded Spill
	v_bfe_u32 v12, v11, 16, 1
	v_add3_u32 v12, v12, v11, 0x7fff
	v_cndmask_b32_e64 v11, v12, v16, s4
	v_or_b32_e32 v12, 0x400000, v10
	v_cmp_u_f32_e64 s4, v10, v10
	v_lshrrev_b32_e32 v11, 16, v11
	buffer_store_dword v11, off, s[0:3], s32 offset:792 ; 4-byte Folded Spill
	v_bfe_u32 v11, v10, 16, 1
	v_add3_u32 v11, v11, v10, 0x7fff
	v_cndmask_b32_e64 v10, v11, v12, s4
	v_lshrrev_b32_e32 v10, 16, v10
	buffer_store_dword v10, off, s[0:3], s32 offset:796 ; 4-byte Folded Spill
	v_mul_f32_e32 v10, v27, v28
	v_bfe_u32 v11, v10, 16, 1
	v_or_b32_e32 v12, 0x400000, v10
	v_cmp_u_f32_e64 s4, v10, v10
	v_add3_u32 v11, v11, v10, 0x7fff
	v_cndmask_b32_e64 v10, v11, v12, s4
	v_lshrrev_b32_e32 v10, 16, v10
	buffer_store_dword v10, off, s[0:3], s32 offset:788 ; 4-byte Folded Spill
	v_mul_f32_e32 v10, v27, v22
	v_bfe_u32 v11, v10, 16, 1
	v_or_b32_e32 v12, 0x400000, v10
	v_cmp_u_f32_e64 s4, v10, v10
	v_add3_u32 v11, v11, v10, 0x7fff
	v_cndmask_b32_e64 v10, v11, v12, s4
	v_lshrrev_b32_e32 v10, 16, v10
	buffer_store_dword v10, off, s[0:3], s32 offset:800 ; 4-byte Folded Spill
	s_and_saveexec_b32 s13, vcc_lo
	s_cbranch_execz .LBB399_3333
; %bb.3332:                             ;   in Loop: Header=BB399_2079 Depth=1
	buffer_load_dword v10, off, s[0:3], s32 offset:796 ; 4-byte Folded Reload
	v_cmp_lt_i32_e64 s4, v125, v124
	s_waitcnt vmcnt(0)
	v_cndmask_b32_e64 v10, 0, v10, s4
	v_cmp_lt_i32_e64 s4, v113, v124
	buffer_store_dword v10, off, s[0:3], s32 offset:796 ; 4-byte Folded Spill
	buffer_load_dword v10, off, s[0:3], s32 offset:792 ; 4-byte Folded Reload
	s_waitcnt vmcnt(0)
	v_cndmask_b32_e64 v10, 0, v10, s4
	v_cmp_lt_i32_e64 s4, v38, v124
	buffer_store_dword v10, off, s[0:3], s32 offset:792 ; 4-byte Folded Spill
	buffer_load_dword v10, off, s[0:3], s32 offset:784 ; 4-byte Folded Reload
	;; [unrolled: 5-line block ×7, first 2 shown]
	s_waitcnt vmcnt(0)
	v_cndmask_b32_e64 v10, 0, v10, s4
	buffer_store_dword v10, off, s[0:3], s32 offset:800 ; 4-byte Folded Spill
.LBB399_3333:                           ;   in Loop: Header=BB399_2079 Depth=1
	s_or_b32 exec_lo, exec_lo, s13
	flat_load_dwordx2 v[23:24], v[19:20] offset:768
	v_mov_b32_e32 v11, 0
	v_mov_b32_e32 v10, 0
	s_waitcnt vmcnt(0) lgkmcnt(0)
	v_cmp_ne_u16_sdwa s4, v23, v13 src0_sel:BYTE_0 src1_sel:DWORD
	s_and_saveexec_b32 s13, s4
	s_cbranch_execz .LBB399_3341
; %bb.3334:                             ;   in Loop: Header=BB399_2079 Depth=1
	v_cmp_ne_u16_sdwa s4, v23, v114 src0_sel:BYTE_0 src1_sel:DWORD
	v_bfrev_b32_e32 v10, 1
	s_and_saveexec_b32 s15, s4
	s_cbranch_execz .LBB399_3340
; %bb.3335:                             ;   in Loop: Header=BB399_2079 Depth=1
	v_and_b32_e32 v12, 0x7f, v23
	v_mov_b32_e32 v10, 0x7f800001
	s_mov_b32 s18, exec_lo
	v_cmpx_ne_u32_e32 0x7f, v12
	s_cbranch_execz .LBB399_3339
; %bb.3336:                             ;   in Loop: Header=BB399_2079 Depth=1
	v_mov_b32_e32 v26, v24
	v_lshrrev_b32_e32 v10, 3, v12
	v_mov_b32_e32 v25, v23
	s_mov_b32 s20, exec_lo
	v_cmpx_gt_u32_e32 8, v12
; %bb.3337:                             ;   in Loop: Header=BB399_2079 Depth=1
	v_and_b32_e32 v10, 7, v23
	v_ffbh_u32_e32 v10, v10
	v_min_u32_e32 v10, 32, v10
	v_subrev_nc_u32_e32 v12, 28, v10
	v_sub_nc_u32_e32 v10, 29, v10
	v_lshlrev_b64 v[25:26], v12, v[23:24]
; %bb.3338:                             ;   in Loop: Header=BB399_2079 Depth=1
	s_or_b32 exec_lo, exec_lo, s20
	v_lshlrev_b32_e32 v12, 20, v25
	v_lshlrev_b32_e32 v16, 24, v23
	v_lshl_add_u32 v10, v10, 23, 0x3c000000
	v_and_b32_e32 v12, 0x700000, v12
	v_and_b32_e32 v16, 0x80000000, v16
	v_or3_b32 v10, v12, v16, v10
.LBB399_3339:                           ;   in Loop: Header=BB399_2079 Depth=1
	s_or_b32 exec_lo, exec_lo, s18
.LBB399_3340:                           ;   in Loop: Header=BB399_2079 Depth=1
	s_or_b32 exec_lo, exec_lo, s15
.LBB399_3341:                           ;   in Loop: Header=BB399_2079 Depth=1
	s_or_b32 exec_lo, exec_lo, s13
	v_cmp_ne_u16_sdwa s4, v23, v13 src0_sel:BYTE_1 src1_sel:DWORD
	s_and_saveexec_b32 s13, s4
	s_cbranch_execz .LBB399_3349
; %bb.3342:                             ;   in Loop: Header=BB399_2079 Depth=1
	v_cmp_ne_u16_sdwa s4, v23, v114 src0_sel:BYTE_1 src1_sel:DWORD
	v_bfrev_b32_e32 v11, 1
	s_and_saveexec_b32 s15, s4
	s_cbranch_execz .LBB399_3348
; %bb.3343:                             ;   in Loop: Header=BB399_2079 Depth=1
	v_and_b32_sdwa v12, v112, v23 dst_sel:DWORD dst_unused:UNUSED_PAD src0_sel:DWORD src1_sel:BYTE_1
	v_mov_b32_e32 v11, 0x7f800001
	s_mov_b32 s18, exec_lo
	v_and_b32_e32 v16, 0x7f, v12
	v_cmpx_ne_u32_e32 0x7f, v16
	s_cbranch_execz .LBB399_3347
; %bb.3344:                             ;   in Loop: Header=BB399_2079 Depth=1
	v_and_b32_e32 v12, 7, v12
	v_mov_b32_e32 v26, v13
	v_lshrrev_b32_e32 v11, 3, v16
	s_mov_b32 s20, exec_lo
	v_mov_b32_e32 v25, v12
	v_cmpx_gt_u32_e32 8, v16
; %bb.3345:                             ;   in Loop: Header=BB399_2079 Depth=1
	v_ffbh_u32_e32 v11, v12
	v_min_u32_e32 v11, 32, v11
	v_subrev_nc_u32_e32 v16, 28, v11
	v_sub_nc_u32_e32 v11, 29, v11
	v_lshlrev_b64 v[21:22], v16, v[12:13]
	v_and_b32_e32 v25, 7, v21
; %bb.3346:                             ;   in Loop: Header=BB399_2079 Depth=1
	s_or_b32 exec_lo, exec_lo, s20
	v_lshlrev_b32_e32 v12, 16, v23
	v_lshlrev_b32_e32 v16, 20, v25
	v_lshl_add_u32 v11, v11, 23, 0x3c000000
	v_and_b32_e32 v12, 0x80000000, v12
	v_or3_b32 v11, v16, v12, v11
.LBB399_3347:                           ;   in Loop: Header=BB399_2079 Depth=1
	s_or_b32 exec_lo, exec_lo, s18
.LBB399_3348:                           ;   in Loop: Header=BB399_2079 Depth=1
	s_or_b32 exec_lo, exec_lo, s15
.LBB399_3349:                           ;   in Loop: Header=BB399_2079 Depth=1
	s_or_b32 exec_lo, exec_lo, s13
	v_and_b32_sdwa v12, v23, v116 dst_sel:DWORD dst_unused:UNUSED_PAD src0_sel:WORD_1 src1_sel:DWORD
	v_mov_b32_e32 v21, 0
	v_mov_b32_e32 v16, 0
	s_mov_b32 s13, exec_lo
	v_cmpx_ne_u16_e32 0, v12
	s_cbranch_execz .LBB399_3357
; %bb.3350:                             ;   in Loop: Header=BB399_2079 Depth=1
	v_bfrev_b32_e32 v16, 1
	s_mov_b32 s15, exec_lo
	v_cmpx_ne_u16_e32 0x80, v12
	s_cbranch_execz .LBB399_3356
; %bb.3351:                             ;   in Loop: Header=BB399_2079 Depth=1
	v_bfe_u32 v22, v23, 16, 7
	v_mov_b32_e32 v16, 0x7f800001
	s_mov_b32 s18, exec_lo
	v_cmpx_ne_u32_e32 0x7f, v22
	s_cbranch_execz .LBB399_3355
; %bb.3352:                             ;   in Loop: Header=BB399_2079 Depth=1
	v_and_b32_sdwa v12, v23, v115 dst_sel:DWORD dst_unused:UNUSED_PAD src0_sel:WORD_1 src1_sel:DWORD
	v_mov_b32_e32 v26, v13
	v_lshrrev_b32_e32 v16, 3, v22
	s_mov_b32 s20, exec_lo
	v_mov_b32_e32 v25, v12
	v_cmpx_gt_u32_e32 8, v22
; %bb.3353:                             ;   in Loop: Header=BB399_2079 Depth=1
	v_ffbh_u32_e32 v16, v12
	v_min_u32_e32 v16, 32, v16
	v_subrev_nc_u32_e32 v22, 28, v16
	v_sub_nc_u32_e32 v16, 29, v16
	v_lshlrev_b64 v[25:26], v22, v[12:13]
	v_and_b32_e32 v25, 7, v25
; %bb.3354:                             ;   in Loop: Header=BB399_2079 Depth=1
	s_or_b32 exec_lo, exec_lo, s20
	v_lshlrev_b32_sdwa v12, v39, v23 dst_sel:DWORD dst_unused:UNUSED_PAD src0_sel:DWORD src1_sel:WORD_1
	v_lshlrev_b32_e32 v22, 20, v25
	v_lshl_add_u32 v16, v16, 23, 0x3c000000
	v_and_b32_e32 v12, 0x80000000, v12
	v_or3_b32 v16, v22, v12, v16
.LBB399_3355:                           ;   in Loop: Header=BB399_2079 Depth=1
	s_or_b32 exec_lo, exec_lo, s18
.LBB399_3356:                           ;   in Loop: Header=BB399_2079 Depth=1
	s_or_b32 exec_lo, exec_lo, s15
.LBB399_3357:                           ;   in Loop: Header=BB399_2079 Depth=1
	s_or_b32 exec_lo, exec_lo, s13
	s_mov_b32 s13, exec_lo
	v_cmpx_lt_u32_e32 0xffffff, v23
	s_cbranch_execz .LBB399_3365
; %bb.3358:                             ;   in Loop: Header=BB399_2079 Depth=1
	v_cmp_ne_u32_sdwa s4, v23, v114 src0_sel:BYTE_3 src1_sel:DWORD
	v_bfrev_b32_e32 v21, 1
	s_and_saveexec_b32 s15, s4
	s_cbranch_execz .LBB399_3364
; %bb.3359:                             ;   in Loop: Header=BB399_2079 Depth=1
	v_bfe_u32 v22, v23, 24, 7
	v_mov_b32_e32 v21, 0x7f800001
	s_mov_b32 s18, exec_lo
	v_cmpx_ne_u32_e32 0x7f, v22
	s_cbranch_execz .LBB399_3363
; %bb.3360:                             ;   in Loop: Header=BB399_2079 Depth=1
	v_and_b32_sdwa v12, v23, v115 dst_sel:DWORD dst_unused:UNUSED_PAD src0_sel:BYTE_3 src1_sel:DWORD
	v_mov_b32_e32 v26, v13
	v_lshrrev_b32_e32 v21, 3, v22
	s_mov_b32 s20, exec_lo
	v_mov_b32_e32 v25, v12
	v_cmpx_gt_u32_e32 8, v22
; %bb.3361:                             ;   in Loop: Header=BB399_2079 Depth=1
	v_ffbh_u32_e32 v21, v12
	v_min_u32_e32 v21, 32, v21
	v_subrev_nc_u32_e32 v22, 28, v21
	v_sub_nc_u32_e32 v21, 29, v21
	v_lshlrev_b64 v[25:26], v22, v[12:13]
	v_and_b32_e32 v25, 7, v25
; %bb.3362:                             ;   in Loop: Header=BB399_2079 Depth=1
	s_or_b32 exec_lo, exec_lo, s20
	v_lshlrev_b32_sdwa v12, v39, v23 dst_sel:DWORD dst_unused:UNUSED_PAD src0_sel:DWORD src1_sel:BYTE_3
	v_lshlrev_b32_e32 v22, 20, v25
	v_lshl_add_u32 v21, v21, 23, 0x3c000000
	v_and_b32_e32 v12, 0x80000000, v12
	v_or3_b32 v21, v22, v12, v21
.LBB399_3363:                           ;   in Loop: Header=BB399_2079 Depth=1
	s_or_b32 exec_lo, exec_lo, s18
.LBB399_3364:                           ;   in Loop: Header=BB399_2079 Depth=1
	s_or_b32 exec_lo, exec_lo, s15
.LBB399_3365:                           ;   in Loop: Header=BB399_2079 Depth=1
	s_or_b32 exec_lo, exec_lo, s13
	v_mov_b32_e32 v12, v24
	v_cmp_ne_u16_sdwa s4, v24, v13 src0_sel:BYTE_0 src1_sel:DWORD
	v_mov_b32_e32 v30, 0
	v_mov_b32_e32 v29, 0
	s_and_saveexec_b32 s13, s4
	s_cbranch_execz .LBB399_3373
; %bb.3366:                             ;   in Loop: Header=BB399_2079 Depth=1
	v_cmp_ne_u16_sdwa s4, v24, v114 src0_sel:BYTE_0 src1_sel:DWORD
	v_bfrev_b32_e32 v29, 1
	s_and_saveexec_b32 s15, s4
	s_cbranch_execz .LBB399_3372
; %bb.3367:                             ;   in Loop: Header=BB399_2079 Depth=1
	v_and_b32_e32 v28, 0x7f, v24
	v_mov_b32_e32 v29, 0x7f800001
	s_mov_b32 s18, exec_lo
	v_cmpx_ne_u32_e32 0x7f, v28
	s_cbranch_execz .LBB399_3371
; %bb.3368:                             ;   in Loop: Header=BB399_2079 Depth=1
	v_mov_b32_e32 v26, v13
	v_mov_b32_e32 v25, v12
	v_lshrrev_b32_e32 v22, 3, v28
	s_mov_b32 s20, exec_lo
	v_cmpx_gt_u32_e32 8, v28
; %bb.3369:                             ;   in Loop: Header=BB399_2079 Depth=1
	v_and_b32_e32 v22, 7, v24
	v_ffbh_u32_e32 v22, v22
	v_min_u32_e32 v22, 32, v22
	v_subrev_nc_u32_e32 v25, 28, v22
	v_sub_nc_u32_e32 v22, 29, v22
	v_lshlrev_b64 v[25:26], v25, v[12:13]
; %bb.3370:                             ;   in Loop: Header=BB399_2079 Depth=1
	s_or_b32 exec_lo, exec_lo, s20
	v_lshlrev_b32_e32 v25, 20, v25
	v_lshlrev_b32_e32 v26, 24, v12
	v_lshl_add_u32 v22, v22, 23, 0x3c000000
	v_and_b32_e32 v25, 0x700000, v25
	v_and_b32_e32 v26, 0x80000000, v26
	v_or3_b32 v29, v25, v26, v22
.LBB399_3371:                           ;   in Loop: Header=BB399_2079 Depth=1
	s_or_b32 exec_lo, exec_lo, s18
.LBB399_3372:                           ;   in Loop: Header=BB399_2079 Depth=1
	s_or_b32 exec_lo, exec_lo, s15
.LBB399_3373:                           ;   in Loop: Header=BB399_2079 Depth=1
	s_or_b32 exec_lo, exec_lo, s13
	v_cmp_ne_u16_sdwa s4, v12, v13 src0_sel:BYTE_1 src1_sel:DWORD
	s_and_saveexec_b32 s13, s4
	s_cbranch_execz .LBB399_3381
; %bb.3374:                             ;   in Loop: Header=BB399_2079 Depth=1
	v_cmp_ne_u16_sdwa s4, v12, v114 src0_sel:BYTE_1 src1_sel:DWORD
	v_bfrev_b32_e32 v30, 1
	s_and_saveexec_b32 s15, s4
	s_cbranch_execz .LBB399_3380
; %bb.3375:                             ;   in Loop: Header=BB399_2079 Depth=1
	v_and_b32_sdwa v22, v112, v12 dst_sel:DWORD dst_unused:UNUSED_PAD src0_sel:DWORD src1_sel:BYTE_1
	v_mov_b32_e32 v30, 0x7f800001
	s_mov_b32 s18, exec_lo
	v_and_b32_e32 v28, 0x7f, v22
	v_cmpx_ne_u32_e32 0x7f, v28
	s_cbranch_execz .LBB399_3379
; %bb.3376:                             ;   in Loop: Header=BB399_2079 Depth=1
	v_and_b32_e32 v25, 7, v22
	v_mov_b32_e32 v26, v13
	v_lshrrev_b32_e32 v22, 3, v28
	s_mov_b32 s20, exec_lo
	v_cmpx_gt_u32_e32 8, v28
; %bb.3377:                             ;   in Loop: Header=BB399_2079 Depth=1
	v_ffbh_u32_e32 v22, v25
	v_min_u32_e32 v22, 32, v22
	v_subrev_nc_u32_e32 v28, 28, v22
	v_sub_nc_u32_e32 v22, 29, v22
	v_lshlrev_b64 v[25:26], v28, v[25:26]
	v_and_b32_e32 v25, 7, v25
; %bb.3378:                             ;   in Loop: Header=BB399_2079 Depth=1
	s_or_b32 exec_lo, exec_lo, s20
	v_lshlrev_b32_e32 v12, 16, v12
	v_lshlrev_b32_e32 v25, 20, v25
	v_lshl_add_u32 v22, v22, 23, 0x3c000000
	v_and_b32_e32 v12, 0x80000000, v12
	v_or3_b32 v30, v25, v12, v22
.LBB399_3379:                           ;   in Loop: Header=BB399_2079 Depth=1
	s_or_b32 exec_lo, exec_lo, s18
.LBB399_3380:                           ;   in Loop: Header=BB399_2079 Depth=1
	s_or_b32 exec_lo, exec_lo, s15
.LBB399_3381:                           ;   in Loop: Header=BB399_2079 Depth=1
	s_or_b32 exec_lo, exec_lo, s13
	v_and_b32_sdwa v12, v24, v116 dst_sel:DWORD dst_unused:UNUSED_PAD src0_sel:WORD_1 src1_sel:DWORD
	v_mov_b32_e32 v22, 0
	v_mov_b32_e32 v28, 0
	s_mov_b32 s13, exec_lo
	v_cmpx_ne_u16_e32 0, v12
	s_cbranch_execz .LBB399_3389
; %bb.3382:                             ;   in Loop: Header=BB399_2079 Depth=1
	v_bfrev_b32_e32 v28, 1
	s_mov_b32 s15, exec_lo
	v_cmpx_ne_u16_e32 0x80, v12
	s_cbranch_execz .LBB399_3388
; %bb.3383:                             ;   in Loop: Header=BB399_2079 Depth=1
	v_bfe_u32 v31, v24, 16, 7
	v_mov_b32_e32 v28, 0x7f800001
	s_mov_b32 s18, exec_lo
	v_cmpx_ne_u32_e32 0x7f, v31
	s_cbranch_execz .LBB399_3387
; %bb.3384:                             ;   in Loop: Header=BB399_2079 Depth=1
	v_and_b32_sdwa v12, v24, v115 dst_sel:DWORD dst_unused:UNUSED_PAD src0_sel:WORD_1 src1_sel:DWORD
	v_mov_b32_e32 v26, v13
	v_lshrrev_b32_e32 v26, 3, v31
	s_mov_b32 s20, exec_lo
	v_mov_b32_e32 v25, v12
	v_cmpx_gt_u32_e32 8, v31
; %bb.3385:                             ;   in Loop: Header=BB399_2079 Depth=1
	v_ffbh_u32_e32 v25, v12
	v_min_u32_e32 v28, 32, v25
	v_subrev_nc_u32_e32 v25, 28, v28
	v_lshlrev_b64 v[25:26], v25, v[12:13]
	v_sub_nc_u32_e32 v26, 29, v28
	v_and_b32_e32 v25, 7, v25
; %bb.3386:                             ;   in Loop: Header=BB399_2079 Depth=1
	s_or_b32 exec_lo, exec_lo, s20
	v_lshlrev_b32_sdwa v12, v39, v24 dst_sel:DWORD dst_unused:UNUSED_PAD src0_sel:DWORD src1_sel:WORD_1
	v_lshlrev_b32_e32 v25, 20, v25
	v_lshl_add_u32 v26, v26, 23, 0x3c000000
	v_and_b32_e32 v12, 0x80000000, v12
	v_or3_b32 v28, v25, v12, v26
.LBB399_3387:                           ;   in Loop: Header=BB399_2079 Depth=1
	s_or_b32 exec_lo, exec_lo, s18
.LBB399_3388:                           ;   in Loop: Header=BB399_2079 Depth=1
	s_or_b32 exec_lo, exec_lo, s15
.LBB399_3389:                           ;   in Loop: Header=BB399_2079 Depth=1
	s_or_b32 exec_lo, exec_lo, s13
	s_mov_b32 s13, exec_lo
	v_cmpx_lt_u64_e64 s[8:9], v[23:24]
	s_cbranch_execz .LBB399_3397
; %bb.3390:                             ;   in Loop: Header=BB399_2079 Depth=1
	v_cmp_ne_u32_sdwa s4, v24, v114 src0_sel:BYTE_3 src1_sel:DWORD
	v_bfrev_b32_e32 v22, 1
	s_and_saveexec_b32 s15, s4
	s_cbranch_execz .LBB399_3396
; %bb.3391:                             ;   in Loop: Header=BB399_2079 Depth=1
	v_bfe_u32 v23, v24, 24, 7
	v_mov_b32_e32 v22, 0x7f800001
	s_mov_b32 s18, exec_lo
	v_cmpx_ne_u32_e32 0x7f, v23
	s_cbranch_execz .LBB399_3395
; %bb.3392:                             ;   in Loop: Header=BB399_2079 Depth=1
	v_and_b32_sdwa v12, v24, v115 dst_sel:DWORD dst_unused:UNUSED_PAD src0_sel:BYTE_3 src1_sel:DWORD
	v_mov_b32_e32 v26, v13
	v_lshrrev_b32_e32 v22, 3, v23
	s_mov_b32 s20, exec_lo
	v_mov_b32_e32 v25, v12
	v_cmpx_gt_u32_e32 8, v23
; %bb.3393:                             ;   in Loop: Header=BB399_2079 Depth=1
	v_ffbh_u32_e32 v22, v12
	v_min_u32_e32 v22, 32, v22
	v_subrev_nc_u32_e32 v23, 28, v22
	v_sub_nc_u32_e32 v22, 29, v22
	v_lshlrev_b64 v[25:26], v23, v[12:13]
	v_and_b32_e32 v25, 7, v25
; %bb.3394:                             ;   in Loop: Header=BB399_2079 Depth=1
	s_or_b32 exec_lo, exec_lo, s20
	v_lshlrev_b32_sdwa v12, v39, v24 dst_sel:DWORD dst_unused:UNUSED_PAD src0_sel:DWORD src1_sel:BYTE_3
	v_lshlrev_b32_e32 v23, 20, v25
	v_lshl_add_u32 v22, v22, 23, 0x3c000000
	v_and_b32_e32 v12, 0x80000000, v12
	v_or3_b32 v22, v23, v12, v22
.LBB399_3395:                           ;   in Loop: Header=BB399_2079 Depth=1
	s_or_b32 exec_lo, exec_lo, s18
.LBB399_3396:                           ;   in Loop: Header=BB399_2079 Depth=1
	s_or_b32 exec_lo, exec_lo, s15
.LBB399_3397:                           ;   in Loop: Header=BB399_2079 Depth=1
	s_or_b32 exec_lo, exec_lo, s13
	v_mul_f32_e32 v12, v27, v30
	v_mul_f32_e32 v11, v27, v11
	;; [unrolled: 1-line block ×3, first 2 shown]
	v_bfe_u32 v23, v12, 16, 1
	v_or_b32_e32 v24, 0x400000, v12
	v_cmp_u_f32_e64 s4, v12, v12
	v_add3_u32 v23, v23, v12, 0x7fff
	v_cndmask_b32_e64 v12, v23, v24, s4
	v_lshrrev_b32_e32 v12, 16, v12
	buffer_store_dword v12, off, s[0:3], s32 offset:804 ; 4-byte Folded Spill
	v_mul_f32_e32 v12, v27, v29
	v_bfe_u32 v23, v12, 16, 1
	v_or_b32_e32 v24, 0x400000, v12
	v_cmp_u_f32_e64 s4, v12, v12
	v_add3_u32 v23, v23, v12, 0x7fff
	v_cndmask_b32_e64 v12, v23, v24, s4
	v_lshrrev_b32_e32 v12, 16, v12
	buffer_store_dword v12, off, s[0:3], s32 offset:808 ; 4-byte Folded Spill
	v_mul_f32_e32 v12, v27, v21
	;; [unrolled: 8-line block ×3, first 2 shown]
	v_bfe_u32 v16, v12, 16, 1
	v_or_b32_e32 v21, 0x400000, v12
	v_cmp_u_f32_e64 s4, v12, v12
	v_add3_u32 v16, v16, v12, 0x7fff
	v_cndmask_b32_e64 v12, v16, v21, s4
	v_or_b32_e32 v16, 0x400000, v11
	v_cmp_u_f32_e64 s4, v11, v11
	v_lshrrev_b32_e32 v12, 16, v12
	buffer_store_dword v12, off, s[0:3], s32 offset:816 ; 4-byte Folded Spill
	v_bfe_u32 v12, v11, 16, 1
	v_add3_u32 v12, v12, v11, 0x7fff
	v_cndmask_b32_e64 v11, v12, v16, s4
	v_or_b32_e32 v12, 0x400000, v10
	v_cmp_u_f32_e64 s4, v10, v10
	v_lshrrev_b32_e32 v11, 16, v11
	buffer_store_dword v11, off, s[0:3], s32 offset:824 ; 4-byte Folded Spill
	v_bfe_u32 v11, v10, 16, 1
	v_add3_u32 v11, v11, v10, 0x7fff
	v_cndmask_b32_e64 v10, v11, v12, s4
	v_lshrrev_b32_e32 v10, 16, v10
	buffer_store_dword v10, off, s[0:3], s32 offset:828 ; 4-byte Folded Spill
	v_mul_f32_e32 v10, v27, v28
	v_bfe_u32 v11, v10, 16, 1
	v_or_b32_e32 v12, 0x400000, v10
	v_cmp_u_f32_e64 s4, v10, v10
	v_add3_u32 v11, v11, v10, 0x7fff
	v_cndmask_b32_e64 v10, v11, v12, s4
	v_lshrrev_b32_e32 v10, 16, v10
	buffer_store_dword v10, off, s[0:3], s32 offset:820 ; 4-byte Folded Spill
	v_mul_f32_e32 v10, v27, v22
	v_bfe_u32 v11, v10, 16, 1
	v_or_b32_e32 v12, 0x400000, v10
	v_cmp_u_f32_e64 s4, v10, v10
	v_add3_u32 v11, v11, v10, 0x7fff
	v_cndmask_b32_e64 v10, v11, v12, s4
	v_lshrrev_b32_e32 v108, 16, v10
	s_and_saveexec_b32 s13, vcc_lo
	s_cbranch_execz .LBB399_3399
; %bb.3398:                             ;   in Loop: Header=BB399_2079 Depth=1
	buffer_load_dword v10, off, s[0:3], s32 offset:828 ; 4-byte Folded Reload
	v_cmp_lt_i32_e64 s4, v125, v124
	s_waitcnt vmcnt(0)
	v_cndmask_b32_e64 v10, 0, v10, s4
	v_cmp_lt_i32_e64 s4, v113, v124
	buffer_store_dword v10, off, s[0:3], s32 offset:828 ; 4-byte Folded Spill
	buffer_load_dword v10, off, s[0:3], s32 offset:824 ; 4-byte Folded Reload
	s_waitcnt vmcnt(0)
	v_cndmask_b32_e64 v10, 0, v10, s4
	v_cmp_lt_i32_e64 s4, v38, v124
	buffer_store_dword v10, off, s[0:3], s32 offset:824 ; 4-byte Folded Spill
	buffer_load_dword v10, off, s[0:3], s32 offset:816 ; 4-byte Folded Reload
	;; [unrolled: 5-line block ×6, first 2 shown]
	s_waitcnt vmcnt(0)
	v_cndmask_b32_e64 v10, 0, v10, s4
	v_cmp_lt_i32_e64 s4, v42, v124
	buffer_store_dword v10, off, s[0:3], s32 offset:820 ; 4-byte Folded Spill
	v_cndmask_b32_e64 v108, 0, v108, s4
.LBB399_3399:                           ;   in Loop: Header=BB399_2079 Depth=1
	s_or_b32 exec_lo, exec_lo, s13
	flat_load_dwordx2 v[23:24], v[19:20] offset:1024
	v_mov_b32_e32 v11, 0
	v_mov_b32_e32 v10, 0
	s_waitcnt vmcnt(0) lgkmcnt(0)
	v_cmp_ne_u16_sdwa s4, v23, v13 src0_sel:BYTE_0 src1_sel:DWORD
	s_and_saveexec_b32 s13, s4
	s_cbranch_execz .LBB399_3407
; %bb.3400:                             ;   in Loop: Header=BB399_2079 Depth=1
	v_cmp_ne_u16_sdwa s4, v23, v114 src0_sel:BYTE_0 src1_sel:DWORD
	v_bfrev_b32_e32 v10, 1
	s_and_saveexec_b32 s15, s4
	s_cbranch_execz .LBB399_3406
; %bb.3401:                             ;   in Loop: Header=BB399_2079 Depth=1
	v_and_b32_e32 v12, 0x7f, v23
	v_mov_b32_e32 v10, 0x7f800001
	s_mov_b32 s18, exec_lo
	v_cmpx_ne_u32_e32 0x7f, v12
	s_cbranch_execz .LBB399_3405
; %bb.3402:                             ;   in Loop: Header=BB399_2079 Depth=1
	v_mov_b32_e32 v26, v24
	v_lshrrev_b32_e32 v10, 3, v12
	v_mov_b32_e32 v25, v23
	s_mov_b32 s20, exec_lo
	v_cmpx_gt_u32_e32 8, v12
; %bb.3403:                             ;   in Loop: Header=BB399_2079 Depth=1
	v_and_b32_e32 v10, 7, v23
	v_ffbh_u32_e32 v10, v10
	v_min_u32_e32 v10, 32, v10
	v_subrev_nc_u32_e32 v12, 28, v10
	v_sub_nc_u32_e32 v10, 29, v10
	v_lshlrev_b64 v[25:26], v12, v[23:24]
; %bb.3404:                             ;   in Loop: Header=BB399_2079 Depth=1
	s_or_b32 exec_lo, exec_lo, s20
	v_lshlrev_b32_e32 v12, 20, v25
	v_lshlrev_b32_e32 v16, 24, v23
	v_lshl_add_u32 v10, v10, 23, 0x3c000000
	v_and_b32_e32 v12, 0x700000, v12
	v_and_b32_e32 v16, 0x80000000, v16
	v_or3_b32 v10, v12, v16, v10
.LBB399_3405:                           ;   in Loop: Header=BB399_2079 Depth=1
	s_or_b32 exec_lo, exec_lo, s18
.LBB399_3406:                           ;   in Loop: Header=BB399_2079 Depth=1
	s_or_b32 exec_lo, exec_lo, s15
.LBB399_3407:                           ;   in Loop: Header=BB399_2079 Depth=1
	s_or_b32 exec_lo, exec_lo, s13
	v_cmp_ne_u16_sdwa s4, v23, v13 src0_sel:BYTE_1 src1_sel:DWORD
	s_and_saveexec_b32 s13, s4
	s_cbranch_execz .LBB399_3415
; %bb.3408:                             ;   in Loop: Header=BB399_2079 Depth=1
	v_cmp_ne_u16_sdwa s4, v23, v114 src0_sel:BYTE_1 src1_sel:DWORD
	v_bfrev_b32_e32 v11, 1
	s_and_saveexec_b32 s15, s4
	s_cbranch_execz .LBB399_3414
; %bb.3409:                             ;   in Loop: Header=BB399_2079 Depth=1
	v_and_b32_sdwa v12, v112, v23 dst_sel:DWORD dst_unused:UNUSED_PAD src0_sel:DWORD src1_sel:BYTE_1
	v_mov_b32_e32 v11, 0x7f800001
	s_mov_b32 s18, exec_lo
	v_and_b32_e32 v16, 0x7f, v12
	v_cmpx_ne_u32_e32 0x7f, v16
	s_cbranch_execz .LBB399_3413
; %bb.3410:                             ;   in Loop: Header=BB399_2079 Depth=1
	v_and_b32_e32 v12, 7, v12
	v_mov_b32_e32 v26, v13
	v_lshrrev_b32_e32 v11, 3, v16
	s_mov_b32 s20, exec_lo
	v_mov_b32_e32 v25, v12
	v_cmpx_gt_u32_e32 8, v16
; %bb.3411:                             ;   in Loop: Header=BB399_2079 Depth=1
	v_ffbh_u32_e32 v11, v12
	v_min_u32_e32 v11, 32, v11
	v_subrev_nc_u32_e32 v16, 28, v11
	v_sub_nc_u32_e32 v11, 29, v11
	v_lshlrev_b64 v[21:22], v16, v[12:13]
	v_and_b32_e32 v25, 7, v21
; %bb.3412:                             ;   in Loop: Header=BB399_2079 Depth=1
	s_or_b32 exec_lo, exec_lo, s20
	v_lshlrev_b32_e32 v12, 16, v23
	v_lshlrev_b32_e32 v16, 20, v25
	v_lshl_add_u32 v11, v11, 23, 0x3c000000
	v_and_b32_e32 v12, 0x80000000, v12
	v_or3_b32 v11, v16, v12, v11
.LBB399_3413:                           ;   in Loop: Header=BB399_2079 Depth=1
	s_or_b32 exec_lo, exec_lo, s18
.LBB399_3414:                           ;   in Loop: Header=BB399_2079 Depth=1
	s_or_b32 exec_lo, exec_lo, s15
.LBB399_3415:                           ;   in Loop: Header=BB399_2079 Depth=1
	s_or_b32 exec_lo, exec_lo, s13
	v_and_b32_sdwa v12, v23, v116 dst_sel:DWORD dst_unused:UNUSED_PAD src0_sel:WORD_1 src1_sel:DWORD
	v_mov_b32_e32 v21, 0
	v_mov_b32_e32 v16, 0
	s_mov_b32 s13, exec_lo
	v_cmpx_ne_u16_e32 0, v12
	s_cbranch_execz .LBB399_3423
; %bb.3416:                             ;   in Loop: Header=BB399_2079 Depth=1
	v_bfrev_b32_e32 v16, 1
	s_mov_b32 s15, exec_lo
	v_cmpx_ne_u16_e32 0x80, v12
	s_cbranch_execz .LBB399_3422
; %bb.3417:                             ;   in Loop: Header=BB399_2079 Depth=1
	v_bfe_u32 v22, v23, 16, 7
	v_mov_b32_e32 v16, 0x7f800001
	s_mov_b32 s18, exec_lo
	v_cmpx_ne_u32_e32 0x7f, v22
	s_cbranch_execz .LBB399_3421
; %bb.3418:                             ;   in Loop: Header=BB399_2079 Depth=1
	v_and_b32_sdwa v12, v23, v115 dst_sel:DWORD dst_unused:UNUSED_PAD src0_sel:WORD_1 src1_sel:DWORD
	v_mov_b32_e32 v26, v13
	v_lshrrev_b32_e32 v16, 3, v22
	s_mov_b32 s20, exec_lo
	v_mov_b32_e32 v25, v12
	v_cmpx_gt_u32_e32 8, v22
; %bb.3419:                             ;   in Loop: Header=BB399_2079 Depth=1
	v_ffbh_u32_e32 v16, v12
	v_min_u32_e32 v16, 32, v16
	v_subrev_nc_u32_e32 v22, 28, v16
	v_sub_nc_u32_e32 v16, 29, v16
	v_lshlrev_b64 v[25:26], v22, v[12:13]
	v_and_b32_e32 v25, 7, v25
; %bb.3420:                             ;   in Loop: Header=BB399_2079 Depth=1
	s_or_b32 exec_lo, exec_lo, s20
	v_lshlrev_b32_sdwa v12, v39, v23 dst_sel:DWORD dst_unused:UNUSED_PAD src0_sel:DWORD src1_sel:WORD_1
	v_lshlrev_b32_e32 v22, 20, v25
	v_lshl_add_u32 v16, v16, 23, 0x3c000000
	v_and_b32_e32 v12, 0x80000000, v12
	v_or3_b32 v16, v22, v12, v16
.LBB399_3421:                           ;   in Loop: Header=BB399_2079 Depth=1
	s_or_b32 exec_lo, exec_lo, s18
.LBB399_3422:                           ;   in Loop: Header=BB399_2079 Depth=1
	s_or_b32 exec_lo, exec_lo, s15
.LBB399_3423:                           ;   in Loop: Header=BB399_2079 Depth=1
	s_or_b32 exec_lo, exec_lo, s13
	s_mov_b32 s13, exec_lo
	v_cmpx_lt_u32_e32 0xffffff, v23
	s_cbranch_execz .LBB399_3431
; %bb.3424:                             ;   in Loop: Header=BB399_2079 Depth=1
	v_cmp_ne_u32_sdwa s4, v23, v114 src0_sel:BYTE_3 src1_sel:DWORD
	v_bfrev_b32_e32 v21, 1
	s_and_saveexec_b32 s15, s4
	s_cbranch_execz .LBB399_3430
; %bb.3425:                             ;   in Loop: Header=BB399_2079 Depth=1
	v_bfe_u32 v22, v23, 24, 7
	v_mov_b32_e32 v21, 0x7f800001
	s_mov_b32 s18, exec_lo
	v_cmpx_ne_u32_e32 0x7f, v22
	s_cbranch_execz .LBB399_3429
; %bb.3426:                             ;   in Loop: Header=BB399_2079 Depth=1
	v_and_b32_sdwa v12, v23, v115 dst_sel:DWORD dst_unused:UNUSED_PAD src0_sel:BYTE_3 src1_sel:DWORD
	v_mov_b32_e32 v26, v13
	v_lshrrev_b32_e32 v21, 3, v22
	s_mov_b32 s20, exec_lo
	v_mov_b32_e32 v25, v12
	v_cmpx_gt_u32_e32 8, v22
; %bb.3427:                             ;   in Loop: Header=BB399_2079 Depth=1
	v_ffbh_u32_e32 v21, v12
	v_min_u32_e32 v21, 32, v21
	v_subrev_nc_u32_e32 v22, 28, v21
	v_sub_nc_u32_e32 v21, 29, v21
	v_lshlrev_b64 v[25:26], v22, v[12:13]
	v_and_b32_e32 v25, 7, v25
; %bb.3428:                             ;   in Loop: Header=BB399_2079 Depth=1
	s_or_b32 exec_lo, exec_lo, s20
	v_lshlrev_b32_sdwa v12, v39, v23 dst_sel:DWORD dst_unused:UNUSED_PAD src0_sel:DWORD src1_sel:BYTE_3
	v_lshlrev_b32_e32 v22, 20, v25
	v_lshl_add_u32 v21, v21, 23, 0x3c000000
	v_and_b32_e32 v12, 0x80000000, v12
	v_or3_b32 v21, v22, v12, v21
.LBB399_3429:                           ;   in Loop: Header=BB399_2079 Depth=1
	s_or_b32 exec_lo, exec_lo, s18
.LBB399_3430:                           ;   in Loop: Header=BB399_2079 Depth=1
	s_or_b32 exec_lo, exec_lo, s15
.LBB399_3431:                           ;   in Loop: Header=BB399_2079 Depth=1
	s_or_b32 exec_lo, exec_lo, s13
	v_mov_b32_e32 v12, v24
	v_cmp_ne_u16_sdwa s4, v24, v13 src0_sel:BYTE_0 src1_sel:DWORD
	v_mov_b32_e32 v30, 0
	v_mov_b32_e32 v29, 0
	s_and_saveexec_b32 s13, s4
	s_cbranch_execz .LBB399_3439
; %bb.3432:                             ;   in Loop: Header=BB399_2079 Depth=1
	v_cmp_ne_u16_sdwa s4, v24, v114 src0_sel:BYTE_0 src1_sel:DWORD
	v_bfrev_b32_e32 v29, 1
	s_and_saveexec_b32 s15, s4
	s_cbranch_execz .LBB399_3438
; %bb.3433:                             ;   in Loop: Header=BB399_2079 Depth=1
	v_and_b32_e32 v28, 0x7f, v24
	v_mov_b32_e32 v29, 0x7f800001
	s_mov_b32 s18, exec_lo
	v_cmpx_ne_u32_e32 0x7f, v28
	s_cbranch_execz .LBB399_3437
; %bb.3434:                             ;   in Loop: Header=BB399_2079 Depth=1
	v_mov_b32_e32 v26, v13
	v_mov_b32_e32 v25, v12
	v_lshrrev_b32_e32 v22, 3, v28
	s_mov_b32 s20, exec_lo
	v_cmpx_gt_u32_e32 8, v28
; %bb.3435:                             ;   in Loop: Header=BB399_2079 Depth=1
	v_and_b32_e32 v22, 7, v24
	v_ffbh_u32_e32 v22, v22
	v_min_u32_e32 v22, 32, v22
	v_subrev_nc_u32_e32 v25, 28, v22
	v_sub_nc_u32_e32 v22, 29, v22
	v_lshlrev_b64 v[25:26], v25, v[12:13]
; %bb.3436:                             ;   in Loop: Header=BB399_2079 Depth=1
	s_or_b32 exec_lo, exec_lo, s20
	v_lshlrev_b32_e32 v25, 20, v25
	v_lshlrev_b32_e32 v26, 24, v12
	v_lshl_add_u32 v22, v22, 23, 0x3c000000
	v_and_b32_e32 v25, 0x700000, v25
	v_and_b32_e32 v26, 0x80000000, v26
	v_or3_b32 v29, v25, v26, v22
.LBB399_3437:                           ;   in Loop: Header=BB399_2079 Depth=1
	s_or_b32 exec_lo, exec_lo, s18
.LBB399_3438:                           ;   in Loop: Header=BB399_2079 Depth=1
	s_or_b32 exec_lo, exec_lo, s15
.LBB399_3439:                           ;   in Loop: Header=BB399_2079 Depth=1
	s_or_b32 exec_lo, exec_lo, s13
	v_cmp_ne_u16_sdwa s4, v12, v13 src0_sel:BYTE_1 src1_sel:DWORD
	s_and_saveexec_b32 s13, s4
	s_cbranch_execz .LBB399_3447
; %bb.3440:                             ;   in Loop: Header=BB399_2079 Depth=1
	v_cmp_ne_u16_sdwa s4, v12, v114 src0_sel:BYTE_1 src1_sel:DWORD
	v_bfrev_b32_e32 v30, 1
	s_and_saveexec_b32 s15, s4
	s_cbranch_execz .LBB399_3446
; %bb.3441:                             ;   in Loop: Header=BB399_2079 Depth=1
	v_and_b32_sdwa v22, v112, v12 dst_sel:DWORD dst_unused:UNUSED_PAD src0_sel:DWORD src1_sel:BYTE_1
	v_mov_b32_e32 v30, 0x7f800001
	s_mov_b32 s18, exec_lo
	v_and_b32_e32 v28, 0x7f, v22
	v_cmpx_ne_u32_e32 0x7f, v28
	s_cbranch_execz .LBB399_3445
; %bb.3442:                             ;   in Loop: Header=BB399_2079 Depth=1
	v_and_b32_e32 v25, 7, v22
	v_mov_b32_e32 v26, v13
	v_lshrrev_b32_e32 v22, 3, v28
	s_mov_b32 s20, exec_lo
	v_cmpx_gt_u32_e32 8, v28
; %bb.3443:                             ;   in Loop: Header=BB399_2079 Depth=1
	v_ffbh_u32_e32 v22, v25
	v_min_u32_e32 v22, 32, v22
	v_subrev_nc_u32_e32 v28, 28, v22
	v_sub_nc_u32_e32 v22, 29, v22
	v_lshlrev_b64 v[25:26], v28, v[25:26]
	v_and_b32_e32 v25, 7, v25
; %bb.3444:                             ;   in Loop: Header=BB399_2079 Depth=1
	s_or_b32 exec_lo, exec_lo, s20
	v_lshlrev_b32_e32 v12, 16, v12
	v_lshlrev_b32_e32 v25, 20, v25
	v_lshl_add_u32 v22, v22, 23, 0x3c000000
	v_and_b32_e32 v12, 0x80000000, v12
	v_or3_b32 v30, v25, v12, v22
.LBB399_3445:                           ;   in Loop: Header=BB399_2079 Depth=1
	s_or_b32 exec_lo, exec_lo, s18
.LBB399_3446:                           ;   in Loop: Header=BB399_2079 Depth=1
	s_or_b32 exec_lo, exec_lo, s15
.LBB399_3447:                           ;   in Loop: Header=BB399_2079 Depth=1
	s_or_b32 exec_lo, exec_lo, s13
	v_and_b32_sdwa v12, v24, v116 dst_sel:DWORD dst_unused:UNUSED_PAD src0_sel:WORD_1 src1_sel:DWORD
	v_mov_b32_e32 v22, 0
	v_mov_b32_e32 v28, 0
	s_mov_b32 s13, exec_lo
	v_cmpx_ne_u16_e32 0, v12
	s_cbranch_execz .LBB399_3455
; %bb.3448:                             ;   in Loop: Header=BB399_2079 Depth=1
	v_bfrev_b32_e32 v28, 1
	s_mov_b32 s15, exec_lo
	v_cmpx_ne_u16_e32 0x80, v12
	s_cbranch_execz .LBB399_3454
; %bb.3449:                             ;   in Loop: Header=BB399_2079 Depth=1
	v_bfe_u32 v31, v24, 16, 7
	v_mov_b32_e32 v28, 0x7f800001
	s_mov_b32 s18, exec_lo
	v_cmpx_ne_u32_e32 0x7f, v31
	s_cbranch_execz .LBB399_3453
; %bb.3450:                             ;   in Loop: Header=BB399_2079 Depth=1
	v_and_b32_sdwa v12, v24, v115 dst_sel:DWORD dst_unused:UNUSED_PAD src0_sel:WORD_1 src1_sel:DWORD
	v_mov_b32_e32 v26, v13
	v_lshrrev_b32_e32 v26, 3, v31
	s_mov_b32 s20, exec_lo
	v_mov_b32_e32 v25, v12
	v_cmpx_gt_u32_e32 8, v31
; %bb.3451:                             ;   in Loop: Header=BB399_2079 Depth=1
	v_ffbh_u32_e32 v25, v12
	v_min_u32_e32 v28, 32, v25
	v_subrev_nc_u32_e32 v25, 28, v28
	v_lshlrev_b64 v[25:26], v25, v[12:13]
	v_sub_nc_u32_e32 v26, 29, v28
	v_and_b32_e32 v25, 7, v25
; %bb.3452:                             ;   in Loop: Header=BB399_2079 Depth=1
	s_or_b32 exec_lo, exec_lo, s20
	v_lshlrev_b32_sdwa v12, v39, v24 dst_sel:DWORD dst_unused:UNUSED_PAD src0_sel:DWORD src1_sel:WORD_1
	v_lshlrev_b32_e32 v25, 20, v25
	v_lshl_add_u32 v26, v26, 23, 0x3c000000
	v_and_b32_e32 v12, 0x80000000, v12
	v_or3_b32 v28, v25, v12, v26
.LBB399_3453:                           ;   in Loop: Header=BB399_2079 Depth=1
	s_or_b32 exec_lo, exec_lo, s18
.LBB399_3454:                           ;   in Loop: Header=BB399_2079 Depth=1
	s_or_b32 exec_lo, exec_lo, s15
.LBB399_3455:                           ;   in Loop: Header=BB399_2079 Depth=1
	s_or_b32 exec_lo, exec_lo, s13
	s_mov_b32 s13, exec_lo
	v_cmpx_lt_u64_e64 s[8:9], v[23:24]
	s_cbranch_execz .LBB399_3463
; %bb.3456:                             ;   in Loop: Header=BB399_2079 Depth=1
	v_cmp_ne_u32_sdwa s4, v24, v114 src0_sel:BYTE_3 src1_sel:DWORD
	v_bfrev_b32_e32 v22, 1
	s_and_saveexec_b32 s15, s4
	s_cbranch_execz .LBB399_3462
; %bb.3457:                             ;   in Loop: Header=BB399_2079 Depth=1
	v_bfe_u32 v23, v24, 24, 7
	v_mov_b32_e32 v22, 0x7f800001
	s_mov_b32 s18, exec_lo
	v_cmpx_ne_u32_e32 0x7f, v23
	s_cbranch_execz .LBB399_3461
; %bb.3458:                             ;   in Loop: Header=BB399_2079 Depth=1
	v_and_b32_sdwa v12, v24, v115 dst_sel:DWORD dst_unused:UNUSED_PAD src0_sel:BYTE_3 src1_sel:DWORD
	v_mov_b32_e32 v26, v13
	v_lshrrev_b32_e32 v22, 3, v23
	s_mov_b32 s20, exec_lo
	v_mov_b32_e32 v25, v12
	v_cmpx_gt_u32_e32 8, v23
; %bb.3459:                             ;   in Loop: Header=BB399_2079 Depth=1
	v_ffbh_u32_e32 v22, v12
	v_min_u32_e32 v22, 32, v22
	v_subrev_nc_u32_e32 v23, 28, v22
	v_sub_nc_u32_e32 v22, 29, v22
	v_lshlrev_b64 v[25:26], v23, v[12:13]
	v_and_b32_e32 v25, 7, v25
; %bb.3460:                             ;   in Loop: Header=BB399_2079 Depth=1
	s_or_b32 exec_lo, exec_lo, s20
	v_lshlrev_b32_sdwa v12, v39, v24 dst_sel:DWORD dst_unused:UNUSED_PAD src0_sel:DWORD src1_sel:BYTE_3
	v_lshlrev_b32_e32 v23, 20, v25
	v_lshl_add_u32 v22, v22, 23, 0x3c000000
	v_and_b32_e32 v12, 0x80000000, v12
	v_or3_b32 v22, v23, v12, v22
.LBB399_3461:                           ;   in Loop: Header=BB399_2079 Depth=1
	s_or_b32 exec_lo, exec_lo, s18
.LBB399_3462:                           ;   in Loop: Header=BB399_2079 Depth=1
	s_or_b32 exec_lo, exec_lo, s15
.LBB399_3463:                           ;   in Loop: Header=BB399_2079 Depth=1
	s_or_b32 exec_lo, exec_lo, s13
	v_mul_f32_e32 v12, v27, v30
	v_mul_f32_e32 v11, v27, v11
	;; [unrolled: 1-line block ×3, first 2 shown]
	v_bfe_u32 v23, v12, 16, 1
	v_or_b32_e32 v24, 0x400000, v12
	v_cmp_u_f32_e64 s4, v12, v12
	v_add3_u32 v23, v23, v12, 0x7fff
	v_cndmask_b32_e64 v12, v23, v24, s4
	v_lshrrev_b32_e32 v109, 16, v12
	v_mul_f32_e32 v12, v27, v29
	v_bfe_u32 v23, v12, 16, 1
	v_or_b32_e32 v24, 0x400000, v12
	v_cmp_u_f32_e64 s4, v12, v12
	v_add3_u32 v23, v23, v12, 0x7fff
	v_cndmask_b32_e64 v12, v23, v24, s4
	v_lshrrev_b32_e32 v110, 16, v12
	v_mul_f32_e32 v12, v27, v21
	;; [unrolled: 7-line block ×3, first 2 shown]
	v_bfe_u32 v16, v12, 16, 1
	v_or_b32_e32 v21, 0x400000, v12
	v_cmp_u_f32_e64 s4, v12, v12
	v_add3_u32 v16, v16, v12, 0x7fff
	v_cndmask_b32_e64 v12, v16, v21, s4
	v_or_b32_e32 v16, 0x400000, v11
	v_cmp_u_f32_e64 s4, v11, v11
	v_lshrrev_b32_e32 v120, 16, v12
	v_bfe_u32 v12, v11, 16, 1
	v_add3_u32 v12, v12, v11, 0x7fff
	v_cndmask_b32_e64 v11, v12, v16, s4
	v_or_b32_e32 v12, 0x400000, v10
	v_cmp_u_f32_e64 s4, v10, v10
	v_lshrrev_b32_e32 v122, 16, v11
	v_bfe_u32 v11, v10, 16, 1
	v_add3_u32 v11, v11, v10, 0x7fff
	v_cndmask_b32_e64 v10, v11, v12, s4
	v_lshrrev_b32_e32 v126, 16, v10
	v_mul_f32_e32 v10, v27, v28
	v_bfe_u32 v11, v10, 16, 1
	v_or_b32_e32 v12, 0x400000, v10
	v_cmp_u_f32_e64 s4, v10, v10
	v_add3_u32 v11, v11, v10, 0x7fff
	v_cndmask_b32_e64 v10, v11, v12, s4
	v_lshrrev_b32_e32 v121, 16, v10
	v_mul_f32_e32 v10, v27, v22
	v_bfe_u32 v11, v10, 16, 1
	v_or_b32_e32 v12, 0x400000, v10
	v_cmp_u_f32_e64 s4, v10, v10
	v_add3_u32 v11, v11, v10, 0x7fff
	v_cndmask_b32_e64 v10, v11, v12, s4
	v_lshrrev_b32_e32 v123, 16, v10
	s_and_saveexec_b32 s13, vcc_lo
	s_cbranch_execz .LBB399_3465
; %bb.3464:                             ;   in Loop: Header=BB399_2079 Depth=1
	v_cmp_lt_i32_e64 s4, v125, v124
	v_cndmask_b32_e64 v126, 0, v126, s4
	v_cmp_lt_i32_e64 s4, v113, v124
	v_cndmask_b32_e64 v122, 0, v122, s4
	;; [unrolled: 2-line block ×8, first 2 shown]
.LBB399_3465:                           ;   in Loop: Header=BB399_2079 Depth=1
	s_or_b32 exec_lo, exec_lo, s13
	flat_load_dwordx2 v[23:24], v[19:20] offset:1280
	v_mov_b32_e32 v11, 0
	v_mov_b32_e32 v10, 0
	s_waitcnt vmcnt(0) lgkmcnt(0)
	v_cmp_ne_u16_sdwa s4, v23, v13 src0_sel:BYTE_0 src1_sel:DWORD
	s_and_saveexec_b32 s13, s4
	s_cbranch_execz .LBB399_3473
; %bb.3466:                             ;   in Loop: Header=BB399_2079 Depth=1
	v_cmp_ne_u16_sdwa s4, v23, v114 src0_sel:BYTE_0 src1_sel:DWORD
	v_bfrev_b32_e32 v10, 1
	s_and_saveexec_b32 s15, s4
	s_cbranch_execz .LBB399_3472
; %bb.3467:                             ;   in Loop: Header=BB399_2079 Depth=1
	v_and_b32_e32 v12, 0x7f, v23
	v_mov_b32_e32 v10, 0x7f800001
	s_mov_b32 s18, exec_lo
	v_cmpx_ne_u32_e32 0x7f, v12
	s_cbranch_execz .LBB399_3471
; %bb.3468:                             ;   in Loop: Header=BB399_2079 Depth=1
	v_mov_b32_e32 v26, v24
	v_lshrrev_b32_e32 v10, 3, v12
	v_mov_b32_e32 v25, v23
	s_mov_b32 s20, exec_lo
	v_cmpx_gt_u32_e32 8, v12
; %bb.3469:                             ;   in Loop: Header=BB399_2079 Depth=1
	v_and_b32_e32 v10, 7, v23
	v_ffbh_u32_e32 v10, v10
	v_min_u32_e32 v10, 32, v10
	v_subrev_nc_u32_e32 v12, 28, v10
	v_sub_nc_u32_e32 v10, 29, v10
	v_lshlrev_b64 v[25:26], v12, v[23:24]
; %bb.3470:                             ;   in Loop: Header=BB399_2079 Depth=1
	s_or_b32 exec_lo, exec_lo, s20
	v_lshlrev_b32_e32 v12, 20, v25
	v_lshlrev_b32_e32 v16, 24, v23
	v_lshl_add_u32 v10, v10, 23, 0x3c000000
	v_and_b32_e32 v12, 0x700000, v12
	v_and_b32_e32 v16, 0x80000000, v16
	v_or3_b32 v10, v12, v16, v10
.LBB399_3471:                           ;   in Loop: Header=BB399_2079 Depth=1
	s_or_b32 exec_lo, exec_lo, s18
.LBB399_3472:                           ;   in Loop: Header=BB399_2079 Depth=1
	s_or_b32 exec_lo, exec_lo, s15
.LBB399_3473:                           ;   in Loop: Header=BB399_2079 Depth=1
	s_or_b32 exec_lo, exec_lo, s13
	v_cmp_ne_u16_sdwa s4, v23, v13 src0_sel:BYTE_1 src1_sel:DWORD
	s_and_saveexec_b32 s13, s4
	s_cbranch_execz .LBB399_3481
; %bb.3474:                             ;   in Loop: Header=BB399_2079 Depth=1
	v_cmp_ne_u16_sdwa s4, v23, v114 src0_sel:BYTE_1 src1_sel:DWORD
	v_bfrev_b32_e32 v11, 1
	s_and_saveexec_b32 s15, s4
	s_cbranch_execz .LBB399_3480
; %bb.3475:                             ;   in Loop: Header=BB399_2079 Depth=1
	v_and_b32_sdwa v12, v112, v23 dst_sel:DWORD dst_unused:UNUSED_PAD src0_sel:DWORD src1_sel:BYTE_1
	v_mov_b32_e32 v11, 0x7f800001
	s_mov_b32 s18, exec_lo
	v_and_b32_e32 v16, 0x7f, v12
	v_cmpx_ne_u32_e32 0x7f, v16
	s_cbranch_execz .LBB399_3479
; %bb.3476:                             ;   in Loop: Header=BB399_2079 Depth=1
	v_and_b32_e32 v12, 7, v12
	v_mov_b32_e32 v26, v13
	v_lshrrev_b32_e32 v11, 3, v16
	s_mov_b32 s20, exec_lo
	v_mov_b32_e32 v25, v12
	v_cmpx_gt_u32_e32 8, v16
; %bb.3477:                             ;   in Loop: Header=BB399_2079 Depth=1
	v_ffbh_u32_e32 v11, v12
	v_min_u32_e32 v11, 32, v11
	v_subrev_nc_u32_e32 v16, 28, v11
	v_sub_nc_u32_e32 v11, 29, v11
	v_lshlrev_b64 v[21:22], v16, v[12:13]
	v_and_b32_e32 v25, 7, v21
; %bb.3478:                             ;   in Loop: Header=BB399_2079 Depth=1
	s_or_b32 exec_lo, exec_lo, s20
	v_lshlrev_b32_e32 v12, 16, v23
	v_lshlrev_b32_e32 v16, 20, v25
	v_lshl_add_u32 v11, v11, 23, 0x3c000000
	v_and_b32_e32 v12, 0x80000000, v12
	v_or3_b32 v11, v16, v12, v11
.LBB399_3479:                           ;   in Loop: Header=BB399_2079 Depth=1
	s_or_b32 exec_lo, exec_lo, s18
.LBB399_3480:                           ;   in Loop: Header=BB399_2079 Depth=1
	s_or_b32 exec_lo, exec_lo, s15
.LBB399_3481:                           ;   in Loop: Header=BB399_2079 Depth=1
	s_or_b32 exec_lo, exec_lo, s13
	v_and_b32_sdwa v12, v23, v116 dst_sel:DWORD dst_unused:UNUSED_PAD src0_sel:WORD_1 src1_sel:DWORD
	v_mov_b32_e32 v21, 0
	v_mov_b32_e32 v16, 0
	s_mov_b32 s13, exec_lo
	v_cmpx_ne_u16_e32 0, v12
	s_cbranch_execz .LBB399_3489
; %bb.3482:                             ;   in Loop: Header=BB399_2079 Depth=1
	v_bfrev_b32_e32 v16, 1
	s_mov_b32 s15, exec_lo
	v_cmpx_ne_u16_e32 0x80, v12
	s_cbranch_execz .LBB399_3488
; %bb.3483:                             ;   in Loop: Header=BB399_2079 Depth=1
	v_bfe_u32 v22, v23, 16, 7
	v_mov_b32_e32 v16, 0x7f800001
	s_mov_b32 s18, exec_lo
	v_cmpx_ne_u32_e32 0x7f, v22
	s_cbranch_execz .LBB399_3487
; %bb.3484:                             ;   in Loop: Header=BB399_2079 Depth=1
	v_and_b32_sdwa v12, v23, v115 dst_sel:DWORD dst_unused:UNUSED_PAD src0_sel:WORD_1 src1_sel:DWORD
	v_mov_b32_e32 v26, v13
	v_lshrrev_b32_e32 v16, 3, v22
	s_mov_b32 s20, exec_lo
	v_mov_b32_e32 v25, v12
	v_cmpx_gt_u32_e32 8, v22
; %bb.3485:                             ;   in Loop: Header=BB399_2079 Depth=1
	v_ffbh_u32_e32 v16, v12
	v_min_u32_e32 v16, 32, v16
	v_subrev_nc_u32_e32 v22, 28, v16
	v_sub_nc_u32_e32 v16, 29, v16
	v_lshlrev_b64 v[25:26], v22, v[12:13]
	v_and_b32_e32 v25, 7, v25
; %bb.3486:                             ;   in Loop: Header=BB399_2079 Depth=1
	s_or_b32 exec_lo, exec_lo, s20
	v_lshlrev_b32_sdwa v12, v39, v23 dst_sel:DWORD dst_unused:UNUSED_PAD src0_sel:DWORD src1_sel:WORD_1
	v_lshlrev_b32_e32 v22, 20, v25
	v_lshl_add_u32 v16, v16, 23, 0x3c000000
	v_and_b32_e32 v12, 0x80000000, v12
	v_or3_b32 v16, v22, v12, v16
.LBB399_3487:                           ;   in Loop: Header=BB399_2079 Depth=1
	s_or_b32 exec_lo, exec_lo, s18
.LBB399_3488:                           ;   in Loop: Header=BB399_2079 Depth=1
	s_or_b32 exec_lo, exec_lo, s15
.LBB399_3489:                           ;   in Loop: Header=BB399_2079 Depth=1
	s_or_b32 exec_lo, exec_lo, s13
	s_mov_b32 s13, exec_lo
	v_cmpx_lt_u32_e32 0xffffff, v23
	s_cbranch_execz .LBB399_3497
; %bb.3490:                             ;   in Loop: Header=BB399_2079 Depth=1
	v_cmp_ne_u32_sdwa s4, v23, v114 src0_sel:BYTE_3 src1_sel:DWORD
	v_bfrev_b32_e32 v21, 1
	s_and_saveexec_b32 s15, s4
	s_cbranch_execz .LBB399_3496
; %bb.3491:                             ;   in Loop: Header=BB399_2079 Depth=1
	v_bfe_u32 v22, v23, 24, 7
	v_mov_b32_e32 v21, 0x7f800001
	s_mov_b32 s18, exec_lo
	v_cmpx_ne_u32_e32 0x7f, v22
	s_cbranch_execz .LBB399_3495
; %bb.3492:                             ;   in Loop: Header=BB399_2079 Depth=1
	v_and_b32_sdwa v12, v23, v115 dst_sel:DWORD dst_unused:UNUSED_PAD src0_sel:BYTE_3 src1_sel:DWORD
	v_mov_b32_e32 v26, v13
	v_lshrrev_b32_e32 v21, 3, v22
	s_mov_b32 s20, exec_lo
	v_mov_b32_e32 v25, v12
	v_cmpx_gt_u32_e32 8, v22
; %bb.3493:                             ;   in Loop: Header=BB399_2079 Depth=1
	v_ffbh_u32_e32 v21, v12
	v_min_u32_e32 v21, 32, v21
	v_subrev_nc_u32_e32 v22, 28, v21
	v_sub_nc_u32_e32 v21, 29, v21
	v_lshlrev_b64 v[25:26], v22, v[12:13]
	v_and_b32_e32 v25, 7, v25
; %bb.3494:                             ;   in Loop: Header=BB399_2079 Depth=1
	s_or_b32 exec_lo, exec_lo, s20
	v_lshlrev_b32_sdwa v12, v39, v23 dst_sel:DWORD dst_unused:UNUSED_PAD src0_sel:DWORD src1_sel:BYTE_3
	v_lshlrev_b32_e32 v22, 20, v25
	v_lshl_add_u32 v21, v21, 23, 0x3c000000
	v_and_b32_e32 v12, 0x80000000, v12
	v_or3_b32 v21, v22, v12, v21
.LBB399_3495:                           ;   in Loop: Header=BB399_2079 Depth=1
	s_or_b32 exec_lo, exec_lo, s18
.LBB399_3496:                           ;   in Loop: Header=BB399_2079 Depth=1
	s_or_b32 exec_lo, exec_lo, s15
.LBB399_3497:                           ;   in Loop: Header=BB399_2079 Depth=1
	s_or_b32 exec_lo, exec_lo, s13
	v_mov_b32_e32 v12, v24
	v_cmp_ne_u16_sdwa s4, v24, v13 src0_sel:BYTE_0 src1_sel:DWORD
	v_mov_b32_e32 v30, 0
	v_mov_b32_e32 v29, 0
	s_and_saveexec_b32 s13, s4
	s_cbranch_execz .LBB399_3505
; %bb.3498:                             ;   in Loop: Header=BB399_2079 Depth=1
	v_cmp_ne_u16_sdwa s4, v24, v114 src0_sel:BYTE_0 src1_sel:DWORD
	v_bfrev_b32_e32 v29, 1
	s_and_saveexec_b32 s15, s4
	s_cbranch_execz .LBB399_3504
; %bb.3499:                             ;   in Loop: Header=BB399_2079 Depth=1
	v_and_b32_e32 v28, 0x7f, v24
	v_mov_b32_e32 v29, 0x7f800001
	s_mov_b32 s18, exec_lo
	v_cmpx_ne_u32_e32 0x7f, v28
	s_cbranch_execz .LBB399_3503
; %bb.3500:                             ;   in Loop: Header=BB399_2079 Depth=1
	v_mov_b32_e32 v26, v13
	v_mov_b32_e32 v25, v12
	v_lshrrev_b32_e32 v22, 3, v28
	s_mov_b32 s20, exec_lo
	v_cmpx_gt_u32_e32 8, v28
; %bb.3501:                             ;   in Loop: Header=BB399_2079 Depth=1
	v_and_b32_e32 v22, 7, v24
	v_ffbh_u32_e32 v22, v22
	v_min_u32_e32 v22, 32, v22
	v_subrev_nc_u32_e32 v25, 28, v22
	v_sub_nc_u32_e32 v22, 29, v22
	v_lshlrev_b64 v[25:26], v25, v[12:13]
; %bb.3502:                             ;   in Loop: Header=BB399_2079 Depth=1
	s_or_b32 exec_lo, exec_lo, s20
	v_lshlrev_b32_e32 v25, 20, v25
	v_lshlrev_b32_e32 v26, 24, v12
	v_lshl_add_u32 v22, v22, 23, 0x3c000000
	v_and_b32_e32 v25, 0x700000, v25
	v_and_b32_e32 v26, 0x80000000, v26
	v_or3_b32 v29, v25, v26, v22
.LBB399_3503:                           ;   in Loop: Header=BB399_2079 Depth=1
	s_or_b32 exec_lo, exec_lo, s18
.LBB399_3504:                           ;   in Loop: Header=BB399_2079 Depth=1
	s_or_b32 exec_lo, exec_lo, s15
.LBB399_3505:                           ;   in Loop: Header=BB399_2079 Depth=1
	s_or_b32 exec_lo, exec_lo, s13
	v_cmp_ne_u16_sdwa s4, v12, v13 src0_sel:BYTE_1 src1_sel:DWORD
	s_and_saveexec_b32 s13, s4
	s_cbranch_execz .LBB399_3513
; %bb.3506:                             ;   in Loop: Header=BB399_2079 Depth=1
	v_cmp_ne_u16_sdwa s4, v12, v114 src0_sel:BYTE_1 src1_sel:DWORD
	v_bfrev_b32_e32 v30, 1
	s_and_saveexec_b32 s15, s4
	s_cbranch_execz .LBB399_3512
; %bb.3507:                             ;   in Loop: Header=BB399_2079 Depth=1
	v_and_b32_sdwa v22, v112, v12 dst_sel:DWORD dst_unused:UNUSED_PAD src0_sel:DWORD src1_sel:BYTE_1
	v_mov_b32_e32 v30, 0x7f800001
	s_mov_b32 s18, exec_lo
	v_and_b32_e32 v28, 0x7f, v22
	v_cmpx_ne_u32_e32 0x7f, v28
	s_cbranch_execz .LBB399_3511
; %bb.3508:                             ;   in Loop: Header=BB399_2079 Depth=1
	v_and_b32_e32 v25, 7, v22
	v_mov_b32_e32 v26, v13
	v_lshrrev_b32_e32 v22, 3, v28
	s_mov_b32 s20, exec_lo
	v_cmpx_gt_u32_e32 8, v28
; %bb.3509:                             ;   in Loop: Header=BB399_2079 Depth=1
	v_ffbh_u32_e32 v22, v25
	v_min_u32_e32 v22, 32, v22
	v_subrev_nc_u32_e32 v28, 28, v22
	v_sub_nc_u32_e32 v22, 29, v22
	v_lshlrev_b64 v[25:26], v28, v[25:26]
	v_and_b32_e32 v25, 7, v25
; %bb.3510:                             ;   in Loop: Header=BB399_2079 Depth=1
	s_or_b32 exec_lo, exec_lo, s20
	v_lshlrev_b32_e32 v12, 16, v12
	v_lshlrev_b32_e32 v25, 20, v25
	v_lshl_add_u32 v22, v22, 23, 0x3c000000
	v_and_b32_e32 v12, 0x80000000, v12
	v_or3_b32 v30, v25, v12, v22
.LBB399_3511:                           ;   in Loop: Header=BB399_2079 Depth=1
	s_or_b32 exec_lo, exec_lo, s18
.LBB399_3512:                           ;   in Loop: Header=BB399_2079 Depth=1
	s_or_b32 exec_lo, exec_lo, s15
.LBB399_3513:                           ;   in Loop: Header=BB399_2079 Depth=1
	s_or_b32 exec_lo, exec_lo, s13
	v_and_b32_sdwa v12, v24, v116 dst_sel:DWORD dst_unused:UNUSED_PAD src0_sel:WORD_1 src1_sel:DWORD
	v_mov_b32_e32 v22, 0
	v_mov_b32_e32 v28, 0
	s_mov_b32 s13, exec_lo
	v_cmpx_ne_u16_e32 0, v12
	s_cbranch_execz .LBB399_3521
; %bb.3514:                             ;   in Loop: Header=BB399_2079 Depth=1
	v_bfrev_b32_e32 v28, 1
	s_mov_b32 s15, exec_lo
	v_cmpx_ne_u16_e32 0x80, v12
	s_cbranch_execz .LBB399_3520
; %bb.3515:                             ;   in Loop: Header=BB399_2079 Depth=1
	v_bfe_u32 v31, v24, 16, 7
	v_mov_b32_e32 v28, 0x7f800001
	s_mov_b32 s18, exec_lo
	v_cmpx_ne_u32_e32 0x7f, v31
	s_cbranch_execz .LBB399_3519
; %bb.3516:                             ;   in Loop: Header=BB399_2079 Depth=1
	v_and_b32_sdwa v12, v24, v115 dst_sel:DWORD dst_unused:UNUSED_PAD src0_sel:WORD_1 src1_sel:DWORD
	v_mov_b32_e32 v26, v13
	v_lshrrev_b32_e32 v26, 3, v31
	s_mov_b32 s20, exec_lo
	v_mov_b32_e32 v25, v12
	v_cmpx_gt_u32_e32 8, v31
; %bb.3517:                             ;   in Loop: Header=BB399_2079 Depth=1
	v_ffbh_u32_e32 v25, v12
	v_min_u32_e32 v28, 32, v25
	v_subrev_nc_u32_e32 v25, 28, v28
	v_lshlrev_b64 v[25:26], v25, v[12:13]
	v_sub_nc_u32_e32 v26, 29, v28
	v_and_b32_e32 v25, 7, v25
; %bb.3518:                             ;   in Loop: Header=BB399_2079 Depth=1
	s_or_b32 exec_lo, exec_lo, s20
	v_lshlrev_b32_sdwa v12, v39, v24 dst_sel:DWORD dst_unused:UNUSED_PAD src0_sel:DWORD src1_sel:WORD_1
	v_lshlrev_b32_e32 v25, 20, v25
	v_lshl_add_u32 v26, v26, 23, 0x3c000000
	v_and_b32_e32 v12, 0x80000000, v12
	v_or3_b32 v28, v25, v12, v26
.LBB399_3519:                           ;   in Loop: Header=BB399_2079 Depth=1
	s_or_b32 exec_lo, exec_lo, s18
.LBB399_3520:                           ;   in Loop: Header=BB399_2079 Depth=1
	s_or_b32 exec_lo, exec_lo, s15
.LBB399_3521:                           ;   in Loop: Header=BB399_2079 Depth=1
	s_or_b32 exec_lo, exec_lo, s13
	s_mov_b32 s13, exec_lo
	v_cmpx_lt_u64_e64 s[8:9], v[23:24]
	s_cbranch_execz .LBB399_3529
; %bb.3522:                             ;   in Loop: Header=BB399_2079 Depth=1
	v_cmp_ne_u32_sdwa s4, v24, v114 src0_sel:BYTE_3 src1_sel:DWORD
	v_bfrev_b32_e32 v22, 1
	s_and_saveexec_b32 s15, s4
	s_cbranch_execz .LBB399_3528
; %bb.3523:                             ;   in Loop: Header=BB399_2079 Depth=1
	v_bfe_u32 v23, v24, 24, 7
	v_mov_b32_e32 v22, 0x7f800001
	s_mov_b32 s18, exec_lo
	v_cmpx_ne_u32_e32 0x7f, v23
	s_cbranch_execz .LBB399_3527
; %bb.3524:                             ;   in Loop: Header=BB399_2079 Depth=1
	v_and_b32_sdwa v12, v24, v115 dst_sel:DWORD dst_unused:UNUSED_PAD src0_sel:BYTE_3 src1_sel:DWORD
	v_mov_b32_e32 v26, v13
	v_lshrrev_b32_e32 v22, 3, v23
	s_mov_b32 s20, exec_lo
	v_mov_b32_e32 v25, v12
	v_cmpx_gt_u32_e32 8, v23
; %bb.3525:                             ;   in Loop: Header=BB399_2079 Depth=1
	v_ffbh_u32_e32 v22, v12
	v_min_u32_e32 v22, 32, v22
	v_subrev_nc_u32_e32 v23, 28, v22
	v_sub_nc_u32_e32 v22, 29, v22
	v_lshlrev_b64 v[25:26], v23, v[12:13]
	v_and_b32_e32 v25, 7, v25
; %bb.3526:                             ;   in Loop: Header=BB399_2079 Depth=1
	s_or_b32 exec_lo, exec_lo, s20
	v_lshlrev_b32_sdwa v12, v39, v24 dst_sel:DWORD dst_unused:UNUSED_PAD src0_sel:DWORD src1_sel:BYTE_3
	v_lshlrev_b32_e32 v23, 20, v25
	v_lshl_add_u32 v22, v22, 23, 0x3c000000
	v_and_b32_e32 v12, 0x80000000, v12
	v_or3_b32 v22, v23, v12, v22
.LBB399_3527:                           ;   in Loop: Header=BB399_2079 Depth=1
	s_or_b32 exec_lo, exec_lo, s18
.LBB399_3528:                           ;   in Loop: Header=BB399_2079 Depth=1
	s_or_b32 exec_lo, exec_lo, s15
.LBB399_3529:                           ;   in Loop: Header=BB399_2079 Depth=1
	s_or_b32 exec_lo, exec_lo, s13
	v_mul_f32_e32 v12, v27, v30
	v_mul_f32_e32 v11, v27, v11
	;; [unrolled: 1-line block ×3, first 2 shown]
	v_bfe_u32 v23, v12, 16, 1
	v_or_b32_e32 v24, 0x400000, v12
	v_cmp_u_f32_e64 s4, v12, v12
	v_add3_u32 v23, v23, v12, 0x7fff
	v_cndmask_b32_e64 v12, v23, v24, s4
	v_lshrrev_b32_e32 v98, 16, v12
	v_mul_f32_e32 v12, v27, v29
	v_bfe_u32 v23, v12, 16, 1
	v_or_b32_e32 v24, 0x400000, v12
	v_cmp_u_f32_e64 s4, v12, v12
	v_add3_u32 v23, v23, v12, 0x7fff
	v_cndmask_b32_e64 v12, v23, v24, s4
	v_lshrrev_b32_e32 v100, 16, v12
	v_mul_f32_e32 v12, v27, v21
	;; [unrolled: 7-line block ×3, first 2 shown]
	v_bfe_u32 v16, v12, 16, 1
	v_or_b32_e32 v21, 0x400000, v12
	v_cmp_u_f32_e64 s4, v12, v12
	v_add3_u32 v16, v16, v12, 0x7fff
	v_cndmask_b32_e64 v12, v16, v21, s4
	v_or_b32_e32 v16, 0x400000, v11
	v_cmp_u_f32_e64 s4, v11, v11
	v_lshrrev_b32_e32 v102, 16, v12
	v_bfe_u32 v12, v11, 16, 1
	v_add3_u32 v12, v12, v11, 0x7fff
	v_cndmask_b32_e64 v11, v12, v16, s4
	v_or_b32_e32 v12, 0x400000, v10
	v_cmp_u_f32_e64 s4, v10, v10
	v_lshrrev_b32_e32 v117, 16, v11
	v_bfe_u32 v11, v10, 16, 1
	v_add3_u32 v11, v11, v10, 0x7fff
	v_cndmask_b32_e64 v10, v11, v12, s4
	v_mul_f32_e32 v11, v27, v28
	v_lshrrev_b32_e32 v10, 16, v10
	v_bfe_u32 v12, v11, 16, 1
	v_or_b32_e32 v16, 0x400000, v11
	v_cmp_u_f32_e64 s4, v11, v11
	v_add3_u32 v12, v12, v11, 0x7fff
	v_cndmask_b32_e64 v11, v12, v16, s4
	v_lshrrev_b32_e32 v36, 16, v11
	v_mul_f32_e32 v11, v27, v22
	v_bfe_u32 v12, v11, 16, 1
	v_or_b32_e32 v16, 0x400000, v11
	v_cmp_u_f32_e64 s4, v11, v11
	v_add3_u32 v12, v12, v11, 0x7fff
	v_cndmask_b32_e64 v11, v12, v16, s4
	v_lshrrev_b32_e32 v11, 16, v11
	s_and_saveexec_b32 s13, vcc_lo
	s_cbranch_execz .LBB399_3531
; %bb.3530:                             ;   in Loop: Header=BB399_2079 Depth=1
	v_cmp_lt_i32_e64 s4, v125, v124
	v_cndmask_b32_e64 v10, 0, v10, s4
	v_cmp_lt_i32_e64 s4, v113, v124
	v_cndmask_b32_e64 v117, 0, v117, s4
	;; [unrolled: 2-line block ×8, first 2 shown]
.LBB399_3531:                           ;   in Loop: Header=BB399_2079 Depth=1
	s_or_b32 exec_lo, exec_lo, s13
	flat_load_dwordx2 v[23:24], v[19:20] offset:1536
	v_mov_b32_e32 v21, 0
	v_mov_b32_e32 v16, 0
	s_waitcnt vmcnt(0) lgkmcnt(0)
	v_cmp_ne_u16_sdwa s4, v23, v13 src0_sel:BYTE_0 src1_sel:DWORD
	s_and_saveexec_b32 s13, s4
	s_cbranch_execz .LBB399_3539
; %bb.3532:                             ;   in Loop: Header=BB399_2079 Depth=1
	v_cmp_ne_u16_sdwa s4, v23, v114 src0_sel:BYTE_0 src1_sel:DWORD
	v_bfrev_b32_e32 v16, 1
	s_and_saveexec_b32 s15, s4
	s_cbranch_execz .LBB399_3538
; %bb.3533:                             ;   in Loop: Header=BB399_2079 Depth=1
	v_and_b32_e32 v22, 0x7f, v23
	v_mov_b32_e32 v16, 0x7f800001
	s_mov_b32 s18, exec_lo
	v_cmpx_ne_u32_e32 0x7f, v22
	s_cbranch_execz .LBB399_3537
; %bb.3534:                             ;   in Loop: Header=BB399_2079 Depth=1
	v_mov_b32_e32 v26, v24
	v_lshrrev_b32_e32 v12, 3, v22
	v_mov_b32_e32 v25, v23
	s_mov_b32 s20, exec_lo
	v_cmpx_gt_u32_e32 8, v22
; %bb.3535:                             ;   in Loop: Header=BB399_2079 Depth=1
	v_and_b32_e32 v12, 7, v23
	v_ffbh_u32_e32 v12, v12
	v_min_u32_e32 v12, 32, v12
	v_subrev_nc_u32_e32 v16, 28, v12
	v_sub_nc_u32_e32 v12, 29, v12
	v_lshlrev_b64 v[25:26], v16, v[23:24]
; %bb.3536:                             ;   in Loop: Header=BB399_2079 Depth=1
	s_or_b32 exec_lo, exec_lo, s20
	v_lshlrev_b32_e32 v16, 20, v25
	v_lshlrev_b32_e32 v22, 24, v23
	v_lshl_add_u32 v12, v12, 23, 0x3c000000
	v_and_b32_e32 v16, 0x700000, v16
	v_and_b32_e32 v22, 0x80000000, v22
	v_or3_b32 v16, v16, v22, v12
.LBB399_3537:                           ;   in Loop: Header=BB399_2079 Depth=1
	s_or_b32 exec_lo, exec_lo, s18
.LBB399_3538:                           ;   in Loop: Header=BB399_2079 Depth=1
	s_or_b32 exec_lo, exec_lo, s15
.LBB399_3539:                           ;   in Loop: Header=BB399_2079 Depth=1
	s_or_b32 exec_lo, exec_lo, s13
	v_cmp_ne_u16_sdwa s4, v23, v13 src0_sel:BYTE_1 src1_sel:DWORD
	s_and_saveexec_b32 s13, s4
	s_cbranch_execz .LBB399_3547
; %bb.3540:                             ;   in Loop: Header=BB399_2079 Depth=1
	v_cmp_ne_u16_sdwa s4, v23, v114 src0_sel:BYTE_1 src1_sel:DWORD
	v_bfrev_b32_e32 v21, 1
	s_and_saveexec_b32 s15, s4
	s_cbranch_execz .LBB399_3546
; %bb.3541:                             ;   in Loop: Header=BB399_2079 Depth=1
	v_and_b32_sdwa v12, v112, v23 dst_sel:DWORD dst_unused:UNUSED_PAD src0_sel:DWORD src1_sel:BYTE_1
	v_mov_b32_e32 v21, 0x7f800001
	s_mov_b32 s18, exec_lo
	v_and_b32_e32 v22, 0x7f, v12
	v_cmpx_ne_u32_e32 0x7f, v22
	s_cbranch_execz .LBB399_3545
; %bb.3542:                             ;   in Loop: Header=BB399_2079 Depth=1
	v_and_b32_e32 v12, 7, v12
	v_mov_b32_e32 v26, v13
	v_lshrrev_b32_e32 v21, 3, v22
	s_mov_b32 s20, exec_lo
	v_mov_b32_e32 v25, v12
	v_cmpx_gt_u32_e32 8, v22
; %bb.3543:                             ;   in Loop: Header=BB399_2079 Depth=1
	v_ffbh_u32_e32 v21, v12
	v_min_u32_e32 v21, 32, v21
	v_subrev_nc_u32_e32 v22, 28, v21
	v_sub_nc_u32_e32 v21, 29, v21
	v_lshlrev_b64 v[25:26], v22, v[12:13]
	v_and_b32_e32 v25, 7, v25
; %bb.3544:                             ;   in Loop: Header=BB399_2079 Depth=1
	s_or_b32 exec_lo, exec_lo, s20
	v_lshlrev_b32_e32 v12, 16, v23
	v_lshlrev_b32_e32 v22, 20, v25
	v_lshl_add_u32 v21, v21, 23, 0x3c000000
	v_and_b32_e32 v12, 0x80000000, v12
	v_or3_b32 v21, v22, v12, v21
.LBB399_3545:                           ;   in Loop: Header=BB399_2079 Depth=1
	s_or_b32 exec_lo, exec_lo, s18
.LBB399_3546:                           ;   in Loop: Header=BB399_2079 Depth=1
	s_or_b32 exec_lo, exec_lo, s15
.LBB399_3547:                           ;   in Loop: Header=BB399_2079 Depth=1
	s_or_b32 exec_lo, exec_lo, s13
	v_and_b32_sdwa v12, v23, v116 dst_sel:DWORD dst_unused:UNUSED_PAD src0_sel:WORD_1 src1_sel:DWORD
	v_mov_b32_e32 v28, 0
	v_mov_b32_e32 v22, 0
	s_mov_b32 s13, exec_lo
	v_cmpx_ne_u16_e32 0, v12
	s_cbranch_execz .LBB399_3555
; %bb.3548:                             ;   in Loop: Header=BB399_2079 Depth=1
	v_bfrev_b32_e32 v22, 1
	s_mov_b32 s15, exec_lo
	v_cmpx_ne_u16_e32 0x80, v12
	s_cbranch_execz .LBB399_3554
; %bb.3549:                             ;   in Loop: Header=BB399_2079 Depth=1
	v_bfe_u32 v29, v23, 16, 7
	v_mov_b32_e32 v22, 0x7f800001
	s_mov_b32 s18, exec_lo
	v_cmpx_ne_u32_e32 0x7f, v29
	s_cbranch_execz .LBB399_3553
; %bb.3550:                             ;   in Loop: Header=BB399_2079 Depth=1
	v_and_b32_sdwa v12, v23, v115 dst_sel:DWORD dst_unused:UNUSED_PAD src0_sel:WORD_1 src1_sel:DWORD
	v_mov_b32_e32 v26, v13
	v_lshrrev_b32_e32 v22, 3, v29
	s_mov_b32 s20, exec_lo
	v_mov_b32_e32 v25, v12
	v_cmpx_gt_u32_e32 8, v29
; %bb.3551:                             ;   in Loop: Header=BB399_2079 Depth=1
	v_ffbh_u32_e32 v22, v12
	v_min_u32_e32 v22, 32, v22
	v_subrev_nc_u32_e32 v25, 28, v22
	v_sub_nc_u32_e32 v22, 29, v22
	v_lshlrev_b64 v[25:26], v25, v[12:13]
	v_and_b32_e32 v25, 7, v25
; %bb.3552:                             ;   in Loop: Header=BB399_2079 Depth=1
	s_or_b32 exec_lo, exec_lo, s20
	v_lshlrev_b32_sdwa v12, v39, v23 dst_sel:DWORD dst_unused:UNUSED_PAD src0_sel:DWORD src1_sel:WORD_1
	v_lshlrev_b32_e32 v25, 20, v25
	v_lshl_add_u32 v22, v22, 23, 0x3c000000
	v_and_b32_e32 v12, 0x80000000, v12
	v_or3_b32 v22, v25, v12, v22
.LBB399_3553:                           ;   in Loop: Header=BB399_2079 Depth=1
	s_or_b32 exec_lo, exec_lo, s18
.LBB399_3554:                           ;   in Loop: Header=BB399_2079 Depth=1
	s_or_b32 exec_lo, exec_lo, s15
.LBB399_3555:                           ;   in Loop: Header=BB399_2079 Depth=1
	s_or_b32 exec_lo, exec_lo, s13
	s_mov_b32 s13, exec_lo
	v_cmpx_lt_u32_e32 0xffffff, v23
	s_cbranch_execz .LBB399_3563
; %bb.3556:                             ;   in Loop: Header=BB399_2079 Depth=1
	v_cmp_ne_u32_sdwa s4, v23, v114 src0_sel:BYTE_3 src1_sel:DWORD
	v_bfrev_b32_e32 v28, 1
	s_and_saveexec_b32 s15, s4
	s_cbranch_execz .LBB399_3562
; %bb.3557:                             ;   in Loop: Header=BB399_2079 Depth=1
	v_bfe_u32 v29, v23, 24, 7
	v_mov_b32_e32 v28, 0x7f800001
	s_mov_b32 s18, exec_lo
	v_cmpx_ne_u32_e32 0x7f, v29
	s_cbranch_execz .LBB399_3561
; %bb.3558:                             ;   in Loop: Header=BB399_2079 Depth=1
	v_and_b32_sdwa v12, v23, v115 dst_sel:DWORD dst_unused:UNUSED_PAD src0_sel:BYTE_3 src1_sel:DWORD
	v_mov_b32_e32 v26, v13
	v_lshrrev_b32_e32 v26, 3, v29
	s_mov_b32 s20, exec_lo
	v_mov_b32_e32 v25, v12
	v_cmpx_gt_u32_e32 8, v29
; %bb.3559:                             ;   in Loop: Header=BB399_2079 Depth=1
	v_ffbh_u32_e32 v25, v12
	v_min_u32_e32 v28, 32, v25
	v_subrev_nc_u32_e32 v25, 28, v28
	v_lshlrev_b64 v[25:26], v25, v[12:13]
	v_sub_nc_u32_e32 v26, 29, v28
	v_and_b32_e32 v25, 7, v25
; %bb.3560:                             ;   in Loop: Header=BB399_2079 Depth=1
	s_or_b32 exec_lo, exec_lo, s20
	v_lshlrev_b32_sdwa v12, v39, v23 dst_sel:DWORD dst_unused:UNUSED_PAD src0_sel:DWORD src1_sel:BYTE_3
	v_lshlrev_b32_e32 v25, 20, v25
	v_lshl_add_u32 v26, v26, 23, 0x3c000000
	v_and_b32_e32 v12, 0x80000000, v12
	v_or3_b32 v28, v25, v12, v26
.LBB399_3561:                           ;   in Loop: Header=BB399_2079 Depth=1
	s_or_b32 exec_lo, exec_lo, s18
.LBB399_3562:                           ;   in Loop: Header=BB399_2079 Depth=1
	s_or_b32 exec_lo, exec_lo, s15
.LBB399_3563:                           ;   in Loop: Header=BB399_2079 Depth=1
	s_or_b32 exec_lo, exec_lo, s13
	v_mov_b32_e32 v12, v24
	v_cmp_ne_u16_sdwa s4, v24, v13 src0_sel:BYTE_0 src1_sel:DWORD
	v_mov_b32_e32 v32, 0
	v_mov_b32_e32 v31, 0
	s_and_saveexec_b32 s13, s4
	s_cbranch_execz .LBB399_3571
; %bb.3564:                             ;   in Loop: Header=BB399_2079 Depth=1
	v_cmp_ne_u16_sdwa s4, v24, v114 src0_sel:BYTE_0 src1_sel:DWORD
	v_bfrev_b32_e32 v31, 1
	s_and_saveexec_b32 s15, s4
	s_cbranch_execz .LBB399_3570
; %bb.3565:                             ;   in Loop: Header=BB399_2079 Depth=1
	v_and_b32_e32 v29, 0x7f, v24
	v_mov_b32_e32 v31, 0x7f800001
	s_mov_b32 s18, exec_lo
	v_cmpx_ne_u32_e32 0x7f, v29
	s_cbranch_execz .LBB399_3569
; %bb.3566:                             ;   in Loop: Header=BB399_2079 Depth=1
	v_mov_b32_e32 v26, v13
	v_mov_b32_e32 v25, v12
	v_lshrrev_b32_e32 v26, 3, v29
	s_mov_b32 s20, exec_lo
	v_cmpx_gt_u32_e32 8, v29
; %bb.3567:                             ;   in Loop: Header=BB399_2079 Depth=1
	v_and_b32_e32 v25, 7, v24
	v_ffbh_u32_e32 v25, v25
	v_min_u32_e32 v29, 32, v25
	v_subrev_nc_u32_e32 v25, 28, v29
	v_lshlrev_b64 v[25:26], v25, v[12:13]
	v_sub_nc_u32_e32 v26, 29, v29
; %bb.3568:                             ;   in Loop: Header=BB399_2079 Depth=1
	s_or_b32 exec_lo, exec_lo, s20
	v_lshlrev_b32_e32 v25, 20, v25
	v_lshlrev_b32_e32 v29, 24, v12
	v_lshl_add_u32 v26, v26, 23, 0x3c000000
	v_and_b32_e32 v25, 0x700000, v25
	v_and_b32_e32 v29, 0x80000000, v29
	v_or3_b32 v31, v25, v29, v26
.LBB399_3569:                           ;   in Loop: Header=BB399_2079 Depth=1
	s_or_b32 exec_lo, exec_lo, s18
.LBB399_3570:                           ;   in Loop: Header=BB399_2079 Depth=1
	s_or_b32 exec_lo, exec_lo, s15
.LBB399_3571:                           ;   in Loop: Header=BB399_2079 Depth=1
	s_or_b32 exec_lo, exec_lo, s13
	v_cmp_ne_u16_sdwa s4, v12, v13 src0_sel:BYTE_1 src1_sel:DWORD
	s_and_saveexec_b32 s13, s4
	s_cbranch_execz .LBB399_3579
; %bb.3572:                             ;   in Loop: Header=BB399_2079 Depth=1
	v_cmp_ne_u16_sdwa s4, v12, v114 src0_sel:BYTE_1 src1_sel:DWORD
	v_bfrev_b32_e32 v32, 1
	s_and_saveexec_b32 s15, s4
	s_cbranch_execz .LBB399_3578
; %bb.3573:                             ;   in Loop: Header=BB399_2079 Depth=1
	v_and_b32_sdwa v25, v112, v12 dst_sel:DWORD dst_unused:UNUSED_PAD src0_sel:DWORD src1_sel:BYTE_1
	v_mov_b32_e32 v32, 0x7f800001
	s_mov_b32 s18, exec_lo
	v_and_b32_e32 v30, 0x7f, v25
	v_cmpx_ne_u32_e32 0x7f, v30
	s_cbranch_execz .LBB399_3577
; %bb.3574:                             ;   in Loop: Header=BB399_2079 Depth=1
	v_and_b32_e32 v25, 7, v25
	v_mov_b32_e32 v26, v13
	v_lshrrev_b32_e32 v29, 3, v30
	s_mov_b32 s20, exec_lo
	v_cmpx_gt_u32_e32 8, v30
; %bb.3575:                             ;   in Loop: Header=BB399_2079 Depth=1
	v_ffbh_u32_e32 v29, v25
	v_min_u32_e32 v29, 32, v29
	v_subrev_nc_u32_e32 v30, 28, v29
	v_sub_nc_u32_e32 v29, 29, v29
	v_lshlrev_b64 v[25:26], v30, v[25:26]
	v_and_b32_e32 v25, 7, v25
; %bb.3576:                             ;   in Loop: Header=BB399_2079 Depth=1
	s_or_b32 exec_lo, exec_lo, s20
	v_lshlrev_b32_e32 v12, 16, v12
	v_lshlrev_b32_e32 v25, 20, v25
	v_lshl_add_u32 v26, v29, 23, 0x3c000000
	v_and_b32_e32 v12, 0x80000000, v12
	v_or3_b32 v32, v25, v12, v26
.LBB399_3577:                           ;   in Loop: Header=BB399_2079 Depth=1
	s_or_b32 exec_lo, exec_lo, s18
.LBB399_3578:                           ;   in Loop: Header=BB399_2079 Depth=1
	s_or_b32 exec_lo, exec_lo, s15
.LBB399_3579:                           ;   in Loop: Header=BB399_2079 Depth=1
	s_or_b32 exec_lo, exec_lo, s13
	v_and_b32_sdwa v12, v24, v116 dst_sel:DWORD dst_unused:UNUSED_PAD src0_sel:WORD_1 src1_sel:DWORD
	v_mov_b32_e32 v29, 0
	v_mov_b32_e32 v30, 0
	s_mov_b32 s13, exec_lo
	v_cmpx_ne_u16_e32 0, v12
	s_cbranch_execz .LBB399_3587
; %bb.3580:                             ;   in Loop: Header=BB399_2079 Depth=1
	v_bfrev_b32_e32 v30, 1
	s_mov_b32 s15, exec_lo
	v_cmpx_ne_u16_e32 0x80, v12
	s_cbranch_execz .LBB399_3586
; %bb.3581:                             ;   in Loop: Header=BB399_2079 Depth=1
	v_bfe_u32 v33, v24, 16, 7
	v_mov_b32_e32 v30, 0x7f800001
	s_mov_b32 s18, exec_lo
	v_cmpx_ne_u32_e32 0x7f, v33
	s_cbranch_execz .LBB399_3585
; %bb.3582:                             ;   in Loop: Header=BB399_2079 Depth=1
	v_and_b32_sdwa v12, v24, v115 dst_sel:DWORD dst_unused:UNUSED_PAD src0_sel:WORD_1 src1_sel:DWORD
	v_mov_b32_e32 v26, v13
	v_lshrrev_b32_e32 v26, 3, v33
	s_mov_b32 s20, exec_lo
	v_mov_b32_e32 v25, v12
	v_cmpx_gt_u32_e32 8, v33
; %bb.3583:                             ;   in Loop: Header=BB399_2079 Depth=1
	v_ffbh_u32_e32 v25, v12
	v_min_u32_e32 v30, 32, v25
	v_subrev_nc_u32_e32 v25, 28, v30
	v_lshlrev_b64 v[25:26], v25, v[12:13]
	v_sub_nc_u32_e32 v26, 29, v30
	v_and_b32_e32 v25, 7, v25
; %bb.3584:                             ;   in Loop: Header=BB399_2079 Depth=1
	s_or_b32 exec_lo, exec_lo, s20
	v_lshlrev_b32_sdwa v12, v39, v24 dst_sel:DWORD dst_unused:UNUSED_PAD src0_sel:DWORD src1_sel:WORD_1
	v_lshlrev_b32_e32 v25, 20, v25
	v_lshl_add_u32 v26, v26, 23, 0x3c000000
	v_and_b32_e32 v12, 0x80000000, v12
	v_or3_b32 v30, v25, v12, v26
.LBB399_3585:                           ;   in Loop: Header=BB399_2079 Depth=1
	s_or_b32 exec_lo, exec_lo, s18
.LBB399_3586:                           ;   in Loop: Header=BB399_2079 Depth=1
	s_or_b32 exec_lo, exec_lo, s15
.LBB399_3587:                           ;   in Loop: Header=BB399_2079 Depth=1
	s_or_b32 exec_lo, exec_lo, s13
	s_mov_b32 s13, exec_lo
	v_cmpx_lt_u64_e64 s[8:9], v[23:24]
	s_cbranch_execz .LBB399_3595
; %bb.3588:                             ;   in Loop: Header=BB399_2079 Depth=1
	v_cmp_ne_u32_sdwa s4, v24, v114 src0_sel:BYTE_3 src1_sel:DWORD
	v_bfrev_b32_e32 v29, 1
	s_and_saveexec_b32 s15, s4
	s_cbranch_execz .LBB399_3594
; %bb.3589:                             ;   in Loop: Header=BB399_2079 Depth=1
	v_bfe_u32 v33, v24, 24, 7
	v_mov_b32_e32 v29, 0x7f800001
	s_mov_b32 s18, exec_lo
	v_cmpx_ne_u32_e32 0x7f, v33
	s_cbranch_execz .LBB399_3593
; %bb.3590:                             ;   in Loop: Header=BB399_2079 Depth=1
	v_and_b32_sdwa v12, v24, v115 dst_sel:DWORD dst_unused:UNUSED_PAD src0_sel:BYTE_3 src1_sel:DWORD
	v_mov_b32_e32 v26, v13
	v_lshrrev_b32_e32 v23, 3, v33
	s_mov_b32 s20, exec_lo
	v_mov_b32_e32 v25, v12
	v_cmpx_gt_u32_e32 8, v33
; %bb.3591:                             ;   in Loop: Header=BB399_2079 Depth=1
	v_ffbh_u32_e32 v23, v12
	v_min_u32_e32 v23, 32, v23
	v_subrev_nc_u32_e32 v25, 28, v23
	v_sub_nc_u32_e32 v23, 29, v23
	v_lshlrev_b64 v[25:26], v25, v[12:13]
	v_and_b32_e32 v25, 7, v25
; %bb.3592:                             ;   in Loop: Header=BB399_2079 Depth=1
	s_or_b32 exec_lo, exec_lo, s20
	v_lshlrev_b32_sdwa v12, v39, v24 dst_sel:DWORD dst_unused:UNUSED_PAD src0_sel:DWORD src1_sel:BYTE_3
	v_lshlrev_b32_e32 v24, 20, v25
	v_lshl_add_u32 v23, v23, 23, 0x3c000000
	v_and_b32_e32 v12, 0x80000000, v12
	v_or3_b32 v29, v24, v12, v23
.LBB399_3593:                           ;   in Loop: Header=BB399_2079 Depth=1
	s_or_b32 exec_lo, exec_lo, s18
.LBB399_3594:                           ;   in Loop: Header=BB399_2079 Depth=1
	s_or_b32 exec_lo, exec_lo, s15
.LBB399_3595:                           ;   in Loop: Header=BB399_2079 Depth=1
	s_or_b32 exec_lo, exec_lo, s13
	v_mul_f32_e32 v12, v27, v32
	v_bfe_u32 v23, v12, 16, 1
	v_or_b32_e32 v24, 0x400000, v12
	v_cmp_u_f32_e64 s4, v12, v12
	v_add3_u32 v23, v23, v12, 0x7fff
	v_cndmask_b32_e64 v12, v23, v24, s4
	v_lshrrev_b32_e32 v25, 16, v12
	v_mul_f32_e32 v12, v27, v31
	v_bfe_u32 v23, v12, 16, 1
	v_or_b32_e32 v24, 0x400000, v12
	v_cmp_u_f32_e64 s4, v12, v12
	v_add3_u32 v23, v23, v12, 0x7fff
	v_cndmask_b32_e64 v12, v23, v24, s4
	v_lshrrev_b32_e32 v26, 16, v12
	;; [unrolled: 7-line block ×8, first 2 shown]
	s_and_saveexec_b32 s13, vcc_lo
	s_cbranch_execz .LBB399_3597
; %bb.3596:                             ;   in Loop: Header=BB399_2079 Depth=1
	v_cmp_lt_i32_e64 s4, v125, v124
	v_cndmask_b32_e64 v99, 0, v99, s4
	v_cmp_lt_i32_e64 s4, v113, v124
	v_cndmask_b32_e64 v28, 0, v28, s4
	;; [unrolled: 2-line block ×8, first 2 shown]
.LBB399_3597:                           ;   in Loop: Header=BB399_2079 Depth=1
	s_or_b32 exec_lo, exec_lo, s13
	flat_load_dwordx2 v[19:20], v[19:20] offset:1792
	v_mov_b32_e32 v29, 0
	v_mov_b32_e32 v16, 0
	s_waitcnt vmcnt(0) lgkmcnt(0)
	v_cmp_ne_u16_sdwa s4, v19, v13 src0_sel:BYTE_0 src1_sel:DWORD
	s_and_saveexec_b32 s13, s4
	s_cbranch_execz .LBB399_3605
; %bb.3598:                             ;   in Loop: Header=BB399_2079 Depth=1
	v_cmp_ne_u16_sdwa s4, v19, v114 src0_sel:BYTE_0 src1_sel:DWORD
	v_bfrev_b32_e32 v16, 1
	s_and_saveexec_b32 s15, s4
	s_cbranch_execz .LBB399_3604
; %bb.3599:                             ;   in Loop: Header=BB399_2079 Depth=1
	v_and_b32_e32 v23, 0x7f, v19
	v_mov_b32_e32 v16, 0x7f800001
	s_mov_b32 s18, exec_lo
	v_cmpx_ne_u32_e32 0x7f, v23
	s_cbranch_execz .LBB399_3603
; %bb.3600:                             ;   in Loop: Header=BB399_2079 Depth=1
	v_lshrrev_b32_e32 v12, 3, v23
	v_cmp_gt_u32_e64 s4, 8, v23
	v_mov_b32_e32 v24, v20
	v_mov_b32_e32 v23, v19
	s_and_saveexec_b32 s20, s4
; %bb.3601:                             ;   in Loop: Header=BB399_2079 Depth=1
	v_and_b32_e32 v12, 7, v19
	v_ffbh_u32_e32 v12, v12
	v_min_u32_e32 v12, 32, v12
	v_subrev_nc_u32_e32 v16, 28, v12
	v_sub_nc_u32_e32 v12, 29, v12
	v_lshlrev_b64 v[23:24], v16, v[19:20]
; %bb.3602:                             ;   in Loop: Header=BB399_2079 Depth=1
	s_or_b32 exec_lo, exec_lo, s20
	v_lshlrev_b32_e32 v16, 20, v23
	v_lshlrev_b32_e32 v23, 24, v19
	v_lshl_add_u32 v12, v12, 23, 0x3c000000
	v_and_b32_e32 v16, 0x700000, v16
	v_and_b32_e32 v23, 0x80000000, v23
	v_or3_b32 v16, v16, v23, v12
.LBB399_3603:                           ;   in Loop: Header=BB399_2079 Depth=1
	s_or_b32 exec_lo, exec_lo, s18
.LBB399_3604:                           ;   in Loop: Header=BB399_2079 Depth=1
	s_or_b32 exec_lo, exec_lo, s15
.LBB399_3605:                           ;   in Loop: Header=BB399_2079 Depth=1
	s_or_b32 exec_lo, exec_lo, s13
	v_cmp_ne_u16_sdwa s4, v19, v13 src0_sel:BYTE_1 src1_sel:DWORD
	s_and_saveexec_b32 s13, s4
	s_cbranch_execz .LBB399_3613
; %bb.3606:                             ;   in Loop: Header=BB399_2079 Depth=1
	v_cmp_ne_u16_sdwa s4, v19, v114 src0_sel:BYTE_1 src1_sel:DWORD
	v_bfrev_b32_e32 v29, 1
	s_and_saveexec_b32 s15, s4
	s_cbranch_execz .LBB399_3612
; %bb.3607:                             ;   in Loop: Header=BB399_2079 Depth=1
	v_and_b32_sdwa v12, v112, v19 dst_sel:DWORD dst_unused:UNUSED_PAD src0_sel:DWORD src1_sel:BYTE_1
	v_mov_b32_e32 v29, 0x7f800001
	s_mov_b32 s18, exec_lo
	v_and_b32_e32 v30, 0x7f, v12
	v_cmpx_ne_u32_e32 0x7f, v30
	s_cbranch_execz .LBB399_3611
; %bb.3608:                             ;   in Loop: Header=BB399_2079 Depth=1
	v_and_b32_e32 v12, 7, v12
	v_mov_b32_e32 v24, v13
	v_lshrrev_b32_e32 v24, 3, v30
	s_mov_b32 s20, exec_lo
	v_mov_b32_e32 v23, v12
	v_cmpx_gt_u32_e32 8, v30
; %bb.3609:                             ;   in Loop: Header=BB399_2079 Depth=1
	v_ffbh_u32_e32 v23, v12
	v_min_u32_e32 v29, 32, v23
	v_subrev_nc_u32_e32 v23, 28, v29
	v_lshlrev_b64 v[23:24], v23, v[12:13]
	v_sub_nc_u32_e32 v24, 29, v29
	v_and_b32_e32 v23, 7, v23
; %bb.3610:                             ;   in Loop: Header=BB399_2079 Depth=1
	s_or_b32 exec_lo, exec_lo, s20
	v_lshlrev_b32_e32 v12, 16, v19
	v_lshlrev_b32_e32 v23, 20, v23
	v_lshl_add_u32 v24, v24, 23, 0x3c000000
	v_and_b32_e32 v12, 0x80000000, v12
	v_or3_b32 v29, v23, v12, v24
.LBB399_3611:                           ;   in Loop: Header=BB399_2079 Depth=1
	s_or_b32 exec_lo, exec_lo, s18
.LBB399_3612:                           ;   in Loop: Header=BB399_2079 Depth=1
	s_or_b32 exec_lo, exec_lo, s15
.LBB399_3613:                           ;   in Loop: Header=BB399_2079 Depth=1
	s_or_b32 exec_lo, exec_lo, s13
	v_and_b32_sdwa v12, v19, v116 dst_sel:DWORD dst_unused:UNUSED_PAD src0_sel:WORD_1 src1_sel:DWORD
	v_mov_b32_e32 v31, 0
	v_mov_b32_e32 v30, 0
	s_mov_b32 s13, exec_lo
	v_cmpx_ne_u16_e32 0, v12
	s_cbranch_execz .LBB399_3621
; %bb.3614:                             ;   in Loop: Header=BB399_2079 Depth=1
	v_bfrev_b32_e32 v30, 1
	s_mov_b32 s15, exec_lo
	v_cmpx_ne_u16_e32 0x80, v12
	s_cbranch_execz .LBB399_3620
; %bb.3615:                             ;   in Loop: Header=BB399_2079 Depth=1
	v_bfe_u32 v32, v19, 16, 7
	v_mov_b32_e32 v30, 0x7f800001
	s_mov_b32 s18, exec_lo
	v_cmpx_ne_u32_e32 0x7f, v32
	s_cbranch_execz .LBB399_3619
; %bb.3616:                             ;   in Loop: Header=BB399_2079 Depth=1
	v_and_b32_sdwa v12, v19, v115 dst_sel:DWORD dst_unused:UNUSED_PAD src0_sel:WORD_1 src1_sel:DWORD
	v_mov_b32_e32 v24, v13
	v_lshrrev_b32_e32 v24, 3, v32
	s_mov_b32 s20, exec_lo
	v_mov_b32_e32 v23, v12
	v_cmpx_gt_u32_e32 8, v32
; %bb.3617:                             ;   in Loop: Header=BB399_2079 Depth=1
	v_ffbh_u32_e32 v23, v12
	v_min_u32_e32 v30, 32, v23
	v_subrev_nc_u32_e32 v23, 28, v30
	v_lshlrev_b64 v[23:24], v23, v[12:13]
	v_sub_nc_u32_e32 v24, 29, v30
	v_and_b32_e32 v23, 7, v23
; %bb.3618:                             ;   in Loop: Header=BB399_2079 Depth=1
	s_or_b32 exec_lo, exec_lo, s20
	v_lshlrev_b32_sdwa v12, v39, v19 dst_sel:DWORD dst_unused:UNUSED_PAD src0_sel:DWORD src1_sel:WORD_1
	v_lshlrev_b32_e32 v23, 20, v23
	v_lshl_add_u32 v24, v24, 23, 0x3c000000
	v_and_b32_e32 v12, 0x80000000, v12
	v_or3_b32 v30, v23, v12, v24
.LBB399_3619:                           ;   in Loop: Header=BB399_2079 Depth=1
	s_or_b32 exec_lo, exec_lo, s18
.LBB399_3620:                           ;   in Loop: Header=BB399_2079 Depth=1
	s_or_b32 exec_lo, exec_lo, s15
.LBB399_3621:                           ;   in Loop: Header=BB399_2079 Depth=1
	s_or_b32 exec_lo, exec_lo, s13
	s_mov_b32 s13, exec_lo
	v_cmpx_lt_u32_e32 0xffffff, v19
	s_cbranch_execz .LBB399_3629
; %bb.3622:                             ;   in Loop: Header=BB399_2079 Depth=1
	v_cmp_ne_u32_sdwa s4, v19, v114 src0_sel:BYTE_3 src1_sel:DWORD
	v_bfrev_b32_e32 v31, 1
	s_and_saveexec_b32 s15, s4
	s_cbranch_execz .LBB399_3628
; %bb.3623:                             ;   in Loop: Header=BB399_2079 Depth=1
	v_bfe_u32 v32, v19, 24, 7
	v_mov_b32_e32 v31, 0x7f800001
	s_mov_b32 s18, exec_lo
	v_cmpx_ne_u32_e32 0x7f, v32
	s_cbranch_execz .LBB399_3627
; %bb.3624:                             ;   in Loop: Header=BB399_2079 Depth=1
	v_and_b32_sdwa v12, v19, v115 dst_sel:DWORD dst_unused:UNUSED_PAD src0_sel:BYTE_3 src1_sel:DWORD
	v_mov_b32_e32 v24, v13
	v_lshrrev_b32_e32 v24, 3, v32
	s_mov_b32 s20, exec_lo
	v_mov_b32_e32 v23, v12
	v_cmpx_gt_u32_e32 8, v32
; %bb.3625:                             ;   in Loop: Header=BB399_2079 Depth=1
	v_ffbh_u32_e32 v23, v12
	v_min_u32_e32 v31, 32, v23
	v_subrev_nc_u32_e32 v23, 28, v31
	v_lshlrev_b64 v[23:24], v23, v[12:13]
	v_sub_nc_u32_e32 v24, 29, v31
	v_and_b32_e32 v23, 7, v23
; %bb.3626:                             ;   in Loop: Header=BB399_2079 Depth=1
	s_or_b32 exec_lo, exec_lo, s20
	v_lshlrev_b32_sdwa v12, v39, v19 dst_sel:DWORD dst_unused:UNUSED_PAD src0_sel:DWORD src1_sel:BYTE_3
	v_lshlrev_b32_e32 v23, 20, v23
	v_lshl_add_u32 v24, v24, 23, 0x3c000000
	v_and_b32_e32 v12, 0x80000000, v12
	v_or3_b32 v31, v23, v12, v24
.LBB399_3627:                           ;   in Loop: Header=BB399_2079 Depth=1
	s_or_b32 exec_lo, exec_lo, s18
.LBB399_3628:                           ;   in Loop: Header=BB399_2079 Depth=1
	s_or_b32 exec_lo, exec_lo, s15
.LBB399_3629:                           ;   in Loop: Header=BB399_2079 Depth=1
	s_or_b32 exec_lo, exec_lo, s13
	v_mov_b32_e32 v12, v20
	v_cmp_ne_u16_sdwa s4, v20, v13 src0_sel:BYTE_0 src1_sel:DWORD
	v_mov_b32_e32 v35, 0
	v_mov_b32_e32 v34, 0
	s_and_saveexec_b32 s13, s4
	s_cbranch_execz .LBB399_3637
; %bb.3630:                             ;   in Loop: Header=BB399_2079 Depth=1
	v_cmp_ne_u16_sdwa s4, v20, v114 src0_sel:BYTE_0 src1_sel:DWORD
	v_bfrev_b32_e32 v34, 1
	s_and_saveexec_b32 s15, s4
	s_cbranch_execz .LBB399_3636
; %bb.3631:                             ;   in Loop: Header=BB399_2079 Depth=1
	v_and_b32_e32 v32, 0x7f, v20
	v_mov_b32_e32 v34, 0x7f800001
	s_mov_b32 s18, exec_lo
	v_cmpx_ne_u32_e32 0x7f, v32
	s_cbranch_execz .LBB399_3635
; %bb.3632:                             ;   in Loop: Header=BB399_2079 Depth=1
	v_mov_b32_e32 v24, v13
	v_mov_b32_e32 v23, v12
	v_lshrrev_b32_e32 v24, 3, v32
	s_mov_b32 s20, exec_lo
	v_cmpx_gt_u32_e32 8, v32
; %bb.3633:                             ;   in Loop: Header=BB399_2079 Depth=1
	v_and_b32_e32 v23, 7, v20
	v_ffbh_u32_e32 v23, v23
	v_min_u32_e32 v32, 32, v23
	v_subrev_nc_u32_e32 v23, 28, v32
	v_lshlrev_b64 v[23:24], v23, v[12:13]
	v_sub_nc_u32_e32 v24, 29, v32
; %bb.3634:                             ;   in Loop: Header=BB399_2079 Depth=1
	s_or_b32 exec_lo, exec_lo, s20
	v_lshlrev_b32_e32 v23, 20, v23
	v_lshlrev_b32_e32 v32, 24, v12
	v_lshl_add_u32 v24, v24, 23, 0x3c000000
	v_and_b32_e32 v23, 0x700000, v23
	v_and_b32_e32 v32, 0x80000000, v32
	v_or3_b32 v34, v23, v32, v24
.LBB399_3635:                           ;   in Loop: Header=BB399_2079 Depth=1
	s_or_b32 exec_lo, exec_lo, s18
.LBB399_3636:                           ;   in Loop: Header=BB399_2079 Depth=1
	s_or_b32 exec_lo, exec_lo, s15
.LBB399_3637:                           ;   in Loop: Header=BB399_2079 Depth=1
	s_or_b32 exec_lo, exec_lo, s13
	v_cmp_ne_u16_sdwa s4, v12, v13 src0_sel:BYTE_1 src1_sel:DWORD
	s_and_saveexec_b32 s13, s4
	s_cbranch_execz .LBB399_3645
; %bb.3638:                             ;   in Loop: Header=BB399_2079 Depth=1
	v_cmp_ne_u16_sdwa s4, v12, v114 src0_sel:BYTE_1 src1_sel:DWORD
	v_bfrev_b32_e32 v35, 1
	s_and_saveexec_b32 s15, s4
	s_cbranch_execz .LBB399_3644
; %bb.3639:                             ;   in Loop: Header=BB399_2079 Depth=1
	v_and_b32_sdwa v23, v112, v12 dst_sel:DWORD dst_unused:UNUSED_PAD src0_sel:DWORD src1_sel:BYTE_1
	v_mov_b32_e32 v35, 0x7f800001
	s_mov_b32 s18, exec_lo
	v_and_b32_e32 v33, 0x7f, v23
	v_cmpx_ne_u32_e32 0x7f, v33
	s_cbranch_execz .LBB399_3643
; %bb.3640:                             ;   in Loop: Header=BB399_2079 Depth=1
	v_and_b32_e32 v23, 7, v23
	v_mov_b32_e32 v24, v13
	v_lshrrev_b32_e32 v32, 3, v33
	s_mov_b32 s20, exec_lo
	v_cmpx_gt_u32_e32 8, v33
; %bb.3641:                             ;   in Loop: Header=BB399_2079 Depth=1
	v_ffbh_u32_e32 v32, v23
	v_min_u32_e32 v32, 32, v32
	v_subrev_nc_u32_e32 v33, 28, v32
	v_sub_nc_u32_e32 v32, 29, v32
	v_lshlrev_b64 v[23:24], v33, v[23:24]
	v_and_b32_e32 v23, 7, v23
; %bb.3642:                             ;   in Loop: Header=BB399_2079 Depth=1
	s_or_b32 exec_lo, exec_lo, s20
	v_lshlrev_b32_e32 v12, 16, v12
	v_lshlrev_b32_e32 v23, 20, v23
	v_lshl_add_u32 v24, v32, 23, 0x3c000000
	v_and_b32_e32 v12, 0x80000000, v12
	v_or3_b32 v35, v23, v12, v24
.LBB399_3643:                           ;   in Loop: Header=BB399_2079 Depth=1
	s_or_b32 exec_lo, exec_lo, s18
.LBB399_3644:                           ;   in Loop: Header=BB399_2079 Depth=1
	s_or_b32 exec_lo, exec_lo, s15
.LBB399_3645:                           ;   in Loop: Header=BB399_2079 Depth=1
	s_or_b32 exec_lo, exec_lo, s13
	v_and_b32_sdwa v12, v20, v116 dst_sel:DWORD dst_unused:UNUSED_PAD src0_sel:WORD_1 src1_sel:DWORD
	v_mov_b32_e32 v32, 0
	v_mov_b32_e32 v33, 0
	s_mov_b32 s13, exec_lo
	v_cmpx_ne_u16_e32 0, v12
	s_cbranch_execz .LBB399_3653
; %bb.3646:                             ;   in Loop: Header=BB399_2079 Depth=1
	v_bfrev_b32_e32 v33, 1
	s_mov_b32 s15, exec_lo
	v_cmpx_ne_u16_e32 0x80, v12
	s_cbranch_execz .LBB399_3652
; %bb.3647:                             ;   in Loop: Header=BB399_2079 Depth=1
	v_bfe_u32 v49, v20, 16, 7
	v_mov_b32_e32 v33, 0x7f800001
	s_mov_b32 s18, exec_lo
	v_cmpx_ne_u32_e32 0x7f, v49
	s_cbranch_execz .LBB399_3651
; %bb.3648:                             ;   in Loop: Header=BB399_2079 Depth=1
	v_and_b32_sdwa v12, v20, v115 dst_sel:DWORD dst_unused:UNUSED_PAD src0_sel:WORD_1 src1_sel:DWORD
	v_mov_b32_e32 v24, v13
	v_lshrrev_b32_e32 v24, 3, v49
	s_mov_b32 s20, exec_lo
	v_mov_b32_e32 v23, v12
	v_cmpx_gt_u32_e32 8, v49
; %bb.3649:                             ;   in Loop: Header=BB399_2079 Depth=1
	v_ffbh_u32_e32 v23, v12
	v_min_u32_e32 v33, 32, v23
	v_subrev_nc_u32_e32 v23, 28, v33
	v_lshlrev_b64 v[23:24], v23, v[12:13]
	v_sub_nc_u32_e32 v24, 29, v33
	v_and_b32_e32 v23, 7, v23
; %bb.3650:                             ;   in Loop: Header=BB399_2079 Depth=1
	s_or_b32 exec_lo, exec_lo, s20
	v_lshlrev_b32_sdwa v12, v39, v20 dst_sel:DWORD dst_unused:UNUSED_PAD src0_sel:DWORD src1_sel:WORD_1
	v_lshlrev_b32_e32 v23, 20, v23
	v_lshl_add_u32 v24, v24, 23, 0x3c000000
	v_and_b32_e32 v12, 0x80000000, v12
	v_or3_b32 v33, v23, v12, v24
.LBB399_3651:                           ;   in Loop: Header=BB399_2079 Depth=1
	s_or_b32 exec_lo, exec_lo, s18
.LBB399_3652:                           ;   in Loop: Header=BB399_2079 Depth=1
	s_or_b32 exec_lo, exec_lo, s15
.LBB399_3653:                           ;   in Loop: Header=BB399_2079 Depth=1
	s_or_b32 exec_lo, exec_lo, s13
	s_mov_b32 s13, exec_lo
	v_cmpx_lt_u64_e64 s[8:9], v[19:20]
	s_cbranch_execz .LBB399_3661
; %bb.3654:                             ;   in Loop: Header=BB399_2079 Depth=1
	v_cmp_ne_u32_sdwa s4, v20, v114 src0_sel:BYTE_3 src1_sel:DWORD
	v_bfrev_b32_e32 v32, 1
	s_and_saveexec_b32 s15, s4
	s_cbranch_execz .LBB399_3660
; %bb.3655:                             ;   in Loop: Header=BB399_2079 Depth=1
	v_bfe_u32 v49, v20, 24, 7
	v_mov_b32_e32 v32, 0x7f800001
	s_mov_b32 s18, exec_lo
	v_cmpx_ne_u32_e32 0x7f, v49
	s_cbranch_execz .LBB399_3659
; %bb.3656:                             ;   in Loop: Header=BB399_2079 Depth=1
	v_and_b32_sdwa v12, v20, v115 dst_sel:DWORD dst_unused:UNUSED_PAD src0_sel:BYTE_3 src1_sel:DWORD
	v_mov_b32_e32 v24, v13
	v_lshrrev_b32_e32 v19, 3, v49
	s_mov_b32 s20, exec_lo
	v_mov_b32_e32 v23, v12
	v_cmpx_gt_u32_e32 8, v49
; %bb.3657:                             ;   in Loop: Header=BB399_2079 Depth=1
	v_ffbh_u32_e32 v19, v12
	v_min_u32_e32 v19, 32, v19
	v_subrev_nc_u32_e32 v23, 28, v19
	v_sub_nc_u32_e32 v19, 29, v19
	v_lshlrev_b64 v[23:24], v23, v[12:13]
	v_and_b32_e32 v23, 7, v23
; %bb.3658:                             ;   in Loop: Header=BB399_2079 Depth=1
	s_or_b32 exec_lo, exec_lo, s20
	v_lshlrev_b32_sdwa v12, v39, v20 dst_sel:DWORD dst_unused:UNUSED_PAD src0_sel:DWORD src1_sel:BYTE_3
	v_lshlrev_b32_e32 v20, 20, v23
	v_lshl_add_u32 v19, v19, 23, 0x3c000000
	v_and_b32_e32 v12, 0x80000000, v12
	v_or3_b32 v32, v20, v12, v19
.LBB399_3659:                           ;   in Loop: Header=BB399_2079 Depth=1
	s_or_b32 exec_lo, exec_lo, s18
.LBB399_3660:                           ;   in Loop: Header=BB399_2079 Depth=1
	s_or_b32 exec_lo, exec_lo, s15
.LBB399_3661:                           ;   in Loop: Header=BB399_2079 Depth=1
	s_or_b32 exec_lo, exec_lo, s13
	v_mul_f32_e32 v12, v27, v35
	v_bfe_u32 v19, v12, 16, 1
	v_or_b32_e32 v20, 0x400000, v12
	v_cmp_u_f32_e64 s4, v12, v12
	v_add3_u32 v19, v19, v12, 0x7fff
	v_cndmask_b32_e64 v12, v19, v20, s4
	v_lshrrev_b32_e32 v119, 16, v12
	v_mul_f32_e32 v12, v27, v34
	v_bfe_u32 v19, v12, 16, 1
	v_or_b32_e32 v20, 0x400000, v12
	v_cmp_u_f32_e64 s4, v12, v12
	v_add3_u32 v19, v19, v12, 0x7fff
	v_cndmask_b32_e64 v12, v19, v20, s4
	v_lshrrev_b32_e32 v40, 16, v12
	;; [unrolled: 7-line block ×8, first 2 shown]
	s_and_saveexec_b32 s13, vcc_lo
	s_cbranch_execz .LBB399_3663
; %bb.3662:                             ;   in Loop: Header=BB399_2079 Depth=1
	v_cmp_lt_i32_e64 s4, v125, v124
	v_cndmask_b32_e64 v29, 0, v29, s4
	v_cmp_lt_i32_e64 s4, v113, v124
	v_cndmask_b32_e64 v44, 0, v44, s4
	;; [unrolled: 2-line block ×8, first 2 shown]
.LBB399_3663:                           ;   in Loop: Header=BB399_2079 Depth=1
	s_or_b32 exec_lo, exec_lo, s13
	v_add_co_u32 v17, s4, 0x1800, v17
	v_add_co_ci_u32_e64 v18, null, 0, v18, s4
	v_mov_b32_e32 v35, 0
	v_mov_b32_e32 v16, 0
	flat_load_dwordx2 v[19:20], v[17:18]
	s_waitcnt vmcnt(0) lgkmcnt(0)
	v_cmp_ne_u16_sdwa s4, v19, v13 src0_sel:BYTE_0 src1_sel:DWORD
	s_and_saveexec_b32 s13, s4
	s_cbranch_execz .LBB399_3671
; %bb.3664:                             ;   in Loop: Header=BB399_2079 Depth=1
	v_cmp_ne_u16_sdwa s4, v19, v114 src0_sel:BYTE_0 src1_sel:DWORD
	v_bfrev_b32_e32 v16, 1
	s_and_saveexec_b32 s15, s4
	s_cbranch_execz .LBB399_3670
; %bb.3665:                             ;   in Loop: Header=BB399_2079 Depth=1
	v_and_b32_e32 v23, 0x7f, v19
	v_mov_b32_e32 v16, 0x7f800001
	s_mov_b32 s18, exec_lo
	v_cmpx_ne_u32_e32 0x7f, v23
	s_cbranch_execz .LBB399_3669
; %bb.3666:                             ;   in Loop: Header=BB399_2079 Depth=1
	v_lshrrev_b32_e32 v12, 3, v23
	v_cmp_gt_u32_e64 s4, 8, v23
	v_mov_b32_e32 v24, v20
	v_mov_b32_e32 v23, v19
	s_and_saveexec_b32 s20, s4
; %bb.3667:                             ;   in Loop: Header=BB399_2079 Depth=1
	v_and_b32_e32 v12, 7, v19
	v_ffbh_u32_e32 v12, v12
	v_min_u32_e32 v12, 32, v12
	v_subrev_nc_u32_e32 v16, 28, v12
	v_sub_nc_u32_e32 v12, 29, v12
	v_lshlrev_b64 v[23:24], v16, v[19:20]
; %bb.3668:                             ;   in Loop: Header=BB399_2079 Depth=1
	s_or_b32 exec_lo, exec_lo, s20
	v_lshlrev_b32_e32 v16, 20, v23
	v_lshlrev_b32_e32 v23, 24, v19
	v_lshl_add_u32 v12, v12, 23, 0x3c000000
	v_and_b32_e32 v16, 0x700000, v16
	v_and_b32_e32 v23, 0x80000000, v23
	v_or3_b32 v16, v16, v23, v12
.LBB399_3669:                           ;   in Loop: Header=BB399_2079 Depth=1
	s_or_b32 exec_lo, exec_lo, s18
.LBB399_3670:                           ;   in Loop: Header=BB399_2079 Depth=1
	s_or_b32 exec_lo, exec_lo, s15
.LBB399_3671:                           ;   in Loop: Header=BB399_2079 Depth=1
	s_or_b32 exec_lo, exec_lo, s13
	v_cmp_ne_u16_sdwa s4, v19, v13 src0_sel:BYTE_1 src1_sel:DWORD
	s_and_saveexec_b32 s13, s4
	s_cbranch_execz .LBB399_3679
; %bb.3672:                             ;   in Loop: Header=BB399_2079 Depth=1
	v_cmp_ne_u16_sdwa s4, v19, v114 src0_sel:BYTE_1 src1_sel:DWORD
	v_bfrev_b32_e32 v35, 1
	s_and_saveexec_b32 s15, s4
	s_cbranch_execz .LBB399_3678
; %bb.3673:                             ;   in Loop: Header=BB399_2079 Depth=1
	v_and_b32_sdwa v12, v112, v19 dst_sel:DWORD dst_unused:UNUSED_PAD src0_sel:DWORD src1_sel:BYTE_1
	v_mov_b32_e32 v35, 0x7f800001
	s_mov_b32 s18, exec_lo
	v_and_b32_e32 v31, 0x7f, v12
	v_cmpx_ne_u32_e32 0x7f, v31
	s_cbranch_execz .LBB399_3677
; %bb.3674:                             ;   in Loop: Header=BB399_2079 Depth=1
	v_and_b32_e32 v12, 7, v12
	v_mov_b32_e32 v24, v13
	v_lshrrev_b32_e32 v24, 3, v31
	s_mov_b32 s20, exec_lo
	v_mov_b32_e32 v23, v12
	v_cmpx_gt_u32_e32 8, v31
; %bb.3675:                             ;   in Loop: Header=BB399_2079 Depth=1
	v_ffbh_u32_e32 v23, v12
	v_min_u32_e32 v31, 32, v23
	v_subrev_nc_u32_e32 v23, 28, v31
	v_lshlrev_b64 v[23:24], v23, v[12:13]
	v_sub_nc_u32_e32 v24, 29, v31
	v_and_b32_e32 v23, 7, v23
; %bb.3676:                             ;   in Loop: Header=BB399_2079 Depth=1
	s_or_b32 exec_lo, exec_lo, s20
	v_lshlrev_b32_e32 v12, 16, v19
	v_lshlrev_b32_e32 v23, 20, v23
	v_lshl_add_u32 v24, v24, 23, 0x3c000000
	v_and_b32_e32 v12, 0x80000000, v12
	v_or3_b32 v35, v23, v12, v24
.LBB399_3677:                           ;   in Loop: Header=BB399_2079 Depth=1
	s_or_b32 exec_lo, exec_lo, s18
.LBB399_3678:                           ;   in Loop: Header=BB399_2079 Depth=1
	s_or_b32 exec_lo, exec_lo, s15
.LBB399_3679:                           ;   in Loop: Header=BB399_2079 Depth=1
	s_or_b32 exec_lo, exec_lo, s13
	v_and_b32_sdwa v12, v19, v116 dst_sel:DWORD dst_unused:UNUSED_PAD src0_sel:WORD_1 src1_sel:DWORD
	v_mov_b32_e32 v33, 0
	v_mov_b32_e32 v34, 0
	s_mov_b32 s13, exec_lo
	v_cmpx_ne_u16_e32 0, v12
	s_cbranch_execz .LBB399_3687
; %bb.3680:                             ;   in Loop: Header=BB399_2079 Depth=1
	v_bfrev_b32_e32 v34, 1
	s_mov_b32 s15, exec_lo
	v_cmpx_ne_u16_e32 0x80, v12
	s_cbranch_execz .LBB399_3686
; %bb.3681:                             ;   in Loop: Header=BB399_2079 Depth=1
	v_bfe_u32 v31, v19, 16, 7
	v_mov_b32_e32 v34, 0x7f800001
	s_mov_b32 s18, exec_lo
	v_cmpx_ne_u32_e32 0x7f, v31
	s_cbranch_execz .LBB399_3685
; %bb.3682:                             ;   in Loop: Header=BB399_2079 Depth=1
	v_and_b32_sdwa v12, v19, v115 dst_sel:DWORD dst_unused:UNUSED_PAD src0_sel:WORD_1 src1_sel:DWORD
	v_mov_b32_e32 v24, v13
	v_lshrrev_b32_e32 v24, 3, v31
	s_mov_b32 s20, exec_lo
	v_mov_b32_e32 v23, v12
	v_cmpx_gt_u32_e32 8, v31
; %bb.3683:                             ;   in Loop: Header=BB399_2079 Depth=1
	v_ffbh_u32_e32 v23, v12
	v_min_u32_e32 v31, 32, v23
	v_subrev_nc_u32_e32 v23, 28, v31
	v_lshlrev_b64 v[23:24], v23, v[12:13]
	v_sub_nc_u32_e32 v24, 29, v31
	v_and_b32_e32 v23, 7, v23
; %bb.3684:                             ;   in Loop: Header=BB399_2079 Depth=1
	s_or_b32 exec_lo, exec_lo, s20
	v_lshlrev_b32_sdwa v12, v39, v19 dst_sel:DWORD dst_unused:UNUSED_PAD src0_sel:DWORD src1_sel:WORD_1
	v_lshlrev_b32_e32 v23, 20, v23
	v_lshl_add_u32 v24, v24, 23, 0x3c000000
	v_and_b32_e32 v12, 0x80000000, v12
	v_or3_b32 v34, v23, v12, v24
.LBB399_3685:                           ;   in Loop: Header=BB399_2079 Depth=1
	s_or_b32 exec_lo, exec_lo, s18
.LBB399_3686:                           ;   in Loop: Header=BB399_2079 Depth=1
	s_or_b32 exec_lo, exec_lo, s15
.LBB399_3687:                           ;   in Loop: Header=BB399_2079 Depth=1
	s_or_b32 exec_lo, exec_lo, s13
	s_mov_b32 s13, exec_lo
	v_cmpx_lt_u32_e32 0xffffff, v19
	s_cbranch_execz .LBB399_3695
; %bb.3688:                             ;   in Loop: Header=BB399_2079 Depth=1
	v_cmp_ne_u32_sdwa s4, v19, v114 src0_sel:BYTE_3 src1_sel:DWORD
	v_bfrev_b32_e32 v33, 1
	s_and_saveexec_b32 s15, s4
	s_cbranch_execz .LBB399_3694
; %bb.3689:                             ;   in Loop: Header=BB399_2079 Depth=1
	v_bfe_u32 v31, v19, 24, 7
	v_mov_b32_e32 v33, 0x7f800001
	s_mov_b32 s18, exec_lo
	v_cmpx_ne_u32_e32 0x7f, v31
	s_cbranch_execz .LBB399_3693
; %bb.3690:                             ;   in Loop: Header=BB399_2079 Depth=1
	v_and_b32_sdwa v12, v19, v115 dst_sel:DWORD dst_unused:UNUSED_PAD src0_sel:BYTE_3 src1_sel:DWORD
	v_mov_b32_e32 v24, v13
	v_lshrrev_b32_e32 v24, 3, v31
	s_mov_b32 s20, exec_lo
	v_mov_b32_e32 v23, v12
	v_cmpx_gt_u32_e32 8, v31
; %bb.3691:                             ;   in Loop: Header=BB399_2079 Depth=1
	v_ffbh_u32_e32 v23, v12
	v_min_u32_e32 v31, 32, v23
	v_subrev_nc_u32_e32 v23, 28, v31
	v_lshlrev_b64 v[23:24], v23, v[12:13]
	v_sub_nc_u32_e32 v24, 29, v31
	v_and_b32_e32 v23, 7, v23
; %bb.3692:                             ;   in Loop: Header=BB399_2079 Depth=1
	s_or_b32 exec_lo, exec_lo, s20
	v_lshlrev_b32_sdwa v12, v39, v19 dst_sel:DWORD dst_unused:UNUSED_PAD src0_sel:DWORD src1_sel:BYTE_3
	v_lshlrev_b32_e32 v23, 20, v23
	v_lshl_add_u32 v24, v24, 23, 0x3c000000
	v_and_b32_e32 v12, 0x80000000, v12
	v_or3_b32 v33, v23, v12, v24
.LBB399_3693:                           ;   in Loop: Header=BB399_2079 Depth=1
	s_or_b32 exec_lo, exec_lo, s18
.LBB399_3694:                           ;   in Loop: Header=BB399_2079 Depth=1
	s_or_b32 exec_lo, exec_lo, s15
.LBB399_3695:                           ;   in Loop: Header=BB399_2079 Depth=1
	s_or_b32 exec_lo, exec_lo, s13
	v_mov_b32_e32 v12, v20
	v_cmp_ne_u16_sdwa s4, v20, v13 src0_sel:BYTE_0 src1_sel:DWORD
	v_mov_b32_e32 v31, 0
	v_mov_b32_e32 v32, 0
	s_and_saveexec_b32 s13, s4
	s_cbranch_execz .LBB399_3703
; %bb.3696:                             ;   in Loop: Header=BB399_2079 Depth=1
	v_cmp_ne_u16_sdwa s4, v20, v114 src0_sel:BYTE_0 src1_sel:DWORD
	v_bfrev_b32_e32 v32, 1
	s_and_saveexec_b32 s15, s4
	s_cbranch_execz .LBB399_3702
; %bb.3697:                             ;   in Loop: Header=BB399_2079 Depth=1
	v_and_b32_e32 v49, 0x7f, v20
	v_mov_b32_e32 v32, 0x7f800001
	s_mov_b32 s18, exec_lo
	v_cmpx_ne_u32_e32 0x7f, v49
	s_cbranch_execz .LBB399_3701
; %bb.3698:                             ;   in Loop: Header=BB399_2079 Depth=1
	v_mov_b32_e32 v24, v13
	v_mov_b32_e32 v23, v12
	v_lshrrev_b32_e32 v24, 3, v49
	s_mov_b32 s20, exec_lo
	v_cmpx_gt_u32_e32 8, v49
; %bb.3699:                             ;   in Loop: Header=BB399_2079 Depth=1
	v_and_b32_e32 v23, 7, v20
	v_ffbh_u32_e32 v23, v23
	v_min_u32_e32 v32, 32, v23
	v_subrev_nc_u32_e32 v23, 28, v32
	v_lshlrev_b64 v[23:24], v23, v[12:13]
	v_sub_nc_u32_e32 v24, 29, v32
; %bb.3700:                             ;   in Loop: Header=BB399_2079 Depth=1
	s_or_b32 exec_lo, exec_lo, s20
	v_lshlrev_b32_e32 v23, 20, v23
	v_lshlrev_b32_e32 v32, 24, v12
	v_lshl_add_u32 v24, v24, 23, 0x3c000000
	v_and_b32_e32 v23, 0x700000, v23
	v_and_b32_e32 v32, 0x80000000, v32
	v_or3_b32 v32, v23, v32, v24
.LBB399_3701:                           ;   in Loop: Header=BB399_2079 Depth=1
	s_or_b32 exec_lo, exec_lo, s18
.LBB399_3702:                           ;   in Loop: Header=BB399_2079 Depth=1
	s_or_b32 exec_lo, exec_lo, s15
.LBB399_3703:                           ;   in Loop: Header=BB399_2079 Depth=1
	s_or_b32 exec_lo, exec_lo, s13
	v_cmp_ne_u16_sdwa s4, v12, v13 src0_sel:BYTE_1 src1_sel:DWORD
	s_and_saveexec_b32 s13, s4
	s_cbranch_execz .LBB399_3711
; %bb.3704:                             ;   in Loop: Header=BB399_2079 Depth=1
	v_cmp_ne_u16_sdwa s4, v12, v114 src0_sel:BYTE_1 src1_sel:DWORD
	v_bfrev_b32_e32 v31, 1
	s_and_saveexec_b32 s15, s4
	s_cbranch_execz .LBB399_3710
; %bb.3705:                             ;   in Loop: Header=BB399_2079 Depth=1
	v_and_b32_sdwa v23, v112, v12 dst_sel:DWORD dst_unused:UNUSED_PAD src0_sel:DWORD src1_sel:BYTE_1
	v_mov_b32_e32 v31, 0x7f800001
	s_mov_b32 s18, exec_lo
	v_and_b32_e32 v49, 0x7f, v23
	v_cmpx_ne_u32_e32 0x7f, v49
	s_cbranch_execz .LBB399_3709
; %bb.3706:                             ;   in Loop: Header=BB399_2079 Depth=1
	v_and_b32_e32 v23, 7, v23
	v_mov_b32_e32 v24, v13
	v_lshrrev_b32_e32 v31, 3, v49
	s_mov_b32 s20, exec_lo
	v_cmpx_gt_u32_e32 8, v49
; %bb.3707:                             ;   in Loop: Header=BB399_2079 Depth=1
	v_ffbh_u32_e32 v31, v23
	v_min_u32_e32 v31, 32, v31
	v_subrev_nc_u32_e32 v49, 28, v31
	v_sub_nc_u32_e32 v31, 29, v31
	v_lshlrev_b64 v[23:24], v49, v[23:24]
	v_and_b32_e32 v23, 7, v23
; %bb.3708:                             ;   in Loop: Header=BB399_2079 Depth=1
	s_or_b32 exec_lo, exec_lo, s20
	v_lshlrev_b32_e32 v12, 16, v12
	v_lshlrev_b32_e32 v23, 20, v23
	v_lshl_add_u32 v24, v31, 23, 0x3c000000
	v_and_b32_e32 v12, 0x80000000, v12
	v_or3_b32 v31, v23, v12, v24
.LBB399_3709:                           ;   in Loop: Header=BB399_2079 Depth=1
	s_or_b32 exec_lo, exec_lo, s18
.LBB399_3710:                           ;   in Loop: Header=BB399_2079 Depth=1
	s_or_b32 exec_lo, exec_lo, s15
.LBB399_3711:                           ;   in Loop: Header=BB399_2079 Depth=1
	s_or_b32 exec_lo, exec_lo, s13
	v_and_b32_sdwa v12, v20, v116 dst_sel:DWORD dst_unused:UNUSED_PAD src0_sel:WORD_1 src1_sel:DWORD
	v_mov_b32_e32 v51, 0
	v_mov_b32_e32 v52, 0
	s_mov_b32 s13, exec_lo
	v_cmpx_ne_u16_e32 0, v12
	s_cbranch_execz .LBB399_3719
; %bb.3712:                             ;   in Loop: Header=BB399_2079 Depth=1
	v_bfrev_b32_e32 v52, 1
	s_mov_b32 s15, exec_lo
	v_cmpx_ne_u16_e32 0x80, v12
	s_cbranch_execz .LBB399_3718
; %bb.3713:                             ;   in Loop: Header=BB399_2079 Depth=1
	v_bfe_u32 v49, v20, 16, 7
	v_mov_b32_e32 v52, 0x7f800001
	s_mov_b32 s18, exec_lo
	v_cmpx_ne_u32_e32 0x7f, v49
	s_cbranch_execz .LBB399_3717
; %bb.3714:                             ;   in Loop: Header=BB399_2079 Depth=1
	v_and_b32_sdwa v12, v20, v115 dst_sel:DWORD dst_unused:UNUSED_PAD src0_sel:WORD_1 src1_sel:DWORD
	v_mov_b32_e32 v24, v13
	v_lshrrev_b32_e32 v24, 3, v49
	s_mov_b32 s20, exec_lo
	v_mov_b32_e32 v23, v12
	v_cmpx_gt_u32_e32 8, v49
; %bb.3715:                             ;   in Loop: Header=BB399_2079 Depth=1
	v_ffbh_u32_e32 v23, v12
	v_min_u32_e32 v49, 32, v23
	v_subrev_nc_u32_e32 v23, 28, v49
	v_lshlrev_b64 v[23:24], v23, v[12:13]
	v_sub_nc_u32_e32 v24, 29, v49
	v_and_b32_e32 v23, 7, v23
; %bb.3716:                             ;   in Loop: Header=BB399_2079 Depth=1
	s_or_b32 exec_lo, exec_lo, s20
	v_lshlrev_b32_sdwa v12, v39, v20 dst_sel:DWORD dst_unused:UNUSED_PAD src0_sel:DWORD src1_sel:WORD_1
	v_lshlrev_b32_e32 v23, 20, v23
	v_lshl_add_u32 v24, v24, 23, 0x3c000000
	v_and_b32_e32 v12, 0x80000000, v12
	v_or3_b32 v52, v23, v12, v24
.LBB399_3717:                           ;   in Loop: Header=BB399_2079 Depth=1
	s_or_b32 exec_lo, exec_lo, s18
.LBB399_3718:                           ;   in Loop: Header=BB399_2079 Depth=1
	s_or_b32 exec_lo, exec_lo, s15
.LBB399_3719:                           ;   in Loop: Header=BB399_2079 Depth=1
	s_or_b32 exec_lo, exec_lo, s13
	s_mov_b32 s13, exec_lo
	v_cmpx_lt_u64_e64 s[8:9], v[19:20]
	s_cbranch_execz .LBB399_3727
; %bb.3720:                             ;   in Loop: Header=BB399_2079 Depth=1
	v_cmp_ne_u32_sdwa s4, v20, v114 src0_sel:BYTE_3 src1_sel:DWORD
	v_bfrev_b32_e32 v51, 1
	s_and_saveexec_b32 s15, s4
	s_cbranch_execz .LBB399_3726
; %bb.3721:                             ;   in Loop: Header=BB399_2079 Depth=1
	v_bfe_u32 v49, v20, 24, 7
	v_mov_b32_e32 v51, 0x7f800001
	s_mov_b32 s18, exec_lo
	v_cmpx_ne_u32_e32 0x7f, v49
	s_cbranch_execz .LBB399_3725
; %bb.3722:                             ;   in Loop: Header=BB399_2079 Depth=1
	v_and_b32_sdwa v12, v20, v115 dst_sel:DWORD dst_unused:UNUSED_PAD src0_sel:BYTE_3 src1_sel:DWORD
	v_mov_b32_e32 v24, v13
	v_lshrrev_b32_e32 v19, 3, v49
	s_mov_b32 s20, exec_lo
	v_mov_b32_e32 v23, v12
	v_cmpx_gt_u32_e32 8, v49
; %bb.3723:                             ;   in Loop: Header=BB399_2079 Depth=1
	v_ffbh_u32_e32 v19, v12
	v_min_u32_e32 v19, 32, v19
	v_subrev_nc_u32_e32 v23, 28, v19
	v_sub_nc_u32_e32 v19, 29, v19
	v_lshlrev_b64 v[23:24], v23, v[12:13]
	v_and_b32_e32 v23, 7, v23
; %bb.3724:                             ;   in Loop: Header=BB399_2079 Depth=1
	s_or_b32 exec_lo, exec_lo, s20
	v_lshlrev_b32_sdwa v12, v39, v20 dst_sel:DWORD dst_unused:UNUSED_PAD src0_sel:DWORD src1_sel:BYTE_3
	v_lshlrev_b32_e32 v20, 20, v23
	v_lshl_add_u32 v19, v19, 23, 0x3c000000
	v_and_b32_e32 v12, 0x80000000, v12
	v_or3_b32 v51, v20, v12, v19
.LBB399_3725:                           ;   in Loop: Header=BB399_2079 Depth=1
	s_or_b32 exec_lo, exec_lo, s18
.LBB399_3726:                           ;   in Loop: Header=BB399_2079 Depth=1
	s_or_b32 exec_lo, exec_lo, s15
.LBB399_3727:                           ;   in Loop: Header=BB399_2079 Depth=1
	s_or_b32 exec_lo, exec_lo, s13
	v_mul_f32_e32 v12, v27, v31
	v_bfe_u32 v19, v12, 16, 1
	v_or_b32_e32 v20, 0x400000, v12
	v_cmp_u_f32_e64 s4, v12, v12
	v_add3_u32 v19, v19, v12, 0x7fff
	v_cndmask_b32_e64 v12, v19, v20, s4
	v_lshrrev_b32_e32 v31, 16, v12
	v_mul_f32_e32 v12, v27, v32
	v_bfe_u32 v19, v12, 16, 1
	v_or_b32_e32 v20, 0x400000, v12
	v_cmp_u_f32_e64 s4, v12, v12
	v_add3_u32 v19, v19, v12, 0x7fff
	v_cndmask_b32_e64 v12, v19, v20, s4
	v_lshrrev_b32_e32 v32, 16, v12
	;; [unrolled: 7-line block ×8, first 2 shown]
	s_and_saveexec_b32 s13, vcc_lo
	s_cbranch_execz .LBB399_3729
; %bb.3728:                             ;   in Loop: Header=BB399_2079 Depth=1
	v_cmp_lt_i32_e64 s4, v125, v124
	v_cndmask_b32_e64 v50, 0, v50, s4
	v_cmp_lt_i32_e64 s4, v113, v124
	v_cndmask_b32_e64 v49, 0, v49, s4
	;; [unrolled: 2-line block ×8, first 2 shown]
.LBB399_3729:                           ;   in Loop: Header=BB399_2079 Depth=1
	s_or_b32 exec_lo, exec_lo, s13
	flat_load_dwordx2 v[19:20], v[17:18] offset:256
	v_mov_b32_e32 v64, 0
	v_mov_b32_e32 v16, 0
	s_waitcnt vmcnt(0) lgkmcnt(0)
	v_cmp_ne_u16_sdwa s4, v19, v13 src0_sel:BYTE_0 src1_sel:DWORD
	s_and_saveexec_b32 s13, s4
	s_cbranch_execz .LBB399_3737
; %bb.3730:                             ;   in Loop: Header=BB399_2079 Depth=1
	v_cmp_ne_u16_sdwa s4, v19, v114 src0_sel:BYTE_0 src1_sel:DWORD
	v_bfrev_b32_e32 v16, 1
	s_and_saveexec_b32 s15, s4
	s_cbranch_execz .LBB399_3736
; %bb.3731:                             ;   in Loop: Header=BB399_2079 Depth=1
	v_and_b32_e32 v23, 0x7f, v19
	v_mov_b32_e32 v16, 0x7f800001
	s_mov_b32 s18, exec_lo
	v_cmpx_ne_u32_e32 0x7f, v23
	s_cbranch_execz .LBB399_3735
; %bb.3732:                             ;   in Loop: Header=BB399_2079 Depth=1
	v_lshrrev_b32_e32 v12, 3, v23
	v_cmp_gt_u32_e64 s4, 8, v23
	v_mov_b32_e32 v24, v20
	v_mov_b32_e32 v23, v19
	s_and_saveexec_b32 s20, s4
; %bb.3733:                             ;   in Loop: Header=BB399_2079 Depth=1
	v_and_b32_e32 v12, 7, v19
	v_ffbh_u32_e32 v12, v12
	v_min_u32_e32 v12, 32, v12
	v_subrev_nc_u32_e32 v16, 28, v12
	v_sub_nc_u32_e32 v12, 29, v12
	v_lshlrev_b64 v[23:24], v16, v[19:20]
; %bb.3734:                             ;   in Loop: Header=BB399_2079 Depth=1
	s_or_b32 exec_lo, exec_lo, s20
	v_lshlrev_b32_e32 v16, 20, v23
	v_lshlrev_b32_e32 v23, 24, v19
	v_lshl_add_u32 v12, v12, 23, 0x3c000000
	v_and_b32_e32 v16, 0x700000, v16
	v_and_b32_e32 v23, 0x80000000, v23
	v_or3_b32 v16, v16, v23, v12
.LBB399_3735:                           ;   in Loop: Header=BB399_2079 Depth=1
	s_or_b32 exec_lo, exec_lo, s18
.LBB399_3736:                           ;   in Loop: Header=BB399_2079 Depth=1
	s_or_b32 exec_lo, exec_lo, s15
.LBB399_3737:                           ;   in Loop: Header=BB399_2079 Depth=1
	s_or_b32 exec_lo, exec_lo, s13
	v_cmp_ne_u16_sdwa s4, v19, v13 src0_sel:BYTE_1 src1_sel:DWORD
	s_and_saveexec_b32 s13, s4
	s_cbranch_execz .LBB399_3745
; %bb.3738:                             ;   in Loop: Header=BB399_2079 Depth=1
	v_cmp_ne_u16_sdwa s4, v19, v114 src0_sel:BYTE_1 src1_sel:DWORD
	v_bfrev_b32_e32 v64, 1
	s_and_saveexec_b32 s15, s4
	s_cbranch_execz .LBB399_3744
; %bb.3739:                             ;   in Loop: Header=BB399_2079 Depth=1
	v_and_b32_sdwa v12, v112, v19 dst_sel:DWORD dst_unused:UNUSED_PAD src0_sel:DWORD src1_sel:BYTE_1
	v_mov_b32_e32 v64, 0x7f800001
	s_mov_b32 s18, exec_lo
	v_and_b32_e32 v52, 0x7f, v12
	v_cmpx_ne_u32_e32 0x7f, v52
	s_cbranch_execz .LBB399_3743
; %bb.3740:                             ;   in Loop: Header=BB399_2079 Depth=1
	v_and_b32_e32 v12, 7, v12
	v_mov_b32_e32 v24, v13
	v_lshrrev_b32_e32 v24, 3, v52
	s_mov_b32 s20, exec_lo
	v_mov_b32_e32 v23, v12
	v_cmpx_gt_u32_e32 8, v52
; %bb.3741:                             ;   in Loop: Header=BB399_2079 Depth=1
	v_ffbh_u32_e32 v23, v12
	v_min_u32_e32 v52, 32, v23
	v_subrev_nc_u32_e32 v23, 28, v52
	v_lshlrev_b64 v[23:24], v23, v[12:13]
	v_sub_nc_u32_e32 v24, 29, v52
	v_and_b32_e32 v23, 7, v23
; %bb.3742:                             ;   in Loop: Header=BB399_2079 Depth=1
	s_or_b32 exec_lo, exec_lo, s20
	v_lshlrev_b32_e32 v12, 16, v19
	v_lshlrev_b32_e32 v23, 20, v23
	v_lshl_add_u32 v24, v24, 23, 0x3c000000
	v_and_b32_e32 v12, 0x80000000, v12
	v_or3_b32 v64, v23, v12, v24
.LBB399_3743:                           ;   in Loop: Header=BB399_2079 Depth=1
	s_or_b32 exec_lo, exec_lo, s18
.LBB399_3744:                           ;   in Loop: Header=BB399_2079 Depth=1
	s_or_b32 exec_lo, exec_lo, s15
.LBB399_3745:                           ;   in Loop: Header=BB399_2079 Depth=1
	s_or_b32 exec_lo, exec_lo, s13
	v_and_b32_sdwa v12, v19, v116 dst_sel:DWORD dst_unused:UNUSED_PAD src0_sel:WORD_1 src1_sel:DWORD
	v_mov_b32_e32 v54, 0
	v_mov_b32_e32 v55, 0
	s_mov_b32 s13, exec_lo
	v_cmpx_ne_u16_e32 0, v12
	s_cbranch_execz .LBB399_3753
; %bb.3746:                             ;   in Loop: Header=BB399_2079 Depth=1
	v_bfrev_b32_e32 v55, 1
	s_mov_b32 s15, exec_lo
	v_cmpx_ne_u16_e32 0x80, v12
	s_cbranch_execz .LBB399_3752
; %bb.3747:                             ;   in Loop: Header=BB399_2079 Depth=1
	v_bfe_u32 v52, v19, 16, 7
	v_mov_b32_e32 v55, 0x7f800001
	s_mov_b32 s18, exec_lo
	v_cmpx_ne_u32_e32 0x7f, v52
	s_cbranch_execz .LBB399_3751
; %bb.3748:                             ;   in Loop: Header=BB399_2079 Depth=1
	v_and_b32_sdwa v12, v19, v115 dst_sel:DWORD dst_unused:UNUSED_PAD src0_sel:WORD_1 src1_sel:DWORD
	v_mov_b32_e32 v24, v13
	v_lshrrev_b32_e32 v24, 3, v52
	s_mov_b32 s20, exec_lo
	v_mov_b32_e32 v23, v12
	v_cmpx_gt_u32_e32 8, v52
; %bb.3749:                             ;   in Loop: Header=BB399_2079 Depth=1
	v_ffbh_u32_e32 v23, v12
	v_min_u32_e32 v52, 32, v23
	v_subrev_nc_u32_e32 v23, 28, v52
	v_lshlrev_b64 v[23:24], v23, v[12:13]
	v_sub_nc_u32_e32 v24, 29, v52
	v_and_b32_e32 v23, 7, v23
; %bb.3750:                             ;   in Loop: Header=BB399_2079 Depth=1
	s_or_b32 exec_lo, exec_lo, s20
	v_lshlrev_b32_sdwa v12, v39, v19 dst_sel:DWORD dst_unused:UNUSED_PAD src0_sel:DWORD src1_sel:WORD_1
	v_lshlrev_b32_e32 v23, 20, v23
	v_lshl_add_u32 v24, v24, 23, 0x3c000000
	v_and_b32_e32 v12, 0x80000000, v12
	v_or3_b32 v55, v23, v12, v24
.LBB399_3751:                           ;   in Loop: Header=BB399_2079 Depth=1
	s_or_b32 exec_lo, exec_lo, s18
.LBB399_3752:                           ;   in Loop: Header=BB399_2079 Depth=1
	s_or_b32 exec_lo, exec_lo, s15
.LBB399_3753:                           ;   in Loop: Header=BB399_2079 Depth=1
	s_or_b32 exec_lo, exec_lo, s13
	s_mov_b32 s13, exec_lo
	v_cmpx_lt_u32_e32 0xffffff, v19
	s_cbranch_execz .LBB399_3761
; %bb.3754:                             ;   in Loop: Header=BB399_2079 Depth=1
	v_cmp_ne_u32_sdwa s4, v19, v114 src0_sel:BYTE_3 src1_sel:DWORD
	v_bfrev_b32_e32 v54, 1
	s_and_saveexec_b32 s15, s4
	s_cbranch_execz .LBB399_3760
; %bb.3755:                             ;   in Loop: Header=BB399_2079 Depth=1
	v_bfe_u32 v52, v19, 24, 7
	v_mov_b32_e32 v54, 0x7f800001
	s_mov_b32 s18, exec_lo
	v_cmpx_ne_u32_e32 0x7f, v52
	s_cbranch_execz .LBB399_3759
; %bb.3756:                             ;   in Loop: Header=BB399_2079 Depth=1
	v_and_b32_sdwa v12, v19, v115 dst_sel:DWORD dst_unused:UNUSED_PAD src0_sel:BYTE_3 src1_sel:DWORD
	v_mov_b32_e32 v24, v13
	v_lshrrev_b32_e32 v24, 3, v52
	s_mov_b32 s20, exec_lo
	v_mov_b32_e32 v23, v12
	v_cmpx_gt_u32_e32 8, v52
; %bb.3757:                             ;   in Loop: Header=BB399_2079 Depth=1
	v_ffbh_u32_e32 v23, v12
	v_min_u32_e32 v52, 32, v23
	v_subrev_nc_u32_e32 v23, 28, v52
	v_lshlrev_b64 v[23:24], v23, v[12:13]
	v_sub_nc_u32_e32 v24, 29, v52
	v_and_b32_e32 v23, 7, v23
; %bb.3758:                             ;   in Loop: Header=BB399_2079 Depth=1
	s_or_b32 exec_lo, exec_lo, s20
	v_lshlrev_b32_sdwa v12, v39, v19 dst_sel:DWORD dst_unused:UNUSED_PAD src0_sel:DWORD src1_sel:BYTE_3
	v_lshlrev_b32_e32 v23, 20, v23
	v_lshl_add_u32 v24, v24, 23, 0x3c000000
	v_and_b32_e32 v12, 0x80000000, v12
	v_or3_b32 v54, v23, v12, v24
.LBB399_3759:                           ;   in Loop: Header=BB399_2079 Depth=1
	s_or_b32 exec_lo, exec_lo, s18
.LBB399_3760:                           ;   in Loop: Header=BB399_2079 Depth=1
	s_or_b32 exec_lo, exec_lo, s15
.LBB399_3761:                           ;   in Loop: Header=BB399_2079 Depth=1
	s_or_b32 exec_lo, exec_lo, s13
	v_mov_b32_e32 v12, v20
	v_cmp_ne_u16_sdwa s4, v20, v13 src0_sel:BYTE_0 src1_sel:DWORD
	v_mov_b32_e32 v52, 0
	v_mov_b32_e32 v53, 0
	s_and_saveexec_b32 s13, s4
	s_cbranch_execz .LBB399_3769
; %bb.3762:                             ;   in Loop: Header=BB399_2079 Depth=1
	v_cmp_ne_u16_sdwa s4, v20, v114 src0_sel:BYTE_0 src1_sel:DWORD
	v_bfrev_b32_e32 v53, 1
	s_and_saveexec_b32 s15, s4
	s_cbranch_execz .LBB399_3768
; %bb.3763:                             ;   in Loop: Header=BB399_2079 Depth=1
	v_and_b32_e32 v65, 0x7f, v20
	v_mov_b32_e32 v53, 0x7f800001
	s_mov_b32 s18, exec_lo
	v_cmpx_ne_u32_e32 0x7f, v65
	s_cbranch_execz .LBB399_3767
; %bb.3764:                             ;   in Loop: Header=BB399_2079 Depth=1
	v_mov_b32_e32 v24, v13
	v_mov_b32_e32 v23, v12
	v_lshrrev_b32_e32 v24, 3, v65
	s_mov_b32 s20, exec_lo
	v_cmpx_gt_u32_e32 8, v65
; %bb.3765:                             ;   in Loop: Header=BB399_2079 Depth=1
	v_and_b32_e32 v23, 7, v20
	v_ffbh_u32_e32 v23, v23
	v_min_u32_e32 v53, 32, v23
	v_subrev_nc_u32_e32 v23, 28, v53
	v_lshlrev_b64 v[23:24], v23, v[12:13]
	v_sub_nc_u32_e32 v24, 29, v53
; %bb.3766:                             ;   in Loop: Header=BB399_2079 Depth=1
	s_or_b32 exec_lo, exec_lo, s20
	v_lshlrev_b32_e32 v23, 20, v23
	v_lshlrev_b32_e32 v53, 24, v12
	v_lshl_add_u32 v24, v24, 23, 0x3c000000
	v_and_b32_e32 v23, 0x700000, v23
	v_and_b32_e32 v53, 0x80000000, v53
	v_or3_b32 v53, v23, v53, v24
.LBB399_3767:                           ;   in Loop: Header=BB399_2079 Depth=1
	s_or_b32 exec_lo, exec_lo, s18
.LBB399_3768:                           ;   in Loop: Header=BB399_2079 Depth=1
	s_or_b32 exec_lo, exec_lo, s15
.LBB399_3769:                           ;   in Loop: Header=BB399_2079 Depth=1
	s_or_b32 exec_lo, exec_lo, s13
	v_cmp_ne_u16_sdwa s4, v12, v13 src0_sel:BYTE_1 src1_sel:DWORD
	s_and_saveexec_b32 s13, s4
	s_cbranch_execz .LBB399_3777
; %bb.3770:                             ;   in Loop: Header=BB399_2079 Depth=1
	v_cmp_ne_u16_sdwa s4, v12, v114 src0_sel:BYTE_1 src1_sel:DWORD
	v_bfrev_b32_e32 v52, 1
	s_and_saveexec_b32 s15, s4
	s_cbranch_execz .LBB399_3776
; %bb.3771:                             ;   in Loop: Header=BB399_2079 Depth=1
	v_and_b32_sdwa v23, v112, v12 dst_sel:DWORD dst_unused:UNUSED_PAD src0_sel:DWORD src1_sel:BYTE_1
	v_mov_b32_e32 v52, 0x7f800001
	s_mov_b32 s18, exec_lo
	v_and_b32_e32 v65, 0x7f, v23
	v_cmpx_ne_u32_e32 0x7f, v65
	s_cbranch_execz .LBB399_3775
; %bb.3772:                             ;   in Loop: Header=BB399_2079 Depth=1
	v_and_b32_e32 v23, 7, v23
	v_mov_b32_e32 v24, v13
	v_lshrrev_b32_e32 v52, 3, v65
	s_mov_b32 s20, exec_lo
	v_cmpx_gt_u32_e32 8, v65
; %bb.3773:                             ;   in Loop: Header=BB399_2079 Depth=1
	v_ffbh_u32_e32 v52, v23
	v_min_u32_e32 v52, 32, v52
	v_subrev_nc_u32_e32 v65, 28, v52
	v_sub_nc_u32_e32 v52, 29, v52
	v_lshlrev_b64 v[23:24], v65, v[23:24]
	v_and_b32_e32 v23, 7, v23
; %bb.3774:                             ;   in Loop: Header=BB399_2079 Depth=1
	s_or_b32 exec_lo, exec_lo, s20
	v_lshlrev_b32_e32 v12, 16, v12
	v_lshlrev_b32_e32 v23, 20, v23
	v_lshl_add_u32 v24, v52, 23, 0x3c000000
	v_and_b32_e32 v12, 0x80000000, v12
	v_or3_b32 v52, v23, v12, v24
.LBB399_3775:                           ;   in Loop: Header=BB399_2079 Depth=1
	s_or_b32 exec_lo, exec_lo, s18
.LBB399_3776:                           ;   in Loop: Header=BB399_2079 Depth=1
	s_or_b32 exec_lo, exec_lo, s15
.LBB399_3777:                           ;   in Loop: Header=BB399_2079 Depth=1
	s_or_b32 exec_lo, exec_lo, s13
	v_and_b32_sdwa v12, v20, v116 dst_sel:DWORD dst_unused:UNUSED_PAD src0_sel:WORD_1 src1_sel:DWORD
	v_mov_b32_e32 v67, 0
	v_mov_b32_e32 v68, 0
	s_mov_b32 s13, exec_lo
	v_cmpx_ne_u16_e32 0, v12
	s_cbranch_execz .LBB399_3785
; %bb.3778:                             ;   in Loop: Header=BB399_2079 Depth=1
	v_bfrev_b32_e32 v68, 1
	s_mov_b32 s15, exec_lo
	v_cmpx_ne_u16_e32 0x80, v12
	s_cbranch_execz .LBB399_3784
; %bb.3779:                             ;   in Loop: Header=BB399_2079 Depth=1
	v_bfe_u32 v65, v20, 16, 7
	v_mov_b32_e32 v68, 0x7f800001
	s_mov_b32 s18, exec_lo
	v_cmpx_ne_u32_e32 0x7f, v65
	s_cbranch_execz .LBB399_3783
; %bb.3780:                             ;   in Loop: Header=BB399_2079 Depth=1
	v_and_b32_sdwa v12, v20, v115 dst_sel:DWORD dst_unused:UNUSED_PAD src0_sel:WORD_1 src1_sel:DWORD
	v_mov_b32_e32 v24, v13
	v_lshrrev_b32_e32 v24, 3, v65
	s_mov_b32 s20, exec_lo
	v_mov_b32_e32 v23, v12
	v_cmpx_gt_u32_e32 8, v65
; %bb.3781:                             ;   in Loop: Header=BB399_2079 Depth=1
	v_ffbh_u32_e32 v23, v12
	v_min_u32_e32 v65, 32, v23
	v_subrev_nc_u32_e32 v23, 28, v65
	v_lshlrev_b64 v[23:24], v23, v[12:13]
	v_sub_nc_u32_e32 v24, 29, v65
	v_and_b32_e32 v23, 7, v23
; %bb.3782:                             ;   in Loop: Header=BB399_2079 Depth=1
	s_or_b32 exec_lo, exec_lo, s20
	v_lshlrev_b32_sdwa v12, v39, v20 dst_sel:DWORD dst_unused:UNUSED_PAD src0_sel:DWORD src1_sel:WORD_1
	v_lshlrev_b32_e32 v23, 20, v23
	v_lshl_add_u32 v24, v24, 23, 0x3c000000
	v_and_b32_e32 v12, 0x80000000, v12
	v_or3_b32 v68, v23, v12, v24
.LBB399_3783:                           ;   in Loop: Header=BB399_2079 Depth=1
	s_or_b32 exec_lo, exec_lo, s18
.LBB399_3784:                           ;   in Loop: Header=BB399_2079 Depth=1
	s_or_b32 exec_lo, exec_lo, s15
.LBB399_3785:                           ;   in Loop: Header=BB399_2079 Depth=1
	s_or_b32 exec_lo, exec_lo, s13
	s_mov_b32 s13, exec_lo
	v_cmpx_lt_u64_e64 s[8:9], v[19:20]
	s_cbranch_execz .LBB399_3793
; %bb.3786:                             ;   in Loop: Header=BB399_2079 Depth=1
	v_cmp_ne_u32_sdwa s4, v20, v114 src0_sel:BYTE_3 src1_sel:DWORD
	v_bfrev_b32_e32 v67, 1
	s_and_saveexec_b32 s15, s4
	s_cbranch_execz .LBB399_3792
; %bb.3787:                             ;   in Loop: Header=BB399_2079 Depth=1
	v_bfe_u32 v65, v20, 24, 7
	v_mov_b32_e32 v67, 0x7f800001
	s_mov_b32 s18, exec_lo
	v_cmpx_ne_u32_e32 0x7f, v65
	s_cbranch_execz .LBB399_3791
; %bb.3788:                             ;   in Loop: Header=BB399_2079 Depth=1
	v_and_b32_sdwa v12, v20, v115 dst_sel:DWORD dst_unused:UNUSED_PAD src0_sel:BYTE_3 src1_sel:DWORD
	v_mov_b32_e32 v24, v13
	v_lshrrev_b32_e32 v19, 3, v65
	s_mov_b32 s20, exec_lo
	v_mov_b32_e32 v23, v12
	v_cmpx_gt_u32_e32 8, v65
; %bb.3789:                             ;   in Loop: Header=BB399_2079 Depth=1
	v_ffbh_u32_e32 v19, v12
	v_min_u32_e32 v19, 32, v19
	v_subrev_nc_u32_e32 v23, 28, v19
	v_sub_nc_u32_e32 v19, 29, v19
	v_lshlrev_b64 v[23:24], v23, v[12:13]
	v_and_b32_e32 v23, 7, v23
; %bb.3790:                             ;   in Loop: Header=BB399_2079 Depth=1
	s_or_b32 exec_lo, exec_lo, s20
	v_lshlrev_b32_sdwa v12, v39, v20 dst_sel:DWORD dst_unused:UNUSED_PAD src0_sel:DWORD src1_sel:BYTE_3
	v_lshlrev_b32_e32 v20, 20, v23
	v_lshl_add_u32 v19, v19, 23, 0x3c000000
	v_and_b32_e32 v12, 0x80000000, v12
	v_or3_b32 v67, v20, v12, v19
.LBB399_3791:                           ;   in Loop: Header=BB399_2079 Depth=1
	s_or_b32 exec_lo, exec_lo, s18
.LBB399_3792:                           ;   in Loop: Header=BB399_2079 Depth=1
	s_or_b32 exec_lo, exec_lo, s15
.LBB399_3793:                           ;   in Loop: Header=BB399_2079 Depth=1
	s_or_b32 exec_lo, exec_lo, s13
	v_mul_f32_e32 v12, v27, v52
	v_bfe_u32 v19, v12, 16, 1
	v_or_b32_e32 v20, 0x400000, v12
	v_cmp_u_f32_e64 s4, v12, v12
	v_add3_u32 v19, v19, v12, 0x7fff
	v_cndmask_b32_e64 v12, v19, v20, s4
	v_lshrrev_b32_e32 v52, 16, v12
	v_mul_f32_e32 v12, v27, v53
	v_bfe_u32 v19, v12, 16, 1
	v_or_b32_e32 v20, 0x400000, v12
	v_cmp_u_f32_e64 s4, v12, v12
	v_add3_u32 v19, v19, v12, 0x7fff
	v_cndmask_b32_e64 v12, v19, v20, s4
	v_lshrrev_b32_e32 v53, 16, v12
	;; [unrolled: 7-line block ×8, first 2 shown]
	s_and_saveexec_b32 s13, vcc_lo
	s_cbranch_execz .LBB399_3795
; %bb.3794:                             ;   in Loop: Header=BB399_2079 Depth=1
	v_cmp_lt_i32_e64 s4, v125, v124
	v_cndmask_b32_e64 v66, 0, v66, s4
	v_cmp_lt_i32_e64 s4, v113, v124
	v_cndmask_b32_e64 v65, 0, v65, s4
	;; [unrolled: 2-line block ×8, first 2 shown]
.LBB399_3795:                           ;   in Loop: Header=BB399_2079 Depth=1
	s_or_b32 exec_lo, exec_lo, s13
	flat_load_dwordx2 v[19:20], v[17:18] offset:512
	v_mov_b32_e32 v80, 0
	v_mov_b32_e32 v16, 0
	s_waitcnt vmcnt(0) lgkmcnt(0)
	v_cmp_ne_u16_sdwa s4, v19, v13 src0_sel:BYTE_0 src1_sel:DWORD
	s_and_saveexec_b32 s13, s4
	s_cbranch_execz .LBB399_3803
; %bb.3796:                             ;   in Loop: Header=BB399_2079 Depth=1
	v_cmp_ne_u16_sdwa s4, v19, v114 src0_sel:BYTE_0 src1_sel:DWORD
	v_bfrev_b32_e32 v16, 1
	s_and_saveexec_b32 s15, s4
	s_cbranch_execz .LBB399_3802
; %bb.3797:                             ;   in Loop: Header=BB399_2079 Depth=1
	v_and_b32_e32 v23, 0x7f, v19
	v_mov_b32_e32 v16, 0x7f800001
	s_mov_b32 s18, exec_lo
	v_cmpx_ne_u32_e32 0x7f, v23
	s_cbranch_execz .LBB399_3801
; %bb.3798:                             ;   in Loop: Header=BB399_2079 Depth=1
	v_lshrrev_b32_e32 v12, 3, v23
	v_cmp_gt_u32_e64 s4, 8, v23
	v_mov_b32_e32 v24, v20
	v_mov_b32_e32 v23, v19
	s_and_saveexec_b32 s20, s4
; %bb.3799:                             ;   in Loop: Header=BB399_2079 Depth=1
	v_and_b32_e32 v12, 7, v19
	v_ffbh_u32_e32 v12, v12
	v_min_u32_e32 v12, 32, v12
	v_subrev_nc_u32_e32 v16, 28, v12
	v_sub_nc_u32_e32 v12, 29, v12
	v_lshlrev_b64 v[23:24], v16, v[19:20]
; %bb.3800:                             ;   in Loop: Header=BB399_2079 Depth=1
	s_or_b32 exec_lo, exec_lo, s20
	v_lshlrev_b32_e32 v16, 20, v23
	v_lshlrev_b32_e32 v23, 24, v19
	v_lshl_add_u32 v12, v12, 23, 0x3c000000
	v_and_b32_e32 v16, 0x700000, v16
	v_and_b32_e32 v23, 0x80000000, v23
	v_or3_b32 v16, v16, v23, v12
.LBB399_3801:                           ;   in Loop: Header=BB399_2079 Depth=1
	s_or_b32 exec_lo, exec_lo, s18
.LBB399_3802:                           ;   in Loop: Header=BB399_2079 Depth=1
	s_or_b32 exec_lo, exec_lo, s15
.LBB399_3803:                           ;   in Loop: Header=BB399_2079 Depth=1
	s_or_b32 exec_lo, exec_lo, s13
	v_cmp_ne_u16_sdwa s4, v19, v13 src0_sel:BYTE_1 src1_sel:DWORD
	s_and_saveexec_b32 s13, s4
	s_cbranch_execz .LBB399_3811
; %bb.3804:                             ;   in Loop: Header=BB399_2079 Depth=1
	v_cmp_ne_u16_sdwa s4, v19, v114 src0_sel:BYTE_1 src1_sel:DWORD
	v_bfrev_b32_e32 v80, 1
	s_and_saveexec_b32 s15, s4
	s_cbranch_execz .LBB399_3810
; %bb.3805:                             ;   in Loop: Header=BB399_2079 Depth=1
	v_and_b32_sdwa v12, v112, v19 dst_sel:DWORD dst_unused:UNUSED_PAD src0_sel:DWORD src1_sel:BYTE_1
	v_mov_b32_e32 v80, 0x7f800001
	s_mov_b32 s18, exec_lo
	v_and_b32_e32 v68, 0x7f, v12
	v_cmpx_ne_u32_e32 0x7f, v68
	s_cbranch_execz .LBB399_3809
; %bb.3806:                             ;   in Loop: Header=BB399_2079 Depth=1
	v_and_b32_e32 v12, 7, v12
	v_mov_b32_e32 v24, v13
	v_lshrrev_b32_e32 v24, 3, v68
	s_mov_b32 s20, exec_lo
	v_mov_b32_e32 v23, v12
	v_cmpx_gt_u32_e32 8, v68
; %bb.3807:                             ;   in Loop: Header=BB399_2079 Depth=1
	v_ffbh_u32_e32 v23, v12
	v_min_u32_e32 v68, 32, v23
	v_subrev_nc_u32_e32 v23, 28, v68
	v_lshlrev_b64 v[23:24], v23, v[12:13]
	v_sub_nc_u32_e32 v24, 29, v68
	v_and_b32_e32 v23, 7, v23
; %bb.3808:                             ;   in Loop: Header=BB399_2079 Depth=1
	s_or_b32 exec_lo, exec_lo, s20
	v_lshlrev_b32_e32 v12, 16, v19
	v_lshlrev_b32_e32 v23, 20, v23
	v_lshl_add_u32 v24, v24, 23, 0x3c000000
	v_and_b32_e32 v12, 0x80000000, v12
	v_or3_b32 v80, v23, v12, v24
.LBB399_3809:                           ;   in Loop: Header=BB399_2079 Depth=1
	s_or_b32 exec_lo, exec_lo, s18
.LBB399_3810:                           ;   in Loop: Header=BB399_2079 Depth=1
	s_or_b32 exec_lo, exec_lo, s15
.LBB399_3811:                           ;   in Loop: Header=BB399_2079 Depth=1
	s_or_b32 exec_lo, exec_lo, s13
	v_and_b32_sdwa v12, v19, v116 dst_sel:DWORD dst_unused:UNUSED_PAD src0_sel:WORD_1 src1_sel:DWORD
	v_mov_b32_e32 v70, 0
	v_mov_b32_e32 v71, 0
	s_mov_b32 s13, exec_lo
	v_cmpx_ne_u16_e32 0, v12
	s_cbranch_execz .LBB399_3819
; %bb.3812:                             ;   in Loop: Header=BB399_2079 Depth=1
	v_bfrev_b32_e32 v71, 1
	s_mov_b32 s15, exec_lo
	v_cmpx_ne_u16_e32 0x80, v12
	s_cbranch_execz .LBB399_3818
; %bb.3813:                             ;   in Loop: Header=BB399_2079 Depth=1
	v_bfe_u32 v68, v19, 16, 7
	v_mov_b32_e32 v71, 0x7f800001
	s_mov_b32 s18, exec_lo
	v_cmpx_ne_u32_e32 0x7f, v68
	s_cbranch_execz .LBB399_3817
; %bb.3814:                             ;   in Loop: Header=BB399_2079 Depth=1
	v_and_b32_sdwa v12, v19, v115 dst_sel:DWORD dst_unused:UNUSED_PAD src0_sel:WORD_1 src1_sel:DWORD
	v_mov_b32_e32 v24, v13
	v_lshrrev_b32_e32 v24, 3, v68
	s_mov_b32 s20, exec_lo
	v_mov_b32_e32 v23, v12
	v_cmpx_gt_u32_e32 8, v68
; %bb.3815:                             ;   in Loop: Header=BB399_2079 Depth=1
	v_ffbh_u32_e32 v23, v12
	v_min_u32_e32 v68, 32, v23
	v_subrev_nc_u32_e32 v23, 28, v68
	v_lshlrev_b64 v[23:24], v23, v[12:13]
	v_sub_nc_u32_e32 v24, 29, v68
	v_and_b32_e32 v23, 7, v23
; %bb.3816:                             ;   in Loop: Header=BB399_2079 Depth=1
	s_or_b32 exec_lo, exec_lo, s20
	v_lshlrev_b32_sdwa v12, v39, v19 dst_sel:DWORD dst_unused:UNUSED_PAD src0_sel:DWORD src1_sel:WORD_1
	v_lshlrev_b32_e32 v23, 20, v23
	v_lshl_add_u32 v24, v24, 23, 0x3c000000
	v_and_b32_e32 v12, 0x80000000, v12
	v_or3_b32 v71, v23, v12, v24
.LBB399_3817:                           ;   in Loop: Header=BB399_2079 Depth=1
	s_or_b32 exec_lo, exec_lo, s18
.LBB399_3818:                           ;   in Loop: Header=BB399_2079 Depth=1
	s_or_b32 exec_lo, exec_lo, s15
.LBB399_3819:                           ;   in Loop: Header=BB399_2079 Depth=1
	s_or_b32 exec_lo, exec_lo, s13
	s_mov_b32 s13, exec_lo
	v_cmpx_lt_u32_e32 0xffffff, v19
	s_cbranch_execz .LBB399_3827
; %bb.3820:                             ;   in Loop: Header=BB399_2079 Depth=1
	v_cmp_ne_u32_sdwa s4, v19, v114 src0_sel:BYTE_3 src1_sel:DWORD
	v_bfrev_b32_e32 v70, 1
	s_and_saveexec_b32 s15, s4
	s_cbranch_execz .LBB399_3826
; %bb.3821:                             ;   in Loop: Header=BB399_2079 Depth=1
	v_bfe_u32 v68, v19, 24, 7
	v_mov_b32_e32 v70, 0x7f800001
	s_mov_b32 s18, exec_lo
	v_cmpx_ne_u32_e32 0x7f, v68
	s_cbranch_execz .LBB399_3825
; %bb.3822:                             ;   in Loop: Header=BB399_2079 Depth=1
	v_and_b32_sdwa v12, v19, v115 dst_sel:DWORD dst_unused:UNUSED_PAD src0_sel:BYTE_3 src1_sel:DWORD
	v_mov_b32_e32 v24, v13
	v_lshrrev_b32_e32 v24, 3, v68
	s_mov_b32 s20, exec_lo
	v_mov_b32_e32 v23, v12
	v_cmpx_gt_u32_e32 8, v68
; %bb.3823:                             ;   in Loop: Header=BB399_2079 Depth=1
	v_ffbh_u32_e32 v23, v12
	v_min_u32_e32 v68, 32, v23
	v_subrev_nc_u32_e32 v23, 28, v68
	v_lshlrev_b64 v[23:24], v23, v[12:13]
	v_sub_nc_u32_e32 v24, 29, v68
	v_and_b32_e32 v23, 7, v23
; %bb.3824:                             ;   in Loop: Header=BB399_2079 Depth=1
	s_or_b32 exec_lo, exec_lo, s20
	v_lshlrev_b32_sdwa v12, v39, v19 dst_sel:DWORD dst_unused:UNUSED_PAD src0_sel:DWORD src1_sel:BYTE_3
	v_lshlrev_b32_e32 v23, 20, v23
	v_lshl_add_u32 v24, v24, 23, 0x3c000000
	v_and_b32_e32 v12, 0x80000000, v12
	v_or3_b32 v70, v23, v12, v24
.LBB399_3825:                           ;   in Loop: Header=BB399_2079 Depth=1
	s_or_b32 exec_lo, exec_lo, s18
.LBB399_3826:                           ;   in Loop: Header=BB399_2079 Depth=1
	s_or_b32 exec_lo, exec_lo, s15
.LBB399_3827:                           ;   in Loop: Header=BB399_2079 Depth=1
	s_or_b32 exec_lo, exec_lo, s13
	v_mov_b32_e32 v12, v20
	v_cmp_ne_u16_sdwa s4, v20, v13 src0_sel:BYTE_0 src1_sel:DWORD
	v_mov_b32_e32 v68, 0
	v_mov_b32_e32 v69, 0
	s_and_saveexec_b32 s13, s4
	s_cbranch_execz .LBB399_3835
; %bb.3828:                             ;   in Loop: Header=BB399_2079 Depth=1
	v_cmp_ne_u16_sdwa s4, v20, v114 src0_sel:BYTE_0 src1_sel:DWORD
	v_bfrev_b32_e32 v69, 1
	s_and_saveexec_b32 s15, s4
	s_cbranch_execz .LBB399_3834
; %bb.3829:                             ;   in Loop: Header=BB399_2079 Depth=1
	v_and_b32_e32 v81, 0x7f, v20
	v_mov_b32_e32 v69, 0x7f800001
	s_mov_b32 s18, exec_lo
	v_cmpx_ne_u32_e32 0x7f, v81
	s_cbranch_execz .LBB399_3833
; %bb.3830:                             ;   in Loop: Header=BB399_2079 Depth=1
	v_mov_b32_e32 v24, v13
	v_mov_b32_e32 v23, v12
	v_lshrrev_b32_e32 v24, 3, v81
	s_mov_b32 s20, exec_lo
	v_cmpx_gt_u32_e32 8, v81
; %bb.3831:                             ;   in Loop: Header=BB399_2079 Depth=1
	v_and_b32_e32 v23, 7, v20
	v_ffbh_u32_e32 v23, v23
	v_min_u32_e32 v69, 32, v23
	v_subrev_nc_u32_e32 v23, 28, v69
	v_lshlrev_b64 v[23:24], v23, v[12:13]
	v_sub_nc_u32_e32 v24, 29, v69
; %bb.3832:                             ;   in Loop: Header=BB399_2079 Depth=1
	s_or_b32 exec_lo, exec_lo, s20
	v_lshlrev_b32_e32 v23, 20, v23
	v_lshlrev_b32_e32 v69, 24, v12
	v_lshl_add_u32 v24, v24, 23, 0x3c000000
	v_and_b32_e32 v23, 0x700000, v23
	v_and_b32_e32 v69, 0x80000000, v69
	v_or3_b32 v69, v23, v69, v24
.LBB399_3833:                           ;   in Loop: Header=BB399_2079 Depth=1
	s_or_b32 exec_lo, exec_lo, s18
.LBB399_3834:                           ;   in Loop: Header=BB399_2079 Depth=1
	s_or_b32 exec_lo, exec_lo, s15
.LBB399_3835:                           ;   in Loop: Header=BB399_2079 Depth=1
	s_or_b32 exec_lo, exec_lo, s13
	v_cmp_ne_u16_sdwa s4, v12, v13 src0_sel:BYTE_1 src1_sel:DWORD
	s_and_saveexec_b32 s13, s4
	s_cbranch_execz .LBB399_3843
; %bb.3836:                             ;   in Loop: Header=BB399_2079 Depth=1
	v_cmp_ne_u16_sdwa s4, v12, v114 src0_sel:BYTE_1 src1_sel:DWORD
	v_bfrev_b32_e32 v68, 1
	s_and_saveexec_b32 s15, s4
	s_cbranch_execz .LBB399_3842
; %bb.3837:                             ;   in Loop: Header=BB399_2079 Depth=1
	v_and_b32_sdwa v23, v112, v12 dst_sel:DWORD dst_unused:UNUSED_PAD src0_sel:DWORD src1_sel:BYTE_1
	v_mov_b32_e32 v68, 0x7f800001
	s_mov_b32 s18, exec_lo
	v_and_b32_e32 v81, 0x7f, v23
	v_cmpx_ne_u32_e32 0x7f, v81
	s_cbranch_execz .LBB399_3841
; %bb.3838:                             ;   in Loop: Header=BB399_2079 Depth=1
	v_and_b32_e32 v23, 7, v23
	v_mov_b32_e32 v24, v13
	v_lshrrev_b32_e32 v68, 3, v81
	s_mov_b32 s20, exec_lo
	v_cmpx_gt_u32_e32 8, v81
; %bb.3839:                             ;   in Loop: Header=BB399_2079 Depth=1
	v_ffbh_u32_e32 v68, v23
	v_min_u32_e32 v68, 32, v68
	v_subrev_nc_u32_e32 v81, 28, v68
	v_sub_nc_u32_e32 v68, 29, v68
	v_lshlrev_b64 v[23:24], v81, v[23:24]
	v_and_b32_e32 v23, 7, v23
; %bb.3840:                             ;   in Loop: Header=BB399_2079 Depth=1
	s_or_b32 exec_lo, exec_lo, s20
	v_lshlrev_b32_e32 v12, 16, v12
	v_lshlrev_b32_e32 v23, 20, v23
	v_lshl_add_u32 v24, v68, 23, 0x3c000000
	v_and_b32_e32 v12, 0x80000000, v12
	v_or3_b32 v68, v23, v12, v24
.LBB399_3841:                           ;   in Loop: Header=BB399_2079 Depth=1
	s_or_b32 exec_lo, exec_lo, s18
.LBB399_3842:                           ;   in Loop: Header=BB399_2079 Depth=1
	s_or_b32 exec_lo, exec_lo, s15
.LBB399_3843:                           ;   in Loop: Header=BB399_2079 Depth=1
	s_or_b32 exec_lo, exec_lo, s13
	v_and_b32_sdwa v12, v20, v116 dst_sel:DWORD dst_unused:UNUSED_PAD src0_sel:WORD_1 src1_sel:DWORD
	v_mov_b32_e32 v83, 0
	v_mov_b32_e32 v84, 0
	s_mov_b32 s13, exec_lo
	v_cmpx_ne_u16_e32 0, v12
	s_cbranch_execz .LBB399_3851
; %bb.3844:                             ;   in Loop: Header=BB399_2079 Depth=1
	v_bfrev_b32_e32 v84, 1
	s_mov_b32 s15, exec_lo
	v_cmpx_ne_u16_e32 0x80, v12
	s_cbranch_execz .LBB399_3850
; %bb.3845:                             ;   in Loop: Header=BB399_2079 Depth=1
	v_bfe_u32 v81, v20, 16, 7
	v_mov_b32_e32 v84, 0x7f800001
	s_mov_b32 s18, exec_lo
	v_cmpx_ne_u32_e32 0x7f, v81
	s_cbranch_execz .LBB399_3849
; %bb.3846:                             ;   in Loop: Header=BB399_2079 Depth=1
	v_and_b32_sdwa v12, v20, v115 dst_sel:DWORD dst_unused:UNUSED_PAD src0_sel:WORD_1 src1_sel:DWORD
	v_mov_b32_e32 v24, v13
	v_lshrrev_b32_e32 v24, 3, v81
	s_mov_b32 s20, exec_lo
	v_mov_b32_e32 v23, v12
	v_cmpx_gt_u32_e32 8, v81
; %bb.3847:                             ;   in Loop: Header=BB399_2079 Depth=1
	v_ffbh_u32_e32 v23, v12
	v_min_u32_e32 v81, 32, v23
	v_subrev_nc_u32_e32 v23, 28, v81
	v_lshlrev_b64 v[23:24], v23, v[12:13]
	v_sub_nc_u32_e32 v24, 29, v81
	v_and_b32_e32 v23, 7, v23
; %bb.3848:                             ;   in Loop: Header=BB399_2079 Depth=1
	s_or_b32 exec_lo, exec_lo, s20
	v_lshlrev_b32_sdwa v12, v39, v20 dst_sel:DWORD dst_unused:UNUSED_PAD src0_sel:DWORD src1_sel:WORD_1
	v_lshlrev_b32_e32 v23, 20, v23
	v_lshl_add_u32 v24, v24, 23, 0x3c000000
	v_and_b32_e32 v12, 0x80000000, v12
	v_or3_b32 v84, v23, v12, v24
.LBB399_3849:                           ;   in Loop: Header=BB399_2079 Depth=1
	s_or_b32 exec_lo, exec_lo, s18
.LBB399_3850:                           ;   in Loop: Header=BB399_2079 Depth=1
	s_or_b32 exec_lo, exec_lo, s15
.LBB399_3851:                           ;   in Loop: Header=BB399_2079 Depth=1
	s_or_b32 exec_lo, exec_lo, s13
	s_mov_b32 s13, exec_lo
	v_cmpx_lt_u64_e64 s[8:9], v[19:20]
	s_cbranch_execz .LBB399_3859
; %bb.3852:                             ;   in Loop: Header=BB399_2079 Depth=1
	v_cmp_ne_u32_sdwa s4, v20, v114 src0_sel:BYTE_3 src1_sel:DWORD
	v_bfrev_b32_e32 v83, 1
	s_and_saveexec_b32 s15, s4
	s_cbranch_execz .LBB399_3858
; %bb.3853:                             ;   in Loop: Header=BB399_2079 Depth=1
	v_bfe_u32 v81, v20, 24, 7
	v_mov_b32_e32 v83, 0x7f800001
	s_mov_b32 s18, exec_lo
	v_cmpx_ne_u32_e32 0x7f, v81
	s_cbranch_execz .LBB399_3857
; %bb.3854:                             ;   in Loop: Header=BB399_2079 Depth=1
	v_and_b32_sdwa v12, v20, v115 dst_sel:DWORD dst_unused:UNUSED_PAD src0_sel:BYTE_3 src1_sel:DWORD
	v_mov_b32_e32 v24, v13
	v_lshrrev_b32_e32 v19, 3, v81
	s_mov_b32 s20, exec_lo
	v_mov_b32_e32 v23, v12
	v_cmpx_gt_u32_e32 8, v81
; %bb.3855:                             ;   in Loop: Header=BB399_2079 Depth=1
	v_ffbh_u32_e32 v19, v12
	v_min_u32_e32 v19, 32, v19
	v_subrev_nc_u32_e32 v23, 28, v19
	v_sub_nc_u32_e32 v19, 29, v19
	v_lshlrev_b64 v[23:24], v23, v[12:13]
	v_and_b32_e32 v23, 7, v23
; %bb.3856:                             ;   in Loop: Header=BB399_2079 Depth=1
	s_or_b32 exec_lo, exec_lo, s20
	v_lshlrev_b32_sdwa v12, v39, v20 dst_sel:DWORD dst_unused:UNUSED_PAD src0_sel:DWORD src1_sel:BYTE_3
	v_lshlrev_b32_e32 v20, 20, v23
	v_lshl_add_u32 v19, v19, 23, 0x3c000000
	v_and_b32_e32 v12, 0x80000000, v12
	v_or3_b32 v83, v20, v12, v19
.LBB399_3857:                           ;   in Loop: Header=BB399_2079 Depth=1
	s_or_b32 exec_lo, exec_lo, s18
.LBB399_3858:                           ;   in Loop: Header=BB399_2079 Depth=1
	s_or_b32 exec_lo, exec_lo, s15
.LBB399_3859:                           ;   in Loop: Header=BB399_2079 Depth=1
	s_or_b32 exec_lo, exec_lo, s13
	v_mul_f32_e32 v12, v27, v68
	v_bfe_u32 v19, v12, 16, 1
	v_or_b32_e32 v20, 0x400000, v12
	v_cmp_u_f32_e64 s4, v12, v12
	v_add3_u32 v19, v19, v12, 0x7fff
	v_cndmask_b32_e64 v12, v19, v20, s4
	v_lshrrev_b32_e32 v68, 16, v12
	v_mul_f32_e32 v12, v27, v69
	v_bfe_u32 v19, v12, 16, 1
	v_or_b32_e32 v20, 0x400000, v12
	v_cmp_u_f32_e64 s4, v12, v12
	v_add3_u32 v19, v19, v12, 0x7fff
	v_cndmask_b32_e64 v12, v19, v20, s4
	v_lshrrev_b32_e32 v69, 16, v12
	v_mul_f32_e32 v12, v27, v70
	v_bfe_u32 v19, v12, 16, 1
	v_or_b32_e32 v20, 0x400000, v12
	v_cmp_u_f32_e64 s4, v12, v12
	v_add3_u32 v19, v19, v12, 0x7fff
	v_cndmask_b32_e64 v12, v19, v20, s4
	v_lshrrev_b32_e32 v70, 16, v12
	v_mul_f32_e32 v12, v27, v71
	v_bfe_u32 v19, v12, 16, 1
	v_or_b32_e32 v20, 0x400000, v12
	v_cmp_u_f32_e64 s4, v12, v12
	v_add3_u32 v19, v19, v12, 0x7fff
	v_cndmask_b32_e64 v12, v19, v20, s4
	v_lshrrev_b32_e32 v71, 16, v12
	v_mul_f32_e32 v12, v27, v80
	v_bfe_u32 v19, v12, 16, 1
	v_or_b32_e32 v20, 0x400000, v12
	v_cmp_u_f32_e64 s4, v12, v12
	v_add3_u32 v19, v19, v12, 0x7fff
	v_cndmask_b32_e64 v12, v19, v20, s4
	v_lshrrev_b32_e32 v81, 16, v12
	v_mul_f32_e32 v12, v27, v16
	v_bfe_u32 v16, v12, 16, 1
	v_or_b32_e32 v19, 0x400000, v12
	v_cmp_u_f32_e64 s4, v12, v12
	v_add3_u32 v16, v16, v12, 0x7fff
	v_cndmask_b32_e64 v12, v16, v19, s4
	v_lshrrev_b32_e32 v82, 16, v12
	v_mul_f32_e32 v12, v27, v84
	v_bfe_u32 v16, v12, 16, 1
	v_or_b32_e32 v19, 0x400000, v12
	v_cmp_u_f32_e64 s4, v12, v12
	v_add3_u32 v16, v16, v12, 0x7fff
	v_cndmask_b32_e64 v12, v16, v19, s4
	v_lshrrev_b32_e32 v80, 16, v12
	v_mul_f32_e32 v12, v27, v83
	v_bfe_u32 v16, v12, 16, 1
	v_or_b32_e32 v19, 0x400000, v12
	v_cmp_u_f32_e64 s4, v12, v12
	v_add3_u32 v16, v16, v12, 0x7fff
	v_cndmask_b32_e64 v12, v16, v19, s4
	v_lshrrev_b32_e32 v83, 16, v12
	s_and_saveexec_b32 s13, vcc_lo
	s_cbranch_execz .LBB399_3861
; %bb.3860:                             ;   in Loop: Header=BB399_2079 Depth=1
	v_cmp_lt_i32_e64 s4, v125, v124
	v_cndmask_b32_e64 v82, 0, v82, s4
	v_cmp_lt_i32_e64 s4, v113, v124
	v_cndmask_b32_e64 v81, 0, v81, s4
	;; [unrolled: 2-line block ×8, first 2 shown]
.LBB399_3861:                           ;   in Loop: Header=BB399_2079 Depth=1
	s_or_b32 exec_lo, exec_lo, s13
	flat_load_dwordx2 v[19:20], v[17:18] offset:768
	v_mov_b32_e32 v96, 0
	v_mov_b32_e32 v87, 0
	s_waitcnt vmcnt(0) lgkmcnt(0)
	v_cmp_ne_u16_sdwa s4, v19, v13 src0_sel:BYTE_0 src1_sel:DWORD
	s_and_saveexec_b32 s13, s4
	s_cbranch_execz .LBB399_3869
; %bb.3862:                             ;   in Loop: Header=BB399_2079 Depth=1
	v_cmp_ne_u16_sdwa s4, v19, v114 src0_sel:BYTE_0 src1_sel:DWORD
	v_bfrev_b32_e32 v87, 1
	s_and_saveexec_b32 s15, s4
	s_cbranch_execz .LBB399_3868
; %bb.3863:                             ;   in Loop: Header=BB399_2079 Depth=1
	v_and_b32_e32 v16, 0x7f, v19
	v_mov_b32_e32 v87, 0x7f800001
	s_mov_b32 s18, exec_lo
	v_cmpx_ne_u32_e32 0x7f, v16
	s_cbranch_execz .LBB399_3867
; %bb.3864:                             ;   in Loop: Header=BB399_2079 Depth=1
	v_mov_b32_e32 v24, v20
	v_lshrrev_b32_e32 v12, 3, v16
	v_mov_b32_e32 v23, v19
	s_mov_b32 s20, exec_lo
	v_cmpx_gt_u32_e32 8, v16
; %bb.3865:                             ;   in Loop: Header=BB399_2079 Depth=1
	v_and_b32_e32 v12, 7, v19
	v_ffbh_u32_e32 v12, v12
	v_min_u32_e32 v12, 32, v12
	v_subrev_nc_u32_e32 v16, 28, v12
	v_sub_nc_u32_e32 v12, 29, v12
	v_lshlrev_b64 v[23:24], v16, v[19:20]
; %bb.3866:                             ;   in Loop: Header=BB399_2079 Depth=1
	s_or_b32 exec_lo, exec_lo, s20
	v_lshlrev_b32_e32 v16, 20, v23
	v_lshlrev_b32_e32 v23, 24, v19
	v_lshl_add_u32 v12, v12, 23, 0x3c000000
	v_and_b32_e32 v16, 0x700000, v16
	v_and_b32_e32 v23, 0x80000000, v23
	v_or3_b32 v87, v16, v23, v12
.LBB399_3867:                           ;   in Loop: Header=BB399_2079 Depth=1
	s_or_b32 exec_lo, exec_lo, s18
.LBB399_3868:                           ;   in Loop: Header=BB399_2079 Depth=1
	s_or_b32 exec_lo, exec_lo, s15
.LBB399_3869:                           ;   in Loop: Header=BB399_2079 Depth=1
	s_or_b32 exec_lo, exec_lo, s13
	v_cmp_ne_u16_sdwa s4, v19, v13 src0_sel:BYTE_1 src1_sel:DWORD
	s_and_saveexec_b32 s13, s4
	s_cbranch_execz .LBB399_3877
; %bb.3870:                             ;   in Loop: Header=BB399_2079 Depth=1
	v_cmp_ne_u16_sdwa s4, v19, v114 src0_sel:BYTE_1 src1_sel:DWORD
	v_bfrev_b32_e32 v96, 1
	s_and_saveexec_b32 s15, s4
	s_cbranch_execz .LBB399_3876
; %bb.3871:                             ;   in Loop: Header=BB399_2079 Depth=1
	v_and_b32_sdwa v12, v112, v19 dst_sel:DWORD dst_unused:UNUSED_PAD src0_sel:DWORD src1_sel:BYTE_1
	v_mov_b32_e32 v96, 0x7f800001
	s_mov_b32 s18, exec_lo
	v_and_b32_e32 v84, 0x7f, v12
	v_cmpx_ne_u32_e32 0x7f, v84
	s_cbranch_execz .LBB399_3875
; %bb.3872:                             ;   in Loop: Header=BB399_2079 Depth=1
	v_and_b32_e32 v12, 7, v12
	v_mov_b32_e32 v24, v13
	v_lshrrev_b32_e32 v16, 3, v84
	s_mov_b32 s20, exec_lo
	v_mov_b32_e32 v23, v12
	v_cmpx_gt_u32_e32 8, v84
; %bb.3873:                             ;   in Loop: Header=BB399_2079 Depth=1
	v_ffbh_u32_e32 v16, v12
	v_min_u32_e32 v16, 32, v16
	v_subrev_nc_u32_e32 v23, 28, v16
	v_sub_nc_u32_e32 v16, 29, v16
	v_lshlrev_b64 v[23:24], v23, v[12:13]
	v_and_b32_e32 v23, 7, v23
; %bb.3874:                             ;   in Loop: Header=BB399_2079 Depth=1
	s_or_b32 exec_lo, exec_lo, s20
	v_lshlrev_b32_e32 v12, 16, v19
	v_lshlrev_b32_e32 v23, 20, v23
	v_lshl_add_u32 v16, v16, 23, 0x3c000000
	v_and_b32_e32 v12, 0x80000000, v12
	v_or3_b32 v96, v23, v12, v16
.LBB399_3875:                           ;   in Loop: Header=BB399_2079 Depth=1
	s_or_b32 exec_lo, exec_lo, s18
.LBB399_3876:                           ;   in Loop: Header=BB399_2079 Depth=1
	s_or_b32 exec_lo, exec_lo, s15
.LBB399_3877:                           ;   in Loop: Header=BB399_2079 Depth=1
	s_or_b32 exec_lo, exec_lo, s13
	v_and_b32_sdwa v12, v19, v116 dst_sel:DWORD dst_unused:UNUSED_PAD src0_sel:WORD_1 src1_sel:DWORD
	v_mov_b32_e32 v85, 0
	v_mov_b32_e32 v86, 0
	s_mov_b32 s13, exec_lo
	v_cmpx_ne_u16_e32 0, v12
	s_cbranch_execz .LBB399_3885
; %bb.3878:                             ;   in Loop: Header=BB399_2079 Depth=1
	v_bfrev_b32_e32 v86, 1
	s_mov_b32 s15, exec_lo
	v_cmpx_ne_u16_e32 0x80, v12
	s_cbranch_execz .LBB399_3884
; %bb.3879:                             ;   in Loop: Header=BB399_2079 Depth=1
	v_bfe_u32 v84, v19, 16, 7
	v_mov_b32_e32 v86, 0x7f800001
	s_mov_b32 s18, exec_lo
	v_cmpx_ne_u32_e32 0x7f, v84
	s_cbranch_execz .LBB399_3883
; %bb.3880:                             ;   in Loop: Header=BB399_2079 Depth=1
	v_and_b32_sdwa v12, v19, v115 dst_sel:DWORD dst_unused:UNUSED_PAD src0_sel:WORD_1 src1_sel:DWORD
	v_mov_b32_e32 v24, v13
	v_lshrrev_b32_e32 v16, 3, v84
	s_mov_b32 s20, exec_lo
	v_mov_b32_e32 v23, v12
	v_cmpx_gt_u32_e32 8, v84
; %bb.3881:                             ;   in Loop: Header=BB399_2079 Depth=1
	v_ffbh_u32_e32 v16, v12
	v_min_u32_e32 v16, 32, v16
	v_subrev_nc_u32_e32 v23, 28, v16
	v_sub_nc_u32_e32 v16, 29, v16
	v_lshlrev_b64 v[23:24], v23, v[12:13]
	v_and_b32_e32 v23, 7, v23
; %bb.3882:                             ;   in Loop: Header=BB399_2079 Depth=1
	s_or_b32 exec_lo, exec_lo, s20
	v_lshlrev_b32_sdwa v12, v39, v19 dst_sel:DWORD dst_unused:UNUSED_PAD src0_sel:DWORD src1_sel:WORD_1
	v_lshlrev_b32_e32 v23, 20, v23
	v_lshl_add_u32 v16, v16, 23, 0x3c000000
	v_and_b32_e32 v12, 0x80000000, v12
	v_or3_b32 v86, v23, v12, v16
.LBB399_3883:                           ;   in Loop: Header=BB399_2079 Depth=1
	s_or_b32 exec_lo, exec_lo, s18
.LBB399_3884:                           ;   in Loop: Header=BB399_2079 Depth=1
	s_or_b32 exec_lo, exec_lo, s15
.LBB399_3885:                           ;   in Loop: Header=BB399_2079 Depth=1
	s_or_b32 exec_lo, exec_lo, s13
	s_mov_b32 s13, exec_lo
	v_cmpx_lt_u32_e32 0xffffff, v19
	s_cbranch_execz .LBB399_3893
; %bb.3886:                             ;   in Loop: Header=BB399_2079 Depth=1
	v_cmp_ne_u32_sdwa s4, v19, v114 src0_sel:BYTE_3 src1_sel:DWORD
	v_bfrev_b32_e32 v85, 1
	s_and_saveexec_b32 s15, s4
	s_cbranch_execz .LBB399_3892
; %bb.3887:                             ;   in Loop: Header=BB399_2079 Depth=1
	v_bfe_u32 v84, v19, 24, 7
	v_mov_b32_e32 v85, 0x7f800001
	s_mov_b32 s18, exec_lo
	v_cmpx_ne_u32_e32 0x7f, v84
	s_cbranch_execz .LBB399_3891
; %bb.3888:                             ;   in Loop: Header=BB399_2079 Depth=1
	v_and_b32_sdwa v12, v19, v115 dst_sel:DWORD dst_unused:UNUSED_PAD src0_sel:BYTE_3 src1_sel:DWORD
	v_mov_b32_e32 v24, v13
	v_lshrrev_b32_e32 v16, 3, v84
	s_mov_b32 s20, exec_lo
	v_mov_b32_e32 v23, v12
	v_cmpx_gt_u32_e32 8, v84
; %bb.3889:                             ;   in Loop: Header=BB399_2079 Depth=1
	v_ffbh_u32_e32 v16, v12
	v_min_u32_e32 v16, 32, v16
	v_subrev_nc_u32_e32 v23, 28, v16
	v_sub_nc_u32_e32 v16, 29, v16
	v_lshlrev_b64 v[23:24], v23, v[12:13]
	v_and_b32_e32 v23, 7, v23
; %bb.3890:                             ;   in Loop: Header=BB399_2079 Depth=1
	s_or_b32 exec_lo, exec_lo, s20
	v_lshlrev_b32_sdwa v12, v39, v19 dst_sel:DWORD dst_unused:UNUSED_PAD src0_sel:DWORD src1_sel:BYTE_3
	v_lshlrev_b32_e32 v23, 20, v23
	v_lshl_add_u32 v16, v16, 23, 0x3c000000
	v_and_b32_e32 v12, 0x80000000, v12
	v_or3_b32 v85, v23, v12, v16
.LBB399_3891:                           ;   in Loop: Header=BB399_2079 Depth=1
	s_or_b32 exec_lo, exec_lo, s18
.LBB399_3892:                           ;   in Loop: Header=BB399_2079 Depth=1
	s_or_b32 exec_lo, exec_lo, s15
.LBB399_3893:                           ;   in Loop: Header=BB399_2079 Depth=1
	s_or_b32 exec_lo, exec_lo, s13
	v_mov_b32_e32 v12, v20
	v_cmp_ne_u16_sdwa s4, v20, v13 src0_sel:BYTE_0 src1_sel:DWORD
	v_mov_b32_e32 v16, 0
	v_mov_b32_e32 v84, 0
	s_and_saveexec_b32 s13, s4
	s_cbranch_execz .LBB399_3901
; %bb.3894:                             ;   in Loop: Header=BB399_2079 Depth=1
	v_cmp_ne_u16_sdwa s4, v20, v114 src0_sel:BYTE_0 src1_sel:DWORD
	v_bfrev_b32_e32 v84, 1
	s_and_saveexec_b32 s15, s4
	s_cbranch_execz .LBB399_3900
; %bb.3895:                             ;   in Loop: Header=BB399_2079 Depth=1
	v_and_b32_e32 v97, 0x7f, v20
	v_mov_b32_e32 v84, 0x7f800001
	s_mov_b32 s18, exec_lo
	v_cmpx_ne_u32_e32 0x7f, v97
	s_cbranch_execz .LBB399_3899
; %bb.3896:                             ;   in Loop: Header=BB399_2079 Depth=1
	v_mov_b32_e32 v24, v13
	v_mov_b32_e32 v23, v12
	v_lshrrev_b32_e32 v24, 3, v97
	s_mov_b32 s20, exec_lo
	v_cmpx_gt_u32_e32 8, v97
; %bb.3897:                             ;   in Loop: Header=BB399_2079 Depth=1
	v_and_b32_e32 v23, 7, v20
	v_ffbh_u32_e32 v23, v23
	v_min_u32_e32 v84, 32, v23
	v_subrev_nc_u32_e32 v23, 28, v84
	v_lshlrev_b64 v[23:24], v23, v[12:13]
	v_sub_nc_u32_e32 v24, 29, v84
; %bb.3898:                             ;   in Loop: Header=BB399_2079 Depth=1
	s_or_b32 exec_lo, exec_lo, s20
	v_lshlrev_b32_e32 v23, 20, v23
	v_lshlrev_b32_e32 v84, 24, v12
	v_lshl_add_u32 v24, v24, 23, 0x3c000000
	v_and_b32_e32 v23, 0x700000, v23
	v_and_b32_e32 v84, 0x80000000, v84
	v_or3_b32 v84, v23, v84, v24
.LBB399_3899:                           ;   in Loop: Header=BB399_2079 Depth=1
	s_or_b32 exec_lo, exec_lo, s18
.LBB399_3900:                           ;   in Loop: Header=BB399_2079 Depth=1
	s_or_b32 exec_lo, exec_lo, s15
.LBB399_3901:                           ;   in Loop: Header=BB399_2079 Depth=1
	s_or_b32 exec_lo, exec_lo, s13
	v_cmp_ne_u16_sdwa s4, v12, v13 src0_sel:BYTE_1 src1_sel:DWORD
	s_and_saveexec_b32 s13, s4
	s_cbranch_execz .LBB399_3909
; %bb.3902:                             ;   in Loop: Header=BB399_2079 Depth=1
	v_cmp_ne_u16_sdwa s4, v12, v114 src0_sel:BYTE_1 src1_sel:DWORD
	v_bfrev_b32_e32 v16, 1
	s_and_saveexec_b32 s15, s4
	s_cbranch_execz .LBB399_3908
; %bb.3903:                             ;   in Loop: Header=BB399_2079 Depth=1
	v_and_b32_sdwa v23, v112, v12 dst_sel:DWORD dst_unused:UNUSED_PAD src0_sel:DWORD src1_sel:BYTE_1
	v_mov_b32_e32 v16, 0x7f800001
	s_mov_b32 s18, exec_lo
	v_and_b32_e32 v97, 0x7f, v23
	v_cmpx_ne_u32_e32 0x7f, v97
	s_cbranch_execz .LBB399_3907
; %bb.3904:                             ;   in Loop: Header=BB399_2079 Depth=1
	v_and_b32_e32 v23, 7, v23
	v_mov_b32_e32 v24, v13
	v_lshrrev_b32_e32 v16, 3, v97
	s_mov_b32 s20, exec_lo
	v_cmpx_gt_u32_e32 8, v97
; %bb.3905:                             ;   in Loop: Header=BB399_2079 Depth=1
	v_ffbh_u32_e32 v16, v23
	v_min_u32_e32 v16, 32, v16
	v_subrev_nc_u32_e32 v97, 28, v16
	v_sub_nc_u32_e32 v16, 29, v16
	v_lshlrev_b64 v[23:24], v97, v[23:24]
	v_and_b32_e32 v23, 7, v23
; %bb.3906:                             ;   in Loop: Header=BB399_2079 Depth=1
	s_or_b32 exec_lo, exec_lo, s20
	v_lshlrev_b32_e32 v12, 16, v12
	v_lshlrev_b32_e32 v23, 20, v23
	v_lshl_add_u32 v16, v16, 23, 0x3c000000
	v_and_b32_e32 v12, 0x80000000, v12
	v_or3_b32 v16, v23, v12, v16
.LBB399_3907:                           ;   in Loop: Header=BB399_2079 Depth=1
	s_or_b32 exec_lo, exec_lo, s18
.LBB399_3908:                           ;   in Loop: Header=BB399_2079 Depth=1
	s_or_b32 exec_lo, exec_lo, s15
.LBB399_3909:                           ;   in Loop: Header=BB399_2079 Depth=1
	s_or_b32 exec_lo, exec_lo, s13
	v_and_b32_sdwa v12, v20, v116 dst_sel:DWORD dst_unused:UNUSED_PAD src0_sel:WORD_1 src1_sel:DWORD
	v_mov_b32_e32 v45, 0
	v_mov_b32_e32 v46, 0
	s_mov_b32 s13, exec_lo
	v_cmpx_ne_u16_e32 0, v12
	s_cbranch_execz .LBB399_3917
; %bb.3910:                             ;   in Loop: Header=BB399_2079 Depth=1
	v_bfrev_b32_e32 v46, 1
	s_mov_b32 s15, exec_lo
	v_cmpx_ne_u16_e32 0x80, v12
	s_cbranch_execz .LBB399_3916
; %bb.3911:                             ;   in Loop: Header=BB399_2079 Depth=1
	v_bfe_u32 v97, v20, 16, 7
	v_mov_b32_e32 v46, 0x7f800001
	s_mov_b32 s18, exec_lo
	v_cmpx_ne_u32_e32 0x7f, v97
	s_cbranch_execz .LBB399_3915
; %bb.3912:                             ;   in Loop: Header=BB399_2079 Depth=1
	v_and_b32_sdwa v12, v20, v115 dst_sel:DWORD dst_unused:UNUSED_PAD src0_sel:WORD_1 src1_sel:DWORD
	v_mov_b32_e32 v24, v13
	v_lshrrev_b32_e32 v24, 3, v97
	s_mov_b32 s20, exec_lo
	v_mov_b32_e32 v23, v12
	v_cmpx_gt_u32_e32 8, v97
; %bb.3913:                             ;   in Loop: Header=BB399_2079 Depth=1
	v_ffbh_u32_e32 v23, v12
	v_min_u32_e32 v97, 32, v23
	v_subrev_nc_u32_e32 v23, 28, v97
	v_lshlrev_b64 v[23:24], v23, v[12:13]
	v_sub_nc_u32_e32 v24, 29, v97
	v_and_b32_e32 v23, 7, v23
; %bb.3914:                             ;   in Loop: Header=BB399_2079 Depth=1
	s_or_b32 exec_lo, exec_lo, s20
	v_lshlrev_b32_sdwa v12, v39, v20 dst_sel:DWORD dst_unused:UNUSED_PAD src0_sel:DWORD src1_sel:WORD_1
	v_lshlrev_b32_e32 v23, 20, v23
	v_lshl_add_u32 v24, v24, 23, 0x3c000000
	v_and_b32_e32 v12, 0x80000000, v12
	v_or3_b32 v46, v23, v12, v24
.LBB399_3915:                           ;   in Loop: Header=BB399_2079 Depth=1
	s_or_b32 exec_lo, exec_lo, s18
.LBB399_3916:                           ;   in Loop: Header=BB399_2079 Depth=1
	s_or_b32 exec_lo, exec_lo, s15
.LBB399_3917:                           ;   in Loop: Header=BB399_2079 Depth=1
	s_or_b32 exec_lo, exec_lo, s13
	s_mov_b32 s13, exec_lo
	v_cmpx_lt_u64_e64 s[8:9], v[19:20]
	s_cbranch_execz .LBB399_3925
; %bb.3918:                             ;   in Loop: Header=BB399_2079 Depth=1
	v_cmp_ne_u32_sdwa s4, v20, v114 src0_sel:BYTE_3 src1_sel:DWORD
	v_bfrev_b32_e32 v45, 1
	s_and_saveexec_b32 s15, s4
	s_cbranch_execz .LBB399_3924
; %bb.3919:                             ;   in Loop: Header=BB399_2079 Depth=1
	v_bfe_u32 v97, v20, 24, 7
	v_mov_b32_e32 v45, 0x7f800001
	s_mov_b32 s18, exec_lo
	v_cmpx_ne_u32_e32 0x7f, v97
	s_cbranch_execz .LBB399_3923
; %bb.3920:                             ;   in Loop: Header=BB399_2079 Depth=1
	v_and_b32_sdwa v12, v20, v115 dst_sel:DWORD dst_unused:UNUSED_PAD src0_sel:BYTE_3 src1_sel:DWORD
	v_mov_b32_e32 v24, v13
	v_lshrrev_b32_e32 v19, 3, v97
	s_mov_b32 s20, exec_lo
	v_mov_b32_e32 v23, v12
	v_cmpx_gt_u32_e32 8, v97
; %bb.3921:                             ;   in Loop: Header=BB399_2079 Depth=1
	v_ffbh_u32_e32 v19, v12
	v_min_u32_e32 v19, 32, v19
	v_subrev_nc_u32_e32 v23, 28, v19
	v_sub_nc_u32_e32 v19, 29, v19
	v_lshlrev_b64 v[23:24], v23, v[12:13]
	v_and_b32_e32 v23, 7, v23
; %bb.3922:                             ;   in Loop: Header=BB399_2079 Depth=1
	s_or_b32 exec_lo, exec_lo, s20
	v_lshlrev_b32_sdwa v12, v39, v20 dst_sel:DWORD dst_unused:UNUSED_PAD src0_sel:DWORD src1_sel:BYTE_3
	v_lshlrev_b32_e32 v20, 20, v23
	v_lshl_add_u32 v19, v19, 23, 0x3c000000
	v_and_b32_e32 v12, 0x80000000, v12
	v_or3_b32 v45, v20, v12, v19
.LBB399_3923:                           ;   in Loop: Header=BB399_2079 Depth=1
	s_or_b32 exec_lo, exec_lo, s18
.LBB399_3924:                           ;   in Loop: Header=BB399_2079 Depth=1
	s_or_b32 exec_lo, exec_lo, s15
.LBB399_3925:                           ;   in Loop: Header=BB399_2079 Depth=1
	s_or_b32 exec_lo, exec_lo, s13
	v_mul_f32_e32 v12, v27, v16
	v_bfe_u32 v16, v12, 16, 1
	v_or_b32_e32 v19, 0x400000, v12
	v_cmp_u_f32_e64 s4, v12, v12
	v_add3_u32 v16, v16, v12, 0x7fff
	v_cndmask_b32_e64 v12, v16, v19, s4
	v_lshrrev_b32_e32 v16, 16, v12
	v_mul_f32_e32 v12, v27, v84
	v_bfe_u32 v19, v12, 16, 1
	v_or_b32_e32 v20, 0x400000, v12
	v_cmp_u_f32_e64 s4, v12, v12
	v_add3_u32 v19, v19, v12, 0x7fff
	v_cndmask_b32_e64 v12, v19, v20, s4
	v_lshrrev_b32_e32 v84, 16, v12
	;; [unrolled: 7-line block ×8, first 2 shown]
	s_and_saveexec_b32 s13, vcc_lo
	s_cbranch_execz .LBB399_3927
; %bb.3926:                             ;   in Loop: Header=BB399_2079 Depth=1
	v_cmp_lt_i32_e64 s4, v125, v124
	v_cndmask_b32_e64 v97, 0, v97, s4
	v_cmp_lt_i32_e64 s4, v113, v124
	v_cndmask_b32_e64 v96, 0, v96, s4
	;; [unrolled: 2-line block ×8, first 2 shown]
.LBB399_3927:                           ;   in Loop: Header=BB399_2079 Depth=1
	s_or_b32 exec_lo, exec_lo, s13
	flat_load_dwordx2 v[19:20], v[17:18] offset:1024
	v_mov_b32_e32 v59, 0
	v_mov_b32_e32 v58, 0
	s_waitcnt vmcnt(0) lgkmcnt(0)
	v_cmp_ne_u16_sdwa s4, v19, v13 src0_sel:BYTE_0 src1_sel:DWORD
	s_and_saveexec_b32 s13, s4
	s_cbranch_execz .LBB399_3935
; %bb.3928:                             ;   in Loop: Header=BB399_2079 Depth=1
	v_cmp_ne_u16_sdwa s4, v19, v114 src0_sel:BYTE_0 src1_sel:DWORD
	v_bfrev_b32_e32 v58, 1
	s_and_saveexec_b32 s15, s4
	s_cbranch_execz .LBB399_3934
; %bb.3929:                             ;   in Loop: Header=BB399_2079 Depth=1
	v_and_b32_e32 v23, 0x7f, v19
	v_mov_b32_e32 v58, 0x7f800001
	s_mov_b32 s18, exec_lo
	v_cmpx_ne_u32_e32 0x7f, v23
	s_cbranch_execz .LBB399_3933
; %bb.3930:                             ;   in Loop: Header=BB399_2079 Depth=1
	v_lshrrev_b32_e32 v12, 3, v23
	v_cmp_gt_u32_e64 s4, 8, v23
	v_mov_b32_e32 v24, v20
	v_mov_b32_e32 v23, v19
	s_and_saveexec_b32 s20, s4
; %bb.3931:                             ;   in Loop: Header=BB399_2079 Depth=1
	v_and_b32_e32 v12, 7, v19
	v_ffbh_u32_e32 v12, v12
	v_min_u32_e32 v12, 32, v12
	v_subrev_nc_u32_e32 v23, 28, v12
	v_sub_nc_u32_e32 v12, 29, v12
	v_lshlrev_b64 v[23:24], v23, v[19:20]
; %bb.3932:                             ;   in Loop: Header=BB399_2079 Depth=1
	s_or_b32 exec_lo, exec_lo, s20
	v_lshlrev_b32_e32 v23, 20, v23
	v_lshlrev_b32_e32 v24, 24, v19
	v_lshl_add_u32 v12, v12, 23, 0x3c000000
	v_and_b32_e32 v23, 0x700000, v23
	v_and_b32_e32 v24, 0x80000000, v24
	v_or3_b32 v58, v23, v24, v12
.LBB399_3933:                           ;   in Loop: Header=BB399_2079 Depth=1
	s_or_b32 exec_lo, exec_lo, s18
.LBB399_3934:                           ;   in Loop: Header=BB399_2079 Depth=1
	s_or_b32 exec_lo, exec_lo, s15
.LBB399_3935:                           ;   in Loop: Header=BB399_2079 Depth=1
	s_or_b32 exec_lo, exec_lo, s13
	v_cmp_ne_u16_sdwa s4, v19, v13 src0_sel:BYTE_1 src1_sel:DWORD
	s_and_saveexec_b32 s13, s4
	s_cbranch_execz .LBB399_3943
; %bb.3936:                             ;   in Loop: Header=BB399_2079 Depth=1
	v_cmp_ne_u16_sdwa s4, v19, v114 src0_sel:BYTE_1 src1_sel:DWORD
	v_bfrev_b32_e32 v59, 1
	s_and_saveexec_b32 s15, s4
	s_cbranch_execz .LBB399_3942
; %bb.3937:                             ;   in Loop: Header=BB399_2079 Depth=1
	v_and_b32_sdwa v12, v112, v19 dst_sel:DWORD dst_unused:UNUSED_PAD src0_sel:DWORD src1_sel:BYTE_1
	v_mov_b32_e32 v59, 0x7f800001
	s_mov_b32 s18, exec_lo
	v_and_b32_e32 v46, 0x7f, v12
	v_cmpx_ne_u32_e32 0x7f, v46
	s_cbranch_execz .LBB399_3941
; %bb.3938:                             ;   in Loop: Header=BB399_2079 Depth=1
	v_and_b32_e32 v12, 7, v12
	v_mov_b32_e32 v24, v13
	v_lshrrev_b32_e32 v24, 3, v46
	s_mov_b32 s20, exec_lo
	v_mov_b32_e32 v23, v12
	v_cmpx_gt_u32_e32 8, v46
; %bb.3939:                             ;   in Loop: Header=BB399_2079 Depth=1
	v_ffbh_u32_e32 v23, v12
	v_min_u32_e32 v46, 32, v23
	v_subrev_nc_u32_e32 v23, 28, v46
	v_lshlrev_b64 v[23:24], v23, v[12:13]
	v_sub_nc_u32_e32 v24, 29, v46
	v_and_b32_e32 v23, 7, v23
; %bb.3940:                             ;   in Loop: Header=BB399_2079 Depth=1
	s_or_b32 exec_lo, exec_lo, s20
	v_lshlrev_b32_e32 v12, 16, v19
	v_lshlrev_b32_e32 v23, 20, v23
	v_lshl_add_u32 v24, v24, 23, 0x3c000000
	v_and_b32_e32 v12, 0x80000000, v12
	v_or3_b32 v59, v23, v12, v24
.LBB399_3941:                           ;   in Loop: Header=BB399_2079 Depth=1
	s_or_b32 exec_lo, exec_lo, s18
.LBB399_3942:                           ;   in Loop: Header=BB399_2079 Depth=1
	s_or_b32 exec_lo, exec_lo, s15
.LBB399_3943:                           ;   in Loop: Header=BB399_2079 Depth=1
	s_or_b32 exec_lo, exec_lo, s13
	v_and_b32_sdwa v12, v19, v116 dst_sel:DWORD dst_unused:UNUSED_PAD src0_sel:WORD_1 src1_sel:DWORD
	v_mov_b32_e32 v56, 0
	v_mov_b32_e32 v57, 0
	s_mov_b32 s13, exec_lo
	v_cmpx_ne_u16_e32 0, v12
	s_cbranch_execz .LBB399_3951
; %bb.3944:                             ;   in Loop: Header=BB399_2079 Depth=1
	v_bfrev_b32_e32 v57, 1
	s_mov_b32 s15, exec_lo
	v_cmpx_ne_u16_e32 0x80, v12
	s_cbranch_execz .LBB399_3950
; %bb.3945:                             ;   in Loop: Header=BB399_2079 Depth=1
	v_bfe_u32 v46, v19, 16, 7
	v_mov_b32_e32 v57, 0x7f800001
	s_mov_b32 s18, exec_lo
	v_cmpx_ne_u32_e32 0x7f, v46
	s_cbranch_execz .LBB399_3949
; %bb.3946:                             ;   in Loop: Header=BB399_2079 Depth=1
	v_and_b32_sdwa v12, v19, v115 dst_sel:DWORD dst_unused:UNUSED_PAD src0_sel:WORD_1 src1_sel:DWORD
	v_mov_b32_e32 v24, v13
	v_lshrrev_b32_e32 v24, 3, v46
	s_mov_b32 s20, exec_lo
	v_mov_b32_e32 v23, v12
	v_cmpx_gt_u32_e32 8, v46
; %bb.3947:                             ;   in Loop: Header=BB399_2079 Depth=1
	v_ffbh_u32_e32 v23, v12
	v_min_u32_e32 v46, 32, v23
	v_subrev_nc_u32_e32 v23, 28, v46
	v_lshlrev_b64 v[23:24], v23, v[12:13]
	v_sub_nc_u32_e32 v24, 29, v46
	v_and_b32_e32 v23, 7, v23
; %bb.3948:                             ;   in Loop: Header=BB399_2079 Depth=1
	s_or_b32 exec_lo, exec_lo, s20
	v_lshlrev_b32_sdwa v12, v39, v19 dst_sel:DWORD dst_unused:UNUSED_PAD src0_sel:DWORD src1_sel:WORD_1
	v_lshlrev_b32_e32 v23, 20, v23
	v_lshl_add_u32 v24, v24, 23, 0x3c000000
	v_and_b32_e32 v12, 0x80000000, v12
	v_or3_b32 v57, v23, v12, v24
.LBB399_3949:                           ;   in Loop: Header=BB399_2079 Depth=1
	s_or_b32 exec_lo, exec_lo, s18
.LBB399_3950:                           ;   in Loop: Header=BB399_2079 Depth=1
	s_or_b32 exec_lo, exec_lo, s15
.LBB399_3951:                           ;   in Loop: Header=BB399_2079 Depth=1
	s_or_b32 exec_lo, exec_lo, s13
	s_mov_b32 s13, exec_lo
	v_cmpx_lt_u32_e32 0xffffff, v19
	s_cbranch_execz .LBB399_3959
; %bb.3952:                             ;   in Loop: Header=BB399_2079 Depth=1
	v_cmp_ne_u32_sdwa s4, v19, v114 src0_sel:BYTE_3 src1_sel:DWORD
	v_bfrev_b32_e32 v56, 1
	s_and_saveexec_b32 s15, s4
	s_cbranch_execz .LBB399_3958
; %bb.3953:                             ;   in Loop: Header=BB399_2079 Depth=1
	v_bfe_u32 v46, v19, 24, 7
	v_mov_b32_e32 v56, 0x7f800001
	s_mov_b32 s18, exec_lo
	v_cmpx_ne_u32_e32 0x7f, v46
	s_cbranch_execz .LBB399_3957
; %bb.3954:                             ;   in Loop: Header=BB399_2079 Depth=1
	v_and_b32_sdwa v12, v19, v115 dst_sel:DWORD dst_unused:UNUSED_PAD src0_sel:BYTE_3 src1_sel:DWORD
	v_mov_b32_e32 v24, v13
	v_lshrrev_b32_e32 v24, 3, v46
	s_mov_b32 s20, exec_lo
	v_mov_b32_e32 v23, v12
	v_cmpx_gt_u32_e32 8, v46
; %bb.3955:                             ;   in Loop: Header=BB399_2079 Depth=1
	v_ffbh_u32_e32 v23, v12
	v_min_u32_e32 v46, 32, v23
	v_subrev_nc_u32_e32 v23, 28, v46
	v_lshlrev_b64 v[23:24], v23, v[12:13]
	v_sub_nc_u32_e32 v24, 29, v46
	v_and_b32_e32 v23, 7, v23
; %bb.3956:                             ;   in Loop: Header=BB399_2079 Depth=1
	s_or_b32 exec_lo, exec_lo, s20
	v_lshlrev_b32_sdwa v12, v39, v19 dst_sel:DWORD dst_unused:UNUSED_PAD src0_sel:DWORD src1_sel:BYTE_3
	v_lshlrev_b32_e32 v23, 20, v23
	v_lshl_add_u32 v24, v24, 23, 0x3c000000
	v_and_b32_e32 v12, 0x80000000, v12
	v_or3_b32 v56, v23, v12, v24
.LBB399_3957:                           ;   in Loop: Header=BB399_2079 Depth=1
	s_or_b32 exec_lo, exec_lo, s18
.LBB399_3958:                           ;   in Loop: Header=BB399_2079 Depth=1
	s_or_b32 exec_lo, exec_lo, s15
.LBB399_3959:                           ;   in Loop: Header=BB399_2079 Depth=1
	s_or_b32 exec_lo, exec_lo, s13
	v_mov_b32_e32 v12, v20
	v_cmp_ne_u16_sdwa s4, v20, v13 src0_sel:BYTE_0 src1_sel:DWORD
	v_mov_b32_e32 v46, 0
	v_mov_b32_e32 v47, 0
	s_and_saveexec_b32 s13, s4
	s_cbranch_execz .LBB399_3967
; %bb.3960:                             ;   in Loop: Header=BB399_2079 Depth=1
	v_cmp_ne_u16_sdwa s4, v20, v114 src0_sel:BYTE_0 src1_sel:DWORD
	v_bfrev_b32_e32 v47, 1
	s_and_saveexec_b32 s15, s4
	s_cbranch_execz .LBB399_3966
; %bb.3961:                             ;   in Loop: Header=BB399_2079 Depth=1
	v_and_b32_e32 v60, 0x7f, v20
	v_mov_b32_e32 v47, 0x7f800001
	s_mov_b32 s18, exec_lo
	v_cmpx_ne_u32_e32 0x7f, v60
	s_cbranch_execz .LBB399_3965
; %bb.3962:                             ;   in Loop: Header=BB399_2079 Depth=1
	v_mov_b32_e32 v24, v13
	v_mov_b32_e32 v23, v12
	v_lshrrev_b32_e32 v24, 3, v60
	s_mov_b32 s20, exec_lo
	v_cmpx_gt_u32_e32 8, v60
; %bb.3963:                             ;   in Loop: Header=BB399_2079 Depth=1
	v_and_b32_e32 v23, 7, v20
	v_ffbh_u32_e32 v23, v23
	v_min_u32_e32 v47, 32, v23
	v_subrev_nc_u32_e32 v23, 28, v47
	v_lshlrev_b64 v[23:24], v23, v[12:13]
	v_sub_nc_u32_e32 v24, 29, v47
; %bb.3964:                             ;   in Loop: Header=BB399_2079 Depth=1
	s_or_b32 exec_lo, exec_lo, s20
	v_lshlrev_b32_e32 v23, 20, v23
	v_lshlrev_b32_e32 v47, 24, v12
	v_lshl_add_u32 v24, v24, 23, 0x3c000000
	v_and_b32_e32 v23, 0x700000, v23
	v_and_b32_e32 v47, 0x80000000, v47
	v_or3_b32 v47, v23, v47, v24
.LBB399_3965:                           ;   in Loop: Header=BB399_2079 Depth=1
	s_or_b32 exec_lo, exec_lo, s18
.LBB399_3966:                           ;   in Loop: Header=BB399_2079 Depth=1
	s_or_b32 exec_lo, exec_lo, s15
.LBB399_3967:                           ;   in Loop: Header=BB399_2079 Depth=1
	s_or_b32 exec_lo, exec_lo, s13
	v_cmp_ne_u16_sdwa s4, v12, v13 src0_sel:BYTE_1 src1_sel:DWORD
	s_and_saveexec_b32 s13, s4
	s_cbranch_execz .LBB399_3975
; %bb.3968:                             ;   in Loop: Header=BB399_2079 Depth=1
	v_cmp_ne_u16_sdwa s4, v12, v114 src0_sel:BYTE_1 src1_sel:DWORD
	v_bfrev_b32_e32 v46, 1
	s_and_saveexec_b32 s15, s4
	s_cbranch_execz .LBB399_3974
; %bb.3969:                             ;   in Loop: Header=BB399_2079 Depth=1
	v_and_b32_sdwa v23, v112, v12 dst_sel:DWORD dst_unused:UNUSED_PAD src0_sel:DWORD src1_sel:BYTE_1
	v_mov_b32_e32 v46, 0x7f800001
	s_mov_b32 s18, exec_lo
	v_and_b32_e32 v60, 0x7f, v23
	v_cmpx_ne_u32_e32 0x7f, v60
	s_cbranch_execz .LBB399_3973
; %bb.3970:                             ;   in Loop: Header=BB399_2079 Depth=1
	v_and_b32_e32 v23, 7, v23
	v_mov_b32_e32 v24, v13
	v_lshrrev_b32_e32 v46, 3, v60
	s_mov_b32 s20, exec_lo
	v_cmpx_gt_u32_e32 8, v60
; %bb.3971:                             ;   in Loop: Header=BB399_2079 Depth=1
	v_ffbh_u32_e32 v46, v23
	v_min_u32_e32 v46, 32, v46
	v_subrev_nc_u32_e32 v60, 28, v46
	v_sub_nc_u32_e32 v46, 29, v46
	v_lshlrev_b64 v[23:24], v60, v[23:24]
	v_and_b32_e32 v23, 7, v23
; %bb.3972:                             ;   in Loop: Header=BB399_2079 Depth=1
	s_or_b32 exec_lo, exec_lo, s20
	v_lshlrev_b32_e32 v12, 16, v12
	v_lshlrev_b32_e32 v23, 20, v23
	v_lshl_add_u32 v24, v46, 23, 0x3c000000
	v_and_b32_e32 v12, 0x80000000, v12
	v_or3_b32 v46, v23, v12, v24
.LBB399_3973:                           ;   in Loop: Header=BB399_2079 Depth=1
	s_or_b32 exec_lo, exec_lo, s18
.LBB399_3974:                           ;   in Loop: Header=BB399_2079 Depth=1
	s_or_b32 exec_lo, exec_lo, s15
.LBB399_3975:                           ;   in Loop: Header=BB399_2079 Depth=1
	s_or_b32 exec_lo, exec_lo, s13
	v_and_b32_sdwa v12, v20, v116 dst_sel:DWORD dst_unused:UNUSED_PAD src0_sel:WORD_1 src1_sel:DWORD
	v_mov_b32_e32 v61, 0
	v_mov_b32_e32 v62, 0
	s_mov_b32 s13, exec_lo
	v_cmpx_ne_u16_e32 0, v12
	s_cbranch_execz .LBB399_3983
; %bb.3976:                             ;   in Loop: Header=BB399_2079 Depth=1
	v_bfrev_b32_e32 v62, 1
	s_mov_b32 s15, exec_lo
	v_cmpx_ne_u16_e32 0x80, v12
	s_cbranch_execz .LBB399_3982
; %bb.3977:                             ;   in Loop: Header=BB399_2079 Depth=1
	v_bfe_u32 v60, v20, 16, 7
	v_mov_b32_e32 v62, 0x7f800001
	s_mov_b32 s18, exec_lo
	v_cmpx_ne_u32_e32 0x7f, v60
	s_cbranch_execz .LBB399_3981
; %bb.3978:                             ;   in Loop: Header=BB399_2079 Depth=1
	v_and_b32_sdwa v12, v20, v115 dst_sel:DWORD dst_unused:UNUSED_PAD src0_sel:WORD_1 src1_sel:DWORD
	v_mov_b32_e32 v24, v13
	v_lshrrev_b32_e32 v24, 3, v60
	s_mov_b32 s20, exec_lo
	v_mov_b32_e32 v23, v12
	v_cmpx_gt_u32_e32 8, v60
; %bb.3979:                             ;   in Loop: Header=BB399_2079 Depth=1
	v_ffbh_u32_e32 v23, v12
	v_min_u32_e32 v60, 32, v23
	v_subrev_nc_u32_e32 v23, 28, v60
	v_lshlrev_b64 v[23:24], v23, v[12:13]
	v_sub_nc_u32_e32 v24, 29, v60
	v_and_b32_e32 v23, 7, v23
; %bb.3980:                             ;   in Loop: Header=BB399_2079 Depth=1
	s_or_b32 exec_lo, exec_lo, s20
	v_lshlrev_b32_sdwa v12, v39, v20 dst_sel:DWORD dst_unused:UNUSED_PAD src0_sel:DWORD src1_sel:WORD_1
	v_lshlrev_b32_e32 v23, 20, v23
	v_lshl_add_u32 v24, v24, 23, 0x3c000000
	v_and_b32_e32 v12, 0x80000000, v12
	v_or3_b32 v62, v23, v12, v24
.LBB399_3981:                           ;   in Loop: Header=BB399_2079 Depth=1
	s_or_b32 exec_lo, exec_lo, s18
.LBB399_3982:                           ;   in Loop: Header=BB399_2079 Depth=1
	s_or_b32 exec_lo, exec_lo, s15
.LBB399_3983:                           ;   in Loop: Header=BB399_2079 Depth=1
	s_or_b32 exec_lo, exec_lo, s13
	s_mov_b32 s13, exec_lo
	v_cmpx_lt_u64_e64 s[8:9], v[19:20]
	s_cbranch_execz .LBB399_3991
; %bb.3984:                             ;   in Loop: Header=BB399_2079 Depth=1
	v_cmp_ne_u32_sdwa s4, v20, v114 src0_sel:BYTE_3 src1_sel:DWORD
	v_bfrev_b32_e32 v61, 1
	s_and_saveexec_b32 s15, s4
	s_cbranch_execz .LBB399_3990
; %bb.3985:                             ;   in Loop: Header=BB399_2079 Depth=1
	v_bfe_u32 v60, v20, 24, 7
	v_mov_b32_e32 v61, 0x7f800001
	s_mov_b32 s18, exec_lo
	v_cmpx_ne_u32_e32 0x7f, v60
	s_cbranch_execz .LBB399_3989
; %bb.3986:                             ;   in Loop: Header=BB399_2079 Depth=1
	v_and_b32_sdwa v12, v20, v115 dst_sel:DWORD dst_unused:UNUSED_PAD src0_sel:BYTE_3 src1_sel:DWORD
	v_mov_b32_e32 v24, v13
	v_lshrrev_b32_e32 v19, 3, v60
	s_mov_b32 s20, exec_lo
	v_mov_b32_e32 v23, v12
	v_cmpx_gt_u32_e32 8, v60
; %bb.3987:                             ;   in Loop: Header=BB399_2079 Depth=1
	v_ffbh_u32_e32 v19, v12
	v_min_u32_e32 v19, 32, v19
	v_subrev_nc_u32_e32 v23, 28, v19
	v_sub_nc_u32_e32 v19, 29, v19
	v_lshlrev_b64 v[23:24], v23, v[12:13]
	v_and_b32_e32 v23, 7, v23
; %bb.3988:                             ;   in Loop: Header=BB399_2079 Depth=1
	s_or_b32 exec_lo, exec_lo, s20
	v_lshlrev_b32_sdwa v12, v39, v20 dst_sel:DWORD dst_unused:UNUSED_PAD src0_sel:DWORD src1_sel:BYTE_3
	v_lshlrev_b32_e32 v20, 20, v23
	v_lshl_add_u32 v19, v19, 23, 0x3c000000
	v_and_b32_e32 v12, 0x80000000, v12
	v_or3_b32 v61, v20, v12, v19
.LBB399_3989:                           ;   in Loop: Header=BB399_2079 Depth=1
	s_or_b32 exec_lo, exec_lo, s18
.LBB399_3990:                           ;   in Loop: Header=BB399_2079 Depth=1
	s_or_b32 exec_lo, exec_lo, s15
.LBB399_3991:                           ;   in Loop: Header=BB399_2079 Depth=1
	s_or_b32 exec_lo, exec_lo, s13
	v_mul_f32_e32 v12, v27, v46
	v_bfe_u32 v19, v12, 16, 1
	v_or_b32_e32 v20, 0x400000, v12
	v_cmp_u_f32_e64 s4, v12, v12
	v_add3_u32 v19, v19, v12, 0x7fff
	v_cndmask_b32_e64 v12, v19, v20, s4
	v_lshrrev_b32_e32 v46, 16, v12
	v_mul_f32_e32 v12, v27, v47
	v_bfe_u32 v19, v12, 16, 1
	v_or_b32_e32 v20, 0x400000, v12
	v_cmp_u_f32_e64 s4, v12, v12
	v_add3_u32 v19, v19, v12, 0x7fff
	v_cndmask_b32_e64 v12, v19, v20, s4
	v_lshrrev_b32_e32 v47, 16, v12
	;; [unrolled: 7-line block ×8, first 2 shown]
	s_and_saveexec_b32 s13, vcc_lo
	s_cbranch_execz .LBB399_3993
; %bb.3992:                             ;   in Loop: Header=BB399_2079 Depth=1
	v_cmp_lt_i32_e64 s4, v125, v124
	v_cndmask_b32_e64 v60, 0, v60, s4
	v_cmp_lt_i32_e64 s4, v113, v124
	v_cndmask_b32_e64 v59, 0, v59, s4
	;; [unrolled: 2-line block ×8, first 2 shown]
.LBB399_3993:                           ;   in Loop: Header=BB399_2079 Depth=1
	s_or_b32 exec_lo, exec_lo, s13
	flat_load_dwordx2 v[19:20], v[17:18] offset:1280
	v_mov_b32_e32 v74, 0
	v_mov_b32_e32 v73, 0
	s_waitcnt vmcnt(0) lgkmcnt(0)
	v_cmp_ne_u16_sdwa s4, v19, v13 src0_sel:BYTE_0 src1_sel:DWORD
	s_and_saveexec_b32 s13, s4
	s_cbranch_execz .LBB399_4001
; %bb.3994:                             ;   in Loop: Header=BB399_2079 Depth=1
	v_cmp_ne_u16_sdwa s4, v19, v114 src0_sel:BYTE_0 src1_sel:DWORD
	v_bfrev_b32_e32 v73, 1
	s_and_saveexec_b32 s15, s4
	s_cbranch_execz .LBB399_4000
; %bb.3995:                             ;   in Loop: Header=BB399_2079 Depth=1
	v_and_b32_e32 v23, 0x7f, v19
	v_mov_b32_e32 v73, 0x7f800001
	s_mov_b32 s18, exec_lo
	v_cmpx_ne_u32_e32 0x7f, v23
	s_cbranch_execz .LBB399_3999
; %bb.3996:                             ;   in Loop: Header=BB399_2079 Depth=1
	v_lshrrev_b32_e32 v12, 3, v23
	v_cmp_gt_u32_e64 s4, 8, v23
	v_mov_b32_e32 v24, v20
	v_mov_b32_e32 v23, v19
	s_and_saveexec_b32 s20, s4
; %bb.3997:                             ;   in Loop: Header=BB399_2079 Depth=1
	v_and_b32_e32 v12, 7, v19
	v_ffbh_u32_e32 v12, v12
	v_min_u32_e32 v12, 32, v12
	v_subrev_nc_u32_e32 v23, 28, v12
	v_sub_nc_u32_e32 v12, 29, v12
	v_lshlrev_b64 v[23:24], v23, v[19:20]
; %bb.3998:                             ;   in Loop: Header=BB399_2079 Depth=1
	s_or_b32 exec_lo, exec_lo, s20
	v_lshlrev_b32_e32 v23, 20, v23
	v_lshlrev_b32_e32 v24, 24, v19
	v_lshl_add_u32 v12, v12, 23, 0x3c000000
	v_and_b32_e32 v23, 0x700000, v23
	v_and_b32_e32 v24, 0x80000000, v24
	v_or3_b32 v73, v23, v24, v12
.LBB399_3999:                           ;   in Loop: Header=BB399_2079 Depth=1
	s_or_b32 exec_lo, exec_lo, s18
.LBB399_4000:                           ;   in Loop: Header=BB399_2079 Depth=1
	s_or_b32 exec_lo, exec_lo, s15
.LBB399_4001:                           ;   in Loop: Header=BB399_2079 Depth=1
	s_or_b32 exec_lo, exec_lo, s13
	v_cmp_ne_u16_sdwa s4, v19, v13 src0_sel:BYTE_1 src1_sel:DWORD
	s_and_saveexec_b32 s13, s4
	s_cbranch_execz .LBB399_4009
; %bb.4002:                             ;   in Loop: Header=BB399_2079 Depth=1
	v_cmp_ne_u16_sdwa s4, v19, v114 src0_sel:BYTE_1 src1_sel:DWORD
	v_bfrev_b32_e32 v74, 1
	s_and_saveexec_b32 s15, s4
	s_cbranch_execz .LBB399_4008
; %bb.4003:                             ;   in Loop: Header=BB399_2079 Depth=1
	v_and_b32_sdwa v12, v112, v19 dst_sel:DWORD dst_unused:UNUSED_PAD src0_sel:DWORD src1_sel:BYTE_1
	v_mov_b32_e32 v74, 0x7f800001
	s_mov_b32 s18, exec_lo
	v_and_b32_e32 v62, 0x7f, v12
	v_cmpx_ne_u32_e32 0x7f, v62
	s_cbranch_execz .LBB399_4007
; %bb.4004:                             ;   in Loop: Header=BB399_2079 Depth=1
	v_and_b32_e32 v12, 7, v12
	v_mov_b32_e32 v24, v13
	v_lshrrev_b32_e32 v24, 3, v62
	s_mov_b32 s20, exec_lo
	v_mov_b32_e32 v23, v12
	v_cmpx_gt_u32_e32 8, v62
; %bb.4005:                             ;   in Loop: Header=BB399_2079 Depth=1
	v_ffbh_u32_e32 v23, v12
	v_min_u32_e32 v62, 32, v23
	v_subrev_nc_u32_e32 v23, 28, v62
	v_lshlrev_b64 v[23:24], v23, v[12:13]
	v_sub_nc_u32_e32 v24, 29, v62
	v_and_b32_e32 v23, 7, v23
; %bb.4006:                             ;   in Loop: Header=BB399_2079 Depth=1
	s_or_b32 exec_lo, exec_lo, s20
	v_lshlrev_b32_e32 v12, 16, v19
	v_lshlrev_b32_e32 v23, 20, v23
	v_lshl_add_u32 v24, v24, 23, 0x3c000000
	v_and_b32_e32 v12, 0x80000000, v12
	v_or3_b32 v74, v23, v12, v24
.LBB399_4007:                           ;   in Loop: Header=BB399_2079 Depth=1
	s_or_b32 exec_lo, exec_lo, s18
.LBB399_4008:                           ;   in Loop: Header=BB399_2079 Depth=1
	s_or_b32 exec_lo, exec_lo, s15
.LBB399_4009:                           ;   in Loop: Header=BB399_2079 Depth=1
	s_or_b32 exec_lo, exec_lo, s13
	v_and_b32_sdwa v12, v19, v116 dst_sel:DWORD dst_unused:UNUSED_PAD src0_sel:WORD_1 src1_sel:DWORD
	v_mov_b32_e32 v63, 0
	v_mov_b32_e32 v72, 0
	s_mov_b32 s13, exec_lo
	v_cmpx_ne_u16_e32 0, v12
	s_cbranch_execz .LBB399_4017
; %bb.4010:                             ;   in Loop: Header=BB399_2079 Depth=1
	v_bfrev_b32_e32 v72, 1
	s_mov_b32 s15, exec_lo
	v_cmpx_ne_u16_e32 0x80, v12
	s_cbranch_execz .LBB399_4016
; %bb.4011:                             ;   in Loop: Header=BB399_2079 Depth=1
	v_bfe_u32 v62, v19, 16, 7
	v_mov_b32_e32 v72, 0x7f800001
	s_mov_b32 s18, exec_lo
	v_cmpx_ne_u32_e32 0x7f, v62
	s_cbranch_execz .LBB399_4015
; %bb.4012:                             ;   in Loop: Header=BB399_2079 Depth=1
	v_and_b32_sdwa v12, v19, v115 dst_sel:DWORD dst_unused:UNUSED_PAD src0_sel:WORD_1 src1_sel:DWORD
	v_mov_b32_e32 v24, v13
	v_lshrrev_b32_e32 v24, 3, v62
	s_mov_b32 s20, exec_lo
	v_mov_b32_e32 v23, v12
	v_cmpx_gt_u32_e32 8, v62
; %bb.4013:                             ;   in Loop: Header=BB399_2079 Depth=1
	v_ffbh_u32_e32 v23, v12
	v_min_u32_e32 v62, 32, v23
	v_subrev_nc_u32_e32 v23, 28, v62
	v_lshlrev_b64 v[23:24], v23, v[12:13]
	v_sub_nc_u32_e32 v24, 29, v62
	v_and_b32_e32 v23, 7, v23
; %bb.4014:                             ;   in Loop: Header=BB399_2079 Depth=1
	s_or_b32 exec_lo, exec_lo, s20
	v_lshlrev_b32_sdwa v12, v39, v19 dst_sel:DWORD dst_unused:UNUSED_PAD src0_sel:DWORD src1_sel:WORD_1
	v_lshlrev_b32_e32 v23, 20, v23
	v_lshl_add_u32 v24, v24, 23, 0x3c000000
	v_and_b32_e32 v12, 0x80000000, v12
	v_or3_b32 v72, v23, v12, v24
.LBB399_4015:                           ;   in Loop: Header=BB399_2079 Depth=1
	s_or_b32 exec_lo, exec_lo, s18
.LBB399_4016:                           ;   in Loop: Header=BB399_2079 Depth=1
	s_or_b32 exec_lo, exec_lo, s15
.LBB399_4017:                           ;   in Loop: Header=BB399_2079 Depth=1
	s_or_b32 exec_lo, exec_lo, s13
	s_mov_b32 s13, exec_lo
	v_cmpx_lt_u32_e32 0xffffff, v19
	s_cbranch_execz .LBB399_4025
; %bb.4018:                             ;   in Loop: Header=BB399_2079 Depth=1
	v_cmp_ne_u32_sdwa s4, v19, v114 src0_sel:BYTE_3 src1_sel:DWORD
	v_bfrev_b32_e32 v63, 1
	s_and_saveexec_b32 s15, s4
	s_cbranch_execz .LBB399_4024
; %bb.4019:                             ;   in Loop: Header=BB399_2079 Depth=1
	v_bfe_u32 v62, v19, 24, 7
	v_mov_b32_e32 v63, 0x7f800001
	s_mov_b32 s18, exec_lo
	v_cmpx_ne_u32_e32 0x7f, v62
	s_cbranch_execz .LBB399_4023
; %bb.4020:                             ;   in Loop: Header=BB399_2079 Depth=1
	v_and_b32_sdwa v12, v19, v115 dst_sel:DWORD dst_unused:UNUSED_PAD src0_sel:BYTE_3 src1_sel:DWORD
	v_mov_b32_e32 v24, v13
	v_lshrrev_b32_e32 v24, 3, v62
	s_mov_b32 s20, exec_lo
	v_mov_b32_e32 v23, v12
	v_cmpx_gt_u32_e32 8, v62
; %bb.4021:                             ;   in Loop: Header=BB399_2079 Depth=1
	v_ffbh_u32_e32 v23, v12
	v_min_u32_e32 v62, 32, v23
	v_subrev_nc_u32_e32 v23, 28, v62
	v_lshlrev_b64 v[23:24], v23, v[12:13]
	v_sub_nc_u32_e32 v24, 29, v62
	v_and_b32_e32 v23, 7, v23
; %bb.4022:                             ;   in Loop: Header=BB399_2079 Depth=1
	s_or_b32 exec_lo, exec_lo, s20
	v_lshlrev_b32_sdwa v12, v39, v19 dst_sel:DWORD dst_unused:UNUSED_PAD src0_sel:DWORD src1_sel:BYTE_3
	v_lshlrev_b32_e32 v23, 20, v23
	v_lshl_add_u32 v24, v24, 23, 0x3c000000
	v_and_b32_e32 v12, 0x80000000, v12
	v_or3_b32 v63, v23, v12, v24
.LBB399_4023:                           ;   in Loop: Header=BB399_2079 Depth=1
	s_or_b32 exec_lo, exec_lo, s18
.LBB399_4024:                           ;   in Loop: Header=BB399_2079 Depth=1
	s_or_b32 exec_lo, exec_lo, s15
.LBB399_4025:                           ;   in Loop: Header=BB399_2079 Depth=1
	s_or_b32 exec_lo, exec_lo, s13
	v_mov_b32_e32 v12, v20
	v_cmp_ne_u16_sdwa s4, v20, v13 src0_sel:BYTE_0 src1_sel:DWORD
	v_mov_b32_e32 v75, 0
	v_mov_b32_e32 v62, 0
	s_and_saveexec_b32 s13, s4
	s_cbranch_execz .LBB399_4033
; %bb.4026:                             ;   in Loop: Header=BB399_2079 Depth=1
	v_cmp_ne_u16_sdwa s4, v20, v114 src0_sel:BYTE_0 src1_sel:DWORD
	v_bfrev_b32_e32 v62, 1
	s_and_saveexec_b32 s15, s4
	s_cbranch_execz .LBB399_4032
; %bb.4027:                             ;   in Loop: Header=BB399_2079 Depth=1
	v_and_b32_e32 v76, 0x7f, v20
	v_mov_b32_e32 v62, 0x7f800001
	s_mov_b32 s18, exec_lo
	v_cmpx_ne_u32_e32 0x7f, v76
	s_cbranch_execz .LBB399_4031
; %bb.4028:                             ;   in Loop: Header=BB399_2079 Depth=1
	v_mov_b32_e32 v24, v13
	v_mov_b32_e32 v23, v12
	v_lshrrev_b32_e32 v24, 3, v76
	s_mov_b32 s20, exec_lo
	v_cmpx_gt_u32_e32 8, v76
; %bb.4029:                             ;   in Loop: Header=BB399_2079 Depth=1
	v_and_b32_e32 v23, 7, v20
	v_ffbh_u32_e32 v23, v23
	v_min_u32_e32 v62, 32, v23
	v_subrev_nc_u32_e32 v23, 28, v62
	v_lshlrev_b64 v[23:24], v23, v[12:13]
	v_sub_nc_u32_e32 v24, 29, v62
; %bb.4030:                             ;   in Loop: Header=BB399_2079 Depth=1
	s_or_b32 exec_lo, exec_lo, s20
	v_lshlrev_b32_e32 v23, 20, v23
	v_lshlrev_b32_e32 v62, 24, v12
	v_lshl_add_u32 v24, v24, 23, 0x3c000000
	v_and_b32_e32 v23, 0x700000, v23
	v_and_b32_e32 v62, 0x80000000, v62
	v_or3_b32 v62, v23, v62, v24
.LBB399_4031:                           ;   in Loop: Header=BB399_2079 Depth=1
	s_or_b32 exec_lo, exec_lo, s18
.LBB399_4032:                           ;   in Loop: Header=BB399_2079 Depth=1
	s_or_b32 exec_lo, exec_lo, s15
.LBB399_4033:                           ;   in Loop: Header=BB399_2079 Depth=1
	s_or_b32 exec_lo, exec_lo, s13
	v_cmp_ne_u16_sdwa s4, v12, v13 src0_sel:BYTE_1 src1_sel:DWORD
	s_and_saveexec_b32 s13, s4
	s_cbranch_execz .LBB399_4041
; %bb.4034:                             ;   in Loop: Header=BB399_2079 Depth=1
	v_cmp_ne_u16_sdwa s4, v12, v114 src0_sel:BYTE_1 src1_sel:DWORD
	v_bfrev_b32_e32 v75, 1
	s_and_saveexec_b32 s15, s4
	s_cbranch_execz .LBB399_4040
; %bb.4035:                             ;   in Loop: Header=BB399_2079 Depth=1
	v_and_b32_sdwa v23, v112, v12 dst_sel:DWORD dst_unused:UNUSED_PAD src0_sel:DWORD src1_sel:BYTE_1
	v_mov_b32_e32 v75, 0x7f800001
	s_mov_b32 s18, exec_lo
	v_and_b32_e32 v76, 0x7f, v23
	v_cmpx_ne_u32_e32 0x7f, v76
	s_cbranch_execz .LBB399_4039
; %bb.4036:                             ;   in Loop: Header=BB399_2079 Depth=1
	v_and_b32_e32 v23, 7, v23
	v_mov_b32_e32 v24, v13
	v_lshrrev_b32_e32 v75, 3, v76
	s_mov_b32 s20, exec_lo
	v_cmpx_gt_u32_e32 8, v76
; %bb.4037:                             ;   in Loop: Header=BB399_2079 Depth=1
	v_ffbh_u32_e32 v75, v23
	v_min_u32_e32 v75, 32, v75
	v_subrev_nc_u32_e32 v76, 28, v75
	v_sub_nc_u32_e32 v75, 29, v75
	v_lshlrev_b64 v[23:24], v76, v[23:24]
	v_and_b32_e32 v23, 7, v23
; %bb.4038:                             ;   in Loop: Header=BB399_2079 Depth=1
	s_or_b32 exec_lo, exec_lo, s20
	v_lshlrev_b32_e32 v12, 16, v12
	v_lshlrev_b32_e32 v23, 20, v23
	v_lshl_add_u32 v24, v75, 23, 0x3c000000
	v_and_b32_e32 v12, 0x80000000, v12
	v_or3_b32 v75, v23, v12, v24
.LBB399_4039:                           ;   in Loop: Header=BB399_2079 Depth=1
	s_or_b32 exec_lo, exec_lo, s18
.LBB399_4040:                           ;   in Loop: Header=BB399_2079 Depth=1
	s_or_b32 exec_lo, exec_lo, s15
.LBB399_4041:                           ;   in Loop: Header=BB399_2079 Depth=1
	s_or_b32 exec_lo, exec_lo, s13
	v_and_b32_sdwa v12, v20, v116 dst_sel:DWORD dst_unused:UNUSED_PAD src0_sel:WORD_1 src1_sel:DWORD
	v_mov_b32_e32 v76, 0
	v_mov_b32_e32 v77, 0
	s_mov_b32 s13, exec_lo
	v_cmpx_ne_u16_e32 0, v12
	s_cbranch_execz .LBB399_4049
; %bb.4042:                             ;   in Loop: Header=BB399_2079 Depth=1
	v_bfrev_b32_e32 v77, 1
	s_mov_b32 s15, exec_lo
	v_cmpx_ne_u16_e32 0x80, v12
	s_cbranch_execz .LBB399_4048
; %bb.4043:                             ;   in Loop: Header=BB399_2079 Depth=1
	v_bfe_u32 v78, v20, 16, 7
	v_mov_b32_e32 v77, 0x7f800001
	s_mov_b32 s18, exec_lo
	v_cmpx_ne_u32_e32 0x7f, v78
	s_cbranch_execz .LBB399_4047
; %bb.4044:                             ;   in Loop: Header=BB399_2079 Depth=1
	v_and_b32_sdwa v12, v20, v115 dst_sel:DWORD dst_unused:UNUSED_PAD src0_sel:WORD_1 src1_sel:DWORD
	v_mov_b32_e32 v24, v13
	v_lshrrev_b32_e32 v24, 3, v78
	s_mov_b32 s20, exec_lo
	v_mov_b32_e32 v23, v12
	v_cmpx_gt_u32_e32 8, v78
; %bb.4045:                             ;   in Loop: Header=BB399_2079 Depth=1
	v_ffbh_u32_e32 v23, v12
	v_min_u32_e32 v77, 32, v23
	v_subrev_nc_u32_e32 v23, 28, v77
	v_lshlrev_b64 v[23:24], v23, v[12:13]
	v_sub_nc_u32_e32 v24, 29, v77
	v_and_b32_e32 v23, 7, v23
; %bb.4046:                             ;   in Loop: Header=BB399_2079 Depth=1
	s_or_b32 exec_lo, exec_lo, s20
	v_lshlrev_b32_sdwa v12, v39, v20 dst_sel:DWORD dst_unused:UNUSED_PAD src0_sel:DWORD src1_sel:WORD_1
	v_lshlrev_b32_e32 v23, 20, v23
	v_lshl_add_u32 v24, v24, 23, 0x3c000000
	v_and_b32_e32 v12, 0x80000000, v12
	v_or3_b32 v77, v23, v12, v24
.LBB399_4047:                           ;   in Loop: Header=BB399_2079 Depth=1
	s_or_b32 exec_lo, exec_lo, s18
.LBB399_4048:                           ;   in Loop: Header=BB399_2079 Depth=1
	s_or_b32 exec_lo, exec_lo, s15
.LBB399_4049:                           ;   in Loop: Header=BB399_2079 Depth=1
	s_or_b32 exec_lo, exec_lo, s13
	s_mov_b32 s13, exec_lo
	v_cmpx_lt_u64_e64 s[8:9], v[19:20]
	s_cbranch_execz .LBB399_4057
; %bb.4050:                             ;   in Loop: Header=BB399_2079 Depth=1
	v_cmp_ne_u32_sdwa s4, v20, v114 src0_sel:BYTE_3 src1_sel:DWORD
	v_bfrev_b32_e32 v76, 1
	s_and_saveexec_b32 s15, s4
	s_cbranch_execz .LBB399_4056
; %bb.4051:                             ;   in Loop: Header=BB399_2079 Depth=1
	v_bfe_u32 v78, v20, 24, 7
	v_mov_b32_e32 v76, 0x7f800001
	s_mov_b32 s18, exec_lo
	v_cmpx_ne_u32_e32 0x7f, v78
	s_cbranch_execz .LBB399_4055
; %bb.4052:                             ;   in Loop: Header=BB399_2079 Depth=1
	v_and_b32_sdwa v12, v20, v115 dst_sel:DWORD dst_unused:UNUSED_PAD src0_sel:BYTE_3 src1_sel:DWORD
	v_mov_b32_e32 v24, v13
	v_lshrrev_b32_e32 v19, 3, v78
	s_mov_b32 s20, exec_lo
	v_mov_b32_e32 v23, v12
	v_cmpx_gt_u32_e32 8, v78
; %bb.4053:                             ;   in Loop: Header=BB399_2079 Depth=1
	v_ffbh_u32_e32 v19, v12
	v_min_u32_e32 v19, 32, v19
	v_subrev_nc_u32_e32 v23, 28, v19
	v_sub_nc_u32_e32 v19, 29, v19
	v_lshlrev_b64 v[23:24], v23, v[12:13]
	v_and_b32_e32 v23, 7, v23
; %bb.4054:                             ;   in Loop: Header=BB399_2079 Depth=1
	s_or_b32 exec_lo, exec_lo, s20
	v_lshlrev_b32_sdwa v12, v39, v20 dst_sel:DWORD dst_unused:UNUSED_PAD src0_sel:DWORD src1_sel:BYTE_3
	v_lshlrev_b32_e32 v20, 20, v23
	v_lshl_add_u32 v19, v19, 23, 0x3c000000
	v_and_b32_e32 v12, 0x80000000, v12
	v_or3_b32 v76, v20, v12, v19
.LBB399_4055:                           ;   in Loop: Header=BB399_2079 Depth=1
	s_or_b32 exec_lo, exec_lo, s18
.LBB399_4056:                           ;   in Loop: Header=BB399_2079 Depth=1
	s_or_b32 exec_lo, exec_lo, s15
.LBB399_4057:                           ;   in Loop: Header=BB399_2079 Depth=1
	s_or_b32 exec_lo, exec_lo, s13
	v_mul_f32_e32 v12, v27, v75
	v_bfe_u32 v19, v12, 16, 1
	v_or_b32_e32 v20, 0x400000, v12
	v_cmp_u_f32_e64 s4, v12, v12
	v_add3_u32 v19, v19, v12, 0x7fff
	v_cndmask_b32_e64 v12, v19, v20, s4
	v_lshrrev_b32_e32 v24, 16, v12
	v_mul_f32_e32 v12, v27, v62
	v_bfe_u32 v19, v12, 16, 1
	v_or_b32_e32 v20, 0x400000, v12
	v_cmp_u_f32_e64 s4, v12, v12
	v_add3_u32 v19, v19, v12, 0x7fff
	v_cndmask_b32_e64 v12, v19, v20, s4
	v_lshrrev_b32_e32 v62, 16, v12
	;; [unrolled: 7-line block ×8, first 2 shown]
	s_and_saveexec_b32 s13, vcc_lo
	s_cbranch_execz .LBB399_4059
; %bb.4058:                             ;   in Loop: Header=BB399_2079 Depth=1
	v_cmp_lt_i32_e64 s4, v125, v124
	v_cndmask_b32_e64 v75, 0, v75, s4
	v_cmp_lt_i32_e64 s4, v113, v124
	v_cndmask_b32_e64 v74, 0, v74, s4
	;; [unrolled: 2-line block ×8, first 2 shown]
.LBB399_4059:                           ;   in Loop: Header=BB399_2079 Depth=1
	s_or_b32 exec_lo, exec_lo, s13
	flat_load_dwordx2 v[17:18], v[17:18] offset:1536
	v_mov_b32_e32 v89, 0
	v_mov_b32_e32 v23, 0
	s_waitcnt vmcnt(0) lgkmcnt(0)
	v_cmp_ne_u16_sdwa s4, v17, v13 src0_sel:BYTE_0 src1_sel:DWORD
	s_and_saveexec_b32 s13, s4
	s_cbranch_execz .LBB399_4067
; %bb.4060:                             ;   in Loop: Header=BB399_2079 Depth=1
	v_cmp_ne_u16_sdwa s4, v17, v114 src0_sel:BYTE_0 src1_sel:DWORD
	v_bfrev_b32_e32 v23, 1
	s_and_saveexec_b32 s15, s4
	s_cbranch_execz .LBB399_4066
; %bb.4061:                             ;   in Loop: Header=BB399_2079 Depth=1
	v_and_b32_e32 v19, 0x7f, v17
	v_mov_b32_e32 v23, 0x7f800001
	s_mov_b32 s18, exec_lo
	v_cmpx_ne_u32_e32 0x7f, v19
	s_cbranch_execz .LBB399_4065
; %bb.4062:                             ;   in Loop: Header=BB399_2079 Depth=1
	v_lshrrev_b32_e32 v12, 3, v19
	v_cmp_gt_u32_e64 s4, 8, v19
	v_mov_b32_e32 v20, v18
	v_mov_b32_e32 v19, v17
	s_and_saveexec_b32 s20, s4
; %bb.4063:                             ;   in Loop: Header=BB399_2079 Depth=1
	v_and_b32_e32 v12, 7, v17
	v_ffbh_u32_e32 v12, v12
	v_min_u32_e32 v12, 32, v12
	v_subrev_nc_u32_e32 v19, 28, v12
	v_sub_nc_u32_e32 v12, 29, v12
	v_lshlrev_b64 v[19:20], v19, v[17:18]
; %bb.4064:                             ;   in Loop: Header=BB399_2079 Depth=1
	s_or_b32 exec_lo, exec_lo, s20
	v_lshlrev_b32_e32 v19, 20, v19
	v_lshlrev_b32_e32 v20, 24, v17
	v_lshl_add_u32 v12, v12, 23, 0x3c000000
	v_and_b32_e32 v19, 0x700000, v19
	v_and_b32_e32 v20, 0x80000000, v20
	v_or3_b32 v23, v19, v20, v12
.LBB399_4065:                           ;   in Loop: Header=BB399_2079 Depth=1
	s_or_b32 exec_lo, exec_lo, s18
.LBB399_4066:                           ;   in Loop: Header=BB399_2079 Depth=1
	s_or_b32 exec_lo, exec_lo, s15
.LBB399_4067:                           ;   in Loop: Header=BB399_2079 Depth=1
	s_or_b32 exec_lo, exec_lo, s13
	v_cmp_ne_u16_sdwa s4, v17, v13 src0_sel:BYTE_1 src1_sel:DWORD
	s_and_saveexec_b32 s13, s4
	s_cbranch_execz .LBB399_4075
; %bb.4068:                             ;   in Loop: Header=BB399_2079 Depth=1
	v_cmp_ne_u16_sdwa s4, v17, v114 src0_sel:BYTE_1 src1_sel:DWORD
	v_bfrev_b32_e32 v89, 1
	s_and_saveexec_b32 s15, s4
	s_cbranch_execz .LBB399_4074
; %bb.4069:                             ;   in Loop: Header=BB399_2079 Depth=1
	v_and_b32_sdwa v12, v112, v17 dst_sel:DWORD dst_unused:UNUSED_PAD src0_sel:DWORD src1_sel:BYTE_1
	v_mov_b32_e32 v89, 0x7f800001
	s_mov_b32 s18, exec_lo
	v_and_b32_e32 v77, 0x7f, v12
	v_cmpx_ne_u32_e32 0x7f, v77
	s_cbranch_execz .LBB399_4073
; %bb.4070:                             ;   in Loop: Header=BB399_2079 Depth=1
	v_and_b32_e32 v12, 7, v12
	v_mov_b32_e32 v20, v13
	v_lshrrev_b32_e32 v20, 3, v77
	s_mov_b32 s20, exec_lo
	v_mov_b32_e32 v19, v12
	v_cmpx_gt_u32_e32 8, v77
; %bb.4071:                             ;   in Loop: Header=BB399_2079 Depth=1
	v_ffbh_u32_e32 v19, v12
	v_min_u32_e32 v77, 32, v19
	v_subrev_nc_u32_e32 v19, 28, v77
	v_lshlrev_b64 v[19:20], v19, v[12:13]
	v_sub_nc_u32_e32 v20, 29, v77
	v_and_b32_e32 v19, 7, v19
; %bb.4072:                             ;   in Loop: Header=BB399_2079 Depth=1
	s_or_b32 exec_lo, exec_lo, s20
	v_lshlrev_b32_e32 v12, 16, v17
	v_lshlrev_b32_e32 v19, 20, v19
	v_lshl_add_u32 v20, v20, 23, 0x3c000000
	v_and_b32_e32 v12, 0x80000000, v12
	v_or3_b32 v89, v19, v12, v20
.LBB399_4073:                           ;   in Loop: Header=BB399_2079 Depth=1
	s_or_b32 exec_lo, exec_lo, s18
.LBB399_4074:                           ;   in Loop: Header=BB399_2079 Depth=1
	s_or_b32 exec_lo, exec_lo, s15
.LBB399_4075:                           ;   in Loop: Header=BB399_2079 Depth=1
	s_or_b32 exec_lo, exec_lo, s13
	v_and_b32_sdwa v12, v17, v116 dst_sel:DWORD dst_unused:UNUSED_PAD src0_sel:WORD_1 src1_sel:DWORD
	v_mov_b32_e32 v79, 0
	v_mov_b32_e32 v88, 0
	s_mov_b32 s13, exec_lo
	v_cmpx_ne_u16_e32 0, v12
	s_cbranch_execz .LBB399_4083
; %bb.4076:                             ;   in Loop: Header=BB399_2079 Depth=1
	v_bfrev_b32_e32 v88, 1
	s_mov_b32 s15, exec_lo
	v_cmpx_ne_u16_e32 0x80, v12
	s_cbranch_execz .LBB399_4082
; %bb.4077:                             ;   in Loop: Header=BB399_2079 Depth=1
	v_bfe_u32 v77, v17, 16, 7
	v_mov_b32_e32 v88, 0x7f800001
	s_mov_b32 s18, exec_lo
	v_cmpx_ne_u32_e32 0x7f, v77
	s_cbranch_execz .LBB399_4081
; %bb.4078:                             ;   in Loop: Header=BB399_2079 Depth=1
	v_and_b32_sdwa v12, v17, v115 dst_sel:DWORD dst_unused:UNUSED_PAD src0_sel:WORD_1 src1_sel:DWORD
	v_mov_b32_e32 v20, v13
	v_lshrrev_b32_e32 v20, 3, v77
	s_mov_b32 s20, exec_lo
	v_mov_b32_e32 v19, v12
	v_cmpx_gt_u32_e32 8, v77
; %bb.4079:                             ;   in Loop: Header=BB399_2079 Depth=1
	v_ffbh_u32_e32 v19, v12
	v_min_u32_e32 v77, 32, v19
	v_subrev_nc_u32_e32 v19, 28, v77
	v_lshlrev_b64 v[19:20], v19, v[12:13]
	v_sub_nc_u32_e32 v20, 29, v77
	v_and_b32_e32 v19, 7, v19
; %bb.4080:                             ;   in Loop: Header=BB399_2079 Depth=1
	s_or_b32 exec_lo, exec_lo, s20
	v_lshlrev_b32_sdwa v12, v39, v17 dst_sel:DWORD dst_unused:UNUSED_PAD src0_sel:DWORD src1_sel:WORD_1
	v_lshlrev_b32_e32 v19, 20, v19
	v_lshl_add_u32 v20, v20, 23, 0x3c000000
	v_and_b32_e32 v12, 0x80000000, v12
	v_or3_b32 v88, v19, v12, v20
.LBB399_4081:                           ;   in Loop: Header=BB399_2079 Depth=1
	s_or_b32 exec_lo, exec_lo, s18
.LBB399_4082:                           ;   in Loop: Header=BB399_2079 Depth=1
	s_or_b32 exec_lo, exec_lo, s15
.LBB399_4083:                           ;   in Loop: Header=BB399_2079 Depth=1
	s_or_b32 exec_lo, exec_lo, s13
	s_mov_b32 s13, exec_lo
	v_cmpx_lt_u32_e32 0xffffff, v17
	s_cbranch_execz .LBB399_4091
; %bb.4084:                             ;   in Loop: Header=BB399_2079 Depth=1
	v_cmp_ne_u32_sdwa s4, v17, v114 src0_sel:BYTE_3 src1_sel:DWORD
	v_bfrev_b32_e32 v79, 1
	s_and_saveexec_b32 s15, s4
	s_cbranch_execz .LBB399_4090
; %bb.4085:                             ;   in Loop: Header=BB399_2079 Depth=1
	v_bfe_u32 v77, v17, 24, 7
	v_mov_b32_e32 v79, 0x7f800001
	s_mov_b32 s18, exec_lo
	v_cmpx_ne_u32_e32 0x7f, v77
	s_cbranch_execz .LBB399_4089
; %bb.4086:                             ;   in Loop: Header=BB399_2079 Depth=1
	v_and_b32_sdwa v12, v17, v115 dst_sel:DWORD dst_unused:UNUSED_PAD src0_sel:BYTE_3 src1_sel:DWORD
	v_mov_b32_e32 v20, v13
	v_lshrrev_b32_e32 v20, 3, v77
	s_mov_b32 s20, exec_lo
	v_mov_b32_e32 v19, v12
	v_cmpx_gt_u32_e32 8, v77
; %bb.4087:                             ;   in Loop: Header=BB399_2079 Depth=1
	v_ffbh_u32_e32 v19, v12
	v_min_u32_e32 v77, 32, v19
	v_subrev_nc_u32_e32 v19, 28, v77
	v_lshlrev_b64 v[19:20], v19, v[12:13]
	v_sub_nc_u32_e32 v20, 29, v77
	v_and_b32_e32 v19, 7, v19
; %bb.4088:                             ;   in Loop: Header=BB399_2079 Depth=1
	s_or_b32 exec_lo, exec_lo, s20
	v_lshlrev_b32_sdwa v12, v39, v17 dst_sel:DWORD dst_unused:UNUSED_PAD src0_sel:DWORD src1_sel:BYTE_3
	v_lshlrev_b32_e32 v19, 20, v19
	v_lshl_add_u32 v20, v20, 23, 0x3c000000
	v_and_b32_e32 v12, 0x80000000, v12
	v_or3_b32 v79, v19, v12, v20
.LBB399_4089:                           ;   in Loop: Header=BB399_2079 Depth=1
	s_or_b32 exec_lo, exec_lo, s18
.LBB399_4090:                           ;   in Loop: Header=BB399_2079 Depth=1
	s_or_b32 exec_lo, exec_lo, s15
.LBB399_4091:                           ;   in Loop: Header=BB399_2079 Depth=1
	s_or_b32 exec_lo, exec_lo, s13
	v_mov_b32_e32 v12, v18
	v_cmp_ne_u16_sdwa s4, v18, v13 src0_sel:BYTE_0 src1_sel:DWORD
	v_mov_b32_e32 v77, 0
	v_mov_b32_e32 v78, 0
	s_and_saveexec_b32 s13, s4
	s_cbranch_execz .LBB399_4099
; %bb.4092:                             ;   in Loop: Header=BB399_2079 Depth=1
	v_cmp_ne_u16_sdwa s4, v18, v114 src0_sel:BYTE_0 src1_sel:DWORD
	v_bfrev_b32_e32 v78, 1
	s_and_saveexec_b32 s15, s4
	s_cbranch_execz .LBB399_4098
; %bb.4093:                             ;   in Loop: Header=BB399_2079 Depth=1
	v_and_b32_e32 v90, 0x7f, v18
	v_mov_b32_e32 v78, 0x7f800001
	s_mov_b32 s18, exec_lo
	v_cmpx_ne_u32_e32 0x7f, v90
	s_cbranch_execz .LBB399_4097
; %bb.4094:                             ;   in Loop: Header=BB399_2079 Depth=1
	v_mov_b32_e32 v20, v13
	v_mov_b32_e32 v19, v12
	v_lshrrev_b32_e32 v20, 3, v90
	s_mov_b32 s20, exec_lo
	v_cmpx_gt_u32_e32 8, v90
; %bb.4095:                             ;   in Loop: Header=BB399_2079 Depth=1
	v_and_b32_e32 v19, 7, v18
	v_ffbh_u32_e32 v19, v19
	v_min_u32_e32 v78, 32, v19
	v_subrev_nc_u32_e32 v19, 28, v78
	v_lshlrev_b64 v[19:20], v19, v[12:13]
	v_sub_nc_u32_e32 v20, 29, v78
; %bb.4096:                             ;   in Loop: Header=BB399_2079 Depth=1
	s_or_b32 exec_lo, exec_lo, s20
	v_lshlrev_b32_e32 v19, 20, v19
	v_lshlrev_b32_e32 v78, 24, v12
	v_lshl_add_u32 v20, v20, 23, 0x3c000000
	v_and_b32_e32 v19, 0x700000, v19
	v_and_b32_e32 v78, 0x80000000, v78
	v_or3_b32 v78, v19, v78, v20
.LBB399_4097:                           ;   in Loop: Header=BB399_2079 Depth=1
	s_or_b32 exec_lo, exec_lo, s18
.LBB399_4098:                           ;   in Loop: Header=BB399_2079 Depth=1
	s_or_b32 exec_lo, exec_lo, s15
.LBB399_4099:                           ;   in Loop: Header=BB399_2079 Depth=1
	s_or_b32 exec_lo, exec_lo, s13
	v_cmp_ne_u16_sdwa s4, v12, v13 src0_sel:BYTE_1 src1_sel:DWORD
	s_and_saveexec_b32 s13, s4
	s_cbranch_execz .LBB399_4107
; %bb.4100:                             ;   in Loop: Header=BB399_2079 Depth=1
	v_cmp_ne_u16_sdwa s4, v12, v114 src0_sel:BYTE_1 src1_sel:DWORD
	v_bfrev_b32_e32 v77, 1
	s_and_saveexec_b32 s15, s4
	s_cbranch_execz .LBB399_4106
; %bb.4101:                             ;   in Loop: Header=BB399_2079 Depth=1
	v_and_b32_sdwa v19, v112, v12 dst_sel:DWORD dst_unused:UNUSED_PAD src0_sel:DWORD src1_sel:BYTE_1
	v_mov_b32_e32 v77, 0x7f800001
	s_mov_b32 s18, exec_lo
	v_and_b32_e32 v90, 0x7f, v19
	v_cmpx_ne_u32_e32 0x7f, v90
	s_cbranch_execz .LBB399_4105
; %bb.4102:                             ;   in Loop: Header=BB399_2079 Depth=1
	v_and_b32_e32 v19, 7, v19
	v_mov_b32_e32 v20, v13
	v_lshrrev_b32_e32 v77, 3, v90
	s_mov_b32 s20, exec_lo
	v_cmpx_gt_u32_e32 8, v90
; %bb.4103:                             ;   in Loop: Header=BB399_2079 Depth=1
	v_ffbh_u32_e32 v77, v19
	v_min_u32_e32 v77, 32, v77
	v_subrev_nc_u32_e32 v90, 28, v77
	v_sub_nc_u32_e32 v77, 29, v77
	v_lshlrev_b64 v[19:20], v90, v[19:20]
	v_and_b32_e32 v19, 7, v19
; %bb.4104:                             ;   in Loop: Header=BB399_2079 Depth=1
	s_or_b32 exec_lo, exec_lo, s20
	v_lshlrev_b32_e32 v12, 16, v12
	v_lshlrev_b32_e32 v19, 20, v19
	v_lshl_add_u32 v20, v77, 23, 0x3c000000
	v_and_b32_e32 v12, 0x80000000, v12
	v_or3_b32 v77, v19, v12, v20
.LBB399_4105:                           ;   in Loop: Header=BB399_2079 Depth=1
	s_or_b32 exec_lo, exec_lo, s18
.LBB399_4106:                           ;   in Loop: Header=BB399_2079 Depth=1
	s_or_b32 exec_lo, exec_lo, s15
.LBB399_4107:                           ;   in Loop: Header=BB399_2079 Depth=1
	s_or_b32 exec_lo, exec_lo, s13
	v_and_b32_sdwa v12, v18, v116 dst_sel:DWORD dst_unused:UNUSED_PAD src0_sel:WORD_1 src1_sel:DWORD
	v_mov_b32_e32 v92, 0
	v_mov_b32_e32 v93, 0
	s_mov_b32 s13, exec_lo
	v_cmpx_ne_u16_e32 0, v12
	s_cbranch_execz .LBB399_4115
; %bb.4108:                             ;   in Loop: Header=BB399_2079 Depth=1
	v_bfrev_b32_e32 v93, 1
	s_mov_b32 s15, exec_lo
	v_cmpx_ne_u16_e32 0x80, v12
	s_cbranch_execz .LBB399_4114
; %bb.4109:                             ;   in Loop: Header=BB399_2079 Depth=1
	v_bfe_u32 v90, v18, 16, 7
	v_mov_b32_e32 v93, 0x7f800001
	s_mov_b32 s18, exec_lo
	v_cmpx_ne_u32_e32 0x7f, v90
	s_cbranch_execz .LBB399_4113
; %bb.4110:                             ;   in Loop: Header=BB399_2079 Depth=1
	v_and_b32_sdwa v12, v18, v115 dst_sel:DWORD dst_unused:UNUSED_PAD src0_sel:WORD_1 src1_sel:DWORD
	v_mov_b32_e32 v20, v13
	v_lshrrev_b32_e32 v20, 3, v90
	s_mov_b32 s20, exec_lo
	v_mov_b32_e32 v19, v12
	v_cmpx_gt_u32_e32 8, v90
; %bb.4111:                             ;   in Loop: Header=BB399_2079 Depth=1
	v_ffbh_u32_e32 v19, v12
	v_min_u32_e32 v90, 32, v19
	v_subrev_nc_u32_e32 v19, 28, v90
	v_lshlrev_b64 v[19:20], v19, v[12:13]
	v_sub_nc_u32_e32 v20, 29, v90
	v_and_b32_e32 v19, 7, v19
; %bb.4112:                             ;   in Loop: Header=BB399_2079 Depth=1
	s_or_b32 exec_lo, exec_lo, s20
	v_lshlrev_b32_sdwa v12, v39, v18 dst_sel:DWORD dst_unused:UNUSED_PAD src0_sel:DWORD src1_sel:WORD_1
	v_lshlrev_b32_e32 v19, 20, v19
	v_lshl_add_u32 v20, v20, 23, 0x3c000000
	v_and_b32_e32 v12, 0x80000000, v12
	v_or3_b32 v93, v19, v12, v20
.LBB399_4113:                           ;   in Loop: Header=BB399_2079 Depth=1
	s_or_b32 exec_lo, exec_lo, s18
.LBB399_4114:                           ;   in Loop: Header=BB399_2079 Depth=1
	s_or_b32 exec_lo, exec_lo, s15
.LBB399_4115:                           ;   in Loop: Header=BB399_2079 Depth=1
	s_or_b32 exec_lo, exec_lo, s13
	s_mov_b32 s13, exec_lo
	v_cmpx_lt_u64_e64 s[8:9], v[17:18]
	s_cbranch_execz .LBB399_4123
; %bb.4116:                             ;   in Loop: Header=BB399_2079 Depth=1
	v_cmp_ne_u32_sdwa s4, v18, v114 src0_sel:BYTE_3 src1_sel:DWORD
	v_bfrev_b32_e32 v92, 1
	s_and_saveexec_b32 s15, s4
	s_cbranch_execz .LBB399_4122
; %bb.4117:                             ;   in Loop: Header=BB399_2079 Depth=1
	v_bfe_u32 v90, v18, 24, 7
	v_mov_b32_e32 v92, 0x7f800001
	s_mov_b32 s18, exec_lo
	v_cmpx_ne_u32_e32 0x7f, v90
	s_cbranch_execz .LBB399_4121
; %bb.4118:                             ;   in Loop: Header=BB399_2079 Depth=1
	v_and_b32_sdwa v12, v18, v115 dst_sel:DWORD dst_unused:UNUSED_PAD src0_sel:BYTE_3 src1_sel:DWORD
	v_mov_b32_e32 v20, v13
	v_lshrrev_b32_e32 v17, 3, v90
	s_mov_b32 s20, exec_lo
	v_mov_b32_e32 v19, v12
	v_cmpx_gt_u32_e32 8, v90
; %bb.4119:                             ;   in Loop: Header=BB399_2079 Depth=1
	v_ffbh_u32_e32 v17, v12
	v_min_u32_e32 v17, 32, v17
	v_subrev_nc_u32_e32 v19, 28, v17
	v_sub_nc_u32_e32 v17, 29, v17
	v_lshlrev_b64 v[19:20], v19, v[12:13]
	v_and_b32_e32 v19, 7, v19
; %bb.4120:                             ;   in Loop: Header=BB399_2079 Depth=1
	s_or_b32 exec_lo, exec_lo, s20
	v_lshlrev_b32_sdwa v12, v39, v18 dst_sel:DWORD dst_unused:UNUSED_PAD src0_sel:DWORD src1_sel:BYTE_3
	v_lshlrev_b32_e32 v18, 20, v19
	v_lshl_add_u32 v17, v17, 23, 0x3c000000
	v_and_b32_e32 v12, 0x80000000, v12
	v_or3_b32 v92, v18, v12, v17
.LBB399_4121:                           ;   in Loop: Header=BB399_2079 Depth=1
	s_or_b32 exec_lo, exec_lo, s18
.LBB399_4122:                           ;   in Loop: Header=BB399_2079 Depth=1
	s_or_b32 exec_lo, exec_lo, s15
.LBB399_4123:                           ;   in Loop: Header=BB399_2079 Depth=1
	s_or_b32 exec_lo, exec_lo, s13
	v_mul_f32_e32 v12, v27, v77
	v_bfe_u32 v17, v12, 16, 1
	v_or_b32_e32 v18, 0x400000, v12
	v_cmp_u_f32_e64 s4, v12, v12
	v_add3_u32 v17, v17, v12, 0x7fff
	v_cndmask_b32_e64 v12, v17, v18, s4
	v_lshrrev_b32_e32 v77, 16, v12
	v_mul_f32_e32 v12, v27, v78
	v_bfe_u32 v17, v12, 16, 1
	v_or_b32_e32 v18, 0x400000, v12
	v_cmp_u_f32_e64 s4, v12, v12
	v_add3_u32 v17, v17, v12, 0x7fff
	v_cndmask_b32_e64 v12, v17, v18, s4
	v_lshrrev_b32_e32 v78, 16, v12
	;; [unrolled: 7-line block ×8, first 2 shown]
	s_and_saveexec_b32 s13, vcc_lo
	s_cbranch_execz .LBB399_4125
; %bb.4124:                             ;   in Loop: Header=BB399_2079 Depth=1
	v_cmp_lt_i32_e64 s4, v125, v124
	v_cndmask_b32_e64 v91, 0, v91, s4
	v_cmp_lt_i32_e64 s4, v113, v124
	v_cndmask_b32_e64 v90, 0, v90, s4
	v_cmp_lt_i32_e64 s4, v38, v124
	v_cndmask_b32_e64 v88, 0, v88, s4
	v_cmp_lt_i32_e64 s4, v4, v124
	v_cndmask_b32_e64 v79, 0, v79, s4
	v_cmp_lt_i32_e64 s4, v5, v124
	v_cndmask_b32_e64 v78, 0, v78, s4
	v_cmp_lt_i32_e64 s4, v37, v124
	v_cndmask_b32_e64 v77, 0, v77, s4
	v_cmp_lt_i32_e64 s4, v127, v124
	v_cndmask_b32_e64 v89, 0, v89, s4
	v_cmp_lt_i32_e64 s4, v42, v124
	v_cndmask_b32_e64 v92, 0, v92, s4
.LBB399_4125:                           ;   in Loop: Header=BB399_2079 Depth=1
	s_or_b32 exec_lo, exec_lo, s13
	buffer_load_dword v12, off, s[0:3], s32 offset:1000 ; 4-byte Folded Reload
	v_mov_b32_e32 v20, 0
	v_mov_b32_e32 v19, 0
	s_waitcnt vmcnt(0)
	v_add_co_u32 v14, s4, v14, v12
	v_add_co_ci_u32_e64 v15, null, 0, v15, s4
	flat_load_dwordx2 v[14:15], v[14:15]
	s_waitcnt vmcnt(0) lgkmcnt(0)
	v_cmp_ne_u16_sdwa s4, v14, v13 src0_sel:BYTE_0 src1_sel:DWORD
	s_and_saveexec_b32 s13, s4
	s_cbranch_execz .LBB399_4133
; %bb.4126:                             ;   in Loop: Header=BB399_2079 Depth=1
	v_cmp_ne_u16_sdwa s4, v14, v114 src0_sel:BYTE_0 src1_sel:DWORD
	v_bfrev_b32_e32 v19, 1
	s_and_saveexec_b32 s15, s4
	s_cbranch_execz .LBB399_4132
; %bb.4127:                             ;   in Loop: Header=BB399_2079 Depth=1
	v_and_b32_e32 v17, 0x7f, v14
	v_mov_b32_e32 v19, 0x7f800001
	s_mov_b32 s18, exec_lo
	v_cmpx_ne_u32_e32 0x7f, v17
	s_cbranch_execz .LBB399_4131
; %bb.4128:                             ;   in Loop: Header=BB399_2079 Depth=1
	v_lshrrev_b32_e32 v12, 3, v17
	v_cmp_gt_u32_e64 s4, 8, v17
	v_mov_b32_e32 v18, v15
	v_mov_b32_e32 v17, v14
	s_and_saveexec_b32 s20, s4
; %bb.4129:                             ;   in Loop: Header=BB399_2079 Depth=1
	v_and_b32_e32 v12, 7, v14
	v_ffbh_u32_e32 v12, v12
	v_min_u32_e32 v12, 32, v12
	v_subrev_nc_u32_e32 v17, 28, v12
	v_sub_nc_u32_e32 v12, 29, v12
	v_lshlrev_b64 v[17:18], v17, v[14:15]
; %bb.4130:                             ;   in Loop: Header=BB399_2079 Depth=1
	s_or_b32 exec_lo, exec_lo, s20
	v_lshlrev_b32_e32 v17, 20, v17
	v_lshlrev_b32_e32 v18, 24, v14
	v_lshl_add_u32 v12, v12, 23, 0x3c000000
	v_and_b32_e32 v17, 0x700000, v17
	v_and_b32_e32 v18, 0x80000000, v18
	v_or3_b32 v19, v17, v18, v12
.LBB399_4131:                           ;   in Loop: Header=BB399_2079 Depth=1
	s_or_b32 exec_lo, exec_lo, s18
.LBB399_4132:                           ;   in Loop: Header=BB399_2079 Depth=1
	s_or_b32 exec_lo, exec_lo, s15
.LBB399_4133:                           ;   in Loop: Header=BB399_2079 Depth=1
	s_or_b32 exec_lo, exec_lo, s13
	v_cmp_ne_u16_sdwa s4, v14, v13 src0_sel:BYTE_1 src1_sel:DWORD
	s_and_saveexec_b32 s13, s4
	s_cbranch_execz .LBB399_4141
; %bb.4134:                             ;   in Loop: Header=BB399_2079 Depth=1
	v_cmp_ne_u16_sdwa s4, v14, v114 src0_sel:BYTE_1 src1_sel:DWORD
	v_bfrev_b32_e32 v20, 1
	s_and_saveexec_b32 s15, s4
	s_cbranch_execz .LBB399_4140
; %bb.4135:                             ;   in Loop: Header=BB399_2079 Depth=1
	v_and_b32_sdwa v12, v112, v14 dst_sel:DWORD dst_unused:UNUSED_PAD src0_sel:DWORD src1_sel:BYTE_1
	v_mov_b32_e32 v20, 0x7f800001
	s_mov_b32 s18, exec_lo
	v_and_b32_e32 v23, 0x7f, v12
	v_cmpx_ne_u32_e32 0x7f, v23
	s_cbranch_execz .LBB399_4139
; %bb.4136:                             ;   in Loop: Header=BB399_2079 Depth=1
	v_and_b32_e32 v12, 7, v12
	v_mov_b32_e32 v18, v13
	v_lshrrev_b32_e32 v18, 3, v23
	s_mov_b32 s20, exec_lo
	v_mov_b32_e32 v17, v12
	v_cmpx_gt_u32_e32 8, v23
; %bb.4137:                             ;   in Loop: Header=BB399_2079 Depth=1
	v_ffbh_u32_e32 v17, v12
	v_min_u32_e32 v20, 32, v17
	v_subrev_nc_u32_e32 v17, 28, v20
	v_lshlrev_b64 v[17:18], v17, v[12:13]
	v_sub_nc_u32_e32 v18, 29, v20
	v_and_b32_e32 v17, 7, v17
; %bb.4138:                             ;   in Loop: Header=BB399_2079 Depth=1
	s_or_b32 exec_lo, exec_lo, s20
	v_lshlrev_b32_e32 v12, 16, v14
	v_lshlrev_b32_e32 v17, 20, v17
	v_lshl_add_u32 v18, v18, 23, 0x3c000000
	v_and_b32_e32 v12, 0x80000000, v12
	v_or3_b32 v20, v17, v12, v18
.LBB399_4139:                           ;   in Loop: Header=BB399_2079 Depth=1
	s_or_b32 exec_lo, exec_lo, s18
.LBB399_4140:                           ;   in Loop: Header=BB399_2079 Depth=1
	s_or_b32 exec_lo, exec_lo, s15
.LBB399_4141:                           ;   in Loop: Header=BB399_2079 Depth=1
	s_or_b32 exec_lo, exec_lo, s13
	v_and_b32_sdwa v12, v14, v116 dst_sel:DWORD dst_unused:UNUSED_PAD src0_sel:WORD_1 src1_sel:DWORD
	v_mov_b32_e32 v93, 0
	v_mov_b32_e32 v23, 0
	s_mov_b32 s13, exec_lo
	v_cmpx_ne_u16_e32 0, v12
	s_cbranch_execz .LBB399_4149
; %bb.4142:                             ;   in Loop: Header=BB399_2079 Depth=1
	v_bfrev_b32_e32 v23, 1
	s_mov_b32 s15, exec_lo
	v_cmpx_ne_u16_e32 0x80, v12
	s_cbranch_execz .LBB399_4148
; %bb.4143:                             ;   in Loop: Header=BB399_2079 Depth=1
	v_bfe_u32 v94, v14, 16, 7
	v_mov_b32_e32 v23, 0x7f800001
	s_mov_b32 s18, exec_lo
	v_cmpx_ne_u32_e32 0x7f, v94
	s_cbranch_execz .LBB399_4147
; %bb.4144:                             ;   in Loop: Header=BB399_2079 Depth=1
	v_and_b32_sdwa v12, v14, v115 dst_sel:DWORD dst_unused:UNUSED_PAD src0_sel:WORD_1 src1_sel:DWORD
	v_mov_b32_e32 v18, v13
	v_lshrrev_b32_e32 v18, 3, v94
	s_mov_b32 s20, exec_lo
	v_mov_b32_e32 v17, v12
	v_cmpx_gt_u32_e32 8, v94
; %bb.4145:                             ;   in Loop: Header=BB399_2079 Depth=1
	v_ffbh_u32_e32 v17, v12
	v_min_u32_e32 v23, 32, v17
	v_subrev_nc_u32_e32 v17, 28, v23
	v_lshlrev_b64 v[17:18], v17, v[12:13]
	v_sub_nc_u32_e32 v18, 29, v23
	v_and_b32_e32 v17, 7, v17
; %bb.4146:                             ;   in Loop: Header=BB399_2079 Depth=1
	s_or_b32 exec_lo, exec_lo, s20
	v_lshlrev_b32_sdwa v12, v39, v14 dst_sel:DWORD dst_unused:UNUSED_PAD src0_sel:DWORD src1_sel:WORD_1
	v_lshlrev_b32_e32 v17, 20, v17
	v_lshl_add_u32 v18, v18, 23, 0x3c000000
	v_and_b32_e32 v12, 0x80000000, v12
	v_or3_b32 v23, v17, v12, v18
.LBB399_4147:                           ;   in Loop: Header=BB399_2079 Depth=1
	s_or_b32 exec_lo, exec_lo, s18
.LBB399_4148:                           ;   in Loop: Header=BB399_2079 Depth=1
	s_or_b32 exec_lo, exec_lo, s15
.LBB399_4149:                           ;   in Loop: Header=BB399_2079 Depth=1
	s_or_b32 exec_lo, exec_lo, s13
	s_mov_b32 s13, exec_lo
	v_cmpx_lt_u32_e32 0xffffff, v14
	s_cbranch_execz .LBB399_4157
; %bb.4150:                             ;   in Loop: Header=BB399_2079 Depth=1
	v_cmp_ne_u32_sdwa s4, v14, v114 src0_sel:BYTE_3 src1_sel:DWORD
	v_bfrev_b32_e32 v93, 1
	s_and_saveexec_b32 s15, s4
	s_cbranch_execz .LBB399_4156
; %bb.4151:                             ;   in Loop: Header=BB399_2079 Depth=1
	v_bfe_u32 v94, v14, 24, 7
	v_mov_b32_e32 v93, 0x7f800001
	s_mov_b32 s18, exec_lo
	v_cmpx_ne_u32_e32 0x7f, v94
	s_cbranch_execz .LBB399_4155
; %bb.4152:                             ;   in Loop: Header=BB399_2079 Depth=1
	v_and_b32_sdwa v12, v14, v115 dst_sel:DWORD dst_unused:UNUSED_PAD src0_sel:BYTE_3 src1_sel:DWORD
	v_mov_b32_e32 v18, v13
	v_lshrrev_b32_e32 v18, 3, v94
	s_mov_b32 s20, exec_lo
	v_mov_b32_e32 v17, v12
	v_cmpx_gt_u32_e32 8, v94
; %bb.4153:                             ;   in Loop: Header=BB399_2079 Depth=1
	v_ffbh_u32_e32 v17, v12
	v_min_u32_e32 v93, 32, v17
	v_subrev_nc_u32_e32 v17, 28, v93
	v_lshlrev_b64 v[17:18], v17, v[12:13]
	v_sub_nc_u32_e32 v18, 29, v93
	v_and_b32_e32 v17, 7, v17
; %bb.4154:                             ;   in Loop: Header=BB399_2079 Depth=1
	s_or_b32 exec_lo, exec_lo, s20
	v_lshlrev_b32_sdwa v12, v39, v14 dst_sel:DWORD dst_unused:UNUSED_PAD src0_sel:DWORD src1_sel:BYTE_3
	v_lshlrev_b32_e32 v17, 20, v17
	v_lshl_add_u32 v18, v18, 23, 0x3c000000
	v_and_b32_e32 v12, 0x80000000, v12
	v_or3_b32 v93, v17, v12, v18
.LBB399_4155:                           ;   in Loop: Header=BB399_2079 Depth=1
	s_or_b32 exec_lo, exec_lo, s18
.LBB399_4156:                           ;   in Loop: Header=BB399_2079 Depth=1
	s_or_b32 exec_lo, exec_lo, s15
.LBB399_4157:                           ;   in Loop: Header=BB399_2079 Depth=1
	s_or_b32 exec_lo, exec_lo, s13
	v_mov_b32_e32 v12, v15
	v_cmp_ne_u16_sdwa s4, v15, v13 src0_sel:BYTE_0 src1_sel:DWORD
	v_mov_b32_e32 v105, 0
	v_mov_b32_e32 v104, 0
	s_and_saveexec_b32 s13, s4
	s_cbranch_execz .LBB399_4165
; %bb.4158:                             ;   in Loop: Header=BB399_2079 Depth=1
	v_cmp_ne_u16_sdwa s4, v15, v114 src0_sel:BYTE_0 src1_sel:DWORD
	v_bfrev_b32_e32 v104, 1
	s_and_saveexec_b32 s15, s4
	s_cbranch_execz .LBB399_4164
; %bb.4159:                             ;   in Loop: Header=BB399_2079 Depth=1
	v_and_b32_e32 v94, 0x7f, v15
	v_mov_b32_e32 v104, 0x7f800001
	s_mov_b32 s18, exec_lo
	v_cmpx_ne_u32_e32 0x7f, v94
	s_cbranch_execz .LBB399_4163
; %bb.4160:                             ;   in Loop: Header=BB399_2079 Depth=1
	v_mov_b32_e32 v18, v13
	v_mov_b32_e32 v17, v12
	v_lshrrev_b32_e32 v18, 3, v94
	s_mov_b32 s20, exec_lo
	v_cmpx_gt_u32_e32 8, v94
; %bb.4161:                             ;   in Loop: Header=BB399_2079 Depth=1
	v_and_b32_e32 v17, 7, v15
	v_ffbh_u32_e32 v17, v17
	v_min_u32_e32 v94, 32, v17
	v_subrev_nc_u32_e32 v17, 28, v94
	v_lshlrev_b64 v[17:18], v17, v[12:13]
	v_sub_nc_u32_e32 v18, 29, v94
; %bb.4162:                             ;   in Loop: Header=BB399_2079 Depth=1
	s_or_b32 exec_lo, exec_lo, s20
	v_lshlrev_b32_e32 v17, 20, v17
	v_lshlrev_b32_e32 v94, 24, v12
	v_lshl_add_u32 v18, v18, 23, 0x3c000000
	v_and_b32_e32 v17, 0x700000, v17
	v_and_b32_e32 v94, 0x80000000, v94
	v_or3_b32 v104, v17, v94, v18
.LBB399_4163:                           ;   in Loop: Header=BB399_2079 Depth=1
	s_or_b32 exec_lo, exec_lo, s18
.LBB399_4164:                           ;   in Loop: Header=BB399_2079 Depth=1
	s_or_b32 exec_lo, exec_lo, s15
.LBB399_4165:                           ;   in Loop: Header=BB399_2079 Depth=1
	s_or_b32 exec_lo, exec_lo, s13
	v_cmp_ne_u16_sdwa s4, v12, v13 src0_sel:BYTE_1 src1_sel:DWORD
	s_and_saveexec_b32 s13, s4
	s_cbranch_execz .LBB399_4173
; %bb.4166:                             ;   in Loop: Header=BB399_2079 Depth=1
	v_cmp_ne_u16_sdwa s4, v12, v114 src0_sel:BYTE_1 src1_sel:DWORD
	v_bfrev_b32_e32 v105, 1
	s_and_saveexec_b32 s15, s4
	s_cbranch_execz .LBB399_4172
; %bb.4167:                             ;   in Loop: Header=BB399_2079 Depth=1
	v_and_b32_sdwa v17, v112, v12 dst_sel:DWORD dst_unused:UNUSED_PAD src0_sel:DWORD src1_sel:BYTE_1
	v_mov_b32_e32 v105, 0x7f800001
	s_mov_b32 s18, exec_lo
	v_and_b32_e32 v95, 0x7f, v17
	v_cmpx_ne_u32_e32 0x7f, v95
	s_cbranch_execz .LBB399_4171
; %bb.4168:                             ;   in Loop: Header=BB399_2079 Depth=1
	v_and_b32_e32 v17, 7, v17
	v_mov_b32_e32 v18, v13
	v_lshrrev_b32_e32 v94, 3, v95
	s_mov_b32 s20, exec_lo
	v_cmpx_gt_u32_e32 8, v95
; %bb.4169:                             ;   in Loop: Header=BB399_2079 Depth=1
	v_ffbh_u32_e32 v94, v17
	v_min_u32_e32 v94, 32, v94
	v_subrev_nc_u32_e32 v95, 28, v94
	v_sub_nc_u32_e32 v94, 29, v94
	v_lshlrev_b64 v[17:18], v95, v[17:18]
	v_and_b32_e32 v17, 7, v17
; %bb.4170:                             ;   in Loop: Header=BB399_2079 Depth=1
	s_or_b32 exec_lo, exec_lo, s20
	v_lshlrev_b32_e32 v12, 16, v12
	v_lshlrev_b32_e32 v17, 20, v17
	v_lshl_add_u32 v18, v94, 23, 0x3c000000
	v_and_b32_e32 v12, 0x80000000, v12
	v_or3_b32 v105, v17, v12, v18
.LBB399_4171:                           ;   in Loop: Header=BB399_2079 Depth=1
	s_or_b32 exec_lo, exec_lo, s18
.LBB399_4172:                           ;   in Loop: Header=BB399_2079 Depth=1
	s_or_b32 exec_lo, exec_lo, s15
.LBB399_4173:                           ;   in Loop: Header=BB399_2079 Depth=1
	s_or_b32 exec_lo, exec_lo, s13
	v_and_b32_sdwa v12, v15, v116 dst_sel:DWORD dst_unused:UNUSED_PAD src0_sel:WORD_1 src1_sel:DWORD
	v_mov_b32_e32 v94, 0
	v_mov_b32_e32 v95, 0
	s_mov_b32 s13, exec_lo
	v_cmpx_ne_u16_e32 0, v12
	s_cbranch_execz .LBB399_4181
; %bb.4174:                             ;   in Loop: Header=BB399_2079 Depth=1
	v_bfrev_b32_e32 v95, 1
	s_mov_b32 s15, exec_lo
	v_cmpx_ne_u16_e32 0x80, v12
	s_cbranch_execz .LBB399_4180
; %bb.4175:                             ;   in Loop: Header=BB399_2079 Depth=1
	v_bfe_u32 v106, v15, 16, 7
	v_mov_b32_e32 v95, 0x7f800001
	s_mov_b32 s18, exec_lo
	v_cmpx_ne_u32_e32 0x7f, v106
	s_cbranch_execz .LBB399_4179
; %bb.4176:                             ;   in Loop: Header=BB399_2079 Depth=1
	v_and_b32_sdwa v12, v15, v115 dst_sel:DWORD dst_unused:UNUSED_PAD src0_sel:WORD_1 src1_sel:DWORD
	v_mov_b32_e32 v18, v13
	v_lshrrev_b32_e32 v18, 3, v106
	s_mov_b32 s20, exec_lo
	v_mov_b32_e32 v17, v12
	v_cmpx_gt_u32_e32 8, v106
; %bb.4177:                             ;   in Loop: Header=BB399_2079 Depth=1
	v_ffbh_u32_e32 v17, v12
	v_min_u32_e32 v95, 32, v17
	v_subrev_nc_u32_e32 v17, 28, v95
	v_lshlrev_b64 v[17:18], v17, v[12:13]
	v_sub_nc_u32_e32 v18, 29, v95
	v_and_b32_e32 v17, 7, v17
; %bb.4178:                             ;   in Loop: Header=BB399_2079 Depth=1
	s_or_b32 exec_lo, exec_lo, s20
	v_lshlrev_b32_sdwa v12, v39, v15 dst_sel:DWORD dst_unused:UNUSED_PAD src0_sel:DWORD src1_sel:WORD_1
	v_lshlrev_b32_e32 v17, 20, v17
	v_lshl_add_u32 v18, v18, 23, 0x3c000000
	v_and_b32_e32 v12, 0x80000000, v12
	v_or3_b32 v95, v17, v12, v18
.LBB399_4179:                           ;   in Loop: Header=BB399_2079 Depth=1
	s_or_b32 exec_lo, exec_lo, s18
.LBB399_4180:                           ;   in Loop: Header=BB399_2079 Depth=1
	s_or_b32 exec_lo, exec_lo, s15
.LBB399_4181:                           ;   in Loop: Header=BB399_2079 Depth=1
	s_or_b32 exec_lo, exec_lo, s13
	s_mov_b32 s13, exec_lo
	v_cmpx_lt_u64_e64 s[8:9], v[14:15]
	s_cbranch_execz .LBB399_4189
; %bb.4182:                             ;   in Loop: Header=BB399_2079 Depth=1
	v_cmp_ne_u32_sdwa s4, v15, v114 src0_sel:BYTE_3 src1_sel:DWORD
	v_bfrev_b32_e32 v94, 1
	s_and_saveexec_b32 s15, s4
	s_cbranch_execz .LBB399_4188
; %bb.4183:                             ;   in Loop: Header=BB399_2079 Depth=1
	v_bfe_u32 v106, v15, 24, 7
	v_mov_b32_e32 v94, 0x7f800001
	s_mov_b32 s18, exec_lo
	v_cmpx_ne_u32_e32 0x7f, v106
	s_cbranch_execz .LBB399_4187
; %bb.4184:                             ;   in Loop: Header=BB399_2079 Depth=1
	v_and_b32_sdwa v12, v15, v115 dst_sel:DWORD dst_unused:UNUSED_PAD src0_sel:BYTE_3 src1_sel:DWORD
	v_mov_b32_e32 v18, v13
	v_lshrrev_b32_e32 v14, 3, v106
	s_mov_b32 s20, exec_lo
	v_mov_b32_e32 v17, v12
	v_cmpx_gt_u32_e32 8, v106
; %bb.4185:                             ;   in Loop: Header=BB399_2079 Depth=1
	v_ffbh_u32_e32 v14, v12
	v_min_u32_e32 v14, 32, v14
	v_subrev_nc_u32_e32 v17, 28, v14
	v_sub_nc_u32_e32 v14, 29, v14
	v_lshlrev_b64 v[17:18], v17, v[12:13]
	v_and_b32_e32 v17, 7, v17
; %bb.4186:                             ;   in Loop: Header=BB399_2079 Depth=1
	s_or_b32 exec_lo, exec_lo, s20
	v_lshlrev_b32_sdwa v12, v39, v15 dst_sel:DWORD dst_unused:UNUSED_PAD src0_sel:DWORD src1_sel:BYTE_3
	v_lshlrev_b32_e32 v15, 20, v17
	v_lshl_add_u32 v14, v14, 23, 0x3c000000
	v_and_b32_e32 v12, 0x80000000, v12
	v_or3_b32 v94, v15, v12, v14
.LBB399_4187:                           ;   in Loop: Header=BB399_2079 Depth=1
	s_or_b32 exec_lo, exec_lo, s18
.LBB399_4188:                           ;   in Loop: Header=BB399_2079 Depth=1
	s_or_b32 exec_lo, exec_lo, s15
.LBB399_4189:                           ;   in Loop: Header=BB399_2079 Depth=1
	s_or_b32 exec_lo, exec_lo, s13
	v_mul_f32_e32 v12, v27, v105
	v_bfe_u32 v14, v12, 16, 1
	v_or_b32_e32 v15, 0x400000, v12
	v_cmp_u_f32_e64 s4, v12, v12
	v_add3_u32 v14, v14, v12, 0x7fff
	v_cndmask_b32_e64 v12, v14, v15, s4
	v_mul_f32_e32 v14, v27, v104
	v_lshrrev_b32_e32 v12, 16, v12
	v_bfe_u32 v15, v14, 16, 1
	v_or_b32_e32 v17, 0x400000, v14
	v_cmp_u_f32_e64 s4, v14, v14
	v_add3_u32 v15, v15, v14, 0x7fff
	v_cndmask_b32_e64 v14, v15, v17, s4
	v_mul_f32_e32 v15, v27, v93
	v_lshrrev_b32_e32 v14, 16, v14
	;; [unrolled: 7-line block ×3, first 2 shown]
	v_bfe_u32 v18, v17, 16, 1
	v_or_b32_e32 v23, 0x400000, v17
	v_cmp_u_f32_e64 s4, v17, v17
	v_add3_u32 v18, v18, v17, 0x7fff
	v_cndmask_b32_e64 v17, v18, v23, s4
	v_lshrrev_b32_e32 v18, 16, v17
	v_mul_f32_e32 v17, v27, v20
	v_bfe_u32 v20, v17, 16, 1
	v_or_b32_e32 v23, 0x400000, v17
	v_cmp_u_f32_e64 s4, v17, v17
	v_add3_u32 v20, v20, v17, 0x7fff
	v_cndmask_b32_e64 v17, v20, v23, s4
	v_lshrrev_b32_e32 v20, 16, v17
	v_mul_f32_e32 v17, v27, v19
	;; [unrolled: 7-line block ×3, first 2 shown]
	v_bfe_u32 v19, v17, 16, 1
	v_or_b32_e32 v93, 0x400000, v17
	v_cmp_u_f32_e64 s4, v17, v17
	v_add3_u32 v19, v19, v17, 0x7fff
	v_cndmask_b32_e64 v17, v19, v93, s4
	v_mul_f32_e32 v19, v27, v94
	v_lshrrev_b32_e32 v17, 16, v17
	v_bfe_u32 v93, v19, 16, 1
	v_or_b32_e32 v94, 0x400000, v19
	v_cmp_u_f32_e64 s4, v19, v19
	v_add3_u32 v93, v93, v19, 0x7fff
	v_cndmask_b32_e64 v19, v93, v94, s4
	v_lshrrev_b32_e32 v19, 16, v19
	s_and_saveexec_b32 s4, vcc_lo
	s_cbranch_execz .LBB399_2078
; %bb.4190:                             ;   in Loop: Header=BB399_2079 Depth=1
	v_cmp_lt_i32_e32 vcc_lo, v125, v124
	v_cndmask_b32_e32 v23, 0, v23, vcc_lo
	v_cmp_lt_i32_e32 vcc_lo, v113, v124
	v_cndmask_b32_e32 v20, 0, v20, vcc_lo
	;; [unrolled: 2-line block ×8, first 2 shown]
	s_branch .LBB399_2078
.LBB399_4191:
	s_or_b32 exec_lo, exec_lo, s12
	s_clause 0x20
	buffer_load_dword v116, off, s[0:3], s32 offset:1004
	buffer_load_dword v32, off, s[0:3], s32 offset:1008
	;; [unrolled: 1-line block ×33, first 2 shown]
	v_mov_b32_e32 v0, s16
	v_mov_b32_e32 v1, s17
.LBB399_4192:
	s_or_b32 exec_lo, exec_lo, s7
	s_waitcnt vmcnt(0) lgkmcnt(0)
	s_waitcnt_vscnt null, 0x0
	s_barrier
	buffer_gl0_inv
	buffer_load_dword v33, off, s[0:3], s32 offset:2280 ; 4-byte Folded Reload
	v_lshlrev_b64 v[0:1], 2, v[0:1]
	s_getpc_b64 s[8:9]
	s_add_u32 s8, s8, llvm.amdgcn.dynlds.offset.table@rel32@lo+4
	s_addc_u32 s9, s9, llvm.amdgcn.dynlds.offset.table@rel32@hi+12
	ds_bpermute_b32 v2, v32, v100
	ds_bpermute_b32 v3, v32, v99
	;; [unrolled: 1-line block ×4, first 2 shown]
	v_add_co_u32 v0, vcc_lo, s8, v0
	v_add_co_ci_u32_e64 v1, null, s9, v1, vcc_lo
	ds_bpermute_b32 v6, v32, v87
	ds_bpermute_b32 v7, v32, v86
	;; [unrolled: 1-line block ×3, first 2 shown]
	global_load_dword v0, v[0:1], off
	ds_bpermute_b32 v1, v32, v98
	ds_bpermute_b32 v9, v32, v84
	;; [unrolled: 1-line block ×25, first 2 shown]
	s_waitcnt lgkmcnt(24)
	v_add_f32_e32 v1, v98, v1
	v_add_f32_e32 v2, v100, v2
	;; [unrolled: 1-line block ×8, first 2 shown]
	s_waitcnt lgkmcnt(23)
	v_add_f32_e32 v9, v84, v9
	s_waitcnt lgkmcnt(22)
	v_add_f32_e32 v10, v83, v10
	;; [unrolled: 2-line block ×24, first 2 shown]
	ds_bpermute_b32 v18, v116, v1
	ds_bpermute_b32 v19, v116, v2
	;; [unrolled: 1-line block ×32, first 2 shown]
	s_waitcnt lgkmcnt(30)
	v_add_f32_e32 v32, v2, v19
	s_waitcnt lgkmcnt(29)
	v_add_f32_e32 v31, v3, v20
	s_waitcnt lgkmcnt(28)
	v_add_f32_e32 v30, v4, v21
	s_waitcnt lgkmcnt(27)
	v_add_f32_e32 v29, v5, v22
	s_waitcnt lgkmcnt(26)
	v_add_f32_e32 v28, v6, v23
	s_waitcnt lgkmcnt(25)
	v_add_f32_e32 v27, v7, v24
	s_waitcnt lgkmcnt(24)
	v_add_f32_e32 v26, v8, v25
	s_waitcnt lgkmcnt(23)
	v_add_f32_e32 v25, v9, v69
	s_waitcnt lgkmcnt(22)
	v_add_f32_e32 v24, v10, v70
	s_waitcnt lgkmcnt(21)
	v_add_f32_e32 v23, v11, v71
	s_waitcnt lgkmcnt(20)
	v_add_f32_e32 v22, v12, v80
	s_waitcnt lgkmcnt(19)
	v_add_f32_e32 v21, v13, v81
	s_waitcnt lgkmcnt(18)
	v_add_f32_e32 v20, v14, v82
	s_waitcnt lgkmcnt(17)
	v_add_f32_e32 v19, v15, v83
	s_waitcnt lgkmcnt(15)
	v_add_f32_e32 v17, v17, v85
	s_waitcnt lgkmcnt(13)
	v_add_f32_e32 v15, v39, v87
	s_waitcnt lgkmcnt(12)
	v_add_f32_e32 v14, v48, v96
	s_waitcnt lgkmcnt(11)
	v_add_f32_e32 v13, v49, v97
	s_waitcnt lgkmcnt(10)
	v_add_f32_e32 v12, v50, v98
	s_waitcnt lgkmcnt(9)
	v_add_f32_e32 v11, v51, v99
	s_waitcnt lgkmcnt(8)
	v_add_f32_e32 v10, v52, v100
	s_waitcnt lgkmcnt(7)
	v_add_f32_e32 v9, v53, v101
	s_waitcnt lgkmcnt(6)
	v_add_f32_e32 v8, v54, v102
	s_waitcnt lgkmcnt(5)
	v_add_f32_e32 v7, v55, v103
	s_waitcnt lgkmcnt(4)
	v_add_f32_e32 v6, v64, v112
	s_waitcnt lgkmcnt(3)
	v_add_f32_e32 v5, v65, v113
	s_waitcnt lgkmcnt(2)
	v_add_f32_e32 v4, v66, v114
	s_waitcnt lgkmcnt(1)
	v_add_f32_e32 v3, v67, v115
	s_waitcnt lgkmcnt(0)
	v_add_f32_e32 v2, v68, v116
	s_mov_b32 s4, exec_lo
	s_waitcnt vmcnt(1)
	v_lshrrev_b32_e32 v34, 2, v33
	v_and_b32_e32 v36, 28, v33
	buffer_load_dword v33, off, s[0:3], s32 offset:2284 ; 4-byte Folded Reload
	s_waitcnt vmcnt(0)
	v_lshlrev_b32_e32 v35, 10, v33
	buffer_load_dword v33, off, s[0:3], s32 offset:2276 ; 4-byte Folded Reload
	s_waitcnt vmcnt(0)
	v_and_b32_e32 v37, 0x3c3, v33
	v_add_f32_e32 v33, v1, v18
	v_add_f32_e32 v18, v16, v84
	;; [unrolled: 1-line block ×3, first 2 shown]
	v_add_nc_u32_e32 v1, v0, v36
	v_cmpx_eq_u32_e32 64, v37
	s_cbranch_execz .LBB399_4194
; %bb.4193:
	v_add_nc_u32_e32 v36, v1, v35
	v_add_nc_u32_e32 v37, 0xfffff800, v36
	;; [unrolled: 1-line block ×8, first 2 shown]
	ds_write_b32 v37, v33
	ds_write_b32 v38, v32
	;; [unrolled: 1-line block ×7, first 2 shown]
	v_add_nc_u32_e32 v37, 0xfffff8e0, v36
	v_add_nc_u32_e32 v38, 0xfffff900, v36
	v_add_nc_u32_e32 v39, 0xfffff920, v36
	v_add_nc_u32_e32 v48, 0xfffff940, v36
	v_add_nc_u32_e32 v49, 0xfffff960, v36
	ds_write_b32 v37, v26
	ds_write_b32 v38, v25
	ds_write_b32 v39, v24
	ds_write_b32 v48, v23
	ds_write_b32 v49, v22
	v_add_nc_u32_e32 v37, 0xfffff980, v36
	v_add_nc_u32_e32 v38, 0xfffff9a0, v36
	v_add_nc_u32_e32 v39, 0xfffff9c0, v36
	v_add_nc_u32_e32 v48, 0xfffff9e0, v36
	v_add_nc_u32_e32 v49, 0xfffffa00, v36
	ds_write_b32 v37, v21
	ds_write_b32 v38, v20
	ds_write_b32 v39, v19
	ds_write_b32 v48, v18
	ds_write_b32 v49, v17
	v_add_nc_u32_e32 v37, 0xfffffa20, v36
	v_add_nc_u32_e32 v38, 0xfffffa40, v36
	v_add_nc_u32_e32 v39, 0xfffffa60, v36
	v_add_nc_u32_e32 v48, 0xfffffa80, v36
	v_add_nc_u32_e32 v49, 0xfffffaa0, v36
	ds_write_b32 v37, v16
	ds_write_b32 v38, v15
	ds_write_b32 v39, v14
	ds_write_b32 v48, v13
	ds_write_b32 v49, v12
	v_add_nc_u32_e32 v37, 0xfffffac0, v36
	v_add_nc_u32_e32 v38, 0xfffffae0, v36
	v_add_nc_u32_e32 v39, 0xfffffb00, v36
	v_add_nc_u32_e32 v48, 0xfffffb20, v36
	v_add_nc_u32_e32 v49, 0xfffffb40, v36
	ds_write_b32 v37, v11
	ds_write_b32 v38, v10
	ds_write_b32 v39, v9
	ds_write_b32 v48, v8
	ds_write_b32 v49, v7
	v_add_nc_u32_e32 v37, 0xfffffb60, v36
	v_add_nc_u32_e32 v38, 0xfffffb80, v36
	v_add_nc_u32_e32 v39, 0xfffffba0, v36
	v_add_nc_u32_e32 v48, 0xfffffbc0, v36
	v_add_nc_u32_e32 v36, 0xfffffbe0, v36
	ds_write_b32 v37, v6
	ds_write_b32 v38, v5
	ds_write_b32 v39, v4
	ds_write_b32 v48, v3
	ds_write_b32 v36, v2
.LBB399_4194:
	s_or_b32 exec_lo, exec_lo, s4
	buffer_load_dword v37, off, s[0:3], s32 offset:2276 ; 4-byte Folded Reload
	v_lshlrev_b32_e32 v34, 2, v34
	s_mov_b32 s7, exec_lo
	s_waitcnt vmcnt(0) lgkmcnt(0)
	s_barrier
	buffer_gl0_inv
	v_add3_u32 v0, v0, v35, v34
	v_and_b32_e32 v36, 3, v37
	v_cmp_eq_u32_e32 vcc_lo, 0, v36
	v_cmpx_gt_u32_e32 64, v37
	s_cbranch_execz .LBB399_4229
; %bb.4195:
	s_and_saveexec_b32 s4, vcc_lo
	s_cbranch_execnz .LBB399_4269
; %bb.4196:
	s_or_b32 exec_lo, exec_lo, s4
	s_and_saveexec_b32 s4, vcc_lo
	s_cbranch_execnz .LBB399_4270
.LBB399_4197:
	s_or_b32 exec_lo, exec_lo, s4
	s_and_saveexec_b32 s4, vcc_lo
	s_cbranch_execnz .LBB399_4271
.LBB399_4198:
	s_or_b32 exec_lo, exec_lo, s4
	s_and_saveexec_b32 s4, vcc_lo
	s_cbranch_execnz .LBB399_4272
.LBB399_4199:
	s_or_b32 exec_lo, exec_lo, s4
	s_and_saveexec_b32 s4, vcc_lo
	s_cbranch_execnz .LBB399_4273
.LBB399_4200:
	s_or_b32 exec_lo, exec_lo, s4
	s_and_saveexec_b32 s4, vcc_lo
	s_cbranch_execnz .LBB399_4274
.LBB399_4201:
	s_or_b32 exec_lo, exec_lo, s4
	s_and_saveexec_b32 s4, vcc_lo
	s_cbranch_execnz .LBB399_4275
.LBB399_4202:
	s_or_b32 exec_lo, exec_lo, s4
	s_and_saveexec_b32 s4, vcc_lo
	s_cbranch_execnz .LBB399_4276
.LBB399_4203:
	s_or_b32 exec_lo, exec_lo, s4
	s_and_saveexec_b32 s4, vcc_lo
	s_cbranch_execnz .LBB399_4277
.LBB399_4204:
	s_or_b32 exec_lo, exec_lo, s4
	s_and_saveexec_b32 s4, vcc_lo
	s_cbranch_execnz .LBB399_4278
.LBB399_4205:
	s_or_b32 exec_lo, exec_lo, s4
	s_and_saveexec_b32 s4, vcc_lo
	s_cbranch_execnz .LBB399_4279
.LBB399_4206:
	s_or_b32 exec_lo, exec_lo, s4
	s_and_saveexec_b32 s4, vcc_lo
	s_cbranch_execnz .LBB399_4280
.LBB399_4207:
	s_or_b32 exec_lo, exec_lo, s4
	s_and_saveexec_b32 s4, vcc_lo
	s_cbranch_execnz .LBB399_4281
.LBB399_4208:
	s_or_b32 exec_lo, exec_lo, s4
	s_and_saveexec_b32 s4, vcc_lo
	s_cbranch_execnz .LBB399_4282
.LBB399_4209:
	s_or_b32 exec_lo, exec_lo, s4
	s_and_saveexec_b32 s4, vcc_lo
	s_cbranch_execnz .LBB399_4283
.LBB399_4210:
	s_or_b32 exec_lo, exec_lo, s4
	s_and_saveexec_b32 s4, vcc_lo
	s_cbranch_execnz .LBB399_4284
.LBB399_4211:
	s_or_b32 exec_lo, exec_lo, s4
	s_and_saveexec_b32 s4, vcc_lo
	s_cbranch_execnz .LBB399_4285
.LBB399_4212:
	s_or_b32 exec_lo, exec_lo, s4
	s_and_saveexec_b32 s4, vcc_lo
	s_cbranch_execnz .LBB399_4286
.LBB399_4213:
	s_or_b32 exec_lo, exec_lo, s4
	s_and_saveexec_b32 s4, vcc_lo
	s_cbranch_execnz .LBB399_4287
.LBB399_4214:
	s_or_b32 exec_lo, exec_lo, s4
	s_and_saveexec_b32 s4, vcc_lo
	s_cbranch_execnz .LBB399_4288
.LBB399_4215:
	s_or_b32 exec_lo, exec_lo, s4
	s_and_saveexec_b32 s4, vcc_lo
	s_cbranch_execnz .LBB399_4289
.LBB399_4216:
	s_or_b32 exec_lo, exec_lo, s4
	s_and_saveexec_b32 s4, vcc_lo
	s_cbranch_execnz .LBB399_4290
.LBB399_4217:
	s_or_b32 exec_lo, exec_lo, s4
	s_and_saveexec_b32 s4, vcc_lo
	s_cbranch_execnz .LBB399_4291
.LBB399_4218:
	s_or_b32 exec_lo, exec_lo, s4
	s_and_saveexec_b32 s4, vcc_lo
	s_cbranch_execnz .LBB399_4292
.LBB399_4219:
	s_or_b32 exec_lo, exec_lo, s4
	s_and_saveexec_b32 s4, vcc_lo
	s_cbranch_execnz .LBB399_4293
.LBB399_4220:
	s_or_b32 exec_lo, exec_lo, s4
	s_and_saveexec_b32 s4, vcc_lo
	s_cbranch_execnz .LBB399_4294
.LBB399_4221:
	s_or_b32 exec_lo, exec_lo, s4
	s_and_saveexec_b32 s4, vcc_lo
	s_cbranch_execnz .LBB399_4295
.LBB399_4222:
	s_or_b32 exec_lo, exec_lo, s4
	s_and_saveexec_b32 s4, vcc_lo
	s_cbranch_execnz .LBB399_4296
.LBB399_4223:
	s_or_b32 exec_lo, exec_lo, s4
	s_and_saveexec_b32 s4, vcc_lo
	s_cbranch_execnz .LBB399_4297
.LBB399_4224:
	s_or_b32 exec_lo, exec_lo, s4
	s_and_saveexec_b32 s4, vcc_lo
	s_cbranch_execnz .LBB399_4298
.LBB399_4225:
	s_or_b32 exec_lo, exec_lo, s4
	s_and_saveexec_b32 s4, vcc_lo
	s_cbranch_execnz .LBB399_4299
.LBB399_4226:
	s_or_b32 exec_lo, exec_lo, s4
	s_and_saveexec_b32 s4, vcc_lo
	s_cbranch_execz .LBB399_4228
.LBB399_4227:
	ds_read_b32 v34, v0 offset:992
	s_waitcnt lgkmcnt(0)
	v_add_f32_e32 v2, v34, v2
.LBB399_4228:
	s_or_b32 exec_lo, exec_lo, s4
.LBB399_4229:
	s_or_b32 exec_lo, exec_lo, s7
	buffer_load_dword v34, off, s[0:3], s32 offset:2276 ; 4-byte Folded Reload
	s_mov_b32 s7, exec_lo
	s_waitcnt vmcnt(0)
	s_barrier
	buffer_gl0_inv
	v_and_b32_e32 v34, 0x3e3, v34
	v_cmpx_eq_u32_e32 32, v34
	s_cbranch_execz .LBB399_4231
; %bb.4230:
	ds_write2_b32 v1, v33, v32 offset1:8
	ds_write2_b32 v1, v31, v30 offset0:16 offset1:24
	ds_write2_b32 v1, v29, v28 offset0:32 offset1:40
	;; [unrolled: 1-line block ×15, first 2 shown]
.LBB399_4231:
	s_or_b32 exec_lo, exec_lo, s7
	buffer_load_dword v1, off, s[0:3], s32 offset:2276 ; 4-byte Folded Reload
	s_mov_b32 s7, exec_lo
	s_waitcnt vmcnt(0) lgkmcnt(0)
	s_barrier
	buffer_gl0_inv
	v_cmpx_gt_u32_e32 32, v1
	s_cbranch_execz .LBB399_4266
; %bb.4232:
	s_and_saveexec_b32 s4, vcc_lo
	s_cbranch_execnz .LBB399_4300
; %bb.4233:
	s_or_b32 exec_lo, exec_lo, s4
	s_and_saveexec_b32 s4, vcc_lo
	s_cbranch_execnz .LBB399_4301
.LBB399_4234:
	s_or_b32 exec_lo, exec_lo, s4
	s_and_saveexec_b32 s4, vcc_lo
	s_cbranch_execnz .LBB399_4302
.LBB399_4235:
	s_or_b32 exec_lo, exec_lo, s4
	s_and_saveexec_b32 s4, vcc_lo
	s_cbranch_execnz .LBB399_4303
.LBB399_4236:
	s_or_b32 exec_lo, exec_lo, s4
	s_and_saveexec_b32 s4, vcc_lo
	s_cbranch_execnz .LBB399_4304
.LBB399_4237:
	s_or_b32 exec_lo, exec_lo, s4
	s_and_saveexec_b32 s4, vcc_lo
	s_cbranch_execnz .LBB399_4305
.LBB399_4238:
	s_or_b32 exec_lo, exec_lo, s4
	s_and_saveexec_b32 s4, vcc_lo
	s_cbranch_execnz .LBB399_4306
.LBB399_4239:
	s_or_b32 exec_lo, exec_lo, s4
	s_and_saveexec_b32 s4, vcc_lo
	s_cbranch_execnz .LBB399_4307
.LBB399_4240:
	s_or_b32 exec_lo, exec_lo, s4
	s_and_saveexec_b32 s4, vcc_lo
	s_cbranch_execnz .LBB399_4308
.LBB399_4241:
	s_or_b32 exec_lo, exec_lo, s4
	s_and_saveexec_b32 s4, vcc_lo
	s_cbranch_execnz .LBB399_4309
.LBB399_4242:
	s_or_b32 exec_lo, exec_lo, s4
	s_and_saveexec_b32 s4, vcc_lo
	s_cbranch_execnz .LBB399_4310
.LBB399_4243:
	s_or_b32 exec_lo, exec_lo, s4
	s_and_saveexec_b32 s4, vcc_lo
	s_cbranch_execnz .LBB399_4311
.LBB399_4244:
	s_or_b32 exec_lo, exec_lo, s4
	s_and_saveexec_b32 s4, vcc_lo
	s_cbranch_execnz .LBB399_4312
.LBB399_4245:
	s_or_b32 exec_lo, exec_lo, s4
	s_and_saveexec_b32 s4, vcc_lo
	s_cbranch_execnz .LBB399_4313
.LBB399_4246:
	s_or_b32 exec_lo, exec_lo, s4
	s_and_saveexec_b32 s4, vcc_lo
	s_cbranch_execnz .LBB399_4314
.LBB399_4247:
	s_or_b32 exec_lo, exec_lo, s4
	s_and_saveexec_b32 s4, vcc_lo
	s_cbranch_execnz .LBB399_4315
.LBB399_4248:
	s_or_b32 exec_lo, exec_lo, s4
	s_and_saveexec_b32 s4, vcc_lo
	s_cbranch_execnz .LBB399_4316
.LBB399_4249:
	s_or_b32 exec_lo, exec_lo, s4
	s_and_saveexec_b32 s4, vcc_lo
	s_cbranch_execnz .LBB399_4317
.LBB399_4250:
	s_or_b32 exec_lo, exec_lo, s4
	s_and_saveexec_b32 s4, vcc_lo
	s_cbranch_execnz .LBB399_4318
.LBB399_4251:
	s_or_b32 exec_lo, exec_lo, s4
	s_and_saveexec_b32 s4, vcc_lo
	s_cbranch_execnz .LBB399_4319
.LBB399_4252:
	s_or_b32 exec_lo, exec_lo, s4
	s_and_saveexec_b32 s4, vcc_lo
	s_cbranch_execnz .LBB399_4320
.LBB399_4253:
	s_or_b32 exec_lo, exec_lo, s4
	s_and_saveexec_b32 s4, vcc_lo
	s_cbranch_execnz .LBB399_4321
.LBB399_4254:
	s_or_b32 exec_lo, exec_lo, s4
	s_and_saveexec_b32 s4, vcc_lo
	s_cbranch_execnz .LBB399_4322
.LBB399_4255:
	s_or_b32 exec_lo, exec_lo, s4
	s_and_saveexec_b32 s4, vcc_lo
	s_cbranch_execnz .LBB399_4323
.LBB399_4256:
	s_or_b32 exec_lo, exec_lo, s4
	s_and_saveexec_b32 s4, vcc_lo
	s_cbranch_execnz .LBB399_4324
.LBB399_4257:
	s_or_b32 exec_lo, exec_lo, s4
	s_and_saveexec_b32 s4, vcc_lo
	s_cbranch_execnz .LBB399_4325
.LBB399_4258:
	s_or_b32 exec_lo, exec_lo, s4
	s_and_saveexec_b32 s4, vcc_lo
	s_cbranch_execnz .LBB399_4326
.LBB399_4259:
	s_or_b32 exec_lo, exec_lo, s4
	s_and_saveexec_b32 s4, vcc_lo
	s_cbranch_execnz .LBB399_4327
.LBB399_4260:
	s_or_b32 exec_lo, exec_lo, s4
	s_and_saveexec_b32 s4, vcc_lo
	s_cbranch_execnz .LBB399_4328
.LBB399_4261:
	s_or_b32 exec_lo, exec_lo, s4
	s_and_saveexec_b32 s4, vcc_lo
	s_cbranch_execnz .LBB399_4329
.LBB399_4262:
	s_or_b32 exec_lo, exec_lo, s4
	s_and_saveexec_b32 s4, vcc_lo
	s_cbranch_execnz .LBB399_4330
.LBB399_4263:
	s_or_b32 exec_lo, exec_lo, s4
	s_and_saveexec_b32 s4, vcc_lo
	s_cbranch_execz .LBB399_4265
.LBB399_4264:
	ds_read_b32 v0, v0 offset:992
	s_waitcnt lgkmcnt(0)
	v_add_f32_e32 v2, v0, v2
.LBB399_4265:
	s_or_b32 exec_lo, exec_lo, s4
.LBB399_4266:
	s_or_b32 exec_lo, exec_lo, s7
	v_cmp_eq_u32_e32 vcc_lo, 0, v34
	s_barrier
	buffer_gl0_inv
	s_and_b32 exec_lo, exec_lo, vcc_lo
	s_cbranch_execz .LBB399_4268
; %bb.4267:
	s_clause 0x2
	buffer_load_dword v0, off, s[0:3], s32 offset:2292
	buffer_load_dword v1, off, s[0:3], s32 offset:2288
	;; [unrolled: 1-line block ×3, first 2 shown]
	s_lshl_b32 s6, s6, 8
	s_mul_i32 s4, s10, s5
	s_ashr_i32 s7, s6, 31
	s_ashr_i32 s5, s4, 31
	s_lshl_b64 s[6:7], s[6:7], 1
	s_lshl_b64 s[4:5], s[4:5], 1
	v_bfe_u32 v35, v33, 16, 1
	v_or_b32_e32 v36, 0x400000, v33
	v_add3_u32 v35, v35, v33, 0x7fff
	s_waitcnt vmcnt(2)
	v_add_co_u32 v0, vcc_lo, v0, s6
	s_waitcnt vmcnt(1)
	v_add_co_ci_u32_e64 v1, null, s7, v1, vcc_lo
	s_lshl_b32 s6, s14, 8
	v_add_co_u32 v0, vcc_lo, v0, s4
	s_ashr_i32 s7, s6, 31
	v_add_co_ci_u32_e64 v1, null, s5, v1, vcc_lo
	s_lshl_b64 s[4:5], s[6:7], 1
	s_waitcnt vmcnt(0)
	v_lshrrev_b32_e32 v34, 1, v34
	v_add_co_u32 v0, vcc_lo, v0, s4
	v_add_co_ci_u32_e64 v1, null, s5, v1, vcc_lo
	v_add_co_u32 v0, vcc_lo, v0, v34
	v_add_co_ci_u32_e64 v1, null, 0, v1, vcc_lo
	v_bfe_u32 v34, v32, 16, 1
	v_cmp_u_f32_e32 vcc_lo, v33, v33
	v_add3_u32 v34, v34, v32, 0x7fff
	v_cndmask_b32_e32 v33, v35, v36, vcc_lo
	v_bfe_u32 v35, v31, 16, 1
	v_or_b32_e32 v36, 0x400000, v32
	v_cmp_u_f32_e32 vcc_lo, v32, v32
	flat_store_short_d16_hi v[0:1], v33
	v_add3_u32 v33, v35, v31, 0x7fff
	v_or_b32_e32 v35, 0x400000, v31
	v_cndmask_b32_e32 v32, v34, v36, vcc_lo
	v_bfe_u32 v34, v30, 16, 1
	v_cmp_u_f32_e32 vcc_lo, v31, v31
	flat_store_short_d16_hi v[0:1], v32 offset:16
	v_add3_u32 v32, v34, v30, 0x7fff
	v_cndmask_b32_e32 v31, v33, v35, vcc_lo
	v_bfe_u32 v33, v29, 16, 1
	v_or_b32_e32 v34, 0x400000, v30
	v_cmp_u_f32_e32 vcc_lo, v30, v30
	flat_store_short_d16_hi v[0:1], v31 offset:32
	v_add3_u32 v31, v33, v29, 0x7fff
	v_or_b32_e32 v33, 0x400000, v29
	v_cndmask_b32_e32 v30, v32, v34, vcc_lo
	v_bfe_u32 v32, v28, 16, 1
	v_cmp_u_f32_e32 vcc_lo, v29, v29
	flat_store_short_d16_hi v[0:1], v30 offset:48
	v_add3_u32 v30, v32, v28, 0x7fff
	v_cndmask_b32_e32 v29, v31, v33, vcc_lo
	v_bfe_u32 v31, v27, 16, 1
	v_or_b32_e32 v32, 0x400000, v28
	v_cmp_u_f32_e32 vcc_lo, v28, v28
	flat_store_short_d16_hi v[0:1], v29 offset:64
	;; [unrolled: 12-line block ×12, first 2 shown]
	v_add3_u32 v9, v11, v7, 0x7fff
	v_or_b32_e32 v11, 0x400000, v7
	v_cndmask_b32_e32 v8, v10, v12, vcc_lo
	v_bfe_u32 v10, v6, 16, 1
	v_cmp_u_f32_e32 vcc_lo, v7, v7
	v_or_b32_e32 v12, 0x400000, v2
	flat_store_short_d16_hi v[0:1], v8 offset:400
	v_add3_u32 v8, v10, v6, 0x7fff
	v_cndmask_b32_e32 v7, v9, v11, vcc_lo
	v_bfe_u32 v9, v5, 16, 1
	v_or_b32_e32 v10, 0x400000, v6
	v_cmp_u_f32_e32 vcc_lo, v6, v6
	v_or_b32_e32 v11, 0x400000, v3
	flat_store_short_d16_hi v[0:1], v7 offset:416
	v_add3_u32 v7, v9, v5, 0x7fff
	v_or_b32_e32 v9, 0x400000, v5
	v_cndmask_b32_e32 v6, v8, v10, vcc_lo
	v_bfe_u32 v8, v4, 16, 1
	v_cmp_u_f32_e32 vcc_lo, v5, v5
	v_bfe_u32 v10, v3, 16, 1
	v_add3_u32 v8, v8, v4, 0x7fff
	v_cndmask_b32_e32 v5, v7, v9, vcc_lo
	v_or_b32_e32 v9, 0x400000, v4
	v_cmp_u_f32_e32 vcc_lo, v4, v4
	v_bfe_u32 v7, v2, 16, 1
	v_add3_u32 v10, v10, v3, 0x7fff
	v_cndmask_b32_e32 v4, v8, v9, vcc_lo
	v_cmp_u_f32_e32 vcc_lo, v3, v3
	v_add3_u32 v7, v7, v2, 0x7fff
	v_cndmask_b32_e32 v3, v10, v11, vcc_lo
	v_cmp_u_f32_e32 vcc_lo, v2, v2
	v_cndmask_b32_e32 v2, v7, v12, vcc_lo
	flat_store_short_d16_hi v[0:1], v6 offset:432
	flat_store_short_d16_hi v[0:1], v5 offset:448
	;; [unrolled: 1-line block ×5, first 2 shown]
.LBB399_4268:
	s_or_b32 exec_lo, exec_lo, s19
	s_clause 0x2f
	buffer_load_dword v127, off, s[0:3], s32
	buffer_load_dword v126, off, s[0:3], s32 offset:4
	buffer_load_dword v125, off, s[0:3], s32 offset:8
	;; [unrolled: 1-line block ×47, first 2 shown]
	s_waitcnt vmcnt(0) lgkmcnt(0)
	s_setpc_b64 s[30:31]
.LBB399_4269:
	ds_read_b32 v34, v0
	s_waitcnt lgkmcnt(0)
	v_add_f32_e32 v33, v34, v33
	s_or_b32 exec_lo, exec_lo, s4
	s_and_saveexec_b32 s4, vcc_lo
	s_cbranch_execz .LBB399_4197
.LBB399_4270:
	ds_read_b32 v34, v0 offset:32
	s_waitcnt lgkmcnt(0)
	v_add_f32_e32 v32, v34, v32
	s_or_b32 exec_lo, exec_lo, s4
	s_and_saveexec_b32 s4, vcc_lo
	s_cbranch_execz .LBB399_4198
.LBB399_4271:
	ds_read_b32 v34, v0 offset:64
	s_waitcnt lgkmcnt(0)
	v_add_f32_e32 v31, v34, v31
	s_or_b32 exec_lo, exec_lo, s4
	s_and_saveexec_b32 s4, vcc_lo
	s_cbranch_execz .LBB399_4199
.LBB399_4272:
	ds_read_b32 v34, v0 offset:96
	s_waitcnt lgkmcnt(0)
	v_add_f32_e32 v30, v34, v30
	s_or_b32 exec_lo, exec_lo, s4
	s_and_saveexec_b32 s4, vcc_lo
	s_cbranch_execz .LBB399_4200
.LBB399_4273:
	ds_read_b32 v34, v0 offset:128
	s_waitcnt lgkmcnt(0)
	v_add_f32_e32 v29, v34, v29
	s_or_b32 exec_lo, exec_lo, s4
	s_and_saveexec_b32 s4, vcc_lo
	s_cbranch_execz .LBB399_4201
.LBB399_4274:
	ds_read_b32 v34, v0 offset:160
	s_waitcnt lgkmcnt(0)
	v_add_f32_e32 v28, v34, v28
	s_or_b32 exec_lo, exec_lo, s4
	s_and_saveexec_b32 s4, vcc_lo
	s_cbranch_execz .LBB399_4202
.LBB399_4275:
	ds_read_b32 v34, v0 offset:192
	s_waitcnt lgkmcnt(0)
	v_add_f32_e32 v27, v34, v27
	s_or_b32 exec_lo, exec_lo, s4
	s_and_saveexec_b32 s4, vcc_lo
	s_cbranch_execz .LBB399_4203
.LBB399_4276:
	ds_read_b32 v34, v0 offset:224
	s_waitcnt lgkmcnt(0)
	v_add_f32_e32 v26, v34, v26
	s_or_b32 exec_lo, exec_lo, s4
	s_and_saveexec_b32 s4, vcc_lo
	s_cbranch_execz .LBB399_4204
.LBB399_4277:
	ds_read_b32 v34, v0 offset:256
	s_waitcnt lgkmcnt(0)
	v_add_f32_e32 v25, v34, v25
	s_or_b32 exec_lo, exec_lo, s4
	s_and_saveexec_b32 s4, vcc_lo
	s_cbranch_execz .LBB399_4205
.LBB399_4278:
	ds_read_b32 v34, v0 offset:288
	s_waitcnt lgkmcnt(0)
	v_add_f32_e32 v24, v34, v24
	s_or_b32 exec_lo, exec_lo, s4
	s_and_saveexec_b32 s4, vcc_lo
	s_cbranch_execz .LBB399_4206
.LBB399_4279:
	ds_read_b32 v34, v0 offset:320
	s_waitcnt lgkmcnt(0)
	v_add_f32_e32 v23, v34, v23
	s_or_b32 exec_lo, exec_lo, s4
	s_and_saveexec_b32 s4, vcc_lo
	s_cbranch_execz .LBB399_4207
.LBB399_4280:
	ds_read_b32 v34, v0 offset:352
	s_waitcnt lgkmcnt(0)
	v_add_f32_e32 v22, v34, v22
	s_or_b32 exec_lo, exec_lo, s4
	s_and_saveexec_b32 s4, vcc_lo
	s_cbranch_execz .LBB399_4208
.LBB399_4281:
	ds_read_b32 v34, v0 offset:384
	s_waitcnt lgkmcnt(0)
	v_add_f32_e32 v21, v34, v21
	s_or_b32 exec_lo, exec_lo, s4
	s_and_saveexec_b32 s4, vcc_lo
	s_cbranch_execz .LBB399_4209
.LBB399_4282:
	ds_read_b32 v34, v0 offset:416
	s_waitcnt lgkmcnt(0)
	v_add_f32_e32 v20, v34, v20
	s_or_b32 exec_lo, exec_lo, s4
	s_and_saveexec_b32 s4, vcc_lo
	s_cbranch_execz .LBB399_4210
.LBB399_4283:
	ds_read_b32 v34, v0 offset:448
	s_waitcnt lgkmcnt(0)
	v_add_f32_e32 v19, v34, v19
	s_or_b32 exec_lo, exec_lo, s4
	s_and_saveexec_b32 s4, vcc_lo
	s_cbranch_execz .LBB399_4211
.LBB399_4284:
	ds_read_b32 v34, v0 offset:480
	s_waitcnt lgkmcnt(0)
	v_add_f32_e32 v18, v34, v18
	s_or_b32 exec_lo, exec_lo, s4
	s_and_saveexec_b32 s4, vcc_lo
	s_cbranch_execz .LBB399_4212
.LBB399_4285:
	ds_read_b32 v34, v0 offset:512
	s_waitcnt lgkmcnt(0)
	v_add_f32_e32 v17, v34, v17
	s_or_b32 exec_lo, exec_lo, s4
	s_and_saveexec_b32 s4, vcc_lo
	s_cbranch_execz .LBB399_4213
.LBB399_4286:
	ds_read_b32 v34, v0 offset:544
	s_waitcnt lgkmcnt(0)
	v_add_f32_e32 v16, v34, v16
	s_or_b32 exec_lo, exec_lo, s4
	s_and_saveexec_b32 s4, vcc_lo
	s_cbranch_execz .LBB399_4214
.LBB399_4287:
	ds_read_b32 v34, v0 offset:576
	s_waitcnt lgkmcnt(0)
	v_add_f32_e32 v15, v34, v15
	s_or_b32 exec_lo, exec_lo, s4
	s_and_saveexec_b32 s4, vcc_lo
	s_cbranch_execz .LBB399_4215
.LBB399_4288:
	ds_read_b32 v34, v0 offset:608
	s_waitcnt lgkmcnt(0)
	v_add_f32_e32 v14, v34, v14
	s_or_b32 exec_lo, exec_lo, s4
	s_and_saveexec_b32 s4, vcc_lo
	s_cbranch_execz .LBB399_4216
.LBB399_4289:
	ds_read_b32 v34, v0 offset:640
	s_waitcnt lgkmcnt(0)
	v_add_f32_e32 v13, v34, v13
	s_or_b32 exec_lo, exec_lo, s4
	s_and_saveexec_b32 s4, vcc_lo
	s_cbranch_execz .LBB399_4217
.LBB399_4290:
	ds_read_b32 v34, v0 offset:672
	s_waitcnt lgkmcnt(0)
	v_add_f32_e32 v12, v34, v12
	s_or_b32 exec_lo, exec_lo, s4
	s_and_saveexec_b32 s4, vcc_lo
	s_cbranch_execz .LBB399_4218
.LBB399_4291:
	ds_read_b32 v34, v0 offset:704
	s_waitcnt lgkmcnt(0)
	v_add_f32_e32 v11, v34, v11
	s_or_b32 exec_lo, exec_lo, s4
	s_and_saveexec_b32 s4, vcc_lo
	s_cbranch_execz .LBB399_4219
.LBB399_4292:
	ds_read_b32 v34, v0 offset:736
	s_waitcnt lgkmcnt(0)
	v_add_f32_e32 v10, v34, v10
	s_or_b32 exec_lo, exec_lo, s4
	s_and_saveexec_b32 s4, vcc_lo
	s_cbranch_execz .LBB399_4220
.LBB399_4293:
	ds_read_b32 v34, v0 offset:768
	s_waitcnt lgkmcnt(0)
	v_add_f32_e32 v9, v34, v9
	s_or_b32 exec_lo, exec_lo, s4
	s_and_saveexec_b32 s4, vcc_lo
	s_cbranch_execz .LBB399_4221
.LBB399_4294:
	ds_read_b32 v34, v0 offset:800
	s_waitcnt lgkmcnt(0)
	v_add_f32_e32 v8, v34, v8
	s_or_b32 exec_lo, exec_lo, s4
	s_and_saveexec_b32 s4, vcc_lo
	s_cbranch_execz .LBB399_4222
.LBB399_4295:
	ds_read_b32 v34, v0 offset:832
	s_waitcnt lgkmcnt(0)
	v_add_f32_e32 v7, v34, v7
	s_or_b32 exec_lo, exec_lo, s4
	s_and_saveexec_b32 s4, vcc_lo
	s_cbranch_execz .LBB399_4223
.LBB399_4296:
	ds_read_b32 v34, v0 offset:864
	s_waitcnt lgkmcnt(0)
	v_add_f32_e32 v6, v34, v6
	s_or_b32 exec_lo, exec_lo, s4
	s_and_saveexec_b32 s4, vcc_lo
	s_cbranch_execz .LBB399_4224
.LBB399_4297:
	ds_read_b32 v34, v0 offset:896
	s_waitcnt lgkmcnt(0)
	v_add_f32_e32 v5, v34, v5
	s_or_b32 exec_lo, exec_lo, s4
	s_and_saveexec_b32 s4, vcc_lo
	s_cbranch_execz .LBB399_4225
.LBB399_4298:
	ds_read_b32 v34, v0 offset:928
	s_waitcnt lgkmcnt(0)
	v_add_f32_e32 v4, v34, v4
	s_or_b32 exec_lo, exec_lo, s4
	s_and_saveexec_b32 s4, vcc_lo
	s_cbranch_execz .LBB399_4226
.LBB399_4299:
	ds_read_b32 v34, v0 offset:960
	s_waitcnt lgkmcnt(0)
	v_add_f32_e32 v3, v34, v3
	s_or_b32 exec_lo, exec_lo, s4
	s_and_saveexec_b32 s4, vcc_lo
	s_cbranch_execnz .LBB399_4227
	s_branch .LBB399_4228
.LBB399_4300:
	ds_read_b32 v1, v0
	s_waitcnt lgkmcnt(0)
	v_add_f32_e32 v33, v1, v33
	s_or_b32 exec_lo, exec_lo, s4
	s_and_saveexec_b32 s4, vcc_lo
	s_cbranch_execz .LBB399_4234
.LBB399_4301:
	ds_read_b32 v1, v0 offset:32
	s_waitcnt lgkmcnt(0)
	v_add_f32_e32 v32, v1, v32
	s_or_b32 exec_lo, exec_lo, s4
	s_and_saveexec_b32 s4, vcc_lo
	s_cbranch_execz .LBB399_4235
.LBB399_4302:
	ds_read_b32 v1, v0 offset:64
	s_waitcnt lgkmcnt(0)
	v_add_f32_e32 v31, v1, v31
	s_or_b32 exec_lo, exec_lo, s4
	s_and_saveexec_b32 s4, vcc_lo
	s_cbranch_execz .LBB399_4236
.LBB399_4303:
	ds_read_b32 v1, v0 offset:96
	s_waitcnt lgkmcnt(0)
	v_add_f32_e32 v30, v1, v30
	s_or_b32 exec_lo, exec_lo, s4
	s_and_saveexec_b32 s4, vcc_lo
	s_cbranch_execz .LBB399_4237
.LBB399_4304:
	ds_read_b32 v1, v0 offset:128
	s_waitcnt lgkmcnt(0)
	v_add_f32_e32 v29, v1, v29
	s_or_b32 exec_lo, exec_lo, s4
	s_and_saveexec_b32 s4, vcc_lo
	s_cbranch_execz .LBB399_4238
.LBB399_4305:
	ds_read_b32 v1, v0 offset:160
	s_waitcnt lgkmcnt(0)
	v_add_f32_e32 v28, v1, v28
	s_or_b32 exec_lo, exec_lo, s4
	s_and_saveexec_b32 s4, vcc_lo
	s_cbranch_execz .LBB399_4239
.LBB399_4306:
	ds_read_b32 v1, v0 offset:192
	s_waitcnt lgkmcnt(0)
	v_add_f32_e32 v27, v1, v27
	s_or_b32 exec_lo, exec_lo, s4
	s_and_saveexec_b32 s4, vcc_lo
	s_cbranch_execz .LBB399_4240
.LBB399_4307:
	ds_read_b32 v1, v0 offset:224
	s_waitcnt lgkmcnt(0)
	v_add_f32_e32 v26, v1, v26
	s_or_b32 exec_lo, exec_lo, s4
	s_and_saveexec_b32 s4, vcc_lo
	s_cbranch_execz .LBB399_4241
.LBB399_4308:
	ds_read_b32 v1, v0 offset:256
	s_waitcnt lgkmcnt(0)
	v_add_f32_e32 v25, v1, v25
	s_or_b32 exec_lo, exec_lo, s4
	s_and_saveexec_b32 s4, vcc_lo
	s_cbranch_execz .LBB399_4242
.LBB399_4309:
	ds_read_b32 v1, v0 offset:288
	s_waitcnt lgkmcnt(0)
	v_add_f32_e32 v24, v1, v24
	s_or_b32 exec_lo, exec_lo, s4
	s_and_saveexec_b32 s4, vcc_lo
	s_cbranch_execz .LBB399_4243
.LBB399_4310:
	ds_read_b32 v1, v0 offset:320
	s_waitcnt lgkmcnt(0)
	v_add_f32_e32 v23, v1, v23
	s_or_b32 exec_lo, exec_lo, s4
	s_and_saveexec_b32 s4, vcc_lo
	s_cbranch_execz .LBB399_4244
.LBB399_4311:
	ds_read_b32 v1, v0 offset:352
	s_waitcnt lgkmcnt(0)
	v_add_f32_e32 v22, v1, v22
	s_or_b32 exec_lo, exec_lo, s4
	s_and_saveexec_b32 s4, vcc_lo
	s_cbranch_execz .LBB399_4245
.LBB399_4312:
	ds_read_b32 v1, v0 offset:384
	s_waitcnt lgkmcnt(0)
	v_add_f32_e32 v21, v1, v21
	s_or_b32 exec_lo, exec_lo, s4
	s_and_saveexec_b32 s4, vcc_lo
	s_cbranch_execz .LBB399_4246
.LBB399_4313:
	ds_read_b32 v1, v0 offset:416
	s_waitcnt lgkmcnt(0)
	v_add_f32_e32 v20, v1, v20
	s_or_b32 exec_lo, exec_lo, s4
	s_and_saveexec_b32 s4, vcc_lo
	s_cbranch_execz .LBB399_4247
.LBB399_4314:
	ds_read_b32 v1, v0 offset:448
	s_waitcnt lgkmcnt(0)
	v_add_f32_e32 v19, v1, v19
	s_or_b32 exec_lo, exec_lo, s4
	s_and_saveexec_b32 s4, vcc_lo
	s_cbranch_execz .LBB399_4248
.LBB399_4315:
	ds_read_b32 v1, v0 offset:480
	s_waitcnt lgkmcnt(0)
	v_add_f32_e32 v18, v1, v18
	s_or_b32 exec_lo, exec_lo, s4
	s_and_saveexec_b32 s4, vcc_lo
	s_cbranch_execz .LBB399_4249
.LBB399_4316:
	ds_read_b32 v1, v0 offset:512
	s_waitcnt lgkmcnt(0)
	v_add_f32_e32 v17, v1, v17
	s_or_b32 exec_lo, exec_lo, s4
	s_and_saveexec_b32 s4, vcc_lo
	s_cbranch_execz .LBB399_4250
.LBB399_4317:
	ds_read_b32 v1, v0 offset:544
	s_waitcnt lgkmcnt(0)
	v_add_f32_e32 v16, v1, v16
	s_or_b32 exec_lo, exec_lo, s4
	s_and_saveexec_b32 s4, vcc_lo
	s_cbranch_execz .LBB399_4251
.LBB399_4318:
	ds_read_b32 v1, v0 offset:576
	s_waitcnt lgkmcnt(0)
	v_add_f32_e32 v15, v1, v15
	s_or_b32 exec_lo, exec_lo, s4
	s_and_saveexec_b32 s4, vcc_lo
	s_cbranch_execz .LBB399_4252
.LBB399_4319:
	ds_read_b32 v1, v0 offset:608
	s_waitcnt lgkmcnt(0)
	v_add_f32_e32 v14, v1, v14
	s_or_b32 exec_lo, exec_lo, s4
	s_and_saveexec_b32 s4, vcc_lo
	s_cbranch_execz .LBB399_4253
.LBB399_4320:
	ds_read_b32 v1, v0 offset:640
	s_waitcnt lgkmcnt(0)
	v_add_f32_e32 v13, v1, v13
	s_or_b32 exec_lo, exec_lo, s4
	s_and_saveexec_b32 s4, vcc_lo
	s_cbranch_execz .LBB399_4254
.LBB399_4321:
	ds_read_b32 v1, v0 offset:672
	s_waitcnt lgkmcnt(0)
	v_add_f32_e32 v12, v1, v12
	s_or_b32 exec_lo, exec_lo, s4
	s_and_saveexec_b32 s4, vcc_lo
	s_cbranch_execz .LBB399_4255
.LBB399_4322:
	ds_read_b32 v1, v0 offset:704
	s_waitcnt lgkmcnt(0)
	v_add_f32_e32 v11, v1, v11
	s_or_b32 exec_lo, exec_lo, s4
	s_and_saveexec_b32 s4, vcc_lo
	s_cbranch_execz .LBB399_4256
.LBB399_4323:
	ds_read_b32 v1, v0 offset:736
	s_waitcnt lgkmcnt(0)
	v_add_f32_e32 v10, v1, v10
	s_or_b32 exec_lo, exec_lo, s4
	s_and_saveexec_b32 s4, vcc_lo
	s_cbranch_execz .LBB399_4257
.LBB399_4324:
	ds_read_b32 v1, v0 offset:768
	s_waitcnt lgkmcnt(0)
	v_add_f32_e32 v9, v1, v9
	s_or_b32 exec_lo, exec_lo, s4
	s_and_saveexec_b32 s4, vcc_lo
	s_cbranch_execz .LBB399_4258
.LBB399_4325:
	ds_read_b32 v1, v0 offset:800
	s_waitcnt lgkmcnt(0)
	v_add_f32_e32 v8, v1, v8
	s_or_b32 exec_lo, exec_lo, s4
	s_and_saveexec_b32 s4, vcc_lo
	s_cbranch_execz .LBB399_4259
.LBB399_4326:
	ds_read_b32 v1, v0 offset:832
	s_waitcnt lgkmcnt(0)
	v_add_f32_e32 v7, v1, v7
	s_or_b32 exec_lo, exec_lo, s4
	s_and_saveexec_b32 s4, vcc_lo
	s_cbranch_execz .LBB399_4260
.LBB399_4327:
	ds_read_b32 v1, v0 offset:864
	s_waitcnt lgkmcnt(0)
	v_add_f32_e32 v6, v1, v6
	s_or_b32 exec_lo, exec_lo, s4
	s_and_saveexec_b32 s4, vcc_lo
	s_cbranch_execz .LBB399_4261
.LBB399_4328:
	ds_read_b32 v1, v0 offset:896
	s_waitcnt lgkmcnt(0)
	v_add_f32_e32 v5, v1, v5
	s_or_b32 exec_lo, exec_lo, s4
	s_and_saveexec_b32 s4, vcc_lo
	s_cbranch_execz .LBB399_4262
.LBB399_4329:
	ds_read_b32 v1, v0 offset:928
	s_waitcnt lgkmcnt(0)
	v_add_f32_e32 v4, v1, v4
	s_or_b32 exec_lo, exec_lo, s4
	s_and_saveexec_b32 s4, vcc_lo
	s_cbranch_execz .LBB399_4263
.LBB399_4330:
	ds_read_b32 v1, v0 offset:960
	s_waitcnt lgkmcnt(0)
	v_add_f32_e32 v3, v1, v3
	s_or_b32 exec_lo, exec_lo, s4
	s_and_saveexec_b32 s4, vcc_lo
	s_cbranch_execnz .LBB399_4264
	s_branch .LBB399_4265
.Lfunc_end399:
	.size	_ZN4vllm22paged_attention_kernelI14__hip_bfloat16hLi256ELi32ELi128ELNS_18Fp8KVCacheDataTypeE1ELb0ELi512EEEvPfS3_PT_PKS4_PKT0_SA_ifPKiSC_iPKfiiiSE_SE_iiiii, .Lfunc_end399-_ZN4vllm22paged_attention_kernelI14__hip_bfloat16hLi256ELi32ELi128ELNS_18Fp8KVCacheDataTypeE1ELb0ELi512EEEvPfS3_PT_PKS4_PKT0_SA_ifPKiSC_iPKfiiiSE_SE_iiiii
                                        ; -- End function
	.set .L_ZN4vllm22paged_attention_kernelI14__hip_bfloat16hLi256ELi32ELi128ELNS_18Fp8KVCacheDataTypeE1ELb0ELi512EEEvPfS3_PT_PKS4_PKT0_SA_ifPKiSC_iPKfiiiSE_SE_iiiii.num_vgpr, 128
	.set .L_ZN4vllm22paged_attention_kernelI14__hip_bfloat16hLi256ELi32ELi128ELNS_18Fp8KVCacheDataTypeE1ELb0ELi512EEEvPfS3_PT_PKS4_PKT0_SA_ifPKiSC_iPKfiiiSE_SE_iiiii.num_agpr, 0
	.set .L_ZN4vllm22paged_attention_kernelI14__hip_bfloat16hLi256ELi32ELi128ELNS_18Fp8KVCacheDataTypeE1ELb0ELi512EEEvPfS3_PT_PKS4_PKT0_SA_ifPKiSC_iPKfiiiSE_SE_iiiii.numbered_sgpr, 33
	.set .L_ZN4vllm22paged_attention_kernelI14__hip_bfloat16hLi256ELi32ELi128ELNS_18Fp8KVCacheDataTypeE1ELb0ELi512EEEvPfS3_PT_PKS4_PKT0_SA_ifPKiSC_iPKfiiiSE_SE_iiiii.num_named_barrier, 0
	.set .L_ZN4vllm22paged_attention_kernelI14__hip_bfloat16hLi256ELi32ELi128ELNS_18Fp8KVCacheDataTypeE1ELb0ELi512EEEvPfS3_PT_PKS4_PKT0_SA_ifPKiSC_iPKfiiiSE_SE_iiiii.private_seg_size, 2364
	.set .L_ZN4vllm22paged_attention_kernelI14__hip_bfloat16hLi256ELi32ELi128ELNS_18Fp8KVCacheDataTypeE1ELb0ELi512EEEvPfS3_PT_PKS4_PKT0_SA_ifPKiSC_iPKfiiiSE_SE_iiiii.uses_vcc, 1
	.set .L_ZN4vllm22paged_attention_kernelI14__hip_bfloat16hLi256ELi32ELi128ELNS_18Fp8KVCacheDataTypeE1ELb0ELi512EEEvPfS3_PT_PKS4_PKT0_SA_ifPKiSC_iPKfiiiSE_SE_iiiii.uses_flat_scratch, 0
	.set .L_ZN4vllm22paged_attention_kernelI14__hip_bfloat16hLi256ELi32ELi128ELNS_18Fp8KVCacheDataTypeE1ELb0ELi512EEEvPfS3_PT_PKS4_PKT0_SA_ifPKiSC_iPKfiiiSE_SE_iiiii.has_dyn_sized_stack, 0
	.set .L_ZN4vllm22paged_attention_kernelI14__hip_bfloat16hLi256ELi32ELi128ELNS_18Fp8KVCacheDataTypeE1ELb0ELi512EEEvPfS3_PT_PKS4_PKT0_SA_ifPKiSC_iPKfiiiSE_SE_iiiii.has_recursion, 0
	.set .L_ZN4vllm22paged_attention_kernelI14__hip_bfloat16hLi256ELi32ELi128ELNS_18Fp8KVCacheDataTypeE1ELb0ELi512EEEvPfS3_PT_PKS4_PKT0_SA_ifPKiSC_iPKfiiiSE_SE_iiiii.has_indirect_call, 0
	.section	.AMDGPU.csdata,"",@progbits
; Function info:
; codeLenInByte = 180060
; TotalNumSgprs: 35
; NumVgprs: 128
; ScratchSize: 2364
; MemoryBound: 0
	.section	.text._ZN4vllm25paged_attention_v2_kernelI14__hip_bfloat16hLi256ELi32ELi128ELNS_18Fp8KVCacheDataTypeE1ELb0ELi512EEEvPfS3_PT_PKS4_PKT0_SA_ifPKiSC_iPKfiiiSE_SE_iiiii,"axG",@progbits,_ZN4vllm25paged_attention_v2_kernelI14__hip_bfloat16hLi256ELi32ELi128ELNS_18Fp8KVCacheDataTypeE1ELb0ELi512EEEvPfS3_PT_PKS4_PKT0_SA_ifPKiSC_iPKfiiiSE_SE_iiiii,comdat
	.protected	_ZN4vllm25paged_attention_v2_kernelI14__hip_bfloat16hLi256ELi32ELi128ELNS_18Fp8KVCacheDataTypeE1ELb0ELi512EEEvPfS3_PT_PKS4_PKT0_SA_ifPKiSC_iPKfiiiSE_SE_iiiii ; -- Begin function _ZN4vllm25paged_attention_v2_kernelI14__hip_bfloat16hLi256ELi32ELi128ELNS_18Fp8KVCacheDataTypeE1ELb0ELi512EEEvPfS3_PT_PKS4_PKT0_SA_ifPKiSC_iPKfiiiSE_SE_iiiii
	.globl	_ZN4vllm25paged_attention_v2_kernelI14__hip_bfloat16hLi256ELi32ELi128ELNS_18Fp8KVCacheDataTypeE1ELb0ELi512EEEvPfS3_PT_PKS4_PKT0_SA_ifPKiSC_iPKfiiiSE_SE_iiiii
	.p2align	8
	.type	_ZN4vllm25paged_attention_v2_kernelI14__hip_bfloat16hLi256ELi32ELi128ELNS_18Fp8KVCacheDataTypeE1ELb0ELi512EEEvPfS3_PT_PKS4_PKT0_SA_ifPKiSC_iPKfiiiSE_SE_iiiii,@function
_ZN4vllm25paged_attention_v2_kernelI14__hip_bfloat16hLi256ELi32ELi128ELNS_18Fp8KVCacheDataTypeE1ELb0ELi512EEEvPfS3_PT_PKS4_PKT0_SA_ifPKiSC_iPKfiiiSE_SE_iiiii: ; @_ZN4vllm25paged_attention_v2_kernelI14__hip_bfloat16hLi256ELi32ELi128ELNS_18Fp8KVCacheDataTypeE1ELb0ELi512EEEvPfS3_PT_PKS4_PKT0_SA_ifPKiSC_iPKfiiiSE_SE_iiiii
; %bb.0:
	s_clause 0x5
	s_load_dwordx8 s[24:31], s[4:5], 0x0
	s_load_dwordx8 s[16:23], s[4:5], 0x20
	s_load_dwordx2 s[10:11], s[4:5], 0x40
	s_load_dwordx2 s[34:35], s[4:5], 0x50
	s_load_dword s13, s[4:5], 0x48
	s_load_dwordx8 s[36:43], s[4:5], 0x58
	s_add_u32 s0, s0, s9
	s_addc_u32 s1, s1, 0
	v_mov_b32_e32 v31, v0
	s_mov_b32 s14, s8
	s_add_u32 s8, s4, 0x90
	s_addc_u32 s9, s5, 0
	s_getpc_b64 s[4:5]
	s_add_u32 s4, s4, _ZN4vllm22paged_attention_kernelI14__hip_bfloat16hLi256ELi32ELi128ELNS_18Fp8KVCacheDataTypeE1ELb0ELi512EEEvPfS3_PT_PKS4_PKT0_SA_ifPKiSC_iPKfiiiSE_SE_iiiii@rel32@lo+4
	s_addc_u32 s5, s5, _ZN4vllm22paged_attention_kernelI14__hip_bfloat16hLi256ELi32ELi128ELNS_18Fp8KVCacheDataTypeE1ELb0ELi512EEEvPfS3_PT_PKS4_PKT0_SA_ifPKiSC_iPKfiiiSE_SE_iiiii@rel32@hi+12
	s_mov_b32 s12, s6
	s_mov_b32 s15, 12
	;; [unrolled: 1-line block ×3, first 2 shown]
	s_waitcnt lgkmcnt(0)
	v_mov_b32_e32 v0, s24
	v_mov_b32_e32 v1, s25
	;; [unrolled: 1-line block ×28, first 2 shown]
	s_mov_b32 s13, s7
	s_swappc_b64 s[30:31], s[4:5]
	s_endpgm
	.section	.rodata,"a",@progbits
	.p2align	6, 0x0
	.amdhsa_kernel _ZN4vllm25paged_attention_v2_kernelI14__hip_bfloat16hLi256ELi32ELi128ELNS_18Fp8KVCacheDataTypeE1ELb0ELi512EEEvPfS3_PT_PKS4_PKT0_SA_ifPKiSC_iPKfiiiSE_SE_iiiii
		.amdhsa_group_segment_fixed_size 544
		.amdhsa_private_segment_fixed_size 2364
		.amdhsa_kernarg_size 400
		.amdhsa_user_sgpr_count 6
		.amdhsa_user_sgpr_private_segment_buffer 1
		.amdhsa_user_sgpr_dispatch_ptr 0
		.amdhsa_user_sgpr_queue_ptr 0
		.amdhsa_user_sgpr_kernarg_segment_ptr 1
		.amdhsa_user_sgpr_dispatch_id 0
		.amdhsa_user_sgpr_flat_scratch_init 0
		.amdhsa_user_sgpr_private_segment_size 0
		.amdhsa_wavefront_size32 1
		.amdhsa_uses_dynamic_stack 0
		.amdhsa_system_sgpr_private_segment_wavefront_offset 1
		.amdhsa_system_sgpr_workgroup_id_x 1
		.amdhsa_system_sgpr_workgroup_id_y 1
		.amdhsa_system_sgpr_workgroup_id_z 1
		.amdhsa_system_sgpr_workgroup_info 0
		.amdhsa_system_vgpr_workitem_id 0
		.amdhsa_next_free_vgpr 128
		.amdhsa_next_free_sgpr 44
		.amdhsa_reserve_vcc 1
		.amdhsa_reserve_flat_scratch 0
		.amdhsa_float_round_mode_32 0
		.amdhsa_float_round_mode_16_64 0
		.amdhsa_float_denorm_mode_32 3
		.amdhsa_float_denorm_mode_16_64 3
		.amdhsa_dx10_clamp 1
		.amdhsa_ieee_mode 1
		.amdhsa_fp16_overflow 0
		.amdhsa_workgroup_processor_mode 1
		.amdhsa_memory_ordered 1
		.amdhsa_forward_progress 1
		.amdhsa_shared_vgpr_count 0
		.amdhsa_exception_fp_ieee_invalid_op 0
		.amdhsa_exception_fp_denorm_src 0
		.amdhsa_exception_fp_ieee_div_zero 0
		.amdhsa_exception_fp_ieee_overflow 0
		.amdhsa_exception_fp_ieee_underflow 0
		.amdhsa_exception_fp_ieee_inexact 0
		.amdhsa_exception_int_div_zero 0
	.end_amdhsa_kernel
	.section	.text._ZN4vllm25paged_attention_v2_kernelI14__hip_bfloat16hLi256ELi32ELi128ELNS_18Fp8KVCacheDataTypeE1ELb0ELi512EEEvPfS3_PT_PKS4_PKT0_SA_ifPKiSC_iPKfiiiSE_SE_iiiii,"axG",@progbits,_ZN4vllm25paged_attention_v2_kernelI14__hip_bfloat16hLi256ELi32ELi128ELNS_18Fp8KVCacheDataTypeE1ELb0ELi512EEEvPfS3_PT_PKS4_PKT0_SA_ifPKiSC_iPKfiiiSE_SE_iiiii,comdat
.Lfunc_end400:
	.size	_ZN4vllm25paged_attention_v2_kernelI14__hip_bfloat16hLi256ELi32ELi128ELNS_18Fp8KVCacheDataTypeE1ELb0ELi512EEEvPfS3_PT_PKS4_PKT0_SA_ifPKiSC_iPKfiiiSE_SE_iiiii, .Lfunc_end400-_ZN4vllm25paged_attention_v2_kernelI14__hip_bfloat16hLi256ELi32ELi128ELNS_18Fp8KVCacheDataTypeE1ELb0ELi512EEEvPfS3_PT_PKS4_PKT0_SA_ifPKiSC_iPKfiiiSE_SE_iiiii
                                        ; -- End function
	.set _ZN4vllm25paged_attention_v2_kernelI14__hip_bfloat16hLi256ELi32ELi128ELNS_18Fp8KVCacheDataTypeE1ELb0ELi512EEEvPfS3_PT_PKS4_PKT0_SA_ifPKiSC_iPKfiiiSE_SE_iiiii.num_vgpr, max(32, .L_ZN4vllm22paged_attention_kernelI14__hip_bfloat16hLi256ELi32ELi128ELNS_18Fp8KVCacheDataTypeE1ELb0ELi512EEEvPfS3_PT_PKS4_PKT0_SA_ifPKiSC_iPKfiiiSE_SE_iiiii.num_vgpr)
	.set _ZN4vllm25paged_attention_v2_kernelI14__hip_bfloat16hLi256ELi32ELi128ELNS_18Fp8KVCacheDataTypeE1ELb0ELi512EEEvPfS3_PT_PKS4_PKT0_SA_ifPKiSC_iPKfiiiSE_SE_iiiii.num_agpr, max(0, .L_ZN4vllm22paged_attention_kernelI14__hip_bfloat16hLi256ELi32ELi128ELNS_18Fp8KVCacheDataTypeE1ELb0ELi512EEEvPfS3_PT_PKS4_PKT0_SA_ifPKiSC_iPKfiiiSE_SE_iiiii.num_agpr)
	.set _ZN4vllm25paged_attention_v2_kernelI14__hip_bfloat16hLi256ELi32ELi128ELNS_18Fp8KVCacheDataTypeE1ELb0ELi512EEEvPfS3_PT_PKS4_PKT0_SA_ifPKiSC_iPKfiiiSE_SE_iiiii.numbered_sgpr, max(44, .L_ZN4vllm22paged_attention_kernelI14__hip_bfloat16hLi256ELi32ELi128ELNS_18Fp8KVCacheDataTypeE1ELb0ELi512EEEvPfS3_PT_PKS4_PKT0_SA_ifPKiSC_iPKfiiiSE_SE_iiiii.numbered_sgpr)
	.set _ZN4vllm25paged_attention_v2_kernelI14__hip_bfloat16hLi256ELi32ELi128ELNS_18Fp8KVCacheDataTypeE1ELb0ELi512EEEvPfS3_PT_PKS4_PKT0_SA_ifPKiSC_iPKfiiiSE_SE_iiiii.num_named_barrier, max(0, .L_ZN4vllm22paged_attention_kernelI14__hip_bfloat16hLi256ELi32ELi128ELNS_18Fp8KVCacheDataTypeE1ELb0ELi512EEEvPfS3_PT_PKS4_PKT0_SA_ifPKiSC_iPKfiiiSE_SE_iiiii.num_named_barrier)
	.set _ZN4vllm25paged_attention_v2_kernelI14__hip_bfloat16hLi256ELi32ELi128ELNS_18Fp8KVCacheDataTypeE1ELb0ELi512EEEvPfS3_PT_PKS4_PKT0_SA_ifPKiSC_iPKfiiiSE_SE_iiiii.private_seg_size, 0+max(.L_ZN4vllm22paged_attention_kernelI14__hip_bfloat16hLi256ELi32ELi128ELNS_18Fp8KVCacheDataTypeE1ELb0ELi512EEEvPfS3_PT_PKS4_PKT0_SA_ifPKiSC_iPKfiiiSE_SE_iiiii.private_seg_size)
	.set _ZN4vllm25paged_attention_v2_kernelI14__hip_bfloat16hLi256ELi32ELi128ELNS_18Fp8KVCacheDataTypeE1ELb0ELi512EEEvPfS3_PT_PKS4_PKT0_SA_ifPKiSC_iPKfiiiSE_SE_iiiii.uses_vcc, or(1, .L_ZN4vllm22paged_attention_kernelI14__hip_bfloat16hLi256ELi32ELi128ELNS_18Fp8KVCacheDataTypeE1ELb0ELi512EEEvPfS3_PT_PKS4_PKT0_SA_ifPKiSC_iPKfiiiSE_SE_iiiii.uses_vcc)
	.set _ZN4vllm25paged_attention_v2_kernelI14__hip_bfloat16hLi256ELi32ELi128ELNS_18Fp8KVCacheDataTypeE1ELb0ELi512EEEvPfS3_PT_PKS4_PKT0_SA_ifPKiSC_iPKfiiiSE_SE_iiiii.uses_flat_scratch, or(0, .L_ZN4vllm22paged_attention_kernelI14__hip_bfloat16hLi256ELi32ELi128ELNS_18Fp8KVCacheDataTypeE1ELb0ELi512EEEvPfS3_PT_PKS4_PKT0_SA_ifPKiSC_iPKfiiiSE_SE_iiiii.uses_flat_scratch)
	.set _ZN4vllm25paged_attention_v2_kernelI14__hip_bfloat16hLi256ELi32ELi128ELNS_18Fp8KVCacheDataTypeE1ELb0ELi512EEEvPfS3_PT_PKS4_PKT0_SA_ifPKiSC_iPKfiiiSE_SE_iiiii.has_dyn_sized_stack, or(0, .L_ZN4vllm22paged_attention_kernelI14__hip_bfloat16hLi256ELi32ELi128ELNS_18Fp8KVCacheDataTypeE1ELb0ELi512EEEvPfS3_PT_PKS4_PKT0_SA_ifPKiSC_iPKfiiiSE_SE_iiiii.has_dyn_sized_stack)
	.set _ZN4vllm25paged_attention_v2_kernelI14__hip_bfloat16hLi256ELi32ELi128ELNS_18Fp8KVCacheDataTypeE1ELb0ELi512EEEvPfS3_PT_PKS4_PKT0_SA_ifPKiSC_iPKfiiiSE_SE_iiiii.has_recursion, or(0, .L_ZN4vllm22paged_attention_kernelI14__hip_bfloat16hLi256ELi32ELi128ELNS_18Fp8KVCacheDataTypeE1ELb0ELi512EEEvPfS3_PT_PKS4_PKT0_SA_ifPKiSC_iPKfiiiSE_SE_iiiii.has_recursion)
	.set _ZN4vllm25paged_attention_v2_kernelI14__hip_bfloat16hLi256ELi32ELi128ELNS_18Fp8KVCacheDataTypeE1ELb0ELi512EEEvPfS3_PT_PKS4_PKT0_SA_ifPKiSC_iPKfiiiSE_SE_iiiii.has_indirect_call, or(0, .L_ZN4vllm22paged_attention_kernelI14__hip_bfloat16hLi256ELi32ELi128ELNS_18Fp8KVCacheDataTypeE1ELb0ELi512EEEvPfS3_PT_PKS4_PKT0_SA_ifPKiSC_iPKfiiiSE_SE_iiiii.has_indirect_call)
	.section	.AMDGPU.csdata,"",@progbits
; Kernel info:
; codeLenInByte = 240
; TotalNumSgprs: 46
; NumVgprs: 128
; ScratchSize: 2364
; MemoryBound: 0
; FloatMode: 240
; IeeeMode: 1
; LDSByteSize: 544 bytes/workgroup (compile time only)
; SGPRBlocks: 0
; VGPRBlocks: 15
; NumSGPRsForWavesPerEU: 46
; NumVGPRsForWavesPerEU: 128
; Occupancy: 8
; WaveLimiterHint : 1
; COMPUTE_PGM_RSRC2:SCRATCH_EN: 1
; COMPUTE_PGM_RSRC2:USER_SGPR: 6
; COMPUTE_PGM_RSRC2:TRAP_HANDLER: 0
; COMPUTE_PGM_RSRC2:TGID_X_EN: 1
; COMPUTE_PGM_RSRC2:TGID_Y_EN: 1
; COMPUTE_PGM_RSRC2:TGID_Z_EN: 1
; COMPUTE_PGM_RSRC2:TIDIG_COMP_CNT: 0
	.text
	.p2alignl 6, 3214868480
	.fill 48, 4, 3214868480
	.section	.AMDGPU.gpr_maximums,"",@progbits
	.set amdgpu.max_num_vgpr, 128
	.set amdgpu.max_num_agpr, 0
	.set amdgpu.max_num_sgpr, 33
	.text
	.type	__hip_cuid_e3ff1eb00bc26c5e,@object ; @__hip_cuid_e3ff1eb00bc26c5e
	.section	.bss,"aw",@nobits
	.globl	__hip_cuid_e3ff1eb00bc26c5e
__hip_cuid_e3ff1eb00bc26c5e:
	.byte	0                               ; 0x0
	.size	__hip_cuid_e3ff1eb00bc26c5e, 1

	.type	llvm.amdgcn.dynlds.offset.table,@object ; @llvm.amdgcn.dynlds.offset.table
	.section	.data.rel.ro,"aw",@progbits
	.p2align	4, 0x0
llvm.amdgcn.dynlds.offset.table:
	.long	256
	.long	256
	;; [unrolled: 1-line block ×50, first 2 shown]
	.size	llvm.amdgcn.dynlds.offset.table, 200

	.ident	"AMD clang version 22.0.0git (https://github.com/RadeonOpenCompute/llvm-project roc-7.2.4 26084 f58b06dce1f9c15707c5f808fd002e18c2accf7e)"
	.section	".note.GNU-stack","",@progbits
	.addrsig
	.addrsig_sym __hip_cuid_e3ff1eb00bc26c5e
	.amdgpu_metadata
---
amdhsa.kernels:
  - .args:
      - .actual_access:  write_only
        .address_space:  global
        .offset:         0
        .size:           8
        .value_kind:     global_buffer
      - .actual_access:  write_only
        .address_space:  global
        .offset:         8
        .size:           8
        .value_kind:     global_buffer
      - .actual_access:  write_only
        .address_space:  global
        .offset:         16
        .size:           8
        .value_kind:     global_buffer
      - .actual_access:  read_only
        .address_space:  global
        .offset:         24
        .size:           8
        .value_kind:     global_buffer
      - .actual_access:  read_only
        .address_space:  global
        .offset:         32
        .size:           8
        .value_kind:     global_buffer
      - .actual_access:  read_only
        .address_space:  global
        .offset:         40
        .size:           8
        .value_kind:     global_buffer
      - .offset:         48
        .size:           4
        .value_kind:     by_value
      - .offset:         52
        .size:           4
        .value_kind:     by_value
      - .actual_access:  read_only
        .address_space:  global
        .offset:         56
        .size:           8
        .value_kind:     global_buffer
      - .actual_access:  read_only
        .address_space:  global
        .offset:         64
        .size:           8
        .value_kind:     global_buffer
      - .offset:         72
        .size:           4
        .value_kind:     by_value
      - .actual_access:  read_only
        .address_space:  global
        .offset:         80
        .size:           8
        .value_kind:     global_buffer
      - .offset:         88
        .size:           4
        .value_kind:     by_value
      - .offset:         92
        .size:           4
        .value_kind:     by_value
      - .offset:         96
        .size:           4
        .value_kind:     by_value
      - .address_space:  global
        .offset:         104
        .size:           8
        .value_kind:     global_buffer
      - .address_space:  global
        .offset:         112
        .size:           8
        .value_kind:     global_buffer
      - .offset:         120
        .size:           4
        .value_kind:     by_value
      - .offset:         124
        .size:           4
        .value_kind:     by_value
      - .offset:         128
        .size:           4
        .value_kind:     by_value
      - .offset:         132
        .size:           4
        .value_kind:     by_value
      - .offset:         136
        .size:           4
        .value_kind:     by_value
      - .offset:         144
        .size:           4
        .value_kind:     hidden_block_count_x
      - .offset:         148
        .size:           4
        .value_kind:     hidden_block_count_y
      - .offset:         152
        .size:           4
        .value_kind:     hidden_block_count_z
      - .offset:         156
        .size:           2
        .value_kind:     hidden_group_size_x
      - .offset:         158
        .size:           2
        .value_kind:     hidden_group_size_y
      - .offset:         160
        .size:           2
        .value_kind:     hidden_group_size_z
      - .offset:         162
        .size:           2
        .value_kind:     hidden_remainder_x
      - .offset:         164
        .size:           2
        .value_kind:     hidden_remainder_y
      - .offset:         166
        .size:           2
        .value_kind:     hidden_remainder_z
      - .offset:         184
        .size:           8
        .value_kind:     hidden_global_offset_x
      - .offset:         192
        .size:           8
        .value_kind:     hidden_global_offset_y
      - .offset:         200
        .size:           8
        .value_kind:     hidden_global_offset_z
      - .offset:         208
        .size:           2
        .value_kind:     hidden_grid_dims
      - .offset:         264
        .size:           4
        .value_kind:     hidden_dynamic_lds_size
    .group_segment_fixed_size: 160
    .kernarg_segment_align: 8
    .kernarg_segment_size: 400
    .language:       OpenCL C
    .language_version:
      - 2
      - 0
    .max_flat_workgroup_size: 1024
    .name:           _ZN4vllm25paged_attention_v2_kernelIffLi32ELi8ELi128ELNS_18Fp8KVCacheDataTypeE0ELb1ELi512EEEvPfS2_PT_PKS3_PKT0_S9_ifPKiSB_iPKfiiiSD_SD_iiiii
    .private_segment_fixed_size: 0
    .sgpr_count:     48
    .sgpr_spill_count: 0
    .symbol:         _ZN4vllm25paged_attention_v2_kernelIffLi32ELi8ELi128ELNS_18Fp8KVCacheDataTypeE0ELb1ELi512EEEvPfS2_PT_PKS3_PKT0_S9_ifPKiSB_iPKfiiiSD_SD_iiiii.kd
    .uniform_work_group_size: 1
    .uses_dynamic_stack: false
    .vgpr_count:     38
    .vgpr_spill_count: 0
    .wavefront_size: 32
    .workgroup_processor_mode: 1
  - .args:
      - .actual_access:  write_only
        .address_space:  global
        .offset:         0
        .size:           8
        .value_kind:     global_buffer
      - .actual_access:  read_only
        .address_space:  global
        .offset:         8
        .size:           8
        .value_kind:     global_buffer
      - .actual_access:  read_only
        .address_space:  global
        .offset:         16
        .size:           8
        .value_kind:     global_buffer
      - .actual_access:  read_only
        .address_space:  global
        .offset:         24
        .size:           8
        .value_kind:     global_buffer
      - .actual_access:  read_only
        .address_space:  global
        .offset:         32
        .size:           8
        .value_kind:     global_buffer
      - .offset:         40
        .size:           4
        .value_kind:     by_value
      - .offset:         48
        .size:           4
        .value_kind:     hidden_block_count_x
      - .offset:         52
        .size:           4
        .value_kind:     hidden_block_count_y
      - .offset:         56
        .size:           4
        .value_kind:     hidden_block_count_z
      - .offset:         60
        .size:           2
        .value_kind:     hidden_group_size_x
      - .offset:         62
        .size:           2
        .value_kind:     hidden_group_size_y
      - .offset:         64
        .size:           2
        .value_kind:     hidden_group_size_z
      - .offset:         66
        .size:           2
        .value_kind:     hidden_remainder_x
      - .offset:         68
        .size:           2
        .value_kind:     hidden_remainder_y
      - .offset:         70
        .size:           2
        .value_kind:     hidden_remainder_z
      - .offset:         88
        .size:           8
        .value_kind:     hidden_global_offset_x
      - .offset:         96
        .size:           8
        .value_kind:     hidden_global_offset_y
      - .offset:         104
        .size:           8
        .value_kind:     hidden_global_offset_z
      - .offset:         112
        .size:           2
        .value_kind:     hidden_grid_dims
      - .offset:         168
        .size:           4
        .value_kind:     hidden_dynamic_lds_size
    .group_segment_fixed_size: 32
    .kernarg_segment_align: 8
    .kernarg_segment_size: 304
    .language:       OpenCL C
    .language_version:
      - 2
      - 0
    .max_flat_workgroup_size: 1024
    .name:           _ZN4vllm32paged_attention_v2_reduce_kernelIfLi32ELi128ELi512EEEvPT_PKfS4_PKS1_PKii
    .private_segment_fixed_size: 0
    .sgpr_count:     32
    .sgpr_spill_count: 0
    .symbol:         _ZN4vllm32paged_attention_v2_reduce_kernelIfLi32ELi128ELi512EEEvPT_PKfS4_PKS1_PKii.kd
    .uniform_work_group_size: 1
    .uses_dynamic_stack: false
    .vgpr_count:     19
    .vgpr_spill_count: 0
    .wavefront_size: 32
    .workgroup_processor_mode: 1
  - .args:
      - .actual_access:  write_only
        .address_space:  global
        .offset:         0
        .size:           8
        .value_kind:     global_buffer
      - .actual_access:  write_only
        .address_space:  global
        .offset:         8
        .size:           8
        .value_kind:     global_buffer
      - .actual_access:  write_only
        .address_space:  global
        .offset:         16
        .size:           8
        .value_kind:     global_buffer
      - .actual_access:  read_only
        .address_space:  global
        .offset:         24
        .size:           8
        .value_kind:     global_buffer
      - .actual_access:  read_only
        .address_space:  global
        .offset:         32
        .size:           8
        .value_kind:     global_buffer
      - .actual_access:  read_only
        .address_space:  global
        .offset:         40
        .size:           8
        .value_kind:     global_buffer
      - .offset:         48
        .size:           4
        .value_kind:     by_value
      - .offset:         52
        .size:           4
        .value_kind:     by_value
      - .actual_access:  read_only
        .address_space:  global
        .offset:         56
        .size:           8
        .value_kind:     global_buffer
      - .actual_access:  read_only
        .address_space:  global
        .offset:         64
        .size:           8
        .value_kind:     global_buffer
      - .offset:         72
        .size:           4
        .value_kind:     by_value
      - .actual_access:  read_only
        .address_space:  global
        .offset:         80
        .size:           8
        .value_kind:     global_buffer
      - .offset:         88
        .size:           4
        .value_kind:     by_value
      - .offset:         92
        .size:           4
        .value_kind:     by_value
      - .offset:         96
        .size:           4
        .value_kind:     by_value
      - .address_space:  global
        .offset:         104
        .size:           8
        .value_kind:     global_buffer
      - .address_space:  global
        .offset:         112
        .size:           8
        .value_kind:     global_buffer
      - .offset:         120
        .size:           4
        .value_kind:     by_value
      - .offset:         124
        .size:           4
        .value_kind:     by_value
      - .offset:         128
        .size:           4
        .value_kind:     by_value
      - .offset:         132
        .size:           4
        .value_kind:     by_value
      - .offset:         136
        .size:           4
        .value_kind:     by_value
      - .offset:         144
        .size:           4
        .value_kind:     hidden_block_count_x
      - .offset:         148
        .size:           4
        .value_kind:     hidden_block_count_y
      - .offset:         152
        .size:           4
        .value_kind:     hidden_block_count_z
      - .offset:         156
        .size:           2
        .value_kind:     hidden_group_size_x
      - .offset:         158
        .size:           2
        .value_kind:     hidden_group_size_y
      - .offset:         160
        .size:           2
        .value_kind:     hidden_group_size_z
      - .offset:         162
        .size:           2
        .value_kind:     hidden_remainder_x
      - .offset:         164
        .size:           2
        .value_kind:     hidden_remainder_y
      - .offset:         166
        .size:           2
        .value_kind:     hidden_remainder_z
      - .offset:         184
        .size:           8
        .value_kind:     hidden_global_offset_x
      - .offset:         192
        .size:           8
        .value_kind:     hidden_global_offset_y
      - .offset:         200
        .size:           8
        .value_kind:     hidden_global_offset_z
      - .offset:         208
        .size:           2
        .value_kind:     hidden_grid_dims
      - .offset:         264
        .size:           4
        .value_kind:     hidden_dynamic_lds_size
    .group_segment_fixed_size: 288
    .kernarg_segment_align: 8
    .kernarg_segment_size: 400
    .language:       OpenCL C
    .language_version:
      - 2
      - 0
    .max_flat_workgroup_size: 1024
    .name:           _ZN4vllm25paged_attention_v2_kernelIffLi64ELi8ELi128ELNS_18Fp8KVCacheDataTypeE0ELb1ELi512EEEvPfS2_PT_PKS3_PKT0_S9_ifPKiSB_iPKfiiiSD_SD_iiiii
    .private_segment_fixed_size: 0
    .sgpr_count:     48
    .sgpr_spill_count: 0
    .symbol:         _ZN4vllm25paged_attention_v2_kernelIffLi64ELi8ELi128ELNS_18Fp8KVCacheDataTypeE0ELb1ELi512EEEvPfS2_PT_PKS3_PKT0_S9_ifPKiSB_iPKfiiiSD_SD_iiiii.kd
    .uniform_work_group_size: 1
    .uses_dynamic_stack: false
    .vgpr_count:     47
    .vgpr_spill_count: 0
    .wavefront_size: 32
    .workgroup_processor_mode: 1
  - .args:
      - .actual_access:  write_only
        .address_space:  global
        .offset:         0
        .size:           8
        .value_kind:     global_buffer
      - .actual_access:  read_only
        .address_space:  global
        .offset:         8
        .size:           8
        .value_kind:     global_buffer
      - .actual_access:  read_only
        .address_space:  global
        .offset:         16
        .size:           8
        .value_kind:     global_buffer
      - .actual_access:  read_only
        .address_space:  global
        .offset:         24
        .size:           8
        .value_kind:     global_buffer
      - .actual_access:  read_only
        .address_space:  global
        .offset:         32
        .size:           8
        .value_kind:     global_buffer
      - .offset:         40
        .size:           4
        .value_kind:     by_value
      - .offset:         48
        .size:           4
        .value_kind:     hidden_block_count_x
      - .offset:         52
        .size:           4
        .value_kind:     hidden_block_count_y
      - .offset:         56
        .size:           4
        .value_kind:     hidden_block_count_z
      - .offset:         60
        .size:           2
        .value_kind:     hidden_group_size_x
      - .offset:         62
        .size:           2
        .value_kind:     hidden_group_size_y
      - .offset:         64
        .size:           2
        .value_kind:     hidden_group_size_z
      - .offset:         66
        .size:           2
        .value_kind:     hidden_remainder_x
      - .offset:         68
        .size:           2
        .value_kind:     hidden_remainder_y
      - .offset:         70
        .size:           2
        .value_kind:     hidden_remainder_z
      - .offset:         88
        .size:           8
        .value_kind:     hidden_global_offset_x
      - .offset:         96
        .size:           8
        .value_kind:     hidden_global_offset_y
      - .offset:         104
        .size:           8
        .value_kind:     hidden_global_offset_z
      - .offset:         112
        .size:           2
        .value_kind:     hidden_grid_dims
      - .offset:         168
        .size:           4
        .value_kind:     hidden_dynamic_lds_size
    .group_segment_fixed_size: 32
    .kernarg_segment_align: 8
    .kernarg_segment_size: 304
    .language:       OpenCL C
    .language_version:
      - 2
      - 0
    .max_flat_workgroup_size: 1024
    .name:           _ZN4vllm32paged_attention_v2_reduce_kernelIfLi64ELi128ELi512EEEvPT_PKfS4_PKS1_PKii
    .private_segment_fixed_size: 0
    .sgpr_count:     32
    .sgpr_spill_count: 0
    .symbol:         _ZN4vllm32paged_attention_v2_reduce_kernelIfLi64ELi128ELi512EEEvPT_PKfS4_PKS1_PKii.kd
    .uniform_work_group_size: 1
    .uses_dynamic_stack: false
    .vgpr_count:     19
    .vgpr_spill_count: 0
    .wavefront_size: 32
    .workgroup_processor_mode: 1
  - .args:
      - .actual_access:  write_only
        .address_space:  global
        .offset:         0
        .size:           8
        .value_kind:     global_buffer
      - .actual_access:  write_only
        .address_space:  global
        .offset:         8
        .size:           8
        .value_kind:     global_buffer
      - .actual_access:  write_only
        .address_space:  global
        .offset:         16
        .size:           8
        .value_kind:     global_buffer
      - .actual_access:  read_only
        .address_space:  global
        .offset:         24
        .size:           8
        .value_kind:     global_buffer
      - .actual_access:  read_only
        .address_space:  global
        .offset:         32
        .size:           8
        .value_kind:     global_buffer
      - .actual_access:  read_only
        .address_space:  global
        .offset:         40
        .size:           8
        .value_kind:     global_buffer
      - .offset:         48
        .size:           4
        .value_kind:     by_value
      - .offset:         52
        .size:           4
        .value_kind:     by_value
      - .actual_access:  read_only
        .address_space:  global
        .offset:         56
        .size:           8
        .value_kind:     global_buffer
      - .actual_access:  read_only
        .address_space:  global
        .offset:         64
        .size:           8
        .value_kind:     global_buffer
      - .offset:         72
        .size:           4
        .value_kind:     by_value
      - .actual_access:  read_only
        .address_space:  global
        .offset:         80
        .size:           8
        .value_kind:     global_buffer
      - .offset:         88
        .size:           4
        .value_kind:     by_value
      - .offset:         92
        .size:           4
        .value_kind:     by_value
      - .offset:         96
        .size:           4
        .value_kind:     by_value
      - .address_space:  global
        .offset:         104
        .size:           8
        .value_kind:     global_buffer
      - .address_space:  global
        .offset:         112
        .size:           8
        .value_kind:     global_buffer
      - .offset:         120
        .size:           4
        .value_kind:     by_value
      - .offset:         124
        .size:           4
        .value_kind:     by_value
      - .offset:         128
        .size:           4
        .value_kind:     by_value
      - .offset:         132
        .size:           4
        .value_kind:     by_value
      - .offset:         136
        .size:           4
        .value_kind:     by_value
      - .offset:         144
        .size:           4
        .value_kind:     hidden_block_count_x
      - .offset:         148
        .size:           4
        .value_kind:     hidden_block_count_y
      - .offset:         152
        .size:           4
        .value_kind:     hidden_block_count_z
      - .offset:         156
        .size:           2
        .value_kind:     hidden_group_size_x
      - .offset:         158
        .size:           2
        .value_kind:     hidden_group_size_y
      - .offset:         160
        .size:           2
        .value_kind:     hidden_group_size_z
      - .offset:         162
        .size:           2
        .value_kind:     hidden_remainder_x
      - .offset:         164
        .size:           2
        .value_kind:     hidden_remainder_y
      - .offset:         166
        .size:           2
        .value_kind:     hidden_remainder_z
      - .offset:         184
        .size:           8
        .value_kind:     hidden_global_offset_x
      - .offset:         192
        .size:           8
        .value_kind:     hidden_global_offset_y
      - .offset:         200
        .size:           8
        .value_kind:     hidden_global_offset_z
      - .offset:         208
        .size:           2
        .value_kind:     hidden_grid_dims
      - .offset:         264
        .size:           4
        .value_kind:     hidden_dynamic_lds_size
    .group_segment_fixed_size: 352
    .kernarg_segment_align: 8
    .kernarg_segment_size: 400
    .language:       OpenCL C
    .language_version:
      - 2
      - 0
    .max_flat_workgroup_size: 1024
    .name:           _ZN4vllm25paged_attention_v2_kernelIffLi80ELi8ELi128ELNS_18Fp8KVCacheDataTypeE0ELb1ELi512EEEvPfS2_PT_PKS3_PKT0_S9_ifPKiSB_iPKfiiiSD_SD_iiiii
    .private_segment_fixed_size: 0
    .sgpr_count:     48
    .sgpr_spill_count: 0
    .symbol:         _ZN4vllm25paged_attention_v2_kernelIffLi80ELi8ELi128ELNS_18Fp8KVCacheDataTypeE0ELb1ELi512EEEvPfS2_PT_PKS3_PKT0_S9_ifPKiSB_iPKfiiiSD_SD_iiiii.kd
    .uniform_work_group_size: 1
    .uses_dynamic_stack: false
    .vgpr_count:     50
    .vgpr_spill_count: 0
    .wavefront_size: 32
    .workgroup_processor_mode: 1
  - .args:
      - .actual_access:  write_only
        .address_space:  global
        .offset:         0
        .size:           8
        .value_kind:     global_buffer
      - .actual_access:  read_only
        .address_space:  global
        .offset:         8
        .size:           8
        .value_kind:     global_buffer
      - .actual_access:  read_only
        .address_space:  global
        .offset:         16
        .size:           8
        .value_kind:     global_buffer
      - .actual_access:  read_only
        .address_space:  global
        .offset:         24
        .size:           8
        .value_kind:     global_buffer
      - .actual_access:  read_only
        .address_space:  global
        .offset:         32
        .size:           8
        .value_kind:     global_buffer
      - .offset:         40
        .size:           4
        .value_kind:     by_value
      - .offset:         48
        .size:           4
        .value_kind:     hidden_block_count_x
      - .offset:         52
        .size:           4
        .value_kind:     hidden_block_count_y
      - .offset:         56
        .size:           4
        .value_kind:     hidden_block_count_z
      - .offset:         60
        .size:           2
        .value_kind:     hidden_group_size_x
      - .offset:         62
        .size:           2
        .value_kind:     hidden_group_size_y
      - .offset:         64
        .size:           2
        .value_kind:     hidden_group_size_z
      - .offset:         66
        .size:           2
        .value_kind:     hidden_remainder_x
      - .offset:         68
        .size:           2
        .value_kind:     hidden_remainder_y
      - .offset:         70
        .size:           2
        .value_kind:     hidden_remainder_z
      - .offset:         88
        .size:           8
        .value_kind:     hidden_global_offset_x
      - .offset:         96
        .size:           8
        .value_kind:     hidden_global_offset_y
      - .offset:         104
        .size:           8
        .value_kind:     hidden_global_offset_z
      - .offset:         112
        .size:           2
        .value_kind:     hidden_grid_dims
      - .offset:         168
        .size:           4
        .value_kind:     hidden_dynamic_lds_size
    .group_segment_fixed_size: 32
    .kernarg_segment_align: 8
    .kernarg_segment_size: 304
    .language:       OpenCL C
    .language_version:
      - 2
      - 0
    .max_flat_workgroup_size: 1024
    .name:           _ZN4vllm32paged_attention_v2_reduce_kernelIfLi80ELi128ELi512EEEvPT_PKfS4_PKS1_PKii
    .private_segment_fixed_size: 0
    .sgpr_count:     32
    .sgpr_spill_count: 0
    .symbol:         _ZN4vllm32paged_attention_v2_reduce_kernelIfLi80ELi128ELi512EEEvPT_PKfS4_PKS1_PKii.kd
    .uniform_work_group_size: 1
    .uses_dynamic_stack: false
    .vgpr_count:     19
    .vgpr_spill_count: 0
    .wavefront_size: 32
    .workgroup_processor_mode: 1
  - .args:
      - .actual_access:  write_only
        .address_space:  global
        .offset:         0
        .size:           8
        .value_kind:     global_buffer
      - .actual_access:  write_only
        .address_space:  global
        .offset:         8
        .size:           8
        .value_kind:     global_buffer
      - .actual_access:  write_only
        .address_space:  global
        .offset:         16
        .size:           8
        .value_kind:     global_buffer
      - .actual_access:  read_only
        .address_space:  global
        .offset:         24
        .size:           8
        .value_kind:     global_buffer
      - .actual_access:  read_only
        .address_space:  global
        .offset:         32
        .size:           8
        .value_kind:     global_buffer
      - .actual_access:  read_only
        .address_space:  global
        .offset:         40
        .size:           8
        .value_kind:     global_buffer
      - .offset:         48
        .size:           4
        .value_kind:     by_value
      - .offset:         52
        .size:           4
        .value_kind:     by_value
      - .actual_access:  read_only
        .address_space:  global
        .offset:         56
        .size:           8
        .value_kind:     global_buffer
      - .actual_access:  read_only
        .address_space:  global
        .offset:         64
        .size:           8
        .value_kind:     global_buffer
      - .offset:         72
        .size:           4
        .value_kind:     by_value
      - .actual_access:  read_only
        .address_space:  global
        .offset:         80
        .size:           8
        .value_kind:     global_buffer
      - .offset:         88
        .size:           4
        .value_kind:     by_value
      - .offset:         92
        .size:           4
        .value_kind:     by_value
      - .offset:         96
        .size:           4
        .value_kind:     by_value
      - .address_space:  global
        .offset:         104
        .size:           8
        .value_kind:     global_buffer
      - .address_space:  global
        .offset:         112
        .size:           8
        .value_kind:     global_buffer
      - .offset:         120
        .size:           4
        .value_kind:     by_value
      - .offset:         124
        .size:           4
        .value_kind:     by_value
      - .offset:         128
        .size:           4
        .value_kind:     by_value
      - .offset:         132
        .size:           4
        .value_kind:     by_value
      - .offset:         136
        .size:           4
        .value_kind:     by_value
      - .offset:         144
        .size:           4
        .value_kind:     hidden_block_count_x
      - .offset:         148
        .size:           4
        .value_kind:     hidden_block_count_y
      - .offset:         152
        .size:           4
        .value_kind:     hidden_block_count_z
      - .offset:         156
        .size:           2
        .value_kind:     hidden_group_size_x
      - .offset:         158
        .size:           2
        .value_kind:     hidden_group_size_y
      - .offset:         160
        .size:           2
        .value_kind:     hidden_group_size_z
      - .offset:         162
        .size:           2
        .value_kind:     hidden_remainder_x
      - .offset:         164
        .size:           2
        .value_kind:     hidden_remainder_y
      - .offset:         166
        .size:           2
        .value_kind:     hidden_remainder_z
      - .offset:         184
        .size:           8
        .value_kind:     hidden_global_offset_x
      - .offset:         192
        .size:           8
        .value_kind:     hidden_global_offset_y
      - .offset:         200
        .size:           8
        .value_kind:     hidden_global_offset_z
      - .offset:         208
        .size:           2
        .value_kind:     hidden_grid_dims
      - .offset:         264
        .size:           4
        .value_kind:     hidden_dynamic_lds_size
    .group_segment_fixed_size: 416
    .kernarg_segment_align: 8
    .kernarg_segment_size: 400
    .language:       OpenCL C
    .language_version:
      - 2
      - 0
    .max_flat_workgroup_size: 1024
    .name:           _ZN4vllm25paged_attention_v2_kernelIffLi96ELi8ELi128ELNS_18Fp8KVCacheDataTypeE0ELb1ELi512EEEvPfS2_PT_PKS3_PKT0_S9_ifPKiSB_iPKfiiiSD_SD_iiiii
    .private_segment_fixed_size: 0
    .sgpr_count:     48
    .sgpr_spill_count: 0
    .symbol:         _ZN4vllm25paged_attention_v2_kernelIffLi96ELi8ELi128ELNS_18Fp8KVCacheDataTypeE0ELb1ELi512EEEvPfS2_PT_PKS3_PKT0_S9_ifPKiSB_iPKfiiiSD_SD_iiiii.kd
    .uniform_work_group_size: 1
    .uses_dynamic_stack: false
    .vgpr_count:     54
    .vgpr_spill_count: 0
    .wavefront_size: 32
    .workgroup_processor_mode: 1
  - .args:
      - .actual_access:  write_only
        .address_space:  global
        .offset:         0
        .size:           8
        .value_kind:     global_buffer
      - .actual_access:  read_only
        .address_space:  global
        .offset:         8
        .size:           8
        .value_kind:     global_buffer
      - .actual_access:  read_only
        .address_space:  global
        .offset:         16
        .size:           8
        .value_kind:     global_buffer
      - .actual_access:  read_only
        .address_space:  global
        .offset:         24
        .size:           8
        .value_kind:     global_buffer
      - .actual_access:  read_only
        .address_space:  global
        .offset:         32
        .size:           8
        .value_kind:     global_buffer
      - .offset:         40
        .size:           4
        .value_kind:     by_value
      - .offset:         48
        .size:           4
        .value_kind:     hidden_block_count_x
      - .offset:         52
        .size:           4
        .value_kind:     hidden_block_count_y
      - .offset:         56
        .size:           4
        .value_kind:     hidden_block_count_z
      - .offset:         60
        .size:           2
        .value_kind:     hidden_group_size_x
      - .offset:         62
        .size:           2
        .value_kind:     hidden_group_size_y
      - .offset:         64
        .size:           2
        .value_kind:     hidden_group_size_z
      - .offset:         66
        .size:           2
        .value_kind:     hidden_remainder_x
      - .offset:         68
        .size:           2
        .value_kind:     hidden_remainder_y
      - .offset:         70
        .size:           2
        .value_kind:     hidden_remainder_z
      - .offset:         88
        .size:           8
        .value_kind:     hidden_global_offset_x
      - .offset:         96
        .size:           8
        .value_kind:     hidden_global_offset_y
      - .offset:         104
        .size:           8
        .value_kind:     hidden_global_offset_z
      - .offset:         112
        .size:           2
        .value_kind:     hidden_grid_dims
      - .offset:         168
        .size:           4
        .value_kind:     hidden_dynamic_lds_size
    .group_segment_fixed_size: 32
    .kernarg_segment_align: 8
    .kernarg_segment_size: 304
    .language:       OpenCL C
    .language_version:
      - 2
      - 0
    .max_flat_workgroup_size: 1024
    .name:           _ZN4vllm32paged_attention_v2_reduce_kernelIfLi96ELi128ELi512EEEvPT_PKfS4_PKS1_PKii
    .private_segment_fixed_size: 0
    .sgpr_count:     32
    .sgpr_spill_count: 0
    .symbol:         _ZN4vllm32paged_attention_v2_reduce_kernelIfLi96ELi128ELi512EEEvPT_PKfS4_PKS1_PKii.kd
    .uniform_work_group_size: 1
    .uses_dynamic_stack: false
    .vgpr_count:     19
    .vgpr_spill_count: 0
    .wavefront_size: 32
    .workgroup_processor_mode: 1
  - .args:
      - .actual_access:  write_only
        .address_space:  global
        .offset:         0
        .size:           8
        .value_kind:     global_buffer
      - .actual_access:  write_only
        .address_space:  global
        .offset:         8
        .size:           8
        .value_kind:     global_buffer
      - .actual_access:  write_only
        .address_space:  global
        .offset:         16
        .size:           8
        .value_kind:     global_buffer
      - .actual_access:  read_only
        .address_space:  global
        .offset:         24
        .size:           8
        .value_kind:     global_buffer
      - .actual_access:  read_only
        .address_space:  global
        .offset:         32
        .size:           8
        .value_kind:     global_buffer
      - .actual_access:  read_only
        .address_space:  global
        .offset:         40
        .size:           8
        .value_kind:     global_buffer
      - .offset:         48
        .size:           4
        .value_kind:     by_value
      - .offset:         52
        .size:           4
        .value_kind:     by_value
      - .actual_access:  read_only
        .address_space:  global
        .offset:         56
        .size:           8
        .value_kind:     global_buffer
      - .actual_access:  read_only
        .address_space:  global
        .offset:         64
        .size:           8
        .value_kind:     global_buffer
      - .offset:         72
        .size:           4
        .value_kind:     by_value
      - .actual_access:  read_only
        .address_space:  global
        .offset:         80
        .size:           8
        .value_kind:     global_buffer
      - .offset:         88
        .size:           4
        .value_kind:     by_value
      - .offset:         92
        .size:           4
        .value_kind:     by_value
      - .offset:         96
        .size:           4
        .value_kind:     by_value
      - .address_space:  global
        .offset:         104
        .size:           8
        .value_kind:     global_buffer
      - .address_space:  global
        .offset:         112
        .size:           8
        .value_kind:     global_buffer
      - .offset:         120
        .size:           4
        .value_kind:     by_value
      - .offset:         124
        .size:           4
        .value_kind:     by_value
      - .offset:         128
        .size:           4
        .value_kind:     by_value
      - .offset:         132
        .size:           4
        .value_kind:     by_value
      - .offset:         136
        .size:           4
        .value_kind:     by_value
      - .offset:         144
        .size:           4
        .value_kind:     hidden_block_count_x
      - .offset:         148
        .size:           4
        .value_kind:     hidden_block_count_y
      - .offset:         152
        .size:           4
        .value_kind:     hidden_block_count_z
      - .offset:         156
        .size:           2
        .value_kind:     hidden_group_size_x
      - .offset:         158
        .size:           2
        .value_kind:     hidden_group_size_y
      - .offset:         160
        .size:           2
        .value_kind:     hidden_group_size_z
      - .offset:         162
        .size:           2
        .value_kind:     hidden_remainder_x
      - .offset:         164
        .size:           2
        .value_kind:     hidden_remainder_y
      - .offset:         166
        .size:           2
        .value_kind:     hidden_remainder_z
      - .offset:         184
        .size:           8
        .value_kind:     hidden_global_offset_x
      - .offset:         192
        .size:           8
        .value_kind:     hidden_global_offset_y
      - .offset:         200
        .size:           8
        .value_kind:     hidden_global_offset_z
      - .offset:         208
        .size:           2
        .value_kind:     hidden_grid_dims
      - .offset:         264
        .size:           4
        .value_kind:     hidden_dynamic_lds_size
    .group_segment_fixed_size: 480
    .kernarg_segment_align: 8
    .kernarg_segment_size: 400
    .language:       OpenCL C
    .language_version:
      - 2
      - 0
    .max_flat_workgroup_size: 1024
    .name:           _ZN4vllm25paged_attention_v2_kernelIffLi112ELi8ELi128ELNS_18Fp8KVCacheDataTypeE0ELb1ELi512EEEvPfS2_PT_PKS3_PKT0_S9_ifPKiSB_iPKfiiiSD_SD_iiiii
    .private_segment_fixed_size: 0
    .sgpr_count:     48
    .sgpr_spill_count: 0
    .symbol:         _ZN4vllm25paged_attention_v2_kernelIffLi112ELi8ELi128ELNS_18Fp8KVCacheDataTypeE0ELb1ELi512EEEvPfS2_PT_PKS3_PKT0_S9_ifPKiSB_iPKfiiiSD_SD_iiiii.kd
    .uniform_work_group_size: 1
    .uses_dynamic_stack: false
    .vgpr_count:     58
    .vgpr_spill_count: 0
    .wavefront_size: 32
    .workgroup_processor_mode: 1
  - .args:
      - .actual_access:  write_only
        .address_space:  global
        .offset:         0
        .size:           8
        .value_kind:     global_buffer
      - .actual_access:  read_only
        .address_space:  global
        .offset:         8
        .size:           8
        .value_kind:     global_buffer
      - .actual_access:  read_only
        .address_space:  global
        .offset:         16
        .size:           8
        .value_kind:     global_buffer
      - .actual_access:  read_only
        .address_space:  global
        .offset:         24
        .size:           8
        .value_kind:     global_buffer
      - .actual_access:  read_only
        .address_space:  global
        .offset:         32
        .size:           8
        .value_kind:     global_buffer
      - .offset:         40
        .size:           4
        .value_kind:     by_value
      - .offset:         48
        .size:           4
        .value_kind:     hidden_block_count_x
      - .offset:         52
        .size:           4
        .value_kind:     hidden_block_count_y
      - .offset:         56
        .size:           4
        .value_kind:     hidden_block_count_z
      - .offset:         60
        .size:           2
        .value_kind:     hidden_group_size_x
      - .offset:         62
        .size:           2
        .value_kind:     hidden_group_size_y
      - .offset:         64
        .size:           2
        .value_kind:     hidden_group_size_z
      - .offset:         66
        .size:           2
        .value_kind:     hidden_remainder_x
      - .offset:         68
        .size:           2
        .value_kind:     hidden_remainder_y
      - .offset:         70
        .size:           2
        .value_kind:     hidden_remainder_z
      - .offset:         88
        .size:           8
        .value_kind:     hidden_global_offset_x
      - .offset:         96
        .size:           8
        .value_kind:     hidden_global_offset_y
      - .offset:         104
        .size:           8
        .value_kind:     hidden_global_offset_z
      - .offset:         112
        .size:           2
        .value_kind:     hidden_grid_dims
      - .offset:         168
        .size:           4
        .value_kind:     hidden_dynamic_lds_size
    .group_segment_fixed_size: 32
    .kernarg_segment_align: 8
    .kernarg_segment_size: 304
    .language:       OpenCL C
    .language_version:
      - 2
      - 0
    .max_flat_workgroup_size: 1024
    .name:           _ZN4vllm32paged_attention_v2_reduce_kernelIfLi112ELi128ELi512EEEvPT_PKfS4_PKS1_PKii
    .private_segment_fixed_size: 0
    .sgpr_count:     32
    .sgpr_spill_count: 0
    .symbol:         _ZN4vllm32paged_attention_v2_reduce_kernelIfLi112ELi128ELi512EEEvPT_PKfS4_PKS1_PKii.kd
    .uniform_work_group_size: 1
    .uses_dynamic_stack: false
    .vgpr_count:     19
    .vgpr_spill_count: 0
    .wavefront_size: 32
    .workgroup_processor_mode: 1
  - .args:
      - .actual_access:  write_only
        .address_space:  global
        .offset:         0
        .size:           8
        .value_kind:     global_buffer
      - .actual_access:  write_only
        .address_space:  global
        .offset:         8
        .size:           8
        .value_kind:     global_buffer
      - .actual_access:  write_only
        .address_space:  global
        .offset:         16
        .size:           8
        .value_kind:     global_buffer
      - .actual_access:  read_only
        .address_space:  global
        .offset:         24
        .size:           8
        .value_kind:     global_buffer
      - .actual_access:  read_only
        .address_space:  global
        .offset:         32
        .size:           8
        .value_kind:     global_buffer
      - .actual_access:  read_only
        .address_space:  global
        .offset:         40
        .size:           8
        .value_kind:     global_buffer
      - .offset:         48
        .size:           4
        .value_kind:     by_value
      - .offset:         52
        .size:           4
        .value_kind:     by_value
      - .actual_access:  read_only
        .address_space:  global
        .offset:         56
        .size:           8
        .value_kind:     global_buffer
      - .actual_access:  read_only
        .address_space:  global
        .offset:         64
        .size:           8
        .value_kind:     global_buffer
      - .offset:         72
        .size:           4
        .value_kind:     by_value
      - .actual_access:  read_only
        .address_space:  global
        .offset:         80
        .size:           8
        .value_kind:     global_buffer
      - .offset:         88
        .size:           4
        .value_kind:     by_value
      - .offset:         92
        .size:           4
        .value_kind:     by_value
      - .offset:         96
        .size:           4
        .value_kind:     by_value
      - .address_space:  global
        .offset:         104
        .size:           8
        .value_kind:     global_buffer
      - .address_space:  global
        .offset:         112
        .size:           8
        .value_kind:     global_buffer
      - .offset:         120
        .size:           4
        .value_kind:     by_value
      - .offset:         124
        .size:           4
        .value_kind:     by_value
      - .offset:         128
        .size:           4
        .value_kind:     by_value
      - .offset:         132
        .size:           4
        .value_kind:     by_value
      - .offset:         136
        .size:           4
        .value_kind:     by_value
      - .offset:         144
        .size:           4
        .value_kind:     hidden_block_count_x
      - .offset:         148
        .size:           4
        .value_kind:     hidden_block_count_y
      - .offset:         152
        .size:           4
        .value_kind:     hidden_block_count_z
      - .offset:         156
        .size:           2
        .value_kind:     hidden_group_size_x
      - .offset:         158
        .size:           2
        .value_kind:     hidden_group_size_y
      - .offset:         160
        .size:           2
        .value_kind:     hidden_group_size_z
      - .offset:         162
        .size:           2
        .value_kind:     hidden_remainder_x
      - .offset:         164
        .size:           2
        .value_kind:     hidden_remainder_y
      - .offset:         166
        .size:           2
        .value_kind:     hidden_remainder_z
      - .offset:         184
        .size:           8
        .value_kind:     hidden_global_offset_x
      - .offset:         192
        .size:           8
        .value_kind:     hidden_global_offset_y
      - .offset:         200
        .size:           8
        .value_kind:     hidden_global_offset_z
      - .offset:         208
        .size:           2
        .value_kind:     hidden_grid_dims
      - .offset:         264
        .size:           4
        .value_kind:     hidden_dynamic_lds_size
    .group_segment_fixed_size: 512
    .kernarg_segment_align: 8
    .kernarg_segment_size: 400
    .language:       OpenCL C
    .language_version:
      - 2
      - 0
    .max_flat_workgroup_size: 1024
    .name:           _ZN4vllm25paged_attention_v2_kernelIffLi120ELi8ELi128ELNS_18Fp8KVCacheDataTypeE0ELb1ELi512EEEvPfS2_PT_PKS3_PKT0_S9_ifPKiSB_iPKfiiiSD_SD_iiiii
    .private_segment_fixed_size: 0
    .sgpr_count:     48
    .sgpr_spill_count: 0
    .symbol:         _ZN4vllm25paged_attention_v2_kernelIffLi120ELi8ELi128ELNS_18Fp8KVCacheDataTypeE0ELb1ELi512EEEvPfS2_PT_PKS3_PKT0_S9_ifPKiSB_iPKfiiiSD_SD_iiiii.kd
    .uniform_work_group_size: 1
    .uses_dynamic_stack: false
    .vgpr_count:     61
    .vgpr_spill_count: 0
    .wavefront_size: 32
    .workgroup_processor_mode: 1
  - .args:
      - .actual_access:  write_only
        .address_space:  global
        .offset:         0
        .size:           8
        .value_kind:     global_buffer
      - .actual_access:  read_only
        .address_space:  global
        .offset:         8
        .size:           8
        .value_kind:     global_buffer
      - .actual_access:  read_only
        .address_space:  global
        .offset:         16
        .size:           8
        .value_kind:     global_buffer
      - .actual_access:  read_only
        .address_space:  global
        .offset:         24
        .size:           8
        .value_kind:     global_buffer
      - .actual_access:  read_only
        .address_space:  global
        .offset:         32
        .size:           8
        .value_kind:     global_buffer
      - .offset:         40
        .size:           4
        .value_kind:     by_value
      - .offset:         48
        .size:           4
        .value_kind:     hidden_block_count_x
      - .offset:         52
        .size:           4
        .value_kind:     hidden_block_count_y
      - .offset:         56
        .size:           4
        .value_kind:     hidden_block_count_z
      - .offset:         60
        .size:           2
        .value_kind:     hidden_group_size_x
      - .offset:         62
        .size:           2
        .value_kind:     hidden_group_size_y
      - .offset:         64
        .size:           2
        .value_kind:     hidden_group_size_z
      - .offset:         66
        .size:           2
        .value_kind:     hidden_remainder_x
      - .offset:         68
        .size:           2
        .value_kind:     hidden_remainder_y
      - .offset:         70
        .size:           2
        .value_kind:     hidden_remainder_z
      - .offset:         88
        .size:           8
        .value_kind:     hidden_global_offset_x
      - .offset:         96
        .size:           8
        .value_kind:     hidden_global_offset_y
      - .offset:         104
        .size:           8
        .value_kind:     hidden_global_offset_z
      - .offset:         112
        .size:           2
        .value_kind:     hidden_grid_dims
      - .offset:         168
        .size:           4
        .value_kind:     hidden_dynamic_lds_size
    .group_segment_fixed_size: 32
    .kernarg_segment_align: 8
    .kernarg_segment_size: 304
    .language:       OpenCL C
    .language_version:
      - 2
      - 0
    .max_flat_workgroup_size: 1024
    .name:           _ZN4vllm32paged_attention_v2_reduce_kernelIfLi120ELi128ELi512EEEvPT_PKfS4_PKS1_PKii
    .private_segment_fixed_size: 0
    .sgpr_count:     32
    .sgpr_spill_count: 0
    .symbol:         _ZN4vllm32paged_attention_v2_reduce_kernelIfLi120ELi128ELi512EEEvPT_PKfS4_PKS1_PKii.kd
    .uniform_work_group_size: 1
    .uses_dynamic_stack: false
    .vgpr_count:     19
    .vgpr_spill_count: 0
    .wavefront_size: 32
    .workgroup_processor_mode: 1
  - .args:
      - .actual_access:  write_only
        .address_space:  global
        .offset:         0
        .size:           8
        .value_kind:     global_buffer
      - .actual_access:  write_only
        .address_space:  global
        .offset:         8
        .size:           8
        .value_kind:     global_buffer
      - .actual_access:  write_only
        .address_space:  global
        .offset:         16
        .size:           8
        .value_kind:     global_buffer
      - .actual_access:  read_only
        .address_space:  global
        .offset:         24
        .size:           8
        .value_kind:     global_buffer
      - .actual_access:  read_only
        .address_space:  global
        .offset:         32
        .size:           8
        .value_kind:     global_buffer
      - .actual_access:  read_only
        .address_space:  global
        .offset:         40
        .size:           8
        .value_kind:     global_buffer
      - .offset:         48
        .size:           4
        .value_kind:     by_value
      - .offset:         52
        .size:           4
        .value_kind:     by_value
      - .actual_access:  read_only
        .address_space:  global
        .offset:         56
        .size:           8
        .value_kind:     global_buffer
      - .actual_access:  read_only
        .address_space:  global
        .offset:         64
        .size:           8
        .value_kind:     global_buffer
      - .offset:         72
        .size:           4
        .value_kind:     by_value
      - .actual_access:  read_only
        .address_space:  global
        .offset:         80
        .size:           8
        .value_kind:     global_buffer
      - .offset:         88
        .size:           4
        .value_kind:     by_value
      - .offset:         92
        .size:           4
        .value_kind:     by_value
      - .offset:         96
        .size:           4
        .value_kind:     by_value
      - .address_space:  global
        .offset:         104
        .size:           8
        .value_kind:     global_buffer
      - .address_space:  global
        .offset:         112
        .size:           8
        .value_kind:     global_buffer
      - .offset:         120
        .size:           4
        .value_kind:     by_value
      - .offset:         124
        .size:           4
        .value_kind:     by_value
      - .offset:         128
        .size:           4
        .value_kind:     by_value
      - .offset:         132
        .size:           4
        .value_kind:     by_value
      - .offset:         136
        .size:           4
        .value_kind:     by_value
      - .offset:         144
        .size:           4
        .value_kind:     hidden_block_count_x
      - .offset:         148
        .size:           4
        .value_kind:     hidden_block_count_y
      - .offset:         152
        .size:           4
        .value_kind:     hidden_block_count_z
      - .offset:         156
        .size:           2
        .value_kind:     hidden_group_size_x
      - .offset:         158
        .size:           2
        .value_kind:     hidden_group_size_y
      - .offset:         160
        .size:           2
        .value_kind:     hidden_group_size_z
      - .offset:         162
        .size:           2
        .value_kind:     hidden_remainder_x
      - .offset:         164
        .size:           2
        .value_kind:     hidden_remainder_y
      - .offset:         166
        .size:           2
        .value_kind:     hidden_remainder_z
      - .offset:         184
        .size:           8
        .value_kind:     hidden_global_offset_x
      - .offset:         192
        .size:           8
        .value_kind:     hidden_global_offset_y
      - .offset:         200
        .size:           8
        .value_kind:     hidden_global_offset_z
      - .offset:         208
        .size:           2
        .value_kind:     hidden_grid_dims
      - .offset:         264
        .size:           4
        .value_kind:     hidden_dynamic_lds_size
    .group_segment_fixed_size: 544
    .kernarg_segment_align: 8
    .kernarg_segment_size: 400
    .language:       OpenCL C
    .language_version:
      - 2
      - 0
    .max_flat_workgroup_size: 1024
    .name:           _ZN4vllm25paged_attention_v2_kernelIffLi128ELi8ELi128ELNS_18Fp8KVCacheDataTypeE0ELb1ELi512EEEvPfS2_PT_PKS3_PKT0_S9_ifPKiSB_iPKfiiiSD_SD_iiiii
    .private_segment_fixed_size: 0
    .sgpr_count:     48
    .sgpr_spill_count: 0
    .symbol:         _ZN4vllm25paged_attention_v2_kernelIffLi128ELi8ELi128ELNS_18Fp8KVCacheDataTypeE0ELb1ELi512EEEvPfS2_PT_PKS3_PKT0_S9_ifPKiSB_iPKfiiiSD_SD_iiiii.kd
    .uniform_work_group_size: 1
    .uses_dynamic_stack: false
    .vgpr_count:     62
    .vgpr_spill_count: 0
    .wavefront_size: 32
    .workgroup_processor_mode: 1
  - .args:
      - .actual_access:  write_only
        .address_space:  global
        .offset:         0
        .size:           8
        .value_kind:     global_buffer
      - .actual_access:  read_only
        .address_space:  global
        .offset:         8
        .size:           8
        .value_kind:     global_buffer
      - .actual_access:  read_only
        .address_space:  global
        .offset:         16
        .size:           8
        .value_kind:     global_buffer
      - .actual_access:  read_only
        .address_space:  global
        .offset:         24
        .size:           8
        .value_kind:     global_buffer
      - .actual_access:  read_only
        .address_space:  global
        .offset:         32
        .size:           8
        .value_kind:     global_buffer
      - .offset:         40
        .size:           4
        .value_kind:     by_value
      - .offset:         48
        .size:           4
        .value_kind:     hidden_block_count_x
      - .offset:         52
        .size:           4
        .value_kind:     hidden_block_count_y
      - .offset:         56
        .size:           4
        .value_kind:     hidden_block_count_z
      - .offset:         60
        .size:           2
        .value_kind:     hidden_group_size_x
      - .offset:         62
        .size:           2
        .value_kind:     hidden_group_size_y
      - .offset:         64
        .size:           2
        .value_kind:     hidden_group_size_z
      - .offset:         66
        .size:           2
        .value_kind:     hidden_remainder_x
      - .offset:         68
        .size:           2
        .value_kind:     hidden_remainder_y
      - .offset:         70
        .size:           2
        .value_kind:     hidden_remainder_z
      - .offset:         88
        .size:           8
        .value_kind:     hidden_global_offset_x
      - .offset:         96
        .size:           8
        .value_kind:     hidden_global_offset_y
      - .offset:         104
        .size:           8
        .value_kind:     hidden_global_offset_z
      - .offset:         112
        .size:           2
        .value_kind:     hidden_grid_dims
      - .offset:         168
        .size:           4
        .value_kind:     hidden_dynamic_lds_size
    .group_segment_fixed_size: 32
    .kernarg_segment_align: 8
    .kernarg_segment_size: 304
    .language:       OpenCL C
    .language_version:
      - 2
      - 0
    .max_flat_workgroup_size: 1024
    .name:           _ZN4vllm32paged_attention_v2_reduce_kernelIfLi128ELi128ELi512EEEvPT_PKfS4_PKS1_PKii
    .private_segment_fixed_size: 0
    .sgpr_count:     32
    .sgpr_spill_count: 0
    .symbol:         _ZN4vllm32paged_attention_v2_reduce_kernelIfLi128ELi128ELi512EEEvPT_PKfS4_PKS1_PKii.kd
    .uniform_work_group_size: 1
    .uses_dynamic_stack: false
    .vgpr_count:     19
    .vgpr_spill_count: 0
    .wavefront_size: 32
    .workgroup_processor_mode: 1
  - .args:
      - .actual_access:  write_only
        .address_space:  global
        .offset:         0
        .size:           8
        .value_kind:     global_buffer
      - .actual_access:  write_only
        .address_space:  global
        .offset:         8
        .size:           8
        .value_kind:     global_buffer
      - .actual_access:  write_only
        .address_space:  global
        .offset:         16
        .size:           8
        .value_kind:     global_buffer
      - .actual_access:  read_only
        .address_space:  global
        .offset:         24
        .size:           8
        .value_kind:     global_buffer
      - .actual_access:  read_only
        .address_space:  global
        .offset:         32
        .size:           8
        .value_kind:     global_buffer
      - .actual_access:  read_only
        .address_space:  global
        .offset:         40
        .size:           8
        .value_kind:     global_buffer
      - .offset:         48
        .size:           4
        .value_kind:     by_value
      - .offset:         52
        .size:           4
        .value_kind:     by_value
      - .actual_access:  read_only
        .address_space:  global
        .offset:         56
        .size:           8
        .value_kind:     global_buffer
      - .actual_access:  read_only
        .address_space:  global
        .offset:         64
        .size:           8
        .value_kind:     global_buffer
      - .offset:         72
        .size:           4
        .value_kind:     by_value
      - .actual_access:  read_only
        .address_space:  global
        .offset:         80
        .size:           8
        .value_kind:     global_buffer
      - .offset:         88
        .size:           4
        .value_kind:     by_value
      - .offset:         92
        .size:           4
        .value_kind:     by_value
      - .offset:         96
        .size:           4
        .value_kind:     by_value
      - .address_space:  global
        .offset:         104
        .size:           8
        .value_kind:     global_buffer
      - .address_space:  global
        .offset:         112
        .size:           8
        .value_kind:     global_buffer
      - .offset:         120
        .size:           4
        .value_kind:     by_value
      - .offset:         124
        .size:           4
        .value_kind:     by_value
      - .offset:         128
        .size:           4
        .value_kind:     by_value
      - .offset:         132
        .size:           4
        .value_kind:     by_value
      - .offset:         136
        .size:           4
        .value_kind:     by_value
      - .offset:         144
        .size:           4
        .value_kind:     hidden_block_count_x
      - .offset:         148
        .size:           4
        .value_kind:     hidden_block_count_y
      - .offset:         152
        .size:           4
        .value_kind:     hidden_block_count_z
      - .offset:         156
        .size:           2
        .value_kind:     hidden_group_size_x
      - .offset:         158
        .size:           2
        .value_kind:     hidden_group_size_y
      - .offset:         160
        .size:           2
        .value_kind:     hidden_group_size_z
      - .offset:         162
        .size:           2
        .value_kind:     hidden_remainder_x
      - .offset:         164
        .size:           2
        .value_kind:     hidden_remainder_y
      - .offset:         166
        .size:           2
        .value_kind:     hidden_remainder_z
      - .offset:         184
        .size:           8
        .value_kind:     hidden_global_offset_x
      - .offset:         192
        .size:           8
        .value_kind:     hidden_global_offset_y
      - .offset:         200
        .size:           8
        .value_kind:     hidden_global_offset_z
      - .offset:         208
        .size:           2
        .value_kind:     hidden_grid_dims
      - .offset:         264
        .size:           4
        .value_kind:     hidden_dynamic_lds_size
    .group_segment_fixed_size: 800
    .kernarg_segment_align: 8
    .kernarg_segment_size: 400
    .language:       OpenCL C
    .language_version:
      - 2
      - 0
    .max_flat_workgroup_size: 1024
    .name:           _ZN4vllm25paged_attention_v2_kernelIffLi192ELi8ELi128ELNS_18Fp8KVCacheDataTypeE0ELb1ELi512EEEvPfS2_PT_PKS3_PKT0_S9_ifPKiSB_iPKfiiiSD_SD_iiiii
    .private_segment_fixed_size: 0
    .sgpr_count:     48
    .sgpr_spill_count: 0
    .symbol:         _ZN4vllm25paged_attention_v2_kernelIffLi192ELi8ELi128ELNS_18Fp8KVCacheDataTypeE0ELb1ELi512EEEvPfS2_PT_PKS3_PKT0_S9_ifPKiSB_iPKfiiiSD_SD_iiiii.kd
    .uniform_work_group_size: 1
    .uses_dynamic_stack: false
    .vgpr_count:     82
    .vgpr_spill_count: 0
    .wavefront_size: 32
    .workgroup_processor_mode: 1
  - .args:
      - .actual_access:  write_only
        .address_space:  global
        .offset:         0
        .size:           8
        .value_kind:     global_buffer
      - .actual_access:  read_only
        .address_space:  global
        .offset:         8
        .size:           8
        .value_kind:     global_buffer
      - .actual_access:  read_only
        .address_space:  global
        .offset:         16
        .size:           8
        .value_kind:     global_buffer
      - .actual_access:  read_only
        .address_space:  global
        .offset:         24
        .size:           8
        .value_kind:     global_buffer
      - .actual_access:  read_only
        .address_space:  global
        .offset:         32
        .size:           8
        .value_kind:     global_buffer
      - .offset:         40
        .size:           4
        .value_kind:     by_value
      - .offset:         48
        .size:           4
        .value_kind:     hidden_block_count_x
      - .offset:         52
        .size:           4
        .value_kind:     hidden_block_count_y
      - .offset:         56
        .size:           4
        .value_kind:     hidden_block_count_z
      - .offset:         60
        .size:           2
        .value_kind:     hidden_group_size_x
      - .offset:         62
        .size:           2
        .value_kind:     hidden_group_size_y
      - .offset:         64
        .size:           2
        .value_kind:     hidden_group_size_z
      - .offset:         66
        .size:           2
        .value_kind:     hidden_remainder_x
      - .offset:         68
        .size:           2
        .value_kind:     hidden_remainder_y
      - .offset:         70
        .size:           2
        .value_kind:     hidden_remainder_z
      - .offset:         88
        .size:           8
        .value_kind:     hidden_global_offset_x
      - .offset:         96
        .size:           8
        .value_kind:     hidden_global_offset_y
      - .offset:         104
        .size:           8
        .value_kind:     hidden_global_offset_z
      - .offset:         112
        .size:           2
        .value_kind:     hidden_grid_dims
      - .offset:         168
        .size:           4
        .value_kind:     hidden_dynamic_lds_size
    .group_segment_fixed_size: 32
    .kernarg_segment_align: 8
    .kernarg_segment_size: 304
    .language:       OpenCL C
    .language_version:
      - 2
      - 0
    .max_flat_workgroup_size: 1024
    .name:           _ZN4vllm32paged_attention_v2_reduce_kernelIfLi192ELi128ELi512EEEvPT_PKfS4_PKS1_PKii
    .private_segment_fixed_size: 0
    .sgpr_count:     32
    .sgpr_spill_count: 0
    .symbol:         _ZN4vllm32paged_attention_v2_reduce_kernelIfLi192ELi128ELi512EEEvPT_PKfS4_PKS1_PKii.kd
    .uniform_work_group_size: 1
    .uses_dynamic_stack: false
    .vgpr_count:     19
    .vgpr_spill_count: 0
    .wavefront_size: 32
    .workgroup_processor_mode: 1
  - .args:
      - .actual_access:  write_only
        .address_space:  global
        .offset:         0
        .size:           8
        .value_kind:     global_buffer
      - .actual_access:  write_only
        .address_space:  global
        .offset:         8
        .size:           8
        .value_kind:     global_buffer
      - .actual_access:  write_only
        .address_space:  global
        .offset:         16
        .size:           8
        .value_kind:     global_buffer
      - .actual_access:  read_only
        .address_space:  global
        .offset:         24
        .size:           8
        .value_kind:     global_buffer
      - .actual_access:  read_only
        .address_space:  global
        .offset:         32
        .size:           8
        .value_kind:     global_buffer
      - .actual_access:  read_only
        .address_space:  global
        .offset:         40
        .size:           8
        .value_kind:     global_buffer
      - .offset:         48
        .size:           4
        .value_kind:     by_value
      - .offset:         52
        .size:           4
        .value_kind:     by_value
      - .actual_access:  read_only
        .address_space:  global
        .offset:         56
        .size:           8
        .value_kind:     global_buffer
      - .actual_access:  read_only
        .address_space:  global
        .offset:         64
        .size:           8
        .value_kind:     global_buffer
      - .offset:         72
        .size:           4
        .value_kind:     by_value
      - .actual_access:  read_only
        .address_space:  global
        .offset:         80
        .size:           8
        .value_kind:     global_buffer
      - .offset:         88
        .size:           4
        .value_kind:     by_value
      - .offset:         92
        .size:           4
        .value_kind:     by_value
      - .offset:         96
        .size:           4
        .value_kind:     by_value
      - .address_space:  global
        .offset:         104
        .size:           8
        .value_kind:     global_buffer
      - .address_space:  global
        .offset:         112
        .size:           8
        .value_kind:     global_buffer
      - .offset:         120
        .size:           4
        .value_kind:     by_value
      - .offset:         124
        .size:           4
        .value_kind:     by_value
      - .offset:         128
        .size:           4
        .value_kind:     by_value
      - .offset:         132
        .size:           4
        .value_kind:     by_value
      - .offset:         136
        .size:           4
        .value_kind:     by_value
      - .offset:         144
        .size:           4
        .value_kind:     hidden_block_count_x
      - .offset:         148
        .size:           4
        .value_kind:     hidden_block_count_y
      - .offset:         152
        .size:           4
        .value_kind:     hidden_block_count_z
      - .offset:         156
        .size:           2
        .value_kind:     hidden_group_size_x
      - .offset:         158
        .size:           2
        .value_kind:     hidden_group_size_y
      - .offset:         160
        .size:           2
        .value_kind:     hidden_group_size_z
      - .offset:         162
        .size:           2
        .value_kind:     hidden_remainder_x
      - .offset:         164
        .size:           2
        .value_kind:     hidden_remainder_y
      - .offset:         166
        .size:           2
        .value_kind:     hidden_remainder_z
      - .offset:         184
        .size:           8
        .value_kind:     hidden_global_offset_x
      - .offset:         192
        .size:           8
        .value_kind:     hidden_global_offset_y
      - .offset:         200
        .size:           8
        .value_kind:     hidden_global_offset_z
      - .offset:         208
        .size:           2
        .value_kind:     hidden_grid_dims
      - .offset:         264
        .size:           4
        .value_kind:     hidden_dynamic_lds_size
    .group_segment_fixed_size: 1056
    .kernarg_segment_align: 8
    .kernarg_segment_size: 400
    .language:       OpenCL C
    .language_version:
      - 2
      - 0
    .max_flat_workgroup_size: 1024
    .name:           _ZN4vllm25paged_attention_v2_kernelIffLi256ELi8ELi128ELNS_18Fp8KVCacheDataTypeE0ELb1ELi512EEEvPfS2_PT_PKS3_PKT0_S9_ifPKiSB_iPKfiiiSD_SD_iiiii
    .private_segment_fixed_size: 0
    .sgpr_count:     48
    .sgpr_spill_count: 0
    .symbol:         _ZN4vllm25paged_attention_v2_kernelIffLi256ELi8ELi128ELNS_18Fp8KVCacheDataTypeE0ELb1ELi512EEEvPfS2_PT_PKS3_PKT0_S9_ifPKiSB_iPKfiiiSD_SD_iiiii.kd
    .uniform_work_group_size: 1
    .uses_dynamic_stack: false
    .vgpr_count:     102
    .vgpr_spill_count: 0
    .wavefront_size: 32
    .workgroup_processor_mode: 1
  - .args:
      - .actual_access:  write_only
        .address_space:  global
        .offset:         0
        .size:           8
        .value_kind:     global_buffer
      - .actual_access:  read_only
        .address_space:  global
        .offset:         8
        .size:           8
        .value_kind:     global_buffer
      - .actual_access:  read_only
        .address_space:  global
        .offset:         16
        .size:           8
        .value_kind:     global_buffer
      - .actual_access:  read_only
        .address_space:  global
        .offset:         24
        .size:           8
        .value_kind:     global_buffer
      - .actual_access:  read_only
        .address_space:  global
        .offset:         32
        .size:           8
        .value_kind:     global_buffer
      - .offset:         40
        .size:           4
        .value_kind:     by_value
      - .offset:         48
        .size:           4
        .value_kind:     hidden_block_count_x
      - .offset:         52
        .size:           4
        .value_kind:     hidden_block_count_y
      - .offset:         56
        .size:           4
        .value_kind:     hidden_block_count_z
      - .offset:         60
        .size:           2
        .value_kind:     hidden_group_size_x
      - .offset:         62
        .size:           2
        .value_kind:     hidden_group_size_y
      - .offset:         64
        .size:           2
        .value_kind:     hidden_group_size_z
      - .offset:         66
        .size:           2
        .value_kind:     hidden_remainder_x
      - .offset:         68
        .size:           2
        .value_kind:     hidden_remainder_y
      - .offset:         70
        .size:           2
        .value_kind:     hidden_remainder_z
      - .offset:         88
        .size:           8
        .value_kind:     hidden_global_offset_x
      - .offset:         96
        .size:           8
        .value_kind:     hidden_global_offset_y
      - .offset:         104
        .size:           8
        .value_kind:     hidden_global_offset_z
      - .offset:         112
        .size:           2
        .value_kind:     hidden_grid_dims
      - .offset:         168
        .size:           4
        .value_kind:     hidden_dynamic_lds_size
    .group_segment_fixed_size: 32
    .kernarg_segment_align: 8
    .kernarg_segment_size: 304
    .language:       OpenCL C
    .language_version:
      - 2
      - 0
    .max_flat_workgroup_size: 1024
    .name:           _ZN4vllm32paged_attention_v2_reduce_kernelIfLi256ELi128ELi512EEEvPT_PKfS4_PKS1_PKii
    .private_segment_fixed_size: 0
    .sgpr_count:     32
    .sgpr_spill_count: 0
    .symbol:         _ZN4vllm32paged_attention_v2_reduce_kernelIfLi256ELi128ELi512EEEvPT_PKfS4_PKS1_PKii.kd
    .uniform_work_group_size: 1
    .uses_dynamic_stack: false
    .vgpr_count:     19
    .vgpr_spill_count: 0
    .wavefront_size: 32
    .workgroup_processor_mode: 1
  - .args:
      - .actual_access:  write_only
        .address_space:  global
        .offset:         0
        .size:           8
        .value_kind:     global_buffer
      - .actual_access:  write_only
        .address_space:  global
        .offset:         8
        .size:           8
        .value_kind:     global_buffer
      - .actual_access:  write_only
        .address_space:  global
        .offset:         16
        .size:           8
        .value_kind:     global_buffer
      - .actual_access:  read_only
        .address_space:  global
        .offset:         24
        .size:           8
        .value_kind:     global_buffer
      - .actual_access:  read_only
        .address_space:  global
        .offset:         32
        .size:           8
        .value_kind:     global_buffer
      - .actual_access:  read_only
        .address_space:  global
        .offset:         40
        .size:           8
        .value_kind:     global_buffer
      - .offset:         48
        .size:           4
        .value_kind:     by_value
      - .offset:         52
        .size:           4
        .value_kind:     by_value
      - .actual_access:  read_only
        .address_space:  global
        .offset:         56
        .size:           8
        .value_kind:     global_buffer
      - .actual_access:  read_only
        .address_space:  global
        .offset:         64
        .size:           8
        .value_kind:     global_buffer
      - .offset:         72
        .size:           4
        .value_kind:     by_value
      - .actual_access:  read_only
        .address_space:  global
        .offset:         80
        .size:           8
        .value_kind:     global_buffer
      - .offset:         88
        .size:           4
        .value_kind:     by_value
      - .offset:         92
        .size:           4
        .value_kind:     by_value
      - .offset:         96
        .size:           4
        .value_kind:     by_value
      - .address_space:  global
        .offset:         104
        .size:           8
        .value_kind:     global_buffer
      - .address_space:  global
        .offset:         112
        .size:           8
        .value_kind:     global_buffer
      - .offset:         120
        .size:           4
        .value_kind:     by_value
      - .offset:         124
        .size:           4
        .value_kind:     by_value
      - .offset:         128
        .size:           4
        .value_kind:     by_value
      - .offset:         132
        .size:           4
        .value_kind:     by_value
      - .offset:         136
        .size:           4
        .value_kind:     by_value
      - .offset:         144
        .size:           4
        .value_kind:     hidden_block_count_x
      - .offset:         148
        .size:           4
        .value_kind:     hidden_block_count_y
      - .offset:         152
        .size:           4
        .value_kind:     hidden_block_count_z
      - .offset:         156
        .size:           2
        .value_kind:     hidden_group_size_x
      - .offset:         158
        .size:           2
        .value_kind:     hidden_group_size_y
      - .offset:         160
        .size:           2
        .value_kind:     hidden_group_size_z
      - .offset:         162
        .size:           2
        .value_kind:     hidden_remainder_x
      - .offset:         164
        .size:           2
        .value_kind:     hidden_remainder_y
      - .offset:         166
        .size:           2
        .value_kind:     hidden_remainder_z
      - .offset:         184
        .size:           8
        .value_kind:     hidden_global_offset_x
      - .offset:         192
        .size:           8
        .value_kind:     hidden_global_offset_y
      - .offset:         200
        .size:           8
        .value_kind:     hidden_global_offset_z
      - .offset:         208
        .size:           2
        .value_kind:     hidden_grid_dims
      - .offset:         264
        .size:           4
        .value_kind:     hidden_dynamic_lds_size
    .group_segment_fixed_size: 160
    .kernarg_segment_align: 8
    .kernarg_segment_size: 400
    .language:       OpenCL C
    .language_version:
      - 2
      - 0
    .max_flat_workgroup_size: 1024
    .name:           _ZN4vllm25paged_attention_v2_kernelIffLi32ELi8ELi128ELNS_18Fp8KVCacheDataTypeE0ELb0ELi512EEEvPfS2_PT_PKS3_PKT0_S9_ifPKiSB_iPKfiiiSD_SD_iiiii
    .private_segment_fixed_size: 0
    .sgpr_count:     40
    .sgpr_spill_count: 0
    .symbol:         _ZN4vllm25paged_attention_v2_kernelIffLi32ELi8ELi128ELNS_18Fp8KVCacheDataTypeE0ELb0ELi512EEEvPfS2_PT_PKS3_PKT0_S9_ifPKiSB_iPKfiiiSD_SD_iiiii.kd
    .uniform_work_group_size: 1
    .uses_dynamic_stack: false
    .vgpr_count:     35
    .vgpr_spill_count: 0
    .wavefront_size: 32
    .workgroup_processor_mode: 1
  - .args:
      - .actual_access:  write_only
        .address_space:  global
        .offset:         0
        .size:           8
        .value_kind:     global_buffer
      - .actual_access:  write_only
        .address_space:  global
        .offset:         8
        .size:           8
        .value_kind:     global_buffer
      - .actual_access:  write_only
        .address_space:  global
        .offset:         16
        .size:           8
        .value_kind:     global_buffer
      - .actual_access:  read_only
        .address_space:  global
        .offset:         24
        .size:           8
        .value_kind:     global_buffer
      - .actual_access:  read_only
        .address_space:  global
        .offset:         32
        .size:           8
        .value_kind:     global_buffer
      - .actual_access:  read_only
        .address_space:  global
        .offset:         40
        .size:           8
        .value_kind:     global_buffer
      - .offset:         48
        .size:           4
        .value_kind:     by_value
      - .offset:         52
        .size:           4
        .value_kind:     by_value
      - .actual_access:  read_only
        .address_space:  global
        .offset:         56
        .size:           8
        .value_kind:     global_buffer
      - .actual_access:  read_only
        .address_space:  global
        .offset:         64
        .size:           8
        .value_kind:     global_buffer
      - .offset:         72
        .size:           4
        .value_kind:     by_value
      - .actual_access:  read_only
        .address_space:  global
        .offset:         80
        .size:           8
        .value_kind:     global_buffer
      - .offset:         88
        .size:           4
        .value_kind:     by_value
      - .offset:         92
        .size:           4
        .value_kind:     by_value
      - .offset:         96
        .size:           4
        .value_kind:     by_value
      - .address_space:  global
        .offset:         104
        .size:           8
        .value_kind:     global_buffer
      - .address_space:  global
        .offset:         112
        .size:           8
        .value_kind:     global_buffer
      - .offset:         120
        .size:           4
        .value_kind:     by_value
      - .offset:         124
        .size:           4
        .value_kind:     by_value
      - .offset:         128
        .size:           4
        .value_kind:     by_value
      - .offset:         132
        .size:           4
        .value_kind:     by_value
      - .offset:         136
        .size:           4
        .value_kind:     by_value
      - .offset:         144
        .size:           4
        .value_kind:     hidden_block_count_x
      - .offset:         148
        .size:           4
        .value_kind:     hidden_block_count_y
      - .offset:         152
        .size:           4
        .value_kind:     hidden_block_count_z
      - .offset:         156
        .size:           2
        .value_kind:     hidden_group_size_x
      - .offset:         158
        .size:           2
        .value_kind:     hidden_group_size_y
      - .offset:         160
        .size:           2
        .value_kind:     hidden_group_size_z
      - .offset:         162
        .size:           2
        .value_kind:     hidden_remainder_x
      - .offset:         164
        .size:           2
        .value_kind:     hidden_remainder_y
      - .offset:         166
        .size:           2
        .value_kind:     hidden_remainder_z
      - .offset:         184
        .size:           8
        .value_kind:     hidden_global_offset_x
      - .offset:         192
        .size:           8
        .value_kind:     hidden_global_offset_y
      - .offset:         200
        .size:           8
        .value_kind:     hidden_global_offset_z
      - .offset:         208
        .size:           2
        .value_kind:     hidden_grid_dims
      - .offset:         264
        .size:           4
        .value_kind:     hidden_dynamic_lds_size
    .group_segment_fixed_size: 288
    .kernarg_segment_align: 8
    .kernarg_segment_size: 400
    .language:       OpenCL C
    .language_version:
      - 2
      - 0
    .max_flat_workgroup_size: 1024
    .name:           _ZN4vllm25paged_attention_v2_kernelIffLi64ELi8ELi128ELNS_18Fp8KVCacheDataTypeE0ELb0ELi512EEEvPfS2_PT_PKS3_PKT0_S9_ifPKiSB_iPKfiiiSD_SD_iiiii
    .private_segment_fixed_size: 0
    .sgpr_count:     40
    .sgpr_spill_count: 0
    .symbol:         _ZN4vllm25paged_attention_v2_kernelIffLi64ELi8ELi128ELNS_18Fp8KVCacheDataTypeE0ELb0ELi512EEEvPfS2_PT_PKS3_PKT0_S9_ifPKiSB_iPKfiiiSD_SD_iiiii.kd
    .uniform_work_group_size: 1
    .uses_dynamic_stack: false
    .vgpr_count:     51
    .vgpr_spill_count: 0
    .wavefront_size: 32
    .workgroup_processor_mode: 1
  - .args:
      - .actual_access:  write_only
        .address_space:  global
        .offset:         0
        .size:           8
        .value_kind:     global_buffer
      - .actual_access:  write_only
        .address_space:  global
        .offset:         8
        .size:           8
        .value_kind:     global_buffer
      - .actual_access:  write_only
        .address_space:  global
        .offset:         16
        .size:           8
        .value_kind:     global_buffer
      - .actual_access:  read_only
        .address_space:  global
        .offset:         24
        .size:           8
        .value_kind:     global_buffer
      - .actual_access:  read_only
        .address_space:  global
        .offset:         32
        .size:           8
        .value_kind:     global_buffer
      - .actual_access:  read_only
        .address_space:  global
        .offset:         40
        .size:           8
        .value_kind:     global_buffer
      - .offset:         48
        .size:           4
        .value_kind:     by_value
      - .offset:         52
        .size:           4
        .value_kind:     by_value
      - .actual_access:  read_only
        .address_space:  global
        .offset:         56
        .size:           8
        .value_kind:     global_buffer
      - .actual_access:  read_only
        .address_space:  global
        .offset:         64
        .size:           8
        .value_kind:     global_buffer
      - .offset:         72
        .size:           4
        .value_kind:     by_value
      - .actual_access:  read_only
        .address_space:  global
        .offset:         80
        .size:           8
        .value_kind:     global_buffer
      - .offset:         88
        .size:           4
        .value_kind:     by_value
      - .offset:         92
        .size:           4
        .value_kind:     by_value
      - .offset:         96
        .size:           4
        .value_kind:     by_value
      - .address_space:  global
        .offset:         104
        .size:           8
        .value_kind:     global_buffer
      - .address_space:  global
        .offset:         112
        .size:           8
        .value_kind:     global_buffer
      - .offset:         120
        .size:           4
        .value_kind:     by_value
      - .offset:         124
        .size:           4
        .value_kind:     by_value
      - .offset:         128
        .size:           4
        .value_kind:     by_value
      - .offset:         132
        .size:           4
        .value_kind:     by_value
      - .offset:         136
        .size:           4
        .value_kind:     by_value
      - .offset:         144
        .size:           4
        .value_kind:     hidden_block_count_x
      - .offset:         148
        .size:           4
        .value_kind:     hidden_block_count_y
      - .offset:         152
        .size:           4
        .value_kind:     hidden_block_count_z
      - .offset:         156
        .size:           2
        .value_kind:     hidden_group_size_x
      - .offset:         158
        .size:           2
        .value_kind:     hidden_group_size_y
      - .offset:         160
        .size:           2
        .value_kind:     hidden_group_size_z
      - .offset:         162
        .size:           2
        .value_kind:     hidden_remainder_x
      - .offset:         164
        .size:           2
        .value_kind:     hidden_remainder_y
      - .offset:         166
        .size:           2
        .value_kind:     hidden_remainder_z
      - .offset:         184
        .size:           8
        .value_kind:     hidden_global_offset_x
      - .offset:         192
        .size:           8
        .value_kind:     hidden_global_offset_y
      - .offset:         200
        .size:           8
        .value_kind:     hidden_global_offset_z
      - .offset:         208
        .size:           2
        .value_kind:     hidden_grid_dims
      - .offset:         264
        .size:           4
        .value_kind:     hidden_dynamic_lds_size
    .group_segment_fixed_size: 352
    .kernarg_segment_align: 8
    .kernarg_segment_size: 400
    .language:       OpenCL C
    .language_version:
      - 2
      - 0
    .max_flat_workgroup_size: 1024
    .name:           _ZN4vllm25paged_attention_v2_kernelIffLi80ELi8ELi128ELNS_18Fp8KVCacheDataTypeE0ELb0ELi512EEEvPfS2_PT_PKS3_PKT0_S9_ifPKiSB_iPKfiiiSD_SD_iiiii
    .private_segment_fixed_size: 0
    .sgpr_count:     38
    .sgpr_spill_count: 0
    .symbol:         _ZN4vllm25paged_attention_v2_kernelIffLi80ELi8ELi128ELNS_18Fp8KVCacheDataTypeE0ELb0ELi512EEEvPfS2_PT_PKS3_PKT0_S9_ifPKiSB_iPKfiiiSD_SD_iiiii.kd
    .uniform_work_group_size: 1
    .uses_dynamic_stack: false
    .vgpr_count:     59
    .vgpr_spill_count: 0
    .wavefront_size: 32
    .workgroup_processor_mode: 1
  - .args:
      - .actual_access:  write_only
        .address_space:  global
        .offset:         0
        .size:           8
        .value_kind:     global_buffer
      - .actual_access:  write_only
        .address_space:  global
        .offset:         8
        .size:           8
        .value_kind:     global_buffer
      - .actual_access:  write_only
        .address_space:  global
        .offset:         16
        .size:           8
        .value_kind:     global_buffer
      - .actual_access:  read_only
        .address_space:  global
        .offset:         24
        .size:           8
        .value_kind:     global_buffer
      - .actual_access:  read_only
        .address_space:  global
        .offset:         32
        .size:           8
        .value_kind:     global_buffer
      - .actual_access:  read_only
        .address_space:  global
        .offset:         40
        .size:           8
        .value_kind:     global_buffer
      - .offset:         48
        .size:           4
        .value_kind:     by_value
      - .offset:         52
        .size:           4
        .value_kind:     by_value
      - .actual_access:  read_only
        .address_space:  global
        .offset:         56
        .size:           8
        .value_kind:     global_buffer
      - .actual_access:  read_only
        .address_space:  global
        .offset:         64
        .size:           8
        .value_kind:     global_buffer
      - .offset:         72
        .size:           4
        .value_kind:     by_value
      - .actual_access:  read_only
        .address_space:  global
        .offset:         80
        .size:           8
        .value_kind:     global_buffer
      - .offset:         88
        .size:           4
        .value_kind:     by_value
      - .offset:         92
        .size:           4
        .value_kind:     by_value
      - .offset:         96
        .size:           4
        .value_kind:     by_value
      - .address_space:  global
        .offset:         104
        .size:           8
        .value_kind:     global_buffer
      - .address_space:  global
        .offset:         112
        .size:           8
        .value_kind:     global_buffer
      - .offset:         120
        .size:           4
        .value_kind:     by_value
      - .offset:         124
        .size:           4
        .value_kind:     by_value
      - .offset:         128
        .size:           4
        .value_kind:     by_value
      - .offset:         132
        .size:           4
        .value_kind:     by_value
      - .offset:         136
        .size:           4
        .value_kind:     by_value
      - .offset:         144
        .size:           4
        .value_kind:     hidden_block_count_x
      - .offset:         148
        .size:           4
        .value_kind:     hidden_block_count_y
      - .offset:         152
        .size:           4
        .value_kind:     hidden_block_count_z
      - .offset:         156
        .size:           2
        .value_kind:     hidden_group_size_x
      - .offset:         158
        .size:           2
        .value_kind:     hidden_group_size_y
      - .offset:         160
        .size:           2
        .value_kind:     hidden_group_size_z
      - .offset:         162
        .size:           2
        .value_kind:     hidden_remainder_x
      - .offset:         164
        .size:           2
        .value_kind:     hidden_remainder_y
      - .offset:         166
        .size:           2
        .value_kind:     hidden_remainder_z
      - .offset:         184
        .size:           8
        .value_kind:     hidden_global_offset_x
      - .offset:         192
        .size:           8
        .value_kind:     hidden_global_offset_y
      - .offset:         200
        .size:           8
        .value_kind:     hidden_global_offset_z
      - .offset:         208
        .size:           2
        .value_kind:     hidden_grid_dims
      - .offset:         264
        .size:           4
        .value_kind:     hidden_dynamic_lds_size
    .group_segment_fixed_size: 416
    .kernarg_segment_align: 8
    .kernarg_segment_size: 400
    .language:       OpenCL C
    .language_version:
      - 2
      - 0
    .max_flat_workgroup_size: 1024
    .name:           _ZN4vllm25paged_attention_v2_kernelIffLi96ELi8ELi128ELNS_18Fp8KVCacheDataTypeE0ELb0ELi512EEEvPfS2_PT_PKS3_PKT0_S9_ifPKiSB_iPKfiiiSD_SD_iiiii
    .private_segment_fixed_size: 0
    .sgpr_count:     38
    .sgpr_spill_count: 0
    .symbol:         _ZN4vllm25paged_attention_v2_kernelIffLi96ELi8ELi128ELNS_18Fp8KVCacheDataTypeE0ELb0ELi512EEEvPfS2_PT_PKS3_PKT0_S9_ifPKiSB_iPKfiiiSD_SD_iiiii.kd
    .uniform_work_group_size: 1
    .uses_dynamic_stack: false
    .vgpr_count:     67
    .vgpr_spill_count: 0
    .wavefront_size: 32
    .workgroup_processor_mode: 1
  - .args:
      - .actual_access:  write_only
        .address_space:  global
        .offset:         0
        .size:           8
        .value_kind:     global_buffer
      - .actual_access:  write_only
        .address_space:  global
        .offset:         8
        .size:           8
        .value_kind:     global_buffer
      - .actual_access:  write_only
        .address_space:  global
        .offset:         16
        .size:           8
        .value_kind:     global_buffer
      - .actual_access:  read_only
        .address_space:  global
        .offset:         24
        .size:           8
        .value_kind:     global_buffer
      - .actual_access:  read_only
        .address_space:  global
        .offset:         32
        .size:           8
        .value_kind:     global_buffer
      - .actual_access:  read_only
        .address_space:  global
        .offset:         40
        .size:           8
        .value_kind:     global_buffer
      - .offset:         48
        .size:           4
        .value_kind:     by_value
      - .offset:         52
        .size:           4
        .value_kind:     by_value
      - .actual_access:  read_only
        .address_space:  global
        .offset:         56
        .size:           8
        .value_kind:     global_buffer
      - .actual_access:  read_only
        .address_space:  global
        .offset:         64
        .size:           8
        .value_kind:     global_buffer
      - .offset:         72
        .size:           4
        .value_kind:     by_value
      - .actual_access:  read_only
        .address_space:  global
        .offset:         80
        .size:           8
        .value_kind:     global_buffer
      - .offset:         88
        .size:           4
        .value_kind:     by_value
      - .offset:         92
        .size:           4
        .value_kind:     by_value
      - .offset:         96
        .size:           4
        .value_kind:     by_value
      - .address_space:  global
        .offset:         104
        .size:           8
        .value_kind:     global_buffer
      - .address_space:  global
        .offset:         112
        .size:           8
        .value_kind:     global_buffer
      - .offset:         120
        .size:           4
        .value_kind:     by_value
      - .offset:         124
        .size:           4
        .value_kind:     by_value
      - .offset:         128
        .size:           4
        .value_kind:     by_value
      - .offset:         132
        .size:           4
        .value_kind:     by_value
      - .offset:         136
        .size:           4
        .value_kind:     by_value
      - .offset:         144
        .size:           4
        .value_kind:     hidden_block_count_x
      - .offset:         148
        .size:           4
        .value_kind:     hidden_block_count_y
      - .offset:         152
        .size:           4
        .value_kind:     hidden_block_count_z
      - .offset:         156
        .size:           2
        .value_kind:     hidden_group_size_x
      - .offset:         158
        .size:           2
        .value_kind:     hidden_group_size_y
      - .offset:         160
        .size:           2
        .value_kind:     hidden_group_size_z
      - .offset:         162
        .size:           2
        .value_kind:     hidden_remainder_x
      - .offset:         164
        .size:           2
        .value_kind:     hidden_remainder_y
      - .offset:         166
        .size:           2
        .value_kind:     hidden_remainder_z
      - .offset:         184
        .size:           8
        .value_kind:     hidden_global_offset_x
      - .offset:         192
        .size:           8
        .value_kind:     hidden_global_offset_y
      - .offset:         200
        .size:           8
        .value_kind:     hidden_global_offset_z
      - .offset:         208
        .size:           2
        .value_kind:     hidden_grid_dims
      - .offset:         264
        .size:           4
        .value_kind:     hidden_dynamic_lds_size
    .group_segment_fixed_size: 480
    .kernarg_segment_align: 8
    .kernarg_segment_size: 400
    .language:       OpenCL C
    .language_version:
      - 2
      - 0
    .max_flat_workgroup_size: 1024
    .name:           _ZN4vllm25paged_attention_v2_kernelIffLi112ELi8ELi128ELNS_18Fp8KVCacheDataTypeE0ELb0ELi512EEEvPfS2_PT_PKS3_PKT0_S9_ifPKiSB_iPKfiiiSD_SD_iiiii
    .private_segment_fixed_size: 0
    .sgpr_count:     38
    .sgpr_spill_count: 0
    .symbol:         _ZN4vllm25paged_attention_v2_kernelIffLi112ELi8ELi128ELNS_18Fp8KVCacheDataTypeE0ELb0ELi512EEEvPfS2_PT_PKS3_PKT0_S9_ifPKiSB_iPKfiiiSD_SD_iiiii.kd
    .uniform_work_group_size: 1
    .uses_dynamic_stack: false
    .vgpr_count:     75
    .vgpr_spill_count: 0
    .wavefront_size: 32
    .workgroup_processor_mode: 1
  - .args:
      - .actual_access:  write_only
        .address_space:  global
        .offset:         0
        .size:           8
        .value_kind:     global_buffer
      - .actual_access:  write_only
        .address_space:  global
        .offset:         8
        .size:           8
        .value_kind:     global_buffer
      - .actual_access:  write_only
        .address_space:  global
        .offset:         16
        .size:           8
        .value_kind:     global_buffer
      - .actual_access:  read_only
        .address_space:  global
        .offset:         24
        .size:           8
        .value_kind:     global_buffer
      - .actual_access:  read_only
        .address_space:  global
        .offset:         32
        .size:           8
        .value_kind:     global_buffer
      - .actual_access:  read_only
        .address_space:  global
        .offset:         40
        .size:           8
        .value_kind:     global_buffer
      - .offset:         48
        .size:           4
        .value_kind:     by_value
      - .offset:         52
        .size:           4
        .value_kind:     by_value
      - .actual_access:  read_only
        .address_space:  global
        .offset:         56
        .size:           8
        .value_kind:     global_buffer
      - .actual_access:  read_only
        .address_space:  global
        .offset:         64
        .size:           8
        .value_kind:     global_buffer
      - .offset:         72
        .size:           4
        .value_kind:     by_value
      - .actual_access:  read_only
        .address_space:  global
        .offset:         80
        .size:           8
        .value_kind:     global_buffer
      - .offset:         88
        .size:           4
        .value_kind:     by_value
      - .offset:         92
        .size:           4
        .value_kind:     by_value
      - .offset:         96
        .size:           4
        .value_kind:     by_value
      - .address_space:  global
        .offset:         104
        .size:           8
        .value_kind:     global_buffer
      - .address_space:  global
        .offset:         112
        .size:           8
        .value_kind:     global_buffer
      - .offset:         120
        .size:           4
        .value_kind:     by_value
      - .offset:         124
        .size:           4
        .value_kind:     by_value
      - .offset:         128
        .size:           4
        .value_kind:     by_value
      - .offset:         132
        .size:           4
        .value_kind:     by_value
      - .offset:         136
        .size:           4
        .value_kind:     by_value
      - .offset:         144
        .size:           4
        .value_kind:     hidden_block_count_x
      - .offset:         148
        .size:           4
        .value_kind:     hidden_block_count_y
      - .offset:         152
        .size:           4
        .value_kind:     hidden_block_count_z
      - .offset:         156
        .size:           2
        .value_kind:     hidden_group_size_x
      - .offset:         158
        .size:           2
        .value_kind:     hidden_group_size_y
      - .offset:         160
        .size:           2
        .value_kind:     hidden_group_size_z
      - .offset:         162
        .size:           2
        .value_kind:     hidden_remainder_x
      - .offset:         164
        .size:           2
        .value_kind:     hidden_remainder_y
      - .offset:         166
        .size:           2
        .value_kind:     hidden_remainder_z
      - .offset:         184
        .size:           8
        .value_kind:     hidden_global_offset_x
      - .offset:         192
        .size:           8
        .value_kind:     hidden_global_offset_y
      - .offset:         200
        .size:           8
        .value_kind:     hidden_global_offset_z
      - .offset:         208
        .size:           2
        .value_kind:     hidden_grid_dims
      - .offset:         264
        .size:           4
        .value_kind:     hidden_dynamic_lds_size
    .group_segment_fixed_size: 512
    .kernarg_segment_align: 8
    .kernarg_segment_size: 400
    .language:       OpenCL C
    .language_version:
      - 2
      - 0
    .max_flat_workgroup_size: 1024
    .name:           _ZN4vllm25paged_attention_v2_kernelIffLi120ELi8ELi128ELNS_18Fp8KVCacheDataTypeE0ELb0ELi512EEEvPfS2_PT_PKS3_PKT0_S9_ifPKiSB_iPKfiiiSD_SD_iiiii
    .private_segment_fixed_size: 0
    .sgpr_count:     38
    .sgpr_spill_count: 0
    .symbol:         _ZN4vllm25paged_attention_v2_kernelIffLi120ELi8ELi128ELNS_18Fp8KVCacheDataTypeE0ELb0ELi512EEEvPfS2_PT_PKS3_PKT0_S9_ifPKiSB_iPKfiiiSD_SD_iiiii.kd
    .uniform_work_group_size: 1
    .uses_dynamic_stack: false
    .vgpr_count:     79
    .vgpr_spill_count: 0
    .wavefront_size: 32
    .workgroup_processor_mode: 1
  - .args:
      - .actual_access:  write_only
        .address_space:  global
        .offset:         0
        .size:           8
        .value_kind:     global_buffer
      - .actual_access:  write_only
        .address_space:  global
        .offset:         8
        .size:           8
        .value_kind:     global_buffer
      - .actual_access:  write_only
        .address_space:  global
        .offset:         16
        .size:           8
        .value_kind:     global_buffer
      - .actual_access:  read_only
        .address_space:  global
        .offset:         24
        .size:           8
        .value_kind:     global_buffer
      - .actual_access:  read_only
        .address_space:  global
        .offset:         32
        .size:           8
        .value_kind:     global_buffer
      - .actual_access:  read_only
        .address_space:  global
        .offset:         40
        .size:           8
        .value_kind:     global_buffer
      - .offset:         48
        .size:           4
        .value_kind:     by_value
      - .offset:         52
        .size:           4
        .value_kind:     by_value
      - .actual_access:  read_only
        .address_space:  global
        .offset:         56
        .size:           8
        .value_kind:     global_buffer
      - .actual_access:  read_only
        .address_space:  global
        .offset:         64
        .size:           8
        .value_kind:     global_buffer
      - .offset:         72
        .size:           4
        .value_kind:     by_value
      - .actual_access:  read_only
        .address_space:  global
        .offset:         80
        .size:           8
        .value_kind:     global_buffer
      - .offset:         88
        .size:           4
        .value_kind:     by_value
      - .offset:         92
        .size:           4
        .value_kind:     by_value
      - .offset:         96
        .size:           4
        .value_kind:     by_value
      - .address_space:  global
        .offset:         104
        .size:           8
        .value_kind:     global_buffer
      - .address_space:  global
        .offset:         112
        .size:           8
        .value_kind:     global_buffer
      - .offset:         120
        .size:           4
        .value_kind:     by_value
      - .offset:         124
        .size:           4
        .value_kind:     by_value
      - .offset:         128
        .size:           4
        .value_kind:     by_value
      - .offset:         132
        .size:           4
        .value_kind:     by_value
      - .offset:         136
        .size:           4
        .value_kind:     by_value
      - .offset:         144
        .size:           4
        .value_kind:     hidden_block_count_x
      - .offset:         148
        .size:           4
        .value_kind:     hidden_block_count_y
      - .offset:         152
        .size:           4
        .value_kind:     hidden_block_count_z
      - .offset:         156
        .size:           2
        .value_kind:     hidden_group_size_x
      - .offset:         158
        .size:           2
        .value_kind:     hidden_group_size_y
      - .offset:         160
        .size:           2
        .value_kind:     hidden_group_size_z
      - .offset:         162
        .size:           2
        .value_kind:     hidden_remainder_x
      - .offset:         164
        .size:           2
        .value_kind:     hidden_remainder_y
      - .offset:         166
        .size:           2
        .value_kind:     hidden_remainder_z
      - .offset:         184
        .size:           8
        .value_kind:     hidden_global_offset_x
      - .offset:         192
        .size:           8
        .value_kind:     hidden_global_offset_y
      - .offset:         200
        .size:           8
        .value_kind:     hidden_global_offset_z
      - .offset:         208
        .size:           2
        .value_kind:     hidden_grid_dims
      - .offset:         264
        .size:           4
        .value_kind:     hidden_dynamic_lds_size
    .group_segment_fixed_size: 544
    .kernarg_segment_align: 8
    .kernarg_segment_size: 400
    .language:       OpenCL C
    .language_version:
      - 2
      - 0
    .max_flat_workgroup_size: 1024
    .name:           _ZN4vllm25paged_attention_v2_kernelIffLi128ELi8ELi128ELNS_18Fp8KVCacheDataTypeE0ELb0ELi512EEEvPfS2_PT_PKS3_PKT0_S9_ifPKiSB_iPKfiiiSD_SD_iiiii
    .private_segment_fixed_size: 0
    .sgpr_count:     38
    .sgpr_spill_count: 0
    .symbol:         _ZN4vllm25paged_attention_v2_kernelIffLi128ELi8ELi128ELNS_18Fp8KVCacheDataTypeE0ELb0ELi512EEEvPfS2_PT_PKS3_PKT0_S9_ifPKiSB_iPKfiiiSD_SD_iiiii.kd
    .uniform_work_group_size: 1
    .uses_dynamic_stack: false
    .vgpr_count:     83
    .vgpr_spill_count: 0
    .wavefront_size: 32
    .workgroup_processor_mode: 1
  - .args:
      - .actual_access:  write_only
        .address_space:  global
        .offset:         0
        .size:           8
        .value_kind:     global_buffer
      - .actual_access:  write_only
        .address_space:  global
        .offset:         8
        .size:           8
        .value_kind:     global_buffer
      - .actual_access:  write_only
        .address_space:  global
        .offset:         16
        .size:           8
        .value_kind:     global_buffer
      - .actual_access:  read_only
        .address_space:  global
        .offset:         24
        .size:           8
        .value_kind:     global_buffer
      - .actual_access:  read_only
        .address_space:  global
        .offset:         32
        .size:           8
        .value_kind:     global_buffer
      - .actual_access:  read_only
        .address_space:  global
        .offset:         40
        .size:           8
        .value_kind:     global_buffer
      - .offset:         48
        .size:           4
        .value_kind:     by_value
      - .offset:         52
        .size:           4
        .value_kind:     by_value
      - .actual_access:  read_only
        .address_space:  global
        .offset:         56
        .size:           8
        .value_kind:     global_buffer
      - .actual_access:  read_only
        .address_space:  global
        .offset:         64
        .size:           8
        .value_kind:     global_buffer
      - .offset:         72
        .size:           4
        .value_kind:     by_value
      - .actual_access:  read_only
        .address_space:  global
        .offset:         80
        .size:           8
        .value_kind:     global_buffer
      - .offset:         88
        .size:           4
        .value_kind:     by_value
      - .offset:         92
        .size:           4
        .value_kind:     by_value
      - .offset:         96
        .size:           4
        .value_kind:     by_value
      - .address_space:  global
        .offset:         104
        .size:           8
        .value_kind:     global_buffer
      - .address_space:  global
        .offset:         112
        .size:           8
        .value_kind:     global_buffer
      - .offset:         120
        .size:           4
        .value_kind:     by_value
      - .offset:         124
        .size:           4
        .value_kind:     by_value
      - .offset:         128
        .size:           4
        .value_kind:     by_value
      - .offset:         132
        .size:           4
        .value_kind:     by_value
      - .offset:         136
        .size:           4
        .value_kind:     by_value
      - .offset:         144
        .size:           4
        .value_kind:     hidden_block_count_x
      - .offset:         148
        .size:           4
        .value_kind:     hidden_block_count_y
      - .offset:         152
        .size:           4
        .value_kind:     hidden_block_count_z
      - .offset:         156
        .size:           2
        .value_kind:     hidden_group_size_x
      - .offset:         158
        .size:           2
        .value_kind:     hidden_group_size_y
      - .offset:         160
        .size:           2
        .value_kind:     hidden_group_size_z
      - .offset:         162
        .size:           2
        .value_kind:     hidden_remainder_x
      - .offset:         164
        .size:           2
        .value_kind:     hidden_remainder_y
      - .offset:         166
        .size:           2
        .value_kind:     hidden_remainder_z
      - .offset:         184
        .size:           8
        .value_kind:     hidden_global_offset_x
      - .offset:         192
        .size:           8
        .value_kind:     hidden_global_offset_y
      - .offset:         200
        .size:           8
        .value_kind:     hidden_global_offset_z
      - .offset:         208
        .size:           2
        .value_kind:     hidden_grid_dims
      - .offset:         264
        .size:           4
        .value_kind:     hidden_dynamic_lds_size
    .group_segment_fixed_size: 800
    .kernarg_segment_align: 8
    .kernarg_segment_size: 400
    .language:       OpenCL C
    .language_version:
      - 2
      - 0
    .max_flat_workgroup_size: 1024
    .name:           _ZN4vllm25paged_attention_v2_kernelIffLi192ELi8ELi128ELNS_18Fp8KVCacheDataTypeE0ELb0ELi512EEEvPfS2_PT_PKS3_PKT0_S9_ifPKiSB_iPKfiiiSD_SD_iiiii
    .private_segment_fixed_size: 0
    .sgpr_count:     38
    .sgpr_spill_count: 0
    .symbol:         _ZN4vllm25paged_attention_v2_kernelIffLi192ELi8ELi128ELNS_18Fp8KVCacheDataTypeE0ELb0ELi512EEEvPfS2_PT_PKS3_PKT0_S9_ifPKiSB_iPKfiiiSD_SD_iiiii.kd
    .uniform_work_group_size: 1
    .uses_dynamic_stack: false
    .vgpr_count:     115
    .vgpr_spill_count: 0
    .wavefront_size: 32
    .workgroup_processor_mode: 1
  - .args:
      - .actual_access:  write_only
        .address_space:  global
        .offset:         0
        .size:           8
        .value_kind:     global_buffer
      - .actual_access:  write_only
        .address_space:  global
        .offset:         8
        .size:           8
        .value_kind:     global_buffer
      - .actual_access:  write_only
        .address_space:  global
        .offset:         16
        .size:           8
        .value_kind:     global_buffer
      - .actual_access:  read_only
        .address_space:  global
        .offset:         24
        .size:           8
        .value_kind:     global_buffer
      - .actual_access:  read_only
        .address_space:  global
        .offset:         32
        .size:           8
        .value_kind:     global_buffer
      - .actual_access:  read_only
        .address_space:  global
        .offset:         40
        .size:           8
        .value_kind:     global_buffer
      - .offset:         48
        .size:           4
        .value_kind:     by_value
      - .offset:         52
        .size:           4
        .value_kind:     by_value
      - .actual_access:  read_only
        .address_space:  global
        .offset:         56
        .size:           8
        .value_kind:     global_buffer
      - .actual_access:  read_only
        .address_space:  global
        .offset:         64
        .size:           8
        .value_kind:     global_buffer
      - .offset:         72
        .size:           4
        .value_kind:     by_value
      - .actual_access:  read_only
        .address_space:  global
        .offset:         80
        .size:           8
        .value_kind:     global_buffer
      - .offset:         88
        .size:           4
        .value_kind:     by_value
      - .offset:         92
        .size:           4
        .value_kind:     by_value
      - .offset:         96
        .size:           4
        .value_kind:     by_value
      - .address_space:  global
        .offset:         104
        .size:           8
        .value_kind:     global_buffer
      - .address_space:  global
        .offset:         112
        .size:           8
        .value_kind:     global_buffer
      - .offset:         120
        .size:           4
        .value_kind:     by_value
      - .offset:         124
        .size:           4
        .value_kind:     by_value
      - .offset:         128
        .size:           4
        .value_kind:     by_value
      - .offset:         132
        .size:           4
        .value_kind:     by_value
      - .offset:         136
        .size:           4
        .value_kind:     by_value
      - .offset:         144
        .size:           4
        .value_kind:     hidden_block_count_x
      - .offset:         148
        .size:           4
        .value_kind:     hidden_block_count_y
      - .offset:         152
        .size:           4
        .value_kind:     hidden_block_count_z
      - .offset:         156
        .size:           2
        .value_kind:     hidden_group_size_x
      - .offset:         158
        .size:           2
        .value_kind:     hidden_group_size_y
      - .offset:         160
        .size:           2
        .value_kind:     hidden_group_size_z
      - .offset:         162
        .size:           2
        .value_kind:     hidden_remainder_x
      - .offset:         164
        .size:           2
        .value_kind:     hidden_remainder_y
      - .offset:         166
        .size:           2
        .value_kind:     hidden_remainder_z
      - .offset:         184
        .size:           8
        .value_kind:     hidden_global_offset_x
      - .offset:         192
        .size:           8
        .value_kind:     hidden_global_offset_y
      - .offset:         200
        .size:           8
        .value_kind:     hidden_global_offset_z
      - .offset:         208
        .size:           2
        .value_kind:     hidden_grid_dims
      - .offset:         264
        .size:           4
        .value_kind:     hidden_dynamic_lds_size
    .group_segment_fixed_size: 1056
    .kernarg_segment_align: 8
    .kernarg_segment_size: 400
    .language:       OpenCL C
    .language_version:
      - 2
      - 0
    .max_flat_workgroup_size: 1024
    .name:           _ZN4vllm25paged_attention_v2_kernelIffLi256ELi8ELi128ELNS_18Fp8KVCacheDataTypeE0ELb0ELi512EEEvPfS2_PT_PKS3_PKT0_S9_ifPKiSB_iPKfiiiSD_SD_iiiii
    .private_segment_fixed_size: 72
    .sgpr_count:     42
    .sgpr_spill_count: 0
    .symbol:         _ZN4vllm25paged_attention_v2_kernelIffLi256ELi8ELi128ELNS_18Fp8KVCacheDataTypeE0ELb0ELi512EEEvPfS2_PT_PKS3_PKT0_S9_ifPKiSB_iPKfiiiSD_SD_iiiii.kd
    .uniform_work_group_size: 1
    .uses_dynamic_stack: false
    .vgpr_count:     128
    .vgpr_spill_count: 18
    .wavefront_size: 32
    .workgroup_processor_mode: 1
  - .args:
      - .actual_access:  write_only
        .address_space:  global
        .offset:         0
        .size:           8
        .value_kind:     global_buffer
      - .actual_access:  write_only
        .address_space:  global
        .offset:         8
        .size:           8
        .value_kind:     global_buffer
      - .actual_access:  write_only
        .address_space:  global
        .offset:         16
        .size:           8
        .value_kind:     global_buffer
      - .actual_access:  read_only
        .address_space:  global
        .offset:         24
        .size:           8
        .value_kind:     global_buffer
      - .actual_access:  read_only
        .address_space:  global
        .offset:         32
        .size:           8
        .value_kind:     global_buffer
      - .actual_access:  read_only
        .address_space:  global
        .offset:         40
        .size:           8
        .value_kind:     global_buffer
      - .offset:         48
        .size:           4
        .value_kind:     by_value
      - .offset:         52
        .size:           4
        .value_kind:     by_value
      - .actual_access:  read_only
        .address_space:  global
        .offset:         56
        .size:           8
        .value_kind:     global_buffer
      - .actual_access:  read_only
        .address_space:  global
        .offset:         64
        .size:           8
        .value_kind:     global_buffer
      - .offset:         72
        .size:           4
        .value_kind:     by_value
      - .actual_access:  read_only
        .address_space:  global
        .offset:         80
        .size:           8
        .value_kind:     global_buffer
      - .offset:         88
        .size:           4
        .value_kind:     by_value
      - .offset:         92
        .size:           4
        .value_kind:     by_value
      - .offset:         96
        .size:           4
        .value_kind:     by_value
      - .address_space:  global
        .offset:         104
        .size:           8
        .value_kind:     global_buffer
      - .address_space:  global
        .offset:         112
        .size:           8
        .value_kind:     global_buffer
      - .offset:         120
        .size:           4
        .value_kind:     by_value
      - .offset:         124
        .size:           4
        .value_kind:     by_value
      - .offset:         128
        .size:           4
        .value_kind:     by_value
      - .offset:         132
        .size:           4
        .value_kind:     by_value
      - .offset:         136
        .size:           4
        .value_kind:     by_value
      - .offset:         144
        .size:           4
        .value_kind:     hidden_block_count_x
      - .offset:         148
        .size:           4
        .value_kind:     hidden_block_count_y
      - .offset:         152
        .size:           4
        .value_kind:     hidden_block_count_z
      - .offset:         156
        .size:           2
        .value_kind:     hidden_group_size_x
      - .offset:         158
        .size:           2
        .value_kind:     hidden_group_size_y
      - .offset:         160
        .size:           2
        .value_kind:     hidden_group_size_z
      - .offset:         162
        .size:           2
        .value_kind:     hidden_remainder_x
      - .offset:         164
        .size:           2
        .value_kind:     hidden_remainder_y
      - .offset:         166
        .size:           2
        .value_kind:     hidden_remainder_z
      - .offset:         184
        .size:           8
        .value_kind:     hidden_global_offset_x
      - .offset:         192
        .size:           8
        .value_kind:     hidden_global_offset_y
      - .offset:         200
        .size:           8
        .value_kind:     hidden_global_offset_z
      - .offset:         208
        .size:           2
        .value_kind:     hidden_grid_dims
      - .offset:         264
        .size:           4
        .value_kind:     hidden_dynamic_lds_size
    .group_segment_fixed_size: 160
    .kernarg_segment_align: 8
    .kernarg_segment_size: 400
    .language:       OpenCL C
    .language_version:
      - 2
      - 0
    .max_flat_workgroup_size: 1024
    .name:           _ZN4vllm25paged_attention_v2_kernelIffLi32ELi16ELi128ELNS_18Fp8KVCacheDataTypeE0ELb1ELi512EEEvPfS2_PT_PKS3_PKT0_S9_ifPKiSB_iPKfiiiSD_SD_iiiii
    .private_segment_fixed_size: 0
    .sgpr_count:     48
    .sgpr_spill_count: 0
    .symbol:         _ZN4vllm25paged_attention_v2_kernelIffLi32ELi16ELi128ELNS_18Fp8KVCacheDataTypeE0ELb1ELi512EEEvPfS2_PT_PKS3_PKT0_S9_ifPKiSB_iPKfiiiSD_SD_iiiii.kd
    .uniform_work_group_size: 1
    .uses_dynamic_stack: false
    .vgpr_count:     50
    .vgpr_spill_count: 0
    .wavefront_size: 32
    .workgroup_processor_mode: 1
  - .args:
      - .actual_access:  write_only
        .address_space:  global
        .offset:         0
        .size:           8
        .value_kind:     global_buffer
      - .actual_access:  write_only
        .address_space:  global
        .offset:         8
        .size:           8
        .value_kind:     global_buffer
      - .actual_access:  write_only
        .address_space:  global
        .offset:         16
        .size:           8
        .value_kind:     global_buffer
      - .actual_access:  read_only
        .address_space:  global
        .offset:         24
        .size:           8
        .value_kind:     global_buffer
      - .actual_access:  read_only
        .address_space:  global
        .offset:         32
        .size:           8
        .value_kind:     global_buffer
      - .actual_access:  read_only
        .address_space:  global
        .offset:         40
        .size:           8
        .value_kind:     global_buffer
      - .offset:         48
        .size:           4
        .value_kind:     by_value
      - .offset:         52
        .size:           4
        .value_kind:     by_value
      - .actual_access:  read_only
        .address_space:  global
        .offset:         56
        .size:           8
        .value_kind:     global_buffer
      - .actual_access:  read_only
        .address_space:  global
        .offset:         64
        .size:           8
        .value_kind:     global_buffer
      - .offset:         72
        .size:           4
        .value_kind:     by_value
      - .actual_access:  read_only
        .address_space:  global
        .offset:         80
        .size:           8
        .value_kind:     global_buffer
      - .offset:         88
        .size:           4
        .value_kind:     by_value
      - .offset:         92
        .size:           4
        .value_kind:     by_value
      - .offset:         96
        .size:           4
        .value_kind:     by_value
      - .address_space:  global
        .offset:         104
        .size:           8
        .value_kind:     global_buffer
      - .address_space:  global
        .offset:         112
        .size:           8
        .value_kind:     global_buffer
      - .offset:         120
        .size:           4
        .value_kind:     by_value
      - .offset:         124
        .size:           4
        .value_kind:     by_value
      - .offset:         128
        .size:           4
        .value_kind:     by_value
      - .offset:         132
        .size:           4
        .value_kind:     by_value
      - .offset:         136
        .size:           4
        .value_kind:     by_value
      - .offset:         144
        .size:           4
        .value_kind:     hidden_block_count_x
      - .offset:         148
        .size:           4
        .value_kind:     hidden_block_count_y
      - .offset:         152
        .size:           4
        .value_kind:     hidden_block_count_z
      - .offset:         156
        .size:           2
        .value_kind:     hidden_group_size_x
      - .offset:         158
        .size:           2
        .value_kind:     hidden_group_size_y
      - .offset:         160
        .size:           2
        .value_kind:     hidden_group_size_z
      - .offset:         162
        .size:           2
        .value_kind:     hidden_remainder_x
      - .offset:         164
        .size:           2
        .value_kind:     hidden_remainder_y
      - .offset:         166
        .size:           2
        .value_kind:     hidden_remainder_z
      - .offset:         184
        .size:           8
        .value_kind:     hidden_global_offset_x
      - .offset:         192
        .size:           8
        .value_kind:     hidden_global_offset_y
      - .offset:         200
        .size:           8
        .value_kind:     hidden_global_offset_z
      - .offset:         208
        .size:           2
        .value_kind:     hidden_grid_dims
      - .offset:         264
        .size:           4
        .value_kind:     hidden_dynamic_lds_size
    .group_segment_fixed_size: 288
    .kernarg_segment_align: 8
    .kernarg_segment_size: 400
    .language:       OpenCL C
    .language_version:
      - 2
      - 0
    .max_flat_workgroup_size: 1024
    .name:           _ZN4vllm25paged_attention_v2_kernelIffLi64ELi16ELi128ELNS_18Fp8KVCacheDataTypeE0ELb1ELi512EEEvPfS2_PT_PKS3_PKT0_S9_ifPKiSB_iPKfiiiSD_SD_iiiii
    .private_segment_fixed_size: 0
    .sgpr_count:     48
    .sgpr_spill_count: 0
    .symbol:         _ZN4vllm25paged_attention_v2_kernelIffLi64ELi16ELi128ELNS_18Fp8KVCacheDataTypeE0ELb1ELi512EEEvPfS2_PT_PKS3_PKT0_S9_ifPKiSB_iPKfiiiSD_SD_iiiii.kd
    .uniform_work_group_size: 1
    .uses_dynamic_stack: false
    .vgpr_count:     66
    .vgpr_spill_count: 0
    .wavefront_size: 32
    .workgroup_processor_mode: 1
  - .args:
      - .actual_access:  write_only
        .address_space:  global
        .offset:         0
        .size:           8
        .value_kind:     global_buffer
      - .actual_access:  write_only
        .address_space:  global
        .offset:         8
        .size:           8
        .value_kind:     global_buffer
      - .actual_access:  write_only
        .address_space:  global
        .offset:         16
        .size:           8
        .value_kind:     global_buffer
      - .actual_access:  read_only
        .address_space:  global
        .offset:         24
        .size:           8
        .value_kind:     global_buffer
      - .actual_access:  read_only
        .address_space:  global
        .offset:         32
        .size:           8
        .value_kind:     global_buffer
      - .actual_access:  read_only
        .address_space:  global
        .offset:         40
        .size:           8
        .value_kind:     global_buffer
      - .offset:         48
        .size:           4
        .value_kind:     by_value
      - .offset:         52
        .size:           4
        .value_kind:     by_value
      - .actual_access:  read_only
        .address_space:  global
        .offset:         56
        .size:           8
        .value_kind:     global_buffer
      - .actual_access:  read_only
        .address_space:  global
        .offset:         64
        .size:           8
        .value_kind:     global_buffer
      - .offset:         72
        .size:           4
        .value_kind:     by_value
      - .actual_access:  read_only
        .address_space:  global
        .offset:         80
        .size:           8
        .value_kind:     global_buffer
      - .offset:         88
        .size:           4
        .value_kind:     by_value
      - .offset:         92
        .size:           4
        .value_kind:     by_value
      - .offset:         96
        .size:           4
        .value_kind:     by_value
      - .address_space:  global
        .offset:         104
        .size:           8
        .value_kind:     global_buffer
      - .address_space:  global
        .offset:         112
        .size:           8
        .value_kind:     global_buffer
      - .offset:         120
        .size:           4
        .value_kind:     by_value
      - .offset:         124
        .size:           4
        .value_kind:     by_value
      - .offset:         128
        .size:           4
        .value_kind:     by_value
      - .offset:         132
        .size:           4
        .value_kind:     by_value
      - .offset:         136
        .size:           4
        .value_kind:     by_value
      - .offset:         144
        .size:           4
        .value_kind:     hidden_block_count_x
      - .offset:         148
        .size:           4
        .value_kind:     hidden_block_count_y
      - .offset:         152
        .size:           4
        .value_kind:     hidden_block_count_z
      - .offset:         156
        .size:           2
        .value_kind:     hidden_group_size_x
      - .offset:         158
        .size:           2
        .value_kind:     hidden_group_size_y
      - .offset:         160
        .size:           2
        .value_kind:     hidden_group_size_z
      - .offset:         162
        .size:           2
        .value_kind:     hidden_remainder_x
      - .offset:         164
        .size:           2
        .value_kind:     hidden_remainder_y
      - .offset:         166
        .size:           2
        .value_kind:     hidden_remainder_z
      - .offset:         184
        .size:           8
        .value_kind:     hidden_global_offset_x
      - .offset:         192
        .size:           8
        .value_kind:     hidden_global_offset_y
      - .offset:         200
        .size:           8
        .value_kind:     hidden_global_offset_z
      - .offset:         208
        .size:           2
        .value_kind:     hidden_grid_dims
      - .offset:         264
        .size:           4
        .value_kind:     hidden_dynamic_lds_size
    .group_segment_fixed_size: 352
    .kernarg_segment_align: 8
    .kernarg_segment_size: 400
    .language:       OpenCL C
    .language_version:
      - 2
      - 0
    .max_flat_workgroup_size: 1024
    .name:           _ZN4vllm25paged_attention_v2_kernelIffLi80ELi16ELi128ELNS_18Fp8KVCacheDataTypeE0ELb1ELi512EEEvPfS2_PT_PKS3_PKT0_S9_ifPKiSB_iPKfiiiSD_SD_iiiii
    .private_segment_fixed_size: 0
    .sgpr_count:     48
    .sgpr_spill_count: 0
    .symbol:         _ZN4vllm25paged_attention_v2_kernelIffLi80ELi16ELi128ELNS_18Fp8KVCacheDataTypeE0ELb1ELi512EEEvPfS2_PT_PKS3_PKT0_S9_ifPKiSB_iPKfiiiSD_SD_iiiii.kd
    .uniform_work_group_size: 1
    .uses_dynamic_stack: false
    .vgpr_count:     74
    .vgpr_spill_count: 0
    .wavefront_size: 32
    .workgroup_processor_mode: 1
  - .args:
      - .actual_access:  write_only
        .address_space:  global
        .offset:         0
        .size:           8
        .value_kind:     global_buffer
      - .actual_access:  write_only
        .address_space:  global
        .offset:         8
        .size:           8
        .value_kind:     global_buffer
      - .actual_access:  write_only
        .address_space:  global
        .offset:         16
        .size:           8
        .value_kind:     global_buffer
      - .actual_access:  read_only
        .address_space:  global
        .offset:         24
        .size:           8
        .value_kind:     global_buffer
      - .actual_access:  read_only
        .address_space:  global
        .offset:         32
        .size:           8
        .value_kind:     global_buffer
      - .actual_access:  read_only
        .address_space:  global
        .offset:         40
        .size:           8
        .value_kind:     global_buffer
      - .offset:         48
        .size:           4
        .value_kind:     by_value
      - .offset:         52
        .size:           4
        .value_kind:     by_value
      - .actual_access:  read_only
        .address_space:  global
        .offset:         56
        .size:           8
        .value_kind:     global_buffer
      - .actual_access:  read_only
        .address_space:  global
        .offset:         64
        .size:           8
        .value_kind:     global_buffer
      - .offset:         72
        .size:           4
        .value_kind:     by_value
      - .actual_access:  read_only
        .address_space:  global
        .offset:         80
        .size:           8
        .value_kind:     global_buffer
      - .offset:         88
        .size:           4
        .value_kind:     by_value
      - .offset:         92
        .size:           4
        .value_kind:     by_value
      - .offset:         96
        .size:           4
        .value_kind:     by_value
      - .address_space:  global
        .offset:         104
        .size:           8
        .value_kind:     global_buffer
      - .address_space:  global
        .offset:         112
        .size:           8
        .value_kind:     global_buffer
      - .offset:         120
        .size:           4
        .value_kind:     by_value
      - .offset:         124
        .size:           4
        .value_kind:     by_value
      - .offset:         128
        .size:           4
        .value_kind:     by_value
      - .offset:         132
        .size:           4
        .value_kind:     by_value
      - .offset:         136
        .size:           4
        .value_kind:     by_value
      - .offset:         144
        .size:           4
        .value_kind:     hidden_block_count_x
      - .offset:         148
        .size:           4
        .value_kind:     hidden_block_count_y
      - .offset:         152
        .size:           4
        .value_kind:     hidden_block_count_z
      - .offset:         156
        .size:           2
        .value_kind:     hidden_group_size_x
      - .offset:         158
        .size:           2
        .value_kind:     hidden_group_size_y
      - .offset:         160
        .size:           2
        .value_kind:     hidden_group_size_z
      - .offset:         162
        .size:           2
        .value_kind:     hidden_remainder_x
      - .offset:         164
        .size:           2
        .value_kind:     hidden_remainder_y
      - .offset:         166
        .size:           2
        .value_kind:     hidden_remainder_z
      - .offset:         184
        .size:           8
        .value_kind:     hidden_global_offset_x
      - .offset:         192
        .size:           8
        .value_kind:     hidden_global_offset_y
      - .offset:         200
        .size:           8
        .value_kind:     hidden_global_offset_z
      - .offset:         208
        .size:           2
        .value_kind:     hidden_grid_dims
      - .offset:         264
        .size:           4
        .value_kind:     hidden_dynamic_lds_size
    .group_segment_fixed_size: 416
    .kernarg_segment_align: 8
    .kernarg_segment_size: 400
    .language:       OpenCL C
    .language_version:
      - 2
      - 0
    .max_flat_workgroup_size: 1024
    .name:           _ZN4vllm25paged_attention_v2_kernelIffLi96ELi16ELi128ELNS_18Fp8KVCacheDataTypeE0ELb1ELi512EEEvPfS2_PT_PKS3_PKT0_S9_ifPKiSB_iPKfiiiSD_SD_iiiii
    .private_segment_fixed_size: 0
    .sgpr_count:     48
    .sgpr_spill_count: 0
    .symbol:         _ZN4vllm25paged_attention_v2_kernelIffLi96ELi16ELi128ELNS_18Fp8KVCacheDataTypeE0ELb1ELi512EEEvPfS2_PT_PKS3_PKT0_S9_ifPKiSB_iPKfiiiSD_SD_iiiii.kd
    .uniform_work_group_size: 1
    .uses_dynamic_stack: false
    .vgpr_count:     83
    .vgpr_spill_count: 0
    .wavefront_size: 32
    .workgroup_processor_mode: 1
  - .args:
      - .actual_access:  write_only
        .address_space:  global
        .offset:         0
        .size:           8
        .value_kind:     global_buffer
      - .actual_access:  write_only
        .address_space:  global
        .offset:         8
        .size:           8
        .value_kind:     global_buffer
      - .actual_access:  write_only
        .address_space:  global
        .offset:         16
        .size:           8
        .value_kind:     global_buffer
      - .actual_access:  read_only
        .address_space:  global
        .offset:         24
        .size:           8
        .value_kind:     global_buffer
      - .actual_access:  read_only
        .address_space:  global
        .offset:         32
        .size:           8
        .value_kind:     global_buffer
      - .actual_access:  read_only
        .address_space:  global
        .offset:         40
        .size:           8
        .value_kind:     global_buffer
      - .offset:         48
        .size:           4
        .value_kind:     by_value
      - .offset:         52
        .size:           4
        .value_kind:     by_value
      - .actual_access:  read_only
        .address_space:  global
        .offset:         56
        .size:           8
        .value_kind:     global_buffer
      - .actual_access:  read_only
        .address_space:  global
        .offset:         64
        .size:           8
        .value_kind:     global_buffer
      - .offset:         72
        .size:           4
        .value_kind:     by_value
      - .actual_access:  read_only
        .address_space:  global
        .offset:         80
        .size:           8
        .value_kind:     global_buffer
      - .offset:         88
        .size:           4
        .value_kind:     by_value
      - .offset:         92
        .size:           4
        .value_kind:     by_value
      - .offset:         96
        .size:           4
        .value_kind:     by_value
      - .address_space:  global
        .offset:         104
        .size:           8
        .value_kind:     global_buffer
      - .address_space:  global
        .offset:         112
        .size:           8
        .value_kind:     global_buffer
      - .offset:         120
        .size:           4
        .value_kind:     by_value
      - .offset:         124
        .size:           4
        .value_kind:     by_value
      - .offset:         128
        .size:           4
        .value_kind:     by_value
      - .offset:         132
        .size:           4
        .value_kind:     by_value
      - .offset:         136
        .size:           4
        .value_kind:     by_value
      - .offset:         144
        .size:           4
        .value_kind:     hidden_block_count_x
      - .offset:         148
        .size:           4
        .value_kind:     hidden_block_count_y
      - .offset:         152
        .size:           4
        .value_kind:     hidden_block_count_z
      - .offset:         156
        .size:           2
        .value_kind:     hidden_group_size_x
      - .offset:         158
        .size:           2
        .value_kind:     hidden_group_size_y
      - .offset:         160
        .size:           2
        .value_kind:     hidden_group_size_z
      - .offset:         162
        .size:           2
        .value_kind:     hidden_remainder_x
      - .offset:         164
        .size:           2
        .value_kind:     hidden_remainder_y
      - .offset:         166
        .size:           2
        .value_kind:     hidden_remainder_z
      - .offset:         184
        .size:           8
        .value_kind:     hidden_global_offset_x
      - .offset:         192
        .size:           8
        .value_kind:     hidden_global_offset_y
      - .offset:         200
        .size:           8
        .value_kind:     hidden_global_offset_z
      - .offset:         208
        .size:           2
        .value_kind:     hidden_grid_dims
      - .offset:         264
        .size:           4
        .value_kind:     hidden_dynamic_lds_size
    .group_segment_fixed_size: 480
    .kernarg_segment_align: 8
    .kernarg_segment_size: 400
    .language:       OpenCL C
    .language_version:
      - 2
      - 0
    .max_flat_workgroup_size: 1024
    .name:           _ZN4vllm25paged_attention_v2_kernelIffLi112ELi16ELi128ELNS_18Fp8KVCacheDataTypeE0ELb1ELi512EEEvPfS2_PT_PKS3_PKT0_S9_ifPKiSB_iPKfiiiSD_SD_iiiii
    .private_segment_fixed_size: 0
    .sgpr_count:     48
    .sgpr_spill_count: 0
    .symbol:         _ZN4vllm25paged_attention_v2_kernelIffLi112ELi16ELi128ELNS_18Fp8KVCacheDataTypeE0ELb1ELi512EEEvPfS2_PT_PKS3_PKT0_S9_ifPKiSB_iPKfiiiSD_SD_iiiii.kd
    .uniform_work_group_size: 1
    .uses_dynamic_stack: false
    .vgpr_count:     93
    .vgpr_spill_count: 0
    .wavefront_size: 32
    .workgroup_processor_mode: 1
  - .args:
      - .actual_access:  write_only
        .address_space:  global
        .offset:         0
        .size:           8
        .value_kind:     global_buffer
      - .actual_access:  write_only
        .address_space:  global
        .offset:         8
        .size:           8
        .value_kind:     global_buffer
      - .actual_access:  write_only
        .address_space:  global
        .offset:         16
        .size:           8
        .value_kind:     global_buffer
      - .actual_access:  read_only
        .address_space:  global
        .offset:         24
        .size:           8
        .value_kind:     global_buffer
      - .actual_access:  read_only
        .address_space:  global
        .offset:         32
        .size:           8
        .value_kind:     global_buffer
      - .actual_access:  read_only
        .address_space:  global
        .offset:         40
        .size:           8
        .value_kind:     global_buffer
      - .offset:         48
        .size:           4
        .value_kind:     by_value
      - .offset:         52
        .size:           4
        .value_kind:     by_value
      - .actual_access:  read_only
        .address_space:  global
        .offset:         56
        .size:           8
        .value_kind:     global_buffer
      - .actual_access:  read_only
        .address_space:  global
        .offset:         64
        .size:           8
        .value_kind:     global_buffer
      - .offset:         72
        .size:           4
        .value_kind:     by_value
      - .actual_access:  read_only
        .address_space:  global
        .offset:         80
        .size:           8
        .value_kind:     global_buffer
      - .offset:         88
        .size:           4
        .value_kind:     by_value
      - .offset:         92
        .size:           4
        .value_kind:     by_value
      - .offset:         96
        .size:           4
        .value_kind:     by_value
      - .address_space:  global
        .offset:         104
        .size:           8
        .value_kind:     global_buffer
      - .address_space:  global
        .offset:         112
        .size:           8
        .value_kind:     global_buffer
      - .offset:         120
        .size:           4
        .value_kind:     by_value
      - .offset:         124
        .size:           4
        .value_kind:     by_value
      - .offset:         128
        .size:           4
        .value_kind:     by_value
      - .offset:         132
        .size:           4
        .value_kind:     by_value
      - .offset:         136
        .size:           4
        .value_kind:     by_value
      - .offset:         144
        .size:           4
        .value_kind:     hidden_block_count_x
      - .offset:         148
        .size:           4
        .value_kind:     hidden_block_count_y
      - .offset:         152
        .size:           4
        .value_kind:     hidden_block_count_z
      - .offset:         156
        .size:           2
        .value_kind:     hidden_group_size_x
      - .offset:         158
        .size:           2
        .value_kind:     hidden_group_size_y
      - .offset:         160
        .size:           2
        .value_kind:     hidden_group_size_z
      - .offset:         162
        .size:           2
        .value_kind:     hidden_remainder_x
      - .offset:         164
        .size:           2
        .value_kind:     hidden_remainder_y
      - .offset:         166
        .size:           2
        .value_kind:     hidden_remainder_z
      - .offset:         184
        .size:           8
        .value_kind:     hidden_global_offset_x
      - .offset:         192
        .size:           8
        .value_kind:     hidden_global_offset_y
      - .offset:         200
        .size:           8
        .value_kind:     hidden_global_offset_z
      - .offset:         208
        .size:           2
        .value_kind:     hidden_grid_dims
      - .offset:         264
        .size:           4
        .value_kind:     hidden_dynamic_lds_size
    .group_segment_fixed_size: 512
    .kernarg_segment_align: 8
    .kernarg_segment_size: 400
    .language:       OpenCL C
    .language_version:
      - 2
      - 0
    .max_flat_workgroup_size: 1024
    .name:           _ZN4vllm25paged_attention_v2_kernelIffLi120ELi16ELi128ELNS_18Fp8KVCacheDataTypeE0ELb1ELi512EEEvPfS2_PT_PKS3_PKT0_S9_ifPKiSB_iPKfiiiSD_SD_iiiii
    .private_segment_fixed_size: 0
    .sgpr_count:     48
    .sgpr_spill_count: 0
    .symbol:         _ZN4vllm25paged_attention_v2_kernelIffLi120ELi16ELi128ELNS_18Fp8KVCacheDataTypeE0ELb1ELi512EEEvPfS2_PT_PKS3_PKT0_S9_ifPKiSB_iPKfiiiSD_SD_iiiii.kd
    .uniform_work_group_size: 1
    .uses_dynamic_stack: false
    .vgpr_count:     98
    .vgpr_spill_count: 0
    .wavefront_size: 32
    .workgroup_processor_mode: 1
  - .args:
      - .actual_access:  write_only
        .address_space:  global
        .offset:         0
        .size:           8
        .value_kind:     global_buffer
      - .actual_access:  write_only
        .address_space:  global
        .offset:         8
        .size:           8
        .value_kind:     global_buffer
      - .actual_access:  write_only
        .address_space:  global
        .offset:         16
        .size:           8
        .value_kind:     global_buffer
      - .actual_access:  read_only
        .address_space:  global
        .offset:         24
        .size:           8
        .value_kind:     global_buffer
      - .actual_access:  read_only
        .address_space:  global
        .offset:         32
        .size:           8
        .value_kind:     global_buffer
      - .actual_access:  read_only
        .address_space:  global
        .offset:         40
        .size:           8
        .value_kind:     global_buffer
      - .offset:         48
        .size:           4
        .value_kind:     by_value
      - .offset:         52
        .size:           4
        .value_kind:     by_value
      - .actual_access:  read_only
        .address_space:  global
        .offset:         56
        .size:           8
        .value_kind:     global_buffer
      - .actual_access:  read_only
        .address_space:  global
        .offset:         64
        .size:           8
        .value_kind:     global_buffer
      - .offset:         72
        .size:           4
        .value_kind:     by_value
      - .actual_access:  read_only
        .address_space:  global
        .offset:         80
        .size:           8
        .value_kind:     global_buffer
      - .offset:         88
        .size:           4
        .value_kind:     by_value
      - .offset:         92
        .size:           4
        .value_kind:     by_value
      - .offset:         96
        .size:           4
        .value_kind:     by_value
      - .address_space:  global
        .offset:         104
        .size:           8
        .value_kind:     global_buffer
      - .address_space:  global
        .offset:         112
        .size:           8
        .value_kind:     global_buffer
      - .offset:         120
        .size:           4
        .value_kind:     by_value
      - .offset:         124
        .size:           4
        .value_kind:     by_value
      - .offset:         128
        .size:           4
        .value_kind:     by_value
      - .offset:         132
        .size:           4
        .value_kind:     by_value
      - .offset:         136
        .size:           4
        .value_kind:     by_value
      - .offset:         144
        .size:           4
        .value_kind:     hidden_block_count_x
      - .offset:         148
        .size:           4
        .value_kind:     hidden_block_count_y
      - .offset:         152
        .size:           4
        .value_kind:     hidden_block_count_z
      - .offset:         156
        .size:           2
        .value_kind:     hidden_group_size_x
      - .offset:         158
        .size:           2
        .value_kind:     hidden_group_size_y
      - .offset:         160
        .size:           2
        .value_kind:     hidden_group_size_z
      - .offset:         162
        .size:           2
        .value_kind:     hidden_remainder_x
      - .offset:         164
        .size:           2
        .value_kind:     hidden_remainder_y
      - .offset:         166
        .size:           2
        .value_kind:     hidden_remainder_z
      - .offset:         184
        .size:           8
        .value_kind:     hidden_global_offset_x
      - .offset:         192
        .size:           8
        .value_kind:     hidden_global_offset_y
      - .offset:         200
        .size:           8
        .value_kind:     hidden_global_offset_z
      - .offset:         208
        .size:           2
        .value_kind:     hidden_grid_dims
      - .offset:         264
        .size:           4
        .value_kind:     hidden_dynamic_lds_size
    .group_segment_fixed_size: 544
    .kernarg_segment_align: 8
    .kernarg_segment_size: 400
    .language:       OpenCL C
    .language_version:
      - 2
      - 0
    .max_flat_workgroup_size: 1024
    .name:           _ZN4vllm25paged_attention_v2_kernelIffLi128ELi16ELi128ELNS_18Fp8KVCacheDataTypeE0ELb1ELi512EEEvPfS2_PT_PKS3_PKT0_S9_ifPKiSB_iPKfiiiSD_SD_iiiii
    .private_segment_fixed_size: 0
    .sgpr_count:     48
    .sgpr_spill_count: 0
    .symbol:         _ZN4vllm25paged_attention_v2_kernelIffLi128ELi16ELi128ELNS_18Fp8KVCacheDataTypeE0ELb1ELi512EEEvPfS2_PT_PKS3_PKT0_S9_ifPKiSB_iPKfiiiSD_SD_iiiii.kd
    .uniform_work_group_size: 1
    .uses_dynamic_stack: false
    .vgpr_count:     103
    .vgpr_spill_count: 0
    .wavefront_size: 32
    .workgroup_processor_mode: 1
  - .args:
      - .actual_access:  write_only
        .address_space:  global
        .offset:         0
        .size:           8
        .value_kind:     global_buffer
      - .actual_access:  write_only
        .address_space:  global
        .offset:         8
        .size:           8
        .value_kind:     global_buffer
      - .actual_access:  write_only
        .address_space:  global
        .offset:         16
        .size:           8
        .value_kind:     global_buffer
      - .actual_access:  read_only
        .address_space:  global
        .offset:         24
        .size:           8
        .value_kind:     global_buffer
      - .actual_access:  read_only
        .address_space:  global
        .offset:         32
        .size:           8
        .value_kind:     global_buffer
      - .actual_access:  read_only
        .address_space:  global
        .offset:         40
        .size:           8
        .value_kind:     global_buffer
      - .offset:         48
        .size:           4
        .value_kind:     by_value
      - .offset:         52
        .size:           4
        .value_kind:     by_value
      - .actual_access:  read_only
        .address_space:  global
        .offset:         56
        .size:           8
        .value_kind:     global_buffer
      - .actual_access:  read_only
        .address_space:  global
        .offset:         64
        .size:           8
        .value_kind:     global_buffer
      - .offset:         72
        .size:           4
        .value_kind:     by_value
      - .actual_access:  read_only
        .address_space:  global
        .offset:         80
        .size:           8
        .value_kind:     global_buffer
      - .offset:         88
        .size:           4
        .value_kind:     by_value
      - .offset:         92
        .size:           4
        .value_kind:     by_value
      - .offset:         96
        .size:           4
        .value_kind:     by_value
      - .address_space:  global
        .offset:         104
        .size:           8
        .value_kind:     global_buffer
      - .address_space:  global
        .offset:         112
        .size:           8
        .value_kind:     global_buffer
      - .offset:         120
        .size:           4
        .value_kind:     by_value
      - .offset:         124
        .size:           4
        .value_kind:     by_value
      - .offset:         128
        .size:           4
        .value_kind:     by_value
      - .offset:         132
        .size:           4
        .value_kind:     by_value
      - .offset:         136
        .size:           4
        .value_kind:     by_value
      - .offset:         144
        .size:           4
        .value_kind:     hidden_block_count_x
      - .offset:         148
        .size:           4
        .value_kind:     hidden_block_count_y
      - .offset:         152
        .size:           4
        .value_kind:     hidden_block_count_z
      - .offset:         156
        .size:           2
        .value_kind:     hidden_group_size_x
      - .offset:         158
        .size:           2
        .value_kind:     hidden_group_size_y
      - .offset:         160
        .size:           2
        .value_kind:     hidden_group_size_z
      - .offset:         162
        .size:           2
        .value_kind:     hidden_remainder_x
      - .offset:         164
        .size:           2
        .value_kind:     hidden_remainder_y
      - .offset:         166
        .size:           2
        .value_kind:     hidden_remainder_z
      - .offset:         184
        .size:           8
        .value_kind:     hidden_global_offset_x
      - .offset:         192
        .size:           8
        .value_kind:     hidden_global_offset_y
      - .offset:         200
        .size:           8
        .value_kind:     hidden_global_offset_z
      - .offset:         208
        .size:           2
        .value_kind:     hidden_grid_dims
      - .offset:         264
        .size:           4
        .value_kind:     hidden_dynamic_lds_size
    .group_segment_fixed_size: 800
    .kernarg_segment_align: 8
    .kernarg_segment_size: 400
    .language:       OpenCL C
    .language_version:
      - 2
      - 0
    .max_flat_workgroup_size: 1024
    .name:           _ZN4vllm25paged_attention_v2_kernelIffLi192ELi16ELi128ELNS_18Fp8KVCacheDataTypeE0ELb1ELi512EEEvPfS2_PT_PKS3_PKT0_S9_ifPKiSB_iPKfiiiSD_SD_iiiii
    .private_segment_fixed_size: 64
    .sgpr_count:     54
    .sgpr_spill_count: 0
    .symbol:         _ZN4vllm25paged_attention_v2_kernelIffLi192ELi16ELi128ELNS_18Fp8KVCacheDataTypeE0ELb1ELi512EEEvPfS2_PT_PKS3_PKT0_S9_ifPKiSB_iPKfiiiSD_SD_iiiii.kd
    .uniform_work_group_size: 1
    .uses_dynamic_stack: false
    .vgpr_count:     128
    .vgpr_spill_count: 15
    .wavefront_size: 32
    .workgroup_processor_mode: 1
  - .args:
      - .actual_access:  write_only
        .address_space:  global
        .offset:         0
        .size:           8
        .value_kind:     global_buffer
      - .actual_access:  write_only
        .address_space:  global
        .offset:         8
        .size:           8
        .value_kind:     global_buffer
      - .actual_access:  write_only
        .address_space:  global
        .offset:         16
        .size:           8
        .value_kind:     global_buffer
      - .actual_access:  read_only
        .address_space:  global
        .offset:         24
        .size:           8
        .value_kind:     global_buffer
      - .actual_access:  read_only
        .address_space:  global
        .offset:         32
        .size:           8
        .value_kind:     global_buffer
      - .actual_access:  read_only
        .address_space:  global
        .offset:         40
        .size:           8
        .value_kind:     global_buffer
      - .offset:         48
        .size:           4
        .value_kind:     by_value
      - .offset:         52
        .size:           4
        .value_kind:     by_value
      - .actual_access:  read_only
        .address_space:  global
        .offset:         56
        .size:           8
        .value_kind:     global_buffer
      - .actual_access:  read_only
        .address_space:  global
        .offset:         64
        .size:           8
        .value_kind:     global_buffer
      - .offset:         72
        .size:           4
        .value_kind:     by_value
      - .actual_access:  read_only
        .address_space:  global
        .offset:         80
        .size:           8
        .value_kind:     global_buffer
      - .offset:         88
        .size:           4
        .value_kind:     by_value
      - .offset:         92
        .size:           4
        .value_kind:     by_value
      - .offset:         96
        .size:           4
        .value_kind:     by_value
      - .address_space:  global
        .offset:         104
        .size:           8
        .value_kind:     global_buffer
      - .address_space:  global
        .offset:         112
        .size:           8
        .value_kind:     global_buffer
      - .offset:         120
        .size:           4
        .value_kind:     by_value
      - .offset:         124
        .size:           4
        .value_kind:     by_value
      - .offset:         128
        .size:           4
        .value_kind:     by_value
      - .offset:         132
        .size:           4
        .value_kind:     by_value
      - .offset:         136
        .size:           4
        .value_kind:     by_value
      - .offset:         144
        .size:           4
        .value_kind:     hidden_block_count_x
      - .offset:         148
        .size:           4
        .value_kind:     hidden_block_count_y
      - .offset:         152
        .size:           4
        .value_kind:     hidden_block_count_z
      - .offset:         156
        .size:           2
        .value_kind:     hidden_group_size_x
      - .offset:         158
        .size:           2
        .value_kind:     hidden_group_size_y
      - .offset:         160
        .size:           2
        .value_kind:     hidden_group_size_z
      - .offset:         162
        .size:           2
        .value_kind:     hidden_remainder_x
      - .offset:         164
        .size:           2
        .value_kind:     hidden_remainder_y
      - .offset:         166
        .size:           2
        .value_kind:     hidden_remainder_z
      - .offset:         184
        .size:           8
        .value_kind:     hidden_global_offset_x
      - .offset:         192
        .size:           8
        .value_kind:     hidden_global_offset_y
      - .offset:         200
        .size:           8
        .value_kind:     hidden_global_offset_z
      - .offset:         208
        .size:           2
        .value_kind:     hidden_grid_dims
      - .offset:         264
        .size:           4
        .value_kind:     hidden_dynamic_lds_size
    .group_segment_fixed_size: 1056
    .kernarg_segment_align: 8
    .kernarg_segment_size: 400
    .language:       OpenCL C
    .language_version:
      - 2
      - 0
    .max_flat_workgroup_size: 1024
    .name:           _ZN4vllm25paged_attention_v2_kernelIffLi256ELi16ELi128ELNS_18Fp8KVCacheDataTypeE0ELb1ELi512EEEvPfS2_PT_PKS3_PKT0_S9_ifPKiSB_iPKfiiiSD_SD_iiiii
    .private_segment_fixed_size: 232
    .sgpr_count:     54
    .sgpr_spill_count: 0
    .symbol:         _ZN4vllm25paged_attention_v2_kernelIffLi256ELi16ELi128ELNS_18Fp8KVCacheDataTypeE0ELb1ELi512EEEvPfS2_PT_PKS3_PKT0_S9_ifPKiSB_iPKfiiiSD_SD_iiiii.kd
    .uniform_work_group_size: 1
    .uses_dynamic_stack: false
    .vgpr_count:     128
    .vgpr_spill_count: 71
    .wavefront_size: 32
    .workgroup_processor_mode: 1
  - .args:
      - .actual_access:  write_only
        .address_space:  global
        .offset:         0
        .size:           8
        .value_kind:     global_buffer
      - .actual_access:  write_only
        .address_space:  global
        .offset:         8
        .size:           8
        .value_kind:     global_buffer
      - .actual_access:  write_only
        .address_space:  global
        .offset:         16
        .size:           8
        .value_kind:     global_buffer
      - .actual_access:  read_only
        .address_space:  global
        .offset:         24
        .size:           8
        .value_kind:     global_buffer
      - .actual_access:  read_only
        .address_space:  global
        .offset:         32
        .size:           8
        .value_kind:     global_buffer
      - .actual_access:  read_only
        .address_space:  global
        .offset:         40
        .size:           8
        .value_kind:     global_buffer
      - .offset:         48
        .size:           4
        .value_kind:     by_value
      - .offset:         52
        .size:           4
        .value_kind:     by_value
      - .actual_access:  read_only
        .address_space:  global
        .offset:         56
        .size:           8
        .value_kind:     global_buffer
      - .actual_access:  read_only
        .address_space:  global
        .offset:         64
        .size:           8
        .value_kind:     global_buffer
      - .offset:         72
        .size:           4
        .value_kind:     by_value
      - .actual_access:  read_only
        .address_space:  global
        .offset:         80
        .size:           8
        .value_kind:     global_buffer
      - .offset:         88
        .size:           4
        .value_kind:     by_value
      - .offset:         92
        .size:           4
        .value_kind:     by_value
      - .offset:         96
        .size:           4
        .value_kind:     by_value
      - .address_space:  global
        .offset:         104
        .size:           8
        .value_kind:     global_buffer
      - .address_space:  global
        .offset:         112
        .size:           8
        .value_kind:     global_buffer
      - .offset:         120
        .size:           4
        .value_kind:     by_value
      - .offset:         124
        .size:           4
        .value_kind:     by_value
      - .offset:         128
        .size:           4
        .value_kind:     by_value
      - .offset:         132
        .size:           4
        .value_kind:     by_value
      - .offset:         136
        .size:           4
        .value_kind:     by_value
      - .offset:         144
        .size:           4
        .value_kind:     hidden_block_count_x
      - .offset:         148
        .size:           4
        .value_kind:     hidden_block_count_y
      - .offset:         152
        .size:           4
        .value_kind:     hidden_block_count_z
      - .offset:         156
        .size:           2
        .value_kind:     hidden_group_size_x
      - .offset:         158
        .size:           2
        .value_kind:     hidden_group_size_y
      - .offset:         160
        .size:           2
        .value_kind:     hidden_group_size_z
      - .offset:         162
        .size:           2
        .value_kind:     hidden_remainder_x
      - .offset:         164
        .size:           2
        .value_kind:     hidden_remainder_y
      - .offset:         166
        .size:           2
        .value_kind:     hidden_remainder_z
      - .offset:         184
        .size:           8
        .value_kind:     hidden_global_offset_x
      - .offset:         192
        .size:           8
        .value_kind:     hidden_global_offset_y
      - .offset:         200
        .size:           8
        .value_kind:     hidden_global_offset_z
      - .offset:         208
        .size:           2
        .value_kind:     hidden_grid_dims
      - .offset:         264
        .size:           4
        .value_kind:     hidden_dynamic_lds_size
    .group_segment_fixed_size: 160
    .kernarg_segment_align: 8
    .kernarg_segment_size: 400
    .language:       OpenCL C
    .language_version:
      - 2
      - 0
    .max_flat_workgroup_size: 1024
    .name:           _ZN4vllm25paged_attention_v2_kernelIffLi32ELi16ELi128ELNS_18Fp8KVCacheDataTypeE0ELb0ELi512EEEvPfS2_PT_PKS3_PKT0_S9_ifPKiSB_iPKfiiiSD_SD_iiiii
    .private_segment_fixed_size: 0
    .sgpr_count:     38
    .sgpr_spill_count: 0
    .symbol:         _ZN4vllm25paged_attention_v2_kernelIffLi32ELi16ELi128ELNS_18Fp8KVCacheDataTypeE0ELb0ELi512EEEvPfS2_PT_PKS3_PKT0_S9_ifPKiSB_iPKfiiiSD_SD_iiiii.kd
    .uniform_work_group_size: 1
    .uses_dynamic_stack: false
    .vgpr_count:     49
    .vgpr_spill_count: 0
    .wavefront_size: 32
    .workgroup_processor_mode: 1
  - .args:
      - .actual_access:  write_only
        .address_space:  global
        .offset:         0
        .size:           8
        .value_kind:     global_buffer
      - .actual_access:  write_only
        .address_space:  global
        .offset:         8
        .size:           8
        .value_kind:     global_buffer
      - .actual_access:  write_only
        .address_space:  global
        .offset:         16
        .size:           8
        .value_kind:     global_buffer
      - .actual_access:  read_only
        .address_space:  global
        .offset:         24
        .size:           8
        .value_kind:     global_buffer
      - .actual_access:  read_only
        .address_space:  global
        .offset:         32
        .size:           8
        .value_kind:     global_buffer
      - .actual_access:  read_only
        .address_space:  global
        .offset:         40
        .size:           8
        .value_kind:     global_buffer
      - .offset:         48
        .size:           4
        .value_kind:     by_value
      - .offset:         52
        .size:           4
        .value_kind:     by_value
      - .actual_access:  read_only
        .address_space:  global
        .offset:         56
        .size:           8
        .value_kind:     global_buffer
      - .actual_access:  read_only
        .address_space:  global
        .offset:         64
        .size:           8
        .value_kind:     global_buffer
      - .offset:         72
        .size:           4
        .value_kind:     by_value
      - .actual_access:  read_only
        .address_space:  global
        .offset:         80
        .size:           8
        .value_kind:     global_buffer
      - .offset:         88
        .size:           4
        .value_kind:     by_value
      - .offset:         92
        .size:           4
        .value_kind:     by_value
      - .offset:         96
        .size:           4
        .value_kind:     by_value
      - .address_space:  global
        .offset:         104
        .size:           8
        .value_kind:     global_buffer
      - .address_space:  global
        .offset:         112
        .size:           8
        .value_kind:     global_buffer
      - .offset:         120
        .size:           4
        .value_kind:     by_value
      - .offset:         124
        .size:           4
        .value_kind:     by_value
      - .offset:         128
        .size:           4
        .value_kind:     by_value
      - .offset:         132
        .size:           4
        .value_kind:     by_value
      - .offset:         136
        .size:           4
        .value_kind:     by_value
      - .offset:         144
        .size:           4
        .value_kind:     hidden_block_count_x
      - .offset:         148
        .size:           4
        .value_kind:     hidden_block_count_y
      - .offset:         152
        .size:           4
        .value_kind:     hidden_block_count_z
      - .offset:         156
        .size:           2
        .value_kind:     hidden_group_size_x
      - .offset:         158
        .size:           2
        .value_kind:     hidden_group_size_y
      - .offset:         160
        .size:           2
        .value_kind:     hidden_group_size_z
      - .offset:         162
        .size:           2
        .value_kind:     hidden_remainder_x
      - .offset:         164
        .size:           2
        .value_kind:     hidden_remainder_y
      - .offset:         166
        .size:           2
        .value_kind:     hidden_remainder_z
      - .offset:         184
        .size:           8
        .value_kind:     hidden_global_offset_x
      - .offset:         192
        .size:           8
        .value_kind:     hidden_global_offset_y
      - .offset:         200
        .size:           8
        .value_kind:     hidden_global_offset_z
      - .offset:         208
        .size:           2
        .value_kind:     hidden_grid_dims
      - .offset:         264
        .size:           4
        .value_kind:     hidden_dynamic_lds_size
    .group_segment_fixed_size: 288
    .kernarg_segment_align: 8
    .kernarg_segment_size: 400
    .language:       OpenCL C
    .language_version:
      - 2
      - 0
    .max_flat_workgroup_size: 1024
    .name:           _ZN4vllm25paged_attention_v2_kernelIffLi64ELi16ELi128ELNS_18Fp8KVCacheDataTypeE0ELb0ELi512EEEvPfS2_PT_PKS3_PKT0_S9_ifPKiSB_iPKfiiiSD_SD_iiiii
    .private_segment_fixed_size: 0
    .sgpr_count:     40
    .sgpr_spill_count: 0
    .symbol:         _ZN4vllm25paged_attention_v2_kernelIffLi64ELi16ELi128ELNS_18Fp8KVCacheDataTypeE0ELb0ELi512EEEvPfS2_PT_PKS3_PKT0_S9_ifPKiSB_iPKfiiiSD_SD_iiiii.kd
    .uniform_work_group_size: 1
    .uses_dynamic_stack: false
    .vgpr_count:     81
    .vgpr_spill_count: 0
    .wavefront_size: 32
    .workgroup_processor_mode: 1
  - .args:
      - .actual_access:  write_only
        .address_space:  global
        .offset:         0
        .size:           8
        .value_kind:     global_buffer
      - .actual_access:  write_only
        .address_space:  global
        .offset:         8
        .size:           8
        .value_kind:     global_buffer
      - .actual_access:  write_only
        .address_space:  global
        .offset:         16
        .size:           8
        .value_kind:     global_buffer
      - .actual_access:  read_only
        .address_space:  global
        .offset:         24
        .size:           8
        .value_kind:     global_buffer
      - .actual_access:  read_only
        .address_space:  global
        .offset:         32
        .size:           8
        .value_kind:     global_buffer
      - .actual_access:  read_only
        .address_space:  global
        .offset:         40
        .size:           8
        .value_kind:     global_buffer
      - .offset:         48
        .size:           4
        .value_kind:     by_value
      - .offset:         52
        .size:           4
        .value_kind:     by_value
      - .actual_access:  read_only
        .address_space:  global
        .offset:         56
        .size:           8
        .value_kind:     global_buffer
      - .actual_access:  read_only
        .address_space:  global
        .offset:         64
        .size:           8
        .value_kind:     global_buffer
      - .offset:         72
        .size:           4
        .value_kind:     by_value
      - .actual_access:  read_only
        .address_space:  global
        .offset:         80
        .size:           8
        .value_kind:     global_buffer
      - .offset:         88
        .size:           4
        .value_kind:     by_value
      - .offset:         92
        .size:           4
        .value_kind:     by_value
      - .offset:         96
        .size:           4
        .value_kind:     by_value
      - .address_space:  global
        .offset:         104
        .size:           8
        .value_kind:     global_buffer
      - .address_space:  global
        .offset:         112
        .size:           8
        .value_kind:     global_buffer
      - .offset:         120
        .size:           4
        .value_kind:     by_value
      - .offset:         124
        .size:           4
        .value_kind:     by_value
      - .offset:         128
        .size:           4
        .value_kind:     by_value
      - .offset:         132
        .size:           4
        .value_kind:     by_value
      - .offset:         136
        .size:           4
        .value_kind:     by_value
      - .offset:         144
        .size:           4
        .value_kind:     hidden_block_count_x
      - .offset:         148
        .size:           4
        .value_kind:     hidden_block_count_y
      - .offset:         152
        .size:           4
        .value_kind:     hidden_block_count_z
      - .offset:         156
        .size:           2
        .value_kind:     hidden_group_size_x
      - .offset:         158
        .size:           2
        .value_kind:     hidden_group_size_y
      - .offset:         160
        .size:           2
        .value_kind:     hidden_group_size_z
      - .offset:         162
        .size:           2
        .value_kind:     hidden_remainder_x
      - .offset:         164
        .size:           2
        .value_kind:     hidden_remainder_y
      - .offset:         166
        .size:           2
        .value_kind:     hidden_remainder_z
      - .offset:         184
        .size:           8
        .value_kind:     hidden_global_offset_x
      - .offset:         192
        .size:           8
        .value_kind:     hidden_global_offset_y
      - .offset:         200
        .size:           8
        .value_kind:     hidden_global_offset_z
      - .offset:         208
        .size:           2
        .value_kind:     hidden_grid_dims
      - .offset:         264
        .size:           4
        .value_kind:     hidden_dynamic_lds_size
    .group_segment_fixed_size: 352
    .kernarg_segment_align: 8
    .kernarg_segment_size: 400
    .language:       OpenCL C
    .language_version:
      - 2
      - 0
    .max_flat_workgroup_size: 1024
    .name:           _ZN4vllm25paged_attention_v2_kernelIffLi80ELi16ELi128ELNS_18Fp8KVCacheDataTypeE0ELb0ELi512EEEvPfS2_PT_PKS3_PKT0_S9_ifPKiSB_iPKfiiiSD_SD_iiiii
    .private_segment_fixed_size: 0
    .sgpr_count:     38
    .sgpr_spill_count: 0
    .symbol:         _ZN4vllm25paged_attention_v2_kernelIffLi80ELi16ELi128ELNS_18Fp8KVCacheDataTypeE0ELb0ELi512EEEvPfS2_PT_PKS3_PKT0_S9_ifPKiSB_iPKfiiiSD_SD_iiiii.kd
    .uniform_work_group_size: 1
    .uses_dynamic_stack: false
    .vgpr_count:     87
    .vgpr_spill_count: 0
    .wavefront_size: 32
    .workgroup_processor_mode: 1
  - .args:
      - .actual_access:  write_only
        .address_space:  global
        .offset:         0
        .size:           8
        .value_kind:     global_buffer
      - .actual_access:  write_only
        .address_space:  global
        .offset:         8
        .size:           8
        .value_kind:     global_buffer
      - .actual_access:  write_only
        .address_space:  global
        .offset:         16
        .size:           8
        .value_kind:     global_buffer
      - .actual_access:  read_only
        .address_space:  global
        .offset:         24
        .size:           8
        .value_kind:     global_buffer
      - .actual_access:  read_only
        .address_space:  global
        .offset:         32
        .size:           8
        .value_kind:     global_buffer
      - .actual_access:  read_only
        .address_space:  global
        .offset:         40
        .size:           8
        .value_kind:     global_buffer
      - .offset:         48
        .size:           4
        .value_kind:     by_value
      - .offset:         52
        .size:           4
        .value_kind:     by_value
      - .actual_access:  read_only
        .address_space:  global
        .offset:         56
        .size:           8
        .value_kind:     global_buffer
      - .actual_access:  read_only
        .address_space:  global
        .offset:         64
        .size:           8
        .value_kind:     global_buffer
      - .offset:         72
        .size:           4
        .value_kind:     by_value
      - .actual_access:  read_only
        .address_space:  global
        .offset:         80
        .size:           8
        .value_kind:     global_buffer
      - .offset:         88
        .size:           4
        .value_kind:     by_value
      - .offset:         92
        .size:           4
        .value_kind:     by_value
      - .offset:         96
        .size:           4
        .value_kind:     by_value
      - .address_space:  global
        .offset:         104
        .size:           8
        .value_kind:     global_buffer
      - .address_space:  global
        .offset:         112
        .size:           8
        .value_kind:     global_buffer
      - .offset:         120
        .size:           4
        .value_kind:     by_value
      - .offset:         124
        .size:           4
        .value_kind:     by_value
      - .offset:         128
        .size:           4
        .value_kind:     by_value
      - .offset:         132
        .size:           4
        .value_kind:     by_value
      - .offset:         136
        .size:           4
        .value_kind:     by_value
      - .offset:         144
        .size:           4
        .value_kind:     hidden_block_count_x
      - .offset:         148
        .size:           4
        .value_kind:     hidden_block_count_y
      - .offset:         152
        .size:           4
        .value_kind:     hidden_block_count_z
      - .offset:         156
        .size:           2
        .value_kind:     hidden_group_size_x
      - .offset:         158
        .size:           2
        .value_kind:     hidden_group_size_y
      - .offset:         160
        .size:           2
        .value_kind:     hidden_group_size_z
      - .offset:         162
        .size:           2
        .value_kind:     hidden_remainder_x
      - .offset:         164
        .size:           2
        .value_kind:     hidden_remainder_y
      - .offset:         166
        .size:           2
        .value_kind:     hidden_remainder_z
      - .offset:         184
        .size:           8
        .value_kind:     hidden_global_offset_x
      - .offset:         192
        .size:           8
        .value_kind:     hidden_global_offset_y
      - .offset:         200
        .size:           8
        .value_kind:     hidden_global_offset_z
      - .offset:         208
        .size:           2
        .value_kind:     hidden_grid_dims
      - .offset:         264
        .size:           4
        .value_kind:     hidden_dynamic_lds_size
    .group_segment_fixed_size: 416
    .kernarg_segment_align: 8
    .kernarg_segment_size: 400
    .language:       OpenCL C
    .language_version:
      - 2
      - 0
    .max_flat_workgroup_size: 1024
    .name:           _ZN4vllm25paged_attention_v2_kernelIffLi96ELi16ELi128ELNS_18Fp8KVCacheDataTypeE0ELb0ELi512EEEvPfS2_PT_PKS3_PKT0_S9_ifPKiSB_iPKfiiiSD_SD_iiiii
    .private_segment_fixed_size: 0
    .sgpr_count:     38
    .sgpr_spill_count: 0
    .symbol:         _ZN4vllm25paged_attention_v2_kernelIffLi96ELi16ELi128ELNS_18Fp8KVCacheDataTypeE0ELb0ELi512EEEvPfS2_PT_PKS3_PKT0_S9_ifPKiSB_iPKfiiiSD_SD_iiiii.kd
    .uniform_work_group_size: 1
    .uses_dynamic_stack: false
    .vgpr_count:     103
    .vgpr_spill_count: 0
    .wavefront_size: 32
    .workgroup_processor_mode: 1
  - .args:
      - .actual_access:  write_only
        .address_space:  global
        .offset:         0
        .size:           8
        .value_kind:     global_buffer
      - .actual_access:  write_only
        .address_space:  global
        .offset:         8
        .size:           8
        .value_kind:     global_buffer
      - .actual_access:  write_only
        .address_space:  global
        .offset:         16
        .size:           8
        .value_kind:     global_buffer
      - .actual_access:  read_only
        .address_space:  global
        .offset:         24
        .size:           8
        .value_kind:     global_buffer
      - .actual_access:  read_only
        .address_space:  global
        .offset:         32
        .size:           8
        .value_kind:     global_buffer
      - .actual_access:  read_only
        .address_space:  global
        .offset:         40
        .size:           8
        .value_kind:     global_buffer
      - .offset:         48
        .size:           4
        .value_kind:     by_value
      - .offset:         52
        .size:           4
        .value_kind:     by_value
      - .actual_access:  read_only
        .address_space:  global
        .offset:         56
        .size:           8
        .value_kind:     global_buffer
      - .actual_access:  read_only
        .address_space:  global
        .offset:         64
        .size:           8
        .value_kind:     global_buffer
      - .offset:         72
        .size:           4
        .value_kind:     by_value
      - .actual_access:  read_only
        .address_space:  global
        .offset:         80
        .size:           8
        .value_kind:     global_buffer
      - .offset:         88
        .size:           4
        .value_kind:     by_value
      - .offset:         92
        .size:           4
        .value_kind:     by_value
      - .offset:         96
        .size:           4
        .value_kind:     by_value
      - .address_space:  global
        .offset:         104
        .size:           8
        .value_kind:     global_buffer
      - .address_space:  global
        .offset:         112
        .size:           8
        .value_kind:     global_buffer
      - .offset:         120
        .size:           4
        .value_kind:     by_value
      - .offset:         124
        .size:           4
        .value_kind:     by_value
      - .offset:         128
        .size:           4
        .value_kind:     by_value
      - .offset:         132
        .size:           4
        .value_kind:     by_value
      - .offset:         136
        .size:           4
        .value_kind:     by_value
      - .offset:         144
        .size:           4
        .value_kind:     hidden_block_count_x
      - .offset:         148
        .size:           4
        .value_kind:     hidden_block_count_y
      - .offset:         152
        .size:           4
        .value_kind:     hidden_block_count_z
      - .offset:         156
        .size:           2
        .value_kind:     hidden_group_size_x
      - .offset:         158
        .size:           2
        .value_kind:     hidden_group_size_y
      - .offset:         160
        .size:           2
        .value_kind:     hidden_group_size_z
      - .offset:         162
        .size:           2
        .value_kind:     hidden_remainder_x
      - .offset:         164
        .size:           2
        .value_kind:     hidden_remainder_y
      - .offset:         166
        .size:           2
        .value_kind:     hidden_remainder_z
      - .offset:         184
        .size:           8
        .value_kind:     hidden_global_offset_x
      - .offset:         192
        .size:           8
        .value_kind:     hidden_global_offset_y
      - .offset:         200
        .size:           8
        .value_kind:     hidden_global_offset_z
      - .offset:         208
        .size:           2
        .value_kind:     hidden_grid_dims
      - .offset:         264
        .size:           4
        .value_kind:     hidden_dynamic_lds_size
    .group_segment_fixed_size: 480
    .kernarg_segment_align: 8
    .kernarg_segment_size: 400
    .language:       OpenCL C
    .language_version:
      - 2
      - 0
    .max_flat_workgroup_size: 1024
    .name:           _ZN4vllm25paged_attention_v2_kernelIffLi112ELi16ELi128ELNS_18Fp8KVCacheDataTypeE0ELb0ELi512EEEvPfS2_PT_PKS3_PKT0_S9_ifPKiSB_iPKfiiiSD_SD_iiiii
    .private_segment_fixed_size: 0
    .sgpr_count:     38
    .sgpr_spill_count: 0
    .symbol:         _ZN4vllm25paged_attention_v2_kernelIffLi112ELi16ELi128ELNS_18Fp8KVCacheDataTypeE0ELb0ELi512EEEvPfS2_PT_PKS3_PKT0_S9_ifPKiSB_iPKfiiiSD_SD_iiiii.kd
    .uniform_work_group_size: 1
    .uses_dynamic_stack: false
    .vgpr_count:     105
    .vgpr_spill_count: 0
    .wavefront_size: 32
    .workgroup_processor_mode: 1
  - .args:
      - .actual_access:  write_only
        .address_space:  global
        .offset:         0
        .size:           8
        .value_kind:     global_buffer
      - .actual_access:  write_only
        .address_space:  global
        .offset:         8
        .size:           8
        .value_kind:     global_buffer
      - .actual_access:  write_only
        .address_space:  global
        .offset:         16
        .size:           8
        .value_kind:     global_buffer
      - .actual_access:  read_only
        .address_space:  global
        .offset:         24
        .size:           8
        .value_kind:     global_buffer
      - .actual_access:  read_only
        .address_space:  global
        .offset:         32
        .size:           8
        .value_kind:     global_buffer
      - .actual_access:  read_only
        .address_space:  global
        .offset:         40
        .size:           8
        .value_kind:     global_buffer
      - .offset:         48
        .size:           4
        .value_kind:     by_value
      - .offset:         52
        .size:           4
        .value_kind:     by_value
      - .actual_access:  read_only
        .address_space:  global
        .offset:         56
        .size:           8
        .value_kind:     global_buffer
      - .actual_access:  read_only
        .address_space:  global
        .offset:         64
        .size:           8
        .value_kind:     global_buffer
      - .offset:         72
        .size:           4
        .value_kind:     by_value
      - .actual_access:  read_only
        .address_space:  global
        .offset:         80
        .size:           8
        .value_kind:     global_buffer
      - .offset:         88
        .size:           4
        .value_kind:     by_value
      - .offset:         92
        .size:           4
        .value_kind:     by_value
      - .offset:         96
        .size:           4
        .value_kind:     by_value
      - .address_space:  global
        .offset:         104
        .size:           8
        .value_kind:     global_buffer
      - .address_space:  global
        .offset:         112
        .size:           8
        .value_kind:     global_buffer
      - .offset:         120
        .size:           4
        .value_kind:     by_value
      - .offset:         124
        .size:           4
        .value_kind:     by_value
      - .offset:         128
        .size:           4
        .value_kind:     by_value
      - .offset:         132
        .size:           4
        .value_kind:     by_value
      - .offset:         136
        .size:           4
        .value_kind:     by_value
      - .offset:         144
        .size:           4
        .value_kind:     hidden_block_count_x
      - .offset:         148
        .size:           4
        .value_kind:     hidden_block_count_y
      - .offset:         152
        .size:           4
        .value_kind:     hidden_block_count_z
      - .offset:         156
        .size:           2
        .value_kind:     hidden_group_size_x
      - .offset:         158
        .size:           2
        .value_kind:     hidden_group_size_y
      - .offset:         160
        .size:           2
        .value_kind:     hidden_group_size_z
      - .offset:         162
        .size:           2
        .value_kind:     hidden_remainder_x
      - .offset:         164
        .size:           2
        .value_kind:     hidden_remainder_y
      - .offset:         166
        .size:           2
        .value_kind:     hidden_remainder_z
      - .offset:         184
        .size:           8
        .value_kind:     hidden_global_offset_x
      - .offset:         192
        .size:           8
        .value_kind:     hidden_global_offset_y
      - .offset:         200
        .size:           8
        .value_kind:     hidden_global_offset_z
      - .offset:         208
        .size:           2
        .value_kind:     hidden_grid_dims
      - .offset:         264
        .size:           4
        .value_kind:     hidden_dynamic_lds_size
    .group_segment_fixed_size: 512
    .kernarg_segment_align: 8
    .kernarg_segment_size: 400
    .language:       OpenCL C
    .language_version:
      - 2
      - 0
    .max_flat_workgroup_size: 1024
    .name:           _ZN4vllm25paged_attention_v2_kernelIffLi120ELi16ELi128ELNS_18Fp8KVCacheDataTypeE0ELb0ELi512EEEvPfS2_PT_PKS3_PKT0_S9_ifPKiSB_iPKfiiiSD_SD_iiiii
    .private_segment_fixed_size: 0
    .sgpr_count:     38
    .sgpr_spill_count: 0
    .symbol:         _ZN4vllm25paged_attention_v2_kernelIffLi120ELi16ELi128ELNS_18Fp8KVCacheDataTypeE0ELb0ELi512EEEvPfS2_PT_PKS3_PKT0_S9_ifPKiSB_iPKfiiiSD_SD_iiiii.kd
    .uniform_work_group_size: 1
    .uses_dynamic_stack: false
    .vgpr_count:     103
    .vgpr_spill_count: 0
    .wavefront_size: 32
    .workgroup_processor_mode: 1
  - .args:
      - .actual_access:  write_only
        .address_space:  global
        .offset:         0
        .size:           8
        .value_kind:     global_buffer
      - .actual_access:  write_only
        .address_space:  global
        .offset:         8
        .size:           8
        .value_kind:     global_buffer
      - .actual_access:  write_only
        .address_space:  global
        .offset:         16
        .size:           8
        .value_kind:     global_buffer
      - .actual_access:  read_only
        .address_space:  global
        .offset:         24
        .size:           8
        .value_kind:     global_buffer
      - .actual_access:  read_only
        .address_space:  global
        .offset:         32
        .size:           8
        .value_kind:     global_buffer
      - .actual_access:  read_only
        .address_space:  global
        .offset:         40
        .size:           8
        .value_kind:     global_buffer
      - .offset:         48
        .size:           4
        .value_kind:     by_value
      - .offset:         52
        .size:           4
        .value_kind:     by_value
      - .actual_access:  read_only
        .address_space:  global
        .offset:         56
        .size:           8
        .value_kind:     global_buffer
      - .actual_access:  read_only
        .address_space:  global
        .offset:         64
        .size:           8
        .value_kind:     global_buffer
      - .offset:         72
        .size:           4
        .value_kind:     by_value
      - .actual_access:  read_only
        .address_space:  global
        .offset:         80
        .size:           8
        .value_kind:     global_buffer
      - .offset:         88
        .size:           4
        .value_kind:     by_value
      - .offset:         92
        .size:           4
        .value_kind:     by_value
      - .offset:         96
        .size:           4
        .value_kind:     by_value
      - .address_space:  global
        .offset:         104
        .size:           8
        .value_kind:     global_buffer
      - .address_space:  global
        .offset:         112
        .size:           8
        .value_kind:     global_buffer
      - .offset:         120
        .size:           4
        .value_kind:     by_value
      - .offset:         124
        .size:           4
        .value_kind:     by_value
      - .offset:         128
        .size:           4
        .value_kind:     by_value
      - .offset:         132
        .size:           4
        .value_kind:     by_value
      - .offset:         136
        .size:           4
        .value_kind:     by_value
      - .offset:         144
        .size:           4
        .value_kind:     hidden_block_count_x
      - .offset:         148
        .size:           4
        .value_kind:     hidden_block_count_y
      - .offset:         152
        .size:           4
        .value_kind:     hidden_block_count_z
      - .offset:         156
        .size:           2
        .value_kind:     hidden_group_size_x
      - .offset:         158
        .size:           2
        .value_kind:     hidden_group_size_y
      - .offset:         160
        .size:           2
        .value_kind:     hidden_group_size_z
      - .offset:         162
        .size:           2
        .value_kind:     hidden_remainder_x
      - .offset:         164
        .size:           2
        .value_kind:     hidden_remainder_y
      - .offset:         166
        .size:           2
        .value_kind:     hidden_remainder_z
      - .offset:         184
        .size:           8
        .value_kind:     hidden_global_offset_x
      - .offset:         192
        .size:           8
        .value_kind:     hidden_global_offset_y
      - .offset:         200
        .size:           8
        .value_kind:     hidden_global_offset_z
      - .offset:         208
        .size:           2
        .value_kind:     hidden_grid_dims
      - .offset:         264
        .size:           4
        .value_kind:     hidden_dynamic_lds_size
    .group_segment_fixed_size: 544
    .kernarg_segment_align: 8
    .kernarg_segment_size: 400
    .language:       OpenCL C
    .language_version:
      - 2
      - 0
    .max_flat_workgroup_size: 1024
    .name:           _ZN4vllm25paged_attention_v2_kernelIffLi128ELi16ELi128ELNS_18Fp8KVCacheDataTypeE0ELb0ELi512EEEvPfS2_PT_PKS3_PKT0_S9_ifPKiSB_iPKfiiiSD_SD_iiiii
    .private_segment_fixed_size: 0
    .sgpr_count:     40
    .sgpr_spill_count: 0
    .symbol:         _ZN4vllm25paged_attention_v2_kernelIffLi128ELi16ELi128ELNS_18Fp8KVCacheDataTypeE0ELb0ELi512EEEvPfS2_PT_PKS3_PKT0_S9_ifPKiSB_iPKfiiiSD_SD_iiiii.kd
    .uniform_work_group_size: 1
    .uses_dynamic_stack: false
    .vgpr_count:     121
    .vgpr_spill_count: 0
    .wavefront_size: 32
    .workgroup_processor_mode: 1
  - .args:
      - .actual_access:  write_only
        .address_space:  global
        .offset:         0
        .size:           8
        .value_kind:     global_buffer
      - .actual_access:  write_only
        .address_space:  global
        .offset:         8
        .size:           8
        .value_kind:     global_buffer
      - .actual_access:  write_only
        .address_space:  global
        .offset:         16
        .size:           8
        .value_kind:     global_buffer
      - .actual_access:  read_only
        .address_space:  global
        .offset:         24
        .size:           8
        .value_kind:     global_buffer
      - .actual_access:  read_only
        .address_space:  global
        .offset:         32
        .size:           8
        .value_kind:     global_buffer
      - .actual_access:  read_only
        .address_space:  global
        .offset:         40
        .size:           8
        .value_kind:     global_buffer
      - .offset:         48
        .size:           4
        .value_kind:     by_value
      - .offset:         52
        .size:           4
        .value_kind:     by_value
      - .actual_access:  read_only
        .address_space:  global
        .offset:         56
        .size:           8
        .value_kind:     global_buffer
      - .actual_access:  read_only
        .address_space:  global
        .offset:         64
        .size:           8
        .value_kind:     global_buffer
      - .offset:         72
        .size:           4
        .value_kind:     by_value
      - .actual_access:  read_only
        .address_space:  global
        .offset:         80
        .size:           8
        .value_kind:     global_buffer
      - .offset:         88
        .size:           4
        .value_kind:     by_value
      - .offset:         92
        .size:           4
        .value_kind:     by_value
      - .offset:         96
        .size:           4
        .value_kind:     by_value
      - .address_space:  global
        .offset:         104
        .size:           8
        .value_kind:     global_buffer
      - .address_space:  global
        .offset:         112
        .size:           8
        .value_kind:     global_buffer
      - .offset:         120
        .size:           4
        .value_kind:     by_value
      - .offset:         124
        .size:           4
        .value_kind:     by_value
      - .offset:         128
        .size:           4
        .value_kind:     by_value
      - .offset:         132
        .size:           4
        .value_kind:     by_value
      - .offset:         136
        .size:           4
        .value_kind:     by_value
      - .offset:         144
        .size:           4
        .value_kind:     hidden_block_count_x
      - .offset:         148
        .size:           4
        .value_kind:     hidden_block_count_y
      - .offset:         152
        .size:           4
        .value_kind:     hidden_block_count_z
      - .offset:         156
        .size:           2
        .value_kind:     hidden_group_size_x
      - .offset:         158
        .size:           2
        .value_kind:     hidden_group_size_y
      - .offset:         160
        .size:           2
        .value_kind:     hidden_group_size_z
      - .offset:         162
        .size:           2
        .value_kind:     hidden_remainder_x
      - .offset:         164
        .size:           2
        .value_kind:     hidden_remainder_y
      - .offset:         166
        .size:           2
        .value_kind:     hidden_remainder_z
      - .offset:         184
        .size:           8
        .value_kind:     hidden_global_offset_x
      - .offset:         192
        .size:           8
        .value_kind:     hidden_global_offset_y
      - .offset:         200
        .size:           8
        .value_kind:     hidden_global_offset_z
      - .offset:         208
        .size:           2
        .value_kind:     hidden_grid_dims
      - .offset:         264
        .size:           4
        .value_kind:     hidden_dynamic_lds_size
    .group_segment_fixed_size: 800
    .kernarg_segment_align: 8
    .kernarg_segment_size: 400
    .language:       OpenCL C
    .language_version:
      - 2
      - 0
    .max_flat_workgroup_size: 1024
    .name:           _ZN4vllm25paged_attention_v2_kernelIffLi192ELi16ELi128ELNS_18Fp8KVCacheDataTypeE0ELb0ELi512EEEvPfS2_PT_PKS3_PKT0_S9_ifPKiSB_iPKfiiiSD_SD_iiiii
    .private_segment_fixed_size: 56
    .sgpr_count:     42
    .sgpr_spill_count: 0
    .symbol:         _ZN4vllm25paged_attention_v2_kernelIffLi192ELi16ELi128ELNS_18Fp8KVCacheDataTypeE0ELb0ELi512EEEvPfS2_PT_PKS3_PKT0_S9_ifPKiSB_iPKfiiiSD_SD_iiiii.kd
    .uniform_work_group_size: 1
    .uses_dynamic_stack: false
    .vgpr_count:     128
    .vgpr_spill_count: 17
    .wavefront_size: 32
    .workgroup_processor_mode: 1
  - .args:
      - .actual_access:  write_only
        .address_space:  global
        .offset:         0
        .size:           8
        .value_kind:     global_buffer
      - .actual_access:  write_only
        .address_space:  global
        .offset:         8
        .size:           8
        .value_kind:     global_buffer
      - .actual_access:  write_only
        .address_space:  global
        .offset:         16
        .size:           8
        .value_kind:     global_buffer
      - .actual_access:  read_only
        .address_space:  global
        .offset:         24
        .size:           8
        .value_kind:     global_buffer
      - .actual_access:  read_only
        .address_space:  global
        .offset:         32
        .size:           8
        .value_kind:     global_buffer
      - .actual_access:  read_only
        .address_space:  global
        .offset:         40
        .size:           8
        .value_kind:     global_buffer
      - .offset:         48
        .size:           4
        .value_kind:     by_value
      - .offset:         52
        .size:           4
        .value_kind:     by_value
      - .actual_access:  read_only
        .address_space:  global
        .offset:         56
        .size:           8
        .value_kind:     global_buffer
      - .actual_access:  read_only
        .address_space:  global
        .offset:         64
        .size:           8
        .value_kind:     global_buffer
      - .offset:         72
        .size:           4
        .value_kind:     by_value
      - .actual_access:  read_only
        .address_space:  global
        .offset:         80
        .size:           8
        .value_kind:     global_buffer
      - .offset:         88
        .size:           4
        .value_kind:     by_value
      - .offset:         92
        .size:           4
        .value_kind:     by_value
      - .offset:         96
        .size:           4
        .value_kind:     by_value
      - .address_space:  global
        .offset:         104
        .size:           8
        .value_kind:     global_buffer
      - .address_space:  global
        .offset:         112
        .size:           8
        .value_kind:     global_buffer
      - .offset:         120
        .size:           4
        .value_kind:     by_value
      - .offset:         124
        .size:           4
        .value_kind:     by_value
      - .offset:         128
        .size:           4
        .value_kind:     by_value
      - .offset:         132
        .size:           4
        .value_kind:     by_value
      - .offset:         136
        .size:           4
        .value_kind:     by_value
      - .offset:         144
        .size:           4
        .value_kind:     hidden_block_count_x
      - .offset:         148
        .size:           4
        .value_kind:     hidden_block_count_y
      - .offset:         152
        .size:           4
        .value_kind:     hidden_block_count_z
      - .offset:         156
        .size:           2
        .value_kind:     hidden_group_size_x
      - .offset:         158
        .size:           2
        .value_kind:     hidden_group_size_y
      - .offset:         160
        .size:           2
        .value_kind:     hidden_group_size_z
      - .offset:         162
        .size:           2
        .value_kind:     hidden_remainder_x
      - .offset:         164
        .size:           2
        .value_kind:     hidden_remainder_y
      - .offset:         166
        .size:           2
        .value_kind:     hidden_remainder_z
      - .offset:         184
        .size:           8
        .value_kind:     hidden_global_offset_x
      - .offset:         192
        .size:           8
        .value_kind:     hidden_global_offset_y
      - .offset:         200
        .size:           8
        .value_kind:     hidden_global_offset_z
      - .offset:         208
        .size:           2
        .value_kind:     hidden_grid_dims
      - .offset:         264
        .size:           4
        .value_kind:     hidden_dynamic_lds_size
    .group_segment_fixed_size: 1056
    .kernarg_segment_align: 8
    .kernarg_segment_size: 400
    .language:       OpenCL C
    .language_version:
      - 2
      - 0
    .max_flat_workgroup_size: 1024
    .name:           _ZN4vllm25paged_attention_v2_kernelIffLi256ELi16ELi128ELNS_18Fp8KVCacheDataTypeE0ELb0ELi512EEEvPfS2_PT_PKS3_PKT0_S9_ifPKiSB_iPKfiiiSD_SD_iiiii
    .private_segment_fixed_size: 308
    .sgpr_count:     46
    .sgpr_spill_count: 0
    .symbol:         _ZN4vllm25paged_attention_v2_kernelIffLi256ELi16ELi128ELNS_18Fp8KVCacheDataTypeE0ELb0ELi512EEEvPfS2_PT_PKS3_PKT0_S9_ifPKiSB_iPKfiiiSD_SD_iiiii.kd
    .uniform_work_group_size: 1
    .uses_dynamic_stack: false
    .vgpr_count:     128
    .vgpr_spill_count: 133
    .wavefront_size: 32
    .workgroup_processor_mode: 1
  - .args:
      - .actual_access:  write_only
        .address_space:  global
        .offset:         0
        .size:           8
        .value_kind:     global_buffer
      - .actual_access:  write_only
        .address_space:  global
        .offset:         8
        .size:           8
        .value_kind:     global_buffer
      - .actual_access:  write_only
        .address_space:  global
        .offset:         16
        .size:           8
        .value_kind:     global_buffer
      - .actual_access:  read_only
        .address_space:  global
        .offset:         24
        .size:           8
        .value_kind:     global_buffer
      - .actual_access:  read_only
        .address_space:  global
        .offset:         32
        .size:           8
        .value_kind:     global_buffer
      - .actual_access:  read_only
        .address_space:  global
        .offset:         40
        .size:           8
        .value_kind:     global_buffer
      - .offset:         48
        .size:           4
        .value_kind:     by_value
      - .offset:         52
        .size:           4
        .value_kind:     by_value
      - .actual_access:  read_only
        .address_space:  global
        .offset:         56
        .size:           8
        .value_kind:     global_buffer
      - .actual_access:  read_only
        .address_space:  global
        .offset:         64
        .size:           8
        .value_kind:     global_buffer
      - .offset:         72
        .size:           4
        .value_kind:     by_value
      - .actual_access:  read_only
        .address_space:  global
        .offset:         80
        .size:           8
        .value_kind:     global_buffer
      - .offset:         88
        .size:           4
        .value_kind:     by_value
      - .offset:         92
        .size:           4
        .value_kind:     by_value
      - .offset:         96
        .size:           4
        .value_kind:     by_value
      - .address_space:  global
        .offset:         104
        .size:           8
        .value_kind:     global_buffer
      - .address_space:  global
        .offset:         112
        .size:           8
        .value_kind:     global_buffer
      - .offset:         120
        .size:           4
        .value_kind:     by_value
      - .offset:         124
        .size:           4
        .value_kind:     by_value
      - .offset:         128
        .size:           4
        .value_kind:     by_value
      - .offset:         132
        .size:           4
        .value_kind:     by_value
      - .offset:         136
        .size:           4
        .value_kind:     by_value
      - .offset:         144
        .size:           4
        .value_kind:     hidden_block_count_x
      - .offset:         148
        .size:           4
        .value_kind:     hidden_block_count_y
      - .offset:         152
        .size:           4
        .value_kind:     hidden_block_count_z
      - .offset:         156
        .size:           2
        .value_kind:     hidden_group_size_x
      - .offset:         158
        .size:           2
        .value_kind:     hidden_group_size_y
      - .offset:         160
        .size:           2
        .value_kind:     hidden_group_size_z
      - .offset:         162
        .size:           2
        .value_kind:     hidden_remainder_x
      - .offset:         164
        .size:           2
        .value_kind:     hidden_remainder_y
      - .offset:         166
        .size:           2
        .value_kind:     hidden_remainder_z
      - .offset:         184
        .size:           8
        .value_kind:     hidden_global_offset_x
      - .offset:         192
        .size:           8
        .value_kind:     hidden_global_offset_y
      - .offset:         200
        .size:           8
        .value_kind:     hidden_global_offset_z
      - .offset:         208
        .size:           2
        .value_kind:     hidden_grid_dims
      - .offset:         264
        .size:           4
        .value_kind:     hidden_dynamic_lds_size
    .group_segment_fixed_size: 160
    .kernarg_segment_align: 8
    .kernarg_segment_size: 400
    .language:       OpenCL C
    .language_version:
      - 2
      - 0
    .max_flat_workgroup_size: 1024
    .name:           _ZN4vllm25paged_attention_v2_kernelIffLi32ELi32ELi128ELNS_18Fp8KVCacheDataTypeE0ELb1ELi512EEEvPfS2_PT_PKS3_PKT0_S9_ifPKiSB_iPKfiiiSD_SD_iiiii
    .private_segment_fixed_size: 0
    .sgpr_count:     48
    .sgpr_spill_count: 0
    .symbol:         _ZN4vllm25paged_attention_v2_kernelIffLi32ELi32ELi128ELNS_18Fp8KVCacheDataTypeE0ELb1ELi512EEEvPfS2_PT_PKS3_PKT0_S9_ifPKiSB_iPKfiiiSD_SD_iiiii.kd
    .uniform_work_group_size: 1
    .uses_dynamic_stack: false
    .vgpr_count:     83
    .vgpr_spill_count: 0
    .wavefront_size: 32
    .workgroup_processor_mode: 1
  - .args:
      - .actual_access:  write_only
        .address_space:  global
        .offset:         0
        .size:           8
        .value_kind:     global_buffer
      - .actual_access:  write_only
        .address_space:  global
        .offset:         8
        .size:           8
        .value_kind:     global_buffer
      - .actual_access:  write_only
        .address_space:  global
        .offset:         16
        .size:           8
        .value_kind:     global_buffer
      - .actual_access:  read_only
        .address_space:  global
        .offset:         24
        .size:           8
        .value_kind:     global_buffer
      - .actual_access:  read_only
        .address_space:  global
        .offset:         32
        .size:           8
        .value_kind:     global_buffer
      - .actual_access:  read_only
        .address_space:  global
        .offset:         40
        .size:           8
        .value_kind:     global_buffer
      - .offset:         48
        .size:           4
        .value_kind:     by_value
      - .offset:         52
        .size:           4
        .value_kind:     by_value
      - .actual_access:  read_only
        .address_space:  global
        .offset:         56
        .size:           8
        .value_kind:     global_buffer
      - .actual_access:  read_only
        .address_space:  global
        .offset:         64
        .size:           8
        .value_kind:     global_buffer
      - .offset:         72
        .size:           4
        .value_kind:     by_value
      - .actual_access:  read_only
        .address_space:  global
        .offset:         80
        .size:           8
        .value_kind:     global_buffer
      - .offset:         88
        .size:           4
        .value_kind:     by_value
      - .offset:         92
        .size:           4
        .value_kind:     by_value
      - .offset:         96
        .size:           4
        .value_kind:     by_value
      - .address_space:  global
        .offset:         104
        .size:           8
        .value_kind:     global_buffer
      - .address_space:  global
        .offset:         112
        .size:           8
        .value_kind:     global_buffer
      - .offset:         120
        .size:           4
        .value_kind:     by_value
      - .offset:         124
        .size:           4
        .value_kind:     by_value
      - .offset:         128
        .size:           4
        .value_kind:     by_value
      - .offset:         132
        .size:           4
        .value_kind:     by_value
      - .offset:         136
        .size:           4
        .value_kind:     by_value
      - .offset:         144
        .size:           4
        .value_kind:     hidden_block_count_x
      - .offset:         148
        .size:           4
        .value_kind:     hidden_block_count_y
      - .offset:         152
        .size:           4
        .value_kind:     hidden_block_count_z
      - .offset:         156
        .size:           2
        .value_kind:     hidden_group_size_x
      - .offset:         158
        .size:           2
        .value_kind:     hidden_group_size_y
      - .offset:         160
        .size:           2
        .value_kind:     hidden_group_size_z
      - .offset:         162
        .size:           2
        .value_kind:     hidden_remainder_x
      - .offset:         164
        .size:           2
        .value_kind:     hidden_remainder_y
      - .offset:         166
        .size:           2
        .value_kind:     hidden_remainder_z
      - .offset:         184
        .size:           8
        .value_kind:     hidden_global_offset_x
      - .offset:         192
        .size:           8
        .value_kind:     hidden_global_offset_y
      - .offset:         200
        .size:           8
        .value_kind:     hidden_global_offset_z
      - .offset:         208
        .size:           2
        .value_kind:     hidden_grid_dims
      - .offset:         264
        .size:           4
        .value_kind:     hidden_dynamic_lds_size
    .group_segment_fixed_size: 288
    .kernarg_segment_align: 8
    .kernarg_segment_size: 400
    .language:       OpenCL C
    .language_version:
      - 2
      - 0
    .max_flat_workgroup_size: 1024
    .name:           _ZN4vllm25paged_attention_v2_kernelIffLi64ELi32ELi128ELNS_18Fp8KVCacheDataTypeE0ELb1ELi512EEEvPfS2_PT_PKS3_PKT0_S9_ifPKiSB_iPKfiiiSD_SD_iiiii
    .private_segment_fixed_size: 0
    .sgpr_count:     48
    .sgpr_spill_count: 0
    .symbol:         _ZN4vllm25paged_attention_v2_kernelIffLi64ELi32ELi128ELNS_18Fp8KVCacheDataTypeE0ELb1ELi512EEEvPfS2_PT_PKS3_PKT0_S9_ifPKiSB_iPKfiiiSD_SD_iiiii.kd
    .uniform_work_group_size: 1
    .uses_dynamic_stack: false
    .vgpr_count:     119
    .vgpr_spill_count: 0
    .wavefront_size: 32
    .workgroup_processor_mode: 1
  - .args:
      - .actual_access:  write_only
        .address_space:  global
        .offset:         0
        .size:           8
        .value_kind:     global_buffer
      - .actual_access:  write_only
        .address_space:  global
        .offset:         8
        .size:           8
        .value_kind:     global_buffer
      - .actual_access:  write_only
        .address_space:  global
        .offset:         16
        .size:           8
        .value_kind:     global_buffer
      - .actual_access:  read_only
        .address_space:  global
        .offset:         24
        .size:           8
        .value_kind:     global_buffer
      - .actual_access:  read_only
        .address_space:  global
        .offset:         32
        .size:           8
        .value_kind:     global_buffer
      - .actual_access:  read_only
        .address_space:  global
        .offset:         40
        .size:           8
        .value_kind:     global_buffer
      - .offset:         48
        .size:           4
        .value_kind:     by_value
      - .offset:         52
        .size:           4
        .value_kind:     by_value
      - .actual_access:  read_only
        .address_space:  global
        .offset:         56
        .size:           8
        .value_kind:     global_buffer
      - .actual_access:  read_only
        .address_space:  global
        .offset:         64
        .size:           8
        .value_kind:     global_buffer
      - .offset:         72
        .size:           4
        .value_kind:     by_value
      - .actual_access:  read_only
        .address_space:  global
        .offset:         80
        .size:           8
        .value_kind:     global_buffer
      - .offset:         88
        .size:           4
        .value_kind:     by_value
      - .offset:         92
        .size:           4
        .value_kind:     by_value
      - .offset:         96
        .size:           4
        .value_kind:     by_value
      - .address_space:  global
        .offset:         104
        .size:           8
        .value_kind:     global_buffer
      - .address_space:  global
        .offset:         112
        .size:           8
        .value_kind:     global_buffer
      - .offset:         120
        .size:           4
        .value_kind:     by_value
      - .offset:         124
        .size:           4
        .value_kind:     by_value
      - .offset:         128
        .size:           4
        .value_kind:     by_value
      - .offset:         132
        .size:           4
        .value_kind:     by_value
      - .offset:         136
        .size:           4
        .value_kind:     by_value
      - .offset:         144
        .size:           4
        .value_kind:     hidden_block_count_x
      - .offset:         148
        .size:           4
        .value_kind:     hidden_block_count_y
      - .offset:         152
        .size:           4
        .value_kind:     hidden_block_count_z
      - .offset:         156
        .size:           2
        .value_kind:     hidden_group_size_x
      - .offset:         158
        .size:           2
        .value_kind:     hidden_group_size_y
      - .offset:         160
        .size:           2
        .value_kind:     hidden_group_size_z
      - .offset:         162
        .size:           2
        .value_kind:     hidden_remainder_x
      - .offset:         164
        .size:           2
        .value_kind:     hidden_remainder_y
      - .offset:         166
        .size:           2
        .value_kind:     hidden_remainder_z
      - .offset:         184
        .size:           8
        .value_kind:     hidden_global_offset_x
      - .offset:         192
        .size:           8
        .value_kind:     hidden_global_offset_y
      - .offset:         200
        .size:           8
        .value_kind:     hidden_global_offset_z
      - .offset:         208
        .size:           2
        .value_kind:     hidden_grid_dims
      - .offset:         264
        .size:           4
        .value_kind:     hidden_dynamic_lds_size
    .group_segment_fixed_size: 352
    .kernarg_segment_align: 8
    .kernarg_segment_size: 400
    .language:       OpenCL C
    .language_version:
      - 2
      - 0
    .max_flat_workgroup_size: 1024
    .name:           _ZN4vllm25paged_attention_v2_kernelIffLi80ELi32ELi128ELNS_18Fp8KVCacheDataTypeE0ELb1ELi512EEEvPfS2_PT_PKS3_PKT0_S9_ifPKiSB_iPKfiiiSD_SD_iiiii
    .private_segment_fixed_size: 0
    .sgpr_count:     48
    .sgpr_spill_count: 0
    .symbol:         _ZN4vllm25paged_attention_v2_kernelIffLi80ELi32ELi128ELNS_18Fp8KVCacheDataTypeE0ELb1ELi512EEEvPfS2_PT_PKS3_PKT0_S9_ifPKiSB_iPKfiiiSD_SD_iiiii.kd
    .uniform_work_group_size: 1
    .uses_dynamic_stack: false
    .vgpr_count:     124
    .vgpr_spill_count: 0
    .wavefront_size: 32
    .workgroup_processor_mode: 1
  - .args:
      - .actual_access:  write_only
        .address_space:  global
        .offset:         0
        .size:           8
        .value_kind:     global_buffer
      - .actual_access:  write_only
        .address_space:  global
        .offset:         8
        .size:           8
        .value_kind:     global_buffer
      - .actual_access:  write_only
        .address_space:  global
        .offset:         16
        .size:           8
        .value_kind:     global_buffer
      - .actual_access:  read_only
        .address_space:  global
        .offset:         24
        .size:           8
        .value_kind:     global_buffer
      - .actual_access:  read_only
        .address_space:  global
        .offset:         32
        .size:           8
        .value_kind:     global_buffer
      - .actual_access:  read_only
        .address_space:  global
        .offset:         40
        .size:           8
        .value_kind:     global_buffer
      - .offset:         48
        .size:           4
        .value_kind:     by_value
      - .offset:         52
        .size:           4
        .value_kind:     by_value
      - .actual_access:  read_only
        .address_space:  global
        .offset:         56
        .size:           8
        .value_kind:     global_buffer
      - .actual_access:  read_only
        .address_space:  global
        .offset:         64
        .size:           8
        .value_kind:     global_buffer
      - .offset:         72
        .size:           4
        .value_kind:     by_value
      - .actual_access:  read_only
        .address_space:  global
        .offset:         80
        .size:           8
        .value_kind:     global_buffer
      - .offset:         88
        .size:           4
        .value_kind:     by_value
      - .offset:         92
        .size:           4
        .value_kind:     by_value
      - .offset:         96
        .size:           4
        .value_kind:     by_value
      - .address_space:  global
        .offset:         104
        .size:           8
        .value_kind:     global_buffer
      - .address_space:  global
        .offset:         112
        .size:           8
        .value_kind:     global_buffer
      - .offset:         120
        .size:           4
        .value_kind:     by_value
      - .offset:         124
        .size:           4
        .value_kind:     by_value
      - .offset:         128
        .size:           4
        .value_kind:     by_value
      - .offset:         132
        .size:           4
        .value_kind:     by_value
      - .offset:         136
        .size:           4
        .value_kind:     by_value
      - .offset:         144
        .size:           4
        .value_kind:     hidden_block_count_x
      - .offset:         148
        .size:           4
        .value_kind:     hidden_block_count_y
      - .offset:         152
        .size:           4
        .value_kind:     hidden_block_count_z
      - .offset:         156
        .size:           2
        .value_kind:     hidden_group_size_x
      - .offset:         158
        .size:           2
        .value_kind:     hidden_group_size_y
      - .offset:         160
        .size:           2
        .value_kind:     hidden_group_size_z
      - .offset:         162
        .size:           2
        .value_kind:     hidden_remainder_x
      - .offset:         164
        .size:           2
        .value_kind:     hidden_remainder_y
      - .offset:         166
        .size:           2
        .value_kind:     hidden_remainder_z
      - .offset:         184
        .size:           8
        .value_kind:     hidden_global_offset_x
      - .offset:         192
        .size:           8
        .value_kind:     hidden_global_offset_y
      - .offset:         200
        .size:           8
        .value_kind:     hidden_global_offset_z
      - .offset:         208
        .size:           2
        .value_kind:     hidden_grid_dims
      - .offset:         264
        .size:           4
        .value_kind:     hidden_dynamic_lds_size
    .group_segment_fixed_size: 416
    .kernarg_segment_align: 8
    .kernarg_segment_size: 400
    .language:       OpenCL C
    .language_version:
      - 2
      - 0
    .max_flat_workgroup_size: 1024
    .name:           _ZN4vllm25paged_attention_v2_kernelIffLi96ELi32ELi128ELNS_18Fp8KVCacheDataTypeE0ELb1ELi512EEEvPfS2_PT_PKS3_PKT0_S9_ifPKiSB_iPKfiiiSD_SD_iiiii
    .private_segment_fixed_size: 68
    .sgpr_count:     54
    .sgpr_spill_count: 0
    .symbol:         _ZN4vllm25paged_attention_v2_kernelIffLi96ELi32ELi128ELNS_18Fp8KVCacheDataTypeE0ELb1ELi512EEEvPfS2_PT_PKS3_PKT0_S9_ifPKiSB_iPKfiiiSD_SD_iiiii.kd
    .uniform_work_group_size: 1
    .uses_dynamic_stack: false
    .vgpr_count:     128
    .vgpr_spill_count: 16
    .wavefront_size: 32
    .workgroup_processor_mode: 1
  - .args:
      - .actual_access:  write_only
        .address_space:  global
        .offset:         0
        .size:           8
        .value_kind:     global_buffer
      - .actual_access:  write_only
        .address_space:  global
        .offset:         8
        .size:           8
        .value_kind:     global_buffer
      - .actual_access:  write_only
        .address_space:  global
        .offset:         16
        .size:           8
        .value_kind:     global_buffer
      - .actual_access:  read_only
        .address_space:  global
        .offset:         24
        .size:           8
        .value_kind:     global_buffer
      - .actual_access:  read_only
        .address_space:  global
        .offset:         32
        .size:           8
        .value_kind:     global_buffer
      - .actual_access:  read_only
        .address_space:  global
        .offset:         40
        .size:           8
        .value_kind:     global_buffer
      - .offset:         48
        .size:           4
        .value_kind:     by_value
      - .offset:         52
        .size:           4
        .value_kind:     by_value
      - .actual_access:  read_only
        .address_space:  global
        .offset:         56
        .size:           8
        .value_kind:     global_buffer
      - .actual_access:  read_only
        .address_space:  global
        .offset:         64
        .size:           8
        .value_kind:     global_buffer
      - .offset:         72
        .size:           4
        .value_kind:     by_value
      - .actual_access:  read_only
        .address_space:  global
        .offset:         80
        .size:           8
        .value_kind:     global_buffer
      - .offset:         88
        .size:           4
        .value_kind:     by_value
      - .offset:         92
        .size:           4
        .value_kind:     by_value
      - .offset:         96
        .size:           4
        .value_kind:     by_value
      - .address_space:  global
        .offset:         104
        .size:           8
        .value_kind:     global_buffer
      - .address_space:  global
        .offset:         112
        .size:           8
        .value_kind:     global_buffer
      - .offset:         120
        .size:           4
        .value_kind:     by_value
      - .offset:         124
        .size:           4
        .value_kind:     by_value
      - .offset:         128
        .size:           4
        .value_kind:     by_value
      - .offset:         132
        .size:           4
        .value_kind:     by_value
      - .offset:         136
        .size:           4
        .value_kind:     by_value
      - .offset:         144
        .size:           4
        .value_kind:     hidden_block_count_x
      - .offset:         148
        .size:           4
        .value_kind:     hidden_block_count_y
      - .offset:         152
        .size:           4
        .value_kind:     hidden_block_count_z
      - .offset:         156
        .size:           2
        .value_kind:     hidden_group_size_x
      - .offset:         158
        .size:           2
        .value_kind:     hidden_group_size_y
      - .offset:         160
        .size:           2
        .value_kind:     hidden_group_size_z
      - .offset:         162
        .size:           2
        .value_kind:     hidden_remainder_x
      - .offset:         164
        .size:           2
        .value_kind:     hidden_remainder_y
      - .offset:         166
        .size:           2
        .value_kind:     hidden_remainder_z
      - .offset:         184
        .size:           8
        .value_kind:     hidden_global_offset_x
      - .offset:         192
        .size:           8
        .value_kind:     hidden_global_offset_y
      - .offset:         200
        .size:           8
        .value_kind:     hidden_global_offset_z
      - .offset:         208
        .size:           2
        .value_kind:     hidden_grid_dims
      - .offset:         264
        .size:           4
        .value_kind:     hidden_dynamic_lds_size
    .group_segment_fixed_size: 480
    .kernarg_segment_align: 8
    .kernarg_segment_size: 400
    .language:       OpenCL C
    .language_version:
      - 2
      - 0
    .max_flat_workgroup_size: 1024
    .name:           _ZN4vllm25paged_attention_v2_kernelIffLi112ELi32ELi128ELNS_18Fp8KVCacheDataTypeE0ELb1ELi512EEEvPfS2_PT_PKS3_PKT0_S9_ifPKiSB_iPKfiiiSD_SD_iiiii
    .private_segment_fixed_size: 172
    .sgpr_count:     54
    .sgpr_spill_count: 0
    .symbol:         _ZN4vllm25paged_attention_v2_kernelIffLi112ELi32ELi128ELNS_18Fp8KVCacheDataTypeE0ELb1ELi512EEEvPfS2_PT_PKS3_PKT0_S9_ifPKiSB_iPKfiiiSD_SD_iiiii.kd
    .uniform_work_group_size: 1
    .uses_dynamic_stack: false
    .vgpr_count:     128
    .vgpr_spill_count: 67
    .wavefront_size: 32
    .workgroup_processor_mode: 1
  - .args:
      - .actual_access:  write_only
        .address_space:  global
        .offset:         0
        .size:           8
        .value_kind:     global_buffer
      - .actual_access:  write_only
        .address_space:  global
        .offset:         8
        .size:           8
        .value_kind:     global_buffer
      - .actual_access:  write_only
        .address_space:  global
        .offset:         16
        .size:           8
        .value_kind:     global_buffer
      - .actual_access:  read_only
        .address_space:  global
        .offset:         24
        .size:           8
        .value_kind:     global_buffer
      - .actual_access:  read_only
        .address_space:  global
        .offset:         32
        .size:           8
        .value_kind:     global_buffer
      - .actual_access:  read_only
        .address_space:  global
        .offset:         40
        .size:           8
        .value_kind:     global_buffer
      - .offset:         48
        .size:           4
        .value_kind:     by_value
      - .offset:         52
        .size:           4
        .value_kind:     by_value
      - .actual_access:  read_only
        .address_space:  global
        .offset:         56
        .size:           8
        .value_kind:     global_buffer
      - .actual_access:  read_only
        .address_space:  global
        .offset:         64
        .size:           8
        .value_kind:     global_buffer
      - .offset:         72
        .size:           4
        .value_kind:     by_value
      - .actual_access:  read_only
        .address_space:  global
        .offset:         80
        .size:           8
        .value_kind:     global_buffer
      - .offset:         88
        .size:           4
        .value_kind:     by_value
      - .offset:         92
        .size:           4
        .value_kind:     by_value
      - .offset:         96
        .size:           4
        .value_kind:     by_value
      - .address_space:  global
        .offset:         104
        .size:           8
        .value_kind:     global_buffer
      - .address_space:  global
        .offset:         112
        .size:           8
        .value_kind:     global_buffer
      - .offset:         120
        .size:           4
        .value_kind:     by_value
      - .offset:         124
        .size:           4
        .value_kind:     by_value
      - .offset:         128
        .size:           4
        .value_kind:     by_value
      - .offset:         132
        .size:           4
        .value_kind:     by_value
      - .offset:         136
        .size:           4
        .value_kind:     by_value
      - .offset:         144
        .size:           4
        .value_kind:     hidden_block_count_x
      - .offset:         148
        .size:           4
        .value_kind:     hidden_block_count_y
      - .offset:         152
        .size:           4
        .value_kind:     hidden_block_count_z
      - .offset:         156
        .size:           2
        .value_kind:     hidden_group_size_x
      - .offset:         158
        .size:           2
        .value_kind:     hidden_group_size_y
      - .offset:         160
        .size:           2
        .value_kind:     hidden_group_size_z
      - .offset:         162
        .size:           2
        .value_kind:     hidden_remainder_x
      - .offset:         164
        .size:           2
        .value_kind:     hidden_remainder_y
      - .offset:         166
        .size:           2
        .value_kind:     hidden_remainder_z
      - .offset:         184
        .size:           8
        .value_kind:     hidden_global_offset_x
      - .offset:         192
        .size:           8
        .value_kind:     hidden_global_offset_y
      - .offset:         200
        .size:           8
        .value_kind:     hidden_global_offset_z
      - .offset:         208
        .size:           2
        .value_kind:     hidden_grid_dims
      - .offset:         264
        .size:           4
        .value_kind:     hidden_dynamic_lds_size
    .group_segment_fixed_size: 512
    .kernarg_segment_align: 8
    .kernarg_segment_size: 400
    .language:       OpenCL C
    .language_version:
      - 2
      - 0
    .max_flat_workgroup_size: 1024
    .name:           _ZN4vllm25paged_attention_v2_kernelIffLi120ELi32ELi128ELNS_18Fp8KVCacheDataTypeE0ELb1ELi512EEEvPfS2_PT_PKS3_PKT0_S9_ifPKiSB_iPKfiiiSD_SD_iiiii
    .private_segment_fixed_size: 232
    .sgpr_count:     54
    .sgpr_spill_count: 0
    .symbol:         _ZN4vllm25paged_attention_v2_kernelIffLi120ELi32ELi128ELNS_18Fp8KVCacheDataTypeE0ELb1ELi512EEEvPfS2_PT_PKS3_PKT0_S9_ifPKiSB_iPKfiiiSD_SD_iiiii.kd
    .uniform_work_group_size: 1
    .uses_dynamic_stack: false
    .vgpr_count:     128
    .vgpr_spill_count: 94
    .wavefront_size: 32
    .workgroup_processor_mode: 1
  - .args:
      - .actual_access:  write_only
        .address_space:  global
        .offset:         0
        .size:           8
        .value_kind:     global_buffer
      - .actual_access:  write_only
        .address_space:  global
        .offset:         8
        .size:           8
        .value_kind:     global_buffer
      - .actual_access:  write_only
        .address_space:  global
        .offset:         16
        .size:           8
        .value_kind:     global_buffer
      - .actual_access:  read_only
        .address_space:  global
        .offset:         24
        .size:           8
        .value_kind:     global_buffer
      - .actual_access:  read_only
        .address_space:  global
        .offset:         32
        .size:           8
        .value_kind:     global_buffer
      - .actual_access:  read_only
        .address_space:  global
        .offset:         40
        .size:           8
        .value_kind:     global_buffer
      - .offset:         48
        .size:           4
        .value_kind:     by_value
      - .offset:         52
        .size:           4
        .value_kind:     by_value
      - .actual_access:  read_only
        .address_space:  global
        .offset:         56
        .size:           8
        .value_kind:     global_buffer
      - .actual_access:  read_only
        .address_space:  global
        .offset:         64
        .size:           8
        .value_kind:     global_buffer
      - .offset:         72
        .size:           4
        .value_kind:     by_value
      - .actual_access:  read_only
        .address_space:  global
        .offset:         80
        .size:           8
        .value_kind:     global_buffer
      - .offset:         88
        .size:           4
        .value_kind:     by_value
      - .offset:         92
        .size:           4
        .value_kind:     by_value
      - .offset:         96
        .size:           4
        .value_kind:     by_value
      - .address_space:  global
        .offset:         104
        .size:           8
        .value_kind:     global_buffer
      - .address_space:  global
        .offset:         112
        .size:           8
        .value_kind:     global_buffer
      - .offset:         120
        .size:           4
        .value_kind:     by_value
      - .offset:         124
        .size:           4
        .value_kind:     by_value
      - .offset:         128
        .size:           4
        .value_kind:     by_value
      - .offset:         132
        .size:           4
        .value_kind:     by_value
      - .offset:         136
        .size:           4
        .value_kind:     by_value
      - .offset:         144
        .size:           4
        .value_kind:     hidden_block_count_x
      - .offset:         148
        .size:           4
        .value_kind:     hidden_block_count_y
      - .offset:         152
        .size:           4
        .value_kind:     hidden_block_count_z
      - .offset:         156
        .size:           2
        .value_kind:     hidden_group_size_x
      - .offset:         158
        .size:           2
        .value_kind:     hidden_group_size_y
      - .offset:         160
        .size:           2
        .value_kind:     hidden_group_size_z
      - .offset:         162
        .size:           2
        .value_kind:     hidden_remainder_x
      - .offset:         164
        .size:           2
        .value_kind:     hidden_remainder_y
      - .offset:         166
        .size:           2
        .value_kind:     hidden_remainder_z
      - .offset:         184
        .size:           8
        .value_kind:     hidden_global_offset_x
      - .offset:         192
        .size:           8
        .value_kind:     hidden_global_offset_y
      - .offset:         200
        .size:           8
        .value_kind:     hidden_global_offset_z
      - .offset:         208
        .size:           2
        .value_kind:     hidden_grid_dims
      - .offset:         264
        .size:           4
        .value_kind:     hidden_dynamic_lds_size
    .group_segment_fixed_size: 544
    .kernarg_segment_align: 8
    .kernarg_segment_size: 400
    .language:       OpenCL C
    .language_version:
      - 2
      - 0
    .max_flat_workgroup_size: 1024
    .name:           _ZN4vllm25paged_attention_v2_kernelIffLi128ELi32ELi128ELNS_18Fp8KVCacheDataTypeE0ELb1ELi512EEEvPfS2_PT_PKS3_PKT0_S9_ifPKiSB_iPKfiiiSD_SD_iiiii
    .private_segment_fixed_size: 296
    .sgpr_count:     54
    .sgpr_spill_count: 0
    .symbol:         _ZN4vllm25paged_attention_v2_kernelIffLi128ELi32ELi128ELNS_18Fp8KVCacheDataTypeE0ELb1ELi512EEEvPfS2_PT_PKS3_PKT0_S9_ifPKiSB_iPKfiiiSD_SD_iiiii.kd
    .uniform_work_group_size: 1
    .uses_dynamic_stack: false
    .vgpr_count:     128
    .vgpr_spill_count: 102
    .wavefront_size: 32
    .workgroup_processor_mode: 1
  - .args:
      - .actual_access:  write_only
        .address_space:  global
        .offset:         0
        .size:           8
        .value_kind:     global_buffer
      - .actual_access:  write_only
        .address_space:  global
        .offset:         8
        .size:           8
        .value_kind:     global_buffer
      - .actual_access:  write_only
        .address_space:  global
        .offset:         16
        .size:           8
        .value_kind:     global_buffer
      - .actual_access:  read_only
        .address_space:  global
        .offset:         24
        .size:           8
        .value_kind:     global_buffer
      - .actual_access:  read_only
        .address_space:  global
        .offset:         32
        .size:           8
        .value_kind:     global_buffer
      - .actual_access:  read_only
        .address_space:  global
        .offset:         40
        .size:           8
        .value_kind:     global_buffer
      - .offset:         48
        .size:           4
        .value_kind:     by_value
      - .offset:         52
        .size:           4
        .value_kind:     by_value
      - .actual_access:  read_only
        .address_space:  global
        .offset:         56
        .size:           8
        .value_kind:     global_buffer
      - .actual_access:  read_only
        .address_space:  global
        .offset:         64
        .size:           8
        .value_kind:     global_buffer
      - .offset:         72
        .size:           4
        .value_kind:     by_value
      - .actual_access:  read_only
        .address_space:  global
        .offset:         80
        .size:           8
        .value_kind:     global_buffer
      - .offset:         88
        .size:           4
        .value_kind:     by_value
      - .offset:         92
        .size:           4
        .value_kind:     by_value
      - .offset:         96
        .size:           4
        .value_kind:     by_value
      - .address_space:  global
        .offset:         104
        .size:           8
        .value_kind:     global_buffer
      - .address_space:  global
        .offset:         112
        .size:           8
        .value_kind:     global_buffer
      - .offset:         120
        .size:           4
        .value_kind:     by_value
      - .offset:         124
        .size:           4
        .value_kind:     by_value
      - .offset:         128
        .size:           4
        .value_kind:     by_value
      - .offset:         132
        .size:           4
        .value_kind:     by_value
      - .offset:         136
        .size:           4
        .value_kind:     by_value
      - .offset:         144
        .size:           4
        .value_kind:     hidden_block_count_x
      - .offset:         148
        .size:           4
        .value_kind:     hidden_block_count_y
      - .offset:         152
        .size:           4
        .value_kind:     hidden_block_count_z
      - .offset:         156
        .size:           2
        .value_kind:     hidden_group_size_x
      - .offset:         158
        .size:           2
        .value_kind:     hidden_group_size_y
      - .offset:         160
        .size:           2
        .value_kind:     hidden_group_size_z
      - .offset:         162
        .size:           2
        .value_kind:     hidden_remainder_x
      - .offset:         164
        .size:           2
        .value_kind:     hidden_remainder_y
      - .offset:         166
        .size:           2
        .value_kind:     hidden_remainder_z
      - .offset:         184
        .size:           8
        .value_kind:     hidden_global_offset_x
      - .offset:         192
        .size:           8
        .value_kind:     hidden_global_offset_y
      - .offset:         200
        .size:           8
        .value_kind:     hidden_global_offset_z
      - .offset:         208
        .size:           2
        .value_kind:     hidden_grid_dims
      - .offset:         264
        .size:           4
        .value_kind:     hidden_dynamic_lds_size
    .group_segment_fixed_size: 800
    .kernarg_segment_align: 8
    .kernarg_segment_size: 400
    .language:       OpenCL C
    .language_version:
      - 2
      - 0
    .max_flat_workgroup_size: 1024
    .name:           _ZN4vllm25paged_attention_v2_kernelIffLi192ELi32ELi128ELNS_18Fp8KVCacheDataTypeE0ELb1ELi512EEEvPfS2_PT_PKS3_PKT0_S9_ifPKiSB_iPKfiiiSD_SD_iiiii
    .private_segment_fixed_size: 604
    .sgpr_count:     54
    .sgpr_spill_count: 0
    .symbol:         _ZN4vllm25paged_attention_v2_kernelIffLi192ELi32ELi128ELNS_18Fp8KVCacheDataTypeE0ELb1ELi512EEEvPfS2_PT_PKS3_PKT0_S9_ifPKiSB_iPKfiiiSD_SD_iiiii.kd
    .uniform_work_group_size: 1
    .uses_dynamic_stack: false
    .vgpr_count:     128
    .vgpr_spill_count: 380
    .wavefront_size: 32
    .workgroup_processor_mode: 1
  - .args:
      - .actual_access:  write_only
        .address_space:  global
        .offset:         0
        .size:           8
        .value_kind:     global_buffer
      - .actual_access:  write_only
        .address_space:  global
        .offset:         8
        .size:           8
        .value_kind:     global_buffer
      - .actual_access:  write_only
        .address_space:  global
        .offset:         16
        .size:           8
        .value_kind:     global_buffer
      - .actual_access:  read_only
        .address_space:  global
        .offset:         24
        .size:           8
        .value_kind:     global_buffer
      - .actual_access:  read_only
        .address_space:  global
        .offset:         32
        .size:           8
        .value_kind:     global_buffer
      - .actual_access:  read_only
        .address_space:  global
        .offset:         40
        .size:           8
        .value_kind:     global_buffer
      - .offset:         48
        .size:           4
        .value_kind:     by_value
      - .offset:         52
        .size:           4
        .value_kind:     by_value
      - .actual_access:  read_only
        .address_space:  global
        .offset:         56
        .size:           8
        .value_kind:     global_buffer
      - .actual_access:  read_only
        .address_space:  global
        .offset:         64
        .size:           8
        .value_kind:     global_buffer
      - .offset:         72
        .size:           4
        .value_kind:     by_value
      - .actual_access:  read_only
        .address_space:  global
        .offset:         80
        .size:           8
        .value_kind:     global_buffer
      - .offset:         88
        .size:           4
        .value_kind:     by_value
      - .offset:         92
        .size:           4
        .value_kind:     by_value
      - .offset:         96
        .size:           4
        .value_kind:     by_value
      - .address_space:  global
        .offset:         104
        .size:           8
        .value_kind:     global_buffer
      - .address_space:  global
        .offset:         112
        .size:           8
        .value_kind:     global_buffer
      - .offset:         120
        .size:           4
        .value_kind:     by_value
      - .offset:         124
        .size:           4
        .value_kind:     by_value
      - .offset:         128
        .size:           4
        .value_kind:     by_value
      - .offset:         132
        .size:           4
        .value_kind:     by_value
      - .offset:         136
        .size:           4
        .value_kind:     by_value
      - .offset:         144
        .size:           4
        .value_kind:     hidden_block_count_x
      - .offset:         148
        .size:           4
        .value_kind:     hidden_block_count_y
      - .offset:         152
        .size:           4
        .value_kind:     hidden_block_count_z
      - .offset:         156
        .size:           2
        .value_kind:     hidden_group_size_x
      - .offset:         158
        .size:           2
        .value_kind:     hidden_group_size_y
      - .offset:         160
        .size:           2
        .value_kind:     hidden_group_size_z
      - .offset:         162
        .size:           2
        .value_kind:     hidden_remainder_x
      - .offset:         164
        .size:           2
        .value_kind:     hidden_remainder_y
      - .offset:         166
        .size:           2
        .value_kind:     hidden_remainder_z
      - .offset:         184
        .size:           8
        .value_kind:     hidden_global_offset_x
      - .offset:         192
        .size:           8
        .value_kind:     hidden_global_offset_y
      - .offset:         200
        .size:           8
        .value_kind:     hidden_global_offset_z
      - .offset:         208
        .size:           2
        .value_kind:     hidden_grid_dims
      - .offset:         264
        .size:           4
        .value_kind:     hidden_dynamic_lds_size
    .group_segment_fixed_size: 1056
    .kernarg_segment_align: 8
    .kernarg_segment_size: 400
    .language:       OpenCL C
    .language_version:
      - 2
      - 0
    .max_flat_workgroup_size: 1024
    .name:           _ZN4vllm25paged_attention_v2_kernelIffLi256ELi32ELi128ELNS_18Fp8KVCacheDataTypeE0ELb1ELi512EEEvPfS2_PT_PKS3_PKT0_S9_ifPKiSB_iPKfiiiSD_SD_iiiii
    .private_segment_fixed_size: 928
    .sgpr_count:     54
    .sgpr_spill_count: 0
    .symbol:         _ZN4vllm25paged_attention_v2_kernelIffLi256ELi32ELi128ELNS_18Fp8KVCacheDataTypeE0ELb1ELi512EEEvPfS2_PT_PKS3_PKT0_S9_ifPKiSB_iPKfiiiSD_SD_iiiii.kd
    .uniform_work_group_size: 1
    .uses_dynamic_stack: false
    .vgpr_count:     128
    .vgpr_spill_count: 625
    .wavefront_size: 32
    .workgroup_processor_mode: 1
  - .args:
      - .actual_access:  write_only
        .address_space:  global
        .offset:         0
        .size:           8
        .value_kind:     global_buffer
      - .actual_access:  write_only
        .address_space:  global
        .offset:         8
        .size:           8
        .value_kind:     global_buffer
      - .actual_access:  write_only
        .address_space:  global
        .offset:         16
        .size:           8
        .value_kind:     global_buffer
      - .actual_access:  read_only
        .address_space:  global
        .offset:         24
        .size:           8
        .value_kind:     global_buffer
      - .actual_access:  read_only
        .address_space:  global
        .offset:         32
        .size:           8
        .value_kind:     global_buffer
      - .actual_access:  read_only
        .address_space:  global
        .offset:         40
        .size:           8
        .value_kind:     global_buffer
      - .offset:         48
        .size:           4
        .value_kind:     by_value
      - .offset:         52
        .size:           4
        .value_kind:     by_value
      - .actual_access:  read_only
        .address_space:  global
        .offset:         56
        .size:           8
        .value_kind:     global_buffer
      - .actual_access:  read_only
        .address_space:  global
        .offset:         64
        .size:           8
        .value_kind:     global_buffer
      - .offset:         72
        .size:           4
        .value_kind:     by_value
      - .actual_access:  read_only
        .address_space:  global
        .offset:         80
        .size:           8
        .value_kind:     global_buffer
      - .offset:         88
        .size:           4
        .value_kind:     by_value
      - .offset:         92
        .size:           4
        .value_kind:     by_value
      - .offset:         96
        .size:           4
        .value_kind:     by_value
      - .address_space:  global
        .offset:         104
        .size:           8
        .value_kind:     global_buffer
      - .address_space:  global
        .offset:         112
        .size:           8
        .value_kind:     global_buffer
      - .offset:         120
        .size:           4
        .value_kind:     by_value
      - .offset:         124
        .size:           4
        .value_kind:     by_value
      - .offset:         128
        .size:           4
        .value_kind:     by_value
      - .offset:         132
        .size:           4
        .value_kind:     by_value
      - .offset:         136
        .size:           4
        .value_kind:     by_value
      - .offset:         144
        .size:           4
        .value_kind:     hidden_block_count_x
      - .offset:         148
        .size:           4
        .value_kind:     hidden_block_count_y
      - .offset:         152
        .size:           4
        .value_kind:     hidden_block_count_z
      - .offset:         156
        .size:           2
        .value_kind:     hidden_group_size_x
      - .offset:         158
        .size:           2
        .value_kind:     hidden_group_size_y
      - .offset:         160
        .size:           2
        .value_kind:     hidden_group_size_z
      - .offset:         162
        .size:           2
        .value_kind:     hidden_remainder_x
      - .offset:         164
        .size:           2
        .value_kind:     hidden_remainder_y
      - .offset:         166
        .size:           2
        .value_kind:     hidden_remainder_z
      - .offset:         184
        .size:           8
        .value_kind:     hidden_global_offset_x
      - .offset:         192
        .size:           8
        .value_kind:     hidden_global_offset_y
      - .offset:         200
        .size:           8
        .value_kind:     hidden_global_offset_z
      - .offset:         208
        .size:           2
        .value_kind:     hidden_grid_dims
      - .offset:         264
        .size:           4
        .value_kind:     hidden_dynamic_lds_size
    .group_segment_fixed_size: 160
    .kernarg_segment_align: 8
    .kernarg_segment_size: 400
    .language:       OpenCL C
    .language_version:
      - 2
      - 0
    .max_flat_workgroup_size: 1024
    .name:           _ZN4vllm25paged_attention_v2_kernelIffLi32ELi32ELi128ELNS_18Fp8KVCacheDataTypeE0ELb0ELi512EEEvPfS2_PT_PKS3_PKT0_S9_ifPKiSB_iPKfiiiSD_SD_iiiii
    .private_segment_fixed_size: 0
    .sgpr_count:     40
    .sgpr_spill_count: 0
    .symbol:         _ZN4vllm25paged_attention_v2_kernelIffLi32ELi32ELi128ELNS_18Fp8KVCacheDataTypeE0ELb0ELi512EEEvPfS2_PT_PKS3_PKT0_S9_ifPKiSB_iPKfiiiSD_SD_iiiii.kd
    .uniform_work_group_size: 1
    .uses_dynamic_stack: false
    .vgpr_count:     67
    .vgpr_spill_count: 0
    .wavefront_size: 32
    .workgroup_processor_mode: 1
  - .args:
      - .actual_access:  write_only
        .address_space:  global
        .offset:         0
        .size:           8
        .value_kind:     global_buffer
      - .actual_access:  write_only
        .address_space:  global
        .offset:         8
        .size:           8
        .value_kind:     global_buffer
      - .actual_access:  write_only
        .address_space:  global
        .offset:         16
        .size:           8
        .value_kind:     global_buffer
      - .actual_access:  read_only
        .address_space:  global
        .offset:         24
        .size:           8
        .value_kind:     global_buffer
      - .actual_access:  read_only
        .address_space:  global
        .offset:         32
        .size:           8
        .value_kind:     global_buffer
      - .actual_access:  read_only
        .address_space:  global
        .offset:         40
        .size:           8
        .value_kind:     global_buffer
      - .offset:         48
        .size:           4
        .value_kind:     by_value
      - .offset:         52
        .size:           4
        .value_kind:     by_value
      - .actual_access:  read_only
        .address_space:  global
        .offset:         56
        .size:           8
        .value_kind:     global_buffer
      - .actual_access:  read_only
        .address_space:  global
        .offset:         64
        .size:           8
        .value_kind:     global_buffer
      - .offset:         72
        .size:           4
        .value_kind:     by_value
      - .actual_access:  read_only
        .address_space:  global
        .offset:         80
        .size:           8
        .value_kind:     global_buffer
      - .offset:         88
        .size:           4
        .value_kind:     by_value
      - .offset:         92
        .size:           4
        .value_kind:     by_value
      - .offset:         96
        .size:           4
        .value_kind:     by_value
      - .address_space:  global
        .offset:         104
        .size:           8
        .value_kind:     global_buffer
      - .address_space:  global
        .offset:         112
        .size:           8
        .value_kind:     global_buffer
      - .offset:         120
        .size:           4
        .value_kind:     by_value
      - .offset:         124
        .size:           4
        .value_kind:     by_value
      - .offset:         128
        .size:           4
        .value_kind:     by_value
      - .offset:         132
        .size:           4
        .value_kind:     by_value
      - .offset:         136
        .size:           4
        .value_kind:     by_value
      - .offset:         144
        .size:           4
        .value_kind:     hidden_block_count_x
      - .offset:         148
        .size:           4
        .value_kind:     hidden_block_count_y
      - .offset:         152
        .size:           4
        .value_kind:     hidden_block_count_z
      - .offset:         156
        .size:           2
        .value_kind:     hidden_group_size_x
      - .offset:         158
        .size:           2
        .value_kind:     hidden_group_size_y
      - .offset:         160
        .size:           2
        .value_kind:     hidden_group_size_z
      - .offset:         162
        .size:           2
        .value_kind:     hidden_remainder_x
      - .offset:         164
        .size:           2
        .value_kind:     hidden_remainder_y
      - .offset:         166
        .size:           2
        .value_kind:     hidden_remainder_z
      - .offset:         184
        .size:           8
        .value_kind:     hidden_global_offset_x
      - .offset:         192
        .size:           8
        .value_kind:     hidden_global_offset_y
      - .offset:         200
        .size:           8
        .value_kind:     hidden_global_offset_z
      - .offset:         208
        .size:           2
        .value_kind:     hidden_grid_dims
      - .offset:         264
        .size:           4
        .value_kind:     hidden_dynamic_lds_size
    .group_segment_fixed_size: 288
    .kernarg_segment_align: 8
    .kernarg_segment_size: 400
    .language:       OpenCL C
    .language_version:
      - 2
      - 0
    .max_flat_workgroup_size: 1024
    .name:           _ZN4vllm25paged_attention_v2_kernelIffLi64ELi32ELi128ELNS_18Fp8KVCacheDataTypeE0ELb0ELi512EEEvPfS2_PT_PKS3_PKT0_S9_ifPKiSB_iPKfiiiSD_SD_iiiii
    .private_segment_fixed_size: 0
    .sgpr_count:     40
    .sgpr_spill_count: 0
    .symbol:         _ZN4vllm25paged_attention_v2_kernelIffLi64ELi32ELi128ELNS_18Fp8KVCacheDataTypeE0ELb0ELi512EEEvPfS2_PT_PKS3_PKT0_S9_ifPKiSB_iPKfiiiSD_SD_iiiii.kd
    .uniform_work_group_size: 1
    .uses_dynamic_stack: false
    .vgpr_count:     115
    .vgpr_spill_count: 0
    .wavefront_size: 32
    .workgroup_processor_mode: 1
  - .args:
      - .actual_access:  write_only
        .address_space:  global
        .offset:         0
        .size:           8
        .value_kind:     global_buffer
      - .actual_access:  write_only
        .address_space:  global
        .offset:         8
        .size:           8
        .value_kind:     global_buffer
      - .actual_access:  write_only
        .address_space:  global
        .offset:         16
        .size:           8
        .value_kind:     global_buffer
      - .actual_access:  read_only
        .address_space:  global
        .offset:         24
        .size:           8
        .value_kind:     global_buffer
      - .actual_access:  read_only
        .address_space:  global
        .offset:         32
        .size:           8
        .value_kind:     global_buffer
      - .actual_access:  read_only
        .address_space:  global
        .offset:         40
        .size:           8
        .value_kind:     global_buffer
      - .offset:         48
        .size:           4
        .value_kind:     by_value
      - .offset:         52
        .size:           4
        .value_kind:     by_value
      - .actual_access:  read_only
        .address_space:  global
        .offset:         56
        .size:           8
        .value_kind:     global_buffer
      - .actual_access:  read_only
        .address_space:  global
        .offset:         64
        .size:           8
        .value_kind:     global_buffer
      - .offset:         72
        .size:           4
        .value_kind:     by_value
      - .actual_access:  read_only
        .address_space:  global
        .offset:         80
        .size:           8
        .value_kind:     global_buffer
      - .offset:         88
        .size:           4
        .value_kind:     by_value
      - .offset:         92
        .size:           4
        .value_kind:     by_value
      - .offset:         96
        .size:           4
        .value_kind:     by_value
      - .address_space:  global
        .offset:         104
        .size:           8
        .value_kind:     global_buffer
      - .address_space:  global
        .offset:         112
        .size:           8
        .value_kind:     global_buffer
      - .offset:         120
        .size:           4
        .value_kind:     by_value
      - .offset:         124
        .size:           4
        .value_kind:     by_value
      - .offset:         128
        .size:           4
        .value_kind:     by_value
      - .offset:         132
        .size:           4
        .value_kind:     by_value
      - .offset:         136
        .size:           4
        .value_kind:     by_value
      - .offset:         144
        .size:           4
        .value_kind:     hidden_block_count_x
      - .offset:         148
        .size:           4
        .value_kind:     hidden_block_count_y
      - .offset:         152
        .size:           4
        .value_kind:     hidden_block_count_z
      - .offset:         156
        .size:           2
        .value_kind:     hidden_group_size_x
      - .offset:         158
        .size:           2
        .value_kind:     hidden_group_size_y
      - .offset:         160
        .size:           2
        .value_kind:     hidden_group_size_z
      - .offset:         162
        .size:           2
        .value_kind:     hidden_remainder_x
      - .offset:         164
        .size:           2
        .value_kind:     hidden_remainder_y
      - .offset:         166
        .size:           2
        .value_kind:     hidden_remainder_z
      - .offset:         184
        .size:           8
        .value_kind:     hidden_global_offset_x
      - .offset:         192
        .size:           8
        .value_kind:     hidden_global_offset_y
      - .offset:         200
        .size:           8
        .value_kind:     hidden_global_offset_z
      - .offset:         208
        .size:           2
        .value_kind:     hidden_grid_dims
      - .offset:         264
        .size:           4
        .value_kind:     hidden_dynamic_lds_size
    .group_segment_fixed_size: 352
    .kernarg_segment_align: 8
    .kernarg_segment_size: 400
    .language:       OpenCL C
    .language_version:
      - 2
      - 0
    .max_flat_workgroup_size: 1024
    .name:           _ZN4vllm25paged_attention_v2_kernelIffLi80ELi32ELi128ELNS_18Fp8KVCacheDataTypeE0ELb0ELi512EEEvPfS2_PT_PKS3_PKT0_S9_ifPKiSB_iPKfiiiSD_SD_iiiii
    .private_segment_fixed_size: 0
    .sgpr_count:     40
    .sgpr_spill_count: 0
    .symbol:         _ZN4vllm25paged_attention_v2_kernelIffLi80ELi32ELi128ELNS_18Fp8KVCacheDataTypeE0ELb0ELi512EEEvPfS2_PT_PKS3_PKT0_S9_ifPKiSB_iPKfiiiSD_SD_iiiii.kd
    .uniform_work_group_size: 1
    .uses_dynamic_stack: false
    .vgpr_count:     121
    .vgpr_spill_count: 0
    .wavefront_size: 32
    .workgroup_processor_mode: 1
  - .args:
      - .actual_access:  write_only
        .address_space:  global
        .offset:         0
        .size:           8
        .value_kind:     global_buffer
      - .actual_access:  write_only
        .address_space:  global
        .offset:         8
        .size:           8
        .value_kind:     global_buffer
      - .actual_access:  write_only
        .address_space:  global
        .offset:         16
        .size:           8
        .value_kind:     global_buffer
      - .actual_access:  read_only
        .address_space:  global
        .offset:         24
        .size:           8
        .value_kind:     global_buffer
      - .actual_access:  read_only
        .address_space:  global
        .offset:         32
        .size:           8
        .value_kind:     global_buffer
      - .actual_access:  read_only
        .address_space:  global
        .offset:         40
        .size:           8
        .value_kind:     global_buffer
      - .offset:         48
        .size:           4
        .value_kind:     by_value
      - .offset:         52
        .size:           4
        .value_kind:     by_value
      - .actual_access:  read_only
        .address_space:  global
        .offset:         56
        .size:           8
        .value_kind:     global_buffer
      - .actual_access:  read_only
        .address_space:  global
        .offset:         64
        .size:           8
        .value_kind:     global_buffer
      - .offset:         72
        .size:           4
        .value_kind:     by_value
      - .actual_access:  read_only
        .address_space:  global
        .offset:         80
        .size:           8
        .value_kind:     global_buffer
      - .offset:         88
        .size:           4
        .value_kind:     by_value
      - .offset:         92
        .size:           4
        .value_kind:     by_value
      - .offset:         96
        .size:           4
        .value_kind:     by_value
      - .address_space:  global
        .offset:         104
        .size:           8
        .value_kind:     global_buffer
      - .address_space:  global
        .offset:         112
        .size:           8
        .value_kind:     global_buffer
      - .offset:         120
        .size:           4
        .value_kind:     by_value
      - .offset:         124
        .size:           4
        .value_kind:     by_value
      - .offset:         128
        .size:           4
        .value_kind:     by_value
      - .offset:         132
        .size:           4
        .value_kind:     by_value
      - .offset:         136
        .size:           4
        .value_kind:     by_value
      - .offset:         144
        .size:           4
        .value_kind:     hidden_block_count_x
      - .offset:         148
        .size:           4
        .value_kind:     hidden_block_count_y
      - .offset:         152
        .size:           4
        .value_kind:     hidden_block_count_z
      - .offset:         156
        .size:           2
        .value_kind:     hidden_group_size_x
      - .offset:         158
        .size:           2
        .value_kind:     hidden_group_size_y
      - .offset:         160
        .size:           2
        .value_kind:     hidden_group_size_z
      - .offset:         162
        .size:           2
        .value_kind:     hidden_remainder_x
      - .offset:         164
        .size:           2
        .value_kind:     hidden_remainder_y
      - .offset:         166
        .size:           2
        .value_kind:     hidden_remainder_z
      - .offset:         184
        .size:           8
        .value_kind:     hidden_global_offset_x
      - .offset:         192
        .size:           8
        .value_kind:     hidden_global_offset_y
      - .offset:         200
        .size:           8
        .value_kind:     hidden_global_offset_z
      - .offset:         208
        .size:           2
        .value_kind:     hidden_grid_dims
      - .offset:         264
        .size:           4
        .value_kind:     hidden_dynamic_lds_size
    .group_segment_fixed_size: 416
    .kernarg_segment_align: 8
    .kernarg_segment_size: 400
    .language:       OpenCL C
    .language_version:
      - 2
      - 0
    .max_flat_workgroup_size: 1024
    .name:           _ZN4vllm25paged_attention_v2_kernelIffLi96ELi32ELi128ELNS_18Fp8KVCacheDataTypeE0ELb0ELi512EEEvPfS2_PT_PKS3_PKT0_S9_ifPKiSB_iPKfiiiSD_SD_iiiii
    .private_segment_fixed_size: 60
    .sgpr_count:     46
    .sgpr_spill_count: 0
    .symbol:         _ZN4vllm25paged_attention_v2_kernelIffLi96ELi32ELi128ELNS_18Fp8KVCacheDataTypeE0ELb0ELi512EEEvPfS2_PT_PKS3_PKT0_S9_ifPKiSB_iPKfiiiSD_SD_iiiii.kd
    .uniform_work_group_size: 1
    .uses_dynamic_stack: false
    .vgpr_count:     128
    .vgpr_spill_count: 14
    .wavefront_size: 32
    .workgroup_processor_mode: 1
  - .args:
      - .actual_access:  write_only
        .address_space:  global
        .offset:         0
        .size:           8
        .value_kind:     global_buffer
      - .actual_access:  write_only
        .address_space:  global
        .offset:         8
        .size:           8
        .value_kind:     global_buffer
      - .actual_access:  write_only
        .address_space:  global
        .offset:         16
        .size:           8
        .value_kind:     global_buffer
      - .actual_access:  read_only
        .address_space:  global
        .offset:         24
        .size:           8
        .value_kind:     global_buffer
      - .actual_access:  read_only
        .address_space:  global
        .offset:         32
        .size:           8
        .value_kind:     global_buffer
      - .actual_access:  read_only
        .address_space:  global
        .offset:         40
        .size:           8
        .value_kind:     global_buffer
      - .offset:         48
        .size:           4
        .value_kind:     by_value
      - .offset:         52
        .size:           4
        .value_kind:     by_value
      - .actual_access:  read_only
        .address_space:  global
        .offset:         56
        .size:           8
        .value_kind:     global_buffer
      - .actual_access:  read_only
        .address_space:  global
        .offset:         64
        .size:           8
        .value_kind:     global_buffer
      - .offset:         72
        .size:           4
        .value_kind:     by_value
      - .actual_access:  read_only
        .address_space:  global
        .offset:         80
        .size:           8
        .value_kind:     global_buffer
      - .offset:         88
        .size:           4
        .value_kind:     by_value
      - .offset:         92
        .size:           4
        .value_kind:     by_value
      - .offset:         96
        .size:           4
        .value_kind:     by_value
      - .address_space:  global
        .offset:         104
        .size:           8
        .value_kind:     global_buffer
      - .address_space:  global
        .offset:         112
        .size:           8
        .value_kind:     global_buffer
      - .offset:         120
        .size:           4
        .value_kind:     by_value
      - .offset:         124
        .size:           4
        .value_kind:     by_value
      - .offset:         128
        .size:           4
        .value_kind:     by_value
      - .offset:         132
        .size:           4
        .value_kind:     by_value
      - .offset:         136
        .size:           4
        .value_kind:     by_value
      - .offset:         144
        .size:           4
        .value_kind:     hidden_block_count_x
      - .offset:         148
        .size:           4
        .value_kind:     hidden_block_count_y
      - .offset:         152
        .size:           4
        .value_kind:     hidden_block_count_z
      - .offset:         156
        .size:           2
        .value_kind:     hidden_group_size_x
      - .offset:         158
        .size:           2
        .value_kind:     hidden_group_size_y
      - .offset:         160
        .size:           2
        .value_kind:     hidden_group_size_z
      - .offset:         162
        .size:           2
        .value_kind:     hidden_remainder_x
      - .offset:         164
        .size:           2
        .value_kind:     hidden_remainder_y
      - .offset:         166
        .size:           2
        .value_kind:     hidden_remainder_z
      - .offset:         184
        .size:           8
        .value_kind:     hidden_global_offset_x
      - .offset:         192
        .size:           8
        .value_kind:     hidden_global_offset_y
      - .offset:         200
        .size:           8
        .value_kind:     hidden_global_offset_z
      - .offset:         208
        .size:           2
        .value_kind:     hidden_grid_dims
      - .offset:         264
        .size:           4
        .value_kind:     hidden_dynamic_lds_size
    .group_segment_fixed_size: 480
    .kernarg_segment_align: 8
    .kernarg_segment_size: 400
    .language:       OpenCL C
    .language_version:
      - 2
      - 0
    .max_flat_workgroup_size: 1024
    .name:           _ZN4vllm25paged_attention_v2_kernelIffLi112ELi32ELi128ELNS_18Fp8KVCacheDataTypeE0ELb0ELi512EEEvPfS2_PT_PKS3_PKT0_S9_ifPKiSB_iPKfiiiSD_SD_iiiii
    .private_segment_fixed_size: 164
    .sgpr_count:     46
    .sgpr_spill_count: 0
    .symbol:         _ZN4vllm25paged_attention_v2_kernelIffLi112ELi32ELi128ELNS_18Fp8KVCacheDataTypeE0ELb0ELi512EEEvPfS2_PT_PKS3_PKT0_S9_ifPKiSB_iPKfiiiSD_SD_iiiii.kd
    .uniform_work_group_size: 1
    .uses_dynamic_stack: false
    .vgpr_count:     128
    .vgpr_spill_count: 67
    .wavefront_size: 32
    .workgroup_processor_mode: 1
  - .args:
      - .actual_access:  write_only
        .address_space:  global
        .offset:         0
        .size:           8
        .value_kind:     global_buffer
      - .actual_access:  write_only
        .address_space:  global
        .offset:         8
        .size:           8
        .value_kind:     global_buffer
      - .actual_access:  write_only
        .address_space:  global
        .offset:         16
        .size:           8
        .value_kind:     global_buffer
      - .actual_access:  read_only
        .address_space:  global
        .offset:         24
        .size:           8
        .value_kind:     global_buffer
      - .actual_access:  read_only
        .address_space:  global
        .offset:         32
        .size:           8
        .value_kind:     global_buffer
      - .actual_access:  read_only
        .address_space:  global
        .offset:         40
        .size:           8
        .value_kind:     global_buffer
      - .offset:         48
        .size:           4
        .value_kind:     by_value
      - .offset:         52
        .size:           4
        .value_kind:     by_value
      - .actual_access:  read_only
        .address_space:  global
        .offset:         56
        .size:           8
        .value_kind:     global_buffer
      - .actual_access:  read_only
        .address_space:  global
        .offset:         64
        .size:           8
        .value_kind:     global_buffer
      - .offset:         72
        .size:           4
        .value_kind:     by_value
      - .actual_access:  read_only
        .address_space:  global
        .offset:         80
        .size:           8
        .value_kind:     global_buffer
      - .offset:         88
        .size:           4
        .value_kind:     by_value
      - .offset:         92
        .size:           4
        .value_kind:     by_value
      - .offset:         96
        .size:           4
        .value_kind:     by_value
      - .address_space:  global
        .offset:         104
        .size:           8
        .value_kind:     global_buffer
      - .address_space:  global
        .offset:         112
        .size:           8
        .value_kind:     global_buffer
      - .offset:         120
        .size:           4
        .value_kind:     by_value
      - .offset:         124
        .size:           4
        .value_kind:     by_value
      - .offset:         128
        .size:           4
        .value_kind:     by_value
      - .offset:         132
        .size:           4
        .value_kind:     by_value
      - .offset:         136
        .size:           4
        .value_kind:     by_value
      - .offset:         144
        .size:           4
        .value_kind:     hidden_block_count_x
      - .offset:         148
        .size:           4
        .value_kind:     hidden_block_count_y
      - .offset:         152
        .size:           4
        .value_kind:     hidden_block_count_z
      - .offset:         156
        .size:           2
        .value_kind:     hidden_group_size_x
      - .offset:         158
        .size:           2
        .value_kind:     hidden_group_size_y
      - .offset:         160
        .size:           2
        .value_kind:     hidden_group_size_z
      - .offset:         162
        .size:           2
        .value_kind:     hidden_remainder_x
      - .offset:         164
        .size:           2
        .value_kind:     hidden_remainder_y
      - .offset:         166
        .size:           2
        .value_kind:     hidden_remainder_z
      - .offset:         184
        .size:           8
        .value_kind:     hidden_global_offset_x
      - .offset:         192
        .size:           8
        .value_kind:     hidden_global_offset_y
      - .offset:         200
        .size:           8
        .value_kind:     hidden_global_offset_z
      - .offset:         208
        .size:           2
        .value_kind:     hidden_grid_dims
      - .offset:         264
        .size:           4
        .value_kind:     hidden_dynamic_lds_size
    .group_segment_fixed_size: 512
    .kernarg_segment_align: 8
    .kernarg_segment_size: 400
    .language:       OpenCL C
    .language_version:
      - 2
      - 0
    .max_flat_workgroup_size: 1024
    .name:           _ZN4vllm25paged_attention_v2_kernelIffLi120ELi32ELi128ELNS_18Fp8KVCacheDataTypeE0ELb0ELi512EEEvPfS2_PT_PKS3_PKT0_S9_ifPKiSB_iPKfiiiSD_SD_iiiii
    .private_segment_fixed_size: 216
    .sgpr_count:     46
    .sgpr_spill_count: 0
    .symbol:         _ZN4vllm25paged_attention_v2_kernelIffLi120ELi32ELi128ELNS_18Fp8KVCacheDataTypeE0ELb0ELi512EEEvPfS2_PT_PKS3_PKT0_S9_ifPKiSB_iPKfiiiSD_SD_iiiii.kd
    .uniform_work_group_size: 1
    .uses_dynamic_stack: false
    .vgpr_count:     128
    .vgpr_spill_count: 91
    .wavefront_size: 32
    .workgroup_processor_mode: 1
  - .args:
      - .actual_access:  write_only
        .address_space:  global
        .offset:         0
        .size:           8
        .value_kind:     global_buffer
      - .actual_access:  write_only
        .address_space:  global
        .offset:         8
        .size:           8
        .value_kind:     global_buffer
      - .actual_access:  write_only
        .address_space:  global
        .offset:         16
        .size:           8
        .value_kind:     global_buffer
      - .actual_access:  read_only
        .address_space:  global
        .offset:         24
        .size:           8
        .value_kind:     global_buffer
      - .actual_access:  read_only
        .address_space:  global
        .offset:         32
        .size:           8
        .value_kind:     global_buffer
      - .actual_access:  read_only
        .address_space:  global
        .offset:         40
        .size:           8
        .value_kind:     global_buffer
      - .offset:         48
        .size:           4
        .value_kind:     by_value
      - .offset:         52
        .size:           4
        .value_kind:     by_value
      - .actual_access:  read_only
        .address_space:  global
        .offset:         56
        .size:           8
        .value_kind:     global_buffer
      - .actual_access:  read_only
        .address_space:  global
        .offset:         64
        .size:           8
        .value_kind:     global_buffer
      - .offset:         72
        .size:           4
        .value_kind:     by_value
      - .actual_access:  read_only
        .address_space:  global
        .offset:         80
        .size:           8
        .value_kind:     global_buffer
      - .offset:         88
        .size:           4
        .value_kind:     by_value
      - .offset:         92
        .size:           4
        .value_kind:     by_value
      - .offset:         96
        .size:           4
        .value_kind:     by_value
      - .address_space:  global
        .offset:         104
        .size:           8
        .value_kind:     global_buffer
      - .address_space:  global
        .offset:         112
        .size:           8
        .value_kind:     global_buffer
      - .offset:         120
        .size:           4
        .value_kind:     by_value
      - .offset:         124
        .size:           4
        .value_kind:     by_value
      - .offset:         128
        .size:           4
        .value_kind:     by_value
      - .offset:         132
        .size:           4
        .value_kind:     by_value
      - .offset:         136
        .size:           4
        .value_kind:     by_value
      - .offset:         144
        .size:           4
        .value_kind:     hidden_block_count_x
      - .offset:         148
        .size:           4
        .value_kind:     hidden_block_count_y
      - .offset:         152
        .size:           4
        .value_kind:     hidden_block_count_z
      - .offset:         156
        .size:           2
        .value_kind:     hidden_group_size_x
      - .offset:         158
        .size:           2
        .value_kind:     hidden_group_size_y
      - .offset:         160
        .size:           2
        .value_kind:     hidden_group_size_z
      - .offset:         162
        .size:           2
        .value_kind:     hidden_remainder_x
      - .offset:         164
        .size:           2
        .value_kind:     hidden_remainder_y
      - .offset:         166
        .size:           2
        .value_kind:     hidden_remainder_z
      - .offset:         184
        .size:           8
        .value_kind:     hidden_global_offset_x
      - .offset:         192
        .size:           8
        .value_kind:     hidden_global_offset_y
      - .offset:         200
        .size:           8
        .value_kind:     hidden_global_offset_z
      - .offset:         208
        .size:           2
        .value_kind:     hidden_grid_dims
      - .offset:         264
        .size:           4
        .value_kind:     hidden_dynamic_lds_size
    .group_segment_fixed_size: 544
    .kernarg_segment_align: 8
    .kernarg_segment_size: 400
    .language:       OpenCL C
    .language_version:
      - 2
      - 0
    .max_flat_workgroup_size: 1024
    .name:           _ZN4vllm25paged_attention_v2_kernelIffLi128ELi32ELi128ELNS_18Fp8KVCacheDataTypeE0ELb0ELi512EEEvPfS2_PT_PKS3_PKT0_S9_ifPKiSB_iPKfiiiSD_SD_iiiii
    .private_segment_fixed_size: 288
    .sgpr_count:     46
    .sgpr_spill_count: 0
    .symbol:         _ZN4vllm25paged_attention_v2_kernelIffLi128ELi32ELi128ELNS_18Fp8KVCacheDataTypeE0ELb0ELi512EEEvPfS2_PT_PKS3_PKT0_S9_ifPKiSB_iPKfiiiSD_SD_iiiii.kd
    .uniform_work_group_size: 1
    .uses_dynamic_stack: false
    .vgpr_count:     128
    .vgpr_spill_count: 126
    .wavefront_size: 32
    .workgroup_processor_mode: 1
  - .args:
      - .actual_access:  write_only
        .address_space:  global
        .offset:         0
        .size:           8
        .value_kind:     global_buffer
      - .actual_access:  write_only
        .address_space:  global
        .offset:         8
        .size:           8
        .value_kind:     global_buffer
      - .actual_access:  write_only
        .address_space:  global
        .offset:         16
        .size:           8
        .value_kind:     global_buffer
      - .actual_access:  read_only
        .address_space:  global
        .offset:         24
        .size:           8
        .value_kind:     global_buffer
      - .actual_access:  read_only
        .address_space:  global
        .offset:         32
        .size:           8
        .value_kind:     global_buffer
      - .actual_access:  read_only
        .address_space:  global
        .offset:         40
        .size:           8
        .value_kind:     global_buffer
      - .offset:         48
        .size:           4
        .value_kind:     by_value
      - .offset:         52
        .size:           4
        .value_kind:     by_value
      - .actual_access:  read_only
        .address_space:  global
        .offset:         56
        .size:           8
        .value_kind:     global_buffer
      - .actual_access:  read_only
        .address_space:  global
        .offset:         64
        .size:           8
        .value_kind:     global_buffer
      - .offset:         72
        .size:           4
        .value_kind:     by_value
      - .actual_access:  read_only
        .address_space:  global
        .offset:         80
        .size:           8
        .value_kind:     global_buffer
      - .offset:         88
        .size:           4
        .value_kind:     by_value
      - .offset:         92
        .size:           4
        .value_kind:     by_value
      - .offset:         96
        .size:           4
        .value_kind:     by_value
      - .address_space:  global
        .offset:         104
        .size:           8
        .value_kind:     global_buffer
      - .address_space:  global
        .offset:         112
        .size:           8
        .value_kind:     global_buffer
      - .offset:         120
        .size:           4
        .value_kind:     by_value
      - .offset:         124
        .size:           4
        .value_kind:     by_value
      - .offset:         128
        .size:           4
        .value_kind:     by_value
      - .offset:         132
        .size:           4
        .value_kind:     by_value
      - .offset:         136
        .size:           4
        .value_kind:     by_value
      - .offset:         144
        .size:           4
        .value_kind:     hidden_block_count_x
      - .offset:         148
        .size:           4
        .value_kind:     hidden_block_count_y
      - .offset:         152
        .size:           4
        .value_kind:     hidden_block_count_z
      - .offset:         156
        .size:           2
        .value_kind:     hidden_group_size_x
      - .offset:         158
        .size:           2
        .value_kind:     hidden_group_size_y
      - .offset:         160
        .size:           2
        .value_kind:     hidden_group_size_z
      - .offset:         162
        .size:           2
        .value_kind:     hidden_remainder_x
      - .offset:         164
        .size:           2
        .value_kind:     hidden_remainder_y
      - .offset:         166
        .size:           2
        .value_kind:     hidden_remainder_z
      - .offset:         184
        .size:           8
        .value_kind:     hidden_global_offset_x
      - .offset:         192
        .size:           8
        .value_kind:     hidden_global_offset_y
      - .offset:         200
        .size:           8
        .value_kind:     hidden_global_offset_z
      - .offset:         208
        .size:           2
        .value_kind:     hidden_grid_dims
      - .offset:         264
        .size:           4
        .value_kind:     hidden_dynamic_lds_size
    .group_segment_fixed_size: 800
    .kernarg_segment_align: 8
    .kernarg_segment_size: 400
    .language:       OpenCL C
    .language_version:
      - 2
      - 0
    .max_flat_workgroup_size: 1024
    .name:           _ZN4vllm25paged_attention_v2_kernelIffLi192ELi32ELi128ELNS_18Fp8KVCacheDataTypeE0ELb0ELi512EEEvPfS2_PT_PKS3_PKT0_S9_ifPKiSB_iPKfiiiSD_SD_iiiii
    .private_segment_fixed_size: 612
    .sgpr_count:     46
    .sgpr_spill_count: 0
    .symbol:         _ZN4vllm25paged_attention_v2_kernelIffLi192ELi32ELi128ELNS_18Fp8KVCacheDataTypeE0ELb0ELi512EEEvPfS2_PT_PKS3_PKT0_S9_ifPKiSB_iPKfiiiSD_SD_iiiii.kd
    .uniform_work_group_size: 1
    .uses_dynamic_stack: false
    .vgpr_count:     128
    .vgpr_spill_count: 345
    .wavefront_size: 32
    .workgroup_processor_mode: 1
  - .args:
      - .actual_access:  write_only
        .address_space:  global
        .offset:         0
        .size:           8
        .value_kind:     global_buffer
      - .actual_access:  write_only
        .address_space:  global
        .offset:         8
        .size:           8
        .value_kind:     global_buffer
      - .actual_access:  write_only
        .address_space:  global
        .offset:         16
        .size:           8
        .value_kind:     global_buffer
      - .actual_access:  read_only
        .address_space:  global
        .offset:         24
        .size:           8
        .value_kind:     global_buffer
      - .actual_access:  read_only
        .address_space:  global
        .offset:         32
        .size:           8
        .value_kind:     global_buffer
      - .actual_access:  read_only
        .address_space:  global
        .offset:         40
        .size:           8
        .value_kind:     global_buffer
      - .offset:         48
        .size:           4
        .value_kind:     by_value
      - .offset:         52
        .size:           4
        .value_kind:     by_value
      - .actual_access:  read_only
        .address_space:  global
        .offset:         56
        .size:           8
        .value_kind:     global_buffer
      - .actual_access:  read_only
        .address_space:  global
        .offset:         64
        .size:           8
        .value_kind:     global_buffer
      - .offset:         72
        .size:           4
        .value_kind:     by_value
      - .actual_access:  read_only
        .address_space:  global
        .offset:         80
        .size:           8
        .value_kind:     global_buffer
      - .offset:         88
        .size:           4
        .value_kind:     by_value
      - .offset:         92
        .size:           4
        .value_kind:     by_value
      - .offset:         96
        .size:           4
        .value_kind:     by_value
      - .address_space:  global
        .offset:         104
        .size:           8
        .value_kind:     global_buffer
      - .address_space:  global
        .offset:         112
        .size:           8
        .value_kind:     global_buffer
      - .offset:         120
        .size:           4
        .value_kind:     by_value
      - .offset:         124
        .size:           4
        .value_kind:     by_value
      - .offset:         128
        .size:           4
        .value_kind:     by_value
      - .offset:         132
        .size:           4
        .value_kind:     by_value
      - .offset:         136
        .size:           4
        .value_kind:     by_value
      - .offset:         144
        .size:           4
        .value_kind:     hidden_block_count_x
      - .offset:         148
        .size:           4
        .value_kind:     hidden_block_count_y
      - .offset:         152
        .size:           4
        .value_kind:     hidden_block_count_z
      - .offset:         156
        .size:           2
        .value_kind:     hidden_group_size_x
      - .offset:         158
        .size:           2
        .value_kind:     hidden_group_size_y
      - .offset:         160
        .size:           2
        .value_kind:     hidden_group_size_z
      - .offset:         162
        .size:           2
        .value_kind:     hidden_remainder_x
      - .offset:         164
        .size:           2
        .value_kind:     hidden_remainder_y
      - .offset:         166
        .size:           2
        .value_kind:     hidden_remainder_z
      - .offset:         184
        .size:           8
        .value_kind:     hidden_global_offset_x
      - .offset:         192
        .size:           8
        .value_kind:     hidden_global_offset_y
      - .offset:         200
        .size:           8
        .value_kind:     hidden_global_offset_z
      - .offset:         208
        .size:           2
        .value_kind:     hidden_grid_dims
      - .offset:         264
        .size:           4
        .value_kind:     hidden_dynamic_lds_size
    .group_segment_fixed_size: 1056
    .kernarg_segment_align: 8
    .kernarg_segment_size: 400
    .language:       OpenCL C
    .language_version:
      - 2
      - 0
    .max_flat_workgroup_size: 1024
    .name:           _ZN4vllm25paged_attention_v2_kernelIffLi256ELi32ELi128ELNS_18Fp8KVCacheDataTypeE0ELb0ELi512EEEvPfS2_PT_PKS3_PKT0_S9_ifPKiSB_iPKfiiiSD_SD_iiiii
    .private_segment_fixed_size: 924
    .sgpr_count:     46
    .sgpr_spill_count: 0
    .symbol:         _ZN4vllm25paged_attention_v2_kernelIffLi256ELi32ELi128ELNS_18Fp8KVCacheDataTypeE0ELb0ELi512EEEvPfS2_PT_PKS3_PKT0_S9_ifPKiSB_iPKfiiiSD_SD_iiiii.kd
    .uniform_work_group_size: 1
    .uses_dynamic_stack: false
    .vgpr_count:     128
    .vgpr_spill_count: 562
    .wavefront_size: 32
    .workgroup_processor_mode: 1
  - .args:
      - .actual_access:  write_only
        .address_space:  global
        .offset:         0
        .size:           8
        .value_kind:     global_buffer
      - .actual_access:  write_only
        .address_space:  global
        .offset:         8
        .size:           8
        .value_kind:     global_buffer
      - .actual_access:  write_only
        .address_space:  global
        .offset:         16
        .size:           8
        .value_kind:     global_buffer
      - .actual_access:  read_only
        .address_space:  global
        .offset:         24
        .size:           8
        .value_kind:     global_buffer
      - .actual_access:  read_only
        .address_space:  global
        .offset:         32
        .size:           8
        .value_kind:     global_buffer
      - .actual_access:  read_only
        .address_space:  global
        .offset:         40
        .size:           8
        .value_kind:     global_buffer
      - .offset:         48
        .size:           4
        .value_kind:     by_value
      - .offset:         52
        .size:           4
        .value_kind:     by_value
      - .actual_access:  read_only
        .address_space:  global
        .offset:         56
        .size:           8
        .value_kind:     global_buffer
      - .actual_access:  read_only
        .address_space:  global
        .offset:         64
        .size:           8
        .value_kind:     global_buffer
      - .offset:         72
        .size:           4
        .value_kind:     by_value
      - .actual_access:  read_only
        .address_space:  global
        .offset:         80
        .size:           8
        .value_kind:     global_buffer
      - .offset:         88
        .size:           4
        .value_kind:     by_value
      - .offset:         92
        .size:           4
        .value_kind:     by_value
      - .offset:         96
        .size:           4
        .value_kind:     by_value
      - .address_space:  global
        .offset:         104
        .size:           8
        .value_kind:     global_buffer
      - .address_space:  global
        .offset:         112
        .size:           8
        .value_kind:     global_buffer
      - .offset:         120
        .size:           4
        .value_kind:     by_value
      - .offset:         124
        .size:           4
        .value_kind:     by_value
      - .offset:         128
        .size:           4
        .value_kind:     by_value
      - .offset:         132
        .size:           4
        .value_kind:     by_value
      - .offset:         136
        .size:           4
        .value_kind:     by_value
      - .offset:         144
        .size:           4
        .value_kind:     hidden_block_count_x
      - .offset:         148
        .size:           4
        .value_kind:     hidden_block_count_y
      - .offset:         152
        .size:           4
        .value_kind:     hidden_block_count_z
      - .offset:         156
        .size:           2
        .value_kind:     hidden_group_size_x
      - .offset:         158
        .size:           2
        .value_kind:     hidden_group_size_y
      - .offset:         160
        .size:           2
        .value_kind:     hidden_group_size_z
      - .offset:         162
        .size:           2
        .value_kind:     hidden_remainder_x
      - .offset:         164
        .size:           2
        .value_kind:     hidden_remainder_y
      - .offset:         166
        .size:           2
        .value_kind:     hidden_remainder_z
      - .offset:         184
        .size:           8
        .value_kind:     hidden_global_offset_x
      - .offset:         192
        .size:           8
        .value_kind:     hidden_global_offset_y
      - .offset:         200
        .size:           8
        .value_kind:     hidden_global_offset_z
      - .offset:         208
        .size:           2
        .value_kind:     hidden_grid_dims
      - .offset:         264
        .size:           4
        .value_kind:     hidden_dynamic_lds_size
    .group_segment_fixed_size: 96
    .kernarg_segment_align: 8
    .kernarg_segment_size: 400
    .language:       OpenCL C
    .language_version:
      - 2
      - 0
    .max_flat_workgroup_size: 1024
    .name:           _ZN4vllm25paged_attention_v2_kernelIttLi32ELi8ELi128ELNS_18Fp8KVCacheDataTypeE0ELb1ELi512EEEvPfS2_PT_PKS3_PKT0_S9_ifPKiSB_iPKfiiiSD_SD_iiiii
    .private_segment_fixed_size: 0
    .sgpr_count:     48
    .sgpr_spill_count: 0
    .symbol:         _ZN4vllm25paged_attention_v2_kernelIttLi32ELi8ELi128ELNS_18Fp8KVCacheDataTypeE0ELb1ELi512EEEvPfS2_PT_PKS3_PKT0_S9_ifPKiSB_iPKfiiiSD_SD_iiiii.kd
    .uniform_work_group_size: 1
    .uses_dynamic_stack: false
    .vgpr_count:     35
    .vgpr_spill_count: 0
    .wavefront_size: 32
    .workgroup_processor_mode: 1
  - .args:
      - .actual_access:  write_only
        .address_space:  global
        .offset:         0
        .size:           8
        .value_kind:     global_buffer
      - .actual_access:  read_only
        .address_space:  global
        .offset:         8
        .size:           8
        .value_kind:     global_buffer
      - .actual_access:  read_only
        .address_space:  global
        .offset:         16
        .size:           8
        .value_kind:     global_buffer
      - .actual_access:  read_only
        .address_space:  global
        .offset:         24
        .size:           8
        .value_kind:     global_buffer
      - .actual_access:  read_only
        .address_space:  global
        .offset:         32
        .size:           8
        .value_kind:     global_buffer
      - .offset:         40
        .size:           4
        .value_kind:     by_value
      - .offset:         48
        .size:           4
        .value_kind:     hidden_block_count_x
      - .offset:         52
        .size:           4
        .value_kind:     hidden_block_count_y
      - .offset:         56
        .size:           4
        .value_kind:     hidden_block_count_z
      - .offset:         60
        .size:           2
        .value_kind:     hidden_group_size_x
      - .offset:         62
        .size:           2
        .value_kind:     hidden_group_size_y
      - .offset:         64
        .size:           2
        .value_kind:     hidden_group_size_z
      - .offset:         66
        .size:           2
        .value_kind:     hidden_remainder_x
      - .offset:         68
        .size:           2
        .value_kind:     hidden_remainder_y
      - .offset:         70
        .size:           2
        .value_kind:     hidden_remainder_z
      - .offset:         88
        .size:           8
        .value_kind:     hidden_global_offset_x
      - .offset:         96
        .size:           8
        .value_kind:     hidden_global_offset_y
      - .offset:         104
        .size:           8
        .value_kind:     hidden_global_offset_z
      - .offset:         112
        .size:           2
        .value_kind:     hidden_grid_dims
      - .offset:         168
        .size:           4
        .value_kind:     hidden_dynamic_lds_size
    .group_segment_fixed_size: 32
    .kernarg_segment_align: 8
    .kernarg_segment_size: 304
    .language:       OpenCL C
    .language_version:
      - 2
      - 0
    .max_flat_workgroup_size: 1024
    .name:           _ZN4vllm32paged_attention_v2_reduce_kernelItLi32ELi128ELi512EEEvPT_PKfS4_PKS1_PKii
    .private_segment_fixed_size: 0
    .sgpr_count:     32
    .sgpr_spill_count: 0
    .symbol:         _ZN4vllm32paged_attention_v2_reduce_kernelItLi32ELi128ELi512EEEvPT_PKfS4_PKS1_PKii.kd
    .uniform_work_group_size: 1
    .uses_dynamic_stack: false
    .vgpr_count:     19
    .vgpr_spill_count: 0
    .wavefront_size: 32
    .workgroup_processor_mode: 1
  - .args:
      - .actual_access:  write_only
        .address_space:  global
        .offset:         0
        .size:           8
        .value_kind:     global_buffer
      - .actual_access:  write_only
        .address_space:  global
        .offset:         8
        .size:           8
        .value_kind:     global_buffer
      - .actual_access:  write_only
        .address_space:  global
        .offset:         16
        .size:           8
        .value_kind:     global_buffer
      - .actual_access:  read_only
        .address_space:  global
        .offset:         24
        .size:           8
        .value_kind:     global_buffer
      - .actual_access:  read_only
        .address_space:  global
        .offset:         32
        .size:           8
        .value_kind:     global_buffer
      - .actual_access:  read_only
        .address_space:  global
        .offset:         40
        .size:           8
        .value_kind:     global_buffer
      - .offset:         48
        .size:           4
        .value_kind:     by_value
      - .offset:         52
        .size:           4
        .value_kind:     by_value
      - .actual_access:  read_only
        .address_space:  global
        .offset:         56
        .size:           8
        .value_kind:     global_buffer
      - .actual_access:  read_only
        .address_space:  global
        .offset:         64
        .size:           8
        .value_kind:     global_buffer
      - .offset:         72
        .size:           4
        .value_kind:     by_value
      - .actual_access:  read_only
        .address_space:  global
        .offset:         80
        .size:           8
        .value_kind:     global_buffer
      - .offset:         88
        .size:           4
        .value_kind:     by_value
      - .offset:         92
        .size:           4
        .value_kind:     by_value
      - .offset:         96
        .size:           4
        .value_kind:     by_value
      - .address_space:  global
        .offset:         104
        .size:           8
        .value_kind:     global_buffer
      - .address_space:  global
        .offset:         112
        .size:           8
        .value_kind:     global_buffer
      - .offset:         120
        .size:           4
        .value_kind:     by_value
      - .offset:         124
        .size:           4
        .value_kind:     by_value
      - .offset:         128
        .size:           4
        .value_kind:     by_value
      - .offset:         132
        .size:           4
        .value_kind:     by_value
      - .offset:         136
        .size:           4
        .value_kind:     by_value
      - .offset:         144
        .size:           4
        .value_kind:     hidden_block_count_x
      - .offset:         148
        .size:           4
        .value_kind:     hidden_block_count_y
      - .offset:         152
        .size:           4
        .value_kind:     hidden_block_count_z
      - .offset:         156
        .size:           2
        .value_kind:     hidden_group_size_x
      - .offset:         158
        .size:           2
        .value_kind:     hidden_group_size_y
      - .offset:         160
        .size:           2
        .value_kind:     hidden_group_size_z
      - .offset:         162
        .size:           2
        .value_kind:     hidden_remainder_x
      - .offset:         164
        .size:           2
        .value_kind:     hidden_remainder_y
      - .offset:         166
        .size:           2
        .value_kind:     hidden_remainder_z
      - .offset:         184
        .size:           8
        .value_kind:     hidden_global_offset_x
      - .offset:         192
        .size:           8
        .value_kind:     hidden_global_offset_y
      - .offset:         200
        .size:           8
        .value_kind:     hidden_global_offset_z
      - .offset:         208
        .size:           2
        .value_kind:     hidden_grid_dims
      - .offset:         264
        .size:           4
        .value_kind:     hidden_dynamic_lds_size
    .group_segment_fixed_size: 160
    .kernarg_segment_align: 8
    .kernarg_segment_size: 400
    .language:       OpenCL C
    .language_version:
      - 2
      - 0
    .max_flat_workgroup_size: 1024
    .name:           _ZN4vllm25paged_attention_v2_kernelIttLi64ELi8ELi128ELNS_18Fp8KVCacheDataTypeE0ELb1ELi512EEEvPfS2_PT_PKS3_PKT0_S9_ifPKiSB_iPKfiiiSD_SD_iiiii
    .private_segment_fixed_size: 0
    .sgpr_count:     48
    .sgpr_spill_count: 0
    .symbol:         _ZN4vllm25paged_attention_v2_kernelIttLi64ELi8ELi128ELNS_18Fp8KVCacheDataTypeE0ELb1ELi512EEEvPfS2_PT_PKS3_PKT0_S9_ifPKiSB_iPKfiiiSD_SD_iiiii.kd
    .uniform_work_group_size: 1
    .uses_dynamic_stack: false
    .vgpr_count:     49
    .vgpr_spill_count: 0
    .wavefront_size: 32
    .workgroup_processor_mode: 1
  - .args:
      - .actual_access:  write_only
        .address_space:  global
        .offset:         0
        .size:           8
        .value_kind:     global_buffer
      - .actual_access:  read_only
        .address_space:  global
        .offset:         8
        .size:           8
        .value_kind:     global_buffer
      - .actual_access:  read_only
        .address_space:  global
        .offset:         16
        .size:           8
        .value_kind:     global_buffer
      - .actual_access:  read_only
        .address_space:  global
        .offset:         24
        .size:           8
        .value_kind:     global_buffer
      - .actual_access:  read_only
        .address_space:  global
        .offset:         32
        .size:           8
        .value_kind:     global_buffer
      - .offset:         40
        .size:           4
        .value_kind:     by_value
      - .offset:         48
        .size:           4
        .value_kind:     hidden_block_count_x
      - .offset:         52
        .size:           4
        .value_kind:     hidden_block_count_y
      - .offset:         56
        .size:           4
        .value_kind:     hidden_block_count_z
      - .offset:         60
        .size:           2
        .value_kind:     hidden_group_size_x
      - .offset:         62
        .size:           2
        .value_kind:     hidden_group_size_y
      - .offset:         64
        .size:           2
        .value_kind:     hidden_group_size_z
      - .offset:         66
        .size:           2
        .value_kind:     hidden_remainder_x
      - .offset:         68
        .size:           2
        .value_kind:     hidden_remainder_y
      - .offset:         70
        .size:           2
        .value_kind:     hidden_remainder_z
      - .offset:         88
        .size:           8
        .value_kind:     hidden_global_offset_x
      - .offset:         96
        .size:           8
        .value_kind:     hidden_global_offset_y
      - .offset:         104
        .size:           8
        .value_kind:     hidden_global_offset_z
      - .offset:         112
        .size:           2
        .value_kind:     hidden_grid_dims
      - .offset:         168
        .size:           4
        .value_kind:     hidden_dynamic_lds_size
    .group_segment_fixed_size: 32
    .kernarg_segment_align: 8
    .kernarg_segment_size: 304
    .language:       OpenCL C
    .language_version:
      - 2
      - 0
    .max_flat_workgroup_size: 1024
    .name:           _ZN4vllm32paged_attention_v2_reduce_kernelItLi64ELi128ELi512EEEvPT_PKfS4_PKS1_PKii
    .private_segment_fixed_size: 0
    .sgpr_count:     32
    .sgpr_spill_count: 0
    .symbol:         _ZN4vllm32paged_attention_v2_reduce_kernelItLi64ELi128ELi512EEEvPT_PKfS4_PKS1_PKii.kd
    .uniform_work_group_size: 1
    .uses_dynamic_stack: false
    .vgpr_count:     19
    .vgpr_spill_count: 0
    .wavefront_size: 32
    .workgroup_processor_mode: 1
  - .args:
      - .actual_access:  write_only
        .address_space:  global
        .offset:         0
        .size:           8
        .value_kind:     global_buffer
      - .actual_access:  write_only
        .address_space:  global
        .offset:         8
        .size:           8
        .value_kind:     global_buffer
      - .actual_access:  write_only
        .address_space:  global
        .offset:         16
        .size:           8
        .value_kind:     global_buffer
      - .actual_access:  read_only
        .address_space:  global
        .offset:         24
        .size:           8
        .value_kind:     global_buffer
      - .actual_access:  read_only
        .address_space:  global
        .offset:         32
        .size:           8
        .value_kind:     global_buffer
      - .actual_access:  read_only
        .address_space:  global
        .offset:         40
        .size:           8
        .value_kind:     global_buffer
      - .offset:         48
        .size:           4
        .value_kind:     by_value
      - .offset:         52
        .size:           4
        .value_kind:     by_value
      - .actual_access:  read_only
        .address_space:  global
        .offset:         56
        .size:           8
        .value_kind:     global_buffer
      - .actual_access:  read_only
        .address_space:  global
        .offset:         64
        .size:           8
        .value_kind:     global_buffer
      - .offset:         72
        .size:           4
        .value_kind:     by_value
      - .actual_access:  read_only
        .address_space:  global
        .offset:         80
        .size:           8
        .value_kind:     global_buffer
      - .offset:         88
        .size:           4
        .value_kind:     by_value
      - .offset:         92
        .size:           4
        .value_kind:     by_value
      - .offset:         96
        .size:           4
        .value_kind:     by_value
      - .address_space:  global
        .offset:         104
        .size:           8
        .value_kind:     global_buffer
      - .address_space:  global
        .offset:         112
        .size:           8
        .value_kind:     global_buffer
      - .offset:         120
        .size:           4
        .value_kind:     by_value
      - .offset:         124
        .size:           4
        .value_kind:     by_value
      - .offset:         128
        .size:           4
        .value_kind:     by_value
      - .offset:         132
        .size:           4
        .value_kind:     by_value
      - .offset:         136
        .size:           4
        .value_kind:     by_value
      - .offset:         144
        .size:           4
        .value_kind:     hidden_block_count_x
      - .offset:         148
        .size:           4
        .value_kind:     hidden_block_count_y
      - .offset:         152
        .size:           4
        .value_kind:     hidden_block_count_z
      - .offset:         156
        .size:           2
        .value_kind:     hidden_group_size_x
      - .offset:         158
        .size:           2
        .value_kind:     hidden_group_size_y
      - .offset:         160
        .size:           2
        .value_kind:     hidden_group_size_z
      - .offset:         162
        .size:           2
        .value_kind:     hidden_remainder_x
      - .offset:         164
        .size:           2
        .value_kind:     hidden_remainder_y
      - .offset:         166
        .size:           2
        .value_kind:     hidden_remainder_z
      - .offset:         184
        .size:           8
        .value_kind:     hidden_global_offset_x
      - .offset:         192
        .size:           8
        .value_kind:     hidden_global_offset_y
      - .offset:         200
        .size:           8
        .value_kind:     hidden_global_offset_z
      - .offset:         208
        .size:           2
        .value_kind:     hidden_grid_dims
      - .offset:         264
        .size:           4
        .value_kind:     hidden_dynamic_lds_size
    .group_segment_fixed_size: 192
    .kernarg_segment_align: 8
    .kernarg_segment_size: 400
    .language:       OpenCL C
    .language_version:
      - 2
      - 0
    .max_flat_workgroup_size: 1024
    .name:           _ZN4vllm25paged_attention_v2_kernelIttLi80ELi8ELi128ELNS_18Fp8KVCacheDataTypeE0ELb1ELi512EEEvPfS2_PT_PKS3_PKT0_S9_ifPKiSB_iPKfiiiSD_SD_iiiii
    .private_segment_fixed_size: 0
    .sgpr_count:     48
    .sgpr_spill_count: 0
    .symbol:         _ZN4vllm25paged_attention_v2_kernelIttLi80ELi8ELi128ELNS_18Fp8KVCacheDataTypeE0ELb1ELi512EEEvPfS2_PT_PKS3_PKT0_S9_ifPKiSB_iPKfiiiSD_SD_iiiii.kd
    .uniform_work_group_size: 1
    .uses_dynamic_stack: false
    .vgpr_count:     56
    .vgpr_spill_count: 0
    .wavefront_size: 32
    .workgroup_processor_mode: 1
  - .args:
      - .actual_access:  write_only
        .address_space:  global
        .offset:         0
        .size:           8
        .value_kind:     global_buffer
      - .actual_access:  read_only
        .address_space:  global
        .offset:         8
        .size:           8
        .value_kind:     global_buffer
      - .actual_access:  read_only
        .address_space:  global
        .offset:         16
        .size:           8
        .value_kind:     global_buffer
      - .actual_access:  read_only
        .address_space:  global
        .offset:         24
        .size:           8
        .value_kind:     global_buffer
      - .actual_access:  read_only
        .address_space:  global
        .offset:         32
        .size:           8
        .value_kind:     global_buffer
      - .offset:         40
        .size:           4
        .value_kind:     by_value
      - .offset:         48
        .size:           4
        .value_kind:     hidden_block_count_x
      - .offset:         52
        .size:           4
        .value_kind:     hidden_block_count_y
      - .offset:         56
        .size:           4
        .value_kind:     hidden_block_count_z
      - .offset:         60
        .size:           2
        .value_kind:     hidden_group_size_x
      - .offset:         62
        .size:           2
        .value_kind:     hidden_group_size_y
      - .offset:         64
        .size:           2
        .value_kind:     hidden_group_size_z
      - .offset:         66
        .size:           2
        .value_kind:     hidden_remainder_x
      - .offset:         68
        .size:           2
        .value_kind:     hidden_remainder_y
      - .offset:         70
        .size:           2
        .value_kind:     hidden_remainder_z
      - .offset:         88
        .size:           8
        .value_kind:     hidden_global_offset_x
      - .offset:         96
        .size:           8
        .value_kind:     hidden_global_offset_y
      - .offset:         104
        .size:           8
        .value_kind:     hidden_global_offset_z
      - .offset:         112
        .size:           2
        .value_kind:     hidden_grid_dims
      - .offset:         168
        .size:           4
        .value_kind:     hidden_dynamic_lds_size
    .group_segment_fixed_size: 32
    .kernarg_segment_align: 8
    .kernarg_segment_size: 304
    .language:       OpenCL C
    .language_version:
      - 2
      - 0
    .max_flat_workgroup_size: 1024
    .name:           _ZN4vllm32paged_attention_v2_reduce_kernelItLi80ELi128ELi512EEEvPT_PKfS4_PKS1_PKii
    .private_segment_fixed_size: 0
    .sgpr_count:     32
    .sgpr_spill_count: 0
    .symbol:         _ZN4vllm32paged_attention_v2_reduce_kernelItLi80ELi128ELi512EEEvPT_PKfS4_PKS1_PKii.kd
    .uniform_work_group_size: 1
    .uses_dynamic_stack: false
    .vgpr_count:     19
    .vgpr_spill_count: 0
    .wavefront_size: 32
    .workgroup_processor_mode: 1
  - .args:
      - .actual_access:  write_only
        .address_space:  global
        .offset:         0
        .size:           8
        .value_kind:     global_buffer
      - .actual_access:  write_only
        .address_space:  global
        .offset:         8
        .size:           8
        .value_kind:     global_buffer
      - .actual_access:  write_only
        .address_space:  global
        .offset:         16
        .size:           8
        .value_kind:     global_buffer
      - .actual_access:  read_only
        .address_space:  global
        .offset:         24
        .size:           8
        .value_kind:     global_buffer
      - .actual_access:  read_only
        .address_space:  global
        .offset:         32
        .size:           8
        .value_kind:     global_buffer
      - .actual_access:  read_only
        .address_space:  global
        .offset:         40
        .size:           8
        .value_kind:     global_buffer
      - .offset:         48
        .size:           4
        .value_kind:     by_value
      - .offset:         52
        .size:           4
        .value_kind:     by_value
      - .actual_access:  read_only
        .address_space:  global
        .offset:         56
        .size:           8
        .value_kind:     global_buffer
      - .actual_access:  read_only
        .address_space:  global
        .offset:         64
        .size:           8
        .value_kind:     global_buffer
      - .offset:         72
        .size:           4
        .value_kind:     by_value
      - .actual_access:  read_only
        .address_space:  global
        .offset:         80
        .size:           8
        .value_kind:     global_buffer
      - .offset:         88
        .size:           4
        .value_kind:     by_value
      - .offset:         92
        .size:           4
        .value_kind:     by_value
      - .offset:         96
        .size:           4
        .value_kind:     by_value
      - .address_space:  global
        .offset:         104
        .size:           8
        .value_kind:     global_buffer
      - .address_space:  global
        .offset:         112
        .size:           8
        .value_kind:     global_buffer
      - .offset:         120
        .size:           4
        .value_kind:     by_value
      - .offset:         124
        .size:           4
        .value_kind:     by_value
      - .offset:         128
        .size:           4
        .value_kind:     by_value
      - .offset:         132
        .size:           4
        .value_kind:     by_value
      - .offset:         136
        .size:           4
        .value_kind:     by_value
      - .offset:         144
        .size:           4
        .value_kind:     hidden_block_count_x
      - .offset:         148
        .size:           4
        .value_kind:     hidden_block_count_y
      - .offset:         152
        .size:           4
        .value_kind:     hidden_block_count_z
      - .offset:         156
        .size:           2
        .value_kind:     hidden_group_size_x
      - .offset:         158
        .size:           2
        .value_kind:     hidden_group_size_y
      - .offset:         160
        .size:           2
        .value_kind:     hidden_group_size_z
      - .offset:         162
        .size:           2
        .value_kind:     hidden_remainder_x
      - .offset:         164
        .size:           2
        .value_kind:     hidden_remainder_y
      - .offset:         166
        .size:           2
        .value_kind:     hidden_remainder_z
      - .offset:         184
        .size:           8
        .value_kind:     hidden_global_offset_x
      - .offset:         192
        .size:           8
        .value_kind:     hidden_global_offset_y
      - .offset:         200
        .size:           8
        .value_kind:     hidden_global_offset_z
      - .offset:         208
        .size:           2
        .value_kind:     hidden_grid_dims
      - .offset:         264
        .size:           4
        .value_kind:     hidden_dynamic_lds_size
    .group_segment_fixed_size: 224
    .kernarg_segment_align: 8
    .kernarg_segment_size: 400
    .language:       OpenCL C
    .language_version:
      - 2
      - 0
    .max_flat_workgroup_size: 1024
    .name:           _ZN4vllm25paged_attention_v2_kernelIttLi96ELi8ELi128ELNS_18Fp8KVCacheDataTypeE0ELb1ELi512EEEvPfS2_PT_PKS3_PKT0_S9_ifPKiSB_iPKfiiiSD_SD_iiiii
    .private_segment_fixed_size: 0
    .sgpr_count:     48
    .sgpr_spill_count: 0
    .symbol:         _ZN4vllm25paged_attention_v2_kernelIttLi96ELi8ELi128ELNS_18Fp8KVCacheDataTypeE0ELb1ELi512EEEvPfS2_PT_PKS3_PKT0_S9_ifPKiSB_iPKfiiiSD_SD_iiiii.kd
    .uniform_work_group_size: 1
    .uses_dynamic_stack: false
    .vgpr_count:     64
    .vgpr_spill_count: 0
    .wavefront_size: 32
    .workgroup_processor_mode: 1
  - .args:
      - .actual_access:  write_only
        .address_space:  global
        .offset:         0
        .size:           8
        .value_kind:     global_buffer
      - .actual_access:  read_only
        .address_space:  global
        .offset:         8
        .size:           8
        .value_kind:     global_buffer
      - .actual_access:  read_only
        .address_space:  global
        .offset:         16
        .size:           8
        .value_kind:     global_buffer
      - .actual_access:  read_only
        .address_space:  global
        .offset:         24
        .size:           8
        .value_kind:     global_buffer
      - .actual_access:  read_only
        .address_space:  global
        .offset:         32
        .size:           8
        .value_kind:     global_buffer
      - .offset:         40
        .size:           4
        .value_kind:     by_value
      - .offset:         48
        .size:           4
        .value_kind:     hidden_block_count_x
      - .offset:         52
        .size:           4
        .value_kind:     hidden_block_count_y
      - .offset:         56
        .size:           4
        .value_kind:     hidden_block_count_z
      - .offset:         60
        .size:           2
        .value_kind:     hidden_group_size_x
      - .offset:         62
        .size:           2
        .value_kind:     hidden_group_size_y
      - .offset:         64
        .size:           2
        .value_kind:     hidden_group_size_z
      - .offset:         66
        .size:           2
        .value_kind:     hidden_remainder_x
      - .offset:         68
        .size:           2
        .value_kind:     hidden_remainder_y
      - .offset:         70
        .size:           2
        .value_kind:     hidden_remainder_z
      - .offset:         88
        .size:           8
        .value_kind:     hidden_global_offset_x
      - .offset:         96
        .size:           8
        .value_kind:     hidden_global_offset_y
      - .offset:         104
        .size:           8
        .value_kind:     hidden_global_offset_z
      - .offset:         112
        .size:           2
        .value_kind:     hidden_grid_dims
      - .offset:         168
        .size:           4
        .value_kind:     hidden_dynamic_lds_size
    .group_segment_fixed_size: 32
    .kernarg_segment_align: 8
    .kernarg_segment_size: 304
    .language:       OpenCL C
    .language_version:
      - 2
      - 0
    .max_flat_workgroup_size: 1024
    .name:           _ZN4vllm32paged_attention_v2_reduce_kernelItLi96ELi128ELi512EEEvPT_PKfS4_PKS1_PKii
    .private_segment_fixed_size: 0
    .sgpr_count:     32
    .sgpr_spill_count: 0
    .symbol:         _ZN4vllm32paged_attention_v2_reduce_kernelItLi96ELi128ELi512EEEvPT_PKfS4_PKS1_PKii.kd
    .uniform_work_group_size: 1
    .uses_dynamic_stack: false
    .vgpr_count:     19
    .vgpr_spill_count: 0
    .wavefront_size: 32
    .workgroup_processor_mode: 1
  - .args:
      - .actual_access:  write_only
        .address_space:  global
        .offset:         0
        .size:           8
        .value_kind:     global_buffer
      - .actual_access:  write_only
        .address_space:  global
        .offset:         8
        .size:           8
        .value_kind:     global_buffer
      - .actual_access:  write_only
        .address_space:  global
        .offset:         16
        .size:           8
        .value_kind:     global_buffer
      - .actual_access:  read_only
        .address_space:  global
        .offset:         24
        .size:           8
        .value_kind:     global_buffer
      - .actual_access:  read_only
        .address_space:  global
        .offset:         32
        .size:           8
        .value_kind:     global_buffer
      - .actual_access:  read_only
        .address_space:  global
        .offset:         40
        .size:           8
        .value_kind:     global_buffer
      - .offset:         48
        .size:           4
        .value_kind:     by_value
      - .offset:         52
        .size:           4
        .value_kind:     by_value
      - .actual_access:  read_only
        .address_space:  global
        .offset:         56
        .size:           8
        .value_kind:     global_buffer
      - .actual_access:  read_only
        .address_space:  global
        .offset:         64
        .size:           8
        .value_kind:     global_buffer
      - .offset:         72
        .size:           4
        .value_kind:     by_value
      - .actual_access:  read_only
        .address_space:  global
        .offset:         80
        .size:           8
        .value_kind:     global_buffer
      - .offset:         88
        .size:           4
        .value_kind:     by_value
      - .offset:         92
        .size:           4
        .value_kind:     by_value
      - .offset:         96
        .size:           4
        .value_kind:     by_value
      - .address_space:  global
        .offset:         104
        .size:           8
        .value_kind:     global_buffer
      - .address_space:  global
        .offset:         112
        .size:           8
        .value_kind:     global_buffer
      - .offset:         120
        .size:           4
        .value_kind:     by_value
      - .offset:         124
        .size:           4
        .value_kind:     by_value
      - .offset:         128
        .size:           4
        .value_kind:     by_value
      - .offset:         132
        .size:           4
        .value_kind:     by_value
      - .offset:         136
        .size:           4
        .value_kind:     by_value
      - .offset:         144
        .size:           4
        .value_kind:     hidden_block_count_x
      - .offset:         148
        .size:           4
        .value_kind:     hidden_block_count_y
      - .offset:         152
        .size:           4
        .value_kind:     hidden_block_count_z
      - .offset:         156
        .size:           2
        .value_kind:     hidden_group_size_x
      - .offset:         158
        .size:           2
        .value_kind:     hidden_group_size_y
      - .offset:         160
        .size:           2
        .value_kind:     hidden_group_size_z
      - .offset:         162
        .size:           2
        .value_kind:     hidden_remainder_x
      - .offset:         164
        .size:           2
        .value_kind:     hidden_remainder_y
      - .offset:         166
        .size:           2
        .value_kind:     hidden_remainder_z
      - .offset:         184
        .size:           8
        .value_kind:     hidden_global_offset_x
      - .offset:         192
        .size:           8
        .value_kind:     hidden_global_offset_y
      - .offset:         200
        .size:           8
        .value_kind:     hidden_global_offset_z
      - .offset:         208
        .size:           2
        .value_kind:     hidden_grid_dims
      - .offset:         264
        .size:           4
        .value_kind:     hidden_dynamic_lds_size
    .group_segment_fixed_size: 256
    .kernarg_segment_align: 8
    .kernarg_segment_size: 400
    .language:       OpenCL C
    .language_version:
      - 2
      - 0
    .max_flat_workgroup_size: 1024
    .name:           _ZN4vllm25paged_attention_v2_kernelIttLi112ELi8ELi128ELNS_18Fp8KVCacheDataTypeE0ELb1ELi512EEEvPfS2_PT_PKS3_PKT0_S9_ifPKiSB_iPKfiiiSD_SD_iiiii
    .private_segment_fixed_size: 0
    .sgpr_count:     48
    .sgpr_spill_count: 0
    .symbol:         _ZN4vllm25paged_attention_v2_kernelIttLi112ELi8ELi128ELNS_18Fp8KVCacheDataTypeE0ELb1ELi512EEEvPfS2_PT_PKS3_PKT0_S9_ifPKiSB_iPKfiiiSD_SD_iiiii.kd
    .uniform_work_group_size: 1
    .uses_dynamic_stack: false
    .vgpr_count:     69
    .vgpr_spill_count: 0
    .wavefront_size: 32
    .workgroup_processor_mode: 1
  - .args:
      - .actual_access:  write_only
        .address_space:  global
        .offset:         0
        .size:           8
        .value_kind:     global_buffer
      - .actual_access:  read_only
        .address_space:  global
        .offset:         8
        .size:           8
        .value_kind:     global_buffer
      - .actual_access:  read_only
        .address_space:  global
        .offset:         16
        .size:           8
        .value_kind:     global_buffer
      - .actual_access:  read_only
        .address_space:  global
        .offset:         24
        .size:           8
        .value_kind:     global_buffer
      - .actual_access:  read_only
        .address_space:  global
        .offset:         32
        .size:           8
        .value_kind:     global_buffer
      - .offset:         40
        .size:           4
        .value_kind:     by_value
      - .offset:         48
        .size:           4
        .value_kind:     hidden_block_count_x
      - .offset:         52
        .size:           4
        .value_kind:     hidden_block_count_y
      - .offset:         56
        .size:           4
        .value_kind:     hidden_block_count_z
      - .offset:         60
        .size:           2
        .value_kind:     hidden_group_size_x
      - .offset:         62
        .size:           2
        .value_kind:     hidden_group_size_y
      - .offset:         64
        .size:           2
        .value_kind:     hidden_group_size_z
      - .offset:         66
        .size:           2
        .value_kind:     hidden_remainder_x
      - .offset:         68
        .size:           2
        .value_kind:     hidden_remainder_y
      - .offset:         70
        .size:           2
        .value_kind:     hidden_remainder_z
      - .offset:         88
        .size:           8
        .value_kind:     hidden_global_offset_x
      - .offset:         96
        .size:           8
        .value_kind:     hidden_global_offset_y
      - .offset:         104
        .size:           8
        .value_kind:     hidden_global_offset_z
      - .offset:         112
        .size:           2
        .value_kind:     hidden_grid_dims
      - .offset:         168
        .size:           4
        .value_kind:     hidden_dynamic_lds_size
    .group_segment_fixed_size: 32
    .kernarg_segment_align: 8
    .kernarg_segment_size: 304
    .language:       OpenCL C
    .language_version:
      - 2
      - 0
    .max_flat_workgroup_size: 1024
    .name:           _ZN4vllm32paged_attention_v2_reduce_kernelItLi112ELi128ELi512EEEvPT_PKfS4_PKS1_PKii
    .private_segment_fixed_size: 0
    .sgpr_count:     32
    .sgpr_spill_count: 0
    .symbol:         _ZN4vllm32paged_attention_v2_reduce_kernelItLi112ELi128ELi512EEEvPT_PKfS4_PKS1_PKii.kd
    .uniform_work_group_size: 1
    .uses_dynamic_stack: false
    .vgpr_count:     19
    .vgpr_spill_count: 0
    .wavefront_size: 32
    .workgroup_processor_mode: 1
  - .args:
      - .actual_access:  write_only
        .address_space:  global
        .offset:         0
        .size:           8
        .value_kind:     global_buffer
      - .actual_access:  write_only
        .address_space:  global
        .offset:         8
        .size:           8
        .value_kind:     global_buffer
      - .actual_access:  write_only
        .address_space:  global
        .offset:         16
        .size:           8
        .value_kind:     global_buffer
      - .actual_access:  read_only
        .address_space:  global
        .offset:         24
        .size:           8
        .value_kind:     global_buffer
      - .actual_access:  read_only
        .address_space:  global
        .offset:         32
        .size:           8
        .value_kind:     global_buffer
      - .actual_access:  read_only
        .address_space:  global
        .offset:         40
        .size:           8
        .value_kind:     global_buffer
      - .offset:         48
        .size:           4
        .value_kind:     by_value
      - .offset:         52
        .size:           4
        .value_kind:     by_value
      - .actual_access:  read_only
        .address_space:  global
        .offset:         56
        .size:           8
        .value_kind:     global_buffer
      - .actual_access:  read_only
        .address_space:  global
        .offset:         64
        .size:           8
        .value_kind:     global_buffer
      - .offset:         72
        .size:           4
        .value_kind:     by_value
      - .actual_access:  read_only
        .address_space:  global
        .offset:         80
        .size:           8
        .value_kind:     global_buffer
      - .offset:         88
        .size:           4
        .value_kind:     by_value
      - .offset:         92
        .size:           4
        .value_kind:     by_value
      - .offset:         96
        .size:           4
        .value_kind:     by_value
      - .address_space:  global
        .offset:         104
        .size:           8
        .value_kind:     global_buffer
      - .address_space:  global
        .offset:         112
        .size:           8
        .value_kind:     global_buffer
      - .offset:         120
        .size:           4
        .value_kind:     by_value
      - .offset:         124
        .size:           4
        .value_kind:     by_value
      - .offset:         128
        .size:           4
        .value_kind:     by_value
      - .offset:         132
        .size:           4
        .value_kind:     by_value
      - .offset:         136
        .size:           4
        .value_kind:     by_value
      - .offset:         144
        .size:           4
        .value_kind:     hidden_block_count_x
      - .offset:         148
        .size:           4
        .value_kind:     hidden_block_count_y
      - .offset:         152
        .size:           4
        .value_kind:     hidden_block_count_z
      - .offset:         156
        .size:           2
        .value_kind:     hidden_group_size_x
      - .offset:         158
        .size:           2
        .value_kind:     hidden_group_size_y
      - .offset:         160
        .size:           2
        .value_kind:     hidden_group_size_z
      - .offset:         162
        .size:           2
        .value_kind:     hidden_remainder_x
      - .offset:         164
        .size:           2
        .value_kind:     hidden_remainder_y
      - .offset:         166
        .size:           2
        .value_kind:     hidden_remainder_z
      - .offset:         184
        .size:           8
        .value_kind:     hidden_global_offset_x
      - .offset:         192
        .size:           8
        .value_kind:     hidden_global_offset_y
      - .offset:         200
        .size:           8
        .value_kind:     hidden_global_offset_z
      - .offset:         208
        .size:           2
        .value_kind:     hidden_grid_dims
      - .offset:         264
        .size:           4
        .value_kind:     hidden_dynamic_lds_size
    .group_segment_fixed_size: 272
    .kernarg_segment_align: 8
    .kernarg_segment_size: 400
    .language:       OpenCL C
    .language_version:
      - 2
      - 0
    .max_flat_workgroup_size: 1024
    .name:           _ZN4vllm25paged_attention_v2_kernelIttLi120ELi8ELi128ELNS_18Fp8KVCacheDataTypeE0ELb1ELi512EEEvPfS2_PT_PKS3_PKT0_S9_ifPKiSB_iPKfiiiSD_SD_iiiii
    .private_segment_fixed_size: 0
    .sgpr_count:     48
    .sgpr_spill_count: 0
    .symbol:         _ZN4vllm25paged_attention_v2_kernelIttLi120ELi8ELi128ELNS_18Fp8KVCacheDataTypeE0ELb1ELi512EEEvPfS2_PT_PKS3_PKT0_S9_ifPKiSB_iPKfiiiSD_SD_iiiii.kd
    .uniform_work_group_size: 1
    .uses_dynamic_stack: false
    .vgpr_count:     73
    .vgpr_spill_count: 0
    .wavefront_size: 32
    .workgroup_processor_mode: 1
  - .args:
      - .actual_access:  write_only
        .address_space:  global
        .offset:         0
        .size:           8
        .value_kind:     global_buffer
      - .actual_access:  read_only
        .address_space:  global
        .offset:         8
        .size:           8
        .value_kind:     global_buffer
      - .actual_access:  read_only
        .address_space:  global
        .offset:         16
        .size:           8
        .value_kind:     global_buffer
      - .actual_access:  read_only
        .address_space:  global
        .offset:         24
        .size:           8
        .value_kind:     global_buffer
      - .actual_access:  read_only
        .address_space:  global
        .offset:         32
        .size:           8
        .value_kind:     global_buffer
      - .offset:         40
        .size:           4
        .value_kind:     by_value
      - .offset:         48
        .size:           4
        .value_kind:     hidden_block_count_x
      - .offset:         52
        .size:           4
        .value_kind:     hidden_block_count_y
      - .offset:         56
        .size:           4
        .value_kind:     hidden_block_count_z
      - .offset:         60
        .size:           2
        .value_kind:     hidden_group_size_x
      - .offset:         62
        .size:           2
        .value_kind:     hidden_group_size_y
      - .offset:         64
        .size:           2
        .value_kind:     hidden_group_size_z
      - .offset:         66
        .size:           2
        .value_kind:     hidden_remainder_x
      - .offset:         68
        .size:           2
        .value_kind:     hidden_remainder_y
      - .offset:         70
        .size:           2
        .value_kind:     hidden_remainder_z
      - .offset:         88
        .size:           8
        .value_kind:     hidden_global_offset_x
      - .offset:         96
        .size:           8
        .value_kind:     hidden_global_offset_y
      - .offset:         104
        .size:           8
        .value_kind:     hidden_global_offset_z
      - .offset:         112
        .size:           2
        .value_kind:     hidden_grid_dims
      - .offset:         168
        .size:           4
        .value_kind:     hidden_dynamic_lds_size
    .group_segment_fixed_size: 32
    .kernarg_segment_align: 8
    .kernarg_segment_size: 304
    .language:       OpenCL C
    .language_version:
      - 2
      - 0
    .max_flat_workgroup_size: 1024
    .name:           _ZN4vllm32paged_attention_v2_reduce_kernelItLi120ELi128ELi512EEEvPT_PKfS4_PKS1_PKii
    .private_segment_fixed_size: 0
    .sgpr_count:     32
    .sgpr_spill_count: 0
    .symbol:         _ZN4vllm32paged_attention_v2_reduce_kernelItLi120ELi128ELi512EEEvPT_PKfS4_PKS1_PKii.kd
    .uniform_work_group_size: 1
    .uses_dynamic_stack: false
    .vgpr_count:     19
    .vgpr_spill_count: 0
    .wavefront_size: 32
    .workgroup_processor_mode: 1
  - .args:
      - .actual_access:  write_only
        .address_space:  global
        .offset:         0
        .size:           8
        .value_kind:     global_buffer
      - .actual_access:  write_only
        .address_space:  global
        .offset:         8
        .size:           8
        .value_kind:     global_buffer
      - .actual_access:  write_only
        .address_space:  global
        .offset:         16
        .size:           8
        .value_kind:     global_buffer
      - .actual_access:  read_only
        .address_space:  global
        .offset:         24
        .size:           8
        .value_kind:     global_buffer
      - .actual_access:  read_only
        .address_space:  global
        .offset:         32
        .size:           8
        .value_kind:     global_buffer
      - .actual_access:  read_only
        .address_space:  global
        .offset:         40
        .size:           8
        .value_kind:     global_buffer
      - .offset:         48
        .size:           4
        .value_kind:     by_value
      - .offset:         52
        .size:           4
        .value_kind:     by_value
      - .actual_access:  read_only
        .address_space:  global
        .offset:         56
        .size:           8
        .value_kind:     global_buffer
      - .actual_access:  read_only
        .address_space:  global
        .offset:         64
        .size:           8
        .value_kind:     global_buffer
      - .offset:         72
        .size:           4
        .value_kind:     by_value
      - .actual_access:  read_only
        .address_space:  global
        .offset:         80
        .size:           8
        .value_kind:     global_buffer
      - .offset:         88
        .size:           4
        .value_kind:     by_value
      - .offset:         92
        .size:           4
        .value_kind:     by_value
      - .offset:         96
        .size:           4
        .value_kind:     by_value
      - .address_space:  global
        .offset:         104
        .size:           8
        .value_kind:     global_buffer
      - .address_space:  global
        .offset:         112
        .size:           8
        .value_kind:     global_buffer
      - .offset:         120
        .size:           4
        .value_kind:     by_value
      - .offset:         124
        .size:           4
        .value_kind:     by_value
      - .offset:         128
        .size:           4
        .value_kind:     by_value
      - .offset:         132
        .size:           4
        .value_kind:     by_value
      - .offset:         136
        .size:           4
        .value_kind:     by_value
      - .offset:         144
        .size:           4
        .value_kind:     hidden_block_count_x
      - .offset:         148
        .size:           4
        .value_kind:     hidden_block_count_y
      - .offset:         152
        .size:           4
        .value_kind:     hidden_block_count_z
      - .offset:         156
        .size:           2
        .value_kind:     hidden_group_size_x
      - .offset:         158
        .size:           2
        .value_kind:     hidden_group_size_y
      - .offset:         160
        .size:           2
        .value_kind:     hidden_group_size_z
      - .offset:         162
        .size:           2
        .value_kind:     hidden_remainder_x
      - .offset:         164
        .size:           2
        .value_kind:     hidden_remainder_y
      - .offset:         166
        .size:           2
        .value_kind:     hidden_remainder_z
      - .offset:         184
        .size:           8
        .value_kind:     hidden_global_offset_x
      - .offset:         192
        .size:           8
        .value_kind:     hidden_global_offset_y
      - .offset:         200
        .size:           8
        .value_kind:     hidden_global_offset_z
      - .offset:         208
        .size:           2
        .value_kind:     hidden_grid_dims
      - .offset:         264
        .size:           4
        .value_kind:     hidden_dynamic_lds_size
    .group_segment_fixed_size: 288
    .kernarg_segment_align: 8
    .kernarg_segment_size: 400
    .language:       OpenCL C
    .language_version:
      - 2
      - 0
    .max_flat_workgroup_size: 1024
    .name:           _ZN4vllm25paged_attention_v2_kernelIttLi128ELi8ELi128ELNS_18Fp8KVCacheDataTypeE0ELb1ELi512EEEvPfS2_PT_PKS3_PKT0_S9_ifPKiSB_iPKfiiiSD_SD_iiiii
    .private_segment_fixed_size: 0
    .sgpr_count:     48
    .sgpr_spill_count: 0
    .symbol:         _ZN4vllm25paged_attention_v2_kernelIttLi128ELi8ELi128ELNS_18Fp8KVCacheDataTypeE0ELb1ELi512EEEvPfS2_PT_PKS3_PKT0_S9_ifPKiSB_iPKfiiiSD_SD_iiiii.kd
    .uniform_work_group_size: 1
    .uses_dynamic_stack: false
    .vgpr_count:     77
    .vgpr_spill_count: 0
    .wavefront_size: 32
    .workgroup_processor_mode: 1
  - .args:
      - .actual_access:  write_only
        .address_space:  global
        .offset:         0
        .size:           8
        .value_kind:     global_buffer
      - .actual_access:  read_only
        .address_space:  global
        .offset:         8
        .size:           8
        .value_kind:     global_buffer
      - .actual_access:  read_only
        .address_space:  global
        .offset:         16
        .size:           8
        .value_kind:     global_buffer
      - .actual_access:  read_only
        .address_space:  global
        .offset:         24
        .size:           8
        .value_kind:     global_buffer
      - .actual_access:  read_only
        .address_space:  global
        .offset:         32
        .size:           8
        .value_kind:     global_buffer
      - .offset:         40
        .size:           4
        .value_kind:     by_value
      - .offset:         48
        .size:           4
        .value_kind:     hidden_block_count_x
      - .offset:         52
        .size:           4
        .value_kind:     hidden_block_count_y
      - .offset:         56
        .size:           4
        .value_kind:     hidden_block_count_z
      - .offset:         60
        .size:           2
        .value_kind:     hidden_group_size_x
      - .offset:         62
        .size:           2
        .value_kind:     hidden_group_size_y
      - .offset:         64
        .size:           2
        .value_kind:     hidden_group_size_z
      - .offset:         66
        .size:           2
        .value_kind:     hidden_remainder_x
      - .offset:         68
        .size:           2
        .value_kind:     hidden_remainder_y
      - .offset:         70
        .size:           2
        .value_kind:     hidden_remainder_z
      - .offset:         88
        .size:           8
        .value_kind:     hidden_global_offset_x
      - .offset:         96
        .size:           8
        .value_kind:     hidden_global_offset_y
      - .offset:         104
        .size:           8
        .value_kind:     hidden_global_offset_z
      - .offset:         112
        .size:           2
        .value_kind:     hidden_grid_dims
      - .offset:         168
        .size:           4
        .value_kind:     hidden_dynamic_lds_size
    .group_segment_fixed_size: 32
    .kernarg_segment_align: 8
    .kernarg_segment_size: 304
    .language:       OpenCL C
    .language_version:
      - 2
      - 0
    .max_flat_workgroup_size: 1024
    .name:           _ZN4vllm32paged_attention_v2_reduce_kernelItLi128ELi128ELi512EEEvPT_PKfS4_PKS1_PKii
    .private_segment_fixed_size: 0
    .sgpr_count:     32
    .sgpr_spill_count: 0
    .symbol:         _ZN4vllm32paged_attention_v2_reduce_kernelItLi128ELi128ELi512EEEvPT_PKfS4_PKS1_PKii.kd
    .uniform_work_group_size: 1
    .uses_dynamic_stack: false
    .vgpr_count:     19
    .vgpr_spill_count: 0
    .wavefront_size: 32
    .workgroup_processor_mode: 1
  - .args:
      - .actual_access:  write_only
        .address_space:  global
        .offset:         0
        .size:           8
        .value_kind:     global_buffer
      - .actual_access:  write_only
        .address_space:  global
        .offset:         8
        .size:           8
        .value_kind:     global_buffer
      - .actual_access:  write_only
        .address_space:  global
        .offset:         16
        .size:           8
        .value_kind:     global_buffer
      - .actual_access:  read_only
        .address_space:  global
        .offset:         24
        .size:           8
        .value_kind:     global_buffer
      - .actual_access:  read_only
        .address_space:  global
        .offset:         32
        .size:           8
        .value_kind:     global_buffer
      - .actual_access:  read_only
        .address_space:  global
        .offset:         40
        .size:           8
        .value_kind:     global_buffer
      - .offset:         48
        .size:           4
        .value_kind:     by_value
      - .offset:         52
        .size:           4
        .value_kind:     by_value
      - .actual_access:  read_only
        .address_space:  global
        .offset:         56
        .size:           8
        .value_kind:     global_buffer
      - .actual_access:  read_only
        .address_space:  global
        .offset:         64
        .size:           8
        .value_kind:     global_buffer
      - .offset:         72
        .size:           4
        .value_kind:     by_value
      - .actual_access:  read_only
        .address_space:  global
        .offset:         80
        .size:           8
        .value_kind:     global_buffer
      - .offset:         88
        .size:           4
        .value_kind:     by_value
      - .offset:         92
        .size:           4
        .value_kind:     by_value
      - .offset:         96
        .size:           4
        .value_kind:     by_value
      - .address_space:  global
        .offset:         104
        .size:           8
        .value_kind:     global_buffer
      - .address_space:  global
        .offset:         112
        .size:           8
        .value_kind:     global_buffer
      - .offset:         120
        .size:           4
        .value_kind:     by_value
      - .offset:         124
        .size:           4
        .value_kind:     by_value
      - .offset:         128
        .size:           4
        .value_kind:     by_value
      - .offset:         132
        .size:           4
        .value_kind:     by_value
      - .offset:         136
        .size:           4
        .value_kind:     by_value
      - .offset:         144
        .size:           4
        .value_kind:     hidden_block_count_x
      - .offset:         148
        .size:           4
        .value_kind:     hidden_block_count_y
      - .offset:         152
        .size:           4
        .value_kind:     hidden_block_count_z
      - .offset:         156
        .size:           2
        .value_kind:     hidden_group_size_x
      - .offset:         158
        .size:           2
        .value_kind:     hidden_group_size_y
      - .offset:         160
        .size:           2
        .value_kind:     hidden_group_size_z
      - .offset:         162
        .size:           2
        .value_kind:     hidden_remainder_x
      - .offset:         164
        .size:           2
        .value_kind:     hidden_remainder_y
      - .offset:         166
        .size:           2
        .value_kind:     hidden_remainder_z
      - .offset:         184
        .size:           8
        .value_kind:     hidden_global_offset_x
      - .offset:         192
        .size:           8
        .value_kind:     hidden_global_offset_y
      - .offset:         200
        .size:           8
        .value_kind:     hidden_global_offset_z
      - .offset:         208
        .size:           2
        .value_kind:     hidden_grid_dims
      - .offset:         264
        .size:           4
        .value_kind:     hidden_dynamic_lds_size
    .group_segment_fixed_size: 416
    .kernarg_segment_align: 8
    .kernarg_segment_size: 400
    .language:       OpenCL C
    .language_version:
      - 2
      - 0
    .max_flat_workgroup_size: 1024
    .name:           _ZN4vllm25paged_attention_v2_kernelIttLi192ELi8ELi128ELNS_18Fp8KVCacheDataTypeE0ELb1ELi512EEEvPfS2_PT_PKS3_PKT0_S9_ifPKiSB_iPKfiiiSD_SD_iiiii
    .private_segment_fixed_size: 0
    .sgpr_count:     48
    .sgpr_spill_count: 0
    .symbol:         _ZN4vllm25paged_attention_v2_kernelIttLi192ELi8ELi128ELNS_18Fp8KVCacheDataTypeE0ELb1ELi512EEEvPfS2_PT_PKS3_PKT0_S9_ifPKiSB_iPKfiiiSD_SD_iiiii.kd
    .uniform_work_group_size: 1
    .uses_dynamic_stack: false
    .vgpr_count:     90
    .vgpr_spill_count: 0
    .wavefront_size: 32
    .workgroup_processor_mode: 1
  - .args:
      - .actual_access:  write_only
        .address_space:  global
        .offset:         0
        .size:           8
        .value_kind:     global_buffer
      - .actual_access:  read_only
        .address_space:  global
        .offset:         8
        .size:           8
        .value_kind:     global_buffer
      - .actual_access:  read_only
        .address_space:  global
        .offset:         16
        .size:           8
        .value_kind:     global_buffer
      - .actual_access:  read_only
        .address_space:  global
        .offset:         24
        .size:           8
        .value_kind:     global_buffer
      - .actual_access:  read_only
        .address_space:  global
        .offset:         32
        .size:           8
        .value_kind:     global_buffer
      - .offset:         40
        .size:           4
        .value_kind:     by_value
      - .offset:         48
        .size:           4
        .value_kind:     hidden_block_count_x
      - .offset:         52
        .size:           4
        .value_kind:     hidden_block_count_y
      - .offset:         56
        .size:           4
        .value_kind:     hidden_block_count_z
      - .offset:         60
        .size:           2
        .value_kind:     hidden_group_size_x
      - .offset:         62
        .size:           2
        .value_kind:     hidden_group_size_y
      - .offset:         64
        .size:           2
        .value_kind:     hidden_group_size_z
      - .offset:         66
        .size:           2
        .value_kind:     hidden_remainder_x
      - .offset:         68
        .size:           2
        .value_kind:     hidden_remainder_y
      - .offset:         70
        .size:           2
        .value_kind:     hidden_remainder_z
      - .offset:         88
        .size:           8
        .value_kind:     hidden_global_offset_x
      - .offset:         96
        .size:           8
        .value_kind:     hidden_global_offset_y
      - .offset:         104
        .size:           8
        .value_kind:     hidden_global_offset_z
      - .offset:         112
        .size:           2
        .value_kind:     hidden_grid_dims
      - .offset:         168
        .size:           4
        .value_kind:     hidden_dynamic_lds_size
    .group_segment_fixed_size: 32
    .kernarg_segment_align: 8
    .kernarg_segment_size: 304
    .language:       OpenCL C
    .language_version:
      - 2
      - 0
    .max_flat_workgroup_size: 1024
    .name:           _ZN4vllm32paged_attention_v2_reduce_kernelItLi192ELi128ELi512EEEvPT_PKfS4_PKS1_PKii
    .private_segment_fixed_size: 0
    .sgpr_count:     32
    .sgpr_spill_count: 0
    .symbol:         _ZN4vllm32paged_attention_v2_reduce_kernelItLi192ELi128ELi512EEEvPT_PKfS4_PKS1_PKii.kd
    .uniform_work_group_size: 1
    .uses_dynamic_stack: false
    .vgpr_count:     19
    .vgpr_spill_count: 0
    .wavefront_size: 32
    .workgroup_processor_mode: 1
  - .args:
      - .actual_access:  write_only
        .address_space:  global
        .offset:         0
        .size:           8
        .value_kind:     global_buffer
      - .actual_access:  write_only
        .address_space:  global
        .offset:         8
        .size:           8
        .value_kind:     global_buffer
      - .actual_access:  write_only
        .address_space:  global
        .offset:         16
        .size:           8
        .value_kind:     global_buffer
      - .actual_access:  read_only
        .address_space:  global
        .offset:         24
        .size:           8
        .value_kind:     global_buffer
      - .actual_access:  read_only
        .address_space:  global
        .offset:         32
        .size:           8
        .value_kind:     global_buffer
      - .actual_access:  read_only
        .address_space:  global
        .offset:         40
        .size:           8
        .value_kind:     global_buffer
      - .offset:         48
        .size:           4
        .value_kind:     by_value
      - .offset:         52
        .size:           4
        .value_kind:     by_value
      - .actual_access:  read_only
        .address_space:  global
        .offset:         56
        .size:           8
        .value_kind:     global_buffer
      - .actual_access:  read_only
        .address_space:  global
        .offset:         64
        .size:           8
        .value_kind:     global_buffer
      - .offset:         72
        .size:           4
        .value_kind:     by_value
      - .actual_access:  read_only
        .address_space:  global
        .offset:         80
        .size:           8
        .value_kind:     global_buffer
      - .offset:         88
        .size:           4
        .value_kind:     by_value
      - .offset:         92
        .size:           4
        .value_kind:     by_value
      - .offset:         96
        .size:           4
        .value_kind:     by_value
      - .address_space:  global
        .offset:         104
        .size:           8
        .value_kind:     global_buffer
      - .address_space:  global
        .offset:         112
        .size:           8
        .value_kind:     global_buffer
      - .offset:         120
        .size:           4
        .value_kind:     by_value
      - .offset:         124
        .size:           4
        .value_kind:     by_value
      - .offset:         128
        .size:           4
        .value_kind:     by_value
      - .offset:         132
        .size:           4
        .value_kind:     by_value
      - .offset:         136
        .size:           4
        .value_kind:     by_value
      - .offset:         144
        .size:           4
        .value_kind:     hidden_block_count_x
      - .offset:         148
        .size:           4
        .value_kind:     hidden_block_count_y
      - .offset:         152
        .size:           4
        .value_kind:     hidden_block_count_z
      - .offset:         156
        .size:           2
        .value_kind:     hidden_group_size_x
      - .offset:         158
        .size:           2
        .value_kind:     hidden_group_size_y
      - .offset:         160
        .size:           2
        .value_kind:     hidden_group_size_z
      - .offset:         162
        .size:           2
        .value_kind:     hidden_remainder_x
      - .offset:         164
        .size:           2
        .value_kind:     hidden_remainder_y
      - .offset:         166
        .size:           2
        .value_kind:     hidden_remainder_z
      - .offset:         184
        .size:           8
        .value_kind:     hidden_global_offset_x
      - .offset:         192
        .size:           8
        .value_kind:     hidden_global_offset_y
      - .offset:         200
        .size:           8
        .value_kind:     hidden_global_offset_z
      - .offset:         208
        .size:           2
        .value_kind:     hidden_grid_dims
      - .offset:         264
        .size:           4
        .value_kind:     hidden_dynamic_lds_size
    .group_segment_fixed_size: 544
    .kernarg_segment_align: 8
    .kernarg_segment_size: 400
    .language:       OpenCL C
    .language_version:
      - 2
      - 0
    .max_flat_workgroup_size: 1024
    .name:           _ZN4vllm25paged_attention_v2_kernelIttLi256ELi8ELi128ELNS_18Fp8KVCacheDataTypeE0ELb1ELi512EEEvPfS2_PT_PKS3_PKT0_S9_ifPKiSB_iPKfiiiSD_SD_iiiii
    .private_segment_fixed_size: 0
    .sgpr_count:     48
    .sgpr_spill_count: 0
    .symbol:         _ZN4vllm25paged_attention_v2_kernelIttLi256ELi8ELi128ELNS_18Fp8KVCacheDataTypeE0ELb1ELi512EEEvPfS2_PT_PKS3_PKT0_S9_ifPKiSB_iPKfiiiSD_SD_iiiii.kd
    .uniform_work_group_size: 1
    .uses_dynamic_stack: false
    .vgpr_count:     91
    .vgpr_spill_count: 0
    .wavefront_size: 32
    .workgroup_processor_mode: 1
  - .args:
      - .actual_access:  write_only
        .address_space:  global
        .offset:         0
        .size:           8
        .value_kind:     global_buffer
      - .actual_access:  read_only
        .address_space:  global
        .offset:         8
        .size:           8
        .value_kind:     global_buffer
      - .actual_access:  read_only
        .address_space:  global
        .offset:         16
        .size:           8
        .value_kind:     global_buffer
      - .actual_access:  read_only
        .address_space:  global
        .offset:         24
        .size:           8
        .value_kind:     global_buffer
      - .actual_access:  read_only
        .address_space:  global
        .offset:         32
        .size:           8
        .value_kind:     global_buffer
      - .offset:         40
        .size:           4
        .value_kind:     by_value
      - .offset:         48
        .size:           4
        .value_kind:     hidden_block_count_x
      - .offset:         52
        .size:           4
        .value_kind:     hidden_block_count_y
      - .offset:         56
        .size:           4
        .value_kind:     hidden_block_count_z
      - .offset:         60
        .size:           2
        .value_kind:     hidden_group_size_x
      - .offset:         62
        .size:           2
        .value_kind:     hidden_group_size_y
      - .offset:         64
        .size:           2
        .value_kind:     hidden_group_size_z
      - .offset:         66
        .size:           2
        .value_kind:     hidden_remainder_x
      - .offset:         68
        .size:           2
        .value_kind:     hidden_remainder_y
      - .offset:         70
        .size:           2
        .value_kind:     hidden_remainder_z
      - .offset:         88
        .size:           8
        .value_kind:     hidden_global_offset_x
      - .offset:         96
        .size:           8
        .value_kind:     hidden_global_offset_y
      - .offset:         104
        .size:           8
        .value_kind:     hidden_global_offset_z
      - .offset:         112
        .size:           2
        .value_kind:     hidden_grid_dims
      - .offset:         168
        .size:           4
        .value_kind:     hidden_dynamic_lds_size
    .group_segment_fixed_size: 32
    .kernarg_segment_align: 8
    .kernarg_segment_size: 304
    .language:       OpenCL C
    .language_version:
      - 2
      - 0
    .max_flat_workgroup_size: 1024
    .name:           _ZN4vllm32paged_attention_v2_reduce_kernelItLi256ELi128ELi512EEEvPT_PKfS4_PKS1_PKii
    .private_segment_fixed_size: 0
    .sgpr_count:     32
    .sgpr_spill_count: 0
    .symbol:         _ZN4vllm32paged_attention_v2_reduce_kernelItLi256ELi128ELi512EEEvPT_PKfS4_PKS1_PKii.kd
    .uniform_work_group_size: 1
    .uses_dynamic_stack: false
    .vgpr_count:     19
    .vgpr_spill_count: 0
    .wavefront_size: 32
    .workgroup_processor_mode: 1
  - .args:
      - .actual_access:  write_only
        .address_space:  global
        .offset:         0
        .size:           8
        .value_kind:     global_buffer
      - .actual_access:  write_only
        .address_space:  global
        .offset:         8
        .size:           8
        .value_kind:     global_buffer
      - .actual_access:  write_only
        .address_space:  global
        .offset:         16
        .size:           8
        .value_kind:     global_buffer
      - .actual_access:  read_only
        .address_space:  global
        .offset:         24
        .size:           8
        .value_kind:     global_buffer
      - .actual_access:  read_only
        .address_space:  global
        .offset:         32
        .size:           8
        .value_kind:     global_buffer
      - .actual_access:  read_only
        .address_space:  global
        .offset:         40
        .size:           8
        .value_kind:     global_buffer
      - .offset:         48
        .size:           4
        .value_kind:     by_value
      - .offset:         52
        .size:           4
        .value_kind:     by_value
      - .actual_access:  read_only
        .address_space:  global
        .offset:         56
        .size:           8
        .value_kind:     global_buffer
      - .actual_access:  read_only
        .address_space:  global
        .offset:         64
        .size:           8
        .value_kind:     global_buffer
      - .offset:         72
        .size:           4
        .value_kind:     by_value
      - .actual_access:  read_only
        .address_space:  global
        .offset:         80
        .size:           8
        .value_kind:     global_buffer
      - .offset:         88
        .size:           4
        .value_kind:     by_value
      - .offset:         92
        .size:           4
        .value_kind:     by_value
      - .offset:         96
        .size:           4
        .value_kind:     by_value
      - .address_space:  global
        .offset:         104
        .size:           8
        .value_kind:     global_buffer
      - .address_space:  global
        .offset:         112
        .size:           8
        .value_kind:     global_buffer
      - .offset:         120
        .size:           4
        .value_kind:     by_value
      - .offset:         124
        .size:           4
        .value_kind:     by_value
      - .offset:         128
        .size:           4
        .value_kind:     by_value
      - .offset:         132
        .size:           4
        .value_kind:     by_value
      - .offset:         136
        .size:           4
        .value_kind:     by_value
      - .offset:         144
        .size:           4
        .value_kind:     hidden_block_count_x
      - .offset:         148
        .size:           4
        .value_kind:     hidden_block_count_y
      - .offset:         152
        .size:           4
        .value_kind:     hidden_block_count_z
      - .offset:         156
        .size:           2
        .value_kind:     hidden_group_size_x
      - .offset:         158
        .size:           2
        .value_kind:     hidden_group_size_y
      - .offset:         160
        .size:           2
        .value_kind:     hidden_group_size_z
      - .offset:         162
        .size:           2
        .value_kind:     hidden_remainder_x
      - .offset:         164
        .size:           2
        .value_kind:     hidden_remainder_y
      - .offset:         166
        .size:           2
        .value_kind:     hidden_remainder_z
      - .offset:         184
        .size:           8
        .value_kind:     hidden_global_offset_x
      - .offset:         192
        .size:           8
        .value_kind:     hidden_global_offset_y
      - .offset:         200
        .size:           8
        .value_kind:     hidden_global_offset_z
      - .offset:         208
        .size:           2
        .value_kind:     hidden_grid_dims
      - .offset:         264
        .size:           4
        .value_kind:     hidden_dynamic_lds_size
    .group_segment_fixed_size: 96
    .kernarg_segment_align: 8
    .kernarg_segment_size: 400
    .language:       OpenCL C
    .language_version:
      - 2
      - 0
    .max_flat_workgroup_size: 1024
    .name:           _ZN4vllm25paged_attention_v2_kernelIttLi32ELi8ELi128ELNS_18Fp8KVCacheDataTypeE0ELb0ELi512EEEvPfS2_PT_PKS3_PKT0_S9_ifPKiSB_iPKfiiiSD_SD_iiiii
    .private_segment_fixed_size: 0
    .sgpr_count:     38
    .sgpr_spill_count: 0
    .symbol:         _ZN4vllm25paged_attention_v2_kernelIttLi32ELi8ELi128ELNS_18Fp8KVCacheDataTypeE0ELb0ELi512EEEvPfS2_PT_PKS3_PKT0_S9_ifPKiSB_iPKfiiiSD_SD_iiiii.kd
    .uniform_work_group_size: 1
    .uses_dynamic_stack: false
    .vgpr_count:     33
    .vgpr_spill_count: 0
    .wavefront_size: 32
    .workgroup_processor_mode: 1
  - .args:
      - .actual_access:  write_only
        .address_space:  global
        .offset:         0
        .size:           8
        .value_kind:     global_buffer
      - .actual_access:  write_only
        .address_space:  global
        .offset:         8
        .size:           8
        .value_kind:     global_buffer
      - .actual_access:  write_only
        .address_space:  global
        .offset:         16
        .size:           8
        .value_kind:     global_buffer
      - .actual_access:  read_only
        .address_space:  global
        .offset:         24
        .size:           8
        .value_kind:     global_buffer
      - .actual_access:  read_only
        .address_space:  global
        .offset:         32
        .size:           8
        .value_kind:     global_buffer
      - .actual_access:  read_only
        .address_space:  global
        .offset:         40
        .size:           8
        .value_kind:     global_buffer
      - .offset:         48
        .size:           4
        .value_kind:     by_value
      - .offset:         52
        .size:           4
        .value_kind:     by_value
      - .actual_access:  read_only
        .address_space:  global
        .offset:         56
        .size:           8
        .value_kind:     global_buffer
      - .actual_access:  read_only
        .address_space:  global
        .offset:         64
        .size:           8
        .value_kind:     global_buffer
      - .offset:         72
        .size:           4
        .value_kind:     by_value
      - .actual_access:  read_only
        .address_space:  global
        .offset:         80
        .size:           8
        .value_kind:     global_buffer
      - .offset:         88
        .size:           4
        .value_kind:     by_value
      - .offset:         92
        .size:           4
        .value_kind:     by_value
      - .offset:         96
        .size:           4
        .value_kind:     by_value
      - .address_space:  global
        .offset:         104
        .size:           8
        .value_kind:     global_buffer
      - .address_space:  global
        .offset:         112
        .size:           8
        .value_kind:     global_buffer
      - .offset:         120
        .size:           4
        .value_kind:     by_value
      - .offset:         124
        .size:           4
        .value_kind:     by_value
      - .offset:         128
        .size:           4
        .value_kind:     by_value
      - .offset:         132
        .size:           4
        .value_kind:     by_value
      - .offset:         136
        .size:           4
        .value_kind:     by_value
      - .offset:         144
        .size:           4
        .value_kind:     hidden_block_count_x
      - .offset:         148
        .size:           4
        .value_kind:     hidden_block_count_y
      - .offset:         152
        .size:           4
        .value_kind:     hidden_block_count_z
      - .offset:         156
        .size:           2
        .value_kind:     hidden_group_size_x
      - .offset:         158
        .size:           2
        .value_kind:     hidden_group_size_y
      - .offset:         160
        .size:           2
        .value_kind:     hidden_group_size_z
      - .offset:         162
        .size:           2
        .value_kind:     hidden_remainder_x
      - .offset:         164
        .size:           2
        .value_kind:     hidden_remainder_y
      - .offset:         166
        .size:           2
        .value_kind:     hidden_remainder_z
      - .offset:         184
        .size:           8
        .value_kind:     hidden_global_offset_x
      - .offset:         192
        .size:           8
        .value_kind:     hidden_global_offset_y
      - .offset:         200
        .size:           8
        .value_kind:     hidden_global_offset_z
      - .offset:         208
        .size:           2
        .value_kind:     hidden_grid_dims
      - .offset:         264
        .size:           4
        .value_kind:     hidden_dynamic_lds_size
    .group_segment_fixed_size: 160
    .kernarg_segment_align: 8
    .kernarg_segment_size: 400
    .language:       OpenCL C
    .language_version:
      - 2
      - 0
    .max_flat_workgroup_size: 1024
    .name:           _ZN4vllm25paged_attention_v2_kernelIttLi64ELi8ELi128ELNS_18Fp8KVCacheDataTypeE0ELb0ELi512EEEvPfS2_PT_PKS3_PKT0_S9_ifPKiSB_iPKfiiiSD_SD_iiiii
    .private_segment_fixed_size: 0
    .sgpr_count:     40
    .sgpr_spill_count: 0
    .symbol:         _ZN4vllm25paged_attention_v2_kernelIttLi64ELi8ELi128ELNS_18Fp8KVCacheDataTypeE0ELb0ELi512EEEvPfS2_PT_PKS3_PKT0_S9_ifPKiSB_iPKfiiiSD_SD_iiiii.kd
    .uniform_work_group_size: 1
    .uses_dynamic_stack: false
    .vgpr_count:     47
    .vgpr_spill_count: 0
    .wavefront_size: 32
    .workgroup_processor_mode: 1
  - .args:
      - .actual_access:  write_only
        .address_space:  global
        .offset:         0
        .size:           8
        .value_kind:     global_buffer
      - .actual_access:  write_only
        .address_space:  global
        .offset:         8
        .size:           8
        .value_kind:     global_buffer
      - .actual_access:  write_only
        .address_space:  global
        .offset:         16
        .size:           8
        .value_kind:     global_buffer
      - .actual_access:  read_only
        .address_space:  global
        .offset:         24
        .size:           8
        .value_kind:     global_buffer
      - .actual_access:  read_only
        .address_space:  global
        .offset:         32
        .size:           8
        .value_kind:     global_buffer
      - .actual_access:  read_only
        .address_space:  global
        .offset:         40
        .size:           8
        .value_kind:     global_buffer
      - .offset:         48
        .size:           4
        .value_kind:     by_value
      - .offset:         52
        .size:           4
        .value_kind:     by_value
      - .actual_access:  read_only
        .address_space:  global
        .offset:         56
        .size:           8
        .value_kind:     global_buffer
      - .actual_access:  read_only
        .address_space:  global
        .offset:         64
        .size:           8
        .value_kind:     global_buffer
      - .offset:         72
        .size:           4
        .value_kind:     by_value
      - .actual_access:  read_only
        .address_space:  global
        .offset:         80
        .size:           8
        .value_kind:     global_buffer
      - .offset:         88
        .size:           4
        .value_kind:     by_value
      - .offset:         92
        .size:           4
        .value_kind:     by_value
      - .offset:         96
        .size:           4
        .value_kind:     by_value
      - .address_space:  global
        .offset:         104
        .size:           8
        .value_kind:     global_buffer
      - .address_space:  global
        .offset:         112
        .size:           8
        .value_kind:     global_buffer
      - .offset:         120
        .size:           4
        .value_kind:     by_value
      - .offset:         124
        .size:           4
        .value_kind:     by_value
      - .offset:         128
        .size:           4
        .value_kind:     by_value
      - .offset:         132
        .size:           4
        .value_kind:     by_value
      - .offset:         136
        .size:           4
        .value_kind:     by_value
      - .offset:         144
        .size:           4
        .value_kind:     hidden_block_count_x
      - .offset:         148
        .size:           4
        .value_kind:     hidden_block_count_y
      - .offset:         152
        .size:           4
        .value_kind:     hidden_block_count_z
      - .offset:         156
        .size:           2
        .value_kind:     hidden_group_size_x
      - .offset:         158
        .size:           2
        .value_kind:     hidden_group_size_y
      - .offset:         160
        .size:           2
        .value_kind:     hidden_group_size_z
      - .offset:         162
        .size:           2
        .value_kind:     hidden_remainder_x
      - .offset:         164
        .size:           2
        .value_kind:     hidden_remainder_y
      - .offset:         166
        .size:           2
        .value_kind:     hidden_remainder_z
      - .offset:         184
        .size:           8
        .value_kind:     hidden_global_offset_x
      - .offset:         192
        .size:           8
        .value_kind:     hidden_global_offset_y
      - .offset:         200
        .size:           8
        .value_kind:     hidden_global_offset_z
      - .offset:         208
        .size:           2
        .value_kind:     hidden_grid_dims
      - .offset:         264
        .size:           4
        .value_kind:     hidden_dynamic_lds_size
    .group_segment_fixed_size: 192
    .kernarg_segment_align: 8
    .kernarg_segment_size: 400
    .language:       OpenCL C
    .language_version:
      - 2
      - 0
    .max_flat_workgroup_size: 1024
    .name:           _ZN4vllm25paged_attention_v2_kernelIttLi80ELi8ELi128ELNS_18Fp8KVCacheDataTypeE0ELb0ELi512EEEvPfS2_PT_PKS3_PKT0_S9_ifPKiSB_iPKfiiiSD_SD_iiiii
    .private_segment_fixed_size: 0
    .sgpr_count:     38
    .sgpr_spill_count: 0
    .symbol:         _ZN4vllm25paged_attention_v2_kernelIttLi80ELi8ELi128ELNS_18Fp8KVCacheDataTypeE0ELb0ELi512EEEvPfS2_PT_PKS3_PKT0_S9_ifPKiSB_iPKfiiiSD_SD_iiiii.kd
    .uniform_work_group_size: 1
    .uses_dynamic_stack: false
    .vgpr_count:     54
    .vgpr_spill_count: 0
    .wavefront_size: 32
    .workgroup_processor_mode: 1
  - .args:
      - .actual_access:  write_only
        .address_space:  global
        .offset:         0
        .size:           8
        .value_kind:     global_buffer
      - .actual_access:  write_only
        .address_space:  global
        .offset:         8
        .size:           8
        .value_kind:     global_buffer
      - .actual_access:  write_only
        .address_space:  global
        .offset:         16
        .size:           8
        .value_kind:     global_buffer
      - .actual_access:  read_only
        .address_space:  global
        .offset:         24
        .size:           8
        .value_kind:     global_buffer
      - .actual_access:  read_only
        .address_space:  global
        .offset:         32
        .size:           8
        .value_kind:     global_buffer
      - .actual_access:  read_only
        .address_space:  global
        .offset:         40
        .size:           8
        .value_kind:     global_buffer
      - .offset:         48
        .size:           4
        .value_kind:     by_value
      - .offset:         52
        .size:           4
        .value_kind:     by_value
      - .actual_access:  read_only
        .address_space:  global
        .offset:         56
        .size:           8
        .value_kind:     global_buffer
      - .actual_access:  read_only
        .address_space:  global
        .offset:         64
        .size:           8
        .value_kind:     global_buffer
      - .offset:         72
        .size:           4
        .value_kind:     by_value
      - .actual_access:  read_only
        .address_space:  global
        .offset:         80
        .size:           8
        .value_kind:     global_buffer
      - .offset:         88
        .size:           4
        .value_kind:     by_value
      - .offset:         92
        .size:           4
        .value_kind:     by_value
      - .offset:         96
        .size:           4
        .value_kind:     by_value
      - .address_space:  global
        .offset:         104
        .size:           8
        .value_kind:     global_buffer
      - .address_space:  global
        .offset:         112
        .size:           8
        .value_kind:     global_buffer
      - .offset:         120
        .size:           4
        .value_kind:     by_value
      - .offset:         124
        .size:           4
        .value_kind:     by_value
      - .offset:         128
        .size:           4
        .value_kind:     by_value
      - .offset:         132
        .size:           4
        .value_kind:     by_value
      - .offset:         136
        .size:           4
        .value_kind:     by_value
      - .offset:         144
        .size:           4
        .value_kind:     hidden_block_count_x
      - .offset:         148
        .size:           4
        .value_kind:     hidden_block_count_y
      - .offset:         152
        .size:           4
        .value_kind:     hidden_block_count_z
      - .offset:         156
        .size:           2
        .value_kind:     hidden_group_size_x
      - .offset:         158
        .size:           2
        .value_kind:     hidden_group_size_y
      - .offset:         160
        .size:           2
        .value_kind:     hidden_group_size_z
      - .offset:         162
        .size:           2
        .value_kind:     hidden_remainder_x
      - .offset:         164
        .size:           2
        .value_kind:     hidden_remainder_y
      - .offset:         166
        .size:           2
        .value_kind:     hidden_remainder_z
      - .offset:         184
        .size:           8
        .value_kind:     hidden_global_offset_x
      - .offset:         192
        .size:           8
        .value_kind:     hidden_global_offset_y
      - .offset:         200
        .size:           8
        .value_kind:     hidden_global_offset_z
      - .offset:         208
        .size:           2
        .value_kind:     hidden_grid_dims
      - .offset:         264
        .size:           4
        .value_kind:     hidden_dynamic_lds_size
    .group_segment_fixed_size: 224
    .kernarg_segment_align: 8
    .kernarg_segment_size: 400
    .language:       OpenCL C
    .language_version:
      - 2
      - 0
    .max_flat_workgroup_size: 1024
    .name:           _ZN4vllm25paged_attention_v2_kernelIttLi96ELi8ELi128ELNS_18Fp8KVCacheDataTypeE0ELb0ELi512EEEvPfS2_PT_PKS3_PKT0_S9_ifPKiSB_iPKfiiiSD_SD_iiiii
    .private_segment_fixed_size: 0
    .sgpr_count:     38
    .sgpr_spill_count: 0
    .symbol:         _ZN4vllm25paged_attention_v2_kernelIttLi96ELi8ELi128ELNS_18Fp8KVCacheDataTypeE0ELb0ELi512EEEvPfS2_PT_PKS3_PKT0_S9_ifPKiSB_iPKfiiiSD_SD_iiiii.kd
    .uniform_work_group_size: 1
    .uses_dynamic_stack: false
    .vgpr_count:     62
    .vgpr_spill_count: 0
    .wavefront_size: 32
    .workgroup_processor_mode: 1
  - .args:
      - .actual_access:  write_only
        .address_space:  global
        .offset:         0
        .size:           8
        .value_kind:     global_buffer
      - .actual_access:  write_only
        .address_space:  global
        .offset:         8
        .size:           8
        .value_kind:     global_buffer
      - .actual_access:  write_only
        .address_space:  global
        .offset:         16
        .size:           8
        .value_kind:     global_buffer
      - .actual_access:  read_only
        .address_space:  global
        .offset:         24
        .size:           8
        .value_kind:     global_buffer
      - .actual_access:  read_only
        .address_space:  global
        .offset:         32
        .size:           8
        .value_kind:     global_buffer
      - .actual_access:  read_only
        .address_space:  global
        .offset:         40
        .size:           8
        .value_kind:     global_buffer
      - .offset:         48
        .size:           4
        .value_kind:     by_value
      - .offset:         52
        .size:           4
        .value_kind:     by_value
      - .actual_access:  read_only
        .address_space:  global
        .offset:         56
        .size:           8
        .value_kind:     global_buffer
      - .actual_access:  read_only
        .address_space:  global
        .offset:         64
        .size:           8
        .value_kind:     global_buffer
      - .offset:         72
        .size:           4
        .value_kind:     by_value
      - .actual_access:  read_only
        .address_space:  global
        .offset:         80
        .size:           8
        .value_kind:     global_buffer
      - .offset:         88
        .size:           4
        .value_kind:     by_value
      - .offset:         92
        .size:           4
        .value_kind:     by_value
      - .offset:         96
        .size:           4
        .value_kind:     by_value
      - .address_space:  global
        .offset:         104
        .size:           8
        .value_kind:     global_buffer
      - .address_space:  global
        .offset:         112
        .size:           8
        .value_kind:     global_buffer
      - .offset:         120
        .size:           4
        .value_kind:     by_value
      - .offset:         124
        .size:           4
        .value_kind:     by_value
      - .offset:         128
        .size:           4
        .value_kind:     by_value
      - .offset:         132
        .size:           4
        .value_kind:     by_value
      - .offset:         136
        .size:           4
        .value_kind:     by_value
      - .offset:         144
        .size:           4
        .value_kind:     hidden_block_count_x
      - .offset:         148
        .size:           4
        .value_kind:     hidden_block_count_y
      - .offset:         152
        .size:           4
        .value_kind:     hidden_block_count_z
      - .offset:         156
        .size:           2
        .value_kind:     hidden_group_size_x
      - .offset:         158
        .size:           2
        .value_kind:     hidden_group_size_y
      - .offset:         160
        .size:           2
        .value_kind:     hidden_group_size_z
      - .offset:         162
        .size:           2
        .value_kind:     hidden_remainder_x
      - .offset:         164
        .size:           2
        .value_kind:     hidden_remainder_y
      - .offset:         166
        .size:           2
        .value_kind:     hidden_remainder_z
      - .offset:         184
        .size:           8
        .value_kind:     hidden_global_offset_x
      - .offset:         192
        .size:           8
        .value_kind:     hidden_global_offset_y
      - .offset:         200
        .size:           8
        .value_kind:     hidden_global_offset_z
      - .offset:         208
        .size:           2
        .value_kind:     hidden_grid_dims
      - .offset:         264
        .size:           4
        .value_kind:     hidden_dynamic_lds_size
    .group_segment_fixed_size: 256
    .kernarg_segment_align: 8
    .kernarg_segment_size: 400
    .language:       OpenCL C
    .language_version:
      - 2
      - 0
    .max_flat_workgroup_size: 1024
    .name:           _ZN4vllm25paged_attention_v2_kernelIttLi112ELi8ELi128ELNS_18Fp8KVCacheDataTypeE0ELb0ELi512EEEvPfS2_PT_PKS3_PKT0_S9_ifPKiSB_iPKfiiiSD_SD_iiiii
    .private_segment_fixed_size: 0
    .sgpr_count:     38
    .sgpr_spill_count: 0
    .symbol:         _ZN4vllm25paged_attention_v2_kernelIttLi112ELi8ELi128ELNS_18Fp8KVCacheDataTypeE0ELb0ELi512EEEvPfS2_PT_PKS3_PKT0_S9_ifPKiSB_iPKfiiiSD_SD_iiiii.kd
    .uniform_work_group_size: 1
    .uses_dynamic_stack: false
    .vgpr_count:     67
    .vgpr_spill_count: 0
    .wavefront_size: 32
    .workgroup_processor_mode: 1
  - .args:
      - .actual_access:  write_only
        .address_space:  global
        .offset:         0
        .size:           8
        .value_kind:     global_buffer
      - .actual_access:  write_only
        .address_space:  global
        .offset:         8
        .size:           8
        .value_kind:     global_buffer
      - .actual_access:  write_only
        .address_space:  global
        .offset:         16
        .size:           8
        .value_kind:     global_buffer
      - .actual_access:  read_only
        .address_space:  global
        .offset:         24
        .size:           8
        .value_kind:     global_buffer
      - .actual_access:  read_only
        .address_space:  global
        .offset:         32
        .size:           8
        .value_kind:     global_buffer
      - .actual_access:  read_only
        .address_space:  global
        .offset:         40
        .size:           8
        .value_kind:     global_buffer
      - .offset:         48
        .size:           4
        .value_kind:     by_value
      - .offset:         52
        .size:           4
        .value_kind:     by_value
      - .actual_access:  read_only
        .address_space:  global
        .offset:         56
        .size:           8
        .value_kind:     global_buffer
      - .actual_access:  read_only
        .address_space:  global
        .offset:         64
        .size:           8
        .value_kind:     global_buffer
      - .offset:         72
        .size:           4
        .value_kind:     by_value
      - .actual_access:  read_only
        .address_space:  global
        .offset:         80
        .size:           8
        .value_kind:     global_buffer
      - .offset:         88
        .size:           4
        .value_kind:     by_value
      - .offset:         92
        .size:           4
        .value_kind:     by_value
      - .offset:         96
        .size:           4
        .value_kind:     by_value
      - .address_space:  global
        .offset:         104
        .size:           8
        .value_kind:     global_buffer
      - .address_space:  global
        .offset:         112
        .size:           8
        .value_kind:     global_buffer
      - .offset:         120
        .size:           4
        .value_kind:     by_value
      - .offset:         124
        .size:           4
        .value_kind:     by_value
      - .offset:         128
        .size:           4
        .value_kind:     by_value
      - .offset:         132
        .size:           4
        .value_kind:     by_value
      - .offset:         136
        .size:           4
        .value_kind:     by_value
      - .offset:         144
        .size:           4
        .value_kind:     hidden_block_count_x
      - .offset:         148
        .size:           4
        .value_kind:     hidden_block_count_y
      - .offset:         152
        .size:           4
        .value_kind:     hidden_block_count_z
      - .offset:         156
        .size:           2
        .value_kind:     hidden_group_size_x
      - .offset:         158
        .size:           2
        .value_kind:     hidden_group_size_y
      - .offset:         160
        .size:           2
        .value_kind:     hidden_group_size_z
      - .offset:         162
        .size:           2
        .value_kind:     hidden_remainder_x
      - .offset:         164
        .size:           2
        .value_kind:     hidden_remainder_y
      - .offset:         166
        .size:           2
        .value_kind:     hidden_remainder_z
      - .offset:         184
        .size:           8
        .value_kind:     hidden_global_offset_x
      - .offset:         192
        .size:           8
        .value_kind:     hidden_global_offset_y
      - .offset:         200
        .size:           8
        .value_kind:     hidden_global_offset_z
      - .offset:         208
        .size:           2
        .value_kind:     hidden_grid_dims
      - .offset:         264
        .size:           4
        .value_kind:     hidden_dynamic_lds_size
    .group_segment_fixed_size: 272
    .kernarg_segment_align: 8
    .kernarg_segment_size: 400
    .language:       OpenCL C
    .language_version:
      - 2
      - 0
    .max_flat_workgroup_size: 1024
    .name:           _ZN4vllm25paged_attention_v2_kernelIttLi120ELi8ELi128ELNS_18Fp8KVCacheDataTypeE0ELb0ELi512EEEvPfS2_PT_PKS3_PKT0_S9_ifPKiSB_iPKfiiiSD_SD_iiiii
    .private_segment_fixed_size: 0
    .sgpr_count:     38
    .sgpr_spill_count: 0
    .symbol:         _ZN4vllm25paged_attention_v2_kernelIttLi120ELi8ELi128ELNS_18Fp8KVCacheDataTypeE0ELb0ELi512EEEvPfS2_PT_PKS3_PKT0_S9_ifPKiSB_iPKfiiiSD_SD_iiiii.kd
    .uniform_work_group_size: 1
    .uses_dynamic_stack: false
    .vgpr_count:     71
    .vgpr_spill_count: 0
    .wavefront_size: 32
    .workgroup_processor_mode: 1
  - .args:
      - .actual_access:  write_only
        .address_space:  global
        .offset:         0
        .size:           8
        .value_kind:     global_buffer
      - .actual_access:  write_only
        .address_space:  global
        .offset:         8
        .size:           8
        .value_kind:     global_buffer
      - .actual_access:  write_only
        .address_space:  global
        .offset:         16
        .size:           8
        .value_kind:     global_buffer
      - .actual_access:  read_only
        .address_space:  global
        .offset:         24
        .size:           8
        .value_kind:     global_buffer
      - .actual_access:  read_only
        .address_space:  global
        .offset:         32
        .size:           8
        .value_kind:     global_buffer
      - .actual_access:  read_only
        .address_space:  global
        .offset:         40
        .size:           8
        .value_kind:     global_buffer
      - .offset:         48
        .size:           4
        .value_kind:     by_value
      - .offset:         52
        .size:           4
        .value_kind:     by_value
      - .actual_access:  read_only
        .address_space:  global
        .offset:         56
        .size:           8
        .value_kind:     global_buffer
      - .actual_access:  read_only
        .address_space:  global
        .offset:         64
        .size:           8
        .value_kind:     global_buffer
      - .offset:         72
        .size:           4
        .value_kind:     by_value
      - .actual_access:  read_only
        .address_space:  global
        .offset:         80
        .size:           8
        .value_kind:     global_buffer
      - .offset:         88
        .size:           4
        .value_kind:     by_value
      - .offset:         92
        .size:           4
        .value_kind:     by_value
      - .offset:         96
        .size:           4
        .value_kind:     by_value
      - .address_space:  global
        .offset:         104
        .size:           8
        .value_kind:     global_buffer
      - .address_space:  global
        .offset:         112
        .size:           8
        .value_kind:     global_buffer
      - .offset:         120
        .size:           4
        .value_kind:     by_value
      - .offset:         124
        .size:           4
        .value_kind:     by_value
      - .offset:         128
        .size:           4
        .value_kind:     by_value
      - .offset:         132
        .size:           4
        .value_kind:     by_value
      - .offset:         136
        .size:           4
        .value_kind:     by_value
      - .offset:         144
        .size:           4
        .value_kind:     hidden_block_count_x
      - .offset:         148
        .size:           4
        .value_kind:     hidden_block_count_y
      - .offset:         152
        .size:           4
        .value_kind:     hidden_block_count_z
      - .offset:         156
        .size:           2
        .value_kind:     hidden_group_size_x
      - .offset:         158
        .size:           2
        .value_kind:     hidden_group_size_y
      - .offset:         160
        .size:           2
        .value_kind:     hidden_group_size_z
      - .offset:         162
        .size:           2
        .value_kind:     hidden_remainder_x
      - .offset:         164
        .size:           2
        .value_kind:     hidden_remainder_y
      - .offset:         166
        .size:           2
        .value_kind:     hidden_remainder_z
      - .offset:         184
        .size:           8
        .value_kind:     hidden_global_offset_x
      - .offset:         192
        .size:           8
        .value_kind:     hidden_global_offset_y
      - .offset:         200
        .size:           8
        .value_kind:     hidden_global_offset_z
      - .offset:         208
        .size:           2
        .value_kind:     hidden_grid_dims
      - .offset:         264
        .size:           4
        .value_kind:     hidden_dynamic_lds_size
    .group_segment_fixed_size: 288
    .kernarg_segment_align: 8
    .kernarg_segment_size: 400
    .language:       OpenCL C
    .language_version:
      - 2
      - 0
    .max_flat_workgroup_size: 1024
    .name:           _ZN4vllm25paged_attention_v2_kernelIttLi128ELi8ELi128ELNS_18Fp8KVCacheDataTypeE0ELb0ELi512EEEvPfS2_PT_PKS3_PKT0_S9_ifPKiSB_iPKfiiiSD_SD_iiiii
    .private_segment_fixed_size: 0
    .sgpr_count:     40
    .sgpr_spill_count: 0
    .symbol:         _ZN4vllm25paged_attention_v2_kernelIttLi128ELi8ELi128ELNS_18Fp8KVCacheDataTypeE0ELb0ELi512EEEvPfS2_PT_PKS3_PKT0_S9_ifPKiSB_iPKfiiiSD_SD_iiiii.kd
    .uniform_work_group_size: 1
    .uses_dynamic_stack: false
    .vgpr_count:     75
    .vgpr_spill_count: 0
    .wavefront_size: 32
    .workgroup_processor_mode: 1
  - .args:
      - .actual_access:  write_only
        .address_space:  global
        .offset:         0
        .size:           8
        .value_kind:     global_buffer
      - .actual_access:  write_only
        .address_space:  global
        .offset:         8
        .size:           8
        .value_kind:     global_buffer
      - .actual_access:  write_only
        .address_space:  global
        .offset:         16
        .size:           8
        .value_kind:     global_buffer
      - .actual_access:  read_only
        .address_space:  global
        .offset:         24
        .size:           8
        .value_kind:     global_buffer
      - .actual_access:  read_only
        .address_space:  global
        .offset:         32
        .size:           8
        .value_kind:     global_buffer
      - .actual_access:  read_only
        .address_space:  global
        .offset:         40
        .size:           8
        .value_kind:     global_buffer
      - .offset:         48
        .size:           4
        .value_kind:     by_value
      - .offset:         52
        .size:           4
        .value_kind:     by_value
      - .actual_access:  read_only
        .address_space:  global
        .offset:         56
        .size:           8
        .value_kind:     global_buffer
      - .actual_access:  read_only
        .address_space:  global
        .offset:         64
        .size:           8
        .value_kind:     global_buffer
      - .offset:         72
        .size:           4
        .value_kind:     by_value
      - .actual_access:  read_only
        .address_space:  global
        .offset:         80
        .size:           8
        .value_kind:     global_buffer
      - .offset:         88
        .size:           4
        .value_kind:     by_value
      - .offset:         92
        .size:           4
        .value_kind:     by_value
      - .offset:         96
        .size:           4
        .value_kind:     by_value
      - .address_space:  global
        .offset:         104
        .size:           8
        .value_kind:     global_buffer
      - .address_space:  global
        .offset:         112
        .size:           8
        .value_kind:     global_buffer
      - .offset:         120
        .size:           4
        .value_kind:     by_value
      - .offset:         124
        .size:           4
        .value_kind:     by_value
      - .offset:         128
        .size:           4
        .value_kind:     by_value
      - .offset:         132
        .size:           4
        .value_kind:     by_value
      - .offset:         136
        .size:           4
        .value_kind:     by_value
      - .offset:         144
        .size:           4
        .value_kind:     hidden_block_count_x
      - .offset:         148
        .size:           4
        .value_kind:     hidden_block_count_y
      - .offset:         152
        .size:           4
        .value_kind:     hidden_block_count_z
      - .offset:         156
        .size:           2
        .value_kind:     hidden_group_size_x
      - .offset:         158
        .size:           2
        .value_kind:     hidden_group_size_y
      - .offset:         160
        .size:           2
        .value_kind:     hidden_group_size_z
      - .offset:         162
        .size:           2
        .value_kind:     hidden_remainder_x
      - .offset:         164
        .size:           2
        .value_kind:     hidden_remainder_y
      - .offset:         166
        .size:           2
        .value_kind:     hidden_remainder_z
      - .offset:         184
        .size:           8
        .value_kind:     hidden_global_offset_x
      - .offset:         192
        .size:           8
        .value_kind:     hidden_global_offset_y
      - .offset:         200
        .size:           8
        .value_kind:     hidden_global_offset_z
      - .offset:         208
        .size:           2
        .value_kind:     hidden_grid_dims
      - .offset:         264
        .size:           4
        .value_kind:     hidden_dynamic_lds_size
    .group_segment_fixed_size: 416
    .kernarg_segment_align: 8
    .kernarg_segment_size: 400
    .language:       OpenCL C
    .language_version:
      - 2
      - 0
    .max_flat_workgroup_size: 1024
    .name:           _ZN4vllm25paged_attention_v2_kernelIttLi192ELi8ELi128ELNS_18Fp8KVCacheDataTypeE0ELb0ELi512EEEvPfS2_PT_PKS3_PKT0_S9_ifPKiSB_iPKfiiiSD_SD_iiiii
    .private_segment_fixed_size: 0
    .sgpr_count:     38
    .sgpr_spill_count: 0
    .symbol:         _ZN4vllm25paged_attention_v2_kernelIttLi192ELi8ELi128ELNS_18Fp8KVCacheDataTypeE0ELb0ELi512EEEvPfS2_PT_PKS3_PKT0_S9_ifPKiSB_iPKfiiiSD_SD_iiiii.kd
    .uniform_work_group_size: 1
    .uses_dynamic_stack: false
    .vgpr_count:     88
    .vgpr_spill_count: 0
    .wavefront_size: 32
    .workgroup_processor_mode: 1
  - .args:
      - .actual_access:  write_only
        .address_space:  global
        .offset:         0
        .size:           8
        .value_kind:     global_buffer
      - .actual_access:  write_only
        .address_space:  global
        .offset:         8
        .size:           8
        .value_kind:     global_buffer
      - .actual_access:  write_only
        .address_space:  global
        .offset:         16
        .size:           8
        .value_kind:     global_buffer
      - .actual_access:  read_only
        .address_space:  global
        .offset:         24
        .size:           8
        .value_kind:     global_buffer
      - .actual_access:  read_only
        .address_space:  global
        .offset:         32
        .size:           8
        .value_kind:     global_buffer
      - .actual_access:  read_only
        .address_space:  global
        .offset:         40
        .size:           8
        .value_kind:     global_buffer
      - .offset:         48
        .size:           4
        .value_kind:     by_value
      - .offset:         52
        .size:           4
        .value_kind:     by_value
      - .actual_access:  read_only
        .address_space:  global
        .offset:         56
        .size:           8
        .value_kind:     global_buffer
      - .actual_access:  read_only
        .address_space:  global
        .offset:         64
        .size:           8
        .value_kind:     global_buffer
      - .offset:         72
        .size:           4
        .value_kind:     by_value
      - .actual_access:  read_only
        .address_space:  global
        .offset:         80
        .size:           8
        .value_kind:     global_buffer
      - .offset:         88
        .size:           4
        .value_kind:     by_value
      - .offset:         92
        .size:           4
        .value_kind:     by_value
      - .offset:         96
        .size:           4
        .value_kind:     by_value
      - .address_space:  global
        .offset:         104
        .size:           8
        .value_kind:     global_buffer
      - .address_space:  global
        .offset:         112
        .size:           8
        .value_kind:     global_buffer
      - .offset:         120
        .size:           4
        .value_kind:     by_value
      - .offset:         124
        .size:           4
        .value_kind:     by_value
      - .offset:         128
        .size:           4
        .value_kind:     by_value
      - .offset:         132
        .size:           4
        .value_kind:     by_value
      - .offset:         136
        .size:           4
        .value_kind:     by_value
      - .offset:         144
        .size:           4
        .value_kind:     hidden_block_count_x
      - .offset:         148
        .size:           4
        .value_kind:     hidden_block_count_y
      - .offset:         152
        .size:           4
        .value_kind:     hidden_block_count_z
      - .offset:         156
        .size:           2
        .value_kind:     hidden_group_size_x
      - .offset:         158
        .size:           2
        .value_kind:     hidden_group_size_y
      - .offset:         160
        .size:           2
        .value_kind:     hidden_group_size_z
      - .offset:         162
        .size:           2
        .value_kind:     hidden_remainder_x
      - .offset:         164
        .size:           2
        .value_kind:     hidden_remainder_y
      - .offset:         166
        .size:           2
        .value_kind:     hidden_remainder_z
      - .offset:         184
        .size:           8
        .value_kind:     hidden_global_offset_x
      - .offset:         192
        .size:           8
        .value_kind:     hidden_global_offset_y
      - .offset:         200
        .size:           8
        .value_kind:     hidden_global_offset_z
      - .offset:         208
        .size:           2
        .value_kind:     hidden_grid_dims
      - .offset:         264
        .size:           4
        .value_kind:     hidden_dynamic_lds_size
    .group_segment_fixed_size: 544
    .kernarg_segment_align: 8
    .kernarg_segment_size: 400
    .language:       OpenCL C
    .language_version:
      - 2
      - 0
    .max_flat_workgroup_size: 1024
    .name:           _ZN4vllm25paged_attention_v2_kernelIttLi256ELi8ELi128ELNS_18Fp8KVCacheDataTypeE0ELb0ELi512EEEvPfS2_PT_PKS3_PKT0_S9_ifPKiSB_iPKfiiiSD_SD_iiiii
    .private_segment_fixed_size: 0
    .sgpr_count:     38
    .sgpr_spill_count: 0
    .symbol:         _ZN4vllm25paged_attention_v2_kernelIttLi256ELi8ELi128ELNS_18Fp8KVCacheDataTypeE0ELb0ELi512EEEvPfS2_PT_PKS3_PKT0_S9_ifPKiSB_iPKfiiiSD_SD_iiiii.kd
    .uniform_work_group_size: 1
    .uses_dynamic_stack: false
    .vgpr_count:     89
    .vgpr_spill_count: 0
    .wavefront_size: 32
    .workgroup_processor_mode: 1
  - .args:
      - .actual_access:  write_only
        .address_space:  global
        .offset:         0
        .size:           8
        .value_kind:     global_buffer
      - .actual_access:  write_only
        .address_space:  global
        .offset:         8
        .size:           8
        .value_kind:     global_buffer
      - .actual_access:  write_only
        .address_space:  global
        .offset:         16
        .size:           8
        .value_kind:     global_buffer
      - .actual_access:  read_only
        .address_space:  global
        .offset:         24
        .size:           8
        .value_kind:     global_buffer
      - .actual_access:  read_only
        .address_space:  global
        .offset:         32
        .size:           8
        .value_kind:     global_buffer
      - .actual_access:  read_only
        .address_space:  global
        .offset:         40
        .size:           8
        .value_kind:     global_buffer
      - .offset:         48
        .size:           4
        .value_kind:     by_value
      - .offset:         52
        .size:           4
        .value_kind:     by_value
      - .actual_access:  read_only
        .address_space:  global
        .offset:         56
        .size:           8
        .value_kind:     global_buffer
      - .actual_access:  read_only
        .address_space:  global
        .offset:         64
        .size:           8
        .value_kind:     global_buffer
      - .offset:         72
        .size:           4
        .value_kind:     by_value
      - .actual_access:  read_only
        .address_space:  global
        .offset:         80
        .size:           8
        .value_kind:     global_buffer
      - .offset:         88
        .size:           4
        .value_kind:     by_value
      - .offset:         92
        .size:           4
        .value_kind:     by_value
      - .offset:         96
        .size:           4
        .value_kind:     by_value
      - .address_space:  global
        .offset:         104
        .size:           8
        .value_kind:     global_buffer
      - .address_space:  global
        .offset:         112
        .size:           8
        .value_kind:     global_buffer
      - .offset:         120
        .size:           4
        .value_kind:     by_value
      - .offset:         124
        .size:           4
        .value_kind:     by_value
      - .offset:         128
        .size:           4
        .value_kind:     by_value
      - .offset:         132
        .size:           4
        .value_kind:     by_value
      - .offset:         136
        .size:           4
        .value_kind:     by_value
      - .offset:         144
        .size:           4
        .value_kind:     hidden_block_count_x
      - .offset:         148
        .size:           4
        .value_kind:     hidden_block_count_y
      - .offset:         152
        .size:           4
        .value_kind:     hidden_block_count_z
      - .offset:         156
        .size:           2
        .value_kind:     hidden_group_size_x
      - .offset:         158
        .size:           2
        .value_kind:     hidden_group_size_y
      - .offset:         160
        .size:           2
        .value_kind:     hidden_group_size_z
      - .offset:         162
        .size:           2
        .value_kind:     hidden_remainder_x
      - .offset:         164
        .size:           2
        .value_kind:     hidden_remainder_y
      - .offset:         166
        .size:           2
        .value_kind:     hidden_remainder_z
      - .offset:         184
        .size:           8
        .value_kind:     hidden_global_offset_x
      - .offset:         192
        .size:           8
        .value_kind:     hidden_global_offset_y
      - .offset:         200
        .size:           8
        .value_kind:     hidden_global_offset_z
      - .offset:         208
        .size:           2
        .value_kind:     hidden_grid_dims
      - .offset:         264
        .size:           4
        .value_kind:     hidden_dynamic_lds_size
    .group_segment_fixed_size: 96
    .kernarg_segment_align: 8
    .kernarg_segment_size: 400
    .language:       OpenCL C
    .language_version:
      - 2
      - 0
    .max_flat_workgroup_size: 1024
    .name:           _ZN4vllm25paged_attention_v2_kernelIttLi32ELi16ELi128ELNS_18Fp8KVCacheDataTypeE0ELb1ELi512EEEvPfS2_PT_PKS3_PKT0_S9_ifPKiSB_iPKfiiiSD_SD_iiiii
    .private_segment_fixed_size: 0
    .sgpr_count:     48
    .sgpr_spill_count: 0
    .symbol:         _ZN4vllm25paged_attention_v2_kernelIttLi32ELi16ELi128ELNS_18Fp8KVCacheDataTypeE0ELb1ELi512EEEvPfS2_PT_PKS3_PKT0_S9_ifPKiSB_iPKfiiiSD_SD_iiiii.kd
    .uniform_work_group_size: 1
    .uses_dynamic_stack: false
    .vgpr_count:     53
    .vgpr_spill_count: 0
    .wavefront_size: 32
    .workgroup_processor_mode: 1
  - .args:
      - .actual_access:  write_only
        .address_space:  global
        .offset:         0
        .size:           8
        .value_kind:     global_buffer
      - .actual_access:  write_only
        .address_space:  global
        .offset:         8
        .size:           8
        .value_kind:     global_buffer
      - .actual_access:  write_only
        .address_space:  global
        .offset:         16
        .size:           8
        .value_kind:     global_buffer
      - .actual_access:  read_only
        .address_space:  global
        .offset:         24
        .size:           8
        .value_kind:     global_buffer
      - .actual_access:  read_only
        .address_space:  global
        .offset:         32
        .size:           8
        .value_kind:     global_buffer
      - .actual_access:  read_only
        .address_space:  global
        .offset:         40
        .size:           8
        .value_kind:     global_buffer
      - .offset:         48
        .size:           4
        .value_kind:     by_value
      - .offset:         52
        .size:           4
        .value_kind:     by_value
      - .actual_access:  read_only
        .address_space:  global
        .offset:         56
        .size:           8
        .value_kind:     global_buffer
      - .actual_access:  read_only
        .address_space:  global
        .offset:         64
        .size:           8
        .value_kind:     global_buffer
      - .offset:         72
        .size:           4
        .value_kind:     by_value
      - .actual_access:  read_only
        .address_space:  global
        .offset:         80
        .size:           8
        .value_kind:     global_buffer
      - .offset:         88
        .size:           4
        .value_kind:     by_value
      - .offset:         92
        .size:           4
        .value_kind:     by_value
      - .offset:         96
        .size:           4
        .value_kind:     by_value
      - .address_space:  global
        .offset:         104
        .size:           8
        .value_kind:     global_buffer
      - .address_space:  global
        .offset:         112
        .size:           8
        .value_kind:     global_buffer
      - .offset:         120
        .size:           4
        .value_kind:     by_value
      - .offset:         124
        .size:           4
        .value_kind:     by_value
      - .offset:         128
        .size:           4
        .value_kind:     by_value
      - .offset:         132
        .size:           4
        .value_kind:     by_value
      - .offset:         136
        .size:           4
        .value_kind:     by_value
      - .offset:         144
        .size:           4
        .value_kind:     hidden_block_count_x
      - .offset:         148
        .size:           4
        .value_kind:     hidden_block_count_y
      - .offset:         152
        .size:           4
        .value_kind:     hidden_block_count_z
      - .offset:         156
        .size:           2
        .value_kind:     hidden_group_size_x
      - .offset:         158
        .size:           2
        .value_kind:     hidden_group_size_y
      - .offset:         160
        .size:           2
        .value_kind:     hidden_group_size_z
      - .offset:         162
        .size:           2
        .value_kind:     hidden_remainder_x
      - .offset:         164
        .size:           2
        .value_kind:     hidden_remainder_y
      - .offset:         166
        .size:           2
        .value_kind:     hidden_remainder_z
      - .offset:         184
        .size:           8
        .value_kind:     hidden_global_offset_x
      - .offset:         192
        .size:           8
        .value_kind:     hidden_global_offset_y
      - .offset:         200
        .size:           8
        .value_kind:     hidden_global_offset_z
      - .offset:         208
        .size:           2
        .value_kind:     hidden_grid_dims
      - .offset:         264
        .size:           4
        .value_kind:     hidden_dynamic_lds_size
    .group_segment_fixed_size: 160
    .kernarg_segment_align: 8
    .kernarg_segment_size: 400
    .language:       OpenCL C
    .language_version:
      - 2
      - 0
    .max_flat_workgroup_size: 1024
    .name:           _ZN4vllm25paged_attention_v2_kernelIttLi64ELi16ELi128ELNS_18Fp8KVCacheDataTypeE0ELb1ELi512EEEvPfS2_PT_PKS3_PKT0_S9_ifPKiSB_iPKfiiiSD_SD_iiiii
    .private_segment_fixed_size: 0
    .sgpr_count:     48
    .sgpr_spill_count: 0
    .symbol:         _ZN4vllm25paged_attention_v2_kernelIttLi64ELi16ELi128ELNS_18Fp8KVCacheDataTypeE0ELb1ELi512EEEvPfS2_PT_PKS3_PKT0_S9_ifPKiSB_iPKfiiiSD_SD_iiiii.kd
    .uniform_work_group_size: 1
    .uses_dynamic_stack: false
    .vgpr_count:     79
    .vgpr_spill_count: 0
    .wavefront_size: 32
    .workgroup_processor_mode: 1
  - .args:
      - .actual_access:  write_only
        .address_space:  global
        .offset:         0
        .size:           8
        .value_kind:     global_buffer
      - .actual_access:  write_only
        .address_space:  global
        .offset:         8
        .size:           8
        .value_kind:     global_buffer
      - .actual_access:  write_only
        .address_space:  global
        .offset:         16
        .size:           8
        .value_kind:     global_buffer
      - .actual_access:  read_only
        .address_space:  global
        .offset:         24
        .size:           8
        .value_kind:     global_buffer
      - .actual_access:  read_only
        .address_space:  global
        .offset:         32
        .size:           8
        .value_kind:     global_buffer
      - .actual_access:  read_only
        .address_space:  global
        .offset:         40
        .size:           8
        .value_kind:     global_buffer
      - .offset:         48
        .size:           4
        .value_kind:     by_value
      - .offset:         52
        .size:           4
        .value_kind:     by_value
      - .actual_access:  read_only
        .address_space:  global
        .offset:         56
        .size:           8
        .value_kind:     global_buffer
      - .actual_access:  read_only
        .address_space:  global
        .offset:         64
        .size:           8
        .value_kind:     global_buffer
      - .offset:         72
        .size:           4
        .value_kind:     by_value
      - .actual_access:  read_only
        .address_space:  global
        .offset:         80
        .size:           8
        .value_kind:     global_buffer
      - .offset:         88
        .size:           4
        .value_kind:     by_value
      - .offset:         92
        .size:           4
        .value_kind:     by_value
      - .offset:         96
        .size:           4
        .value_kind:     by_value
      - .address_space:  global
        .offset:         104
        .size:           8
        .value_kind:     global_buffer
      - .address_space:  global
        .offset:         112
        .size:           8
        .value_kind:     global_buffer
      - .offset:         120
        .size:           4
        .value_kind:     by_value
      - .offset:         124
        .size:           4
        .value_kind:     by_value
      - .offset:         128
        .size:           4
        .value_kind:     by_value
      - .offset:         132
        .size:           4
        .value_kind:     by_value
      - .offset:         136
        .size:           4
        .value_kind:     by_value
      - .offset:         144
        .size:           4
        .value_kind:     hidden_block_count_x
      - .offset:         148
        .size:           4
        .value_kind:     hidden_block_count_y
      - .offset:         152
        .size:           4
        .value_kind:     hidden_block_count_z
      - .offset:         156
        .size:           2
        .value_kind:     hidden_group_size_x
      - .offset:         158
        .size:           2
        .value_kind:     hidden_group_size_y
      - .offset:         160
        .size:           2
        .value_kind:     hidden_group_size_z
      - .offset:         162
        .size:           2
        .value_kind:     hidden_remainder_x
      - .offset:         164
        .size:           2
        .value_kind:     hidden_remainder_y
      - .offset:         166
        .size:           2
        .value_kind:     hidden_remainder_z
      - .offset:         184
        .size:           8
        .value_kind:     hidden_global_offset_x
      - .offset:         192
        .size:           8
        .value_kind:     hidden_global_offset_y
      - .offset:         200
        .size:           8
        .value_kind:     hidden_global_offset_z
      - .offset:         208
        .size:           2
        .value_kind:     hidden_grid_dims
      - .offset:         264
        .size:           4
        .value_kind:     hidden_dynamic_lds_size
    .group_segment_fixed_size: 192
    .kernarg_segment_align: 8
    .kernarg_segment_size: 400
    .language:       OpenCL C
    .language_version:
      - 2
      - 0
    .max_flat_workgroup_size: 1024
    .name:           _ZN4vllm25paged_attention_v2_kernelIttLi80ELi16ELi128ELNS_18Fp8KVCacheDataTypeE0ELb1ELi512EEEvPfS2_PT_PKS3_PKT0_S9_ifPKiSB_iPKfiiiSD_SD_iiiii
    .private_segment_fixed_size: 0
    .sgpr_count:     48
    .sgpr_spill_count: 0
    .symbol:         _ZN4vllm25paged_attention_v2_kernelIttLi80ELi16ELi128ELNS_18Fp8KVCacheDataTypeE0ELb1ELi512EEEvPfS2_PT_PKS3_PKT0_S9_ifPKiSB_iPKfiiiSD_SD_iiiii.kd
    .uniform_work_group_size: 1
    .uses_dynamic_stack: false
    .vgpr_count:     91
    .vgpr_spill_count: 0
    .wavefront_size: 32
    .workgroup_processor_mode: 1
  - .args:
      - .actual_access:  write_only
        .address_space:  global
        .offset:         0
        .size:           8
        .value_kind:     global_buffer
      - .actual_access:  write_only
        .address_space:  global
        .offset:         8
        .size:           8
        .value_kind:     global_buffer
      - .actual_access:  write_only
        .address_space:  global
        .offset:         16
        .size:           8
        .value_kind:     global_buffer
      - .actual_access:  read_only
        .address_space:  global
        .offset:         24
        .size:           8
        .value_kind:     global_buffer
      - .actual_access:  read_only
        .address_space:  global
        .offset:         32
        .size:           8
        .value_kind:     global_buffer
      - .actual_access:  read_only
        .address_space:  global
        .offset:         40
        .size:           8
        .value_kind:     global_buffer
      - .offset:         48
        .size:           4
        .value_kind:     by_value
      - .offset:         52
        .size:           4
        .value_kind:     by_value
      - .actual_access:  read_only
        .address_space:  global
        .offset:         56
        .size:           8
        .value_kind:     global_buffer
      - .actual_access:  read_only
        .address_space:  global
        .offset:         64
        .size:           8
        .value_kind:     global_buffer
      - .offset:         72
        .size:           4
        .value_kind:     by_value
      - .actual_access:  read_only
        .address_space:  global
        .offset:         80
        .size:           8
        .value_kind:     global_buffer
      - .offset:         88
        .size:           4
        .value_kind:     by_value
      - .offset:         92
        .size:           4
        .value_kind:     by_value
      - .offset:         96
        .size:           4
        .value_kind:     by_value
      - .address_space:  global
        .offset:         104
        .size:           8
        .value_kind:     global_buffer
      - .address_space:  global
        .offset:         112
        .size:           8
        .value_kind:     global_buffer
      - .offset:         120
        .size:           4
        .value_kind:     by_value
      - .offset:         124
        .size:           4
        .value_kind:     by_value
      - .offset:         128
        .size:           4
        .value_kind:     by_value
      - .offset:         132
        .size:           4
        .value_kind:     by_value
      - .offset:         136
        .size:           4
        .value_kind:     by_value
      - .offset:         144
        .size:           4
        .value_kind:     hidden_block_count_x
      - .offset:         148
        .size:           4
        .value_kind:     hidden_block_count_y
      - .offset:         152
        .size:           4
        .value_kind:     hidden_block_count_z
      - .offset:         156
        .size:           2
        .value_kind:     hidden_group_size_x
      - .offset:         158
        .size:           2
        .value_kind:     hidden_group_size_y
      - .offset:         160
        .size:           2
        .value_kind:     hidden_group_size_z
      - .offset:         162
        .size:           2
        .value_kind:     hidden_remainder_x
      - .offset:         164
        .size:           2
        .value_kind:     hidden_remainder_y
      - .offset:         166
        .size:           2
        .value_kind:     hidden_remainder_z
      - .offset:         184
        .size:           8
        .value_kind:     hidden_global_offset_x
      - .offset:         192
        .size:           8
        .value_kind:     hidden_global_offset_y
      - .offset:         200
        .size:           8
        .value_kind:     hidden_global_offset_z
      - .offset:         208
        .size:           2
        .value_kind:     hidden_grid_dims
      - .offset:         264
        .size:           4
        .value_kind:     hidden_dynamic_lds_size
    .group_segment_fixed_size: 224
    .kernarg_segment_align: 8
    .kernarg_segment_size: 400
    .language:       OpenCL C
    .language_version:
      - 2
      - 0
    .max_flat_workgroup_size: 1024
    .name:           _ZN4vllm25paged_attention_v2_kernelIttLi96ELi16ELi128ELNS_18Fp8KVCacheDataTypeE0ELb1ELi512EEEvPfS2_PT_PKS3_PKT0_S9_ifPKiSB_iPKfiiiSD_SD_iiiii
    .private_segment_fixed_size: 0
    .sgpr_count:     48
    .sgpr_spill_count: 0
    .symbol:         _ZN4vllm25paged_attention_v2_kernelIttLi96ELi16ELi128ELNS_18Fp8KVCacheDataTypeE0ELb1ELi512EEEvPfS2_PT_PKS3_PKT0_S9_ifPKiSB_iPKfiiiSD_SD_iiiii.kd
    .uniform_work_group_size: 1
    .uses_dynamic_stack: false
    .vgpr_count:     94
    .vgpr_spill_count: 0
    .wavefront_size: 32
    .workgroup_processor_mode: 1
  - .args:
      - .actual_access:  write_only
        .address_space:  global
        .offset:         0
        .size:           8
        .value_kind:     global_buffer
      - .actual_access:  write_only
        .address_space:  global
        .offset:         8
        .size:           8
        .value_kind:     global_buffer
      - .actual_access:  write_only
        .address_space:  global
        .offset:         16
        .size:           8
        .value_kind:     global_buffer
      - .actual_access:  read_only
        .address_space:  global
        .offset:         24
        .size:           8
        .value_kind:     global_buffer
      - .actual_access:  read_only
        .address_space:  global
        .offset:         32
        .size:           8
        .value_kind:     global_buffer
      - .actual_access:  read_only
        .address_space:  global
        .offset:         40
        .size:           8
        .value_kind:     global_buffer
      - .offset:         48
        .size:           4
        .value_kind:     by_value
      - .offset:         52
        .size:           4
        .value_kind:     by_value
      - .actual_access:  read_only
        .address_space:  global
        .offset:         56
        .size:           8
        .value_kind:     global_buffer
      - .actual_access:  read_only
        .address_space:  global
        .offset:         64
        .size:           8
        .value_kind:     global_buffer
      - .offset:         72
        .size:           4
        .value_kind:     by_value
      - .actual_access:  read_only
        .address_space:  global
        .offset:         80
        .size:           8
        .value_kind:     global_buffer
      - .offset:         88
        .size:           4
        .value_kind:     by_value
      - .offset:         92
        .size:           4
        .value_kind:     by_value
      - .offset:         96
        .size:           4
        .value_kind:     by_value
      - .address_space:  global
        .offset:         104
        .size:           8
        .value_kind:     global_buffer
      - .address_space:  global
        .offset:         112
        .size:           8
        .value_kind:     global_buffer
      - .offset:         120
        .size:           4
        .value_kind:     by_value
      - .offset:         124
        .size:           4
        .value_kind:     by_value
      - .offset:         128
        .size:           4
        .value_kind:     by_value
      - .offset:         132
        .size:           4
        .value_kind:     by_value
      - .offset:         136
        .size:           4
        .value_kind:     by_value
      - .offset:         144
        .size:           4
        .value_kind:     hidden_block_count_x
      - .offset:         148
        .size:           4
        .value_kind:     hidden_block_count_y
      - .offset:         152
        .size:           4
        .value_kind:     hidden_block_count_z
      - .offset:         156
        .size:           2
        .value_kind:     hidden_group_size_x
      - .offset:         158
        .size:           2
        .value_kind:     hidden_group_size_y
      - .offset:         160
        .size:           2
        .value_kind:     hidden_group_size_z
      - .offset:         162
        .size:           2
        .value_kind:     hidden_remainder_x
      - .offset:         164
        .size:           2
        .value_kind:     hidden_remainder_y
      - .offset:         166
        .size:           2
        .value_kind:     hidden_remainder_z
      - .offset:         184
        .size:           8
        .value_kind:     hidden_global_offset_x
      - .offset:         192
        .size:           8
        .value_kind:     hidden_global_offset_y
      - .offset:         200
        .size:           8
        .value_kind:     hidden_global_offset_z
      - .offset:         208
        .size:           2
        .value_kind:     hidden_grid_dims
      - .offset:         264
        .size:           4
        .value_kind:     hidden_dynamic_lds_size
    .group_segment_fixed_size: 256
    .kernarg_segment_align: 8
    .kernarg_segment_size: 400
    .language:       OpenCL C
    .language_version:
      - 2
      - 0
    .max_flat_workgroup_size: 1024
    .name:           _ZN4vllm25paged_attention_v2_kernelIttLi112ELi16ELi128ELNS_18Fp8KVCacheDataTypeE0ELb1ELi512EEEvPfS2_PT_PKS3_PKT0_S9_ifPKiSB_iPKfiiiSD_SD_iiiii
    .private_segment_fixed_size: 0
    .sgpr_count:     48
    .sgpr_spill_count: 0
    .symbol:         _ZN4vllm25paged_attention_v2_kernelIttLi112ELi16ELi128ELNS_18Fp8KVCacheDataTypeE0ELb1ELi512EEEvPfS2_PT_PKS3_PKT0_S9_ifPKiSB_iPKfiiiSD_SD_iiiii.kd
    .uniform_work_group_size: 1
    .uses_dynamic_stack: false
    .vgpr_count:     95
    .vgpr_spill_count: 0
    .wavefront_size: 32
    .workgroup_processor_mode: 1
  - .args:
      - .actual_access:  write_only
        .address_space:  global
        .offset:         0
        .size:           8
        .value_kind:     global_buffer
      - .actual_access:  write_only
        .address_space:  global
        .offset:         8
        .size:           8
        .value_kind:     global_buffer
      - .actual_access:  write_only
        .address_space:  global
        .offset:         16
        .size:           8
        .value_kind:     global_buffer
      - .actual_access:  read_only
        .address_space:  global
        .offset:         24
        .size:           8
        .value_kind:     global_buffer
      - .actual_access:  read_only
        .address_space:  global
        .offset:         32
        .size:           8
        .value_kind:     global_buffer
      - .actual_access:  read_only
        .address_space:  global
        .offset:         40
        .size:           8
        .value_kind:     global_buffer
      - .offset:         48
        .size:           4
        .value_kind:     by_value
      - .offset:         52
        .size:           4
        .value_kind:     by_value
      - .actual_access:  read_only
        .address_space:  global
        .offset:         56
        .size:           8
        .value_kind:     global_buffer
      - .actual_access:  read_only
        .address_space:  global
        .offset:         64
        .size:           8
        .value_kind:     global_buffer
      - .offset:         72
        .size:           4
        .value_kind:     by_value
      - .actual_access:  read_only
        .address_space:  global
        .offset:         80
        .size:           8
        .value_kind:     global_buffer
      - .offset:         88
        .size:           4
        .value_kind:     by_value
      - .offset:         92
        .size:           4
        .value_kind:     by_value
      - .offset:         96
        .size:           4
        .value_kind:     by_value
      - .address_space:  global
        .offset:         104
        .size:           8
        .value_kind:     global_buffer
      - .address_space:  global
        .offset:         112
        .size:           8
        .value_kind:     global_buffer
      - .offset:         120
        .size:           4
        .value_kind:     by_value
      - .offset:         124
        .size:           4
        .value_kind:     by_value
      - .offset:         128
        .size:           4
        .value_kind:     by_value
      - .offset:         132
        .size:           4
        .value_kind:     by_value
      - .offset:         136
        .size:           4
        .value_kind:     by_value
      - .offset:         144
        .size:           4
        .value_kind:     hidden_block_count_x
      - .offset:         148
        .size:           4
        .value_kind:     hidden_block_count_y
      - .offset:         152
        .size:           4
        .value_kind:     hidden_block_count_z
      - .offset:         156
        .size:           2
        .value_kind:     hidden_group_size_x
      - .offset:         158
        .size:           2
        .value_kind:     hidden_group_size_y
      - .offset:         160
        .size:           2
        .value_kind:     hidden_group_size_z
      - .offset:         162
        .size:           2
        .value_kind:     hidden_remainder_x
      - .offset:         164
        .size:           2
        .value_kind:     hidden_remainder_y
      - .offset:         166
        .size:           2
        .value_kind:     hidden_remainder_z
      - .offset:         184
        .size:           8
        .value_kind:     hidden_global_offset_x
      - .offset:         192
        .size:           8
        .value_kind:     hidden_global_offset_y
      - .offset:         200
        .size:           8
        .value_kind:     hidden_global_offset_z
      - .offset:         208
        .size:           2
        .value_kind:     hidden_grid_dims
      - .offset:         264
        .size:           4
        .value_kind:     hidden_dynamic_lds_size
    .group_segment_fixed_size: 272
    .kernarg_segment_align: 8
    .kernarg_segment_size: 400
    .language:       OpenCL C
    .language_version:
      - 2
      - 0
    .max_flat_workgroup_size: 1024
    .name:           _ZN4vllm25paged_attention_v2_kernelIttLi120ELi16ELi128ELNS_18Fp8KVCacheDataTypeE0ELb1ELi512EEEvPfS2_PT_PKS3_PKT0_S9_ifPKiSB_iPKfiiiSD_SD_iiiii
    .private_segment_fixed_size: 0
    .sgpr_count:     48
    .sgpr_spill_count: 0
    .symbol:         _ZN4vllm25paged_attention_v2_kernelIttLi120ELi16ELi128ELNS_18Fp8KVCacheDataTypeE0ELb1ELi512EEEvPfS2_PT_PKS3_PKT0_S9_ifPKiSB_iPKfiiiSD_SD_iiiii.kd
    .uniform_work_group_size: 1
    .uses_dynamic_stack: false
    .vgpr_count:     94
    .vgpr_spill_count: 0
    .wavefront_size: 32
    .workgroup_processor_mode: 1
  - .args:
      - .actual_access:  write_only
        .address_space:  global
        .offset:         0
        .size:           8
        .value_kind:     global_buffer
      - .actual_access:  write_only
        .address_space:  global
        .offset:         8
        .size:           8
        .value_kind:     global_buffer
      - .actual_access:  write_only
        .address_space:  global
        .offset:         16
        .size:           8
        .value_kind:     global_buffer
      - .actual_access:  read_only
        .address_space:  global
        .offset:         24
        .size:           8
        .value_kind:     global_buffer
      - .actual_access:  read_only
        .address_space:  global
        .offset:         32
        .size:           8
        .value_kind:     global_buffer
      - .actual_access:  read_only
        .address_space:  global
        .offset:         40
        .size:           8
        .value_kind:     global_buffer
      - .offset:         48
        .size:           4
        .value_kind:     by_value
      - .offset:         52
        .size:           4
        .value_kind:     by_value
      - .actual_access:  read_only
        .address_space:  global
        .offset:         56
        .size:           8
        .value_kind:     global_buffer
      - .actual_access:  read_only
        .address_space:  global
        .offset:         64
        .size:           8
        .value_kind:     global_buffer
      - .offset:         72
        .size:           4
        .value_kind:     by_value
      - .actual_access:  read_only
        .address_space:  global
        .offset:         80
        .size:           8
        .value_kind:     global_buffer
      - .offset:         88
        .size:           4
        .value_kind:     by_value
      - .offset:         92
        .size:           4
        .value_kind:     by_value
      - .offset:         96
        .size:           4
        .value_kind:     by_value
      - .address_space:  global
        .offset:         104
        .size:           8
        .value_kind:     global_buffer
      - .address_space:  global
        .offset:         112
        .size:           8
        .value_kind:     global_buffer
      - .offset:         120
        .size:           4
        .value_kind:     by_value
      - .offset:         124
        .size:           4
        .value_kind:     by_value
      - .offset:         128
        .size:           4
        .value_kind:     by_value
      - .offset:         132
        .size:           4
        .value_kind:     by_value
      - .offset:         136
        .size:           4
        .value_kind:     by_value
      - .offset:         144
        .size:           4
        .value_kind:     hidden_block_count_x
      - .offset:         148
        .size:           4
        .value_kind:     hidden_block_count_y
      - .offset:         152
        .size:           4
        .value_kind:     hidden_block_count_z
      - .offset:         156
        .size:           2
        .value_kind:     hidden_group_size_x
      - .offset:         158
        .size:           2
        .value_kind:     hidden_group_size_y
      - .offset:         160
        .size:           2
        .value_kind:     hidden_group_size_z
      - .offset:         162
        .size:           2
        .value_kind:     hidden_remainder_x
      - .offset:         164
        .size:           2
        .value_kind:     hidden_remainder_y
      - .offset:         166
        .size:           2
        .value_kind:     hidden_remainder_z
      - .offset:         184
        .size:           8
        .value_kind:     hidden_global_offset_x
      - .offset:         192
        .size:           8
        .value_kind:     hidden_global_offset_y
      - .offset:         200
        .size:           8
        .value_kind:     hidden_global_offset_z
      - .offset:         208
        .size:           2
        .value_kind:     hidden_grid_dims
      - .offset:         264
        .size:           4
        .value_kind:     hidden_dynamic_lds_size
    .group_segment_fixed_size: 288
    .kernarg_segment_align: 8
    .kernarg_segment_size: 400
    .language:       OpenCL C
    .language_version:
      - 2
      - 0
    .max_flat_workgroup_size: 1024
    .name:           _ZN4vllm25paged_attention_v2_kernelIttLi128ELi16ELi128ELNS_18Fp8KVCacheDataTypeE0ELb1ELi512EEEvPfS2_PT_PKS3_PKT0_S9_ifPKiSB_iPKfiiiSD_SD_iiiii
    .private_segment_fixed_size: 0
    .sgpr_count:     48
    .sgpr_spill_count: 0
    .symbol:         _ZN4vllm25paged_attention_v2_kernelIttLi128ELi16ELi128ELNS_18Fp8KVCacheDataTypeE0ELb1ELi512EEEvPfS2_PT_PKS3_PKT0_S9_ifPKiSB_iPKfiiiSD_SD_iiiii.kd
    .uniform_work_group_size: 1
    .uses_dynamic_stack: false
    .vgpr_count:     95
    .vgpr_spill_count: 0
    .wavefront_size: 32
    .workgroup_processor_mode: 1
  - .args:
      - .actual_access:  write_only
        .address_space:  global
        .offset:         0
        .size:           8
        .value_kind:     global_buffer
      - .actual_access:  write_only
        .address_space:  global
        .offset:         8
        .size:           8
        .value_kind:     global_buffer
      - .actual_access:  write_only
        .address_space:  global
        .offset:         16
        .size:           8
        .value_kind:     global_buffer
      - .actual_access:  read_only
        .address_space:  global
        .offset:         24
        .size:           8
        .value_kind:     global_buffer
      - .actual_access:  read_only
        .address_space:  global
        .offset:         32
        .size:           8
        .value_kind:     global_buffer
      - .actual_access:  read_only
        .address_space:  global
        .offset:         40
        .size:           8
        .value_kind:     global_buffer
      - .offset:         48
        .size:           4
        .value_kind:     by_value
      - .offset:         52
        .size:           4
        .value_kind:     by_value
      - .actual_access:  read_only
        .address_space:  global
        .offset:         56
        .size:           8
        .value_kind:     global_buffer
      - .actual_access:  read_only
        .address_space:  global
        .offset:         64
        .size:           8
        .value_kind:     global_buffer
      - .offset:         72
        .size:           4
        .value_kind:     by_value
      - .actual_access:  read_only
        .address_space:  global
        .offset:         80
        .size:           8
        .value_kind:     global_buffer
      - .offset:         88
        .size:           4
        .value_kind:     by_value
      - .offset:         92
        .size:           4
        .value_kind:     by_value
      - .offset:         96
        .size:           4
        .value_kind:     by_value
      - .address_space:  global
        .offset:         104
        .size:           8
        .value_kind:     global_buffer
      - .address_space:  global
        .offset:         112
        .size:           8
        .value_kind:     global_buffer
      - .offset:         120
        .size:           4
        .value_kind:     by_value
      - .offset:         124
        .size:           4
        .value_kind:     by_value
      - .offset:         128
        .size:           4
        .value_kind:     by_value
      - .offset:         132
        .size:           4
        .value_kind:     by_value
      - .offset:         136
        .size:           4
        .value_kind:     by_value
      - .offset:         144
        .size:           4
        .value_kind:     hidden_block_count_x
      - .offset:         148
        .size:           4
        .value_kind:     hidden_block_count_y
      - .offset:         152
        .size:           4
        .value_kind:     hidden_block_count_z
      - .offset:         156
        .size:           2
        .value_kind:     hidden_group_size_x
      - .offset:         158
        .size:           2
        .value_kind:     hidden_group_size_y
      - .offset:         160
        .size:           2
        .value_kind:     hidden_group_size_z
      - .offset:         162
        .size:           2
        .value_kind:     hidden_remainder_x
      - .offset:         164
        .size:           2
        .value_kind:     hidden_remainder_y
      - .offset:         166
        .size:           2
        .value_kind:     hidden_remainder_z
      - .offset:         184
        .size:           8
        .value_kind:     hidden_global_offset_x
      - .offset:         192
        .size:           8
        .value_kind:     hidden_global_offset_y
      - .offset:         200
        .size:           8
        .value_kind:     hidden_global_offset_z
      - .offset:         208
        .size:           2
        .value_kind:     hidden_grid_dims
      - .offset:         264
        .size:           4
        .value_kind:     hidden_dynamic_lds_size
    .group_segment_fixed_size: 416
    .kernarg_segment_align: 8
    .kernarg_segment_size: 400
    .language:       OpenCL C
    .language_version:
      - 2
      - 0
    .max_flat_workgroup_size: 1024
    .name:           _ZN4vllm25paged_attention_v2_kernelIttLi192ELi16ELi128ELNS_18Fp8KVCacheDataTypeE0ELb1ELi512EEEvPfS2_PT_PKS3_PKT0_S9_ifPKiSB_iPKfiiiSD_SD_iiiii
    .private_segment_fixed_size: 0
    .sgpr_count:     48
    .sgpr_spill_count: 0
    .symbol:         _ZN4vllm25paged_attention_v2_kernelIttLi192ELi16ELi128ELNS_18Fp8KVCacheDataTypeE0ELb1ELi512EEEvPfS2_PT_PKS3_PKT0_S9_ifPKiSB_iPKfiiiSD_SD_iiiii.kd
    .uniform_work_group_size: 1
    .uses_dynamic_stack: false
    .vgpr_count:     110
    .vgpr_spill_count: 0
    .wavefront_size: 32
    .workgroup_processor_mode: 1
  - .args:
      - .actual_access:  write_only
        .address_space:  global
        .offset:         0
        .size:           8
        .value_kind:     global_buffer
      - .actual_access:  write_only
        .address_space:  global
        .offset:         8
        .size:           8
        .value_kind:     global_buffer
      - .actual_access:  write_only
        .address_space:  global
        .offset:         16
        .size:           8
        .value_kind:     global_buffer
      - .actual_access:  read_only
        .address_space:  global
        .offset:         24
        .size:           8
        .value_kind:     global_buffer
      - .actual_access:  read_only
        .address_space:  global
        .offset:         32
        .size:           8
        .value_kind:     global_buffer
      - .actual_access:  read_only
        .address_space:  global
        .offset:         40
        .size:           8
        .value_kind:     global_buffer
      - .offset:         48
        .size:           4
        .value_kind:     by_value
      - .offset:         52
        .size:           4
        .value_kind:     by_value
      - .actual_access:  read_only
        .address_space:  global
        .offset:         56
        .size:           8
        .value_kind:     global_buffer
      - .actual_access:  read_only
        .address_space:  global
        .offset:         64
        .size:           8
        .value_kind:     global_buffer
      - .offset:         72
        .size:           4
        .value_kind:     by_value
      - .actual_access:  read_only
        .address_space:  global
        .offset:         80
        .size:           8
        .value_kind:     global_buffer
      - .offset:         88
        .size:           4
        .value_kind:     by_value
      - .offset:         92
        .size:           4
        .value_kind:     by_value
      - .offset:         96
        .size:           4
        .value_kind:     by_value
      - .address_space:  global
        .offset:         104
        .size:           8
        .value_kind:     global_buffer
      - .address_space:  global
        .offset:         112
        .size:           8
        .value_kind:     global_buffer
      - .offset:         120
        .size:           4
        .value_kind:     by_value
      - .offset:         124
        .size:           4
        .value_kind:     by_value
      - .offset:         128
        .size:           4
        .value_kind:     by_value
      - .offset:         132
        .size:           4
        .value_kind:     by_value
      - .offset:         136
        .size:           4
        .value_kind:     by_value
      - .offset:         144
        .size:           4
        .value_kind:     hidden_block_count_x
      - .offset:         148
        .size:           4
        .value_kind:     hidden_block_count_y
      - .offset:         152
        .size:           4
        .value_kind:     hidden_block_count_z
      - .offset:         156
        .size:           2
        .value_kind:     hidden_group_size_x
      - .offset:         158
        .size:           2
        .value_kind:     hidden_group_size_y
      - .offset:         160
        .size:           2
        .value_kind:     hidden_group_size_z
      - .offset:         162
        .size:           2
        .value_kind:     hidden_remainder_x
      - .offset:         164
        .size:           2
        .value_kind:     hidden_remainder_y
      - .offset:         166
        .size:           2
        .value_kind:     hidden_remainder_z
      - .offset:         184
        .size:           8
        .value_kind:     hidden_global_offset_x
      - .offset:         192
        .size:           8
        .value_kind:     hidden_global_offset_y
      - .offset:         200
        .size:           8
        .value_kind:     hidden_global_offset_z
      - .offset:         208
        .size:           2
        .value_kind:     hidden_grid_dims
      - .offset:         264
        .size:           4
        .value_kind:     hidden_dynamic_lds_size
    .group_segment_fixed_size: 544
    .kernarg_segment_align: 8
    .kernarg_segment_size: 400
    .language:       OpenCL C
    .language_version:
      - 2
      - 0
    .max_flat_workgroup_size: 1024
    .name:           _ZN4vllm25paged_attention_v2_kernelIttLi256ELi16ELi128ELNS_18Fp8KVCacheDataTypeE0ELb1ELi512EEEvPfS2_PT_PKS3_PKT0_S9_ifPKiSB_iPKfiiiSD_SD_iiiii
    .private_segment_fixed_size: 0
    .sgpr_count:     48
    .sgpr_spill_count: 0
    .symbol:         _ZN4vllm25paged_attention_v2_kernelIttLi256ELi16ELi128ELNS_18Fp8KVCacheDataTypeE0ELb1ELi512EEEvPfS2_PT_PKS3_PKT0_S9_ifPKiSB_iPKfiiiSD_SD_iiiii.kd
    .uniform_work_group_size: 1
    .uses_dynamic_stack: false
    .vgpr_count:     128
    .vgpr_spill_count: 0
    .wavefront_size: 32
    .workgroup_processor_mode: 1
  - .args:
      - .actual_access:  write_only
        .address_space:  global
        .offset:         0
        .size:           8
        .value_kind:     global_buffer
      - .actual_access:  write_only
        .address_space:  global
        .offset:         8
        .size:           8
        .value_kind:     global_buffer
      - .actual_access:  write_only
        .address_space:  global
        .offset:         16
        .size:           8
        .value_kind:     global_buffer
      - .actual_access:  read_only
        .address_space:  global
        .offset:         24
        .size:           8
        .value_kind:     global_buffer
      - .actual_access:  read_only
        .address_space:  global
        .offset:         32
        .size:           8
        .value_kind:     global_buffer
      - .actual_access:  read_only
        .address_space:  global
        .offset:         40
        .size:           8
        .value_kind:     global_buffer
      - .offset:         48
        .size:           4
        .value_kind:     by_value
      - .offset:         52
        .size:           4
        .value_kind:     by_value
      - .actual_access:  read_only
        .address_space:  global
        .offset:         56
        .size:           8
        .value_kind:     global_buffer
      - .actual_access:  read_only
        .address_space:  global
        .offset:         64
        .size:           8
        .value_kind:     global_buffer
      - .offset:         72
        .size:           4
        .value_kind:     by_value
      - .actual_access:  read_only
        .address_space:  global
        .offset:         80
        .size:           8
        .value_kind:     global_buffer
      - .offset:         88
        .size:           4
        .value_kind:     by_value
      - .offset:         92
        .size:           4
        .value_kind:     by_value
      - .offset:         96
        .size:           4
        .value_kind:     by_value
      - .address_space:  global
        .offset:         104
        .size:           8
        .value_kind:     global_buffer
      - .address_space:  global
        .offset:         112
        .size:           8
        .value_kind:     global_buffer
      - .offset:         120
        .size:           4
        .value_kind:     by_value
      - .offset:         124
        .size:           4
        .value_kind:     by_value
      - .offset:         128
        .size:           4
        .value_kind:     by_value
      - .offset:         132
        .size:           4
        .value_kind:     by_value
      - .offset:         136
        .size:           4
        .value_kind:     by_value
      - .offset:         144
        .size:           4
        .value_kind:     hidden_block_count_x
      - .offset:         148
        .size:           4
        .value_kind:     hidden_block_count_y
      - .offset:         152
        .size:           4
        .value_kind:     hidden_block_count_z
      - .offset:         156
        .size:           2
        .value_kind:     hidden_group_size_x
      - .offset:         158
        .size:           2
        .value_kind:     hidden_group_size_y
      - .offset:         160
        .size:           2
        .value_kind:     hidden_group_size_z
      - .offset:         162
        .size:           2
        .value_kind:     hidden_remainder_x
      - .offset:         164
        .size:           2
        .value_kind:     hidden_remainder_y
      - .offset:         166
        .size:           2
        .value_kind:     hidden_remainder_z
      - .offset:         184
        .size:           8
        .value_kind:     hidden_global_offset_x
      - .offset:         192
        .size:           8
        .value_kind:     hidden_global_offset_y
      - .offset:         200
        .size:           8
        .value_kind:     hidden_global_offset_z
      - .offset:         208
        .size:           2
        .value_kind:     hidden_grid_dims
      - .offset:         264
        .size:           4
        .value_kind:     hidden_dynamic_lds_size
    .group_segment_fixed_size: 96
    .kernarg_segment_align: 8
    .kernarg_segment_size: 400
    .language:       OpenCL C
    .language_version:
      - 2
      - 0
    .max_flat_workgroup_size: 1024
    .name:           _ZN4vllm25paged_attention_v2_kernelIttLi32ELi16ELi128ELNS_18Fp8KVCacheDataTypeE0ELb0ELi512EEEvPfS2_PT_PKS3_PKT0_S9_ifPKiSB_iPKfiiiSD_SD_iiiii
    .private_segment_fixed_size: 0
    .sgpr_count:     38
    .sgpr_spill_count: 0
    .symbol:         _ZN4vllm25paged_attention_v2_kernelIttLi32ELi16ELi128ELNS_18Fp8KVCacheDataTypeE0ELb0ELi512EEEvPfS2_PT_PKS3_PKT0_S9_ifPKiSB_iPKfiiiSD_SD_iiiii.kd
    .uniform_work_group_size: 1
    .uses_dynamic_stack: false
    .vgpr_count:     50
    .vgpr_spill_count: 0
    .wavefront_size: 32
    .workgroup_processor_mode: 1
  - .args:
      - .actual_access:  write_only
        .address_space:  global
        .offset:         0
        .size:           8
        .value_kind:     global_buffer
      - .actual_access:  write_only
        .address_space:  global
        .offset:         8
        .size:           8
        .value_kind:     global_buffer
      - .actual_access:  write_only
        .address_space:  global
        .offset:         16
        .size:           8
        .value_kind:     global_buffer
      - .actual_access:  read_only
        .address_space:  global
        .offset:         24
        .size:           8
        .value_kind:     global_buffer
      - .actual_access:  read_only
        .address_space:  global
        .offset:         32
        .size:           8
        .value_kind:     global_buffer
      - .actual_access:  read_only
        .address_space:  global
        .offset:         40
        .size:           8
        .value_kind:     global_buffer
      - .offset:         48
        .size:           4
        .value_kind:     by_value
      - .offset:         52
        .size:           4
        .value_kind:     by_value
      - .actual_access:  read_only
        .address_space:  global
        .offset:         56
        .size:           8
        .value_kind:     global_buffer
      - .actual_access:  read_only
        .address_space:  global
        .offset:         64
        .size:           8
        .value_kind:     global_buffer
      - .offset:         72
        .size:           4
        .value_kind:     by_value
      - .actual_access:  read_only
        .address_space:  global
        .offset:         80
        .size:           8
        .value_kind:     global_buffer
      - .offset:         88
        .size:           4
        .value_kind:     by_value
      - .offset:         92
        .size:           4
        .value_kind:     by_value
      - .offset:         96
        .size:           4
        .value_kind:     by_value
      - .address_space:  global
        .offset:         104
        .size:           8
        .value_kind:     global_buffer
      - .address_space:  global
        .offset:         112
        .size:           8
        .value_kind:     global_buffer
      - .offset:         120
        .size:           4
        .value_kind:     by_value
      - .offset:         124
        .size:           4
        .value_kind:     by_value
      - .offset:         128
        .size:           4
        .value_kind:     by_value
      - .offset:         132
        .size:           4
        .value_kind:     by_value
      - .offset:         136
        .size:           4
        .value_kind:     by_value
      - .offset:         144
        .size:           4
        .value_kind:     hidden_block_count_x
      - .offset:         148
        .size:           4
        .value_kind:     hidden_block_count_y
      - .offset:         152
        .size:           4
        .value_kind:     hidden_block_count_z
      - .offset:         156
        .size:           2
        .value_kind:     hidden_group_size_x
      - .offset:         158
        .size:           2
        .value_kind:     hidden_group_size_y
      - .offset:         160
        .size:           2
        .value_kind:     hidden_group_size_z
      - .offset:         162
        .size:           2
        .value_kind:     hidden_remainder_x
      - .offset:         164
        .size:           2
        .value_kind:     hidden_remainder_y
      - .offset:         166
        .size:           2
        .value_kind:     hidden_remainder_z
      - .offset:         184
        .size:           8
        .value_kind:     hidden_global_offset_x
      - .offset:         192
        .size:           8
        .value_kind:     hidden_global_offset_y
      - .offset:         200
        .size:           8
        .value_kind:     hidden_global_offset_z
      - .offset:         208
        .size:           2
        .value_kind:     hidden_grid_dims
      - .offset:         264
        .size:           4
        .value_kind:     hidden_dynamic_lds_size
    .group_segment_fixed_size: 160
    .kernarg_segment_align: 8
    .kernarg_segment_size: 400
    .language:       OpenCL C
    .language_version:
      - 2
      - 0
    .max_flat_workgroup_size: 1024
    .name:           _ZN4vllm25paged_attention_v2_kernelIttLi64ELi16ELi128ELNS_18Fp8KVCacheDataTypeE0ELb0ELi512EEEvPfS2_PT_PKS3_PKT0_S9_ifPKiSB_iPKfiiiSD_SD_iiiii
    .private_segment_fixed_size: 0
    .sgpr_count:     38
    .sgpr_spill_count: 0
    .symbol:         _ZN4vllm25paged_attention_v2_kernelIttLi64ELi16ELi128ELNS_18Fp8KVCacheDataTypeE0ELb0ELi512EEEvPfS2_PT_PKS3_PKT0_S9_ifPKiSB_iPKfiiiSD_SD_iiiii.kd
    .uniform_work_group_size: 1
    .uses_dynamic_stack: false
    .vgpr_count:     76
    .vgpr_spill_count: 0
    .wavefront_size: 32
    .workgroup_processor_mode: 1
  - .args:
      - .actual_access:  write_only
        .address_space:  global
        .offset:         0
        .size:           8
        .value_kind:     global_buffer
      - .actual_access:  write_only
        .address_space:  global
        .offset:         8
        .size:           8
        .value_kind:     global_buffer
      - .actual_access:  write_only
        .address_space:  global
        .offset:         16
        .size:           8
        .value_kind:     global_buffer
      - .actual_access:  read_only
        .address_space:  global
        .offset:         24
        .size:           8
        .value_kind:     global_buffer
      - .actual_access:  read_only
        .address_space:  global
        .offset:         32
        .size:           8
        .value_kind:     global_buffer
      - .actual_access:  read_only
        .address_space:  global
        .offset:         40
        .size:           8
        .value_kind:     global_buffer
      - .offset:         48
        .size:           4
        .value_kind:     by_value
      - .offset:         52
        .size:           4
        .value_kind:     by_value
      - .actual_access:  read_only
        .address_space:  global
        .offset:         56
        .size:           8
        .value_kind:     global_buffer
      - .actual_access:  read_only
        .address_space:  global
        .offset:         64
        .size:           8
        .value_kind:     global_buffer
      - .offset:         72
        .size:           4
        .value_kind:     by_value
      - .actual_access:  read_only
        .address_space:  global
        .offset:         80
        .size:           8
        .value_kind:     global_buffer
      - .offset:         88
        .size:           4
        .value_kind:     by_value
      - .offset:         92
        .size:           4
        .value_kind:     by_value
      - .offset:         96
        .size:           4
        .value_kind:     by_value
      - .address_space:  global
        .offset:         104
        .size:           8
        .value_kind:     global_buffer
      - .address_space:  global
        .offset:         112
        .size:           8
        .value_kind:     global_buffer
      - .offset:         120
        .size:           4
        .value_kind:     by_value
      - .offset:         124
        .size:           4
        .value_kind:     by_value
      - .offset:         128
        .size:           4
        .value_kind:     by_value
      - .offset:         132
        .size:           4
        .value_kind:     by_value
      - .offset:         136
        .size:           4
        .value_kind:     by_value
      - .offset:         144
        .size:           4
        .value_kind:     hidden_block_count_x
      - .offset:         148
        .size:           4
        .value_kind:     hidden_block_count_y
      - .offset:         152
        .size:           4
        .value_kind:     hidden_block_count_z
      - .offset:         156
        .size:           2
        .value_kind:     hidden_group_size_x
      - .offset:         158
        .size:           2
        .value_kind:     hidden_group_size_y
      - .offset:         160
        .size:           2
        .value_kind:     hidden_group_size_z
      - .offset:         162
        .size:           2
        .value_kind:     hidden_remainder_x
      - .offset:         164
        .size:           2
        .value_kind:     hidden_remainder_y
      - .offset:         166
        .size:           2
        .value_kind:     hidden_remainder_z
      - .offset:         184
        .size:           8
        .value_kind:     hidden_global_offset_x
      - .offset:         192
        .size:           8
        .value_kind:     hidden_global_offset_y
      - .offset:         200
        .size:           8
        .value_kind:     hidden_global_offset_z
      - .offset:         208
        .size:           2
        .value_kind:     hidden_grid_dims
      - .offset:         264
        .size:           4
        .value_kind:     hidden_dynamic_lds_size
    .group_segment_fixed_size: 192
    .kernarg_segment_align: 8
    .kernarg_segment_size: 400
    .language:       OpenCL C
    .language_version:
      - 2
      - 0
    .max_flat_workgroup_size: 1024
    .name:           _ZN4vllm25paged_attention_v2_kernelIttLi80ELi16ELi128ELNS_18Fp8KVCacheDataTypeE0ELb0ELi512EEEvPfS2_PT_PKS3_PKT0_S9_ifPKiSB_iPKfiiiSD_SD_iiiii
    .private_segment_fixed_size: 0
    .sgpr_count:     38
    .sgpr_spill_count: 0
    .symbol:         _ZN4vllm25paged_attention_v2_kernelIttLi80ELi16ELi128ELNS_18Fp8KVCacheDataTypeE0ELb0ELi512EEEvPfS2_PT_PKS3_PKT0_S9_ifPKiSB_iPKfiiiSD_SD_iiiii.kd
    .uniform_work_group_size: 1
    .uses_dynamic_stack: false
    .vgpr_count:     88
    .vgpr_spill_count: 0
    .wavefront_size: 32
    .workgroup_processor_mode: 1
  - .args:
      - .actual_access:  write_only
        .address_space:  global
        .offset:         0
        .size:           8
        .value_kind:     global_buffer
      - .actual_access:  write_only
        .address_space:  global
        .offset:         8
        .size:           8
        .value_kind:     global_buffer
      - .actual_access:  write_only
        .address_space:  global
        .offset:         16
        .size:           8
        .value_kind:     global_buffer
      - .actual_access:  read_only
        .address_space:  global
        .offset:         24
        .size:           8
        .value_kind:     global_buffer
      - .actual_access:  read_only
        .address_space:  global
        .offset:         32
        .size:           8
        .value_kind:     global_buffer
      - .actual_access:  read_only
        .address_space:  global
        .offset:         40
        .size:           8
        .value_kind:     global_buffer
      - .offset:         48
        .size:           4
        .value_kind:     by_value
      - .offset:         52
        .size:           4
        .value_kind:     by_value
      - .actual_access:  read_only
        .address_space:  global
        .offset:         56
        .size:           8
        .value_kind:     global_buffer
      - .actual_access:  read_only
        .address_space:  global
        .offset:         64
        .size:           8
        .value_kind:     global_buffer
      - .offset:         72
        .size:           4
        .value_kind:     by_value
      - .actual_access:  read_only
        .address_space:  global
        .offset:         80
        .size:           8
        .value_kind:     global_buffer
      - .offset:         88
        .size:           4
        .value_kind:     by_value
      - .offset:         92
        .size:           4
        .value_kind:     by_value
      - .offset:         96
        .size:           4
        .value_kind:     by_value
      - .address_space:  global
        .offset:         104
        .size:           8
        .value_kind:     global_buffer
      - .address_space:  global
        .offset:         112
        .size:           8
        .value_kind:     global_buffer
      - .offset:         120
        .size:           4
        .value_kind:     by_value
      - .offset:         124
        .size:           4
        .value_kind:     by_value
      - .offset:         128
        .size:           4
        .value_kind:     by_value
      - .offset:         132
        .size:           4
        .value_kind:     by_value
      - .offset:         136
        .size:           4
        .value_kind:     by_value
      - .offset:         144
        .size:           4
        .value_kind:     hidden_block_count_x
      - .offset:         148
        .size:           4
        .value_kind:     hidden_block_count_y
      - .offset:         152
        .size:           4
        .value_kind:     hidden_block_count_z
      - .offset:         156
        .size:           2
        .value_kind:     hidden_group_size_x
      - .offset:         158
        .size:           2
        .value_kind:     hidden_group_size_y
      - .offset:         160
        .size:           2
        .value_kind:     hidden_group_size_z
      - .offset:         162
        .size:           2
        .value_kind:     hidden_remainder_x
      - .offset:         164
        .size:           2
        .value_kind:     hidden_remainder_y
      - .offset:         166
        .size:           2
        .value_kind:     hidden_remainder_z
      - .offset:         184
        .size:           8
        .value_kind:     hidden_global_offset_x
      - .offset:         192
        .size:           8
        .value_kind:     hidden_global_offset_y
      - .offset:         200
        .size:           8
        .value_kind:     hidden_global_offset_z
      - .offset:         208
        .size:           2
        .value_kind:     hidden_grid_dims
      - .offset:         264
        .size:           4
        .value_kind:     hidden_dynamic_lds_size
    .group_segment_fixed_size: 224
    .kernarg_segment_align: 8
    .kernarg_segment_size: 400
    .language:       OpenCL C
    .language_version:
      - 2
      - 0
    .max_flat_workgroup_size: 1024
    .name:           _ZN4vllm25paged_attention_v2_kernelIttLi96ELi16ELi128ELNS_18Fp8KVCacheDataTypeE0ELb0ELi512EEEvPfS2_PT_PKS3_PKT0_S9_ifPKiSB_iPKfiiiSD_SD_iiiii
    .private_segment_fixed_size: 0
    .sgpr_count:     38
    .sgpr_spill_count: 0
    .symbol:         _ZN4vllm25paged_attention_v2_kernelIttLi96ELi16ELi128ELNS_18Fp8KVCacheDataTypeE0ELb0ELi512EEEvPfS2_PT_PKS3_PKT0_S9_ifPKiSB_iPKfiiiSD_SD_iiiii.kd
    .uniform_work_group_size: 1
    .uses_dynamic_stack: false
    .vgpr_count:     91
    .vgpr_spill_count: 0
    .wavefront_size: 32
    .workgroup_processor_mode: 1
  - .args:
      - .actual_access:  write_only
        .address_space:  global
        .offset:         0
        .size:           8
        .value_kind:     global_buffer
      - .actual_access:  write_only
        .address_space:  global
        .offset:         8
        .size:           8
        .value_kind:     global_buffer
      - .actual_access:  write_only
        .address_space:  global
        .offset:         16
        .size:           8
        .value_kind:     global_buffer
      - .actual_access:  read_only
        .address_space:  global
        .offset:         24
        .size:           8
        .value_kind:     global_buffer
      - .actual_access:  read_only
        .address_space:  global
        .offset:         32
        .size:           8
        .value_kind:     global_buffer
      - .actual_access:  read_only
        .address_space:  global
        .offset:         40
        .size:           8
        .value_kind:     global_buffer
      - .offset:         48
        .size:           4
        .value_kind:     by_value
      - .offset:         52
        .size:           4
        .value_kind:     by_value
      - .actual_access:  read_only
        .address_space:  global
        .offset:         56
        .size:           8
        .value_kind:     global_buffer
      - .actual_access:  read_only
        .address_space:  global
        .offset:         64
        .size:           8
        .value_kind:     global_buffer
      - .offset:         72
        .size:           4
        .value_kind:     by_value
      - .actual_access:  read_only
        .address_space:  global
        .offset:         80
        .size:           8
        .value_kind:     global_buffer
      - .offset:         88
        .size:           4
        .value_kind:     by_value
      - .offset:         92
        .size:           4
        .value_kind:     by_value
      - .offset:         96
        .size:           4
        .value_kind:     by_value
      - .address_space:  global
        .offset:         104
        .size:           8
        .value_kind:     global_buffer
      - .address_space:  global
        .offset:         112
        .size:           8
        .value_kind:     global_buffer
      - .offset:         120
        .size:           4
        .value_kind:     by_value
      - .offset:         124
        .size:           4
        .value_kind:     by_value
      - .offset:         128
        .size:           4
        .value_kind:     by_value
      - .offset:         132
        .size:           4
        .value_kind:     by_value
      - .offset:         136
        .size:           4
        .value_kind:     by_value
      - .offset:         144
        .size:           4
        .value_kind:     hidden_block_count_x
      - .offset:         148
        .size:           4
        .value_kind:     hidden_block_count_y
      - .offset:         152
        .size:           4
        .value_kind:     hidden_block_count_z
      - .offset:         156
        .size:           2
        .value_kind:     hidden_group_size_x
      - .offset:         158
        .size:           2
        .value_kind:     hidden_group_size_y
      - .offset:         160
        .size:           2
        .value_kind:     hidden_group_size_z
      - .offset:         162
        .size:           2
        .value_kind:     hidden_remainder_x
      - .offset:         164
        .size:           2
        .value_kind:     hidden_remainder_y
      - .offset:         166
        .size:           2
        .value_kind:     hidden_remainder_z
      - .offset:         184
        .size:           8
        .value_kind:     hidden_global_offset_x
      - .offset:         192
        .size:           8
        .value_kind:     hidden_global_offset_y
      - .offset:         200
        .size:           8
        .value_kind:     hidden_global_offset_z
      - .offset:         208
        .size:           2
        .value_kind:     hidden_grid_dims
      - .offset:         264
        .size:           4
        .value_kind:     hidden_dynamic_lds_size
    .group_segment_fixed_size: 256
    .kernarg_segment_align: 8
    .kernarg_segment_size: 400
    .language:       OpenCL C
    .language_version:
      - 2
      - 0
    .max_flat_workgroup_size: 1024
    .name:           _ZN4vllm25paged_attention_v2_kernelIttLi112ELi16ELi128ELNS_18Fp8KVCacheDataTypeE0ELb0ELi512EEEvPfS2_PT_PKS3_PKT0_S9_ifPKiSB_iPKfiiiSD_SD_iiiii
    .private_segment_fixed_size: 0
    .sgpr_count:     38
    .sgpr_spill_count: 0
    .symbol:         _ZN4vllm25paged_attention_v2_kernelIttLi112ELi16ELi128ELNS_18Fp8KVCacheDataTypeE0ELb0ELi512EEEvPfS2_PT_PKS3_PKT0_S9_ifPKiSB_iPKfiiiSD_SD_iiiii.kd
    .uniform_work_group_size: 1
    .uses_dynamic_stack: false
    .vgpr_count:     92
    .vgpr_spill_count: 0
    .wavefront_size: 32
    .workgroup_processor_mode: 1
  - .args:
      - .actual_access:  write_only
        .address_space:  global
        .offset:         0
        .size:           8
        .value_kind:     global_buffer
      - .actual_access:  write_only
        .address_space:  global
        .offset:         8
        .size:           8
        .value_kind:     global_buffer
      - .actual_access:  write_only
        .address_space:  global
        .offset:         16
        .size:           8
        .value_kind:     global_buffer
      - .actual_access:  read_only
        .address_space:  global
        .offset:         24
        .size:           8
        .value_kind:     global_buffer
      - .actual_access:  read_only
        .address_space:  global
        .offset:         32
        .size:           8
        .value_kind:     global_buffer
      - .actual_access:  read_only
        .address_space:  global
        .offset:         40
        .size:           8
        .value_kind:     global_buffer
      - .offset:         48
        .size:           4
        .value_kind:     by_value
      - .offset:         52
        .size:           4
        .value_kind:     by_value
      - .actual_access:  read_only
        .address_space:  global
        .offset:         56
        .size:           8
        .value_kind:     global_buffer
      - .actual_access:  read_only
        .address_space:  global
        .offset:         64
        .size:           8
        .value_kind:     global_buffer
      - .offset:         72
        .size:           4
        .value_kind:     by_value
      - .actual_access:  read_only
        .address_space:  global
        .offset:         80
        .size:           8
        .value_kind:     global_buffer
      - .offset:         88
        .size:           4
        .value_kind:     by_value
      - .offset:         92
        .size:           4
        .value_kind:     by_value
      - .offset:         96
        .size:           4
        .value_kind:     by_value
      - .address_space:  global
        .offset:         104
        .size:           8
        .value_kind:     global_buffer
      - .address_space:  global
        .offset:         112
        .size:           8
        .value_kind:     global_buffer
      - .offset:         120
        .size:           4
        .value_kind:     by_value
      - .offset:         124
        .size:           4
        .value_kind:     by_value
      - .offset:         128
        .size:           4
        .value_kind:     by_value
      - .offset:         132
        .size:           4
        .value_kind:     by_value
      - .offset:         136
        .size:           4
        .value_kind:     by_value
      - .offset:         144
        .size:           4
        .value_kind:     hidden_block_count_x
      - .offset:         148
        .size:           4
        .value_kind:     hidden_block_count_y
      - .offset:         152
        .size:           4
        .value_kind:     hidden_block_count_z
      - .offset:         156
        .size:           2
        .value_kind:     hidden_group_size_x
      - .offset:         158
        .size:           2
        .value_kind:     hidden_group_size_y
      - .offset:         160
        .size:           2
        .value_kind:     hidden_group_size_z
      - .offset:         162
        .size:           2
        .value_kind:     hidden_remainder_x
      - .offset:         164
        .size:           2
        .value_kind:     hidden_remainder_y
      - .offset:         166
        .size:           2
        .value_kind:     hidden_remainder_z
      - .offset:         184
        .size:           8
        .value_kind:     hidden_global_offset_x
      - .offset:         192
        .size:           8
        .value_kind:     hidden_global_offset_y
      - .offset:         200
        .size:           8
        .value_kind:     hidden_global_offset_z
      - .offset:         208
        .size:           2
        .value_kind:     hidden_grid_dims
      - .offset:         264
        .size:           4
        .value_kind:     hidden_dynamic_lds_size
    .group_segment_fixed_size: 272
    .kernarg_segment_align: 8
    .kernarg_segment_size: 400
    .language:       OpenCL C
    .language_version:
      - 2
      - 0
    .max_flat_workgroup_size: 1024
    .name:           _ZN4vllm25paged_attention_v2_kernelIttLi120ELi16ELi128ELNS_18Fp8KVCacheDataTypeE0ELb0ELi512EEEvPfS2_PT_PKS3_PKT0_S9_ifPKiSB_iPKfiiiSD_SD_iiiii
    .private_segment_fixed_size: 0
    .sgpr_count:     38
    .sgpr_spill_count: 0
    .symbol:         _ZN4vllm25paged_attention_v2_kernelIttLi120ELi16ELi128ELNS_18Fp8KVCacheDataTypeE0ELb0ELi512EEEvPfS2_PT_PKS3_PKT0_S9_ifPKiSB_iPKfiiiSD_SD_iiiii.kd
    .uniform_work_group_size: 1
    .uses_dynamic_stack: false
    .vgpr_count:     91
    .vgpr_spill_count: 0
    .wavefront_size: 32
    .workgroup_processor_mode: 1
  - .args:
      - .actual_access:  write_only
        .address_space:  global
        .offset:         0
        .size:           8
        .value_kind:     global_buffer
      - .actual_access:  write_only
        .address_space:  global
        .offset:         8
        .size:           8
        .value_kind:     global_buffer
      - .actual_access:  write_only
        .address_space:  global
        .offset:         16
        .size:           8
        .value_kind:     global_buffer
      - .actual_access:  read_only
        .address_space:  global
        .offset:         24
        .size:           8
        .value_kind:     global_buffer
      - .actual_access:  read_only
        .address_space:  global
        .offset:         32
        .size:           8
        .value_kind:     global_buffer
      - .actual_access:  read_only
        .address_space:  global
        .offset:         40
        .size:           8
        .value_kind:     global_buffer
      - .offset:         48
        .size:           4
        .value_kind:     by_value
      - .offset:         52
        .size:           4
        .value_kind:     by_value
      - .actual_access:  read_only
        .address_space:  global
        .offset:         56
        .size:           8
        .value_kind:     global_buffer
      - .actual_access:  read_only
        .address_space:  global
        .offset:         64
        .size:           8
        .value_kind:     global_buffer
      - .offset:         72
        .size:           4
        .value_kind:     by_value
      - .actual_access:  read_only
        .address_space:  global
        .offset:         80
        .size:           8
        .value_kind:     global_buffer
      - .offset:         88
        .size:           4
        .value_kind:     by_value
      - .offset:         92
        .size:           4
        .value_kind:     by_value
      - .offset:         96
        .size:           4
        .value_kind:     by_value
      - .address_space:  global
        .offset:         104
        .size:           8
        .value_kind:     global_buffer
      - .address_space:  global
        .offset:         112
        .size:           8
        .value_kind:     global_buffer
      - .offset:         120
        .size:           4
        .value_kind:     by_value
      - .offset:         124
        .size:           4
        .value_kind:     by_value
      - .offset:         128
        .size:           4
        .value_kind:     by_value
      - .offset:         132
        .size:           4
        .value_kind:     by_value
      - .offset:         136
        .size:           4
        .value_kind:     by_value
      - .offset:         144
        .size:           4
        .value_kind:     hidden_block_count_x
      - .offset:         148
        .size:           4
        .value_kind:     hidden_block_count_y
      - .offset:         152
        .size:           4
        .value_kind:     hidden_block_count_z
      - .offset:         156
        .size:           2
        .value_kind:     hidden_group_size_x
      - .offset:         158
        .size:           2
        .value_kind:     hidden_group_size_y
      - .offset:         160
        .size:           2
        .value_kind:     hidden_group_size_z
      - .offset:         162
        .size:           2
        .value_kind:     hidden_remainder_x
      - .offset:         164
        .size:           2
        .value_kind:     hidden_remainder_y
      - .offset:         166
        .size:           2
        .value_kind:     hidden_remainder_z
      - .offset:         184
        .size:           8
        .value_kind:     hidden_global_offset_x
      - .offset:         192
        .size:           8
        .value_kind:     hidden_global_offset_y
      - .offset:         200
        .size:           8
        .value_kind:     hidden_global_offset_z
      - .offset:         208
        .size:           2
        .value_kind:     hidden_grid_dims
      - .offset:         264
        .size:           4
        .value_kind:     hidden_dynamic_lds_size
    .group_segment_fixed_size: 288
    .kernarg_segment_align: 8
    .kernarg_segment_size: 400
    .language:       OpenCL C
    .language_version:
      - 2
      - 0
    .max_flat_workgroup_size: 1024
    .name:           _ZN4vllm25paged_attention_v2_kernelIttLi128ELi16ELi128ELNS_18Fp8KVCacheDataTypeE0ELb0ELi512EEEvPfS2_PT_PKS3_PKT0_S9_ifPKiSB_iPKfiiiSD_SD_iiiii
    .private_segment_fixed_size: 0
    .sgpr_count:     40
    .sgpr_spill_count: 0
    .symbol:         _ZN4vllm25paged_attention_v2_kernelIttLi128ELi16ELi128ELNS_18Fp8KVCacheDataTypeE0ELb0ELi512EEEvPfS2_PT_PKS3_PKT0_S9_ifPKiSB_iPKfiiiSD_SD_iiiii.kd
    .uniform_work_group_size: 1
    .uses_dynamic_stack: false
    .vgpr_count:     92
    .vgpr_spill_count: 0
    .wavefront_size: 32
    .workgroup_processor_mode: 1
  - .args:
      - .actual_access:  write_only
        .address_space:  global
        .offset:         0
        .size:           8
        .value_kind:     global_buffer
      - .actual_access:  write_only
        .address_space:  global
        .offset:         8
        .size:           8
        .value_kind:     global_buffer
      - .actual_access:  write_only
        .address_space:  global
        .offset:         16
        .size:           8
        .value_kind:     global_buffer
      - .actual_access:  read_only
        .address_space:  global
        .offset:         24
        .size:           8
        .value_kind:     global_buffer
      - .actual_access:  read_only
        .address_space:  global
        .offset:         32
        .size:           8
        .value_kind:     global_buffer
      - .actual_access:  read_only
        .address_space:  global
        .offset:         40
        .size:           8
        .value_kind:     global_buffer
      - .offset:         48
        .size:           4
        .value_kind:     by_value
      - .offset:         52
        .size:           4
        .value_kind:     by_value
      - .actual_access:  read_only
        .address_space:  global
        .offset:         56
        .size:           8
        .value_kind:     global_buffer
      - .actual_access:  read_only
        .address_space:  global
        .offset:         64
        .size:           8
        .value_kind:     global_buffer
      - .offset:         72
        .size:           4
        .value_kind:     by_value
      - .actual_access:  read_only
        .address_space:  global
        .offset:         80
        .size:           8
        .value_kind:     global_buffer
      - .offset:         88
        .size:           4
        .value_kind:     by_value
      - .offset:         92
        .size:           4
        .value_kind:     by_value
      - .offset:         96
        .size:           4
        .value_kind:     by_value
      - .address_space:  global
        .offset:         104
        .size:           8
        .value_kind:     global_buffer
      - .address_space:  global
        .offset:         112
        .size:           8
        .value_kind:     global_buffer
      - .offset:         120
        .size:           4
        .value_kind:     by_value
      - .offset:         124
        .size:           4
        .value_kind:     by_value
      - .offset:         128
        .size:           4
        .value_kind:     by_value
      - .offset:         132
        .size:           4
        .value_kind:     by_value
      - .offset:         136
        .size:           4
        .value_kind:     by_value
      - .offset:         144
        .size:           4
        .value_kind:     hidden_block_count_x
      - .offset:         148
        .size:           4
        .value_kind:     hidden_block_count_y
      - .offset:         152
        .size:           4
        .value_kind:     hidden_block_count_z
      - .offset:         156
        .size:           2
        .value_kind:     hidden_group_size_x
      - .offset:         158
        .size:           2
        .value_kind:     hidden_group_size_y
      - .offset:         160
        .size:           2
        .value_kind:     hidden_group_size_z
      - .offset:         162
        .size:           2
        .value_kind:     hidden_remainder_x
      - .offset:         164
        .size:           2
        .value_kind:     hidden_remainder_y
      - .offset:         166
        .size:           2
        .value_kind:     hidden_remainder_z
      - .offset:         184
        .size:           8
        .value_kind:     hidden_global_offset_x
      - .offset:         192
        .size:           8
        .value_kind:     hidden_global_offset_y
      - .offset:         200
        .size:           8
        .value_kind:     hidden_global_offset_z
      - .offset:         208
        .size:           2
        .value_kind:     hidden_grid_dims
      - .offset:         264
        .size:           4
        .value_kind:     hidden_dynamic_lds_size
    .group_segment_fixed_size: 416
    .kernarg_segment_align: 8
    .kernarg_segment_size: 400
    .language:       OpenCL C
    .language_version:
      - 2
      - 0
    .max_flat_workgroup_size: 1024
    .name:           _ZN4vllm25paged_attention_v2_kernelIttLi192ELi16ELi128ELNS_18Fp8KVCacheDataTypeE0ELb0ELi512EEEvPfS2_PT_PKS3_PKT0_S9_ifPKiSB_iPKfiiiSD_SD_iiiii
    .private_segment_fixed_size: 0
    .sgpr_count:     38
    .sgpr_spill_count: 0
    .symbol:         _ZN4vllm25paged_attention_v2_kernelIttLi192ELi16ELi128ELNS_18Fp8KVCacheDataTypeE0ELb0ELi512EEEvPfS2_PT_PKS3_PKT0_S9_ifPKiSB_iPKfiiiSD_SD_iiiii.kd
    .uniform_work_group_size: 1
    .uses_dynamic_stack: false
    .vgpr_count:     97
    .vgpr_spill_count: 0
    .wavefront_size: 32
    .workgroup_processor_mode: 1
  - .args:
      - .actual_access:  write_only
        .address_space:  global
        .offset:         0
        .size:           8
        .value_kind:     global_buffer
      - .actual_access:  write_only
        .address_space:  global
        .offset:         8
        .size:           8
        .value_kind:     global_buffer
      - .actual_access:  write_only
        .address_space:  global
        .offset:         16
        .size:           8
        .value_kind:     global_buffer
      - .actual_access:  read_only
        .address_space:  global
        .offset:         24
        .size:           8
        .value_kind:     global_buffer
      - .actual_access:  read_only
        .address_space:  global
        .offset:         32
        .size:           8
        .value_kind:     global_buffer
      - .actual_access:  read_only
        .address_space:  global
        .offset:         40
        .size:           8
        .value_kind:     global_buffer
      - .offset:         48
        .size:           4
        .value_kind:     by_value
      - .offset:         52
        .size:           4
        .value_kind:     by_value
      - .actual_access:  read_only
        .address_space:  global
        .offset:         56
        .size:           8
        .value_kind:     global_buffer
      - .actual_access:  read_only
        .address_space:  global
        .offset:         64
        .size:           8
        .value_kind:     global_buffer
      - .offset:         72
        .size:           4
        .value_kind:     by_value
      - .actual_access:  read_only
        .address_space:  global
        .offset:         80
        .size:           8
        .value_kind:     global_buffer
      - .offset:         88
        .size:           4
        .value_kind:     by_value
      - .offset:         92
        .size:           4
        .value_kind:     by_value
      - .offset:         96
        .size:           4
        .value_kind:     by_value
      - .address_space:  global
        .offset:         104
        .size:           8
        .value_kind:     global_buffer
      - .address_space:  global
        .offset:         112
        .size:           8
        .value_kind:     global_buffer
      - .offset:         120
        .size:           4
        .value_kind:     by_value
      - .offset:         124
        .size:           4
        .value_kind:     by_value
      - .offset:         128
        .size:           4
        .value_kind:     by_value
      - .offset:         132
        .size:           4
        .value_kind:     by_value
      - .offset:         136
        .size:           4
        .value_kind:     by_value
      - .offset:         144
        .size:           4
        .value_kind:     hidden_block_count_x
      - .offset:         148
        .size:           4
        .value_kind:     hidden_block_count_y
      - .offset:         152
        .size:           4
        .value_kind:     hidden_block_count_z
      - .offset:         156
        .size:           2
        .value_kind:     hidden_group_size_x
      - .offset:         158
        .size:           2
        .value_kind:     hidden_group_size_y
      - .offset:         160
        .size:           2
        .value_kind:     hidden_group_size_z
      - .offset:         162
        .size:           2
        .value_kind:     hidden_remainder_x
      - .offset:         164
        .size:           2
        .value_kind:     hidden_remainder_y
      - .offset:         166
        .size:           2
        .value_kind:     hidden_remainder_z
      - .offset:         184
        .size:           8
        .value_kind:     hidden_global_offset_x
      - .offset:         192
        .size:           8
        .value_kind:     hidden_global_offset_y
      - .offset:         200
        .size:           8
        .value_kind:     hidden_global_offset_z
      - .offset:         208
        .size:           2
        .value_kind:     hidden_grid_dims
      - .offset:         264
        .size:           4
        .value_kind:     hidden_dynamic_lds_size
    .group_segment_fixed_size: 544
    .kernarg_segment_align: 8
    .kernarg_segment_size: 400
    .language:       OpenCL C
    .language_version:
      - 2
      - 0
    .max_flat_workgroup_size: 1024
    .name:           _ZN4vllm25paged_attention_v2_kernelIttLi256ELi16ELi128ELNS_18Fp8KVCacheDataTypeE0ELb0ELi512EEEvPfS2_PT_PKS3_PKT0_S9_ifPKiSB_iPKfiiiSD_SD_iiiii
    .private_segment_fixed_size: 0
    .sgpr_count:     40
    .sgpr_spill_count: 0
    .symbol:         _ZN4vllm25paged_attention_v2_kernelIttLi256ELi16ELi128ELNS_18Fp8KVCacheDataTypeE0ELb0ELi512EEEvPfS2_PT_PKS3_PKT0_S9_ifPKiSB_iPKfiiiSD_SD_iiiii.kd
    .uniform_work_group_size: 1
    .uses_dynamic_stack: false
    .vgpr_count:     110
    .vgpr_spill_count: 0
    .wavefront_size: 32
    .workgroup_processor_mode: 1
  - .args:
      - .actual_access:  write_only
        .address_space:  global
        .offset:         0
        .size:           8
        .value_kind:     global_buffer
      - .actual_access:  write_only
        .address_space:  global
        .offset:         8
        .size:           8
        .value_kind:     global_buffer
      - .actual_access:  write_only
        .address_space:  global
        .offset:         16
        .size:           8
        .value_kind:     global_buffer
      - .actual_access:  read_only
        .address_space:  global
        .offset:         24
        .size:           8
        .value_kind:     global_buffer
      - .actual_access:  read_only
        .address_space:  global
        .offset:         32
        .size:           8
        .value_kind:     global_buffer
      - .actual_access:  read_only
        .address_space:  global
        .offset:         40
        .size:           8
        .value_kind:     global_buffer
      - .offset:         48
        .size:           4
        .value_kind:     by_value
      - .offset:         52
        .size:           4
        .value_kind:     by_value
      - .actual_access:  read_only
        .address_space:  global
        .offset:         56
        .size:           8
        .value_kind:     global_buffer
      - .actual_access:  read_only
        .address_space:  global
        .offset:         64
        .size:           8
        .value_kind:     global_buffer
      - .offset:         72
        .size:           4
        .value_kind:     by_value
      - .actual_access:  read_only
        .address_space:  global
        .offset:         80
        .size:           8
        .value_kind:     global_buffer
      - .offset:         88
        .size:           4
        .value_kind:     by_value
      - .offset:         92
        .size:           4
        .value_kind:     by_value
      - .offset:         96
        .size:           4
        .value_kind:     by_value
      - .address_space:  global
        .offset:         104
        .size:           8
        .value_kind:     global_buffer
      - .address_space:  global
        .offset:         112
        .size:           8
        .value_kind:     global_buffer
      - .offset:         120
        .size:           4
        .value_kind:     by_value
      - .offset:         124
        .size:           4
        .value_kind:     by_value
      - .offset:         128
        .size:           4
        .value_kind:     by_value
      - .offset:         132
        .size:           4
        .value_kind:     by_value
      - .offset:         136
        .size:           4
        .value_kind:     by_value
      - .offset:         144
        .size:           4
        .value_kind:     hidden_block_count_x
      - .offset:         148
        .size:           4
        .value_kind:     hidden_block_count_y
      - .offset:         152
        .size:           4
        .value_kind:     hidden_block_count_z
      - .offset:         156
        .size:           2
        .value_kind:     hidden_group_size_x
      - .offset:         158
        .size:           2
        .value_kind:     hidden_group_size_y
      - .offset:         160
        .size:           2
        .value_kind:     hidden_group_size_z
      - .offset:         162
        .size:           2
        .value_kind:     hidden_remainder_x
      - .offset:         164
        .size:           2
        .value_kind:     hidden_remainder_y
      - .offset:         166
        .size:           2
        .value_kind:     hidden_remainder_z
      - .offset:         184
        .size:           8
        .value_kind:     hidden_global_offset_x
      - .offset:         192
        .size:           8
        .value_kind:     hidden_global_offset_y
      - .offset:         200
        .size:           8
        .value_kind:     hidden_global_offset_z
      - .offset:         208
        .size:           2
        .value_kind:     hidden_grid_dims
      - .offset:         264
        .size:           4
        .value_kind:     hidden_dynamic_lds_size
    .group_segment_fixed_size: 96
    .kernarg_segment_align: 8
    .kernarg_segment_size: 400
    .language:       OpenCL C
    .language_version:
      - 2
      - 0
    .max_flat_workgroup_size: 1024
    .name:           _ZN4vllm25paged_attention_v2_kernelIttLi32ELi32ELi128ELNS_18Fp8KVCacheDataTypeE0ELb1ELi512EEEvPfS2_PT_PKS3_PKT0_S9_ifPKiSB_iPKfiiiSD_SD_iiiii
    .private_segment_fixed_size: 0
    .sgpr_count:     48
    .sgpr_spill_count: 0
    .symbol:         _ZN4vllm25paged_attention_v2_kernelIttLi32ELi32ELi128ELNS_18Fp8KVCacheDataTypeE0ELb1ELi512EEEvPfS2_PT_PKS3_PKT0_S9_ifPKiSB_iPKfiiiSD_SD_iiiii.kd
    .uniform_work_group_size: 1
    .uses_dynamic_stack: false
    .vgpr_count:     83
    .vgpr_spill_count: 0
    .wavefront_size: 32
    .workgroup_processor_mode: 1
  - .args:
      - .actual_access:  write_only
        .address_space:  global
        .offset:         0
        .size:           8
        .value_kind:     global_buffer
      - .actual_access:  write_only
        .address_space:  global
        .offset:         8
        .size:           8
        .value_kind:     global_buffer
      - .actual_access:  write_only
        .address_space:  global
        .offset:         16
        .size:           8
        .value_kind:     global_buffer
      - .actual_access:  read_only
        .address_space:  global
        .offset:         24
        .size:           8
        .value_kind:     global_buffer
      - .actual_access:  read_only
        .address_space:  global
        .offset:         32
        .size:           8
        .value_kind:     global_buffer
      - .actual_access:  read_only
        .address_space:  global
        .offset:         40
        .size:           8
        .value_kind:     global_buffer
      - .offset:         48
        .size:           4
        .value_kind:     by_value
      - .offset:         52
        .size:           4
        .value_kind:     by_value
      - .actual_access:  read_only
        .address_space:  global
        .offset:         56
        .size:           8
        .value_kind:     global_buffer
      - .actual_access:  read_only
        .address_space:  global
        .offset:         64
        .size:           8
        .value_kind:     global_buffer
      - .offset:         72
        .size:           4
        .value_kind:     by_value
      - .actual_access:  read_only
        .address_space:  global
        .offset:         80
        .size:           8
        .value_kind:     global_buffer
      - .offset:         88
        .size:           4
        .value_kind:     by_value
      - .offset:         92
        .size:           4
        .value_kind:     by_value
      - .offset:         96
        .size:           4
        .value_kind:     by_value
      - .address_space:  global
        .offset:         104
        .size:           8
        .value_kind:     global_buffer
      - .address_space:  global
        .offset:         112
        .size:           8
        .value_kind:     global_buffer
      - .offset:         120
        .size:           4
        .value_kind:     by_value
      - .offset:         124
        .size:           4
        .value_kind:     by_value
      - .offset:         128
        .size:           4
        .value_kind:     by_value
      - .offset:         132
        .size:           4
        .value_kind:     by_value
      - .offset:         136
        .size:           4
        .value_kind:     by_value
      - .offset:         144
        .size:           4
        .value_kind:     hidden_block_count_x
      - .offset:         148
        .size:           4
        .value_kind:     hidden_block_count_y
      - .offset:         152
        .size:           4
        .value_kind:     hidden_block_count_z
      - .offset:         156
        .size:           2
        .value_kind:     hidden_group_size_x
      - .offset:         158
        .size:           2
        .value_kind:     hidden_group_size_y
      - .offset:         160
        .size:           2
        .value_kind:     hidden_group_size_z
      - .offset:         162
        .size:           2
        .value_kind:     hidden_remainder_x
      - .offset:         164
        .size:           2
        .value_kind:     hidden_remainder_y
      - .offset:         166
        .size:           2
        .value_kind:     hidden_remainder_z
      - .offset:         184
        .size:           8
        .value_kind:     hidden_global_offset_x
      - .offset:         192
        .size:           8
        .value_kind:     hidden_global_offset_y
      - .offset:         200
        .size:           8
        .value_kind:     hidden_global_offset_z
      - .offset:         208
        .size:           2
        .value_kind:     hidden_grid_dims
      - .offset:         264
        .size:           4
        .value_kind:     hidden_dynamic_lds_size
    .group_segment_fixed_size: 160
    .kernarg_segment_align: 8
    .kernarg_segment_size: 400
    .language:       OpenCL C
    .language_version:
      - 2
      - 0
    .max_flat_workgroup_size: 1024
    .name:           _ZN4vllm25paged_attention_v2_kernelIttLi64ELi32ELi128ELNS_18Fp8KVCacheDataTypeE0ELb1ELi512EEEvPfS2_PT_PKS3_PKT0_S9_ifPKiSB_iPKfiiiSD_SD_iiiii
    .private_segment_fixed_size: 0
    .sgpr_count:     48
    .sgpr_spill_count: 0
    .symbol:         _ZN4vllm25paged_attention_v2_kernelIttLi64ELi32ELi128ELNS_18Fp8KVCacheDataTypeE0ELb1ELi512EEEvPfS2_PT_PKS3_PKT0_S9_ifPKiSB_iPKfiiiSD_SD_iiiii.kd
    .uniform_work_group_size: 1
    .uses_dynamic_stack: false
    .vgpr_count:     124
    .vgpr_spill_count: 0
    .wavefront_size: 32
    .workgroup_processor_mode: 1
  - .args:
      - .actual_access:  write_only
        .address_space:  global
        .offset:         0
        .size:           8
        .value_kind:     global_buffer
      - .actual_access:  write_only
        .address_space:  global
        .offset:         8
        .size:           8
        .value_kind:     global_buffer
      - .actual_access:  write_only
        .address_space:  global
        .offset:         16
        .size:           8
        .value_kind:     global_buffer
      - .actual_access:  read_only
        .address_space:  global
        .offset:         24
        .size:           8
        .value_kind:     global_buffer
      - .actual_access:  read_only
        .address_space:  global
        .offset:         32
        .size:           8
        .value_kind:     global_buffer
      - .actual_access:  read_only
        .address_space:  global
        .offset:         40
        .size:           8
        .value_kind:     global_buffer
      - .offset:         48
        .size:           4
        .value_kind:     by_value
      - .offset:         52
        .size:           4
        .value_kind:     by_value
      - .actual_access:  read_only
        .address_space:  global
        .offset:         56
        .size:           8
        .value_kind:     global_buffer
      - .actual_access:  read_only
        .address_space:  global
        .offset:         64
        .size:           8
        .value_kind:     global_buffer
      - .offset:         72
        .size:           4
        .value_kind:     by_value
      - .actual_access:  read_only
        .address_space:  global
        .offset:         80
        .size:           8
        .value_kind:     global_buffer
      - .offset:         88
        .size:           4
        .value_kind:     by_value
      - .offset:         92
        .size:           4
        .value_kind:     by_value
      - .offset:         96
        .size:           4
        .value_kind:     by_value
      - .address_space:  global
        .offset:         104
        .size:           8
        .value_kind:     global_buffer
      - .address_space:  global
        .offset:         112
        .size:           8
        .value_kind:     global_buffer
      - .offset:         120
        .size:           4
        .value_kind:     by_value
      - .offset:         124
        .size:           4
        .value_kind:     by_value
      - .offset:         128
        .size:           4
        .value_kind:     by_value
      - .offset:         132
        .size:           4
        .value_kind:     by_value
      - .offset:         136
        .size:           4
        .value_kind:     by_value
      - .offset:         144
        .size:           4
        .value_kind:     hidden_block_count_x
      - .offset:         148
        .size:           4
        .value_kind:     hidden_block_count_y
      - .offset:         152
        .size:           4
        .value_kind:     hidden_block_count_z
      - .offset:         156
        .size:           2
        .value_kind:     hidden_group_size_x
      - .offset:         158
        .size:           2
        .value_kind:     hidden_group_size_y
      - .offset:         160
        .size:           2
        .value_kind:     hidden_group_size_z
      - .offset:         162
        .size:           2
        .value_kind:     hidden_remainder_x
      - .offset:         164
        .size:           2
        .value_kind:     hidden_remainder_y
      - .offset:         166
        .size:           2
        .value_kind:     hidden_remainder_z
      - .offset:         184
        .size:           8
        .value_kind:     hidden_global_offset_x
      - .offset:         192
        .size:           8
        .value_kind:     hidden_global_offset_y
      - .offset:         200
        .size:           8
        .value_kind:     hidden_global_offset_z
      - .offset:         208
        .size:           2
        .value_kind:     hidden_grid_dims
      - .offset:         264
        .size:           4
        .value_kind:     hidden_dynamic_lds_size
    .group_segment_fixed_size: 192
    .kernarg_segment_align: 8
    .kernarg_segment_size: 400
    .language:       OpenCL C
    .language_version:
      - 2
      - 0
    .max_flat_workgroup_size: 1024
    .name:           _ZN4vllm25paged_attention_v2_kernelIttLi80ELi32ELi128ELNS_18Fp8KVCacheDataTypeE0ELb1ELi512EEEvPfS2_PT_PKS3_PKT0_S9_ifPKiSB_iPKfiiiSD_SD_iiiii
    .private_segment_fixed_size: 0
    .sgpr_count:     48
    .sgpr_spill_count: 0
    .symbol:         _ZN4vllm25paged_attention_v2_kernelIttLi80ELi32ELi128ELNS_18Fp8KVCacheDataTypeE0ELb1ELi512EEEvPfS2_PT_PKS3_PKT0_S9_ifPKiSB_iPKfiiiSD_SD_iiiii.kd
    .uniform_work_group_size: 1
    .uses_dynamic_stack: false
    .vgpr_count:     79
    .vgpr_spill_count: 0
    .wavefront_size: 32
    .workgroup_processor_mode: 1
  - .args:
      - .actual_access:  write_only
        .address_space:  global
        .offset:         0
        .size:           8
        .value_kind:     global_buffer
      - .actual_access:  write_only
        .address_space:  global
        .offset:         8
        .size:           8
        .value_kind:     global_buffer
      - .actual_access:  write_only
        .address_space:  global
        .offset:         16
        .size:           8
        .value_kind:     global_buffer
      - .actual_access:  read_only
        .address_space:  global
        .offset:         24
        .size:           8
        .value_kind:     global_buffer
      - .actual_access:  read_only
        .address_space:  global
        .offset:         32
        .size:           8
        .value_kind:     global_buffer
      - .actual_access:  read_only
        .address_space:  global
        .offset:         40
        .size:           8
        .value_kind:     global_buffer
      - .offset:         48
        .size:           4
        .value_kind:     by_value
      - .offset:         52
        .size:           4
        .value_kind:     by_value
      - .actual_access:  read_only
        .address_space:  global
        .offset:         56
        .size:           8
        .value_kind:     global_buffer
      - .actual_access:  read_only
        .address_space:  global
        .offset:         64
        .size:           8
        .value_kind:     global_buffer
      - .offset:         72
        .size:           4
        .value_kind:     by_value
      - .actual_access:  read_only
        .address_space:  global
        .offset:         80
        .size:           8
        .value_kind:     global_buffer
      - .offset:         88
        .size:           4
        .value_kind:     by_value
      - .offset:         92
        .size:           4
        .value_kind:     by_value
      - .offset:         96
        .size:           4
        .value_kind:     by_value
      - .address_space:  global
        .offset:         104
        .size:           8
        .value_kind:     global_buffer
      - .address_space:  global
        .offset:         112
        .size:           8
        .value_kind:     global_buffer
      - .offset:         120
        .size:           4
        .value_kind:     by_value
      - .offset:         124
        .size:           4
        .value_kind:     by_value
      - .offset:         128
        .size:           4
        .value_kind:     by_value
      - .offset:         132
        .size:           4
        .value_kind:     by_value
      - .offset:         136
        .size:           4
        .value_kind:     by_value
      - .offset:         144
        .size:           4
        .value_kind:     hidden_block_count_x
      - .offset:         148
        .size:           4
        .value_kind:     hidden_block_count_y
      - .offset:         152
        .size:           4
        .value_kind:     hidden_block_count_z
      - .offset:         156
        .size:           2
        .value_kind:     hidden_group_size_x
      - .offset:         158
        .size:           2
        .value_kind:     hidden_group_size_y
      - .offset:         160
        .size:           2
        .value_kind:     hidden_group_size_z
      - .offset:         162
        .size:           2
        .value_kind:     hidden_remainder_x
      - .offset:         164
        .size:           2
        .value_kind:     hidden_remainder_y
      - .offset:         166
        .size:           2
        .value_kind:     hidden_remainder_z
      - .offset:         184
        .size:           8
        .value_kind:     hidden_global_offset_x
      - .offset:         192
        .size:           8
        .value_kind:     hidden_global_offset_y
      - .offset:         200
        .size:           8
        .value_kind:     hidden_global_offset_z
      - .offset:         208
        .size:           2
        .value_kind:     hidden_grid_dims
      - .offset:         264
        .size:           4
        .value_kind:     hidden_dynamic_lds_size
    .group_segment_fixed_size: 224
    .kernarg_segment_align: 8
    .kernarg_segment_size: 400
    .language:       OpenCL C
    .language_version:
      - 2
      - 0
    .max_flat_workgroup_size: 1024
    .name:           _ZN4vllm25paged_attention_v2_kernelIttLi96ELi32ELi128ELNS_18Fp8KVCacheDataTypeE0ELb1ELi512EEEvPfS2_PT_PKS3_PKT0_S9_ifPKiSB_iPKfiiiSD_SD_iiiii
    .private_segment_fixed_size: 0
    .sgpr_count:     48
    .sgpr_spill_count: 0
    .symbol:         _ZN4vllm25paged_attention_v2_kernelIttLi96ELi32ELi128ELNS_18Fp8KVCacheDataTypeE0ELb1ELi512EEEvPfS2_PT_PKS3_PKT0_S9_ifPKiSB_iPKfiiiSD_SD_iiiii.kd
    .uniform_work_group_size: 1
    .uses_dynamic_stack: false
    .vgpr_count:     87
    .vgpr_spill_count: 0
    .wavefront_size: 32
    .workgroup_processor_mode: 1
  - .args:
      - .actual_access:  write_only
        .address_space:  global
        .offset:         0
        .size:           8
        .value_kind:     global_buffer
      - .actual_access:  write_only
        .address_space:  global
        .offset:         8
        .size:           8
        .value_kind:     global_buffer
      - .actual_access:  write_only
        .address_space:  global
        .offset:         16
        .size:           8
        .value_kind:     global_buffer
      - .actual_access:  read_only
        .address_space:  global
        .offset:         24
        .size:           8
        .value_kind:     global_buffer
      - .actual_access:  read_only
        .address_space:  global
        .offset:         32
        .size:           8
        .value_kind:     global_buffer
      - .actual_access:  read_only
        .address_space:  global
        .offset:         40
        .size:           8
        .value_kind:     global_buffer
      - .offset:         48
        .size:           4
        .value_kind:     by_value
      - .offset:         52
        .size:           4
        .value_kind:     by_value
      - .actual_access:  read_only
        .address_space:  global
        .offset:         56
        .size:           8
        .value_kind:     global_buffer
      - .actual_access:  read_only
        .address_space:  global
        .offset:         64
        .size:           8
        .value_kind:     global_buffer
      - .offset:         72
        .size:           4
        .value_kind:     by_value
      - .actual_access:  read_only
        .address_space:  global
        .offset:         80
        .size:           8
        .value_kind:     global_buffer
      - .offset:         88
        .size:           4
        .value_kind:     by_value
      - .offset:         92
        .size:           4
        .value_kind:     by_value
      - .offset:         96
        .size:           4
        .value_kind:     by_value
      - .address_space:  global
        .offset:         104
        .size:           8
        .value_kind:     global_buffer
      - .address_space:  global
        .offset:         112
        .size:           8
        .value_kind:     global_buffer
      - .offset:         120
        .size:           4
        .value_kind:     by_value
      - .offset:         124
        .size:           4
        .value_kind:     by_value
      - .offset:         128
        .size:           4
        .value_kind:     by_value
      - .offset:         132
        .size:           4
        .value_kind:     by_value
      - .offset:         136
        .size:           4
        .value_kind:     by_value
      - .offset:         144
        .size:           4
        .value_kind:     hidden_block_count_x
      - .offset:         148
        .size:           4
        .value_kind:     hidden_block_count_y
      - .offset:         152
        .size:           4
        .value_kind:     hidden_block_count_z
      - .offset:         156
        .size:           2
        .value_kind:     hidden_group_size_x
      - .offset:         158
        .size:           2
        .value_kind:     hidden_group_size_y
      - .offset:         160
        .size:           2
        .value_kind:     hidden_group_size_z
      - .offset:         162
        .size:           2
        .value_kind:     hidden_remainder_x
      - .offset:         164
        .size:           2
        .value_kind:     hidden_remainder_y
      - .offset:         166
        .size:           2
        .value_kind:     hidden_remainder_z
      - .offset:         184
        .size:           8
        .value_kind:     hidden_global_offset_x
      - .offset:         192
        .size:           8
        .value_kind:     hidden_global_offset_y
      - .offset:         200
        .size:           8
        .value_kind:     hidden_global_offset_z
      - .offset:         208
        .size:           2
        .value_kind:     hidden_grid_dims
      - .offset:         264
        .size:           4
        .value_kind:     hidden_dynamic_lds_size
    .group_segment_fixed_size: 256
    .kernarg_segment_align: 8
    .kernarg_segment_size: 400
    .language:       OpenCL C
    .language_version:
      - 2
      - 0
    .max_flat_workgroup_size: 1024
    .name:           _ZN4vllm25paged_attention_v2_kernelIttLi112ELi32ELi128ELNS_18Fp8KVCacheDataTypeE0ELb1ELi512EEEvPfS2_PT_PKS3_PKT0_S9_ifPKiSB_iPKfiiiSD_SD_iiiii
    .private_segment_fixed_size: 0
    .sgpr_count:     48
    .sgpr_spill_count: 0
    .symbol:         _ZN4vllm25paged_attention_v2_kernelIttLi112ELi32ELi128ELNS_18Fp8KVCacheDataTypeE0ELb1ELi512EEEvPfS2_PT_PKS3_PKT0_S9_ifPKiSB_iPKfiiiSD_SD_iiiii.kd
    .uniform_work_group_size: 1
    .uses_dynamic_stack: false
    .vgpr_count:     95
    .vgpr_spill_count: 0
    .wavefront_size: 32
    .workgroup_processor_mode: 1
  - .args:
      - .actual_access:  write_only
        .address_space:  global
        .offset:         0
        .size:           8
        .value_kind:     global_buffer
      - .actual_access:  write_only
        .address_space:  global
        .offset:         8
        .size:           8
        .value_kind:     global_buffer
      - .actual_access:  write_only
        .address_space:  global
        .offset:         16
        .size:           8
        .value_kind:     global_buffer
      - .actual_access:  read_only
        .address_space:  global
        .offset:         24
        .size:           8
        .value_kind:     global_buffer
      - .actual_access:  read_only
        .address_space:  global
        .offset:         32
        .size:           8
        .value_kind:     global_buffer
      - .actual_access:  read_only
        .address_space:  global
        .offset:         40
        .size:           8
        .value_kind:     global_buffer
      - .offset:         48
        .size:           4
        .value_kind:     by_value
      - .offset:         52
        .size:           4
        .value_kind:     by_value
      - .actual_access:  read_only
        .address_space:  global
        .offset:         56
        .size:           8
        .value_kind:     global_buffer
      - .actual_access:  read_only
        .address_space:  global
        .offset:         64
        .size:           8
        .value_kind:     global_buffer
      - .offset:         72
        .size:           4
        .value_kind:     by_value
      - .actual_access:  read_only
        .address_space:  global
        .offset:         80
        .size:           8
        .value_kind:     global_buffer
      - .offset:         88
        .size:           4
        .value_kind:     by_value
      - .offset:         92
        .size:           4
        .value_kind:     by_value
      - .offset:         96
        .size:           4
        .value_kind:     by_value
      - .address_space:  global
        .offset:         104
        .size:           8
        .value_kind:     global_buffer
      - .address_space:  global
        .offset:         112
        .size:           8
        .value_kind:     global_buffer
      - .offset:         120
        .size:           4
        .value_kind:     by_value
      - .offset:         124
        .size:           4
        .value_kind:     by_value
      - .offset:         128
        .size:           4
        .value_kind:     by_value
      - .offset:         132
        .size:           4
        .value_kind:     by_value
      - .offset:         136
        .size:           4
        .value_kind:     by_value
      - .offset:         144
        .size:           4
        .value_kind:     hidden_block_count_x
      - .offset:         148
        .size:           4
        .value_kind:     hidden_block_count_y
      - .offset:         152
        .size:           4
        .value_kind:     hidden_block_count_z
      - .offset:         156
        .size:           2
        .value_kind:     hidden_group_size_x
      - .offset:         158
        .size:           2
        .value_kind:     hidden_group_size_y
      - .offset:         160
        .size:           2
        .value_kind:     hidden_group_size_z
      - .offset:         162
        .size:           2
        .value_kind:     hidden_remainder_x
      - .offset:         164
        .size:           2
        .value_kind:     hidden_remainder_y
      - .offset:         166
        .size:           2
        .value_kind:     hidden_remainder_z
      - .offset:         184
        .size:           8
        .value_kind:     hidden_global_offset_x
      - .offset:         192
        .size:           8
        .value_kind:     hidden_global_offset_y
      - .offset:         200
        .size:           8
        .value_kind:     hidden_global_offset_z
      - .offset:         208
        .size:           2
        .value_kind:     hidden_grid_dims
      - .offset:         264
        .size:           4
        .value_kind:     hidden_dynamic_lds_size
    .group_segment_fixed_size: 272
    .kernarg_segment_align: 8
    .kernarg_segment_size: 400
    .language:       OpenCL C
    .language_version:
      - 2
      - 0
    .max_flat_workgroup_size: 1024
    .name:           _ZN4vllm25paged_attention_v2_kernelIttLi120ELi32ELi128ELNS_18Fp8KVCacheDataTypeE0ELb1ELi512EEEvPfS2_PT_PKS3_PKT0_S9_ifPKiSB_iPKfiiiSD_SD_iiiii
    .private_segment_fixed_size: 0
    .sgpr_count:     48
    .sgpr_spill_count: 0
    .symbol:         _ZN4vllm25paged_attention_v2_kernelIttLi120ELi32ELi128ELNS_18Fp8KVCacheDataTypeE0ELb1ELi512EEEvPfS2_PT_PKS3_PKT0_S9_ifPKiSB_iPKfiiiSD_SD_iiiii.kd
    .uniform_work_group_size: 1
    .uses_dynamic_stack: false
    .vgpr_count:     99
    .vgpr_spill_count: 0
    .wavefront_size: 32
    .workgroup_processor_mode: 1
  - .args:
      - .actual_access:  write_only
        .address_space:  global
        .offset:         0
        .size:           8
        .value_kind:     global_buffer
      - .actual_access:  write_only
        .address_space:  global
        .offset:         8
        .size:           8
        .value_kind:     global_buffer
      - .actual_access:  write_only
        .address_space:  global
        .offset:         16
        .size:           8
        .value_kind:     global_buffer
      - .actual_access:  read_only
        .address_space:  global
        .offset:         24
        .size:           8
        .value_kind:     global_buffer
      - .actual_access:  read_only
        .address_space:  global
        .offset:         32
        .size:           8
        .value_kind:     global_buffer
      - .actual_access:  read_only
        .address_space:  global
        .offset:         40
        .size:           8
        .value_kind:     global_buffer
      - .offset:         48
        .size:           4
        .value_kind:     by_value
      - .offset:         52
        .size:           4
        .value_kind:     by_value
      - .actual_access:  read_only
        .address_space:  global
        .offset:         56
        .size:           8
        .value_kind:     global_buffer
      - .actual_access:  read_only
        .address_space:  global
        .offset:         64
        .size:           8
        .value_kind:     global_buffer
      - .offset:         72
        .size:           4
        .value_kind:     by_value
      - .actual_access:  read_only
        .address_space:  global
        .offset:         80
        .size:           8
        .value_kind:     global_buffer
      - .offset:         88
        .size:           4
        .value_kind:     by_value
      - .offset:         92
        .size:           4
        .value_kind:     by_value
      - .offset:         96
        .size:           4
        .value_kind:     by_value
      - .address_space:  global
        .offset:         104
        .size:           8
        .value_kind:     global_buffer
      - .address_space:  global
        .offset:         112
        .size:           8
        .value_kind:     global_buffer
      - .offset:         120
        .size:           4
        .value_kind:     by_value
      - .offset:         124
        .size:           4
        .value_kind:     by_value
      - .offset:         128
        .size:           4
        .value_kind:     by_value
      - .offset:         132
        .size:           4
        .value_kind:     by_value
      - .offset:         136
        .size:           4
        .value_kind:     by_value
      - .offset:         144
        .size:           4
        .value_kind:     hidden_block_count_x
      - .offset:         148
        .size:           4
        .value_kind:     hidden_block_count_y
      - .offset:         152
        .size:           4
        .value_kind:     hidden_block_count_z
      - .offset:         156
        .size:           2
        .value_kind:     hidden_group_size_x
      - .offset:         158
        .size:           2
        .value_kind:     hidden_group_size_y
      - .offset:         160
        .size:           2
        .value_kind:     hidden_group_size_z
      - .offset:         162
        .size:           2
        .value_kind:     hidden_remainder_x
      - .offset:         164
        .size:           2
        .value_kind:     hidden_remainder_y
      - .offset:         166
        .size:           2
        .value_kind:     hidden_remainder_z
      - .offset:         184
        .size:           8
        .value_kind:     hidden_global_offset_x
      - .offset:         192
        .size:           8
        .value_kind:     hidden_global_offset_y
      - .offset:         200
        .size:           8
        .value_kind:     hidden_global_offset_z
      - .offset:         208
        .size:           2
        .value_kind:     hidden_grid_dims
      - .offset:         264
        .size:           4
        .value_kind:     hidden_dynamic_lds_size
    .group_segment_fixed_size: 288
    .kernarg_segment_align: 8
    .kernarg_segment_size: 400
    .language:       OpenCL C
    .language_version:
      - 2
      - 0
    .max_flat_workgroup_size: 1024
    .name:           _ZN4vllm25paged_attention_v2_kernelIttLi128ELi32ELi128ELNS_18Fp8KVCacheDataTypeE0ELb1ELi512EEEvPfS2_PT_PKS3_PKT0_S9_ifPKiSB_iPKfiiiSD_SD_iiiii
    .private_segment_fixed_size: 0
    .sgpr_count:     48
    .sgpr_spill_count: 0
    .symbol:         _ZN4vllm25paged_attention_v2_kernelIttLi128ELi32ELi128ELNS_18Fp8KVCacheDataTypeE0ELb1ELi512EEEvPfS2_PT_PKS3_PKT0_S9_ifPKiSB_iPKfiiiSD_SD_iiiii.kd
    .uniform_work_group_size: 1
    .uses_dynamic_stack: false
    .vgpr_count:     103
    .vgpr_spill_count: 0
    .wavefront_size: 32
    .workgroup_processor_mode: 1
  - .args:
      - .actual_access:  write_only
        .address_space:  global
        .offset:         0
        .size:           8
        .value_kind:     global_buffer
      - .actual_access:  write_only
        .address_space:  global
        .offset:         8
        .size:           8
        .value_kind:     global_buffer
      - .actual_access:  write_only
        .address_space:  global
        .offset:         16
        .size:           8
        .value_kind:     global_buffer
      - .actual_access:  read_only
        .address_space:  global
        .offset:         24
        .size:           8
        .value_kind:     global_buffer
      - .actual_access:  read_only
        .address_space:  global
        .offset:         32
        .size:           8
        .value_kind:     global_buffer
      - .actual_access:  read_only
        .address_space:  global
        .offset:         40
        .size:           8
        .value_kind:     global_buffer
      - .offset:         48
        .size:           4
        .value_kind:     by_value
      - .offset:         52
        .size:           4
        .value_kind:     by_value
      - .actual_access:  read_only
        .address_space:  global
        .offset:         56
        .size:           8
        .value_kind:     global_buffer
      - .actual_access:  read_only
        .address_space:  global
        .offset:         64
        .size:           8
        .value_kind:     global_buffer
      - .offset:         72
        .size:           4
        .value_kind:     by_value
      - .actual_access:  read_only
        .address_space:  global
        .offset:         80
        .size:           8
        .value_kind:     global_buffer
      - .offset:         88
        .size:           4
        .value_kind:     by_value
      - .offset:         92
        .size:           4
        .value_kind:     by_value
      - .offset:         96
        .size:           4
        .value_kind:     by_value
      - .address_space:  global
        .offset:         104
        .size:           8
        .value_kind:     global_buffer
      - .address_space:  global
        .offset:         112
        .size:           8
        .value_kind:     global_buffer
      - .offset:         120
        .size:           4
        .value_kind:     by_value
      - .offset:         124
        .size:           4
        .value_kind:     by_value
      - .offset:         128
        .size:           4
        .value_kind:     by_value
      - .offset:         132
        .size:           4
        .value_kind:     by_value
      - .offset:         136
        .size:           4
        .value_kind:     by_value
      - .offset:         144
        .size:           4
        .value_kind:     hidden_block_count_x
      - .offset:         148
        .size:           4
        .value_kind:     hidden_block_count_y
      - .offset:         152
        .size:           4
        .value_kind:     hidden_block_count_z
      - .offset:         156
        .size:           2
        .value_kind:     hidden_group_size_x
      - .offset:         158
        .size:           2
        .value_kind:     hidden_group_size_y
      - .offset:         160
        .size:           2
        .value_kind:     hidden_group_size_z
      - .offset:         162
        .size:           2
        .value_kind:     hidden_remainder_x
      - .offset:         164
        .size:           2
        .value_kind:     hidden_remainder_y
      - .offset:         166
        .size:           2
        .value_kind:     hidden_remainder_z
      - .offset:         184
        .size:           8
        .value_kind:     hidden_global_offset_x
      - .offset:         192
        .size:           8
        .value_kind:     hidden_global_offset_y
      - .offset:         200
        .size:           8
        .value_kind:     hidden_global_offset_z
      - .offset:         208
        .size:           2
        .value_kind:     hidden_grid_dims
      - .offset:         264
        .size:           4
        .value_kind:     hidden_dynamic_lds_size
    .group_segment_fixed_size: 416
    .kernarg_segment_align: 8
    .kernarg_segment_size: 400
    .language:       OpenCL C
    .language_version:
      - 2
      - 0
    .max_flat_workgroup_size: 1024
    .name:           _ZN4vllm25paged_attention_v2_kernelIttLi192ELi32ELi128ELNS_18Fp8KVCacheDataTypeE0ELb1ELi512EEEvPfS2_PT_PKS3_PKT0_S9_ifPKiSB_iPKfiiiSD_SD_iiiii
    .private_segment_fixed_size: 8
    .sgpr_count:     54
    .sgpr_spill_count: 0
    .symbol:         _ZN4vllm25paged_attention_v2_kernelIttLi192ELi32ELi128ELNS_18Fp8KVCacheDataTypeE0ELb1ELi512EEEvPfS2_PT_PKS3_PKT0_S9_ifPKiSB_iPKfiiiSD_SD_iiiii.kd
    .uniform_work_group_size: 1
    .uses_dynamic_stack: false
    .vgpr_count:     128
    .vgpr_spill_count: 1
    .wavefront_size: 32
    .workgroup_processor_mode: 1
  - .args:
      - .actual_access:  write_only
        .address_space:  global
        .offset:         0
        .size:           8
        .value_kind:     global_buffer
      - .actual_access:  write_only
        .address_space:  global
        .offset:         8
        .size:           8
        .value_kind:     global_buffer
      - .actual_access:  write_only
        .address_space:  global
        .offset:         16
        .size:           8
        .value_kind:     global_buffer
      - .actual_access:  read_only
        .address_space:  global
        .offset:         24
        .size:           8
        .value_kind:     global_buffer
      - .actual_access:  read_only
        .address_space:  global
        .offset:         32
        .size:           8
        .value_kind:     global_buffer
      - .actual_access:  read_only
        .address_space:  global
        .offset:         40
        .size:           8
        .value_kind:     global_buffer
      - .offset:         48
        .size:           4
        .value_kind:     by_value
      - .offset:         52
        .size:           4
        .value_kind:     by_value
      - .actual_access:  read_only
        .address_space:  global
        .offset:         56
        .size:           8
        .value_kind:     global_buffer
      - .actual_access:  read_only
        .address_space:  global
        .offset:         64
        .size:           8
        .value_kind:     global_buffer
      - .offset:         72
        .size:           4
        .value_kind:     by_value
      - .actual_access:  read_only
        .address_space:  global
        .offset:         80
        .size:           8
        .value_kind:     global_buffer
      - .offset:         88
        .size:           4
        .value_kind:     by_value
      - .offset:         92
        .size:           4
        .value_kind:     by_value
      - .offset:         96
        .size:           4
        .value_kind:     by_value
      - .address_space:  global
        .offset:         104
        .size:           8
        .value_kind:     global_buffer
      - .address_space:  global
        .offset:         112
        .size:           8
        .value_kind:     global_buffer
      - .offset:         120
        .size:           4
        .value_kind:     by_value
      - .offset:         124
        .size:           4
        .value_kind:     by_value
      - .offset:         128
        .size:           4
        .value_kind:     by_value
      - .offset:         132
        .size:           4
        .value_kind:     by_value
      - .offset:         136
        .size:           4
        .value_kind:     by_value
      - .offset:         144
        .size:           4
        .value_kind:     hidden_block_count_x
      - .offset:         148
        .size:           4
        .value_kind:     hidden_block_count_y
      - .offset:         152
        .size:           4
        .value_kind:     hidden_block_count_z
      - .offset:         156
        .size:           2
        .value_kind:     hidden_group_size_x
      - .offset:         158
        .size:           2
        .value_kind:     hidden_group_size_y
      - .offset:         160
        .size:           2
        .value_kind:     hidden_group_size_z
      - .offset:         162
        .size:           2
        .value_kind:     hidden_remainder_x
      - .offset:         164
        .size:           2
        .value_kind:     hidden_remainder_y
      - .offset:         166
        .size:           2
        .value_kind:     hidden_remainder_z
      - .offset:         184
        .size:           8
        .value_kind:     hidden_global_offset_x
      - .offset:         192
        .size:           8
        .value_kind:     hidden_global_offset_y
      - .offset:         200
        .size:           8
        .value_kind:     hidden_global_offset_z
      - .offset:         208
        .size:           2
        .value_kind:     hidden_grid_dims
      - .offset:         264
        .size:           4
        .value_kind:     hidden_dynamic_lds_size
    .group_segment_fixed_size: 544
    .kernarg_segment_align: 8
    .kernarg_segment_size: 400
    .language:       OpenCL C
    .language_version:
      - 2
      - 0
    .max_flat_workgroup_size: 1024
    .name:           _ZN4vllm25paged_attention_v2_kernelIttLi256ELi32ELi128ELNS_18Fp8KVCacheDataTypeE0ELb1ELi512EEEvPfS2_PT_PKS3_PKT0_S9_ifPKiSB_iPKfiiiSD_SD_iiiii
    .private_segment_fixed_size: 156
    .sgpr_count:     54
    .sgpr_spill_count: 0
    .symbol:         _ZN4vllm25paged_attention_v2_kernelIttLi256ELi32ELi128ELNS_18Fp8KVCacheDataTypeE0ELb1ELi512EEEvPfS2_PT_PKS3_PKT0_S9_ifPKiSB_iPKfiiiSD_SD_iiiii.kd
    .uniform_work_group_size: 1
    .uses_dynamic_stack: false
    .vgpr_count:     128
    .vgpr_spill_count: 38
    .wavefront_size: 32
    .workgroup_processor_mode: 1
  - .args:
      - .actual_access:  write_only
        .address_space:  global
        .offset:         0
        .size:           8
        .value_kind:     global_buffer
      - .actual_access:  write_only
        .address_space:  global
        .offset:         8
        .size:           8
        .value_kind:     global_buffer
      - .actual_access:  write_only
        .address_space:  global
        .offset:         16
        .size:           8
        .value_kind:     global_buffer
      - .actual_access:  read_only
        .address_space:  global
        .offset:         24
        .size:           8
        .value_kind:     global_buffer
      - .actual_access:  read_only
        .address_space:  global
        .offset:         32
        .size:           8
        .value_kind:     global_buffer
      - .actual_access:  read_only
        .address_space:  global
        .offset:         40
        .size:           8
        .value_kind:     global_buffer
      - .offset:         48
        .size:           4
        .value_kind:     by_value
      - .offset:         52
        .size:           4
        .value_kind:     by_value
      - .actual_access:  read_only
        .address_space:  global
        .offset:         56
        .size:           8
        .value_kind:     global_buffer
      - .actual_access:  read_only
        .address_space:  global
        .offset:         64
        .size:           8
        .value_kind:     global_buffer
      - .offset:         72
        .size:           4
        .value_kind:     by_value
      - .actual_access:  read_only
        .address_space:  global
        .offset:         80
        .size:           8
        .value_kind:     global_buffer
      - .offset:         88
        .size:           4
        .value_kind:     by_value
      - .offset:         92
        .size:           4
        .value_kind:     by_value
      - .offset:         96
        .size:           4
        .value_kind:     by_value
      - .address_space:  global
        .offset:         104
        .size:           8
        .value_kind:     global_buffer
      - .address_space:  global
        .offset:         112
        .size:           8
        .value_kind:     global_buffer
      - .offset:         120
        .size:           4
        .value_kind:     by_value
      - .offset:         124
        .size:           4
        .value_kind:     by_value
      - .offset:         128
        .size:           4
        .value_kind:     by_value
      - .offset:         132
        .size:           4
        .value_kind:     by_value
      - .offset:         136
        .size:           4
        .value_kind:     by_value
      - .offset:         144
        .size:           4
        .value_kind:     hidden_block_count_x
      - .offset:         148
        .size:           4
        .value_kind:     hidden_block_count_y
      - .offset:         152
        .size:           4
        .value_kind:     hidden_block_count_z
      - .offset:         156
        .size:           2
        .value_kind:     hidden_group_size_x
      - .offset:         158
        .size:           2
        .value_kind:     hidden_group_size_y
      - .offset:         160
        .size:           2
        .value_kind:     hidden_group_size_z
      - .offset:         162
        .size:           2
        .value_kind:     hidden_remainder_x
      - .offset:         164
        .size:           2
        .value_kind:     hidden_remainder_y
      - .offset:         166
        .size:           2
        .value_kind:     hidden_remainder_z
      - .offset:         184
        .size:           8
        .value_kind:     hidden_global_offset_x
      - .offset:         192
        .size:           8
        .value_kind:     hidden_global_offset_y
      - .offset:         200
        .size:           8
        .value_kind:     hidden_global_offset_z
      - .offset:         208
        .size:           2
        .value_kind:     hidden_grid_dims
      - .offset:         264
        .size:           4
        .value_kind:     hidden_dynamic_lds_size
    .group_segment_fixed_size: 96
    .kernarg_segment_align: 8
    .kernarg_segment_size: 400
    .language:       OpenCL C
    .language_version:
      - 2
      - 0
    .max_flat_workgroup_size: 1024
    .name:           _ZN4vllm25paged_attention_v2_kernelIttLi32ELi32ELi128ELNS_18Fp8KVCacheDataTypeE0ELb0ELi512EEEvPfS2_PT_PKS3_PKT0_S9_ifPKiSB_iPKfiiiSD_SD_iiiii
    .private_segment_fixed_size: 0
    .sgpr_count:     40
    .sgpr_spill_count: 0
    .symbol:         _ZN4vllm25paged_attention_v2_kernelIttLi32ELi32ELi128ELNS_18Fp8KVCacheDataTypeE0ELb0ELi512EEEvPfS2_PT_PKS3_PKT0_S9_ifPKiSB_iPKfiiiSD_SD_iiiii.kd
    .uniform_work_group_size: 1
    .uses_dynamic_stack: false
    .vgpr_count:     73
    .vgpr_spill_count: 0
    .wavefront_size: 32
    .workgroup_processor_mode: 1
  - .args:
      - .actual_access:  write_only
        .address_space:  global
        .offset:         0
        .size:           8
        .value_kind:     global_buffer
      - .actual_access:  write_only
        .address_space:  global
        .offset:         8
        .size:           8
        .value_kind:     global_buffer
      - .actual_access:  write_only
        .address_space:  global
        .offset:         16
        .size:           8
        .value_kind:     global_buffer
      - .actual_access:  read_only
        .address_space:  global
        .offset:         24
        .size:           8
        .value_kind:     global_buffer
      - .actual_access:  read_only
        .address_space:  global
        .offset:         32
        .size:           8
        .value_kind:     global_buffer
      - .actual_access:  read_only
        .address_space:  global
        .offset:         40
        .size:           8
        .value_kind:     global_buffer
      - .offset:         48
        .size:           4
        .value_kind:     by_value
      - .offset:         52
        .size:           4
        .value_kind:     by_value
      - .actual_access:  read_only
        .address_space:  global
        .offset:         56
        .size:           8
        .value_kind:     global_buffer
      - .actual_access:  read_only
        .address_space:  global
        .offset:         64
        .size:           8
        .value_kind:     global_buffer
      - .offset:         72
        .size:           4
        .value_kind:     by_value
      - .actual_access:  read_only
        .address_space:  global
        .offset:         80
        .size:           8
        .value_kind:     global_buffer
      - .offset:         88
        .size:           4
        .value_kind:     by_value
      - .offset:         92
        .size:           4
        .value_kind:     by_value
      - .offset:         96
        .size:           4
        .value_kind:     by_value
      - .address_space:  global
        .offset:         104
        .size:           8
        .value_kind:     global_buffer
      - .address_space:  global
        .offset:         112
        .size:           8
        .value_kind:     global_buffer
      - .offset:         120
        .size:           4
        .value_kind:     by_value
      - .offset:         124
        .size:           4
        .value_kind:     by_value
      - .offset:         128
        .size:           4
        .value_kind:     by_value
      - .offset:         132
        .size:           4
        .value_kind:     by_value
      - .offset:         136
        .size:           4
        .value_kind:     by_value
      - .offset:         144
        .size:           4
        .value_kind:     hidden_block_count_x
      - .offset:         148
        .size:           4
        .value_kind:     hidden_block_count_y
      - .offset:         152
        .size:           4
        .value_kind:     hidden_block_count_z
      - .offset:         156
        .size:           2
        .value_kind:     hidden_group_size_x
      - .offset:         158
        .size:           2
        .value_kind:     hidden_group_size_y
      - .offset:         160
        .size:           2
        .value_kind:     hidden_group_size_z
      - .offset:         162
        .size:           2
        .value_kind:     hidden_remainder_x
      - .offset:         164
        .size:           2
        .value_kind:     hidden_remainder_y
      - .offset:         166
        .size:           2
        .value_kind:     hidden_remainder_z
      - .offset:         184
        .size:           8
        .value_kind:     hidden_global_offset_x
      - .offset:         192
        .size:           8
        .value_kind:     hidden_global_offset_y
      - .offset:         200
        .size:           8
        .value_kind:     hidden_global_offset_z
      - .offset:         208
        .size:           2
        .value_kind:     hidden_grid_dims
      - .offset:         264
        .size:           4
        .value_kind:     hidden_dynamic_lds_size
    .group_segment_fixed_size: 160
    .kernarg_segment_align: 8
    .kernarg_segment_size: 400
    .language:       OpenCL C
    .language_version:
      - 2
      - 0
    .max_flat_workgroup_size: 1024
    .name:           _ZN4vllm25paged_attention_v2_kernelIttLi64ELi32ELi128ELNS_18Fp8KVCacheDataTypeE0ELb0ELi512EEEvPfS2_PT_PKS3_PKT0_S9_ifPKiSB_iPKfiiiSD_SD_iiiii
    .private_segment_fixed_size: 0
    .sgpr_count:     40
    .sgpr_spill_count: 0
    .symbol:         _ZN4vllm25paged_attention_v2_kernelIttLi64ELi32ELi128ELNS_18Fp8KVCacheDataTypeE0ELb0ELi512EEEvPfS2_PT_PKS3_PKT0_S9_ifPKiSB_iPKfiiiSD_SD_iiiii.kd
    .uniform_work_group_size: 1
    .uses_dynamic_stack: false
    .vgpr_count:     110
    .vgpr_spill_count: 0
    .wavefront_size: 32
    .workgroup_processor_mode: 1
  - .args:
      - .actual_access:  write_only
        .address_space:  global
        .offset:         0
        .size:           8
        .value_kind:     global_buffer
      - .actual_access:  write_only
        .address_space:  global
        .offset:         8
        .size:           8
        .value_kind:     global_buffer
      - .actual_access:  write_only
        .address_space:  global
        .offset:         16
        .size:           8
        .value_kind:     global_buffer
      - .actual_access:  read_only
        .address_space:  global
        .offset:         24
        .size:           8
        .value_kind:     global_buffer
      - .actual_access:  read_only
        .address_space:  global
        .offset:         32
        .size:           8
        .value_kind:     global_buffer
      - .actual_access:  read_only
        .address_space:  global
        .offset:         40
        .size:           8
        .value_kind:     global_buffer
      - .offset:         48
        .size:           4
        .value_kind:     by_value
      - .offset:         52
        .size:           4
        .value_kind:     by_value
      - .actual_access:  read_only
        .address_space:  global
        .offset:         56
        .size:           8
        .value_kind:     global_buffer
      - .actual_access:  read_only
        .address_space:  global
        .offset:         64
        .size:           8
        .value_kind:     global_buffer
      - .offset:         72
        .size:           4
        .value_kind:     by_value
      - .actual_access:  read_only
        .address_space:  global
        .offset:         80
        .size:           8
        .value_kind:     global_buffer
      - .offset:         88
        .size:           4
        .value_kind:     by_value
      - .offset:         92
        .size:           4
        .value_kind:     by_value
      - .offset:         96
        .size:           4
        .value_kind:     by_value
      - .address_space:  global
        .offset:         104
        .size:           8
        .value_kind:     global_buffer
      - .address_space:  global
        .offset:         112
        .size:           8
        .value_kind:     global_buffer
      - .offset:         120
        .size:           4
        .value_kind:     by_value
      - .offset:         124
        .size:           4
        .value_kind:     by_value
      - .offset:         128
        .size:           4
        .value_kind:     by_value
      - .offset:         132
        .size:           4
        .value_kind:     by_value
      - .offset:         136
        .size:           4
        .value_kind:     by_value
      - .offset:         144
        .size:           4
        .value_kind:     hidden_block_count_x
      - .offset:         148
        .size:           4
        .value_kind:     hidden_block_count_y
      - .offset:         152
        .size:           4
        .value_kind:     hidden_block_count_z
      - .offset:         156
        .size:           2
        .value_kind:     hidden_group_size_x
      - .offset:         158
        .size:           2
        .value_kind:     hidden_group_size_y
      - .offset:         160
        .size:           2
        .value_kind:     hidden_group_size_z
      - .offset:         162
        .size:           2
        .value_kind:     hidden_remainder_x
      - .offset:         164
        .size:           2
        .value_kind:     hidden_remainder_y
      - .offset:         166
        .size:           2
        .value_kind:     hidden_remainder_z
      - .offset:         184
        .size:           8
        .value_kind:     hidden_global_offset_x
      - .offset:         192
        .size:           8
        .value_kind:     hidden_global_offset_y
      - .offset:         200
        .size:           8
        .value_kind:     hidden_global_offset_z
      - .offset:         208
        .size:           2
        .value_kind:     hidden_grid_dims
      - .offset:         264
        .size:           4
        .value_kind:     hidden_dynamic_lds_size
    .group_segment_fixed_size: 192
    .kernarg_segment_align: 8
    .kernarg_segment_size: 400
    .language:       OpenCL C
    .language_version:
      - 2
      - 0
    .max_flat_workgroup_size: 1024
    .name:           _ZN4vllm25paged_attention_v2_kernelIttLi80ELi32ELi128ELNS_18Fp8KVCacheDataTypeE0ELb0ELi512EEEvPfS2_PT_PKS3_PKT0_S9_ifPKiSB_iPKfiiiSD_SD_iiiii
    .private_segment_fixed_size: 0
    .sgpr_count:     40
    .sgpr_spill_count: 0
    .symbol:         _ZN4vllm25paged_attention_v2_kernelIttLi80ELi32ELi128ELNS_18Fp8KVCacheDataTypeE0ELb0ELi512EEEvPfS2_PT_PKS3_PKT0_S9_ifPKiSB_iPKfiiiSD_SD_iiiii.kd
    .uniform_work_group_size: 1
    .uses_dynamic_stack: false
    .vgpr_count:     75
    .vgpr_spill_count: 0
    .wavefront_size: 32
    .workgroup_processor_mode: 1
  - .args:
      - .actual_access:  write_only
        .address_space:  global
        .offset:         0
        .size:           8
        .value_kind:     global_buffer
      - .actual_access:  write_only
        .address_space:  global
        .offset:         8
        .size:           8
        .value_kind:     global_buffer
      - .actual_access:  write_only
        .address_space:  global
        .offset:         16
        .size:           8
        .value_kind:     global_buffer
      - .actual_access:  read_only
        .address_space:  global
        .offset:         24
        .size:           8
        .value_kind:     global_buffer
      - .actual_access:  read_only
        .address_space:  global
        .offset:         32
        .size:           8
        .value_kind:     global_buffer
      - .actual_access:  read_only
        .address_space:  global
        .offset:         40
        .size:           8
        .value_kind:     global_buffer
      - .offset:         48
        .size:           4
        .value_kind:     by_value
      - .offset:         52
        .size:           4
        .value_kind:     by_value
      - .actual_access:  read_only
        .address_space:  global
        .offset:         56
        .size:           8
        .value_kind:     global_buffer
      - .actual_access:  read_only
        .address_space:  global
        .offset:         64
        .size:           8
        .value_kind:     global_buffer
      - .offset:         72
        .size:           4
        .value_kind:     by_value
      - .actual_access:  read_only
        .address_space:  global
        .offset:         80
        .size:           8
        .value_kind:     global_buffer
      - .offset:         88
        .size:           4
        .value_kind:     by_value
      - .offset:         92
        .size:           4
        .value_kind:     by_value
      - .offset:         96
        .size:           4
        .value_kind:     by_value
      - .address_space:  global
        .offset:         104
        .size:           8
        .value_kind:     global_buffer
      - .address_space:  global
        .offset:         112
        .size:           8
        .value_kind:     global_buffer
      - .offset:         120
        .size:           4
        .value_kind:     by_value
      - .offset:         124
        .size:           4
        .value_kind:     by_value
      - .offset:         128
        .size:           4
        .value_kind:     by_value
      - .offset:         132
        .size:           4
        .value_kind:     by_value
      - .offset:         136
        .size:           4
        .value_kind:     by_value
      - .offset:         144
        .size:           4
        .value_kind:     hidden_block_count_x
      - .offset:         148
        .size:           4
        .value_kind:     hidden_block_count_y
      - .offset:         152
        .size:           4
        .value_kind:     hidden_block_count_z
      - .offset:         156
        .size:           2
        .value_kind:     hidden_group_size_x
      - .offset:         158
        .size:           2
        .value_kind:     hidden_group_size_y
      - .offset:         160
        .size:           2
        .value_kind:     hidden_group_size_z
      - .offset:         162
        .size:           2
        .value_kind:     hidden_remainder_x
      - .offset:         164
        .size:           2
        .value_kind:     hidden_remainder_y
      - .offset:         166
        .size:           2
        .value_kind:     hidden_remainder_z
      - .offset:         184
        .size:           8
        .value_kind:     hidden_global_offset_x
      - .offset:         192
        .size:           8
        .value_kind:     hidden_global_offset_y
      - .offset:         200
        .size:           8
        .value_kind:     hidden_global_offset_z
      - .offset:         208
        .size:           2
        .value_kind:     hidden_grid_dims
      - .offset:         264
        .size:           4
        .value_kind:     hidden_dynamic_lds_size
    .group_segment_fixed_size: 224
    .kernarg_segment_align: 8
    .kernarg_segment_size: 400
    .language:       OpenCL C
    .language_version:
      - 2
      - 0
    .max_flat_workgroup_size: 1024
    .name:           _ZN4vllm25paged_attention_v2_kernelIttLi96ELi32ELi128ELNS_18Fp8KVCacheDataTypeE0ELb0ELi512EEEvPfS2_PT_PKS3_PKT0_S9_ifPKiSB_iPKfiiiSD_SD_iiiii
    .private_segment_fixed_size: 0
    .sgpr_count:     40
    .sgpr_spill_count: 0
    .symbol:         _ZN4vllm25paged_attention_v2_kernelIttLi96ELi32ELi128ELNS_18Fp8KVCacheDataTypeE0ELb0ELi512EEEvPfS2_PT_PKS3_PKT0_S9_ifPKiSB_iPKfiiiSD_SD_iiiii.kd
    .uniform_work_group_size: 1
    .uses_dynamic_stack: false
    .vgpr_count:     83
    .vgpr_spill_count: 0
    .wavefront_size: 32
    .workgroup_processor_mode: 1
  - .args:
      - .actual_access:  write_only
        .address_space:  global
        .offset:         0
        .size:           8
        .value_kind:     global_buffer
      - .actual_access:  write_only
        .address_space:  global
        .offset:         8
        .size:           8
        .value_kind:     global_buffer
      - .actual_access:  write_only
        .address_space:  global
        .offset:         16
        .size:           8
        .value_kind:     global_buffer
      - .actual_access:  read_only
        .address_space:  global
        .offset:         24
        .size:           8
        .value_kind:     global_buffer
      - .actual_access:  read_only
        .address_space:  global
        .offset:         32
        .size:           8
        .value_kind:     global_buffer
      - .actual_access:  read_only
        .address_space:  global
        .offset:         40
        .size:           8
        .value_kind:     global_buffer
      - .offset:         48
        .size:           4
        .value_kind:     by_value
      - .offset:         52
        .size:           4
        .value_kind:     by_value
      - .actual_access:  read_only
        .address_space:  global
        .offset:         56
        .size:           8
        .value_kind:     global_buffer
      - .actual_access:  read_only
        .address_space:  global
        .offset:         64
        .size:           8
        .value_kind:     global_buffer
      - .offset:         72
        .size:           4
        .value_kind:     by_value
      - .actual_access:  read_only
        .address_space:  global
        .offset:         80
        .size:           8
        .value_kind:     global_buffer
      - .offset:         88
        .size:           4
        .value_kind:     by_value
      - .offset:         92
        .size:           4
        .value_kind:     by_value
      - .offset:         96
        .size:           4
        .value_kind:     by_value
      - .address_space:  global
        .offset:         104
        .size:           8
        .value_kind:     global_buffer
      - .address_space:  global
        .offset:         112
        .size:           8
        .value_kind:     global_buffer
      - .offset:         120
        .size:           4
        .value_kind:     by_value
      - .offset:         124
        .size:           4
        .value_kind:     by_value
      - .offset:         128
        .size:           4
        .value_kind:     by_value
      - .offset:         132
        .size:           4
        .value_kind:     by_value
      - .offset:         136
        .size:           4
        .value_kind:     by_value
      - .offset:         144
        .size:           4
        .value_kind:     hidden_block_count_x
      - .offset:         148
        .size:           4
        .value_kind:     hidden_block_count_y
      - .offset:         152
        .size:           4
        .value_kind:     hidden_block_count_z
      - .offset:         156
        .size:           2
        .value_kind:     hidden_group_size_x
      - .offset:         158
        .size:           2
        .value_kind:     hidden_group_size_y
      - .offset:         160
        .size:           2
        .value_kind:     hidden_group_size_z
      - .offset:         162
        .size:           2
        .value_kind:     hidden_remainder_x
      - .offset:         164
        .size:           2
        .value_kind:     hidden_remainder_y
      - .offset:         166
        .size:           2
        .value_kind:     hidden_remainder_z
      - .offset:         184
        .size:           8
        .value_kind:     hidden_global_offset_x
      - .offset:         192
        .size:           8
        .value_kind:     hidden_global_offset_y
      - .offset:         200
        .size:           8
        .value_kind:     hidden_global_offset_z
      - .offset:         208
        .size:           2
        .value_kind:     hidden_grid_dims
      - .offset:         264
        .size:           4
        .value_kind:     hidden_dynamic_lds_size
    .group_segment_fixed_size: 256
    .kernarg_segment_align: 8
    .kernarg_segment_size: 400
    .language:       OpenCL C
    .language_version:
      - 2
      - 0
    .max_flat_workgroup_size: 1024
    .name:           _ZN4vllm25paged_attention_v2_kernelIttLi112ELi32ELi128ELNS_18Fp8KVCacheDataTypeE0ELb0ELi512EEEvPfS2_PT_PKS3_PKT0_S9_ifPKiSB_iPKfiiiSD_SD_iiiii
    .private_segment_fixed_size: 0
    .sgpr_count:     40
    .sgpr_spill_count: 0
    .symbol:         _ZN4vllm25paged_attention_v2_kernelIttLi112ELi32ELi128ELNS_18Fp8KVCacheDataTypeE0ELb0ELi512EEEvPfS2_PT_PKS3_PKT0_S9_ifPKiSB_iPKfiiiSD_SD_iiiii.kd
    .uniform_work_group_size: 1
    .uses_dynamic_stack: false
    .vgpr_count:     91
    .vgpr_spill_count: 0
    .wavefront_size: 32
    .workgroup_processor_mode: 1
  - .args:
      - .actual_access:  write_only
        .address_space:  global
        .offset:         0
        .size:           8
        .value_kind:     global_buffer
      - .actual_access:  write_only
        .address_space:  global
        .offset:         8
        .size:           8
        .value_kind:     global_buffer
      - .actual_access:  write_only
        .address_space:  global
        .offset:         16
        .size:           8
        .value_kind:     global_buffer
      - .actual_access:  read_only
        .address_space:  global
        .offset:         24
        .size:           8
        .value_kind:     global_buffer
      - .actual_access:  read_only
        .address_space:  global
        .offset:         32
        .size:           8
        .value_kind:     global_buffer
      - .actual_access:  read_only
        .address_space:  global
        .offset:         40
        .size:           8
        .value_kind:     global_buffer
      - .offset:         48
        .size:           4
        .value_kind:     by_value
      - .offset:         52
        .size:           4
        .value_kind:     by_value
      - .actual_access:  read_only
        .address_space:  global
        .offset:         56
        .size:           8
        .value_kind:     global_buffer
      - .actual_access:  read_only
        .address_space:  global
        .offset:         64
        .size:           8
        .value_kind:     global_buffer
      - .offset:         72
        .size:           4
        .value_kind:     by_value
      - .actual_access:  read_only
        .address_space:  global
        .offset:         80
        .size:           8
        .value_kind:     global_buffer
      - .offset:         88
        .size:           4
        .value_kind:     by_value
      - .offset:         92
        .size:           4
        .value_kind:     by_value
      - .offset:         96
        .size:           4
        .value_kind:     by_value
      - .address_space:  global
        .offset:         104
        .size:           8
        .value_kind:     global_buffer
      - .address_space:  global
        .offset:         112
        .size:           8
        .value_kind:     global_buffer
      - .offset:         120
        .size:           4
        .value_kind:     by_value
      - .offset:         124
        .size:           4
        .value_kind:     by_value
      - .offset:         128
        .size:           4
        .value_kind:     by_value
      - .offset:         132
        .size:           4
        .value_kind:     by_value
      - .offset:         136
        .size:           4
        .value_kind:     by_value
      - .offset:         144
        .size:           4
        .value_kind:     hidden_block_count_x
      - .offset:         148
        .size:           4
        .value_kind:     hidden_block_count_y
      - .offset:         152
        .size:           4
        .value_kind:     hidden_block_count_z
      - .offset:         156
        .size:           2
        .value_kind:     hidden_group_size_x
      - .offset:         158
        .size:           2
        .value_kind:     hidden_group_size_y
      - .offset:         160
        .size:           2
        .value_kind:     hidden_group_size_z
      - .offset:         162
        .size:           2
        .value_kind:     hidden_remainder_x
      - .offset:         164
        .size:           2
        .value_kind:     hidden_remainder_y
      - .offset:         166
        .size:           2
        .value_kind:     hidden_remainder_z
      - .offset:         184
        .size:           8
        .value_kind:     hidden_global_offset_x
      - .offset:         192
        .size:           8
        .value_kind:     hidden_global_offset_y
      - .offset:         200
        .size:           8
        .value_kind:     hidden_global_offset_z
      - .offset:         208
        .size:           2
        .value_kind:     hidden_grid_dims
      - .offset:         264
        .size:           4
        .value_kind:     hidden_dynamic_lds_size
    .group_segment_fixed_size: 272
    .kernarg_segment_align: 8
    .kernarg_segment_size: 400
    .language:       OpenCL C
    .language_version:
      - 2
      - 0
    .max_flat_workgroup_size: 1024
    .name:           _ZN4vllm25paged_attention_v2_kernelIttLi120ELi32ELi128ELNS_18Fp8KVCacheDataTypeE0ELb0ELi512EEEvPfS2_PT_PKS3_PKT0_S9_ifPKiSB_iPKfiiiSD_SD_iiiii
    .private_segment_fixed_size: 0
    .sgpr_count:     40
    .sgpr_spill_count: 0
    .symbol:         _ZN4vllm25paged_attention_v2_kernelIttLi120ELi32ELi128ELNS_18Fp8KVCacheDataTypeE0ELb0ELi512EEEvPfS2_PT_PKS3_PKT0_S9_ifPKiSB_iPKfiiiSD_SD_iiiii.kd
    .uniform_work_group_size: 1
    .uses_dynamic_stack: false
    .vgpr_count:     95
    .vgpr_spill_count: 0
    .wavefront_size: 32
    .workgroup_processor_mode: 1
  - .args:
      - .actual_access:  write_only
        .address_space:  global
        .offset:         0
        .size:           8
        .value_kind:     global_buffer
      - .actual_access:  write_only
        .address_space:  global
        .offset:         8
        .size:           8
        .value_kind:     global_buffer
      - .actual_access:  write_only
        .address_space:  global
        .offset:         16
        .size:           8
        .value_kind:     global_buffer
      - .actual_access:  read_only
        .address_space:  global
        .offset:         24
        .size:           8
        .value_kind:     global_buffer
      - .actual_access:  read_only
        .address_space:  global
        .offset:         32
        .size:           8
        .value_kind:     global_buffer
      - .actual_access:  read_only
        .address_space:  global
        .offset:         40
        .size:           8
        .value_kind:     global_buffer
      - .offset:         48
        .size:           4
        .value_kind:     by_value
      - .offset:         52
        .size:           4
        .value_kind:     by_value
      - .actual_access:  read_only
        .address_space:  global
        .offset:         56
        .size:           8
        .value_kind:     global_buffer
      - .actual_access:  read_only
        .address_space:  global
        .offset:         64
        .size:           8
        .value_kind:     global_buffer
      - .offset:         72
        .size:           4
        .value_kind:     by_value
      - .actual_access:  read_only
        .address_space:  global
        .offset:         80
        .size:           8
        .value_kind:     global_buffer
      - .offset:         88
        .size:           4
        .value_kind:     by_value
      - .offset:         92
        .size:           4
        .value_kind:     by_value
      - .offset:         96
        .size:           4
        .value_kind:     by_value
      - .address_space:  global
        .offset:         104
        .size:           8
        .value_kind:     global_buffer
      - .address_space:  global
        .offset:         112
        .size:           8
        .value_kind:     global_buffer
      - .offset:         120
        .size:           4
        .value_kind:     by_value
      - .offset:         124
        .size:           4
        .value_kind:     by_value
      - .offset:         128
        .size:           4
        .value_kind:     by_value
      - .offset:         132
        .size:           4
        .value_kind:     by_value
      - .offset:         136
        .size:           4
        .value_kind:     by_value
      - .offset:         144
        .size:           4
        .value_kind:     hidden_block_count_x
      - .offset:         148
        .size:           4
        .value_kind:     hidden_block_count_y
      - .offset:         152
        .size:           4
        .value_kind:     hidden_block_count_z
      - .offset:         156
        .size:           2
        .value_kind:     hidden_group_size_x
      - .offset:         158
        .size:           2
        .value_kind:     hidden_group_size_y
      - .offset:         160
        .size:           2
        .value_kind:     hidden_group_size_z
      - .offset:         162
        .size:           2
        .value_kind:     hidden_remainder_x
      - .offset:         164
        .size:           2
        .value_kind:     hidden_remainder_y
      - .offset:         166
        .size:           2
        .value_kind:     hidden_remainder_z
      - .offset:         184
        .size:           8
        .value_kind:     hidden_global_offset_x
      - .offset:         192
        .size:           8
        .value_kind:     hidden_global_offset_y
      - .offset:         200
        .size:           8
        .value_kind:     hidden_global_offset_z
      - .offset:         208
        .size:           2
        .value_kind:     hidden_grid_dims
      - .offset:         264
        .size:           4
        .value_kind:     hidden_dynamic_lds_size
    .group_segment_fixed_size: 288
    .kernarg_segment_align: 8
    .kernarg_segment_size: 400
    .language:       OpenCL C
    .language_version:
      - 2
      - 0
    .max_flat_workgroup_size: 1024
    .name:           _ZN4vllm25paged_attention_v2_kernelIttLi128ELi32ELi128ELNS_18Fp8KVCacheDataTypeE0ELb0ELi512EEEvPfS2_PT_PKS3_PKT0_S9_ifPKiSB_iPKfiiiSD_SD_iiiii
    .private_segment_fixed_size: 0
    .sgpr_count:     40
    .sgpr_spill_count: 0
    .symbol:         _ZN4vllm25paged_attention_v2_kernelIttLi128ELi32ELi128ELNS_18Fp8KVCacheDataTypeE0ELb0ELi512EEEvPfS2_PT_PKS3_PKT0_S9_ifPKiSB_iPKfiiiSD_SD_iiiii.kd
    .uniform_work_group_size: 1
    .uses_dynamic_stack: false
    .vgpr_count:     99
    .vgpr_spill_count: 0
    .wavefront_size: 32
    .workgroup_processor_mode: 1
  - .args:
      - .actual_access:  write_only
        .address_space:  global
        .offset:         0
        .size:           8
        .value_kind:     global_buffer
      - .actual_access:  write_only
        .address_space:  global
        .offset:         8
        .size:           8
        .value_kind:     global_buffer
      - .actual_access:  write_only
        .address_space:  global
        .offset:         16
        .size:           8
        .value_kind:     global_buffer
      - .actual_access:  read_only
        .address_space:  global
        .offset:         24
        .size:           8
        .value_kind:     global_buffer
      - .actual_access:  read_only
        .address_space:  global
        .offset:         32
        .size:           8
        .value_kind:     global_buffer
      - .actual_access:  read_only
        .address_space:  global
        .offset:         40
        .size:           8
        .value_kind:     global_buffer
      - .offset:         48
        .size:           4
        .value_kind:     by_value
      - .offset:         52
        .size:           4
        .value_kind:     by_value
      - .actual_access:  read_only
        .address_space:  global
        .offset:         56
        .size:           8
        .value_kind:     global_buffer
      - .actual_access:  read_only
        .address_space:  global
        .offset:         64
        .size:           8
        .value_kind:     global_buffer
      - .offset:         72
        .size:           4
        .value_kind:     by_value
      - .actual_access:  read_only
        .address_space:  global
        .offset:         80
        .size:           8
        .value_kind:     global_buffer
      - .offset:         88
        .size:           4
        .value_kind:     by_value
      - .offset:         92
        .size:           4
        .value_kind:     by_value
      - .offset:         96
        .size:           4
        .value_kind:     by_value
      - .address_space:  global
        .offset:         104
        .size:           8
        .value_kind:     global_buffer
      - .address_space:  global
        .offset:         112
        .size:           8
        .value_kind:     global_buffer
      - .offset:         120
        .size:           4
        .value_kind:     by_value
      - .offset:         124
        .size:           4
        .value_kind:     by_value
      - .offset:         128
        .size:           4
        .value_kind:     by_value
      - .offset:         132
        .size:           4
        .value_kind:     by_value
      - .offset:         136
        .size:           4
        .value_kind:     by_value
      - .offset:         144
        .size:           4
        .value_kind:     hidden_block_count_x
      - .offset:         148
        .size:           4
        .value_kind:     hidden_block_count_y
      - .offset:         152
        .size:           4
        .value_kind:     hidden_block_count_z
      - .offset:         156
        .size:           2
        .value_kind:     hidden_group_size_x
      - .offset:         158
        .size:           2
        .value_kind:     hidden_group_size_y
      - .offset:         160
        .size:           2
        .value_kind:     hidden_group_size_z
      - .offset:         162
        .size:           2
        .value_kind:     hidden_remainder_x
      - .offset:         164
        .size:           2
        .value_kind:     hidden_remainder_y
      - .offset:         166
        .size:           2
        .value_kind:     hidden_remainder_z
      - .offset:         184
        .size:           8
        .value_kind:     hidden_global_offset_x
      - .offset:         192
        .size:           8
        .value_kind:     hidden_global_offset_y
      - .offset:         200
        .size:           8
        .value_kind:     hidden_global_offset_z
      - .offset:         208
        .size:           2
        .value_kind:     hidden_grid_dims
      - .offset:         264
        .size:           4
        .value_kind:     hidden_dynamic_lds_size
    .group_segment_fixed_size: 416
    .kernarg_segment_align: 8
    .kernarg_segment_size: 400
    .language:       OpenCL C
    .language_version:
      - 2
      - 0
    .max_flat_workgroup_size: 1024
    .name:           _ZN4vllm25paged_attention_v2_kernelIttLi192ELi32ELi128ELNS_18Fp8KVCacheDataTypeE0ELb0ELi512EEEvPfS2_PT_PKS3_PKT0_S9_ifPKiSB_iPKfiiiSD_SD_iiiii
    .private_segment_fixed_size: 0
    .sgpr_count:     40
    .sgpr_spill_count: 0
    .symbol:         _ZN4vllm25paged_attention_v2_kernelIttLi192ELi32ELi128ELNS_18Fp8KVCacheDataTypeE0ELb0ELi512EEEvPfS2_PT_PKS3_PKT0_S9_ifPKiSB_iPKfiiiSD_SD_iiiii.kd
    .uniform_work_group_size: 1
    .uses_dynamic_stack: false
    .vgpr_count:     128
    .vgpr_spill_count: 0
    .wavefront_size: 32
    .workgroup_processor_mode: 1
  - .args:
      - .actual_access:  write_only
        .address_space:  global
        .offset:         0
        .size:           8
        .value_kind:     global_buffer
      - .actual_access:  write_only
        .address_space:  global
        .offset:         8
        .size:           8
        .value_kind:     global_buffer
      - .actual_access:  write_only
        .address_space:  global
        .offset:         16
        .size:           8
        .value_kind:     global_buffer
      - .actual_access:  read_only
        .address_space:  global
        .offset:         24
        .size:           8
        .value_kind:     global_buffer
      - .actual_access:  read_only
        .address_space:  global
        .offset:         32
        .size:           8
        .value_kind:     global_buffer
      - .actual_access:  read_only
        .address_space:  global
        .offset:         40
        .size:           8
        .value_kind:     global_buffer
      - .offset:         48
        .size:           4
        .value_kind:     by_value
      - .offset:         52
        .size:           4
        .value_kind:     by_value
      - .actual_access:  read_only
        .address_space:  global
        .offset:         56
        .size:           8
        .value_kind:     global_buffer
      - .actual_access:  read_only
        .address_space:  global
        .offset:         64
        .size:           8
        .value_kind:     global_buffer
      - .offset:         72
        .size:           4
        .value_kind:     by_value
      - .actual_access:  read_only
        .address_space:  global
        .offset:         80
        .size:           8
        .value_kind:     global_buffer
      - .offset:         88
        .size:           4
        .value_kind:     by_value
      - .offset:         92
        .size:           4
        .value_kind:     by_value
      - .offset:         96
        .size:           4
        .value_kind:     by_value
      - .address_space:  global
        .offset:         104
        .size:           8
        .value_kind:     global_buffer
      - .address_space:  global
        .offset:         112
        .size:           8
        .value_kind:     global_buffer
      - .offset:         120
        .size:           4
        .value_kind:     by_value
      - .offset:         124
        .size:           4
        .value_kind:     by_value
      - .offset:         128
        .size:           4
        .value_kind:     by_value
      - .offset:         132
        .size:           4
        .value_kind:     by_value
      - .offset:         136
        .size:           4
        .value_kind:     by_value
      - .offset:         144
        .size:           4
        .value_kind:     hidden_block_count_x
      - .offset:         148
        .size:           4
        .value_kind:     hidden_block_count_y
      - .offset:         152
        .size:           4
        .value_kind:     hidden_block_count_z
      - .offset:         156
        .size:           2
        .value_kind:     hidden_group_size_x
      - .offset:         158
        .size:           2
        .value_kind:     hidden_group_size_y
      - .offset:         160
        .size:           2
        .value_kind:     hidden_group_size_z
      - .offset:         162
        .size:           2
        .value_kind:     hidden_remainder_x
      - .offset:         164
        .size:           2
        .value_kind:     hidden_remainder_y
      - .offset:         166
        .size:           2
        .value_kind:     hidden_remainder_z
      - .offset:         184
        .size:           8
        .value_kind:     hidden_global_offset_x
      - .offset:         192
        .size:           8
        .value_kind:     hidden_global_offset_y
      - .offset:         200
        .size:           8
        .value_kind:     hidden_global_offset_z
      - .offset:         208
        .size:           2
        .value_kind:     hidden_grid_dims
      - .offset:         264
        .size:           4
        .value_kind:     hidden_dynamic_lds_size
    .group_segment_fixed_size: 544
    .kernarg_segment_align: 8
    .kernarg_segment_size: 400
    .language:       OpenCL C
    .language_version:
      - 2
      - 0
    .max_flat_workgroup_size: 1024
    .name:           _ZN4vllm25paged_attention_v2_kernelIttLi256ELi32ELi128ELNS_18Fp8KVCacheDataTypeE0ELb0ELi512EEEvPfS2_PT_PKS3_PKT0_S9_ifPKiSB_iPKfiiiSD_SD_iiiii
    .private_segment_fixed_size: 144
    .sgpr_count:     46
    .sgpr_spill_count: 0
    .symbol:         _ZN4vllm25paged_attention_v2_kernelIttLi256ELi32ELi128ELNS_18Fp8KVCacheDataTypeE0ELb0ELi512EEEvPfS2_PT_PKS3_PKT0_S9_ifPKiSB_iPKfiiiSD_SD_iiiii.kd
    .uniform_work_group_size: 1
    .uses_dynamic_stack: false
    .vgpr_count:     128
    .vgpr_spill_count: 35
    .wavefront_size: 32
    .workgroup_processor_mode: 1
  - .args:
      - .actual_access:  write_only
        .address_space:  global
        .offset:         0
        .size:           8
        .value_kind:     global_buffer
      - .actual_access:  write_only
        .address_space:  global
        .offset:         8
        .size:           8
        .value_kind:     global_buffer
      - .actual_access:  write_only
        .address_space:  global
        .offset:         16
        .size:           8
        .value_kind:     global_buffer
      - .actual_access:  read_only
        .address_space:  global
        .offset:         24
        .size:           8
        .value_kind:     global_buffer
      - .actual_access:  read_only
        .address_space:  global
        .offset:         32
        .size:           8
        .value_kind:     global_buffer
      - .actual_access:  read_only
        .address_space:  global
        .offset:         40
        .size:           8
        .value_kind:     global_buffer
      - .offset:         48
        .size:           4
        .value_kind:     by_value
      - .offset:         52
        .size:           4
        .value_kind:     by_value
      - .actual_access:  read_only
        .address_space:  global
        .offset:         56
        .size:           8
        .value_kind:     global_buffer
      - .actual_access:  read_only
        .address_space:  global
        .offset:         64
        .size:           8
        .value_kind:     global_buffer
      - .offset:         72
        .size:           4
        .value_kind:     by_value
      - .actual_access:  read_only
        .address_space:  global
        .offset:         80
        .size:           8
        .value_kind:     global_buffer
      - .offset:         88
        .size:           4
        .value_kind:     by_value
      - .offset:         92
        .size:           4
        .value_kind:     by_value
      - .offset:         96
        .size:           4
        .value_kind:     by_value
      - .address_space:  global
        .offset:         104
        .size:           8
        .value_kind:     global_buffer
      - .address_space:  global
        .offset:         112
        .size:           8
        .value_kind:     global_buffer
      - .offset:         120
        .size:           4
        .value_kind:     by_value
      - .offset:         124
        .size:           4
        .value_kind:     by_value
      - .offset:         128
        .size:           4
        .value_kind:     by_value
      - .offset:         132
        .size:           4
        .value_kind:     by_value
      - .offset:         136
        .size:           4
        .value_kind:     by_value
      - .offset:         144
        .size:           4
        .value_kind:     hidden_block_count_x
      - .offset:         148
        .size:           4
        .value_kind:     hidden_block_count_y
      - .offset:         152
        .size:           4
        .value_kind:     hidden_block_count_z
      - .offset:         156
        .size:           2
        .value_kind:     hidden_group_size_x
      - .offset:         158
        .size:           2
        .value_kind:     hidden_group_size_y
      - .offset:         160
        .size:           2
        .value_kind:     hidden_group_size_z
      - .offset:         162
        .size:           2
        .value_kind:     hidden_remainder_x
      - .offset:         164
        .size:           2
        .value_kind:     hidden_remainder_y
      - .offset:         166
        .size:           2
        .value_kind:     hidden_remainder_z
      - .offset:         184
        .size:           8
        .value_kind:     hidden_global_offset_x
      - .offset:         192
        .size:           8
        .value_kind:     hidden_global_offset_y
      - .offset:         200
        .size:           8
        .value_kind:     hidden_global_offset_z
      - .offset:         208
        .size:           2
        .value_kind:     hidden_grid_dims
      - .offset:         264
        .size:           4
        .value_kind:     hidden_dynamic_lds_size
    .group_segment_fixed_size: 96
    .kernarg_segment_align: 8
    .kernarg_segment_size: 400
    .language:       OpenCL C
    .language_version:
      - 2
      - 0
    .max_flat_workgroup_size: 1024
    .name:           _ZN4vllm25paged_attention_v2_kernelI14__hip_bfloat16S1_Li32ELi8ELi128ELNS_18Fp8KVCacheDataTypeE0ELb1ELi512EEEvPfS3_PT_PKS4_PKT0_SA_ifPKiSC_iPKfiiiSE_SE_iiiii
    .private_segment_fixed_size: 0
    .sgpr_count:     48
    .sgpr_spill_count: 0
    .symbol:         _ZN4vllm25paged_attention_v2_kernelI14__hip_bfloat16S1_Li32ELi8ELi128ELNS_18Fp8KVCacheDataTypeE0ELb1ELi512EEEvPfS3_PT_PKS4_PKT0_SA_ifPKiSC_iPKfiiiSE_SE_iiiii.kd
    .uniform_work_group_size: 1
    .uses_dynamic_stack: false
    .vgpr_count:     35
    .vgpr_spill_count: 0
    .wavefront_size: 32
    .workgroup_processor_mode: 1
  - .args:
      - .actual_access:  write_only
        .address_space:  global
        .offset:         0
        .size:           8
        .value_kind:     global_buffer
      - .actual_access:  read_only
        .address_space:  global
        .offset:         8
        .size:           8
        .value_kind:     global_buffer
      - .actual_access:  read_only
        .address_space:  global
        .offset:         16
        .size:           8
        .value_kind:     global_buffer
      - .actual_access:  read_only
        .address_space:  global
        .offset:         24
        .size:           8
        .value_kind:     global_buffer
      - .actual_access:  read_only
        .address_space:  global
        .offset:         32
        .size:           8
        .value_kind:     global_buffer
      - .offset:         40
        .size:           4
        .value_kind:     by_value
      - .offset:         48
        .size:           4
        .value_kind:     hidden_block_count_x
      - .offset:         52
        .size:           4
        .value_kind:     hidden_block_count_y
      - .offset:         56
        .size:           4
        .value_kind:     hidden_block_count_z
      - .offset:         60
        .size:           2
        .value_kind:     hidden_group_size_x
      - .offset:         62
        .size:           2
        .value_kind:     hidden_group_size_y
      - .offset:         64
        .size:           2
        .value_kind:     hidden_group_size_z
      - .offset:         66
        .size:           2
        .value_kind:     hidden_remainder_x
      - .offset:         68
        .size:           2
        .value_kind:     hidden_remainder_y
      - .offset:         70
        .size:           2
        .value_kind:     hidden_remainder_z
      - .offset:         88
        .size:           8
        .value_kind:     hidden_global_offset_x
      - .offset:         96
        .size:           8
        .value_kind:     hidden_global_offset_y
      - .offset:         104
        .size:           8
        .value_kind:     hidden_global_offset_z
      - .offset:         112
        .size:           2
        .value_kind:     hidden_grid_dims
      - .offset:         168
        .size:           4
        .value_kind:     hidden_dynamic_lds_size
    .group_segment_fixed_size: 32
    .kernarg_segment_align: 8
    .kernarg_segment_size: 304
    .language:       OpenCL C
    .language_version:
      - 2
      - 0
    .max_flat_workgroup_size: 1024
    .name:           _ZN4vllm32paged_attention_v2_reduce_kernelI14__hip_bfloat16Li32ELi128ELi512EEEvPT_PKfS5_PKS2_PKii
    .private_segment_fixed_size: 0
    .sgpr_count:     32
    .sgpr_spill_count: 0
    .symbol:         _ZN4vllm32paged_attention_v2_reduce_kernelI14__hip_bfloat16Li32ELi128ELi512EEEvPT_PKfS5_PKS2_PKii.kd
    .uniform_work_group_size: 1
    .uses_dynamic_stack: false
    .vgpr_count:     19
    .vgpr_spill_count: 0
    .wavefront_size: 32
    .workgroup_processor_mode: 1
  - .args:
      - .actual_access:  write_only
        .address_space:  global
        .offset:         0
        .size:           8
        .value_kind:     global_buffer
      - .actual_access:  write_only
        .address_space:  global
        .offset:         8
        .size:           8
        .value_kind:     global_buffer
      - .actual_access:  write_only
        .address_space:  global
        .offset:         16
        .size:           8
        .value_kind:     global_buffer
      - .actual_access:  read_only
        .address_space:  global
        .offset:         24
        .size:           8
        .value_kind:     global_buffer
      - .actual_access:  read_only
        .address_space:  global
        .offset:         32
        .size:           8
        .value_kind:     global_buffer
      - .actual_access:  read_only
        .address_space:  global
        .offset:         40
        .size:           8
        .value_kind:     global_buffer
      - .offset:         48
        .size:           4
        .value_kind:     by_value
      - .offset:         52
        .size:           4
        .value_kind:     by_value
      - .actual_access:  read_only
        .address_space:  global
        .offset:         56
        .size:           8
        .value_kind:     global_buffer
      - .actual_access:  read_only
        .address_space:  global
        .offset:         64
        .size:           8
        .value_kind:     global_buffer
      - .offset:         72
        .size:           4
        .value_kind:     by_value
      - .actual_access:  read_only
        .address_space:  global
        .offset:         80
        .size:           8
        .value_kind:     global_buffer
      - .offset:         88
        .size:           4
        .value_kind:     by_value
      - .offset:         92
        .size:           4
        .value_kind:     by_value
      - .offset:         96
        .size:           4
        .value_kind:     by_value
      - .address_space:  global
        .offset:         104
        .size:           8
        .value_kind:     global_buffer
      - .address_space:  global
        .offset:         112
        .size:           8
        .value_kind:     global_buffer
      - .offset:         120
        .size:           4
        .value_kind:     by_value
      - .offset:         124
        .size:           4
        .value_kind:     by_value
      - .offset:         128
        .size:           4
        .value_kind:     by_value
      - .offset:         132
        .size:           4
        .value_kind:     by_value
      - .offset:         136
        .size:           4
        .value_kind:     by_value
      - .offset:         144
        .size:           4
        .value_kind:     hidden_block_count_x
      - .offset:         148
        .size:           4
        .value_kind:     hidden_block_count_y
      - .offset:         152
        .size:           4
        .value_kind:     hidden_block_count_z
      - .offset:         156
        .size:           2
        .value_kind:     hidden_group_size_x
      - .offset:         158
        .size:           2
        .value_kind:     hidden_group_size_y
      - .offset:         160
        .size:           2
        .value_kind:     hidden_group_size_z
      - .offset:         162
        .size:           2
        .value_kind:     hidden_remainder_x
      - .offset:         164
        .size:           2
        .value_kind:     hidden_remainder_y
      - .offset:         166
        .size:           2
        .value_kind:     hidden_remainder_z
      - .offset:         184
        .size:           8
        .value_kind:     hidden_global_offset_x
      - .offset:         192
        .size:           8
        .value_kind:     hidden_global_offset_y
      - .offset:         200
        .size:           8
        .value_kind:     hidden_global_offset_z
      - .offset:         208
        .size:           2
        .value_kind:     hidden_grid_dims
      - .offset:         264
        .size:           4
        .value_kind:     hidden_dynamic_lds_size
    .group_segment_fixed_size: 160
    .kernarg_segment_align: 8
    .kernarg_segment_size: 400
    .language:       OpenCL C
    .language_version:
      - 2
      - 0
    .max_flat_workgroup_size: 1024
    .name:           _ZN4vllm25paged_attention_v2_kernelI14__hip_bfloat16S1_Li64ELi8ELi128ELNS_18Fp8KVCacheDataTypeE0ELb1ELi512EEEvPfS3_PT_PKS4_PKT0_SA_ifPKiSC_iPKfiiiSE_SE_iiiii
    .private_segment_fixed_size: 0
    .sgpr_count:     48
    .sgpr_spill_count: 0
    .symbol:         _ZN4vllm25paged_attention_v2_kernelI14__hip_bfloat16S1_Li64ELi8ELi128ELNS_18Fp8KVCacheDataTypeE0ELb1ELi512EEEvPfS3_PT_PKS4_PKT0_SA_ifPKiSC_iPKfiiiSE_SE_iiiii.kd
    .uniform_work_group_size: 1
    .uses_dynamic_stack: false
    .vgpr_count:     47
    .vgpr_spill_count: 0
    .wavefront_size: 32
    .workgroup_processor_mode: 1
  - .args:
      - .actual_access:  write_only
        .address_space:  global
        .offset:         0
        .size:           8
        .value_kind:     global_buffer
      - .actual_access:  read_only
        .address_space:  global
        .offset:         8
        .size:           8
        .value_kind:     global_buffer
      - .actual_access:  read_only
        .address_space:  global
        .offset:         16
        .size:           8
        .value_kind:     global_buffer
      - .actual_access:  read_only
        .address_space:  global
        .offset:         24
        .size:           8
        .value_kind:     global_buffer
      - .actual_access:  read_only
        .address_space:  global
        .offset:         32
        .size:           8
        .value_kind:     global_buffer
      - .offset:         40
        .size:           4
        .value_kind:     by_value
      - .offset:         48
        .size:           4
        .value_kind:     hidden_block_count_x
      - .offset:         52
        .size:           4
        .value_kind:     hidden_block_count_y
      - .offset:         56
        .size:           4
        .value_kind:     hidden_block_count_z
      - .offset:         60
        .size:           2
        .value_kind:     hidden_group_size_x
      - .offset:         62
        .size:           2
        .value_kind:     hidden_group_size_y
      - .offset:         64
        .size:           2
        .value_kind:     hidden_group_size_z
      - .offset:         66
        .size:           2
        .value_kind:     hidden_remainder_x
      - .offset:         68
        .size:           2
        .value_kind:     hidden_remainder_y
      - .offset:         70
        .size:           2
        .value_kind:     hidden_remainder_z
      - .offset:         88
        .size:           8
        .value_kind:     hidden_global_offset_x
      - .offset:         96
        .size:           8
        .value_kind:     hidden_global_offset_y
      - .offset:         104
        .size:           8
        .value_kind:     hidden_global_offset_z
      - .offset:         112
        .size:           2
        .value_kind:     hidden_grid_dims
      - .offset:         168
        .size:           4
        .value_kind:     hidden_dynamic_lds_size
    .group_segment_fixed_size: 32
    .kernarg_segment_align: 8
    .kernarg_segment_size: 304
    .language:       OpenCL C
    .language_version:
      - 2
      - 0
    .max_flat_workgroup_size: 1024
    .name:           _ZN4vllm32paged_attention_v2_reduce_kernelI14__hip_bfloat16Li64ELi128ELi512EEEvPT_PKfS5_PKS2_PKii
    .private_segment_fixed_size: 0
    .sgpr_count:     32
    .sgpr_spill_count: 0
    .symbol:         _ZN4vllm32paged_attention_v2_reduce_kernelI14__hip_bfloat16Li64ELi128ELi512EEEvPT_PKfS5_PKS2_PKii.kd
    .uniform_work_group_size: 1
    .uses_dynamic_stack: false
    .vgpr_count:     19
    .vgpr_spill_count: 0
    .wavefront_size: 32
    .workgroup_processor_mode: 1
  - .args:
      - .actual_access:  write_only
        .address_space:  global
        .offset:         0
        .size:           8
        .value_kind:     global_buffer
      - .actual_access:  write_only
        .address_space:  global
        .offset:         8
        .size:           8
        .value_kind:     global_buffer
      - .actual_access:  write_only
        .address_space:  global
        .offset:         16
        .size:           8
        .value_kind:     global_buffer
      - .actual_access:  read_only
        .address_space:  global
        .offset:         24
        .size:           8
        .value_kind:     global_buffer
      - .actual_access:  read_only
        .address_space:  global
        .offset:         32
        .size:           8
        .value_kind:     global_buffer
      - .actual_access:  read_only
        .address_space:  global
        .offset:         40
        .size:           8
        .value_kind:     global_buffer
      - .offset:         48
        .size:           4
        .value_kind:     by_value
      - .offset:         52
        .size:           4
        .value_kind:     by_value
      - .actual_access:  read_only
        .address_space:  global
        .offset:         56
        .size:           8
        .value_kind:     global_buffer
      - .actual_access:  read_only
        .address_space:  global
        .offset:         64
        .size:           8
        .value_kind:     global_buffer
      - .offset:         72
        .size:           4
        .value_kind:     by_value
      - .actual_access:  read_only
        .address_space:  global
        .offset:         80
        .size:           8
        .value_kind:     global_buffer
      - .offset:         88
        .size:           4
        .value_kind:     by_value
      - .offset:         92
        .size:           4
        .value_kind:     by_value
      - .offset:         96
        .size:           4
        .value_kind:     by_value
      - .address_space:  global
        .offset:         104
        .size:           8
        .value_kind:     global_buffer
      - .address_space:  global
        .offset:         112
        .size:           8
        .value_kind:     global_buffer
      - .offset:         120
        .size:           4
        .value_kind:     by_value
      - .offset:         124
        .size:           4
        .value_kind:     by_value
      - .offset:         128
        .size:           4
        .value_kind:     by_value
      - .offset:         132
        .size:           4
        .value_kind:     by_value
      - .offset:         136
        .size:           4
        .value_kind:     by_value
      - .offset:         144
        .size:           4
        .value_kind:     hidden_block_count_x
      - .offset:         148
        .size:           4
        .value_kind:     hidden_block_count_y
      - .offset:         152
        .size:           4
        .value_kind:     hidden_block_count_z
      - .offset:         156
        .size:           2
        .value_kind:     hidden_group_size_x
      - .offset:         158
        .size:           2
        .value_kind:     hidden_group_size_y
      - .offset:         160
        .size:           2
        .value_kind:     hidden_group_size_z
      - .offset:         162
        .size:           2
        .value_kind:     hidden_remainder_x
      - .offset:         164
        .size:           2
        .value_kind:     hidden_remainder_y
      - .offset:         166
        .size:           2
        .value_kind:     hidden_remainder_z
      - .offset:         184
        .size:           8
        .value_kind:     hidden_global_offset_x
      - .offset:         192
        .size:           8
        .value_kind:     hidden_global_offset_y
      - .offset:         200
        .size:           8
        .value_kind:     hidden_global_offset_z
      - .offset:         208
        .size:           2
        .value_kind:     hidden_grid_dims
      - .offset:         264
        .size:           4
        .value_kind:     hidden_dynamic_lds_size
    .group_segment_fixed_size: 192
    .kernarg_segment_align: 8
    .kernarg_segment_size: 400
    .language:       OpenCL C
    .language_version:
      - 2
      - 0
    .max_flat_workgroup_size: 1024
    .name:           _ZN4vllm25paged_attention_v2_kernelI14__hip_bfloat16S1_Li80ELi8ELi128ELNS_18Fp8KVCacheDataTypeE0ELb1ELi512EEEvPfS3_PT_PKS4_PKT0_SA_ifPKiSC_iPKfiiiSE_SE_iiiii
    .private_segment_fixed_size: 0
    .sgpr_count:     48
    .sgpr_spill_count: 0
    .symbol:         _ZN4vllm25paged_attention_v2_kernelI14__hip_bfloat16S1_Li80ELi8ELi128ELNS_18Fp8KVCacheDataTypeE0ELb1ELi512EEEvPfS3_PT_PKS4_PKT0_SA_ifPKiSC_iPKfiiiSE_SE_iiiii.kd
    .uniform_work_group_size: 1
    .uses_dynamic_stack: false
    .vgpr_count:     53
    .vgpr_spill_count: 0
    .wavefront_size: 32
    .workgroup_processor_mode: 1
  - .args:
      - .actual_access:  write_only
        .address_space:  global
        .offset:         0
        .size:           8
        .value_kind:     global_buffer
      - .actual_access:  read_only
        .address_space:  global
        .offset:         8
        .size:           8
        .value_kind:     global_buffer
      - .actual_access:  read_only
        .address_space:  global
        .offset:         16
        .size:           8
        .value_kind:     global_buffer
      - .actual_access:  read_only
        .address_space:  global
        .offset:         24
        .size:           8
        .value_kind:     global_buffer
      - .actual_access:  read_only
        .address_space:  global
        .offset:         32
        .size:           8
        .value_kind:     global_buffer
      - .offset:         40
        .size:           4
        .value_kind:     by_value
      - .offset:         48
        .size:           4
        .value_kind:     hidden_block_count_x
      - .offset:         52
        .size:           4
        .value_kind:     hidden_block_count_y
      - .offset:         56
        .size:           4
        .value_kind:     hidden_block_count_z
      - .offset:         60
        .size:           2
        .value_kind:     hidden_group_size_x
      - .offset:         62
        .size:           2
        .value_kind:     hidden_group_size_y
      - .offset:         64
        .size:           2
        .value_kind:     hidden_group_size_z
      - .offset:         66
        .size:           2
        .value_kind:     hidden_remainder_x
      - .offset:         68
        .size:           2
        .value_kind:     hidden_remainder_y
      - .offset:         70
        .size:           2
        .value_kind:     hidden_remainder_z
      - .offset:         88
        .size:           8
        .value_kind:     hidden_global_offset_x
      - .offset:         96
        .size:           8
        .value_kind:     hidden_global_offset_y
      - .offset:         104
        .size:           8
        .value_kind:     hidden_global_offset_z
      - .offset:         112
        .size:           2
        .value_kind:     hidden_grid_dims
      - .offset:         168
        .size:           4
        .value_kind:     hidden_dynamic_lds_size
    .group_segment_fixed_size: 32
    .kernarg_segment_align: 8
    .kernarg_segment_size: 304
    .language:       OpenCL C
    .language_version:
      - 2
      - 0
    .max_flat_workgroup_size: 1024
    .name:           _ZN4vllm32paged_attention_v2_reduce_kernelI14__hip_bfloat16Li80ELi128ELi512EEEvPT_PKfS5_PKS2_PKii
    .private_segment_fixed_size: 0
    .sgpr_count:     32
    .sgpr_spill_count: 0
    .symbol:         _ZN4vllm32paged_attention_v2_reduce_kernelI14__hip_bfloat16Li80ELi128ELi512EEEvPT_PKfS5_PKS2_PKii.kd
    .uniform_work_group_size: 1
    .uses_dynamic_stack: false
    .vgpr_count:     19
    .vgpr_spill_count: 0
    .wavefront_size: 32
    .workgroup_processor_mode: 1
  - .args:
      - .actual_access:  write_only
        .address_space:  global
        .offset:         0
        .size:           8
        .value_kind:     global_buffer
      - .actual_access:  write_only
        .address_space:  global
        .offset:         8
        .size:           8
        .value_kind:     global_buffer
      - .actual_access:  write_only
        .address_space:  global
        .offset:         16
        .size:           8
        .value_kind:     global_buffer
      - .actual_access:  read_only
        .address_space:  global
        .offset:         24
        .size:           8
        .value_kind:     global_buffer
      - .actual_access:  read_only
        .address_space:  global
        .offset:         32
        .size:           8
        .value_kind:     global_buffer
      - .actual_access:  read_only
        .address_space:  global
        .offset:         40
        .size:           8
        .value_kind:     global_buffer
      - .offset:         48
        .size:           4
        .value_kind:     by_value
      - .offset:         52
        .size:           4
        .value_kind:     by_value
      - .actual_access:  read_only
        .address_space:  global
        .offset:         56
        .size:           8
        .value_kind:     global_buffer
      - .actual_access:  read_only
        .address_space:  global
        .offset:         64
        .size:           8
        .value_kind:     global_buffer
      - .offset:         72
        .size:           4
        .value_kind:     by_value
      - .actual_access:  read_only
        .address_space:  global
        .offset:         80
        .size:           8
        .value_kind:     global_buffer
      - .offset:         88
        .size:           4
        .value_kind:     by_value
      - .offset:         92
        .size:           4
        .value_kind:     by_value
      - .offset:         96
        .size:           4
        .value_kind:     by_value
      - .address_space:  global
        .offset:         104
        .size:           8
        .value_kind:     global_buffer
      - .address_space:  global
        .offset:         112
        .size:           8
        .value_kind:     global_buffer
      - .offset:         120
        .size:           4
        .value_kind:     by_value
      - .offset:         124
        .size:           4
        .value_kind:     by_value
      - .offset:         128
        .size:           4
        .value_kind:     by_value
      - .offset:         132
        .size:           4
        .value_kind:     by_value
      - .offset:         136
        .size:           4
        .value_kind:     by_value
      - .offset:         144
        .size:           4
        .value_kind:     hidden_block_count_x
      - .offset:         148
        .size:           4
        .value_kind:     hidden_block_count_y
      - .offset:         152
        .size:           4
        .value_kind:     hidden_block_count_z
      - .offset:         156
        .size:           2
        .value_kind:     hidden_group_size_x
      - .offset:         158
        .size:           2
        .value_kind:     hidden_group_size_y
      - .offset:         160
        .size:           2
        .value_kind:     hidden_group_size_z
      - .offset:         162
        .size:           2
        .value_kind:     hidden_remainder_x
      - .offset:         164
        .size:           2
        .value_kind:     hidden_remainder_y
      - .offset:         166
        .size:           2
        .value_kind:     hidden_remainder_z
      - .offset:         184
        .size:           8
        .value_kind:     hidden_global_offset_x
      - .offset:         192
        .size:           8
        .value_kind:     hidden_global_offset_y
      - .offset:         200
        .size:           8
        .value_kind:     hidden_global_offset_z
      - .offset:         208
        .size:           2
        .value_kind:     hidden_grid_dims
      - .offset:         264
        .size:           4
        .value_kind:     hidden_dynamic_lds_size
    .group_segment_fixed_size: 224
    .kernarg_segment_align: 8
    .kernarg_segment_size: 400
    .language:       OpenCL C
    .language_version:
      - 2
      - 0
    .max_flat_workgroup_size: 1024
    .name:           _ZN4vllm25paged_attention_v2_kernelI14__hip_bfloat16S1_Li96ELi8ELi128ELNS_18Fp8KVCacheDataTypeE0ELb1ELi512EEEvPfS3_PT_PKS4_PKT0_SA_ifPKiSC_iPKfiiiSE_SE_iiiii
    .private_segment_fixed_size: 0
    .sgpr_count:     48
    .sgpr_spill_count: 0
    .symbol:         _ZN4vllm25paged_attention_v2_kernelI14__hip_bfloat16S1_Li96ELi8ELi128ELNS_18Fp8KVCacheDataTypeE0ELb1ELi512EEEvPfS3_PT_PKS4_PKT0_SA_ifPKiSC_iPKfiiiSE_SE_iiiii.kd
    .uniform_work_group_size: 1
    .uses_dynamic_stack: false
    .vgpr_count:     59
    .vgpr_spill_count: 0
    .wavefront_size: 32
    .workgroup_processor_mode: 1
  - .args:
      - .actual_access:  write_only
        .address_space:  global
        .offset:         0
        .size:           8
        .value_kind:     global_buffer
      - .actual_access:  read_only
        .address_space:  global
        .offset:         8
        .size:           8
        .value_kind:     global_buffer
      - .actual_access:  read_only
        .address_space:  global
        .offset:         16
        .size:           8
        .value_kind:     global_buffer
      - .actual_access:  read_only
        .address_space:  global
        .offset:         24
        .size:           8
        .value_kind:     global_buffer
      - .actual_access:  read_only
        .address_space:  global
        .offset:         32
        .size:           8
        .value_kind:     global_buffer
      - .offset:         40
        .size:           4
        .value_kind:     by_value
      - .offset:         48
        .size:           4
        .value_kind:     hidden_block_count_x
      - .offset:         52
        .size:           4
        .value_kind:     hidden_block_count_y
      - .offset:         56
        .size:           4
        .value_kind:     hidden_block_count_z
      - .offset:         60
        .size:           2
        .value_kind:     hidden_group_size_x
      - .offset:         62
        .size:           2
        .value_kind:     hidden_group_size_y
      - .offset:         64
        .size:           2
        .value_kind:     hidden_group_size_z
      - .offset:         66
        .size:           2
        .value_kind:     hidden_remainder_x
      - .offset:         68
        .size:           2
        .value_kind:     hidden_remainder_y
      - .offset:         70
        .size:           2
        .value_kind:     hidden_remainder_z
      - .offset:         88
        .size:           8
        .value_kind:     hidden_global_offset_x
      - .offset:         96
        .size:           8
        .value_kind:     hidden_global_offset_y
      - .offset:         104
        .size:           8
        .value_kind:     hidden_global_offset_z
      - .offset:         112
        .size:           2
        .value_kind:     hidden_grid_dims
      - .offset:         168
        .size:           4
        .value_kind:     hidden_dynamic_lds_size
    .group_segment_fixed_size: 32
    .kernarg_segment_align: 8
    .kernarg_segment_size: 304
    .language:       OpenCL C
    .language_version:
      - 2
      - 0
    .max_flat_workgroup_size: 1024
    .name:           _ZN4vllm32paged_attention_v2_reduce_kernelI14__hip_bfloat16Li96ELi128ELi512EEEvPT_PKfS5_PKS2_PKii
    .private_segment_fixed_size: 0
    .sgpr_count:     32
    .sgpr_spill_count: 0
    .symbol:         _ZN4vllm32paged_attention_v2_reduce_kernelI14__hip_bfloat16Li96ELi128ELi512EEEvPT_PKfS5_PKS2_PKii.kd
    .uniform_work_group_size: 1
    .uses_dynamic_stack: false
    .vgpr_count:     19
    .vgpr_spill_count: 0
    .wavefront_size: 32
    .workgroup_processor_mode: 1
  - .args:
      - .actual_access:  write_only
        .address_space:  global
        .offset:         0
        .size:           8
        .value_kind:     global_buffer
      - .actual_access:  write_only
        .address_space:  global
        .offset:         8
        .size:           8
        .value_kind:     global_buffer
      - .actual_access:  write_only
        .address_space:  global
        .offset:         16
        .size:           8
        .value_kind:     global_buffer
      - .actual_access:  read_only
        .address_space:  global
        .offset:         24
        .size:           8
        .value_kind:     global_buffer
      - .actual_access:  read_only
        .address_space:  global
        .offset:         32
        .size:           8
        .value_kind:     global_buffer
      - .actual_access:  read_only
        .address_space:  global
        .offset:         40
        .size:           8
        .value_kind:     global_buffer
      - .offset:         48
        .size:           4
        .value_kind:     by_value
      - .offset:         52
        .size:           4
        .value_kind:     by_value
      - .actual_access:  read_only
        .address_space:  global
        .offset:         56
        .size:           8
        .value_kind:     global_buffer
      - .actual_access:  read_only
        .address_space:  global
        .offset:         64
        .size:           8
        .value_kind:     global_buffer
      - .offset:         72
        .size:           4
        .value_kind:     by_value
      - .actual_access:  read_only
        .address_space:  global
        .offset:         80
        .size:           8
        .value_kind:     global_buffer
      - .offset:         88
        .size:           4
        .value_kind:     by_value
      - .offset:         92
        .size:           4
        .value_kind:     by_value
      - .offset:         96
        .size:           4
        .value_kind:     by_value
      - .address_space:  global
        .offset:         104
        .size:           8
        .value_kind:     global_buffer
      - .address_space:  global
        .offset:         112
        .size:           8
        .value_kind:     global_buffer
      - .offset:         120
        .size:           4
        .value_kind:     by_value
      - .offset:         124
        .size:           4
        .value_kind:     by_value
      - .offset:         128
        .size:           4
        .value_kind:     by_value
      - .offset:         132
        .size:           4
        .value_kind:     by_value
      - .offset:         136
        .size:           4
        .value_kind:     by_value
      - .offset:         144
        .size:           4
        .value_kind:     hidden_block_count_x
      - .offset:         148
        .size:           4
        .value_kind:     hidden_block_count_y
      - .offset:         152
        .size:           4
        .value_kind:     hidden_block_count_z
      - .offset:         156
        .size:           2
        .value_kind:     hidden_group_size_x
      - .offset:         158
        .size:           2
        .value_kind:     hidden_group_size_y
      - .offset:         160
        .size:           2
        .value_kind:     hidden_group_size_z
      - .offset:         162
        .size:           2
        .value_kind:     hidden_remainder_x
      - .offset:         164
        .size:           2
        .value_kind:     hidden_remainder_y
      - .offset:         166
        .size:           2
        .value_kind:     hidden_remainder_z
      - .offset:         184
        .size:           8
        .value_kind:     hidden_global_offset_x
      - .offset:         192
        .size:           8
        .value_kind:     hidden_global_offset_y
      - .offset:         200
        .size:           8
        .value_kind:     hidden_global_offset_z
      - .offset:         208
        .size:           2
        .value_kind:     hidden_grid_dims
      - .offset:         264
        .size:           4
        .value_kind:     hidden_dynamic_lds_size
    .group_segment_fixed_size: 256
    .kernarg_segment_align: 8
    .kernarg_segment_size: 400
    .language:       OpenCL C
    .language_version:
      - 2
      - 0
    .max_flat_workgroup_size: 1024
    .name:           _ZN4vllm25paged_attention_v2_kernelI14__hip_bfloat16S1_Li112ELi8ELi128ELNS_18Fp8KVCacheDataTypeE0ELb1ELi512EEEvPfS3_PT_PKS4_PKT0_SA_ifPKiSC_iPKfiiiSE_SE_iiiii
    .private_segment_fixed_size: 0
    .sgpr_count:     54
    .sgpr_spill_count: 0
    .symbol:         _ZN4vllm25paged_attention_v2_kernelI14__hip_bfloat16S1_Li112ELi8ELi128ELNS_18Fp8KVCacheDataTypeE0ELb1ELi512EEEvPfS3_PT_PKS4_PKT0_SA_ifPKiSC_iPKfiiiSE_SE_iiiii.kd
    .uniform_work_group_size: 1
    .uses_dynamic_stack: false
    .vgpr_count:     65
    .vgpr_spill_count: 0
    .wavefront_size: 32
    .workgroup_processor_mode: 1
  - .args:
      - .actual_access:  write_only
        .address_space:  global
        .offset:         0
        .size:           8
        .value_kind:     global_buffer
      - .actual_access:  read_only
        .address_space:  global
        .offset:         8
        .size:           8
        .value_kind:     global_buffer
      - .actual_access:  read_only
        .address_space:  global
        .offset:         16
        .size:           8
        .value_kind:     global_buffer
      - .actual_access:  read_only
        .address_space:  global
        .offset:         24
        .size:           8
        .value_kind:     global_buffer
      - .actual_access:  read_only
        .address_space:  global
        .offset:         32
        .size:           8
        .value_kind:     global_buffer
      - .offset:         40
        .size:           4
        .value_kind:     by_value
      - .offset:         48
        .size:           4
        .value_kind:     hidden_block_count_x
      - .offset:         52
        .size:           4
        .value_kind:     hidden_block_count_y
      - .offset:         56
        .size:           4
        .value_kind:     hidden_block_count_z
      - .offset:         60
        .size:           2
        .value_kind:     hidden_group_size_x
      - .offset:         62
        .size:           2
        .value_kind:     hidden_group_size_y
      - .offset:         64
        .size:           2
        .value_kind:     hidden_group_size_z
      - .offset:         66
        .size:           2
        .value_kind:     hidden_remainder_x
      - .offset:         68
        .size:           2
        .value_kind:     hidden_remainder_y
      - .offset:         70
        .size:           2
        .value_kind:     hidden_remainder_z
      - .offset:         88
        .size:           8
        .value_kind:     hidden_global_offset_x
      - .offset:         96
        .size:           8
        .value_kind:     hidden_global_offset_y
      - .offset:         104
        .size:           8
        .value_kind:     hidden_global_offset_z
      - .offset:         112
        .size:           2
        .value_kind:     hidden_grid_dims
      - .offset:         168
        .size:           4
        .value_kind:     hidden_dynamic_lds_size
    .group_segment_fixed_size: 32
    .kernarg_segment_align: 8
    .kernarg_segment_size: 304
    .language:       OpenCL C
    .language_version:
      - 2
      - 0
    .max_flat_workgroup_size: 1024
    .name:           _ZN4vllm32paged_attention_v2_reduce_kernelI14__hip_bfloat16Li112ELi128ELi512EEEvPT_PKfS5_PKS2_PKii
    .private_segment_fixed_size: 0
    .sgpr_count:     32
    .sgpr_spill_count: 0
    .symbol:         _ZN4vllm32paged_attention_v2_reduce_kernelI14__hip_bfloat16Li112ELi128ELi512EEEvPT_PKfS5_PKS2_PKii.kd
    .uniform_work_group_size: 1
    .uses_dynamic_stack: false
    .vgpr_count:     19
    .vgpr_spill_count: 0
    .wavefront_size: 32
    .workgroup_processor_mode: 1
  - .args:
      - .actual_access:  write_only
        .address_space:  global
        .offset:         0
        .size:           8
        .value_kind:     global_buffer
      - .actual_access:  write_only
        .address_space:  global
        .offset:         8
        .size:           8
        .value_kind:     global_buffer
      - .actual_access:  write_only
        .address_space:  global
        .offset:         16
        .size:           8
        .value_kind:     global_buffer
      - .actual_access:  read_only
        .address_space:  global
        .offset:         24
        .size:           8
        .value_kind:     global_buffer
      - .actual_access:  read_only
        .address_space:  global
        .offset:         32
        .size:           8
        .value_kind:     global_buffer
      - .actual_access:  read_only
        .address_space:  global
        .offset:         40
        .size:           8
        .value_kind:     global_buffer
      - .offset:         48
        .size:           4
        .value_kind:     by_value
      - .offset:         52
        .size:           4
        .value_kind:     by_value
      - .actual_access:  read_only
        .address_space:  global
        .offset:         56
        .size:           8
        .value_kind:     global_buffer
      - .actual_access:  read_only
        .address_space:  global
        .offset:         64
        .size:           8
        .value_kind:     global_buffer
      - .offset:         72
        .size:           4
        .value_kind:     by_value
      - .actual_access:  read_only
        .address_space:  global
        .offset:         80
        .size:           8
        .value_kind:     global_buffer
      - .offset:         88
        .size:           4
        .value_kind:     by_value
      - .offset:         92
        .size:           4
        .value_kind:     by_value
      - .offset:         96
        .size:           4
        .value_kind:     by_value
      - .address_space:  global
        .offset:         104
        .size:           8
        .value_kind:     global_buffer
      - .address_space:  global
        .offset:         112
        .size:           8
        .value_kind:     global_buffer
      - .offset:         120
        .size:           4
        .value_kind:     by_value
      - .offset:         124
        .size:           4
        .value_kind:     by_value
      - .offset:         128
        .size:           4
        .value_kind:     by_value
      - .offset:         132
        .size:           4
        .value_kind:     by_value
      - .offset:         136
        .size:           4
        .value_kind:     by_value
      - .offset:         144
        .size:           4
        .value_kind:     hidden_block_count_x
      - .offset:         148
        .size:           4
        .value_kind:     hidden_block_count_y
      - .offset:         152
        .size:           4
        .value_kind:     hidden_block_count_z
      - .offset:         156
        .size:           2
        .value_kind:     hidden_group_size_x
      - .offset:         158
        .size:           2
        .value_kind:     hidden_group_size_y
      - .offset:         160
        .size:           2
        .value_kind:     hidden_group_size_z
      - .offset:         162
        .size:           2
        .value_kind:     hidden_remainder_x
      - .offset:         164
        .size:           2
        .value_kind:     hidden_remainder_y
      - .offset:         166
        .size:           2
        .value_kind:     hidden_remainder_z
      - .offset:         184
        .size:           8
        .value_kind:     hidden_global_offset_x
      - .offset:         192
        .size:           8
        .value_kind:     hidden_global_offset_y
      - .offset:         200
        .size:           8
        .value_kind:     hidden_global_offset_z
      - .offset:         208
        .size:           2
        .value_kind:     hidden_grid_dims
      - .offset:         264
        .size:           4
        .value_kind:     hidden_dynamic_lds_size
    .group_segment_fixed_size: 272
    .kernarg_segment_align: 8
    .kernarg_segment_size: 400
    .language:       OpenCL C
    .language_version:
      - 2
      - 0
    .max_flat_workgroup_size: 1024
    .name:           _ZN4vllm25paged_attention_v2_kernelI14__hip_bfloat16S1_Li120ELi8ELi128ELNS_18Fp8KVCacheDataTypeE0ELb1ELi512EEEvPfS3_PT_PKS4_PKT0_SA_ifPKiSC_iPKfiiiSE_SE_iiiii
    .private_segment_fixed_size: 0
    .sgpr_count:     54
    .sgpr_spill_count: 0
    .symbol:         _ZN4vllm25paged_attention_v2_kernelI14__hip_bfloat16S1_Li120ELi8ELi128ELNS_18Fp8KVCacheDataTypeE0ELb1ELi512EEEvPfS3_PT_PKS4_PKT0_SA_ifPKiSC_iPKfiiiSE_SE_iiiii.kd
    .uniform_work_group_size: 1
    .uses_dynamic_stack: false
    .vgpr_count:     68
    .vgpr_spill_count: 0
    .wavefront_size: 32
    .workgroup_processor_mode: 1
  - .args:
      - .actual_access:  write_only
        .address_space:  global
        .offset:         0
        .size:           8
        .value_kind:     global_buffer
      - .actual_access:  read_only
        .address_space:  global
        .offset:         8
        .size:           8
        .value_kind:     global_buffer
      - .actual_access:  read_only
        .address_space:  global
        .offset:         16
        .size:           8
        .value_kind:     global_buffer
      - .actual_access:  read_only
        .address_space:  global
        .offset:         24
        .size:           8
        .value_kind:     global_buffer
      - .actual_access:  read_only
        .address_space:  global
        .offset:         32
        .size:           8
        .value_kind:     global_buffer
      - .offset:         40
        .size:           4
        .value_kind:     by_value
      - .offset:         48
        .size:           4
        .value_kind:     hidden_block_count_x
      - .offset:         52
        .size:           4
        .value_kind:     hidden_block_count_y
      - .offset:         56
        .size:           4
        .value_kind:     hidden_block_count_z
      - .offset:         60
        .size:           2
        .value_kind:     hidden_group_size_x
      - .offset:         62
        .size:           2
        .value_kind:     hidden_group_size_y
      - .offset:         64
        .size:           2
        .value_kind:     hidden_group_size_z
      - .offset:         66
        .size:           2
        .value_kind:     hidden_remainder_x
      - .offset:         68
        .size:           2
        .value_kind:     hidden_remainder_y
      - .offset:         70
        .size:           2
        .value_kind:     hidden_remainder_z
      - .offset:         88
        .size:           8
        .value_kind:     hidden_global_offset_x
      - .offset:         96
        .size:           8
        .value_kind:     hidden_global_offset_y
      - .offset:         104
        .size:           8
        .value_kind:     hidden_global_offset_z
      - .offset:         112
        .size:           2
        .value_kind:     hidden_grid_dims
      - .offset:         168
        .size:           4
        .value_kind:     hidden_dynamic_lds_size
    .group_segment_fixed_size: 32
    .kernarg_segment_align: 8
    .kernarg_segment_size: 304
    .language:       OpenCL C
    .language_version:
      - 2
      - 0
    .max_flat_workgroup_size: 1024
    .name:           _ZN4vllm32paged_attention_v2_reduce_kernelI14__hip_bfloat16Li120ELi128ELi512EEEvPT_PKfS5_PKS2_PKii
    .private_segment_fixed_size: 0
    .sgpr_count:     32
    .sgpr_spill_count: 0
    .symbol:         _ZN4vllm32paged_attention_v2_reduce_kernelI14__hip_bfloat16Li120ELi128ELi512EEEvPT_PKfS5_PKS2_PKii.kd
    .uniform_work_group_size: 1
    .uses_dynamic_stack: false
    .vgpr_count:     19
    .vgpr_spill_count: 0
    .wavefront_size: 32
    .workgroup_processor_mode: 1
  - .args:
      - .actual_access:  write_only
        .address_space:  global
        .offset:         0
        .size:           8
        .value_kind:     global_buffer
      - .actual_access:  write_only
        .address_space:  global
        .offset:         8
        .size:           8
        .value_kind:     global_buffer
      - .actual_access:  write_only
        .address_space:  global
        .offset:         16
        .size:           8
        .value_kind:     global_buffer
      - .actual_access:  read_only
        .address_space:  global
        .offset:         24
        .size:           8
        .value_kind:     global_buffer
      - .actual_access:  read_only
        .address_space:  global
        .offset:         32
        .size:           8
        .value_kind:     global_buffer
      - .actual_access:  read_only
        .address_space:  global
        .offset:         40
        .size:           8
        .value_kind:     global_buffer
      - .offset:         48
        .size:           4
        .value_kind:     by_value
      - .offset:         52
        .size:           4
        .value_kind:     by_value
      - .actual_access:  read_only
        .address_space:  global
        .offset:         56
        .size:           8
        .value_kind:     global_buffer
      - .actual_access:  read_only
        .address_space:  global
        .offset:         64
        .size:           8
        .value_kind:     global_buffer
      - .offset:         72
        .size:           4
        .value_kind:     by_value
      - .actual_access:  read_only
        .address_space:  global
        .offset:         80
        .size:           8
        .value_kind:     global_buffer
      - .offset:         88
        .size:           4
        .value_kind:     by_value
      - .offset:         92
        .size:           4
        .value_kind:     by_value
      - .offset:         96
        .size:           4
        .value_kind:     by_value
      - .address_space:  global
        .offset:         104
        .size:           8
        .value_kind:     global_buffer
      - .address_space:  global
        .offset:         112
        .size:           8
        .value_kind:     global_buffer
      - .offset:         120
        .size:           4
        .value_kind:     by_value
      - .offset:         124
        .size:           4
        .value_kind:     by_value
      - .offset:         128
        .size:           4
        .value_kind:     by_value
      - .offset:         132
        .size:           4
        .value_kind:     by_value
      - .offset:         136
        .size:           4
        .value_kind:     by_value
      - .offset:         144
        .size:           4
        .value_kind:     hidden_block_count_x
      - .offset:         148
        .size:           4
        .value_kind:     hidden_block_count_y
      - .offset:         152
        .size:           4
        .value_kind:     hidden_block_count_z
      - .offset:         156
        .size:           2
        .value_kind:     hidden_group_size_x
      - .offset:         158
        .size:           2
        .value_kind:     hidden_group_size_y
      - .offset:         160
        .size:           2
        .value_kind:     hidden_group_size_z
      - .offset:         162
        .size:           2
        .value_kind:     hidden_remainder_x
      - .offset:         164
        .size:           2
        .value_kind:     hidden_remainder_y
      - .offset:         166
        .size:           2
        .value_kind:     hidden_remainder_z
      - .offset:         184
        .size:           8
        .value_kind:     hidden_global_offset_x
      - .offset:         192
        .size:           8
        .value_kind:     hidden_global_offset_y
      - .offset:         200
        .size:           8
        .value_kind:     hidden_global_offset_z
      - .offset:         208
        .size:           2
        .value_kind:     hidden_grid_dims
      - .offset:         264
        .size:           4
        .value_kind:     hidden_dynamic_lds_size
    .group_segment_fixed_size: 288
    .kernarg_segment_align: 8
    .kernarg_segment_size: 400
    .language:       OpenCL C
    .language_version:
      - 2
      - 0
    .max_flat_workgroup_size: 1024
    .name:           _ZN4vllm25paged_attention_v2_kernelI14__hip_bfloat16S1_Li128ELi8ELi128ELNS_18Fp8KVCacheDataTypeE0ELb1ELi512EEEvPfS3_PT_PKS4_PKT0_SA_ifPKiSC_iPKfiiiSE_SE_iiiii
    .private_segment_fixed_size: 0
    .sgpr_count:     48
    .sgpr_spill_count: 0
    .symbol:         _ZN4vllm25paged_attention_v2_kernelI14__hip_bfloat16S1_Li128ELi8ELi128ELNS_18Fp8KVCacheDataTypeE0ELb1ELi512EEEvPfS3_PT_PKS4_PKT0_SA_ifPKiSC_iPKfiiiSE_SE_iiiii.kd
    .uniform_work_group_size: 1
    .uses_dynamic_stack: false
    .vgpr_count:     69
    .vgpr_spill_count: 0
    .wavefront_size: 32
    .workgroup_processor_mode: 1
  - .args:
      - .actual_access:  write_only
        .address_space:  global
        .offset:         0
        .size:           8
        .value_kind:     global_buffer
      - .actual_access:  read_only
        .address_space:  global
        .offset:         8
        .size:           8
        .value_kind:     global_buffer
      - .actual_access:  read_only
        .address_space:  global
        .offset:         16
        .size:           8
        .value_kind:     global_buffer
      - .actual_access:  read_only
        .address_space:  global
        .offset:         24
        .size:           8
        .value_kind:     global_buffer
      - .actual_access:  read_only
        .address_space:  global
        .offset:         32
        .size:           8
        .value_kind:     global_buffer
      - .offset:         40
        .size:           4
        .value_kind:     by_value
      - .offset:         48
        .size:           4
        .value_kind:     hidden_block_count_x
      - .offset:         52
        .size:           4
        .value_kind:     hidden_block_count_y
      - .offset:         56
        .size:           4
        .value_kind:     hidden_block_count_z
      - .offset:         60
        .size:           2
        .value_kind:     hidden_group_size_x
      - .offset:         62
        .size:           2
        .value_kind:     hidden_group_size_y
      - .offset:         64
        .size:           2
        .value_kind:     hidden_group_size_z
      - .offset:         66
        .size:           2
        .value_kind:     hidden_remainder_x
      - .offset:         68
        .size:           2
        .value_kind:     hidden_remainder_y
      - .offset:         70
        .size:           2
        .value_kind:     hidden_remainder_z
      - .offset:         88
        .size:           8
        .value_kind:     hidden_global_offset_x
      - .offset:         96
        .size:           8
        .value_kind:     hidden_global_offset_y
      - .offset:         104
        .size:           8
        .value_kind:     hidden_global_offset_z
      - .offset:         112
        .size:           2
        .value_kind:     hidden_grid_dims
      - .offset:         168
        .size:           4
        .value_kind:     hidden_dynamic_lds_size
    .group_segment_fixed_size: 32
    .kernarg_segment_align: 8
    .kernarg_segment_size: 304
    .language:       OpenCL C
    .language_version:
      - 2
      - 0
    .max_flat_workgroup_size: 1024
    .name:           _ZN4vllm32paged_attention_v2_reduce_kernelI14__hip_bfloat16Li128ELi128ELi512EEEvPT_PKfS5_PKS2_PKii
    .private_segment_fixed_size: 0
    .sgpr_count:     32
    .sgpr_spill_count: 0
    .symbol:         _ZN4vllm32paged_attention_v2_reduce_kernelI14__hip_bfloat16Li128ELi128ELi512EEEvPT_PKfS5_PKS2_PKii.kd
    .uniform_work_group_size: 1
    .uses_dynamic_stack: false
    .vgpr_count:     19
    .vgpr_spill_count: 0
    .wavefront_size: 32
    .workgroup_processor_mode: 1
  - .args:
      - .actual_access:  write_only
        .address_space:  global
        .offset:         0
        .size:           8
        .value_kind:     global_buffer
      - .actual_access:  write_only
        .address_space:  global
        .offset:         8
        .size:           8
        .value_kind:     global_buffer
      - .actual_access:  write_only
        .address_space:  global
        .offset:         16
        .size:           8
        .value_kind:     global_buffer
      - .actual_access:  read_only
        .address_space:  global
        .offset:         24
        .size:           8
        .value_kind:     global_buffer
      - .actual_access:  read_only
        .address_space:  global
        .offset:         32
        .size:           8
        .value_kind:     global_buffer
      - .actual_access:  read_only
        .address_space:  global
        .offset:         40
        .size:           8
        .value_kind:     global_buffer
      - .offset:         48
        .size:           4
        .value_kind:     by_value
      - .offset:         52
        .size:           4
        .value_kind:     by_value
      - .actual_access:  read_only
        .address_space:  global
        .offset:         56
        .size:           8
        .value_kind:     global_buffer
      - .actual_access:  read_only
        .address_space:  global
        .offset:         64
        .size:           8
        .value_kind:     global_buffer
      - .offset:         72
        .size:           4
        .value_kind:     by_value
      - .actual_access:  read_only
        .address_space:  global
        .offset:         80
        .size:           8
        .value_kind:     global_buffer
      - .offset:         88
        .size:           4
        .value_kind:     by_value
      - .offset:         92
        .size:           4
        .value_kind:     by_value
      - .offset:         96
        .size:           4
        .value_kind:     by_value
      - .address_space:  global
        .offset:         104
        .size:           8
        .value_kind:     global_buffer
      - .address_space:  global
        .offset:         112
        .size:           8
        .value_kind:     global_buffer
      - .offset:         120
        .size:           4
        .value_kind:     by_value
      - .offset:         124
        .size:           4
        .value_kind:     by_value
      - .offset:         128
        .size:           4
        .value_kind:     by_value
      - .offset:         132
        .size:           4
        .value_kind:     by_value
      - .offset:         136
        .size:           4
        .value_kind:     by_value
      - .offset:         144
        .size:           4
        .value_kind:     hidden_block_count_x
      - .offset:         148
        .size:           4
        .value_kind:     hidden_block_count_y
      - .offset:         152
        .size:           4
        .value_kind:     hidden_block_count_z
      - .offset:         156
        .size:           2
        .value_kind:     hidden_group_size_x
      - .offset:         158
        .size:           2
        .value_kind:     hidden_group_size_y
      - .offset:         160
        .size:           2
        .value_kind:     hidden_group_size_z
      - .offset:         162
        .size:           2
        .value_kind:     hidden_remainder_x
      - .offset:         164
        .size:           2
        .value_kind:     hidden_remainder_y
      - .offset:         166
        .size:           2
        .value_kind:     hidden_remainder_z
      - .offset:         184
        .size:           8
        .value_kind:     hidden_global_offset_x
      - .offset:         192
        .size:           8
        .value_kind:     hidden_global_offset_y
      - .offset:         200
        .size:           8
        .value_kind:     hidden_global_offset_z
      - .offset:         208
        .size:           2
        .value_kind:     hidden_grid_dims
      - .offset:         264
        .size:           4
        .value_kind:     hidden_dynamic_lds_size
    .group_segment_fixed_size: 416
    .kernarg_segment_align: 8
    .kernarg_segment_size: 400
    .language:       OpenCL C
    .language_version:
      - 2
      - 0
    .max_flat_workgroup_size: 1024
    .name:           _ZN4vllm25paged_attention_v2_kernelI14__hip_bfloat16S1_Li192ELi8ELi128ELNS_18Fp8KVCacheDataTypeE0ELb1ELi512EEEvPfS3_PT_PKS4_PKT0_SA_ifPKiSC_iPKfiiiSE_SE_iiiii
    .private_segment_fixed_size: 0
    .sgpr_count:     48
    .sgpr_spill_count: 0
    .symbol:         _ZN4vllm25paged_attention_v2_kernelI14__hip_bfloat16S1_Li192ELi8ELi128ELNS_18Fp8KVCacheDataTypeE0ELb1ELi512EEEvPfS3_PT_PKS4_PKT0_SA_ifPKiSC_iPKfiiiSE_SE_iiiii.kd
    .uniform_work_group_size: 1
    .uses_dynamic_stack: false
    .vgpr_count:     85
    .vgpr_spill_count: 0
    .wavefront_size: 32
    .workgroup_processor_mode: 1
  - .args:
      - .actual_access:  write_only
        .address_space:  global
        .offset:         0
        .size:           8
        .value_kind:     global_buffer
      - .actual_access:  read_only
        .address_space:  global
        .offset:         8
        .size:           8
        .value_kind:     global_buffer
      - .actual_access:  read_only
        .address_space:  global
        .offset:         16
        .size:           8
        .value_kind:     global_buffer
      - .actual_access:  read_only
        .address_space:  global
        .offset:         24
        .size:           8
        .value_kind:     global_buffer
      - .actual_access:  read_only
        .address_space:  global
        .offset:         32
        .size:           8
        .value_kind:     global_buffer
      - .offset:         40
        .size:           4
        .value_kind:     by_value
      - .offset:         48
        .size:           4
        .value_kind:     hidden_block_count_x
      - .offset:         52
        .size:           4
        .value_kind:     hidden_block_count_y
      - .offset:         56
        .size:           4
        .value_kind:     hidden_block_count_z
      - .offset:         60
        .size:           2
        .value_kind:     hidden_group_size_x
      - .offset:         62
        .size:           2
        .value_kind:     hidden_group_size_y
      - .offset:         64
        .size:           2
        .value_kind:     hidden_group_size_z
      - .offset:         66
        .size:           2
        .value_kind:     hidden_remainder_x
      - .offset:         68
        .size:           2
        .value_kind:     hidden_remainder_y
      - .offset:         70
        .size:           2
        .value_kind:     hidden_remainder_z
      - .offset:         88
        .size:           8
        .value_kind:     hidden_global_offset_x
      - .offset:         96
        .size:           8
        .value_kind:     hidden_global_offset_y
      - .offset:         104
        .size:           8
        .value_kind:     hidden_global_offset_z
      - .offset:         112
        .size:           2
        .value_kind:     hidden_grid_dims
      - .offset:         168
        .size:           4
        .value_kind:     hidden_dynamic_lds_size
    .group_segment_fixed_size: 32
    .kernarg_segment_align: 8
    .kernarg_segment_size: 304
    .language:       OpenCL C
    .language_version:
      - 2
      - 0
    .max_flat_workgroup_size: 1024
    .name:           _ZN4vllm32paged_attention_v2_reduce_kernelI14__hip_bfloat16Li192ELi128ELi512EEEvPT_PKfS5_PKS2_PKii
    .private_segment_fixed_size: 0
    .sgpr_count:     32
    .sgpr_spill_count: 0
    .symbol:         _ZN4vllm32paged_attention_v2_reduce_kernelI14__hip_bfloat16Li192ELi128ELi512EEEvPT_PKfS5_PKS2_PKii.kd
    .uniform_work_group_size: 1
    .uses_dynamic_stack: false
    .vgpr_count:     19
    .vgpr_spill_count: 0
    .wavefront_size: 32
    .workgroup_processor_mode: 1
  - .args:
      - .actual_access:  write_only
        .address_space:  global
        .offset:         0
        .size:           8
        .value_kind:     global_buffer
      - .actual_access:  write_only
        .address_space:  global
        .offset:         8
        .size:           8
        .value_kind:     global_buffer
      - .actual_access:  write_only
        .address_space:  global
        .offset:         16
        .size:           8
        .value_kind:     global_buffer
      - .actual_access:  read_only
        .address_space:  global
        .offset:         24
        .size:           8
        .value_kind:     global_buffer
      - .actual_access:  read_only
        .address_space:  global
        .offset:         32
        .size:           8
        .value_kind:     global_buffer
      - .actual_access:  read_only
        .address_space:  global
        .offset:         40
        .size:           8
        .value_kind:     global_buffer
      - .offset:         48
        .size:           4
        .value_kind:     by_value
      - .offset:         52
        .size:           4
        .value_kind:     by_value
      - .actual_access:  read_only
        .address_space:  global
        .offset:         56
        .size:           8
        .value_kind:     global_buffer
      - .actual_access:  read_only
        .address_space:  global
        .offset:         64
        .size:           8
        .value_kind:     global_buffer
      - .offset:         72
        .size:           4
        .value_kind:     by_value
      - .actual_access:  read_only
        .address_space:  global
        .offset:         80
        .size:           8
        .value_kind:     global_buffer
      - .offset:         88
        .size:           4
        .value_kind:     by_value
      - .offset:         92
        .size:           4
        .value_kind:     by_value
      - .offset:         96
        .size:           4
        .value_kind:     by_value
      - .address_space:  global
        .offset:         104
        .size:           8
        .value_kind:     global_buffer
      - .address_space:  global
        .offset:         112
        .size:           8
        .value_kind:     global_buffer
      - .offset:         120
        .size:           4
        .value_kind:     by_value
      - .offset:         124
        .size:           4
        .value_kind:     by_value
      - .offset:         128
        .size:           4
        .value_kind:     by_value
      - .offset:         132
        .size:           4
        .value_kind:     by_value
      - .offset:         136
        .size:           4
        .value_kind:     by_value
      - .offset:         144
        .size:           4
        .value_kind:     hidden_block_count_x
      - .offset:         148
        .size:           4
        .value_kind:     hidden_block_count_y
      - .offset:         152
        .size:           4
        .value_kind:     hidden_block_count_z
      - .offset:         156
        .size:           2
        .value_kind:     hidden_group_size_x
      - .offset:         158
        .size:           2
        .value_kind:     hidden_group_size_y
      - .offset:         160
        .size:           2
        .value_kind:     hidden_group_size_z
      - .offset:         162
        .size:           2
        .value_kind:     hidden_remainder_x
      - .offset:         164
        .size:           2
        .value_kind:     hidden_remainder_y
      - .offset:         166
        .size:           2
        .value_kind:     hidden_remainder_z
      - .offset:         184
        .size:           8
        .value_kind:     hidden_global_offset_x
      - .offset:         192
        .size:           8
        .value_kind:     hidden_global_offset_y
      - .offset:         200
        .size:           8
        .value_kind:     hidden_global_offset_z
      - .offset:         208
        .size:           2
        .value_kind:     hidden_grid_dims
      - .offset:         264
        .size:           4
        .value_kind:     hidden_dynamic_lds_size
    .group_segment_fixed_size: 544
    .kernarg_segment_align: 8
    .kernarg_segment_size: 400
    .language:       OpenCL C
    .language_version:
      - 2
      - 0
    .max_flat_workgroup_size: 1024
    .name:           _ZN4vllm25paged_attention_v2_kernelI14__hip_bfloat16S1_Li256ELi8ELi128ELNS_18Fp8KVCacheDataTypeE0ELb1ELi512EEEvPfS3_PT_PKS4_PKT0_SA_ifPKiSC_iPKfiiiSE_SE_iiiii
    .private_segment_fixed_size: 0
    .sgpr_count:     48
    .sgpr_spill_count: 0
    .symbol:         _ZN4vllm25paged_attention_v2_kernelI14__hip_bfloat16S1_Li256ELi8ELi128ELNS_18Fp8KVCacheDataTypeE0ELb1ELi512EEEvPfS3_PT_PKS4_PKT0_SA_ifPKiSC_iPKfiiiSE_SE_iiiii.kd
    .uniform_work_group_size: 1
    .uses_dynamic_stack: false
    .vgpr_count:     96
    .vgpr_spill_count: 0
    .wavefront_size: 32
    .workgroup_processor_mode: 1
  - .args:
      - .actual_access:  write_only
        .address_space:  global
        .offset:         0
        .size:           8
        .value_kind:     global_buffer
      - .actual_access:  read_only
        .address_space:  global
        .offset:         8
        .size:           8
        .value_kind:     global_buffer
      - .actual_access:  read_only
        .address_space:  global
        .offset:         16
        .size:           8
        .value_kind:     global_buffer
      - .actual_access:  read_only
        .address_space:  global
        .offset:         24
        .size:           8
        .value_kind:     global_buffer
      - .actual_access:  read_only
        .address_space:  global
        .offset:         32
        .size:           8
        .value_kind:     global_buffer
      - .offset:         40
        .size:           4
        .value_kind:     by_value
      - .offset:         48
        .size:           4
        .value_kind:     hidden_block_count_x
      - .offset:         52
        .size:           4
        .value_kind:     hidden_block_count_y
      - .offset:         56
        .size:           4
        .value_kind:     hidden_block_count_z
      - .offset:         60
        .size:           2
        .value_kind:     hidden_group_size_x
      - .offset:         62
        .size:           2
        .value_kind:     hidden_group_size_y
      - .offset:         64
        .size:           2
        .value_kind:     hidden_group_size_z
      - .offset:         66
        .size:           2
        .value_kind:     hidden_remainder_x
      - .offset:         68
        .size:           2
        .value_kind:     hidden_remainder_y
      - .offset:         70
        .size:           2
        .value_kind:     hidden_remainder_z
      - .offset:         88
        .size:           8
        .value_kind:     hidden_global_offset_x
      - .offset:         96
        .size:           8
        .value_kind:     hidden_global_offset_y
      - .offset:         104
        .size:           8
        .value_kind:     hidden_global_offset_z
      - .offset:         112
        .size:           2
        .value_kind:     hidden_grid_dims
      - .offset:         168
        .size:           4
        .value_kind:     hidden_dynamic_lds_size
    .group_segment_fixed_size: 32
    .kernarg_segment_align: 8
    .kernarg_segment_size: 304
    .language:       OpenCL C
    .language_version:
      - 2
      - 0
    .max_flat_workgroup_size: 1024
    .name:           _ZN4vllm32paged_attention_v2_reduce_kernelI14__hip_bfloat16Li256ELi128ELi512EEEvPT_PKfS5_PKS2_PKii
    .private_segment_fixed_size: 0
    .sgpr_count:     32
    .sgpr_spill_count: 0
    .symbol:         _ZN4vllm32paged_attention_v2_reduce_kernelI14__hip_bfloat16Li256ELi128ELi512EEEvPT_PKfS5_PKS2_PKii.kd
    .uniform_work_group_size: 1
    .uses_dynamic_stack: false
    .vgpr_count:     19
    .vgpr_spill_count: 0
    .wavefront_size: 32
    .workgroup_processor_mode: 1
  - .args:
      - .actual_access:  write_only
        .address_space:  global
        .offset:         0
        .size:           8
        .value_kind:     global_buffer
      - .actual_access:  write_only
        .address_space:  global
        .offset:         8
        .size:           8
        .value_kind:     global_buffer
      - .actual_access:  write_only
        .address_space:  global
        .offset:         16
        .size:           8
        .value_kind:     global_buffer
      - .actual_access:  read_only
        .address_space:  global
        .offset:         24
        .size:           8
        .value_kind:     global_buffer
      - .actual_access:  read_only
        .address_space:  global
        .offset:         32
        .size:           8
        .value_kind:     global_buffer
      - .actual_access:  read_only
        .address_space:  global
        .offset:         40
        .size:           8
        .value_kind:     global_buffer
      - .offset:         48
        .size:           4
        .value_kind:     by_value
      - .offset:         52
        .size:           4
        .value_kind:     by_value
      - .actual_access:  read_only
        .address_space:  global
        .offset:         56
        .size:           8
        .value_kind:     global_buffer
      - .actual_access:  read_only
        .address_space:  global
        .offset:         64
        .size:           8
        .value_kind:     global_buffer
      - .offset:         72
        .size:           4
        .value_kind:     by_value
      - .actual_access:  read_only
        .address_space:  global
        .offset:         80
        .size:           8
        .value_kind:     global_buffer
      - .offset:         88
        .size:           4
        .value_kind:     by_value
      - .offset:         92
        .size:           4
        .value_kind:     by_value
      - .offset:         96
        .size:           4
        .value_kind:     by_value
      - .address_space:  global
        .offset:         104
        .size:           8
        .value_kind:     global_buffer
      - .address_space:  global
        .offset:         112
        .size:           8
        .value_kind:     global_buffer
      - .offset:         120
        .size:           4
        .value_kind:     by_value
      - .offset:         124
        .size:           4
        .value_kind:     by_value
      - .offset:         128
        .size:           4
        .value_kind:     by_value
      - .offset:         132
        .size:           4
        .value_kind:     by_value
      - .offset:         136
        .size:           4
        .value_kind:     by_value
      - .offset:         144
        .size:           4
        .value_kind:     hidden_block_count_x
      - .offset:         148
        .size:           4
        .value_kind:     hidden_block_count_y
      - .offset:         152
        .size:           4
        .value_kind:     hidden_block_count_z
      - .offset:         156
        .size:           2
        .value_kind:     hidden_group_size_x
      - .offset:         158
        .size:           2
        .value_kind:     hidden_group_size_y
      - .offset:         160
        .size:           2
        .value_kind:     hidden_group_size_z
      - .offset:         162
        .size:           2
        .value_kind:     hidden_remainder_x
      - .offset:         164
        .size:           2
        .value_kind:     hidden_remainder_y
      - .offset:         166
        .size:           2
        .value_kind:     hidden_remainder_z
      - .offset:         184
        .size:           8
        .value_kind:     hidden_global_offset_x
      - .offset:         192
        .size:           8
        .value_kind:     hidden_global_offset_y
      - .offset:         200
        .size:           8
        .value_kind:     hidden_global_offset_z
      - .offset:         208
        .size:           2
        .value_kind:     hidden_grid_dims
      - .offset:         264
        .size:           4
        .value_kind:     hidden_dynamic_lds_size
    .group_segment_fixed_size: 96
    .kernarg_segment_align: 8
    .kernarg_segment_size: 400
    .language:       OpenCL C
    .language_version:
      - 2
      - 0
    .max_flat_workgroup_size: 1024
    .name:           _ZN4vllm25paged_attention_v2_kernelI14__hip_bfloat16S1_Li32ELi8ELi128ELNS_18Fp8KVCacheDataTypeE0ELb0ELi512EEEvPfS3_PT_PKS4_PKT0_SA_ifPKiSC_iPKfiiiSE_SE_iiiii
    .private_segment_fixed_size: 0
    .sgpr_count:     38
    .sgpr_spill_count: 0
    .symbol:         _ZN4vllm25paged_attention_v2_kernelI14__hip_bfloat16S1_Li32ELi8ELi128ELNS_18Fp8KVCacheDataTypeE0ELb0ELi512EEEvPfS3_PT_PKS4_PKT0_SA_ifPKiSC_iPKfiiiSE_SE_iiiii.kd
    .uniform_work_group_size: 1
    .uses_dynamic_stack: false
    .vgpr_count:     32
    .vgpr_spill_count: 0
    .wavefront_size: 32
    .workgroup_processor_mode: 1
  - .args:
      - .actual_access:  write_only
        .address_space:  global
        .offset:         0
        .size:           8
        .value_kind:     global_buffer
      - .actual_access:  write_only
        .address_space:  global
        .offset:         8
        .size:           8
        .value_kind:     global_buffer
      - .actual_access:  write_only
        .address_space:  global
        .offset:         16
        .size:           8
        .value_kind:     global_buffer
      - .actual_access:  read_only
        .address_space:  global
        .offset:         24
        .size:           8
        .value_kind:     global_buffer
      - .actual_access:  read_only
        .address_space:  global
        .offset:         32
        .size:           8
        .value_kind:     global_buffer
      - .actual_access:  read_only
        .address_space:  global
        .offset:         40
        .size:           8
        .value_kind:     global_buffer
      - .offset:         48
        .size:           4
        .value_kind:     by_value
      - .offset:         52
        .size:           4
        .value_kind:     by_value
      - .actual_access:  read_only
        .address_space:  global
        .offset:         56
        .size:           8
        .value_kind:     global_buffer
      - .actual_access:  read_only
        .address_space:  global
        .offset:         64
        .size:           8
        .value_kind:     global_buffer
      - .offset:         72
        .size:           4
        .value_kind:     by_value
      - .actual_access:  read_only
        .address_space:  global
        .offset:         80
        .size:           8
        .value_kind:     global_buffer
      - .offset:         88
        .size:           4
        .value_kind:     by_value
      - .offset:         92
        .size:           4
        .value_kind:     by_value
      - .offset:         96
        .size:           4
        .value_kind:     by_value
      - .address_space:  global
        .offset:         104
        .size:           8
        .value_kind:     global_buffer
      - .address_space:  global
        .offset:         112
        .size:           8
        .value_kind:     global_buffer
      - .offset:         120
        .size:           4
        .value_kind:     by_value
      - .offset:         124
        .size:           4
        .value_kind:     by_value
      - .offset:         128
        .size:           4
        .value_kind:     by_value
      - .offset:         132
        .size:           4
        .value_kind:     by_value
      - .offset:         136
        .size:           4
        .value_kind:     by_value
      - .offset:         144
        .size:           4
        .value_kind:     hidden_block_count_x
      - .offset:         148
        .size:           4
        .value_kind:     hidden_block_count_y
      - .offset:         152
        .size:           4
        .value_kind:     hidden_block_count_z
      - .offset:         156
        .size:           2
        .value_kind:     hidden_group_size_x
      - .offset:         158
        .size:           2
        .value_kind:     hidden_group_size_y
      - .offset:         160
        .size:           2
        .value_kind:     hidden_group_size_z
      - .offset:         162
        .size:           2
        .value_kind:     hidden_remainder_x
      - .offset:         164
        .size:           2
        .value_kind:     hidden_remainder_y
      - .offset:         166
        .size:           2
        .value_kind:     hidden_remainder_z
      - .offset:         184
        .size:           8
        .value_kind:     hidden_global_offset_x
      - .offset:         192
        .size:           8
        .value_kind:     hidden_global_offset_y
      - .offset:         200
        .size:           8
        .value_kind:     hidden_global_offset_z
      - .offset:         208
        .size:           2
        .value_kind:     hidden_grid_dims
      - .offset:         264
        .size:           4
        .value_kind:     hidden_dynamic_lds_size
    .group_segment_fixed_size: 160
    .kernarg_segment_align: 8
    .kernarg_segment_size: 400
    .language:       OpenCL C
    .language_version:
      - 2
      - 0
    .max_flat_workgroup_size: 1024
    .name:           _ZN4vllm25paged_attention_v2_kernelI14__hip_bfloat16S1_Li64ELi8ELi128ELNS_18Fp8KVCacheDataTypeE0ELb0ELi512EEEvPfS3_PT_PKS4_PKT0_SA_ifPKiSC_iPKfiiiSE_SE_iiiii
    .private_segment_fixed_size: 0
    .sgpr_count:     40
    .sgpr_spill_count: 0
    .symbol:         _ZN4vllm25paged_attention_v2_kernelI14__hip_bfloat16S1_Li64ELi8ELi128ELNS_18Fp8KVCacheDataTypeE0ELb0ELi512EEEvPfS3_PT_PKS4_PKT0_SA_ifPKiSC_iPKfiiiSE_SE_iiiii.kd
    .uniform_work_group_size: 1
    .uses_dynamic_stack: false
    .vgpr_count:     44
    .vgpr_spill_count: 0
    .wavefront_size: 32
    .workgroup_processor_mode: 1
  - .args:
      - .actual_access:  write_only
        .address_space:  global
        .offset:         0
        .size:           8
        .value_kind:     global_buffer
      - .actual_access:  write_only
        .address_space:  global
        .offset:         8
        .size:           8
        .value_kind:     global_buffer
      - .actual_access:  write_only
        .address_space:  global
        .offset:         16
        .size:           8
        .value_kind:     global_buffer
      - .actual_access:  read_only
        .address_space:  global
        .offset:         24
        .size:           8
        .value_kind:     global_buffer
      - .actual_access:  read_only
        .address_space:  global
        .offset:         32
        .size:           8
        .value_kind:     global_buffer
      - .actual_access:  read_only
        .address_space:  global
        .offset:         40
        .size:           8
        .value_kind:     global_buffer
      - .offset:         48
        .size:           4
        .value_kind:     by_value
      - .offset:         52
        .size:           4
        .value_kind:     by_value
      - .actual_access:  read_only
        .address_space:  global
        .offset:         56
        .size:           8
        .value_kind:     global_buffer
      - .actual_access:  read_only
        .address_space:  global
        .offset:         64
        .size:           8
        .value_kind:     global_buffer
      - .offset:         72
        .size:           4
        .value_kind:     by_value
      - .actual_access:  read_only
        .address_space:  global
        .offset:         80
        .size:           8
        .value_kind:     global_buffer
      - .offset:         88
        .size:           4
        .value_kind:     by_value
      - .offset:         92
        .size:           4
        .value_kind:     by_value
      - .offset:         96
        .size:           4
        .value_kind:     by_value
      - .address_space:  global
        .offset:         104
        .size:           8
        .value_kind:     global_buffer
      - .address_space:  global
        .offset:         112
        .size:           8
        .value_kind:     global_buffer
      - .offset:         120
        .size:           4
        .value_kind:     by_value
      - .offset:         124
        .size:           4
        .value_kind:     by_value
      - .offset:         128
        .size:           4
        .value_kind:     by_value
      - .offset:         132
        .size:           4
        .value_kind:     by_value
      - .offset:         136
        .size:           4
        .value_kind:     by_value
      - .offset:         144
        .size:           4
        .value_kind:     hidden_block_count_x
      - .offset:         148
        .size:           4
        .value_kind:     hidden_block_count_y
      - .offset:         152
        .size:           4
        .value_kind:     hidden_block_count_z
      - .offset:         156
        .size:           2
        .value_kind:     hidden_group_size_x
      - .offset:         158
        .size:           2
        .value_kind:     hidden_group_size_y
      - .offset:         160
        .size:           2
        .value_kind:     hidden_group_size_z
      - .offset:         162
        .size:           2
        .value_kind:     hidden_remainder_x
      - .offset:         164
        .size:           2
        .value_kind:     hidden_remainder_y
      - .offset:         166
        .size:           2
        .value_kind:     hidden_remainder_z
      - .offset:         184
        .size:           8
        .value_kind:     hidden_global_offset_x
      - .offset:         192
        .size:           8
        .value_kind:     hidden_global_offset_y
      - .offset:         200
        .size:           8
        .value_kind:     hidden_global_offset_z
      - .offset:         208
        .size:           2
        .value_kind:     hidden_grid_dims
      - .offset:         264
        .size:           4
        .value_kind:     hidden_dynamic_lds_size
    .group_segment_fixed_size: 192
    .kernarg_segment_align: 8
    .kernarg_segment_size: 400
    .language:       OpenCL C
    .language_version:
      - 2
      - 0
    .max_flat_workgroup_size: 1024
    .name:           _ZN4vllm25paged_attention_v2_kernelI14__hip_bfloat16S1_Li80ELi8ELi128ELNS_18Fp8KVCacheDataTypeE0ELb0ELi512EEEvPfS3_PT_PKS4_PKT0_SA_ifPKiSC_iPKfiiiSE_SE_iiiii
    .private_segment_fixed_size: 0
    .sgpr_count:     38
    .sgpr_spill_count: 0
    .symbol:         _ZN4vllm25paged_attention_v2_kernelI14__hip_bfloat16S1_Li80ELi8ELi128ELNS_18Fp8KVCacheDataTypeE0ELb0ELi512EEEvPfS3_PT_PKS4_PKT0_SA_ifPKiSC_iPKfiiiSE_SE_iiiii.kd
    .uniform_work_group_size: 1
    .uses_dynamic_stack: false
    .vgpr_count:     50
    .vgpr_spill_count: 0
    .wavefront_size: 32
    .workgroup_processor_mode: 1
  - .args:
      - .actual_access:  write_only
        .address_space:  global
        .offset:         0
        .size:           8
        .value_kind:     global_buffer
      - .actual_access:  write_only
        .address_space:  global
        .offset:         8
        .size:           8
        .value_kind:     global_buffer
      - .actual_access:  write_only
        .address_space:  global
        .offset:         16
        .size:           8
        .value_kind:     global_buffer
      - .actual_access:  read_only
        .address_space:  global
        .offset:         24
        .size:           8
        .value_kind:     global_buffer
      - .actual_access:  read_only
        .address_space:  global
        .offset:         32
        .size:           8
        .value_kind:     global_buffer
      - .actual_access:  read_only
        .address_space:  global
        .offset:         40
        .size:           8
        .value_kind:     global_buffer
      - .offset:         48
        .size:           4
        .value_kind:     by_value
      - .offset:         52
        .size:           4
        .value_kind:     by_value
      - .actual_access:  read_only
        .address_space:  global
        .offset:         56
        .size:           8
        .value_kind:     global_buffer
      - .actual_access:  read_only
        .address_space:  global
        .offset:         64
        .size:           8
        .value_kind:     global_buffer
      - .offset:         72
        .size:           4
        .value_kind:     by_value
      - .actual_access:  read_only
        .address_space:  global
        .offset:         80
        .size:           8
        .value_kind:     global_buffer
      - .offset:         88
        .size:           4
        .value_kind:     by_value
      - .offset:         92
        .size:           4
        .value_kind:     by_value
      - .offset:         96
        .size:           4
        .value_kind:     by_value
      - .address_space:  global
        .offset:         104
        .size:           8
        .value_kind:     global_buffer
      - .address_space:  global
        .offset:         112
        .size:           8
        .value_kind:     global_buffer
      - .offset:         120
        .size:           4
        .value_kind:     by_value
      - .offset:         124
        .size:           4
        .value_kind:     by_value
      - .offset:         128
        .size:           4
        .value_kind:     by_value
      - .offset:         132
        .size:           4
        .value_kind:     by_value
      - .offset:         136
        .size:           4
        .value_kind:     by_value
      - .offset:         144
        .size:           4
        .value_kind:     hidden_block_count_x
      - .offset:         148
        .size:           4
        .value_kind:     hidden_block_count_y
      - .offset:         152
        .size:           4
        .value_kind:     hidden_block_count_z
      - .offset:         156
        .size:           2
        .value_kind:     hidden_group_size_x
      - .offset:         158
        .size:           2
        .value_kind:     hidden_group_size_y
      - .offset:         160
        .size:           2
        .value_kind:     hidden_group_size_z
      - .offset:         162
        .size:           2
        .value_kind:     hidden_remainder_x
      - .offset:         164
        .size:           2
        .value_kind:     hidden_remainder_y
      - .offset:         166
        .size:           2
        .value_kind:     hidden_remainder_z
      - .offset:         184
        .size:           8
        .value_kind:     hidden_global_offset_x
      - .offset:         192
        .size:           8
        .value_kind:     hidden_global_offset_y
      - .offset:         200
        .size:           8
        .value_kind:     hidden_global_offset_z
      - .offset:         208
        .size:           2
        .value_kind:     hidden_grid_dims
      - .offset:         264
        .size:           4
        .value_kind:     hidden_dynamic_lds_size
    .group_segment_fixed_size: 224
    .kernarg_segment_align: 8
    .kernarg_segment_size: 400
    .language:       OpenCL C
    .language_version:
      - 2
      - 0
    .max_flat_workgroup_size: 1024
    .name:           _ZN4vllm25paged_attention_v2_kernelI14__hip_bfloat16S1_Li96ELi8ELi128ELNS_18Fp8KVCacheDataTypeE0ELb0ELi512EEEvPfS3_PT_PKS4_PKT0_SA_ifPKiSC_iPKfiiiSE_SE_iiiii
    .private_segment_fixed_size: 0
    .sgpr_count:     38
    .sgpr_spill_count: 0
    .symbol:         _ZN4vllm25paged_attention_v2_kernelI14__hip_bfloat16S1_Li96ELi8ELi128ELNS_18Fp8KVCacheDataTypeE0ELb0ELi512EEEvPfS3_PT_PKS4_PKT0_SA_ifPKiSC_iPKfiiiSE_SE_iiiii.kd
    .uniform_work_group_size: 1
    .uses_dynamic_stack: false
    .vgpr_count:     56
    .vgpr_spill_count: 0
    .wavefront_size: 32
    .workgroup_processor_mode: 1
  - .args:
      - .actual_access:  write_only
        .address_space:  global
        .offset:         0
        .size:           8
        .value_kind:     global_buffer
      - .actual_access:  write_only
        .address_space:  global
        .offset:         8
        .size:           8
        .value_kind:     global_buffer
      - .actual_access:  write_only
        .address_space:  global
        .offset:         16
        .size:           8
        .value_kind:     global_buffer
      - .actual_access:  read_only
        .address_space:  global
        .offset:         24
        .size:           8
        .value_kind:     global_buffer
      - .actual_access:  read_only
        .address_space:  global
        .offset:         32
        .size:           8
        .value_kind:     global_buffer
      - .actual_access:  read_only
        .address_space:  global
        .offset:         40
        .size:           8
        .value_kind:     global_buffer
      - .offset:         48
        .size:           4
        .value_kind:     by_value
      - .offset:         52
        .size:           4
        .value_kind:     by_value
      - .actual_access:  read_only
        .address_space:  global
        .offset:         56
        .size:           8
        .value_kind:     global_buffer
      - .actual_access:  read_only
        .address_space:  global
        .offset:         64
        .size:           8
        .value_kind:     global_buffer
      - .offset:         72
        .size:           4
        .value_kind:     by_value
      - .actual_access:  read_only
        .address_space:  global
        .offset:         80
        .size:           8
        .value_kind:     global_buffer
      - .offset:         88
        .size:           4
        .value_kind:     by_value
      - .offset:         92
        .size:           4
        .value_kind:     by_value
      - .offset:         96
        .size:           4
        .value_kind:     by_value
      - .address_space:  global
        .offset:         104
        .size:           8
        .value_kind:     global_buffer
      - .address_space:  global
        .offset:         112
        .size:           8
        .value_kind:     global_buffer
      - .offset:         120
        .size:           4
        .value_kind:     by_value
      - .offset:         124
        .size:           4
        .value_kind:     by_value
      - .offset:         128
        .size:           4
        .value_kind:     by_value
      - .offset:         132
        .size:           4
        .value_kind:     by_value
      - .offset:         136
        .size:           4
        .value_kind:     by_value
      - .offset:         144
        .size:           4
        .value_kind:     hidden_block_count_x
      - .offset:         148
        .size:           4
        .value_kind:     hidden_block_count_y
      - .offset:         152
        .size:           4
        .value_kind:     hidden_block_count_z
      - .offset:         156
        .size:           2
        .value_kind:     hidden_group_size_x
      - .offset:         158
        .size:           2
        .value_kind:     hidden_group_size_y
      - .offset:         160
        .size:           2
        .value_kind:     hidden_group_size_z
      - .offset:         162
        .size:           2
        .value_kind:     hidden_remainder_x
      - .offset:         164
        .size:           2
        .value_kind:     hidden_remainder_y
      - .offset:         166
        .size:           2
        .value_kind:     hidden_remainder_z
      - .offset:         184
        .size:           8
        .value_kind:     hidden_global_offset_x
      - .offset:         192
        .size:           8
        .value_kind:     hidden_global_offset_y
      - .offset:         200
        .size:           8
        .value_kind:     hidden_global_offset_z
      - .offset:         208
        .size:           2
        .value_kind:     hidden_grid_dims
      - .offset:         264
        .size:           4
        .value_kind:     hidden_dynamic_lds_size
    .group_segment_fixed_size: 256
    .kernarg_segment_align: 8
    .kernarg_segment_size: 400
    .language:       OpenCL C
    .language_version:
      - 2
      - 0
    .max_flat_workgroup_size: 1024
    .name:           _ZN4vllm25paged_attention_v2_kernelI14__hip_bfloat16S1_Li112ELi8ELi128ELNS_18Fp8KVCacheDataTypeE0ELb0ELi512EEEvPfS3_PT_PKS4_PKT0_SA_ifPKiSC_iPKfiiiSE_SE_iiiii
    .private_segment_fixed_size: 0
    .sgpr_count:     38
    .sgpr_spill_count: 0
    .symbol:         _ZN4vllm25paged_attention_v2_kernelI14__hip_bfloat16S1_Li112ELi8ELi128ELNS_18Fp8KVCacheDataTypeE0ELb0ELi512EEEvPfS3_PT_PKS4_PKT0_SA_ifPKiSC_iPKfiiiSE_SE_iiiii.kd
    .uniform_work_group_size: 1
    .uses_dynamic_stack: false
    .vgpr_count:     62
    .vgpr_spill_count: 0
    .wavefront_size: 32
    .workgroup_processor_mode: 1
  - .args:
      - .actual_access:  write_only
        .address_space:  global
        .offset:         0
        .size:           8
        .value_kind:     global_buffer
      - .actual_access:  write_only
        .address_space:  global
        .offset:         8
        .size:           8
        .value_kind:     global_buffer
      - .actual_access:  write_only
        .address_space:  global
        .offset:         16
        .size:           8
        .value_kind:     global_buffer
      - .actual_access:  read_only
        .address_space:  global
        .offset:         24
        .size:           8
        .value_kind:     global_buffer
      - .actual_access:  read_only
        .address_space:  global
        .offset:         32
        .size:           8
        .value_kind:     global_buffer
      - .actual_access:  read_only
        .address_space:  global
        .offset:         40
        .size:           8
        .value_kind:     global_buffer
      - .offset:         48
        .size:           4
        .value_kind:     by_value
      - .offset:         52
        .size:           4
        .value_kind:     by_value
      - .actual_access:  read_only
        .address_space:  global
        .offset:         56
        .size:           8
        .value_kind:     global_buffer
      - .actual_access:  read_only
        .address_space:  global
        .offset:         64
        .size:           8
        .value_kind:     global_buffer
      - .offset:         72
        .size:           4
        .value_kind:     by_value
      - .actual_access:  read_only
        .address_space:  global
        .offset:         80
        .size:           8
        .value_kind:     global_buffer
      - .offset:         88
        .size:           4
        .value_kind:     by_value
      - .offset:         92
        .size:           4
        .value_kind:     by_value
      - .offset:         96
        .size:           4
        .value_kind:     by_value
      - .address_space:  global
        .offset:         104
        .size:           8
        .value_kind:     global_buffer
      - .address_space:  global
        .offset:         112
        .size:           8
        .value_kind:     global_buffer
      - .offset:         120
        .size:           4
        .value_kind:     by_value
      - .offset:         124
        .size:           4
        .value_kind:     by_value
      - .offset:         128
        .size:           4
        .value_kind:     by_value
      - .offset:         132
        .size:           4
        .value_kind:     by_value
      - .offset:         136
        .size:           4
        .value_kind:     by_value
      - .offset:         144
        .size:           4
        .value_kind:     hidden_block_count_x
      - .offset:         148
        .size:           4
        .value_kind:     hidden_block_count_y
      - .offset:         152
        .size:           4
        .value_kind:     hidden_block_count_z
      - .offset:         156
        .size:           2
        .value_kind:     hidden_group_size_x
      - .offset:         158
        .size:           2
        .value_kind:     hidden_group_size_y
      - .offset:         160
        .size:           2
        .value_kind:     hidden_group_size_z
      - .offset:         162
        .size:           2
        .value_kind:     hidden_remainder_x
      - .offset:         164
        .size:           2
        .value_kind:     hidden_remainder_y
      - .offset:         166
        .size:           2
        .value_kind:     hidden_remainder_z
      - .offset:         184
        .size:           8
        .value_kind:     hidden_global_offset_x
      - .offset:         192
        .size:           8
        .value_kind:     hidden_global_offset_y
      - .offset:         200
        .size:           8
        .value_kind:     hidden_global_offset_z
      - .offset:         208
        .size:           2
        .value_kind:     hidden_grid_dims
      - .offset:         264
        .size:           4
        .value_kind:     hidden_dynamic_lds_size
    .group_segment_fixed_size: 272
    .kernarg_segment_align: 8
    .kernarg_segment_size: 400
    .language:       OpenCL C
    .language_version:
      - 2
      - 0
    .max_flat_workgroup_size: 1024
    .name:           _ZN4vllm25paged_attention_v2_kernelI14__hip_bfloat16S1_Li120ELi8ELi128ELNS_18Fp8KVCacheDataTypeE0ELb0ELi512EEEvPfS3_PT_PKS4_PKT0_SA_ifPKiSC_iPKfiiiSE_SE_iiiii
    .private_segment_fixed_size: 0
    .sgpr_count:     38
    .sgpr_spill_count: 0
    .symbol:         _ZN4vllm25paged_attention_v2_kernelI14__hip_bfloat16S1_Li120ELi8ELi128ELNS_18Fp8KVCacheDataTypeE0ELb0ELi512EEEvPfS3_PT_PKS4_PKT0_SA_ifPKiSC_iPKfiiiSE_SE_iiiii.kd
    .uniform_work_group_size: 1
    .uses_dynamic_stack: false
    .vgpr_count:     65
    .vgpr_spill_count: 0
    .wavefront_size: 32
    .workgroup_processor_mode: 1
  - .args:
      - .actual_access:  write_only
        .address_space:  global
        .offset:         0
        .size:           8
        .value_kind:     global_buffer
      - .actual_access:  write_only
        .address_space:  global
        .offset:         8
        .size:           8
        .value_kind:     global_buffer
      - .actual_access:  write_only
        .address_space:  global
        .offset:         16
        .size:           8
        .value_kind:     global_buffer
      - .actual_access:  read_only
        .address_space:  global
        .offset:         24
        .size:           8
        .value_kind:     global_buffer
      - .actual_access:  read_only
        .address_space:  global
        .offset:         32
        .size:           8
        .value_kind:     global_buffer
      - .actual_access:  read_only
        .address_space:  global
        .offset:         40
        .size:           8
        .value_kind:     global_buffer
      - .offset:         48
        .size:           4
        .value_kind:     by_value
      - .offset:         52
        .size:           4
        .value_kind:     by_value
      - .actual_access:  read_only
        .address_space:  global
        .offset:         56
        .size:           8
        .value_kind:     global_buffer
      - .actual_access:  read_only
        .address_space:  global
        .offset:         64
        .size:           8
        .value_kind:     global_buffer
      - .offset:         72
        .size:           4
        .value_kind:     by_value
      - .actual_access:  read_only
        .address_space:  global
        .offset:         80
        .size:           8
        .value_kind:     global_buffer
      - .offset:         88
        .size:           4
        .value_kind:     by_value
      - .offset:         92
        .size:           4
        .value_kind:     by_value
      - .offset:         96
        .size:           4
        .value_kind:     by_value
      - .address_space:  global
        .offset:         104
        .size:           8
        .value_kind:     global_buffer
      - .address_space:  global
        .offset:         112
        .size:           8
        .value_kind:     global_buffer
      - .offset:         120
        .size:           4
        .value_kind:     by_value
      - .offset:         124
        .size:           4
        .value_kind:     by_value
      - .offset:         128
        .size:           4
        .value_kind:     by_value
      - .offset:         132
        .size:           4
        .value_kind:     by_value
      - .offset:         136
        .size:           4
        .value_kind:     by_value
      - .offset:         144
        .size:           4
        .value_kind:     hidden_block_count_x
      - .offset:         148
        .size:           4
        .value_kind:     hidden_block_count_y
      - .offset:         152
        .size:           4
        .value_kind:     hidden_block_count_z
      - .offset:         156
        .size:           2
        .value_kind:     hidden_group_size_x
      - .offset:         158
        .size:           2
        .value_kind:     hidden_group_size_y
      - .offset:         160
        .size:           2
        .value_kind:     hidden_group_size_z
      - .offset:         162
        .size:           2
        .value_kind:     hidden_remainder_x
      - .offset:         164
        .size:           2
        .value_kind:     hidden_remainder_y
      - .offset:         166
        .size:           2
        .value_kind:     hidden_remainder_z
      - .offset:         184
        .size:           8
        .value_kind:     hidden_global_offset_x
      - .offset:         192
        .size:           8
        .value_kind:     hidden_global_offset_y
      - .offset:         200
        .size:           8
        .value_kind:     hidden_global_offset_z
      - .offset:         208
        .size:           2
        .value_kind:     hidden_grid_dims
      - .offset:         264
        .size:           4
        .value_kind:     hidden_dynamic_lds_size
    .group_segment_fixed_size: 288
    .kernarg_segment_align: 8
    .kernarg_segment_size: 400
    .language:       OpenCL C
    .language_version:
      - 2
      - 0
    .max_flat_workgroup_size: 1024
    .name:           _ZN4vllm25paged_attention_v2_kernelI14__hip_bfloat16S1_Li128ELi8ELi128ELNS_18Fp8KVCacheDataTypeE0ELb0ELi512EEEvPfS3_PT_PKS4_PKT0_SA_ifPKiSC_iPKfiiiSE_SE_iiiii
    .private_segment_fixed_size: 0
    .sgpr_count:     40
    .sgpr_spill_count: 0
    .symbol:         _ZN4vllm25paged_attention_v2_kernelI14__hip_bfloat16S1_Li128ELi8ELi128ELNS_18Fp8KVCacheDataTypeE0ELb0ELi512EEEvPfS3_PT_PKS4_PKT0_SA_ifPKiSC_iPKfiiiSE_SE_iiiii.kd
    .uniform_work_group_size: 1
    .uses_dynamic_stack: false
    .vgpr_count:     68
    .vgpr_spill_count: 0
    .wavefront_size: 32
    .workgroup_processor_mode: 1
  - .args:
      - .actual_access:  write_only
        .address_space:  global
        .offset:         0
        .size:           8
        .value_kind:     global_buffer
      - .actual_access:  write_only
        .address_space:  global
        .offset:         8
        .size:           8
        .value_kind:     global_buffer
      - .actual_access:  write_only
        .address_space:  global
        .offset:         16
        .size:           8
        .value_kind:     global_buffer
      - .actual_access:  read_only
        .address_space:  global
        .offset:         24
        .size:           8
        .value_kind:     global_buffer
      - .actual_access:  read_only
        .address_space:  global
        .offset:         32
        .size:           8
        .value_kind:     global_buffer
      - .actual_access:  read_only
        .address_space:  global
        .offset:         40
        .size:           8
        .value_kind:     global_buffer
      - .offset:         48
        .size:           4
        .value_kind:     by_value
      - .offset:         52
        .size:           4
        .value_kind:     by_value
      - .actual_access:  read_only
        .address_space:  global
        .offset:         56
        .size:           8
        .value_kind:     global_buffer
      - .actual_access:  read_only
        .address_space:  global
        .offset:         64
        .size:           8
        .value_kind:     global_buffer
      - .offset:         72
        .size:           4
        .value_kind:     by_value
      - .actual_access:  read_only
        .address_space:  global
        .offset:         80
        .size:           8
        .value_kind:     global_buffer
      - .offset:         88
        .size:           4
        .value_kind:     by_value
      - .offset:         92
        .size:           4
        .value_kind:     by_value
      - .offset:         96
        .size:           4
        .value_kind:     by_value
      - .address_space:  global
        .offset:         104
        .size:           8
        .value_kind:     global_buffer
      - .address_space:  global
        .offset:         112
        .size:           8
        .value_kind:     global_buffer
      - .offset:         120
        .size:           4
        .value_kind:     by_value
      - .offset:         124
        .size:           4
        .value_kind:     by_value
      - .offset:         128
        .size:           4
        .value_kind:     by_value
      - .offset:         132
        .size:           4
        .value_kind:     by_value
      - .offset:         136
        .size:           4
        .value_kind:     by_value
      - .offset:         144
        .size:           4
        .value_kind:     hidden_block_count_x
      - .offset:         148
        .size:           4
        .value_kind:     hidden_block_count_y
      - .offset:         152
        .size:           4
        .value_kind:     hidden_block_count_z
      - .offset:         156
        .size:           2
        .value_kind:     hidden_group_size_x
      - .offset:         158
        .size:           2
        .value_kind:     hidden_group_size_y
      - .offset:         160
        .size:           2
        .value_kind:     hidden_group_size_z
      - .offset:         162
        .size:           2
        .value_kind:     hidden_remainder_x
      - .offset:         164
        .size:           2
        .value_kind:     hidden_remainder_y
      - .offset:         166
        .size:           2
        .value_kind:     hidden_remainder_z
      - .offset:         184
        .size:           8
        .value_kind:     hidden_global_offset_x
      - .offset:         192
        .size:           8
        .value_kind:     hidden_global_offset_y
      - .offset:         200
        .size:           8
        .value_kind:     hidden_global_offset_z
      - .offset:         208
        .size:           2
        .value_kind:     hidden_grid_dims
      - .offset:         264
        .size:           4
        .value_kind:     hidden_dynamic_lds_size
    .group_segment_fixed_size: 416
    .kernarg_segment_align: 8
    .kernarg_segment_size: 400
    .language:       OpenCL C
    .language_version:
      - 2
      - 0
    .max_flat_workgroup_size: 1024
    .name:           _ZN4vllm25paged_attention_v2_kernelI14__hip_bfloat16S1_Li192ELi8ELi128ELNS_18Fp8KVCacheDataTypeE0ELb0ELi512EEEvPfS3_PT_PKS4_PKT0_SA_ifPKiSC_iPKfiiiSE_SE_iiiii
    .private_segment_fixed_size: 0
    .sgpr_count:     38
    .sgpr_spill_count: 0
    .symbol:         _ZN4vllm25paged_attention_v2_kernelI14__hip_bfloat16S1_Li192ELi8ELi128ELNS_18Fp8KVCacheDataTypeE0ELb0ELi512EEEvPfS3_PT_PKS4_PKT0_SA_ifPKiSC_iPKfiiiSE_SE_iiiii.kd
    .uniform_work_group_size: 1
    .uses_dynamic_stack: false
    .vgpr_count:     92
    .vgpr_spill_count: 0
    .wavefront_size: 32
    .workgroup_processor_mode: 1
  - .args:
      - .actual_access:  write_only
        .address_space:  global
        .offset:         0
        .size:           8
        .value_kind:     global_buffer
      - .actual_access:  write_only
        .address_space:  global
        .offset:         8
        .size:           8
        .value_kind:     global_buffer
      - .actual_access:  write_only
        .address_space:  global
        .offset:         16
        .size:           8
        .value_kind:     global_buffer
      - .actual_access:  read_only
        .address_space:  global
        .offset:         24
        .size:           8
        .value_kind:     global_buffer
      - .actual_access:  read_only
        .address_space:  global
        .offset:         32
        .size:           8
        .value_kind:     global_buffer
      - .actual_access:  read_only
        .address_space:  global
        .offset:         40
        .size:           8
        .value_kind:     global_buffer
      - .offset:         48
        .size:           4
        .value_kind:     by_value
      - .offset:         52
        .size:           4
        .value_kind:     by_value
      - .actual_access:  read_only
        .address_space:  global
        .offset:         56
        .size:           8
        .value_kind:     global_buffer
      - .actual_access:  read_only
        .address_space:  global
        .offset:         64
        .size:           8
        .value_kind:     global_buffer
      - .offset:         72
        .size:           4
        .value_kind:     by_value
      - .actual_access:  read_only
        .address_space:  global
        .offset:         80
        .size:           8
        .value_kind:     global_buffer
      - .offset:         88
        .size:           4
        .value_kind:     by_value
      - .offset:         92
        .size:           4
        .value_kind:     by_value
      - .offset:         96
        .size:           4
        .value_kind:     by_value
      - .address_space:  global
        .offset:         104
        .size:           8
        .value_kind:     global_buffer
      - .address_space:  global
        .offset:         112
        .size:           8
        .value_kind:     global_buffer
      - .offset:         120
        .size:           4
        .value_kind:     by_value
      - .offset:         124
        .size:           4
        .value_kind:     by_value
      - .offset:         128
        .size:           4
        .value_kind:     by_value
      - .offset:         132
        .size:           4
        .value_kind:     by_value
      - .offset:         136
        .size:           4
        .value_kind:     by_value
      - .offset:         144
        .size:           4
        .value_kind:     hidden_block_count_x
      - .offset:         148
        .size:           4
        .value_kind:     hidden_block_count_y
      - .offset:         152
        .size:           4
        .value_kind:     hidden_block_count_z
      - .offset:         156
        .size:           2
        .value_kind:     hidden_group_size_x
      - .offset:         158
        .size:           2
        .value_kind:     hidden_group_size_y
      - .offset:         160
        .size:           2
        .value_kind:     hidden_group_size_z
      - .offset:         162
        .size:           2
        .value_kind:     hidden_remainder_x
      - .offset:         164
        .size:           2
        .value_kind:     hidden_remainder_y
      - .offset:         166
        .size:           2
        .value_kind:     hidden_remainder_z
      - .offset:         184
        .size:           8
        .value_kind:     hidden_global_offset_x
      - .offset:         192
        .size:           8
        .value_kind:     hidden_global_offset_y
      - .offset:         200
        .size:           8
        .value_kind:     hidden_global_offset_z
      - .offset:         208
        .size:           2
        .value_kind:     hidden_grid_dims
      - .offset:         264
        .size:           4
        .value_kind:     hidden_dynamic_lds_size
    .group_segment_fixed_size: 544
    .kernarg_segment_align: 8
    .kernarg_segment_size: 400
    .language:       OpenCL C
    .language_version:
      - 2
      - 0
    .max_flat_workgroup_size: 1024
    .name:           _ZN4vllm25paged_attention_v2_kernelI14__hip_bfloat16S1_Li256ELi8ELi128ELNS_18Fp8KVCacheDataTypeE0ELb0ELi512EEEvPfS3_PT_PKS4_PKT0_SA_ifPKiSC_iPKfiiiSE_SE_iiiii
    .private_segment_fixed_size: 0
    .sgpr_count:     38
    .sgpr_spill_count: 0
    .symbol:         _ZN4vllm25paged_attention_v2_kernelI14__hip_bfloat16S1_Li256ELi8ELi128ELNS_18Fp8KVCacheDataTypeE0ELb0ELi512EEEvPfS3_PT_PKS4_PKT0_SA_ifPKiSC_iPKfiiiSE_SE_iiiii.kd
    .uniform_work_group_size: 1
    .uses_dynamic_stack: false
    .vgpr_count:     116
    .vgpr_spill_count: 0
    .wavefront_size: 32
    .workgroup_processor_mode: 1
  - .args:
      - .actual_access:  write_only
        .address_space:  global
        .offset:         0
        .size:           8
        .value_kind:     global_buffer
      - .actual_access:  write_only
        .address_space:  global
        .offset:         8
        .size:           8
        .value_kind:     global_buffer
      - .actual_access:  write_only
        .address_space:  global
        .offset:         16
        .size:           8
        .value_kind:     global_buffer
      - .actual_access:  read_only
        .address_space:  global
        .offset:         24
        .size:           8
        .value_kind:     global_buffer
      - .actual_access:  read_only
        .address_space:  global
        .offset:         32
        .size:           8
        .value_kind:     global_buffer
      - .actual_access:  read_only
        .address_space:  global
        .offset:         40
        .size:           8
        .value_kind:     global_buffer
      - .offset:         48
        .size:           4
        .value_kind:     by_value
      - .offset:         52
        .size:           4
        .value_kind:     by_value
      - .actual_access:  read_only
        .address_space:  global
        .offset:         56
        .size:           8
        .value_kind:     global_buffer
      - .actual_access:  read_only
        .address_space:  global
        .offset:         64
        .size:           8
        .value_kind:     global_buffer
      - .offset:         72
        .size:           4
        .value_kind:     by_value
      - .actual_access:  read_only
        .address_space:  global
        .offset:         80
        .size:           8
        .value_kind:     global_buffer
      - .offset:         88
        .size:           4
        .value_kind:     by_value
      - .offset:         92
        .size:           4
        .value_kind:     by_value
      - .offset:         96
        .size:           4
        .value_kind:     by_value
      - .address_space:  global
        .offset:         104
        .size:           8
        .value_kind:     global_buffer
      - .address_space:  global
        .offset:         112
        .size:           8
        .value_kind:     global_buffer
      - .offset:         120
        .size:           4
        .value_kind:     by_value
      - .offset:         124
        .size:           4
        .value_kind:     by_value
      - .offset:         128
        .size:           4
        .value_kind:     by_value
      - .offset:         132
        .size:           4
        .value_kind:     by_value
      - .offset:         136
        .size:           4
        .value_kind:     by_value
      - .offset:         144
        .size:           4
        .value_kind:     hidden_block_count_x
      - .offset:         148
        .size:           4
        .value_kind:     hidden_block_count_y
      - .offset:         152
        .size:           4
        .value_kind:     hidden_block_count_z
      - .offset:         156
        .size:           2
        .value_kind:     hidden_group_size_x
      - .offset:         158
        .size:           2
        .value_kind:     hidden_group_size_y
      - .offset:         160
        .size:           2
        .value_kind:     hidden_group_size_z
      - .offset:         162
        .size:           2
        .value_kind:     hidden_remainder_x
      - .offset:         164
        .size:           2
        .value_kind:     hidden_remainder_y
      - .offset:         166
        .size:           2
        .value_kind:     hidden_remainder_z
      - .offset:         184
        .size:           8
        .value_kind:     hidden_global_offset_x
      - .offset:         192
        .size:           8
        .value_kind:     hidden_global_offset_y
      - .offset:         200
        .size:           8
        .value_kind:     hidden_global_offset_z
      - .offset:         208
        .size:           2
        .value_kind:     hidden_grid_dims
      - .offset:         264
        .size:           4
        .value_kind:     hidden_dynamic_lds_size
    .group_segment_fixed_size: 96
    .kernarg_segment_align: 8
    .kernarg_segment_size: 400
    .language:       OpenCL C
    .language_version:
      - 2
      - 0
    .max_flat_workgroup_size: 1024
    .name:           _ZN4vllm25paged_attention_v2_kernelI14__hip_bfloat16S1_Li32ELi16ELi128ELNS_18Fp8KVCacheDataTypeE0ELb1ELi512EEEvPfS3_PT_PKS4_PKT0_SA_ifPKiSC_iPKfiiiSE_SE_iiiii
    .private_segment_fixed_size: 0
    .sgpr_count:     48
    .sgpr_spill_count: 0
    .symbol:         _ZN4vllm25paged_attention_v2_kernelI14__hip_bfloat16S1_Li32ELi16ELi128ELNS_18Fp8KVCacheDataTypeE0ELb1ELi512EEEvPfS3_PT_PKS4_PKT0_SA_ifPKiSC_iPKfiiiSE_SE_iiiii.kd
    .uniform_work_group_size: 1
    .uses_dynamic_stack: false
    .vgpr_count:     53
    .vgpr_spill_count: 0
    .wavefront_size: 32
    .workgroup_processor_mode: 1
  - .args:
      - .actual_access:  write_only
        .address_space:  global
        .offset:         0
        .size:           8
        .value_kind:     global_buffer
      - .actual_access:  write_only
        .address_space:  global
        .offset:         8
        .size:           8
        .value_kind:     global_buffer
      - .actual_access:  write_only
        .address_space:  global
        .offset:         16
        .size:           8
        .value_kind:     global_buffer
      - .actual_access:  read_only
        .address_space:  global
        .offset:         24
        .size:           8
        .value_kind:     global_buffer
      - .actual_access:  read_only
        .address_space:  global
        .offset:         32
        .size:           8
        .value_kind:     global_buffer
      - .actual_access:  read_only
        .address_space:  global
        .offset:         40
        .size:           8
        .value_kind:     global_buffer
      - .offset:         48
        .size:           4
        .value_kind:     by_value
      - .offset:         52
        .size:           4
        .value_kind:     by_value
      - .actual_access:  read_only
        .address_space:  global
        .offset:         56
        .size:           8
        .value_kind:     global_buffer
      - .actual_access:  read_only
        .address_space:  global
        .offset:         64
        .size:           8
        .value_kind:     global_buffer
      - .offset:         72
        .size:           4
        .value_kind:     by_value
      - .actual_access:  read_only
        .address_space:  global
        .offset:         80
        .size:           8
        .value_kind:     global_buffer
      - .offset:         88
        .size:           4
        .value_kind:     by_value
      - .offset:         92
        .size:           4
        .value_kind:     by_value
      - .offset:         96
        .size:           4
        .value_kind:     by_value
      - .address_space:  global
        .offset:         104
        .size:           8
        .value_kind:     global_buffer
      - .address_space:  global
        .offset:         112
        .size:           8
        .value_kind:     global_buffer
      - .offset:         120
        .size:           4
        .value_kind:     by_value
      - .offset:         124
        .size:           4
        .value_kind:     by_value
      - .offset:         128
        .size:           4
        .value_kind:     by_value
      - .offset:         132
        .size:           4
        .value_kind:     by_value
      - .offset:         136
        .size:           4
        .value_kind:     by_value
      - .offset:         144
        .size:           4
        .value_kind:     hidden_block_count_x
      - .offset:         148
        .size:           4
        .value_kind:     hidden_block_count_y
      - .offset:         152
        .size:           4
        .value_kind:     hidden_block_count_z
      - .offset:         156
        .size:           2
        .value_kind:     hidden_group_size_x
      - .offset:         158
        .size:           2
        .value_kind:     hidden_group_size_y
      - .offset:         160
        .size:           2
        .value_kind:     hidden_group_size_z
      - .offset:         162
        .size:           2
        .value_kind:     hidden_remainder_x
      - .offset:         164
        .size:           2
        .value_kind:     hidden_remainder_y
      - .offset:         166
        .size:           2
        .value_kind:     hidden_remainder_z
      - .offset:         184
        .size:           8
        .value_kind:     hidden_global_offset_x
      - .offset:         192
        .size:           8
        .value_kind:     hidden_global_offset_y
      - .offset:         200
        .size:           8
        .value_kind:     hidden_global_offset_z
      - .offset:         208
        .size:           2
        .value_kind:     hidden_grid_dims
      - .offset:         264
        .size:           4
        .value_kind:     hidden_dynamic_lds_size
    .group_segment_fixed_size: 160
    .kernarg_segment_align: 8
    .kernarg_segment_size: 400
    .language:       OpenCL C
    .language_version:
      - 2
      - 0
    .max_flat_workgroup_size: 1024
    .name:           _ZN4vllm25paged_attention_v2_kernelI14__hip_bfloat16S1_Li64ELi16ELi128ELNS_18Fp8KVCacheDataTypeE0ELb1ELi512EEEvPfS3_PT_PKS4_PKT0_SA_ifPKiSC_iPKfiiiSE_SE_iiiii
    .private_segment_fixed_size: 0
    .sgpr_count:     48
    .sgpr_spill_count: 0
    .symbol:         _ZN4vllm25paged_attention_v2_kernelI14__hip_bfloat16S1_Li64ELi16ELi128ELNS_18Fp8KVCacheDataTypeE0ELb1ELi512EEEvPfS3_PT_PKS4_PKT0_SA_ifPKiSC_iPKfiiiSE_SE_iiiii.kd
    .uniform_work_group_size: 1
    .uses_dynamic_stack: false
    .vgpr_count:     83
    .vgpr_spill_count: 0
    .wavefront_size: 32
    .workgroup_processor_mode: 1
  - .args:
      - .actual_access:  write_only
        .address_space:  global
        .offset:         0
        .size:           8
        .value_kind:     global_buffer
      - .actual_access:  write_only
        .address_space:  global
        .offset:         8
        .size:           8
        .value_kind:     global_buffer
      - .actual_access:  write_only
        .address_space:  global
        .offset:         16
        .size:           8
        .value_kind:     global_buffer
      - .actual_access:  read_only
        .address_space:  global
        .offset:         24
        .size:           8
        .value_kind:     global_buffer
      - .actual_access:  read_only
        .address_space:  global
        .offset:         32
        .size:           8
        .value_kind:     global_buffer
      - .actual_access:  read_only
        .address_space:  global
        .offset:         40
        .size:           8
        .value_kind:     global_buffer
      - .offset:         48
        .size:           4
        .value_kind:     by_value
      - .offset:         52
        .size:           4
        .value_kind:     by_value
      - .actual_access:  read_only
        .address_space:  global
        .offset:         56
        .size:           8
        .value_kind:     global_buffer
      - .actual_access:  read_only
        .address_space:  global
        .offset:         64
        .size:           8
        .value_kind:     global_buffer
      - .offset:         72
        .size:           4
        .value_kind:     by_value
      - .actual_access:  read_only
        .address_space:  global
        .offset:         80
        .size:           8
        .value_kind:     global_buffer
      - .offset:         88
        .size:           4
        .value_kind:     by_value
      - .offset:         92
        .size:           4
        .value_kind:     by_value
      - .offset:         96
        .size:           4
        .value_kind:     by_value
      - .address_space:  global
        .offset:         104
        .size:           8
        .value_kind:     global_buffer
      - .address_space:  global
        .offset:         112
        .size:           8
        .value_kind:     global_buffer
      - .offset:         120
        .size:           4
        .value_kind:     by_value
      - .offset:         124
        .size:           4
        .value_kind:     by_value
      - .offset:         128
        .size:           4
        .value_kind:     by_value
      - .offset:         132
        .size:           4
        .value_kind:     by_value
      - .offset:         136
        .size:           4
        .value_kind:     by_value
      - .offset:         144
        .size:           4
        .value_kind:     hidden_block_count_x
      - .offset:         148
        .size:           4
        .value_kind:     hidden_block_count_y
      - .offset:         152
        .size:           4
        .value_kind:     hidden_block_count_z
      - .offset:         156
        .size:           2
        .value_kind:     hidden_group_size_x
      - .offset:         158
        .size:           2
        .value_kind:     hidden_group_size_y
      - .offset:         160
        .size:           2
        .value_kind:     hidden_group_size_z
      - .offset:         162
        .size:           2
        .value_kind:     hidden_remainder_x
      - .offset:         164
        .size:           2
        .value_kind:     hidden_remainder_y
      - .offset:         166
        .size:           2
        .value_kind:     hidden_remainder_z
      - .offset:         184
        .size:           8
        .value_kind:     hidden_global_offset_x
      - .offset:         192
        .size:           8
        .value_kind:     hidden_global_offset_y
      - .offset:         200
        .size:           8
        .value_kind:     hidden_global_offset_z
      - .offset:         208
        .size:           2
        .value_kind:     hidden_grid_dims
      - .offset:         264
        .size:           4
        .value_kind:     hidden_dynamic_lds_size
    .group_segment_fixed_size: 192
    .kernarg_segment_align: 8
    .kernarg_segment_size: 400
    .language:       OpenCL C
    .language_version:
      - 2
      - 0
    .max_flat_workgroup_size: 1024
    .name:           _ZN4vllm25paged_attention_v2_kernelI14__hip_bfloat16S1_Li80ELi16ELi128ELNS_18Fp8KVCacheDataTypeE0ELb1ELi512EEEvPfS3_PT_PKS4_PKT0_SA_ifPKiSC_iPKfiiiSE_SE_iiiii
    .private_segment_fixed_size: 0
    .sgpr_count:     48
    .sgpr_spill_count: 0
    .symbol:         _ZN4vllm25paged_attention_v2_kernelI14__hip_bfloat16S1_Li80ELi16ELi128ELNS_18Fp8KVCacheDataTypeE0ELb1ELi512EEEvPfS3_PT_PKS4_PKT0_SA_ifPKiSC_iPKfiiiSE_SE_iiiii.kd
    .uniform_work_group_size: 1
    .uses_dynamic_stack: false
    .vgpr_count:     92
    .vgpr_spill_count: 0
    .wavefront_size: 32
    .workgroup_processor_mode: 1
  - .args:
      - .actual_access:  write_only
        .address_space:  global
        .offset:         0
        .size:           8
        .value_kind:     global_buffer
      - .actual_access:  write_only
        .address_space:  global
        .offset:         8
        .size:           8
        .value_kind:     global_buffer
      - .actual_access:  write_only
        .address_space:  global
        .offset:         16
        .size:           8
        .value_kind:     global_buffer
      - .actual_access:  read_only
        .address_space:  global
        .offset:         24
        .size:           8
        .value_kind:     global_buffer
      - .actual_access:  read_only
        .address_space:  global
        .offset:         32
        .size:           8
        .value_kind:     global_buffer
      - .actual_access:  read_only
        .address_space:  global
        .offset:         40
        .size:           8
        .value_kind:     global_buffer
      - .offset:         48
        .size:           4
        .value_kind:     by_value
      - .offset:         52
        .size:           4
        .value_kind:     by_value
      - .actual_access:  read_only
        .address_space:  global
        .offset:         56
        .size:           8
        .value_kind:     global_buffer
      - .actual_access:  read_only
        .address_space:  global
        .offset:         64
        .size:           8
        .value_kind:     global_buffer
      - .offset:         72
        .size:           4
        .value_kind:     by_value
      - .actual_access:  read_only
        .address_space:  global
        .offset:         80
        .size:           8
        .value_kind:     global_buffer
      - .offset:         88
        .size:           4
        .value_kind:     by_value
      - .offset:         92
        .size:           4
        .value_kind:     by_value
      - .offset:         96
        .size:           4
        .value_kind:     by_value
      - .address_space:  global
        .offset:         104
        .size:           8
        .value_kind:     global_buffer
      - .address_space:  global
        .offset:         112
        .size:           8
        .value_kind:     global_buffer
      - .offset:         120
        .size:           4
        .value_kind:     by_value
      - .offset:         124
        .size:           4
        .value_kind:     by_value
      - .offset:         128
        .size:           4
        .value_kind:     by_value
      - .offset:         132
        .size:           4
        .value_kind:     by_value
      - .offset:         136
        .size:           4
        .value_kind:     by_value
      - .offset:         144
        .size:           4
        .value_kind:     hidden_block_count_x
      - .offset:         148
        .size:           4
        .value_kind:     hidden_block_count_y
      - .offset:         152
        .size:           4
        .value_kind:     hidden_block_count_z
      - .offset:         156
        .size:           2
        .value_kind:     hidden_group_size_x
      - .offset:         158
        .size:           2
        .value_kind:     hidden_group_size_y
      - .offset:         160
        .size:           2
        .value_kind:     hidden_group_size_z
      - .offset:         162
        .size:           2
        .value_kind:     hidden_remainder_x
      - .offset:         164
        .size:           2
        .value_kind:     hidden_remainder_y
      - .offset:         166
        .size:           2
        .value_kind:     hidden_remainder_z
      - .offset:         184
        .size:           8
        .value_kind:     hidden_global_offset_x
      - .offset:         192
        .size:           8
        .value_kind:     hidden_global_offset_y
      - .offset:         200
        .size:           8
        .value_kind:     hidden_global_offset_z
      - .offset:         208
        .size:           2
        .value_kind:     hidden_grid_dims
      - .offset:         264
        .size:           4
        .value_kind:     hidden_dynamic_lds_size
    .group_segment_fixed_size: 224
    .kernarg_segment_align: 8
    .kernarg_segment_size: 400
    .language:       OpenCL C
    .language_version:
      - 2
      - 0
    .max_flat_workgroup_size: 1024
    .name:           _ZN4vllm25paged_attention_v2_kernelI14__hip_bfloat16S1_Li96ELi16ELi128ELNS_18Fp8KVCacheDataTypeE0ELb1ELi512EEEvPfS3_PT_PKS4_PKT0_SA_ifPKiSC_iPKfiiiSE_SE_iiiii
    .private_segment_fixed_size: 0
    .sgpr_count:     48
    .sgpr_spill_count: 0
    .symbol:         _ZN4vllm25paged_attention_v2_kernelI14__hip_bfloat16S1_Li96ELi16ELi128ELNS_18Fp8KVCacheDataTypeE0ELb1ELi512EEEvPfS3_PT_PKS4_PKT0_SA_ifPKiSC_iPKfiiiSE_SE_iiiii.kd
    .uniform_work_group_size: 1
    .uses_dynamic_stack: false
    .vgpr_count:     92
    .vgpr_spill_count: 0
    .wavefront_size: 32
    .workgroup_processor_mode: 1
  - .args:
      - .actual_access:  write_only
        .address_space:  global
        .offset:         0
        .size:           8
        .value_kind:     global_buffer
      - .actual_access:  write_only
        .address_space:  global
        .offset:         8
        .size:           8
        .value_kind:     global_buffer
      - .actual_access:  write_only
        .address_space:  global
        .offset:         16
        .size:           8
        .value_kind:     global_buffer
      - .actual_access:  read_only
        .address_space:  global
        .offset:         24
        .size:           8
        .value_kind:     global_buffer
      - .actual_access:  read_only
        .address_space:  global
        .offset:         32
        .size:           8
        .value_kind:     global_buffer
      - .actual_access:  read_only
        .address_space:  global
        .offset:         40
        .size:           8
        .value_kind:     global_buffer
      - .offset:         48
        .size:           4
        .value_kind:     by_value
      - .offset:         52
        .size:           4
        .value_kind:     by_value
      - .actual_access:  read_only
        .address_space:  global
        .offset:         56
        .size:           8
        .value_kind:     global_buffer
      - .actual_access:  read_only
        .address_space:  global
        .offset:         64
        .size:           8
        .value_kind:     global_buffer
      - .offset:         72
        .size:           4
        .value_kind:     by_value
      - .actual_access:  read_only
        .address_space:  global
        .offset:         80
        .size:           8
        .value_kind:     global_buffer
      - .offset:         88
        .size:           4
        .value_kind:     by_value
      - .offset:         92
        .size:           4
        .value_kind:     by_value
      - .offset:         96
        .size:           4
        .value_kind:     by_value
      - .address_space:  global
        .offset:         104
        .size:           8
        .value_kind:     global_buffer
      - .address_space:  global
        .offset:         112
        .size:           8
        .value_kind:     global_buffer
      - .offset:         120
        .size:           4
        .value_kind:     by_value
      - .offset:         124
        .size:           4
        .value_kind:     by_value
      - .offset:         128
        .size:           4
        .value_kind:     by_value
      - .offset:         132
        .size:           4
        .value_kind:     by_value
      - .offset:         136
        .size:           4
        .value_kind:     by_value
      - .offset:         144
        .size:           4
        .value_kind:     hidden_block_count_x
      - .offset:         148
        .size:           4
        .value_kind:     hidden_block_count_y
      - .offset:         152
        .size:           4
        .value_kind:     hidden_block_count_z
      - .offset:         156
        .size:           2
        .value_kind:     hidden_group_size_x
      - .offset:         158
        .size:           2
        .value_kind:     hidden_group_size_y
      - .offset:         160
        .size:           2
        .value_kind:     hidden_group_size_z
      - .offset:         162
        .size:           2
        .value_kind:     hidden_remainder_x
      - .offset:         164
        .size:           2
        .value_kind:     hidden_remainder_y
      - .offset:         166
        .size:           2
        .value_kind:     hidden_remainder_z
      - .offset:         184
        .size:           8
        .value_kind:     hidden_global_offset_x
      - .offset:         192
        .size:           8
        .value_kind:     hidden_global_offset_y
      - .offset:         200
        .size:           8
        .value_kind:     hidden_global_offset_z
      - .offset:         208
        .size:           2
        .value_kind:     hidden_grid_dims
      - .offset:         264
        .size:           4
        .value_kind:     hidden_dynamic_lds_size
    .group_segment_fixed_size: 256
    .kernarg_segment_align: 8
    .kernarg_segment_size: 400
    .language:       OpenCL C
    .language_version:
      - 2
      - 0
    .max_flat_workgroup_size: 1024
    .name:           _ZN4vllm25paged_attention_v2_kernelI14__hip_bfloat16S1_Li112ELi16ELi128ELNS_18Fp8KVCacheDataTypeE0ELb1ELi512EEEvPfS3_PT_PKS4_PKT0_SA_ifPKiSC_iPKfiiiSE_SE_iiiii
    .private_segment_fixed_size: 0
    .sgpr_count:     48
    .sgpr_spill_count: 0
    .symbol:         _ZN4vllm25paged_attention_v2_kernelI14__hip_bfloat16S1_Li112ELi16ELi128ELNS_18Fp8KVCacheDataTypeE0ELb1ELi512EEEvPfS3_PT_PKS4_PKT0_SA_ifPKiSC_iPKfiiiSE_SE_iiiii.kd
    .uniform_work_group_size: 1
    .uses_dynamic_stack: false
    .vgpr_count:     106
    .vgpr_spill_count: 0
    .wavefront_size: 32
    .workgroup_processor_mode: 1
  - .args:
      - .actual_access:  write_only
        .address_space:  global
        .offset:         0
        .size:           8
        .value_kind:     global_buffer
      - .actual_access:  write_only
        .address_space:  global
        .offset:         8
        .size:           8
        .value_kind:     global_buffer
      - .actual_access:  write_only
        .address_space:  global
        .offset:         16
        .size:           8
        .value_kind:     global_buffer
      - .actual_access:  read_only
        .address_space:  global
        .offset:         24
        .size:           8
        .value_kind:     global_buffer
      - .actual_access:  read_only
        .address_space:  global
        .offset:         32
        .size:           8
        .value_kind:     global_buffer
      - .actual_access:  read_only
        .address_space:  global
        .offset:         40
        .size:           8
        .value_kind:     global_buffer
      - .offset:         48
        .size:           4
        .value_kind:     by_value
      - .offset:         52
        .size:           4
        .value_kind:     by_value
      - .actual_access:  read_only
        .address_space:  global
        .offset:         56
        .size:           8
        .value_kind:     global_buffer
      - .actual_access:  read_only
        .address_space:  global
        .offset:         64
        .size:           8
        .value_kind:     global_buffer
      - .offset:         72
        .size:           4
        .value_kind:     by_value
      - .actual_access:  read_only
        .address_space:  global
        .offset:         80
        .size:           8
        .value_kind:     global_buffer
      - .offset:         88
        .size:           4
        .value_kind:     by_value
      - .offset:         92
        .size:           4
        .value_kind:     by_value
      - .offset:         96
        .size:           4
        .value_kind:     by_value
      - .address_space:  global
        .offset:         104
        .size:           8
        .value_kind:     global_buffer
      - .address_space:  global
        .offset:         112
        .size:           8
        .value_kind:     global_buffer
      - .offset:         120
        .size:           4
        .value_kind:     by_value
      - .offset:         124
        .size:           4
        .value_kind:     by_value
      - .offset:         128
        .size:           4
        .value_kind:     by_value
      - .offset:         132
        .size:           4
        .value_kind:     by_value
      - .offset:         136
        .size:           4
        .value_kind:     by_value
      - .offset:         144
        .size:           4
        .value_kind:     hidden_block_count_x
      - .offset:         148
        .size:           4
        .value_kind:     hidden_block_count_y
      - .offset:         152
        .size:           4
        .value_kind:     hidden_block_count_z
      - .offset:         156
        .size:           2
        .value_kind:     hidden_group_size_x
      - .offset:         158
        .size:           2
        .value_kind:     hidden_group_size_y
      - .offset:         160
        .size:           2
        .value_kind:     hidden_group_size_z
      - .offset:         162
        .size:           2
        .value_kind:     hidden_remainder_x
      - .offset:         164
        .size:           2
        .value_kind:     hidden_remainder_y
      - .offset:         166
        .size:           2
        .value_kind:     hidden_remainder_z
      - .offset:         184
        .size:           8
        .value_kind:     hidden_global_offset_x
      - .offset:         192
        .size:           8
        .value_kind:     hidden_global_offset_y
      - .offset:         200
        .size:           8
        .value_kind:     hidden_global_offset_z
      - .offset:         208
        .size:           2
        .value_kind:     hidden_grid_dims
      - .offset:         264
        .size:           4
        .value_kind:     hidden_dynamic_lds_size
    .group_segment_fixed_size: 272
    .kernarg_segment_align: 8
    .kernarg_segment_size: 400
    .language:       OpenCL C
    .language_version:
      - 2
      - 0
    .max_flat_workgroup_size: 1024
    .name:           _ZN4vllm25paged_attention_v2_kernelI14__hip_bfloat16S1_Li120ELi16ELi128ELNS_18Fp8KVCacheDataTypeE0ELb1ELi512EEEvPfS3_PT_PKS4_PKT0_SA_ifPKiSC_iPKfiiiSE_SE_iiiii
    .private_segment_fixed_size: 0
    .sgpr_count:     48
    .sgpr_spill_count: 0
    .symbol:         _ZN4vllm25paged_attention_v2_kernelI14__hip_bfloat16S1_Li120ELi16ELi128ELNS_18Fp8KVCacheDataTypeE0ELb1ELi512EEEvPfS3_PT_PKS4_PKT0_SA_ifPKiSC_iPKfiiiSE_SE_iiiii.kd
    .uniform_work_group_size: 1
    .uses_dynamic_stack: false
    .vgpr_count:     112
    .vgpr_spill_count: 0
    .wavefront_size: 32
    .workgroup_processor_mode: 1
  - .args:
      - .actual_access:  write_only
        .address_space:  global
        .offset:         0
        .size:           8
        .value_kind:     global_buffer
      - .actual_access:  write_only
        .address_space:  global
        .offset:         8
        .size:           8
        .value_kind:     global_buffer
      - .actual_access:  write_only
        .address_space:  global
        .offset:         16
        .size:           8
        .value_kind:     global_buffer
      - .actual_access:  read_only
        .address_space:  global
        .offset:         24
        .size:           8
        .value_kind:     global_buffer
      - .actual_access:  read_only
        .address_space:  global
        .offset:         32
        .size:           8
        .value_kind:     global_buffer
      - .actual_access:  read_only
        .address_space:  global
        .offset:         40
        .size:           8
        .value_kind:     global_buffer
      - .offset:         48
        .size:           4
        .value_kind:     by_value
      - .offset:         52
        .size:           4
        .value_kind:     by_value
      - .actual_access:  read_only
        .address_space:  global
        .offset:         56
        .size:           8
        .value_kind:     global_buffer
      - .actual_access:  read_only
        .address_space:  global
        .offset:         64
        .size:           8
        .value_kind:     global_buffer
      - .offset:         72
        .size:           4
        .value_kind:     by_value
      - .actual_access:  read_only
        .address_space:  global
        .offset:         80
        .size:           8
        .value_kind:     global_buffer
      - .offset:         88
        .size:           4
        .value_kind:     by_value
      - .offset:         92
        .size:           4
        .value_kind:     by_value
      - .offset:         96
        .size:           4
        .value_kind:     by_value
      - .address_space:  global
        .offset:         104
        .size:           8
        .value_kind:     global_buffer
      - .address_space:  global
        .offset:         112
        .size:           8
        .value_kind:     global_buffer
      - .offset:         120
        .size:           4
        .value_kind:     by_value
      - .offset:         124
        .size:           4
        .value_kind:     by_value
      - .offset:         128
        .size:           4
        .value_kind:     by_value
      - .offset:         132
        .size:           4
        .value_kind:     by_value
      - .offset:         136
        .size:           4
        .value_kind:     by_value
      - .offset:         144
        .size:           4
        .value_kind:     hidden_block_count_x
      - .offset:         148
        .size:           4
        .value_kind:     hidden_block_count_y
      - .offset:         152
        .size:           4
        .value_kind:     hidden_block_count_z
      - .offset:         156
        .size:           2
        .value_kind:     hidden_group_size_x
      - .offset:         158
        .size:           2
        .value_kind:     hidden_group_size_y
      - .offset:         160
        .size:           2
        .value_kind:     hidden_group_size_z
      - .offset:         162
        .size:           2
        .value_kind:     hidden_remainder_x
      - .offset:         164
        .size:           2
        .value_kind:     hidden_remainder_y
      - .offset:         166
        .size:           2
        .value_kind:     hidden_remainder_z
      - .offset:         184
        .size:           8
        .value_kind:     hidden_global_offset_x
      - .offset:         192
        .size:           8
        .value_kind:     hidden_global_offset_y
      - .offset:         200
        .size:           8
        .value_kind:     hidden_global_offset_z
      - .offset:         208
        .size:           2
        .value_kind:     hidden_grid_dims
      - .offset:         264
        .size:           4
        .value_kind:     hidden_dynamic_lds_size
    .group_segment_fixed_size: 288
    .kernarg_segment_align: 8
    .kernarg_segment_size: 400
    .language:       OpenCL C
    .language_version:
      - 2
      - 0
    .max_flat_workgroup_size: 1024
    .name:           _ZN4vllm25paged_attention_v2_kernelI14__hip_bfloat16S1_Li128ELi16ELi128ELNS_18Fp8KVCacheDataTypeE0ELb1ELi512EEEvPfS3_PT_PKS4_PKT0_SA_ifPKiSC_iPKfiiiSE_SE_iiiii
    .private_segment_fixed_size: 0
    .sgpr_count:     48
    .sgpr_spill_count: 0
    .symbol:         _ZN4vllm25paged_attention_v2_kernelI14__hip_bfloat16S1_Li128ELi16ELi128ELNS_18Fp8KVCacheDataTypeE0ELb1ELi512EEEvPfS3_PT_PKS4_PKT0_SA_ifPKiSC_iPKfiiiSE_SE_iiiii.kd
    .uniform_work_group_size: 1
    .uses_dynamic_stack: false
    .vgpr_count:     117
    .vgpr_spill_count: 0
    .wavefront_size: 32
    .workgroup_processor_mode: 1
  - .args:
      - .actual_access:  write_only
        .address_space:  global
        .offset:         0
        .size:           8
        .value_kind:     global_buffer
      - .actual_access:  write_only
        .address_space:  global
        .offset:         8
        .size:           8
        .value_kind:     global_buffer
      - .actual_access:  write_only
        .address_space:  global
        .offset:         16
        .size:           8
        .value_kind:     global_buffer
      - .actual_access:  read_only
        .address_space:  global
        .offset:         24
        .size:           8
        .value_kind:     global_buffer
      - .actual_access:  read_only
        .address_space:  global
        .offset:         32
        .size:           8
        .value_kind:     global_buffer
      - .actual_access:  read_only
        .address_space:  global
        .offset:         40
        .size:           8
        .value_kind:     global_buffer
      - .offset:         48
        .size:           4
        .value_kind:     by_value
      - .offset:         52
        .size:           4
        .value_kind:     by_value
      - .actual_access:  read_only
        .address_space:  global
        .offset:         56
        .size:           8
        .value_kind:     global_buffer
      - .actual_access:  read_only
        .address_space:  global
        .offset:         64
        .size:           8
        .value_kind:     global_buffer
      - .offset:         72
        .size:           4
        .value_kind:     by_value
      - .actual_access:  read_only
        .address_space:  global
        .offset:         80
        .size:           8
        .value_kind:     global_buffer
      - .offset:         88
        .size:           4
        .value_kind:     by_value
      - .offset:         92
        .size:           4
        .value_kind:     by_value
      - .offset:         96
        .size:           4
        .value_kind:     by_value
      - .address_space:  global
        .offset:         104
        .size:           8
        .value_kind:     global_buffer
      - .address_space:  global
        .offset:         112
        .size:           8
        .value_kind:     global_buffer
      - .offset:         120
        .size:           4
        .value_kind:     by_value
      - .offset:         124
        .size:           4
        .value_kind:     by_value
      - .offset:         128
        .size:           4
        .value_kind:     by_value
      - .offset:         132
        .size:           4
        .value_kind:     by_value
      - .offset:         136
        .size:           4
        .value_kind:     by_value
      - .offset:         144
        .size:           4
        .value_kind:     hidden_block_count_x
      - .offset:         148
        .size:           4
        .value_kind:     hidden_block_count_y
      - .offset:         152
        .size:           4
        .value_kind:     hidden_block_count_z
      - .offset:         156
        .size:           2
        .value_kind:     hidden_group_size_x
      - .offset:         158
        .size:           2
        .value_kind:     hidden_group_size_y
      - .offset:         160
        .size:           2
        .value_kind:     hidden_group_size_z
      - .offset:         162
        .size:           2
        .value_kind:     hidden_remainder_x
      - .offset:         164
        .size:           2
        .value_kind:     hidden_remainder_y
      - .offset:         166
        .size:           2
        .value_kind:     hidden_remainder_z
      - .offset:         184
        .size:           8
        .value_kind:     hidden_global_offset_x
      - .offset:         192
        .size:           8
        .value_kind:     hidden_global_offset_y
      - .offset:         200
        .size:           8
        .value_kind:     hidden_global_offset_z
      - .offset:         208
        .size:           2
        .value_kind:     hidden_grid_dims
      - .offset:         264
        .size:           4
        .value_kind:     hidden_dynamic_lds_size
    .group_segment_fixed_size: 416
    .kernarg_segment_align: 8
    .kernarg_segment_size: 400
    .language:       OpenCL C
    .language_version:
      - 2
      - 0
    .max_flat_workgroup_size: 1024
    .name:           _ZN4vllm25paged_attention_v2_kernelI14__hip_bfloat16S1_Li192ELi16ELi128ELNS_18Fp8KVCacheDataTypeE0ELb1ELi512EEEvPfS3_PT_PKS4_PKT0_SA_ifPKiSC_iPKfiiiSE_SE_iiiii
    .private_segment_fixed_size: 8
    .sgpr_count:     54
    .sgpr_spill_count: 0
    .symbol:         _ZN4vllm25paged_attention_v2_kernelI14__hip_bfloat16S1_Li192ELi16ELi128ELNS_18Fp8KVCacheDataTypeE0ELb1ELi512EEEvPfS3_PT_PKS4_PKT0_SA_ifPKiSC_iPKfiiiSE_SE_iiiii.kd
    .uniform_work_group_size: 1
    .uses_dynamic_stack: false
    .vgpr_count:     128
    .vgpr_spill_count: 1
    .wavefront_size: 32
    .workgroup_processor_mode: 1
  - .args:
      - .actual_access:  write_only
        .address_space:  global
        .offset:         0
        .size:           8
        .value_kind:     global_buffer
      - .actual_access:  write_only
        .address_space:  global
        .offset:         8
        .size:           8
        .value_kind:     global_buffer
      - .actual_access:  write_only
        .address_space:  global
        .offset:         16
        .size:           8
        .value_kind:     global_buffer
      - .actual_access:  read_only
        .address_space:  global
        .offset:         24
        .size:           8
        .value_kind:     global_buffer
      - .actual_access:  read_only
        .address_space:  global
        .offset:         32
        .size:           8
        .value_kind:     global_buffer
      - .actual_access:  read_only
        .address_space:  global
        .offset:         40
        .size:           8
        .value_kind:     global_buffer
      - .offset:         48
        .size:           4
        .value_kind:     by_value
      - .offset:         52
        .size:           4
        .value_kind:     by_value
      - .actual_access:  read_only
        .address_space:  global
        .offset:         56
        .size:           8
        .value_kind:     global_buffer
      - .actual_access:  read_only
        .address_space:  global
        .offset:         64
        .size:           8
        .value_kind:     global_buffer
      - .offset:         72
        .size:           4
        .value_kind:     by_value
      - .actual_access:  read_only
        .address_space:  global
        .offset:         80
        .size:           8
        .value_kind:     global_buffer
      - .offset:         88
        .size:           4
        .value_kind:     by_value
      - .offset:         92
        .size:           4
        .value_kind:     by_value
      - .offset:         96
        .size:           4
        .value_kind:     by_value
      - .address_space:  global
        .offset:         104
        .size:           8
        .value_kind:     global_buffer
      - .address_space:  global
        .offset:         112
        .size:           8
        .value_kind:     global_buffer
      - .offset:         120
        .size:           4
        .value_kind:     by_value
      - .offset:         124
        .size:           4
        .value_kind:     by_value
      - .offset:         128
        .size:           4
        .value_kind:     by_value
      - .offset:         132
        .size:           4
        .value_kind:     by_value
      - .offset:         136
        .size:           4
        .value_kind:     by_value
      - .offset:         144
        .size:           4
        .value_kind:     hidden_block_count_x
      - .offset:         148
        .size:           4
        .value_kind:     hidden_block_count_y
      - .offset:         152
        .size:           4
        .value_kind:     hidden_block_count_z
      - .offset:         156
        .size:           2
        .value_kind:     hidden_group_size_x
      - .offset:         158
        .size:           2
        .value_kind:     hidden_group_size_y
      - .offset:         160
        .size:           2
        .value_kind:     hidden_group_size_z
      - .offset:         162
        .size:           2
        .value_kind:     hidden_remainder_x
      - .offset:         164
        .size:           2
        .value_kind:     hidden_remainder_y
      - .offset:         166
        .size:           2
        .value_kind:     hidden_remainder_z
      - .offset:         184
        .size:           8
        .value_kind:     hidden_global_offset_x
      - .offset:         192
        .size:           8
        .value_kind:     hidden_global_offset_y
      - .offset:         200
        .size:           8
        .value_kind:     hidden_global_offset_z
      - .offset:         208
        .size:           2
        .value_kind:     hidden_grid_dims
      - .offset:         264
        .size:           4
        .value_kind:     hidden_dynamic_lds_size
    .group_segment_fixed_size: 544
    .kernarg_segment_align: 8
    .kernarg_segment_size: 400
    .language:       OpenCL C
    .language_version:
      - 2
      - 0
    .max_flat_workgroup_size: 1024
    .name:           _ZN4vllm25paged_attention_v2_kernelI14__hip_bfloat16S1_Li256ELi16ELi128ELNS_18Fp8KVCacheDataTypeE0ELb1ELi512EEEvPfS3_PT_PKS4_PKT0_SA_ifPKiSC_iPKfiiiSE_SE_iiiii
    .private_segment_fixed_size: 68
    .sgpr_count:     54
    .sgpr_spill_count: 0
    .symbol:         _ZN4vllm25paged_attention_v2_kernelI14__hip_bfloat16S1_Li256ELi16ELi128ELNS_18Fp8KVCacheDataTypeE0ELb1ELi512EEEvPfS3_PT_PKS4_PKT0_SA_ifPKiSC_iPKfiiiSE_SE_iiiii.kd
    .uniform_work_group_size: 1
    .uses_dynamic_stack: false
    .vgpr_count:     128
    .vgpr_spill_count: 17
    .wavefront_size: 32
    .workgroup_processor_mode: 1
  - .args:
      - .actual_access:  write_only
        .address_space:  global
        .offset:         0
        .size:           8
        .value_kind:     global_buffer
      - .actual_access:  write_only
        .address_space:  global
        .offset:         8
        .size:           8
        .value_kind:     global_buffer
      - .actual_access:  write_only
        .address_space:  global
        .offset:         16
        .size:           8
        .value_kind:     global_buffer
      - .actual_access:  read_only
        .address_space:  global
        .offset:         24
        .size:           8
        .value_kind:     global_buffer
      - .actual_access:  read_only
        .address_space:  global
        .offset:         32
        .size:           8
        .value_kind:     global_buffer
      - .actual_access:  read_only
        .address_space:  global
        .offset:         40
        .size:           8
        .value_kind:     global_buffer
      - .offset:         48
        .size:           4
        .value_kind:     by_value
      - .offset:         52
        .size:           4
        .value_kind:     by_value
      - .actual_access:  read_only
        .address_space:  global
        .offset:         56
        .size:           8
        .value_kind:     global_buffer
      - .actual_access:  read_only
        .address_space:  global
        .offset:         64
        .size:           8
        .value_kind:     global_buffer
      - .offset:         72
        .size:           4
        .value_kind:     by_value
      - .actual_access:  read_only
        .address_space:  global
        .offset:         80
        .size:           8
        .value_kind:     global_buffer
      - .offset:         88
        .size:           4
        .value_kind:     by_value
      - .offset:         92
        .size:           4
        .value_kind:     by_value
      - .offset:         96
        .size:           4
        .value_kind:     by_value
      - .address_space:  global
        .offset:         104
        .size:           8
        .value_kind:     global_buffer
      - .address_space:  global
        .offset:         112
        .size:           8
        .value_kind:     global_buffer
      - .offset:         120
        .size:           4
        .value_kind:     by_value
      - .offset:         124
        .size:           4
        .value_kind:     by_value
      - .offset:         128
        .size:           4
        .value_kind:     by_value
      - .offset:         132
        .size:           4
        .value_kind:     by_value
      - .offset:         136
        .size:           4
        .value_kind:     by_value
      - .offset:         144
        .size:           4
        .value_kind:     hidden_block_count_x
      - .offset:         148
        .size:           4
        .value_kind:     hidden_block_count_y
      - .offset:         152
        .size:           4
        .value_kind:     hidden_block_count_z
      - .offset:         156
        .size:           2
        .value_kind:     hidden_group_size_x
      - .offset:         158
        .size:           2
        .value_kind:     hidden_group_size_y
      - .offset:         160
        .size:           2
        .value_kind:     hidden_group_size_z
      - .offset:         162
        .size:           2
        .value_kind:     hidden_remainder_x
      - .offset:         164
        .size:           2
        .value_kind:     hidden_remainder_y
      - .offset:         166
        .size:           2
        .value_kind:     hidden_remainder_z
      - .offset:         184
        .size:           8
        .value_kind:     hidden_global_offset_x
      - .offset:         192
        .size:           8
        .value_kind:     hidden_global_offset_y
      - .offset:         200
        .size:           8
        .value_kind:     hidden_global_offset_z
      - .offset:         208
        .size:           2
        .value_kind:     hidden_grid_dims
      - .offset:         264
        .size:           4
        .value_kind:     hidden_dynamic_lds_size
    .group_segment_fixed_size: 96
    .kernarg_segment_align: 8
    .kernarg_segment_size: 400
    .language:       OpenCL C
    .language_version:
      - 2
      - 0
    .max_flat_workgroup_size: 1024
    .name:           _ZN4vllm25paged_attention_v2_kernelI14__hip_bfloat16S1_Li32ELi16ELi128ELNS_18Fp8KVCacheDataTypeE0ELb0ELi512EEEvPfS3_PT_PKS4_PKT0_SA_ifPKiSC_iPKfiiiSE_SE_iiiii
    .private_segment_fixed_size: 0
    .sgpr_count:     38
    .sgpr_spill_count: 0
    .symbol:         _ZN4vllm25paged_attention_v2_kernelI14__hip_bfloat16S1_Li32ELi16ELi128ELNS_18Fp8KVCacheDataTypeE0ELb0ELi512EEEvPfS3_PT_PKS4_PKT0_SA_ifPKiSC_iPKfiiiSE_SE_iiiii.kd
    .uniform_work_group_size: 1
    .uses_dynamic_stack: false
    .vgpr_count:     51
    .vgpr_spill_count: 0
    .wavefront_size: 32
    .workgroup_processor_mode: 1
  - .args:
      - .actual_access:  write_only
        .address_space:  global
        .offset:         0
        .size:           8
        .value_kind:     global_buffer
      - .actual_access:  write_only
        .address_space:  global
        .offset:         8
        .size:           8
        .value_kind:     global_buffer
      - .actual_access:  write_only
        .address_space:  global
        .offset:         16
        .size:           8
        .value_kind:     global_buffer
      - .actual_access:  read_only
        .address_space:  global
        .offset:         24
        .size:           8
        .value_kind:     global_buffer
      - .actual_access:  read_only
        .address_space:  global
        .offset:         32
        .size:           8
        .value_kind:     global_buffer
      - .actual_access:  read_only
        .address_space:  global
        .offset:         40
        .size:           8
        .value_kind:     global_buffer
      - .offset:         48
        .size:           4
        .value_kind:     by_value
      - .offset:         52
        .size:           4
        .value_kind:     by_value
      - .actual_access:  read_only
        .address_space:  global
        .offset:         56
        .size:           8
        .value_kind:     global_buffer
      - .actual_access:  read_only
        .address_space:  global
        .offset:         64
        .size:           8
        .value_kind:     global_buffer
      - .offset:         72
        .size:           4
        .value_kind:     by_value
      - .actual_access:  read_only
        .address_space:  global
        .offset:         80
        .size:           8
        .value_kind:     global_buffer
      - .offset:         88
        .size:           4
        .value_kind:     by_value
      - .offset:         92
        .size:           4
        .value_kind:     by_value
      - .offset:         96
        .size:           4
        .value_kind:     by_value
      - .address_space:  global
        .offset:         104
        .size:           8
        .value_kind:     global_buffer
      - .address_space:  global
        .offset:         112
        .size:           8
        .value_kind:     global_buffer
      - .offset:         120
        .size:           4
        .value_kind:     by_value
      - .offset:         124
        .size:           4
        .value_kind:     by_value
      - .offset:         128
        .size:           4
        .value_kind:     by_value
      - .offset:         132
        .size:           4
        .value_kind:     by_value
      - .offset:         136
        .size:           4
        .value_kind:     by_value
      - .offset:         144
        .size:           4
        .value_kind:     hidden_block_count_x
      - .offset:         148
        .size:           4
        .value_kind:     hidden_block_count_y
      - .offset:         152
        .size:           4
        .value_kind:     hidden_block_count_z
      - .offset:         156
        .size:           2
        .value_kind:     hidden_group_size_x
      - .offset:         158
        .size:           2
        .value_kind:     hidden_group_size_y
      - .offset:         160
        .size:           2
        .value_kind:     hidden_group_size_z
      - .offset:         162
        .size:           2
        .value_kind:     hidden_remainder_x
      - .offset:         164
        .size:           2
        .value_kind:     hidden_remainder_y
      - .offset:         166
        .size:           2
        .value_kind:     hidden_remainder_z
      - .offset:         184
        .size:           8
        .value_kind:     hidden_global_offset_x
      - .offset:         192
        .size:           8
        .value_kind:     hidden_global_offset_y
      - .offset:         200
        .size:           8
        .value_kind:     hidden_global_offset_z
      - .offset:         208
        .size:           2
        .value_kind:     hidden_grid_dims
      - .offset:         264
        .size:           4
        .value_kind:     hidden_dynamic_lds_size
    .group_segment_fixed_size: 160
    .kernarg_segment_align: 8
    .kernarg_segment_size: 400
    .language:       OpenCL C
    .language_version:
      - 2
      - 0
    .max_flat_workgroup_size: 1024
    .name:           _ZN4vllm25paged_attention_v2_kernelI14__hip_bfloat16S1_Li64ELi16ELi128ELNS_18Fp8KVCacheDataTypeE0ELb0ELi512EEEvPfS3_PT_PKS4_PKT0_SA_ifPKiSC_iPKfiiiSE_SE_iiiii
    .private_segment_fixed_size: 0
    .sgpr_count:     38
    .sgpr_spill_count: 0
    .symbol:         _ZN4vllm25paged_attention_v2_kernelI14__hip_bfloat16S1_Li64ELi16ELi128ELNS_18Fp8KVCacheDataTypeE0ELb0ELi512EEEvPfS3_PT_PKS4_PKT0_SA_ifPKiSC_iPKfiiiSE_SE_iiiii.kd
    .uniform_work_group_size: 1
    .uses_dynamic_stack: false
    .vgpr_count:     81
    .vgpr_spill_count: 0
    .wavefront_size: 32
    .workgroup_processor_mode: 1
  - .args:
      - .actual_access:  write_only
        .address_space:  global
        .offset:         0
        .size:           8
        .value_kind:     global_buffer
      - .actual_access:  write_only
        .address_space:  global
        .offset:         8
        .size:           8
        .value_kind:     global_buffer
      - .actual_access:  write_only
        .address_space:  global
        .offset:         16
        .size:           8
        .value_kind:     global_buffer
      - .actual_access:  read_only
        .address_space:  global
        .offset:         24
        .size:           8
        .value_kind:     global_buffer
      - .actual_access:  read_only
        .address_space:  global
        .offset:         32
        .size:           8
        .value_kind:     global_buffer
      - .actual_access:  read_only
        .address_space:  global
        .offset:         40
        .size:           8
        .value_kind:     global_buffer
      - .offset:         48
        .size:           4
        .value_kind:     by_value
      - .offset:         52
        .size:           4
        .value_kind:     by_value
      - .actual_access:  read_only
        .address_space:  global
        .offset:         56
        .size:           8
        .value_kind:     global_buffer
      - .actual_access:  read_only
        .address_space:  global
        .offset:         64
        .size:           8
        .value_kind:     global_buffer
      - .offset:         72
        .size:           4
        .value_kind:     by_value
      - .actual_access:  read_only
        .address_space:  global
        .offset:         80
        .size:           8
        .value_kind:     global_buffer
      - .offset:         88
        .size:           4
        .value_kind:     by_value
      - .offset:         92
        .size:           4
        .value_kind:     by_value
      - .offset:         96
        .size:           4
        .value_kind:     by_value
      - .address_space:  global
        .offset:         104
        .size:           8
        .value_kind:     global_buffer
      - .address_space:  global
        .offset:         112
        .size:           8
        .value_kind:     global_buffer
      - .offset:         120
        .size:           4
        .value_kind:     by_value
      - .offset:         124
        .size:           4
        .value_kind:     by_value
      - .offset:         128
        .size:           4
        .value_kind:     by_value
      - .offset:         132
        .size:           4
        .value_kind:     by_value
      - .offset:         136
        .size:           4
        .value_kind:     by_value
      - .offset:         144
        .size:           4
        .value_kind:     hidden_block_count_x
      - .offset:         148
        .size:           4
        .value_kind:     hidden_block_count_y
      - .offset:         152
        .size:           4
        .value_kind:     hidden_block_count_z
      - .offset:         156
        .size:           2
        .value_kind:     hidden_group_size_x
      - .offset:         158
        .size:           2
        .value_kind:     hidden_group_size_y
      - .offset:         160
        .size:           2
        .value_kind:     hidden_group_size_z
      - .offset:         162
        .size:           2
        .value_kind:     hidden_remainder_x
      - .offset:         164
        .size:           2
        .value_kind:     hidden_remainder_y
      - .offset:         166
        .size:           2
        .value_kind:     hidden_remainder_z
      - .offset:         184
        .size:           8
        .value_kind:     hidden_global_offset_x
      - .offset:         192
        .size:           8
        .value_kind:     hidden_global_offset_y
      - .offset:         200
        .size:           8
        .value_kind:     hidden_global_offset_z
      - .offset:         208
        .size:           2
        .value_kind:     hidden_grid_dims
      - .offset:         264
        .size:           4
        .value_kind:     hidden_dynamic_lds_size
    .group_segment_fixed_size: 192
    .kernarg_segment_align: 8
    .kernarg_segment_size: 400
    .language:       OpenCL C
    .language_version:
      - 2
      - 0
    .max_flat_workgroup_size: 1024
    .name:           _ZN4vllm25paged_attention_v2_kernelI14__hip_bfloat16S1_Li80ELi16ELi128ELNS_18Fp8KVCacheDataTypeE0ELb0ELi512EEEvPfS3_PT_PKS4_PKT0_SA_ifPKiSC_iPKfiiiSE_SE_iiiii
    .private_segment_fixed_size: 0
    .sgpr_count:     38
    .sgpr_spill_count: 0
    .symbol:         _ZN4vllm25paged_attention_v2_kernelI14__hip_bfloat16S1_Li80ELi16ELi128ELNS_18Fp8KVCacheDataTypeE0ELb0ELi512EEEvPfS3_PT_PKS4_PKT0_SA_ifPKiSC_iPKfiiiSE_SE_iiiii.kd
    .uniform_work_group_size: 1
    .uses_dynamic_stack: false
    .vgpr_count:     96
    .vgpr_spill_count: 0
    .wavefront_size: 32
    .workgroup_processor_mode: 1
  - .args:
      - .actual_access:  write_only
        .address_space:  global
        .offset:         0
        .size:           8
        .value_kind:     global_buffer
      - .actual_access:  write_only
        .address_space:  global
        .offset:         8
        .size:           8
        .value_kind:     global_buffer
      - .actual_access:  write_only
        .address_space:  global
        .offset:         16
        .size:           8
        .value_kind:     global_buffer
      - .actual_access:  read_only
        .address_space:  global
        .offset:         24
        .size:           8
        .value_kind:     global_buffer
      - .actual_access:  read_only
        .address_space:  global
        .offset:         32
        .size:           8
        .value_kind:     global_buffer
      - .actual_access:  read_only
        .address_space:  global
        .offset:         40
        .size:           8
        .value_kind:     global_buffer
      - .offset:         48
        .size:           4
        .value_kind:     by_value
      - .offset:         52
        .size:           4
        .value_kind:     by_value
      - .actual_access:  read_only
        .address_space:  global
        .offset:         56
        .size:           8
        .value_kind:     global_buffer
      - .actual_access:  read_only
        .address_space:  global
        .offset:         64
        .size:           8
        .value_kind:     global_buffer
      - .offset:         72
        .size:           4
        .value_kind:     by_value
      - .actual_access:  read_only
        .address_space:  global
        .offset:         80
        .size:           8
        .value_kind:     global_buffer
      - .offset:         88
        .size:           4
        .value_kind:     by_value
      - .offset:         92
        .size:           4
        .value_kind:     by_value
      - .offset:         96
        .size:           4
        .value_kind:     by_value
      - .address_space:  global
        .offset:         104
        .size:           8
        .value_kind:     global_buffer
      - .address_space:  global
        .offset:         112
        .size:           8
        .value_kind:     global_buffer
      - .offset:         120
        .size:           4
        .value_kind:     by_value
      - .offset:         124
        .size:           4
        .value_kind:     by_value
      - .offset:         128
        .size:           4
        .value_kind:     by_value
      - .offset:         132
        .size:           4
        .value_kind:     by_value
      - .offset:         136
        .size:           4
        .value_kind:     by_value
      - .offset:         144
        .size:           4
        .value_kind:     hidden_block_count_x
      - .offset:         148
        .size:           4
        .value_kind:     hidden_block_count_y
      - .offset:         152
        .size:           4
        .value_kind:     hidden_block_count_z
      - .offset:         156
        .size:           2
        .value_kind:     hidden_group_size_x
      - .offset:         158
        .size:           2
        .value_kind:     hidden_group_size_y
      - .offset:         160
        .size:           2
        .value_kind:     hidden_group_size_z
      - .offset:         162
        .size:           2
        .value_kind:     hidden_remainder_x
      - .offset:         164
        .size:           2
        .value_kind:     hidden_remainder_y
      - .offset:         166
        .size:           2
        .value_kind:     hidden_remainder_z
      - .offset:         184
        .size:           8
        .value_kind:     hidden_global_offset_x
      - .offset:         192
        .size:           8
        .value_kind:     hidden_global_offset_y
      - .offset:         200
        .size:           8
        .value_kind:     hidden_global_offset_z
      - .offset:         208
        .size:           2
        .value_kind:     hidden_grid_dims
      - .offset:         264
        .size:           4
        .value_kind:     hidden_dynamic_lds_size
    .group_segment_fixed_size: 224
    .kernarg_segment_align: 8
    .kernarg_segment_size: 400
    .language:       OpenCL C
    .language_version:
      - 2
      - 0
    .max_flat_workgroup_size: 1024
    .name:           _ZN4vllm25paged_attention_v2_kernelI14__hip_bfloat16S1_Li96ELi16ELi128ELNS_18Fp8KVCacheDataTypeE0ELb0ELi512EEEvPfS3_PT_PKS4_PKT0_SA_ifPKiSC_iPKfiiiSE_SE_iiiii
    .private_segment_fixed_size: 0
    .sgpr_count:     38
    .sgpr_spill_count: 0
    .symbol:         _ZN4vllm25paged_attention_v2_kernelI14__hip_bfloat16S1_Li96ELi16ELi128ELNS_18Fp8KVCacheDataTypeE0ELb0ELi512EEEvPfS3_PT_PKS4_PKT0_SA_ifPKiSC_iPKfiiiSE_SE_iiiii.kd
    .uniform_work_group_size: 1
    .uses_dynamic_stack: false
    .vgpr_count:     110
    .vgpr_spill_count: 0
    .wavefront_size: 32
    .workgroup_processor_mode: 1
  - .args:
      - .actual_access:  write_only
        .address_space:  global
        .offset:         0
        .size:           8
        .value_kind:     global_buffer
      - .actual_access:  write_only
        .address_space:  global
        .offset:         8
        .size:           8
        .value_kind:     global_buffer
      - .actual_access:  write_only
        .address_space:  global
        .offset:         16
        .size:           8
        .value_kind:     global_buffer
      - .actual_access:  read_only
        .address_space:  global
        .offset:         24
        .size:           8
        .value_kind:     global_buffer
      - .actual_access:  read_only
        .address_space:  global
        .offset:         32
        .size:           8
        .value_kind:     global_buffer
      - .actual_access:  read_only
        .address_space:  global
        .offset:         40
        .size:           8
        .value_kind:     global_buffer
      - .offset:         48
        .size:           4
        .value_kind:     by_value
      - .offset:         52
        .size:           4
        .value_kind:     by_value
      - .actual_access:  read_only
        .address_space:  global
        .offset:         56
        .size:           8
        .value_kind:     global_buffer
      - .actual_access:  read_only
        .address_space:  global
        .offset:         64
        .size:           8
        .value_kind:     global_buffer
      - .offset:         72
        .size:           4
        .value_kind:     by_value
      - .actual_access:  read_only
        .address_space:  global
        .offset:         80
        .size:           8
        .value_kind:     global_buffer
      - .offset:         88
        .size:           4
        .value_kind:     by_value
      - .offset:         92
        .size:           4
        .value_kind:     by_value
      - .offset:         96
        .size:           4
        .value_kind:     by_value
      - .address_space:  global
        .offset:         104
        .size:           8
        .value_kind:     global_buffer
      - .address_space:  global
        .offset:         112
        .size:           8
        .value_kind:     global_buffer
      - .offset:         120
        .size:           4
        .value_kind:     by_value
      - .offset:         124
        .size:           4
        .value_kind:     by_value
      - .offset:         128
        .size:           4
        .value_kind:     by_value
      - .offset:         132
        .size:           4
        .value_kind:     by_value
      - .offset:         136
        .size:           4
        .value_kind:     by_value
      - .offset:         144
        .size:           4
        .value_kind:     hidden_block_count_x
      - .offset:         148
        .size:           4
        .value_kind:     hidden_block_count_y
      - .offset:         152
        .size:           4
        .value_kind:     hidden_block_count_z
      - .offset:         156
        .size:           2
        .value_kind:     hidden_group_size_x
      - .offset:         158
        .size:           2
        .value_kind:     hidden_group_size_y
      - .offset:         160
        .size:           2
        .value_kind:     hidden_group_size_z
      - .offset:         162
        .size:           2
        .value_kind:     hidden_remainder_x
      - .offset:         164
        .size:           2
        .value_kind:     hidden_remainder_y
      - .offset:         166
        .size:           2
        .value_kind:     hidden_remainder_z
      - .offset:         184
        .size:           8
        .value_kind:     hidden_global_offset_x
      - .offset:         192
        .size:           8
        .value_kind:     hidden_global_offset_y
      - .offset:         200
        .size:           8
        .value_kind:     hidden_global_offset_z
      - .offset:         208
        .size:           2
        .value_kind:     hidden_grid_dims
      - .offset:         264
        .size:           4
        .value_kind:     hidden_dynamic_lds_size
    .group_segment_fixed_size: 256
    .kernarg_segment_align: 8
    .kernarg_segment_size: 400
    .language:       OpenCL C
    .language_version:
      - 2
      - 0
    .max_flat_workgroup_size: 1024
    .name:           _ZN4vllm25paged_attention_v2_kernelI14__hip_bfloat16S1_Li112ELi16ELi128ELNS_18Fp8KVCacheDataTypeE0ELb0ELi512EEEvPfS3_PT_PKS4_PKT0_SA_ifPKiSC_iPKfiiiSE_SE_iiiii
    .private_segment_fixed_size: 0
    .sgpr_count:     38
    .sgpr_spill_count: 0
    .symbol:         _ZN4vllm25paged_attention_v2_kernelI14__hip_bfloat16S1_Li112ELi16ELi128ELNS_18Fp8KVCacheDataTypeE0ELb0ELi512EEEvPfS3_PT_PKS4_PKT0_SA_ifPKiSC_iPKfiiiSE_SE_iiiii.kd
    .uniform_work_group_size: 1
    .uses_dynamic_stack: false
    .vgpr_count:     127
    .vgpr_spill_count: 0
    .wavefront_size: 32
    .workgroup_processor_mode: 1
  - .args:
      - .actual_access:  write_only
        .address_space:  global
        .offset:         0
        .size:           8
        .value_kind:     global_buffer
      - .actual_access:  write_only
        .address_space:  global
        .offset:         8
        .size:           8
        .value_kind:     global_buffer
      - .actual_access:  write_only
        .address_space:  global
        .offset:         16
        .size:           8
        .value_kind:     global_buffer
      - .actual_access:  read_only
        .address_space:  global
        .offset:         24
        .size:           8
        .value_kind:     global_buffer
      - .actual_access:  read_only
        .address_space:  global
        .offset:         32
        .size:           8
        .value_kind:     global_buffer
      - .actual_access:  read_only
        .address_space:  global
        .offset:         40
        .size:           8
        .value_kind:     global_buffer
      - .offset:         48
        .size:           4
        .value_kind:     by_value
      - .offset:         52
        .size:           4
        .value_kind:     by_value
      - .actual_access:  read_only
        .address_space:  global
        .offset:         56
        .size:           8
        .value_kind:     global_buffer
      - .actual_access:  read_only
        .address_space:  global
        .offset:         64
        .size:           8
        .value_kind:     global_buffer
      - .offset:         72
        .size:           4
        .value_kind:     by_value
      - .actual_access:  read_only
        .address_space:  global
        .offset:         80
        .size:           8
        .value_kind:     global_buffer
      - .offset:         88
        .size:           4
        .value_kind:     by_value
      - .offset:         92
        .size:           4
        .value_kind:     by_value
      - .offset:         96
        .size:           4
        .value_kind:     by_value
      - .address_space:  global
        .offset:         104
        .size:           8
        .value_kind:     global_buffer
      - .address_space:  global
        .offset:         112
        .size:           8
        .value_kind:     global_buffer
      - .offset:         120
        .size:           4
        .value_kind:     by_value
      - .offset:         124
        .size:           4
        .value_kind:     by_value
      - .offset:         128
        .size:           4
        .value_kind:     by_value
      - .offset:         132
        .size:           4
        .value_kind:     by_value
      - .offset:         136
        .size:           4
        .value_kind:     by_value
      - .offset:         144
        .size:           4
        .value_kind:     hidden_block_count_x
      - .offset:         148
        .size:           4
        .value_kind:     hidden_block_count_y
      - .offset:         152
        .size:           4
        .value_kind:     hidden_block_count_z
      - .offset:         156
        .size:           2
        .value_kind:     hidden_group_size_x
      - .offset:         158
        .size:           2
        .value_kind:     hidden_group_size_y
      - .offset:         160
        .size:           2
        .value_kind:     hidden_group_size_z
      - .offset:         162
        .size:           2
        .value_kind:     hidden_remainder_x
      - .offset:         164
        .size:           2
        .value_kind:     hidden_remainder_y
      - .offset:         166
        .size:           2
        .value_kind:     hidden_remainder_z
      - .offset:         184
        .size:           8
        .value_kind:     hidden_global_offset_x
      - .offset:         192
        .size:           8
        .value_kind:     hidden_global_offset_y
      - .offset:         200
        .size:           8
        .value_kind:     hidden_global_offset_z
      - .offset:         208
        .size:           2
        .value_kind:     hidden_grid_dims
      - .offset:         264
        .size:           4
        .value_kind:     hidden_dynamic_lds_size
    .group_segment_fixed_size: 272
    .kernarg_segment_align: 8
    .kernarg_segment_size: 400
    .language:       OpenCL C
    .language_version:
      - 2
      - 0
    .max_flat_workgroup_size: 1024
    .name:           _ZN4vllm25paged_attention_v2_kernelI14__hip_bfloat16S1_Li120ELi16ELi128ELNS_18Fp8KVCacheDataTypeE0ELb0ELi512EEEvPfS3_PT_PKS4_PKT0_SA_ifPKiSC_iPKfiiiSE_SE_iiiii
    .private_segment_fixed_size: 0
    .sgpr_count:     38
    .sgpr_spill_count: 0
    .symbol:         _ZN4vllm25paged_attention_v2_kernelI14__hip_bfloat16S1_Li120ELi16ELi128ELNS_18Fp8KVCacheDataTypeE0ELb0ELi512EEEvPfS3_PT_PKS4_PKT0_SA_ifPKiSC_iPKfiiiSE_SE_iiiii.kd
    .uniform_work_group_size: 1
    .uses_dynamic_stack: false
    .vgpr_count:     112
    .vgpr_spill_count: 0
    .wavefront_size: 32
    .workgroup_processor_mode: 1
  - .args:
      - .actual_access:  write_only
        .address_space:  global
        .offset:         0
        .size:           8
        .value_kind:     global_buffer
      - .actual_access:  write_only
        .address_space:  global
        .offset:         8
        .size:           8
        .value_kind:     global_buffer
      - .actual_access:  write_only
        .address_space:  global
        .offset:         16
        .size:           8
        .value_kind:     global_buffer
      - .actual_access:  read_only
        .address_space:  global
        .offset:         24
        .size:           8
        .value_kind:     global_buffer
      - .actual_access:  read_only
        .address_space:  global
        .offset:         32
        .size:           8
        .value_kind:     global_buffer
      - .actual_access:  read_only
        .address_space:  global
        .offset:         40
        .size:           8
        .value_kind:     global_buffer
      - .offset:         48
        .size:           4
        .value_kind:     by_value
      - .offset:         52
        .size:           4
        .value_kind:     by_value
      - .actual_access:  read_only
        .address_space:  global
        .offset:         56
        .size:           8
        .value_kind:     global_buffer
      - .actual_access:  read_only
        .address_space:  global
        .offset:         64
        .size:           8
        .value_kind:     global_buffer
      - .offset:         72
        .size:           4
        .value_kind:     by_value
      - .actual_access:  read_only
        .address_space:  global
        .offset:         80
        .size:           8
        .value_kind:     global_buffer
      - .offset:         88
        .size:           4
        .value_kind:     by_value
      - .offset:         92
        .size:           4
        .value_kind:     by_value
      - .offset:         96
        .size:           4
        .value_kind:     by_value
      - .address_space:  global
        .offset:         104
        .size:           8
        .value_kind:     global_buffer
      - .address_space:  global
        .offset:         112
        .size:           8
        .value_kind:     global_buffer
      - .offset:         120
        .size:           4
        .value_kind:     by_value
      - .offset:         124
        .size:           4
        .value_kind:     by_value
      - .offset:         128
        .size:           4
        .value_kind:     by_value
      - .offset:         132
        .size:           4
        .value_kind:     by_value
      - .offset:         136
        .size:           4
        .value_kind:     by_value
      - .offset:         144
        .size:           4
        .value_kind:     hidden_block_count_x
      - .offset:         148
        .size:           4
        .value_kind:     hidden_block_count_y
      - .offset:         152
        .size:           4
        .value_kind:     hidden_block_count_z
      - .offset:         156
        .size:           2
        .value_kind:     hidden_group_size_x
      - .offset:         158
        .size:           2
        .value_kind:     hidden_group_size_y
      - .offset:         160
        .size:           2
        .value_kind:     hidden_group_size_z
      - .offset:         162
        .size:           2
        .value_kind:     hidden_remainder_x
      - .offset:         164
        .size:           2
        .value_kind:     hidden_remainder_y
      - .offset:         166
        .size:           2
        .value_kind:     hidden_remainder_z
      - .offset:         184
        .size:           8
        .value_kind:     hidden_global_offset_x
      - .offset:         192
        .size:           8
        .value_kind:     hidden_global_offset_y
      - .offset:         200
        .size:           8
        .value_kind:     hidden_global_offset_z
      - .offset:         208
        .size:           2
        .value_kind:     hidden_grid_dims
      - .offset:         264
        .size:           4
        .value_kind:     hidden_dynamic_lds_size
    .group_segment_fixed_size: 288
    .kernarg_segment_align: 8
    .kernarg_segment_size: 400
    .language:       OpenCL C
    .language_version:
      - 2
      - 0
    .max_flat_workgroup_size: 1024
    .name:           _ZN4vllm25paged_attention_v2_kernelI14__hip_bfloat16S1_Li128ELi16ELi128ELNS_18Fp8KVCacheDataTypeE0ELb0ELi512EEEvPfS3_PT_PKS4_PKT0_SA_ifPKiSC_iPKfiiiSE_SE_iiiii
    .private_segment_fixed_size: 0
    .sgpr_count:     40
    .sgpr_spill_count: 0
    .symbol:         _ZN4vllm25paged_attention_v2_kernelI14__hip_bfloat16S1_Li128ELi16ELi128ELNS_18Fp8KVCacheDataTypeE0ELb0ELi512EEEvPfS3_PT_PKS4_PKT0_SA_ifPKiSC_iPKfiiiSE_SE_iiiii.kd
    .uniform_work_group_size: 1
    .uses_dynamic_stack: false
    .vgpr_count:     127
    .vgpr_spill_count: 0
    .wavefront_size: 32
    .workgroup_processor_mode: 1
  - .args:
      - .actual_access:  write_only
        .address_space:  global
        .offset:         0
        .size:           8
        .value_kind:     global_buffer
      - .actual_access:  write_only
        .address_space:  global
        .offset:         8
        .size:           8
        .value_kind:     global_buffer
      - .actual_access:  write_only
        .address_space:  global
        .offset:         16
        .size:           8
        .value_kind:     global_buffer
      - .actual_access:  read_only
        .address_space:  global
        .offset:         24
        .size:           8
        .value_kind:     global_buffer
      - .actual_access:  read_only
        .address_space:  global
        .offset:         32
        .size:           8
        .value_kind:     global_buffer
      - .actual_access:  read_only
        .address_space:  global
        .offset:         40
        .size:           8
        .value_kind:     global_buffer
      - .offset:         48
        .size:           4
        .value_kind:     by_value
      - .offset:         52
        .size:           4
        .value_kind:     by_value
      - .actual_access:  read_only
        .address_space:  global
        .offset:         56
        .size:           8
        .value_kind:     global_buffer
      - .actual_access:  read_only
        .address_space:  global
        .offset:         64
        .size:           8
        .value_kind:     global_buffer
      - .offset:         72
        .size:           4
        .value_kind:     by_value
      - .actual_access:  read_only
        .address_space:  global
        .offset:         80
        .size:           8
        .value_kind:     global_buffer
      - .offset:         88
        .size:           4
        .value_kind:     by_value
      - .offset:         92
        .size:           4
        .value_kind:     by_value
      - .offset:         96
        .size:           4
        .value_kind:     by_value
      - .address_space:  global
        .offset:         104
        .size:           8
        .value_kind:     global_buffer
      - .address_space:  global
        .offset:         112
        .size:           8
        .value_kind:     global_buffer
      - .offset:         120
        .size:           4
        .value_kind:     by_value
      - .offset:         124
        .size:           4
        .value_kind:     by_value
      - .offset:         128
        .size:           4
        .value_kind:     by_value
      - .offset:         132
        .size:           4
        .value_kind:     by_value
      - .offset:         136
        .size:           4
        .value_kind:     by_value
      - .offset:         144
        .size:           4
        .value_kind:     hidden_block_count_x
      - .offset:         148
        .size:           4
        .value_kind:     hidden_block_count_y
      - .offset:         152
        .size:           4
        .value_kind:     hidden_block_count_z
      - .offset:         156
        .size:           2
        .value_kind:     hidden_group_size_x
      - .offset:         158
        .size:           2
        .value_kind:     hidden_group_size_y
      - .offset:         160
        .size:           2
        .value_kind:     hidden_group_size_z
      - .offset:         162
        .size:           2
        .value_kind:     hidden_remainder_x
      - .offset:         164
        .size:           2
        .value_kind:     hidden_remainder_y
      - .offset:         166
        .size:           2
        .value_kind:     hidden_remainder_z
      - .offset:         184
        .size:           8
        .value_kind:     hidden_global_offset_x
      - .offset:         192
        .size:           8
        .value_kind:     hidden_global_offset_y
      - .offset:         200
        .size:           8
        .value_kind:     hidden_global_offset_z
      - .offset:         208
        .size:           2
        .value_kind:     hidden_grid_dims
      - .offset:         264
        .size:           4
        .value_kind:     hidden_dynamic_lds_size
    .group_segment_fixed_size: 416
    .kernarg_segment_align: 8
    .kernarg_segment_size: 400
    .language:       OpenCL C
    .language_version:
      - 2
      - 0
    .max_flat_workgroup_size: 1024
    .name:           _ZN4vllm25paged_attention_v2_kernelI14__hip_bfloat16S1_Li192ELi16ELi128ELNS_18Fp8KVCacheDataTypeE0ELb0ELi512EEEvPfS3_PT_PKS4_PKT0_SA_ifPKiSC_iPKfiiiSE_SE_iiiii
    .private_segment_fixed_size: 24
    .sgpr_count:     42
    .sgpr_spill_count: 0
    .symbol:         _ZN4vllm25paged_attention_v2_kernelI14__hip_bfloat16S1_Li192ELi16ELi128ELNS_18Fp8KVCacheDataTypeE0ELb0ELi512EEEvPfS3_PT_PKS4_PKT0_SA_ifPKiSC_iPKfiiiSE_SE_iiiii.kd
    .uniform_work_group_size: 1
    .uses_dynamic_stack: false
    .vgpr_count:     128
    .vgpr_spill_count: 5
    .wavefront_size: 32
    .workgroup_processor_mode: 1
  - .args:
      - .actual_access:  write_only
        .address_space:  global
        .offset:         0
        .size:           8
        .value_kind:     global_buffer
      - .actual_access:  write_only
        .address_space:  global
        .offset:         8
        .size:           8
        .value_kind:     global_buffer
      - .actual_access:  write_only
        .address_space:  global
        .offset:         16
        .size:           8
        .value_kind:     global_buffer
      - .actual_access:  read_only
        .address_space:  global
        .offset:         24
        .size:           8
        .value_kind:     global_buffer
      - .actual_access:  read_only
        .address_space:  global
        .offset:         32
        .size:           8
        .value_kind:     global_buffer
      - .actual_access:  read_only
        .address_space:  global
        .offset:         40
        .size:           8
        .value_kind:     global_buffer
      - .offset:         48
        .size:           4
        .value_kind:     by_value
      - .offset:         52
        .size:           4
        .value_kind:     by_value
      - .actual_access:  read_only
        .address_space:  global
        .offset:         56
        .size:           8
        .value_kind:     global_buffer
      - .actual_access:  read_only
        .address_space:  global
        .offset:         64
        .size:           8
        .value_kind:     global_buffer
      - .offset:         72
        .size:           4
        .value_kind:     by_value
      - .actual_access:  read_only
        .address_space:  global
        .offset:         80
        .size:           8
        .value_kind:     global_buffer
      - .offset:         88
        .size:           4
        .value_kind:     by_value
      - .offset:         92
        .size:           4
        .value_kind:     by_value
      - .offset:         96
        .size:           4
        .value_kind:     by_value
      - .address_space:  global
        .offset:         104
        .size:           8
        .value_kind:     global_buffer
      - .address_space:  global
        .offset:         112
        .size:           8
        .value_kind:     global_buffer
      - .offset:         120
        .size:           4
        .value_kind:     by_value
      - .offset:         124
        .size:           4
        .value_kind:     by_value
      - .offset:         128
        .size:           4
        .value_kind:     by_value
      - .offset:         132
        .size:           4
        .value_kind:     by_value
      - .offset:         136
        .size:           4
        .value_kind:     by_value
      - .offset:         144
        .size:           4
        .value_kind:     hidden_block_count_x
      - .offset:         148
        .size:           4
        .value_kind:     hidden_block_count_y
      - .offset:         152
        .size:           4
        .value_kind:     hidden_block_count_z
      - .offset:         156
        .size:           2
        .value_kind:     hidden_group_size_x
      - .offset:         158
        .size:           2
        .value_kind:     hidden_group_size_y
      - .offset:         160
        .size:           2
        .value_kind:     hidden_group_size_z
      - .offset:         162
        .size:           2
        .value_kind:     hidden_remainder_x
      - .offset:         164
        .size:           2
        .value_kind:     hidden_remainder_y
      - .offset:         166
        .size:           2
        .value_kind:     hidden_remainder_z
      - .offset:         184
        .size:           8
        .value_kind:     hidden_global_offset_x
      - .offset:         192
        .size:           8
        .value_kind:     hidden_global_offset_y
      - .offset:         200
        .size:           8
        .value_kind:     hidden_global_offset_z
      - .offset:         208
        .size:           2
        .value_kind:     hidden_grid_dims
      - .offset:         264
        .size:           4
        .value_kind:     hidden_dynamic_lds_size
    .group_segment_fixed_size: 544
    .kernarg_segment_align: 8
    .kernarg_segment_size: 400
    .language:       OpenCL C
    .language_version:
      - 2
      - 0
    .max_flat_workgroup_size: 1024
    .name:           _ZN4vllm25paged_attention_v2_kernelI14__hip_bfloat16S1_Li256ELi16ELi128ELNS_18Fp8KVCacheDataTypeE0ELb0ELi512EEEvPfS3_PT_PKS4_PKT0_SA_ifPKiSC_iPKfiiiSE_SE_iiiii
    .private_segment_fixed_size: 160
    .sgpr_count:     46
    .sgpr_spill_count: 0
    .symbol:         _ZN4vllm25paged_attention_v2_kernelI14__hip_bfloat16S1_Li256ELi16ELi128ELNS_18Fp8KVCacheDataTypeE0ELb0ELi512EEEvPfS3_PT_PKS4_PKT0_SA_ifPKiSC_iPKfiiiSE_SE_iiiii.kd
    .uniform_work_group_size: 1
    .uses_dynamic_stack: false
    .vgpr_count:     128
    .vgpr_spill_count: 39
    .wavefront_size: 32
    .workgroup_processor_mode: 1
  - .args:
      - .actual_access:  write_only
        .address_space:  global
        .offset:         0
        .size:           8
        .value_kind:     global_buffer
      - .actual_access:  write_only
        .address_space:  global
        .offset:         8
        .size:           8
        .value_kind:     global_buffer
      - .actual_access:  write_only
        .address_space:  global
        .offset:         16
        .size:           8
        .value_kind:     global_buffer
      - .actual_access:  read_only
        .address_space:  global
        .offset:         24
        .size:           8
        .value_kind:     global_buffer
      - .actual_access:  read_only
        .address_space:  global
        .offset:         32
        .size:           8
        .value_kind:     global_buffer
      - .actual_access:  read_only
        .address_space:  global
        .offset:         40
        .size:           8
        .value_kind:     global_buffer
      - .offset:         48
        .size:           4
        .value_kind:     by_value
      - .offset:         52
        .size:           4
        .value_kind:     by_value
      - .actual_access:  read_only
        .address_space:  global
        .offset:         56
        .size:           8
        .value_kind:     global_buffer
      - .actual_access:  read_only
        .address_space:  global
        .offset:         64
        .size:           8
        .value_kind:     global_buffer
      - .offset:         72
        .size:           4
        .value_kind:     by_value
      - .actual_access:  read_only
        .address_space:  global
        .offset:         80
        .size:           8
        .value_kind:     global_buffer
      - .offset:         88
        .size:           4
        .value_kind:     by_value
      - .offset:         92
        .size:           4
        .value_kind:     by_value
      - .offset:         96
        .size:           4
        .value_kind:     by_value
      - .address_space:  global
        .offset:         104
        .size:           8
        .value_kind:     global_buffer
      - .address_space:  global
        .offset:         112
        .size:           8
        .value_kind:     global_buffer
      - .offset:         120
        .size:           4
        .value_kind:     by_value
      - .offset:         124
        .size:           4
        .value_kind:     by_value
      - .offset:         128
        .size:           4
        .value_kind:     by_value
      - .offset:         132
        .size:           4
        .value_kind:     by_value
      - .offset:         136
        .size:           4
        .value_kind:     by_value
      - .offset:         144
        .size:           4
        .value_kind:     hidden_block_count_x
      - .offset:         148
        .size:           4
        .value_kind:     hidden_block_count_y
      - .offset:         152
        .size:           4
        .value_kind:     hidden_block_count_z
      - .offset:         156
        .size:           2
        .value_kind:     hidden_group_size_x
      - .offset:         158
        .size:           2
        .value_kind:     hidden_group_size_y
      - .offset:         160
        .size:           2
        .value_kind:     hidden_group_size_z
      - .offset:         162
        .size:           2
        .value_kind:     hidden_remainder_x
      - .offset:         164
        .size:           2
        .value_kind:     hidden_remainder_y
      - .offset:         166
        .size:           2
        .value_kind:     hidden_remainder_z
      - .offset:         184
        .size:           8
        .value_kind:     hidden_global_offset_x
      - .offset:         192
        .size:           8
        .value_kind:     hidden_global_offset_y
      - .offset:         200
        .size:           8
        .value_kind:     hidden_global_offset_z
      - .offset:         208
        .size:           2
        .value_kind:     hidden_grid_dims
      - .offset:         264
        .size:           4
        .value_kind:     hidden_dynamic_lds_size
    .group_segment_fixed_size: 96
    .kernarg_segment_align: 8
    .kernarg_segment_size: 400
    .language:       OpenCL C
    .language_version:
      - 2
      - 0
    .max_flat_workgroup_size: 1024
    .name:           _ZN4vllm25paged_attention_v2_kernelI14__hip_bfloat16S1_Li32ELi32ELi128ELNS_18Fp8KVCacheDataTypeE0ELb1ELi512EEEvPfS3_PT_PKS4_PKT0_SA_ifPKiSC_iPKfiiiSE_SE_iiiii
    .private_segment_fixed_size: 0
    .sgpr_count:     48
    .sgpr_spill_count: 0
    .symbol:         _ZN4vllm25paged_attention_v2_kernelI14__hip_bfloat16S1_Li32ELi32ELi128ELNS_18Fp8KVCacheDataTypeE0ELb1ELi512EEEvPfS3_PT_PKS4_PKT0_SA_ifPKiSC_iPKfiiiSE_SE_iiiii.kd
    .uniform_work_group_size: 1
    .uses_dynamic_stack: false
    .vgpr_count:     83
    .vgpr_spill_count: 0
    .wavefront_size: 32
    .workgroup_processor_mode: 1
  - .args:
      - .actual_access:  write_only
        .address_space:  global
        .offset:         0
        .size:           8
        .value_kind:     global_buffer
      - .actual_access:  write_only
        .address_space:  global
        .offset:         8
        .size:           8
        .value_kind:     global_buffer
      - .actual_access:  write_only
        .address_space:  global
        .offset:         16
        .size:           8
        .value_kind:     global_buffer
      - .actual_access:  read_only
        .address_space:  global
        .offset:         24
        .size:           8
        .value_kind:     global_buffer
      - .actual_access:  read_only
        .address_space:  global
        .offset:         32
        .size:           8
        .value_kind:     global_buffer
      - .actual_access:  read_only
        .address_space:  global
        .offset:         40
        .size:           8
        .value_kind:     global_buffer
      - .offset:         48
        .size:           4
        .value_kind:     by_value
      - .offset:         52
        .size:           4
        .value_kind:     by_value
      - .actual_access:  read_only
        .address_space:  global
        .offset:         56
        .size:           8
        .value_kind:     global_buffer
      - .actual_access:  read_only
        .address_space:  global
        .offset:         64
        .size:           8
        .value_kind:     global_buffer
      - .offset:         72
        .size:           4
        .value_kind:     by_value
      - .actual_access:  read_only
        .address_space:  global
        .offset:         80
        .size:           8
        .value_kind:     global_buffer
      - .offset:         88
        .size:           4
        .value_kind:     by_value
      - .offset:         92
        .size:           4
        .value_kind:     by_value
      - .offset:         96
        .size:           4
        .value_kind:     by_value
      - .address_space:  global
        .offset:         104
        .size:           8
        .value_kind:     global_buffer
      - .address_space:  global
        .offset:         112
        .size:           8
        .value_kind:     global_buffer
      - .offset:         120
        .size:           4
        .value_kind:     by_value
      - .offset:         124
        .size:           4
        .value_kind:     by_value
      - .offset:         128
        .size:           4
        .value_kind:     by_value
      - .offset:         132
        .size:           4
        .value_kind:     by_value
      - .offset:         136
        .size:           4
        .value_kind:     by_value
      - .offset:         144
        .size:           4
        .value_kind:     hidden_block_count_x
      - .offset:         148
        .size:           4
        .value_kind:     hidden_block_count_y
      - .offset:         152
        .size:           4
        .value_kind:     hidden_block_count_z
      - .offset:         156
        .size:           2
        .value_kind:     hidden_group_size_x
      - .offset:         158
        .size:           2
        .value_kind:     hidden_group_size_y
      - .offset:         160
        .size:           2
        .value_kind:     hidden_group_size_z
      - .offset:         162
        .size:           2
        .value_kind:     hidden_remainder_x
      - .offset:         164
        .size:           2
        .value_kind:     hidden_remainder_y
      - .offset:         166
        .size:           2
        .value_kind:     hidden_remainder_z
      - .offset:         184
        .size:           8
        .value_kind:     hidden_global_offset_x
      - .offset:         192
        .size:           8
        .value_kind:     hidden_global_offset_y
      - .offset:         200
        .size:           8
        .value_kind:     hidden_global_offset_z
      - .offset:         208
        .size:           2
        .value_kind:     hidden_grid_dims
      - .offset:         264
        .size:           4
        .value_kind:     hidden_dynamic_lds_size
    .group_segment_fixed_size: 160
    .kernarg_segment_align: 8
    .kernarg_segment_size: 400
    .language:       OpenCL C
    .language_version:
      - 2
      - 0
    .max_flat_workgroup_size: 1024
    .name:           _ZN4vllm25paged_attention_v2_kernelI14__hip_bfloat16S1_Li64ELi32ELi128ELNS_18Fp8KVCacheDataTypeE0ELb1ELi512EEEvPfS3_PT_PKS4_PKT0_SA_ifPKiSC_iPKfiiiSE_SE_iiiii
    .private_segment_fixed_size: 0
    .sgpr_count:     48
    .sgpr_spill_count: 0
    .symbol:         _ZN4vllm25paged_attention_v2_kernelI14__hip_bfloat16S1_Li64ELi32ELi128ELNS_18Fp8KVCacheDataTypeE0ELb1ELi512EEEvPfS3_PT_PKS4_PKT0_SA_ifPKiSC_iPKfiiiSE_SE_iiiii.kd
    .uniform_work_group_size: 1
    .uses_dynamic_stack: false
    .vgpr_count:     118
    .vgpr_spill_count: 0
    .wavefront_size: 32
    .workgroup_processor_mode: 1
  - .args:
      - .actual_access:  write_only
        .address_space:  global
        .offset:         0
        .size:           8
        .value_kind:     global_buffer
      - .actual_access:  write_only
        .address_space:  global
        .offset:         8
        .size:           8
        .value_kind:     global_buffer
      - .actual_access:  write_only
        .address_space:  global
        .offset:         16
        .size:           8
        .value_kind:     global_buffer
      - .actual_access:  read_only
        .address_space:  global
        .offset:         24
        .size:           8
        .value_kind:     global_buffer
      - .actual_access:  read_only
        .address_space:  global
        .offset:         32
        .size:           8
        .value_kind:     global_buffer
      - .actual_access:  read_only
        .address_space:  global
        .offset:         40
        .size:           8
        .value_kind:     global_buffer
      - .offset:         48
        .size:           4
        .value_kind:     by_value
      - .offset:         52
        .size:           4
        .value_kind:     by_value
      - .actual_access:  read_only
        .address_space:  global
        .offset:         56
        .size:           8
        .value_kind:     global_buffer
      - .actual_access:  read_only
        .address_space:  global
        .offset:         64
        .size:           8
        .value_kind:     global_buffer
      - .offset:         72
        .size:           4
        .value_kind:     by_value
      - .actual_access:  read_only
        .address_space:  global
        .offset:         80
        .size:           8
        .value_kind:     global_buffer
      - .offset:         88
        .size:           4
        .value_kind:     by_value
      - .offset:         92
        .size:           4
        .value_kind:     by_value
      - .offset:         96
        .size:           4
        .value_kind:     by_value
      - .address_space:  global
        .offset:         104
        .size:           8
        .value_kind:     global_buffer
      - .address_space:  global
        .offset:         112
        .size:           8
        .value_kind:     global_buffer
      - .offset:         120
        .size:           4
        .value_kind:     by_value
      - .offset:         124
        .size:           4
        .value_kind:     by_value
      - .offset:         128
        .size:           4
        .value_kind:     by_value
      - .offset:         132
        .size:           4
        .value_kind:     by_value
      - .offset:         136
        .size:           4
        .value_kind:     by_value
      - .offset:         144
        .size:           4
        .value_kind:     hidden_block_count_x
      - .offset:         148
        .size:           4
        .value_kind:     hidden_block_count_y
      - .offset:         152
        .size:           4
        .value_kind:     hidden_block_count_z
      - .offset:         156
        .size:           2
        .value_kind:     hidden_group_size_x
      - .offset:         158
        .size:           2
        .value_kind:     hidden_group_size_y
      - .offset:         160
        .size:           2
        .value_kind:     hidden_group_size_z
      - .offset:         162
        .size:           2
        .value_kind:     hidden_remainder_x
      - .offset:         164
        .size:           2
        .value_kind:     hidden_remainder_y
      - .offset:         166
        .size:           2
        .value_kind:     hidden_remainder_z
      - .offset:         184
        .size:           8
        .value_kind:     hidden_global_offset_x
      - .offset:         192
        .size:           8
        .value_kind:     hidden_global_offset_y
      - .offset:         200
        .size:           8
        .value_kind:     hidden_global_offset_z
      - .offset:         208
        .size:           2
        .value_kind:     hidden_grid_dims
      - .offset:         264
        .size:           4
        .value_kind:     hidden_dynamic_lds_size
    .group_segment_fixed_size: 192
    .kernarg_segment_align: 8
    .kernarg_segment_size: 400
    .language:       OpenCL C
    .language_version:
      - 2
      - 0
    .max_flat_workgroup_size: 1024
    .name:           _ZN4vllm25paged_attention_v2_kernelI14__hip_bfloat16S1_Li80ELi32ELi128ELNS_18Fp8KVCacheDataTypeE0ELb1ELi512EEEvPfS3_PT_PKS4_PKT0_SA_ifPKiSC_iPKfiiiSE_SE_iiiii
    .private_segment_fixed_size: 60
    .sgpr_count:     54
    .sgpr_spill_count: 0
    .symbol:         _ZN4vllm25paged_attention_v2_kernelI14__hip_bfloat16S1_Li80ELi32ELi128ELNS_18Fp8KVCacheDataTypeE0ELb1ELi512EEEvPfS3_PT_PKS4_PKT0_SA_ifPKiSC_iPKfiiiSE_SE_iiiii.kd
    .uniform_work_group_size: 1
    .uses_dynamic_stack: false
    .vgpr_count:     128
    .vgpr_spill_count: 14
    .wavefront_size: 32
    .workgroup_processor_mode: 1
  - .args:
      - .actual_access:  write_only
        .address_space:  global
        .offset:         0
        .size:           8
        .value_kind:     global_buffer
      - .actual_access:  write_only
        .address_space:  global
        .offset:         8
        .size:           8
        .value_kind:     global_buffer
      - .actual_access:  write_only
        .address_space:  global
        .offset:         16
        .size:           8
        .value_kind:     global_buffer
      - .actual_access:  read_only
        .address_space:  global
        .offset:         24
        .size:           8
        .value_kind:     global_buffer
      - .actual_access:  read_only
        .address_space:  global
        .offset:         32
        .size:           8
        .value_kind:     global_buffer
      - .actual_access:  read_only
        .address_space:  global
        .offset:         40
        .size:           8
        .value_kind:     global_buffer
      - .offset:         48
        .size:           4
        .value_kind:     by_value
      - .offset:         52
        .size:           4
        .value_kind:     by_value
      - .actual_access:  read_only
        .address_space:  global
        .offset:         56
        .size:           8
        .value_kind:     global_buffer
      - .actual_access:  read_only
        .address_space:  global
        .offset:         64
        .size:           8
        .value_kind:     global_buffer
      - .offset:         72
        .size:           4
        .value_kind:     by_value
      - .actual_access:  read_only
        .address_space:  global
        .offset:         80
        .size:           8
        .value_kind:     global_buffer
      - .offset:         88
        .size:           4
        .value_kind:     by_value
      - .offset:         92
        .size:           4
        .value_kind:     by_value
      - .offset:         96
        .size:           4
        .value_kind:     by_value
      - .address_space:  global
        .offset:         104
        .size:           8
        .value_kind:     global_buffer
      - .address_space:  global
        .offset:         112
        .size:           8
        .value_kind:     global_buffer
      - .offset:         120
        .size:           4
        .value_kind:     by_value
      - .offset:         124
        .size:           4
        .value_kind:     by_value
      - .offset:         128
        .size:           4
        .value_kind:     by_value
      - .offset:         132
        .size:           4
        .value_kind:     by_value
      - .offset:         136
        .size:           4
        .value_kind:     by_value
      - .offset:         144
        .size:           4
        .value_kind:     hidden_block_count_x
      - .offset:         148
        .size:           4
        .value_kind:     hidden_block_count_y
      - .offset:         152
        .size:           4
        .value_kind:     hidden_block_count_z
      - .offset:         156
        .size:           2
        .value_kind:     hidden_group_size_x
      - .offset:         158
        .size:           2
        .value_kind:     hidden_group_size_y
      - .offset:         160
        .size:           2
        .value_kind:     hidden_group_size_z
      - .offset:         162
        .size:           2
        .value_kind:     hidden_remainder_x
      - .offset:         164
        .size:           2
        .value_kind:     hidden_remainder_y
      - .offset:         166
        .size:           2
        .value_kind:     hidden_remainder_z
      - .offset:         184
        .size:           8
        .value_kind:     hidden_global_offset_x
      - .offset:         192
        .size:           8
        .value_kind:     hidden_global_offset_y
      - .offset:         200
        .size:           8
        .value_kind:     hidden_global_offset_z
      - .offset:         208
        .size:           2
        .value_kind:     hidden_grid_dims
      - .offset:         264
        .size:           4
        .value_kind:     hidden_dynamic_lds_size
    .group_segment_fixed_size: 224
    .kernarg_segment_align: 8
    .kernarg_segment_size: 400
    .language:       OpenCL C
    .language_version:
      - 2
      - 0
    .max_flat_workgroup_size: 1024
    .name:           _ZN4vllm25paged_attention_v2_kernelI14__hip_bfloat16S1_Li96ELi32ELi128ELNS_18Fp8KVCacheDataTypeE0ELb1ELi512EEEvPfS3_PT_PKS4_PKT0_SA_ifPKiSC_iPKfiiiSE_SE_iiiii
    .private_segment_fixed_size: 180
    .sgpr_count:     54
    .sgpr_spill_count: 0
    .symbol:         _ZN4vllm25paged_attention_v2_kernelI14__hip_bfloat16S1_Li96ELi32ELi128ELNS_18Fp8KVCacheDataTypeE0ELb1ELi512EEEvPfS3_PT_PKS4_PKT0_SA_ifPKiSC_iPKfiiiSE_SE_iiiii.kd
    .uniform_work_group_size: 1
    .uses_dynamic_stack: false
    .vgpr_count:     128
    .vgpr_spill_count: 44
    .wavefront_size: 32
    .workgroup_processor_mode: 1
  - .args:
      - .actual_access:  write_only
        .address_space:  global
        .offset:         0
        .size:           8
        .value_kind:     global_buffer
      - .actual_access:  write_only
        .address_space:  global
        .offset:         8
        .size:           8
        .value_kind:     global_buffer
      - .actual_access:  write_only
        .address_space:  global
        .offset:         16
        .size:           8
        .value_kind:     global_buffer
      - .actual_access:  read_only
        .address_space:  global
        .offset:         24
        .size:           8
        .value_kind:     global_buffer
      - .actual_access:  read_only
        .address_space:  global
        .offset:         32
        .size:           8
        .value_kind:     global_buffer
      - .actual_access:  read_only
        .address_space:  global
        .offset:         40
        .size:           8
        .value_kind:     global_buffer
      - .offset:         48
        .size:           4
        .value_kind:     by_value
      - .offset:         52
        .size:           4
        .value_kind:     by_value
      - .actual_access:  read_only
        .address_space:  global
        .offset:         56
        .size:           8
        .value_kind:     global_buffer
      - .actual_access:  read_only
        .address_space:  global
        .offset:         64
        .size:           8
        .value_kind:     global_buffer
      - .offset:         72
        .size:           4
        .value_kind:     by_value
      - .actual_access:  read_only
        .address_space:  global
        .offset:         80
        .size:           8
        .value_kind:     global_buffer
      - .offset:         88
        .size:           4
        .value_kind:     by_value
      - .offset:         92
        .size:           4
        .value_kind:     by_value
      - .offset:         96
        .size:           4
        .value_kind:     by_value
      - .address_space:  global
        .offset:         104
        .size:           8
        .value_kind:     global_buffer
      - .address_space:  global
        .offset:         112
        .size:           8
        .value_kind:     global_buffer
      - .offset:         120
        .size:           4
        .value_kind:     by_value
      - .offset:         124
        .size:           4
        .value_kind:     by_value
      - .offset:         128
        .size:           4
        .value_kind:     by_value
      - .offset:         132
        .size:           4
        .value_kind:     by_value
      - .offset:         136
        .size:           4
        .value_kind:     by_value
      - .offset:         144
        .size:           4
        .value_kind:     hidden_block_count_x
      - .offset:         148
        .size:           4
        .value_kind:     hidden_block_count_y
      - .offset:         152
        .size:           4
        .value_kind:     hidden_block_count_z
      - .offset:         156
        .size:           2
        .value_kind:     hidden_group_size_x
      - .offset:         158
        .size:           2
        .value_kind:     hidden_group_size_y
      - .offset:         160
        .size:           2
        .value_kind:     hidden_group_size_z
      - .offset:         162
        .size:           2
        .value_kind:     hidden_remainder_x
      - .offset:         164
        .size:           2
        .value_kind:     hidden_remainder_y
      - .offset:         166
        .size:           2
        .value_kind:     hidden_remainder_z
      - .offset:         184
        .size:           8
        .value_kind:     hidden_global_offset_x
      - .offset:         192
        .size:           8
        .value_kind:     hidden_global_offset_y
      - .offset:         200
        .size:           8
        .value_kind:     hidden_global_offset_z
      - .offset:         208
        .size:           2
        .value_kind:     hidden_grid_dims
      - .offset:         264
        .size:           4
        .value_kind:     hidden_dynamic_lds_size
    .group_segment_fixed_size: 256
    .kernarg_segment_align: 8
    .kernarg_segment_size: 400
    .language:       OpenCL C
    .language_version:
      - 2
      - 0
    .max_flat_workgroup_size: 1024
    .name:           _ZN4vllm25paged_attention_v2_kernelI14__hip_bfloat16S1_Li112ELi32ELi128ELNS_18Fp8KVCacheDataTypeE0ELb1ELi512EEEvPfS3_PT_PKS4_PKT0_SA_ifPKiSC_iPKfiiiSE_SE_iiiii
    .private_segment_fixed_size: 276
    .sgpr_count:     54
    .sgpr_spill_count: 0
    .symbol:         _ZN4vllm25paged_attention_v2_kernelI14__hip_bfloat16S1_Li112ELi32ELi128ELNS_18Fp8KVCacheDataTypeE0ELb1ELi512EEEvPfS3_PT_PKS4_PKT0_SA_ifPKiSC_iPKfiiiSE_SE_iiiii.kd
    .uniform_work_group_size: 1
    .uses_dynamic_stack: false
    .vgpr_count:     128
    .vgpr_spill_count: 68
    .wavefront_size: 32
    .workgroup_processor_mode: 1
  - .args:
      - .actual_access:  write_only
        .address_space:  global
        .offset:         0
        .size:           8
        .value_kind:     global_buffer
      - .actual_access:  write_only
        .address_space:  global
        .offset:         8
        .size:           8
        .value_kind:     global_buffer
      - .actual_access:  write_only
        .address_space:  global
        .offset:         16
        .size:           8
        .value_kind:     global_buffer
      - .actual_access:  read_only
        .address_space:  global
        .offset:         24
        .size:           8
        .value_kind:     global_buffer
      - .actual_access:  read_only
        .address_space:  global
        .offset:         32
        .size:           8
        .value_kind:     global_buffer
      - .actual_access:  read_only
        .address_space:  global
        .offset:         40
        .size:           8
        .value_kind:     global_buffer
      - .offset:         48
        .size:           4
        .value_kind:     by_value
      - .offset:         52
        .size:           4
        .value_kind:     by_value
      - .actual_access:  read_only
        .address_space:  global
        .offset:         56
        .size:           8
        .value_kind:     global_buffer
      - .actual_access:  read_only
        .address_space:  global
        .offset:         64
        .size:           8
        .value_kind:     global_buffer
      - .offset:         72
        .size:           4
        .value_kind:     by_value
      - .actual_access:  read_only
        .address_space:  global
        .offset:         80
        .size:           8
        .value_kind:     global_buffer
      - .offset:         88
        .size:           4
        .value_kind:     by_value
      - .offset:         92
        .size:           4
        .value_kind:     by_value
      - .offset:         96
        .size:           4
        .value_kind:     by_value
      - .address_space:  global
        .offset:         104
        .size:           8
        .value_kind:     global_buffer
      - .address_space:  global
        .offset:         112
        .size:           8
        .value_kind:     global_buffer
      - .offset:         120
        .size:           4
        .value_kind:     by_value
      - .offset:         124
        .size:           4
        .value_kind:     by_value
      - .offset:         128
        .size:           4
        .value_kind:     by_value
      - .offset:         132
        .size:           4
        .value_kind:     by_value
      - .offset:         136
        .size:           4
        .value_kind:     by_value
      - .offset:         144
        .size:           4
        .value_kind:     hidden_block_count_x
      - .offset:         148
        .size:           4
        .value_kind:     hidden_block_count_y
      - .offset:         152
        .size:           4
        .value_kind:     hidden_block_count_z
      - .offset:         156
        .size:           2
        .value_kind:     hidden_group_size_x
      - .offset:         158
        .size:           2
        .value_kind:     hidden_group_size_y
      - .offset:         160
        .size:           2
        .value_kind:     hidden_group_size_z
      - .offset:         162
        .size:           2
        .value_kind:     hidden_remainder_x
      - .offset:         164
        .size:           2
        .value_kind:     hidden_remainder_y
      - .offset:         166
        .size:           2
        .value_kind:     hidden_remainder_z
      - .offset:         184
        .size:           8
        .value_kind:     hidden_global_offset_x
      - .offset:         192
        .size:           8
        .value_kind:     hidden_global_offset_y
      - .offset:         200
        .size:           8
        .value_kind:     hidden_global_offset_z
      - .offset:         208
        .size:           2
        .value_kind:     hidden_grid_dims
      - .offset:         264
        .size:           4
        .value_kind:     hidden_dynamic_lds_size
    .group_segment_fixed_size: 272
    .kernarg_segment_align: 8
    .kernarg_segment_size: 400
    .language:       OpenCL C
    .language_version:
      - 2
      - 0
    .max_flat_workgroup_size: 1024
    .name:           _ZN4vllm25paged_attention_v2_kernelI14__hip_bfloat16S1_Li120ELi32ELi128ELNS_18Fp8KVCacheDataTypeE0ELb1ELi512EEEvPfS3_PT_PKS4_PKT0_SA_ifPKiSC_iPKfiiiSE_SE_iiiii
    .private_segment_fixed_size: 308
    .sgpr_count:     54
    .sgpr_spill_count: 0
    .symbol:         _ZN4vllm25paged_attention_v2_kernelI14__hip_bfloat16S1_Li120ELi32ELi128ELNS_18Fp8KVCacheDataTypeE0ELb1ELi512EEEvPfS3_PT_PKS4_PKT0_SA_ifPKiSC_iPKfiiiSE_SE_iiiii.kd
    .uniform_work_group_size: 1
    .uses_dynamic_stack: false
    .vgpr_count:     128
    .vgpr_spill_count: 76
    .wavefront_size: 32
    .workgroup_processor_mode: 1
  - .args:
      - .actual_access:  write_only
        .address_space:  global
        .offset:         0
        .size:           8
        .value_kind:     global_buffer
      - .actual_access:  write_only
        .address_space:  global
        .offset:         8
        .size:           8
        .value_kind:     global_buffer
      - .actual_access:  write_only
        .address_space:  global
        .offset:         16
        .size:           8
        .value_kind:     global_buffer
      - .actual_access:  read_only
        .address_space:  global
        .offset:         24
        .size:           8
        .value_kind:     global_buffer
      - .actual_access:  read_only
        .address_space:  global
        .offset:         32
        .size:           8
        .value_kind:     global_buffer
      - .actual_access:  read_only
        .address_space:  global
        .offset:         40
        .size:           8
        .value_kind:     global_buffer
      - .offset:         48
        .size:           4
        .value_kind:     by_value
      - .offset:         52
        .size:           4
        .value_kind:     by_value
      - .actual_access:  read_only
        .address_space:  global
        .offset:         56
        .size:           8
        .value_kind:     global_buffer
      - .actual_access:  read_only
        .address_space:  global
        .offset:         64
        .size:           8
        .value_kind:     global_buffer
      - .offset:         72
        .size:           4
        .value_kind:     by_value
      - .actual_access:  read_only
        .address_space:  global
        .offset:         80
        .size:           8
        .value_kind:     global_buffer
      - .offset:         88
        .size:           4
        .value_kind:     by_value
      - .offset:         92
        .size:           4
        .value_kind:     by_value
      - .offset:         96
        .size:           4
        .value_kind:     by_value
      - .address_space:  global
        .offset:         104
        .size:           8
        .value_kind:     global_buffer
      - .address_space:  global
        .offset:         112
        .size:           8
        .value_kind:     global_buffer
      - .offset:         120
        .size:           4
        .value_kind:     by_value
      - .offset:         124
        .size:           4
        .value_kind:     by_value
      - .offset:         128
        .size:           4
        .value_kind:     by_value
      - .offset:         132
        .size:           4
        .value_kind:     by_value
      - .offset:         136
        .size:           4
        .value_kind:     by_value
      - .offset:         144
        .size:           4
        .value_kind:     hidden_block_count_x
      - .offset:         148
        .size:           4
        .value_kind:     hidden_block_count_y
      - .offset:         152
        .size:           4
        .value_kind:     hidden_block_count_z
      - .offset:         156
        .size:           2
        .value_kind:     hidden_group_size_x
      - .offset:         158
        .size:           2
        .value_kind:     hidden_group_size_y
      - .offset:         160
        .size:           2
        .value_kind:     hidden_group_size_z
      - .offset:         162
        .size:           2
        .value_kind:     hidden_remainder_x
      - .offset:         164
        .size:           2
        .value_kind:     hidden_remainder_y
      - .offset:         166
        .size:           2
        .value_kind:     hidden_remainder_z
      - .offset:         184
        .size:           8
        .value_kind:     hidden_global_offset_x
      - .offset:         192
        .size:           8
        .value_kind:     hidden_global_offset_y
      - .offset:         200
        .size:           8
        .value_kind:     hidden_global_offset_z
      - .offset:         208
        .size:           2
        .value_kind:     hidden_grid_dims
      - .offset:         264
        .size:           4
        .value_kind:     hidden_dynamic_lds_size
    .group_segment_fixed_size: 288
    .kernarg_segment_align: 8
    .kernarg_segment_size: 400
    .language:       OpenCL C
    .language_version:
      - 2
      - 0
    .max_flat_workgroup_size: 1024
    .name:           _ZN4vllm25paged_attention_v2_kernelI14__hip_bfloat16S1_Li128ELi32ELi128ELNS_18Fp8KVCacheDataTypeE0ELb1ELi512EEEvPfS3_PT_PKS4_PKT0_SA_ifPKiSC_iPKfiiiSE_SE_iiiii
    .private_segment_fixed_size: 340
    .sgpr_count:     54
    .sgpr_spill_count: 0
    .symbol:         _ZN4vllm25paged_attention_v2_kernelI14__hip_bfloat16S1_Li128ELi32ELi128ELNS_18Fp8KVCacheDataTypeE0ELb1ELi512EEEvPfS3_PT_PKS4_PKT0_SA_ifPKiSC_iPKfiiiSE_SE_iiiii.kd
    .uniform_work_group_size: 1
    .uses_dynamic_stack: false
    .vgpr_count:     128
    .vgpr_spill_count: 84
    .wavefront_size: 32
    .workgroup_processor_mode: 1
  - .args:
      - .actual_access:  write_only
        .address_space:  global
        .offset:         0
        .size:           8
        .value_kind:     global_buffer
      - .actual_access:  write_only
        .address_space:  global
        .offset:         8
        .size:           8
        .value_kind:     global_buffer
      - .actual_access:  write_only
        .address_space:  global
        .offset:         16
        .size:           8
        .value_kind:     global_buffer
      - .actual_access:  read_only
        .address_space:  global
        .offset:         24
        .size:           8
        .value_kind:     global_buffer
      - .actual_access:  read_only
        .address_space:  global
        .offset:         32
        .size:           8
        .value_kind:     global_buffer
      - .actual_access:  read_only
        .address_space:  global
        .offset:         40
        .size:           8
        .value_kind:     global_buffer
      - .offset:         48
        .size:           4
        .value_kind:     by_value
      - .offset:         52
        .size:           4
        .value_kind:     by_value
      - .actual_access:  read_only
        .address_space:  global
        .offset:         56
        .size:           8
        .value_kind:     global_buffer
      - .actual_access:  read_only
        .address_space:  global
        .offset:         64
        .size:           8
        .value_kind:     global_buffer
      - .offset:         72
        .size:           4
        .value_kind:     by_value
      - .actual_access:  read_only
        .address_space:  global
        .offset:         80
        .size:           8
        .value_kind:     global_buffer
      - .offset:         88
        .size:           4
        .value_kind:     by_value
      - .offset:         92
        .size:           4
        .value_kind:     by_value
      - .offset:         96
        .size:           4
        .value_kind:     by_value
      - .address_space:  global
        .offset:         104
        .size:           8
        .value_kind:     global_buffer
      - .address_space:  global
        .offset:         112
        .size:           8
        .value_kind:     global_buffer
      - .offset:         120
        .size:           4
        .value_kind:     by_value
      - .offset:         124
        .size:           4
        .value_kind:     by_value
      - .offset:         128
        .size:           4
        .value_kind:     by_value
      - .offset:         132
        .size:           4
        .value_kind:     by_value
      - .offset:         136
        .size:           4
        .value_kind:     by_value
      - .offset:         144
        .size:           4
        .value_kind:     hidden_block_count_x
      - .offset:         148
        .size:           4
        .value_kind:     hidden_block_count_y
      - .offset:         152
        .size:           4
        .value_kind:     hidden_block_count_z
      - .offset:         156
        .size:           2
        .value_kind:     hidden_group_size_x
      - .offset:         158
        .size:           2
        .value_kind:     hidden_group_size_y
      - .offset:         160
        .size:           2
        .value_kind:     hidden_group_size_z
      - .offset:         162
        .size:           2
        .value_kind:     hidden_remainder_x
      - .offset:         164
        .size:           2
        .value_kind:     hidden_remainder_y
      - .offset:         166
        .size:           2
        .value_kind:     hidden_remainder_z
      - .offset:         184
        .size:           8
        .value_kind:     hidden_global_offset_x
      - .offset:         192
        .size:           8
        .value_kind:     hidden_global_offset_y
      - .offset:         200
        .size:           8
        .value_kind:     hidden_global_offset_z
      - .offset:         208
        .size:           2
        .value_kind:     hidden_grid_dims
      - .offset:         264
        .size:           4
        .value_kind:     hidden_dynamic_lds_size
    .group_segment_fixed_size: 416
    .kernarg_segment_align: 8
    .kernarg_segment_size: 400
    .language:       OpenCL C
    .language_version:
      - 2
      - 0
    .max_flat_workgroup_size: 1024
    .name:           _ZN4vllm25paged_attention_v2_kernelI14__hip_bfloat16S1_Li192ELi32ELi128ELNS_18Fp8KVCacheDataTypeE0ELb1ELi512EEEvPfS3_PT_PKS4_PKT0_SA_ifPKiSC_iPKfiiiSE_SE_iiiii
    .private_segment_fixed_size: 600
    .sgpr_count:     54
    .sgpr_spill_count: 0
    .symbol:         _ZN4vllm25paged_attention_v2_kernelI14__hip_bfloat16S1_Li192ELi32ELi128ELNS_18Fp8KVCacheDataTypeE0ELb1ELi512EEEvPfS3_PT_PKS4_PKT0_SA_ifPKiSC_iPKfiiiSE_SE_iiiii.kd
    .uniform_work_group_size: 1
    .uses_dynamic_stack: false
    .vgpr_count:     128
    .vgpr_spill_count: 170
    .wavefront_size: 32
    .workgroup_processor_mode: 1
  - .args:
      - .actual_access:  write_only
        .address_space:  global
        .offset:         0
        .size:           8
        .value_kind:     global_buffer
      - .actual_access:  write_only
        .address_space:  global
        .offset:         8
        .size:           8
        .value_kind:     global_buffer
      - .actual_access:  write_only
        .address_space:  global
        .offset:         16
        .size:           8
        .value_kind:     global_buffer
      - .actual_access:  read_only
        .address_space:  global
        .offset:         24
        .size:           8
        .value_kind:     global_buffer
      - .actual_access:  read_only
        .address_space:  global
        .offset:         32
        .size:           8
        .value_kind:     global_buffer
      - .actual_access:  read_only
        .address_space:  global
        .offset:         40
        .size:           8
        .value_kind:     global_buffer
      - .offset:         48
        .size:           4
        .value_kind:     by_value
      - .offset:         52
        .size:           4
        .value_kind:     by_value
      - .actual_access:  read_only
        .address_space:  global
        .offset:         56
        .size:           8
        .value_kind:     global_buffer
      - .actual_access:  read_only
        .address_space:  global
        .offset:         64
        .size:           8
        .value_kind:     global_buffer
      - .offset:         72
        .size:           4
        .value_kind:     by_value
      - .actual_access:  read_only
        .address_space:  global
        .offset:         80
        .size:           8
        .value_kind:     global_buffer
      - .offset:         88
        .size:           4
        .value_kind:     by_value
      - .offset:         92
        .size:           4
        .value_kind:     by_value
      - .offset:         96
        .size:           4
        .value_kind:     by_value
      - .address_space:  global
        .offset:         104
        .size:           8
        .value_kind:     global_buffer
      - .address_space:  global
        .offset:         112
        .size:           8
        .value_kind:     global_buffer
      - .offset:         120
        .size:           4
        .value_kind:     by_value
      - .offset:         124
        .size:           4
        .value_kind:     by_value
      - .offset:         128
        .size:           4
        .value_kind:     by_value
      - .offset:         132
        .size:           4
        .value_kind:     by_value
      - .offset:         136
        .size:           4
        .value_kind:     by_value
      - .offset:         144
        .size:           4
        .value_kind:     hidden_block_count_x
      - .offset:         148
        .size:           4
        .value_kind:     hidden_block_count_y
      - .offset:         152
        .size:           4
        .value_kind:     hidden_block_count_z
      - .offset:         156
        .size:           2
        .value_kind:     hidden_group_size_x
      - .offset:         158
        .size:           2
        .value_kind:     hidden_group_size_y
      - .offset:         160
        .size:           2
        .value_kind:     hidden_group_size_z
      - .offset:         162
        .size:           2
        .value_kind:     hidden_remainder_x
      - .offset:         164
        .size:           2
        .value_kind:     hidden_remainder_y
      - .offset:         166
        .size:           2
        .value_kind:     hidden_remainder_z
      - .offset:         184
        .size:           8
        .value_kind:     hidden_global_offset_x
      - .offset:         192
        .size:           8
        .value_kind:     hidden_global_offset_y
      - .offset:         200
        .size:           8
        .value_kind:     hidden_global_offset_z
      - .offset:         208
        .size:           2
        .value_kind:     hidden_grid_dims
      - .offset:         264
        .size:           4
        .value_kind:     hidden_dynamic_lds_size
    .group_segment_fixed_size: 544
    .kernarg_segment_align: 8
    .kernarg_segment_size: 400
    .language:       OpenCL C
    .language_version:
      - 2
      - 0
    .max_flat_workgroup_size: 1024
    .name:           _ZN4vllm25paged_attention_v2_kernelI14__hip_bfloat16S1_Li256ELi32ELi128ELNS_18Fp8KVCacheDataTypeE0ELb1ELi512EEEvPfS3_PT_PKS4_PKT0_SA_ifPKiSC_iPKfiiiSE_SE_iiiii
    .private_segment_fixed_size: 912
    .sgpr_count:     54
    .sgpr_spill_count: 0
    .symbol:         _ZN4vllm25paged_attention_v2_kernelI14__hip_bfloat16S1_Li256ELi32ELi128ELNS_18Fp8KVCacheDataTypeE0ELb1ELi512EEEvPfS3_PT_PKS4_PKT0_SA_ifPKiSC_iPKfiiiSE_SE_iiiii.kd
    .uniform_work_group_size: 1
    .uses_dynamic_stack: false
    .vgpr_count:     128
    .vgpr_spill_count: 317
    .wavefront_size: 32
    .workgroup_processor_mode: 1
  - .args:
      - .actual_access:  write_only
        .address_space:  global
        .offset:         0
        .size:           8
        .value_kind:     global_buffer
      - .actual_access:  write_only
        .address_space:  global
        .offset:         8
        .size:           8
        .value_kind:     global_buffer
      - .actual_access:  write_only
        .address_space:  global
        .offset:         16
        .size:           8
        .value_kind:     global_buffer
      - .actual_access:  read_only
        .address_space:  global
        .offset:         24
        .size:           8
        .value_kind:     global_buffer
      - .actual_access:  read_only
        .address_space:  global
        .offset:         32
        .size:           8
        .value_kind:     global_buffer
      - .actual_access:  read_only
        .address_space:  global
        .offset:         40
        .size:           8
        .value_kind:     global_buffer
      - .offset:         48
        .size:           4
        .value_kind:     by_value
      - .offset:         52
        .size:           4
        .value_kind:     by_value
      - .actual_access:  read_only
        .address_space:  global
        .offset:         56
        .size:           8
        .value_kind:     global_buffer
      - .actual_access:  read_only
        .address_space:  global
        .offset:         64
        .size:           8
        .value_kind:     global_buffer
      - .offset:         72
        .size:           4
        .value_kind:     by_value
      - .actual_access:  read_only
        .address_space:  global
        .offset:         80
        .size:           8
        .value_kind:     global_buffer
      - .offset:         88
        .size:           4
        .value_kind:     by_value
      - .offset:         92
        .size:           4
        .value_kind:     by_value
      - .offset:         96
        .size:           4
        .value_kind:     by_value
      - .address_space:  global
        .offset:         104
        .size:           8
        .value_kind:     global_buffer
      - .address_space:  global
        .offset:         112
        .size:           8
        .value_kind:     global_buffer
      - .offset:         120
        .size:           4
        .value_kind:     by_value
      - .offset:         124
        .size:           4
        .value_kind:     by_value
      - .offset:         128
        .size:           4
        .value_kind:     by_value
      - .offset:         132
        .size:           4
        .value_kind:     by_value
      - .offset:         136
        .size:           4
        .value_kind:     by_value
      - .offset:         144
        .size:           4
        .value_kind:     hidden_block_count_x
      - .offset:         148
        .size:           4
        .value_kind:     hidden_block_count_y
      - .offset:         152
        .size:           4
        .value_kind:     hidden_block_count_z
      - .offset:         156
        .size:           2
        .value_kind:     hidden_group_size_x
      - .offset:         158
        .size:           2
        .value_kind:     hidden_group_size_y
      - .offset:         160
        .size:           2
        .value_kind:     hidden_group_size_z
      - .offset:         162
        .size:           2
        .value_kind:     hidden_remainder_x
      - .offset:         164
        .size:           2
        .value_kind:     hidden_remainder_y
      - .offset:         166
        .size:           2
        .value_kind:     hidden_remainder_z
      - .offset:         184
        .size:           8
        .value_kind:     hidden_global_offset_x
      - .offset:         192
        .size:           8
        .value_kind:     hidden_global_offset_y
      - .offset:         200
        .size:           8
        .value_kind:     hidden_global_offset_z
      - .offset:         208
        .size:           2
        .value_kind:     hidden_grid_dims
      - .offset:         264
        .size:           4
        .value_kind:     hidden_dynamic_lds_size
    .group_segment_fixed_size: 96
    .kernarg_segment_align: 8
    .kernarg_segment_size: 400
    .language:       OpenCL C
    .language_version:
      - 2
      - 0
    .max_flat_workgroup_size: 1024
    .name:           _ZN4vllm25paged_attention_v2_kernelI14__hip_bfloat16S1_Li32ELi32ELi128ELNS_18Fp8KVCacheDataTypeE0ELb0ELi512EEEvPfS3_PT_PKS4_PKT0_SA_ifPKiSC_iPKfiiiSE_SE_iiiii
    .private_segment_fixed_size: 0
    .sgpr_count:     40
    .sgpr_spill_count: 0
    .symbol:         _ZN4vllm25paged_attention_v2_kernelI14__hip_bfloat16S1_Li32ELi32ELi128ELNS_18Fp8KVCacheDataTypeE0ELb0ELi512EEEvPfS3_PT_PKS4_PKT0_SA_ifPKiSC_iPKfiiiSE_SE_iiiii.kd
    .uniform_work_group_size: 1
    .uses_dynamic_stack: false
    .vgpr_count:     82
    .vgpr_spill_count: 0
    .wavefront_size: 32
    .workgroup_processor_mode: 1
  - .args:
      - .actual_access:  write_only
        .address_space:  global
        .offset:         0
        .size:           8
        .value_kind:     global_buffer
      - .actual_access:  write_only
        .address_space:  global
        .offset:         8
        .size:           8
        .value_kind:     global_buffer
      - .actual_access:  write_only
        .address_space:  global
        .offset:         16
        .size:           8
        .value_kind:     global_buffer
      - .actual_access:  read_only
        .address_space:  global
        .offset:         24
        .size:           8
        .value_kind:     global_buffer
      - .actual_access:  read_only
        .address_space:  global
        .offset:         32
        .size:           8
        .value_kind:     global_buffer
      - .actual_access:  read_only
        .address_space:  global
        .offset:         40
        .size:           8
        .value_kind:     global_buffer
      - .offset:         48
        .size:           4
        .value_kind:     by_value
      - .offset:         52
        .size:           4
        .value_kind:     by_value
      - .actual_access:  read_only
        .address_space:  global
        .offset:         56
        .size:           8
        .value_kind:     global_buffer
      - .actual_access:  read_only
        .address_space:  global
        .offset:         64
        .size:           8
        .value_kind:     global_buffer
      - .offset:         72
        .size:           4
        .value_kind:     by_value
      - .actual_access:  read_only
        .address_space:  global
        .offset:         80
        .size:           8
        .value_kind:     global_buffer
      - .offset:         88
        .size:           4
        .value_kind:     by_value
      - .offset:         92
        .size:           4
        .value_kind:     by_value
      - .offset:         96
        .size:           4
        .value_kind:     by_value
      - .address_space:  global
        .offset:         104
        .size:           8
        .value_kind:     global_buffer
      - .address_space:  global
        .offset:         112
        .size:           8
        .value_kind:     global_buffer
      - .offset:         120
        .size:           4
        .value_kind:     by_value
      - .offset:         124
        .size:           4
        .value_kind:     by_value
      - .offset:         128
        .size:           4
        .value_kind:     by_value
      - .offset:         132
        .size:           4
        .value_kind:     by_value
      - .offset:         136
        .size:           4
        .value_kind:     by_value
      - .offset:         144
        .size:           4
        .value_kind:     hidden_block_count_x
      - .offset:         148
        .size:           4
        .value_kind:     hidden_block_count_y
      - .offset:         152
        .size:           4
        .value_kind:     hidden_block_count_z
      - .offset:         156
        .size:           2
        .value_kind:     hidden_group_size_x
      - .offset:         158
        .size:           2
        .value_kind:     hidden_group_size_y
      - .offset:         160
        .size:           2
        .value_kind:     hidden_group_size_z
      - .offset:         162
        .size:           2
        .value_kind:     hidden_remainder_x
      - .offset:         164
        .size:           2
        .value_kind:     hidden_remainder_y
      - .offset:         166
        .size:           2
        .value_kind:     hidden_remainder_z
      - .offset:         184
        .size:           8
        .value_kind:     hidden_global_offset_x
      - .offset:         192
        .size:           8
        .value_kind:     hidden_global_offset_y
      - .offset:         200
        .size:           8
        .value_kind:     hidden_global_offset_z
      - .offset:         208
        .size:           2
        .value_kind:     hidden_grid_dims
      - .offset:         264
        .size:           4
        .value_kind:     hidden_dynamic_lds_size
    .group_segment_fixed_size: 160
    .kernarg_segment_align: 8
    .kernarg_segment_size: 400
    .language:       OpenCL C
    .language_version:
      - 2
      - 0
    .max_flat_workgroup_size: 1024
    .name:           _ZN4vllm25paged_attention_v2_kernelI14__hip_bfloat16S1_Li64ELi32ELi128ELNS_18Fp8KVCacheDataTypeE0ELb0ELi512EEEvPfS3_PT_PKS4_PKT0_SA_ifPKiSC_iPKfiiiSE_SE_iiiii
    .private_segment_fixed_size: 0
    .sgpr_count:     40
    .sgpr_spill_count: 0
    .symbol:         _ZN4vllm25paged_attention_v2_kernelI14__hip_bfloat16S1_Li64ELi32ELi128ELNS_18Fp8KVCacheDataTypeE0ELb0ELi512EEEvPfS3_PT_PKS4_PKT0_SA_ifPKiSC_iPKfiiiSE_SE_iiiii.kd
    .uniform_work_group_size: 1
    .uses_dynamic_stack: false
    .vgpr_count:     115
    .vgpr_spill_count: 0
    .wavefront_size: 32
    .workgroup_processor_mode: 1
  - .args:
      - .actual_access:  write_only
        .address_space:  global
        .offset:         0
        .size:           8
        .value_kind:     global_buffer
      - .actual_access:  write_only
        .address_space:  global
        .offset:         8
        .size:           8
        .value_kind:     global_buffer
      - .actual_access:  write_only
        .address_space:  global
        .offset:         16
        .size:           8
        .value_kind:     global_buffer
      - .actual_access:  read_only
        .address_space:  global
        .offset:         24
        .size:           8
        .value_kind:     global_buffer
      - .actual_access:  read_only
        .address_space:  global
        .offset:         32
        .size:           8
        .value_kind:     global_buffer
      - .actual_access:  read_only
        .address_space:  global
        .offset:         40
        .size:           8
        .value_kind:     global_buffer
      - .offset:         48
        .size:           4
        .value_kind:     by_value
      - .offset:         52
        .size:           4
        .value_kind:     by_value
      - .actual_access:  read_only
        .address_space:  global
        .offset:         56
        .size:           8
        .value_kind:     global_buffer
      - .actual_access:  read_only
        .address_space:  global
        .offset:         64
        .size:           8
        .value_kind:     global_buffer
      - .offset:         72
        .size:           4
        .value_kind:     by_value
      - .actual_access:  read_only
        .address_space:  global
        .offset:         80
        .size:           8
        .value_kind:     global_buffer
      - .offset:         88
        .size:           4
        .value_kind:     by_value
      - .offset:         92
        .size:           4
        .value_kind:     by_value
      - .offset:         96
        .size:           4
        .value_kind:     by_value
      - .address_space:  global
        .offset:         104
        .size:           8
        .value_kind:     global_buffer
      - .address_space:  global
        .offset:         112
        .size:           8
        .value_kind:     global_buffer
      - .offset:         120
        .size:           4
        .value_kind:     by_value
      - .offset:         124
        .size:           4
        .value_kind:     by_value
      - .offset:         128
        .size:           4
        .value_kind:     by_value
      - .offset:         132
        .size:           4
        .value_kind:     by_value
      - .offset:         136
        .size:           4
        .value_kind:     by_value
      - .offset:         144
        .size:           4
        .value_kind:     hidden_block_count_x
      - .offset:         148
        .size:           4
        .value_kind:     hidden_block_count_y
      - .offset:         152
        .size:           4
        .value_kind:     hidden_block_count_z
      - .offset:         156
        .size:           2
        .value_kind:     hidden_group_size_x
      - .offset:         158
        .size:           2
        .value_kind:     hidden_group_size_y
      - .offset:         160
        .size:           2
        .value_kind:     hidden_group_size_z
      - .offset:         162
        .size:           2
        .value_kind:     hidden_remainder_x
      - .offset:         164
        .size:           2
        .value_kind:     hidden_remainder_y
      - .offset:         166
        .size:           2
        .value_kind:     hidden_remainder_z
      - .offset:         184
        .size:           8
        .value_kind:     hidden_global_offset_x
      - .offset:         192
        .size:           8
        .value_kind:     hidden_global_offset_y
      - .offset:         200
        .size:           8
        .value_kind:     hidden_global_offset_z
      - .offset:         208
        .size:           2
        .value_kind:     hidden_grid_dims
      - .offset:         264
        .size:           4
        .value_kind:     hidden_dynamic_lds_size
    .group_segment_fixed_size: 192
    .kernarg_segment_align: 8
    .kernarg_segment_size: 400
    .language:       OpenCL C
    .language_version:
      - 2
      - 0
    .max_flat_workgroup_size: 1024
    .name:           _ZN4vllm25paged_attention_v2_kernelI14__hip_bfloat16S1_Li80ELi32ELi128ELNS_18Fp8KVCacheDataTypeE0ELb0ELi512EEEvPfS3_PT_PKS4_PKT0_SA_ifPKiSC_iPKfiiiSE_SE_iiiii
    .private_segment_fixed_size: 52
    .sgpr_count:     46
    .sgpr_spill_count: 0
    .symbol:         _ZN4vllm25paged_attention_v2_kernelI14__hip_bfloat16S1_Li80ELi32ELi128ELNS_18Fp8KVCacheDataTypeE0ELb0ELi512EEEvPfS3_PT_PKS4_PKT0_SA_ifPKiSC_iPKfiiiSE_SE_iiiii.kd
    .uniform_work_group_size: 1
    .uses_dynamic_stack: false
    .vgpr_count:     128
    .vgpr_spill_count: 12
    .wavefront_size: 32
    .workgroup_processor_mode: 1
  - .args:
      - .actual_access:  write_only
        .address_space:  global
        .offset:         0
        .size:           8
        .value_kind:     global_buffer
      - .actual_access:  write_only
        .address_space:  global
        .offset:         8
        .size:           8
        .value_kind:     global_buffer
      - .actual_access:  write_only
        .address_space:  global
        .offset:         16
        .size:           8
        .value_kind:     global_buffer
      - .actual_access:  read_only
        .address_space:  global
        .offset:         24
        .size:           8
        .value_kind:     global_buffer
      - .actual_access:  read_only
        .address_space:  global
        .offset:         32
        .size:           8
        .value_kind:     global_buffer
      - .actual_access:  read_only
        .address_space:  global
        .offset:         40
        .size:           8
        .value_kind:     global_buffer
      - .offset:         48
        .size:           4
        .value_kind:     by_value
      - .offset:         52
        .size:           4
        .value_kind:     by_value
      - .actual_access:  read_only
        .address_space:  global
        .offset:         56
        .size:           8
        .value_kind:     global_buffer
      - .actual_access:  read_only
        .address_space:  global
        .offset:         64
        .size:           8
        .value_kind:     global_buffer
      - .offset:         72
        .size:           4
        .value_kind:     by_value
      - .actual_access:  read_only
        .address_space:  global
        .offset:         80
        .size:           8
        .value_kind:     global_buffer
      - .offset:         88
        .size:           4
        .value_kind:     by_value
      - .offset:         92
        .size:           4
        .value_kind:     by_value
      - .offset:         96
        .size:           4
        .value_kind:     by_value
      - .address_space:  global
        .offset:         104
        .size:           8
        .value_kind:     global_buffer
      - .address_space:  global
        .offset:         112
        .size:           8
        .value_kind:     global_buffer
      - .offset:         120
        .size:           4
        .value_kind:     by_value
      - .offset:         124
        .size:           4
        .value_kind:     by_value
      - .offset:         128
        .size:           4
        .value_kind:     by_value
      - .offset:         132
        .size:           4
        .value_kind:     by_value
      - .offset:         136
        .size:           4
        .value_kind:     by_value
      - .offset:         144
        .size:           4
        .value_kind:     hidden_block_count_x
      - .offset:         148
        .size:           4
        .value_kind:     hidden_block_count_y
      - .offset:         152
        .size:           4
        .value_kind:     hidden_block_count_z
      - .offset:         156
        .size:           2
        .value_kind:     hidden_group_size_x
      - .offset:         158
        .size:           2
        .value_kind:     hidden_group_size_y
      - .offset:         160
        .size:           2
        .value_kind:     hidden_group_size_z
      - .offset:         162
        .size:           2
        .value_kind:     hidden_remainder_x
      - .offset:         164
        .size:           2
        .value_kind:     hidden_remainder_y
      - .offset:         166
        .size:           2
        .value_kind:     hidden_remainder_z
      - .offset:         184
        .size:           8
        .value_kind:     hidden_global_offset_x
      - .offset:         192
        .size:           8
        .value_kind:     hidden_global_offset_y
      - .offset:         200
        .size:           8
        .value_kind:     hidden_global_offset_z
      - .offset:         208
        .size:           2
        .value_kind:     hidden_grid_dims
      - .offset:         264
        .size:           4
        .value_kind:     hidden_dynamic_lds_size
    .group_segment_fixed_size: 224
    .kernarg_segment_align: 8
    .kernarg_segment_size: 400
    .language:       OpenCL C
    .language_version:
      - 2
      - 0
    .max_flat_workgroup_size: 1024
    .name:           _ZN4vllm25paged_attention_v2_kernelI14__hip_bfloat16S1_Li96ELi32ELi128ELNS_18Fp8KVCacheDataTypeE0ELb0ELi512EEEvPfS3_PT_PKS4_PKT0_SA_ifPKiSC_iPKfiiiSE_SE_iiiii
    .private_segment_fixed_size: 172
    .sgpr_count:     46
    .sgpr_spill_count: 0
    .symbol:         _ZN4vllm25paged_attention_v2_kernelI14__hip_bfloat16S1_Li96ELi32ELi128ELNS_18Fp8KVCacheDataTypeE0ELb0ELi512EEEvPfS3_PT_PKS4_PKT0_SA_ifPKiSC_iPKfiiiSE_SE_iiiii.kd
    .uniform_work_group_size: 1
    .uses_dynamic_stack: false
    .vgpr_count:     128
    .vgpr_spill_count: 42
    .wavefront_size: 32
    .workgroup_processor_mode: 1
  - .args:
      - .actual_access:  write_only
        .address_space:  global
        .offset:         0
        .size:           8
        .value_kind:     global_buffer
      - .actual_access:  write_only
        .address_space:  global
        .offset:         8
        .size:           8
        .value_kind:     global_buffer
      - .actual_access:  write_only
        .address_space:  global
        .offset:         16
        .size:           8
        .value_kind:     global_buffer
      - .actual_access:  read_only
        .address_space:  global
        .offset:         24
        .size:           8
        .value_kind:     global_buffer
      - .actual_access:  read_only
        .address_space:  global
        .offset:         32
        .size:           8
        .value_kind:     global_buffer
      - .actual_access:  read_only
        .address_space:  global
        .offset:         40
        .size:           8
        .value_kind:     global_buffer
      - .offset:         48
        .size:           4
        .value_kind:     by_value
      - .offset:         52
        .size:           4
        .value_kind:     by_value
      - .actual_access:  read_only
        .address_space:  global
        .offset:         56
        .size:           8
        .value_kind:     global_buffer
      - .actual_access:  read_only
        .address_space:  global
        .offset:         64
        .size:           8
        .value_kind:     global_buffer
      - .offset:         72
        .size:           4
        .value_kind:     by_value
      - .actual_access:  read_only
        .address_space:  global
        .offset:         80
        .size:           8
        .value_kind:     global_buffer
      - .offset:         88
        .size:           4
        .value_kind:     by_value
      - .offset:         92
        .size:           4
        .value_kind:     by_value
      - .offset:         96
        .size:           4
        .value_kind:     by_value
      - .address_space:  global
        .offset:         104
        .size:           8
        .value_kind:     global_buffer
      - .address_space:  global
        .offset:         112
        .size:           8
        .value_kind:     global_buffer
      - .offset:         120
        .size:           4
        .value_kind:     by_value
      - .offset:         124
        .size:           4
        .value_kind:     by_value
      - .offset:         128
        .size:           4
        .value_kind:     by_value
      - .offset:         132
        .size:           4
        .value_kind:     by_value
      - .offset:         136
        .size:           4
        .value_kind:     by_value
      - .offset:         144
        .size:           4
        .value_kind:     hidden_block_count_x
      - .offset:         148
        .size:           4
        .value_kind:     hidden_block_count_y
      - .offset:         152
        .size:           4
        .value_kind:     hidden_block_count_z
      - .offset:         156
        .size:           2
        .value_kind:     hidden_group_size_x
      - .offset:         158
        .size:           2
        .value_kind:     hidden_group_size_y
      - .offset:         160
        .size:           2
        .value_kind:     hidden_group_size_z
      - .offset:         162
        .size:           2
        .value_kind:     hidden_remainder_x
      - .offset:         164
        .size:           2
        .value_kind:     hidden_remainder_y
      - .offset:         166
        .size:           2
        .value_kind:     hidden_remainder_z
      - .offset:         184
        .size:           8
        .value_kind:     hidden_global_offset_x
      - .offset:         192
        .size:           8
        .value_kind:     hidden_global_offset_y
      - .offset:         200
        .size:           8
        .value_kind:     hidden_global_offset_z
      - .offset:         208
        .size:           2
        .value_kind:     hidden_grid_dims
      - .offset:         264
        .size:           4
        .value_kind:     hidden_dynamic_lds_size
    .group_segment_fixed_size: 256
    .kernarg_segment_align: 8
    .kernarg_segment_size: 400
    .language:       OpenCL C
    .language_version:
      - 2
      - 0
    .max_flat_workgroup_size: 1024
    .name:           _ZN4vllm25paged_attention_v2_kernelI14__hip_bfloat16S1_Li112ELi32ELi128ELNS_18Fp8KVCacheDataTypeE0ELb0ELi512EEEvPfS3_PT_PKS4_PKT0_SA_ifPKiSC_iPKfiiiSE_SE_iiiii
    .private_segment_fixed_size: 272
    .sgpr_count:     46
    .sgpr_spill_count: 0
    .symbol:         _ZN4vllm25paged_attention_v2_kernelI14__hip_bfloat16S1_Li112ELi32ELi128ELNS_18Fp8KVCacheDataTypeE0ELb0ELi512EEEvPfS3_PT_PKS4_PKT0_SA_ifPKiSC_iPKfiiiSE_SE_iiiii.kd
    .uniform_work_group_size: 1
    .uses_dynamic_stack: false
    .vgpr_count:     128
    .vgpr_spill_count: 67
    .wavefront_size: 32
    .workgroup_processor_mode: 1
  - .args:
      - .actual_access:  write_only
        .address_space:  global
        .offset:         0
        .size:           8
        .value_kind:     global_buffer
      - .actual_access:  write_only
        .address_space:  global
        .offset:         8
        .size:           8
        .value_kind:     global_buffer
      - .actual_access:  write_only
        .address_space:  global
        .offset:         16
        .size:           8
        .value_kind:     global_buffer
      - .actual_access:  read_only
        .address_space:  global
        .offset:         24
        .size:           8
        .value_kind:     global_buffer
      - .actual_access:  read_only
        .address_space:  global
        .offset:         32
        .size:           8
        .value_kind:     global_buffer
      - .actual_access:  read_only
        .address_space:  global
        .offset:         40
        .size:           8
        .value_kind:     global_buffer
      - .offset:         48
        .size:           4
        .value_kind:     by_value
      - .offset:         52
        .size:           4
        .value_kind:     by_value
      - .actual_access:  read_only
        .address_space:  global
        .offset:         56
        .size:           8
        .value_kind:     global_buffer
      - .actual_access:  read_only
        .address_space:  global
        .offset:         64
        .size:           8
        .value_kind:     global_buffer
      - .offset:         72
        .size:           4
        .value_kind:     by_value
      - .actual_access:  read_only
        .address_space:  global
        .offset:         80
        .size:           8
        .value_kind:     global_buffer
      - .offset:         88
        .size:           4
        .value_kind:     by_value
      - .offset:         92
        .size:           4
        .value_kind:     by_value
      - .offset:         96
        .size:           4
        .value_kind:     by_value
      - .address_space:  global
        .offset:         104
        .size:           8
        .value_kind:     global_buffer
      - .address_space:  global
        .offset:         112
        .size:           8
        .value_kind:     global_buffer
      - .offset:         120
        .size:           4
        .value_kind:     by_value
      - .offset:         124
        .size:           4
        .value_kind:     by_value
      - .offset:         128
        .size:           4
        .value_kind:     by_value
      - .offset:         132
        .size:           4
        .value_kind:     by_value
      - .offset:         136
        .size:           4
        .value_kind:     by_value
      - .offset:         144
        .size:           4
        .value_kind:     hidden_block_count_x
      - .offset:         148
        .size:           4
        .value_kind:     hidden_block_count_y
      - .offset:         152
        .size:           4
        .value_kind:     hidden_block_count_z
      - .offset:         156
        .size:           2
        .value_kind:     hidden_group_size_x
      - .offset:         158
        .size:           2
        .value_kind:     hidden_group_size_y
      - .offset:         160
        .size:           2
        .value_kind:     hidden_group_size_z
      - .offset:         162
        .size:           2
        .value_kind:     hidden_remainder_x
      - .offset:         164
        .size:           2
        .value_kind:     hidden_remainder_y
      - .offset:         166
        .size:           2
        .value_kind:     hidden_remainder_z
      - .offset:         184
        .size:           8
        .value_kind:     hidden_global_offset_x
      - .offset:         192
        .size:           8
        .value_kind:     hidden_global_offset_y
      - .offset:         200
        .size:           8
        .value_kind:     hidden_global_offset_z
      - .offset:         208
        .size:           2
        .value_kind:     hidden_grid_dims
      - .offset:         264
        .size:           4
        .value_kind:     hidden_dynamic_lds_size
    .group_segment_fixed_size: 272
    .kernarg_segment_align: 8
    .kernarg_segment_size: 400
    .language:       OpenCL C
    .language_version:
      - 2
      - 0
    .max_flat_workgroup_size: 1024
    .name:           _ZN4vllm25paged_attention_v2_kernelI14__hip_bfloat16S1_Li120ELi32ELi128ELNS_18Fp8KVCacheDataTypeE0ELb0ELi512EEEvPfS3_PT_PKS4_PKT0_SA_ifPKiSC_iPKfiiiSE_SE_iiiii
    .private_segment_fixed_size: 300
    .sgpr_count:     46
    .sgpr_spill_count: 0
    .symbol:         _ZN4vllm25paged_attention_v2_kernelI14__hip_bfloat16S1_Li120ELi32ELi128ELNS_18Fp8KVCacheDataTypeE0ELb0ELi512EEEvPfS3_PT_PKS4_PKT0_SA_ifPKiSC_iPKfiiiSE_SE_iiiii.kd
    .uniform_work_group_size: 1
    .uses_dynamic_stack: false
    .vgpr_count:     128
    .vgpr_spill_count: 74
    .wavefront_size: 32
    .workgroup_processor_mode: 1
  - .args:
      - .actual_access:  write_only
        .address_space:  global
        .offset:         0
        .size:           8
        .value_kind:     global_buffer
      - .actual_access:  write_only
        .address_space:  global
        .offset:         8
        .size:           8
        .value_kind:     global_buffer
      - .actual_access:  write_only
        .address_space:  global
        .offset:         16
        .size:           8
        .value_kind:     global_buffer
      - .actual_access:  read_only
        .address_space:  global
        .offset:         24
        .size:           8
        .value_kind:     global_buffer
      - .actual_access:  read_only
        .address_space:  global
        .offset:         32
        .size:           8
        .value_kind:     global_buffer
      - .actual_access:  read_only
        .address_space:  global
        .offset:         40
        .size:           8
        .value_kind:     global_buffer
      - .offset:         48
        .size:           4
        .value_kind:     by_value
      - .offset:         52
        .size:           4
        .value_kind:     by_value
      - .actual_access:  read_only
        .address_space:  global
        .offset:         56
        .size:           8
        .value_kind:     global_buffer
      - .actual_access:  read_only
        .address_space:  global
        .offset:         64
        .size:           8
        .value_kind:     global_buffer
      - .offset:         72
        .size:           4
        .value_kind:     by_value
      - .actual_access:  read_only
        .address_space:  global
        .offset:         80
        .size:           8
        .value_kind:     global_buffer
      - .offset:         88
        .size:           4
        .value_kind:     by_value
      - .offset:         92
        .size:           4
        .value_kind:     by_value
      - .offset:         96
        .size:           4
        .value_kind:     by_value
      - .address_space:  global
        .offset:         104
        .size:           8
        .value_kind:     global_buffer
      - .address_space:  global
        .offset:         112
        .size:           8
        .value_kind:     global_buffer
      - .offset:         120
        .size:           4
        .value_kind:     by_value
      - .offset:         124
        .size:           4
        .value_kind:     by_value
      - .offset:         128
        .size:           4
        .value_kind:     by_value
      - .offset:         132
        .size:           4
        .value_kind:     by_value
      - .offset:         136
        .size:           4
        .value_kind:     by_value
      - .offset:         144
        .size:           4
        .value_kind:     hidden_block_count_x
      - .offset:         148
        .size:           4
        .value_kind:     hidden_block_count_y
      - .offset:         152
        .size:           4
        .value_kind:     hidden_block_count_z
      - .offset:         156
        .size:           2
        .value_kind:     hidden_group_size_x
      - .offset:         158
        .size:           2
        .value_kind:     hidden_group_size_y
      - .offset:         160
        .size:           2
        .value_kind:     hidden_group_size_z
      - .offset:         162
        .size:           2
        .value_kind:     hidden_remainder_x
      - .offset:         164
        .size:           2
        .value_kind:     hidden_remainder_y
      - .offset:         166
        .size:           2
        .value_kind:     hidden_remainder_z
      - .offset:         184
        .size:           8
        .value_kind:     hidden_global_offset_x
      - .offset:         192
        .size:           8
        .value_kind:     hidden_global_offset_y
      - .offset:         200
        .size:           8
        .value_kind:     hidden_global_offset_z
      - .offset:         208
        .size:           2
        .value_kind:     hidden_grid_dims
      - .offset:         264
        .size:           4
        .value_kind:     hidden_dynamic_lds_size
    .group_segment_fixed_size: 288
    .kernarg_segment_align: 8
    .kernarg_segment_size: 400
    .language:       OpenCL C
    .language_version:
      - 2
      - 0
    .max_flat_workgroup_size: 1024
    .name:           _ZN4vllm25paged_attention_v2_kernelI14__hip_bfloat16S1_Li128ELi32ELi128ELNS_18Fp8KVCacheDataTypeE0ELb0ELi512EEEvPfS3_PT_PKS4_PKT0_SA_ifPKiSC_iPKfiiiSE_SE_iiiii
    .private_segment_fixed_size: 332
    .sgpr_count:     46
    .sgpr_spill_count: 0
    .symbol:         _ZN4vllm25paged_attention_v2_kernelI14__hip_bfloat16S1_Li128ELi32ELi128ELNS_18Fp8KVCacheDataTypeE0ELb0ELi512EEEvPfS3_PT_PKS4_PKT0_SA_ifPKiSC_iPKfiiiSE_SE_iiiii.kd
    .uniform_work_group_size: 1
    .uses_dynamic_stack: false
    .vgpr_count:     128
    .vgpr_spill_count: 82
    .wavefront_size: 32
    .workgroup_processor_mode: 1
  - .args:
      - .actual_access:  write_only
        .address_space:  global
        .offset:         0
        .size:           8
        .value_kind:     global_buffer
      - .actual_access:  write_only
        .address_space:  global
        .offset:         8
        .size:           8
        .value_kind:     global_buffer
      - .actual_access:  write_only
        .address_space:  global
        .offset:         16
        .size:           8
        .value_kind:     global_buffer
      - .actual_access:  read_only
        .address_space:  global
        .offset:         24
        .size:           8
        .value_kind:     global_buffer
      - .actual_access:  read_only
        .address_space:  global
        .offset:         32
        .size:           8
        .value_kind:     global_buffer
      - .actual_access:  read_only
        .address_space:  global
        .offset:         40
        .size:           8
        .value_kind:     global_buffer
      - .offset:         48
        .size:           4
        .value_kind:     by_value
      - .offset:         52
        .size:           4
        .value_kind:     by_value
      - .actual_access:  read_only
        .address_space:  global
        .offset:         56
        .size:           8
        .value_kind:     global_buffer
      - .actual_access:  read_only
        .address_space:  global
        .offset:         64
        .size:           8
        .value_kind:     global_buffer
      - .offset:         72
        .size:           4
        .value_kind:     by_value
      - .actual_access:  read_only
        .address_space:  global
        .offset:         80
        .size:           8
        .value_kind:     global_buffer
      - .offset:         88
        .size:           4
        .value_kind:     by_value
      - .offset:         92
        .size:           4
        .value_kind:     by_value
      - .offset:         96
        .size:           4
        .value_kind:     by_value
      - .address_space:  global
        .offset:         104
        .size:           8
        .value_kind:     global_buffer
      - .address_space:  global
        .offset:         112
        .size:           8
        .value_kind:     global_buffer
      - .offset:         120
        .size:           4
        .value_kind:     by_value
      - .offset:         124
        .size:           4
        .value_kind:     by_value
      - .offset:         128
        .size:           4
        .value_kind:     by_value
      - .offset:         132
        .size:           4
        .value_kind:     by_value
      - .offset:         136
        .size:           4
        .value_kind:     by_value
      - .offset:         144
        .size:           4
        .value_kind:     hidden_block_count_x
      - .offset:         148
        .size:           4
        .value_kind:     hidden_block_count_y
      - .offset:         152
        .size:           4
        .value_kind:     hidden_block_count_z
      - .offset:         156
        .size:           2
        .value_kind:     hidden_group_size_x
      - .offset:         158
        .size:           2
        .value_kind:     hidden_group_size_y
      - .offset:         160
        .size:           2
        .value_kind:     hidden_group_size_z
      - .offset:         162
        .size:           2
        .value_kind:     hidden_remainder_x
      - .offset:         164
        .size:           2
        .value_kind:     hidden_remainder_y
      - .offset:         166
        .size:           2
        .value_kind:     hidden_remainder_z
      - .offset:         184
        .size:           8
        .value_kind:     hidden_global_offset_x
      - .offset:         192
        .size:           8
        .value_kind:     hidden_global_offset_y
      - .offset:         200
        .size:           8
        .value_kind:     hidden_global_offset_z
      - .offset:         208
        .size:           2
        .value_kind:     hidden_grid_dims
      - .offset:         264
        .size:           4
        .value_kind:     hidden_dynamic_lds_size
    .group_segment_fixed_size: 416
    .kernarg_segment_align: 8
    .kernarg_segment_size: 400
    .language:       OpenCL C
    .language_version:
      - 2
      - 0
    .max_flat_workgroup_size: 1024
    .name:           _ZN4vllm25paged_attention_v2_kernelI14__hip_bfloat16S1_Li192ELi32ELi128ELNS_18Fp8KVCacheDataTypeE0ELb0ELi512EEEvPfS3_PT_PKS4_PKT0_SA_ifPKiSC_iPKfiiiSE_SE_iiiii
    .private_segment_fixed_size: 592
    .sgpr_count:     46
    .sgpr_spill_count: 0
    .symbol:         _ZN4vllm25paged_attention_v2_kernelI14__hip_bfloat16S1_Li192ELi32ELi128ELNS_18Fp8KVCacheDataTypeE0ELb0ELi512EEEvPfS3_PT_PKS4_PKT0_SA_ifPKiSC_iPKfiiiSE_SE_iiiii.kd
    .uniform_work_group_size: 1
    .uses_dynamic_stack: false
    .vgpr_count:     128
    .vgpr_spill_count: 165
    .wavefront_size: 32
    .workgroup_processor_mode: 1
  - .args:
      - .actual_access:  write_only
        .address_space:  global
        .offset:         0
        .size:           8
        .value_kind:     global_buffer
      - .actual_access:  write_only
        .address_space:  global
        .offset:         8
        .size:           8
        .value_kind:     global_buffer
      - .actual_access:  write_only
        .address_space:  global
        .offset:         16
        .size:           8
        .value_kind:     global_buffer
      - .actual_access:  read_only
        .address_space:  global
        .offset:         24
        .size:           8
        .value_kind:     global_buffer
      - .actual_access:  read_only
        .address_space:  global
        .offset:         32
        .size:           8
        .value_kind:     global_buffer
      - .actual_access:  read_only
        .address_space:  global
        .offset:         40
        .size:           8
        .value_kind:     global_buffer
      - .offset:         48
        .size:           4
        .value_kind:     by_value
      - .offset:         52
        .size:           4
        .value_kind:     by_value
      - .actual_access:  read_only
        .address_space:  global
        .offset:         56
        .size:           8
        .value_kind:     global_buffer
      - .actual_access:  read_only
        .address_space:  global
        .offset:         64
        .size:           8
        .value_kind:     global_buffer
      - .offset:         72
        .size:           4
        .value_kind:     by_value
      - .actual_access:  read_only
        .address_space:  global
        .offset:         80
        .size:           8
        .value_kind:     global_buffer
      - .offset:         88
        .size:           4
        .value_kind:     by_value
      - .offset:         92
        .size:           4
        .value_kind:     by_value
      - .offset:         96
        .size:           4
        .value_kind:     by_value
      - .address_space:  global
        .offset:         104
        .size:           8
        .value_kind:     global_buffer
      - .address_space:  global
        .offset:         112
        .size:           8
        .value_kind:     global_buffer
      - .offset:         120
        .size:           4
        .value_kind:     by_value
      - .offset:         124
        .size:           4
        .value_kind:     by_value
      - .offset:         128
        .size:           4
        .value_kind:     by_value
      - .offset:         132
        .size:           4
        .value_kind:     by_value
      - .offset:         136
        .size:           4
        .value_kind:     by_value
      - .offset:         144
        .size:           4
        .value_kind:     hidden_block_count_x
      - .offset:         148
        .size:           4
        .value_kind:     hidden_block_count_y
      - .offset:         152
        .size:           4
        .value_kind:     hidden_block_count_z
      - .offset:         156
        .size:           2
        .value_kind:     hidden_group_size_x
      - .offset:         158
        .size:           2
        .value_kind:     hidden_group_size_y
      - .offset:         160
        .size:           2
        .value_kind:     hidden_group_size_z
      - .offset:         162
        .size:           2
        .value_kind:     hidden_remainder_x
      - .offset:         164
        .size:           2
        .value_kind:     hidden_remainder_y
      - .offset:         166
        .size:           2
        .value_kind:     hidden_remainder_z
      - .offset:         184
        .size:           8
        .value_kind:     hidden_global_offset_x
      - .offset:         192
        .size:           8
        .value_kind:     hidden_global_offset_y
      - .offset:         200
        .size:           8
        .value_kind:     hidden_global_offset_z
      - .offset:         208
        .size:           2
        .value_kind:     hidden_grid_dims
      - .offset:         264
        .size:           4
        .value_kind:     hidden_dynamic_lds_size
    .group_segment_fixed_size: 544
    .kernarg_segment_align: 8
    .kernarg_segment_size: 400
    .language:       OpenCL C
    .language_version:
      - 2
      - 0
    .max_flat_workgroup_size: 1024
    .name:           _ZN4vllm25paged_attention_v2_kernelI14__hip_bfloat16S1_Li256ELi32ELi128ELNS_18Fp8KVCacheDataTypeE0ELb0ELi512EEEvPfS3_PT_PKS4_PKT0_SA_ifPKiSC_iPKfiiiSE_SE_iiiii
    .private_segment_fixed_size: 908
    .sgpr_count:     46
    .sgpr_spill_count: 0
    .symbol:         _ZN4vllm25paged_attention_v2_kernelI14__hip_bfloat16S1_Li256ELi32ELi128ELNS_18Fp8KVCacheDataTypeE0ELb0ELi512EEEvPfS3_PT_PKS4_PKT0_SA_ifPKiSC_iPKfiiiSE_SE_iiiii.kd
    .uniform_work_group_size: 1
    .uses_dynamic_stack: false
    .vgpr_count:     128
    .vgpr_spill_count: 313
    .wavefront_size: 32
    .workgroup_processor_mode: 1
  - .args:
      - .actual_access:  write_only
        .address_space:  global
        .offset:         0
        .size:           8
        .value_kind:     global_buffer
      - .actual_access:  write_only
        .address_space:  global
        .offset:         8
        .size:           8
        .value_kind:     global_buffer
      - .actual_access:  write_only
        .address_space:  global
        .offset:         16
        .size:           8
        .value_kind:     global_buffer
      - .actual_access:  read_only
        .address_space:  global
        .offset:         24
        .size:           8
        .value_kind:     global_buffer
      - .actual_access:  read_only
        .address_space:  global
        .offset:         32
        .size:           8
        .value_kind:     global_buffer
      - .actual_access:  read_only
        .address_space:  global
        .offset:         40
        .size:           8
        .value_kind:     global_buffer
      - .offset:         48
        .size:           4
        .value_kind:     by_value
      - .offset:         52
        .size:           4
        .value_kind:     by_value
      - .actual_access:  read_only
        .address_space:  global
        .offset:         56
        .size:           8
        .value_kind:     global_buffer
      - .actual_access:  read_only
        .address_space:  global
        .offset:         64
        .size:           8
        .value_kind:     global_buffer
      - .offset:         72
        .size:           4
        .value_kind:     by_value
      - .actual_access:  read_only
        .address_space:  global
        .offset:         80
        .size:           8
        .value_kind:     global_buffer
      - .offset:         88
        .size:           4
        .value_kind:     by_value
      - .offset:         92
        .size:           4
        .value_kind:     by_value
      - .offset:         96
        .size:           4
        .value_kind:     by_value
      - .address_space:  global
        .offset:         104
        .size:           8
        .value_kind:     global_buffer
      - .address_space:  global
        .offset:         112
        .size:           8
        .value_kind:     global_buffer
      - .offset:         120
        .size:           4
        .value_kind:     by_value
      - .offset:         124
        .size:           4
        .value_kind:     by_value
      - .offset:         128
        .size:           4
        .value_kind:     by_value
      - .offset:         132
        .size:           4
        .value_kind:     by_value
      - .offset:         136
        .size:           4
        .value_kind:     by_value
      - .offset:         144
        .size:           4
        .value_kind:     hidden_block_count_x
      - .offset:         148
        .size:           4
        .value_kind:     hidden_block_count_y
      - .offset:         152
        .size:           4
        .value_kind:     hidden_block_count_z
      - .offset:         156
        .size:           2
        .value_kind:     hidden_group_size_x
      - .offset:         158
        .size:           2
        .value_kind:     hidden_group_size_y
      - .offset:         160
        .size:           2
        .value_kind:     hidden_group_size_z
      - .offset:         162
        .size:           2
        .value_kind:     hidden_remainder_x
      - .offset:         164
        .size:           2
        .value_kind:     hidden_remainder_y
      - .offset:         166
        .size:           2
        .value_kind:     hidden_remainder_z
      - .offset:         184
        .size:           8
        .value_kind:     hidden_global_offset_x
      - .offset:         192
        .size:           8
        .value_kind:     hidden_global_offset_y
      - .offset:         200
        .size:           8
        .value_kind:     hidden_global_offset_z
      - .offset:         208
        .size:           2
        .value_kind:     hidden_grid_dims
      - .offset:         264
        .size:           4
        .value_kind:     hidden_dynamic_lds_size
    .group_segment_fixed_size: 160
    .kernarg_segment_align: 8
    .kernarg_segment_size: 400
    .language:       OpenCL C
    .language_version:
      - 2
      - 0
    .max_flat_workgroup_size: 1024
    .name:           _ZN4vllm25paged_attention_v2_kernelIfhLi32ELi8ELi128ELNS_18Fp8KVCacheDataTypeE1ELb1ELi512EEEvPfS2_PT_PKS3_PKT0_S9_ifPKiSB_iPKfiiiSD_SD_iiiii
    .private_segment_fixed_size: 0
    .sgpr_count:     56
    .sgpr_spill_count: 0
    .symbol:         _ZN4vllm25paged_attention_v2_kernelIfhLi32ELi8ELi128ELNS_18Fp8KVCacheDataTypeE1ELb1ELi512EEEvPfS2_PT_PKS3_PKT0_S9_ifPKiSB_iPKfiiiSD_SD_iiiii.kd
    .uniform_work_group_size: 1
    .uses_dynamic_stack: false
    .vgpr_count:     49
    .vgpr_spill_count: 0
    .wavefront_size: 32
    .workgroup_processor_mode: 1
  - .args:
      - .actual_access:  write_only
        .address_space:  global
        .offset:         0
        .size:           8
        .value_kind:     global_buffer
      - .actual_access:  write_only
        .address_space:  global
        .offset:         8
        .size:           8
        .value_kind:     global_buffer
      - .actual_access:  write_only
        .address_space:  global
        .offset:         16
        .size:           8
        .value_kind:     global_buffer
      - .actual_access:  read_only
        .address_space:  global
        .offset:         24
        .size:           8
        .value_kind:     global_buffer
      - .actual_access:  read_only
        .address_space:  global
        .offset:         32
        .size:           8
        .value_kind:     global_buffer
      - .actual_access:  read_only
        .address_space:  global
        .offset:         40
        .size:           8
        .value_kind:     global_buffer
      - .offset:         48
        .size:           4
        .value_kind:     by_value
      - .offset:         52
        .size:           4
        .value_kind:     by_value
      - .actual_access:  read_only
        .address_space:  global
        .offset:         56
        .size:           8
        .value_kind:     global_buffer
      - .actual_access:  read_only
        .address_space:  global
        .offset:         64
        .size:           8
        .value_kind:     global_buffer
      - .offset:         72
        .size:           4
        .value_kind:     by_value
      - .actual_access:  read_only
        .address_space:  global
        .offset:         80
        .size:           8
        .value_kind:     global_buffer
      - .offset:         88
        .size:           4
        .value_kind:     by_value
      - .offset:         92
        .size:           4
        .value_kind:     by_value
      - .offset:         96
        .size:           4
        .value_kind:     by_value
      - .address_space:  global
        .offset:         104
        .size:           8
        .value_kind:     global_buffer
      - .address_space:  global
        .offset:         112
        .size:           8
        .value_kind:     global_buffer
      - .offset:         120
        .size:           4
        .value_kind:     by_value
      - .offset:         124
        .size:           4
        .value_kind:     by_value
      - .offset:         128
        .size:           4
        .value_kind:     by_value
      - .offset:         132
        .size:           4
        .value_kind:     by_value
      - .offset:         136
        .size:           4
        .value_kind:     by_value
      - .offset:         144
        .size:           4
        .value_kind:     hidden_block_count_x
      - .offset:         148
        .size:           4
        .value_kind:     hidden_block_count_y
      - .offset:         152
        .size:           4
        .value_kind:     hidden_block_count_z
      - .offset:         156
        .size:           2
        .value_kind:     hidden_group_size_x
      - .offset:         158
        .size:           2
        .value_kind:     hidden_group_size_y
      - .offset:         160
        .size:           2
        .value_kind:     hidden_group_size_z
      - .offset:         162
        .size:           2
        .value_kind:     hidden_remainder_x
      - .offset:         164
        .size:           2
        .value_kind:     hidden_remainder_y
      - .offset:         166
        .size:           2
        .value_kind:     hidden_remainder_z
      - .offset:         184
        .size:           8
        .value_kind:     hidden_global_offset_x
      - .offset:         192
        .size:           8
        .value_kind:     hidden_global_offset_y
      - .offset:         200
        .size:           8
        .value_kind:     hidden_global_offset_z
      - .offset:         208
        .size:           2
        .value_kind:     hidden_grid_dims
      - .offset:         264
        .size:           4
        .value_kind:     hidden_dynamic_lds_size
    .group_segment_fixed_size: 288
    .kernarg_segment_align: 8
    .kernarg_segment_size: 400
    .language:       OpenCL C
    .language_version:
      - 2
      - 0
    .max_flat_workgroup_size: 1024
    .name:           _ZN4vllm25paged_attention_v2_kernelIfhLi64ELi8ELi128ELNS_18Fp8KVCacheDataTypeE1ELb1ELi512EEEvPfS2_PT_PKS3_PKT0_S9_ifPKiSB_iPKfiiiSD_SD_iiiii
    .private_segment_fixed_size: 0
    .sgpr_count:     56
    .sgpr_spill_count: 0
    .symbol:         _ZN4vllm25paged_attention_v2_kernelIfhLi64ELi8ELi128ELNS_18Fp8KVCacheDataTypeE1ELb1ELi512EEEvPfS2_PT_PKS3_PKT0_S9_ifPKiSB_iPKfiiiSD_SD_iiiii.kd
    .uniform_work_group_size: 1
    .uses_dynamic_stack: false
    .vgpr_count:     61
    .vgpr_spill_count: 0
    .wavefront_size: 32
    .workgroup_processor_mode: 1
  - .args:
      - .actual_access:  write_only
        .address_space:  global
        .offset:         0
        .size:           8
        .value_kind:     global_buffer
      - .actual_access:  write_only
        .address_space:  global
        .offset:         8
        .size:           8
        .value_kind:     global_buffer
      - .actual_access:  write_only
        .address_space:  global
        .offset:         16
        .size:           8
        .value_kind:     global_buffer
      - .actual_access:  read_only
        .address_space:  global
        .offset:         24
        .size:           8
        .value_kind:     global_buffer
      - .actual_access:  read_only
        .address_space:  global
        .offset:         32
        .size:           8
        .value_kind:     global_buffer
      - .actual_access:  read_only
        .address_space:  global
        .offset:         40
        .size:           8
        .value_kind:     global_buffer
      - .offset:         48
        .size:           4
        .value_kind:     by_value
      - .offset:         52
        .size:           4
        .value_kind:     by_value
      - .actual_access:  read_only
        .address_space:  global
        .offset:         56
        .size:           8
        .value_kind:     global_buffer
      - .actual_access:  read_only
        .address_space:  global
        .offset:         64
        .size:           8
        .value_kind:     global_buffer
      - .offset:         72
        .size:           4
        .value_kind:     by_value
      - .actual_access:  read_only
        .address_space:  global
        .offset:         80
        .size:           8
        .value_kind:     global_buffer
      - .offset:         88
        .size:           4
        .value_kind:     by_value
      - .offset:         92
        .size:           4
        .value_kind:     by_value
      - .offset:         96
        .size:           4
        .value_kind:     by_value
      - .address_space:  global
        .offset:         104
        .size:           8
        .value_kind:     global_buffer
      - .address_space:  global
        .offset:         112
        .size:           8
        .value_kind:     global_buffer
      - .offset:         120
        .size:           4
        .value_kind:     by_value
      - .offset:         124
        .size:           4
        .value_kind:     by_value
      - .offset:         128
        .size:           4
        .value_kind:     by_value
      - .offset:         132
        .size:           4
        .value_kind:     by_value
      - .offset:         136
        .size:           4
        .value_kind:     by_value
      - .offset:         144
        .size:           4
        .value_kind:     hidden_block_count_x
      - .offset:         148
        .size:           4
        .value_kind:     hidden_block_count_y
      - .offset:         152
        .size:           4
        .value_kind:     hidden_block_count_z
      - .offset:         156
        .size:           2
        .value_kind:     hidden_group_size_x
      - .offset:         158
        .size:           2
        .value_kind:     hidden_group_size_y
      - .offset:         160
        .size:           2
        .value_kind:     hidden_group_size_z
      - .offset:         162
        .size:           2
        .value_kind:     hidden_remainder_x
      - .offset:         164
        .size:           2
        .value_kind:     hidden_remainder_y
      - .offset:         166
        .size:           2
        .value_kind:     hidden_remainder_z
      - .offset:         184
        .size:           8
        .value_kind:     hidden_global_offset_x
      - .offset:         192
        .size:           8
        .value_kind:     hidden_global_offset_y
      - .offset:         200
        .size:           8
        .value_kind:     hidden_global_offset_z
      - .offset:         208
        .size:           2
        .value_kind:     hidden_grid_dims
      - .offset:         264
        .size:           4
        .value_kind:     hidden_dynamic_lds_size
    .group_segment_fixed_size: 352
    .kernarg_segment_align: 8
    .kernarg_segment_size: 400
    .language:       OpenCL C
    .language_version:
      - 2
      - 0
    .max_flat_workgroup_size: 1024
    .name:           _ZN4vllm25paged_attention_v2_kernelIfhLi80ELi8ELi128ELNS_18Fp8KVCacheDataTypeE1ELb1ELi512EEEvPfS2_PT_PKS3_PKT0_S9_ifPKiSB_iPKfiiiSD_SD_iiiii
    .private_segment_fixed_size: 0
    .sgpr_count:     55
    .sgpr_spill_count: 0
    .symbol:         _ZN4vllm25paged_attention_v2_kernelIfhLi80ELi8ELi128ELNS_18Fp8KVCacheDataTypeE1ELb1ELi512EEEvPfS2_PT_PKS3_PKT0_S9_ifPKiSB_iPKfiiiSD_SD_iiiii.kd
    .uniform_work_group_size: 1
    .uses_dynamic_stack: false
    .vgpr_count:     69
    .vgpr_spill_count: 0
    .wavefront_size: 32
    .workgroup_processor_mode: 1
  - .args:
      - .actual_access:  write_only
        .address_space:  global
        .offset:         0
        .size:           8
        .value_kind:     global_buffer
      - .actual_access:  write_only
        .address_space:  global
        .offset:         8
        .size:           8
        .value_kind:     global_buffer
      - .actual_access:  write_only
        .address_space:  global
        .offset:         16
        .size:           8
        .value_kind:     global_buffer
      - .actual_access:  read_only
        .address_space:  global
        .offset:         24
        .size:           8
        .value_kind:     global_buffer
      - .actual_access:  read_only
        .address_space:  global
        .offset:         32
        .size:           8
        .value_kind:     global_buffer
      - .actual_access:  read_only
        .address_space:  global
        .offset:         40
        .size:           8
        .value_kind:     global_buffer
      - .offset:         48
        .size:           4
        .value_kind:     by_value
      - .offset:         52
        .size:           4
        .value_kind:     by_value
      - .actual_access:  read_only
        .address_space:  global
        .offset:         56
        .size:           8
        .value_kind:     global_buffer
      - .actual_access:  read_only
        .address_space:  global
        .offset:         64
        .size:           8
        .value_kind:     global_buffer
      - .offset:         72
        .size:           4
        .value_kind:     by_value
      - .actual_access:  read_only
        .address_space:  global
        .offset:         80
        .size:           8
        .value_kind:     global_buffer
      - .offset:         88
        .size:           4
        .value_kind:     by_value
      - .offset:         92
        .size:           4
        .value_kind:     by_value
      - .offset:         96
        .size:           4
        .value_kind:     by_value
      - .address_space:  global
        .offset:         104
        .size:           8
        .value_kind:     global_buffer
      - .address_space:  global
        .offset:         112
        .size:           8
        .value_kind:     global_buffer
      - .offset:         120
        .size:           4
        .value_kind:     by_value
      - .offset:         124
        .size:           4
        .value_kind:     by_value
      - .offset:         128
        .size:           4
        .value_kind:     by_value
      - .offset:         132
        .size:           4
        .value_kind:     by_value
      - .offset:         136
        .size:           4
        .value_kind:     by_value
      - .offset:         144
        .size:           4
        .value_kind:     hidden_block_count_x
      - .offset:         148
        .size:           4
        .value_kind:     hidden_block_count_y
      - .offset:         152
        .size:           4
        .value_kind:     hidden_block_count_z
      - .offset:         156
        .size:           2
        .value_kind:     hidden_group_size_x
      - .offset:         158
        .size:           2
        .value_kind:     hidden_group_size_y
      - .offset:         160
        .size:           2
        .value_kind:     hidden_group_size_z
      - .offset:         162
        .size:           2
        .value_kind:     hidden_remainder_x
      - .offset:         164
        .size:           2
        .value_kind:     hidden_remainder_y
      - .offset:         166
        .size:           2
        .value_kind:     hidden_remainder_z
      - .offset:         184
        .size:           8
        .value_kind:     hidden_global_offset_x
      - .offset:         192
        .size:           8
        .value_kind:     hidden_global_offset_y
      - .offset:         200
        .size:           8
        .value_kind:     hidden_global_offset_z
      - .offset:         208
        .size:           2
        .value_kind:     hidden_grid_dims
      - .offset:         264
        .size:           4
        .value_kind:     hidden_dynamic_lds_size
    .group_segment_fixed_size: 416
    .kernarg_segment_align: 8
    .kernarg_segment_size: 400
    .language:       OpenCL C
    .language_version:
      - 2
      - 0
    .max_flat_workgroup_size: 1024
    .name:           _ZN4vllm25paged_attention_v2_kernelIfhLi96ELi8ELi128ELNS_18Fp8KVCacheDataTypeE1ELb1ELi512EEEvPfS2_PT_PKS3_PKT0_S9_ifPKiSB_iPKfiiiSD_SD_iiiii
    .private_segment_fixed_size: 0
    .sgpr_count:     55
    .sgpr_spill_count: 0
    .symbol:         _ZN4vllm25paged_attention_v2_kernelIfhLi96ELi8ELi128ELNS_18Fp8KVCacheDataTypeE1ELb1ELi512EEEvPfS2_PT_PKS3_PKT0_S9_ifPKiSB_iPKfiiiSD_SD_iiiii.kd
    .uniform_work_group_size: 1
    .uses_dynamic_stack: false
    .vgpr_count:     77
    .vgpr_spill_count: 0
    .wavefront_size: 32
    .workgroup_processor_mode: 1
  - .args:
      - .actual_access:  write_only
        .address_space:  global
        .offset:         0
        .size:           8
        .value_kind:     global_buffer
      - .actual_access:  write_only
        .address_space:  global
        .offset:         8
        .size:           8
        .value_kind:     global_buffer
      - .actual_access:  write_only
        .address_space:  global
        .offset:         16
        .size:           8
        .value_kind:     global_buffer
      - .actual_access:  read_only
        .address_space:  global
        .offset:         24
        .size:           8
        .value_kind:     global_buffer
      - .actual_access:  read_only
        .address_space:  global
        .offset:         32
        .size:           8
        .value_kind:     global_buffer
      - .actual_access:  read_only
        .address_space:  global
        .offset:         40
        .size:           8
        .value_kind:     global_buffer
      - .offset:         48
        .size:           4
        .value_kind:     by_value
      - .offset:         52
        .size:           4
        .value_kind:     by_value
      - .actual_access:  read_only
        .address_space:  global
        .offset:         56
        .size:           8
        .value_kind:     global_buffer
      - .actual_access:  read_only
        .address_space:  global
        .offset:         64
        .size:           8
        .value_kind:     global_buffer
      - .offset:         72
        .size:           4
        .value_kind:     by_value
      - .actual_access:  read_only
        .address_space:  global
        .offset:         80
        .size:           8
        .value_kind:     global_buffer
      - .offset:         88
        .size:           4
        .value_kind:     by_value
      - .offset:         92
        .size:           4
        .value_kind:     by_value
      - .offset:         96
        .size:           4
        .value_kind:     by_value
      - .address_space:  global
        .offset:         104
        .size:           8
        .value_kind:     global_buffer
      - .address_space:  global
        .offset:         112
        .size:           8
        .value_kind:     global_buffer
      - .offset:         120
        .size:           4
        .value_kind:     by_value
      - .offset:         124
        .size:           4
        .value_kind:     by_value
      - .offset:         128
        .size:           4
        .value_kind:     by_value
      - .offset:         132
        .size:           4
        .value_kind:     by_value
      - .offset:         136
        .size:           4
        .value_kind:     by_value
      - .offset:         144
        .size:           4
        .value_kind:     hidden_block_count_x
      - .offset:         148
        .size:           4
        .value_kind:     hidden_block_count_y
      - .offset:         152
        .size:           4
        .value_kind:     hidden_block_count_z
      - .offset:         156
        .size:           2
        .value_kind:     hidden_group_size_x
      - .offset:         158
        .size:           2
        .value_kind:     hidden_group_size_y
      - .offset:         160
        .size:           2
        .value_kind:     hidden_group_size_z
      - .offset:         162
        .size:           2
        .value_kind:     hidden_remainder_x
      - .offset:         164
        .size:           2
        .value_kind:     hidden_remainder_y
      - .offset:         166
        .size:           2
        .value_kind:     hidden_remainder_z
      - .offset:         184
        .size:           8
        .value_kind:     hidden_global_offset_x
      - .offset:         192
        .size:           8
        .value_kind:     hidden_global_offset_y
      - .offset:         200
        .size:           8
        .value_kind:     hidden_global_offset_z
      - .offset:         208
        .size:           2
        .value_kind:     hidden_grid_dims
      - .offset:         264
        .size:           4
        .value_kind:     hidden_dynamic_lds_size
    .group_segment_fixed_size: 480
    .kernarg_segment_align: 8
    .kernarg_segment_size: 400
    .language:       OpenCL C
    .language_version:
      - 2
      - 0
    .max_flat_workgroup_size: 1024
    .name:           _ZN4vllm25paged_attention_v2_kernelIfhLi112ELi8ELi128ELNS_18Fp8KVCacheDataTypeE1ELb1ELi512EEEvPfS2_PT_PKS3_PKT0_S9_ifPKiSB_iPKfiiiSD_SD_iiiii
    .private_segment_fixed_size: 0
    .sgpr_count:     55
    .sgpr_spill_count: 0
    .symbol:         _ZN4vllm25paged_attention_v2_kernelIfhLi112ELi8ELi128ELNS_18Fp8KVCacheDataTypeE1ELb1ELi512EEEvPfS2_PT_PKS3_PKT0_S9_ifPKiSB_iPKfiiiSD_SD_iiiii.kd
    .uniform_work_group_size: 1
    .uses_dynamic_stack: false
    .vgpr_count:     85
    .vgpr_spill_count: 0
    .wavefront_size: 32
    .workgroup_processor_mode: 1
  - .args:
      - .actual_access:  write_only
        .address_space:  global
        .offset:         0
        .size:           8
        .value_kind:     global_buffer
      - .actual_access:  write_only
        .address_space:  global
        .offset:         8
        .size:           8
        .value_kind:     global_buffer
      - .actual_access:  write_only
        .address_space:  global
        .offset:         16
        .size:           8
        .value_kind:     global_buffer
      - .actual_access:  read_only
        .address_space:  global
        .offset:         24
        .size:           8
        .value_kind:     global_buffer
      - .actual_access:  read_only
        .address_space:  global
        .offset:         32
        .size:           8
        .value_kind:     global_buffer
      - .actual_access:  read_only
        .address_space:  global
        .offset:         40
        .size:           8
        .value_kind:     global_buffer
      - .offset:         48
        .size:           4
        .value_kind:     by_value
      - .offset:         52
        .size:           4
        .value_kind:     by_value
      - .actual_access:  read_only
        .address_space:  global
        .offset:         56
        .size:           8
        .value_kind:     global_buffer
      - .actual_access:  read_only
        .address_space:  global
        .offset:         64
        .size:           8
        .value_kind:     global_buffer
      - .offset:         72
        .size:           4
        .value_kind:     by_value
      - .actual_access:  read_only
        .address_space:  global
        .offset:         80
        .size:           8
        .value_kind:     global_buffer
      - .offset:         88
        .size:           4
        .value_kind:     by_value
      - .offset:         92
        .size:           4
        .value_kind:     by_value
      - .offset:         96
        .size:           4
        .value_kind:     by_value
      - .address_space:  global
        .offset:         104
        .size:           8
        .value_kind:     global_buffer
      - .address_space:  global
        .offset:         112
        .size:           8
        .value_kind:     global_buffer
      - .offset:         120
        .size:           4
        .value_kind:     by_value
      - .offset:         124
        .size:           4
        .value_kind:     by_value
      - .offset:         128
        .size:           4
        .value_kind:     by_value
      - .offset:         132
        .size:           4
        .value_kind:     by_value
      - .offset:         136
        .size:           4
        .value_kind:     by_value
      - .offset:         144
        .size:           4
        .value_kind:     hidden_block_count_x
      - .offset:         148
        .size:           4
        .value_kind:     hidden_block_count_y
      - .offset:         152
        .size:           4
        .value_kind:     hidden_block_count_z
      - .offset:         156
        .size:           2
        .value_kind:     hidden_group_size_x
      - .offset:         158
        .size:           2
        .value_kind:     hidden_group_size_y
      - .offset:         160
        .size:           2
        .value_kind:     hidden_group_size_z
      - .offset:         162
        .size:           2
        .value_kind:     hidden_remainder_x
      - .offset:         164
        .size:           2
        .value_kind:     hidden_remainder_y
      - .offset:         166
        .size:           2
        .value_kind:     hidden_remainder_z
      - .offset:         184
        .size:           8
        .value_kind:     hidden_global_offset_x
      - .offset:         192
        .size:           8
        .value_kind:     hidden_global_offset_y
      - .offset:         200
        .size:           8
        .value_kind:     hidden_global_offset_z
      - .offset:         208
        .size:           2
        .value_kind:     hidden_grid_dims
      - .offset:         264
        .size:           4
        .value_kind:     hidden_dynamic_lds_size
    .group_segment_fixed_size: 512
    .kernarg_segment_align: 8
    .kernarg_segment_size: 400
    .language:       OpenCL C
    .language_version:
      - 2
      - 0
    .max_flat_workgroup_size: 1024
    .name:           _ZN4vllm25paged_attention_v2_kernelIfhLi120ELi8ELi128ELNS_18Fp8KVCacheDataTypeE1ELb1ELi512EEEvPfS2_PT_PKS3_PKT0_S9_ifPKiSB_iPKfiiiSD_SD_iiiii
    .private_segment_fixed_size: 0
    .sgpr_count:     55
    .sgpr_spill_count: 0
    .symbol:         _ZN4vllm25paged_attention_v2_kernelIfhLi120ELi8ELi128ELNS_18Fp8KVCacheDataTypeE1ELb1ELi512EEEvPfS2_PT_PKS3_PKT0_S9_ifPKiSB_iPKfiiiSD_SD_iiiii.kd
    .uniform_work_group_size: 1
    .uses_dynamic_stack: false
    .vgpr_count:     89
    .vgpr_spill_count: 0
    .wavefront_size: 32
    .workgroup_processor_mode: 1
  - .args:
      - .actual_access:  write_only
        .address_space:  global
        .offset:         0
        .size:           8
        .value_kind:     global_buffer
      - .actual_access:  write_only
        .address_space:  global
        .offset:         8
        .size:           8
        .value_kind:     global_buffer
      - .actual_access:  write_only
        .address_space:  global
        .offset:         16
        .size:           8
        .value_kind:     global_buffer
      - .actual_access:  read_only
        .address_space:  global
        .offset:         24
        .size:           8
        .value_kind:     global_buffer
      - .actual_access:  read_only
        .address_space:  global
        .offset:         32
        .size:           8
        .value_kind:     global_buffer
      - .actual_access:  read_only
        .address_space:  global
        .offset:         40
        .size:           8
        .value_kind:     global_buffer
      - .offset:         48
        .size:           4
        .value_kind:     by_value
      - .offset:         52
        .size:           4
        .value_kind:     by_value
      - .actual_access:  read_only
        .address_space:  global
        .offset:         56
        .size:           8
        .value_kind:     global_buffer
      - .actual_access:  read_only
        .address_space:  global
        .offset:         64
        .size:           8
        .value_kind:     global_buffer
      - .offset:         72
        .size:           4
        .value_kind:     by_value
      - .actual_access:  read_only
        .address_space:  global
        .offset:         80
        .size:           8
        .value_kind:     global_buffer
      - .offset:         88
        .size:           4
        .value_kind:     by_value
      - .offset:         92
        .size:           4
        .value_kind:     by_value
      - .offset:         96
        .size:           4
        .value_kind:     by_value
      - .address_space:  global
        .offset:         104
        .size:           8
        .value_kind:     global_buffer
      - .address_space:  global
        .offset:         112
        .size:           8
        .value_kind:     global_buffer
      - .offset:         120
        .size:           4
        .value_kind:     by_value
      - .offset:         124
        .size:           4
        .value_kind:     by_value
      - .offset:         128
        .size:           4
        .value_kind:     by_value
      - .offset:         132
        .size:           4
        .value_kind:     by_value
      - .offset:         136
        .size:           4
        .value_kind:     by_value
      - .offset:         144
        .size:           4
        .value_kind:     hidden_block_count_x
      - .offset:         148
        .size:           4
        .value_kind:     hidden_block_count_y
      - .offset:         152
        .size:           4
        .value_kind:     hidden_block_count_z
      - .offset:         156
        .size:           2
        .value_kind:     hidden_group_size_x
      - .offset:         158
        .size:           2
        .value_kind:     hidden_group_size_y
      - .offset:         160
        .size:           2
        .value_kind:     hidden_group_size_z
      - .offset:         162
        .size:           2
        .value_kind:     hidden_remainder_x
      - .offset:         164
        .size:           2
        .value_kind:     hidden_remainder_y
      - .offset:         166
        .size:           2
        .value_kind:     hidden_remainder_z
      - .offset:         184
        .size:           8
        .value_kind:     hidden_global_offset_x
      - .offset:         192
        .size:           8
        .value_kind:     hidden_global_offset_y
      - .offset:         200
        .size:           8
        .value_kind:     hidden_global_offset_z
      - .offset:         208
        .size:           2
        .value_kind:     hidden_grid_dims
      - .offset:         264
        .size:           4
        .value_kind:     hidden_dynamic_lds_size
    .group_segment_fixed_size: 544
    .kernarg_segment_align: 8
    .kernarg_segment_size: 400
    .language:       OpenCL C
    .language_version:
      - 2
      - 0
    .max_flat_workgroup_size: 1024
    .name:           _ZN4vllm25paged_attention_v2_kernelIfhLi128ELi8ELi128ELNS_18Fp8KVCacheDataTypeE1ELb1ELi512EEEvPfS2_PT_PKS3_PKT0_S9_ifPKiSB_iPKfiiiSD_SD_iiiii
    .private_segment_fixed_size: 0
    .sgpr_count:     55
    .sgpr_spill_count: 0
    .symbol:         _ZN4vllm25paged_attention_v2_kernelIfhLi128ELi8ELi128ELNS_18Fp8KVCacheDataTypeE1ELb1ELi512EEEvPfS2_PT_PKS3_PKT0_S9_ifPKiSB_iPKfiiiSD_SD_iiiii.kd
    .uniform_work_group_size: 1
    .uses_dynamic_stack: false
    .vgpr_count:     93
    .vgpr_spill_count: 0
    .wavefront_size: 32
    .workgroup_processor_mode: 1
  - .args:
      - .actual_access:  write_only
        .address_space:  global
        .offset:         0
        .size:           8
        .value_kind:     global_buffer
      - .actual_access:  write_only
        .address_space:  global
        .offset:         8
        .size:           8
        .value_kind:     global_buffer
      - .actual_access:  write_only
        .address_space:  global
        .offset:         16
        .size:           8
        .value_kind:     global_buffer
      - .actual_access:  read_only
        .address_space:  global
        .offset:         24
        .size:           8
        .value_kind:     global_buffer
      - .actual_access:  read_only
        .address_space:  global
        .offset:         32
        .size:           8
        .value_kind:     global_buffer
      - .actual_access:  read_only
        .address_space:  global
        .offset:         40
        .size:           8
        .value_kind:     global_buffer
      - .offset:         48
        .size:           4
        .value_kind:     by_value
      - .offset:         52
        .size:           4
        .value_kind:     by_value
      - .actual_access:  read_only
        .address_space:  global
        .offset:         56
        .size:           8
        .value_kind:     global_buffer
      - .actual_access:  read_only
        .address_space:  global
        .offset:         64
        .size:           8
        .value_kind:     global_buffer
      - .offset:         72
        .size:           4
        .value_kind:     by_value
      - .actual_access:  read_only
        .address_space:  global
        .offset:         80
        .size:           8
        .value_kind:     global_buffer
      - .offset:         88
        .size:           4
        .value_kind:     by_value
      - .offset:         92
        .size:           4
        .value_kind:     by_value
      - .offset:         96
        .size:           4
        .value_kind:     by_value
      - .address_space:  global
        .offset:         104
        .size:           8
        .value_kind:     global_buffer
      - .address_space:  global
        .offset:         112
        .size:           8
        .value_kind:     global_buffer
      - .offset:         120
        .size:           4
        .value_kind:     by_value
      - .offset:         124
        .size:           4
        .value_kind:     by_value
      - .offset:         128
        .size:           4
        .value_kind:     by_value
      - .offset:         132
        .size:           4
        .value_kind:     by_value
      - .offset:         136
        .size:           4
        .value_kind:     by_value
      - .offset:         144
        .size:           4
        .value_kind:     hidden_block_count_x
      - .offset:         148
        .size:           4
        .value_kind:     hidden_block_count_y
      - .offset:         152
        .size:           4
        .value_kind:     hidden_block_count_z
      - .offset:         156
        .size:           2
        .value_kind:     hidden_group_size_x
      - .offset:         158
        .size:           2
        .value_kind:     hidden_group_size_y
      - .offset:         160
        .size:           2
        .value_kind:     hidden_group_size_z
      - .offset:         162
        .size:           2
        .value_kind:     hidden_remainder_x
      - .offset:         164
        .size:           2
        .value_kind:     hidden_remainder_y
      - .offset:         166
        .size:           2
        .value_kind:     hidden_remainder_z
      - .offset:         184
        .size:           8
        .value_kind:     hidden_global_offset_x
      - .offset:         192
        .size:           8
        .value_kind:     hidden_global_offset_y
      - .offset:         200
        .size:           8
        .value_kind:     hidden_global_offset_z
      - .offset:         208
        .size:           2
        .value_kind:     hidden_grid_dims
      - .offset:         264
        .size:           4
        .value_kind:     hidden_dynamic_lds_size
    .group_segment_fixed_size: 800
    .kernarg_segment_align: 8
    .kernarg_segment_size: 400
    .language:       OpenCL C
    .language_version:
      - 2
      - 0
    .max_flat_workgroup_size: 1024
    .name:           _ZN4vllm25paged_attention_v2_kernelIfhLi192ELi8ELi128ELNS_18Fp8KVCacheDataTypeE1ELb1ELi512EEEvPfS2_PT_PKS3_PKT0_S9_ifPKiSB_iPKfiiiSD_SD_iiiii
    .private_segment_fixed_size: 0
    .sgpr_count:     55
    .sgpr_spill_count: 0
    .symbol:         _ZN4vllm25paged_attention_v2_kernelIfhLi192ELi8ELi128ELNS_18Fp8KVCacheDataTypeE1ELb1ELi512EEEvPfS2_PT_PKS3_PKT0_S9_ifPKiSB_iPKfiiiSD_SD_iiiii.kd
    .uniform_work_group_size: 1
    .uses_dynamic_stack: false
    .vgpr_count:     125
    .vgpr_spill_count: 0
    .wavefront_size: 32
    .workgroup_processor_mode: 1
  - .args:
      - .actual_access:  write_only
        .address_space:  global
        .offset:         0
        .size:           8
        .value_kind:     global_buffer
      - .actual_access:  write_only
        .address_space:  global
        .offset:         8
        .size:           8
        .value_kind:     global_buffer
      - .actual_access:  write_only
        .address_space:  global
        .offset:         16
        .size:           8
        .value_kind:     global_buffer
      - .actual_access:  read_only
        .address_space:  global
        .offset:         24
        .size:           8
        .value_kind:     global_buffer
      - .actual_access:  read_only
        .address_space:  global
        .offset:         32
        .size:           8
        .value_kind:     global_buffer
      - .actual_access:  read_only
        .address_space:  global
        .offset:         40
        .size:           8
        .value_kind:     global_buffer
      - .offset:         48
        .size:           4
        .value_kind:     by_value
      - .offset:         52
        .size:           4
        .value_kind:     by_value
      - .actual_access:  read_only
        .address_space:  global
        .offset:         56
        .size:           8
        .value_kind:     global_buffer
      - .actual_access:  read_only
        .address_space:  global
        .offset:         64
        .size:           8
        .value_kind:     global_buffer
      - .offset:         72
        .size:           4
        .value_kind:     by_value
      - .actual_access:  read_only
        .address_space:  global
        .offset:         80
        .size:           8
        .value_kind:     global_buffer
      - .offset:         88
        .size:           4
        .value_kind:     by_value
      - .offset:         92
        .size:           4
        .value_kind:     by_value
      - .offset:         96
        .size:           4
        .value_kind:     by_value
      - .address_space:  global
        .offset:         104
        .size:           8
        .value_kind:     global_buffer
      - .address_space:  global
        .offset:         112
        .size:           8
        .value_kind:     global_buffer
      - .offset:         120
        .size:           4
        .value_kind:     by_value
      - .offset:         124
        .size:           4
        .value_kind:     by_value
      - .offset:         128
        .size:           4
        .value_kind:     by_value
      - .offset:         132
        .size:           4
        .value_kind:     by_value
      - .offset:         136
        .size:           4
        .value_kind:     by_value
      - .offset:         144
        .size:           4
        .value_kind:     hidden_block_count_x
      - .offset:         148
        .size:           4
        .value_kind:     hidden_block_count_y
      - .offset:         152
        .size:           4
        .value_kind:     hidden_block_count_z
      - .offset:         156
        .size:           2
        .value_kind:     hidden_group_size_x
      - .offset:         158
        .size:           2
        .value_kind:     hidden_group_size_y
      - .offset:         160
        .size:           2
        .value_kind:     hidden_group_size_z
      - .offset:         162
        .size:           2
        .value_kind:     hidden_remainder_x
      - .offset:         164
        .size:           2
        .value_kind:     hidden_remainder_y
      - .offset:         166
        .size:           2
        .value_kind:     hidden_remainder_z
      - .offset:         184
        .size:           8
        .value_kind:     hidden_global_offset_x
      - .offset:         192
        .size:           8
        .value_kind:     hidden_global_offset_y
      - .offset:         200
        .size:           8
        .value_kind:     hidden_global_offset_z
      - .offset:         208
        .size:           2
        .value_kind:     hidden_grid_dims
      - .offset:         264
        .size:           4
        .value_kind:     hidden_dynamic_lds_size
    .group_segment_fixed_size: 1056
    .kernarg_segment_align: 8
    .kernarg_segment_size: 400
    .language:       OpenCL C
    .language_version:
      - 2
      - 0
    .max_flat_workgroup_size: 1024
    .name:           _ZN4vllm25paged_attention_v2_kernelIfhLi256ELi8ELi128ELNS_18Fp8KVCacheDataTypeE1ELb1ELi512EEEvPfS2_PT_PKS3_PKT0_S9_ifPKiSB_iPKfiiiSD_SD_iiiii
    .private_segment_fixed_size: 56
    .sgpr_count:     62
    .sgpr_spill_count: 0
    .symbol:         _ZN4vllm25paged_attention_v2_kernelIfhLi256ELi8ELi128ELNS_18Fp8KVCacheDataTypeE1ELb1ELi512EEEvPfS2_PT_PKS3_PKT0_S9_ifPKiSB_iPKfiiiSD_SD_iiiii.kd
    .uniform_work_group_size: 1
    .uses_dynamic_stack: false
    .vgpr_count:     128
    .vgpr_spill_count: 22
    .wavefront_size: 32
    .workgroup_processor_mode: 1
  - .args:
      - .actual_access:  write_only
        .address_space:  global
        .offset:         0
        .size:           8
        .value_kind:     global_buffer
      - .actual_access:  write_only
        .address_space:  global
        .offset:         8
        .size:           8
        .value_kind:     global_buffer
      - .actual_access:  write_only
        .address_space:  global
        .offset:         16
        .size:           8
        .value_kind:     global_buffer
      - .actual_access:  read_only
        .address_space:  global
        .offset:         24
        .size:           8
        .value_kind:     global_buffer
      - .actual_access:  read_only
        .address_space:  global
        .offset:         32
        .size:           8
        .value_kind:     global_buffer
      - .actual_access:  read_only
        .address_space:  global
        .offset:         40
        .size:           8
        .value_kind:     global_buffer
      - .offset:         48
        .size:           4
        .value_kind:     by_value
      - .offset:         52
        .size:           4
        .value_kind:     by_value
      - .actual_access:  read_only
        .address_space:  global
        .offset:         56
        .size:           8
        .value_kind:     global_buffer
      - .actual_access:  read_only
        .address_space:  global
        .offset:         64
        .size:           8
        .value_kind:     global_buffer
      - .offset:         72
        .size:           4
        .value_kind:     by_value
      - .actual_access:  read_only
        .address_space:  global
        .offset:         80
        .size:           8
        .value_kind:     global_buffer
      - .offset:         88
        .size:           4
        .value_kind:     by_value
      - .offset:         92
        .size:           4
        .value_kind:     by_value
      - .offset:         96
        .size:           4
        .value_kind:     by_value
      - .address_space:  global
        .offset:         104
        .size:           8
        .value_kind:     global_buffer
      - .address_space:  global
        .offset:         112
        .size:           8
        .value_kind:     global_buffer
      - .offset:         120
        .size:           4
        .value_kind:     by_value
      - .offset:         124
        .size:           4
        .value_kind:     by_value
      - .offset:         128
        .size:           4
        .value_kind:     by_value
      - .offset:         132
        .size:           4
        .value_kind:     by_value
      - .offset:         136
        .size:           4
        .value_kind:     by_value
      - .offset:         144
        .size:           4
        .value_kind:     hidden_block_count_x
      - .offset:         148
        .size:           4
        .value_kind:     hidden_block_count_y
      - .offset:         152
        .size:           4
        .value_kind:     hidden_block_count_z
      - .offset:         156
        .size:           2
        .value_kind:     hidden_group_size_x
      - .offset:         158
        .size:           2
        .value_kind:     hidden_group_size_y
      - .offset:         160
        .size:           2
        .value_kind:     hidden_group_size_z
      - .offset:         162
        .size:           2
        .value_kind:     hidden_remainder_x
      - .offset:         164
        .size:           2
        .value_kind:     hidden_remainder_y
      - .offset:         166
        .size:           2
        .value_kind:     hidden_remainder_z
      - .offset:         184
        .size:           8
        .value_kind:     hidden_global_offset_x
      - .offset:         192
        .size:           8
        .value_kind:     hidden_global_offset_y
      - .offset:         200
        .size:           8
        .value_kind:     hidden_global_offset_z
      - .offset:         208
        .size:           2
        .value_kind:     hidden_grid_dims
      - .offset:         264
        .size:           4
        .value_kind:     hidden_dynamic_lds_size
    .group_segment_fixed_size: 160
    .kernarg_segment_align: 8
    .kernarg_segment_size: 400
    .language:       OpenCL C
    .language_version:
      - 2
      - 0
    .max_flat_workgroup_size: 1024
    .name:           _ZN4vllm25paged_attention_v2_kernelIfhLi32ELi8ELi128ELNS_18Fp8KVCacheDataTypeE1ELb0ELi512EEEvPfS2_PT_PKS3_PKT0_S9_ifPKiSB_iPKfiiiSD_SD_iiiii
    .private_segment_fixed_size: 0
    .sgpr_count:     45
    .sgpr_spill_count: 0
    .symbol:         _ZN4vllm25paged_attention_v2_kernelIfhLi32ELi8ELi128ELNS_18Fp8KVCacheDataTypeE1ELb0ELi512EEEvPfS2_PT_PKS3_PKT0_S9_ifPKiSB_iPKfiiiSD_SD_iiiii.kd
    .uniform_work_group_size: 1
    .uses_dynamic_stack: false
    .vgpr_count:     46
    .vgpr_spill_count: 0
    .wavefront_size: 32
    .workgroup_processor_mode: 1
  - .args:
      - .actual_access:  write_only
        .address_space:  global
        .offset:         0
        .size:           8
        .value_kind:     global_buffer
      - .actual_access:  write_only
        .address_space:  global
        .offset:         8
        .size:           8
        .value_kind:     global_buffer
      - .actual_access:  write_only
        .address_space:  global
        .offset:         16
        .size:           8
        .value_kind:     global_buffer
      - .actual_access:  read_only
        .address_space:  global
        .offset:         24
        .size:           8
        .value_kind:     global_buffer
      - .actual_access:  read_only
        .address_space:  global
        .offset:         32
        .size:           8
        .value_kind:     global_buffer
      - .actual_access:  read_only
        .address_space:  global
        .offset:         40
        .size:           8
        .value_kind:     global_buffer
      - .offset:         48
        .size:           4
        .value_kind:     by_value
      - .offset:         52
        .size:           4
        .value_kind:     by_value
      - .actual_access:  read_only
        .address_space:  global
        .offset:         56
        .size:           8
        .value_kind:     global_buffer
      - .actual_access:  read_only
        .address_space:  global
        .offset:         64
        .size:           8
        .value_kind:     global_buffer
      - .offset:         72
        .size:           4
        .value_kind:     by_value
      - .actual_access:  read_only
        .address_space:  global
        .offset:         80
        .size:           8
        .value_kind:     global_buffer
      - .offset:         88
        .size:           4
        .value_kind:     by_value
      - .offset:         92
        .size:           4
        .value_kind:     by_value
      - .offset:         96
        .size:           4
        .value_kind:     by_value
      - .address_space:  global
        .offset:         104
        .size:           8
        .value_kind:     global_buffer
      - .address_space:  global
        .offset:         112
        .size:           8
        .value_kind:     global_buffer
      - .offset:         120
        .size:           4
        .value_kind:     by_value
      - .offset:         124
        .size:           4
        .value_kind:     by_value
      - .offset:         128
        .size:           4
        .value_kind:     by_value
      - .offset:         132
        .size:           4
        .value_kind:     by_value
      - .offset:         136
        .size:           4
        .value_kind:     by_value
      - .offset:         144
        .size:           4
        .value_kind:     hidden_block_count_x
      - .offset:         148
        .size:           4
        .value_kind:     hidden_block_count_y
      - .offset:         152
        .size:           4
        .value_kind:     hidden_block_count_z
      - .offset:         156
        .size:           2
        .value_kind:     hidden_group_size_x
      - .offset:         158
        .size:           2
        .value_kind:     hidden_group_size_y
      - .offset:         160
        .size:           2
        .value_kind:     hidden_group_size_z
      - .offset:         162
        .size:           2
        .value_kind:     hidden_remainder_x
      - .offset:         164
        .size:           2
        .value_kind:     hidden_remainder_y
      - .offset:         166
        .size:           2
        .value_kind:     hidden_remainder_z
      - .offset:         184
        .size:           8
        .value_kind:     hidden_global_offset_x
      - .offset:         192
        .size:           8
        .value_kind:     hidden_global_offset_y
      - .offset:         200
        .size:           8
        .value_kind:     hidden_global_offset_z
      - .offset:         208
        .size:           2
        .value_kind:     hidden_grid_dims
      - .offset:         264
        .size:           4
        .value_kind:     hidden_dynamic_lds_size
    .group_segment_fixed_size: 288
    .kernarg_segment_align: 8
    .kernarg_segment_size: 400
    .language:       OpenCL C
    .language_version:
      - 2
      - 0
    .max_flat_workgroup_size: 1024
    .name:           _ZN4vllm25paged_attention_v2_kernelIfhLi64ELi8ELi128ELNS_18Fp8KVCacheDataTypeE1ELb0ELi512EEEvPfS2_PT_PKS3_PKT0_S9_ifPKiSB_iPKfiiiSD_SD_iiiii
    .private_segment_fixed_size: 0
    .sgpr_count:     45
    .sgpr_spill_count: 0
    .symbol:         _ZN4vllm25paged_attention_v2_kernelIfhLi64ELi8ELi128ELNS_18Fp8KVCacheDataTypeE1ELb0ELi512EEEvPfS2_PT_PKS3_PKT0_S9_ifPKiSB_iPKfiiiSD_SD_iiiii.kd
    .uniform_work_group_size: 1
    .uses_dynamic_stack: false
    .vgpr_count:     58
    .vgpr_spill_count: 0
    .wavefront_size: 32
    .workgroup_processor_mode: 1
  - .args:
      - .actual_access:  write_only
        .address_space:  global
        .offset:         0
        .size:           8
        .value_kind:     global_buffer
      - .actual_access:  write_only
        .address_space:  global
        .offset:         8
        .size:           8
        .value_kind:     global_buffer
      - .actual_access:  write_only
        .address_space:  global
        .offset:         16
        .size:           8
        .value_kind:     global_buffer
      - .actual_access:  read_only
        .address_space:  global
        .offset:         24
        .size:           8
        .value_kind:     global_buffer
      - .actual_access:  read_only
        .address_space:  global
        .offset:         32
        .size:           8
        .value_kind:     global_buffer
      - .actual_access:  read_only
        .address_space:  global
        .offset:         40
        .size:           8
        .value_kind:     global_buffer
      - .offset:         48
        .size:           4
        .value_kind:     by_value
      - .offset:         52
        .size:           4
        .value_kind:     by_value
      - .actual_access:  read_only
        .address_space:  global
        .offset:         56
        .size:           8
        .value_kind:     global_buffer
      - .actual_access:  read_only
        .address_space:  global
        .offset:         64
        .size:           8
        .value_kind:     global_buffer
      - .offset:         72
        .size:           4
        .value_kind:     by_value
      - .actual_access:  read_only
        .address_space:  global
        .offset:         80
        .size:           8
        .value_kind:     global_buffer
      - .offset:         88
        .size:           4
        .value_kind:     by_value
      - .offset:         92
        .size:           4
        .value_kind:     by_value
      - .offset:         96
        .size:           4
        .value_kind:     by_value
      - .address_space:  global
        .offset:         104
        .size:           8
        .value_kind:     global_buffer
      - .address_space:  global
        .offset:         112
        .size:           8
        .value_kind:     global_buffer
      - .offset:         120
        .size:           4
        .value_kind:     by_value
      - .offset:         124
        .size:           4
        .value_kind:     by_value
      - .offset:         128
        .size:           4
        .value_kind:     by_value
      - .offset:         132
        .size:           4
        .value_kind:     by_value
      - .offset:         136
        .size:           4
        .value_kind:     by_value
      - .offset:         144
        .size:           4
        .value_kind:     hidden_block_count_x
      - .offset:         148
        .size:           4
        .value_kind:     hidden_block_count_y
      - .offset:         152
        .size:           4
        .value_kind:     hidden_block_count_z
      - .offset:         156
        .size:           2
        .value_kind:     hidden_group_size_x
      - .offset:         158
        .size:           2
        .value_kind:     hidden_group_size_y
      - .offset:         160
        .size:           2
        .value_kind:     hidden_group_size_z
      - .offset:         162
        .size:           2
        .value_kind:     hidden_remainder_x
      - .offset:         164
        .size:           2
        .value_kind:     hidden_remainder_y
      - .offset:         166
        .size:           2
        .value_kind:     hidden_remainder_z
      - .offset:         184
        .size:           8
        .value_kind:     hidden_global_offset_x
      - .offset:         192
        .size:           8
        .value_kind:     hidden_global_offset_y
      - .offset:         200
        .size:           8
        .value_kind:     hidden_global_offset_z
      - .offset:         208
        .size:           2
        .value_kind:     hidden_grid_dims
      - .offset:         264
        .size:           4
        .value_kind:     hidden_dynamic_lds_size
    .group_segment_fixed_size: 352
    .kernarg_segment_align: 8
    .kernarg_segment_size: 400
    .language:       OpenCL C
    .language_version:
      - 2
      - 0
    .max_flat_workgroup_size: 1024
    .name:           _ZN4vllm25paged_attention_v2_kernelIfhLi80ELi8ELi128ELNS_18Fp8KVCacheDataTypeE1ELb0ELi512EEEvPfS2_PT_PKS3_PKT0_S9_ifPKiSB_iPKfiiiSD_SD_iiiii
    .private_segment_fixed_size: 0
    .sgpr_count:     44
    .sgpr_spill_count: 0
    .symbol:         _ZN4vllm25paged_attention_v2_kernelIfhLi80ELi8ELi128ELNS_18Fp8KVCacheDataTypeE1ELb0ELi512EEEvPfS2_PT_PKS3_PKT0_S9_ifPKiSB_iPKfiiiSD_SD_iiiii.kd
    .uniform_work_group_size: 1
    .uses_dynamic_stack: false
    .vgpr_count:     66
    .vgpr_spill_count: 0
    .wavefront_size: 32
    .workgroup_processor_mode: 1
  - .args:
      - .actual_access:  write_only
        .address_space:  global
        .offset:         0
        .size:           8
        .value_kind:     global_buffer
      - .actual_access:  write_only
        .address_space:  global
        .offset:         8
        .size:           8
        .value_kind:     global_buffer
      - .actual_access:  write_only
        .address_space:  global
        .offset:         16
        .size:           8
        .value_kind:     global_buffer
      - .actual_access:  read_only
        .address_space:  global
        .offset:         24
        .size:           8
        .value_kind:     global_buffer
      - .actual_access:  read_only
        .address_space:  global
        .offset:         32
        .size:           8
        .value_kind:     global_buffer
      - .actual_access:  read_only
        .address_space:  global
        .offset:         40
        .size:           8
        .value_kind:     global_buffer
      - .offset:         48
        .size:           4
        .value_kind:     by_value
      - .offset:         52
        .size:           4
        .value_kind:     by_value
      - .actual_access:  read_only
        .address_space:  global
        .offset:         56
        .size:           8
        .value_kind:     global_buffer
      - .actual_access:  read_only
        .address_space:  global
        .offset:         64
        .size:           8
        .value_kind:     global_buffer
      - .offset:         72
        .size:           4
        .value_kind:     by_value
      - .actual_access:  read_only
        .address_space:  global
        .offset:         80
        .size:           8
        .value_kind:     global_buffer
      - .offset:         88
        .size:           4
        .value_kind:     by_value
      - .offset:         92
        .size:           4
        .value_kind:     by_value
      - .offset:         96
        .size:           4
        .value_kind:     by_value
      - .address_space:  global
        .offset:         104
        .size:           8
        .value_kind:     global_buffer
      - .address_space:  global
        .offset:         112
        .size:           8
        .value_kind:     global_buffer
      - .offset:         120
        .size:           4
        .value_kind:     by_value
      - .offset:         124
        .size:           4
        .value_kind:     by_value
      - .offset:         128
        .size:           4
        .value_kind:     by_value
      - .offset:         132
        .size:           4
        .value_kind:     by_value
      - .offset:         136
        .size:           4
        .value_kind:     by_value
      - .offset:         144
        .size:           4
        .value_kind:     hidden_block_count_x
      - .offset:         148
        .size:           4
        .value_kind:     hidden_block_count_y
      - .offset:         152
        .size:           4
        .value_kind:     hidden_block_count_z
      - .offset:         156
        .size:           2
        .value_kind:     hidden_group_size_x
      - .offset:         158
        .size:           2
        .value_kind:     hidden_group_size_y
      - .offset:         160
        .size:           2
        .value_kind:     hidden_group_size_z
      - .offset:         162
        .size:           2
        .value_kind:     hidden_remainder_x
      - .offset:         164
        .size:           2
        .value_kind:     hidden_remainder_y
      - .offset:         166
        .size:           2
        .value_kind:     hidden_remainder_z
      - .offset:         184
        .size:           8
        .value_kind:     hidden_global_offset_x
      - .offset:         192
        .size:           8
        .value_kind:     hidden_global_offset_y
      - .offset:         200
        .size:           8
        .value_kind:     hidden_global_offset_z
      - .offset:         208
        .size:           2
        .value_kind:     hidden_grid_dims
      - .offset:         264
        .size:           4
        .value_kind:     hidden_dynamic_lds_size
    .group_segment_fixed_size: 416
    .kernarg_segment_align: 8
    .kernarg_segment_size: 400
    .language:       OpenCL C
    .language_version:
      - 2
      - 0
    .max_flat_workgroup_size: 1024
    .name:           _ZN4vllm25paged_attention_v2_kernelIfhLi96ELi8ELi128ELNS_18Fp8KVCacheDataTypeE1ELb0ELi512EEEvPfS2_PT_PKS3_PKT0_S9_ifPKiSB_iPKfiiiSD_SD_iiiii
    .private_segment_fixed_size: 0
    .sgpr_count:     44
    .sgpr_spill_count: 0
    .symbol:         _ZN4vllm25paged_attention_v2_kernelIfhLi96ELi8ELi128ELNS_18Fp8KVCacheDataTypeE1ELb0ELi512EEEvPfS2_PT_PKS3_PKT0_S9_ifPKiSB_iPKfiiiSD_SD_iiiii.kd
    .uniform_work_group_size: 1
    .uses_dynamic_stack: false
    .vgpr_count:     74
    .vgpr_spill_count: 0
    .wavefront_size: 32
    .workgroup_processor_mode: 1
  - .args:
      - .actual_access:  write_only
        .address_space:  global
        .offset:         0
        .size:           8
        .value_kind:     global_buffer
      - .actual_access:  write_only
        .address_space:  global
        .offset:         8
        .size:           8
        .value_kind:     global_buffer
      - .actual_access:  write_only
        .address_space:  global
        .offset:         16
        .size:           8
        .value_kind:     global_buffer
      - .actual_access:  read_only
        .address_space:  global
        .offset:         24
        .size:           8
        .value_kind:     global_buffer
      - .actual_access:  read_only
        .address_space:  global
        .offset:         32
        .size:           8
        .value_kind:     global_buffer
      - .actual_access:  read_only
        .address_space:  global
        .offset:         40
        .size:           8
        .value_kind:     global_buffer
      - .offset:         48
        .size:           4
        .value_kind:     by_value
      - .offset:         52
        .size:           4
        .value_kind:     by_value
      - .actual_access:  read_only
        .address_space:  global
        .offset:         56
        .size:           8
        .value_kind:     global_buffer
      - .actual_access:  read_only
        .address_space:  global
        .offset:         64
        .size:           8
        .value_kind:     global_buffer
      - .offset:         72
        .size:           4
        .value_kind:     by_value
      - .actual_access:  read_only
        .address_space:  global
        .offset:         80
        .size:           8
        .value_kind:     global_buffer
      - .offset:         88
        .size:           4
        .value_kind:     by_value
      - .offset:         92
        .size:           4
        .value_kind:     by_value
      - .offset:         96
        .size:           4
        .value_kind:     by_value
      - .address_space:  global
        .offset:         104
        .size:           8
        .value_kind:     global_buffer
      - .address_space:  global
        .offset:         112
        .size:           8
        .value_kind:     global_buffer
      - .offset:         120
        .size:           4
        .value_kind:     by_value
      - .offset:         124
        .size:           4
        .value_kind:     by_value
      - .offset:         128
        .size:           4
        .value_kind:     by_value
      - .offset:         132
        .size:           4
        .value_kind:     by_value
      - .offset:         136
        .size:           4
        .value_kind:     by_value
      - .offset:         144
        .size:           4
        .value_kind:     hidden_block_count_x
      - .offset:         148
        .size:           4
        .value_kind:     hidden_block_count_y
      - .offset:         152
        .size:           4
        .value_kind:     hidden_block_count_z
      - .offset:         156
        .size:           2
        .value_kind:     hidden_group_size_x
      - .offset:         158
        .size:           2
        .value_kind:     hidden_group_size_y
      - .offset:         160
        .size:           2
        .value_kind:     hidden_group_size_z
      - .offset:         162
        .size:           2
        .value_kind:     hidden_remainder_x
      - .offset:         164
        .size:           2
        .value_kind:     hidden_remainder_y
      - .offset:         166
        .size:           2
        .value_kind:     hidden_remainder_z
      - .offset:         184
        .size:           8
        .value_kind:     hidden_global_offset_x
      - .offset:         192
        .size:           8
        .value_kind:     hidden_global_offset_y
      - .offset:         200
        .size:           8
        .value_kind:     hidden_global_offset_z
      - .offset:         208
        .size:           2
        .value_kind:     hidden_grid_dims
      - .offset:         264
        .size:           4
        .value_kind:     hidden_dynamic_lds_size
    .group_segment_fixed_size: 480
    .kernarg_segment_align: 8
    .kernarg_segment_size: 400
    .language:       OpenCL C
    .language_version:
      - 2
      - 0
    .max_flat_workgroup_size: 1024
    .name:           _ZN4vllm25paged_attention_v2_kernelIfhLi112ELi8ELi128ELNS_18Fp8KVCacheDataTypeE1ELb0ELi512EEEvPfS2_PT_PKS3_PKT0_S9_ifPKiSB_iPKfiiiSD_SD_iiiii
    .private_segment_fixed_size: 0
    .sgpr_count:     44
    .sgpr_spill_count: 0
    .symbol:         _ZN4vllm25paged_attention_v2_kernelIfhLi112ELi8ELi128ELNS_18Fp8KVCacheDataTypeE1ELb0ELi512EEEvPfS2_PT_PKS3_PKT0_S9_ifPKiSB_iPKfiiiSD_SD_iiiii.kd
    .uniform_work_group_size: 1
    .uses_dynamic_stack: false
    .vgpr_count:     82
    .vgpr_spill_count: 0
    .wavefront_size: 32
    .workgroup_processor_mode: 1
  - .args:
      - .actual_access:  write_only
        .address_space:  global
        .offset:         0
        .size:           8
        .value_kind:     global_buffer
      - .actual_access:  write_only
        .address_space:  global
        .offset:         8
        .size:           8
        .value_kind:     global_buffer
      - .actual_access:  write_only
        .address_space:  global
        .offset:         16
        .size:           8
        .value_kind:     global_buffer
      - .actual_access:  read_only
        .address_space:  global
        .offset:         24
        .size:           8
        .value_kind:     global_buffer
      - .actual_access:  read_only
        .address_space:  global
        .offset:         32
        .size:           8
        .value_kind:     global_buffer
      - .actual_access:  read_only
        .address_space:  global
        .offset:         40
        .size:           8
        .value_kind:     global_buffer
      - .offset:         48
        .size:           4
        .value_kind:     by_value
      - .offset:         52
        .size:           4
        .value_kind:     by_value
      - .actual_access:  read_only
        .address_space:  global
        .offset:         56
        .size:           8
        .value_kind:     global_buffer
      - .actual_access:  read_only
        .address_space:  global
        .offset:         64
        .size:           8
        .value_kind:     global_buffer
      - .offset:         72
        .size:           4
        .value_kind:     by_value
      - .actual_access:  read_only
        .address_space:  global
        .offset:         80
        .size:           8
        .value_kind:     global_buffer
      - .offset:         88
        .size:           4
        .value_kind:     by_value
      - .offset:         92
        .size:           4
        .value_kind:     by_value
      - .offset:         96
        .size:           4
        .value_kind:     by_value
      - .address_space:  global
        .offset:         104
        .size:           8
        .value_kind:     global_buffer
      - .address_space:  global
        .offset:         112
        .size:           8
        .value_kind:     global_buffer
      - .offset:         120
        .size:           4
        .value_kind:     by_value
      - .offset:         124
        .size:           4
        .value_kind:     by_value
      - .offset:         128
        .size:           4
        .value_kind:     by_value
      - .offset:         132
        .size:           4
        .value_kind:     by_value
      - .offset:         136
        .size:           4
        .value_kind:     by_value
      - .offset:         144
        .size:           4
        .value_kind:     hidden_block_count_x
      - .offset:         148
        .size:           4
        .value_kind:     hidden_block_count_y
      - .offset:         152
        .size:           4
        .value_kind:     hidden_block_count_z
      - .offset:         156
        .size:           2
        .value_kind:     hidden_group_size_x
      - .offset:         158
        .size:           2
        .value_kind:     hidden_group_size_y
      - .offset:         160
        .size:           2
        .value_kind:     hidden_group_size_z
      - .offset:         162
        .size:           2
        .value_kind:     hidden_remainder_x
      - .offset:         164
        .size:           2
        .value_kind:     hidden_remainder_y
      - .offset:         166
        .size:           2
        .value_kind:     hidden_remainder_z
      - .offset:         184
        .size:           8
        .value_kind:     hidden_global_offset_x
      - .offset:         192
        .size:           8
        .value_kind:     hidden_global_offset_y
      - .offset:         200
        .size:           8
        .value_kind:     hidden_global_offset_z
      - .offset:         208
        .size:           2
        .value_kind:     hidden_grid_dims
      - .offset:         264
        .size:           4
        .value_kind:     hidden_dynamic_lds_size
    .group_segment_fixed_size: 512
    .kernarg_segment_align: 8
    .kernarg_segment_size: 400
    .language:       OpenCL C
    .language_version:
      - 2
      - 0
    .max_flat_workgroup_size: 1024
    .name:           _ZN4vllm25paged_attention_v2_kernelIfhLi120ELi8ELi128ELNS_18Fp8KVCacheDataTypeE1ELb0ELi512EEEvPfS2_PT_PKS3_PKT0_S9_ifPKiSB_iPKfiiiSD_SD_iiiii
    .private_segment_fixed_size: 0
    .sgpr_count:     44
    .sgpr_spill_count: 0
    .symbol:         _ZN4vllm25paged_attention_v2_kernelIfhLi120ELi8ELi128ELNS_18Fp8KVCacheDataTypeE1ELb0ELi512EEEvPfS2_PT_PKS3_PKT0_S9_ifPKiSB_iPKfiiiSD_SD_iiiii.kd
    .uniform_work_group_size: 1
    .uses_dynamic_stack: false
    .vgpr_count:     86
    .vgpr_spill_count: 0
    .wavefront_size: 32
    .workgroup_processor_mode: 1
  - .args:
      - .actual_access:  write_only
        .address_space:  global
        .offset:         0
        .size:           8
        .value_kind:     global_buffer
      - .actual_access:  write_only
        .address_space:  global
        .offset:         8
        .size:           8
        .value_kind:     global_buffer
      - .actual_access:  write_only
        .address_space:  global
        .offset:         16
        .size:           8
        .value_kind:     global_buffer
      - .actual_access:  read_only
        .address_space:  global
        .offset:         24
        .size:           8
        .value_kind:     global_buffer
      - .actual_access:  read_only
        .address_space:  global
        .offset:         32
        .size:           8
        .value_kind:     global_buffer
      - .actual_access:  read_only
        .address_space:  global
        .offset:         40
        .size:           8
        .value_kind:     global_buffer
      - .offset:         48
        .size:           4
        .value_kind:     by_value
      - .offset:         52
        .size:           4
        .value_kind:     by_value
      - .actual_access:  read_only
        .address_space:  global
        .offset:         56
        .size:           8
        .value_kind:     global_buffer
      - .actual_access:  read_only
        .address_space:  global
        .offset:         64
        .size:           8
        .value_kind:     global_buffer
      - .offset:         72
        .size:           4
        .value_kind:     by_value
      - .actual_access:  read_only
        .address_space:  global
        .offset:         80
        .size:           8
        .value_kind:     global_buffer
      - .offset:         88
        .size:           4
        .value_kind:     by_value
      - .offset:         92
        .size:           4
        .value_kind:     by_value
      - .offset:         96
        .size:           4
        .value_kind:     by_value
      - .address_space:  global
        .offset:         104
        .size:           8
        .value_kind:     global_buffer
      - .address_space:  global
        .offset:         112
        .size:           8
        .value_kind:     global_buffer
      - .offset:         120
        .size:           4
        .value_kind:     by_value
      - .offset:         124
        .size:           4
        .value_kind:     by_value
      - .offset:         128
        .size:           4
        .value_kind:     by_value
      - .offset:         132
        .size:           4
        .value_kind:     by_value
      - .offset:         136
        .size:           4
        .value_kind:     by_value
      - .offset:         144
        .size:           4
        .value_kind:     hidden_block_count_x
      - .offset:         148
        .size:           4
        .value_kind:     hidden_block_count_y
      - .offset:         152
        .size:           4
        .value_kind:     hidden_block_count_z
      - .offset:         156
        .size:           2
        .value_kind:     hidden_group_size_x
      - .offset:         158
        .size:           2
        .value_kind:     hidden_group_size_y
      - .offset:         160
        .size:           2
        .value_kind:     hidden_group_size_z
      - .offset:         162
        .size:           2
        .value_kind:     hidden_remainder_x
      - .offset:         164
        .size:           2
        .value_kind:     hidden_remainder_y
      - .offset:         166
        .size:           2
        .value_kind:     hidden_remainder_z
      - .offset:         184
        .size:           8
        .value_kind:     hidden_global_offset_x
      - .offset:         192
        .size:           8
        .value_kind:     hidden_global_offset_y
      - .offset:         200
        .size:           8
        .value_kind:     hidden_global_offset_z
      - .offset:         208
        .size:           2
        .value_kind:     hidden_grid_dims
      - .offset:         264
        .size:           4
        .value_kind:     hidden_dynamic_lds_size
    .group_segment_fixed_size: 544
    .kernarg_segment_align: 8
    .kernarg_segment_size: 400
    .language:       OpenCL C
    .language_version:
      - 2
      - 0
    .max_flat_workgroup_size: 1024
    .name:           _ZN4vllm25paged_attention_v2_kernelIfhLi128ELi8ELi128ELNS_18Fp8KVCacheDataTypeE1ELb0ELi512EEEvPfS2_PT_PKS3_PKT0_S9_ifPKiSB_iPKfiiiSD_SD_iiiii
    .private_segment_fixed_size: 0
    .sgpr_count:     44
    .sgpr_spill_count: 0
    .symbol:         _ZN4vllm25paged_attention_v2_kernelIfhLi128ELi8ELi128ELNS_18Fp8KVCacheDataTypeE1ELb0ELi512EEEvPfS2_PT_PKS3_PKT0_S9_ifPKiSB_iPKfiiiSD_SD_iiiii.kd
    .uniform_work_group_size: 1
    .uses_dynamic_stack: false
    .vgpr_count:     90
    .vgpr_spill_count: 0
    .wavefront_size: 32
    .workgroup_processor_mode: 1
  - .args:
      - .actual_access:  write_only
        .address_space:  global
        .offset:         0
        .size:           8
        .value_kind:     global_buffer
      - .actual_access:  write_only
        .address_space:  global
        .offset:         8
        .size:           8
        .value_kind:     global_buffer
      - .actual_access:  write_only
        .address_space:  global
        .offset:         16
        .size:           8
        .value_kind:     global_buffer
      - .actual_access:  read_only
        .address_space:  global
        .offset:         24
        .size:           8
        .value_kind:     global_buffer
      - .actual_access:  read_only
        .address_space:  global
        .offset:         32
        .size:           8
        .value_kind:     global_buffer
      - .actual_access:  read_only
        .address_space:  global
        .offset:         40
        .size:           8
        .value_kind:     global_buffer
      - .offset:         48
        .size:           4
        .value_kind:     by_value
      - .offset:         52
        .size:           4
        .value_kind:     by_value
      - .actual_access:  read_only
        .address_space:  global
        .offset:         56
        .size:           8
        .value_kind:     global_buffer
      - .actual_access:  read_only
        .address_space:  global
        .offset:         64
        .size:           8
        .value_kind:     global_buffer
      - .offset:         72
        .size:           4
        .value_kind:     by_value
      - .actual_access:  read_only
        .address_space:  global
        .offset:         80
        .size:           8
        .value_kind:     global_buffer
      - .offset:         88
        .size:           4
        .value_kind:     by_value
      - .offset:         92
        .size:           4
        .value_kind:     by_value
      - .offset:         96
        .size:           4
        .value_kind:     by_value
      - .address_space:  global
        .offset:         104
        .size:           8
        .value_kind:     global_buffer
      - .address_space:  global
        .offset:         112
        .size:           8
        .value_kind:     global_buffer
      - .offset:         120
        .size:           4
        .value_kind:     by_value
      - .offset:         124
        .size:           4
        .value_kind:     by_value
      - .offset:         128
        .size:           4
        .value_kind:     by_value
      - .offset:         132
        .size:           4
        .value_kind:     by_value
      - .offset:         136
        .size:           4
        .value_kind:     by_value
      - .offset:         144
        .size:           4
        .value_kind:     hidden_block_count_x
      - .offset:         148
        .size:           4
        .value_kind:     hidden_block_count_y
      - .offset:         152
        .size:           4
        .value_kind:     hidden_block_count_z
      - .offset:         156
        .size:           2
        .value_kind:     hidden_group_size_x
      - .offset:         158
        .size:           2
        .value_kind:     hidden_group_size_y
      - .offset:         160
        .size:           2
        .value_kind:     hidden_group_size_z
      - .offset:         162
        .size:           2
        .value_kind:     hidden_remainder_x
      - .offset:         164
        .size:           2
        .value_kind:     hidden_remainder_y
      - .offset:         166
        .size:           2
        .value_kind:     hidden_remainder_z
      - .offset:         184
        .size:           8
        .value_kind:     hidden_global_offset_x
      - .offset:         192
        .size:           8
        .value_kind:     hidden_global_offset_y
      - .offset:         200
        .size:           8
        .value_kind:     hidden_global_offset_z
      - .offset:         208
        .size:           2
        .value_kind:     hidden_grid_dims
      - .offset:         264
        .size:           4
        .value_kind:     hidden_dynamic_lds_size
    .group_segment_fixed_size: 800
    .kernarg_segment_align: 8
    .kernarg_segment_size: 400
    .language:       OpenCL C
    .language_version:
      - 2
      - 0
    .max_flat_workgroup_size: 1024
    .name:           _ZN4vllm25paged_attention_v2_kernelIfhLi192ELi8ELi128ELNS_18Fp8KVCacheDataTypeE1ELb0ELi512EEEvPfS2_PT_PKS3_PKT0_S9_ifPKiSB_iPKfiiiSD_SD_iiiii
    .private_segment_fixed_size: 0
    .sgpr_count:     44
    .sgpr_spill_count: 0
    .symbol:         _ZN4vllm25paged_attention_v2_kernelIfhLi192ELi8ELi128ELNS_18Fp8KVCacheDataTypeE1ELb0ELi512EEEvPfS2_PT_PKS3_PKT0_S9_ifPKiSB_iPKfiiiSD_SD_iiiii.kd
    .uniform_work_group_size: 1
    .uses_dynamic_stack: false
    .vgpr_count:     122
    .vgpr_spill_count: 0
    .wavefront_size: 32
    .workgroup_processor_mode: 1
  - .args:
      - .actual_access:  write_only
        .address_space:  global
        .offset:         0
        .size:           8
        .value_kind:     global_buffer
      - .actual_access:  write_only
        .address_space:  global
        .offset:         8
        .size:           8
        .value_kind:     global_buffer
      - .actual_access:  write_only
        .address_space:  global
        .offset:         16
        .size:           8
        .value_kind:     global_buffer
      - .actual_access:  read_only
        .address_space:  global
        .offset:         24
        .size:           8
        .value_kind:     global_buffer
      - .actual_access:  read_only
        .address_space:  global
        .offset:         32
        .size:           8
        .value_kind:     global_buffer
      - .actual_access:  read_only
        .address_space:  global
        .offset:         40
        .size:           8
        .value_kind:     global_buffer
      - .offset:         48
        .size:           4
        .value_kind:     by_value
      - .offset:         52
        .size:           4
        .value_kind:     by_value
      - .actual_access:  read_only
        .address_space:  global
        .offset:         56
        .size:           8
        .value_kind:     global_buffer
      - .actual_access:  read_only
        .address_space:  global
        .offset:         64
        .size:           8
        .value_kind:     global_buffer
      - .offset:         72
        .size:           4
        .value_kind:     by_value
      - .actual_access:  read_only
        .address_space:  global
        .offset:         80
        .size:           8
        .value_kind:     global_buffer
      - .offset:         88
        .size:           4
        .value_kind:     by_value
      - .offset:         92
        .size:           4
        .value_kind:     by_value
      - .offset:         96
        .size:           4
        .value_kind:     by_value
      - .address_space:  global
        .offset:         104
        .size:           8
        .value_kind:     global_buffer
      - .address_space:  global
        .offset:         112
        .size:           8
        .value_kind:     global_buffer
      - .offset:         120
        .size:           4
        .value_kind:     by_value
      - .offset:         124
        .size:           4
        .value_kind:     by_value
      - .offset:         128
        .size:           4
        .value_kind:     by_value
      - .offset:         132
        .size:           4
        .value_kind:     by_value
      - .offset:         136
        .size:           4
        .value_kind:     by_value
      - .offset:         144
        .size:           4
        .value_kind:     hidden_block_count_x
      - .offset:         148
        .size:           4
        .value_kind:     hidden_block_count_y
      - .offset:         152
        .size:           4
        .value_kind:     hidden_block_count_z
      - .offset:         156
        .size:           2
        .value_kind:     hidden_group_size_x
      - .offset:         158
        .size:           2
        .value_kind:     hidden_group_size_y
      - .offset:         160
        .size:           2
        .value_kind:     hidden_group_size_z
      - .offset:         162
        .size:           2
        .value_kind:     hidden_remainder_x
      - .offset:         164
        .size:           2
        .value_kind:     hidden_remainder_y
      - .offset:         166
        .size:           2
        .value_kind:     hidden_remainder_z
      - .offset:         184
        .size:           8
        .value_kind:     hidden_global_offset_x
      - .offset:         192
        .size:           8
        .value_kind:     hidden_global_offset_y
      - .offset:         200
        .size:           8
        .value_kind:     hidden_global_offset_z
      - .offset:         208
        .size:           2
        .value_kind:     hidden_grid_dims
      - .offset:         264
        .size:           4
        .value_kind:     hidden_dynamic_lds_size
    .group_segment_fixed_size: 1056
    .kernarg_segment_align: 8
    .kernarg_segment_size: 400
    .language:       OpenCL C
    .language_version:
      - 2
      - 0
    .max_flat_workgroup_size: 1024
    .name:           _ZN4vllm25paged_attention_v2_kernelIfhLi256ELi8ELi128ELNS_18Fp8KVCacheDataTypeE1ELb0ELi512EEEvPfS2_PT_PKS3_PKT0_S9_ifPKiSB_iPKfiiiSD_SD_iiiii
    .private_segment_fixed_size: 104
    .sgpr_count:     50
    .sgpr_spill_count: 0
    .symbol:         _ZN4vllm25paged_attention_v2_kernelIfhLi256ELi8ELi128ELNS_18Fp8KVCacheDataTypeE1ELb0ELi512EEEvPfS2_PT_PKS3_PKT0_S9_ifPKiSB_iPKfiiiSD_SD_iiiii.kd
    .uniform_work_group_size: 1
    .uses_dynamic_stack: false
    .vgpr_count:     128
    .vgpr_spill_count: 68
    .wavefront_size: 32
    .workgroup_processor_mode: 1
  - .args:
      - .actual_access:  write_only
        .address_space:  global
        .offset:         0
        .size:           8
        .value_kind:     global_buffer
      - .actual_access:  write_only
        .address_space:  global
        .offset:         8
        .size:           8
        .value_kind:     global_buffer
      - .actual_access:  write_only
        .address_space:  global
        .offset:         16
        .size:           8
        .value_kind:     global_buffer
      - .actual_access:  read_only
        .address_space:  global
        .offset:         24
        .size:           8
        .value_kind:     global_buffer
      - .actual_access:  read_only
        .address_space:  global
        .offset:         32
        .size:           8
        .value_kind:     global_buffer
      - .actual_access:  read_only
        .address_space:  global
        .offset:         40
        .size:           8
        .value_kind:     global_buffer
      - .offset:         48
        .size:           4
        .value_kind:     by_value
      - .offset:         52
        .size:           4
        .value_kind:     by_value
      - .actual_access:  read_only
        .address_space:  global
        .offset:         56
        .size:           8
        .value_kind:     global_buffer
      - .actual_access:  read_only
        .address_space:  global
        .offset:         64
        .size:           8
        .value_kind:     global_buffer
      - .offset:         72
        .size:           4
        .value_kind:     by_value
      - .actual_access:  read_only
        .address_space:  global
        .offset:         80
        .size:           8
        .value_kind:     global_buffer
      - .offset:         88
        .size:           4
        .value_kind:     by_value
      - .offset:         92
        .size:           4
        .value_kind:     by_value
      - .offset:         96
        .size:           4
        .value_kind:     by_value
      - .address_space:  global
        .offset:         104
        .size:           8
        .value_kind:     global_buffer
      - .address_space:  global
        .offset:         112
        .size:           8
        .value_kind:     global_buffer
      - .offset:         120
        .size:           4
        .value_kind:     by_value
      - .offset:         124
        .size:           4
        .value_kind:     by_value
      - .offset:         128
        .size:           4
        .value_kind:     by_value
      - .offset:         132
        .size:           4
        .value_kind:     by_value
      - .offset:         136
        .size:           4
        .value_kind:     by_value
      - .offset:         144
        .size:           4
        .value_kind:     hidden_block_count_x
      - .offset:         148
        .size:           4
        .value_kind:     hidden_block_count_y
      - .offset:         152
        .size:           4
        .value_kind:     hidden_block_count_z
      - .offset:         156
        .size:           2
        .value_kind:     hidden_group_size_x
      - .offset:         158
        .size:           2
        .value_kind:     hidden_group_size_y
      - .offset:         160
        .size:           2
        .value_kind:     hidden_group_size_z
      - .offset:         162
        .size:           2
        .value_kind:     hidden_remainder_x
      - .offset:         164
        .size:           2
        .value_kind:     hidden_remainder_y
      - .offset:         166
        .size:           2
        .value_kind:     hidden_remainder_z
      - .offset:         184
        .size:           8
        .value_kind:     hidden_global_offset_x
      - .offset:         192
        .size:           8
        .value_kind:     hidden_global_offset_y
      - .offset:         200
        .size:           8
        .value_kind:     hidden_global_offset_z
      - .offset:         208
        .size:           2
        .value_kind:     hidden_grid_dims
      - .offset:         264
        .size:           4
        .value_kind:     hidden_dynamic_lds_size
    .group_segment_fixed_size: 160
    .kernarg_segment_align: 8
    .kernarg_segment_size: 400
    .language:       OpenCL C
    .language_version:
      - 2
      - 0
    .max_flat_workgroup_size: 1024
    .name:           _ZN4vllm25paged_attention_v2_kernelIfhLi32ELi16ELi128ELNS_18Fp8KVCacheDataTypeE1ELb1ELi512EEEvPfS2_PT_PKS3_PKT0_S9_ifPKiSB_iPKfiiiSD_SD_iiiii
    .private_segment_fixed_size: 0
    .sgpr_count:     55
    .sgpr_spill_count: 0
    .symbol:         _ZN4vllm25paged_attention_v2_kernelIfhLi32ELi16ELi128ELNS_18Fp8KVCacheDataTypeE1ELb1ELi512EEEvPfS2_PT_PKS3_PKT0_S9_ifPKiSB_iPKfiiiSD_SD_iiiii.kd
    .uniform_work_group_size: 1
    .uses_dynamic_stack: false
    .vgpr_count:     78
    .vgpr_spill_count: 0
    .wavefront_size: 32
    .workgroup_processor_mode: 1
  - .args:
      - .actual_access:  write_only
        .address_space:  global
        .offset:         0
        .size:           8
        .value_kind:     global_buffer
      - .actual_access:  write_only
        .address_space:  global
        .offset:         8
        .size:           8
        .value_kind:     global_buffer
      - .actual_access:  write_only
        .address_space:  global
        .offset:         16
        .size:           8
        .value_kind:     global_buffer
      - .actual_access:  read_only
        .address_space:  global
        .offset:         24
        .size:           8
        .value_kind:     global_buffer
      - .actual_access:  read_only
        .address_space:  global
        .offset:         32
        .size:           8
        .value_kind:     global_buffer
      - .actual_access:  read_only
        .address_space:  global
        .offset:         40
        .size:           8
        .value_kind:     global_buffer
      - .offset:         48
        .size:           4
        .value_kind:     by_value
      - .offset:         52
        .size:           4
        .value_kind:     by_value
      - .actual_access:  read_only
        .address_space:  global
        .offset:         56
        .size:           8
        .value_kind:     global_buffer
      - .actual_access:  read_only
        .address_space:  global
        .offset:         64
        .size:           8
        .value_kind:     global_buffer
      - .offset:         72
        .size:           4
        .value_kind:     by_value
      - .actual_access:  read_only
        .address_space:  global
        .offset:         80
        .size:           8
        .value_kind:     global_buffer
      - .offset:         88
        .size:           4
        .value_kind:     by_value
      - .offset:         92
        .size:           4
        .value_kind:     by_value
      - .offset:         96
        .size:           4
        .value_kind:     by_value
      - .address_space:  global
        .offset:         104
        .size:           8
        .value_kind:     global_buffer
      - .address_space:  global
        .offset:         112
        .size:           8
        .value_kind:     global_buffer
      - .offset:         120
        .size:           4
        .value_kind:     by_value
      - .offset:         124
        .size:           4
        .value_kind:     by_value
      - .offset:         128
        .size:           4
        .value_kind:     by_value
      - .offset:         132
        .size:           4
        .value_kind:     by_value
      - .offset:         136
        .size:           4
        .value_kind:     by_value
      - .offset:         144
        .size:           4
        .value_kind:     hidden_block_count_x
      - .offset:         148
        .size:           4
        .value_kind:     hidden_block_count_y
      - .offset:         152
        .size:           4
        .value_kind:     hidden_block_count_z
      - .offset:         156
        .size:           2
        .value_kind:     hidden_group_size_x
      - .offset:         158
        .size:           2
        .value_kind:     hidden_group_size_y
      - .offset:         160
        .size:           2
        .value_kind:     hidden_group_size_z
      - .offset:         162
        .size:           2
        .value_kind:     hidden_remainder_x
      - .offset:         164
        .size:           2
        .value_kind:     hidden_remainder_y
      - .offset:         166
        .size:           2
        .value_kind:     hidden_remainder_z
      - .offset:         184
        .size:           8
        .value_kind:     hidden_global_offset_x
      - .offset:         192
        .size:           8
        .value_kind:     hidden_global_offset_y
      - .offset:         200
        .size:           8
        .value_kind:     hidden_global_offset_z
      - .offset:         208
        .size:           2
        .value_kind:     hidden_grid_dims
      - .offset:         264
        .size:           4
        .value_kind:     hidden_dynamic_lds_size
    .group_segment_fixed_size: 288
    .kernarg_segment_align: 8
    .kernarg_segment_size: 400
    .language:       OpenCL C
    .language_version:
      - 2
      - 0
    .max_flat_workgroup_size: 1024
    .name:           _ZN4vllm25paged_attention_v2_kernelIfhLi64ELi16ELi128ELNS_18Fp8KVCacheDataTypeE1ELb1ELi512EEEvPfS2_PT_PKS3_PKT0_S9_ifPKiSB_iPKfiiiSD_SD_iiiii
    .private_segment_fixed_size: 0
    .sgpr_count:     56
    .sgpr_spill_count: 0
    .symbol:         _ZN4vllm25paged_attention_v2_kernelIfhLi64ELi16ELi128ELNS_18Fp8KVCacheDataTypeE1ELb1ELi512EEEvPfS2_PT_PKS3_PKT0_S9_ifPKiSB_iPKfiiiSD_SD_iiiii.kd
    .uniform_work_group_size: 1
    .uses_dynamic_stack: false
    .vgpr_count:     126
    .vgpr_spill_count: 0
    .wavefront_size: 32
    .workgroup_processor_mode: 1
  - .args:
      - .actual_access:  write_only
        .address_space:  global
        .offset:         0
        .size:           8
        .value_kind:     global_buffer
      - .actual_access:  write_only
        .address_space:  global
        .offset:         8
        .size:           8
        .value_kind:     global_buffer
      - .actual_access:  write_only
        .address_space:  global
        .offset:         16
        .size:           8
        .value_kind:     global_buffer
      - .actual_access:  read_only
        .address_space:  global
        .offset:         24
        .size:           8
        .value_kind:     global_buffer
      - .actual_access:  read_only
        .address_space:  global
        .offset:         32
        .size:           8
        .value_kind:     global_buffer
      - .actual_access:  read_only
        .address_space:  global
        .offset:         40
        .size:           8
        .value_kind:     global_buffer
      - .offset:         48
        .size:           4
        .value_kind:     by_value
      - .offset:         52
        .size:           4
        .value_kind:     by_value
      - .actual_access:  read_only
        .address_space:  global
        .offset:         56
        .size:           8
        .value_kind:     global_buffer
      - .actual_access:  read_only
        .address_space:  global
        .offset:         64
        .size:           8
        .value_kind:     global_buffer
      - .offset:         72
        .size:           4
        .value_kind:     by_value
      - .actual_access:  read_only
        .address_space:  global
        .offset:         80
        .size:           8
        .value_kind:     global_buffer
      - .offset:         88
        .size:           4
        .value_kind:     by_value
      - .offset:         92
        .size:           4
        .value_kind:     by_value
      - .offset:         96
        .size:           4
        .value_kind:     by_value
      - .address_space:  global
        .offset:         104
        .size:           8
        .value_kind:     global_buffer
      - .address_space:  global
        .offset:         112
        .size:           8
        .value_kind:     global_buffer
      - .offset:         120
        .size:           4
        .value_kind:     by_value
      - .offset:         124
        .size:           4
        .value_kind:     by_value
      - .offset:         128
        .size:           4
        .value_kind:     by_value
      - .offset:         132
        .size:           4
        .value_kind:     by_value
      - .offset:         136
        .size:           4
        .value_kind:     by_value
      - .offset:         144
        .size:           4
        .value_kind:     hidden_block_count_x
      - .offset:         148
        .size:           4
        .value_kind:     hidden_block_count_y
      - .offset:         152
        .size:           4
        .value_kind:     hidden_block_count_z
      - .offset:         156
        .size:           2
        .value_kind:     hidden_group_size_x
      - .offset:         158
        .size:           2
        .value_kind:     hidden_group_size_y
      - .offset:         160
        .size:           2
        .value_kind:     hidden_group_size_z
      - .offset:         162
        .size:           2
        .value_kind:     hidden_remainder_x
      - .offset:         164
        .size:           2
        .value_kind:     hidden_remainder_y
      - .offset:         166
        .size:           2
        .value_kind:     hidden_remainder_z
      - .offset:         184
        .size:           8
        .value_kind:     hidden_global_offset_x
      - .offset:         192
        .size:           8
        .value_kind:     hidden_global_offset_y
      - .offset:         200
        .size:           8
        .value_kind:     hidden_global_offset_z
      - .offset:         208
        .size:           2
        .value_kind:     hidden_grid_dims
      - .offset:         264
        .size:           4
        .value_kind:     hidden_dynamic_lds_size
    .group_segment_fixed_size: 352
    .kernarg_segment_align: 8
    .kernarg_segment_size: 400
    .language:       OpenCL C
    .language_version:
      - 2
      - 0
    .max_flat_workgroup_size: 1024
    .name:           _ZN4vllm25paged_attention_v2_kernelIfhLi80ELi16ELi128ELNS_18Fp8KVCacheDataTypeE1ELb1ELi512EEEvPfS2_PT_PKS3_PKT0_S9_ifPKiSB_iPKfiiiSD_SD_iiiii
    .private_segment_fixed_size: 88
    .sgpr_count:     62
    .sgpr_spill_count: 0
    .symbol:         _ZN4vllm25paged_attention_v2_kernelIfhLi80ELi16ELi128ELNS_18Fp8KVCacheDataTypeE1ELb1ELi512EEEvPfS2_PT_PKS3_PKT0_S9_ifPKiSB_iPKfiiiSD_SD_iiiii.kd
    .uniform_work_group_size: 1
    .uses_dynamic_stack: false
    .vgpr_count:     128
    .vgpr_spill_count: 46
    .wavefront_size: 32
    .workgroup_processor_mode: 1
  - .args:
      - .actual_access:  write_only
        .address_space:  global
        .offset:         0
        .size:           8
        .value_kind:     global_buffer
      - .actual_access:  write_only
        .address_space:  global
        .offset:         8
        .size:           8
        .value_kind:     global_buffer
      - .actual_access:  write_only
        .address_space:  global
        .offset:         16
        .size:           8
        .value_kind:     global_buffer
      - .actual_access:  read_only
        .address_space:  global
        .offset:         24
        .size:           8
        .value_kind:     global_buffer
      - .actual_access:  read_only
        .address_space:  global
        .offset:         32
        .size:           8
        .value_kind:     global_buffer
      - .actual_access:  read_only
        .address_space:  global
        .offset:         40
        .size:           8
        .value_kind:     global_buffer
      - .offset:         48
        .size:           4
        .value_kind:     by_value
      - .offset:         52
        .size:           4
        .value_kind:     by_value
      - .actual_access:  read_only
        .address_space:  global
        .offset:         56
        .size:           8
        .value_kind:     global_buffer
      - .actual_access:  read_only
        .address_space:  global
        .offset:         64
        .size:           8
        .value_kind:     global_buffer
      - .offset:         72
        .size:           4
        .value_kind:     by_value
      - .actual_access:  read_only
        .address_space:  global
        .offset:         80
        .size:           8
        .value_kind:     global_buffer
      - .offset:         88
        .size:           4
        .value_kind:     by_value
      - .offset:         92
        .size:           4
        .value_kind:     by_value
      - .offset:         96
        .size:           4
        .value_kind:     by_value
      - .address_space:  global
        .offset:         104
        .size:           8
        .value_kind:     global_buffer
      - .address_space:  global
        .offset:         112
        .size:           8
        .value_kind:     global_buffer
      - .offset:         120
        .size:           4
        .value_kind:     by_value
      - .offset:         124
        .size:           4
        .value_kind:     by_value
      - .offset:         128
        .size:           4
        .value_kind:     by_value
      - .offset:         132
        .size:           4
        .value_kind:     by_value
      - .offset:         136
        .size:           4
        .value_kind:     by_value
      - .offset:         144
        .size:           4
        .value_kind:     hidden_block_count_x
      - .offset:         148
        .size:           4
        .value_kind:     hidden_block_count_y
      - .offset:         152
        .size:           4
        .value_kind:     hidden_block_count_z
      - .offset:         156
        .size:           2
        .value_kind:     hidden_group_size_x
      - .offset:         158
        .size:           2
        .value_kind:     hidden_group_size_y
      - .offset:         160
        .size:           2
        .value_kind:     hidden_group_size_z
      - .offset:         162
        .size:           2
        .value_kind:     hidden_remainder_x
      - .offset:         164
        .size:           2
        .value_kind:     hidden_remainder_y
      - .offset:         166
        .size:           2
        .value_kind:     hidden_remainder_z
      - .offset:         184
        .size:           8
        .value_kind:     hidden_global_offset_x
      - .offset:         192
        .size:           8
        .value_kind:     hidden_global_offset_y
      - .offset:         200
        .size:           8
        .value_kind:     hidden_global_offset_z
      - .offset:         208
        .size:           2
        .value_kind:     hidden_grid_dims
      - .offset:         264
        .size:           4
        .value_kind:     hidden_dynamic_lds_size
    .group_segment_fixed_size: 416
    .kernarg_segment_align: 8
    .kernarg_segment_size: 400
    .language:       OpenCL C
    .language_version:
      - 2
      - 0
    .max_flat_workgroup_size: 1024
    .name:           _ZN4vllm25paged_attention_v2_kernelIfhLi96ELi16ELi128ELNS_18Fp8KVCacheDataTypeE1ELb1ELi512EEEvPfS2_PT_PKS3_PKT0_S9_ifPKiSB_iPKfiiiSD_SD_iiiii
    .private_segment_fixed_size: 172
    .sgpr_count:     62
    .sgpr_spill_count: 0
    .symbol:         _ZN4vllm25paged_attention_v2_kernelIfhLi96ELi16ELi128ELNS_18Fp8KVCacheDataTypeE1ELb1ELi512EEEvPfS2_PT_PKS3_PKT0_S9_ifPKiSB_iPKfiiiSD_SD_iiiii.kd
    .uniform_work_group_size: 1
    .uses_dynamic_stack: false
    .vgpr_count:     128
    .vgpr_spill_count: 73
    .wavefront_size: 32
    .workgroup_processor_mode: 1
  - .args:
      - .actual_access:  write_only
        .address_space:  global
        .offset:         0
        .size:           8
        .value_kind:     global_buffer
      - .actual_access:  write_only
        .address_space:  global
        .offset:         8
        .size:           8
        .value_kind:     global_buffer
      - .actual_access:  write_only
        .address_space:  global
        .offset:         16
        .size:           8
        .value_kind:     global_buffer
      - .actual_access:  read_only
        .address_space:  global
        .offset:         24
        .size:           8
        .value_kind:     global_buffer
      - .actual_access:  read_only
        .address_space:  global
        .offset:         32
        .size:           8
        .value_kind:     global_buffer
      - .actual_access:  read_only
        .address_space:  global
        .offset:         40
        .size:           8
        .value_kind:     global_buffer
      - .offset:         48
        .size:           4
        .value_kind:     by_value
      - .offset:         52
        .size:           4
        .value_kind:     by_value
      - .actual_access:  read_only
        .address_space:  global
        .offset:         56
        .size:           8
        .value_kind:     global_buffer
      - .actual_access:  read_only
        .address_space:  global
        .offset:         64
        .size:           8
        .value_kind:     global_buffer
      - .offset:         72
        .size:           4
        .value_kind:     by_value
      - .actual_access:  read_only
        .address_space:  global
        .offset:         80
        .size:           8
        .value_kind:     global_buffer
      - .offset:         88
        .size:           4
        .value_kind:     by_value
      - .offset:         92
        .size:           4
        .value_kind:     by_value
      - .offset:         96
        .size:           4
        .value_kind:     by_value
      - .address_space:  global
        .offset:         104
        .size:           8
        .value_kind:     global_buffer
      - .address_space:  global
        .offset:         112
        .size:           8
        .value_kind:     global_buffer
      - .offset:         120
        .size:           4
        .value_kind:     by_value
      - .offset:         124
        .size:           4
        .value_kind:     by_value
      - .offset:         128
        .size:           4
        .value_kind:     by_value
      - .offset:         132
        .size:           4
        .value_kind:     by_value
      - .offset:         136
        .size:           4
        .value_kind:     by_value
      - .offset:         144
        .size:           4
        .value_kind:     hidden_block_count_x
      - .offset:         148
        .size:           4
        .value_kind:     hidden_block_count_y
      - .offset:         152
        .size:           4
        .value_kind:     hidden_block_count_z
      - .offset:         156
        .size:           2
        .value_kind:     hidden_group_size_x
      - .offset:         158
        .size:           2
        .value_kind:     hidden_group_size_y
      - .offset:         160
        .size:           2
        .value_kind:     hidden_group_size_z
      - .offset:         162
        .size:           2
        .value_kind:     hidden_remainder_x
      - .offset:         164
        .size:           2
        .value_kind:     hidden_remainder_y
      - .offset:         166
        .size:           2
        .value_kind:     hidden_remainder_z
      - .offset:         184
        .size:           8
        .value_kind:     hidden_global_offset_x
      - .offset:         192
        .size:           8
        .value_kind:     hidden_global_offset_y
      - .offset:         200
        .size:           8
        .value_kind:     hidden_global_offset_z
      - .offset:         208
        .size:           2
        .value_kind:     hidden_grid_dims
      - .offset:         264
        .size:           4
        .value_kind:     hidden_dynamic_lds_size
    .group_segment_fixed_size: 480
    .kernarg_segment_align: 8
    .kernarg_segment_size: 400
    .language:       OpenCL C
    .language_version:
      - 2
      - 0
    .max_flat_workgroup_size: 1024
    .name:           _ZN4vllm25paged_attention_v2_kernelIfhLi112ELi16ELi128ELNS_18Fp8KVCacheDataTypeE1ELb1ELi512EEEvPfS2_PT_PKS3_PKT0_S9_ifPKiSB_iPKfiiiSD_SD_iiiii
    .private_segment_fixed_size: 256
    .sgpr_count:     62
    .sgpr_spill_count: 0
    .symbol:         _ZN4vllm25paged_attention_v2_kernelIfhLi112ELi16ELi128ELNS_18Fp8KVCacheDataTypeE1ELb1ELi512EEEvPfS2_PT_PKS3_PKT0_S9_ifPKiSB_iPKfiiiSD_SD_iiiii.kd
    .uniform_work_group_size: 1
    .uses_dynamic_stack: false
    .vgpr_count:     128
    .vgpr_spill_count: 84
    .wavefront_size: 32
    .workgroup_processor_mode: 1
  - .args:
      - .actual_access:  write_only
        .address_space:  global
        .offset:         0
        .size:           8
        .value_kind:     global_buffer
      - .actual_access:  write_only
        .address_space:  global
        .offset:         8
        .size:           8
        .value_kind:     global_buffer
      - .actual_access:  write_only
        .address_space:  global
        .offset:         16
        .size:           8
        .value_kind:     global_buffer
      - .actual_access:  read_only
        .address_space:  global
        .offset:         24
        .size:           8
        .value_kind:     global_buffer
      - .actual_access:  read_only
        .address_space:  global
        .offset:         32
        .size:           8
        .value_kind:     global_buffer
      - .actual_access:  read_only
        .address_space:  global
        .offset:         40
        .size:           8
        .value_kind:     global_buffer
      - .offset:         48
        .size:           4
        .value_kind:     by_value
      - .offset:         52
        .size:           4
        .value_kind:     by_value
      - .actual_access:  read_only
        .address_space:  global
        .offset:         56
        .size:           8
        .value_kind:     global_buffer
      - .actual_access:  read_only
        .address_space:  global
        .offset:         64
        .size:           8
        .value_kind:     global_buffer
      - .offset:         72
        .size:           4
        .value_kind:     by_value
      - .actual_access:  read_only
        .address_space:  global
        .offset:         80
        .size:           8
        .value_kind:     global_buffer
      - .offset:         88
        .size:           4
        .value_kind:     by_value
      - .offset:         92
        .size:           4
        .value_kind:     by_value
      - .offset:         96
        .size:           4
        .value_kind:     by_value
      - .address_space:  global
        .offset:         104
        .size:           8
        .value_kind:     global_buffer
      - .address_space:  global
        .offset:         112
        .size:           8
        .value_kind:     global_buffer
      - .offset:         120
        .size:           4
        .value_kind:     by_value
      - .offset:         124
        .size:           4
        .value_kind:     by_value
      - .offset:         128
        .size:           4
        .value_kind:     by_value
      - .offset:         132
        .size:           4
        .value_kind:     by_value
      - .offset:         136
        .size:           4
        .value_kind:     by_value
      - .offset:         144
        .size:           4
        .value_kind:     hidden_block_count_x
      - .offset:         148
        .size:           4
        .value_kind:     hidden_block_count_y
      - .offset:         152
        .size:           4
        .value_kind:     hidden_block_count_z
      - .offset:         156
        .size:           2
        .value_kind:     hidden_group_size_x
      - .offset:         158
        .size:           2
        .value_kind:     hidden_group_size_y
      - .offset:         160
        .size:           2
        .value_kind:     hidden_group_size_z
      - .offset:         162
        .size:           2
        .value_kind:     hidden_remainder_x
      - .offset:         164
        .size:           2
        .value_kind:     hidden_remainder_y
      - .offset:         166
        .size:           2
        .value_kind:     hidden_remainder_z
      - .offset:         184
        .size:           8
        .value_kind:     hidden_global_offset_x
      - .offset:         192
        .size:           8
        .value_kind:     hidden_global_offset_y
      - .offset:         200
        .size:           8
        .value_kind:     hidden_global_offset_z
      - .offset:         208
        .size:           2
        .value_kind:     hidden_grid_dims
      - .offset:         264
        .size:           4
        .value_kind:     hidden_dynamic_lds_size
    .group_segment_fixed_size: 512
    .kernarg_segment_align: 8
    .kernarg_segment_size: 400
    .language:       OpenCL C
    .language_version:
      - 2
      - 0
    .max_flat_workgroup_size: 1024
    .name:           _ZN4vllm25paged_attention_v2_kernelIfhLi120ELi16ELi128ELNS_18Fp8KVCacheDataTypeE1ELb1ELi512EEEvPfS2_PT_PKS3_PKT0_S9_ifPKiSB_iPKfiiiSD_SD_iiiii
    .private_segment_fixed_size: 288
    .sgpr_count:     62
    .sgpr_spill_count: 0
    .symbol:         _ZN4vllm25paged_attention_v2_kernelIfhLi120ELi16ELi128ELNS_18Fp8KVCacheDataTypeE1ELb1ELi512EEEvPfS2_PT_PKS3_PKT0_S9_ifPKiSB_iPKfiiiSD_SD_iiiii.kd
    .uniform_work_group_size: 1
    .uses_dynamic_stack: false
    .vgpr_count:     128
    .vgpr_spill_count: 108
    .wavefront_size: 32
    .workgroup_processor_mode: 1
  - .args:
      - .actual_access:  write_only
        .address_space:  global
        .offset:         0
        .size:           8
        .value_kind:     global_buffer
      - .actual_access:  write_only
        .address_space:  global
        .offset:         8
        .size:           8
        .value_kind:     global_buffer
      - .actual_access:  write_only
        .address_space:  global
        .offset:         16
        .size:           8
        .value_kind:     global_buffer
      - .actual_access:  read_only
        .address_space:  global
        .offset:         24
        .size:           8
        .value_kind:     global_buffer
      - .actual_access:  read_only
        .address_space:  global
        .offset:         32
        .size:           8
        .value_kind:     global_buffer
      - .actual_access:  read_only
        .address_space:  global
        .offset:         40
        .size:           8
        .value_kind:     global_buffer
      - .offset:         48
        .size:           4
        .value_kind:     by_value
      - .offset:         52
        .size:           4
        .value_kind:     by_value
      - .actual_access:  read_only
        .address_space:  global
        .offset:         56
        .size:           8
        .value_kind:     global_buffer
      - .actual_access:  read_only
        .address_space:  global
        .offset:         64
        .size:           8
        .value_kind:     global_buffer
      - .offset:         72
        .size:           4
        .value_kind:     by_value
      - .actual_access:  read_only
        .address_space:  global
        .offset:         80
        .size:           8
        .value_kind:     global_buffer
      - .offset:         88
        .size:           4
        .value_kind:     by_value
      - .offset:         92
        .size:           4
        .value_kind:     by_value
      - .offset:         96
        .size:           4
        .value_kind:     by_value
      - .address_space:  global
        .offset:         104
        .size:           8
        .value_kind:     global_buffer
      - .address_space:  global
        .offset:         112
        .size:           8
        .value_kind:     global_buffer
      - .offset:         120
        .size:           4
        .value_kind:     by_value
      - .offset:         124
        .size:           4
        .value_kind:     by_value
      - .offset:         128
        .size:           4
        .value_kind:     by_value
      - .offset:         132
        .size:           4
        .value_kind:     by_value
      - .offset:         136
        .size:           4
        .value_kind:     by_value
      - .offset:         144
        .size:           4
        .value_kind:     hidden_block_count_x
      - .offset:         148
        .size:           4
        .value_kind:     hidden_block_count_y
      - .offset:         152
        .size:           4
        .value_kind:     hidden_block_count_z
      - .offset:         156
        .size:           2
        .value_kind:     hidden_group_size_x
      - .offset:         158
        .size:           2
        .value_kind:     hidden_group_size_y
      - .offset:         160
        .size:           2
        .value_kind:     hidden_group_size_z
      - .offset:         162
        .size:           2
        .value_kind:     hidden_remainder_x
      - .offset:         164
        .size:           2
        .value_kind:     hidden_remainder_y
      - .offset:         166
        .size:           2
        .value_kind:     hidden_remainder_z
      - .offset:         184
        .size:           8
        .value_kind:     hidden_global_offset_x
      - .offset:         192
        .size:           8
        .value_kind:     hidden_global_offset_y
      - .offset:         200
        .size:           8
        .value_kind:     hidden_global_offset_z
      - .offset:         208
        .size:           2
        .value_kind:     hidden_grid_dims
      - .offset:         264
        .size:           4
        .value_kind:     hidden_dynamic_lds_size
    .group_segment_fixed_size: 544
    .kernarg_segment_align: 8
    .kernarg_segment_size: 400
    .language:       OpenCL C
    .language_version:
      - 2
      - 0
    .max_flat_workgroup_size: 1024
    .name:           _ZN4vllm25paged_attention_v2_kernelIfhLi128ELi16ELi128ELNS_18Fp8KVCacheDataTypeE1ELb1ELi512EEEvPfS2_PT_PKS3_PKT0_S9_ifPKiSB_iPKfiiiSD_SD_iiiii
    .private_segment_fixed_size: 312
    .sgpr_count:     62
    .sgpr_spill_count: 0
    .symbol:         _ZN4vllm25paged_attention_v2_kernelIfhLi128ELi16ELi128ELNS_18Fp8KVCacheDataTypeE1ELb1ELi512EEEvPfS2_PT_PKS3_PKT0_S9_ifPKiSB_iPKfiiiSD_SD_iiiii.kd
    .uniform_work_group_size: 1
    .uses_dynamic_stack: false
    .vgpr_count:     128
    .vgpr_spill_count: 133
    .wavefront_size: 32
    .workgroup_processor_mode: 1
  - .args:
      - .address_space:  global
        .offset:         0
        .size:           8
        .value_kind:     global_buffer
      - .address_space:  global
        .offset:         8
        .size:           8
        .value_kind:     global_buffer
      - .address_space:  global
        .offset:         16
        .size:           8
        .value_kind:     global_buffer
      - .address_space:  global
        .offset:         24
        .size:           8
        .value_kind:     global_buffer
      - .address_space:  global
        .offset:         32
        .size:           8
        .value_kind:     global_buffer
      - .address_space:  global
        .offset:         40
        .size:           8
        .value_kind:     global_buffer
      - .offset:         48
        .size:           4
        .value_kind:     by_value
      - .offset:         52
        .size:           4
        .value_kind:     by_value
      - .address_space:  global
        .offset:         56
        .size:           8
        .value_kind:     global_buffer
      - .address_space:  global
        .offset:         64
        .size:           8
        .value_kind:     global_buffer
      - .offset:         72
        .size:           4
        .value_kind:     by_value
      - .address_space:  global
        .offset:         80
        .size:           8
        .value_kind:     global_buffer
      - .offset:         88
        .size:           4
        .value_kind:     by_value
      - .offset:         92
        .size:           4
        .value_kind:     by_value
      - .offset:         96
        .size:           4
        .value_kind:     by_value
      - .address_space:  global
        .offset:         104
        .size:           8
        .value_kind:     global_buffer
      - .address_space:  global
        .offset:         112
        .size:           8
        .value_kind:     global_buffer
      - .offset:         120
        .size:           4
        .value_kind:     by_value
      - .offset:         124
        .size:           4
        .value_kind:     by_value
      - .offset:         128
        .size:           4
        .value_kind:     by_value
      - .offset:         132
        .size:           4
        .value_kind:     by_value
      - .offset:         136
        .size:           4
        .value_kind:     by_value
      - .offset:         144
        .size:           4
        .value_kind:     hidden_block_count_x
      - .offset:         148
        .size:           4
        .value_kind:     hidden_block_count_y
      - .offset:         152
        .size:           4
        .value_kind:     hidden_block_count_z
      - .offset:         156
        .size:           2
        .value_kind:     hidden_group_size_x
      - .offset:         158
        .size:           2
        .value_kind:     hidden_group_size_y
      - .offset:         160
        .size:           2
        .value_kind:     hidden_group_size_z
      - .offset:         162
        .size:           2
        .value_kind:     hidden_remainder_x
      - .offset:         164
        .size:           2
        .value_kind:     hidden_remainder_y
      - .offset:         166
        .size:           2
        .value_kind:     hidden_remainder_z
      - .offset:         184
        .size:           8
        .value_kind:     hidden_global_offset_x
      - .offset:         192
        .size:           8
        .value_kind:     hidden_global_offset_y
      - .offset:         200
        .size:           8
        .value_kind:     hidden_global_offset_z
      - .offset:         208
        .size:           2
        .value_kind:     hidden_grid_dims
      - .offset:         264
        .size:           4
        .value_kind:     hidden_dynamic_lds_size
    .group_segment_fixed_size: 800
    .kernarg_segment_align: 8
    .kernarg_segment_size: 400
    .language:       OpenCL C
    .language_version:
      - 2
      - 0
    .max_flat_workgroup_size: 1024
    .name:           _ZN4vllm25paged_attention_v2_kernelIfhLi192ELi16ELi128ELNS_18Fp8KVCacheDataTypeE1ELb1ELi512EEEvPfS2_PT_PKS3_PKT0_S9_ifPKiSB_iPKfiiiSD_SD_iiiii
    .private_segment_fixed_size: 924
    .sgpr_count:     50
    .sgpr_spill_count: 0
    .symbol:         _ZN4vllm25paged_attention_v2_kernelIfhLi192ELi16ELi128ELNS_18Fp8KVCacheDataTypeE1ELb1ELi512EEEvPfS2_PT_PKS3_PKT0_S9_ifPKiSB_iPKfiiiSD_SD_iiiii.kd
    .uniform_work_group_size: 1
    .uses_dynamic_stack: false
    .vgpr_count:     128
    .vgpr_spill_count: 0
    .wavefront_size: 32
    .workgroup_processor_mode: 1
  - .args:
      - .address_space:  global
        .offset:         0
        .size:           8
        .value_kind:     global_buffer
      - .address_space:  global
        .offset:         8
        .size:           8
        .value_kind:     global_buffer
      - .address_space:  global
        .offset:         16
        .size:           8
        .value_kind:     global_buffer
      - .address_space:  global
        .offset:         24
        .size:           8
        .value_kind:     global_buffer
      - .address_space:  global
        .offset:         32
        .size:           8
        .value_kind:     global_buffer
      - .address_space:  global
        .offset:         40
        .size:           8
        .value_kind:     global_buffer
      - .offset:         48
        .size:           4
        .value_kind:     by_value
      - .offset:         52
        .size:           4
        .value_kind:     by_value
      - .address_space:  global
        .offset:         56
        .size:           8
        .value_kind:     global_buffer
      - .address_space:  global
        .offset:         64
        .size:           8
        .value_kind:     global_buffer
      - .offset:         72
        .size:           4
        .value_kind:     by_value
      - .address_space:  global
        .offset:         80
        .size:           8
        .value_kind:     global_buffer
      - .offset:         88
        .size:           4
        .value_kind:     by_value
      - .offset:         92
        .size:           4
        .value_kind:     by_value
      - .offset:         96
        .size:           4
        .value_kind:     by_value
      - .address_space:  global
        .offset:         104
        .size:           8
        .value_kind:     global_buffer
      - .address_space:  global
        .offset:         112
        .size:           8
        .value_kind:     global_buffer
      - .offset:         120
        .size:           4
        .value_kind:     by_value
      - .offset:         124
        .size:           4
        .value_kind:     by_value
      - .offset:         128
        .size:           4
        .value_kind:     by_value
      - .offset:         132
        .size:           4
        .value_kind:     by_value
      - .offset:         136
        .size:           4
        .value_kind:     by_value
      - .offset:         144
        .size:           4
        .value_kind:     hidden_block_count_x
      - .offset:         148
        .size:           4
        .value_kind:     hidden_block_count_y
      - .offset:         152
        .size:           4
        .value_kind:     hidden_block_count_z
      - .offset:         156
        .size:           2
        .value_kind:     hidden_group_size_x
      - .offset:         158
        .size:           2
        .value_kind:     hidden_group_size_y
      - .offset:         160
        .size:           2
        .value_kind:     hidden_group_size_z
      - .offset:         162
        .size:           2
        .value_kind:     hidden_remainder_x
      - .offset:         164
        .size:           2
        .value_kind:     hidden_remainder_y
      - .offset:         166
        .size:           2
        .value_kind:     hidden_remainder_z
      - .offset:         184
        .size:           8
        .value_kind:     hidden_global_offset_x
      - .offset:         192
        .size:           8
        .value_kind:     hidden_global_offset_y
      - .offset:         200
        .size:           8
        .value_kind:     hidden_global_offset_z
      - .offset:         208
        .size:           2
        .value_kind:     hidden_grid_dims
      - .offset:         264
        .size:           4
        .value_kind:     hidden_dynamic_lds_size
    .group_segment_fixed_size: 1056
    .kernarg_segment_align: 8
    .kernarg_segment_size: 400
    .language:       OpenCL C
    .language_version:
      - 2
      - 0
    .max_flat_workgroup_size: 1024
    .name:           _ZN4vllm25paged_attention_v2_kernelIfhLi256ELi16ELi128ELNS_18Fp8KVCacheDataTypeE1ELb1ELi512EEEvPfS2_PT_PKS3_PKT0_S9_ifPKiSB_iPKfiiiSD_SD_iiiii
    .private_segment_fixed_size: 1196
    .sgpr_count:     50
    .sgpr_spill_count: 0
    .symbol:         _ZN4vllm25paged_attention_v2_kernelIfhLi256ELi16ELi128ELNS_18Fp8KVCacheDataTypeE1ELb1ELi512EEEvPfS2_PT_PKS3_PKT0_S9_ifPKiSB_iPKfiiiSD_SD_iiiii.kd
    .uniform_work_group_size: 1
    .uses_dynamic_stack: false
    .vgpr_count:     128
    .vgpr_spill_count: 0
    .wavefront_size: 32
    .workgroup_processor_mode: 1
  - .args:
      - .actual_access:  write_only
        .address_space:  global
        .offset:         0
        .size:           8
        .value_kind:     global_buffer
      - .actual_access:  write_only
        .address_space:  global
        .offset:         8
        .size:           8
        .value_kind:     global_buffer
      - .actual_access:  write_only
        .address_space:  global
        .offset:         16
        .size:           8
        .value_kind:     global_buffer
      - .actual_access:  read_only
        .address_space:  global
        .offset:         24
        .size:           8
        .value_kind:     global_buffer
      - .actual_access:  read_only
        .address_space:  global
        .offset:         32
        .size:           8
        .value_kind:     global_buffer
      - .actual_access:  read_only
        .address_space:  global
        .offset:         40
        .size:           8
        .value_kind:     global_buffer
      - .offset:         48
        .size:           4
        .value_kind:     by_value
      - .offset:         52
        .size:           4
        .value_kind:     by_value
      - .actual_access:  read_only
        .address_space:  global
        .offset:         56
        .size:           8
        .value_kind:     global_buffer
      - .actual_access:  read_only
        .address_space:  global
        .offset:         64
        .size:           8
        .value_kind:     global_buffer
      - .offset:         72
        .size:           4
        .value_kind:     by_value
      - .actual_access:  read_only
        .address_space:  global
        .offset:         80
        .size:           8
        .value_kind:     global_buffer
      - .offset:         88
        .size:           4
        .value_kind:     by_value
      - .offset:         92
        .size:           4
        .value_kind:     by_value
      - .offset:         96
        .size:           4
        .value_kind:     by_value
      - .address_space:  global
        .offset:         104
        .size:           8
        .value_kind:     global_buffer
      - .address_space:  global
        .offset:         112
        .size:           8
        .value_kind:     global_buffer
      - .offset:         120
        .size:           4
        .value_kind:     by_value
      - .offset:         124
        .size:           4
        .value_kind:     by_value
      - .offset:         128
        .size:           4
        .value_kind:     by_value
      - .offset:         132
        .size:           4
        .value_kind:     by_value
      - .offset:         136
        .size:           4
        .value_kind:     by_value
      - .offset:         144
        .size:           4
        .value_kind:     hidden_block_count_x
      - .offset:         148
        .size:           4
        .value_kind:     hidden_block_count_y
      - .offset:         152
        .size:           4
        .value_kind:     hidden_block_count_z
      - .offset:         156
        .size:           2
        .value_kind:     hidden_group_size_x
      - .offset:         158
        .size:           2
        .value_kind:     hidden_group_size_y
      - .offset:         160
        .size:           2
        .value_kind:     hidden_group_size_z
      - .offset:         162
        .size:           2
        .value_kind:     hidden_remainder_x
      - .offset:         164
        .size:           2
        .value_kind:     hidden_remainder_y
      - .offset:         166
        .size:           2
        .value_kind:     hidden_remainder_z
      - .offset:         184
        .size:           8
        .value_kind:     hidden_global_offset_x
      - .offset:         192
        .size:           8
        .value_kind:     hidden_global_offset_y
      - .offset:         200
        .size:           8
        .value_kind:     hidden_global_offset_z
      - .offset:         208
        .size:           2
        .value_kind:     hidden_grid_dims
      - .offset:         264
        .size:           4
        .value_kind:     hidden_dynamic_lds_size
    .group_segment_fixed_size: 160
    .kernarg_segment_align: 8
    .kernarg_segment_size: 400
    .language:       OpenCL C
    .language_version:
      - 2
      - 0
    .max_flat_workgroup_size: 1024
    .name:           _ZN4vllm25paged_attention_v2_kernelIfhLi32ELi16ELi128ELNS_18Fp8KVCacheDataTypeE1ELb0ELi512EEEvPfS2_PT_PKS3_PKT0_S9_ifPKiSB_iPKfiiiSD_SD_iiiii
    .private_segment_fixed_size: 0
    .sgpr_count:     45
    .sgpr_spill_count: 0
    .symbol:         _ZN4vllm25paged_attention_v2_kernelIfhLi32ELi16ELi128ELNS_18Fp8KVCacheDataTypeE1ELb0ELi512EEEvPfS2_PT_PKS3_PKT0_S9_ifPKiSB_iPKfiiiSD_SD_iiiii.kd
    .uniform_work_group_size: 1
    .uses_dynamic_stack: false
    .vgpr_count:     74
    .vgpr_spill_count: 0
    .wavefront_size: 32
    .workgroup_processor_mode: 1
  - .args:
      - .actual_access:  write_only
        .address_space:  global
        .offset:         0
        .size:           8
        .value_kind:     global_buffer
      - .actual_access:  write_only
        .address_space:  global
        .offset:         8
        .size:           8
        .value_kind:     global_buffer
      - .actual_access:  write_only
        .address_space:  global
        .offset:         16
        .size:           8
        .value_kind:     global_buffer
      - .actual_access:  read_only
        .address_space:  global
        .offset:         24
        .size:           8
        .value_kind:     global_buffer
      - .actual_access:  read_only
        .address_space:  global
        .offset:         32
        .size:           8
        .value_kind:     global_buffer
      - .actual_access:  read_only
        .address_space:  global
        .offset:         40
        .size:           8
        .value_kind:     global_buffer
      - .offset:         48
        .size:           4
        .value_kind:     by_value
      - .offset:         52
        .size:           4
        .value_kind:     by_value
      - .actual_access:  read_only
        .address_space:  global
        .offset:         56
        .size:           8
        .value_kind:     global_buffer
      - .actual_access:  read_only
        .address_space:  global
        .offset:         64
        .size:           8
        .value_kind:     global_buffer
      - .offset:         72
        .size:           4
        .value_kind:     by_value
      - .actual_access:  read_only
        .address_space:  global
        .offset:         80
        .size:           8
        .value_kind:     global_buffer
      - .offset:         88
        .size:           4
        .value_kind:     by_value
      - .offset:         92
        .size:           4
        .value_kind:     by_value
      - .offset:         96
        .size:           4
        .value_kind:     by_value
      - .address_space:  global
        .offset:         104
        .size:           8
        .value_kind:     global_buffer
      - .address_space:  global
        .offset:         112
        .size:           8
        .value_kind:     global_buffer
      - .offset:         120
        .size:           4
        .value_kind:     by_value
      - .offset:         124
        .size:           4
        .value_kind:     by_value
      - .offset:         128
        .size:           4
        .value_kind:     by_value
      - .offset:         132
        .size:           4
        .value_kind:     by_value
      - .offset:         136
        .size:           4
        .value_kind:     by_value
      - .offset:         144
        .size:           4
        .value_kind:     hidden_block_count_x
      - .offset:         148
        .size:           4
        .value_kind:     hidden_block_count_y
      - .offset:         152
        .size:           4
        .value_kind:     hidden_block_count_z
      - .offset:         156
        .size:           2
        .value_kind:     hidden_group_size_x
      - .offset:         158
        .size:           2
        .value_kind:     hidden_group_size_y
      - .offset:         160
        .size:           2
        .value_kind:     hidden_group_size_z
      - .offset:         162
        .size:           2
        .value_kind:     hidden_remainder_x
      - .offset:         164
        .size:           2
        .value_kind:     hidden_remainder_y
      - .offset:         166
        .size:           2
        .value_kind:     hidden_remainder_z
      - .offset:         184
        .size:           8
        .value_kind:     hidden_global_offset_x
      - .offset:         192
        .size:           8
        .value_kind:     hidden_global_offset_y
      - .offset:         200
        .size:           8
        .value_kind:     hidden_global_offset_z
      - .offset:         208
        .size:           2
        .value_kind:     hidden_grid_dims
      - .offset:         264
        .size:           4
        .value_kind:     hidden_dynamic_lds_size
    .group_segment_fixed_size: 288
    .kernarg_segment_align: 8
    .kernarg_segment_size: 400
    .language:       OpenCL C
    .language_version:
      - 2
      - 0
    .max_flat_workgroup_size: 1024
    .name:           _ZN4vllm25paged_attention_v2_kernelIfhLi64ELi16ELi128ELNS_18Fp8KVCacheDataTypeE1ELb0ELi512EEEvPfS2_PT_PKS3_PKT0_S9_ifPKiSB_iPKfiiiSD_SD_iiiii
    .private_segment_fixed_size: 0
    .sgpr_count:     46
    .sgpr_spill_count: 0
    .symbol:         _ZN4vllm25paged_attention_v2_kernelIfhLi64ELi16ELi128ELNS_18Fp8KVCacheDataTypeE1ELb0ELi512EEEvPfS2_PT_PKS3_PKT0_S9_ifPKiSB_iPKfiiiSD_SD_iiiii.kd
    .uniform_work_group_size: 1
    .uses_dynamic_stack: false
    .vgpr_count:     122
    .vgpr_spill_count: 0
    .wavefront_size: 32
    .workgroup_processor_mode: 1
  - .args:
      - .actual_access:  write_only
        .address_space:  global
        .offset:         0
        .size:           8
        .value_kind:     global_buffer
      - .actual_access:  write_only
        .address_space:  global
        .offset:         8
        .size:           8
        .value_kind:     global_buffer
      - .actual_access:  write_only
        .address_space:  global
        .offset:         16
        .size:           8
        .value_kind:     global_buffer
      - .actual_access:  read_only
        .address_space:  global
        .offset:         24
        .size:           8
        .value_kind:     global_buffer
      - .actual_access:  read_only
        .address_space:  global
        .offset:         32
        .size:           8
        .value_kind:     global_buffer
      - .actual_access:  read_only
        .address_space:  global
        .offset:         40
        .size:           8
        .value_kind:     global_buffer
      - .offset:         48
        .size:           4
        .value_kind:     by_value
      - .offset:         52
        .size:           4
        .value_kind:     by_value
      - .actual_access:  read_only
        .address_space:  global
        .offset:         56
        .size:           8
        .value_kind:     global_buffer
      - .actual_access:  read_only
        .address_space:  global
        .offset:         64
        .size:           8
        .value_kind:     global_buffer
      - .offset:         72
        .size:           4
        .value_kind:     by_value
      - .actual_access:  read_only
        .address_space:  global
        .offset:         80
        .size:           8
        .value_kind:     global_buffer
      - .offset:         88
        .size:           4
        .value_kind:     by_value
      - .offset:         92
        .size:           4
        .value_kind:     by_value
      - .offset:         96
        .size:           4
        .value_kind:     by_value
      - .address_space:  global
        .offset:         104
        .size:           8
        .value_kind:     global_buffer
      - .address_space:  global
        .offset:         112
        .size:           8
        .value_kind:     global_buffer
      - .offset:         120
        .size:           4
        .value_kind:     by_value
      - .offset:         124
        .size:           4
        .value_kind:     by_value
      - .offset:         128
        .size:           4
        .value_kind:     by_value
      - .offset:         132
        .size:           4
        .value_kind:     by_value
      - .offset:         136
        .size:           4
        .value_kind:     by_value
      - .offset:         144
        .size:           4
        .value_kind:     hidden_block_count_x
      - .offset:         148
        .size:           4
        .value_kind:     hidden_block_count_y
      - .offset:         152
        .size:           4
        .value_kind:     hidden_block_count_z
      - .offset:         156
        .size:           2
        .value_kind:     hidden_group_size_x
      - .offset:         158
        .size:           2
        .value_kind:     hidden_group_size_y
      - .offset:         160
        .size:           2
        .value_kind:     hidden_group_size_z
      - .offset:         162
        .size:           2
        .value_kind:     hidden_remainder_x
      - .offset:         164
        .size:           2
        .value_kind:     hidden_remainder_y
      - .offset:         166
        .size:           2
        .value_kind:     hidden_remainder_z
      - .offset:         184
        .size:           8
        .value_kind:     hidden_global_offset_x
      - .offset:         192
        .size:           8
        .value_kind:     hidden_global_offset_y
      - .offset:         200
        .size:           8
        .value_kind:     hidden_global_offset_z
      - .offset:         208
        .size:           2
        .value_kind:     hidden_grid_dims
      - .offset:         264
        .size:           4
        .value_kind:     hidden_dynamic_lds_size
    .group_segment_fixed_size: 352
    .kernarg_segment_align: 8
    .kernarg_segment_size: 400
    .language:       OpenCL C
    .language_version:
      - 2
      - 0
    .max_flat_workgroup_size: 1024
    .name:           _ZN4vllm25paged_attention_v2_kernelIfhLi80ELi16ELi128ELNS_18Fp8KVCacheDataTypeE1ELb0ELi512EEEvPfS2_PT_PKS3_PKT0_S9_ifPKiSB_iPKfiiiSD_SD_iiiii
    .private_segment_fixed_size: 68
    .sgpr_count:     50
    .sgpr_spill_count: 0
    .symbol:         _ZN4vllm25paged_attention_v2_kernelIfhLi80ELi16ELi128ELNS_18Fp8KVCacheDataTypeE1ELb0ELi512EEEvPfS2_PT_PKS3_PKT0_S9_ifPKiSB_iPKfiiiSD_SD_iiiii.kd
    .uniform_work_group_size: 1
    .uses_dynamic_stack: false
    .vgpr_count:     128
    .vgpr_spill_count: 17
    .wavefront_size: 32
    .workgroup_processor_mode: 1
  - .args:
      - .actual_access:  write_only
        .address_space:  global
        .offset:         0
        .size:           8
        .value_kind:     global_buffer
      - .actual_access:  write_only
        .address_space:  global
        .offset:         8
        .size:           8
        .value_kind:     global_buffer
      - .actual_access:  write_only
        .address_space:  global
        .offset:         16
        .size:           8
        .value_kind:     global_buffer
      - .actual_access:  read_only
        .address_space:  global
        .offset:         24
        .size:           8
        .value_kind:     global_buffer
      - .actual_access:  read_only
        .address_space:  global
        .offset:         32
        .size:           8
        .value_kind:     global_buffer
      - .actual_access:  read_only
        .address_space:  global
        .offset:         40
        .size:           8
        .value_kind:     global_buffer
      - .offset:         48
        .size:           4
        .value_kind:     by_value
      - .offset:         52
        .size:           4
        .value_kind:     by_value
      - .actual_access:  read_only
        .address_space:  global
        .offset:         56
        .size:           8
        .value_kind:     global_buffer
      - .actual_access:  read_only
        .address_space:  global
        .offset:         64
        .size:           8
        .value_kind:     global_buffer
      - .offset:         72
        .size:           4
        .value_kind:     by_value
      - .actual_access:  read_only
        .address_space:  global
        .offset:         80
        .size:           8
        .value_kind:     global_buffer
      - .offset:         88
        .size:           4
        .value_kind:     by_value
      - .offset:         92
        .size:           4
        .value_kind:     by_value
      - .offset:         96
        .size:           4
        .value_kind:     by_value
      - .address_space:  global
        .offset:         104
        .size:           8
        .value_kind:     global_buffer
      - .address_space:  global
        .offset:         112
        .size:           8
        .value_kind:     global_buffer
      - .offset:         120
        .size:           4
        .value_kind:     by_value
      - .offset:         124
        .size:           4
        .value_kind:     by_value
      - .offset:         128
        .size:           4
        .value_kind:     by_value
      - .offset:         132
        .size:           4
        .value_kind:     by_value
      - .offset:         136
        .size:           4
        .value_kind:     by_value
      - .offset:         144
        .size:           4
        .value_kind:     hidden_block_count_x
      - .offset:         148
        .size:           4
        .value_kind:     hidden_block_count_y
      - .offset:         152
        .size:           4
        .value_kind:     hidden_block_count_z
      - .offset:         156
        .size:           2
        .value_kind:     hidden_group_size_x
      - .offset:         158
        .size:           2
        .value_kind:     hidden_group_size_y
      - .offset:         160
        .size:           2
        .value_kind:     hidden_group_size_z
      - .offset:         162
        .size:           2
        .value_kind:     hidden_remainder_x
      - .offset:         164
        .size:           2
        .value_kind:     hidden_remainder_y
      - .offset:         166
        .size:           2
        .value_kind:     hidden_remainder_z
      - .offset:         184
        .size:           8
        .value_kind:     hidden_global_offset_x
      - .offset:         192
        .size:           8
        .value_kind:     hidden_global_offset_y
      - .offset:         200
        .size:           8
        .value_kind:     hidden_global_offset_z
      - .offset:         208
        .size:           2
        .value_kind:     hidden_grid_dims
      - .offset:         264
        .size:           4
        .value_kind:     hidden_dynamic_lds_size
    .group_segment_fixed_size: 416
    .kernarg_segment_align: 8
    .kernarg_segment_size: 400
    .language:       OpenCL C
    .language_version:
      - 2
      - 0
    .max_flat_workgroup_size: 1024
    .name:           _ZN4vllm25paged_attention_v2_kernelIfhLi96ELi16ELi128ELNS_18Fp8KVCacheDataTypeE1ELb0ELi512EEEvPfS2_PT_PKS3_PKT0_S9_ifPKiSB_iPKfiiiSD_SD_iiiii
    .private_segment_fixed_size: 164
    .sgpr_count:     50
    .sgpr_spill_count: 0
    .symbol:         _ZN4vllm25paged_attention_v2_kernelIfhLi96ELi16ELi128ELNS_18Fp8KVCacheDataTypeE1ELb0ELi512EEEvPfS2_PT_PKS3_PKT0_S9_ifPKiSB_iPKfiiiSD_SD_iiiii.kd
    .uniform_work_group_size: 1
    .uses_dynamic_stack: false
    .vgpr_count:     128
    .vgpr_spill_count: 41
    .wavefront_size: 32
    .workgroup_processor_mode: 1
  - .args:
      - .actual_access:  write_only
        .address_space:  global
        .offset:         0
        .size:           8
        .value_kind:     global_buffer
      - .actual_access:  write_only
        .address_space:  global
        .offset:         8
        .size:           8
        .value_kind:     global_buffer
      - .actual_access:  write_only
        .address_space:  global
        .offset:         16
        .size:           8
        .value_kind:     global_buffer
      - .actual_access:  read_only
        .address_space:  global
        .offset:         24
        .size:           8
        .value_kind:     global_buffer
      - .actual_access:  read_only
        .address_space:  global
        .offset:         32
        .size:           8
        .value_kind:     global_buffer
      - .actual_access:  read_only
        .address_space:  global
        .offset:         40
        .size:           8
        .value_kind:     global_buffer
      - .offset:         48
        .size:           4
        .value_kind:     by_value
      - .offset:         52
        .size:           4
        .value_kind:     by_value
      - .actual_access:  read_only
        .address_space:  global
        .offset:         56
        .size:           8
        .value_kind:     global_buffer
      - .actual_access:  read_only
        .address_space:  global
        .offset:         64
        .size:           8
        .value_kind:     global_buffer
      - .offset:         72
        .size:           4
        .value_kind:     by_value
      - .actual_access:  read_only
        .address_space:  global
        .offset:         80
        .size:           8
        .value_kind:     global_buffer
      - .offset:         88
        .size:           4
        .value_kind:     by_value
      - .offset:         92
        .size:           4
        .value_kind:     by_value
      - .offset:         96
        .size:           4
        .value_kind:     by_value
      - .address_space:  global
        .offset:         104
        .size:           8
        .value_kind:     global_buffer
      - .address_space:  global
        .offset:         112
        .size:           8
        .value_kind:     global_buffer
      - .offset:         120
        .size:           4
        .value_kind:     by_value
      - .offset:         124
        .size:           4
        .value_kind:     by_value
      - .offset:         128
        .size:           4
        .value_kind:     by_value
      - .offset:         132
        .size:           4
        .value_kind:     by_value
      - .offset:         136
        .size:           4
        .value_kind:     by_value
      - .offset:         144
        .size:           4
        .value_kind:     hidden_block_count_x
      - .offset:         148
        .size:           4
        .value_kind:     hidden_block_count_y
      - .offset:         152
        .size:           4
        .value_kind:     hidden_block_count_z
      - .offset:         156
        .size:           2
        .value_kind:     hidden_group_size_x
      - .offset:         158
        .size:           2
        .value_kind:     hidden_group_size_y
      - .offset:         160
        .size:           2
        .value_kind:     hidden_group_size_z
      - .offset:         162
        .size:           2
        .value_kind:     hidden_remainder_x
      - .offset:         164
        .size:           2
        .value_kind:     hidden_remainder_y
      - .offset:         166
        .size:           2
        .value_kind:     hidden_remainder_z
      - .offset:         184
        .size:           8
        .value_kind:     hidden_global_offset_x
      - .offset:         192
        .size:           8
        .value_kind:     hidden_global_offset_y
      - .offset:         200
        .size:           8
        .value_kind:     hidden_global_offset_z
      - .offset:         208
        .size:           2
        .value_kind:     hidden_grid_dims
      - .offset:         264
        .size:           4
        .value_kind:     hidden_dynamic_lds_size
    .group_segment_fixed_size: 480
    .kernarg_segment_align: 8
    .kernarg_segment_size: 400
    .language:       OpenCL C
    .language_version:
      - 2
      - 0
    .max_flat_workgroup_size: 1024
    .name:           _ZN4vllm25paged_attention_v2_kernelIfhLi112ELi16ELi128ELNS_18Fp8KVCacheDataTypeE1ELb0ELi512EEEvPfS2_PT_PKS3_PKT0_S9_ifPKiSB_iPKfiiiSD_SD_iiiii
    .private_segment_fixed_size: 260
    .sgpr_count:     50
    .sgpr_spill_count: 0
    .symbol:         _ZN4vllm25paged_attention_v2_kernelIfhLi112ELi16ELi128ELNS_18Fp8KVCacheDataTypeE1ELb0ELi512EEEvPfS2_PT_PKS3_PKT0_S9_ifPKiSB_iPKfiiiSD_SD_iiiii.kd
    .uniform_work_group_size: 1
    .uses_dynamic_stack: false
    .vgpr_count:     128
    .vgpr_spill_count: 65
    .wavefront_size: 32
    .workgroup_processor_mode: 1
  - .args:
      - .actual_access:  write_only
        .address_space:  global
        .offset:         0
        .size:           8
        .value_kind:     global_buffer
      - .actual_access:  write_only
        .address_space:  global
        .offset:         8
        .size:           8
        .value_kind:     global_buffer
      - .actual_access:  write_only
        .address_space:  global
        .offset:         16
        .size:           8
        .value_kind:     global_buffer
      - .actual_access:  read_only
        .address_space:  global
        .offset:         24
        .size:           8
        .value_kind:     global_buffer
      - .actual_access:  read_only
        .address_space:  global
        .offset:         32
        .size:           8
        .value_kind:     global_buffer
      - .actual_access:  read_only
        .address_space:  global
        .offset:         40
        .size:           8
        .value_kind:     global_buffer
      - .offset:         48
        .size:           4
        .value_kind:     by_value
      - .offset:         52
        .size:           4
        .value_kind:     by_value
      - .actual_access:  read_only
        .address_space:  global
        .offset:         56
        .size:           8
        .value_kind:     global_buffer
      - .actual_access:  read_only
        .address_space:  global
        .offset:         64
        .size:           8
        .value_kind:     global_buffer
      - .offset:         72
        .size:           4
        .value_kind:     by_value
      - .actual_access:  read_only
        .address_space:  global
        .offset:         80
        .size:           8
        .value_kind:     global_buffer
      - .offset:         88
        .size:           4
        .value_kind:     by_value
      - .offset:         92
        .size:           4
        .value_kind:     by_value
      - .offset:         96
        .size:           4
        .value_kind:     by_value
      - .address_space:  global
        .offset:         104
        .size:           8
        .value_kind:     global_buffer
      - .address_space:  global
        .offset:         112
        .size:           8
        .value_kind:     global_buffer
      - .offset:         120
        .size:           4
        .value_kind:     by_value
      - .offset:         124
        .size:           4
        .value_kind:     by_value
      - .offset:         128
        .size:           4
        .value_kind:     by_value
      - .offset:         132
        .size:           4
        .value_kind:     by_value
      - .offset:         136
        .size:           4
        .value_kind:     by_value
      - .offset:         144
        .size:           4
        .value_kind:     hidden_block_count_x
      - .offset:         148
        .size:           4
        .value_kind:     hidden_block_count_y
      - .offset:         152
        .size:           4
        .value_kind:     hidden_block_count_z
      - .offset:         156
        .size:           2
        .value_kind:     hidden_group_size_x
      - .offset:         158
        .size:           2
        .value_kind:     hidden_group_size_y
      - .offset:         160
        .size:           2
        .value_kind:     hidden_group_size_z
      - .offset:         162
        .size:           2
        .value_kind:     hidden_remainder_x
      - .offset:         164
        .size:           2
        .value_kind:     hidden_remainder_y
      - .offset:         166
        .size:           2
        .value_kind:     hidden_remainder_z
      - .offset:         184
        .size:           8
        .value_kind:     hidden_global_offset_x
      - .offset:         192
        .size:           8
        .value_kind:     hidden_global_offset_y
      - .offset:         200
        .size:           8
        .value_kind:     hidden_global_offset_z
      - .offset:         208
        .size:           2
        .value_kind:     hidden_grid_dims
      - .offset:         264
        .size:           4
        .value_kind:     hidden_dynamic_lds_size
    .group_segment_fixed_size: 512
    .kernarg_segment_align: 8
    .kernarg_segment_size: 400
    .language:       OpenCL C
    .language_version:
      - 2
      - 0
    .max_flat_workgroup_size: 1024
    .name:           _ZN4vllm25paged_attention_v2_kernelIfhLi120ELi16ELi128ELNS_18Fp8KVCacheDataTypeE1ELb0ELi512EEEvPfS2_PT_PKS3_PKT0_S9_ifPKiSB_iPKfiiiSD_SD_iiiii
    .private_segment_fixed_size: 308
    .sgpr_count:     50
    .sgpr_spill_count: 0
    .symbol:         _ZN4vllm25paged_attention_v2_kernelIfhLi120ELi16ELi128ELNS_18Fp8KVCacheDataTypeE1ELb0ELi512EEEvPfS2_PT_PKS3_PKT0_S9_ifPKiSB_iPKfiiiSD_SD_iiiii.kd
    .uniform_work_group_size: 1
    .uses_dynamic_stack: false
    .vgpr_count:     128
    .vgpr_spill_count: 95
    .wavefront_size: 32
    .workgroup_processor_mode: 1
  - .args:
      - .actual_access:  write_only
        .address_space:  global
        .offset:         0
        .size:           8
        .value_kind:     global_buffer
      - .actual_access:  write_only
        .address_space:  global
        .offset:         8
        .size:           8
        .value_kind:     global_buffer
      - .actual_access:  write_only
        .address_space:  global
        .offset:         16
        .size:           8
        .value_kind:     global_buffer
      - .actual_access:  read_only
        .address_space:  global
        .offset:         24
        .size:           8
        .value_kind:     global_buffer
      - .actual_access:  read_only
        .address_space:  global
        .offset:         32
        .size:           8
        .value_kind:     global_buffer
      - .actual_access:  read_only
        .address_space:  global
        .offset:         40
        .size:           8
        .value_kind:     global_buffer
      - .offset:         48
        .size:           4
        .value_kind:     by_value
      - .offset:         52
        .size:           4
        .value_kind:     by_value
      - .actual_access:  read_only
        .address_space:  global
        .offset:         56
        .size:           8
        .value_kind:     global_buffer
      - .actual_access:  read_only
        .address_space:  global
        .offset:         64
        .size:           8
        .value_kind:     global_buffer
      - .offset:         72
        .size:           4
        .value_kind:     by_value
      - .actual_access:  read_only
        .address_space:  global
        .offset:         80
        .size:           8
        .value_kind:     global_buffer
      - .offset:         88
        .size:           4
        .value_kind:     by_value
      - .offset:         92
        .size:           4
        .value_kind:     by_value
      - .offset:         96
        .size:           4
        .value_kind:     by_value
      - .address_space:  global
        .offset:         104
        .size:           8
        .value_kind:     global_buffer
      - .address_space:  global
        .offset:         112
        .size:           8
        .value_kind:     global_buffer
      - .offset:         120
        .size:           4
        .value_kind:     by_value
      - .offset:         124
        .size:           4
        .value_kind:     by_value
      - .offset:         128
        .size:           4
        .value_kind:     by_value
      - .offset:         132
        .size:           4
        .value_kind:     by_value
      - .offset:         136
        .size:           4
        .value_kind:     by_value
      - .offset:         144
        .size:           4
        .value_kind:     hidden_block_count_x
      - .offset:         148
        .size:           4
        .value_kind:     hidden_block_count_y
      - .offset:         152
        .size:           4
        .value_kind:     hidden_block_count_z
      - .offset:         156
        .size:           2
        .value_kind:     hidden_group_size_x
      - .offset:         158
        .size:           2
        .value_kind:     hidden_group_size_y
      - .offset:         160
        .size:           2
        .value_kind:     hidden_group_size_z
      - .offset:         162
        .size:           2
        .value_kind:     hidden_remainder_x
      - .offset:         164
        .size:           2
        .value_kind:     hidden_remainder_y
      - .offset:         166
        .size:           2
        .value_kind:     hidden_remainder_z
      - .offset:         184
        .size:           8
        .value_kind:     hidden_global_offset_x
      - .offset:         192
        .size:           8
        .value_kind:     hidden_global_offset_y
      - .offset:         200
        .size:           8
        .value_kind:     hidden_global_offset_z
      - .offset:         208
        .size:           2
        .value_kind:     hidden_grid_dims
      - .offset:         264
        .size:           4
        .value_kind:     hidden_dynamic_lds_size
    .group_segment_fixed_size: 544
    .kernarg_segment_align: 8
    .kernarg_segment_size: 400
    .language:       OpenCL C
    .language_version:
      - 2
      - 0
    .max_flat_workgroup_size: 1024
    .name:           _ZN4vllm25paged_attention_v2_kernelIfhLi128ELi16ELi128ELNS_18Fp8KVCacheDataTypeE1ELb0ELi512EEEvPfS2_PT_PKS3_PKT0_S9_ifPKiSB_iPKfiiiSD_SD_iiiii
    .private_segment_fixed_size: 356
    .sgpr_count:     50
    .sgpr_spill_count: 0
    .symbol:         _ZN4vllm25paged_attention_v2_kernelIfhLi128ELi16ELi128ELNS_18Fp8KVCacheDataTypeE1ELb0ELi512EEEvPfS2_PT_PKS3_PKT0_S9_ifPKiSB_iPKfiiiSD_SD_iiiii.kd
    .uniform_work_group_size: 1
    .uses_dynamic_stack: false
    .vgpr_count:     128
    .vgpr_spill_count: 131
    .wavefront_size: 32
    .workgroup_processor_mode: 1
  - .args:
      - .address_space:  global
        .offset:         0
        .size:           8
        .value_kind:     global_buffer
      - .address_space:  global
        .offset:         8
        .size:           8
        .value_kind:     global_buffer
      - .address_space:  global
        .offset:         16
        .size:           8
        .value_kind:     global_buffer
      - .address_space:  global
        .offset:         24
        .size:           8
        .value_kind:     global_buffer
      - .address_space:  global
        .offset:         32
        .size:           8
        .value_kind:     global_buffer
      - .address_space:  global
        .offset:         40
        .size:           8
        .value_kind:     global_buffer
      - .offset:         48
        .size:           4
        .value_kind:     by_value
      - .offset:         52
        .size:           4
        .value_kind:     by_value
      - .address_space:  global
        .offset:         56
        .size:           8
        .value_kind:     global_buffer
      - .address_space:  global
        .offset:         64
        .size:           8
        .value_kind:     global_buffer
      - .offset:         72
        .size:           4
        .value_kind:     by_value
      - .address_space:  global
        .offset:         80
        .size:           8
        .value_kind:     global_buffer
      - .offset:         88
        .size:           4
        .value_kind:     by_value
      - .offset:         92
        .size:           4
        .value_kind:     by_value
      - .offset:         96
        .size:           4
        .value_kind:     by_value
      - .address_space:  global
        .offset:         104
        .size:           8
        .value_kind:     global_buffer
      - .address_space:  global
        .offset:         112
        .size:           8
        .value_kind:     global_buffer
      - .offset:         120
        .size:           4
        .value_kind:     by_value
      - .offset:         124
        .size:           4
        .value_kind:     by_value
      - .offset:         128
        .size:           4
        .value_kind:     by_value
      - .offset:         132
        .size:           4
        .value_kind:     by_value
      - .offset:         136
        .size:           4
        .value_kind:     by_value
      - .offset:         144
        .size:           4
        .value_kind:     hidden_block_count_x
      - .offset:         148
        .size:           4
        .value_kind:     hidden_block_count_y
      - .offset:         152
        .size:           4
        .value_kind:     hidden_block_count_z
      - .offset:         156
        .size:           2
        .value_kind:     hidden_group_size_x
      - .offset:         158
        .size:           2
        .value_kind:     hidden_group_size_y
      - .offset:         160
        .size:           2
        .value_kind:     hidden_group_size_z
      - .offset:         162
        .size:           2
        .value_kind:     hidden_remainder_x
      - .offset:         164
        .size:           2
        .value_kind:     hidden_remainder_y
      - .offset:         166
        .size:           2
        .value_kind:     hidden_remainder_z
      - .offset:         184
        .size:           8
        .value_kind:     hidden_global_offset_x
      - .offset:         192
        .size:           8
        .value_kind:     hidden_global_offset_y
      - .offset:         200
        .size:           8
        .value_kind:     hidden_global_offset_z
      - .offset:         208
        .size:           2
        .value_kind:     hidden_grid_dims
      - .offset:         264
        .size:           4
        .value_kind:     hidden_dynamic_lds_size
    .group_segment_fixed_size: 800
    .kernarg_segment_align: 8
    .kernarg_segment_size: 400
    .language:       OpenCL C
    .language_version:
      - 2
      - 0
    .max_flat_workgroup_size: 1024
    .name:           _ZN4vllm25paged_attention_v2_kernelIfhLi192ELi16ELi128ELNS_18Fp8KVCacheDataTypeE1ELb0ELi512EEEvPfS2_PT_PKS3_PKT0_S9_ifPKiSB_iPKfiiiSD_SD_iiiii
    .private_segment_fixed_size: 1052
    .sgpr_count:     46
    .sgpr_spill_count: 0
    .symbol:         _ZN4vllm25paged_attention_v2_kernelIfhLi192ELi16ELi128ELNS_18Fp8KVCacheDataTypeE1ELb0ELi512EEEvPfS2_PT_PKS3_PKT0_S9_ifPKiSB_iPKfiiiSD_SD_iiiii.kd
    .uniform_work_group_size: 1
    .uses_dynamic_stack: false
    .vgpr_count:     128
    .vgpr_spill_count: 0
    .wavefront_size: 32
    .workgroup_processor_mode: 1
  - .args:
      - .address_space:  global
        .offset:         0
        .size:           8
        .value_kind:     global_buffer
      - .address_space:  global
        .offset:         8
        .size:           8
        .value_kind:     global_buffer
      - .address_space:  global
        .offset:         16
        .size:           8
        .value_kind:     global_buffer
      - .address_space:  global
        .offset:         24
        .size:           8
        .value_kind:     global_buffer
      - .address_space:  global
        .offset:         32
        .size:           8
        .value_kind:     global_buffer
      - .address_space:  global
        .offset:         40
        .size:           8
        .value_kind:     global_buffer
      - .offset:         48
        .size:           4
        .value_kind:     by_value
      - .offset:         52
        .size:           4
        .value_kind:     by_value
      - .address_space:  global
        .offset:         56
        .size:           8
        .value_kind:     global_buffer
      - .address_space:  global
        .offset:         64
        .size:           8
        .value_kind:     global_buffer
      - .offset:         72
        .size:           4
        .value_kind:     by_value
      - .address_space:  global
        .offset:         80
        .size:           8
        .value_kind:     global_buffer
      - .offset:         88
        .size:           4
        .value_kind:     by_value
      - .offset:         92
        .size:           4
        .value_kind:     by_value
      - .offset:         96
        .size:           4
        .value_kind:     by_value
      - .address_space:  global
        .offset:         104
        .size:           8
        .value_kind:     global_buffer
      - .address_space:  global
        .offset:         112
        .size:           8
        .value_kind:     global_buffer
      - .offset:         120
        .size:           4
        .value_kind:     by_value
      - .offset:         124
        .size:           4
        .value_kind:     by_value
      - .offset:         128
        .size:           4
        .value_kind:     by_value
      - .offset:         132
        .size:           4
        .value_kind:     by_value
      - .offset:         136
        .size:           4
        .value_kind:     by_value
      - .offset:         144
        .size:           4
        .value_kind:     hidden_block_count_x
      - .offset:         148
        .size:           4
        .value_kind:     hidden_block_count_y
      - .offset:         152
        .size:           4
        .value_kind:     hidden_block_count_z
      - .offset:         156
        .size:           2
        .value_kind:     hidden_group_size_x
      - .offset:         158
        .size:           2
        .value_kind:     hidden_group_size_y
      - .offset:         160
        .size:           2
        .value_kind:     hidden_group_size_z
      - .offset:         162
        .size:           2
        .value_kind:     hidden_remainder_x
      - .offset:         164
        .size:           2
        .value_kind:     hidden_remainder_y
      - .offset:         166
        .size:           2
        .value_kind:     hidden_remainder_z
      - .offset:         184
        .size:           8
        .value_kind:     hidden_global_offset_x
      - .offset:         192
        .size:           8
        .value_kind:     hidden_global_offset_y
      - .offset:         200
        .size:           8
        .value_kind:     hidden_global_offset_z
      - .offset:         208
        .size:           2
        .value_kind:     hidden_grid_dims
      - .offset:         264
        .size:           4
        .value_kind:     hidden_dynamic_lds_size
    .group_segment_fixed_size: 1056
    .kernarg_segment_align: 8
    .kernarg_segment_size: 400
    .language:       OpenCL C
    .language_version:
      - 2
      - 0
    .max_flat_workgroup_size: 1024
    .name:           _ZN4vllm25paged_attention_v2_kernelIfhLi256ELi16ELi128ELNS_18Fp8KVCacheDataTypeE1ELb0ELi512EEEvPfS2_PT_PKS3_PKT0_S9_ifPKiSB_iPKfiiiSD_SD_iiiii
    .private_segment_fixed_size: 1504
    .sgpr_count:     46
    .sgpr_spill_count: 0
    .symbol:         _ZN4vllm25paged_attention_v2_kernelIfhLi256ELi16ELi128ELNS_18Fp8KVCacheDataTypeE1ELb0ELi512EEEvPfS2_PT_PKS3_PKT0_S9_ifPKiSB_iPKfiiiSD_SD_iiiii.kd
    .uniform_work_group_size: 1
    .uses_dynamic_stack: false
    .vgpr_count:     128
    .vgpr_spill_count: 0
    .wavefront_size: 32
    .workgroup_processor_mode: 1
  - .args:
      - .actual_access:  write_only
        .address_space:  global
        .offset:         0
        .size:           8
        .value_kind:     global_buffer
      - .actual_access:  write_only
        .address_space:  global
        .offset:         8
        .size:           8
        .value_kind:     global_buffer
      - .actual_access:  write_only
        .address_space:  global
        .offset:         16
        .size:           8
        .value_kind:     global_buffer
      - .actual_access:  read_only
        .address_space:  global
        .offset:         24
        .size:           8
        .value_kind:     global_buffer
      - .actual_access:  read_only
        .address_space:  global
        .offset:         32
        .size:           8
        .value_kind:     global_buffer
      - .actual_access:  read_only
        .address_space:  global
        .offset:         40
        .size:           8
        .value_kind:     global_buffer
      - .offset:         48
        .size:           4
        .value_kind:     by_value
      - .offset:         52
        .size:           4
        .value_kind:     by_value
      - .actual_access:  read_only
        .address_space:  global
        .offset:         56
        .size:           8
        .value_kind:     global_buffer
      - .actual_access:  read_only
        .address_space:  global
        .offset:         64
        .size:           8
        .value_kind:     global_buffer
      - .offset:         72
        .size:           4
        .value_kind:     by_value
      - .actual_access:  read_only
        .address_space:  global
        .offset:         80
        .size:           8
        .value_kind:     global_buffer
      - .offset:         88
        .size:           4
        .value_kind:     by_value
      - .offset:         92
        .size:           4
        .value_kind:     by_value
      - .offset:         96
        .size:           4
        .value_kind:     by_value
      - .address_space:  global
        .offset:         104
        .size:           8
        .value_kind:     global_buffer
      - .address_space:  global
        .offset:         112
        .size:           8
        .value_kind:     global_buffer
      - .offset:         120
        .size:           4
        .value_kind:     by_value
      - .offset:         124
        .size:           4
        .value_kind:     by_value
      - .offset:         128
        .size:           4
        .value_kind:     by_value
      - .offset:         132
        .size:           4
        .value_kind:     by_value
      - .offset:         136
        .size:           4
        .value_kind:     by_value
      - .offset:         144
        .size:           4
        .value_kind:     hidden_block_count_x
      - .offset:         148
        .size:           4
        .value_kind:     hidden_block_count_y
      - .offset:         152
        .size:           4
        .value_kind:     hidden_block_count_z
      - .offset:         156
        .size:           2
        .value_kind:     hidden_group_size_x
      - .offset:         158
        .size:           2
        .value_kind:     hidden_group_size_y
      - .offset:         160
        .size:           2
        .value_kind:     hidden_group_size_z
      - .offset:         162
        .size:           2
        .value_kind:     hidden_remainder_x
      - .offset:         164
        .size:           2
        .value_kind:     hidden_remainder_y
      - .offset:         166
        .size:           2
        .value_kind:     hidden_remainder_z
      - .offset:         184
        .size:           8
        .value_kind:     hidden_global_offset_x
      - .offset:         192
        .size:           8
        .value_kind:     hidden_global_offset_y
      - .offset:         200
        .size:           8
        .value_kind:     hidden_global_offset_z
      - .offset:         208
        .size:           2
        .value_kind:     hidden_grid_dims
      - .offset:         264
        .size:           4
        .value_kind:     hidden_dynamic_lds_size
    .group_segment_fixed_size: 160
    .kernarg_segment_align: 8
    .kernarg_segment_size: 400
    .language:       OpenCL C
    .language_version:
      - 2
      - 0
    .max_flat_workgroup_size: 1024
    .name:           _ZN4vllm25paged_attention_v2_kernelIfhLi32ELi32ELi128ELNS_18Fp8KVCacheDataTypeE1ELb1ELi512EEEvPfS2_PT_PKS3_PKT0_S9_ifPKiSB_iPKfiiiSD_SD_iiiii
    .private_segment_fixed_size: 0
    .sgpr_count:     54
    .sgpr_spill_count: 0
    .symbol:         _ZN4vllm25paged_attention_v2_kernelIfhLi32ELi32ELi128ELNS_18Fp8KVCacheDataTypeE1ELb1ELi512EEEvPfS2_PT_PKS3_PKT0_S9_ifPKiSB_iPKfiiiSD_SD_iiiii.kd
    .uniform_work_group_size: 1
    .uses_dynamic_stack: false
    .vgpr_count:     127
    .vgpr_spill_count: 0
    .wavefront_size: 32
    .workgroup_processor_mode: 1
  - .args:
      - .actual_access:  write_only
        .address_space:  global
        .offset:         0
        .size:           8
        .value_kind:     global_buffer
      - .actual_access:  write_only
        .address_space:  global
        .offset:         8
        .size:           8
        .value_kind:     global_buffer
      - .actual_access:  write_only
        .address_space:  global
        .offset:         16
        .size:           8
        .value_kind:     global_buffer
      - .actual_access:  read_only
        .address_space:  global
        .offset:         24
        .size:           8
        .value_kind:     global_buffer
      - .actual_access:  read_only
        .address_space:  global
        .offset:         32
        .size:           8
        .value_kind:     global_buffer
      - .actual_access:  read_only
        .address_space:  global
        .offset:         40
        .size:           8
        .value_kind:     global_buffer
      - .offset:         48
        .size:           4
        .value_kind:     by_value
      - .offset:         52
        .size:           4
        .value_kind:     by_value
      - .actual_access:  read_only
        .address_space:  global
        .offset:         56
        .size:           8
        .value_kind:     global_buffer
      - .actual_access:  read_only
        .address_space:  global
        .offset:         64
        .size:           8
        .value_kind:     global_buffer
      - .offset:         72
        .size:           4
        .value_kind:     by_value
      - .actual_access:  read_only
        .address_space:  global
        .offset:         80
        .size:           8
        .value_kind:     global_buffer
      - .offset:         88
        .size:           4
        .value_kind:     by_value
      - .offset:         92
        .size:           4
        .value_kind:     by_value
      - .offset:         96
        .size:           4
        .value_kind:     by_value
      - .address_space:  global
        .offset:         104
        .size:           8
        .value_kind:     global_buffer
      - .address_space:  global
        .offset:         112
        .size:           8
        .value_kind:     global_buffer
      - .offset:         120
        .size:           4
        .value_kind:     by_value
      - .offset:         124
        .size:           4
        .value_kind:     by_value
      - .offset:         128
        .size:           4
        .value_kind:     by_value
      - .offset:         132
        .size:           4
        .value_kind:     by_value
      - .offset:         136
        .size:           4
        .value_kind:     by_value
      - .offset:         144
        .size:           4
        .value_kind:     hidden_block_count_x
      - .offset:         148
        .size:           4
        .value_kind:     hidden_block_count_y
      - .offset:         152
        .size:           4
        .value_kind:     hidden_block_count_z
      - .offset:         156
        .size:           2
        .value_kind:     hidden_group_size_x
      - .offset:         158
        .size:           2
        .value_kind:     hidden_group_size_y
      - .offset:         160
        .size:           2
        .value_kind:     hidden_group_size_z
      - .offset:         162
        .size:           2
        .value_kind:     hidden_remainder_x
      - .offset:         164
        .size:           2
        .value_kind:     hidden_remainder_y
      - .offset:         166
        .size:           2
        .value_kind:     hidden_remainder_z
      - .offset:         184
        .size:           8
        .value_kind:     hidden_global_offset_x
      - .offset:         192
        .size:           8
        .value_kind:     hidden_global_offset_y
      - .offset:         200
        .size:           8
        .value_kind:     hidden_global_offset_z
      - .offset:         208
        .size:           2
        .value_kind:     hidden_grid_dims
      - .offset:         264
        .size:           4
        .value_kind:     hidden_dynamic_lds_size
    .group_segment_fixed_size: 288
    .kernarg_segment_align: 8
    .kernarg_segment_size: 400
    .language:       OpenCL C
    .language_version:
      - 2
      - 0
    .max_flat_workgroup_size: 1024
    .name:           _ZN4vllm25paged_attention_v2_kernelIfhLi64ELi32ELi128ELNS_18Fp8KVCacheDataTypeE1ELb1ELi512EEEvPfS2_PT_PKS3_PKT0_S9_ifPKiSB_iPKfiiiSD_SD_iiiii
    .private_segment_fixed_size: 368
    .sgpr_count:     58
    .sgpr_spill_count: 0
    .symbol:         _ZN4vllm25paged_attention_v2_kernelIfhLi64ELi32ELi128ELNS_18Fp8KVCacheDataTypeE1ELb1ELi512EEEvPfS2_PT_PKS3_PKT0_S9_ifPKiSB_iPKfiiiSD_SD_iiiii.kd
    .uniform_work_group_size: 1
    .uses_dynamic_stack: false
    .vgpr_count:     128
    .vgpr_spill_count: 151
    .wavefront_size: 32
    .workgroup_processor_mode: 1
  - .args:
      - .address_space:  global
        .offset:         0
        .size:           8
        .value_kind:     global_buffer
      - .address_space:  global
        .offset:         8
        .size:           8
        .value_kind:     global_buffer
      - .address_space:  global
        .offset:         16
        .size:           8
        .value_kind:     global_buffer
      - .address_space:  global
        .offset:         24
        .size:           8
        .value_kind:     global_buffer
      - .address_space:  global
        .offset:         32
        .size:           8
        .value_kind:     global_buffer
      - .address_space:  global
        .offset:         40
        .size:           8
        .value_kind:     global_buffer
      - .offset:         48
        .size:           4
        .value_kind:     by_value
      - .offset:         52
        .size:           4
        .value_kind:     by_value
      - .address_space:  global
        .offset:         56
        .size:           8
        .value_kind:     global_buffer
      - .address_space:  global
        .offset:         64
        .size:           8
        .value_kind:     global_buffer
      - .offset:         72
        .size:           4
        .value_kind:     by_value
      - .address_space:  global
        .offset:         80
        .size:           8
        .value_kind:     global_buffer
      - .offset:         88
        .size:           4
        .value_kind:     by_value
      - .offset:         92
        .size:           4
        .value_kind:     by_value
      - .offset:         96
        .size:           4
        .value_kind:     by_value
      - .address_space:  global
        .offset:         104
        .size:           8
        .value_kind:     global_buffer
      - .address_space:  global
        .offset:         112
        .size:           8
        .value_kind:     global_buffer
      - .offset:         120
        .size:           4
        .value_kind:     by_value
      - .offset:         124
        .size:           4
        .value_kind:     by_value
      - .offset:         128
        .size:           4
        .value_kind:     by_value
      - .offset:         132
        .size:           4
        .value_kind:     by_value
      - .offset:         136
        .size:           4
        .value_kind:     by_value
      - .offset:         144
        .size:           4
        .value_kind:     hidden_block_count_x
      - .offset:         148
        .size:           4
        .value_kind:     hidden_block_count_y
      - .offset:         152
        .size:           4
        .value_kind:     hidden_block_count_z
      - .offset:         156
        .size:           2
        .value_kind:     hidden_group_size_x
      - .offset:         158
        .size:           2
        .value_kind:     hidden_group_size_y
      - .offset:         160
        .size:           2
        .value_kind:     hidden_group_size_z
      - .offset:         162
        .size:           2
        .value_kind:     hidden_remainder_x
      - .offset:         164
        .size:           2
        .value_kind:     hidden_remainder_y
      - .offset:         166
        .size:           2
        .value_kind:     hidden_remainder_z
      - .offset:         184
        .size:           8
        .value_kind:     hidden_global_offset_x
      - .offset:         192
        .size:           8
        .value_kind:     hidden_global_offset_y
      - .offset:         200
        .size:           8
        .value_kind:     hidden_global_offset_z
      - .offset:         208
        .size:           2
        .value_kind:     hidden_grid_dims
      - .offset:         264
        .size:           4
        .value_kind:     hidden_dynamic_lds_size
    .group_segment_fixed_size: 352
    .kernarg_segment_align: 8
    .kernarg_segment_size: 400
    .language:       OpenCL C
    .language_version:
      - 2
      - 0
    .max_flat_workgroup_size: 1024
    .name:           _ZN4vllm25paged_attention_v2_kernelIfhLi80ELi32ELi128ELNS_18Fp8KVCacheDataTypeE1ELb1ELi512EEEvPfS2_PT_PKS3_PKT0_S9_ifPKiSB_iPKfiiiSD_SD_iiiii
    .private_segment_fixed_size: 908
    .sgpr_count:     50
    .sgpr_spill_count: 0
    .symbol:         _ZN4vllm25paged_attention_v2_kernelIfhLi80ELi32ELi128ELNS_18Fp8KVCacheDataTypeE1ELb1ELi512EEEvPfS2_PT_PKS3_PKT0_S9_ifPKiSB_iPKfiiiSD_SD_iiiii.kd
    .uniform_work_group_size: 1
    .uses_dynamic_stack: false
    .vgpr_count:     128
    .vgpr_spill_count: 0
    .wavefront_size: 32
    .workgroup_processor_mode: 1
  - .args:
      - .address_space:  global
        .offset:         0
        .size:           8
        .value_kind:     global_buffer
      - .address_space:  global
        .offset:         8
        .size:           8
        .value_kind:     global_buffer
      - .address_space:  global
        .offset:         16
        .size:           8
        .value_kind:     global_buffer
      - .address_space:  global
        .offset:         24
        .size:           8
        .value_kind:     global_buffer
      - .address_space:  global
        .offset:         32
        .size:           8
        .value_kind:     global_buffer
      - .address_space:  global
        .offset:         40
        .size:           8
        .value_kind:     global_buffer
      - .offset:         48
        .size:           4
        .value_kind:     by_value
      - .offset:         52
        .size:           4
        .value_kind:     by_value
      - .address_space:  global
        .offset:         56
        .size:           8
        .value_kind:     global_buffer
      - .address_space:  global
        .offset:         64
        .size:           8
        .value_kind:     global_buffer
      - .offset:         72
        .size:           4
        .value_kind:     by_value
      - .address_space:  global
        .offset:         80
        .size:           8
        .value_kind:     global_buffer
      - .offset:         88
        .size:           4
        .value_kind:     by_value
      - .offset:         92
        .size:           4
        .value_kind:     by_value
      - .offset:         96
        .size:           4
        .value_kind:     by_value
      - .address_space:  global
        .offset:         104
        .size:           8
        .value_kind:     global_buffer
      - .address_space:  global
        .offset:         112
        .size:           8
        .value_kind:     global_buffer
      - .offset:         120
        .size:           4
        .value_kind:     by_value
      - .offset:         124
        .size:           4
        .value_kind:     by_value
      - .offset:         128
        .size:           4
        .value_kind:     by_value
      - .offset:         132
        .size:           4
        .value_kind:     by_value
      - .offset:         136
        .size:           4
        .value_kind:     by_value
      - .offset:         144
        .size:           4
        .value_kind:     hidden_block_count_x
      - .offset:         148
        .size:           4
        .value_kind:     hidden_block_count_y
      - .offset:         152
        .size:           4
        .value_kind:     hidden_block_count_z
      - .offset:         156
        .size:           2
        .value_kind:     hidden_group_size_x
      - .offset:         158
        .size:           2
        .value_kind:     hidden_group_size_y
      - .offset:         160
        .size:           2
        .value_kind:     hidden_group_size_z
      - .offset:         162
        .size:           2
        .value_kind:     hidden_remainder_x
      - .offset:         164
        .size:           2
        .value_kind:     hidden_remainder_y
      - .offset:         166
        .size:           2
        .value_kind:     hidden_remainder_z
      - .offset:         184
        .size:           8
        .value_kind:     hidden_global_offset_x
      - .offset:         192
        .size:           8
        .value_kind:     hidden_global_offset_y
      - .offset:         200
        .size:           8
        .value_kind:     hidden_global_offset_z
      - .offset:         208
        .size:           2
        .value_kind:     hidden_grid_dims
      - .offset:         264
        .size:           4
        .value_kind:     hidden_dynamic_lds_size
    .group_segment_fixed_size: 416
    .kernarg_segment_align: 8
    .kernarg_segment_size: 400
    .language:       OpenCL C
    .language_version:
      - 2
      - 0
    .max_flat_workgroup_size: 1024
    .name:           _ZN4vllm25paged_attention_v2_kernelIfhLi96ELi32ELi128ELNS_18Fp8KVCacheDataTypeE1ELb1ELi512EEEvPfS2_PT_PKS3_PKT0_S9_ifPKiSB_iPKfiiiSD_SD_iiiii
    .private_segment_fixed_size: 1092
    .sgpr_count:     50
    .sgpr_spill_count: 0
    .symbol:         _ZN4vllm25paged_attention_v2_kernelIfhLi96ELi32ELi128ELNS_18Fp8KVCacheDataTypeE1ELb1ELi512EEEvPfS2_PT_PKS3_PKT0_S9_ifPKiSB_iPKfiiiSD_SD_iiiii.kd
    .uniform_work_group_size: 1
    .uses_dynamic_stack: false
    .vgpr_count:     128
    .vgpr_spill_count: 0
    .wavefront_size: 32
    .workgroup_processor_mode: 1
  - .args:
      - .address_space:  global
        .offset:         0
        .size:           8
        .value_kind:     global_buffer
      - .address_space:  global
        .offset:         8
        .size:           8
        .value_kind:     global_buffer
      - .address_space:  global
        .offset:         16
        .size:           8
        .value_kind:     global_buffer
      - .address_space:  global
        .offset:         24
        .size:           8
        .value_kind:     global_buffer
      - .address_space:  global
        .offset:         32
        .size:           8
        .value_kind:     global_buffer
      - .address_space:  global
        .offset:         40
        .size:           8
        .value_kind:     global_buffer
      - .offset:         48
        .size:           4
        .value_kind:     by_value
      - .offset:         52
        .size:           4
        .value_kind:     by_value
      - .address_space:  global
        .offset:         56
        .size:           8
        .value_kind:     global_buffer
      - .address_space:  global
        .offset:         64
        .size:           8
        .value_kind:     global_buffer
      - .offset:         72
        .size:           4
        .value_kind:     by_value
      - .address_space:  global
        .offset:         80
        .size:           8
        .value_kind:     global_buffer
      - .offset:         88
        .size:           4
        .value_kind:     by_value
      - .offset:         92
        .size:           4
        .value_kind:     by_value
      - .offset:         96
        .size:           4
        .value_kind:     by_value
      - .address_space:  global
        .offset:         104
        .size:           8
        .value_kind:     global_buffer
      - .address_space:  global
        .offset:         112
        .size:           8
        .value_kind:     global_buffer
      - .offset:         120
        .size:           4
        .value_kind:     by_value
      - .offset:         124
        .size:           4
        .value_kind:     by_value
      - .offset:         128
        .size:           4
        .value_kind:     by_value
      - .offset:         132
        .size:           4
        .value_kind:     by_value
      - .offset:         136
        .size:           4
        .value_kind:     by_value
      - .offset:         144
        .size:           4
        .value_kind:     hidden_block_count_x
      - .offset:         148
        .size:           4
        .value_kind:     hidden_block_count_y
      - .offset:         152
        .size:           4
        .value_kind:     hidden_block_count_z
      - .offset:         156
        .size:           2
        .value_kind:     hidden_group_size_x
      - .offset:         158
        .size:           2
        .value_kind:     hidden_group_size_y
      - .offset:         160
        .size:           2
        .value_kind:     hidden_group_size_z
      - .offset:         162
        .size:           2
        .value_kind:     hidden_remainder_x
      - .offset:         164
        .size:           2
        .value_kind:     hidden_remainder_y
      - .offset:         166
        .size:           2
        .value_kind:     hidden_remainder_z
      - .offset:         184
        .size:           8
        .value_kind:     hidden_global_offset_x
      - .offset:         192
        .size:           8
        .value_kind:     hidden_global_offset_y
      - .offset:         200
        .size:           8
        .value_kind:     hidden_global_offset_z
      - .offset:         208
        .size:           2
        .value_kind:     hidden_grid_dims
      - .offset:         264
        .size:           4
        .value_kind:     hidden_dynamic_lds_size
    .group_segment_fixed_size: 480
    .kernarg_segment_align: 8
    .kernarg_segment_size: 400
    .language:       OpenCL C
    .language_version:
      - 2
      - 0
    .max_flat_workgroup_size: 1024
    .name:           _ZN4vllm25paged_attention_v2_kernelIfhLi112ELi32ELi128ELNS_18Fp8KVCacheDataTypeE1ELb1ELi512EEEvPfS2_PT_PKS3_PKT0_S9_ifPKiSB_iPKfiiiSD_SD_iiiii
    .private_segment_fixed_size: 1312
    .sgpr_count:     50
    .sgpr_spill_count: 0
    .symbol:         _ZN4vllm25paged_attention_v2_kernelIfhLi112ELi32ELi128ELNS_18Fp8KVCacheDataTypeE1ELb1ELi512EEEvPfS2_PT_PKS3_PKT0_S9_ifPKiSB_iPKfiiiSD_SD_iiiii.kd
    .uniform_work_group_size: 1
    .uses_dynamic_stack: false
    .vgpr_count:     128
    .vgpr_spill_count: 0
    .wavefront_size: 32
    .workgroup_processor_mode: 1
  - .args:
      - .address_space:  global
        .offset:         0
        .size:           8
        .value_kind:     global_buffer
      - .address_space:  global
        .offset:         8
        .size:           8
        .value_kind:     global_buffer
      - .address_space:  global
        .offset:         16
        .size:           8
        .value_kind:     global_buffer
      - .address_space:  global
        .offset:         24
        .size:           8
        .value_kind:     global_buffer
      - .address_space:  global
        .offset:         32
        .size:           8
        .value_kind:     global_buffer
      - .address_space:  global
        .offset:         40
        .size:           8
        .value_kind:     global_buffer
      - .offset:         48
        .size:           4
        .value_kind:     by_value
      - .offset:         52
        .size:           4
        .value_kind:     by_value
      - .address_space:  global
        .offset:         56
        .size:           8
        .value_kind:     global_buffer
      - .address_space:  global
        .offset:         64
        .size:           8
        .value_kind:     global_buffer
      - .offset:         72
        .size:           4
        .value_kind:     by_value
      - .address_space:  global
        .offset:         80
        .size:           8
        .value_kind:     global_buffer
      - .offset:         88
        .size:           4
        .value_kind:     by_value
      - .offset:         92
        .size:           4
        .value_kind:     by_value
      - .offset:         96
        .size:           4
        .value_kind:     by_value
      - .address_space:  global
        .offset:         104
        .size:           8
        .value_kind:     global_buffer
      - .address_space:  global
        .offset:         112
        .size:           8
        .value_kind:     global_buffer
      - .offset:         120
        .size:           4
        .value_kind:     by_value
      - .offset:         124
        .size:           4
        .value_kind:     by_value
      - .offset:         128
        .size:           4
        .value_kind:     by_value
      - .offset:         132
        .size:           4
        .value_kind:     by_value
      - .offset:         136
        .size:           4
        .value_kind:     by_value
      - .offset:         144
        .size:           4
        .value_kind:     hidden_block_count_x
      - .offset:         148
        .size:           4
        .value_kind:     hidden_block_count_y
      - .offset:         152
        .size:           4
        .value_kind:     hidden_block_count_z
      - .offset:         156
        .size:           2
        .value_kind:     hidden_group_size_x
      - .offset:         158
        .size:           2
        .value_kind:     hidden_group_size_y
      - .offset:         160
        .size:           2
        .value_kind:     hidden_group_size_z
      - .offset:         162
        .size:           2
        .value_kind:     hidden_remainder_x
      - .offset:         164
        .size:           2
        .value_kind:     hidden_remainder_y
      - .offset:         166
        .size:           2
        .value_kind:     hidden_remainder_z
      - .offset:         184
        .size:           8
        .value_kind:     hidden_global_offset_x
      - .offset:         192
        .size:           8
        .value_kind:     hidden_global_offset_y
      - .offset:         200
        .size:           8
        .value_kind:     hidden_global_offset_z
      - .offset:         208
        .size:           2
        .value_kind:     hidden_grid_dims
      - .offset:         264
        .size:           4
        .value_kind:     hidden_dynamic_lds_size
    .group_segment_fixed_size: 512
    .kernarg_segment_align: 8
    .kernarg_segment_size: 400
    .language:       OpenCL C
    .language_version:
      - 2
      - 0
    .max_flat_workgroup_size: 1024
    .name:           _ZN4vllm25paged_attention_v2_kernelIfhLi120ELi32ELi128ELNS_18Fp8KVCacheDataTypeE1ELb1ELi512EEEvPfS2_PT_PKS3_PKT0_S9_ifPKiSB_iPKfiiiSD_SD_iiiii
    .private_segment_fixed_size: 1440
    .sgpr_count:     50
    .sgpr_spill_count: 0
    .symbol:         _ZN4vllm25paged_attention_v2_kernelIfhLi120ELi32ELi128ELNS_18Fp8KVCacheDataTypeE1ELb1ELi512EEEvPfS2_PT_PKS3_PKT0_S9_ifPKiSB_iPKfiiiSD_SD_iiiii.kd
    .uniform_work_group_size: 1
    .uses_dynamic_stack: false
    .vgpr_count:     128
    .vgpr_spill_count: 0
    .wavefront_size: 32
    .workgroup_processor_mode: 1
  - .args:
      - .address_space:  global
        .offset:         0
        .size:           8
        .value_kind:     global_buffer
      - .address_space:  global
        .offset:         8
        .size:           8
        .value_kind:     global_buffer
      - .address_space:  global
        .offset:         16
        .size:           8
        .value_kind:     global_buffer
      - .address_space:  global
        .offset:         24
        .size:           8
        .value_kind:     global_buffer
      - .address_space:  global
        .offset:         32
        .size:           8
        .value_kind:     global_buffer
      - .address_space:  global
        .offset:         40
        .size:           8
        .value_kind:     global_buffer
      - .offset:         48
        .size:           4
        .value_kind:     by_value
      - .offset:         52
        .size:           4
        .value_kind:     by_value
      - .address_space:  global
        .offset:         56
        .size:           8
        .value_kind:     global_buffer
      - .address_space:  global
        .offset:         64
        .size:           8
        .value_kind:     global_buffer
      - .offset:         72
        .size:           4
        .value_kind:     by_value
      - .address_space:  global
        .offset:         80
        .size:           8
        .value_kind:     global_buffer
      - .offset:         88
        .size:           4
        .value_kind:     by_value
      - .offset:         92
        .size:           4
        .value_kind:     by_value
      - .offset:         96
        .size:           4
        .value_kind:     by_value
      - .address_space:  global
        .offset:         104
        .size:           8
        .value_kind:     global_buffer
      - .address_space:  global
        .offset:         112
        .size:           8
        .value_kind:     global_buffer
      - .offset:         120
        .size:           4
        .value_kind:     by_value
      - .offset:         124
        .size:           4
        .value_kind:     by_value
      - .offset:         128
        .size:           4
        .value_kind:     by_value
      - .offset:         132
        .size:           4
        .value_kind:     by_value
      - .offset:         136
        .size:           4
        .value_kind:     by_value
      - .offset:         144
        .size:           4
        .value_kind:     hidden_block_count_x
      - .offset:         148
        .size:           4
        .value_kind:     hidden_block_count_y
      - .offset:         152
        .size:           4
        .value_kind:     hidden_block_count_z
      - .offset:         156
        .size:           2
        .value_kind:     hidden_group_size_x
      - .offset:         158
        .size:           2
        .value_kind:     hidden_group_size_y
      - .offset:         160
        .size:           2
        .value_kind:     hidden_group_size_z
      - .offset:         162
        .size:           2
        .value_kind:     hidden_remainder_x
      - .offset:         164
        .size:           2
        .value_kind:     hidden_remainder_y
      - .offset:         166
        .size:           2
        .value_kind:     hidden_remainder_z
      - .offset:         184
        .size:           8
        .value_kind:     hidden_global_offset_x
      - .offset:         192
        .size:           8
        .value_kind:     hidden_global_offset_y
      - .offset:         200
        .size:           8
        .value_kind:     hidden_global_offset_z
      - .offset:         208
        .size:           2
        .value_kind:     hidden_grid_dims
      - .offset:         264
        .size:           4
        .value_kind:     hidden_dynamic_lds_size
    .group_segment_fixed_size: 544
    .kernarg_segment_align: 8
    .kernarg_segment_size: 400
    .language:       OpenCL C
    .language_version:
      - 2
      - 0
    .max_flat_workgroup_size: 1024
    .name:           _ZN4vllm25paged_attention_v2_kernelIfhLi128ELi32ELi128ELNS_18Fp8KVCacheDataTypeE1ELb1ELi512EEEvPfS2_PT_PKS3_PKT0_S9_ifPKiSB_iPKfiiiSD_SD_iiiii
    .private_segment_fixed_size: 1564
    .sgpr_count:     50
    .sgpr_spill_count: 0
    .symbol:         _ZN4vllm25paged_attention_v2_kernelIfhLi128ELi32ELi128ELNS_18Fp8KVCacheDataTypeE1ELb1ELi512EEEvPfS2_PT_PKS3_PKT0_S9_ifPKiSB_iPKfiiiSD_SD_iiiii.kd
    .uniform_work_group_size: 1
    .uses_dynamic_stack: false
    .vgpr_count:     128
    .vgpr_spill_count: 0
    .wavefront_size: 32
    .workgroup_processor_mode: 1
  - .args:
      - .address_space:  global
        .offset:         0
        .size:           8
        .value_kind:     global_buffer
      - .address_space:  global
        .offset:         8
        .size:           8
        .value_kind:     global_buffer
      - .address_space:  global
        .offset:         16
        .size:           8
        .value_kind:     global_buffer
      - .address_space:  global
        .offset:         24
        .size:           8
        .value_kind:     global_buffer
      - .address_space:  global
        .offset:         32
        .size:           8
        .value_kind:     global_buffer
      - .address_space:  global
        .offset:         40
        .size:           8
        .value_kind:     global_buffer
      - .offset:         48
        .size:           4
        .value_kind:     by_value
      - .offset:         52
        .size:           4
        .value_kind:     by_value
      - .address_space:  global
        .offset:         56
        .size:           8
        .value_kind:     global_buffer
      - .address_space:  global
        .offset:         64
        .size:           8
        .value_kind:     global_buffer
      - .offset:         72
        .size:           4
        .value_kind:     by_value
      - .address_space:  global
        .offset:         80
        .size:           8
        .value_kind:     global_buffer
      - .offset:         88
        .size:           4
        .value_kind:     by_value
      - .offset:         92
        .size:           4
        .value_kind:     by_value
      - .offset:         96
        .size:           4
        .value_kind:     by_value
      - .address_space:  global
        .offset:         104
        .size:           8
        .value_kind:     global_buffer
      - .address_space:  global
        .offset:         112
        .size:           8
        .value_kind:     global_buffer
      - .offset:         120
        .size:           4
        .value_kind:     by_value
      - .offset:         124
        .size:           4
        .value_kind:     by_value
      - .offset:         128
        .size:           4
        .value_kind:     by_value
      - .offset:         132
        .size:           4
        .value_kind:     by_value
      - .offset:         136
        .size:           4
        .value_kind:     by_value
      - .offset:         144
        .size:           4
        .value_kind:     hidden_block_count_x
      - .offset:         148
        .size:           4
        .value_kind:     hidden_block_count_y
      - .offset:         152
        .size:           4
        .value_kind:     hidden_block_count_z
      - .offset:         156
        .size:           2
        .value_kind:     hidden_group_size_x
      - .offset:         158
        .size:           2
        .value_kind:     hidden_group_size_y
      - .offset:         160
        .size:           2
        .value_kind:     hidden_group_size_z
      - .offset:         162
        .size:           2
        .value_kind:     hidden_remainder_x
      - .offset:         164
        .size:           2
        .value_kind:     hidden_remainder_y
      - .offset:         166
        .size:           2
        .value_kind:     hidden_remainder_z
      - .offset:         184
        .size:           8
        .value_kind:     hidden_global_offset_x
      - .offset:         192
        .size:           8
        .value_kind:     hidden_global_offset_y
      - .offset:         200
        .size:           8
        .value_kind:     hidden_global_offset_z
      - .offset:         208
        .size:           2
        .value_kind:     hidden_grid_dims
      - .offset:         264
        .size:           4
        .value_kind:     hidden_dynamic_lds_size
    .group_segment_fixed_size: 800
    .kernarg_segment_align: 8
    .kernarg_segment_size: 400
    .language:       OpenCL C
    .language_version:
      - 2
      - 0
    .max_flat_workgroup_size: 1024
    .name:           _ZN4vllm25paged_attention_v2_kernelIfhLi192ELi32ELi128ELNS_18Fp8KVCacheDataTypeE1ELb1ELi512EEEvPfS2_PT_PKS3_PKT0_S9_ifPKiSB_iPKfiiiSD_SD_iiiii
    .private_segment_fixed_size: 2476
    .sgpr_count:     50
    .sgpr_spill_count: 0
    .symbol:         _ZN4vllm25paged_attention_v2_kernelIfhLi192ELi32ELi128ELNS_18Fp8KVCacheDataTypeE1ELb1ELi512EEEvPfS2_PT_PKS3_PKT0_S9_ifPKiSB_iPKfiiiSD_SD_iiiii.kd
    .uniform_work_group_size: 1
    .uses_dynamic_stack: false
    .vgpr_count:     128
    .vgpr_spill_count: 0
    .wavefront_size: 32
    .workgroup_processor_mode: 1
  - .args:
      - .address_space:  global
        .offset:         0
        .size:           8
        .value_kind:     global_buffer
      - .address_space:  global
        .offset:         8
        .size:           8
        .value_kind:     global_buffer
      - .address_space:  global
        .offset:         16
        .size:           8
        .value_kind:     global_buffer
      - .address_space:  global
        .offset:         24
        .size:           8
        .value_kind:     global_buffer
      - .address_space:  global
        .offset:         32
        .size:           8
        .value_kind:     global_buffer
      - .address_space:  global
        .offset:         40
        .size:           8
        .value_kind:     global_buffer
      - .offset:         48
        .size:           4
        .value_kind:     by_value
      - .offset:         52
        .size:           4
        .value_kind:     by_value
      - .address_space:  global
        .offset:         56
        .size:           8
        .value_kind:     global_buffer
      - .address_space:  global
        .offset:         64
        .size:           8
        .value_kind:     global_buffer
      - .offset:         72
        .size:           4
        .value_kind:     by_value
      - .address_space:  global
        .offset:         80
        .size:           8
        .value_kind:     global_buffer
      - .offset:         88
        .size:           4
        .value_kind:     by_value
      - .offset:         92
        .size:           4
        .value_kind:     by_value
      - .offset:         96
        .size:           4
        .value_kind:     by_value
      - .address_space:  global
        .offset:         104
        .size:           8
        .value_kind:     global_buffer
      - .address_space:  global
        .offset:         112
        .size:           8
        .value_kind:     global_buffer
      - .offset:         120
        .size:           4
        .value_kind:     by_value
      - .offset:         124
        .size:           4
        .value_kind:     by_value
      - .offset:         128
        .size:           4
        .value_kind:     by_value
      - .offset:         132
        .size:           4
        .value_kind:     by_value
      - .offset:         136
        .size:           4
        .value_kind:     by_value
      - .offset:         144
        .size:           4
        .value_kind:     hidden_block_count_x
      - .offset:         148
        .size:           4
        .value_kind:     hidden_block_count_y
      - .offset:         152
        .size:           4
        .value_kind:     hidden_block_count_z
      - .offset:         156
        .size:           2
        .value_kind:     hidden_group_size_x
      - .offset:         158
        .size:           2
        .value_kind:     hidden_group_size_y
      - .offset:         160
        .size:           2
        .value_kind:     hidden_group_size_z
      - .offset:         162
        .size:           2
        .value_kind:     hidden_remainder_x
      - .offset:         164
        .size:           2
        .value_kind:     hidden_remainder_y
      - .offset:         166
        .size:           2
        .value_kind:     hidden_remainder_z
      - .offset:         184
        .size:           8
        .value_kind:     hidden_global_offset_x
      - .offset:         192
        .size:           8
        .value_kind:     hidden_global_offset_y
      - .offset:         200
        .size:           8
        .value_kind:     hidden_global_offset_z
      - .offset:         208
        .size:           2
        .value_kind:     hidden_grid_dims
      - .offset:         264
        .size:           4
        .value_kind:     hidden_dynamic_lds_size
    .group_segment_fixed_size: 1056
    .kernarg_segment_align: 8
    .kernarg_segment_size: 400
    .language:       OpenCL C
    .language_version:
      - 2
      - 0
    .max_flat_workgroup_size: 1024
    .name:           _ZN4vllm25paged_attention_v2_kernelIfhLi256ELi32ELi128ELNS_18Fp8KVCacheDataTypeE1ELb1ELi512EEEvPfS2_PT_PKS3_PKT0_S9_ifPKiSB_iPKfiiiSD_SD_iiiii
    .private_segment_fixed_size: 3268
    .sgpr_count:     50
    .sgpr_spill_count: 0
    .symbol:         _ZN4vllm25paged_attention_v2_kernelIfhLi256ELi32ELi128ELNS_18Fp8KVCacheDataTypeE1ELb1ELi512EEEvPfS2_PT_PKS3_PKT0_S9_ifPKiSB_iPKfiiiSD_SD_iiiii.kd
    .uniform_work_group_size: 1
    .uses_dynamic_stack: false
    .vgpr_count:     128
    .vgpr_spill_count: 0
    .wavefront_size: 32
    .workgroup_processor_mode: 1
  - .args:
      - .actual_access:  write_only
        .address_space:  global
        .offset:         0
        .size:           8
        .value_kind:     global_buffer
      - .actual_access:  write_only
        .address_space:  global
        .offset:         8
        .size:           8
        .value_kind:     global_buffer
      - .actual_access:  write_only
        .address_space:  global
        .offset:         16
        .size:           8
        .value_kind:     global_buffer
      - .actual_access:  read_only
        .address_space:  global
        .offset:         24
        .size:           8
        .value_kind:     global_buffer
      - .actual_access:  read_only
        .address_space:  global
        .offset:         32
        .size:           8
        .value_kind:     global_buffer
      - .actual_access:  read_only
        .address_space:  global
        .offset:         40
        .size:           8
        .value_kind:     global_buffer
      - .offset:         48
        .size:           4
        .value_kind:     by_value
      - .offset:         52
        .size:           4
        .value_kind:     by_value
      - .actual_access:  read_only
        .address_space:  global
        .offset:         56
        .size:           8
        .value_kind:     global_buffer
      - .actual_access:  read_only
        .address_space:  global
        .offset:         64
        .size:           8
        .value_kind:     global_buffer
      - .offset:         72
        .size:           4
        .value_kind:     by_value
      - .actual_access:  read_only
        .address_space:  global
        .offset:         80
        .size:           8
        .value_kind:     global_buffer
      - .offset:         88
        .size:           4
        .value_kind:     by_value
      - .offset:         92
        .size:           4
        .value_kind:     by_value
      - .offset:         96
        .size:           4
        .value_kind:     by_value
      - .address_space:  global
        .offset:         104
        .size:           8
        .value_kind:     global_buffer
      - .address_space:  global
        .offset:         112
        .size:           8
        .value_kind:     global_buffer
      - .offset:         120
        .size:           4
        .value_kind:     by_value
      - .offset:         124
        .size:           4
        .value_kind:     by_value
      - .offset:         128
        .size:           4
        .value_kind:     by_value
      - .offset:         132
        .size:           4
        .value_kind:     by_value
      - .offset:         136
        .size:           4
        .value_kind:     by_value
      - .offset:         144
        .size:           4
        .value_kind:     hidden_block_count_x
      - .offset:         148
        .size:           4
        .value_kind:     hidden_block_count_y
      - .offset:         152
        .size:           4
        .value_kind:     hidden_block_count_z
      - .offset:         156
        .size:           2
        .value_kind:     hidden_group_size_x
      - .offset:         158
        .size:           2
        .value_kind:     hidden_group_size_y
      - .offset:         160
        .size:           2
        .value_kind:     hidden_group_size_z
      - .offset:         162
        .size:           2
        .value_kind:     hidden_remainder_x
      - .offset:         164
        .size:           2
        .value_kind:     hidden_remainder_y
      - .offset:         166
        .size:           2
        .value_kind:     hidden_remainder_z
      - .offset:         184
        .size:           8
        .value_kind:     hidden_global_offset_x
      - .offset:         192
        .size:           8
        .value_kind:     hidden_global_offset_y
      - .offset:         200
        .size:           8
        .value_kind:     hidden_global_offset_z
      - .offset:         208
        .size:           2
        .value_kind:     hidden_grid_dims
      - .offset:         264
        .size:           4
        .value_kind:     hidden_dynamic_lds_size
    .group_segment_fixed_size: 160
    .kernarg_segment_align: 8
    .kernarg_segment_size: 400
    .language:       OpenCL C
    .language_version:
      - 2
      - 0
    .max_flat_workgroup_size: 1024
    .name:           _ZN4vllm25paged_attention_v2_kernelIfhLi32ELi32ELi128ELNS_18Fp8KVCacheDataTypeE1ELb0ELi512EEEvPfS2_PT_PKS3_PKT0_S9_ifPKiSB_iPKfiiiSD_SD_iiiii
    .private_segment_fixed_size: 0
    .sgpr_count:     44
    .sgpr_spill_count: 0
    .symbol:         _ZN4vllm25paged_attention_v2_kernelIfhLi32ELi32ELi128ELNS_18Fp8KVCacheDataTypeE1ELb0ELi512EEEvPfS2_PT_PKS3_PKT0_S9_ifPKiSB_iPKfiiiSD_SD_iiiii.kd
    .uniform_work_group_size: 1
    .uses_dynamic_stack: false
    .vgpr_count:     123
    .vgpr_spill_count: 0
    .wavefront_size: 32
    .workgroup_processor_mode: 1
  - .args:
      - .actual_access:  write_only
        .address_space:  global
        .offset:         0
        .size:           8
        .value_kind:     global_buffer
      - .actual_access:  write_only
        .address_space:  global
        .offset:         8
        .size:           8
        .value_kind:     global_buffer
      - .actual_access:  write_only
        .address_space:  global
        .offset:         16
        .size:           8
        .value_kind:     global_buffer
      - .actual_access:  read_only
        .address_space:  global
        .offset:         24
        .size:           8
        .value_kind:     global_buffer
      - .actual_access:  read_only
        .address_space:  global
        .offset:         32
        .size:           8
        .value_kind:     global_buffer
      - .actual_access:  read_only
        .address_space:  global
        .offset:         40
        .size:           8
        .value_kind:     global_buffer
      - .offset:         48
        .size:           4
        .value_kind:     by_value
      - .offset:         52
        .size:           4
        .value_kind:     by_value
      - .actual_access:  read_only
        .address_space:  global
        .offset:         56
        .size:           8
        .value_kind:     global_buffer
      - .actual_access:  read_only
        .address_space:  global
        .offset:         64
        .size:           8
        .value_kind:     global_buffer
      - .offset:         72
        .size:           4
        .value_kind:     by_value
      - .actual_access:  read_only
        .address_space:  global
        .offset:         80
        .size:           8
        .value_kind:     global_buffer
      - .offset:         88
        .size:           4
        .value_kind:     by_value
      - .offset:         92
        .size:           4
        .value_kind:     by_value
      - .offset:         96
        .size:           4
        .value_kind:     by_value
      - .address_space:  global
        .offset:         104
        .size:           8
        .value_kind:     global_buffer
      - .address_space:  global
        .offset:         112
        .size:           8
        .value_kind:     global_buffer
      - .offset:         120
        .size:           4
        .value_kind:     by_value
      - .offset:         124
        .size:           4
        .value_kind:     by_value
      - .offset:         128
        .size:           4
        .value_kind:     by_value
      - .offset:         132
        .size:           4
        .value_kind:     by_value
      - .offset:         136
        .size:           4
        .value_kind:     by_value
      - .offset:         144
        .size:           4
        .value_kind:     hidden_block_count_x
      - .offset:         148
        .size:           4
        .value_kind:     hidden_block_count_y
      - .offset:         152
        .size:           4
        .value_kind:     hidden_block_count_z
      - .offset:         156
        .size:           2
        .value_kind:     hidden_group_size_x
      - .offset:         158
        .size:           2
        .value_kind:     hidden_group_size_y
      - .offset:         160
        .size:           2
        .value_kind:     hidden_group_size_z
      - .offset:         162
        .size:           2
        .value_kind:     hidden_remainder_x
      - .offset:         164
        .size:           2
        .value_kind:     hidden_remainder_y
      - .offset:         166
        .size:           2
        .value_kind:     hidden_remainder_z
      - .offset:         184
        .size:           8
        .value_kind:     hidden_global_offset_x
      - .offset:         192
        .size:           8
        .value_kind:     hidden_global_offset_y
      - .offset:         200
        .size:           8
        .value_kind:     hidden_global_offset_z
      - .offset:         208
        .size:           2
        .value_kind:     hidden_grid_dims
      - .offset:         264
        .size:           4
        .value_kind:     hidden_dynamic_lds_size
    .group_segment_fixed_size: 288
    .kernarg_segment_align: 8
    .kernarg_segment_size: 400
    .language:       OpenCL C
    .language_version:
      - 2
      - 0
    .max_flat_workgroup_size: 1024
    .name:           _ZN4vllm25paged_attention_v2_kernelIfhLi64ELi32ELi128ELNS_18Fp8KVCacheDataTypeE1ELb0ELi512EEEvPfS2_PT_PKS3_PKT0_S9_ifPKiSB_iPKfiiiSD_SD_iiiii
    .private_segment_fixed_size: 352
    .sgpr_count:     50
    .sgpr_spill_count: 0
    .symbol:         _ZN4vllm25paged_attention_v2_kernelIfhLi64ELi32ELi128ELNS_18Fp8KVCacheDataTypeE1ELb0ELi512EEEvPfS2_PT_PKS3_PKT0_S9_ifPKiSB_iPKfiiiSD_SD_iiiii.kd
    .uniform_work_group_size: 1
    .uses_dynamic_stack: false
    .vgpr_count:     128
    .vgpr_spill_count: 135
    .wavefront_size: 32
    .workgroup_processor_mode: 1
  - .args:
      - .address_space:  global
        .offset:         0
        .size:           8
        .value_kind:     global_buffer
      - .address_space:  global
        .offset:         8
        .size:           8
        .value_kind:     global_buffer
      - .address_space:  global
        .offset:         16
        .size:           8
        .value_kind:     global_buffer
      - .address_space:  global
        .offset:         24
        .size:           8
        .value_kind:     global_buffer
      - .address_space:  global
        .offset:         32
        .size:           8
        .value_kind:     global_buffer
      - .address_space:  global
        .offset:         40
        .size:           8
        .value_kind:     global_buffer
      - .offset:         48
        .size:           4
        .value_kind:     by_value
      - .offset:         52
        .size:           4
        .value_kind:     by_value
      - .address_space:  global
        .offset:         56
        .size:           8
        .value_kind:     global_buffer
      - .address_space:  global
        .offset:         64
        .size:           8
        .value_kind:     global_buffer
      - .offset:         72
        .size:           4
        .value_kind:     by_value
      - .address_space:  global
        .offset:         80
        .size:           8
        .value_kind:     global_buffer
      - .offset:         88
        .size:           4
        .value_kind:     by_value
      - .offset:         92
        .size:           4
        .value_kind:     by_value
      - .offset:         96
        .size:           4
        .value_kind:     by_value
      - .address_space:  global
        .offset:         104
        .size:           8
        .value_kind:     global_buffer
      - .address_space:  global
        .offset:         112
        .size:           8
        .value_kind:     global_buffer
      - .offset:         120
        .size:           4
        .value_kind:     by_value
      - .offset:         124
        .size:           4
        .value_kind:     by_value
      - .offset:         128
        .size:           4
        .value_kind:     by_value
      - .offset:         132
        .size:           4
        .value_kind:     by_value
      - .offset:         136
        .size:           4
        .value_kind:     by_value
      - .offset:         144
        .size:           4
        .value_kind:     hidden_block_count_x
      - .offset:         148
        .size:           4
        .value_kind:     hidden_block_count_y
      - .offset:         152
        .size:           4
        .value_kind:     hidden_block_count_z
      - .offset:         156
        .size:           2
        .value_kind:     hidden_group_size_x
      - .offset:         158
        .size:           2
        .value_kind:     hidden_group_size_y
      - .offset:         160
        .size:           2
        .value_kind:     hidden_group_size_z
      - .offset:         162
        .size:           2
        .value_kind:     hidden_remainder_x
      - .offset:         164
        .size:           2
        .value_kind:     hidden_remainder_y
      - .offset:         166
        .size:           2
        .value_kind:     hidden_remainder_z
      - .offset:         184
        .size:           8
        .value_kind:     hidden_global_offset_x
      - .offset:         192
        .size:           8
        .value_kind:     hidden_global_offset_y
      - .offset:         200
        .size:           8
        .value_kind:     hidden_global_offset_z
      - .offset:         208
        .size:           2
        .value_kind:     hidden_grid_dims
      - .offset:         264
        .size:           4
        .value_kind:     hidden_dynamic_lds_size
    .group_segment_fixed_size: 352
    .kernarg_segment_align: 8
    .kernarg_segment_size: 400
    .language:       OpenCL C
    .language_version:
      - 2
      - 0
    .max_flat_workgroup_size: 1024
    .name:           _ZN4vllm25paged_attention_v2_kernelIfhLi80ELi32ELi128ELNS_18Fp8KVCacheDataTypeE1ELb0ELi512EEEvPfS2_PT_PKS3_PKT0_S9_ifPKiSB_iPKfiiiSD_SD_iiiii
    .private_segment_fixed_size: 840
    .sgpr_count:     46
    .sgpr_spill_count: 0
    .symbol:         _ZN4vllm25paged_attention_v2_kernelIfhLi80ELi32ELi128ELNS_18Fp8KVCacheDataTypeE1ELb0ELi512EEEvPfS2_PT_PKS3_PKT0_S9_ifPKiSB_iPKfiiiSD_SD_iiiii.kd
    .uniform_work_group_size: 1
    .uses_dynamic_stack: false
    .vgpr_count:     128
    .vgpr_spill_count: 0
    .wavefront_size: 32
    .workgroup_processor_mode: 1
  - .args:
      - .address_space:  global
        .offset:         0
        .size:           8
        .value_kind:     global_buffer
      - .address_space:  global
        .offset:         8
        .size:           8
        .value_kind:     global_buffer
      - .address_space:  global
        .offset:         16
        .size:           8
        .value_kind:     global_buffer
      - .address_space:  global
        .offset:         24
        .size:           8
        .value_kind:     global_buffer
      - .address_space:  global
        .offset:         32
        .size:           8
        .value_kind:     global_buffer
      - .address_space:  global
        .offset:         40
        .size:           8
        .value_kind:     global_buffer
      - .offset:         48
        .size:           4
        .value_kind:     by_value
      - .offset:         52
        .size:           4
        .value_kind:     by_value
      - .address_space:  global
        .offset:         56
        .size:           8
        .value_kind:     global_buffer
      - .address_space:  global
        .offset:         64
        .size:           8
        .value_kind:     global_buffer
      - .offset:         72
        .size:           4
        .value_kind:     by_value
      - .address_space:  global
        .offset:         80
        .size:           8
        .value_kind:     global_buffer
      - .offset:         88
        .size:           4
        .value_kind:     by_value
      - .offset:         92
        .size:           4
        .value_kind:     by_value
      - .offset:         96
        .size:           4
        .value_kind:     by_value
      - .address_space:  global
        .offset:         104
        .size:           8
        .value_kind:     global_buffer
      - .address_space:  global
        .offset:         112
        .size:           8
        .value_kind:     global_buffer
      - .offset:         120
        .size:           4
        .value_kind:     by_value
      - .offset:         124
        .size:           4
        .value_kind:     by_value
      - .offset:         128
        .size:           4
        .value_kind:     by_value
      - .offset:         132
        .size:           4
        .value_kind:     by_value
      - .offset:         136
        .size:           4
        .value_kind:     by_value
      - .offset:         144
        .size:           4
        .value_kind:     hidden_block_count_x
      - .offset:         148
        .size:           4
        .value_kind:     hidden_block_count_y
      - .offset:         152
        .size:           4
        .value_kind:     hidden_block_count_z
      - .offset:         156
        .size:           2
        .value_kind:     hidden_group_size_x
      - .offset:         158
        .size:           2
        .value_kind:     hidden_group_size_y
      - .offset:         160
        .size:           2
        .value_kind:     hidden_group_size_z
      - .offset:         162
        .size:           2
        .value_kind:     hidden_remainder_x
      - .offset:         164
        .size:           2
        .value_kind:     hidden_remainder_y
      - .offset:         166
        .size:           2
        .value_kind:     hidden_remainder_z
      - .offset:         184
        .size:           8
        .value_kind:     hidden_global_offset_x
      - .offset:         192
        .size:           8
        .value_kind:     hidden_global_offset_y
      - .offset:         200
        .size:           8
        .value_kind:     hidden_global_offset_z
      - .offset:         208
        .size:           2
        .value_kind:     hidden_grid_dims
      - .offset:         264
        .size:           4
        .value_kind:     hidden_dynamic_lds_size
    .group_segment_fixed_size: 416
    .kernarg_segment_align: 8
    .kernarg_segment_size: 400
    .language:       OpenCL C
    .language_version:
      - 2
      - 0
    .max_flat_workgroup_size: 1024
    .name:           _ZN4vllm25paged_attention_v2_kernelIfhLi96ELi32ELi128ELNS_18Fp8KVCacheDataTypeE1ELb0ELi512EEEvPfS2_PT_PKS3_PKT0_S9_ifPKiSB_iPKfiiiSD_SD_iiiii
    .private_segment_fixed_size: 1048
    .sgpr_count:     46
    .sgpr_spill_count: 0
    .symbol:         _ZN4vllm25paged_attention_v2_kernelIfhLi96ELi32ELi128ELNS_18Fp8KVCacheDataTypeE1ELb0ELi512EEEvPfS2_PT_PKS3_PKT0_S9_ifPKiSB_iPKfiiiSD_SD_iiiii.kd
    .uniform_work_group_size: 1
    .uses_dynamic_stack: false
    .vgpr_count:     128
    .vgpr_spill_count: 0
    .wavefront_size: 32
    .workgroup_processor_mode: 1
  - .args:
      - .address_space:  global
        .offset:         0
        .size:           8
        .value_kind:     global_buffer
      - .address_space:  global
        .offset:         8
        .size:           8
        .value_kind:     global_buffer
      - .address_space:  global
        .offset:         16
        .size:           8
        .value_kind:     global_buffer
      - .address_space:  global
        .offset:         24
        .size:           8
        .value_kind:     global_buffer
      - .address_space:  global
        .offset:         32
        .size:           8
        .value_kind:     global_buffer
      - .address_space:  global
        .offset:         40
        .size:           8
        .value_kind:     global_buffer
      - .offset:         48
        .size:           4
        .value_kind:     by_value
      - .offset:         52
        .size:           4
        .value_kind:     by_value
      - .address_space:  global
        .offset:         56
        .size:           8
        .value_kind:     global_buffer
      - .address_space:  global
        .offset:         64
        .size:           8
        .value_kind:     global_buffer
      - .offset:         72
        .size:           4
        .value_kind:     by_value
      - .address_space:  global
        .offset:         80
        .size:           8
        .value_kind:     global_buffer
      - .offset:         88
        .size:           4
        .value_kind:     by_value
      - .offset:         92
        .size:           4
        .value_kind:     by_value
      - .offset:         96
        .size:           4
        .value_kind:     by_value
      - .address_space:  global
        .offset:         104
        .size:           8
        .value_kind:     global_buffer
      - .address_space:  global
        .offset:         112
        .size:           8
        .value_kind:     global_buffer
      - .offset:         120
        .size:           4
        .value_kind:     by_value
      - .offset:         124
        .size:           4
        .value_kind:     by_value
      - .offset:         128
        .size:           4
        .value_kind:     by_value
      - .offset:         132
        .size:           4
        .value_kind:     by_value
      - .offset:         136
        .size:           4
        .value_kind:     by_value
      - .offset:         144
        .size:           4
        .value_kind:     hidden_block_count_x
      - .offset:         148
        .size:           4
        .value_kind:     hidden_block_count_y
      - .offset:         152
        .size:           4
        .value_kind:     hidden_block_count_z
      - .offset:         156
        .size:           2
        .value_kind:     hidden_group_size_x
      - .offset:         158
        .size:           2
        .value_kind:     hidden_group_size_y
      - .offset:         160
        .size:           2
        .value_kind:     hidden_group_size_z
      - .offset:         162
        .size:           2
        .value_kind:     hidden_remainder_x
      - .offset:         164
        .size:           2
        .value_kind:     hidden_remainder_y
      - .offset:         166
        .size:           2
        .value_kind:     hidden_remainder_z
      - .offset:         184
        .size:           8
        .value_kind:     hidden_global_offset_x
      - .offset:         192
        .size:           8
        .value_kind:     hidden_global_offset_y
      - .offset:         200
        .size:           8
        .value_kind:     hidden_global_offset_z
      - .offset:         208
        .size:           2
        .value_kind:     hidden_grid_dims
      - .offset:         264
        .size:           4
        .value_kind:     hidden_dynamic_lds_size
    .group_segment_fixed_size: 480
    .kernarg_segment_align: 8
    .kernarg_segment_size: 400
    .language:       OpenCL C
    .language_version:
      - 2
      - 0
    .max_flat_workgroup_size: 1024
    .name:           _ZN4vllm25paged_attention_v2_kernelIfhLi112ELi32ELi128ELNS_18Fp8KVCacheDataTypeE1ELb0ELi512EEEvPfS2_PT_PKS3_PKT0_S9_ifPKiSB_iPKfiiiSD_SD_iiiii
    .private_segment_fixed_size: 1252
    .sgpr_count:     46
    .sgpr_spill_count: 0
    .symbol:         _ZN4vllm25paged_attention_v2_kernelIfhLi112ELi32ELi128ELNS_18Fp8KVCacheDataTypeE1ELb0ELi512EEEvPfS2_PT_PKS3_PKT0_S9_ifPKiSB_iPKfiiiSD_SD_iiiii.kd
    .uniform_work_group_size: 1
    .uses_dynamic_stack: false
    .vgpr_count:     128
    .vgpr_spill_count: 0
    .wavefront_size: 32
    .workgroup_processor_mode: 1
  - .args:
      - .address_space:  global
        .offset:         0
        .size:           8
        .value_kind:     global_buffer
      - .address_space:  global
        .offset:         8
        .size:           8
        .value_kind:     global_buffer
      - .address_space:  global
        .offset:         16
        .size:           8
        .value_kind:     global_buffer
      - .address_space:  global
        .offset:         24
        .size:           8
        .value_kind:     global_buffer
      - .address_space:  global
        .offset:         32
        .size:           8
        .value_kind:     global_buffer
      - .address_space:  global
        .offset:         40
        .size:           8
        .value_kind:     global_buffer
      - .offset:         48
        .size:           4
        .value_kind:     by_value
      - .offset:         52
        .size:           4
        .value_kind:     by_value
      - .address_space:  global
        .offset:         56
        .size:           8
        .value_kind:     global_buffer
      - .address_space:  global
        .offset:         64
        .size:           8
        .value_kind:     global_buffer
      - .offset:         72
        .size:           4
        .value_kind:     by_value
      - .address_space:  global
        .offset:         80
        .size:           8
        .value_kind:     global_buffer
      - .offset:         88
        .size:           4
        .value_kind:     by_value
      - .offset:         92
        .size:           4
        .value_kind:     by_value
      - .offset:         96
        .size:           4
        .value_kind:     by_value
      - .address_space:  global
        .offset:         104
        .size:           8
        .value_kind:     global_buffer
      - .address_space:  global
        .offset:         112
        .size:           8
        .value_kind:     global_buffer
      - .offset:         120
        .size:           4
        .value_kind:     by_value
      - .offset:         124
        .size:           4
        .value_kind:     by_value
      - .offset:         128
        .size:           4
        .value_kind:     by_value
      - .offset:         132
        .size:           4
        .value_kind:     by_value
      - .offset:         136
        .size:           4
        .value_kind:     by_value
      - .offset:         144
        .size:           4
        .value_kind:     hidden_block_count_x
      - .offset:         148
        .size:           4
        .value_kind:     hidden_block_count_y
      - .offset:         152
        .size:           4
        .value_kind:     hidden_block_count_z
      - .offset:         156
        .size:           2
        .value_kind:     hidden_group_size_x
      - .offset:         158
        .size:           2
        .value_kind:     hidden_group_size_y
      - .offset:         160
        .size:           2
        .value_kind:     hidden_group_size_z
      - .offset:         162
        .size:           2
        .value_kind:     hidden_remainder_x
      - .offset:         164
        .size:           2
        .value_kind:     hidden_remainder_y
      - .offset:         166
        .size:           2
        .value_kind:     hidden_remainder_z
      - .offset:         184
        .size:           8
        .value_kind:     hidden_global_offset_x
      - .offset:         192
        .size:           8
        .value_kind:     hidden_global_offset_y
      - .offset:         200
        .size:           8
        .value_kind:     hidden_global_offset_z
      - .offset:         208
        .size:           2
        .value_kind:     hidden_grid_dims
      - .offset:         264
        .size:           4
        .value_kind:     hidden_dynamic_lds_size
    .group_segment_fixed_size: 512
    .kernarg_segment_align: 8
    .kernarg_segment_size: 400
    .language:       OpenCL C
    .language_version:
      - 2
      - 0
    .max_flat_workgroup_size: 1024
    .name:           _ZN4vllm25paged_attention_v2_kernelIfhLi120ELi32ELi128ELNS_18Fp8KVCacheDataTypeE1ELb0ELi512EEEvPfS2_PT_PKS3_PKT0_S9_ifPKiSB_iPKfiiiSD_SD_iiiii
    .private_segment_fixed_size: 1392
    .sgpr_count:     46
    .sgpr_spill_count: 0
    .symbol:         _ZN4vllm25paged_attention_v2_kernelIfhLi120ELi32ELi128ELNS_18Fp8KVCacheDataTypeE1ELb0ELi512EEEvPfS2_PT_PKS3_PKT0_S9_ifPKiSB_iPKfiiiSD_SD_iiiii.kd
    .uniform_work_group_size: 1
    .uses_dynamic_stack: false
    .vgpr_count:     128
    .vgpr_spill_count: 0
    .wavefront_size: 32
    .workgroup_processor_mode: 1
  - .args:
      - .address_space:  global
        .offset:         0
        .size:           8
        .value_kind:     global_buffer
      - .address_space:  global
        .offset:         8
        .size:           8
        .value_kind:     global_buffer
      - .address_space:  global
        .offset:         16
        .size:           8
        .value_kind:     global_buffer
      - .address_space:  global
        .offset:         24
        .size:           8
        .value_kind:     global_buffer
      - .address_space:  global
        .offset:         32
        .size:           8
        .value_kind:     global_buffer
      - .address_space:  global
        .offset:         40
        .size:           8
        .value_kind:     global_buffer
      - .offset:         48
        .size:           4
        .value_kind:     by_value
      - .offset:         52
        .size:           4
        .value_kind:     by_value
      - .address_space:  global
        .offset:         56
        .size:           8
        .value_kind:     global_buffer
      - .address_space:  global
        .offset:         64
        .size:           8
        .value_kind:     global_buffer
      - .offset:         72
        .size:           4
        .value_kind:     by_value
      - .address_space:  global
        .offset:         80
        .size:           8
        .value_kind:     global_buffer
      - .offset:         88
        .size:           4
        .value_kind:     by_value
      - .offset:         92
        .size:           4
        .value_kind:     by_value
      - .offset:         96
        .size:           4
        .value_kind:     by_value
      - .address_space:  global
        .offset:         104
        .size:           8
        .value_kind:     global_buffer
      - .address_space:  global
        .offset:         112
        .size:           8
        .value_kind:     global_buffer
      - .offset:         120
        .size:           4
        .value_kind:     by_value
      - .offset:         124
        .size:           4
        .value_kind:     by_value
      - .offset:         128
        .size:           4
        .value_kind:     by_value
      - .offset:         132
        .size:           4
        .value_kind:     by_value
      - .offset:         136
        .size:           4
        .value_kind:     by_value
      - .offset:         144
        .size:           4
        .value_kind:     hidden_block_count_x
      - .offset:         148
        .size:           4
        .value_kind:     hidden_block_count_y
      - .offset:         152
        .size:           4
        .value_kind:     hidden_block_count_z
      - .offset:         156
        .size:           2
        .value_kind:     hidden_group_size_x
      - .offset:         158
        .size:           2
        .value_kind:     hidden_group_size_y
      - .offset:         160
        .size:           2
        .value_kind:     hidden_group_size_z
      - .offset:         162
        .size:           2
        .value_kind:     hidden_remainder_x
      - .offset:         164
        .size:           2
        .value_kind:     hidden_remainder_y
      - .offset:         166
        .size:           2
        .value_kind:     hidden_remainder_z
      - .offset:         184
        .size:           8
        .value_kind:     hidden_global_offset_x
      - .offset:         192
        .size:           8
        .value_kind:     hidden_global_offset_y
      - .offset:         200
        .size:           8
        .value_kind:     hidden_global_offset_z
      - .offset:         208
        .size:           2
        .value_kind:     hidden_grid_dims
      - .offset:         264
        .size:           4
        .value_kind:     hidden_dynamic_lds_size
    .group_segment_fixed_size: 544
    .kernarg_segment_align: 8
    .kernarg_segment_size: 400
    .language:       OpenCL C
    .language_version:
      - 2
      - 0
    .max_flat_workgroup_size: 1024
    .name:           _ZN4vllm25paged_attention_v2_kernelIfhLi128ELi32ELi128ELNS_18Fp8KVCacheDataTypeE1ELb0ELi512EEEvPfS2_PT_PKS3_PKT0_S9_ifPKiSB_iPKfiiiSD_SD_iiiii
    .private_segment_fixed_size: 1504
    .sgpr_count:     46
    .sgpr_spill_count: 0
    .symbol:         _ZN4vllm25paged_attention_v2_kernelIfhLi128ELi32ELi128ELNS_18Fp8KVCacheDataTypeE1ELb0ELi512EEEvPfS2_PT_PKS3_PKT0_S9_ifPKiSB_iPKfiiiSD_SD_iiiii.kd
    .uniform_work_group_size: 1
    .uses_dynamic_stack: false
    .vgpr_count:     128
    .vgpr_spill_count: 0
    .wavefront_size: 32
    .workgroup_processor_mode: 1
  - .args:
      - .address_space:  global
        .offset:         0
        .size:           8
        .value_kind:     global_buffer
      - .address_space:  global
        .offset:         8
        .size:           8
        .value_kind:     global_buffer
      - .address_space:  global
        .offset:         16
        .size:           8
        .value_kind:     global_buffer
      - .address_space:  global
        .offset:         24
        .size:           8
        .value_kind:     global_buffer
      - .address_space:  global
        .offset:         32
        .size:           8
        .value_kind:     global_buffer
      - .address_space:  global
        .offset:         40
        .size:           8
        .value_kind:     global_buffer
      - .offset:         48
        .size:           4
        .value_kind:     by_value
      - .offset:         52
        .size:           4
        .value_kind:     by_value
      - .address_space:  global
        .offset:         56
        .size:           8
        .value_kind:     global_buffer
      - .address_space:  global
        .offset:         64
        .size:           8
        .value_kind:     global_buffer
      - .offset:         72
        .size:           4
        .value_kind:     by_value
      - .address_space:  global
        .offset:         80
        .size:           8
        .value_kind:     global_buffer
      - .offset:         88
        .size:           4
        .value_kind:     by_value
      - .offset:         92
        .size:           4
        .value_kind:     by_value
      - .offset:         96
        .size:           4
        .value_kind:     by_value
      - .address_space:  global
        .offset:         104
        .size:           8
        .value_kind:     global_buffer
      - .address_space:  global
        .offset:         112
        .size:           8
        .value_kind:     global_buffer
      - .offset:         120
        .size:           4
        .value_kind:     by_value
      - .offset:         124
        .size:           4
        .value_kind:     by_value
      - .offset:         128
        .size:           4
        .value_kind:     by_value
      - .offset:         132
        .size:           4
        .value_kind:     by_value
      - .offset:         136
        .size:           4
        .value_kind:     by_value
      - .offset:         144
        .size:           4
        .value_kind:     hidden_block_count_x
      - .offset:         148
        .size:           4
        .value_kind:     hidden_block_count_y
      - .offset:         152
        .size:           4
        .value_kind:     hidden_block_count_z
      - .offset:         156
        .size:           2
        .value_kind:     hidden_group_size_x
      - .offset:         158
        .size:           2
        .value_kind:     hidden_group_size_y
      - .offset:         160
        .size:           2
        .value_kind:     hidden_group_size_z
      - .offset:         162
        .size:           2
        .value_kind:     hidden_remainder_x
      - .offset:         164
        .size:           2
        .value_kind:     hidden_remainder_y
      - .offset:         166
        .size:           2
        .value_kind:     hidden_remainder_z
      - .offset:         184
        .size:           8
        .value_kind:     hidden_global_offset_x
      - .offset:         192
        .size:           8
        .value_kind:     hidden_global_offset_y
      - .offset:         200
        .size:           8
        .value_kind:     hidden_global_offset_z
      - .offset:         208
        .size:           2
        .value_kind:     hidden_grid_dims
      - .offset:         264
        .size:           4
        .value_kind:     hidden_dynamic_lds_size
    .group_segment_fixed_size: 800
    .kernarg_segment_align: 8
    .kernarg_segment_size: 400
    .language:       OpenCL C
    .language_version:
      - 2
      - 0
    .max_flat_workgroup_size: 1024
    .name:           _ZN4vllm25paged_attention_v2_kernelIfhLi192ELi32ELi128ELNS_18Fp8KVCacheDataTypeE1ELb0ELi512EEEvPfS2_PT_PKS3_PKT0_S9_ifPKiSB_iPKfiiiSD_SD_iiiii
    .private_segment_fixed_size: 2404
    .sgpr_count:     46
    .sgpr_spill_count: 0
    .symbol:         _ZN4vllm25paged_attention_v2_kernelIfhLi192ELi32ELi128ELNS_18Fp8KVCacheDataTypeE1ELb0ELi512EEEvPfS2_PT_PKS3_PKT0_S9_ifPKiSB_iPKfiiiSD_SD_iiiii.kd
    .uniform_work_group_size: 1
    .uses_dynamic_stack: false
    .vgpr_count:     128
    .vgpr_spill_count: 0
    .wavefront_size: 32
    .workgroup_processor_mode: 1
  - .args:
      - .address_space:  global
        .offset:         0
        .size:           8
        .value_kind:     global_buffer
      - .address_space:  global
        .offset:         8
        .size:           8
        .value_kind:     global_buffer
      - .address_space:  global
        .offset:         16
        .size:           8
        .value_kind:     global_buffer
      - .address_space:  global
        .offset:         24
        .size:           8
        .value_kind:     global_buffer
      - .address_space:  global
        .offset:         32
        .size:           8
        .value_kind:     global_buffer
      - .address_space:  global
        .offset:         40
        .size:           8
        .value_kind:     global_buffer
      - .offset:         48
        .size:           4
        .value_kind:     by_value
      - .offset:         52
        .size:           4
        .value_kind:     by_value
      - .address_space:  global
        .offset:         56
        .size:           8
        .value_kind:     global_buffer
      - .address_space:  global
        .offset:         64
        .size:           8
        .value_kind:     global_buffer
      - .offset:         72
        .size:           4
        .value_kind:     by_value
      - .address_space:  global
        .offset:         80
        .size:           8
        .value_kind:     global_buffer
      - .offset:         88
        .size:           4
        .value_kind:     by_value
      - .offset:         92
        .size:           4
        .value_kind:     by_value
      - .offset:         96
        .size:           4
        .value_kind:     by_value
      - .address_space:  global
        .offset:         104
        .size:           8
        .value_kind:     global_buffer
      - .address_space:  global
        .offset:         112
        .size:           8
        .value_kind:     global_buffer
      - .offset:         120
        .size:           4
        .value_kind:     by_value
      - .offset:         124
        .size:           4
        .value_kind:     by_value
      - .offset:         128
        .size:           4
        .value_kind:     by_value
      - .offset:         132
        .size:           4
        .value_kind:     by_value
      - .offset:         136
        .size:           4
        .value_kind:     by_value
      - .offset:         144
        .size:           4
        .value_kind:     hidden_block_count_x
      - .offset:         148
        .size:           4
        .value_kind:     hidden_block_count_y
      - .offset:         152
        .size:           4
        .value_kind:     hidden_block_count_z
      - .offset:         156
        .size:           2
        .value_kind:     hidden_group_size_x
      - .offset:         158
        .size:           2
        .value_kind:     hidden_group_size_y
      - .offset:         160
        .size:           2
        .value_kind:     hidden_group_size_z
      - .offset:         162
        .size:           2
        .value_kind:     hidden_remainder_x
      - .offset:         164
        .size:           2
        .value_kind:     hidden_remainder_y
      - .offset:         166
        .size:           2
        .value_kind:     hidden_remainder_z
      - .offset:         184
        .size:           8
        .value_kind:     hidden_global_offset_x
      - .offset:         192
        .size:           8
        .value_kind:     hidden_global_offset_y
      - .offset:         200
        .size:           8
        .value_kind:     hidden_global_offset_z
      - .offset:         208
        .size:           2
        .value_kind:     hidden_grid_dims
      - .offset:         264
        .size:           4
        .value_kind:     hidden_dynamic_lds_size
    .group_segment_fixed_size: 1056
    .kernarg_segment_align: 8
    .kernarg_segment_size: 400
    .language:       OpenCL C
    .language_version:
      - 2
      - 0
    .max_flat_workgroup_size: 1024
    .name:           _ZN4vllm25paged_attention_v2_kernelIfhLi256ELi32ELi128ELNS_18Fp8KVCacheDataTypeE1ELb0ELi512EEEvPfS2_PT_PKS3_PKT0_S9_ifPKiSB_iPKfiiiSD_SD_iiiii
    .private_segment_fixed_size: 3192
    .sgpr_count:     46
    .sgpr_spill_count: 0
    .symbol:         _ZN4vllm25paged_attention_v2_kernelIfhLi256ELi32ELi128ELNS_18Fp8KVCacheDataTypeE1ELb0ELi512EEEvPfS2_PT_PKS3_PKT0_S9_ifPKiSB_iPKfiiiSD_SD_iiiii.kd
    .uniform_work_group_size: 1
    .uses_dynamic_stack: false
    .vgpr_count:     128
    .vgpr_spill_count: 0
    .wavefront_size: 32
    .workgroup_processor_mode: 1
  - .args:
      - .actual_access:  write_only
        .address_space:  global
        .offset:         0
        .size:           8
        .value_kind:     global_buffer
      - .actual_access:  write_only
        .address_space:  global
        .offset:         8
        .size:           8
        .value_kind:     global_buffer
      - .actual_access:  write_only
        .address_space:  global
        .offset:         16
        .size:           8
        .value_kind:     global_buffer
      - .actual_access:  read_only
        .address_space:  global
        .offset:         24
        .size:           8
        .value_kind:     global_buffer
      - .actual_access:  read_only
        .address_space:  global
        .offset:         32
        .size:           8
        .value_kind:     global_buffer
      - .actual_access:  read_only
        .address_space:  global
        .offset:         40
        .size:           8
        .value_kind:     global_buffer
      - .offset:         48
        .size:           4
        .value_kind:     by_value
      - .offset:         52
        .size:           4
        .value_kind:     by_value
      - .actual_access:  read_only
        .address_space:  global
        .offset:         56
        .size:           8
        .value_kind:     global_buffer
      - .actual_access:  read_only
        .address_space:  global
        .offset:         64
        .size:           8
        .value_kind:     global_buffer
      - .offset:         72
        .size:           4
        .value_kind:     by_value
      - .actual_access:  read_only
        .address_space:  global
        .offset:         80
        .size:           8
        .value_kind:     global_buffer
      - .offset:         88
        .size:           4
        .value_kind:     by_value
      - .offset:         92
        .size:           4
        .value_kind:     by_value
      - .offset:         96
        .size:           4
        .value_kind:     by_value
      - .address_space:  global
        .offset:         104
        .size:           8
        .value_kind:     global_buffer
      - .address_space:  global
        .offset:         112
        .size:           8
        .value_kind:     global_buffer
      - .offset:         120
        .size:           4
        .value_kind:     by_value
      - .offset:         124
        .size:           4
        .value_kind:     by_value
      - .offset:         128
        .size:           4
        .value_kind:     by_value
      - .offset:         132
        .size:           4
        .value_kind:     by_value
      - .offset:         136
        .size:           4
        .value_kind:     by_value
      - .offset:         144
        .size:           4
        .value_kind:     hidden_block_count_x
      - .offset:         148
        .size:           4
        .value_kind:     hidden_block_count_y
      - .offset:         152
        .size:           4
        .value_kind:     hidden_block_count_z
      - .offset:         156
        .size:           2
        .value_kind:     hidden_group_size_x
      - .offset:         158
        .size:           2
        .value_kind:     hidden_group_size_y
      - .offset:         160
        .size:           2
        .value_kind:     hidden_group_size_z
      - .offset:         162
        .size:           2
        .value_kind:     hidden_remainder_x
      - .offset:         164
        .size:           2
        .value_kind:     hidden_remainder_y
      - .offset:         166
        .size:           2
        .value_kind:     hidden_remainder_z
      - .offset:         184
        .size:           8
        .value_kind:     hidden_global_offset_x
      - .offset:         192
        .size:           8
        .value_kind:     hidden_global_offset_y
      - .offset:         200
        .size:           8
        .value_kind:     hidden_global_offset_z
      - .offset:         208
        .size:           2
        .value_kind:     hidden_grid_dims
      - .offset:         264
        .size:           4
        .value_kind:     hidden_dynamic_lds_size
    .group_segment_fixed_size: 96
    .kernarg_segment_align: 8
    .kernarg_segment_size: 400
    .language:       OpenCL C
    .language_version:
      - 2
      - 0
    .max_flat_workgroup_size: 1024
    .name:           _ZN4vllm25paged_attention_v2_kernelIthLi32ELi8ELi128ELNS_18Fp8KVCacheDataTypeE1ELb1ELi512EEEvPfS2_PT_PKS3_PKT0_S9_ifPKiSB_iPKfiiiSD_SD_iiiii
    .private_segment_fixed_size: 0
    .sgpr_count:     54
    .sgpr_spill_count: 0
    .symbol:         _ZN4vllm25paged_attention_v2_kernelIthLi32ELi8ELi128ELNS_18Fp8KVCacheDataTypeE1ELb1ELi512EEEvPfS2_PT_PKS3_PKT0_S9_ifPKiSB_iPKfiiiSD_SD_iiiii.kd
    .uniform_work_group_size: 1
    .uses_dynamic_stack: false
    .vgpr_count:     42
    .vgpr_spill_count: 0
    .wavefront_size: 32
    .workgroup_processor_mode: 1
  - .args:
      - .actual_access:  write_only
        .address_space:  global
        .offset:         0
        .size:           8
        .value_kind:     global_buffer
      - .actual_access:  write_only
        .address_space:  global
        .offset:         8
        .size:           8
        .value_kind:     global_buffer
      - .actual_access:  write_only
        .address_space:  global
        .offset:         16
        .size:           8
        .value_kind:     global_buffer
      - .actual_access:  read_only
        .address_space:  global
        .offset:         24
        .size:           8
        .value_kind:     global_buffer
      - .actual_access:  read_only
        .address_space:  global
        .offset:         32
        .size:           8
        .value_kind:     global_buffer
      - .actual_access:  read_only
        .address_space:  global
        .offset:         40
        .size:           8
        .value_kind:     global_buffer
      - .offset:         48
        .size:           4
        .value_kind:     by_value
      - .offset:         52
        .size:           4
        .value_kind:     by_value
      - .actual_access:  read_only
        .address_space:  global
        .offset:         56
        .size:           8
        .value_kind:     global_buffer
      - .actual_access:  read_only
        .address_space:  global
        .offset:         64
        .size:           8
        .value_kind:     global_buffer
      - .offset:         72
        .size:           4
        .value_kind:     by_value
      - .actual_access:  read_only
        .address_space:  global
        .offset:         80
        .size:           8
        .value_kind:     global_buffer
      - .offset:         88
        .size:           4
        .value_kind:     by_value
      - .offset:         92
        .size:           4
        .value_kind:     by_value
      - .offset:         96
        .size:           4
        .value_kind:     by_value
      - .address_space:  global
        .offset:         104
        .size:           8
        .value_kind:     global_buffer
      - .address_space:  global
        .offset:         112
        .size:           8
        .value_kind:     global_buffer
      - .offset:         120
        .size:           4
        .value_kind:     by_value
      - .offset:         124
        .size:           4
        .value_kind:     by_value
      - .offset:         128
        .size:           4
        .value_kind:     by_value
      - .offset:         132
        .size:           4
        .value_kind:     by_value
      - .offset:         136
        .size:           4
        .value_kind:     by_value
      - .offset:         144
        .size:           4
        .value_kind:     hidden_block_count_x
      - .offset:         148
        .size:           4
        .value_kind:     hidden_block_count_y
      - .offset:         152
        .size:           4
        .value_kind:     hidden_block_count_z
      - .offset:         156
        .size:           2
        .value_kind:     hidden_group_size_x
      - .offset:         158
        .size:           2
        .value_kind:     hidden_group_size_y
      - .offset:         160
        .size:           2
        .value_kind:     hidden_group_size_z
      - .offset:         162
        .size:           2
        .value_kind:     hidden_remainder_x
      - .offset:         164
        .size:           2
        .value_kind:     hidden_remainder_y
      - .offset:         166
        .size:           2
        .value_kind:     hidden_remainder_z
      - .offset:         184
        .size:           8
        .value_kind:     hidden_global_offset_x
      - .offset:         192
        .size:           8
        .value_kind:     hidden_global_offset_y
      - .offset:         200
        .size:           8
        .value_kind:     hidden_global_offset_z
      - .offset:         208
        .size:           2
        .value_kind:     hidden_grid_dims
      - .offset:         264
        .size:           4
        .value_kind:     hidden_dynamic_lds_size
    .group_segment_fixed_size: 160
    .kernarg_segment_align: 8
    .kernarg_segment_size: 400
    .language:       OpenCL C
    .language_version:
      - 2
      - 0
    .max_flat_workgroup_size: 1024
    .name:           _ZN4vllm25paged_attention_v2_kernelIthLi64ELi8ELi128ELNS_18Fp8KVCacheDataTypeE1ELb1ELi512EEEvPfS2_PT_PKS3_PKT0_S9_ifPKiSB_iPKfiiiSD_SD_iiiii
    .private_segment_fixed_size: 0
    .sgpr_count:     55
    .sgpr_spill_count: 0
    .symbol:         _ZN4vllm25paged_attention_v2_kernelIthLi64ELi8ELi128ELNS_18Fp8KVCacheDataTypeE1ELb1ELi512EEEvPfS2_PT_PKS3_PKT0_S9_ifPKiSB_iPKfiiiSD_SD_iiiii.kd
    .uniform_work_group_size: 1
    .uses_dynamic_stack: false
    .vgpr_count:     55
    .vgpr_spill_count: 0
    .wavefront_size: 32
    .workgroup_processor_mode: 1
  - .args:
      - .actual_access:  write_only
        .address_space:  global
        .offset:         0
        .size:           8
        .value_kind:     global_buffer
      - .actual_access:  write_only
        .address_space:  global
        .offset:         8
        .size:           8
        .value_kind:     global_buffer
      - .actual_access:  write_only
        .address_space:  global
        .offset:         16
        .size:           8
        .value_kind:     global_buffer
      - .actual_access:  read_only
        .address_space:  global
        .offset:         24
        .size:           8
        .value_kind:     global_buffer
      - .actual_access:  read_only
        .address_space:  global
        .offset:         32
        .size:           8
        .value_kind:     global_buffer
      - .actual_access:  read_only
        .address_space:  global
        .offset:         40
        .size:           8
        .value_kind:     global_buffer
      - .offset:         48
        .size:           4
        .value_kind:     by_value
      - .offset:         52
        .size:           4
        .value_kind:     by_value
      - .actual_access:  read_only
        .address_space:  global
        .offset:         56
        .size:           8
        .value_kind:     global_buffer
      - .actual_access:  read_only
        .address_space:  global
        .offset:         64
        .size:           8
        .value_kind:     global_buffer
      - .offset:         72
        .size:           4
        .value_kind:     by_value
      - .actual_access:  read_only
        .address_space:  global
        .offset:         80
        .size:           8
        .value_kind:     global_buffer
      - .offset:         88
        .size:           4
        .value_kind:     by_value
      - .offset:         92
        .size:           4
        .value_kind:     by_value
      - .offset:         96
        .size:           4
        .value_kind:     by_value
      - .address_space:  global
        .offset:         104
        .size:           8
        .value_kind:     global_buffer
      - .address_space:  global
        .offset:         112
        .size:           8
        .value_kind:     global_buffer
      - .offset:         120
        .size:           4
        .value_kind:     by_value
      - .offset:         124
        .size:           4
        .value_kind:     by_value
      - .offset:         128
        .size:           4
        .value_kind:     by_value
      - .offset:         132
        .size:           4
        .value_kind:     by_value
      - .offset:         136
        .size:           4
        .value_kind:     by_value
      - .offset:         144
        .size:           4
        .value_kind:     hidden_block_count_x
      - .offset:         148
        .size:           4
        .value_kind:     hidden_block_count_y
      - .offset:         152
        .size:           4
        .value_kind:     hidden_block_count_z
      - .offset:         156
        .size:           2
        .value_kind:     hidden_group_size_x
      - .offset:         158
        .size:           2
        .value_kind:     hidden_group_size_y
      - .offset:         160
        .size:           2
        .value_kind:     hidden_group_size_z
      - .offset:         162
        .size:           2
        .value_kind:     hidden_remainder_x
      - .offset:         164
        .size:           2
        .value_kind:     hidden_remainder_y
      - .offset:         166
        .size:           2
        .value_kind:     hidden_remainder_z
      - .offset:         184
        .size:           8
        .value_kind:     hidden_global_offset_x
      - .offset:         192
        .size:           8
        .value_kind:     hidden_global_offset_y
      - .offset:         200
        .size:           8
        .value_kind:     hidden_global_offset_z
      - .offset:         208
        .size:           2
        .value_kind:     hidden_grid_dims
      - .offset:         264
        .size:           4
        .value_kind:     hidden_dynamic_lds_size
    .group_segment_fixed_size: 192
    .kernarg_segment_align: 8
    .kernarg_segment_size: 400
    .language:       OpenCL C
    .language_version:
      - 2
      - 0
    .max_flat_workgroup_size: 1024
    .name:           _ZN4vllm25paged_attention_v2_kernelIthLi80ELi8ELi128ELNS_18Fp8KVCacheDataTypeE1ELb1ELi512EEEvPfS2_PT_PKS3_PKT0_S9_ifPKiSB_iPKfiiiSD_SD_iiiii
    .private_segment_fixed_size: 0
    .sgpr_count:     54
    .sgpr_spill_count: 0
    .symbol:         _ZN4vllm25paged_attention_v2_kernelIthLi80ELi8ELi128ELNS_18Fp8KVCacheDataTypeE1ELb1ELi512EEEvPfS2_PT_PKS3_PKT0_S9_ifPKiSB_iPKfiiiSD_SD_iiiii.kd
    .uniform_work_group_size: 1
    .uses_dynamic_stack: false
    .vgpr_count:     63
    .vgpr_spill_count: 0
    .wavefront_size: 32
    .workgroup_processor_mode: 1
  - .args:
      - .actual_access:  write_only
        .address_space:  global
        .offset:         0
        .size:           8
        .value_kind:     global_buffer
      - .actual_access:  write_only
        .address_space:  global
        .offset:         8
        .size:           8
        .value_kind:     global_buffer
      - .actual_access:  write_only
        .address_space:  global
        .offset:         16
        .size:           8
        .value_kind:     global_buffer
      - .actual_access:  read_only
        .address_space:  global
        .offset:         24
        .size:           8
        .value_kind:     global_buffer
      - .actual_access:  read_only
        .address_space:  global
        .offset:         32
        .size:           8
        .value_kind:     global_buffer
      - .actual_access:  read_only
        .address_space:  global
        .offset:         40
        .size:           8
        .value_kind:     global_buffer
      - .offset:         48
        .size:           4
        .value_kind:     by_value
      - .offset:         52
        .size:           4
        .value_kind:     by_value
      - .actual_access:  read_only
        .address_space:  global
        .offset:         56
        .size:           8
        .value_kind:     global_buffer
      - .actual_access:  read_only
        .address_space:  global
        .offset:         64
        .size:           8
        .value_kind:     global_buffer
      - .offset:         72
        .size:           4
        .value_kind:     by_value
      - .actual_access:  read_only
        .address_space:  global
        .offset:         80
        .size:           8
        .value_kind:     global_buffer
      - .offset:         88
        .size:           4
        .value_kind:     by_value
      - .offset:         92
        .size:           4
        .value_kind:     by_value
      - .offset:         96
        .size:           4
        .value_kind:     by_value
      - .address_space:  global
        .offset:         104
        .size:           8
        .value_kind:     global_buffer
      - .address_space:  global
        .offset:         112
        .size:           8
        .value_kind:     global_buffer
      - .offset:         120
        .size:           4
        .value_kind:     by_value
      - .offset:         124
        .size:           4
        .value_kind:     by_value
      - .offset:         128
        .size:           4
        .value_kind:     by_value
      - .offset:         132
        .size:           4
        .value_kind:     by_value
      - .offset:         136
        .size:           4
        .value_kind:     by_value
      - .offset:         144
        .size:           4
        .value_kind:     hidden_block_count_x
      - .offset:         148
        .size:           4
        .value_kind:     hidden_block_count_y
      - .offset:         152
        .size:           4
        .value_kind:     hidden_block_count_z
      - .offset:         156
        .size:           2
        .value_kind:     hidden_group_size_x
      - .offset:         158
        .size:           2
        .value_kind:     hidden_group_size_y
      - .offset:         160
        .size:           2
        .value_kind:     hidden_group_size_z
      - .offset:         162
        .size:           2
        .value_kind:     hidden_remainder_x
      - .offset:         164
        .size:           2
        .value_kind:     hidden_remainder_y
      - .offset:         166
        .size:           2
        .value_kind:     hidden_remainder_z
      - .offset:         184
        .size:           8
        .value_kind:     hidden_global_offset_x
      - .offset:         192
        .size:           8
        .value_kind:     hidden_global_offset_y
      - .offset:         200
        .size:           8
        .value_kind:     hidden_global_offset_z
      - .offset:         208
        .size:           2
        .value_kind:     hidden_grid_dims
      - .offset:         264
        .size:           4
        .value_kind:     hidden_dynamic_lds_size
    .group_segment_fixed_size: 224
    .kernarg_segment_align: 8
    .kernarg_segment_size: 400
    .language:       OpenCL C
    .language_version:
      - 2
      - 0
    .max_flat_workgroup_size: 1024
    .name:           _ZN4vllm25paged_attention_v2_kernelIthLi96ELi8ELi128ELNS_18Fp8KVCacheDataTypeE1ELb1ELi512EEEvPfS2_PT_PKS3_PKT0_S9_ifPKiSB_iPKfiiiSD_SD_iiiii
    .private_segment_fixed_size: 0
    .sgpr_count:     54
    .sgpr_spill_count: 0
    .symbol:         _ZN4vllm25paged_attention_v2_kernelIthLi96ELi8ELi128ELNS_18Fp8KVCacheDataTypeE1ELb1ELi512EEEvPfS2_PT_PKS3_PKT0_S9_ifPKiSB_iPKfiiiSD_SD_iiiii.kd
    .uniform_work_group_size: 1
    .uses_dynamic_stack: false
    .vgpr_count:     70
    .vgpr_spill_count: 0
    .wavefront_size: 32
    .workgroup_processor_mode: 1
  - .args:
      - .actual_access:  write_only
        .address_space:  global
        .offset:         0
        .size:           8
        .value_kind:     global_buffer
      - .actual_access:  write_only
        .address_space:  global
        .offset:         8
        .size:           8
        .value_kind:     global_buffer
      - .actual_access:  write_only
        .address_space:  global
        .offset:         16
        .size:           8
        .value_kind:     global_buffer
      - .actual_access:  read_only
        .address_space:  global
        .offset:         24
        .size:           8
        .value_kind:     global_buffer
      - .actual_access:  read_only
        .address_space:  global
        .offset:         32
        .size:           8
        .value_kind:     global_buffer
      - .actual_access:  read_only
        .address_space:  global
        .offset:         40
        .size:           8
        .value_kind:     global_buffer
      - .offset:         48
        .size:           4
        .value_kind:     by_value
      - .offset:         52
        .size:           4
        .value_kind:     by_value
      - .actual_access:  read_only
        .address_space:  global
        .offset:         56
        .size:           8
        .value_kind:     global_buffer
      - .actual_access:  read_only
        .address_space:  global
        .offset:         64
        .size:           8
        .value_kind:     global_buffer
      - .offset:         72
        .size:           4
        .value_kind:     by_value
      - .actual_access:  read_only
        .address_space:  global
        .offset:         80
        .size:           8
        .value_kind:     global_buffer
      - .offset:         88
        .size:           4
        .value_kind:     by_value
      - .offset:         92
        .size:           4
        .value_kind:     by_value
      - .offset:         96
        .size:           4
        .value_kind:     by_value
      - .address_space:  global
        .offset:         104
        .size:           8
        .value_kind:     global_buffer
      - .address_space:  global
        .offset:         112
        .size:           8
        .value_kind:     global_buffer
      - .offset:         120
        .size:           4
        .value_kind:     by_value
      - .offset:         124
        .size:           4
        .value_kind:     by_value
      - .offset:         128
        .size:           4
        .value_kind:     by_value
      - .offset:         132
        .size:           4
        .value_kind:     by_value
      - .offset:         136
        .size:           4
        .value_kind:     by_value
      - .offset:         144
        .size:           4
        .value_kind:     hidden_block_count_x
      - .offset:         148
        .size:           4
        .value_kind:     hidden_block_count_y
      - .offset:         152
        .size:           4
        .value_kind:     hidden_block_count_z
      - .offset:         156
        .size:           2
        .value_kind:     hidden_group_size_x
      - .offset:         158
        .size:           2
        .value_kind:     hidden_group_size_y
      - .offset:         160
        .size:           2
        .value_kind:     hidden_group_size_z
      - .offset:         162
        .size:           2
        .value_kind:     hidden_remainder_x
      - .offset:         164
        .size:           2
        .value_kind:     hidden_remainder_y
      - .offset:         166
        .size:           2
        .value_kind:     hidden_remainder_z
      - .offset:         184
        .size:           8
        .value_kind:     hidden_global_offset_x
      - .offset:         192
        .size:           8
        .value_kind:     hidden_global_offset_y
      - .offset:         200
        .size:           8
        .value_kind:     hidden_global_offset_z
      - .offset:         208
        .size:           2
        .value_kind:     hidden_grid_dims
      - .offset:         264
        .size:           4
        .value_kind:     hidden_dynamic_lds_size
    .group_segment_fixed_size: 256
    .kernarg_segment_align: 8
    .kernarg_segment_size: 400
    .language:       OpenCL C
    .language_version:
      - 2
      - 0
    .max_flat_workgroup_size: 1024
    .name:           _ZN4vllm25paged_attention_v2_kernelIthLi112ELi8ELi128ELNS_18Fp8KVCacheDataTypeE1ELb1ELi512EEEvPfS2_PT_PKS3_PKT0_S9_ifPKiSB_iPKfiiiSD_SD_iiiii
    .private_segment_fixed_size: 0
    .sgpr_count:     54
    .sgpr_spill_count: 0
    .symbol:         _ZN4vllm25paged_attention_v2_kernelIthLi112ELi8ELi128ELNS_18Fp8KVCacheDataTypeE1ELb1ELi512EEEvPfS2_PT_PKS3_PKT0_S9_ifPKiSB_iPKfiiiSD_SD_iiiii.kd
    .uniform_work_group_size: 1
    .uses_dynamic_stack: false
    .vgpr_count:     77
    .vgpr_spill_count: 0
    .wavefront_size: 32
    .workgroup_processor_mode: 1
  - .args:
      - .actual_access:  write_only
        .address_space:  global
        .offset:         0
        .size:           8
        .value_kind:     global_buffer
      - .actual_access:  write_only
        .address_space:  global
        .offset:         8
        .size:           8
        .value_kind:     global_buffer
      - .actual_access:  write_only
        .address_space:  global
        .offset:         16
        .size:           8
        .value_kind:     global_buffer
      - .actual_access:  read_only
        .address_space:  global
        .offset:         24
        .size:           8
        .value_kind:     global_buffer
      - .actual_access:  read_only
        .address_space:  global
        .offset:         32
        .size:           8
        .value_kind:     global_buffer
      - .actual_access:  read_only
        .address_space:  global
        .offset:         40
        .size:           8
        .value_kind:     global_buffer
      - .offset:         48
        .size:           4
        .value_kind:     by_value
      - .offset:         52
        .size:           4
        .value_kind:     by_value
      - .actual_access:  read_only
        .address_space:  global
        .offset:         56
        .size:           8
        .value_kind:     global_buffer
      - .actual_access:  read_only
        .address_space:  global
        .offset:         64
        .size:           8
        .value_kind:     global_buffer
      - .offset:         72
        .size:           4
        .value_kind:     by_value
      - .actual_access:  read_only
        .address_space:  global
        .offset:         80
        .size:           8
        .value_kind:     global_buffer
      - .offset:         88
        .size:           4
        .value_kind:     by_value
      - .offset:         92
        .size:           4
        .value_kind:     by_value
      - .offset:         96
        .size:           4
        .value_kind:     by_value
      - .address_space:  global
        .offset:         104
        .size:           8
        .value_kind:     global_buffer
      - .address_space:  global
        .offset:         112
        .size:           8
        .value_kind:     global_buffer
      - .offset:         120
        .size:           4
        .value_kind:     by_value
      - .offset:         124
        .size:           4
        .value_kind:     by_value
      - .offset:         128
        .size:           4
        .value_kind:     by_value
      - .offset:         132
        .size:           4
        .value_kind:     by_value
      - .offset:         136
        .size:           4
        .value_kind:     by_value
      - .offset:         144
        .size:           4
        .value_kind:     hidden_block_count_x
      - .offset:         148
        .size:           4
        .value_kind:     hidden_block_count_y
      - .offset:         152
        .size:           4
        .value_kind:     hidden_block_count_z
      - .offset:         156
        .size:           2
        .value_kind:     hidden_group_size_x
      - .offset:         158
        .size:           2
        .value_kind:     hidden_group_size_y
      - .offset:         160
        .size:           2
        .value_kind:     hidden_group_size_z
      - .offset:         162
        .size:           2
        .value_kind:     hidden_remainder_x
      - .offset:         164
        .size:           2
        .value_kind:     hidden_remainder_y
      - .offset:         166
        .size:           2
        .value_kind:     hidden_remainder_z
      - .offset:         184
        .size:           8
        .value_kind:     hidden_global_offset_x
      - .offset:         192
        .size:           8
        .value_kind:     hidden_global_offset_y
      - .offset:         200
        .size:           8
        .value_kind:     hidden_global_offset_z
      - .offset:         208
        .size:           2
        .value_kind:     hidden_grid_dims
      - .offset:         264
        .size:           4
        .value_kind:     hidden_dynamic_lds_size
    .group_segment_fixed_size: 272
    .kernarg_segment_align: 8
    .kernarg_segment_size: 400
    .language:       OpenCL C
    .language_version:
      - 2
      - 0
    .max_flat_workgroup_size: 1024
    .name:           _ZN4vllm25paged_attention_v2_kernelIthLi120ELi8ELi128ELNS_18Fp8KVCacheDataTypeE1ELb1ELi512EEEvPfS2_PT_PKS3_PKT0_S9_ifPKiSB_iPKfiiiSD_SD_iiiii
    .private_segment_fixed_size: 0
    .sgpr_count:     54
    .sgpr_spill_count: 0
    .symbol:         _ZN4vllm25paged_attention_v2_kernelIthLi120ELi8ELi128ELNS_18Fp8KVCacheDataTypeE1ELb1ELi512EEEvPfS2_PT_PKS3_PKT0_S9_ifPKiSB_iPKfiiiSD_SD_iiiii.kd
    .uniform_work_group_size: 1
    .uses_dynamic_stack: false
    .vgpr_count:     80
    .vgpr_spill_count: 0
    .wavefront_size: 32
    .workgroup_processor_mode: 1
  - .args:
      - .actual_access:  write_only
        .address_space:  global
        .offset:         0
        .size:           8
        .value_kind:     global_buffer
      - .actual_access:  write_only
        .address_space:  global
        .offset:         8
        .size:           8
        .value_kind:     global_buffer
      - .actual_access:  write_only
        .address_space:  global
        .offset:         16
        .size:           8
        .value_kind:     global_buffer
      - .actual_access:  read_only
        .address_space:  global
        .offset:         24
        .size:           8
        .value_kind:     global_buffer
      - .actual_access:  read_only
        .address_space:  global
        .offset:         32
        .size:           8
        .value_kind:     global_buffer
      - .actual_access:  read_only
        .address_space:  global
        .offset:         40
        .size:           8
        .value_kind:     global_buffer
      - .offset:         48
        .size:           4
        .value_kind:     by_value
      - .offset:         52
        .size:           4
        .value_kind:     by_value
      - .actual_access:  read_only
        .address_space:  global
        .offset:         56
        .size:           8
        .value_kind:     global_buffer
      - .actual_access:  read_only
        .address_space:  global
        .offset:         64
        .size:           8
        .value_kind:     global_buffer
      - .offset:         72
        .size:           4
        .value_kind:     by_value
      - .actual_access:  read_only
        .address_space:  global
        .offset:         80
        .size:           8
        .value_kind:     global_buffer
      - .offset:         88
        .size:           4
        .value_kind:     by_value
      - .offset:         92
        .size:           4
        .value_kind:     by_value
      - .offset:         96
        .size:           4
        .value_kind:     by_value
      - .address_space:  global
        .offset:         104
        .size:           8
        .value_kind:     global_buffer
      - .address_space:  global
        .offset:         112
        .size:           8
        .value_kind:     global_buffer
      - .offset:         120
        .size:           4
        .value_kind:     by_value
      - .offset:         124
        .size:           4
        .value_kind:     by_value
      - .offset:         128
        .size:           4
        .value_kind:     by_value
      - .offset:         132
        .size:           4
        .value_kind:     by_value
      - .offset:         136
        .size:           4
        .value_kind:     by_value
      - .offset:         144
        .size:           4
        .value_kind:     hidden_block_count_x
      - .offset:         148
        .size:           4
        .value_kind:     hidden_block_count_y
      - .offset:         152
        .size:           4
        .value_kind:     hidden_block_count_z
      - .offset:         156
        .size:           2
        .value_kind:     hidden_group_size_x
      - .offset:         158
        .size:           2
        .value_kind:     hidden_group_size_y
      - .offset:         160
        .size:           2
        .value_kind:     hidden_group_size_z
      - .offset:         162
        .size:           2
        .value_kind:     hidden_remainder_x
      - .offset:         164
        .size:           2
        .value_kind:     hidden_remainder_y
      - .offset:         166
        .size:           2
        .value_kind:     hidden_remainder_z
      - .offset:         184
        .size:           8
        .value_kind:     hidden_global_offset_x
      - .offset:         192
        .size:           8
        .value_kind:     hidden_global_offset_y
      - .offset:         200
        .size:           8
        .value_kind:     hidden_global_offset_z
      - .offset:         208
        .size:           2
        .value_kind:     hidden_grid_dims
      - .offset:         264
        .size:           4
        .value_kind:     hidden_dynamic_lds_size
    .group_segment_fixed_size: 288
    .kernarg_segment_align: 8
    .kernarg_segment_size: 400
    .language:       OpenCL C
    .language_version:
      - 2
      - 0
    .max_flat_workgroup_size: 1024
    .name:           _ZN4vllm25paged_attention_v2_kernelIthLi128ELi8ELi128ELNS_18Fp8KVCacheDataTypeE1ELb1ELi512EEEvPfS2_PT_PKS3_PKT0_S9_ifPKiSB_iPKfiiiSD_SD_iiiii
    .private_segment_fixed_size: 0
    .sgpr_count:     55
    .sgpr_spill_count: 0
    .symbol:         _ZN4vllm25paged_attention_v2_kernelIthLi128ELi8ELi128ELNS_18Fp8KVCacheDataTypeE1ELb1ELi512EEEvPfS2_PT_PKS3_PKT0_S9_ifPKiSB_iPKfiiiSD_SD_iiiii.kd
    .uniform_work_group_size: 1
    .uses_dynamic_stack: false
    .vgpr_count:     85
    .vgpr_spill_count: 0
    .wavefront_size: 32
    .workgroup_processor_mode: 1
  - .args:
      - .actual_access:  write_only
        .address_space:  global
        .offset:         0
        .size:           8
        .value_kind:     global_buffer
      - .actual_access:  write_only
        .address_space:  global
        .offset:         8
        .size:           8
        .value_kind:     global_buffer
      - .actual_access:  write_only
        .address_space:  global
        .offset:         16
        .size:           8
        .value_kind:     global_buffer
      - .actual_access:  read_only
        .address_space:  global
        .offset:         24
        .size:           8
        .value_kind:     global_buffer
      - .actual_access:  read_only
        .address_space:  global
        .offset:         32
        .size:           8
        .value_kind:     global_buffer
      - .actual_access:  read_only
        .address_space:  global
        .offset:         40
        .size:           8
        .value_kind:     global_buffer
      - .offset:         48
        .size:           4
        .value_kind:     by_value
      - .offset:         52
        .size:           4
        .value_kind:     by_value
      - .actual_access:  read_only
        .address_space:  global
        .offset:         56
        .size:           8
        .value_kind:     global_buffer
      - .actual_access:  read_only
        .address_space:  global
        .offset:         64
        .size:           8
        .value_kind:     global_buffer
      - .offset:         72
        .size:           4
        .value_kind:     by_value
      - .actual_access:  read_only
        .address_space:  global
        .offset:         80
        .size:           8
        .value_kind:     global_buffer
      - .offset:         88
        .size:           4
        .value_kind:     by_value
      - .offset:         92
        .size:           4
        .value_kind:     by_value
      - .offset:         96
        .size:           4
        .value_kind:     by_value
      - .address_space:  global
        .offset:         104
        .size:           8
        .value_kind:     global_buffer
      - .address_space:  global
        .offset:         112
        .size:           8
        .value_kind:     global_buffer
      - .offset:         120
        .size:           4
        .value_kind:     by_value
      - .offset:         124
        .size:           4
        .value_kind:     by_value
      - .offset:         128
        .size:           4
        .value_kind:     by_value
      - .offset:         132
        .size:           4
        .value_kind:     by_value
      - .offset:         136
        .size:           4
        .value_kind:     by_value
      - .offset:         144
        .size:           4
        .value_kind:     hidden_block_count_x
      - .offset:         148
        .size:           4
        .value_kind:     hidden_block_count_y
      - .offset:         152
        .size:           4
        .value_kind:     hidden_block_count_z
      - .offset:         156
        .size:           2
        .value_kind:     hidden_group_size_x
      - .offset:         158
        .size:           2
        .value_kind:     hidden_group_size_y
      - .offset:         160
        .size:           2
        .value_kind:     hidden_group_size_z
      - .offset:         162
        .size:           2
        .value_kind:     hidden_remainder_x
      - .offset:         164
        .size:           2
        .value_kind:     hidden_remainder_y
      - .offset:         166
        .size:           2
        .value_kind:     hidden_remainder_z
      - .offset:         184
        .size:           8
        .value_kind:     hidden_global_offset_x
      - .offset:         192
        .size:           8
        .value_kind:     hidden_global_offset_y
      - .offset:         200
        .size:           8
        .value_kind:     hidden_global_offset_z
      - .offset:         208
        .size:           2
        .value_kind:     hidden_grid_dims
      - .offset:         264
        .size:           4
        .value_kind:     hidden_dynamic_lds_size
    .group_segment_fixed_size: 416
    .kernarg_segment_align: 8
    .kernarg_segment_size: 400
    .language:       OpenCL C
    .language_version:
      - 2
      - 0
    .max_flat_workgroup_size: 1024
    .name:           _ZN4vllm25paged_attention_v2_kernelIthLi192ELi8ELi128ELNS_18Fp8KVCacheDataTypeE1ELb1ELi512EEEvPfS2_PT_PKS3_PKT0_S9_ifPKiSB_iPKfiiiSD_SD_iiiii
    .private_segment_fixed_size: 0
    .sgpr_count:     54
    .sgpr_spill_count: 0
    .symbol:         _ZN4vllm25paged_attention_v2_kernelIthLi192ELi8ELi128ELNS_18Fp8KVCacheDataTypeE1ELb1ELi512EEEvPfS2_PT_PKS3_PKT0_S9_ifPKiSB_iPKfiiiSD_SD_iiiii.kd
    .uniform_work_group_size: 1
    .uses_dynamic_stack: false
    .vgpr_count:     99
    .vgpr_spill_count: 0
    .wavefront_size: 32
    .workgroup_processor_mode: 1
  - .args:
      - .actual_access:  write_only
        .address_space:  global
        .offset:         0
        .size:           8
        .value_kind:     global_buffer
      - .actual_access:  write_only
        .address_space:  global
        .offset:         8
        .size:           8
        .value_kind:     global_buffer
      - .actual_access:  write_only
        .address_space:  global
        .offset:         16
        .size:           8
        .value_kind:     global_buffer
      - .actual_access:  read_only
        .address_space:  global
        .offset:         24
        .size:           8
        .value_kind:     global_buffer
      - .actual_access:  read_only
        .address_space:  global
        .offset:         32
        .size:           8
        .value_kind:     global_buffer
      - .actual_access:  read_only
        .address_space:  global
        .offset:         40
        .size:           8
        .value_kind:     global_buffer
      - .offset:         48
        .size:           4
        .value_kind:     by_value
      - .offset:         52
        .size:           4
        .value_kind:     by_value
      - .actual_access:  read_only
        .address_space:  global
        .offset:         56
        .size:           8
        .value_kind:     global_buffer
      - .actual_access:  read_only
        .address_space:  global
        .offset:         64
        .size:           8
        .value_kind:     global_buffer
      - .offset:         72
        .size:           4
        .value_kind:     by_value
      - .actual_access:  read_only
        .address_space:  global
        .offset:         80
        .size:           8
        .value_kind:     global_buffer
      - .offset:         88
        .size:           4
        .value_kind:     by_value
      - .offset:         92
        .size:           4
        .value_kind:     by_value
      - .offset:         96
        .size:           4
        .value_kind:     by_value
      - .address_space:  global
        .offset:         104
        .size:           8
        .value_kind:     global_buffer
      - .address_space:  global
        .offset:         112
        .size:           8
        .value_kind:     global_buffer
      - .offset:         120
        .size:           4
        .value_kind:     by_value
      - .offset:         124
        .size:           4
        .value_kind:     by_value
      - .offset:         128
        .size:           4
        .value_kind:     by_value
      - .offset:         132
        .size:           4
        .value_kind:     by_value
      - .offset:         136
        .size:           4
        .value_kind:     by_value
      - .offset:         144
        .size:           4
        .value_kind:     hidden_block_count_x
      - .offset:         148
        .size:           4
        .value_kind:     hidden_block_count_y
      - .offset:         152
        .size:           4
        .value_kind:     hidden_block_count_z
      - .offset:         156
        .size:           2
        .value_kind:     hidden_group_size_x
      - .offset:         158
        .size:           2
        .value_kind:     hidden_group_size_y
      - .offset:         160
        .size:           2
        .value_kind:     hidden_group_size_z
      - .offset:         162
        .size:           2
        .value_kind:     hidden_remainder_x
      - .offset:         164
        .size:           2
        .value_kind:     hidden_remainder_y
      - .offset:         166
        .size:           2
        .value_kind:     hidden_remainder_z
      - .offset:         184
        .size:           8
        .value_kind:     hidden_global_offset_x
      - .offset:         192
        .size:           8
        .value_kind:     hidden_global_offset_y
      - .offset:         200
        .size:           8
        .value_kind:     hidden_global_offset_z
      - .offset:         208
        .size:           2
        .value_kind:     hidden_grid_dims
      - .offset:         264
        .size:           4
        .value_kind:     hidden_dynamic_lds_size
    .group_segment_fixed_size: 544
    .kernarg_segment_align: 8
    .kernarg_segment_size: 400
    .language:       OpenCL C
    .language_version:
      - 2
      - 0
    .max_flat_workgroup_size: 1024
    .name:           _ZN4vllm25paged_attention_v2_kernelIthLi256ELi8ELi128ELNS_18Fp8KVCacheDataTypeE1ELb1ELi512EEEvPfS2_PT_PKS3_PKT0_S9_ifPKiSB_iPKfiiiSD_SD_iiiii
    .private_segment_fixed_size: 0
    .sgpr_count:     54
    .sgpr_spill_count: 0
    .symbol:         _ZN4vllm25paged_attention_v2_kernelIthLi256ELi8ELi128ELNS_18Fp8KVCacheDataTypeE1ELb1ELi512EEEvPfS2_PT_PKS3_PKT0_S9_ifPKiSB_iPKfiiiSD_SD_iiiii.kd
    .uniform_work_group_size: 1
    .uses_dynamic_stack: false
    .vgpr_count:     125
    .vgpr_spill_count: 0
    .wavefront_size: 32
    .workgroup_processor_mode: 1
  - .args:
      - .actual_access:  write_only
        .address_space:  global
        .offset:         0
        .size:           8
        .value_kind:     global_buffer
      - .actual_access:  write_only
        .address_space:  global
        .offset:         8
        .size:           8
        .value_kind:     global_buffer
      - .actual_access:  write_only
        .address_space:  global
        .offset:         16
        .size:           8
        .value_kind:     global_buffer
      - .actual_access:  read_only
        .address_space:  global
        .offset:         24
        .size:           8
        .value_kind:     global_buffer
      - .actual_access:  read_only
        .address_space:  global
        .offset:         32
        .size:           8
        .value_kind:     global_buffer
      - .actual_access:  read_only
        .address_space:  global
        .offset:         40
        .size:           8
        .value_kind:     global_buffer
      - .offset:         48
        .size:           4
        .value_kind:     by_value
      - .offset:         52
        .size:           4
        .value_kind:     by_value
      - .actual_access:  read_only
        .address_space:  global
        .offset:         56
        .size:           8
        .value_kind:     global_buffer
      - .actual_access:  read_only
        .address_space:  global
        .offset:         64
        .size:           8
        .value_kind:     global_buffer
      - .offset:         72
        .size:           4
        .value_kind:     by_value
      - .actual_access:  read_only
        .address_space:  global
        .offset:         80
        .size:           8
        .value_kind:     global_buffer
      - .offset:         88
        .size:           4
        .value_kind:     by_value
      - .offset:         92
        .size:           4
        .value_kind:     by_value
      - .offset:         96
        .size:           4
        .value_kind:     by_value
      - .address_space:  global
        .offset:         104
        .size:           8
        .value_kind:     global_buffer
      - .address_space:  global
        .offset:         112
        .size:           8
        .value_kind:     global_buffer
      - .offset:         120
        .size:           4
        .value_kind:     by_value
      - .offset:         124
        .size:           4
        .value_kind:     by_value
      - .offset:         128
        .size:           4
        .value_kind:     by_value
      - .offset:         132
        .size:           4
        .value_kind:     by_value
      - .offset:         136
        .size:           4
        .value_kind:     by_value
      - .offset:         144
        .size:           4
        .value_kind:     hidden_block_count_x
      - .offset:         148
        .size:           4
        .value_kind:     hidden_block_count_y
      - .offset:         152
        .size:           4
        .value_kind:     hidden_block_count_z
      - .offset:         156
        .size:           2
        .value_kind:     hidden_group_size_x
      - .offset:         158
        .size:           2
        .value_kind:     hidden_group_size_y
      - .offset:         160
        .size:           2
        .value_kind:     hidden_group_size_z
      - .offset:         162
        .size:           2
        .value_kind:     hidden_remainder_x
      - .offset:         164
        .size:           2
        .value_kind:     hidden_remainder_y
      - .offset:         166
        .size:           2
        .value_kind:     hidden_remainder_z
      - .offset:         184
        .size:           8
        .value_kind:     hidden_global_offset_x
      - .offset:         192
        .size:           8
        .value_kind:     hidden_global_offset_y
      - .offset:         200
        .size:           8
        .value_kind:     hidden_global_offset_z
      - .offset:         208
        .size:           2
        .value_kind:     hidden_grid_dims
      - .offset:         264
        .size:           4
        .value_kind:     hidden_dynamic_lds_size
    .group_segment_fixed_size: 96
    .kernarg_segment_align: 8
    .kernarg_segment_size: 400
    .language:       OpenCL C
    .language_version:
      - 2
      - 0
    .max_flat_workgroup_size: 1024
    .name:           _ZN4vllm25paged_attention_v2_kernelIthLi32ELi8ELi128ELNS_18Fp8KVCacheDataTypeE1ELb0ELi512EEEvPfS2_PT_PKS3_PKT0_S9_ifPKiSB_iPKfiiiSD_SD_iiiii
    .private_segment_fixed_size: 0
    .sgpr_count:     45
    .sgpr_spill_count: 0
    .symbol:         _ZN4vllm25paged_attention_v2_kernelIthLi32ELi8ELi128ELNS_18Fp8KVCacheDataTypeE1ELb0ELi512EEEvPfS2_PT_PKS3_PKT0_S9_ifPKiSB_iPKfiiiSD_SD_iiiii.kd
    .uniform_work_group_size: 1
    .uses_dynamic_stack: false
    .vgpr_count:     41
    .vgpr_spill_count: 0
    .wavefront_size: 32
    .workgroup_processor_mode: 1
  - .args:
      - .actual_access:  write_only
        .address_space:  global
        .offset:         0
        .size:           8
        .value_kind:     global_buffer
      - .actual_access:  write_only
        .address_space:  global
        .offset:         8
        .size:           8
        .value_kind:     global_buffer
      - .actual_access:  write_only
        .address_space:  global
        .offset:         16
        .size:           8
        .value_kind:     global_buffer
      - .actual_access:  read_only
        .address_space:  global
        .offset:         24
        .size:           8
        .value_kind:     global_buffer
      - .actual_access:  read_only
        .address_space:  global
        .offset:         32
        .size:           8
        .value_kind:     global_buffer
      - .actual_access:  read_only
        .address_space:  global
        .offset:         40
        .size:           8
        .value_kind:     global_buffer
      - .offset:         48
        .size:           4
        .value_kind:     by_value
      - .offset:         52
        .size:           4
        .value_kind:     by_value
      - .actual_access:  read_only
        .address_space:  global
        .offset:         56
        .size:           8
        .value_kind:     global_buffer
      - .actual_access:  read_only
        .address_space:  global
        .offset:         64
        .size:           8
        .value_kind:     global_buffer
      - .offset:         72
        .size:           4
        .value_kind:     by_value
      - .actual_access:  read_only
        .address_space:  global
        .offset:         80
        .size:           8
        .value_kind:     global_buffer
      - .offset:         88
        .size:           4
        .value_kind:     by_value
      - .offset:         92
        .size:           4
        .value_kind:     by_value
      - .offset:         96
        .size:           4
        .value_kind:     by_value
      - .address_space:  global
        .offset:         104
        .size:           8
        .value_kind:     global_buffer
      - .address_space:  global
        .offset:         112
        .size:           8
        .value_kind:     global_buffer
      - .offset:         120
        .size:           4
        .value_kind:     by_value
      - .offset:         124
        .size:           4
        .value_kind:     by_value
      - .offset:         128
        .size:           4
        .value_kind:     by_value
      - .offset:         132
        .size:           4
        .value_kind:     by_value
      - .offset:         136
        .size:           4
        .value_kind:     by_value
      - .offset:         144
        .size:           4
        .value_kind:     hidden_block_count_x
      - .offset:         148
        .size:           4
        .value_kind:     hidden_block_count_y
      - .offset:         152
        .size:           4
        .value_kind:     hidden_block_count_z
      - .offset:         156
        .size:           2
        .value_kind:     hidden_group_size_x
      - .offset:         158
        .size:           2
        .value_kind:     hidden_group_size_y
      - .offset:         160
        .size:           2
        .value_kind:     hidden_group_size_z
      - .offset:         162
        .size:           2
        .value_kind:     hidden_remainder_x
      - .offset:         164
        .size:           2
        .value_kind:     hidden_remainder_y
      - .offset:         166
        .size:           2
        .value_kind:     hidden_remainder_z
      - .offset:         184
        .size:           8
        .value_kind:     hidden_global_offset_x
      - .offset:         192
        .size:           8
        .value_kind:     hidden_global_offset_y
      - .offset:         200
        .size:           8
        .value_kind:     hidden_global_offset_z
      - .offset:         208
        .size:           2
        .value_kind:     hidden_grid_dims
      - .offset:         264
        .size:           4
        .value_kind:     hidden_dynamic_lds_size
    .group_segment_fixed_size: 160
    .kernarg_segment_align: 8
    .kernarg_segment_size: 400
    .language:       OpenCL C
    .language_version:
      - 2
      - 0
    .max_flat_workgroup_size: 1024
    .name:           _ZN4vllm25paged_attention_v2_kernelIthLi64ELi8ELi128ELNS_18Fp8KVCacheDataTypeE1ELb0ELi512EEEvPfS2_PT_PKS3_PKT0_S9_ifPKiSB_iPKfiiiSD_SD_iiiii
    .private_segment_fixed_size: 0
    .sgpr_count:     46
    .sgpr_spill_count: 0
    .symbol:         _ZN4vllm25paged_attention_v2_kernelIthLi64ELi8ELi128ELNS_18Fp8KVCacheDataTypeE1ELb0ELi512EEEvPfS2_PT_PKS3_PKT0_S9_ifPKiSB_iPKfiiiSD_SD_iiiii.kd
    .uniform_work_group_size: 1
    .uses_dynamic_stack: false
    .vgpr_count:     52
    .vgpr_spill_count: 0
    .wavefront_size: 32
    .workgroup_processor_mode: 1
  - .args:
      - .actual_access:  write_only
        .address_space:  global
        .offset:         0
        .size:           8
        .value_kind:     global_buffer
      - .actual_access:  write_only
        .address_space:  global
        .offset:         8
        .size:           8
        .value_kind:     global_buffer
      - .actual_access:  write_only
        .address_space:  global
        .offset:         16
        .size:           8
        .value_kind:     global_buffer
      - .actual_access:  read_only
        .address_space:  global
        .offset:         24
        .size:           8
        .value_kind:     global_buffer
      - .actual_access:  read_only
        .address_space:  global
        .offset:         32
        .size:           8
        .value_kind:     global_buffer
      - .actual_access:  read_only
        .address_space:  global
        .offset:         40
        .size:           8
        .value_kind:     global_buffer
      - .offset:         48
        .size:           4
        .value_kind:     by_value
      - .offset:         52
        .size:           4
        .value_kind:     by_value
      - .actual_access:  read_only
        .address_space:  global
        .offset:         56
        .size:           8
        .value_kind:     global_buffer
      - .actual_access:  read_only
        .address_space:  global
        .offset:         64
        .size:           8
        .value_kind:     global_buffer
      - .offset:         72
        .size:           4
        .value_kind:     by_value
      - .actual_access:  read_only
        .address_space:  global
        .offset:         80
        .size:           8
        .value_kind:     global_buffer
      - .offset:         88
        .size:           4
        .value_kind:     by_value
      - .offset:         92
        .size:           4
        .value_kind:     by_value
      - .offset:         96
        .size:           4
        .value_kind:     by_value
      - .address_space:  global
        .offset:         104
        .size:           8
        .value_kind:     global_buffer
      - .address_space:  global
        .offset:         112
        .size:           8
        .value_kind:     global_buffer
      - .offset:         120
        .size:           4
        .value_kind:     by_value
      - .offset:         124
        .size:           4
        .value_kind:     by_value
      - .offset:         128
        .size:           4
        .value_kind:     by_value
      - .offset:         132
        .size:           4
        .value_kind:     by_value
      - .offset:         136
        .size:           4
        .value_kind:     by_value
      - .offset:         144
        .size:           4
        .value_kind:     hidden_block_count_x
      - .offset:         148
        .size:           4
        .value_kind:     hidden_block_count_y
      - .offset:         152
        .size:           4
        .value_kind:     hidden_block_count_z
      - .offset:         156
        .size:           2
        .value_kind:     hidden_group_size_x
      - .offset:         158
        .size:           2
        .value_kind:     hidden_group_size_y
      - .offset:         160
        .size:           2
        .value_kind:     hidden_group_size_z
      - .offset:         162
        .size:           2
        .value_kind:     hidden_remainder_x
      - .offset:         164
        .size:           2
        .value_kind:     hidden_remainder_y
      - .offset:         166
        .size:           2
        .value_kind:     hidden_remainder_z
      - .offset:         184
        .size:           8
        .value_kind:     hidden_global_offset_x
      - .offset:         192
        .size:           8
        .value_kind:     hidden_global_offset_y
      - .offset:         200
        .size:           8
        .value_kind:     hidden_global_offset_z
      - .offset:         208
        .size:           2
        .value_kind:     hidden_grid_dims
      - .offset:         264
        .size:           4
        .value_kind:     hidden_dynamic_lds_size
    .group_segment_fixed_size: 192
    .kernarg_segment_align: 8
    .kernarg_segment_size: 400
    .language:       OpenCL C
    .language_version:
      - 2
      - 0
    .max_flat_workgroup_size: 1024
    .name:           _ZN4vllm25paged_attention_v2_kernelIthLi80ELi8ELi128ELNS_18Fp8KVCacheDataTypeE1ELb0ELi512EEEvPfS2_PT_PKS3_PKT0_S9_ifPKiSB_iPKfiiiSD_SD_iiiii
    .private_segment_fixed_size: 0
    .sgpr_count:     45
    .sgpr_spill_count: 0
    .symbol:         _ZN4vllm25paged_attention_v2_kernelIthLi80ELi8ELi128ELNS_18Fp8KVCacheDataTypeE1ELb0ELi512EEEvPfS2_PT_PKS3_PKT0_S9_ifPKiSB_iPKfiiiSD_SD_iiiii.kd
    .uniform_work_group_size: 1
    .uses_dynamic_stack: false
    .vgpr_count:     60
    .vgpr_spill_count: 0
    .wavefront_size: 32
    .workgroup_processor_mode: 1
  - .args:
      - .actual_access:  write_only
        .address_space:  global
        .offset:         0
        .size:           8
        .value_kind:     global_buffer
      - .actual_access:  write_only
        .address_space:  global
        .offset:         8
        .size:           8
        .value_kind:     global_buffer
      - .actual_access:  write_only
        .address_space:  global
        .offset:         16
        .size:           8
        .value_kind:     global_buffer
      - .actual_access:  read_only
        .address_space:  global
        .offset:         24
        .size:           8
        .value_kind:     global_buffer
      - .actual_access:  read_only
        .address_space:  global
        .offset:         32
        .size:           8
        .value_kind:     global_buffer
      - .actual_access:  read_only
        .address_space:  global
        .offset:         40
        .size:           8
        .value_kind:     global_buffer
      - .offset:         48
        .size:           4
        .value_kind:     by_value
      - .offset:         52
        .size:           4
        .value_kind:     by_value
      - .actual_access:  read_only
        .address_space:  global
        .offset:         56
        .size:           8
        .value_kind:     global_buffer
      - .actual_access:  read_only
        .address_space:  global
        .offset:         64
        .size:           8
        .value_kind:     global_buffer
      - .offset:         72
        .size:           4
        .value_kind:     by_value
      - .actual_access:  read_only
        .address_space:  global
        .offset:         80
        .size:           8
        .value_kind:     global_buffer
      - .offset:         88
        .size:           4
        .value_kind:     by_value
      - .offset:         92
        .size:           4
        .value_kind:     by_value
      - .offset:         96
        .size:           4
        .value_kind:     by_value
      - .address_space:  global
        .offset:         104
        .size:           8
        .value_kind:     global_buffer
      - .address_space:  global
        .offset:         112
        .size:           8
        .value_kind:     global_buffer
      - .offset:         120
        .size:           4
        .value_kind:     by_value
      - .offset:         124
        .size:           4
        .value_kind:     by_value
      - .offset:         128
        .size:           4
        .value_kind:     by_value
      - .offset:         132
        .size:           4
        .value_kind:     by_value
      - .offset:         136
        .size:           4
        .value_kind:     by_value
      - .offset:         144
        .size:           4
        .value_kind:     hidden_block_count_x
      - .offset:         148
        .size:           4
        .value_kind:     hidden_block_count_y
      - .offset:         152
        .size:           4
        .value_kind:     hidden_block_count_z
      - .offset:         156
        .size:           2
        .value_kind:     hidden_group_size_x
      - .offset:         158
        .size:           2
        .value_kind:     hidden_group_size_y
      - .offset:         160
        .size:           2
        .value_kind:     hidden_group_size_z
      - .offset:         162
        .size:           2
        .value_kind:     hidden_remainder_x
      - .offset:         164
        .size:           2
        .value_kind:     hidden_remainder_y
      - .offset:         166
        .size:           2
        .value_kind:     hidden_remainder_z
      - .offset:         184
        .size:           8
        .value_kind:     hidden_global_offset_x
      - .offset:         192
        .size:           8
        .value_kind:     hidden_global_offset_y
      - .offset:         200
        .size:           8
        .value_kind:     hidden_global_offset_z
      - .offset:         208
        .size:           2
        .value_kind:     hidden_grid_dims
      - .offset:         264
        .size:           4
        .value_kind:     hidden_dynamic_lds_size
    .group_segment_fixed_size: 224
    .kernarg_segment_align: 8
    .kernarg_segment_size: 400
    .language:       OpenCL C
    .language_version:
      - 2
      - 0
    .max_flat_workgroup_size: 1024
    .name:           _ZN4vllm25paged_attention_v2_kernelIthLi96ELi8ELi128ELNS_18Fp8KVCacheDataTypeE1ELb0ELi512EEEvPfS2_PT_PKS3_PKT0_S9_ifPKiSB_iPKfiiiSD_SD_iiiii
    .private_segment_fixed_size: 0
    .sgpr_count:     45
    .sgpr_spill_count: 0
    .symbol:         _ZN4vllm25paged_attention_v2_kernelIthLi96ELi8ELi128ELNS_18Fp8KVCacheDataTypeE1ELb0ELi512EEEvPfS2_PT_PKS3_PKT0_S9_ifPKiSB_iPKfiiiSD_SD_iiiii.kd
    .uniform_work_group_size: 1
    .uses_dynamic_stack: false
    .vgpr_count:     67
    .vgpr_spill_count: 0
    .wavefront_size: 32
    .workgroup_processor_mode: 1
  - .args:
      - .actual_access:  write_only
        .address_space:  global
        .offset:         0
        .size:           8
        .value_kind:     global_buffer
      - .actual_access:  write_only
        .address_space:  global
        .offset:         8
        .size:           8
        .value_kind:     global_buffer
      - .actual_access:  write_only
        .address_space:  global
        .offset:         16
        .size:           8
        .value_kind:     global_buffer
      - .actual_access:  read_only
        .address_space:  global
        .offset:         24
        .size:           8
        .value_kind:     global_buffer
      - .actual_access:  read_only
        .address_space:  global
        .offset:         32
        .size:           8
        .value_kind:     global_buffer
      - .actual_access:  read_only
        .address_space:  global
        .offset:         40
        .size:           8
        .value_kind:     global_buffer
      - .offset:         48
        .size:           4
        .value_kind:     by_value
      - .offset:         52
        .size:           4
        .value_kind:     by_value
      - .actual_access:  read_only
        .address_space:  global
        .offset:         56
        .size:           8
        .value_kind:     global_buffer
      - .actual_access:  read_only
        .address_space:  global
        .offset:         64
        .size:           8
        .value_kind:     global_buffer
      - .offset:         72
        .size:           4
        .value_kind:     by_value
      - .actual_access:  read_only
        .address_space:  global
        .offset:         80
        .size:           8
        .value_kind:     global_buffer
      - .offset:         88
        .size:           4
        .value_kind:     by_value
      - .offset:         92
        .size:           4
        .value_kind:     by_value
      - .offset:         96
        .size:           4
        .value_kind:     by_value
      - .address_space:  global
        .offset:         104
        .size:           8
        .value_kind:     global_buffer
      - .address_space:  global
        .offset:         112
        .size:           8
        .value_kind:     global_buffer
      - .offset:         120
        .size:           4
        .value_kind:     by_value
      - .offset:         124
        .size:           4
        .value_kind:     by_value
      - .offset:         128
        .size:           4
        .value_kind:     by_value
      - .offset:         132
        .size:           4
        .value_kind:     by_value
      - .offset:         136
        .size:           4
        .value_kind:     by_value
      - .offset:         144
        .size:           4
        .value_kind:     hidden_block_count_x
      - .offset:         148
        .size:           4
        .value_kind:     hidden_block_count_y
      - .offset:         152
        .size:           4
        .value_kind:     hidden_block_count_z
      - .offset:         156
        .size:           2
        .value_kind:     hidden_group_size_x
      - .offset:         158
        .size:           2
        .value_kind:     hidden_group_size_y
      - .offset:         160
        .size:           2
        .value_kind:     hidden_group_size_z
      - .offset:         162
        .size:           2
        .value_kind:     hidden_remainder_x
      - .offset:         164
        .size:           2
        .value_kind:     hidden_remainder_y
      - .offset:         166
        .size:           2
        .value_kind:     hidden_remainder_z
      - .offset:         184
        .size:           8
        .value_kind:     hidden_global_offset_x
      - .offset:         192
        .size:           8
        .value_kind:     hidden_global_offset_y
      - .offset:         200
        .size:           8
        .value_kind:     hidden_global_offset_z
      - .offset:         208
        .size:           2
        .value_kind:     hidden_grid_dims
      - .offset:         264
        .size:           4
        .value_kind:     hidden_dynamic_lds_size
    .group_segment_fixed_size: 256
    .kernarg_segment_align: 8
    .kernarg_segment_size: 400
    .language:       OpenCL C
    .language_version:
      - 2
      - 0
    .max_flat_workgroup_size: 1024
    .name:           _ZN4vllm25paged_attention_v2_kernelIthLi112ELi8ELi128ELNS_18Fp8KVCacheDataTypeE1ELb0ELi512EEEvPfS2_PT_PKS3_PKT0_S9_ifPKiSB_iPKfiiiSD_SD_iiiii
    .private_segment_fixed_size: 0
    .sgpr_count:     45
    .sgpr_spill_count: 0
    .symbol:         _ZN4vllm25paged_attention_v2_kernelIthLi112ELi8ELi128ELNS_18Fp8KVCacheDataTypeE1ELb0ELi512EEEvPfS2_PT_PKS3_PKT0_S9_ifPKiSB_iPKfiiiSD_SD_iiiii.kd
    .uniform_work_group_size: 1
    .uses_dynamic_stack: false
    .vgpr_count:     74
    .vgpr_spill_count: 0
    .wavefront_size: 32
    .workgroup_processor_mode: 1
  - .args:
      - .actual_access:  write_only
        .address_space:  global
        .offset:         0
        .size:           8
        .value_kind:     global_buffer
      - .actual_access:  write_only
        .address_space:  global
        .offset:         8
        .size:           8
        .value_kind:     global_buffer
      - .actual_access:  write_only
        .address_space:  global
        .offset:         16
        .size:           8
        .value_kind:     global_buffer
      - .actual_access:  read_only
        .address_space:  global
        .offset:         24
        .size:           8
        .value_kind:     global_buffer
      - .actual_access:  read_only
        .address_space:  global
        .offset:         32
        .size:           8
        .value_kind:     global_buffer
      - .actual_access:  read_only
        .address_space:  global
        .offset:         40
        .size:           8
        .value_kind:     global_buffer
      - .offset:         48
        .size:           4
        .value_kind:     by_value
      - .offset:         52
        .size:           4
        .value_kind:     by_value
      - .actual_access:  read_only
        .address_space:  global
        .offset:         56
        .size:           8
        .value_kind:     global_buffer
      - .actual_access:  read_only
        .address_space:  global
        .offset:         64
        .size:           8
        .value_kind:     global_buffer
      - .offset:         72
        .size:           4
        .value_kind:     by_value
      - .actual_access:  read_only
        .address_space:  global
        .offset:         80
        .size:           8
        .value_kind:     global_buffer
      - .offset:         88
        .size:           4
        .value_kind:     by_value
      - .offset:         92
        .size:           4
        .value_kind:     by_value
      - .offset:         96
        .size:           4
        .value_kind:     by_value
      - .address_space:  global
        .offset:         104
        .size:           8
        .value_kind:     global_buffer
      - .address_space:  global
        .offset:         112
        .size:           8
        .value_kind:     global_buffer
      - .offset:         120
        .size:           4
        .value_kind:     by_value
      - .offset:         124
        .size:           4
        .value_kind:     by_value
      - .offset:         128
        .size:           4
        .value_kind:     by_value
      - .offset:         132
        .size:           4
        .value_kind:     by_value
      - .offset:         136
        .size:           4
        .value_kind:     by_value
      - .offset:         144
        .size:           4
        .value_kind:     hidden_block_count_x
      - .offset:         148
        .size:           4
        .value_kind:     hidden_block_count_y
      - .offset:         152
        .size:           4
        .value_kind:     hidden_block_count_z
      - .offset:         156
        .size:           2
        .value_kind:     hidden_group_size_x
      - .offset:         158
        .size:           2
        .value_kind:     hidden_group_size_y
      - .offset:         160
        .size:           2
        .value_kind:     hidden_group_size_z
      - .offset:         162
        .size:           2
        .value_kind:     hidden_remainder_x
      - .offset:         164
        .size:           2
        .value_kind:     hidden_remainder_y
      - .offset:         166
        .size:           2
        .value_kind:     hidden_remainder_z
      - .offset:         184
        .size:           8
        .value_kind:     hidden_global_offset_x
      - .offset:         192
        .size:           8
        .value_kind:     hidden_global_offset_y
      - .offset:         200
        .size:           8
        .value_kind:     hidden_global_offset_z
      - .offset:         208
        .size:           2
        .value_kind:     hidden_grid_dims
      - .offset:         264
        .size:           4
        .value_kind:     hidden_dynamic_lds_size
    .group_segment_fixed_size: 272
    .kernarg_segment_align: 8
    .kernarg_segment_size: 400
    .language:       OpenCL C
    .language_version:
      - 2
      - 0
    .max_flat_workgroup_size: 1024
    .name:           _ZN4vllm25paged_attention_v2_kernelIthLi120ELi8ELi128ELNS_18Fp8KVCacheDataTypeE1ELb0ELi512EEEvPfS2_PT_PKS3_PKT0_S9_ifPKiSB_iPKfiiiSD_SD_iiiii
    .private_segment_fixed_size: 0
    .sgpr_count:     45
    .sgpr_spill_count: 0
    .symbol:         _ZN4vllm25paged_attention_v2_kernelIthLi120ELi8ELi128ELNS_18Fp8KVCacheDataTypeE1ELb0ELi512EEEvPfS2_PT_PKS3_PKT0_S9_ifPKiSB_iPKfiiiSD_SD_iiiii.kd
    .uniform_work_group_size: 1
    .uses_dynamic_stack: false
    .vgpr_count:     78
    .vgpr_spill_count: 0
    .wavefront_size: 32
    .workgroup_processor_mode: 1
  - .args:
      - .actual_access:  write_only
        .address_space:  global
        .offset:         0
        .size:           8
        .value_kind:     global_buffer
      - .actual_access:  write_only
        .address_space:  global
        .offset:         8
        .size:           8
        .value_kind:     global_buffer
      - .actual_access:  write_only
        .address_space:  global
        .offset:         16
        .size:           8
        .value_kind:     global_buffer
      - .actual_access:  read_only
        .address_space:  global
        .offset:         24
        .size:           8
        .value_kind:     global_buffer
      - .actual_access:  read_only
        .address_space:  global
        .offset:         32
        .size:           8
        .value_kind:     global_buffer
      - .actual_access:  read_only
        .address_space:  global
        .offset:         40
        .size:           8
        .value_kind:     global_buffer
      - .offset:         48
        .size:           4
        .value_kind:     by_value
      - .offset:         52
        .size:           4
        .value_kind:     by_value
      - .actual_access:  read_only
        .address_space:  global
        .offset:         56
        .size:           8
        .value_kind:     global_buffer
      - .actual_access:  read_only
        .address_space:  global
        .offset:         64
        .size:           8
        .value_kind:     global_buffer
      - .offset:         72
        .size:           4
        .value_kind:     by_value
      - .actual_access:  read_only
        .address_space:  global
        .offset:         80
        .size:           8
        .value_kind:     global_buffer
      - .offset:         88
        .size:           4
        .value_kind:     by_value
      - .offset:         92
        .size:           4
        .value_kind:     by_value
      - .offset:         96
        .size:           4
        .value_kind:     by_value
      - .address_space:  global
        .offset:         104
        .size:           8
        .value_kind:     global_buffer
      - .address_space:  global
        .offset:         112
        .size:           8
        .value_kind:     global_buffer
      - .offset:         120
        .size:           4
        .value_kind:     by_value
      - .offset:         124
        .size:           4
        .value_kind:     by_value
      - .offset:         128
        .size:           4
        .value_kind:     by_value
      - .offset:         132
        .size:           4
        .value_kind:     by_value
      - .offset:         136
        .size:           4
        .value_kind:     by_value
      - .offset:         144
        .size:           4
        .value_kind:     hidden_block_count_x
      - .offset:         148
        .size:           4
        .value_kind:     hidden_block_count_y
      - .offset:         152
        .size:           4
        .value_kind:     hidden_block_count_z
      - .offset:         156
        .size:           2
        .value_kind:     hidden_group_size_x
      - .offset:         158
        .size:           2
        .value_kind:     hidden_group_size_y
      - .offset:         160
        .size:           2
        .value_kind:     hidden_group_size_z
      - .offset:         162
        .size:           2
        .value_kind:     hidden_remainder_x
      - .offset:         164
        .size:           2
        .value_kind:     hidden_remainder_y
      - .offset:         166
        .size:           2
        .value_kind:     hidden_remainder_z
      - .offset:         184
        .size:           8
        .value_kind:     hidden_global_offset_x
      - .offset:         192
        .size:           8
        .value_kind:     hidden_global_offset_y
      - .offset:         200
        .size:           8
        .value_kind:     hidden_global_offset_z
      - .offset:         208
        .size:           2
        .value_kind:     hidden_grid_dims
      - .offset:         264
        .size:           4
        .value_kind:     hidden_dynamic_lds_size
    .group_segment_fixed_size: 288
    .kernarg_segment_align: 8
    .kernarg_segment_size: 400
    .language:       OpenCL C
    .language_version:
      - 2
      - 0
    .max_flat_workgroup_size: 1024
    .name:           _ZN4vllm25paged_attention_v2_kernelIthLi128ELi8ELi128ELNS_18Fp8KVCacheDataTypeE1ELb0ELi512EEEvPfS2_PT_PKS3_PKT0_S9_ifPKiSB_iPKfiiiSD_SD_iiiii
    .private_segment_fixed_size: 0
    .sgpr_count:     46
    .sgpr_spill_count: 0
    .symbol:         _ZN4vllm25paged_attention_v2_kernelIthLi128ELi8ELi128ELNS_18Fp8KVCacheDataTypeE1ELb0ELi512EEEvPfS2_PT_PKS3_PKT0_S9_ifPKiSB_iPKfiiiSD_SD_iiiii.kd
    .uniform_work_group_size: 1
    .uses_dynamic_stack: false
    .vgpr_count:     82
    .vgpr_spill_count: 0
    .wavefront_size: 32
    .workgroup_processor_mode: 1
  - .args:
      - .actual_access:  write_only
        .address_space:  global
        .offset:         0
        .size:           8
        .value_kind:     global_buffer
      - .actual_access:  write_only
        .address_space:  global
        .offset:         8
        .size:           8
        .value_kind:     global_buffer
      - .actual_access:  write_only
        .address_space:  global
        .offset:         16
        .size:           8
        .value_kind:     global_buffer
      - .actual_access:  read_only
        .address_space:  global
        .offset:         24
        .size:           8
        .value_kind:     global_buffer
      - .actual_access:  read_only
        .address_space:  global
        .offset:         32
        .size:           8
        .value_kind:     global_buffer
      - .actual_access:  read_only
        .address_space:  global
        .offset:         40
        .size:           8
        .value_kind:     global_buffer
      - .offset:         48
        .size:           4
        .value_kind:     by_value
      - .offset:         52
        .size:           4
        .value_kind:     by_value
      - .actual_access:  read_only
        .address_space:  global
        .offset:         56
        .size:           8
        .value_kind:     global_buffer
      - .actual_access:  read_only
        .address_space:  global
        .offset:         64
        .size:           8
        .value_kind:     global_buffer
      - .offset:         72
        .size:           4
        .value_kind:     by_value
      - .actual_access:  read_only
        .address_space:  global
        .offset:         80
        .size:           8
        .value_kind:     global_buffer
      - .offset:         88
        .size:           4
        .value_kind:     by_value
      - .offset:         92
        .size:           4
        .value_kind:     by_value
      - .offset:         96
        .size:           4
        .value_kind:     by_value
      - .address_space:  global
        .offset:         104
        .size:           8
        .value_kind:     global_buffer
      - .address_space:  global
        .offset:         112
        .size:           8
        .value_kind:     global_buffer
      - .offset:         120
        .size:           4
        .value_kind:     by_value
      - .offset:         124
        .size:           4
        .value_kind:     by_value
      - .offset:         128
        .size:           4
        .value_kind:     by_value
      - .offset:         132
        .size:           4
        .value_kind:     by_value
      - .offset:         136
        .size:           4
        .value_kind:     by_value
      - .offset:         144
        .size:           4
        .value_kind:     hidden_block_count_x
      - .offset:         148
        .size:           4
        .value_kind:     hidden_block_count_y
      - .offset:         152
        .size:           4
        .value_kind:     hidden_block_count_z
      - .offset:         156
        .size:           2
        .value_kind:     hidden_group_size_x
      - .offset:         158
        .size:           2
        .value_kind:     hidden_group_size_y
      - .offset:         160
        .size:           2
        .value_kind:     hidden_group_size_z
      - .offset:         162
        .size:           2
        .value_kind:     hidden_remainder_x
      - .offset:         164
        .size:           2
        .value_kind:     hidden_remainder_y
      - .offset:         166
        .size:           2
        .value_kind:     hidden_remainder_z
      - .offset:         184
        .size:           8
        .value_kind:     hidden_global_offset_x
      - .offset:         192
        .size:           8
        .value_kind:     hidden_global_offset_y
      - .offset:         200
        .size:           8
        .value_kind:     hidden_global_offset_z
      - .offset:         208
        .size:           2
        .value_kind:     hidden_grid_dims
      - .offset:         264
        .size:           4
        .value_kind:     hidden_dynamic_lds_size
    .group_segment_fixed_size: 416
    .kernarg_segment_align: 8
    .kernarg_segment_size: 400
    .language:       OpenCL C
    .language_version:
      - 2
      - 0
    .max_flat_workgroup_size: 1024
    .name:           _ZN4vllm25paged_attention_v2_kernelIthLi192ELi8ELi128ELNS_18Fp8KVCacheDataTypeE1ELb0ELi512EEEvPfS2_PT_PKS3_PKT0_S9_ifPKiSB_iPKfiiiSD_SD_iiiii
    .private_segment_fixed_size: 0
    .sgpr_count:     45
    .sgpr_spill_count: 0
    .symbol:         _ZN4vllm25paged_attention_v2_kernelIthLi192ELi8ELi128ELNS_18Fp8KVCacheDataTypeE1ELb0ELi512EEEvPfS2_PT_PKS3_PKT0_S9_ifPKiSB_iPKfiiiSD_SD_iiiii.kd
    .uniform_work_group_size: 1
    .uses_dynamic_stack: false
    .vgpr_count:     110
    .vgpr_spill_count: 0
    .wavefront_size: 32
    .workgroup_processor_mode: 1
  - .args:
      - .actual_access:  write_only
        .address_space:  global
        .offset:         0
        .size:           8
        .value_kind:     global_buffer
      - .actual_access:  write_only
        .address_space:  global
        .offset:         8
        .size:           8
        .value_kind:     global_buffer
      - .actual_access:  write_only
        .address_space:  global
        .offset:         16
        .size:           8
        .value_kind:     global_buffer
      - .actual_access:  read_only
        .address_space:  global
        .offset:         24
        .size:           8
        .value_kind:     global_buffer
      - .actual_access:  read_only
        .address_space:  global
        .offset:         32
        .size:           8
        .value_kind:     global_buffer
      - .actual_access:  read_only
        .address_space:  global
        .offset:         40
        .size:           8
        .value_kind:     global_buffer
      - .offset:         48
        .size:           4
        .value_kind:     by_value
      - .offset:         52
        .size:           4
        .value_kind:     by_value
      - .actual_access:  read_only
        .address_space:  global
        .offset:         56
        .size:           8
        .value_kind:     global_buffer
      - .actual_access:  read_only
        .address_space:  global
        .offset:         64
        .size:           8
        .value_kind:     global_buffer
      - .offset:         72
        .size:           4
        .value_kind:     by_value
      - .actual_access:  read_only
        .address_space:  global
        .offset:         80
        .size:           8
        .value_kind:     global_buffer
      - .offset:         88
        .size:           4
        .value_kind:     by_value
      - .offset:         92
        .size:           4
        .value_kind:     by_value
      - .offset:         96
        .size:           4
        .value_kind:     by_value
      - .address_space:  global
        .offset:         104
        .size:           8
        .value_kind:     global_buffer
      - .address_space:  global
        .offset:         112
        .size:           8
        .value_kind:     global_buffer
      - .offset:         120
        .size:           4
        .value_kind:     by_value
      - .offset:         124
        .size:           4
        .value_kind:     by_value
      - .offset:         128
        .size:           4
        .value_kind:     by_value
      - .offset:         132
        .size:           4
        .value_kind:     by_value
      - .offset:         136
        .size:           4
        .value_kind:     by_value
      - .offset:         144
        .size:           4
        .value_kind:     hidden_block_count_x
      - .offset:         148
        .size:           4
        .value_kind:     hidden_block_count_y
      - .offset:         152
        .size:           4
        .value_kind:     hidden_block_count_z
      - .offset:         156
        .size:           2
        .value_kind:     hidden_group_size_x
      - .offset:         158
        .size:           2
        .value_kind:     hidden_group_size_y
      - .offset:         160
        .size:           2
        .value_kind:     hidden_group_size_z
      - .offset:         162
        .size:           2
        .value_kind:     hidden_remainder_x
      - .offset:         164
        .size:           2
        .value_kind:     hidden_remainder_y
      - .offset:         166
        .size:           2
        .value_kind:     hidden_remainder_z
      - .offset:         184
        .size:           8
        .value_kind:     hidden_global_offset_x
      - .offset:         192
        .size:           8
        .value_kind:     hidden_global_offset_y
      - .offset:         200
        .size:           8
        .value_kind:     hidden_global_offset_z
      - .offset:         208
        .size:           2
        .value_kind:     hidden_grid_dims
      - .offset:         264
        .size:           4
        .value_kind:     hidden_dynamic_lds_size
    .group_segment_fixed_size: 544
    .kernarg_segment_align: 8
    .kernarg_segment_size: 400
    .language:       OpenCL C
    .language_version:
      - 2
      - 0
    .max_flat_workgroup_size: 1024
    .name:           _ZN4vllm25paged_attention_v2_kernelIthLi256ELi8ELi128ELNS_18Fp8KVCacheDataTypeE1ELb0ELi512EEEvPfS2_PT_PKS3_PKT0_S9_ifPKiSB_iPKfiiiSD_SD_iiiii
    .private_segment_fixed_size: 8
    .sgpr_count:     50
    .sgpr_spill_count: 0
    .symbol:         _ZN4vllm25paged_attention_v2_kernelIthLi256ELi8ELi128ELNS_18Fp8KVCacheDataTypeE1ELb0ELi512EEEvPfS2_PT_PKS3_PKT0_S9_ifPKiSB_iPKfiiiSD_SD_iiiii.kd
    .uniform_work_group_size: 1
    .uses_dynamic_stack: false
    .vgpr_count:     128
    .vgpr_spill_count: 1
    .wavefront_size: 32
    .workgroup_processor_mode: 1
  - .args:
      - .actual_access:  write_only
        .address_space:  global
        .offset:         0
        .size:           8
        .value_kind:     global_buffer
      - .actual_access:  write_only
        .address_space:  global
        .offset:         8
        .size:           8
        .value_kind:     global_buffer
      - .actual_access:  write_only
        .address_space:  global
        .offset:         16
        .size:           8
        .value_kind:     global_buffer
      - .actual_access:  read_only
        .address_space:  global
        .offset:         24
        .size:           8
        .value_kind:     global_buffer
      - .actual_access:  read_only
        .address_space:  global
        .offset:         32
        .size:           8
        .value_kind:     global_buffer
      - .actual_access:  read_only
        .address_space:  global
        .offset:         40
        .size:           8
        .value_kind:     global_buffer
      - .offset:         48
        .size:           4
        .value_kind:     by_value
      - .offset:         52
        .size:           4
        .value_kind:     by_value
      - .actual_access:  read_only
        .address_space:  global
        .offset:         56
        .size:           8
        .value_kind:     global_buffer
      - .actual_access:  read_only
        .address_space:  global
        .offset:         64
        .size:           8
        .value_kind:     global_buffer
      - .offset:         72
        .size:           4
        .value_kind:     by_value
      - .actual_access:  read_only
        .address_space:  global
        .offset:         80
        .size:           8
        .value_kind:     global_buffer
      - .offset:         88
        .size:           4
        .value_kind:     by_value
      - .offset:         92
        .size:           4
        .value_kind:     by_value
      - .offset:         96
        .size:           4
        .value_kind:     by_value
      - .address_space:  global
        .offset:         104
        .size:           8
        .value_kind:     global_buffer
      - .address_space:  global
        .offset:         112
        .size:           8
        .value_kind:     global_buffer
      - .offset:         120
        .size:           4
        .value_kind:     by_value
      - .offset:         124
        .size:           4
        .value_kind:     by_value
      - .offset:         128
        .size:           4
        .value_kind:     by_value
      - .offset:         132
        .size:           4
        .value_kind:     by_value
      - .offset:         136
        .size:           4
        .value_kind:     by_value
      - .offset:         144
        .size:           4
        .value_kind:     hidden_block_count_x
      - .offset:         148
        .size:           4
        .value_kind:     hidden_block_count_y
      - .offset:         152
        .size:           4
        .value_kind:     hidden_block_count_z
      - .offset:         156
        .size:           2
        .value_kind:     hidden_group_size_x
      - .offset:         158
        .size:           2
        .value_kind:     hidden_group_size_y
      - .offset:         160
        .size:           2
        .value_kind:     hidden_group_size_z
      - .offset:         162
        .size:           2
        .value_kind:     hidden_remainder_x
      - .offset:         164
        .size:           2
        .value_kind:     hidden_remainder_y
      - .offset:         166
        .size:           2
        .value_kind:     hidden_remainder_z
      - .offset:         184
        .size:           8
        .value_kind:     hidden_global_offset_x
      - .offset:         192
        .size:           8
        .value_kind:     hidden_global_offset_y
      - .offset:         200
        .size:           8
        .value_kind:     hidden_global_offset_z
      - .offset:         208
        .size:           2
        .value_kind:     hidden_grid_dims
      - .offset:         264
        .size:           4
        .value_kind:     hidden_dynamic_lds_size
    .group_segment_fixed_size: 96
    .kernarg_segment_align: 8
    .kernarg_segment_size: 400
    .language:       OpenCL C
    .language_version:
      - 2
      - 0
    .max_flat_workgroup_size: 1024
    .name:           _ZN4vllm25paged_attention_v2_kernelIthLi32ELi16ELi128ELNS_18Fp8KVCacheDataTypeE1ELb1ELi512EEEvPfS2_PT_PKS3_PKT0_S9_ifPKiSB_iPKfiiiSD_SD_iiiii
    .private_segment_fixed_size: 0
    .sgpr_count:     54
    .sgpr_spill_count: 0
    .symbol:         _ZN4vllm25paged_attention_v2_kernelIthLi32ELi16ELi128ELNS_18Fp8KVCacheDataTypeE1ELb1ELi512EEEvPfS2_PT_PKS3_PKT0_S9_ifPKiSB_iPKfiiiSD_SD_iiiii.kd
    .uniform_work_group_size: 1
    .uses_dynamic_stack: false
    .vgpr_count:     58
    .vgpr_spill_count: 0
    .wavefront_size: 32
    .workgroup_processor_mode: 1
  - .args:
      - .actual_access:  write_only
        .address_space:  global
        .offset:         0
        .size:           8
        .value_kind:     global_buffer
      - .actual_access:  write_only
        .address_space:  global
        .offset:         8
        .size:           8
        .value_kind:     global_buffer
      - .actual_access:  write_only
        .address_space:  global
        .offset:         16
        .size:           8
        .value_kind:     global_buffer
      - .actual_access:  read_only
        .address_space:  global
        .offset:         24
        .size:           8
        .value_kind:     global_buffer
      - .actual_access:  read_only
        .address_space:  global
        .offset:         32
        .size:           8
        .value_kind:     global_buffer
      - .actual_access:  read_only
        .address_space:  global
        .offset:         40
        .size:           8
        .value_kind:     global_buffer
      - .offset:         48
        .size:           4
        .value_kind:     by_value
      - .offset:         52
        .size:           4
        .value_kind:     by_value
      - .actual_access:  read_only
        .address_space:  global
        .offset:         56
        .size:           8
        .value_kind:     global_buffer
      - .actual_access:  read_only
        .address_space:  global
        .offset:         64
        .size:           8
        .value_kind:     global_buffer
      - .offset:         72
        .size:           4
        .value_kind:     by_value
      - .actual_access:  read_only
        .address_space:  global
        .offset:         80
        .size:           8
        .value_kind:     global_buffer
      - .offset:         88
        .size:           4
        .value_kind:     by_value
      - .offset:         92
        .size:           4
        .value_kind:     by_value
      - .offset:         96
        .size:           4
        .value_kind:     by_value
      - .address_space:  global
        .offset:         104
        .size:           8
        .value_kind:     global_buffer
      - .address_space:  global
        .offset:         112
        .size:           8
        .value_kind:     global_buffer
      - .offset:         120
        .size:           4
        .value_kind:     by_value
      - .offset:         124
        .size:           4
        .value_kind:     by_value
      - .offset:         128
        .size:           4
        .value_kind:     by_value
      - .offset:         132
        .size:           4
        .value_kind:     by_value
      - .offset:         136
        .size:           4
        .value_kind:     by_value
      - .offset:         144
        .size:           4
        .value_kind:     hidden_block_count_x
      - .offset:         148
        .size:           4
        .value_kind:     hidden_block_count_y
      - .offset:         152
        .size:           4
        .value_kind:     hidden_block_count_z
      - .offset:         156
        .size:           2
        .value_kind:     hidden_group_size_x
      - .offset:         158
        .size:           2
        .value_kind:     hidden_group_size_y
      - .offset:         160
        .size:           2
        .value_kind:     hidden_group_size_z
      - .offset:         162
        .size:           2
        .value_kind:     hidden_remainder_x
      - .offset:         164
        .size:           2
        .value_kind:     hidden_remainder_y
      - .offset:         166
        .size:           2
        .value_kind:     hidden_remainder_z
      - .offset:         184
        .size:           8
        .value_kind:     hidden_global_offset_x
      - .offset:         192
        .size:           8
        .value_kind:     hidden_global_offset_y
      - .offset:         200
        .size:           8
        .value_kind:     hidden_global_offset_z
      - .offset:         208
        .size:           2
        .value_kind:     hidden_grid_dims
      - .offset:         264
        .size:           4
        .value_kind:     hidden_dynamic_lds_size
    .group_segment_fixed_size: 160
    .kernarg_segment_align: 8
    .kernarg_segment_size: 400
    .language:       OpenCL C
    .language_version:
      - 2
      - 0
    .max_flat_workgroup_size: 1024
    .name:           _ZN4vllm25paged_attention_v2_kernelIthLi64ELi16ELi128ELNS_18Fp8KVCacheDataTypeE1ELb1ELi512EEEvPfS2_PT_PKS3_PKT0_S9_ifPKiSB_iPKfiiiSD_SD_iiiii
    .private_segment_fixed_size: 0
    .sgpr_count:     54
    .sgpr_spill_count: 0
    .symbol:         _ZN4vllm25paged_attention_v2_kernelIthLi64ELi16ELi128ELNS_18Fp8KVCacheDataTypeE1ELb1ELi512EEEvPfS2_PT_PKS3_PKT0_S9_ifPKiSB_iPKfiiiSD_SD_iiiii.kd
    .uniform_work_group_size: 1
    .uses_dynamic_stack: false
    .vgpr_count:     87
    .vgpr_spill_count: 0
    .wavefront_size: 32
    .workgroup_processor_mode: 1
  - .args:
      - .actual_access:  write_only
        .address_space:  global
        .offset:         0
        .size:           8
        .value_kind:     global_buffer
      - .actual_access:  write_only
        .address_space:  global
        .offset:         8
        .size:           8
        .value_kind:     global_buffer
      - .actual_access:  write_only
        .address_space:  global
        .offset:         16
        .size:           8
        .value_kind:     global_buffer
      - .actual_access:  read_only
        .address_space:  global
        .offset:         24
        .size:           8
        .value_kind:     global_buffer
      - .actual_access:  read_only
        .address_space:  global
        .offset:         32
        .size:           8
        .value_kind:     global_buffer
      - .actual_access:  read_only
        .address_space:  global
        .offset:         40
        .size:           8
        .value_kind:     global_buffer
      - .offset:         48
        .size:           4
        .value_kind:     by_value
      - .offset:         52
        .size:           4
        .value_kind:     by_value
      - .actual_access:  read_only
        .address_space:  global
        .offset:         56
        .size:           8
        .value_kind:     global_buffer
      - .actual_access:  read_only
        .address_space:  global
        .offset:         64
        .size:           8
        .value_kind:     global_buffer
      - .offset:         72
        .size:           4
        .value_kind:     by_value
      - .actual_access:  read_only
        .address_space:  global
        .offset:         80
        .size:           8
        .value_kind:     global_buffer
      - .offset:         88
        .size:           4
        .value_kind:     by_value
      - .offset:         92
        .size:           4
        .value_kind:     by_value
      - .offset:         96
        .size:           4
        .value_kind:     by_value
      - .address_space:  global
        .offset:         104
        .size:           8
        .value_kind:     global_buffer
      - .address_space:  global
        .offset:         112
        .size:           8
        .value_kind:     global_buffer
      - .offset:         120
        .size:           4
        .value_kind:     by_value
      - .offset:         124
        .size:           4
        .value_kind:     by_value
      - .offset:         128
        .size:           4
        .value_kind:     by_value
      - .offset:         132
        .size:           4
        .value_kind:     by_value
      - .offset:         136
        .size:           4
        .value_kind:     by_value
      - .offset:         144
        .size:           4
        .value_kind:     hidden_block_count_x
      - .offset:         148
        .size:           4
        .value_kind:     hidden_block_count_y
      - .offset:         152
        .size:           4
        .value_kind:     hidden_block_count_z
      - .offset:         156
        .size:           2
        .value_kind:     hidden_group_size_x
      - .offset:         158
        .size:           2
        .value_kind:     hidden_group_size_y
      - .offset:         160
        .size:           2
        .value_kind:     hidden_group_size_z
      - .offset:         162
        .size:           2
        .value_kind:     hidden_remainder_x
      - .offset:         164
        .size:           2
        .value_kind:     hidden_remainder_y
      - .offset:         166
        .size:           2
        .value_kind:     hidden_remainder_z
      - .offset:         184
        .size:           8
        .value_kind:     hidden_global_offset_x
      - .offset:         192
        .size:           8
        .value_kind:     hidden_global_offset_y
      - .offset:         200
        .size:           8
        .value_kind:     hidden_global_offset_z
      - .offset:         208
        .size:           2
        .value_kind:     hidden_grid_dims
      - .offset:         264
        .size:           4
        .value_kind:     hidden_dynamic_lds_size
    .group_segment_fixed_size: 192
    .kernarg_segment_align: 8
    .kernarg_segment_size: 400
    .language:       OpenCL C
    .language_version:
      - 2
      - 0
    .max_flat_workgroup_size: 1024
    .name:           _ZN4vllm25paged_attention_v2_kernelIthLi80ELi16ELi128ELNS_18Fp8KVCacheDataTypeE1ELb1ELi512EEEvPfS2_PT_PKS3_PKT0_S9_ifPKiSB_iPKfiiiSD_SD_iiiii
    .private_segment_fixed_size: 0
    .sgpr_count:     54
    .sgpr_spill_count: 0
    .symbol:         _ZN4vllm25paged_attention_v2_kernelIthLi80ELi16ELi128ELNS_18Fp8KVCacheDataTypeE1ELb1ELi512EEEvPfS2_PT_PKS3_PKT0_S9_ifPKiSB_iPKfiiiSD_SD_iiiii.kd
    .uniform_work_group_size: 1
    .uses_dynamic_stack: false
    .vgpr_count:     102
    .vgpr_spill_count: 0
    .wavefront_size: 32
    .workgroup_processor_mode: 1
  - .args:
      - .actual_access:  write_only
        .address_space:  global
        .offset:         0
        .size:           8
        .value_kind:     global_buffer
      - .actual_access:  write_only
        .address_space:  global
        .offset:         8
        .size:           8
        .value_kind:     global_buffer
      - .actual_access:  write_only
        .address_space:  global
        .offset:         16
        .size:           8
        .value_kind:     global_buffer
      - .actual_access:  read_only
        .address_space:  global
        .offset:         24
        .size:           8
        .value_kind:     global_buffer
      - .actual_access:  read_only
        .address_space:  global
        .offset:         32
        .size:           8
        .value_kind:     global_buffer
      - .actual_access:  read_only
        .address_space:  global
        .offset:         40
        .size:           8
        .value_kind:     global_buffer
      - .offset:         48
        .size:           4
        .value_kind:     by_value
      - .offset:         52
        .size:           4
        .value_kind:     by_value
      - .actual_access:  read_only
        .address_space:  global
        .offset:         56
        .size:           8
        .value_kind:     global_buffer
      - .actual_access:  read_only
        .address_space:  global
        .offset:         64
        .size:           8
        .value_kind:     global_buffer
      - .offset:         72
        .size:           4
        .value_kind:     by_value
      - .actual_access:  read_only
        .address_space:  global
        .offset:         80
        .size:           8
        .value_kind:     global_buffer
      - .offset:         88
        .size:           4
        .value_kind:     by_value
      - .offset:         92
        .size:           4
        .value_kind:     by_value
      - .offset:         96
        .size:           4
        .value_kind:     by_value
      - .address_space:  global
        .offset:         104
        .size:           8
        .value_kind:     global_buffer
      - .address_space:  global
        .offset:         112
        .size:           8
        .value_kind:     global_buffer
      - .offset:         120
        .size:           4
        .value_kind:     by_value
      - .offset:         124
        .size:           4
        .value_kind:     by_value
      - .offset:         128
        .size:           4
        .value_kind:     by_value
      - .offset:         132
        .size:           4
        .value_kind:     by_value
      - .offset:         136
        .size:           4
        .value_kind:     by_value
      - .offset:         144
        .size:           4
        .value_kind:     hidden_block_count_x
      - .offset:         148
        .size:           4
        .value_kind:     hidden_block_count_y
      - .offset:         152
        .size:           4
        .value_kind:     hidden_block_count_z
      - .offset:         156
        .size:           2
        .value_kind:     hidden_group_size_x
      - .offset:         158
        .size:           2
        .value_kind:     hidden_group_size_y
      - .offset:         160
        .size:           2
        .value_kind:     hidden_group_size_z
      - .offset:         162
        .size:           2
        .value_kind:     hidden_remainder_x
      - .offset:         164
        .size:           2
        .value_kind:     hidden_remainder_y
      - .offset:         166
        .size:           2
        .value_kind:     hidden_remainder_z
      - .offset:         184
        .size:           8
        .value_kind:     hidden_global_offset_x
      - .offset:         192
        .size:           8
        .value_kind:     hidden_global_offset_y
      - .offset:         200
        .size:           8
        .value_kind:     hidden_global_offset_z
      - .offset:         208
        .size:           2
        .value_kind:     hidden_grid_dims
      - .offset:         264
        .size:           4
        .value_kind:     hidden_dynamic_lds_size
    .group_segment_fixed_size: 224
    .kernarg_segment_align: 8
    .kernarg_segment_size: 400
    .language:       OpenCL C
    .language_version:
      - 2
      - 0
    .max_flat_workgroup_size: 1024
    .name:           _ZN4vllm25paged_attention_v2_kernelIthLi96ELi16ELi128ELNS_18Fp8KVCacheDataTypeE1ELb1ELi512EEEvPfS2_PT_PKS3_PKT0_S9_ifPKiSB_iPKfiiiSD_SD_iiiii
    .private_segment_fixed_size: 0
    .sgpr_count:     54
    .sgpr_spill_count: 0
    .symbol:         _ZN4vllm25paged_attention_v2_kernelIthLi96ELi16ELi128ELNS_18Fp8KVCacheDataTypeE1ELb1ELi512EEEvPfS2_PT_PKS3_PKT0_S9_ifPKiSB_iPKfiiiSD_SD_iiiii.kd
    .uniform_work_group_size: 1
    .uses_dynamic_stack: false
    .vgpr_count:     115
    .vgpr_spill_count: 0
    .wavefront_size: 32
    .workgroup_processor_mode: 1
  - .args:
      - .actual_access:  write_only
        .address_space:  global
        .offset:         0
        .size:           8
        .value_kind:     global_buffer
      - .actual_access:  write_only
        .address_space:  global
        .offset:         8
        .size:           8
        .value_kind:     global_buffer
      - .actual_access:  write_only
        .address_space:  global
        .offset:         16
        .size:           8
        .value_kind:     global_buffer
      - .actual_access:  read_only
        .address_space:  global
        .offset:         24
        .size:           8
        .value_kind:     global_buffer
      - .actual_access:  read_only
        .address_space:  global
        .offset:         32
        .size:           8
        .value_kind:     global_buffer
      - .actual_access:  read_only
        .address_space:  global
        .offset:         40
        .size:           8
        .value_kind:     global_buffer
      - .offset:         48
        .size:           4
        .value_kind:     by_value
      - .offset:         52
        .size:           4
        .value_kind:     by_value
      - .actual_access:  read_only
        .address_space:  global
        .offset:         56
        .size:           8
        .value_kind:     global_buffer
      - .actual_access:  read_only
        .address_space:  global
        .offset:         64
        .size:           8
        .value_kind:     global_buffer
      - .offset:         72
        .size:           4
        .value_kind:     by_value
      - .actual_access:  read_only
        .address_space:  global
        .offset:         80
        .size:           8
        .value_kind:     global_buffer
      - .offset:         88
        .size:           4
        .value_kind:     by_value
      - .offset:         92
        .size:           4
        .value_kind:     by_value
      - .offset:         96
        .size:           4
        .value_kind:     by_value
      - .address_space:  global
        .offset:         104
        .size:           8
        .value_kind:     global_buffer
      - .address_space:  global
        .offset:         112
        .size:           8
        .value_kind:     global_buffer
      - .offset:         120
        .size:           4
        .value_kind:     by_value
      - .offset:         124
        .size:           4
        .value_kind:     by_value
      - .offset:         128
        .size:           4
        .value_kind:     by_value
      - .offset:         132
        .size:           4
        .value_kind:     by_value
      - .offset:         136
        .size:           4
        .value_kind:     by_value
      - .offset:         144
        .size:           4
        .value_kind:     hidden_block_count_x
      - .offset:         148
        .size:           4
        .value_kind:     hidden_block_count_y
      - .offset:         152
        .size:           4
        .value_kind:     hidden_block_count_z
      - .offset:         156
        .size:           2
        .value_kind:     hidden_group_size_x
      - .offset:         158
        .size:           2
        .value_kind:     hidden_group_size_y
      - .offset:         160
        .size:           2
        .value_kind:     hidden_group_size_z
      - .offset:         162
        .size:           2
        .value_kind:     hidden_remainder_x
      - .offset:         164
        .size:           2
        .value_kind:     hidden_remainder_y
      - .offset:         166
        .size:           2
        .value_kind:     hidden_remainder_z
      - .offset:         184
        .size:           8
        .value_kind:     hidden_global_offset_x
      - .offset:         192
        .size:           8
        .value_kind:     hidden_global_offset_y
      - .offset:         200
        .size:           8
        .value_kind:     hidden_global_offset_z
      - .offset:         208
        .size:           2
        .value_kind:     hidden_grid_dims
      - .offset:         264
        .size:           4
        .value_kind:     hidden_dynamic_lds_size
    .group_segment_fixed_size: 256
    .kernarg_segment_align: 8
    .kernarg_segment_size: 400
    .language:       OpenCL C
    .language_version:
      - 2
      - 0
    .max_flat_workgroup_size: 1024
    .name:           _ZN4vllm25paged_attention_v2_kernelIthLi112ELi16ELi128ELNS_18Fp8KVCacheDataTypeE1ELb1ELi512EEEvPfS2_PT_PKS3_PKT0_S9_ifPKiSB_iPKfiiiSD_SD_iiiii
    .private_segment_fixed_size: 0
    .sgpr_count:     54
    .sgpr_spill_count: 0
    .symbol:         _ZN4vllm25paged_attention_v2_kernelIthLi112ELi16ELi128ELNS_18Fp8KVCacheDataTypeE1ELb1ELi512EEEvPfS2_PT_PKS3_PKT0_S9_ifPKiSB_iPKfiiiSD_SD_iiiii.kd
    .uniform_work_group_size: 1
    .uses_dynamic_stack: false
    .vgpr_count:     128
    .vgpr_spill_count: 0
    .wavefront_size: 32
    .workgroup_processor_mode: 1
  - .args:
      - .actual_access:  write_only
        .address_space:  global
        .offset:         0
        .size:           8
        .value_kind:     global_buffer
      - .actual_access:  write_only
        .address_space:  global
        .offset:         8
        .size:           8
        .value_kind:     global_buffer
      - .actual_access:  write_only
        .address_space:  global
        .offset:         16
        .size:           8
        .value_kind:     global_buffer
      - .actual_access:  read_only
        .address_space:  global
        .offset:         24
        .size:           8
        .value_kind:     global_buffer
      - .actual_access:  read_only
        .address_space:  global
        .offset:         32
        .size:           8
        .value_kind:     global_buffer
      - .actual_access:  read_only
        .address_space:  global
        .offset:         40
        .size:           8
        .value_kind:     global_buffer
      - .offset:         48
        .size:           4
        .value_kind:     by_value
      - .offset:         52
        .size:           4
        .value_kind:     by_value
      - .actual_access:  read_only
        .address_space:  global
        .offset:         56
        .size:           8
        .value_kind:     global_buffer
      - .actual_access:  read_only
        .address_space:  global
        .offset:         64
        .size:           8
        .value_kind:     global_buffer
      - .offset:         72
        .size:           4
        .value_kind:     by_value
      - .actual_access:  read_only
        .address_space:  global
        .offset:         80
        .size:           8
        .value_kind:     global_buffer
      - .offset:         88
        .size:           4
        .value_kind:     by_value
      - .offset:         92
        .size:           4
        .value_kind:     by_value
      - .offset:         96
        .size:           4
        .value_kind:     by_value
      - .address_space:  global
        .offset:         104
        .size:           8
        .value_kind:     global_buffer
      - .address_space:  global
        .offset:         112
        .size:           8
        .value_kind:     global_buffer
      - .offset:         120
        .size:           4
        .value_kind:     by_value
      - .offset:         124
        .size:           4
        .value_kind:     by_value
      - .offset:         128
        .size:           4
        .value_kind:     by_value
      - .offset:         132
        .size:           4
        .value_kind:     by_value
      - .offset:         136
        .size:           4
        .value_kind:     by_value
      - .offset:         144
        .size:           4
        .value_kind:     hidden_block_count_x
      - .offset:         148
        .size:           4
        .value_kind:     hidden_block_count_y
      - .offset:         152
        .size:           4
        .value_kind:     hidden_block_count_z
      - .offset:         156
        .size:           2
        .value_kind:     hidden_group_size_x
      - .offset:         158
        .size:           2
        .value_kind:     hidden_group_size_y
      - .offset:         160
        .size:           2
        .value_kind:     hidden_group_size_z
      - .offset:         162
        .size:           2
        .value_kind:     hidden_remainder_x
      - .offset:         164
        .size:           2
        .value_kind:     hidden_remainder_y
      - .offset:         166
        .size:           2
        .value_kind:     hidden_remainder_z
      - .offset:         184
        .size:           8
        .value_kind:     hidden_global_offset_x
      - .offset:         192
        .size:           8
        .value_kind:     hidden_global_offset_y
      - .offset:         200
        .size:           8
        .value_kind:     hidden_global_offset_z
      - .offset:         208
        .size:           2
        .value_kind:     hidden_grid_dims
      - .offset:         264
        .size:           4
        .value_kind:     hidden_dynamic_lds_size
    .group_segment_fixed_size: 272
    .kernarg_segment_align: 8
    .kernarg_segment_size: 400
    .language:       OpenCL C
    .language_version:
      - 2
      - 0
    .max_flat_workgroup_size: 1024
    .name:           _ZN4vllm25paged_attention_v2_kernelIthLi120ELi16ELi128ELNS_18Fp8KVCacheDataTypeE1ELb1ELi512EEEvPfS2_PT_PKS3_PKT0_S9_ifPKiSB_iPKfiiiSD_SD_iiiii
    .private_segment_fixed_size: 8
    .sgpr_count:     58
    .sgpr_spill_count: 0
    .symbol:         _ZN4vllm25paged_attention_v2_kernelIthLi120ELi16ELi128ELNS_18Fp8KVCacheDataTypeE1ELb1ELi512EEEvPfS2_PT_PKS3_PKT0_S9_ifPKiSB_iPKfiiiSD_SD_iiiii.kd
    .uniform_work_group_size: 1
    .uses_dynamic_stack: false
    .vgpr_count:     128
    .vgpr_spill_count: 1
    .wavefront_size: 32
    .workgroup_processor_mode: 1
  - .args:
      - .actual_access:  write_only
        .address_space:  global
        .offset:         0
        .size:           8
        .value_kind:     global_buffer
      - .actual_access:  write_only
        .address_space:  global
        .offset:         8
        .size:           8
        .value_kind:     global_buffer
      - .actual_access:  write_only
        .address_space:  global
        .offset:         16
        .size:           8
        .value_kind:     global_buffer
      - .actual_access:  read_only
        .address_space:  global
        .offset:         24
        .size:           8
        .value_kind:     global_buffer
      - .actual_access:  read_only
        .address_space:  global
        .offset:         32
        .size:           8
        .value_kind:     global_buffer
      - .actual_access:  read_only
        .address_space:  global
        .offset:         40
        .size:           8
        .value_kind:     global_buffer
      - .offset:         48
        .size:           4
        .value_kind:     by_value
      - .offset:         52
        .size:           4
        .value_kind:     by_value
      - .actual_access:  read_only
        .address_space:  global
        .offset:         56
        .size:           8
        .value_kind:     global_buffer
      - .actual_access:  read_only
        .address_space:  global
        .offset:         64
        .size:           8
        .value_kind:     global_buffer
      - .offset:         72
        .size:           4
        .value_kind:     by_value
      - .actual_access:  read_only
        .address_space:  global
        .offset:         80
        .size:           8
        .value_kind:     global_buffer
      - .offset:         88
        .size:           4
        .value_kind:     by_value
      - .offset:         92
        .size:           4
        .value_kind:     by_value
      - .offset:         96
        .size:           4
        .value_kind:     by_value
      - .address_space:  global
        .offset:         104
        .size:           8
        .value_kind:     global_buffer
      - .address_space:  global
        .offset:         112
        .size:           8
        .value_kind:     global_buffer
      - .offset:         120
        .size:           4
        .value_kind:     by_value
      - .offset:         124
        .size:           4
        .value_kind:     by_value
      - .offset:         128
        .size:           4
        .value_kind:     by_value
      - .offset:         132
        .size:           4
        .value_kind:     by_value
      - .offset:         136
        .size:           4
        .value_kind:     by_value
      - .offset:         144
        .size:           4
        .value_kind:     hidden_block_count_x
      - .offset:         148
        .size:           4
        .value_kind:     hidden_block_count_y
      - .offset:         152
        .size:           4
        .value_kind:     hidden_block_count_z
      - .offset:         156
        .size:           2
        .value_kind:     hidden_group_size_x
      - .offset:         158
        .size:           2
        .value_kind:     hidden_group_size_y
      - .offset:         160
        .size:           2
        .value_kind:     hidden_group_size_z
      - .offset:         162
        .size:           2
        .value_kind:     hidden_remainder_x
      - .offset:         164
        .size:           2
        .value_kind:     hidden_remainder_y
      - .offset:         166
        .size:           2
        .value_kind:     hidden_remainder_z
      - .offset:         184
        .size:           8
        .value_kind:     hidden_global_offset_x
      - .offset:         192
        .size:           8
        .value_kind:     hidden_global_offset_y
      - .offset:         200
        .size:           8
        .value_kind:     hidden_global_offset_z
      - .offset:         208
        .size:           2
        .value_kind:     hidden_grid_dims
      - .offset:         264
        .size:           4
        .value_kind:     hidden_dynamic_lds_size
    .group_segment_fixed_size: 288
    .kernarg_segment_align: 8
    .kernarg_segment_size: 400
    .language:       OpenCL C
    .language_version:
      - 2
      - 0
    .max_flat_workgroup_size: 1024
    .name:           _ZN4vllm25paged_attention_v2_kernelIthLi128ELi16ELi128ELNS_18Fp8KVCacheDataTypeE1ELb1ELi512EEEvPfS2_PT_PKS3_PKT0_S9_ifPKiSB_iPKfiiiSD_SD_iiiii
    .private_segment_fixed_size: 0
    .sgpr_count:     55
    .sgpr_spill_count: 0
    .symbol:         _ZN4vllm25paged_attention_v2_kernelIthLi128ELi16ELi128ELNS_18Fp8KVCacheDataTypeE1ELb1ELi512EEEvPfS2_PT_PKS3_PKT0_S9_ifPKiSB_iPKfiiiSD_SD_iiiii.kd
    .uniform_work_group_size: 1
    .uses_dynamic_stack: false
    .vgpr_count:     99
    .vgpr_spill_count: 0
    .wavefront_size: 32
    .workgroup_processor_mode: 1
  - .args:
      - .address_space:  global
        .offset:         0
        .size:           8
        .value_kind:     global_buffer
      - .address_space:  global
        .offset:         8
        .size:           8
        .value_kind:     global_buffer
      - .address_space:  global
        .offset:         16
        .size:           8
        .value_kind:     global_buffer
      - .address_space:  global
        .offset:         24
        .size:           8
        .value_kind:     global_buffer
      - .address_space:  global
        .offset:         32
        .size:           8
        .value_kind:     global_buffer
      - .address_space:  global
        .offset:         40
        .size:           8
        .value_kind:     global_buffer
      - .offset:         48
        .size:           4
        .value_kind:     by_value
      - .offset:         52
        .size:           4
        .value_kind:     by_value
      - .address_space:  global
        .offset:         56
        .size:           8
        .value_kind:     global_buffer
      - .address_space:  global
        .offset:         64
        .size:           8
        .value_kind:     global_buffer
      - .offset:         72
        .size:           4
        .value_kind:     by_value
      - .address_space:  global
        .offset:         80
        .size:           8
        .value_kind:     global_buffer
      - .offset:         88
        .size:           4
        .value_kind:     by_value
      - .offset:         92
        .size:           4
        .value_kind:     by_value
      - .offset:         96
        .size:           4
        .value_kind:     by_value
      - .address_space:  global
        .offset:         104
        .size:           8
        .value_kind:     global_buffer
      - .address_space:  global
        .offset:         112
        .size:           8
        .value_kind:     global_buffer
      - .offset:         120
        .size:           4
        .value_kind:     by_value
      - .offset:         124
        .size:           4
        .value_kind:     by_value
      - .offset:         128
        .size:           4
        .value_kind:     by_value
      - .offset:         132
        .size:           4
        .value_kind:     by_value
      - .offset:         136
        .size:           4
        .value_kind:     by_value
      - .offset:         144
        .size:           4
        .value_kind:     hidden_block_count_x
      - .offset:         148
        .size:           4
        .value_kind:     hidden_block_count_y
      - .offset:         152
        .size:           4
        .value_kind:     hidden_block_count_z
      - .offset:         156
        .size:           2
        .value_kind:     hidden_group_size_x
      - .offset:         158
        .size:           2
        .value_kind:     hidden_group_size_y
      - .offset:         160
        .size:           2
        .value_kind:     hidden_group_size_z
      - .offset:         162
        .size:           2
        .value_kind:     hidden_remainder_x
      - .offset:         164
        .size:           2
        .value_kind:     hidden_remainder_y
      - .offset:         166
        .size:           2
        .value_kind:     hidden_remainder_z
      - .offset:         184
        .size:           8
        .value_kind:     hidden_global_offset_x
      - .offset:         192
        .size:           8
        .value_kind:     hidden_global_offset_y
      - .offset:         200
        .size:           8
        .value_kind:     hidden_global_offset_z
      - .offset:         208
        .size:           2
        .value_kind:     hidden_grid_dims
      - .offset:         264
        .size:           4
        .value_kind:     hidden_dynamic_lds_size
    .group_segment_fixed_size: 416
    .kernarg_segment_align: 8
    .kernarg_segment_size: 400
    .language:       OpenCL C
    .language_version:
      - 2
      - 0
    .max_flat_workgroup_size: 1024
    .name:           _ZN4vllm25paged_attention_v2_kernelIthLi192ELi16ELi128ELNS_18Fp8KVCacheDataTypeE1ELb1ELi512EEEvPfS2_PT_PKS3_PKT0_S9_ifPKiSB_iPKfiiiSD_SD_iiiii
    .private_segment_fixed_size: 344
    .sgpr_count:     50
    .sgpr_spill_count: 0
    .symbol:         _ZN4vllm25paged_attention_v2_kernelIthLi192ELi16ELi128ELNS_18Fp8KVCacheDataTypeE1ELb1ELi512EEEvPfS2_PT_PKS3_PKT0_S9_ifPKiSB_iPKfiiiSD_SD_iiiii.kd
    .uniform_work_group_size: 1
    .uses_dynamic_stack: false
    .vgpr_count:     128
    .vgpr_spill_count: 0
    .wavefront_size: 32
    .workgroup_processor_mode: 1
  - .args:
      - .address_space:  global
        .offset:         0
        .size:           8
        .value_kind:     global_buffer
      - .address_space:  global
        .offset:         8
        .size:           8
        .value_kind:     global_buffer
      - .address_space:  global
        .offset:         16
        .size:           8
        .value_kind:     global_buffer
      - .address_space:  global
        .offset:         24
        .size:           8
        .value_kind:     global_buffer
      - .address_space:  global
        .offset:         32
        .size:           8
        .value_kind:     global_buffer
      - .address_space:  global
        .offset:         40
        .size:           8
        .value_kind:     global_buffer
      - .offset:         48
        .size:           4
        .value_kind:     by_value
      - .offset:         52
        .size:           4
        .value_kind:     by_value
      - .address_space:  global
        .offset:         56
        .size:           8
        .value_kind:     global_buffer
      - .address_space:  global
        .offset:         64
        .size:           8
        .value_kind:     global_buffer
      - .offset:         72
        .size:           4
        .value_kind:     by_value
      - .address_space:  global
        .offset:         80
        .size:           8
        .value_kind:     global_buffer
      - .offset:         88
        .size:           4
        .value_kind:     by_value
      - .offset:         92
        .size:           4
        .value_kind:     by_value
      - .offset:         96
        .size:           4
        .value_kind:     by_value
      - .address_space:  global
        .offset:         104
        .size:           8
        .value_kind:     global_buffer
      - .address_space:  global
        .offset:         112
        .size:           8
        .value_kind:     global_buffer
      - .offset:         120
        .size:           4
        .value_kind:     by_value
      - .offset:         124
        .size:           4
        .value_kind:     by_value
      - .offset:         128
        .size:           4
        .value_kind:     by_value
      - .offset:         132
        .size:           4
        .value_kind:     by_value
      - .offset:         136
        .size:           4
        .value_kind:     by_value
      - .offset:         144
        .size:           4
        .value_kind:     hidden_block_count_x
      - .offset:         148
        .size:           4
        .value_kind:     hidden_block_count_y
      - .offset:         152
        .size:           4
        .value_kind:     hidden_block_count_z
      - .offset:         156
        .size:           2
        .value_kind:     hidden_group_size_x
      - .offset:         158
        .size:           2
        .value_kind:     hidden_group_size_y
      - .offset:         160
        .size:           2
        .value_kind:     hidden_group_size_z
      - .offset:         162
        .size:           2
        .value_kind:     hidden_remainder_x
      - .offset:         164
        .size:           2
        .value_kind:     hidden_remainder_y
      - .offset:         166
        .size:           2
        .value_kind:     hidden_remainder_z
      - .offset:         184
        .size:           8
        .value_kind:     hidden_global_offset_x
      - .offset:         192
        .size:           8
        .value_kind:     hidden_global_offset_y
      - .offset:         200
        .size:           8
        .value_kind:     hidden_global_offset_z
      - .offset:         208
        .size:           2
        .value_kind:     hidden_grid_dims
      - .offset:         264
        .size:           4
        .value_kind:     hidden_dynamic_lds_size
    .group_segment_fixed_size: 544
    .kernarg_segment_align: 8
    .kernarg_segment_size: 400
    .language:       OpenCL C
    .language_version:
      - 2
      - 0
    .max_flat_workgroup_size: 1024
    .name:           _ZN4vllm25paged_attention_v2_kernelIthLi256ELi16ELi128ELNS_18Fp8KVCacheDataTypeE1ELb1ELi512EEEvPfS2_PT_PKS3_PKT0_S9_ifPKiSB_iPKfiiiSD_SD_iiiii
    .private_segment_fixed_size: 524
    .sgpr_count:     50
    .sgpr_spill_count: 0
    .symbol:         _ZN4vllm25paged_attention_v2_kernelIthLi256ELi16ELi128ELNS_18Fp8KVCacheDataTypeE1ELb1ELi512EEEvPfS2_PT_PKS3_PKT0_S9_ifPKiSB_iPKfiiiSD_SD_iiiii.kd
    .uniform_work_group_size: 1
    .uses_dynamic_stack: false
    .vgpr_count:     128
    .vgpr_spill_count: 0
    .wavefront_size: 32
    .workgroup_processor_mode: 1
  - .args:
      - .actual_access:  write_only
        .address_space:  global
        .offset:         0
        .size:           8
        .value_kind:     global_buffer
      - .actual_access:  write_only
        .address_space:  global
        .offset:         8
        .size:           8
        .value_kind:     global_buffer
      - .actual_access:  write_only
        .address_space:  global
        .offset:         16
        .size:           8
        .value_kind:     global_buffer
      - .actual_access:  read_only
        .address_space:  global
        .offset:         24
        .size:           8
        .value_kind:     global_buffer
      - .actual_access:  read_only
        .address_space:  global
        .offset:         32
        .size:           8
        .value_kind:     global_buffer
      - .actual_access:  read_only
        .address_space:  global
        .offset:         40
        .size:           8
        .value_kind:     global_buffer
      - .offset:         48
        .size:           4
        .value_kind:     by_value
      - .offset:         52
        .size:           4
        .value_kind:     by_value
      - .actual_access:  read_only
        .address_space:  global
        .offset:         56
        .size:           8
        .value_kind:     global_buffer
      - .actual_access:  read_only
        .address_space:  global
        .offset:         64
        .size:           8
        .value_kind:     global_buffer
      - .offset:         72
        .size:           4
        .value_kind:     by_value
      - .actual_access:  read_only
        .address_space:  global
        .offset:         80
        .size:           8
        .value_kind:     global_buffer
      - .offset:         88
        .size:           4
        .value_kind:     by_value
      - .offset:         92
        .size:           4
        .value_kind:     by_value
      - .offset:         96
        .size:           4
        .value_kind:     by_value
      - .address_space:  global
        .offset:         104
        .size:           8
        .value_kind:     global_buffer
      - .address_space:  global
        .offset:         112
        .size:           8
        .value_kind:     global_buffer
      - .offset:         120
        .size:           4
        .value_kind:     by_value
      - .offset:         124
        .size:           4
        .value_kind:     by_value
      - .offset:         128
        .size:           4
        .value_kind:     by_value
      - .offset:         132
        .size:           4
        .value_kind:     by_value
      - .offset:         136
        .size:           4
        .value_kind:     by_value
      - .offset:         144
        .size:           4
        .value_kind:     hidden_block_count_x
      - .offset:         148
        .size:           4
        .value_kind:     hidden_block_count_y
      - .offset:         152
        .size:           4
        .value_kind:     hidden_block_count_z
      - .offset:         156
        .size:           2
        .value_kind:     hidden_group_size_x
      - .offset:         158
        .size:           2
        .value_kind:     hidden_group_size_y
      - .offset:         160
        .size:           2
        .value_kind:     hidden_group_size_z
      - .offset:         162
        .size:           2
        .value_kind:     hidden_remainder_x
      - .offset:         164
        .size:           2
        .value_kind:     hidden_remainder_y
      - .offset:         166
        .size:           2
        .value_kind:     hidden_remainder_z
      - .offset:         184
        .size:           8
        .value_kind:     hidden_global_offset_x
      - .offset:         192
        .size:           8
        .value_kind:     hidden_global_offset_y
      - .offset:         200
        .size:           8
        .value_kind:     hidden_global_offset_z
      - .offset:         208
        .size:           2
        .value_kind:     hidden_grid_dims
      - .offset:         264
        .size:           4
        .value_kind:     hidden_dynamic_lds_size
    .group_segment_fixed_size: 96
    .kernarg_segment_align: 8
    .kernarg_segment_size: 400
    .language:       OpenCL C
    .language_version:
      - 2
      - 0
    .max_flat_workgroup_size: 1024
    .name:           _ZN4vllm25paged_attention_v2_kernelIthLi32ELi16ELi128ELNS_18Fp8KVCacheDataTypeE1ELb0ELi512EEEvPfS2_PT_PKS3_PKT0_S9_ifPKiSB_iPKfiiiSD_SD_iiiii
    .private_segment_fixed_size: 0
    .sgpr_count:     45
    .sgpr_spill_count: 0
    .symbol:         _ZN4vllm25paged_attention_v2_kernelIthLi32ELi16ELi128ELNS_18Fp8KVCacheDataTypeE1ELb0ELi512EEEvPfS2_PT_PKS3_PKT0_S9_ifPKiSB_iPKfiiiSD_SD_iiiii.kd
    .uniform_work_group_size: 1
    .uses_dynamic_stack: false
    .vgpr_count:     54
    .vgpr_spill_count: 0
    .wavefront_size: 32
    .workgroup_processor_mode: 1
  - .args:
      - .actual_access:  write_only
        .address_space:  global
        .offset:         0
        .size:           8
        .value_kind:     global_buffer
      - .actual_access:  write_only
        .address_space:  global
        .offset:         8
        .size:           8
        .value_kind:     global_buffer
      - .actual_access:  write_only
        .address_space:  global
        .offset:         16
        .size:           8
        .value_kind:     global_buffer
      - .actual_access:  read_only
        .address_space:  global
        .offset:         24
        .size:           8
        .value_kind:     global_buffer
      - .actual_access:  read_only
        .address_space:  global
        .offset:         32
        .size:           8
        .value_kind:     global_buffer
      - .actual_access:  read_only
        .address_space:  global
        .offset:         40
        .size:           8
        .value_kind:     global_buffer
      - .offset:         48
        .size:           4
        .value_kind:     by_value
      - .offset:         52
        .size:           4
        .value_kind:     by_value
      - .actual_access:  read_only
        .address_space:  global
        .offset:         56
        .size:           8
        .value_kind:     global_buffer
      - .actual_access:  read_only
        .address_space:  global
        .offset:         64
        .size:           8
        .value_kind:     global_buffer
      - .offset:         72
        .size:           4
        .value_kind:     by_value
      - .actual_access:  read_only
        .address_space:  global
        .offset:         80
        .size:           8
        .value_kind:     global_buffer
      - .offset:         88
        .size:           4
        .value_kind:     by_value
      - .offset:         92
        .size:           4
        .value_kind:     by_value
      - .offset:         96
        .size:           4
        .value_kind:     by_value
      - .address_space:  global
        .offset:         104
        .size:           8
        .value_kind:     global_buffer
      - .address_space:  global
        .offset:         112
        .size:           8
        .value_kind:     global_buffer
      - .offset:         120
        .size:           4
        .value_kind:     by_value
      - .offset:         124
        .size:           4
        .value_kind:     by_value
      - .offset:         128
        .size:           4
        .value_kind:     by_value
      - .offset:         132
        .size:           4
        .value_kind:     by_value
      - .offset:         136
        .size:           4
        .value_kind:     by_value
      - .offset:         144
        .size:           4
        .value_kind:     hidden_block_count_x
      - .offset:         148
        .size:           4
        .value_kind:     hidden_block_count_y
      - .offset:         152
        .size:           4
        .value_kind:     hidden_block_count_z
      - .offset:         156
        .size:           2
        .value_kind:     hidden_group_size_x
      - .offset:         158
        .size:           2
        .value_kind:     hidden_group_size_y
      - .offset:         160
        .size:           2
        .value_kind:     hidden_group_size_z
      - .offset:         162
        .size:           2
        .value_kind:     hidden_remainder_x
      - .offset:         164
        .size:           2
        .value_kind:     hidden_remainder_y
      - .offset:         166
        .size:           2
        .value_kind:     hidden_remainder_z
      - .offset:         184
        .size:           8
        .value_kind:     hidden_global_offset_x
      - .offset:         192
        .size:           8
        .value_kind:     hidden_global_offset_y
      - .offset:         200
        .size:           8
        .value_kind:     hidden_global_offset_z
      - .offset:         208
        .size:           2
        .value_kind:     hidden_grid_dims
      - .offset:         264
        .size:           4
        .value_kind:     hidden_dynamic_lds_size
    .group_segment_fixed_size: 160
    .kernarg_segment_align: 8
    .kernarg_segment_size: 400
    .language:       OpenCL C
    .language_version:
      - 2
      - 0
    .max_flat_workgroup_size: 1024
    .name:           _ZN4vllm25paged_attention_v2_kernelIthLi64ELi16ELi128ELNS_18Fp8KVCacheDataTypeE1ELb0ELi512EEEvPfS2_PT_PKS3_PKT0_S9_ifPKiSB_iPKfiiiSD_SD_iiiii
    .private_segment_fixed_size: 0
    .sgpr_count:     45
    .sgpr_spill_count: 0
    .symbol:         _ZN4vllm25paged_attention_v2_kernelIthLi64ELi16ELi128ELNS_18Fp8KVCacheDataTypeE1ELb0ELi512EEEvPfS2_PT_PKS3_PKT0_S9_ifPKiSB_iPKfiiiSD_SD_iiiii.kd
    .uniform_work_group_size: 1
    .uses_dynamic_stack: false
    .vgpr_count:     83
    .vgpr_spill_count: 0
    .wavefront_size: 32
    .workgroup_processor_mode: 1
  - .args:
      - .actual_access:  write_only
        .address_space:  global
        .offset:         0
        .size:           8
        .value_kind:     global_buffer
      - .actual_access:  write_only
        .address_space:  global
        .offset:         8
        .size:           8
        .value_kind:     global_buffer
      - .actual_access:  write_only
        .address_space:  global
        .offset:         16
        .size:           8
        .value_kind:     global_buffer
      - .actual_access:  read_only
        .address_space:  global
        .offset:         24
        .size:           8
        .value_kind:     global_buffer
      - .actual_access:  read_only
        .address_space:  global
        .offset:         32
        .size:           8
        .value_kind:     global_buffer
      - .actual_access:  read_only
        .address_space:  global
        .offset:         40
        .size:           8
        .value_kind:     global_buffer
      - .offset:         48
        .size:           4
        .value_kind:     by_value
      - .offset:         52
        .size:           4
        .value_kind:     by_value
      - .actual_access:  read_only
        .address_space:  global
        .offset:         56
        .size:           8
        .value_kind:     global_buffer
      - .actual_access:  read_only
        .address_space:  global
        .offset:         64
        .size:           8
        .value_kind:     global_buffer
      - .offset:         72
        .size:           4
        .value_kind:     by_value
      - .actual_access:  read_only
        .address_space:  global
        .offset:         80
        .size:           8
        .value_kind:     global_buffer
      - .offset:         88
        .size:           4
        .value_kind:     by_value
      - .offset:         92
        .size:           4
        .value_kind:     by_value
      - .offset:         96
        .size:           4
        .value_kind:     by_value
      - .address_space:  global
        .offset:         104
        .size:           8
        .value_kind:     global_buffer
      - .address_space:  global
        .offset:         112
        .size:           8
        .value_kind:     global_buffer
      - .offset:         120
        .size:           4
        .value_kind:     by_value
      - .offset:         124
        .size:           4
        .value_kind:     by_value
      - .offset:         128
        .size:           4
        .value_kind:     by_value
      - .offset:         132
        .size:           4
        .value_kind:     by_value
      - .offset:         136
        .size:           4
        .value_kind:     by_value
      - .offset:         144
        .size:           4
        .value_kind:     hidden_block_count_x
      - .offset:         148
        .size:           4
        .value_kind:     hidden_block_count_y
      - .offset:         152
        .size:           4
        .value_kind:     hidden_block_count_z
      - .offset:         156
        .size:           2
        .value_kind:     hidden_group_size_x
      - .offset:         158
        .size:           2
        .value_kind:     hidden_group_size_y
      - .offset:         160
        .size:           2
        .value_kind:     hidden_group_size_z
      - .offset:         162
        .size:           2
        .value_kind:     hidden_remainder_x
      - .offset:         164
        .size:           2
        .value_kind:     hidden_remainder_y
      - .offset:         166
        .size:           2
        .value_kind:     hidden_remainder_z
      - .offset:         184
        .size:           8
        .value_kind:     hidden_global_offset_x
      - .offset:         192
        .size:           8
        .value_kind:     hidden_global_offset_y
      - .offset:         200
        .size:           8
        .value_kind:     hidden_global_offset_z
      - .offset:         208
        .size:           2
        .value_kind:     hidden_grid_dims
      - .offset:         264
        .size:           4
        .value_kind:     hidden_dynamic_lds_size
    .group_segment_fixed_size: 192
    .kernarg_segment_align: 8
    .kernarg_segment_size: 400
    .language:       OpenCL C
    .language_version:
      - 2
      - 0
    .max_flat_workgroup_size: 1024
    .name:           _ZN4vllm25paged_attention_v2_kernelIthLi80ELi16ELi128ELNS_18Fp8KVCacheDataTypeE1ELb0ELi512EEEvPfS2_PT_PKS3_PKT0_S9_ifPKiSB_iPKfiiiSD_SD_iiiii
    .private_segment_fixed_size: 0
    .sgpr_count:     45
    .sgpr_spill_count: 0
    .symbol:         _ZN4vllm25paged_attention_v2_kernelIthLi80ELi16ELi128ELNS_18Fp8KVCacheDataTypeE1ELb0ELi512EEEvPfS2_PT_PKS3_PKT0_S9_ifPKiSB_iPKfiiiSD_SD_iiiii.kd
    .uniform_work_group_size: 1
    .uses_dynamic_stack: false
    .vgpr_count:     98
    .vgpr_spill_count: 0
    .wavefront_size: 32
    .workgroup_processor_mode: 1
  - .args:
      - .actual_access:  write_only
        .address_space:  global
        .offset:         0
        .size:           8
        .value_kind:     global_buffer
      - .actual_access:  write_only
        .address_space:  global
        .offset:         8
        .size:           8
        .value_kind:     global_buffer
      - .actual_access:  write_only
        .address_space:  global
        .offset:         16
        .size:           8
        .value_kind:     global_buffer
      - .actual_access:  read_only
        .address_space:  global
        .offset:         24
        .size:           8
        .value_kind:     global_buffer
      - .actual_access:  read_only
        .address_space:  global
        .offset:         32
        .size:           8
        .value_kind:     global_buffer
      - .actual_access:  read_only
        .address_space:  global
        .offset:         40
        .size:           8
        .value_kind:     global_buffer
      - .offset:         48
        .size:           4
        .value_kind:     by_value
      - .offset:         52
        .size:           4
        .value_kind:     by_value
      - .actual_access:  read_only
        .address_space:  global
        .offset:         56
        .size:           8
        .value_kind:     global_buffer
      - .actual_access:  read_only
        .address_space:  global
        .offset:         64
        .size:           8
        .value_kind:     global_buffer
      - .offset:         72
        .size:           4
        .value_kind:     by_value
      - .actual_access:  read_only
        .address_space:  global
        .offset:         80
        .size:           8
        .value_kind:     global_buffer
      - .offset:         88
        .size:           4
        .value_kind:     by_value
      - .offset:         92
        .size:           4
        .value_kind:     by_value
      - .offset:         96
        .size:           4
        .value_kind:     by_value
      - .address_space:  global
        .offset:         104
        .size:           8
        .value_kind:     global_buffer
      - .address_space:  global
        .offset:         112
        .size:           8
        .value_kind:     global_buffer
      - .offset:         120
        .size:           4
        .value_kind:     by_value
      - .offset:         124
        .size:           4
        .value_kind:     by_value
      - .offset:         128
        .size:           4
        .value_kind:     by_value
      - .offset:         132
        .size:           4
        .value_kind:     by_value
      - .offset:         136
        .size:           4
        .value_kind:     by_value
      - .offset:         144
        .size:           4
        .value_kind:     hidden_block_count_x
      - .offset:         148
        .size:           4
        .value_kind:     hidden_block_count_y
      - .offset:         152
        .size:           4
        .value_kind:     hidden_block_count_z
      - .offset:         156
        .size:           2
        .value_kind:     hidden_group_size_x
      - .offset:         158
        .size:           2
        .value_kind:     hidden_group_size_y
      - .offset:         160
        .size:           2
        .value_kind:     hidden_group_size_z
      - .offset:         162
        .size:           2
        .value_kind:     hidden_remainder_x
      - .offset:         164
        .size:           2
        .value_kind:     hidden_remainder_y
      - .offset:         166
        .size:           2
        .value_kind:     hidden_remainder_z
      - .offset:         184
        .size:           8
        .value_kind:     hidden_global_offset_x
      - .offset:         192
        .size:           8
        .value_kind:     hidden_global_offset_y
      - .offset:         200
        .size:           8
        .value_kind:     hidden_global_offset_z
      - .offset:         208
        .size:           2
        .value_kind:     hidden_grid_dims
      - .offset:         264
        .size:           4
        .value_kind:     hidden_dynamic_lds_size
    .group_segment_fixed_size: 224
    .kernarg_segment_align: 8
    .kernarg_segment_size: 400
    .language:       OpenCL C
    .language_version:
      - 2
      - 0
    .max_flat_workgroup_size: 1024
    .name:           _ZN4vllm25paged_attention_v2_kernelIthLi96ELi16ELi128ELNS_18Fp8KVCacheDataTypeE1ELb0ELi512EEEvPfS2_PT_PKS3_PKT0_S9_ifPKiSB_iPKfiiiSD_SD_iiiii
    .private_segment_fixed_size: 0
    .sgpr_count:     45
    .sgpr_spill_count: 0
    .symbol:         _ZN4vllm25paged_attention_v2_kernelIthLi96ELi16ELi128ELNS_18Fp8KVCacheDataTypeE1ELb0ELi512EEEvPfS2_PT_PKS3_PKT0_S9_ifPKiSB_iPKfiiiSD_SD_iiiii.kd
    .uniform_work_group_size: 1
    .uses_dynamic_stack: false
    .vgpr_count:     111
    .vgpr_spill_count: 0
    .wavefront_size: 32
    .workgroup_processor_mode: 1
  - .args:
      - .actual_access:  write_only
        .address_space:  global
        .offset:         0
        .size:           8
        .value_kind:     global_buffer
      - .actual_access:  write_only
        .address_space:  global
        .offset:         8
        .size:           8
        .value_kind:     global_buffer
      - .actual_access:  write_only
        .address_space:  global
        .offset:         16
        .size:           8
        .value_kind:     global_buffer
      - .actual_access:  read_only
        .address_space:  global
        .offset:         24
        .size:           8
        .value_kind:     global_buffer
      - .actual_access:  read_only
        .address_space:  global
        .offset:         32
        .size:           8
        .value_kind:     global_buffer
      - .actual_access:  read_only
        .address_space:  global
        .offset:         40
        .size:           8
        .value_kind:     global_buffer
      - .offset:         48
        .size:           4
        .value_kind:     by_value
      - .offset:         52
        .size:           4
        .value_kind:     by_value
      - .actual_access:  read_only
        .address_space:  global
        .offset:         56
        .size:           8
        .value_kind:     global_buffer
      - .actual_access:  read_only
        .address_space:  global
        .offset:         64
        .size:           8
        .value_kind:     global_buffer
      - .offset:         72
        .size:           4
        .value_kind:     by_value
      - .actual_access:  read_only
        .address_space:  global
        .offset:         80
        .size:           8
        .value_kind:     global_buffer
      - .offset:         88
        .size:           4
        .value_kind:     by_value
      - .offset:         92
        .size:           4
        .value_kind:     by_value
      - .offset:         96
        .size:           4
        .value_kind:     by_value
      - .address_space:  global
        .offset:         104
        .size:           8
        .value_kind:     global_buffer
      - .address_space:  global
        .offset:         112
        .size:           8
        .value_kind:     global_buffer
      - .offset:         120
        .size:           4
        .value_kind:     by_value
      - .offset:         124
        .size:           4
        .value_kind:     by_value
      - .offset:         128
        .size:           4
        .value_kind:     by_value
      - .offset:         132
        .size:           4
        .value_kind:     by_value
      - .offset:         136
        .size:           4
        .value_kind:     by_value
      - .offset:         144
        .size:           4
        .value_kind:     hidden_block_count_x
      - .offset:         148
        .size:           4
        .value_kind:     hidden_block_count_y
      - .offset:         152
        .size:           4
        .value_kind:     hidden_block_count_z
      - .offset:         156
        .size:           2
        .value_kind:     hidden_group_size_x
      - .offset:         158
        .size:           2
        .value_kind:     hidden_group_size_y
      - .offset:         160
        .size:           2
        .value_kind:     hidden_group_size_z
      - .offset:         162
        .size:           2
        .value_kind:     hidden_remainder_x
      - .offset:         164
        .size:           2
        .value_kind:     hidden_remainder_y
      - .offset:         166
        .size:           2
        .value_kind:     hidden_remainder_z
      - .offset:         184
        .size:           8
        .value_kind:     hidden_global_offset_x
      - .offset:         192
        .size:           8
        .value_kind:     hidden_global_offset_y
      - .offset:         200
        .size:           8
        .value_kind:     hidden_global_offset_z
      - .offset:         208
        .size:           2
        .value_kind:     hidden_grid_dims
      - .offset:         264
        .size:           4
        .value_kind:     hidden_dynamic_lds_size
    .group_segment_fixed_size: 256
    .kernarg_segment_align: 8
    .kernarg_segment_size: 400
    .language:       OpenCL C
    .language_version:
      - 2
      - 0
    .max_flat_workgroup_size: 1024
    .name:           _ZN4vllm25paged_attention_v2_kernelIthLi112ELi16ELi128ELNS_18Fp8KVCacheDataTypeE1ELb0ELi512EEEvPfS2_PT_PKS3_PKT0_S9_ifPKiSB_iPKfiiiSD_SD_iiiii
    .private_segment_fixed_size: 0
    .sgpr_count:     45
    .sgpr_spill_count: 0
    .symbol:         _ZN4vllm25paged_attention_v2_kernelIthLi112ELi16ELi128ELNS_18Fp8KVCacheDataTypeE1ELb0ELi512EEEvPfS2_PT_PKS3_PKT0_S9_ifPKiSB_iPKfiiiSD_SD_iiiii.kd
    .uniform_work_group_size: 1
    .uses_dynamic_stack: false
    .vgpr_count:     127
    .vgpr_spill_count: 0
    .wavefront_size: 32
    .workgroup_processor_mode: 1
  - .args:
      - .actual_access:  write_only
        .address_space:  global
        .offset:         0
        .size:           8
        .value_kind:     global_buffer
      - .actual_access:  write_only
        .address_space:  global
        .offset:         8
        .size:           8
        .value_kind:     global_buffer
      - .actual_access:  write_only
        .address_space:  global
        .offset:         16
        .size:           8
        .value_kind:     global_buffer
      - .actual_access:  read_only
        .address_space:  global
        .offset:         24
        .size:           8
        .value_kind:     global_buffer
      - .actual_access:  read_only
        .address_space:  global
        .offset:         32
        .size:           8
        .value_kind:     global_buffer
      - .actual_access:  read_only
        .address_space:  global
        .offset:         40
        .size:           8
        .value_kind:     global_buffer
      - .offset:         48
        .size:           4
        .value_kind:     by_value
      - .offset:         52
        .size:           4
        .value_kind:     by_value
      - .actual_access:  read_only
        .address_space:  global
        .offset:         56
        .size:           8
        .value_kind:     global_buffer
      - .actual_access:  read_only
        .address_space:  global
        .offset:         64
        .size:           8
        .value_kind:     global_buffer
      - .offset:         72
        .size:           4
        .value_kind:     by_value
      - .actual_access:  read_only
        .address_space:  global
        .offset:         80
        .size:           8
        .value_kind:     global_buffer
      - .offset:         88
        .size:           4
        .value_kind:     by_value
      - .offset:         92
        .size:           4
        .value_kind:     by_value
      - .offset:         96
        .size:           4
        .value_kind:     by_value
      - .address_space:  global
        .offset:         104
        .size:           8
        .value_kind:     global_buffer
      - .address_space:  global
        .offset:         112
        .size:           8
        .value_kind:     global_buffer
      - .offset:         120
        .size:           4
        .value_kind:     by_value
      - .offset:         124
        .size:           4
        .value_kind:     by_value
      - .offset:         128
        .size:           4
        .value_kind:     by_value
      - .offset:         132
        .size:           4
        .value_kind:     by_value
      - .offset:         136
        .size:           4
        .value_kind:     by_value
      - .offset:         144
        .size:           4
        .value_kind:     hidden_block_count_x
      - .offset:         148
        .size:           4
        .value_kind:     hidden_block_count_y
      - .offset:         152
        .size:           4
        .value_kind:     hidden_block_count_z
      - .offset:         156
        .size:           2
        .value_kind:     hidden_group_size_x
      - .offset:         158
        .size:           2
        .value_kind:     hidden_group_size_y
      - .offset:         160
        .size:           2
        .value_kind:     hidden_group_size_z
      - .offset:         162
        .size:           2
        .value_kind:     hidden_remainder_x
      - .offset:         164
        .size:           2
        .value_kind:     hidden_remainder_y
      - .offset:         166
        .size:           2
        .value_kind:     hidden_remainder_z
      - .offset:         184
        .size:           8
        .value_kind:     hidden_global_offset_x
      - .offset:         192
        .size:           8
        .value_kind:     hidden_global_offset_y
      - .offset:         200
        .size:           8
        .value_kind:     hidden_global_offset_z
      - .offset:         208
        .size:           2
        .value_kind:     hidden_grid_dims
      - .offset:         264
        .size:           4
        .value_kind:     hidden_dynamic_lds_size
    .group_segment_fixed_size: 272
    .kernarg_segment_align: 8
    .kernarg_segment_size: 400
    .language:       OpenCL C
    .language_version:
      - 2
      - 0
    .max_flat_workgroup_size: 1024
    .name:           _ZN4vllm25paged_attention_v2_kernelIthLi120ELi16ELi128ELNS_18Fp8KVCacheDataTypeE1ELb0ELi512EEEvPfS2_PT_PKS3_PKT0_S9_ifPKiSB_iPKfiiiSD_SD_iiiii
    .private_segment_fixed_size: 0
    .sgpr_count:     45
    .sgpr_spill_count: 0
    .symbol:         _ZN4vllm25paged_attention_v2_kernelIthLi120ELi16ELi128ELNS_18Fp8KVCacheDataTypeE1ELb0ELi512EEEvPfS2_PT_PKS3_PKT0_S9_ifPKiSB_iPKfiiiSD_SD_iiiii.kd
    .uniform_work_group_size: 1
    .uses_dynamic_stack: false
    .vgpr_count:     127
    .vgpr_spill_count: 0
    .wavefront_size: 32
    .workgroup_processor_mode: 1
  - .args:
      - .actual_access:  write_only
        .address_space:  global
        .offset:         0
        .size:           8
        .value_kind:     global_buffer
      - .actual_access:  write_only
        .address_space:  global
        .offset:         8
        .size:           8
        .value_kind:     global_buffer
      - .actual_access:  write_only
        .address_space:  global
        .offset:         16
        .size:           8
        .value_kind:     global_buffer
      - .actual_access:  read_only
        .address_space:  global
        .offset:         24
        .size:           8
        .value_kind:     global_buffer
      - .actual_access:  read_only
        .address_space:  global
        .offset:         32
        .size:           8
        .value_kind:     global_buffer
      - .actual_access:  read_only
        .address_space:  global
        .offset:         40
        .size:           8
        .value_kind:     global_buffer
      - .offset:         48
        .size:           4
        .value_kind:     by_value
      - .offset:         52
        .size:           4
        .value_kind:     by_value
      - .actual_access:  read_only
        .address_space:  global
        .offset:         56
        .size:           8
        .value_kind:     global_buffer
      - .actual_access:  read_only
        .address_space:  global
        .offset:         64
        .size:           8
        .value_kind:     global_buffer
      - .offset:         72
        .size:           4
        .value_kind:     by_value
      - .actual_access:  read_only
        .address_space:  global
        .offset:         80
        .size:           8
        .value_kind:     global_buffer
      - .offset:         88
        .size:           4
        .value_kind:     by_value
      - .offset:         92
        .size:           4
        .value_kind:     by_value
      - .offset:         96
        .size:           4
        .value_kind:     by_value
      - .address_space:  global
        .offset:         104
        .size:           8
        .value_kind:     global_buffer
      - .address_space:  global
        .offset:         112
        .size:           8
        .value_kind:     global_buffer
      - .offset:         120
        .size:           4
        .value_kind:     by_value
      - .offset:         124
        .size:           4
        .value_kind:     by_value
      - .offset:         128
        .size:           4
        .value_kind:     by_value
      - .offset:         132
        .size:           4
        .value_kind:     by_value
      - .offset:         136
        .size:           4
        .value_kind:     by_value
      - .offset:         144
        .size:           4
        .value_kind:     hidden_block_count_x
      - .offset:         148
        .size:           4
        .value_kind:     hidden_block_count_y
      - .offset:         152
        .size:           4
        .value_kind:     hidden_block_count_z
      - .offset:         156
        .size:           2
        .value_kind:     hidden_group_size_x
      - .offset:         158
        .size:           2
        .value_kind:     hidden_group_size_y
      - .offset:         160
        .size:           2
        .value_kind:     hidden_group_size_z
      - .offset:         162
        .size:           2
        .value_kind:     hidden_remainder_x
      - .offset:         164
        .size:           2
        .value_kind:     hidden_remainder_y
      - .offset:         166
        .size:           2
        .value_kind:     hidden_remainder_z
      - .offset:         184
        .size:           8
        .value_kind:     hidden_global_offset_x
      - .offset:         192
        .size:           8
        .value_kind:     hidden_global_offset_y
      - .offset:         200
        .size:           8
        .value_kind:     hidden_global_offset_z
      - .offset:         208
        .size:           2
        .value_kind:     hidden_grid_dims
      - .offset:         264
        .size:           4
        .value_kind:     hidden_dynamic_lds_size
    .group_segment_fixed_size: 288
    .kernarg_segment_align: 8
    .kernarg_segment_size: 400
    .language:       OpenCL C
    .language_version:
      - 2
      - 0
    .max_flat_workgroup_size: 1024
    .name:           _ZN4vllm25paged_attention_v2_kernelIthLi128ELi16ELi128ELNS_18Fp8KVCacheDataTypeE1ELb0ELi512EEEvPfS2_PT_PKS3_PKT0_S9_ifPKiSB_iPKfiiiSD_SD_iiiii
    .private_segment_fixed_size: 0
    .sgpr_count:     46
    .sgpr_spill_count: 0
    .symbol:         _ZN4vllm25paged_attention_v2_kernelIthLi128ELi16ELi128ELNS_18Fp8KVCacheDataTypeE1ELb0ELi512EEEvPfS2_PT_PKS3_PKT0_S9_ifPKiSB_iPKfiiiSD_SD_iiiii.kd
    .uniform_work_group_size: 1
    .uses_dynamic_stack: false
    .vgpr_count:     128
    .vgpr_spill_count: 0
    .wavefront_size: 32
    .workgroup_processor_mode: 1
  - .args:
      - .address_space:  global
        .offset:         0
        .size:           8
        .value_kind:     global_buffer
      - .address_space:  global
        .offset:         8
        .size:           8
        .value_kind:     global_buffer
      - .address_space:  global
        .offset:         16
        .size:           8
        .value_kind:     global_buffer
      - .address_space:  global
        .offset:         24
        .size:           8
        .value_kind:     global_buffer
      - .address_space:  global
        .offset:         32
        .size:           8
        .value_kind:     global_buffer
      - .address_space:  global
        .offset:         40
        .size:           8
        .value_kind:     global_buffer
      - .offset:         48
        .size:           4
        .value_kind:     by_value
      - .offset:         52
        .size:           4
        .value_kind:     by_value
      - .address_space:  global
        .offset:         56
        .size:           8
        .value_kind:     global_buffer
      - .address_space:  global
        .offset:         64
        .size:           8
        .value_kind:     global_buffer
      - .offset:         72
        .size:           4
        .value_kind:     by_value
      - .address_space:  global
        .offset:         80
        .size:           8
        .value_kind:     global_buffer
      - .offset:         88
        .size:           4
        .value_kind:     by_value
      - .offset:         92
        .size:           4
        .value_kind:     by_value
      - .offset:         96
        .size:           4
        .value_kind:     by_value
      - .address_space:  global
        .offset:         104
        .size:           8
        .value_kind:     global_buffer
      - .address_space:  global
        .offset:         112
        .size:           8
        .value_kind:     global_buffer
      - .offset:         120
        .size:           4
        .value_kind:     by_value
      - .offset:         124
        .size:           4
        .value_kind:     by_value
      - .offset:         128
        .size:           4
        .value_kind:     by_value
      - .offset:         132
        .size:           4
        .value_kind:     by_value
      - .offset:         136
        .size:           4
        .value_kind:     by_value
      - .offset:         144
        .size:           4
        .value_kind:     hidden_block_count_x
      - .offset:         148
        .size:           4
        .value_kind:     hidden_block_count_y
      - .offset:         152
        .size:           4
        .value_kind:     hidden_block_count_z
      - .offset:         156
        .size:           2
        .value_kind:     hidden_group_size_x
      - .offset:         158
        .size:           2
        .value_kind:     hidden_group_size_y
      - .offset:         160
        .size:           2
        .value_kind:     hidden_group_size_z
      - .offset:         162
        .size:           2
        .value_kind:     hidden_remainder_x
      - .offset:         164
        .size:           2
        .value_kind:     hidden_remainder_y
      - .offset:         166
        .size:           2
        .value_kind:     hidden_remainder_z
      - .offset:         184
        .size:           8
        .value_kind:     hidden_global_offset_x
      - .offset:         192
        .size:           8
        .value_kind:     hidden_global_offset_y
      - .offset:         200
        .size:           8
        .value_kind:     hidden_global_offset_z
      - .offset:         208
        .size:           2
        .value_kind:     hidden_grid_dims
      - .offset:         264
        .size:           4
        .value_kind:     hidden_dynamic_lds_size
    .group_segment_fixed_size: 416
    .kernarg_segment_align: 8
    .kernarg_segment_size: 400
    .language:       OpenCL C
    .language_version:
      - 2
      - 0
    .max_flat_workgroup_size: 1024
    .name:           _ZN4vllm25paged_attention_v2_kernelIthLi192ELi16ELi128ELNS_18Fp8KVCacheDataTypeE1ELb0ELi512EEEvPfS2_PT_PKS3_PKT0_S9_ifPKiSB_iPKfiiiSD_SD_iiiii
    .private_segment_fixed_size: 296
    .sgpr_count:     46
    .sgpr_spill_count: 0
    .symbol:         _ZN4vllm25paged_attention_v2_kernelIthLi192ELi16ELi128ELNS_18Fp8KVCacheDataTypeE1ELb0ELi512EEEvPfS2_PT_PKS3_PKT0_S9_ifPKiSB_iPKfiiiSD_SD_iiiii.kd
    .uniform_work_group_size: 1
    .uses_dynamic_stack: false
    .vgpr_count:     128
    .vgpr_spill_count: 0
    .wavefront_size: 32
    .workgroup_processor_mode: 1
  - .args:
      - .address_space:  global
        .offset:         0
        .size:           8
        .value_kind:     global_buffer
      - .address_space:  global
        .offset:         8
        .size:           8
        .value_kind:     global_buffer
      - .address_space:  global
        .offset:         16
        .size:           8
        .value_kind:     global_buffer
      - .address_space:  global
        .offset:         24
        .size:           8
        .value_kind:     global_buffer
      - .address_space:  global
        .offset:         32
        .size:           8
        .value_kind:     global_buffer
      - .address_space:  global
        .offset:         40
        .size:           8
        .value_kind:     global_buffer
      - .offset:         48
        .size:           4
        .value_kind:     by_value
      - .offset:         52
        .size:           4
        .value_kind:     by_value
      - .address_space:  global
        .offset:         56
        .size:           8
        .value_kind:     global_buffer
      - .address_space:  global
        .offset:         64
        .size:           8
        .value_kind:     global_buffer
      - .offset:         72
        .size:           4
        .value_kind:     by_value
      - .address_space:  global
        .offset:         80
        .size:           8
        .value_kind:     global_buffer
      - .offset:         88
        .size:           4
        .value_kind:     by_value
      - .offset:         92
        .size:           4
        .value_kind:     by_value
      - .offset:         96
        .size:           4
        .value_kind:     by_value
      - .address_space:  global
        .offset:         104
        .size:           8
        .value_kind:     global_buffer
      - .address_space:  global
        .offset:         112
        .size:           8
        .value_kind:     global_buffer
      - .offset:         120
        .size:           4
        .value_kind:     by_value
      - .offset:         124
        .size:           4
        .value_kind:     by_value
      - .offset:         128
        .size:           4
        .value_kind:     by_value
      - .offset:         132
        .size:           4
        .value_kind:     by_value
      - .offset:         136
        .size:           4
        .value_kind:     by_value
      - .offset:         144
        .size:           4
        .value_kind:     hidden_block_count_x
      - .offset:         148
        .size:           4
        .value_kind:     hidden_block_count_y
      - .offset:         152
        .size:           4
        .value_kind:     hidden_block_count_z
      - .offset:         156
        .size:           2
        .value_kind:     hidden_group_size_x
      - .offset:         158
        .size:           2
        .value_kind:     hidden_group_size_y
      - .offset:         160
        .size:           2
        .value_kind:     hidden_group_size_z
      - .offset:         162
        .size:           2
        .value_kind:     hidden_remainder_x
      - .offset:         164
        .size:           2
        .value_kind:     hidden_remainder_y
      - .offset:         166
        .size:           2
        .value_kind:     hidden_remainder_z
      - .offset:         184
        .size:           8
        .value_kind:     hidden_global_offset_x
      - .offset:         192
        .size:           8
        .value_kind:     hidden_global_offset_y
      - .offset:         200
        .size:           8
        .value_kind:     hidden_global_offset_z
      - .offset:         208
        .size:           2
        .value_kind:     hidden_grid_dims
      - .offset:         264
        .size:           4
        .value_kind:     hidden_dynamic_lds_size
    .group_segment_fixed_size: 544
    .kernarg_segment_align: 8
    .kernarg_segment_size: 400
    .language:       OpenCL C
    .language_version:
      - 2
      - 0
    .max_flat_workgroup_size: 1024
    .name:           _ZN4vllm25paged_attention_v2_kernelIthLi256ELi16ELi128ELNS_18Fp8KVCacheDataTypeE1ELb0ELi512EEEvPfS2_PT_PKS3_PKT0_S9_ifPKiSB_iPKfiiiSD_SD_iiiii
    .private_segment_fixed_size: 464
    .sgpr_count:     46
    .sgpr_spill_count: 0
    .symbol:         _ZN4vllm25paged_attention_v2_kernelIthLi256ELi16ELi128ELNS_18Fp8KVCacheDataTypeE1ELb0ELi512EEEvPfS2_PT_PKS3_PKT0_S9_ifPKiSB_iPKfiiiSD_SD_iiiii.kd
    .uniform_work_group_size: 1
    .uses_dynamic_stack: false
    .vgpr_count:     128
    .vgpr_spill_count: 0
    .wavefront_size: 32
    .workgroup_processor_mode: 1
  - .args:
      - .actual_access:  write_only
        .address_space:  global
        .offset:         0
        .size:           8
        .value_kind:     global_buffer
      - .actual_access:  write_only
        .address_space:  global
        .offset:         8
        .size:           8
        .value_kind:     global_buffer
      - .actual_access:  write_only
        .address_space:  global
        .offset:         16
        .size:           8
        .value_kind:     global_buffer
      - .actual_access:  read_only
        .address_space:  global
        .offset:         24
        .size:           8
        .value_kind:     global_buffer
      - .actual_access:  read_only
        .address_space:  global
        .offset:         32
        .size:           8
        .value_kind:     global_buffer
      - .actual_access:  read_only
        .address_space:  global
        .offset:         40
        .size:           8
        .value_kind:     global_buffer
      - .offset:         48
        .size:           4
        .value_kind:     by_value
      - .offset:         52
        .size:           4
        .value_kind:     by_value
      - .actual_access:  read_only
        .address_space:  global
        .offset:         56
        .size:           8
        .value_kind:     global_buffer
      - .actual_access:  read_only
        .address_space:  global
        .offset:         64
        .size:           8
        .value_kind:     global_buffer
      - .offset:         72
        .size:           4
        .value_kind:     by_value
      - .actual_access:  read_only
        .address_space:  global
        .offset:         80
        .size:           8
        .value_kind:     global_buffer
      - .offset:         88
        .size:           4
        .value_kind:     by_value
      - .offset:         92
        .size:           4
        .value_kind:     by_value
      - .offset:         96
        .size:           4
        .value_kind:     by_value
      - .address_space:  global
        .offset:         104
        .size:           8
        .value_kind:     global_buffer
      - .address_space:  global
        .offset:         112
        .size:           8
        .value_kind:     global_buffer
      - .offset:         120
        .size:           4
        .value_kind:     by_value
      - .offset:         124
        .size:           4
        .value_kind:     by_value
      - .offset:         128
        .size:           4
        .value_kind:     by_value
      - .offset:         132
        .size:           4
        .value_kind:     by_value
      - .offset:         136
        .size:           4
        .value_kind:     by_value
      - .offset:         144
        .size:           4
        .value_kind:     hidden_block_count_x
      - .offset:         148
        .size:           4
        .value_kind:     hidden_block_count_y
      - .offset:         152
        .size:           4
        .value_kind:     hidden_block_count_z
      - .offset:         156
        .size:           2
        .value_kind:     hidden_group_size_x
      - .offset:         158
        .size:           2
        .value_kind:     hidden_group_size_y
      - .offset:         160
        .size:           2
        .value_kind:     hidden_group_size_z
      - .offset:         162
        .size:           2
        .value_kind:     hidden_remainder_x
      - .offset:         164
        .size:           2
        .value_kind:     hidden_remainder_y
      - .offset:         166
        .size:           2
        .value_kind:     hidden_remainder_z
      - .offset:         184
        .size:           8
        .value_kind:     hidden_global_offset_x
      - .offset:         192
        .size:           8
        .value_kind:     hidden_global_offset_y
      - .offset:         200
        .size:           8
        .value_kind:     hidden_global_offset_z
      - .offset:         208
        .size:           2
        .value_kind:     hidden_grid_dims
      - .offset:         264
        .size:           4
        .value_kind:     hidden_dynamic_lds_size
    .group_segment_fixed_size: 96
    .kernarg_segment_align: 8
    .kernarg_segment_size: 400
    .language:       OpenCL C
    .language_version:
      - 2
      - 0
    .max_flat_workgroup_size: 1024
    .name:           _ZN4vllm25paged_attention_v2_kernelIthLi32ELi32ELi128ELNS_18Fp8KVCacheDataTypeE1ELb1ELi512EEEvPfS2_PT_PKS3_PKT0_S9_ifPKiSB_iPKfiiiSD_SD_iiiii
    .private_segment_fixed_size: 0
    .sgpr_count:     55
    .sgpr_spill_count: 0
    .symbol:         _ZN4vllm25paged_attention_v2_kernelIthLi32ELi32ELi128ELNS_18Fp8KVCacheDataTypeE1ELb1ELi512EEEvPfS2_PT_PKS3_PKT0_S9_ifPKiSB_iPKfiiiSD_SD_iiiii.kd
    .uniform_work_group_size: 1
    .uses_dynamic_stack: false
    .vgpr_count:     79
    .vgpr_spill_count: 0
    .wavefront_size: 32
    .workgroup_processor_mode: 1
  - .args:
      - .actual_access:  write_only
        .address_space:  global
        .offset:         0
        .size:           8
        .value_kind:     global_buffer
      - .actual_access:  write_only
        .address_space:  global
        .offset:         8
        .size:           8
        .value_kind:     global_buffer
      - .actual_access:  write_only
        .address_space:  global
        .offset:         16
        .size:           8
        .value_kind:     global_buffer
      - .actual_access:  read_only
        .address_space:  global
        .offset:         24
        .size:           8
        .value_kind:     global_buffer
      - .actual_access:  read_only
        .address_space:  global
        .offset:         32
        .size:           8
        .value_kind:     global_buffer
      - .actual_access:  read_only
        .address_space:  global
        .offset:         40
        .size:           8
        .value_kind:     global_buffer
      - .offset:         48
        .size:           4
        .value_kind:     by_value
      - .offset:         52
        .size:           4
        .value_kind:     by_value
      - .actual_access:  read_only
        .address_space:  global
        .offset:         56
        .size:           8
        .value_kind:     global_buffer
      - .actual_access:  read_only
        .address_space:  global
        .offset:         64
        .size:           8
        .value_kind:     global_buffer
      - .offset:         72
        .size:           4
        .value_kind:     by_value
      - .actual_access:  read_only
        .address_space:  global
        .offset:         80
        .size:           8
        .value_kind:     global_buffer
      - .offset:         88
        .size:           4
        .value_kind:     by_value
      - .offset:         92
        .size:           4
        .value_kind:     by_value
      - .offset:         96
        .size:           4
        .value_kind:     by_value
      - .address_space:  global
        .offset:         104
        .size:           8
        .value_kind:     global_buffer
      - .address_space:  global
        .offset:         112
        .size:           8
        .value_kind:     global_buffer
      - .offset:         120
        .size:           4
        .value_kind:     by_value
      - .offset:         124
        .size:           4
        .value_kind:     by_value
      - .offset:         128
        .size:           4
        .value_kind:     by_value
      - .offset:         132
        .size:           4
        .value_kind:     by_value
      - .offset:         136
        .size:           4
        .value_kind:     by_value
      - .offset:         144
        .size:           4
        .value_kind:     hidden_block_count_x
      - .offset:         148
        .size:           4
        .value_kind:     hidden_block_count_y
      - .offset:         152
        .size:           4
        .value_kind:     hidden_block_count_z
      - .offset:         156
        .size:           2
        .value_kind:     hidden_group_size_x
      - .offset:         158
        .size:           2
        .value_kind:     hidden_group_size_y
      - .offset:         160
        .size:           2
        .value_kind:     hidden_group_size_z
      - .offset:         162
        .size:           2
        .value_kind:     hidden_remainder_x
      - .offset:         164
        .size:           2
        .value_kind:     hidden_remainder_y
      - .offset:         166
        .size:           2
        .value_kind:     hidden_remainder_z
      - .offset:         184
        .size:           8
        .value_kind:     hidden_global_offset_x
      - .offset:         192
        .size:           8
        .value_kind:     hidden_global_offset_y
      - .offset:         200
        .size:           8
        .value_kind:     hidden_global_offset_z
      - .offset:         208
        .size:           2
        .value_kind:     hidden_grid_dims
      - .offset:         264
        .size:           4
        .value_kind:     hidden_dynamic_lds_size
    .group_segment_fixed_size: 160
    .kernarg_segment_align: 8
    .kernarg_segment_size: 400
    .language:       OpenCL C
    .language_version:
      - 2
      - 0
    .max_flat_workgroup_size: 1024
    .name:           _ZN4vllm25paged_attention_v2_kernelIthLi64ELi32ELi128ELNS_18Fp8KVCacheDataTypeE1ELb1ELi512EEEvPfS2_PT_PKS3_PKT0_S9_ifPKiSB_iPKfiiiSD_SD_iiiii
    .private_segment_fixed_size: 0
    .sgpr_count:     55
    .sgpr_spill_count: 0
    .symbol:         _ZN4vllm25paged_attention_v2_kernelIthLi64ELi32ELi128ELNS_18Fp8KVCacheDataTypeE1ELb1ELi512EEEvPfS2_PT_PKS3_PKT0_S9_ifPKiSB_iPKfiiiSD_SD_iiiii.kd
    .uniform_work_group_size: 1
    .uses_dynamic_stack: false
    .vgpr_count:     116
    .vgpr_spill_count: 0
    .wavefront_size: 32
    .workgroup_processor_mode: 1
  - .args:
      - .actual_access:  write_only
        .address_space:  global
        .offset:         0
        .size:           8
        .value_kind:     global_buffer
      - .actual_access:  write_only
        .address_space:  global
        .offset:         8
        .size:           8
        .value_kind:     global_buffer
      - .actual_access:  write_only
        .address_space:  global
        .offset:         16
        .size:           8
        .value_kind:     global_buffer
      - .actual_access:  read_only
        .address_space:  global
        .offset:         24
        .size:           8
        .value_kind:     global_buffer
      - .actual_access:  read_only
        .address_space:  global
        .offset:         32
        .size:           8
        .value_kind:     global_buffer
      - .actual_access:  read_only
        .address_space:  global
        .offset:         40
        .size:           8
        .value_kind:     global_buffer
      - .offset:         48
        .size:           4
        .value_kind:     by_value
      - .offset:         52
        .size:           4
        .value_kind:     by_value
      - .actual_access:  read_only
        .address_space:  global
        .offset:         56
        .size:           8
        .value_kind:     global_buffer
      - .actual_access:  read_only
        .address_space:  global
        .offset:         64
        .size:           8
        .value_kind:     global_buffer
      - .offset:         72
        .size:           4
        .value_kind:     by_value
      - .actual_access:  read_only
        .address_space:  global
        .offset:         80
        .size:           8
        .value_kind:     global_buffer
      - .offset:         88
        .size:           4
        .value_kind:     by_value
      - .offset:         92
        .size:           4
        .value_kind:     by_value
      - .offset:         96
        .size:           4
        .value_kind:     by_value
      - .address_space:  global
        .offset:         104
        .size:           8
        .value_kind:     global_buffer
      - .address_space:  global
        .offset:         112
        .size:           8
        .value_kind:     global_buffer
      - .offset:         120
        .size:           4
        .value_kind:     by_value
      - .offset:         124
        .size:           4
        .value_kind:     by_value
      - .offset:         128
        .size:           4
        .value_kind:     by_value
      - .offset:         132
        .size:           4
        .value_kind:     by_value
      - .offset:         136
        .size:           4
        .value_kind:     by_value
      - .offset:         144
        .size:           4
        .value_kind:     hidden_block_count_x
      - .offset:         148
        .size:           4
        .value_kind:     hidden_block_count_y
      - .offset:         152
        .size:           4
        .value_kind:     hidden_block_count_z
      - .offset:         156
        .size:           2
        .value_kind:     hidden_group_size_x
      - .offset:         158
        .size:           2
        .value_kind:     hidden_group_size_y
      - .offset:         160
        .size:           2
        .value_kind:     hidden_group_size_z
      - .offset:         162
        .size:           2
        .value_kind:     hidden_remainder_x
      - .offset:         164
        .size:           2
        .value_kind:     hidden_remainder_y
      - .offset:         166
        .size:           2
        .value_kind:     hidden_remainder_z
      - .offset:         184
        .size:           8
        .value_kind:     hidden_global_offset_x
      - .offset:         192
        .size:           8
        .value_kind:     hidden_global_offset_y
      - .offset:         200
        .size:           8
        .value_kind:     hidden_global_offset_z
      - .offset:         208
        .size:           2
        .value_kind:     hidden_grid_dims
      - .offset:         264
        .size:           4
        .value_kind:     hidden_dynamic_lds_size
    .group_segment_fixed_size: 192
    .kernarg_segment_align: 8
    .kernarg_segment_size: 400
    .language:       OpenCL C
    .language_version:
      - 2
      - 0
    .max_flat_workgroup_size: 1024
    .name:           _ZN4vllm25paged_attention_v2_kernelIthLi80ELi32ELi128ELNS_18Fp8KVCacheDataTypeE1ELb1ELi512EEEvPfS2_PT_PKS3_PKT0_S9_ifPKiSB_iPKfiiiSD_SD_iiiii
    .private_segment_fixed_size: 32
    .sgpr_count:     62
    .sgpr_spill_count: 0
    .symbol:         _ZN4vllm25paged_attention_v2_kernelIthLi80ELi32ELi128ELNS_18Fp8KVCacheDataTypeE1ELb1ELi512EEEvPfS2_PT_PKS3_PKT0_S9_ifPKiSB_iPKfiiiSD_SD_iiiii.kd
    .uniform_work_group_size: 1
    .uses_dynamic_stack: false
    .vgpr_count:     128
    .vgpr_spill_count: 7
    .wavefront_size: 32
    .workgroup_processor_mode: 1
  - .args:
      - .address_space:  global
        .offset:         0
        .size:           8
        .value_kind:     global_buffer
      - .address_space:  global
        .offset:         8
        .size:           8
        .value_kind:     global_buffer
      - .address_space:  global
        .offset:         16
        .size:           8
        .value_kind:     global_buffer
      - .address_space:  global
        .offset:         24
        .size:           8
        .value_kind:     global_buffer
      - .address_space:  global
        .offset:         32
        .size:           8
        .value_kind:     global_buffer
      - .address_space:  global
        .offset:         40
        .size:           8
        .value_kind:     global_buffer
      - .offset:         48
        .size:           4
        .value_kind:     by_value
      - .offset:         52
        .size:           4
        .value_kind:     by_value
      - .address_space:  global
        .offset:         56
        .size:           8
        .value_kind:     global_buffer
      - .address_space:  global
        .offset:         64
        .size:           8
        .value_kind:     global_buffer
      - .offset:         72
        .size:           4
        .value_kind:     by_value
      - .address_space:  global
        .offset:         80
        .size:           8
        .value_kind:     global_buffer
      - .offset:         88
        .size:           4
        .value_kind:     by_value
      - .offset:         92
        .size:           4
        .value_kind:     by_value
      - .offset:         96
        .size:           4
        .value_kind:     by_value
      - .address_space:  global
        .offset:         104
        .size:           8
        .value_kind:     global_buffer
      - .address_space:  global
        .offset:         112
        .size:           8
        .value_kind:     global_buffer
      - .offset:         120
        .size:           4
        .value_kind:     by_value
      - .offset:         124
        .size:           4
        .value_kind:     by_value
      - .offset:         128
        .size:           4
        .value_kind:     by_value
      - .offset:         132
        .size:           4
        .value_kind:     by_value
      - .offset:         136
        .size:           4
        .value_kind:     by_value
      - .offset:         144
        .size:           4
        .value_kind:     hidden_block_count_x
      - .offset:         148
        .size:           4
        .value_kind:     hidden_block_count_y
      - .offset:         152
        .size:           4
        .value_kind:     hidden_block_count_z
      - .offset:         156
        .size:           2
        .value_kind:     hidden_group_size_x
      - .offset:         158
        .size:           2
        .value_kind:     hidden_group_size_y
      - .offset:         160
        .size:           2
        .value_kind:     hidden_group_size_z
      - .offset:         162
        .size:           2
        .value_kind:     hidden_remainder_x
      - .offset:         164
        .size:           2
        .value_kind:     hidden_remainder_y
      - .offset:         166
        .size:           2
        .value_kind:     hidden_remainder_z
      - .offset:         184
        .size:           8
        .value_kind:     hidden_global_offset_x
      - .offset:         192
        .size:           8
        .value_kind:     hidden_global_offset_y
      - .offset:         200
        .size:           8
        .value_kind:     hidden_global_offset_z
      - .offset:         208
        .size:           2
        .value_kind:     hidden_grid_dims
      - .offset:         264
        .size:           4
        .value_kind:     hidden_dynamic_lds_size
    .group_segment_fixed_size: 224
    .kernarg_segment_align: 8
    .kernarg_segment_size: 400
    .language:       OpenCL C
    .language_version:
      - 2
      - 0
    .max_flat_workgroup_size: 1024
    .name:           _ZN4vllm25paged_attention_v2_kernelIthLi96ELi32ELi128ELNS_18Fp8KVCacheDataTypeE1ELb1ELi512EEEvPfS2_PT_PKS3_PKT0_S9_ifPKiSB_iPKfiiiSD_SD_iiiii
    .private_segment_fixed_size: 352
    .sgpr_count:     50
    .sgpr_spill_count: 0
    .symbol:         _ZN4vllm25paged_attention_v2_kernelIthLi96ELi32ELi128ELNS_18Fp8KVCacheDataTypeE1ELb1ELi512EEEvPfS2_PT_PKS3_PKT0_S9_ifPKiSB_iPKfiiiSD_SD_iiiii.kd
    .uniform_work_group_size: 1
    .uses_dynamic_stack: false
    .vgpr_count:     128
    .vgpr_spill_count: 0
    .wavefront_size: 32
    .workgroup_processor_mode: 1
  - .args:
      - .address_space:  global
        .offset:         0
        .size:           8
        .value_kind:     global_buffer
      - .address_space:  global
        .offset:         8
        .size:           8
        .value_kind:     global_buffer
      - .address_space:  global
        .offset:         16
        .size:           8
        .value_kind:     global_buffer
      - .address_space:  global
        .offset:         24
        .size:           8
        .value_kind:     global_buffer
      - .address_space:  global
        .offset:         32
        .size:           8
        .value_kind:     global_buffer
      - .address_space:  global
        .offset:         40
        .size:           8
        .value_kind:     global_buffer
      - .offset:         48
        .size:           4
        .value_kind:     by_value
      - .offset:         52
        .size:           4
        .value_kind:     by_value
      - .address_space:  global
        .offset:         56
        .size:           8
        .value_kind:     global_buffer
      - .address_space:  global
        .offset:         64
        .size:           8
        .value_kind:     global_buffer
      - .offset:         72
        .size:           4
        .value_kind:     by_value
      - .address_space:  global
        .offset:         80
        .size:           8
        .value_kind:     global_buffer
      - .offset:         88
        .size:           4
        .value_kind:     by_value
      - .offset:         92
        .size:           4
        .value_kind:     by_value
      - .offset:         96
        .size:           4
        .value_kind:     by_value
      - .address_space:  global
        .offset:         104
        .size:           8
        .value_kind:     global_buffer
      - .address_space:  global
        .offset:         112
        .size:           8
        .value_kind:     global_buffer
      - .offset:         120
        .size:           4
        .value_kind:     by_value
      - .offset:         124
        .size:           4
        .value_kind:     by_value
      - .offset:         128
        .size:           4
        .value_kind:     by_value
      - .offset:         132
        .size:           4
        .value_kind:     by_value
      - .offset:         136
        .size:           4
        .value_kind:     by_value
      - .offset:         144
        .size:           4
        .value_kind:     hidden_block_count_x
      - .offset:         148
        .size:           4
        .value_kind:     hidden_block_count_y
      - .offset:         152
        .size:           4
        .value_kind:     hidden_block_count_z
      - .offset:         156
        .size:           2
        .value_kind:     hidden_group_size_x
      - .offset:         158
        .size:           2
        .value_kind:     hidden_group_size_y
      - .offset:         160
        .size:           2
        .value_kind:     hidden_group_size_z
      - .offset:         162
        .size:           2
        .value_kind:     hidden_remainder_x
      - .offset:         164
        .size:           2
        .value_kind:     hidden_remainder_y
      - .offset:         166
        .size:           2
        .value_kind:     hidden_remainder_z
      - .offset:         184
        .size:           8
        .value_kind:     hidden_global_offset_x
      - .offset:         192
        .size:           8
        .value_kind:     hidden_global_offset_y
      - .offset:         200
        .size:           8
        .value_kind:     hidden_global_offset_z
      - .offset:         208
        .size:           2
        .value_kind:     hidden_grid_dims
      - .offset:         264
        .size:           4
        .value_kind:     hidden_dynamic_lds_size
    .group_segment_fixed_size: 256
    .kernarg_segment_align: 8
    .kernarg_segment_size: 400
    .language:       OpenCL C
    .language_version:
      - 2
      - 0
    .max_flat_workgroup_size: 1024
    .name:           _ZN4vllm25paged_attention_v2_kernelIthLi112ELi32ELi128ELNS_18Fp8KVCacheDataTypeE1ELb1ELi512EEEvPfS2_PT_PKS3_PKT0_S9_ifPKiSB_iPKfiiiSD_SD_iiiii
    .private_segment_fixed_size: 412
    .sgpr_count:     50
    .sgpr_spill_count: 0
    .symbol:         _ZN4vllm25paged_attention_v2_kernelIthLi112ELi32ELi128ELNS_18Fp8KVCacheDataTypeE1ELb1ELi512EEEvPfS2_PT_PKS3_PKT0_S9_ifPKiSB_iPKfiiiSD_SD_iiiii.kd
    .uniform_work_group_size: 1
    .uses_dynamic_stack: false
    .vgpr_count:     128
    .vgpr_spill_count: 0
    .wavefront_size: 32
    .workgroup_processor_mode: 1
  - .args:
      - .address_space:  global
        .offset:         0
        .size:           8
        .value_kind:     global_buffer
      - .address_space:  global
        .offset:         8
        .size:           8
        .value_kind:     global_buffer
      - .address_space:  global
        .offset:         16
        .size:           8
        .value_kind:     global_buffer
      - .address_space:  global
        .offset:         24
        .size:           8
        .value_kind:     global_buffer
      - .address_space:  global
        .offset:         32
        .size:           8
        .value_kind:     global_buffer
      - .address_space:  global
        .offset:         40
        .size:           8
        .value_kind:     global_buffer
      - .offset:         48
        .size:           4
        .value_kind:     by_value
      - .offset:         52
        .size:           4
        .value_kind:     by_value
      - .address_space:  global
        .offset:         56
        .size:           8
        .value_kind:     global_buffer
      - .address_space:  global
        .offset:         64
        .size:           8
        .value_kind:     global_buffer
      - .offset:         72
        .size:           4
        .value_kind:     by_value
      - .address_space:  global
        .offset:         80
        .size:           8
        .value_kind:     global_buffer
      - .offset:         88
        .size:           4
        .value_kind:     by_value
      - .offset:         92
        .size:           4
        .value_kind:     by_value
      - .offset:         96
        .size:           4
        .value_kind:     by_value
      - .address_space:  global
        .offset:         104
        .size:           8
        .value_kind:     global_buffer
      - .address_space:  global
        .offset:         112
        .size:           8
        .value_kind:     global_buffer
      - .offset:         120
        .size:           4
        .value_kind:     by_value
      - .offset:         124
        .size:           4
        .value_kind:     by_value
      - .offset:         128
        .size:           4
        .value_kind:     by_value
      - .offset:         132
        .size:           4
        .value_kind:     by_value
      - .offset:         136
        .size:           4
        .value_kind:     by_value
      - .offset:         144
        .size:           4
        .value_kind:     hidden_block_count_x
      - .offset:         148
        .size:           4
        .value_kind:     hidden_block_count_y
      - .offset:         152
        .size:           4
        .value_kind:     hidden_block_count_z
      - .offset:         156
        .size:           2
        .value_kind:     hidden_group_size_x
      - .offset:         158
        .size:           2
        .value_kind:     hidden_group_size_y
      - .offset:         160
        .size:           2
        .value_kind:     hidden_group_size_z
      - .offset:         162
        .size:           2
        .value_kind:     hidden_remainder_x
      - .offset:         164
        .size:           2
        .value_kind:     hidden_remainder_y
      - .offset:         166
        .size:           2
        .value_kind:     hidden_remainder_z
      - .offset:         184
        .size:           8
        .value_kind:     hidden_global_offset_x
      - .offset:         192
        .size:           8
        .value_kind:     hidden_global_offset_y
      - .offset:         200
        .size:           8
        .value_kind:     hidden_global_offset_z
      - .offset:         208
        .size:           2
        .value_kind:     hidden_grid_dims
      - .offset:         264
        .size:           4
        .value_kind:     hidden_dynamic_lds_size
    .group_segment_fixed_size: 272
    .kernarg_segment_align: 8
    .kernarg_segment_size: 400
    .language:       OpenCL C
    .language_version:
      - 2
      - 0
    .max_flat_workgroup_size: 1024
    .name:           _ZN4vllm25paged_attention_v2_kernelIthLi120ELi32ELi128ELNS_18Fp8KVCacheDataTypeE1ELb1ELi512EEEvPfS2_PT_PKS3_PKT0_S9_ifPKiSB_iPKfiiiSD_SD_iiiii
    .private_segment_fixed_size: 464
    .sgpr_count:     50
    .sgpr_spill_count: 0
    .symbol:         _ZN4vllm25paged_attention_v2_kernelIthLi120ELi32ELi128ELNS_18Fp8KVCacheDataTypeE1ELb1ELi512EEEvPfS2_PT_PKS3_PKT0_S9_ifPKiSB_iPKfiiiSD_SD_iiiii.kd
    .uniform_work_group_size: 1
    .uses_dynamic_stack: false
    .vgpr_count:     128
    .vgpr_spill_count: 0
    .wavefront_size: 32
    .workgroup_processor_mode: 1
  - .args:
      - .address_space:  global
        .offset:         0
        .size:           8
        .value_kind:     global_buffer
      - .address_space:  global
        .offset:         8
        .size:           8
        .value_kind:     global_buffer
      - .address_space:  global
        .offset:         16
        .size:           8
        .value_kind:     global_buffer
      - .address_space:  global
        .offset:         24
        .size:           8
        .value_kind:     global_buffer
      - .address_space:  global
        .offset:         32
        .size:           8
        .value_kind:     global_buffer
      - .address_space:  global
        .offset:         40
        .size:           8
        .value_kind:     global_buffer
      - .offset:         48
        .size:           4
        .value_kind:     by_value
      - .offset:         52
        .size:           4
        .value_kind:     by_value
      - .address_space:  global
        .offset:         56
        .size:           8
        .value_kind:     global_buffer
      - .address_space:  global
        .offset:         64
        .size:           8
        .value_kind:     global_buffer
      - .offset:         72
        .size:           4
        .value_kind:     by_value
      - .address_space:  global
        .offset:         80
        .size:           8
        .value_kind:     global_buffer
      - .offset:         88
        .size:           4
        .value_kind:     by_value
      - .offset:         92
        .size:           4
        .value_kind:     by_value
      - .offset:         96
        .size:           4
        .value_kind:     by_value
      - .address_space:  global
        .offset:         104
        .size:           8
        .value_kind:     global_buffer
      - .address_space:  global
        .offset:         112
        .size:           8
        .value_kind:     global_buffer
      - .offset:         120
        .size:           4
        .value_kind:     by_value
      - .offset:         124
        .size:           4
        .value_kind:     by_value
      - .offset:         128
        .size:           4
        .value_kind:     by_value
      - .offset:         132
        .size:           4
        .value_kind:     by_value
      - .offset:         136
        .size:           4
        .value_kind:     by_value
      - .offset:         144
        .size:           4
        .value_kind:     hidden_block_count_x
      - .offset:         148
        .size:           4
        .value_kind:     hidden_block_count_y
      - .offset:         152
        .size:           4
        .value_kind:     hidden_block_count_z
      - .offset:         156
        .size:           2
        .value_kind:     hidden_group_size_x
      - .offset:         158
        .size:           2
        .value_kind:     hidden_group_size_y
      - .offset:         160
        .size:           2
        .value_kind:     hidden_group_size_z
      - .offset:         162
        .size:           2
        .value_kind:     hidden_remainder_x
      - .offset:         164
        .size:           2
        .value_kind:     hidden_remainder_y
      - .offset:         166
        .size:           2
        .value_kind:     hidden_remainder_z
      - .offset:         184
        .size:           8
        .value_kind:     hidden_global_offset_x
      - .offset:         192
        .size:           8
        .value_kind:     hidden_global_offset_y
      - .offset:         200
        .size:           8
        .value_kind:     hidden_global_offset_z
      - .offset:         208
        .size:           2
        .value_kind:     hidden_grid_dims
      - .offset:         264
        .size:           4
        .value_kind:     hidden_dynamic_lds_size
    .group_segment_fixed_size: 288
    .kernarg_segment_align: 8
    .kernarg_segment_size: 400
    .language:       OpenCL C
    .language_version:
      - 2
      - 0
    .max_flat_workgroup_size: 1024
    .name:           _ZN4vllm25paged_attention_v2_kernelIthLi128ELi32ELi128ELNS_18Fp8KVCacheDataTypeE1ELb1ELi512EEEvPfS2_PT_PKS3_PKT0_S9_ifPKiSB_iPKfiiiSD_SD_iiiii
    .private_segment_fixed_size: 528
    .sgpr_count:     50
    .sgpr_spill_count: 0
    .symbol:         _ZN4vllm25paged_attention_v2_kernelIthLi128ELi32ELi128ELNS_18Fp8KVCacheDataTypeE1ELb1ELi512EEEvPfS2_PT_PKS3_PKT0_S9_ifPKiSB_iPKfiiiSD_SD_iiiii.kd
    .uniform_work_group_size: 1
    .uses_dynamic_stack: false
    .vgpr_count:     128
    .vgpr_spill_count: 0
    .wavefront_size: 32
    .workgroup_processor_mode: 1
  - .args:
      - .address_space:  global
        .offset:         0
        .size:           8
        .value_kind:     global_buffer
      - .address_space:  global
        .offset:         8
        .size:           8
        .value_kind:     global_buffer
      - .address_space:  global
        .offset:         16
        .size:           8
        .value_kind:     global_buffer
      - .address_space:  global
        .offset:         24
        .size:           8
        .value_kind:     global_buffer
      - .address_space:  global
        .offset:         32
        .size:           8
        .value_kind:     global_buffer
      - .address_space:  global
        .offset:         40
        .size:           8
        .value_kind:     global_buffer
      - .offset:         48
        .size:           4
        .value_kind:     by_value
      - .offset:         52
        .size:           4
        .value_kind:     by_value
      - .address_space:  global
        .offset:         56
        .size:           8
        .value_kind:     global_buffer
      - .address_space:  global
        .offset:         64
        .size:           8
        .value_kind:     global_buffer
      - .offset:         72
        .size:           4
        .value_kind:     by_value
      - .address_space:  global
        .offset:         80
        .size:           8
        .value_kind:     global_buffer
      - .offset:         88
        .size:           4
        .value_kind:     by_value
      - .offset:         92
        .size:           4
        .value_kind:     by_value
      - .offset:         96
        .size:           4
        .value_kind:     by_value
      - .address_space:  global
        .offset:         104
        .size:           8
        .value_kind:     global_buffer
      - .address_space:  global
        .offset:         112
        .size:           8
        .value_kind:     global_buffer
      - .offset:         120
        .size:           4
        .value_kind:     by_value
      - .offset:         124
        .size:           4
        .value_kind:     by_value
      - .offset:         128
        .size:           4
        .value_kind:     by_value
      - .offset:         132
        .size:           4
        .value_kind:     by_value
      - .offset:         136
        .size:           4
        .value_kind:     by_value
      - .offset:         144
        .size:           4
        .value_kind:     hidden_block_count_x
      - .offset:         148
        .size:           4
        .value_kind:     hidden_block_count_y
      - .offset:         152
        .size:           4
        .value_kind:     hidden_block_count_z
      - .offset:         156
        .size:           2
        .value_kind:     hidden_group_size_x
      - .offset:         158
        .size:           2
        .value_kind:     hidden_group_size_y
      - .offset:         160
        .size:           2
        .value_kind:     hidden_group_size_z
      - .offset:         162
        .size:           2
        .value_kind:     hidden_remainder_x
      - .offset:         164
        .size:           2
        .value_kind:     hidden_remainder_y
      - .offset:         166
        .size:           2
        .value_kind:     hidden_remainder_z
      - .offset:         184
        .size:           8
        .value_kind:     hidden_global_offset_x
      - .offset:         192
        .size:           8
        .value_kind:     hidden_global_offset_y
      - .offset:         200
        .size:           8
        .value_kind:     hidden_global_offset_z
      - .offset:         208
        .size:           2
        .value_kind:     hidden_grid_dims
      - .offset:         264
        .size:           4
        .value_kind:     hidden_dynamic_lds_size
    .group_segment_fixed_size: 416
    .kernarg_segment_align: 8
    .kernarg_segment_size: 400
    .language:       OpenCL C
    .language_version:
      - 2
      - 0
    .max_flat_workgroup_size: 1024
    .name:           _ZN4vllm25paged_attention_v2_kernelIthLi192ELi32ELi128ELNS_18Fp8KVCacheDataTypeE1ELb1ELi512EEEvPfS2_PT_PKS3_PKT0_S9_ifPKiSB_iPKfiiiSD_SD_iiiii
    .private_segment_fixed_size: 1008
    .sgpr_count:     50
    .sgpr_spill_count: 0
    .symbol:         _ZN4vllm25paged_attention_v2_kernelIthLi192ELi32ELi128ELNS_18Fp8KVCacheDataTypeE1ELb1ELi512EEEvPfS2_PT_PKS3_PKT0_S9_ifPKiSB_iPKfiiiSD_SD_iiiii.kd
    .uniform_work_group_size: 1
    .uses_dynamic_stack: false
    .vgpr_count:     128
    .vgpr_spill_count: 0
    .wavefront_size: 32
    .workgroup_processor_mode: 1
  - .args:
      - .address_space:  global
        .offset:         0
        .size:           8
        .value_kind:     global_buffer
      - .address_space:  global
        .offset:         8
        .size:           8
        .value_kind:     global_buffer
      - .address_space:  global
        .offset:         16
        .size:           8
        .value_kind:     global_buffer
      - .address_space:  global
        .offset:         24
        .size:           8
        .value_kind:     global_buffer
      - .address_space:  global
        .offset:         32
        .size:           8
        .value_kind:     global_buffer
      - .address_space:  global
        .offset:         40
        .size:           8
        .value_kind:     global_buffer
      - .offset:         48
        .size:           4
        .value_kind:     by_value
      - .offset:         52
        .size:           4
        .value_kind:     by_value
      - .address_space:  global
        .offset:         56
        .size:           8
        .value_kind:     global_buffer
      - .address_space:  global
        .offset:         64
        .size:           8
        .value_kind:     global_buffer
      - .offset:         72
        .size:           4
        .value_kind:     by_value
      - .address_space:  global
        .offset:         80
        .size:           8
        .value_kind:     global_buffer
      - .offset:         88
        .size:           4
        .value_kind:     by_value
      - .offset:         92
        .size:           4
        .value_kind:     by_value
      - .offset:         96
        .size:           4
        .value_kind:     by_value
      - .address_space:  global
        .offset:         104
        .size:           8
        .value_kind:     global_buffer
      - .address_space:  global
        .offset:         112
        .size:           8
        .value_kind:     global_buffer
      - .offset:         120
        .size:           4
        .value_kind:     by_value
      - .offset:         124
        .size:           4
        .value_kind:     by_value
      - .offset:         128
        .size:           4
        .value_kind:     by_value
      - .offset:         132
        .size:           4
        .value_kind:     by_value
      - .offset:         136
        .size:           4
        .value_kind:     by_value
      - .offset:         144
        .size:           4
        .value_kind:     hidden_block_count_x
      - .offset:         148
        .size:           4
        .value_kind:     hidden_block_count_y
      - .offset:         152
        .size:           4
        .value_kind:     hidden_block_count_z
      - .offset:         156
        .size:           2
        .value_kind:     hidden_group_size_x
      - .offset:         158
        .size:           2
        .value_kind:     hidden_group_size_y
      - .offset:         160
        .size:           2
        .value_kind:     hidden_group_size_z
      - .offset:         162
        .size:           2
        .value_kind:     hidden_remainder_x
      - .offset:         164
        .size:           2
        .value_kind:     hidden_remainder_y
      - .offset:         166
        .size:           2
        .value_kind:     hidden_remainder_z
      - .offset:         184
        .size:           8
        .value_kind:     hidden_global_offset_x
      - .offset:         192
        .size:           8
        .value_kind:     hidden_global_offset_y
      - .offset:         200
        .size:           8
        .value_kind:     hidden_global_offset_z
      - .offset:         208
        .size:           2
        .value_kind:     hidden_grid_dims
      - .offset:         264
        .size:           4
        .value_kind:     hidden_dynamic_lds_size
    .group_segment_fixed_size: 544
    .kernarg_segment_align: 8
    .kernarg_segment_size: 400
    .language:       OpenCL C
    .language_version:
      - 2
      - 0
    .max_flat_workgroup_size: 1024
    .name:           _ZN4vllm25paged_attention_v2_kernelIthLi256ELi32ELi128ELNS_18Fp8KVCacheDataTypeE1ELb1ELi512EEEvPfS2_PT_PKS3_PKT0_S9_ifPKiSB_iPKfiiiSD_SD_iiiii
    .private_segment_fixed_size: 1384
    .sgpr_count:     50
    .sgpr_spill_count: 0
    .symbol:         _ZN4vllm25paged_attention_v2_kernelIthLi256ELi32ELi128ELNS_18Fp8KVCacheDataTypeE1ELb1ELi512EEEvPfS2_PT_PKS3_PKT0_S9_ifPKiSB_iPKfiiiSD_SD_iiiii.kd
    .uniform_work_group_size: 1
    .uses_dynamic_stack: false
    .vgpr_count:     128
    .vgpr_spill_count: 0
    .wavefront_size: 32
    .workgroup_processor_mode: 1
  - .args:
      - .actual_access:  write_only
        .address_space:  global
        .offset:         0
        .size:           8
        .value_kind:     global_buffer
      - .actual_access:  write_only
        .address_space:  global
        .offset:         8
        .size:           8
        .value_kind:     global_buffer
      - .actual_access:  write_only
        .address_space:  global
        .offset:         16
        .size:           8
        .value_kind:     global_buffer
      - .actual_access:  read_only
        .address_space:  global
        .offset:         24
        .size:           8
        .value_kind:     global_buffer
      - .actual_access:  read_only
        .address_space:  global
        .offset:         32
        .size:           8
        .value_kind:     global_buffer
      - .actual_access:  read_only
        .address_space:  global
        .offset:         40
        .size:           8
        .value_kind:     global_buffer
      - .offset:         48
        .size:           4
        .value_kind:     by_value
      - .offset:         52
        .size:           4
        .value_kind:     by_value
      - .actual_access:  read_only
        .address_space:  global
        .offset:         56
        .size:           8
        .value_kind:     global_buffer
      - .actual_access:  read_only
        .address_space:  global
        .offset:         64
        .size:           8
        .value_kind:     global_buffer
      - .offset:         72
        .size:           4
        .value_kind:     by_value
      - .actual_access:  read_only
        .address_space:  global
        .offset:         80
        .size:           8
        .value_kind:     global_buffer
      - .offset:         88
        .size:           4
        .value_kind:     by_value
      - .offset:         92
        .size:           4
        .value_kind:     by_value
      - .offset:         96
        .size:           4
        .value_kind:     by_value
      - .address_space:  global
        .offset:         104
        .size:           8
        .value_kind:     global_buffer
      - .address_space:  global
        .offset:         112
        .size:           8
        .value_kind:     global_buffer
      - .offset:         120
        .size:           4
        .value_kind:     by_value
      - .offset:         124
        .size:           4
        .value_kind:     by_value
      - .offset:         128
        .size:           4
        .value_kind:     by_value
      - .offset:         132
        .size:           4
        .value_kind:     by_value
      - .offset:         136
        .size:           4
        .value_kind:     by_value
      - .offset:         144
        .size:           4
        .value_kind:     hidden_block_count_x
      - .offset:         148
        .size:           4
        .value_kind:     hidden_block_count_y
      - .offset:         152
        .size:           4
        .value_kind:     hidden_block_count_z
      - .offset:         156
        .size:           2
        .value_kind:     hidden_group_size_x
      - .offset:         158
        .size:           2
        .value_kind:     hidden_group_size_y
      - .offset:         160
        .size:           2
        .value_kind:     hidden_group_size_z
      - .offset:         162
        .size:           2
        .value_kind:     hidden_remainder_x
      - .offset:         164
        .size:           2
        .value_kind:     hidden_remainder_y
      - .offset:         166
        .size:           2
        .value_kind:     hidden_remainder_z
      - .offset:         184
        .size:           8
        .value_kind:     hidden_global_offset_x
      - .offset:         192
        .size:           8
        .value_kind:     hidden_global_offset_y
      - .offset:         200
        .size:           8
        .value_kind:     hidden_global_offset_z
      - .offset:         208
        .size:           2
        .value_kind:     hidden_grid_dims
      - .offset:         264
        .size:           4
        .value_kind:     hidden_dynamic_lds_size
    .group_segment_fixed_size: 96
    .kernarg_segment_align: 8
    .kernarg_segment_size: 400
    .language:       OpenCL C
    .language_version:
      - 2
      - 0
    .max_flat_workgroup_size: 1024
    .name:           _ZN4vllm25paged_attention_v2_kernelIthLi32ELi32ELi128ELNS_18Fp8KVCacheDataTypeE1ELb0ELi512EEEvPfS2_PT_PKS3_PKT0_S9_ifPKiSB_iPKfiiiSD_SD_iiiii
    .private_segment_fixed_size: 0
    .sgpr_count:     46
    .sgpr_spill_count: 0
    .symbol:         _ZN4vllm25paged_attention_v2_kernelIthLi32ELi32ELi128ELNS_18Fp8KVCacheDataTypeE1ELb0ELi512EEEvPfS2_PT_PKS3_PKT0_S9_ifPKiSB_iPKfiiiSD_SD_iiiii.kd
    .uniform_work_group_size: 1
    .uses_dynamic_stack: false
    .vgpr_count:     73
    .vgpr_spill_count: 0
    .wavefront_size: 32
    .workgroup_processor_mode: 1
  - .args:
      - .actual_access:  write_only
        .address_space:  global
        .offset:         0
        .size:           8
        .value_kind:     global_buffer
      - .actual_access:  write_only
        .address_space:  global
        .offset:         8
        .size:           8
        .value_kind:     global_buffer
      - .actual_access:  write_only
        .address_space:  global
        .offset:         16
        .size:           8
        .value_kind:     global_buffer
      - .actual_access:  read_only
        .address_space:  global
        .offset:         24
        .size:           8
        .value_kind:     global_buffer
      - .actual_access:  read_only
        .address_space:  global
        .offset:         32
        .size:           8
        .value_kind:     global_buffer
      - .actual_access:  read_only
        .address_space:  global
        .offset:         40
        .size:           8
        .value_kind:     global_buffer
      - .offset:         48
        .size:           4
        .value_kind:     by_value
      - .offset:         52
        .size:           4
        .value_kind:     by_value
      - .actual_access:  read_only
        .address_space:  global
        .offset:         56
        .size:           8
        .value_kind:     global_buffer
      - .actual_access:  read_only
        .address_space:  global
        .offset:         64
        .size:           8
        .value_kind:     global_buffer
      - .offset:         72
        .size:           4
        .value_kind:     by_value
      - .actual_access:  read_only
        .address_space:  global
        .offset:         80
        .size:           8
        .value_kind:     global_buffer
      - .offset:         88
        .size:           4
        .value_kind:     by_value
      - .offset:         92
        .size:           4
        .value_kind:     by_value
      - .offset:         96
        .size:           4
        .value_kind:     by_value
      - .address_space:  global
        .offset:         104
        .size:           8
        .value_kind:     global_buffer
      - .address_space:  global
        .offset:         112
        .size:           8
        .value_kind:     global_buffer
      - .offset:         120
        .size:           4
        .value_kind:     by_value
      - .offset:         124
        .size:           4
        .value_kind:     by_value
      - .offset:         128
        .size:           4
        .value_kind:     by_value
      - .offset:         132
        .size:           4
        .value_kind:     by_value
      - .offset:         136
        .size:           4
        .value_kind:     by_value
      - .offset:         144
        .size:           4
        .value_kind:     hidden_block_count_x
      - .offset:         148
        .size:           4
        .value_kind:     hidden_block_count_y
      - .offset:         152
        .size:           4
        .value_kind:     hidden_block_count_z
      - .offset:         156
        .size:           2
        .value_kind:     hidden_group_size_x
      - .offset:         158
        .size:           2
        .value_kind:     hidden_group_size_y
      - .offset:         160
        .size:           2
        .value_kind:     hidden_group_size_z
      - .offset:         162
        .size:           2
        .value_kind:     hidden_remainder_x
      - .offset:         164
        .size:           2
        .value_kind:     hidden_remainder_y
      - .offset:         166
        .size:           2
        .value_kind:     hidden_remainder_z
      - .offset:         184
        .size:           8
        .value_kind:     hidden_global_offset_x
      - .offset:         192
        .size:           8
        .value_kind:     hidden_global_offset_y
      - .offset:         200
        .size:           8
        .value_kind:     hidden_global_offset_z
      - .offset:         208
        .size:           2
        .value_kind:     hidden_grid_dims
      - .offset:         264
        .size:           4
        .value_kind:     hidden_dynamic_lds_size
    .group_segment_fixed_size: 160
    .kernarg_segment_align: 8
    .kernarg_segment_size: 400
    .language:       OpenCL C
    .language_version:
      - 2
      - 0
    .max_flat_workgroup_size: 1024
    .name:           _ZN4vllm25paged_attention_v2_kernelIthLi64ELi32ELi128ELNS_18Fp8KVCacheDataTypeE1ELb0ELi512EEEvPfS2_PT_PKS3_PKT0_S9_ifPKiSB_iPKfiiiSD_SD_iiiii
    .private_segment_fixed_size: 0
    .sgpr_count:     46
    .sgpr_spill_count: 0
    .symbol:         _ZN4vllm25paged_attention_v2_kernelIthLi64ELi32ELi128ELNS_18Fp8KVCacheDataTypeE1ELb0ELi512EEEvPfS2_PT_PKS3_PKT0_S9_ifPKiSB_iPKfiiiSD_SD_iiiii.kd
    .uniform_work_group_size: 1
    .uses_dynamic_stack: false
    .vgpr_count:     110
    .vgpr_spill_count: 0
    .wavefront_size: 32
    .workgroup_processor_mode: 1
  - .args:
      - .actual_access:  write_only
        .address_space:  global
        .offset:         0
        .size:           8
        .value_kind:     global_buffer
      - .actual_access:  write_only
        .address_space:  global
        .offset:         8
        .size:           8
        .value_kind:     global_buffer
      - .actual_access:  write_only
        .address_space:  global
        .offset:         16
        .size:           8
        .value_kind:     global_buffer
      - .actual_access:  read_only
        .address_space:  global
        .offset:         24
        .size:           8
        .value_kind:     global_buffer
      - .actual_access:  read_only
        .address_space:  global
        .offset:         32
        .size:           8
        .value_kind:     global_buffer
      - .actual_access:  read_only
        .address_space:  global
        .offset:         40
        .size:           8
        .value_kind:     global_buffer
      - .offset:         48
        .size:           4
        .value_kind:     by_value
      - .offset:         52
        .size:           4
        .value_kind:     by_value
      - .actual_access:  read_only
        .address_space:  global
        .offset:         56
        .size:           8
        .value_kind:     global_buffer
      - .actual_access:  read_only
        .address_space:  global
        .offset:         64
        .size:           8
        .value_kind:     global_buffer
      - .offset:         72
        .size:           4
        .value_kind:     by_value
      - .actual_access:  read_only
        .address_space:  global
        .offset:         80
        .size:           8
        .value_kind:     global_buffer
      - .offset:         88
        .size:           4
        .value_kind:     by_value
      - .offset:         92
        .size:           4
        .value_kind:     by_value
      - .offset:         96
        .size:           4
        .value_kind:     by_value
      - .address_space:  global
        .offset:         104
        .size:           8
        .value_kind:     global_buffer
      - .address_space:  global
        .offset:         112
        .size:           8
        .value_kind:     global_buffer
      - .offset:         120
        .size:           4
        .value_kind:     by_value
      - .offset:         124
        .size:           4
        .value_kind:     by_value
      - .offset:         128
        .size:           4
        .value_kind:     by_value
      - .offset:         132
        .size:           4
        .value_kind:     by_value
      - .offset:         136
        .size:           4
        .value_kind:     by_value
      - .offset:         144
        .size:           4
        .value_kind:     hidden_block_count_x
      - .offset:         148
        .size:           4
        .value_kind:     hidden_block_count_y
      - .offset:         152
        .size:           4
        .value_kind:     hidden_block_count_z
      - .offset:         156
        .size:           2
        .value_kind:     hidden_group_size_x
      - .offset:         158
        .size:           2
        .value_kind:     hidden_group_size_y
      - .offset:         160
        .size:           2
        .value_kind:     hidden_group_size_z
      - .offset:         162
        .size:           2
        .value_kind:     hidden_remainder_x
      - .offset:         164
        .size:           2
        .value_kind:     hidden_remainder_y
      - .offset:         166
        .size:           2
        .value_kind:     hidden_remainder_z
      - .offset:         184
        .size:           8
        .value_kind:     hidden_global_offset_x
      - .offset:         192
        .size:           8
        .value_kind:     hidden_global_offset_y
      - .offset:         200
        .size:           8
        .value_kind:     hidden_global_offset_z
      - .offset:         208
        .size:           2
        .value_kind:     hidden_grid_dims
      - .offset:         264
        .size:           4
        .value_kind:     hidden_dynamic_lds_size
    .group_segment_fixed_size: 192
    .kernarg_segment_align: 8
    .kernarg_segment_size: 400
    .language:       OpenCL C
    .language_version:
      - 2
      - 0
    .max_flat_workgroup_size: 1024
    .name:           _ZN4vllm25paged_attention_v2_kernelIthLi80ELi32ELi128ELNS_18Fp8KVCacheDataTypeE1ELb0ELi512EEEvPfS2_PT_PKS3_PKT0_S9_ifPKiSB_iPKfiiiSD_SD_iiiii
    .private_segment_fixed_size: 0
    .sgpr_count:     46
    .sgpr_spill_count: 0
    .symbol:         _ZN4vllm25paged_attention_v2_kernelIthLi80ELi32ELi128ELNS_18Fp8KVCacheDataTypeE1ELb0ELi512EEEvPfS2_PT_PKS3_PKT0_S9_ifPKiSB_iPKfiiiSD_SD_iiiii.kd
    .uniform_work_group_size: 1
    .uses_dynamic_stack: false
    .vgpr_count:     127
    .vgpr_spill_count: 0
    .wavefront_size: 32
    .workgroup_processor_mode: 1
  - .args:
      - .address_space:  global
        .offset:         0
        .size:           8
        .value_kind:     global_buffer
      - .address_space:  global
        .offset:         8
        .size:           8
        .value_kind:     global_buffer
      - .address_space:  global
        .offset:         16
        .size:           8
        .value_kind:     global_buffer
      - .address_space:  global
        .offset:         24
        .size:           8
        .value_kind:     global_buffer
      - .address_space:  global
        .offset:         32
        .size:           8
        .value_kind:     global_buffer
      - .address_space:  global
        .offset:         40
        .size:           8
        .value_kind:     global_buffer
      - .offset:         48
        .size:           4
        .value_kind:     by_value
      - .offset:         52
        .size:           4
        .value_kind:     by_value
      - .address_space:  global
        .offset:         56
        .size:           8
        .value_kind:     global_buffer
      - .address_space:  global
        .offset:         64
        .size:           8
        .value_kind:     global_buffer
      - .offset:         72
        .size:           4
        .value_kind:     by_value
      - .address_space:  global
        .offset:         80
        .size:           8
        .value_kind:     global_buffer
      - .offset:         88
        .size:           4
        .value_kind:     by_value
      - .offset:         92
        .size:           4
        .value_kind:     by_value
      - .offset:         96
        .size:           4
        .value_kind:     by_value
      - .address_space:  global
        .offset:         104
        .size:           8
        .value_kind:     global_buffer
      - .address_space:  global
        .offset:         112
        .size:           8
        .value_kind:     global_buffer
      - .offset:         120
        .size:           4
        .value_kind:     by_value
      - .offset:         124
        .size:           4
        .value_kind:     by_value
      - .offset:         128
        .size:           4
        .value_kind:     by_value
      - .offset:         132
        .size:           4
        .value_kind:     by_value
      - .offset:         136
        .size:           4
        .value_kind:     by_value
      - .offset:         144
        .size:           4
        .value_kind:     hidden_block_count_x
      - .offset:         148
        .size:           4
        .value_kind:     hidden_block_count_y
      - .offset:         152
        .size:           4
        .value_kind:     hidden_block_count_z
      - .offset:         156
        .size:           2
        .value_kind:     hidden_group_size_x
      - .offset:         158
        .size:           2
        .value_kind:     hidden_group_size_y
      - .offset:         160
        .size:           2
        .value_kind:     hidden_group_size_z
      - .offset:         162
        .size:           2
        .value_kind:     hidden_remainder_x
      - .offset:         164
        .size:           2
        .value_kind:     hidden_remainder_y
      - .offset:         166
        .size:           2
        .value_kind:     hidden_remainder_z
      - .offset:         184
        .size:           8
        .value_kind:     hidden_global_offset_x
      - .offset:         192
        .size:           8
        .value_kind:     hidden_global_offset_y
      - .offset:         200
        .size:           8
        .value_kind:     hidden_global_offset_z
      - .offset:         208
        .size:           2
        .value_kind:     hidden_grid_dims
      - .offset:         264
        .size:           4
        .value_kind:     hidden_dynamic_lds_size
    .group_segment_fixed_size: 224
    .kernarg_segment_align: 8
    .kernarg_segment_size: 400
    .language:       OpenCL C
    .language_version:
      - 2
      - 0
    .max_flat_workgroup_size: 1024
    .name:           _ZN4vllm25paged_attention_v2_kernelIthLi96ELi32ELi128ELNS_18Fp8KVCacheDataTypeE1ELb0ELi512EEEvPfS2_PT_PKS3_PKT0_S9_ifPKiSB_iPKfiiiSD_SD_iiiii
    .private_segment_fixed_size: 308
    .sgpr_count:     46
    .sgpr_spill_count: 0
    .symbol:         _ZN4vllm25paged_attention_v2_kernelIthLi96ELi32ELi128ELNS_18Fp8KVCacheDataTypeE1ELb0ELi512EEEvPfS2_PT_PKS3_PKT0_S9_ifPKiSB_iPKfiiiSD_SD_iiiii.kd
    .uniform_work_group_size: 1
    .uses_dynamic_stack: false
    .vgpr_count:     128
    .vgpr_spill_count: 0
    .wavefront_size: 32
    .workgroup_processor_mode: 1
  - .args:
      - .address_space:  global
        .offset:         0
        .size:           8
        .value_kind:     global_buffer
      - .address_space:  global
        .offset:         8
        .size:           8
        .value_kind:     global_buffer
      - .address_space:  global
        .offset:         16
        .size:           8
        .value_kind:     global_buffer
      - .address_space:  global
        .offset:         24
        .size:           8
        .value_kind:     global_buffer
      - .address_space:  global
        .offset:         32
        .size:           8
        .value_kind:     global_buffer
      - .address_space:  global
        .offset:         40
        .size:           8
        .value_kind:     global_buffer
      - .offset:         48
        .size:           4
        .value_kind:     by_value
      - .offset:         52
        .size:           4
        .value_kind:     by_value
      - .address_space:  global
        .offset:         56
        .size:           8
        .value_kind:     global_buffer
      - .address_space:  global
        .offset:         64
        .size:           8
        .value_kind:     global_buffer
      - .offset:         72
        .size:           4
        .value_kind:     by_value
      - .address_space:  global
        .offset:         80
        .size:           8
        .value_kind:     global_buffer
      - .offset:         88
        .size:           4
        .value_kind:     by_value
      - .offset:         92
        .size:           4
        .value_kind:     by_value
      - .offset:         96
        .size:           4
        .value_kind:     by_value
      - .address_space:  global
        .offset:         104
        .size:           8
        .value_kind:     global_buffer
      - .address_space:  global
        .offset:         112
        .size:           8
        .value_kind:     global_buffer
      - .offset:         120
        .size:           4
        .value_kind:     by_value
      - .offset:         124
        .size:           4
        .value_kind:     by_value
      - .offset:         128
        .size:           4
        .value_kind:     by_value
      - .offset:         132
        .size:           4
        .value_kind:     by_value
      - .offset:         136
        .size:           4
        .value_kind:     by_value
      - .offset:         144
        .size:           4
        .value_kind:     hidden_block_count_x
      - .offset:         148
        .size:           4
        .value_kind:     hidden_block_count_y
      - .offset:         152
        .size:           4
        .value_kind:     hidden_block_count_z
      - .offset:         156
        .size:           2
        .value_kind:     hidden_group_size_x
      - .offset:         158
        .size:           2
        .value_kind:     hidden_group_size_y
      - .offset:         160
        .size:           2
        .value_kind:     hidden_group_size_z
      - .offset:         162
        .size:           2
        .value_kind:     hidden_remainder_x
      - .offset:         164
        .size:           2
        .value_kind:     hidden_remainder_y
      - .offset:         166
        .size:           2
        .value_kind:     hidden_remainder_z
      - .offset:         184
        .size:           8
        .value_kind:     hidden_global_offset_x
      - .offset:         192
        .size:           8
        .value_kind:     hidden_global_offset_y
      - .offset:         200
        .size:           8
        .value_kind:     hidden_global_offset_z
      - .offset:         208
        .size:           2
        .value_kind:     hidden_grid_dims
      - .offset:         264
        .size:           4
        .value_kind:     hidden_dynamic_lds_size
    .group_segment_fixed_size: 256
    .kernarg_segment_align: 8
    .kernarg_segment_size: 400
    .language:       OpenCL C
    .language_version:
      - 2
      - 0
    .max_flat_workgroup_size: 1024
    .name:           _ZN4vllm25paged_attention_v2_kernelIthLi112ELi32ELi128ELNS_18Fp8KVCacheDataTypeE1ELb0ELi512EEEvPfS2_PT_PKS3_PKT0_S9_ifPKiSB_iPKfiiiSD_SD_iiiii
    .private_segment_fixed_size: 368
    .sgpr_count:     46
    .sgpr_spill_count: 0
    .symbol:         _ZN4vllm25paged_attention_v2_kernelIthLi112ELi32ELi128ELNS_18Fp8KVCacheDataTypeE1ELb0ELi512EEEvPfS2_PT_PKS3_PKT0_S9_ifPKiSB_iPKfiiiSD_SD_iiiii.kd
    .uniform_work_group_size: 1
    .uses_dynamic_stack: false
    .vgpr_count:     128
    .vgpr_spill_count: 0
    .wavefront_size: 32
    .workgroup_processor_mode: 1
  - .args:
      - .address_space:  global
        .offset:         0
        .size:           8
        .value_kind:     global_buffer
      - .address_space:  global
        .offset:         8
        .size:           8
        .value_kind:     global_buffer
      - .address_space:  global
        .offset:         16
        .size:           8
        .value_kind:     global_buffer
      - .address_space:  global
        .offset:         24
        .size:           8
        .value_kind:     global_buffer
      - .address_space:  global
        .offset:         32
        .size:           8
        .value_kind:     global_buffer
      - .address_space:  global
        .offset:         40
        .size:           8
        .value_kind:     global_buffer
      - .offset:         48
        .size:           4
        .value_kind:     by_value
      - .offset:         52
        .size:           4
        .value_kind:     by_value
      - .address_space:  global
        .offset:         56
        .size:           8
        .value_kind:     global_buffer
      - .address_space:  global
        .offset:         64
        .size:           8
        .value_kind:     global_buffer
      - .offset:         72
        .size:           4
        .value_kind:     by_value
      - .address_space:  global
        .offset:         80
        .size:           8
        .value_kind:     global_buffer
      - .offset:         88
        .size:           4
        .value_kind:     by_value
      - .offset:         92
        .size:           4
        .value_kind:     by_value
      - .offset:         96
        .size:           4
        .value_kind:     by_value
      - .address_space:  global
        .offset:         104
        .size:           8
        .value_kind:     global_buffer
      - .address_space:  global
        .offset:         112
        .size:           8
        .value_kind:     global_buffer
      - .offset:         120
        .size:           4
        .value_kind:     by_value
      - .offset:         124
        .size:           4
        .value_kind:     by_value
      - .offset:         128
        .size:           4
        .value_kind:     by_value
      - .offset:         132
        .size:           4
        .value_kind:     by_value
      - .offset:         136
        .size:           4
        .value_kind:     by_value
      - .offset:         144
        .size:           4
        .value_kind:     hidden_block_count_x
      - .offset:         148
        .size:           4
        .value_kind:     hidden_block_count_y
      - .offset:         152
        .size:           4
        .value_kind:     hidden_block_count_z
      - .offset:         156
        .size:           2
        .value_kind:     hidden_group_size_x
      - .offset:         158
        .size:           2
        .value_kind:     hidden_group_size_y
      - .offset:         160
        .size:           2
        .value_kind:     hidden_group_size_z
      - .offset:         162
        .size:           2
        .value_kind:     hidden_remainder_x
      - .offset:         164
        .size:           2
        .value_kind:     hidden_remainder_y
      - .offset:         166
        .size:           2
        .value_kind:     hidden_remainder_z
      - .offset:         184
        .size:           8
        .value_kind:     hidden_global_offset_x
      - .offset:         192
        .size:           8
        .value_kind:     hidden_global_offset_y
      - .offset:         200
        .size:           8
        .value_kind:     hidden_global_offset_z
      - .offset:         208
        .size:           2
        .value_kind:     hidden_grid_dims
      - .offset:         264
        .size:           4
        .value_kind:     hidden_dynamic_lds_size
    .group_segment_fixed_size: 272
    .kernarg_segment_align: 8
    .kernarg_segment_size: 400
    .language:       OpenCL C
    .language_version:
      - 2
      - 0
    .max_flat_workgroup_size: 1024
    .name:           _ZN4vllm25paged_attention_v2_kernelIthLi120ELi32ELi128ELNS_18Fp8KVCacheDataTypeE1ELb0ELi512EEEvPfS2_PT_PKS3_PKT0_S9_ifPKiSB_iPKfiiiSD_SD_iiiii
    .private_segment_fixed_size: 428
    .sgpr_count:     46
    .sgpr_spill_count: 0
    .symbol:         _ZN4vllm25paged_attention_v2_kernelIthLi120ELi32ELi128ELNS_18Fp8KVCacheDataTypeE1ELb0ELi512EEEvPfS2_PT_PKS3_PKT0_S9_ifPKiSB_iPKfiiiSD_SD_iiiii.kd
    .uniform_work_group_size: 1
    .uses_dynamic_stack: false
    .vgpr_count:     128
    .vgpr_spill_count: 0
    .wavefront_size: 32
    .workgroup_processor_mode: 1
  - .args:
      - .address_space:  global
        .offset:         0
        .size:           8
        .value_kind:     global_buffer
      - .address_space:  global
        .offset:         8
        .size:           8
        .value_kind:     global_buffer
      - .address_space:  global
        .offset:         16
        .size:           8
        .value_kind:     global_buffer
      - .address_space:  global
        .offset:         24
        .size:           8
        .value_kind:     global_buffer
      - .address_space:  global
        .offset:         32
        .size:           8
        .value_kind:     global_buffer
      - .address_space:  global
        .offset:         40
        .size:           8
        .value_kind:     global_buffer
      - .offset:         48
        .size:           4
        .value_kind:     by_value
      - .offset:         52
        .size:           4
        .value_kind:     by_value
      - .address_space:  global
        .offset:         56
        .size:           8
        .value_kind:     global_buffer
      - .address_space:  global
        .offset:         64
        .size:           8
        .value_kind:     global_buffer
      - .offset:         72
        .size:           4
        .value_kind:     by_value
      - .address_space:  global
        .offset:         80
        .size:           8
        .value_kind:     global_buffer
      - .offset:         88
        .size:           4
        .value_kind:     by_value
      - .offset:         92
        .size:           4
        .value_kind:     by_value
      - .offset:         96
        .size:           4
        .value_kind:     by_value
      - .address_space:  global
        .offset:         104
        .size:           8
        .value_kind:     global_buffer
      - .address_space:  global
        .offset:         112
        .size:           8
        .value_kind:     global_buffer
      - .offset:         120
        .size:           4
        .value_kind:     by_value
      - .offset:         124
        .size:           4
        .value_kind:     by_value
      - .offset:         128
        .size:           4
        .value_kind:     by_value
      - .offset:         132
        .size:           4
        .value_kind:     by_value
      - .offset:         136
        .size:           4
        .value_kind:     by_value
      - .offset:         144
        .size:           4
        .value_kind:     hidden_block_count_x
      - .offset:         148
        .size:           4
        .value_kind:     hidden_block_count_y
      - .offset:         152
        .size:           4
        .value_kind:     hidden_block_count_z
      - .offset:         156
        .size:           2
        .value_kind:     hidden_group_size_x
      - .offset:         158
        .size:           2
        .value_kind:     hidden_group_size_y
      - .offset:         160
        .size:           2
        .value_kind:     hidden_group_size_z
      - .offset:         162
        .size:           2
        .value_kind:     hidden_remainder_x
      - .offset:         164
        .size:           2
        .value_kind:     hidden_remainder_y
      - .offset:         166
        .size:           2
        .value_kind:     hidden_remainder_z
      - .offset:         184
        .size:           8
        .value_kind:     hidden_global_offset_x
      - .offset:         192
        .size:           8
        .value_kind:     hidden_global_offset_y
      - .offset:         200
        .size:           8
        .value_kind:     hidden_global_offset_z
      - .offset:         208
        .size:           2
        .value_kind:     hidden_grid_dims
      - .offset:         264
        .size:           4
        .value_kind:     hidden_dynamic_lds_size
    .group_segment_fixed_size: 288
    .kernarg_segment_align: 8
    .kernarg_segment_size: 400
    .language:       OpenCL C
    .language_version:
      - 2
      - 0
    .max_flat_workgroup_size: 1024
    .name:           _ZN4vllm25paged_attention_v2_kernelIthLi128ELi32ELi128ELNS_18Fp8KVCacheDataTypeE1ELb0ELi512EEEvPfS2_PT_PKS3_PKT0_S9_ifPKiSB_iPKfiiiSD_SD_iiiii
    .private_segment_fixed_size: 480
    .sgpr_count:     46
    .sgpr_spill_count: 0
    .symbol:         _ZN4vllm25paged_attention_v2_kernelIthLi128ELi32ELi128ELNS_18Fp8KVCacheDataTypeE1ELb0ELi512EEEvPfS2_PT_PKS3_PKT0_S9_ifPKiSB_iPKfiiiSD_SD_iiiii.kd
    .uniform_work_group_size: 1
    .uses_dynamic_stack: false
    .vgpr_count:     128
    .vgpr_spill_count: 0
    .wavefront_size: 32
    .workgroup_processor_mode: 1
  - .args:
      - .address_space:  global
        .offset:         0
        .size:           8
        .value_kind:     global_buffer
      - .address_space:  global
        .offset:         8
        .size:           8
        .value_kind:     global_buffer
      - .address_space:  global
        .offset:         16
        .size:           8
        .value_kind:     global_buffer
      - .address_space:  global
        .offset:         24
        .size:           8
        .value_kind:     global_buffer
      - .address_space:  global
        .offset:         32
        .size:           8
        .value_kind:     global_buffer
      - .address_space:  global
        .offset:         40
        .size:           8
        .value_kind:     global_buffer
      - .offset:         48
        .size:           4
        .value_kind:     by_value
      - .offset:         52
        .size:           4
        .value_kind:     by_value
      - .address_space:  global
        .offset:         56
        .size:           8
        .value_kind:     global_buffer
      - .address_space:  global
        .offset:         64
        .size:           8
        .value_kind:     global_buffer
      - .offset:         72
        .size:           4
        .value_kind:     by_value
      - .address_space:  global
        .offset:         80
        .size:           8
        .value_kind:     global_buffer
      - .offset:         88
        .size:           4
        .value_kind:     by_value
      - .offset:         92
        .size:           4
        .value_kind:     by_value
      - .offset:         96
        .size:           4
        .value_kind:     by_value
      - .address_space:  global
        .offset:         104
        .size:           8
        .value_kind:     global_buffer
      - .address_space:  global
        .offset:         112
        .size:           8
        .value_kind:     global_buffer
      - .offset:         120
        .size:           4
        .value_kind:     by_value
      - .offset:         124
        .size:           4
        .value_kind:     by_value
      - .offset:         128
        .size:           4
        .value_kind:     by_value
      - .offset:         132
        .size:           4
        .value_kind:     by_value
      - .offset:         136
        .size:           4
        .value_kind:     by_value
      - .offset:         144
        .size:           4
        .value_kind:     hidden_block_count_x
      - .offset:         148
        .size:           4
        .value_kind:     hidden_block_count_y
      - .offset:         152
        .size:           4
        .value_kind:     hidden_block_count_z
      - .offset:         156
        .size:           2
        .value_kind:     hidden_group_size_x
      - .offset:         158
        .size:           2
        .value_kind:     hidden_group_size_y
      - .offset:         160
        .size:           2
        .value_kind:     hidden_group_size_z
      - .offset:         162
        .size:           2
        .value_kind:     hidden_remainder_x
      - .offset:         164
        .size:           2
        .value_kind:     hidden_remainder_y
      - .offset:         166
        .size:           2
        .value_kind:     hidden_remainder_z
      - .offset:         184
        .size:           8
        .value_kind:     hidden_global_offset_x
      - .offset:         192
        .size:           8
        .value_kind:     hidden_global_offset_y
      - .offset:         200
        .size:           8
        .value_kind:     hidden_global_offset_z
      - .offset:         208
        .size:           2
        .value_kind:     hidden_grid_dims
      - .offset:         264
        .size:           4
        .value_kind:     hidden_dynamic_lds_size
    .group_segment_fixed_size: 416
    .kernarg_segment_align: 8
    .kernarg_segment_size: 400
    .language:       OpenCL C
    .language_version:
      - 2
      - 0
    .max_flat_workgroup_size: 1024
    .name:           _ZN4vllm25paged_attention_v2_kernelIthLi192ELi32ELi128ELNS_18Fp8KVCacheDataTypeE1ELb0ELi512EEEvPfS2_PT_PKS3_PKT0_S9_ifPKiSB_iPKfiiiSD_SD_iiiii
    .private_segment_fixed_size: 964
    .sgpr_count:     46
    .sgpr_spill_count: 0
    .symbol:         _ZN4vllm25paged_attention_v2_kernelIthLi192ELi32ELi128ELNS_18Fp8KVCacheDataTypeE1ELb0ELi512EEEvPfS2_PT_PKS3_PKT0_S9_ifPKiSB_iPKfiiiSD_SD_iiiii.kd
    .uniform_work_group_size: 1
    .uses_dynamic_stack: false
    .vgpr_count:     128
    .vgpr_spill_count: 0
    .wavefront_size: 32
    .workgroup_processor_mode: 1
  - .args:
      - .address_space:  global
        .offset:         0
        .size:           8
        .value_kind:     global_buffer
      - .address_space:  global
        .offset:         8
        .size:           8
        .value_kind:     global_buffer
      - .address_space:  global
        .offset:         16
        .size:           8
        .value_kind:     global_buffer
      - .address_space:  global
        .offset:         24
        .size:           8
        .value_kind:     global_buffer
      - .address_space:  global
        .offset:         32
        .size:           8
        .value_kind:     global_buffer
      - .address_space:  global
        .offset:         40
        .size:           8
        .value_kind:     global_buffer
      - .offset:         48
        .size:           4
        .value_kind:     by_value
      - .offset:         52
        .size:           4
        .value_kind:     by_value
      - .address_space:  global
        .offset:         56
        .size:           8
        .value_kind:     global_buffer
      - .address_space:  global
        .offset:         64
        .size:           8
        .value_kind:     global_buffer
      - .offset:         72
        .size:           4
        .value_kind:     by_value
      - .address_space:  global
        .offset:         80
        .size:           8
        .value_kind:     global_buffer
      - .offset:         88
        .size:           4
        .value_kind:     by_value
      - .offset:         92
        .size:           4
        .value_kind:     by_value
      - .offset:         96
        .size:           4
        .value_kind:     by_value
      - .address_space:  global
        .offset:         104
        .size:           8
        .value_kind:     global_buffer
      - .address_space:  global
        .offset:         112
        .size:           8
        .value_kind:     global_buffer
      - .offset:         120
        .size:           4
        .value_kind:     by_value
      - .offset:         124
        .size:           4
        .value_kind:     by_value
      - .offset:         128
        .size:           4
        .value_kind:     by_value
      - .offset:         132
        .size:           4
        .value_kind:     by_value
      - .offset:         136
        .size:           4
        .value_kind:     by_value
      - .offset:         144
        .size:           4
        .value_kind:     hidden_block_count_x
      - .offset:         148
        .size:           4
        .value_kind:     hidden_block_count_y
      - .offset:         152
        .size:           4
        .value_kind:     hidden_block_count_z
      - .offset:         156
        .size:           2
        .value_kind:     hidden_group_size_x
      - .offset:         158
        .size:           2
        .value_kind:     hidden_group_size_y
      - .offset:         160
        .size:           2
        .value_kind:     hidden_group_size_z
      - .offset:         162
        .size:           2
        .value_kind:     hidden_remainder_x
      - .offset:         164
        .size:           2
        .value_kind:     hidden_remainder_y
      - .offset:         166
        .size:           2
        .value_kind:     hidden_remainder_z
      - .offset:         184
        .size:           8
        .value_kind:     hidden_global_offset_x
      - .offset:         192
        .size:           8
        .value_kind:     hidden_global_offset_y
      - .offset:         200
        .size:           8
        .value_kind:     hidden_global_offset_z
      - .offset:         208
        .size:           2
        .value_kind:     hidden_grid_dims
      - .offset:         264
        .size:           4
        .value_kind:     hidden_dynamic_lds_size
    .group_segment_fixed_size: 544
    .kernarg_segment_align: 8
    .kernarg_segment_size: 400
    .language:       OpenCL C
    .language_version:
      - 2
      - 0
    .max_flat_workgroup_size: 1024
    .name:           _ZN4vllm25paged_attention_v2_kernelIthLi256ELi32ELi128ELNS_18Fp8KVCacheDataTypeE1ELb0ELi512EEEvPfS2_PT_PKS3_PKT0_S9_ifPKiSB_iPKfiiiSD_SD_iiiii
    .private_segment_fixed_size: 1352
    .sgpr_count:     46
    .sgpr_spill_count: 0
    .symbol:         _ZN4vllm25paged_attention_v2_kernelIthLi256ELi32ELi128ELNS_18Fp8KVCacheDataTypeE1ELb0ELi512EEEvPfS2_PT_PKS3_PKT0_S9_ifPKiSB_iPKfiiiSD_SD_iiiii.kd
    .uniform_work_group_size: 1
    .uses_dynamic_stack: false
    .vgpr_count:     128
    .vgpr_spill_count: 0
    .wavefront_size: 32
    .workgroup_processor_mode: 1
  - .args:
      - .actual_access:  write_only
        .address_space:  global
        .offset:         0
        .size:           8
        .value_kind:     global_buffer
      - .actual_access:  write_only
        .address_space:  global
        .offset:         8
        .size:           8
        .value_kind:     global_buffer
      - .actual_access:  write_only
        .address_space:  global
        .offset:         16
        .size:           8
        .value_kind:     global_buffer
      - .actual_access:  read_only
        .address_space:  global
        .offset:         24
        .size:           8
        .value_kind:     global_buffer
      - .actual_access:  read_only
        .address_space:  global
        .offset:         32
        .size:           8
        .value_kind:     global_buffer
      - .actual_access:  read_only
        .address_space:  global
        .offset:         40
        .size:           8
        .value_kind:     global_buffer
      - .offset:         48
        .size:           4
        .value_kind:     by_value
      - .offset:         52
        .size:           4
        .value_kind:     by_value
      - .actual_access:  read_only
        .address_space:  global
        .offset:         56
        .size:           8
        .value_kind:     global_buffer
      - .actual_access:  read_only
        .address_space:  global
        .offset:         64
        .size:           8
        .value_kind:     global_buffer
      - .offset:         72
        .size:           4
        .value_kind:     by_value
      - .actual_access:  read_only
        .address_space:  global
        .offset:         80
        .size:           8
        .value_kind:     global_buffer
      - .offset:         88
        .size:           4
        .value_kind:     by_value
      - .offset:         92
        .size:           4
        .value_kind:     by_value
      - .offset:         96
        .size:           4
        .value_kind:     by_value
      - .address_space:  global
        .offset:         104
        .size:           8
        .value_kind:     global_buffer
      - .address_space:  global
        .offset:         112
        .size:           8
        .value_kind:     global_buffer
      - .offset:         120
        .size:           4
        .value_kind:     by_value
      - .offset:         124
        .size:           4
        .value_kind:     by_value
      - .offset:         128
        .size:           4
        .value_kind:     by_value
      - .offset:         132
        .size:           4
        .value_kind:     by_value
      - .offset:         136
        .size:           4
        .value_kind:     by_value
      - .offset:         144
        .size:           4
        .value_kind:     hidden_block_count_x
      - .offset:         148
        .size:           4
        .value_kind:     hidden_block_count_y
      - .offset:         152
        .size:           4
        .value_kind:     hidden_block_count_z
      - .offset:         156
        .size:           2
        .value_kind:     hidden_group_size_x
      - .offset:         158
        .size:           2
        .value_kind:     hidden_group_size_y
      - .offset:         160
        .size:           2
        .value_kind:     hidden_group_size_z
      - .offset:         162
        .size:           2
        .value_kind:     hidden_remainder_x
      - .offset:         164
        .size:           2
        .value_kind:     hidden_remainder_y
      - .offset:         166
        .size:           2
        .value_kind:     hidden_remainder_z
      - .offset:         184
        .size:           8
        .value_kind:     hidden_global_offset_x
      - .offset:         192
        .size:           8
        .value_kind:     hidden_global_offset_y
      - .offset:         200
        .size:           8
        .value_kind:     hidden_global_offset_z
      - .offset:         208
        .size:           2
        .value_kind:     hidden_grid_dims
      - .offset:         264
        .size:           4
        .value_kind:     hidden_dynamic_lds_size
    .group_segment_fixed_size: 96
    .kernarg_segment_align: 8
    .kernarg_segment_size: 400
    .language:       OpenCL C
    .language_version:
      - 2
      - 0
    .max_flat_workgroup_size: 1024
    .name:           _ZN4vllm25paged_attention_v2_kernelI14__hip_bfloat16hLi32ELi8ELi128ELNS_18Fp8KVCacheDataTypeE1ELb1ELi512EEEvPfS3_PT_PKS4_PKT0_SA_ifPKiSC_iPKfiiiSE_SE_iiiii
    .private_segment_fixed_size: 0
    .sgpr_count:     55
    .sgpr_spill_count: 0
    .symbol:         _ZN4vllm25paged_attention_v2_kernelI14__hip_bfloat16hLi32ELi8ELi128ELNS_18Fp8KVCacheDataTypeE1ELb1ELi512EEEvPfS3_PT_PKS4_PKT0_SA_ifPKiSC_iPKfiiiSE_SE_iiiii.kd
    .uniform_work_group_size: 1
    .uses_dynamic_stack: false
    .vgpr_count:     40
    .vgpr_spill_count: 0
    .wavefront_size: 32
    .workgroup_processor_mode: 1
  - .args:
      - .actual_access:  write_only
        .address_space:  global
        .offset:         0
        .size:           8
        .value_kind:     global_buffer
      - .actual_access:  write_only
        .address_space:  global
        .offset:         8
        .size:           8
        .value_kind:     global_buffer
      - .actual_access:  write_only
        .address_space:  global
        .offset:         16
        .size:           8
        .value_kind:     global_buffer
      - .actual_access:  read_only
        .address_space:  global
        .offset:         24
        .size:           8
        .value_kind:     global_buffer
      - .actual_access:  read_only
        .address_space:  global
        .offset:         32
        .size:           8
        .value_kind:     global_buffer
      - .actual_access:  read_only
        .address_space:  global
        .offset:         40
        .size:           8
        .value_kind:     global_buffer
      - .offset:         48
        .size:           4
        .value_kind:     by_value
      - .offset:         52
        .size:           4
        .value_kind:     by_value
      - .actual_access:  read_only
        .address_space:  global
        .offset:         56
        .size:           8
        .value_kind:     global_buffer
      - .actual_access:  read_only
        .address_space:  global
        .offset:         64
        .size:           8
        .value_kind:     global_buffer
      - .offset:         72
        .size:           4
        .value_kind:     by_value
      - .actual_access:  read_only
        .address_space:  global
        .offset:         80
        .size:           8
        .value_kind:     global_buffer
      - .offset:         88
        .size:           4
        .value_kind:     by_value
      - .offset:         92
        .size:           4
        .value_kind:     by_value
      - .offset:         96
        .size:           4
        .value_kind:     by_value
      - .address_space:  global
        .offset:         104
        .size:           8
        .value_kind:     global_buffer
      - .address_space:  global
        .offset:         112
        .size:           8
        .value_kind:     global_buffer
      - .offset:         120
        .size:           4
        .value_kind:     by_value
      - .offset:         124
        .size:           4
        .value_kind:     by_value
      - .offset:         128
        .size:           4
        .value_kind:     by_value
      - .offset:         132
        .size:           4
        .value_kind:     by_value
      - .offset:         136
        .size:           4
        .value_kind:     by_value
      - .offset:         144
        .size:           4
        .value_kind:     hidden_block_count_x
      - .offset:         148
        .size:           4
        .value_kind:     hidden_block_count_y
      - .offset:         152
        .size:           4
        .value_kind:     hidden_block_count_z
      - .offset:         156
        .size:           2
        .value_kind:     hidden_group_size_x
      - .offset:         158
        .size:           2
        .value_kind:     hidden_group_size_y
      - .offset:         160
        .size:           2
        .value_kind:     hidden_group_size_z
      - .offset:         162
        .size:           2
        .value_kind:     hidden_remainder_x
      - .offset:         164
        .size:           2
        .value_kind:     hidden_remainder_y
      - .offset:         166
        .size:           2
        .value_kind:     hidden_remainder_z
      - .offset:         184
        .size:           8
        .value_kind:     hidden_global_offset_x
      - .offset:         192
        .size:           8
        .value_kind:     hidden_global_offset_y
      - .offset:         200
        .size:           8
        .value_kind:     hidden_global_offset_z
      - .offset:         208
        .size:           2
        .value_kind:     hidden_grid_dims
      - .offset:         264
        .size:           4
        .value_kind:     hidden_dynamic_lds_size
    .group_segment_fixed_size: 160
    .kernarg_segment_align: 8
    .kernarg_segment_size: 400
    .language:       OpenCL C
    .language_version:
      - 2
      - 0
    .max_flat_workgroup_size: 1024
    .name:           _ZN4vllm25paged_attention_v2_kernelI14__hip_bfloat16hLi64ELi8ELi128ELNS_18Fp8KVCacheDataTypeE1ELb1ELi512EEEvPfS3_PT_PKS4_PKT0_SA_ifPKiSC_iPKfiiiSE_SE_iiiii
    .private_segment_fixed_size: 0
    .sgpr_count:     56
    .sgpr_spill_count: 0
    .symbol:         _ZN4vllm25paged_attention_v2_kernelI14__hip_bfloat16hLi64ELi8ELi128ELNS_18Fp8KVCacheDataTypeE1ELb1ELi512EEEvPfS3_PT_PKS4_PKT0_SA_ifPKiSC_iPKfiiiSE_SE_iiiii.kd
    .uniform_work_group_size: 1
    .uses_dynamic_stack: false
    .vgpr_count:     57
    .vgpr_spill_count: 0
    .wavefront_size: 32
    .workgroup_processor_mode: 1
  - .args:
      - .actual_access:  write_only
        .address_space:  global
        .offset:         0
        .size:           8
        .value_kind:     global_buffer
      - .actual_access:  write_only
        .address_space:  global
        .offset:         8
        .size:           8
        .value_kind:     global_buffer
      - .actual_access:  write_only
        .address_space:  global
        .offset:         16
        .size:           8
        .value_kind:     global_buffer
      - .actual_access:  read_only
        .address_space:  global
        .offset:         24
        .size:           8
        .value_kind:     global_buffer
      - .actual_access:  read_only
        .address_space:  global
        .offset:         32
        .size:           8
        .value_kind:     global_buffer
      - .actual_access:  read_only
        .address_space:  global
        .offset:         40
        .size:           8
        .value_kind:     global_buffer
      - .offset:         48
        .size:           4
        .value_kind:     by_value
      - .offset:         52
        .size:           4
        .value_kind:     by_value
      - .actual_access:  read_only
        .address_space:  global
        .offset:         56
        .size:           8
        .value_kind:     global_buffer
      - .actual_access:  read_only
        .address_space:  global
        .offset:         64
        .size:           8
        .value_kind:     global_buffer
      - .offset:         72
        .size:           4
        .value_kind:     by_value
      - .actual_access:  read_only
        .address_space:  global
        .offset:         80
        .size:           8
        .value_kind:     global_buffer
      - .offset:         88
        .size:           4
        .value_kind:     by_value
      - .offset:         92
        .size:           4
        .value_kind:     by_value
      - .offset:         96
        .size:           4
        .value_kind:     by_value
      - .address_space:  global
        .offset:         104
        .size:           8
        .value_kind:     global_buffer
      - .address_space:  global
        .offset:         112
        .size:           8
        .value_kind:     global_buffer
      - .offset:         120
        .size:           4
        .value_kind:     by_value
      - .offset:         124
        .size:           4
        .value_kind:     by_value
      - .offset:         128
        .size:           4
        .value_kind:     by_value
      - .offset:         132
        .size:           4
        .value_kind:     by_value
      - .offset:         136
        .size:           4
        .value_kind:     by_value
      - .offset:         144
        .size:           4
        .value_kind:     hidden_block_count_x
      - .offset:         148
        .size:           4
        .value_kind:     hidden_block_count_y
      - .offset:         152
        .size:           4
        .value_kind:     hidden_block_count_z
      - .offset:         156
        .size:           2
        .value_kind:     hidden_group_size_x
      - .offset:         158
        .size:           2
        .value_kind:     hidden_group_size_y
      - .offset:         160
        .size:           2
        .value_kind:     hidden_group_size_z
      - .offset:         162
        .size:           2
        .value_kind:     hidden_remainder_x
      - .offset:         164
        .size:           2
        .value_kind:     hidden_remainder_y
      - .offset:         166
        .size:           2
        .value_kind:     hidden_remainder_z
      - .offset:         184
        .size:           8
        .value_kind:     hidden_global_offset_x
      - .offset:         192
        .size:           8
        .value_kind:     hidden_global_offset_y
      - .offset:         200
        .size:           8
        .value_kind:     hidden_global_offset_z
      - .offset:         208
        .size:           2
        .value_kind:     hidden_grid_dims
      - .offset:         264
        .size:           4
        .value_kind:     hidden_dynamic_lds_size
    .group_segment_fixed_size: 192
    .kernarg_segment_align: 8
    .kernarg_segment_size: 400
    .language:       OpenCL C
    .language_version:
      - 2
      - 0
    .max_flat_workgroup_size: 1024
    .name:           _ZN4vllm25paged_attention_v2_kernelI14__hip_bfloat16hLi80ELi8ELi128ELNS_18Fp8KVCacheDataTypeE1ELb1ELi512EEEvPfS3_PT_PKS4_PKT0_SA_ifPKiSC_iPKfiiiSE_SE_iiiii
    .private_segment_fixed_size: 0
    .sgpr_count:     55
    .sgpr_spill_count: 0
    .symbol:         _ZN4vllm25paged_attention_v2_kernelI14__hip_bfloat16hLi80ELi8ELi128ELNS_18Fp8KVCacheDataTypeE1ELb1ELi512EEEvPfS3_PT_PKS4_PKT0_SA_ifPKiSC_iPKfiiiSE_SE_iiiii.kd
    .uniform_work_group_size: 1
    .uses_dynamic_stack: false
    .vgpr_count:     61
    .vgpr_spill_count: 0
    .wavefront_size: 32
    .workgroup_processor_mode: 1
  - .args:
      - .actual_access:  write_only
        .address_space:  global
        .offset:         0
        .size:           8
        .value_kind:     global_buffer
      - .actual_access:  write_only
        .address_space:  global
        .offset:         8
        .size:           8
        .value_kind:     global_buffer
      - .actual_access:  write_only
        .address_space:  global
        .offset:         16
        .size:           8
        .value_kind:     global_buffer
      - .actual_access:  read_only
        .address_space:  global
        .offset:         24
        .size:           8
        .value_kind:     global_buffer
      - .actual_access:  read_only
        .address_space:  global
        .offset:         32
        .size:           8
        .value_kind:     global_buffer
      - .actual_access:  read_only
        .address_space:  global
        .offset:         40
        .size:           8
        .value_kind:     global_buffer
      - .offset:         48
        .size:           4
        .value_kind:     by_value
      - .offset:         52
        .size:           4
        .value_kind:     by_value
      - .actual_access:  read_only
        .address_space:  global
        .offset:         56
        .size:           8
        .value_kind:     global_buffer
      - .actual_access:  read_only
        .address_space:  global
        .offset:         64
        .size:           8
        .value_kind:     global_buffer
      - .offset:         72
        .size:           4
        .value_kind:     by_value
      - .actual_access:  read_only
        .address_space:  global
        .offset:         80
        .size:           8
        .value_kind:     global_buffer
      - .offset:         88
        .size:           4
        .value_kind:     by_value
      - .offset:         92
        .size:           4
        .value_kind:     by_value
      - .offset:         96
        .size:           4
        .value_kind:     by_value
      - .address_space:  global
        .offset:         104
        .size:           8
        .value_kind:     global_buffer
      - .address_space:  global
        .offset:         112
        .size:           8
        .value_kind:     global_buffer
      - .offset:         120
        .size:           4
        .value_kind:     by_value
      - .offset:         124
        .size:           4
        .value_kind:     by_value
      - .offset:         128
        .size:           4
        .value_kind:     by_value
      - .offset:         132
        .size:           4
        .value_kind:     by_value
      - .offset:         136
        .size:           4
        .value_kind:     by_value
      - .offset:         144
        .size:           4
        .value_kind:     hidden_block_count_x
      - .offset:         148
        .size:           4
        .value_kind:     hidden_block_count_y
      - .offset:         152
        .size:           4
        .value_kind:     hidden_block_count_z
      - .offset:         156
        .size:           2
        .value_kind:     hidden_group_size_x
      - .offset:         158
        .size:           2
        .value_kind:     hidden_group_size_y
      - .offset:         160
        .size:           2
        .value_kind:     hidden_group_size_z
      - .offset:         162
        .size:           2
        .value_kind:     hidden_remainder_x
      - .offset:         164
        .size:           2
        .value_kind:     hidden_remainder_y
      - .offset:         166
        .size:           2
        .value_kind:     hidden_remainder_z
      - .offset:         184
        .size:           8
        .value_kind:     hidden_global_offset_x
      - .offset:         192
        .size:           8
        .value_kind:     hidden_global_offset_y
      - .offset:         200
        .size:           8
        .value_kind:     hidden_global_offset_z
      - .offset:         208
        .size:           2
        .value_kind:     hidden_grid_dims
      - .offset:         264
        .size:           4
        .value_kind:     hidden_dynamic_lds_size
    .group_segment_fixed_size: 224
    .kernarg_segment_align: 8
    .kernarg_segment_size: 400
    .language:       OpenCL C
    .language_version:
      - 2
      - 0
    .max_flat_workgroup_size: 1024
    .name:           _ZN4vllm25paged_attention_v2_kernelI14__hip_bfloat16hLi96ELi8ELi128ELNS_18Fp8KVCacheDataTypeE1ELb1ELi512EEEvPfS3_PT_PKS4_PKT0_SA_ifPKiSC_iPKfiiiSE_SE_iiiii
    .private_segment_fixed_size: 0
    .sgpr_count:     55
    .sgpr_spill_count: 0
    .symbol:         _ZN4vllm25paged_attention_v2_kernelI14__hip_bfloat16hLi96ELi8ELi128ELNS_18Fp8KVCacheDataTypeE1ELb1ELi512EEEvPfS3_PT_PKS4_PKT0_SA_ifPKiSC_iPKfiiiSE_SE_iiiii.kd
    .uniform_work_group_size: 1
    .uses_dynamic_stack: false
    .vgpr_count:     70
    .vgpr_spill_count: 0
    .wavefront_size: 32
    .workgroup_processor_mode: 1
  - .args:
      - .actual_access:  write_only
        .address_space:  global
        .offset:         0
        .size:           8
        .value_kind:     global_buffer
      - .actual_access:  write_only
        .address_space:  global
        .offset:         8
        .size:           8
        .value_kind:     global_buffer
      - .actual_access:  write_only
        .address_space:  global
        .offset:         16
        .size:           8
        .value_kind:     global_buffer
      - .actual_access:  read_only
        .address_space:  global
        .offset:         24
        .size:           8
        .value_kind:     global_buffer
      - .actual_access:  read_only
        .address_space:  global
        .offset:         32
        .size:           8
        .value_kind:     global_buffer
      - .actual_access:  read_only
        .address_space:  global
        .offset:         40
        .size:           8
        .value_kind:     global_buffer
      - .offset:         48
        .size:           4
        .value_kind:     by_value
      - .offset:         52
        .size:           4
        .value_kind:     by_value
      - .actual_access:  read_only
        .address_space:  global
        .offset:         56
        .size:           8
        .value_kind:     global_buffer
      - .actual_access:  read_only
        .address_space:  global
        .offset:         64
        .size:           8
        .value_kind:     global_buffer
      - .offset:         72
        .size:           4
        .value_kind:     by_value
      - .actual_access:  read_only
        .address_space:  global
        .offset:         80
        .size:           8
        .value_kind:     global_buffer
      - .offset:         88
        .size:           4
        .value_kind:     by_value
      - .offset:         92
        .size:           4
        .value_kind:     by_value
      - .offset:         96
        .size:           4
        .value_kind:     by_value
      - .address_space:  global
        .offset:         104
        .size:           8
        .value_kind:     global_buffer
      - .address_space:  global
        .offset:         112
        .size:           8
        .value_kind:     global_buffer
      - .offset:         120
        .size:           4
        .value_kind:     by_value
      - .offset:         124
        .size:           4
        .value_kind:     by_value
      - .offset:         128
        .size:           4
        .value_kind:     by_value
      - .offset:         132
        .size:           4
        .value_kind:     by_value
      - .offset:         136
        .size:           4
        .value_kind:     by_value
      - .offset:         144
        .size:           4
        .value_kind:     hidden_block_count_x
      - .offset:         148
        .size:           4
        .value_kind:     hidden_block_count_y
      - .offset:         152
        .size:           4
        .value_kind:     hidden_block_count_z
      - .offset:         156
        .size:           2
        .value_kind:     hidden_group_size_x
      - .offset:         158
        .size:           2
        .value_kind:     hidden_group_size_y
      - .offset:         160
        .size:           2
        .value_kind:     hidden_group_size_z
      - .offset:         162
        .size:           2
        .value_kind:     hidden_remainder_x
      - .offset:         164
        .size:           2
        .value_kind:     hidden_remainder_y
      - .offset:         166
        .size:           2
        .value_kind:     hidden_remainder_z
      - .offset:         184
        .size:           8
        .value_kind:     hidden_global_offset_x
      - .offset:         192
        .size:           8
        .value_kind:     hidden_global_offset_y
      - .offset:         200
        .size:           8
        .value_kind:     hidden_global_offset_z
      - .offset:         208
        .size:           2
        .value_kind:     hidden_grid_dims
      - .offset:         264
        .size:           4
        .value_kind:     hidden_dynamic_lds_size
    .group_segment_fixed_size: 256
    .kernarg_segment_align: 8
    .kernarg_segment_size: 400
    .language:       OpenCL C
    .language_version:
      - 2
      - 0
    .max_flat_workgroup_size: 1024
    .name:           _ZN4vllm25paged_attention_v2_kernelI14__hip_bfloat16hLi112ELi8ELi128ELNS_18Fp8KVCacheDataTypeE1ELb1ELi512EEEvPfS3_PT_PKS4_PKT0_SA_ifPKiSC_iPKfiiiSE_SE_iiiii
    .private_segment_fixed_size: 0
    .sgpr_count:     60
    .sgpr_spill_count: 0
    .symbol:         _ZN4vllm25paged_attention_v2_kernelI14__hip_bfloat16hLi112ELi8ELi128ELNS_18Fp8KVCacheDataTypeE1ELb1ELi512EEEvPfS3_PT_PKS4_PKT0_SA_ifPKiSC_iPKfiiiSE_SE_iiiii.kd
    .uniform_work_group_size: 1
    .uses_dynamic_stack: false
    .vgpr_count:     80
    .vgpr_spill_count: 0
    .wavefront_size: 32
    .workgroup_processor_mode: 1
  - .args:
      - .actual_access:  write_only
        .address_space:  global
        .offset:         0
        .size:           8
        .value_kind:     global_buffer
      - .actual_access:  write_only
        .address_space:  global
        .offset:         8
        .size:           8
        .value_kind:     global_buffer
      - .actual_access:  write_only
        .address_space:  global
        .offset:         16
        .size:           8
        .value_kind:     global_buffer
      - .actual_access:  read_only
        .address_space:  global
        .offset:         24
        .size:           8
        .value_kind:     global_buffer
      - .actual_access:  read_only
        .address_space:  global
        .offset:         32
        .size:           8
        .value_kind:     global_buffer
      - .actual_access:  read_only
        .address_space:  global
        .offset:         40
        .size:           8
        .value_kind:     global_buffer
      - .offset:         48
        .size:           4
        .value_kind:     by_value
      - .offset:         52
        .size:           4
        .value_kind:     by_value
      - .actual_access:  read_only
        .address_space:  global
        .offset:         56
        .size:           8
        .value_kind:     global_buffer
      - .actual_access:  read_only
        .address_space:  global
        .offset:         64
        .size:           8
        .value_kind:     global_buffer
      - .offset:         72
        .size:           4
        .value_kind:     by_value
      - .actual_access:  read_only
        .address_space:  global
        .offset:         80
        .size:           8
        .value_kind:     global_buffer
      - .offset:         88
        .size:           4
        .value_kind:     by_value
      - .offset:         92
        .size:           4
        .value_kind:     by_value
      - .offset:         96
        .size:           4
        .value_kind:     by_value
      - .address_space:  global
        .offset:         104
        .size:           8
        .value_kind:     global_buffer
      - .address_space:  global
        .offset:         112
        .size:           8
        .value_kind:     global_buffer
      - .offset:         120
        .size:           4
        .value_kind:     by_value
      - .offset:         124
        .size:           4
        .value_kind:     by_value
      - .offset:         128
        .size:           4
        .value_kind:     by_value
      - .offset:         132
        .size:           4
        .value_kind:     by_value
      - .offset:         136
        .size:           4
        .value_kind:     by_value
      - .offset:         144
        .size:           4
        .value_kind:     hidden_block_count_x
      - .offset:         148
        .size:           4
        .value_kind:     hidden_block_count_y
      - .offset:         152
        .size:           4
        .value_kind:     hidden_block_count_z
      - .offset:         156
        .size:           2
        .value_kind:     hidden_group_size_x
      - .offset:         158
        .size:           2
        .value_kind:     hidden_group_size_y
      - .offset:         160
        .size:           2
        .value_kind:     hidden_group_size_z
      - .offset:         162
        .size:           2
        .value_kind:     hidden_remainder_x
      - .offset:         164
        .size:           2
        .value_kind:     hidden_remainder_y
      - .offset:         166
        .size:           2
        .value_kind:     hidden_remainder_z
      - .offset:         184
        .size:           8
        .value_kind:     hidden_global_offset_x
      - .offset:         192
        .size:           8
        .value_kind:     hidden_global_offset_y
      - .offset:         200
        .size:           8
        .value_kind:     hidden_global_offset_z
      - .offset:         208
        .size:           2
        .value_kind:     hidden_grid_dims
      - .offset:         264
        .size:           4
        .value_kind:     hidden_dynamic_lds_size
    .group_segment_fixed_size: 272
    .kernarg_segment_align: 8
    .kernarg_segment_size: 400
    .language:       OpenCL C
    .language_version:
      - 2
      - 0
    .max_flat_workgroup_size: 1024
    .name:           _ZN4vllm25paged_attention_v2_kernelI14__hip_bfloat16hLi120ELi8ELi128ELNS_18Fp8KVCacheDataTypeE1ELb1ELi512EEEvPfS3_PT_PKS4_PKT0_SA_ifPKiSC_iPKfiiiSE_SE_iiiii
    .private_segment_fixed_size: 0
    .sgpr_count:     60
    .sgpr_spill_count: 0
    .symbol:         _ZN4vllm25paged_attention_v2_kernelI14__hip_bfloat16hLi120ELi8ELi128ELNS_18Fp8KVCacheDataTypeE1ELb1ELi512EEEvPfS3_PT_PKS4_PKT0_SA_ifPKiSC_iPKfiiiSE_SE_iiiii.kd
    .uniform_work_group_size: 1
    .uses_dynamic_stack: false
    .vgpr_count:     85
    .vgpr_spill_count: 0
    .wavefront_size: 32
    .workgroup_processor_mode: 1
  - .args:
      - .actual_access:  write_only
        .address_space:  global
        .offset:         0
        .size:           8
        .value_kind:     global_buffer
      - .actual_access:  write_only
        .address_space:  global
        .offset:         8
        .size:           8
        .value_kind:     global_buffer
      - .actual_access:  write_only
        .address_space:  global
        .offset:         16
        .size:           8
        .value_kind:     global_buffer
      - .actual_access:  read_only
        .address_space:  global
        .offset:         24
        .size:           8
        .value_kind:     global_buffer
      - .actual_access:  read_only
        .address_space:  global
        .offset:         32
        .size:           8
        .value_kind:     global_buffer
      - .actual_access:  read_only
        .address_space:  global
        .offset:         40
        .size:           8
        .value_kind:     global_buffer
      - .offset:         48
        .size:           4
        .value_kind:     by_value
      - .offset:         52
        .size:           4
        .value_kind:     by_value
      - .actual_access:  read_only
        .address_space:  global
        .offset:         56
        .size:           8
        .value_kind:     global_buffer
      - .actual_access:  read_only
        .address_space:  global
        .offset:         64
        .size:           8
        .value_kind:     global_buffer
      - .offset:         72
        .size:           4
        .value_kind:     by_value
      - .actual_access:  read_only
        .address_space:  global
        .offset:         80
        .size:           8
        .value_kind:     global_buffer
      - .offset:         88
        .size:           4
        .value_kind:     by_value
      - .offset:         92
        .size:           4
        .value_kind:     by_value
      - .offset:         96
        .size:           4
        .value_kind:     by_value
      - .address_space:  global
        .offset:         104
        .size:           8
        .value_kind:     global_buffer
      - .address_space:  global
        .offset:         112
        .size:           8
        .value_kind:     global_buffer
      - .offset:         120
        .size:           4
        .value_kind:     by_value
      - .offset:         124
        .size:           4
        .value_kind:     by_value
      - .offset:         128
        .size:           4
        .value_kind:     by_value
      - .offset:         132
        .size:           4
        .value_kind:     by_value
      - .offset:         136
        .size:           4
        .value_kind:     by_value
      - .offset:         144
        .size:           4
        .value_kind:     hidden_block_count_x
      - .offset:         148
        .size:           4
        .value_kind:     hidden_block_count_y
      - .offset:         152
        .size:           4
        .value_kind:     hidden_block_count_z
      - .offset:         156
        .size:           2
        .value_kind:     hidden_group_size_x
      - .offset:         158
        .size:           2
        .value_kind:     hidden_group_size_y
      - .offset:         160
        .size:           2
        .value_kind:     hidden_group_size_z
      - .offset:         162
        .size:           2
        .value_kind:     hidden_remainder_x
      - .offset:         164
        .size:           2
        .value_kind:     hidden_remainder_y
      - .offset:         166
        .size:           2
        .value_kind:     hidden_remainder_z
      - .offset:         184
        .size:           8
        .value_kind:     hidden_global_offset_x
      - .offset:         192
        .size:           8
        .value_kind:     hidden_global_offset_y
      - .offset:         200
        .size:           8
        .value_kind:     hidden_global_offset_z
      - .offset:         208
        .size:           2
        .value_kind:     hidden_grid_dims
      - .offset:         264
        .size:           4
        .value_kind:     hidden_dynamic_lds_size
    .group_segment_fixed_size: 288
    .kernarg_segment_align: 8
    .kernarg_segment_size: 400
    .language:       OpenCL C
    .language_version:
      - 2
      - 0
    .max_flat_workgroup_size: 1024
    .name:           _ZN4vllm25paged_attention_v2_kernelI14__hip_bfloat16hLi128ELi8ELi128ELNS_18Fp8KVCacheDataTypeE1ELb1ELi512EEEvPfS3_PT_PKS4_PKT0_SA_ifPKiSC_iPKfiiiSE_SE_iiiii
    .private_segment_fixed_size: 0
    .sgpr_count:     56
    .sgpr_spill_count: 0
    .symbol:         _ZN4vllm25paged_attention_v2_kernelI14__hip_bfloat16hLi128ELi8ELi128ELNS_18Fp8KVCacheDataTypeE1ELb1ELi512EEEvPfS3_PT_PKS4_PKT0_SA_ifPKiSC_iPKfiiiSE_SE_iiiii.kd
    .uniform_work_group_size: 1
    .uses_dynamic_stack: false
    .vgpr_count:     90
    .vgpr_spill_count: 0
    .wavefront_size: 32
    .workgroup_processor_mode: 1
  - .args:
      - .actual_access:  write_only
        .address_space:  global
        .offset:         0
        .size:           8
        .value_kind:     global_buffer
      - .actual_access:  write_only
        .address_space:  global
        .offset:         8
        .size:           8
        .value_kind:     global_buffer
      - .actual_access:  write_only
        .address_space:  global
        .offset:         16
        .size:           8
        .value_kind:     global_buffer
      - .actual_access:  read_only
        .address_space:  global
        .offset:         24
        .size:           8
        .value_kind:     global_buffer
      - .actual_access:  read_only
        .address_space:  global
        .offset:         32
        .size:           8
        .value_kind:     global_buffer
      - .actual_access:  read_only
        .address_space:  global
        .offset:         40
        .size:           8
        .value_kind:     global_buffer
      - .offset:         48
        .size:           4
        .value_kind:     by_value
      - .offset:         52
        .size:           4
        .value_kind:     by_value
      - .actual_access:  read_only
        .address_space:  global
        .offset:         56
        .size:           8
        .value_kind:     global_buffer
      - .actual_access:  read_only
        .address_space:  global
        .offset:         64
        .size:           8
        .value_kind:     global_buffer
      - .offset:         72
        .size:           4
        .value_kind:     by_value
      - .actual_access:  read_only
        .address_space:  global
        .offset:         80
        .size:           8
        .value_kind:     global_buffer
      - .offset:         88
        .size:           4
        .value_kind:     by_value
      - .offset:         92
        .size:           4
        .value_kind:     by_value
      - .offset:         96
        .size:           4
        .value_kind:     by_value
      - .address_space:  global
        .offset:         104
        .size:           8
        .value_kind:     global_buffer
      - .address_space:  global
        .offset:         112
        .size:           8
        .value_kind:     global_buffer
      - .offset:         120
        .size:           4
        .value_kind:     by_value
      - .offset:         124
        .size:           4
        .value_kind:     by_value
      - .offset:         128
        .size:           4
        .value_kind:     by_value
      - .offset:         132
        .size:           4
        .value_kind:     by_value
      - .offset:         136
        .size:           4
        .value_kind:     by_value
      - .offset:         144
        .size:           4
        .value_kind:     hidden_block_count_x
      - .offset:         148
        .size:           4
        .value_kind:     hidden_block_count_y
      - .offset:         152
        .size:           4
        .value_kind:     hidden_block_count_z
      - .offset:         156
        .size:           2
        .value_kind:     hidden_group_size_x
      - .offset:         158
        .size:           2
        .value_kind:     hidden_group_size_y
      - .offset:         160
        .size:           2
        .value_kind:     hidden_group_size_z
      - .offset:         162
        .size:           2
        .value_kind:     hidden_remainder_x
      - .offset:         164
        .size:           2
        .value_kind:     hidden_remainder_y
      - .offset:         166
        .size:           2
        .value_kind:     hidden_remainder_z
      - .offset:         184
        .size:           8
        .value_kind:     hidden_global_offset_x
      - .offset:         192
        .size:           8
        .value_kind:     hidden_global_offset_y
      - .offset:         200
        .size:           8
        .value_kind:     hidden_global_offset_z
      - .offset:         208
        .size:           2
        .value_kind:     hidden_grid_dims
      - .offset:         264
        .size:           4
        .value_kind:     hidden_dynamic_lds_size
    .group_segment_fixed_size: 416
    .kernarg_segment_align: 8
    .kernarg_segment_size: 400
    .language:       OpenCL C
    .language_version:
      - 2
      - 0
    .max_flat_workgroup_size: 1024
    .name:           _ZN4vllm25paged_attention_v2_kernelI14__hip_bfloat16hLi192ELi8ELi128ELNS_18Fp8KVCacheDataTypeE1ELb1ELi512EEEvPfS3_PT_PKS4_PKT0_SA_ifPKiSC_iPKfiiiSE_SE_iiiii
    .private_segment_fixed_size: 0
    .sgpr_count:     55
    .sgpr_spill_count: 0
    .symbol:         _ZN4vllm25paged_attention_v2_kernelI14__hip_bfloat16hLi192ELi8ELi128ELNS_18Fp8KVCacheDataTypeE1ELb1ELi512EEEvPfS3_PT_PKS4_PKT0_SA_ifPKiSC_iPKfiiiSE_SE_iiiii.kd
    .uniform_work_group_size: 1
    .uses_dynamic_stack: false
    .vgpr_count:     116
    .vgpr_spill_count: 0
    .wavefront_size: 32
    .workgroup_processor_mode: 1
  - .args:
      - .actual_access:  write_only
        .address_space:  global
        .offset:         0
        .size:           8
        .value_kind:     global_buffer
      - .actual_access:  write_only
        .address_space:  global
        .offset:         8
        .size:           8
        .value_kind:     global_buffer
      - .actual_access:  write_only
        .address_space:  global
        .offset:         16
        .size:           8
        .value_kind:     global_buffer
      - .actual_access:  read_only
        .address_space:  global
        .offset:         24
        .size:           8
        .value_kind:     global_buffer
      - .actual_access:  read_only
        .address_space:  global
        .offset:         32
        .size:           8
        .value_kind:     global_buffer
      - .actual_access:  read_only
        .address_space:  global
        .offset:         40
        .size:           8
        .value_kind:     global_buffer
      - .offset:         48
        .size:           4
        .value_kind:     by_value
      - .offset:         52
        .size:           4
        .value_kind:     by_value
      - .actual_access:  read_only
        .address_space:  global
        .offset:         56
        .size:           8
        .value_kind:     global_buffer
      - .actual_access:  read_only
        .address_space:  global
        .offset:         64
        .size:           8
        .value_kind:     global_buffer
      - .offset:         72
        .size:           4
        .value_kind:     by_value
      - .actual_access:  read_only
        .address_space:  global
        .offset:         80
        .size:           8
        .value_kind:     global_buffer
      - .offset:         88
        .size:           4
        .value_kind:     by_value
      - .offset:         92
        .size:           4
        .value_kind:     by_value
      - .offset:         96
        .size:           4
        .value_kind:     by_value
      - .address_space:  global
        .offset:         104
        .size:           8
        .value_kind:     global_buffer
      - .address_space:  global
        .offset:         112
        .size:           8
        .value_kind:     global_buffer
      - .offset:         120
        .size:           4
        .value_kind:     by_value
      - .offset:         124
        .size:           4
        .value_kind:     by_value
      - .offset:         128
        .size:           4
        .value_kind:     by_value
      - .offset:         132
        .size:           4
        .value_kind:     by_value
      - .offset:         136
        .size:           4
        .value_kind:     by_value
      - .offset:         144
        .size:           4
        .value_kind:     hidden_block_count_x
      - .offset:         148
        .size:           4
        .value_kind:     hidden_block_count_y
      - .offset:         152
        .size:           4
        .value_kind:     hidden_block_count_z
      - .offset:         156
        .size:           2
        .value_kind:     hidden_group_size_x
      - .offset:         158
        .size:           2
        .value_kind:     hidden_group_size_y
      - .offset:         160
        .size:           2
        .value_kind:     hidden_group_size_z
      - .offset:         162
        .size:           2
        .value_kind:     hidden_remainder_x
      - .offset:         164
        .size:           2
        .value_kind:     hidden_remainder_y
      - .offset:         166
        .size:           2
        .value_kind:     hidden_remainder_z
      - .offset:         184
        .size:           8
        .value_kind:     hidden_global_offset_x
      - .offset:         192
        .size:           8
        .value_kind:     hidden_global_offset_y
      - .offset:         200
        .size:           8
        .value_kind:     hidden_global_offset_z
      - .offset:         208
        .size:           2
        .value_kind:     hidden_grid_dims
      - .offset:         264
        .size:           4
        .value_kind:     hidden_dynamic_lds_size
    .group_segment_fixed_size: 544
    .kernarg_segment_align: 8
    .kernarg_segment_size: 400
    .language:       OpenCL C
    .language_version:
      - 2
      - 0
    .max_flat_workgroup_size: 1024
    .name:           _ZN4vllm25paged_attention_v2_kernelI14__hip_bfloat16hLi256ELi8ELi128ELNS_18Fp8KVCacheDataTypeE1ELb1ELi512EEEvPfS3_PT_PKS4_PKT0_SA_ifPKiSC_iPKfiiiSE_SE_iiiii
    .private_segment_fixed_size: 36
    .sgpr_count:     62
    .sgpr_spill_count: 0
    .symbol:         _ZN4vllm25paged_attention_v2_kernelI14__hip_bfloat16hLi256ELi8ELi128ELNS_18Fp8KVCacheDataTypeE1ELb1ELi512EEEvPfS3_PT_PKS4_PKT0_SA_ifPKiSC_iPKfiiiSE_SE_iiiii.kd
    .uniform_work_group_size: 1
    .uses_dynamic_stack: false
    .vgpr_count:     128
    .vgpr_spill_count: 9
    .wavefront_size: 32
    .workgroup_processor_mode: 1
  - .args:
      - .actual_access:  write_only
        .address_space:  global
        .offset:         0
        .size:           8
        .value_kind:     global_buffer
      - .actual_access:  write_only
        .address_space:  global
        .offset:         8
        .size:           8
        .value_kind:     global_buffer
      - .actual_access:  write_only
        .address_space:  global
        .offset:         16
        .size:           8
        .value_kind:     global_buffer
      - .actual_access:  read_only
        .address_space:  global
        .offset:         24
        .size:           8
        .value_kind:     global_buffer
      - .actual_access:  read_only
        .address_space:  global
        .offset:         32
        .size:           8
        .value_kind:     global_buffer
      - .actual_access:  read_only
        .address_space:  global
        .offset:         40
        .size:           8
        .value_kind:     global_buffer
      - .offset:         48
        .size:           4
        .value_kind:     by_value
      - .offset:         52
        .size:           4
        .value_kind:     by_value
      - .actual_access:  read_only
        .address_space:  global
        .offset:         56
        .size:           8
        .value_kind:     global_buffer
      - .actual_access:  read_only
        .address_space:  global
        .offset:         64
        .size:           8
        .value_kind:     global_buffer
      - .offset:         72
        .size:           4
        .value_kind:     by_value
      - .actual_access:  read_only
        .address_space:  global
        .offset:         80
        .size:           8
        .value_kind:     global_buffer
      - .offset:         88
        .size:           4
        .value_kind:     by_value
      - .offset:         92
        .size:           4
        .value_kind:     by_value
      - .offset:         96
        .size:           4
        .value_kind:     by_value
      - .address_space:  global
        .offset:         104
        .size:           8
        .value_kind:     global_buffer
      - .address_space:  global
        .offset:         112
        .size:           8
        .value_kind:     global_buffer
      - .offset:         120
        .size:           4
        .value_kind:     by_value
      - .offset:         124
        .size:           4
        .value_kind:     by_value
      - .offset:         128
        .size:           4
        .value_kind:     by_value
      - .offset:         132
        .size:           4
        .value_kind:     by_value
      - .offset:         136
        .size:           4
        .value_kind:     by_value
      - .offset:         144
        .size:           4
        .value_kind:     hidden_block_count_x
      - .offset:         148
        .size:           4
        .value_kind:     hidden_block_count_y
      - .offset:         152
        .size:           4
        .value_kind:     hidden_block_count_z
      - .offset:         156
        .size:           2
        .value_kind:     hidden_group_size_x
      - .offset:         158
        .size:           2
        .value_kind:     hidden_group_size_y
      - .offset:         160
        .size:           2
        .value_kind:     hidden_group_size_z
      - .offset:         162
        .size:           2
        .value_kind:     hidden_remainder_x
      - .offset:         164
        .size:           2
        .value_kind:     hidden_remainder_y
      - .offset:         166
        .size:           2
        .value_kind:     hidden_remainder_z
      - .offset:         184
        .size:           8
        .value_kind:     hidden_global_offset_x
      - .offset:         192
        .size:           8
        .value_kind:     hidden_global_offset_y
      - .offset:         200
        .size:           8
        .value_kind:     hidden_global_offset_z
      - .offset:         208
        .size:           2
        .value_kind:     hidden_grid_dims
      - .offset:         264
        .size:           4
        .value_kind:     hidden_dynamic_lds_size
    .group_segment_fixed_size: 96
    .kernarg_segment_align: 8
    .kernarg_segment_size: 400
    .language:       OpenCL C
    .language_version:
      - 2
      - 0
    .max_flat_workgroup_size: 1024
    .name:           _ZN4vllm25paged_attention_v2_kernelI14__hip_bfloat16hLi32ELi8ELi128ELNS_18Fp8KVCacheDataTypeE1ELb0ELi512EEEvPfS3_PT_PKS4_PKT0_SA_ifPKiSC_iPKfiiiSE_SE_iiiii
    .private_segment_fixed_size: 0
    .sgpr_count:     44
    .sgpr_spill_count: 0
    .symbol:         _ZN4vllm25paged_attention_v2_kernelI14__hip_bfloat16hLi32ELi8ELi128ELNS_18Fp8KVCacheDataTypeE1ELb0ELi512EEEvPfS3_PT_PKS4_PKT0_SA_ifPKiSC_iPKfiiiSE_SE_iiiii.kd
    .uniform_work_group_size: 1
    .uses_dynamic_stack: false
    .vgpr_count:     43
    .vgpr_spill_count: 0
    .wavefront_size: 32
    .workgroup_processor_mode: 1
  - .args:
      - .actual_access:  write_only
        .address_space:  global
        .offset:         0
        .size:           8
        .value_kind:     global_buffer
      - .actual_access:  write_only
        .address_space:  global
        .offset:         8
        .size:           8
        .value_kind:     global_buffer
      - .actual_access:  write_only
        .address_space:  global
        .offset:         16
        .size:           8
        .value_kind:     global_buffer
      - .actual_access:  read_only
        .address_space:  global
        .offset:         24
        .size:           8
        .value_kind:     global_buffer
      - .actual_access:  read_only
        .address_space:  global
        .offset:         32
        .size:           8
        .value_kind:     global_buffer
      - .actual_access:  read_only
        .address_space:  global
        .offset:         40
        .size:           8
        .value_kind:     global_buffer
      - .offset:         48
        .size:           4
        .value_kind:     by_value
      - .offset:         52
        .size:           4
        .value_kind:     by_value
      - .actual_access:  read_only
        .address_space:  global
        .offset:         56
        .size:           8
        .value_kind:     global_buffer
      - .actual_access:  read_only
        .address_space:  global
        .offset:         64
        .size:           8
        .value_kind:     global_buffer
      - .offset:         72
        .size:           4
        .value_kind:     by_value
      - .actual_access:  read_only
        .address_space:  global
        .offset:         80
        .size:           8
        .value_kind:     global_buffer
      - .offset:         88
        .size:           4
        .value_kind:     by_value
      - .offset:         92
        .size:           4
        .value_kind:     by_value
      - .offset:         96
        .size:           4
        .value_kind:     by_value
      - .address_space:  global
        .offset:         104
        .size:           8
        .value_kind:     global_buffer
      - .address_space:  global
        .offset:         112
        .size:           8
        .value_kind:     global_buffer
      - .offset:         120
        .size:           4
        .value_kind:     by_value
      - .offset:         124
        .size:           4
        .value_kind:     by_value
      - .offset:         128
        .size:           4
        .value_kind:     by_value
      - .offset:         132
        .size:           4
        .value_kind:     by_value
      - .offset:         136
        .size:           4
        .value_kind:     by_value
      - .offset:         144
        .size:           4
        .value_kind:     hidden_block_count_x
      - .offset:         148
        .size:           4
        .value_kind:     hidden_block_count_y
      - .offset:         152
        .size:           4
        .value_kind:     hidden_block_count_z
      - .offset:         156
        .size:           2
        .value_kind:     hidden_group_size_x
      - .offset:         158
        .size:           2
        .value_kind:     hidden_group_size_y
      - .offset:         160
        .size:           2
        .value_kind:     hidden_group_size_z
      - .offset:         162
        .size:           2
        .value_kind:     hidden_remainder_x
      - .offset:         164
        .size:           2
        .value_kind:     hidden_remainder_y
      - .offset:         166
        .size:           2
        .value_kind:     hidden_remainder_z
      - .offset:         184
        .size:           8
        .value_kind:     hidden_global_offset_x
      - .offset:         192
        .size:           8
        .value_kind:     hidden_global_offset_y
      - .offset:         200
        .size:           8
        .value_kind:     hidden_global_offset_z
      - .offset:         208
        .size:           2
        .value_kind:     hidden_grid_dims
      - .offset:         264
        .size:           4
        .value_kind:     hidden_dynamic_lds_size
    .group_segment_fixed_size: 160
    .kernarg_segment_align: 8
    .kernarg_segment_size: 400
    .language:       OpenCL C
    .language_version:
      - 2
      - 0
    .max_flat_workgroup_size: 1024
    .name:           _ZN4vllm25paged_attention_v2_kernelI14__hip_bfloat16hLi64ELi8ELi128ELNS_18Fp8KVCacheDataTypeE1ELb0ELi512EEEvPfS3_PT_PKS4_PKT0_SA_ifPKiSC_iPKfiiiSE_SE_iiiii
    .private_segment_fixed_size: 0
    .sgpr_count:     45
    .sgpr_spill_count: 0
    .symbol:         _ZN4vllm25paged_attention_v2_kernelI14__hip_bfloat16hLi64ELi8ELi128ELNS_18Fp8KVCacheDataTypeE1ELb0ELi512EEEvPfS3_PT_PKS4_PKT0_SA_ifPKiSC_iPKfiiiSE_SE_iiiii.kd
    .uniform_work_group_size: 1
    .uses_dynamic_stack: false
    .vgpr_count:     71
    .vgpr_spill_count: 0
    .wavefront_size: 32
    .workgroup_processor_mode: 1
  - .args:
      - .actual_access:  write_only
        .address_space:  global
        .offset:         0
        .size:           8
        .value_kind:     global_buffer
      - .actual_access:  write_only
        .address_space:  global
        .offset:         8
        .size:           8
        .value_kind:     global_buffer
      - .actual_access:  write_only
        .address_space:  global
        .offset:         16
        .size:           8
        .value_kind:     global_buffer
      - .actual_access:  read_only
        .address_space:  global
        .offset:         24
        .size:           8
        .value_kind:     global_buffer
      - .actual_access:  read_only
        .address_space:  global
        .offset:         32
        .size:           8
        .value_kind:     global_buffer
      - .actual_access:  read_only
        .address_space:  global
        .offset:         40
        .size:           8
        .value_kind:     global_buffer
      - .offset:         48
        .size:           4
        .value_kind:     by_value
      - .offset:         52
        .size:           4
        .value_kind:     by_value
      - .actual_access:  read_only
        .address_space:  global
        .offset:         56
        .size:           8
        .value_kind:     global_buffer
      - .actual_access:  read_only
        .address_space:  global
        .offset:         64
        .size:           8
        .value_kind:     global_buffer
      - .offset:         72
        .size:           4
        .value_kind:     by_value
      - .actual_access:  read_only
        .address_space:  global
        .offset:         80
        .size:           8
        .value_kind:     global_buffer
      - .offset:         88
        .size:           4
        .value_kind:     by_value
      - .offset:         92
        .size:           4
        .value_kind:     by_value
      - .offset:         96
        .size:           4
        .value_kind:     by_value
      - .address_space:  global
        .offset:         104
        .size:           8
        .value_kind:     global_buffer
      - .address_space:  global
        .offset:         112
        .size:           8
        .value_kind:     global_buffer
      - .offset:         120
        .size:           4
        .value_kind:     by_value
      - .offset:         124
        .size:           4
        .value_kind:     by_value
      - .offset:         128
        .size:           4
        .value_kind:     by_value
      - .offset:         132
        .size:           4
        .value_kind:     by_value
      - .offset:         136
        .size:           4
        .value_kind:     by_value
      - .offset:         144
        .size:           4
        .value_kind:     hidden_block_count_x
      - .offset:         148
        .size:           4
        .value_kind:     hidden_block_count_y
      - .offset:         152
        .size:           4
        .value_kind:     hidden_block_count_z
      - .offset:         156
        .size:           2
        .value_kind:     hidden_group_size_x
      - .offset:         158
        .size:           2
        .value_kind:     hidden_group_size_y
      - .offset:         160
        .size:           2
        .value_kind:     hidden_group_size_z
      - .offset:         162
        .size:           2
        .value_kind:     hidden_remainder_x
      - .offset:         164
        .size:           2
        .value_kind:     hidden_remainder_y
      - .offset:         166
        .size:           2
        .value_kind:     hidden_remainder_z
      - .offset:         184
        .size:           8
        .value_kind:     hidden_global_offset_x
      - .offset:         192
        .size:           8
        .value_kind:     hidden_global_offset_y
      - .offset:         200
        .size:           8
        .value_kind:     hidden_global_offset_z
      - .offset:         208
        .size:           2
        .value_kind:     hidden_grid_dims
      - .offset:         264
        .size:           4
        .value_kind:     hidden_dynamic_lds_size
    .group_segment_fixed_size: 192
    .kernarg_segment_align: 8
    .kernarg_segment_size: 400
    .language:       OpenCL C
    .language_version:
      - 2
      - 0
    .max_flat_workgroup_size: 1024
    .name:           _ZN4vllm25paged_attention_v2_kernelI14__hip_bfloat16hLi80ELi8ELi128ELNS_18Fp8KVCacheDataTypeE1ELb0ELi512EEEvPfS3_PT_PKS4_PKT0_SA_ifPKiSC_iPKfiiiSE_SE_iiiii
    .private_segment_fixed_size: 0
    .sgpr_count:     44
    .sgpr_spill_count: 0
    .symbol:         _ZN4vllm25paged_attention_v2_kernelI14__hip_bfloat16hLi80ELi8ELi128ELNS_18Fp8KVCacheDataTypeE1ELb0ELi512EEEvPfS3_PT_PKS4_PKT0_SA_ifPKiSC_iPKfiiiSE_SE_iiiii.kd
    .uniform_work_group_size: 1
    .uses_dynamic_stack: false
    .vgpr_count:     84
    .vgpr_spill_count: 0
    .wavefront_size: 32
    .workgroup_processor_mode: 1
  - .args:
      - .actual_access:  write_only
        .address_space:  global
        .offset:         0
        .size:           8
        .value_kind:     global_buffer
      - .actual_access:  write_only
        .address_space:  global
        .offset:         8
        .size:           8
        .value_kind:     global_buffer
      - .actual_access:  write_only
        .address_space:  global
        .offset:         16
        .size:           8
        .value_kind:     global_buffer
      - .actual_access:  read_only
        .address_space:  global
        .offset:         24
        .size:           8
        .value_kind:     global_buffer
      - .actual_access:  read_only
        .address_space:  global
        .offset:         32
        .size:           8
        .value_kind:     global_buffer
      - .actual_access:  read_only
        .address_space:  global
        .offset:         40
        .size:           8
        .value_kind:     global_buffer
      - .offset:         48
        .size:           4
        .value_kind:     by_value
      - .offset:         52
        .size:           4
        .value_kind:     by_value
      - .actual_access:  read_only
        .address_space:  global
        .offset:         56
        .size:           8
        .value_kind:     global_buffer
      - .actual_access:  read_only
        .address_space:  global
        .offset:         64
        .size:           8
        .value_kind:     global_buffer
      - .offset:         72
        .size:           4
        .value_kind:     by_value
      - .actual_access:  read_only
        .address_space:  global
        .offset:         80
        .size:           8
        .value_kind:     global_buffer
      - .offset:         88
        .size:           4
        .value_kind:     by_value
      - .offset:         92
        .size:           4
        .value_kind:     by_value
      - .offset:         96
        .size:           4
        .value_kind:     by_value
      - .address_space:  global
        .offset:         104
        .size:           8
        .value_kind:     global_buffer
      - .address_space:  global
        .offset:         112
        .size:           8
        .value_kind:     global_buffer
      - .offset:         120
        .size:           4
        .value_kind:     by_value
      - .offset:         124
        .size:           4
        .value_kind:     by_value
      - .offset:         128
        .size:           4
        .value_kind:     by_value
      - .offset:         132
        .size:           4
        .value_kind:     by_value
      - .offset:         136
        .size:           4
        .value_kind:     by_value
      - .offset:         144
        .size:           4
        .value_kind:     hidden_block_count_x
      - .offset:         148
        .size:           4
        .value_kind:     hidden_block_count_y
      - .offset:         152
        .size:           4
        .value_kind:     hidden_block_count_z
      - .offset:         156
        .size:           2
        .value_kind:     hidden_group_size_x
      - .offset:         158
        .size:           2
        .value_kind:     hidden_group_size_y
      - .offset:         160
        .size:           2
        .value_kind:     hidden_group_size_z
      - .offset:         162
        .size:           2
        .value_kind:     hidden_remainder_x
      - .offset:         164
        .size:           2
        .value_kind:     hidden_remainder_y
      - .offset:         166
        .size:           2
        .value_kind:     hidden_remainder_z
      - .offset:         184
        .size:           8
        .value_kind:     hidden_global_offset_x
      - .offset:         192
        .size:           8
        .value_kind:     hidden_global_offset_y
      - .offset:         200
        .size:           8
        .value_kind:     hidden_global_offset_z
      - .offset:         208
        .size:           2
        .value_kind:     hidden_grid_dims
      - .offset:         264
        .size:           4
        .value_kind:     hidden_dynamic_lds_size
    .group_segment_fixed_size: 224
    .kernarg_segment_align: 8
    .kernarg_segment_size: 400
    .language:       OpenCL C
    .language_version:
      - 2
      - 0
    .max_flat_workgroup_size: 1024
    .name:           _ZN4vllm25paged_attention_v2_kernelI14__hip_bfloat16hLi96ELi8ELi128ELNS_18Fp8KVCacheDataTypeE1ELb0ELi512EEEvPfS3_PT_PKS4_PKT0_SA_ifPKiSC_iPKfiiiSE_SE_iiiii
    .private_segment_fixed_size: 0
    .sgpr_count:     44
    .sgpr_spill_count: 0
    .symbol:         _ZN4vllm25paged_attention_v2_kernelI14__hip_bfloat16hLi96ELi8ELi128ELNS_18Fp8KVCacheDataTypeE1ELb0ELi512EEEvPfS3_PT_PKS4_PKT0_SA_ifPKiSC_iPKfiiiSE_SE_iiiii.kd
    .uniform_work_group_size: 1
    .uses_dynamic_stack: false
    .vgpr_count:     90
    .vgpr_spill_count: 0
    .wavefront_size: 32
    .workgroup_processor_mode: 1
  - .args:
      - .actual_access:  write_only
        .address_space:  global
        .offset:         0
        .size:           8
        .value_kind:     global_buffer
      - .actual_access:  write_only
        .address_space:  global
        .offset:         8
        .size:           8
        .value_kind:     global_buffer
      - .actual_access:  write_only
        .address_space:  global
        .offset:         16
        .size:           8
        .value_kind:     global_buffer
      - .actual_access:  read_only
        .address_space:  global
        .offset:         24
        .size:           8
        .value_kind:     global_buffer
      - .actual_access:  read_only
        .address_space:  global
        .offset:         32
        .size:           8
        .value_kind:     global_buffer
      - .actual_access:  read_only
        .address_space:  global
        .offset:         40
        .size:           8
        .value_kind:     global_buffer
      - .offset:         48
        .size:           4
        .value_kind:     by_value
      - .offset:         52
        .size:           4
        .value_kind:     by_value
      - .actual_access:  read_only
        .address_space:  global
        .offset:         56
        .size:           8
        .value_kind:     global_buffer
      - .actual_access:  read_only
        .address_space:  global
        .offset:         64
        .size:           8
        .value_kind:     global_buffer
      - .offset:         72
        .size:           4
        .value_kind:     by_value
      - .actual_access:  read_only
        .address_space:  global
        .offset:         80
        .size:           8
        .value_kind:     global_buffer
      - .offset:         88
        .size:           4
        .value_kind:     by_value
      - .offset:         92
        .size:           4
        .value_kind:     by_value
      - .offset:         96
        .size:           4
        .value_kind:     by_value
      - .address_space:  global
        .offset:         104
        .size:           8
        .value_kind:     global_buffer
      - .address_space:  global
        .offset:         112
        .size:           8
        .value_kind:     global_buffer
      - .offset:         120
        .size:           4
        .value_kind:     by_value
      - .offset:         124
        .size:           4
        .value_kind:     by_value
      - .offset:         128
        .size:           4
        .value_kind:     by_value
      - .offset:         132
        .size:           4
        .value_kind:     by_value
      - .offset:         136
        .size:           4
        .value_kind:     by_value
      - .offset:         144
        .size:           4
        .value_kind:     hidden_block_count_x
      - .offset:         148
        .size:           4
        .value_kind:     hidden_block_count_y
      - .offset:         152
        .size:           4
        .value_kind:     hidden_block_count_z
      - .offset:         156
        .size:           2
        .value_kind:     hidden_group_size_x
      - .offset:         158
        .size:           2
        .value_kind:     hidden_group_size_y
      - .offset:         160
        .size:           2
        .value_kind:     hidden_group_size_z
      - .offset:         162
        .size:           2
        .value_kind:     hidden_remainder_x
      - .offset:         164
        .size:           2
        .value_kind:     hidden_remainder_y
      - .offset:         166
        .size:           2
        .value_kind:     hidden_remainder_z
      - .offset:         184
        .size:           8
        .value_kind:     hidden_global_offset_x
      - .offset:         192
        .size:           8
        .value_kind:     hidden_global_offset_y
      - .offset:         200
        .size:           8
        .value_kind:     hidden_global_offset_z
      - .offset:         208
        .size:           2
        .value_kind:     hidden_grid_dims
      - .offset:         264
        .size:           4
        .value_kind:     hidden_dynamic_lds_size
    .group_segment_fixed_size: 256
    .kernarg_segment_align: 8
    .kernarg_segment_size: 400
    .language:       OpenCL C
    .language_version:
      - 2
      - 0
    .max_flat_workgroup_size: 1024
    .name:           _ZN4vllm25paged_attention_v2_kernelI14__hip_bfloat16hLi112ELi8ELi128ELNS_18Fp8KVCacheDataTypeE1ELb0ELi512EEEvPfS3_PT_PKS4_PKT0_SA_ifPKiSC_iPKfiiiSE_SE_iiiii
    .private_segment_fixed_size: 0
    .sgpr_count:     44
    .sgpr_spill_count: 0
    .symbol:         _ZN4vllm25paged_attention_v2_kernelI14__hip_bfloat16hLi112ELi8ELi128ELNS_18Fp8KVCacheDataTypeE1ELb0ELi512EEEvPfS3_PT_PKS4_PKT0_SA_ifPKiSC_iPKfiiiSE_SE_iiiii.kd
    .uniform_work_group_size: 1
    .uses_dynamic_stack: false
    .vgpr_count:     106
    .vgpr_spill_count: 0
    .wavefront_size: 32
    .workgroup_processor_mode: 1
  - .args:
      - .actual_access:  write_only
        .address_space:  global
        .offset:         0
        .size:           8
        .value_kind:     global_buffer
      - .actual_access:  write_only
        .address_space:  global
        .offset:         8
        .size:           8
        .value_kind:     global_buffer
      - .actual_access:  write_only
        .address_space:  global
        .offset:         16
        .size:           8
        .value_kind:     global_buffer
      - .actual_access:  read_only
        .address_space:  global
        .offset:         24
        .size:           8
        .value_kind:     global_buffer
      - .actual_access:  read_only
        .address_space:  global
        .offset:         32
        .size:           8
        .value_kind:     global_buffer
      - .actual_access:  read_only
        .address_space:  global
        .offset:         40
        .size:           8
        .value_kind:     global_buffer
      - .offset:         48
        .size:           4
        .value_kind:     by_value
      - .offset:         52
        .size:           4
        .value_kind:     by_value
      - .actual_access:  read_only
        .address_space:  global
        .offset:         56
        .size:           8
        .value_kind:     global_buffer
      - .actual_access:  read_only
        .address_space:  global
        .offset:         64
        .size:           8
        .value_kind:     global_buffer
      - .offset:         72
        .size:           4
        .value_kind:     by_value
      - .actual_access:  read_only
        .address_space:  global
        .offset:         80
        .size:           8
        .value_kind:     global_buffer
      - .offset:         88
        .size:           4
        .value_kind:     by_value
      - .offset:         92
        .size:           4
        .value_kind:     by_value
      - .offset:         96
        .size:           4
        .value_kind:     by_value
      - .address_space:  global
        .offset:         104
        .size:           8
        .value_kind:     global_buffer
      - .address_space:  global
        .offset:         112
        .size:           8
        .value_kind:     global_buffer
      - .offset:         120
        .size:           4
        .value_kind:     by_value
      - .offset:         124
        .size:           4
        .value_kind:     by_value
      - .offset:         128
        .size:           4
        .value_kind:     by_value
      - .offset:         132
        .size:           4
        .value_kind:     by_value
      - .offset:         136
        .size:           4
        .value_kind:     by_value
      - .offset:         144
        .size:           4
        .value_kind:     hidden_block_count_x
      - .offset:         148
        .size:           4
        .value_kind:     hidden_block_count_y
      - .offset:         152
        .size:           4
        .value_kind:     hidden_block_count_z
      - .offset:         156
        .size:           2
        .value_kind:     hidden_group_size_x
      - .offset:         158
        .size:           2
        .value_kind:     hidden_group_size_y
      - .offset:         160
        .size:           2
        .value_kind:     hidden_group_size_z
      - .offset:         162
        .size:           2
        .value_kind:     hidden_remainder_x
      - .offset:         164
        .size:           2
        .value_kind:     hidden_remainder_y
      - .offset:         166
        .size:           2
        .value_kind:     hidden_remainder_z
      - .offset:         184
        .size:           8
        .value_kind:     hidden_global_offset_x
      - .offset:         192
        .size:           8
        .value_kind:     hidden_global_offset_y
      - .offset:         200
        .size:           8
        .value_kind:     hidden_global_offset_z
      - .offset:         208
        .size:           2
        .value_kind:     hidden_grid_dims
      - .offset:         264
        .size:           4
        .value_kind:     hidden_dynamic_lds_size
    .group_segment_fixed_size: 272
    .kernarg_segment_align: 8
    .kernarg_segment_size: 400
    .language:       OpenCL C
    .language_version:
      - 2
      - 0
    .max_flat_workgroup_size: 1024
    .name:           _ZN4vllm25paged_attention_v2_kernelI14__hip_bfloat16hLi120ELi8ELi128ELNS_18Fp8KVCacheDataTypeE1ELb0ELi512EEEvPfS3_PT_PKS4_PKT0_SA_ifPKiSC_iPKfiiiSE_SE_iiiii
    .private_segment_fixed_size: 0
    .sgpr_count:     44
    .sgpr_spill_count: 0
    .symbol:         _ZN4vllm25paged_attention_v2_kernelI14__hip_bfloat16hLi120ELi8ELi128ELNS_18Fp8KVCacheDataTypeE1ELb0ELi512EEEvPfS3_PT_PKS4_PKT0_SA_ifPKiSC_iPKfiiiSE_SE_iiiii.kd
    .uniform_work_group_size: 1
    .uses_dynamic_stack: false
    .vgpr_count:     107
    .vgpr_spill_count: 0
    .wavefront_size: 32
    .workgroup_processor_mode: 1
  - .args:
      - .actual_access:  write_only
        .address_space:  global
        .offset:         0
        .size:           8
        .value_kind:     global_buffer
      - .actual_access:  write_only
        .address_space:  global
        .offset:         8
        .size:           8
        .value_kind:     global_buffer
      - .actual_access:  write_only
        .address_space:  global
        .offset:         16
        .size:           8
        .value_kind:     global_buffer
      - .actual_access:  read_only
        .address_space:  global
        .offset:         24
        .size:           8
        .value_kind:     global_buffer
      - .actual_access:  read_only
        .address_space:  global
        .offset:         32
        .size:           8
        .value_kind:     global_buffer
      - .actual_access:  read_only
        .address_space:  global
        .offset:         40
        .size:           8
        .value_kind:     global_buffer
      - .offset:         48
        .size:           4
        .value_kind:     by_value
      - .offset:         52
        .size:           4
        .value_kind:     by_value
      - .actual_access:  read_only
        .address_space:  global
        .offset:         56
        .size:           8
        .value_kind:     global_buffer
      - .actual_access:  read_only
        .address_space:  global
        .offset:         64
        .size:           8
        .value_kind:     global_buffer
      - .offset:         72
        .size:           4
        .value_kind:     by_value
      - .actual_access:  read_only
        .address_space:  global
        .offset:         80
        .size:           8
        .value_kind:     global_buffer
      - .offset:         88
        .size:           4
        .value_kind:     by_value
      - .offset:         92
        .size:           4
        .value_kind:     by_value
      - .offset:         96
        .size:           4
        .value_kind:     by_value
      - .address_space:  global
        .offset:         104
        .size:           8
        .value_kind:     global_buffer
      - .address_space:  global
        .offset:         112
        .size:           8
        .value_kind:     global_buffer
      - .offset:         120
        .size:           4
        .value_kind:     by_value
      - .offset:         124
        .size:           4
        .value_kind:     by_value
      - .offset:         128
        .size:           4
        .value_kind:     by_value
      - .offset:         132
        .size:           4
        .value_kind:     by_value
      - .offset:         136
        .size:           4
        .value_kind:     by_value
      - .offset:         144
        .size:           4
        .value_kind:     hidden_block_count_x
      - .offset:         148
        .size:           4
        .value_kind:     hidden_block_count_y
      - .offset:         152
        .size:           4
        .value_kind:     hidden_block_count_z
      - .offset:         156
        .size:           2
        .value_kind:     hidden_group_size_x
      - .offset:         158
        .size:           2
        .value_kind:     hidden_group_size_y
      - .offset:         160
        .size:           2
        .value_kind:     hidden_group_size_z
      - .offset:         162
        .size:           2
        .value_kind:     hidden_remainder_x
      - .offset:         164
        .size:           2
        .value_kind:     hidden_remainder_y
      - .offset:         166
        .size:           2
        .value_kind:     hidden_remainder_z
      - .offset:         184
        .size:           8
        .value_kind:     hidden_global_offset_x
      - .offset:         192
        .size:           8
        .value_kind:     hidden_global_offset_y
      - .offset:         200
        .size:           8
        .value_kind:     hidden_global_offset_z
      - .offset:         208
        .size:           2
        .value_kind:     hidden_grid_dims
      - .offset:         264
        .size:           4
        .value_kind:     hidden_dynamic_lds_size
    .group_segment_fixed_size: 288
    .kernarg_segment_align: 8
    .kernarg_segment_size: 400
    .language:       OpenCL C
    .language_version:
      - 2
      - 0
    .max_flat_workgroup_size: 1024
    .name:           _ZN4vllm25paged_attention_v2_kernelI14__hip_bfloat16hLi128ELi8ELi128ELNS_18Fp8KVCacheDataTypeE1ELb0ELi512EEEvPfS3_PT_PKS4_PKT0_SA_ifPKiSC_iPKfiiiSE_SE_iiiii
    .private_segment_fixed_size: 0
    .sgpr_count:     45
    .sgpr_spill_count: 0
    .symbol:         _ZN4vllm25paged_attention_v2_kernelI14__hip_bfloat16hLi128ELi8ELi128ELNS_18Fp8KVCacheDataTypeE1ELb0ELi512EEEvPfS3_PT_PKS4_PKT0_SA_ifPKiSC_iPKfiiiSE_SE_iiiii.kd
    .uniform_work_group_size: 1
    .uses_dynamic_stack: false
    .vgpr_count:     108
    .vgpr_spill_count: 0
    .wavefront_size: 32
    .workgroup_processor_mode: 1
  - .args:
      - .actual_access:  write_only
        .address_space:  global
        .offset:         0
        .size:           8
        .value_kind:     global_buffer
      - .actual_access:  write_only
        .address_space:  global
        .offset:         8
        .size:           8
        .value_kind:     global_buffer
      - .actual_access:  write_only
        .address_space:  global
        .offset:         16
        .size:           8
        .value_kind:     global_buffer
      - .actual_access:  read_only
        .address_space:  global
        .offset:         24
        .size:           8
        .value_kind:     global_buffer
      - .actual_access:  read_only
        .address_space:  global
        .offset:         32
        .size:           8
        .value_kind:     global_buffer
      - .actual_access:  read_only
        .address_space:  global
        .offset:         40
        .size:           8
        .value_kind:     global_buffer
      - .offset:         48
        .size:           4
        .value_kind:     by_value
      - .offset:         52
        .size:           4
        .value_kind:     by_value
      - .actual_access:  read_only
        .address_space:  global
        .offset:         56
        .size:           8
        .value_kind:     global_buffer
      - .actual_access:  read_only
        .address_space:  global
        .offset:         64
        .size:           8
        .value_kind:     global_buffer
      - .offset:         72
        .size:           4
        .value_kind:     by_value
      - .actual_access:  read_only
        .address_space:  global
        .offset:         80
        .size:           8
        .value_kind:     global_buffer
      - .offset:         88
        .size:           4
        .value_kind:     by_value
      - .offset:         92
        .size:           4
        .value_kind:     by_value
      - .offset:         96
        .size:           4
        .value_kind:     by_value
      - .address_space:  global
        .offset:         104
        .size:           8
        .value_kind:     global_buffer
      - .address_space:  global
        .offset:         112
        .size:           8
        .value_kind:     global_buffer
      - .offset:         120
        .size:           4
        .value_kind:     by_value
      - .offset:         124
        .size:           4
        .value_kind:     by_value
      - .offset:         128
        .size:           4
        .value_kind:     by_value
      - .offset:         132
        .size:           4
        .value_kind:     by_value
      - .offset:         136
        .size:           4
        .value_kind:     by_value
      - .offset:         144
        .size:           4
        .value_kind:     hidden_block_count_x
      - .offset:         148
        .size:           4
        .value_kind:     hidden_block_count_y
      - .offset:         152
        .size:           4
        .value_kind:     hidden_block_count_z
      - .offset:         156
        .size:           2
        .value_kind:     hidden_group_size_x
      - .offset:         158
        .size:           2
        .value_kind:     hidden_group_size_y
      - .offset:         160
        .size:           2
        .value_kind:     hidden_group_size_z
      - .offset:         162
        .size:           2
        .value_kind:     hidden_remainder_x
      - .offset:         164
        .size:           2
        .value_kind:     hidden_remainder_y
      - .offset:         166
        .size:           2
        .value_kind:     hidden_remainder_z
      - .offset:         184
        .size:           8
        .value_kind:     hidden_global_offset_x
      - .offset:         192
        .size:           8
        .value_kind:     hidden_global_offset_y
      - .offset:         200
        .size:           8
        .value_kind:     hidden_global_offset_z
      - .offset:         208
        .size:           2
        .value_kind:     hidden_grid_dims
      - .offset:         264
        .size:           4
        .value_kind:     hidden_dynamic_lds_size
    .group_segment_fixed_size: 416
    .kernarg_segment_align: 8
    .kernarg_segment_size: 400
    .language:       OpenCL C
    .language_version:
      - 2
      - 0
    .max_flat_workgroup_size: 1024
    .name:           _ZN4vllm25paged_attention_v2_kernelI14__hip_bfloat16hLi192ELi8ELi128ELNS_18Fp8KVCacheDataTypeE1ELb0ELi512EEEvPfS3_PT_PKS4_PKT0_SA_ifPKiSC_iPKfiiiSE_SE_iiiii
    .private_segment_fixed_size: 0
    .sgpr_count:     44
    .sgpr_spill_count: 0
    .symbol:         _ZN4vllm25paged_attention_v2_kernelI14__hip_bfloat16hLi192ELi8ELi128ELNS_18Fp8KVCacheDataTypeE1ELb0ELi512EEEvPfS3_PT_PKS4_PKT0_SA_ifPKiSC_iPKfiiiSE_SE_iiiii.kd
    .uniform_work_group_size: 1
    .uses_dynamic_stack: false
    .vgpr_count:     120
    .vgpr_spill_count: 0
    .wavefront_size: 32
    .workgroup_processor_mode: 1
  - .args:
      - .actual_access:  write_only
        .address_space:  global
        .offset:         0
        .size:           8
        .value_kind:     global_buffer
      - .actual_access:  write_only
        .address_space:  global
        .offset:         8
        .size:           8
        .value_kind:     global_buffer
      - .actual_access:  write_only
        .address_space:  global
        .offset:         16
        .size:           8
        .value_kind:     global_buffer
      - .actual_access:  read_only
        .address_space:  global
        .offset:         24
        .size:           8
        .value_kind:     global_buffer
      - .actual_access:  read_only
        .address_space:  global
        .offset:         32
        .size:           8
        .value_kind:     global_buffer
      - .actual_access:  read_only
        .address_space:  global
        .offset:         40
        .size:           8
        .value_kind:     global_buffer
      - .offset:         48
        .size:           4
        .value_kind:     by_value
      - .offset:         52
        .size:           4
        .value_kind:     by_value
      - .actual_access:  read_only
        .address_space:  global
        .offset:         56
        .size:           8
        .value_kind:     global_buffer
      - .actual_access:  read_only
        .address_space:  global
        .offset:         64
        .size:           8
        .value_kind:     global_buffer
      - .offset:         72
        .size:           4
        .value_kind:     by_value
      - .actual_access:  read_only
        .address_space:  global
        .offset:         80
        .size:           8
        .value_kind:     global_buffer
      - .offset:         88
        .size:           4
        .value_kind:     by_value
      - .offset:         92
        .size:           4
        .value_kind:     by_value
      - .offset:         96
        .size:           4
        .value_kind:     by_value
      - .address_space:  global
        .offset:         104
        .size:           8
        .value_kind:     global_buffer
      - .address_space:  global
        .offset:         112
        .size:           8
        .value_kind:     global_buffer
      - .offset:         120
        .size:           4
        .value_kind:     by_value
      - .offset:         124
        .size:           4
        .value_kind:     by_value
      - .offset:         128
        .size:           4
        .value_kind:     by_value
      - .offset:         132
        .size:           4
        .value_kind:     by_value
      - .offset:         136
        .size:           4
        .value_kind:     by_value
      - .offset:         144
        .size:           4
        .value_kind:     hidden_block_count_x
      - .offset:         148
        .size:           4
        .value_kind:     hidden_block_count_y
      - .offset:         152
        .size:           4
        .value_kind:     hidden_block_count_z
      - .offset:         156
        .size:           2
        .value_kind:     hidden_group_size_x
      - .offset:         158
        .size:           2
        .value_kind:     hidden_group_size_y
      - .offset:         160
        .size:           2
        .value_kind:     hidden_group_size_z
      - .offset:         162
        .size:           2
        .value_kind:     hidden_remainder_x
      - .offset:         164
        .size:           2
        .value_kind:     hidden_remainder_y
      - .offset:         166
        .size:           2
        .value_kind:     hidden_remainder_z
      - .offset:         184
        .size:           8
        .value_kind:     hidden_global_offset_x
      - .offset:         192
        .size:           8
        .value_kind:     hidden_global_offset_y
      - .offset:         200
        .size:           8
        .value_kind:     hidden_global_offset_z
      - .offset:         208
        .size:           2
        .value_kind:     hidden_grid_dims
      - .offset:         264
        .size:           4
        .value_kind:     hidden_dynamic_lds_size
    .group_segment_fixed_size: 544
    .kernarg_segment_align: 8
    .kernarg_segment_size: 400
    .language:       OpenCL C
    .language_version:
      - 2
      - 0
    .max_flat_workgroup_size: 1024
    .name:           _ZN4vllm25paged_attention_v2_kernelI14__hip_bfloat16hLi256ELi8ELi128ELNS_18Fp8KVCacheDataTypeE1ELb0ELi512EEEvPfS3_PT_PKS4_PKT0_SA_ifPKiSC_iPKfiiiSE_SE_iiiii
    .private_segment_fixed_size: 96
    .sgpr_count:     50
    .sgpr_spill_count: 0
    .symbol:         _ZN4vllm25paged_attention_v2_kernelI14__hip_bfloat16hLi256ELi8ELi128ELNS_18Fp8KVCacheDataTypeE1ELb0ELi512EEEvPfS3_PT_PKS4_PKT0_SA_ifPKiSC_iPKfiiiSE_SE_iiiii.kd
    .uniform_work_group_size: 1
    .uses_dynamic_stack: false
    .vgpr_count:     128
    .vgpr_spill_count: 23
    .wavefront_size: 32
    .workgroup_processor_mode: 1
  - .args:
      - .actual_access:  write_only
        .address_space:  global
        .offset:         0
        .size:           8
        .value_kind:     global_buffer
      - .actual_access:  write_only
        .address_space:  global
        .offset:         8
        .size:           8
        .value_kind:     global_buffer
      - .actual_access:  write_only
        .address_space:  global
        .offset:         16
        .size:           8
        .value_kind:     global_buffer
      - .actual_access:  read_only
        .address_space:  global
        .offset:         24
        .size:           8
        .value_kind:     global_buffer
      - .actual_access:  read_only
        .address_space:  global
        .offset:         32
        .size:           8
        .value_kind:     global_buffer
      - .actual_access:  read_only
        .address_space:  global
        .offset:         40
        .size:           8
        .value_kind:     global_buffer
      - .offset:         48
        .size:           4
        .value_kind:     by_value
      - .offset:         52
        .size:           4
        .value_kind:     by_value
      - .actual_access:  read_only
        .address_space:  global
        .offset:         56
        .size:           8
        .value_kind:     global_buffer
      - .actual_access:  read_only
        .address_space:  global
        .offset:         64
        .size:           8
        .value_kind:     global_buffer
      - .offset:         72
        .size:           4
        .value_kind:     by_value
      - .actual_access:  read_only
        .address_space:  global
        .offset:         80
        .size:           8
        .value_kind:     global_buffer
      - .offset:         88
        .size:           4
        .value_kind:     by_value
      - .offset:         92
        .size:           4
        .value_kind:     by_value
      - .offset:         96
        .size:           4
        .value_kind:     by_value
      - .address_space:  global
        .offset:         104
        .size:           8
        .value_kind:     global_buffer
      - .address_space:  global
        .offset:         112
        .size:           8
        .value_kind:     global_buffer
      - .offset:         120
        .size:           4
        .value_kind:     by_value
      - .offset:         124
        .size:           4
        .value_kind:     by_value
      - .offset:         128
        .size:           4
        .value_kind:     by_value
      - .offset:         132
        .size:           4
        .value_kind:     by_value
      - .offset:         136
        .size:           4
        .value_kind:     by_value
      - .offset:         144
        .size:           4
        .value_kind:     hidden_block_count_x
      - .offset:         148
        .size:           4
        .value_kind:     hidden_block_count_y
      - .offset:         152
        .size:           4
        .value_kind:     hidden_block_count_z
      - .offset:         156
        .size:           2
        .value_kind:     hidden_group_size_x
      - .offset:         158
        .size:           2
        .value_kind:     hidden_group_size_y
      - .offset:         160
        .size:           2
        .value_kind:     hidden_group_size_z
      - .offset:         162
        .size:           2
        .value_kind:     hidden_remainder_x
      - .offset:         164
        .size:           2
        .value_kind:     hidden_remainder_y
      - .offset:         166
        .size:           2
        .value_kind:     hidden_remainder_z
      - .offset:         184
        .size:           8
        .value_kind:     hidden_global_offset_x
      - .offset:         192
        .size:           8
        .value_kind:     hidden_global_offset_y
      - .offset:         200
        .size:           8
        .value_kind:     hidden_global_offset_z
      - .offset:         208
        .size:           2
        .value_kind:     hidden_grid_dims
      - .offset:         264
        .size:           4
        .value_kind:     hidden_dynamic_lds_size
    .group_segment_fixed_size: 96
    .kernarg_segment_align: 8
    .kernarg_segment_size: 400
    .language:       OpenCL C
    .language_version:
      - 2
      - 0
    .max_flat_workgroup_size: 1024
    .name:           _ZN4vllm25paged_attention_v2_kernelI14__hip_bfloat16hLi32ELi16ELi128ELNS_18Fp8KVCacheDataTypeE1ELb1ELi512EEEvPfS3_PT_PKS4_PKT0_SA_ifPKiSC_iPKfiiiSE_SE_iiiii
    .private_segment_fixed_size: 0
    .sgpr_count:     55
    .sgpr_spill_count: 0
    .symbol:         _ZN4vllm25paged_attention_v2_kernelI14__hip_bfloat16hLi32ELi16ELi128ELNS_18Fp8KVCacheDataTypeE1ELb1ELi512EEEvPfS3_PT_PKS4_PKT0_SA_ifPKiSC_iPKfiiiSE_SE_iiiii.kd
    .uniform_work_group_size: 1
    .uses_dynamic_stack: false
    .vgpr_count:     64
    .vgpr_spill_count: 0
    .wavefront_size: 32
    .workgroup_processor_mode: 1
  - .args:
      - .actual_access:  write_only
        .address_space:  global
        .offset:         0
        .size:           8
        .value_kind:     global_buffer
      - .actual_access:  write_only
        .address_space:  global
        .offset:         8
        .size:           8
        .value_kind:     global_buffer
      - .actual_access:  write_only
        .address_space:  global
        .offset:         16
        .size:           8
        .value_kind:     global_buffer
      - .actual_access:  read_only
        .address_space:  global
        .offset:         24
        .size:           8
        .value_kind:     global_buffer
      - .actual_access:  read_only
        .address_space:  global
        .offset:         32
        .size:           8
        .value_kind:     global_buffer
      - .actual_access:  read_only
        .address_space:  global
        .offset:         40
        .size:           8
        .value_kind:     global_buffer
      - .offset:         48
        .size:           4
        .value_kind:     by_value
      - .offset:         52
        .size:           4
        .value_kind:     by_value
      - .actual_access:  read_only
        .address_space:  global
        .offset:         56
        .size:           8
        .value_kind:     global_buffer
      - .actual_access:  read_only
        .address_space:  global
        .offset:         64
        .size:           8
        .value_kind:     global_buffer
      - .offset:         72
        .size:           4
        .value_kind:     by_value
      - .actual_access:  read_only
        .address_space:  global
        .offset:         80
        .size:           8
        .value_kind:     global_buffer
      - .offset:         88
        .size:           4
        .value_kind:     by_value
      - .offset:         92
        .size:           4
        .value_kind:     by_value
      - .offset:         96
        .size:           4
        .value_kind:     by_value
      - .address_space:  global
        .offset:         104
        .size:           8
        .value_kind:     global_buffer
      - .address_space:  global
        .offset:         112
        .size:           8
        .value_kind:     global_buffer
      - .offset:         120
        .size:           4
        .value_kind:     by_value
      - .offset:         124
        .size:           4
        .value_kind:     by_value
      - .offset:         128
        .size:           4
        .value_kind:     by_value
      - .offset:         132
        .size:           4
        .value_kind:     by_value
      - .offset:         136
        .size:           4
        .value_kind:     by_value
      - .offset:         144
        .size:           4
        .value_kind:     hidden_block_count_x
      - .offset:         148
        .size:           4
        .value_kind:     hidden_block_count_y
      - .offset:         152
        .size:           4
        .value_kind:     hidden_block_count_z
      - .offset:         156
        .size:           2
        .value_kind:     hidden_group_size_x
      - .offset:         158
        .size:           2
        .value_kind:     hidden_group_size_y
      - .offset:         160
        .size:           2
        .value_kind:     hidden_group_size_z
      - .offset:         162
        .size:           2
        .value_kind:     hidden_remainder_x
      - .offset:         164
        .size:           2
        .value_kind:     hidden_remainder_y
      - .offset:         166
        .size:           2
        .value_kind:     hidden_remainder_z
      - .offset:         184
        .size:           8
        .value_kind:     hidden_global_offset_x
      - .offset:         192
        .size:           8
        .value_kind:     hidden_global_offset_y
      - .offset:         200
        .size:           8
        .value_kind:     hidden_global_offset_z
      - .offset:         208
        .size:           2
        .value_kind:     hidden_grid_dims
      - .offset:         264
        .size:           4
        .value_kind:     hidden_dynamic_lds_size
    .group_segment_fixed_size: 160
    .kernarg_segment_align: 8
    .kernarg_segment_size: 400
    .language:       OpenCL C
    .language_version:
      - 2
      - 0
    .max_flat_workgroup_size: 1024
    .name:           _ZN4vllm25paged_attention_v2_kernelI14__hip_bfloat16hLi64ELi16ELi128ELNS_18Fp8KVCacheDataTypeE1ELb1ELi512EEEvPfS3_PT_PKS4_PKT0_SA_ifPKiSC_iPKfiiiSE_SE_iiiii
    .private_segment_fixed_size: 0
    .sgpr_count:     55
    .sgpr_spill_count: 0
    .symbol:         _ZN4vllm25paged_attention_v2_kernelI14__hip_bfloat16hLi64ELi16ELi128ELNS_18Fp8KVCacheDataTypeE1ELb1ELi512EEEvPfS3_PT_PKS4_PKT0_SA_ifPKiSC_iPKfiiiSE_SE_iiiii.kd
    .uniform_work_group_size: 1
    .uses_dynamic_stack: false
    .vgpr_count:     96
    .vgpr_spill_count: 0
    .wavefront_size: 32
    .workgroup_processor_mode: 1
  - .args:
      - .actual_access:  write_only
        .address_space:  global
        .offset:         0
        .size:           8
        .value_kind:     global_buffer
      - .actual_access:  write_only
        .address_space:  global
        .offset:         8
        .size:           8
        .value_kind:     global_buffer
      - .actual_access:  write_only
        .address_space:  global
        .offset:         16
        .size:           8
        .value_kind:     global_buffer
      - .actual_access:  read_only
        .address_space:  global
        .offset:         24
        .size:           8
        .value_kind:     global_buffer
      - .actual_access:  read_only
        .address_space:  global
        .offset:         32
        .size:           8
        .value_kind:     global_buffer
      - .actual_access:  read_only
        .address_space:  global
        .offset:         40
        .size:           8
        .value_kind:     global_buffer
      - .offset:         48
        .size:           4
        .value_kind:     by_value
      - .offset:         52
        .size:           4
        .value_kind:     by_value
      - .actual_access:  read_only
        .address_space:  global
        .offset:         56
        .size:           8
        .value_kind:     global_buffer
      - .actual_access:  read_only
        .address_space:  global
        .offset:         64
        .size:           8
        .value_kind:     global_buffer
      - .offset:         72
        .size:           4
        .value_kind:     by_value
      - .actual_access:  read_only
        .address_space:  global
        .offset:         80
        .size:           8
        .value_kind:     global_buffer
      - .offset:         88
        .size:           4
        .value_kind:     by_value
      - .offset:         92
        .size:           4
        .value_kind:     by_value
      - .offset:         96
        .size:           4
        .value_kind:     by_value
      - .address_space:  global
        .offset:         104
        .size:           8
        .value_kind:     global_buffer
      - .address_space:  global
        .offset:         112
        .size:           8
        .value_kind:     global_buffer
      - .offset:         120
        .size:           4
        .value_kind:     by_value
      - .offset:         124
        .size:           4
        .value_kind:     by_value
      - .offset:         128
        .size:           4
        .value_kind:     by_value
      - .offset:         132
        .size:           4
        .value_kind:     by_value
      - .offset:         136
        .size:           4
        .value_kind:     by_value
      - .offset:         144
        .size:           4
        .value_kind:     hidden_block_count_x
      - .offset:         148
        .size:           4
        .value_kind:     hidden_block_count_y
      - .offset:         152
        .size:           4
        .value_kind:     hidden_block_count_z
      - .offset:         156
        .size:           2
        .value_kind:     hidden_group_size_x
      - .offset:         158
        .size:           2
        .value_kind:     hidden_group_size_y
      - .offset:         160
        .size:           2
        .value_kind:     hidden_group_size_z
      - .offset:         162
        .size:           2
        .value_kind:     hidden_remainder_x
      - .offset:         164
        .size:           2
        .value_kind:     hidden_remainder_y
      - .offset:         166
        .size:           2
        .value_kind:     hidden_remainder_z
      - .offset:         184
        .size:           8
        .value_kind:     hidden_global_offset_x
      - .offset:         192
        .size:           8
        .value_kind:     hidden_global_offset_y
      - .offset:         200
        .size:           8
        .value_kind:     hidden_global_offset_z
      - .offset:         208
        .size:           2
        .value_kind:     hidden_grid_dims
      - .offset:         264
        .size:           4
        .value_kind:     hidden_dynamic_lds_size
    .group_segment_fixed_size: 192
    .kernarg_segment_align: 8
    .kernarg_segment_size: 400
    .language:       OpenCL C
    .language_version:
      - 2
      - 0
    .max_flat_workgroup_size: 1024
    .name:           _ZN4vllm25paged_attention_v2_kernelI14__hip_bfloat16hLi80ELi16ELi128ELNS_18Fp8KVCacheDataTypeE1ELb1ELi512EEEvPfS3_PT_PKS4_PKT0_SA_ifPKiSC_iPKfiiiSE_SE_iiiii
    .private_segment_fixed_size: 0
    .sgpr_count:     55
    .sgpr_spill_count: 0
    .symbol:         _ZN4vllm25paged_attention_v2_kernelI14__hip_bfloat16hLi80ELi16ELi128ELNS_18Fp8KVCacheDataTypeE1ELb1ELi512EEEvPfS3_PT_PKS4_PKT0_SA_ifPKiSC_iPKfiiiSE_SE_iiiii.kd
    .uniform_work_group_size: 1
    .uses_dynamic_stack: false
    .vgpr_count:     112
    .vgpr_spill_count: 0
    .wavefront_size: 32
    .workgroup_processor_mode: 1
  - .args:
      - .actual_access:  write_only
        .address_space:  global
        .offset:         0
        .size:           8
        .value_kind:     global_buffer
      - .actual_access:  write_only
        .address_space:  global
        .offset:         8
        .size:           8
        .value_kind:     global_buffer
      - .actual_access:  write_only
        .address_space:  global
        .offset:         16
        .size:           8
        .value_kind:     global_buffer
      - .actual_access:  read_only
        .address_space:  global
        .offset:         24
        .size:           8
        .value_kind:     global_buffer
      - .actual_access:  read_only
        .address_space:  global
        .offset:         32
        .size:           8
        .value_kind:     global_buffer
      - .actual_access:  read_only
        .address_space:  global
        .offset:         40
        .size:           8
        .value_kind:     global_buffer
      - .offset:         48
        .size:           4
        .value_kind:     by_value
      - .offset:         52
        .size:           4
        .value_kind:     by_value
      - .actual_access:  read_only
        .address_space:  global
        .offset:         56
        .size:           8
        .value_kind:     global_buffer
      - .actual_access:  read_only
        .address_space:  global
        .offset:         64
        .size:           8
        .value_kind:     global_buffer
      - .offset:         72
        .size:           4
        .value_kind:     by_value
      - .actual_access:  read_only
        .address_space:  global
        .offset:         80
        .size:           8
        .value_kind:     global_buffer
      - .offset:         88
        .size:           4
        .value_kind:     by_value
      - .offset:         92
        .size:           4
        .value_kind:     by_value
      - .offset:         96
        .size:           4
        .value_kind:     by_value
      - .address_space:  global
        .offset:         104
        .size:           8
        .value_kind:     global_buffer
      - .address_space:  global
        .offset:         112
        .size:           8
        .value_kind:     global_buffer
      - .offset:         120
        .size:           4
        .value_kind:     by_value
      - .offset:         124
        .size:           4
        .value_kind:     by_value
      - .offset:         128
        .size:           4
        .value_kind:     by_value
      - .offset:         132
        .size:           4
        .value_kind:     by_value
      - .offset:         136
        .size:           4
        .value_kind:     by_value
      - .offset:         144
        .size:           4
        .value_kind:     hidden_block_count_x
      - .offset:         148
        .size:           4
        .value_kind:     hidden_block_count_y
      - .offset:         152
        .size:           4
        .value_kind:     hidden_block_count_z
      - .offset:         156
        .size:           2
        .value_kind:     hidden_group_size_x
      - .offset:         158
        .size:           2
        .value_kind:     hidden_group_size_y
      - .offset:         160
        .size:           2
        .value_kind:     hidden_group_size_z
      - .offset:         162
        .size:           2
        .value_kind:     hidden_remainder_x
      - .offset:         164
        .size:           2
        .value_kind:     hidden_remainder_y
      - .offset:         166
        .size:           2
        .value_kind:     hidden_remainder_z
      - .offset:         184
        .size:           8
        .value_kind:     hidden_global_offset_x
      - .offset:         192
        .size:           8
        .value_kind:     hidden_global_offset_y
      - .offset:         200
        .size:           8
        .value_kind:     hidden_global_offset_z
      - .offset:         208
        .size:           2
        .value_kind:     hidden_grid_dims
      - .offset:         264
        .size:           4
        .value_kind:     hidden_dynamic_lds_size
    .group_segment_fixed_size: 224
    .kernarg_segment_align: 8
    .kernarg_segment_size: 400
    .language:       OpenCL C
    .language_version:
      - 2
      - 0
    .max_flat_workgroup_size: 1024
    .name:           _ZN4vllm25paged_attention_v2_kernelI14__hip_bfloat16hLi96ELi16ELi128ELNS_18Fp8KVCacheDataTypeE1ELb1ELi512EEEvPfS3_PT_PKS4_PKT0_SA_ifPKiSC_iPKfiiiSE_SE_iiiii
    .private_segment_fixed_size: 0
    .sgpr_count:     55
    .sgpr_spill_count: 0
    .symbol:         _ZN4vllm25paged_attention_v2_kernelI14__hip_bfloat16hLi96ELi16ELi128ELNS_18Fp8KVCacheDataTypeE1ELb1ELi512EEEvPfS3_PT_PKS4_PKT0_SA_ifPKiSC_iPKfiiiSE_SE_iiiii.kd
    .uniform_work_group_size: 1
    .uses_dynamic_stack: false
    .vgpr_count:     124
    .vgpr_spill_count: 0
    .wavefront_size: 32
    .workgroup_processor_mode: 1
  - .args:
      - .actual_access:  write_only
        .address_space:  global
        .offset:         0
        .size:           8
        .value_kind:     global_buffer
      - .actual_access:  write_only
        .address_space:  global
        .offset:         8
        .size:           8
        .value_kind:     global_buffer
      - .actual_access:  write_only
        .address_space:  global
        .offset:         16
        .size:           8
        .value_kind:     global_buffer
      - .actual_access:  read_only
        .address_space:  global
        .offset:         24
        .size:           8
        .value_kind:     global_buffer
      - .actual_access:  read_only
        .address_space:  global
        .offset:         32
        .size:           8
        .value_kind:     global_buffer
      - .actual_access:  read_only
        .address_space:  global
        .offset:         40
        .size:           8
        .value_kind:     global_buffer
      - .offset:         48
        .size:           4
        .value_kind:     by_value
      - .offset:         52
        .size:           4
        .value_kind:     by_value
      - .actual_access:  read_only
        .address_space:  global
        .offset:         56
        .size:           8
        .value_kind:     global_buffer
      - .actual_access:  read_only
        .address_space:  global
        .offset:         64
        .size:           8
        .value_kind:     global_buffer
      - .offset:         72
        .size:           4
        .value_kind:     by_value
      - .actual_access:  read_only
        .address_space:  global
        .offset:         80
        .size:           8
        .value_kind:     global_buffer
      - .offset:         88
        .size:           4
        .value_kind:     by_value
      - .offset:         92
        .size:           4
        .value_kind:     by_value
      - .offset:         96
        .size:           4
        .value_kind:     by_value
      - .address_space:  global
        .offset:         104
        .size:           8
        .value_kind:     global_buffer
      - .address_space:  global
        .offset:         112
        .size:           8
        .value_kind:     global_buffer
      - .offset:         120
        .size:           4
        .value_kind:     by_value
      - .offset:         124
        .size:           4
        .value_kind:     by_value
      - .offset:         128
        .size:           4
        .value_kind:     by_value
      - .offset:         132
        .size:           4
        .value_kind:     by_value
      - .offset:         136
        .size:           4
        .value_kind:     by_value
      - .offset:         144
        .size:           4
        .value_kind:     hidden_block_count_x
      - .offset:         148
        .size:           4
        .value_kind:     hidden_block_count_y
      - .offset:         152
        .size:           4
        .value_kind:     hidden_block_count_z
      - .offset:         156
        .size:           2
        .value_kind:     hidden_group_size_x
      - .offset:         158
        .size:           2
        .value_kind:     hidden_group_size_y
      - .offset:         160
        .size:           2
        .value_kind:     hidden_group_size_z
      - .offset:         162
        .size:           2
        .value_kind:     hidden_remainder_x
      - .offset:         164
        .size:           2
        .value_kind:     hidden_remainder_y
      - .offset:         166
        .size:           2
        .value_kind:     hidden_remainder_z
      - .offset:         184
        .size:           8
        .value_kind:     hidden_global_offset_x
      - .offset:         192
        .size:           8
        .value_kind:     hidden_global_offset_y
      - .offset:         200
        .size:           8
        .value_kind:     hidden_global_offset_z
      - .offset:         208
        .size:           2
        .value_kind:     hidden_grid_dims
      - .offset:         264
        .size:           4
        .value_kind:     hidden_dynamic_lds_size
    .group_segment_fixed_size: 256
    .kernarg_segment_align: 8
    .kernarg_segment_size: 400
    .language:       OpenCL C
    .language_version:
      - 2
      - 0
    .max_flat_workgroup_size: 1024
    .name:           _ZN4vllm25paged_attention_v2_kernelI14__hip_bfloat16hLi112ELi16ELi128ELNS_18Fp8KVCacheDataTypeE1ELb1ELi512EEEvPfS3_PT_PKS4_PKT0_SA_ifPKiSC_iPKfiiiSE_SE_iiiii
    .private_segment_fixed_size: 40
    .sgpr_count:     62
    .sgpr_spill_count: 0
    .symbol:         _ZN4vllm25paged_attention_v2_kernelI14__hip_bfloat16hLi112ELi16ELi128ELNS_18Fp8KVCacheDataTypeE1ELb1ELi512EEEvPfS3_PT_PKS4_PKT0_SA_ifPKiSC_iPKfiiiSE_SE_iiiii.kd
    .uniform_work_group_size: 1
    .uses_dynamic_stack: false
    .vgpr_count:     128
    .vgpr_spill_count: 9
    .wavefront_size: 32
    .workgroup_processor_mode: 1
  - .args:
      - .actual_access:  write_only
        .address_space:  global
        .offset:         0
        .size:           8
        .value_kind:     global_buffer
      - .actual_access:  write_only
        .address_space:  global
        .offset:         8
        .size:           8
        .value_kind:     global_buffer
      - .actual_access:  write_only
        .address_space:  global
        .offset:         16
        .size:           8
        .value_kind:     global_buffer
      - .actual_access:  read_only
        .address_space:  global
        .offset:         24
        .size:           8
        .value_kind:     global_buffer
      - .actual_access:  read_only
        .address_space:  global
        .offset:         32
        .size:           8
        .value_kind:     global_buffer
      - .actual_access:  read_only
        .address_space:  global
        .offset:         40
        .size:           8
        .value_kind:     global_buffer
      - .offset:         48
        .size:           4
        .value_kind:     by_value
      - .offset:         52
        .size:           4
        .value_kind:     by_value
      - .actual_access:  read_only
        .address_space:  global
        .offset:         56
        .size:           8
        .value_kind:     global_buffer
      - .actual_access:  read_only
        .address_space:  global
        .offset:         64
        .size:           8
        .value_kind:     global_buffer
      - .offset:         72
        .size:           4
        .value_kind:     by_value
      - .actual_access:  read_only
        .address_space:  global
        .offset:         80
        .size:           8
        .value_kind:     global_buffer
      - .offset:         88
        .size:           4
        .value_kind:     by_value
      - .offset:         92
        .size:           4
        .value_kind:     by_value
      - .offset:         96
        .size:           4
        .value_kind:     by_value
      - .address_space:  global
        .offset:         104
        .size:           8
        .value_kind:     global_buffer
      - .address_space:  global
        .offset:         112
        .size:           8
        .value_kind:     global_buffer
      - .offset:         120
        .size:           4
        .value_kind:     by_value
      - .offset:         124
        .size:           4
        .value_kind:     by_value
      - .offset:         128
        .size:           4
        .value_kind:     by_value
      - .offset:         132
        .size:           4
        .value_kind:     by_value
      - .offset:         136
        .size:           4
        .value_kind:     by_value
      - .offset:         144
        .size:           4
        .value_kind:     hidden_block_count_x
      - .offset:         148
        .size:           4
        .value_kind:     hidden_block_count_y
      - .offset:         152
        .size:           4
        .value_kind:     hidden_block_count_z
      - .offset:         156
        .size:           2
        .value_kind:     hidden_group_size_x
      - .offset:         158
        .size:           2
        .value_kind:     hidden_group_size_y
      - .offset:         160
        .size:           2
        .value_kind:     hidden_group_size_z
      - .offset:         162
        .size:           2
        .value_kind:     hidden_remainder_x
      - .offset:         164
        .size:           2
        .value_kind:     hidden_remainder_y
      - .offset:         166
        .size:           2
        .value_kind:     hidden_remainder_z
      - .offset:         184
        .size:           8
        .value_kind:     hidden_global_offset_x
      - .offset:         192
        .size:           8
        .value_kind:     hidden_global_offset_y
      - .offset:         200
        .size:           8
        .value_kind:     hidden_global_offset_z
      - .offset:         208
        .size:           2
        .value_kind:     hidden_grid_dims
      - .offset:         264
        .size:           4
        .value_kind:     hidden_dynamic_lds_size
    .group_segment_fixed_size: 272
    .kernarg_segment_align: 8
    .kernarg_segment_size: 400
    .language:       OpenCL C
    .language_version:
      - 2
      - 0
    .max_flat_workgroup_size: 1024
    .name:           _ZN4vllm25paged_attention_v2_kernelI14__hip_bfloat16hLi120ELi16ELi128ELNS_18Fp8KVCacheDataTypeE1ELb1ELi512EEEvPfS3_PT_PKS4_PKT0_SA_ifPKiSC_iPKfiiiSE_SE_iiiii
    .private_segment_fixed_size: 36
    .sgpr_count:     62
    .sgpr_spill_count: 0
    .symbol:         _ZN4vllm25paged_attention_v2_kernelI14__hip_bfloat16hLi120ELi16ELi128ELNS_18Fp8KVCacheDataTypeE1ELb1ELi512EEEvPfS3_PT_PKS4_PKT0_SA_ifPKiSC_iPKfiiiSE_SE_iiiii.kd
    .uniform_work_group_size: 1
    .uses_dynamic_stack: false
    .vgpr_count:     128
    .vgpr_spill_count: 8
    .wavefront_size: 32
    .workgroup_processor_mode: 1
  - .args:
      - .actual_access:  write_only
        .address_space:  global
        .offset:         0
        .size:           8
        .value_kind:     global_buffer
      - .actual_access:  write_only
        .address_space:  global
        .offset:         8
        .size:           8
        .value_kind:     global_buffer
      - .actual_access:  write_only
        .address_space:  global
        .offset:         16
        .size:           8
        .value_kind:     global_buffer
      - .actual_access:  read_only
        .address_space:  global
        .offset:         24
        .size:           8
        .value_kind:     global_buffer
      - .actual_access:  read_only
        .address_space:  global
        .offset:         32
        .size:           8
        .value_kind:     global_buffer
      - .actual_access:  read_only
        .address_space:  global
        .offset:         40
        .size:           8
        .value_kind:     global_buffer
      - .offset:         48
        .size:           4
        .value_kind:     by_value
      - .offset:         52
        .size:           4
        .value_kind:     by_value
      - .actual_access:  read_only
        .address_space:  global
        .offset:         56
        .size:           8
        .value_kind:     global_buffer
      - .actual_access:  read_only
        .address_space:  global
        .offset:         64
        .size:           8
        .value_kind:     global_buffer
      - .offset:         72
        .size:           4
        .value_kind:     by_value
      - .actual_access:  read_only
        .address_space:  global
        .offset:         80
        .size:           8
        .value_kind:     global_buffer
      - .offset:         88
        .size:           4
        .value_kind:     by_value
      - .offset:         92
        .size:           4
        .value_kind:     by_value
      - .offset:         96
        .size:           4
        .value_kind:     by_value
      - .address_space:  global
        .offset:         104
        .size:           8
        .value_kind:     global_buffer
      - .address_space:  global
        .offset:         112
        .size:           8
        .value_kind:     global_buffer
      - .offset:         120
        .size:           4
        .value_kind:     by_value
      - .offset:         124
        .size:           4
        .value_kind:     by_value
      - .offset:         128
        .size:           4
        .value_kind:     by_value
      - .offset:         132
        .size:           4
        .value_kind:     by_value
      - .offset:         136
        .size:           4
        .value_kind:     by_value
      - .offset:         144
        .size:           4
        .value_kind:     hidden_block_count_x
      - .offset:         148
        .size:           4
        .value_kind:     hidden_block_count_y
      - .offset:         152
        .size:           4
        .value_kind:     hidden_block_count_z
      - .offset:         156
        .size:           2
        .value_kind:     hidden_group_size_x
      - .offset:         158
        .size:           2
        .value_kind:     hidden_group_size_y
      - .offset:         160
        .size:           2
        .value_kind:     hidden_group_size_z
      - .offset:         162
        .size:           2
        .value_kind:     hidden_remainder_x
      - .offset:         164
        .size:           2
        .value_kind:     hidden_remainder_y
      - .offset:         166
        .size:           2
        .value_kind:     hidden_remainder_z
      - .offset:         184
        .size:           8
        .value_kind:     hidden_global_offset_x
      - .offset:         192
        .size:           8
        .value_kind:     hidden_global_offset_y
      - .offset:         200
        .size:           8
        .value_kind:     hidden_global_offset_z
      - .offset:         208
        .size:           2
        .value_kind:     hidden_grid_dims
      - .offset:         264
        .size:           4
        .value_kind:     hidden_dynamic_lds_size
    .group_segment_fixed_size: 288
    .kernarg_segment_align: 8
    .kernarg_segment_size: 400
    .language:       OpenCL C
    .language_version:
      - 2
      - 0
    .max_flat_workgroup_size: 1024
    .name:           _ZN4vllm25paged_attention_v2_kernelI14__hip_bfloat16hLi128ELi16ELi128ELNS_18Fp8KVCacheDataTypeE1ELb1ELi512EEEvPfS3_PT_PKS4_PKT0_SA_ifPKiSC_iPKfiiiSE_SE_iiiii
    .private_segment_fixed_size: 64
    .sgpr_count:     62
    .sgpr_spill_count: 0
    .symbol:         _ZN4vllm25paged_attention_v2_kernelI14__hip_bfloat16hLi128ELi16ELi128ELNS_18Fp8KVCacheDataTypeE1ELb1ELi512EEEvPfS3_PT_PKS4_PKT0_SA_ifPKiSC_iPKfiiiSE_SE_iiiii.kd
    .uniform_work_group_size: 1
    .uses_dynamic_stack: false
    .vgpr_count:     128
    .vgpr_spill_count: 16
    .wavefront_size: 32
    .workgroup_processor_mode: 1
  - .args:
      - .address_space:  global
        .offset:         0
        .size:           8
        .value_kind:     global_buffer
      - .address_space:  global
        .offset:         8
        .size:           8
        .value_kind:     global_buffer
      - .address_space:  global
        .offset:         16
        .size:           8
        .value_kind:     global_buffer
      - .address_space:  global
        .offset:         24
        .size:           8
        .value_kind:     global_buffer
      - .address_space:  global
        .offset:         32
        .size:           8
        .value_kind:     global_buffer
      - .address_space:  global
        .offset:         40
        .size:           8
        .value_kind:     global_buffer
      - .offset:         48
        .size:           4
        .value_kind:     by_value
      - .offset:         52
        .size:           4
        .value_kind:     by_value
      - .address_space:  global
        .offset:         56
        .size:           8
        .value_kind:     global_buffer
      - .address_space:  global
        .offset:         64
        .size:           8
        .value_kind:     global_buffer
      - .offset:         72
        .size:           4
        .value_kind:     by_value
      - .address_space:  global
        .offset:         80
        .size:           8
        .value_kind:     global_buffer
      - .offset:         88
        .size:           4
        .value_kind:     by_value
      - .offset:         92
        .size:           4
        .value_kind:     by_value
      - .offset:         96
        .size:           4
        .value_kind:     by_value
      - .address_space:  global
        .offset:         104
        .size:           8
        .value_kind:     global_buffer
      - .address_space:  global
        .offset:         112
        .size:           8
        .value_kind:     global_buffer
      - .offset:         120
        .size:           4
        .value_kind:     by_value
      - .offset:         124
        .size:           4
        .value_kind:     by_value
      - .offset:         128
        .size:           4
        .value_kind:     by_value
      - .offset:         132
        .size:           4
        .value_kind:     by_value
      - .offset:         136
        .size:           4
        .value_kind:     by_value
      - .offset:         144
        .size:           4
        .value_kind:     hidden_block_count_x
      - .offset:         148
        .size:           4
        .value_kind:     hidden_block_count_y
      - .offset:         152
        .size:           4
        .value_kind:     hidden_block_count_z
      - .offset:         156
        .size:           2
        .value_kind:     hidden_group_size_x
      - .offset:         158
        .size:           2
        .value_kind:     hidden_group_size_y
      - .offset:         160
        .size:           2
        .value_kind:     hidden_group_size_z
      - .offset:         162
        .size:           2
        .value_kind:     hidden_remainder_x
      - .offset:         164
        .size:           2
        .value_kind:     hidden_remainder_y
      - .offset:         166
        .size:           2
        .value_kind:     hidden_remainder_z
      - .offset:         184
        .size:           8
        .value_kind:     hidden_global_offset_x
      - .offset:         192
        .size:           8
        .value_kind:     hidden_global_offset_y
      - .offset:         200
        .size:           8
        .value_kind:     hidden_global_offset_z
      - .offset:         208
        .size:           2
        .value_kind:     hidden_grid_dims
      - .offset:         264
        .size:           4
        .value_kind:     hidden_dynamic_lds_size
    .group_segment_fixed_size: 416
    .kernarg_segment_align: 8
    .kernarg_segment_size: 400
    .language:       OpenCL C
    .language_version:
      - 2
      - 0
    .max_flat_workgroup_size: 1024
    .name:           _ZN4vllm25paged_attention_v2_kernelI14__hip_bfloat16hLi192ELi16ELi128ELNS_18Fp8KVCacheDataTypeE1ELb1ELi512EEEvPfS3_PT_PKS4_PKT0_SA_ifPKiSC_iPKfiiiSE_SE_iiiii
    .private_segment_fixed_size: 536
    .sgpr_count:     50
    .sgpr_spill_count: 0
    .symbol:         _ZN4vllm25paged_attention_v2_kernelI14__hip_bfloat16hLi192ELi16ELi128ELNS_18Fp8KVCacheDataTypeE1ELb1ELi512EEEvPfS3_PT_PKS4_PKT0_SA_ifPKiSC_iPKfiiiSE_SE_iiiii.kd
    .uniform_work_group_size: 1
    .uses_dynamic_stack: false
    .vgpr_count:     128
    .vgpr_spill_count: 0
    .wavefront_size: 32
    .workgroup_processor_mode: 1
  - .args:
      - .address_space:  global
        .offset:         0
        .size:           8
        .value_kind:     global_buffer
      - .address_space:  global
        .offset:         8
        .size:           8
        .value_kind:     global_buffer
      - .address_space:  global
        .offset:         16
        .size:           8
        .value_kind:     global_buffer
      - .address_space:  global
        .offset:         24
        .size:           8
        .value_kind:     global_buffer
      - .address_space:  global
        .offset:         32
        .size:           8
        .value_kind:     global_buffer
      - .address_space:  global
        .offset:         40
        .size:           8
        .value_kind:     global_buffer
      - .offset:         48
        .size:           4
        .value_kind:     by_value
      - .offset:         52
        .size:           4
        .value_kind:     by_value
      - .address_space:  global
        .offset:         56
        .size:           8
        .value_kind:     global_buffer
      - .address_space:  global
        .offset:         64
        .size:           8
        .value_kind:     global_buffer
      - .offset:         72
        .size:           4
        .value_kind:     by_value
      - .address_space:  global
        .offset:         80
        .size:           8
        .value_kind:     global_buffer
      - .offset:         88
        .size:           4
        .value_kind:     by_value
      - .offset:         92
        .size:           4
        .value_kind:     by_value
      - .offset:         96
        .size:           4
        .value_kind:     by_value
      - .address_space:  global
        .offset:         104
        .size:           8
        .value_kind:     global_buffer
      - .address_space:  global
        .offset:         112
        .size:           8
        .value_kind:     global_buffer
      - .offset:         120
        .size:           4
        .value_kind:     by_value
      - .offset:         124
        .size:           4
        .value_kind:     by_value
      - .offset:         128
        .size:           4
        .value_kind:     by_value
      - .offset:         132
        .size:           4
        .value_kind:     by_value
      - .offset:         136
        .size:           4
        .value_kind:     by_value
      - .offset:         144
        .size:           4
        .value_kind:     hidden_block_count_x
      - .offset:         148
        .size:           4
        .value_kind:     hidden_block_count_y
      - .offset:         152
        .size:           4
        .value_kind:     hidden_block_count_z
      - .offset:         156
        .size:           2
        .value_kind:     hidden_group_size_x
      - .offset:         158
        .size:           2
        .value_kind:     hidden_group_size_y
      - .offset:         160
        .size:           2
        .value_kind:     hidden_group_size_z
      - .offset:         162
        .size:           2
        .value_kind:     hidden_remainder_x
      - .offset:         164
        .size:           2
        .value_kind:     hidden_remainder_y
      - .offset:         166
        .size:           2
        .value_kind:     hidden_remainder_z
      - .offset:         184
        .size:           8
        .value_kind:     hidden_global_offset_x
      - .offset:         192
        .size:           8
        .value_kind:     hidden_global_offset_y
      - .offset:         200
        .size:           8
        .value_kind:     hidden_global_offset_z
      - .offset:         208
        .size:           2
        .value_kind:     hidden_grid_dims
      - .offset:         264
        .size:           4
        .value_kind:     hidden_dynamic_lds_size
    .group_segment_fixed_size: 544
    .kernarg_segment_align: 8
    .kernarg_segment_size: 400
    .language:       OpenCL C
    .language_version:
      - 2
      - 0
    .max_flat_workgroup_size: 1024
    .name:           _ZN4vllm25paged_attention_v2_kernelI14__hip_bfloat16hLi256ELi16ELi128ELNS_18Fp8KVCacheDataTypeE1ELb1ELi512EEEvPfS3_PT_PKS4_PKT0_SA_ifPKiSC_iPKfiiiSE_SE_iiiii
    .private_segment_fixed_size: 664
    .sgpr_count:     50
    .sgpr_spill_count: 0
    .symbol:         _ZN4vllm25paged_attention_v2_kernelI14__hip_bfloat16hLi256ELi16ELi128ELNS_18Fp8KVCacheDataTypeE1ELb1ELi512EEEvPfS3_PT_PKS4_PKT0_SA_ifPKiSC_iPKfiiiSE_SE_iiiii.kd
    .uniform_work_group_size: 1
    .uses_dynamic_stack: false
    .vgpr_count:     128
    .vgpr_spill_count: 0
    .wavefront_size: 32
    .workgroup_processor_mode: 1
  - .args:
      - .actual_access:  write_only
        .address_space:  global
        .offset:         0
        .size:           8
        .value_kind:     global_buffer
      - .actual_access:  write_only
        .address_space:  global
        .offset:         8
        .size:           8
        .value_kind:     global_buffer
      - .actual_access:  write_only
        .address_space:  global
        .offset:         16
        .size:           8
        .value_kind:     global_buffer
      - .actual_access:  read_only
        .address_space:  global
        .offset:         24
        .size:           8
        .value_kind:     global_buffer
      - .actual_access:  read_only
        .address_space:  global
        .offset:         32
        .size:           8
        .value_kind:     global_buffer
      - .actual_access:  read_only
        .address_space:  global
        .offset:         40
        .size:           8
        .value_kind:     global_buffer
      - .offset:         48
        .size:           4
        .value_kind:     by_value
      - .offset:         52
        .size:           4
        .value_kind:     by_value
      - .actual_access:  read_only
        .address_space:  global
        .offset:         56
        .size:           8
        .value_kind:     global_buffer
      - .actual_access:  read_only
        .address_space:  global
        .offset:         64
        .size:           8
        .value_kind:     global_buffer
      - .offset:         72
        .size:           4
        .value_kind:     by_value
      - .actual_access:  read_only
        .address_space:  global
        .offset:         80
        .size:           8
        .value_kind:     global_buffer
      - .offset:         88
        .size:           4
        .value_kind:     by_value
      - .offset:         92
        .size:           4
        .value_kind:     by_value
      - .offset:         96
        .size:           4
        .value_kind:     by_value
      - .address_space:  global
        .offset:         104
        .size:           8
        .value_kind:     global_buffer
      - .address_space:  global
        .offset:         112
        .size:           8
        .value_kind:     global_buffer
      - .offset:         120
        .size:           4
        .value_kind:     by_value
      - .offset:         124
        .size:           4
        .value_kind:     by_value
      - .offset:         128
        .size:           4
        .value_kind:     by_value
      - .offset:         132
        .size:           4
        .value_kind:     by_value
      - .offset:         136
        .size:           4
        .value_kind:     by_value
      - .offset:         144
        .size:           4
        .value_kind:     hidden_block_count_x
      - .offset:         148
        .size:           4
        .value_kind:     hidden_block_count_y
      - .offset:         152
        .size:           4
        .value_kind:     hidden_block_count_z
      - .offset:         156
        .size:           2
        .value_kind:     hidden_group_size_x
      - .offset:         158
        .size:           2
        .value_kind:     hidden_group_size_y
      - .offset:         160
        .size:           2
        .value_kind:     hidden_group_size_z
      - .offset:         162
        .size:           2
        .value_kind:     hidden_remainder_x
      - .offset:         164
        .size:           2
        .value_kind:     hidden_remainder_y
      - .offset:         166
        .size:           2
        .value_kind:     hidden_remainder_z
      - .offset:         184
        .size:           8
        .value_kind:     hidden_global_offset_x
      - .offset:         192
        .size:           8
        .value_kind:     hidden_global_offset_y
      - .offset:         200
        .size:           8
        .value_kind:     hidden_global_offset_z
      - .offset:         208
        .size:           2
        .value_kind:     hidden_grid_dims
      - .offset:         264
        .size:           4
        .value_kind:     hidden_dynamic_lds_size
    .group_segment_fixed_size: 96
    .kernarg_segment_align: 8
    .kernarg_segment_size: 400
    .language:       OpenCL C
    .language_version:
      - 2
      - 0
    .max_flat_workgroup_size: 1024
    .name:           _ZN4vllm25paged_attention_v2_kernelI14__hip_bfloat16hLi32ELi16ELi128ELNS_18Fp8KVCacheDataTypeE1ELb0ELi512EEEvPfS3_PT_PKS4_PKT0_SA_ifPKiSC_iPKfiiiSE_SE_iiiii
    .private_segment_fixed_size: 0
    .sgpr_count:     44
    .sgpr_spill_count: 0
    .symbol:         _ZN4vllm25paged_attention_v2_kernelI14__hip_bfloat16hLi32ELi16ELi128ELNS_18Fp8KVCacheDataTypeE1ELb0ELi512EEEvPfS3_PT_PKS4_PKT0_SA_ifPKiSC_iPKfiiiSE_SE_iiiii.kd
    .uniform_work_group_size: 1
    .uses_dynamic_stack: false
    .vgpr_count:     62
    .vgpr_spill_count: 0
    .wavefront_size: 32
    .workgroup_processor_mode: 1
  - .args:
      - .actual_access:  write_only
        .address_space:  global
        .offset:         0
        .size:           8
        .value_kind:     global_buffer
      - .actual_access:  write_only
        .address_space:  global
        .offset:         8
        .size:           8
        .value_kind:     global_buffer
      - .actual_access:  write_only
        .address_space:  global
        .offset:         16
        .size:           8
        .value_kind:     global_buffer
      - .actual_access:  read_only
        .address_space:  global
        .offset:         24
        .size:           8
        .value_kind:     global_buffer
      - .actual_access:  read_only
        .address_space:  global
        .offset:         32
        .size:           8
        .value_kind:     global_buffer
      - .actual_access:  read_only
        .address_space:  global
        .offset:         40
        .size:           8
        .value_kind:     global_buffer
      - .offset:         48
        .size:           4
        .value_kind:     by_value
      - .offset:         52
        .size:           4
        .value_kind:     by_value
      - .actual_access:  read_only
        .address_space:  global
        .offset:         56
        .size:           8
        .value_kind:     global_buffer
      - .actual_access:  read_only
        .address_space:  global
        .offset:         64
        .size:           8
        .value_kind:     global_buffer
      - .offset:         72
        .size:           4
        .value_kind:     by_value
      - .actual_access:  read_only
        .address_space:  global
        .offset:         80
        .size:           8
        .value_kind:     global_buffer
      - .offset:         88
        .size:           4
        .value_kind:     by_value
      - .offset:         92
        .size:           4
        .value_kind:     by_value
      - .offset:         96
        .size:           4
        .value_kind:     by_value
      - .address_space:  global
        .offset:         104
        .size:           8
        .value_kind:     global_buffer
      - .address_space:  global
        .offset:         112
        .size:           8
        .value_kind:     global_buffer
      - .offset:         120
        .size:           4
        .value_kind:     by_value
      - .offset:         124
        .size:           4
        .value_kind:     by_value
      - .offset:         128
        .size:           4
        .value_kind:     by_value
      - .offset:         132
        .size:           4
        .value_kind:     by_value
      - .offset:         136
        .size:           4
        .value_kind:     by_value
      - .offset:         144
        .size:           4
        .value_kind:     hidden_block_count_x
      - .offset:         148
        .size:           4
        .value_kind:     hidden_block_count_y
      - .offset:         152
        .size:           4
        .value_kind:     hidden_block_count_z
      - .offset:         156
        .size:           2
        .value_kind:     hidden_group_size_x
      - .offset:         158
        .size:           2
        .value_kind:     hidden_group_size_y
      - .offset:         160
        .size:           2
        .value_kind:     hidden_group_size_z
      - .offset:         162
        .size:           2
        .value_kind:     hidden_remainder_x
      - .offset:         164
        .size:           2
        .value_kind:     hidden_remainder_y
      - .offset:         166
        .size:           2
        .value_kind:     hidden_remainder_z
      - .offset:         184
        .size:           8
        .value_kind:     hidden_global_offset_x
      - .offset:         192
        .size:           8
        .value_kind:     hidden_global_offset_y
      - .offset:         200
        .size:           8
        .value_kind:     hidden_global_offset_z
      - .offset:         208
        .size:           2
        .value_kind:     hidden_grid_dims
      - .offset:         264
        .size:           4
        .value_kind:     hidden_dynamic_lds_size
    .group_segment_fixed_size: 160
    .kernarg_segment_align: 8
    .kernarg_segment_size: 400
    .language:       OpenCL C
    .language_version:
      - 2
      - 0
    .max_flat_workgroup_size: 1024
    .name:           _ZN4vllm25paged_attention_v2_kernelI14__hip_bfloat16hLi64ELi16ELi128ELNS_18Fp8KVCacheDataTypeE1ELb0ELi512EEEvPfS3_PT_PKS4_PKT0_SA_ifPKiSC_iPKfiiiSE_SE_iiiii
    .private_segment_fixed_size: 0
    .sgpr_count:     44
    .sgpr_spill_count: 0
    .symbol:         _ZN4vllm25paged_attention_v2_kernelI14__hip_bfloat16hLi64ELi16ELi128ELNS_18Fp8KVCacheDataTypeE1ELb0ELi512EEEvPfS3_PT_PKS4_PKT0_SA_ifPKiSC_iPKfiiiSE_SE_iiiii.kd
    .uniform_work_group_size: 1
    .uses_dynamic_stack: false
    .vgpr_count:     94
    .vgpr_spill_count: 0
    .wavefront_size: 32
    .workgroup_processor_mode: 1
  - .args:
      - .actual_access:  write_only
        .address_space:  global
        .offset:         0
        .size:           8
        .value_kind:     global_buffer
      - .actual_access:  write_only
        .address_space:  global
        .offset:         8
        .size:           8
        .value_kind:     global_buffer
      - .actual_access:  write_only
        .address_space:  global
        .offset:         16
        .size:           8
        .value_kind:     global_buffer
      - .actual_access:  read_only
        .address_space:  global
        .offset:         24
        .size:           8
        .value_kind:     global_buffer
      - .actual_access:  read_only
        .address_space:  global
        .offset:         32
        .size:           8
        .value_kind:     global_buffer
      - .actual_access:  read_only
        .address_space:  global
        .offset:         40
        .size:           8
        .value_kind:     global_buffer
      - .offset:         48
        .size:           4
        .value_kind:     by_value
      - .offset:         52
        .size:           4
        .value_kind:     by_value
      - .actual_access:  read_only
        .address_space:  global
        .offset:         56
        .size:           8
        .value_kind:     global_buffer
      - .actual_access:  read_only
        .address_space:  global
        .offset:         64
        .size:           8
        .value_kind:     global_buffer
      - .offset:         72
        .size:           4
        .value_kind:     by_value
      - .actual_access:  read_only
        .address_space:  global
        .offset:         80
        .size:           8
        .value_kind:     global_buffer
      - .offset:         88
        .size:           4
        .value_kind:     by_value
      - .offset:         92
        .size:           4
        .value_kind:     by_value
      - .offset:         96
        .size:           4
        .value_kind:     by_value
      - .address_space:  global
        .offset:         104
        .size:           8
        .value_kind:     global_buffer
      - .address_space:  global
        .offset:         112
        .size:           8
        .value_kind:     global_buffer
      - .offset:         120
        .size:           4
        .value_kind:     by_value
      - .offset:         124
        .size:           4
        .value_kind:     by_value
      - .offset:         128
        .size:           4
        .value_kind:     by_value
      - .offset:         132
        .size:           4
        .value_kind:     by_value
      - .offset:         136
        .size:           4
        .value_kind:     by_value
      - .offset:         144
        .size:           4
        .value_kind:     hidden_block_count_x
      - .offset:         148
        .size:           4
        .value_kind:     hidden_block_count_y
      - .offset:         152
        .size:           4
        .value_kind:     hidden_block_count_z
      - .offset:         156
        .size:           2
        .value_kind:     hidden_group_size_x
      - .offset:         158
        .size:           2
        .value_kind:     hidden_group_size_y
      - .offset:         160
        .size:           2
        .value_kind:     hidden_group_size_z
      - .offset:         162
        .size:           2
        .value_kind:     hidden_remainder_x
      - .offset:         164
        .size:           2
        .value_kind:     hidden_remainder_y
      - .offset:         166
        .size:           2
        .value_kind:     hidden_remainder_z
      - .offset:         184
        .size:           8
        .value_kind:     hidden_global_offset_x
      - .offset:         192
        .size:           8
        .value_kind:     hidden_global_offset_y
      - .offset:         200
        .size:           8
        .value_kind:     hidden_global_offset_z
      - .offset:         208
        .size:           2
        .value_kind:     hidden_grid_dims
      - .offset:         264
        .size:           4
        .value_kind:     hidden_dynamic_lds_size
    .group_segment_fixed_size: 192
    .kernarg_segment_align: 8
    .kernarg_segment_size: 400
    .language:       OpenCL C
    .language_version:
      - 2
      - 0
    .max_flat_workgroup_size: 1024
    .name:           _ZN4vllm25paged_attention_v2_kernelI14__hip_bfloat16hLi80ELi16ELi128ELNS_18Fp8KVCacheDataTypeE1ELb0ELi512EEEvPfS3_PT_PKS4_PKT0_SA_ifPKiSC_iPKfiiiSE_SE_iiiii
    .private_segment_fixed_size: 0
    .sgpr_count:     44
    .sgpr_spill_count: 0
    .symbol:         _ZN4vllm25paged_attention_v2_kernelI14__hip_bfloat16hLi80ELi16ELi128ELNS_18Fp8KVCacheDataTypeE1ELb0ELi512EEEvPfS3_PT_PKS4_PKT0_SA_ifPKiSC_iPKfiiiSE_SE_iiiii.kd
    .uniform_work_group_size: 1
    .uses_dynamic_stack: false
    .vgpr_count:     110
    .vgpr_spill_count: 0
    .wavefront_size: 32
    .workgroup_processor_mode: 1
  - .args:
      - .actual_access:  write_only
        .address_space:  global
        .offset:         0
        .size:           8
        .value_kind:     global_buffer
      - .actual_access:  write_only
        .address_space:  global
        .offset:         8
        .size:           8
        .value_kind:     global_buffer
      - .actual_access:  write_only
        .address_space:  global
        .offset:         16
        .size:           8
        .value_kind:     global_buffer
      - .actual_access:  read_only
        .address_space:  global
        .offset:         24
        .size:           8
        .value_kind:     global_buffer
      - .actual_access:  read_only
        .address_space:  global
        .offset:         32
        .size:           8
        .value_kind:     global_buffer
      - .actual_access:  read_only
        .address_space:  global
        .offset:         40
        .size:           8
        .value_kind:     global_buffer
      - .offset:         48
        .size:           4
        .value_kind:     by_value
      - .offset:         52
        .size:           4
        .value_kind:     by_value
      - .actual_access:  read_only
        .address_space:  global
        .offset:         56
        .size:           8
        .value_kind:     global_buffer
      - .actual_access:  read_only
        .address_space:  global
        .offset:         64
        .size:           8
        .value_kind:     global_buffer
      - .offset:         72
        .size:           4
        .value_kind:     by_value
      - .actual_access:  read_only
        .address_space:  global
        .offset:         80
        .size:           8
        .value_kind:     global_buffer
      - .offset:         88
        .size:           4
        .value_kind:     by_value
      - .offset:         92
        .size:           4
        .value_kind:     by_value
      - .offset:         96
        .size:           4
        .value_kind:     by_value
      - .address_space:  global
        .offset:         104
        .size:           8
        .value_kind:     global_buffer
      - .address_space:  global
        .offset:         112
        .size:           8
        .value_kind:     global_buffer
      - .offset:         120
        .size:           4
        .value_kind:     by_value
      - .offset:         124
        .size:           4
        .value_kind:     by_value
      - .offset:         128
        .size:           4
        .value_kind:     by_value
      - .offset:         132
        .size:           4
        .value_kind:     by_value
      - .offset:         136
        .size:           4
        .value_kind:     by_value
      - .offset:         144
        .size:           4
        .value_kind:     hidden_block_count_x
      - .offset:         148
        .size:           4
        .value_kind:     hidden_block_count_y
      - .offset:         152
        .size:           4
        .value_kind:     hidden_block_count_z
      - .offset:         156
        .size:           2
        .value_kind:     hidden_group_size_x
      - .offset:         158
        .size:           2
        .value_kind:     hidden_group_size_y
      - .offset:         160
        .size:           2
        .value_kind:     hidden_group_size_z
      - .offset:         162
        .size:           2
        .value_kind:     hidden_remainder_x
      - .offset:         164
        .size:           2
        .value_kind:     hidden_remainder_y
      - .offset:         166
        .size:           2
        .value_kind:     hidden_remainder_z
      - .offset:         184
        .size:           8
        .value_kind:     hidden_global_offset_x
      - .offset:         192
        .size:           8
        .value_kind:     hidden_global_offset_y
      - .offset:         200
        .size:           8
        .value_kind:     hidden_global_offset_z
      - .offset:         208
        .size:           2
        .value_kind:     hidden_grid_dims
      - .offset:         264
        .size:           4
        .value_kind:     hidden_dynamic_lds_size
    .group_segment_fixed_size: 224
    .kernarg_segment_align: 8
    .kernarg_segment_size: 400
    .language:       OpenCL C
    .language_version:
      - 2
      - 0
    .max_flat_workgroup_size: 1024
    .name:           _ZN4vllm25paged_attention_v2_kernelI14__hip_bfloat16hLi96ELi16ELi128ELNS_18Fp8KVCacheDataTypeE1ELb0ELi512EEEvPfS3_PT_PKS4_PKT0_SA_ifPKiSC_iPKfiiiSE_SE_iiiii
    .private_segment_fixed_size: 0
    .sgpr_count:     44
    .sgpr_spill_count: 0
    .symbol:         _ZN4vllm25paged_attention_v2_kernelI14__hip_bfloat16hLi96ELi16ELi128ELNS_18Fp8KVCacheDataTypeE1ELb0ELi512EEEvPfS3_PT_PKS4_PKT0_SA_ifPKiSC_iPKfiiiSE_SE_iiiii.kd
    .uniform_work_group_size: 1
    .uses_dynamic_stack: false
    .vgpr_count:     126
    .vgpr_spill_count: 0
    .wavefront_size: 32
    .workgroup_processor_mode: 1
  - .args:
      - .actual_access:  write_only
        .address_space:  global
        .offset:         0
        .size:           8
        .value_kind:     global_buffer
      - .actual_access:  write_only
        .address_space:  global
        .offset:         8
        .size:           8
        .value_kind:     global_buffer
      - .actual_access:  write_only
        .address_space:  global
        .offset:         16
        .size:           8
        .value_kind:     global_buffer
      - .actual_access:  read_only
        .address_space:  global
        .offset:         24
        .size:           8
        .value_kind:     global_buffer
      - .actual_access:  read_only
        .address_space:  global
        .offset:         32
        .size:           8
        .value_kind:     global_buffer
      - .actual_access:  read_only
        .address_space:  global
        .offset:         40
        .size:           8
        .value_kind:     global_buffer
      - .offset:         48
        .size:           4
        .value_kind:     by_value
      - .offset:         52
        .size:           4
        .value_kind:     by_value
      - .actual_access:  read_only
        .address_space:  global
        .offset:         56
        .size:           8
        .value_kind:     global_buffer
      - .actual_access:  read_only
        .address_space:  global
        .offset:         64
        .size:           8
        .value_kind:     global_buffer
      - .offset:         72
        .size:           4
        .value_kind:     by_value
      - .actual_access:  read_only
        .address_space:  global
        .offset:         80
        .size:           8
        .value_kind:     global_buffer
      - .offset:         88
        .size:           4
        .value_kind:     by_value
      - .offset:         92
        .size:           4
        .value_kind:     by_value
      - .offset:         96
        .size:           4
        .value_kind:     by_value
      - .address_space:  global
        .offset:         104
        .size:           8
        .value_kind:     global_buffer
      - .address_space:  global
        .offset:         112
        .size:           8
        .value_kind:     global_buffer
      - .offset:         120
        .size:           4
        .value_kind:     by_value
      - .offset:         124
        .size:           4
        .value_kind:     by_value
      - .offset:         128
        .size:           4
        .value_kind:     by_value
      - .offset:         132
        .size:           4
        .value_kind:     by_value
      - .offset:         136
        .size:           4
        .value_kind:     by_value
      - .offset:         144
        .size:           4
        .value_kind:     hidden_block_count_x
      - .offset:         148
        .size:           4
        .value_kind:     hidden_block_count_y
      - .offset:         152
        .size:           4
        .value_kind:     hidden_block_count_z
      - .offset:         156
        .size:           2
        .value_kind:     hidden_group_size_x
      - .offset:         158
        .size:           2
        .value_kind:     hidden_group_size_y
      - .offset:         160
        .size:           2
        .value_kind:     hidden_group_size_z
      - .offset:         162
        .size:           2
        .value_kind:     hidden_remainder_x
      - .offset:         164
        .size:           2
        .value_kind:     hidden_remainder_y
      - .offset:         166
        .size:           2
        .value_kind:     hidden_remainder_z
      - .offset:         184
        .size:           8
        .value_kind:     hidden_global_offset_x
      - .offset:         192
        .size:           8
        .value_kind:     hidden_global_offset_y
      - .offset:         200
        .size:           8
        .value_kind:     hidden_global_offset_z
      - .offset:         208
        .size:           2
        .value_kind:     hidden_grid_dims
      - .offset:         264
        .size:           4
        .value_kind:     hidden_dynamic_lds_size
    .group_segment_fixed_size: 256
    .kernarg_segment_align: 8
    .kernarg_segment_size: 400
    .language:       OpenCL C
    .language_version:
      - 2
      - 0
    .max_flat_workgroup_size: 1024
    .name:           _ZN4vllm25paged_attention_v2_kernelI14__hip_bfloat16hLi112ELi16ELi128ELNS_18Fp8KVCacheDataTypeE1ELb0ELi512EEEvPfS3_PT_PKS4_PKT0_SA_ifPKiSC_iPKfiiiSE_SE_iiiii
    .private_segment_fixed_size: 48
    .sgpr_count:     50
    .sgpr_spill_count: 0
    .symbol:         _ZN4vllm25paged_attention_v2_kernelI14__hip_bfloat16hLi112ELi16ELi128ELNS_18Fp8KVCacheDataTypeE1ELb0ELi512EEEvPfS3_PT_PKS4_PKT0_SA_ifPKiSC_iPKfiiiSE_SE_iiiii.kd
    .uniform_work_group_size: 1
    .uses_dynamic_stack: false
    .vgpr_count:     128
    .vgpr_spill_count: 11
    .wavefront_size: 32
    .workgroup_processor_mode: 1
  - .args:
      - .actual_access:  write_only
        .address_space:  global
        .offset:         0
        .size:           8
        .value_kind:     global_buffer
      - .actual_access:  write_only
        .address_space:  global
        .offset:         8
        .size:           8
        .value_kind:     global_buffer
      - .actual_access:  write_only
        .address_space:  global
        .offset:         16
        .size:           8
        .value_kind:     global_buffer
      - .actual_access:  read_only
        .address_space:  global
        .offset:         24
        .size:           8
        .value_kind:     global_buffer
      - .actual_access:  read_only
        .address_space:  global
        .offset:         32
        .size:           8
        .value_kind:     global_buffer
      - .actual_access:  read_only
        .address_space:  global
        .offset:         40
        .size:           8
        .value_kind:     global_buffer
      - .offset:         48
        .size:           4
        .value_kind:     by_value
      - .offset:         52
        .size:           4
        .value_kind:     by_value
      - .actual_access:  read_only
        .address_space:  global
        .offset:         56
        .size:           8
        .value_kind:     global_buffer
      - .actual_access:  read_only
        .address_space:  global
        .offset:         64
        .size:           8
        .value_kind:     global_buffer
      - .offset:         72
        .size:           4
        .value_kind:     by_value
      - .actual_access:  read_only
        .address_space:  global
        .offset:         80
        .size:           8
        .value_kind:     global_buffer
      - .offset:         88
        .size:           4
        .value_kind:     by_value
      - .offset:         92
        .size:           4
        .value_kind:     by_value
      - .offset:         96
        .size:           4
        .value_kind:     by_value
      - .address_space:  global
        .offset:         104
        .size:           8
        .value_kind:     global_buffer
      - .address_space:  global
        .offset:         112
        .size:           8
        .value_kind:     global_buffer
      - .offset:         120
        .size:           4
        .value_kind:     by_value
      - .offset:         124
        .size:           4
        .value_kind:     by_value
      - .offset:         128
        .size:           4
        .value_kind:     by_value
      - .offset:         132
        .size:           4
        .value_kind:     by_value
      - .offset:         136
        .size:           4
        .value_kind:     by_value
      - .offset:         144
        .size:           4
        .value_kind:     hidden_block_count_x
      - .offset:         148
        .size:           4
        .value_kind:     hidden_block_count_y
      - .offset:         152
        .size:           4
        .value_kind:     hidden_block_count_z
      - .offset:         156
        .size:           2
        .value_kind:     hidden_group_size_x
      - .offset:         158
        .size:           2
        .value_kind:     hidden_group_size_y
      - .offset:         160
        .size:           2
        .value_kind:     hidden_group_size_z
      - .offset:         162
        .size:           2
        .value_kind:     hidden_remainder_x
      - .offset:         164
        .size:           2
        .value_kind:     hidden_remainder_y
      - .offset:         166
        .size:           2
        .value_kind:     hidden_remainder_z
      - .offset:         184
        .size:           8
        .value_kind:     hidden_global_offset_x
      - .offset:         192
        .size:           8
        .value_kind:     hidden_global_offset_y
      - .offset:         200
        .size:           8
        .value_kind:     hidden_global_offset_z
      - .offset:         208
        .size:           2
        .value_kind:     hidden_grid_dims
      - .offset:         264
        .size:           4
        .value_kind:     hidden_dynamic_lds_size
    .group_segment_fixed_size: 272
    .kernarg_segment_align: 8
    .kernarg_segment_size: 400
    .language:       OpenCL C
    .language_version:
      - 2
      - 0
    .max_flat_workgroup_size: 1024
    .name:           _ZN4vllm25paged_attention_v2_kernelI14__hip_bfloat16hLi120ELi16ELi128ELNS_18Fp8KVCacheDataTypeE1ELb0ELi512EEEvPfS3_PT_PKS4_PKT0_SA_ifPKiSC_iPKfiiiSE_SE_iiiii
    .private_segment_fixed_size: 76
    .sgpr_count:     50
    .sgpr_spill_count: 0
    .symbol:         _ZN4vllm25paged_attention_v2_kernelI14__hip_bfloat16hLi120ELi16ELi128ELNS_18Fp8KVCacheDataTypeE1ELb0ELi512EEEvPfS3_PT_PKS4_PKT0_SA_ifPKiSC_iPKfiiiSE_SE_iiiii.kd
    .uniform_work_group_size: 1
    .uses_dynamic_stack: false
    .vgpr_count:     128
    .vgpr_spill_count: 18
    .wavefront_size: 32
    .workgroup_processor_mode: 1
  - .args:
      - .actual_access:  write_only
        .address_space:  global
        .offset:         0
        .size:           8
        .value_kind:     global_buffer
      - .actual_access:  write_only
        .address_space:  global
        .offset:         8
        .size:           8
        .value_kind:     global_buffer
      - .actual_access:  write_only
        .address_space:  global
        .offset:         16
        .size:           8
        .value_kind:     global_buffer
      - .actual_access:  read_only
        .address_space:  global
        .offset:         24
        .size:           8
        .value_kind:     global_buffer
      - .actual_access:  read_only
        .address_space:  global
        .offset:         32
        .size:           8
        .value_kind:     global_buffer
      - .actual_access:  read_only
        .address_space:  global
        .offset:         40
        .size:           8
        .value_kind:     global_buffer
      - .offset:         48
        .size:           4
        .value_kind:     by_value
      - .offset:         52
        .size:           4
        .value_kind:     by_value
      - .actual_access:  read_only
        .address_space:  global
        .offset:         56
        .size:           8
        .value_kind:     global_buffer
      - .actual_access:  read_only
        .address_space:  global
        .offset:         64
        .size:           8
        .value_kind:     global_buffer
      - .offset:         72
        .size:           4
        .value_kind:     by_value
      - .actual_access:  read_only
        .address_space:  global
        .offset:         80
        .size:           8
        .value_kind:     global_buffer
      - .offset:         88
        .size:           4
        .value_kind:     by_value
      - .offset:         92
        .size:           4
        .value_kind:     by_value
      - .offset:         96
        .size:           4
        .value_kind:     by_value
      - .address_space:  global
        .offset:         104
        .size:           8
        .value_kind:     global_buffer
      - .address_space:  global
        .offset:         112
        .size:           8
        .value_kind:     global_buffer
      - .offset:         120
        .size:           4
        .value_kind:     by_value
      - .offset:         124
        .size:           4
        .value_kind:     by_value
      - .offset:         128
        .size:           4
        .value_kind:     by_value
      - .offset:         132
        .size:           4
        .value_kind:     by_value
      - .offset:         136
        .size:           4
        .value_kind:     by_value
      - .offset:         144
        .size:           4
        .value_kind:     hidden_block_count_x
      - .offset:         148
        .size:           4
        .value_kind:     hidden_block_count_y
      - .offset:         152
        .size:           4
        .value_kind:     hidden_block_count_z
      - .offset:         156
        .size:           2
        .value_kind:     hidden_group_size_x
      - .offset:         158
        .size:           2
        .value_kind:     hidden_group_size_y
      - .offset:         160
        .size:           2
        .value_kind:     hidden_group_size_z
      - .offset:         162
        .size:           2
        .value_kind:     hidden_remainder_x
      - .offset:         164
        .size:           2
        .value_kind:     hidden_remainder_y
      - .offset:         166
        .size:           2
        .value_kind:     hidden_remainder_z
      - .offset:         184
        .size:           8
        .value_kind:     hidden_global_offset_x
      - .offset:         192
        .size:           8
        .value_kind:     hidden_global_offset_y
      - .offset:         200
        .size:           8
        .value_kind:     hidden_global_offset_z
      - .offset:         208
        .size:           2
        .value_kind:     hidden_grid_dims
      - .offset:         264
        .size:           4
        .value_kind:     hidden_dynamic_lds_size
    .group_segment_fixed_size: 288
    .kernarg_segment_align: 8
    .kernarg_segment_size: 400
    .language:       OpenCL C
    .language_version:
      - 2
      - 0
    .max_flat_workgroup_size: 1024
    .name:           _ZN4vllm25paged_attention_v2_kernelI14__hip_bfloat16hLi128ELi16ELi128ELNS_18Fp8KVCacheDataTypeE1ELb0ELi512EEEvPfS3_PT_PKS4_PKT0_SA_ifPKiSC_iPKfiiiSE_SE_iiiii
    .private_segment_fixed_size: 112
    .sgpr_count:     50
    .sgpr_spill_count: 0
    .symbol:         _ZN4vllm25paged_attention_v2_kernelI14__hip_bfloat16hLi128ELi16ELi128ELNS_18Fp8KVCacheDataTypeE1ELb0ELi512EEEvPfS3_PT_PKS4_PKT0_SA_ifPKiSC_iPKfiiiSE_SE_iiiii.kd
    .uniform_work_group_size: 1
    .uses_dynamic_stack: false
    .vgpr_count:     128
    .vgpr_spill_count: 27
    .wavefront_size: 32
    .workgroup_processor_mode: 1
  - .args:
      - .address_space:  global
        .offset:         0
        .size:           8
        .value_kind:     global_buffer
      - .address_space:  global
        .offset:         8
        .size:           8
        .value_kind:     global_buffer
      - .address_space:  global
        .offset:         16
        .size:           8
        .value_kind:     global_buffer
      - .address_space:  global
        .offset:         24
        .size:           8
        .value_kind:     global_buffer
      - .address_space:  global
        .offset:         32
        .size:           8
        .value_kind:     global_buffer
      - .address_space:  global
        .offset:         40
        .size:           8
        .value_kind:     global_buffer
      - .offset:         48
        .size:           4
        .value_kind:     by_value
      - .offset:         52
        .size:           4
        .value_kind:     by_value
      - .address_space:  global
        .offset:         56
        .size:           8
        .value_kind:     global_buffer
      - .address_space:  global
        .offset:         64
        .size:           8
        .value_kind:     global_buffer
      - .offset:         72
        .size:           4
        .value_kind:     by_value
      - .address_space:  global
        .offset:         80
        .size:           8
        .value_kind:     global_buffer
      - .offset:         88
        .size:           4
        .value_kind:     by_value
      - .offset:         92
        .size:           4
        .value_kind:     by_value
      - .offset:         96
        .size:           4
        .value_kind:     by_value
      - .address_space:  global
        .offset:         104
        .size:           8
        .value_kind:     global_buffer
      - .address_space:  global
        .offset:         112
        .size:           8
        .value_kind:     global_buffer
      - .offset:         120
        .size:           4
        .value_kind:     by_value
      - .offset:         124
        .size:           4
        .value_kind:     by_value
      - .offset:         128
        .size:           4
        .value_kind:     by_value
      - .offset:         132
        .size:           4
        .value_kind:     by_value
      - .offset:         136
        .size:           4
        .value_kind:     by_value
      - .offset:         144
        .size:           4
        .value_kind:     hidden_block_count_x
      - .offset:         148
        .size:           4
        .value_kind:     hidden_block_count_y
      - .offset:         152
        .size:           4
        .value_kind:     hidden_block_count_z
      - .offset:         156
        .size:           2
        .value_kind:     hidden_group_size_x
      - .offset:         158
        .size:           2
        .value_kind:     hidden_group_size_y
      - .offset:         160
        .size:           2
        .value_kind:     hidden_group_size_z
      - .offset:         162
        .size:           2
        .value_kind:     hidden_remainder_x
      - .offset:         164
        .size:           2
        .value_kind:     hidden_remainder_y
      - .offset:         166
        .size:           2
        .value_kind:     hidden_remainder_z
      - .offset:         184
        .size:           8
        .value_kind:     hidden_global_offset_x
      - .offset:         192
        .size:           8
        .value_kind:     hidden_global_offset_y
      - .offset:         200
        .size:           8
        .value_kind:     hidden_global_offset_z
      - .offset:         208
        .size:           2
        .value_kind:     hidden_grid_dims
      - .offset:         264
        .size:           4
        .value_kind:     hidden_dynamic_lds_size
    .group_segment_fixed_size: 416
    .kernarg_segment_align: 8
    .kernarg_segment_size: 400
    .language:       OpenCL C
    .language_version:
      - 2
      - 0
    .max_flat_workgroup_size: 1024
    .name:           _ZN4vllm25paged_attention_v2_kernelI14__hip_bfloat16hLi192ELi16ELi128ELNS_18Fp8KVCacheDataTypeE1ELb0ELi512EEEvPfS3_PT_PKS4_PKT0_SA_ifPKiSC_iPKfiiiSE_SE_iiiii
    .private_segment_fixed_size: 676
    .sgpr_count:     46
    .sgpr_spill_count: 0
    .symbol:         _ZN4vllm25paged_attention_v2_kernelI14__hip_bfloat16hLi192ELi16ELi128ELNS_18Fp8KVCacheDataTypeE1ELb0ELi512EEEvPfS3_PT_PKS4_PKT0_SA_ifPKiSC_iPKfiiiSE_SE_iiiii.kd
    .uniform_work_group_size: 1
    .uses_dynamic_stack: false
    .vgpr_count:     128
    .vgpr_spill_count: 0
    .wavefront_size: 32
    .workgroup_processor_mode: 1
  - .args:
      - .address_space:  global
        .offset:         0
        .size:           8
        .value_kind:     global_buffer
      - .address_space:  global
        .offset:         8
        .size:           8
        .value_kind:     global_buffer
      - .address_space:  global
        .offset:         16
        .size:           8
        .value_kind:     global_buffer
      - .address_space:  global
        .offset:         24
        .size:           8
        .value_kind:     global_buffer
      - .address_space:  global
        .offset:         32
        .size:           8
        .value_kind:     global_buffer
      - .address_space:  global
        .offset:         40
        .size:           8
        .value_kind:     global_buffer
      - .offset:         48
        .size:           4
        .value_kind:     by_value
      - .offset:         52
        .size:           4
        .value_kind:     by_value
      - .address_space:  global
        .offset:         56
        .size:           8
        .value_kind:     global_buffer
      - .address_space:  global
        .offset:         64
        .size:           8
        .value_kind:     global_buffer
      - .offset:         72
        .size:           4
        .value_kind:     by_value
      - .address_space:  global
        .offset:         80
        .size:           8
        .value_kind:     global_buffer
      - .offset:         88
        .size:           4
        .value_kind:     by_value
      - .offset:         92
        .size:           4
        .value_kind:     by_value
      - .offset:         96
        .size:           4
        .value_kind:     by_value
      - .address_space:  global
        .offset:         104
        .size:           8
        .value_kind:     global_buffer
      - .address_space:  global
        .offset:         112
        .size:           8
        .value_kind:     global_buffer
      - .offset:         120
        .size:           4
        .value_kind:     by_value
      - .offset:         124
        .size:           4
        .value_kind:     by_value
      - .offset:         128
        .size:           4
        .value_kind:     by_value
      - .offset:         132
        .size:           4
        .value_kind:     by_value
      - .offset:         136
        .size:           4
        .value_kind:     by_value
      - .offset:         144
        .size:           4
        .value_kind:     hidden_block_count_x
      - .offset:         148
        .size:           4
        .value_kind:     hidden_block_count_y
      - .offset:         152
        .size:           4
        .value_kind:     hidden_block_count_z
      - .offset:         156
        .size:           2
        .value_kind:     hidden_group_size_x
      - .offset:         158
        .size:           2
        .value_kind:     hidden_group_size_y
      - .offset:         160
        .size:           2
        .value_kind:     hidden_group_size_z
      - .offset:         162
        .size:           2
        .value_kind:     hidden_remainder_x
      - .offset:         164
        .size:           2
        .value_kind:     hidden_remainder_y
      - .offset:         166
        .size:           2
        .value_kind:     hidden_remainder_z
      - .offset:         184
        .size:           8
        .value_kind:     hidden_global_offset_x
      - .offset:         192
        .size:           8
        .value_kind:     hidden_global_offset_y
      - .offset:         200
        .size:           8
        .value_kind:     hidden_global_offset_z
      - .offset:         208
        .size:           2
        .value_kind:     hidden_grid_dims
      - .offset:         264
        .size:           4
        .value_kind:     hidden_dynamic_lds_size
    .group_segment_fixed_size: 544
    .kernarg_segment_align: 8
    .kernarg_segment_size: 400
    .language:       OpenCL C
    .language_version:
      - 2
      - 0
    .max_flat_workgroup_size: 1024
    .name:           _ZN4vllm25paged_attention_v2_kernelI14__hip_bfloat16hLi256ELi16ELi128ELNS_18Fp8KVCacheDataTypeE1ELb0ELi512EEEvPfS3_PT_PKS4_PKT0_SA_ifPKiSC_iPKfiiiSE_SE_iiiii
    .private_segment_fixed_size: 960
    .sgpr_count:     46
    .sgpr_spill_count: 0
    .symbol:         _ZN4vllm25paged_attention_v2_kernelI14__hip_bfloat16hLi256ELi16ELi128ELNS_18Fp8KVCacheDataTypeE1ELb0ELi512EEEvPfS3_PT_PKS4_PKT0_SA_ifPKiSC_iPKfiiiSE_SE_iiiii.kd
    .uniform_work_group_size: 1
    .uses_dynamic_stack: false
    .vgpr_count:     128
    .vgpr_spill_count: 0
    .wavefront_size: 32
    .workgroup_processor_mode: 1
  - .args:
      - .actual_access:  write_only
        .address_space:  global
        .offset:         0
        .size:           8
        .value_kind:     global_buffer
      - .actual_access:  write_only
        .address_space:  global
        .offset:         8
        .size:           8
        .value_kind:     global_buffer
      - .actual_access:  write_only
        .address_space:  global
        .offset:         16
        .size:           8
        .value_kind:     global_buffer
      - .actual_access:  read_only
        .address_space:  global
        .offset:         24
        .size:           8
        .value_kind:     global_buffer
      - .actual_access:  read_only
        .address_space:  global
        .offset:         32
        .size:           8
        .value_kind:     global_buffer
      - .actual_access:  read_only
        .address_space:  global
        .offset:         40
        .size:           8
        .value_kind:     global_buffer
      - .offset:         48
        .size:           4
        .value_kind:     by_value
      - .offset:         52
        .size:           4
        .value_kind:     by_value
      - .actual_access:  read_only
        .address_space:  global
        .offset:         56
        .size:           8
        .value_kind:     global_buffer
      - .actual_access:  read_only
        .address_space:  global
        .offset:         64
        .size:           8
        .value_kind:     global_buffer
      - .offset:         72
        .size:           4
        .value_kind:     by_value
      - .actual_access:  read_only
        .address_space:  global
        .offset:         80
        .size:           8
        .value_kind:     global_buffer
      - .offset:         88
        .size:           4
        .value_kind:     by_value
      - .offset:         92
        .size:           4
        .value_kind:     by_value
      - .offset:         96
        .size:           4
        .value_kind:     by_value
      - .address_space:  global
        .offset:         104
        .size:           8
        .value_kind:     global_buffer
      - .address_space:  global
        .offset:         112
        .size:           8
        .value_kind:     global_buffer
      - .offset:         120
        .size:           4
        .value_kind:     by_value
      - .offset:         124
        .size:           4
        .value_kind:     by_value
      - .offset:         128
        .size:           4
        .value_kind:     by_value
      - .offset:         132
        .size:           4
        .value_kind:     by_value
      - .offset:         136
        .size:           4
        .value_kind:     by_value
      - .offset:         144
        .size:           4
        .value_kind:     hidden_block_count_x
      - .offset:         148
        .size:           4
        .value_kind:     hidden_block_count_y
      - .offset:         152
        .size:           4
        .value_kind:     hidden_block_count_z
      - .offset:         156
        .size:           2
        .value_kind:     hidden_group_size_x
      - .offset:         158
        .size:           2
        .value_kind:     hidden_group_size_y
      - .offset:         160
        .size:           2
        .value_kind:     hidden_group_size_z
      - .offset:         162
        .size:           2
        .value_kind:     hidden_remainder_x
      - .offset:         164
        .size:           2
        .value_kind:     hidden_remainder_y
      - .offset:         166
        .size:           2
        .value_kind:     hidden_remainder_z
      - .offset:         184
        .size:           8
        .value_kind:     hidden_global_offset_x
      - .offset:         192
        .size:           8
        .value_kind:     hidden_global_offset_y
      - .offset:         200
        .size:           8
        .value_kind:     hidden_global_offset_z
      - .offset:         208
        .size:           2
        .value_kind:     hidden_grid_dims
      - .offset:         264
        .size:           4
        .value_kind:     hidden_dynamic_lds_size
    .group_segment_fixed_size: 96
    .kernarg_segment_align: 8
    .kernarg_segment_size: 400
    .language:       OpenCL C
    .language_version:
      - 2
      - 0
    .max_flat_workgroup_size: 1024
    .name:           _ZN4vllm25paged_attention_v2_kernelI14__hip_bfloat16hLi32ELi32ELi128ELNS_18Fp8KVCacheDataTypeE1ELb1ELi512EEEvPfS3_PT_PKS4_PKT0_SA_ifPKiSC_iPKfiiiSE_SE_iiiii
    .private_segment_fixed_size: 0
    .sgpr_count:     56
    .sgpr_spill_count: 0
    .symbol:         _ZN4vllm25paged_attention_v2_kernelI14__hip_bfloat16hLi32ELi32ELi128ELNS_18Fp8KVCacheDataTypeE1ELb1ELi512EEEvPfS3_PT_PKS4_PKT0_SA_ifPKiSC_iPKfiiiSE_SE_iiiii.kd
    .uniform_work_group_size: 1
    .uses_dynamic_stack: false
    .vgpr_count:     95
    .vgpr_spill_count: 0
    .wavefront_size: 32
    .workgroup_processor_mode: 1
  - .args:
      - .actual_access:  write_only
        .address_space:  global
        .offset:         0
        .size:           8
        .value_kind:     global_buffer
      - .actual_access:  write_only
        .address_space:  global
        .offset:         8
        .size:           8
        .value_kind:     global_buffer
      - .actual_access:  write_only
        .address_space:  global
        .offset:         16
        .size:           8
        .value_kind:     global_buffer
      - .actual_access:  read_only
        .address_space:  global
        .offset:         24
        .size:           8
        .value_kind:     global_buffer
      - .actual_access:  read_only
        .address_space:  global
        .offset:         32
        .size:           8
        .value_kind:     global_buffer
      - .actual_access:  read_only
        .address_space:  global
        .offset:         40
        .size:           8
        .value_kind:     global_buffer
      - .offset:         48
        .size:           4
        .value_kind:     by_value
      - .offset:         52
        .size:           4
        .value_kind:     by_value
      - .actual_access:  read_only
        .address_space:  global
        .offset:         56
        .size:           8
        .value_kind:     global_buffer
      - .actual_access:  read_only
        .address_space:  global
        .offset:         64
        .size:           8
        .value_kind:     global_buffer
      - .offset:         72
        .size:           4
        .value_kind:     by_value
      - .actual_access:  read_only
        .address_space:  global
        .offset:         80
        .size:           8
        .value_kind:     global_buffer
      - .offset:         88
        .size:           4
        .value_kind:     by_value
      - .offset:         92
        .size:           4
        .value_kind:     by_value
      - .offset:         96
        .size:           4
        .value_kind:     by_value
      - .address_space:  global
        .offset:         104
        .size:           8
        .value_kind:     global_buffer
      - .address_space:  global
        .offset:         112
        .size:           8
        .value_kind:     global_buffer
      - .offset:         120
        .size:           4
        .value_kind:     by_value
      - .offset:         124
        .size:           4
        .value_kind:     by_value
      - .offset:         128
        .size:           4
        .value_kind:     by_value
      - .offset:         132
        .size:           4
        .value_kind:     by_value
      - .offset:         136
        .size:           4
        .value_kind:     by_value
      - .offset:         144
        .size:           4
        .value_kind:     hidden_block_count_x
      - .offset:         148
        .size:           4
        .value_kind:     hidden_block_count_y
      - .offset:         152
        .size:           4
        .value_kind:     hidden_block_count_z
      - .offset:         156
        .size:           2
        .value_kind:     hidden_group_size_x
      - .offset:         158
        .size:           2
        .value_kind:     hidden_group_size_y
      - .offset:         160
        .size:           2
        .value_kind:     hidden_group_size_z
      - .offset:         162
        .size:           2
        .value_kind:     hidden_remainder_x
      - .offset:         164
        .size:           2
        .value_kind:     hidden_remainder_y
      - .offset:         166
        .size:           2
        .value_kind:     hidden_remainder_z
      - .offset:         184
        .size:           8
        .value_kind:     hidden_global_offset_x
      - .offset:         192
        .size:           8
        .value_kind:     hidden_global_offset_y
      - .offset:         200
        .size:           8
        .value_kind:     hidden_global_offset_z
      - .offset:         208
        .size:           2
        .value_kind:     hidden_grid_dims
      - .offset:         264
        .size:           4
        .value_kind:     hidden_dynamic_lds_size
    .group_segment_fixed_size: 160
    .kernarg_segment_align: 8
    .kernarg_segment_size: 400
    .language:       OpenCL C
    .language_version:
      - 2
      - 0
    .max_flat_workgroup_size: 1024
    .name:           _ZN4vllm25paged_attention_v2_kernelI14__hip_bfloat16hLi64ELi32ELi128ELNS_18Fp8KVCacheDataTypeE1ELb1ELi512EEEvPfS3_PT_PKS4_PKT0_SA_ifPKiSC_iPKfiiiSE_SE_iiiii
    .private_segment_fixed_size: 120
    .sgpr_count:     62
    .sgpr_spill_count: 0
    .symbol:         _ZN4vllm25paged_attention_v2_kernelI14__hip_bfloat16hLi64ELi32ELi128ELNS_18Fp8KVCacheDataTypeE1ELb1ELi512EEEvPfS3_PT_PKS4_PKT0_SA_ifPKiSC_iPKfiiiSE_SE_iiiii.kd
    .uniform_work_group_size: 1
    .uses_dynamic_stack: false
    .vgpr_count:     128
    .vgpr_spill_count: 29
    .wavefront_size: 32
    .workgroup_processor_mode: 1
  - .args:
      - .actual_access:  write_only
        .address_space:  global
        .offset:         0
        .size:           8
        .value_kind:     global_buffer
      - .actual_access:  write_only
        .address_space:  global
        .offset:         8
        .size:           8
        .value_kind:     global_buffer
      - .actual_access:  write_only
        .address_space:  global
        .offset:         16
        .size:           8
        .value_kind:     global_buffer
      - .actual_access:  read_only
        .address_space:  global
        .offset:         24
        .size:           8
        .value_kind:     global_buffer
      - .actual_access:  read_only
        .address_space:  global
        .offset:         32
        .size:           8
        .value_kind:     global_buffer
      - .actual_access:  read_only
        .address_space:  global
        .offset:         40
        .size:           8
        .value_kind:     global_buffer
      - .offset:         48
        .size:           4
        .value_kind:     by_value
      - .offset:         52
        .size:           4
        .value_kind:     by_value
      - .actual_access:  read_only
        .address_space:  global
        .offset:         56
        .size:           8
        .value_kind:     global_buffer
      - .actual_access:  read_only
        .address_space:  global
        .offset:         64
        .size:           8
        .value_kind:     global_buffer
      - .offset:         72
        .size:           4
        .value_kind:     by_value
      - .actual_access:  read_only
        .address_space:  global
        .offset:         80
        .size:           8
        .value_kind:     global_buffer
      - .offset:         88
        .size:           4
        .value_kind:     by_value
      - .offset:         92
        .size:           4
        .value_kind:     by_value
      - .offset:         96
        .size:           4
        .value_kind:     by_value
      - .address_space:  global
        .offset:         104
        .size:           8
        .value_kind:     global_buffer
      - .address_space:  global
        .offset:         112
        .size:           8
        .value_kind:     global_buffer
      - .offset:         120
        .size:           4
        .value_kind:     by_value
      - .offset:         124
        .size:           4
        .value_kind:     by_value
      - .offset:         128
        .size:           4
        .value_kind:     by_value
      - .offset:         132
        .size:           4
        .value_kind:     by_value
      - .offset:         136
        .size:           4
        .value_kind:     by_value
      - .offset:         144
        .size:           4
        .value_kind:     hidden_block_count_x
      - .offset:         148
        .size:           4
        .value_kind:     hidden_block_count_y
      - .offset:         152
        .size:           4
        .value_kind:     hidden_block_count_z
      - .offset:         156
        .size:           2
        .value_kind:     hidden_group_size_x
      - .offset:         158
        .size:           2
        .value_kind:     hidden_group_size_y
      - .offset:         160
        .size:           2
        .value_kind:     hidden_group_size_z
      - .offset:         162
        .size:           2
        .value_kind:     hidden_remainder_x
      - .offset:         164
        .size:           2
        .value_kind:     hidden_remainder_y
      - .offset:         166
        .size:           2
        .value_kind:     hidden_remainder_z
      - .offset:         184
        .size:           8
        .value_kind:     hidden_global_offset_x
      - .offset:         192
        .size:           8
        .value_kind:     hidden_global_offset_y
      - .offset:         200
        .size:           8
        .value_kind:     hidden_global_offset_z
      - .offset:         208
        .size:           2
        .value_kind:     hidden_grid_dims
      - .offset:         264
        .size:           4
        .value_kind:     hidden_dynamic_lds_size
    .group_segment_fixed_size: 192
    .kernarg_segment_align: 8
    .kernarg_segment_size: 400
    .language:       OpenCL C
    .language_version:
      - 2
      - 0
    .max_flat_workgroup_size: 1024
    .name:           _ZN4vllm25paged_attention_v2_kernelI14__hip_bfloat16hLi80ELi32ELi128ELNS_18Fp8KVCacheDataTypeE1ELb1ELi512EEEvPfS3_PT_PKS4_PKT0_SA_ifPKiSC_iPKfiiiSE_SE_iiiii
    .private_segment_fixed_size: 268
    .sgpr_count:     62
    .sgpr_spill_count: 0
    .symbol:         _ZN4vllm25paged_attention_v2_kernelI14__hip_bfloat16hLi80ELi32ELi128ELNS_18Fp8KVCacheDataTypeE1ELb1ELi512EEEvPfS3_PT_PKS4_PKT0_SA_ifPKiSC_iPKfiiiSE_SE_iiiii.kd
    .uniform_work_group_size: 1
    .uses_dynamic_stack: false
    .vgpr_count:     128
    .vgpr_spill_count: 68
    .wavefront_size: 32
    .workgroup_processor_mode: 1
  - .args:
      - .address_space:  global
        .offset:         0
        .size:           8
        .value_kind:     global_buffer
      - .address_space:  global
        .offset:         8
        .size:           8
        .value_kind:     global_buffer
      - .address_space:  global
        .offset:         16
        .size:           8
        .value_kind:     global_buffer
      - .address_space:  global
        .offset:         24
        .size:           8
        .value_kind:     global_buffer
      - .address_space:  global
        .offset:         32
        .size:           8
        .value_kind:     global_buffer
      - .address_space:  global
        .offset:         40
        .size:           8
        .value_kind:     global_buffer
      - .offset:         48
        .size:           4
        .value_kind:     by_value
      - .offset:         52
        .size:           4
        .value_kind:     by_value
      - .address_space:  global
        .offset:         56
        .size:           8
        .value_kind:     global_buffer
      - .address_space:  global
        .offset:         64
        .size:           8
        .value_kind:     global_buffer
      - .offset:         72
        .size:           4
        .value_kind:     by_value
      - .address_space:  global
        .offset:         80
        .size:           8
        .value_kind:     global_buffer
      - .offset:         88
        .size:           4
        .value_kind:     by_value
      - .offset:         92
        .size:           4
        .value_kind:     by_value
      - .offset:         96
        .size:           4
        .value_kind:     by_value
      - .address_space:  global
        .offset:         104
        .size:           8
        .value_kind:     global_buffer
      - .address_space:  global
        .offset:         112
        .size:           8
        .value_kind:     global_buffer
      - .offset:         120
        .size:           4
        .value_kind:     by_value
      - .offset:         124
        .size:           4
        .value_kind:     by_value
      - .offset:         128
        .size:           4
        .value_kind:     by_value
      - .offset:         132
        .size:           4
        .value_kind:     by_value
      - .offset:         136
        .size:           4
        .value_kind:     by_value
      - .offset:         144
        .size:           4
        .value_kind:     hidden_block_count_x
      - .offset:         148
        .size:           4
        .value_kind:     hidden_block_count_y
      - .offset:         152
        .size:           4
        .value_kind:     hidden_block_count_z
      - .offset:         156
        .size:           2
        .value_kind:     hidden_group_size_x
      - .offset:         158
        .size:           2
        .value_kind:     hidden_group_size_y
      - .offset:         160
        .size:           2
        .value_kind:     hidden_group_size_z
      - .offset:         162
        .size:           2
        .value_kind:     hidden_remainder_x
      - .offset:         164
        .size:           2
        .value_kind:     hidden_remainder_y
      - .offset:         166
        .size:           2
        .value_kind:     hidden_remainder_z
      - .offset:         184
        .size:           8
        .value_kind:     hidden_global_offset_x
      - .offset:         192
        .size:           8
        .value_kind:     hidden_global_offset_y
      - .offset:         200
        .size:           8
        .value_kind:     hidden_global_offset_z
      - .offset:         208
        .size:           2
        .value_kind:     hidden_grid_dims
      - .offset:         264
        .size:           4
        .value_kind:     hidden_dynamic_lds_size
    .group_segment_fixed_size: 224
    .kernarg_segment_align: 8
    .kernarg_segment_size: 400
    .language:       OpenCL C
    .language_version:
      - 2
      - 0
    .max_flat_workgroup_size: 1024
    .name:           _ZN4vllm25paged_attention_v2_kernelI14__hip_bfloat16hLi96ELi32ELi128ELNS_18Fp8KVCacheDataTypeE1ELb1ELi512EEEvPfS3_PT_PKS4_PKT0_SA_ifPKiSC_iPKfiiiSE_SE_iiiii
    .private_segment_fixed_size: 716
    .sgpr_count:     50
    .sgpr_spill_count: 0
    .symbol:         _ZN4vllm25paged_attention_v2_kernelI14__hip_bfloat16hLi96ELi32ELi128ELNS_18Fp8KVCacheDataTypeE1ELb1ELi512EEEvPfS3_PT_PKS4_PKT0_SA_ifPKiSC_iPKfiiiSE_SE_iiiii.kd
    .uniform_work_group_size: 1
    .uses_dynamic_stack: false
    .vgpr_count:     128
    .vgpr_spill_count: 0
    .wavefront_size: 32
    .workgroup_processor_mode: 1
  - .args:
      - .address_space:  global
        .offset:         0
        .size:           8
        .value_kind:     global_buffer
      - .address_space:  global
        .offset:         8
        .size:           8
        .value_kind:     global_buffer
      - .address_space:  global
        .offset:         16
        .size:           8
        .value_kind:     global_buffer
      - .address_space:  global
        .offset:         24
        .size:           8
        .value_kind:     global_buffer
      - .address_space:  global
        .offset:         32
        .size:           8
        .value_kind:     global_buffer
      - .address_space:  global
        .offset:         40
        .size:           8
        .value_kind:     global_buffer
      - .offset:         48
        .size:           4
        .value_kind:     by_value
      - .offset:         52
        .size:           4
        .value_kind:     by_value
      - .address_space:  global
        .offset:         56
        .size:           8
        .value_kind:     global_buffer
      - .address_space:  global
        .offset:         64
        .size:           8
        .value_kind:     global_buffer
      - .offset:         72
        .size:           4
        .value_kind:     by_value
      - .address_space:  global
        .offset:         80
        .size:           8
        .value_kind:     global_buffer
      - .offset:         88
        .size:           4
        .value_kind:     by_value
      - .offset:         92
        .size:           4
        .value_kind:     by_value
      - .offset:         96
        .size:           4
        .value_kind:     by_value
      - .address_space:  global
        .offset:         104
        .size:           8
        .value_kind:     global_buffer
      - .address_space:  global
        .offset:         112
        .size:           8
        .value_kind:     global_buffer
      - .offset:         120
        .size:           4
        .value_kind:     by_value
      - .offset:         124
        .size:           4
        .value_kind:     by_value
      - .offset:         128
        .size:           4
        .value_kind:     by_value
      - .offset:         132
        .size:           4
        .value_kind:     by_value
      - .offset:         136
        .size:           4
        .value_kind:     by_value
      - .offset:         144
        .size:           4
        .value_kind:     hidden_block_count_x
      - .offset:         148
        .size:           4
        .value_kind:     hidden_block_count_y
      - .offset:         152
        .size:           4
        .value_kind:     hidden_block_count_z
      - .offset:         156
        .size:           2
        .value_kind:     hidden_group_size_x
      - .offset:         158
        .size:           2
        .value_kind:     hidden_group_size_y
      - .offset:         160
        .size:           2
        .value_kind:     hidden_group_size_z
      - .offset:         162
        .size:           2
        .value_kind:     hidden_remainder_x
      - .offset:         164
        .size:           2
        .value_kind:     hidden_remainder_y
      - .offset:         166
        .size:           2
        .value_kind:     hidden_remainder_z
      - .offset:         184
        .size:           8
        .value_kind:     hidden_global_offset_x
      - .offset:         192
        .size:           8
        .value_kind:     hidden_global_offset_y
      - .offset:         200
        .size:           8
        .value_kind:     hidden_global_offset_z
      - .offset:         208
        .size:           2
        .value_kind:     hidden_grid_dims
      - .offset:         264
        .size:           4
        .value_kind:     hidden_dynamic_lds_size
    .group_segment_fixed_size: 256
    .kernarg_segment_align: 8
    .kernarg_segment_size: 400
    .language:       OpenCL C
    .language_version:
      - 2
      - 0
    .max_flat_workgroup_size: 1024
    .name:           _ZN4vllm25paged_attention_v2_kernelI14__hip_bfloat16hLi112ELi32ELi128ELNS_18Fp8KVCacheDataTypeE1ELb1ELi512EEEvPfS3_PT_PKS4_PKT0_SA_ifPKiSC_iPKfiiiSE_SE_iiiii
    .private_segment_fixed_size: 828
    .sgpr_count:     50
    .sgpr_spill_count: 0
    .symbol:         _ZN4vllm25paged_attention_v2_kernelI14__hip_bfloat16hLi112ELi32ELi128ELNS_18Fp8KVCacheDataTypeE1ELb1ELi512EEEvPfS3_PT_PKS4_PKT0_SA_ifPKiSC_iPKfiiiSE_SE_iiiii.kd
    .uniform_work_group_size: 1
    .uses_dynamic_stack: false
    .vgpr_count:     128
    .vgpr_spill_count: 0
    .wavefront_size: 32
    .workgroup_processor_mode: 1
  - .args:
      - .address_space:  global
        .offset:         0
        .size:           8
        .value_kind:     global_buffer
      - .address_space:  global
        .offset:         8
        .size:           8
        .value_kind:     global_buffer
      - .address_space:  global
        .offset:         16
        .size:           8
        .value_kind:     global_buffer
      - .address_space:  global
        .offset:         24
        .size:           8
        .value_kind:     global_buffer
      - .address_space:  global
        .offset:         32
        .size:           8
        .value_kind:     global_buffer
      - .address_space:  global
        .offset:         40
        .size:           8
        .value_kind:     global_buffer
      - .offset:         48
        .size:           4
        .value_kind:     by_value
      - .offset:         52
        .size:           4
        .value_kind:     by_value
      - .address_space:  global
        .offset:         56
        .size:           8
        .value_kind:     global_buffer
      - .address_space:  global
        .offset:         64
        .size:           8
        .value_kind:     global_buffer
      - .offset:         72
        .size:           4
        .value_kind:     by_value
      - .address_space:  global
        .offset:         80
        .size:           8
        .value_kind:     global_buffer
      - .offset:         88
        .size:           4
        .value_kind:     by_value
      - .offset:         92
        .size:           4
        .value_kind:     by_value
      - .offset:         96
        .size:           4
        .value_kind:     by_value
      - .address_space:  global
        .offset:         104
        .size:           8
        .value_kind:     global_buffer
      - .address_space:  global
        .offset:         112
        .size:           8
        .value_kind:     global_buffer
      - .offset:         120
        .size:           4
        .value_kind:     by_value
      - .offset:         124
        .size:           4
        .value_kind:     by_value
      - .offset:         128
        .size:           4
        .value_kind:     by_value
      - .offset:         132
        .size:           4
        .value_kind:     by_value
      - .offset:         136
        .size:           4
        .value_kind:     by_value
      - .offset:         144
        .size:           4
        .value_kind:     hidden_block_count_x
      - .offset:         148
        .size:           4
        .value_kind:     hidden_block_count_y
      - .offset:         152
        .size:           4
        .value_kind:     hidden_block_count_z
      - .offset:         156
        .size:           2
        .value_kind:     hidden_group_size_x
      - .offset:         158
        .size:           2
        .value_kind:     hidden_group_size_y
      - .offset:         160
        .size:           2
        .value_kind:     hidden_group_size_z
      - .offset:         162
        .size:           2
        .value_kind:     hidden_remainder_x
      - .offset:         164
        .size:           2
        .value_kind:     hidden_remainder_y
      - .offset:         166
        .size:           2
        .value_kind:     hidden_remainder_z
      - .offset:         184
        .size:           8
        .value_kind:     hidden_global_offset_x
      - .offset:         192
        .size:           8
        .value_kind:     hidden_global_offset_y
      - .offset:         200
        .size:           8
        .value_kind:     hidden_global_offset_z
      - .offset:         208
        .size:           2
        .value_kind:     hidden_grid_dims
      - .offset:         264
        .size:           4
        .value_kind:     hidden_dynamic_lds_size
    .group_segment_fixed_size: 272
    .kernarg_segment_align: 8
    .kernarg_segment_size: 400
    .language:       OpenCL C
    .language_version:
      - 2
      - 0
    .max_flat_workgroup_size: 1024
    .name:           _ZN4vllm25paged_attention_v2_kernelI14__hip_bfloat16hLi120ELi32ELi128ELNS_18Fp8KVCacheDataTypeE1ELb1ELi512EEEvPfS3_PT_PKS4_PKT0_SA_ifPKiSC_iPKfiiiSE_SE_iiiii
    .private_segment_fixed_size: 908
    .sgpr_count:     50
    .sgpr_spill_count: 0
    .symbol:         _ZN4vllm25paged_attention_v2_kernelI14__hip_bfloat16hLi120ELi32ELi128ELNS_18Fp8KVCacheDataTypeE1ELb1ELi512EEEvPfS3_PT_PKS4_PKT0_SA_ifPKiSC_iPKfiiiSE_SE_iiiii.kd
    .uniform_work_group_size: 1
    .uses_dynamic_stack: false
    .vgpr_count:     128
    .vgpr_spill_count: 0
    .wavefront_size: 32
    .workgroup_processor_mode: 1
  - .args:
      - .address_space:  global
        .offset:         0
        .size:           8
        .value_kind:     global_buffer
      - .address_space:  global
        .offset:         8
        .size:           8
        .value_kind:     global_buffer
      - .address_space:  global
        .offset:         16
        .size:           8
        .value_kind:     global_buffer
      - .address_space:  global
        .offset:         24
        .size:           8
        .value_kind:     global_buffer
      - .address_space:  global
        .offset:         32
        .size:           8
        .value_kind:     global_buffer
      - .address_space:  global
        .offset:         40
        .size:           8
        .value_kind:     global_buffer
      - .offset:         48
        .size:           4
        .value_kind:     by_value
      - .offset:         52
        .size:           4
        .value_kind:     by_value
      - .address_space:  global
        .offset:         56
        .size:           8
        .value_kind:     global_buffer
      - .address_space:  global
        .offset:         64
        .size:           8
        .value_kind:     global_buffer
      - .offset:         72
        .size:           4
        .value_kind:     by_value
      - .address_space:  global
        .offset:         80
        .size:           8
        .value_kind:     global_buffer
      - .offset:         88
        .size:           4
        .value_kind:     by_value
      - .offset:         92
        .size:           4
        .value_kind:     by_value
      - .offset:         96
        .size:           4
        .value_kind:     by_value
      - .address_space:  global
        .offset:         104
        .size:           8
        .value_kind:     global_buffer
      - .address_space:  global
        .offset:         112
        .size:           8
        .value_kind:     global_buffer
      - .offset:         120
        .size:           4
        .value_kind:     by_value
      - .offset:         124
        .size:           4
        .value_kind:     by_value
      - .offset:         128
        .size:           4
        .value_kind:     by_value
      - .offset:         132
        .size:           4
        .value_kind:     by_value
      - .offset:         136
        .size:           4
        .value_kind:     by_value
      - .offset:         144
        .size:           4
        .value_kind:     hidden_block_count_x
      - .offset:         148
        .size:           4
        .value_kind:     hidden_block_count_y
      - .offset:         152
        .size:           4
        .value_kind:     hidden_block_count_z
      - .offset:         156
        .size:           2
        .value_kind:     hidden_group_size_x
      - .offset:         158
        .size:           2
        .value_kind:     hidden_group_size_y
      - .offset:         160
        .size:           2
        .value_kind:     hidden_group_size_z
      - .offset:         162
        .size:           2
        .value_kind:     hidden_remainder_x
      - .offset:         164
        .size:           2
        .value_kind:     hidden_remainder_y
      - .offset:         166
        .size:           2
        .value_kind:     hidden_remainder_z
      - .offset:         184
        .size:           8
        .value_kind:     hidden_global_offset_x
      - .offset:         192
        .size:           8
        .value_kind:     hidden_global_offset_y
      - .offset:         200
        .size:           8
        .value_kind:     hidden_global_offset_z
      - .offset:         208
        .size:           2
        .value_kind:     hidden_grid_dims
      - .offset:         264
        .size:           4
        .value_kind:     hidden_dynamic_lds_size
    .group_segment_fixed_size: 288
    .kernarg_segment_align: 8
    .kernarg_segment_size: 400
    .language:       OpenCL C
    .language_version:
      - 2
      - 0
    .max_flat_workgroup_size: 1024
    .name:           _ZN4vllm25paged_attention_v2_kernelI14__hip_bfloat16hLi128ELi32ELi128ELNS_18Fp8KVCacheDataTypeE1ELb1ELi512EEEvPfS3_PT_PKS4_PKT0_SA_ifPKiSC_iPKfiiiSE_SE_iiiii
    .private_segment_fixed_size: 1008
    .sgpr_count:     50
    .sgpr_spill_count: 0
    .symbol:         _ZN4vllm25paged_attention_v2_kernelI14__hip_bfloat16hLi128ELi32ELi128ELNS_18Fp8KVCacheDataTypeE1ELb1ELi512EEEvPfS3_PT_PKS4_PKT0_SA_ifPKiSC_iPKfiiiSE_SE_iiiii.kd
    .uniform_work_group_size: 1
    .uses_dynamic_stack: false
    .vgpr_count:     128
    .vgpr_spill_count: 0
    .wavefront_size: 32
    .workgroup_processor_mode: 1
  - .args:
      - .address_space:  global
        .offset:         0
        .size:           8
        .value_kind:     global_buffer
      - .address_space:  global
        .offset:         8
        .size:           8
        .value_kind:     global_buffer
      - .address_space:  global
        .offset:         16
        .size:           8
        .value_kind:     global_buffer
      - .address_space:  global
        .offset:         24
        .size:           8
        .value_kind:     global_buffer
      - .address_space:  global
        .offset:         32
        .size:           8
        .value_kind:     global_buffer
      - .address_space:  global
        .offset:         40
        .size:           8
        .value_kind:     global_buffer
      - .offset:         48
        .size:           4
        .value_kind:     by_value
      - .offset:         52
        .size:           4
        .value_kind:     by_value
      - .address_space:  global
        .offset:         56
        .size:           8
        .value_kind:     global_buffer
      - .address_space:  global
        .offset:         64
        .size:           8
        .value_kind:     global_buffer
      - .offset:         72
        .size:           4
        .value_kind:     by_value
      - .address_space:  global
        .offset:         80
        .size:           8
        .value_kind:     global_buffer
      - .offset:         88
        .size:           4
        .value_kind:     by_value
      - .offset:         92
        .size:           4
        .value_kind:     by_value
      - .offset:         96
        .size:           4
        .value_kind:     by_value
      - .address_space:  global
        .offset:         104
        .size:           8
        .value_kind:     global_buffer
      - .address_space:  global
        .offset:         112
        .size:           8
        .value_kind:     global_buffer
      - .offset:         120
        .size:           4
        .value_kind:     by_value
      - .offset:         124
        .size:           4
        .value_kind:     by_value
      - .offset:         128
        .size:           4
        .value_kind:     by_value
      - .offset:         132
        .size:           4
        .value_kind:     by_value
      - .offset:         136
        .size:           4
        .value_kind:     by_value
      - .offset:         144
        .size:           4
        .value_kind:     hidden_block_count_x
      - .offset:         148
        .size:           4
        .value_kind:     hidden_block_count_y
      - .offset:         152
        .size:           4
        .value_kind:     hidden_block_count_z
      - .offset:         156
        .size:           2
        .value_kind:     hidden_group_size_x
      - .offset:         158
        .size:           2
        .value_kind:     hidden_group_size_y
      - .offset:         160
        .size:           2
        .value_kind:     hidden_group_size_z
      - .offset:         162
        .size:           2
        .value_kind:     hidden_remainder_x
      - .offset:         164
        .size:           2
        .value_kind:     hidden_remainder_y
      - .offset:         166
        .size:           2
        .value_kind:     hidden_remainder_z
      - .offset:         184
        .size:           8
        .value_kind:     hidden_global_offset_x
      - .offset:         192
        .size:           8
        .value_kind:     hidden_global_offset_y
      - .offset:         200
        .size:           8
        .value_kind:     hidden_global_offset_z
      - .offset:         208
        .size:           2
        .value_kind:     hidden_grid_dims
      - .offset:         264
        .size:           4
        .value_kind:     hidden_dynamic_lds_size
    .group_segment_fixed_size: 416
    .kernarg_segment_align: 8
    .kernarg_segment_size: 400
    .language:       OpenCL C
    .language_version:
      - 2
      - 0
    .max_flat_workgroup_size: 1024
    .name:           _ZN4vllm25paged_attention_v2_kernelI14__hip_bfloat16hLi192ELi32ELi128ELNS_18Fp8KVCacheDataTypeE1ELb1ELi512EEEvPfS3_PT_PKS4_PKT0_SA_ifPKiSC_iPKfiiiSE_SE_iiiii
    .private_segment_fixed_size: 1756
    .sgpr_count:     50
    .sgpr_spill_count: 0
    .symbol:         _ZN4vllm25paged_attention_v2_kernelI14__hip_bfloat16hLi192ELi32ELi128ELNS_18Fp8KVCacheDataTypeE1ELb1ELi512EEEvPfS3_PT_PKS4_PKT0_SA_ifPKiSC_iPKfiiiSE_SE_iiiii.kd
    .uniform_work_group_size: 1
    .uses_dynamic_stack: false
    .vgpr_count:     128
    .vgpr_spill_count: 0
    .wavefront_size: 32
    .workgroup_processor_mode: 1
  - .args:
      - .address_space:  global
        .offset:         0
        .size:           8
        .value_kind:     global_buffer
      - .address_space:  global
        .offset:         8
        .size:           8
        .value_kind:     global_buffer
      - .address_space:  global
        .offset:         16
        .size:           8
        .value_kind:     global_buffer
      - .address_space:  global
        .offset:         24
        .size:           8
        .value_kind:     global_buffer
      - .address_space:  global
        .offset:         32
        .size:           8
        .value_kind:     global_buffer
      - .address_space:  global
        .offset:         40
        .size:           8
        .value_kind:     global_buffer
      - .offset:         48
        .size:           4
        .value_kind:     by_value
      - .offset:         52
        .size:           4
        .value_kind:     by_value
      - .address_space:  global
        .offset:         56
        .size:           8
        .value_kind:     global_buffer
      - .address_space:  global
        .offset:         64
        .size:           8
        .value_kind:     global_buffer
      - .offset:         72
        .size:           4
        .value_kind:     by_value
      - .address_space:  global
        .offset:         80
        .size:           8
        .value_kind:     global_buffer
      - .offset:         88
        .size:           4
        .value_kind:     by_value
      - .offset:         92
        .size:           4
        .value_kind:     by_value
      - .offset:         96
        .size:           4
        .value_kind:     by_value
      - .address_space:  global
        .offset:         104
        .size:           8
        .value_kind:     global_buffer
      - .address_space:  global
        .offset:         112
        .size:           8
        .value_kind:     global_buffer
      - .offset:         120
        .size:           4
        .value_kind:     by_value
      - .offset:         124
        .size:           4
        .value_kind:     by_value
      - .offset:         128
        .size:           4
        .value_kind:     by_value
      - .offset:         132
        .size:           4
        .value_kind:     by_value
      - .offset:         136
        .size:           4
        .value_kind:     by_value
      - .offset:         144
        .size:           4
        .value_kind:     hidden_block_count_x
      - .offset:         148
        .size:           4
        .value_kind:     hidden_block_count_y
      - .offset:         152
        .size:           4
        .value_kind:     hidden_block_count_z
      - .offset:         156
        .size:           2
        .value_kind:     hidden_group_size_x
      - .offset:         158
        .size:           2
        .value_kind:     hidden_group_size_y
      - .offset:         160
        .size:           2
        .value_kind:     hidden_group_size_z
      - .offset:         162
        .size:           2
        .value_kind:     hidden_remainder_x
      - .offset:         164
        .size:           2
        .value_kind:     hidden_remainder_y
      - .offset:         166
        .size:           2
        .value_kind:     hidden_remainder_z
      - .offset:         184
        .size:           8
        .value_kind:     hidden_global_offset_x
      - .offset:         192
        .size:           8
        .value_kind:     hidden_global_offset_y
      - .offset:         200
        .size:           8
        .value_kind:     hidden_global_offset_z
      - .offset:         208
        .size:           2
        .value_kind:     hidden_grid_dims
      - .offset:         264
        .size:           4
        .value_kind:     hidden_dynamic_lds_size
    .group_segment_fixed_size: 544
    .kernarg_segment_align: 8
    .kernarg_segment_size: 400
    .language:       OpenCL C
    .language_version:
      - 2
      - 0
    .max_flat_workgroup_size: 1024
    .name:           _ZN4vllm25paged_attention_v2_kernelI14__hip_bfloat16hLi256ELi32ELi128ELNS_18Fp8KVCacheDataTypeE1ELb1ELi512EEEvPfS3_PT_PKS4_PKT0_SA_ifPKiSC_iPKfiiiSE_SE_iiiii
    .private_segment_fixed_size: 2416
    .sgpr_count:     50
    .sgpr_spill_count: 0
    .symbol:         _ZN4vllm25paged_attention_v2_kernelI14__hip_bfloat16hLi256ELi32ELi128ELNS_18Fp8KVCacheDataTypeE1ELb1ELi512EEEvPfS3_PT_PKS4_PKT0_SA_ifPKiSC_iPKfiiiSE_SE_iiiii.kd
    .uniform_work_group_size: 1
    .uses_dynamic_stack: false
    .vgpr_count:     128
    .vgpr_spill_count: 0
    .wavefront_size: 32
    .workgroup_processor_mode: 1
  - .args:
      - .actual_access:  write_only
        .address_space:  global
        .offset:         0
        .size:           8
        .value_kind:     global_buffer
      - .actual_access:  write_only
        .address_space:  global
        .offset:         8
        .size:           8
        .value_kind:     global_buffer
      - .actual_access:  write_only
        .address_space:  global
        .offset:         16
        .size:           8
        .value_kind:     global_buffer
      - .actual_access:  read_only
        .address_space:  global
        .offset:         24
        .size:           8
        .value_kind:     global_buffer
      - .actual_access:  read_only
        .address_space:  global
        .offset:         32
        .size:           8
        .value_kind:     global_buffer
      - .actual_access:  read_only
        .address_space:  global
        .offset:         40
        .size:           8
        .value_kind:     global_buffer
      - .offset:         48
        .size:           4
        .value_kind:     by_value
      - .offset:         52
        .size:           4
        .value_kind:     by_value
      - .actual_access:  read_only
        .address_space:  global
        .offset:         56
        .size:           8
        .value_kind:     global_buffer
      - .actual_access:  read_only
        .address_space:  global
        .offset:         64
        .size:           8
        .value_kind:     global_buffer
      - .offset:         72
        .size:           4
        .value_kind:     by_value
      - .actual_access:  read_only
        .address_space:  global
        .offset:         80
        .size:           8
        .value_kind:     global_buffer
      - .offset:         88
        .size:           4
        .value_kind:     by_value
      - .offset:         92
        .size:           4
        .value_kind:     by_value
      - .offset:         96
        .size:           4
        .value_kind:     by_value
      - .address_space:  global
        .offset:         104
        .size:           8
        .value_kind:     global_buffer
      - .address_space:  global
        .offset:         112
        .size:           8
        .value_kind:     global_buffer
      - .offset:         120
        .size:           4
        .value_kind:     by_value
      - .offset:         124
        .size:           4
        .value_kind:     by_value
      - .offset:         128
        .size:           4
        .value_kind:     by_value
      - .offset:         132
        .size:           4
        .value_kind:     by_value
      - .offset:         136
        .size:           4
        .value_kind:     by_value
      - .offset:         144
        .size:           4
        .value_kind:     hidden_block_count_x
      - .offset:         148
        .size:           4
        .value_kind:     hidden_block_count_y
      - .offset:         152
        .size:           4
        .value_kind:     hidden_block_count_z
      - .offset:         156
        .size:           2
        .value_kind:     hidden_group_size_x
      - .offset:         158
        .size:           2
        .value_kind:     hidden_group_size_y
      - .offset:         160
        .size:           2
        .value_kind:     hidden_group_size_z
      - .offset:         162
        .size:           2
        .value_kind:     hidden_remainder_x
      - .offset:         164
        .size:           2
        .value_kind:     hidden_remainder_y
      - .offset:         166
        .size:           2
        .value_kind:     hidden_remainder_z
      - .offset:         184
        .size:           8
        .value_kind:     hidden_global_offset_x
      - .offset:         192
        .size:           8
        .value_kind:     hidden_global_offset_y
      - .offset:         200
        .size:           8
        .value_kind:     hidden_global_offset_z
      - .offset:         208
        .size:           2
        .value_kind:     hidden_grid_dims
      - .offset:         264
        .size:           4
        .value_kind:     hidden_dynamic_lds_size
    .group_segment_fixed_size: 96
    .kernarg_segment_align: 8
    .kernarg_segment_size: 400
    .language:       OpenCL C
    .language_version:
      - 2
      - 0
    .max_flat_workgroup_size: 1024
    .name:           _ZN4vllm25paged_attention_v2_kernelI14__hip_bfloat16hLi32ELi32ELi128ELNS_18Fp8KVCacheDataTypeE1ELb0ELi512EEEvPfS3_PT_PKS4_PKT0_SA_ifPKiSC_iPKfiiiSE_SE_iiiii
    .private_segment_fixed_size: 0
    .sgpr_count:     45
    .sgpr_spill_count: 0
    .symbol:         _ZN4vllm25paged_attention_v2_kernelI14__hip_bfloat16hLi32ELi32ELi128ELNS_18Fp8KVCacheDataTypeE1ELb0ELi512EEEvPfS3_PT_PKS4_PKT0_SA_ifPKiSC_iPKfiiiSE_SE_iiiii.kd
    .uniform_work_group_size: 1
    .uses_dynamic_stack: false
    .vgpr_count:     91
    .vgpr_spill_count: 0
    .wavefront_size: 32
    .workgroup_processor_mode: 1
  - .args:
      - .actual_access:  write_only
        .address_space:  global
        .offset:         0
        .size:           8
        .value_kind:     global_buffer
      - .actual_access:  write_only
        .address_space:  global
        .offset:         8
        .size:           8
        .value_kind:     global_buffer
      - .actual_access:  write_only
        .address_space:  global
        .offset:         16
        .size:           8
        .value_kind:     global_buffer
      - .actual_access:  read_only
        .address_space:  global
        .offset:         24
        .size:           8
        .value_kind:     global_buffer
      - .actual_access:  read_only
        .address_space:  global
        .offset:         32
        .size:           8
        .value_kind:     global_buffer
      - .actual_access:  read_only
        .address_space:  global
        .offset:         40
        .size:           8
        .value_kind:     global_buffer
      - .offset:         48
        .size:           4
        .value_kind:     by_value
      - .offset:         52
        .size:           4
        .value_kind:     by_value
      - .actual_access:  read_only
        .address_space:  global
        .offset:         56
        .size:           8
        .value_kind:     global_buffer
      - .actual_access:  read_only
        .address_space:  global
        .offset:         64
        .size:           8
        .value_kind:     global_buffer
      - .offset:         72
        .size:           4
        .value_kind:     by_value
      - .actual_access:  read_only
        .address_space:  global
        .offset:         80
        .size:           8
        .value_kind:     global_buffer
      - .offset:         88
        .size:           4
        .value_kind:     by_value
      - .offset:         92
        .size:           4
        .value_kind:     by_value
      - .offset:         96
        .size:           4
        .value_kind:     by_value
      - .address_space:  global
        .offset:         104
        .size:           8
        .value_kind:     global_buffer
      - .address_space:  global
        .offset:         112
        .size:           8
        .value_kind:     global_buffer
      - .offset:         120
        .size:           4
        .value_kind:     by_value
      - .offset:         124
        .size:           4
        .value_kind:     by_value
      - .offset:         128
        .size:           4
        .value_kind:     by_value
      - .offset:         132
        .size:           4
        .value_kind:     by_value
      - .offset:         136
        .size:           4
        .value_kind:     by_value
      - .offset:         144
        .size:           4
        .value_kind:     hidden_block_count_x
      - .offset:         148
        .size:           4
        .value_kind:     hidden_block_count_y
      - .offset:         152
        .size:           4
        .value_kind:     hidden_block_count_z
      - .offset:         156
        .size:           2
        .value_kind:     hidden_group_size_x
      - .offset:         158
        .size:           2
        .value_kind:     hidden_group_size_y
      - .offset:         160
        .size:           2
        .value_kind:     hidden_group_size_z
      - .offset:         162
        .size:           2
        .value_kind:     hidden_remainder_x
      - .offset:         164
        .size:           2
        .value_kind:     hidden_remainder_y
      - .offset:         166
        .size:           2
        .value_kind:     hidden_remainder_z
      - .offset:         184
        .size:           8
        .value_kind:     hidden_global_offset_x
      - .offset:         192
        .size:           8
        .value_kind:     hidden_global_offset_y
      - .offset:         200
        .size:           8
        .value_kind:     hidden_global_offset_z
      - .offset:         208
        .size:           2
        .value_kind:     hidden_grid_dims
      - .offset:         264
        .size:           4
        .value_kind:     hidden_dynamic_lds_size
    .group_segment_fixed_size: 160
    .kernarg_segment_align: 8
    .kernarg_segment_size: 400
    .language:       OpenCL C
    .language_version:
      - 2
      - 0
    .max_flat_workgroup_size: 1024
    .name:           _ZN4vllm25paged_attention_v2_kernelI14__hip_bfloat16hLi64ELi32ELi128ELNS_18Fp8KVCacheDataTypeE1ELb0ELi512EEEvPfS3_PT_PKS4_PKT0_SA_ifPKiSC_iPKfiiiSE_SE_iiiii
    .private_segment_fixed_size: 108
    .sgpr_count:     50
    .sgpr_spill_count: 0
    .symbol:         _ZN4vllm25paged_attention_v2_kernelI14__hip_bfloat16hLi64ELi32ELi128ELNS_18Fp8KVCacheDataTypeE1ELb0ELi512EEEvPfS3_PT_PKS4_PKT0_SA_ifPKiSC_iPKfiiiSE_SE_iiiii.kd
    .uniform_work_group_size: 1
    .uses_dynamic_stack: false
    .vgpr_count:     128
    .vgpr_spill_count: 26
    .wavefront_size: 32
    .workgroup_processor_mode: 1
  - .args:
      - .actual_access:  write_only
        .address_space:  global
        .offset:         0
        .size:           8
        .value_kind:     global_buffer
      - .actual_access:  write_only
        .address_space:  global
        .offset:         8
        .size:           8
        .value_kind:     global_buffer
      - .actual_access:  write_only
        .address_space:  global
        .offset:         16
        .size:           8
        .value_kind:     global_buffer
      - .actual_access:  read_only
        .address_space:  global
        .offset:         24
        .size:           8
        .value_kind:     global_buffer
      - .actual_access:  read_only
        .address_space:  global
        .offset:         32
        .size:           8
        .value_kind:     global_buffer
      - .actual_access:  read_only
        .address_space:  global
        .offset:         40
        .size:           8
        .value_kind:     global_buffer
      - .offset:         48
        .size:           4
        .value_kind:     by_value
      - .offset:         52
        .size:           4
        .value_kind:     by_value
      - .actual_access:  read_only
        .address_space:  global
        .offset:         56
        .size:           8
        .value_kind:     global_buffer
      - .actual_access:  read_only
        .address_space:  global
        .offset:         64
        .size:           8
        .value_kind:     global_buffer
      - .offset:         72
        .size:           4
        .value_kind:     by_value
      - .actual_access:  read_only
        .address_space:  global
        .offset:         80
        .size:           8
        .value_kind:     global_buffer
      - .offset:         88
        .size:           4
        .value_kind:     by_value
      - .offset:         92
        .size:           4
        .value_kind:     by_value
      - .offset:         96
        .size:           4
        .value_kind:     by_value
      - .address_space:  global
        .offset:         104
        .size:           8
        .value_kind:     global_buffer
      - .address_space:  global
        .offset:         112
        .size:           8
        .value_kind:     global_buffer
      - .offset:         120
        .size:           4
        .value_kind:     by_value
      - .offset:         124
        .size:           4
        .value_kind:     by_value
      - .offset:         128
        .size:           4
        .value_kind:     by_value
      - .offset:         132
        .size:           4
        .value_kind:     by_value
      - .offset:         136
        .size:           4
        .value_kind:     by_value
      - .offset:         144
        .size:           4
        .value_kind:     hidden_block_count_x
      - .offset:         148
        .size:           4
        .value_kind:     hidden_block_count_y
      - .offset:         152
        .size:           4
        .value_kind:     hidden_block_count_z
      - .offset:         156
        .size:           2
        .value_kind:     hidden_group_size_x
      - .offset:         158
        .size:           2
        .value_kind:     hidden_group_size_y
      - .offset:         160
        .size:           2
        .value_kind:     hidden_group_size_z
      - .offset:         162
        .size:           2
        .value_kind:     hidden_remainder_x
      - .offset:         164
        .size:           2
        .value_kind:     hidden_remainder_y
      - .offset:         166
        .size:           2
        .value_kind:     hidden_remainder_z
      - .offset:         184
        .size:           8
        .value_kind:     hidden_global_offset_x
      - .offset:         192
        .size:           8
        .value_kind:     hidden_global_offset_y
      - .offset:         200
        .size:           8
        .value_kind:     hidden_global_offset_z
      - .offset:         208
        .size:           2
        .value_kind:     hidden_grid_dims
      - .offset:         264
        .size:           4
        .value_kind:     hidden_dynamic_lds_size
    .group_segment_fixed_size: 192
    .kernarg_segment_align: 8
    .kernarg_segment_size: 400
    .language:       OpenCL C
    .language_version:
      - 2
      - 0
    .max_flat_workgroup_size: 1024
    .name:           _ZN4vllm25paged_attention_v2_kernelI14__hip_bfloat16hLi80ELi32ELi128ELNS_18Fp8KVCacheDataTypeE1ELb0ELi512EEEvPfS3_PT_PKS4_PKT0_SA_ifPKiSC_iPKfiiiSE_SE_iiiii
    .private_segment_fixed_size: 244
    .sgpr_count:     50
    .sgpr_spill_count: 0
    .symbol:         _ZN4vllm25paged_attention_v2_kernelI14__hip_bfloat16hLi80ELi32ELi128ELNS_18Fp8KVCacheDataTypeE1ELb0ELi512EEEvPfS3_PT_PKS4_PKT0_SA_ifPKiSC_iPKfiiiSE_SE_iiiii.kd
    .uniform_work_group_size: 1
    .uses_dynamic_stack: false
    .vgpr_count:     128
    .vgpr_spill_count: 60
    .wavefront_size: 32
    .workgroup_processor_mode: 1
  - .args:
      - .address_space:  global
        .offset:         0
        .size:           8
        .value_kind:     global_buffer
      - .address_space:  global
        .offset:         8
        .size:           8
        .value_kind:     global_buffer
      - .address_space:  global
        .offset:         16
        .size:           8
        .value_kind:     global_buffer
      - .address_space:  global
        .offset:         24
        .size:           8
        .value_kind:     global_buffer
      - .address_space:  global
        .offset:         32
        .size:           8
        .value_kind:     global_buffer
      - .address_space:  global
        .offset:         40
        .size:           8
        .value_kind:     global_buffer
      - .offset:         48
        .size:           4
        .value_kind:     by_value
      - .offset:         52
        .size:           4
        .value_kind:     by_value
      - .address_space:  global
        .offset:         56
        .size:           8
        .value_kind:     global_buffer
      - .address_space:  global
        .offset:         64
        .size:           8
        .value_kind:     global_buffer
      - .offset:         72
        .size:           4
        .value_kind:     by_value
      - .address_space:  global
        .offset:         80
        .size:           8
        .value_kind:     global_buffer
      - .offset:         88
        .size:           4
        .value_kind:     by_value
      - .offset:         92
        .size:           4
        .value_kind:     by_value
      - .offset:         96
        .size:           4
        .value_kind:     by_value
      - .address_space:  global
        .offset:         104
        .size:           8
        .value_kind:     global_buffer
      - .address_space:  global
        .offset:         112
        .size:           8
        .value_kind:     global_buffer
      - .offset:         120
        .size:           4
        .value_kind:     by_value
      - .offset:         124
        .size:           4
        .value_kind:     by_value
      - .offset:         128
        .size:           4
        .value_kind:     by_value
      - .offset:         132
        .size:           4
        .value_kind:     by_value
      - .offset:         136
        .size:           4
        .value_kind:     by_value
      - .offset:         144
        .size:           4
        .value_kind:     hidden_block_count_x
      - .offset:         148
        .size:           4
        .value_kind:     hidden_block_count_y
      - .offset:         152
        .size:           4
        .value_kind:     hidden_block_count_z
      - .offset:         156
        .size:           2
        .value_kind:     hidden_group_size_x
      - .offset:         158
        .size:           2
        .value_kind:     hidden_group_size_y
      - .offset:         160
        .size:           2
        .value_kind:     hidden_group_size_z
      - .offset:         162
        .size:           2
        .value_kind:     hidden_remainder_x
      - .offset:         164
        .size:           2
        .value_kind:     hidden_remainder_y
      - .offset:         166
        .size:           2
        .value_kind:     hidden_remainder_z
      - .offset:         184
        .size:           8
        .value_kind:     hidden_global_offset_x
      - .offset:         192
        .size:           8
        .value_kind:     hidden_global_offset_y
      - .offset:         200
        .size:           8
        .value_kind:     hidden_global_offset_z
      - .offset:         208
        .size:           2
        .value_kind:     hidden_grid_dims
      - .offset:         264
        .size:           4
        .value_kind:     hidden_dynamic_lds_size
    .group_segment_fixed_size: 224
    .kernarg_segment_align: 8
    .kernarg_segment_size: 400
    .language:       OpenCL C
    .language_version:
      - 2
      - 0
    .max_flat_workgroup_size: 1024
    .name:           _ZN4vllm25paged_attention_v2_kernelI14__hip_bfloat16hLi96ELi32ELi128ELNS_18Fp8KVCacheDataTypeE1ELb0ELi512EEEvPfS3_PT_PKS4_PKT0_SA_ifPKiSC_iPKfiiiSE_SE_iiiii
    .private_segment_fixed_size: 660
    .sgpr_count:     46
    .sgpr_spill_count: 0
    .symbol:         _ZN4vllm25paged_attention_v2_kernelI14__hip_bfloat16hLi96ELi32ELi128ELNS_18Fp8KVCacheDataTypeE1ELb0ELi512EEEvPfS3_PT_PKS4_PKT0_SA_ifPKiSC_iPKfiiiSE_SE_iiiii.kd
    .uniform_work_group_size: 1
    .uses_dynamic_stack: false
    .vgpr_count:     128
    .vgpr_spill_count: 0
    .wavefront_size: 32
    .workgroup_processor_mode: 1
  - .args:
      - .address_space:  global
        .offset:         0
        .size:           8
        .value_kind:     global_buffer
      - .address_space:  global
        .offset:         8
        .size:           8
        .value_kind:     global_buffer
      - .address_space:  global
        .offset:         16
        .size:           8
        .value_kind:     global_buffer
      - .address_space:  global
        .offset:         24
        .size:           8
        .value_kind:     global_buffer
      - .address_space:  global
        .offset:         32
        .size:           8
        .value_kind:     global_buffer
      - .address_space:  global
        .offset:         40
        .size:           8
        .value_kind:     global_buffer
      - .offset:         48
        .size:           4
        .value_kind:     by_value
      - .offset:         52
        .size:           4
        .value_kind:     by_value
      - .address_space:  global
        .offset:         56
        .size:           8
        .value_kind:     global_buffer
      - .address_space:  global
        .offset:         64
        .size:           8
        .value_kind:     global_buffer
      - .offset:         72
        .size:           4
        .value_kind:     by_value
      - .address_space:  global
        .offset:         80
        .size:           8
        .value_kind:     global_buffer
      - .offset:         88
        .size:           4
        .value_kind:     by_value
      - .offset:         92
        .size:           4
        .value_kind:     by_value
      - .offset:         96
        .size:           4
        .value_kind:     by_value
      - .address_space:  global
        .offset:         104
        .size:           8
        .value_kind:     global_buffer
      - .address_space:  global
        .offset:         112
        .size:           8
        .value_kind:     global_buffer
      - .offset:         120
        .size:           4
        .value_kind:     by_value
      - .offset:         124
        .size:           4
        .value_kind:     by_value
      - .offset:         128
        .size:           4
        .value_kind:     by_value
      - .offset:         132
        .size:           4
        .value_kind:     by_value
      - .offset:         136
        .size:           4
        .value_kind:     by_value
      - .offset:         144
        .size:           4
        .value_kind:     hidden_block_count_x
      - .offset:         148
        .size:           4
        .value_kind:     hidden_block_count_y
      - .offset:         152
        .size:           4
        .value_kind:     hidden_block_count_z
      - .offset:         156
        .size:           2
        .value_kind:     hidden_group_size_x
      - .offset:         158
        .size:           2
        .value_kind:     hidden_group_size_y
      - .offset:         160
        .size:           2
        .value_kind:     hidden_group_size_z
      - .offset:         162
        .size:           2
        .value_kind:     hidden_remainder_x
      - .offset:         164
        .size:           2
        .value_kind:     hidden_remainder_y
      - .offset:         166
        .size:           2
        .value_kind:     hidden_remainder_z
      - .offset:         184
        .size:           8
        .value_kind:     hidden_global_offset_x
      - .offset:         192
        .size:           8
        .value_kind:     hidden_global_offset_y
      - .offset:         200
        .size:           8
        .value_kind:     hidden_global_offset_z
      - .offset:         208
        .size:           2
        .value_kind:     hidden_grid_dims
      - .offset:         264
        .size:           4
        .value_kind:     hidden_dynamic_lds_size
    .group_segment_fixed_size: 256
    .kernarg_segment_align: 8
    .kernarg_segment_size: 400
    .language:       OpenCL C
    .language_version:
      - 2
      - 0
    .max_flat_workgroup_size: 1024
    .name:           _ZN4vllm25paged_attention_v2_kernelI14__hip_bfloat16hLi112ELi32ELi128ELNS_18Fp8KVCacheDataTypeE1ELb0ELi512EEEvPfS3_PT_PKS4_PKT0_SA_ifPKiSC_iPKfiiiSE_SE_iiiii
    .private_segment_fixed_size: 784
    .sgpr_count:     46
    .sgpr_spill_count: 0
    .symbol:         _ZN4vllm25paged_attention_v2_kernelI14__hip_bfloat16hLi112ELi32ELi128ELNS_18Fp8KVCacheDataTypeE1ELb0ELi512EEEvPfS3_PT_PKS4_PKT0_SA_ifPKiSC_iPKfiiiSE_SE_iiiii.kd
    .uniform_work_group_size: 1
    .uses_dynamic_stack: false
    .vgpr_count:     128
    .vgpr_spill_count: 0
    .wavefront_size: 32
    .workgroup_processor_mode: 1
  - .args:
      - .address_space:  global
        .offset:         0
        .size:           8
        .value_kind:     global_buffer
      - .address_space:  global
        .offset:         8
        .size:           8
        .value_kind:     global_buffer
      - .address_space:  global
        .offset:         16
        .size:           8
        .value_kind:     global_buffer
      - .address_space:  global
        .offset:         24
        .size:           8
        .value_kind:     global_buffer
      - .address_space:  global
        .offset:         32
        .size:           8
        .value_kind:     global_buffer
      - .address_space:  global
        .offset:         40
        .size:           8
        .value_kind:     global_buffer
      - .offset:         48
        .size:           4
        .value_kind:     by_value
      - .offset:         52
        .size:           4
        .value_kind:     by_value
      - .address_space:  global
        .offset:         56
        .size:           8
        .value_kind:     global_buffer
      - .address_space:  global
        .offset:         64
        .size:           8
        .value_kind:     global_buffer
      - .offset:         72
        .size:           4
        .value_kind:     by_value
      - .address_space:  global
        .offset:         80
        .size:           8
        .value_kind:     global_buffer
      - .offset:         88
        .size:           4
        .value_kind:     by_value
      - .offset:         92
        .size:           4
        .value_kind:     by_value
      - .offset:         96
        .size:           4
        .value_kind:     by_value
      - .address_space:  global
        .offset:         104
        .size:           8
        .value_kind:     global_buffer
      - .address_space:  global
        .offset:         112
        .size:           8
        .value_kind:     global_buffer
      - .offset:         120
        .size:           4
        .value_kind:     by_value
      - .offset:         124
        .size:           4
        .value_kind:     by_value
      - .offset:         128
        .size:           4
        .value_kind:     by_value
      - .offset:         132
        .size:           4
        .value_kind:     by_value
      - .offset:         136
        .size:           4
        .value_kind:     by_value
      - .offset:         144
        .size:           4
        .value_kind:     hidden_block_count_x
      - .offset:         148
        .size:           4
        .value_kind:     hidden_block_count_y
      - .offset:         152
        .size:           4
        .value_kind:     hidden_block_count_z
      - .offset:         156
        .size:           2
        .value_kind:     hidden_group_size_x
      - .offset:         158
        .size:           2
        .value_kind:     hidden_group_size_y
      - .offset:         160
        .size:           2
        .value_kind:     hidden_group_size_z
      - .offset:         162
        .size:           2
        .value_kind:     hidden_remainder_x
      - .offset:         164
        .size:           2
        .value_kind:     hidden_remainder_y
      - .offset:         166
        .size:           2
        .value_kind:     hidden_remainder_z
      - .offset:         184
        .size:           8
        .value_kind:     hidden_global_offset_x
      - .offset:         192
        .size:           8
        .value_kind:     hidden_global_offset_y
      - .offset:         200
        .size:           8
        .value_kind:     hidden_global_offset_z
      - .offset:         208
        .size:           2
        .value_kind:     hidden_grid_dims
      - .offset:         264
        .size:           4
        .value_kind:     hidden_dynamic_lds_size
    .group_segment_fixed_size: 272
    .kernarg_segment_align: 8
    .kernarg_segment_size: 400
    .language:       OpenCL C
    .language_version:
      - 2
      - 0
    .max_flat_workgroup_size: 1024
    .name:           _ZN4vllm25paged_attention_v2_kernelI14__hip_bfloat16hLi120ELi32ELi128ELNS_18Fp8KVCacheDataTypeE1ELb0ELi512EEEvPfS3_PT_PKS4_PKT0_SA_ifPKiSC_iPKfiiiSE_SE_iiiii
    .private_segment_fixed_size: 844
    .sgpr_count:     46
    .sgpr_spill_count: 0
    .symbol:         _ZN4vllm25paged_attention_v2_kernelI14__hip_bfloat16hLi120ELi32ELi128ELNS_18Fp8KVCacheDataTypeE1ELb0ELi512EEEvPfS3_PT_PKS4_PKT0_SA_ifPKiSC_iPKfiiiSE_SE_iiiii.kd
    .uniform_work_group_size: 1
    .uses_dynamic_stack: false
    .vgpr_count:     128
    .vgpr_spill_count: 0
    .wavefront_size: 32
    .workgroup_processor_mode: 1
  - .args:
      - .address_space:  global
        .offset:         0
        .size:           8
        .value_kind:     global_buffer
      - .address_space:  global
        .offset:         8
        .size:           8
        .value_kind:     global_buffer
      - .address_space:  global
        .offset:         16
        .size:           8
        .value_kind:     global_buffer
      - .address_space:  global
        .offset:         24
        .size:           8
        .value_kind:     global_buffer
      - .address_space:  global
        .offset:         32
        .size:           8
        .value_kind:     global_buffer
      - .address_space:  global
        .offset:         40
        .size:           8
        .value_kind:     global_buffer
      - .offset:         48
        .size:           4
        .value_kind:     by_value
      - .offset:         52
        .size:           4
        .value_kind:     by_value
      - .address_space:  global
        .offset:         56
        .size:           8
        .value_kind:     global_buffer
      - .address_space:  global
        .offset:         64
        .size:           8
        .value_kind:     global_buffer
      - .offset:         72
        .size:           4
        .value_kind:     by_value
      - .address_space:  global
        .offset:         80
        .size:           8
        .value_kind:     global_buffer
      - .offset:         88
        .size:           4
        .value_kind:     by_value
      - .offset:         92
        .size:           4
        .value_kind:     by_value
      - .offset:         96
        .size:           4
        .value_kind:     by_value
      - .address_space:  global
        .offset:         104
        .size:           8
        .value_kind:     global_buffer
      - .address_space:  global
        .offset:         112
        .size:           8
        .value_kind:     global_buffer
      - .offset:         120
        .size:           4
        .value_kind:     by_value
      - .offset:         124
        .size:           4
        .value_kind:     by_value
      - .offset:         128
        .size:           4
        .value_kind:     by_value
      - .offset:         132
        .size:           4
        .value_kind:     by_value
      - .offset:         136
        .size:           4
        .value_kind:     by_value
      - .offset:         144
        .size:           4
        .value_kind:     hidden_block_count_x
      - .offset:         148
        .size:           4
        .value_kind:     hidden_block_count_y
      - .offset:         152
        .size:           4
        .value_kind:     hidden_block_count_z
      - .offset:         156
        .size:           2
        .value_kind:     hidden_group_size_x
      - .offset:         158
        .size:           2
        .value_kind:     hidden_group_size_y
      - .offset:         160
        .size:           2
        .value_kind:     hidden_group_size_z
      - .offset:         162
        .size:           2
        .value_kind:     hidden_remainder_x
      - .offset:         164
        .size:           2
        .value_kind:     hidden_remainder_y
      - .offset:         166
        .size:           2
        .value_kind:     hidden_remainder_z
      - .offset:         184
        .size:           8
        .value_kind:     hidden_global_offset_x
      - .offset:         192
        .size:           8
        .value_kind:     hidden_global_offset_y
      - .offset:         200
        .size:           8
        .value_kind:     hidden_global_offset_z
      - .offset:         208
        .size:           2
        .value_kind:     hidden_grid_dims
      - .offset:         264
        .size:           4
        .value_kind:     hidden_dynamic_lds_size
    .group_segment_fixed_size: 288
    .kernarg_segment_align: 8
    .kernarg_segment_size: 400
    .language:       OpenCL C
    .language_version:
      - 2
      - 0
    .max_flat_workgroup_size: 1024
    .name:           _ZN4vllm25paged_attention_v2_kernelI14__hip_bfloat16hLi128ELi32ELi128ELNS_18Fp8KVCacheDataTypeE1ELb0ELi512EEEvPfS3_PT_PKS4_PKT0_SA_ifPKiSC_iPKfiiiSE_SE_iiiii
    .private_segment_fixed_size: 944
    .sgpr_count:     46
    .sgpr_spill_count: 0
    .symbol:         _ZN4vllm25paged_attention_v2_kernelI14__hip_bfloat16hLi128ELi32ELi128ELNS_18Fp8KVCacheDataTypeE1ELb0ELi512EEEvPfS3_PT_PKS4_PKT0_SA_ifPKiSC_iPKfiiiSE_SE_iiiii.kd
    .uniform_work_group_size: 1
    .uses_dynamic_stack: false
    .vgpr_count:     128
    .vgpr_spill_count: 0
    .wavefront_size: 32
    .workgroup_processor_mode: 1
  - .args:
      - .address_space:  global
        .offset:         0
        .size:           8
        .value_kind:     global_buffer
      - .address_space:  global
        .offset:         8
        .size:           8
        .value_kind:     global_buffer
      - .address_space:  global
        .offset:         16
        .size:           8
        .value_kind:     global_buffer
      - .address_space:  global
        .offset:         24
        .size:           8
        .value_kind:     global_buffer
      - .address_space:  global
        .offset:         32
        .size:           8
        .value_kind:     global_buffer
      - .address_space:  global
        .offset:         40
        .size:           8
        .value_kind:     global_buffer
      - .offset:         48
        .size:           4
        .value_kind:     by_value
      - .offset:         52
        .size:           4
        .value_kind:     by_value
      - .address_space:  global
        .offset:         56
        .size:           8
        .value_kind:     global_buffer
      - .address_space:  global
        .offset:         64
        .size:           8
        .value_kind:     global_buffer
      - .offset:         72
        .size:           4
        .value_kind:     by_value
      - .address_space:  global
        .offset:         80
        .size:           8
        .value_kind:     global_buffer
      - .offset:         88
        .size:           4
        .value_kind:     by_value
      - .offset:         92
        .size:           4
        .value_kind:     by_value
      - .offset:         96
        .size:           4
        .value_kind:     by_value
      - .address_space:  global
        .offset:         104
        .size:           8
        .value_kind:     global_buffer
      - .address_space:  global
        .offset:         112
        .size:           8
        .value_kind:     global_buffer
      - .offset:         120
        .size:           4
        .value_kind:     by_value
      - .offset:         124
        .size:           4
        .value_kind:     by_value
      - .offset:         128
        .size:           4
        .value_kind:     by_value
      - .offset:         132
        .size:           4
        .value_kind:     by_value
      - .offset:         136
        .size:           4
        .value_kind:     by_value
      - .offset:         144
        .size:           4
        .value_kind:     hidden_block_count_x
      - .offset:         148
        .size:           4
        .value_kind:     hidden_block_count_y
      - .offset:         152
        .size:           4
        .value_kind:     hidden_block_count_z
      - .offset:         156
        .size:           2
        .value_kind:     hidden_group_size_x
      - .offset:         158
        .size:           2
        .value_kind:     hidden_group_size_y
      - .offset:         160
        .size:           2
        .value_kind:     hidden_group_size_z
      - .offset:         162
        .size:           2
        .value_kind:     hidden_remainder_x
      - .offset:         164
        .size:           2
        .value_kind:     hidden_remainder_y
      - .offset:         166
        .size:           2
        .value_kind:     hidden_remainder_z
      - .offset:         184
        .size:           8
        .value_kind:     hidden_global_offset_x
      - .offset:         192
        .size:           8
        .value_kind:     hidden_global_offset_y
      - .offset:         200
        .size:           8
        .value_kind:     hidden_global_offset_z
      - .offset:         208
        .size:           2
        .value_kind:     hidden_grid_dims
      - .offset:         264
        .size:           4
        .value_kind:     hidden_dynamic_lds_size
    .group_segment_fixed_size: 416
    .kernarg_segment_align: 8
    .kernarg_segment_size: 400
    .language:       OpenCL C
    .language_version:
      - 2
      - 0
    .max_flat_workgroup_size: 1024
    .name:           _ZN4vllm25paged_attention_v2_kernelI14__hip_bfloat16hLi192ELi32ELi128ELNS_18Fp8KVCacheDataTypeE1ELb0ELi512EEEvPfS3_PT_PKS4_PKT0_SA_ifPKiSC_iPKfiiiSE_SE_iiiii
    .private_segment_fixed_size: 1708
    .sgpr_count:     46
    .sgpr_spill_count: 0
    .symbol:         _ZN4vllm25paged_attention_v2_kernelI14__hip_bfloat16hLi192ELi32ELi128ELNS_18Fp8KVCacheDataTypeE1ELb0ELi512EEEvPfS3_PT_PKS4_PKT0_SA_ifPKiSC_iPKfiiiSE_SE_iiiii.kd
    .uniform_work_group_size: 1
    .uses_dynamic_stack: false
    .vgpr_count:     128
    .vgpr_spill_count: 0
    .wavefront_size: 32
    .workgroup_processor_mode: 1
  - .args:
      - .address_space:  global
        .offset:         0
        .size:           8
        .value_kind:     global_buffer
      - .address_space:  global
        .offset:         8
        .size:           8
        .value_kind:     global_buffer
      - .address_space:  global
        .offset:         16
        .size:           8
        .value_kind:     global_buffer
      - .address_space:  global
        .offset:         24
        .size:           8
        .value_kind:     global_buffer
      - .address_space:  global
        .offset:         32
        .size:           8
        .value_kind:     global_buffer
      - .address_space:  global
        .offset:         40
        .size:           8
        .value_kind:     global_buffer
      - .offset:         48
        .size:           4
        .value_kind:     by_value
      - .offset:         52
        .size:           4
        .value_kind:     by_value
      - .address_space:  global
        .offset:         56
        .size:           8
        .value_kind:     global_buffer
      - .address_space:  global
        .offset:         64
        .size:           8
        .value_kind:     global_buffer
      - .offset:         72
        .size:           4
        .value_kind:     by_value
      - .address_space:  global
        .offset:         80
        .size:           8
        .value_kind:     global_buffer
      - .offset:         88
        .size:           4
        .value_kind:     by_value
      - .offset:         92
        .size:           4
        .value_kind:     by_value
      - .offset:         96
        .size:           4
        .value_kind:     by_value
      - .address_space:  global
        .offset:         104
        .size:           8
        .value_kind:     global_buffer
      - .address_space:  global
        .offset:         112
        .size:           8
        .value_kind:     global_buffer
      - .offset:         120
        .size:           4
        .value_kind:     by_value
      - .offset:         124
        .size:           4
        .value_kind:     by_value
      - .offset:         128
        .size:           4
        .value_kind:     by_value
      - .offset:         132
        .size:           4
        .value_kind:     by_value
      - .offset:         136
        .size:           4
        .value_kind:     by_value
      - .offset:         144
        .size:           4
        .value_kind:     hidden_block_count_x
      - .offset:         148
        .size:           4
        .value_kind:     hidden_block_count_y
      - .offset:         152
        .size:           4
        .value_kind:     hidden_block_count_z
      - .offset:         156
        .size:           2
        .value_kind:     hidden_group_size_x
      - .offset:         158
        .size:           2
        .value_kind:     hidden_group_size_y
      - .offset:         160
        .size:           2
        .value_kind:     hidden_group_size_z
      - .offset:         162
        .size:           2
        .value_kind:     hidden_remainder_x
      - .offset:         164
        .size:           2
        .value_kind:     hidden_remainder_y
      - .offset:         166
        .size:           2
        .value_kind:     hidden_remainder_z
      - .offset:         184
        .size:           8
        .value_kind:     hidden_global_offset_x
      - .offset:         192
        .size:           8
        .value_kind:     hidden_global_offset_y
      - .offset:         200
        .size:           8
        .value_kind:     hidden_global_offset_z
      - .offset:         208
        .size:           2
        .value_kind:     hidden_grid_dims
      - .offset:         264
        .size:           4
        .value_kind:     hidden_dynamic_lds_size
    .group_segment_fixed_size: 544
    .kernarg_segment_align: 8
    .kernarg_segment_size: 400
    .language:       OpenCL C
    .language_version:
      - 2
      - 0
    .max_flat_workgroup_size: 1024
    .name:           _ZN4vllm25paged_attention_v2_kernelI14__hip_bfloat16hLi256ELi32ELi128ELNS_18Fp8KVCacheDataTypeE1ELb0ELi512EEEvPfS3_PT_PKS4_PKT0_SA_ifPKiSC_iPKfiiiSE_SE_iiiii
    .private_segment_fixed_size: 2364
    .sgpr_count:     46
    .sgpr_spill_count: 0
    .symbol:         _ZN4vllm25paged_attention_v2_kernelI14__hip_bfloat16hLi256ELi32ELi128ELNS_18Fp8KVCacheDataTypeE1ELb0ELi512EEEvPfS3_PT_PKS4_PKT0_SA_ifPKiSC_iPKfiiiSE_SE_iiiii.kd
    .uniform_work_group_size: 1
    .uses_dynamic_stack: false
    .vgpr_count:     128
    .vgpr_spill_count: 0
    .wavefront_size: 32
    .workgroup_processor_mode: 1
amdhsa.target:   amdgcn-amd-amdhsa--gfx1030
amdhsa.version:
  - 1
  - 2
...

	.end_amdgpu_metadata
